;; amdgpu-corpus repo=pytorch/pytorch kind=compiled arch=gfx906 opt=O3
	.amdgcn_target "amdgcn-amd-amdhsa--gfx906"
	.amdhsa_code_object_version 6
	.section	.text._ZN2at6native12_GLOBAL__N_129fill_index_and_segment_kernelEP15HIP_vector_typeIiLj2EEiNS_4cuda6detail10IntDividerIjEE,"axG",@progbits,_ZN2at6native12_GLOBAL__N_129fill_index_and_segment_kernelEP15HIP_vector_typeIiLj2EEiNS_4cuda6detail10IntDividerIjEE,comdat
	.globl	_ZN2at6native12_GLOBAL__N_129fill_index_and_segment_kernelEP15HIP_vector_typeIiLj2EEiNS_4cuda6detail10IntDividerIjEE ; -- Begin function _ZN2at6native12_GLOBAL__N_129fill_index_and_segment_kernelEP15HIP_vector_typeIiLj2EEiNS_4cuda6detail10IntDividerIjEE
	.p2align	8
	.type	_ZN2at6native12_GLOBAL__N_129fill_index_and_segment_kernelEP15HIP_vector_typeIiLj2EEiNS_4cuda6detail10IntDividerIjEE,@function
_ZN2at6native12_GLOBAL__N_129fill_index_and_segment_kernelEP15HIP_vector_typeIiLj2EEiNS_4cuda6detail10IntDividerIjEE: ; @_ZN2at6native12_GLOBAL__N_129fill_index_and_segment_kernelEP15HIP_vector_typeIiLj2EEiNS_4cuda6detail10IntDividerIjEE
; %bb.0:
	s_load_dword s2, s[4:5], 0x24
	s_load_dwordx2 s[0:1], s[4:5], 0x8
	s_add_u32 s10, s4, 24
	s_addc_u32 s11, s5, 0
	s_waitcnt lgkmcnt(0)
	s_and_b32 s14, s2, 0xffff
	s_mul_hi_u32 s13, s14, s6
	s_mul_i32 s12, s14, s6
	v_mov_b32_e32 v1, s13
	v_add_co_u32_e32 v2, vcc, s12, v0
	v_addc_co_u32_e32 v3, vcc, 0, v1, vcc
	s_ashr_i32 s3, s0, 31
	s_mov_b32 s2, s0
	v_cmp_gt_i64_e32 vcc, s[2:3], v[2:3]
	v_mov_b32_e32 v3, 0
	s_and_saveexec_b64 s[6:7], vcc
	s_cbranch_execz .LBB0_3
; %bb.1:
	s_load_dword s0, s[10:11], 0x0
	s_load_dwordx2 s[6:7], s[4:5], 0x0
	s_load_dwordx2 s[8:9], s[4:5], 0x10
	s_sub_i32 s10, 0, s1
	v_add_u32_e32 v4, s12, v0
	s_waitcnt lgkmcnt(0)
	s_mul_i32 s11, s0, s14
	v_mov_b32_e32 v1, v3
	s_mov_b64 s[4:5], 0
	v_mov_b32_e32 v5, s7
	v_mov_b32_e32 v6, s13
	;; [unrolled: 1-line block ×3, first 2 shown]
.LBB0_2:                                ; =>This Inner Loop Header: Depth=1
	v_add_u32_e32 v8, s12, v0
	v_add_co_u32_e32 v0, vcc, s11, v0
	v_addc_co_u32_e32 v3, vcc, 0, v3, vcc
	v_mul_hi_u32 v13, s8, v4
	v_ashrrev_i64 v[9:10], 29, v[1:2]
	v_add_co_u32_e32 v1, vcc, 0, v1
	v_addc_co_u32_e32 v2, vcc, v2, v7, vcc
	v_add_co_u32_e32 v11, vcc, s12, v0
	v_addc_co_u32_e32 v12, vcc, v6, v3, vcc
	v_cmp_le_i64_e64 s[0:1], s[2:3], v[11:12]
	v_add_u32_e32 v11, v8, v13
	v_add_co_u32_e32 v9, vcc, s6, v9
	v_lshrrev_b32_e32 v11, s9, v11
	v_mad_u64_u32 v[12:13], s[14:15], s10, v11, v[8:9]
	v_add_u32_e32 v4, s11, v4
	v_addc_co_u32_e32 v10, vcc, v5, v10, vcc
	s_or_b64 s[4:5], s[0:1], s[4:5]
	global_store_dwordx2 v[9:10], v[11:12], off
	s_andn2_b64 exec, exec, s[4:5]
	s_cbranch_execnz .LBB0_2
.LBB0_3:
	s_endpgm
	.section	.rodata,"a",@progbits
	.p2align	6, 0x0
	.amdhsa_kernel _ZN2at6native12_GLOBAL__N_129fill_index_and_segment_kernelEP15HIP_vector_typeIiLj2EEiNS_4cuda6detail10IntDividerIjEE
		.amdhsa_group_segment_fixed_size 0
		.amdhsa_private_segment_fixed_size 0
		.amdhsa_kernarg_size 280
		.amdhsa_user_sgpr_count 6
		.amdhsa_user_sgpr_private_segment_buffer 1
		.amdhsa_user_sgpr_dispatch_ptr 0
		.amdhsa_user_sgpr_queue_ptr 0
		.amdhsa_user_sgpr_kernarg_segment_ptr 1
		.amdhsa_user_sgpr_dispatch_id 0
		.amdhsa_user_sgpr_flat_scratch_init 0
		.amdhsa_user_sgpr_private_segment_size 0
		.amdhsa_uses_dynamic_stack 0
		.amdhsa_system_sgpr_private_segment_wavefront_offset 0
		.amdhsa_system_sgpr_workgroup_id_x 1
		.amdhsa_system_sgpr_workgroup_id_y 0
		.amdhsa_system_sgpr_workgroup_id_z 0
		.amdhsa_system_sgpr_workgroup_info 0
		.amdhsa_system_vgpr_workitem_id 0
		.amdhsa_next_free_vgpr 14
		.amdhsa_next_free_sgpr 16
		.amdhsa_reserve_vcc 1
		.amdhsa_reserve_flat_scratch 0
		.amdhsa_float_round_mode_32 0
		.amdhsa_float_round_mode_16_64 0
		.amdhsa_float_denorm_mode_32 3
		.amdhsa_float_denorm_mode_16_64 3
		.amdhsa_dx10_clamp 1
		.amdhsa_ieee_mode 1
		.amdhsa_fp16_overflow 0
		.amdhsa_exception_fp_ieee_invalid_op 0
		.amdhsa_exception_fp_denorm_src 0
		.amdhsa_exception_fp_ieee_div_zero 0
		.amdhsa_exception_fp_ieee_overflow 0
		.amdhsa_exception_fp_ieee_underflow 0
		.amdhsa_exception_fp_ieee_inexact 0
		.amdhsa_exception_int_div_zero 0
	.end_amdhsa_kernel
	.section	.text._ZN2at6native12_GLOBAL__N_129fill_index_and_segment_kernelEP15HIP_vector_typeIiLj2EEiNS_4cuda6detail10IntDividerIjEE,"axG",@progbits,_ZN2at6native12_GLOBAL__N_129fill_index_and_segment_kernelEP15HIP_vector_typeIiLj2EEiNS_4cuda6detail10IntDividerIjEE,comdat
.Lfunc_end0:
	.size	_ZN2at6native12_GLOBAL__N_129fill_index_and_segment_kernelEP15HIP_vector_typeIiLj2EEiNS_4cuda6detail10IntDividerIjEE, .Lfunc_end0-_ZN2at6native12_GLOBAL__N_129fill_index_and_segment_kernelEP15HIP_vector_typeIiLj2EEiNS_4cuda6detail10IntDividerIjEE
                                        ; -- End function
	.set _ZN2at6native12_GLOBAL__N_129fill_index_and_segment_kernelEP15HIP_vector_typeIiLj2EEiNS_4cuda6detail10IntDividerIjEE.num_vgpr, 14
	.set _ZN2at6native12_GLOBAL__N_129fill_index_and_segment_kernelEP15HIP_vector_typeIiLj2EEiNS_4cuda6detail10IntDividerIjEE.num_agpr, 0
	.set _ZN2at6native12_GLOBAL__N_129fill_index_and_segment_kernelEP15HIP_vector_typeIiLj2EEiNS_4cuda6detail10IntDividerIjEE.numbered_sgpr, 16
	.set _ZN2at6native12_GLOBAL__N_129fill_index_and_segment_kernelEP15HIP_vector_typeIiLj2EEiNS_4cuda6detail10IntDividerIjEE.num_named_barrier, 0
	.set _ZN2at6native12_GLOBAL__N_129fill_index_and_segment_kernelEP15HIP_vector_typeIiLj2EEiNS_4cuda6detail10IntDividerIjEE.private_seg_size, 0
	.set _ZN2at6native12_GLOBAL__N_129fill_index_and_segment_kernelEP15HIP_vector_typeIiLj2EEiNS_4cuda6detail10IntDividerIjEE.uses_vcc, 1
	.set _ZN2at6native12_GLOBAL__N_129fill_index_and_segment_kernelEP15HIP_vector_typeIiLj2EEiNS_4cuda6detail10IntDividerIjEE.uses_flat_scratch, 0
	.set _ZN2at6native12_GLOBAL__N_129fill_index_and_segment_kernelEP15HIP_vector_typeIiLj2EEiNS_4cuda6detail10IntDividerIjEE.has_dyn_sized_stack, 0
	.set _ZN2at6native12_GLOBAL__N_129fill_index_and_segment_kernelEP15HIP_vector_typeIiLj2EEiNS_4cuda6detail10IntDividerIjEE.has_recursion, 0
	.set _ZN2at6native12_GLOBAL__N_129fill_index_and_segment_kernelEP15HIP_vector_typeIiLj2EEiNS_4cuda6detail10IntDividerIjEE.has_indirect_call, 0
	.section	.AMDGPU.csdata,"",@progbits
; Kernel info:
; codeLenInByte = 244
; TotalNumSgprs: 20
; NumVgprs: 14
; ScratchSize: 0
; MemoryBound: 0
; FloatMode: 240
; IeeeMode: 1
; LDSByteSize: 0 bytes/workgroup (compile time only)
; SGPRBlocks: 2
; VGPRBlocks: 3
; NumSGPRsForWavesPerEU: 20
; NumVGPRsForWavesPerEU: 14
; Occupancy: 10
; WaveLimiterHint : 0
; COMPUTE_PGM_RSRC2:SCRATCH_EN: 0
; COMPUTE_PGM_RSRC2:USER_SGPR: 6
; COMPUTE_PGM_RSRC2:TRAP_HANDLER: 0
; COMPUTE_PGM_RSRC2:TGID_X_EN: 1
; COMPUTE_PGM_RSRC2:TGID_Y_EN: 0
; COMPUTE_PGM_RSRC2:TGID_Z_EN: 0
; COMPUTE_PGM_RSRC2:TIDIG_COMP_CNT: 0
	.section	.text._ZN2at6native12_GLOBAL__N_127fill_reverse_indices_kernelEPliNS_4cuda6detail10IntDividerIjEE,"axG",@progbits,_ZN2at6native12_GLOBAL__N_127fill_reverse_indices_kernelEPliNS_4cuda6detail10IntDividerIjEE,comdat
	.globl	_ZN2at6native12_GLOBAL__N_127fill_reverse_indices_kernelEPliNS_4cuda6detail10IntDividerIjEE ; -- Begin function _ZN2at6native12_GLOBAL__N_127fill_reverse_indices_kernelEPliNS_4cuda6detail10IntDividerIjEE
	.p2align	8
	.type	_ZN2at6native12_GLOBAL__N_127fill_reverse_indices_kernelEPliNS_4cuda6detail10IntDividerIjEE,@function
_ZN2at6native12_GLOBAL__N_127fill_reverse_indices_kernelEPliNS_4cuda6detail10IntDividerIjEE: ; @_ZN2at6native12_GLOBAL__N_127fill_reverse_indices_kernelEPliNS_4cuda6detail10IntDividerIjEE
; %bb.0:
	s_load_dword s2, s[4:5], 0x24
	s_load_dwordx2 s[0:1], s[4:5], 0x8
	s_add_u32 s10, s4, 24
	s_addc_u32 s11, s5, 0
	s_waitcnt lgkmcnt(0)
	s_and_b32 s14, s2, 0xffff
	s_mul_hi_u32 s13, s14, s6
	s_mul_i32 s12, s14, s6
	v_mov_b32_e32 v1, s13
	v_add_co_u32_e32 v3, vcc, s12, v0
	v_addc_co_u32_e32 v4, vcc, 0, v1, vcc
	s_ashr_i32 s3, s0, 31
	s_mov_b32 s2, s0
	v_cmp_gt_i64_e32 vcc, s[2:3], v[3:4]
	v_mov_b32_e32 v1, 0
	s_and_saveexec_b64 s[6:7], vcc
	s_cbranch_execz .LBB1_3
; %bb.1:
	s_load_dword s0, s[10:11], 0x0
	s_load_dwordx2 s[6:7], s[4:5], 0x0
	s_load_dwordx2 s[8:9], s[4:5], 0x10
	v_mov_b32_e32 v5, v1
	s_sub_i32 s10, 0, s1
	s_waitcnt lgkmcnt(0)
	s_mul_i32 s11, s0, s14
	v_add_u32_e32 v6, s12, v0
	v_mov_b32_e32 v2, v1
	s_mov_b64 s[4:5], 0
	v_mov_b32_e32 v7, s7
	v_mov_b32_e32 v8, s13
	v_mov_b32_e32 v9, s11
	v_mov_b32_e32 v4, v0
.LBB1_2:                                ; =>This Inner Loop Header: Depth=1
	v_add_u32_e32 v0, s12, v4
	v_add_co_u32_e32 v4, vcc, s11, v4
	v_addc_co_u32_e32 v5, vcc, 0, v5, vcc
	v_mul_hi_u32 v14, s8, v6
	v_ashrrev_i64 v[10:11], 29, v[2:3]
	v_add_co_u32_e32 v2, vcc, 0, v2
	v_addc_co_u32_e32 v3, vcc, v3, v9, vcc
	v_add_co_u32_e32 v12, vcc, s12, v4
	v_addc_co_u32_e32 v13, vcc, v8, v5, vcc
	v_cmp_le_i64_e64 s[0:1], s[2:3], v[12:13]
	v_add_u32_e32 v12, v0, v14
	v_lshrrev_b32_e32 v12, s9, v12
	v_mad_u64_u32 v[12:13], s[14:15], s10, v12, v[0:1]
	v_add_co_u32_e32 v10, vcc, s6, v10
	v_add_u32_e32 v6, s11, v6
	v_addc_co_u32_e32 v11, vcc, v7, v11, vcc
	s_or_b64 s[4:5], s[0:1], s[4:5]
	v_mov_b32_e32 v13, v1
	global_store_dwordx2 v[10:11], v[12:13], off
	s_andn2_b64 exec, exec, s[4:5]
	s_cbranch_execnz .LBB1_2
.LBB1_3:
	s_endpgm
	.section	.rodata,"a",@progbits
	.p2align	6, 0x0
	.amdhsa_kernel _ZN2at6native12_GLOBAL__N_127fill_reverse_indices_kernelEPliNS_4cuda6detail10IntDividerIjEE
		.amdhsa_group_segment_fixed_size 0
		.amdhsa_private_segment_fixed_size 0
		.amdhsa_kernarg_size 280
		.amdhsa_user_sgpr_count 6
		.amdhsa_user_sgpr_private_segment_buffer 1
		.amdhsa_user_sgpr_dispatch_ptr 0
		.amdhsa_user_sgpr_queue_ptr 0
		.amdhsa_user_sgpr_kernarg_segment_ptr 1
		.amdhsa_user_sgpr_dispatch_id 0
		.amdhsa_user_sgpr_flat_scratch_init 0
		.amdhsa_user_sgpr_private_segment_size 0
		.amdhsa_uses_dynamic_stack 0
		.amdhsa_system_sgpr_private_segment_wavefront_offset 0
		.amdhsa_system_sgpr_workgroup_id_x 1
		.amdhsa_system_sgpr_workgroup_id_y 0
		.amdhsa_system_sgpr_workgroup_id_z 0
		.amdhsa_system_sgpr_workgroup_info 0
		.amdhsa_system_vgpr_workitem_id 0
		.amdhsa_next_free_vgpr 15
		.amdhsa_next_free_sgpr 16
		.amdhsa_reserve_vcc 1
		.amdhsa_reserve_flat_scratch 0
		.amdhsa_float_round_mode_32 0
		.amdhsa_float_round_mode_16_64 0
		.amdhsa_float_denorm_mode_32 3
		.amdhsa_float_denorm_mode_16_64 3
		.amdhsa_dx10_clamp 1
		.amdhsa_ieee_mode 1
		.amdhsa_fp16_overflow 0
		.amdhsa_exception_fp_ieee_invalid_op 0
		.amdhsa_exception_fp_denorm_src 0
		.amdhsa_exception_fp_ieee_div_zero 0
		.amdhsa_exception_fp_ieee_overflow 0
		.amdhsa_exception_fp_ieee_underflow 0
		.amdhsa_exception_fp_ieee_inexact 0
		.amdhsa_exception_int_div_zero 0
	.end_amdhsa_kernel
	.section	.text._ZN2at6native12_GLOBAL__N_127fill_reverse_indices_kernelEPliNS_4cuda6detail10IntDividerIjEE,"axG",@progbits,_ZN2at6native12_GLOBAL__N_127fill_reverse_indices_kernelEPliNS_4cuda6detail10IntDividerIjEE,comdat
.Lfunc_end1:
	.size	_ZN2at6native12_GLOBAL__N_127fill_reverse_indices_kernelEPliNS_4cuda6detail10IntDividerIjEE, .Lfunc_end1-_ZN2at6native12_GLOBAL__N_127fill_reverse_indices_kernelEPliNS_4cuda6detail10IntDividerIjEE
                                        ; -- End function
	.set _ZN2at6native12_GLOBAL__N_127fill_reverse_indices_kernelEPliNS_4cuda6detail10IntDividerIjEE.num_vgpr, 15
	.set _ZN2at6native12_GLOBAL__N_127fill_reverse_indices_kernelEPliNS_4cuda6detail10IntDividerIjEE.num_agpr, 0
	.set _ZN2at6native12_GLOBAL__N_127fill_reverse_indices_kernelEPliNS_4cuda6detail10IntDividerIjEE.numbered_sgpr, 16
	.set _ZN2at6native12_GLOBAL__N_127fill_reverse_indices_kernelEPliNS_4cuda6detail10IntDividerIjEE.num_named_barrier, 0
	.set _ZN2at6native12_GLOBAL__N_127fill_reverse_indices_kernelEPliNS_4cuda6detail10IntDividerIjEE.private_seg_size, 0
	.set _ZN2at6native12_GLOBAL__N_127fill_reverse_indices_kernelEPliNS_4cuda6detail10IntDividerIjEE.uses_vcc, 1
	.set _ZN2at6native12_GLOBAL__N_127fill_reverse_indices_kernelEPliNS_4cuda6detail10IntDividerIjEE.uses_flat_scratch, 0
	.set _ZN2at6native12_GLOBAL__N_127fill_reverse_indices_kernelEPliNS_4cuda6detail10IntDividerIjEE.has_dyn_sized_stack, 0
	.set _ZN2at6native12_GLOBAL__N_127fill_reverse_indices_kernelEPliNS_4cuda6detail10IntDividerIjEE.has_recursion, 0
	.set _ZN2at6native12_GLOBAL__N_127fill_reverse_indices_kernelEPliNS_4cuda6detail10IntDividerIjEE.has_indirect_call, 0
	.section	.AMDGPU.csdata,"",@progbits
; Kernel info:
; codeLenInByte = 256
; TotalNumSgprs: 20
; NumVgprs: 15
; ScratchSize: 0
; MemoryBound: 0
; FloatMode: 240
; IeeeMode: 1
; LDSByteSize: 0 bytes/workgroup (compile time only)
; SGPRBlocks: 2
; VGPRBlocks: 3
; NumSGPRsForWavesPerEU: 20
; NumVGPRsForWavesPerEU: 15
; Occupancy: 10
; WaveLimiterHint : 0
; COMPUTE_PGM_RSRC2:SCRATCH_EN: 0
; COMPUTE_PGM_RSRC2:USER_SGPR: 6
; COMPUTE_PGM_RSRC2:TRAP_HANDLER: 0
; COMPUTE_PGM_RSRC2:TGID_X_EN: 1
; COMPUTE_PGM_RSRC2:TGID_Y_EN: 0
; COMPUTE_PGM_RSRC2:TGID_Z_EN: 0
; COMPUTE_PGM_RSRC2:TIDIG_COMP_CNT: 0
	.section	.text._ZN2at6native12_GLOBAL__N_123sort_postprocess_kernelIhEEvPKT_PS3_PlPK15HIP_vector_typeIiLj2EEii,"axG",@progbits,_ZN2at6native12_GLOBAL__N_123sort_postprocess_kernelIhEEvPKT_PS3_PlPK15HIP_vector_typeIiLj2EEii,comdat
	.globl	_ZN2at6native12_GLOBAL__N_123sort_postprocess_kernelIhEEvPKT_PS3_PlPK15HIP_vector_typeIiLj2EEii ; -- Begin function _ZN2at6native12_GLOBAL__N_123sort_postprocess_kernelIhEEvPKT_PS3_PlPK15HIP_vector_typeIiLj2EEii
	.p2align	8
	.type	_ZN2at6native12_GLOBAL__N_123sort_postprocess_kernelIhEEvPKT_PS3_PlPK15HIP_vector_typeIiLj2EEii,@function
_ZN2at6native12_GLOBAL__N_123sort_postprocess_kernelIhEEvPKT_PS3_PlPK15HIP_vector_typeIiLj2EEii: ; @_ZN2at6native12_GLOBAL__N_123sort_postprocess_kernelIhEEvPKT_PS3_PlPK15HIP_vector_typeIiLj2EEii
; %bb.0:
	s_load_dword s2, s[4:5], 0x34
	s_load_dwordx2 s[8:9], s[4:5], 0x20
	s_add_u32 s0, s4, 40
	s_addc_u32 s1, s5, 0
	s_waitcnt lgkmcnt(0)
	s_and_b32 s16, s2, 0xffff
	s_mul_hi_u32 s17, s16, s6
	s_mul_i32 s6, s16, s6
	v_mov_b32_e32 v2, s17
	v_add_co_u32_e32 v1, vcc, s6, v0
	s_mul_i32 s2, s9, s8
	v_addc_co_u32_e32 v2, vcc, 0, v2, vcc
	s_ashr_i32 s3, s2, 31
	v_cmp_gt_i64_e32 vcc, s[2:3], v[1:2]
	v_mov_b32_e32 v1, 0
	s_and_saveexec_b64 s[10:11], vcc
	s_cbranch_execz .LBB2_3
; %bb.1:
	s_abs_i32 s7, s9
	v_cvt_f32_u32_e32 v2, s7
	s_load_dword s18, s[0:1], 0x0
	s_load_dwordx8 s[8:15], s[4:5], 0x0
	s_sub_i32 s0, 0, s7
	s_mov_b64 s[4:5], 0
	v_rcp_iflag_f32_e32 v2, v2
	s_waitcnt lgkmcnt(0)
	s_mul_i32 s16, s18, s16
	v_mov_b32_e32 v4, s13
	v_mov_b32_e32 v5, s15
	v_mul_f32_e32 v2, 0x4f7ffffe, v2
	v_cvt_u32_f32_e32 v6, v2
	v_mov_b32_e32 v2, s9
	v_mul_lo_u32 v3, s0, v6
	v_mul_hi_u32 v7, v6, v3
	v_mov_b32_e32 v3, s11
	v_add_u32_e32 v6, v6, v7
	v_mov_b32_e32 v7, s17
.LBB2_2:                                ; =>This Inner Loop Header: Depth=1
	v_add_u32_e32 v8, s6, v0
	v_ashrrev_i32_e32 v9, 31, v8
	v_sub_u32_e32 v10, 0, v8
	v_add_u32_e32 v11, v8, v9
	v_max_i32_e32 v8, v8, v10
	v_mul_hi_u32 v10, v8, v6
	v_mul_lo_u32 v10, v10, s7
	v_sub_u32_e32 v8, v8, v10
	v_subrev_u32_e32 v10, s7, v8
	v_cmp_le_u32_e32 vcc, s7, v8
	v_cndmask_b32_e32 v8, v8, v10, vcc
	v_subrev_u32_e32 v10, s7, v8
	v_cmp_le_u32_e32 vcc, s7, v8
	v_cndmask_b32_e32 v8, v8, v10, vcc
	v_xor_b32_e32 v10, v8, v9
	v_sub_u32_e32 v8, v10, v9
	v_sub_u32_e32 v10, v11, v10
	v_ashrrev_i32_e32 v11, 31, v10
	v_lshlrev_b64 v[12:13], 3, v[10:11]
	v_ashrrev_i32_e32 v9, 31, v8
	v_lshlrev_b64 v[14:15], 3, v[8:9]
	v_add_co_u32_e32 v16, vcc, s14, v12
	v_addc_co_u32_e32 v17, vcc, v5, v13, vcc
	v_add_co_u32_e32 v16, vcc, v16, v14
	v_addc_co_u32_e32 v17, vcc, v17, v15, vcc
	global_load_dword v16, v[16:17], off offset:4
	v_add_co_u32_e64 v12, s[0:1], s12, v12
	v_addc_co_u32_e64 v13, s[0:1], v4, v13, s[0:1]
	v_add_co_u32_e32 v18, vcc, s8, v10
	v_add_co_u32_e64 v12, s[0:1], v12, v14
	v_addc_co_u32_e64 v13, s[0:1], v13, v15, s[0:1]
	v_addc_co_u32_e32 v15, vcc, v2, v11, vcc
	s_waitcnt vmcnt(0)
	v_ashrrev_i32_e32 v17, 31, v16
	v_add_co_u32_e32 v14, vcc, v18, v16
	global_store_dwordx2 v[12:13], v[16:17], off
	v_addc_co_u32_e32 v15, vcc, v15, v17, vcc
	global_load_ubyte v14, v[14:15], off
	v_add_co_u32_e32 v0, vcc, s16, v0
	v_addc_co_u32_e32 v1, vcc, 0, v1, vcc
	v_add_co_u32_e32 v12, vcc, s6, v0
	v_addc_co_u32_e32 v13, vcc, v7, v1, vcc
	v_cmp_le_i64_e32 vcc, s[2:3], v[12:13]
	s_or_b64 s[4:5], vcc, s[4:5]
	v_add_co_u32_e32 v10, vcc, s10, v10
	v_addc_co_u32_e32 v11, vcc, v3, v11, vcc
	v_add_co_u32_e32 v8, vcc, v10, v8
	v_addc_co_u32_e32 v9, vcc, v11, v9, vcc
	s_waitcnt vmcnt(0)
	global_store_byte v[8:9], v14, off
	s_andn2_b64 exec, exec, s[4:5]
	s_cbranch_execnz .LBB2_2
.LBB2_3:
	s_endpgm
	.section	.rodata,"a",@progbits
	.p2align	6, 0x0
	.amdhsa_kernel _ZN2at6native12_GLOBAL__N_123sort_postprocess_kernelIhEEvPKT_PS3_PlPK15HIP_vector_typeIiLj2EEii
		.amdhsa_group_segment_fixed_size 0
		.amdhsa_private_segment_fixed_size 0
		.amdhsa_kernarg_size 296
		.amdhsa_user_sgpr_count 6
		.amdhsa_user_sgpr_private_segment_buffer 1
		.amdhsa_user_sgpr_dispatch_ptr 0
		.amdhsa_user_sgpr_queue_ptr 0
		.amdhsa_user_sgpr_kernarg_segment_ptr 1
		.amdhsa_user_sgpr_dispatch_id 0
		.amdhsa_user_sgpr_flat_scratch_init 0
		.amdhsa_user_sgpr_private_segment_size 0
		.amdhsa_uses_dynamic_stack 0
		.amdhsa_system_sgpr_private_segment_wavefront_offset 0
		.amdhsa_system_sgpr_workgroup_id_x 1
		.amdhsa_system_sgpr_workgroup_id_y 0
		.amdhsa_system_sgpr_workgroup_id_z 0
		.amdhsa_system_sgpr_workgroup_info 0
		.amdhsa_system_vgpr_workitem_id 0
		.amdhsa_next_free_vgpr 19
		.amdhsa_next_free_sgpr 19
		.amdhsa_reserve_vcc 1
		.amdhsa_reserve_flat_scratch 0
		.amdhsa_float_round_mode_32 0
		.amdhsa_float_round_mode_16_64 0
		.amdhsa_float_denorm_mode_32 3
		.amdhsa_float_denorm_mode_16_64 3
		.amdhsa_dx10_clamp 1
		.amdhsa_ieee_mode 1
		.amdhsa_fp16_overflow 0
		.amdhsa_exception_fp_ieee_invalid_op 0
		.amdhsa_exception_fp_denorm_src 0
		.amdhsa_exception_fp_ieee_div_zero 0
		.amdhsa_exception_fp_ieee_overflow 0
		.amdhsa_exception_fp_ieee_underflow 0
		.amdhsa_exception_fp_ieee_inexact 0
		.amdhsa_exception_int_div_zero 0
	.end_amdhsa_kernel
	.section	.text._ZN2at6native12_GLOBAL__N_123sort_postprocess_kernelIhEEvPKT_PS3_PlPK15HIP_vector_typeIiLj2EEii,"axG",@progbits,_ZN2at6native12_GLOBAL__N_123sort_postprocess_kernelIhEEvPKT_PS3_PlPK15HIP_vector_typeIiLj2EEii,comdat
.Lfunc_end2:
	.size	_ZN2at6native12_GLOBAL__N_123sort_postprocess_kernelIhEEvPKT_PS3_PlPK15HIP_vector_typeIiLj2EEii, .Lfunc_end2-_ZN2at6native12_GLOBAL__N_123sort_postprocess_kernelIhEEvPKT_PS3_PlPK15HIP_vector_typeIiLj2EEii
                                        ; -- End function
	.set _ZN2at6native12_GLOBAL__N_123sort_postprocess_kernelIhEEvPKT_PS3_PlPK15HIP_vector_typeIiLj2EEii.num_vgpr, 19
	.set _ZN2at6native12_GLOBAL__N_123sort_postprocess_kernelIhEEvPKT_PS3_PlPK15HIP_vector_typeIiLj2EEii.num_agpr, 0
	.set _ZN2at6native12_GLOBAL__N_123sort_postprocess_kernelIhEEvPKT_PS3_PlPK15HIP_vector_typeIiLj2EEii.numbered_sgpr, 19
	.set _ZN2at6native12_GLOBAL__N_123sort_postprocess_kernelIhEEvPKT_PS3_PlPK15HIP_vector_typeIiLj2EEii.num_named_barrier, 0
	.set _ZN2at6native12_GLOBAL__N_123sort_postprocess_kernelIhEEvPKT_PS3_PlPK15HIP_vector_typeIiLj2EEii.private_seg_size, 0
	.set _ZN2at6native12_GLOBAL__N_123sort_postprocess_kernelIhEEvPKT_PS3_PlPK15HIP_vector_typeIiLj2EEii.uses_vcc, 1
	.set _ZN2at6native12_GLOBAL__N_123sort_postprocess_kernelIhEEvPKT_PS3_PlPK15HIP_vector_typeIiLj2EEii.uses_flat_scratch, 0
	.set _ZN2at6native12_GLOBAL__N_123sort_postprocess_kernelIhEEvPKT_PS3_PlPK15HIP_vector_typeIiLj2EEii.has_dyn_sized_stack, 0
	.set _ZN2at6native12_GLOBAL__N_123sort_postprocess_kernelIhEEvPKT_PS3_PlPK15HIP_vector_typeIiLj2EEii.has_recursion, 0
	.set _ZN2at6native12_GLOBAL__N_123sort_postprocess_kernelIhEEvPKT_PS3_PlPK15HIP_vector_typeIiLj2EEii.has_indirect_call, 0
	.section	.AMDGPU.csdata,"",@progbits
; Kernel info:
; codeLenInByte = 436
; TotalNumSgprs: 23
; NumVgprs: 19
; ScratchSize: 0
; MemoryBound: 0
; FloatMode: 240
; IeeeMode: 1
; LDSByteSize: 0 bytes/workgroup (compile time only)
; SGPRBlocks: 2
; VGPRBlocks: 4
; NumSGPRsForWavesPerEU: 23
; NumVGPRsForWavesPerEU: 19
; Occupancy: 10
; WaveLimiterHint : 1
; COMPUTE_PGM_RSRC2:SCRATCH_EN: 0
; COMPUTE_PGM_RSRC2:USER_SGPR: 6
; COMPUTE_PGM_RSRC2:TRAP_HANDLER: 0
; COMPUTE_PGM_RSRC2:TGID_X_EN: 1
; COMPUTE_PGM_RSRC2:TGID_Y_EN: 0
; COMPUTE_PGM_RSRC2:TGID_Z_EN: 0
; COMPUTE_PGM_RSRC2:TIDIG_COMP_CNT: 0
	.section	.text._ZN7rocprim17ROCPRIM_400000_NS6detail31init_lookback_scan_state_kernelINS1_19lookback_scan_stateI15HIP_vector_typeIjLj2EELb0ELb1EEENS1_16block_id_wrapperIjLb0EEEEEvT_jT0_jPNS9_10value_typeE,"axG",@progbits,_ZN7rocprim17ROCPRIM_400000_NS6detail31init_lookback_scan_state_kernelINS1_19lookback_scan_stateI15HIP_vector_typeIjLj2EELb0ELb1EEENS1_16block_id_wrapperIjLb0EEEEEvT_jT0_jPNS9_10value_typeE,comdat
	.protected	_ZN7rocprim17ROCPRIM_400000_NS6detail31init_lookback_scan_state_kernelINS1_19lookback_scan_stateI15HIP_vector_typeIjLj2EELb0ELb1EEENS1_16block_id_wrapperIjLb0EEEEEvT_jT0_jPNS9_10value_typeE ; -- Begin function _ZN7rocprim17ROCPRIM_400000_NS6detail31init_lookback_scan_state_kernelINS1_19lookback_scan_stateI15HIP_vector_typeIjLj2EELb0ELb1EEENS1_16block_id_wrapperIjLb0EEEEEvT_jT0_jPNS9_10value_typeE
	.globl	_ZN7rocprim17ROCPRIM_400000_NS6detail31init_lookback_scan_state_kernelINS1_19lookback_scan_stateI15HIP_vector_typeIjLj2EELb0ELb1EEENS1_16block_id_wrapperIjLb0EEEEEvT_jT0_jPNS9_10value_typeE
	.p2align	8
	.type	_ZN7rocprim17ROCPRIM_400000_NS6detail31init_lookback_scan_state_kernelINS1_19lookback_scan_stateI15HIP_vector_typeIjLj2EELb0ELb1EEENS1_16block_id_wrapperIjLb0EEEEEvT_jT0_jPNS9_10value_typeE,@function
_ZN7rocprim17ROCPRIM_400000_NS6detail31init_lookback_scan_state_kernelINS1_19lookback_scan_stateI15HIP_vector_typeIjLj2EELb0ELb1EEENS1_16block_id_wrapperIjLb0EEEEEvT_jT0_jPNS9_10value_typeE: ; @_ZN7rocprim17ROCPRIM_400000_NS6detail31init_lookback_scan_state_kernelINS1_19lookback_scan_stateI15HIP_vector_typeIjLj2EELb0ELb1EEENS1_16block_id_wrapperIjLb0EEEEEvT_jT0_jPNS9_10value_typeE
; %bb.0:
	s_load_dword s7, s[4:5], 0x2c
	s_load_dwordx2 s[2:3], s[4:5], 0x18
	s_load_dwordx2 s[0:1], s[4:5], 0x0
	s_load_dword s12, s[4:5], 0x8
	s_waitcnt lgkmcnt(0)
	s_and_b32 s7, s7, 0xffff
	s_mul_i32 s6, s6, s7
	s_cmp_eq_u64 s[2:3], 0
	v_add_u32_e32 v0, s6, v0
	s_cbranch_scc1 .LBB3_8
; %bb.1:
	s_load_dword s6, s[4:5], 0x10
	s_mov_b32 s7, 0
	s_waitcnt lgkmcnt(0)
	s_cmp_lt_u32 s6, s12
	s_cselect_b32 s4, s6, 0
	v_cmp_eq_u32_e32 vcc, s4, v0
	s_and_saveexec_b64 s[4:5], vcc
	s_cbranch_execz .LBB3_7
; %bb.2:
	s_add_i32 s6, s6, 64
	s_lshl_b64 s[6:7], s[6:7], 4
	s_add_u32 s10, s0, s6
	s_addc_u32 s11, s1, s7
	v_mov_b32_e32 v1, s10
	v_mov_b32_e32 v2, s11
	;;#ASMSTART
	global_load_dwordx4 v[1:4], v[1:2] off glc	
s_waitcnt vmcnt(0)
	;;#ASMEND
	v_and_b32_e32 v4, 0xff, v3
	v_mov_b32_e32 v5, 0
	v_cmp_eq_u64_e32 vcc, 0, v[4:5]
	s_mov_b64 s[8:9], 0
	s_and_saveexec_b64 s[6:7], vcc
	s_cbranch_execz .LBB3_6
; %bb.3:
	v_mov_b32_e32 v6, s10
	v_mov_b32_e32 v7, s11
.LBB3_4:                                ; =>This Inner Loop Header: Depth=1
	;;#ASMSTART
	global_load_dwordx4 v[1:4], v[6:7] off glc	
s_waitcnt vmcnt(0)
	;;#ASMEND
	v_and_b32_e32 v4, 0xff, v3
	v_cmp_ne_u64_e32 vcc, 0, v[4:5]
	s_or_b64 s[8:9], vcc, s[8:9]
	s_andn2_b64 exec, exec, s[8:9]
	s_cbranch_execnz .LBB3_4
; %bb.5:
	s_or_b64 exec, exec, s[8:9]
.LBB3_6:
	s_or_b64 exec, exec, s[6:7]
	v_mov_b32_e32 v3, 0
	global_store_dwordx2 v3, v[1:2], s[2:3]
.LBB3_7:
	s_or_b64 exec, exec, s[4:5]
.LBB3_8:
	v_cmp_gt_u32_e32 vcc, s12, v0
	s_and_saveexec_b64 s[2:3], vcc
	s_cbranch_execnz .LBB3_11
; %bb.9:
	s_or_b64 exec, exec, s[2:3]
	v_cmp_gt_u32_e32 vcc, 64, v0
	s_and_saveexec_b64 s[2:3], vcc
	s_cbranch_execnz .LBB3_12
.LBB3_10:
	s_endpgm
.LBB3_11:
	v_add_u32_e32 v1, 64, v0
	v_mov_b32_e32 v2, 0
	v_lshlrev_b64 v[3:4], 4, v[1:2]
	v_mov_b32_e32 v1, s1
	v_add_co_u32_e32 v5, vcc, s0, v3
	v_addc_co_u32_e32 v6, vcc, v1, v4, vcc
	v_mov_b32_e32 v1, v2
	v_mov_b32_e32 v3, v2
	;; [unrolled: 1-line block ×3, first 2 shown]
	global_store_dwordx4 v[5:6], v[1:4], off
	s_or_b64 exec, exec, s[2:3]
	v_cmp_gt_u32_e32 vcc, 64, v0
	s_and_saveexec_b64 s[2:3], vcc
	s_cbranch_execz .LBB3_10
.LBB3_12:
	v_mov_b32_e32 v1, 0
	v_lshlrev_b64 v[2:3], 4, v[0:1]
	v_mov_b32_e32 v0, s1
	v_add_co_u32_e32 v4, vcc, s0, v2
	v_addc_co_u32_e32 v5, vcc, v0, v3, vcc
	v_mov_b32_e32 v2, 0xff
	v_mov_b32_e32 v0, v1
	;; [unrolled: 1-line block ×3, first 2 shown]
	global_store_dwordx4 v[4:5], v[0:3], off
	s_endpgm
	.section	.rodata,"a",@progbits
	.p2align	6, 0x0
	.amdhsa_kernel _ZN7rocprim17ROCPRIM_400000_NS6detail31init_lookback_scan_state_kernelINS1_19lookback_scan_stateI15HIP_vector_typeIjLj2EELb0ELb1EEENS1_16block_id_wrapperIjLb0EEEEEvT_jT0_jPNS9_10value_typeE
		.amdhsa_group_segment_fixed_size 0
		.amdhsa_private_segment_fixed_size 0
		.amdhsa_kernarg_size 288
		.amdhsa_user_sgpr_count 6
		.amdhsa_user_sgpr_private_segment_buffer 1
		.amdhsa_user_sgpr_dispatch_ptr 0
		.amdhsa_user_sgpr_queue_ptr 0
		.amdhsa_user_sgpr_kernarg_segment_ptr 1
		.amdhsa_user_sgpr_dispatch_id 0
		.amdhsa_user_sgpr_flat_scratch_init 0
		.amdhsa_user_sgpr_private_segment_size 0
		.amdhsa_uses_dynamic_stack 0
		.amdhsa_system_sgpr_private_segment_wavefront_offset 0
		.amdhsa_system_sgpr_workgroup_id_x 1
		.amdhsa_system_sgpr_workgroup_id_y 0
		.amdhsa_system_sgpr_workgroup_id_z 0
		.amdhsa_system_sgpr_workgroup_info 0
		.amdhsa_system_vgpr_workitem_id 0
		.amdhsa_next_free_vgpr 8
		.amdhsa_next_free_sgpr 13
		.amdhsa_reserve_vcc 1
		.amdhsa_reserve_flat_scratch 0
		.amdhsa_float_round_mode_32 0
		.amdhsa_float_round_mode_16_64 0
		.amdhsa_float_denorm_mode_32 3
		.amdhsa_float_denorm_mode_16_64 3
		.amdhsa_dx10_clamp 1
		.amdhsa_ieee_mode 1
		.amdhsa_fp16_overflow 0
		.amdhsa_exception_fp_ieee_invalid_op 0
		.amdhsa_exception_fp_denorm_src 0
		.amdhsa_exception_fp_ieee_div_zero 0
		.amdhsa_exception_fp_ieee_overflow 0
		.amdhsa_exception_fp_ieee_underflow 0
		.amdhsa_exception_fp_ieee_inexact 0
		.amdhsa_exception_int_div_zero 0
	.end_amdhsa_kernel
	.section	.text._ZN7rocprim17ROCPRIM_400000_NS6detail31init_lookback_scan_state_kernelINS1_19lookback_scan_stateI15HIP_vector_typeIjLj2EELb0ELb1EEENS1_16block_id_wrapperIjLb0EEEEEvT_jT0_jPNS9_10value_typeE,"axG",@progbits,_ZN7rocprim17ROCPRIM_400000_NS6detail31init_lookback_scan_state_kernelINS1_19lookback_scan_stateI15HIP_vector_typeIjLj2EELb0ELb1EEENS1_16block_id_wrapperIjLb0EEEEEvT_jT0_jPNS9_10value_typeE,comdat
.Lfunc_end3:
	.size	_ZN7rocprim17ROCPRIM_400000_NS6detail31init_lookback_scan_state_kernelINS1_19lookback_scan_stateI15HIP_vector_typeIjLj2EELb0ELb1EEENS1_16block_id_wrapperIjLb0EEEEEvT_jT0_jPNS9_10value_typeE, .Lfunc_end3-_ZN7rocprim17ROCPRIM_400000_NS6detail31init_lookback_scan_state_kernelINS1_19lookback_scan_stateI15HIP_vector_typeIjLj2EELb0ELb1EEENS1_16block_id_wrapperIjLb0EEEEEvT_jT0_jPNS9_10value_typeE
                                        ; -- End function
	.set _ZN7rocprim17ROCPRIM_400000_NS6detail31init_lookback_scan_state_kernelINS1_19lookback_scan_stateI15HIP_vector_typeIjLj2EELb0ELb1EEENS1_16block_id_wrapperIjLb0EEEEEvT_jT0_jPNS9_10value_typeE.num_vgpr, 8
	.set _ZN7rocprim17ROCPRIM_400000_NS6detail31init_lookback_scan_state_kernelINS1_19lookback_scan_stateI15HIP_vector_typeIjLj2EELb0ELb1EEENS1_16block_id_wrapperIjLb0EEEEEvT_jT0_jPNS9_10value_typeE.num_agpr, 0
	.set _ZN7rocprim17ROCPRIM_400000_NS6detail31init_lookback_scan_state_kernelINS1_19lookback_scan_stateI15HIP_vector_typeIjLj2EELb0ELb1EEENS1_16block_id_wrapperIjLb0EEEEEvT_jT0_jPNS9_10value_typeE.numbered_sgpr, 13
	.set _ZN7rocprim17ROCPRIM_400000_NS6detail31init_lookback_scan_state_kernelINS1_19lookback_scan_stateI15HIP_vector_typeIjLj2EELb0ELb1EEENS1_16block_id_wrapperIjLb0EEEEEvT_jT0_jPNS9_10value_typeE.num_named_barrier, 0
	.set _ZN7rocprim17ROCPRIM_400000_NS6detail31init_lookback_scan_state_kernelINS1_19lookback_scan_stateI15HIP_vector_typeIjLj2EELb0ELb1EEENS1_16block_id_wrapperIjLb0EEEEEvT_jT0_jPNS9_10value_typeE.private_seg_size, 0
	.set _ZN7rocprim17ROCPRIM_400000_NS6detail31init_lookback_scan_state_kernelINS1_19lookback_scan_stateI15HIP_vector_typeIjLj2EELb0ELb1EEENS1_16block_id_wrapperIjLb0EEEEEvT_jT0_jPNS9_10value_typeE.uses_vcc, 1
	.set _ZN7rocprim17ROCPRIM_400000_NS6detail31init_lookback_scan_state_kernelINS1_19lookback_scan_stateI15HIP_vector_typeIjLj2EELb0ELb1EEENS1_16block_id_wrapperIjLb0EEEEEvT_jT0_jPNS9_10value_typeE.uses_flat_scratch, 0
	.set _ZN7rocprim17ROCPRIM_400000_NS6detail31init_lookback_scan_state_kernelINS1_19lookback_scan_stateI15HIP_vector_typeIjLj2EELb0ELb1EEENS1_16block_id_wrapperIjLb0EEEEEvT_jT0_jPNS9_10value_typeE.has_dyn_sized_stack, 0
	.set _ZN7rocprim17ROCPRIM_400000_NS6detail31init_lookback_scan_state_kernelINS1_19lookback_scan_stateI15HIP_vector_typeIjLj2EELb0ELb1EEENS1_16block_id_wrapperIjLb0EEEEEvT_jT0_jPNS9_10value_typeE.has_recursion, 0
	.set _ZN7rocprim17ROCPRIM_400000_NS6detail31init_lookback_scan_state_kernelINS1_19lookback_scan_stateI15HIP_vector_typeIjLj2EELb0ELb1EEENS1_16block_id_wrapperIjLb0EEEEEvT_jT0_jPNS9_10value_typeE.has_indirect_call, 0
	.section	.AMDGPU.csdata,"",@progbits
; Kernel info:
; codeLenInByte = 384
; TotalNumSgprs: 17
; NumVgprs: 8
; ScratchSize: 0
; MemoryBound: 0
; FloatMode: 240
; IeeeMode: 1
; LDSByteSize: 0 bytes/workgroup (compile time only)
; SGPRBlocks: 2
; VGPRBlocks: 1
; NumSGPRsForWavesPerEU: 17
; NumVGPRsForWavesPerEU: 8
; Occupancy: 10
; WaveLimiterHint : 0
; COMPUTE_PGM_RSRC2:SCRATCH_EN: 0
; COMPUTE_PGM_RSRC2:USER_SGPR: 6
; COMPUTE_PGM_RSRC2:TRAP_HANDLER: 0
; COMPUTE_PGM_RSRC2:TGID_X_EN: 1
; COMPUTE_PGM_RSRC2:TGID_Y_EN: 0
; COMPUTE_PGM_RSRC2:TGID_Z_EN: 0
; COMPUTE_PGM_RSRC2:TIDIG_COMP_CNT: 0
	.section	.text._ZN7rocprim17ROCPRIM_400000_NS6detail17trampoline_kernelINS0_13select_configILj256ELj13ELNS0_17block_load_methodE3ELS4_3ELS4_3ELNS0_20block_scan_algorithmE0ELj4294967295EEENS1_25partition_config_selectorILNS1_17partition_subalgoE4EjNS0_10empty_typeEbEEZZNS1_14partition_implILS8_4ELb0ES6_15HIP_vector_typeIjLj2EENS0_17counting_iteratorIjlEEPS9_SG_NS0_5tupleIJPjSI_NS0_16reverse_iteratorISI_EEEEENSH_IJSG_SG_SG_EEES9_SI_JZNS1_25segmented_radix_sort_implINS0_14default_configELb1EPKhPhPKlPlN2at6native12_GLOBAL__N_18offset_tEEE10hipError_tPvRmT1_PNSt15iterator_traitsIS12_E10value_typeET2_T3_PNS13_IS18_E10value_typeET4_jRbjT5_S1E_jjP12ihipStream_tbEUljE_ZNSN_ISO_Lb1ESQ_SR_ST_SU_SY_EESZ_S10_S11_S12_S16_S17_S18_S1B_S1C_jS1D_jS1E_S1E_jjS1G_bEUljE0_EEESZ_S10_S11_S18_S1C_S1E_T6_T7_T9_mT8_S1G_bDpT10_ENKUlT_T0_E_clISt17integral_constantIbLb0EES1U_EEDaS1P_S1Q_EUlS1P_E_NS1_11comp_targetILNS1_3genE0ELNS1_11target_archE4294967295ELNS1_3gpuE0ELNS1_3repE0EEENS1_30default_config_static_selectorELNS0_4arch9wavefront6targetE1EEEvS12_,"axG",@progbits,_ZN7rocprim17ROCPRIM_400000_NS6detail17trampoline_kernelINS0_13select_configILj256ELj13ELNS0_17block_load_methodE3ELS4_3ELS4_3ELNS0_20block_scan_algorithmE0ELj4294967295EEENS1_25partition_config_selectorILNS1_17partition_subalgoE4EjNS0_10empty_typeEbEEZZNS1_14partition_implILS8_4ELb0ES6_15HIP_vector_typeIjLj2EENS0_17counting_iteratorIjlEEPS9_SG_NS0_5tupleIJPjSI_NS0_16reverse_iteratorISI_EEEEENSH_IJSG_SG_SG_EEES9_SI_JZNS1_25segmented_radix_sort_implINS0_14default_configELb1EPKhPhPKlPlN2at6native12_GLOBAL__N_18offset_tEEE10hipError_tPvRmT1_PNSt15iterator_traitsIS12_E10value_typeET2_T3_PNS13_IS18_E10value_typeET4_jRbjT5_S1E_jjP12ihipStream_tbEUljE_ZNSN_ISO_Lb1ESQ_SR_ST_SU_SY_EESZ_S10_S11_S12_S16_S17_S18_S1B_S1C_jS1D_jS1E_S1E_jjS1G_bEUljE0_EEESZ_S10_S11_S18_S1C_S1E_T6_T7_T9_mT8_S1G_bDpT10_ENKUlT_T0_E_clISt17integral_constantIbLb0EES1U_EEDaS1P_S1Q_EUlS1P_E_NS1_11comp_targetILNS1_3genE0ELNS1_11target_archE4294967295ELNS1_3gpuE0ELNS1_3repE0EEENS1_30default_config_static_selectorELNS0_4arch9wavefront6targetE1EEEvS12_,comdat
	.globl	_ZN7rocprim17ROCPRIM_400000_NS6detail17trampoline_kernelINS0_13select_configILj256ELj13ELNS0_17block_load_methodE3ELS4_3ELS4_3ELNS0_20block_scan_algorithmE0ELj4294967295EEENS1_25partition_config_selectorILNS1_17partition_subalgoE4EjNS0_10empty_typeEbEEZZNS1_14partition_implILS8_4ELb0ES6_15HIP_vector_typeIjLj2EENS0_17counting_iteratorIjlEEPS9_SG_NS0_5tupleIJPjSI_NS0_16reverse_iteratorISI_EEEEENSH_IJSG_SG_SG_EEES9_SI_JZNS1_25segmented_radix_sort_implINS0_14default_configELb1EPKhPhPKlPlN2at6native12_GLOBAL__N_18offset_tEEE10hipError_tPvRmT1_PNSt15iterator_traitsIS12_E10value_typeET2_T3_PNS13_IS18_E10value_typeET4_jRbjT5_S1E_jjP12ihipStream_tbEUljE_ZNSN_ISO_Lb1ESQ_SR_ST_SU_SY_EESZ_S10_S11_S12_S16_S17_S18_S1B_S1C_jS1D_jS1E_S1E_jjS1G_bEUljE0_EEESZ_S10_S11_S18_S1C_S1E_T6_T7_T9_mT8_S1G_bDpT10_ENKUlT_T0_E_clISt17integral_constantIbLb0EES1U_EEDaS1P_S1Q_EUlS1P_E_NS1_11comp_targetILNS1_3genE0ELNS1_11target_archE4294967295ELNS1_3gpuE0ELNS1_3repE0EEENS1_30default_config_static_selectorELNS0_4arch9wavefront6targetE1EEEvS12_ ; -- Begin function _ZN7rocprim17ROCPRIM_400000_NS6detail17trampoline_kernelINS0_13select_configILj256ELj13ELNS0_17block_load_methodE3ELS4_3ELS4_3ELNS0_20block_scan_algorithmE0ELj4294967295EEENS1_25partition_config_selectorILNS1_17partition_subalgoE4EjNS0_10empty_typeEbEEZZNS1_14partition_implILS8_4ELb0ES6_15HIP_vector_typeIjLj2EENS0_17counting_iteratorIjlEEPS9_SG_NS0_5tupleIJPjSI_NS0_16reverse_iteratorISI_EEEEENSH_IJSG_SG_SG_EEES9_SI_JZNS1_25segmented_radix_sort_implINS0_14default_configELb1EPKhPhPKlPlN2at6native12_GLOBAL__N_18offset_tEEE10hipError_tPvRmT1_PNSt15iterator_traitsIS12_E10value_typeET2_T3_PNS13_IS18_E10value_typeET4_jRbjT5_S1E_jjP12ihipStream_tbEUljE_ZNSN_ISO_Lb1ESQ_SR_ST_SU_SY_EESZ_S10_S11_S12_S16_S17_S18_S1B_S1C_jS1D_jS1E_S1E_jjS1G_bEUljE0_EEESZ_S10_S11_S18_S1C_S1E_T6_T7_T9_mT8_S1G_bDpT10_ENKUlT_T0_E_clISt17integral_constantIbLb0EES1U_EEDaS1P_S1Q_EUlS1P_E_NS1_11comp_targetILNS1_3genE0ELNS1_11target_archE4294967295ELNS1_3gpuE0ELNS1_3repE0EEENS1_30default_config_static_selectorELNS0_4arch9wavefront6targetE1EEEvS12_
	.p2align	8
	.type	_ZN7rocprim17ROCPRIM_400000_NS6detail17trampoline_kernelINS0_13select_configILj256ELj13ELNS0_17block_load_methodE3ELS4_3ELS4_3ELNS0_20block_scan_algorithmE0ELj4294967295EEENS1_25partition_config_selectorILNS1_17partition_subalgoE4EjNS0_10empty_typeEbEEZZNS1_14partition_implILS8_4ELb0ES6_15HIP_vector_typeIjLj2EENS0_17counting_iteratorIjlEEPS9_SG_NS0_5tupleIJPjSI_NS0_16reverse_iteratorISI_EEEEENSH_IJSG_SG_SG_EEES9_SI_JZNS1_25segmented_radix_sort_implINS0_14default_configELb1EPKhPhPKlPlN2at6native12_GLOBAL__N_18offset_tEEE10hipError_tPvRmT1_PNSt15iterator_traitsIS12_E10value_typeET2_T3_PNS13_IS18_E10value_typeET4_jRbjT5_S1E_jjP12ihipStream_tbEUljE_ZNSN_ISO_Lb1ESQ_SR_ST_SU_SY_EESZ_S10_S11_S12_S16_S17_S18_S1B_S1C_jS1D_jS1E_S1E_jjS1G_bEUljE0_EEESZ_S10_S11_S18_S1C_S1E_T6_T7_T9_mT8_S1G_bDpT10_ENKUlT_T0_E_clISt17integral_constantIbLb0EES1U_EEDaS1P_S1Q_EUlS1P_E_NS1_11comp_targetILNS1_3genE0ELNS1_11target_archE4294967295ELNS1_3gpuE0ELNS1_3repE0EEENS1_30default_config_static_selectorELNS0_4arch9wavefront6targetE1EEEvS12_,@function
_ZN7rocprim17ROCPRIM_400000_NS6detail17trampoline_kernelINS0_13select_configILj256ELj13ELNS0_17block_load_methodE3ELS4_3ELS4_3ELNS0_20block_scan_algorithmE0ELj4294967295EEENS1_25partition_config_selectorILNS1_17partition_subalgoE4EjNS0_10empty_typeEbEEZZNS1_14partition_implILS8_4ELb0ES6_15HIP_vector_typeIjLj2EENS0_17counting_iteratorIjlEEPS9_SG_NS0_5tupleIJPjSI_NS0_16reverse_iteratorISI_EEEEENSH_IJSG_SG_SG_EEES9_SI_JZNS1_25segmented_radix_sort_implINS0_14default_configELb1EPKhPhPKlPlN2at6native12_GLOBAL__N_18offset_tEEE10hipError_tPvRmT1_PNSt15iterator_traitsIS12_E10value_typeET2_T3_PNS13_IS18_E10value_typeET4_jRbjT5_S1E_jjP12ihipStream_tbEUljE_ZNSN_ISO_Lb1ESQ_SR_ST_SU_SY_EESZ_S10_S11_S12_S16_S17_S18_S1B_S1C_jS1D_jS1E_S1E_jjS1G_bEUljE0_EEESZ_S10_S11_S18_S1C_S1E_T6_T7_T9_mT8_S1G_bDpT10_ENKUlT_T0_E_clISt17integral_constantIbLb0EES1U_EEDaS1P_S1Q_EUlS1P_E_NS1_11comp_targetILNS1_3genE0ELNS1_11target_archE4294967295ELNS1_3gpuE0ELNS1_3repE0EEENS1_30default_config_static_selectorELNS0_4arch9wavefront6targetE1EEEvS12_: ; @_ZN7rocprim17ROCPRIM_400000_NS6detail17trampoline_kernelINS0_13select_configILj256ELj13ELNS0_17block_load_methodE3ELS4_3ELS4_3ELNS0_20block_scan_algorithmE0ELj4294967295EEENS1_25partition_config_selectorILNS1_17partition_subalgoE4EjNS0_10empty_typeEbEEZZNS1_14partition_implILS8_4ELb0ES6_15HIP_vector_typeIjLj2EENS0_17counting_iteratorIjlEEPS9_SG_NS0_5tupleIJPjSI_NS0_16reverse_iteratorISI_EEEEENSH_IJSG_SG_SG_EEES9_SI_JZNS1_25segmented_radix_sort_implINS0_14default_configELb1EPKhPhPKlPlN2at6native12_GLOBAL__N_18offset_tEEE10hipError_tPvRmT1_PNSt15iterator_traitsIS12_E10value_typeET2_T3_PNS13_IS18_E10value_typeET4_jRbjT5_S1E_jjP12ihipStream_tbEUljE_ZNSN_ISO_Lb1ESQ_SR_ST_SU_SY_EESZ_S10_S11_S12_S16_S17_S18_S1B_S1C_jS1D_jS1E_S1E_jjS1G_bEUljE0_EEESZ_S10_S11_S18_S1C_S1E_T6_T7_T9_mT8_S1G_bDpT10_ENKUlT_T0_E_clISt17integral_constantIbLb0EES1U_EEDaS1P_S1Q_EUlS1P_E_NS1_11comp_targetILNS1_3genE0ELNS1_11target_archE4294967295ELNS1_3gpuE0ELNS1_3repE0EEENS1_30default_config_static_selectorELNS0_4arch9wavefront6targetE1EEEvS12_
; %bb.0:
	.section	.rodata,"a",@progbits
	.p2align	6, 0x0
	.amdhsa_kernel _ZN7rocprim17ROCPRIM_400000_NS6detail17trampoline_kernelINS0_13select_configILj256ELj13ELNS0_17block_load_methodE3ELS4_3ELS4_3ELNS0_20block_scan_algorithmE0ELj4294967295EEENS1_25partition_config_selectorILNS1_17partition_subalgoE4EjNS0_10empty_typeEbEEZZNS1_14partition_implILS8_4ELb0ES6_15HIP_vector_typeIjLj2EENS0_17counting_iteratorIjlEEPS9_SG_NS0_5tupleIJPjSI_NS0_16reverse_iteratorISI_EEEEENSH_IJSG_SG_SG_EEES9_SI_JZNS1_25segmented_radix_sort_implINS0_14default_configELb1EPKhPhPKlPlN2at6native12_GLOBAL__N_18offset_tEEE10hipError_tPvRmT1_PNSt15iterator_traitsIS12_E10value_typeET2_T3_PNS13_IS18_E10value_typeET4_jRbjT5_S1E_jjP12ihipStream_tbEUljE_ZNSN_ISO_Lb1ESQ_SR_ST_SU_SY_EESZ_S10_S11_S12_S16_S17_S18_S1B_S1C_jS1D_jS1E_S1E_jjS1G_bEUljE0_EEESZ_S10_S11_S18_S1C_S1E_T6_T7_T9_mT8_S1G_bDpT10_ENKUlT_T0_E_clISt17integral_constantIbLb0EES1U_EEDaS1P_S1Q_EUlS1P_E_NS1_11comp_targetILNS1_3genE0ELNS1_11target_archE4294967295ELNS1_3gpuE0ELNS1_3repE0EEENS1_30default_config_static_selectorELNS0_4arch9wavefront6targetE1EEEvS12_
		.amdhsa_group_segment_fixed_size 0
		.amdhsa_private_segment_fixed_size 0
		.amdhsa_kernarg_size 176
		.amdhsa_user_sgpr_count 6
		.amdhsa_user_sgpr_private_segment_buffer 1
		.amdhsa_user_sgpr_dispatch_ptr 0
		.amdhsa_user_sgpr_queue_ptr 0
		.amdhsa_user_sgpr_kernarg_segment_ptr 1
		.amdhsa_user_sgpr_dispatch_id 0
		.amdhsa_user_sgpr_flat_scratch_init 0
		.amdhsa_user_sgpr_private_segment_size 0
		.amdhsa_uses_dynamic_stack 0
		.amdhsa_system_sgpr_private_segment_wavefront_offset 0
		.amdhsa_system_sgpr_workgroup_id_x 1
		.amdhsa_system_sgpr_workgroup_id_y 0
		.amdhsa_system_sgpr_workgroup_id_z 0
		.amdhsa_system_sgpr_workgroup_info 0
		.amdhsa_system_vgpr_workitem_id 0
		.amdhsa_next_free_vgpr 1
		.amdhsa_next_free_sgpr 0
		.amdhsa_reserve_vcc 0
		.amdhsa_reserve_flat_scratch 0
		.amdhsa_float_round_mode_32 0
		.amdhsa_float_round_mode_16_64 0
		.amdhsa_float_denorm_mode_32 3
		.amdhsa_float_denorm_mode_16_64 3
		.amdhsa_dx10_clamp 1
		.amdhsa_ieee_mode 1
		.amdhsa_fp16_overflow 0
		.amdhsa_exception_fp_ieee_invalid_op 0
		.amdhsa_exception_fp_denorm_src 0
		.amdhsa_exception_fp_ieee_div_zero 0
		.amdhsa_exception_fp_ieee_overflow 0
		.amdhsa_exception_fp_ieee_underflow 0
		.amdhsa_exception_fp_ieee_inexact 0
		.amdhsa_exception_int_div_zero 0
	.end_amdhsa_kernel
	.section	.text._ZN7rocprim17ROCPRIM_400000_NS6detail17trampoline_kernelINS0_13select_configILj256ELj13ELNS0_17block_load_methodE3ELS4_3ELS4_3ELNS0_20block_scan_algorithmE0ELj4294967295EEENS1_25partition_config_selectorILNS1_17partition_subalgoE4EjNS0_10empty_typeEbEEZZNS1_14partition_implILS8_4ELb0ES6_15HIP_vector_typeIjLj2EENS0_17counting_iteratorIjlEEPS9_SG_NS0_5tupleIJPjSI_NS0_16reverse_iteratorISI_EEEEENSH_IJSG_SG_SG_EEES9_SI_JZNS1_25segmented_radix_sort_implINS0_14default_configELb1EPKhPhPKlPlN2at6native12_GLOBAL__N_18offset_tEEE10hipError_tPvRmT1_PNSt15iterator_traitsIS12_E10value_typeET2_T3_PNS13_IS18_E10value_typeET4_jRbjT5_S1E_jjP12ihipStream_tbEUljE_ZNSN_ISO_Lb1ESQ_SR_ST_SU_SY_EESZ_S10_S11_S12_S16_S17_S18_S1B_S1C_jS1D_jS1E_S1E_jjS1G_bEUljE0_EEESZ_S10_S11_S18_S1C_S1E_T6_T7_T9_mT8_S1G_bDpT10_ENKUlT_T0_E_clISt17integral_constantIbLb0EES1U_EEDaS1P_S1Q_EUlS1P_E_NS1_11comp_targetILNS1_3genE0ELNS1_11target_archE4294967295ELNS1_3gpuE0ELNS1_3repE0EEENS1_30default_config_static_selectorELNS0_4arch9wavefront6targetE1EEEvS12_,"axG",@progbits,_ZN7rocprim17ROCPRIM_400000_NS6detail17trampoline_kernelINS0_13select_configILj256ELj13ELNS0_17block_load_methodE3ELS4_3ELS4_3ELNS0_20block_scan_algorithmE0ELj4294967295EEENS1_25partition_config_selectorILNS1_17partition_subalgoE4EjNS0_10empty_typeEbEEZZNS1_14partition_implILS8_4ELb0ES6_15HIP_vector_typeIjLj2EENS0_17counting_iteratorIjlEEPS9_SG_NS0_5tupleIJPjSI_NS0_16reverse_iteratorISI_EEEEENSH_IJSG_SG_SG_EEES9_SI_JZNS1_25segmented_radix_sort_implINS0_14default_configELb1EPKhPhPKlPlN2at6native12_GLOBAL__N_18offset_tEEE10hipError_tPvRmT1_PNSt15iterator_traitsIS12_E10value_typeET2_T3_PNS13_IS18_E10value_typeET4_jRbjT5_S1E_jjP12ihipStream_tbEUljE_ZNSN_ISO_Lb1ESQ_SR_ST_SU_SY_EESZ_S10_S11_S12_S16_S17_S18_S1B_S1C_jS1D_jS1E_S1E_jjS1G_bEUljE0_EEESZ_S10_S11_S18_S1C_S1E_T6_T7_T9_mT8_S1G_bDpT10_ENKUlT_T0_E_clISt17integral_constantIbLb0EES1U_EEDaS1P_S1Q_EUlS1P_E_NS1_11comp_targetILNS1_3genE0ELNS1_11target_archE4294967295ELNS1_3gpuE0ELNS1_3repE0EEENS1_30default_config_static_selectorELNS0_4arch9wavefront6targetE1EEEvS12_,comdat
.Lfunc_end4:
	.size	_ZN7rocprim17ROCPRIM_400000_NS6detail17trampoline_kernelINS0_13select_configILj256ELj13ELNS0_17block_load_methodE3ELS4_3ELS4_3ELNS0_20block_scan_algorithmE0ELj4294967295EEENS1_25partition_config_selectorILNS1_17partition_subalgoE4EjNS0_10empty_typeEbEEZZNS1_14partition_implILS8_4ELb0ES6_15HIP_vector_typeIjLj2EENS0_17counting_iteratorIjlEEPS9_SG_NS0_5tupleIJPjSI_NS0_16reverse_iteratorISI_EEEEENSH_IJSG_SG_SG_EEES9_SI_JZNS1_25segmented_radix_sort_implINS0_14default_configELb1EPKhPhPKlPlN2at6native12_GLOBAL__N_18offset_tEEE10hipError_tPvRmT1_PNSt15iterator_traitsIS12_E10value_typeET2_T3_PNS13_IS18_E10value_typeET4_jRbjT5_S1E_jjP12ihipStream_tbEUljE_ZNSN_ISO_Lb1ESQ_SR_ST_SU_SY_EESZ_S10_S11_S12_S16_S17_S18_S1B_S1C_jS1D_jS1E_S1E_jjS1G_bEUljE0_EEESZ_S10_S11_S18_S1C_S1E_T6_T7_T9_mT8_S1G_bDpT10_ENKUlT_T0_E_clISt17integral_constantIbLb0EES1U_EEDaS1P_S1Q_EUlS1P_E_NS1_11comp_targetILNS1_3genE0ELNS1_11target_archE4294967295ELNS1_3gpuE0ELNS1_3repE0EEENS1_30default_config_static_selectorELNS0_4arch9wavefront6targetE1EEEvS12_, .Lfunc_end4-_ZN7rocprim17ROCPRIM_400000_NS6detail17trampoline_kernelINS0_13select_configILj256ELj13ELNS0_17block_load_methodE3ELS4_3ELS4_3ELNS0_20block_scan_algorithmE0ELj4294967295EEENS1_25partition_config_selectorILNS1_17partition_subalgoE4EjNS0_10empty_typeEbEEZZNS1_14partition_implILS8_4ELb0ES6_15HIP_vector_typeIjLj2EENS0_17counting_iteratorIjlEEPS9_SG_NS0_5tupleIJPjSI_NS0_16reverse_iteratorISI_EEEEENSH_IJSG_SG_SG_EEES9_SI_JZNS1_25segmented_radix_sort_implINS0_14default_configELb1EPKhPhPKlPlN2at6native12_GLOBAL__N_18offset_tEEE10hipError_tPvRmT1_PNSt15iterator_traitsIS12_E10value_typeET2_T3_PNS13_IS18_E10value_typeET4_jRbjT5_S1E_jjP12ihipStream_tbEUljE_ZNSN_ISO_Lb1ESQ_SR_ST_SU_SY_EESZ_S10_S11_S12_S16_S17_S18_S1B_S1C_jS1D_jS1E_S1E_jjS1G_bEUljE0_EEESZ_S10_S11_S18_S1C_S1E_T6_T7_T9_mT8_S1G_bDpT10_ENKUlT_T0_E_clISt17integral_constantIbLb0EES1U_EEDaS1P_S1Q_EUlS1P_E_NS1_11comp_targetILNS1_3genE0ELNS1_11target_archE4294967295ELNS1_3gpuE0ELNS1_3repE0EEENS1_30default_config_static_selectorELNS0_4arch9wavefront6targetE1EEEvS12_
                                        ; -- End function
	.set _ZN7rocprim17ROCPRIM_400000_NS6detail17trampoline_kernelINS0_13select_configILj256ELj13ELNS0_17block_load_methodE3ELS4_3ELS4_3ELNS0_20block_scan_algorithmE0ELj4294967295EEENS1_25partition_config_selectorILNS1_17partition_subalgoE4EjNS0_10empty_typeEbEEZZNS1_14partition_implILS8_4ELb0ES6_15HIP_vector_typeIjLj2EENS0_17counting_iteratorIjlEEPS9_SG_NS0_5tupleIJPjSI_NS0_16reverse_iteratorISI_EEEEENSH_IJSG_SG_SG_EEES9_SI_JZNS1_25segmented_radix_sort_implINS0_14default_configELb1EPKhPhPKlPlN2at6native12_GLOBAL__N_18offset_tEEE10hipError_tPvRmT1_PNSt15iterator_traitsIS12_E10value_typeET2_T3_PNS13_IS18_E10value_typeET4_jRbjT5_S1E_jjP12ihipStream_tbEUljE_ZNSN_ISO_Lb1ESQ_SR_ST_SU_SY_EESZ_S10_S11_S12_S16_S17_S18_S1B_S1C_jS1D_jS1E_S1E_jjS1G_bEUljE0_EEESZ_S10_S11_S18_S1C_S1E_T6_T7_T9_mT8_S1G_bDpT10_ENKUlT_T0_E_clISt17integral_constantIbLb0EES1U_EEDaS1P_S1Q_EUlS1P_E_NS1_11comp_targetILNS1_3genE0ELNS1_11target_archE4294967295ELNS1_3gpuE0ELNS1_3repE0EEENS1_30default_config_static_selectorELNS0_4arch9wavefront6targetE1EEEvS12_.num_vgpr, 0
	.set _ZN7rocprim17ROCPRIM_400000_NS6detail17trampoline_kernelINS0_13select_configILj256ELj13ELNS0_17block_load_methodE3ELS4_3ELS4_3ELNS0_20block_scan_algorithmE0ELj4294967295EEENS1_25partition_config_selectorILNS1_17partition_subalgoE4EjNS0_10empty_typeEbEEZZNS1_14partition_implILS8_4ELb0ES6_15HIP_vector_typeIjLj2EENS0_17counting_iteratorIjlEEPS9_SG_NS0_5tupleIJPjSI_NS0_16reverse_iteratorISI_EEEEENSH_IJSG_SG_SG_EEES9_SI_JZNS1_25segmented_radix_sort_implINS0_14default_configELb1EPKhPhPKlPlN2at6native12_GLOBAL__N_18offset_tEEE10hipError_tPvRmT1_PNSt15iterator_traitsIS12_E10value_typeET2_T3_PNS13_IS18_E10value_typeET4_jRbjT5_S1E_jjP12ihipStream_tbEUljE_ZNSN_ISO_Lb1ESQ_SR_ST_SU_SY_EESZ_S10_S11_S12_S16_S17_S18_S1B_S1C_jS1D_jS1E_S1E_jjS1G_bEUljE0_EEESZ_S10_S11_S18_S1C_S1E_T6_T7_T9_mT8_S1G_bDpT10_ENKUlT_T0_E_clISt17integral_constantIbLb0EES1U_EEDaS1P_S1Q_EUlS1P_E_NS1_11comp_targetILNS1_3genE0ELNS1_11target_archE4294967295ELNS1_3gpuE0ELNS1_3repE0EEENS1_30default_config_static_selectorELNS0_4arch9wavefront6targetE1EEEvS12_.num_agpr, 0
	.set _ZN7rocprim17ROCPRIM_400000_NS6detail17trampoline_kernelINS0_13select_configILj256ELj13ELNS0_17block_load_methodE3ELS4_3ELS4_3ELNS0_20block_scan_algorithmE0ELj4294967295EEENS1_25partition_config_selectorILNS1_17partition_subalgoE4EjNS0_10empty_typeEbEEZZNS1_14partition_implILS8_4ELb0ES6_15HIP_vector_typeIjLj2EENS0_17counting_iteratorIjlEEPS9_SG_NS0_5tupleIJPjSI_NS0_16reverse_iteratorISI_EEEEENSH_IJSG_SG_SG_EEES9_SI_JZNS1_25segmented_radix_sort_implINS0_14default_configELb1EPKhPhPKlPlN2at6native12_GLOBAL__N_18offset_tEEE10hipError_tPvRmT1_PNSt15iterator_traitsIS12_E10value_typeET2_T3_PNS13_IS18_E10value_typeET4_jRbjT5_S1E_jjP12ihipStream_tbEUljE_ZNSN_ISO_Lb1ESQ_SR_ST_SU_SY_EESZ_S10_S11_S12_S16_S17_S18_S1B_S1C_jS1D_jS1E_S1E_jjS1G_bEUljE0_EEESZ_S10_S11_S18_S1C_S1E_T6_T7_T9_mT8_S1G_bDpT10_ENKUlT_T0_E_clISt17integral_constantIbLb0EES1U_EEDaS1P_S1Q_EUlS1P_E_NS1_11comp_targetILNS1_3genE0ELNS1_11target_archE4294967295ELNS1_3gpuE0ELNS1_3repE0EEENS1_30default_config_static_selectorELNS0_4arch9wavefront6targetE1EEEvS12_.numbered_sgpr, 0
	.set _ZN7rocprim17ROCPRIM_400000_NS6detail17trampoline_kernelINS0_13select_configILj256ELj13ELNS0_17block_load_methodE3ELS4_3ELS4_3ELNS0_20block_scan_algorithmE0ELj4294967295EEENS1_25partition_config_selectorILNS1_17partition_subalgoE4EjNS0_10empty_typeEbEEZZNS1_14partition_implILS8_4ELb0ES6_15HIP_vector_typeIjLj2EENS0_17counting_iteratorIjlEEPS9_SG_NS0_5tupleIJPjSI_NS0_16reverse_iteratorISI_EEEEENSH_IJSG_SG_SG_EEES9_SI_JZNS1_25segmented_radix_sort_implINS0_14default_configELb1EPKhPhPKlPlN2at6native12_GLOBAL__N_18offset_tEEE10hipError_tPvRmT1_PNSt15iterator_traitsIS12_E10value_typeET2_T3_PNS13_IS18_E10value_typeET4_jRbjT5_S1E_jjP12ihipStream_tbEUljE_ZNSN_ISO_Lb1ESQ_SR_ST_SU_SY_EESZ_S10_S11_S12_S16_S17_S18_S1B_S1C_jS1D_jS1E_S1E_jjS1G_bEUljE0_EEESZ_S10_S11_S18_S1C_S1E_T6_T7_T9_mT8_S1G_bDpT10_ENKUlT_T0_E_clISt17integral_constantIbLb0EES1U_EEDaS1P_S1Q_EUlS1P_E_NS1_11comp_targetILNS1_3genE0ELNS1_11target_archE4294967295ELNS1_3gpuE0ELNS1_3repE0EEENS1_30default_config_static_selectorELNS0_4arch9wavefront6targetE1EEEvS12_.num_named_barrier, 0
	.set _ZN7rocprim17ROCPRIM_400000_NS6detail17trampoline_kernelINS0_13select_configILj256ELj13ELNS0_17block_load_methodE3ELS4_3ELS4_3ELNS0_20block_scan_algorithmE0ELj4294967295EEENS1_25partition_config_selectorILNS1_17partition_subalgoE4EjNS0_10empty_typeEbEEZZNS1_14partition_implILS8_4ELb0ES6_15HIP_vector_typeIjLj2EENS0_17counting_iteratorIjlEEPS9_SG_NS0_5tupleIJPjSI_NS0_16reverse_iteratorISI_EEEEENSH_IJSG_SG_SG_EEES9_SI_JZNS1_25segmented_radix_sort_implINS0_14default_configELb1EPKhPhPKlPlN2at6native12_GLOBAL__N_18offset_tEEE10hipError_tPvRmT1_PNSt15iterator_traitsIS12_E10value_typeET2_T3_PNS13_IS18_E10value_typeET4_jRbjT5_S1E_jjP12ihipStream_tbEUljE_ZNSN_ISO_Lb1ESQ_SR_ST_SU_SY_EESZ_S10_S11_S12_S16_S17_S18_S1B_S1C_jS1D_jS1E_S1E_jjS1G_bEUljE0_EEESZ_S10_S11_S18_S1C_S1E_T6_T7_T9_mT8_S1G_bDpT10_ENKUlT_T0_E_clISt17integral_constantIbLb0EES1U_EEDaS1P_S1Q_EUlS1P_E_NS1_11comp_targetILNS1_3genE0ELNS1_11target_archE4294967295ELNS1_3gpuE0ELNS1_3repE0EEENS1_30default_config_static_selectorELNS0_4arch9wavefront6targetE1EEEvS12_.private_seg_size, 0
	.set _ZN7rocprim17ROCPRIM_400000_NS6detail17trampoline_kernelINS0_13select_configILj256ELj13ELNS0_17block_load_methodE3ELS4_3ELS4_3ELNS0_20block_scan_algorithmE0ELj4294967295EEENS1_25partition_config_selectorILNS1_17partition_subalgoE4EjNS0_10empty_typeEbEEZZNS1_14partition_implILS8_4ELb0ES6_15HIP_vector_typeIjLj2EENS0_17counting_iteratorIjlEEPS9_SG_NS0_5tupleIJPjSI_NS0_16reverse_iteratorISI_EEEEENSH_IJSG_SG_SG_EEES9_SI_JZNS1_25segmented_radix_sort_implINS0_14default_configELb1EPKhPhPKlPlN2at6native12_GLOBAL__N_18offset_tEEE10hipError_tPvRmT1_PNSt15iterator_traitsIS12_E10value_typeET2_T3_PNS13_IS18_E10value_typeET4_jRbjT5_S1E_jjP12ihipStream_tbEUljE_ZNSN_ISO_Lb1ESQ_SR_ST_SU_SY_EESZ_S10_S11_S12_S16_S17_S18_S1B_S1C_jS1D_jS1E_S1E_jjS1G_bEUljE0_EEESZ_S10_S11_S18_S1C_S1E_T6_T7_T9_mT8_S1G_bDpT10_ENKUlT_T0_E_clISt17integral_constantIbLb0EES1U_EEDaS1P_S1Q_EUlS1P_E_NS1_11comp_targetILNS1_3genE0ELNS1_11target_archE4294967295ELNS1_3gpuE0ELNS1_3repE0EEENS1_30default_config_static_selectorELNS0_4arch9wavefront6targetE1EEEvS12_.uses_vcc, 0
	.set _ZN7rocprim17ROCPRIM_400000_NS6detail17trampoline_kernelINS0_13select_configILj256ELj13ELNS0_17block_load_methodE3ELS4_3ELS4_3ELNS0_20block_scan_algorithmE0ELj4294967295EEENS1_25partition_config_selectorILNS1_17partition_subalgoE4EjNS0_10empty_typeEbEEZZNS1_14partition_implILS8_4ELb0ES6_15HIP_vector_typeIjLj2EENS0_17counting_iteratorIjlEEPS9_SG_NS0_5tupleIJPjSI_NS0_16reverse_iteratorISI_EEEEENSH_IJSG_SG_SG_EEES9_SI_JZNS1_25segmented_radix_sort_implINS0_14default_configELb1EPKhPhPKlPlN2at6native12_GLOBAL__N_18offset_tEEE10hipError_tPvRmT1_PNSt15iterator_traitsIS12_E10value_typeET2_T3_PNS13_IS18_E10value_typeET4_jRbjT5_S1E_jjP12ihipStream_tbEUljE_ZNSN_ISO_Lb1ESQ_SR_ST_SU_SY_EESZ_S10_S11_S12_S16_S17_S18_S1B_S1C_jS1D_jS1E_S1E_jjS1G_bEUljE0_EEESZ_S10_S11_S18_S1C_S1E_T6_T7_T9_mT8_S1G_bDpT10_ENKUlT_T0_E_clISt17integral_constantIbLb0EES1U_EEDaS1P_S1Q_EUlS1P_E_NS1_11comp_targetILNS1_3genE0ELNS1_11target_archE4294967295ELNS1_3gpuE0ELNS1_3repE0EEENS1_30default_config_static_selectorELNS0_4arch9wavefront6targetE1EEEvS12_.uses_flat_scratch, 0
	.set _ZN7rocprim17ROCPRIM_400000_NS6detail17trampoline_kernelINS0_13select_configILj256ELj13ELNS0_17block_load_methodE3ELS4_3ELS4_3ELNS0_20block_scan_algorithmE0ELj4294967295EEENS1_25partition_config_selectorILNS1_17partition_subalgoE4EjNS0_10empty_typeEbEEZZNS1_14partition_implILS8_4ELb0ES6_15HIP_vector_typeIjLj2EENS0_17counting_iteratorIjlEEPS9_SG_NS0_5tupleIJPjSI_NS0_16reverse_iteratorISI_EEEEENSH_IJSG_SG_SG_EEES9_SI_JZNS1_25segmented_radix_sort_implINS0_14default_configELb1EPKhPhPKlPlN2at6native12_GLOBAL__N_18offset_tEEE10hipError_tPvRmT1_PNSt15iterator_traitsIS12_E10value_typeET2_T3_PNS13_IS18_E10value_typeET4_jRbjT5_S1E_jjP12ihipStream_tbEUljE_ZNSN_ISO_Lb1ESQ_SR_ST_SU_SY_EESZ_S10_S11_S12_S16_S17_S18_S1B_S1C_jS1D_jS1E_S1E_jjS1G_bEUljE0_EEESZ_S10_S11_S18_S1C_S1E_T6_T7_T9_mT8_S1G_bDpT10_ENKUlT_T0_E_clISt17integral_constantIbLb0EES1U_EEDaS1P_S1Q_EUlS1P_E_NS1_11comp_targetILNS1_3genE0ELNS1_11target_archE4294967295ELNS1_3gpuE0ELNS1_3repE0EEENS1_30default_config_static_selectorELNS0_4arch9wavefront6targetE1EEEvS12_.has_dyn_sized_stack, 0
	.set _ZN7rocprim17ROCPRIM_400000_NS6detail17trampoline_kernelINS0_13select_configILj256ELj13ELNS0_17block_load_methodE3ELS4_3ELS4_3ELNS0_20block_scan_algorithmE0ELj4294967295EEENS1_25partition_config_selectorILNS1_17partition_subalgoE4EjNS0_10empty_typeEbEEZZNS1_14partition_implILS8_4ELb0ES6_15HIP_vector_typeIjLj2EENS0_17counting_iteratorIjlEEPS9_SG_NS0_5tupleIJPjSI_NS0_16reverse_iteratorISI_EEEEENSH_IJSG_SG_SG_EEES9_SI_JZNS1_25segmented_radix_sort_implINS0_14default_configELb1EPKhPhPKlPlN2at6native12_GLOBAL__N_18offset_tEEE10hipError_tPvRmT1_PNSt15iterator_traitsIS12_E10value_typeET2_T3_PNS13_IS18_E10value_typeET4_jRbjT5_S1E_jjP12ihipStream_tbEUljE_ZNSN_ISO_Lb1ESQ_SR_ST_SU_SY_EESZ_S10_S11_S12_S16_S17_S18_S1B_S1C_jS1D_jS1E_S1E_jjS1G_bEUljE0_EEESZ_S10_S11_S18_S1C_S1E_T6_T7_T9_mT8_S1G_bDpT10_ENKUlT_T0_E_clISt17integral_constantIbLb0EES1U_EEDaS1P_S1Q_EUlS1P_E_NS1_11comp_targetILNS1_3genE0ELNS1_11target_archE4294967295ELNS1_3gpuE0ELNS1_3repE0EEENS1_30default_config_static_selectorELNS0_4arch9wavefront6targetE1EEEvS12_.has_recursion, 0
	.set _ZN7rocprim17ROCPRIM_400000_NS6detail17trampoline_kernelINS0_13select_configILj256ELj13ELNS0_17block_load_methodE3ELS4_3ELS4_3ELNS0_20block_scan_algorithmE0ELj4294967295EEENS1_25partition_config_selectorILNS1_17partition_subalgoE4EjNS0_10empty_typeEbEEZZNS1_14partition_implILS8_4ELb0ES6_15HIP_vector_typeIjLj2EENS0_17counting_iteratorIjlEEPS9_SG_NS0_5tupleIJPjSI_NS0_16reverse_iteratorISI_EEEEENSH_IJSG_SG_SG_EEES9_SI_JZNS1_25segmented_radix_sort_implINS0_14default_configELb1EPKhPhPKlPlN2at6native12_GLOBAL__N_18offset_tEEE10hipError_tPvRmT1_PNSt15iterator_traitsIS12_E10value_typeET2_T3_PNS13_IS18_E10value_typeET4_jRbjT5_S1E_jjP12ihipStream_tbEUljE_ZNSN_ISO_Lb1ESQ_SR_ST_SU_SY_EESZ_S10_S11_S12_S16_S17_S18_S1B_S1C_jS1D_jS1E_S1E_jjS1G_bEUljE0_EEESZ_S10_S11_S18_S1C_S1E_T6_T7_T9_mT8_S1G_bDpT10_ENKUlT_T0_E_clISt17integral_constantIbLb0EES1U_EEDaS1P_S1Q_EUlS1P_E_NS1_11comp_targetILNS1_3genE0ELNS1_11target_archE4294967295ELNS1_3gpuE0ELNS1_3repE0EEENS1_30default_config_static_selectorELNS0_4arch9wavefront6targetE1EEEvS12_.has_indirect_call, 0
	.section	.AMDGPU.csdata,"",@progbits
; Kernel info:
; codeLenInByte = 0
; TotalNumSgprs: 4
; NumVgprs: 0
; ScratchSize: 0
; MemoryBound: 0
; FloatMode: 240
; IeeeMode: 1
; LDSByteSize: 0 bytes/workgroup (compile time only)
; SGPRBlocks: 0
; VGPRBlocks: 0
; NumSGPRsForWavesPerEU: 4
; NumVGPRsForWavesPerEU: 1
; Occupancy: 10
; WaveLimiterHint : 0
; COMPUTE_PGM_RSRC2:SCRATCH_EN: 0
; COMPUTE_PGM_RSRC2:USER_SGPR: 6
; COMPUTE_PGM_RSRC2:TRAP_HANDLER: 0
; COMPUTE_PGM_RSRC2:TGID_X_EN: 1
; COMPUTE_PGM_RSRC2:TGID_Y_EN: 0
; COMPUTE_PGM_RSRC2:TGID_Z_EN: 0
; COMPUTE_PGM_RSRC2:TIDIG_COMP_CNT: 0
	.section	.text._ZN7rocprim17ROCPRIM_400000_NS6detail17trampoline_kernelINS0_13select_configILj256ELj13ELNS0_17block_load_methodE3ELS4_3ELS4_3ELNS0_20block_scan_algorithmE0ELj4294967295EEENS1_25partition_config_selectorILNS1_17partition_subalgoE4EjNS0_10empty_typeEbEEZZNS1_14partition_implILS8_4ELb0ES6_15HIP_vector_typeIjLj2EENS0_17counting_iteratorIjlEEPS9_SG_NS0_5tupleIJPjSI_NS0_16reverse_iteratorISI_EEEEENSH_IJSG_SG_SG_EEES9_SI_JZNS1_25segmented_radix_sort_implINS0_14default_configELb1EPKhPhPKlPlN2at6native12_GLOBAL__N_18offset_tEEE10hipError_tPvRmT1_PNSt15iterator_traitsIS12_E10value_typeET2_T3_PNS13_IS18_E10value_typeET4_jRbjT5_S1E_jjP12ihipStream_tbEUljE_ZNSN_ISO_Lb1ESQ_SR_ST_SU_SY_EESZ_S10_S11_S12_S16_S17_S18_S1B_S1C_jS1D_jS1E_S1E_jjS1G_bEUljE0_EEESZ_S10_S11_S18_S1C_S1E_T6_T7_T9_mT8_S1G_bDpT10_ENKUlT_T0_E_clISt17integral_constantIbLb0EES1U_EEDaS1P_S1Q_EUlS1P_E_NS1_11comp_targetILNS1_3genE5ELNS1_11target_archE942ELNS1_3gpuE9ELNS1_3repE0EEENS1_30default_config_static_selectorELNS0_4arch9wavefront6targetE1EEEvS12_,"axG",@progbits,_ZN7rocprim17ROCPRIM_400000_NS6detail17trampoline_kernelINS0_13select_configILj256ELj13ELNS0_17block_load_methodE3ELS4_3ELS4_3ELNS0_20block_scan_algorithmE0ELj4294967295EEENS1_25partition_config_selectorILNS1_17partition_subalgoE4EjNS0_10empty_typeEbEEZZNS1_14partition_implILS8_4ELb0ES6_15HIP_vector_typeIjLj2EENS0_17counting_iteratorIjlEEPS9_SG_NS0_5tupleIJPjSI_NS0_16reverse_iteratorISI_EEEEENSH_IJSG_SG_SG_EEES9_SI_JZNS1_25segmented_radix_sort_implINS0_14default_configELb1EPKhPhPKlPlN2at6native12_GLOBAL__N_18offset_tEEE10hipError_tPvRmT1_PNSt15iterator_traitsIS12_E10value_typeET2_T3_PNS13_IS18_E10value_typeET4_jRbjT5_S1E_jjP12ihipStream_tbEUljE_ZNSN_ISO_Lb1ESQ_SR_ST_SU_SY_EESZ_S10_S11_S12_S16_S17_S18_S1B_S1C_jS1D_jS1E_S1E_jjS1G_bEUljE0_EEESZ_S10_S11_S18_S1C_S1E_T6_T7_T9_mT8_S1G_bDpT10_ENKUlT_T0_E_clISt17integral_constantIbLb0EES1U_EEDaS1P_S1Q_EUlS1P_E_NS1_11comp_targetILNS1_3genE5ELNS1_11target_archE942ELNS1_3gpuE9ELNS1_3repE0EEENS1_30default_config_static_selectorELNS0_4arch9wavefront6targetE1EEEvS12_,comdat
	.globl	_ZN7rocprim17ROCPRIM_400000_NS6detail17trampoline_kernelINS0_13select_configILj256ELj13ELNS0_17block_load_methodE3ELS4_3ELS4_3ELNS0_20block_scan_algorithmE0ELj4294967295EEENS1_25partition_config_selectorILNS1_17partition_subalgoE4EjNS0_10empty_typeEbEEZZNS1_14partition_implILS8_4ELb0ES6_15HIP_vector_typeIjLj2EENS0_17counting_iteratorIjlEEPS9_SG_NS0_5tupleIJPjSI_NS0_16reverse_iteratorISI_EEEEENSH_IJSG_SG_SG_EEES9_SI_JZNS1_25segmented_radix_sort_implINS0_14default_configELb1EPKhPhPKlPlN2at6native12_GLOBAL__N_18offset_tEEE10hipError_tPvRmT1_PNSt15iterator_traitsIS12_E10value_typeET2_T3_PNS13_IS18_E10value_typeET4_jRbjT5_S1E_jjP12ihipStream_tbEUljE_ZNSN_ISO_Lb1ESQ_SR_ST_SU_SY_EESZ_S10_S11_S12_S16_S17_S18_S1B_S1C_jS1D_jS1E_S1E_jjS1G_bEUljE0_EEESZ_S10_S11_S18_S1C_S1E_T6_T7_T9_mT8_S1G_bDpT10_ENKUlT_T0_E_clISt17integral_constantIbLb0EES1U_EEDaS1P_S1Q_EUlS1P_E_NS1_11comp_targetILNS1_3genE5ELNS1_11target_archE942ELNS1_3gpuE9ELNS1_3repE0EEENS1_30default_config_static_selectorELNS0_4arch9wavefront6targetE1EEEvS12_ ; -- Begin function _ZN7rocprim17ROCPRIM_400000_NS6detail17trampoline_kernelINS0_13select_configILj256ELj13ELNS0_17block_load_methodE3ELS4_3ELS4_3ELNS0_20block_scan_algorithmE0ELj4294967295EEENS1_25partition_config_selectorILNS1_17partition_subalgoE4EjNS0_10empty_typeEbEEZZNS1_14partition_implILS8_4ELb0ES6_15HIP_vector_typeIjLj2EENS0_17counting_iteratorIjlEEPS9_SG_NS0_5tupleIJPjSI_NS0_16reverse_iteratorISI_EEEEENSH_IJSG_SG_SG_EEES9_SI_JZNS1_25segmented_radix_sort_implINS0_14default_configELb1EPKhPhPKlPlN2at6native12_GLOBAL__N_18offset_tEEE10hipError_tPvRmT1_PNSt15iterator_traitsIS12_E10value_typeET2_T3_PNS13_IS18_E10value_typeET4_jRbjT5_S1E_jjP12ihipStream_tbEUljE_ZNSN_ISO_Lb1ESQ_SR_ST_SU_SY_EESZ_S10_S11_S12_S16_S17_S18_S1B_S1C_jS1D_jS1E_S1E_jjS1G_bEUljE0_EEESZ_S10_S11_S18_S1C_S1E_T6_T7_T9_mT8_S1G_bDpT10_ENKUlT_T0_E_clISt17integral_constantIbLb0EES1U_EEDaS1P_S1Q_EUlS1P_E_NS1_11comp_targetILNS1_3genE5ELNS1_11target_archE942ELNS1_3gpuE9ELNS1_3repE0EEENS1_30default_config_static_selectorELNS0_4arch9wavefront6targetE1EEEvS12_
	.p2align	8
	.type	_ZN7rocprim17ROCPRIM_400000_NS6detail17trampoline_kernelINS0_13select_configILj256ELj13ELNS0_17block_load_methodE3ELS4_3ELS4_3ELNS0_20block_scan_algorithmE0ELj4294967295EEENS1_25partition_config_selectorILNS1_17partition_subalgoE4EjNS0_10empty_typeEbEEZZNS1_14partition_implILS8_4ELb0ES6_15HIP_vector_typeIjLj2EENS0_17counting_iteratorIjlEEPS9_SG_NS0_5tupleIJPjSI_NS0_16reverse_iteratorISI_EEEEENSH_IJSG_SG_SG_EEES9_SI_JZNS1_25segmented_radix_sort_implINS0_14default_configELb1EPKhPhPKlPlN2at6native12_GLOBAL__N_18offset_tEEE10hipError_tPvRmT1_PNSt15iterator_traitsIS12_E10value_typeET2_T3_PNS13_IS18_E10value_typeET4_jRbjT5_S1E_jjP12ihipStream_tbEUljE_ZNSN_ISO_Lb1ESQ_SR_ST_SU_SY_EESZ_S10_S11_S12_S16_S17_S18_S1B_S1C_jS1D_jS1E_S1E_jjS1G_bEUljE0_EEESZ_S10_S11_S18_S1C_S1E_T6_T7_T9_mT8_S1G_bDpT10_ENKUlT_T0_E_clISt17integral_constantIbLb0EES1U_EEDaS1P_S1Q_EUlS1P_E_NS1_11comp_targetILNS1_3genE5ELNS1_11target_archE942ELNS1_3gpuE9ELNS1_3repE0EEENS1_30default_config_static_selectorELNS0_4arch9wavefront6targetE1EEEvS12_,@function
_ZN7rocprim17ROCPRIM_400000_NS6detail17trampoline_kernelINS0_13select_configILj256ELj13ELNS0_17block_load_methodE3ELS4_3ELS4_3ELNS0_20block_scan_algorithmE0ELj4294967295EEENS1_25partition_config_selectorILNS1_17partition_subalgoE4EjNS0_10empty_typeEbEEZZNS1_14partition_implILS8_4ELb0ES6_15HIP_vector_typeIjLj2EENS0_17counting_iteratorIjlEEPS9_SG_NS0_5tupleIJPjSI_NS0_16reverse_iteratorISI_EEEEENSH_IJSG_SG_SG_EEES9_SI_JZNS1_25segmented_radix_sort_implINS0_14default_configELb1EPKhPhPKlPlN2at6native12_GLOBAL__N_18offset_tEEE10hipError_tPvRmT1_PNSt15iterator_traitsIS12_E10value_typeET2_T3_PNS13_IS18_E10value_typeET4_jRbjT5_S1E_jjP12ihipStream_tbEUljE_ZNSN_ISO_Lb1ESQ_SR_ST_SU_SY_EESZ_S10_S11_S12_S16_S17_S18_S1B_S1C_jS1D_jS1E_S1E_jjS1G_bEUljE0_EEESZ_S10_S11_S18_S1C_S1E_T6_T7_T9_mT8_S1G_bDpT10_ENKUlT_T0_E_clISt17integral_constantIbLb0EES1U_EEDaS1P_S1Q_EUlS1P_E_NS1_11comp_targetILNS1_3genE5ELNS1_11target_archE942ELNS1_3gpuE9ELNS1_3repE0EEENS1_30default_config_static_selectorELNS0_4arch9wavefront6targetE1EEEvS12_: ; @_ZN7rocprim17ROCPRIM_400000_NS6detail17trampoline_kernelINS0_13select_configILj256ELj13ELNS0_17block_load_methodE3ELS4_3ELS4_3ELNS0_20block_scan_algorithmE0ELj4294967295EEENS1_25partition_config_selectorILNS1_17partition_subalgoE4EjNS0_10empty_typeEbEEZZNS1_14partition_implILS8_4ELb0ES6_15HIP_vector_typeIjLj2EENS0_17counting_iteratorIjlEEPS9_SG_NS0_5tupleIJPjSI_NS0_16reverse_iteratorISI_EEEEENSH_IJSG_SG_SG_EEES9_SI_JZNS1_25segmented_radix_sort_implINS0_14default_configELb1EPKhPhPKlPlN2at6native12_GLOBAL__N_18offset_tEEE10hipError_tPvRmT1_PNSt15iterator_traitsIS12_E10value_typeET2_T3_PNS13_IS18_E10value_typeET4_jRbjT5_S1E_jjP12ihipStream_tbEUljE_ZNSN_ISO_Lb1ESQ_SR_ST_SU_SY_EESZ_S10_S11_S12_S16_S17_S18_S1B_S1C_jS1D_jS1E_S1E_jjS1G_bEUljE0_EEESZ_S10_S11_S18_S1C_S1E_T6_T7_T9_mT8_S1G_bDpT10_ENKUlT_T0_E_clISt17integral_constantIbLb0EES1U_EEDaS1P_S1Q_EUlS1P_E_NS1_11comp_targetILNS1_3genE5ELNS1_11target_archE942ELNS1_3gpuE9ELNS1_3repE0EEENS1_30default_config_static_selectorELNS0_4arch9wavefront6targetE1EEEvS12_
; %bb.0:
	.section	.rodata,"a",@progbits
	.p2align	6, 0x0
	.amdhsa_kernel _ZN7rocprim17ROCPRIM_400000_NS6detail17trampoline_kernelINS0_13select_configILj256ELj13ELNS0_17block_load_methodE3ELS4_3ELS4_3ELNS0_20block_scan_algorithmE0ELj4294967295EEENS1_25partition_config_selectorILNS1_17partition_subalgoE4EjNS0_10empty_typeEbEEZZNS1_14partition_implILS8_4ELb0ES6_15HIP_vector_typeIjLj2EENS0_17counting_iteratorIjlEEPS9_SG_NS0_5tupleIJPjSI_NS0_16reverse_iteratorISI_EEEEENSH_IJSG_SG_SG_EEES9_SI_JZNS1_25segmented_radix_sort_implINS0_14default_configELb1EPKhPhPKlPlN2at6native12_GLOBAL__N_18offset_tEEE10hipError_tPvRmT1_PNSt15iterator_traitsIS12_E10value_typeET2_T3_PNS13_IS18_E10value_typeET4_jRbjT5_S1E_jjP12ihipStream_tbEUljE_ZNSN_ISO_Lb1ESQ_SR_ST_SU_SY_EESZ_S10_S11_S12_S16_S17_S18_S1B_S1C_jS1D_jS1E_S1E_jjS1G_bEUljE0_EEESZ_S10_S11_S18_S1C_S1E_T6_T7_T9_mT8_S1G_bDpT10_ENKUlT_T0_E_clISt17integral_constantIbLb0EES1U_EEDaS1P_S1Q_EUlS1P_E_NS1_11comp_targetILNS1_3genE5ELNS1_11target_archE942ELNS1_3gpuE9ELNS1_3repE0EEENS1_30default_config_static_selectorELNS0_4arch9wavefront6targetE1EEEvS12_
		.amdhsa_group_segment_fixed_size 0
		.amdhsa_private_segment_fixed_size 0
		.amdhsa_kernarg_size 176
		.amdhsa_user_sgpr_count 6
		.amdhsa_user_sgpr_private_segment_buffer 1
		.amdhsa_user_sgpr_dispatch_ptr 0
		.amdhsa_user_sgpr_queue_ptr 0
		.amdhsa_user_sgpr_kernarg_segment_ptr 1
		.amdhsa_user_sgpr_dispatch_id 0
		.amdhsa_user_sgpr_flat_scratch_init 0
		.amdhsa_user_sgpr_private_segment_size 0
		.amdhsa_uses_dynamic_stack 0
		.amdhsa_system_sgpr_private_segment_wavefront_offset 0
		.amdhsa_system_sgpr_workgroup_id_x 1
		.amdhsa_system_sgpr_workgroup_id_y 0
		.amdhsa_system_sgpr_workgroup_id_z 0
		.amdhsa_system_sgpr_workgroup_info 0
		.amdhsa_system_vgpr_workitem_id 0
		.amdhsa_next_free_vgpr 1
		.amdhsa_next_free_sgpr 0
		.amdhsa_reserve_vcc 0
		.amdhsa_reserve_flat_scratch 0
		.amdhsa_float_round_mode_32 0
		.amdhsa_float_round_mode_16_64 0
		.amdhsa_float_denorm_mode_32 3
		.amdhsa_float_denorm_mode_16_64 3
		.amdhsa_dx10_clamp 1
		.amdhsa_ieee_mode 1
		.amdhsa_fp16_overflow 0
		.amdhsa_exception_fp_ieee_invalid_op 0
		.amdhsa_exception_fp_denorm_src 0
		.amdhsa_exception_fp_ieee_div_zero 0
		.amdhsa_exception_fp_ieee_overflow 0
		.amdhsa_exception_fp_ieee_underflow 0
		.amdhsa_exception_fp_ieee_inexact 0
		.amdhsa_exception_int_div_zero 0
	.end_amdhsa_kernel
	.section	.text._ZN7rocprim17ROCPRIM_400000_NS6detail17trampoline_kernelINS0_13select_configILj256ELj13ELNS0_17block_load_methodE3ELS4_3ELS4_3ELNS0_20block_scan_algorithmE0ELj4294967295EEENS1_25partition_config_selectorILNS1_17partition_subalgoE4EjNS0_10empty_typeEbEEZZNS1_14partition_implILS8_4ELb0ES6_15HIP_vector_typeIjLj2EENS0_17counting_iteratorIjlEEPS9_SG_NS0_5tupleIJPjSI_NS0_16reverse_iteratorISI_EEEEENSH_IJSG_SG_SG_EEES9_SI_JZNS1_25segmented_radix_sort_implINS0_14default_configELb1EPKhPhPKlPlN2at6native12_GLOBAL__N_18offset_tEEE10hipError_tPvRmT1_PNSt15iterator_traitsIS12_E10value_typeET2_T3_PNS13_IS18_E10value_typeET4_jRbjT5_S1E_jjP12ihipStream_tbEUljE_ZNSN_ISO_Lb1ESQ_SR_ST_SU_SY_EESZ_S10_S11_S12_S16_S17_S18_S1B_S1C_jS1D_jS1E_S1E_jjS1G_bEUljE0_EEESZ_S10_S11_S18_S1C_S1E_T6_T7_T9_mT8_S1G_bDpT10_ENKUlT_T0_E_clISt17integral_constantIbLb0EES1U_EEDaS1P_S1Q_EUlS1P_E_NS1_11comp_targetILNS1_3genE5ELNS1_11target_archE942ELNS1_3gpuE9ELNS1_3repE0EEENS1_30default_config_static_selectorELNS0_4arch9wavefront6targetE1EEEvS12_,"axG",@progbits,_ZN7rocprim17ROCPRIM_400000_NS6detail17trampoline_kernelINS0_13select_configILj256ELj13ELNS0_17block_load_methodE3ELS4_3ELS4_3ELNS0_20block_scan_algorithmE0ELj4294967295EEENS1_25partition_config_selectorILNS1_17partition_subalgoE4EjNS0_10empty_typeEbEEZZNS1_14partition_implILS8_4ELb0ES6_15HIP_vector_typeIjLj2EENS0_17counting_iteratorIjlEEPS9_SG_NS0_5tupleIJPjSI_NS0_16reverse_iteratorISI_EEEEENSH_IJSG_SG_SG_EEES9_SI_JZNS1_25segmented_radix_sort_implINS0_14default_configELb1EPKhPhPKlPlN2at6native12_GLOBAL__N_18offset_tEEE10hipError_tPvRmT1_PNSt15iterator_traitsIS12_E10value_typeET2_T3_PNS13_IS18_E10value_typeET4_jRbjT5_S1E_jjP12ihipStream_tbEUljE_ZNSN_ISO_Lb1ESQ_SR_ST_SU_SY_EESZ_S10_S11_S12_S16_S17_S18_S1B_S1C_jS1D_jS1E_S1E_jjS1G_bEUljE0_EEESZ_S10_S11_S18_S1C_S1E_T6_T7_T9_mT8_S1G_bDpT10_ENKUlT_T0_E_clISt17integral_constantIbLb0EES1U_EEDaS1P_S1Q_EUlS1P_E_NS1_11comp_targetILNS1_3genE5ELNS1_11target_archE942ELNS1_3gpuE9ELNS1_3repE0EEENS1_30default_config_static_selectorELNS0_4arch9wavefront6targetE1EEEvS12_,comdat
.Lfunc_end5:
	.size	_ZN7rocprim17ROCPRIM_400000_NS6detail17trampoline_kernelINS0_13select_configILj256ELj13ELNS0_17block_load_methodE3ELS4_3ELS4_3ELNS0_20block_scan_algorithmE0ELj4294967295EEENS1_25partition_config_selectorILNS1_17partition_subalgoE4EjNS0_10empty_typeEbEEZZNS1_14partition_implILS8_4ELb0ES6_15HIP_vector_typeIjLj2EENS0_17counting_iteratorIjlEEPS9_SG_NS0_5tupleIJPjSI_NS0_16reverse_iteratorISI_EEEEENSH_IJSG_SG_SG_EEES9_SI_JZNS1_25segmented_radix_sort_implINS0_14default_configELb1EPKhPhPKlPlN2at6native12_GLOBAL__N_18offset_tEEE10hipError_tPvRmT1_PNSt15iterator_traitsIS12_E10value_typeET2_T3_PNS13_IS18_E10value_typeET4_jRbjT5_S1E_jjP12ihipStream_tbEUljE_ZNSN_ISO_Lb1ESQ_SR_ST_SU_SY_EESZ_S10_S11_S12_S16_S17_S18_S1B_S1C_jS1D_jS1E_S1E_jjS1G_bEUljE0_EEESZ_S10_S11_S18_S1C_S1E_T6_T7_T9_mT8_S1G_bDpT10_ENKUlT_T0_E_clISt17integral_constantIbLb0EES1U_EEDaS1P_S1Q_EUlS1P_E_NS1_11comp_targetILNS1_3genE5ELNS1_11target_archE942ELNS1_3gpuE9ELNS1_3repE0EEENS1_30default_config_static_selectorELNS0_4arch9wavefront6targetE1EEEvS12_, .Lfunc_end5-_ZN7rocprim17ROCPRIM_400000_NS6detail17trampoline_kernelINS0_13select_configILj256ELj13ELNS0_17block_load_methodE3ELS4_3ELS4_3ELNS0_20block_scan_algorithmE0ELj4294967295EEENS1_25partition_config_selectorILNS1_17partition_subalgoE4EjNS0_10empty_typeEbEEZZNS1_14partition_implILS8_4ELb0ES6_15HIP_vector_typeIjLj2EENS0_17counting_iteratorIjlEEPS9_SG_NS0_5tupleIJPjSI_NS0_16reverse_iteratorISI_EEEEENSH_IJSG_SG_SG_EEES9_SI_JZNS1_25segmented_radix_sort_implINS0_14default_configELb1EPKhPhPKlPlN2at6native12_GLOBAL__N_18offset_tEEE10hipError_tPvRmT1_PNSt15iterator_traitsIS12_E10value_typeET2_T3_PNS13_IS18_E10value_typeET4_jRbjT5_S1E_jjP12ihipStream_tbEUljE_ZNSN_ISO_Lb1ESQ_SR_ST_SU_SY_EESZ_S10_S11_S12_S16_S17_S18_S1B_S1C_jS1D_jS1E_S1E_jjS1G_bEUljE0_EEESZ_S10_S11_S18_S1C_S1E_T6_T7_T9_mT8_S1G_bDpT10_ENKUlT_T0_E_clISt17integral_constantIbLb0EES1U_EEDaS1P_S1Q_EUlS1P_E_NS1_11comp_targetILNS1_3genE5ELNS1_11target_archE942ELNS1_3gpuE9ELNS1_3repE0EEENS1_30default_config_static_selectorELNS0_4arch9wavefront6targetE1EEEvS12_
                                        ; -- End function
	.set _ZN7rocprim17ROCPRIM_400000_NS6detail17trampoline_kernelINS0_13select_configILj256ELj13ELNS0_17block_load_methodE3ELS4_3ELS4_3ELNS0_20block_scan_algorithmE0ELj4294967295EEENS1_25partition_config_selectorILNS1_17partition_subalgoE4EjNS0_10empty_typeEbEEZZNS1_14partition_implILS8_4ELb0ES6_15HIP_vector_typeIjLj2EENS0_17counting_iteratorIjlEEPS9_SG_NS0_5tupleIJPjSI_NS0_16reverse_iteratorISI_EEEEENSH_IJSG_SG_SG_EEES9_SI_JZNS1_25segmented_radix_sort_implINS0_14default_configELb1EPKhPhPKlPlN2at6native12_GLOBAL__N_18offset_tEEE10hipError_tPvRmT1_PNSt15iterator_traitsIS12_E10value_typeET2_T3_PNS13_IS18_E10value_typeET4_jRbjT5_S1E_jjP12ihipStream_tbEUljE_ZNSN_ISO_Lb1ESQ_SR_ST_SU_SY_EESZ_S10_S11_S12_S16_S17_S18_S1B_S1C_jS1D_jS1E_S1E_jjS1G_bEUljE0_EEESZ_S10_S11_S18_S1C_S1E_T6_T7_T9_mT8_S1G_bDpT10_ENKUlT_T0_E_clISt17integral_constantIbLb0EES1U_EEDaS1P_S1Q_EUlS1P_E_NS1_11comp_targetILNS1_3genE5ELNS1_11target_archE942ELNS1_3gpuE9ELNS1_3repE0EEENS1_30default_config_static_selectorELNS0_4arch9wavefront6targetE1EEEvS12_.num_vgpr, 0
	.set _ZN7rocprim17ROCPRIM_400000_NS6detail17trampoline_kernelINS0_13select_configILj256ELj13ELNS0_17block_load_methodE3ELS4_3ELS4_3ELNS0_20block_scan_algorithmE0ELj4294967295EEENS1_25partition_config_selectorILNS1_17partition_subalgoE4EjNS0_10empty_typeEbEEZZNS1_14partition_implILS8_4ELb0ES6_15HIP_vector_typeIjLj2EENS0_17counting_iteratorIjlEEPS9_SG_NS0_5tupleIJPjSI_NS0_16reverse_iteratorISI_EEEEENSH_IJSG_SG_SG_EEES9_SI_JZNS1_25segmented_radix_sort_implINS0_14default_configELb1EPKhPhPKlPlN2at6native12_GLOBAL__N_18offset_tEEE10hipError_tPvRmT1_PNSt15iterator_traitsIS12_E10value_typeET2_T3_PNS13_IS18_E10value_typeET4_jRbjT5_S1E_jjP12ihipStream_tbEUljE_ZNSN_ISO_Lb1ESQ_SR_ST_SU_SY_EESZ_S10_S11_S12_S16_S17_S18_S1B_S1C_jS1D_jS1E_S1E_jjS1G_bEUljE0_EEESZ_S10_S11_S18_S1C_S1E_T6_T7_T9_mT8_S1G_bDpT10_ENKUlT_T0_E_clISt17integral_constantIbLb0EES1U_EEDaS1P_S1Q_EUlS1P_E_NS1_11comp_targetILNS1_3genE5ELNS1_11target_archE942ELNS1_3gpuE9ELNS1_3repE0EEENS1_30default_config_static_selectorELNS0_4arch9wavefront6targetE1EEEvS12_.num_agpr, 0
	.set _ZN7rocprim17ROCPRIM_400000_NS6detail17trampoline_kernelINS0_13select_configILj256ELj13ELNS0_17block_load_methodE3ELS4_3ELS4_3ELNS0_20block_scan_algorithmE0ELj4294967295EEENS1_25partition_config_selectorILNS1_17partition_subalgoE4EjNS0_10empty_typeEbEEZZNS1_14partition_implILS8_4ELb0ES6_15HIP_vector_typeIjLj2EENS0_17counting_iteratorIjlEEPS9_SG_NS0_5tupleIJPjSI_NS0_16reverse_iteratorISI_EEEEENSH_IJSG_SG_SG_EEES9_SI_JZNS1_25segmented_radix_sort_implINS0_14default_configELb1EPKhPhPKlPlN2at6native12_GLOBAL__N_18offset_tEEE10hipError_tPvRmT1_PNSt15iterator_traitsIS12_E10value_typeET2_T3_PNS13_IS18_E10value_typeET4_jRbjT5_S1E_jjP12ihipStream_tbEUljE_ZNSN_ISO_Lb1ESQ_SR_ST_SU_SY_EESZ_S10_S11_S12_S16_S17_S18_S1B_S1C_jS1D_jS1E_S1E_jjS1G_bEUljE0_EEESZ_S10_S11_S18_S1C_S1E_T6_T7_T9_mT8_S1G_bDpT10_ENKUlT_T0_E_clISt17integral_constantIbLb0EES1U_EEDaS1P_S1Q_EUlS1P_E_NS1_11comp_targetILNS1_3genE5ELNS1_11target_archE942ELNS1_3gpuE9ELNS1_3repE0EEENS1_30default_config_static_selectorELNS0_4arch9wavefront6targetE1EEEvS12_.numbered_sgpr, 0
	.set _ZN7rocprim17ROCPRIM_400000_NS6detail17trampoline_kernelINS0_13select_configILj256ELj13ELNS0_17block_load_methodE3ELS4_3ELS4_3ELNS0_20block_scan_algorithmE0ELj4294967295EEENS1_25partition_config_selectorILNS1_17partition_subalgoE4EjNS0_10empty_typeEbEEZZNS1_14partition_implILS8_4ELb0ES6_15HIP_vector_typeIjLj2EENS0_17counting_iteratorIjlEEPS9_SG_NS0_5tupleIJPjSI_NS0_16reverse_iteratorISI_EEEEENSH_IJSG_SG_SG_EEES9_SI_JZNS1_25segmented_radix_sort_implINS0_14default_configELb1EPKhPhPKlPlN2at6native12_GLOBAL__N_18offset_tEEE10hipError_tPvRmT1_PNSt15iterator_traitsIS12_E10value_typeET2_T3_PNS13_IS18_E10value_typeET4_jRbjT5_S1E_jjP12ihipStream_tbEUljE_ZNSN_ISO_Lb1ESQ_SR_ST_SU_SY_EESZ_S10_S11_S12_S16_S17_S18_S1B_S1C_jS1D_jS1E_S1E_jjS1G_bEUljE0_EEESZ_S10_S11_S18_S1C_S1E_T6_T7_T9_mT8_S1G_bDpT10_ENKUlT_T0_E_clISt17integral_constantIbLb0EES1U_EEDaS1P_S1Q_EUlS1P_E_NS1_11comp_targetILNS1_3genE5ELNS1_11target_archE942ELNS1_3gpuE9ELNS1_3repE0EEENS1_30default_config_static_selectorELNS0_4arch9wavefront6targetE1EEEvS12_.num_named_barrier, 0
	.set _ZN7rocprim17ROCPRIM_400000_NS6detail17trampoline_kernelINS0_13select_configILj256ELj13ELNS0_17block_load_methodE3ELS4_3ELS4_3ELNS0_20block_scan_algorithmE0ELj4294967295EEENS1_25partition_config_selectorILNS1_17partition_subalgoE4EjNS0_10empty_typeEbEEZZNS1_14partition_implILS8_4ELb0ES6_15HIP_vector_typeIjLj2EENS0_17counting_iteratorIjlEEPS9_SG_NS0_5tupleIJPjSI_NS0_16reverse_iteratorISI_EEEEENSH_IJSG_SG_SG_EEES9_SI_JZNS1_25segmented_radix_sort_implINS0_14default_configELb1EPKhPhPKlPlN2at6native12_GLOBAL__N_18offset_tEEE10hipError_tPvRmT1_PNSt15iterator_traitsIS12_E10value_typeET2_T3_PNS13_IS18_E10value_typeET4_jRbjT5_S1E_jjP12ihipStream_tbEUljE_ZNSN_ISO_Lb1ESQ_SR_ST_SU_SY_EESZ_S10_S11_S12_S16_S17_S18_S1B_S1C_jS1D_jS1E_S1E_jjS1G_bEUljE0_EEESZ_S10_S11_S18_S1C_S1E_T6_T7_T9_mT8_S1G_bDpT10_ENKUlT_T0_E_clISt17integral_constantIbLb0EES1U_EEDaS1P_S1Q_EUlS1P_E_NS1_11comp_targetILNS1_3genE5ELNS1_11target_archE942ELNS1_3gpuE9ELNS1_3repE0EEENS1_30default_config_static_selectorELNS0_4arch9wavefront6targetE1EEEvS12_.private_seg_size, 0
	.set _ZN7rocprim17ROCPRIM_400000_NS6detail17trampoline_kernelINS0_13select_configILj256ELj13ELNS0_17block_load_methodE3ELS4_3ELS4_3ELNS0_20block_scan_algorithmE0ELj4294967295EEENS1_25partition_config_selectorILNS1_17partition_subalgoE4EjNS0_10empty_typeEbEEZZNS1_14partition_implILS8_4ELb0ES6_15HIP_vector_typeIjLj2EENS0_17counting_iteratorIjlEEPS9_SG_NS0_5tupleIJPjSI_NS0_16reverse_iteratorISI_EEEEENSH_IJSG_SG_SG_EEES9_SI_JZNS1_25segmented_radix_sort_implINS0_14default_configELb1EPKhPhPKlPlN2at6native12_GLOBAL__N_18offset_tEEE10hipError_tPvRmT1_PNSt15iterator_traitsIS12_E10value_typeET2_T3_PNS13_IS18_E10value_typeET4_jRbjT5_S1E_jjP12ihipStream_tbEUljE_ZNSN_ISO_Lb1ESQ_SR_ST_SU_SY_EESZ_S10_S11_S12_S16_S17_S18_S1B_S1C_jS1D_jS1E_S1E_jjS1G_bEUljE0_EEESZ_S10_S11_S18_S1C_S1E_T6_T7_T9_mT8_S1G_bDpT10_ENKUlT_T0_E_clISt17integral_constantIbLb0EES1U_EEDaS1P_S1Q_EUlS1P_E_NS1_11comp_targetILNS1_3genE5ELNS1_11target_archE942ELNS1_3gpuE9ELNS1_3repE0EEENS1_30default_config_static_selectorELNS0_4arch9wavefront6targetE1EEEvS12_.uses_vcc, 0
	.set _ZN7rocprim17ROCPRIM_400000_NS6detail17trampoline_kernelINS0_13select_configILj256ELj13ELNS0_17block_load_methodE3ELS4_3ELS4_3ELNS0_20block_scan_algorithmE0ELj4294967295EEENS1_25partition_config_selectorILNS1_17partition_subalgoE4EjNS0_10empty_typeEbEEZZNS1_14partition_implILS8_4ELb0ES6_15HIP_vector_typeIjLj2EENS0_17counting_iteratorIjlEEPS9_SG_NS0_5tupleIJPjSI_NS0_16reverse_iteratorISI_EEEEENSH_IJSG_SG_SG_EEES9_SI_JZNS1_25segmented_radix_sort_implINS0_14default_configELb1EPKhPhPKlPlN2at6native12_GLOBAL__N_18offset_tEEE10hipError_tPvRmT1_PNSt15iterator_traitsIS12_E10value_typeET2_T3_PNS13_IS18_E10value_typeET4_jRbjT5_S1E_jjP12ihipStream_tbEUljE_ZNSN_ISO_Lb1ESQ_SR_ST_SU_SY_EESZ_S10_S11_S12_S16_S17_S18_S1B_S1C_jS1D_jS1E_S1E_jjS1G_bEUljE0_EEESZ_S10_S11_S18_S1C_S1E_T6_T7_T9_mT8_S1G_bDpT10_ENKUlT_T0_E_clISt17integral_constantIbLb0EES1U_EEDaS1P_S1Q_EUlS1P_E_NS1_11comp_targetILNS1_3genE5ELNS1_11target_archE942ELNS1_3gpuE9ELNS1_3repE0EEENS1_30default_config_static_selectorELNS0_4arch9wavefront6targetE1EEEvS12_.uses_flat_scratch, 0
	.set _ZN7rocprim17ROCPRIM_400000_NS6detail17trampoline_kernelINS0_13select_configILj256ELj13ELNS0_17block_load_methodE3ELS4_3ELS4_3ELNS0_20block_scan_algorithmE0ELj4294967295EEENS1_25partition_config_selectorILNS1_17partition_subalgoE4EjNS0_10empty_typeEbEEZZNS1_14partition_implILS8_4ELb0ES6_15HIP_vector_typeIjLj2EENS0_17counting_iteratorIjlEEPS9_SG_NS0_5tupleIJPjSI_NS0_16reverse_iteratorISI_EEEEENSH_IJSG_SG_SG_EEES9_SI_JZNS1_25segmented_radix_sort_implINS0_14default_configELb1EPKhPhPKlPlN2at6native12_GLOBAL__N_18offset_tEEE10hipError_tPvRmT1_PNSt15iterator_traitsIS12_E10value_typeET2_T3_PNS13_IS18_E10value_typeET4_jRbjT5_S1E_jjP12ihipStream_tbEUljE_ZNSN_ISO_Lb1ESQ_SR_ST_SU_SY_EESZ_S10_S11_S12_S16_S17_S18_S1B_S1C_jS1D_jS1E_S1E_jjS1G_bEUljE0_EEESZ_S10_S11_S18_S1C_S1E_T6_T7_T9_mT8_S1G_bDpT10_ENKUlT_T0_E_clISt17integral_constantIbLb0EES1U_EEDaS1P_S1Q_EUlS1P_E_NS1_11comp_targetILNS1_3genE5ELNS1_11target_archE942ELNS1_3gpuE9ELNS1_3repE0EEENS1_30default_config_static_selectorELNS0_4arch9wavefront6targetE1EEEvS12_.has_dyn_sized_stack, 0
	.set _ZN7rocprim17ROCPRIM_400000_NS6detail17trampoline_kernelINS0_13select_configILj256ELj13ELNS0_17block_load_methodE3ELS4_3ELS4_3ELNS0_20block_scan_algorithmE0ELj4294967295EEENS1_25partition_config_selectorILNS1_17partition_subalgoE4EjNS0_10empty_typeEbEEZZNS1_14partition_implILS8_4ELb0ES6_15HIP_vector_typeIjLj2EENS0_17counting_iteratorIjlEEPS9_SG_NS0_5tupleIJPjSI_NS0_16reverse_iteratorISI_EEEEENSH_IJSG_SG_SG_EEES9_SI_JZNS1_25segmented_radix_sort_implINS0_14default_configELb1EPKhPhPKlPlN2at6native12_GLOBAL__N_18offset_tEEE10hipError_tPvRmT1_PNSt15iterator_traitsIS12_E10value_typeET2_T3_PNS13_IS18_E10value_typeET4_jRbjT5_S1E_jjP12ihipStream_tbEUljE_ZNSN_ISO_Lb1ESQ_SR_ST_SU_SY_EESZ_S10_S11_S12_S16_S17_S18_S1B_S1C_jS1D_jS1E_S1E_jjS1G_bEUljE0_EEESZ_S10_S11_S18_S1C_S1E_T6_T7_T9_mT8_S1G_bDpT10_ENKUlT_T0_E_clISt17integral_constantIbLb0EES1U_EEDaS1P_S1Q_EUlS1P_E_NS1_11comp_targetILNS1_3genE5ELNS1_11target_archE942ELNS1_3gpuE9ELNS1_3repE0EEENS1_30default_config_static_selectorELNS0_4arch9wavefront6targetE1EEEvS12_.has_recursion, 0
	.set _ZN7rocprim17ROCPRIM_400000_NS6detail17trampoline_kernelINS0_13select_configILj256ELj13ELNS0_17block_load_methodE3ELS4_3ELS4_3ELNS0_20block_scan_algorithmE0ELj4294967295EEENS1_25partition_config_selectorILNS1_17partition_subalgoE4EjNS0_10empty_typeEbEEZZNS1_14partition_implILS8_4ELb0ES6_15HIP_vector_typeIjLj2EENS0_17counting_iteratorIjlEEPS9_SG_NS0_5tupleIJPjSI_NS0_16reverse_iteratorISI_EEEEENSH_IJSG_SG_SG_EEES9_SI_JZNS1_25segmented_radix_sort_implINS0_14default_configELb1EPKhPhPKlPlN2at6native12_GLOBAL__N_18offset_tEEE10hipError_tPvRmT1_PNSt15iterator_traitsIS12_E10value_typeET2_T3_PNS13_IS18_E10value_typeET4_jRbjT5_S1E_jjP12ihipStream_tbEUljE_ZNSN_ISO_Lb1ESQ_SR_ST_SU_SY_EESZ_S10_S11_S12_S16_S17_S18_S1B_S1C_jS1D_jS1E_S1E_jjS1G_bEUljE0_EEESZ_S10_S11_S18_S1C_S1E_T6_T7_T9_mT8_S1G_bDpT10_ENKUlT_T0_E_clISt17integral_constantIbLb0EES1U_EEDaS1P_S1Q_EUlS1P_E_NS1_11comp_targetILNS1_3genE5ELNS1_11target_archE942ELNS1_3gpuE9ELNS1_3repE0EEENS1_30default_config_static_selectorELNS0_4arch9wavefront6targetE1EEEvS12_.has_indirect_call, 0
	.section	.AMDGPU.csdata,"",@progbits
; Kernel info:
; codeLenInByte = 0
; TotalNumSgprs: 4
; NumVgprs: 0
; ScratchSize: 0
; MemoryBound: 0
; FloatMode: 240
; IeeeMode: 1
; LDSByteSize: 0 bytes/workgroup (compile time only)
; SGPRBlocks: 0
; VGPRBlocks: 0
; NumSGPRsForWavesPerEU: 4
; NumVGPRsForWavesPerEU: 1
; Occupancy: 10
; WaveLimiterHint : 0
; COMPUTE_PGM_RSRC2:SCRATCH_EN: 0
; COMPUTE_PGM_RSRC2:USER_SGPR: 6
; COMPUTE_PGM_RSRC2:TRAP_HANDLER: 0
; COMPUTE_PGM_RSRC2:TGID_X_EN: 1
; COMPUTE_PGM_RSRC2:TGID_Y_EN: 0
; COMPUTE_PGM_RSRC2:TGID_Z_EN: 0
; COMPUTE_PGM_RSRC2:TIDIG_COMP_CNT: 0
	.section	.text._ZN7rocprim17ROCPRIM_400000_NS6detail17trampoline_kernelINS0_13select_configILj256ELj13ELNS0_17block_load_methodE3ELS4_3ELS4_3ELNS0_20block_scan_algorithmE0ELj4294967295EEENS1_25partition_config_selectorILNS1_17partition_subalgoE4EjNS0_10empty_typeEbEEZZNS1_14partition_implILS8_4ELb0ES6_15HIP_vector_typeIjLj2EENS0_17counting_iteratorIjlEEPS9_SG_NS0_5tupleIJPjSI_NS0_16reverse_iteratorISI_EEEEENSH_IJSG_SG_SG_EEES9_SI_JZNS1_25segmented_radix_sort_implINS0_14default_configELb1EPKhPhPKlPlN2at6native12_GLOBAL__N_18offset_tEEE10hipError_tPvRmT1_PNSt15iterator_traitsIS12_E10value_typeET2_T3_PNS13_IS18_E10value_typeET4_jRbjT5_S1E_jjP12ihipStream_tbEUljE_ZNSN_ISO_Lb1ESQ_SR_ST_SU_SY_EESZ_S10_S11_S12_S16_S17_S18_S1B_S1C_jS1D_jS1E_S1E_jjS1G_bEUljE0_EEESZ_S10_S11_S18_S1C_S1E_T6_T7_T9_mT8_S1G_bDpT10_ENKUlT_T0_E_clISt17integral_constantIbLb0EES1U_EEDaS1P_S1Q_EUlS1P_E_NS1_11comp_targetILNS1_3genE4ELNS1_11target_archE910ELNS1_3gpuE8ELNS1_3repE0EEENS1_30default_config_static_selectorELNS0_4arch9wavefront6targetE1EEEvS12_,"axG",@progbits,_ZN7rocprim17ROCPRIM_400000_NS6detail17trampoline_kernelINS0_13select_configILj256ELj13ELNS0_17block_load_methodE3ELS4_3ELS4_3ELNS0_20block_scan_algorithmE0ELj4294967295EEENS1_25partition_config_selectorILNS1_17partition_subalgoE4EjNS0_10empty_typeEbEEZZNS1_14partition_implILS8_4ELb0ES6_15HIP_vector_typeIjLj2EENS0_17counting_iteratorIjlEEPS9_SG_NS0_5tupleIJPjSI_NS0_16reverse_iteratorISI_EEEEENSH_IJSG_SG_SG_EEES9_SI_JZNS1_25segmented_radix_sort_implINS0_14default_configELb1EPKhPhPKlPlN2at6native12_GLOBAL__N_18offset_tEEE10hipError_tPvRmT1_PNSt15iterator_traitsIS12_E10value_typeET2_T3_PNS13_IS18_E10value_typeET4_jRbjT5_S1E_jjP12ihipStream_tbEUljE_ZNSN_ISO_Lb1ESQ_SR_ST_SU_SY_EESZ_S10_S11_S12_S16_S17_S18_S1B_S1C_jS1D_jS1E_S1E_jjS1G_bEUljE0_EEESZ_S10_S11_S18_S1C_S1E_T6_T7_T9_mT8_S1G_bDpT10_ENKUlT_T0_E_clISt17integral_constantIbLb0EES1U_EEDaS1P_S1Q_EUlS1P_E_NS1_11comp_targetILNS1_3genE4ELNS1_11target_archE910ELNS1_3gpuE8ELNS1_3repE0EEENS1_30default_config_static_selectorELNS0_4arch9wavefront6targetE1EEEvS12_,comdat
	.globl	_ZN7rocprim17ROCPRIM_400000_NS6detail17trampoline_kernelINS0_13select_configILj256ELj13ELNS0_17block_load_methodE3ELS4_3ELS4_3ELNS0_20block_scan_algorithmE0ELj4294967295EEENS1_25partition_config_selectorILNS1_17partition_subalgoE4EjNS0_10empty_typeEbEEZZNS1_14partition_implILS8_4ELb0ES6_15HIP_vector_typeIjLj2EENS0_17counting_iteratorIjlEEPS9_SG_NS0_5tupleIJPjSI_NS0_16reverse_iteratorISI_EEEEENSH_IJSG_SG_SG_EEES9_SI_JZNS1_25segmented_radix_sort_implINS0_14default_configELb1EPKhPhPKlPlN2at6native12_GLOBAL__N_18offset_tEEE10hipError_tPvRmT1_PNSt15iterator_traitsIS12_E10value_typeET2_T3_PNS13_IS18_E10value_typeET4_jRbjT5_S1E_jjP12ihipStream_tbEUljE_ZNSN_ISO_Lb1ESQ_SR_ST_SU_SY_EESZ_S10_S11_S12_S16_S17_S18_S1B_S1C_jS1D_jS1E_S1E_jjS1G_bEUljE0_EEESZ_S10_S11_S18_S1C_S1E_T6_T7_T9_mT8_S1G_bDpT10_ENKUlT_T0_E_clISt17integral_constantIbLb0EES1U_EEDaS1P_S1Q_EUlS1P_E_NS1_11comp_targetILNS1_3genE4ELNS1_11target_archE910ELNS1_3gpuE8ELNS1_3repE0EEENS1_30default_config_static_selectorELNS0_4arch9wavefront6targetE1EEEvS12_ ; -- Begin function _ZN7rocprim17ROCPRIM_400000_NS6detail17trampoline_kernelINS0_13select_configILj256ELj13ELNS0_17block_load_methodE3ELS4_3ELS4_3ELNS0_20block_scan_algorithmE0ELj4294967295EEENS1_25partition_config_selectorILNS1_17partition_subalgoE4EjNS0_10empty_typeEbEEZZNS1_14partition_implILS8_4ELb0ES6_15HIP_vector_typeIjLj2EENS0_17counting_iteratorIjlEEPS9_SG_NS0_5tupleIJPjSI_NS0_16reverse_iteratorISI_EEEEENSH_IJSG_SG_SG_EEES9_SI_JZNS1_25segmented_radix_sort_implINS0_14default_configELb1EPKhPhPKlPlN2at6native12_GLOBAL__N_18offset_tEEE10hipError_tPvRmT1_PNSt15iterator_traitsIS12_E10value_typeET2_T3_PNS13_IS18_E10value_typeET4_jRbjT5_S1E_jjP12ihipStream_tbEUljE_ZNSN_ISO_Lb1ESQ_SR_ST_SU_SY_EESZ_S10_S11_S12_S16_S17_S18_S1B_S1C_jS1D_jS1E_S1E_jjS1G_bEUljE0_EEESZ_S10_S11_S18_S1C_S1E_T6_T7_T9_mT8_S1G_bDpT10_ENKUlT_T0_E_clISt17integral_constantIbLb0EES1U_EEDaS1P_S1Q_EUlS1P_E_NS1_11comp_targetILNS1_3genE4ELNS1_11target_archE910ELNS1_3gpuE8ELNS1_3repE0EEENS1_30default_config_static_selectorELNS0_4arch9wavefront6targetE1EEEvS12_
	.p2align	8
	.type	_ZN7rocprim17ROCPRIM_400000_NS6detail17trampoline_kernelINS0_13select_configILj256ELj13ELNS0_17block_load_methodE3ELS4_3ELS4_3ELNS0_20block_scan_algorithmE0ELj4294967295EEENS1_25partition_config_selectorILNS1_17partition_subalgoE4EjNS0_10empty_typeEbEEZZNS1_14partition_implILS8_4ELb0ES6_15HIP_vector_typeIjLj2EENS0_17counting_iteratorIjlEEPS9_SG_NS0_5tupleIJPjSI_NS0_16reverse_iteratorISI_EEEEENSH_IJSG_SG_SG_EEES9_SI_JZNS1_25segmented_radix_sort_implINS0_14default_configELb1EPKhPhPKlPlN2at6native12_GLOBAL__N_18offset_tEEE10hipError_tPvRmT1_PNSt15iterator_traitsIS12_E10value_typeET2_T3_PNS13_IS18_E10value_typeET4_jRbjT5_S1E_jjP12ihipStream_tbEUljE_ZNSN_ISO_Lb1ESQ_SR_ST_SU_SY_EESZ_S10_S11_S12_S16_S17_S18_S1B_S1C_jS1D_jS1E_S1E_jjS1G_bEUljE0_EEESZ_S10_S11_S18_S1C_S1E_T6_T7_T9_mT8_S1G_bDpT10_ENKUlT_T0_E_clISt17integral_constantIbLb0EES1U_EEDaS1P_S1Q_EUlS1P_E_NS1_11comp_targetILNS1_3genE4ELNS1_11target_archE910ELNS1_3gpuE8ELNS1_3repE0EEENS1_30default_config_static_selectorELNS0_4arch9wavefront6targetE1EEEvS12_,@function
_ZN7rocprim17ROCPRIM_400000_NS6detail17trampoline_kernelINS0_13select_configILj256ELj13ELNS0_17block_load_methodE3ELS4_3ELS4_3ELNS0_20block_scan_algorithmE0ELj4294967295EEENS1_25partition_config_selectorILNS1_17partition_subalgoE4EjNS0_10empty_typeEbEEZZNS1_14partition_implILS8_4ELb0ES6_15HIP_vector_typeIjLj2EENS0_17counting_iteratorIjlEEPS9_SG_NS0_5tupleIJPjSI_NS0_16reverse_iteratorISI_EEEEENSH_IJSG_SG_SG_EEES9_SI_JZNS1_25segmented_radix_sort_implINS0_14default_configELb1EPKhPhPKlPlN2at6native12_GLOBAL__N_18offset_tEEE10hipError_tPvRmT1_PNSt15iterator_traitsIS12_E10value_typeET2_T3_PNS13_IS18_E10value_typeET4_jRbjT5_S1E_jjP12ihipStream_tbEUljE_ZNSN_ISO_Lb1ESQ_SR_ST_SU_SY_EESZ_S10_S11_S12_S16_S17_S18_S1B_S1C_jS1D_jS1E_S1E_jjS1G_bEUljE0_EEESZ_S10_S11_S18_S1C_S1E_T6_T7_T9_mT8_S1G_bDpT10_ENKUlT_T0_E_clISt17integral_constantIbLb0EES1U_EEDaS1P_S1Q_EUlS1P_E_NS1_11comp_targetILNS1_3genE4ELNS1_11target_archE910ELNS1_3gpuE8ELNS1_3repE0EEENS1_30default_config_static_selectorELNS0_4arch9wavefront6targetE1EEEvS12_: ; @_ZN7rocprim17ROCPRIM_400000_NS6detail17trampoline_kernelINS0_13select_configILj256ELj13ELNS0_17block_load_methodE3ELS4_3ELS4_3ELNS0_20block_scan_algorithmE0ELj4294967295EEENS1_25partition_config_selectorILNS1_17partition_subalgoE4EjNS0_10empty_typeEbEEZZNS1_14partition_implILS8_4ELb0ES6_15HIP_vector_typeIjLj2EENS0_17counting_iteratorIjlEEPS9_SG_NS0_5tupleIJPjSI_NS0_16reverse_iteratorISI_EEEEENSH_IJSG_SG_SG_EEES9_SI_JZNS1_25segmented_radix_sort_implINS0_14default_configELb1EPKhPhPKlPlN2at6native12_GLOBAL__N_18offset_tEEE10hipError_tPvRmT1_PNSt15iterator_traitsIS12_E10value_typeET2_T3_PNS13_IS18_E10value_typeET4_jRbjT5_S1E_jjP12ihipStream_tbEUljE_ZNSN_ISO_Lb1ESQ_SR_ST_SU_SY_EESZ_S10_S11_S12_S16_S17_S18_S1B_S1C_jS1D_jS1E_S1E_jjS1G_bEUljE0_EEESZ_S10_S11_S18_S1C_S1E_T6_T7_T9_mT8_S1G_bDpT10_ENKUlT_T0_E_clISt17integral_constantIbLb0EES1U_EEDaS1P_S1Q_EUlS1P_E_NS1_11comp_targetILNS1_3genE4ELNS1_11target_archE910ELNS1_3gpuE8ELNS1_3repE0EEENS1_30default_config_static_selectorELNS0_4arch9wavefront6targetE1EEEvS12_
; %bb.0:
	.section	.rodata,"a",@progbits
	.p2align	6, 0x0
	.amdhsa_kernel _ZN7rocprim17ROCPRIM_400000_NS6detail17trampoline_kernelINS0_13select_configILj256ELj13ELNS0_17block_load_methodE3ELS4_3ELS4_3ELNS0_20block_scan_algorithmE0ELj4294967295EEENS1_25partition_config_selectorILNS1_17partition_subalgoE4EjNS0_10empty_typeEbEEZZNS1_14partition_implILS8_4ELb0ES6_15HIP_vector_typeIjLj2EENS0_17counting_iteratorIjlEEPS9_SG_NS0_5tupleIJPjSI_NS0_16reverse_iteratorISI_EEEEENSH_IJSG_SG_SG_EEES9_SI_JZNS1_25segmented_radix_sort_implINS0_14default_configELb1EPKhPhPKlPlN2at6native12_GLOBAL__N_18offset_tEEE10hipError_tPvRmT1_PNSt15iterator_traitsIS12_E10value_typeET2_T3_PNS13_IS18_E10value_typeET4_jRbjT5_S1E_jjP12ihipStream_tbEUljE_ZNSN_ISO_Lb1ESQ_SR_ST_SU_SY_EESZ_S10_S11_S12_S16_S17_S18_S1B_S1C_jS1D_jS1E_S1E_jjS1G_bEUljE0_EEESZ_S10_S11_S18_S1C_S1E_T6_T7_T9_mT8_S1G_bDpT10_ENKUlT_T0_E_clISt17integral_constantIbLb0EES1U_EEDaS1P_S1Q_EUlS1P_E_NS1_11comp_targetILNS1_3genE4ELNS1_11target_archE910ELNS1_3gpuE8ELNS1_3repE0EEENS1_30default_config_static_selectorELNS0_4arch9wavefront6targetE1EEEvS12_
		.amdhsa_group_segment_fixed_size 0
		.amdhsa_private_segment_fixed_size 0
		.amdhsa_kernarg_size 176
		.amdhsa_user_sgpr_count 6
		.amdhsa_user_sgpr_private_segment_buffer 1
		.amdhsa_user_sgpr_dispatch_ptr 0
		.amdhsa_user_sgpr_queue_ptr 0
		.amdhsa_user_sgpr_kernarg_segment_ptr 1
		.amdhsa_user_sgpr_dispatch_id 0
		.amdhsa_user_sgpr_flat_scratch_init 0
		.amdhsa_user_sgpr_private_segment_size 0
		.amdhsa_uses_dynamic_stack 0
		.amdhsa_system_sgpr_private_segment_wavefront_offset 0
		.amdhsa_system_sgpr_workgroup_id_x 1
		.amdhsa_system_sgpr_workgroup_id_y 0
		.amdhsa_system_sgpr_workgroup_id_z 0
		.amdhsa_system_sgpr_workgroup_info 0
		.amdhsa_system_vgpr_workitem_id 0
		.amdhsa_next_free_vgpr 1
		.amdhsa_next_free_sgpr 0
		.amdhsa_reserve_vcc 0
		.amdhsa_reserve_flat_scratch 0
		.amdhsa_float_round_mode_32 0
		.amdhsa_float_round_mode_16_64 0
		.amdhsa_float_denorm_mode_32 3
		.amdhsa_float_denorm_mode_16_64 3
		.amdhsa_dx10_clamp 1
		.amdhsa_ieee_mode 1
		.amdhsa_fp16_overflow 0
		.amdhsa_exception_fp_ieee_invalid_op 0
		.amdhsa_exception_fp_denorm_src 0
		.amdhsa_exception_fp_ieee_div_zero 0
		.amdhsa_exception_fp_ieee_overflow 0
		.amdhsa_exception_fp_ieee_underflow 0
		.amdhsa_exception_fp_ieee_inexact 0
		.amdhsa_exception_int_div_zero 0
	.end_amdhsa_kernel
	.section	.text._ZN7rocprim17ROCPRIM_400000_NS6detail17trampoline_kernelINS0_13select_configILj256ELj13ELNS0_17block_load_methodE3ELS4_3ELS4_3ELNS0_20block_scan_algorithmE0ELj4294967295EEENS1_25partition_config_selectorILNS1_17partition_subalgoE4EjNS0_10empty_typeEbEEZZNS1_14partition_implILS8_4ELb0ES6_15HIP_vector_typeIjLj2EENS0_17counting_iteratorIjlEEPS9_SG_NS0_5tupleIJPjSI_NS0_16reverse_iteratorISI_EEEEENSH_IJSG_SG_SG_EEES9_SI_JZNS1_25segmented_radix_sort_implINS0_14default_configELb1EPKhPhPKlPlN2at6native12_GLOBAL__N_18offset_tEEE10hipError_tPvRmT1_PNSt15iterator_traitsIS12_E10value_typeET2_T3_PNS13_IS18_E10value_typeET4_jRbjT5_S1E_jjP12ihipStream_tbEUljE_ZNSN_ISO_Lb1ESQ_SR_ST_SU_SY_EESZ_S10_S11_S12_S16_S17_S18_S1B_S1C_jS1D_jS1E_S1E_jjS1G_bEUljE0_EEESZ_S10_S11_S18_S1C_S1E_T6_T7_T9_mT8_S1G_bDpT10_ENKUlT_T0_E_clISt17integral_constantIbLb0EES1U_EEDaS1P_S1Q_EUlS1P_E_NS1_11comp_targetILNS1_3genE4ELNS1_11target_archE910ELNS1_3gpuE8ELNS1_3repE0EEENS1_30default_config_static_selectorELNS0_4arch9wavefront6targetE1EEEvS12_,"axG",@progbits,_ZN7rocprim17ROCPRIM_400000_NS6detail17trampoline_kernelINS0_13select_configILj256ELj13ELNS0_17block_load_methodE3ELS4_3ELS4_3ELNS0_20block_scan_algorithmE0ELj4294967295EEENS1_25partition_config_selectorILNS1_17partition_subalgoE4EjNS0_10empty_typeEbEEZZNS1_14partition_implILS8_4ELb0ES6_15HIP_vector_typeIjLj2EENS0_17counting_iteratorIjlEEPS9_SG_NS0_5tupleIJPjSI_NS0_16reverse_iteratorISI_EEEEENSH_IJSG_SG_SG_EEES9_SI_JZNS1_25segmented_radix_sort_implINS0_14default_configELb1EPKhPhPKlPlN2at6native12_GLOBAL__N_18offset_tEEE10hipError_tPvRmT1_PNSt15iterator_traitsIS12_E10value_typeET2_T3_PNS13_IS18_E10value_typeET4_jRbjT5_S1E_jjP12ihipStream_tbEUljE_ZNSN_ISO_Lb1ESQ_SR_ST_SU_SY_EESZ_S10_S11_S12_S16_S17_S18_S1B_S1C_jS1D_jS1E_S1E_jjS1G_bEUljE0_EEESZ_S10_S11_S18_S1C_S1E_T6_T7_T9_mT8_S1G_bDpT10_ENKUlT_T0_E_clISt17integral_constantIbLb0EES1U_EEDaS1P_S1Q_EUlS1P_E_NS1_11comp_targetILNS1_3genE4ELNS1_11target_archE910ELNS1_3gpuE8ELNS1_3repE0EEENS1_30default_config_static_selectorELNS0_4arch9wavefront6targetE1EEEvS12_,comdat
.Lfunc_end6:
	.size	_ZN7rocprim17ROCPRIM_400000_NS6detail17trampoline_kernelINS0_13select_configILj256ELj13ELNS0_17block_load_methodE3ELS4_3ELS4_3ELNS0_20block_scan_algorithmE0ELj4294967295EEENS1_25partition_config_selectorILNS1_17partition_subalgoE4EjNS0_10empty_typeEbEEZZNS1_14partition_implILS8_4ELb0ES6_15HIP_vector_typeIjLj2EENS0_17counting_iteratorIjlEEPS9_SG_NS0_5tupleIJPjSI_NS0_16reverse_iteratorISI_EEEEENSH_IJSG_SG_SG_EEES9_SI_JZNS1_25segmented_radix_sort_implINS0_14default_configELb1EPKhPhPKlPlN2at6native12_GLOBAL__N_18offset_tEEE10hipError_tPvRmT1_PNSt15iterator_traitsIS12_E10value_typeET2_T3_PNS13_IS18_E10value_typeET4_jRbjT5_S1E_jjP12ihipStream_tbEUljE_ZNSN_ISO_Lb1ESQ_SR_ST_SU_SY_EESZ_S10_S11_S12_S16_S17_S18_S1B_S1C_jS1D_jS1E_S1E_jjS1G_bEUljE0_EEESZ_S10_S11_S18_S1C_S1E_T6_T7_T9_mT8_S1G_bDpT10_ENKUlT_T0_E_clISt17integral_constantIbLb0EES1U_EEDaS1P_S1Q_EUlS1P_E_NS1_11comp_targetILNS1_3genE4ELNS1_11target_archE910ELNS1_3gpuE8ELNS1_3repE0EEENS1_30default_config_static_selectorELNS0_4arch9wavefront6targetE1EEEvS12_, .Lfunc_end6-_ZN7rocprim17ROCPRIM_400000_NS6detail17trampoline_kernelINS0_13select_configILj256ELj13ELNS0_17block_load_methodE3ELS4_3ELS4_3ELNS0_20block_scan_algorithmE0ELj4294967295EEENS1_25partition_config_selectorILNS1_17partition_subalgoE4EjNS0_10empty_typeEbEEZZNS1_14partition_implILS8_4ELb0ES6_15HIP_vector_typeIjLj2EENS0_17counting_iteratorIjlEEPS9_SG_NS0_5tupleIJPjSI_NS0_16reverse_iteratorISI_EEEEENSH_IJSG_SG_SG_EEES9_SI_JZNS1_25segmented_radix_sort_implINS0_14default_configELb1EPKhPhPKlPlN2at6native12_GLOBAL__N_18offset_tEEE10hipError_tPvRmT1_PNSt15iterator_traitsIS12_E10value_typeET2_T3_PNS13_IS18_E10value_typeET4_jRbjT5_S1E_jjP12ihipStream_tbEUljE_ZNSN_ISO_Lb1ESQ_SR_ST_SU_SY_EESZ_S10_S11_S12_S16_S17_S18_S1B_S1C_jS1D_jS1E_S1E_jjS1G_bEUljE0_EEESZ_S10_S11_S18_S1C_S1E_T6_T7_T9_mT8_S1G_bDpT10_ENKUlT_T0_E_clISt17integral_constantIbLb0EES1U_EEDaS1P_S1Q_EUlS1P_E_NS1_11comp_targetILNS1_3genE4ELNS1_11target_archE910ELNS1_3gpuE8ELNS1_3repE0EEENS1_30default_config_static_selectorELNS0_4arch9wavefront6targetE1EEEvS12_
                                        ; -- End function
	.set _ZN7rocprim17ROCPRIM_400000_NS6detail17trampoline_kernelINS0_13select_configILj256ELj13ELNS0_17block_load_methodE3ELS4_3ELS4_3ELNS0_20block_scan_algorithmE0ELj4294967295EEENS1_25partition_config_selectorILNS1_17partition_subalgoE4EjNS0_10empty_typeEbEEZZNS1_14partition_implILS8_4ELb0ES6_15HIP_vector_typeIjLj2EENS0_17counting_iteratorIjlEEPS9_SG_NS0_5tupleIJPjSI_NS0_16reverse_iteratorISI_EEEEENSH_IJSG_SG_SG_EEES9_SI_JZNS1_25segmented_radix_sort_implINS0_14default_configELb1EPKhPhPKlPlN2at6native12_GLOBAL__N_18offset_tEEE10hipError_tPvRmT1_PNSt15iterator_traitsIS12_E10value_typeET2_T3_PNS13_IS18_E10value_typeET4_jRbjT5_S1E_jjP12ihipStream_tbEUljE_ZNSN_ISO_Lb1ESQ_SR_ST_SU_SY_EESZ_S10_S11_S12_S16_S17_S18_S1B_S1C_jS1D_jS1E_S1E_jjS1G_bEUljE0_EEESZ_S10_S11_S18_S1C_S1E_T6_T7_T9_mT8_S1G_bDpT10_ENKUlT_T0_E_clISt17integral_constantIbLb0EES1U_EEDaS1P_S1Q_EUlS1P_E_NS1_11comp_targetILNS1_3genE4ELNS1_11target_archE910ELNS1_3gpuE8ELNS1_3repE0EEENS1_30default_config_static_selectorELNS0_4arch9wavefront6targetE1EEEvS12_.num_vgpr, 0
	.set _ZN7rocprim17ROCPRIM_400000_NS6detail17trampoline_kernelINS0_13select_configILj256ELj13ELNS0_17block_load_methodE3ELS4_3ELS4_3ELNS0_20block_scan_algorithmE0ELj4294967295EEENS1_25partition_config_selectorILNS1_17partition_subalgoE4EjNS0_10empty_typeEbEEZZNS1_14partition_implILS8_4ELb0ES6_15HIP_vector_typeIjLj2EENS0_17counting_iteratorIjlEEPS9_SG_NS0_5tupleIJPjSI_NS0_16reverse_iteratorISI_EEEEENSH_IJSG_SG_SG_EEES9_SI_JZNS1_25segmented_radix_sort_implINS0_14default_configELb1EPKhPhPKlPlN2at6native12_GLOBAL__N_18offset_tEEE10hipError_tPvRmT1_PNSt15iterator_traitsIS12_E10value_typeET2_T3_PNS13_IS18_E10value_typeET4_jRbjT5_S1E_jjP12ihipStream_tbEUljE_ZNSN_ISO_Lb1ESQ_SR_ST_SU_SY_EESZ_S10_S11_S12_S16_S17_S18_S1B_S1C_jS1D_jS1E_S1E_jjS1G_bEUljE0_EEESZ_S10_S11_S18_S1C_S1E_T6_T7_T9_mT8_S1G_bDpT10_ENKUlT_T0_E_clISt17integral_constantIbLb0EES1U_EEDaS1P_S1Q_EUlS1P_E_NS1_11comp_targetILNS1_3genE4ELNS1_11target_archE910ELNS1_3gpuE8ELNS1_3repE0EEENS1_30default_config_static_selectorELNS0_4arch9wavefront6targetE1EEEvS12_.num_agpr, 0
	.set _ZN7rocprim17ROCPRIM_400000_NS6detail17trampoline_kernelINS0_13select_configILj256ELj13ELNS0_17block_load_methodE3ELS4_3ELS4_3ELNS0_20block_scan_algorithmE0ELj4294967295EEENS1_25partition_config_selectorILNS1_17partition_subalgoE4EjNS0_10empty_typeEbEEZZNS1_14partition_implILS8_4ELb0ES6_15HIP_vector_typeIjLj2EENS0_17counting_iteratorIjlEEPS9_SG_NS0_5tupleIJPjSI_NS0_16reverse_iteratorISI_EEEEENSH_IJSG_SG_SG_EEES9_SI_JZNS1_25segmented_radix_sort_implINS0_14default_configELb1EPKhPhPKlPlN2at6native12_GLOBAL__N_18offset_tEEE10hipError_tPvRmT1_PNSt15iterator_traitsIS12_E10value_typeET2_T3_PNS13_IS18_E10value_typeET4_jRbjT5_S1E_jjP12ihipStream_tbEUljE_ZNSN_ISO_Lb1ESQ_SR_ST_SU_SY_EESZ_S10_S11_S12_S16_S17_S18_S1B_S1C_jS1D_jS1E_S1E_jjS1G_bEUljE0_EEESZ_S10_S11_S18_S1C_S1E_T6_T7_T9_mT8_S1G_bDpT10_ENKUlT_T0_E_clISt17integral_constantIbLb0EES1U_EEDaS1P_S1Q_EUlS1P_E_NS1_11comp_targetILNS1_3genE4ELNS1_11target_archE910ELNS1_3gpuE8ELNS1_3repE0EEENS1_30default_config_static_selectorELNS0_4arch9wavefront6targetE1EEEvS12_.numbered_sgpr, 0
	.set _ZN7rocprim17ROCPRIM_400000_NS6detail17trampoline_kernelINS0_13select_configILj256ELj13ELNS0_17block_load_methodE3ELS4_3ELS4_3ELNS0_20block_scan_algorithmE0ELj4294967295EEENS1_25partition_config_selectorILNS1_17partition_subalgoE4EjNS0_10empty_typeEbEEZZNS1_14partition_implILS8_4ELb0ES6_15HIP_vector_typeIjLj2EENS0_17counting_iteratorIjlEEPS9_SG_NS0_5tupleIJPjSI_NS0_16reverse_iteratorISI_EEEEENSH_IJSG_SG_SG_EEES9_SI_JZNS1_25segmented_radix_sort_implINS0_14default_configELb1EPKhPhPKlPlN2at6native12_GLOBAL__N_18offset_tEEE10hipError_tPvRmT1_PNSt15iterator_traitsIS12_E10value_typeET2_T3_PNS13_IS18_E10value_typeET4_jRbjT5_S1E_jjP12ihipStream_tbEUljE_ZNSN_ISO_Lb1ESQ_SR_ST_SU_SY_EESZ_S10_S11_S12_S16_S17_S18_S1B_S1C_jS1D_jS1E_S1E_jjS1G_bEUljE0_EEESZ_S10_S11_S18_S1C_S1E_T6_T7_T9_mT8_S1G_bDpT10_ENKUlT_T0_E_clISt17integral_constantIbLb0EES1U_EEDaS1P_S1Q_EUlS1P_E_NS1_11comp_targetILNS1_3genE4ELNS1_11target_archE910ELNS1_3gpuE8ELNS1_3repE0EEENS1_30default_config_static_selectorELNS0_4arch9wavefront6targetE1EEEvS12_.num_named_barrier, 0
	.set _ZN7rocprim17ROCPRIM_400000_NS6detail17trampoline_kernelINS0_13select_configILj256ELj13ELNS0_17block_load_methodE3ELS4_3ELS4_3ELNS0_20block_scan_algorithmE0ELj4294967295EEENS1_25partition_config_selectorILNS1_17partition_subalgoE4EjNS0_10empty_typeEbEEZZNS1_14partition_implILS8_4ELb0ES6_15HIP_vector_typeIjLj2EENS0_17counting_iteratorIjlEEPS9_SG_NS0_5tupleIJPjSI_NS0_16reverse_iteratorISI_EEEEENSH_IJSG_SG_SG_EEES9_SI_JZNS1_25segmented_radix_sort_implINS0_14default_configELb1EPKhPhPKlPlN2at6native12_GLOBAL__N_18offset_tEEE10hipError_tPvRmT1_PNSt15iterator_traitsIS12_E10value_typeET2_T3_PNS13_IS18_E10value_typeET4_jRbjT5_S1E_jjP12ihipStream_tbEUljE_ZNSN_ISO_Lb1ESQ_SR_ST_SU_SY_EESZ_S10_S11_S12_S16_S17_S18_S1B_S1C_jS1D_jS1E_S1E_jjS1G_bEUljE0_EEESZ_S10_S11_S18_S1C_S1E_T6_T7_T9_mT8_S1G_bDpT10_ENKUlT_T0_E_clISt17integral_constantIbLb0EES1U_EEDaS1P_S1Q_EUlS1P_E_NS1_11comp_targetILNS1_3genE4ELNS1_11target_archE910ELNS1_3gpuE8ELNS1_3repE0EEENS1_30default_config_static_selectorELNS0_4arch9wavefront6targetE1EEEvS12_.private_seg_size, 0
	.set _ZN7rocprim17ROCPRIM_400000_NS6detail17trampoline_kernelINS0_13select_configILj256ELj13ELNS0_17block_load_methodE3ELS4_3ELS4_3ELNS0_20block_scan_algorithmE0ELj4294967295EEENS1_25partition_config_selectorILNS1_17partition_subalgoE4EjNS0_10empty_typeEbEEZZNS1_14partition_implILS8_4ELb0ES6_15HIP_vector_typeIjLj2EENS0_17counting_iteratorIjlEEPS9_SG_NS0_5tupleIJPjSI_NS0_16reverse_iteratorISI_EEEEENSH_IJSG_SG_SG_EEES9_SI_JZNS1_25segmented_radix_sort_implINS0_14default_configELb1EPKhPhPKlPlN2at6native12_GLOBAL__N_18offset_tEEE10hipError_tPvRmT1_PNSt15iterator_traitsIS12_E10value_typeET2_T3_PNS13_IS18_E10value_typeET4_jRbjT5_S1E_jjP12ihipStream_tbEUljE_ZNSN_ISO_Lb1ESQ_SR_ST_SU_SY_EESZ_S10_S11_S12_S16_S17_S18_S1B_S1C_jS1D_jS1E_S1E_jjS1G_bEUljE0_EEESZ_S10_S11_S18_S1C_S1E_T6_T7_T9_mT8_S1G_bDpT10_ENKUlT_T0_E_clISt17integral_constantIbLb0EES1U_EEDaS1P_S1Q_EUlS1P_E_NS1_11comp_targetILNS1_3genE4ELNS1_11target_archE910ELNS1_3gpuE8ELNS1_3repE0EEENS1_30default_config_static_selectorELNS0_4arch9wavefront6targetE1EEEvS12_.uses_vcc, 0
	.set _ZN7rocprim17ROCPRIM_400000_NS6detail17trampoline_kernelINS0_13select_configILj256ELj13ELNS0_17block_load_methodE3ELS4_3ELS4_3ELNS0_20block_scan_algorithmE0ELj4294967295EEENS1_25partition_config_selectorILNS1_17partition_subalgoE4EjNS0_10empty_typeEbEEZZNS1_14partition_implILS8_4ELb0ES6_15HIP_vector_typeIjLj2EENS0_17counting_iteratorIjlEEPS9_SG_NS0_5tupleIJPjSI_NS0_16reverse_iteratorISI_EEEEENSH_IJSG_SG_SG_EEES9_SI_JZNS1_25segmented_radix_sort_implINS0_14default_configELb1EPKhPhPKlPlN2at6native12_GLOBAL__N_18offset_tEEE10hipError_tPvRmT1_PNSt15iterator_traitsIS12_E10value_typeET2_T3_PNS13_IS18_E10value_typeET4_jRbjT5_S1E_jjP12ihipStream_tbEUljE_ZNSN_ISO_Lb1ESQ_SR_ST_SU_SY_EESZ_S10_S11_S12_S16_S17_S18_S1B_S1C_jS1D_jS1E_S1E_jjS1G_bEUljE0_EEESZ_S10_S11_S18_S1C_S1E_T6_T7_T9_mT8_S1G_bDpT10_ENKUlT_T0_E_clISt17integral_constantIbLb0EES1U_EEDaS1P_S1Q_EUlS1P_E_NS1_11comp_targetILNS1_3genE4ELNS1_11target_archE910ELNS1_3gpuE8ELNS1_3repE0EEENS1_30default_config_static_selectorELNS0_4arch9wavefront6targetE1EEEvS12_.uses_flat_scratch, 0
	.set _ZN7rocprim17ROCPRIM_400000_NS6detail17trampoline_kernelINS0_13select_configILj256ELj13ELNS0_17block_load_methodE3ELS4_3ELS4_3ELNS0_20block_scan_algorithmE0ELj4294967295EEENS1_25partition_config_selectorILNS1_17partition_subalgoE4EjNS0_10empty_typeEbEEZZNS1_14partition_implILS8_4ELb0ES6_15HIP_vector_typeIjLj2EENS0_17counting_iteratorIjlEEPS9_SG_NS0_5tupleIJPjSI_NS0_16reverse_iteratorISI_EEEEENSH_IJSG_SG_SG_EEES9_SI_JZNS1_25segmented_radix_sort_implINS0_14default_configELb1EPKhPhPKlPlN2at6native12_GLOBAL__N_18offset_tEEE10hipError_tPvRmT1_PNSt15iterator_traitsIS12_E10value_typeET2_T3_PNS13_IS18_E10value_typeET4_jRbjT5_S1E_jjP12ihipStream_tbEUljE_ZNSN_ISO_Lb1ESQ_SR_ST_SU_SY_EESZ_S10_S11_S12_S16_S17_S18_S1B_S1C_jS1D_jS1E_S1E_jjS1G_bEUljE0_EEESZ_S10_S11_S18_S1C_S1E_T6_T7_T9_mT8_S1G_bDpT10_ENKUlT_T0_E_clISt17integral_constantIbLb0EES1U_EEDaS1P_S1Q_EUlS1P_E_NS1_11comp_targetILNS1_3genE4ELNS1_11target_archE910ELNS1_3gpuE8ELNS1_3repE0EEENS1_30default_config_static_selectorELNS0_4arch9wavefront6targetE1EEEvS12_.has_dyn_sized_stack, 0
	.set _ZN7rocprim17ROCPRIM_400000_NS6detail17trampoline_kernelINS0_13select_configILj256ELj13ELNS0_17block_load_methodE3ELS4_3ELS4_3ELNS0_20block_scan_algorithmE0ELj4294967295EEENS1_25partition_config_selectorILNS1_17partition_subalgoE4EjNS0_10empty_typeEbEEZZNS1_14partition_implILS8_4ELb0ES6_15HIP_vector_typeIjLj2EENS0_17counting_iteratorIjlEEPS9_SG_NS0_5tupleIJPjSI_NS0_16reverse_iteratorISI_EEEEENSH_IJSG_SG_SG_EEES9_SI_JZNS1_25segmented_radix_sort_implINS0_14default_configELb1EPKhPhPKlPlN2at6native12_GLOBAL__N_18offset_tEEE10hipError_tPvRmT1_PNSt15iterator_traitsIS12_E10value_typeET2_T3_PNS13_IS18_E10value_typeET4_jRbjT5_S1E_jjP12ihipStream_tbEUljE_ZNSN_ISO_Lb1ESQ_SR_ST_SU_SY_EESZ_S10_S11_S12_S16_S17_S18_S1B_S1C_jS1D_jS1E_S1E_jjS1G_bEUljE0_EEESZ_S10_S11_S18_S1C_S1E_T6_T7_T9_mT8_S1G_bDpT10_ENKUlT_T0_E_clISt17integral_constantIbLb0EES1U_EEDaS1P_S1Q_EUlS1P_E_NS1_11comp_targetILNS1_3genE4ELNS1_11target_archE910ELNS1_3gpuE8ELNS1_3repE0EEENS1_30default_config_static_selectorELNS0_4arch9wavefront6targetE1EEEvS12_.has_recursion, 0
	.set _ZN7rocprim17ROCPRIM_400000_NS6detail17trampoline_kernelINS0_13select_configILj256ELj13ELNS0_17block_load_methodE3ELS4_3ELS4_3ELNS0_20block_scan_algorithmE0ELj4294967295EEENS1_25partition_config_selectorILNS1_17partition_subalgoE4EjNS0_10empty_typeEbEEZZNS1_14partition_implILS8_4ELb0ES6_15HIP_vector_typeIjLj2EENS0_17counting_iteratorIjlEEPS9_SG_NS0_5tupleIJPjSI_NS0_16reverse_iteratorISI_EEEEENSH_IJSG_SG_SG_EEES9_SI_JZNS1_25segmented_radix_sort_implINS0_14default_configELb1EPKhPhPKlPlN2at6native12_GLOBAL__N_18offset_tEEE10hipError_tPvRmT1_PNSt15iterator_traitsIS12_E10value_typeET2_T3_PNS13_IS18_E10value_typeET4_jRbjT5_S1E_jjP12ihipStream_tbEUljE_ZNSN_ISO_Lb1ESQ_SR_ST_SU_SY_EESZ_S10_S11_S12_S16_S17_S18_S1B_S1C_jS1D_jS1E_S1E_jjS1G_bEUljE0_EEESZ_S10_S11_S18_S1C_S1E_T6_T7_T9_mT8_S1G_bDpT10_ENKUlT_T0_E_clISt17integral_constantIbLb0EES1U_EEDaS1P_S1Q_EUlS1P_E_NS1_11comp_targetILNS1_3genE4ELNS1_11target_archE910ELNS1_3gpuE8ELNS1_3repE0EEENS1_30default_config_static_selectorELNS0_4arch9wavefront6targetE1EEEvS12_.has_indirect_call, 0
	.section	.AMDGPU.csdata,"",@progbits
; Kernel info:
; codeLenInByte = 0
; TotalNumSgprs: 4
; NumVgprs: 0
; ScratchSize: 0
; MemoryBound: 0
; FloatMode: 240
; IeeeMode: 1
; LDSByteSize: 0 bytes/workgroup (compile time only)
; SGPRBlocks: 0
; VGPRBlocks: 0
; NumSGPRsForWavesPerEU: 4
; NumVGPRsForWavesPerEU: 1
; Occupancy: 10
; WaveLimiterHint : 0
; COMPUTE_PGM_RSRC2:SCRATCH_EN: 0
; COMPUTE_PGM_RSRC2:USER_SGPR: 6
; COMPUTE_PGM_RSRC2:TRAP_HANDLER: 0
; COMPUTE_PGM_RSRC2:TGID_X_EN: 1
; COMPUTE_PGM_RSRC2:TGID_Y_EN: 0
; COMPUTE_PGM_RSRC2:TGID_Z_EN: 0
; COMPUTE_PGM_RSRC2:TIDIG_COMP_CNT: 0
	.section	.text._ZN7rocprim17ROCPRIM_400000_NS6detail17trampoline_kernelINS0_13select_configILj256ELj13ELNS0_17block_load_methodE3ELS4_3ELS4_3ELNS0_20block_scan_algorithmE0ELj4294967295EEENS1_25partition_config_selectorILNS1_17partition_subalgoE4EjNS0_10empty_typeEbEEZZNS1_14partition_implILS8_4ELb0ES6_15HIP_vector_typeIjLj2EENS0_17counting_iteratorIjlEEPS9_SG_NS0_5tupleIJPjSI_NS0_16reverse_iteratorISI_EEEEENSH_IJSG_SG_SG_EEES9_SI_JZNS1_25segmented_radix_sort_implINS0_14default_configELb1EPKhPhPKlPlN2at6native12_GLOBAL__N_18offset_tEEE10hipError_tPvRmT1_PNSt15iterator_traitsIS12_E10value_typeET2_T3_PNS13_IS18_E10value_typeET4_jRbjT5_S1E_jjP12ihipStream_tbEUljE_ZNSN_ISO_Lb1ESQ_SR_ST_SU_SY_EESZ_S10_S11_S12_S16_S17_S18_S1B_S1C_jS1D_jS1E_S1E_jjS1G_bEUljE0_EEESZ_S10_S11_S18_S1C_S1E_T6_T7_T9_mT8_S1G_bDpT10_ENKUlT_T0_E_clISt17integral_constantIbLb0EES1U_EEDaS1P_S1Q_EUlS1P_E_NS1_11comp_targetILNS1_3genE3ELNS1_11target_archE908ELNS1_3gpuE7ELNS1_3repE0EEENS1_30default_config_static_selectorELNS0_4arch9wavefront6targetE1EEEvS12_,"axG",@progbits,_ZN7rocprim17ROCPRIM_400000_NS6detail17trampoline_kernelINS0_13select_configILj256ELj13ELNS0_17block_load_methodE3ELS4_3ELS4_3ELNS0_20block_scan_algorithmE0ELj4294967295EEENS1_25partition_config_selectorILNS1_17partition_subalgoE4EjNS0_10empty_typeEbEEZZNS1_14partition_implILS8_4ELb0ES6_15HIP_vector_typeIjLj2EENS0_17counting_iteratorIjlEEPS9_SG_NS0_5tupleIJPjSI_NS0_16reverse_iteratorISI_EEEEENSH_IJSG_SG_SG_EEES9_SI_JZNS1_25segmented_radix_sort_implINS0_14default_configELb1EPKhPhPKlPlN2at6native12_GLOBAL__N_18offset_tEEE10hipError_tPvRmT1_PNSt15iterator_traitsIS12_E10value_typeET2_T3_PNS13_IS18_E10value_typeET4_jRbjT5_S1E_jjP12ihipStream_tbEUljE_ZNSN_ISO_Lb1ESQ_SR_ST_SU_SY_EESZ_S10_S11_S12_S16_S17_S18_S1B_S1C_jS1D_jS1E_S1E_jjS1G_bEUljE0_EEESZ_S10_S11_S18_S1C_S1E_T6_T7_T9_mT8_S1G_bDpT10_ENKUlT_T0_E_clISt17integral_constantIbLb0EES1U_EEDaS1P_S1Q_EUlS1P_E_NS1_11comp_targetILNS1_3genE3ELNS1_11target_archE908ELNS1_3gpuE7ELNS1_3repE0EEENS1_30default_config_static_selectorELNS0_4arch9wavefront6targetE1EEEvS12_,comdat
	.globl	_ZN7rocprim17ROCPRIM_400000_NS6detail17trampoline_kernelINS0_13select_configILj256ELj13ELNS0_17block_load_methodE3ELS4_3ELS4_3ELNS0_20block_scan_algorithmE0ELj4294967295EEENS1_25partition_config_selectorILNS1_17partition_subalgoE4EjNS0_10empty_typeEbEEZZNS1_14partition_implILS8_4ELb0ES6_15HIP_vector_typeIjLj2EENS0_17counting_iteratorIjlEEPS9_SG_NS0_5tupleIJPjSI_NS0_16reverse_iteratorISI_EEEEENSH_IJSG_SG_SG_EEES9_SI_JZNS1_25segmented_radix_sort_implINS0_14default_configELb1EPKhPhPKlPlN2at6native12_GLOBAL__N_18offset_tEEE10hipError_tPvRmT1_PNSt15iterator_traitsIS12_E10value_typeET2_T3_PNS13_IS18_E10value_typeET4_jRbjT5_S1E_jjP12ihipStream_tbEUljE_ZNSN_ISO_Lb1ESQ_SR_ST_SU_SY_EESZ_S10_S11_S12_S16_S17_S18_S1B_S1C_jS1D_jS1E_S1E_jjS1G_bEUljE0_EEESZ_S10_S11_S18_S1C_S1E_T6_T7_T9_mT8_S1G_bDpT10_ENKUlT_T0_E_clISt17integral_constantIbLb0EES1U_EEDaS1P_S1Q_EUlS1P_E_NS1_11comp_targetILNS1_3genE3ELNS1_11target_archE908ELNS1_3gpuE7ELNS1_3repE0EEENS1_30default_config_static_selectorELNS0_4arch9wavefront6targetE1EEEvS12_ ; -- Begin function _ZN7rocprim17ROCPRIM_400000_NS6detail17trampoline_kernelINS0_13select_configILj256ELj13ELNS0_17block_load_methodE3ELS4_3ELS4_3ELNS0_20block_scan_algorithmE0ELj4294967295EEENS1_25partition_config_selectorILNS1_17partition_subalgoE4EjNS0_10empty_typeEbEEZZNS1_14partition_implILS8_4ELb0ES6_15HIP_vector_typeIjLj2EENS0_17counting_iteratorIjlEEPS9_SG_NS0_5tupleIJPjSI_NS0_16reverse_iteratorISI_EEEEENSH_IJSG_SG_SG_EEES9_SI_JZNS1_25segmented_radix_sort_implINS0_14default_configELb1EPKhPhPKlPlN2at6native12_GLOBAL__N_18offset_tEEE10hipError_tPvRmT1_PNSt15iterator_traitsIS12_E10value_typeET2_T3_PNS13_IS18_E10value_typeET4_jRbjT5_S1E_jjP12ihipStream_tbEUljE_ZNSN_ISO_Lb1ESQ_SR_ST_SU_SY_EESZ_S10_S11_S12_S16_S17_S18_S1B_S1C_jS1D_jS1E_S1E_jjS1G_bEUljE0_EEESZ_S10_S11_S18_S1C_S1E_T6_T7_T9_mT8_S1G_bDpT10_ENKUlT_T0_E_clISt17integral_constantIbLb0EES1U_EEDaS1P_S1Q_EUlS1P_E_NS1_11comp_targetILNS1_3genE3ELNS1_11target_archE908ELNS1_3gpuE7ELNS1_3repE0EEENS1_30default_config_static_selectorELNS0_4arch9wavefront6targetE1EEEvS12_
	.p2align	8
	.type	_ZN7rocprim17ROCPRIM_400000_NS6detail17trampoline_kernelINS0_13select_configILj256ELj13ELNS0_17block_load_methodE3ELS4_3ELS4_3ELNS0_20block_scan_algorithmE0ELj4294967295EEENS1_25partition_config_selectorILNS1_17partition_subalgoE4EjNS0_10empty_typeEbEEZZNS1_14partition_implILS8_4ELb0ES6_15HIP_vector_typeIjLj2EENS0_17counting_iteratorIjlEEPS9_SG_NS0_5tupleIJPjSI_NS0_16reverse_iteratorISI_EEEEENSH_IJSG_SG_SG_EEES9_SI_JZNS1_25segmented_radix_sort_implINS0_14default_configELb1EPKhPhPKlPlN2at6native12_GLOBAL__N_18offset_tEEE10hipError_tPvRmT1_PNSt15iterator_traitsIS12_E10value_typeET2_T3_PNS13_IS18_E10value_typeET4_jRbjT5_S1E_jjP12ihipStream_tbEUljE_ZNSN_ISO_Lb1ESQ_SR_ST_SU_SY_EESZ_S10_S11_S12_S16_S17_S18_S1B_S1C_jS1D_jS1E_S1E_jjS1G_bEUljE0_EEESZ_S10_S11_S18_S1C_S1E_T6_T7_T9_mT8_S1G_bDpT10_ENKUlT_T0_E_clISt17integral_constantIbLb0EES1U_EEDaS1P_S1Q_EUlS1P_E_NS1_11comp_targetILNS1_3genE3ELNS1_11target_archE908ELNS1_3gpuE7ELNS1_3repE0EEENS1_30default_config_static_selectorELNS0_4arch9wavefront6targetE1EEEvS12_,@function
_ZN7rocprim17ROCPRIM_400000_NS6detail17trampoline_kernelINS0_13select_configILj256ELj13ELNS0_17block_load_methodE3ELS4_3ELS4_3ELNS0_20block_scan_algorithmE0ELj4294967295EEENS1_25partition_config_selectorILNS1_17partition_subalgoE4EjNS0_10empty_typeEbEEZZNS1_14partition_implILS8_4ELb0ES6_15HIP_vector_typeIjLj2EENS0_17counting_iteratorIjlEEPS9_SG_NS0_5tupleIJPjSI_NS0_16reverse_iteratorISI_EEEEENSH_IJSG_SG_SG_EEES9_SI_JZNS1_25segmented_radix_sort_implINS0_14default_configELb1EPKhPhPKlPlN2at6native12_GLOBAL__N_18offset_tEEE10hipError_tPvRmT1_PNSt15iterator_traitsIS12_E10value_typeET2_T3_PNS13_IS18_E10value_typeET4_jRbjT5_S1E_jjP12ihipStream_tbEUljE_ZNSN_ISO_Lb1ESQ_SR_ST_SU_SY_EESZ_S10_S11_S12_S16_S17_S18_S1B_S1C_jS1D_jS1E_S1E_jjS1G_bEUljE0_EEESZ_S10_S11_S18_S1C_S1E_T6_T7_T9_mT8_S1G_bDpT10_ENKUlT_T0_E_clISt17integral_constantIbLb0EES1U_EEDaS1P_S1Q_EUlS1P_E_NS1_11comp_targetILNS1_3genE3ELNS1_11target_archE908ELNS1_3gpuE7ELNS1_3repE0EEENS1_30default_config_static_selectorELNS0_4arch9wavefront6targetE1EEEvS12_: ; @_ZN7rocprim17ROCPRIM_400000_NS6detail17trampoline_kernelINS0_13select_configILj256ELj13ELNS0_17block_load_methodE3ELS4_3ELS4_3ELNS0_20block_scan_algorithmE0ELj4294967295EEENS1_25partition_config_selectorILNS1_17partition_subalgoE4EjNS0_10empty_typeEbEEZZNS1_14partition_implILS8_4ELb0ES6_15HIP_vector_typeIjLj2EENS0_17counting_iteratorIjlEEPS9_SG_NS0_5tupleIJPjSI_NS0_16reverse_iteratorISI_EEEEENSH_IJSG_SG_SG_EEES9_SI_JZNS1_25segmented_radix_sort_implINS0_14default_configELb1EPKhPhPKlPlN2at6native12_GLOBAL__N_18offset_tEEE10hipError_tPvRmT1_PNSt15iterator_traitsIS12_E10value_typeET2_T3_PNS13_IS18_E10value_typeET4_jRbjT5_S1E_jjP12ihipStream_tbEUljE_ZNSN_ISO_Lb1ESQ_SR_ST_SU_SY_EESZ_S10_S11_S12_S16_S17_S18_S1B_S1C_jS1D_jS1E_S1E_jjS1G_bEUljE0_EEESZ_S10_S11_S18_S1C_S1E_T6_T7_T9_mT8_S1G_bDpT10_ENKUlT_T0_E_clISt17integral_constantIbLb0EES1U_EEDaS1P_S1Q_EUlS1P_E_NS1_11comp_targetILNS1_3genE3ELNS1_11target_archE908ELNS1_3gpuE7ELNS1_3repE0EEENS1_30default_config_static_selectorELNS0_4arch9wavefront6targetE1EEEvS12_
; %bb.0:
	.section	.rodata,"a",@progbits
	.p2align	6, 0x0
	.amdhsa_kernel _ZN7rocprim17ROCPRIM_400000_NS6detail17trampoline_kernelINS0_13select_configILj256ELj13ELNS0_17block_load_methodE3ELS4_3ELS4_3ELNS0_20block_scan_algorithmE0ELj4294967295EEENS1_25partition_config_selectorILNS1_17partition_subalgoE4EjNS0_10empty_typeEbEEZZNS1_14partition_implILS8_4ELb0ES6_15HIP_vector_typeIjLj2EENS0_17counting_iteratorIjlEEPS9_SG_NS0_5tupleIJPjSI_NS0_16reverse_iteratorISI_EEEEENSH_IJSG_SG_SG_EEES9_SI_JZNS1_25segmented_radix_sort_implINS0_14default_configELb1EPKhPhPKlPlN2at6native12_GLOBAL__N_18offset_tEEE10hipError_tPvRmT1_PNSt15iterator_traitsIS12_E10value_typeET2_T3_PNS13_IS18_E10value_typeET4_jRbjT5_S1E_jjP12ihipStream_tbEUljE_ZNSN_ISO_Lb1ESQ_SR_ST_SU_SY_EESZ_S10_S11_S12_S16_S17_S18_S1B_S1C_jS1D_jS1E_S1E_jjS1G_bEUljE0_EEESZ_S10_S11_S18_S1C_S1E_T6_T7_T9_mT8_S1G_bDpT10_ENKUlT_T0_E_clISt17integral_constantIbLb0EES1U_EEDaS1P_S1Q_EUlS1P_E_NS1_11comp_targetILNS1_3genE3ELNS1_11target_archE908ELNS1_3gpuE7ELNS1_3repE0EEENS1_30default_config_static_selectorELNS0_4arch9wavefront6targetE1EEEvS12_
		.amdhsa_group_segment_fixed_size 0
		.amdhsa_private_segment_fixed_size 0
		.amdhsa_kernarg_size 176
		.amdhsa_user_sgpr_count 6
		.amdhsa_user_sgpr_private_segment_buffer 1
		.amdhsa_user_sgpr_dispatch_ptr 0
		.amdhsa_user_sgpr_queue_ptr 0
		.amdhsa_user_sgpr_kernarg_segment_ptr 1
		.amdhsa_user_sgpr_dispatch_id 0
		.amdhsa_user_sgpr_flat_scratch_init 0
		.amdhsa_user_sgpr_private_segment_size 0
		.amdhsa_uses_dynamic_stack 0
		.amdhsa_system_sgpr_private_segment_wavefront_offset 0
		.amdhsa_system_sgpr_workgroup_id_x 1
		.amdhsa_system_sgpr_workgroup_id_y 0
		.amdhsa_system_sgpr_workgroup_id_z 0
		.amdhsa_system_sgpr_workgroup_info 0
		.amdhsa_system_vgpr_workitem_id 0
		.amdhsa_next_free_vgpr 1
		.amdhsa_next_free_sgpr 0
		.amdhsa_reserve_vcc 0
		.amdhsa_reserve_flat_scratch 0
		.amdhsa_float_round_mode_32 0
		.amdhsa_float_round_mode_16_64 0
		.amdhsa_float_denorm_mode_32 3
		.amdhsa_float_denorm_mode_16_64 3
		.amdhsa_dx10_clamp 1
		.amdhsa_ieee_mode 1
		.amdhsa_fp16_overflow 0
		.amdhsa_exception_fp_ieee_invalid_op 0
		.amdhsa_exception_fp_denorm_src 0
		.amdhsa_exception_fp_ieee_div_zero 0
		.amdhsa_exception_fp_ieee_overflow 0
		.amdhsa_exception_fp_ieee_underflow 0
		.amdhsa_exception_fp_ieee_inexact 0
		.amdhsa_exception_int_div_zero 0
	.end_amdhsa_kernel
	.section	.text._ZN7rocprim17ROCPRIM_400000_NS6detail17trampoline_kernelINS0_13select_configILj256ELj13ELNS0_17block_load_methodE3ELS4_3ELS4_3ELNS0_20block_scan_algorithmE0ELj4294967295EEENS1_25partition_config_selectorILNS1_17partition_subalgoE4EjNS0_10empty_typeEbEEZZNS1_14partition_implILS8_4ELb0ES6_15HIP_vector_typeIjLj2EENS0_17counting_iteratorIjlEEPS9_SG_NS0_5tupleIJPjSI_NS0_16reverse_iteratorISI_EEEEENSH_IJSG_SG_SG_EEES9_SI_JZNS1_25segmented_radix_sort_implINS0_14default_configELb1EPKhPhPKlPlN2at6native12_GLOBAL__N_18offset_tEEE10hipError_tPvRmT1_PNSt15iterator_traitsIS12_E10value_typeET2_T3_PNS13_IS18_E10value_typeET4_jRbjT5_S1E_jjP12ihipStream_tbEUljE_ZNSN_ISO_Lb1ESQ_SR_ST_SU_SY_EESZ_S10_S11_S12_S16_S17_S18_S1B_S1C_jS1D_jS1E_S1E_jjS1G_bEUljE0_EEESZ_S10_S11_S18_S1C_S1E_T6_T7_T9_mT8_S1G_bDpT10_ENKUlT_T0_E_clISt17integral_constantIbLb0EES1U_EEDaS1P_S1Q_EUlS1P_E_NS1_11comp_targetILNS1_3genE3ELNS1_11target_archE908ELNS1_3gpuE7ELNS1_3repE0EEENS1_30default_config_static_selectorELNS0_4arch9wavefront6targetE1EEEvS12_,"axG",@progbits,_ZN7rocprim17ROCPRIM_400000_NS6detail17trampoline_kernelINS0_13select_configILj256ELj13ELNS0_17block_load_methodE3ELS4_3ELS4_3ELNS0_20block_scan_algorithmE0ELj4294967295EEENS1_25partition_config_selectorILNS1_17partition_subalgoE4EjNS0_10empty_typeEbEEZZNS1_14partition_implILS8_4ELb0ES6_15HIP_vector_typeIjLj2EENS0_17counting_iteratorIjlEEPS9_SG_NS0_5tupleIJPjSI_NS0_16reverse_iteratorISI_EEEEENSH_IJSG_SG_SG_EEES9_SI_JZNS1_25segmented_radix_sort_implINS0_14default_configELb1EPKhPhPKlPlN2at6native12_GLOBAL__N_18offset_tEEE10hipError_tPvRmT1_PNSt15iterator_traitsIS12_E10value_typeET2_T3_PNS13_IS18_E10value_typeET4_jRbjT5_S1E_jjP12ihipStream_tbEUljE_ZNSN_ISO_Lb1ESQ_SR_ST_SU_SY_EESZ_S10_S11_S12_S16_S17_S18_S1B_S1C_jS1D_jS1E_S1E_jjS1G_bEUljE0_EEESZ_S10_S11_S18_S1C_S1E_T6_T7_T9_mT8_S1G_bDpT10_ENKUlT_T0_E_clISt17integral_constantIbLb0EES1U_EEDaS1P_S1Q_EUlS1P_E_NS1_11comp_targetILNS1_3genE3ELNS1_11target_archE908ELNS1_3gpuE7ELNS1_3repE0EEENS1_30default_config_static_selectorELNS0_4arch9wavefront6targetE1EEEvS12_,comdat
.Lfunc_end7:
	.size	_ZN7rocprim17ROCPRIM_400000_NS6detail17trampoline_kernelINS0_13select_configILj256ELj13ELNS0_17block_load_methodE3ELS4_3ELS4_3ELNS0_20block_scan_algorithmE0ELj4294967295EEENS1_25partition_config_selectorILNS1_17partition_subalgoE4EjNS0_10empty_typeEbEEZZNS1_14partition_implILS8_4ELb0ES6_15HIP_vector_typeIjLj2EENS0_17counting_iteratorIjlEEPS9_SG_NS0_5tupleIJPjSI_NS0_16reverse_iteratorISI_EEEEENSH_IJSG_SG_SG_EEES9_SI_JZNS1_25segmented_radix_sort_implINS0_14default_configELb1EPKhPhPKlPlN2at6native12_GLOBAL__N_18offset_tEEE10hipError_tPvRmT1_PNSt15iterator_traitsIS12_E10value_typeET2_T3_PNS13_IS18_E10value_typeET4_jRbjT5_S1E_jjP12ihipStream_tbEUljE_ZNSN_ISO_Lb1ESQ_SR_ST_SU_SY_EESZ_S10_S11_S12_S16_S17_S18_S1B_S1C_jS1D_jS1E_S1E_jjS1G_bEUljE0_EEESZ_S10_S11_S18_S1C_S1E_T6_T7_T9_mT8_S1G_bDpT10_ENKUlT_T0_E_clISt17integral_constantIbLb0EES1U_EEDaS1P_S1Q_EUlS1P_E_NS1_11comp_targetILNS1_3genE3ELNS1_11target_archE908ELNS1_3gpuE7ELNS1_3repE0EEENS1_30default_config_static_selectorELNS0_4arch9wavefront6targetE1EEEvS12_, .Lfunc_end7-_ZN7rocprim17ROCPRIM_400000_NS6detail17trampoline_kernelINS0_13select_configILj256ELj13ELNS0_17block_load_methodE3ELS4_3ELS4_3ELNS0_20block_scan_algorithmE0ELj4294967295EEENS1_25partition_config_selectorILNS1_17partition_subalgoE4EjNS0_10empty_typeEbEEZZNS1_14partition_implILS8_4ELb0ES6_15HIP_vector_typeIjLj2EENS0_17counting_iteratorIjlEEPS9_SG_NS0_5tupleIJPjSI_NS0_16reverse_iteratorISI_EEEEENSH_IJSG_SG_SG_EEES9_SI_JZNS1_25segmented_radix_sort_implINS0_14default_configELb1EPKhPhPKlPlN2at6native12_GLOBAL__N_18offset_tEEE10hipError_tPvRmT1_PNSt15iterator_traitsIS12_E10value_typeET2_T3_PNS13_IS18_E10value_typeET4_jRbjT5_S1E_jjP12ihipStream_tbEUljE_ZNSN_ISO_Lb1ESQ_SR_ST_SU_SY_EESZ_S10_S11_S12_S16_S17_S18_S1B_S1C_jS1D_jS1E_S1E_jjS1G_bEUljE0_EEESZ_S10_S11_S18_S1C_S1E_T6_T7_T9_mT8_S1G_bDpT10_ENKUlT_T0_E_clISt17integral_constantIbLb0EES1U_EEDaS1P_S1Q_EUlS1P_E_NS1_11comp_targetILNS1_3genE3ELNS1_11target_archE908ELNS1_3gpuE7ELNS1_3repE0EEENS1_30default_config_static_selectorELNS0_4arch9wavefront6targetE1EEEvS12_
                                        ; -- End function
	.set _ZN7rocprim17ROCPRIM_400000_NS6detail17trampoline_kernelINS0_13select_configILj256ELj13ELNS0_17block_load_methodE3ELS4_3ELS4_3ELNS0_20block_scan_algorithmE0ELj4294967295EEENS1_25partition_config_selectorILNS1_17partition_subalgoE4EjNS0_10empty_typeEbEEZZNS1_14partition_implILS8_4ELb0ES6_15HIP_vector_typeIjLj2EENS0_17counting_iteratorIjlEEPS9_SG_NS0_5tupleIJPjSI_NS0_16reverse_iteratorISI_EEEEENSH_IJSG_SG_SG_EEES9_SI_JZNS1_25segmented_radix_sort_implINS0_14default_configELb1EPKhPhPKlPlN2at6native12_GLOBAL__N_18offset_tEEE10hipError_tPvRmT1_PNSt15iterator_traitsIS12_E10value_typeET2_T3_PNS13_IS18_E10value_typeET4_jRbjT5_S1E_jjP12ihipStream_tbEUljE_ZNSN_ISO_Lb1ESQ_SR_ST_SU_SY_EESZ_S10_S11_S12_S16_S17_S18_S1B_S1C_jS1D_jS1E_S1E_jjS1G_bEUljE0_EEESZ_S10_S11_S18_S1C_S1E_T6_T7_T9_mT8_S1G_bDpT10_ENKUlT_T0_E_clISt17integral_constantIbLb0EES1U_EEDaS1P_S1Q_EUlS1P_E_NS1_11comp_targetILNS1_3genE3ELNS1_11target_archE908ELNS1_3gpuE7ELNS1_3repE0EEENS1_30default_config_static_selectorELNS0_4arch9wavefront6targetE1EEEvS12_.num_vgpr, 0
	.set _ZN7rocprim17ROCPRIM_400000_NS6detail17trampoline_kernelINS0_13select_configILj256ELj13ELNS0_17block_load_methodE3ELS4_3ELS4_3ELNS0_20block_scan_algorithmE0ELj4294967295EEENS1_25partition_config_selectorILNS1_17partition_subalgoE4EjNS0_10empty_typeEbEEZZNS1_14partition_implILS8_4ELb0ES6_15HIP_vector_typeIjLj2EENS0_17counting_iteratorIjlEEPS9_SG_NS0_5tupleIJPjSI_NS0_16reverse_iteratorISI_EEEEENSH_IJSG_SG_SG_EEES9_SI_JZNS1_25segmented_radix_sort_implINS0_14default_configELb1EPKhPhPKlPlN2at6native12_GLOBAL__N_18offset_tEEE10hipError_tPvRmT1_PNSt15iterator_traitsIS12_E10value_typeET2_T3_PNS13_IS18_E10value_typeET4_jRbjT5_S1E_jjP12ihipStream_tbEUljE_ZNSN_ISO_Lb1ESQ_SR_ST_SU_SY_EESZ_S10_S11_S12_S16_S17_S18_S1B_S1C_jS1D_jS1E_S1E_jjS1G_bEUljE0_EEESZ_S10_S11_S18_S1C_S1E_T6_T7_T9_mT8_S1G_bDpT10_ENKUlT_T0_E_clISt17integral_constantIbLb0EES1U_EEDaS1P_S1Q_EUlS1P_E_NS1_11comp_targetILNS1_3genE3ELNS1_11target_archE908ELNS1_3gpuE7ELNS1_3repE0EEENS1_30default_config_static_selectorELNS0_4arch9wavefront6targetE1EEEvS12_.num_agpr, 0
	.set _ZN7rocprim17ROCPRIM_400000_NS6detail17trampoline_kernelINS0_13select_configILj256ELj13ELNS0_17block_load_methodE3ELS4_3ELS4_3ELNS0_20block_scan_algorithmE0ELj4294967295EEENS1_25partition_config_selectorILNS1_17partition_subalgoE4EjNS0_10empty_typeEbEEZZNS1_14partition_implILS8_4ELb0ES6_15HIP_vector_typeIjLj2EENS0_17counting_iteratorIjlEEPS9_SG_NS0_5tupleIJPjSI_NS0_16reverse_iteratorISI_EEEEENSH_IJSG_SG_SG_EEES9_SI_JZNS1_25segmented_radix_sort_implINS0_14default_configELb1EPKhPhPKlPlN2at6native12_GLOBAL__N_18offset_tEEE10hipError_tPvRmT1_PNSt15iterator_traitsIS12_E10value_typeET2_T3_PNS13_IS18_E10value_typeET4_jRbjT5_S1E_jjP12ihipStream_tbEUljE_ZNSN_ISO_Lb1ESQ_SR_ST_SU_SY_EESZ_S10_S11_S12_S16_S17_S18_S1B_S1C_jS1D_jS1E_S1E_jjS1G_bEUljE0_EEESZ_S10_S11_S18_S1C_S1E_T6_T7_T9_mT8_S1G_bDpT10_ENKUlT_T0_E_clISt17integral_constantIbLb0EES1U_EEDaS1P_S1Q_EUlS1P_E_NS1_11comp_targetILNS1_3genE3ELNS1_11target_archE908ELNS1_3gpuE7ELNS1_3repE0EEENS1_30default_config_static_selectorELNS0_4arch9wavefront6targetE1EEEvS12_.numbered_sgpr, 0
	.set _ZN7rocprim17ROCPRIM_400000_NS6detail17trampoline_kernelINS0_13select_configILj256ELj13ELNS0_17block_load_methodE3ELS4_3ELS4_3ELNS0_20block_scan_algorithmE0ELj4294967295EEENS1_25partition_config_selectorILNS1_17partition_subalgoE4EjNS0_10empty_typeEbEEZZNS1_14partition_implILS8_4ELb0ES6_15HIP_vector_typeIjLj2EENS0_17counting_iteratorIjlEEPS9_SG_NS0_5tupleIJPjSI_NS0_16reverse_iteratorISI_EEEEENSH_IJSG_SG_SG_EEES9_SI_JZNS1_25segmented_radix_sort_implINS0_14default_configELb1EPKhPhPKlPlN2at6native12_GLOBAL__N_18offset_tEEE10hipError_tPvRmT1_PNSt15iterator_traitsIS12_E10value_typeET2_T3_PNS13_IS18_E10value_typeET4_jRbjT5_S1E_jjP12ihipStream_tbEUljE_ZNSN_ISO_Lb1ESQ_SR_ST_SU_SY_EESZ_S10_S11_S12_S16_S17_S18_S1B_S1C_jS1D_jS1E_S1E_jjS1G_bEUljE0_EEESZ_S10_S11_S18_S1C_S1E_T6_T7_T9_mT8_S1G_bDpT10_ENKUlT_T0_E_clISt17integral_constantIbLb0EES1U_EEDaS1P_S1Q_EUlS1P_E_NS1_11comp_targetILNS1_3genE3ELNS1_11target_archE908ELNS1_3gpuE7ELNS1_3repE0EEENS1_30default_config_static_selectorELNS0_4arch9wavefront6targetE1EEEvS12_.num_named_barrier, 0
	.set _ZN7rocprim17ROCPRIM_400000_NS6detail17trampoline_kernelINS0_13select_configILj256ELj13ELNS0_17block_load_methodE3ELS4_3ELS4_3ELNS0_20block_scan_algorithmE0ELj4294967295EEENS1_25partition_config_selectorILNS1_17partition_subalgoE4EjNS0_10empty_typeEbEEZZNS1_14partition_implILS8_4ELb0ES6_15HIP_vector_typeIjLj2EENS0_17counting_iteratorIjlEEPS9_SG_NS0_5tupleIJPjSI_NS0_16reverse_iteratorISI_EEEEENSH_IJSG_SG_SG_EEES9_SI_JZNS1_25segmented_radix_sort_implINS0_14default_configELb1EPKhPhPKlPlN2at6native12_GLOBAL__N_18offset_tEEE10hipError_tPvRmT1_PNSt15iterator_traitsIS12_E10value_typeET2_T3_PNS13_IS18_E10value_typeET4_jRbjT5_S1E_jjP12ihipStream_tbEUljE_ZNSN_ISO_Lb1ESQ_SR_ST_SU_SY_EESZ_S10_S11_S12_S16_S17_S18_S1B_S1C_jS1D_jS1E_S1E_jjS1G_bEUljE0_EEESZ_S10_S11_S18_S1C_S1E_T6_T7_T9_mT8_S1G_bDpT10_ENKUlT_T0_E_clISt17integral_constantIbLb0EES1U_EEDaS1P_S1Q_EUlS1P_E_NS1_11comp_targetILNS1_3genE3ELNS1_11target_archE908ELNS1_3gpuE7ELNS1_3repE0EEENS1_30default_config_static_selectorELNS0_4arch9wavefront6targetE1EEEvS12_.private_seg_size, 0
	.set _ZN7rocprim17ROCPRIM_400000_NS6detail17trampoline_kernelINS0_13select_configILj256ELj13ELNS0_17block_load_methodE3ELS4_3ELS4_3ELNS0_20block_scan_algorithmE0ELj4294967295EEENS1_25partition_config_selectorILNS1_17partition_subalgoE4EjNS0_10empty_typeEbEEZZNS1_14partition_implILS8_4ELb0ES6_15HIP_vector_typeIjLj2EENS0_17counting_iteratorIjlEEPS9_SG_NS0_5tupleIJPjSI_NS0_16reverse_iteratorISI_EEEEENSH_IJSG_SG_SG_EEES9_SI_JZNS1_25segmented_radix_sort_implINS0_14default_configELb1EPKhPhPKlPlN2at6native12_GLOBAL__N_18offset_tEEE10hipError_tPvRmT1_PNSt15iterator_traitsIS12_E10value_typeET2_T3_PNS13_IS18_E10value_typeET4_jRbjT5_S1E_jjP12ihipStream_tbEUljE_ZNSN_ISO_Lb1ESQ_SR_ST_SU_SY_EESZ_S10_S11_S12_S16_S17_S18_S1B_S1C_jS1D_jS1E_S1E_jjS1G_bEUljE0_EEESZ_S10_S11_S18_S1C_S1E_T6_T7_T9_mT8_S1G_bDpT10_ENKUlT_T0_E_clISt17integral_constantIbLb0EES1U_EEDaS1P_S1Q_EUlS1P_E_NS1_11comp_targetILNS1_3genE3ELNS1_11target_archE908ELNS1_3gpuE7ELNS1_3repE0EEENS1_30default_config_static_selectorELNS0_4arch9wavefront6targetE1EEEvS12_.uses_vcc, 0
	.set _ZN7rocprim17ROCPRIM_400000_NS6detail17trampoline_kernelINS0_13select_configILj256ELj13ELNS0_17block_load_methodE3ELS4_3ELS4_3ELNS0_20block_scan_algorithmE0ELj4294967295EEENS1_25partition_config_selectorILNS1_17partition_subalgoE4EjNS0_10empty_typeEbEEZZNS1_14partition_implILS8_4ELb0ES6_15HIP_vector_typeIjLj2EENS0_17counting_iteratorIjlEEPS9_SG_NS0_5tupleIJPjSI_NS0_16reverse_iteratorISI_EEEEENSH_IJSG_SG_SG_EEES9_SI_JZNS1_25segmented_radix_sort_implINS0_14default_configELb1EPKhPhPKlPlN2at6native12_GLOBAL__N_18offset_tEEE10hipError_tPvRmT1_PNSt15iterator_traitsIS12_E10value_typeET2_T3_PNS13_IS18_E10value_typeET4_jRbjT5_S1E_jjP12ihipStream_tbEUljE_ZNSN_ISO_Lb1ESQ_SR_ST_SU_SY_EESZ_S10_S11_S12_S16_S17_S18_S1B_S1C_jS1D_jS1E_S1E_jjS1G_bEUljE0_EEESZ_S10_S11_S18_S1C_S1E_T6_T7_T9_mT8_S1G_bDpT10_ENKUlT_T0_E_clISt17integral_constantIbLb0EES1U_EEDaS1P_S1Q_EUlS1P_E_NS1_11comp_targetILNS1_3genE3ELNS1_11target_archE908ELNS1_3gpuE7ELNS1_3repE0EEENS1_30default_config_static_selectorELNS0_4arch9wavefront6targetE1EEEvS12_.uses_flat_scratch, 0
	.set _ZN7rocprim17ROCPRIM_400000_NS6detail17trampoline_kernelINS0_13select_configILj256ELj13ELNS0_17block_load_methodE3ELS4_3ELS4_3ELNS0_20block_scan_algorithmE0ELj4294967295EEENS1_25partition_config_selectorILNS1_17partition_subalgoE4EjNS0_10empty_typeEbEEZZNS1_14partition_implILS8_4ELb0ES6_15HIP_vector_typeIjLj2EENS0_17counting_iteratorIjlEEPS9_SG_NS0_5tupleIJPjSI_NS0_16reverse_iteratorISI_EEEEENSH_IJSG_SG_SG_EEES9_SI_JZNS1_25segmented_radix_sort_implINS0_14default_configELb1EPKhPhPKlPlN2at6native12_GLOBAL__N_18offset_tEEE10hipError_tPvRmT1_PNSt15iterator_traitsIS12_E10value_typeET2_T3_PNS13_IS18_E10value_typeET4_jRbjT5_S1E_jjP12ihipStream_tbEUljE_ZNSN_ISO_Lb1ESQ_SR_ST_SU_SY_EESZ_S10_S11_S12_S16_S17_S18_S1B_S1C_jS1D_jS1E_S1E_jjS1G_bEUljE0_EEESZ_S10_S11_S18_S1C_S1E_T6_T7_T9_mT8_S1G_bDpT10_ENKUlT_T0_E_clISt17integral_constantIbLb0EES1U_EEDaS1P_S1Q_EUlS1P_E_NS1_11comp_targetILNS1_3genE3ELNS1_11target_archE908ELNS1_3gpuE7ELNS1_3repE0EEENS1_30default_config_static_selectorELNS0_4arch9wavefront6targetE1EEEvS12_.has_dyn_sized_stack, 0
	.set _ZN7rocprim17ROCPRIM_400000_NS6detail17trampoline_kernelINS0_13select_configILj256ELj13ELNS0_17block_load_methodE3ELS4_3ELS4_3ELNS0_20block_scan_algorithmE0ELj4294967295EEENS1_25partition_config_selectorILNS1_17partition_subalgoE4EjNS0_10empty_typeEbEEZZNS1_14partition_implILS8_4ELb0ES6_15HIP_vector_typeIjLj2EENS0_17counting_iteratorIjlEEPS9_SG_NS0_5tupleIJPjSI_NS0_16reverse_iteratorISI_EEEEENSH_IJSG_SG_SG_EEES9_SI_JZNS1_25segmented_radix_sort_implINS0_14default_configELb1EPKhPhPKlPlN2at6native12_GLOBAL__N_18offset_tEEE10hipError_tPvRmT1_PNSt15iterator_traitsIS12_E10value_typeET2_T3_PNS13_IS18_E10value_typeET4_jRbjT5_S1E_jjP12ihipStream_tbEUljE_ZNSN_ISO_Lb1ESQ_SR_ST_SU_SY_EESZ_S10_S11_S12_S16_S17_S18_S1B_S1C_jS1D_jS1E_S1E_jjS1G_bEUljE0_EEESZ_S10_S11_S18_S1C_S1E_T6_T7_T9_mT8_S1G_bDpT10_ENKUlT_T0_E_clISt17integral_constantIbLb0EES1U_EEDaS1P_S1Q_EUlS1P_E_NS1_11comp_targetILNS1_3genE3ELNS1_11target_archE908ELNS1_3gpuE7ELNS1_3repE0EEENS1_30default_config_static_selectorELNS0_4arch9wavefront6targetE1EEEvS12_.has_recursion, 0
	.set _ZN7rocprim17ROCPRIM_400000_NS6detail17trampoline_kernelINS0_13select_configILj256ELj13ELNS0_17block_load_methodE3ELS4_3ELS4_3ELNS0_20block_scan_algorithmE0ELj4294967295EEENS1_25partition_config_selectorILNS1_17partition_subalgoE4EjNS0_10empty_typeEbEEZZNS1_14partition_implILS8_4ELb0ES6_15HIP_vector_typeIjLj2EENS0_17counting_iteratorIjlEEPS9_SG_NS0_5tupleIJPjSI_NS0_16reverse_iteratorISI_EEEEENSH_IJSG_SG_SG_EEES9_SI_JZNS1_25segmented_radix_sort_implINS0_14default_configELb1EPKhPhPKlPlN2at6native12_GLOBAL__N_18offset_tEEE10hipError_tPvRmT1_PNSt15iterator_traitsIS12_E10value_typeET2_T3_PNS13_IS18_E10value_typeET4_jRbjT5_S1E_jjP12ihipStream_tbEUljE_ZNSN_ISO_Lb1ESQ_SR_ST_SU_SY_EESZ_S10_S11_S12_S16_S17_S18_S1B_S1C_jS1D_jS1E_S1E_jjS1G_bEUljE0_EEESZ_S10_S11_S18_S1C_S1E_T6_T7_T9_mT8_S1G_bDpT10_ENKUlT_T0_E_clISt17integral_constantIbLb0EES1U_EEDaS1P_S1Q_EUlS1P_E_NS1_11comp_targetILNS1_3genE3ELNS1_11target_archE908ELNS1_3gpuE7ELNS1_3repE0EEENS1_30default_config_static_selectorELNS0_4arch9wavefront6targetE1EEEvS12_.has_indirect_call, 0
	.section	.AMDGPU.csdata,"",@progbits
; Kernel info:
; codeLenInByte = 0
; TotalNumSgprs: 4
; NumVgprs: 0
; ScratchSize: 0
; MemoryBound: 0
; FloatMode: 240
; IeeeMode: 1
; LDSByteSize: 0 bytes/workgroup (compile time only)
; SGPRBlocks: 0
; VGPRBlocks: 0
; NumSGPRsForWavesPerEU: 4
; NumVGPRsForWavesPerEU: 1
; Occupancy: 10
; WaveLimiterHint : 0
; COMPUTE_PGM_RSRC2:SCRATCH_EN: 0
; COMPUTE_PGM_RSRC2:USER_SGPR: 6
; COMPUTE_PGM_RSRC2:TRAP_HANDLER: 0
; COMPUTE_PGM_RSRC2:TGID_X_EN: 1
; COMPUTE_PGM_RSRC2:TGID_Y_EN: 0
; COMPUTE_PGM_RSRC2:TGID_Z_EN: 0
; COMPUTE_PGM_RSRC2:TIDIG_COMP_CNT: 0
	.section	.text._ZN7rocprim17ROCPRIM_400000_NS6detail17trampoline_kernelINS0_13select_configILj256ELj13ELNS0_17block_load_methodE3ELS4_3ELS4_3ELNS0_20block_scan_algorithmE0ELj4294967295EEENS1_25partition_config_selectorILNS1_17partition_subalgoE4EjNS0_10empty_typeEbEEZZNS1_14partition_implILS8_4ELb0ES6_15HIP_vector_typeIjLj2EENS0_17counting_iteratorIjlEEPS9_SG_NS0_5tupleIJPjSI_NS0_16reverse_iteratorISI_EEEEENSH_IJSG_SG_SG_EEES9_SI_JZNS1_25segmented_radix_sort_implINS0_14default_configELb1EPKhPhPKlPlN2at6native12_GLOBAL__N_18offset_tEEE10hipError_tPvRmT1_PNSt15iterator_traitsIS12_E10value_typeET2_T3_PNS13_IS18_E10value_typeET4_jRbjT5_S1E_jjP12ihipStream_tbEUljE_ZNSN_ISO_Lb1ESQ_SR_ST_SU_SY_EESZ_S10_S11_S12_S16_S17_S18_S1B_S1C_jS1D_jS1E_S1E_jjS1G_bEUljE0_EEESZ_S10_S11_S18_S1C_S1E_T6_T7_T9_mT8_S1G_bDpT10_ENKUlT_T0_E_clISt17integral_constantIbLb0EES1U_EEDaS1P_S1Q_EUlS1P_E_NS1_11comp_targetILNS1_3genE2ELNS1_11target_archE906ELNS1_3gpuE6ELNS1_3repE0EEENS1_30default_config_static_selectorELNS0_4arch9wavefront6targetE1EEEvS12_,"axG",@progbits,_ZN7rocprim17ROCPRIM_400000_NS6detail17trampoline_kernelINS0_13select_configILj256ELj13ELNS0_17block_load_methodE3ELS4_3ELS4_3ELNS0_20block_scan_algorithmE0ELj4294967295EEENS1_25partition_config_selectorILNS1_17partition_subalgoE4EjNS0_10empty_typeEbEEZZNS1_14partition_implILS8_4ELb0ES6_15HIP_vector_typeIjLj2EENS0_17counting_iteratorIjlEEPS9_SG_NS0_5tupleIJPjSI_NS0_16reverse_iteratorISI_EEEEENSH_IJSG_SG_SG_EEES9_SI_JZNS1_25segmented_radix_sort_implINS0_14default_configELb1EPKhPhPKlPlN2at6native12_GLOBAL__N_18offset_tEEE10hipError_tPvRmT1_PNSt15iterator_traitsIS12_E10value_typeET2_T3_PNS13_IS18_E10value_typeET4_jRbjT5_S1E_jjP12ihipStream_tbEUljE_ZNSN_ISO_Lb1ESQ_SR_ST_SU_SY_EESZ_S10_S11_S12_S16_S17_S18_S1B_S1C_jS1D_jS1E_S1E_jjS1G_bEUljE0_EEESZ_S10_S11_S18_S1C_S1E_T6_T7_T9_mT8_S1G_bDpT10_ENKUlT_T0_E_clISt17integral_constantIbLb0EES1U_EEDaS1P_S1Q_EUlS1P_E_NS1_11comp_targetILNS1_3genE2ELNS1_11target_archE906ELNS1_3gpuE6ELNS1_3repE0EEENS1_30default_config_static_selectorELNS0_4arch9wavefront6targetE1EEEvS12_,comdat
	.globl	_ZN7rocprim17ROCPRIM_400000_NS6detail17trampoline_kernelINS0_13select_configILj256ELj13ELNS0_17block_load_methodE3ELS4_3ELS4_3ELNS0_20block_scan_algorithmE0ELj4294967295EEENS1_25partition_config_selectorILNS1_17partition_subalgoE4EjNS0_10empty_typeEbEEZZNS1_14partition_implILS8_4ELb0ES6_15HIP_vector_typeIjLj2EENS0_17counting_iteratorIjlEEPS9_SG_NS0_5tupleIJPjSI_NS0_16reverse_iteratorISI_EEEEENSH_IJSG_SG_SG_EEES9_SI_JZNS1_25segmented_radix_sort_implINS0_14default_configELb1EPKhPhPKlPlN2at6native12_GLOBAL__N_18offset_tEEE10hipError_tPvRmT1_PNSt15iterator_traitsIS12_E10value_typeET2_T3_PNS13_IS18_E10value_typeET4_jRbjT5_S1E_jjP12ihipStream_tbEUljE_ZNSN_ISO_Lb1ESQ_SR_ST_SU_SY_EESZ_S10_S11_S12_S16_S17_S18_S1B_S1C_jS1D_jS1E_S1E_jjS1G_bEUljE0_EEESZ_S10_S11_S18_S1C_S1E_T6_T7_T9_mT8_S1G_bDpT10_ENKUlT_T0_E_clISt17integral_constantIbLb0EES1U_EEDaS1P_S1Q_EUlS1P_E_NS1_11comp_targetILNS1_3genE2ELNS1_11target_archE906ELNS1_3gpuE6ELNS1_3repE0EEENS1_30default_config_static_selectorELNS0_4arch9wavefront6targetE1EEEvS12_ ; -- Begin function _ZN7rocprim17ROCPRIM_400000_NS6detail17trampoline_kernelINS0_13select_configILj256ELj13ELNS0_17block_load_methodE3ELS4_3ELS4_3ELNS0_20block_scan_algorithmE0ELj4294967295EEENS1_25partition_config_selectorILNS1_17partition_subalgoE4EjNS0_10empty_typeEbEEZZNS1_14partition_implILS8_4ELb0ES6_15HIP_vector_typeIjLj2EENS0_17counting_iteratorIjlEEPS9_SG_NS0_5tupleIJPjSI_NS0_16reverse_iteratorISI_EEEEENSH_IJSG_SG_SG_EEES9_SI_JZNS1_25segmented_radix_sort_implINS0_14default_configELb1EPKhPhPKlPlN2at6native12_GLOBAL__N_18offset_tEEE10hipError_tPvRmT1_PNSt15iterator_traitsIS12_E10value_typeET2_T3_PNS13_IS18_E10value_typeET4_jRbjT5_S1E_jjP12ihipStream_tbEUljE_ZNSN_ISO_Lb1ESQ_SR_ST_SU_SY_EESZ_S10_S11_S12_S16_S17_S18_S1B_S1C_jS1D_jS1E_S1E_jjS1G_bEUljE0_EEESZ_S10_S11_S18_S1C_S1E_T6_T7_T9_mT8_S1G_bDpT10_ENKUlT_T0_E_clISt17integral_constantIbLb0EES1U_EEDaS1P_S1Q_EUlS1P_E_NS1_11comp_targetILNS1_3genE2ELNS1_11target_archE906ELNS1_3gpuE6ELNS1_3repE0EEENS1_30default_config_static_selectorELNS0_4arch9wavefront6targetE1EEEvS12_
	.p2align	8
	.type	_ZN7rocprim17ROCPRIM_400000_NS6detail17trampoline_kernelINS0_13select_configILj256ELj13ELNS0_17block_load_methodE3ELS4_3ELS4_3ELNS0_20block_scan_algorithmE0ELj4294967295EEENS1_25partition_config_selectorILNS1_17partition_subalgoE4EjNS0_10empty_typeEbEEZZNS1_14partition_implILS8_4ELb0ES6_15HIP_vector_typeIjLj2EENS0_17counting_iteratorIjlEEPS9_SG_NS0_5tupleIJPjSI_NS0_16reverse_iteratorISI_EEEEENSH_IJSG_SG_SG_EEES9_SI_JZNS1_25segmented_radix_sort_implINS0_14default_configELb1EPKhPhPKlPlN2at6native12_GLOBAL__N_18offset_tEEE10hipError_tPvRmT1_PNSt15iterator_traitsIS12_E10value_typeET2_T3_PNS13_IS18_E10value_typeET4_jRbjT5_S1E_jjP12ihipStream_tbEUljE_ZNSN_ISO_Lb1ESQ_SR_ST_SU_SY_EESZ_S10_S11_S12_S16_S17_S18_S1B_S1C_jS1D_jS1E_S1E_jjS1G_bEUljE0_EEESZ_S10_S11_S18_S1C_S1E_T6_T7_T9_mT8_S1G_bDpT10_ENKUlT_T0_E_clISt17integral_constantIbLb0EES1U_EEDaS1P_S1Q_EUlS1P_E_NS1_11comp_targetILNS1_3genE2ELNS1_11target_archE906ELNS1_3gpuE6ELNS1_3repE0EEENS1_30default_config_static_selectorELNS0_4arch9wavefront6targetE1EEEvS12_,@function
_ZN7rocprim17ROCPRIM_400000_NS6detail17trampoline_kernelINS0_13select_configILj256ELj13ELNS0_17block_load_methodE3ELS4_3ELS4_3ELNS0_20block_scan_algorithmE0ELj4294967295EEENS1_25partition_config_selectorILNS1_17partition_subalgoE4EjNS0_10empty_typeEbEEZZNS1_14partition_implILS8_4ELb0ES6_15HIP_vector_typeIjLj2EENS0_17counting_iteratorIjlEEPS9_SG_NS0_5tupleIJPjSI_NS0_16reverse_iteratorISI_EEEEENSH_IJSG_SG_SG_EEES9_SI_JZNS1_25segmented_radix_sort_implINS0_14default_configELb1EPKhPhPKlPlN2at6native12_GLOBAL__N_18offset_tEEE10hipError_tPvRmT1_PNSt15iterator_traitsIS12_E10value_typeET2_T3_PNS13_IS18_E10value_typeET4_jRbjT5_S1E_jjP12ihipStream_tbEUljE_ZNSN_ISO_Lb1ESQ_SR_ST_SU_SY_EESZ_S10_S11_S12_S16_S17_S18_S1B_S1C_jS1D_jS1E_S1E_jjS1G_bEUljE0_EEESZ_S10_S11_S18_S1C_S1E_T6_T7_T9_mT8_S1G_bDpT10_ENKUlT_T0_E_clISt17integral_constantIbLb0EES1U_EEDaS1P_S1Q_EUlS1P_E_NS1_11comp_targetILNS1_3genE2ELNS1_11target_archE906ELNS1_3gpuE6ELNS1_3repE0EEENS1_30default_config_static_selectorELNS0_4arch9wavefront6targetE1EEEvS12_: ; @_ZN7rocprim17ROCPRIM_400000_NS6detail17trampoline_kernelINS0_13select_configILj256ELj13ELNS0_17block_load_methodE3ELS4_3ELS4_3ELNS0_20block_scan_algorithmE0ELj4294967295EEENS1_25partition_config_selectorILNS1_17partition_subalgoE4EjNS0_10empty_typeEbEEZZNS1_14partition_implILS8_4ELb0ES6_15HIP_vector_typeIjLj2EENS0_17counting_iteratorIjlEEPS9_SG_NS0_5tupleIJPjSI_NS0_16reverse_iteratorISI_EEEEENSH_IJSG_SG_SG_EEES9_SI_JZNS1_25segmented_radix_sort_implINS0_14default_configELb1EPKhPhPKlPlN2at6native12_GLOBAL__N_18offset_tEEE10hipError_tPvRmT1_PNSt15iterator_traitsIS12_E10value_typeET2_T3_PNS13_IS18_E10value_typeET4_jRbjT5_S1E_jjP12ihipStream_tbEUljE_ZNSN_ISO_Lb1ESQ_SR_ST_SU_SY_EESZ_S10_S11_S12_S16_S17_S18_S1B_S1C_jS1D_jS1E_S1E_jjS1G_bEUljE0_EEESZ_S10_S11_S18_S1C_S1E_T6_T7_T9_mT8_S1G_bDpT10_ENKUlT_T0_E_clISt17integral_constantIbLb0EES1U_EEDaS1P_S1Q_EUlS1P_E_NS1_11comp_targetILNS1_3genE2ELNS1_11target_archE906ELNS1_3gpuE6ELNS1_3repE0EEENS1_30default_config_static_selectorELNS0_4arch9wavefront6targetE1EEEvS12_
; %bb.0:
	s_load_dwordx2 s[0:1], s[4:5], 0x68
	s_load_dwordx4 s[44:47], s[4:5], 0x58
	s_load_dword s8, s[4:5], 0x8
	s_load_dwordx2 s[56:57], s[4:5], 0x10
	s_load_dword s7, s[4:5], 0x80
	s_load_dwordx2 s[58:59], s[4:5], 0xa8
	s_load_dwordx8 s[36:43], s[4:5], 0x88
	s_waitcnt lgkmcnt(0)
	s_load_dwordx4 s[48:51], s[46:47], 0x0
	s_mul_i32 s33, s6, 0xd00
	s_add_i32 s9, s7, -1
	s_mulk_i32 s7, 0xd00
	s_add_u32 s2, s56, s7
	s_addc_u32 s3, s57, 0
	v_mov_b32_e32 v1, s2
	v_mov_b32_e32 v2, s3
	s_cmp_eq_u32 s6, s9
	v_cmp_gt_u64_e32 vcc, s[0:1], v[1:2]
	s_cselect_b64 s[34:35], -1, 0
	s_cmp_lg_u32 s6, s9
	s_cselect_b64 s[2:3], -1, 0
	s_add_i32 s1, s8, s33
	s_or_b64 s[2:3], s[2:3], vcc
	s_add_i32 s1, s1, s56
	s_mov_b64 s[8:9], -1
	s_and_b64 vcc, exec, s[2:3]
	v_add_u32_e32 v1, s1, v0
	s_cbranch_vccz .LBB8_2
; %bb.1:
	v_add_u32_e32 v2, 0x100, v1
	v_lshlrev_b32_e32 v14, 2, v0
	v_add_u32_e32 v3, 0x200, v1
	v_add_u32_e32 v4, 0x300, v1
	;; [unrolled: 1-line block ×11, first 2 shown]
	ds_write2st64_b32 v14, v1, v2 offset1:4
	ds_write2st64_b32 v14, v3, v4 offset0:8 offset1:12
	ds_write2st64_b32 v14, v5, v6 offset0:16 offset1:20
	;; [unrolled: 1-line block ×5, first 2 shown]
	ds_write_b32 v14, v13 offset:12288
	s_waitcnt lgkmcnt(0)
	s_barrier
	s_mov_b64 s[8:9], 0
.LBB8_2:
	s_andn2_b64 vcc, exec, s[8:9]
	s_add_i32 s7, s7, s56
	s_cbranch_vccnz .LBB8_4
; %bb.3:
	v_add_u32_e32 v2, 0x100, v1
	v_lshlrev_b32_e32 v14, 2, v0
	v_add_u32_e32 v3, 0x200, v1
	v_add_u32_e32 v4, 0x300, v1
	;; [unrolled: 1-line block ×11, first 2 shown]
	ds_write2st64_b32 v14, v1, v2 offset1:4
	ds_write2st64_b32 v14, v3, v4 offset0:8 offset1:12
	ds_write2st64_b32 v14, v5, v6 offset0:16 offset1:20
	;; [unrolled: 1-line block ×5, first 2 shown]
	ds_write_b32 v14, v13 offset:12288
	s_waitcnt lgkmcnt(0)
	s_barrier
.LBB8_4:
	v_mul_u32_u24_e32 v30, 13, v0
	v_lshlrev_b32_e32 v1, 2, v30
	s_load_dwordx4 s[52:55], s[4:5], 0x28
	s_load_dwordx2 s[46:47], s[4:5], 0x38
	s_waitcnt lgkmcnt(0)
	ds_read_b32 v29, v1 offset:48
	ds_read2_b32 v[9:10], v1 offset0:10 offset1:11
	ds_read2_b32 v[11:12], v1 offset0:8 offset1:9
	;; [unrolled: 1-line block ×4, first 2 shown]
	ds_read2_b32 v[19:20], v1 offset1:1
	ds_read2_b32 v[17:18], v1 offset0:2 offset1:3
	v_cndmask_b32_e64 v1, 0, 1, s[2:3]
	s_sub_i32 s7, s0, s7
	v_cmp_ne_u32_e64 s[0:1], 1, v1
	s_andn2_b64 vcc, exec, s[2:3]
	s_waitcnt lgkmcnt(0)
	s_barrier
	s_cbranch_vccnz .LBB8_32
; %bb.5:
	v_add_u32_e32 v1, s37, v19
	v_add_u32_e32 v2, s39, v19
	v_mul_lo_u32 v1, v1, s36
	v_mul_lo_u32 v2, v2, s38
	s_mov_b64 s[62:63], 0
	s_mov_b64 s[60:61], 0
	v_sub_u32_e32 v1, v1, v2
	v_cmp_lt_u32_e32 vcc, s40, v1
	v_cmp_ge_u32_e64 s[2:3], s40, v1
	s_and_saveexec_b64 s[8:9], s[2:3]
	s_cbranch_execz .LBB8_7
; %bb.6:
	v_add_u32_e32 v1, s42, v19
	v_add_u32_e32 v2, s58, v19
	v_mul_lo_u32 v1, v1, s41
	v_mul_lo_u32 v2, v2, s43
	v_sub_u32_e32 v1, v1, v2
	v_cmp_lt_u32_e64 s[2:3], s59, v1
	s_and_b64 s[60:61], s[2:3], exec
.LBB8_7:
	s_or_b64 exec, exec, s[8:9]
	v_add_u32_e32 v1, s37, v20
	v_add_u32_e32 v2, s39, v20
	v_mul_lo_u32 v1, v1, s36
	v_mul_lo_u32 v2, v2, s38
	v_sub_u32_e32 v1, v1, v2
	v_cmp_lt_u32_e64 s[2:3], s40, v1
	v_cmp_ge_u32_e64 s[8:9], s40, v1
	s_and_saveexec_b64 s[10:11], s[8:9]
	s_cbranch_execz .LBB8_9
; %bb.8:
	v_add_u32_e32 v1, s42, v20
	v_add_u32_e32 v2, s58, v20
	v_mul_lo_u32 v1, v1, s41
	v_mul_lo_u32 v2, v2, s43
	v_sub_u32_e32 v1, v1, v2
	v_cmp_lt_u32_e64 s[8:9], s59, v1
	s_and_b64 s[62:63], s[8:9], exec
.LBB8_9:
	s_or_b64 exec, exec, s[10:11]
	v_add_u32_e32 v1, s37, v17
	v_add_u32_e32 v2, s39, v17
	v_mul_lo_u32 v1, v1, s36
	v_mul_lo_u32 v2, v2, s38
	s_mov_b64 s[66:67], 0
	s_mov_b64 s[64:65], 0
	v_sub_u32_e32 v1, v1, v2
	v_cmp_lt_u32_e64 s[28:29], s40, v1
	v_cmp_ge_u32_e64 s[8:9], s40, v1
	s_and_saveexec_b64 s[10:11], s[8:9]
	s_cbranch_execz .LBB8_11
; %bb.10:
	v_add_u32_e32 v1, s42, v17
	v_add_u32_e32 v2, s58, v17
	v_mul_lo_u32 v1, v1, s41
	v_mul_lo_u32 v2, v2, s43
	v_sub_u32_e32 v1, v1, v2
	v_cmp_lt_u32_e64 s[8:9], s59, v1
	s_and_b64 s[64:65], s[8:9], exec
.LBB8_11:
	s_or_b64 exec, exec, s[10:11]
	v_add_u32_e32 v1, s37, v18
	v_add_u32_e32 v2, s39, v18
	v_mul_lo_u32 v1, v1, s36
	v_mul_lo_u32 v2, v2, s38
	v_sub_u32_e32 v1, v1, v2
	v_cmp_lt_u32_e64 s[8:9], s40, v1
	v_cmp_ge_u32_e64 s[10:11], s40, v1
	s_and_saveexec_b64 s[12:13], s[10:11]
	s_cbranch_execz .LBB8_13
; %bb.12:
	v_add_u32_e32 v1, s42, v18
	v_add_u32_e32 v2, s58, v18
	v_mul_lo_u32 v1, v1, s41
	v_mul_lo_u32 v2, v2, s43
	v_sub_u32_e32 v1, v1, v2
	v_cmp_lt_u32_e64 s[10:11], s59, v1
	s_and_b64 s[66:67], s[10:11], exec
.LBB8_13:
	s_or_b64 exec, exec, s[12:13]
	v_add_u32_e32 v1, s37, v15
	v_add_u32_e32 v2, s39, v15
	v_mul_lo_u32 v1, v1, s36
	v_mul_lo_u32 v2, v2, s38
	s_mov_b64 s[70:71], 0
	s_mov_b64 s[68:69], 0
	v_sub_u32_e32 v1, v1, v2
	v_cmp_lt_u32_e64 s[10:11], s40, v1
	;; [unrolled: 40-line block ×6, first 2 shown]
	v_cmp_ge_u32_e64 s[30:31], s40, v1
	s_and_saveexec_b64 s[88:89], s[30:31]
	s_cbranch_execz .LBB8_31
; %bb.30:
	v_add_u32_e32 v1, s42, v29
	v_add_u32_e32 v2, s58, v29
	v_mul_lo_u32 v1, v1, s41
	v_mul_lo_u32 v2, v2, s43
	v_sub_u32_e32 v1, v1, v2
	v_cmp_lt_u32_e64 s[30:31], s59, v1
	s_and_b64 s[86:87], s[30:31], exec
.LBB8_31:
	s_or_b64 exec, exec, s[88:89]
	v_cndmask_b32_e64 v2, 0, 1, s[2:3]
	v_cndmask_b32_e64 v1, 0, 1, vcc
	v_cndmask_b32_e64 v4, 0, 1, s[8:9]
	v_lshlrev_b16_e32 v2, 8, v2
	v_cndmask_b32_e64 v3, 0, 1, s[28:29]
	v_or_b32_e32 v1, v1, v2
	v_lshlrev_b16_e32 v2, 8, v4
	v_cndmask_b32_e64 v6, 0, 1, s[12:13]
	v_cndmask_b32_e64 v8, 0, 1, s[16:17]
	v_or_b32_sdwa v2, v3, v2 dst_sel:WORD_1 dst_unused:UNUSED_PAD src0_sel:DWORD src1_sel:DWORD
	v_cndmask_b32_e64 v5, 0, 1, s[10:11]
	v_cndmask_b32_e64 v7, 0, 1, s[14:15]
	v_or_b32_sdwa v31, v1, v2 dst_sel:DWORD dst_unused:UNUSED_PAD src0_sel:WORD_0 src1_sel:DWORD
	v_lshlrev_b16_e32 v1, 8, v6
	v_lshlrev_b16_e32 v2, 8, v8
	v_cndmask_b32_e64 v22, 0, 1, s[20:21]
	v_cndmask_b32_e64 v25, 0, 1, s[24:25]
	v_or_b32_e32 v1, v5, v1
	v_or_b32_sdwa v2, v7, v2 dst_sel:WORD_1 dst_unused:UNUSED_PAD src0_sel:DWORD src1_sel:DWORD
	v_cndmask_b32_e64 v21, 0, 1, s[18:19]
	v_cndmask_b32_e64 v23, 0, 1, s[22:23]
	v_or_b32_sdwa v33, v1, v2 dst_sel:DWORD dst_unused:UNUSED_PAD src0_sel:WORD_0 src1_sel:DWORD
	v_lshlrev_b16_e32 v1, 8, v22
	v_lshlrev_b16_e32 v2, 8, v25
	v_cndmask_b32_e64 v37, 0, 1, s[64:65]
	v_cndmask_b32_e64 v42, 0, 1, s[60:61]
	v_or_b32_e32 v1, v21, v1
	;; [unrolled: 9-line block ×4, first 2 shown]
	v_or_b32_sdwa v2, v34, v2 dst_sel:WORD_1 dst_unused:UNUSED_PAD src0_sel:DWORD src1_sel:DWORD
	v_cndmask_b32_e64 v26, 0, 1, s[78:79]
	v_cndmask_b32_e64 v28, 0, 1, s[74:75]
	v_or_b32_sdwa v32, v1, v2 dst_sel:DWORD dst_unused:UNUSED_PAD src0_sel:WORD_0 src1_sel:DWORD
	v_lshlrev_b16_e32 v1, 8, v27
	v_lshlrev_b16_e32 v2, 8, v24
	v_or_b32_e32 v1, v28, v1
	v_or_b32_sdwa v2, v26, v2 dst_sel:WORD_1 dst_unused:UNUSED_PAD src0_sel:DWORD src1_sel:DWORD
	v_cndmask_b32_e64 v35, 0, 1, s[82:83]
	v_cndmask_b32_e64 v38, 0, 1, s[86:87]
	v_or_b32_sdwa v34, v1, v2 dst_sel:DWORD dst_unused:UNUSED_PAD src0_sel:WORD_0 src1_sel:DWORD
	s_load_dwordx2 s[12:13], s[4:5], 0x78
	s_add_i32 s18, s7, 0xd00
	s_and_b64 vcc, exec, s[80:81]
	s_cbranch_vccnz .LBB8_33
	s_branch .LBB8_110
.LBB8_32:
                                        ; implicit-def: $vgpr38
                                        ; implicit-def: $vgpr35
                                        ; implicit-def: $vgpr34
                                        ; implicit-def: $vgpr32
                                        ; implicit-def: $vgpr37
                                        ; implicit-def: $vgpr36
                                        ; implicit-def: $vgpr33
                                        ; implicit-def: $vgpr31
	s_load_dwordx2 s[12:13], s[4:5], 0x78
	s_add_i32 s18, s7, 0xd00
	s_cbranch_execz .LBB8_110
.LBB8_33:
	v_cmp_gt_u32_e32 vcc, s18, v30
	v_mov_b32_e32 v2, 0
	v_mov_b32_e32 v1, 0
	s_and_saveexec_b64 s[4:5], vcc
	s_cbranch_execz .LBB8_37
; %bb.34:
	v_add_u32_e32 v1, s37, v19
	v_add_u32_e32 v2, s39, v19
	v_mul_lo_u32 v1, v1, s36
	v_mul_lo_u32 v2, v2, s38
	s_mov_b64 s[10:11], 0
	v_sub_u32_e32 v1, v1, v2
	v_cmp_lt_u32_e32 vcc, s40, v1
	v_cmp_ge_u32_e64 s[2:3], s40, v1
	s_and_saveexec_b64 s[8:9], s[2:3]
	s_cbranch_execz .LBB8_36
; %bb.35:
	v_add_u32_e32 v1, s42, v19
	v_add_u32_e32 v2, s58, v19
	v_mul_lo_u32 v1, v1, s41
	v_mul_lo_u32 v2, v2, s43
	v_sub_u32_e32 v1, v1, v2
	v_cmp_lt_u32_e64 s[2:3], s59, v1
	s_and_b64 s[10:11], s[2:3], exec
.LBB8_36:
	s_or_b64 exec, exec, s[8:9]
	v_cndmask_b32_e64 v2, 0, 1, s[10:11]
	v_cndmask_b32_e64 v1, 0, 1, vcc
.LBB8_37:
	s_or_b64 exec, exec, s[4:5]
	v_lshlrev_b16_e32 v7, 8, v2
	v_add_u32_e32 v2, 1, v30
	v_cmp_le_u32_e32 vcc, s18, v2
	v_lshlrev_b16_e64 v4, 8, 0
                                        ; implicit-def: $vgpr3
                                        ; implicit-def: $vgpr5
                                        ; implicit-def: $vgpr6
                                        ; implicit-def: $vgpr2
                                        ; implicit-def: $vgpr8
	s_and_saveexec_b64 s[2:3], vcc
	s_xor_b64 s[2:3], exec, s[2:3]
; %bb.38:
	v_mov_b32_e32 v2, 8
	v_lshrrev_b32_sdwa v3, v2, v7 dst_sel:BYTE_1 dst_unused:UNUSED_PAD src0_sel:DWORD src1_sel:DWORD
	v_and_b32_e32 v8, 0xff, v1
	v_or_b32_sdwa v1, v7, v3 dst_sel:DWORD dst_unused:UNUSED_PAD src0_sel:BYTE_0 src1_sel:DWORD
	v_mov_b32_e32 v5, 0
	v_lshlrev_b16_e64 v4, 8, 0
	v_lshlrev_b16_e64 v2, 8, 0
	v_and_b32_e32 v6, 0xffff, v1
	v_lshlrev_b16_e64 v3, 8, 0
                                        ; implicit-def: $vgpr1
                                        ; implicit-def: $vgpr7
; %bb.39:
	s_andn2_saveexec_b64 s[4:5], s[2:3]
	s_cbranch_execz .LBB8_43
; %bb.40:
	v_add_u32_e32 v2, s37, v20
	v_add_u32_e32 v3, s39, v20
	v_mul_lo_u32 v2, v2, s36
	v_mul_lo_u32 v3, v3, s38
	s_mov_b64 s[8:9], 0
	v_sub_u32_e32 v2, v2, v3
	v_cmp_lt_u32_e32 vcc, s40, v2
	v_cmp_ge_u32_e64 s[2:3], s40, v2
	s_and_saveexec_b64 s[10:11], s[2:3]
	s_cbranch_execz .LBB8_42
; %bb.41:
	v_add_u32_e32 v2, s42, v20
	v_add_u32_e32 v3, s58, v20
	v_mul_lo_u32 v2, v2, s41
	v_mul_lo_u32 v3, v3, s43
	v_sub_u32_e32 v2, v2, v3
	v_cmp_lt_u32_e64 s[2:3], s59, v2
	s_and_b64 s[8:9], s[2:3], exec
.LBB8_42:
	s_or_b64 exec, exec, s[10:11]
	v_cndmask_b32_e64 v3, 0, 1, vcc
	v_lshlrev_b16_e32 v3, 8, v3
	v_or_b32_sdwa v1, v1, v3 dst_sel:DWORD dst_unused:UNUSED_PAD src0_sel:BYTE_0 src1_sel:DWORD
	v_and_b32_e32 v8, 0xffff, v1
	v_mov_b32_e32 v1, 8
	v_lshrrev_b32_sdwa v1, v1, v7 dst_sel:BYTE_1 dst_unused:UNUSED_PAD src0_sel:DWORD src1_sel:DWORD
	v_or_b32_sdwa v1, v7, v1 dst_sel:DWORD dst_unused:UNUSED_PAD src0_sel:BYTE_0 src1_sel:DWORD
	v_and_b32_e32 v1, 0xffff, v1
	v_cndmask_b32_e64 v3, 0, 1, s[8:9]
	v_mov_b32_e32 v2, 0
	v_mov_b32_e32 v5, 0
	v_lshl_or_b32 v6, v3, 16, v1
	v_lshlrev_b16_e64 v3, 8, 0
.LBB8_43:
	s_or_b64 exec, exec, s[4:5]
	v_add_u32_e32 v1, 2, v30
	v_cmp_le_u32_e32 vcc, s18, v1
	v_lshrrev_b32_e32 v21, 24, v8
                                        ; implicit-def: $vgpr1
                                        ; implicit-def: $vgpr7
	s_and_saveexec_b64 s[2:3], vcc
	s_xor_b64 s[2:3], exec, s[2:3]
	s_cbranch_execz .LBB8_45
; %bb.44:
	s_mov_b32 s4, 0x40c0100
	v_perm_b32 v7, v21, v8, s4
	v_mov_b32_e32 v8, 8
	v_lshrrev_b32_sdwa v8, v8, v7 dst_sel:BYTE_1 dst_unused:UNUSED_PAD src0_sel:DWORD src1_sel:DWORD
	v_or_b32_sdwa v8, v7, v8 dst_sel:DWORD dst_unused:UNUSED_PAD src0_sel:BYTE_0 src1_sel:DWORD
	v_and_b32_e32 v8, 0xffff, v8
	s_mov_b32 s4, 0xff000000
	v_and_or_b32 v7, v7, s4, v8
	s_mov_b32 s4, 0x3060504
	v_and_b32_e32 v1, 0xff0000, v6
	v_perm_b32 v4, v4, v4, s4
	s_mov_b32 s4, 0x3020504
	v_perm_b32 v1, v6, v1, s4
                                        ; implicit-def: $vgpr8
                                        ; implicit-def: $vgpr21
                                        ; implicit-def: $vgpr6
.LBB8_45:
	s_andn2_saveexec_b64 s[4:5], s[2:3]
	s_cbranch_execz .LBB8_49
; %bb.46:
	v_add_u32_e32 v1, s37, v17
	v_add_u32_e32 v7, s39, v17
	v_mul_lo_u32 v1, v1, s36
	v_mul_lo_u32 v7, v7, s38
	s_mov_b64 s[8:9], 0
	v_sub_u32_e32 v1, v1, v7
	v_cmp_lt_u32_e32 vcc, s40, v1
	v_cmp_ge_u32_e64 s[2:3], s40, v1
	s_and_saveexec_b64 s[10:11], s[2:3]
	s_cbranch_execz .LBB8_48
; %bb.47:
	v_add_u32_e32 v1, s42, v17
	v_add_u32_e32 v7, s58, v17
	v_mul_lo_u32 v1, v1, s41
	v_mul_lo_u32 v7, v7, s43
	v_sub_u32_e32 v1, v1, v7
	v_cmp_lt_u32_e64 s[2:3], s59, v1
	s_and_b64 s[8:9], s[2:3], exec
.LBB8_48:
	s_or_b64 exec, exec, s[10:11]
	v_mov_b32_e32 v23, 8
	v_lshrrev_b32_sdwa v7, v23, v8 dst_sel:BYTE_1 dst_unused:UNUSED_PAD src0_sel:DWORD src1_sel:DWORD
	v_cndmask_b32_e64 v1, 0, 1, vcc
	v_or_b32_sdwa v7, v8, v7 dst_sel:DWORD dst_unused:UNUSED_PAD src0_sel:BYTE_0 src1_sel:DWORD
	v_lshlrev_b16_e32 v8, 8, v21
	v_or_b32_sdwa v1, v1, v8 dst_sel:WORD_1 dst_unused:UNUSED_PAD src0_sel:DWORD src1_sel:DWORD
	v_cndmask_b32_e64 v22, 0, 1, s[8:9]
	s_movk_i32 s2, 0xff
	v_or_b32_sdwa v7, v7, v1 dst_sel:DWORD dst_unused:UNUSED_PAD src0_sel:WORD_0 src1_sel:DWORD
	v_lshrrev_b32_sdwa v1, v23, v6 dst_sel:BYTE_1 dst_unused:UNUSED_PAD src0_sel:DWORD src1_sel:DWORD
	v_or_b32_sdwa v1, v6, v1 dst_sel:DWORD dst_unused:UNUSED_PAD src0_sel:BYTE_0 src1_sel:DWORD
	v_lshlrev_b16_e32 v8, 8, v22
	v_and_b32_sdwa v6, v6, s2 dst_sel:DWORD dst_unused:UNUSED_PAD src0_sel:WORD_1 src1_sel:DWORD
	v_or_b32_sdwa v6, v6, v8 dst_sel:WORD_1 dst_unused:UNUSED_PAD src0_sel:DWORD src1_sel:DWORD
	v_or_b32_sdwa v1, v1, v6 dst_sel:DWORD dst_unused:UNUSED_PAD src0_sel:WORD_0 src1_sel:DWORD
.LBB8_49:
	s_or_b64 exec, exec, s[4:5]
	v_add_u32_e32 v6, 3, v30
	v_cmp_le_u32_e32 vcc, s18, v6
	v_lshrrev_b32_e32 v8, 24, v5
                                        ; implicit-def: $vgpr6
                                        ; implicit-def: $vgpr31
	s_and_saveexec_b64 s[2:3], vcc
	s_xor_b64 s[2:3], exec, s[2:3]
	s_cbranch_execz .LBB8_51
; %bb.50:
	v_and_b32_e32 v6, 0xff0000, v7
	s_mov_b32 s4, 0x3020504
	s_movk_i32 s5, 0xff
	v_perm_b32 v31, v7, v6, s4
	v_lshlrev_b16_e32 v6, 8, v8
	v_and_b32_sdwa v7, v5, s5 dst_sel:DWORD dst_unused:UNUSED_PAD src0_sel:WORD_1 src1_sel:DWORD
	s_mov_b32 s4, 0x3060504
	v_or_b32_sdwa v6, v7, v6 dst_sel:WORD_1 dst_unused:UNUSED_PAD src0_sel:DWORD src1_sel:DWORD
	v_mov_b32_e32 v7, 8
	v_perm_b32 v4, v4, v4, s4
	v_lshrrev_b32_sdwa v6, v7, v5 dst_sel:BYTE_1 dst_unused:UNUSED_PRESERVE src0_sel:DWORD src1_sel:DWORD
	v_perm_b32 v3, v3, v3, s4
                                        ; implicit-def: $vgpr7
                                        ; implicit-def: $vgpr8
                                        ; implicit-def: $vgpr5
.LBB8_51:
	s_andn2_saveexec_b64 s[4:5], s[2:3]
	s_cbranch_execz .LBB8_55
; %bb.52:
	v_add_u32_e32 v6, s37, v18
	v_add_u32_e32 v21, s39, v18
	v_mul_lo_u32 v6, v6, s36
	v_mul_lo_u32 v21, v21, s38
	s_mov_b64 s[8:9], 0
	v_sub_u32_e32 v6, v6, v21
	v_cmp_lt_u32_e32 vcc, s40, v6
	v_cmp_ge_u32_e64 s[2:3], s40, v6
	s_and_saveexec_b64 s[10:11], s[2:3]
	s_cbranch_execz .LBB8_54
; %bb.53:
	v_add_u32_e32 v6, s42, v18
	v_add_u32_e32 v21, s58, v18
	v_mul_lo_u32 v6, v6, s41
	v_mul_lo_u32 v21, v21, s43
	v_sub_u32_e32 v6, v6, v21
	v_cmp_lt_u32_e64 s[2:3], s59, v6
	s_and_b64 s[8:9], s[2:3], exec
.LBB8_54:
	s_or_b64 exec, exec, s[10:11]
	v_mov_b32_e32 v22, 8
	v_cndmask_b32_e64 v6, 0, 1, vcc
	s_movk_i32 s2, 0xff
	v_lshrrev_b32_sdwa v23, v22, v7 dst_sel:BYTE_1 dst_unused:UNUSED_PAD src0_sel:DWORD src1_sel:DWORD
	v_or_b32_sdwa v23, v7, v23 dst_sel:DWORD dst_unused:UNUSED_PAD src0_sel:BYTE_0 src1_sel:DWORD
	v_lshlrev_b16_e32 v6, 8, v6
	v_and_b32_sdwa v7, v7, s2 dst_sel:DWORD dst_unused:UNUSED_PAD src0_sel:WORD_1 src1_sel:DWORD
	v_or_b32_sdwa v6, v7, v6 dst_sel:WORD_1 dst_unused:UNUSED_PAD src0_sel:DWORD src1_sel:DWORD
	v_cndmask_b32_e64 v21, 0, 1, s[8:9]
	v_or_b32_sdwa v31, v23, v6 dst_sel:DWORD dst_unused:UNUSED_PAD src0_sel:WORD_0 src1_sel:DWORD
	v_lshlrev_b16_e32 v6, 8, v8
	v_and_b32_sdwa v7, v5, s2 dst_sel:DWORD dst_unused:UNUSED_PAD src0_sel:WORD_1 src1_sel:DWORD
	v_lshrrev_b32_sdwa v5, v22, v5 dst_sel:BYTE_1 dst_unused:UNUSED_PAD src0_sel:DWORD src1_sel:DWORD
	v_or_b32_sdwa v6, v7, v6 dst_sel:WORD_1 dst_unused:UNUSED_PAD src0_sel:DWORD src1_sel:DWORD
	v_or_b32_e32 v5, v21, v5
	v_or_b32_sdwa v6, v5, v6 dst_sel:DWORD dst_unused:UNUSED_PAD src0_sel:WORD_0 src1_sel:DWORD
.LBB8_55:
	s_or_b64 exec, exec, s[4:5]
	v_add_u32_e32 v5, 4, v30
	v_cmp_le_u32_e32 vcc, s18, v5
	v_lshrrev_b32_e32 v21, 24, v4
	v_lshrrev_b32_e32 v8, 24, v6
                                        ; implicit-def: $vgpr7
                                        ; implicit-def: $vgpr5
	s_and_saveexec_b64 s[2:3], vcc
	s_xor_b64 s[2:3], exec, s[2:3]
	s_cbranch_execz .LBB8_57
; %bb.56:
	s_movk_i32 s4, 0xff
	v_lshlrev_b16_e32 v5, 8, v21
	v_and_b32_sdwa v21, v4, s4 dst_sel:DWORD dst_unused:UNUSED_PAD src0_sel:WORD_1 src1_sel:DWORD
	v_mov_b32_e32 v7, 8
	v_or_b32_sdwa v5, v21, v5 dst_sel:WORD_1 dst_unused:UNUSED_PAD src0_sel:DWORD src1_sel:DWORD
	v_lshrrev_b32_sdwa v5, v7, v4 dst_sel:BYTE_1 dst_unused:UNUSED_PRESERVE src0_sel:DWORD src1_sel:DWORD
	v_lshlrev_b16_e32 v4, 8, v8
	v_and_b32_sdwa v7, v6, s4 dst_sel:DWORD dst_unused:UNUSED_PAD src0_sel:WORD_1 src1_sel:DWORD
	v_or_b32_e32 v4, v7, v4
	s_mov_b32 s4, 0x5040c00
	v_perm_b32 v7, v4, v6, s4
	s_mov_b32 s4, 0x3060504
	v_perm_b32 v3, v3, v3, s4
                                        ; implicit-def: $vgpr21
                                        ; implicit-def: $vgpr4
                                        ; implicit-def: $vgpr6
                                        ; implicit-def: $vgpr8
.LBB8_57:
	s_andn2_saveexec_b64 s[4:5], s[2:3]
	s_cbranch_execz .LBB8_61
; %bb.58:
	v_add_u32_e32 v5, s37, v15
	v_add_u32_e32 v7, s39, v15
	v_mul_lo_u32 v5, v5, s36
	v_mul_lo_u32 v7, v7, s38
	s_mov_b64 s[8:9], 0
	v_sub_u32_e32 v5, v5, v7
	v_cmp_lt_u32_e32 vcc, s40, v5
	v_cmp_ge_u32_e64 s[2:3], s40, v5
	s_and_saveexec_b64 s[10:11], s[2:3]
	s_cbranch_execz .LBB8_60
; %bb.59:
	v_add_u32_e32 v5, s42, v15
	v_add_u32_e32 v7, s58, v15
	v_mul_lo_u32 v5, v5, s41
	v_mul_lo_u32 v7, v7, s43
	v_sub_u32_e32 v5, v5, v7
	v_cmp_lt_u32_e64 s[2:3], s59, v5
	s_and_b64 s[8:9], s[2:3], exec
.LBB8_60:
	s_or_b64 exec, exec, s[10:11]
	s_movk_i32 s2, 0xff
	v_lshlrev_b16_e32 v21, 8, v21
	v_and_b32_sdwa v22, v4, s2 dst_sel:DWORD dst_unused:UNUSED_PAD src0_sel:WORD_1 src1_sel:DWORD
	v_or_b32_sdwa v21, v22, v21 dst_sel:WORD_1 dst_unused:UNUSED_PAD src0_sel:DWORD src1_sel:DWORD
	v_mov_b32_e32 v22, 8
	v_cndmask_b32_e64 v5, 0, 1, vcc
	v_lshrrev_b32_sdwa v4, v22, v4 dst_sel:BYTE_1 dst_unused:UNUSED_PAD src0_sel:DWORD src1_sel:DWORD
	v_cndmask_b32_e64 v7, 0, 1, s[8:9]
	v_or_b32_e32 v4, v5, v4
	v_or_b32_sdwa v5, v4, v21 dst_sel:DWORD dst_unused:UNUSED_PAD src0_sel:WORD_0 src1_sel:DWORD
	v_lshlrev_b16_e32 v4, 8, v7
	v_or_b32_sdwa v4, v6, v4 dst_sel:DWORD dst_unused:UNUSED_PAD src0_sel:BYTE_0 src1_sel:DWORD
	v_lshlrev_b16_e32 v7, 8, v8
	v_and_b32_sdwa v6, v6, s2 dst_sel:DWORD dst_unused:UNUSED_PAD src0_sel:WORD_1 src1_sel:DWORD
	v_or_b32_sdwa v6, v6, v7 dst_sel:WORD_1 dst_unused:UNUSED_PAD src0_sel:DWORD src1_sel:DWORD
	v_or_b32_sdwa v7, v4, v6 dst_sel:DWORD dst_unused:UNUSED_PAD src0_sel:WORD_0 src1_sel:DWORD
.LBB8_61:
	s_or_b64 exec, exec, s[4:5]
	v_add_u32_e32 v4, 5, v30
	v_cmp_le_u32_e32 vcc, s18, v4
	v_lshrrev_b32_e32 v8, 24, v7
	v_lshrrev_b32_e32 v21, 24, v5
                                        ; implicit-def: $vgpr4
                                        ; implicit-def: $vgpr6
	s_and_saveexec_b64 s[2:3], vcc
	s_xor_b64 s[2:3], exec, s[2:3]
	s_cbranch_execz .LBB8_63
; %bb.62:
	s_mov_b32 s4, 0x40c0100
	v_perm_b32 v4, v8, v7, s4
	s_movk_i32 s4, 0xff
	v_lshlrev_b16_e32 v6, 8, v21
	v_and_b32_sdwa v7, v5, s4 dst_sel:DWORD dst_unused:UNUSED_PAD src0_sel:WORD_1 src1_sel:DWORD
	v_or_b32_e32 v6, v7, v6
	s_mov_b32 s4, 0x5040c00
	v_perm_b32 v6, v6, v5, s4
	v_mov_b32_e32 v5, 8
	v_lshrrev_b32_sdwa v5, v5, v4 dst_sel:BYTE_1 dst_unused:UNUSED_PAD src0_sel:DWORD src1_sel:DWORD
	v_or_b32_sdwa v5, v4, v5 dst_sel:DWORD dst_unused:UNUSED_PAD src0_sel:BYTE_0 src1_sel:DWORD
	v_and_b32_e32 v5, 0xffff, v5
	s_mov_b32 s4, 0xff000000
	v_and_or_b32 v4, v4, s4, v5
	s_mov_b32 s4, 0x3060504
	v_perm_b32 v3, v3, v3, s4
                                        ; implicit-def: $vgpr5
                                        ; implicit-def: $vgpr21
                                        ; implicit-def: $vgpr7
                                        ; implicit-def: $vgpr8
.LBB8_63:
	s_andn2_saveexec_b64 s[4:5], s[2:3]
	s_cbranch_execz .LBB8_67
; %bb.64:
	v_add_u32_e32 v4, s37, v16
	v_add_u32_e32 v6, s39, v16
	v_mul_lo_u32 v4, v4, s36
	v_mul_lo_u32 v6, v6, s38
	s_mov_b64 s[8:9], 0
	v_sub_u32_e32 v4, v4, v6
	v_cmp_lt_u32_e32 vcc, s40, v4
	v_cmp_ge_u32_e64 s[2:3], s40, v4
	s_and_saveexec_b64 s[10:11], s[2:3]
	s_cbranch_execz .LBB8_66
; %bb.65:
	v_add_u32_e32 v4, s42, v16
	v_add_u32_e32 v6, s58, v16
	v_mul_lo_u32 v4, v4, s41
	v_mul_lo_u32 v6, v6, s43
	v_sub_u32_e32 v4, v4, v6
	v_cmp_lt_u32_e64 s[2:3], s59, v4
	s_and_b64 s[8:9], s[2:3], exec
.LBB8_66:
	s_or_b64 exec, exec, s[10:11]
	v_cndmask_b32_e64 v4, 0, 1, vcc
	v_lshlrev_b16_e32 v4, 8, v4
	s_movk_i32 s2, 0xff
	v_or_b32_sdwa v4, v5, v4 dst_sel:DWORD dst_unused:UNUSED_PAD src0_sel:BYTE_0 src1_sel:DWORD
	v_lshlrev_b16_e32 v6, 8, v21
	v_and_b32_sdwa v5, v5, s2 dst_sel:DWORD dst_unused:UNUSED_PAD src0_sel:WORD_1 src1_sel:DWORD
	v_or_b32_sdwa v5, v5, v6 dst_sel:WORD_1 dst_unused:UNUSED_PAD src0_sel:DWORD src1_sel:DWORD
	v_or_b32_sdwa v6, v4, v5 dst_sel:DWORD dst_unused:UNUSED_PAD src0_sel:WORD_0 src1_sel:DWORD
	v_mov_b32_e32 v4, 8
	v_cndmask_b32_e64 v22, 0, 1, s[8:9]
	v_lshrrev_b32_sdwa v4, v4, v7 dst_sel:BYTE_1 dst_unused:UNUSED_PAD src0_sel:DWORD src1_sel:DWORD
	v_lshlrev_b16_e32 v5, 8, v8
	v_or_b32_sdwa v4, v7, v4 dst_sel:DWORD dst_unused:UNUSED_PAD src0_sel:BYTE_0 src1_sel:DWORD
	v_or_b32_sdwa v5, v22, v5 dst_sel:WORD_1 dst_unused:UNUSED_PAD src0_sel:DWORD src1_sel:DWORD
	v_or_b32_sdwa v4, v4, v5 dst_sel:DWORD dst_unused:UNUSED_PAD src0_sel:WORD_0 src1_sel:DWORD
.LBB8_67:
	s_or_b64 exec, exec, s[4:5]
	v_add_u32_e32 v5, 6, v30
	v_cmp_le_u32_e32 vcc, s18, v5
	v_lshrrev_b32_e32 v7, 24, v6
                                        ; implicit-def: $vgpr32
                                        ; implicit-def: $vgpr5
	s_and_saveexec_b64 s[2:3], vcc
	s_xor_b64 s[2:3], exec, s[2:3]
	s_cbranch_execz .LBB8_69
; %bb.68:
	s_mov_b32 s4, 0x40c0100
	v_perm_b32 v5, v7, v6, s4
	v_mov_b32_e32 v6, 8
	v_lshrrev_b32_sdwa v6, v6, v5 dst_sel:BYTE_1 dst_unused:UNUSED_PAD src0_sel:DWORD src1_sel:DWORD
	v_or_b32_sdwa v6, v5, v6 dst_sel:DWORD dst_unused:UNUSED_PAD src0_sel:BYTE_0 src1_sel:DWORD
	v_and_b32_e32 v6, 0xffff, v6
	s_mov_b32 s4, 0xff000000
	v_and_b32_e32 v8, 0xff0000, v4
	v_and_or_b32 v5, v5, s4, v6
	s_mov_b32 s4, 0x3020504
	v_perm_b32 v32, v4, v8, s4
	s_mov_b32 s4, 0x3060504
	v_perm_b32 v3, v3, v3, s4
                                        ; implicit-def: $vgpr6
                                        ; implicit-def: $vgpr7
                                        ; implicit-def: $vgpr4
.LBB8_69:
	s_andn2_saveexec_b64 s[4:5], s[2:3]
	s_cbranch_execz .LBB8_73
; %bb.70:
	v_add_u32_e32 v5, s37, v13
	v_add_u32_e32 v8, s39, v13
	v_mul_lo_u32 v5, v5, s36
	v_mul_lo_u32 v8, v8, s38
	s_mov_b64 s[8:9], 0
	v_sub_u32_e32 v5, v5, v8
	v_cmp_lt_u32_e32 vcc, s40, v5
	v_cmp_ge_u32_e64 s[2:3], s40, v5
	s_and_saveexec_b64 s[10:11], s[2:3]
	s_cbranch_execz .LBB8_72
; %bb.71:
	v_add_u32_e32 v5, s42, v13
	v_add_u32_e32 v8, s58, v13
	v_mul_lo_u32 v5, v5, s41
	v_mul_lo_u32 v8, v8, s43
	v_sub_u32_e32 v5, v5, v8
	v_cmp_lt_u32_e64 s[2:3], s59, v5
	s_and_b64 s[8:9], s[2:3], exec
.LBB8_72:
	s_or_b64 exec, exec, s[10:11]
	v_mov_b32_e32 v21, 8
	v_cndmask_b32_e64 v5, 0, 1, vcc
	v_lshrrev_b32_sdwa v22, v21, v6 dst_sel:BYTE_1 dst_unused:UNUSED_PAD src0_sel:DWORD src1_sel:DWORD
	v_lshlrev_b16_e32 v7, 8, v7
	v_or_b32_sdwa v6, v6, v22 dst_sel:DWORD dst_unused:UNUSED_PAD src0_sel:BYTE_0 src1_sel:DWORD
	v_or_b32_sdwa v5, v5, v7 dst_sel:WORD_1 dst_unused:UNUSED_PAD src0_sel:DWORD src1_sel:DWORD
	v_cndmask_b32_e64 v8, 0, 1, s[8:9]
	s_movk_i32 s2, 0xff
	v_or_b32_sdwa v5, v6, v5 dst_sel:DWORD dst_unused:UNUSED_PAD src0_sel:WORD_0 src1_sel:DWORD
	v_lshrrev_b32_sdwa v6, v21, v4 dst_sel:BYTE_1 dst_unused:UNUSED_PAD src0_sel:DWORD src1_sel:DWORD
	v_or_b32_sdwa v6, v4, v6 dst_sel:DWORD dst_unused:UNUSED_PAD src0_sel:BYTE_0 src1_sel:DWORD
	v_lshlrev_b16_e32 v7, 8, v8
	v_and_b32_sdwa v4, v4, s2 dst_sel:DWORD dst_unused:UNUSED_PAD src0_sel:WORD_1 src1_sel:DWORD
	v_or_b32_sdwa v4, v4, v7 dst_sel:WORD_1 dst_unused:UNUSED_PAD src0_sel:DWORD src1_sel:DWORD
	v_or_b32_sdwa v32, v6, v4 dst_sel:DWORD dst_unused:UNUSED_PAD src0_sel:WORD_0 src1_sel:DWORD
.LBB8_73:
	s_or_b64 exec, exec, s[4:5]
	v_add_u32_e32 v4, 7, v30
	v_cmp_le_u32_e32 vcc, s18, v4
	v_lshrrev_b32_e32 v6, 24, v3
                                        ; implicit-def: $vgpr4
                                        ; implicit-def: $vgpr33
	s_and_saveexec_b64 s[2:3], vcc
	s_xor_b64 s[2:3], exec, s[2:3]
; %bb.74:
	v_and_b32_e32 v4, 0xff0000, v5
	s_mov_b32 s4, 0x3020504
	v_perm_b32 v33, v5, v4, s4
	s_movk_i32 s4, 0xff
	v_lshlrev_b16_e32 v4, 8, v6
	v_and_b32_sdwa v5, v3, s4 dst_sel:DWORD dst_unused:UNUSED_PAD src0_sel:WORD_1 src1_sel:DWORD
	v_mov_b32_e32 v7, 8
	v_or_b32_sdwa v4, v5, v4 dst_sel:WORD_1 dst_unused:UNUSED_PAD src0_sel:DWORD src1_sel:DWORD
	v_lshrrev_b32_sdwa v4, v7, v3 dst_sel:BYTE_1 dst_unused:UNUSED_PRESERVE src0_sel:DWORD src1_sel:DWORD
                                        ; implicit-def: $vgpr5
                                        ; implicit-def: $vgpr6
                                        ; implicit-def: $vgpr3
; %bb.75:
	s_andn2_saveexec_b64 s[4:5], s[2:3]
	s_cbranch_execz .LBB8_79
; %bb.76:
	v_add_u32_e32 v4, s37, v14
	v_add_u32_e32 v7, s39, v14
	v_mul_lo_u32 v4, v4, s36
	v_mul_lo_u32 v7, v7, s38
	s_mov_b64 s[8:9], 0
	v_sub_u32_e32 v4, v4, v7
	v_cmp_lt_u32_e32 vcc, s40, v4
	v_cmp_ge_u32_e64 s[2:3], s40, v4
	s_and_saveexec_b64 s[10:11], s[2:3]
	s_cbranch_execz .LBB8_78
; %bb.77:
	v_add_u32_e32 v4, s42, v14
	v_add_u32_e32 v7, s58, v14
	v_mul_lo_u32 v4, v4, s41
	v_mul_lo_u32 v7, v7, s43
	v_sub_u32_e32 v4, v4, v7
	v_cmp_lt_u32_e64 s[2:3], s59, v4
	s_and_b64 s[8:9], s[2:3], exec
.LBB8_78:
	s_or_b64 exec, exec, s[10:11]
	v_mov_b32_e32 v8, 8
	v_cndmask_b32_e64 v4, 0, 1, vcc
	s_movk_i32 s2, 0xff
	v_lshrrev_b32_sdwa v21, v8, v5 dst_sel:BYTE_1 dst_unused:UNUSED_PAD src0_sel:DWORD src1_sel:DWORD
	v_or_b32_sdwa v21, v5, v21 dst_sel:DWORD dst_unused:UNUSED_PAD src0_sel:BYTE_0 src1_sel:DWORD
	v_lshlrev_b16_e32 v4, 8, v4
	v_and_b32_sdwa v5, v5, s2 dst_sel:DWORD dst_unused:UNUSED_PAD src0_sel:WORD_1 src1_sel:DWORD
	v_or_b32_sdwa v4, v5, v4 dst_sel:WORD_1 dst_unused:UNUSED_PAD src0_sel:DWORD src1_sel:DWORD
	v_cndmask_b32_e64 v7, 0, 1, s[8:9]
	v_or_b32_sdwa v33, v21, v4 dst_sel:DWORD dst_unused:UNUSED_PAD src0_sel:WORD_0 src1_sel:DWORD
	v_lshlrev_b16_e32 v4, 8, v6
	v_and_b32_sdwa v5, v3, s2 dst_sel:DWORD dst_unused:UNUSED_PAD src0_sel:WORD_1 src1_sel:DWORD
	v_lshrrev_b32_sdwa v3, v8, v3 dst_sel:BYTE_1 dst_unused:UNUSED_PAD src0_sel:DWORD src1_sel:DWORD
	v_or_b32_sdwa v4, v5, v4 dst_sel:WORD_1 dst_unused:UNUSED_PAD src0_sel:DWORD src1_sel:DWORD
	v_or_b32_e32 v3, v7, v3
	v_or_b32_sdwa v4, v3, v4 dst_sel:DWORD dst_unused:UNUSED_PAD src0_sel:WORD_0 src1_sel:DWORD
.LBB8_79:
	s_or_b64 exec, exec, s[4:5]
	v_add_u32_e32 v3, 8, v30
	v_cmp_le_u32_e32 vcc, s18, v3
	v_lshrrev_b32_e32 v6, 24, v4
	v_lshrrev_b32_e32 v7, 24, v2
                                        ; implicit-def: $vgpr5
                                        ; implicit-def: $vgpr3
	s_and_saveexec_b64 s[2:3], vcc
	s_xor_b64 s[2:3], exec, s[2:3]
	s_cbranch_execz .LBB8_81
; %bb.80:
	s_movk_i32 s4, 0xff
	v_lshlrev_b16_e32 v3, 8, v7
	v_and_b32_sdwa v5, v2, s4 dst_sel:DWORD dst_unused:UNUSED_PAD src0_sel:WORD_1 src1_sel:DWORD
	v_or_b32_sdwa v3, v5, v3 dst_sel:WORD_1 dst_unused:UNUSED_PAD src0_sel:DWORD src1_sel:DWORD
	v_mov_b32_e32 v5, 8
	v_lshrrev_b32_sdwa v3, v5, v2 dst_sel:BYTE_1 dst_unused:UNUSED_PRESERVE src0_sel:DWORD src1_sel:DWORD
	v_lshlrev_b16_e32 v2, 8, v6
	v_and_b32_sdwa v5, v4, s4 dst_sel:DWORD dst_unused:UNUSED_PAD src0_sel:WORD_1 src1_sel:DWORD
	s_mov_b32 s5, 0x3060504
	v_or_b32_e32 v2, v5, v2
	s_mov_b32 s4, 0x5040c00
	v_perm_b32 v1, v1, v1, s5
	v_perm_b32 v5, v2, v4, s4
                                        ; implicit-def: $vgpr7
                                        ; implicit-def: $vgpr2
                                        ; implicit-def: $vgpr4
                                        ; implicit-def: $vgpr6
.LBB8_81:
	s_andn2_saveexec_b64 s[4:5], s[2:3]
	s_cbranch_execz .LBB8_85
; %bb.82:
	v_add_u32_e32 v3, s37, v11
	v_add_u32_e32 v5, s39, v11
	v_mul_lo_u32 v3, v3, s36
	v_mul_lo_u32 v5, v5, s38
	s_mov_b64 s[8:9], 0
	v_sub_u32_e32 v3, v3, v5
	v_cmp_lt_u32_e32 vcc, s40, v3
	v_cmp_ge_u32_e64 s[2:3], s40, v3
	s_and_saveexec_b64 s[10:11], s[2:3]
	s_cbranch_execz .LBB8_84
; %bb.83:
	v_add_u32_e32 v3, s42, v11
	v_add_u32_e32 v5, s58, v11
	v_mul_lo_u32 v3, v3, s41
	v_mul_lo_u32 v5, v5, s43
	v_sub_u32_e32 v3, v3, v5
	v_cmp_lt_u32_e64 s[2:3], s59, v3
	s_and_b64 s[8:9], s[2:3], exec
.LBB8_84:
	s_or_b64 exec, exec, s[10:11]
	s_movk_i32 s2, 0xff
	v_lshlrev_b16_e32 v7, 8, v7
	v_and_b32_sdwa v8, v2, s2 dst_sel:DWORD dst_unused:UNUSED_PAD src0_sel:WORD_1 src1_sel:DWORD
	v_or_b32_sdwa v7, v8, v7 dst_sel:WORD_1 dst_unused:UNUSED_PAD src0_sel:DWORD src1_sel:DWORD
	v_mov_b32_e32 v8, 8
	v_cndmask_b32_e64 v3, 0, 1, vcc
	v_lshrrev_b32_sdwa v2, v8, v2 dst_sel:BYTE_1 dst_unused:UNUSED_PAD src0_sel:DWORD src1_sel:DWORD
	v_cndmask_b32_e64 v5, 0, 1, s[8:9]
	v_or_b32_e32 v2, v3, v2
	v_or_b32_sdwa v3, v2, v7 dst_sel:DWORD dst_unused:UNUSED_PAD src0_sel:WORD_0 src1_sel:DWORD
	v_lshlrev_b16_e32 v2, 8, v5
	v_or_b32_sdwa v2, v4, v2 dst_sel:DWORD dst_unused:UNUSED_PAD src0_sel:BYTE_0 src1_sel:DWORD
	v_lshlrev_b16_e32 v5, 8, v6
	v_and_b32_sdwa v4, v4, s2 dst_sel:DWORD dst_unused:UNUSED_PAD src0_sel:WORD_1 src1_sel:DWORD
	v_or_b32_sdwa v4, v4, v5 dst_sel:WORD_1 dst_unused:UNUSED_PAD src0_sel:DWORD src1_sel:DWORD
	v_or_b32_sdwa v5, v2, v4 dst_sel:DWORD dst_unused:UNUSED_PAD src0_sel:WORD_0 src1_sel:DWORD
.LBB8_85:
	s_or_b64 exec, exec, s[4:5]
	v_add_u32_e32 v2, 9, v30
	v_cmp_le_u32_e32 vcc, s18, v2
	v_lshrrev_b32_e32 v6, 24, v5
	v_lshrrev_b32_e32 v7, 24, v3
                                        ; implicit-def: $vgpr2
                                        ; implicit-def: $vgpr4
	s_and_saveexec_b64 s[2:3], vcc
	s_xor_b64 s[2:3], exec, s[2:3]
	s_cbranch_execz .LBB8_87
; %bb.86:
	s_mov_b32 s4, 0x40c0100
	v_perm_b32 v2, v6, v5, s4
	v_mov_b32_e32 v4, 8
	s_movk_i32 s4, 0xff
	v_lshrrev_b32_sdwa v5, v4, v2 dst_sel:BYTE_1 dst_unused:UNUSED_PAD src0_sel:DWORD src1_sel:DWORD
	v_lshlrev_b16_e32 v4, 8, v7
	v_and_b32_sdwa v6, v3, s4 dst_sel:DWORD dst_unused:UNUSED_PAD src0_sel:WORD_1 src1_sel:DWORD
	v_or_b32_e32 v4, v6, v4
	s_mov_b32 s4, 0x5040c00
	v_perm_b32 v4, v4, v3, s4
	s_mov_b32 s4, 0x3060504
	v_or_b32_sdwa v3, v2, v5 dst_sel:DWORD dst_unused:UNUSED_PAD src0_sel:BYTE_0 src1_sel:DWORD
	v_perm_b32 v1, v1, v1, s4
	v_and_b32_e32 v3, 0xffff, v3
	s_mov_b32 s4, 0xff000000
	v_and_or_b32 v2, v2, s4, v3
                                        ; implicit-def: $vgpr3
                                        ; implicit-def: $vgpr7
                                        ; implicit-def: $vgpr5
                                        ; implicit-def: $vgpr6
.LBB8_87:
	s_andn2_saveexec_b64 s[4:5], s[2:3]
	s_cbranch_execz .LBB8_91
; %bb.88:
	v_add_u32_e32 v2, s37, v12
	v_add_u32_e32 v4, s39, v12
	v_mul_lo_u32 v2, v2, s36
	v_mul_lo_u32 v4, v4, s38
	s_mov_b64 s[8:9], 0
	v_sub_u32_e32 v2, v2, v4
	v_cmp_lt_u32_e32 vcc, s40, v2
	v_cmp_ge_u32_e64 s[2:3], s40, v2
	s_and_saveexec_b64 s[10:11], s[2:3]
	s_cbranch_execz .LBB8_90
; %bb.89:
	v_add_u32_e32 v2, s42, v12
	v_add_u32_e32 v4, s58, v12
	v_mul_lo_u32 v2, v2, s41
	v_mul_lo_u32 v4, v4, s43
	v_sub_u32_e32 v2, v2, v4
	v_cmp_lt_u32_e64 s[2:3], s59, v2
	s_and_b64 s[8:9], s[2:3], exec
.LBB8_90:
	s_or_b64 exec, exec, s[10:11]
	v_cndmask_b32_e64 v2, 0, 1, vcc
	v_lshlrev_b16_e32 v2, 8, v2
	s_movk_i32 s2, 0xff
	v_or_b32_sdwa v2, v3, v2 dst_sel:DWORD dst_unused:UNUSED_PAD src0_sel:BYTE_0 src1_sel:DWORD
	v_lshlrev_b16_e32 v4, 8, v7
	v_and_b32_sdwa v3, v3, s2 dst_sel:DWORD dst_unused:UNUSED_PAD src0_sel:WORD_1 src1_sel:DWORD
	v_or_b32_sdwa v3, v3, v4 dst_sel:WORD_1 dst_unused:UNUSED_PAD src0_sel:DWORD src1_sel:DWORD
	v_or_b32_sdwa v4, v2, v3 dst_sel:DWORD dst_unused:UNUSED_PAD src0_sel:WORD_0 src1_sel:DWORD
	v_mov_b32_e32 v2, 8
	v_cndmask_b32_e64 v8, 0, 1, s[8:9]
	v_lshrrev_b32_sdwa v2, v2, v5 dst_sel:BYTE_1 dst_unused:UNUSED_PAD src0_sel:DWORD src1_sel:DWORD
	v_lshlrev_b16_e32 v3, 8, v6
	v_or_b32_sdwa v2, v5, v2 dst_sel:DWORD dst_unused:UNUSED_PAD src0_sel:BYTE_0 src1_sel:DWORD
	v_or_b32_sdwa v3, v8, v3 dst_sel:WORD_1 dst_unused:UNUSED_PAD src0_sel:DWORD src1_sel:DWORD
	v_or_b32_sdwa v2, v2, v3 dst_sel:DWORD dst_unused:UNUSED_PAD src0_sel:WORD_0 src1_sel:DWORD
.LBB8_91:
	s_or_b64 exec, exec, s[4:5]
	v_add_u32_e32 v3, 10, v30
	v_cmp_le_u32_e32 vcc, s18, v3
	v_lshrrev_b32_e32 v5, 24, v4
                                        ; implicit-def: $vgpr34
                                        ; implicit-def: $vgpr3
	s_and_saveexec_b64 s[2:3], vcc
	s_xor_b64 s[2:3], exec, s[2:3]
	s_cbranch_execz .LBB8_93
; %bb.92:
	s_mov_b32 s4, 0x40c0100
	v_perm_b32 v3, v5, v4, s4
	v_mov_b32_e32 v4, 8
	v_lshrrev_b32_sdwa v4, v4, v3 dst_sel:BYTE_1 dst_unused:UNUSED_PAD src0_sel:DWORD src1_sel:DWORD
	v_or_b32_sdwa v4, v3, v4 dst_sel:DWORD dst_unused:UNUSED_PAD src0_sel:BYTE_0 src1_sel:DWORD
	v_and_b32_e32 v4, 0xffff, v4
	s_mov_b32 s4, 0xff000000
	v_and_or_b32 v3, v3, s4, v4
	s_mov_b32 s4, 0x3060504
	v_and_b32_e32 v6, 0xff0000, v2
	v_perm_b32 v1, v1, v1, s4
	s_mov_b32 s4, 0x3020504
	v_perm_b32 v34, v2, v6, s4
                                        ; implicit-def: $vgpr4
                                        ; implicit-def: $vgpr5
                                        ; implicit-def: $vgpr2
.LBB8_93:
	s_andn2_saveexec_b64 s[4:5], s[2:3]
	s_cbranch_execz .LBB8_97
; %bb.94:
	v_add_u32_e32 v3, s37, v9
	v_add_u32_e32 v6, s39, v9
	v_mul_lo_u32 v3, v3, s36
	v_mul_lo_u32 v6, v6, s38
	s_mov_b64 s[8:9], 0
	v_sub_u32_e32 v3, v3, v6
	v_cmp_lt_u32_e32 vcc, s40, v3
	v_cmp_ge_u32_e64 s[2:3], s40, v3
	s_and_saveexec_b64 s[10:11], s[2:3]
	s_cbranch_execz .LBB8_96
; %bb.95:
	v_add_u32_e32 v3, s42, v9
	v_add_u32_e32 v6, s58, v9
	v_mul_lo_u32 v3, v3, s41
	v_mul_lo_u32 v6, v6, s43
	v_sub_u32_e32 v3, v3, v6
	v_cmp_lt_u32_e64 s[2:3], s59, v3
	s_and_b64 s[8:9], s[2:3], exec
.LBB8_96:
	s_or_b64 exec, exec, s[10:11]
	v_mov_b32_e32 v7, 8
	v_cndmask_b32_e64 v3, 0, 1, vcc
	v_lshrrev_b32_sdwa v8, v7, v4 dst_sel:BYTE_1 dst_unused:UNUSED_PAD src0_sel:DWORD src1_sel:DWORD
	v_lshlrev_b16_e32 v5, 8, v5
	v_or_b32_sdwa v4, v4, v8 dst_sel:DWORD dst_unused:UNUSED_PAD src0_sel:BYTE_0 src1_sel:DWORD
	v_or_b32_sdwa v3, v3, v5 dst_sel:WORD_1 dst_unused:UNUSED_PAD src0_sel:DWORD src1_sel:DWORD
	v_cndmask_b32_e64 v6, 0, 1, s[8:9]
	s_movk_i32 s2, 0xff
	v_or_b32_sdwa v3, v4, v3 dst_sel:DWORD dst_unused:UNUSED_PAD src0_sel:WORD_0 src1_sel:DWORD
	v_lshrrev_b32_sdwa v4, v7, v2 dst_sel:BYTE_1 dst_unused:UNUSED_PAD src0_sel:DWORD src1_sel:DWORD
	v_or_b32_sdwa v4, v2, v4 dst_sel:DWORD dst_unused:UNUSED_PAD src0_sel:BYTE_0 src1_sel:DWORD
	v_lshlrev_b16_e32 v5, 8, v6
	v_and_b32_sdwa v2, v2, s2 dst_sel:DWORD dst_unused:UNUSED_PAD src0_sel:WORD_1 src1_sel:DWORD
	v_or_b32_sdwa v2, v2, v5 dst_sel:WORD_1 dst_unused:UNUSED_PAD src0_sel:DWORD src1_sel:DWORD
	v_or_b32_sdwa v34, v4, v2 dst_sel:DWORD dst_unused:UNUSED_PAD src0_sel:WORD_0 src1_sel:DWORD
.LBB8_97:
	s_or_b64 exec, exec, s[4:5]
	v_add_u32_e32 v2, 11, v30
	v_mov_b32_e32 v35, 0
	v_cmp_le_u32_e32 vcc, s18, v2
                                        ; implicit-def: $vgpr36
	s_and_saveexec_b64 s[2:3], vcc
	s_xor_b64 s[2:3], exec, s[2:3]
; %bb.98:
	v_and_b32_e32 v2, 0xff0000, v3
	s_mov_b32 s4, 0x3020504
	v_perm_b32 v36, v3, v2, s4
	s_mov_b32 s4, 0x3060504
	v_perm_b32 v1, v1, v1, s4
                                        ; implicit-def: $vgpr3
; %bb.99:
	s_andn2_saveexec_b64 s[4:5], s[2:3]
	s_cbranch_execz .LBB8_103
; %bb.100:
	v_add_u32_e32 v2, s37, v10
	v_add_u32_e32 v4, s39, v10
	v_mul_lo_u32 v2, v2, s36
	v_mul_lo_u32 v4, v4, s38
	s_mov_b64 s[8:9], 0
	v_sub_u32_e32 v2, v2, v4
	v_cmp_lt_u32_e32 vcc, s40, v2
	v_cmp_ge_u32_e64 s[2:3], s40, v2
	s_and_saveexec_b64 s[10:11], s[2:3]
	s_cbranch_execz .LBB8_102
; %bb.101:
	v_add_u32_e32 v2, s42, v10
	v_add_u32_e32 v4, s58, v10
	v_mul_lo_u32 v2, v2, s41
	v_mul_lo_u32 v4, v4, s43
	v_sub_u32_e32 v2, v2, v4
	v_cmp_lt_u32_e64 s[2:3], s59, v2
	s_and_b64 s[8:9], s[2:3], exec
.LBB8_102:
	s_or_b64 exec, exec, s[10:11]
	v_mov_b32_e32 v4, 8
	v_cndmask_b32_e64 v2, 0, 1, vcc
	s_movk_i32 s2, 0xff
	v_lshrrev_b32_sdwa v4, v4, v3 dst_sel:BYTE_1 dst_unused:UNUSED_PAD src0_sel:DWORD src1_sel:DWORD
	v_or_b32_sdwa v4, v3, v4 dst_sel:DWORD dst_unused:UNUSED_PAD src0_sel:BYTE_0 src1_sel:DWORD
	v_lshlrev_b16_e32 v2, 8, v2
	v_and_b32_sdwa v3, v3, s2 dst_sel:DWORD dst_unused:UNUSED_PAD src0_sel:WORD_1 src1_sel:DWORD
	v_or_b32_sdwa v2, v3, v2 dst_sel:WORD_1 dst_unused:UNUSED_PAD src0_sel:DWORD src1_sel:DWORD
	v_cndmask_b32_e64 v35, 0, 1, s[8:9]
	v_or_b32_sdwa v36, v4, v2 dst_sel:DWORD dst_unused:UNUSED_PAD src0_sel:WORD_0 src1_sel:DWORD
.LBB8_103:
	s_or_b64 exec, exec, s[4:5]
	v_add_u32_e32 v2, 12, v30
	v_cmp_le_u32_e32 vcc, s18, v2
	v_lshrrev_b32_e32 v2, 24, v1
                                        ; implicit-def: $vgpr37
	s_and_saveexec_b64 s[2:3], vcc
	s_xor_b64 s[2:3], exec, s[2:3]
; %bb.104:
	s_movk_i32 s4, 0xff
	v_lshlrev_b16_e32 v2, 8, v2
	v_and_b32_sdwa v4, v1, s4 dst_sel:DWORD dst_unused:UNUSED_PAD src0_sel:WORD_1 src1_sel:DWORD
	v_mov_b32_e32 v3, 8
	v_or_b32_sdwa v37, v4, v2 dst_sel:WORD_1 dst_unused:UNUSED_PAD src0_sel:DWORD src1_sel:DWORD
	v_lshrrev_b32_sdwa v37, v3, v1 dst_sel:BYTE_1 dst_unused:UNUSED_PRESERVE src0_sel:DWORD src1_sel:DWORD
                                        ; implicit-def: $vgpr2
                                        ; implicit-def: $vgpr1
; %bb.105:
	s_or_saveexec_b64 s[4:5], s[2:3]
	v_mov_b32_e32 v38, 0
	s_xor_b64 exec, exec, s[4:5]
	s_cbranch_execz .LBB8_109
; %bb.106:
	v_add_u32_e32 v3, s37, v29
	v_add_u32_e32 v4, s39, v29
	v_mul_lo_u32 v3, v3, s36
	v_mul_lo_u32 v4, v4, s38
	s_mov_b64 s[8:9], 0
	v_sub_u32_e32 v3, v3, v4
	v_cmp_lt_u32_e32 vcc, s40, v3
	v_cmp_ge_u32_e64 s[2:3], s40, v3
	s_and_saveexec_b64 s[10:11], s[2:3]
	s_cbranch_execz .LBB8_108
; %bb.107:
	v_add_u32_e32 v3, s42, v29
	v_add_u32_e32 v4, s58, v29
	v_mul_lo_u32 v3, v3, s41
	v_mul_lo_u32 v4, v4, s43
	v_sub_u32_e32 v3, v3, v4
	v_cmp_lt_u32_e64 s[2:3], s59, v3
	s_and_b64 s[8:9], s[2:3], exec
.LBB8_108:
	s_or_b64 exec, exec, s[10:11]
	s_movk_i32 s2, 0xff
	v_lshlrev_b16_e32 v2, 8, v2
	v_and_b32_sdwa v4, v1, s2 dst_sel:DWORD dst_unused:UNUSED_PAD src0_sel:WORD_1 src1_sel:DWORD
	v_or_b32_sdwa v2, v4, v2 dst_sel:WORD_1 dst_unused:UNUSED_PAD src0_sel:DWORD src1_sel:DWORD
	v_mov_b32_e32 v4, 8
	v_cndmask_b32_e64 v3, 0, 1, vcc
	v_lshrrev_b32_sdwa v1, v4, v1 dst_sel:BYTE_1 dst_unused:UNUSED_PAD src0_sel:DWORD src1_sel:DWORD
	v_or_b32_e32 v1, v3, v1
	v_cndmask_b32_e64 v38, 0, 1, s[8:9]
	v_or_b32_sdwa v37, v1, v2 dst_sel:DWORD dst_unused:UNUSED_PAD src0_sel:WORD_0 src1_sel:DWORD
.LBB8_109:
	s_or_b64 exec, exec, s[4:5]
.LBB8_110:
	v_and_b32_e32 v48, 0xff, v31
	v_bfe_u32 v45, v31, 8, 8
	v_bfe_u32 v50, v31, 16, 8
	v_lshrrev_b32_e32 v43, 24, v31
	v_and_b32_e32 v51, 0xff, v33
	v_add3_u32 v4, v45, v48, v50
	v_bfe_u32 v46, v33, 8, 8
	v_bfe_u32 v53, v33, 16, 8
	v_add3_u32 v4, v4, v43, v51
	v_bfe_u32 v49, v37, 8, 8
	v_bfe_u32 v57, v37, 16, 8
	v_lshrrev_b32_e32 v44, 24, v37
	v_lshrrev_b32_e32 v41, 24, v33
	v_and_b32_e32 v54, 0xff, v36
	v_add3_u32 v4, v4, v46, v53
	v_and_b32_e32 v58, 0xff, v32
	v_bfe_u32 v52, v32, 8, 8
	v_bfe_u32 v47, v36, 8, 8
	;; [unrolled: 1-line block ×3, first 2 shown]
	v_add3_u32 v3, v57, v49, v44
	v_add3_u32 v4, v4, v41, v54
	v_bfe_u32 v59, v32, 16, 8
	v_lshrrev_b32_e32 v42, 24, v32
	v_lshrrev_b32_e32 v39, 24, v36
	v_and_b32_e32 v1, 0xff, v37
	v_add3_u32 v3, v3, v58, v52
	v_add3_u32 v4, v4, v47, v56
	v_and_b32_e32 v60, 0xff, v34
	v_bfe_u32 v55, v34, 8, 8
	v_add3_u32 v3, v3, v59, v42
	v_add3_u32 v68, v4, v39, v1
	v_mbcnt_lo_u32_b32 v1, -1, 0
	v_bfe_u32 v61, v34, 16, 8
	v_lshrrev_b32_e32 v40, 24, v34
	v_add3_u32 v3, v3, v60, v55
	v_mbcnt_hi_u32_b32 v63, -1, v1
	v_and_b32_e32 v62, 0xff, v35
	v_and_b32_e32 v2, 0xff, v38
	v_add3_u32 v3, v3, v61, v40
	v_and_b32_e32 v67, 15, v63
	s_cmp_lg_u32 s6, 0
	v_add3_u32 v69, v3, v62, v2
	v_cmp_eq_u32_e64 s[4:5], 0, v67
	v_cmp_lt_u32_e64 s[2:3], 1, v67
	v_cmp_lt_u32_e64 s[8:9], 3, v67
	v_cmp_lt_u32_e64 s[10:11], 7, v67
	v_and_b32_e32 v66, 16, v63
	v_cmp_lt_u32_e32 vcc, 31, v63
	v_lshrrev_b32_e32 v64, 6, v0
	v_or_b32_e32 v65, 63, v0
	s_cbranch_scc0 .LBB8_132
; %bb.111:
	v_mov_b32_dpp v1, v68 row_shr:1 row_mask:0xf bank_mask:0xf
	v_mov_b32_dpp v2, v69 row_shr:1 row_mask:0xf bank_mask:0xf
	v_add_u32_e32 v1, v1, v68
	v_add_u32_e32 v2, v2, v69
	v_cndmask_b32_e64 v2, v2, v69, s[4:5]
	v_cndmask_b32_e64 v1, v1, v68, s[4:5]
	s_nop 0
	v_mov_b32_dpp v4, v2 row_shr:2 row_mask:0xf bank_mask:0xf
	v_mov_b32_dpp v3, v1 row_shr:2 row_mask:0xf bank_mask:0xf
	v_add_u32_e32 v3, v1, v3
	v_add_u32_e32 v4, v2, v4
	v_cndmask_b32_e64 v2, v2, v4, s[2:3]
	v_cndmask_b32_e64 v1, v1, v3, s[2:3]
	s_nop 0
	v_mov_b32_dpp v4, v2 row_shr:4 row_mask:0xf bank_mask:0xf
	v_mov_b32_dpp v3, v1 row_shr:4 row_mask:0xf bank_mask:0xf
	v_add_u32_e32 v3, v1, v3
	v_add_u32_e32 v4, v2, v4
	v_cndmask_b32_e64 v2, v2, v4, s[8:9]
	v_cndmask_b32_e64 v1, v1, v3, s[8:9]
	v_cmp_eq_u32_e64 s[8:9], 0, v66
	v_mov_b32_dpp v4, v2 row_shr:8 row_mask:0xf bank_mask:0xf
	v_mov_b32_dpp v3, v1 row_shr:8 row_mask:0xf bank_mask:0xf
	v_add_u32_e32 v3, v1, v3
	v_add_u32_e32 v4, v2, v4
	v_cndmask_b32_e64 v2, v2, v4, s[10:11]
	v_cndmask_b32_e64 v3, v1, v3, s[10:11]
	s_nop 0
	v_mov_b32_dpp v4, v2 row_bcast:15 row_mask:0xf bank_mask:0xf
	v_mov_b32_dpp v1, v3 row_bcast:15 row_mask:0xf bank_mask:0xf
	v_add_u32_e32 v5, v3, v1
	v_add_u32_e32 v1, v2, v4
	v_cndmask_b32_e64 v1, v1, v2, s[8:9]
	v_cndmask_b32_e64 v2, v5, v3, s[8:9]
	v_cmp_eq_u32_e64 s[8:9], v0, v65
	v_mov_b32_dpp v3, v1 row_bcast:31 row_mask:0xf bank_mask:0xf
	v_mov_b32_dpp v4, v2 row_bcast:31 row_mask:0xf bank_mask:0xf
	v_add_u32_e32 v3, v1, v3
	v_add_u32_e32 v4, v2, v4
	s_and_saveexec_b64 s[10:11], s[8:9]
; %bb.112:
	v_lshlrev_b32_e32 v7, 3, v64
	v_cndmask_b32_e32 v6, v1, v3, vcc
	v_cndmask_b32_e32 v5, v2, v4, vcc
	ds_write_b64 v7, v[5:6]
; %bb.113:
	s_or_b64 exec, exec, s[10:11]
	v_cmp_gt_u32_e64 s[8:9], 4, v0
	s_waitcnt lgkmcnt(0)
	s_barrier
	s_and_saveexec_b64 s[10:11], s[8:9]
	s_cbranch_execz .LBB8_115
; %bb.114:
	v_lshlrev_b32_e32 v7, 3, v0
	ds_read_b64 v[5:6], v7
	v_and_b32_e32 v8, 3, v63
	v_cmp_eq_u32_e64 s[8:9], 0, v8
	s_waitcnt lgkmcnt(0)
	v_mov_b32_dpp v21, v5 row_shr:1 row_mask:0xf bank_mask:0xf
	v_mov_b32_dpp v22, v6 row_shr:1 row_mask:0xf bank_mask:0xf
	v_add_u32_e32 v21, v21, v5
	v_add_u32_e32 v22, v22, v6
	v_cndmask_b32_e64 v6, v22, v6, s[8:9]
	v_cndmask_b32_e64 v5, v21, v5, s[8:9]
	v_cmp_lt_u32_e64 s[8:9], 1, v8
	v_mov_b32_dpp v22, v6 row_shr:2 row_mask:0xf bank_mask:0xf
	v_mov_b32_dpp v21, v5 row_shr:2 row_mask:0xf bank_mask:0xf
	v_cndmask_b32_e64 v8, 0, v21, s[8:9]
	v_cndmask_b32_e64 v21, 0, v22, s[8:9]
	v_add_u32_e32 v6, v21, v6
	v_add_u32_e32 v5, v8, v5
	ds_write_b64 v7, v[5:6]
.LBB8_115:
	s_or_b64 exec, exec, s[10:11]
	v_cndmask_b32_e32 v1, v1, v3, vcc
	v_cndmask_b32_e32 v2, v2, v4, vcc
	v_cmp_gt_u32_e32 vcc, 64, v0
	v_cmp_lt_u32_e64 s[8:9], 63, v0
	s_waitcnt lgkmcnt(0)
	s_barrier
                                        ; implicit-def: $vgpr21
	s_and_saveexec_b64 s[10:11], s[8:9]
	s_cbranch_execz .LBB8_117
; %bb.116:
	v_lshl_add_u32 v3, v64, 3, -8
	ds_read_b64 v[21:22], v3
	s_waitcnt lgkmcnt(0)
	v_add_u32_e32 v1, v22, v1
	v_add_u32_e32 v2, v21, v2
.LBB8_117:
	s_or_b64 exec, exec, s[10:11]
	v_subrev_co_u32_e64 v3, s[8:9], 1, v63
	v_and_b32_e32 v4, 64, v63
	v_cmp_lt_i32_e64 s[10:11], v3, v4
	v_cndmask_b32_e64 v3, v3, v63, s[10:11]
	v_lshlrev_b32_e32 v3, 2, v3
	ds_bpermute_b32 v70, v3, v2
	ds_bpermute_b32 v71, v3, v1
	s_and_saveexec_b64 s[10:11], vcc
	s_cbranch_execz .LBB8_137
; %bb.118:
	v_mov_b32_e32 v4, 0
	ds_read_b64 v[1:2], v4 offset:24
	s_and_saveexec_b64 s[14:15], s[8:9]
	s_cbranch_execz .LBB8_120
; %bb.119:
	s_add_i32 s16, s6, 64
	s_mov_b32 s17, 0
	s_lshl_b64 s[16:17], s[16:17], 4
	s_add_u32 s16, s12, s16
	s_addc_u32 s17, s13, s17
	v_mov_b32_e32 v5, s16
	v_mov_b32_e32 v3, 1
	;; [unrolled: 1-line block ×3, first 2 shown]
	s_waitcnt lgkmcnt(0)
	;;#ASMSTART
	global_store_dwordx4 v[5:6], v[1:4] off	
s_waitcnt vmcnt(0)
	;;#ASMEND
.LBB8_120:
	s_or_b64 exec, exec, s[14:15]
	v_xad_u32 v23, v63, -1, s6
	v_add_u32_e32 v3, 64, v23
	v_lshlrev_b64 v[5:6], 4, v[3:4]
	v_mov_b32_e32 v3, s13
	v_add_co_u32_e32 v24, vcc, s12, v5
	v_addc_co_u32_e32 v25, vcc, v3, v6, vcc
	;;#ASMSTART
	global_load_dwordx4 v[5:8], v[24:25] off glc	
s_waitcnt vmcnt(0)
	;;#ASMEND
	v_cmp_eq_u16_sdwa s[16:17], v7, v4 src0_sel:BYTE_0 src1_sel:DWORD
	s_and_saveexec_b64 s[14:15], s[16:17]
	s_cbranch_execz .LBB8_124
; %bb.121:
	s_mov_b64 s[16:17], 0
	v_mov_b32_e32 v3, 0
.LBB8_122:                              ; =>This Inner Loop Header: Depth=1
	;;#ASMSTART
	global_load_dwordx4 v[5:8], v[24:25] off glc	
s_waitcnt vmcnt(0)
	;;#ASMEND
	v_cmp_ne_u16_sdwa s[20:21], v7, v3 src0_sel:BYTE_0 src1_sel:DWORD
	s_or_b64 s[16:17], s[20:21], s[16:17]
	s_andn2_b64 exec, exec, s[16:17]
	s_cbranch_execnz .LBB8_122
; %bb.123:
	s_or_b64 exec, exec, s[16:17]
.LBB8_124:
	s_or_b64 exec, exec, s[14:15]
	v_and_b32_e32 v73, 63, v63
	v_cmp_ne_u32_e32 vcc, 63, v73
	v_mov_b32_e32 v72, 2
	v_lshlrev_b64 v[25:26], v63, -1
	v_addc_co_u32_e32 v8, vcc, 0, v63, vcc
	v_cmp_eq_u16_sdwa s[14:15], v7, v72 src0_sel:BYTE_0 src1_sel:DWORD
	v_lshlrev_b32_e32 v74, 2, v8
	v_and_b32_e32 v3, s15, v26
	ds_bpermute_b32 v8, v74, v5
	ds_bpermute_b32 v24, v74, v6
	v_or_b32_e32 v3, 0x80000000, v3
	v_and_b32_e32 v4, s14, v25
	v_ffbl_b32_e32 v3, v3
	v_add_u32_e32 v3, 32, v3
	v_ffbl_b32_e32 v4, v4
	v_min_u32_e32 v3, v4, v3
	s_waitcnt lgkmcnt(1)
	v_add_u32_e32 v4, v8, v5
	s_waitcnt lgkmcnt(0)
	v_add_u32_e32 v8, v24, v6
	v_cmp_lt_u32_e32 vcc, v73, v3
	v_cndmask_b32_e32 v6, v6, v8, vcc
	v_cndmask_b32_e32 v4, v5, v4, vcc
	v_cmp_gt_u32_e32 vcc, 62, v73
	v_cndmask_b32_e64 v5, 0, 2, vcc
	v_add_lshl_u32 v75, v5, v63, 2
	ds_bpermute_b32 v5, v75, v4
	ds_bpermute_b32 v8, v75, v6
	v_add_u32_e32 v76, 2, v73
	v_cmp_gt_u32_e32 vcc, v76, v3
	v_add_u32_e32 v78, 4, v73
	s_waitcnt lgkmcnt(1)
	v_add_u32_e32 v5, v4, v5
	s_waitcnt lgkmcnt(0)
	v_add_u32_e32 v8, v6, v8
	v_cndmask_b32_e32 v6, v8, v6, vcc
	v_cndmask_b32_e32 v4, v5, v4, vcc
	v_cmp_gt_u32_e32 vcc, 60, v73
	v_cndmask_b32_e64 v5, 0, 4, vcc
	v_add_lshl_u32 v77, v5, v63, 2
	ds_bpermute_b32 v5, v77, v4
	ds_bpermute_b32 v8, v77, v6
	v_cmp_gt_u32_e32 vcc, v78, v3
	v_add_u32_e32 v80, 8, v73
	v_add_u32_e32 v82, 16, v73
	s_waitcnt lgkmcnt(1)
	v_add_u32_e32 v5, v4, v5
	s_waitcnt lgkmcnt(0)
	v_add_u32_e32 v8, v6, v8
	v_cndmask_b32_e32 v6, v8, v6, vcc
	v_cndmask_b32_e32 v4, v5, v4, vcc
	v_cmp_gt_u32_e32 vcc, 56, v73
	v_cndmask_b32_e64 v5, 0, 8, vcc
	v_add_lshl_u32 v79, v5, v63, 2
	ds_bpermute_b32 v5, v79, v4
	ds_bpermute_b32 v8, v79, v6
	v_cmp_gt_u32_e32 vcc, v80, v3
	v_add_u32_e32 v84, 32, v73
	v_mov_b32_e32 v24, 0
	s_waitcnt lgkmcnt(1)
	v_add_u32_e32 v5, v4, v5
	s_waitcnt lgkmcnt(0)
	v_add_u32_e32 v8, v6, v8
	v_cndmask_b32_e32 v6, v8, v6, vcc
	v_cndmask_b32_e32 v4, v5, v4, vcc
	v_cmp_gt_u32_e32 vcc, 48, v73
	v_cndmask_b32_e64 v5, 0, 16, vcc
	v_add_lshl_u32 v81, v5, v63, 2
	ds_bpermute_b32 v5, v81, v4
	ds_bpermute_b32 v8, v81, v6
	v_cmp_gt_u32_e32 vcc, v82, v3
	s_waitcnt lgkmcnt(1)
	v_add_u32_e32 v5, v4, v5
	s_waitcnt lgkmcnt(0)
	v_add_u32_e32 v8, v6, v8
	v_cndmask_b32_e32 v4, v5, v4, vcc
	v_mov_b32_e32 v5, 0x80
	v_cndmask_b32_e32 v6, v8, v6, vcc
	v_lshl_or_b32 v83, v63, 2, v5
	ds_bpermute_b32 v5, v83, v4
	ds_bpermute_b32 v8, v83, v6
	v_cmp_le_u32_e32 vcc, v84, v3
	s_waitcnt lgkmcnt(1)
	v_cndmask_b32_e32 v3, 0, v5, vcc
	s_waitcnt lgkmcnt(0)
	v_cndmask_b32_e32 v5, 0, v8, vcc
	v_add_u32_e32 v6, v6, v5
	v_add_u32_e32 v5, v4, v3
	s_branch .LBB8_128
.LBB8_125:                              ;   in Loop: Header=BB8_128 Depth=1
	s_or_b64 exec, exec, s[16:17]
.LBB8_126:                              ;   in Loop: Header=BB8_128 Depth=1
	s_or_b64 exec, exec, s[14:15]
	v_cmp_eq_u16_sdwa s[14:15], v7, v72 src0_sel:BYTE_0 src1_sel:DWORD
	v_and_b32_e32 v8, s15, v26
	ds_bpermute_b32 v28, v74, v5
	ds_bpermute_b32 v85, v74, v6
	v_or_b32_e32 v8, 0x80000000, v8
	v_and_b32_e32 v27, s14, v25
	v_ffbl_b32_e32 v8, v8
	v_add_u32_e32 v8, 32, v8
	v_ffbl_b32_e32 v27, v27
	v_min_u32_e32 v8, v27, v8
	s_waitcnt lgkmcnt(1)
	v_add_u32_e32 v27, v28, v5
	s_waitcnt lgkmcnt(0)
	v_add_u32_e32 v28, v85, v6
	v_cmp_lt_u32_e32 vcc, v73, v8
	v_cndmask_b32_e32 v6, v6, v28, vcc
	v_cndmask_b32_e32 v5, v5, v27, vcc
	ds_bpermute_b32 v27, v75, v5
	ds_bpermute_b32 v28, v75, v6
	v_cmp_gt_u32_e32 vcc, v76, v8
	v_subrev_u32_e32 v23, 64, v23
	s_mov_b64 s[14:15], 0
	s_waitcnt lgkmcnt(1)
	v_add_u32_e32 v27, v5, v27
	s_waitcnt lgkmcnt(0)
	v_add_u32_e32 v28, v6, v28
	v_cndmask_b32_e32 v6, v28, v6, vcc
	v_cndmask_b32_e32 v5, v27, v5, vcc
	ds_bpermute_b32 v27, v77, v5
	ds_bpermute_b32 v28, v77, v6
	v_cmp_gt_u32_e32 vcc, v78, v8
	s_waitcnt lgkmcnt(1)
	v_add_u32_e32 v27, v5, v27
	s_waitcnt lgkmcnt(0)
	v_add_u32_e32 v28, v6, v28
	v_cndmask_b32_e32 v6, v28, v6, vcc
	v_cndmask_b32_e32 v5, v27, v5, vcc
	ds_bpermute_b32 v27, v79, v5
	ds_bpermute_b32 v28, v79, v6
	v_cmp_gt_u32_e32 vcc, v80, v8
	;; [unrolled: 9-line block ×3, first 2 shown]
	s_waitcnt lgkmcnt(1)
	v_add_u32_e32 v27, v5, v27
	s_waitcnt lgkmcnt(0)
	v_add_u32_e32 v28, v6, v28
	v_cndmask_b32_e32 v6, v28, v6, vcc
	v_cndmask_b32_e32 v5, v27, v5, vcc
	ds_bpermute_b32 v27, v83, v5
	ds_bpermute_b32 v28, v83, v6
	v_cmp_le_u32_e32 vcc, v84, v8
	s_waitcnt lgkmcnt(1)
	v_cndmask_b32_e32 v8, 0, v27, vcc
	s_waitcnt lgkmcnt(0)
	v_cndmask_b32_e32 v27, 0, v28, vcc
	v_add3_u32 v6, v27, v4, v6
	v_add3_u32 v5, v8, v3, v5
.LBB8_127:                              ;   in Loop: Header=BB8_128 Depth=1
	s_and_b64 vcc, exec, s[14:15]
	s_cbranch_vccnz .LBB8_133
.LBB8_128:                              ; =>This Loop Header: Depth=1
                                        ;     Child Loop BB8_131 Depth 2
	v_mov_b32_e32 v3, v5
	v_cmp_ne_u16_sdwa s[14:15], v7, v72 src0_sel:BYTE_0 src1_sel:DWORD
	v_mov_b32_e32 v4, v6
	s_cmp_lg_u64 s[14:15], exec
	s_mov_b64 s[14:15], -1
                                        ; implicit-def: $vgpr7
                                        ; implicit-def: $vgpr5_vgpr6
	s_cbranch_scc1 .LBB8_127
; %bb.129:                              ;   in Loop: Header=BB8_128 Depth=1
	v_lshlrev_b64 v[5:6], 4, v[23:24]
	v_mov_b32_e32 v7, s13
	v_add_co_u32_e32 v27, vcc, s12, v5
	v_addc_co_u32_e32 v28, vcc, v7, v6, vcc
	;;#ASMSTART
	global_load_dwordx4 v[5:8], v[27:28] off glc	
s_waitcnt vmcnt(0)
	;;#ASMEND
	v_cmp_eq_u16_sdwa s[16:17], v7, v24 src0_sel:BYTE_0 src1_sel:DWORD
	s_and_saveexec_b64 s[14:15], s[16:17]
	s_cbranch_execz .LBB8_126
; %bb.130:                              ;   in Loop: Header=BB8_128 Depth=1
	s_mov_b64 s[16:17], 0
.LBB8_131:                              ;   Parent Loop BB8_128 Depth=1
                                        ; =>  This Inner Loop Header: Depth=2
	;;#ASMSTART
	global_load_dwordx4 v[5:8], v[27:28] off glc	
s_waitcnt vmcnt(0)
	;;#ASMEND
	v_cmp_ne_u16_sdwa s[20:21], v7, v24 src0_sel:BYTE_0 src1_sel:DWORD
	s_or_b64 s[16:17], s[20:21], s[16:17]
	s_andn2_b64 exec, exec, s[16:17]
	s_cbranch_execnz .LBB8_131
	s_branch .LBB8_125
.LBB8_132:
                                        ; implicit-def: $vgpr22
                                        ; implicit-def: $vgpr3
                                        ; implicit-def: $vgpr23
	s_cbranch_execnz .LBB8_138
	s_branch .LBB8_147
.LBB8_133:
	s_and_saveexec_b64 s[14:15], s[8:9]
	s_cbranch_execnz .LBB8_375
; %bb.134:
	s_or_b64 exec, exec, s[14:15]
	s_and_saveexec_b64 s[6:7], s[8:9]
	s_cbranch_execnz .LBB8_376
.LBB8_135:
	s_or_b64 exec, exec, s[6:7]
	v_cmp_eq_u32_e32 vcc, 0, v0
	s_and_b64 exec, exec, vcc
.LBB8_136:
	v_mov_b32_e32 v1, 0
	ds_write_b64 v1, v[3:4] offset:24
.LBB8_137:
	s_or_b64 exec, exec, s[10:11]
	v_mov_b32_e32 v1, 0
	s_waitcnt lgkmcnt(0)
	s_barrier
	ds_read_b64 v[5:6], v1 offset:24
	v_cndmask_b32_e64 v2, v71, v22, s[8:9]
	v_cndmask_b32_e64 v3, v70, v21, s[8:9]
	s_waitcnt lgkmcnt(0)
	s_barrier
	v_add_u32_e32 v7, v5, v3
	v_add_u32_e32 v8, v6, v2
	ds_read_b128 v[1:4], v1 offset:13312
	v_cmp_eq_u32_e32 vcc, 0, v0
	v_cndmask_b32_e32 v22, v8, v6, vcc
	v_cndmask_b32_e32 v23, v7, v5, vcc
	s_branch .LBB8_147
.LBB8_138:
	s_waitcnt lgkmcnt(0)
	v_mov_b32_dpp v1, v68 row_shr:1 row_mask:0xf bank_mask:0xf
	v_mov_b32_dpp v2, v69 row_shr:1 row_mask:0xf bank_mask:0xf
	v_add_u32_e32 v1, v1, v68
	v_add_u32_e32 v2, v2, v69
	v_cndmask_b32_e64 v2, v2, v69, s[4:5]
	v_cndmask_b32_e64 v1, v1, v68, s[4:5]
	v_cmp_lt_u32_e32 vcc, 3, v67
	v_mov_b32_dpp v4, v2 row_shr:2 row_mask:0xf bank_mask:0xf
	v_mov_b32_dpp v3, v1 row_shr:2 row_mask:0xf bank_mask:0xf
	v_add_u32_e32 v3, v1, v3
	v_add_u32_e32 v4, v2, v4
	v_cndmask_b32_e64 v2, v2, v4, s[2:3]
	v_cndmask_b32_e64 v1, v1, v3, s[2:3]
	v_cmp_eq_u32_e64 s[2:3], v0, v65
	v_mov_b32_dpp v4, v2 row_shr:4 row_mask:0xf bank_mask:0xf
	v_mov_b32_dpp v3, v1 row_shr:4 row_mask:0xf bank_mask:0xf
	v_add_u32_e32 v3, v1, v3
	v_add_u32_e32 v4, v2, v4
	v_cndmask_b32_e32 v2, v2, v4, vcc
	v_cndmask_b32_e32 v1, v1, v3, vcc
	v_cmp_lt_u32_e32 vcc, 7, v67
	v_mov_b32_dpp v4, v2 row_shr:8 row_mask:0xf bank_mask:0xf
	v_mov_b32_dpp v3, v1 row_shr:8 row_mask:0xf bank_mask:0xf
	v_add_u32_e32 v3, v1, v3
	v_add_u32_e32 v4, v2, v4
	v_cndmask_b32_e32 v2, v2, v4, vcc
	v_cndmask_b32_e32 v3, v1, v3, vcc
	v_cmp_eq_u32_e32 vcc, 0, v66
	v_mov_b32_dpp v4, v2 row_bcast:15 row_mask:0xf bank_mask:0xf
	v_mov_b32_dpp v1, v3 row_bcast:15 row_mask:0xf bank_mask:0xf
	v_add_u32_e32 v5, v3, v1
	v_add_u32_e32 v1, v2, v4
	v_cndmask_b32_e32 v1, v1, v2, vcc
	v_cndmask_b32_e32 v2, v5, v3, vcc
	v_cmp_lt_u32_e32 vcc, 31, v63
	v_mov_b32_dpp v3, v1 row_bcast:31 row_mask:0xf bank_mask:0xf
	v_mov_b32_dpp v4, v2 row_bcast:31 row_mask:0xf bank_mask:0xf
	v_add_u32_e32 v3, v1, v3
	v_add_u32_e32 v4, v2, v4
	s_and_saveexec_b64 s[4:5], s[2:3]
; %bb.139:
	v_cndmask_b32_e32 v5, v2, v4, vcc
	v_cndmask_b32_e32 v6, v1, v3, vcc
	v_lshlrev_b32_e32 v7, 3, v64
	ds_write_b64 v7, v[5:6]
; %bb.140:
	s_or_b64 exec, exec, s[4:5]
	v_cmp_gt_u32_e64 s[2:3], 4, v0
	s_waitcnt lgkmcnt(0)
	s_barrier
	s_and_saveexec_b64 s[4:5], s[2:3]
	s_cbranch_execz .LBB8_142
; %bb.141:
	v_lshlrev_b32_e32 v7, 3, v0
	ds_read_b64 v[5:6], v7
	v_and_b32_e32 v8, 3, v63
	v_cmp_eq_u32_e64 s[2:3], 0, v8
	s_waitcnt lgkmcnt(0)
	v_mov_b32_dpp v21, v5 row_shr:1 row_mask:0xf bank_mask:0xf
	v_mov_b32_dpp v22, v6 row_shr:1 row_mask:0xf bank_mask:0xf
	v_add_u32_e32 v21, v21, v5
	v_add_u32_e32 v22, v22, v6
	v_cndmask_b32_e64 v6, v22, v6, s[2:3]
	v_cndmask_b32_e64 v5, v21, v5, s[2:3]
	v_cmp_lt_u32_e64 s[2:3], 1, v8
	v_mov_b32_dpp v22, v6 row_shr:2 row_mask:0xf bank_mask:0xf
	v_mov_b32_dpp v21, v5 row_shr:2 row_mask:0xf bank_mask:0xf
	v_cndmask_b32_e64 v8, 0, v21, s[2:3]
	v_cndmask_b32_e64 v21, 0, v22, s[2:3]
	v_add_u32_e32 v6, v21, v6
	v_add_u32_e32 v5, v8, v5
	ds_write_b64 v7, v[5:6]
.LBB8_142:
	s_or_b64 exec, exec, s[4:5]
	v_cmp_lt_u32_e64 s[2:3], 63, v0
	v_mov_b32_e32 v7, 0
	v_mov_b32_e32 v5, 0
	;; [unrolled: 1-line block ×3, first 2 shown]
	s_waitcnt lgkmcnt(0)
	s_barrier
	s_and_saveexec_b64 s[4:5], s[2:3]
; %bb.143:
	v_lshl_add_u32 v5, v64, 3, -8
	ds_read_b64 v[5:6], v5
; %bb.144:
	s_or_b64 exec, exec, s[4:5]
	v_cndmask_b32_e32 v2, v2, v4, vcc
	v_cndmask_b32_e32 v1, v1, v3, vcc
	v_subrev_co_u32_e32 v3, vcc, 1, v63
	v_and_b32_e32 v4, 64, v63
	v_cmp_lt_i32_e64 s[2:3], v3, v4
	v_cndmask_b32_e64 v3, v3, v63, s[2:3]
	s_waitcnt lgkmcnt(0)
	v_add_u32_e32 v1, v6, v1
	v_add_u32_e32 v2, v5, v2
	v_lshlrev_b32_e32 v3, 2, v3
	ds_bpermute_b32 v8, v3, v2
	ds_bpermute_b32 v21, v3, v1
	ds_read_b64 v[1:2], v7 offset:24
	v_cmp_eq_u32_e64 s[2:3], 0, v0
	s_and_saveexec_b64 s[4:5], s[2:3]
	s_cbranch_execz .LBB8_146
; %bb.145:
	s_add_u32 s6, s12, 0x400
	s_addc_u32 s7, s13, 0
	v_mov_b32_e32 v23, s7
	v_mov_b32_e32 v3, 2
	;; [unrolled: 1-line block ×4, first 2 shown]
	s_waitcnt lgkmcnt(0)
	;;#ASMSTART
	global_store_dwordx4 v[22:23], v[1:4] off	
s_waitcnt vmcnt(0)
	;;#ASMEND
.LBB8_146:
	s_or_b64 exec, exec, s[4:5]
	s_waitcnt lgkmcnt(2)
	v_cndmask_b32_e32 v3, v8, v5, vcc
	s_waitcnt lgkmcnt(1)
	v_cndmask_b32_e32 v4, v21, v6, vcc
	v_cndmask_b32_e64 v22, v4, 0, s[2:3]
	v_cndmask_b32_e64 v23, v3, 0, s[2:3]
	v_mov_b32_e32 v4, 0
	v_mov_b32_e32 v3, 0
	s_waitcnt lgkmcnt(0)
	s_barrier
.LBB8_147:
	v_mov_b32_e32 v6, s49
	s_waitcnt lgkmcnt(0)
	v_add_co_u32_e32 v5, vcc, s48, v3
	v_addc_co_u32_e32 v6, vcc, 0, v6, vcc
	v_mov_b32_e32 v27, s51
	v_sub_co_u32_e32 v28, vcc, s50, v1
	v_subbrev_co_u32_e32 v69, vcc, 0, v27, vcc
	v_add_co_u32_e32 v27, vcc, v28, v4
	v_add_u32_e32 v49, v22, v49
	v_addc_co_u32_e32 v28, vcc, 0, v69, vcc
	v_lshlrev_b32_e32 v69, 1, v1
	v_sub_u32_e32 v22, v22, v4
	v_lshrrev_b32_e32 v26, 8, v37
	v_add_u32_e32 v48, v23, v48
	v_add_u32_e32 v70, v69, v2
	v_sub_u32_e32 v23, v23, v3
	v_add_u32_e32 v22, v22, v1
	v_add_u32_e32 v30, v70, v30
	v_and_b32_e32 v26, 1, v26
	v_add_u32_e32 v71, v23, v22
	v_and_b32_e32 v70, 1, v31
	v_sub_u32_e32 v71, v30, v71
	v_cmp_eq_u32_e32 vcc, 1, v26
	v_cndmask_b32_e32 v22, v71, v22, vcc
	v_cmp_eq_u32_e32 vcc, 1, v70
	v_cndmask_b32_e32 v22, v22, v23, vcc
	v_lshlrev_b32_e32 v22, 2, v22
	v_sub_u32_e32 v23, v49, v4
	v_lshrrev_b32_e32 v25, 8, v31
	ds_write_b32 v22, v19
	v_sub_u32_e32 v19, v48, v3
	v_add_u32_e32 v23, v23, v1
	v_add_u32_e32 v45, v48, v45
	v_and_b32_e32 v22, 1, v25
	v_mov_b32_e32 v25, 1
	v_add_u32_e32 v48, v23, v19
	v_and_b32_sdwa v26, v25, v37 dst_sel:DWORD dst_unused:UNUSED_PAD src0_sel:DWORD src1_sel:WORD_1
	v_sub_u32_e32 v48, v30, v48
	v_add_u32_e32 v48, 1, v48
	v_cmp_eq_u32_e32 vcc, 1, v26
	v_cndmask_b32_e32 v23, v48, v23, vcc
	v_cmp_eq_u32_e32 vcc, 1, v22
	v_add_u32_e32 v57, v49, v57
	v_cndmask_b32_e32 v19, v23, v19, vcc
	v_lshlrev_b32_e32 v19, 2, v19
	v_sub_u32_e32 v22, v57, v4
	ds_write_b32 v19, v20
	v_sub_u32_e32 v19, v45, v3
	v_add_u32_e32 v22, v22, v1
	v_add_u32_e32 v26, v22, v19
	v_and_b32_e32 v23, 1, v44
	v_sub_u32_e32 v26, v30, v26
	v_and_b32_sdwa v20, v25, v31 dst_sel:DWORD dst_unused:UNUSED_PAD src0_sel:DWORD src1_sel:WORD_1
	v_add_u32_e32 v26, 2, v26
	v_cmp_eq_u32_e32 vcc, 1, v23
	v_cndmask_b32_e32 v22, v26, v22, vcc
	v_cmp_eq_u32_e32 vcc, 1, v20
	v_add_u32_e32 v63, v57, v44
	v_cndmask_b32_e32 v19, v22, v19, vcc
	v_add_u32_e32 v50, v45, v50
	v_lshlrev_b32_e32 v19, 2, v19
	v_sub_u32_e32 v20, v63, v4
	ds_write_b32 v19, v17
	v_sub_u32_e32 v17, v50, v3
	v_add_u32_e32 v20, v20, v1
	v_add_u32_e32 v23, v17, v20
	v_and_b32_e32 v22, 1, v32
	v_sub_u32_e32 v23, v30, v23
	v_and_b32_e32 v19, 1, v43
	v_add_u32_e32 v23, 3, v23
	v_cmp_eq_u32_e32 vcc, 1, v22
	v_cndmask_b32_e32 v20, v23, v20, vcc
	v_cmp_eq_u32_e32 vcc, 1, v19
	v_add_u32_e32 v58, v63, v58
	v_cndmask_b32_e32 v17, v20, v17, vcc
	v_add_u32_e32 v64, v50, v43
	v_lshlrev_b32_e32 v17, 2, v17
	v_sub_u32_e32 v19, v58, v4
	ds_write_b32 v17, v18
	v_sub_u32_e32 v17, v64, v3
	v_add_u32_e32 v19, v19, v1
	v_lshrrev_b32_e32 v24, 8, v32
	v_add_u32_e32 v22, v17, v19
	v_and_b32_e32 v20, 1, v24
	v_sub_u32_e32 v22, v30, v22
	v_and_b32_e32 v18, 1, v33
	v_add_u32_e32 v22, 4, v22
	v_cmp_eq_u32_e32 vcc, 1, v20
	v_cndmask_b32_e32 v19, v22, v19, vcc
	v_cmp_eq_u32_e32 vcc, 1, v18
	v_add_u32_e32 v52, v58, v52
	v_cndmask_b32_e32 v17, v19, v17, vcc
	v_add_u32_e32 v51, v64, v51
	v_lshlrev_b32_e32 v17, 2, v17
	v_sub_u32_e32 v18, v52, v4
	ds_write_b32 v17, v15
	v_sub_u32_e32 v15, v51, v3
	v_add_u32_e32 v18, v18, v1
	v_add_u32_e32 v20, v15, v18
	v_lshrrev_b32_e32 v21, 8, v33
	v_and_b32_sdwa v19, v25, v32 dst_sel:DWORD dst_unused:UNUSED_PAD src0_sel:DWORD src1_sel:WORD_1
	v_sub_u32_e32 v20, v30, v20
	v_and_b32_e32 v17, 1, v21
	v_add_u32_e32 v20, 5, v20
	v_cmp_eq_u32_e32 vcc, 1, v19
	v_cndmask_b32_e32 v18, v20, v18, vcc
	v_cmp_eq_u32_e32 vcc, 1, v17
	v_add_u32_e32 v59, v52, v59
	v_cndmask_b32_e32 v15, v18, v15, vcc
	v_add_u32_e32 v46, v51, v46
	v_lshlrev_b32_e32 v15, 2, v15
	v_sub_u32_e32 v17, v59, v4
	ds_write_b32 v15, v16
	v_sub_u32_e32 v15, v46, v3
	v_add_u32_e32 v17, v17, v1
	v_add_u32_e32 v19, v15, v17
	v_and_b32_e32 v18, 1, v42
	v_sub_u32_e32 v19, v30, v19
	v_and_b32_sdwa v16, v25, v33 dst_sel:DWORD dst_unused:UNUSED_PAD src0_sel:DWORD src1_sel:WORD_1
	v_add_u32_e32 v19, 6, v19
	v_cmp_eq_u32_e32 vcc, 1, v18
	v_cndmask_b32_e32 v17, v19, v17, vcc
	v_cmp_eq_u32_e32 vcc, 1, v16
	v_add_u32_e32 v65, v59, v42
	v_cndmask_b32_e32 v15, v17, v15, vcc
	v_add_u32_e32 v53, v46, v53
	v_lshlrev_b32_e32 v15, 2, v15
	v_sub_u32_e32 v16, v65, v4
	ds_write_b32 v15, v13
	v_sub_u32_e32 v13, v53, v3
	v_add_u32_e32 v16, v16, v1
	v_add_u32_e32 v18, v13, v16
	v_and_b32_e32 v17, 1, v34
	v_sub_u32_e32 v18, v30, v18
	v_and_b32_e32 v15, 1, v41
	v_add_u32_e32 v18, 7, v18
	v_cmp_eq_u32_e32 vcc, 1, v17
	v_cndmask_b32_e32 v16, v18, v16, vcc
	v_cmp_eq_u32_e32 vcc, 1, v15
	v_add_u32_e32 v60, v65, v60
	v_cndmask_b32_e32 v13, v16, v13, vcc
	v_add_u32_e32 v66, v53, v41
	v_lshlrev_b32_e32 v13, 2, v13
	v_sub_u32_e32 v15, v60, v4
	ds_write_b32 v13, v14
	v_sub_u32_e32 v13, v66, v3
	v_add_u32_e32 v15, v15, v1
	v_lshrrev_b32_e32 v8, 8, v34
	v_add_u32_e32 v16, v13, v15
	v_and_b32_e32 v8, 1, v8
	v_sub_u32_e32 v16, v30, v16
	v_and_b32_e32 v14, 1, v36
	v_add_u32_e32 v16, 8, v16
	v_cmp_eq_u32_e32 vcc, 1, v8
	v_cndmask_b32_e32 v8, v16, v15, vcc
	v_cmp_eq_u32_e32 vcc, 1, v14
	v_cndmask_b32_e32 v8, v8, v13, vcc
	v_add_u32_e32 v55, v60, v55
	v_lshlrev_b32_e32 v8, 2, v8
	v_add_u32_e32 v54, v66, v54
	ds_write_b32 v8, v11
	v_sub_u32_e32 v11, v55, v4
	v_sub_u32_e32 v8, v54, v3
	v_add_u32_e32 v11, v11, v1
	v_add_u32_e32 v14, v8, v11
	v_lshrrev_b32_e32 v7, 8, v36
	v_and_b32_sdwa v13, v25, v34 dst_sel:DWORD dst_unused:UNUSED_PAD src0_sel:DWORD src1_sel:WORD_1
	v_sub_u32_e32 v14, v30, v14
	v_and_b32_e32 v7, 1, v7
	v_add_u32_e32 v14, 9, v14
	v_cmp_eq_u32_e32 vcc, 1, v13
	v_cndmask_b32_e32 v11, v14, v11, vcc
	v_cmp_eq_u32_e32 vcc, 1, v7
	v_add_u32_e32 v61, v55, v61
	v_cndmask_b32_e32 v7, v11, v8, vcc
	v_add_u32_e32 v47, v54, v47
	v_lshlrev_b32_e32 v7, 2, v7
	v_sub_u32_e32 v11, v61, v4
	ds_write_b32 v7, v12
	v_sub_u32_e32 v7, v47, v3
	v_add_u32_e32 v11, v11, v1
	v_add_u32_e32 v13, v7, v11
	v_and_b32_e32 v12, 1, v40
	v_sub_u32_e32 v13, v30, v13
	v_and_b32_sdwa v8, v25, v36 dst_sel:DWORD dst_unused:UNUSED_PAD src0_sel:DWORD src1_sel:WORD_1
	v_add_u32_e32 v13, 10, v13
	v_cmp_eq_u32_e32 vcc, 1, v12
	v_cndmask_b32_e32 v11, v13, v11, vcc
	v_cmp_eq_u32_e32 vcc, 1, v8
	v_cndmask_b32_e32 v7, v11, v7, vcc
	v_add_u32_e32 v67, v61, v40
	v_lshlrev_b32_e32 v7, 2, v7
	v_add_u32_e32 v56, v47, v56
	ds_write_b32 v7, v9
	v_sub_u32_e32 v9, v67, v4
	v_sub_u32_e32 v7, v56, v3
	v_add_u32_e32 v9, v9, v1
	v_add_u32_e32 v12, v7, v9
	v_and_b32_e32 v11, 1, v35
	v_sub_u32_e32 v12, v30, v12
	v_and_b32_e32 v8, 1, v39
	v_add_u32_e32 v12, 11, v12
	v_cmp_eq_u32_e32 vcc, 1, v11
	v_add_u32_e32 v62, v67, v62
	v_cndmask_b32_e32 v9, v12, v9, vcc
	v_cmp_eq_u32_e32 vcc, 1, v8
	v_add_u32_e32 v68, v56, v39
	v_cndmask_b32_e32 v7, v9, v7, vcc
	v_sub_u32_e32 v8, v62, v4
	v_lshlrev_b32_e32 v7, 2, v7
	v_sub_u32_e32 v3, v68, v3
	v_add_u32_e32 v8, v8, v1
	ds_write_b32 v7, v10
	v_add_u32_e32 v10, v3, v8
	v_and_b32_e32 v9, 1, v38
	v_sub_u32_e32 v10, v30, v10
	v_and_b32_e32 v7, 1, v37
	v_add_u32_e32 v10, 12, v10
	v_cmp_eq_u32_e32 vcc, 1, v9
	v_cndmask_b32_e32 v8, v10, v8, vcc
	v_cmp_eq_u32_e32 vcc, 1, v7
	v_cndmask_b32_e32 v3, v8, v3, vcc
	v_lshlrev_b32_e32 v3, 2, v3
	ds_write_b32 v3, v29
	v_add_co_u32_e32 v3, vcc, v2, v69
	v_addc_co_u32_e64 v7, s[2:3], 0, 0, vcc
	v_add_co_u32_e32 v3, vcc, v3, v27
	v_addc_co_u32_e32 v7, vcc, v7, v28, vcc
	s_add_u32 s4, s56, s33
	v_add_co_u32_e32 v3, vcc, v3, v5
	s_addc_u32 s5, s57, 0
	v_addc_co_u32_e32 v7, vcc, v7, v6, vcc
	v_mov_b32_e32 v8, s5
	v_sub_co_u32_e32 v3, vcc, s4, v3
	v_subb_co_u32_e32 v11, vcc, v8, v7, vcc
	v_lshlrev_b64 v[7:8], 2, v[27:28]
	v_mov_b32_e32 v9, s55
	v_add_co_u32_e32 v7, vcc, s54, v7
	v_addc_co_u32_e32 v8, vcc, v9, v8, vcc
	v_lshlrev_b64 v[9:10], 2, v[5:6]
	v_mov_b32_e32 v13, s53
	v_add_co_u32_e32 v9, vcc, s52, v9
	v_addc_co_u32_e32 v10, vcc, v13, v10, vcc
	v_add_u32_e32 v12, v1, v2
	s_and_b64 vcc, exec, s[0:1]
	s_mov_b64 s[0:1], -1
	s_waitcnt lgkmcnt(0)
	s_barrier
	s_cbranch_vccz .LBB8_151
; %bb.148:
	s_and_b64 vcc, exec, s[0:1]
	s_cbranch_vccnz .LBB8_256
.LBB8_149:
	v_cmp_eq_u32_e32 vcc, 0, v0
	s_and_b64 s[0:1], vcc, s[34:35]
	s_and_saveexec_b64 s[2:3], s[0:1]
	s_cbranch_execnz .LBB8_374
.LBB8_150:
	s_endpgm
.LBB8_151:
	v_cmp_ge_u32_e32 vcc, v0, v1
	s_and_saveexec_b64 s[0:1], vcc
	s_xor_b64 s[0:1], exec, s[0:1]
	s_cbranch_execz .LBB8_157
; %bb.152:
	v_cmp_ge_u32_e32 vcc, v0, v12
	s_and_saveexec_b64 s[2:3], vcc
	s_xor_b64 s[2:3], exec, s[2:3]
	s_cbranch_execz .LBB8_154
; %bb.153:
	v_add_co_u32_e32 v13, vcc, v3, v0
	v_lshlrev_b32_e32 v15, 2, v0
	v_addc_co_u32_e32 v14, vcc, 0, v11, vcc
	ds_read_b32 v15, v15
	v_lshlrev_b64 v[13:14], 2, v[13:14]
	v_mov_b32_e32 v16, s47
	v_sub_co_u32_e32 v13, vcc, s46, v13
	v_subb_co_u32_e32 v14, vcc, v16, v14, vcc
	s_waitcnt lgkmcnt(0)
	global_store_dword v[13:14], v15, off offset:-4
.LBB8_154:
	s_andn2_saveexec_b64 s[2:3], s[2:3]
	s_cbranch_execz .LBB8_156
; %bb.155:
	v_lshlrev_b32_e32 v13, 2, v0
	ds_read_b32 v14, v13
	v_readfirstlane_b32 s4, v7
	v_readfirstlane_b32 s5, v8
	s_waitcnt lgkmcnt(0)
	s_nop 3
	global_store_dword v13, v14, s[4:5]
.LBB8_156:
	s_or_b64 exec, exec, s[2:3]
.LBB8_157:
	s_andn2_saveexec_b64 s[0:1], s[0:1]
	s_cbranch_execz .LBB8_159
; %bb.158:
	v_lshlrev_b32_e32 v13, 2, v0
	ds_read_b32 v14, v13
	v_readfirstlane_b32 s2, v9
	v_readfirstlane_b32 s3, v10
	s_waitcnt lgkmcnt(0)
	s_nop 3
	global_store_dword v13, v14, s[2:3]
.LBB8_159:
	s_or_b64 exec, exec, s[0:1]
	v_or_b32_e32 v13, 0x100, v0
	v_cmp_ge_u32_e32 vcc, v13, v1
	s_and_saveexec_b64 s[0:1], vcc
	s_xor_b64 s[0:1], exec, s[0:1]
	s_cbranch_execz .LBB8_165
; %bb.160:
	v_cmp_ge_u32_e32 vcc, v13, v12
	s_and_saveexec_b64 s[2:3], vcc
	s_xor_b64 s[2:3], exec, s[2:3]
	s_cbranch_execz .LBB8_162
; %bb.161:
	v_lshlrev_b32_e32 v13, 2, v0
	ds_read_b32 v15, v13 offset:1024
	v_add_co_u32_e32 v13, vcc, v3, v0
	v_addc_co_u32_e32 v14, vcc, 0, v11, vcc
	v_lshlrev_b64 v[13:14], 2, v[13:14]
	v_mov_b32_e32 v16, s47
	v_sub_co_u32_e32 v13, vcc, s46, v13
	v_subb_co_u32_e32 v14, vcc, v16, v14, vcc
	s_waitcnt lgkmcnt(0)
	global_store_dword v[13:14], v15, off offset:-1028
.LBB8_162:
	s_andn2_saveexec_b64 s[2:3], s[2:3]
	s_cbranch_execz .LBB8_164
; %bb.163:
	v_lshlrev_b32_e32 v13, 2, v0
	ds_read_b32 v14, v13 offset:1024
	v_readfirstlane_b32 s4, v7
	v_readfirstlane_b32 s5, v8
	s_waitcnt lgkmcnt(0)
	s_nop 3
	global_store_dword v13, v14, s[4:5] offset:1024
.LBB8_164:
	s_or_b64 exec, exec, s[2:3]
.LBB8_165:
	s_andn2_saveexec_b64 s[0:1], s[0:1]
	s_cbranch_execz .LBB8_167
; %bb.166:
	v_lshlrev_b32_e32 v13, 2, v0
	ds_read_b32 v14, v13 offset:1024
	v_readfirstlane_b32 s2, v9
	v_readfirstlane_b32 s3, v10
	s_waitcnt lgkmcnt(0)
	s_nop 3
	global_store_dword v13, v14, s[2:3] offset:1024
.LBB8_167:
	s_or_b64 exec, exec, s[0:1]
	v_or_b32_e32 v13, 0x200, v0
	v_cmp_ge_u32_e32 vcc, v13, v1
	s_and_saveexec_b64 s[0:1], vcc
	s_xor_b64 s[0:1], exec, s[0:1]
	s_cbranch_execz .LBB8_173
; %bb.168:
	v_cmp_ge_u32_e32 vcc, v13, v12
	s_and_saveexec_b64 s[2:3], vcc
	s_xor_b64 s[2:3], exec, s[2:3]
	s_cbranch_execz .LBB8_170
; %bb.169:
	v_lshlrev_b32_e32 v13, 2, v0
	ds_read_b32 v15, v13 offset:2048
	v_add_co_u32_e32 v13, vcc, v3, v0
	v_addc_co_u32_e32 v14, vcc, 0, v11, vcc
	v_lshlrev_b64 v[13:14], 2, v[13:14]
	v_mov_b32_e32 v16, s47
	v_sub_co_u32_e32 v13, vcc, s46, v13
	v_subb_co_u32_e32 v14, vcc, v16, v14, vcc
	s_waitcnt lgkmcnt(0)
	global_store_dword v[13:14], v15, off offset:-2052
.LBB8_170:
	s_andn2_saveexec_b64 s[2:3], s[2:3]
	s_cbranch_execz .LBB8_172
; %bb.171:
	v_lshlrev_b32_e32 v13, 2, v0
	ds_read_b32 v14, v13 offset:2048
	v_readfirstlane_b32 s4, v7
	v_readfirstlane_b32 s5, v8
	s_waitcnt lgkmcnt(0)
	s_nop 3
	global_store_dword v13, v14, s[4:5] offset:2048
.LBB8_172:
	s_or_b64 exec, exec, s[2:3]
.LBB8_173:
	s_andn2_saveexec_b64 s[0:1], s[0:1]
	s_cbranch_execz .LBB8_175
; %bb.174:
	v_lshlrev_b32_e32 v13, 2, v0
	ds_read_b32 v14, v13 offset:2048
	v_readfirstlane_b32 s2, v9
	v_readfirstlane_b32 s3, v10
	s_waitcnt lgkmcnt(0)
	s_nop 3
	global_store_dword v13, v14, s[2:3] offset:2048
.LBB8_175:
	;; [unrolled: 47-line block ×3, first 2 shown]
	s_or_b64 exec, exec, s[0:1]
	v_or_b32_e32 v13, 0x400, v0
	v_cmp_ge_u32_e32 vcc, v13, v1
	s_and_saveexec_b64 s[0:1], vcc
	s_xor_b64 s[0:1], exec, s[0:1]
	s_cbranch_execz .LBB8_189
; %bb.184:
	v_cmp_ge_u32_e32 vcc, v13, v12
	s_and_saveexec_b64 s[2:3], vcc
	s_xor_b64 s[2:3], exec, s[2:3]
	s_cbranch_execz .LBB8_186
; %bb.185:
	v_lshlrev_b32_e32 v13, 2, v0
	ds_read_b32 v15, v13 offset:4096
	v_add_co_u32_e32 v13, vcc, v3, v0
	v_addc_co_u32_e32 v14, vcc, 0, v11, vcc
	v_lshlrev_b64 v[13:14], 2, v[13:14]
	v_mov_b32_e32 v16, s47
	v_sub_co_u32_e32 v13, vcc, s46, v13
	v_subb_co_u32_e32 v14, vcc, v16, v14, vcc
	v_add_co_u32_e32 v13, vcc, 0xfffff000, v13
	v_addc_co_u32_e32 v14, vcc, -1, v14, vcc
	s_waitcnt lgkmcnt(0)
	global_store_dword v[13:14], v15, off offset:-4
                                        ; implicit-def: $vgpr13
.LBB8_186:
	s_andn2_saveexec_b64 s[2:3], s[2:3]
	s_cbranch_execz .LBB8_188
; %bb.187:
	v_lshlrev_b32_e32 v14, 2, v0
	ds_read_b32 v14, v14 offset:4096
	v_lshlrev_b32_e32 v13, 2, v13
	v_readfirstlane_b32 s4, v7
	v_readfirstlane_b32 s5, v8
	s_waitcnt lgkmcnt(0)
	s_nop 3
	global_store_dword v13, v14, s[4:5]
.LBB8_188:
	s_or_b64 exec, exec, s[2:3]
                                        ; implicit-def: $vgpr13
.LBB8_189:
	s_andn2_saveexec_b64 s[0:1], s[0:1]
	s_cbranch_execz .LBB8_191
; %bb.190:
	v_lshlrev_b32_e32 v14, 2, v0
	ds_read_b32 v14, v14 offset:4096
	v_lshlrev_b32_e32 v13, 2, v13
	v_readfirstlane_b32 s2, v9
	v_readfirstlane_b32 s3, v10
	s_waitcnt lgkmcnt(0)
	s_nop 3
	global_store_dword v13, v14, s[2:3]
.LBB8_191:
	s_or_b64 exec, exec, s[0:1]
	v_or_b32_e32 v13, 0x500, v0
	v_cmp_ge_u32_e32 vcc, v13, v1
	s_and_saveexec_b64 s[0:1], vcc
	s_xor_b64 s[0:1], exec, s[0:1]
	s_cbranch_execz .LBB8_197
; %bb.192:
	v_cmp_ge_u32_e32 vcc, v13, v12
	s_and_saveexec_b64 s[2:3], vcc
	s_xor_b64 s[2:3], exec, s[2:3]
	s_cbranch_execz .LBB8_194
; %bb.193:
	v_add_co_u32_e32 v13, vcc, v3, v13
	v_lshlrev_b32_e32 v15, 2, v0
	v_addc_co_u32_e32 v14, vcc, 0, v11, vcc
	ds_read_b32 v15, v15 offset:5120
	v_lshlrev_b64 v[13:14], 2, v[13:14]
	v_mov_b32_e32 v16, s47
	v_sub_co_u32_e32 v13, vcc, s46, v13
	v_subb_co_u32_e32 v14, vcc, v16, v14, vcc
	s_waitcnt lgkmcnt(0)
	global_store_dword v[13:14], v15, off offset:-4
                                        ; implicit-def: $vgpr13
.LBB8_194:
	s_andn2_saveexec_b64 s[2:3], s[2:3]
	s_cbranch_execz .LBB8_196
; %bb.195:
	v_lshlrev_b32_e32 v14, 2, v0
	ds_read_b32 v14, v14 offset:5120
	v_lshlrev_b32_e32 v13, 2, v13
	v_readfirstlane_b32 s4, v7
	v_readfirstlane_b32 s5, v8
	s_waitcnt lgkmcnt(0)
	s_nop 3
	global_store_dword v13, v14, s[4:5]
.LBB8_196:
	s_or_b64 exec, exec, s[2:3]
                                        ; implicit-def: $vgpr13
.LBB8_197:
	s_andn2_saveexec_b64 s[0:1], s[0:1]
	s_cbranch_execz .LBB8_199
; %bb.198:
	v_lshlrev_b32_e32 v14, 2, v0
	ds_read_b32 v14, v14 offset:5120
	v_lshlrev_b32_e32 v13, 2, v13
	v_readfirstlane_b32 s2, v9
	v_readfirstlane_b32 s3, v10
	s_waitcnt lgkmcnt(0)
	s_nop 3
	global_store_dword v13, v14, s[2:3]
.LBB8_199:
	s_or_b64 exec, exec, s[0:1]
	v_or_b32_e32 v13, 0x600, v0
	v_cmp_ge_u32_e32 vcc, v13, v1
	s_and_saveexec_b64 s[0:1], vcc
	s_xor_b64 s[0:1], exec, s[0:1]
	s_cbranch_execz .LBB8_205
; %bb.200:
	v_cmp_ge_u32_e32 vcc, v13, v12
	s_and_saveexec_b64 s[2:3], vcc
	s_xor_b64 s[2:3], exec, s[2:3]
	s_cbranch_execz .LBB8_202
; %bb.201:
	v_add_co_u32_e32 v13, vcc, v3, v13
	v_lshlrev_b32_e32 v15, 2, v0
	v_addc_co_u32_e32 v14, vcc, 0, v11, vcc
	ds_read_b32 v15, v15 offset:6144
	v_lshlrev_b64 v[13:14], 2, v[13:14]
	v_mov_b32_e32 v16, s47
	v_sub_co_u32_e32 v13, vcc, s46, v13
	v_subb_co_u32_e32 v14, vcc, v16, v14, vcc
	s_waitcnt lgkmcnt(0)
	global_store_dword v[13:14], v15, off offset:-4
                                        ; implicit-def: $vgpr13
.LBB8_202:
	s_andn2_saveexec_b64 s[2:3], s[2:3]
	s_cbranch_execz .LBB8_204
; %bb.203:
	v_lshlrev_b32_e32 v14, 2, v0
	ds_read_b32 v14, v14 offset:6144
	v_lshlrev_b32_e32 v13, 2, v13
	v_readfirstlane_b32 s4, v7
	v_readfirstlane_b32 s5, v8
	s_waitcnt lgkmcnt(0)
	s_nop 3
	global_store_dword v13, v14, s[4:5]
.LBB8_204:
	s_or_b64 exec, exec, s[2:3]
                                        ; implicit-def: $vgpr13
.LBB8_205:
	;; [unrolled: 51-line block ×8, first 2 shown]
	s_andn2_saveexec_b64 s[0:1], s[0:1]
	s_cbranch_execz .LBB8_255
; %bb.254:
	v_lshlrev_b32_e32 v14, 2, v0
	ds_read_b32 v14, v14 offset:12288
	v_lshlrev_b32_e32 v13, 2, v13
	v_readfirstlane_b32 s2, v9
	v_readfirstlane_b32 s3, v10
	s_waitcnt lgkmcnt(0)
	s_nop 3
	global_store_dword v13, v14, s[2:3]
.LBB8_255:
	s_or_b64 exec, exec, s[0:1]
	s_branch .LBB8_149
.LBB8_256:
	v_cmp_gt_u32_e32 vcc, s18, v0
	s_and_saveexec_b64 s[0:1], vcc
	s_cbranch_execz .LBB8_265
; %bb.257:
	v_cmp_ge_u32_e32 vcc, v0, v1
	s_and_saveexec_b64 s[2:3], vcc
	s_xor_b64 s[2:3], exec, s[2:3]
	s_cbranch_execz .LBB8_263
; %bb.258:
	v_cmp_ge_u32_e32 vcc, v0, v12
	s_and_saveexec_b64 s[4:5], vcc
	s_xor_b64 s[4:5], exec, s[4:5]
	s_cbranch_execz .LBB8_260
; %bb.259:
	v_add_co_u32_e32 v13, vcc, v3, v0
	v_lshlrev_b32_e32 v15, 2, v0
	v_addc_co_u32_e32 v14, vcc, 0, v11, vcc
	ds_read_b32 v15, v15
	v_lshlrev_b64 v[13:14], 2, v[13:14]
	v_mov_b32_e32 v16, s47
	v_sub_co_u32_e32 v13, vcc, s46, v13
	v_subb_co_u32_e32 v14, vcc, v16, v14, vcc
	s_waitcnt lgkmcnt(0)
	global_store_dword v[13:14], v15, off offset:-4
.LBB8_260:
	s_andn2_saveexec_b64 s[4:5], s[4:5]
	s_cbranch_execz .LBB8_262
; %bb.261:
	v_lshlrev_b32_e32 v13, 2, v0
	ds_read_b32 v14, v13
	v_readfirstlane_b32 s6, v7
	v_readfirstlane_b32 s7, v8
	s_waitcnt lgkmcnt(0)
	s_nop 3
	global_store_dword v13, v14, s[6:7]
.LBB8_262:
	s_or_b64 exec, exec, s[4:5]
.LBB8_263:
	s_andn2_saveexec_b64 s[2:3], s[2:3]
	s_cbranch_execz .LBB8_265
; %bb.264:
	v_lshlrev_b32_e32 v13, 2, v0
	ds_read_b32 v14, v13
	v_readfirstlane_b32 s2, v9
	v_readfirstlane_b32 s3, v10
	s_waitcnt lgkmcnt(0)
	s_nop 3
	global_store_dword v13, v14, s[2:3]
.LBB8_265:
	s_or_b64 exec, exec, s[0:1]
	v_or_b32_e32 v13, 0x100, v0
	v_cmp_gt_u32_e32 vcc, s18, v13
	s_and_saveexec_b64 s[0:1], vcc
	s_cbranch_execz .LBB8_274
; %bb.266:
	v_cmp_ge_u32_e32 vcc, v13, v1
	s_and_saveexec_b64 s[2:3], vcc
	s_xor_b64 s[2:3], exec, s[2:3]
	s_cbranch_execz .LBB8_272
; %bb.267:
	v_cmp_ge_u32_e32 vcc, v13, v12
	s_and_saveexec_b64 s[4:5], vcc
	s_xor_b64 s[4:5], exec, s[4:5]
	s_cbranch_execz .LBB8_269
; %bb.268:
	v_lshlrev_b32_e32 v13, 2, v0
	ds_read_b32 v15, v13 offset:1024
	v_add_co_u32_e32 v13, vcc, v3, v0
	v_addc_co_u32_e32 v14, vcc, 0, v11, vcc
	v_lshlrev_b64 v[13:14], 2, v[13:14]
	v_mov_b32_e32 v16, s47
	v_sub_co_u32_e32 v13, vcc, s46, v13
	v_subb_co_u32_e32 v14, vcc, v16, v14, vcc
	s_waitcnt lgkmcnt(0)
	global_store_dword v[13:14], v15, off offset:-1028
.LBB8_269:
	s_andn2_saveexec_b64 s[4:5], s[4:5]
	s_cbranch_execz .LBB8_271
; %bb.270:
	v_lshlrev_b32_e32 v13, 2, v0
	ds_read_b32 v14, v13 offset:1024
	v_readfirstlane_b32 s6, v7
	v_readfirstlane_b32 s7, v8
	s_waitcnt lgkmcnt(0)
	s_nop 3
	global_store_dword v13, v14, s[6:7] offset:1024
.LBB8_271:
	s_or_b64 exec, exec, s[4:5]
.LBB8_272:
	s_andn2_saveexec_b64 s[2:3], s[2:3]
	s_cbranch_execz .LBB8_274
; %bb.273:
	v_lshlrev_b32_e32 v13, 2, v0
	ds_read_b32 v14, v13 offset:1024
	v_readfirstlane_b32 s2, v9
	v_readfirstlane_b32 s3, v10
	s_waitcnt lgkmcnt(0)
	s_nop 3
	global_store_dword v13, v14, s[2:3] offset:1024
.LBB8_274:
	s_or_b64 exec, exec, s[0:1]
	v_or_b32_e32 v13, 0x200, v0
	v_cmp_gt_u32_e32 vcc, s18, v13
	s_and_saveexec_b64 s[0:1], vcc
	s_cbranch_execz .LBB8_283
; %bb.275:
	v_cmp_ge_u32_e32 vcc, v13, v1
	s_and_saveexec_b64 s[2:3], vcc
	s_xor_b64 s[2:3], exec, s[2:3]
	s_cbranch_execz .LBB8_281
; %bb.276:
	v_cmp_ge_u32_e32 vcc, v13, v12
	s_and_saveexec_b64 s[4:5], vcc
	s_xor_b64 s[4:5], exec, s[4:5]
	s_cbranch_execz .LBB8_278
; %bb.277:
	v_lshlrev_b32_e32 v13, 2, v0
	ds_read_b32 v15, v13 offset:2048
	v_add_co_u32_e32 v13, vcc, v3, v0
	v_addc_co_u32_e32 v14, vcc, 0, v11, vcc
	v_lshlrev_b64 v[13:14], 2, v[13:14]
	v_mov_b32_e32 v16, s47
	v_sub_co_u32_e32 v13, vcc, s46, v13
	v_subb_co_u32_e32 v14, vcc, v16, v14, vcc
	s_waitcnt lgkmcnt(0)
	global_store_dword v[13:14], v15, off offset:-2052
.LBB8_278:
	s_andn2_saveexec_b64 s[4:5], s[4:5]
	s_cbranch_execz .LBB8_280
; %bb.279:
	v_lshlrev_b32_e32 v13, 2, v0
	ds_read_b32 v14, v13 offset:2048
	v_readfirstlane_b32 s6, v7
	v_readfirstlane_b32 s7, v8
	s_waitcnt lgkmcnt(0)
	s_nop 3
	global_store_dword v13, v14, s[6:7] offset:2048
.LBB8_280:
	s_or_b64 exec, exec, s[4:5]
.LBB8_281:
	s_andn2_saveexec_b64 s[2:3], s[2:3]
	s_cbranch_execz .LBB8_283
; %bb.282:
	v_lshlrev_b32_e32 v13, 2, v0
	ds_read_b32 v14, v13 offset:2048
	v_readfirstlane_b32 s2, v9
	v_readfirstlane_b32 s3, v10
	s_waitcnt lgkmcnt(0)
	s_nop 3
	global_store_dword v13, v14, s[2:3] offset:2048
.LBB8_283:
	;; [unrolled: 51-line block ×3, first 2 shown]
	s_or_b64 exec, exec, s[0:1]
	v_or_b32_e32 v13, 0x400, v0
	v_cmp_gt_u32_e32 vcc, s18, v13
	s_and_saveexec_b64 s[0:1], vcc
	s_cbranch_execz .LBB8_301
; %bb.293:
	v_cmp_ge_u32_e32 vcc, v13, v1
	s_and_saveexec_b64 s[2:3], vcc
	s_xor_b64 s[2:3], exec, s[2:3]
	s_cbranch_execz .LBB8_299
; %bb.294:
	v_cmp_ge_u32_e32 vcc, v13, v12
	s_and_saveexec_b64 s[4:5], vcc
	s_xor_b64 s[4:5], exec, s[4:5]
	s_cbranch_execz .LBB8_296
; %bb.295:
	v_lshlrev_b32_e32 v13, 2, v0
	ds_read_b32 v15, v13 offset:4096
	v_add_co_u32_e32 v13, vcc, v3, v0
	v_addc_co_u32_e32 v14, vcc, 0, v11, vcc
	v_lshlrev_b64 v[13:14], 2, v[13:14]
	v_mov_b32_e32 v16, s47
	v_sub_co_u32_e32 v13, vcc, s46, v13
	v_subb_co_u32_e32 v14, vcc, v16, v14, vcc
	v_add_co_u32_e32 v13, vcc, 0xfffff000, v13
	v_addc_co_u32_e32 v14, vcc, -1, v14, vcc
	s_waitcnt lgkmcnt(0)
	global_store_dword v[13:14], v15, off offset:-4
                                        ; implicit-def: $vgpr13
.LBB8_296:
	s_andn2_saveexec_b64 s[4:5], s[4:5]
	s_cbranch_execz .LBB8_298
; %bb.297:
	v_lshlrev_b32_e32 v14, 2, v0
	ds_read_b32 v14, v14 offset:4096
	v_lshlrev_b32_e32 v13, 2, v13
	v_readfirstlane_b32 s6, v7
	v_readfirstlane_b32 s7, v8
	s_waitcnt lgkmcnt(0)
	s_nop 3
	global_store_dword v13, v14, s[6:7]
.LBB8_298:
	s_or_b64 exec, exec, s[4:5]
                                        ; implicit-def: $vgpr13
.LBB8_299:
	s_andn2_saveexec_b64 s[2:3], s[2:3]
	s_cbranch_execz .LBB8_301
; %bb.300:
	v_lshlrev_b32_e32 v14, 2, v0
	ds_read_b32 v14, v14 offset:4096
	v_lshlrev_b32_e32 v13, 2, v13
	v_readfirstlane_b32 s2, v9
	v_readfirstlane_b32 s3, v10
	s_waitcnt lgkmcnt(0)
	s_nop 3
	global_store_dword v13, v14, s[2:3]
.LBB8_301:
	s_or_b64 exec, exec, s[0:1]
	v_or_b32_e32 v13, 0x500, v0
	v_cmp_gt_u32_e32 vcc, s18, v13
	s_and_saveexec_b64 s[0:1], vcc
	s_cbranch_execz .LBB8_310
; %bb.302:
	v_cmp_ge_u32_e32 vcc, v13, v1
	s_and_saveexec_b64 s[2:3], vcc
	s_xor_b64 s[2:3], exec, s[2:3]
	s_cbranch_execz .LBB8_308
; %bb.303:
	v_cmp_ge_u32_e32 vcc, v13, v12
	s_and_saveexec_b64 s[4:5], vcc
	s_xor_b64 s[4:5], exec, s[4:5]
	s_cbranch_execz .LBB8_305
; %bb.304:
	v_add_co_u32_e32 v13, vcc, v3, v13
	v_lshlrev_b32_e32 v15, 2, v0
	v_addc_co_u32_e32 v14, vcc, 0, v11, vcc
	ds_read_b32 v15, v15 offset:5120
	v_lshlrev_b64 v[13:14], 2, v[13:14]
	v_mov_b32_e32 v16, s47
	v_sub_co_u32_e32 v13, vcc, s46, v13
	v_subb_co_u32_e32 v14, vcc, v16, v14, vcc
	s_waitcnt lgkmcnt(0)
	global_store_dword v[13:14], v15, off offset:-4
                                        ; implicit-def: $vgpr13
.LBB8_305:
	s_andn2_saveexec_b64 s[4:5], s[4:5]
	s_cbranch_execz .LBB8_307
; %bb.306:
	v_lshlrev_b32_e32 v14, 2, v0
	ds_read_b32 v14, v14 offset:5120
	v_lshlrev_b32_e32 v13, 2, v13
	v_readfirstlane_b32 s6, v7
	v_readfirstlane_b32 s7, v8
	s_waitcnt lgkmcnt(0)
	s_nop 3
	global_store_dword v13, v14, s[6:7]
.LBB8_307:
	s_or_b64 exec, exec, s[4:5]
                                        ; implicit-def: $vgpr13
.LBB8_308:
	s_andn2_saveexec_b64 s[2:3], s[2:3]
	s_cbranch_execz .LBB8_310
; %bb.309:
	v_lshlrev_b32_e32 v14, 2, v0
	ds_read_b32 v14, v14 offset:5120
	v_lshlrev_b32_e32 v13, 2, v13
	v_readfirstlane_b32 s2, v9
	v_readfirstlane_b32 s3, v10
	s_waitcnt lgkmcnt(0)
	s_nop 3
	global_store_dword v13, v14, s[2:3]
.LBB8_310:
	s_or_b64 exec, exec, s[0:1]
	v_or_b32_e32 v13, 0x600, v0
	v_cmp_gt_u32_e32 vcc, s18, v13
	s_and_saveexec_b64 s[0:1], vcc
	s_cbranch_execz .LBB8_319
; %bb.311:
	v_cmp_ge_u32_e32 vcc, v13, v1
	s_and_saveexec_b64 s[2:3], vcc
	s_xor_b64 s[2:3], exec, s[2:3]
	s_cbranch_execz .LBB8_317
; %bb.312:
	v_cmp_ge_u32_e32 vcc, v13, v12
	s_and_saveexec_b64 s[4:5], vcc
	s_xor_b64 s[4:5], exec, s[4:5]
	s_cbranch_execz .LBB8_314
; %bb.313:
	v_add_co_u32_e32 v13, vcc, v3, v13
	v_lshlrev_b32_e32 v15, 2, v0
	v_addc_co_u32_e32 v14, vcc, 0, v11, vcc
	ds_read_b32 v15, v15 offset:6144
	v_lshlrev_b64 v[13:14], 2, v[13:14]
	v_mov_b32_e32 v16, s47
	v_sub_co_u32_e32 v13, vcc, s46, v13
	v_subb_co_u32_e32 v14, vcc, v16, v14, vcc
	s_waitcnt lgkmcnt(0)
	global_store_dword v[13:14], v15, off offset:-4
                                        ; implicit-def: $vgpr13
.LBB8_314:
	s_andn2_saveexec_b64 s[4:5], s[4:5]
	s_cbranch_execz .LBB8_316
; %bb.315:
	v_lshlrev_b32_e32 v14, 2, v0
	ds_read_b32 v14, v14 offset:6144
	v_lshlrev_b32_e32 v13, 2, v13
	v_readfirstlane_b32 s6, v7
	v_readfirstlane_b32 s7, v8
	s_waitcnt lgkmcnt(0)
	s_nop 3
	global_store_dword v13, v14, s[6:7]
.LBB8_316:
	s_or_b64 exec, exec, s[4:5]
                                        ; implicit-def: $vgpr13
.LBB8_317:
	s_andn2_saveexec_b64 s[2:3], s[2:3]
	s_cbranch_execz .LBB8_319
; %bb.318:
	v_lshlrev_b32_e32 v14, 2, v0
	ds_read_b32 v14, v14 offset:6144
	v_lshlrev_b32_e32 v13, 2, v13
	v_readfirstlane_b32 s2, v9
	v_readfirstlane_b32 s3, v10
	s_waitcnt lgkmcnt(0)
	s_nop 3
	global_store_dword v13, v14, s[2:3]
.LBB8_319:
	;; [unrolled: 55-line block ×7, first 2 shown]
	s_or_b64 exec, exec, s[0:1]
	v_or_b32_e32 v13, 0xc00, v0
	v_cmp_gt_u32_e32 vcc, s18, v13
	s_and_saveexec_b64 s[0:1], vcc
	s_cbranch_execz .LBB8_373
; %bb.365:
	v_cmp_ge_u32_e32 vcc, v13, v1
	s_and_saveexec_b64 s[2:3], vcc
	s_xor_b64 s[2:3], exec, s[2:3]
	s_cbranch_execz .LBB8_371
; %bb.366:
	v_cmp_ge_u32_e32 vcc, v13, v12
	s_and_saveexec_b64 s[4:5], vcc
	s_xor_b64 s[4:5], exec, s[4:5]
	s_cbranch_execz .LBB8_368
; %bb.367:
	v_add_co_u32_e32 v7, vcc, v3, v13
	v_lshlrev_b32_e32 v3, 2, v0
	v_addc_co_u32_e32 v8, vcc, 0, v11, vcc
	ds_read_b32 v3, v3 offset:12288
	v_lshlrev_b64 v[7:8], 2, v[7:8]
	v_mov_b32_e32 v9, s47
	v_sub_co_u32_e32 v7, vcc, s46, v7
	v_subb_co_u32_e32 v8, vcc, v9, v8, vcc
	s_waitcnt lgkmcnt(0)
	global_store_dword v[7:8], v3, off offset:-4
                                        ; implicit-def: $vgpr13
                                        ; implicit-def: $vgpr7_vgpr8
.LBB8_368:
	s_andn2_saveexec_b64 s[4:5], s[4:5]
	s_cbranch_execz .LBB8_370
; %bb.369:
	v_lshlrev_b32_e32 v3, 2, v0
	ds_read_b32 v3, v3 offset:12288
	v_lshlrev_b32_e32 v9, 2, v13
	v_readfirstlane_b32 s6, v7
	v_readfirstlane_b32 s7, v8
	s_waitcnt lgkmcnt(0)
	s_nop 3
	global_store_dword v9, v3, s[6:7]
.LBB8_370:
	s_or_b64 exec, exec, s[4:5]
                                        ; implicit-def: $vgpr13
                                        ; implicit-def: $vgpr9_vgpr10
.LBB8_371:
	s_andn2_saveexec_b64 s[2:3], s[2:3]
	s_cbranch_execz .LBB8_373
; %bb.372:
	v_lshlrev_b32_e32 v3, 2, v0
	ds_read_b32 v3, v3 offset:12288
	v_lshlrev_b32_e32 v7, 2, v13
	v_readfirstlane_b32 s2, v9
	v_readfirstlane_b32 s3, v10
	s_waitcnt lgkmcnt(0)
	s_nop 3
	global_store_dword v7, v3, s[2:3]
.LBB8_373:
	s_or_b64 exec, exec, s[0:1]
	v_cmp_eq_u32_e32 vcc, 0, v0
	s_and_b64 s[0:1], vcc, s[34:35]
	s_and_saveexec_b64 s[2:3], s[0:1]
	s_cbranch_execz .LBB8_150
.LBB8_374:
	v_mov_b32_e32 v0, s51
	v_add_co_u32_e32 v2, vcc, s50, v2
	v_addc_co_u32_e32 v0, vcc, 0, v0, vcc
	v_add_co_u32_e32 v2, vcc, v2, v4
	v_addc_co_u32_e32 v3, vcc, 0, v0, vcc
	v_add_co_u32_e32 v0, vcc, v5, v1
	v_mov_b32_e32 v7, 0
	v_addc_co_u32_e32 v1, vcc, 0, v6, vcc
	global_store_dwordx4 v7, v[0:3], s[44:45]
	s_endpgm
.LBB8_375:
	s_add_i32 s6, s6, 64
	s_mov_b32 s7, 0
	s_lshl_b64 s[6:7], s[6:7], 4
	s_add_u32 s6, s12, s6
	s_addc_u32 s7, s13, s7
	v_mov_b32_e32 v24, s7
	v_add_u32_e32 v6, v4, v2
	v_add_u32_e32 v5, v3, v1
	v_mov_b32_e32 v7, 2
	v_mov_b32_e32 v8, 0
	;; [unrolled: 1-line block ×3, first 2 shown]
	;;#ASMSTART
	global_store_dwordx4 v[23:24], v[5:8] off	
s_waitcnt vmcnt(0)
	;;#ASMEND
	s_or_b64 exec, exec, s[14:15]
	s_and_saveexec_b64 s[6:7], s[8:9]
	s_cbranch_execz .LBB8_135
.LBB8_376:
	v_mov_b32_e32 v5, 0
	ds_write_b128 v5, v[1:4] offset:13312
	s_or_b64 exec, exec, s[6:7]
	v_cmp_eq_u32_e32 vcc, 0, v0
	s_and_b64 exec, exec, vcc
	s_cbranch_execnz .LBB8_136
	s_branch .LBB8_137
	.section	.rodata,"a",@progbits
	.p2align	6, 0x0
	.amdhsa_kernel _ZN7rocprim17ROCPRIM_400000_NS6detail17trampoline_kernelINS0_13select_configILj256ELj13ELNS0_17block_load_methodE3ELS4_3ELS4_3ELNS0_20block_scan_algorithmE0ELj4294967295EEENS1_25partition_config_selectorILNS1_17partition_subalgoE4EjNS0_10empty_typeEbEEZZNS1_14partition_implILS8_4ELb0ES6_15HIP_vector_typeIjLj2EENS0_17counting_iteratorIjlEEPS9_SG_NS0_5tupleIJPjSI_NS0_16reverse_iteratorISI_EEEEENSH_IJSG_SG_SG_EEES9_SI_JZNS1_25segmented_radix_sort_implINS0_14default_configELb1EPKhPhPKlPlN2at6native12_GLOBAL__N_18offset_tEEE10hipError_tPvRmT1_PNSt15iterator_traitsIS12_E10value_typeET2_T3_PNS13_IS18_E10value_typeET4_jRbjT5_S1E_jjP12ihipStream_tbEUljE_ZNSN_ISO_Lb1ESQ_SR_ST_SU_SY_EESZ_S10_S11_S12_S16_S17_S18_S1B_S1C_jS1D_jS1E_S1E_jjS1G_bEUljE0_EEESZ_S10_S11_S18_S1C_S1E_T6_T7_T9_mT8_S1G_bDpT10_ENKUlT_T0_E_clISt17integral_constantIbLb0EES1U_EEDaS1P_S1Q_EUlS1P_E_NS1_11comp_targetILNS1_3genE2ELNS1_11target_archE906ELNS1_3gpuE6ELNS1_3repE0EEENS1_30default_config_static_selectorELNS0_4arch9wavefront6targetE1EEEvS12_
		.amdhsa_group_segment_fixed_size 13328
		.amdhsa_private_segment_fixed_size 0
		.amdhsa_kernarg_size 176
		.amdhsa_user_sgpr_count 6
		.amdhsa_user_sgpr_private_segment_buffer 1
		.amdhsa_user_sgpr_dispatch_ptr 0
		.amdhsa_user_sgpr_queue_ptr 0
		.amdhsa_user_sgpr_kernarg_segment_ptr 1
		.amdhsa_user_sgpr_dispatch_id 0
		.amdhsa_user_sgpr_flat_scratch_init 0
		.amdhsa_user_sgpr_private_segment_size 0
		.amdhsa_uses_dynamic_stack 0
		.amdhsa_system_sgpr_private_segment_wavefront_offset 0
		.amdhsa_system_sgpr_workgroup_id_x 1
		.amdhsa_system_sgpr_workgroup_id_y 0
		.amdhsa_system_sgpr_workgroup_id_z 0
		.amdhsa_system_sgpr_workgroup_info 0
		.amdhsa_system_vgpr_workitem_id 0
		.amdhsa_next_free_vgpr 86
		.amdhsa_next_free_sgpr 98
		.amdhsa_reserve_vcc 1
		.amdhsa_reserve_flat_scratch 0
		.amdhsa_float_round_mode_32 0
		.amdhsa_float_round_mode_16_64 0
		.amdhsa_float_denorm_mode_32 3
		.amdhsa_float_denorm_mode_16_64 3
		.amdhsa_dx10_clamp 1
		.amdhsa_ieee_mode 1
		.amdhsa_fp16_overflow 0
		.amdhsa_exception_fp_ieee_invalid_op 0
		.amdhsa_exception_fp_denorm_src 0
		.amdhsa_exception_fp_ieee_div_zero 0
		.amdhsa_exception_fp_ieee_overflow 0
		.amdhsa_exception_fp_ieee_underflow 0
		.amdhsa_exception_fp_ieee_inexact 0
		.amdhsa_exception_int_div_zero 0
	.end_amdhsa_kernel
	.section	.text._ZN7rocprim17ROCPRIM_400000_NS6detail17trampoline_kernelINS0_13select_configILj256ELj13ELNS0_17block_load_methodE3ELS4_3ELS4_3ELNS0_20block_scan_algorithmE0ELj4294967295EEENS1_25partition_config_selectorILNS1_17partition_subalgoE4EjNS0_10empty_typeEbEEZZNS1_14partition_implILS8_4ELb0ES6_15HIP_vector_typeIjLj2EENS0_17counting_iteratorIjlEEPS9_SG_NS0_5tupleIJPjSI_NS0_16reverse_iteratorISI_EEEEENSH_IJSG_SG_SG_EEES9_SI_JZNS1_25segmented_radix_sort_implINS0_14default_configELb1EPKhPhPKlPlN2at6native12_GLOBAL__N_18offset_tEEE10hipError_tPvRmT1_PNSt15iterator_traitsIS12_E10value_typeET2_T3_PNS13_IS18_E10value_typeET4_jRbjT5_S1E_jjP12ihipStream_tbEUljE_ZNSN_ISO_Lb1ESQ_SR_ST_SU_SY_EESZ_S10_S11_S12_S16_S17_S18_S1B_S1C_jS1D_jS1E_S1E_jjS1G_bEUljE0_EEESZ_S10_S11_S18_S1C_S1E_T6_T7_T9_mT8_S1G_bDpT10_ENKUlT_T0_E_clISt17integral_constantIbLb0EES1U_EEDaS1P_S1Q_EUlS1P_E_NS1_11comp_targetILNS1_3genE2ELNS1_11target_archE906ELNS1_3gpuE6ELNS1_3repE0EEENS1_30default_config_static_selectorELNS0_4arch9wavefront6targetE1EEEvS12_,"axG",@progbits,_ZN7rocprim17ROCPRIM_400000_NS6detail17trampoline_kernelINS0_13select_configILj256ELj13ELNS0_17block_load_methodE3ELS4_3ELS4_3ELNS0_20block_scan_algorithmE0ELj4294967295EEENS1_25partition_config_selectorILNS1_17partition_subalgoE4EjNS0_10empty_typeEbEEZZNS1_14partition_implILS8_4ELb0ES6_15HIP_vector_typeIjLj2EENS0_17counting_iteratorIjlEEPS9_SG_NS0_5tupleIJPjSI_NS0_16reverse_iteratorISI_EEEEENSH_IJSG_SG_SG_EEES9_SI_JZNS1_25segmented_radix_sort_implINS0_14default_configELb1EPKhPhPKlPlN2at6native12_GLOBAL__N_18offset_tEEE10hipError_tPvRmT1_PNSt15iterator_traitsIS12_E10value_typeET2_T3_PNS13_IS18_E10value_typeET4_jRbjT5_S1E_jjP12ihipStream_tbEUljE_ZNSN_ISO_Lb1ESQ_SR_ST_SU_SY_EESZ_S10_S11_S12_S16_S17_S18_S1B_S1C_jS1D_jS1E_S1E_jjS1G_bEUljE0_EEESZ_S10_S11_S18_S1C_S1E_T6_T7_T9_mT8_S1G_bDpT10_ENKUlT_T0_E_clISt17integral_constantIbLb0EES1U_EEDaS1P_S1Q_EUlS1P_E_NS1_11comp_targetILNS1_3genE2ELNS1_11target_archE906ELNS1_3gpuE6ELNS1_3repE0EEENS1_30default_config_static_selectorELNS0_4arch9wavefront6targetE1EEEvS12_,comdat
.Lfunc_end8:
	.size	_ZN7rocprim17ROCPRIM_400000_NS6detail17trampoline_kernelINS0_13select_configILj256ELj13ELNS0_17block_load_methodE3ELS4_3ELS4_3ELNS0_20block_scan_algorithmE0ELj4294967295EEENS1_25partition_config_selectorILNS1_17partition_subalgoE4EjNS0_10empty_typeEbEEZZNS1_14partition_implILS8_4ELb0ES6_15HIP_vector_typeIjLj2EENS0_17counting_iteratorIjlEEPS9_SG_NS0_5tupleIJPjSI_NS0_16reverse_iteratorISI_EEEEENSH_IJSG_SG_SG_EEES9_SI_JZNS1_25segmented_radix_sort_implINS0_14default_configELb1EPKhPhPKlPlN2at6native12_GLOBAL__N_18offset_tEEE10hipError_tPvRmT1_PNSt15iterator_traitsIS12_E10value_typeET2_T3_PNS13_IS18_E10value_typeET4_jRbjT5_S1E_jjP12ihipStream_tbEUljE_ZNSN_ISO_Lb1ESQ_SR_ST_SU_SY_EESZ_S10_S11_S12_S16_S17_S18_S1B_S1C_jS1D_jS1E_S1E_jjS1G_bEUljE0_EEESZ_S10_S11_S18_S1C_S1E_T6_T7_T9_mT8_S1G_bDpT10_ENKUlT_T0_E_clISt17integral_constantIbLb0EES1U_EEDaS1P_S1Q_EUlS1P_E_NS1_11comp_targetILNS1_3genE2ELNS1_11target_archE906ELNS1_3gpuE6ELNS1_3repE0EEENS1_30default_config_static_selectorELNS0_4arch9wavefront6targetE1EEEvS12_, .Lfunc_end8-_ZN7rocprim17ROCPRIM_400000_NS6detail17trampoline_kernelINS0_13select_configILj256ELj13ELNS0_17block_load_methodE3ELS4_3ELS4_3ELNS0_20block_scan_algorithmE0ELj4294967295EEENS1_25partition_config_selectorILNS1_17partition_subalgoE4EjNS0_10empty_typeEbEEZZNS1_14partition_implILS8_4ELb0ES6_15HIP_vector_typeIjLj2EENS0_17counting_iteratorIjlEEPS9_SG_NS0_5tupleIJPjSI_NS0_16reverse_iteratorISI_EEEEENSH_IJSG_SG_SG_EEES9_SI_JZNS1_25segmented_radix_sort_implINS0_14default_configELb1EPKhPhPKlPlN2at6native12_GLOBAL__N_18offset_tEEE10hipError_tPvRmT1_PNSt15iterator_traitsIS12_E10value_typeET2_T3_PNS13_IS18_E10value_typeET4_jRbjT5_S1E_jjP12ihipStream_tbEUljE_ZNSN_ISO_Lb1ESQ_SR_ST_SU_SY_EESZ_S10_S11_S12_S16_S17_S18_S1B_S1C_jS1D_jS1E_S1E_jjS1G_bEUljE0_EEESZ_S10_S11_S18_S1C_S1E_T6_T7_T9_mT8_S1G_bDpT10_ENKUlT_T0_E_clISt17integral_constantIbLb0EES1U_EEDaS1P_S1Q_EUlS1P_E_NS1_11comp_targetILNS1_3genE2ELNS1_11target_archE906ELNS1_3gpuE6ELNS1_3repE0EEENS1_30default_config_static_selectorELNS0_4arch9wavefront6targetE1EEEvS12_
                                        ; -- End function
	.set _ZN7rocprim17ROCPRIM_400000_NS6detail17trampoline_kernelINS0_13select_configILj256ELj13ELNS0_17block_load_methodE3ELS4_3ELS4_3ELNS0_20block_scan_algorithmE0ELj4294967295EEENS1_25partition_config_selectorILNS1_17partition_subalgoE4EjNS0_10empty_typeEbEEZZNS1_14partition_implILS8_4ELb0ES6_15HIP_vector_typeIjLj2EENS0_17counting_iteratorIjlEEPS9_SG_NS0_5tupleIJPjSI_NS0_16reverse_iteratorISI_EEEEENSH_IJSG_SG_SG_EEES9_SI_JZNS1_25segmented_radix_sort_implINS0_14default_configELb1EPKhPhPKlPlN2at6native12_GLOBAL__N_18offset_tEEE10hipError_tPvRmT1_PNSt15iterator_traitsIS12_E10value_typeET2_T3_PNS13_IS18_E10value_typeET4_jRbjT5_S1E_jjP12ihipStream_tbEUljE_ZNSN_ISO_Lb1ESQ_SR_ST_SU_SY_EESZ_S10_S11_S12_S16_S17_S18_S1B_S1C_jS1D_jS1E_S1E_jjS1G_bEUljE0_EEESZ_S10_S11_S18_S1C_S1E_T6_T7_T9_mT8_S1G_bDpT10_ENKUlT_T0_E_clISt17integral_constantIbLb0EES1U_EEDaS1P_S1Q_EUlS1P_E_NS1_11comp_targetILNS1_3genE2ELNS1_11target_archE906ELNS1_3gpuE6ELNS1_3repE0EEENS1_30default_config_static_selectorELNS0_4arch9wavefront6targetE1EEEvS12_.num_vgpr, 86
	.set _ZN7rocprim17ROCPRIM_400000_NS6detail17trampoline_kernelINS0_13select_configILj256ELj13ELNS0_17block_load_methodE3ELS4_3ELS4_3ELNS0_20block_scan_algorithmE0ELj4294967295EEENS1_25partition_config_selectorILNS1_17partition_subalgoE4EjNS0_10empty_typeEbEEZZNS1_14partition_implILS8_4ELb0ES6_15HIP_vector_typeIjLj2EENS0_17counting_iteratorIjlEEPS9_SG_NS0_5tupleIJPjSI_NS0_16reverse_iteratorISI_EEEEENSH_IJSG_SG_SG_EEES9_SI_JZNS1_25segmented_radix_sort_implINS0_14default_configELb1EPKhPhPKlPlN2at6native12_GLOBAL__N_18offset_tEEE10hipError_tPvRmT1_PNSt15iterator_traitsIS12_E10value_typeET2_T3_PNS13_IS18_E10value_typeET4_jRbjT5_S1E_jjP12ihipStream_tbEUljE_ZNSN_ISO_Lb1ESQ_SR_ST_SU_SY_EESZ_S10_S11_S12_S16_S17_S18_S1B_S1C_jS1D_jS1E_S1E_jjS1G_bEUljE0_EEESZ_S10_S11_S18_S1C_S1E_T6_T7_T9_mT8_S1G_bDpT10_ENKUlT_T0_E_clISt17integral_constantIbLb0EES1U_EEDaS1P_S1Q_EUlS1P_E_NS1_11comp_targetILNS1_3genE2ELNS1_11target_archE906ELNS1_3gpuE6ELNS1_3repE0EEENS1_30default_config_static_selectorELNS0_4arch9wavefront6targetE1EEEvS12_.num_agpr, 0
	.set _ZN7rocprim17ROCPRIM_400000_NS6detail17trampoline_kernelINS0_13select_configILj256ELj13ELNS0_17block_load_methodE3ELS4_3ELS4_3ELNS0_20block_scan_algorithmE0ELj4294967295EEENS1_25partition_config_selectorILNS1_17partition_subalgoE4EjNS0_10empty_typeEbEEZZNS1_14partition_implILS8_4ELb0ES6_15HIP_vector_typeIjLj2EENS0_17counting_iteratorIjlEEPS9_SG_NS0_5tupleIJPjSI_NS0_16reverse_iteratorISI_EEEEENSH_IJSG_SG_SG_EEES9_SI_JZNS1_25segmented_radix_sort_implINS0_14default_configELb1EPKhPhPKlPlN2at6native12_GLOBAL__N_18offset_tEEE10hipError_tPvRmT1_PNSt15iterator_traitsIS12_E10value_typeET2_T3_PNS13_IS18_E10value_typeET4_jRbjT5_S1E_jjP12ihipStream_tbEUljE_ZNSN_ISO_Lb1ESQ_SR_ST_SU_SY_EESZ_S10_S11_S12_S16_S17_S18_S1B_S1C_jS1D_jS1E_S1E_jjS1G_bEUljE0_EEESZ_S10_S11_S18_S1C_S1E_T6_T7_T9_mT8_S1G_bDpT10_ENKUlT_T0_E_clISt17integral_constantIbLb0EES1U_EEDaS1P_S1Q_EUlS1P_E_NS1_11comp_targetILNS1_3genE2ELNS1_11target_archE906ELNS1_3gpuE6ELNS1_3repE0EEENS1_30default_config_static_selectorELNS0_4arch9wavefront6targetE1EEEvS12_.numbered_sgpr, 90
	.set _ZN7rocprim17ROCPRIM_400000_NS6detail17trampoline_kernelINS0_13select_configILj256ELj13ELNS0_17block_load_methodE3ELS4_3ELS4_3ELNS0_20block_scan_algorithmE0ELj4294967295EEENS1_25partition_config_selectorILNS1_17partition_subalgoE4EjNS0_10empty_typeEbEEZZNS1_14partition_implILS8_4ELb0ES6_15HIP_vector_typeIjLj2EENS0_17counting_iteratorIjlEEPS9_SG_NS0_5tupleIJPjSI_NS0_16reverse_iteratorISI_EEEEENSH_IJSG_SG_SG_EEES9_SI_JZNS1_25segmented_radix_sort_implINS0_14default_configELb1EPKhPhPKlPlN2at6native12_GLOBAL__N_18offset_tEEE10hipError_tPvRmT1_PNSt15iterator_traitsIS12_E10value_typeET2_T3_PNS13_IS18_E10value_typeET4_jRbjT5_S1E_jjP12ihipStream_tbEUljE_ZNSN_ISO_Lb1ESQ_SR_ST_SU_SY_EESZ_S10_S11_S12_S16_S17_S18_S1B_S1C_jS1D_jS1E_S1E_jjS1G_bEUljE0_EEESZ_S10_S11_S18_S1C_S1E_T6_T7_T9_mT8_S1G_bDpT10_ENKUlT_T0_E_clISt17integral_constantIbLb0EES1U_EEDaS1P_S1Q_EUlS1P_E_NS1_11comp_targetILNS1_3genE2ELNS1_11target_archE906ELNS1_3gpuE6ELNS1_3repE0EEENS1_30default_config_static_selectorELNS0_4arch9wavefront6targetE1EEEvS12_.num_named_barrier, 0
	.set _ZN7rocprim17ROCPRIM_400000_NS6detail17trampoline_kernelINS0_13select_configILj256ELj13ELNS0_17block_load_methodE3ELS4_3ELS4_3ELNS0_20block_scan_algorithmE0ELj4294967295EEENS1_25partition_config_selectorILNS1_17partition_subalgoE4EjNS0_10empty_typeEbEEZZNS1_14partition_implILS8_4ELb0ES6_15HIP_vector_typeIjLj2EENS0_17counting_iteratorIjlEEPS9_SG_NS0_5tupleIJPjSI_NS0_16reverse_iteratorISI_EEEEENSH_IJSG_SG_SG_EEES9_SI_JZNS1_25segmented_radix_sort_implINS0_14default_configELb1EPKhPhPKlPlN2at6native12_GLOBAL__N_18offset_tEEE10hipError_tPvRmT1_PNSt15iterator_traitsIS12_E10value_typeET2_T3_PNS13_IS18_E10value_typeET4_jRbjT5_S1E_jjP12ihipStream_tbEUljE_ZNSN_ISO_Lb1ESQ_SR_ST_SU_SY_EESZ_S10_S11_S12_S16_S17_S18_S1B_S1C_jS1D_jS1E_S1E_jjS1G_bEUljE0_EEESZ_S10_S11_S18_S1C_S1E_T6_T7_T9_mT8_S1G_bDpT10_ENKUlT_T0_E_clISt17integral_constantIbLb0EES1U_EEDaS1P_S1Q_EUlS1P_E_NS1_11comp_targetILNS1_3genE2ELNS1_11target_archE906ELNS1_3gpuE6ELNS1_3repE0EEENS1_30default_config_static_selectorELNS0_4arch9wavefront6targetE1EEEvS12_.private_seg_size, 0
	.set _ZN7rocprim17ROCPRIM_400000_NS6detail17trampoline_kernelINS0_13select_configILj256ELj13ELNS0_17block_load_methodE3ELS4_3ELS4_3ELNS0_20block_scan_algorithmE0ELj4294967295EEENS1_25partition_config_selectorILNS1_17partition_subalgoE4EjNS0_10empty_typeEbEEZZNS1_14partition_implILS8_4ELb0ES6_15HIP_vector_typeIjLj2EENS0_17counting_iteratorIjlEEPS9_SG_NS0_5tupleIJPjSI_NS0_16reverse_iteratorISI_EEEEENSH_IJSG_SG_SG_EEES9_SI_JZNS1_25segmented_radix_sort_implINS0_14default_configELb1EPKhPhPKlPlN2at6native12_GLOBAL__N_18offset_tEEE10hipError_tPvRmT1_PNSt15iterator_traitsIS12_E10value_typeET2_T3_PNS13_IS18_E10value_typeET4_jRbjT5_S1E_jjP12ihipStream_tbEUljE_ZNSN_ISO_Lb1ESQ_SR_ST_SU_SY_EESZ_S10_S11_S12_S16_S17_S18_S1B_S1C_jS1D_jS1E_S1E_jjS1G_bEUljE0_EEESZ_S10_S11_S18_S1C_S1E_T6_T7_T9_mT8_S1G_bDpT10_ENKUlT_T0_E_clISt17integral_constantIbLb0EES1U_EEDaS1P_S1Q_EUlS1P_E_NS1_11comp_targetILNS1_3genE2ELNS1_11target_archE906ELNS1_3gpuE6ELNS1_3repE0EEENS1_30default_config_static_selectorELNS0_4arch9wavefront6targetE1EEEvS12_.uses_vcc, 1
	.set _ZN7rocprim17ROCPRIM_400000_NS6detail17trampoline_kernelINS0_13select_configILj256ELj13ELNS0_17block_load_methodE3ELS4_3ELS4_3ELNS0_20block_scan_algorithmE0ELj4294967295EEENS1_25partition_config_selectorILNS1_17partition_subalgoE4EjNS0_10empty_typeEbEEZZNS1_14partition_implILS8_4ELb0ES6_15HIP_vector_typeIjLj2EENS0_17counting_iteratorIjlEEPS9_SG_NS0_5tupleIJPjSI_NS0_16reverse_iteratorISI_EEEEENSH_IJSG_SG_SG_EEES9_SI_JZNS1_25segmented_radix_sort_implINS0_14default_configELb1EPKhPhPKlPlN2at6native12_GLOBAL__N_18offset_tEEE10hipError_tPvRmT1_PNSt15iterator_traitsIS12_E10value_typeET2_T3_PNS13_IS18_E10value_typeET4_jRbjT5_S1E_jjP12ihipStream_tbEUljE_ZNSN_ISO_Lb1ESQ_SR_ST_SU_SY_EESZ_S10_S11_S12_S16_S17_S18_S1B_S1C_jS1D_jS1E_S1E_jjS1G_bEUljE0_EEESZ_S10_S11_S18_S1C_S1E_T6_T7_T9_mT8_S1G_bDpT10_ENKUlT_T0_E_clISt17integral_constantIbLb0EES1U_EEDaS1P_S1Q_EUlS1P_E_NS1_11comp_targetILNS1_3genE2ELNS1_11target_archE906ELNS1_3gpuE6ELNS1_3repE0EEENS1_30default_config_static_selectorELNS0_4arch9wavefront6targetE1EEEvS12_.uses_flat_scratch, 0
	.set _ZN7rocprim17ROCPRIM_400000_NS6detail17trampoline_kernelINS0_13select_configILj256ELj13ELNS0_17block_load_methodE3ELS4_3ELS4_3ELNS0_20block_scan_algorithmE0ELj4294967295EEENS1_25partition_config_selectorILNS1_17partition_subalgoE4EjNS0_10empty_typeEbEEZZNS1_14partition_implILS8_4ELb0ES6_15HIP_vector_typeIjLj2EENS0_17counting_iteratorIjlEEPS9_SG_NS0_5tupleIJPjSI_NS0_16reverse_iteratorISI_EEEEENSH_IJSG_SG_SG_EEES9_SI_JZNS1_25segmented_radix_sort_implINS0_14default_configELb1EPKhPhPKlPlN2at6native12_GLOBAL__N_18offset_tEEE10hipError_tPvRmT1_PNSt15iterator_traitsIS12_E10value_typeET2_T3_PNS13_IS18_E10value_typeET4_jRbjT5_S1E_jjP12ihipStream_tbEUljE_ZNSN_ISO_Lb1ESQ_SR_ST_SU_SY_EESZ_S10_S11_S12_S16_S17_S18_S1B_S1C_jS1D_jS1E_S1E_jjS1G_bEUljE0_EEESZ_S10_S11_S18_S1C_S1E_T6_T7_T9_mT8_S1G_bDpT10_ENKUlT_T0_E_clISt17integral_constantIbLb0EES1U_EEDaS1P_S1Q_EUlS1P_E_NS1_11comp_targetILNS1_3genE2ELNS1_11target_archE906ELNS1_3gpuE6ELNS1_3repE0EEENS1_30default_config_static_selectorELNS0_4arch9wavefront6targetE1EEEvS12_.has_dyn_sized_stack, 0
	.set _ZN7rocprim17ROCPRIM_400000_NS6detail17trampoline_kernelINS0_13select_configILj256ELj13ELNS0_17block_load_methodE3ELS4_3ELS4_3ELNS0_20block_scan_algorithmE0ELj4294967295EEENS1_25partition_config_selectorILNS1_17partition_subalgoE4EjNS0_10empty_typeEbEEZZNS1_14partition_implILS8_4ELb0ES6_15HIP_vector_typeIjLj2EENS0_17counting_iteratorIjlEEPS9_SG_NS0_5tupleIJPjSI_NS0_16reverse_iteratorISI_EEEEENSH_IJSG_SG_SG_EEES9_SI_JZNS1_25segmented_radix_sort_implINS0_14default_configELb1EPKhPhPKlPlN2at6native12_GLOBAL__N_18offset_tEEE10hipError_tPvRmT1_PNSt15iterator_traitsIS12_E10value_typeET2_T3_PNS13_IS18_E10value_typeET4_jRbjT5_S1E_jjP12ihipStream_tbEUljE_ZNSN_ISO_Lb1ESQ_SR_ST_SU_SY_EESZ_S10_S11_S12_S16_S17_S18_S1B_S1C_jS1D_jS1E_S1E_jjS1G_bEUljE0_EEESZ_S10_S11_S18_S1C_S1E_T6_T7_T9_mT8_S1G_bDpT10_ENKUlT_T0_E_clISt17integral_constantIbLb0EES1U_EEDaS1P_S1Q_EUlS1P_E_NS1_11comp_targetILNS1_3genE2ELNS1_11target_archE906ELNS1_3gpuE6ELNS1_3repE0EEENS1_30default_config_static_selectorELNS0_4arch9wavefront6targetE1EEEvS12_.has_recursion, 0
	.set _ZN7rocprim17ROCPRIM_400000_NS6detail17trampoline_kernelINS0_13select_configILj256ELj13ELNS0_17block_load_methodE3ELS4_3ELS4_3ELNS0_20block_scan_algorithmE0ELj4294967295EEENS1_25partition_config_selectorILNS1_17partition_subalgoE4EjNS0_10empty_typeEbEEZZNS1_14partition_implILS8_4ELb0ES6_15HIP_vector_typeIjLj2EENS0_17counting_iteratorIjlEEPS9_SG_NS0_5tupleIJPjSI_NS0_16reverse_iteratorISI_EEEEENSH_IJSG_SG_SG_EEES9_SI_JZNS1_25segmented_radix_sort_implINS0_14default_configELb1EPKhPhPKlPlN2at6native12_GLOBAL__N_18offset_tEEE10hipError_tPvRmT1_PNSt15iterator_traitsIS12_E10value_typeET2_T3_PNS13_IS18_E10value_typeET4_jRbjT5_S1E_jjP12ihipStream_tbEUljE_ZNSN_ISO_Lb1ESQ_SR_ST_SU_SY_EESZ_S10_S11_S12_S16_S17_S18_S1B_S1C_jS1D_jS1E_S1E_jjS1G_bEUljE0_EEESZ_S10_S11_S18_S1C_S1E_T6_T7_T9_mT8_S1G_bDpT10_ENKUlT_T0_E_clISt17integral_constantIbLb0EES1U_EEDaS1P_S1Q_EUlS1P_E_NS1_11comp_targetILNS1_3genE2ELNS1_11target_archE906ELNS1_3gpuE6ELNS1_3repE0EEENS1_30default_config_static_selectorELNS0_4arch9wavefront6targetE1EEEvS12_.has_indirect_call, 0
	.section	.AMDGPU.csdata,"",@progbits
; Kernel info:
; codeLenInByte = 15480
; TotalNumSgprs: 94
; NumVgprs: 86
; ScratchSize: 0
; MemoryBound: 0
; FloatMode: 240
; IeeeMode: 1
; LDSByteSize: 13328 bytes/workgroup (compile time only)
; SGPRBlocks: 12
; VGPRBlocks: 21
; NumSGPRsForWavesPerEU: 102
; NumVGPRsForWavesPerEU: 86
; Occupancy: 2
; WaveLimiterHint : 1
; COMPUTE_PGM_RSRC2:SCRATCH_EN: 0
; COMPUTE_PGM_RSRC2:USER_SGPR: 6
; COMPUTE_PGM_RSRC2:TRAP_HANDLER: 0
; COMPUTE_PGM_RSRC2:TGID_X_EN: 1
; COMPUTE_PGM_RSRC2:TGID_Y_EN: 0
; COMPUTE_PGM_RSRC2:TGID_Z_EN: 0
; COMPUTE_PGM_RSRC2:TIDIG_COMP_CNT: 0
	.section	.text._ZN7rocprim17ROCPRIM_400000_NS6detail17trampoline_kernelINS0_13select_configILj256ELj13ELNS0_17block_load_methodE3ELS4_3ELS4_3ELNS0_20block_scan_algorithmE0ELj4294967295EEENS1_25partition_config_selectorILNS1_17partition_subalgoE4EjNS0_10empty_typeEbEEZZNS1_14partition_implILS8_4ELb0ES6_15HIP_vector_typeIjLj2EENS0_17counting_iteratorIjlEEPS9_SG_NS0_5tupleIJPjSI_NS0_16reverse_iteratorISI_EEEEENSH_IJSG_SG_SG_EEES9_SI_JZNS1_25segmented_radix_sort_implINS0_14default_configELb1EPKhPhPKlPlN2at6native12_GLOBAL__N_18offset_tEEE10hipError_tPvRmT1_PNSt15iterator_traitsIS12_E10value_typeET2_T3_PNS13_IS18_E10value_typeET4_jRbjT5_S1E_jjP12ihipStream_tbEUljE_ZNSN_ISO_Lb1ESQ_SR_ST_SU_SY_EESZ_S10_S11_S12_S16_S17_S18_S1B_S1C_jS1D_jS1E_S1E_jjS1G_bEUljE0_EEESZ_S10_S11_S18_S1C_S1E_T6_T7_T9_mT8_S1G_bDpT10_ENKUlT_T0_E_clISt17integral_constantIbLb0EES1U_EEDaS1P_S1Q_EUlS1P_E_NS1_11comp_targetILNS1_3genE10ELNS1_11target_archE1200ELNS1_3gpuE4ELNS1_3repE0EEENS1_30default_config_static_selectorELNS0_4arch9wavefront6targetE1EEEvS12_,"axG",@progbits,_ZN7rocprim17ROCPRIM_400000_NS6detail17trampoline_kernelINS0_13select_configILj256ELj13ELNS0_17block_load_methodE3ELS4_3ELS4_3ELNS0_20block_scan_algorithmE0ELj4294967295EEENS1_25partition_config_selectorILNS1_17partition_subalgoE4EjNS0_10empty_typeEbEEZZNS1_14partition_implILS8_4ELb0ES6_15HIP_vector_typeIjLj2EENS0_17counting_iteratorIjlEEPS9_SG_NS0_5tupleIJPjSI_NS0_16reverse_iteratorISI_EEEEENSH_IJSG_SG_SG_EEES9_SI_JZNS1_25segmented_radix_sort_implINS0_14default_configELb1EPKhPhPKlPlN2at6native12_GLOBAL__N_18offset_tEEE10hipError_tPvRmT1_PNSt15iterator_traitsIS12_E10value_typeET2_T3_PNS13_IS18_E10value_typeET4_jRbjT5_S1E_jjP12ihipStream_tbEUljE_ZNSN_ISO_Lb1ESQ_SR_ST_SU_SY_EESZ_S10_S11_S12_S16_S17_S18_S1B_S1C_jS1D_jS1E_S1E_jjS1G_bEUljE0_EEESZ_S10_S11_S18_S1C_S1E_T6_T7_T9_mT8_S1G_bDpT10_ENKUlT_T0_E_clISt17integral_constantIbLb0EES1U_EEDaS1P_S1Q_EUlS1P_E_NS1_11comp_targetILNS1_3genE10ELNS1_11target_archE1200ELNS1_3gpuE4ELNS1_3repE0EEENS1_30default_config_static_selectorELNS0_4arch9wavefront6targetE1EEEvS12_,comdat
	.globl	_ZN7rocprim17ROCPRIM_400000_NS6detail17trampoline_kernelINS0_13select_configILj256ELj13ELNS0_17block_load_methodE3ELS4_3ELS4_3ELNS0_20block_scan_algorithmE0ELj4294967295EEENS1_25partition_config_selectorILNS1_17partition_subalgoE4EjNS0_10empty_typeEbEEZZNS1_14partition_implILS8_4ELb0ES6_15HIP_vector_typeIjLj2EENS0_17counting_iteratorIjlEEPS9_SG_NS0_5tupleIJPjSI_NS0_16reverse_iteratorISI_EEEEENSH_IJSG_SG_SG_EEES9_SI_JZNS1_25segmented_radix_sort_implINS0_14default_configELb1EPKhPhPKlPlN2at6native12_GLOBAL__N_18offset_tEEE10hipError_tPvRmT1_PNSt15iterator_traitsIS12_E10value_typeET2_T3_PNS13_IS18_E10value_typeET4_jRbjT5_S1E_jjP12ihipStream_tbEUljE_ZNSN_ISO_Lb1ESQ_SR_ST_SU_SY_EESZ_S10_S11_S12_S16_S17_S18_S1B_S1C_jS1D_jS1E_S1E_jjS1G_bEUljE0_EEESZ_S10_S11_S18_S1C_S1E_T6_T7_T9_mT8_S1G_bDpT10_ENKUlT_T0_E_clISt17integral_constantIbLb0EES1U_EEDaS1P_S1Q_EUlS1P_E_NS1_11comp_targetILNS1_3genE10ELNS1_11target_archE1200ELNS1_3gpuE4ELNS1_3repE0EEENS1_30default_config_static_selectorELNS0_4arch9wavefront6targetE1EEEvS12_ ; -- Begin function _ZN7rocprim17ROCPRIM_400000_NS6detail17trampoline_kernelINS0_13select_configILj256ELj13ELNS0_17block_load_methodE3ELS4_3ELS4_3ELNS0_20block_scan_algorithmE0ELj4294967295EEENS1_25partition_config_selectorILNS1_17partition_subalgoE4EjNS0_10empty_typeEbEEZZNS1_14partition_implILS8_4ELb0ES6_15HIP_vector_typeIjLj2EENS0_17counting_iteratorIjlEEPS9_SG_NS0_5tupleIJPjSI_NS0_16reverse_iteratorISI_EEEEENSH_IJSG_SG_SG_EEES9_SI_JZNS1_25segmented_radix_sort_implINS0_14default_configELb1EPKhPhPKlPlN2at6native12_GLOBAL__N_18offset_tEEE10hipError_tPvRmT1_PNSt15iterator_traitsIS12_E10value_typeET2_T3_PNS13_IS18_E10value_typeET4_jRbjT5_S1E_jjP12ihipStream_tbEUljE_ZNSN_ISO_Lb1ESQ_SR_ST_SU_SY_EESZ_S10_S11_S12_S16_S17_S18_S1B_S1C_jS1D_jS1E_S1E_jjS1G_bEUljE0_EEESZ_S10_S11_S18_S1C_S1E_T6_T7_T9_mT8_S1G_bDpT10_ENKUlT_T0_E_clISt17integral_constantIbLb0EES1U_EEDaS1P_S1Q_EUlS1P_E_NS1_11comp_targetILNS1_3genE10ELNS1_11target_archE1200ELNS1_3gpuE4ELNS1_3repE0EEENS1_30default_config_static_selectorELNS0_4arch9wavefront6targetE1EEEvS12_
	.p2align	8
	.type	_ZN7rocprim17ROCPRIM_400000_NS6detail17trampoline_kernelINS0_13select_configILj256ELj13ELNS0_17block_load_methodE3ELS4_3ELS4_3ELNS0_20block_scan_algorithmE0ELj4294967295EEENS1_25partition_config_selectorILNS1_17partition_subalgoE4EjNS0_10empty_typeEbEEZZNS1_14partition_implILS8_4ELb0ES6_15HIP_vector_typeIjLj2EENS0_17counting_iteratorIjlEEPS9_SG_NS0_5tupleIJPjSI_NS0_16reverse_iteratorISI_EEEEENSH_IJSG_SG_SG_EEES9_SI_JZNS1_25segmented_radix_sort_implINS0_14default_configELb1EPKhPhPKlPlN2at6native12_GLOBAL__N_18offset_tEEE10hipError_tPvRmT1_PNSt15iterator_traitsIS12_E10value_typeET2_T3_PNS13_IS18_E10value_typeET4_jRbjT5_S1E_jjP12ihipStream_tbEUljE_ZNSN_ISO_Lb1ESQ_SR_ST_SU_SY_EESZ_S10_S11_S12_S16_S17_S18_S1B_S1C_jS1D_jS1E_S1E_jjS1G_bEUljE0_EEESZ_S10_S11_S18_S1C_S1E_T6_T7_T9_mT8_S1G_bDpT10_ENKUlT_T0_E_clISt17integral_constantIbLb0EES1U_EEDaS1P_S1Q_EUlS1P_E_NS1_11comp_targetILNS1_3genE10ELNS1_11target_archE1200ELNS1_3gpuE4ELNS1_3repE0EEENS1_30default_config_static_selectorELNS0_4arch9wavefront6targetE1EEEvS12_,@function
_ZN7rocprim17ROCPRIM_400000_NS6detail17trampoline_kernelINS0_13select_configILj256ELj13ELNS0_17block_load_methodE3ELS4_3ELS4_3ELNS0_20block_scan_algorithmE0ELj4294967295EEENS1_25partition_config_selectorILNS1_17partition_subalgoE4EjNS0_10empty_typeEbEEZZNS1_14partition_implILS8_4ELb0ES6_15HIP_vector_typeIjLj2EENS0_17counting_iteratorIjlEEPS9_SG_NS0_5tupleIJPjSI_NS0_16reverse_iteratorISI_EEEEENSH_IJSG_SG_SG_EEES9_SI_JZNS1_25segmented_radix_sort_implINS0_14default_configELb1EPKhPhPKlPlN2at6native12_GLOBAL__N_18offset_tEEE10hipError_tPvRmT1_PNSt15iterator_traitsIS12_E10value_typeET2_T3_PNS13_IS18_E10value_typeET4_jRbjT5_S1E_jjP12ihipStream_tbEUljE_ZNSN_ISO_Lb1ESQ_SR_ST_SU_SY_EESZ_S10_S11_S12_S16_S17_S18_S1B_S1C_jS1D_jS1E_S1E_jjS1G_bEUljE0_EEESZ_S10_S11_S18_S1C_S1E_T6_T7_T9_mT8_S1G_bDpT10_ENKUlT_T0_E_clISt17integral_constantIbLb0EES1U_EEDaS1P_S1Q_EUlS1P_E_NS1_11comp_targetILNS1_3genE10ELNS1_11target_archE1200ELNS1_3gpuE4ELNS1_3repE0EEENS1_30default_config_static_selectorELNS0_4arch9wavefront6targetE1EEEvS12_: ; @_ZN7rocprim17ROCPRIM_400000_NS6detail17trampoline_kernelINS0_13select_configILj256ELj13ELNS0_17block_load_methodE3ELS4_3ELS4_3ELNS0_20block_scan_algorithmE0ELj4294967295EEENS1_25partition_config_selectorILNS1_17partition_subalgoE4EjNS0_10empty_typeEbEEZZNS1_14partition_implILS8_4ELb0ES6_15HIP_vector_typeIjLj2EENS0_17counting_iteratorIjlEEPS9_SG_NS0_5tupleIJPjSI_NS0_16reverse_iteratorISI_EEEEENSH_IJSG_SG_SG_EEES9_SI_JZNS1_25segmented_radix_sort_implINS0_14default_configELb1EPKhPhPKlPlN2at6native12_GLOBAL__N_18offset_tEEE10hipError_tPvRmT1_PNSt15iterator_traitsIS12_E10value_typeET2_T3_PNS13_IS18_E10value_typeET4_jRbjT5_S1E_jjP12ihipStream_tbEUljE_ZNSN_ISO_Lb1ESQ_SR_ST_SU_SY_EESZ_S10_S11_S12_S16_S17_S18_S1B_S1C_jS1D_jS1E_S1E_jjS1G_bEUljE0_EEESZ_S10_S11_S18_S1C_S1E_T6_T7_T9_mT8_S1G_bDpT10_ENKUlT_T0_E_clISt17integral_constantIbLb0EES1U_EEDaS1P_S1Q_EUlS1P_E_NS1_11comp_targetILNS1_3genE10ELNS1_11target_archE1200ELNS1_3gpuE4ELNS1_3repE0EEENS1_30default_config_static_selectorELNS0_4arch9wavefront6targetE1EEEvS12_
; %bb.0:
	.section	.rodata,"a",@progbits
	.p2align	6, 0x0
	.amdhsa_kernel _ZN7rocprim17ROCPRIM_400000_NS6detail17trampoline_kernelINS0_13select_configILj256ELj13ELNS0_17block_load_methodE3ELS4_3ELS4_3ELNS0_20block_scan_algorithmE0ELj4294967295EEENS1_25partition_config_selectorILNS1_17partition_subalgoE4EjNS0_10empty_typeEbEEZZNS1_14partition_implILS8_4ELb0ES6_15HIP_vector_typeIjLj2EENS0_17counting_iteratorIjlEEPS9_SG_NS0_5tupleIJPjSI_NS0_16reverse_iteratorISI_EEEEENSH_IJSG_SG_SG_EEES9_SI_JZNS1_25segmented_radix_sort_implINS0_14default_configELb1EPKhPhPKlPlN2at6native12_GLOBAL__N_18offset_tEEE10hipError_tPvRmT1_PNSt15iterator_traitsIS12_E10value_typeET2_T3_PNS13_IS18_E10value_typeET4_jRbjT5_S1E_jjP12ihipStream_tbEUljE_ZNSN_ISO_Lb1ESQ_SR_ST_SU_SY_EESZ_S10_S11_S12_S16_S17_S18_S1B_S1C_jS1D_jS1E_S1E_jjS1G_bEUljE0_EEESZ_S10_S11_S18_S1C_S1E_T6_T7_T9_mT8_S1G_bDpT10_ENKUlT_T0_E_clISt17integral_constantIbLb0EES1U_EEDaS1P_S1Q_EUlS1P_E_NS1_11comp_targetILNS1_3genE10ELNS1_11target_archE1200ELNS1_3gpuE4ELNS1_3repE0EEENS1_30default_config_static_selectorELNS0_4arch9wavefront6targetE1EEEvS12_
		.amdhsa_group_segment_fixed_size 0
		.amdhsa_private_segment_fixed_size 0
		.amdhsa_kernarg_size 176
		.amdhsa_user_sgpr_count 6
		.amdhsa_user_sgpr_private_segment_buffer 1
		.amdhsa_user_sgpr_dispatch_ptr 0
		.amdhsa_user_sgpr_queue_ptr 0
		.amdhsa_user_sgpr_kernarg_segment_ptr 1
		.amdhsa_user_sgpr_dispatch_id 0
		.amdhsa_user_sgpr_flat_scratch_init 0
		.amdhsa_user_sgpr_private_segment_size 0
		.amdhsa_uses_dynamic_stack 0
		.amdhsa_system_sgpr_private_segment_wavefront_offset 0
		.amdhsa_system_sgpr_workgroup_id_x 1
		.amdhsa_system_sgpr_workgroup_id_y 0
		.amdhsa_system_sgpr_workgroup_id_z 0
		.amdhsa_system_sgpr_workgroup_info 0
		.amdhsa_system_vgpr_workitem_id 0
		.amdhsa_next_free_vgpr 1
		.amdhsa_next_free_sgpr 0
		.amdhsa_reserve_vcc 0
		.amdhsa_reserve_flat_scratch 0
		.amdhsa_float_round_mode_32 0
		.amdhsa_float_round_mode_16_64 0
		.amdhsa_float_denorm_mode_32 3
		.amdhsa_float_denorm_mode_16_64 3
		.amdhsa_dx10_clamp 1
		.amdhsa_ieee_mode 1
		.amdhsa_fp16_overflow 0
		.amdhsa_exception_fp_ieee_invalid_op 0
		.amdhsa_exception_fp_denorm_src 0
		.amdhsa_exception_fp_ieee_div_zero 0
		.amdhsa_exception_fp_ieee_overflow 0
		.amdhsa_exception_fp_ieee_underflow 0
		.amdhsa_exception_fp_ieee_inexact 0
		.amdhsa_exception_int_div_zero 0
	.end_amdhsa_kernel
	.section	.text._ZN7rocprim17ROCPRIM_400000_NS6detail17trampoline_kernelINS0_13select_configILj256ELj13ELNS0_17block_load_methodE3ELS4_3ELS4_3ELNS0_20block_scan_algorithmE0ELj4294967295EEENS1_25partition_config_selectorILNS1_17partition_subalgoE4EjNS0_10empty_typeEbEEZZNS1_14partition_implILS8_4ELb0ES6_15HIP_vector_typeIjLj2EENS0_17counting_iteratorIjlEEPS9_SG_NS0_5tupleIJPjSI_NS0_16reverse_iteratorISI_EEEEENSH_IJSG_SG_SG_EEES9_SI_JZNS1_25segmented_radix_sort_implINS0_14default_configELb1EPKhPhPKlPlN2at6native12_GLOBAL__N_18offset_tEEE10hipError_tPvRmT1_PNSt15iterator_traitsIS12_E10value_typeET2_T3_PNS13_IS18_E10value_typeET4_jRbjT5_S1E_jjP12ihipStream_tbEUljE_ZNSN_ISO_Lb1ESQ_SR_ST_SU_SY_EESZ_S10_S11_S12_S16_S17_S18_S1B_S1C_jS1D_jS1E_S1E_jjS1G_bEUljE0_EEESZ_S10_S11_S18_S1C_S1E_T6_T7_T9_mT8_S1G_bDpT10_ENKUlT_T0_E_clISt17integral_constantIbLb0EES1U_EEDaS1P_S1Q_EUlS1P_E_NS1_11comp_targetILNS1_3genE10ELNS1_11target_archE1200ELNS1_3gpuE4ELNS1_3repE0EEENS1_30default_config_static_selectorELNS0_4arch9wavefront6targetE1EEEvS12_,"axG",@progbits,_ZN7rocprim17ROCPRIM_400000_NS6detail17trampoline_kernelINS0_13select_configILj256ELj13ELNS0_17block_load_methodE3ELS4_3ELS4_3ELNS0_20block_scan_algorithmE0ELj4294967295EEENS1_25partition_config_selectorILNS1_17partition_subalgoE4EjNS0_10empty_typeEbEEZZNS1_14partition_implILS8_4ELb0ES6_15HIP_vector_typeIjLj2EENS0_17counting_iteratorIjlEEPS9_SG_NS0_5tupleIJPjSI_NS0_16reverse_iteratorISI_EEEEENSH_IJSG_SG_SG_EEES9_SI_JZNS1_25segmented_radix_sort_implINS0_14default_configELb1EPKhPhPKlPlN2at6native12_GLOBAL__N_18offset_tEEE10hipError_tPvRmT1_PNSt15iterator_traitsIS12_E10value_typeET2_T3_PNS13_IS18_E10value_typeET4_jRbjT5_S1E_jjP12ihipStream_tbEUljE_ZNSN_ISO_Lb1ESQ_SR_ST_SU_SY_EESZ_S10_S11_S12_S16_S17_S18_S1B_S1C_jS1D_jS1E_S1E_jjS1G_bEUljE0_EEESZ_S10_S11_S18_S1C_S1E_T6_T7_T9_mT8_S1G_bDpT10_ENKUlT_T0_E_clISt17integral_constantIbLb0EES1U_EEDaS1P_S1Q_EUlS1P_E_NS1_11comp_targetILNS1_3genE10ELNS1_11target_archE1200ELNS1_3gpuE4ELNS1_3repE0EEENS1_30default_config_static_selectorELNS0_4arch9wavefront6targetE1EEEvS12_,comdat
.Lfunc_end9:
	.size	_ZN7rocprim17ROCPRIM_400000_NS6detail17trampoline_kernelINS0_13select_configILj256ELj13ELNS0_17block_load_methodE3ELS4_3ELS4_3ELNS0_20block_scan_algorithmE0ELj4294967295EEENS1_25partition_config_selectorILNS1_17partition_subalgoE4EjNS0_10empty_typeEbEEZZNS1_14partition_implILS8_4ELb0ES6_15HIP_vector_typeIjLj2EENS0_17counting_iteratorIjlEEPS9_SG_NS0_5tupleIJPjSI_NS0_16reverse_iteratorISI_EEEEENSH_IJSG_SG_SG_EEES9_SI_JZNS1_25segmented_radix_sort_implINS0_14default_configELb1EPKhPhPKlPlN2at6native12_GLOBAL__N_18offset_tEEE10hipError_tPvRmT1_PNSt15iterator_traitsIS12_E10value_typeET2_T3_PNS13_IS18_E10value_typeET4_jRbjT5_S1E_jjP12ihipStream_tbEUljE_ZNSN_ISO_Lb1ESQ_SR_ST_SU_SY_EESZ_S10_S11_S12_S16_S17_S18_S1B_S1C_jS1D_jS1E_S1E_jjS1G_bEUljE0_EEESZ_S10_S11_S18_S1C_S1E_T6_T7_T9_mT8_S1G_bDpT10_ENKUlT_T0_E_clISt17integral_constantIbLb0EES1U_EEDaS1P_S1Q_EUlS1P_E_NS1_11comp_targetILNS1_3genE10ELNS1_11target_archE1200ELNS1_3gpuE4ELNS1_3repE0EEENS1_30default_config_static_selectorELNS0_4arch9wavefront6targetE1EEEvS12_, .Lfunc_end9-_ZN7rocprim17ROCPRIM_400000_NS6detail17trampoline_kernelINS0_13select_configILj256ELj13ELNS0_17block_load_methodE3ELS4_3ELS4_3ELNS0_20block_scan_algorithmE0ELj4294967295EEENS1_25partition_config_selectorILNS1_17partition_subalgoE4EjNS0_10empty_typeEbEEZZNS1_14partition_implILS8_4ELb0ES6_15HIP_vector_typeIjLj2EENS0_17counting_iteratorIjlEEPS9_SG_NS0_5tupleIJPjSI_NS0_16reverse_iteratorISI_EEEEENSH_IJSG_SG_SG_EEES9_SI_JZNS1_25segmented_radix_sort_implINS0_14default_configELb1EPKhPhPKlPlN2at6native12_GLOBAL__N_18offset_tEEE10hipError_tPvRmT1_PNSt15iterator_traitsIS12_E10value_typeET2_T3_PNS13_IS18_E10value_typeET4_jRbjT5_S1E_jjP12ihipStream_tbEUljE_ZNSN_ISO_Lb1ESQ_SR_ST_SU_SY_EESZ_S10_S11_S12_S16_S17_S18_S1B_S1C_jS1D_jS1E_S1E_jjS1G_bEUljE0_EEESZ_S10_S11_S18_S1C_S1E_T6_T7_T9_mT8_S1G_bDpT10_ENKUlT_T0_E_clISt17integral_constantIbLb0EES1U_EEDaS1P_S1Q_EUlS1P_E_NS1_11comp_targetILNS1_3genE10ELNS1_11target_archE1200ELNS1_3gpuE4ELNS1_3repE0EEENS1_30default_config_static_selectorELNS0_4arch9wavefront6targetE1EEEvS12_
                                        ; -- End function
	.set _ZN7rocprim17ROCPRIM_400000_NS6detail17trampoline_kernelINS0_13select_configILj256ELj13ELNS0_17block_load_methodE3ELS4_3ELS4_3ELNS0_20block_scan_algorithmE0ELj4294967295EEENS1_25partition_config_selectorILNS1_17partition_subalgoE4EjNS0_10empty_typeEbEEZZNS1_14partition_implILS8_4ELb0ES6_15HIP_vector_typeIjLj2EENS0_17counting_iteratorIjlEEPS9_SG_NS0_5tupleIJPjSI_NS0_16reverse_iteratorISI_EEEEENSH_IJSG_SG_SG_EEES9_SI_JZNS1_25segmented_radix_sort_implINS0_14default_configELb1EPKhPhPKlPlN2at6native12_GLOBAL__N_18offset_tEEE10hipError_tPvRmT1_PNSt15iterator_traitsIS12_E10value_typeET2_T3_PNS13_IS18_E10value_typeET4_jRbjT5_S1E_jjP12ihipStream_tbEUljE_ZNSN_ISO_Lb1ESQ_SR_ST_SU_SY_EESZ_S10_S11_S12_S16_S17_S18_S1B_S1C_jS1D_jS1E_S1E_jjS1G_bEUljE0_EEESZ_S10_S11_S18_S1C_S1E_T6_T7_T9_mT8_S1G_bDpT10_ENKUlT_T0_E_clISt17integral_constantIbLb0EES1U_EEDaS1P_S1Q_EUlS1P_E_NS1_11comp_targetILNS1_3genE10ELNS1_11target_archE1200ELNS1_3gpuE4ELNS1_3repE0EEENS1_30default_config_static_selectorELNS0_4arch9wavefront6targetE1EEEvS12_.num_vgpr, 0
	.set _ZN7rocprim17ROCPRIM_400000_NS6detail17trampoline_kernelINS0_13select_configILj256ELj13ELNS0_17block_load_methodE3ELS4_3ELS4_3ELNS0_20block_scan_algorithmE0ELj4294967295EEENS1_25partition_config_selectorILNS1_17partition_subalgoE4EjNS0_10empty_typeEbEEZZNS1_14partition_implILS8_4ELb0ES6_15HIP_vector_typeIjLj2EENS0_17counting_iteratorIjlEEPS9_SG_NS0_5tupleIJPjSI_NS0_16reverse_iteratorISI_EEEEENSH_IJSG_SG_SG_EEES9_SI_JZNS1_25segmented_radix_sort_implINS0_14default_configELb1EPKhPhPKlPlN2at6native12_GLOBAL__N_18offset_tEEE10hipError_tPvRmT1_PNSt15iterator_traitsIS12_E10value_typeET2_T3_PNS13_IS18_E10value_typeET4_jRbjT5_S1E_jjP12ihipStream_tbEUljE_ZNSN_ISO_Lb1ESQ_SR_ST_SU_SY_EESZ_S10_S11_S12_S16_S17_S18_S1B_S1C_jS1D_jS1E_S1E_jjS1G_bEUljE0_EEESZ_S10_S11_S18_S1C_S1E_T6_T7_T9_mT8_S1G_bDpT10_ENKUlT_T0_E_clISt17integral_constantIbLb0EES1U_EEDaS1P_S1Q_EUlS1P_E_NS1_11comp_targetILNS1_3genE10ELNS1_11target_archE1200ELNS1_3gpuE4ELNS1_3repE0EEENS1_30default_config_static_selectorELNS0_4arch9wavefront6targetE1EEEvS12_.num_agpr, 0
	.set _ZN7rocprim17ROCPRIM_400000_NS6detail17trampoline_kernelINS0_13select_configILj256ELj13ELNS0_17block_load_methodE3ELS4_3ELS4_3ELNS0_20block_scan_algorithmE0ELj4294967295EEENS1_25partition_config_selectorILNS1_17partition_subalgoE4EjNS0_10empty_typeEbEEZZNS1_14partition_implILS8_4ELb0ES6_15HIP_vector_typeIjLj2EENS0_17counting_iteratorIjlEEPS9_SG_NS0_5tupleIJPjSI_NS0_16reverse_iteratorISI_EEEEENSH_IJSG_SG_SG_EEES9_SI_JZNS1_25segmented_radix_sort_implINS0_14default_configELb1EPKhPhPKlPlN2at6native12_GLOBAL__N_18offset_tEEE10hipError_tPvRmT1_PNSt15iterator_traitsIS12_E10value_typeET2_T3_PNS13_IS18_E10value_typeET4_jRbjT5_S1E_jjP12ihipStream_tbEUljE_ZNSN_ISO_Lb1ESQ_SR_ST_SU_SY_EESZ_S10_S11_S12_S16_S17_S18_S1B_S1C_jS1D_jS1E_S1E_jjS1G_bEUljE0_EEESZ_S10_S11_S18_S1C_S1E_T6_T7_T9_mT8_S1G_bDpT10_ENKUlT_T0_E_clISt17integral_constantIbLb0EES1U_EEDaS1P_S1Q_EUlS1P_E_NS1_11comp_targetILNS1_3genE10ELNS1_11target_archE1200ELNS1_3gpuE4ELNS1_3repE0EEENS1_30default_config_static_selectorELNS0_4arch9wavefront6targetE1EEEvS12_.numbered_sgpr, 0
	.set _ZN7rocprim17ROCPRIM_400000_NS6detail17trampoline_kernelINS0_13select_configILj256ELj13ELNS0_17block_load_methodE3ELS4_3ELS4_3ELNS0_20block_scan_algorithmE0ELj4294967295EEENS1_25partition_config_selectorILNS1_17partition_subalgoE4EjNS0_10empty_typeEbEEZZNS1_14partition_implILS8_4ELb0ES6_15HIP_vector_typeIjLj2EENS0_17counting_iteratorIjlEEPS9_SG_NS0_5tupleIJPjSI_NS0_16reverse_iteratorISI_EEEEENSH_IJSG_SG_SG_EEES9_SI_JZNS1_25segmented_radix_sort_implINS0_14default_configELb1EPKhPhPKlPlN2at6native12_GLOBAL__N_18offset_tEEE10hipError_tPvRmT1_PNSt15iterator_traitsIS12_E10value_typeET2_T3_PNS13_IS18_E10value_typeET4_jRbjT5_S1E_jjP12ihipStream_tbEUljE_ZNSN_ISO_Lb1ESQ_SR_ST_SU_SY_EESZ_S10_S11_S12_S16_S17_S18_S1B_S1C_jS1D_jS1E_S1E_jjS1G_bEUljE0_EEESZ_S10_S11_S18_S1C_S1E_T6_T7_T9_mT8_S1G_bDpT10_ENKUlT_T0_E_clISt17integral_constantIbLb0EES1U_EEDaS1P_S1Q_EUlS1P_E_NS1_11comp_targetILNS1_3genE10ELNS1_11target_archE1200ELNS1_3gpuE4ELNS1_3repE0EEENS1_30default_config_static_selectorELNS0_4arch9wavefront6targetE1EEEvS12_.num_named_barrier, 0
	.set _ZN7rocprim17ROCPRIM_400000_NS6detail17trampoline_kernelINS0_13select_configILj256ELj13ELNS0_17block_load_methodE3ELS4_3ELS4_3ELNS0_20block_scan_algorithmE0ELj4294967295EEENS1_25partition_config_selectorILNS1_17partition_subalgoE4EjNS0_10empty_typeEbEEZZNS1_14partition_implILS8_4ELb0ES6_15HIP_vector_typeIjLj2EENS0_17counting_iteratorIjlEEPS9_SG_NS0_5tupleIJPjSI_NS0_16reverse_iteratorISI_EEEEENSH_IJSG_SG_SG_EEES9_SI_JZNS1_25segmented_radix_sort_implINS0_14default_configELb1EPKhPhPKlPlN2at6native12_GLOBAL__N_18offset_tEEE10hipError_tPvRmT1_PNSt15iterator_traitsIS12_E10value_typeET2_T3_PNS13_IS18_E10value_typeET4_jRbjT5_S1E_jjP12ihipStream_tbEUljE_ZNSN_ISO_Lb1ESQ_SR_ST_SU_SY_EESZ_S10_S11_S12_S16_S17_S18_S1B_S1C_jS1D_jS1E_S1E_jjS1G_bEUljE0_EEESZ_S10_S11_S18_S1C_S1E_T6_T7_T9_mT8_S1G_bDpT10_ENKUlT_T0_E_clISt17integral_constantIbLb0EES1U_EEDaS1P_S1Q_EUlS1P_E_NS1_11comp_targetILNS1_3genE10ELNS1_11target_archE1200ELNS1_3gpuE4ELNS1_3repE0EEENS1_30default_config_static_selectorELNS0_4arch9wavefront6targetE1EEEvS12_.private_seg_size, 0
	.set _ZN7rocprim17ROCPRIM_400000_NS6detail17trampoline_kernelINS0_13select_configILj256ELj13ELNS0_17block_load_methodE3ELS4_3ELS4_3ELNS0_20block_scan_algorithmE0ELj4294967295EEENS1_25partition_config_selectorILNS1_17partition_subalgoE4EjNS0_10empty_typeEbEEZZNS1_14partition_implILS8_4ELb0ES6_15HIP_vector_typeIjLj2EENS0_17counting_iteratorIjlEEPS9_SG_NS0_5tupleIJPjSI_NS0_16reverse_iteratorISI_EEEEENSH_IJSG_SG_SG_EEES9_SI_JZNS1_25segmented_radix_sort_implINS0_14default_configELb1EPKhPhPKlPlN2at6native12_GLOBAL__N_18offset_tEEE10hipError_tPvRmT1_PNSt15iterator_traitsIS12_E10value_typeET2_T3_PNS13_IS18_E10value_typeET4_jRbjT5_S1E_jjP12ihipStream_tbEUljE_ZNSN_ISO_Lb1ESQ_SR_ST_SU_SY_EESZ_S10_S11_S12_S16_S17_S18_S1B_S1C_jS1D_jS1E_S1E_jjS1G_bEUljE0_EEESZ_S10_S11_S18_S1C_S1E_T6_T7_T9_mT8_S1G_bDpT10_ENKUlT_T0_E_clISt17integral_constantIbLb0EES1U_EEDaS1P_S1Q_EUlS1P_E_NS1_11comp_targetILNS1_3genE10ELNS1_11target_archE1200ELNS1_3gpuE4ELNS1_3repE0EEENS1_30default_config_static_selectorELNS0_4arch9wavefront6targetE1EEEvS12_.uses_vcc, 0
	.set _ZN7rocprim17ROCPRIM_400000_NS6detail17trampoline_kernelINS0_13select_configILj256ELj13ELNS0_17block_load_methodE3ELS4_3ELS4_3ELNS0_20block_scan_algorithmE0ELj4294967295EEENS1_25partition_config_selectorILNS1_17partition_subalgoE4EjNS0_10empty_typeEbEEZZNS1_14partition_implILS8_4ELb0ES6_15HIP_vector_typeIjLj2EENS0_17counting_iteratorIjlEEPS9_SG_NS0_5tupleIJPjSI_NS0_16reverse_iteratorISI_EEEEENSH_IJSG_SG_SG_EEES9_SI_JZNS1_25segmented_radix_sort_implINS0_14default_configELb1EPKhPhPKlPlN2at6native12_GLOBAL__N_18offset_tEEE10hipError_tPvRmT1_PNSt15iterator_traitsIS12_E10value_typeET2_T3_PNS13_IS18_E10value_typeET4_jRbjT5_S1E_jjP12ihipStream_tbEUljE_ZNSN_ISO_Lb1ESQ_SR_ST_SU_SY_EESZ_S10_S11_S12_S16_S17_S18_S1B_S1C_jS1D_jS1E_S1E_jjS1G_bEUljE0_EEESZ_S10_S11_S18_S1C_S1E_T6_T7_T9_mT8_S1G_bDpT10_ENKUlT_T0_E_clISt17integral_constantIbLb0EES1U_EEDaS1P_S1Q_EUlS1P_E_NS1_11comp_targetILNS1_3genE10ELNS1_11target_archE1200ELNS1_3gpuE4ELNS1_3repE0EEENS1_30default_config_static_selectorELNS0_4arch9wavefront6targetE1EEEvS12_.uses_flat_scratch, 0
	.set _ZN7rocprim17ROCPRIM_400000_NS6detail17trampoline_kernelINS0_13select_configILj256ELj13ELNS0_17block_load_methodE3ELS4_3ELS4_3ELNS0_20block_scan_algorithmE0ELj4294967295EEENS1_25partition_config_selectorILNS1_17partition_subalgoE4EjNS0_10empty_typeEbEEZZNS1_14partition_implILS8_4ELb0ES6_15HIP_vector_typeIjLj2EENS0_17counting_iteratorIjlEEPS9_SG_NS0_5tupleIJPjSI_NS0_16reverse_iteratorISI_EEEEENSH_IJSG_SG_SG_EEES9_SI_JZNS1_25segmented_radix_sort_implINS0_14default_configELb1EPKhPhPKlPlN2at6native12_GLOBAL__N_18offset_tEEE10hipError_tPvRmT1_PNSt15iterator_traitsIS12_E10value_typeET2_T3_PNS13_IS18_E10value_typeET4_jRbjT5_S1E_jjP12ihipStream_tbEUljE_ZNSN_ISO_Lb1ESQ_SR_ST_SU_SY_EESZ_S10_S11_S12_S16_S17_S18_S1B_S1C_jS1D_jS1E_S1E_jjS1G_bEUljE0_EEESZ_S10_S11_S18_S1C_S1E_T6_T7_T9_mT8_S1G_bDpT10_ENKUlT_T0_E_clISt17integral_constantIbLb0EES1U_EEDaS1P_S1Q_EUlS1P_E_NS1_11comp_targetILNS1_3genE10ELNS1_11target_archE1200ELNS1_3gpuE4ELNS1_3repE0EEENS1_30default_config_static_selectorELNS0_4arch9wavefront6targetE1EEEvS12_.has_dyn_sized_stack, 0
	.set _ZN7rocprim17ROCPRIM_400000_NS6detail17trampoline_kernelINS0_13select_configILj256ELj13ELNS0_17block_load_methodE3ELS4_3ELS4_3ELNS0_20block_scan_algorithmE0ELj4294967295EEENS1_25partition_config_selectorILNS1_17partition_subalgoE4EjNS0_10empty_typeEbEEZZNS1_14partition_implILS8_4ELb0ES6_15HIP_vector_typeIjLj2EENS0_17counting_iteratorIjlEEPS9_SG_NS0_5tupleIJPjSI_NS0_16reverse_iteratorISI_EEEEENSH_IJSG_SG_SG_EEES9_SI_JZNS1_25segmented_radix_sort_implINS0_14default_configELb1EPKhPhPKlPlN2at6native12_GLOBAL__N_18offset_tEEE10hipError_tPvRmT1_PNSt15iterator_traitsIS12_E10value_typeET2_T3_PNS13_IS18_E10value_typeET4_jRbjT5_S1E_jjP12ihipStream_tbEUljE_ZNSN_ISO_Lb1ESQ_SR_ST_SU_SY_EESZ_S10_S11_S12_S16_S17_S18_S1B_S1C_jS1D_jS1E_S1E_jjS1G_bEUljE0_EEESZ_S10_S11_S18_S1C_S1E_T6_T7_T9_mT8_S1G_bDpT10_ENKUlT_T0_E_clISt17integral_constantIbLb0EES1U_EEDaS1P_S1Q_EUlS1P_E_NS1_11comp_targetILNS1_3genE10ELNS1_11target_archE1200ELNS1_3gpuE4ELNS1_3repE0EEENS1_30default_config_static_selectorELNS0_4arch9wavefront6targetE1EEEvS12_.has_recursion, 0
	.set _ZN7rocprim17ROCPRIM_400000_NS6detail17trampoline_kernelINS0_13select_configILj256ELj13ELNS0_17block_load_methodE3ELS4_3ELS4_3ELNS0_20block_scan_algorithmE0ELj4294967295EEENS1_25partition_config_selectorILNS1_17partition_subalgoE4EjNS0_10empty_typeEbEEZZNS1_14partition_implILS8_4ELb0ES6_15HIP_vector_typeIjLj2EENS0_17counting_iteratorIjlEEPS9_SG_NS0_5tupleIJPjSI_NS0_16reverse_iteratorISI_EEEEENSH_IJSG_SG_SG_EEES9_SI_JZNS1_25segmented_radix_sort_implINS0_14default_configELb1EPKhPhPKlPlN2at6native12_GLOBAL__N_18offset_tEEE10hipError_tPvRmT1_PNSt15iterator_traitsIS12_E10value_typeET2_T3_PNS13_IS18_E10value_typeET4_jRbjT5_S1E_jjP12ihipStream_tbEUljE_ZNSN_ISO_Lb1ESQ_SR_ST_SU_SY_EESZ_S10_S11_S12_S16_S17_S18_S1B_S1C_jS1D_jS1E_S1E_jjS1G_bEUljE0_EEESZ_S10_S11_S18_S1C_S1E_T6_T7_T9_mT8_S1G_bDpT10_ENKUlT_T0_E_clISt17integral_constantIbLb0EES1U_EEDaS1P_S1Q_EUlS1P_E_NS1_11comp_targetILNS1_3genE10ELNS1_11target_archE1200ELNS1_3gpuE4ELNS1_3repE0EEENS1_30default_config_static_selectorELNS0_4arch9wavefront6targetE1EEEvS12_.has_indirect_call, 0
	.section	.AMDGPU.csdata,"",@progbits
; Kernel info:
; codeLenInByte = 0
; TotalNumSgprs: 4
; NumVgprs: 0
; ScratchSize: 0
; MemoryBound: 0
; FloatMode: 240
; IeeeMode: 1
; LDSByteSize: 0 bytes/workgroup (compile time only)
; SGPRBlocks: 0
; VGPRBlocks: 0
; NumSGPRsForWavesPerEU: 4
; NumVGPRsForWavesPerEU: 1
; Occupancy: 10
; WaveLimiterHint : 0
; COMPUTE_PGM_RSRC2:SCRATCH_EN: 0
; COMPUTE_PGM_RSRC2:USER_SGPR: 6
; COMPUTE_PGM_RSRC2:TRAP_HANDLER: 0
; COMPUTE_PGM_RSRC2:TGID_X_EN: 1
; COMPUTE_PGM_RSRC2:TGID_Y_EN: 0
; COMPUTE_PGM_RSRC2:TGID_Z_EN: 0
; COMPUTE_PGM_RSRC2:TIDIG_COMP_CNT: 0
	.section	.text._ZN7rocprim17ROCPRIM_400000_NS6detail17trampoline_kernelINS0_13select_configILj256ELj13ELNS0_17block_load_methodE3ELS4_3ELS4_3ELNS0_20block_scan_algorithmE0ELj4294967295EEENS1_25partition_config_selectorILNS1_17partition_subalgoE4EjNS0_10empty_typeEbEEZZNS1_14partition_implILS8_4ELb0ES6_15HIP_vector_typeIjLj2EENS0_17counting_iteratorIjlEEPS9_SG_NS0_5tupleIJPjSI_NS0_16reverse_iteratorISI_EEEEENSH_IJSG_SG_SG_EEES9_SI_JZNS1_25segmented_radix_sort_implINS0_14default_configELb1EPKhPhPKlPlN2at6native12_GLOBAL__N_18offset_tEEE10hipError_tPvRmT1_PNSt15iterator_traitsIS12_E10value_typeET2_T3_PNS13_IS18_E10value_typeET4_jRbjT5_S1E_jjP12ihipStream_tbEUljE_ZNSN_ISO_Lb1ESQ_SR_ST_SU_SY_EESZ_S10_S11_S12_S16_S17_S18_S1B_S1C_jS1D_jS1E_S1E_jjS1G_bEUljE0_EEESZ_S10_S11_S18_S1C_S1E_T6_T7_T9_mT8_S1G_bDpT10_ENKUlT_T0_E_clISt17integral_constantIbLb0EES1U_EEDaS1P_S1Q_EUlS1P_E_NS1_11comp_targetILNS1_3genE9ELNS1_11target_archE1100ELNS1_3gpuE3ELNS1_3repE0EEENS1_30default_config_static_selectorELNS0_4arch9wavefront6targetE1EEEvS12_,"axG",@progbits,_ZN7rocprim17ROCPRIM_400000_NS6detail17trampoline_kernelINS0_13select_configILj256ELj13ELNS0_17block_load_methodE3ELS4_3ELS4_3ELNS0_20block_scan_algorithmE0ELj4294967295EEENS1_25partition_config_selectorILNS1_17partition_subalgoE4EjNS0_10empty_typeEbEEZZNS1_14partition_implILS8_4ELb0ES6_15HIP_vector_typeIjLj2EENS0_17counting_iteratorIjlEEPS9_SG_NS0_5tupleIJPjSI_NS0_16reverse_iteratorISI_EEEEENSH_IJSG_SG_SG_EEES9_SI_JZNS1_25segmented_radix_sort_implINS0_14default_configELb1EPKhPhPKlPlN2at6native12_GLOBAL__N_18offset_tEEE10hipError_tPvRmT1_PNSt15iterator_traitsIS12_E10value_typeET2_T3_PNS13_IS18_E10value_typeET4_jRbjT5_S1E_jjP12ihipStream_tbEUljE_ZNSN_ISO_Lb1ESQ_SR_ST_SU_SY_EESZ_S10_S11_S12_S16_S17_S18_S1B_S1C_jS1D_jS1E_S1E_jjS1G_bEUljE0_EEESZ_S10_S11_S18_S1C_S1E_T6_T7_T9_mT8_S1G_bDpT10_ENKUlT_T0_E_clISt17integral_constantIbLb0EES1U_EEDaS1P_S1Q_EUlS1P_E_NS1_11comp_targetILNS1_3genE9ELNS1_11target_archE1100ELNS1_3gpuE3ELNS1_3repE0EEENS1_30default_config_static_selectorELNS0_4arch9wavefront6targetE1EEEvS12_,comdat
	.globl	_ZN7rocprim17ROCPRIM_400000_NS6detail17trampoline_kernelINS0_13select_configILj256ELj13ELNS0_17block_load_methodE3ELS4_3ELS4_3ELNS0_20block_scan_algorithmE0ELj4294967295EEENS1_25partition_config_selectorILNS1_17partition_subalgoE4EjNS0_10empty_typeEbEEZZNS1_14partition_implILS8_4ELb0ES6_15HIP_vector_typeIjLj2EENS0_17counting_iteratorIjlEEPS9_SG_NS0_5tupleIJPjSI_NS0_16reverse_iteratorISI_EEEEENSH_IJSG_SG_SG_EEES9_SI_JZNS1_25segmented_radix_sort_implINS0_14default_configELb1EPKhPhPKlPlN2at6native12_GLOBAL__N_18offset_tEEE10hipError_tPvRmT1_PNSt15iterator_traitsIS12_E10value_typeET2_T3_PNS13_IS18_E10value_typeET4_jRbjT5_S1E_jjP12ihipStream_tbEUljE_ZNSN_ISO_Lb1ESQ_SR_ST_SU_SY_EESZ_S10_S11_S12_S16_S17_S18_S1B_S1C_jS1D_jS1E_S1E_jjS1G_bEUljE0_EEESZ_S10_S11_S18_S1C_S1E_T6_T7_T9_mT8_S1G_bDpT10_ENKUlT_T0_E_clISt17integral_constantIbLb0EES1U_EEDaS1P_S1Q_EUlS1P_E_NS1_11comp_targetILNS1_3genE9ELNS1_11target_archE1100ELNS1_3gpuE3ELNS1_3repE0EEENS1_30default_config_static_selectorELNS0_4arch9wavefront6targetE1EEEvS12_ ; -- Begin function _ZN7rocprim17ROCPRIM_400000_NS6detail17trampoline_kernelINS0_13select_configILj256ELj13ELNS0_17block_load_methodE3ELS4_3ELS4_3ELNS0_20block_scan_algorithmE0ELj4294967295EEENS1_25partition_config_selectorILNS1_17partition_subalgoE4EjNS0_10empty_typeEbEEZZNS1_14partition_implILS8_4ELb0ES6_15HIP_vector_typeIjLj2EENS0_17counting_iteratorIjlEEPS9_SG_NS0_5tupleIJPjSI_NS0_16reverse_iteratorISI_EEEEENSH_IJSG_SG_SG_EEES9_SI_JZNS1_25segmented_radix_sort_implINS0_14default_configELb1EPKhPhPKlPlN2at6native12_GLOBAL__N_18offset_tEEE10hipError_tPvRmT1_PNSt15iterator_traitsIS12_E10value_typeET2_T3_PNS13_IS18_E10value_typeET4_jRbjT5_S1E_jjP12ihipStream_tbEUljE_ZNSN_ISO_Lb1ESQ_SR_ST_SU_SY_EESZ_S10_S11_S12_S16_S17_S18_S1B_S1C_jS1D_jS1E_S1E_jjS1G_bEUljE0_EEESZ_S10_S11_S18_S1C_S1E_T6_T7_T9_mT8_S1G_bDpT10_ENKUlT_T0_E_clISt17integral_constantIbLb0EES1U_EEDaS1P_S1Q_EUlS1P_E_NS1_11comp_targetILNS1_3genE9ELNS1_11target_archE1100ELNS1_3gpuE3ELNS1_3repE0EEENS1_30default_config_static_selectorELNS0_4arch9wavefront6targetE1EEEvS12_
	.p2align	8
	.type	_ZN7rocprim17ROCPRIM_400000_NS6detail17trampoline_kernelINS0_13select_configILj256ELj13ELNS0_17block_load_methodE3ELS4_3ELS4_3ELNS0_20block_scan_algorithmE0ELj4294967295EEENS1_25partition_config_selectorILNS1_17partition_subalgoE4EjNS0_10empty_typeEbEEZZNS1_14partition_implILS8_4ELb0ES6_15HIP_vector_typeIjLj2EENS0_17counting_iteratorIjlEEPS9_SG_NS0_5tupleIJPjSI_NS0_16reverse_iteratorISI_EEEEENSH_IJSG_SG_SG_EEES9_SI_JZNS1_25segmented_radix_sort_implINS0_14default_configELb1EPKhPhPKlPlN2at6native12_GLOBAL__N_18offset_tEEE10hipError_tPvRmT1_PNSt15iterator_traitsIS12_E10value_typeET2_T3_PNS13_IS18_E10value_typeET4_jRbjT5_S1E_jjP12ihipStream_tbEUljE_ZNSN_ISO_Lb1ESQ_SR_ST_SU_SY_EESZ_S10_S11_S12_S16_S17_S18_S1B_S1C_jS1D_jS1E_S1E_jjS1G_bEUljE0_EEESZ_S10_S11_S18_S1C_S1E_T6_T7_T9_mT8_S1G_bDpT10_ENKUlT_T0_E_clISt17integral_constantIbLb0EES1U_EEDaS1P_S1Q_EUlS1P_E_NS1_11comp_targetILNS1_3genE9ELNS1_11target_archE1100ELNS1_3gpuE3ELNS1_3repE0EEENS1_30default_config_static_selectorELNS0_4arch9wavefront6targetE1EEEvS12_,@function
_ZN7rocprim17ROCPRIM_400000_NS6detail17trampoline_kernelINS0_13select_configILj256ELj13ELNS0_17block_load_methodE3ELS4_3ELS4_3ELNS0_20block_scan_algorithmE0ELj4294967295EEENS1_25partition_config_selectorILNS1_17partition_subalgoE4EjNS0_10empty_typeEbEEZZNS1_14partition_implILS8_4ELb0ES6_15HIP_vector_typeIjLj2EENS0_17counting_iteratorIjlEEPS9_SG_NS0_5tupleIJPjSI_NS0_16reverse_iteratorISI_EEEEENSH_IJSG_SG_SG_EEES9_SI_JZNS1_25segmented_radix_sort_implINS0_14default_configELb1EPKhPhPKlPlN2at6native12_GLOBAL__N_18offset_tEEE10hipError_tPvRmT1_PNSt15iterator_traitsIS12_E10value_typeET2_T3_PNS13_IS18_E10value_typeET4_jRbjT5_S1E_jjP12ihipStream_tbEUljE_ZNSN_ISO_Lb1ESQ_SR_ST_SU_SY_EESZ_S10_S11_S12_S16_S17_S18_S1B_S1C_jS1D_jS1E_S1E_jjS1G_bEUljE0_EEESZ_S10_S11_S18_S1C_S1E_T6_T7_T9_mT8_S1G_bDpT10_ENKUlT_T0_E_clISt17integral_constantIbLb0EES1U_EEDaS1P_S1Q_EUlS1P_E_NS1_11comp_targetILNS1_3genE9ELNS1_11target_archE1100ELNS1_3gpuE3ELNS1_3repE0EEENS1_30default_config_static_selectorELNS0_4arch9wavefront6targetE1EEEvS12_: ; @_ZN7rocprim17ROCPRIM_400000_NS6detail17trampoline_kernelINS0_13select_configILj256ELj13ELNS0_17block_load_methodE3ELS4_3ELS4_3ELNS0_20block_scan_algorithmE0ELj4294967295EEENS1_25partition_config_selectorILNS1_17partition_subalgoE4EjNS0_10empty_typeEbEEZZNS1_14partition_implILS8_4ELb0ES6_15HIP_vector_typeIjLj2EENS0_17counting_iteratorIjlEEPS9_SG_NS0_5tupleIJPjSI_NS0_16reverse_iteratorISI_EEEEENSH_IJSG_SG_SG_EEES9_SI_JZNS1_25segmented_radix_sort_implINS0_14default_configELb1EPKhPhPKlPlN2at6native12_GLOBAL__N_18offset_tEEE10hipError_tPvRmT1_PNSt15iterator_traitsIS12_E10value_typeET2_T3_PNS13_IS18_E10value_typeET4_jRbjT5_S1E_jjP12ihipStream_tbEUljE_ZNSN_ISO_Lb1ESQ_SR_ST_SU_SY_EESZ_S10_S11_S12_S16_S17_S18_S1B_S1C_jS1D_jS1E_S1E_jjS1G_bEUljE0_EEESZ_S10_S11_S18_S1C_S1E_T6_T7_T9_mT8_S1G_bDpT10_ENKUlT_T0_E_clISt17integral_constantIbLb0EES1U_EEDaS1P_S1Q_EUlS1P_E_NS1_11comp_targetILNS1_3genE9ELNS1_11target_archE1100ELNS1_3gpuE3ELNS1_3repE0EEENS1_30default_config_static_selectorELNS0_4arch9wavefront6targetE1EEEvS12_
; %bb.0:
	.section	.rodata,"a",@progbits
	.p2align	6, 0x0
	.amdhsa_kernel _ZN7rocprim17ROCPRIM_400000_NS6detail17trampoline_kernelINS0_13select_configILj256ELj13ELNS0_17block_load_methodE3ELS4_3ELS4_3ELNS0_20block_scan_algorithmE0ELj4294967295EEENS1_25partition_config_selectorILNS1_17partition_subalgoE4EjNS0_10empty_typeEbEEZZNS1_14partition_implILS8_4ELb0ES6_15HIP_vector_typeIjLj2EENS0_17counting_iteratorIjlEEPS9_SG_NS0_5tupleIJPjSI_NS0_16reverse_iteratorISI_EEEEENSH_IJSG_SG_SG_EEES9_SI_JZNS1_25segmented_radix_sort_implINS0_14default_configELb1EPKhPhPKlPlN2at6native12_GLOBAL__N_18offset_tEEE10hipError_tPvRmT1_PNSt15iterator_traitsIS12_E10value_typeET2_T3_PNS13_IS18_E10value_typeET4_jRbjT5_S1E_jjP12ihipStream_tbEUljE_ZNSN_ISO_Lb1ESQ_SR_ST_SU_SY_EESZ_S10_S11_S12_S16_S17_S18_S1B_S1C_jS1D_jS1E_S1E_jjS1G_bEUljE0_EEESZ_S10_S11_S18_S1C_S1E_T6_T7_T9_mT8_S1G_bDpT10_ENKUlT_T0_E_clISt17integral_constantIbLb0EES1U_EEDaS1P_S1Q_EUlS1P_E_NS1_11comp_targetILNS1_3genE9ELNS1_11target_archE1100ELNS1_3gpuE3ELNS1_3repE0EEENS1_30default_config_static_selectorELNS0_4arch9wavefront6targetE1EEEvS12_
		.amdhsa_group_segment_fixed_size 0
		.amdhsa_private_segment_fixed_size 0
		.amdhsa_kernarg_size 176
		.amdhsa_user_sgpr_count 6
		.amdhsa_user_sgpr_private_segment_buffer 1
		.amdhsa_user_sgpr_dispatch_ptr 0
		.amdhsa_user_sgpr_queue_ptr 0
		.amdhsa_user_sgpr_kernarg_segment_ptr 1
		.amdhsa_user_sgpr_dispatch_id 0
		.amdhsa_user_sgpr_flat_scratch_init 0
		.amdhsa_user_sgpr_private_segment_size 0
		.amdhsa_uses_dynamic_stack 0
		.amdhsa_system_sgpr_private_segment_wavefront_offset 0
		.amdhsa_system_sgpr_workgroup_id_x 1
		.amdhsa_system_sgpr_workgroup_id_y 0
		.amdhsa_system_sgpr_workgroup_id_z 0
		.amdhsa_system_sgpr_workgroup_info 0
		.amdhsa_system_vgpr_workitem_id 0
		.amdhsa_next_free_vgpr 1
		.amdhsa_next_free_sgpr 0
		.amdhsa_reserve_vcc 0
		.amdhsa_reserve_flat_scratch 0
		.amdhsa_float_round_mode_32 0
		.amdhsa_float_round_mode_16_64 0
		.amdhsa_float_denorm_mode_32 3
		.amdhsa_float_denorm_mode_16_64 3
		.amdhsa_dx10_clamp 1
		.amdhsa_ieee_mode 1
		.amdhsa_fp16_overflow 0
		.amdhsa_exception_fp_ieee_invalid_op 0
		.amdhsa_exception_fp_denorm_src 0
		.amdhsa_exception_fp_ieee_div_zero 0
		.amdhsa_exception_fp_ieee_overflow 0
		.amdhsa_exception_fp_ieee_underflow 0
		.amdhsa_exception_fp_ieee_inexact 0
		.amdhsa_exception_int_div_zero 0
	.end_amdhsa_kernel
	.section	.text._ZN7rocprim17ROCPRIM_400000_NS6detail17trampoline_kernelINS0_13select_configILj256ELj13ELNS0_17block_load_methodE3ELS4_3ELS4_3ELNS0_20block_scan_algorithmE0ELj4294967295EEENS1_25partition_config_selectorILNS1_17partition_subalgoE4EjNS0_10empty_typeEbEEZZNS1_14partition_implILS8_4ELb0ES6_15HIP_vector_typeIjLj2EENS0_17counting_iteratorIjlEEPS9_SG_NS0_5tupleIJPjSI_NS0_16reverse_iteratorISI_EEEEENSH_IJSG_SG_SG_EEES9_SI_JZNS1_25segmented_radix_sort_implINS0_14default_configELb1EPKhPhPKlPlN2at6native12_GLOBAL__N_18offset_tEEE10hipError_tPvRmT1_PNSt15iterator_traitsIS12_E10value_typeET2_T3_PNS13_IS18_E10value_typeET4_jRbjT5_S1E_jjP12ihipStream_tbEUljE_ZNSN_ISO_Lb1ESQ_SR_ST_SU_SY_EESZ_S10_S11_S12_S16_S17_S18_S1B_S1C_jS1D_jS1E_S1E_jjS1G_bEUljE0_EEESZ_S10_S11_S18_S1C_S1E_T6_T7_T9_mT8_S1G_bDpT10_ENKUlT_T0_E_clISt17integral_constantIbLb0EES1U_EEDaS1P_S1Q_EUlS1P_E_NS1_11comp_targetILNS1_3genE9ELNS1_11target_archE1100ELNS1_3gpuE3ELNS1_3repE0EEENS1_30default_config_static_selectorELNS0_4arch9wavefront6targetE1EEEvS12_,"axG",@progbits,_ZN7rocprim17ROCPRIM_400000_NS6detail17trampoline_kernelINS0_13select_configILj256ELj13ELNS0_17block_load_methodE3ELS4_3ELS4_3ELNS0_20block_scan_algorithmE0ELj4294967295EEENS1_25partition_config_selectorILNS1_17partition_subalgoE4EjNS0_10empty_typeEbEEZZNS1_14partition_implILS8_4ELb0ES6_15HIP_vector_typeIjLj2EENS0_17counting_iteratorIjlEEPS9_SG_NS0_5tupleIJPjSI_NS0_16reverse_iteratorISI_EEEEENSH_IJSG_SG_SG_EEES9_SI_JZNS1_25segmented_radix_sort_implINS0_14default_configELb1EPKhPhPKlPlN2at6native12_GLOBAL__N_18offset_tEEE10hipError_tPvRmT1_PNSt15iterator_traitsIS12_E10value_typeET2_T3_PNS13_IS18_E10value_typeET4_jRbjT5_S1E_jjP12ihipStream_tbEUljE_ZNSN_ISO_Lb1ESQ_SR_ST_SU_SY_EESZ_S10_S11_S12_S16_S17_S18_S1B_S1C_jS1D_jS1E_S1E_jjS1G_bEUljE0_EEESZ_S10_S11_S18_S1C_S1E_T6_T7_T9_mT8_S1G_bDpT10_ENKUlT_T0_E_clISt17integral_constantIbLb0EES1U_EEDaS1P_S1Q_EUlS1P_E_NS1_11comp_targetILNS1_3genE9ELNS1_11target_archE1100ELNS1_3gpuE3ELNS1_3repE0EEENS1_30default_config_static_selectorELNS0_4arch9wavefront6targetE1EEEvS12_,comdat
.Lfunc_end10:
	.size	_ZN7rocprim17ROCPRIM_400000_NS6detail17trampoline_kernelINS0_13select_configILj256ELj13ELNS0_17block_load_methodE3ELS4_3ELS4_3ELNS0_20block_scan_algorithmE0ELj4294967295EEENS1_25partition_config_selectorILNS1_17partition_subalgoE4EjNS0_10empty_typeEbEEZZNS1_14partition_implILS8_4ELb0ES6_15HIP_vector_typeIjLj2EENS0_17counting_iteratorIjlEEPS9_SG_NS0_5tupleIJPjSI_NS0_16reverse_iteratorISI_EEEEENSH_IJSG_SG_SG_EEES9_SI_JZNS1_25segmented_radix_sort_implINS0_14default_configELb1EPKhPhPKlPlN2at6native12_GLOBAL__N_18offset_tEEE10hipError_tPvRmT1_PNSt15iterator_traitsIS12_E10value_typeET2_T3_PNS13_IS18_E10value_typeET4_jRbjT5_S1E_jjP12ihipStream_tbEUljE_ZNSN_ISO_Lb1ESQ_SR_ST_SU_SY_EESZ_S10_S11_S12_S16_S17_S18_S1B_S1C_jS1D_jS1E_S1E_jjS1G_bEUljE0_EEESZ_S10_S11_S18_S1C_S1E_T6_T7_T9_mT8_S1G_bDpT10_ENKUlT_T0_E_clISt17integral_constantIbLb0EES1U_EEDaS1P_S1Q_EUlS1P_E_NS1_11comp_targetILNS1_3genE9ELNS1_11target_archE1100ELNS1_3gpuE3ELNS1_3repE0EEENS1_30default_config_static_selectorELNS0_4arch9wavefront6targetE1EEEvS12_, .Lfunc_end10-_ZN7rocprim17ROCPRIM_400000_NS6detail17trampoline_kernelINS0_13select_configILj256ELj13ELNS0_17block_load_methodE3ELS4_3ELS4_3ELNS0_20block_scan_algorithmE0ELj4294967295EEENS1_25partition_config_selectorILNS1_17partition_subalgoE4EjNS0_10empty_typeEbEEZZNS1_14partition_implILS8_4ELb0ES6_15HIP_vector_typeIjLj2EENS0_17counting_iteratorIjlEEPS9_SG_NS0_5tupleIJPjSI_NS0_16reverse_iteratorISI_EEEEENSH_IJSG_SG_SG_EEES9_SI_JZNS1_25segmented_radix_sort_implINS0_14default_configELb1EPKhPhPKlPlN2at6native12_GLOBAL__N_18offset_tEEE10hipError_tPvRmT1_PNSt15iterator_traitsIS12_E10value_typeET2_T3_PNS13_IS18_E10value_typeET4_jRbjT5_S1E_jjP12ihipStream_tbEUljE_ZNSN_ISO_Lb1ESQ_SR_ST_SU_SY_EESZ_S10_S11_S12_S16_S17_S18_S1B_S1C_jS1D_jS1E_S1E_jjS1G_bEUljE0_EEESZ_S10_S11_S18_S1C_S1E_T6_T7_T9_mT8_S1G_bDpT10_ENKUlT_T0_E_clISt17integral_constantIbLb0EES1U_EEDaS1P_S1Q_EUlS1P_E_NS1_11comp_targetILNS1_3genE9ELNS1_11target_archE1100ELNS1_3gpuE3ELNS1_3repE0EEENS1_30default_config_static_selectorELNS0_4arch9wavefront6targetE1EEEvS12_
                                        ; -- End function
	.set _ZN7rocprim17ROCPRIM_400000_NS6detail17trampoline_kernelINS0_13select_configILj256ELj13ELNS0_17block_load_methodE3ELS4_3ELS4_3ELNS0_20block_scan_algorithmE0ELj4294967295EEENS1_25partition_config_selectorILNS1_17partition_subalgoE4EjNS0_10empty_typeEbEEZZNS1_14partition_implILS8_4ELb0ES6_15HIP_vector_typeIjLj2EENS0_17counting_iteratorIjlEEPS9_SG_NS0_5tupleIJPjSI_NS0_16reverse_iteratorISI_EEEEENSH_IJSG_SG_SG_EEES9_SI_JZNS1_25segmented_radix_sort_implINS0_14default_configELb1EPKhPhPKlPlN2at6native12_GLOBAL__N_18offset_tEEE10hipError_tPvRmT1_PNSt15iterator_traitsIS12_E10value_typeET2_T3_PNS13_IS18_E10value_typeET4_jRbjT5_S1E_jjP12ihipStream_tbEUljE_ZNSN_ISO_Lb1ESQ_SR_ST_SU_SY_EESZ_S10_S11_S12_S16_S17_S18_S1B_S1C_jS1D_jS1E_S1E_jjS1G_bEUljE0_EEESZ_S10_S11_S18_S1C_S1E_T6_T7_T9_mT8_S1G_bDpT10_ENKUlT_T0_E_clISt17integral_constantIbLb0EES1U_EEDaS1P_S1Q_EUlS1P_E_NS1_11comp_targetILNS1_3genE9ELNS1_11target_archE1100ELNS1_3gpuE3ELNS1_3repE0EEENS1_30default_config_static_selectorELNS0_4arch9wavefront6targetE1EEEvS12_.num_vgpr, 0
	.set _ZN7rocprim17ROCPRIM_400000_NS6detail17trampoline_kernelINS0_13select_configILj256ELj13ELNS0_17block_load_methodE3ELS4_3ELS4_3ELNS0_20block_scan_algorithmE0ELj4294967295EEENS1_25partition_config_selectorILNS1_17partition_subalgoE4EjNS0_10empty_typeEbEEZZNS1_14partition_implILS8_4ELb0ES6_15HIP_vector_typeIjLj2EENS0_17counting_iteratorIjlEEPS9_SG_NS0_5tupleIJPjSI_NS0_16reverse_iteratorISI_EEEEENSH_IJSG_SG_SG_EEES9_SI_JZNS1_25segmented_radix_sort_implINS0_14default_configELb1EPKhPhPKlPlN2at6native12_GLOBAL__N_18offset_tEEE10hipError_tPvRmT1_PNSt15iterator_traitsIS12_E10value_typeET2_T3_PNS13_IS18_E10value_typeET4_jRbjT5_S1E_jjP12ihipStream_tbEUljE_ZNSN_ISO_Lb1ESQ_SR_ST_SU_SY_EESZ_S10_S11_S12_S16_S17_S18_S1B_S1C_jS1D_jS1E_S1E_jjS1G_bEUljE0_EEESZ_S10_S11_S18_S1C_S1E_T6_T7_T9_mT8_S1G_bDpT10_ENKUlT_T0_E_clISt17integral_constantIbLb0EES1U_EEDaS1P_S1Q_EUlS1P_E_NS1_11comp_targetILNS1_3genE9ELNS1_11target_archE1100ELNS1_3gpuE3ELNS1_3repE0EEENS1_30default_config_static_selectorELNS0_4arch9wavefront6targetE1EEEvS12_.num_agpr, 0
	.set _ZN7rocprim17ROCPRIM_400000_NS6detail17trampoline_kernelINS0_13select_configILj256ELj13ELNS0_17block_load_methodE3ELS4_3ELS4_3ELNS0_20block_scan_algorithmE0ELj4294967295EEENS1_25partition_config_selectorILNS1_17partition_subalgoE4EjNS0_10empty_typeEbEEZZNS1_14partition_implILS8_4ELb0ES6_15HIP_vector_typeIjLj2EENS0_17counting_iteratorIjlEEPS9_SG_NS0_5tupleIJPjSI_NS0_16reverse_iteratorISI_EEEEENSH_IJSG_SG_SG_EEES9_SI_JZNS1_25segmented_radix_sort_implINS0_14default_configELb1EPKhPhPKlPlN2at6native12_GLOBAL__N_18offset_tEEE10hipError_tPvRmT1_PNSt15iterator_traitsIS12_E10value_typeET2_T3_PNS13_IS18_E10value_typeET4_jRbjT5_S1E_jjP12ihipStream_tbEUljE_ZNSN_ISO_Lb1ESQ_SR_ST_SU_SY_EESZ_S10_S11_S12_S16_S17_S18_S1B_S1C_jS1D_jS1E_S1E_jjS1G_bEUljE0_EEESZ_S10_S11_S18_S1C_S1E_T6_T7_T9_mT8_S1G_bDpT10_ENKUlT_T0_E_clISt17integral_constantIbLb0EES1U_EEDaS1P_S1Q_EUlS1P_E_NS1_11comp_targetILNS1_3genE9ELNS1_11target_archE1100ELNS1_3gpuE3ELNS1_3repE0EEENS1_30default_config_static_selectorELNS0_4arch9wavefront6targetE1EEEvS12_.numbered_sgpr, 0
	.set _ZN7rocprim17ROCPRIM_400000_NS6detail17trampoline_kernelINS0_13select_configILj256ELj13ELNS0_17block_load_methodE3ELS4_3ELS4_3ELNS0_20block_scan_algorithmE0ELj4294967295EEENS1_25partition_config_selectorILNS1_17partition_subalgoE4EjNS0_10empty_typeEbEEZZNS1_14partition_implILS8_4ELb0ES6_15HIP_vector_typeIjLj2EENS0_17counting_iteratorIjlEEPS9_SG_NS0_5tupleIJPjSI_NS0_16reverse_iteratorISI_EEEEENSH_IJSG_SG_SG_EEES9_SI_JZNS1_25segmented_radix_sort_implINS0_14default_configELb1EPKhPhPKlPlN2at6native12_GLOBAL__N_18offset_tEEE10hipError_tPvRmT1_PNSt15iterator_traitsIS12_E10value_typeET2_T3_PNS13_IS18_E10value_typeET4_jRbjT5_S1E_jjP12ihipStream_tbEUljE_ZNSN_ISO_Lb1ESQ_SR_ST_SU_SY_EESZ_S10_S11_S12_S16_S17_S18_S1B_S1C_jS1D_jS1E_S1E_jjS1G_bEUljE0_EEESZ_S10_S11_S18_S1C_S1E_T6_T7_T9_mT8_S1G_bDpT10_ENKUlT_T0_E_clISt17integral_constantIbLb0EES1U_EEDaS1P_S1Q_EUlS1P_E_NS1_11comp_targetILNS1_3genE9ELNS1_11target_archE1100ELNS1_3gpuE3ELNS1_3repE0EEENS1_30default_config_static_selectorELNS0_4arch9wavefront6targetE1EEEvS12_.num_named_barrier, 0
	.set _ZN7rocprim17ROCPRIM_400000_NS6detail17trampoline_kernelINS0_13select_configILj256ELj13ELNS0_17block_load_methodE3ELS4_3ELS4_3ELNS0_20block_scan_algorithmE0ELj4294967295EEENS1_25partition_config_selectorILNS1_17partition_subalgoE4EjNS0_10empty_typeEbEEZZNS1_14partition_implILS8_4ELb0ES6_15HIP_vector_typeIjLj2EENS0_17counting_iteratorIjlEEPS9_SG_NS0_5tupleIJPjSI_NS0_16reverse_iteratorISI_EEEEENSH_IJSG_SG_SG_EEES9_SI_JZNS1_25segmented_radix_sort_implINS0_14default_configELb1EPKhPhPKlPlN2at6native12_GLOBAL__N_18offset_tEEE10hipError_tPvRmT1_PNSt15iterator_traitsIS12_E10value_typeET2_T3_PNS13_IS18_E10value_typeET4_jRbjT5_S1E_jjP12ihipStream_tbEUljE_ZNSN_ISO_Lb1ESQ_SR_ST_SU_SY_EESZ_S10_S11_S12_S16_S17_S18_S1B_S1C_jS1D_jS1E_S1E_jjS1G_bEUljE0_EEESZ_S10_S11_S18_S1C_S1E_T6_T7_T9_mT8_S1G_bDpT10_ENKUlT_T0_E_clISt17integral_constantIbLb0EES1U_EEDaS1P_S1Q_EUlS1P_E_NS1_11comp_targetILNS1_3genE9ELNS1_11target_archE1100ELNS1_3gpuE3ELNS1_3repE0EEENS1_30default_config_static_selectorELNS0_4arch9wavefront6targetE1EEEvS12_.private_seg_size, 0
	.set _ZN7rocprim17ROCPRIM_400000_NS6detail17trampoline_kernelINS0_13select_configILj256ELj13ELNS0_17block_load_methodE3ELS4_3ELS4_3ELNS0_20block_scan_algorithmE0ELj4294967295EEENS1_25partition_config_selectorILNS1_17partition_subalgoE4EjNS0_10empty_typeEbEEZZNS1_14partition_implILS8_4ELb0ES6_15HIP_vector_typeIjLj2EENS0_17counting_iteratorIjlEEPS9_SG_NS0_5tupleIJPjSI_NS0_16reverse_iteratorISI_EEEEENSH_IJSG_SG_SG_EEES9_SI_JZNS1_25segmented_radix_sort_implINS0_14default_configELb1EPKhPhPKlPlN2at6native12_GLOBAL__N_18offset_tEEE10hipError_tPvRmT1_PNSt15iterator_traitsIS12_E10value_typeET2_T3_PNS13_IS18_E10value_typeET4_jRbjT5_S1E_jjP12ihipStream_tbEUljE_ZNSN_ISO_Lb1ESQ_SR_ST_SU_SY_EESZ_S10_S11_S12_S16_S17_S18_S1B_S1C_jS1D_jS1E_S1E_jjS1G_bEUljE0_EEESZ_S10_S11_S18_S1C_S1E_T6_T7_T9_mT8_S1G_bDpT10_ENKUlT_T0_E_clISt17integral_constantIbLb0EES1U_EEDaS1P_S1Q_EUlS1P_E_NS1_11comp_targetILNS1_3genE9ELNS1_11target_archE1100ELNS1_3gpuE3ELNS1_3repE0EEENS1_30default_config_static_selectorELNS0_4arch9wavefront6targetE1EEEvS12_.uses_vcc, 0
	.set _ZN7rocprim17ROCPRIM_400000_NS6detail17trampoline_kernelINS0_13select_configILj256ELj13ELNS0_17block_load_methodE3ELS4_3ELS4_3ELNS0_20block_scan_algorithmE0ELj4294967295EEENS1_25partition_config_selectorILNS1_17partition_subalgoE4EjNS0_10empty_typeEbEEZZNS1_14partition_implILS8_4ELb0ES6_15HIP_vector_typeIjLj2EENS0_17counting_iteratorIjlEEPS9_SG_NS0_5tupleIJPjSI_NS0_16reverse_iteratorISI_EEEEENSH_IJSG_SG_SG_EEES9_SI_JZNS1_25segmented_radix_sort_implINS0_14default_configELb1EPKhPhPKlPlN2at6native12_GLOBAL__N_18offset_tEEE10hipError_tPvRmT1_PNSt15iterator_traitsIS12_E10value_typeET2_T3_PNS13_IS18_E10value_typeET4_jRbjT5_S1E_jjP12ihipStream_tbEUljE_ZNSN_ISO_Lb1ESQ_SR_ST_SU_SY_EESZ_S10_S11_S12_S16_S17_S18_S1B_S1C_jS1D_jS1E_S1E_jjS1G_bEUljE0_EEESZ_S10_S11_S18_S1C_S1E_T6_T7_T9_mT8_S1G_bDpT10_ENKUlT_T0_E_clISt17integral_constantIbLb0EES1U_EEDaS1P_S1Q_EUlS1P_E_NS1_11comp_targetILNS1_3genE9ELNS1_11target_archE1100ELNS1_3gpuE3ELNS1_3repE0EEENS1_30default_config_static_selectorELNS0_4arch9wavefront6targetE1EEEvS12_.uses_flat_scratch, 0
	.set _ZN7rocprim17ROCPRIM_400000_NS6detail17trampoline_kernelINS0_13select_configILj256ELj13ELNS0_17block_load_methodE3ELS4_3ELS4_3ELNS0_20block_scan_algorithmE0ELj4294967295EEENS1_25partition_config_selectorILNS1_17partition_subalgoE4EjNS0_10empty_typeEbEEZZNS1_14partition_implILS8_4ELb0ES6_15HIP_vector_typeIjLj2EENS0_17counting_iteratorIjlEEPS9_SG_NS0_5tupleIJPjSI_NS0_16reverse_iteratorISI_EEEEENSH_IJSG_SG_SG_EEES9_SI_JZNS1_25segmented_radix_sort_implINS0_14default_configELb1EPKhPhPKlPlN2at6native12_GLOBAL__N_18offset_tEEE10hipError_tPvRmT1_PNSt15iterator_traitsIS12_E10value_typeET2_T3_PNS13_IS18_E10value_typeET4_jRbjT5_S1E_jjP12ihipStream_tbEUljE_ZNSN_ISO_Lb1ESQ_SR_ST_SU_SY_EESZ_S10_S11_S12_S16_S17_S18_S1B_S1C_jS1D_jS1E_S1E_jjS1G_bEUljE0_EEESZ_S10_S11_S18_S1C_S1E_T6_T7_T9_mT8_S1G_bDpT10_ENKUlT_T0_E_clISt17integral_constantIbLb0EES1U_EEDaS1P_S1Q_EUlS1P_E_NS1_11comp_targetILNS1_3genE9ELNS1_11target_archE1100ELNS1_3gpuE3ELNS1_3repE0EEENS1_30default_config_static_selectorELNS0_4arch9wavefront6targetE1EEEvS12_.has_dyn_sized_stack, 0
	.set _ZN7rocprim17ROCPRIM_400000_NS6detail17trampoline_kernelINS0_13select_configILj256ELj13ELNS0_17block_load_methodE3ELS4_3ELS4_3ELNS0_20block_scan_algorithmE0ELj4294967295EEENS1_25partition_config_selectorILNS1_17partition_subalgoE4EjNS0_10empty_typeEbEEZZNS1_14partition_implILS8_4ELb0ES6_15HIP_vector_typeIjLj2EENS0_17counting_iteratorIjlEEPS9_SG_NS0_5tupleIJPjSI_NS0_16reverse_iteratorISI_EEEEENSH_IJSG_SG_SG_EEES9_SI_JZNS1_25segmented_radix_sort_implINS0_14default_configELb1EPKhPhPKlPlN2at6native12_GLOBAL__N_18offset_tEEE10hipError_tPvRmT1_PNSt15iterator_traitsIS12_E10value_typeET2_T3_PNS13_IS18_E10value_typeET4_jRbjT5_S1E_jjP12ihipStream_tbEUljE_ZNSN_ISO_Lb1ESQ_SR_ST_SU_SY_EESZ_S10_S11_S12_S16_S17_S18_S1B_S1C_jS1D_jS1E_S1E_jjS1G_bEUljE0_EEESZ_S10_S11_S18_S1C_S1E_T6_T7_T9_mT8_S1G_bDpT10_ENKUlT_T0_E_clISt17integral_constantIbLb0EES1U_EEDaS1P_S1Q_EUlS1P_E_NS1_11comp_targetILNS1_3genE9ELNS1_11target_archE1100ELNS1_3gpuE3ELNS1_3repE0EEENS1_30default_config_static_selectorELNS0_4arch9wavefront6targetE1EEEvS12_.has_recursion, 0
	.set _ZN7rocprim17ROCPRIM_400000_NS6detail17trampoline_kernelINS0_13select_configILj256ELj13ELNS0_17block_load_methodE3ELS4_3ELS4_3ELNS0_20block_scan_algorithmE0ELj4294967295EEENS1_25partition_config_selectorILNS1_17partition_subalgoE4EjNS0_10empty_typeEbEEZZNS1_14partition_implILS8_4ELb0ES6_15HIP_vector_typeIjLj2EENS0_17counting_iteratorIjlEEPS9_SG_NS0_5tupleIJPjSI_NS0_16reverse_iteratorISI_EEEEENSH_IJSG_SG_SG_EEES9_SI_JZNS1_25segmented_radix_sort_implINS0_14default_configELb1EPKhPhPKlPlN2at6native12_GLOBAL__N_18offset_tEEE10hipError_tPvRmT1_PNSt15iterator_traitsIS12_E10value_typeET2_T3_PNS13_IS18_E10value_typeET4_jRbjT5_S1E_jjP12ihipStream_tbEUljE_ZNSN_ISO_Lb1ESQ_SR_ST_SU_SY_EESZ_S10_S11_S12_S16_S17_S18_S1B_S1C_jS1D_jS1E_S1E_jjS1G_bEUljE0_EEESZ_S10_S11_S18_S1C_S1E_T6_T7_T9_mT8_S1G_bDpT10_ENKUlT_T0_E_clISt17integral_constantIbLb0EES1U_EEDaS1P_S1Q_EUlS1P_E_NS1_11comp_targetILNS1_3genE9ELNS1_11target_archE1100ELNS1_3gpuE3ELNS1_3repE0EEENS1_30default_config_static_selectorELNS0_4arch9wavefront6targetE1EEEvS12_.has_indirect_call, 0
	.section	.AMDGPU.csdata,"",@progbits
; Kernel info:
; codeLenInByte = 0
; TotalNumSgprs: 4
; NumVgprs: 0
; ScratchSize: 0
; MemoryBound: 0
; FloatMode: 240
; IeeeMode: 1
; LDSByteSize: 0 bytes/workgroup (compile time only)
; SGPRBlocks: 0
; VGPRBlocks: 0
; NumSGPRsForWavesPerEU: 4
; NumVGPRsForWavesPerEU: 1
; Occupancy: 10
; WaveLimiterHint : 0
; COMPUTE_PGM_RSRC2:SCRATCH_EN: 0
; COMPUTE_PGM_RSRC2:USER_SGPR: 6
; COMPUTE_PGM_RSRC2:TRAP_HANDLER: 0
; COMPUTE_PGM_RSRC2:TGID_X_EN: 1
; COMPUTE_PGM_RSRC2:TGID_Y_EN: 0
; COMPUTE_PGM_RSRC2:TGID_Z_EN: 0
; COMPUTE_PGM_RSRC2:TIDIG_COMP_CNT: 0
	.section	.text._ZN7rocprim17ROCPRIM_400000_NS6detail17trampoline_kernelINS0_13select_configILj256ELj13ELNS0_17block_load_methodE3ELS4_3ELS4_3ELNS0_20block_scan_algorithmE0ELj4294967295EEENS1_25partition_config_selectorILNS1_17partition_subalgoE4EjNS0_10empty_typeEbEEZZNS1_14partition_implILS8_4ELb0ES6_15HIP_vector_typeIjLj2EENS0_17counting_iteratorIjlEEPS9_SG_NS0_5tupleIJPjSI_NS0_16reverse_iteratorISI_EEEEENSH_IJSG_SG_SG_EEES9_SI_JZNS1_25segmented_radix_sort_implINS0_14default_configELb1EPKhPhPKlPlN2at6native12_GLOBAL__N_18offset_tEEE10hipError_tPvRmT1_PNSt15iterator_traitsIS12_E10value_typeET2_T3_PNS13_IS18_E10value_typeET4_jRbjT5_S1E_jjP12ihipStream_tbEUljE_ZNSN_ISO_Lb1ESQ_SR_ST_SU_SY_EESZ_S10_S11_S12_S16_S17_S18_S1B_S1C_jS1D_jS1E_S1E_jjS1G_bEUljE0_EEESZ_S10_S11_S18_S1C_S1E_T6_T7_T9_mT8_S1G_bDpT10_ENKUlT_T0_E_clISt17integral_constantIbLb0EES1U_EEDaS1P_S1Q_EUlS1P_E_NS1_11comp_targetILNS1_3genE8ELNS1_11target_archE1030ELNS1_3gpuE2ELNS1_3repE0EEENS1_30default_config_static_selectorELNS0_4arch9wavefront6targetE1EEEvS12_,"axG",@progbits,_ZN7rocprim17ROCPRIM_400000_NS6detail17trampoline_kernelINS0_13select_configILj256ELj13ELNS0_17block_load_methodE3ELS4_3ELS4_3ELNS0_20block_scan_algorithmE0ELj4294967295EEENS1_25partition_config_selectorILNS1_17partition_subalgoE4EjNS0_10empty_typeEbEEZZNS1_14partition_implILS8_4ELb0ES6_15HIP_vector_typeIjLj2EENS0_17counting_iteratorIjlEEPS9_SG_NS0_5tupleIJPjSI_NS0_16reverse_iteratorISI_EEEEENSH_IJSG_SG_SG_EEES9_SI_JZNS1_25segmented_radix_sort_implINS0_14default_configELb1EPKhPhPKlPlN2at6native12_GLOBAL__N_18offset_tEEE10hipError_tPvRmT1_PNSt15iterator_traitsIS12_E10value_typeET2_T3_PNS13_IS18_E10value_typeET4_jRbjT5_S1E_jjP12ihipStream_tbEUljE_ZNSN_ISO_Lb1ESQ_SR_ST_SU_SY_EESZ_S10_S11_S12_S16_S17_S18_S1B_S1C_jS1D_jS1E_S1E_jjS1G_bEUljE0_EEESZ_S10_S11_S18_S1C_S1E_T6_T7_T9_mT8_S1G_bDpT10_ENKUlT_T0_E_clISt17integral_constantIbLb0EES1U_EEDaS1P_S1Q_EUlS1P_E_NS1_11comp_targetILNS1_3genE8ELNS1_11target_archE1030ELNS1_3gpuE2ELNS1_3repE0EEENS1_30default_config_static_selectorELNS0_4arch9wavefront6targetE1EEEvS12_,comdat
	.globl	_ZN7rocprim17ROCPRIM_400000_NS6detail17trampoline_kernelINS0_13select_configILj256ELj13ELNS0_17block_load_methodE3ELS4_3ELS4_3ELNS0_20block_scan_algorithmE0ELj4294967295EEENS1_25partition_config_selectorILNS1_17partition_subalgoE4EjNS0_10empty_typeEbEEZZNS1_14partition_implILS8_4ELb0ES6_15HIP_vector_typeIjLj2EENS0_17counting_iteratorIjlEEPS9_SG_NS0_5tupleIJPjSI_NS0_16reverse_iteratorISI_EEEEENSH_IJSG_SG_SG_EEES9_SI_JZNS1_25segmented_radix_sort_implINS0_14default_configELb1EPKhPhPKlPlN2at6native12_GLOBAL__N_18offset_tEEE10hipError_tPvRmT1_PNSt15iterator_traitsIS12_E10value_typeET2_T3_PNS13_IS18_E10value_typeET4_jRbjT5_S1E_jjP12ihipStream_tbEUljE_ZNSN_ISO_Lb1ESQ_SR_ST_SU_SY_EESZ_S10_S11_S12_S16_S17_S18_S1B_S1C_jS1D_jS1E_S1E_jjS1G_bEUljE0_EEESZ_S10_S11_S18_S1C_S1E_T6_T7_T9_mT8_S1G_bDpT10_ENKUlT_T0_E_clISt17integral_constantIbLb0EES1U_EEDaS1P_S1Q_EUlS1P_E_NS1_11comp_targetILNS1_3genE8ELNS1_11target_archE1030ELNS1_3gpuE2ELNS1_3repE0EEENS1_30default_config_static_selectorELNS0_4arch9wavefront6targetE1EEEvS12_ ; -- Begin function _ZN7rocprim17ROCPRIM_400000_NS6detail17trampoline_kernelINS0_13select_configILj256ELj13ELNS0_17block_load_methodE3ELS4_3ELS4_3ELNS0_20block_scan_algorithmE0ELj4294967295EEENS1_25partition_config_selectorILNS1_17partition_subalgoE4EjNS0_10empty_typeEbEEZZNS1_14partition_implILS8_4ELb0ES6_15HIP_vector_typeIjLj2EENS0_17counting_iteratorIjlEEPS9_SG_NS0_5tupleIJPjSI_NS0_16reverse_iteratorISI_EEEEENSH_IJSG_SG_SG_EEES9_SI_JZNS1_25segmented_radix_sort_implINS0_14default_configELb1EPKhPhPKlPlN2at6native12_GLOBAL__N_18offset_tEEE10hipError_tPvRmT1_PNSt15iterator_traitsIS12_E10value_typeET2_T3_PNS13_IS18_E10value_typeET4_jRbjT5_S1E_jjP12ihipStream_tbEUljE_ZNSN_ISO_Lb1ESQ_SR_ST_SU_SY_EESZ_S10_S11_S12_S16_S17_S18_S1B_S1C_jS1D_jS1E_S1E_jjS1G_bEUljE0_EEESZ_S10_S11_S18_S1C_S1E_T6_T7_T9_mT8_S1G_bDpT10_ENKUlT_T0_E_clISt17integral_constantIbLb0EES1U_EEDaS1P_S1Q_EUlS1P_E_NS1_11comp_targetILNS1_3genE8ELNS1_11target_archE1030ELNS1_3gpuE2ELNS1_3repE0EEENS1_30default_config_static_selectorELNS0_4arch9wavefront6targetE1EEEvS12_
	.p2align	8
	.type	_ZN7rocprim17ROCPRIM_400000_NS6detail17trampoline_kernelINS0_13select_configILj256ELj13ELNS0_17block_load_methodE3ELS4_3ELS4_3ELNS0_20block_scan_algorithmE0ELj4294967295EEENS1_25partition_config_selectorILNS1_17partition_subalgoE4EjNS0_10empty_typeEbEEZZNS1_14partition_implILS8_4ELb0ES6_15HIP_vector_typeIjLj2EENS0_17counting_iteratorIjlEEPS9_SG_NS0_5tupleIJPjSI_NS0_16reverse_iteratorISI_EEEEENSH_IJSG_SG_SG_EEES9_SI_JZNS1_25segmented_radix_sort_implINS0_14default_configELb1EPKhPhPKlPlN2at6native12_GLOBAL__N_18offset_tEEE10hipError_tPvRmT1_PNSt15iterator_traitsIS12_E10value_typeET2_T3_PNS13_IS18_E10value_typeET4_jRbjT5_S1E_jjP12ihipStream_tbEUljE_ZNSN_ISO_Lb1ESQ_SR_ST_SU_SY_EESZ_S10_S11_S12_S16_S17_S18_S1B_S1C_jS1D_jS1E_S1E_jjS1G_bEUljE0_EEESZ_S10_S11_S18_S1C_S1E_T6_T7_T9_mT8_S1G_bDpT10_ENKUlT_T0_E_clISt17integral_constantIbLb0EES1U_EEDaS1P_S1Q_EUlS1P_E_NS1_11comp_targetILNS1_3genE8ELNS1_11target_archE1030ELNS1_3gpuE2ELNS1_3repE0EEENS1_30default_config_static_selectorELNS0_4arch9wavefront6targetE1EEEvS12_,@function
_ZN7rocprim17ROCPRIM_400000_NS6detail17trampoline_kernelINS0_13select_configILj256ELj13ELNS0_17block_load_methodE3ELS4_3ELS4_3ELNS0_20block_scan_algorithmE0ELj4294967295EEENS1_25partition_config_selectorILNS1_17partition_subalgoE4EjNS0_10empty_typeEbEEZZNS1_14partition_implILS8_4ELb0ES6_15HIP_vector_typeIjLj2EENS0_17counting_iteratorIjlEEPS9_SG_NS0_5tupleIJPjSI_NS0_16reverse_iteratorISI_EEEEENSH_IJSG_SG_SG_EEES9_SI_JZNS1_25segmented_radix_sort_implINS0_14default_configELb1EPKhPhPKlPlN2at6native12_GLOBAL__N_18offset_tEEE10hipError_tPvRmT1_PNSt15iterator_traitsIS12_E10value_typeET2_T3_PNS13_IS18_E10value_typeET4_jRbjT5_S1E_jjP12ihipStream_tbEUljE_ZNSN_ISO_Lb1ESQ_SR_ST_SU_SY_EESZ_S10_S11_S12_S16_S17_S18_S1B_S1C_jS1D_jS1E_S1E_jjS1G_bEUljE0_EEESZ_S10_S11_S18_S1C_S1E_T6_T7_T9_mT8_S1G_bDpT10_ENKUlT_T0_E_clISt17integral_constantIbLb0EES1U_EEDaS1P_S1Q_EUlS1P_E_NS1_11comp_targetILNS1_3genE8ELNS1_11target_archE1030ELNS1_3gpuE2ELNS1_3repE0EEENS1_30default_config_static_selectorELNS0_4arch9wavefront6targetE1EEEvS12_: ; @_ZN7rocprim17ROCPRIM_400000_NS6detail17trampoline_kernelINS0_13select_configILj256ELj13ELNS0_17block_load_methodE3ELS4_3ELS4_3ELNS0_20block_scan_algorithmE0ELj4294967295EEENS1_25partition_config_selectorILNS1_17partition_subalgoE4EjNS0_10empty_typeEbEEZZNS1_14partition_implILS8_4ELb0ES6_15HIP_vector_typeIjLj2EENS0_17counting_iteratorIjlEEPS9_SG_NS0_5tupleIJPjSI_NS0_16reverse_iteratorISI_EEEEENSH_IJSG_SG_SG_EEES9_SI_JZNS1_25segmented_radix_sort_implINS0_14default_configELb1EPKhPhPKlPlN2at6native12_GLOBAL__N_18offset_tEEE10hipError_tPvRmT1_PNSt15iterator_traitsIS12_E10value_typeET2_T3_PNS13_IS18_E10value_typeET4_jRbjT5_S1E_jjP12ihipStream_tbEUljE_ZNSN_ISO_Lb1ESQ_SR_ST_SU_SY_EESZ_S10_S11_S12_S16_S17_S18_S1B_S1C_jS1D_jS1E_S1E_jjS1G_bEUljE0_EEESZ_S10_S11_S18_S1C_S1E_T6_T7_T9_mT8_S1G_bDpT10_ENKUlT_T0_E_clISt17integral_constantIbLb0EES1U_EEDaS1P_S1Q_EUlS1P_E_NS1_11comp_targetILNS1_3genE8ELNS1_11target_archE1030ELNS1_3gpuE2ELNS1_3repE0EEENS1_30default_config_static_selectorELNS0_4arch9wavefront6targetE1EEEvS12_
; %bb.0:
	.section	.rodata,"a",@progbits
	.p2align	6, 0x0
	.amdhsa_kernel _ZN7rocprim17ROCPRIM_400000_NS6detail17trampoline_kernelINS0_13select_configILj256ELj13ELNS0_17block_load_methodE3ELS4_3ELS4_3ELNS0_20block_scan_algorithmE0ELj4294967295EEENS1_25partition_config_selectorILNS1_17partition_subalgoE4EjNS0_10empty_typeEbEEZZNS1_14partition_implILS8_4ELb0ES6_15HIP_vector_typeIjLj2EENS0_17counting_iteratorIjlEEPS9_SG_NS0_5tupleIJPjSI_NS0_16reverse_iteratorISI_EEEEENSH_IJSG_SG_SG_EEES9_SI_JZNS1_25segmented_radix_sort_implINS0_14default_configELb1EPKhPhPKlPlN2at6native12_GLOBAL__N_18offset_tEEE10hipError_tPvRmT1_PNSt15iterator_traitsIS12_E10value_typeET2_T3_PNS13_IS18_E10value_typeET4_jRbjT5_S1E_jjP12ihipStream_tbEUljE_ZNSN_ISO_Lb1ESQ_SR_ST_SU_SY_EESZ_S10_S11_S12_S16_S17_S18_S1B_S1C_jS1D_jS1E_S1E_jjS1G_bEUljE0_EEESZ_S10_S11_S18_S1C_S1E_T6_T7_T9_mT8_S1G_bDpT10_ENKUlT_T0_E_clISt17integral_constantIbLb0EES1U_EEDaS1P_S1Q_EUlS1P_E_NS1_11comp_targetILNS1_3genE8ELNS1_11target_archE1030ELNS1_3gpuE2ELNS1_3repE0EEENS1_30default_config_static_selectorELNS0_4arch9wavefront6targetE1EEEvS12_
		.amdhsa_group_segment_fixed_size 0
		.amdhsa_private_segment_fixed_size 0
		.amdhsa_kernarg_size 176
		.amdhsa_user_sgpr_count 6
		.amdhsa_user_sgpr_private_segment_buffer 1
		.amdhsa_user_sgpr_dispatch_ptr 0
		.amdhsa_user_sgpr_queue_ptr 0
		.amdhsa_user_sgpr_kernarg_segment_ptr 1
		.amdhsa_user_sgpr_dispatch_id 0
		.amdhsa_user_sgpr_flat_scratch_init 0
		.amdhsa_user_sgpr_private_segment_size 0
		.amdhsa_uses_dynamic_stack 0
		.amdhsa_system_sgpr_private_segment_wavefront_offset 0
		.amdhsa_system_sgpr_workgroup_id_x 1
		.amdhsa_system_sgpr_workgroup_id_y 0
		.amdhsa_system_sgpr_workgroup_id_z 0
		.amdhsa_system_sgpr_workgroup_info 0
		.amdhsa_system_vgpr_workitem_id 0
		.amdhsa_next_free_vgpr 1
		.amdhsa_next_free_sgpr 0
		.amdhsa_reserve_vcc 0
		.amdhsa_reserve_flat_scratch 0
		.amdhsa_float_round_mode_32 0
		.amdhsa_float_round_mode_16_64 0
		.amdhsa_float_denorm_mode_32 3
		.amdhsa_float_denorm_mode_16_64 3
		.amdhsa_dx10_clamp 1
		.amdhsa_ieee_mode 1
		.amdhsa_fp16_overflow 0
		.amdhsa_exception_fp_ieee_invalid_op 0
		.amdhsa_exception_fp_denorm_src 0
		.amdhsa_exception_fp_ieee_div_zero 0
		.amdhsa_exception_fp_ieee_overflow 0
		.amdhsa_exception_fp_ieee_underflow 0
		.amdhsa_exception_fp_ieee_inexact 0
		.amdhsa_exception_int_div_zero 0
	.end_amdhsa_kernel
	.section	.text._ZN7rocprim17ROCPRIM_400000_NS6detail17trampoline_kernelINS0_13select_configILj256ELj13ELNS0_17block_load_methodE3ELS4_3ELS4_3ELNS0_20block_scan_algorithmE0ELj4294967295EEENS1_25partition_config_selectorILNS1_17partition_subalgoE4EjNS0_10empty_typeEbEEZZNS1_14partition_implILS8_4ELb0ES6_15HIP_vector_typeIjLj2EENS0_17counting_iteratorIjlEEPS9_SG_NS0_5tupleIJPjSI_NS0_16reverse_iteratorISI_EEEEENSH_IJSG_SG_SG_EEES9_SI_JZNS1_25segmented_radix_sort_implINS0_14default_configELb1EPKhPhPKlPlN2at6native12_GLOBAL__N_18offset_tEEE10hipError_tPvRmT1_PNSt15iterator_traitsIS12_E10value_typeET2_T3_PNS13_IS18_E10value_typeET4_jRbjT5_S1E_jjP12ihipStream_tbEUljE_ZNSN_ISO_Lb1ESQ_SR_ST_SU_SY_EESZ_S10_S11_S12_S16_S17_S18_S1B_S1C_jS1D_jS1E_S1E_jjS1G_bEUljE0_EEESZ_S10_S11_S18_S1C_S1E_T6_T7_T9_mT8_S1G_bDpT10_ENKUlT_T0_E_clISt17integral_constantIbLb0EES1U_EEDaS1P_S1Q_EUlS1P_E_NS1_11comp_targetILNS1_3genE8ELNS1_11target_archE1030ELNS1_3gpuE2ELNS1_3repE0EEENS1_30default_config_static_selectorELNS0_4arch9wavefront6targetE1EEEvS12_,"axG",@progbits,_ZN7rocprim17ROCPRIM_400000_NS6detail17trampoline_kernelINS0_13select_configILj256ELj13ELNS0_17block_load_methodE3ELS4_3ELS4_3ELNS0_20block_scan_algorithmE0ELj4294967295EEENS1_25partition_config_selectorILNS1_17partition_subalgoE4EjNS0_10empty_typeEbEEZZNS1_14partition_implILS8_4ELb0ES6_15HIP_vector_typeIjLj2EENS0_17counting_iteratorIjlEEPS9_SG_NS0_5tupleIJPjSI_NS0_16reverse_iteratorISI_EEEEENSH_IJSG_SG_SG_EEES9_SI_JZNS1_25segmented_radix_sort_implINS0_14default_configELb1EPKhPhPKlPlN2at6native12_GLOBAL__N_18offset_tEEE10hipError_tPvRmT1_PNSt15iterator_traitsIS12_E10value_typeET2_T3_PNS13_IS18_E10value_typeET4_jRbjT5_S1E_jjP12ihipStream_tbEUljE_ZNSN_ISO_Lb1ESQ_SR_ST_SU_SY_EESZ_S10_S11_S12_S16_S17_S18_S1B_S1C_jS1D_jS1E_S1E_jjS1G_bEUljE0_EEESZ_S10_S11_S18_S1C_S1E_T6_T7_T9_mT8_S1G_bDpT10_ENKUlT_T0_E_clISt17integral_constantIbLb0EES1U_EEDaS1P_S1Q_EUlS1P_E_NS1_11comp_targetILNS1_3genE8ELNS1_11target_archE1030ELNS1_3gpuE2ELNS1_3repE0EEENS1_30default_config_static_selectorELNS0_4arch9wavefront6targetE1EEEvS12_,comdat
.Lfunc_end11:
	.size	_ZN7rocprim17ROCPRIM_400000_NS6detail17trampoline_kernelINS0_13select_configILj256ELj13ELNS0_17block_load_methodE3ELS4_3ELS4_3ELNS0_20block_scan_algorithmE0ELj4294967295EEENS1_25partition_config_selectorILNS1_17partition_subalgoE4EjNS0_10empty_typeEbEEZZNS1_14partition_implILS8_4ELb0ES6_15HIP_vector_typeIjLj2EENS0_17counting_iteratorIjlEEPS9_SG_NS0_5tupleIJPjSI_NS0_16reverse_iteratorISI_EEEEENSH_IJSG_SG_SG_EEES9_SI_JZNS1_25segmented_radix_sort_implINS0_14default_configELb1EPKhPhPKlPlN2at6native12_GLOBAL__N_18offset_tEEE10hipError_tPvRmT1_PNSt15iterator_traitsIS12_E10value_typeET2_T3_PNS13_IS18_E10value_typeET4_jRbjT5_S1E_jjP12ihipStream_tbEUljE_ZNSN_ISO_Lb1ESQ_SR_ST_SU_SY_EESZ_S10_S11_S12_S16_S17_S18_S1B_S1C_jS1D_jS1E_S1E_jjS1G_bEUljE0_EEESZ_S10_S11_S18_S1C_S1E_T6_T7_T9_mT8_S1G_bDpT10_ENKUlT_T0_E_clISt17integral_constantIbLb0EES1U_EEDaS1P_S1Q_EUlS1P_E_NS1_11comp_targetILNS1_3genE8ELNS1_11target_archE1030ELNS1_3gpuE2ELNS1_3repE0EEENS1_30default_config_static_selectorELNS0_4arch9wavefront6targetE1EEEvS12_, .Lfunc_end11-_ZN7rocprim17ROCPRIM_400000_NS6detail17trampoline_kernelINS0_13select_configILj256ELj13ELNS0_17block_load_methodE3ELS4_3ELS4_3ELNS0_20block_scan_algorithmE0ELj4294967295EEENS1_25partition_config_selectorILNS1_17partition_subalgoE4EjNS0_10empty_typeEbEEZZNS1_14partition_implILS8_4ELb0ES6_15HIP_vector_typeIjLj2EENS0_17counting_iteratorIjlEEPS9_SG_NS0_5tupleIJPjSI_NS0_16reverse_iteratorISI_EEEEENSH_IJSG_SG_SG_EEES9_SI_JZNS1_25segmented_radix_sort_implINS0_14default_configELb1EPKhPhPKlPlN2at6native12_GLOBAL__N_18offset_tEEE10hipError_tPvRmT1_PNSt15iterator_traitsIS12_E10value_typeET2_T3_PNS13_IS18_E10value_typeET4_jRbjT5_S1E_jjP12ihipStream_tbEUljE_ZNSN_ISO_Lb1ESQ_SR_ST_SU_SY_EESZ_S10_S11_S12_S16_S17_S18_S1B_S1C_jS1D_jS1E_S1E_jjS1G_bEUljE0_EEESZ_S10_S11_S18_S1C_S1E_T6_T7_T9_mT8_S1G_bDpT10_ENKUlT_T0_E_clISt17integral_constantIbLb0EES1U_EEDaS1P_S1Q_EUlS1P_E_NS1_11comp_targetILNS1_3genE8ELNS1_11target_archE1030ELNS1_3gpuE2ELNS1_3repE0EEENS1_30default_config_static_selectorELNS0_4arch9wavefront6targetE1EEEvS12_
                                        ; -- End function
	.set _ZN7rocprim17ROCPRIM_400000_NS6detail17trampoline_kernelINS0_13select_configILj256ELj13ELNS0_17block_load_methodE3ELS4_3ELS4_3ELNS0_20block_scan_algorithmE0ELj4294967295EEENS1_25partition_config_selectorILNS1_17partition_subalgoE4EjNS0_10empty_typeEbEEZZNS1_14partition_implILS8_4ELb0ES6_15HIP_vector_typeIjLj2EENS0_17counting_iteratorIjlEEPS9_SG_NS0_5tupleIJPjSI_NS0_16reverse_iteratorISI_EEEEENSH_IJSG_SG_SG_EEES9_SI_JZNS1_25segmented_radix_sort_implINS0_14default_configELb1EPKhPhPKlPlN2at6native12_GLOBAL__N_18offset_tEEE10hipError_tPvRmT1_PNSt15iterator_traitsIS12_E10value_typeET2_T3_PNS13_IS18_E10value_typeET4_jRbjT5_S1E_jjP12ihipStream_tbEUljE_ZNSN_ISO_Lb1ESQ_SR_ST_SU_SY_EESZ_S10_S11_S12_S16_S17_S18_S1B_S1C_jS1D_jS1E_S1E_jjS1G_bEUljE0_EEESZ_S10_S11_S18_S1C_S1E_T6_T7_T9_mT8_S1G_bDpT10_ENKUlT_T0_E_clISt17integral_constantIbLb0EES1U_EEDaS1P_S1Q_EUlS1P_E_NS1_11comp_targetILNS1_3genE8ELNS1_11target_archE1030ELNS1_3gpuE2ELNS1_3repE0EEENS1_30default_config_static_selectorELNS0_4arch9wavefront6targetE1EEEvS12_.num_vgpr, 0
	.set _ZN7rocprim17ROCPRIM_400000_NS6detail17trampoline_kernelINS0_13select_configILj256ELj13ELNS0_17block_load_methodE3ELS4_3ELS4_3ELNS0_20block_scan_algorithmE0ELj4294967295EEENS1_25partition_config_selectorILNS1_17partition_subalgoE4EjNS0_10empty_typeEbEEZZNS1_14partition_implILS8_4ELb0ES6_15HIP_vector_typeIjLj2EENS0_17counting_iteratorIjlEEPS9_SG_NS0_5tupleIJPjSI_NS0_16reverse_iteratorISI_EEEEENSH_IJSG_SG_SG_EEES9_SI_JZNS1_25segmented_radix_sort_implINS0_14default_configELb1EPKhPhPKlPlN2at6native12_GLOBAL__N_18offset_tEEE10hipError_tPvRmT1_PNSt15iterator_traitsIS12_E10value_typeET2_T3_PNS13_IS18_E10value_typeET4_jRbjT5_S1E_jjP12ihipStream_tbEUljE_ZNSN_ISO_Lb1ESQ_SR_ST_SU_SY_EESZ_S10_S11_S12_S16_S17_S18_S1B_S1C_jS1D_jS1E_S1E_jjS1G_bEUljE0_EEESZ_S10_S11_S18_S1C_S1E_T6_T7_T9_mT8_S1G_bDpT10_ENKUlT_T0_E_clISt17integral_constantIbLb0EES1U_EEDaS1P_S1Q_EUlS1P_E_NS1_11comp_targetILNS1_3genE8ELNS1_11target_archE1030ELNS1_3gpuE2ELNS1_3repE0EEENS1_30default_config_static_selectorELNS0_4arch9wavefront6targetE1EEEvS12_.num_agpr, 0
	.set _ZN7rocprim17ROCPRIM_400000_NS6detail17trampoline_kernelINS0_13select_configILj256ELj13ELNS0_17block_load_methodE3ELS4_3ELS4_3ELNS0_20block_scan_algorithmE0ELj4294967295EEENS1_25partition_config_selectorILNS1_17partition_subalgoE4EjNS0_10empty_typeEbEEZZNS1_14partition_implILS8_4ELb0ES6_15HIP_vector_typeIjLj2EENS0_17counting_iteratorIjlEEPS9_SG_NS0_5tupleIJPjSI_NS0_16reverse_iteratorISI_EEEEENSH_IJSG_SG_SG_EEES9_SI_JZNS1_25segmented_radix_sort_implINS0_14default_configELb1EPKhPhPKlPlN2at6native12_GLOBAL__N_18offset_tEEE10hipError_tPvRmT1_PNSt15iterator_traitsIS12_E10value_typeET2_T3_PNS13_IS18_E10value_typeET4_jRbjT5_S1E_jjP12ihipStream_tbEUljE_ZNSN_ISO_Lb1ESQ_SR_ST_SU_SY_EESZ_S10_S11_S12_S16_S17_S18_S1B_S1C_jS1D_jS1E_S1E_jjS1G_bEUljE0_EEESZ_S10_S11_S18_S1C_S1E_T6_T7_T9_mT8_S1G_bDpT10_ENKUlT_T0_E_clISt17integral_constantIbLb0EES1U_EEDaS1P_S1Q_EUlS1P_E_NS1_11comp_targetILNS1_3genE8ELNS1_11target_archE1030ELNS1_3gpuE2ELNS1_3repE0EEENS1_30default_config_static_selectorELNS0_4arch9wavefront6targetE1EEEvS12_.numbered_sgpr, 0
	.set _ZN7rocprim17ROCPRIM_400000_NS6detail17trampoline_kernelINS0_13select_configILj256ELj13ELNS0_17block_load_methodE3ELS4_3ELS4_3ELNS0_20block_scan_algorithmE0ELj4294967295EEENS1_25partition_config_selectorILNS1_17partition_subalgoE4EjNS0_10empty_typeEbEEZZNS1_14partition_implILS8_4ELb0ES6_15HIP_vector_typeIjLj2EENS0_17counting_iteratorIjlEEPS9_SG_NS0_5tupleIJPjSI_NS0_16reverse_iteratorISI_EEEEENSH_IJSG_SG_SG_EEES9_SI_JZNS1_25segmented_radix_sort_implINS0_14default_configELb1EPKhPhPKlPlN2at6native12_GLOBAL__N_18offset_tEEE10hipError_tPvRmT1_PNSt15iterator_traitsIS12_E10value_typeET2_T3_PNS13_IS18_E10value_typeET4_jRbjT5_S1E_jjP12ihipStream_tbEUljE_ZNSN_ISO_Lb1ESQ_SR_ST_SU_SY_EESZ_S10_S11_S12_S16_S17_S18_S1B_S1C_jS1D_jS1E_S1E_jjS1G_bEUljE0_EEESZ_S10_S11_S18_S1C_S1E_T6_T7_T9_mT8_S1G_bDpT10_ENKUlT_T0_E_clISt17integral_constantIbLb0EES1U_EEDaS1P_S1Q_EUlS1P_E_NS1_11comp_targetILNS1_3genE8ELNS1_11target_archE1030ELNS1_3gpuE2ELNS1_3repE0EEENS1_30default_config_static_selectorELNS0_4arch9wavefront6targetE1EEEvS12_.num_named_barrier, 0
	.set _ZN7rocprim17ROCPRIM_400000_NS6detail17trampoline_kernelINS0_13select_configILj256ELj13ELNS0_17block_load_methodE3ELS4_3ELS4_3ELNS0_20block_scan_algorithmE0ELj4294967295EEENS1_25partition_config_selectorILNS1_17partition_subalgoE4EjNS0_10empty_typeEbEEZZNS1_14partition_implILS8_4ELb0ES6_15HIP_vector_typeIjLj2EENS0_17counting_iteratorIjlEEPS9_SG_NS0_5tupleIJPjSI_NS0_16reverse_iteratorISI_EEEEENSH_IJSG_SG_SG_EEES9_SI_JZNS1_25segmented_radix_sort_implINS0_14default_configELb1EPKhPhPKlPlN2at6native12_GLOBAL__N_18offset_tEEE10hipError_tPvRmT1_PNSt15iterator_traitsIS12_E10value_typeET2_T3_PNS13_IS18_E10value_typeET4_jRbjT5_S1E_jjP12ihipStream_tbEUljE_ZNSN_ISO_Lb1ESQ_SR_ST_SU_SY_EESZ_S10_S11_S12_S16_S17_S18_S1B_S1C_jS1D_jS1E_S1E_jjS1G_bEUljE0_EEESZ_S10_S11_S18_S1C_S1E_T6_T7_T9_mT8_S1G_bDpT10_ENKUlT_T0_E_clISt17integral_constantIbLb0EES1U_EEDaS1P_S1Q_EUlS1P_E_NS1_11comp_targetILNS1_3genE8ELNS1_11target_archE1030ELNS1_3gpuE2ELNS1_3repE0EEENS1_30default_config_static_selectorELNS0_4arch9wavefront6targetE1EEEvS12_.private_seg_size, 0
	.set _ZN7rocprim17ROCPRIM_400000_NS6detail17trampoline_kernelINS0_13select_configILj256ELj13ELNS0_17block_load_methodE3ELS4_3ELS4_3ELNS0_20block_scan_algorithmE0ELj4294967295EEENS1_25partition_config_selectorILNS1_17partition_subalgoE4EjNS0_10empty_typeEbEEZZNS1_14partition_implILS8_4ELb0ES6_15HIP_vector_typeIjLj2EENS0_17counting_iteratorIjlEEPS9_SG_NS0_5tupleIJPjSI_NS0_16reverse_iteratorISI_EEEEENSH_IJSG_SG_SG_EEES9_SI_JZNS1_25segmented_radix_sort_implINS0_14default_configELb1EPKhPhPKlPlN2at6native12_GLOBAL__N_18offset_tEEE10hipError_tPvRmT1_PNSt15iterator_traitsIS12_E10value_typeET2_T3_PNS13_IS18_E10value_typeET4_jRbjT5_S1E_jjP12ihipStream_tbEUljE_ZNSN_ISO_Lb1ESQ_SR_ST_SU_SY_EESZ_S10_S11_S12_S16_S17_S18_S1B_S1C_jS1D_jS1E_S1E_jjS1G_bEUljE0_EEESZ_S10_S11_S18_S1C_S1E_T6_T7_T9_mT8_S1G_bDpT10_ENKUlT_T0_E_clISt17integral_constantIbLb0EES1U_EEDaS1P_S1Q_EUlS1P_E_NS1_11comp_targetILNS1_3genE8ELNS1_11target_archE1030ELNS1_3gpuE2ELNS1_3repE0EEENS1_30default_config_static_selectorELNS0_4arch9wavefront6targetE1EEEvS12_.uses_vcc, 0
	.set _ZN7rocprim17ROCPRIM_400000_NS6detail17trampoline_kernelINS0_13select_configILj256ELj13ELNS0_17block_load_methodE3ELS4_3ELS4_3ELNS0_20block_scan_algorithmE0ELj4294967295EEENS1_25partition_config_selectorILNS1_17partition_subalgoE4EjNS0_10empty_typeEbEEZZNS1_14partition_implILS8_4ELb0ES6_15HIP_vector_typeIjLj2EENS0_17counting_iteratorIjlEEPS9_SG_NS0_5tupleIJPjSI_NS0_16reverse_iteratorISI_EEEEENSH_IJSG_SG_SG_EEES9_SI_JZNS1_25segmented_radix_sort_implINS0_14default_configELb1EPKhPhPKlPlN2at6native12_GLOBAL__N_18offset_tEEE10hipError_tPvRmT1_PNSt15iterator_traitsIS12_E10value_typeET2_T3_PNS13_IS18_E10value_typeET4_jRbjT5_S1E_jjP12ihipStream_tbEUljE_ZNSN_ISO_Lb1ESQ_SR_ST_SU_SY_EESZ_S10_S11_S12_S16_S17_S18_S1B_S1C_jS1D_jS1E_S1E_jjS1G_bEUljE0_EEESZ_S10_S11_S18_S1C_S1E_T6_T7_T9_mT8_S1G_bDpT10_ENKUlT_T0_E_clISt17integral_constantIbLb0EES1U_EEDaS1P_S1Q_EUlS1P_E_NS1_11comp_targetILNS1_3genE8ELNS1_11target_archE1030ELNS1_3gpuE2ELNS1_3repE0EEENS1_30default_config_static_selectorELNS0_4arch9wavefront6targetE1EEEvS12_.uses_flat_scratch, 0
	.set _ZN7rocprim17ROCPRIM_400000_NS6detail17trampoline_kernelINS0_13select_configILj256ELj13ELNS0_17block_load_methodE3ELS4_3ELS4_3ELNS0_20block_scan_algorithmE0ELj4294967295EEENS1_25partition_config_selectorILNS1_17partition_subalgoE4EjNS0_10empty_typeEbEEZZNS1_14partition_implILS8_4ELb0ES6_15HIP_vector_typeIjLj2EENS0_17counting_iteratorIjlEEPS9_SG_NS0_5tupleIJPjSI_NS0_16reverse_iteratorISI_EEEEENSH_IJSG_SG_SG_EEES9_SI_JZNS1_25segmented_radix_sort_implINS0_14default_configELb1EPKhPhPKlPlN2at6native12_GLOBAL__N_18offset_tEEE10hipError_tPvRmT1_PNSt15iterator_traitsIS12_E10value_typeET2_T3_PNS13_IS18_E10value_typeET4_jRbjT5_S1E_jjP12ihipStream_tbEUljE_ZNSN_ISO_Lb1ESQ_SR_ST_SU_SY_EESZ_S10_S11_S12_S16_S17_S18_S1B_S1C_jS1D_jS1E_S1E_jjS1G_bEUljE0_EEESZ_S10_S11_S18_S1C_S1E_T6_T7_T9_mT8_S1G_bDpT10_ENKUlT_T0_E_clISt17integral_constantIbLb0EES1U_EEDaS1P_S1Q_EUlS1P_E_NS1_11comp_targetILNS1_3genE8ELNS1_11target_archE1030ELNS1_3gpuE2ELNS1_3repE0EEENS1_30default_config_static_selectorELNS0_4arch9wavefront6targetE1EEEvS12_.has_dyn_sized_stack, 0
	.set _ZN7rocprim17ROCPRIM_400000_NS6detail17trampoline_kernelINS0_13select_configILj256ELj13ELNS0_17block_load_methodE3ELS4_3ELS4_3ELNS0_20block_scan_algorithmE0ELj4294967295EEENS1_25partition_config_selectorILNS1_17partition_subalgoE4EjNS0_10empty_typeEbEEZZNS1_14partition_implILS8_4ELb0ES6_15HIP_vector_typeIjLj2EENS0_17counting_iteratorIjlEEPS9_SG_NS0_5tupleIJPjSI_NS0_16reverse_iteratorISI_EEEEENSH_IJSG_SG_SG_EEES9_SI_JZNS1_25segmented_radix_sort_implINS0_14default_configELb1EPKhPhPKlPlN2at6native12_GLOBAL__N_18offset_tEEE10hipError_tPvRmT1_PNSt15iterator_traitsIS12_E10value_typeET2_T3_PNS13_IS18_E10value_typeET4_jRbjT5_S1E_jjP12ihipStream_tbEUljE_ZNSN_ISO_Lb1ESQ_SR_ST_SU_SY_EESZ_S10_S11_S12_S16_S17_S18_S1B_S1C_jS1D_jS1E_S1E_jjS1G_bEUljE0_EEESZ_S10_S11_S18_S1C_S1E_T6_T7_T9_mT8_S1G_bDpT10_ENKUlT_T0_E_clISt17integral_constantIbLb0EES1U_EEDaS1P_S1Q_EUlS1P_E_NS1_11comp_targetILNS1_3genE8ELNS1_11target_archE1030ELNS1_3gpuE2ELNS1_3repE0EEENS1_30default_config_static_selectorELNS0_4arch9wavefront6targetE1EEEvS12_.has_recursion, 0
	.set _ZN7rocprim17ROCPRIM_400000_NS6detail17trampoline_kernelINS0_13select_configILj256ELj13ELNS0_17block_load_methodE3ELS4_3ELS4_3ELNS0_20block_scan_algorithmE0ELj4294967295EEENS1_25partition_config_selectorILNS1_17partition_subalgoE4EjNS0_10empty_typeEbEEZZNS1_14partition_implILS8_4ELb0ES6_15HIP_vector_typeIjLj2EENS0_17counting_iteratorIjlEEPS9_SG_NS0_5tupleIJPjSI_NS0_16reverse_iteratorISI_EEEEENSH_IJSG_SG_SG_EEES9_SI_JZNS1_25segmented_radix_sort_implINS0_14default_configELb1EPKhPhPKlPlN2at6native12_GLOBAL__N_18offset_tEEE10hipError_tPvRmT1_PNSt15iterator_traitsIS12_E10value_typeET2_T3_PNS13_IS18_E10value_typeET4_jRbjT5_S1E_jjP12ihipStream_tbEUljE_ZNSN_ISO_Lb1ESQ_SR_ST_SU_SY_EESZ_S10_S11_S12_S16_S17_S18_S1B_S1C_jS1D_jS1E_S1E_jjS1G_bEUljE0_EEESZ_S10_S11_S18_S1C_S1E_T6_T7_T9_mT8_S1G_bDpT10_ENKUlT_T0_E_clISt17integral_constantIbLb0EES1U_EEDaS1P_S1Q_EUlS1P_E_NS1_11comp_targetILNS1_3genE8ELNS1_11target_archE1030ELNS1_3gpuE2ELNS1_3repE0EEENS1_30default_config_static_selectorELNS0_4arch9wavefront6targetE1EEEvS12_.has_indirect_call, 0
	.section	.AMDGPU.csdata,"",@progbits
; Kernel info:
; codeLenInByte = 0
; TotalNumSgprs: 4
; NumVgprs: 0
; ScratchSize: 0
; MemoryBound: 0
; FloatMode: 240
; IeeeMode: 1
; LDSByteSize: 0 bytes/workgroup (compile time only)
; SGPRBlocks: 0
; VGPRBlocks: 0
; NumSGPRsForWavesPerEU: 4
; NumVGPRsForWavesPerEU: 1
; Occupancy: 10
; WaveLimiterHint : 0
; COMPUTE_PGM_RSRC2:SCRATCH_EN: 0
; COMPUTE_PGM_RSRC2:USER_SGPR: 6
; COMPUTE_PGM_RSRC2:TRAP_HANDLER: 0
; COMPUTE_PGM_RSRC2:TGID_X_EN: 1
; COMPUTE_PGM_RSRC2:TGID_Y_EN: 0
; COMPUTE_PGM_RSRC2:TGID_Z_EN: 0
; COMPUTE_PGM_RSRC2:TIDIG_COMP_CNT: 0
	.section	.text._ZN7rocprim17ROCPRIM_400000_NS6detail17trampoline_kernelINS0_14default_configENS1_25transform_config_selectorImLb1EEEZNS1_14transform_implILb1ES3_S5_PmPjNS0_8identityIvEEEE10hipError_tT2_T3_mT4_P12ihipStream_tbEUlT_E_NS1_11comp_targetILNS1_3genE0ELNS1_11target_archE4294967295ELNS1_3gpuE0ELNS1_3repE0EEENS1_30default_config_static_selectorELNS0_4arch9wavefront6targetE1EEEvT1_,"axG",@progbits,_ZN7rocprim17ROCPRIM_400000_NS6detail17trampoline_kernelINS0_14default_configENS1_25transform_config_selectorImLb1EEEZNS1_14transform_implILb1ES3_S5_PmPjNS0_8identityIvEEEE10hipError_tT2_T3_mT4_P12ihipStream_tbEUlT_E_NS1_11comp_targetILNS1_3genE0ELNS1_11target_archE4294967295ELNS1_3gpuE0ELNS1_3repE0EEENS1_30default_config_static_selectorELNS0_4arch9wavefront6targetE1EEEvT1_,comdat
	.protected	_ZN7rocprim17ROCPRIM_400000_NS6detail17trampoline_kernelINS0_14default_configENS1_25transform_config_selectorImLb1EEEZNS1_14transform_implILb1ES3_S5_PmPjNS0_8identityIvEEEE10hipError_tT2_T3_mT4_P12ihipStream_tbEUlT_E_NS1_11comp_targetILNS1_3genE0ELNS1_11target_archE4294967295ELNS1_3gpuE0ELNS1_3repE0EEENS1_30default_config_static_selectorELNS0_4arch9wavefront6targetE1EEEvT1_ ; -- Begin function _ZN7rocprim17ROCPRIM_400000_NS6detail17trampoline_kernelINS0_14default_configENS1_25transform_config_selectorImLb1EEEZNS1_14transform_implILb1ES3_S5_PmPjNS0_8identityIvEEEE10hipError_tT2_T3_mT4_P12ihipStream_tbEUlT_E_NS1_11comp_targetILNS1_3genE0ELNS1_11target_archE4294967295ELNS1_3gpuE0ELNS1_3repE0EEENS1_30default_config_static_selectorELNS0_4arch9wavefront6targetE1EEEvT1_
	.globl	_ZN7rocprim17ROCPRIM_400000_NS6detail17trampoline_kernelINS0_14default_configENS1_25transform_config_selectorImLb1EEEZNS1_14transform_implILb1ES3_S5_PmPjNS0_8identityIvEEEE10hipError_tT2_T3_mT4_P12ihipStream_tbEUlT_E_NS1_11comp_targetILNS1_3genE0ELNS1_11target_archE4294967295ELNS1_3gpuE0ELNS1_3repE0EEENS1_30default_config_static_selectorELNS0_4arch9wavefront6targetE1EEEvT1_
	.p2align	8
	.type	_ZN7rocprim17ROCPRIM_400000_NS6detail17trampoline_kernelINS0_14default_configENS1_25transform_config_selectorImLb1EEEZNS1_14transform_implILb1ES3_S5_PmPjNS0_8identityIvEEEE10hipError_tT2_T3_mT4_P12ihipStream_tbEUlT_E_NS1_11comp_targetILNS1_3genE0ELNS1_11target_archE4294967295ELNS1_3gpuE0ELNS1_3repE0EEENS1_30default_config_static_selectorELNS0_4arch9wavefront6targetE1EEEvT1_,@function
_ZN7rocprim17ROCPRIM_400000_NS6detail17trampoline_kernelINS0_14default_configENS1_25transform_config_selectorImLb1EEEZNS1_14transform_implILb1ES3_S5_PmPjNS0_8identityIvEEEE10hipError_tT2_T3_mT4_P12ihipStream_tbEUlT_E_NS1_11comp_targetILNS1_3genE0ELNS1_11target_archE4294967295ELNS1_3gpuE0ELNS1_3repE0EEENS1_30default_config_static_selectorELNS0_4arch9wavefront6targetE1EEEvT1_: ; @_ZN7rocprim17ROCPRIM_400000_NS6detail17trampoline_kernelINS0_14default_configENS1_25transform_config_selectorImLb1EEEZNS1_14transform_implILb1ES3_S5_PmPjNS0_8identityIvEEEE10hipError_tT2_T3_mT4_P12ihipStream_tbEUlT_E_NS1_11comp_targetILNS1_3genE0ELNS1_11target_archE4294967295ELNS1_3gpuE0ELNS1_3repE0EEENS1_30default_config_static_selectorELNS0_4arch9wavefront6targetE1EEEvT1_
; %bb.0:
	.section	.rodata,"a",@progbits
	.p2align	6, 0x0
	.amdhsa_kernel _ZN7rocprim17ROCPRIM_400000_NS6detail17trampoline_kernelINS0_14default_configENS1_25transform_config_selectorImLb1EEEZNS1_14transform_implILb1ES3_S5_PmPjNS0_8identityIvEEEE10hipError_tT2_T3_mT4_P12ihipStream_tbEUlT_E_NS1_11comp_targetILNS1_3genE0ELNS1_11target_archE4294967295ELNS1_3gpuE0ELNS1_3repE0EEENS1_30default_config_static_selectorELNS0_4arch9wavefront6targetE1EEEvT1_
		.amdhsa_group_segment_fixed_size 0
		.amdhsa_private_segment_fixed_size 0
		.amdhsa_kernarg_size 40
		.amdhsa_user_sgpr_count 6
		.amdhsa_user_sgpr_private_segment_buffer 1
		.amdhsa_user_sgpr_dispatch_ptr 0
		.amdhsa_user_sgpr_queue_ptr 0
		.amdhsa_user_sgpr_kernarg_segment_ptr 1
		.amdhsa_user_sgpr_dispatch_id 0
		.amdhsa_user_sgpr_flat_scratch_init 0
		.amdhsa_user_sgpr_private_segment_size 0
		.amdhsa_uses_dynamic_stack 0
		.amdhsa_system_sgpr_private_segment_wavefront_offset 0
		.amdhsa_system_sgpr_workgroup_id_x 1
		.amdhsa_system_sgpr_workgroup_id_y 0
		.amdhsa_system_sgpr_workgroup_id_z 0
		.amdhsa_system_sgpr_workgroup_info 0
		.amdhsa_system_vgpr_workitem_id 0
		.amdhsa_next_free_vgpr 1
		.amdhsa_next_free_sgpr 0
		.amdhsa_reserve_vcc 0
		.amdhsa_reserve_flat_scratch 0
		.amdhsa_float_round_mode_32 0
		.amdhsa_float_round_mode_16_64 0
		.amdhsa_float_denorm_mode_32 3
		.amdhsa_float_denorm_mode_16_64 3
		.amdhsa_dx10_clamp 1
		.amdhsa_ieee_mode 1
		.amdhsa_fp16_overflow 0
		.amdhsa_exception_fp_ieee_invalid_op 0
		.amdhsa_exception_fp_denorm_src 0
		.amdhsa_exception_fp_ieee_div_zero 0
		.amdhsa_exception_fp_ieee_overflow 0
		.amdhsa_exception_fp_ieee_underflow 0
		.amdhsa_exception_fp_ieee_inexact 0
		.amdhsa_exception_int_div_zero 0
	.end_amdhsa_kernel
	.section	.text._ZN7rocprim17ROCPRIM_400000_NS6detail17trampoline_kernelINS0_14default_configENS1_25transform_config_selectorImLb1EEEZNS1_14transform_implILb1ES3_S5_PmPjNS0_8identityIvEEEE10hipError_tT2_T3_mT4_P12ihipStream_tbEUlT_E_NS1_11comp_targetILNS1_3genE0ELNS1_11target_archE4294967295ELNS1_3gpuE0ELNS1_3repE0EEENS1_30default_config_static_selectorELNS0_4arch9wavefront6targetE1EEEvT1_,"axG",@progbits,_ZN7rocprim17ROCPRIM_400000_NS6detail17trampoline_kernelINS0_14default_configENS1_25transform_config_selectorImLb1EEEZNS1_14transform_implILb1ES3_S5_PmPjNS0_8identityIvEEEE10hipError_tT2_T3_mT4_P12ihipStream_tbEUlT_E_NS1_11comp_targetILNS1_3genE0ELNS1_11target_archE4294967295ELNS1_3gpuE0ELNS1_3repE0EEENS1_30default_config_static_selectorELNS0_4arch9wavefront6targetE1EEEvT1_,comdat
.Lfunc_end12:
	.size	_ZN7rocprim17ROCPRIM_400000_NS6detail17trampoline_kernelINS0_14default_configENS1_25transform_config_selectorImLb1EEEZNS1_14transform_implILb1ES3_S5_PmPjNS0_8identityIvEEEE10hipError_tT2_T3_mT4_P12ihipStream_tbEUlT_E_NS1_11comp_targetILNS1_3genE0ELNS1_11target_archE4294967295ELNS1_3gpuE0ELNS1_3repE0EEENS1_30default_config_static_selectorELNS0_4arch9wavefront6targetE1EEEvT1_, .Lfunc_end12-_ZN7rocprim17ROCPRIM_400000_NS6detail17trampoline_kernelINS0_14default_configENS1_25transform_config_selectorImLb1EEEZNS1_14transform_implILb1ES3_S5_PmPjNS0_8identityIvEEEE10hipError_tT2_T3_mT4_P12ihipStream_tbEUlT_E_NS1_11comp_targetILNS1_3genE0ELNS1_11target_archE4294967295ELNS1_3gpuE0ELNS1_3repE0EEENS1_30default_config_static_selectorELNS0_4arch9wavefront6targetE1EEEvT1_
                                        ; -- End function
	.set _ZN7rocprim17ROCPRIM_400000_NS6detail17trampoline_kernelINS0_14default_configENS1_25transform_config_selectorImLb1EEEZNS1_14transform_implILb1ES3_S5_PmPjNS0_8identityIvEEEE10hipError_tT2_T3_mT4_P12ihipStream_tbEUlT_E_NS1_11comp_targetILNS1_3genE0ELNS1_11target_archE4294967295ELNS1_3gpuE0ELNS1_3repE0EEENS1_30default_config_static_selectorELNS0_4arch9wavefront6targetE1EEEvT1_.num_vgpr, 0
	.set _ZN7rocprim17ROCPRIM_400000_NS6detail17trampoline_kernelINS0_14default_configENS1_25transform_config_selectorImLb1EEEZNS1_14transform_implILb1ES3_S5_PmPjNS0_8identityIvEEEE10hipError_tT2_T3_mT4_P12ihipStream_tbEUlT_E_NS1_11comp_targetILNS1_3genE0ELNS1_11target_archE4294967295ELNS1_3gpuE0ELNS1_3repE0EEENS1_30default_config_static_selectorELNS0_4arch9wavefront6targetE1EEEvT1_.num_agpr, 0
	.set _ZN7rocprim17ROCPRIM_400000_NS6detail17trampoline_kernelINS0_14default_configENS1_25transform_config_selectorImLb1EEEZNS1_14transform_implILb1ES3_S5_PmPjNS0_8identityIvEEEE10hipError_tT2_T3_mT4_P12ihipStream_tbEUlT_E_NS1_11comp_targetILNS1_3genE0ELNS1_11target_archE4294967295ELNS1_3gpuE0ELNS1_3repE0EEENS1_30default_config_static_selectorELNS0_4arch9wavefront6targetE1EEEvT1_.numbered_sgpr, 0
	.set _ZN7rocprim17ROCPRIM_400000_NS6detail17trampoline_kernelINS0_14default_configENS1_25transform_config_selectorImLb1EEEZNS1_14transform_implILb1ES3_S5_PmPjNS0_8identityIvEEEE10hipError_tT2_T3_mT4_P12ihipStream_tbEUlT_E_NS1_11comp_targetILNS1_3genE0ELNS1_11target_archE4294967295ELNS1_3gpuE0ELNS1_3repE0EEENS1_30default_config_static_selectorELNS0_4arch9wavefront6targetE1EEEvT1_.num_named_barrier, 0
	.set _ZN7rocprim17ROCPRIM_400000_NS6detail17trampoline_kernelINS0_14default_configENS1_25transform_config_selectorImLb1EEEZNS1_14transform_implILb1ES3_S5_PmPjNS0_8identityIvEEEE10hipError_tT2_T3_mT4_P12ihipStream_tbEUlT_E_NS1_11comp_targetILNS1_3genE0ELNS1_11target_archE4294967295ELNS1_3gpuE0ELNS1_3repE0EEENS1_30default_config_static_selectorELNS0_4arch9wavefront6targetE1EEEvT1_.private_seg_size, 0
	.set _ZN7rocprim17ROCPRIM_400000_NS6detail17trampoline_kernelINS0_14default_configENS1_25transform_config_selectorImLb1EEEZNS1_14transform_implILb1ES3_S5_PmPjNS0_8identityIvEEEE10hipError_tT2_T3_mT4_P12ihipStream_tbEUlT_E_NS1_11comp_targetILNS1_3genE0ELNS1_11target_archE4294967295ELNS1_3gpuE0ELNS1_3repE0EEENS1_30default_config_static_selectorELNS0_4arch9wavefront6targetE1EEEvT1_.uses_vcc, 0
	.set _ZN7rocprim17ROCPRIM_400000_NS6detail17trampoline_kernelINS0_14default_configENS1_25transform_config_selectorImLb1EEEZNS1_14transform_implILb1ES3_S5_PmPjNS0_8identityIvEEEE10hipError_tT2_T3_mT4_P12ihipStream_tbEUlT_E_NS1_11comp_targetILNS1_3genE0ELNS1_11target_archE4294967295ELNS1_3gpuE0ELNS1_3repE0EEENS1_30default_config_static_selectorELNS0_4arch9wavefront6targetE1EEEvT1_.uses_flat_scratch, 0
	.set _ZN7rocprim17ROCPRIM_400000_NS6detail17trampoline_kernelINS0_14default_configENS1_25transform_config_selectorImLb1EEEZNS1_14transform_implILb1ES3_S5_PmPjNS0_8identityIvEEEE10hipError_tT2_T3_mT4_P12ihipStream_tbEUlT_E_NS1_11comp_targetILNS1_3genE0ELNS1_11target_archE4294967295ELNS1_3gpuE0ELNS1_3repE0EEENS1_30default_config_static_selectorELNS0_4arch9wavefront6targetE1EEEvT1_.has_dyn_sized_stack, 0
	.set _ZN7rocprim17ROCPRIM_400000_NS6detail17trampoline_kernelINS0_14default_configENS1_25transform_config_selectorImLb1EEEZNS1_14transform_implILb1ES3_S5_PmPjNS0_8identityIvEEEE10hipError_tT2_T3_mT4_P12ihipStream_tbEUlT_E_NS1_11comp_targetILNS1_3genE0ELNS1_11target_archE4294967295ELNS1_3gpuE0ELNS1_3repE0EEENS1_30default_config_static_selectorELNS0_4arch9wavefront6targetE1EEEvT1_.has_recursion, 0
	.set _ZN7rocprim17ROCPRIM_400000_NS6detail17trampoline_kernelINS0_14default_configENS1_25transform_config_selectorImLb1EEEZNS1_14transform_implILb1ES3_S5_PmPjNS0_8identityIvEEEE10hipError_tT2_T3_mT4_P12ihipStream_tbEUlT_E_NS1_11comp_targetILNS1_3genE0ELNS1_11target_archE4294967295ELNS1_3gpuE0ELNS1_3repE0EEENS1_30default_config_static_selectorELNS0_4arch9wavefront6targetE1EEEvT1_.has_indirect_call, 0
	.section	.AMDGPU.csdata,"",@progbits
; Kernel info:
; codeLenInByte = 0
; TotalNumSgprs: 4
; NumVgprs: 0
; ScratchSize: 0
; MemoryBound: 0
; FloatMode: 240
; IeeeMode: 1
; LDSByteSize: 0 bytes/workgroup (compile time only)
; SGPRBlocks: 0
; VGPRBlocks: 0
; NumSGPRsForWavesPerEU: 4
; NumVGPRsForWavesPerEU: 1
; Occupancy: 10
; WaveLimiterHint : 0
; COMPUTE_PGM_RSRC2:SCRATCH_EN: 0
; COMPUTE_PGM_RSRC2:USER_SGPR: 6
; COMPUTE_PGM_RSRC2:TRAP_HANDLER: 0
; COMPUTE_PGM_RSRC2:TGID_X_EN: 1
; COMPUTE_PGM_RSRC2:TGID_Y_EN: 0
; COMPUTE_PGM_RSRC2:TGID_Z_EN: 0
; COMPUTE_PGM_RSRC2:TIDIG_COMP_CNT: 0
	.section	.text._ZN7rocprim17ROCPRIM_400000_NS6detail17trampoline_kernelINS0_14default_configENS1_25transform_config_selectorImLb1EEEZNS1_14transform_implILb1ES3_S5_PmPjNS0_8identityIvEEEE10hipError_tT2_T3_mT4_P12ihipStream_tbEUlT_E_NS1_11comp_targetILNS1_3genE10ELNS1_11target_archE1201ELNS1_3gpuE5ELNS1_3repE0EEENS1_30default_config_static_selectorELNS0_4arch9wavefront6targetE1EEEvT1_,"axG",@progbits,_ZN7rocprim17ROCPRIM_400000_NS6detail17trampoline_kernelINS0_14default_configENS1_25transform_config_selectorImLb1EEEZNS1_14transform_implILb1ES3_S5_PmPjNS0_8identityIvEEEE10hipError_tT2_T3_mT4_P12ihipStream_tbEUlT_E_NS1_11comp_targetILNS1_3genE10ELNS1_11target_archE1201ELNS1_3gpuE5ELNS1_3repE0EEENS1_30default_config_static_selectorELNS0_4arch9wavefront6targetE1EEEvT1_,comdat
	.protected	_ZN7rocprim17ROCPRIM_400000_NS6detail17trampoline_kernelINS0_14default_configENS1_25transform_config_selectorImLb1EEEZNS1_14transform_implILb1ES3_S5_PmPjNS0_8identityIvEEEE10hipError_tT2_T3_mT4_P12ihipStream_tbEUlT_E_NS1_11comp_targetILNS1_3genE10ELNS1_11target_archE1201ELNS1_3gpuE5ELNS1_3repE0EEENS1_30default_config_static_selectorELNS0_4arch9wavefront6targetE1EEEvT1_ ; -- Begin function _ZN7rocprim17ROCPRIM_400000_NS6detail17trampoline_kernelINS0_14default_configENS1_25transform_config_selectorImLb1EEEZNS1_14transform_implILb1ES3_S5_PmPjNS0_8identityIvEEEE10hipError_tT2_T3_mT4_P12ihipStream_tbEUlT_E_NS1_11comp_targetILNS1_3genE10ELNS1_11target_archE1201ELNS1_3gpuE5ELNS1_3repE0EEENS1_30default_config_static_selectorELNS0_4arch9wavefront6targetE1EEEvT1_
	.globl	_ZN7rocprim17ROCPRIM_400000_NS6detail17trampoline_kernelINS0_14default_configENS1_25transform_config_selectorImLb1EEEZNS1_14transform_implILb1ES3_S5_PmPjNS0_8identityIvEEEE10hipError_tT2_T3_mT4_P12ihipStream_tbEUlT_E_NS1_11comp_targetILNS1_3genE10ELNS1_11target_archE1201ELNS1_3gpuE5ELNS1_3repE0EEENS1_30default_config_static_selectorELNS0_4arch9wavefront6targetE1EEEvT1_
	.p2align	8
	.type	_ZN7rocprim17ROCPRIM_400000_NS6detail17trampoline_kernelINS0_14default_configENS1_25transform_config_selectorImLb1EEEZNS1_14transform_implILb1ES3_S5_PmPjNS0_8identityIvEEEE10hipError_tT2_T3_mT4_P12ihipStream_tbEUlT_E_NS1_11comp_targetILNS1_3genE10ELNS1_11target_archE1201ELNS1_3gpuE5ELNS1_3repE0EEENS1_30default_config_static_selectorELNS0_4arch9wavefront6targetE1EEEvT1_,@function
_ZN7rocprim17ROCPRIM_400000_NS6detail17trampoline_kernelINS0_14default_configENS1_25transform_config_selectorImLb1EEEZNS1_14transform_implILb1ES3_S5_PmPjNS0_8identityIvEEEE10hipError_tT2_T3_mT4_P12ihipStream_tbEUlT_E_NS1_11comp_targetILNS1_3genE10ELNS1_11target_archE1201ELNS1_3gpuE5ELNS1_3repE0EEENS1_30default_config_static_selectorELNS0_4arch9wavefront6targetE1EEEvT1_: ; @_ZN7rocprim17ROCPRIM_400000_NS6detail17trampoline_kernelINS0_14default_configENS1_25transform_config_selectorImLb1EEEZNS1_14transform_implILb1ES3_S5_PmPjNS0_8identityIvEEEE10hipError_tT2_T3_mT4_P12ihipStream_tbEUlT_E_NS1_11comp_targetILNS1_3genE10ELNS1_11target_archE1201ELNS1_3gpuE5ELNS1_3repE0EEENS1_30default_config_static_selectorELNS0_4arch9wavefront6targetE1EEEvT1_
; %bb.0:
	.section	.rodata,"a",@progbits
	.p2align	6, 0x0
	.amdhsa_kernel _ZN7rocprim17ROCPRIM_400000_NS6detail17trampoline_kernelINS0_14default_configENS1_25transform_config_selectorImLb1EEEZNS1_14transform_implILb1ES3_S5_PmPjNS0_8identityIvEEEE10hipError_tT2_T3_mT4_P12ihipStream_tbEUlT_E_NS1_11comp_targetILNS1_3genE10ELNS1_11target_archE1201ELNS1_3gpuE5ELNS1_3repE0EEENS1_30default_config_static_selectorELNS0_4arch9wavefront6targetE1EEEvT1_
		.amdhsa_group_segment_fixed_size 0
		.amdhsa_private_segment_fixed_size 0
		.amdhsa_kernarg_size 40
		.amdhsa_user_sgpr_count 6
		.amdhsa_user_sgpr_private_segment_buffer 1
		.amdhsa_user_sgpr_dispatch_ptr 0
		.amdhsa_user_sgpr_queue_ptr 0
		.amdhsa_user_sgpr_kernarg_segment_ptr 1
		.amdhsa_user_sgpr_dispatch_id 0
		.amdhsa_user_sgpr_flat_scratch_init 0
		.amdhsa_user_sgpr_private_segment_size 0
		.amdhsa_uses_dynamic_stack 0
		.amdhsa_system_sgpr_private_segment_wavefront_offset 0
		.amdhsa_system_sgpr_workgroup_id_x 1
		.amdhsa_system_sgpr_workgroup_id_y 0
		.amdhsa_system_sgpr_workgroup_id_z 0
		.amdhsa_system_sgpr_workgroup_info 0
		.amdhsa_system_vgpr_workitem_id 0
		.amdhsa_next_free_vgpr 1
		.amdhsa_next_free_sgpr 0
		.amdhsa_reserve_vcc 0
		.amdhsa_reserve_flat_scratch 0
		.amdhsa_float_round_mode_32 0
		.amdhsa_float_round_mode_16_64 0
		.amdhsa_float_denorm_mode_32 3
		.amdhsa_float_denorm_mode_16_64 3
		.amdhsa_dx10_clamp 1
		.amdhsa_ieee_mode 1
		.amdhsa_fp16_overflow 0
		.amdhsa_exception_fp_ieee_invalid_op 0
		.amdhsa_exception_fp_denorm_src 0
		.amdhsa_exception_fp_ieee_div_zero 0
		.amdhsa_exception_fp_ieee_overflow 0
		.amdhsa_exception_fp_ieee_underflow 0
		.amdhsa_exception_fp_ieee_inexact 0
		.amdhsa_exception_int_div_zero 0
	.end_amdhsa_kernel
	.section	.text._ZN7rocprim17ROCPRIM_400000_NS6detail17trampoline_kernelINS0_14default_configENS1_25transform_config_selectorImLb1EEEZNS1_14transform_implILb1ES3_S5_PmPjNS0_8identityIvEEEE10hipError_tT2_T3_mT4_P12ihipStream_tbEUlT_E_NS1_11comp_targetILNS1_3genE10ELNS1_11target_archE1201ELNS1_3gpuE5ELNS1_3repE0EEENS1_30default_config_static_selectorELNS0_4arch9wavefront6targetE1EEEvT1_,"axG",@progbits,_ZN7rocprim17ROCPRIM_400000_NS6detail17trampoline_kernelINS0_14default_configENS1_25transform_config_selectorImLb1EEEZNS1_14transform_implILb1ES3_S5_PmPjNS0_8identityIvEEEE10hipError_tT2_T3_mT4_P12ihipStream_tbEUlT_E_NS1_11comp_targetILNS1_3genE10ELNS1_11target_archE1201ELNS1_3gpuE5ELNS1_3repE0EEENS1_30default_config_static_selectorELNS0_4arch9wavefront6targetE1EEEvT1_,comdat
.Lfunc_end13:
	.size	_ZN7rocprim17ROCPRIM_400000_NS6detail17trampoline_kernelINS0_14default_configENS1_25transform_config_selectorImLb1EEEZNS1_14transform_implILb1ES3_S5_PmPjNS0_8identityIvEEEE10hipError_tT2_T3_mT4_P12ihipStream_tbEUlT_E_NS1_11comp_targetILNS1_3genE10ELNS1_11target_archE1201ELNS1_3gpuE5ELNS1_3repE0EEENS1_30default_config_static_selectorELNS0_4arch9wavefront6targetE1EEEvT1_, .Lfunc_end13-_ZN7rocprim17ROCPRIM_400000_NS6detail17trampoline_kernelINS0_14default_configENS1_25transform_config_selectorImLb1EEEZNS1_14transform_implILb1ES3_S5_PmPjNS0_8identityIvEEEE10hipError_tT2_T3_mT4_P12ihipStream_tbEUlT_E_NS1_11comp_targetILNS1_3genE10ELNS1_11target_archE1201ELNS1_3gpuE5ELNS1_3repE0EEENS1_30default_config_static_selectorELNS0_4arch9wavefront6targetE1EEEvT1_
                                        ; -- End function
	.set _ZN7rocprim17ROCPRIM_400000_NS6detail17trampoline_kernelINS0_14default_configENS1_25transform_config_selectorImLb1EEEZNS1_14transform_implILb1ES3_S5_PmPjNS0_8identityIvEEEE10hipError_tT2_T3_mT4_P12ihipStream_tbEUlT_E_NS1_11comp_targetILNS1_3genE10ELNS1_11target_archE1201ELNS1_3gpuE5ELNS1_3repE0EEENS1_30default_config_static_selectorELNS0_4arch9wavefront6targetE1EEEvT1_.num_vgpr, 0
	.set _ZN7rocprim17ROCPRIM_400000_NS6detail17trampoline_kernelINS0_14default_configENS1_25transform_config_selectorImLb1EEEZNS1_14transform_implILb1ES3_S5_PmPjNS0_8identityIvEEEE10hipError_tT2_T3_mT4_P12ihipStream_tbEUlT_E_NS1_11comp_targetILNS1_3genE10ELNS1_11target_archE1201ELNS1_3gpuE5ELNS1_3repE0EEENS1_30default_config_static_selectorELNS0_4arch9wavefront6targetE1EEEvT1_.num_agpr, 0
	.set _ZN7rocprim17ROCPRIM_400000_NS6detail17trampoline_kernelINS0_14default_configENS1_25transform_config_selectorImLb1EEEZNS1_14transform_implILb1ES3_S5_PmPjNS0_8identityIvEEEE10hipError_tT2_T3_mT4_P12ihipStream_tbEUlT_E_NS1_11comp_targetILNS1_3genE10ELNS1_11target_archE1201ELNS1_3gpuE5ELNS1_3repE0EEENS1_30default_config_static_selectorELNS0_4arch9wavefront6targetE1EEEvT1_.numbered_sgpr, 0
	.set _ZN7rocprim17ROCPRIM_400000_NS6detail17trampoline_kernelINS0_14default_configENS1_25transform_config_selectorImLb1EEEZNS1_14transform_implILb1ES3_S5_PmPjNS0_8identityIvEEEE10hipError_tT2_T3_mT4_P12ihipStream_tbEUlT_E_NS1_11comp_targetILNS1_3genE10ELNS1_11target_archE1201ELNS1_3gpuE5ELNS1_3repE0EEENS1_30default_config_static_selectorELNS0_4arch9wavefront6targetE1EEEvT1_.num_named_barrier, 0
	.set _ZN7rocprim17ROCPRIM_400000_NS6detail17trampoline_kernelINS0_14default_configENS1_25transform_config_selectorImLb1EEEZNS1_14transform_implILb1ES3_S5_PmPjNS0_8identityIvEEEE10hipError_tT2_T3_mT4_P12ihipStream_tbEUlT_E_NS1_11comp_targetILNS1_3genE10ELNS1_11target_archE1201ELNS1_3gpuE5ELNS1_3repE0EEENS1_30default_config_static_selectorELNS0_4arch9wavefront6targetE1EEEvT1_.private_seg_size, 0
	.set _ZN7rocprim17ROCPRIM_400000_NS6detail17trampoline_kernelINS0_14default_configENS1_25transform_config_selectorImLb1EEEZNS1_14transform_implILb1ES3_S5_PmPjNS0_8identityIvEEEE10hipError_tT2_T3_mT4_P12ihipStream_tbEUlT_E_NS1_11comp_targetILNS1_3genE10ELNS1_11target_archE1201ELNS1_3gpuE5ELNS1_3repE0EEENS1_30default_config_static_selectorELNS0_4arch9wavefront6targetE1EEEvT1_.uses_vcc, 0
	.set _ZN7rocprim17ROCPRIM_400000_NS6detail17trampoline_kernelINS0_14default_configENS1_25transform_config_selectorImLb1EEEZNS1_14transform_implILb1ES3_S5_PmPjNS0_8identityIvEEEE10hipError_tT2_T3_mT4_P12ihipStream_tbEUlT_E_NS1_11comp_targetILNS1_3genE10ELNS1_11target_archE1201ELNS1_3gpuE5ELNS1_3repE0EEENS1_30default_config_static_selectorELNS0_4arch9wavefront6targetE1EEEvT1_.uses_flat_scratch, 0
	.set _ZN7rocprim17ROCPRIM_400000_NS6detail17trampoline_kernelINS0_14default_configENS1_25transform_config_selectorImLb1EEEZNS1_14transform_implILb1ES3_S5_PmPjNS0_8identityIvEEEE10hipError_tT2_T3_mT4_P12ihipStream_tbEUlT_E_NS1_11comp_targetILNS1_3genE10ELNS1_11target_archE1201ELNS1_3gpuE5ELNS1_3repE0EEENS1_30default_config_static_selectorELNS0_4arch9wavefront6targetE1EEEvT1_.has_dyn_sized_stack, 0
	.set _ZN7rocprim17ROCPRIM_400000_NS6detail17trampoline_kernelINS0_14default_configENS1_25transform_config_selectorImLb1EEEZNS1_14transform_implILb1ES3_S5_PmPjNS0_8identityIvEEEE10hipError_tT2_T3_mT4_P12ihipStream_tbEUlT_E_NS1_11comp_targetILNS1_3genE10ELNS1_11target_archE1201ELNS1_3gpuE5ELNS1_3repE0EEENS1_30default_config_static_selectorELNS0_4arch9wavefront6targetE1EEEvT1_.has_recursion, 0
	.set _ZN7rocprim17ROCPRIM_400000_NS6detail17trampoline_kernelINS0_14default_configENS1_25transform_config_selectorImLb1EEEZNS1_14transform_implILb1ES3_S5_PmPjNS0_8identityIvEEEE10hipError_tT2_T3_mT4_P12ihipStream_tbEUlT_E_NS1_11comp_targetILNS1_3genE10ELNS1_11target_archE1201ELNS1_3gpuE5ELNS1_3repE0EEENS1_30default_config_static_selectorELNS0_4arch9wavefront6targetE1EEEvT1_.has_indirect_call, 0
	.section	.AMDGPU.csdata,"",@progbits
; Kernel info:
; codeLenInByte = 0
; TotalNumSgprs: 4
; NumVgprs: 0
; ScratchSize: 0
; MemoryBound: 0
; FloatMode: 240
; IeeeMode: 1
; LDSByteSize: 0 bytes/workgroup (compile time only)
; SGPRBlocks: 0
; VGPRBlocks: 0
; NumSGPRsForWavesPerEU: 4
; NumVGPRsForWavesPerEU: 1
; Occupancy: 10
; WaveLimiterHint : 0
; COMPUTE_PGM_RSRC2:SCRATCH_EN: 0
; COMPUTE_PGM_RSRC2:USER_SGPR: 6
; COMPUTE_PGM_RSRC2:TRAP_HANDLER: 0
; COMPUTE_PGM_RSRC2:TGID_X_EN: 1
; COMPUTE_PGM_RSRC2:TGID_Y_EN: 0
; COMPUTE_PGM_RSRC2:TGID_Z_EN: 0
; COMPUTE_PGM_RSRC2:TIDIG_COMP_CNT: 0
	.section	.text._ZN7rocprim17ROCPRIM_400000_NS6detail17trampoline_kernelINS0_14default_configENS1_25transform_config_selectorImLb1EEEZNS1_14transform_implILb1ES3_S5_PmPjNS0_8identityIvEEEE10hipError_tT2_T3_mT4_P12ihipStream_tbEUlT_E_NS1_11comp_targetILNS1_3genE5ELNS1_11target_archE942ELNS1_3gpuE9ELNS1_3repE0EEENS1_30default_config_static_selectorELNS0_4arch9wavefront6targetE1EEEvT1_,"axG",@progbits,_ZN7rocprim17ROCPRIM_400000_NS6detail17trampoline_kernelINS0_14default_configENS1_25transform_config_selectorImLb1EEEZNS1_14transform_implILb1ES3_S5_PmPjNS0_8identityIvEEEE10hipError_tT2_T3_mT4_P12ihipStream_tbEUlT_E_NS1_11comp_targetILNS1_3genE5ELNS1_11target_archE942ELNS1_3gpuE9ELNS1_3repE0EEENS1_30default_config_static_selectorELNS0_4arch9wavefront6targetE1EEEvT1_,comdat
	.protected	_ZN7rocprim17ROCPRIM_400000_NS6detail17trampoline_kernelINS0_14default_configENS1_25transform_config_selectorImLb1EEEZNS1_14transform_implILb1ES3_S5_PmPjNS0_8identityIvEEEE10hipError_tT2_T3_mT4_P12ihipStream_tbEUlT_E_NS1_11comp_targetILNS1_3genE5ELNS1_11target_archE942ELNS1_3gpuE9ELNS1_3repE0EEENS1_30default_config_static_selectorELNS0_4arch9wavefront6targetE1EEEvT1_ ; -- Begin function _ZN7rocprim17ROCPRIM_400000_NS6detail17trampoline_kernelINS0_14default_configENS1_25transform_config_selectorImLb1EEEZNS1_14transform_implILb1ES3_S5_PmPjNS0_8identityIvEEEE10hipError_tT2_T3_mT4_P12ihipStream_tbEUlT_E_NS1_11comp_targetILNS1_3genE5ELNS1_11target_archE942ELNS1_3gpuE9ELNS1_3repE0EEENS1_30default_config_static_selectorELNS0_4arch9wavefront6targetE1EEEvT1_
	.globl	_ZN7rocprim17ROCPRIM_400000_NS6detail17trampoline_kernelINS0_14default_configENS1_25transform_config_selectorImLb1EEEZNS1_14transform_implILb1ES3_S5_PmPjNS0_8identityIvEEEE10hipError_tT2_T3_mT4_P12ihipStream_tbEUlT_E_NS1_11comp_targetILNS1_3genE5ELNS1_11target_archE942ELNS1_3gpuE9ELNS1_3repE0EEENS1_30default_config_static_selectorELNS0_4arch9wavefront6targetE1EEEvT1_
	.p2align	8
	.type	_ZN7rocprim17ROCPRIM_400000_NS6detail17trampoline_kernelINS0_14default_configENS1_25transform_config_selectorImLb1EEEZNS1_14transform_implILb1ES3_S5_PmPjNS0_8identityIvEEEE10hipError_tT2_T3_mT4_P12ihipStream_tbEUlT_E_NS1_11comp_targetILNS1_3genE5ELNS1_11target_archE942ELNS1_3gpuE9ELNS1_3repE0EEENS1_30default_config_static_selectorELNS0_4arch9wavefront6targetE1EEEvT1_,@function
_ZN7rocprim17ROCPRIM_400000_NS6detail17trampoline_kernelINS0_14default_configENS1_25transform_config_selectorImLb1EEEZNS1_14transform_implILb1ES3_S5_PmPjNS0_8identityIvEEEE10hipError_tT2_T3_mT4_P12ihipStream_tbEUlT_E_NS1_11comp_targetILNS1_3genE5ELNS1_11target_archE942ELNS1_3gpuE9ELNS1_3repE0EEENS1_30default_config_static_selectorELNS0_4arch9wavefront6targetE1EEEvT1_: ; @_ZN7rocprim17ROCPRIM_400000_NS6detail17trampoline_kernelINS0_14default_configENS1_25transform_config_selectorImLb1EEEZNS1_14transform_implILb1ES3_S5_PmPjNS0_8identityIvEEEE10hipError_tT2_T3_mT4_P12ihipStream_tbEUlT_E_NS1_11comp_targetILNS1_3genE5ELNS1_11target_archE942ELNS1_3gpuE9ELNS1_3repE0EEENS1_30default_config_static_selectorELNS0_4arch9wavefront6targetE1EEEvT1_
; %bb.0:
	.section	.rodata,"a",@progbits
	.p2align	6, 0x0
	.amdhsa_kernel _ZN7rocprim17ROCPRIM_400000_NS6detail17trampoline_kernelINS0_14default_configENS1_25transform_config_selectorImLb1EEEZNS1_14transform_implILb1ES3_S5_PmPjNS0_8identityIvEEEE10hipError_tT2_T3_mT4_P12ihipStream_tbEUlT_E_NS1_11comp_targetILNS1_3genE5ELNS1_11target_archE942ELNS1_3gpuE9ELNS1_3repE0EEENS1_30default_config_static_selectorELNS0_4arch9wavefront6targetE1EEEvT1_
		.amdhsa_group_segment_fixed_size 0
		.amdhsa_private_segment_fixed_size 0
		.amdhsa_kernarg_size 40
		.amdhsa_user_sgpr_count 6
		.amdhsa_user_sgpr_private_segment_buffer 1
		.amdhsa_user_sgpr_dispatch_ptr 0
		.amdhsa_user_sgpr_queue_ptr 0
		.amdhsa_user_sgpr_kernarg_segment_ptr 1
		.amdhsa_user_sgpr_dispatch_id 0
		.amdhsa_user_sgpr_flat_scratch_init 0
		.amdhsa_user_sgpr_private_segment_size 0
		.amdhsa_uses_dynamic_stack 0
		.amdhsa_system_sgpr_private_segment_wavefront_offset 0
		.amdhsa_system_sgpr_workgroup_id_x 1
		.amdhsa_system_sgpr_workgroup_id_y 0
		.amdhsa_system_sgpr_workgroup_id_z 0
		.amdhsa_system_sgpr_workgroup_info 0
		.amdhsa_system_vgpr_workitem_id 0
		.amdhsa_next_free_vgpr 1
		.amdhsa_next_free_sgpr 0
		.amdhsa_reserve_vcc 0
		.amdhsa_reserve_flat_scratch 0
		.amdhsa_float_round_mode_32 0
		.amdhsa_float_round_mode_16_64 0
		.amdhsa_float_denorm_mode_32 3
		.amdhsa_float_denorm_mode_16_64 3
		.amdhsa_dx10_clamp 1
		.amdhsa_ieee_mode 1
		.amdhsa_fp16_overflow 0
		.amdhsa_exception_fp_ieee_invalid_op 0
		.amdhsa_exception_fp_denorm_src 0
		.amdhsa_exception_fp_ieee_div_zero 0
		.amdhsa_exception_fp_ieee_overflow 0
		.amdhsa_exception_fp_ieee_underflow 0
		.amdhsa_exception_fp_ieee_inexact 0
		.amdhsa_exception_int_div_zero 0
	.end_amdhsa_kernel
	.section	.text._ZN7rocprim17ROCPRIM_400000_NS6detail17trampoline_kernelINS0_14default_configENS1_25transform_config_selectorImLb1EEEZNS1_14transform_implILb1ES3_S5_PmPjNS0_8identityIvEEEE10hipError_tT2_T3_mT4_P12ihipStream_tbEUlT_E_NS1_11comp_targetILNS1_3genE5ELNS1_11target_archE942ELNS1_3gpuE9ELNS1_3repE0EEENS1_30default_config_static_selectorELNS0_4arch9wavefront6targetE1EEEvT1_,"axG",@progbits,_ZN7rocprim17ROCPRIM_400000_NS6detail17trampoline_kernelINS0_14default_configENS1_25transform_config_selectorImLb1EEEZNS1_14transform_implILb1ES3_S5_PmPjNS0_8identityIvEEEE10hipError_tT2_T3_mT4_P12ihipStream_tbEUlT_E_NS1_11comp_targetILNS1_3genE5ELNS1_11target_archE942ELNS1_3gpuE9ELNS1_3repE0EEENS1_30default_config_static_selectorELNS0_4arch9wavefront6targetE1EEEvT1_,comdat
.Lfunc_end14:
	.size	_ZN7rocprim17ROCPRIM_400000_NS6detail17trampoline_kernelINS0_14default_configENS1_25transform_config_selectorImLb1EEEZNS1_14transform_implILb1ES3_S5_PmPjNS0_8identityIvEEEE10hipError_tT2_T3_mT4_P12ihipStream_tbEUlT_E_NS1_11comp_targetILNS1_3genE5ELNS1_11target_archE942ELNS1_3gpuE9ELNS1_3repE0EEENS1_30default_config_static_selectorELNS0_4arch9wavefront6targetE1EEEvT1_, .Lfunc_end14-_ZN7rocprim17ROCPRIM_400000_NS6detail17trampoline_kernelINS0_14default_configENS1_25transform_config_selectorImLb1EEEZNS1_14transform_implILb1ES3_S5_PmPjNS0_8identityIvEEEE10hipError_tT2_T3_mT4_P12ihipStream_tbEUlT_E_NS1_11comp_targetILNS1_3genE5ELNS1_11target_archE942ELNS1_3gpuE9ELNS1_3repE0EEENS1_30default_config_static_selectorELNS0_4arch9wavefront6targetE1EEEvT1_
                                        ; -- End function
	.set _ZN7rocprim17ROCPRIM_400000_NS6detail17trampoline_kernelINS0_14default_configENS1_25transform_config_selectorImLb1EEEZNS1_14transform_implILb1ES3_S5_PmPjNS0_8identityIvEEEE10hipError_tT2_T3_mT4_P12ihipStream_tbEUlT_E_NS1_11comp_targetILNS1_3genE5ELNS1_11target_archE942ELNS1_3gpuE9ELNS1_3repE0EEENS1_30default_config_static_selectorELNS0_4arch9wavefront6targetE1EEEvT1_.num_vgpr, 0
	.set _ZN7rocprim17ROCPRIM_400000_NS6detail17trampoline_kernelINS0_14default_configENS1_25transform_config_selectorImLb1EEEZNS1_14transform_implILb1ES3_S5_PmPjNS0_8identityIvEEEE10hipError_tT2_T3_mT4_P12ihipStream_tbEUlT_E_NS1_11comp_targetILNS1_3genE5ELNS1_11target_archE942ELNS1_3gpuE9ELNS1_3repE0EEENS1_30default_config_static_selectorELNS0_4arch9wavefront6targetE1EEEvT1_.num_agpr, 0
	.set _ZN7rocprim17ROCPRIM_400000_NS6detail17trampoline_kernelINS0_14default_configENS1_25transform_config_selectorImLb1EEEZNS1_14transform_implILb1ES3_S5_PmPjNS0_8identityIvEEEE10hipError_tT2_T3_mT4_P12ihipStream_tbEUlT_E_NS1_11comp_targetILNS1_3genE5ELNS1_11target_archE942ELNS1_3gpuE9ELNS1_3repE0EEENS1_30default_config_static_selectorELNS0_4arch9wavefront6targetE1EEEvT1_.numbered_sgpr, 0
	.set _ZN7rocprim17ROCPRIM_400000_NS6detail17trampoline_kernelINS0_14default_configENS1_25transform_config_selectorImLb1EEEZNS1_14transform_implILb1ES3_S5_PmPjNS0_8identityIvEEEE10hipError_tT2_T3_mT4_P12ihipStream_tbEUlT_E_NS1_11comp_targetILNS1_3genE5ELNS1_11target_archE942ELNS1_3gpuE9ELNS1_3repE0EEENS1_30default_config_static_selectorELNS0_4arch9wavefront6targetE1EEEvT1_.num_named_barrier, 0
	.set _ZN7rocprim17ROCPRIM_400000_NS6detail17trampoline_kernelINS0_14default_configENS1_25transform_config_selectorImLb1EEEZNS1_14transform_implILb1ES3_S5_PmPjNS0_8identityIvEEEE10hipError_tT2_T3_mT4_P12ihipStream_tbEUlT_E_NS1_11comp_targetILNS1_3genE5ELNS1_11target_archE942ELNS1_3gpuE9ELNS1_3repE0EEENS1_30default_config_static_selectorELNS0_4arch9wavefront6targetE1EEEvT1_.private_seg_size, 0
	.set _ZN7rocprim17ROCPRIM_400000_NS6detail17trampoline_kernelINS0_14default_configENS1_25transform_config_selectorImLb1EEEZNS1_14transform_implILb1ES3_S5_PmPjNS0_8identityIvEEEE10hipError_tT2_T3_mT4_P12ihipStream_tbEUlT_E_NS1_11comp_targetILNS1_3genE5ELNS1_11target_archE942ELNS1_3gpuE9ELNS1_3repE0EEENS1_30default_config_static_selectorELNS0_4arch9wavefront6targetE1EEEvT1_.uses_vcc, 0
	.set _ZN7rocprim17ROCPRIM_400000_NS6detail17trampoline_kernelINS0_14default_configENS1_25transform_config_selectorImLb1EEEZNS1_14transform_implILb1ES3_S5_PmPjNS0_8identityIvEEEE10hipError_tT2_T3_mT4_P12ihipStream_tbEUlT_E_NS1_11comp_targetILNS1_3genE5ELNS1_11target_archE942ELNS1_3gpuE9ELNS1_3repE0EEENS1_30default_config_static_selectorELNS0_4arch9wavefront6targetE1EEEvT1_.uses_flat_scratch, 0
	.set _ZN7rocprim17ROCPRIM_400000_NS6detail17trampoline_kernelINS0_14default_configENS1_25transform_config_selectorImLb1EEEZNS1_14transform_implILb1ES3_S5_PmPjNS0_8identityIvEEEE10hipError_tT2_T3_mT4_P12ihipStream_tbEUlT_E_NS1_11comp_targetILNS1_3genE5ELNS1_11target_archE942ELNS1_3gpuE9ELNS1_3repE0EEENS1_30default_config_static_selectorELNS0_4arch9wavefront6targetE1EEEvT1_.has_dyn_sized_stack, 0
	.set _ZN7rocprim17ROCPRIM_400000_NS6detail17trampoline_kernelINS0_14default_configENS1_25transform_config_selectorImLb1EEEZNS1_14transform_implILb1ES3_S5_PmPjNS0_8identityIvEEEE10hipError_tT2_T3_mT4_P12ihipStream_tbEUlT_E_NS1_11comp_targetILNS1_3genE5ELNS1_11target_archE942ELNS1_3gpuE9ELNS1_3repE0EEENS1_30default_config_static_selectorELNS0_4arch9wavefront6targetE1EEEvT1_.has_recursion, 0
	.set _ZN7rocprim17ROCPRIM_400000_NS6detail17trampoline_kernelINS0_14default_configENS1_25transform_config_selectorImLb1EEEZNS1_14transform_implILb1ES3_S5_PmPjNS0_8identityIvEEEE10hipError_tT2_T3_mT4_P12ihipStream_tbEUlT_E_NS1_11comp_targetILNS1_3genE5ELNS1_11target_archE942ELNS1_3gpuE9ELNS1_3repE0EEENS1_30default_config_static_selectorELNS0_4arch9wavefront6targetE1EEEvT1_.has_indirect_call, 0
	.section	.AMDGPU.csdata,"",@progbits
; Kernel info:
; codeLenInByte = 0
; TotalNumSgprs: 4
; NumVgprs: 0
; ScratchSize: 0
; MemoryBound: 0
; FloatMode: 240
; IeeeMode: 1
; LDSByteSize: 0 bytes/workgroup (compile time only)
; SGPRBlocks: 0
; VGPRBlocks: 0
; NumSGPRsForWavesPerEU: 4
; NumVGPRsForWavesPerEU: 1
; Occupancy: 10
; WaveLimiterHint : 0
; COMPUTE_PGM_RSRC2:SCRATCH_EN: 0
; COMPUTE_PGM_RSRC2:USER_SGPR: 6
; COMPUTE_PGM_RSRC2:TRAP_HANDLER: 0
; COMPUTE_PGM_RSRC2:TGID_X_EN: 1
; COMPUTE_PGM_RSRC2:TGID_Y_EN: 0
; COMPUTE_PGM_RSRC2:TGID_Z_EN: 0
; COMPUTE_PGM_RSRC2:TIDIG_COMP_CNT: 0
	.section	.text._ZN7rocprim17ROCPRIM_400000_NS6detail17trampoline_kernelINS0_14default_configENS1_25transform_config_selectorImLb1EEEZNS1_14transform_implILb1ES3_S5_PmPjNS0_8identityIvEEEE10hipError_tT2_T3_mT4_P12ihipStream_tbEUlT_E_NS1_11comp_targetILNS1_3genE4ELNS1_11target_archE910ELNS1_3gpuE8ELNS1_3repE0EEENS1_30default_config_static_selectorELNS0_4arch9wavefront6targetE1EEEvT1_,"axG",@progbits,_ZN7rocprim17ROCPRIM_400000_NS6detail17trampoline_kernelINS0_14default_configENS1_25transform_config_selectorImLb1EEEZNS1_14transform_implILb1ES3_S5_PmPjNS0_8identityIvEEEE10hipError_tT2_T3_mT4_P12ihipStream_tbEUlT_E_NS1_11comp_targetILNS1_3genE4ELNS1_11target_archE910ELNS1_3gpuE8ELNS1_3repE0EEENS1_30default_config_static_selectorELNS0_4arch9wavefront6targetE1EEEvT1_,comdat
	.protected	_ZN7rocprim17ROCPRIM_400000_NS6detail17trampoline_kernelINS0_14default_configENS1_25transform_config_selectorImLb1EEEZNS1_14transform_implILb1ES3_S5_PmPjNS0_8identityIvEEEE10hipError_tT2_T3_mT4_P12ihipStream_tbEUlT_E_NS1_11comp_targetILNS1_3genE4ELNS1_11target_archE910ELNS1_3gpuE8ELNS1_3repE0EEENS1_30default_config_static_selectorELNS0_4arch9wavefront6targetE1EEEvT1_ ; -- Begin function _ZN7rocprim17ROCPRIM_400000_NS6detail17trampoline_kernelINS0_14default_configENS1_25transform_config_selectorImLb1EEEZNS1_14transform_implILb1ES3_S5_PmPjNS0_8identityIvEEEE10hipError_tT2_T3_mT4_P12ihipStream_tbEUlT_E_NS1_11comp_targetILNS1_3genE4ELNS1_11target_archE910ELNS1_3gpuE8ELNS1_3repE0EEENS1_30default_config_static_selectorELNS0_4arch9wavefront6targetE1EEEvT1_
	.globl	_ZN7rocprim17ROCPRIM_400000_NS6detail17trampoline_kernelINS0_14default_configENS1_25transform_config_selectorImLb1EEEZNS1_14transform_implILb1ES3_S5_PmPjNS0_8identityIvEEEE10hipError_tT2_T3_mT4_P12ihipStream_tbEUlT_E_NS1_11comp_targetILNS1_3genE4ELNS1_11target_archE910ELNS1_3gpuE8ELNS1_3repE0EEENS1_30default_config_static_selectorELNS0_4arch9wavefront6targetE1EEEvT1_
	.p2align	8
	.type	_ZN7rocprim17ROCPRIM_400000_NS6detail17trampoline_kernelINS0_14default_configENS1_25transform_config_selectorImLb1EEEZNS1_14transform_implILb1ES3_S5_PmPjNS0_8identityIvEEEE10hipError_tT2_T3_mT4_P12ihipStream_tbEUlT_E_NS1_11comp_targetILNS1_3genE4ELNS1_11target_archE910ELNS1_3gpuE8ELNS1_3repE0EEENS1_30default_config_static_selectorELNS0_4arch9wavefront6targetE1EEEvT1_,@function
_ZN7rocprim17ROCPRIM_400000_NS6detail17trampoline_kernelINS0_14default_configENS1_25transform_config_selectorImLb1EEEZNS1_14transform_implILb1ES3_S5_PmPjNS0_8identityIvEEEE10hipError_tT2_T3_mT4_P12ihipStream_tbEUlT_E_NS1_11comp_targetILNS1_3genE4ELNS1_11target_archE910ELNS1_3gpuE8ELNS1_3repE0EEENS1_30default_config_static_selectorELNS0_4arch9wavefront6targetE1EEEvT1_: ; @_ZN7rocprim17ROCPRIM_400000_NS6detail17trampoline_kernelINS0_14default_configENS1_25transform_config_selectorImLb1EEEZNS1_14transform_implILb1ES3_S5_PmPjNS0_8identityIvEEEE10hipError_tT2_T3_mT4_P12ihipStream_tbEUlT_E_NS1_11comp_targetILNS1_3genE4ELNS1_11target_archE910ELNS1_3gpuE8ELNS1_3repE0EEENS1_30default_config_static_selectorELNS0_4arch9wavefront6targetE1EEEvT1_
; %bb.0:
	.section	.rodata,"a",@progbits
	.p2align	6, 0x0
	.amdhsa_kernel _ZN7rocprim17ROCPRIM_400000_NS6detail17trampoline_kernelINS0_14default_configENS1_25transform_config_selectorImLb1EEEZNS1_14transform_implILb1ES3_S5_PmPjNS0_8identityIvEEEE10hipError_tT2_T3_mT4_P12ihipStream_tbEUlT_E_NS1_11comp_targetILNS1_3genE4ELNS1_11target_archE910ELNS1_3gpuE8ELNS1_3repE0EEENS1_30default_config_static_selectorELNS0_4arch9wavefront6targetE1EEEvT1_
		.amdhsa_group_segment_fixed_size 0
		.amdhsa_private_segment_fixed_size 0
		.amdhsa_kernarg_size 40
		.amdhsa_user_sgpr_count 6
		.amdhsa_user_sgpr_private_segment_buffer 1
		.amdhsa_user_sgpr_dispatch_ptr 0
		.amdhsa_user_sgpr_queue_ptr 0
		.amdhsa_user_sgpr_kernarg_segment_ptr 1
		.amdhsa_user_sgpr_dispatch_id 0
		.amdhsa_user_sgpr_flat_scratch_init 0
		.amdhsa_user_sgpr_private_segment_size 0
		.amdhsa_uses_dynamic_stack 0
		.amdhsa_system_sgpr_private_segment_wavefront_offset 0
		.amdhsa_system_sgpr_workgroup_id_x 1
		.amdhsa_system_sgpr_workgroup_id_y 0
		.amdhsa_system_sgpr_workgroup_id_z 0
		.amdhsa_system_sgpr_workgroup_info 0
		.amdhsa_system_vgpr_workitem_id 0
		.amdhsa_next_free_vgpr 1
		.amdhsa_next_free_sgpr 0
		.amdhsa_reserve_vcc 0
		.amdhsa_reserve_flat_scratch 0
		.amdhsa_float_round_mode_32 0
		.amdhsa_float_round_mode_16_64 0
		.amdhsa_float_denorm_mode_32 3
		.amdhsa_float_denorm_mode_16_64 3
		.amdhsa_dx10_clamp 1
		.amdhsa_ieee_mode 1
		.amdhsa_fp16_overflow 0
		.amdhsa_exception_fp_ieee_invalid_op 0
		.amdhsa_exception_fp_denorm_src 0
		.amdhsa_exception_fp_ieee_div_zero 0
		.amdhsa_exception_fp_ieee_overflow 0
		.amdhsa_exception_fp_ieee_underflow 0
		.amdhsa_exception_fp_ieee_inexact 0
		.amdhsa_exception_int_div_zero 0
	.end_amdhsa_kernel
	.section	.text._ZN7rocprim17ROCPRIM_400000_NS6detail17trampoline_kernelINS0_14default_configENS1_25transform_config_selectorImLb1EEEZNS1_14transform_implILb1ES3_S5_PmPjNS0_8identityIvEEEE10hipError_tT2_T3_mT4_P12ihipStream_tbEUlT_E_NS1_11comp_targetILNS1_3genE4ELNS1_11target_archE910ELNS1_3gpuE8ELNS1_3repE0EEENS1_30default_config_static_selectorELNS0_4arch9wavefront6targetE1EEEvT1_,"axG",@progbits,_ZN7rocprim17ROCPRIM_400000_NS6detail17trampoline_kernelINS0_14default_configENS1_25transform_config_selectorImLb1EEEZNS1_14transform_implILb1ES3_S5_PmPjNS0_8identityIvEEEE10hipError_tT2_T3_mT4_P12ihipStream_tbEUlT_E_NS1_11comp_targetILNS1_3genE4ELNS1_11target_archE910ELNS1_3gpuE8ELNS1_3repE0EEENS1_30default_config_static_selectorELNS0_4arch9wavefront6targetE1EEEvT1_,comdat
.Lfunc_end15:
	.size	_ZN7rocprim17ROCPRIM_400000_NS6detail17trampoline_kernelINS0_14default_configENS1_25transform_config_selectorImLb1EEEZNS1_14transform_implILb1ES3_S5_PmPjNS0_8identityIvEEEE10hipError_tT2_T3_mT4_P12ihipStream_tbEUlT_E_NS1_11comp_targetILNS1_3genE4ELNS1_11target_archE910ELNS1_3gpuE8ELNS1_3repE0EEENS1_30default_config_static_selectorELNS0_4arch9wavefront6targetE1EEEvT1_, .Lfunc_end15-_ZN7rocprim17ROCPRIM_400000_NS6detail17trampoline_kernelINS0_14default_configENS1_25transform_config_selectorImLb1EEEZNS1_14transform_implILb1ES3_S5_PmPjNS0_8identityIvEEEE10hipError_tT2_T3_mT4_P12ihipStream_tbEUlT_E_NS1_11comp_targetILNS1_3genE4ELNS1_11target_archE910ELNS1_3gpuE8ELNS1_3repE0EEENS1_30default_config_static_selectorELNS0_4arch9wavefront6targetE1EEEvT1_
                                        ; -- End function
	.set _ZN7rocprim17ROCPRIM_400000_NS6detail17trampoline_kernelINS0_14default_configENS1_25transform_config_selectorImLb1EEEZNS1_14transform_implILb1ES3_S5_PmPjNS0_8identityIvEEEE10hipError_tT2_T3_mT4_P12ihipStream_tbEUlT_E_NS1_11comp_targetILNS1_3genE4ELNS1_11target_archE910ELNS1_3gpuE8ELNS1_3repE0EEENS1_30default_config_static_selectorELNS0_4arch9wavefront6targetE1EEEvT1_.num_vgpr, 0
	.set _ZN7rocprim17ROCPRIM_400000_NS6detail17trampoline_kernelINS0_14default_configENS1_25transform_config_selectorImLb1EEEZNS1_14transform_implILb1ES3_S5_PmPjNS0_8identityIvEEEE10hipError_tT2_T3_mT4_P12ihipStream_tbEUlT_E_NS1_11comp_targetILNS1_3genE4ELNS1_11target_archE910ELNS1_3gpuE8ELNS1_3repE0EEENS1_30default_config_static_selectorELNS0_4arch9wavefront6targetE1EEEvT1_.num_agpr, 0
	.set _ZN7rocprim17ROCPRIM_400000_NS6detail17trampoline_kernelINS0_14default_configENS1_25transform_config_selectorImLb1EEEZNS1_14transform_implILb1ES3_S5_PmPjNS0_8identityIvEEEE10hipError_tT2_T3_mT4_P12ihipStream_tbEUlT_E_NS1_11comp_targetILNS1_3genE4ELNS1_11target_archE910ELNS1_3gpuE8ELNS1_3repE0EEENS1_30default_config_static_selectorELNS0_4arch9wavefront6targetE1EEEvT1_.numbered_sgpr, 0
	.set _ZN7rocprim17ROCPRIM_400000_NS6detail17trampoline_kernelINS0_14default_configENS1_25transform_config_selectorImLb1EEEZNS1_14transform_implILb1ES3_S5_PmPjNS0_8identityIvEEEE10hipError_tT2_T3_mT4_P12ihipStream_tbEUlT_E_NS1_11comp_targetILNS1_3genE4ELNS1_11target_archE910ELNS1_3gpuE8ELNS1_3repE0EEENS1_30default_config_static_selectorELNS0_4arch9wavefront6targetE1EEEvT1_.num_named_barrier, 0
	.set _ZN7rocprim17ROCPRIM_400000_NS6detail17trampoline_kernelINS0_14default_configENS1_25transform_config_selectorImLb1EEEZNS1_14transform_implILb1ES3_S5_PmPjNS0_8identityIvEEEE10hipError_tT2_T3_mT4_P12ihipStream_tbEUlT_E_NS1_11comp_targetILNS1_3genE4ELNS1_11target_archE910ELNS1_3gpuE8ELNS1_3repE0EEENS1_30default_config_static_selectorELNS0_4arch9wavefront6targetE1EEEvT1_.private_seg_size, 0
	.set _ZN7rocprim17ROCPRIM_400000_NS6detail17trampoline_kernelINS0_14default_configENS1_25transform_config_selectorImLb1EEEZNS1_14transform_implILb1ES3_S5_PmPjNS0_8identityIvEEEE10hipError_tT2_T3_mT4_P12ihipStream_tbEUlT_E_NS1_11comp_targetILNS1_3genE4ELNS1_11target_archE910ELNS1_3gpuE8ELNS1_3repE0EEENS1_30default_config_static_selectorELNS0_4arch9wavefront6targetE1EEEvT1_.uses_vcc, 0
	.set _ZN7rocprim17ROCPRIM_400000_NS6detail17trampoline_kernelINS0_14default_configENS1_25transform_config_selectorImLb1EEEZNS1_14transform_implILb1ES3_S5_PmPjNS0_8identityIvEEEE10hipError_tT2_T3_mT4_P12ihipStream_tbEUlT_E_NS1_11comp_targetILNS1_3genE4ELNS1_11target_archE910ELNS1_3gpuE8ELNS1_3repE0EEENS1_30default_config_static_selectorELNS0_4arch9wavefront6targetE1EEEvT1_.uses_flat_scratch, 0
	.set _ZN7rocprim17ROCPRIM_400000_NS6detail17trampoline_kernelINS0_14default_configENS1_25transform_config_selectorImLb1EEEZNS1_14transform_implILb1ES3_S5_PmPjNS0_8identityIvEEEE10hipError_tT2_T3_mT4_P12ihipStream_tbEUlT_E_NS1_11comp_targetILNS1_3genE4ELNS1_11target_archE910ELNS1_3gpuE8ELNS1_3repE0EEENS1_30default_config_static_selectorELNS0_4arch9wavefront6targetE1EEEvT1_.has_dyn_sized_stack, 0
	.set _ZN7rocprim17ROCPRIM_400000_NS6detail17trampoline_kernelINS0_14default_configENS1_25transform_config_selectorImLb1EEEZNS1_14transform_implILb1ES3_S5_PmPjNS0_8identityIvEEEE10hipError_tT2_T3_mT4_P12ihipStream_tbEUlT_E_NS1_11comp_targetILNS1_3genE4ELNS1_11target_archE910ELNS1_3gpuE8ELNS1_3repE0EEENS1_30default_config_static_selectorELNS0_4arch9wavefront6targetE1EEEvT1_.has_recursion, 0
	.set _ZN7rocprim17ROCPRIM_400000_NS6detail17trampoline_kernelINS0_14default_configENS1_25transform_config_selectorImLb1EEEZNS1_14transform_implILb1ES3_S5_PmPjNS0_8identityIvEEEE10hipError_tT2_T3_mT4_P12ihipStream_tbEUlT_E_NS1_11comp_targetILNS1_3genE4ELNS1_11target_archE910ELNS1_3gpuE8ELNS1_3repE0EEENS1_30default_config_static_selectorELNS0_4arch9wavefront6targetE1EEEvT1_.has_indirect_call, 0
	.section	.AMDGPU.csdata,"",@progbits
; Kernel info:
; codeLenInByte = 0
; TotalNumSgprs: 4
; NumVgprs: 0
; ScratchSize: 0
; MemoryBound: 0
; FloatMode: 240
; IeeeMode: 1
; LDSByteSize: 0 bytes/workgroup (compile time only)
; SGPRBlocks: 0
; VGPRBlocks: 0
; NumSGPRsForWavesPerEU: 4
; NumVGPRsForWavesPerEU: 1
; Occupancy: 10
; WaveLimiterHint : 0
; COMPUTE_PGM_RSRC2:SCRATCH_EN: 0
; COMPUTE_PGM_RSRC2:USER_SGPR: 6
; COMPUTE_PGM_RSRC2:TRAP_HANDLER: 0
; COMPUTE_PGM_RSRC2:TGID_X_EN: 1
; COMPUTE_PGM_RSRC2:TGID_Y_EN: 0
; COMPUTE_PGM_RSRC2:TGID_Z_EN: 0
; COMPUTE_PGM_RSRC2:TIDIG_COMP_CNT: 0
	.section	.text._ZN7rocprim17ROCPRIM_400000_NS6detail17trampoline_kernelINS0_14default_configENS1_25transform_config_selectorImLb1EEEZNS1_14transform_implILb1ES3_S5_PmPjNS0_8identityIvEEEE10hipError_tT2_T3_mT4_P12ihipStream_tbEUlT_E_NS1_11comp_targetILNS1_3genE3ELNS1_11target_archE908ELNS1_3gpuE7ELNS1_3repE0EEENS1_30default_config_static_selectorELNS0_4arch9wavefront6targetE1EEEvT1_,"axG",@progbits,_ZN7rocprim17ROCPRIM_400000_NS6detail17trampoline_kernelINS0_14default_configENS1_25transform_config_selectorImLb1EEEZNS1_14transform_implILb1ES3_S5_PmPjNS0_8identityIvEEEE10hipError_tT2_T3_mT4_P12ihipStream_tbEUlT_E_NS1_11comp_targetILNS1_3genE3ELNS1_11target_archE908ELNS1_3gpuE7ELNS1_3repE0EEENS1_30default_config_static_selectorELNS0_4arch9wavefront6targetE1EEEvT1_,comdat
	.protected	_ZN7rocprim17ROCPRIM_400000_NS6detail17trampoline_kernelINS0_14default_configENS1_25transform_config_selectorImLb1EEEZNS1_14transform_implILb1ES3_S5_PmPjNS0_8identityIvEEEE10hipError_tT2_T3_mT4_P12ihipStream_tbEUlT_E_NS1_11comp_targetILNS1_3genE3ELNS1_11target_archE908ELNS1_3gpuE7ELNS1_3repE0EEENS1_30default_config_static_selectorELNS0_4arch9wavefront6targetE1EEEvT1_ ; -- Begin function _ZN7rocprim17ROCPRIM_400000_NS6detail17trampoline_kernelINS0_14default_configENS1_25transform_config_selectorImLb1EEEZNS1_14transform_implILb1ES3_S5_PmPjNS0_8identityIvEEEE10hipError_tT2_T3_mT4_P12ihipStream_tbEUlT_E_NS1_11comp_targetILNS1_3genE3ELNS1_11target_archE908ELNS1_3gpuE7ELNS1_3repE0EEENS1_30default_config_static_selectorELNS0_4arch9wavefront6targetE1EEEvT1_
	.globl	_ZN7rocprim17ROCPRIM_400000_NS6detail17trampoline_kernelINS0_14default_configENS1_25transform_config_selectorImLb1EEEZNS1_14transform_implILb1ES3_S5_PmPjNS0_8identityIvEEEE10hipError_tT2_T3_mT4_P12ihipStream_tbEUlT_E_NS1_11comp_targetILNS1_3genE3ELNS1_11target_archE908ELNS1_3gpuE7ELNS1_3repE0EEENS1_30default_config_static_selectorELNS0_4arch9wavefront6targetE1EEEvT1_
	.p2align	8
	.type	_ZN7rocprim17ROCPRIM_400000_NS6detail17trampoline_kernelINS0_14default_configENS1_25transform_config_selectorImLb1EEEZNS1_14transform_implILb1ES3_S5_PmPjNS0_8identityIvEEEE10hipError_tT2_T3_mT4_P12ihipStream_tbEUlT_E_NS1_11comp_targetILNS1_3genE3ELNS1_11target_archE908ELNS1_3gpuE7ELNS1_3repE0EEENS1_30default_config_static_selectorELNS0_4arch9wavefront6targetE1EEEvT1_,@function
_ZN7rocprim17ROCPRIM_400000_NS6detail17trampoline_kernelINS0_14default_configENS1_25transform_config_selectorImLb1EEEZNS1_14transform_implILb1ES3_S5_PmPjNS0_8identityIvEEEE10hipError_tT2_T3_mT4_P12ihipStream_tbEUlT_E_NS1_11comp_targetILNS1_3genE3ELNS1_11target_archE908ELNS1_3gpuE7ELNS1_3repE0EEENS1_30default_config_static_selectorELNS0_4arch9wavefront6targetE1EEEvT1_: ; @_ZN7rocprim17ROCPRIM_400000_NS6detail17trampoline_kernelINS0_14default_configENS1_25transform_config_selectorImLb1EEEZNS1_14transform_implILb1ES3_S5_PmPjNS0_8identityIvEEEE10hipError_tT2_T3_mT4_P12ihipStream_tbEUlT_E_NS1_11comp_targetILNS1_3genE3ELNS1_11target_archE908ELNS1_3gpuE7ELNS1_3repE0EEENS1_30default_config_static_selectorELNS0_4arch9wavefront6targetE1EEEvT1_
; %bb.0:
	.section	.rodata,"a",@progbits
	.p2align	6, 0x0
	.amdhsa_kernel _ZN7rocprim17ROCPRIM_400000_NS6detail17trampoline_kernelINS0_14default_configENS1_25transform_config_selectorImLb1EEEZNS1_14transform_implILb1ES3_S5_PmPjNS0_8identityIvEEEE10hipError_tT2_T3_mT4_P12ihipStream_tbEUlT_E_NS1_11comp_targetILNS1_3genE3ELNS1_11target_archE908ELNS1_3gpuE7ELNS1_3repE0EEENS1_30default_config_static_selectorELNS0_4arch9wavefront6targetE1EEEvT1_
		.amdhsa_group_segment_fixed_size 0
		.amdhsa_private_segment_fixed_size 0
		.amdhsa_kernarg_size 40
		.amdhsa_user_sgpr_count 6
		.amdhsa_user_sgpr_private_segment_buffer 1
		.amdhsa_user_sgpr_dispatch_ptr 0
		.amdhsa_user_sgpr_queue_ptr 0
		.amdhsa_user_sgpr_kernarg_segment_ptr 1
		.amdhsa_user_sgpr_dispatch_id 0
		.amdhsa_user_sgpr_flat_scratch_init 0
		.amdhsa_user_sgpr_private_segment_size 0
		.amdhsa_uses_dynamic_stack 0
		.amdhsa_system_sgpr_private_segment_wavefront_offset 0
		.amdhsa_system_sgpr_workgroup_id_x 1
		.amdhsa_system_sgpr_workgroup_id_y 0
		.amdhsa_system_sgpr_workgroup_id_z 0
		.amdhsa_system_sgpr_workgroup_info 0
		.amdhsa_system_vgpr_workitem_id 0
		.amdhsa_next_free_vgpr 1
		.amdhsa_next_free_sgpr 0
		.amdhsa_reserve_vcc 0
		.amdhsa_reserve_flat_scratch 0
		.amdhsa_float_round_mode_32 0
		.amdhsa_float_round_mode_16_64 0
		.amdhsa_float_denorm_mode_32 3
		.amdhsa_float_denorm_mode_16_64 3
		.amdhsa_dx10_clamp 1
		.amdhsa_ieee_mode 1
		.amdhsa_fp16_overflow 0
		.amdhsa_exception_fp_ieee_invalid_op 0
		.amdhsa_exception_fp_denorm_src 0
		.amdhsa_exception_fp_ieee_div_zero 0
		.amdhsa_exception_fp_ieee_overflow 0
		.amdhsa_exception_fp_ieee_underflow 0
		.amdhsa_exception_fp_ieee_inexact 0
		.amdhsa_exception_int_div_zero 0
	.end_amdhsa_kernel
	.section	.text._ZN7rocprim17ROCPRIM_400000_NS6detail17trampoline_kernelINS0_14default_configENS1_25transform_config_selectorImLb1EEEZNS1_14transform_implILb1ES3_S5_PmPjNS0_8identityIvEEEE10hipError_tT2_T3_mT4_P12ihipStream_tbEUlT_E_NS1_11comp_targetILNS1_3genE3ELNS1_11target_archE908ELNS1_3gpuE7ELNS1_3repE0EEENS1_30default_config_static_selectorELNS0_4arch9wavefront6targetE1EEEvT1_,"axG",@progbits,_ZN7rocprim17ROCPRIM_400000_NS6detail17trampoline_kernelINS0_14default_configENS1_25transform_config_selectorImLb1EEEZNS1_14transform_implILb1ES3_S5_PmPjNS0_8identityIvEEEE10hipError_tT2_T3_mT4_P12ihipStream_tbEUlT_E_NS1_11comp_targetILNS1_3genE3ELNS1_11target_archE908ELNS1_3gpuE7ELNS1_3repE0EEENS1_30default_config_static_selectorELNS0_4arch9wavefront6targetE1EEEvT1_,comdat
.Lfunc_end16:
	.size	_ZN7rocprim17ROCPRIM_400000_NS6detail17trampoline_kernelINS0_14default_configENS1_25transform_config_selectorImLb1EEEZNS1_14transform_implILb1ES3_S5_PmPjNS0_8identityIvEEEE10hipError_tT2_T3_mT4_P12ihipStream_tbEUlT_E_NS1_11comp_targetILNS1_3genE3ELNS1_11target_archE908ELNS1_3gpuE7ELNS1_3repE0EEENS1_30default_config_static_selectorELNS0_4arch9wavefront6targetE1EEEvT1_, .Lfunc_end16-_ZN7rocprim17ROCPRIM_400000_NS6detail17trampoline_kernelINS0_14default_configENS1_25transform_config_selectorImLb1EEEZNS1_14transform_implILb1ES3_S5_PmPjNS0_8identityIvEEEE10hipError_tT2_T3_mT4_P12ihipStream_tbEUlT_E_NS1_11comp_targetILNS1_3genE3ELNS1_11target_archE908ELNS1_3gpuE7ELNS1_3repE0EEENS1_30default_config_static_selectorELNS0_4arch9wavefront6targetE1EEEvT1_
                                        ; -- End function
	.set _ZN7rocprim17ROCPRIM_400000_NS6detail17trampoline_kernelINS0_14default_configENS1_25transform_config_selectorImLb1EEEZNS1_14transform_implILb1ES3_S5_PmPjNS0_8identityIvEEEE10hipError_tT2_T3_mT4_P12ihipStream_tbEUlT_E_NS1_11comp_targetILNS1_3genE3ELNS1_11target_archE908ELNS1_3gpuE7ELNS1_3repE0EEENS1_30default_config_static_selectorELNS0_4arch9wavefront6targetE1EEEvT1_.num_vgpr, 0
	.set _ZN7rocprim17ROCPRIM_400000_NS6detail17trampoline_kernelINS0_14default_configENS1_25transform_config_selectorImLb1EEEZNS1_14transform_implILb1ES3_S5_PmPjNS0_8identityIvEEEE10hipError_tT2_T3_mT4_P12ihipStream_tbEUlT_E_NS1_11comp_targetILNS1_3genE3ELNS1_11target_archE908ELNS1_3gpuE7ELNS1_3repE0EEENS1_30default_config_static_selectorELNS0_4arch9wavefront6targetE1EEEvT1_.num_agpr, 0
	.set _ZN7rocprim17ROCPRIM_400000_NS6detail17trampoline_kernelINS0_14default_configENS1_25transform_config_selectorImLb1EEEZNS1_14transform_implILb1ES3_S5_PmPjNS0_8identityIvEEEE10hipError_tT2_T3_mT4_P12ihipStream_tbEUlT_E_NS1_11comp_targetILNS1_3genE3ELNS1_11target_archE908ELNS1_3gpuE7ELNS1_3repE0EEENS1_30default_config_static_selectorELNS0_4arch9wavefront6targetE1EEEvT1_.numbered_sgpr, 0
	.set _ZN7rocprim17ROCPRIM_400000_NS6detail17trampoline_kernelINS0_14default_configENS1_25transform_config_selectorImLb1EEEZNS1_14transform_implILb1ES3_S5_PmPjNS0_8identityIvEEEE10hipError_tT2_T3_mT4_P12ihipStream_tbEUlT_E_NS1_11comp_targetILNS1_3genE3ELNS1_11target_archE908ELNS1_3gpuE7ELNS1_3repE0EEENS1_30default_config_static_selectorELNS0_4arch9wavefront6targetE1EEEvT1_.num_named_barrier, 0
	.set _ZN7rocprim17ROCPRIM_400000_NS6detail17trampoline_kernelINS0_14default_configENS1_25transform_config_selectorImLb1EEEZNS1_14transform_implILb1ES3_S5_PmPjNS0_8identityIvEEEE10hipError_tT2_T3_mT4_P12ihipStream_tbEUlT_E_NS1_11comp_targetILNS1_3genE3ELNS1_11target_archE908ELNS1_3gpuE7ELNS1_3repE0EEENS1_30default_config_static_selectorELNS0_4arch9wavefront6targetE1EEEvT1_.private_seg_size, 0
	.set _ZN7rocprim17ROCPRIM_400000_NS6detail17trampoline_kernelINS0_14default_configENS1_25transform_config_selectorImLb1EEEZNS1_14transform_implILb1ES3_S5_PmPjNS0_8identityIvEEEE10hipError_tT2_T3_mT4_P12ihipStream_tbEUlT_E_NS1_11comp_targetILNS1_3genE3ELNS1_11target_archE908ELNS1_3gpuE7ELNS1_3repE0EEENS1_30default_config_static_selectorELNS0_4arch9wavefront6targetE1EEEvT1_.uses_vcc, 0
	.set _ZN7rocprim17ROCPRIM_400000_NS6detail17trampoline_kernelINS0_14default_configENS1_25transform_config_selectorImLb1EEEZNS1_14transform_implILb1ES3_S5_PmPjNS0_8identityIvEEEE10hipError_tT2_T3_mT4_P12ihipStream_tbEUlT_E_NS1_11comp_targetILNS1_3genE3ELNS1_11target_archE908ELNS1_3gpuE7ELNS1_3repE0EEENS1_30default_config_static_selectorELNS0_4arch9wavefront6targetE1EEEvT1_.uses_flat_scratch, 0
	.set _ZN7rocprim17ROCPRIM_400000_NS6detail17trampoline_kernelINS0_14default_configENS1_25transform_config_selectorImLb1EEEZNS1_14transform_implILb1ES3_S5_PmPjNS0_8identityIvEEEE10hipError_tT2_T3_mT4_P12ihipStream_tbEUlT_E_NS1_11comp_targetILNS1_3genE3ELNS1_11target_archE908ELNS1_3gpuE7ELNS1_3repE0EEENS1_30default_config_static_selectorELNS0_4arch9wavefront6targetE1EEEvT1_.has_dyn_sized_stack, 0
	.set _ZN7rocprim17ROCPRIM_400000_NS6detail17trampoline_kernelINS0_14default_configENS1_25transform_config_selectorImLb1EEEZNS1_14transform_implILb1ES3_S5_PmPjNS0_8identityIvEEEE10hipError_tT2_T3_mT4_P12ihipStream_tbEUlT_E_NS1_11comp_targetILNS1_3genE3ELNS1_11target_archE908ELNS1_3gpuE7ELNS1_3repE0EEENS1_30default_config_static_selectorELNS0_4arch9wavefront6targetE1EEEvT1_.has_recursion, 0
	.set _ZN7rocprim17ROCPRIM_400000_NS6detail17trampoline_kernelINS0_14default_configENS1_25transform_config_selectorImLb1EEEZNS1_14transform_implILb1ES3_S5_PmPjNS0_8identityIvEEEE10hipError_tT2_T3_mT4_P12ihipStream_tbEUlT_E_NS1_11comp_targetILNS1_3genE3ELNS1_11target_archE908ELNS1_3gpuE7ELNS1_3repE0EEENS1_30default_config_static_selectorELNS0_4arch9wavefront6targetE1EEEvT1_.has_indirect_call, 0
	.section	.AMDGPU.csdata,"",@progbits
; Kernel info:
; codeLenInByte = 0
; TotalNumSgprs: 4
; NumVgprs: 0
; ScratchSize: 0
; MemoryBound: 0
; FloatMode: 240
; IeeeMode: 1
; LDSByteSize: 0 bytes/workgroup (compile time only)
; SGPRBlocks: 0
; VGPRBlocks: 0
; NumSGPRsForWavesPerEU: 4
; NumVGPRsForWavesPerEU: 1
; Occupancy: 10
; WaveLimiterHint : 0
; COMPUTE_PGM_RSRC2:SCRATCH_EN: 0
; COMPUTE_PGM_RSRC2:USER_SGPR: 6
; COMPUTE_PGM_RSRC2:TRAP_HANDLER: 0
; COMPUTE_PGM_RSRC2:TGID_X_EN: 1
; COMPUTE_PGM_RSRC2:TGID_Y_EN: 0
; COMPUTE_PGM_RSRC2:TGID_Z_EN: 0
; COMPUTE_PGM_RSRC2:TIDIG_COMP_CNT: 0
	.section	.text._ZN7rocprim17ROCPRIM_400000_NS6detail17trampoline_kernelINS0_14default_configENS1_25transform_config_selectorImLb1EEEZNS1_14transform_implILb1ES3_S5_PmPjNS0_8identityIvEEEE10hipError_tT2_T3_mT4_P12ihipStream_tbEUlT_E_NS1_11comp_targetILNS1_3genE2ELNS1_11target_archE906ELNS1_3gpuE6ELNS1_3repE0EEENS1_30default_config_static_selectorELNS0_4arch9wavefront6targetE1EEEvT1_,"axG",@progbits,_ZN7rocprim17ROCPRIM_400000_NS6detail17trampoline_kernelINS0_14default_configENS1_25transform_config_selectorImLb1EEEZNS1_14transform_implILb1ES3_S5_PmPjNS0_8identityIvEEEE10hipError_tT2_T3_mT4_P12ihipStream_tbEUlT_E_NS1_11comp_targetILNS1_3genE2ELNS1_11target_archE906ELNS1_3gpuE6ELNS1_3repE0EEENS1_30default_config_static_selectorELNS0_4arch9wavefront6targetE1EEEvT1_,comdat
	.protected	_ZN7rocprim17ROCPRIM_400000_NS6detail17trampoline_kernelINS0_14default_configENS1_25transform_config_selectorImLb1EEEZNS1_14transform_implILb1ES3_S5_PmPjNS0_8identityIvEEEE10hipError_tT2_T3_mT4_P12ihipStream_tbEUlT_E_NS1_11comp_targetILNS1_3genE2ELNS1_11target_archE906ELNS1_3gpuE6ELNS1_3repE0EEENS1_30default_config_static_selectorELNS0_4arch9wavefront6targetE1EEEvT1_ ; -- Begin function _ZN7rocprim17ROCPRIM_400000_NS6detail17trampoline_kernelINS0_14default_configENS1_25transform_config_selectorImLb1EEEZNS1_14transform_implILb1ES3_S5_PmPjNS0_8identityIvEEEE10hipError_tT2_T3_mT4_P12ihipStream_tbEUlT_E_NS1_11comp_targetILNS1_3genE2ELNS1_11target_archE906ELNS1_3gpuE6ELNS1_3repE0EEENS1_30default_config_static_selectorELNS0_4arch9wavefront6targetE1EEEvT1_
	.globl	_ZN7rocprim17ROCPRIM_400000_NS6detail17trampoline_kernelINS0_14default_configENS1_25transform_config_selectorImLb1EEEZNS1_14transform_implILb1ES3_S5_PmPjNS0_8identityIvEEEE10hipError_tT2_T3_mT4_P12ihipStream_tbEUlT_E_NS1_11comp_targetILNS1_3genE2ELNS1_11target_archE906ELNS1_3gpuE6ELNS1_3repE0EEENS1_30default_config_static_selectorELNS0_4arch9wavefront6targetE1EEEvT1_
	.p2align	8
	.type	_ZN7rocprim17ROCPRIM_400000_NS6detail17trampoline_kernelINS0_14default_configENS1_25transform_config_selectorImLb1EEEZNS1_14transform_implILb1ES3_S5_PmPjNS0_8identityIvEEEE10hipError_tT2_T3_mT4_P12ihipStream_tbEUlT_E_NS1_11comp_targetILNS1_3genE2ELNS1_11target_archE906ELNS1_3gpuE6ELNS1_3repE0EEENS1_30default_config_static_selectorELNS0_4arch9wavefront6targetE1EEEvT1_,@function
_ZN7rocprim17ROCPRIM_400000_NS6detail17trampoline_kernelINS0_14default_configENS1_25transform_config_selectorImLb1EEEZNS1_14transform_implILb1ES3_S5_PmPjNS0_8identityIvEEEE10hipError_tT2_T3_mT4_P12ihipStream_tbEUlT_E_NS1_11comp_targetILNS1_3genE2ELNS1_11target_archE906ELNS1_3gpuE6ELNS1_3repE0EEENS1_30default_config_static_selectorELNS0_4arch9wavefront6targetE1EEEvT1_: ; @_ZN7rocprim17ROCPRIM_400000_NS6detail17trampoline_kernelINS0_14default_configENS1_25transform_config_selectorImLb1EEEZNS1_14transform_implILb1ES3_S5_PmPjNS0_8identityIvEEEE10hipError_tT2_T3_mT4_P12ihipStream_tbEUlT_E_NS1_11comp_targetILNS1_3genE2ELNS1_11target_archE906ELNS1_3gpuE6ELNS1_3repE0EEENS1_30default_config_static_selectorELNS0_4arch9wavefront6targetE1EEEvT1_
; %bb.0:
	s_load_dword s1, s[4:5], 0x28
	s_load_dword s7, s[4:5], 0x10
	s_lshl_b32 s0, s6, 9
	s_waitcnt lgkmcnt(0)
	s_add_i32 s1, s1, -1
	s_cmp_lg_u32 s6, s1
	s_cselect_b64 s[2:3], -1, 0
	s_sub_i32 s1, s7, s0
	v_cmp_gt_u32_e32 vcc, s1, v0
	s_or_b64 s[2:3], vcc, s[2:3]
	s_and_saveexec_b64 s[6:7], s[2:3]
	s_cbranch_execz .LBB17_2
; %bb.1:
	s_load_dwordx4 s[8:11], s[4:5], 0x0
	s_load_dwordx2 s[2:3], s[4:5], 0x18
	s_mov_b32 s1, 0
	v_lshlrev_b32_e32 v1, 3, v0
	v_lshlrev_b32_e32 v0, 2, v0
	s_waitcnt lgkmcnt(0)
	s_lshl_b64 s[4:5], s[10:11], 3
	s_add_u32 s6, s8, s4
	s_addc_u32 s7, s9, s5
	s_lshl_b64 s[4:5], s[0:1], 3
	s_add_u32 s4, s6, s4
	s_addc_u32 s5, s7, s5
	global_load_dword v1, v1, s[4:5]
	s_lshl_b64 s[4:5], s[10:11], 2
	s_add_u32 s2, s2, s4
	s_addc_u32 s3, s3, s5
	s_lshl_b64 s[0:1], s[0:1], 2
	s_add_u32 s0, s2, s0
	s_addc_u32 s1, s3, s1
	s_waitcnt vmcnt(0)
	global_store_dword v0, v1, s[0:1]
.LBB17_2:
	s_endpgm
	.section	.rodata,"a",@progbits
	.p2align	6, 0x0
	.amdhsa_kernel _ZN7rocprim17ROCPRIM_400000_NS6detail17trampoline_kernelINS0_14default_configENS1_25transform_config_selectorImLb1EEEZNS1_14transform_implILb1ES3_S5_PmPjNS0_8identityIvEEEE10hipError_tT2_T3_mT4_P12ihipStream_tbEUlT_E_NS1_11comp_targetILNS1_3genE2ELNS1_11target_archE906ELNS1_3gpuE6ELNS1_3repE0EEENS1_30default_config_static_selectorELNS0_4arch9wavefront6targetE1EEEvT1_
		.amdhsa_group_segment_fixed_size 0
		.amdhsa_private_segment_fixed_size 0
		.amdhsa_kernarg_size 296
		.amdhsa_user_sgpr_count 6
		.amdhsa_user_sgpr_private_segment_buffer 1
		.amdhsa_user_sgpr_dispatch_ptr 0
		.amdhsa_user_sgpr_queue_ptr 0
		.amdhsa_user_sgpr_kernarg_segment_ptr 1
		.amdhsa_user_sgpr_dispatch_id 0
		.amdhsa_user_sgpr_flat_scratch_init 0
		.amdhsa_user_sgpr_private_segment_size 0
		.amdhsa_uses_dynamic_stack 0
		.amdhsa_system_sgpr_private_segment_wavefront_offset 0
		.amdhsa_system_sgpr_workgroup_id_x 1
		.amdhsa_system_sgpr_workgroup_id_y 0
		.amdhsa_system_sgpr_workgroup_id_z 0
		.amdhsa_system_sgpr_workgroup_info 0
		.amdhsa_system_vgpr_workitem_id 0
		.amdhsa_next_free_vgpr 2
		.amdhsa_next_free_sgpr 12
		.amdhsa_reserve_vcc 1
		.amdhsa_reserve_flat_scratch 0
		.amdhsa_float_round_mode_32 0
		.amdhsa_float_round_mode_16_64 0
		.amdhsa_float_denorm_mode_32 3
		.amdhsa_float_denorm_mode_16_64 3
		.amdhsa_dx10_clamp 1
		.amdhsa_ieee_mode 1
		.amdhsa_fp16_overflow 0
		.amdhsa_exception_fp_ieee_invalid_op 0
		.amdhsa_exception_fp_denorm_src 0
		.amdhsa_exception_fp_ieee_div_zero 0
		.amdhsa_exception_fp_ieee_overflow 0
		.amdhsa_exception_fp_ieee_underflow 0
		.amdhsa_exception_fp_ieee_inexact 0
		.amdhsa_exception_int_div_zero 0
	.end_amdhsa_kernel
	.section	.text._ZN7rocprim17ROCPRIM_400000_NS6detail17trampoline_kernelINS0_14default_configENS1_25transform_config_selectorImLb1EEEZNS1_14transform_implILb1ES3_S5_PmPjNS0_8identityIvEEEE10hipError_tT2_T3_mT4_P12ihipStream_tbEUlT_E_NS1_11comp_targetILNS1_3genE2ELNS1_11target_archE906ELNS1_3gpuE6ELNS1_3repE0EEENS1_30default_config_static_selectorELNS0_4arch9wavefront6targetE1EEEvT1_,"axG",@progbits,_ZN7rocprim17ROCPRIM_400000_NS6detail17trampoline_kernelINS0_14default_configENS1_25transform_config_selectorImLb1EEEZNS1_14transform_implILb1ES3_S5_PmPjNS0_8identityIvEEEE10hipError_tT2_T3_mT4_P12ihipStream_tbEUlT_E_NS1_11comp_targetILNS1_3genE2ELNS1_11target_archE906ELNS1_3gpuE6ELNS1_3repE0EEENS1_30default_config_static_selectorELNS0_4arch9wavefront6targetE1EEEvT1_,comdat
.Lfunc_end17:
	.size	_ZN7rocprim17ROCPRIM_400000_NS6detail17trampoline_kernelINS0_14default_configENS1_25transform_config_selectorImLb1EEEZNS1_14transform_implILb1ES3_S5_PmPjNS0_8identityIvEEEE10hipError_tT2_T3_mT4_P12ihipStream_tbEUlT_E_NS1_11comp_targetILNS1_3genE2ELNS1_11target_archE906ELNS1_3gpuE6ELNS1_3repE0EEENS1_30default_config_static_selectorELNS0_4arch9wavefront6targetE1EEEvT1_, .Lfunc_end17-_ZN7rocprim17ROCPRIM_400000_NS6detail17trampoline_kernelINS0_14default_configENS1_25transform_config_selectorImLb1EEEZNS1_14transform_implILb1ES3_S5_PmPjNS0_8identityIvEEEE10hipError_tT2_T3_mT4_P12ihipStream_tbEUlT_E_NS1_11comp_targetILNS1_3genE2ELNS1_11target_archE906ELNS1_3gpuE6ELNS1_3repE0EEENS1_30default_config_static_selectorELNS0_4arch9wavefront6targetE1EEEvT1_
                                        ; -- End function
	.set _ZN7rocprim17ROCPRIM_400000_NS6detail17trampoline_kernelINS0_14default_configENS1_25transform_config_selectorImLb1EEEZNS1_14transform_implILb1ES3_S5_PmPjNS0_8identityIvEEEE10hipError_tT2_T3_mT4_P12ihipStream_tbEUlT_E_NS1_11comp_targetILNS1_3genE2ELNS1_11target_archE906ELNS1_3gpuE6ELNS1_3repE0EEENS1_30default_config_static_selectorELNS0_4arch9wavefront6targetE1EEEvT1_.num_vgpr, 2
	.set _ZN7rocprim17ROCPRIM_400000_NS6detail17trampoline_kernelINS0_14default_configENS1_25transform_config_selectorImLb1EEEZNS1_14transform_implILb1ES3_S5_PmPjNS0_8identityIvEEEE10hipError_tT2_T3_mT4_P12ihipStream_tbEUlT_E_NS1_11comp_targetILNS1_3genE2ELNS1_11target_archE906ELNS1_3gpuE6ELNS1_3repE0EEENS1_30default_config_static_selectorELNS0_4arch9wavefront6targetE1EEEvT1_.num_agpr, 0
	.set _ZN7rocprim17ROCPRIM_400000_NS6detail17trampoline_kernelINS0_14default_configENS1_25transform_config_selectorImLb1EEEZNS1_14transform_implILb1ES3_S5_PmPjNS0_8identityIvEEEE10hipError_tT2_T3_mT4_P12ihipStream_tbEUlT_E_NS1_11comp_targetILNS1_3genE2ELNS1_11target_archE906ELNS1_3gpuE6ELNS1_3repE0EEENS1_30default_config_static_selectorELNS0_4arch9wavefront6targetE1EEEvT1_.numbered_sgpr, 12
	.set _ZN7rocprim17ROCPRIM_400000_NS6detail17trampoline_kernelINS0_14default_configENS1_25transform_config_selectorImLb1EEEZNS1_14transform_implILb1ES3_S5_PmPjNS0_8identityIvEEEE10hipError_tT2_T3_mT4_P12ihipStream_tbEUlT_E_NS1_11comp_targetILNS1_3genE2ELNS1_11target_archE906ELNS1_3gpuE6ELNS1_3repE0EEENS1_30default_config_static_selectorELNS0_4arch9wavefront6targetE1EEEvT1_.num_named_barrier, 0
	.set _ZN7rocprim17ROCPRIM_400000_NS6detail17trampoline_kernelINS0_14default_configENS1_25transform_config_selectorImLb1EEEZNS1_14transform_implILb1ES3_S5_PmPjNS0_8identityIvEEEE10hipError_tT2_T3_mT4_P12ihipStream_tbEUlT_E_NS1_11comp_targetILNS1_3genE2ELNS1_11target_archE906ELNS1_3gpuE6ELNS1_3repE0EEENS1_30default_config_static_selectorELNS0_4arch9wavefront6targetE1EEEvT1_.private_seg_size, 0
	.set _ZN7rocprim17ROCPRIM_400000_NS6detail17trampoline_kernelINS0_14default_configENS1_25transform_config_selectorImLb1EEEZNS1_14transform_implILb1ES3_S5_PmPjNS0_8identityIvEEEE10hipError_tT2_T3_mT4_P12ihipStream_tbEUlT_E_NS1_11comp_targetILNS1_3genE2ELNS1_11target_archE906ELNS1_3gpuE6ELNS1_3repE0EEENS1_30default_config_static_selectorELNS0_4arch9wavefront6targetE1EEEvT1_.uses_vcc, 1
	.set _ZN7rocprim17ROCPRIM_400000_NS6detail17trampoline_kernelINS0_14default_configENS1_25transform_config_selectorImLb1EEEZNS1_14transform_implILb1ES3_S5_PmPjNS0_8identityIvEEEE10hipError_tT2_T3_mT4_P12ihipStream_tbEUlT_E_NS1_11comp_targetILNS1_3genE2ELNS1_11target_archE906ELNS1_3gpuE6ELNS1_3repE0EEENS1_30default_config_static_selectorELNS0_4arch9wavefront6targetE1EEEvT1_.uses_flat_scratch, 0
	.set _ZN7rocprim17ROCPRIM_400000_NS6detail17trampoline_kernelINS0_14default_configENS1_25transform_config_selectorImLb1EEEZNS1_14transform_implILb1ES3_S5_PmPjNS0_8identityIvEEEE10hipError_tT2_T3_mT4_P12ihipStream_tbEUlT_E_NS1_11comp_targetILNS1_3genE2ELNS1_11target_archE906ELNS1_3gpuE6ELNS1_3repE0EEENS1_30default_config_static_selectorELNS0_4arch9wavefront6targetE1EEEvT1_.has_dyn_sized_stack, 0
	.set _ZN7rocprim17ROCPRIM_400000_NS6detail17trampoline_kernelINS0_14default_configENS1_25transform_config_selectorImLb1EEEZNS1_14transform_implILb1ES3_S5_PmPjNS0_8identityIvEEEE10hipError_tT2_T3_mT4_P12ihipStream_tbEUlT_E_NS1_11comp_targetILNS1_3genE2ELNS1_11target_archE906ELNS1_3gpuE6ELNS1_3repE0EEENS1_30default_config_static_selectorELNS0_4arch9wavefront6targetE1EEEvT1_.has_recursion, 0
	.set _ZN7rocprim17ROCPRIM_400000_NS6detail17trampoline_kernelINS0_14default_configENS1_25transform_config_selectorImLb1EEEZNS1_14transform_implILb1ES3_S5_PmPjNS0_8identityIvEEEE10hipError_tT2_T3_mT4_P12ihipStream_tbEUlT_E_NS1_11comp_targetILNS1_3genE2ELNS1_11target_archE906ELNS1_3gpuE6ELNS1_3repE0EEENS1_30default_config_static_selectorELNS0_4arch9wavefront6targetE1EEEvT1_.has_indirect_call, 0
	.section	.AMDGPU.csdata,"",@progbits
; Kernel info:
; codeLenInByte = 160
; TotalNumSgprs: 16
; NumVgprs: 2
; ScratchSize: 0
; MemoryBound: 0
; FloatMode: 240
; IeeeMode: 1
; LDSByteSize: 0 bytes/workgroup (compile time only)
; SGPRBlocks: 1
; VGPRBlocks: 0
; NumSGPRsForWavesPerEU: 16
; NumVGPRsForWavesPerEU: 2
; Occupancy: 10
; WaveLimiterHint : 0
; COMPUTE_PGM_RSRC2:SCRATCH_EN: 0
; COMPUTE_PGM_RSRC2:USER_SGPR: 6
; COMPUTE_PGM_RSRC2:TRAP_HANDLER: 0
; COMPUTE_PGM_RSRC2:TGID_X_EN: 1
; COMPUTE_PGM_RSRC2:TGID_Y_EN: 0
; COMPUTE_PGM_RSRC2:TGID_Z_EN: 0
; COMPUTE_PGM_RSRC2:TIDIG_COMP_CNT: 0
	.section	.text._ZN7rocprim17ROCPRIM_400000_NS6detail17trampoline_kernelINS0_14default_configENS1_25transform_config_selectorImLb1EEEZNS1_14transform_implILb1ES3_S5_PmPjNS0_8identityIvEEEE10hipError_tT2_T3_mT4_P12ihipStream_tbEUlT_E_NS1_11comp_targetILNS1_3genE9ELNS1_11target_archE1100ELNS1_3gpuE3ELNS1_3repE0EEENS1_30default_config_static_selectorELNS0_4arch9wavefront6targetE1EEEvT1_,"axG",@progbits,_ZN7rocprim17ROCPRIM_400000_NS6detail17trampoline_kernelINS0_14default_configENS1_25transform_config_selectorImLb1EEEZNS1_14transform_implILb1ES3_S5_PmPjNS0_8identityIvEEEE10hipError_tT2_T3_mT4_P12ihipStream_tbEUlT_E_NS1_11comp_targetILNS1_3genE9ELNS1_11target_archE1100ELNS1_3gpuE3ELNS1_3repE0EEENS1_30default_config_static_selectorELNS0_4arch9wavefront6targetE1EEEvT1_,comdat
	.protected	_ZN7rocprim17ROCPRIM_400000_NS6detail17trampoline_kernelINS0_14default_configENS1_25transform_config_selectorImLb1EEEZNS1_14transform_implILb1ES3_S5_PmPjNS0_8identityIvEEEE10hipError_tT2_T3_mT4_P12ihipStream_tbEUlT_E_NS1_11comp_targetILNS1_3genE9ELNS1_11target_archE1100ELNS1_3gpuE3ELNS1_3repE0EEENS1_30default_config_static_selectorELNS0_4arch9wavefront6targetE1EEEvT1_ ; -- Begin function _ZN7rocprim17ROCPRIM_400000_NS6detail17trampoline_kernelINS0_14default_configENS1_25transform_config_selectorImLb1EEEZNS1_14transform_implILb1ES3_S5_PmPjNS0_8identityIvEEEE10hipError_tT2_T3_mT4_P12ihipStream_tbEUlT_E_NS1_11comp_targetILNS1_3genE9ELNS1_11target_archE1100ELNS1_3gpuE3ELNS1_3repE0EEENS1_30default_config_static_selectorELNS0_4arch9wavefront6targetE1EEEvT1_
	.globl	_ZN7rocprim17ROCPRIM_400000_NS6detail17trampoline_kernelINS0_14default_configENS1_25transform_config_selectorImLb1EEEZNS1_14transform_implILb1ES3_S5_PmPjNS0_8identityIvEEEE10hipError_tT2_T3_mT4_P12ihipStream_tbEUlT_E_NS1_11comp_targetILNS1_3genE9ELNS1_11target_archE1100ELNS1_3gpuE3ELNS1_3repE0EEENS1_30default_config_static_selectorELNS0_4arch9wavefront6targetE1EEEvT1_
	.p2align	8
	.type	_ZN7rocprim17ROCPRIM_400000_NS6detail17trampoline_kernelINS0_14default_configENS1_25transform_config_selectorImLb1EEEZNS1_14transform_implILb1ES3_S5_PmPjNS0_8identityIvEEEE10hipError_tT2_T3_mT4_P12ihipStream_tbEUlT_E_NS1_11comp_targetILNS1_3genE9ELNS1_11target_archE1100ELNS1_3gpuE3ELNS1_3repE0EEENS1_30default_config_static_selectorELNS0_4arch9wavefront6targetE1EEEvT1_,@function
_ZN7rocprim17ROCPRIM_400000_NS6detail17trampoline_kernelINS0_14default_configENS1_25transform_config_selectorImLb1EEEZNS1_14transform_implILb1ES3_S5_PmPjNS0_8identityIvEEEE10hipError_tT2_T3_mT4_P12ihipStream_tbEUlT_E_NS1_11comp_targetILNS1_3genE9ELNS1_11target_archE1100ELNS1_3gpuE3ELNS1_3repE0EEENS1_30default_config_static_selectorELNS0_4arch9wavefront6targetE1EEEvT1_: ; @_ZN7rocprim17ROCPRIM_400000_NS6detail17trampoline_kernelINS0_14default_configENS1_25transform_config_selectorImLb1EEEZNS1_14transform_implILb1ES3_S5_PmPjNS0_8identityIvEEEE10hipError_tT2_T3_mT4_P12ihipStream_tbEUlT_E_NS1_11comp_targetILNS1_3genE9ELNS1_11target_archE1100ELNS1_3gpuE3ELNS1_3repE0EEENS1_30default_config_static_selectorELNS0_4arch9wavefront6targetE1EEEvT1_
; %bb.0:
	.section	.rodata,"a",@progbits
	.p2align	6, 0x0
	.amdhsa_kernel _ZN7rocprim17ROCPRIM_400000_NS6detail17trampoline_kernelINS0_14default_configENS1_25transform_config_selectorImLb1EEEZNS1_14transform_implILb1ES3_S5_PmPjNS0_8identityIvEEEE10hipError_tT2_T3_mT4_P12ihipStream_tbEUlT_E_NS1_11comp_targetILNS1_3genE9ELNS1_11target_archE1100ELNS1_3gpuE3ELNS1_3repE0EEENS1_30default_config_static_selectorELNS0_4arch9wavefront6targetE1EEEvT1_
		.amdhsa_group_segment_fixed_size 0
		.amdhsa_private_segment_fixed_size 0
		.amdhsa_kernarg_size 40
		.amdhsa_user_sgpr_count 6
		.amdhsa_user_sgpr_private_segment_buffer 1
		.amdhsa_user_sgpr_dispatch_ptr 0
		.amdhsa_user_sgpr_queue_ptr 0
		.amdhsa_user_sgpr_kernarg_segment_ptr 1
		.amdhsa_user_sgpr_dispatch_id 0
		.amdhsa_user_sgpr_flat_scratch_init 0
		.amdhsa_user_sgpr_private_segment_size 0
		.amdhsa_uses_dynamic_stack 0
		.amdhsa_system_sgpr_private_segment_wavefront_offset 0
		.amdhsa_system_sgpr_workgroup_id_x 1
		.amdhsa_system_sgpr_workgroup_id_y 0
		.amdhsa_system_sgpr_workgroup_id_z 0
		.amdhsa_system_sgpr_workgroup_info 0
		.amdhsa_system_vgpr_workitem_id 0
		.amdhsa_next_free_vgpr 1
		.amdhsa_next_free_sgpr 0
		.amdhsa_reserve_vcc 0
		.amdhsa_reserve_flat_scratch 0
		.amdhsa_float_round_mode_32 0
		.amdhsa_float_round_mode_16_64 0
		.amdhsa_float_denorm_mode_32 3
		.amdhsa_float_denorm_mode_16_64 3
		.amdhsa_dx10_clamp 1
		.amdhsa_ieee_mode 1
		.amdhsa_fp16_overflow 0
		.amdhsa_exception_fp_ieee_invalid_op 0
		.amdhsa_exception_fp_denorm_src 0
		.amdhsa_exception_fp_ieee_div_zero 0
		.amdhsa_exception_fp_ieee_overflow 0
		.amdhsa_exception_fp_ieee_underflow 0
		.amdhsa_exception_fp_ieee_inexact 0
		.amdhsa_exception_int_div_zero 0
	.end_amdhsa_kernel
	.section	.text._ZN7rocprim17ROCPRIM_400000_NS6detail17trampoline_kernelINS0_14default_configENS1_25transform_config_selectorImLb1EEEZNS1_14transform_implILb1ES3_S5_PmPjNS0_8identityIvEEEE10hipError_tT2_T3_mT4_P12ihipStream_tbEUlT_E_NS1_11comp_targetILNS1_3genE9ELNS1_11target_archE1100ELNS1_3gpuE3ELNS1_3repE0EEENS1_30default_config_static_selectorELNS0_4arch9wavefront6targetE1EEEvT1_,"axG",@progbits,_ZN7rocprim17ROCPRIM_400000_NS6detail17trampoline_kernelINS0_14default_configENS1_25transform_config_selectorImLb1EEEZNS1_14transform_implILb1ES3_S5_PmPjNS0_8identityIvEEEE10hipError_tT2_T3_mT4_P12ihipStream_tbEUlT_E_NS1_11comp_targetILNS1_3genE9ELNS1_11target_archE1100ELNS1_3gpuE3ELNS1_3repE0EEENS1_30default_config_static_selectorELNS0_4arch9wavefront6targetE1EEEvT1_,comdat
.Lfunc_end18:
	.size	_ZN7rocprim17ROCPRIM_400000_NS6detail17trampoline_kernelINS0_14default_configENS1_25transform_config_selectorImLb1EEEZNS1_14transform_implILb1ES3_S5_PmPjNS0_8identityIvEEEE10hipError_tT2_T3_mT4_P12ihipStream_tbEUlT_E_NS1_11comp_targetILNS1_3genE9ELNS1_11target_archE1100ELNS1_3gpuE3ELNS1_3repE0EEENS1_30default_config_static_selectorELNS0_4arch9wavefront6targetE1EEEvT1_, .Lfunc_end18-_ZN7rocprim17ROCPRIM_400000_NS6detail17trampoline_kernelINS0_14default_configENS1_25transform_config_selectorImLb1EEEZNS1_14transform_implILb1ES3_S5_PmPjNS0_8identityIvEEEE10hipError_tT2_T3_mT4_P12ihipStream_tbEUlT_E_NS1_11comp_targetILNS1_3genE9ELNS1_11target_archE1100ELNS1_3gpuE3ELNS1_3repE0EEENS1_30default_config_static_selectorELNS0_4arch9wavefront6targetE1EEEvT1_
                                        ; -- End function
	.set _ZN7rocprim17ROCPRIM_400000_NS6detail17trampoline_kernelINS0_14default_configENS1_25transform_config_selectorImLb1EEEZNS1_14transform_implILb1ES3_S5_PmPjNS0_8identityIvEEEE10hipError_tT2_T3_mT4_P12ihipStream_tbEUlT_E_NS1_11comp_targetILNS1_3genE9ELNS1_11target_archE1100ELNS1_3gpuE3ELNS1_3repE0EEENS1_30default_config_static_selectorELNS0_4arch9wavefront6targetE1EEEvT1_.num_vgpr, 0
	.set _ZN7rocprim17ROCPRIM_400000_NS6detail17trampoline_kernelINS0_14default_configENS1_25transform_config_selectorImLb1EEEZNS1_14transform_implILb1ES3_S5_PmPjNS0_8identityIvEEEE10hipError_tT2_T3_mT4_P12ihipStream_tbEUlT_E_NS1_11comp_targetILNS1_3genE9ELNS1_11target_archE1100ELNS1_3gpuE3ELNS1_3repE0EEENS1_30default_config_static_selectorELNS0_4arch9wavefront6targetE1EEEvT1_.num_agpr, 0
	.set _ZN7rocprim17ROCPRIM_400000_NS6detail17trampoline_kernelINS0_14default_configENS1_25transform_config_selectorImLb1EEEZNS1_14transform_implILb1ES3_S5_PmPjNS0_8identityIvEEEE10hipError_tT2_T3_mT4_P12ihipStream_tbEUlT_E_NS1_11comp_targetILNS1_3genE9ELNS1_11target_archE1100ELNS1_3gpuE3ELNS1_3repE0EEENS1_30default_config_static_selectorELNS0_4arch9wavefront6targetE1EEEvT1_.numbered_sgpr, 0
	.set _ZN7rocprim17ROCPRIM_400000_NS6detail17trampoline_kernelINS0_14default_configENS1_25transform_config_selectorImLb1EEEZNS1_14transform_implILb1ES3_S5_PmPjNS0_8identityIvEEEE10hipError_tT2_T3_mT4_P12ihipStream_tbEUlT_E_NS1_11comp_targetILNS1_3genE9ELNS1_11target_archE1100ELNS1_3gpuE3ELNS1_3repE0EEENS1_30default_config_static_selectorELNS0_4arch9wavefront6targetE1EEEvT1_.num_named_barrier, 0
	.set _ZN7rocprim17ROCPRIM_400000_NS6detail17trampoline_kernelINS0_14default_configENS1_25transform_config_selectorImLb1EEEZNS1_14transform_implILb1ES3_S5_PmPjNS0_8identityIvEEEE10hipError_tT2_T3_mT4_P12ihipStream_tbEUlT_E_NS1_11comp_targetILNS1_3genE9ELNS1_11target_archE1100ELNS1_3gpuE3ELNS1_3repE0EEENS1_30default_config_static_selectorELNS0_4arch9wavefront6targetE1EEEvT1_.private_seg_size, 0
	.set _ZN7rocprim17ROCPRIM_400000_NS6detail17trampoline_kernelINS0_14default_configENS1_25transform_config_selectorImLb1EEEZNS1_14transform_implILb1ES3_S5_PmPjNS0_8identityIvEEEE10hipError_tT2_T3_mT4_P12ihipStream_tbEUlT_E_NS1_11comp_targetILNS1_3genE9ELNS1_11target_archE1100ELNS1_3gpuE3ELNS1_3repE0EEENS1_30default_config_static_selectorELNS0_4arch9wavefront6targetE1EEEvT1_.uses_vcc, 0
	.set _ZN7rocprim17ROCPRIM_400000_NS6detail17trampoline_kernelINS0_14default_configENS1_25transform_config_selectorImLb1EEEZNS1_14transform_implILb1ES3_S5_PmPjNS0_8identityIvEEEE10hipError_tT2_T3_mT4_P12ihipStream_tbEUlT_E_NS1_11comp_targetILNS1_3genE9ELNS1_11target_archE1100ELNS1_3gpuE3ELNS1_3repE0EEENS1_30default_config_static_selectorELNS0_4arch9wavefront6targetE1EEEvT1_.uses_flat_scratch, 0
	.set _ZN7rocprim17ROCPRIM_400000_NS6detail17trampoline_kernelINS0_14default_configENS1_25transform_config_selectorImLb1EEEZNS1_14transform_implILb1ES3_S5_PmPjNS0_8identityIvEEEE10hipError_tT2_T3_mT4_P12ihipStream_tbEUlT_E_NS1_11comp_targetILNS1_3genE9ELNS1_11target_archE1100ELNS1_3gpuE3ELNS1_3repE0EEENS1_30default_config_static_selectorELNS0_4arch9wavefront6targetE1EEEvT1_.has_dyn_sized_stack, 0
	.set _ZN7rocprim17ROCPRIM_400000_NS6detail17trampoline_kernelINS0_14default_configENS1_25transform_config_selectorImLb1EEEZNS1_14transform_implILb1ES3_S5_PmPjNS0_8identityIvEEEE10hipError_tT2_T3_mT4_P12ihipStream_tbEUlT_E_NS1_11comp_targetILNS1_3genE9ELNS1_11target_archE1100ELNS1_3gpuE3ELNS1_3repE0EEENS1_30default_config_static_selectorELNS0_4arch9wavefront6targetE1EEEvT1_.has_recursion, 0
	.set _ZN7rocprim17ROCPRIM_400000_NS6detail17trampoline_kernelINS0_14default_configENS1_25transform_config_selectorImLb1EEEZNS1_14transform_implILb1ES3_S5_PmPjNS0_8identityIvEEEE10hipError_tT2_T3_mT4_P12ihipStream_tbEUlT_E_NS1_11comp_targetILNS1_3genE9ELNS1_11target_archE1100ELNS1_3gpuE3ELNS1_3repE0EEENS1_30default_config_static_selectorELNS0_4arch9wavefront6targetE1EEEvT1_.has_indirect_call, 0
	.section	.AMDGPU.csdata,"",@progbits
; Kernel info:
; codeLenInByte = 0
; TotalNumSgprs: 4
; NumVgprs: 0
; ScratchSize: 0
; MemoryBound: 0
; FloatMode: 240
; IeeeMode: 1
; LDSByteSize: 0 bytes/workgroup (compile time only)
; SGPRBlocks: 0
; VGPRBlocks: 0
; NumSGPRsForWavesPerEU: 4
; NumVGPRsForWavesPerEU: 1
; Occupancy: 10
; WaveLimiterHint : 0
; COMPUTE_PGM_RSRC2:SCRATCH_EN: 0
; COMPUTE_PGM_RSRC2:USER_SGPR: 6
; COMPUTE_PGM_RSRC2:TRAP_HANDLER: 0
; COMPUTE_PGM_RSRC2:TGID_X_EN: 1
; COMPUTE_PGM_RSRC2:TGID_Y_EN: 0
; COMPUTE_PGM_RSRC2:TGID_Z_EN: 0
; COMPUTE_PGM_RSRC2:TIDIG_COMP_CNT: 0
	.section	.text._ZN7rocprim17ROCPRIM_400000_NS6detail17trampoline_kernelINS0_14default_configENS1_25transform_config_selectorImLb1EEEZNS1_14transform_implILb1ES3_S5_PmPjNS0_8identityIvEEEE10hipError_tT2_T3_mT4_P12ihipStream_tbEUlT_E_NS1_11comp_targetILNS1_3genE8ELNS1_11target_archE1030ELNS1_3gpuE2ELNS1_3repE0EEENS1_30default_config_static_selectorELNS0_4arch9wavefront6targetE1EEEvT1_,"axG",@progbits,_ZN7rocprim17ROCPRIM_400000_NS6detail17trampoline_kernelINS0_14default_configENS1_25transform_config_selectorImLb1EEEZNS1_14transform_implILb1ES3_S5_PmPjNS0_8identityIvEEEE10hipError_tT2_T3_mT4_P12ihipStream_tbEUlT_E_NS1_11comp_targetILNS1_3genE8ELNS1_11target_archE1030ELNS1_3gpuE2ELNS1_3repE0EEENS1_30default_config_static_selectorELNS0_4arch9wavefront6targetE1EEEvT1_,comdat
	.protected	_ZN7rocprim17ROCPRIM_400000_NS6detail17trampoline_kernelINS0_14default_configENS1_25transform_config_selectorImLb1EEEZNS1_14transform_implILb1ES3_S5_PmPjNS0_8identityIvEEEE10hipError_tT2_T3_mT4_P12ihipStream_tbEUlT_E_NS1_11comp_targetILNS1_3genE8ELNS1_11target_archE1030ELNS1_3gpuE2ELNS1_3repE0EEENS1_30default_config_static_selectorELNS0_4arch9wavefront6targetE1EEEvT1_ ; -- Begin function _ZN7rocprim17ROCPRIM_400000_NS6detail17trampoline_kernelINS0_14default_configENS1_25transform_config_selectorImLb1EEEZNS1_14transform_implILb1ES3_S5_PmPjNS0_8identityIvEEEE10hipError_tT2_T3_mT4_P12ihipStream_tbEUlT_E_NS1_11comp_targetILNS1_3genE8ELNS1_11target_archE1030ELNS1_3gpuE2ELNS1_3repE0EEENS1_30default_config_static_selectorELNS0_4arch9wavefront6targetE1EEEvT1_
	.globl	_ZN7rocprim17ROCPRIM_400000_NS6detail17trampoline_kernelINS0_14default_configENS1_25transform_config_selectorImLb1EEEZNS1_14transform_implILb1ES3_S5_PmPjNS0_8identityIvEEEE10hipError_tT2_T3_mT4_P12ihipStream_tbEUlT_E_NS1_11comp_targetILNS1_3genE8ELNS1_11target_archE1030ELNS1_3gpuE2ELNS1_3repE0EEENS1_30default_config_static_selectorELNS0_4arch9wavefront6targetE1EEEvT1_
	.p2align	8
	.type	_ZN7rocprim17ROCPRIM_400000_NS6detail17trampoline_kernelINS0_14default_configENS1_25transform_config_selectorImLb1EEEZNS1_14transform_implILb1ES3_S5_PmPjNS0_8identityIvEEEE10hipError_tT2_T3_mT4_P12ihipStream_tbEUlT_E_NS1_11comp_targetILNS1_3genE8ELNS1_11target_archE1030ELNS1_3gpuE2ELNS1_3repE0EEENS1_30default_config_static_selectorELNS0_4arch9wavefront6targetE1EEEvT1_,@function
_ZN7rocprim17ROCPRIM_400000_NS6detail17trampoline_kernelINS0_14default_configENS1_25transform_config_selectorImLb1EEEZNS1_14transform_implILb1ES3_S5_PmPjNS0_8identityIvEEEE10hipError_tT2_T3_mT4_P12ihipStream_tbEUlT_E_NS1_11comp_targetILNS1_3genE8ELNS1_11target_archE1030ELNS1_3gpuE2ELNS1_3repE0EEENS1_30default_config_static_selectorELNS0_4arch9wavefront6targetE1EEEvT1_: ; @_ZN7rocprim17ROCPRIM_400000_NS6detail17trampoline_kernelINS0_14default_configENS1_25transform_config_selectorImLb1EEEZNS1_14transform_implILb1ES3_S5_PmPjNS0_8identityIvEEEE10hipError_tT2_T3_mT4_P12ihipStream_tbEUlT_E_NS1_11comp_targetILNS1_3genE8ELNS1_11target_archE1030ELNS1_3gpuE2ELNS1_3repE0EEENS1_30default_config_static_selectorELNS0_4arch9wavefront6targetE1EEEvT1_
; %bb.0:
	.section	.rodata,"a",@progbits
	.p2align	6, 0x0
	.amdhsa_kernel _ZN7rocprim17ROCPRIM_400000_NS6detail17trampoline_kernelINS0_14default_configENS1_25transform_config_selectorImLb1EEEZNS1_14transform_implILb1ES3_S5_PmPjNS0_8identityIvEEEE10hipError_tT2_T3_mT4_P12ihipStream_tbEUlT_E_NS1_11comp_targetILNS1_3genE8ELNS1_11target_archE1030ELNS1_3gpuE2ELNS1_3repE0EEENS1_30default_config_static_selectorELNS0_4arch9wavefront6targetE1EEEvT1_
		.amdhsa_group_segment_fixed_size 0
		.amdhsa_private_segment_fixed_size 0
		.amdhsa_kernarg_size 40
		.amdhsa_user_sgpr_count 6
		.amdhsa_user_sgpr_private_segment_buffer 1
		.amdhsa_user_sgpr_dispatch_ptr 0
		.amdhsa_user_sgpr_queue_ptr 0
		.amdhsa_user_sgpr_kernarg_segment_ptr 1
		.amdhsa_user_sgpr_dispatch_id 0
		.amdhsa_user_sgpr_flat_scratch_init 0
		.amdhsa_user_sgpr_private_segment_size 0
		.amdhsa_uses_dynamic_stack 0
		.amdhsa_system_sgpr_private_segment_wavefront_offset 0
		.amdhsa_system_sgpr_workgroup_id_x 1
		.amdhsa_system_sgpr_workgroup_id_y 0
		.amdhsa_system_sgpr_workgroup_id_z 0
		.amdhsa_system_sgpr_workgroup_info 0
		.amdhsa_system_vgpr_workitem_id 0
		.amdhsa_next_free_vgpr 1
		.amdhsa_next_free_sgpr 0
		.amdhsa_reserve_vcc 0
		.amdhsa_reserve_flat_scratch 0
		.amdhsa_float_round_mode_32 0
		.amdhsa_float_round_mode_16_64 0
		.amdhsa_float_denorm_mode_32 3
		.amdhsa_float_denorm_mode_16_64 3
		.amdhsa_dx10_clamp 1
		.amdhsa_ieee_mode 1
		.amdhsa_fp16_overflow 0
		.amdhsa_exception_fp_ieee_invalid_op 0
		.amdhsa_exception_fp_denorm_src 0
		.amdhsa_exception_fp_ieee_div_zero 0
		.amdhsa_exception_fp_ieee_overflow 0
		.amdhsa_exception_fp_ieee_underflow 0
		.amdhsa_exception_fp_ieee_inexact 0
		.amdhsa_exception_int_div_zero 0
	.end_amdhsa_kernel
	.section	.text._ZN7rocprim17ROCPRIM_400000_NS6detail17trampoline_kernelINS0_14default_configENS1_25transform_config_selectorImLb1EEEZNS1_14transform_implILb1ES3_S5_PmPjNS0_8identityIvEEEE10hipError_tT2_T3_mT4_P12ihipStream_tbEUlT_E_NS1_11comp_targetILNS1_3genE8ELNS1_11target_archE1030ELNS1_3gpuE2ELNS1_3repE0EEENS1_30default_config_static_selectorELNS0_4arch9wavefront6targetE1EEEvT1_,"axG",@progbits,_ZN7rocprim17ROCPRIM_400000_NS6detail17trampoline_kernelINS0_14default_configENS1_25transform_config_selectorImLb1EEEZNS1_14transform_implILb1ES3_S5_PmPjNS0_8identityIvEEEE10hipError_tT2_T3_mT4_P12ihipStream_tbEUlT_E_NS1_11comp_targetILNS1_3genE8ELNS1_11target_archE1030ELNS1_3gpuE2ELNS1_3repE0EEENS1_30default_config_static_selectorELNS0_4arch9wavefront6targetE1EEEvT1_,comdat
.Lfunc_end19:
	.size	_ZN7rocprim17ROCPRIM_400000_NS6detail17trampoline_kernelINS0_14default_configENS1_25transform_config_selectorImLb1EEEZNS1_14transform_implILb1ES3_S5_PmPjNS0_8identityIvEEEE10hipError_tT2_T3_mT4_P12ihipStream_tbEUlT_E_NS1_11comp_targetILNS1_3genE8ELNS1_11target_archE1030ELNS1_3gpuE2ELNS1_3repE0EEENS1_30default_config_static_selectorELNS0_4arch9wavefront6targetE1EEEvT1_, .Lfunc_end19-_ZN7rocprim17ROCPRIM_400000_NS6detail17trampoline_kernelINS0_14default_configENS1_25transform_config_selectorImLb1EEEZNS1_14transform_implILb1ES3_S5_PmPjNS0_8identityIvEEEE10hipError_tT2_T3_mT4_P12ihipStream_tbEUlT_E_NS1_11comp_targetILNS1_3genE8ELNS1_11target_archE1030ELNS1_3gpuE2ELNS1_3repE0EEENS1_30default_config_static_selectorELNS0_4arch9wavefront6targetE1EEEvT1_
                                        ; -- End function
	.set _ZN7rocprim17ROCPRIM_400000_NS6detail17trampoline_kernelINS0_14default_configENS1_25transform_config_selectorImLb1EEEZNS1_14transform_implILb1ES3_S5_PmPjNS0_8identityIvEEEE10hipError_tT2_T3_mT4_P12ihipStream_tbEUlT_E_NS1_11comp_targetILNS1_3genE8ELNS1_11target_archE1030ELNS1_3gpuE2ELNS1_3repE0EEENS1_30default_config_static_selectorELNS0_4arch9wavefront6targetE1EEEvT1_.num_vgpr, 0
	.set _ZN7rocprim17ROCPRIM_400000_NS6detail17trampoline_kernelINS0_14default_configENS1_25transform_config_selectorImLb1EEEZNS1_14transform_implILb1ES3_S5_PmPjNS0_8identityIvEEEE10hipError_tT2_T3_mT4_P12ihipStream_tbEUlT_E_NS1_11comp_targetILNS1_3genE8ELNS1_11target_archE1030ELNS1_3gpuE2ELNS1_3repE0EEENS1_30default_config_static_selectorELNS0_4arch9wavefront6targetE1EEEvT1_.num_agpr, 0
	.set _ZN7rocprim17ROCPRIM_400000_NS6detail17trampoline_kernelINS0_14default_configENS1_25transform_config_selectorImLb1EEEZNS1_14transform_implILb1ES3_S5_PmPjNS0_8identityIvEEEE10hipError_tT2_T3_mT4_P12ihipStream_tbEUlT_E_NS1_11comp_targetILNS1_3genE8ELNS1_11target_archE1030ELNS1_3gpuE2ELNS1_3repE0EEENS1_30default_config_static_selectorELNS0_4arch9wavefront6targetE1EEEvT1_.numbered_sgpr, 0
	.set _ZN7rocprim17ROCPRIM_400000_NS6detail17trampoline_kernelINS0_14default_configENS1_25transform_config_selectorImLb1EEEZNS1_14transform_implILb1ES3_S5_PmPjNS0_8identityIvEEEE10hipError_tT2_T3_mT4_P12ihipStream_tbEUlT_E_NS1_11comp_targetILNS1_3genE8ELNS1_11target_archE1030ELNS1_3gpuE2ELNS1_3repE0EEENS1_30default_config_static_selectorELNS0_4arch9wavefront6targetE1EEEvT1_.num_named_barrier, 0
	.set _ZN7rocprim17ROCPRIM_400000_NS6detail17trampoline_kernelINS0_14default_configENS1_25transform_config_selectorImLb1EEEZNS1_14transform_implILb1ES3_S5_PmPjNS0_8identityIvEEEE10hipError_tT2_T3_mT4_P12ihipStream_tbEUlT_E_NS1_11comp_targetILNS1_3genE8ELNS1_11target_archE1030ELNS1_3gpuE2ELNS1_3repE0EEENS1_30default_config_static_selectorELNS0_4arch9wavefront6targetE1EEEvT1_.private_seg_size, 0
	.set _ZN7rocprim17ROCPRIM_400000_NS6detail17trampoline_kernelINS0_14default_configENS1_25transform_config_selectorImLb1EEEZNS1_14transform_implILb1ES3_S5_PmPjNS0_8identityIvEEEE10hipError_tT2_T3_mT4_P12ihipStream_tbEUlT_E_NS1_11comp_targetILNS1_3genE8ELNS1_11target_archE1030ELNS1_3gpuE2ELNS1_3repE0EEENS1_30default_config_static_selectorELNS0_4arch9wavefront6targetE1EEEvT1_.uses_vcc, 0
	.set _ZN7rocprim17ROCPRIM_400000_NS6detail17trampoline_kernelINS0_14default_configENS1_25transform_config_selectorImLb1EEEZNS1_14transform_implILb1ES3_S5_PmPjNS0_8identityIvEEEE10hipError_tT2_T3_mT4_P12ihipStream_tbEUlT_E_NS1_11comp_targetILNS1_3genE8ELNS1_11target_archE1030ELNS1_3gpuE2ELNS1_3repE0EEENS1_30default_config_static_selectorELNS0_4arch9wavefront6targetE1EEEvT1_.uses_flat_scratch, 0
	.set _ZN7rocprim17ROCPRIM_400000_NS6detail17trampoline_kernelINS0_14default_configENS1_25transform_config_selectorImLb1EEEZNS1_14transform_implILb1ES3_S5_PmPjNS0_8identityIvEEEE10hipError_tT2_T3_mT4_P12ihipStream_tbEUlT_E_NS1_11comp_targetILNS1_3genE8ELNS1_11target_archE1030ELNS1_3gpuE2ELNS1_3repE0EEENS1_30default_config_static_selectorELNS0_4arch9wavefront6targetE1EEEvT1_.has_dyn_sized_stack, 0
	.set _ZN7rocprim17ROCPRIM_400000_NS6detail17trampoline_kernelINS0_14default_configENS1_25transform_config_selectorImLb1EEEZNS1_14transform_implILb1ES3_S5_PmPjNS0_8identityIvEEEE10hipError_tT2_T3_mT4_P12ihipStream_tbEUlT_E_NS1_11comp_targetILNS1_3genE8ELNS1_11target_archE1030ELNS1_3gpuE2ELNS1_3repE0EEENS1_30default_config_static_selectorELNS0_4arch9wavefront6targetE1EEEvT1_.has_recursion, 0
	.set _ZN7rocprim17ROCPRIM_400000_NS6detail17trampoline_kernelINS0_14default_configENS1_25transform_config_selectorImLb1EEEZNS1_14transform_implILb1ES3_S5_PmPjNS0_8identityIvEEEE10hipError_tT2_T3_mT4_P12ihipStream_tbEUlT_E_NS1_11comp_targetILNS1_3genE8ELNS1_11target_archE1030ELNS1_3gpuE2ELNS1_3repE0EEENS1_30default_config_static_selectorELNS0_4arch9wavefront6targetE1EEEvT1_.has_indirect_call, 0
	.section	.AMDGPU.csdata,"",@progbits
; Kernel info:
; codeLenInByte = 0
; TotalNumSgprs: 4
; NumVgprs: 0
; ScratchSize: 0
; MemoryBound: 0
; FloatMode: 240
; IeeeMode: 1
; LDSByteSize: 0 bytes/workgroup (compile time only)
; SGPRBlocks: 0
; VGPRBlocks: 0
; NumSGPRsForWavesPerEU: 4
; NumVGPRsForWavesPerEU: 1
; Occupancy: 10
; WaveLimiterHint : 0
; COMPUTE_PGM_RSRC2:SCRATCH_EN: 0
; COMPUTE_PGM_RSRC2:USER_SGPR: 6
; COMPUTE_PGM_RSRC2:TRAP_HANDLER: 0
; COMPUTE_PGM_RSRC2:TGID_X_EN: 1
; COMPUTE_PGM_RSRC2:TGID_Y_EN: 0
; COMPUTE_PGM_RSRC2:TGID_Z_EN: 0
; COMPUTE_PGM_RSRC2:TIDIG_COMP_CNT: 0
	.section	.text._ZN7rocprim17ROCPRIM_400000_NS6detail31init_lookback_scan_state_kernelINS1_19lookback_scan_stateI15HIP_vector_typeIjLj2EELb1ELb1EEENS1_16block_id_wrapperIjLb1EEEEEvT_jT0_jPNS9_10value_typeE,"axG",@progbits,_ZN7rocprim17ROCPRIM_400000_NS6detail31init_lookback_scan_state_kernelINS1_19lookback_scan_stateI15HIP_vector_typeIjLj2EELb1ELb1EEENS1_16block_id_wrapperIjLb1EEEEEvT_jT0_jPNS9_10value_typeE,comdat
	.protected	_ZN7rocprim17ROCPRIM_400000_NS6detail31init_lookback_scan_state_kernelINS1_19lookback_scan_stateI15HIP_vector_typeIjLj2EELb1ELb1EEENS1_16block_id_wrapperIjLb1EEEEEvT_jT0_jPNS9_10value_typeE ; -- Begin function _ZN7rocprim17ROCPRIM_400000_NS6detail31init_lookback_scan_state_kernelINS1_19lookback_scan_stateI15HIP_vector_typeIjLj2EELb1ELb1EEENS1_16block_id_wrapperIjLb1EEEEEvT_jT0_jPNS9_10value_typeE
	.globl	_ZN7rocprim17ROCPRIM_400000_NS6detail31init_lookback_scan_state_kernelINS1_19lookback_scan_stateI15HIP_vector_typeIjLj2EELb1ELb1EEENS1_16block_id_wrapperIjLb1EEEEEvT_jT0_jPNS9_10value_typeE
	.p2align	8
	.type	_ZN7rocprim17ROCPRIM_400000_NS6detail31init_lookback_scan_state_kernelINS1_19lookback_scan_stateI15HIP_vector_typeIjLj2EELb1ELb1EEENS1_16block_id_wrapperIjLb1EEEEEvT_jT0_jPNS9_10value_typeE,@function
_ZN7rocprim17ROCPRIM_400000_NS6detail31init_lookback_scan_state_kernelINS1_19lookback_scan_stateI15HIP_vector_typeIjLj2EELb1ELb1EEENS1_16block_id_wrapperIjLb1EEEEEvT_jT0_jPNS9_10value_typeE: ; @_ZN7rocprim17ROCPRIM_400000_NS6detail31init_lookback_scan_state_kernelINS1_19lookback_scan_stateI15HIP_vector_typeIjLj2EELb1ELb1EEENS1_16block_id_wrapperIjLb1EEEEEvT_jT0_jPNS9_10value_typeE
; %bb.0:
	s_load_dword s7, s[4:5], 0x34
	s_load_dwordx2 s[2:3], s[4:5], 0x20
	s_load_dwordx2 s[0:1], s[4:5], 0x0
	s_load_dword s14, s[4:5], 0x8
	s_waitcnt lgkmcnt(0)
	s_and_b32 s7, s7, 0xffff
	s_mul_i32 s6, s6, s7
	s_cmp_eq_u64 s[2:3], 0
	v_add_u32_e32 v0, s6, v0
	s_cbranch_scc1 .LBB20_10
; %bb.1:
	s_load_dword s8, s[4:5], 0x18
	s_mov_b32 s9, 0
	s_waitcnt lgkmcnt(0)
	s_cmp_lt_u32 s8, s14
	s_cselect_b32 s6, s8, 0
	v_cmp_eq_u32_e32 vcc, s6, v0
	s_and_saveexec_b64 s[6:7], vcc
	s_cbranch_execz .LBB20_9
; %bb.2:
	s_add_i32 s8, s8, 64
	s_lshl_b64 s[8:9], s[8:9], 4
	s_add_u32 s12, s0, s8
	s_addc_u32 s13, s1, s9
	v_mov_b32_e32 v1, s12
	v_mov_b32_e32 v2, s13
	;;#ASMSTART
	global_load_dwordx4 v[1:4], v[1:2] off glc	
s_waitcnt vmcnt(0)
	;;#ASMEND
	v_and_b32_e32 v4, 0xff, v3
	v_mov_b32_e32 v5, 0
	v_cmp_eq_u64_e32 vcc, 0, v[4:5]
	s_mov_b64 s[10:11], 0
	s_and_saveexec_b64 s[8:9], vcc
	s_cbranch_execz .LBB20_8
; %bb.3:
	v_mov_b32_e32 v6, s12
	s_mov_b32 s15, 1
	v_mov_b32_e32 v7, s13
.LBB20_4:                               ; =>This Loop Header: Depth=1
                                        ;     Child Loop BB20_5 Depth 2
	s_mov_b32 s12, s15
.LBB20_5:                               ;   Parent Loop BB20_4 Depth=1
                                        ; =>  This Inner Loop Header: Depth=2
	s_add_i32 s12, s12, -1
	s_cmp_eq_u32 s12, 0
	s_sleep 1
	s_cbranch_scc0 .LBB20_5
; %bb.6:                                ;   in Loop: Header=BB20_4 Depth=1
	s_cmp_lt_u32 s15, 32
	;;#ASMSTART
	global_load_dwordx4 v[1:4], v[6:7] off glc	
s_waitcnt vmcnt(0)
	;;#ASMEND
	s_cselect_b64 s[12:13], -1, 0
	v_and_b32_e32 v4, 0xff, v3
	s_cmp_lg_u64 s[12:13], 0
	v_cmp_ne_u64_e32 vcc, 0, v[4:5]
	s_addc_u32 s15, s15, 0
	s_or_b64 s[10:11], vcc, s[10:11]
	s_andn2_b64 exec, exec, s[10:11]
	s_cbranch_execnz .LBB20_4
; %bb.7:
	s_or_b64 exec, exec, s[10:11]
.LBB20_8:
	s_or_b64 exec, exec, s[8:9]
	v_mov_b32_e32 v3, 0
	global_store_dwordx2 v3, v[1:2], s[2:3]
.LBB20_9:
	s_or_b64 exec, exec, s[6:7]
.LBB20_10:
	v_cmp_eq_u32_e32 vcc, 0, v0
	s_and_saveexec_b64 s[2:3], vcc
	s_cbranch_execnz .LBB20_14
; %bb.11:
	s_or_b64 exec, exec, s[2:3]
	v_cmp_gt_u32_e32 vcc, s14, v0
	s_and_saveexec_b64 s[2:3], vcc
	s_cbranch_execnz .LBB20_15
.LBB20_12:
	s_or_b64 exec, exec, s[2:3]
	v_cmp_gt_u32_e32 vcc, 64, v0
	s_and_saveexec_b64 s[2:3], vcc
	s_cbranch_execnz .LBB20_16
.LBB20_13:
	s_endpgm
.LBB20_14:
	s_load_dwordx2 s[4:5], s[4:5], 0x10
	v_mov_b32_e32 v1, 0
	s_waitcnt lgkmcnt(0)
	global_store_dword v1, v1, s[4:5]
	s_or_b64 exec, exec, s[2:3]
	v_cmp_gt_u32_e32 vcc, s14, v0
	s_and_saveexec_b64 s[2:3], vcc
	s_cbranch_execz .LBB20_12
.LBB20_15:
	v_add_u32_e32 v1, 64, v0
	v_mov_b32_e32 v2, 0
	v_lshlrev_b64 v[3:4], 4, v[1:2]
	v_mov_b32_e32 v1, s1
	v_add_co_u32_e32 v5, vcc, s0, v3
	v_addc_co_u32_e32 v6, vcc, v1, v4, vcc
	v_mov_b32_e32 v1, v2
	v_mov_b32_e32 v3, v2
	;; [unrolled: 1-line block ×3, first 2 shown]
	global_store_dwordx4 v[5:6], v[1:4], off
	s_or_b64 exec, exec, s[2:3]
	v_cmp_gt_u32_e32 vcc, 64, v0
	s_and_saveexec_b64 s[2:3], vcc
	s_cbranch_execz .LBB20_13
.LBB20_16:
	v_mov_b32_e32 v1, 0
	v_lshlrev_b64 v[2:3], 4, v[0:1]
	v_mov_b32_e32 v0, s1
	v_add_co_u32_e32 v4, vcc, s0, v2
	v_addc_co_u32_e32 v5, vcc, v0, v3, vcc
	v_mov_b32_e32 v2, 0xff
	v_mov_b32_e32 v0, v1
	;; [unrolled: 1-line block ×3, first 2 shown]
	global_store_dwordx4 v[4:5], v[0:3], off
	s_endpgm
	.section	.rodata,"a",@progbits
	.p2align	6, 0x0
	.amdhsa_kernel _ZN7rocprim17ROCPRIM_400000_NS6detail31init_lookback_scan_state_kernelINS1_19lookback_scan_stateI15HIP_vector_typeIjLj2EELb1ELb1EEENS1_16block_id_wrapperIjLb1EEEEEvT_jT0_jPNS9_10value_typeE
		.amdhsa_group_segment_fixed_size 0
		.amdhsa_private_segment_fixed_size 0
		.amdhsa_kernarg_size 296
		.amdhsa_user_sgpr_count 6
		.amdhsa_user_sgpr_private_segment_buffer 1
		.amdhsa_user_sgpr_dispatch_ptr 0
		.amdhsa_user_sgpr_queue_ptr 0
		.amdhsa_user_sgpr_kernarg_segment_ptr 1
		.amdhsa_user_sgpr_dispatch_id 0
		.amdhsa_user_sgpr_flat_scratch_init 0
		.amdhsa_user_sgpr_private_segment_size 0
		.amdhsa_uses_dynamic_stack 0
		.amdhsa_system_sgpr_private_segment_wavefront_offset 0
		.amdhsa_system_sgpr_workgroup_id_x 1
		.amdhsa_system_sgpr_workgroup_id_y 0
		.amdhsa_system_sgpr_workgroup_id_z 0
		.amdhsa_system_sgpr_workgroup_info 0
		.amdhsa_system_vgpr_workitem_id 0
		.amdhsa_next_free_vgpr 8
		.amdhsa_next_free_sgpr 16
		.amdhsa_reserve_vcc 1
		.amdhsa_reserve_flat_scratch 0
		.amdhsa_float_round_mode_32 0
		.amdhsa_float_round_mode_16_64 0
		.amdhsa_float_denorm_mode_32 3
		.amdhsa_float_denorm_mode_16_64 3
		.amdhsa_dx10_clamp 1
		.amdhsa_ieee_mode 1
		.amdhsa_fp16_overflow 0
		.amdhsa_exception_fp_ieee_invalid_op 0
		.amdhsa_exception_fp_denorm_src 0
		.amdhsa_exception_fp_ieee_div_zero 0
		.amdhsa_exception_fp_ieee_overflow 0
		.amdhsa_exception_fp_ieee_underflow 0
		.amdhsa_exception_fp_ieee_inexact 0
		.amdhsa_exception_int_div_zero 0
	.end_amdhsa_kernel
	.section	.text._ZN7rocprim17ROCPRIM_400000_NS6detail31init_lookback_scan_state_kernelINS1_19lookback_scan_stateI15HIP_vector_typeIjLj2EELb1ELb1EEENS1_16block_id_wrapperIjLb1EEEEEvT_jT0_jPNS9_10value_typeE,"axG",@progbits,_ZN7rocprim17ROCPRIM_400000_NS6detail31init_lookback_scan_state_kernelINS1_19lookback_scan_stateI15HIP_vector_typeIjLj2EELb1ELb1EEENS1_16block_id_wrapperIjLb1EEEEEvT_jT0_jPNS9_10value_typeE,comdat
.Lfunc_end20:
	.size	_ZN7rocprim17ROCPRIM_400000_NS6detail31init_lookback_scan_state_kernelINS1_19lookback_scan_stateI15HIP_vector_typeIjLj2EELb1ELb1EEENS1_16block_id_wrapperIjLb1EEEEEvT_jT0_jPNS9_10value_typeE, .Lfunc_end20-_ZN7rocprim17ROCPRIM_400000_NS6detail31init_lookback_scan_state_kernelINS1_19lookback_scan_stateI15HIP_vector_typeIjLj2EELb1ELb1EEENS1_16block_id_wrapperIjLb1EEEEEvT_jT0_jPNS9_10value_typeE
                                        ; -- End function
	.set _ZN7rocprim17ROCPRIM_400000_NS6detail31init_lookback_scan_state_kernelINS1_19lookback_scan_stateI15HIP_vector_typeIjLj2EELb1ELb1EEENS1_16block_id_wrapperIjLb1EEEEEvT_jT0_jPNS9_10value_typeE.num_vgpr, 8
	.set _ZN7rocprim17ROCPRIM_400000_NS6detail31init_lookback_scan_state_kernelINS1_19lookback_scan_stateI15HIP_vector_typeIjLj2EELb1ELb1EEENS1_16block_id_wrapperIjLb1EEEEEvT_jT0_jPNS9_10value_typeE.num_agpr, 0
	.set _ZN7rocprim17ROCPRIM_400000_NS6detail31init_lookback_scan_state_kernelINS1_19lookback_scan_stateI15HIP_vector_typeIjLj2EELb1ELb1EEENS1_16block_id_wrapperIjLb1EEEEEvT_jT0_jPNS9_10value_typeE.numbered_sgpr, 16
	.set _ZN7rocprim17ROCPRIM_400000_NS6detail31init_lookback_scan_state_kernelINS1_19lookback_scan_stateI15HIP_vector_typeIjLj2EELb1ELb1EEENS1_16block_id_wrapperIjLb1EEEEEvT_jT0_jPNS9_10value_typeE.num_named_barrier, 0
	.set _ZN7rocprim17ROCPRIM_400000_NS6detail31init_lookback_scan_state_kernelINS1_19lookback_scan_stateI15HIP_vector_typeIjLj2EELb1ELb1EEENS1_16block_id_wrapperIjLb1EEEEEvT_jT0_jPNS9_10value_typeE.private_seg_size, 0
	.set _ZN7rocprim17ROCPRIM_400000_NS6detail31init_lookback_scan_state_kernelINS1_19lookback_scan_stateI15HIP_vector_typeIjLj2EELb1ELb1EEENS1_16block_id_wrapperIjLb1EEEEEvT_jT0_jPNS9_10value_typeE.uses_vcc, 1
	.set _ZN7rocprim17ROCPRIM_400000_NS6detail31init_lookback_scan_state_kernelINS1_19lookback_scan_stateI15HIP_vector_typeIjLj2EELb1ELb1EEENS1_16block_id_wrapperIjLb1EEEEEvT_jT0_jPNS9_10value_typeE.uses_flat_scratch, 0
	.set _ZN7rocprim17ROCPRIM_400000_NS6detail31init_lookback_scan_state_kernelINS1_19lookback_scan_stateI15HIP_vector_typeIjLj2EELb1ELb1EEENS1_16block_id_wrapperIjLb1EEEEEvT_jT0_jPNS9_10value_typeE.has_dyn_sized_stack, 0
	.set _ZN7rocprim17ROCPRIM_400000_NS6detail31init_lookback_scan_state_kernelINS1_19lookback_scan_stateI15HIP_vector_typeIjLj2EELb1ELb1EEENS1_16block_id_wrapperIjLb1EEEEEvT_jT0_jPNS9_10value_typeE.has_recursion, 0
	.set _ZN7rocprim17ROCPRIM_400000_NS6detail31init_lookback_scan_state_kernelINS1_19lookback_scan_stateI15HIP_vector_typeIjLj2EELb1ELb1EEENS1_16block_id_wrapperIjLb1EEEEEvT_jT0_jPNS9_10value_typeE.has_indirect_call, 0
	.section	.AMDGPU.csdata,"",@progbits
; Kernel info:
; codeLenInByte = 480
; TotalNumSgprs: 20
; NumVgprs: 8
; ScratchSize: 0
; MemoryBound: 0
; FloatMode: 240
; IeeeMode: 1
; LDSByteSize: 0 bytes/workgroup (compile time only)
; SGPRBlocks: 2
; VGPRBlocks: 1
; NumSGPRsForWavesPerEU: 20
; NumVGPRsForWavesPerEU: 8
; Occupancy: 10
; WaveLimiterHint : 0
; COMPUTE_PGM_RSRC2:SCRATCH_EN: 0
; COMPUTE_PGM_RSRC2:USER_SGPR: 6
; COMPUTE_PGM_RSRC2:TRAP_HANDLER: 0
; COMPUTE_PGM_RSRC2:TGID_X_EN: 1
; COMPUTE_PGM_RSRC2:TGID_Y_EN: 0
; COMPUTE_PGM_RSRC2:TGID_Z_EN: 0
; COMPUTE_PGM_RSRC2:TIDIG_COMP_CNT: 0
	.section	.text._ZN7rocprim17ROCPRIM_400000_NS6detail17trampoline_kernelINS0_13select_configILj256ELj13ELNS0_17block_load_methodE3ELS4_3ELS4_3ELNS0_20block_scan_algorithmE0ELj4294967295EEENS1_25partition_config_selectorILNS1_17partition_subalgoE4EjNS0_10empty_typeEbEEZZNS1_14partition_implILS8_4ELb0ES6_15HIP_vector_typeIjLj2EENS0_17counting_iteratorIjlEEPS9_SG_NS0_5tupleIJPjSI_NS0_16reverse_iteratorISI_EEEEENSH_IJSG_SG_SG_EEES9_SI_JZNS1_25segmented_radix_sort_implINS0_14default_configELb1EPKhPhPKlPlN2at6native12_GLOBAL__N_18offset_tEEE10hipError_tPvRmT1_PNSt15iterator_traitsIS12_E10value_typeET2_T3_PNS13_IS18_E10value_typeET4_jRbjT5_S1E_jjP12ihipStream_tbEUljE_ZNSN_ISO_Lb1ESQ_SR_ST_SU_SY_EESZ_S10_S11_S12_S16_S17_S18_S1B_S1C_jS1D_jS1E_S1E_jjS1G_bEUljE0_EEESZ_S10_S11_S18_S1C_S1E_T6_T7_T9_mT8_S1G_bDpT10_ENKUlT_T0_E_clISt17integral_constantIbLb1EES1U_EEDaS1P_S1Q_EUlS1P_E_NS1_11comp_targetILNS1_3genE0ELNS1_11target_archE4294967295ELNS1_3gpuE0ELNS1_3repE0EEENS1_30default_config_static_selectorELNS0_4arch9wavefront6targetE1EEEvS12_,"axG",@progbits,_ZN7rocprim17ROCPRIM_400000_NS6detail17trampoline_kernelINS0_13select_configILj256ELj13ELNS0_17block_load_methodE3ELS4_3ELS4_3ELNS0_20block_scan_algorithmE0ELj4294967295EEENS1_25partition_config_selectorILNS1_17partition_subalgoE4EjNS0_10empty_typeEbEEZZNS1_14partition_implILS8_4ELb0ES6_15HIP_vector_typeIjLj2EENS0_17counting_iteratorIjlEEPS9_SG_NS0_5tupleIJPjSI_NS0_16reverse_iteratorISI_EEEEENSH_IJSG_SG_SG_EEES9_SI_JZNS1_25segmented_radix_sort_implINS0_14default_configELb1EPKhPhPKlPlN2at6native12_GLOBAL__N_18offset_tEEE10hipError_tPvRmT1_PNSt15iterator_traitsIS12_E10value_typeET2_T3_PNS13_IS18_E10value_typeET4_jRbjT5_S1E_jjP12ihipStream_tbEUljE_ZNSN_ISO_Lb1ESQ_SR_ST_SU_SY_EESZ_S10_S11_S12_S16_S17_S18_S1B_S1C_jS1D_jS1E_S1E_jjS1G_bEUljE0_EEESZ_S10_S11_S18_S1C_S1E_T6_T7_T9_mT8_S1G_bDpT10_ENKUlT_T0_E_clISt17integral_constantIbLb1EES1U_EEDaS1P_S1Q_EUlS1P_E_NS1_11comp_targetILNS1_3genE0ELNS1_11target_archE4294967295ELNS1_3gpuE0ELNS1_3repE0EEENS1_30default_config_static_selectorELNS0_4arch9wavefront6targetE1EEEvS12_,comdat
	.globl	_ZN7rocprim17ROCPRIM_400000_NS6detail17trampoline_kernelINS0_13select_configILj256ELj13ELNS0_17block_load_methodE3ELS4_3ELS4_3ELNS0_20block_scan_algorithmE0ELj4294967295EEENS1_25partition_config_selectorILNS1_17partition_subalgoE4EjNS0_10empty_typeEbEEZZNS1_14partition_implILS8_4ELb0ES6_15HIP_vector_typeIjLj2EENS0_17counting_iteratorIjlEEPS9_SG_NS0_5tupleIJPjSI_NS0_16reverse_iteratorISI_EEEEENSH_IJSG_SG_SG_EEES9_SI_JZNS1_25segmented_radix_sort_implINS0_14default_configELb1EPKhPhPKlPlN2at6native12_GLOBAL__N_18offset_tEEE10hipError_tPvRmT1_PNSt15iterator_traitsIS12_E10value_typeET2_T3_PNS13_IS18_E10value_typeET4_jRbjT5_S1E_jjP12ihipStream_tbEUljE_ZNSN_ISO_Lb1ESQ_SR_ST_SU_SY_EESZ_S10_S11_S12_S16_S17_S18_S1B_S1C_jS1D_jS1E_S1E_jjS1G_bEUljE0_EEESZ_S10_S11_S18_S1C_S1E_T6_T7_T9_mT8_S1G_bDpT10_ENKUlT_T0_E_clISt17integral_constantIbLb1EES1U_EEDaS1P_S1Q_EUlS1P_E_NS1_11comp_targetILNS1_3genE0ELNS1_11target_archE4294967295ELNS1_3gpuE0ELNS1_3repE0EEENS1_30default_config_static_selectorELNS0_4arch9wavefront6targetE1EEEvS12_ ; -- Begin function _ZN7rocprim17ROCPRIM_400000_NS6detail17trampoline_kernelINS0_13select_configILj256ELj13ELNS0_17block_load_methodE3ELS4_3ELS4_3ELNS0_20block_scan_algorithmE0ELj4294967295EEENS1_25partition_config_selectorILNS1_17partition_subalgoE4EjNS0_10empty_typeEbEEZZNS1_14partition_implILS8_4ELb0ES6_15HIP_vector_typeIjLj2EENS0_17counting_iteratorIjlEEPS9_SG_NS0_5tupleIJPjSI_NS0_16reverse_iteratorISI_EEEEENSH_IJSG_SG_SG_EEES9_SI_JZNS1_25segmented_radix_sort_implINS0_14default_configELb1EPKhPhPKlPlN2at6native12_GLOBAL__N_18offset_tEEE10hipError_tPvRmT1_PNSt15iterator_traitsIS12_E10value_typeET2_T3_PNS13_IS18_E10value_typeET4_jRbjT5_S1E_jjP12ihipStream_tbEUljE_ZNSN_ISO_Lb1ESQ_SR_ST_SU_SY_EESZ_S10_S11_S12_S16_S17_S18_S1B_S1C_jS1D_jS1E_S1E_jjS1G_bEUljE0_EEESZ_S10_S11_S18_S1C_S1E_T6_T7_T9_mT8_S1G_bDpT10_ENKUlT_T0_E_clISt17integral_constantIbLb1EES1U_EEDaS1P_S1Q_EUlS1P_E_NS1_11comp_targetILNS1_3genE0ELNS1_11target_archE4294967295ELNS1_3gpuE0ELNS1_3repE0EEENS1_30default_config_static_selectorELNS0_4arch9wavefront6targetE1EEEvS12_
	.p2align	8
	.type	_ZN7rocprim17ROCPRIM_400000_NS6detail17trampoline_kernelINS0_13select_configILj256ELj13ELNS0_17block_load_methodE3ELS4_3ELS4_3ELNS0_20block_scan_algorithmE0ELj4294967295EEENS1_25partition_config_selectorILNS1_17partition_subalgoE4EjNS0_10empty_typeEbEEZZNS1_14partition_implILS8_4ELb0ES6_15HIP_vector_typeIjLj2EENS0_17counting_iteratorIjlEEPS9_SG_NS0_5tupleIJPjSI_NS0_16reverse_iteratorISI_EEEEENSH_IJSG_SG_SG_EEES9_SI_JZNS1_25segmented_radix_sort_implINS0_14default_configELb1EPKhPhPKlPlN2at6native12_GLOBAL__N_18offset_tEEE10hipError_tPvRmT1_PNSt15iterator_traitsIS12_E10value_typeET2_T3_PNS13_IS18_E10value_typeET4_jRbjT5_S1E_jjP12ihipStream_tbEUljE_ZNSN_ISO_Lb1ESQ_SR_ST_SU_SY_EESZ_S10_S11_S12_S16_S17_S18_S1B_S1C_jS1D_jS1E_S1E_jjS1G_bEUljE0_EEESZ_S10_S11_S18_S1C_S1E_T6_T7_T9_mT8_S1G_bDpT10_ENKUlT_T0_E_clISt17integral_constantIbLb1EES1U_EEDaS1P_S1Q_EUlS1P_E_NS1_11comp_targetILNS1_3genE0ELNS1_11target_archE4294967295ELNS1_3gpuE0ELNS1_3repE0EEENS1_30default_config_static_selectorELNS0_4arch9wavefront6targetE1EEEvS12_,@function
_ZN7rocprim17ROCPRIM_400000_NS6detail17trampoline_kernelINS0_13select_configILj256ELj13ELNS0_17block_load_methodE3ELS4_3ELS4_3ELNS0_20block_scan_algorithmE0ELj4294967295EEENS1_25partition_config_selectorILNS1_17partition_subalgoE4EjNS0_10empty_typeEbEEZZNS1_14partition_implILS8_4ELb0ES6_15HIP_vector_typeIjLj2EENS0_17counting_iteratorIjlEEPS9_SG_NS0_5tupleIJPjSI_NS0_16reverse_iteratorISI_EEEEENSH_IJSG_SG_SG_EEES9_SI_JZNS1_25segmented_radix_sort_implINS0_14default_configELb1EPKhPhPKlPlN2at6native12_GLOBAL__N_18offset_tEEE10hipError_tPvRmT1_PNSt15iterator_traitsIS12_E10value_typeET2_T3_PNS13_IS18_E10value_typeET4_jRbjT5_S1E_jjP12ihipStream_tbEUljE_ZNSN_ISO_Lb1ESQ_SR_ST_SU_SY_EESZ_S10_S11_S12_S16_S17_S18_S1B_S1C_jS1D_jS1E_S1E_jjS1G_bEUljE0_EEESZ_S10_S11_S18_S1C_S1E_T6_T7_T9_mT8_S1G_bDpT10_ENKUlT_T0_E_clISt17integral_constantIbLb1EES1U_EEDaS1P_S1Q_EUlS1P_E_NS1_11comp_targetILNS1_3genE0ELNS1_11target_archE4294967295ELNS1_3gpuE0ELNS1_3repE0EEENS1_30default_config_static_selectorELNS0_4arch9wavefront6targetE1EEEvS12_: ; @_ZN7rocprim17ROCPRIM_400000_NS6detail17trampoline_kernelINS0_13select_configILj256ELj13ELNS0_17block_load_methodE3ELS4_3ELS4_3ELNS0_20block_scan_algorithmE0ELj4294967295EEENS1_25partition_config_selectorILNS1_17partition_subalgoE4EjNS0_10empty_typeEbEEZZNS1_14partition_implILS8_4ELb0ES6_15HIP_vector_typeIjLj2EENS0_17counting_iteratorIjlEEPS9_SG_NS0_5tupleIJPjSI_NS0_16reverse_iteratorISI_EEEEENSH_IJSG_SG_SG_EEES9_SI_JZNS1_25segmented_radix_sort_implINS0_14default_configELb1EPKhPhPKlPlN2at6native12_GLOBAL__N_18offset_tEEE10hipError_tPvRmT1_PNSt15iterator_traitsIS12_E10value_typeET2_T3_PNS13_IS18_E10value_typeET4_jRbjT5_S1E_jjP12ihipStream_tbEUljE_ZNSN_ISO_Lb1ESQ_SR_ST_SU_SY_EESZ_S10_S11_S12_S16_S17_S18_S1B_S1C_jS1D_jS1E_S1E_jjS1G_bEUljE0_EEESZ_S10_S11_S18_S1C_S1E_T6_T7_T9_mT8_S1G_bDpT10_ENKUlT_T0_E_clISt17integral_constantIbLb1EES1U_EEDaS1P_S1Q_EUlS1P_E_NS1_11comp_targetILNS1_3genE0ELNS1_11target_archE4294967295ELNS1_3gpuE0ELNS1_3repE0EEENS1_30default_config_static_selectorELNS0_4arch9wavefront6targetE1EEEvS12_
; %bb.0:
	.section	.rodata,"a",@progbits
	.p2align	6, 0x0
	.amdhsa_kernel _ZN7rocprim17ROCPRIM_400000_NS6detail17trampoline_kernelINS0_13select_configILj256ELj13ELNS0_17block_load_methodE3ELS4_3ELS4_3ELNS0_20block_scan_algorithmE0ELj4294967295EEENS1_25partition_config_selectorILNS1_17partition_subalgoE4EjNS0_10empty_typeEbEEZZNS1_14partition_implILS8_4ELb0ES6_15HIP_vector_typeIjLj2EENS0_17counting_iteratorIjlEEPS9_SG_NS0_5tupleIJPjSI_NS0_16reverse_iteratorISI_EEEEENSH_IJSG_SG_SG_EEES9_SI_JZNS1_25segmented_radix_sort_implINS0_14default_configELb1EPKhPhPKlPlN2at6native12_GLOBAL__N_18offset_tEEE10hipError_tPvRmT1_PNSt15iterator_traitsIS12_E10value_typeET2_T3_PNS13_IS18_E10value_typeET4_jRbjT5_S1E_jjP12ihipStream_tbEUljE_ZNSN_ISO_Lb1ESQ_SR_ST_SU_SY_EESZ_S10_S11_S12_S16_S17_S18_S1B_S1C_jS1D_jS1E_S1E_jjS1G_bEUljE0_EEESZ_S10_S11_S18_S1C_S1E_T6_T7_T9_mT8_S1G_bDpT10_ENKUlT_T0_E_clISt17integral_constantIbLb1EES1U_EEDaS1P_S1Q_EUlS1P_E_NS1_11comp_targetILNS1_3genE0ELNS1_11target_archE4294967295ELNS1_3gpuE0ELNS1_3repE0EEENS1_30default_config_static_selectorELNS0_4arch9wavefront6targetE1EEEvS12_
		.amdhsa_group_segment_fixed_size 0
		.amdhsa_private_segment_fixed_size 0
		.amdhsa_kernarg_size 184
		.amdhsa_user_sgpr_count 6
		.amdhsa_user_sgpr_private_segment_buffer 1
		.amdhsa_user_sgpr_dispatch_ptr 0
		.amdhsa_user_sgpr_queue_ptr 0
		.amdhsa_user_sgpr_kernarg_segment_ptr 1
		.amdhsa_user_sgpr_dispatch_id 0
		.amdhsa_user_sgpr_flat_scratch_init 0
		.amdhsa_user_sgpr_private_segment_size 0
		.amdhsa_uses_dynamic_stack 0
		.amdhsa_system_sgpr_private_segment_wavefront_offset 0
		.amdhsa_system_sgpr_workgroup_id_x 1
		.amdhsa_system_sgpr_workgroup_id_y 0
		.amdhsa_system_sgpr_workgroup_id_z 0
		.amdhsa_system_sgpr_workgroup_info 0
		.amdhsa_system_vgpr_workitem_id 0
		.amdhsa_next_free_vgpr 1
		.amdhsa_next_free_sgpr 0
		.amdhsa_reserve_vcc 0
		.amdhsa_reserve_flat_scratch 0
		.amdhsa_float_round_mode_32 0
		.amdhsa_float_round_mode_16_64 0
		.amdhsa_float_denorm_mode_32 3
		.amdhsa_float_denorm_mode_16_64 3
		.amdhsa_dx10_clamp 1
		.amdhsa_ieee_mode 1
		.amdhsa_fp16_overflow 0
		.amdhsa_exception_fp_ieee_invalid_op 0
		.amdhsa_exception_fp_denorm_src 0
		.amdhsa_exception_fp_ieee_div_zero 0
		.amdhsa_exception_fp_ieee_overflow 0
		.amdhsa_exception_fp_ieee_underflow 0
		.amdhsa_exception_fp_ieee_inexact 0
		.amdhsa_exception_int_div_zero 0
	.end_amdhsa_kernel
	.section	.text._ZN7rocprim17ROCPRIM_400000_NS6detail17trampoline_kernelINS0_13select_configILj256ELj13ELNS0_17block_load_methodE3ELS4_3ELS4_3ELNS0_20block_scan_algorithmE0ELj4294967295EEENS1_25partition_config_selectorILNS1_17partition_subalgoE4EjNS0_10empty_typeEbEEZZNS1_14partition_implILS8_4ELb0ES6_15HIP_vector_typeIjLj2EENS0_17counting_iteratorIjlEEPS9_SG_NS0_5tupleIJPjSI_NS0_16reverse_iteratorISI_EEEEENSH_IJSG_SG_SG_EEES9_SI_JZNS1_25segmented_radix_sort_implINS0_14default_configELb1EPKhPhPKlPlN2at6native12_GLOBAL__N_18offset_tEEE10hipError_tPvRmT1_PNSt15iterator_traitsIS12_E10value_typeET2_T3_PNS13_IS18_E10value_typeET4_jRbjT5_S1E_jjP12ihipStream_tbEUljE_ZNSN_ISO_Lb1ESQ_SR_ST_SU_SY_EESZ_S10_S11_S12_S16_S17_S18_S1B_S1C_jS1D_jS1E_S1E_jjS1G_bEUljE0_EEESZ_S10_S11_S18_S1C_S1E_T6_T7_T9_mT8_S1G_bDpT10_ENKUlT_T0_E_clISt17integral_constantIbLb1EES1U_EEDaS1P_S1Q_EUlS1P_E_NS1_11comp_targetILNS1_3genE0ELNS1_11target_archE4294967295ELNS1_3gpuE0ELNS1_3repE0EEENS1_30default_config_static_selectorELNS0_4arch9wavefront6targetE1EEEvS12_,"axG",@progbits,_ZN7rocprim17ROCPRIM_400000_NS6detail17trampoline_kernelINS0_13select_configILj256ELj13ELNS0_17block_load_methodE3ELS4_3ELS4_3ELNS0_20block_scan_algorithmE0ELj4294967295EEENS1_25partition_config_selectorILNS1_17partition_subalgoE4EjNS0_10empty_typeEbEEZZNS1_14partition_implILS8_4ELb0ES6_15HIP_vector_typeIjLj2EENS0_17counting_iteratorIjlEEPS9_SG_NS0_5tupleIJPjSI_NS0_16reverse_iteratorISI_EEEEENSH_IJSG_SG_SG_EEES9_SI_JZNS1_25segmented_radix_sort_implINS0_14default_configELb1EPKhPhPKlPlN2at6native12_GLOBAL__N_18offset_tEEE10hipError_tPvRmT1_PNSt15iterator_traitsIS12_E10value_typeET2_T3_PNS13_IS18_E10value_typeET4_jRbjT5_S1E_jjP12ihipStream_tbEUljE_ZNSN_ISO_Lb1ESQ_SR_ST_SU_SY_EESZ_S10_S11_S12_S16_S17_S18_S1B_S1C_jS1D_jS1E_S1E_jjS1G_bEUljE0_EEESZ_S10_S11_S18_S1C_S1E_T6_T7_T9_mT8_S1G_bDpT10_ENKUlT_T0_E_clISt17integral_constantIbLb1EES1U_EEDaS1P_S1Q_EUlS1P_E_NS1_11comp_targetILNS1_3genE0ELNS1_11target_archE4294967295ELNS1_3gpuE0ELNS1_3repE0EEENS1_30default_config_static_selectorELNS0_4arch9wavefront6targetE1EEEvS12_,comdat
.Lfunc_end21:
	.size	_ZN7rocprim17ROCPRIM_400000_NS6detail17trampoline_kernelINS0_13select_configILj256ELj13ELNS0_17block_load_methodE3ELS4_3ELS4_3ELNS0_20block_scan_algorithmE0ELj4294967295EEENS1_25partition_config_selectorILNS1_17partition_subalgoE4EjNS0_10empty_typeEbEEZZNS1_14partition_implILS8_4ELb0ES6_15HIP_vector_typeIjLj2EENS0_17counting_iteratorIjlEEPS9_SG_NS0_5tupleIJPjSI_NS0_16reverse_iteratorISI_EEEEENSH_IJSG_SG_SG_EEES9_SI_JZNS1_25segmented_radix_sort_implINS0_14default_configELb1EPKhPhPKlPlN2at6native12_GLOBAL__N_18offset_tEEE10hipError_tPvRmT1_PNSt15iterator_traitsIS12_E10value_typeET2_T3_PNS13_IS18_E10value_typeET4_jRbjT5_S1E_jjP12ihipStream_tbEUljE_ZNSN_ISO_Lb1ESQ_SR_ST_SU_SY_EESZ_S10_S11_S12_S16_S17_S18_S1B_S1C_jS1D_jS1E_S1E_jjS1G_bEUljE0_EEESZ_S10_S11_S18_S1C_S1E_T6_T7_T9_mT8_S1G_bDpT10_ENKUlT_T0_E_clISt17integral_constantIbLb1EES1U_EEDaS1P_S1Q_EUlS1P_E_NS1_11comp_targetILNS1_3genE0ELNS1_11target_archE4294967295ELNS1_3gpuE0ELNS1_3repE0EEENS1_30default_config_static_selectorELNS0_4arch9wavefront6targetE1EEEvS12_, .Lfunc_end21-_ZN7rocprim17ROCPRIM_400000_NS6detail17trampoline_kernelINS0_13select_configILj256ELj13ELNS0_17block_load_methodE3ELS4_3ELS4_3ELNS0_20block_scan_algorithmE0ELj4294967295EEENS1_25partition_config_selectorILNS1_17partition_subalgoE4EjNS0_10empty_typeEbEEZZNS1_14partition_implILS8_4ELb0ES6_15HIP_vector_typeIjLj2EENS0_17counting_iteratorIjlEEPS9_SG_NS0_5tupleIJPjSI_NS0_16reverse_iteratorISI_EEEEENSH_IJSG_SG_SG_EEES9_SI_JZNS1_25segmented_radix_sort_implINS0_14default_configELb1EPKhPhPKlPlN2at6native12_GLOBAL__N_18offset_tEEE10hipError_tPvRmT1_PNSt15iterator_traitsIS12_E10value_typeET2_T3_PNS13_IS18_E10value_typeET4_jRbjT5_S1E_jjP12ihipStream_tbEUljE_ZNSN_ISO_Lb1ESQ_SR_ST_SU_SY_EESZ_S10_S11_S12_S16_S17_S18_S1B_S1C_jS1D_jS1E_S1E_jjS1G_bEUljE0_EEESZ_S10_S11_S18_S1C_S1E_T6_T7_T9_mT8_S1G_bDpT10_ENKUlT_T0_E_clISt17integral_constantIbLb1EES1U_EEDaS1P_S1Q_EUlS1P_E_NS1_11comp_targetILNS1_3genE0ELNS1_11target_archE4294967295ELNS1_3gpuE0ELNS1_3repE0EEENS1_30default_config_static_selectorELNS0_4arch9wavefront6targetE1EEEvS12_
                                        ; -- End function
	.set _ZN7rocprim17ROCPRIM_400000_NS6detail17trampoline_kernelINS0_13select_configILj256ELj13ELNS0_17block_load_methodE3ELS4_3ELS4_3ELNS0_20block_scan_algorithmE0ELj4294967295EEENS1_25partition_config_selectorILNS1_17partition_subalgoE4EjNS0_10empty_typeEbEEZZNS1_14partition_implILS8_4ELb0ES6_15HIP_vector_typeIjLj2EENS0_17counting_iteratorIjlEEPS9_SG_NS0_5tupleIJPjSI_NS0_16reverse_iteratorISI_EEEEENSH_IJSG_SG_SG_EEES9_SI_JZNS1_25segmented_radix_sort_implINS0_14default_configELb1EPKhPhPKlPlN2at6native12_GLOBAL__N_18offset_tEEE10hipError_tPvRmT1_PNSt15iterator_traitsIS12_E10value_typeET2_T3_PNS13_IS18_E10value_typeET4_jRbjT5_S1E_jjP12ihipStream_tbEUljE_ZNSN_ISO_Lb1ESQ_SR_ST_SU_SY_EESZ_S10_S11_S12_S16_S17_S18_S1B_S1C_jS1D_jS1E_S1E_jjS1G_bEUljE0_EEESZ_S10_S11_S18_S1C_S1E_T6_T7_T9_mT8_S1G_bDpT10_ENKUlT_T0_E_clISt17integral_constantIbLb1EES1U_EEDaS1P_S1Q_EUlS1P_E_NS1_11comp_targetILNS1_3genE0ELNS1_11target_archE4294967295ELNS1_3gpuE0ELNS1_3repE0EEENS1_30default_config_static_selectorELNS0_4arch9wavefront6targetE1EEEvS12_.num_vgpr, 0
	.set _ZN7rocprim17ROCPRIM_400000_NS6detail17trampoline_kernelINS0_13select_configILj256ELj13ELNS0_17block_load_methodE3ELS4_3ELS4_3ELNS0_20block_scan_algorithmE0ELj4294967295EEENS1_25partition_config_selectorILNS1_17partition_subalgoE4EjNS0_10empty_typeEbEEZZNS1_14partition_implILS8_4ELb0ES6_15HIP_vector_typeIjLj2EENS0_17counting_iteratorIjlEEPS9_SG_NS0_5tupleIJPjSI_NS0_16reverse_iteratorISI_EEEEENSH_IJSG_SG_SG_EEES9_SI_JZNS1_25segmented_radix_sort_implINS0_14default_configELb1EPKhPhPKlPlN2at6native12_GLOBAL__N_18offset_tEEE10hipError_tPvRmT1_PNSt15iterator_traitsIS12_E10value_typeET2_T3_PNS13_IS18_E10value_typeET4_jRbjT5_S1E_jjP12ihipStream_tbEUljE_ZNSN_ISO_Lb1ESQ_SR_ST_SU_SY_EESZ_S10_S11_S12_S16_S17_S18_S1B_S1C_jS1D_jS1E_S1E_jjS1G_bEUljE0_EEESZ_S10_S11_S18_S1C_S1E_T6_T7_T9_mT8_S1G_bDpT10_ENKUlT_T0_E_clISt17integral_constantIbLb1EES1U_EEDaS1P_S1Q_EUlS1P_E_NS1_11comp_targetILNS1_3genE0ELNS1_11target_archE4294967295ELNS1_3gpuE0ELNS1_3repE0EEENS1_30default_config_static_selectorELNS0_4arch9wavefront6targetE1EEEvS12_.num_agpr, 0
	.set _ZN7rocprim17ROCPRIM_400000_NS6detail17trampoline_kernelINS0_13select_configILj256ELj13ELNS0_17block_load_methodE3ELS4_3ELS4_3ELNS0_20block_scan_algorithmE0ELj4294967295EEENS1_25partition_config_selectorILNS1_17partition_subalgoE4EjNS0_10empty_typeEbEEZZNS1_14partition_implILS8_4ELb0ES6_15HIP_vector_typeIjLj2EENS0_17counting_iteratorIjlEEPS9_SG_NS0_5tupleIJPjSI_NS0_16reverse_iteratorISI_EEEEENSH_IJSG_SG_SG_EEES9_SI_JZNS1_25segmented_radix_sort_implINS0_14default_configELb1EPKhPhPKlPlN2at6native12_GLOBAL__N_18offset_tEEE10hipError_tPvRmT1_PNSt15iterator_traitsIS12_E10value_typeET2_T3_PNS13_IS18_E10value_typeET4_jRbjT5_S1E_jjP12ihipStream_tbEUljE_ZNSN_ISO_Lb1ESQ_SR_ST_SU_SY_EESZ_S10_S11_S12_S16_S17_S18_S1B_S1C_jS1D_jS1E_S1E_jjS1G_bEUljE0_EEESZ_S10_S11_S18_S1C_S1E_T6_T7_T9_mT8_S1G_bDpT10_ENKUlT_T0_E_clISt17integral_constantIbLb1EES1U_EEDaS1P_S1Q_EUlS1P_E_NS1_11comp_targetILNS1_3genE0ELNS1_11target_archE4294967295ELNS1_3gpuE0ELNS1_3repE0EEENS1_30default_config_static_selectorELNS0_4arch9wavefront6targetE1EEEvS12_.numbered_sgpr, 0
	.set _ZN7rocprim17ROCPRIM_400000_NS6detail17trampoline_kernelINS0_13select_configILj256ELj13ELNS0_17block_load_methodE3ELS4_3ELS4_3ELNS0_20block_scan_algorithmE0ELj4294967295EEENS1_25partition_config_selectorILNS1_17partition_subalgoE4EjNS0_10empty_typeEbEEZZNS1_14partition_implILS8_4ELb0ES6_15HIP_vector_typeIjLj2EENS0_17counting_iteratorIjlEEPS9_SG_NS0_5tupleIJPjSI_NS0_16reverse_iteratorISI_EEEEENSH_IJSG_SG_SG_EEES9_SI_JZNS1_25segmented_radix_sort_implINS0_14default_configELb1EPKhPhPKlPlN2at6native12_GLOBAL__N_18offset_tEEE10hipError_tPvRmT1_PNSt15iterator_traitsIS12_E10value_typeET2_T3_PNS13_IS18_E10value_typeET4_jRbjT5_S1E_jjP12ihipStream_tbEUljE_ZNSN_ISO_Lb1ESQ_SR_ST_SU_SY_EESZ_S10_S11_S12_S16_S17_S18_S1B_S1C_jS1D_jS1E_S1E_jjS1G_bEUljE0_EEESZ_S10_S11_S18_S1C_S1E_T6_T7_T9_mT8_S1G_bDpT10_ENKUlT_T0_E_clISt17integral_constantIbLb1EES1U_EEDaS1P_S1Q_EUlS1P_E_NS1_11comp_targetILNS1_3genE0ELNS1_11target_archE4294967295ELNS1_3gpuE0ELNS1_3repE0EEENS1_30default_config_static_selectorELNS0_4arch9wavefront6targetE1EEEvS12_.num_named_barrier, 0
	.set _ZN7rocprim17ROCPRIM_400000_NS6detail17trampoline_kernelINS0_13select_configILj256ELj13ELNS0_17block_load_methodE3ELS4_3ELS4_3ELNS0_20block_scan_algorithmE0ELj4294967295EEENS1_25partition_config_selectorILNS1_17partition_subalgoE4EjNS0_10empty_typeEbEEZZNS1_14partition_implILS8_4ELb0ES6_15HIP_vector_typeIjLj2EENS0_17counting_iteratorIjlEEPS9_SG_NS0_5tupleIJPjSI_NS0_16reverse_iteratorISI_EEEEENSH_IJSG_SG_SG_EEES9_SI_JZNS1_25segmented_radix_sort_implINS0_14default_configELb1EPKhPhPKlPlN2at6native12_GLOBAL__N_18offset_tEEE10hipError_tPvRmT1_PNSt15iterator_traitsIS12_E10value_typeET2_T3_PNS13_IS18_E10value_typeET4_jRbjT5_S1E_jjP12ihipStream_tbEUljE_ZNSN_ISO_Lb1ESQ_SR_ST_SU_SY_EESZ_S10_S11_S12_S16_S17_S18_S1B_S1C_jS1D_jS1E_S1E_jjS1G_bEUljE0_EEESZ_S10_S11_S18_S1C_S1E_T6_T7_T9_mT8_S1G_bDpT10_ENKUlT_T0_E_clISt17integral_constantIbLb1EES1U_EEDaS1P_S1Q_EUlS1P_E_NS1_11comp_targetILNS1_3genE0ELNS1_11target_archE4294967295ELNS1_3gpuE0ELNS1_3repE0EEENS1_30default_config_static_selectorELNS0_4arch9wavefront6targetE1EEEvS12_.private_seg_size, 0
	.set _ZN7rocprim17ROCPRIM_400000_NS6detail17trampoline_kernelINS0_13select_configILj256ELj13ELNS0_17block_load_methodE3ELS4_3ELS4_3ELNS0_20block_scan_algorithmE0ELj4294967295EEENS1_25partition_config_selectorILNS1_17partition_subalgoE4EjNS0_10empty_typeEbEEZZNS1_14partition_implILS8_4ELb0ES6_15HIP_vector_typeIjLj2EENS0_17counting_iteratorIjlEEPS9_SG_NS0_5tupleIJPjSI_NS0_16reverse_iteratorISI_EEEEENSH_IJSG_SG_SG_EEES9_SI_JZNS1_25segmented_radix_sort_implINS0_14default_configELb1EPKhPhPKlPlN2at6native12_GLOBAL__N_18offset_tEEE10hipError_tPvRmT1_PNSt15iterator_traitsIS12_E10value_typeET2_T3_PNS13_IS18_E10value_typeET4_jRbjT5_S1E_jjP12ihipStream_tbEUljE_ZNSN_ISO_Lb1ESQ_SR_ST_SU_SY_EESZ_S10_S11_S12_S16_S17_S18_S1B_S1C_jS1D_jS1E_S1E_jjS1G_bEUljE0_EEESZ_S10_S11_S18_S1C_S1E_T6_T7_T9_mT8_S1G_bDpT10_ENKUlT_T0_E_clISt17integral_constantIbLb1EES1U_EEDaS1P_S1Q_EUlS1P_E_NS1_11comp_targetILNS1_3genE0ELNS1_11target_archE4294967295ELNS1_3gpuE0ELNS1_3repE0EEENS1_30default_config_static_selectorELNS0_4arch9wavefront6targetE1EEEvS12_.uses_vcc, 0
	.set _ZN7rocprim17ROCPRIM_400000_NS6detail17trampoline_kernelINS0_13select_configILj256ELj13ELNS0_17block_load_methodE3ELS4_3ELS4_3ELNS0_20block_scan_algorithmE0ELj4294967295EEENS1_25partition_config_selectorILNS1_17partition_subalgoE4EjNS0_10empty_typeEbEEZZNS1_14partition_implILS8_4ELb0ES6_15HIP_vector_typeIjLj2EENS0_17counting_iteratorIjlEEPS9_SG_NS0_5tupleIJPjSI_NS0_16reverse_iteratorISI_EEEEENSH_IJSG_SG_SG_EEES9_SI_JZNS1_25segmented_radix_sort_implINS0_14default_configELb1EPKhPhPKlPlN2at6native12_GLOBAL__N_18offset_tEEE10hipError_tPvRmT1_PNSt15iterator_traitsIS12_E10value_typeET2_T3_PNS13_IS18_E10value_typeET4_jRbjT5_S1E_jjP12ihipStream_tbEUljE_ZNSN_ISO_Lb1ESQ_SR_ST_SU_SY_EESZ_S10_S11_S12_S16_S17_S18_S1B_S1C_jS1D_jS1E_S1E_jjS1G_bEUljE0_EEESZ_S10_S11_S18_S1C_S1E_T6_T7_T9_mT8_S1G_bDpT10_ENKUlT_T0_E_clISt17integral_constantIbLb1EES1U_EEDaS1P_S1Q_EUlS1P_E_NS1_11comp_targetILNS1_3genE0ELNS1_11target_archE4294967295ELNS1_3gpuE0ELNS1_3repE0EEENS1_30default_config_static_selectorELNS0_4arch9wavefront6targetE1EEEvS12_.uses_flat_scratch, 0
	.set _ZN7rocprim17ROCPRIM_400000_NS6detail17trampoline_kernelINS0_13select_configILj256ELj13ELNS0_17block_load_methodE3ELS4_3ELS4_3ELNS0_20block_scan_algorithmE0ELj4294967295EEENS1_25partition_config_selectorILNS1_17partition_subalgoE4EjNS0_10empty_typeEbEEZZNS1_14partition_implILS8_4ELb0ES6_15HIP_vector_typeIjLj2EENS0_17counting_iteratorIjlEEPS9_SG_NS0_5tupleIJPjSI_NS0_16reverse_iteratorISI_EEEEENSH_IJSG_SG_SG_EEES9_SI_JZNS1_25segmented_radix_sort_implINS0_14default_configELb1EPKhPhPKlPlN2at6native12_GLOBAL__N_18offset_tEEE10hipError_tPvRmT1_PNSt15iterator_traitsIS12_E10value_typeET2_T3_PNS13_IS18_E10value_typeET4_jRbjT5_S1E_jjP12ihipStream_tbEUljE_ZNSN_ISO_Lb1ESQ_SR_ST_SU_SY_EESZ_S10_S11_S12_S16_S17_S18_S1B_S1C_jS1D_jS1E_S1E_jjS1G_bEUljE0_EEESZ_S10_S11_S18_S1C_S1E_T6_T7_T9_mT8_S1G_bDpT10_ENKUlT_T0_E_clISt17integral_constantIbLb1EES1U_EEDaS1P_S1Q_EUlS1P_E_NS1_11comp_targetILNS1_3genE0ELNS1_11target_archE4294967295ELNS1_3gpuE0ELNS1_3repE0EEENS1_30default_config_static_selectorELNS0_4arch9wavefront6targetE1EEEvS12_.has_dyn_sized_stack, 0
	.set _ZN7rocprim17ROCPRIM_400000_NS6detail17trampoline_kernelINS0_13select_configILj256ELj13ELNS0_17block_load_methodE3ELS4_3ELS4_3ELNS0_20block_scan_algorithmE0ELj4294967295EEENS1_25partition_config_selectorILNS1_17partition_subalgoE4EjNS0_10empty_typeEbEEZZNS1_14partition_implILS8_4ELb0ES6_15HIP_vector_typeIjLj2EENS0_17counting_iteratorIjlEEPS9_SG_NS0_5tupleIJPjSI_NS0_16reverse_iteratorISI_EEEEENSH_IJSG_SG_SG_EEES9_SI_JZNS1_25segmented_radix_sort_implINS0_14default_configELb1EPKhPhPKlPlN2at6native12_GLOBAL__N_18offset_tEEE10hipError_tPvRmT1_PNSt15iterator_traitsIS12_E10value_typeET2_T3_PNS13_IS18_E10value_typeET4_jRbjT5_S1E_jjP12ihipStream_tbEUljE_ZNSN_ISO_Lb1ESQ_SR_ST_SU_SY_EESZ_S10_S11_S12_S16_S17_S18_S1B_S1C_jS1D_jS1E_S1E_jjS1G_bEUljE0_EEESZ_S10_S11_S18_S1C_S1E_T6_T7_T9_mT8_S1G_bDpT10_ENKUlT_T0_E_clISt17integral_constantIbLb1EES1U_EEDaS1P_S1Q_EUlS1P_E_NS1_11comp_targetILNS1_3genE0ELNS1_11target_archE4294967295ELNS1_3gpuE0ELNS1_3repE0EEENS1_30default_config_static_selectorELNS0_4arch9wavefront6targetE1EEEvS12_.has_recursion, 0
	.set _ZN7rocprim17ROCPRIM_400000_NS6detail17trampoline_kernelINS0_13select_configILj256ELj13ELNS0_17block_load_methodE3ELS4_3ELS4_3ELNS0_20block_scan_algorithmE0ELj4294967295EEENS1_25partition_config_selectorILNS1_17partition_subalgoE4EjNS0_10empty_typeEbEEZZNS1_14partition_implILS8_4ELb0ES6_15HIP_vector_typeIjLj2EENS0_17counting_iteratorIjlEEPS9_SG_NS0_5tupleIJPjSI_NS0_16reverse_iteratorISI_EEEEENSH_IJSG_SG_SG_EEES9_SI_JZNS1_25segmented_radix_sort_implINS0_14default_configELb1EPKhPhPKlPlN2at6native12_GLOBAL__N_18offset_tEEE10hipError_tPvRmT1_PNSt15iterator_traitsIS12_E10value_typeET2_T3_PNS13_IS18_E10value_typeET4_jRbjT5_S1E_jjP12ihipStream_tbEUljE_ZNSN_ISO_Lb1ESQ_SR_ST_SU_SY_EESZ_S10_S11_S12_S16_S17_S18_S1B_S1C_jS1D_jS1E_S1E_jjS1G_bEUljE0_EEESZ_S10_S11_S18_S1C_S1E_T6_T7_T9_mT8_S1G_bDpT10_ENKUlT_T0_E_clISt17integral_constantIbLb1EES1U_EEDaS1P_S1Q_EUlS1P_E_NS1_11comp_targetILNS1_3genE0ELNS1_11target_archE4294967295ELNS1_3gpuE0ELNS1_3repE0EEENS1_30default_config_static_selectorELNS0_4arch9wavefront6targetE1EEEvS12_.has_indirect_call, 0
	.section	.AMDGPU.csdata,"",@progbits
; Kernel info:
; codeLenInByte = 0
; TotalNumSgprs: 4
; NumVgprs: 0
; ScratchSize: 0
; MemoryBound: 0
; FloatMode: 240
; IeeeMode: 1
; LDSByteSize: 0 bytes/workgroup (compile time only)
; SGPRBlocks: 0
; VGPRBlocks: 0
; NumSGPRsForWavesPerEU: 4
; NumVGPRsForWavesPerEU: 1
; Occupancy: 10
; WaveLimiterHint : 0
; COMPUTE_PGM_RSRC2:SCRATCH_EN: 0
; COMPUTE_PGM_RSRC2:USER_SGPR: 6
; COMPUTE_PGM_RSRC2:TRAP_HANDLER: 0
; COMPUTE_PGM_RSRC2:TGID_X_EN: 1
; COMPUTE_PGM_RSRC2:TGID_Y_EN: 0
; COMPUTE_PGM_RSRC2:TGID_Z_EN: 0
; COMPUTE_PGM_RSRC2:TIDIG_COMP_CNT: 0
	.section	.text._ZN7rocprim17ROCPRIM_400000_NS6detail17trampoline_kernelINS0_13select_configILj256ELj13ELNS0_17block_load_methodE3ELS4_3ELS4_3ELNS0_20block_scan_algorithmE0ELj4294967295EEENS1_25partition_config_selectorILNS1_17partition_subalgoE4EjNS0_10empty_typeEbEEZZNS1_14partition_implILS8_4ELb0ES6_15HIP_vector_typeIjLj2EENS0_17counting_iteratorIjlEEPS9_SG_NS0_5tupleIJPjSI_NS0_16reverse_iteratorISI_EEEEENSH_IJSG_SG_SG_EEES9_SI_JZNS1_25segmented_radix_sort_implINS0_14default_configELb1EPKhPhPKlPlN2at6native12_GLOBAL__N_18offset_tEEE10hipError_tPvRmT1_PNSt15iterator_traitsIS12_E10value_typeET2_T3_PNS13_IS18_E10value_typeET4_jRbjT5_S1E_jjP12ihipStream_tbEUljE_ZNSN_ISO_Lb1ESQ_SR_ST_SU_SY_EESZ_S10_S11_S12_S16_S17_S18_S1B_S1C_jS1D_jS1E_S1E_jjS1G_bEUljE0_EEESZ_S10_S11_S18_S1C_S1E_T6_T7_T9_mT8_S1G_bDpT10_ENKUlT_T0_E_clISt17integral_constantIbLb1EES1U_EEDaS1P_S1Q_EUlS1P_E_NS1_11comp_targetILNS1_3genE5ELNS1_11target_archE942ELNS1_3gpuE9ELNS1_3repE0EEENS1_30default_config_static_selectorELNS0_4arch9wavefront6targetE1EEEvS12_,"axG",@progbits,_ZN7rocprim17ROCPRIM_400000_NS6detail17trampoline_kernelINS0_13select_configILj256ELj13ELNS0_17block_load_methodE3ELS4_3ELS4_3ELNS0_20block_scan_algorithmE0ELj4294967295EEENS1_25partition_config_selectorILNS1_17partition_subalgoE4EjNS0_10empty_typeEbEEZZNS1_14partition_implILS8_4ELb0ES6_15HIP_vector_typeIjLj2EENS0_17counting_iteratorIjlEEPS9_SG_NS0_5tupleIJPjSI_NS0_16reverse_iteratorISI_EEEEENSH_IJSG_SG_SG_EEES9_SI_JZNS1_25segmented_radix_sort_implINS0_14default_configELb1EPKhPhPKlPlN2at6native12_GLOBAL__N_18offset_tEEE10hipError_tPvRmT1_PNSt15iterator_traitsIS12_E10value_typeET2_T3_PNS13_IS18_E10value_typeET4_jRbjT5_S1E_jjP12ihipStream_tbEUljE_ZNSN_ISO_Lb1ESQ_SR_ST_SU_SY_EESZ_S10_S11_S12_S16_S17_S18_S1B_S1C_jS1D_jS1E_S1E_jjS1G_bEUljE0_EEESZ_S10_S11_S18_S1C_S1E_T6_T7_T9_mT8_S1G_bDpT10_ENKUlT_T0_E_clISt17integral_constantIbLb1EES1U_EEDaS1P_S1Q_EUlS1P_E_NS1_11comp_targetILNS1_3genE5ELNS1_11target_archE942ELNS1_3gpuE9ELNS1_3repE0EEENS1_30default_config_static_selectorELNS0_4arch9wavefront6targetE1EEEvS12_,comdat
	.globl	_ZN7rocprim17ROCPRIM_400000_NS6detail17trampoline_kernelINS0_13select_configILj256ELj13ELNS0_17block_load_methodE3ELS4_3ELS4_3ELNS0_20block_scan_algorithmE0ELj4294967295EEENS1_25partition_config_selectorILNS1_17partition_subalgoE4EjNS0_10empty_typeEbEEZZNS1_14partition_implILS8_4ELb0ES6_15HIP_vector_typeIjLj2EENS0_17counting_iteratorIjlEEPS9_SG_NS0_5tupleIJPjSI_NS0_16reverse_iteratorISI_EEEEENSH_IJSG_SG_SG_EEES9_SI_JZNS1_25segmented_radix_sort_implINS0_14default_configELb1EPKhPhPKlPlN2at6native12_GLOBAL__N_18offset_tEEE10hipError_tPvRmT1_PNSt15iterator_traitsIS12_E10value_typeET2_T3_PNS13_IS18_E10value_typeET4_jRbjT5_S1E_jjP12ihipStream_tbEUljE_ZNSN_ISO_Lb1ESQ_SR_ST_SU_SY_EESZ_S10_S11_S12_S16_S17_S18_S1B_S1C_jS1D_jS1E_S1E_jjS1G_bEUljE0_EEESZ_S10_S11_S18_S1C_S1E_T6_T7_T9_mT8_S1G_bDpT10_ENKUlT_T0_E_clISt17integral_constantIbLb1EES1U_EEDaS1P_S1Q_EUlS1P_E_NS1_11comp_targetILNS1_3genE5ELNS1_11target_archE942ELNS1_3gpuE9ELNS1_3repE0EEENS1_30default_config_static_selectorELNS0_4arch9wavefront6targetE1EEEvS12_ ; -- Begin function _ZN7rocprim17ROCPRIM_400000_NS6detail17trampoline_kernelINS0_13select_configILj256ELj13ELNS0_17block_load_methodE3ELS4_3ELS4_3ELNS0_20block_scan_algorithmE0ELj4294967295EEENS1_25partition_config_selectorILNS1_17partition_subalgoE4EjNS0_10empty_typeEbEEZZNS1_14partition_implILS8_4ELb0ES6_15HIP_vector_typeIjLj2EENS0_17counting_iteratorIjlEEPS9_SG_NS0_5tupleIJPjSI_NS0_16reverse_iteratorISI_EEEEENSH_IJSG_SG_SG_EEES9_SI_JZNS1_25segmented_radix_sort_implINS0_14default_configELb1EPKhPhPKlPlN2at6native12_GLOBAL__N_18offset_tEEE10hipError_tPvRmT1_PNSt15iterator_traitsIS12_E10value_typeET2_T3_PNS13_IS18_E10value_typeET4_jRbjT5_S1E_jjP12ihipStream_tbEUljE_ZNSN_ISO_Lb1ESQ_SR_ST_SU_SY_EESZ_S10_S11_S12_S16_S17_S18_S1B_S1C_jS1D_jS1E_S1E_jjS1G_bEUljE0_EEESZ_S10_S11_S18_S1C_S1E_T6_T7_T9_mT8_S1G_bDpT10_ENKUlT_T0_E_clISt17integral_constantIbLb1EES1U_EEDaS1P_S1Q_EUlS1P_E_NS1_11comp_targetILNS1_3genE5ELNS1_11target_archE942ELNS1_3gpuE9ELNS1_3repE0EEENS1_30default_config_static_selectorELNS0_4arch9wavefront6targetE1EEEvS12_
	.p2align	8
	.type	_ZN7rocprim17ROCPRIM_400000_NS6detail17trampoline_kernelINS0_13select_configILj256ELj13ELNS0_17block_load_methodE3ELS4_3ELS4_3ELNS0_20block_scan_algorithmE0ELj4294967295EEENS1_25partition_config_selectorILNS1_17partition_subalgoE4EjNS0_10empty_typeEbEEZZNS1_14partition_implILS8_4ELb0ES6_15HIP_vector_typeIjLj2EENS0_17counting_iteratorIjlEEPS9_SG_NS0_5tupleIJPjSI_NS0_16reverse_iteratorISI_EEEEENSH_IJSG_SG_SG_EEES9_SI_JZNS1_25segmented_radix_sort_implINS0_14default_configELb1EPKhPhPKlPlN2at6native12_GLOBAL__N_18offset_tEEE10hipError_tPvRmT1_PNSt15iterator_traitsIS12_E10value_typeET2_T3_PNS13_IS18_E10value_typeET4_jRbjT5_S1E_jjP12ihipStream_tbEUljE_ZNSN_ISO_Lb1ESQ_SR_ST_SU_SY_EESZ_S10_S11_S12_S16_S17_S18_S1B_S1C_jS1D_jS1E_S1E_jjS1G_bEUljE0_EEESZ_S10_S11_S18_S1C_S1E_T6_T7_T9_mT8_S1G_bDpT10_ENKUlT_T0_E_clISt17integral_constantIbLb1EES1U_EEDaS1P_S1Q_EUlS1P_E_NS1_11comp_targetILNS1_3genE5ELNS1_11target_archE942ELNS1_3gpuE9ELNS1_3repE0EEENS1_30default_config_static_selectorELNS0_4arch9wavefront6targetE1EEEvS12_,@function
_ZN7rocprim17ROCPRIM_400000_NS6detail17trampoline_kernelINS0_13select_configILj256ELj13ELNS0_17block_load_methodE3ELS4_3ELS4_3ELNS0_20block_scan_algorithmE0ELj4294967295EEENS1_25partition_config_selectorILNS1_17partition_subalgoE4EjNS0_10empty_typeEbEEZZNS1_14partition_implILS8_4ELb0ES6_15HIP_vector_typeIjLj2EENS0_17counting_iteratorIjlEEPS9_SG_NS0_5tupleIJPjSI_NS0_16reverse_iteratorISI_EEEEENSH_IJSG_SG_SG_EEES9_SI_JZNS1_25segmented_radix_sort_implINS0_14default_configELb1EPKhPhPKlPlN2at6native12_GLOBAL__N_18offset_tEEE10hipError_tPvRmT1_PNSt15iterator_traitsIS12_E10value_typeET2_T3_PNS13_IS18_E10value_typeET4_jRbjT5_S1E_jjP12ihipStream_tbEUljE_ZNSN_ISO_Lb1ESQ_SR_ST_SU_SY_EESZ_S10_S11_S12_S16_S17_S18_S1B_S1C_jS1D_jS1E_S1E_jjS1G_bEUljE0_EEESZ_S10_S11_S18_S1C_S1E_T6_T7_T9_mT8_S1G_bDpT10_ENKUlT_T0_E_clISt17integral_constantIbLb1EES1U_EEDaS1P_S1Q_EUlS1P_E_NS1_11comp_targetILNS1_3genE5ELNS1_11target_archE942ELNS1_3gpuE9ELNS1_3repE0EEENS1_30default_config_static_selectorELNS0_4arch9wavefront6targetE1EEEvS12_: ; @_ZN7rocprim17ROCPRIM_400000_NS6detail17trampoline_kernelINS0_13select_configILj256ELj13ELNS0_17block_load_methodE3ELS4_3ELS4_3ELNS0_20block_scan_algorithmE0ELj4294967295EEENS1_25partition_config_selectorILNS1_17partition_subalgoE4EjNS0_10empty_typeEbEEZZNS1_14partition_implILS8_4ELb0ES6_15HIP_vector_typeIjLj2EENS0_17counting_iteratorIjlEEPS9_SG_NS0_5tupleIJPjSI_NS0_16reverse_iteratorISI_EEEEENSH_IJSG_SG_SG_EEES9_SI_JZNS1_25segmented_radix_sort_implINS0_14default_configELb1EPKhPhPKlPlN2at6native12_GLOBAL__N_18offset_tEEE10hipError_tPvRmT1_PNSt15iterator_traitsIS12_E10value_typeET2_T3_PNS13_IS18_E10value_typeET4_jRbjT5_S1E_jjP12ihipStream_tbEUljE_ZNSN_ISO_Lb1ESQ_SR_ST_SU_SY_EESZ_S10_S11_S12_S16_S17_S18_S1B_S1C_jS1D_jS1E_S1E_jjS1G_bEUljE0_EEESZ_S10_S11_S18_S1C_S1E_T6_T7_T9_mT8_S1G_bDpT10_ENKUlT_T0_E_clISt17integral_constantIbLb1EES1U_EEDaS1P_S1Q_EUlS1P_E_NS1_11comp_targetILNS1_3genE5ELNS1_11target_archE942ELNS1_3gpuE9ELNS1_3repE0EEENS1_30default_config_static_selectorELNS0_4arch9wavefront6targetE1EEEvS12_
; %bb.0:
	.section	.rodata,"a",@progbits
	.p2align	6, 0x0
	.amdhsa_kernel _ZN7rocprim17ROCPRIM_400000_NS6detail17trampoline_kernelINS0_13select_configILj256ELj13ELNS0_17block_load_methodE3ELS4_3ELS4_3ELNS0_20block_scan_algorithmE0ELj4294967295EEENS1_25partition_config_selectorILNS1_17partition_subalgoE4EjNS0_10empty_typeEbEEZZNS1_14partition_implILS8_4ELb0ES6_15HIP_vector_typeIjLj2EENS0_17counting_iteratorIjlEEPS9_SG_NS0_5tupleIJPjSI_NS0_16reverse_iteratorISI_EEEEENSH_IJSG_SG_SG_EEES9_SI_JZNS1_25segmented_radix_sort_implINS0_14default_configELb1EPKhPhPKlPlN2at6native12_GLOBAL__N_18offset_tEEE10hipError_tPvRmT1_PNSt15iterator_traitsIS12_E10value_typeET2_T3_PNS13_IS18_E10value_typeET4_jRbjT5_S1E_jjP12ihipStream_tbEUljE_ZNSN_ISO_Lb1ESQ_SR_ST_SU_SY_EESZ_S10_S11_S12_S16_S17_S18_S1B_S1C_jS1D_jS1E_S1E_jjS1G_bEUljE0_EEESZ_S10_S11_S18_S1C_S1E_T6_T7_T9_mT8_S1G_bDpT10_ENKUlT_T0_E_clISt17integral_constantIbLb1EES1U_EEDaS1P_S1Q_EUlS1P_E_NS1_11comp_targetILNS1_3genE5ELNS1_11target_archE942ELNS1_3gpuE9ELNS1_3repE0EEENS1_30default_config_static_selectorELNS0_4arch9wavefront6targetE1EEEvS12_
		.amdhsa_group_segment_fixed_size 0
		.amdhsa_private_segment_fixed_size 0
		.amdhsa_kernarg_size 184
		.amdhsa_user_sgpr_count 6
		.amdhsa_user_sgpr_private_segment_buffer 1
		.amdhsa_user_sgpr_dispatch_ptr 0
		.amdhsa_user_sgpr_queue_ptr 0
		.amdhsa_user_sgpr_kernarg_segment_ptr 1
		.amdhsa_user_sgpr_dispatch_id 0
		.amdhsa_user_sgpr_flat_scratch_init 0
		.amdhsa_user_sgpr_private_segment_size 0
		.amdhsa_uses_dynamic_stack 0
		.amdhsa_system_sgpr_private_segment_wavefront_offset 0
		.amdhsa_system_sgpr_workgroup_id_x 1
		.amdhsa_system_sgpr_workgroup_id_y 0
		.amdhsa_system_sgpr_workgroup_id_z 0
		.amdhsa_system_sgpr_workgroup_info 0
		.amdhsa_system_vgpr_workitem_id 0
		.amdhsa_next_free_vgpr 1
		.amdhsa_next_free_sgpr 0
		.amdhsa_reserve_vcc 0
		.amdhsa_reserve_flat_scratch 0
		.amdhsa_float_round_mode_32 0
		.amdhsa_float_round_mode_16_64 0
		.amdhsa_float_denorm_mode_32 3
		.amdhsa_float_denorm_mode_16_64 3
		.amdhsa_dx10_clamp 1
		.amdhsa_ieee_mode 1
		.amdhsa_fp16_overflow 0
		.amdhsa_exception_fp_ieee_invalid_op 0
		.amdhsa_exception_fp_denorm_src 0
		.amdhsa_exception_fp_ieee_div_zero 0
		.amdhsa_exception_fp_ieee_overflow 0
		.amdhsa_exception_fp_ieee_underflow 0
		.amdhsa_exception_fp_ieee_inexact 0
		.amdhsa_exception_int_div_zero 0
	.end_amdhsa_kernel
	.section	.text._ZN7rocprim17ROCPRIM_400000_NS6detail17trampoline_kernelINS0_13select_configILj256ELj13ELNS0_17block_load_methodE3ELS4_3ELS4_3ELNS0_20block_scan_algorithmE0ELj4294967295EEENS1_25partition_config_selectorILNS1_17partition_subalgoE4EjNS0_10empty_typeEbEEZZNS1_14partition_implILS8_4ELb0ES6_15HIP_vector_typeIjLj2EENS0_17counting_iteratorIjlEEPS9_SG_NS0_5tupleIJPjSI_NS0_16reverse_iteratorISI_EEEEENSH_IJSG_SG_SG_EEES9_SI_JZNS1_25segmented_radix_sort_implINS0_14default_configELb1EPKhPhPKlPlN2at6native12_GLOBAL__N_18offset_tEEE10hipError_tPvRmT1_PNSt15iterator_traitsIS12_E10value_typeET2_T3_PNS13_IS18_E10value_typeET4_jRbjT5_S1E_jjP12ihipStream_tbEUljE_ZNSN_ISO_Lb1ESQ_SR_ST_SU_SY_EESZ_S10_S11_S12_S16_S17_S18_S1B_S1C_jS1D_jS1E_S1E_jjS1G_bEUljE0_EEESZ_S10_S11_S18_S1C_S1E_T6_T7_T9_mT8_S1G_bDpT10_ENKUlT_T0_E_clISt17integral_constantIbLb1EES1U_EEDaS1P_S1Q_EUlS1P_E_NS1_11comp_targetILNS1_3genE5ELNS1_11target_archE942ELNS1_3gpuE9ELNS1_3repE0EEENS1_30default_config_static_selectorELNS0_4arch9wavefront6targetE1EEEvS12_,"axG",@progbits,_ZN7rocprim17ROCPRIM_400000_NS6detail17trampoline_kernelINS0_13select_configILj256ELj13ELNS0_17block_load_methodE3ELS4_3ELS4_3ELNS0_20block_scan_algorithmE0ELj4294967295EEENS1_25partition_config_selectorILNS1_17partition_subalgoE4EjNS0_10empty_typeEbEEZZNS1_14partition_implILS8_4ELb0ES6_15HIP_vector_typeIjLj2EENS0_17counting_iteratorIjlEEPS9_SG_NS0_5tupleIJPjSI_NS0_16reverse_iteratorISI_EEEEENSH_IJSG_SG_SG_EEES9_SI_JZNS1_25segmented_radix_sort_implINS0_14default_configELb1EPKhPhPKlPlN2at6native12_GLOBAL__N_18offset_tEEE10hipError_tPvRmT1_PNSt15iterator_traitsIS12_E10value_typeET2_T3_PNS13_IS18_E10value_typeET4_jRbjT5_S1E_jjP12ihipStream_tbEUljE_ZNSN_ISO_Lb1ESQ_SR_ST_SU_SY_EESZ_S10_S11_S12_S16_S17_S18_S1B_S1C_jS1D_jS1E_S1E_jjS1G_bEUljE0_EEESZ_S10_S11_S18_S1C_S1E_T6_T7_T9_mT8_S1G_bDpT10_ENKUlT_T0_E_clISt17integral_constantIbLb1EES1U_EEDaS1P_S1Q_EUlS1P_E_NS1_11comp_targetILNS1_3genE5ELNS1_11target_archE942ELNS1_3gpuE9ELNS1_3repE0EEENS1_30default_config_static_selectorELNS0_4arch9wavefront6targetE1EEEvS12_,comdat
.Lfunc_end22:
	.size	_ZN7rocprim17ROCPRIM_400000_NS6detail17trampoline_kernelINS0_13select_configILj256ELj13ELNS0_17block_load_methodE3ELS4_3ELS4_3ELNS0_20block_scan_algorithmE0ELj4294967295EEENS1_25partition_config_selectorILNS1_17partition_subalgoE4EjNS0_10empty_typeEbEEZZNS1_14partition_implILS8_4ELb0ES6_15HIP_vector_typeIjLj2EENS0_17counting_iteratorIjlEEPS9_SG_NS0_5tupleIJPjSI_NS0_16reverse_iteratorISI_EEEEENSH_IJSG_SG_SG_EEES9_SI_JZNS1_25segmented_radix_sort_implINS0_14default_configELb1EPKhPhPKlPlN2at6native12_GLOBAL__N_18offset_tEEE10hipError_tPvRmT1_PNSt15iterator_traitsIS12_E10value_typeET2_T3_PNS13_IS18_E10value_typeET4_jRbjT5_S1E_jjP12ihipStream_tbEUljE_ZNSN_ISO_Lb1ESQ_SR_ST_SU_SY_EESZ_S10_S11_S12_S16_S17_S18_S1B_S1C_jS1D_jS1E_S1E_jjS1G_bEUljE0_EEESZ_S10_S11_S18_S1C_S1E_T6_T7_T9_mT8_S1G_bDpT10_ENKUlT_T0_E_clISt17integral_constantIbLb1EES1U_EEDaS1P_S1Q_EUlS1P_E_NS1_11comp_targetILNS1_3genE5ELNS1_11target_archE942ELNS1_3gpuE9ELNS1_3repE0EEENS1_30default_config_static_selectorELNS0_4arch9wavefront6targetE1EEEvS12_, .Lfunc_end22-_ZN7rocprim17ROCPRIM_400000_NS6detail17trampoline_kernelINS0_13select_configILj256ELj13ELNS0_17block_load_methodE3ELS4_3ELS4_3ELNS0_20block_scan_algorithmE0ELj4294967295EEENS1_25partition_config_selectorILNS1_17partition_subalgoE4EjNS0_10empty_typeEbEEZZNS1_14partition_implILS8_4ELb0ES6_15HIP_vector_typeIjLj2EENS0_17counting_iteratorIjlEEPS9_SG_NS0_5tupleIJPjSI_NS0_16reverse_iteratorISI_EEEEENSH_IJSG_SG_SG_EEES9_SI_JZNS1_25segmented_radix_sort_implINS0_14default_configELb1EPKhPhPKlPlN2at6native12_GLOBAL__N_18offset_tEEE10hipError_tPvRmT1_PNSt15iterator_traitsIS12_E10value_typeET2_T3_PNS13_IS18_E10value_typeET4_jRbjT5_S1E_jjP12ihipStream_tbEUljE_ZNSN_ISO_Lb1ESQ_SR_ST_SU_SY_EESZ_S10_S11_S12_S16_S17_S18_S1B_S1C_jS1D_jS1E_S1E_jjS1G_bEUljE0_EEESZ_S10_S11_S18_S1C_S1E_T6_T7_T9_mT8_S1G_bDpT10_ENKUlT_T0_E_clISt17integral_constantIbLb1EES1U_EEDaS1P_S1Q_EUlS1P_E_NS1_11comp_targetILNS1_3genE5ELNS1_11target_archE942ELNS1_3gpuE9ELNS1_3repE0EEENS1_30default_config_static_selectorELNS0_4arch9wavefront6targetE1EEEvS12_
                                        ; -- End function
	.set _ZN7rocprim17ROCPRIM_400000_NS6detail17trampoline_kernelINS0_13select_configILj256ELj13ELNS0_17block_load_methodE3ELS4_3ELS4_3ELNS0_20block_scan_algorithmE0ELj4294967295EEENS1_25partition_config_selectorILNS1_17partition_subalgoE4EjNS0_10empty_typeEbEEZZNS1_14partition_implILS8_4ELb0ES6_15HIP_vector_typeIjLj2EENS0_17counting_iteratorIjlEEPS9_SG_NS0_5tupleIJPjSI_NS0_16reverse_iteratorISI_EEEEENSH_IJSG_SG_SG_EEES9_SI_JZNS1_25segmented_radix_sort_implINS0_14default_configELb1EPKhPhPKlPlN2at6native12_GLOBAL__N_18offset_tEEE10hipError_tPvRmT1_PNSt15iterator_traitsIS12_E10value_typeET2_T3_PNS13_IS18_E10value_typeET4_jRbjT5_S1E_jjP12ihipStream_tbEUljE_ZNSN_ISO_Lb1ESQ_SR_ST_SU_SY_EESZ_S10_S11_S12_S16_S17_S18_S1B_S1C_jS1D_jS1E_S1E_jjS1G_bEUljE0_EEESZ_S10_S11_S18_S1C_S1E_T6_T7_T9_mT8_S1G_bDpT10_ENKUlT_T0_E_clISt17integral_constantIbLb1EES1U_EEDaS1P_S1Q_EUlS1P_E_NS1_11comp_targetILNS1_3genE5ELNS1_11target_archE942ELNS1_3gpuE9ELNS1_3repE0EEENS1_30default_config_static_selectorELNS0_4arch9wavefront6targetE1EEEvS12_.num_vgpr, 0
	.set _ZN7rocprim17ROCPRIM_400000_NS6detail17trampoline_kernelINS0_13select_configILj256ELj13ELNS0_17block_load_methodE3ELS4_3ELS4_3ELNS0_20block_scan_algorithmE0ELj4294967295EEENS1_25partition_config_selectorILNS1_17partition_subalgoE4EjNS0_10empty_typeEbEEZZNS1_14partition_implILS8_4ELb0ES6_15HIP_vector_typeIjLj2EENS0_17counting_iteratorIjlEEPS9_SG_NS0_5tupleIJPjSI_NS0_16reverse_iteratorISI_EEEEENSH_IJSG_SG_SG_EEES9_SI_JZNS1_25segmented_radix_sort_implINS0_14default_configELb1EPKhPhPKlPlN2at6native12_GLOBAL__N_18offset_tEEE10hipError_tPvRmT1_PNSt15iterator_traitsIS12_E10value_typeET2_T3_PNS13_IS18_E10value_typeET4_jRbjT5_S1E_jjP12ihipStream_tbEUljE_ZNSN_ISO_Lb1ESQ_SR_ST_SU_SY_EESZ_S10_S11_S12_S16_S17_S18_S1B_S1C_jS1D_jS1E_S1E_jjS1G_bEUljE0_EEESZ_S10_S11_S18_S1C_S1E_T6_T7_T9_mT8_S1G_bDpT10_ENKUlT_T0_E_clISt17integral_constantIbLb1EES1U_EEDaS1P_S1Q_EUlS1P_E_NS1_11comp_targetILNS1_3genE5ELNS1_11target_archE942ELNS1_3gpuE9ELNS1_3repE0EEENS1_30default_config_static_selectorELNS0_4arch9wavefront6targetE1EEEvS12_.num_agpr, 0
	.set _ZN7rocprim17ROCPRIM_400000_NS6detail17trampoline_kernelINS0_13select_configILj256ELj13ELNS0_17block_load_methodE3ELS4_3ELS4_3ELNS0_20block_scan_algorithmE0ELj4294967295EEENS1_25partition_config_selectorILNS1_17partition_subalgoE4EjNS0_10empty_typeEbEEZZNS1_14partition_implILS8_4ELb0ES6_15HIP_vector_typeIjLj2EENS0_17counting_iteratorIjlEEPS9_SG_NS0_5tupleIJPjSI_NS0_16reverse_iteratorISI_EEEEENSH_IJSG_SG_SG_EEES9_SI_JZNS1_25segmented_radix_sort_implINS0_14default_configELb1EPKhPhPKlPlN2at6native12_GLOBAL__N_18offset_tEEE10hipError_tPvRmT1_PNSt15iterator_traitsIS12_E10value_typeET2_T3_PNS13_IS18_E10value_typeET4_jRbjT5_S1E_jjP12ihipStream_tbEUljE_ZNSN_ISO_Lb1ESQ_SR_ST_SU_SY_EESZ_S10_S11_S12_S16_S17_S18_S1B_S1C_jS1D_jS1E_S1E_jjS1G_bEUljE0_EEESZ_S10_S11_S18_S1C_S1E_T6_T7_T9_mT8_S1G_bDpT10_ENKUlT_T0_E_clISt17integral_constantIbLb1EES1U_EEDaS1P_S1Q_EUlS1P_E_NS1_11comp_targetILNS1_3genE5ELNS1_11target_archE942ELNS1_3gpuE9ELNS1_3repE0EEENS1_30default_config_static_selectorELNS0_4arch9wavefront6targetE1EEEvS12_.numbered_sgpr, 0
	.set _ZN7rocprim17ROCPRIM_400000_NS6detail17trampoline_kernelINS0_13select_configILj256ELj13ELNS0_17block_load_methodE3ELS4_3ELS4_3ELNS0_20block_scan_algorithmE0ELj4294967295EEENS1_25partition_config_selectorILNS1_17partition_subalgoE4EjNS0_10empty_typeEbEEZZNS1_14partition_implILS8_4ELb0ES6_15HIP_vector_typeIjLj2EENS0_17counting_iteratorIjlEEPS9_SG_NS0_5tupleIJPjSI_NS0_16reverse_iteratorISI_EEEEENSH_IJSG_SG_SG_EEES9_SI_JZNS1_25segmented_radix_sort_implINS0_14default_configELb1EPKhPhPKlPlN2at6native12_GLOBAL__N_18offset_tEEE10hipError_tPvRmT1_PNSt15iterator_traitsIS12_E10value_typeET2_T3_PNS13_IS18_E10value_typeET4_jRbjT5_S1E_jjP12ihipStream_tbEUljE_ZNSN_ISO_Lb1ESQ_SR_ST_SU_SY_EESZ_S10_S11_S12_S16_S17_S18_S1B_S1C_jS1D_jS1E_S1E_jjS1G_bEUljE0_EEESZ_S10_S11_S18_S1C_S1E_T6_T7_T9_mT8_S1G_bDpT10_ENKUlT_T0_E_clISt17integral_constantIbLb1EES1U_EEDaS1P_S1Q_EUlS1P_E_NS1_11comp_targetILNS1_3genE5ELNS1_11target_archE942ELNS1_3gpuE9ELNS1_3repE0EEENS1_30default_config_static_selectorELNS0_4arch9wavefront6targetE1EEEvS12_.num_named_barrier, 0
	.set _ZN7rocprim17ROCPRIM_400000_NS6detail17trampoline_kernelINS0_13select_configILj256ELj13ELNS0_17block_load_methodE3ELS4_3ELS4_3ELNS0_20block_scan_algorithmE0ELj4294967295EEENS1_25partition_config_selectorILNS1_17partition_subalgoE4EjNS0_10empty_typeEbEEZZNS1_14partition_implILS8_4ELb0ES6_15HIP_vector_typeIjLj2EENS0_17counting_iteratorIjlEEPS9_SG_NS0_5tupleIJPjSI_NS0_16reverse_iteratorISI_EEEEENSH_IJSG_SG_SG_EEES9_SI_JZNS1_25segmented_radix_sort_implINS0_14default_configELb1EPKhPhPKlPlN2at6native12_GLOBAL__N_18offset_tEEE10hipError_tPvRmT1_PNSt15iterator_traitsIS12_E10value_typeET2_T3_PNS13_IS18_E10value_typeET4_jRbjT5_S1E_jjP12ihipStream_tbEUljE_ZNSN_ISO_Lb1ESQ_SR_ST_SU_SY_EESZ_S10_S11_S12_S16_S17_S18_S1B_S1C_jS1D_jS1E_S1E_jjS1G_bEUljE0_EEESZ_S10_S11_S18_S1C_S1E_T6_T7_T9_mT8_S1G_bDpT10_ENKUlT_T0_E_clISt17integral_constantIbLb1EES1U_EEDaS1P_S1Q_EUlS1P_E_NS1_11comp_targetILNS1_3genE5ELNS1_11target_archE942ELNS1_3gpuE9ELNS1_3repE0EEENS1_30default_config_static_selectorELNS0_4arch9wavefront6targetE1EEEvS12_.private_seg_size, 0
	.set _ZN7rocprim17ROCPRIM_400000_NS6detail17trampoline_kernelINS0_13select_configILj256ELj13ELNS0_17block_load_methodE3ELS4_3ELS4_3ELNS0_20block_scan_algorithmE0ELj4294967295EEENS1_25partition_config_selectorILNS1_17partition_subalgoE4EjNS0_10empty_typeEbEEZZNS1_14partition_implILS8_4ELb0ES6_15HIP_vector_typeIjLj2EENS0_17counting_iteratorIjlEEPS9_SG_NS0_5tupleIJPjSI_NS0_16reverse_iteratorISI_EEEEENSH_IJSG_SG_SG_EEES9_SI_JZNS1_25segmented_radix_sort_implINS0_14default_configELb1EPKhPhPKlPlN2at6native12_GLOBAL__N_18offset_tEEE10hipError_tPvRmT1_PNSt15iterator_traitsIS12_E10value_typeET2_T3_PNS13_IS18_E10value_typeET4_jRbjT5_S1E_jjP12ihipStream_tbEUljE_ZNSN_ISO_Lb1ESQ_SR_ST_SU_SY_EESZ_S10_S11_S12_S16_S17_S18_S1B_S1C_jS1D_jS1E_S1E_jjS1G_bEUljE0_EEESZ_S10_S11_S18_S1C_S1E_T6_T7_T9_mT8_S1G_bDpT10_ENKUlT_T0_E_clISt17integral_constantIbLb1EES1U_EEDaS1P_S1Q_EUlS1P_E_NS1_11comp_targetILNS1_3genE5ELNS1_11target_archE942ELNS1_3gpuE9ELNS1_3repE0EEENS1_30default_config_static_selectorELNS0_4arch9wavefront6targetE1EEEvS12_.uses_vcc, 0
	.set _ZN7rocprim17ROCPRIM_400000_NS6detail17trampoline_kernelINS0_13select_configILj256ELj13ELNS0_17block_load_methodE3ELS4_3ELS4_3ELNS0_20block_scan_algorithmE0ELj4294967295EEENS1_25partition_config_selectorILNS1_17partition_subalgoE4EjNS0_10empty_typeEbEEZZNS1_14partition_implILS8_4ELb0ES6_15HIP_vector_typeIjLj2EENS0_17counting_iteratorIjlEEPS9_SG_NS0_5tupleIJPjSI_NS0_16reverse_iteratorISI_EEEEENSH_IJSG_SG_SG_EEES9_SI_JZNS1_25segmented_radix_sort_implINS0_14default_configELb1EPKhPhPKlPlN2at6native12_GLOBAL__N_18offset_tEEE10hipError_tPvRmT1_PNSt15iterator_traitsIS12_E10value_typeET2_T3_PNS13_IS18_E10value_typeET4_jRbjT5_S1E_jjP12ihipStream_tbEUljE_ZNSN_ISO_Lb1ESQ_SR_ST_SU_SY_EESZ_S10_S11_S12_S16_S17_S18_S1B_S1C_jS1D_jS1E_S1E_jjS1G_bEUljE0_EEESZ_S10_S11_S18_S1C_S1E_T6_T7_T9_mT8_S1G_bDpT10_ENKUlT_T0_E_clISt17integral_constantIbLb1EES1U_EEDaS1P_S1Q_EUlS1P_E_NS1_11comp_targetILNS1_3genE5ELNS1_11target_archE942ELNS1_3gpuE9ELNS1_3repE0EEENS1_30default_config_static_selectorELNS0_4arch9wavefront6targetE1EEEvS12_.uses_flat_scratch, 0
	.set _ZN7rocprim17ROCPRIM_400000_NS6detail17trampoline_kernelINS0_13select_configILj256ELj13ELNS0_17block_load_methodE3ELS4_3ELS4_3ELNS0_20block_scan_algorithmE0ELj4294967295EEENS1_25partition_config_selectorILNS1_17partition_subalgoE4EjNS0_10empty_typeEbEEZZNS1_14partition_implILS8_4ELb0ES6_15HIP_vector_typeIjLj2EENS0_17counting_iteratorIjlEEPS9_SG_NS0_5tupleIJPjSI_NS0_16reverse_iteratorISI_EEEEENSH_IJSG_SG_SG_EEES9_SI_JZNS1_25segmented_radix_sort_implINS0_14default_configELb1EPKhPhPKlPlN2at6native12_GLOBAL__N_18offset_tEEE10hipError_tPvRmT1_PNSt15iterator_traitsIS12_E10value_typeET2_T3_PNS13_IS18_E10value_typeET4_jRbjT5_S1E_jjP12ihipStream_tbEUljE_ZNSN_ISO_Lb1ESQ_SR_ST_SU_SY_EESZ_S10_S11_S12_S16_S17_S18_S1B_S1C_jS1D_jS1E_S1E_jjS1G_bEUljE0_EEESZ_S10_S11_S18_S1C_S1E_T6_T7_T9_mT8_S1G_bDpT10_ENKUlT_T0_E_clISt17integral_constantIbLb1EES1U_EEDaS1P_S1Q_EUlS1P_E_NS1_11comp_targetILNS1_3genE5ELNS1_11target_archE942ELNS1_3gpuE9ELNS1_3repE0EEENS1_30default_config_static_selectorELNS0_4arch9wavefront6targetE1EEEvS12_.has_dyn_sized_stack, 0
	.set _ZN7rocprim17ROCPRIM_400000_NS6detail17trampoline_kernelINS0_13select_configILj256ELj13ELNS0_17block_load_methodE3ELS4_3ELS4_3ELNS0_20block_scan_algorithmE0ELj4294967295EEENS1_25partition_config_selectorILNS1_17partition_subalgoE4EjNS0_10empty_typeEbEEZZNS1_14partition_implILS8_4ELb0ES6_15HIP_vector_typeIjLj2EENS0_17counting_iteratorIjlEEPS9_SG_NS0_5tupleIJPjSI_NS0_16reverse_iteratorISI_EEEEENSH_IJSG_SG_SG_EEES9_SI_JZNS1_25segmented_radix_sort_implINS0_14default_configELb1EPKhPhPKlPlN2at6native12_GLOBAL__N_18offset_tEEE10hipError_tPvRmT1_PNSt15iterator_traitsIS12_E10value_typeET2_T3_PNS13_IS18_E10value_typeET4_jRbjT5_S1E_jjP12ihipStream_tbEUljE_ZNSN_ISO_Lb1ESQ_SR_ST_SU_SY_EESZ_S10_S11_S12_S16_S17_S18_S1B_S1C_jS1D_jS1E_S1E_jjS1G_bEUljE0_EEESZ_S10_S11_S18_S1C_S1E_T6_T7_T9_mT8_S1G_bDpT10_ENKUlT_T0_E_clISt17integral_constantIbLb1EES1U_EEDaS1P_S1Q_EUlS1P_E_NS1_11comp_targetILNS1_3genE5ELNS1_11target_archE942ELNS1_3gpuE9ELNS1_3repE0EEENS1_30default_config_static_selectorELNS0_4arch9wavefront6targetE1EEEvS12_.has_recursion, 0
	.set _ZN7rocprim17ROCPRIM_400000_NS6detail17trampoline_kernelINS0_13select_configILj256ELj13ELNS0_17block_load_methodE3ELS4_3ELS4_3ELNS0_20block_scan_algorithmE0ELj4294967295EEENS1_25partition_config_selectorILNS1_17partition_subalgoE4EjNS0_10empty_typeEbEEZZNS1_14partition_implILS8_4ELb0ES6_15HIP_vector_typeIjLj2EENS0_17counting_iteratorIjlEEPS9_SG_NS0_5tupleIJPjSI_NS0_16reverse_iteratorISI_EEEEENSH_IJSG_SG_SG_EEES9_SI_JZNS1_25segmented_radix_sort_implINS0_14default_configELb1EPKhPhPKlPlN2at6native12_GLOBAL__N_18offset_tEEE10hipError_tPvRmT1_PNSt15iterator_traitsIS12_E10value_typeET2_T3_PNS13_IS18_E10value_typeET4_jRbjT5_S1E_jjP12ihipStream_tbEUljE_ZNSN_ISO_Lb1ESQ_SR_ST_SU_SY_EESZ_S10_S11_S12_S16_S17_S18_S1B_S1C_jS1D_jS1E_S1E_jjS1G_bEUljE0_EEESZ_S10_S11_S18_S1C_S1E_T6_T7_T9_mT8_S1G_bDpT10_ENKUlT_T0_E_clISt17integral_constantIbLb1EES1U_EEDaS1P_S1Q_EUlS1P_E_NS1_11comp_targetILNS1_3genE5ELNS1_11target_archE942ELNS1_3gpuE9ELNS1_3repE0EEENS1_30default_config_static_selectorELNS0_4arch9wavefront6targetE1EEEvS12_.has_indirect_call, 0
	.section	.AMDGPU.csdata,"",@progbits
; Kernel info:
; codeLenInByte = 0
; TotalNumSgprs: 4
; NumVgprs: 0
; ScratchSize: 0
; MemoryBound: 0
; FloatMode: 240
; IeeeMode: 1
; LDSByteSize: 0 bytes/workgroup (compile time only)
; SGPRBlocks: 0
; VGPRBlocks: 0
; NumSGPRsForWavesPerEU: 4
; NumVGPRsForWavesPerEU: 1
; Occupancy: 10
; WaveLimiterHint : 0
; COMPUTE_PGM_RSRC2:SCRATCH_EN: 0
; COMPUTE_PGM_RSRC2:USER_SGPR: 6
; COMPUTE_PGM_RSRC2:TRAP_HANDLER: 0
; COMPUTE_PGM_RSRC2:TGID_X_EN: 1
; COMPUTE_PGM_RSRC2:TGID_Y_EN: 0
; COMPUTE_PGM_RSRC2:TGID_Z_EN: 0
; COMPUTE_PGM_RSRC2:TIDIG_COMP_CNT: 0
	.section	.text._ZN7rocprim17ROCPRIM_400000_NS6detail17trampoline_kernelINS0_13select_configILj256ELj13ELNS0_17block_load_methodE3ELS4_3ELS4_3ELNS0_20block_scan_algorithmE0ELj4294967295EEENS1_25partition_config_selectorILNS1_17partition_subalgoE4EjNS0_10empty_typeEbEEZZNS1_14partition_implILS8_4ELb0ES6_15HIP_vector_typeIjLj2EENS0_17counting_iteratorIjlEEPS9_SG_NS0_5tupleIJPjSI_NS0_16reverse_iteratorISI_EEEEENSH_IJSG_SG_SG_EEES9_SI_JZNS1_25segmented_radix_sort_implINS0_14default_configELb1EPKhPhPKlPlN2at6native12_GLOBAL__N_18offset_tEEE10hipError_tPvRmT1_PNSt15iterator_traitsIS12_E10value_typeET2_T3_PNS13_IS18_E10value_typeET4_jRbjT5_S1E_jjP12ihipStream_tbEUljE_ZNSN_ISO_Lb1ESQ_SR_ST_SU_SY_EESZ_S10_S11_S12_S16_S17_S18_S1B_S1C_jS1D_jS1E_S1E_jjS1G_bEUljE0_EEESZ_S10_S11_S18_S1C_S1E_T6_T7_T9_mT8_S1G_bDpT10_ENKUlT_T0_E_clISt17integral_constantIbLb1EES1U_EEDaS1P_S1Q_EUlS1P_E_NS1_11comp_targetILNS1_3genE4ELNS1_11target_archE910ELNS1_3gpuE8ELNS1_3repE0EEENS1_30default_config_static_selectorELNS0_4arch9wavefront6targetE1EEEvS12_,"axG",@progbits,_ZN7rocprim17ROCPRIM_400000_NS6detail17trampoline_kernelINS0_13select_configILj256ELj13ELNS0_17block_load_methodE3ELS4_3ELS4_3ELNS0_20block_scan_algorithmE0ELj4294967295EEENS1_25partition_config_selectorILNS1_17partition_subalgoE4EjNS0_10empty_typeEbEEZZNS1_14partition_implILS8_4ELb0ES6_15HIP_vector_typeIjLj2EENS0_17counting_iteratorIjlEEPS9_SG_NS0_5tupleIJPjSI_NS0_16reverse_iteratorISI_EEEEENSH_IJSG_SG_SG_EEES9_SI_JZNS1_25segmented_radix_sort_implINS0_14default_configELb1EPKhPhPKlPlN2at6native12_GLOBAL__N_18offset_tEEE10hipError_tPvRmT1_PNSt15iterator_traitsIS12_E10value_typeET2_T3_PNS13_IS18_E10value_typeET4_jRbjT5_S1E_jjP12ihipStream_tbEUljE_ZNSN_ISO_Lb1ESQ_SR_ST_SU_SY_EESZ_S10_S11_S12_S16_S17_S18_S1B_S1C_jS1D_jS1E_S1E_jjS1G_bEUljE0_EEESZ_S10_S11_S18_S1C_S1E_T6_T7_T9_mT8_S1G_bDpT10_ENKUlT_T0_E_clISt17integral_constantIbLb1EES1U_EEDaS1P_S1Q_EUlS1P_E_NS1_11comp_targetILNS1_3genE4ELNS1_11target_archE910ELNS1_3gpuE8ELNS1_3repE0EEENS1_30default_config_static_selectorELNS0_4arch9wavefront6targetE1EEEvS12_,comdat
	.globl	_ZN7rocprim17ROCPRIM_400000_NS6detail17trampoline_kernelINS0_13select_configILj256ELj13ELNS0_17block_load_methodE3ELS4_3ELS4_3ELNS0_20block_scan_algorithmE0ELj4294967295EEENS1_25partition_config_selectorILNS1_17partition_subalgoE4EjNS0_10empty_typeEbEEZZNS1_14partition_implILS8_4ELb0ES6_15HIP_vector_typeIjLj2EENS0_17counting_iteratorIjlEEPS9_SG_NS0_5tupleIJPjSI_NS0_16reverse_iteratorISI_EEEEENSH_IJSG_SG_SG_EEES9_SI_JZNS1_25segmented_radix_sort_implINS0_14default_configELb1EPKhPhPKlPlN2at6native12_GLOBAL__N_18offset_tEEE10hipError_tPvRmT1_PNSt15iterator_traitsIS12_E10value_typeET2_T3_PNS13_IS18_E10value_typeET4_jRbjT5_S1E_jjP12ihipStream_tbEUljE_ZNSN_ISO_Lb1ESQ_SR_ST_SU_SY_EESZ_S10_S11_S12_S16_S17_S18_S1B_S1C_jS1D_jS1E_S1E_jjS1G_bEUljE0_EEESZ_S10_S11_S18_S1C_S1E_T6_T7_T9_mT8_S1G_bDpT10_ENKUlT_T0_E_clISt17integral_constantIbLb1EES1U_EEDaS1P_S1Q_EUlS1P_E_NS1_11comp_targetILNS1_3genE4ELNS1_11target_archE910ELNS1_3gpuE8ELNS1_3repE0EEENS1_30default_config_static_selectorELNS0_4arch9wavefront6targetE1EEEvS12_ ; -- Begin function _ZN7rocprim17ROCPRIM_400000_NS6detail17trampoline_kernelINS0_13select_configILj256ELj13ELNS0_17block_load_methodE3ELS4_3ELS4_3ELNS0_20block_scan_algorithmE0ELj4294967295EEENS1_25partition_config_selectorILNS1_17partition_subalgoE4EjNS0_10empty_typeEbEEZZNS1_14partition_implILS8_4ELb0ES6_15HIP_vector_typeIjLj2EENS0_17counting_iteratorIjlEEPS9_SG_NS0_5tupleIJPjSI_NS0_16reverse_iteratorISI_EEEEENSH_IJSG_SG_SG_EEES9_SI_JZNS1_25segmented_radix_sort_implINS0_14default_configELb1EPKhPhPKlPlN2at6native12_GLOBAL__N_18offset_tEEE10hipError_tPvRmT1_PNSt15iterator_traitsIS12_E10value_typeET2_T3_PNS13_IS18_E10value_typeET4_jRbjT5_S1E_jjP12ihipStream_tbEUljE_ZNSN_ISO_Lb1ESQ_SR_ST_SU_SY_EESZ_S10_S11_S12_S16_S17_S18_S1B_S1C_jS1D_jS1E_S1E_jjS1G_bEUljE0_EEESZ_S10_S11_S18_S1C_S1E_T6_T7_T9_mT8_S1G_bDpT10_ENKUlT_T0_E_clISt17integral_constantIbLb1EES1U_EEDaS1P_S1Q_EUlS1P_E_NS1_11comp_targetILNS1_3genE4ELNS1_11target_archE910ELNS1_3gpuE8ELNS1_3repE0EEENS1_30default_config_static_selectorELNS0_4arch9wavefront6targetE1EEEvS12_
	.p2align	8
	.type	_ZN7rocprim17ROCPRIM_400000_NS6detail17trampoline_kernelINS0_13select_configILj256ELj13ELNS0_17block_load_methodE3ELS4_3ELS4_3ELNS0_20block_scan_algorithmE0ELj4294967295EEENS1_25partition_config_selectorILNS1_17partition_subalgoE4EjNS0_10empty_typeEbEEZZNS1_14partition_implILS8_4ELb0ES6_15HIP_vector_typeIjLj2EENS0_17counting_iteratorIjlEEPS9_SG_NS0_5tupleIJPjSI_NS0_16reverse_iteratorISI_EEEEENSH_IJSG_SG_SG_EEES9_SI_JZNS1_25segmented_radix_sort_implINS0_14default_configELb1EPKhPhPKlPlN2at6native12_GLOBAL__N_18offset_tEEE10hipError_tPvRmT1_PNSt15iterator_traitsIS12_E10value_typeET2_T3_PNS13_IS18_E10value_typeET4_jRbjT5_S1E_jjP12ihipStream_tbEUljE_ZNSN_ISO_Lb1ESQ_SR_ST_SU_SY_EESZ_S10_S11_S12_S16_S17_S18_S1B_S1C_jS1D_jS1E_S1E_jjS1G_bEUljE0_EEESZ_S10_S11_S18_S1C_S1E_T6_T7_T9_mT8_S1G_bDpT10_ENKUlT_T0_E_clISt17integral_constantIbLb1EES1U_EEDaS1P_S1Q_EUlS1P_E_NS1_11comp_targetILNS1_3genE4ELNS1_11target_archE910ELNS1_3gpuE8ELNS1_3repE0EEENS1_30default_config_static_selectorELNS0_4arch9wavefront6targetE1EEEvS12_,@function
_ZN7rocprim17ROCPRIM_400000_NS6detail17trampoline_kernelINS0_13select_configILj256ELj13ELNS0_17block_load_methodE3ELS4_3ELS4_3ELNS0_20block_scan_algorithmE0ELj4294967295EEENS1_25partition_config_selectorILNS1_17partition_subalgoE4EjNS0_10empty_typeEbEEZZNS1_14partition_implILS8_4ELb0ES6_15HIP_vector_typeIjLj2EENS0_17counting_iteratorIjlEEPS9_SG_NS0_5tupleIJPjSI_NS0_16reverse_iteratorISI_EEEEENSH_IJSG_SG_SG_EEES9_SI_JZNS1_25segmented_radix_sort_implINS0_14default_configELb1EPKhPhPKlPlN2at6native12_GLOBAL__N_18offset_tEEE10hipError_tPvRmT1_PNSt15iterator_traitsIS12_E10value_typeET2_T3_PNS13_IS18_E10value_typeET4_jRbjT5_S1E_jjP12ihipStream_tbEUljE_ZNSN_ISO_Lb1ESQ_SR_ST_SU_SY_EESZ_S10_S11_S12_S16_S17_S18_S1B_S1C_jS1D_jS1E_S1E_jjS1G_bEUljE0_EEESZ_S10_S11_S18_S1C_S1E_T6_T7_T9_mT8_S1G_bDpT10_ENKUlT_T0_E_clISt17integral_constantIbLb1EES1U_EEDaS1P_S1Q_EUlS1P_E_NS1_11comp_targetILNS1_3genE4ELNS1_11target_archE910ELNS1_3gpuE8ELNS1_3repE0EEENS1_30default_config_static_selectorELNS0_4arch9wavefront6targetE1EEEvS12_: ; @_ZN7rocprim17ROCPRIM_400000_NS6detail17trampoline_kernelINS0_13select_configILj256ELj13ELNS0_17block_load_methodE3ELS4_3ELS4_3ELNS0_20block_scan_algorithmE0ELj4294967295EEENS1_25partition_config_selectorILNS1_17partition_subalgoE4EjNS0_10empty_typeEbEEZZNS1_14partition_implILS8_4ELb0ES6_15HIP_vector_typeIjLj2EENS0_17counting_iteratorIjlEEPS9_SG_NS0_5tupleIJPjSI_NS0_16reverse_iteratorISI_EEEEENSH_IJSG_SG_SG_EEES9_SI_JZNS1_25segmented_radix_sort_implINS0_14default_configELb1EPKhPhPKlPlN2at6native12_GLOBAL__N_18offset_tEEE10hipError_tPvRmT1_PNSt15iterator_traitsIS12_E10value_typeET2_T3_PNS13_IS18_E10value_typeET4_jRbjT5_S1E_jjP12ihipStream_tbEUljE_ZNSN_ISO_Lb1ESQ_SR_ST_SU_SY_EESZ_S10_S11_S12_S16_S17_S18_S1B_S1C_jS1D_jS1E_S1E_jjS1G_bEUljE0_EEESZ_S10_S11_S18_S1C_S1E_T6_T7_T9_mT8_S1G_bDpT10_ENKUlT_T0_E_clISt17integral_constantIbLb1EES1U_EEDaS1P_S1Q_EUlS1P_E_NS1_11comp_targetILNS1_3genE4ELNS1_11target_archE910ELNS1_3gpuE8ELNS1_3repE0EEENS1_30default_config_static_selectorELNS0_4arch9wavefront6targetE1EEEvS12_
; %bb.0:
	.section	.rodata,"a",@progbits
	.p2align	6, 0x0
	.amdhsa_kernel _ZN7rocprim17ROCPRIM_400000_NS6detail17trampoline_kernelINS0_13select_configILj256ELj13ELNS0_17block_load_methodE3ELS4_3ELS4_3ELNS0_20block_scan_algorithmE0ELj4294967295EEENS1_25partition_config_selectorILNS1_17partition_subalgoE4EjNS0_10empty_typeEbEEZZNS1_14partition_implILS8_4ELb0ES6_15HIP_vector_typeIjLj2EENS0_17counting_iteratorIjlEEPS9_SG_NS0_5tupleIJPjSI_NS0_16reverse_iteratorISI_EEEEENSH_IJSG_SG_SG_EEES9_SI_JZNS1_25segmented_radix_sort_implINS0_14default_configELb1EPKhPhPKlPlN2at6native12_GLOBAL__N_18offset_tEEE10hipError_tPvRmT1_PNSt15iterator_traitsIS12_E10value_typeET2_T3_PNS13_IS18_E10value_typeET4_jRbjT5_S1E_jjP12ihipStream_tbEUljE_ZNSN_ISO_Lb1ESQ_SR_ST_SU_SY_EESZ_S10_S11_S12_S16_S17_S18_S1B_S1C_jS1D_jS1E_S1E_jjS1G_bEUljE0_EEESZ_S10_S11_S18_S1C_S1E_T6_T7_T9_mT8_S1G_bDpT10_ENKUlT_T0_E_clISt17integral_constantIbLb1EES1U_EEDaS1P_S1Q_EUlS1P_E_NS1_11comp_targetILNS1_3genE4ELNS1_11target_archE910ELNS1_3gpuE8ELNS1_3repE0EEENS1_30default_config_static_selectorELNS0_4arch9wavefront6targetE1EEEvS12_
		.amdhsa_group_segment_fixed_size 0
		.amdhsa_private_segment_fixed_size 0
		.amdhsa_kernarg_size 184
		.amdhsa_user_sgpr_count 6
		.amdhsa_user_sgpr_private_segment_buffer 1
		.amdhsa_user_sgpr_dispatch_ptr 0
		.amdhsa_user_sgpr_queue_ptr 0
		.amdhsa_user_sgpr_kernarg_segment_ptr 1
		.amdhsa_user_sgpr_dispatch_id 0
		.amdhsa_user_sgpr_flat_scratch_init 0
		.amdhsa_user_sgpr_private_segment_size 0
		.amdhsa_uses_dynamic_stack 0
		.amdhsa_system_sgpr_private_segment_wavefront_offset 0
		.amdhsa_system_sgpr_workgroup_id_x 1
		.amdhsa_system_sgpr_workgroup_id_y 0
		.amdhsa_system_sgpr_workgroup_id_z 0
		.amdhsa_system_sgpr_workgroup_info 0
		.amdhsa_system_vgpr_workitem_id 0
		.amdhsa_next_free_vgpr 1
		.amdhsa_next_free_sgpr 0
		.amdhsa_reserve_vcc 0
		.amdhsa_reserve_flat_scratch 0
		.amdhsa_float_round_mode_32 0
		.amdhsa_float_round_mode_16_64 0
		.amdhsa_float_denorm_mode_32 3
		.amdhsa_float_denorm_mode_16_64 3
		.amdhsa_dx10_clamp 1
		.amdhsa_ieee_mode 1
		.amdhsa_fp16_overflow 0
		.amdhsa_exception_fp_ieee_invalid_op 0
		.amdhsa_exception_fp_denorm_src 0
		.amdhsa_exception_fp_ieee_div_zero 0
		.amdhsa_exception_fp_ieee_overflow 0
		.amdhsa_exception_fp_ieee_underflow 0
		.amdhsa_exception_fp_ieee_inexact 0
		.amdhsa_exception_int_div_zero 0
	.end_amdhsa_kernel
	.section	.text._ZN7rocprim17ROCPRIM_400000_NS6detail17trampoline_kernelINS0_13select_configILj256ELj13ELNS0_17block_load_methodE3ELS4_3ELS4_3ELNS0_20block_scan_algorithmE0ELj4294967295EEENS1_25partition_config_selectorILNS1_17partition_subalgoE4EjNS0_10empty_typeEbEEZZNS1_14partition_implILS8_4ELb0ES6_15HIP_vector_typeIjLj2EENS0_17counting_iteratorIjlEEPS9_SG_NS0_5tupleIJPjSI_NS0_16reverse_iteratorISI_EEEEENSH_IJSG_SG_SG_EEES9_SI_JZNS1_25segmented_radix_sort_implINS0_14default_configELb1EPKhPhPKlPlN2at6native12_GLOBAL__N_18offset_tEEE10hipError_tPvRmT1_PNSt15iterator_traitsIS12_E10value_typeET2_T3_PNS13_IS18_E10value_typeET4_jRbjT5_S1E_jjP12ihipStream_tbEUljE_ZNSN_ISO_Lb1ESQ_SR_ST_SU_SY_EESZ_S10_S11_S12_S16_S17_S18_S1B_S1C_jS1D_jS1E_S1E_jjS1G_bEUljE0_EEESZ_S10_S11_S18_S1C_S1E_T6_T7_T9_mT8_S1G_bDpT10_ENKUlT_T0_E_clISt17integral_constantIbLb1EES1U_EEDaS1P_S1Q_EUlS1P_E_NS1_11comp_targetILNS1_3genE4ELNS1_11target_archE910ELNS1_3gpuE8ELNS1_3repE0EEENS1_30default_config_static_selectorELNS0_4arch9wavefront6targetE1EEEvS12_,"axG",@progbits,_ZN7rocprim17ROCPRIM_400000_NS6detail17trampoline_kernelINS0_13select_configILj256ELj13ELNS0_17block_load_methodE3ELS4_3ELS4_3ELNS0_20block_scan_algorithmE0ELj4294967295EEENS1_25partition_config_selectorILNS1_17partition_subalgoE4EjNS0_10empty_typeEbEEZZNS1_14partition_implILS8_4ELb0ES6_15HIP_vector_typeIjLj2EENS0_17counting_iteratorIjlEEPS9_SG_NS0_5tupleIJPjSI_NS0_16reverse_iteratorISI_EEEEENSH_IJSG_SG_SG_EEES9_SI_JZNS1_25segmented_radix_sort_implINS0_14default_configELb1EPKhPhPKlPlN2at6native12_GLOBAL__N_18offset_tEEE10hipError_tPvRmT1_PNSt15iterator_traitsIS12_E10value_typeET2_T3_PNS13_IS18_E10value_typeET4_jRbjT5_S1E_jjP12ihipStream_tbEUljE_ZNSN_ISO_Lb1ESQ_SR_ST_SU_SY_EESZ_S10_S11_S12_S16_S17_S18_S1B_S1C_jS1D_jS1E_S1E_jjS1G_bEUljE0_EEESZ_S10_S11_S18_S1C_S1E_T6_T7_T9_mT8_S1G_bDpT10_ENKUlT_T0_E_clISt17integral_constantIbLb1EES1U_EEDaS1P_S1Q_EUlS1P_E_NS1_11comp_targetILNS1_3genE4ELNS1_11target_archE910ELNS1_3gpuE8ELNS1_3repE0EEENS1_30default_config_static_selectorELNS0_4arch9wavefront6targetE1EEEvS12_,comdat
.Lfunc_end23:
	.size	_ZN7rocprim17ROCPRIM_400000_NS6detail17trampoline_kernelINS0_13select_configILj256ELj13ELNS0_17block_load_methodE3ELS4_3ELS4_3ELNS0_20block_scan_algorithmE0ELj4294967295EEENS1_25partition_config_selectorILNS1_17partition_subalgoE4EjNS0_10empty_typeEbEEZZNS1_14partition_implILS8_4ELb0ES6_15HIP_vector_typeIjLj2EENS0_17counting_iteratorIjlEEPS9_SG_NS0_5tupleIJPjSI_NS0_16reverse_iteratorISI_EEEEENSH_IJSG_SG_SG_EEES9_SI_JZNS1_25segmented_radix_sort_implINS0_14default_configELb1EPKhPhPKlPlN2at6native12_GLOBAL__N_18offset_tEEE10hipError_tPvRmT1_PNSt15iterator_traitsIS12_E10value_typeET2_T3_PNS13_IS18_E10value_typeET4_jRbjT5_S1E_jjP12ihipStream_tbEUljE_ZNSN_ISO_Lb1ESQ_SR_ST_SU_SY_EESZ_S10_S11_S12_S16_S17_S18_S1B_S1C_jS1D_jS1E_S1E_jjS1G_bEUljE0_EEESZ_S10_S11_S18_S1C_S1E_T6_T7_T9_mT8_S1G_bDpT10_ENKUlT_T0_E_clISt17integral_constantIbLb1EES1U_EEDaS1P_S1Q_EUlS1P_E_NS1_11comp_targetILNS1_3genE4ELNS1_11target_archE910ELNS1_3gpuE8ELNS1_3repE0EEENS1_30default_config_static_selectorELNS0_4arch9wavefront6targetE1EEEvS12_, .Lfunc_end23-_ZN7rocprim17ROCPRIM_400000_NS6detail17trampoline_kernelINS0_13select_configILj256ELj13ELNS0_17block_load_methodE3ELS4_3ELS4_3ELNS0_20block_scan_algorithmE0ELj4294967295EEENS1_25partition_config_selectorILNS1_17partition_subalgoE4EjNS0_10empty_typeEbEEZZNS1_14partition_implILS8_4ELb0ES6_15HIP_vector_typeIjLj2EENS0_17counting_iteratorIjlEEPS9_SG_NS0_5tupleIJPjSI_NS0_16reverse_iteratorISI_EEEEENSH_IJSG_SG_SG_EEES9_SI_JZNS1_25segmented_radix_sort_implINS0_14default_configELb1EPKhPhPKlPlN2at6native12_GLOBAL__N_18offset_tEEE10hipError_tPvRmT1_PNSt15iterator_traitsIS12_E10value_typeET2_T3_PNS13_IS18_E10value_typeET4_jRbjT5_S1E_jjP12ihipStream_tbEUljE_ZNSN_ISO_Lb1ESQ_SR_ST_SU_SY_EESZ_S10_S11_S12_S16_S17_S18_S1B_S1C_jS1D_jS1E_S1E_jjS1G_bEUljE0_EEESZ_S10_S11_S18_S1C_S1E_T6_T7_T9_mT8_S1G_bDpT10_ENKUlT_T0_E_clISt17integral_constantIbLb1EES1U_EEDaS1P_S1Q_EUlS1P_E_NS1_11comp_targetILNS1_3genE4ELNS1_11target_archE910ELNS1_3gpuE8ELNS1_3repE0EEENS1_30default_config_static_selectorELNS0_4arch9wavefront6targetE1EEEvS12_
                                        ; -- End function
	.set _ZN7rocprim17ROCPRIM_400000_NS6detail17trampoline_kernelINS0_13select_configILj256ELj13ELNS0_17block_load_methodE3ELS4_3ELS4_3ELNS0_20block_scan_algorithmE0ELj4294967295EEENS1_25partition_config_selectorILNS1_17partition_subalgoE4EjNS0_10empty_typeEbEEZZNS1_14partition_implILS8_4ELb0ES6_15HIP_vector_typeIjLj2EENS0_17counting_iteratorIjlEEPS9_SG_NS0_5tupleIJPjSI_NS0_16reverse_iteratorISI_EEEEENSH_IJSG_SG_SG_EEES9_SI_JZNS1_25segmented_radix_sort_implINS0_14default_configELb1EPKhPhPKlPlN2at6native12_GLOBAL__N_18offset_tEEE10hipError_tPvRmT1_PNSt15iterator_traitsIS12_E10value_typeET2_T3_PNS13_IS18_E10value_typeET4_jRbjT5_S1E_jjP12ihipStream_tbEUljE_ZNSN_ISO_Lb1ESQ_SR_ST_SU_SY_EESZ_S10_S11_S12_S16_S17_S18_S1B_S1C_jS1D_jS1E_S1E_jjS1G_bEUljE0_EEESZ_S10_S11_S18_S1C_S1E_T6_T7_T9_mT8_S1G_bDpT10_ENKUlT_T0_E_clISt17integral_constantIbLb1EES1U_EEDaS1P_S1Q_EUlS1P_E_NS1_11comp_targetILNS1_3genE4ELNS1_11target_archE910ELNS1_3gpuE8ELNS1_3repE0EEENS1_30default_config_static_selectorELNS0_4arch9wavefront6targetE1EEEvS12_.num_vgpr, 0
	.set _ZN7rocprim17ROCPRIM_400000_NS6detail17trampoline_kernelINS0_13select_configILj256ELj13ELNS0_17block_load_methodE3ELS4_3ELS4_3ELNS0_20block_scan_algorithmE0ELj4294967295EEENS1_25partition_config_selectorILNS1_17partition_subalgoE4EjNS0_10empty_typeEbEEZZNS1_14partition_implILS8_4ELb0ES6_15HIP_vector_typeIjLj2EENS0_17counting_iteratorIjlEEPS9_SG_NS0_5tupleIJPjSI_NS0_16reverse_iteratorISI_EEEEENSH_IJSG_SG_SG_EEES9_SI_JZNS1_25segmented_radix_sort_implINS0_14default_configELb1EPKhPhPKlPlN2at6native12_GLOBAL__N_18offset_tEEE10hipError_tPvRmT1_PNSt15iterator_traitsIS12_E10value_typeET2_T3_PNS13_IS18_E10value_typeET4_jRbjT5_S1E_jjP12ihipStream_tbEUljE_ZNSN_ISO_Lb1ESQ_SR_ST_SU_SY_EESZ_S10_S11_S12_S16_S17_S18_S1B_S1C_jS1D_jS1E_S1E_jjS1G_bEUljE0_EEESZ_S10_S11_S18_S1C_S1E_T6_T7_T9_mT8_S1G_bDpT10_ENKUlT_T0_E_clISt17integral_constantIbLb1EES1U_EEDaS1P_S1Q_EUlS1P_E_NS1_11comp_targetILNS1_3genE4ELNS1_11target_archE910ELNS1_3gpuE8ELNS1_3repE0EEENS1_30default_config_static_selectorELNS0_4arch9wavefront6targetE1EEEvS12_.num_agpr, 0
	.set _ZN7rocprim17ROCPRIM_400000_NS6detail17trampoline_kernelINS0_13select_configILj256ELj13ELNS0_17block_load_methodE3ELS4_3ELS4_3ELNS0_20block_scan_algorithmE0ELj4294967295EEENS1_25partition_config_selectorILNS1_17partition_subalgoE4EjNS0_10empty_typeEbEEZZNS1_14partition_implILS8_4ELb0ES6_15HIP_vector_typeIjLj2EENS0_17counting_iteratorIjlEEPS9_SG_NS0_5tupleIJPjSI_NS0_16reverse_iteratorISI_EEEEENSH_IJSG_SG_SG_EEES9_SI_JZNS1_25segmented_radix_sort_implINS0_14default_configELb1EPKhPhPKlPlN2at6native12_GLOBAL__N_18offset_tEEE10hipError_tPvRmT1_PNSt15iterator_traitsIS12_E10value_typeET2_T3_PNS13_IS18_E10value_typeET4_jRbjT5_S1E_jjP12ihipStream_tbEUljE_ZNSN_ISO_Lb1ESQ_SR_ST_SU_SY_EESZ_S10_S11_S12_S16_S17_S18_S1B_S1C_jS1D_jS1E_S1E_jjS1G_bEUljE0_EEESZ_S10_S11_S18_S1C_S1E_T6_T7_T9_mT8_S1G_bDpT10_ENKUlT_T0_E_clISt17integral_constantIbLb1EES1U_EEDaS1P_S1Q_EUlS1P_E_NS1_11comp_targetILNS1_3genE4ELNS1_11target_archE910ELNS1_3gpuE8ELNS1_3repE0EEENS1_30default_config_static_selectorELNS0_4arch9wavefront6targetE1EEEvS12_.numbered_sgpr, 0
	.set _ZN7rocprim17ROCPRIM_400000_NS6detail17trampoline_kernelINS0_13select_configILj256ELj13ELNS0_17block_load_methodE3ELS4_3ELS4_3ELNS0_20block_scan_algorithmE0ELj4294967295EEENS1_25partition_config_selectorILNS1_17partition_subalgoE4EjNS0_10empty_typeEbEEZZNS1_14partition_implILS8_4ELb0ES6_15HIP_vector_typeIjLj2EENS0_17counting_iteratorIjlEEPS9_SG_NS0_5tupleIJPjSI_NS0_16reverse_iteratorISI_EEEEENSH_IJSG_SG_SG_EEES9_SI_JZNS1_25segmented_radix_sort_implINS0_14default_configELb1EPKhPhPKlPlN2at6native12_GLOBAL__N_18offset_tEEE10hipError_tPvRmT1_PNSt15iterator_traitsIS12_E10value_typeET2_T3_PNS13_IS18_E10value_typeET4_jRbjT5_S1E_jjP12ihipStream_tbEUljE_ZNSN_ISO_Lb1ESQ_SR_ST_SU_SY_EESZ_S10_S11_S12_S16_S17_S18_S1B_S1C_jS1D_jS1E_S1E_jjS1G_bEUljE0_EEESZ_S10_S11_S18_S1C_S1E_T6_T7_T9_mT8_S1G_bDpT10_ENKUlT_T0_E_clISt17integral_constantIbLb1EES1U_EEDaS1P_S1Q_EUlS1P_E_NS1_11comp_targetILNS1_3genE4ELNS1_11target_archE910ELNS1_3gpuE8ELNS1_3repE0EEENS1_30default_config_static_selectorELNS0_4arch9wavefront6targetE1EEEvS12_.num_named_barrier, 0
	.set _ZN7rocprim17ROCPRIM_400000_NS6detail17trampoline_kernelINS0_13select_configILj256ELj13ELNS0_17block_load_methodE3ELS4_3ELS4_3ELNS0_20block_scan_algorithmE0ELj4294967295EEENS1_25partition_config_selectorILNS1_17partition_subalgoE4EjNS0_10empty_typeEbEEZZNS1_14partition_implILS8_4ELb0ES6_15HIP_vector_typeIjLj2EENS0_17counting_iteratorIjlEEPS9_SG_NS0_5tupleIJPjSI_NS0_16reverse_iteratorISI_EEEEENSH_IJSG_SG_SG_EEES9_SI_JZNS1_25segmented_radix_sort_implINS0_14default_configELb1EPKhPhPKlPlN2at6native12_GLOBAL__N_18offset_tEEE10hipError_tPvRmT1_PNSt15iterator_traitsIS12_E10value_typeET2_T3_PNS13_IS18_E10value_typeET4_jRbjT5_S1E_jjP12ihipStream_tbEUljE_ZNSN_ISO_Lb1ESQ_SR_ST_SU_SY_EESZ_S10_S11_S12_S16_S17_S18_S1B_S1C_jS1D_jS1E_S1E_jjS1G_bEUljE0_EEESZ_S10_S11_S18_S1C_S1E_T6_T7_T9_mT8_S1G_bDpT10_ENKUlT_T0_E_clISt17integral_constantIbLb1EES1U_EEDaS1P_S1Q_EUlS1P_E_NS1_11comp_targetILNS1_3genE4ELNS1_11target_archE910ELNS1_3gpuE8ELNS1_3repE0EEENS1_30default_config_static_selectorELNS0_4arch9wavefront6targetE1EEEvS12_.private_seg_size, 0
	.set _ZN7rocprim17ROCPRIM_400000_NS6detail17trampoline_kernelINS0_13select_configILj256ELj13ELNS0_17block_load_methodE3ELS4_3ELS4_3ELNS0_20block_scan_algorithmE0ELj4294967295EEENS1_25partition_config_selectorILNS1_17partition_subalgoE4EjNS0_10empty_typeEbEEZZNS1_14partition_implILS8_4ELb0ES6_15HIP_vector_typeIjLj2EENS0_17counting_iteratorIjlEEPS9_SG_NS0_5tupleIJPjSI_NS0_16reverse_iteratorISI_EEEEENSH_IJSG_SG_SG_EEES9_SI_JZNS1_25segmented_radix_sort_implINS0_14default_configELb1EPKhPhPKlPlN2at6native12_GLOBAL__N_18offset_tEEE10hipError_tPvRmT1_PNSt15iterator_traitsIS12_E10value_typeET2_T3_PNS13_IS18_E10value_typeET4_jRbjT5_S1E_jjP12ihipStream_tbEUljE_ZNSN_ISO_Lb1ESQ_SR_ST_SU_SY_EESZ_S10_S11_S12_S16_S17_S18_S1B_S1C_jS1D_jS1E_S1E_jjS1G_bEUljE0_EEESZ_S10_S11_S18_S1C_S1E_T6_T7_T9_mT8_S1G_bDpT10_ENKUlT_T0_E_clISt17integral_constantIbLb1EES1U_EEDaS1P_S1Q_EUlS1P_E_NS1_11comp_targetILNS1_3genE4ELNS1_11target_archE910ELNS1_3gpuE8ELNS1_3repE0EEENS1_30default_config_static_selectorELNS0_4arch9wavefront6targetE1EEEvS12_.uses_vcc, 0
	.set _ZN7rocprim17ROCPRIM_400000_NS6detail17trampoline_kernelINS0_13select_configILj256ELj13ELNS0_17block_load_methodE3ELS4_3ELS4_3ELNS0_20block_scan_algorithmE0ELj4294967295EEENS1_25partition_config_selectorILNS1_17partition_subalgoE4EjNS0_10empty_typeEbEEZZNS1_14partition_implILS8_4ELb0ES6_15HIP_vector_typeIjLj2EENS0_17counting_iteratorIjlEEPS9_SG_NS0_5tupleIJPjSI_NS0_16reverse_iteratorISI_EEEEENSH_IJSG_SG_SG_EEES9_SI_JZNS1_25segmented_radix_sort_implINS0_14default_configELb1EPKhPhPKlPlN2at6native12_GLOBAL__N_18offset_tEEE10hipError_tPvRmT1_PNSt15iterator_traitsIS12_E10value_typeET2_T3_PNS13_IS18_E10value_typeET4_jRbjT5_S1E_jjP12ihipStream_tbEUljE_ZNSN_ISO_Lb1ESQ_SR_ST_SU_SY_EESZ_S10_S11_S12_S16_S17_S18_S1B_S1C_jS1D_jS1E_S1E_jjS1G_bEUljE0_EEESZ_S10_S11_S18_S1C_S1E_T6_T7_T9_mT8_S1G_bDpT10_ENKUlT_T0_E_clISt17integral_constantIbLb1EES1U_EEDaS1P_S1Q_EUlS1P_E_NS1_11comp_targetILNS1_3genE4ELNS1_11target_archE910ELNS1_3gpuE8ELNS1_3repE0EEENS1_30default_config_static_selectorELNS0_4arch9wavefront6targetE1EEEvS12_.uses_flat_scratch, 0
	.set _ZN7rocprim17ROCPRIM_400000_NS6detail17trampoline_kernelINS0_13select_configILj256ELj13ELNS0_17block_load_methodE3ELS4_3ELS4_3ELNS0_20block_scan_algorithmE0ELj4294967295EEENS1_25partition_config_selectorILNS1_17partition_subalgoE4EjNS0_10empty_typeEbEEZZNS1_14partition_implILS8_4ELb0ES6_15HIP_vector_typeIjLj2EENS0_17counting_iteratorIjlEEPS9_SG_NS0_5tupleIJPjSI_NS0_16reverse_iteratorISI_EEEEENSH_IJSG_SG_SG_EEES9_SI_JZNS1_25segmented_radix_sort_implINS0_14default_configELb1EPKhPhPKlPlN2at6native12_GLOBAL__N_18offset_tEEE10hipError_tPvRmT1_PNSt15iterator_traitsIS12_E10value_typeET2_T3_PNS13_IS18_E10value_typeET4_jRbjT5_S1E_jjP12ihipStream_tbEUljE_ZNSN_ISO_Lb1ESQ_SR_ST_SU_SY_EESZ_S10_S11_S12_S16_S17_S18_S1B_S1C_jS1D_jS1E_S1E_jjS1G_bEUljE0_EEESZ_S10_S11_S18_S1C_S1E_T6_T7_T9_mT8_S1G_bDpT10_ENKUlT_T0_E_clISt17integral_constantIbLb1EES1U_EEDaS1P_S1Q_EUlS1P_E_NS1_11comp_targetILNS1_3genE4ELNS1_11target_archE910ELNS1_3gpuE8ELNS1_3repE0EEENS1_30default_config_static_selectorELNS0_4arch9wavefront6targetE1EEEvS12_.has_dyn_sized_stack, 0
	.set _ZN7rocprim17ROCPRIM_400000_NS6detail17trampoline_kernelINS0_13select_configILj256ELj13ELNS0_17block_load_methodE3ELS4_3ELS4_3ELNS0_20block_scan_algorithmE0ELj4294967295EEENS1_25partition_config_selectorILNS1_17partition_subalgoE4EjNS0_10empty_typeEbEEZZNS1_14partition_implILS8_4ELb0ES6_15HIP_vector_typeIjLj2EENS0_17counting_iteratorIjlEEPS9_SG_NS0_5tupleIJPjSI_NS0_16reverse_iteratorISI_EEEEENSH_IJSG_SG_SG_EEES9_SI_JZNS1_25segmented_radix_sort_implINS0_14default_configELb1EPKhPhPKlPlN2at6native12_GLOBAL__N_18offset_tEEE10hipError_tPvRmT1_PNSt15iterator_traitsIS12_E10value_typeET2_T3_PNS13_IS18_E10value_typeET4_jRbjT5_S1E_jjP12ihipStream_tbEUljE_ZNSN_ISO_Lb1ESQ_SR_ST_SU_SY_EESZ_S10_S11_S12_S16_S17_S18_S1B_S1C_jS1D_jS1E_S1E_jjS1G_bEUljE0_EEESZ_S10_S11_S18_S1C_S1E_T6_T7_T9_mT8_S1G_bDpT10_ENKUlT_T0_E_clISt17integral_constantIbLb1EES1U_EEDaS1P_S1Q_EUlS1P_E_NS1_11comp_targetILNS1_3genE4ELNS1_11target_archE910ELNS1_3gpuE8ELNS1_3repE0EEENS1_30default_config_static_selectorELNS0_4arch9wavefront6targetE1EEEvS12_.has_recursion, 0
	.set _ZN7rocprim17ROCPRIM_400000_NS6detail17trampoline_kernelINS0_13select_configILj256ELj13ELNS0_17block_load_methodE3ELS4_3ELS4_3ELNS0_20block_scan_algorithmE0ELj4294967295EEENS1_25partition_config_selectorILNS1_17partition_subalgoE4EjNS0_10empty_typeEbEEZZNS1_14partition_implILS8_4ELb0ES6_15HIP_vector_typeIjLj2EENS0_17counting_iteratorIjlEEPS9_SG_NS0_5tupleIJPjSI_NS0_16reverse_iteratorISI_EEEEENSH_IJSG_SG_SG_EEES9_SI_JZNS1_25segmented_radix_sort_implINS0_14default_configELb1EPKhPhPKlPlN2at6native12_GLOBAL__N_18offset_tEEE10hipError_tPvRmT1_PNSt15iterator_traitsIS12_E10value_typeET2_T3_PNS13_IS18_E10value_typeET4_jRbjT5_S1E_jjP12ihipStream_tbEUljE_ZNSN_ISO_Lb1ESQ_SR_ST_SU_SY_EESZ_S10_S11_S12_S16_S17_S18_S1B_S1C_jS1D_jS1E_S1E_jjS1G_bEUljE0_EEESZ_S10_S11_S18_S1C_S1E_T6_T7_T9_mT8_S1G_bDpT10_ENKUlT_T0_E_clISt17integral_constantIbLb1EES1U_EEDaS1P_S1Q_EUlS1P_E_NS1_11comp_targetILNS1_3genE4ELNS1_11target_archE910ELNS1_3gpuE8ELNS1_3repE0EEENS1_30default_config_static_selectorELNS0_4arch9wavefront6targetE1EEEvS12_.has_indirect_call, 0
	.section	.AMDGPU.csdata,"",@progbits
; Kernel info:
; codeLenInByte = 0
; TotalNumSgprs: 4
; NumVgprs: 0
; ScratchSize: 0
; MemoryBound: 0
; FloatMode: 240
; IeeeMode: 1
; LDSByteSize: 0 bytes/workgroup (compile time only)
; SGPRBlocks: 0
; VGPRBlocks: 0
; NumSGPRsForWavesPerEU: 4
; NumVGPRsForWavesPerEU: 1
; Occupancy: 10
; WaveLimiterHint : 0
; COMPUTE_PGM_RSRC2:SCRATCH_EN: 0
; COMPUTE_PGM_RSRC2:USER_SGPR: 6
; COMPUTE_PGM_RSRC2:TRAP_HANDLER: 0
; COMPUTE_PGM_RSRC2:TGID_X_EN: 1
; COMPUTE_PGM_RSRC2:TGID_Y_EN: 0
; COMPUTE_PGM_RSRC2:TGID_Z_EN: 0
; COMPUTE_PGM_RSRC2:TIDIG_COMP_CNT: 0
	.section	.text._ZN7rocprim17ROCPRIM_400000_NS6detail17trampoline_kernelINS0_13select_configILj256ELj13ELNS0_17block_load_methodE3ELS4_3ELS4_3ELNS0_20block_scan_algorithmE0ELj4294967295EEENS1_25partition_config_selectorILNS1_17partition_subalgoE4EjNS0_10empty_typeEbEEZZNS1_14partition_implILS8_4ELb0ES6_15HIP_vector_typeIjLj2EENS0_17counting_iteratorIjlEEPS9_SG_NS0_5tupleIJPjSI_NS0_16reverse_iteratorISI_EEEEENSH_IJSG_SG_SG_EEES9_SI_JZNS1_25segmented_radix_sort_implINS0_14default_configELb1EPKhPhPKlPlN2at6native12_GLOBAL__N_18offset_tEEE10hipError_tPvRmT1_PNSt15iterator_traitsIS12_E10value_typeET2_T3_PNS13_IS18_E10value_typeET4_jRbjT5_S1E_jjP12ihipStream_tbEUljE_ZNSN_ISO_Lb1ESQ_SR_ST_SU_SY_EESZ_S10_S11_S12_S16_S17_S18_S1B_S1C_jS1D_jS1E_S1E_jjS1G_bEUljE0_EEESZ_S10_S11_S18_S1C_S1E_T6_T7_T9_mT8_S1G_bDpT10_ENKUlT_T0_E_clISt17integral_constantIbLb1EES1U_EEDaS1P_S1Q_EUlS1P_E_NS1_11comp_targetILNS1_3genE3ELNS1_11target_archE908ELNS1_3gpuE7ELNS1_3repE0EEENS1_30default_config_static_selectorELNS0_4arch9wavefront6targetE1EEEvS12_,"axG",@progbits,_ZN7rocprim17ROCPRIM_400000_NS6detail17trampoline_kernelINS0_13select_configILj256ELj13ELNS0_17block_load_methodE3ELS4_3ELS4_3ELNS0_20block_scan_algorithmE0ELj4294967295EEENS1_25partition_config_selectorILNS1_17partition_subalgoE4EjNS0_10empty_typeEbEEZZNS1_14partition_implILS8_4ELb0ES6_15HIP_vector_typeIjLj2EENS0_17counting_iteratorIjlEEPS9_SG_NS0_5tupleIJPjSI_NS0_16reverse_iteratorISI_EEEEENSH_IJSG_SG_SG_EEES9_SI_JZNS1_25segmented_radix_sort_implINS0_14default_configELb1EPKhPhPKlPlN2at6native12_GLOBAL__N_18offset_tEEE10hipError_tPvRmT1_PNSt15iterator_traitsIS12_E10value_typeET2_T3_PNS13_IS18_E10value_typeET4_jRbjT5_S1E_jjP12ihipStream_tbEUljE_ZNSN_ISO_Lb1ESQ_SR_ST_SU_SY_EESZ_S10_S11_S12_S16_S17_S18_S1B_S1C_jS1D_jS1E_S1E_jjS1G_bEUljE0_EEESZ_S10_S11_S18_S1C_S1E_T6_T7_T9_mT8_S1G_bDpT10_ENKUlT_T0_E_clISt17integral_constantIbLb1EES1U_EEDaS1P_S1Q_EUlS1P_E_NS1_11comp_targetILNS1_3genE3ELNS1_11target_archE908ELNS1_3gpuE7ELNS1_3repE0EEENS1_30default_config_static_selectorELNS0_4arch9wavefront6targetE1EEEvS12_,comdat
	.globl	_ZN7rocprim17ROCPRIM_400000_NS6detail17trampoline_kernelINS0_13select_configILj256ELj13ELNS0_17block_load_methodE3ELS4_3ELS4_3ELNS0_20block_scan_algorithmE0ELj4294967295EEENS1_25partition_config_selectorILNS1_17partition_subalgoE4EjNS0_10empty_typeEbEEZZNS1_14partition_implILS8_4ELb0ES6_15HIP_vector_typeIjLj2EENS0_17counting_iteratorIjlEEPS9_SG_NS0_5tupleIJPjSI_NS0_16reverse_iteratorISI_EEEEENSH_IJSG_SG_SG_EEES9_SI_JZNS1_25segmented_radix_sort_implINS0_14default_configELb1EPKhPhPKlPlN2at6native12_GLOBAL__N_18offset_tEEE10hipError_tPvRmT1_PNSt15iterator_traitsIS12_E10value_typeET2_T3_PNS13_IS18_E10value_typeET4_jRbjT5_S1E_jjP12ihipStream_tbEUljE_ZNSN_ISO_Lb1ESQ_SR_ST_SU_SY_EESZ_S10_S11_S12_S16_S17_S18_S1B_S1C_jS1D_jS1E_S1E_jjS1G_bEUljE0_EEESZ_S10_S11_S18_S1C_S1E_T6_T7_T9_mT8_S1G_bDpT10_ENKUlT_T0_E_clISt17integral_constantIbLb1EES1U_EEDaS1P_S1Q_EUlS1P_E_NS1_11comp_targetILNS1_3genE3ELNS1_11target_archE908ELNS1_3gpuE7ELNS1_3repE0EEENS1_30default_config_static_selectorELNS0_4arch9wavefront6targetE1EEEvS12_ ; -- Begin function _ZN7rocprim17ROCPRIM_400000_NS6detail17trampoline_kernelINS0_13select_configILj256ELj13ELNS0_17block_load_methodE3ELS4_3ELS4_3ELNS0_20block_scan_algorithmE0ELj4294967295EEENS1_25partition_config_selectorILNS1_17partition_subalgoE4EjNS0_10empty_typeEbEEZZNS1_14partition_implILS8_4ELb0ES6_15HIP_vector_typeIjLj2EENS0_17counting_iteratorIjlEEPS9_SG_NS0_5tupleIJPjSI_NS0_16reverse_iteratorISI_EEEEENSH_IJSG_SG_SG_EEES9_SI_JZNS1_25segmented_radix_sort_implINS0_14default_configELb1EPKhPhPKlPlN2at6native12_GLOBAL__N_18offset_tEEE10hipError_tPvRmT1_PNSt15iterator_traitsIS12_E10value_typeET2_T3_PNS13_IS18_E10value_typeET4_jRbjT5_S1E_jjP12ihipStream_tbEUljE_ZNSN_ISO_Lb1ESQ_SR_ST_SU_SY_EESZ_S10_S11_S12_S16_S17_S18_S1B_S1C_jS1D_jS1E_S1E_jjS1G_bEUljE0_EEESZ_S10_S11_S18_S1C_S1E_T6_T7_T9_mT8_S1G_bDpT10_ENKUlT_T0_E_clISt17integral_constantIbLb1EES1U_EEDaS1P_S1Q_EUlS1P_E_NS1_11comp_targetILNS1_3genE3ELNS1_11target_archE908ELNS1_3gpuE7ELNS1_3repE0EEENS1_30default_config_static_selectorELNS0_4arch9wavefront6targetE1EEEvS12_
	.p2align	8
	.type	_ZN7rocprim17ROCPRIM_400000_NS6detail17trampoline_kernelINS0_13select_configILj256ELj13ELNS0_17block_load_methodE3ELS4_3ELS4_3ELNS0_20block_scan_algorithmE0ELj4294967295EEENS1_25partition_config_selectorILNS1_17partition_subalgoE4EjNS0_10empty_typeEbEEZZNS1_14partition_implILS8_4ELb0ES6_15HIP_vector_typeIjLj2EENS0_17counting_iteratorIjlEEPS9_SG_NS0_5tupleIJPjSI_NS0_16reverse_iteratorISI_EEEEENSH_IJSG_SG_SG_EEES9_SI_JZNS1_25segmented_radix_sort_implINS0_14default_configELb1EPKhPhPKlPlN2at6native12_GLOBAL__N_18offset_tEEE10hipError_tPvRmT1_PNSt15iterator_traitsIS12_E10value_typeET2_T3_PNS13_IS18_E10value_typeET4_jRbjT5_S1E_jjP12ihipStream_tbEUljE_ZNSN_ISO_Lb1ESQ_SR_ST_SU_SY_EESZ_S10_S11_S12_S16_S17_S18_S1B_S1C_jS1D_jS1E_S1E_jjS1G_bEUljE0_EEESZ_S10_S11_S18_S1C_S1E_T6_T7_T9_mT8_S1G_bDpT10_ENKUlT_T0_E_clISt17integral_constantIbLb1EES1U_EEDaS1P_S1Q_EUlS1P_E_NS1_11comp_targetILNS1_3genE3ELNS1_11target_archE908ELNS1_3gpuE7ELNS1_3repE0EEENS1_30default_config_static_selectorELNS0_4arch9wavefront6targetE1EEEvS12_,@function
_ZN7rocprim17ROCPRIM_400000_NS6detail17trampoline_kernelINS0_13select_configILj256ELj13ELNS0_17block_load_methodE3ELS4_3ELS4_3ELNS0_20block_scan_algorithmE0ELj4294967295EEENS1_25partition_config_selectorILNS1_17partition_subalgoE4EjNS0_10empty_typeEbEEZZNS1_14partition_implILS8_4ELb0ES6_15HIP_vector_typeIjLj2EENS0_17counting_iteratorIjlEEPS9_SG_NS0_5tupleIJPjSI_NS0_16reverse_iteratorISI_EEEEENSH_IJSG_SG_SG_EEES9_SI_JZNS1_25segmented_radix_sort_implINS0_14default_configELb1EPKhPhPKlPlN2at6native12_GLOBAL__N_18offset_tEEE10hipError_tPvRmT1_PNSt15iterator_traitsIS12_E10value_typeET2_T3_PNS13_IS18_E10value_typeET4_jRbjT5_S1E_jjP12ihipStream_tbEUljE_ZNSN_ISO_Lb1ESQ_SR_ST_SU_SY_EESZ_S10_S11_S12_S16_S17_S18_S1B_S1C_jS1D_jS1E_S1E_jjS1G_bEUljE0_EEESZ_S10_S11_S18_S1C_S1E_T6_T7_T9_mT8_S1G_bDpT10_ENKUlT_T0_E_clISt17integral_constantIbLb1EES1U_EEDaS1P_S1Q_EUlS1P_E_NS1_11comp_targetILNS1_3genE3ELNS1_11target_archE908ELNS1_3gpuE7ELNS1_3repE0EEENS1_30default_config_static_selectorELNS0_4arch9wavefront6targetE1EEEvS12_: ; @_ZN7rocprim17ROCPRIM_400000_NS6detail17trampoline_kernelINS0_13select_configILj256ELj13ELNS0_17block_load_methodE3ELS4_3ELS4_3ELNS0_20block_scan_algorithmE0ELj4294967295EEENS1_25partition_config_selectorILNS1_17partition_subalgoE4EjNS0_10empty_typeEbEEZZNS1_14partition_implILS8_4ELb0ES6_15HIP_vector_typeIjLj2EENS0_17counting_iteratorIjlEEPS9_SG_NS0_5tupleIJPjSI_NS0_16reverse_iteratorISI_EEEEENSH_IJSG_SG_SG_EEES9_SI_JZNS1_25segmented_radix_sort_implINS0_14default_configELb1EPKhPhPKlPlN2at6native12_GLOBAL__N_18offset_tEEE10hipError_tPvRmT1_PNSt15iterator_traitsIS12_E10value_typeET2_T3_PNS13_IS18_E10value_typeET4_jRbjT5_S1E_jjP12ihipStream_tbEUljE_ZNSN_ISO_Lb1ESQ_SR_ST_SU_SY_EESZ_S10_S11_S12_S16_S17_S18_S1B_S1C_jS1D_jS1E_S1E_jjS1G_bEUljE0_EEESZ_S10_S11_S18_S1C_S1E_T6_T7_T9_mT8_S1G_bDpT10_ENKUlT_T0_E_clISt17integral_constantIbLb1EES1U_EEDaS1P_S1Q_EUlS1P_E_NS1_11comp_targetILNS1_3genE3ELNS1_11target_archE908ELNS1_3gpuE7ELNS1_3repE0EEENS1_30default_config_static_selectorELNS0_4arch9wavefront6targetE1EEEvS12_
; %bb.0:
	.section	.rodata,"a",@progbits
	.p2align	6, 0x0
	.amdhsa_kernel _ZN7rocprim17ROCPRIM_400000_NS6detail17trampoline_kernelINS0_13select_configILj256ELj13ELNS0_17block_load_methodE3ELS4_3ELS4_3ELNS0_20block_scan_algorithmE0ELj4294967295EEENS1_25partition_config_selectorILNS1_17partition_subalgoE4EjNS0_10empty_typeEbEEZZNS1_14partition_implILS8_4ELb0ES6_15HIP_vector_typeIjLj2EENS0_17counting_iteratorIjlEEPS9_SG_NS0_5tupleIJPjSI_NS0_16reverse_iteratorISI_EEEEENSH_IJSG_SG_SG_EEES9_SI_JZNS1_25segmented_radix_sort_implINS0_14default_configELb1EPKhPhPKlPlN2at6native12_GLOBAL__N_18offset_tEEE10hipError_tPvRmT1_PNSt15iterator_traitsIS12_E10value_typeET2_T3_PNS13_IS18_E10value_typeET4_jRbjT5_S1E_jjP12ihipStream_tbEUljE_ZNSN_ISO_Lb1ESQ_SR_ST_SU_SY_EESZ_S10_S11_S12_S16_S17_S18_S1B_S1C_jS1D_jS1E_S1E_jjS1G_bEUljE0_EEESZ_S10_S11_S18_S1C_S1E_T6_T7_T9_mT8_S1G_bDpT10_ENKUlT_T0_E_clISt17integral_constantIbLb1EES1U_EEDaS1P_S1Q_EUlS1P_E_NS1_11comp_targetILNS1_3genE3ELNS1_11target_archE908ELNS1_3gpuE7ELNS1_3repE0EEENS1_30default_config_static_selectorELNS0_4arch9wavefront6targetE1EEEvS12_
		.amdhsa_group_segment_fixed_size 0
		.amdhsa_private_segment_fixed_size 0
		.amdhsa_kernarg_size 184
		.amdhsa_user_sgpr_count 6
		.amdhsa_user_sgpr_private_segment_buffer 1
		.amdhsa_user_sgpr_dispatch_ptr 0
		.amdhsa_user_sgpr_queue_ptr 0
		.amdhsa_user_sgpr_kernarg_segment_ptr 1
		.amdhsa_user_sgpr_dispatch_id 0
		.amdhsa_user_sgpr_flat_scratch_init 0
		.amdhsa_user_sgpr_private_segment_size 0
		.amdhsa_uses_dynamic_stack 0
		.amdhsa_system_sgpr_private_segment_wavefront_offset 0
		.amdhsa_system_sgpr_workgroup_id_x 1
		.amdhsa_system_sgpr_workgroup_id_y 0
		.amdhsa_system_sgpr_workgroup_id_z 0
		.amdhsa_system_sgpr_workgroup_info 0
		.amdhsa_system_vgpr_workitem_id 0
		.amdhsa_next_free_vgpr 1
		.amdhsa_next_free_sgpr 0
		.amdhsa_reserve_vcc 0
		.amdhsa_reserve_flat_scratch 0
		.amdhsa_float_round_mode_32 0
		.amdhsa_float_round_mode_16_64 0
		.amdhsa_float_denorm_mode_32 3
		.amdhsa_float_denorm_mode_16_64 3
		.amdhsa_dx10_clamp 1
		.amdhsa_ieee_mode 1
		.amdhsa_fp16_overflow 0
		.amdhsa_exception_fp_ieee_invalid_op 0
		.amdhsa_exception_fp_denorm_src 0
		.amdhsa_exception_fp_ieee_div_zero 0
		.amdhsa_exception_fp_ieee_overflow 0
		.amdhsa_exception_fp_ieee_underflow 0
		.amdhsa_exception_fp_ieee_inexact 0
		.amdhsa_exception_int_div_zero 0
	.end_amdhsa_kernel
	.section	.text._ZN7rocprim17ROCPRIM_400000_NS6detail17trampoline_kernelINS0_13select_configILj256ELj13ELNS0_17block_load_methodE3ELS4_3ELS4_3ELNS0_20block_scan_algorithmE0ELj4294967295EEENS1_25partition_config_selectorILNS1_17partition_subalgoE4EjNS0_10empty_typeEbEEZZNS1_14partition_implILS8_4ELb0ES6_15HIP_vector_typeIjLj2EENS0_17counting_iteratorIjlEEPS9_SG_NS0_5tupleIJPjSI_NS0_16reverse_iteratorISI_EEEEENSH_IJSG_SG_SG_EEES9_SI_JZNS1_25segmented_radix_sort_implINS0_14default_configELb1EPKhPhPKlPlN2at6native12_GLOBAL__N_18offset_tEEE10hipError_tPvRmT1_PNSt15iterator_traitsIS12_E10value_typeET2_T3_PNS13_IS18_E10value_typeET4_jRbjT5_S1E_jjP12ihipStream_tbEUljE_ZNSN_ISO_Lb1ESQ_SR_ST_SU_SY_EESZ_S10_S11_S12_S16_S17_S18_S1B_S1C_jS1D_jS1E_S1E_jjS1G_bEUljE0_EEESZ_S10_S11_S18_S1C_S1E_T6_T7_T9_mT8_S1G_bDpT10_ENKUlT_T0_E_clISt17integral_constantIbLb1EES1U_EEDaS1P_S1Q_EUlS1P_E_NS1_11comp_targetILNS1_3genE3ELNS1_11target_archE908ELNS1_3gpuE7ELNS1_3repE0EEENS1_30default_config_static_selectorELNS0_4arch9wavefront6targetE1EEEvS12_,"axG",@progbits,_ZN7rocprim17ROCPRIM_400000_NS6detail17trampoline_kernelINS0_13select_configILj256ELj13ELNS0_17block_load_methodE3ELS4_3ELS4_3ELNS0_20block_scan_algorithmE0ELj4294967295EEENS1_25partition_config_selectorILNS1_17partition_subalgoE4EjNS0_10empty_typeEbEEZZNS1_14partition_implILS8_4ELb0ES6_15HIP_vector_typeIjLj2EENS0_17counting_iteratorIjlEEPS9_SG_NS0_5tupleIJPjSI_NS0_16reverse_iteratorISI_EEEEENSH_IJSG_SG_SG_EEES9_SI_JZNS1_25segmented_radix_sort_implINS0_14default_configELb1EPKhPhPKlPlN2at6native12_GLOBAL__N_18offset_tEEE10hipError_tPvRmT1_PNSt15iterator_traitsIS12_E10value_typeET2_T3_PNS13_IS18_E10value_typeET4_jRbjT5_S1E_jjP12ihipStream_tbEUljE_ZNSN_ISO_Lb1ESQ_SR_ST_SU_SY_EESZ_S10_S11_S12_S16_S17_S18_S1B_S1C_jS1D_jS1E_S1E_jjS1G_bEUljE0_EEESZ_S10_S11_S18_S1C_S1E_T6_T7_T9_mT8_S1G_bDpT10_ENKUlT_T0_E_clISt17integral_constantIbLb1EES1U_EEDaS1P_S1Q_EUlS1P_E_NS1_11comp_targetILNS1_3genE3ELNS1_11target_archE908ELNS1_3gpuE7ELNS1_3repE0EEENS1_30default_config_static_selectorELNS0_4arch9wavefront6targetE1EEEvS12_,comdat
.Lfunc_end24:
	.size	_ZN7rocprim17ROCPRIM_400000_NS6detail17trampoline_kernelINS0_13select_configILj256ELj13ELNS0_17block_load_methodE3ELS4_3ELS4_3ELNS0_20block_scan_algorithmE0ELj4294967295EEENS1_25partition_config_selectorILNS1_17partition_subalgoE4EjNS0_10empty_typeEbEEZZNS1_14partition_implILS8_4ELb0ES6_15HIP_vector_typeIjLj2EENS0_17counting_iteratorIjlEEPS9_SG_NS0_5tupleIJPjSI_NS0_16reverse_iteratorISI_EEEEENSH_IJSG_SG_SG_EEES9_SI_JZNS1_25segmented_radix_sort_implINS0_14default_configELb1EPKhPhPKlPlN2at6native12_GLOBAL__N_18offset_tEEE10hipError_tPvRmT1_PNSt15iterator_traitsIS12_E10value_typeET2_T3_PNS13_IS18_E10value_typeET4_jRbjT5_S1E_jjP12ihipStream_tbEUljE_ZNSN_ISO_Lb1ESQ_SR_ST_SU_SY_EESZ_S10_S11_S12_S16_S17_S18_S1B_S1C_jS1D_jS1E_S1E_jjS1G_bEUljE0_EEESZ_S10_S11_S18_S1C_S1E_T6_T7_T9_mT8_S1G_bDpT10_ENKUlT_T0_E_clISt17integral_constantIbLb1EES1U_EEDaS1P_S1Q_EUlS1P_E_NS1_11comp_targetILNS1_3genE3ELNS1_11target_archE908ELNS1_3gpuE7ELNS1_3repE0EEENS1_30default_config_static_selectorELNS0_4arch9wavefront6targetE1EEEvS12_, .Lfunc_end24-_ZN7rocprim17ROCPRIM_400000_NS6detail17trampoline_kernelINS0_13select_configILj256ELj13ELNS0_17block_load_methodE3ELS4_3ELS4_3ELNS0_20block_scan_algorithmE0ELj4294967295EEENS1_25partition_config_selectorILNS1_17partition_subalgoE4EjNS0_10empty_typeEbEEZZNS1_14partition_implILS8_4ELb0ES6_15HIP_vector_typeIjLj2EENS0_17counting_iteratorIjlEEPS9_SG_NS0_5tupleIJPjSI_NS0_16reverse_iteratorISI_EEEEENSH_IJSG_SG_SG_EEES9_SI_JZNS1_25segmented_radix_sort_implINS0_14default_configELb1EPKhPhPKlPlN2at6native12_GLOBAL__N_18offset_tEEE10hipError_tPvRmT1_PNSt15iterator_traitsIS12_E10value_typeET2_T3_PNS13_IS18_E10value_typeET4_jRbjT5_S1E_jjP12ihipStream_tbEUljE_ZNSN_ISO_Lb1ESQ_SR_ST_SU_SY_EESZ_S10_S11_S12_S16_S17_S18_S1B_S1C_jS1D_jS1E_S1E_jjS1G_bEUljE0_EEESZ_S10_S11_S18_S1C_S1E_T6_T7_T9_mT8_S1G_bDpT10_ENKUlT_T0_E_clISt17integral_constantIbLb1EES1U_EEDaS1P_S1Q_EUlS1P_E_NS1_11comp_targetILNS1_3genE3ELNS1_11target_archE908ELNS1_3gpuE7ELNS1_3repE0EEENS1_30default_config_static_selectorELNS0_4arch9wavefront6targetE1EEEvS12_
                                        ; -- End function
	.set _ZN7rocprim17ROCPRIM_400000_NS6detail17trampoline_kernelINS0_13select_configILj256ELj13ELNS0_17block_load_methodE3ELS4_3ELS4_3ELNS0_20block_scan_algorithmE0ELj4294967295EEENS1_25partition_config_selectorILNS1_17partition_subalgoE4EjNS0_10empty_typeEbEEZZNS1_14partition_implILS8_4ELb0ES6_15HIP_vector_typeIjLj2EENS0_17counting_iteratorIjlEEPS9_SG_NS0_5tupleIJPjSI_NS0_16reverse_iteratorISI_EEEEENSH_IJSG_SG_SG_EEES9_SI_JZNS1_25segmented_radix_sort_implINS0_14default_configELb1EPKhPhPKlPlN2at6native12_GLOBAL__N_18offset_tEEE10hipError_tPvRmT1_PNSt15iterator_traitsIS12_E10value_typeET2_T3_PNS13_IS18_E10value_typeET4_jRbjT5_S1E_jjP12ihipStream_tbEUljE_ZNSN_ISO_Lb1ESQ_SR_ST_SU_SY_EESZ_S10_S11_S12_S16_S17_S18_S1B_S1C_jS1D_jS1E_S1E_jjS1G_bEUljE0_EEESZ_S10_S11_S18_S1C_S1E_T6_T7_T9_mT8_S1G_bDpT10_ENKUlT_T0_E_clISt17integral_constantIbLb1EES1U_EEDaS1P_S1Q_EUlS1P_E_NS1_11comp_targetILNS1_3genE3ELNS1_11target_archE908ELNS1_3gpuE7ELNS1_3repE0EEENS1_30default_config_static_selectorELNS0_4arch9wavefront6targetE1EEEvS12_.num_vgpr, 0
	.set _ZN7rocprim17ROCPRIM_400000_NS6detail17trampoline_kernelINS0_13select_configILj256ELj13ELNS0_17block_load_methodE3ELS4_3ELS4_3ELNS0_20block_scan_algorithmE0ELj4294967295EEENS1_25partition_config_selectorILNS1_17partition_subalgoE4EjNS0_10empty_typeEbEEZZNS1_14partition_implILS8_4ELb0ES6_15HIP_vector_typeIjLj2EENS0_17counting_iteratorIjlEEPS9_SG_NS0_5tupleIJPjSI_NS0_16reverse_iteratorISI_EEEEENSH_IJSG_SG_SG_EEES9_SI_JZNS1_25segmented_radix_sort_implINS0_14default_configELb1EPKhPhPKlPlN2at6native12_GLOBAL__N_18offset_tEEE10hipError_tPvRmT1_PNSt15iterator_traitsIS12_E10value_typeET2_T3_PNS13_IS18_E10value_typeET4_jRbjT5_S1E_jjP12ihipStream_tbEUljE_ZNSN_ISO_Lb1ESQ_SR_ST_SU_SY_EESZ_S10_S11_S12_S16_S17_S18_S1B_S1C_jS1D_jS1E_S1E_jjS1G_bEUljE0_EEESZ_S10_S11_S18_S1C_S1E_T6_T7_T9_mT8_S1G_bDpT10_ENKUlT_T0_E_clISt17integral_constantIbLb1EES1U_EEDaS1P_S1Q_EUlS1P_E_NS1_11comp_targetILNS1_3genE3ELNS1_11target_archE908ELNS1_3gpuE7ELNS1_3repE0EEENS1_30default_config_static_selectorELNS0_4arch9wavefront6targetE1EEEvS12_.num_agpr, 0
	.set _ZN7rocprim17ROCPRIM_400000_NS6detail17trampoline_kernelINS0_13select_configILj256ELj13ELNS0_17block_load_methodE3ELS4_3ELS4_3ELNS0_20block_scan_algorithmE0ELj4294967295EEENS1_25partition_config_selectorILNS1_17partition_subalgoE4EjNS0_10empty_typeEbEEZZNS1_14partition_implILS8_4ELb0ES6_15HIP_vector_typeIjLj2EENS0_17counting_iteratorIjlEEPS9_SG_NS0_5tupleIJPjSI_NS0_16reverse_iteratorISI_EEEEENSH_IJSG_SG_SG_EEES9_SI_JZNS1_25segmented_radix_sort_implINS0_14default_configELb1EPKhPhPKlPlN2at6native12_GLOBAL__N_18offset_tEEE10hipError_tPvRmT1_PNSt15iterator_traitsIS12_E10value_typeET2_T3_PNS13_IS18_E10value_typeET4_jRbjT5_S1E_jjP12ihipStream_tbEUljE_ZNSN_ISO_Lb1ESQ_SR_ST_SU_SY_EESZ_S10_S11_S12_S16_S17_S18_S1B_S1C_jS1D_jS1E_S1E_jjS1G_bEUljE0_EEESZ_S10_S11_S18_S1C_S1E_T6_T7_T9_mT8_S1G_bDpT10_ENKUlT_T0_E_clISt17integral_constantIbLb1EES1U_EEDaS1P_S1Q_EUlS1P_E_NS1_11comp_targetILNS1_3genE3ELNS1_11target_archE908ELNS1_3gpuE7ELNS1_3repE0EEENS1_30default_config_static_selectorELNS0_4arch9wavefront6targetE1EEEvS12_.numbered_sgpr, 0
	.set _ZN7rocprim17ROCPRIM_400000_NS6detail17trampoline_kernelINS0_13select_configILj256ELj13ELNS0_17block_load_methodE3ELS4_3ELS4_3ELNS0_20block_scan_algorithmE0ELj4294967295EEENS1_25partition_config_selectorILNS1_17partition_subalgoE4EjNS0_10empty_typeEbEEZZNS1_14partition_implILS8_4ELb0ES6_15HIP_vector_typeIjLj2EENS0_17counting_iteratorIjlEEPS9_SG_NS0_5tupleIJPjSI_NS0_16reverse_iteratorISI_EEEEENSH_IJSG_SG_SG_EEES9_SI_JZNS1_25segmented_radix_sort_implINS0_14default_configELb1EPKhPhPKlPlN2at6native12_GLOBAL__N_18offset_tEEE10hipError_tPvRmT1_PNSt15iterator_traitsIS12_E10value_typeET2_T3_PNS13_IS18_E10value_typeET4_jRbjT5_S1E_jjP12ihipStream_tbEUljE_ZNSN_ISO_Lb1ESQ_SR_ST_SU_SY_EESZ_S10_S11_S12_S16_S17_S18_S1B_S1C_jS1D_jS1E_S1E_jjS1G_bEUljE0_EEESZ_S10_S11_S18_S1C_S1E_T6_T7_T9_mT8_S1G_bDpT10_ENKUlT_T0_E_clISt17integral_constantIbLb1EES1U_EEDaS1P_S1Q_EUlS1P_E_NS1_11comp_targetILNS1_3genE3ELNS1_11target_archE908ELNS1_3gpuE7ELNS1_3repE0EEENS1_30default_config_static_selectorELNS0_4arch9wavefront6targetE1EEEvS12_.num_named_barrier, 0
	.set _ZN7rocprim17ROCPRIM_400000_NS6detail17trampoline_kernelINS0_13select_configILj256ELj13ELNS0_17block_load_methodE3ELS4_3ELS4_3ELNS0_20block_scan_algorithmE0ELj4294967295EEENS1_25partition_config_selectorILNS1_17partition_subalgoE4EjNS0_10empty_typeEbEEZZNS1_14partition_implILS8_4ELb0ES6_15HIP_vector_typeIjLj2EENS0_17counting_iteratorIjlEEPS9_SG_NS0_5tupleIJPjSI_NS0_16reverse_iteratorISI_EEEEENSH_IJSG_SG_SG_EEES9_SI_JZNS1_25segmented_radix_sort_implINS0_14default_configELb1EPKhPhPKlPlN2at6native12_GLOBAL__N_18offset_tEEE10hipError_tPvRmT1_PNSt15iterator_traitsIS12_E10value_typeET2_T3_PNS13_IS18_E10value_typeET4_jRbjT5_S1E_jjP12ihipStream_tbEUljE_ZNSN_ISO_Lb1ESQ_SR_ST_SU_SY_EESZ_S10_S11_S12_S16_S17_S18_S1B_S1C_jS1D_jS1E_S1E_jjS1G_bEUljE0_EEESZ_S10_S11_S18_S1C_S1E_T6_T7_T9_mT8_S1G_bDpT10_ENKUlT_T0_E_clISt17integral_constantIbLb1EES1U_EEDaS1P_S1Q_EUlS1P_E_NS1_11comp_targetILNS1_3genE3ELNS1_11target_archE908ELNS1_3gpuE7ELNS1_3repE0EEENS1_30default_config_static_selectorELNS0_4arch9wavefront6targetE1EEEvS12_.private_seg_size, 0
	.set _ZN7rocprim17ROCPRIM_400000_NS6detail17trampoline_kernelINS0_13select_configILj256ELj13ELNS0_17block_load_methodE3ELS4_3ELS4_3ELNS0_20block_scan_algorithmE0ELj4294967295EEENS1_25partition_config_selectorILNS1_17partition_subalgoE4EjNS0_10empty_typeEbEEZZNS1_14partition_implILS8_4ELb0ES6_15HIP_vector_typeIjLj2EENS0_17counting_iteratorIjlEEPS9_SG_NS0_5tupleIJPjSI_NS0_16reverse_iteratorISI_EEEEENSH_IJSG_SG_SG_EEES9_SI_JZNS1_25segmented_radix_sort_implINS0_14default_configELb1EPKhPhPKlPlN2at6native12_GLOBAL__N_18offset_tEEE10hipError_tPvRmT1_PNSt15iterator_traitsIS12_E10value_typeET2_T3_PNS13_IS18_E10value_typeET4_jRbjT5_S1E_jjP12ihipStream_tbEUljE_ZNSN_ISO_Lb1ESQ_SR_ST_SU_SY_EESZ_S10_S11_S12_S16_S17_S18_S1B_S1C_jS1D_jS1E_S1E_jjS1G_bEUljE0_EEESZ_S10_S11_S18_S1C_S1E_T6_T7_T9_mT8_S1G_bDpT10_ENKUlT_T0_E_clISt17integral_constantIbLb1EES1U_EEDaS1P_S1Q_EUlS1P_E_NS1_11comp_targetILNS1_3genE3ELNS1_11target_archE908ELNS1_3gpuE7ELNS1_3repE0EEENS1_30default_config_static_selectorELNS0_4arch9wavefront6targetE1EEEvS12_.uses_vcc, 0
	.set _ZN7rocprim17ROCPRIM_400000_NS6detail17trampoline_kernelINS0_13select_configILj256ELj13ELNS0_17block_load_methodE3ELS4_3ELS4_3ELNS0_20block_scan_algorithmE0ELj4294967295EEENS1_25partition_config_selectorILNS1_17partition_subalgoE4EjNS0_10empty_typeEbEEZZNS1_14partition_implILS8_4ELb0ES6_15HIP_vector_typeIjLj2EENS0_17counting_iteratorIjlEEPS9_SG_NS0_5tupleIJPjSI_NS0_16reverse_iteratorISI_EEEEENSH_IJSG_SG_SG_EEES9_SI_JZNS1_25segmented_radix_sort_implINS0_14default_configELb1EPKhPhPKlPlN2at6native12_GLOBAL__N_18offset_tEEE10hipError_tPvRmT1_PNSt15iterator_traitsIS12_E10value_typeET2_T3_PNS13_IS18_E10value_typeET4_jRbjT5_S1E_jjP12ihipStream_tbEUljE_ZNSN_ISO_Lb1ESQ_SR_ST_SU_SY_EESZ_S10_S11_S12_S16_S17_S18_S1B_S1C_jS1D_jS1E_S1E_jjS1G_bEUljE0_EEESZ_S10_S11_S18_S1C_S1E_T6_T7_T9_mT8_S1G_bDpT10_ENKUlT_T0_E_clISt17integral_constantIbLb1EES1U_EEDaS1P_S1Q_EUlS1P_E_NS1_11comp_targetILNS1_3genE3ELNS1_11target_archE908ELNS1_3gpuE7ELNS1_3repE0EEENS1_30default_config_static_selectorELNS0_4arch9wavefront6targetE1EEEvS12_.uses_flat_scratch, 0
	.set _ZN7rocprim17ROCPRIM_400000_NS6detail17trampoline_kernelINS0_13select_configILj256ELj13ELNS0_17block_load_methodE3ELS4_3ELS4_3ELNS0_20block_scan_algorithmE0ELj4294967295EEENS1_25partition_config_selectorILNS1_17partition_subalgoE4EjNS0_10empty_typeEbEEZZNS1_14partition_implILS8_4ELb0ES6_15HIP_vector_typeIjLj2EENS0_17counting_iteratorIjlEEPS9_SG_NS0_5tupleIJPjSI_NS0_16reverse_iteratorISI_EEEEENSH_IJSG_SG_SG_EEES9_SI_JZNS1_25segmented_radix_sort_implINS0_14default_configELb1EPKhPhPKlPlN2at6native12_GLOBAL__N_18offset_tEEE10hipError_tPvRmT1_PNSt15iterator_traitsIS12_E10value_typeET2_T3_PNS13_IS18_E10value_typeET4_jRbjT5_S1E_jjP12ihipStream_tbEUljE_ZNSN_ISO_Lb1ESQ_SR_ST_SU_SY_EESZ_S10_S11_S12_S16_S17_S18_S1B_S1C_jS1D_jS1E_S1E_jjS1G_bEUljE0_EEESZ_S10_S11_S18_S1C_S1E_T6_T7_T9_mT8_S1G_bDpT10_ENKUlT_T0_E_clISt17integral_constantIbLb1EES1U_EEDaS1P_S1Q_EUlS1P_E_NS1_11comp_targetILNS1_3genE3ELNS1_11target_archE908ELNS1_3gpuE7ELNS1_3repE0EEENS1_30default_config_static_selectorELNS0_4arch9wavefront6targetE1EEEvS12_.has_dyn_sized_stack, 0
	.set _ZN7rocprim17ROCPRIM_400000_NS6detail17trampoline_kernelINS0_13select_configILj256ELj13ELNS0_17block_load_methodE3ELS4_3ELS4_3ELNS0_20block_scan_algorithmE0ELj4294967295EEENS1_25partition_config_selectorILNS1_17partition_subalgoE4EjNS0_10empty_typeEbEEZZNS1_14partition_implILS8_4ELb0ES6_15HIP_vector_typeIjLj2EENS0_17counting_iteratorIjlEEPS9_SG_NS0_5tupleIJPjSI_NS0_16reverse_iteratorISI_EEEEENSH_IJSG_SG_SG_EEES9_SI_JZNS1_25segmented_radix_sort_implINS0_14default_configELb1EPKhPhPKlPlN2at6native12_GLOBAL__N_18offset_tEEE10hipError_tPvRmT1_PNSt15iterator_traitsIS12_E10value_typeET2_T3_PNS13_IS18_E10value_typeET4_jRbjT5_S1E_jjP12ihipStream_tbEUljE_ZNSN_ISO_Lb1ESQ_SR_ST_SU_SY_EESZ_S10_S11_S12_S16_S17_S18_S1B_S1C_jS1D_jS1E_S1E_jjS1G_bEUljE0_EEESZ_S10_S11_S18_S1C_S1E_T6_T7_T9_mT8_S1G_bDpT10_ENKUlT_T0_E_clISt17integral_constantIbLb1EES1U_EEDaS1P_S1Q_EUlS1P_E_NS1_11comp_targetILNS1_3genE3ELNS1_11target_archE908ELNS1_3gpuE7ELNS1_3repE0EEENS1_30default_config_static_selectorELNS0_4arch9wavefront6targetE1EEEvS12_.has_recursion, 0
	.set _ZN7rocprim17ROCPRIM_400000_NS6detail17trampoline_kernelINS0_13select_configILj256ELj13ELNS0_17block_load_methodE3ELS4_3ELS4_3ELNS0_20block_scan_algorithmE0ELj4294967295EEENS1_25partition_config_selectorILNS1_17partition_subalgoE4EjNS0_10empty_typeEbEEZZNS1_14partition_implILS8_4ELb0ES6_15HIP_vector_typeIjLj2EENS0_17counting_iteratorIjlEEPS9_SG_NS0_5tupleIJPjSI_NS0_16reverse_iteratorISI_EEEEENSH_IJSG_SG_SG_EEES9_SI_JZNS1_25segmented_radix_sort_implINS0_14default_configELb1EPKhPhPKlPlN2at6native12_GLOBAL__N_18offset_tEEE10hipError_tPvRmT1_PNSt15iterator_traitsIS12_E10value_typeET2_T3_PNS13_IS18_E10value_typeET4_jRbjT5_S1E_jjP12ihipStream_tbEUljE_ZNSN_ISO_Lb1ESQ_SR_ST_SU_SY_EESZ_S10_S11_S12_S16_S17_S18_S1B_S1C_jS1D_jS1E_S1E_jjS1G_bEUljE0_EEESZ_S10_S11_S18_S1C_S1E_T6_T7_T9_mT8_S1G_bDpT10_ENKUlT_T0_E_clISt17integral_constantIbLb1EES1U_EEDaS1P_S1Q_EUlS1P_E_NS1_11comp_targetILNS1_3genE3ELNS1_11target_archE908ELNS1_3gpuE7ELNS1_3repE0EEENS1_30default_config_static_selectorELNS0_4arch9wavefront6targetE1EEEvS12_.has_indirect_call, 0
	.section	.AMDGPU.csdata,"",@progbits
; Kernel info:
; codeLenInByte = 0
; TotalNumSgprs: 4
; NumVgprs: 0
; ScratchSize: 0
; MemoryBound: 0
; FloatMode: 240
; IeeeMode: 1
; LDSByteSize: 0 bytes/workgroup (compile time only)
; SGPRBlocks: 0
; VGPRBlocks: 0
; NumSGPRsForWavesPerEU: 4
; NumVGPRsForWavesPerEU: 1
; Occupancy: 10
; WaveLimiterHint : 0
; COMPUTE_PGM_RSRC2:SCRATCH_EN: 0
; COMPUTE_PGM_RSRC2:USER_SGPR: 6
; COMPUTE_PGM_RSRC2:TRAP_HANDLER: 0
; COMPUTE_PGM_RSRC2:TGID_X_EN: 1
; COMPUTE_PGM_RSRC2:TGID_Y_EN: 0
; COMPUTE_PGM_RSRC2:TGID_Z_EN: 0
; COMPUTE_PGM_RSRC2:TIDIG_COMP_CNT: 0
	.section	.text._ZN7rocprim17ROCPRIM_400000_NS6detail17trampoline_kernelINS0_13select_configILj256ELj13ELNS0_17block_load_methodE3ELS4_3ELS4_3ELNS0_20block_scan_algorithmE0ELj4294967295EEENS1_25partition_config_selectorILNS1_17partition_subalgoE4EjNS0_10empty_typeEbEEZZNS1_14partition_implILS8_4ELb0ES6_15HIP_vector_typeIjLj2EENS0_17counting_iteratorIjlEEPS9_SG_NS0_5tupleIJPjSI_NS0_16reverse_iteratorISI_EEEEENSH_IJSG_SG_SG_EEES9_SI_JZNS1_25segmented_radix_sort_implINS0_14default_configELb1EPKhPhPKlPlN2at6native12_GLOBAL__N_18offset_tEEE10hipError_tPvRmT1_PNSt15iterator_traitsIS12_E10value_typeET2_T3_PNS13_IS18_E10value_typeET4_jRbjT5_S1E_jjP12ihipStream_tbEUljE_ZNSN_ISO_Lb1ESQ_SR_ST_SU_SY_EESZ_S10_S11_S12_S16_S17_S18_S1B_S1C_jS1D_jS1E_S1E_jjS1G_bEUljE0_EEESZ_S10_S11_S18_S1C_S1E_T6_T7_T9_mT8_S1G_bDpT10_ENKUlT_T0_E_clISt17integral_constantIbLb1EES1U_EEDaS1P_S1Q_EUlS1P_E_NS1_11comp_targetILNS1_3genE2ELNS1_11target_archE906ELNS1_3gpuE6ELNS1_3repE0EEENS1_30default_config_static_selectorELNS0_4arch9wavefront6targetE1EEEvS12_,"axG",@progbits,_ZN7rocprim17ROCPRIM_400000_NS6detail17trampoline_kernelINS0_13select_configILj256ELj13ELNS0_17block_load_methodE3ELS4_3ELS4_3ELNS0_20block_scan_algorithmE0ELj4294967295EEENS1_25partition_config_selectorILNS1_17partition_subalgoE4EjNS0_10empty_typeEbEEZZNS1_14partition_implILS8_4ELb0ES6_15HIP_vector_typeIjLj2EENS0_17counting_iteratorIjlEEPS9_SG_NS0_5tupleIJPjSI_NS0_16reverse_iteratorISI_EEEEENSH_IJSG_SG_SG_EEES9_SI_JZNS1_25segmented_radix_sort_implINS0_14default_configELb1EPKhPhPKlPlN2at6native12_GLOBAL__N_18offset_tEEE10hipError_tPvRmT1_PNSt15iterator_traitsIS12_E10value_typeET2_T3_PNS13_IS18_E10value_typeET4_jRbjT5_S1E_jjP12ihipStream_tbEUljE_ZNSN_ISO_Lb1ESQ_SR_ST_SU_SY_EESZ_S10_S11_S12_S16_S17_S18_S1B_S1C_jS1D_jS1E_S1E_jjS1G_bEUljE0_EEESZ_S10_S11_S18_S1C_S1E_T6_T7_T9_mT8_S1G_bDpT10_ENKUlT_T0_E_clISt17integral_constantIbLb1EES1U_EEDaS1P_S1Q_EUlS1P_E_NS1_11comp_targetILNS1_3genE2ELNS1_11target_archE906ELNS1_3gpuE6ELNS1_3repE0EEENS1_30default_config_static_selectorELNS0_4arch9wavefront6targetE1EEEvS12_,comdat
	.globl	_ZN7rocprim17ROCPRIM_400000_NS6detail17trampoline_kernelINS0_13select_configILj256ELj13ELNS0_17block_load_methodE3ELS4_3ELS4_3ELNS0_20block_scan_algorithmE0ELj4294967295EEENS1_25partition_config_selectorILNS1_17partition_subalgoE4EjNS0_10empty_typeEbEEZZNS1_14partition_implILS8_4ELb0ES6_15HIP_vector_typeIjLj2EENS0_17counting_iteratorIjlEEPS9_SG_NS0_5tupleIJPjSI_NS0_16reverse_iteratorISI_EEEEENSH_IJSG_SG_SG_EEES9_SI_JZNS1_25segmented_radix_sort_implINS0_14default_configELb1EPKhPhPKlPlN2at6native12_GLOBAL__N_18offset_tEEE10hipError_tPvRmT1_PNSt15iterator_traitsIS12_E10value_typeET2_T3_PNS13_IS18_E10value_typeET4_jRbjT5_S1E_jjP12ihipStream_tbEUljE_ZNSN_ISO_Lb1ESQ_SR_ST_SU_SY_EESZ_S10_S11_S12_S16_S17_S18_S1B_S1C_jS1D_jS1E_S1E_jjS1G_bEUljE0_EEESZ_S10_S11_S18_S1C_S1E_T6_T7_T9_mT8_S1G_bDpT10_ENKUlT_T0_E_clISt17integral_constantIbLb1EES1U_EEDaS1P_S1Q_EUlS1P_E_NS1_11comp_targetILNS1_3genE2ELNS1_11target_archE906ELNS1_3gpuE6ELNS1_3repE0EEENS1_30default_config_static_selectorELNS0_4arch9wavefront6targetE1EEEvS12_ ; -- Begin function _ZN7rocprim17ROCPRIM_400000_NS6detail17trampoline_kernelINS0_13select_configILj256ELj13ELNS0_17block_load_methodE3ELS4_3ELS4_3ELNS0_20block_scan_algorithmE0ELj4294967295EEENS1_25partition_config_selectorILNS1_17partition_subalgoE4EjNS0_10empty_typeEbEEZZNS1_14partition_implILS8_4ELb0ES6_15HIP_vector_typeIjLj2EENS0_17counting_iteratorIjlEEPS9_SG_NS0_5tupleIJPjSI_NS0_16reverse_iteratorISI_EEEEENSH_IJSG_SG_SG_EEES9_SI_JZNS1_25segmented_radix_sort_implINS0_14default_configELb1EPKhPhPKlPlN2at6native12_GLOBAL__N_18offset_tEEE10hipError_tPvRmT1_PNSt15iterator_traitsIS12_E10value_typeET2_T3_PNS13_IS18_E10value_typeET4_jRbjT5_S1E_jjP12ihipStream_tbEUljE_ZNSN_ISO_Lb1ESQ_SR_ST_SU_SY_EESZ_S10_S11_S12_S16_S17_S18_S1B_S1C_jS1D_jS1E_S1E_jjS1G_bEUljE0_EEESZ_S10_S11_S18_S1C_S1E_T6_T7_T9_mT8_S1G_bDpT10_ENKUlT_T0_E_clISt17integral_constantIbLb1EES1U_EEDaS1P_S1Q_EUlS1P_E_NS1_11comp_targetILNS1_3genE2ELNS1_11target_archE906ELNS1_3gpuE6ELNS1_3repE0EEENS1_30default_config_static_selectorELNS0_4arch9wavefront6targetE1EEEvS12_
	.p2align	8
	.type	_ZN7rocprim17ROCPRIM_400000_NS6detail17trampoline_kernelINS0_13select_configILj256ELj13ELNS0_17block_load_methodE3ELS4_3ELS4_3ELNS0_20block_scan_algorithmE0ELj4294967295EEENS1_25partition_config_selectorILNS1_17partition_subalgoE4EjNS0_10empty_typeEbEEZZNS1_14partition_implILS8_4ELb0ES6_15HIP_vector_typeIjLj2EENS0_17counting_iteratorIjlEEPS9_SG_NS0_5tupleIJPjSI_NS0_16reverse_iteratorISI_EEEEENSH_IJSG_SG_SG_EEES9_SI_JZNS1_25segmented_radix_sort_implINS0_14default_configELb1EPKhPhPKlPlN2at6native12_GLOBAL__N_18offset_tEEE10hipError_tPvRmT1_PNSt15iterator_traitsIS12_E10value_typeET2_T3_PNS13_IS18_E10value_typeET4_jRbjT5_S1E_jjP12ihipStream_tbEUljE_ZNSN_ISO_Lb1ESQ_SR_ST_SU_SY_EESZ_S10_S11_S12_S16_S17_S18_S1B_S1C_jS1D_jS1E_S1E_jjS1G_bEUljE0_EEESZ_S10_S11_S18_S1C_S1E_T6_T7_T9_mT8_S1G_bDpT10_ENKUlT_T0_E_clISt17integral_constantIbLb1EES1U_EEDaS1P_S1Q_EUlS1P_E_NS1_11comp_targetILNS1_3genE2ELNS1_11target_archE906ELNS1_3gpuE6ELNS1_3repE0EEENS1_30default_config_static_selectorELNS0_4arch9wavefront6targetE1EEEvS12_,@function
_ZN7rocprim17ROCPRIM_400000_NS6detail17trampoline_kernelINS0_13select_configILj256ELj13ELNS0_17block_load_methodE3ELS4_3ELS4_3ELNS0_20block_scan_algorithmE0ELj4294967295EEENS1_25partition_config_selectorILNS1_17partition_subalgoE4EjNS0_10empty_typeEbEEZZNS1_14partition_implILS8_4ELb0ES6_15HIP_vector_typeIjLj2EENS0_17counting_iteratorIjlEEPS9_SG_NS0_5tupleIJPjSI_NS0_16reverse_iteratorISI_EEEEENSH_IJSG_SG_SG_EEES9_SI_JZNS1_25segmented_radix_sort_implINS0_14default_configELb1EPKhPhPKlPlN2at6native12_GLOBAL__N_18offset_tEEE10hipError_tPvRmT1_PNSt15iterator_traitsIS12_E10value_typeET2_T3_PNS13_IS18_E10value_typeET4_jRbjT5_S1E_jjP12ihipStream_tbEUljE_ZNSN_ISO_Lb1ESQ_SR_ST_SU_SY_EESZ_S10_S11_S12_S16_S17_S18_S1B_S1C_jS1D_jS1E_S1E_jjS1G_bEUljE0_EEESZ_S10_S11_S18_S1C_S1E_T6_T7_T9_mT8_S1G_bDpT10_ENKUlT_T0_E_clISt17integral_constantIbLb1EES1U_EEDaS1P_S1Q_EUlS1P_E_NS1_11comp_targetILNS1_3genE2ELNS1_11target_archE906ELNS1_3gpuE6ELNS1_3repE0EEENS1_30default_config_static_selectorELNS0_4arch9wavefront6targetE1EEEvS12_: ; @_ZN7rocprim17ROCPRIM_400000_NS6detail17trampoline_kernelINS0_13select_configILj256ELj13ELNS0_17block_load_methodE3ELS4_3ELS4_3ELNS0_20block_scan_algorithmE0ELj4294967295EEENS1_25partition_config_selectorILNS1_17partition_subalgoE4EjNS0_10empty_typeEbEEZZNS1_14partition_implILS8_4ELb0ES6_15HIP_vector_typeIjLj2EENS0_17counting_iteratorIjlEEPS9_SG_NS0_5tupleIJPjSI_NS0_16reverse_iteratorISI_EEEEENSH_IJSG_SG_SG_EEES9_SI_JZNS1_25segmented_radix_sort_implINS0_14default_configELb1EPKhPhPKlPlN2at6native12_GLOBAL__N_18offset_tEEE10hipError_tPvRmT1_PNSt15iterator_traitsIS12_E10value_typeET2_T3_PNS13_IS18_E10value_typeET4_jRbjT5_S1E_jjP12ihipStream_tbEUljE_ZNSN_ISO_Lb1ESQ_SR_ST_SU_SY_EESZ_S10_S11_S12_S16_S17_S18_S1B_S1C_jS1D_jS1E_S1E_jjS1G_bEUljE0_EEESZ_S10_S11_S18_S1C_S1E_T6_T7_T9_mT8_S1G_bDpT10_ENKUlT_T0_E_clISt17integral_constantIbLb1EES1U_EEDaS1P_S1Q_EUlS1P_E_NS1_11comp_targetILNS1_3genE2ELNS1_11target_archE906ELNS1_3gpuE6ELNS1_3repE0EEENS1_30default_config_static_selectorELNS0_4arch9wavefront6targetE1EEEvS12_
; %bb.0:
	s_endpgm
	.section	.rodata,"a",@progbits
	.p2align	6, 0x0
	.amdhsa_kernel _ZN7rocprim17ROCPRIM_400000_NS6detail17trampoline_kernelINS0_13select_configILj256ELj13ELNS0_17block_load_methodE3ELS4_3ELS4_3ELNS0_20block_scan_algorithmE0ELj4294967295EEENS1_25partition_config_selectorILNS1_17partition_subalgoE4EjNS0_10empty_typeEbEEZZNS1_14partition_implILS8_4ELb0ES6_15HIP_vector_typeIjLj2EENS0_17counting_iteratorIjlEEPS9_SG_NS0_5tupleIJPjSI_NS0_16reverse_iteratorISI_EEEEENSH_IJSG_SG_SG_EEES9_SI_JZNS1_25segmented_radix_sort_implINS0_14default_configELb1EPKhPhPKlPlN2at6native12_GLOBAL__N_18offset_tEEE10hipError_tPvRmT1_PNSt15iterator_traitsIS12_E10value_typeET2_T3_PNS13_IS18_E10value_typeET4_jRbjT5_S1E_jjP12ihipStream_tbEUljE_ZNSN_ISO_Lb1ESQ_SR_ST_SU_SY_EESZ_S10_S11_S12_S16_S17_S18_S1B_S1C_jS1D_jS1E_S1E_jjS1G_bEUljE0_EEESZ_S10_S11_S18_S1C_S1E_T6_T7_T9_mT8_S1G_bDpT10_ENKUlT_T0_E_clISt17integral_constantIbLb1EES1U_EEDaS1P_S1Q_EUlS1P_E_NS1_11comp_targetILNS1_3genE2ELNS1_11target_archE906ELNS1_3gpuE6ELNS1_3repE0EEENS1_30default_config_static_selectorELNS0_4arch9wavefront6targetE1EEEvS12_
		.amdhsa_group_segment_fixed_size 0
		.amdhsa_private_segment_fixed_size 0
		.amdhsa_kernarg_size 184
		.amdhsa_user_sgpr_count 6
		.amdhsa_user_sgpr_private_segment_buffer 1
		.amdhsa_user_sgpr_dispatch_ptr 0
		.amdhsa_user_sgpr_queue_ptr 0
		.amdhsa_user_sgpr_kernarg_segment_ptr 1
		.amdhsa_user_sgpr_dispatch_id 0
		.amdhsa_user_sgpr_flat_scratch_init 0
		.amdhsa_user_sgpr_private_segment_size 0
		.amdhsa_uses_dynamic_stack 0
		.amdhsa_system_sgpr_private_segment_wavefront_offset 0
		.amdhsa_system_sgpr_workgroup_id_x 1
		.amdhsa_system_sgpr_workgroup_id_y 0
		.amdhsa_system_sgpr_workgroup_id_z 0
		.amdhsa_system_sgpr_workgroup_info 0
		.amdhsa_system_vgpr_workitem_id 0
		.amdhsa_next_free_vgpr 1
		.amdhsa_next_free_sgpr 0
		.amdhsa_reserve_vcc 0
		.amdhsa_reserve_flat_scratch 0
		.amdhsa_float_round_mode_32 0
		.amdhsa_float_round_mode_16_64 0
		.amdhsa_float_denorm_mode_32 3
		.amdhsa_float_denorm_mode_16_64 3
		.amdhsa_dx10_clamp 1
		.amdhsa_ieee_mode 1
		.amdhsa_fp16_overflow 0
		.amdhsa_exception_fp_ieee_invalid_op 0
		.amdhsa_exception_fp_denorm_src 0
		.amdhsa_exception_fp_ieee_div_zero 0
		.amdhsa_exception_fp_ieee_overflow 0
		.amdhsa_exception_fp_ieee_underflow 0
		.amdhsa_exception_fp_ieee_inexact 0
		.amdhsa_exception_int_div_zero 0
	.end_amdhsa_kernel
	.section	.text._ZN7rocprim17ROCPRIM_400000_NS6detail17trampoline_kernelINS0_13select_configILj256ELj13ELNS0_17block_load_methodE3ELS4_3ELS4_3ELNS0_20block_scan_algorithmE0ELj4294967295EEENS1_25partition_config_selectorILNS1_17partition_subalgoE4EjNS0_10empty_typeEbEEZZNS1_14partition_implILS8_4ELb0ES6_15HIP_vector_typeIjLj2EENS0_17counting_iteratorIjlEEPS9_SG_NS0_5tupleIJPjSI_NS0_16reverse_iteratorISI_EEEEENSH_IJSG_SG_SG_EEES9_SI_JZNS1_25segmented_radix_sort_implINS0_14default_configELb1EPKhPhPKlPlN2at6native12_GLOBAL__N_18offset_tEEE10hipError_tPvRmT1_PNSt15iterator_traitsIS12_E10value_typeET2_T3_PNS13_IS18_E10value_typeET4_jRbjT5_S1E_jjP12ihipStream_tbEUljE_ZNSN_ISO_Lb1ESQ_SR_ST_SU_SY_EESZ_S10_S11_S12_S16_S17_S18_S1B_S1C_jS1D_jS1E_S1E_jjS1G_bEUljE0_EEESZ_S10_S11_S18_S1C_S1E_T6_T7_T9_mT8_S1G_bDpT10_ENKUlT_T0_E_clISt17integral_constantIbLb1EES1U_EEDaS1P_S1Q_EUlS1P_E_NS1_11comp_targetILNS1_3genE2ELNS1_11target_archE906ELNS1_3gpuE6ELNS1_3repE0EEENS1_30default_config_static_selectorELNS0_4arch9wavefront6targetE1EEEvS12_,"axG",@progbits,_ZN7rocprim17ROCPRIM_400000_NS6detail17trampoline_kernelINS0_13select_configILj256ELj13ELNS0_17block_load_methodE3ELS4_3ELS4_3ELNS0_20block_scan_algorithmE0ELj4294967295EEENS1_25partition_config_selectorILNS1_17partition_subalgoE4EjNS0_10empty_typeEbEEZZNS1_14partition_implILS8_4ELb0ES6_15HIP_vector_typeIjLj2EENS0_17counting_iteratorIjlEEPS9_SG_NS0_5tupleIJPjSI_NS0_16reverse_iteratorISI_EEEEENSH_IJSG_SG_SG_EEES9_SI_JZNS1_25segmented_radix_sort_implINS0_14default_configELb1EPKhPhPKlPlN2at6native12_GLOBAL__N_18offset_tEEE10hipError_tPvRmT1_PNSt15iterator_traitsIS12_E10value_typeET2_T3_PNS13_IS18_E10value_typeET4_jRbjT5_S1E_jjP12ihipStream_tbEUljE_ZNSN_ISO_Lb1ESQ_SR_ST_SU_SY_EESZ_S10_S11_S12_S16_S17_S18_S1B_S1C_jS1D_jS1E_S1E_jjS1G_bEUljE0_EEESZ_S10_S11_S18_S1C_S1E_T6_T7_T9_mT8_S1G_bDpT10_ENKUlT_T0_E_clISt17integral_constantIbLb1EES1U_EEDaS1P_S1Q_EUlS1P_E_NS1_11comp_targetILNS1_3genE2ELNS1_11target_archE906ELNS1_3gpuE6ELNS1_3repE0EEENS1_30default_config_static_selectorELNS0_4arch9wavefront6targetE1EEEvS12_,comdat
.Lfunc_end25:
	.size	_ZN7rocprim17ROCPRIM_400000_NS6detail17trampoline_kernelINS0_13select_configILj256ELj13ELNS0_17block_load_methodE3ELS4_3ELS4_3ELNS0_20block_scan_algorithmE0ELj4294967295EEENS1_25partition_config_selectorILNS1_17partition_subalgoE4EjNS0_10empty_typeEbEEZZNS1_14partition_implILS8_4ELb0ES6_15HIP_vector_typeIjLj2EENS0_17counting_iteratorIjlEEPS9_SG_NS0_5tupleIJPjSI_NS0_16reverse_iteratorISI_EEEEENSH_IJSG_SG_SG_EEES9_SI_JZNS1_25segmented_radix_sort_implINS0_14default_configELb1EPKhPhPKlPlN2at6native12_GLOBAL__N_18offset_tEEE10hipError_tPvRmT1_PNSt15iterator_traitsIS12_E10value_typeET2_T3_PNS13_IS18_E10value_typeET4_jRbjT5_S1E_jjP12ihipStream_tbEUljE_ZNSN_ISO_Lb1ESQ_SR_ST_SU_SY_EESZ_S10_S11_S12_S16_S17_S18_S1B_S1C_jS1D_jS1E_S1E_jjS1G_bEUljE0_EEESZ_S10_S11_S18_S1C_S1E_T6_T7_T9_mT8_S1G_bDpT10_ENKUlT_T0_E_clISt17integral_constantIbLb1EES1U_EEDaS1P_S1Q_EUlS1P_E_NS1_11comp_targetILNS1_3genE2ELNS1_11target_archE906ELNS1_3gpuE6ELNS1_3repE0EEENS1_30default_config_static_selectorELNS0_4arch9wavefront6targetE1EEEvS12_, .Lfunc_end25-_ZN7rocprim17ROCPRIM_400000_NS6detail17trampoline_kernelINS0_13select_configILj256ELj13ELNS0_17block_load_methodE3ELS4_3ELS4_3ELNS0_20block_scan_algorithmE0ELj4294967295EEENS1_25partition_config_selectorILNS1_17partition_subalgoE4EjNS0_10empty_typeEbEEZZNS1_14partition_implILS8_4ELb0ES6_15HIP_vector_typeIjLj2EENS0_17counting_iteratorIjlEEPS9_SG_NS0_5tupleIJPjSI_NS0_16reverse_iteratorISI_EEEEENSH_IJSG_SG_SG_EEES9_SI_JZNS1_25segmented_radix_sort_implINS0_14default_configELb1EPKhPhPKlPlN2at6native12_GLOBAL__N_18offset_tEEE10hipError_tPvRmT1_PNSt15iterator_traitsIS12_E10value_typeET2_T3_PNS13_IS18_E10value_typeET4_jRbjT5_S1E_jjP12ihipStream_tbEUljE_ZNSN_ISO_Lb1ESQ_SR_ST_SU_SY_EESZ_S10_S11_S12_S16_S17_S18_S1B_S1C_jS1D_jS1E_S1E_jjS1G_bEUljE0_EEESZ_S10_S11_S18_S1C_S1E_T6_T7_T9_mT8_S1G_bDpT10_ENKUlT_T0_E_clISt17integral_constantIbLb1EES1U_EEDaS1P_S1Q_EUlS1P_E_NS1_11comp_targetILNS1_3genE2ELNS1_11target_archE906ELNS1_3gpuE6ELNS1_3repE0EEENS1_30default_config_static_selectorELNS0_4arch9wavefront6targetE1EEEvS12_
                                        ; -- End function
	.set _ZN7rocprim17ROCPRIM_400000_NS6detail17trampoline_kernelINS0_13select_configILj256ELj13ELNS0_17block_load_methodE3ELS4_3ELS4_3ELNS0_20block_scan_algorithmE0ELj4294967295EEENS1_25partition_config_selectorILNS1_17partition_subalgoE4EjNS0_10empty_typeEbEEZZNS1_14partition_implILS8_4ELb0ES6_15HIP_vector_typeIjLj2EENS0_17counting_iteratorIjlEEPS9_SG_NS0_5tupleIJPjSI_NS0_16reverse_iteratorISI_EEEEENSH_IJSG_SG_SG_EEES9_SI_JZNS1_25segmented_radix_sort_implINS0_14default_configELb1EPKhPhPKlPlN2at6native12_GLOBAL__N_18offset_tEEE10hipError_tPvRmT1_PNSt15iterator_traitsIS12_E10value_typeET2_T3_PNS13_IS18_E10value_typeET4_jRbjT5_S1E_jjP12ihipStream_tbEUljE_ZNSN_ISO_Lb1ESQ_SR_ST_SU_SY_EESZ_S10_S11_S12_S16_S17_S18_S1B_S1C_jS1D_jS1E_S1E_jjS1G_bEUljE0_EEESZ_S10_S11_S18_S1C_S1E_T6_T7_T9_mT8_S1G_bDpT10_ENKUlT_T0_E_clISt17integral_constantIbLb1EES1U_EEDaS1P_S1Q_EUlS1P_E_NS1_11comp_targetILNS1_3genE2ELNS1_11target_archE906ELNS1_3gpuE6ELNS1_3repE0EEENS1_30default_config_static_selectorELNS0_4arch9wavefront6targetE1EEEvS12_.num_vgpr, 0
	.set _ZN7rocprim17ROCPRIM_400000_NS6detail17trampoline_kernelINS0_13select_configILj256ELj13ELNS0_17block_load_methodE3ELS4_3ELS4_3ELNS0_20block_scan_algorithmE0ELj4294967295EEENS1_25partition_config_selectorILNS1_17partition_subalgoE4EjNS0_10empty_typeEbEEZZNS1_14partition_implILS8_4ELb0ES6_15HIP_vector_typeIjLj2EENS0_17counting_iteratorIjlEEPS9_SG_NS0_5tupleIJPjSI_NS0_16reverse_iteratorISI_EEEEENSH_IJSG_SG_SG_EEES9_SI_JZNS1_25segmented_radix_sort_implINS0_14default_configELb1EPKhPhPKlPlN2at6native12_GLOBAL__N_18offset_tEEE10hipError_tPvRmT1_PNSt15iterator_traitsIS12_E10value_typeET2_T3_PNS13_IS18_E10value_typeET4_jRbjT5_S1E_jjP12ihipStream_tbEUljE_ZNSN_ISO_Lb1ESQ_SR_ST_SU_SY_EESZ_S10_S11_S12_S16_S17_S18_S1B_S1C_jS1D_jS1E_S1E_jjS1G_bEUljE0_EEESZ_S10_S11_S18_S1C_S1E_T6_T7_T9_mT8_S1G_bDpT10_ENKUlT_T0_E_clISt17integral_constantIbLb1EES1U_EEDaS1P_S1Q_EUlS1P_E_NS1_11comp_targetILNS1_3genE2ELNS1_11target_archE906ELNS1_3gpuE6ELNS1_3repE0EEENS1_30default_config_static_selectorELNS0_4arch9wavefront6targetE1EEEvS12_.num_agpr, 0
	.set _ZN7rocprim17ROCPRIM_400000_NS6detail17trampoline_kernelINS0_13select_configILj256ELj13ELNS0_17block_load_methodE3ELS4_3ELS4_3ELNS0_20block_scan_algorithmE0ELj4294967295EEENS1_25partition_config_selectorILNS1_17partition_subalgoE4EjNS0_10empty_typeEbEEZZNS1_14partition_implILS8_4ELb0ES6_15HIP_vector_typeIjLj2EENS0_17counting_iteratorIjlEEPS9_SG_NS0_5tupleIJPjSI_NS0_16reverse_iteratorISI_EEEEENSH_IJSG_SG_SG_EEES9_SI_JZNS1_25segmented_radix_sort_implINS0_14default_configELb1EPKhPhPKlPlN2at6native12_GLOBAL__N_18offset_tEEE10hipError_tPvRmT1_PNSt15iterator_traitsIS12_E10value_typeET2_T3_PNS13_IS18_E10value_typeET4_jRbjT5_S1E_jjP12ihipStream_tbEUljE_ZNSN_ISO_Lb1ESQ_SR_ST_SU_SY_EESZ_S10_S11_S12_S16_S17_S18_S1B_S1C_jS1D_jS1E_S1E_jjS1G_bEUljE0_EEESZ_S10_S11_S18_S1C_S1E_T6_T7_T9_mT8_S1G_bDpT10_ENKUlT_T0_E_clISt17integral_constantIbLb1EES1U_EEDaS1P_S1Q_EUlS1P_E_NS1_11comp_targetILNS1_3genE2ELNS1_11target_archE906ELNS1_3gpuE6ELNS1_3repE0EEENS1_30default_config_static_selectorELNS0_4arch9wavefront6targetE1EEEvS12_.numbered_sgpr, 0
	.set _ZN7rocprim17ROCPRIM_400000_NS6detail17trampoline_kernelINS0_13select_configILj256ELj13ELNS0_17block_load_methodE3ELS4_3ELS4_3ELNS0_20block_scan_algorithmE0ELj4294967295EEENS1_25partition_config_selectorILNS1_17partition_subalgoE4EjNS0_10empty_typeEbEEZZNS1_14partition_implILS8_4ELb0ES6_15HIP_vector_typeIjLj2EENS0_17counting_iteratorIjlEEPS9_SG_NS0_5tupleIJPjSI_NS0_16reverse_iteratorISI_EEEEENSH_IJSG_SG_SG_EEES9_SI_JZNS1_25segmented_radix_sort_implINS0_14default_configELb1EPKhPhPKlPlN2at6native12_GLOBAL__N_18offset_tEEE10hipError_tPvRmT1_PNSt15iterator_traitsIS12_E10value_typeET2_T3_PNS13_IS18_E10value_typeET4_jRbjT5_S1E_jjP12ihipStream_tbEUljE_ZNSN_ISO_Lb1ESQ_SR_ST_SU_SY_EESZ_S10_S11_S12_S16_S17_S18_S1B_S1C_jS1D_jS1E_S1E_jjS1G_bEUljE0_EEESZ_S10_S11_S18_S1C_S1E_T6_T7_T9_mT8_S1G_bDpT10_ENKUlT_T0_E_clISt17integral_constantIbLb1EES1U_EEDaS1P_S1Q_EUlS1P_E_NS1_11comp_targetILNS1_3genE2ELNS1_11target_archE906ELNS1_3gpuE6ELNS1_3repE0EEENS1_30default_config_static_selectorELNS0_4arch9wavefront6targetE1EEEvS12_.num_named_barrier, 0
	.set _ZN7rocprim17ROCPRIM_400000_NS6detail17trampoline_kernelINS0_13select_configILj256ELj13ELNS0_17block_load_methodE3ELS4_3ELS4_3ELNS0_20block_scan_algorithmE0ELj4294967295EEENS1_25partition_config_selectorILNS1_17partition_subalgoE4EjNS0_10empty_typeEbEEZZNS1_14partition_implILS8_4ELb0ES6_15HIP_vector_typeIjLj2EENS0_17counting_iteratorIjlEEPS9_SG_NS0_5tupleIJPjSI_NS0_16reverse_iteratorISI_EEEEENSH_IJSG_SG_SG_EEES9_SI_JZNS1_25segmented_radix_sort_implINS0_14default_configELb1EPKhPhPKlPlN2at6native12_GLOBAL__N_18offset_tEEE10hipError_tPvRmT1_PNSt15iterator_traitsIS12_E10value_typeET2_T3_PNS13_IS18_E10value_typeET4_jRbjT5_S1E_jjP12ihipStream_tbEUljE_ZNSN_ISO_Lb1ESQ_SR_ST_SU_SY_EESZ_S10_S11_S12_S16_S17_S18_S1B_S1C_jS1D_jS1E_S1E_jjS1G_bEUljE0_EEESZ_S10_S11_S18_S1C_S1E_T6_T7_T9_mT8_S1G_bDpT10_ENKUlT_T0_E_clISt17integral_constantIbLb1EES1U_EEDaS1P_S1Q_EUlS1P_E_NS1_11comp_targetILNS1_3genE2ELNS1_11target_archE906ELNS1_3gpuE6ELNS1_3repE0EEENS1_30default_config_static_selectorELNS0_4arch9wavefront6targetE1EEEvS12_.private_seg_size, 0
	.set _ZN7rocprim17ROCPRIM_400000_NS6detail17trampoline_kernelINS0_13select_configILj256ELj13ELNS0_17block_load_methodE3ELS4_3ELS4_3ELNS0_20block_scan_algorithmE0ELj4294967295EEENS1_25partition_config_selectorILNS1_17partition_subalgoE4EjNS0_10empty_typeEbEEZZNS1_14partition_implILS8_4ELb0ES6_15HIP_vector_typeIjLj2EENS0_17counting_iteratorIjlEEPS9_SG_NS0_5tupleIJPjSI_NS0_16reverse_iteratorISI_EEEEENSH_IJSG_SG_SG_EEES9_SI_JZNS1_25segmented_radix_sort_implINS0_14default_configELb1EPKhPhPKlPlN2at6native12_GLOBAL__N_18offset_tEEE10hipError_tPvRmT1_PNSt15iterator_traitsIS12_E10value_typeET2_T3_PNS13_IS18_E10value_typeET4_jRbjT5_S1E_jjP12ihipStream_tbEUljE_ZNSN_ISO_Lb1ESQ_SR_ST_SU_SY_EESZ_S10_S11_S12_S16_S17_S18_S1B_S1C_jS1D_jS1E_S1E_jjS1G_bEUljE0_EEESZ_S10_S11_S18_S1C_S1E_T6_T7_T9_mT8_S1G_bDpT10_ENKUlT_T0_E_clISt17integral_constantIbLb1EES1U_EEDaS1P_S1Q_EUlS1P_E_NS1_11comp_targetILNS1_3genE2ELNS1_11target_archE906ELNS1_3gpuE6ELNS1_3repE0EEENS1_30default_config_static_selectorELNS0_4arch9wavefront6targetE1EEEvS12_.uses_vcc, 0
	.set _ZN7rocprim17ROCPRIM_400000_NS6detail17trampoline_kernelINS0_13select_configILj256ELj13ELNS0_17block_load_methodE3ELS4_3ELS4_3ELNS0_20block_scan_algorithmE0ELj4294967295EEENS1_25partition_config_selectorILNS1_17partition_subalgoE4EjNS0_10empty_typeEbEEZZNS1_14partition_implILS8_4ELb0ES6_15HIP_vector_typeIjLj2EENS0_17counting_iteratorIjlEEPS9_SG_NS0_5tupleIJPjSI_NS0_16reverse_iteratorISI_EEEEENSH_IJSG_SG_SG_EEES9_SI_JZNS1_25segmented_radix_sort_implINS0_14default_configELb1EPKhPhPKlPlN2at6native12_GLOBAL__N_18offset_tEEE10hipError_tPvRmT1_PNSt15iterator_traitsIS12_E10value_typeET2_T3_PNS13_IS18_E10value_typeET4_jRbjT5_S1E_jjP12ihipStream_tbEUljE_ZNSN_ISO_Lb1ESQ_SR_ST_SU_SY_EESZ_S10_S11_S12_S16_S17_S18_S1B_S1C_jS1D_jS1E_S1E_jjS1G_bEUljE0_EEESZ_S10_S11_S18_S1C_S1E_T6_T7_T9_mT8_S1G_bDpT10_ENKUlT_T0_E_clISt17integral_constantIbLb1EES1U_EEDaS1P_S1Q_EUlS1P_E_NS1_11comp_targetILNS1_3genE2ELNS1_11target_archE906ELNS1_3gpuE6ELNS1_3repE0EEENS1_30default_config_static_selectorELNS0_4arch9wavefront6targetE1EEEvS12_.uses_flat_scratch, 0
	.set _ZN7rocprim17ROCPRIM_400000_NS6detail17trampoline_kernelINS0_13select_configILj256ELj13ELNS0_17block_load_methodE3ELS4_3ELS4_3ELNS0_20block_scan_algorithmE0ELj4294967295EEENS1_25partition_config_selectorILNS1_17partition_subalgoE4EjNS0_10empty_typeEbEEZZNS1_14partition_implILS8_4ELb0ES6_15HIP_vector_typeIjLj2EENS0_17counting_iteratorIjlEEPS9_SG_NS0_5tupleIJPjSI_NS0_16reverse_iteratorISI_EEEEENSH_IJSG_SG_SG_EEES9_SI_JZNS1_25segmented_radix_sort_implINS0_14default_configELb1EPKhPhPKlPlN2at6native12_GLOBAL__N_18offset_tEEE10hipError_tPvRmT1_PNSt15iterator_traitsIS12_E10value_typeET2_T3_PNS13_IS18_E10value_typeET4_jRbjT5_S1E_jjP12ihipStream_tbEUljE_ZNSN_ISO_Lb1ESQ_SR_ST_SU_SY_EESZ_S10_S11_S12_S16_S17_S18_S1B_S1C_jS1D_jS1E_S1E_jjS1G_bEUljE0_EEESZ_S10_S11_S18_S1C_S1E_T6_T7_T9_mT8_S1G_bDpT10_ENKUlT_T0_E_clISt17integral_constantIbLb1EES1U_EEDaS1P_S1Q_EUlS1P_E_NS1_11comp_targetILNS1_3genE2ELNS1_11target_archE906ELNS1_3gpuE6ELNS1_3repE0EEENS1_30default_config_static_selectorELNS0_4arch9wavefront6targetE1EEEvS12_.has_dyn_sized_stack, 0
	.set _ZN7rocprim17ROCPRIM_400000_NS6detail17trampoline_kernelINS0_13select_configILj256ELj13ELNS0_17block_load_methodE3ELS4_3ELS4_3ELNS0_20block_scan_algorithmE0ELj4294967295EEENS1_25partition_config_selectorILNS1_17partition_subalgoE4EjNS0_10empty_typeEbEEZZNS1_14partition_implILS8_4ELb0ES6_15HIP_vector_typeIjLj2EENS0_17counting_iteratorIjlEEPS9_SG_NS0_5tupleIJPjSI_NS0_16reverse_iteratorISI_EEEEENSH_IJSG_SG_SG_EEES9_SI_JZNS1_25segmented_radix_sort_implINS0_14default_configELb1EPKhPhPKlPlN2at6native12_GLOBAL__N_18offset_tEEE10hipError_tPvRmT1_PNSt15iterator_traitsIS12_E10value_typeET2_T3_PNS13_IS18_E10value_typeET4_jRbjT5_S1E_jjP12ihipStream_tbEUljE_ZNSN_ISO_Lb1ESQ_SR_ST_SU_SY_EESZ_S10_S11_S12_S16_S17_S18_S1B_S1C_jS1D_jS1E_S1E_jjS1G_bEUljE0_EEESZ_S10_S11_S18_S1C_S1E_T6_T7_T9_mT8_S1G_bDpT10_ENKUlT_T0_E_clISt17integral_constantIbLb1EES1U_EEDaS1P_S1Q_EUlS1P_E_NS1_11comp_targetILNS1_3genE2ELNS1_11target_archE906ELNS1_3gpuE6ELNS1_3repE0EEENS1_30default_config_static_selectorELNS0_4arch9wavefront6targetE1EEEvS12_.has_recursion, 0
	.set _ZN7rocprim17ROCPRIM_400000_NS6detail17trampoline_kernelINS0_13select_configILj256ELj13ELNS0_17block_load_methodE3ELS4_3ELS4_3ELNS0_20block_scan_algorithmE0ELj4294967295EEENS1_25partition_config_selectorILNS1_17partition_subalgoE4EjNS0_10empty_typeEbEEZZNS1_14partition_implILS8_4ELb0ES6_15HIP_vector_typeIjLj2EENS0_17counting_iteratorIjlEEPS9_SG_NS0_5tupleIJPjSI_NS0_16reverse_iteratorISI_EEEEENSH_IJSG_SG_SG_EEES9_SI_JZNS1_25segmented_radix_sort_implINS0_14default_configELb1EPKhPhPKlPlN2at6native12_GLOBAL__N_18offset_tEEE10hipError_tPvRmT1_PNSt15iterator_traitsIS12_E10value_typeET2_T3_PNS13_IS18_E10value_typeET4_jRbjT5_S1E_jjP12ihipStream_tbEUljE_ZNSN_ISO_Lb1ESQ_SR_ST_SU_SY_EESZ_S10_S11_S12_S16_S17_S18_S1B_S1C_jS1D_jS1E_S1E_jjS1G_bEUljE0_EEESZ_S10_S11_S18_S1C_S1E_T6_T7_T9_mT8_S1G_bDpT10_ENKUlT_T0_E_clISt17integral_constantIbLb1EES1U_EEDaS1P_S1Q_EUlS1P_E_NS1_11comp_targetILNS1_3genE2ELNS1_11target_archE906ELNS1_3gpuE6ELNS1_3repE0EEENS1_30default_config_static_selectorELNS0_4arch9wavefront6targetE1EEEvS12_.has_indirect_call, 0
	.section	.AMDGPU.csdata,"",@progbits
; Kernel info:
; codeLenInByte = 4
; TotalNumSgprs: 4
; NumVgprs: 0
; ScratchSize: 0
; MemoryBound: 0
; FloatMode: 240
; IeeeMode: 1
; LDSByteSize: 0 bytes/workgroup (compile time only)
; SGPRBlocks: 0
; VGPRBlocks: 0
; NumSGPRsForWavesPerEU: 4
; NumVGPRsForWavesPerEU: 1
; Occupancy: 10
; WaveLimiterHint : 0
; COMPUTE_PGM_RSRC2:SCRATCH_EN: 0
; COMPUTE_PGM_RSRC2:USER_SGPR: 6
; COMPUTE_PGM_RSRC2:TRAP_HANDLER: 0
; COMPUTE_PGM_RSRC2:TGID_X_EN: 1
; COMPUTE_PGM_RSRC2:TGID_Y_EN: 0
; COMPUTE_PGM_RSRC2:TGID_Z_EN: 0
; COMPUTE_PGM_RSRC2:TIDIG_COMP_CNT: 0
	.section	.text._ZN7rocprim17ROCPRIM_400000_NS6detail17trampoline_kernelINS0_13select_configILj256ELj13ELNS0_17block_load_methodE3ELS4_3ELS4_3ELNS0_20block_scan_algorithmE0ELj4294967295EEENS1_25partition_config_selectorILNS1_17partition_subalgoE4EjNS0_10empty_typeEbEEZZNS1_14partition_implILS8_4ELb0ES6_15HIP_vector_typeIjLj2EENS0_17counting_iteratorIjlEEPS9_SG_NS0_5tupleIJPjSI_NS0_16reverse_iteratorISI_EEEEENSH_IJSG_SG_SG_EEES9_SI_JZNS1_25segmented_radix_sort_implINS0_14default_configELb1EPKhPhPKlPlN2at6native12_GLOBAL__N_18offset_tEEE10hipError_tPvRmT1_PNSt15iterator_traitsIS12_E10value_typeET2_T3_PNS13_IS18_E10value_typeET4_jRbjT5_S1E_jjP12ihipStream_tbEUljE_ZNSN_ISO_Lb1ESQ_SR_ST_SU_SY_EESZ_S10_S11_S12_S16_S17_S18_S1B_S1C_jS1D_jS1E_S1E_jjS1G_bEUljE0_EEESZ_S10_S11_S18_S1C_S1E_T6_T7_T9_mT8_S1G_bDpT10_ENKUlT_T0_E_clISt17integral_constantIbLb1EES1U_EEDaS1P_S1Q_EUlS1P_E_NS1_11comp_targetILNS1_3genE10ELNS1_11target_archE1200ELNS1_3gpuE4ELNS1_3repE0EEENS1_30default_config_static_selectorELNS0_4arch9wavefront6targetE1EEEvS12_,"axG",@progbits,_ZN7rocprim17ROCPRIM_400000_NS6detail17trampoline_kernelINS0_13select_configILj256ELj13ELNS0_17block_load_methodE3ELS4_3ELS4_3ELNS0_20block_scan_algorithmE0ELj4294967295EEENS1_25partition_config_selectorILNS1_17partition_subalgoE4EjNS0_10empty_typeEbEEZZNS1_14partition_implILS8_4ELb0ES6_15HIP_vector_typeIjLj2EENS0_17counting_iteratorIjlEEPS9_SG_NS0_5tupleIJPjSI_NS0_16reverse_iteratorISI_EEEEENSH_IJSG_SG_SG_EEES9_SI_JZNS1_25segmented_radix_sort_implINS0_14default_configELb1EPKhPhPKlPlN2at6native12_GLOBAL__N_18offset_tEEE10hipError_tPvRmT1_PNSt15iterator_traitsIS12_E10value_typeET2_T3_PNS13_IS18_E10value_typeET4_jRbjT5_S1E_jjP12ihipStream_tbEUljE_ZNSN_ISO_Lb1ESQ_SR_ST_SU_SY_EESZ_S10_S11_S12_S16_S17_S18_S1B_S1C_jS1D_jS1E_S1E_jjS1G_bEUljE0_EEESZ_S10_S11_S18_S1C_S1E_T6_T7_T9_mT8_S1G_bDpT10_ENKUlT_T0_E_clISt17integral_constantIbLb1EES1U_EEDaS1P_S1Q_EUlS1P_E_NS1_11comp_targetILNS1_3genE10ELNS1_11target_archE1200ELNS1_3gpuE4ELNS1_3repE0EEENS1_30default_config_static_selectorELNS0_4arch9wavefront6targetE1EEEvS12_,comdat
	.globl	_ZN7rocprim17ROCPRIM_400000_NS6detail17trampoline_kernelINS0_13select_configILj256ELj13ELNS0_17block_load_methodE3ELS4_3ELS4_3ELNS0_20block_scan_algorithmE0ELj4294967295EEENS1_25partition_config_selectorILNS1_17partition_subalgoE4EjNS0_10empty_typeEbEEZZNS1_14partition_implILS8_4ELb0ES6_15HIP_vector_typeIjLj2EENS0_17counting_iteratorIjlEEPS9_SG_NS0_5tupleIJPjSI_NS0_16reverse_iteratorISI_EEEEENSH_IJSG_SG_SG_EEES9_SI_JZNS1_25segmented_radix_sort_implINS0_14default_configELb1EPKhPhPKlPlN2at6native12_GLOBAL__N_18offset_tEEE10hipError_tPvRmT1_PNSt15iterator_traitsIS12_E10value_typeET2_T3_PNS13_IS18_E10value_typeET4_jRbjT5_S1E_jjP12ihipStream_tbEUljE_ZNSN_ISO_Lb1ESQ_SR_ST_SU_SY_EESZ_S10_S11_S12_S16_S17_S18_S1B_S1C_jS1D_jS1E_S1E_jjS1G_bEUljE0_EEESZ_S10_S11_S18_S1C_S1E_T6_T7_T9_mT8_S1G_bDpT10_ENKUlT_T0_E_clISt17integral_constantIbLb1EES1U_EEDaS1P_S1Q_EUlS1P_E_NS1_11comp_targetILNS1_3genE10ELNS1_11target_archE1200ELNS1_3gpuE4ELNS1_3repE0EEENS1_30default_config_static_selectorELNS0_4arch9wavefront6targetE1EEEvS12_ ; -- Begin function _ZN7rocprim17ROCPRIM_400000_NS6detail17trampoline_kernelINS0_13select_configILj256ELj13ELNS0_17block_load_methodE3ELS4_3ELS4_3ELNS0_20block_scan_algorithmE0ELj4294967295EEENS1_25partition_config_selectorILNS1_17partition_subalgoE4EjNS0_10empty_typeEbEEZZNS1_14partition_implILS8_4ELb0ES6_15HIP_vector_typeIjLj2EENS0_17counting_iteratorIjlEEPS9_SG_NS0_5tupleIJPjSI_NS0_16reverse_iteratorISI_EEEEENSH_IJSG_SG_SG_EEES9_SI_JZNS1_25segmented_radix_sort_implINS0_14default_configELb1EPKhPhPKlPlN2at6native12_GLOBAL__N_18offset_tEEE10hipError_tPvRmT1_PNSt15iterator_traitsIS12_E10value_typeET2_T3_PNS13_IS18_E10value_typeET4_jRbjT5_S1E_jjP12ihipStream_tbEUljE_ZNSN_ISO_Lb1ESQ_SR_ST_SU_SY_EESZ_S10_S11_S12_S16_S17_S18_S1B_S1C_jS1D_jS1E_S1E_jjS1G_bEUljE0_EEESZ_S10_S11_S18_S1C_S1E_T6_T7_T9_mT8_S1G_bDpT10_ENKUlT_T0_E_clISt17integral_constantIbLb1EES1U_EEDaS1P_S1Q_EUlS1P_E_NS1_11comp_targetILNS1_3genE10ELNS1_11target_archE1200ELNS1_3gpuE4ELNS1_3repE0EEENS1_30default_config_static_selectorELNS0_4arch9wavefront6targetE1EEEvS12_
	.p2align	8
	.type	_ZN7rocprim17ROCPRIM_400000_NS6detail17trampoline_kernelINS0_13select_configILj256ELj13ELNS0_17block_load_methodE3ELS4_3ELS4_3ELNS0_20block_scan_algorithmE0ELj4294967295EEENS1_25partition_config_selectorILNS1_17partition_subalgoE4EjNS0_10empty_typeEbEEZZNS1_14partition_implILS8_4ELb0ES6_15HIP_vector_typeIjLj2EENS0_17counting_iteratorIjlEEPS9_SG_NS0_5tupleIJPjSI_NS0_16reverse_iteratorISI_EEEEENSH_IJSG_SG_SG_EEES9_SI_JZNS1_25segmented_radix_sort_implINS0_14default_configELb1EPKhPhPKlPlN2at6native12_GLOBAL__N_18offset_tEEE10hipError_tPvRmT1_PNSt15iterator_traitsIS12_E10value_typeET2_T3_PNS13_IS18_E10value_typeET4_jRbjT5_S1E_jjP12ihipStream_tbEUljE_ZNSN_ISO_Lb1ESQ_SR_ST_SU_SY_EESZ_S10_S11_S12_S16_S17_S18_S1B_S1C_jS1D_jS1E_S1E_jjS1G_bEUljE0_EEESZ_S10_S11_S18_S1C_S1E_T6_T7_T9_mT8_S1G_bDpT10_ENKUlT_T0_E_clISt17integral_constantIbLb1EES1U_EEDaS1P_S1Q_EUlS1P_E_NS1_11comp_targetILNS1_3genE10ELNS1_11target_archE1200ELNS1_3gpuE4ELNS1_3repE0EEENS1_30default_config_static_selectorELNS0_4arch9wavefront6targetE1EEEvS12_,@function
_ZN7rocprim17ROCPRIM_400000_NS6detail17trampoline_kernelINS0_13select_configILj256ELj13ELNS0_17block_load_methodE3ELS4_3ELS4_3ELNS0_20block_scan_algorithmE0ELj4294967295EEENS1_25partition_config_selectorILNS1_17partition_subalgoE4EjNS0_10empty_typeEbEEZZNS1_14partition_implILS8_4ELb0ES6_15HIP_vector_typeIjLj2EENS0_17counting_iteratorIjlEEPS9_SG_NS0_5tupleIJPjSI_NS0_16reverse_iteratorISI_EEEEENSH_IJSG_SG_SG_EEES9_SI_JZNS1_25segmented_radix_sort_implINS0_14default_configELb1EPKhPhPKlPlN2at6native12_GLOBAL__N_18offset_tEEE10hipError_tPvRmT1_PNSt15iterator_traitsIS12_E10value_typeET2_T3_PNS13_IS18_E10value_typeET4_jRbjT5_S1E_jjP12ihipStream_tbEUljE_ZNSN_ISO_Lb1ESQ_SR_ST_SU_SY_EESZ_S10_S11_S12_S16_S17_S18_S1B_S1C_jS1D_jS1E_S1E_jjS1G_bEUljE0_EEESZ_S10_S11_S18_S1C_S1E_T6_T7_T9_mT8_S1G_bDpT10_ENKUlT_T0_E_clISt17integral_constantIbLb1EES1U_EEDaS1P_S1Q_EUlS1P_E_NS1_11comp_targetILNS1_3genE10ELNS1_11target_archE1200ELNS1_3gpuE4ELNS1_3repE0EEENS1_30default_config_static_selectorELNS0_4arch9wavefront6targetE1EEEvS12_: ; @_ZN7rocprim17ROCPRIM_400000_NS6detail17trampoline_kernelINS0_13select_configILj256ELj13ELNS0_17block_load_methodE3ELS4_3ELS4_3ELNS0_20block_scan_algorithmE0ELj4294967295EEENS1_25partition_config_selectorILNS1_17partition_subalgoE4EjNS0_10empty_typeEbEEZZNS1_14partition_implILS8_4ELb0ES6_15HIP_vector_typeIjLj2EENS0_17counting_iteratorIjlEEPS9_SG_NS0_5tupleIJPjSI_NS0_16reverse_iteratorISI_EEEEENSH_IJSG_SG_SG_EEES9_SI_JZNS1_25segmented_radix_sort_implINS0_14default_configELb1EPKhPhPKlPlN2at6native12_GLOBAL__N_18offset_tEEE10hipError_tPvRmT1_PNSt15iterator_traitsIS12_E10value_typeET2_T3_PNS13_IS18_E10value_typeET4_jRbjT5_S1E_jjP12ihipStream_tbEUljE_ZNSN_ISO_Lb1ESQ_SR_ST_SU_SY_EESZ_S10_S11_S12_S16_S17_S18_S1B_S1C_jS1D_jS1E_S1E_jjS1G_bEUljE0_EEESZ_S10_S11_S18_S1C_S1E_T6_T7_T9_mT8_S1G_bDpT10_ENKUlT_T0_E_clISt17integral_constantIbLb1EES1U_EEDaS1P_S1Q_EUlS1P_E_NS1_11comp_targetILNS1_3genE10ELNS1_11target_archE1200ELNS1_3gpuE4ELNS1_3repE0EEENS1_30default_config_static_selectorELNS0_4arch9wavefront6targetE1EEEvS12_
; %bb.0:
	.section	.rodata,"a",@progbits
	.p2align	6, 0x0
	.amdhsa_kernel _ZN7rocprim17ROCPRIM_400000_NS6detail17trampoline_kernelINS0_13select_configILj256ELj13ELNS0_17block_load_methodE3ELS4_3ELS4_3ELNS0_20block_scan_algorithmE0ELj4294967295EEENS1_25partition_config_selectorILNS1_17partition_subalgoE4EjNS0_10empty_typeEbEEZZNS1_14partition_implILS8_4ELb0ES6_15HIP_vector_typeIjLj2EENS0_17counting_iteratorIjlEEPS9_SG_NS0_5tupleIJPjSI_NS0_16reverse_iteratorISI_EEEEENSH_IJSG_SG_SG_EEES9_SI_JZNS1_25segmented_radix_sort_implINS0_14default_configELb1EPKhPhPKlPlN2at6native12_GLOBAL__N_18offset_tEEE10hipError_tPvRmT1_PNSt15iterator_traitsIS12_E10value_typeET2_T3_PNS13_IS18_E10value_typeET4_jRbjT5_S1E_jjP12ihipStream_tbEUljE_ZNSN_ISO_Lb1ESQ_SR_ST_SU_SY_EESZ_S10_S11_S12_S16_S17_S18_S1B_S1C_jS1D_jS1E_S1E_jjS1G_bEUljE0_EEESZ_S10_S11_S18_S1C_S1E_T6_T7_T9_mT8_S1G_bDpT10_ENKUlT_T0_E_clISt17integral_constantIbLb1EES1U_EEDaS1P_S1Q_EUlS1P_E_NS1_11comp_targetILNS1_3genE10ELNS1_11target_archE1200ELNS1_3gpuE4ELNS1_3repE0EEENS1_30default_config_static_selectorELNS0_4arch9wavefront6targetE1EEEvS12_
		.amdhsa_group_segment_fixed_size 0
		.amdhsa_private_segment_fixed_size 0
		.amdhsa_kernarg_size 184
		.amdhsa_user_sgpr_count 6
		.amdhsa_user_sgpr_private_segment_buffer 1
		.amdhsa_user_sgpr_dispatch_ptr 0
		.amdhsa_user_sgpr_queue_ptr 0
		.amdhsa_user_sgpr_kernarg_segment_ptr 1
		.amdhsa_user_sgpr_dispatch_id 0
		.amdhsa_user_sgpr_flat_scratch_init 0
		.amdhsa_user_sgpr_private_segment_size 0
		.amdhsa_uses_dynamic_stack 0
		.amdhsa_system_sgpr_private_segment_wavefront_offset 0
		.amdhsa_system_sgpr_workgroup_id_x 1
		.amdhsa_system_sgpr_workgroup_id_y 0
		.amdhsa_system_sgpr_workgroup_id_z 0
		.amdhsa_system_sgpr_workgroup_info 0
		.amdhsa_system_vgpr_workitem_id 0
		.amdhsa_next_free_vgpr 1
		.amdhsa_next_free_sgpr 0
		.amdhsa_reserve_vcc 0
		.amdhsa_reserve_flat_scratch 0
		.amdhsa_float_round_mode_32 0
		.amdhsa_float_round_mode_16_64 0
		.amdhsa_float_denorm_mode_32 3
		.amdhsa_float_denorm_mode_16_64 3
		.amdhsa_dx10_clamp 1
		.amdhsa_ieee_mode 1
		.amdhsa_fp16_overflow 0
		.amdhsa_exception_fp_ieee_invalid_op 0
		.amdhsa_exception_fp_denorm_src 0
		.amdhsa_exception_fp_ieee_div_zero 0
		.amdhsa_exception_fp_ieee_overflow 0
		.amdhsa_exception_fp_ieee_underflow 0
		.amdhsa_exception_fp_ieee_inexact 0
		.amdhsa_exception_int_div_zero 0
	.end_amdhsa_kernel
	.section	.text._ZN7rocprim17ROCPRIM_400000_NS6detail17trampoline_kernelINS0_13select_configILj256ELj13ELNS0_17block_load_methodE3ELS4_3ELS4_3ELNS0_20block_scan_algorithmE0ELj4294967295EEENS1_25partition_config_selectorILNS1_17partition_subalgoE4EjNS0_10empty_typeEbEEZZNS1_14partition_implILS8_4ELb0ES6_15HIP_vector_typeIjLj2EENS0_17counting_iteratorIjlEEPS9_SG_NS0_5tupleIJPjSI_NS0_16reverse_iteratorISI_EEEEENSH_IJSG_SG_SG_EEES9_SI_JZNS1_25segmented_radix_sort_implINS0_14default_configELb1EPKhPhPKlPlN2at6native12_GLOBAL__N_18offset_tEEE10hipError_tPvRmT1_PNSt15iterator_traitsIS12_E10value_typeET2_T3_PNS13_IS18_E10value_typeET4_jRbjT5_S1E_jjP12ihipStream_tbEUljE_ZNSN_ISO_Lb1ESQ_SR_ST_SU_SY_EESZ_S10_S11_S12_S16_S17_S18_S1B_S1C_jS1D_jS1E_S1E_jjS1G_bEUljE0_EEESZ_S10_S11_S18_S1C_S1E_T6_T7_T9_mT8_S1G_bDpT10_ENKUlT_T0_E_clISt17integral_constantIbLb1EES1U_EEDaS1P_S1Q_EUlS1P_E_NS1_11comp_targetILNS1_3genE10ELNS1_11target_archE1200ELNS1_3gpuE4ELNS1_3repE0EEENS1_30default_config_static_selectorELNS0_4arch9wavefront6targetE1EEEvS12_,"axG",@progbits,_ZN7rocprim17ROCPRIM_400000_NS6detail17trampoline_kernelINS0_13select_configILj256ELj13ELNS0_17block_load_methodE3ELS4_3ELS4_3ELNS0_20block_scan_algorithmE0ELj4294967295EEENS1_25partition_config_selectorILNS1_17partition_subalgoE4EjNS0_10empty_typeEbEEZZNS1_14partition_implILS8_4ELb0ES6_15HIP_vector_typeIjLj2EENS0_17counting_iteratorIjlEEPS9_SG_NS0_5tupleIJPjSI_NS0_16reverse_iteratorISI_EEEEENSH_IJSG_SG_SG_EEES9_SI_JZNS1_25segmented_radix_sort_implINS0_14default_configELb1EPKhPhPKlPlN2at6native12_GLOBAL__N_18offset_tEEE10hipError_tPvRmT1_PNSt15iterator_traitsIS12_E10value_typeET2_T3_PNS13_IS18_E10value_typeET4_jRbjT5_S1E_jjP12ihipStream_tbEUljE_ZNSN_ISO_Lb1ESQ_SR_ST_SU_SY_EESZ_S10_S11_S12_S16_S17_S18_S1B_S1C_jS1D_jS1E_S1E_jjS1G_bEUljE0_EEESZ_S10_S11_S18_S1C_S1E_T6_T7_T9_mT8_S1G_bDpT10_ENKUlT_T0_E_clISt17integral_constantIbLb1EES1U_EEDaS1P_S1Q_EUlS1P_E_NS1_11comp_targetILNS1_3genE10ELNS1_11target_archE1200ELNS1_3gpuE4ELNS1_3repE0EEENS1_30default_config_static_selectorELNS0_4arch9wavefront6targetE1EEEvS12_,comdat
.Lfunc_end26:
	.size	_ZN7rocprim17ROCPRIM_400000_NS6detail17trampoline_kernelINS0_13select_configILj256ELj13ELNS0_17block_load_methodE3ELS4_3ELS4_3ELNS0_20block_scan_algorithmE0ELj4294967295EEENS1_25partition_config_selectorILNS1_17partition_subalgoE4EjNS0_10empty_typeEbEEZZNS1_14partition_implILS8_4ELb0ES6_15HIP_vector_typeIjLj2EENS0_17counting_iteratorIjlEEPS9_SG_NS0_5tupleIJPjSI_NS0_16reverse_iteratorISI_EEEEENSH_IJSG_SG_SG_EEES9_SI_JZNS1_25segmented_radix_sort_implINS0_14default_configELb1EPKhPhPKlPlN2at6native12_GLOBAL__N_18offset_tEEE10hipError_tPvRmT1_PNSt15iterator_traitsIS12_E10value_typeET2_T3_PNS13_IS18_E10value_typeET4_jRbjT5_S1E_jjP12ihipStream_tbEUljE_ZNSN_ISO_Lb1ESQ_SR_ST_SU_SY_EESZ_S10_S11_S12_S16_S17_S18_S1B_S1C_jS1D_jS1E_S1E_jjS1G_bEUljE0_EEESZ_S10_S11_S18_S1C_S1E_T6_T7_T9_mT8_S1G_bDpT10_ENKUlT_T0_E_clISt17integral_constantIbLb1EES1U_EEDaS1P_S1Q_EUlS1P_E_NS1_11comp_targetILNS1_3genE10ELNS1_11target_archE1200ELNS1_3gpuE4ELNS1_3repE0EEENS1_30default_config_static_selectorELNS0_4arch9wavefront6targetE1EEEvS12_, .Lfunc_end26-_ZN7rocprim17ROCPRIM_400000_NS6detail17trampoline_kernelINS0_13select_configILj256ELj13ELNS0_17block_load_methodE3ELS4_3ELS4_3ELNS0_20block_scan_algorithmE0ELj4294967295EEENS1_25partition_config_selectorILNS1_17partition_subalgoE4EjNS0_10empty_typeEbEEZZNS1_14partition_implILS8_4ELb0ES6_15HIP_vector_typeIjLj2EENS0_17counting_iteratorIjlEEPS9_SG_NS0_5tupleIJPjSI_NS0_16reverse_iteratorISI_EEEEENSH_IJSG_SG_SG_EEES9_SI_JZNS1_25segmented_radix_sort_implINS0_14default_configELb1EPKhPhPKlPlN2at6native12_GLOBAL__N_18offset_tEEE10hipError_tPvRmT1_PNSt15iterator_traitsIS12_E10value_typeET2_T3_PNS13_IS18_E10value_typeET4_jRbjT5_S1E_jjP12ihipStream_tbEUljE_ZNSN_ISO_Lb1ESQ_SR_ST_SU_SY_EESZ_S10_S11_S12_S16_S17_S18_S1B_S1C_jS1D_jS1E_S1E_jjS1G_bEUljE0_EEESZ_S10_S11_S18_S1C_S1E_T6_T7_T9_mT8_S1G_bDpT10_ENKUlT_T0_E_clISt17integral_constantIbLb1EES1U_EEDaS1P_S1Q_EUlS1P_E_NS1_11comp_targetILNS1_3genE10ELNS1_11target_archE1200ELNS1_3gpuE4ELNS1_3repE0EEENS1_30default_config_static_selectorELNS0_4arch9wavefront6targetE1EEEvS12_
                                        ; -- End function
	.set _ZN7rocprim17ROCPRIM_400000_NS6detail17trampoline_kernelINS0_13select_configILj256ELj13ELNS0_17block_load_methodE3ELS4_3ELS4_3ELNS0_20block_scan_algorithmE0ELj4294967295EEENS1_25partition_config_selectorILNS1_17partition_subalgoE4EjNS0_10empty_typeEbEEZZNS1_14partition_implILS8_4ELb0ES6_15HIP_vector_typeIjLj2EENS0_17counting_iteratorIjlEEPS9_SG_NS0_5tupleIJPjSI_NS0_16reverse_iteratorISI_EEEEENSH_IJSG_SG_SG_EEES9_SI_JZNS1_25segmented_radix_sort_implINS0_14default_configELb1EPKhPhPKlPlN2at6native12_GLOBAL__N_18offset_tEEE10hipError_tPvRmT1_PNSt15iterator_traitsIS12_E10value_typeET2_T3_PNS13_IS18_E10value_typeET4_jRbjT5_S1E_jjP12ihipStream_tbEUljE_ZNSN_ISO_Lb1ESQ_SR_ST_SU_SY_EESZ_S10_S11_S12_S16_S17_S18_S1B_S1C_jS1D_jS1E_S1E_jjS1G_bEUljE0_EEESZ_S10_S11_S18_S1C_S1E_T6_T7_T9_mT8_S1G_bDpT10_ENKUlT_T0_E_clISt17integral_constantIbLb1EES1U_EEDaS1P_S1Q_EUlS1P_E_NS1_11comp_targetILNS1_3genE10ELNS1_11target_archE1200ELNS1_3gpuE4ELNS1_3repE0EEENS1_30default_config_static_selectorELNS0_4arch9wavefront6targetE1EEEvS12_.num_vgpr, 0
	.set _ZN7rocprim17ROCPRIM_400000_NS6detail17trampoline_kernelINS0_13select_configILj256ELj13ELNS0_17block_load_methodE3ELS4_3ELS4_3ELNS0_20block_scan_algorithmE0ELj4294967295EEENS1_25partition_config_selectorILNS1_17partition_subalgoE4EjNS0_10empty_typeEbEEZZNS1_14partition_implILS8_4ELb0ES6_15HIP_vector_typeIjLj2EENS0_17counting_iteratorIjlEEPS9_SG_NS0_5tupleIJPjSI_NS0_16reverse_iteratorISI_EEEEENSH_IJSG_SG_SG_EEES9_SI_JZNS1_25segmented_radix_sort_implINS0_14default_configELb1EPKhPhPKlPlN2at6native12_GLOBAL__N_18offset_tEEE10hipError_tPvRmT1_PNSt15iterator_traitsIS12_E10value_typeET2_T3_PNS13_IS18_E10value_typeET4_jRbjT5_S1E_jjP12ihipStream_tbEUljE_ZNSN_ISO_Lb1ESQ_SR_ST_SU_SY_EESZ_S10_S11_S12_S16_S17_S18_S1B_S1C_jS1D_jS1E_S1E_jjS1G_bEUljE0_EEESZ_S10_S11_S18_S1C_S1E_T6_T7_T9_mT8_S1G_bDpT10_ENKUlT_T0_E_clISt17integral_constantIbLb1EES1U_EEDaS1P_S1Q_EUlS1P_E_NS1_11comp_targetILNS1_3genE10ELNS1_11target_archE1200ELNS1_3gpuE4ELNS1_3repE0EEENS1_30default_config_static_selectorELNS0_4arch9wavefront6targetE1EEEvS12_.num_agpr, 0
	.set _ZN7rocprim17ROCPRIM_400000_NS6detail17trampoline_kernelINS0_13select_configILj256ELj13ELNS0_17block_load_methodE3ELS4_3ELS4_3ELNS0_20block_scan_algorithmE0ELj4294967295EEENS1_25partition_config_selectorILNS1_17partition_subalgoE4EjNS0_10empty_typeEbEEZZNS1_14partition_implILS8_4ELb0ES6_15HIP_vector_typeIjLj2EENS0_17counting_iteratorIjlEEPS9_SG_NS0_5tupleIJPjSI_NS0_16reverse_iteratorISI_EEEEENSH_IJSG_SG_SG_EEES9_SI_JZNS1_25segmented_radix_sort_implINS0_14default_configELb1EPKhPhPKlPlN2at6native12_GLOBAL__N_18offset_tEEE10hipError_tPvRmT1_PNSt15iterator_traitsIS12_E10value_typeET2_T3_PNS13_IS18_E10value_typeET4_jRbjT5_S1E_jjP12ihipStream_tbEUljE_ZNSN_ISO_Lb1ESQ_SR_ST_SU_SY_EESZ_S10_S11_S12_S16_S17_S18_S1B_S1C_jS1D_jS1E_S1E_jjS1G_bEUljE0_EEESZ_S10_S11_S18_S1C_S1E_T6_T7_T9_mT8_S1G_bDpT10_ENKUlT_T0_E_clISt17integral_constantIbLb1EES1U_EEDaS1P_S1Q_EUlS1P_E_NS1_11comp_targetILNS1_3genE10ELNS1_11target_archE1200ELNS1_3gpuE4ELNS1_3repE0EEENS1_30default_config_static_selectorELNS0_4arch9wavefront6targetE1EEEvS12_.numbered_sgpr, 0
	.set _ZN7rocprim17ROCPRIM_400000_NS6detail17trampoline_kernelINS0_13select_configILj256ELj13ELNS0_17block_load_methodE3ELS4_3ELS4_3ELNS0_20block_scan_algorithmE0ELj4294967295EEENS1_25partition_config_selectorILNS1_17partition_subalgoE4EjNS0_10empty_typeEbEEZZNS1_14partition_implILS8_4ELb0ES6_15HIP_vector_typeIjLj2EENS0_17counting_iteratorIjlEEPS9_SG_NS0_5tupleIJPjSI_NS0_16reverse_iteratorISI_EEEEENSH_IJSG_SG_SG_EEES9_SI_JZNS1_25segmented_radix_sort_implINS0_14default_configELb1EPKhPhPKlPlN2at6native12_GLOBAL__N_18offset_tEEE10hipError_tPvRmT1_PNSt15iterator_traitsIS12_E10value_typeET2_T3_PNS13_IS18_E10value_typeET4_jRbjT5_S1E_jjP12ihipStream_tbEUljE_ZNSN_ISO_Lb1ESQ_SR_ST_SU_SY_EESZ_S10_S11_S12_S16_S17_S18_S1B_S1C_jS1D_jS1E_S1E_jjS1G_bEUljE0_EEESZ_S10_S11_S18_S1C_S1E_T6_T7_T9_mT8_S1G_bDpT10_ENKUlT_T0_E_clISt17integral_constantIbLb1EES1U_EEDaS1P_S1Q_EUlS1P_E_NS1_11comp_targetILNS1_3genE10ELNS1_11target_archE1200ELNS1_3gpuE4ELNS1_3repE0EEENS1_30default_config_static_selectorELNS0_4arch9wavefront6targetE1EEEvS12_.num_named_barrier, 0
	.set _ZN7rocprim17ROCPRIM_400000_NS6detail17trampoline_kernelINS0_13select_configILj256ELj13ELNS0_17block_load_methodE3ELS4_3ELS4_3ELNS0_20block_scan_algorithmE0ELj4294967295EEENS1_25partition_config_selectorILNS1_17partition_subalgoE4EjNS0_10empty_typeEbEEZZNS1_14partition_implILS8_4ELb0ES6_15HIP_vector_typeIjLj2EENS0_17counting_iteratorIjlEEPS9_SG_NS0_5tupleIJPjSI_NS0_16reverse_iteratorISI_EEEEENSH_IJSG_SG_SG_EEES9_SI_JZNS1_25segmented_radix_sort_implINS0_14default_configELb1EPKhPhPKlPlN2at6native12_GLOBAL__N_18offset_tEEE10hipError_tPvRmT1_PNSt15iterator_traitsIS12_E10value_typeET2_T3_PNS13_IS18_E10value_typeET4_jRbjT5_S1E_jjP12ihipStream_tbEUljE_ZNSN_ISO_Lb1ESQ_SR_ST_SU_SY_EESZ_S10_S11_S12_S16_S17_S18_S1B_S1C_jS1D_jS1E_S1E_jjS1G_bEUljE0_EEESZ_S10_S11_S18_S1C_S1E_T6_T7_T9_mT8_S1G_bDpT10_ENKUlT_T0_E_clISt17integral_constantIbLb1EES1U_EEDaS1P_S1Q_EUlS1P_E_NS1_11comp_targetILNS1_3genE10ELNS1_11target_archE1200ELNS1_3gpuE4ELNS1_3repE0EEENS1_30default_config_static_selectorELNS0_4arch9wavefront6targetE1EEEvS12_.private_seg_size, 0
	.set _ZN7rocprim17ROCPRIM_400000_NS6detail17trampoline_kernelINS0_13select_configILj256ELj13ELNS0_17block_load_methodE3ELS4_3ELS4_3ELNS0_20block_scan_algorithmE0ELj4294967295EEENS1_25partition_config_selectorILNS1_17partition_subalgoE4EjNS0_10empty_typeEbEEZZNS1_14partition_implILS8_4ELb0ES6_15HIP_vector_typeIjLj2EENS0_17counting_iteratorIjlEEPS9_SG_NS0_5tupleIJPjSI_NS0_16reverse_iteratorISI_EEEEENSH_IJSG_SG_SG_EEES9_SI_JZNS1_25segmented_radix_sort_implINS0_14default_configELb1EPKhPhPKlPlN2at6native12_GLOBAL__N_18offset_tEEE10hipError_tPvRmT1_PNSt15iterator_traitsIS12_E10value_typeET2_T3_PNS13_IS18_E10value_typeET4_jRbjT5_S1E_jjP12ihipStream_tbEUljE_ZNSN_ISO_Lb1ESQ_SR_ST_SU_SY_EESZ_S10_S11_S12_S16_S17_S18_S1B_S1C_jS1D_jS1E_S1E_jjS1G_bEUljE0_EEESZ_S10_S11_S18_S1C_S1E_T6_T7_T9_mT8_S1G_bDpT10_ENKUlT_T0_E_clISt17integral_constantIbLb1EES1U_EEDaS1P_S1Q_EUlS1P_E_NS1_11comp_targetILNS1_3genE10ELNS1_11target_archE1200ELNS1_3gpuE4ELNS1_3repE0EEENS1_30default_config_static_selectorELNS0_4arch9wavefront6targetE1EEEvS12_.uses_vcc, 0
	.set _ZN7rocprim17ROCPRIM_400000_NS6detail17trampoline_kernelINS0_13select_configILj256ELj13ELNS0_17block_load_methodE3ELS4_3ELS4_3ELNS0_20block_scan_algorithmE0ELj4294967295EEENS1_25partition_config_selectorILNS1_17partition_subalgoE4EjNS0_10empty_typeEbEEZZNS1_14partition_implILS8_4ELb0ES6_15HIP_vector_typeIjLj2EENS0_17counting_iteratorIjlEEPS9_SG_NS0_5tupleIJPjSI_NS0_16reverse_iteratorISI_EEEEENSH_IJSG_SG_SG_EEES9_SI_JZNS1_25segmented_radix_sort_implINS0_14default_configELb1EPKhPhPKlPlN2at6native12_GLOBAL__N_18offset_tEEE10hipError_tPvRmT1_PNSt15iterator_traitsIS12_E10value_typeET2_T3_PNS13_IS18_E10value_typeET4_jRbjT5_S1E_jjP12ihipStream_tbEUljE_ZNSN_ISO_Lb1ESQ_SR_ST_SU_SY_EESZ_S10_S11_S12_S16_S17_S18_S1B_S1C_jS1D_jS1E_S1E_jjS1G_bEUljE0_EEESZ_S10_S11_S18_S1C_S1E_T6_T7_T9_mT8_S1G_bDpT10_ENKUlT_T0_E_clISt17integral_constantIbLb1EES1U_EEDaS1P_S1Q_EUlS1P_E_NS1_11comp_targetILNS1_3genE10ELNS1_11target_archE1200ELNS1_3gpuE4ELNS1_3repE0EEENS1_30default_config_static_selectorELNS0_4arch9wavefront6targetE1EEEvS12_.uses_flat_scratch, 0
	.set _ZN7rocprim17ROCPRIM_400000_NS6detail17trampoline_kernelINS0_13select_configILj256ELj13ELNS0_17block_load_methodE3ELS4_3ELS4_3ELNS0_20block_scan_algorithmE0ELj4294967295EEENS1_25partition_config_selectorILNS1_17partition_subalgoE4EjNS0_10empty_typeEbEEZZNS1_14partition_implILS8_4ELb0ES6_15HIP_vector_typeIjLj2EENS0_17counting_iteratorIjlEEPS9_SG_NS0_5tupleIJPjSI_NS0_16reverse_iteratorISI_EEEEENSH_IJSG_SG_SG_EEES9_SI_JZNS1_25segmented_radix_sort_implINS0_14default_configELb1EPKhPhPKlPlN2at6native12_GLOBAL__N_18offset_tEEE10hipError_tPvRmT1_PNSt15iterator_traitsIS12_E10value_typeET2_T3_PNS13_IS18_E10value_typeET4_jRbjT5_S1E_jjP12ihipStream_tbEUljE_ZNSN_ISO_Lb1ESQ_SR_ST_SU_SY_EESZ_S10_S11_S12_S16_S17_S18_S1B_S1C_jS1D_jS1E_S1E_jjS1G_bEUljE0_EEESZ_S10_S11_S18_S1C_S1E_T6_T7_T9_mT8_S1G_bDpT10_ENKUlT_T0_E_clISt17integral_constantIbLb1EES1U_EEDaS1P_S1Q_EUlS1P_E_NS1_11comp_targetILNS1_3genE10ELNS1_11target_archE1200ELNS1_3gpuE4ELNS1_3repE0EEENS1_30default_config_static_selectorELNS0_4arch9wavefront6targetE1EEEvS12_.has_dyn_sized_stack, 0
	.set _ZN7rocprim17ROCPRIM_400000_NS6detail17trampoline_kernelINS0_13select_configILj256ELj13ELNS0_17block_load_methodE3ELS4_3ELS4_3ELNS0_20block_scan_algorithmE0ELj4294967295EEENS1_25partition_config_selectorILNS1_17partition_subalgoE4EjNS0_10empty_typeEbEEZZNS1_14partition_implILS8_4ELb0ES6_15HIP_vector_typeIjLj2EENS0_17counting_iteratorIjlEEPS9_SG_NS0_5tupleIJPjSI_NS0_16reverse_iteratorISI_EEEEENSH_IJSG_SG_SG_EEES9_SI_JZNS1_25segmented_radix_sort_implINS0_14default_configELb1EPKhPhPKlPlN2at6native12_GLOBAL__N_18offset_tEEE10hipError_tPvRmT1_PNSt15iterator_traitsIS12_E10value_typeET2_T3_PNS13_IS18_E10value_typeET4_jRbjT5_S1E_jjP12ihipStream_tbEUljE_ZNSN_ISO_Lb1ESQ_SR_ST_SU_SY_EESZ_S10_S11_S12_S16_S17_S18_S1B_S1C_jS1D_jS1E_S1E_jjS1G_bEUljE0_EEESZ_S10_S11_S18_S1C_S1E_T6_T7_T9_mT8_S1G_bDpT10_ENKUlT_T0_E_clISt17integral_constantIbLb1EES1U_EEDaS1P_S1Q_EUlS1P_E_NS1_11comp_targetILNS1_3genE10ELNS1_11target_archE1200ELNS1_3gpuE4ELNS1_3repE0EEENS1_30default_config_static_selectorELNS0_4arch9wavefront6targetE1EEEvS12_.has_recursion, 0
	.set _ZN7rocprim17ROCPRIM_400000_NS6detail17trampoline_kernelINS0_13select_configILj256ELj13ELNS0_17block_load_methodE3ELS4_3ELS4_3ELNS0_20block_scan_algorithmE0ELj4294967295EEENS1_25partition_config_selectorILNS1_17partition_subalgoE4EjNS0_10empty_typeEbEEZZNS1_14partition_implILS8_4ELb0ES6_15HIP_vector_typeIjLj2EENS0_17counting_iteratorIjlEEPS9_SG_NS0_5tupleIJPjSI_NS0_16reverse_iteratorISI_EEEEENSH_IJSG_SG_SG_EEES9_SI_JZNS1_25segmented_radix_sort_implINS0_14default_configELb1EPKhPhPKlPlN2at6native12_GLOBAL__N_18offset_tEEE10hipError_tPvRmT1_PNSt15iterator_traitsIS12_E10value_typeET2_T3_PNS13_IS18_E10value_typeET4_jRbjT5_S1E_jjP12ihipStream_tbEUljE_ZNSN_ISO_Lb1ESQ_SR_ST_SU_SY_EESZ_S10_S11_S12_S16_S17_S18_S1B_S1C_jS1D_jS1E_S1E_jjS1G_bEUljE0_EEESZ_S10_S11_S18_S1C_S1E_T6_T7_T9_mT8_S1G_bDpT10_ENKUlT_T0_E_clISt17integral_constantIbLb1EES1U_EEDaS1P_S1Q_EUlS1P_E_NS1_11comp_targetILNS1_3genE10ELNS1_11target_archE1200ELNS1_3gpuE4ELNS1_3repE0EEENS1_30default_config_static_selectorELNS0_4arch9wavefront6targetE1EEEvS12_.has_indirect_call, 0
	.section	.AMDGPU.csdata,"",@progbits
; Kernel info:
; codeLenInByte = 0
; TotalNumSgprs: 4
; NumVgprs: 0
; ScratchSize: 0
; MemoryBound: 0
; FloatMode: 240
; IeeeMode: 1
; LDSByteSize: 0 bytes/workgroup (compile time only)
; SGPRBlocks: 0
; VGPRBlocks: 0
; NumSGPRsForWavesPerEU: 4
; NumVGPRsForWavesPerEU: 1
; Occupancy: 10
; WaveLimiterHint : 0
; COMPUTE_PGM_RSRC2:SCRATCH_EN: 0
; COMPUTE_PGM_RSRC2:USER_SGPR: 6
; COMPUTE_PGM_RSRC2:TRAP_HANDLER: 0
; COMPUTE_PGM_RSRC2:TGID_X_EN: 1
; COMPUTE_PGM_RSRC2:TGID_Y_EN: 0
; COMPUTE_PGM_RSRC2:TGID_Z_EN: 0
; COMPUTE_PGM_RSRC2:TIDIG_COMP_CNT: 0
	.section	.text._ZN7rocprim17ROCPRIM_400000_NS6detail17trampoline_kernelINS0_13select_configILj256ELj13ELNS0_17block_load_methodE3ELS4_3ELS4_3ELNS0_20block_scan_algorithmE0ELj4294967295EEENS1_25partition_config_selectorILNS1_17partition_subalgoE4EjNS0_10empty_typeEbEEZZNS1_14partition_implILS8_4ELb0ES6_15HIP_vector_typeIjLj2EENS0_17counting_iteratorIjlEEPS9_SG_NS0_5tupleIJPjSI_NS0_16reverse_iteratorISI_EEEEENSH_IJSG_SG_SG_EEES9_SI_JZNS1_25segmented_radix_sort_implINS0_14default_configELb1EPKhPhPKlPlN2at6native12_GLOBAL__N_18offset_tEEE10hipError_tPvRmT1_PNSt15iterator_traitsIS12_E10value_typeET2_T3_PNS13_IS18_E10value_typeET4_jRbjT5_S1E_jjP12ihipStream_tbEUljE_ZNSN_ISO_Lb1ESQ_SR_ST_SU_SY_EESZ_S10_S11_S12_S16_S17_S18_S1B_S1C_jS1D_jS1E_S1E_jjS1G_bEUljE0_EEESZ_S10_S11_S18_S1C_S1E_T6_T7_T9_mT8_S1G_bDpT10_ENKUlT_T0_E_clISt17integral_constantIbLb1EES1U_EEDaS1P_S1Q_EUlS1P_E_NS1_11comp_targetILNS1_3genE9ELNS1_11target_archE1100ELNS1_3gpuE3ELNS1_3repE0EEENS1_30default_config_static_selectorELNS0_4arch9wavefront6targetE1EEEvS12_,"axG",@progbits,_ZN7rocprim17ROCPRIM_400000_NS6detail17trampoline_kernelINS0_13select_configILj256ELj13ELNS0_17block_load_methodE3ELS4_3ELS4_3ELNS0_20block_scan_algorithmE0ELj4294967295EEENS1_25partition_config_selectorILNS1_17partition_subalgoE4EjNS0_10empty_typeEbEEZZNS1_14partition_implILS8_4ELb0ES6_15HIP_vector_typeIjLj2EENS0_17counting_iteratorIjlEEPS9_SG_NS0_5tupleIJPjSI_NS0_16reverse_iteratorISI_EEEEENSH_IJSG_SG_SG_EEES9_SI_JZNS1_25segmented_radix_sort_implINS0_14default_configELb1EPKhPhPKlPlN2at6native12_GLOBAL__N_18offset_tEEE10hipError_tPvRmT1_PNSt15iterator_traitsIS12_E10value_typeET2_T3_PNS13_IS18_E10value_typeET4_jRbjT5_S1E_jjP12ihipStream_tbEUljE_ZNSN_ISO_Lb1ESQ_SR_ST_SU_SY_EESZ_S10_S11_S12_S16_S17_S18_S1B_S1C_jS1D_jS1E_S1E_jjS1G_bEUljE0_EEESZ_S10_S11_S18_S1C_S1E_T6_T7_T9_mT8_S1G_bDpT10_ENKUlT_T0_E_clISt17integral_constantIbLb1EES1U_EEDaS1P_S1Q_EUlS1P_E_NS1_11comp_targetILNS1_3genE9ELNS1_11target_archE1100ELNS1_3gpuE3ELNS1_3repE0EEENS1_30default_config_static_selectorELNS0_4arch9wavefront6targetE1EEEvS12_,comdat
	.globl	_ZN7rocprim17ROCPRIM_400000_NS6detail17trampoline_kernelINS0_13select_configILj256ELj13ELNS0_17block_load_methodE3ELS4_3ELS4_3ELNS0_20block_scan_algorithmE0ELj4294967295EEENS1_25partition_config_selectorILNS1_17partition_subalgoE4EjNS0_10empty_typeEbEEZZNS1_14partition_implILS8_4ELb0ES6_15HIP_vector_typeIjLj2EENS0_17counting_iteratorIjlEEPS9_SG_NS0_5tupleIJPjSI_NS0_16reverse_iteratorISI_EEEEENSH_IJSG_SG_SG_EEES9_SI_JZNS1_25segmented_radix_sort_implINS0_14default_configELb1EPKhPhPKlPlN2at6native12_GLOBAL__N_18offset_tEEE10hipError_tPvRmT1_PNSt15iterator_traitsIS12_E10value_typeET2_T3_PNS13_IS18_E10value_typeET4_jRbjT5_S1E_jjP12ihipStream_tbEUljE_ZNSN_ISO_Lb1ESQ_SR_ST_SU_SY_EESZ_S10_S11_S12_S16_S17_S18_S1B_S1C_jS1D_jS1E_S1E_jjS1G_bEUljE0_EEESZ_S10_S11_S18_S1C_S1E_T6_T7_T9_mT8_S1G_bDpT10_ENKUlT_T0_E_clISt17integral_constantIbLb1EES1U_EEDaS1P_S1Q_EUlS1P_E_NS1_11comp_targetILNS1_3genE9ELNS1_11target_archE1100ELNS1_3gpuE3ELNS1_3repE0EEENS1_30default_config_static_selectorELNS0_4arch9wavefront6targetE1EEEvS12_ ; -- Begin function _ZN7rocprim17ROCPRIM_400000_NS6detail17trampoline_kernelINS0_13select_configILj256ELj13ELNS0_17block_load_methodE3ELS4_3ELS4_3ELNS0_20block_scan_algorithmE0ELj4294967295EEENS1_25partition_config_selectorILNS1_17partition_subalgoE4EjNS0_10empty_typeEbEEZZNS1_14partition_implILS8_4ELb0ES6_15HIP_vector_typeIjLj2EENS0_17counting_iteratorIjlEEPS9_SG_NS0_5tupleIJPjSI_NS0_16reverse_iteratorISI_EEEEENSH_IJSG_SG_SG_EEES9_SI_JZNS1_25segmented_radix_sort_implINS0_14default_configELb1EPKhPhPKlPlN2at6native12_GLOBAL__N_18offset_tEEE10hipError_tPvRmT1_PNSt15iterator_traitsIS12_E10value_typeET2_T3_PNS13_IS18_E10value_typeET4_jRbjT5_S1E_jjP12ihipStream_tbEUljE_ZNSN_ISO_Lb1ESQ_SR_ST_SU_SY_EESZ_S10_S11_S12_S16_S17_S18_S1B_S1C_jS1D_jS1E_S1E_jjS1G_bEUljE0_EEESZ_S10_S11_S18_S1C_S1E_T6_T7_T9_mT8_S1G_bDpT10_ENKUlT_T0_E_clISt17integral_constantIbLb1EES1U_EEDaS1P_S1Q_EUlS1P_E_NS1_11comp_targetILNS1_3genE9ELNS1_11target_archE1100ELNS1_3gpuE3ELNS1_3repE0EEENS1_30default_config_static_selectorELNS0_4arch9wavefront6targetE1EEEvS12_
	.p2align	8
	.type	_ZN7rocprim17ROCPRIM_400000_NS6detail17trampoline_kernelINS0_13select_configILj256ELj13ELNS0_17block_load_methodE3ELS4_3ELS4_3ELNS0_20block_scan_algorithmE0ELj4294967295EEENS1_25partition_config_selectorILNS1_17partition_subalgoE4EjNS0_10empty_typeEbEEZZNS1_14partition_implILS8_4ELb0ES6_15HIP_vector_typeIjLj2EENS0_17counting_iteratorIjlEEPS9_SG_NS0_5tupleIJPjSI_NS0_16reverse_iteratorISI_EEEEENSH_IJSG_SG_SG_EEES9_SI_JZNS1_25segmented_radix_sort_implINS0_14default_configELb1EPKhPhPKlPlN2at6native12_GLOBAL__N_18offset_tEEE10hipError_tPvRmT1_PNSt15iterator_traitsIS12_E10value_typeET2_T3_PNS13_IS18_E10value_typeET4_jRbjT5_S1E_jjP12ihipStream_tbEUljE_ZNSN_ISO_Lb1ESQ_SR_ST_SU_SY_EESZ_S10_S11_S12_S16_S17_S18_S1B_S1C_jS1D_jS1E_S1E_jjS1G_bEUljE0_EEESZ_S10_S11_S18_S1C_S1E_T6_T7_T9_mT8_S1G_bDpT10_ENKUlT_T0_E_clISt17integral_constantIbLb1EES1U_EEDaS1P_S1Q_EUlS1P_E_NS1_11comp_targetILNS1_3genE9ELNS1_11target_archE1100ELNS1_3gpuE3ELNS1_3repE0EEENS1_30default_config_static_selectorELNS0_4arch9wavefront6targetE1EEEvS12_,@function
_ZN7rocprim17ROCPRIM_400000_NS6detail17trampoline_kernelINS0_13select_configILj256ELj13ELNS0_17block_load_methodE3ELS4_3ELS4_3ELNS0_20block_scan_algorithmE0ELj4294967295EEENS1_25partition_config_selectorILNS1_17partition_subalgoE4EjNS0_10empty_typeEbEEZZNS1_14partition_implILS8_4ELb0ES6_15HIP_vector_typeIjLj2EENS0_17counting_iteratorIjlEEPS9_SG_NS0_5tupleIJPjSI_NS0_16reverse_iteratorISI_EEEEENSH_IJSG_SG_SG_EEES9_SI_JZNS1_25segmented_radix_sort_implINS0_14default_configELb1EPKhPhPKlPlN2at6native12_GLOBAL__N_18offset_tEEE10hipError_tPvRmT1_PNSt15iterator_traitsIS12_E10value_typeET2_T3_PNS13_IS18_E10value_typeET4_jRbjT5_S1E_jjP12ihipStream_tbEUljE_ZNSN_ISO_Lb1ESQ_SR_ST_SU_SY_EESZ_S10_S11_S12_S16_S17_S18_S1B_S1C_jS1D_jS1E_S1E_jjS1G_bEUljE0_EEESZ_S10_S11_S18_S1C_S1E_T6_T7_T9_mT8_S1G_bDpT10_ENKUlT_T0_E_clISt17integral_constantIbLb1EES1U_EEDaS1P_S1Q_EUlS1P_E_NS1_11comp_targetILNS1_3genE9ELNS1_11target_archE1100ELNS1_3gpuE3ELNS1_3repE0EEENS1_30default_config_static_selectorELNS0_4arch9wavefront6targetE1EEEvS12_: ; @_ZN7rocprim17ROCPRIM_400000_NS6detail17trampoline_kernelINS0_13select_configILj256ELj13ELNS0_17block_load_methodE3ELS4_3ELS4_3ELNS0_20block_scan_algorithmE0ELj4294967295EEENS1_25partition_config_selectorILNS1_17partition_subalgoE4EjNS0_10empty_typeEbEEZZNS1_14partition_implILS8_4ELb0ES6_15HIP_vector_typeIjLj2EENS0_17counting_iteratorIjlEEPS9_SG_NS0_5tupleIJPjSI_NS0_16reverse_iteratorISI_EEEEENSH_IJSG_SG_SG_EEES9_SI_JZNS1_25segmented_radix_sort_implINS0_14default_configELb1EPKhPhPKlPlN2at6native12_GLOBAL__N_18offset_tEEE10hipError_tPvRmT1_PNSt15iterator_traitsIS12_E10value_typeET2_T3_PNS13_IS18_E10value_typeET4_jRbjT5_S1E_jjP12ihipStream_tbEUljE_ZNSN_ISO_Lb1ESQ_SR_ST_SU_SY_EESZ_S10_S11_S12_S16_S17_S18_S1B_S1C_jS1D_jS1E_S1E_jjS1G_bEUljE0_EEESZ_S10_S11_S18_S1C_S1E_T6_T7_T9_mT8_S1G_bDpT10_ENKUlT_T0_E_clISt17integral_constantIbLb1EES1U_EEDaS1P_S1Q_EUlS1P_E_NS1_11comp_targetILNS1_3genE9ELNS1_11target_archE1100ELNS1_3gpuE3ELNS1_3repE0EEENS1_30default_config_static_selectorELNS0_4arch9wavefront6targetE1EEEvS12_
; %bb.0:
	.section	.rodata,"a",@progbits
	.p2align	6, 0x0
	.amdhsa_kernel _ZN7rocprim17ROCPRIM_400000_NS6detail17trampoline_kernelINS0_13select_configILj256ELj13ELNS0_17block_load_methodE3ELS4_3ELS4_3ELNS0_20block_scan_algorithmE0ELj4294967295EEENS1_25partition_config_selectorILNS1_17partition_subalgoE4EjNS0_10empty_typeEbEEZZNS1_14partition_implILS8_4ELb0ES6_15HIP_vector_typeIjLj2EENS0_17counting_iteratorIjlEEPS9_SG_NS0_5tupleIJPjSI_NS0_16reverse_iteratorISI_EEEEENSH_IJSG_SG_SG_EEES9_SI_JZNS1_25segmented_radix_sort_implINS0_14default_configELb1EPKhPhPKlPlN2at6native12_GLOBAL__N_18offset_tEEE10hipError_tPvRmT1_PNSt15iterator_traitsIS12_E10value_typeET2_T3_PNS13_IS18_E10value_typeET4_jRbjT5_S1E_jjP12ihipStream_tbEUljE_ZNSN_ISO_Lb1ESQ_SR_ST_SU_SY_EESZ_S10_S11_S12_S16_S17_S18_S1B_S1C_jS1D_jS1E_S1E_jjS1G_bEUljE0_EEESZ_S10_S11_S18_S1C_S1E_T6_T7_T9_mT8_S1G_bDpT10_ENKUlT_T0_E_clISt17integral_constantIbLb1EES1U_EEDaS1P_S1Q_EUlS1P_E_NS1_11comp_targetILNS1_3genE9ELNS1_11target_archE1100ELNS1_3gpuE3ELNS1_3repE0EEENS1_30default_config_static_selectorELNS0_4arch9wavefront6targetE1EEEvS12_
		.amdhsa_group_segment_fixed_size 0
		.amdhsa_private_segment_fixed_size 0
		.amdhsa_kernarg_size 184
		.amdhsa_user_sgpr_count 6
		.amdhsa_user_sgpr_private_segment_buffer 1
		.amdhsa_user_sgpr_dispatch_ptr 0
		.amdhsa_user_sgpr_queue_ptr 0
		.amdhsa_user_sgpr_kernarg_segment_ptr 1
		.amdhsa_user_sgpr_dispatch_id 0
		.amdhsa_user_sgpr_flat_scratch_init 0
		.amdhsa_user_sgpr_private_segment_size 0
		.amdhsa_uses_dynamic_stack 0
		.amdhsa_system_sgpr_private_segment_wavefront_offset 0
		.amdhsa_system_sgpr_workgroup_id_x 1
		.amdhsa_system_sgpr_workgroup_id_y 0
		.amdhsa_system_sgpr_workgroup_id_z 0
		.amdhsa_system_sgpr_workgroup_info 0
		.amdhsa_system_vgpr_workitem_id 0
		.amdhsa_next_free_vgpr 1
		.amdhsa_next_free_sgpr 0
		.amdhsa_reserve_vcc 0
		.amdhsa_reserve_flat_scratch 0
		.amdhsa_float_round_mode_32 0
		.amdhsa_float_round_mode_16_64 0
		.amdhsa_float_denorm_mode_32 3
		.amdhsa_float_denorm_mode_16_64 3
		.amdhsa_dx10_clamp 1
		.amdhsa_ieee_mode 1
		.amdhsa_fp16_overflow 0
		.amdhsa_exception_fp_ieee_invalid_op 0
		.amdhsa_exception_fp_denorm_src 0
		.amdhsa_exception_fp_ieee_div_zero 0
		.amdhsa_exception_fp_ieee_overflow 0
		.amdhsa_exception_fp_ieee_underflow 0
		.amdhsa_exception_fp_ieee_inexact 0
		.amdhsa_exception_int_div_zero 0
	.end_amdhsa_kernel
	.section	.text._ZN7rocprim17ROCPRIM_400000_NS6detail17trampoline_kernelINS0_13select_configILj256ELj13ELNS0_17block_load_methodE3ELS4_3ELS4_3ELNS0_20block_scan_algorithmE0ELj4294967295EEENS1_25partition_config_selectorILNS1_17partition_subalgoE4EjNS0_10empty_typeEbEEZZNS1_14partition_implILS8_4ELb0ES6_15HIP_vector_typeIjLj2EENS0_17counting_iteratorIjlEEPS9_SG_NS0_5tupleIJPjSI_NS0_16reverse_iteratorISI_EEEEENSH_IJSG_SG_SG_EEES9_SI_JZNS1_25segmented_radix_sort_implINS0_14default_configELb1EPKhPhPKlPlN2at6native12_GLOBAL__N_18offset_tEEE10hipError_tPvRmT1_PNSt15iterator_traitsIS12_E10value_typeET2_T3_PNS13_IS18_E10value_typeET4_jRbjT5_S1E_jjP12ihipStream_tbEUljE_ZNSN_ISO_Lb1ESQ_SR_ST_SU_SY_EESZ_S10_S11_S12_S16_S17_S18_S1B_S1C_jS1D_jS1E_S1E_jjS1G_bEUljE0_EEESZ_S10_S11_S18_S1C_S1E_T6_T7_T9_mT8_S1G_bDpT10_ENKUlT_T0_E_clISt17integral_constantIbLb1EES1U_EEDaS1P_S1Q_EUlS1P_E_NS1_11comp_targetILNS1_3genE9ELNS1_11target_archE1100ELNS1_3gpuE3ELNS1_3repE0EEENS1_30default_config_static_selectorELNS0_4arch9wavefront6targetE1EEEvS12_,"axG",@progbits,_ZN7rocprim17ROCPRIM_400000_NS6detail17trampoline_kernelINS0_13select_configILj256ELj13ELNS0_17block_load_methodE3ELS4_3ELS4_3ELNS0_20block_scan_algorithmE0ELj4294967295EEENS1_25partition_config_selectorILNS1_17partition_subalgoE4EjNS0_10empty_typeEbEEZZNS1_14partition_implILS8_4ELb0ES6_15HIP_vector_typeIjLj2EENS0_17counting_iteratorIjlEEPS9_SG_NS0_5tupleIJPjSI_NS0_16reverse_iteratorISI_EEEEENSH_IJSG_SG_SG_EEES9_SI_JZNS1_25segmented_radix_sort_implINS0_14default_configELb1EPKhPhPKlPlN2at6native12_GLOBAL__N_18offset_tEEE10hipError_tPvRmT1_PNSt15iterator_traitsIS12_E10value_typeET2_T3_PNS13_IS18_E10value_typeET4_jRbjT5_S1E_jjP12ihipStream_tbEUljE_ZNSN_ISO_Lb1ESQ_SR_ST_SU_SY_EESZ_S10_S11_S12_S16_S17_S18_S1B_S1C_jS1D_jS1E_S1E_jjS1G_bEUljE0_EEESZ_S10_S11_S18_S1C_S1E_T6_T7_T9_mT8_S1G_bDpT10_ENKUlT_T0_E_clISt17integral_constantIbLb1EES1U_EEDaS1P_S1Q_EUlS1P_E_NS1_11comp_targetILNS1_3genE9ELNS1_11target_archE1100ELNS1_3gpuE3ELNS1_3repE0EEENS1_30default_config_static_selectorELNS0_4arch9wavefront6targetE1EEEvS12_,comdat
.Lfunc_end27:
	.size	_ZN7rocprim17ROCPRIM_400000_NS6detail17trampoline_kernelINS0_13select_configILj256ELj13ELNS0_17block_load_methodE3ELS4_3ELS4_3ELNS0_20block_scan_algorithmE0ELj4294967295EEENS1_25partition_config_selectorILNS1_17partition_subalgoE4EjNS0_10empty_typeEbEEZZNS1_14partition_implILS8_4ELb0ES6_15HIP_vector_typeIjLj2EENS0_17counting_iteratorIjlEEPS9_SG_NS0_5tupleIJPjSI_NS0_16reverse_iteratorISI_EEEEENSH_IJSG_SG_SG_EEES9_SI_JZNS1_25segmented_radix_sort_implINS0_14default_configELb1EPKhPhPKlPlN2at6native12_GLOBAL__N_18offset_tEEE10hipError_tPvRmT1_PNSt15iterator_traitsIS12_E10value_typeET2_T3_PNS13_IS18_E10value_typeET4_jRbjT5_S1E_jjP12ihipStream_tbEUljE_ZNSN_ISO_Lb1ESQ_SR_ST_SU_SY_EESZ_S10_S11_S12_S16_S17_S18_S1B_S1C_jS1D_jS1E_S1E_jjS1G_bEUljE0_EEESZ_S10_S11_S18_S1C_S1E_T6_T7_T9_mT8_S1G_bDpT10_ENKUlT_T0_E_clISt17integral_constantIbLb1EES1U_EEDaS1P_S1Q_EUlS1P_E_NS1_11comp_targetILNS1_3genE9ELNS1_11target_archE1100ELNS1_3gpuE3ELNS1_3repE0EEENS1_30default_config_static_selectorELNS0_4arch9wavefront6targetE1EEEvS12_, .Lfunc_end27-_ZN7rocprim17ROCPRIM_400000_NS6detail17trampoline_kernelINS0_13select_configILj256ELj13ELNS0_17block_load_methodE3ELS4_3ELS4_3ELNS0_20block_scan_algorithmE0ELj4294967295EEENS1_25partition_config_selectorILNS1_17partition_subalgoE4EjNS0_10empty_typeEbEEZZNS1_14partition_implILS8_4ELb0ES6_15HIP_vector_typeIjLj2EENS0_17counting_iteratorIjlEEPS9_SG_NS0_5tupleIJPjSI_NS0_16reverse_iteratorISI_EEEEENSH_IJSG_SG_SG_EEES9_SI_JZNS1_25segmented_radix_sort_implINS0_14default_configELb1EPKhPhPKlPlN2at6native12_GLOBAL__N_18offset_tEEE10hipError_tPvRmT1_PNSt15iterator_traitsIS12_E10value_typeET2_T3_PNS13_IS18_E10value_typeET4_jRbjT5_S1E_jjP12ihipStream_tbEUljE_ZNSN_ISO_Lb1ESQ_SR_ST_SU_SY_EESZ_S10_S11_S12_S16_S17_S18_S1B_S1C_jS1D_jS1E_S1E_jjS1G_bEUljE0_EEESZ_S10_S11_S18_S1C_S1E_T6_T7_T9_mT8_S1G_bDpT10_ENKUlT_T0_E_clISt17integral_constantIbLb1EES1U_EEDaS1P_S1Q_EUlS1P_E_NS1_11comp_targetILNS1_3genE9ELNS1_11target_archE1100ELNS1_3gpuE3ELNS1_3repE0EEENS1_30default_config_static_selectorELNS0_4arch9wavefront6targetE1EEEvS12_
                                        ; -- End function
	.set _ZN7rocprim17ROCPRIM_400000_NS6detail17trampoline_kernelINS0_13select_configILj256ELj13ELNS0_17block_load_methodE3ELS4_3ELS4_3ELNS0_20block_scan_algorithmE0ELj4294967295EEENS1_25partition_config_selectorILNS1_17partition_subalgoE4EjNS0_10empty_typeEbEEZZNS1_14partition_implILS8_4ELb0ES6_15HIP_vector_typeIjLj2EENS0_17counting_iteratorIjlEEPS9_SG_NS0_5tupleIJPjSI_NS0_16reverse_iteratorISI_EEEEENSH_IJSG_SG_SG_EEES9_SI_JZNS1_25segmented_radix_sort_implINS0_14default_configELb1EPKhPhPKlPlN2at6native12_GLOBAL__N_18offset_tEEE10hipError_tPvRmT1_PNSt15iterator_traitsIS12_E10value_typeET2_T3_PNS13_IS18_E10value_typeET4_jRbjT5_S1E_jjP12ihipStream_tbEUljE_ZNSN_ISO_Lb1ESQ_SR_ST_SU_SY_EESZ_S10_S11_S12_S16_S17_S18_S1B_S1C_jS1D_jS1E_S1E_jjS1G_bEUljE0_EEESZ_S10_S11_S18_S1C_S1E_T6_T7_T9_mT8_S1G_bDpT10_ENKUlT_T0_E_clISt17integral_constantIbLb1EES1U_EEDaS1P_S1Q_EUlS1P_E_NS1_11comp_targetILNS1_3genE9ELNS1_11target_archE1100ELNS1_3gpuE3ELNS1_3repE0EEENS1_30default_config_static_selectorELNS0_4arch9wavefront6targetE1EEEvS12_.num_vgpr, 0
	.set _ZN7rocprim17ROCPRIM_400000_NS6detail17trampoline_kernelINS0_13select_configILj256ELj13ELNS0_17block_load_methodE3ELS4_3ELS4_3ELNS0_20block_scan_algorithmE0ELj4294967295EEENS1_25partition_config_selectorILNS1_17partition_subalgoE4EjNS0_10empty_typeEbEEZZNS1_14partition_implILS8_4ELb0ES6_15HIP_vector_typeIjLj2EENS0_17counting_iteratorIjlEEPS9_SG_NS0_5tupleIJPjSI_NS0_16reverse_iteratorISI_EEEEENSH_IJSG_SG_SG_EEES9_SI_JZNS1_25segmented_radix_sort_implINS0_14default_configELb1EPKhPhPKlPlN2at6native12_GLOBAL__N_18offset_tEEE10hipError_tPvRmT1_PNSt15iterator_traitsIS12_E10value_typeET2_T3_PNS13_IS18_E10value_typeET4_jRbjT5_S1E_jjP12ihipStream_tbEUljE_ZNSN_ISO_Lb1ESQ_SR_ST_SU_SY_EESZ_S10_S11_S12_S16_S17_S18_S1B_S1C_jS1D_jS1E_S1E_jjS1G_bEUljE0_EEESZ_S10_S11_S18_S1C_S1E_T6_T7_T9_mT8_S1G_bDpT10_ENKUlT_T0_E_clISt17integral_constantIbLb1EES1U_EEDaS1P_S1Q_EUlS1P_E_NS1_11comp_targetILNS1_3genE9ELNS1_11target_archE1100ELNS1_3gpuE3ELNS1_3repE0EEENS1_30default_config_static_selectorELNS0_4arch9wavefront6targetE1EEEvS12_.num_agpr, 0
	.set _ZN7rocprim17ROCPRIM_400000_NS6detail17trampoline_kernelINS0_13select_configILj256ELj13ELNS0_17block_load_methodE3ELS4_3ELS4_3ELNS0_20block_scan_algorithmE0ELj4294967295EEENS1_25partition_config_selectorILNS1_17partition_subalgoE4EjNS0_10empty_typeEbEEZZNS1_14partition_implILS8_4ELb0ES6_15HIP_vector_typeIjLj2EENS0_17counting_iteratorIjlEEPS9_SG_NS0_5tupleIJPjSI_NS0_16reverse_iteratorISI_EEEEENSH_IJSG_SG_SG_EEES9_SI_JZNS1_25segmented_radix_sort_implINS0_14default_configELb1EPKhPhPKlPlN2at6native12_GLOBAL__N_18offset_tEEE10hipError_tPvRmT1_PNSt15iterator_traitsIS12_E10value_typeET2_T3_PNS13_IS18_E10value_typeET4_jRbjT5_S1E_jjP12ihipStream_tbEUljE_ZNSN_ISO_Lb1ESQ_SR_ST_SU_SY_EESZ_S10_S11_S12_S16_S17_S18_S1B_S1C_jS1D_jS1E_S1E_jjS1G_bEUljE0_EEESZ_S10_S11_S18_S1C_S1E_T6_T7_T9_mT8_S1G_bDpT10_ENKUlT_T0_E_clISt17integral_constantIbLb1EES1U_EEDaS1P_S1Q_EUlS1P_E_NS1_11comp_targetILNS1_3genE9ELNS1_11target_archE1100ELNS1_3gpuE3ELNS1_3repE0EEENS1_30default_config_static_selectorELNS0_4arch9wavefront6targetE1EEEvS12_.numbered_sgpr, 0
	.set _ZN7rocprim17ROCPRIM_400000_NS6detail17trampoline_kernelINS0_13select_configILj256ELj13ELNS0_17block_load_methodE3ELS4_3ELS4_3ELNS0_20block_scan_algorithmE0ELj4294967295EEENS1_25partition_config_selectorILNS1_17partition_subalgoE4EjNS0_10empty_typeEbEEZZNS1_14partition_implILS8_4ELb0ES6_15HIP_vector_typeIjLj2EENS0_17counting_iteratorIjlEEPS9_SG_NS0_5tupleIJPjSI_NS0_16reverse_iteratorISI_EEEEENSH_IJSG_SG_SG_EEES9_SI_JZNS1_25segmented_radix_sort_implINS0_14default_configELb1EPKhPhPKlPlN2at6native12_GLOBAL__N_18offset_tEEE10hipError_tPvRmT1_PNSt15iterator_traitsIS12_E10value_typeET2_T3_PNS13_IS18_E10value_typeET4_jRbjT5_S1E_jjP12ihipStream_tbEUljE_ZNSN_ISO_Lb1ESQ_SR_ST_SU_SY_EESZ_S10_S11_S12_S16_S17_S18_S1B_S1C_jS1D_jS1E_S1E_jjS1G_bEUljE0_EEESZ_S10_S11_S18_S1C_S1E_T6_T7_T9_mT8_S1G_bDpT10_ENKUlT_T0_E_clISt17integral_constantIbLb1EES1U_EEDaS1P_S1Q_EUlS1P_E_NS1_11comp_targetILNS1_3genE9ELNS1_11target_archE1100ELNS1_3gpuE3ELNS1_3repE0EEENS1_30default_config_static_selectorELNS0_4arch9wavefront6targetE1EEEvS12_.num_named_barrier, 0
	.set _ZN7rocprim17ROCPRIM_400000_NS6detail17trampoline_kernelINS0_13select_configILj256ELj13ELNS0_17block_load_methodE3ELS4_3ELS4_3ELNS0_20block_scan_algorithmE0ELj4294967295EEENS1_25partition_config_selectorILNS1_17partition_subalgoE4EjNS0_10empty_typeEbEEZZNS1_14partition_implILS8_4ELb0ES6_15HIP_vector_typeIjLj2EENS0_17counting_iteratorIjlEEPS9_SG_NS0_5tupleIJPjSI_NS0_16reverse_iteratorISI_EEEEENSH_IJSG_SG_SG_EEES9_SI_JZNS1_25segmented_radix_sort_implINS0_14default_configELb1EPKhPhPKlPlN2at6native12_GLOBAL__N_18offset_tEEE10hipError_tPvRmT1_PNSt15iterator_traitsIS12_E10value_typeET2_T3_PNS13_IS18_E10value_typeET4_jRbjT5_S1E_jjP12ihipStream_tbEUljE_ZNSN_ISO_Lb1ESQ_SR_ST_SU_SY_EESZ_S10_S11_S12_S16_S17_S18_S1B_S1C_jS1D_jS1E_S1E_jjS1G_bEUljE0_EEESZ_S10_S11_S18_S1C_S1E_T6_T7_T9_mT8_S1G_bDpT10_ENKUlT_T0_E_clISt17integral_constantIbLb1EES1U_EEDaS1P_S1Q_EUlS1P_E_NS1_11comp_targetILNS1_3genE9ELNS1_11target_archE1100ELNS1_3gpuE3ELNS1_3repE0EEENS1_30default_config_static_selectorELNS0_4arch9wavefront6targetE1EEEvS12_.private_seg_size, 0
	.set _ZN7rocprim17ROCPRIM_400000_NS6detail17trampoline_kernelINS0_13select_configILj256ELj13ELNS0_17block_load_methodE3ELS4_3ELS4_3ELNS0_20block_scan_algorithmE0ELj4294967295EEENS1_25partition_config_selectorILNS1_17partition_subalgoE4EjNS0_10empty_typeEbEEZZNS1_14partition_implILS8_4ELb0ES6_15HIP_vector_typeIjLj2EENS0_17counting_iteratorIjlEEPS9_SG_NS0_5tupleIJPjSI_NS0_16reverse_iteratorISI_EEEEENSH_IJSG_SG_SG_EEES9_SI_JZNS1_25segmented_radix_sort_implINS0_14default_configELb1EPKhPhPKlPlN2at6native12_GLOBAL__N_18offset_tEEE10hipError_tPvRmT1_PNSt15iterator_traitsIS12_E10value_typeET2_T3_PNS13_IS18_E10value_typeET4_jRbjT5_S1E_jjP12ihipStream_tbEUljE_ZNSN_ISO_Lb1ESQ_SR_ST_SU_SY_EESZ_S10_S11_S12_S16_S17_S18_S1B_S1C_jS1D_jS1E_S1E_jjS1G_bEUljE0_EEESZ_S10_S11_S18_S1C_S1E_T6_T7_T9_mT8_S1G_bDpT10_ENKUlT_T0_E_clISt17integral_constantIbLb1EES1U_EEDaS1P_S1Q_EUlS1P_E_NS1_11comp_targetILNS1_3genE9ELNS1_11target_archE1100ELNS1_3gpuE3ELNS1_3repE0EEENS1_30default_config_static_selectorELNS0_4arch9wavefront6targetE1EEEvS12_.uses_vcc, 0
	.set _ZN7rocprim17ROCPRIM_400000_NS6detail17trampoline_kernelINS0_13select_configILj256ELj13ELNS0_17block_load_methodE3ELS4_3ELS4_3ELNS0_20block_scan_algorithmE0ELj4294967295EEENS1_25partition_config_selectorILNS1_17partition_subalgoE4EjNS0_10empty_typeEbEEZZNS1_14partition_implILS8_4ELb0ES6_15HIP_vector_typeIjLj2EENS0_17counting_iteratorIjlEEPS9_SG_NS0_5tupleIJPjSI_NS0_16reverse_iteratorISI_EEEEENSH_IJSG_SG_SG_EEES9_SI_JZNS1_25segmented_radix_sort_implINS0_14default_configELb1EPKhPhPKlPlN2at6native12_GLOBAL__N_18offset_tEEE10hipError_tPvRmT1_PNSt15iterator_traitsIS12_E10value_typeET2_T3_PNS13_IS18_E10value_typeET4_jRbjT5_S1E_jjP12ihipStream_tbEUljE_ZNSN_ISO_Lb1ESQ_SR_ST_SU_SY_EESZ_S10_S11_S12_S16_S17_S18_S1B_S1C_jS1D_jS1E_S1E_jjS1G_bEUljE0_EEESZ_S10_S11_S18_S1C_S1E_T6_T7_T9_mT8_S1G_bDpT10_ENKUlT_T0_E_clISt17integral_constantIbLb1EES1U_EEDaS1P_S1Q_EUlS1P_E_NS1_11comp_targetILNS1_3genE9ELNS1_11target_archE1100ELNS1_3gpuE3ELNS1_3repE0EEENS1_30default_config_static_selectorELNS0_4arch9wavefront6targetE1EEEvS12_.uses_flat_scratch, 0
	.set _ZN7rocprim17ROCPRIM_400000_NS6detail17trampoline_kernelINS0_13select_configILj256ELj13ELNS0_17block_load_methodE3ELS4_3ELS4_3ELNS0_20block_scan_algorithmE0ELj4294967295EEENS1_25partition_config_selectorILNS1_17partition_subalgoE4EjNS0_10empty_typeEbEEZZNS1_14partition_implILS8_4ELb0ES6_15HIP_vector_typeIjLj2EENS0_17counting_iteratorIjlEEPS9_SG_NS0_5tupleIJPjSI_NS0_16reverse_iteratorISI_EEEEENSH_IJSG_SG_SG_EEES9_SI_JZNS1_25segmented_radix_sort_implINS0_14default_configELb1EPKhPhPKlPlN2at6native12_GLOBAL__N_18offset_tEEE10hipError_tPvRmT1_PNSt15iterator_traitsIS12_E10value_typeET2_T3_PNS13_IS18_E10value_typeET4_jRbjT5_S1E_jjP12ihipStream_tbEUljE_ZNSN_ISO_Lb1ESQ_SR_ST_SU_SY_EESZ_S10_S11_S12_S16_S17_S18_S1B_S1C_jS1D_jS1E_S1E_jjS1G_bEUljE0_EEESZ_S10_S11_S18_S1C_S1E_T6_T7_T9_mT8_S1G_bDpT10_ENKUlT_T0_E_clISt17integral_constantIbLb1EES1U_EEDaS1P_S1Q_EUlS1P_E_NS1_11comp_targetILNS1_3genE9ELNS1_11target_archE1100ELNS1_3gpuE3ELNS1_3repE0EEENS1_30default_config_static_selectorELNS0_4arch9wavefront6targetE1EEEvS12_.has_dyn_sized_stack, 0
	.set _ZN7rocprim17ROCPRIM_400000_NS6detail17trampoline_kernelINS0_13select_configILj256ELj13ELNS0_17block_load_methodE3ELS4_3ELS4_3ELNS0_20block_scan_algorithmE0ELj4294967295EEENS1_25partition_config_selectorILNS1_17partition_subalgoE4EjNS0_10empty_typeEbEEZZNS1_14partition_implILS8_4ELb0ES6_15HIP_vector_typeIjLj2EENS0_17counting_iteratorIjlEEPS9_SG_NS0_5tupleIJPjSI_NS0_16reverse_iteratorISI_EEEEENSH_IJSG_SG_SG_EEES9_SI_JZNS1_25segmented_radix_sort_implINS0_14default_configELb1EPKhPhPKlPlN2at6native12_GLOBAL__N_18offset_tEEE10hipError_tPvRmT1_PNSt15iterator_traitsIS12_E10value_typeET2_T3_PNS13_IS18_E10value_typeET4_jRbjT5_S1E_jjP12ihipStream_tbEUljE_ZNSN_ISO_Lb1ESQ_SR_ST_SU_SY_EESZ_S10_S11_S12_S16_S17_S18_S1B_S1C_jS1D_jS1E_S1E_jjS1G_bEUljE0_EEESZ_S10_S11_S18_S1C_S1E_T6_T7_T9_mT8_S1G_bDpT10_ENKUlT_T0_E_clISt17integral_constantIbLb1EES1U_EEDaS1P_S1Q_EUlS1P_E_NS1_11comp_targetILNS1_3genE9ELNS1_11target_archE1100ELNS1_3gpuE3ELNS1_3repE0EEENS1_30default_config_static_selectorELNS0_4arch9wavefront6targetE1EEEvS12_.has_recursion, 0
	.set _ZN7rocprim17ROCPRIM_400000_NS6detail17trampoline_kernelINS0_13select_configILj256ELj13ELNS0_17block_load_methodE3ELS4_3ELS4_3ELNS0_20block_scan_algorithmE0ELj4294967295EEENS1_25partition_config_selectorILNS1_17partition_subalgoE4EjNS0_10empty_typeEbEEZZNS1_14partition_implILS8_4ELb0ES6_15HIP_vector_typeIjLj2EENS0_17counting_iteratorIjlEEPS9_SG_NS0_5tupleIJPjSI_NS0_16reverse_iteratorISI_EEEEENSH_IJSG_SG_SG_EEES9_SI_JZNS1_25segmented_radix_sort_implINS0_14default_configELb1EPKhPhPKlPlN2at6native12_GLOBAL__N_18offset_tEEE10hipError_tPvRmT1_PNSt15iterator_traitsIS12_E10value_typeET2_T3_PNS13_IS18_E10value_typeET4_jRbjT5_S1E_jjP12ihipStream_tbEUljE_ZNSN_ISO_Lb1ESQ_SR_ST_SU_SY_EESZ_S10_S11_S12_S16_S17_S18_S1B_S1C_jS1D_jS1E_S1E_jjS1G_bEUljE0_EEESZ_S10_S11_S18_S1C_S1E_T6_T7_T9_mT8_S1G_bDpT10_ENKUlT_T0_E_clISt17integral_constantIbLb1EES1U_EEDaS1P_S1Q_EUlS1P_E_NS1_11comp_targetILNS1_3genE9ELNS1_11target_archE1100ELNS1_3gpuE3ELNS1_3repE0EEENS1_30default_config_static_selectorELNS0_4arch9wavefront6targetE1EEEvS12_.has_indirect_call, 0
	.section	.AMDGPU.csdata,"",@progbits
; Kernel info:
; codeLenInByte = 0
; TotalNumSgprs: 4
; NumVgprs: 0
; ScratchSize: 0
; MemoryBound: 0
; FloatMode: 240
; IeeeMode: 1
; LDSByteSize: 0 bytes/workgroup (compile time only)
; SGPRBlocks: 0
; VGPRBlocks: 0
; NumSGPRsForWavesPerEU: 4
; NumVGPRsForWavesPerEU: 1
; Occupancy: 10
; WaveLimiterHint : 0
; COMPUTE_PGM_RSRC2:SCRATCH_EN: 0
; COMPUTE_PGM_RSRC2:USER_SGPR: 6
; COMPUTE_PGM_RSRC2:TRAP_HANDLER: 0
; COMPUTE_PGM_RSRC2:TGID_X_EN: 1
; COMPUTE_PGM_RSRC2:TGID_Y_EN: 0
; COMPUTE_PGM_RSRC2:TGID_Z_EN: 0
; COMPUTE_PGM_RSRC2:TIDIG_COMP_CNT: 0
	.section	.text._ZN7rocprim17ROCPRIM_400000_NS6detail17trampoline_kernelINS0_13select_configILj256ELj13ELNS0_17block_load_methodE3ELS4_3ELS4_3ELNS0_20block_scan_algorithmE0ELj4294967295EEENS1_25partition_config_selectorILNS1_17partition_subalgoE4EjNS0_10empty_typeEbEEZZNS1_14partition_implILS8_4ELb0ES6_15HIP_vector_typeIjLj2EENS0_17counting_iteratorIjlEEPS9_SG_NS0_5tupleIJPjSI_NS0_16reverse_iteratorISI_EEEEENSH_IJSG_SG_SG_EEES9_SI_JZNS1_25segmented_radix_sort_implINS0_14default_configELb1EPKhPhPKlPlN2at6native12_GLOBAL__N_18offset_tEEE10hipError_tPvRmT1_PNSt15iterator_traitsIS12_E10value_typeET2_T3_PNS13_IS18_E10value_typeET4_jRbjT5_S1E_jjP12ihipStream_tbEUljE_ZNSN_ISO_Lb1ESQ_SR_ST_SU_SY_EESZ_S10_S11_S12_S16_S17_S18_S1B_S1C_jS1D_jS1E_S1E_jjS1G_bEUljE0_EEESZ_S10_S11_S18_S1C_S1E_T6_T7_T9_mT8_S1G_bDpT10_ENKUlT_T0_E_clISt17integral_constantIbLb1EES1U_EEDaS1P_S1Q_EUlS1P_E_NS1_11comp_targetILNS1_3genE8ELNS1_11target_archE1030ELNS1_3gpuE2ELNS1_3repE0EEENS1_30default_config_static_selectorELNS0_4arch9wavefront6targetE1EEEvS12_,"axG",@progbits,_ZN7rocprim17ROCPRIM_400000_NS6detail17trampoline_kernelINS0_13select_configILj256ELj13ELNS0_17block_load_methodE3ELS4_3ELS4_3ELNS0_20block_scan_algorithmE0ELj4294967295EEENS1_25partition_config_selectorILNS1_17partition_subalgoE4EjNS0_10empty_typeEbEEZZNS1_14partition_implILS8_4ELb0ES6_15HIP_vector_typeIjLj2EENS0_17counting_iteratorIjlEEPS9_SG_NS0_5tupleIJPjSI_NS0_16reverse_iteratorISI_EEEEENSH_IJSG_SG_SG_EEES9_SI_JZNS1_25segmented_radix_sort_implINS0_14default_configELb1EPKhPhPKlPlN2at6native12_GLOBAL__N_18offset_tEEE10hipError_tPvRmT1_PNSt15iterator_traitsIS12_E10value_typeET2_T3_PNS13_IS18_E10value_typeET4_jRbjT5_S1E_jjP12ihipStream_tbEUljE_ZNSN_ISO_Lb1ESQ_SR_ST_SU_SY_EESZ_S10_S11_S12_S16_S17_S18_S1B_S1C_jS1D_jS1E_S1E_jjS1G_bEUljE0_EEESZ_S10_S11_S18_S1C_S1E_T6_T7_T9_mT8_S1G_bDpT10_ENKUlT_T0_E_clISt17integral_constantIbLb1EES1U_EEDaS1P_S1Q_EUlS1P_E_NS1_11comp_targetILNS1_3genE8ELNS1_11target_archE1030ELNS1_3gpuE2ELNS1_3repE0EEENS1_30default_config_static_selectorELNS0_4arch9wavefront6targetE1EEEvS12_,comdat
	.globl	_ZN7rocprim17ROCPRIM_400000_NS6detail17trampoline_kernelINS0_13select_configILj256ELj13ELNS0_17block_load_methodE3ELS4_3ELS4_3ELNS0_20block_scan_algorithmE0ELj4294967295EEENS1_25partition_config_selectorILNS1_17partition_subalgoE4EjNS0_10empty_typeEbEEZZNS1_14partition_implILS8_4ELb0ES6_15HIP_vector_typeIjLj2EENS0_17counting_iteratorIjlEEPS9_SG_NS0_5tupleIJPjSI_NS0_16reverse_iteratorISI_EEEEENSH_IJSG_SG_SG_EEES9_SI_JZNS1_25segmented_radix_sort_implINS0_14default_configELb1EPKhPhPKlPlN2at6native12_GLOBAL__N_18offset_tEEE10hipError_tPvRmT1_PNSt15iterator_traitsIS12_E10value_typeET2_T3_PNS13_IS18_E10value_typeET4_jRbjT5_S1E_jjP12ihipStream_tbEUljE_ZNSN_ISO_Lb1ESQ_SR_ST_SU_SY_EESZ_S10_S11_S12_S16_S17_S18_S1B_S1C_jS1D_jS1E_S1E_jjS1G_bEUljE0_EEESZ_S10_S11_S18_S1C_S1E_T6_T7_T9_mT8_S1G_bDpT10_ENKUlT_T0_E_clISt17integral_constantIbLb1EES1U_EEDaS1P_S1Q_EUlS1P_E_NS1_11comp_targetILNS1_3genE8ELNS1_11target_archE1030ELNS1_3gpuE2ELNS1_3repE0EEENS1_30default_config_static_selectorELNS0_4arch9wavefront6targetE1EEEvS12_ ; -- Begin function _ZN7rocprim17ROCPRIM_400000_NS6detail17trampoline_kernelINS0_13select_configILj256ELj13ELNS0_17block_load_methodE3ELS4_3ELS4_3ELNS0_20block_scan_algorithmE0ELj4294967295EEENS1_25partition_config_selectorILNS1_17partition_subalgoE4EjNS0_10empty_typeEbEEZZNS1_14partition_implILS8_4ELb0ES6_15HIP_vector_typeIjLj2EENS0_17counting_iteratorIjlEEPS9_SG_NS0_5tupleIJPjSI_NS0_16reverse_iteratorISI_EEEEENSH_IJSG_SG_SG_EEES9_SI_JZNS1_25segmented_radix_sort_implINS0_14default_configELb1EPKhPhPKlPlN2at6native12_GLOBAL__N_18offset_tEEE10hipError_tPvRmT1_PNSt15iterator_traitsIS12_E10value_typeET2_T3_PNS13_IS18_E10value_typeET4_jRbjT5_S1E_jjP12ihipStream_tbEUljE_ZNSN_ISO_Lb1ESQ_SR_ST_SU_SY_EESZ_S10_S11_S12_S16_S17_S18_S1B_S1C_jS1D_jS1E_S1E_jjS1G_bEUljE0_EEESZ_S10_S11_S18_S1C_S1E_T6_T7_T9_mT8_S1G_bDpT10_ENKUlT_T0_E_clISt17integral_constantIbLb1EES1U_EEDaS1P_S1Q_EUlS1P_E_NS1_11comp_targetILNS1_3genE8ELNS1_11target_archE1030ELNS1_3gpuE2ELNS1_3repE0EEENS1_30default_config_static_selectorELNS0_4arch9wavefront6targetE1EEEvS12_
	.p2align	8
	.type	_ZN7rocprim17ROCPRIM_400000_NS6detail17trampoline_kernelINS0_13select_configILj256ELj13ELNS0_17block_load_methodE3ELS4_3ELS4_3ELNS0_20block_scan_algorithmE0ELj4294967295EEENS1_25partition_config_selectorILNS1_17partition_subalgoE4EjNS0_10empty_typeEbEEZZNS1_14partition_implILS8_4ELb0ES6_15HIP_vector_typeIjLj2EENS0_17counting_iteratorIjlEEPS9_SG_NS0_5tupleIJPjSI_NS0_16reverse_iteratorISI_EEEEENSH_IJSG_SG_SG_EEES9_SI_JZNS1_25segmented_radix_sort_implINS0_14default_configELb1EPKhPhPKlPlN2at6native12_GLOBAL__N_18offset_tEEE10hipError_tPvRmT1_PNSt15iterator_traitsIS12_E10value_typeET2_T3_PNS13_IS18_E10value_typeET4_jRbjT5_S1E_jjP12ihipStream_tbEUljE_ZNSN_ISO_Lb1ESQ_SR_ST_SU_SY_EESZ_S10_S11_S12_S16_S17_S18_S1B_S1C_jS1D_jS1E_S1E_jjS1G_bEUljE0_EEESZ_S10_S11_S18_S1C_S1E_T6_T7_T9_mT8_S1G_bDpT10_ENKUlT_T0_E_clISt17integral_constantIbLb1EES1U_EEDaS1P_S1Q_EUlS1P_E_NS1_11comp_targetILNS1_3genE8ELNS1_11target_archE1030ELNS1_3gpuE2ELNS1_3repE0EEENS1_30default_config_static_selectorELNS0_4arch9wavefront6targetE1EEEvS12_,@function
_ZN7rocprim17ROCPRIM_400000_NS6detail17trampoline_kernelINS0_13select_configILj256ELj13ELNS0_17block_load_methodE3ELS4_3ELS4_3ELNS0_20block_scan_algorithmE0ELj4294967295EEENS1_25partition_config_selectorILNS1_17partition_subalgoE4EjNS0_10empty_typeEbEEZZNS1_14partition_implILS8_4ELb0ES6_15HIP_vector_typeIjLj2EENS0_17counting_iteratorIjlEEPS9_SG_NS0_5tupleIJPjSI_NS0_16reverse_iteratorISI_EEEEENSH_IJSG_SG_SG_EEES9_SI_JZNS1_25segmented_radix_sort_implINS0_14default_configELb1EPKhPhPKlPlN2at6native12_GLOBAL__N_18offset_tEEE10hipError_tPvRmT1_PNSt15iterator_traitsIS12_E10value_typeET2_T3_PNS13_IS18_E10value_typeET4_jRbjT5_S1E_jjP12ihipStream_tbEUljE_ZNSN_ISO_Lb1ESQ_SR_ST_SU_SY_EESZ_S10_S11_S12_S16_S17_S18_S1B_S1C_jS1D_jS1E_S1E_jjS1G_bEUljE0_EEESZ_S10_S11_S18_S1C_S1E_T6_T7_T9_mT8_S1G_bDpT10_ENKUlT_T0_E_clISt17integral_constantIbLb1EES1U_EEDaS1P_S1Q_EUlS1P_E_NS1_11comp_targetILNS1_3genE8ELNS1_11target_archE1030ELNS1_3gpuE2ELNS1_3repE0EEENS1_30default_config_static_selectorELNS0_4arch9wavefront6targetE1EEEvS12_: ; @_ZN7rocprim17ROCPRIM_400000_NS6detail17trampoline_kernelINS0_13select_configILj256ELj13ELNS0_17block_load_methodE3ELS4_3ELS4_3ELNS0_20block_scan_algorithmE0ELj4294967295EEENS1_25partition_config_selectorILNS1_17partition_subalgoE4EjNS0_10empty_typeEbEEZZNS1_14partition_implILS8_4ELb0ES6_15HIP_vector_typeIjLj2EENS0_17counting_iteratorIjlEEPS9_SG_NS0_5tupleIJPjSI_NS0_16reverse_iteratorISI_EEEEENSH_IJSG_SG_SG_EEES9_SI_JZNS1_25segmented_radix_sort_implINS0_14default_configELb1EPKhPhPKlPlN2at6native12_GLOBAL__N_18offset_tEEE10hipError_tPvRmT1_PNSt15iterator_traitsIS12_E10value_typeET2_T3_PNS13_IS18_E10value_typeET4_jRbjT5_S1E_jjP12ihipStream_tbEUljE_ZNSN_ISO_Lb1ESQ_SR_ST_SU_SY_EESZ_S10_S11_S12_S16_S17_S18_S1B_S1C_jS1D_jS1E_S1E_jjS1G_bEUljE0_EEESZ_S10_S11_S18_S1C_S1E_T6_T7_T9_mT8_S1G_bDpT10_ENKUlT_T0_E_clISt17integral_constantIbLb1EES1U_EEDaS1P_S1Q_EUlS1P_E_NS1_11comp_targetILNS1_3genE8ELNS1_11target_archE1030ELNS1_3gpuE2ELNS1_3repE0EEENS1_30default_config_static_selectorELNS0_4arch9wavefront6targetE1EEEvS12_
; %bb.0:
	.section	.rodata,"a",@progbits
	.p2align	6, 0x0
	.amdhsa_kernel _ZN7rocprim17ROCPRIM_400000_NS6detail17trampoline_kernelINS0_13select_configILj256ELj13ELNS0_17block_load_methodE3ELS4_3ELS4_3ELNS0_20block_scan_algorithmE0ELj4294967295EEENS1_25partition_config_selectorILNS1_17partition_subalgoE4EjNS0_10empty_typeEbEEZZNS1_14partition_implILS8_4ELb0ES6_15HIP_vector_typeIjLj2EENS0_17counting_iteratorIjlEEPS9_SG_NS0_5tupleIJPjSI_NS0_16reverse_iteratorISI_EEEEENSH_IJSG_SG_SG_EEES9_SI_JZNS1_25segmented_radix_sort_implINS0_14default_configELb1EPKhPhPKlPlN2at6native12_GLOBAL__N_18offset_tEEE10hipError_tPvRmT1_PNSt15iterator_traitsIS12_E10value_typeET2_T3_PNS13_IS18_E10value_typeET4_jRbjT5_S1E_jjP12ihipStream_tbEUljE_ZNSN_ISO_Lb1ESQ_SR_ST_SU_SY_EESZ_S10_S11_S12_S16_S17_S18_S1B_S1C_jS1D_jS1E_S1E_jjS1G_bEUljE0_EEESZ_S10_S11_S18_S1C_S1E_T6_T7_T9_mT8_S1G_bDpT10_ENKUlT_T0_E_clISt17integral_constantIbLb1EES1U_EEDaS1P_S1Q_EUlS1P_E_NS1_11comp_targetILNS1_3genE8ELNS1_11target_archE1030ELNS1_3gpuE2ELNS1_3repE0EEENS1_30default_config_static_selectorELNS0_4arch9wavefront6targetE1EEEvS12_
		.amdhsa_group_segment_fixed_size 0
		.amdhsa_private_segment_fixed_size 0
		.amdhsa_kernarg_size 184
		.amdhsa_user_sgpr_count 6
		.amdhsa_user_sgpr_private_segment_buffer 1
		.amdhsa_user_sgpr_dispatch_ptr 0
		.amdhsa_user_sgpr_queue_ptr 0
		.amdhsa_user_sgpr_kernarg_segment_ptr 1
		.amdhsa_user_sgpr_dispatch_id 0
		.amdhsa_user_sgpr_flat_scratch_init 0
		.amdhsa_user_sgpr_private_segment_size 0
		.amdhsa_uses_dynamic_stack 0
		.amdhsa_system_sgpr_private_segment_wavefront_offset 0
		.amdhsa_system_sgpr_workgroup_id_x 1
		.amdhsa_system_sgpr_workgroup_id_y 0
		.amdhsa_system_sgpr_workgroup_id_z 0
		.amdhsa_system_sgpr_workgroup_info 0
		.amdhsa_system_vgpr_workitem_id 0
		.amdhsa_next_free_vgpr 1
		.amdhsa_next_free_sgpr 0
		.amdhsa_reserve_vcc 0
		.amdhsa_reserve_flat_scratch 0
		.amdhsa_float_round_mode_32 0
		.amdhsa_float_round_mode_16_64 0
		.amdhsa_float_denorm_mode_32 3
		.amdhsa_float_denorm_mode_16_64 3
		.amdhsa_dx10_clamp 1
		.amdhsa_ieee_mode 1
		.amdhsa_fp16_overflow 0
		.amdhsa_exception_fp_ieee_invalid_op 0
		.amdhsa_exception_fp_denorm_src 0
		.amdhsa_exception_fp_ieee_div_zero 0
		.amdhsa_exception_fp_ieee_overflow 0
		.amdhsa_exception_fp_ieee_underflow 0
		.amdhsa_exception_fp_ieee_inexact 0
		.amdhsa_exception_int_div_zero 0
	.end_amdhsa_kernel
	.section	.text._ZN7rocprim17ROCPRIM_400000_NS6detail17trampoline_kernelINS0_13select_configILj256ELj13ELNS0_17block_load_methodE3ELS4_3ELS4_3ELNS0_20block_scan_algorithmE0ELj4294967295EEENS1_25partition_config_selectorILNS1_17partition_subalgoE4EjNS0_10empty_typeEbEEZZNS1_14partition_implILS8_4ELb0ES6_15HIP_vector_typeIjLj2EENS0_17counting_iteratorIjlEEPS9_SG_NS0_5tupleIJPjSI_NS0_16reverse_iteratorISI_EEEEENSH_IJSG_SG_SG_EEES9_SI_JZNS1_25segmented_radix_sort_implINS0_14default_configELb1EPKhPhPKlPlN2at6native12_GLOBAL__N_18offset_tEEE10hipError_tPvRmT1_PNSt15iterator_traitsIS12_E10value_typeET2_T3_PNS13_IS18_E10value_typeET4_jRbjT5_S1E_jjP12ihipStream_tbEUljE_ZNSN_ISO_Lb1ESQ_SR_ST_SU_SY_EESZ_S10_S11_S12_S16_S17_S18_S1B_S1C_jS1D_jS1E_S1E_jjS1G_bEUljE0_EEESZ_S10_S11_S18_S1C_S1E_T6_T7_T9_mT8_S1G_bDpT10_ENKUlT_T0_E_clISt17integral_constantIbLb1EES1U_EEDaS1P_S1Q_EUlS1P_E_NS1_11comp_targetILNS1_3genE8ELNS1_11target_archE1030ELNS1_3gpuE2ELNS1_3repE0EEENS1_30default_config_static_selectorELNS0_4arch9wavefront6targetE1EEEvS12_,"axG",@progbits,_ZN7rocprim17ROCPRIM_400000_NS6detail17trampoline_kernelINS0_13select_configILj256ELj13ELNS0_17block_load_methodE3ELS4_3ELS4_3ELNS0_20block_scan_algorithmE0ELj4294967295EEENS1_25partition_config_selectorILNS1_17partition_subalgoE4EjNS0_10empty_typeEbEEZZNS1_14partition_implILS8_4ELb0ES6_15HIP_vector_typeIjLj2EENS0_17counting_iteratorIjlEEPS9_SG_NS0_5tupleIJPjSI_NS0_16reverse_iteratorISI_EEEEENSH_IJSG_SG_SG_EEES9_SI_JZNS1_25segmented_radix_sort_implINS0_14default_configELb1EPKhPhPKlPlN2at6native12_GLOBAL__N_18offset_tEEE10hipError_tPvRmT1_PNSt15iterator_traitsIS12_E10value_typeET2_T3_PNS13_IS18_E10value_typeET4_jRbjT5_S1E_jjP12ihipStream_tbEUljE_ZNSN_ISO_Lb1ESQ_SR_ST_SU_SY_EESZ_S10_S11_S12_S16_S17_S18_S1B_S1C_jS1D_jS1E_S1E_jjS1G_bEUljE0_EEESZ_S10_S11_S18_S1C_S1E_T6_T7_T9_mT8_S1G_bDpT10_ENKUlT_T0_E_clISt17integral_constantIbLb1EES1U_EEDaS1P_S1Q_EUlS1P_E_NS1_11comp_targetILNS1_3genE8ELNS1_11target_archE1030ELNS1_3gpuE2ELNS1_3repE0EEENS1_30default_config_static_selectorELNS0_4arch9wavefront6targetE1EEEvS12_,comdat
.Lfunc_end28:
	.size	_ZN7rocprim17ROCPRIM_400000_NS6detail17trampoline_kernelINS0_13select_configILj256ELj13ELNS0_17block_load_methodE3ELS4_3ELS4_3ELNS0_20block_scan_algorithmE0ELj4294967295EEENS1_25partition_config_selectorILNS1_17partition_subalgoE4EjNS0_10empty_typeEbEEZZNS1_14partition_implILS8_4ELb0ES6_15HIP_vector_typeIjLj2EENS0_17counting_iteratorIjlEEPS9_SG_NS0_5tupleIJPjSI_NS0_16reverse_iteratorISI_EEEEENSH_IJSG_SG_SG_EEES9_SI_JZNS1_25segmented_radix_sort_implINS0_14default_configELb1EPKhPhPKlPlN2at6native12_GLOBAL__N_18offset_tEEE10hipError_tPvRmT1_PNSt15iterator_traitsIS12_E10value_typeET2_T3_PNS13_IS18_E10value_typeET4_jRbjT5_S1E_jjP12ihipStream_tbEUljE_ZNSN_ISO_Lb1ESQ_SR_ST_SU_SY_EESZ_S10_S11_S12_S16_S17_S18_S1B_S1C_jS1D_jS1E_S1E_jjS1G_bEUljE0_EEESZ_S10_S11_S18_S1C_S1E_T6_T7_T9_mT8_S1G_bDpT10_ENKUlT_T0_E_clISt17integral_constantIbLb1EES1U_EEDaS1P_S1Q_EUlS1P_E_NS1_11comp_targetILNS1_3genE8ELNS1_11target_archE1030ELNS1_3gpuE2ELNS1_3repE0EEENS1_30default_config_static_selectorELNS0_4arch9wavefront6targetE1EEEvS12_, .Lfunc_end28-_ZN7rocprim17ROCPRIM_400000_NS6detail17trampoline_kernelINS0_13select_configILj256ELj13ELNS0_17block_load_methodE3ELS4_3ELS4_3ELNS0_20block_scan_algorithmE0ELj4294967295EEENS1_25partition_config_selectorILNS1_17partition_subalgoE4EjNS0_10empty_typeEbEEZZNS1_14partition_implILS8_4ELb0ES6_15HIP_vector_typeIjLj2EENS0_17counting_iteratorIjlEEPS9_SG_NS0_5tupleIJPjSI_NS0_16reverse_iteratorISI_EEEEENSH_IJSG_SG_SG_EEES9_SI_JZNS1_25segmented_radix_sort_implINS0_14default_configELb1EPKhPhPKlPlN2at6native12_GLOBAL__N_18offset_tEEE10hipError_tPvRmT1_PNSt15iterator_traitsIS12_E10value_typeET2_T3_PNS13_IS18_E10value_typeET4_jRbjT5_S1E_jjP12ihipStream_tbEUljE_ZNSN_ISO_Lb1ESQ_SR_ST_SU_SY_EESZ_S10_S11_S12_S16_S17_S18_S1B_S1C_jS1D_jS1E_S1E_jjS1G_bEUljE0_EEESZ_S10_S11_S18_S1C_S1E_T6_T7_T9_mT8_S1G_bDpT10_ENKUlT_T0_E_clISt17integral_constantIbLb1EES1U_EEDaS1P_S1Q_EUlS1P_E_NS1_11comp_targetILNS1_3genE8ELNS1_11target_archE1030ELNS1_3gpuE2ELNS1_3repE0EEENS1_30default_config_static_selectorELNS0_4arch9wavefront6targetE1EEEvS12_
                                        ; -- End function
	.set _ZN7rocprim17ROCPRIM_400000_NS6detail17trampoline_kernelINS0_13select_configILj256ELj13ELNS0_17block_load_methodE3ELS4_3ELS4_3ELNS0_20block_scan_algorithmE0ELj4294967295EEENS1_25partition_config_selectorILNS1_17partition_subalgoE4EjNS0_10empty_typeEbEEZZNS1_14partition_implILS8_4ELb0ES6_15HIP_vector_typeIjLj2EENS0_17counting_iteratorIjlEEPS9_SG_NS0_5tupleIJPjSI_NS0_16reverse_iteratorISI_EEEEENSH_IJSG_SG_SG_EEES9_SI_JZNS1_25segmented_radix_sort_implINS0_14default_configELb1EPKhPhPKlPlN2at6native12_GLOBAL__N_18offset_tEEE10hipError_tPvRmT1_PNSt15iterator_traitsIS12_E10value_typeET2_T3_PNS13_IS18_E10value_typeET4_jRbjT5_S1E_jjP12ihipStream_tbEUljE_ZNSN_ISO_Lb1ESQ_SR_ST_SU_SY_EESZ_S10_S11_S12_S16_S17_S18_S1B_S1C_jS1D_jS1E_S1E_jjS1G_bEUljE0_EEESZ_S10_S11_S18_S1C_S1E_T6_T7_T9_mT8_S1G_bDpT10_ENKUlT_T0_E_clISt17integral_constantIbLb1EES1U_EEDaS1P_S1Q_EUlS1P_E_NS1_11comp_targetILNS1_3genE8ELNS1_11target_archE1030ELNS1_3gpuE2ELNS1_3repE0EEENS1_30default_config_static_selectorELNS0_4arch9wavefront6targetE1EEEvS12_.num_vgpr, 0
	.set _ZN7rocprim17ROCPRIM_400000_NS6detail17trampoline_kernelINS0_13select_configILj256ELj13ELNS0_17block_load_methodE3ELS4_3ELS4_3ELNS0_20block_scan_algorithmE0ELj4294967295EEENS1_25partition_config_selectorILNS1_17partition_subalgoE4EjNS0_10empty_typeEbEEZZNS1_14partition_implILS8_4ELb0ES6_15HIP_vector_typeIjLj2EENS0_17counting_iteratorIjlEEPS9_SG_NS0_5tupleIJPjSI_NS0_16reverse_iteratorISI_EEEEENSH_IJSG_SG_SG_EEES9_SI_JZNS1_25segmented_radix_sort_implINS0_14default_configELb1EPKhPhPKlPlN2at6native12_GLOBAL__N_18offset_tEEE10hipError_tPvRmT1_PNSt15iterator_traitsIS12_E10value_typeET2_T3_PNS13_IS18_E10value_typeET4_jRbjT5_S1E_jjP12ihipStream_tbEUljE_ZNSN_ISO_Lb1ESQ_SR_ST_SU_SY_EESZ_S10_S11_S12_S16_S17_S18_S1B_S1C_jS1D_jS1E_S1E_jjS1G_bEUljE0_EEESZ_S10_S11_S18_S1C_S1E_T6_T7_T9_mT8_S1G_bDpT10_ENKUlT_T0_E_clISt17integral_constantIbLb1EES1U_EEDaS1P_S1Q_EUlS1P_E_NS1_11comp_targetILNS1_3genE8ELNS1_11target_archE1030ELNS1_3gpuE2ELNS1_3repE0EEENS1_30default_config_static_selectorELNS0_4arch9wavefront6targetE1EEEvS12_.num_agpr, 0
	.set _ZN7rocprim17ROCPRIM_400000_NS6detail17trampoline_kernelINS0_13select_configILj256ELj13ELNS0_17block_load_methodE3ELS4_3ELS4_3ELNS0_20block_scan_algorithmE0ELj4294967295EEENS1_25partition_config_selectorILNS1_17partition_subalgoE4EjNS0_10empty_typeEbEEZZNS1_14partition_implILS8_4ELb0ES6_15HIP_vector_typeIjLj2EENS0_17counting_iteratorIjlEEPS9_SG_NS0_5tupleIJPjSI_NS0_16reverse_iteratorISI_EEEEENSH_IJSG_SG_SG_EEES9_SI_JZNS1_25segmented_radix_sort_implINS0_14default_configELb1EPKhPhPKlPlN2at6native12_GLOBAL__N_18offset_tEEE10hipError_tPvRmT1_PNSt15iterator_traitsIS12_E10value_typeET2_T3_PNS13_IS18_E10value_typeET4_jRbjT5_S1E_jjP12ihipStream_tbEUljE_ZNSN_ISO_Lb1ESQ_SR_ST_SU_SY_EESZ_S10_S11_S12_S16_S17_S18_S1B_S1C_jS1D_jS1E_S1E_jjS1G_bEUljE0_EEESZ_S10_S11_S18_S1C_S1E_T6_T7_T9_mT8_S1G_bDpT10_ENKUlT_T0_E_clISt17integral_constantIbLb1EES1U_EEDaS1P_S1Q_EUlS1P_E_NS1_11comp_targetILNS1_3genE8ELNS1_11target_archE1030ELNS1_3gpuE2ELNS1_3repE0EEENS1_30default_config_static_selectorELNS0_4arch9wavefront6targetE1EEEvS12_.numbered_sgpr, 0
	.set _ZN7rocprim17ROCPRIM_400000_NS6detail17trampoline_kernelINS0_13select_configILj256ELj13ELNS0_17block_load_methodE3ELS4_3ELS4_3ELNS0_20block_scan_algorithmE0ELj4294967295EEENS1_25partition_config_selectorILNS1_17partition_subalgoE4EjNS0_10empty_typeEbEEZZNS1_14partition_implILS8_4ELb0ES6_15HIP_vector_typeIjLj2EENS0_17counting_iteratorIjlEEPS9_SG_NS0_5tupleIJPjSI_NS0_16reverse_iteratorISI_EEEEENSH_IJSG_SG_SG_EEES9_SI_JZNS1_25segmented_radix_sort_implINS0_14default_configELb1EPKhPhPKlPlN2at6native12_GLOBAL__N_18offset_tEEE10hipError_tPvRmT1_PNSt15iterator_traitsIS12_E10value_typeET2_T3_PNS13_IS18_E10value_typeET4_jRbjT5_S1E_jjP12ihipStream_tbEUljE_ZNSN_ISO_Lb1ESQ_SR_ST_SU_SY_EESZ_S10_S11_S12_S16_S17_S18_S1B_S1C_jS1D_jS1E_S1E_jjS1G_bEUljE0_EEESZ_S10_S11_S18_S1C_S1E_T6_T7_T9_mT8_S1G_bDpT10_ENKUlT_T0_E_clISt17integral_constantIbLb1EES1U_EEDaS1P_S1Q_EUlS1P_E_NS1_11comp_targetILNS1_3genE8ELNS1_11target_archE1030ELNS1_3gpuE2ELNS1_3repE0EEENS1_30default_config_static_selectorELNS0_4arch9wavefront6targetE1EEEvS12_.num_named_barrier, 0
	.set _ZN7rocprim17ROCPRIM_400000_NS6detail17trampoline_kernelINS0_13select_configILj256ELj13ELNS0_17block_load_methodE3ELS4_3ELS4_3ELNS0_20block_scan_algorithmE0ELj4294967295EEENS1_25partition_config_selectorILNS1_17partition_subalgoE4EjNS0_10empty_typeEbEEZZNS1_14partition_implILS8_4ELb0ES6_15HIP_vector_typeIjLj2EENS0_17counting_iteratorIjlEEPS9_SG_NS0_5tupleIJPjSI_NS0_16reverse_iteratorISI_EEEEENSH_IJSG_SG_SG_EEES9_SI_JZNS1_25segmented_radix_sort_implINS0_14default_configELb1EPKhPhPKlPlN2at6native12_GLOBAL__N_18offset_tEEE10hipError_tPvRmT1_PNSt15iterator_traitsIS12_E10value_typeET2_T3_PNS13_IS18_E10value_typeET4_jRbjT5_S1E_jjP12ihipStream_tbEUljE_ZNSN_ISO_Lb1ESQ_SR_ST_SU_SY_EESZ_S10_S11_S12_S16_S17_S18_S1B_S1C_jS1D_jS1E_S1E_jjS1G_bEUljE0_EEESZ_S10_S11_S18_S1C_S1E_T6_T7_T9_mT8_S1G_bDpT10_ENKUlT_T0_E_clISt17integral_constantIbLb1EES1U_EEDaS1P_S1Q_EUlS1P_E_NS1_11comp_targetILNS1_3genE8ELNS1_11target_archE1030ELNS1_3gpuE2ELNS1_3repE0EEENS1_30default_config_static_selectorELNS0_4arch9wavefront6targetE1EEEvS12_.private_seg_size, 0
	.set _ZN7rocprim17ROCPRIM_400000_NS6detail17trampoline_kernelINS0_13select_configILj256ELj13ELNS0_17block_load_methodE3ELS4_3ELS4_3ELNS0_20block_scan_algorithmE0ELj4294967295EEENS1_25partition_config_selectorILNS1_17partition_subalgoE4EjNS0_10empty_typeEbEEZZNS1_14partition_implILS8_4ELb0ES6_15HIP_vector_typeIjLj2EENS0_17counting_iteratorIjlEEPS9_SG_NS0_5tupleIJPjSI_NS0_16reverse_iteratorISI_EEEEENSH_IJSG_SG_SG_EEES9_SI_JZNS1_25segmented_radix_sort_implINS0_14default_configELb1EPKhPhPKlPlN2at6native12_GLOBAL__N_18offset_tEEE10hipError_tPvRmT1_PNSt15iterator_traitsIS12_E10value_typeET2_T3_PNS13_IS18_E10value_typeET4_jRbjT5_S1E_jjP12ihipStream_tbEUljE_ZNSN_ISO_Lb1ESQ_SR_ST_SU_SY_EESZ_S10_S11_S12_S16_S17_S18_S1B_S1C_jS1D_jS1E_S1E_jjS1G_bEUljE0_EEESZ_S10_S11_S18_S1C_S1E_T6_T7_T9_mT8_S1G_bDpT10_ENKUlT_T0_E_clISt17integral_constantIbLb1EES1U_EEDaS1P_S1Q_EUlS1P_E_NS1_11comp_targetILNS1_3genE8ELNS1_11target_archE1030ELNS1_3gpuE2ELNS1_3repE0EEENS1_30default_config_static_selectorELNS0_4arch9wavefront6targetE1EEEvS12_.uses_vcc, 0
	.set _ZN7rocprim17ROCPRIM_400000_NS6detail17trampoline_kernelINS0_13select_configILj256ELj13ELNS0_17block_load_methodE3ELS4_3ELS4_3ELNS0_20block_scan_algorithmE0ELj4294967295EEENS1_25partition_config_selectorILNS1_17partition_subalgoE4EjNS0_10empty_typeEbEEZZNS1_14partition_implILS8_4ELb0ES6_15HIP_vector_typeIjLj2EENS0_17counting_iteratorIjlEEPS9_SG_NS0_5tupleIJPjSI_NS0_16reverse_iteratorISI_EEEEENSH_IJSG_SG_SG_EEES9_SI_JZNS1_25segmented_radix_sort_implINS0_14default_configELb1EPKhPhPKlPlN2at6native12_GLOBAL__N_18offset_tEEE10hipError_tPvRmT1_PNSt15iterator_traitsIS12_E10value_typeET2_T3_PNS13_IS18_E10value_typeET4_jRbjT5_S1E_jjP12ihipStream_tbEUljE_ZNSN_ISO_Lb1ESQ_SR_ST_SU_SY_EESZ_S10_S11_S12_S16_S17_S18_S1B_S1C_jS1D_jS1E_S1E_jjS1G_bEUljE0_EEESZ_S10_S11_S18_S1C_S1E_T6_T7_T9_mT8_S1G_bDpT10_ENKUlT_T0_E_clISt17integral_constantIbLb1EES1U_EEDaS1P_S1Q_EUlS1P_E_NS1_11comp_targetILNS1_3genE8ELNS1_11target_archE1030ELNS1_3gpuE2ELNS1_3repE0EEENS1_30default_config_static_selectorELNS0_4arch9wavefront6targetE1EEEvS12_.uses_flat_scratch, 0
	.set _ZN7rocprim17ROCPRIM_400000_NS6detail17trampoline_kernelINS0_13select_configILj256ELj13ELNS0_17block_load_methodE3ELS4_3ELS4_3ELNS0_20block_scan_algorithmE0ELj4294967295EEENS1_25partition_config_selectorILNS1_17partition_subalgoE4EjNS0_10empty_typeEbEEZZNS1_14partition_implILS8_4ELb0ES6_15HIP_vector_typeIjLj2EENS0_17counting_iteratorIjlEEPS9_SG_NS0_5tupleIJPjSI_NS0_16reverse_iteratorISI_EEEEENSH_IJSG_SG_SG_EEES9_SI_JZNS1_25segmented_radix_sort_implINS0_14default_configELb1EPKhPhPKlPlN2at6native12_GLOBAL__N_18offset_tEEE10hipError_tPvRmT1_PNSt15iterator_traitsIS12_E10value_typeET2_T3_PNS13_IS18_E10value_typeET4_jRbjT5_S1E_jjP12ihipStream_tbEUljE_ZNSN_ISO_Lb1ESQ_SR_ST_SU_SY_EESZ_S10_S11_S12_S16_S17_S18_S1B_S1C_jS1D_jS1E_S1E_jjS1G_bEUljE0_EEESZ_S10_S11_S18_S1C_S1E_T6_T7_T9_mT8_S1G_bDpT10_ENKUlT_T0_E_clISt17integral_constantIbLb1EES1U_EEDaS1P_S1Q_EUlS1P_E_NS1_11comp_targetILNS1_3genE8ELNS1_11target_archE1030ELNS1_3gpuE2ELNS1_3repE0EEENS1_30default_config_static_selectorELNS0_4arch9wavefront6targetE1EEEvS12_.has_dyn_sized_stack, 0
	.set _ZN7rocprim17ROCPRIM_400000_NS6detail17trampoline_kernelINS0_13select_configILj256ELj13ELNS0_17block_load_methodE3ELS4_3ELS4_3ELNS0_20block_scan_algorithmE0ELj4294967295EEENS1_25partition_config_selectorILNS1_17partition_subalgoE4EjNS0_10empty_typeEbEEZZNS1_14partition_implILS8_4ELb0ES6_15HIP_vector_typeIjLj2EENS0_17counting_iteratorIjlEEPS9_SG_NS0_5tupleIJPjSI_NS0_16reverse_iteratorISI_EEEEENSH_IJSG_SG_SG_EEES9_SI_JZNS1_25segmented_radix_sort_implINS0_14default_configELb1EPKhPhPKlPlN2at6native12_GLOBAL__N_18offset_tEEE10hipError_tPvRmT1_PNSt15iterator_traitsIS12_E10value_typeET2_T3_PNS13_IS18_E10value_typeET4_jRbjT5_S1E_jjP12ihipStream_tbEUljE_ZNSN_ISO_Lb1ESQ_SR_ST_SU_SY_EESZ_S10_S11_S12_S16_S17_S18_S1B_S1C_jS1D_jS1E_S1E_jjS1G_bEUljE0_EEESZ_S10_S11_S18_S1C_S1E_T6_T7_T9_mT8_S1G_bDpT10_ENKUlT_T0_E_clISt17integral_constantIbLb1EES1U_EEDaS1P_S1Q_EUlS1P_E_NS1_11comp_targetILNS1_3genE8ELNS1_11target_archE1030ELNS1_3gpuE2ELNS1_3repE0EEENS1_30default_config_static_selectorELNS0_4arch9wavefront6targetE1EEEvS12_.has_recursion, 0
	.set _ZN7rocprim17ROCPRIM_400000_NS6detail17trampoline_kernelINS0_13select_configILj256ELj13ELNS0_17block_load_methodE3ELS4_3ELS4_3ELNS0_20block_scan_algorithmE0ELj4294967295EEENS1_25partition_config_selectorILNS1_17partition_subalgoE4EjNS0_10empty_typeEbEEZZNS1_14partition_implILS8_4ELb0ES6_15HIP_vector_typeIjLj2EENS0_17counting_iteratorIjlEEPS9_SG_NS0_5tupleIJPjSI_NS0_16reverse_iteratorISI_EEEEENSH_IJSG_SG_SG_EEES9_SI_JZNS1_25segmented_radix_sort_implINS0_14default_configELb1EPKhPhPKlPlN2at6native12_GLOBAL__N_18offset_tEEE10hipError_tPvRmT1_PNSt15iterator_traitsIS12_E10value_typeET2_T3_PNS13_IS18_E10value_typeET4_jRbjT5_S1E_jjP12ihipStream_tbEUljE_ZNSN_ISO_Lb1ESQ_SR_ST_SU_SY_EESZ_S10_S11_S12_S16_S17_S18_S1B_S1C_jS1D_jS1E_S1E_jjS1G_bEUljE0_EEESZ_S10_S11_S18_S1C_S1E_T6_T7_T9_mT8_S1G_bDpT10_ENKUlT_T0_E_clISt17integral_constantIbLb1EES1U_EEDaS1P_S1Q_EUlS1P_E_NS1_11comp_targetILNS1_3genE8ELNS1_11target_archE1030ELNS1_3gpuE2ELNS1_3repE0EEENS1_30default_config_static_selectorELNS0_4arch9wavefront6targetE1EEEvS12_.has_indirect_call, 0
	.section	.AMDGPU.csdata,"",@progbits
; Kernel info:
; codeLenInByte = 0
; TotalNumSgprs: 4
; NumVgprs: 0
; ScratchSize: 0
; MemoryBound: 0
; FloatMode: 240
; IeeeMode: 1
; LDSByteSize: 0 bytes/workgroup (compile time only)
; SGPRBlocks: 0
; VGPRBlocks: 0
; NumSGPRsForWavesPerEU: 4
; NumVGPRsForWavesPerEU: 1
; Occupancy: 10
; WaveLimiterHint : 0
; COMPUTE_PGM_RSRC2:SCRATCH_EN: 0
; COMPUTE_PGM_RSRC2:USER_SGPR: 6
; COMPUTE_PGM_RSRC2:TRAP_HANDLER: 0
; COMPUTE_PGM_RSRC2:TGID_X_EN: 1
; COMPUTE_PGM_RSRC2:TGID_Y_EN: 0
; COMPUTE_PGM_RSRC2:TGID_Z_EN: 0
; COMPUTE_PGM_RSRC2:TIDIG_COMP_CNT: 0
	.section	.text._ZN7rocprim17ROCPRIM_400000_NS6detail31init_lookback_scan_state_kernelINS1_19lookback_scan_stateI15HIP_vector_typeIjLj2EELb1ELb1EEENS1_16block_id_wrapperIjLb0EEEEEvT_jT0_jPNS9_10value_typeE,"axG",@progbits,_ZN7rocprim17ROCPRIM_400000_NS6detail31init_lookback_scan_state_kernelINS1_19lookback_scan_stateI15HIP_vector_typeIjLj2EELb1ELb1EEENS1_16block_id_wrapperIjLb0EEEEEvT_jT0_jPNS9_10value_typeE,comdat
	.protected	_ZN7rocprim17ROCPRIM_400000_NS6detail31init_lookback_scan_state_kernelINS1_19lookback_scan_stateI15HIP_vector_typeIjLj2EELb1ELb1EEENS1_16block_id_wrapperIjLb0EEEEEvT_jT0_jPNS9_10value_typeE ; -- Begin function _ZN7rocprim17ROCPRIM_400000_NS6detail31init_lookback_scan_state_kernelINS1_19lookback_scan_stateI15HIP_vector_typeIjLj2EELb1ELb1EEENS1_16block_id_wrapperIjLb0EEEEEvT_jT0_jPNS9_10value_typeE
	.globl	_ZN7rocprim17ROCPRIM_400000_NS6detail31init_lookback_scan_state_kernelINS1_19lookback_scan_stateI15HIP_vector_typeIjLj2EELb1ELb1EEENS1_16block_id_wrapperIjLb0EEEEEvT_jT0_jPNS9_10value_typeE
	.p2align	8
	.type	_ZN7rocprim17ROCPRIM_400000_NS6detail31init_lookback_scan_state_kernelINS1_19lookback_scan_stateI15HIP_vector_typeIjLj2EELb1ELb1EEENS1_16block_id_wrapperIjLb0EEEEEvT_jT0_jPNS9_10value_typeE,@function
_ZN7rocprim17ROCPRIM_400000_NS6detail31init_lookback_scan_state_kernelINS1_19lookback_scan_stateI15HIP_vector_typeIjLj2EELb1ELb1EEENS1_16block_id_wrapperIjLb0EEEEEvT_jT0_jPNS9_10value_typeE: ; @_ZN7rocprim17ROCPRIM_400000_NS6detail31init_lookback_scan_state_kernelINS1_19lookback_scan_stateI15HIP_vector_typeIjLj2EELb1ELb1EEENS1_16block_id_wrapperIjLb0EEEEEvT_jT0_jPNS9_10value_typeE
; %bb.0:
	s_load_dword s7, s[4:5], 0x2c
	s_load_dwordx2 s[2:3], s[4:5], 0x18
	s_load_dwordx2 s[0:1], s[4:5], 0x0
	s_load_dword s12, s[4:5], 0x8
	s_waitcnt lgkmcnt(0)
	s_and_b32 s7, s7, 0xffff
	s_mul_i32 s6, s6, s7
	s_cmp_eq_u64 s[2:3], 0
	v_add_u32_e32 v0, s6, v0
	s_cbranch_scc1 .LBB29_10
; %bb.1:
	s_load_dword s6, s[4:5], 0x10
	s_mov_b32 s7, 0
	s_waitcnt lgkmcnt(0)
	s_cmp_lt_u32 s6, s12
	s_cselect_b32 s4, s6, 0
	v_cmp_eq_u32_e32 vcc, s4, v0
	s_and_saveexec_b64 s[4:5], vcc
	s_cbranch_execz .LBB29_9
; %bb.2:
	s_add_i32 s6, s6, 64
	s_lshl_b64 s[6:7], s[6:7], 4
	s_add_u32 s10, s0, s6
	s_addc_u32 s11, s1, s7
	v_mov_b32_e32 v1, s10
	v_mov_b32_e32 v2, s11
	;;#ASMSTART
	global_load_dwordx4 v[1:4], v[1:2] off glc	
s_waitcnt vmcnt(0)
	;;#ASMEND
	v_and_b32_e32 v4, 0xff, v3
	v_mov_b32_e32 v5, 0
	v_cmp_eq_u64_e32 vcc, 0, v[4:5]
	s_mov_b64 s[8:9], 0
	s_and_saveexec_b64 s[6:7], vcc
	s_cbranch_execz .LBB29_8
; %bb.3:
	v_mov_b32_e32 v6, s10
	s_mov_b32 s13, 1
	v_mov_b32_e32 v7, s11
.LBB29_4:                               ; =>This Loop Header: Depth=1
                                        ;     Child Loop BB29_5 Depth 2
	s_mov_b32 s10, s13
.LBB29_5:                               ;   Parent Loop BB29_4 Depth=1
                                        ; =>  This Inner Loop Header: Depth=2
	s_add_i32 s10, s10, -1
	s_cmp_eq_u32 s10, 0
	s_sleep 1
	s_cbranch_scc0 .LBB29_5
; %bb.6:                                ;   in Loop: Header=BB29_4 Depth=1
	s_cmp_lt_u32 s13, 32
	;;#ASMSTART
	global_load_dwordx4 v[1:4], v[6:7] off glc	
s_waitcnt vmcnt(0)
	;;#ASMEND
	s_cselect_b64 s[10:11], -1, 0
	v_and_b32_e32 v4, 0xff, v3
	s_cmp_lg_u64 s[10:11], 0
	v_cmp_ne_u64_e32 vcc, 0, v[4:5]
	s_addc_u32 s13, s13, 0
	s_or_b64 s[8:9], vcc, s[8:9]
	s_andn2_b64 exec, exec, s[8:9]
	s_cbranch_execnz .LBB29_4
; %bb.7:
	s_or_b64 exec, exec, s[8:9]
.LBB29_8:
	s_or_b64 exec, exec, s[6:7]
	v_mov_b32_e32 v3, 0
	global_store_dwordx2 v3, v[1:2], s[2:3]
.LBB29_9:
	s_or_b64 exec, exec, s[4:5]
.LBB29_10:
	v_cmp_gt_u32_e32 vcc, s12, v0
	s_and_saveexec_b64 s[2:3], vcc
	s_cbranch_execnz .LBB29_13
; %bb.11:
	s_or_b64 exec, exec, s[2:3]
	v_cmp_gt_u32_e32 vcc, 64, v0
	s_and_saveexec_b64 s[2:3], vcc
	s_cbranch_execnz .LBB29_14
.LBB29_12:
	s_endpgm
.LBB29_13:
	v_add_u32_e32 v1, 64, v0
	v_mov_b32_e32 v2, 0
	v_lshlrev_b64 v[3:4], 4, v[1:2]
	v_mov_b32_e32 v1, s1
	v_add_co_u32_e32 v5, vcc, s0, v3
	v_addc_co_u32_e32 v6, vcc, v1, v4, vcc
	v_mov_b32_e32 v1, v2
	v_mov_b32_e32 v3, v2
	;; [unrolled: 1-line block ×3, first 2 shown]
	global_store_dwordx4 v[5:6], v[1:4], off
	s_or_b64 exec, exec, s[2:3]
	v_cmp_gt_u32_e32 vcc, 64, v0
	s_and_saveexec_b64 s[2:3], vcc
	s_cbranch_execz .LBB29_12
.LBB29_14:
	v_mov_b32_e32 v1, 0
	v_lshlrev_b64 v[2:3], 4, v[0:1]
	v_mov_b32_e32 v0, s1
	v_add_co_u32_e32 v4, vcc, s0, v2
	v_addc_co_u32_e32 v5, vcc, v0, v3, vcc
	v_mov_b32_e32 v2, 0xff
	v_mov_b32_e32 v0, v1
	;; [unrolled: 1-line block ×3, first 2 shown]
	global_store_dwordx4 v[4:5], v[0:3], off
	s_endpgm
	.section	.rodata,"a",@progbits
	.p2align	6, 0x0
	.amdhsa_kernel _ZN7rocprim17ROCPRIM_400000_NS6detail31init_lookback_scan_state_kernelINS1_19lookback_scan_stateI15HIP_vector_typeIjLj2EELb1ELb1EEENS1_16block_id_wrapperIjLb0EEEEEvT_jT0_jPNS9_10value_typeE
		.amdhsa_group_segment_fixed_size 0
		.amdhsa_private_segment_fixed_size 0
		.amdhsa_kernarg_size 288
		.amdhsa_user_sgpr_count 6
		.amdhsa_user_sgpr_private_segment_buffer 1
		.amdhsa_user_sgpr_dispatch_ptr 0
		.amdhsa_user_sgpr_queue_ptr 0
		.amdhsa_user_sgpr_kernarg_segment_ptr 1
		.amdhsa_user_sgpr_dispatch_id 0
		.amdhsa_user_sgpr_flat_scratch_init 0
		.amdhsa_user_sgpr_private_segment_size 0
		.amdhsa_uses_dynamic_stack 0
		.amdhsa_system_sgpr_private_segment_wavefront_offset 0
		.amdhsa_system_sgpr_workgroup_id_x 1
		.amdhsa_system_sgpr_workgroup_id_y 0
		.amdhsa_system_sgpr_workgroup_id_z 0
		.amdhsa_system_sgpr_workgroup_info 0
		.amdhsa_system_vgpr_workitem_id 0
		.amdhsa_next_free_vgpr 8
		.amdhsa_next_free_sgpr 14
		.amdhsa_reserve_vcc 1
		.amdhsa_reserve_flat_scratch 0
		.amdhsa_float_round_mode_32 0
		.amdhsa_float_round_mode_16_64 0
		.amdhsa_float_denorm_mode_32 3
		.amdhsa_float_denorm_mode_16_64 3
		.amdhsa_dx10_clamp 1
		.amdhsa_ieee_mode 1
		.amdhsa_fp16_overflow 0
		.amdhsa_exception_fp_ieee_invalid_op 0
		.amdhsa_exception_fp_denorm_src 0
		.amdhsa_exception_fp_ieee_div_zero 0
		.amdhsa_exception_fp_ieee_overflow 0
		.amdhsa_exception_fp_ieee_underflow 0
		.amdhsa_exception_fp_ieee_inexact 0
		.amdhsa_exception_int_div_zero 0
	.end_amdhsa_kernel
	.section	.text._ZN7rocprim17ROCPRIM_400000_NS6detail31init_lookback_scan_state_kernelINS1_19lookback_scan_stateI15HIP_vector_typeIjLj2EELb1ELb1EEENS1_16block_id_wrapperIjLb0EEEEEvT_jT0_jPNS9_10value_typeE,"axG",@progbits,_ZN7rocprim17ROCPRIM_400000_NS6detail31init_lookback_scan_state_kernelINS1_19lookback_scan_stateI15HIP_vector_typeIjLj2EELb1ELb1EEENS1_16block_id_wrapperIjLb0EEEEEvT_jT0_jPNS9_10value_typeE,comdat
.Lfunc_end29:
	.size	_ZN7rocprim17ROCPRIM_400000_NS6detail31init_lookback_scan_state_kernelINS1_19lookback_scan_stateI15HIP_vector_typeIjLj2EELb1ELb1EEENS1_16block_id_wrapperIjLb0EEEEEvT_jT0_jPNS9_10value_typeE, .Lfunc_end29-_ZN7rocprim17ROCPRIM_400000_NS6detail31init_lookback_scan_state_kernelINS1_19lookback_scan_stateI15HIP_vector_typeIjLj2EELb1ELb1EEENS1_16block_id_wrapperIjLb0EEEEEvT_jT0_jPNS9_10value_typeE
                                        ; -- End function
	.set _ZN7rocprim17ROCPRIM_400000_NS6detail31init_lookback_scan_state_kernelINS1_19lookback_scan_stateI15HIP_vector_typeIjLj2EELb1ELb1EEENS1_16block_id_wrapperIjLb0EEEEEvT_jT0_jPNS9_10value_typeE.num_vgpr, 8
	.set _ZN7rocprim17ROCPRIM_400000_NS6detail31init_lookback_scan_state_kernelINS1_19lookback_scan_stateI15HIP_vector_typeIjLj2EELb1ELb1EEENS1_16block_id_wrapperIjLb0EEEEEvT_jT0_jPNS9_10value_typeE.num_agpr, 0
	.set _ZN7rocprim17ROCPRIM_400000_NS6detail31init_lookback_scan_state_kernelINS1_19lookback_scan_stateI15HIP_vector_typeIjLj2EELb1ELb1EEENS1_16block_id_wrapperIjLb0EEEEEvT_jT0_jPNS9_10value_typeE.numbered_sgpr, 14
	.set _ZN7rocprim17ROCPRIM_400000_NS6detail31init_lookback_scan_state_kernelINS1_19lookback_scan_stateI15HIP_vector_typeIjLj2EELb1ELb1EEENS1_16block_id_wrapperIjLb0EEEEEvT_jT0_jPNS9_10value_typeE.num_named_barrier, 0
	.set _ZN7rocprim17ROCPRIM_400000_NS6detail31init_lookback_scan_state_kernelINS1_19lookback_scan_stateI15HIP_vector_typeIjLj2EELb1ELb1EEENS1_16block_id_wrapperIjLb0EEEEEvT_jT0_jPNS9_10value_typeE.private_seg_size, 0
	.set _ZN7rocprim17ROCPRIM_400000_NS6detail31init_lookback_scan_state_kernelINS1_19lookback_scan_stateI15HIP_vector_typeIjLj2EELb1ELb1EEENS1_16block_id_wrapperIjLb0EEEEEvT_jT0_jPNS9_10value_typeE.uses_vcc, 1
	.set _ZN7rocprim17ROCPRIM_400000_NS6detail31init_lookback_scan_state_kernelINS1_19lookback_scan_stateI15HIP_vector_typeIjLj2EELb1ELb1EEENS1_16block_id_wrapperIjLb0EEEEEvT_jT0_jPNS9_10value_typeE.uses_flat_scratch, 0
	.set _ZN7rocprim17ROCPRIM_400000_NS6detail31init_lookback_scan_state_kernelINS1_19lookback_scan_stateI15HIP_vector_typeIjLj2EELb1ELb1EEENS1_16block_id_wrapperIjLb0EEEEEvT_jT0_jPNS9_10value_typeE.has_dyn_sized_stack, 0
	.set _ZN7rocprim17ROCPRIM_400000_NS6detail31init_lookback_scan_state_kernelINS1_19lookback_scan_stateI15HIP_vector_typeIjLj2EELb1ELb1EEENS1_16block_id_wrapperIjLb0EEEEEvT_jT0_jPNS9_10value_typeE.has_recursion, 0
	.set _ZN7rocprim17ROCPRIM_400000_NS6detail31init_lookback_scan_state_kernelINS1_19lookback_scan_stateI15HIP_vector_typeIjLj2EELb1ELb1EEENS1_16block_id_wrapperIjLb0EEEEEvT_jT0_jPNS9_10value_typeE.has_indirect_call, 0
	.section	.AMDGPU.csdata,"",@progbits
; Kernel info:
; codeLenInByte = 424
; TotalNumSgprs: 18
; NumVgprs: 8
; ScratchSize: 0
; MemoryBound: 0
; FloatMode: 240
; IeeeMode: 1
; LDSByteSize: 0 bytes/workgroup (compile time only)
; SGPRBlocks: 2
; VGPRBlocks: 1
; NumSGPRsForWavesPerEU: 18
; NumVGPRsForWavesPerEU: 8
; Occupancy: 10
; WaveLimiterHint : 0
; COMPUTE_PGM_RSRC2:SCRATCH_EN: 0
; COMPUTE_PGM_RSRC2:USER_SGPR: 6
; COMPUTE_PGM_RSRC2:TRAP_HANDLER: 0
; COMPUTE_PGM_RSRC2:TGID_X_EN: 1
; COMPUTE_PGM_RSRC2:TGID_Y_EN: 0
; COMPUTE_PGM_RSRC2:TGID_Z_EN: 0
; COMPUTE_PGM_RSRC2:TIDIG_COMP_CNT: 0
	.section	.text._ZN7rocprim17ROCPRIM_400000_NS6detail17trampoline_kernelINS0_13select_configILj256ELj13ELNS0_17block_load_methodE3ELS4_3ELS4_3ELNS0_20block_scan_algorithmE0ELj4294967295EEENS1_25partition_config_selectorILNS1_17partition_subalgoE4EjNS0_10empty_typeEbEEZZNS1_14partition_implILS8_4ELb0ES6_15HIP_vector_typeIjLj2EENS0_17counting_iteratorIjlEEPS9_SG_NS0_5tupleIJPjSI_NS0_16reverse_iteratorISI_EEEEENSH_IJSG_SG_SG_EEES9_SI_JZNS1_25segmented_radix_sort_implINS0_14default_configELb1EPKhPhPKlPlN2at6native12_GLOBAL__N_18offset_tEEE10hipError_tPvRmT1_PNSt15iterator_traitsIS12_E10value_typeET2_T3_PNS13_IS18_E10value_typeET4_jRbjT5_S1E_jjP12ihipStream_tbEUljE_ZNSN_ISO_Lb1ESQ_SR_ST_SU_SY_EESZ_S10_S11_S12_S16_S17_S18_S1B_S1C_jS1D_jS1E_S1E_jjS1G_bEUljE0_EEESZ_S10_S11_S18_S1C_S1E_T6_T7_T9_mT8_S1G_bDpT10_ENKUlT_T0_E_clISt17integral_constantIbLb1EES1T_IbLb0EEEEDaS1P_S1Q_EUlS1P_E_NS1_11comp_targetILNS1_3genE0ELNS1_11target_archE4294967295ELNS1_3gpuE0ELNS1_3repE0EEENS1_30default_config_static_selectorELNS0_4arch9wavefront6targetE1EEEvS12_,"axG",@progbits,_ZN7rocprim17ROCPRIM_400000_NS6detail17trampoline_kernelINS0_13select_configILj256ELj13ELNS0_17block_load_methodE3ELS4_3ELS4_3ELNS0_20block_scan_algorithmE0ELj4294967295EEENS1_25partition_config_selectorILNS1_17partition_subalgoE4EjNS0_10empty_typeEbEEZZNS1_14partition_implILS8_4ELb0ES6_15HIP_vector_typeIjLj2EENS0_17counting_iteratorIjlEEPS9_SG_NS0_5tupleIJPjSI_NS0_16reverse_iteratorISI_EEEEENSH_IJSG_SG_SG_EEES9_SI_JZNS1_25segmented_radix_sort_implINS0_14default_configELb1EPKhPhPKlPlN2at6native12_GLOBAL__N_18offset_tEEE10hipError_tPvRmT1_PNSt15iterator_traitsIS12_E10value_typeET2_T3_PNS13_IS18_E10value_typeET4_jRbjT5_S1E_jjP12ihipStream_tbEUljE_ZNSN_ISO_Lb1ESQ_SR_ST_SU_SY_EESZ_S10_S11_S12_S16_S17_S18_S1B_S1C_jS1D_jS1E_S1E_jjS1G_bEUljE0_EEESZ_S10_S11_S18_S1C_S1E_T6_T7_T9_mT8_S1G_bDpT10_ENKUlT_T0_E_clISt17integral_constantIbLb1EES1T_IbLb0EEEEDaS1P_S1Q_EUlS1P_E_NS1_11comp_targetILNS1_3genE0ELNS1_11target_archE4294967295ELNS1_3gpuE0ELNS1_3repE0EEENS1_30default_config_static_selectorELNS0_4arch9wavefront6targetE1EEEvS12_,comdat
	.globl	_ZN7rocprim17ROCPRIM_400000_NS6detail17trampoline_kernelINS0_13select_configILj256ELj13ELNS0_17block_load_methodE3ELS4_3ELS4_3ELNS0_20block_scan_algorithmE0ELj4294967295EEENS1_25partition_config_selectorILNS1_17partition_subalgoE4EjNS0_10empty_typeEbEEZZNS1_14partition_implILS8_4ELb0ES6_15HIP_vector_typeIjLj2EENS0_17counting_iteratorIjlEEPS9_SG_NS0_5tupleIJPjSI_NS0_16reverse_iteratorISI_EEEEENSH_IJSG_SG_SG_EEES9_SI_JZNS1_25segmented_radix_sort_implINS0_14default_configELb1EPKhPhPKlPlN2at6native12_GLOBAL__N_18offset_tEEE10hipError_tPvRmT1_PNSt15iterator_traitsIS12_E10value_typeET2_T3_PNS13_IS18_E10value_typeET4_jRbjT5_S1E_jjP12ihipStream_tbEUljE_ZNSN_ISO_Lb1ESQ_SR_ST_SU_SY_EESZ_S10_S11_S12_S16_S17_S18_S1B_S1C_jS1D_jS1E_S1E_jjS1G_bEUljE0_EEESZ_S10_S11_S18_S1C_S1E_T6_T7_T9_mT8_S1G_bDpT10_ENKUlT_T0_E_clISt17integral_constantIbLb1EES1T_IbLb0EEEEDaS1P_S1Q_EUlS1P_E_NS1_11comp_targetILNS1_3genE0ELNS1_11target_archE4294967295ELNS1_3gpuE0ELNS1_3repE0EEENS1_30default_config_static_selectorELNS0_4arch9wavefront6targetE1EEEvS12_ ; -- Begin function _ZN7rocprim17ROCPRIM_400000_NS6detail17trampoline_kernelINS0_13select_configILj256ELj13ELNS0_17block_load_methodE3ELS4_3ELS4_3ELNS0_20block_scan_algorithmE0ELj4294967295EEENS1_25partition_config_selectorILNS1_17partition_subalgoE4EjNS0_10empty_typeEbEEZZNS1_14partition_implILS8_4ELb0ES6_15HIP_vector_typeIjLj2EENS0_17counting_iteratorIjlEEPS9_SG_NS0_5tupleIJPjSI_NS0_16reverse_iteratorISI_EEEEENSH_IJSG_SG_SG_EEES9_SI_JZNS1_25segmented_radix_sort_implINS0_14default_configELb1EPKhPhPKlPlN2at6native12_GLOBAL__N_18offset_tEEE10hipError_tPvRmT1_PNSt15iterator_traitsIS12_E10value_typeET2_T3_PNS13_IS18_E10value_typeET4_jRbjT5_S1E_jjP12ihipStream_tbEUljE_ZNSN_ISO_Lb1ESQ_SR_ST_SU_SY_EESZ_S10_S11_S12_S16_S17_S18_S1B_S1C_jS1D_jS1E_S1E_jjS1G_bEUljE0_EEESZ_S10_S11_S18_S1C_S1E_T6_T7_T9_mT8_S1G_bDpT10_ENKUlT_T0_E_clISt17integral_constantIbLb1EES1T_IbLb0EEEEDaS1P_S1Q_EUlS1P_E_NS1_11comp_targetILNS1_3genE0ELNS1_11target_archE4294967295ELNS1_3gpuE0ELNS1_3repE0EEENS1_30default_config_static_selectorELNS0_4arch9wavefront6targetE1EEEvS12_
	.p2align	8
	.type	_ZN7rocprim17ROCPRIM_400000_NS6detail17trampoline_kernelINS0_13select_configILj256ELj13ELNS0_17block_load_methodE3ELS4_3ELS4_3ELNS0_20block_scan_algorithmE0ELj4294967295EEENS1_25partition_config_selectorILNS1_17partition_subalgoE4EjNS0_10empty_typeEbEEZZNS1_14partition_implILS8_4ELb0ES6_15HIP_vector_typeIjLj2EENS0_17counting_iteratorIjlEEPS9_SG_NS0_5tupleIJPjSI_NS0_16reverse_iteratorISI_EEEEENSH_IJSG_SG_SG_EEES9_SI_JZNS1_25segmented_radix_sort_implINS0_14default_configELb1EPKhPhPKlPlN2at6native12_GLOBAL__N_18offset_tEEE10hipError_tPvRmT1_PNSt15iterator_traitsIS12_E10value_typeET2_T3_PNS13_IS18_E10value_typeET4_jRbjT5_S1E_jjP12ihipStream_tbEUljE_ZNSN_ISO_Lb1ESQ_SR_ST_SU_SY_EESZ_S10_S11_S12_S16_S17_S18_S1B_S1C_jS1D_jS1E_S1E_jjS1G_bEUljE0_EEESZ_S10_S11_S18_S1C_S1E_T6_T7_T9_mT8_S1G_bDpT10_ENKUlT_T0_E_clISt17integral_constantIbLb1EES1T_IbLb0EEEEDaS1P_S1Q_EUlS1P_E_NS1_11comp_targetILNS1_3genE0ELNS1_11target_archE4294967295ELNS1_3gpuE0ELNS1_3repE0EEENS1_30default_config_static_selectorELNS0_4arch9wavefront6targetE1EEEvS12_,@function
_ZN7rocprim17ROCPRIM_400000_NS6detail17trampoline_kernelINS0_13select_configILj256ELj13ELNS0_17block_load_methodE3ELS4_3ELS4_3ELNS0_20block_scan_algorithmE0ELj4294967295EEENS1_25partition_config_selectorILNS1_17partition_subalgoE4EjNS0_10empty_typeEbEEZZNS1_14partition_implILS8_4ELb0ES6_15HIP_vector_typeIjLj2EENS0_17counting_iteratorIjlEEPS9_SG_NS0_5tupleIJPjSI_NS0_16reverse_iteratorISI_EEEEENSH_IJSG_SG_SG_EEES9_SI_JZNS1_25segmented_radix_sort_implINS0_14default_configELb1EPKhPhPKlPlN2at6native12_GLOBAL__N_18offset_tEEE10hipError_tPvRmT1_PNSt15iterator_traitsIS12_E10value_typeET2_T3_PNS13_IS18_E10value_typeET4_jRbjT5_S1E_jjP12ihipStream_tbEUljE_ZNSN_ISO_Lb1ESQ_SR_ST_SU_SY_EESZ_S10_S11_S12_S16_S17_S18_S1B_S1C_jS1D_jS1E_S1E_jjS1G_bEUljE0_EEESZ_S10_S11_S18_S1C_S1E_T6_T7_T9_mT8_S1G_bDpT10_ENKUlT_T0_E_clISt17integral_constantIbLb1EES1T_IbLb0EEEEDaS1P_S1Q_EUlS1P_E_NS1_11comp_targetILNS1_3genE0ELNS1_11target_archE4294967295ELNS1_3gpuE0ELNS1_3repE0EEENS1_30default_config_static_selectorELNS0_4arch9wavefront6targetE1EEEvS12_: ; @_ZN7rocprim17ROCPRIM_400000_NS6detail17trampoline_kernelINS0_13select_configILj256ELj13ELNS0_17block_load_methodE3ELS4_3ELS4_3ELNS0_20block_scan_algorithmE0ELj4294967295EEENS1_25partition_config_selectorILNS1_17partition_subalgoE4EjNS0_10empty_typeEbEEZZNS1_14partition_implILS8_4ELb0ES6_15HIP_vector_typeIjLj2EENS0_17counting_iteratorIjlEEPS9_SG_NS0_5tupleIJPjSI_NS0_16reverse_iteratorISI_EEEEENSH_IJSG_SG_SG_EEES9_SI_JZNS1_25segmented_radix_sort_implINS0_14default_configELb1EPKhPhPKlPlN2at6native12_GLOBAL__N_18offset_tEEE10hipError_tPvRmT1_PNSt15iterator_traitsIS12_E10value_typeET2_T3_PNS13_IS18_E10value_typeET4_jRbjT5_S1E_jjP12ihipStream_tbEUljE_ZNSN_ISO_Lb1ESQ_SR_ST_SU_SY_EESZ_S10_S11_S12_S16_S17_S18_S1B_S1C_jS1D_jS1E_S1E_jjS1G_bEUljE0_EEESZ_S10_S11_S18_S1C_S1E_T6_T7_T9_mT8_S1G_bDpT10_ENKUlT_T0_E_clISt17integral_constantIbLb1EES1T_IbLb0EEEEDaS1P_S1Q_EUlS1P_E_NS1_11comp_targetILNS1_3genE0ELNS1_11target_archE4294967295ELNS1_3gpuE0ELNS1_3repE0EEENS1_30default_config_static_selectorELNS0_4arch9wavefront6targetE1EEEvS12_
; %bb.0:
	.section	.rodata,"a",@progbits
	.p2align	6, 0x0
	.amdhsa_kernel _ZN7rocprim17ROCPRIM_400000_NS6detail17trampoline_kernelINS0_13select_configILj256ELj13ELNS0_17block_load_methodE3ELS4_3ELS4_3ELNS0_20block_scan_algorithmE0ELj4294967295EEENS1_25partition_config_selectorILNS1_17partition_subalgoE4EjNS0_10empty_typeEbEEZZNS1_14partition_implILS8_4ELb0ES6_15HIP_vector_typeIjLj2EENS0_17counting_iteratorIjlEEPS9_SG_NS0_5tupleIJPjSI_NS0_16reverse_iteratorISI_EEEEENSH_IJSG_SG_SG_EEES9_SI_JZNS1_25segmented_radix_sort_implINS0_14default_configELb1EPKhPhPKlPlN2at6native12_GLOBAL__N_18offset_tEEE10hipError_tPvRmT1_PNSt15iterator_traitsIS12_E10value_typeET2_T3_PNS13_IS18_E10value_typeET4_jRbjT5_S1E_jjP12ihipStream_tbEUljE_ZNSN_ISO_Lb1ESQ_SR_ST_SU_SY_EESZ_S10_S11_S12_S16_S17_S18_S1B_S1C_jS1D_jS1E_S1E_jjS1G_bEUljE0_EEESZ_S10_S11_S18_S1C_S1E_T6_T7_T9_mT8_S1G_bDpT10_ENKUlT_T0_E_clISt17integral_constantIbLb1EES1T_IbLb0EEEEDaS1P_S1Q_EUlS1P_E_NS1_11comp_targetILNS1_3genE0ELNS1_11target_archE4294967295ELNS1_3gpuE0ELNS1_3repE0EEENS1_30default_config_static_selectorELNS0_4arch9wavefront6targetE1EEEvS12_
		.amdhsa_group_segment_fixed_size 0
		.amdhsa_private_segment_fixed_size 0
		.amdhsa_kernarg_size 176
		.amdhsa_user_sgpr_count 6
		.amdhsa_user_sgpr_private_segment_buffer 1
		.amdhsa_user_sgpr_dispatch_ptr 0
		.amdhsa_user_sgpr_queue_ptr 0
		.amdhsa_user_sgpr_kernarg_segment_ptr 1
		.amdhsa_user_sgpr_dispatch_id 0
		.amdhsa_user_sgpr_flat_scratch_init 0
		.amdhsa_user_sgpr_private_segment_size 0
		.amdhsa_uses_dynamic_stack 0
		.amdhsa_system_sgpr_private_segment_wavefront_offset 0
		.amdhsa_system_sgpr_workgroup_id_x 1
		.amdhsa_system_sgpr_workgroup_id_y 0
		.amdhsa_system_sgpr_workgroup_id_z 0
		.amdhsa_system_sgpr_workgroup_info 0
		.amdhsa_system_vgpr_workitem_id 0
		.amdhsa_next_free_vgpr 1
		.amdhsa_next_free_sgpr 0
		.amdhsa_reserve_vcc 0
		.amdhsa_reserve_flat_scratch 0
		.amdhsa_float_round_mode_32 0
		.amdhsa_float_round_mode_16_64 0
		.amdhsa_float_denorm_mode_32 3
		.amdhsa_float_denorm_mode_16_64 3
		.amdhsa_dx10_clamp 1
		.amdhsa_ieee_mode 1
		.amdhsa_fp16_overflow 0
		.amdhsa_exception_fp_ieee_invalid_op 0
		.amdhsa_exception_fp_denorm_src 0
		.amdhsa_exception_fp_ieee_div_zero 0
		.amdhsa_exception_fp_ieee_overflow 0
		.amdhsa_exception_fp_ieee_underflow 0
		.amdhsa_exception_fp_ieee_inexact 0
		.amdhsa_exception_int_div_zero 0
	.end_amdhsa_kernel
	.section	.text._ZN7rocprim17ROCPRIM_400000_NS6detail17trampoline_kernelINS0_13select_configILj256ELj13ELNS0_17block_load_methodE3ELS4_3ELS4_3ELNS0_20block_scan_algorithmE0ELj4294967295EEENS1_25partition_config_selectorILNS1_17partition_subalgoE4EjNS0_10empty_typeEbEEZZNS1_14partition_implILS8_4ELb0ES6_15HIP_vector_typeIjLj2EENS0_17counting_iteratorIjlEEPS9_SG_NS0_5tupleIJPjSI_NS0_16reverse_iteratorISI_EEEEENSH_IJSG_SG_SG_EEES9_SI_JZNS1_25segmented_radix_sort_implINS0_14default_configELb1EPKhPhPKlPlN2at6native12_GLOBAL__N_18offset_tEEE10hipError_tPvRmT1_PNSt15iterator_traitsIS12_E10value_typeET2_T3_PNS13_IS18_E10value_typeET4_jRbjT5_S1E_jjP12ihipStream_tbEUljE_ZNSN_ISO_Lb1ESQ_SR_ST_SU_SY_EESZ_S10_S11_S12_S16_S17_S18_S1B_S1C_jS1D_jS1E_S1E_jjS1G_bEUljE0_EEESZ_S10_S11_S18_S1C_S1E_T6_T7_T9_mT8_S1G_bDpT10_ENKUlT_T0_E_clISt17integral_constantIbLb1EES1T_IbLb0EEEEDaS1P_S1Q_EUlS1P_E_NS1_11comp_targetILNS1_3genE0ELNS1_11target_archE4294967295ELNS1_3gpuE0ELNS1_3repE0EEENS1_30default_config_static_selectorELNS0_4arch9wavefront6targetE1EEEvS12_,"axG",@progbits,_ZN7rocprim17ROCPRIM_400000_NS6detail17trampoline_kernelINS0_13select_configILj256ELj13ELNS0_17block_load_methodE3ELS4_3ELS4_3ELNS0_20block_scan_algorithmE0ELj4294967295EEENS1_25partition_config_selectorILNS1_17partition_subalgoE4EjNS0_10empty_typeEbEEZZNS1_14partition_implILS8_4ELb0ES6_15HIP_vector_typeIjLj2EENS0_17counting_iteratorIjlEEPS9_SG_NS0_5tupleIJPjSI_NS0_16reverse_iteratorISI_EEEEENSH_IJSG_SG_SG_EEES9_SI_JZNS1_25segmented_radix_sort_implINS0_14default_configELb1EPKhPhPKlPlN2at6native12_GLOBAL__N_18offset_tEEE10hipError_tPvRmT1_PNSt15iterator_traitsIS12_E10value_typeET2_T3_PNS13_IS18_E10value_typeET4_jRbjT5_S1E_jjP12ihipStream_tbEUljE_ZNSN_ISO_Lb1ESQ_SR_ST_SU_SY_EESZ_S10_S11_S12_S16_S17_S18_S1B_S1C_jS1D_jS1E_S1E_jjS1G_bEUljE0_EEESZ_S10_S11_S18_S1C_S1E_T6_T7_T9_mT8_S1G_bDpT10_ENKUlT_T0_E_clISt17integral_constantIbLb1EES1T_IbLb0EEEEDaS1P_S1Q_EUlS1P_E_NS1_11comp_targetILNS1_3genE0ELNS1_11target_archE4294967295ELNS1_3gpuE0ELNS1_3repE0EEENS1_30default_config_static_selectorELNS0_4arch9wavefront6targetE1EEEvS12_,comdat
.Lfunc_end30:
	.size	_ZN7rocprim17ROCPRIM_400000_NS6detail17trampoline_kernelINS0_13select_configILj256ELj13ELNS0_17block_load_methodE3ELS4_3ELS4_3ELNS0_20block_scan_algorithmE0ELj4294967295EEENS1_25partition_config_selectorILNS1_17partition_subalgoE4EjNS0_10empty_typeEbEEZZNS1_14partition_implILS8_4ELb0ES6_15HIP_vector_typeIjLj2EENS0_17counting_iteratorIjlEEPS9_SG_NS0_5tupleIJPjSI_NS0_16reverse_iteratorISI_EEEEENSH_IJSG_SG_SG_EEES9_SI_JZNS1_25segmented_radix_sort_implINS0_14default_configELb1EPKhPhPKlPlN2at6native12_GLOBAL__N_18offset_tEEE10hipError_tPvRmT1_PNSt15iterator_traitsIS12_E10value_typeET2_T3_PNS13_IS18_E10value_typeET4_jRbjT5_S1E_jjP12ihipStream_tbEUljE_ZNSN_ISO_Lb1ESQ_SR_ST_SU_SY_EESZ_S10_S11_S12_S16_S17_S18_S1B_S1C_jS1D_jS1E_S1E_jjS1G_bEUljE0_EEESZ_S10_S11_S18_S1C_S1E_T6_T7_T9_mT8_S1G_bDpT10_ENKUlT_T0_E_clISt17integral_constantIbLb1EES1T_IbLb0EEEEDaS1P_S1Q_EUlS1P_E_NS1_11comp_targetILNS1_3genE0ELNS1_11target_archE4294967295ELNS1_3gpuE0ELNS1_3repE0EEENS1_30default_config_static_selectorELNS0_4arch9wavefront6targetE1EEEvS12_, .Lfunc_end30-_ZN7rocprim17ROCPRIM_400000_NS6detail17trampoline_kernelINS0_13select_configILj256ELj13ELNS0_17block_load_methodE3ELS4_3ELS4_3ELNS0_20block_scan_algorithmE0ELj4294967295EEENS1_25partition_config_selectorILNS1_17partition_subalgoE4EjNS0_10empty_typeEbEEZZNS1_14partition_implILS8_4ELb0ES6_15HIP_vector_typeIjLj2EENS0_17counting_iteratorIjlEEPS9_SG_NS0_5tupleIJPjSI_NS0_16reverse_iteratorISI_EEEEENSH_IJSG_SG_SG_EEES9_SI_JZNS1_25segmented_radix_sort_implINS0_14default_configELb1EPKhPhPKlPlN2at6native12_GLOBAL__N_18offset_tEEE10hipError_tPvRmT1_PNSt15iterator_traitsIS12_E10value_typeET2_T3_PNS13_IS18_E10value_typeET4_jRbjT5_S1E_jjP12ihipStream_tbEUljE_ZNSN_ISO_Lb1ESQ_SR_ST_SU_SY_EESZ_S10_S11_S12_S16_S17_S18_S1B_S1C_jS1D_jS1E_S1E_jjS1G_bEUljE0_EEESZ_S10_S11_S18_S1C_S1E_T6_T7_T9_mT8_S1G_bDpT10_ENKUlT_T0_E_clISt17integral_constantIbLb1EES1T_IbLb0EEEEDaS1P_S1Q_EUlS1P_E_NS1_11comp_targetILNS1_3genE0ELNS1_11target_archE4294967295ELNS1_3gpuE0ELNS1_3repE0EEENS1_30default_config_static_selectorELNS0_4arch9wavefront6targetE1EEEvS12_
                                        ; -- End function
	.set _ZN7rocprim17ROCPRIM_400000_NS6detail17trampoline_kernelINS0_13select_configILj256ELj13ELNS0_17block_load_methodE3ELS4_3ELS4_3ELNS0_20block_scan_algorithmE0ELj4294967295EEENS1_25partition_config_selectorILNS1_17partition_subalgoE4EjNS0_10empty_typeEbEEZZNS1_14partition_implILS8_4ELb0ES6_15HIP_vector_typeIjLj2EENS0_17counting_iteratorIjlEEPS9_SG_NS0_5tupleIJPjSI_NS0_16reverse_iteratorISI_EEEEENSH_IJSG_SG_SG_EEES9_SI_JZNS1_25segmented_radix_sort_implINS0_14default_configELb1EPKhPhPKlPlN2at6native12_GLOBAL__N_18offset_tEEE10hipError_tPvRmT1_PNSt15iterator_traitsIS12_E10value_typeET2_T3_PNS13_IS18_E10value_typeET4_jRbjT5_S1E_jjP12ihipStream_tbEUljE_ZNSN_ISO_Lb1ESQ_SR_ST_SU_SY_EESZ_S10_S11_S12_S16_S17_S18_S1B_S1C_jS1D_jS1E_S1E_jjS1G_bEUljE0_EEESZ_S10_S11_S18_S1C_S1E_T6_T7_T9_mT8_S1G_bDpT10_ENKUlT_T0_E_clISt17integral_constantIbLb1EES1T_IbLb0EEEEDaS1P_S1Q_EUlS1P_E_NS1_11comp_targetILNS1_3genE0ELNS1_11target_archE4294967295ELNS1_3gpuE0ELNS1_3repE0EEENS1_30default_config_static_selectorELNS0_4arch9wavefront6targetE1EEEvS12_.num_vgpr, 0
	.set _ZN7rocprim17ROCPRIM_400000_NS6detail17trampoline_kernelINS0_13select_configILj256ELj13ELNS0_17block_load_methodE3ELS4_3ELS4_3ELNS0_20block_scan_algorithmE0ELj4294967295EEENS1_25partition_config_selectorILNS1_17partition_subalgoE4EjNS0_10empty_typeEbEEZZNS1_14partition_implILS8_4ELb0ES6_15HIP_vector_typeIjLj2EENS0_17counting_iteratorIjlEEPS9_SG_NS0_5tupleIJPjSI_NS0_16reverse_iteratorISI_EEEEENSH_IJSG_SG_SG_EEES9_SI_JZNS1_25segmented_radix_sort_implINS0_14default_configELb1EPKhPhPKlPlN2at6native12_GLOBAL__N_18offset_tEEE10hipError_tPvRmT1_PNSt15iterator_traitsIS12_E10value_typeET2_T3_PNS13_IS18_E10value_typeET4_jRbjT5_S1E_jjP12ihipStream_tbEUljE_ZNSN_ISO_Lb1ESQ_SR_ST_SU_SY_EESZ_S10_S11_S12_S16_S17_S18_S1B_S1C_jS1D_jS1E_S1E_jjS1G_bEUljE0_EEESZ_S10_S11_S18_S1C_S1E_T6_T7_T9_mT8_S1G_bDpT10_ENKUlT_T0_E_clISt17integral_constantIbLb1EES1T_IbLb0EEEEDaS1P_S1Q_EUlS1P_E_NS1_11comp_targetILNS1_3genE0ELNS1_11target_archE4294967295ELNS1_3gpuE0ELNS1_3repE0EEENS1_30default_config_static_selectorELNS0_4arch9wavefront6targetE1EEEvS12_.num_agpr, 0
	.set _ZN7rocprim17ROCPRIM_400000_NS6detail17trampoline_kernelINS0_13select_configILj256ELj13ELNS0_17block_load_methodE3ELS4_3ELS4_3ELNS0_20block_scan_algorithmE0ELj4294967295EEENS1_25partition_config_selectorILNS1_17partition_subalgoE4EjNS0_10empty_typeEbEEZZNS1_14partition_implILS8_4ELb0ES6_15HIP_vector_typeIjLj2EENS0_17counting_iteratorIjlEEPS9_SG_NS0_5tupleIJPjSI_NS0_16reverse_iteratorISI_EEEEENSH_IJSG_SG_SG_EEES9_SI_JZNS1_25segmented_radix_sort_implINS0_14default_configELb1EPKhPhPKlPlN2at6native12_GLOBAL__N_18offset_tEEE10hipError_tPvRmT1_PNSt15iterator_traitsIS12_E10value_typeET2_T3_PNS13_IS18_E10value_typeET4_jRbjT5_S1E_jjP12ihipStream_tbEUljE_ZNSN_ISO_Lb1ESQ_SR_ST_SU_SY_EESZ_S10_S11_S12_S16_S17_S18_S1B_S1C_jS1D_jS1E_S1E_jjS1G_bEUljE0_EEESZ_S10_S11_S18_S1C_S1E_T6_T7_T9_mT8_S1G_bDpT10_ENKUlT_T0_E_clISt17integral_constantIbLb1EES1T_IbLb0EEEEDaS1P_S1Q_EUlS1P_E_NS1_11comp_targetILNS1_3genE0ELNS1_11target_archE4294967295ELNS1_3gpuE0ELNS1_3repE0EEENS1_30default_config_static_selectorELNS0_4arch9wavefront6targetE1EEEvS12_.numbered_sgpr, 0
	.set _ZN7rocprim17ROCPRIM_400000_NS6detail17trampoline_kernelINS0_13select_configILj256ELj13ELNS0_17block_load_methodE3ELS4_3ELS4_3ELNS0_20block_scan_algorithmE0ELj4294967295EEENS1_25partition_config_selectorILNS1_17partition_subalgoE4EjNS0_10empty_typeEbEEZZNS1_14partition_implILS8_4ELb0ES6_15HIP_vector_typeIjLj2EENS0_17counting_iteratorIjlEEPS9_SG_NS0_5tupleIJPjSI_NS0_16reverse_iteratorISI_EEEEENSH_IJSG_SG_SG_EEES9_SI_JZNS1_25segmented_radix_sort_implINS0_14default_configELb1EPKhPhPKlPlN2at6native12_GLOBAL__N_18offset_tEEE10hipError_tPvRmT1_PNSt15iterator_traitsIS12_E10value_typeET2_T3_PNS13_IS18_E10value_typeET4_jRbjT5_S1E_jjP12ihipStream_tbEUljE_ZNSN_ISO_Lb1ESQ_SR_ST_SU_SY_EESZ_S10_S11_S12_S16_S17_S18_S1B_S1C_jS1D_jS1E_S1E_jjS1G_bEUljE0_EEESZ_S10_S11_S18_S1C_S1E_T6_T7_T9_mT8_S1G_bDpT10_ENKUlT_T0_E_clISt17integral_constantIbLb1EES1T_IbLb0EEEEDaS1P_S1Q_EUlS1P_E_NS1_11comp_targetILNS1_3genE0ELNS1_11target_archE4294967295ELNS1_3gpuE0ELNS1_3repE0EEENS1_30default_config_static_selectorELNS0_4arch9wavefront6targetE1EEEvS12_.num_named_barrier, 0
	.set _ZN7rocprim17ROCPRIM_400000_NS6detail17trampoline_kernelINS0_13select_configILj256ELj13ELNS0_17block_load_methodE3ELS4_3ELS4_3ELNS0_20block_scan_algorithmE0ELj4294967295EEENS1_25partition_config_selectorILNS1_17partition_subalgoE4EjNS0_10empty_typeEbEEZZNS1_14partition_implILS8_4ELb0ES6_15HIP_vector_typeIjLj2EENS0_17counting_iteratorIjlEEPS9_SG_NS0_5tupleIJPjSI_NS0_16reverse_iteratorISI_EEEEENSH_IJSG_SG_SG_EEES9_SI_JZNS1_25segmented_radix_sort_implINS0_14default_configELb1EPKhPhPKlPlN2at6native12_GLOBAL__N_18offset_tEEE10hipError_tPvRmT1_PNSt15iterator_traitsIS12_E10value_typeET2_T3_PNS13_IS18_E10value_typeET4_jRbjT5_S1E_jjP12ihipStream_tbEUljE_ZNSN_ISO_Lb1ESQ_SR_ST_SU_SY_EESZ_S10_S11_S12_S16_S17_S18_S1B_S1C_jS1D_jS1E_S1E_jjS1G_bEUljE0_EEESZ_S10_S11_S18_S1C_S1E_T6_T7_T9_mT8_S1G_bDpT10_ENKUlT_T0_E_clISt17integral_constantIbLb1EES1T_IbLb0EEEEDaS1P_S1Q_EUlS1P_E_NS1_11comp_targetILNS1_3genE0ELNS1_11target_archE4294967295ELNS1_3gpuE0ELNS1_3repE0EEENS1_30default_config_static_selectorELNS0_4arch9wavefront6targetE1EEEvS12_.private_seg_size, 0
	.set _ZN7rocprim17ROCPRIM_400000_NS6detail17trampoline_kernelINS0_13select_configILj256ELj13ELNS0_17block_load_methodE3ELS4_3ELS4_3ELNS0_20block_scan_algorithmE0ELj4294967295EEENS1_25partition_config_selectorILNS1_17partition_subalgoE4EjNS0_10empty_typeEbEEZZNS1_14partition_implILS8_4ELb0ES6_15HIP_vector_typeIjLj2EENS0_17counting_iteratorIjlEEPS9_SG_NS0_5tupleIJPjSI_NS0_16reverse_iteratorISI_EEEEENSH_IJSG_SG_SG_EEES9_SI_JZNS1_25segmented_radix_sort_implINS0_14default_configELb1EPKhPhPKlPlN2at6native12_GLOBAL__N_18offset_tEEE10hipError_tPvRmT1_PNSt15iterator_traitsIS12_E10value_typeET2_T3_PNS13_IS18_E10value_typeET4_jRbjT5_S1E_jjP12ihipStream_tbEUljE_ZNSN_ISO_Lb1ESQ_SR_ST_SU_SY_EESZ_S10_S11_S12_S16_S17_S18_S1B_S1C_jS1D_jS1E_S1E_jjS1G_bEUljE0_EEESZ_S10_S11_S18_S1C_S1E_T6_T7_T9_mT8_S1G_bDpT10_ENKUlT_T0_E_clISt17integral_constantIbLb1EES1T_IbLb0EEEEDaS1P_S1Q_EUlS1P_E_NS1_11comp_targetILNS1_3genE0ELNS1_11target_archE4294967295ELNS1_3gpuE0ELNS1_3repE0EEENS1_30default_config_static_selectorELNS0_4arch9wavefront6targetE1EEEvS12_.uses_vcc, 0
	.set _ZN7rocprim17ROCPRIM_400000_NS6detail17trampoline_kernelINS0_13select_configILj256ELj13ELNS0_17block_load_methodE3ELS4_3ELS4_3ELNS0_20block_scan_algorithmE0ELj4294967295EEENS1_25partition_config_selectorILNS1_17partition_subalgoE4EjNS0_10empty_typeEbEEZZNS1_14partition_implILS8_4ELb0ES6_15HIP_vector_typeIjLj2EENS0_17counting_iteratorIjlEEPS9_SG_NS0_5tupleIJPjSI_NS0_16reverse_iteratorISI_EEEEENSH_IJSG_SG_SG_EEES9_SI_JZNS1_25segmented_radix_sort_implINS0_14default_configELb1EPKhPhPKlPlN2at6native12_GLOBAL__N_18offset_tEEE10hipError_tPvRmT1_PNSt15iterator_traitsIS12_E10value_typeET2_T3_PNS13_IS18_E10value_typeET4_jRbjT5_S1E_jjP12ihipStream_tbEUljE_ZNSN_ISO_Lb1ESQ_SR_ST_SU_SY_EESZ_S10_S11_S12_S16_S17_S18_S1B_S1C_jS1D_jS1E_S1E_jjS1G_bEUljE0_EEESZ_S10_S11_S18_S1C_S1E_T6_T7_T9_mT8_S1G_bDpT10_ENKUlT_T0_E_clISt17integral_constantIbLb1EES1T_IbLb0EEEEDaS1P_S1Q_EUlS1P_E_NS1_11comp_targetILNS1_3genE0ELNS1_11target_archE4294967295ELNS1_3gpuE0ELNS1_3repE0EEENS1_30default_config_static_selectorELNS0_4arch9wavefront6targetE1EEEvS12_.uses_flat_scratch, 0
	.set _ZN7rocprim17ROCPRIM_400000_NS6detail17trampoline_kernelINS0_13select_configILj256ELj13ELNS0_17block_load_methodE3ELS4_3ELS4_3ELNS0_20block_scan_algorithmE0ELj4294967295EEENS1_25partition_config_selectorILNS1_17partition_subalgoE4EjNS0_10empty_typeEbEEZZNS1_14partition_implILS8_4ELb0ES6_15HIP_vector_typeIjLj2EENS0_17counting_iteratorIjlEEPS9_SG_NS0_5tupleIJPjSI_NS0_16reverse_iteratorISI_EEEEENSH_IJSG_SG_SG_EEES9_SI_JZNS1_25segmented_radix_sort_implINS0_14default_configELb1EPKhPhPKlPlN2at6native12_GLOBAL__N_18offset_tEEE10hipError_tPvRmT1_PNSt15iterator_traitsIS12_E10value_typeET2_T3_PNS13_IS18_E10value_typeET4_jRbjT5_S1E_jjP12ihipStream_tbEUljE_ZNSN_ISO_Lb1ESQ_SR_ST_SU_SY_EESZ_S10_S11_S12_S16_S17_S18_S1B_S1C_jS1D_jS1E_S1E_jjS1G_bEUljE0_EEESZ_S10_S11_S18_S1C_S1E_T6_T7_T9_mT8_S1G_bDpT10_ENKUlT_T0_E_clISt17integral_constantIbLb1EES1T_IbLb0EEEEDaS1P_S1Q_EUlS1P_E_NS1_11comp_targetILNS1_3genE0ELNS1_11target_archE4294967295ELNS1_3gpuE0ELNS1_3repE0EEENS1_30default_config_static_selectorELNS0_4arch9wavefront6targetE1EEEvS12_.has_dyn_sized_stack, 0
	.set _ZN7rocprim17ROCPRIM_400000_NS6detail17trampoline_kernelINS0_13select_configILj256ELj13ELNS0_17block_load_methodE3ELS4_3ELS4_3ELNS0_20block_scan_algorithmE0ELj4294967295EEENS1_25partition_config_selectorILNS1_17partition_subalgoE4EjNS0_10empty_typeEbEEZZNS1_14partition_implILS8_4ELb0ES6_15HIP_vector_typeIjLj2EENS0_17counting_iteratorIjlEEPS9_SG_NS0_5tupleIJPjSI_NS0_16reverse_iteratorISI_EEEEENSH_IJSG_SG_SG_EEES9_SI_JZNS1_25segmented_radix_sort_implINS0_14default_configELb1EPKhPhPKlPlN2at6native12_GLOBAL__N_18offset_tEEE10hipError_tPvRmT1_PNSt15iterator_traitsIS12_E10value_typeET2_T3_PNS13_IS18_E10value_typeET4_jRbjT5_S1E_jjP12ihipStream_tbEUljE_ZNSN_ISO_Lb1ESQ_SR_ST_SU_SY_EESZ_S10_S11_S12_S16_S17_S18_S1B_S1C_jS1D_jS1E_S1E_jjS1G_bEUljE0_EEESZ_S10_S11_S18_S1C_S1E_T6_T7_T9_mT8_S1G_bDpT10_ENKUlT_T0_E_clISt17integral_constantIbLb1EES1T_IbLb0EEEEDaS1P_S1Q_EUlS1P_E_NS1_11comp_targetILNS1_3genE0ELNS1_11target_archE4294967295ELNS1_3gpuE0ELNS1_3repE0EEENS1_30default_config_static_selectorELNS0_4arch9wavefront6targetE1EEEvS12_.has_recursion, 0
	.set _ZN7rocprim17ROCPRIM_400000_NS6detail17trampoline_kernelINS0_13select_configILj256ELj13ELNS0_17block_load_methodE3ELS4_3ELS4_3ELNS0_20block_scan_algorithmE0ELj4294967295EEENS1_25partition_config_selectorILNS1_17partition_subalgoE4EjNS0_10empty_typeEbEEZZNS1_14partition_implILS8_4ELb0ES6_15HIP_vector_typeIjLj2EENS0_17counting_iteratorIjlEEPS9_SG_NS0_5tupleIJPjSI_NS0_16reverse_iteratorISI_EEEEENSH_IJSG_SG_SG_EEES9_SI_JZNS1_25segmented_radix_sort_implINS0_14default_configELb1EPKhPhPKlPlN2at6native12_GLOBAL__N_18offset_tEEE10hipError_tPvRmT1_PNSt15iterator_traitsIS12_E10value_typeET2_T3_PNS13_IS18_E10value_typeET4_jRbjT5_S1E_jjP12ihipStream_tbEUljE_ZNSN_ISO_Lb1ESQ_SR_ST_SU_SY_EESZ_S10_S11_S12_S16_S17_S18_S1B_S1C_jS1D_jS1E_S1E_jjS1G_bEUljE0_EEESZ_S10_S11_S18_S1C_S1E_T6_T7_T9_mT8_S1G_bDpT10_ENKUlT_T0_E_clISt17integral_constantIbLb1EES1T_IbLb0EEEEDaS1P_S1Q_EUlS1P_E_NS1_11comp_targetILNS1_3genE0ELNS1_11target_archE4294967295ELNS1_3gpuE0ELNS1_3repE0EEENS1_30default_config_static_selectorELNS0_4arch9wavefront6targetE1EEEvS12_.has_indirect_call, 0
	.section	.AMDGPU.csdata,"",@progbits
; Kernel info:
; codeLenInByte = 0
; TotalNumSgprs: 4
; NumVgprs: 0
; ScratchSize: 0
; MemoryBound: 0
; FloatMode: 240
; IeeeMode: 1
; LDSByteSize: 0 bytes/workgroup (compile time only)
; SGPRBlocks: 0
; VGPRBlocks: 0
; NumSGPRsForWavesPerEU: 4
; NumVGPRsForWavesPerEU: 1
; Occupancy: 10
; WaveLimiterHint : 0
; COMPUTE_PGM_RSRC2:SCRATCH_EN: 0
; COMPUTE_PGM_RSRC2:USER_SGPR: 6
; COMPUTE_PGM_RSRC2:TRAP_HANDLER: 0
; COMPUTE_PGM_RSRC2:TGID_X_EN: 1
; COMPUTE_PGM_RSRC2:TGID_Y_EN: 0
; COMPUTE_PGM_RSRC2:TGID_Z_EN: 0
; COMPUTE_PGM_RSRC2:TIDIG_COMP_CNT: 0
	.section	.text._ZN7rocprim17ROCPRIM_400000_NS6detail17trampoline_kernelINS0_13select_configILj256ELj13ELNS0_17block_load_methodE3ELS4_3ELS4_3ELNS0_20block_scan_algorithmE0ELj4294967295EEENS1_25partition_config_selectorILNS1_17partition_subalgoE4EjNS0_10empty_typeEbEEZZNS1_14partition_implILS8_4ELb0ES6_15HIP_vector_typeIjLj2EENS0_17counting_iteratorIjlEEPS9_SG_NS0_5tupleIJPjSI_NS0_16reverse_iteratorISI_EEEEENSH_IJSG_SG_SG_EEES9_SI_JZNS1_25segmented_radix_sort_implINS0_14default_configELb1EPKhPhPKlPlN2at6native12_GLOBAL__N_18offset_tEEE10hipError_tPvRmT1_PNSt15iterator_traitsIS12_E10value_typeET2_T3_PNS13_IS18_E10value_typeET4_jRbjT5_S1E_jjP12ihipStream_tbEUljE_ZNSN_ISO_Lb1ESQ_SR_ST_SU_SY_EESZ_S10_S11_S12_S16_S17_S18_S1B_S1C_jS1D_jS1E_S1E_jjS1G_bEUljE0_EEESZ_S10_S11_S18_S1C_S1E_T6_T7_T9_mT8_S1G_bDpT10_ENKUlT_T0_E_clISt17integral_constantIbLb1EES1T_IbLb0EEEEDaS1P_S1Q_EUlS1P_E_NS1_11comp_targetILNS1_3genE5ELNS1_11target_archE942ELNS1_3gpuE9ELNS1_3repE0EEENS1_30default_config_static_selectorELNS0_4arch9wavefront6targetE1EEEvS12_,"axG",@progbits,_ZN7rocprim17ROCPRIM_400000_NS6detail17trampoline_kernelINS0_13select_configILj256ELj13ELNS0_17block_load_methodE3ELS4_3ELS4_3ELNS0_20block_scan_algorithmE0ELj4294967295EEENS1_25partition_config_selectorILNS1_17partition_subalgoE4EjNS0_10empty_typeEbEEZZNS1_14partition_implILS8_4ELb0ES6_15HIP_vector_typeIjLj2EENS0_17counting_iteratorIjlEEPS9_SG_NS0_5tupleIJPjSI_NS0_16reverse_iteratorISI_EEEEENSH_IJSG_SG_SG_EEES9_SI_JZNS1_25segmented_radix_sort_implINS0_14default_configELb1EPKhPhPKlPlN2at6native12_GLOBAL__N_18offset_tEEE10hipError_tPvRmT1_PNSt15iterator_traitsIS12_E10value_typeET2_T3_PNS13_IS18_E10value_typeET4_jRbjT5_S1E_jjP12ihipStream_tbEUljE_ZNSN_ISO_Lb1ESQ_SR_ST_SU_SY_EESZ_S10_S11_S12_S16_S17_S18_S1B_S1C_jS1D_jS1E_S1E_jjS1G_bEUljE0_EEESZ_S10_S11_S18_S1C_S1E_T6_T7_T9_mT8_S1G_bDpT10_ENKUlT_T0_E_clISt17integral_constantIbLb1EES1T_IbLb0EEEEDaS1P_S1Q_EUlS1P_E_NS1_11comp_targetILNS1_3genE5ELNS1_11target_archE942ELNS1_3gpuE9ELNS1_3repE0EEENS1_30default_config_static_selectorELNS0_4arch9wavefront6targetE1EEEvS12_,comdat
	.globl	_ZN7rocprim17ROCPRIM_400000_NS6detail17trampoline_kernelINS0_13select_configILj256ELj13ELNS0_17block_load_methodE3ELS4_3ELS4_3ELNS0_20block_scan_algorithmE0ELj4294967295EEENS1_25partition_config_selectorILNS1_17partition_subalgoE4EjNS0_10empty_typeEbEEZZNS1_14partition_implILS8_4ELb0ES6_15HIP_vector_typeIjLj2EENS0_17counting_iteratorIjlEEPS9_SG_NS0_5tupleIJPjSI_NS0_16reverse_iteratorISI_EEEEENSH_IJSG_SG_SG_EEES9_SI_JZNS1_25segmented_radix_sort_implINS0_14default_configELb1EPKhPhPKlPlN2at6native12_GLOBAL__N_18offset_tEEE10hipError_tPvRmT1_PNSt15iterator_traitsIS12_E10value_typeET2_T3_PNS13_IS18_E10value_typeET4_jRbjT5_S1E_jjP12ihipStream_tbEUljE_ZNSN_ISO_Lb1ESQ_SR_ST_SU_SY_EESZ_S10_S11_S12_S16_S17_S18_S1B_S1C_jS1D_jS1E_S1E_jjS1G_bEUljE0_EEESZ_S10_S11_S18_S1C_S1E_T6_T7_T9_mT8_S1G_bDpT10_ENKUlT_T0_E_clISt17integral_constantIbLb1EES1T_IbLb0EEEEDaS1P_S1Q_EUlS1P_E_NS1_11comp_targetILNS1_3genE5ELNS1_11target_archE942ELNS1_3gpuE9ELNS1_3repE0EEENS1_30default_config_static_selectorELNS0_4arch9wavefront6targetE1EEEvS12_ ; -- Begin function _ZN7rocprim17ROCPRIM_400000_NS6detail17trampoline_kernelINS0_13select_configILj256ELj13ELNS0_17block_load_methodE3ELS4_3ELS4_3ELNS0_20block_scan_algorithmE0ELj4294967295EEENS1_25partition_config_selectorILNS1_17partition_subalgoE4EjNS0_10empty_typeEbEEZZNS1_14partition_implILS8_4ELb0ES6_15HIP_vector_typeIjLj2EENS0_17counting_iteratorIjlEEPS9_SG_NS0_5tupleIJPjSI_NS0_16reverse_iteratorISI_EEEEENSH_IJSG_SG_SG_EEES9_SI_JZNS1_25segmented_radix_sort_implINS0_14default_configELb1EPKhPhPKlPlN2at6native12_GLOBAL__N_18offset_tEEE10hipError_tPvRmT1_PNSt15iterator_traitsIS12_E10value_typeET2_T3_PNS13_IS18_E10value_typeET4_jRbjT5_S1E_jjP12ihipStream_tbEUljE_ZNSN_ISO_Lb1ESQ_SR_ST_SU_SY_EESZ_S10_S11_S12_S16_S17_S18_S1B_S1C_jS1D_jS1E_S1E_jjS1G_bEUljE0_EEESZ_S10_S11_S18_S1C_S1E_T6_T7_T9_mT8_S1G_bDpT10_ENKUlT_T0_E_clISt17integral_constantIbLb1EES1T_IbLb0EEEEDaS1P_S1Q_EUlS1P_E_NS1_11comp_targetILNS1_3genE5ELNS1_11target_archE942ELNS1_3gpuE9ELNS1_3repE0EEENS1_30default_config_static_selectorELNS0_4arch9wavefront6targetE1EEEvS12_
	.p2align	8
	.type	_ZN7rocprim17ROCPRIM_400000_NS6detail17trampoline_kernelINS0_13select_configILj256ELj13ELNS0_17block_load_methodE3ELS4_3ELS4_3ELNS0_20block_scan_algorithmE0ELj4294967295EEENS1_25partition_config_selectorILNS1_17partition_subalgoE4EjNS0_10empty_typeEbEEZZNS1_14partition_implILS8_4ELb0ES6_15HIP_vector_typeIjLj2EENS0_17counting_iteratorIjlEEPS9_SG_NS0_5tupleIJPjSI_NS0_16reverse_iteratorISI_EEEEENSH_IJSG_SG_SG_EEES9_SI_JZNS1_25segmented_radix_sort_implINS0_14default_configELb1EPKhPhPKlPlN2at6native12_GLOBAL__N_18offset_tEEE10hipError_tPvRmT1_PNSt15iterator_traitsIS12_E10value_typeET2_T3_PNS13_IS18_E10value_typeET4_jRbjT5_S1E_jjP12ihipStream_tbEUljE_ZNSN_ISO_Lb1ESQ_SR_ST_SU_SY_EESZ_S10_S11_S12_S16_S17_S18_S1B_S1C_jS1D_jS1E_S1E_jjS1G_bEUljE0_EEESZ_S10_S11_S18_S1C_S1E_T6_T7_T9_mT8_S1G_bDpT10_ENKUlT_T0_E_clISt17integral_constantIbLb1EES1T_IbLb0EEEEDaS1P_S1Q_EUlS1P_E_NS1_11comp_targetILNS1_3genE5ELNS1_11target_archE942ELNS1_3gpuE9ELNS1_3repE0EEENS1_30default_config_static_selectorELNS0_4arch9wavefront6targetE1EEEvS12_,@function
_ZN7rocprim17ROCPRIM_400000_NS6detail17trampoline_kernelINS0_13select_configILj256ELj13ELNS0_17block_load_methodE3ELS4_3ELS4_3ELNS0_20block_scan_algorithmE0ELj4294967295EEENS1_25partition_config_selectorILNS1_17partition_subalgoE4EjNS0_10empty_typeEbEEZZNS1_14partition_implILS8_4ELb0ES6_15HIP_vector_typeIjLj2EENS0_17counting_iteratorIjlEEPS9_SG_NS0_5tupleIJPjSI_NS0_16reverse_iteratorISI_EEEEENSH_IJSG_SG_SG_EEES9_SI_JZNS1_25segmented_radix_sort_implINS0_14default_configELb1EPKhPhPKlPlN2at6native12_GLOBAL__N_18offset_tEEE10hipError_tPvRmT1_PNSt15iterator_traitsIS12_E10value_typeET2_T3_PNS13_IS18_E10value_typeET4_jRbjT5_S1E_jjP12ihipStream_tbEUljE_ZNSN_ISO_Lb1ESQ_SR_ST_SU_SY_EESZ_S10_S11_S12_S16_S17_S18_S1B_S1C_jS1D_jS1E_S1E_jjS1G_bEUljE0_EEESZ_S10_S11_S18_S1C_S1E_T6_T7_T9_mT8_S1G_bDpT10_ENKUlT_T0_E_clISt17integral_constantIbLb1EES1T_IbLb0EEEEDaS1P_S1Q_EUlS1P_E_NS1_11comp_targetILNS1_3genE5ELNS1_11target_archE942ELNS1_3gpuE9ELNS1_3repE0EEENS1_30default_config_static_selectorELNS0_4arch9wavefront6targetE1EEEvS12_: ; @_ZN7rocprim17ROCPRIM_400000_NS6detail17trampoline_kernelINS0_13select_configILj256ELj13ELNS0_17block_load_methodE3ELS4_3ELS4_3ELNS0_20block_scan_algorithmE0ELj4294967295EEENS1_25partition_config_selectorILNS1_17partition_subalgoE4EjNS0_10empty_typeEbEEZZNS1_14partition_implILS8_4ELb0ES6_15HIP_vector_typeIjLj2EENS0_17counting_iteratorIjlEEPS9_SG_NS0_5tupleIJPjSI_NS0_16reverse_iteratorISI_EEEEENSH_IJSG_SG_SG_EEES9_SI_JZNS1_25segmented_radix_sort_implINS0_14default_configELb1EPKhPhPKlPlN2at6native12_GLOBAL__N_18offset_tEEE10hipError_tPvRmT1_PNSt15iterator_traitsIS12_E10value_typeET2_T3_PNS13_IS18_E10value_typeET4_jRbjT5_S1E_jjP12ihipStream_tbEUljE_ZNSN_ISO_Lb1ESQ_SR_ST_SU_SY_EESZ_S10_S11_S12_S16_S17_S18_S1B_S1C_jS1D_jS1E_S1E_jjS1G_bEUljE0_EEESZ_S10_S11_S18_S1C_S1E_T6_T7_T9_mT8_S1G_bDpT10_ENKUlT_T0_E_clISt17integral_constantIbLb1EES1T_IbLb0EEEEDaS1P_S1Q_EUlS1P_E_NS1_11comp_targetILNS1_3genE5ELNS1_11target_archE942ELNS1_3gpuE9ELNS1_3repE0EEENS1_30default_config_static_selectorELNS0_4arch9wavefront6targetE1EEEvS12_
; %bb.0:
	.section	.rodata,"a",@progbits
	.p2align	6, 0x0
	.amdhsa_kernel _ZN7rocprim17ROCPRIM_400000_NS6detail17trampoline_kernelINS0_13select_configILj256ELj13ELNS0_17block_load_methodE3ELS4_3ELS4_3ELNS0_20block_scan_algorithmE0ELj4294967295EEENS1_25partition_config_selectorILNS1_17partition_subalgoE4EjNS0_10empty_typeEbEEZZNS1_14partition_implILS8_4ELb0ES6_15HIP_vector_typeIjLj2EENS0_17counting_iteratorIjlEEPS9_SG_NS0_5tupleIJPjSI_NS0_16reverse_iteratorISI_EEEEENSH_IJSG_SG_SG_EEES9_SI_JZNS1_25segmented_radix_sort_implINS0_14default_configELb1EPKhPhPKlPlN2at6native12_GLOBAL__N_18offset_tEEE10hipError_tPvRmT1_PNSt15iterator_traitsIS12_E10value_typeET2_T3_PNS13_IS18_E10value_typeET4_jRbjT5_S1E_jjP12ihipStream_tbEUljE_ZNSN_ISO_Lb1ESQ_SR_ST_SU_SY_EESZ_S10_S11_S12_S16_S17_S18_S1B_S1C_jS1D_jS1E_S1E_jjS1G_bEUljE0_EEESZ_S10_S11_S18_S1C_S1E_T6_T7_T9_mT8_S1G_bDpT10_ENKUlT_T0_E_clISt17integral_constantIbLb1EES1T_IbLb0EEEEDaS1P_S1Q_EUlS1P_E_NS1_11comp_targetILNS1_3genE5ELNS1_11target_archE942ELNS1_3gpuE9ELNS1_3repE0EEENS1_30default_config_static_selectorELNS0_4arch9wavefront6targetE1EEEvS12_
		.amdhsa_group_segment_fixed_size 0
		.amdhsa_private_segment_fixed_size 0
		.amdhsa_kernarg_size 176
		.amdhsa_user_sgpr_count 6
		.amdhsa_user_sgpr_private_segment_buffer 1
		.amdhsa_user_sgpr_dispatch_ptr 0
		.amdhsa_user_sgpr_queue_ptr 0
		.amdhsa_user_sgpr_kernarg_segment_ptr 1
		.amdhsa_user_sgpr_dispatch_id 0
		.amdhsa_user_sgpr_flat_scratch_init 0
		.amdhsa_user_sgpr_private_segment_size 0
		.amdhsa_uses_dynamic_stack 0
		.amdhsa_system_sgpr_private_segment_wavefront_offset 0
		.amdhsa_system_sgpr_workgroup_id_x 1
		.amdhsa_system_sgpr_workgroup_id_y 0
		.amdhsa_system_sgpr_workgroup_id_z 0
		.amdhsa_system_sgpr_workgroup_info 0
		.amdhsa_system_vgpr_workitem_id 0
		.amdhsa_next_free_vgpr 1
		.amdhsa_next_free_sgpr 0
		.amdhsa_reserve_vcc 0
		.amdhsa_reserve_flat_scratch 0
		.amdhsa_float_round_mode_32 0
		.amdhsa_float_round_mode_16_64 0
		.amdhsa_float_denorm_mode_32 3
		.amdhsa_float_denorm_mode_16_64 3
		.amdhsa_dx10_clamp 1
		.amdhsa_ieee_mode 1
		.amdhsa_fp16_overflow 0
		.amdhsa_exception_fp_ieee_invalid_op 0
		.amdhsa_exception_fp_denorm_src 0
		.amdhsa_exception_fp_ieee_div_zero 0
		.amdhsa_exception_fp_ieee_overflow 0
		.amdhsa_exception_fp_ieee_underflow 0
		.amdhsa_exception_fp_ieee_inexact 0
		.amdhsa_exception_int_div_zero 0
	.end_amdhsa_kernel
	.section	.text._ZN7rocprim17ROCPRIM_400000_NS6detail17trampoline_kernelINS0_13select_configILj256ELj13ELNS0_17block_load_methodE3ELS4_3ELS4_3ELNS0_20block_scan_algorithmE0ELj4294967295EEENS1_25partition_config_selectorILNS1_17partition_subalgoE4EjNS0_10empty_typeEbEEZZNS1_14partition_implILS8_4ELb0ES6_15HIP_vector_typeIjLj2EENS0_17counting_iteratorIjlEEPS9_SG_NS0_5tupleIJPjSI_NS0_16reverse_iteratorISI_EEEEENSH_IJSG_SG_SG_EEES9_SI_JZNS1_25segmented_radix_sort_implINS0_14default_configELb1EPKhPhPKlPlN2at6native12_GLOBAL__N_18offset_tEEE10hipError_tPvRmT1_PNSt15iterator_traitsIS12_E10value_typeET2_T3_PNS13_IS18_E10value_typeET4_jRbjT5_S1E_jjP12ihipStream_tbEUljE_ZNSN_ISO_Lb1ESQ_SR_ST_SU_SY_EESZ_S10_S11_S12_S16_S17_S18_S1B_S1C_jS1D_jS1E_S1E_jjS1G_bEUljE0_EEESZ_S10_S11_S18_S1C_S1E_T6_T7_T9_mT8_S1G_bDpT10_ENKUlT_T0_E_clISt17integral_constantIbLb1EES1T_IbLb0EEEEDaS1P_S1Q_EUlS1P_E_NS1_11comp_targetILNS1_3genE5ELNS1_11target_archE942ELNS1_3gpuE9ELNS1_3repE0EEENS1_30default_config_static_selectorELNS0_4arch9wavefront6targetE1EEEvS12_,"axG",@progbits,_ZN7rocprim17ROCPRIM_400000_NS6detail17trampoline_kernelINS0_13select_configILj256ELj13ELNS0_17block_load_methodE3ELS4_3ELS4_3ELNS0_20block_scan_algorithmE0ELj4294967295EEENS1_25partition_config_selectorILNS1_17partition_subalgoE4EjNS0_10empty_typeEbEEZZNS1_14partition_implILS8_4ELb0ES6_15HIP_vector_typeIjLj2EENS0_17counting_iteratorIjlEEPS9_SG_NS0_5tupleIJPjSI_NS0_16reverse_iteratorISI_EEEEENSH_IJSG_SG_SG_EEES9_SI_JZNS1_25segmented_radix_sort_implINS0_14default_configELb1EPKhPhPKlPlN2at6native12_GLOBAL__N_18offset_tEEE10hipError_tPvRmT1_PNSt15iterator_traitsIS12_E10value_typeET2_T3_PNS13_IS18_E10value_typeET4_jRbjT5_S1E_jjP12ihipStream_tbEUljE_ZNSN_ISO_Lb1ESQ_SR_ST_SU_SY_EESZ_S10_S11_S12_S16_S17_S18_S1B_S1C_jS1D_jS1E_S1E_jjS1G_bEUljE0_EEESZ_S10_S11_S18_S1C_S1E_T6_T7_T9_mT8_S1G_bDpT10_ENKUlT_T0_E_clISt17integral_constantIbLb1EES1T_IbLb0EEEEDaS1P_S1Q_EUlS1P_E_NS1_11comp_targetILNS1_3genE5ELNS1_11target_archE942ELNS1_3gpuE9ELNS1_3repE0EEENS1_30default_config_static_selectorELNS0_4arch9wavefront6targetE1EEEvS12_,comdat
.Lfunc_end31:
	.size	_ZN7rocprim17ROCPRIM_400000_NS6detail17trampoline_kernelINS0_13select_configILj256ELj13ELNS0_17block_load_methodE3ELS4_3ELS4_3ELNS0_20block_scan_algorithmE0ELj4294967295EEENS1_25partition_config_selectorILNS1_17partition_subalgoE4EjNS0_10empty_typeEbEEZZNS1_14partition_implILS8_4ELb0ES6_15HIP_vector_typeIjLj2EENS0_17counting_iteratorIjlEEPS9_SG_NS0_5tupleIJPjSI_NS0_16reverse_iteratorISI_EEEEENSH_IJSG_SG_SG_EEES9_SI_JZNS1_25segmented_radix_sort_implINS0_14default_configELb1EPKhPhPKlPlN2at6native12_GLOBAL__N_18offset_tEEE10hipError_tPvRmT1_PNSt15iterator_traitsIS12_E10value_typeET2_T3_PNS13_IS18_E10value_typeET4_jRbjT5_S1E_jjP12ihipStream_tbEUljE_ZNSN_ISO_Lb1ESQ_SR_ST_SU_SY_EESZ_S10_S11_S12_S16_S17_S18_S1B_S1C_jS1D_jS1E_S1E_jjS1G_bEUljE0_EEESZ_S10_S11_S18_S1C_S1E_T6_T7_T9_mT8_S1G_bDpT10_ENKUlT_T0_E_clISt17integral_constantIbLb1EES1T_IbLb0EEEEDaS1P_S1Q_EUlS1P_E_NS1_11comp_targetILNS1_3genE5ELNS1_11target_archE942ELNS1_3gpuE9ELNS1_3repE0EEENS1_30default_config_static_selectorELNS0_4arch9wavefront6targetE1EEEvS12_, .Lfunc_end31-_ZN7rocprim17ROCPRIM_400000_NS6detail17trampoline_kernelINS0_13select_configILj256ELj13ELNS0_17block_load_methodE3ELS4_3ELS4_3ELNS0_20block_scan_algorithmE0ELj4294967295EEENS1_25partition_config_selectorILNS1_17partition_subalgoE4EjNS0_10empty_typeEbEEZZNS1_14partition_implILS8_4ELb0ES6_15HIP_vector_typeIjLj2EENS0_17counting_iteratorIjlEEPS9_SG_NS0_5tupleIJPjSI_NS0_16reverse_iteratorISI_EEEEENSH_IJSG_SG_SG_EEES9_SI_JZNS1_25segmented_radix_sort_implINS0_14default_configELb1EPKhPhPKlPlN2at6native12_GLOBAL__N_18offset_tEEE10hipError_tPvRmT1_PNSt15iterator_traitsIS12_E10value_typeET2_T3_PNS13_IS18_E10value_typeET4_jRbjT5_S1E_jjP12ihipStream_tbEUljE_ZNSN_ISO_Lb1ESQ_SR_ST_SU_SY_EESZ_S10_S11_S12_S16_S17_S18_S1B_S1C_jS1D_jS1E_S1E_jjS1G_bEUljE0_EEESZ_S10_S11_S18_S1C_S1E_T6_T7_T9_mT8_S1G_bDpT10_ENKUlT_T0_E_clISt17integral_constantIbLb1EES1T_IbLb0EEEEDaS1P_S1Q_EUlS1P_E_NS1_11comp_targetILNS1_3genE5ELNS1_11target_archE942ELNS1_3gpuE9ELNS1_3repE0EEENS1_30default_config_static_selectorELNS0_4arch9wavefront6targetE1EEEvS12_
                                        ; -- End function
	.set _ZN7rocprim17ROCPRIM_400000_NS6detail17trampoline_kernelINS0_13select_configILj256ELj13ELNS0_17block_load_methodE3ELS4_3ELS4_3ELNS0_20block_scan_algorithmE0ELj4294967295EEENS1_25partition_config_selectorILNS1_17partition_subalgoE4EjNS0_10empty_typeEbEEZZNS1_14partition_implILS8_4ELb0ES6_15HIP_vector_typeIjLj2EENS0_17counting_iteratorIjlEEPS9_SG_NS0_5tupleIJPjSI_NS0_16reverse_iteratorISI_EEEEENSH_IJSG_SG_SG_EEES9_SI_JZNS1_25segmented_radix_sort_implINS0_14default_configELb1EPKhPhPKlPlN2at6native12_GLOBAL__N_18offset_tEEE10hipError_tPvRmT1_PNSt15iterator_traitsIS12_E10value_typeET2_T3_PNS13_IS18_E10value_typeET4_jRbjT5_S1E_jjP12ihipStream_tbEUljE_ZNSN_ISO_Lb1ESQ_SR_ST_SU_SY_EESZ_S10_S11_S12_S16_S17_S18_S1B_S1C_jS1D_jS1E_S1E_jjS1G_bEUljE0_EEESZ_S10_S11_S18_S1C_S1E_T6_T7_T9_mT8_S1G_bDpT10_ENKUlT_T0_E_clISt17integral_constantIbLb1EES1T_IbLb0EEEEDaS1P_S1Q_EUlS1P_E_NS1_11comp_targetILNS1_3genE5ELNS1_11target_archE942ELNS1_3gpuE9ELNS1_3repE0EEENS1_30default_config_static_selectorELNS0_4arch9wavefront6targetE1EEEvS12_.num_vgpr, 0
	.set _ZN7rocprim17ROCPRIM_400000_NS6detail17trampoline_kernelINS0_13select_configILj256ELj13ELNS0_17block_load_methodE3ELS4_3ELS4_3ELNS0_20block_scan_algorithmE0ELj4294967295EEENS1_25partition_config_selectorILNS1_17partition_subalgoE4EjNS0_10empty_typeEbEEZZNS1_14partition_implILS8_4ELb0ES6_15HIP_vector_typeIjLj2EENS0_17counting_iteratorIjlEEPS9_SG_NS0_5tupleIJPjSI_NS0_16reverse_iteratorISI_EEEEENSH_IJSG_SG_SG_EEES9_SI_JZNS1_25segmented_radix_sort_implINS0_14default_configELb1EPKhPhPKlPlN2at6native12_GLOBAL__N_18offset_tEEE10hipError_tPvRmT1_PNSt15iterator_traitsIS12_E10value_typeET2_T3_PNS13_IS18_E10value_typeET4_jRbjT5_S1E_jjP12ihipStream_tbEUljE_ZNSN_ISO_Lb1ESQ_SR_ST_SU_SY_EESZ_S10_S11_S12_S16_S17_S18_S1B_S1C_jS1D_jS1E_S1E_jjS1G_bEUljE0_EEESZ_S10_S11_S18_S1C_S1E_T6_T7_T9_mT8_S1G_bDpT10_ENKUlT_T0_E_clISt17integral_constantIbLb1EES1T_IbLb0EEEEDaS1P_S1Q_EUlS1P_E_NS1_11comp_targetILNS1_3genE5ELNS1_11target_archE942ELNS1_3gpuE9ELNS1_3repE0EEENS1_30default_config_static_selectorELNS0_4arch9wavefront6targetE1EEEvS12_.num_agpr, 0
	.set _ZN7rocprim17ROCPRIM_400000_NS6detail17trampoline_kernelINS0_13select_configILj256ELj13ELNS0_17block_load_methodE3ELS4_3ELS4_3ELNS0_20block_scan_algorithmE0ELj4294967295EEENS1_25partition_config_selectorILNS1_17partition_subalgoE4EjNS0_10empty_typeEbEEZZNS1_14partition_implILS8_4ELb0ES6_15HIP_vector_typeIjLj2EENS0_17counting_iteratorIjlEEPS9_SG_NS0_5tupleIJPjSI_NS0_16reverse_iteratorISI_EEEEENSH_IJSG_SG_SG_EEES9_SI_JZNS1_25segmented_radix_sort_implINS0_14default_configELb1EPKhPhPKlPlN2at6native12_GLOBAL__N_18offset_tEEE10hipError_tPvRmT1_PNSt15iterator_traitsIS12_E10value_typeET2_T3_PNS13_IS18_E10value_typeET4_jRbjT5_S1E_jjP12ihipStream_tbEUljE_ZNSN_ISO_Lb1ESQ_SR_ST_SU_SY_EESZ_S10_S11_S12_S16_S17_S18_S1B_S1C_jS1D_jS1E_S1E_jjS1G_bEUljE0_EEESZ_S10_S11_S18_S1C_S1E_T6_T7_T9_mT8_S1G_bDpT10_ENKUlT_T0_E_clISt17integral_constantIbLb1EES1T_IbLb0EEEEDaS1P_S1Q_EUlS1P_E_NS1_11comp_targetILNS1_3genE5ELNS1_11target_archE942ELNS1_3gpuE9ELNS1_3repE0EEENS1_30default_config_static_selectorELNS0_4arch9wavefront6targetE1EEEvS12_.numbered_sgpr, 0
	.set _ZN7rocprim17ROCPRIM_400000_NS6detail17trampoline_kernelINS0_13select_configILj256ELj13ELNS0_17block_load_methodE3ELS4_3ELS4_3ELNS0_20block_scan_algorithmE0ELj4294967295EEENS1_25partition_config_selectorILNS1_17partition_subalgoE4EjNS0_10empty_typeEbEEZZNS1_14partition_implILS8_4ELb0ES6_15HIP_vector_typeIjLj2EENS0_17counting_iteratorIjlEEPS9_SG_NS0_5tupleIJPjSI_NS0_16reverse_iteratorISI_EEEEENSH_IJSG_SG_SG_EEES9_SI_JZNS1_25segmented_radix_sort_implINS0_14default_configELb1EPKhPhPKlPlN2at6native12_GLOBAL__N_18offset_tEEE10hipError_tPvRmT1_PNSt15iterator_traitsIS12_E10value_typeET2_T3_PNS13_IS18_E10value_typeET4_jRbjT5_S1E_jjP12ihipStream_tbEUljE_ZNSN_ISO_Lb1ESQ_SR_ST_SU_SY_EESZ_S10_S11_S12_S16_S17_S18_S1B_S1C_jS1D_jS1E_S1E_jjS1G_bEUljE0_EEESZ_S10_S11_S18_S1C_S1E_T6_T7_T9_mT8_S1G_bDpT10_ENKUlT_T0_E_clISt17integral_constantIbLb1EES1T_IbLb0EEEEDaS1P_S1Q_EUlS1P_E_NS1_11comp_targetILNS1_3genE5ELNS1_11target_archE942ELNS1_3gpuE9ELNS1_3repE0EEENS1_30default_config_static_selectorELNS0_4arch9wavefront6targetE1EEEvS12_.num_named_barrier, 0
	.set _ZN7rocprim17ROCPRIM_400000_NS6detail17trampoline_kernelINS0_13select_configILj256ELj13ELNS0_17block_load_methodE3ELS4_3ELS4_3ELNS0_20block_scan_algorithmE0ELj4294967295EEENS1_25partition_config_selectorILNS1_17partition_subalgoE4EjNS0_10empty_typeEbEEZZNS1_14partition_implILS8_4ELb0ES6_15HIP_vector_typeIjLj2EENS0_17counting_iteratorIjlEEPS9_SG_NS0_5tupleIJPjSI_NS0_16reverse_iteratorISI_EEEEENSH_IJSG_SG_SG_EEES9_SI_JZNS1_25segmented_radix_sort_implINS0_14default_configELb1EPKhPhPKlPlN2at6native12_GLOBAL__N_18offset_tEEE10hipError_tPvRmT1_PNSt15iterator_traitsIS12_E10value_typeET2_T3_PNS13_IS18_E10value_typeET4_jRbjT5_S1E_jjP12ihipStream_tbEUljE_ZNSN_ISO_Lb1ESQ_SR_ST_SU_SY_EESZ_S10_S11_S12_S16_S17_S18_S1B_S1C_jS1D_jS1E_S1E_jjS1G_bEUljE0_EEESZ_S10_S11_S18_S1C_S1E_T6_T7_T9_mT8_S1G_bDpT10_ENKUlT_T0_E_clISt17integral_constantIbLb1EES1T_IbLb0EEEEDaS1P_S1Q_EUlS1P_E_NS1_11comp_targetILNS1_3genE5ELNS1_11target_archE942ELNS1_3gpuE9ELNS1_3repE0EEENS1_30default_config_static_selectorELNS0_4arch9wavefront6targetE1EEEvS12_.private_seg_size, 0
	.set _ZN7rocprim17ROCPRIM_400000_NS6detail17trampoline_kernelINS0_13select_configILj256ELj13ELNS0_17block_load_methodE3ELS4_3ELS4_3ELNS0_20block_scan_algorithmE0ELj4294967295EEENS1_25partition_config_selectorILNS1_17partition_subalgoE4EjNS0_10empty_typeEbEEZZNS1_14partition_implILS8_4ELb0ES6_15HIP_vector_typeIjLj2EENS0_17counting_iteratorIjlEEPS9_SG_NS0_5tupleIJPjSI_NS0_16reverse_iteratorISI_EEEEENSH_IJSG_SG_SG_EEES9_SI_JZNS1_25segmented_radix_sort_implINS0_14default_configELb1EPKhPhPKlPlN2at6native12_GLOBAL__N_18offset_tEEE10hipError_tPvRmT1_PNSt15iterator_traitsIS12_E10value_typeET2_T3_PNS13_IS18_E10value_typeET4_jRbjT5_S1E_jjP12ihipStream_tbEUljE_ZNSN_ISO_Lb1ESQ_SR_ST_SU_SY_EESZ_S10_S11_S12_S16_S17_S18_S1B_S1C_jS1D_jS1E_S1E_jjS1G_bEUljE0_EEESZ_S10_S11_S18_S1C_S1E_T6_T7_T9_mT8_S1G_bDpT10_ENKUlT_T0_E_clISt17integral_constantIbLb1EES1T_IbLb0EEEEDaS1P_S1Q_EUlS1P_E_NS1_11comp_targetILNS1_3genE5ELNS1_11target_archE942ELNS1_3gpuE9ELNS1_3repE0EEENS1_30default_config_static_selectorELNS0_4arch9wavefront6targetE1EEEvS12_.uses_vcc, 0
	.set _ZN7rocprim17ROCPRIM_400000_NS6detail17trampoline_kernelINS0_13select_configILj256ELj13ELNS0_17block_load_methodE3ELS4_3ELS4_3ELNS0_20block_scan_algorithmE0ELj4294967295EEENS1_25partition_config_selectorILNS1_17partition_subalgoE4EjNS0_10empty_typeEbEEZZNS1_14partition_implILS8_4ELb0ES6_15HIP_vector_typeIjLj2EENS0_17counting_iteratorIjlEEPS9_SG_NS0_5tupleIJPjSI_NS0_16reverse_iteratorISI_EEEEENSH_IJSG_SG_SG_EEES9_SI_JZNS1_25segmented_radix_sort_implINS0_14default_configELb1EPKhPhPKlPlN2at6native12_GLOBAL__N_18offset_tEEE10hipError_tPvRmT1_PNSt15iterator_traitsIS12_E10value_typeET2_T3_PNS13_IS18_E10value_typeET4_jRbjT5_S1E_jjP12ihipStream_tbEUljE_ZNSN_ISO_Lb1ESQ_SR_ST_SU_SY_EESZ_S10_S11_S12_S16_S17_S18_S1B_S1C_jS1D_jS1E_S1E_jjS1G_bEUljE0_EEESZ_S10_S11_S18_S1C_S1E_T6_T7_T9_mT8_S1G_bDpT10_ENKUlT_T0_E_clISt17integral_constantIbLb1EES1T_IbLb0EEEEDaS1P_S1Q_EUlS1P_E_NS1_11comp_targetILNS1_3genE5ELNS1_11target_archE942ELNS1_3gpuE9ELNS1_3repE0EEENS1_30default_config_static_selectorELNS0_4arch9wavefront6targetE1EEEvS12_.uses_flat_scratch, 0
	.set _ZN7rocprim17ROCPRIM_400000_NS6detail17trampoline_kernelINS0_13select_configILj256ELj13ELNS0_17block_load_methodE3ELS4_3ELS4_3ELNS0_20block_scan_algorithmE0ELj4294967295EEENS1_25partition_config_selectorILNS1_17partition_subalgoE4EjNS0_10empty_typeEbEEZZNS1_14partition_implILS8_4ELb0ES6_15HIP_vector_typeIjLj2EENS0_17counting_iteratorIjlEEPS9_SG_NS0_5tupleIJPjSI_NS0_16reverse_iteratorISI_EEEEENSH_IJSG_SG_SG_EEES9_SI_JZNS1_25segmented_radix_sort_implINS0_14default_configELb1EPKhPhPKlPlN2at6native12_GLOBAL__N_18offset_tEEE10hipError_tPvRmT1_PNSt15iterator_traitsIS12_E10value_typeET2_T3_PNS13_IS18_E10value_typeET4_jRbjT5_S1E_jjP12ihipStream_tbEUljE_ZNSN_ISO_Lb1ESQ_SR_ST_SU_SY_EESZ_S10_S11_S12_S16_S17_S18_S1B_S1C_jS1D_jS1E_S1E_jjS1G_bEUljE0_EEESZ_S10_S11_S18_S1C_S1E_T6_T7_T9_mT8_S1G_bDpT10_ENKUlT_T0_E_clISt17integral_constantIbLb1EES1T_IbLb0EEEEDaS1P_S1Q_EUlS1P_E_NS1_11comp_targetILNS1_3genE5ELNS1_11target_archE942ELNS1_3gpuE9ELNS1_3repE0EEENS1_30default_config_static_selectorELNS0_4arch9wavefront6targetE1EEEvS12_.has_dyn_sized_stack, 0
	.set _ZN7rocprim17ROCPRIM_400000_NS6detail17trampoline_kernelINS0_13select_configILj256ELj13ELNS0_17block_load_methodE3ELS4_3ELS4_3ELNS0_20block_scan_algorithmE0ELj4294967295EEENS1_25partition_config_selectorILNS1_17partition_subalgoE4EjNS0_10empty_typeEbEEZZNS1_14partition_implILS8_4ELb0ES6_15HIP_vector_typeIjLj2EENS0_17counting_iteratorIjlEEPS9_SG_NS0_5tupleIJPjSI_NS0_16reverse_iteratorISI_EEEEENSH_IJSG_SG_SG_EEES9_SI_JZNS1_25segmented_radix_sort_implINS0_14default_configELb1EPKhPhPKlPlN2at6native12_GLOBAL__N_18offset_tEEE10hipError_tPvRmT1_PNSt15iterator_traitsIS12_E10value_typeET2_T3_PNS13_IS18_E10value_typeET4_jRbjT5_S1E_jjP12ihipStream_tbEUljE_ZNSN_ISO_Lb1ESQ_SR_ST_SU_SY_EESZ_S10_S11_S12_S16_S17_S18_S1B_S1C_jS1D_jS1E_S1E_jjS1G_bEUljE0_EEESZ_S10_S11_S18_S1C_S1E_T6_T7_T9_mT8_S1G_bDpT10_ENKUlT_T0_E_clISt17integral_constantIbLb1EES1T_IbLb0EEEEDaS1P_S1Q_EUlS1P_E_NS1_11comp_targetILNS1_3genE5ELNS1_11target_archE942ELNS1_3gpuE9ELNS1_3repE0EEENS1_30default_config_static_selectorELNS0_4arch9wavefront6targetE1EEEvS12_.has_recursion, 0
	.set _ZN7rocprim17ROCPRIM_400000_NS6detail17trampoline_kernelINS0_13select_configILj256ELj13ELNS0_17block_load_methodE3ELS4_3ELS4_3ELNS0_20block_scan_algorithmE0ELj4294967295EEENS1_25partition_config_selectorILNS1_17partition_subalgoE4EjNS0_10empty_typeEbEEZZNS1_14partition_implILS8_4ELb0ES6_15HIP_vector_typeIjLj2EENS0_17counting_iteratorIjlEEPS9_SG_NS0_5tupleIJPjSI_NS0_16reverse_iteratorISI_EEEEENSH_IJSG_SG_SG_EEES9_SI_JZNS1_25segmented_radix_sort_implINS0_14default_configELb1EPKhPhPKlPlN2at6native12_GLOBAL__N_18offset_tEEE10hipError_tPvRmT1_PNSt15iterator_traitsIS12_E10value_typeET2_T3_PNS13_IS18_E10value_typeET4_jRbjT5_S1E_jjP12ihipStream_tbEUljE_ZNSN_ISO_Lb1ESQ_SR_ST_SU_SY_EESZ_S10_S11_S12_S16_S17_S18_S1B_S1C_jS1D_jS1E_S1E_jjS1G_bEUljE0_EEESZ_S10_S11_S18_S1C_S1E_T6_T7_T9_mT8_S1G_bDpT10_ENKUlT_T0_E_clISt17integral_constantIbLb1EES1T_IbLb0EEEEDaS1P_S1Q_EUlS1P_E_NS1_11comp_targetILNS1_3genE5ELNS1_11target_archE942ELNS1_3gpuE9ELNS1_3repE0EEENS1_30default_config_static_selectorELNS0_4arch9wavefront6targetE1EEEvS12_.has_indirect_call, 0
	.section	.AMDGPU.csdata,"",@progbits
; Kernel info:
; codeLenInByte = 0
; TotalNumSgprs: 4
; NumVgprs: 0
; ScratchSize: 0
; MemoryBound: 0
; FloatMode: 240
; IeeeMode: 1
; LDSByteSize: 0 bytes/workgroup (compile time only)
; SGPRBlocks: 0
; VGPRBlocks: 0
; NumSGPRsForWavesPerEU: 4
; NumVGPRsForWavesPerEU: 1
; Occupancy: 10
; WaveLimiterHint : 0
; COMPUTE_PGM_RSRC2:SCRATCH_EN: 0
; COMPUTE_PGM_RSRC2:USER_SGPR: 6
; COMPUTE_PGM_RSRC2:TRAP_HANDLER: 0
; COMPUTE_PGM_RSRC2:TGID_X_EN: 1
; COMPUTE_PGM_RSRC2:TGID_Y_EN: 0
; COMPUTE_PGM_RSRC2:TGID_Z_EN: 0
; COMPUTE_PGM_RSRC2:TIDIG_COMP_CNT: 0
	.section	.text._ZN7rocprim17ROCPRIM_400000_NS6detail17trampoline_kernelINS0_13select_configILj256ELj13ELNS0_17block_load_methodE3ELS4_3ELS4_3ELNS0_20block_scan_algorithmE0ELj4294967295EEENS1_25partition_config_selectorILNS1_17partition_subalgoE4EjNS0_10empty_typeEbEEZZNS1_14partition_implILS8_4ELb0ES6_15HIP_vector_typeIjLj2EENS0_17counting_iteratorIjlEEPS9_SG_NS0_5tupleIJPjSI_NS0_16reverse_iteratorISI_EEEEENSH_IJSG_SG_SG_EEES9_SI_JZNS1_25segmented_radix_sort_implINS0_14default_configELb1EPKhPhPKlPlN2at6native12_GLOBAL__N_18offset_tEEE10hipError_tPvRmT1_PNSt15iterator_traitsIS12_E10value_typeET2_T3_PNS13_IS18_E10value_typeET4_jRbjT5_S1E_jjP12ihipStream_tbEUljE_ZNSN_ISO_Lb1ESQ_SR_ST_SU_SY_EESZ_S10_S11_S12_S16_S17_S18_S1B_S1C_jS1D_jS1E_S1E_jjS1G_bEUljE0_EEESZ_S10_S11_S18_S1C_S1E_T6_T7_T9_mT8_S1G_bDpT10_ENKUlT_T0_E_clISt17integral_constantIbLb1EES1T_IbLb0EEEEDaS1P_S1Q_EUlS1P_E_NS1_11comp_targetILNS1_3genE4ELNS1_11target_archE910ELNS1_3gpuE8ELNS1_3repE0EEENS1_30default_config_static_selectorELNS0_4arch9wavefront6targetE1EEEvS12_,"axG",@progbits,_ZN7rocprim17ROCPRIM_400000_NS6detail17trampoline_kernelINS0_13select_configILj256ELj13ELNS0_17block_load_methodE3ELS4_3ELS4_3ELNS0_20block_scan_algorithmE0ELj4294967295EEENS1_25partition_config_selectorILNS1_17partition_subalgoE4EjNS0_10empty_typeEbEEZZNS1_14partition_implILS8_4ELb0ES6_15HIP_vector_typeIjLj2EENS0_17counting_iteratorIjlEEPS9_SG_NS0_5tupleIJPjSI_NS0_16reverse_iteratorISI_EEEEENSH_IJSG_SG_SG_EEES9_SI_JZNS1_25segmented_radix_sort_implINS0_14default_configELb1EPKhPhPKlPlN2at6native12_GLOBAL__N_18offset_tEEE10hipError_tPvRmT1_PNSt15iterator_traitsIS12_E10value_typeET2_T3_PNS13_IS18_E10value_typeET4_jRbjT5_S1E_jjP12ihipStream_tbEUljE_ZNSN_ISO_Lb1ESQ_SR_ST_SU_SY_EESZ_S10_S11_S12_S16_S17_S18_S1B_S1C_jS1D_jS1E_S1E_jjS1G_bEUljE0_EEESZ_S10_S11_S18_S1C_S1E_T6_T7_T9_mT8_S1G_bDpT10_ENKUlT_T0_E_clISt17integral_constantIbLb1EES1T_IbLb0EEEEDaS1P_S1Q_EUlS1P_E_NS1_11comp_targetILNS1_3genE4ELNS1_11target_archE910ELNS1_3gpuE8ELNS1_3repE0EEENS1_30default_config_static_selectorELNS0_4arch9wavefront6targetE1EEEvS12_,comdat
	.globl	_ZN7rocprim17ROCPRIM_400000_NS6detail17trampoline_kernelINS0_13select_configILj256ELj13ELNS0_17block_load_methodE3ELS4_3ELS4_3ELNS0_20block_scan_algorithmE0ELj4294967295EEENS1_25partition_config_selectorILNS1_17partition_subalgoE4EjNS0_10empty_typeEbEEZZNS1_14partition_implILS8_4ELb0ES6_15HIP_vector_typeIjLj2EENS0_17counting_iteratorIjlEEPS9_SG_NS0_5tupleIJPjSI_NS0_16reverse_iteratorISI_EEEEENSH_IJSG_SG_SG_EEES9_SI_JZNS1_25segmented_radix_sort_implINS0_14default_configELb1EPKhPhPKlPlN2at6native12_GLOBAL__N_18offset_tEEE10hipError_tPvRmT1_PNSt15iterator_traitsIS12_E10value_typeET2_T3_PNS13_IS18_E10value_typeET4_jRbjT5_S1E_jjP12ihipStream_tbEUljE_ZNSN_ISO_Lb1ESQ_SR_ST_SU_SY_EESZ_S10_S11_S12_S16_S17_S18_S1B_S1C_jS1D_jS1E_S1E_jjS1G_bEUljE0_EEESZ_S10_S11_S18_S1C_S1E_T6_T7_T9_mT8_S1G_bDpT10_ENKUlT_T0_E_clISt17integral_constantIbLb1EES1T_IbLb0EEEEDaS1P_S1Q_EUlS1P_E_NS1_11comp_targetILNS1_3genE4ELNS1_11target_archE910ELNS1_3gpuE8ELNS1_3repE0EEENS1_30default_config_static_selectorELNS0_4arch9wavefront6targetE1EEEvS12_ ; -- Begin function _ZN7rocprim17ROCPRIM_400000_NS6detail17trampoline_kernelINS0_13select_configILj256ELj13ELNS0_17block_load_methodE3ELS4_3ELS4_3ELNS0_20block_scan_algorithmE0ELj4294967295EEENS1_25partition_config_selectorILNS1_17partition_subalgoE4EjNS0_10empty_typeEbEEZZNS1_14partition_implILS8_4ELb0ES6_15HIP_vector_typeIjLj2EENS0_17counting_iteratorIjlEEPS9_SG_NS0_5tupleIJPjSI_NS0_16reverse_iteratorISI_EEEEENSH_IJSG_SG_SG_EEES9_SI_JZNS1_25segmented_radix_sort_implINS0_14default_configELb1EPKhPhPKlPlN2at6native12_GLOBAL__N_18offset_tEEE10hipError_tPvRmT1_PNSt15iterator_traitsIS12_E10value_typeET2_T3_PNS13_IS18_E10value_typeET4_jRbjT5_S1E_jjP12ihipStream_tbEUljE_ZNSN_ISO_Lb1ESQ_SR_ST_SU_SY_EESZ_S10_S11_S12_S16_S17_S18_S1B_S1C_jS1D_jS1E_S1E_jjS1G_bEUljE0_EEESZ_S10_S11_S18_S1C_S1E_T6_T7_T9_mT8_S1G_bDpT10_ENKUlT_T0_E_clISt17integral_constantIbLb1EES1T_IbLb0EEEEDaS1P_S1Q_EUlS1P_E_NS1_11comp_targetILNS1_3genE4ELNS1_11target_archE910ELNS1_3gpuE8ELNS1_3repE0EEENS1_30default_config_static_selectorELNS0_4arch9wavefront6targetE1EEEvS12_
	.p2align	8
	.type	_ZN7rocprim17ROCPRIM_400000_NS6detail17trampoline_kernelINS0_13select_configILj256ELj13ELNS0_17block_load_methodE3ELS4_3ELS4_3ELNS0_20block_scan_algorithmE0ELj4294967295EEENS1_25partition_config_selectorILNS1_17partition_subalgoE4EjNS0_10empty_typeEbEEZZNS1_14partition_implILS8_4ELb0ES6_15HIP_vector_typeIjLj2EENS0_17counting_iteratorIjlEEPS9_SG_NS0_5tupleIJPjSI_NS0_16reverse_iteratorISI_EEEEENSH_IJSG_SG_SG_EEES9_SI_JZNS1_25segmented_radix_sort_implINS0_14default_configELb1EPKhPhPKlPlN2at6native12_GLOBAL__N_18offset_tEEE10hipError_tPvRmT1_PNSt15iterator_traitsIS12_E10value_typeET2_T3_PNS13_IS18_E10value_typeET4_jRbjT5_S1E_jjP12ihipStream_tbEUljE_ZNSN_ISO_Lb1ESQ_SR_ST_SU_SY_EESZ_S10_S11_S12_S16_S17_S18_S1B_S1C_jS1D_jS1E_S1E_jjS1G_bEUljE0_EEESZ_S10_S11_S18_S1C_S1E_T6_T7_T9_mT8_S1G_bDpT10_ENKUlT_T0_E_clISt17integral_constantIbLb1EES1T_IbLb0EEEEDaS1P_S1Q_EUlS1P_E_NS1_11comp_targetILNS1_3genE4ELNS1_11target_archE910ELNS1_3gpuE8ELNS1_3repE0EEENS1_30default_config_static_selectorELNS0_4arch9wavefront6targetE1EEEvS12_,@function
_ZN7rocprim17ROCPRIM_400000_NS6detail17trampoline_kernelINS0_13select_configILj256ELj13ELNS0_17block_load_methodE3ELS4_3ELS4_3ELNS0_20block_scan_algorithmE0ELj4294967295EEENS1_25partition_config_selectorILNS1_17partition_subalgoE4EjNS0_10empty_typeEbEEZZNS1_14partition_implILS8_4ELb0ES6_15HIP_vector_typeIjLj2EENS0_17counting_iteratorIjlEEPS9_SG_NS0_5tupleIJPjSI_NS0_16reverse_iteratorISI_EEEEENSH_IJSG_SG_SG_EEES9_SI_JZNS1_25segmented_radix_sort_implINS0_14default_configELb1EPKhPhPKlPlN2at6native12_GLOBAL__N_18offset_tEEE10hipError_tPvRmT1_PNSt15iterator_traitsIS12_E10value_typeET2_T3_PNS13_IS18_E10value_typeET4_jRbjT5_S1E_jjP12ihipStream_tbEUljE_ZNSN_ISO_Lb1ESQ_SR_ST_SU_SY_EESZ_S10_S11_S12_S16_S17_S18_S1B_S1C_jS1D_jS1E_S1E_jjS1G_bEUljE0_EEESZ_S10_S11_S18_S1C_S1E_T6_T7_T9_mT8_S1G_bDpT10_ENKUlT_T0_E_clISt17integral_constantIbLb1EES1T_IbLb0EEEEDaS1P_S1Q_EUlS1P_E_NS1_11comp_targetILNS1_3genE4ELNS1_11target_archE910ELNS1_3gpuE8ELNS1_3repE0EEENS1_30default_config_static_selectorELNS0_4arch9wavefront6targetE1EEEvS12_: ; @_ZN7rocprim17ROCPRIM_400000_NS6detail17trampoline_kernelINS0_13select_configILj256ELj13ELNS0_17block_load_methodE3ELS4_3ELS4_3ELNS0_20block_scan_algorithmE0ELj4294967295EEENS1_25partition_config_selectorILNS1_17partition_subalgoE4EjNS0_10empty_typeEbEEZZNS1_14partition_implILS8_4ELb0ES6_15HIP_vector_typeIjLj2EENS0_17counting_iteratorIjlEEPS9_SG_NS0_5tupleIJPjSI_NS0_16reverse_iteratorISI_EEEEENSH_IJSG_SG_SG_EEES9_SI_JZNS1_25segmented_radix_sort_implINS0_14default_configELb1EPKhPhPKlPlN2at6native12_GLOBAL__N_18offset_tEEE10hipError_tPvRmT1_PNSt15iterator_traitsIS12_E10value_typeET2_T3_PNS13_IS18_E10value_typeET4_jRbjT5_S1E_jjP12ihipStream_tbEUljE_ZNSN_ISO_Lb1ESQ_SR_ST_SU_SY_EESZ_S10_S11_S12_S16_S17_S18_S1B_S1C_jS1D_jS1E_S1E_jjS1G_bEUljE0_EEESZ_S10_S11_S18_S1C_S1E_T6_T7_T9_mT8_S1G_bDpT10_ENKUlT_T0_E_clISt17integral_constantIbLb1EES1T_IbLb0EEEEDaS1P_S1Q_EUlS1P_E_NS1_11comp_targetILNS1_3genE4ELNS1_11target_archE910ELNS1_3gpuE8ELNS1_3repE0EEENS1_30default_config_static_selectorELNS0_4arch9wavefront6targetE1EEEvS12_
; %bb.0:
	.section	.rodata,"a",@progbits
	.p2align	6, 0x0
	.amdhsa_kernel _ZN7rocprim17ROCPRIM_400000_NS6detail17trampoline_kernelINS0_13select_configILj256ELj13ELNS0_17block_load_methodE3ELS4_3ELS4_3ELNS0_20block_scan_algorithmE0ELj4294967295EEENS1_25partition_config_selectorILNS1_17partition_subalgoE4EjNS0_10empty_typeEbEEZZNS1_14partition_implILS8_4ELb0ES6_15HIP_vector_typeIjLj2EENS0_17counting_iteratorIjlEEPS9_SG_NS0_5tupleIJPjSI_NS0_16reverse_iteratorISI_EEEEENSH_IJSG_SG_SG_EEES9_SI_JZNS1_25segmented_radix_sort_implINS0_14default_configELb1EPKhPhPKlPlN2at6native12_GLOBAL__N_18offset_tEEE10hipError_tPvRmT1_PNSt15iterator_traitsIS12_E10value_typeET2_T3_PNS13_IS18_E10value_typeET4_jRbjT5_S1E_jjP12ihipStream_tbEUljE_ZNSN_ISO_Lb1ESQ_SR_ST_SU_SY_EESZ_S10_S11_S12_S16_S17_S18_S1B_S1C_jS1D_jS1E_S1E_jjS1G_bEUljE0_EEESZ_S10_S11_S18_S1C_S1E_T6_T7_T9_mT8_S1G_bDpT10_ENKUlT_T0_E_clISt17integral_constantIbLb1EES1T_IbLb0EEEEDaS1P_S1Q_EUlS1P_E_NS1_11comp_targetILNS1_3genE4ELNS1_11target_archE910ELNS1_3gpuE8ELNS1_3repE0EEENS1_30default_config_static_selectorELNS0_4arch9wavefront6targetE1EEEvS12_
		.amdhsa_group_segment_fixed_size 0
		.amdhsa_private_segment_fixed_size 0
		.amdhsa_kernarg_size 176
		.amdhsa_user_sgpr_count 6
		.amdhsa_user_sgpr_private_segment_buffer 1
		.amdhsa_user_sgpr_dispatch_ptr 0
		.amdhsa_user_sgpr_queue_ptr 0
		.amdhsa_user_sgpr_kernarg_segment_ptr 1
		.amdhsa_user_sgpr_dispatch_id 0
		.amdhsa_user_sgpr_flat_scratch_init 0
		.amdhsa_user_sgpr_private_segment_size 0
		.amdhsa_uses_dynamic_stack 0
		.amdhsa_system_sgpr_private_segment_wavefront_offset 0
		.amdhsa_system_sgpr_workgroup_id_x 1
		.amdhsa_system_sgpr_workgroup_id_y 0
		.amdhsa_system_sgpr_workgroup_id_z 0
		.amdhsa_system_sgpr_workgroup_info 0
		.amdhsa_system_vgpr_workitem_id 0
		.amdhsa_next_free_vgpr 1
		.amdhsa_next_free_sgpr 0
		.amdhsa_reserve_vcc 0
		.amdhsa_reserve_flat_scratch 0
		.amdhsa_float_round_mode_32 0
		.amdhsa_float_round_mode_16_64 0
		.amdhsa_float_denorm_mode_32 3
		.amdhsa_float_denorm_mode_16_64 3
		.amdhsa_dx10_clamp 1
		.amdhsa_ieee_mode 1
		.amdhsa_fp16_overflow 0
		.amdhsa_exception_fp_ieee_invalid_op 0
		.amdhsa_exception_fp_denorm_src 0
		.amdhsa_exception_fp_ieee_div_zero 0
		.amdhsa_exception_fp_ieee_overflow 0
		.amdhsa_exception_fp_ieee_underflow 0
		.amdhsa_exception_fp_ieee_inexact 0
		.amdhsa_exception_int_div_zero 0
	.end_amdhsa_kernel
	.section	.text._ZN7rocprim17ROCPRIM_400000_NS6detail17trampoline_kernelINS0_13select_configILj256ELj13ELNS0_17block_load_methodE3ELS4_3ELS4_3ELNS0_20block_scan_algorithmE0ELj4294967295EEENS1_25partition_config_selectorILNS1_17partition_subalgoE4EjNS0_10empty_typeEbEEZZNS1_14partition_implILS8_4ELb0ES6_15HIP_vector_typeIjLj2EENS0_17counting_iteratorIjlEEPS9_SG_NS0_5tupleIJPjSI_NS0_16reverse_iteratorISI_EEEEENSH_IJSG_SG_SG_EEES9_SI_JZNS1_25segmented_radix_sort_implINS0_14default_configELb1EPKhPhPKlPlN2at6native12_GLOBAL__N_18offset_tEEE10hipError_tPvRmT1_PNSt15iterator_traitsIS12_E10value_typeET2_T3_PNS13_IS18_E10value_typeET4_jRbjT5_S1E_jjP12ihipStream_tbEUljE_ZNSN_ISO_Lb1ESQ_SR_ST_SU_SY_EESZ_S10_S11_S12_S16_S17_S18_S1B_S1C_jS1D_jS1E_S1E_jjS1G_bEUljE0_EEESZ_S10_S11_S18_S1C_S1E_T6_T7_T9_mT8_S1G_bDpT10_ENKUlT_T0_E_clISt17integral_constantIbLb1EES1T_IbLb0EEEEDaS1P_S1Q_EUlS1P_E_NS1_11comp_targetILNS1_3genE4ELNS1_11target_archE910ELNS1_3gpuE8ELNS1_3repE0EEENS1_30default_config_static_selectorELNS0_4arch9wavefront6targetE1EEEvS12_,"axG",@progbits,_ZN7rocprim17ROCPRIM_400000_NS6detail17trampoline_kernelINS0_13select_configILj256ELj13ELNS0_17block_load_methodE3ELS4_3ELS4_3ELNS0_20block_scan_algorithmE0ELj4294967295EEENS1_25partition_config_selectorILNS1_17partition_subalgoE4EjNS0_10empty_typeEbEEZZNS1_14partition_implILS8_4ELb0ES6_15HIP_vector_typeIjLj2EENS0_17counting_iteratorIjlEEPS9_SG_NS0_5tupleIJPjSI_NS0_16reverse_iteratorISI_EEEEENSH_IJSG_SG_SG_EEES9_SI_JZNS1_25segmented_radix_sort_implINS0_14default_configELb1EPKhPhPKlPlN2at6native12_GLOBAL__N_18offset_tEEE10hipError_tPvRmT1_PNSt15iterator_traitsIS12_E10value_typeET2_T3_PNS13_IS18_E10value_typeET4_jRbjT5_S1E_jjP12ihipStream_tbEUljE_ZNSN_ISO_Lb1ESQ_SR_ST_SU_SY_EESZ_S10_S11_S12_S16_S17_S18_S1B_S1C_jS1D_jS1E_S1E_jjS1G_bEUljE0_EEESZ_S10_S11_S18_S1C_S1E_T6_T7_T9_mT8_S1G_bDpT10_ENKUlT_T0_E_clISt17integral_constantIbLb1EES1T_IbLb0EEEEDaS1P_S1Q_EUlS1P_E_NS1_11comp_targetILNS1_3genE4ELNS1_11target_archE910ELNS1_3gpuE8ELNS1_3repE0EEENS1_30default_config_static_selectorELNS0_4arch9wavefront6targetE1EEEvS12_,comdat
.Lfunc_end32:
	.size	_ZN7rocprim17ROCPRIM_400000_NS6detail17trampoline_kernelINS0_13select_configILj256ELj13ELNS0_17block_load_methodE3ELS4_3ELS4_3ELNS0_20block_scan_algorithmE0ELj4294967295EEENS1_25partition_config_selectorILNS1_17partition_subalgoE4EjNS0_10empty_typeEbEEZZNS1_14partition_implILS8_4ELb0ES6_15HIP_vector_typeIjLj2EENS0_17counting_iteratorIjlEEPS9_SG_NS0_5tupleIJPjSI_NS0_16reverse_iteratorISI_EEEEENSH_IJSG_SG_SG_EEES9_SI_JZNS1_25segmented_radix_sort_implINS0_14default_configELb1EPKhPhPKlPlN2at6native12_GLOBAL__N_18offset_tEEE10hipError_tPvRmT1_PNSt15iterator_traitsIS12_E10value_typeET2_T3_PNS13_IS18_E10value_typeET4_jRbjT5_S1E_jjP12ihipStream_tbEUljE_ZNSN_ISO_Lb1ESQ_SR_ST_SU_SY_EESZ_S10_S11_S12_S16_S17_S18_S1B_S1C_jS1D_jS1E_S1E_jjS1G_bEUljE0_EEESZ_S10_S11_S18_S1C_S1E_T6_T7_T9_mT8_S1G_bDpT10_ENKUlT_T0_E_clISt17integral_constantIbLb1EES1T_IbLb0EEEEDaS1P_S1Q_EUlS1P_E_NS1_11comp_targetILNS1_3genE4ELNS1_11target_archE910ELNS1_3gpuE8ELNS1_3repE0EEENS1_30default_config_static_selectorELNS0_4arch9wavefront6targetE1EEEvS12_, .Lfunc_end32-_ZN7rocprim17ROCPRIM_400000_NS6detail17trampoline_kernelINS0_13select_configILj256ELj13ELNS0_17block_load_methodE3ELS4_3ELS4_3ELNS0_20block_scan_algorithmE0ELj4294967295EEENS1_25partition_config_selectorILNS1_17partition_subalgoE4EjNS0_10empty_typeEbEEZZNS1_14partition_implILS8_4ELb0ES6_15HIP_vector_typeIjLj2EENS0_17counting_iteratorIjlEEPS9_SG_NS0_5tupleIJPjSI_NS0_16reverse_iteratorISI_EEEEENSH_IJSG_SG_SG_EEES9_SI_JZNS1_25segmented_radix_sort_implINS0_14default_configELb1EPKhPhPKlPlN2at6native12_GLOBAL__N_18offset_tEEE10hipError_tPvRmT1_PNSt15iterator_traitsIS12_E10value_typeET2_T3_PNS13_IS18_E10value_typeET4_jRbjT5_S1E_jjP12ihipStream_tbEUljE_ZNSN_ISO_Lb1ESQ_SR_ST_SU_SY_EESZ_S10_S11_S12_S16_S17_S18_S1B_S1C_jS1D_jS1E_S1E_jjS1G_bEUljE0_EEESZ_S10_S11_S18_S1C_S1E_T6_T7_T9_mT8_S1G_bDpT10_ENKUlT_T0_E_clISt17integral_constantIbLb1EES1T_IbLb0EEEEDaS1P_S1Q_EUlS1P_E_NS1_11comp_targetILNS1_3genE4ELNS1_11target_archE910ELNS1_3gpuE8ELNS1_3repE0EEENS1_30default_config_static_selectorELNS0_4arch9wavefront6targetE1EEEvS12_
                                        ; -- End function
	.set _ZN7rocprim17ROCPRIM_400000_NS6detail17trampoline_kernelINS0_13select_configILj256ELj13ELNS0_17block_load_methodE3ELS4_3ELS4_3ELNS0_20block_scan_algorithmE0ELj4294967295EEENS1_25partition_config_selectorILNS1_17partition_subalgoE4EjNS0_10empty_typeEbEEZZNS1_14partition_implILS8_4ELb0ES6_15HIP_vector_typeIjLj2EENS0_17counting_iteratorIjlEEPS9_SG_NS0_5tupleIJPjSI_NS0_16reverse_iteratorISI_EEEEENSH_IJSG_SG_SG_EEES9_SI_JZNS1_25segmented_radix_sort_implINS0_14default_configELb1EPKhPhPKlPlN2at6native12_GLOBAL__N_18offset_tEEE10hipError_tPvRmT1_PNSt15iterator_traitsIS12_E10value_typeET2_T3_PNS13_IS18_E10value_typeET4_jRbjT5_S1E_jjP12ihipStream_tbEUljE_ZNSN_ISO_Lb1ESQ_SR_ST_SU_SY_EESZ_S10_S11_S12_S16_S17_S18_S1B_S1C_jS1D_jS1E_S1E_jjS1G_bEUljE0_EEESZ_S10_S11_S18_S1C_S1E_T6_T7_T9_mT8_S1G_bDpT10_ENKUlT_T0_E_clISt17integral_constantIbLb1EES1T_IbLb0EEEEDaS1P_S1Q_EUlS1P_E_NS1_11comp_targetILNS1_3genE4ELNS1_11target_archE910ELNS1_3gpuE8ELNS1_3repE0EEENS1_30default_config_static_selectorELNS0_4arch9wavefront6targetE1EEEvS12_.num_vgpr, 0
	.set _ZN7rocprim17ROCPRIM_400000_NS6detail17trampoline_kernelINS0_13select_configILj256ELj13ELNS0_17block_load_methodE3ELS4_3ELS4_3ELNS0_20block_scan_algorithmE0ELj4294967295EEENS1_25partition_config_selectorILNS1_17partition_subalgoE4EjNS0_10empty_typeEbEEZZNS1_14partition_implILS8_4ELb0ES6_15HIP_vector_typeIjLj2EENS0_17counting_iteratorIjlEEPS9_SG_NS0_5tupleIJPjSI_NS0_16reverse_iteratorISI_EEEEENSH_IJSG_SG_SG_EEES9_SI_JZNS1_25segmented_radix_sort_implINS0_14default_configELb1EPKhPhPKlPlN2at6native12_GLOBAL__N_18offset_tEEE10hipError_tPvRmT1_PNSt15iterator_traitsIS12_E10value_typeET2_T3_PNS13_IS18_E10value_typeET4_jRbjT5_S1E_jjP12ihipStream_tbEUljE_ZNSN_ISO_Lb1ESQ_SR_ST_SU_SY_EESZ_S10_S11_S12_S16_S17_S18_S1B_S1C_jS1D_jS1E_S1E_jjS1G_bEUljE0_EEESZ_S10_S11_S18_S1C_S1E_T6_T7_T9_mT8_S1G_bDpT10_ENKUlT_T0_E_clISt17integral_constantIbLb1EES1T_IbLb0EEEEDaS1P_S1Q_EUlS1P_E_NS1_11comp_targetILNS1_3genE4ELNS1_11target_archE910ELNS1_3gpuE8ELNS1_3repE0EEENS1_30default_config_static_selectorELNS0_4arch9wavefront6targetE1EEEvS12_.num_agpr, 0
	.set _ZN7rocprim17ROCPRIM_400000_NS6detail17trampoline_kernelINS0_13select_configILj256ELj13ELNS0_17block_load_methodE3ELS4_3ELS4_3ELNS0_20block_scan_algorithmE0ELj4294967295EEENS1_25partition_config_selectorILNS1_17partition_subalgoE4EjNS0_10empty_typeEbEEZZNS1_14partition_implILS8_4ELb0ES6_15HIP_vector_typeIjLj2EENS0_17counting_iteratorIjlEEPS9_SG_NS0_5tupleIJPjSI_NS0_16reverse_iteratorISI_EEEEENSH_IJSG_SG_SG_EEES9_SI_JZNS1_25segmented_radix_sort_implINS0_14default_configELb1EPKhPhPKlPlN2at6native12_GLOBAL__N_18offset_tEEE10hipError_tPvRmT1_PNSt15iterator_traitsIS12_E10value_typeET2_T3_PNS13_IS18_E10value_typeET4_jRbjT5_S1E_jjP12ihipStream_tbEUljE_ZNSN_ISO_Lb1ESQ_SR_ST_SU_SY_EESZ_S10_S11_S12_S16_S17_S18_S1B_S1C_jS1D_jS1E_S1E_jjS1G_bEUljE0_EEESZ_S10_S11_S18_S1C_S1E_T6_T7_T9_mT8_S1G_bDpT10_ENKUlT_T0_E_clISt17integral_constantIbLb1EES1T_IbLb0EEEEDaS1P_S1Q_EUlS1P_E_NS1_11comp_targetILNS1_3genE4ELNS1_11target_archE910ELNS1_3gpuE8ELNS1_3repE0EEENS1_30default_config_static_selectorELNS0_4arch9wavefront6targetE1EEEvS12_.numbered_sgpr, 0
	.set _ZN7rocprim17ROCPRIM_400000_NS6detail17trampoline_kernelINS0_13select_configILj256ELj13ELNS0_17block_load_methodE3ELS4_3ELS4_3ELNS0_20block_scan_algorithmE0ELj4294967295EEENS1_25partition_config_selectorILNS1_17partition_subalgoE4EjNS0_10empty_typeEbEEZZNS1_14partition_implILS8_4ELb0ES6_15HIP_vector_typeIjLj2EENS0_17counting_iteratorIjlEEPS9_SG_NS0_5tupleIJPjSI_NS0_16reverse_iteratorISI_EEEEENSH_IJSG_SG_SG_EEES9_SI_JZNS1_25segmented_radix_sort_implINS0_14default_configELb1EPKhPhPKlPlN2at6native12_GLOBAL__N_18offset_tEEE10hipError_tPvRmT1_PNSt15iterator_traitsIS12_E10value_typeET2_T3_PNS13_IS18_E10value_typeET4_jRbjT5_S1E_jjP12ihipStream_tbEUljE_ZNSN_ISO_Lb1ESQ_SR_ST_SU_SY_EESZ_S10_S11_S12_S16_S17_S18_S1B_S1C_jS1D_jS1E_S1E_jjS1G_bEUljE0_EEESZ_S10_S11_S18_S1C_S1E_T6_T7_T9_mT8_S1G_bDpT10_ENKUlT_T0_E_clISt17integral_constantIbLb1EES1T_IbLb0EEEEDaS1P_S1Q_EUlS1P_E_NS1_11comp_targetILNS1_3genE4ELNS1_11target_archE910ELNS1_3gpuE8ELNS1_3repE0EEENS1_30default_config_static_selectorELNS0_4arch9wavefront6targetE1EEEvS12_.num_named_barrier, 0
	.set _ZN7rocprim17ROCPRIM_400000_NS6detail17trampoline_kernelINS0_13select_configILj256ELj13ELNS0_17block_load_methodE3ELS4_3ELS4_3ELNS0_20block_scan_algorithmE0ELj4294967295EEENS1_25partition_config_selectorILNS1_17partition_subalgoE4EjNS0_10empty_typeEbEEZZNS1_14partition_implILS8_4ELb0ES6_15HIP_vector_typeIjLj2EENS0_17counting_iteratorIjlEEPS9_SG_NS0_5tupleIJPjSI_NS0_16reverse_iteratorISI_EEEEENSH_IJSG_SG_SG_EEES9_SI_JZNS1_25segmented_radix_sort_implINS0_14default_configELb1EPKhPhPKlPlN2at6native12_GLOBAL__N_18offset_tEEE10hipError_tPvRmT1_PNSt15iterator_traitsIS12_E10value_typeET2_T3_PNS13_IS18_E10value_typeET4_jRbjT5_S1E_jjP12ihipStream_tbEUljE_ZNSN_ISO_Lb1ESQ_SR_ST_SU_SY_EESZ_S10_S11_S12_S16_S17_S18_S1B_S1C_jS1D_jS1E_S1E_jjS1G_bEUljE0_EEESZ_S10_S11_S18_S1C_S1E_T6_T7_T9_mT8_S1G_bDpT10_ENKUlT_T0_E_clISt17integral_constantIbLb1EES1T_IbLb0EEEEDaS1P_S1Q_EUlS1P_E_NS1_11comp_targetILNS1_3genE4ELNS1_11target_archE910ELNS1_3gpuE8ELNS1_3repE0EEENS1_30default_config_static_selectorELNS0_4arch9wavefront6targetE1EEEvS12_.private_seg_size, 0
	.set _ZN7rocprim17ROCPRIM_400000_NS6detail17trampoline_kernelINS0_13select_configILj256ELj13ELNS0_17block_load_methodE3ELS4_3ELS4_3ELNS0_20block_scan_algorithmE0ELj4294967295EEENS1_25partition_config_selectorILNS1_17partition_subalgoE4EjNS0_10empty_typeEbEEZZNS1_14partition_implILS8_4ELb0ES6_15HIP_vector_typeIjLj2EENS0_17counting_iteratorIjlEEPS9_SG_NS0_5tupleIJPjSI_NS0_16reverse_iteratorISI_EEEEENSH_IJSG_SG_SG_EEES9_SI_JZNS1_25segmented_radix_sort_implINS0_14default_configELb1EPKhPhPKlPlN2at6native12_GLOBAL__N_18offset_tEEE10hipError_tPvRmT1_PNSt15iterator_traitsIS12_E10value_typeET2_T3_PNS13_IS18_E10value_typeET4_jRbjT5_S1E_jjP12ihipStream_tbEUljE_ZNSN_ISO_Lb1ESQ_SR_ST_SU_SY_EESZ_S10_S11_S12_S16_S17_S18_S1B_S1C_jS1D_jS1E_S1E_jjS1G_bEUljE0_EEESZ_S10_S11_S18_S1C_S1E_T6_T7_T9_mT8_S1G_bDpT10_ENKUlT_T0_E_clISt17integral_constantIbLb1EES1T_IbLb0EEEEDaS1P_S1Q_EUlS1P_E_NS1_11comp_targetILNS1_3genE4ELNS1_11target_archE910ELNS1_3gpuE8ELNS1_3repE0EEENS1_30default_config_static_selectorELNS0_4arch9wavefront6targetE1EEEvS12_.uses_vcc, 0
	.set _ZN7rocprim17ROCPRIM_400000_NS6detail17trampoline_kernelINS0_13select_configILj256ELj13ELNS0_17block_load_methodE3ELS4_3ELS4_3ELNS0_20block_scan_algorithmE0ELj4294967295EEENS1_25partition_config_selectorILNS1_17partition_subalgoE4EjNS0_10empty_typeEbEEZZNS1_14partition_implILS8_4ELb0ES6_15HIP_vector_typeIjLj2EENS0_17counting_iteratorIjlEEPS9_SG_NS0_5tupleIJPjSI_NS0_16reverse_iteratorISI_EEEEENSH_IJSG_SG_SG_EEES9_SI_JZNS1_25segmented_radix_sort_implINS0_14default_configELb1EPKhPhPKlPlN2at6native12_GLOBAL__N_18offset_tEEE10hipError_tPvRmT1_PNSt15iterator_traitsIS12_E10value_typeET2_T3_PNS13_IS18_E10value_typeET4_jRbjT5_S1E_jjP12ihipStream_tbEUljE_ZNSN_ISO_Lb1ESQ_SR_ST_SU_SY_EESZ_S10_S11_S12_S16_S17_S18_S1B_S1C_jS1D_jS1E_S1E_jjS1G_bEUljE0_EEESZ_S10_S11_S18_S1C_S1E_T6_T7_T9_mT8_S1G_bDpT10_ENKUlT_T0_E_clISt17integral_constantIbLb1EES1T_IbLb0EEEEDaS1P_S1Q_EUlS1P_E_NS1_11comp_targetILNS1_3genE4ELNS1_11target_archE910ELNS1_3gpuE8ELNS1_3repE0EEENS1_30default_config_static_selectorELNS0_4arch9wavefront6targetE1EEEvS12_.uses_flat_scratch, 0
	.set _ZN7rocprim17ROCPRIM_400000_NS6detail17trampoline_kernelINS0_13select_configILj256ELj13ELNS0_17block_load_methodE3ELS4_3ELS4_3ELNS0_20block_scan_algorithmE0ELj4294967295EEENS1_25partition_config_selectorILNS1_17partition_subalgoE4EjNS0_10empty_typeEbEEZZNS1_14partition_implILS8_4ELb0ES6_15HIP_vector_typeIjLj2EENS0_17counting_iteratorIjlEEPS9_SG_NS0_5tupleIJPjSI_NS0_16reverse_iteratorISI_EEEEENSH_IJSG_SG_SG_EEES9_SI_JZNS1_25segmented_radix_sort_implINS0_14default_configELb1EPKhPhPKlPlN2at6native12_GLOBAL__N_18offset_tEEE10hipError_tPvRmT1_PNSt15iterator_traitsIS12_E10value_typeET2_T3_PNS13_IS18_E10value_typeET4_jRbjT5_S1E_jjP12ihipStream_tbEUljE_ZNSN_ISO_Lb1ESQ_SR_ST_SU_SY_EESZ_S10_S11_S12_S16_S17_S18_S1B_S1C_jS1D_jS1E_S1E_jjS1G_bEUljE0_EEESZ_S10_S11_S18_S1C_S1E_T6_T7_T9_mT8_S1G_bDpT10_ENKUlT_T0_E_clISt17integral_constantIbLb1EES1T_IbLb0EEEEDaS1P_S1Q_EUlS1P_E_NS1_11comp_targetILNS1_3genE4ELNS1_11target_archE910ELNS1_3gpuE8ELNS1_3repE0EEENS1_30default_config_static_selectorELNS0_4arch9wavefront6targetE1EEEvS12_.has_dyn_sized_stack, 0
	.set _ZN7rocprim17ROCPRIM_400000_NS6detail17trampoline_kernelINS0_13select_configILj256ELj13ELNS0_17block_load_methodE3ELS4_3ELS4_3ELNS0_20block_scan_algorithmE0ELj4294967295EEENS1_25partition_config_selectorILNS1_17partition_subalgoE4EjNS0_10empty_typeEbEEZZNS1_14partition_implILS8_4ELb0ES6_15HIP_vector_typeIjLj2EENS0_17counting_iteratorIjlEEPS9_SG_NS0_5tupleIJPjSI_NS0_16reverse_iteratorISI_EEEEENSH_IJSG_SG_SG_EEES9_SI_JZNS1_25segmented_radix_sort_implINS0_14default_configELb1EPKhPhPKlPlN2at6native12_GLOBAL__N_18offset_tEEE10hipError_tPvRmT1_PNSt15iterator_traitsIS12_E10value_typeET2_T3_PNS13_IS18_E10value_typeET4_jRbjT5_S1E_jjP12ihipStream_tbEUljE_ZNSN_ISO_Lb1ESQ_SR_ST_SU_SY_EESZ_S10_S11_S12_S16_S17_S18_S1B_S1C_jS1D_jS1E_S1E_jjS1G_bEUljE0_EEESZ_S10_S11_S18_S1C_S1E_T6_T7_T9_mT8_S1G_bDpT10_ENKUlT_T0_E_clISt17integral_constantIbLb1EES1T_IbLb0EEEEDaS1P_S1Q_EUlS1P_E_NS1_11comp_targetILNS1_3genE4ELNS1_11target_archE910ELNS1_3gpuE8ELNS1_3repE0EEENS1_30default_config_static_selectorELNS0_4arch9wavefront6targetE1EEEvS12_.has_recursion, 0
	.set _ZN7rocprim17ROCPRIM_400000_NS6detail17trampoline_kernelINS0_13select_configILj256ELj13ELNS0_17block_load_methodE3ELS4_3ELS4_3ELNS0_20block_scan_algorithmE0ELj4294967295EEENS1_25partition_config_selectorILNS1_17partition_subalgoE4EjNS0_10empty_typeEbEEZZNS1_14partition_implILS8_4ELb0ES6_15HIP_vector_typeIjLj2EENS0_17counting_iteratorIjlEEPS9_SG_NS0_5tupleIJPjSI_NS0_16reverse_iteratorISI_EEEEENSH_IJSG_SG_SG_EEES9_SI_JZNS1_25segmented_radix_sort_implINS0_14default_configELb1EPKhPhPKlPlN2at6native12_GLOBAL__N_18offset_tEEE10hipError_tPvRmT1_PNSt15iterator_traitsIS12_E10value_typeET2_T3_PNS13_IS18_E10value_typeET4_jRbjT5_S1E_jjP12ihipStream_tbEUljE_ZNSN_ISO_Lb1ESQ_SR_ST_SU_SY_EESZ_S10_S11_S12_S16_S17_S18_S1B_S1C_jS1D_jS1E_S1E_jjS1G_bEUljE0_EEESZ_S10_S11_S18_S1C_S1E_T6_T7_T9_mT8_S1G_bDpT10_ENKUlT_T0_E_clISt17integral_constantIbLb1EES1T_IbLb0EEEEDaS1P_S1Q_EUlS1P_E_NS1_11comp_targetILNS1_3genE4ELNS1_11target_archE910ELNS1_3gpuE8ELNS1_3repE0EEENS1_30default_config_static_selectorELNS0_4arch9wavefront6targetE1EEEvS12_.has_indirect_call, 0
	.section	.AMDGPU.csdata,"",@progbits
; Kernel info:
; codeLenInByte = 0
; TotalNumSgprs: 4
; NumVgprs: 0
; ScratchSize: 0
; MemoryBound: 0
; FloatMode: 240
; IeeeMode: 1
; LDSByteSize: 0 bytes/workgroup (compile time only)
; SGPRBlocks: 0
; VGPRBlocks: 0
; NumSGPRsForWavesPerEU: 4
; NumVGPRsForWavesPerEU: 1
; Occupancy: 10
; WaveLimiterHint : 0
; COMPUTE_PGM_RSRC2:SCRATCH_EN: 0
; COMPUTE_PGM_RSRC2:USER_SGPR: 6
; COMPUTE_PGM_RSRC2:TRAP_HANDLER: 0
; COMPUTE_PGM_RSRC2:TGID_X_EN: 1
; COMPUTE_PGM_RSRC2:TGID_Y_EN: 0
; COMPUTE_PGM_RSRC2:TGID_Z_EN: 0
; COMPUTE_PGM_RSRC2:TIDIG_COMP_CNT: 0
	.section	.text._ZN7rocprim17ROCPRIM_400000_NS6detail17trampoline_kernelINS0_13select_configILj256ELj13ELNS0_17block_load_methodE3ELS4_3ELS4_3ELNS0_20block_scan_algorithmE0ELj4294967295EEENS1_25partition_config_selectorILNS1_17partition_subalgoE4EjNS0_10empty_typeEbEEZZNS1_14partition_implILS8_4ELb0ES6_15HIP_vector_typeIjLj2EENS0_17counting_iteratorIjlEEPS9_SG_NS0_5tupleIJPjSI_NS0_16reverse_iteratorISI_EEEEENSH_IJSG_SG_SG_EEES9_SI_JZNS1_25segmented_radix_sort_implINS0_14default_configELb1EPKhPhPKlPlN2at6native12_GLOBAL__N_18offset_tEEE10hipError_tPvRmT1_PNSt15iterator_traitsIS12_E10value_typeET2_T3_PNS13_IS18_E10value_typeET4_jRbjT5_S1E_jjP12ihipStream_tbEUljE_ZNSN_ISO_Lb1ESQ_SR_ST_SU_SY_EESZ_S10_S11_S12_S16_S17_S18_S1B_S1C_jS1D_jS1E_S1E_jjS1G_bEUljE0_EEESZ_S10_S11_S18_S1C_S1E_T6_T7_T9_mT8_S1G_bDpT10_ENKUlT_T0_E_clISt17integral_constantIbLb1EES1T_IbLb0EEEEDaS1P_S1Q_EUlS1P_E_NS1_11comp_targetILNS1_3genE3ELNS1_11target_archE908ELNS1_3gpuE7ELNS1_3repE0EEENS1_30default_config_static_selectorELNS0_4arch9wavefront6targetE1EEEvS12_,"axG",@progbits,_ZN7rocprim17ROCPRIM_400000_NS6detail17trampoline_kernelINS0_13select_configILj256ELj13ELNS0_17block_load_methodE3ELS4_3ELS4_3ELNS0_20block_scan_algorithmE0ELj4294967295EEENS1_25partition_config_selectorILNS1_17partition_subalgoE4EjNS0_10empty_typeEbEEZZNS1_14partition_implILS8_4ELb0ES6_15HIP_vector_typeIjLj2EENS0_17counting_iteratorIjlEEPS9_SG_NS0_5tupleIJPjSI_NS0_16reverse_iteratorISI_EEEEENSH_IJSG_SG_SG_EEES9_SI_JZNS1_25segmented_radix_sort_implINS0_14default_configELb1EPKhPhPKlPlN2at6native12_GLOBAL__N_18offset_tEEE10hipError_tPvRmT1_PNSt15iterator_traitsIS12_E10value_typeET2_T3_PNS13_IS18_E10value_typeET4_jRbjT5_S1E_jjP12ihipStream_tbEUljE_ZNSN_ISO_Lb1ESQ_SR_ST_SU_SY_EESZ_S10_S11_S12_S16_S17_S18_S1B_S1C_jS1D_jS1E_S1E_jjS1G_bEUljE0_EEESZ_S10_S11_S18_S1C_S1E_T6_T7_T9_mT8_S1G_bDpT10_ENKUlT_T0_E_clISt17integral_constantIbLb1EES1T_IbLb0EEEEDaS1P_S1Q_EUlS1P_E_NS1_11comp_targetILNS1_3genE3ELNS1_11target_archE908ELNS1_3gpuE7ELNS1_3repE0EEENS1_30default_config_static_selectorELNS0_4arch9wavefront6targetE1EEEvS12_,comdat
	.globl	_ZN7rocprim17ROCPRIM_400000_NS6detail17trampoline_kernelINS0_13select_configILj256ELj13ELNS0_17block_load_methodE3ELS4_3ELS4_3ELNS0_20block_scan_algorithmE0ELj4294967295EEENS1_25partition_config_selectorILNS1_17partition_subalgoE4EjNS0_10empty_typeEbEEZZNS1_14partition_implILS8_4ELb0ES6_15HIP_vector_typeIjLj2EENS0_17counting_iteratorIjlEEPS9_SG_NS0_5tupleIJPjSI_NS0_16reverse_iteratorISI_EEEEENSH_IJSG_SG_SG_EEES9_SI_JZNS1_25segmented_radix_sort_implINS0_14default_configELb1EPKhPhPKlPlN2at6native12_GLOBAL__N_18offset_tEEE10hipError_tPvRmT1_PNSt15iterator_traitsIS12_E10value_typeET2_T3_PNS13_IS18_E10value_typeET4_jRbjT5_S1E_jjP12ihipStream_tbEUljE_ZNSN_ISO_Lb1ESQ_SR_ST_SU_SY_EESZ_S10_S11_S12_S16_S17_S18_S1B_S1C_jS1D_jS1E_S1E_jjS1G_bEUljE0_EEESZ_S10_S11_S18_S1C_S1E_T6_T7_T9_mT8_S1G_bDpT10_ENKUlT_T0_E_clISt17integral_constantIbLb1EES1T_IbLb0EEEEDaS1P_S1Q_EUlS1P_E_NS1_11comp_targetILNS1_3genE3ELNS1_11target_archE908ELNS1_3gpuE7ELNS1_3repE0EEENS1_30default_config_static_selectorELNS0_4arch9wavefront6targetE1EEEvS12_ ; -- Begin function _ZN7rocprim17ROCPRIM_400000_NS6detail17trampoline_kernelINS0_13select_configILj256ELj13ELNS0_17block_load_methodE3ELS4_3ELS4_3ELNS0_20block_scan_algorithmE0ELj4294967295EEENS1_25partition_config_selectorILNS1_17partition_subalgoE4EjNS0_10empty_typeEbEEZZNS1_14partition_implILS8_4ELb0ES6_15HIP_vector_typeIjLj2EENS0_17counting_iteratorIjlEEPS9_SG_NS0_5tupleIJPjSI_NS0_16reverse_iteratorISI_EEEEENSH_IJSG_SG_SG_EEES9_SI_JZNS1_25segmented_radix_sort_implINS0_14default_configELb1EPKhPhPKlPlN2at6native12_GLOBAL__N_18offset_tEEE10hipError_tPvRmT1_PNSt15iterator_traitsIS12_E10value_typeET2_T3_PNS13_IS18_E10value_typeET4_jRbjT5_S1E_jjP12ihipStream_tbEUljE_ZNSN_ISO_Lb1ESQ_SR_ST_SU_SY_EESZ_S10_S11_S12_S16_S17_S18_S1B_S1C_jS1D_jS1E_S1E_jjS1G_bEUljE0_EEESZ_S10_S11_S18_S1C_S1E_T6_T7_T9_mT8_S1G_bDpT10_ENKUlT_T0_E_clISt17integral_constantIbLb1EES1T_IbLb0EEEEDaS1P_S1Q_EUlS1P_E_NS1_11comp_targetILNS1_3genE3ELNS1_11target_archE908ELNS1_3gpuE7ELNS1_3repE0EEENS1_30default_config_static_selectorELNS0_4arch9wavefront6targetE1EEEvS12_
	.p2align	8
	.type	_ZN7rocprim17ROCPRIM_400000_NS6detail17trampoline_kernelINS0_13select_configILj256ELj13ELNS0_17block_load_methodE3ELS4_3ELS4_3ELNS0_20block_scan_algorithmE0ELj4294967295EEENS1_25partition_config_selectorILNS1_17partition_subalgoE4EjNS0_10empty_typeEbEEZZNS1_14partition_implILS8_4ELb0ES6_15HIP_vector_typeIjLj2EENS0_17counting_iteratorIjlEEPS9_SG_NS0_5tupleIJPjSI_NS0_16reverse_iteratorISI_EEEEENSH_IJSG_SG_SG_EEES9_SI_JZNS1_25segmented_radix_sort_implINS0_14default_configELb1EPKhPhPKlPlN2at6native12_GLOBAL__N_18offset_tEEE10hipError_tPvRmT1_PNSt15iterator_traitsIS12_E10value_typeET2_T3_PNS13_IS18_E10value_typeET4_jRbjT5_S1E_jjP12ihipStream_tbEUljE_ZNSN_ISO_Lb1ESQ_SR_ST_SU_SY_EESZ_S10_S11_S12_S16_S17_S18_S1B_S1C_jS1D_jS1E_S1E_jjS1G_bEUljE0_EEESZ_S10_S11_S18_S1C_S1E_T6_T7_T9_mT8_S1G_bDpT10_ENKUlT_T0_E_clISt17integral_constantIbLb1EES1T_IbLb0EEEEDaS1P_S1Q_EUlS1P_E_NS1_11comp_targetILNS1_3genE3ELNS1_11target_archE908ELNS1_3gpuE7ELNS1_3repE0EEENS1_30default_config_static_selectorELNS0_4arch9wavefront6targetE1EEEvS12_,@function
_ZN7rocprim17ROCPRIM_400000_NS6detail17trampoline_kernelINS0_13select_configILj256ELj13ELNS0_17block_load_methodE3ELS4_3ELS4_3ELNS0_20block_scan_algorithmE0ELj4294967295EEENS1_25partition_config_selectorILNS1_17partition_subalgoE4EjNS0_10empty_typeEbEEZZNS1_14partition_implILS8_4ELb0ES6_15HIP_vector_typeIjLj2EENS0_17counting_iteratorIjlEEPS9_SG_NS0_5tupleIJPjSI_NS0_16reverse_iteratorISI_EEEEENSH_IJSG_SG_SG_EEES9_SI_JZNS1_25segmented_radix_sort_implINS0_14default_configELb1EPKhPhPKlPlN2at6native12_GLOBAL__N_18offset_tEEE10hipError_tPvRmT1_PNSt15iterator_traitsIS12_E10value_typeET2_T3_PNS13_IS18_E10value_typeET4_jRbjT5_S1E_jjP12ihipStream_tbEUljE_ZNSN_ISO_Lb1ESQ_SR_ST_SU_SY_EESZ_S10_S11_S12_S16_S17_S18_S1B_S1C_jS1D_jS1E_S1E_jjS1G_bEUljE0_EEESZ_S10_S11_S18_S1C_S1E_T6_T7_T9_mT8_S1G_bDpT10_ENKUlT_T0_E_clISt17integral_constantIbLb1EES1T_IbLb0EEEEDaS1P_S1Q_EUlS1P_E_NS1_11comp_targetILNS1_3genE3ELNS1_11target_archE908ELNS1_3gpuE7ELNS1_3repE0EEENS1_30default_config_static_selectorELNS0_4arch9wavefront6targetE1EEEvS12_: ; @_ZN7rocprim17ROCPRIM_400000_NS6detail17trampoline_kernelINS0_13select_configILj256ELj13ELNS0_17block_load_methodE3ELS4_3ELS4_3ELNS0_20block_scan_algorithmE0ELj4294967295EEENS1_25partition_config_selectorILNS1_17partition_subalgoE4EjNS0_10empty_typeEbEEZZNS1_14partition_implILS8_4ELb0ES6_15HIP_vector_typeIjLj2EENS0_17counting_iteratorIjlEEPS9_SG_NS0_5tupleIJPjSI_NS0_16reverse_iteratorISI_EEEEENSH_IJSG_SG_SG_EEES9_SI_JZNS1_25segmented_radix_sort_implINS0_14default_configELb1EPKhPhPKlPlN2at6native12_GLOBAL__N_18offset_tEEE10hipError_tPvRmT1_PNSt15iterator_traitsIS12_E10value_typeET2_T3_PNS13_IS18_E10value_typeET4_jRbjT5_S1E_jjP12ihipStream_tbEUljE_ZNSN_ISO_Lb1ESQ_SR_ST_SU_SY_EESZ_S10_S11_S12_S16_S17_S18_S1B_S1C_jS1D_jS1E_S1E_jjS1G_bEUljE0_EEESZ_S10_S11_S18_S1C_S1E_T6_T7_T9_mT8_S1G_bDpT10_ENKUlT_T0_E_clISt17integral_constantIbLb1EES1T_IbLb0EEEEDaS1P_S1Q_EUlS1P_E_NS1_11comp_targetILNS1_3genE3ELNS1_11target_archE908ELNS1_3gpuE7ELNS1_3repE0EEENS1_30default_config_static_selectorELNS0_4arch9wavefront6targetE1EEEvS12_
; %bb.0:
	.section	.rodata,"a",@progbits
	.p2align	6, 0x0
	.amdhsa_kernel _ZN7rocprim17ROCPRIM_400000_NS6detail17trampoline_kernelINS0_13select_configILj256ELj13ELNS0_17block_load_methodE3ELS4_3ELS4_3ELNS0_20block_scan_algorithmE0ELj4294967295EEENS1_25partition_config_selectorILNS1_17partition_subalgoE4EjNS0_10empty_typeEbEEZZNS1_14partition_implILS8_4ELb0ES6_15HIP_vector_typeIjLj2EENS0_17counting_iteratorIjlEEPS9_SG_NS0_5tupleIJPjSI_NS0_16reverse_iteratorISI_EEEEENSH_IJSG_SG_SG_EEES9_SI_JZNS1_25segmented_radix_sort_implINS0_14default_configELb1EPKhPhPKlPlN2at6native12_GLOBAL__N_18offset_tEEE10hipError_tPvRmT1_PNSt15iterator_traitsIS12_E10value_typeET2_T3_PNS13_IS18_E10value_typeET4_jRbjT5_S1E_jjP12ihipStream_tbEUljE_ZNSN_ISO_Lb1ESQ_SR_ST_SU_SY_EESZ_S10_S11_S12_S16_S17_S18_S1B_S1C_jS1D_jS1E_S1E_jjS1G_bEUljE0_EEESZ_S10_S11_S18_S1C_S1E_T6_T7_T9_mT8_S1G_bDpT10_ENKUlT_T0_E_clISt17integral_constantIbLb1EES1T_IbLb0EEEEDaS1P_S1Q_EUlS1P_E_NS1_11comp_targetILNS1_3genE3ELNS1_11target_archE908ELNS1_3gpuE7ELNS1_3repE0EEENS1_30default_config_static_selectorELNS0_4arch9wavefront6targetE1EEEvS12_
		.amdhsa_group_segment_fixed_size 0
		.amdhsa_private_segment_fixed_size 0
		.amdhsa_kernarg_size 176
		.amdhsa_user_sgpr_count 6
		.amdhsa_user_sgpr_private_segment_buffer 1
		.amdhsa_user_sgpr_dispatch_ptr 0
		.amdhsa_user_sgpr_queue_ptr 0
		.amdhsa_user_sgpr_kernarg_segment_ptr 1
		.amdhsa_user_sgpr_dispatch_id 0
		.amdhsa_user_sgpr_flat_scratch_init 0
		.amdhsa_user_sgpr_private_segment_size 0
		.amdhsa_uses_dynamic_stack 0
		.amdhsa_system_sgpr_private_segment_wavefront_offset 0
		.amdhsa_system_sgpr_workgroup_id_x 1
		.amdhsa_system_sgpr_workgroup_id_y 0
		.amdhsa_system_sgpr_workgroup_id_z 0
		.amdhsa_system_sgpr_workgroup_info 0
		.amdhsa_system_vgpr_workitem_id 0
		.amdhsa_next_free_vgpr 1
		.amdhsa_next_free_sgpr 0
		.amdhsa_reserve_vcc 0
		.amdhsa_reserve_flat_scratch 0
		.amdhsa_float_round_mode_32 0
		.amdhsa_float_round_mode_16_64 0
		.amdhsa_float_denorm_mode_32 3
		.amdhsa_float_denorm_mode_16_64 3
		.amdhsa_dx10_clamp 1
		.amdhsa_ieee_mode 1
		.amdhsa_fp16_overflow 0
		.amdhsa_exception_fp_ieee_invalid_op 0
		.amdhsa_exception_fp_denorm_src 0
		.amdhsa_exception_fp_ieee_div_zero 0
		.amdhsa_exception_fp_ieee_overflow 0
		.amdhsa_exception_fp_ieee_underflow 0
		.amdhsa_exception_fp_ieee_inexact 0
		.amdhsa_exception_int_div_zero 0
	.end_amdhsa_kernel
	.section	.text._ZN7rocprim17ROCPRIM_400000_NS6detail17trampoline_kernelINS0_13select_configILj256ELj13ELNS0_17block_load_methodE3ELS4_3ELS4_3ELNS0_20block_scan_algorithmE0ELj4294967295EEENS1_25partition_config_selectorILNS1_17partition_subalgoE4EjNS0_10empty_typeEbEEZZNS1_14partition_implILS8_4ELb0ES6_15HIP_vector_typeIjLj2EENS0_17counting_iteratorIjlEEPS9_SG_NS0_5tupleIJPjSI_NS0_16reverse_iteratorISI_EEEEENSH_IJSG_SG_SG_EEES9_SI_JZNS1_25segmented_radix_sort_implINS0_14default_configELb1EPKhPhPKlPlN2at6native12_GLOBAL__N_18offset_tEEE10hipError_tPvRmT1_PNSt15iterator_traitsIS12_E10value_typeET2_T3_PNS13_IS18_E10value_typeET4_jRbjT5_S1E_jjP12ihipStream_tbEUljE_ZNSN_ISO_Lb1ESQ_SR_ST_SU_SY_EESZ_S10_S11_S12_S16_S17_S18_S1B_S1C_jS1D_jS1E_S1E_jjS1G_bEUljE0_EEESZ_S10_S11_S18_S1C_S1E_T6_T7_T9_mT8_S1G_bDpT10_ENKUlT_T0_E_clISt17integral_constantIbLb1EES1T_IbLb0EEEEDaS1P_S1Q_EUlS1P_E_NS1_11comp_targetILNS1_3genE3ELNS1_11target_archE908ELNS1_3gpuE7ELNS1_3repE0EEENS1_30default_config_static_selectorELNS0_4arch9wavefront6targetE1EEEvS12_,"axG",@progbits,_ZN7rocprim17ROCPRIM_400000_NS6detail17trampoline_kernelINS0_13select_configILj256ELj13ELNS0_17block_load_methodE3ELS4_3ELS4_3ELNS0_20block_scan_algorithmE0ELj4294967295EEENS1_25partition_config_selectorILNS1_17partition_subalgoE4EjNS0_10empty_typeEbEEZZNS1_14partition_implILS8_4ELb0ES6_15HIP_vector_typeIjLj2EENS0_17counting_iteratorIjlEEPS9_SG_NS0_5tupleIJPjSI_NS0_16reverse_iteratorISI_EEEEENSH_IJSG_SG_SG_EEES9_SI_JZNS1_25segmented_radix_sort_implINS0_14default_configELb1EPKhPhPKlPlN2at6native12_GLOBAL__N_18offset_tEEE10hipError_tPvRmT1_PNSt15iterator_traitsIS12_E10value_typeET2_T3_PNS13_IS18_E10value_typeET4_jRbjT5_S1E_jjP12ihipStream_tbEUljE_ZNSN_ISO_Lb1ESQ_SR_ST_SU_SY_EESZ_S10_S11_S12_S16_S17_S18_S1B_S1C_jS1D_jS1E_S1E_jjS1G_bEUljE0_EEESZ_S10_S11_S18_S1C_S1E_T6_T7_T9_mT8_S1G_bDpT10_ENKUlT_T0_E_clISt17integral_constantIbLb1EES1T_IbLb0EEEEDaS1P_S1Q_EUlS1P_E_NS1_11comp_targetILNS1_3genE3ELNS1_11target_archE908ELNS1_3gpuE7ELNS1_3repE0EEENS1_30default_config_static_selectorELNS0_4arch9wavefront6targetE1EEEvS12_,comdat
.Lfunc_end33:
	.size	_ZN7rocprim17ROCPRIM_400000_NS6detail17trampoline_kernelINS0_13select_configILj256ELj13ELNS0_17block_load_methodE3ELS4_3ELS4_3ELNS0_20block_scan_algorithmE0ELj4294967295EEENS1_25partition_config_selectorILNS1_17partition_subalgoE4EjNS0_10empty_typeEbEEZZNS1_14partition_implILS8_4ELb0ES6_15HIP_vector_typeIjLj2EENS0_17counting_iteratorIjlEEPS9_SG_NS0_5tupleIJPjSI_NS0_16reverse_iteratorISI_EEEEENSH_IJSG_SG_SG_EEES9_SI_JZNS1_25segmented_radix_sort_implINS0_14default_configELb1EPKhPhPKlPlN2at6native12_GLOBAL__N_18offset_tEEE10hipError_tPvRmT1_PNSt15iterator_traitsIS12_E10value_typeET2_T3_PNS13_IS18_E10value_typeET4_jRbjT5_S1E_jjP12ihipStream_tbEUljE_ZNSN_ISO_Lb1ESQ_SR_ST_SU_SY_EESZ_S10_S11_S12_S16_S17_S18_S1B_S1C_jS1D_jS1E_S1E_jjS1G_bEUljE0_EEESZ_S10_S11_S18_S1C_S1E_T6_T7_T9_mT8_S1G_bDpT10_ENKUlT_T0_E_clISt17integral_constantIbLb1EES1T_IbLb0EEEEDaS1P_S1Q_EUlS1P_E_NS1_11comp_targetILNS1_3genE3ELNS1_11target_archE908ELNS1_3gpuE7ELNS1_3repE0EEENS1_30default_config_static_selectorELNS0_4arch9wavefront6targetE1EEEvS12_, .Lfunc_end33-_ZN7rocprim17ROCPRIM_400000_NS6detail17trampoline_kernelINS0_13select_configILj256ELj13ELNS0_17block_load_methodE3ELS4_3ELS4_3ELNS0_20block_scan_algorithmE0ELj4294967295EEENS1_25partition_config_selectorILNS1_17partition_subalgoE4EjNS0_10empty_typeEbEEZZNS1_14partition_implILS8_4ELb0ES6_15HIP_vector_typeIjLj2EENS0_17counting_iteratorIjlEEPS9_SG_NS0_5tupleIJPjSI_NS0_16reverse_iteratorISI_EEEEENSH_IJSG_SG_SG_EEES9_SI_JZNS1_25segmented_radix_sort_implINS0_14default_configELb1EPKhPhPKlPlN2at6native12_GLOBAL__N_18offset_tEEE10hipError_tPvRmT1_PNSt15iterator_traitsIS12_E10value_typeET2_T3_PNS13_IS18_E10value_typeET4_jRbjT5_S1E_jjP12ihipStream_tbEUljE_ZNSN_ISO_Lb1ESQ_SR_ST_SU_SY_EESZ_S10_S11_S12_S16_S17_S18_S1B_S1C_jS1D_jS1E_S1E_jjS1G_bEUljE0_EEESZ_S10_S11_S18_S1C_S1E_T6_T7_T9_mT8_S1G_bDpT10_ENKUlT_T0_E_clISt17integral_constantIbLb1EES1T_IbLb0EEEEDaS1P_S1Q_EUlS1P_E_NS1_11comp_targetILNS1_3genE3ELNS1_11target_archE908ELNS1_3gpuE7ELNS1_3repE0EEENS1_30default_config_static_selectorELNS0_4arch9wavefront6targetE1EEEvS12_
                                        ; -- End function
	.set _ZN7rocprim17ROCPRIM_400000_NS6detail17trampoline_kernelINS0_13select_configILj256ELj13ELNS0_17block_load_methodE3ELS4_3ELS4_3ELNS0_20block_scan_algorithmE0ELj4294967295EEENS1_25partition_config_selectorILNS1_17partition_subalgoE4EjNS0_10empty_typeEbEEZZNS1_14partition_implILS8_4ELb0ES6_15HIP_vector_typeIjLj2EENS0_17counting_iteratorIjlEEPS9_SG_NS0_5tupleIJPjSI_NS0_16reverse_iteratorISI_EEEEENSH_IJSG_SG_SG_EEES9_SI_JZNS1_25segmented_radix_sort_implINS0_14default_configELb1EPKhPhPKlPlN2at6native12_GLOBAL__N_18offset_tEEE10hipError_tPvRmT1_PNSt15iterator_traitsIS12_E10value_typeET2_T3_PNS13_IS18_E10value_typeET4_jRbjT5_S1E_jjP12ihipStream_tbEUljE_ZNSN_ISO_Lb1ESQ_SR_ST_SU_SY_EESZ_S10_S11_S12_S16_S17_S18_S1B_S1C_jS1D_jS1E_S1E_jjS1G_bEUljE0_EEESZ_S10_S11_S18_S1C_S1E_T6_T7_T9_mT8_S1G_bDpT10_ENKUlT_T0_E_clISt17integral_constantIbLb1EES1T_IbLb0EEEEDaS1P_S1Q_EUlS1P_E_NS1_11comp_targetILNS1_3genE3ELNS1_11target_archE908ELNS1_3gpuE7ELNS1_3repE0EEENS1_30default_config_static_selectorELNS0_4arch9wavefront6targetE1EEEvS12_.num_vgpr, 0
	.set _ZN7rocprim17ROCPRIM_400000_NS6detail17trampoline_kernelINS0_13select_configILj256ELj13ELNS0_17block_load_methodE3ELS4_3ELS4_3ELNS0_20block_scan_algorithmE0ELj4294967295EEENS1_25partition_config_selectorILNS1_17partition_subalgoE4EjNS0_10empty_typeEbEEZZNS1_14partition_implILS8_4ELb0ES6_15HIP_vector_typeIjLj2EENS0_17counting_iteratorIjlEEPS9_SG_NS0_5tupleIJPjSI_NS0_16reverse_iteratorISI_EEEEENSH_IJSG_SG_SG_EEES9_SI_JZNS1_25segmented_radix_sort_implINS0_14default_configELb1EPKhPhPKlPlN2at6native12_GLOBAL__N_18offset_tEEE10hipError_tPvRmT1_PNSt15iterator_traitsIS12_E10value_typeET2_T3_PNS13_IS18_E10value_typeET4_jRbjT5_S1E_jjP12ihipStream_tbEUljE_ZNSN_ISO_Lb1ESQ_SR_ST_SU_SY_EESZ_S10_S11_S12_S16_S17_S18_S1B_S1C_jS1D_jS1E_S1E_jjS1G_bEUljE0_EEESZ_S10_S11_S18_S1C_S1E_T6_T7_T9_mT8_S1G_bDpT10_ENKUlT_T0_E_clISt17integral_constantIbLb1EES1T_IbLb0EEEEDaS1P_S1Q_EUlS1P_E_NS1_11comp_targetILNS1_3genE3ELNS1_11target_archE908ELNS1_3gpuE7ELNS1_3repE0EEENS1_30default_config_static_selectorELNS0_4arch9wavefront6targetE1EEEvS12_.num_agpr, 0
	.set _ZN7rocprim17ROCPRIM_400000_NS6detail17trampoline_kernelINS0_13select_configILj256ELj13ELNS0_17block_load_methodE3ELS4_3ELS4_3ELNS0_20block_scan_algorithmE0ELj4294967295EEENS1_25partition_config_selectorILNS1_17partition_subalgoE4EjNS0_10empty_typeEbEEZZNS1_14partition_implILS8_4ELb0ES6_15HIP_vector_typeIjLj2EENS0_17counting_iteratorIjlEEPS9_SG_NS0_5tupleIJPjSI_NS0_16reverse_iteratorISI_EEEEENSH_IJSG_SG_SG_EEES9_SI_JZNS1_25segmented_radix_sort_implINS0_14default_configELb1EPKhPhPKlPlN2at6native12_GLOBAL__N_18offset_tEEE10hipError_tPvRmT1_PNSt15iterator_traitsIS12_E10value_typeET2_T3_PNS13_IS18_E10value_typeET4_jRbjT5_S1E_jjP12ihipStream_tbEUljE_ZNSN_ISO_Lb1ESQ_SR_ST_SU_SY_EESZ_S10_S11_S12_S16_S17_S18_S1B_S1C_jS1D_jS1E_S1E_jjS1G_bEUljE0_EEESZ_S10_S11_S18_S1C_S1E_T6_T7_T9_mT8_S1G_bDpT10_ENKUlT_T0_E_clISt17integral_constantIbLb1EES1T_IbLb0EEEEDaS1P_S1Q_EUlS1P_E_NS1_11comp_targetILNS1_3genE3ELNS1_11target_archE908ELNS1_3gpuE7ELNS1_3repE0EEENS1_30default_config_static_selectorELNS0_4arch9wavefront6targetE1EEEvS12_.numbered_sgpr, 0
	.set _ZN7rocprim17ROCPRIM_400000_NS6detail17trampoline_kernelINS0_13select_configILj256ELj13ELNS0_17block_load_methodE3ELS4_3ELS4_3ELNS0_20block_scan_algorithmE0ELj4294967295EEENS1_25partition_config_selectorILNS1_17partition_subalgoE4EjNS0_10empty_typeEbEEZZNS1_14partition_implILS8_4ELb0ES6_15HIP_vector_typeIjLj2EENS0_17counting_iteratorIjlEEPS9_SG_NS0_5tupleIJPjSI_NS0_16reverse_iteratorISI_EEEEENSH_IJSG_SG_SG_EEES9_SI_JZNS1_25segmented_radix_sort_implINS0_14default_configELb1EPKhPhPKlPlN2at6native12_GLOBAL__N_18offset_tEEE10hipError_tPvRmT1_PNSt15iterator_traitsIS12_E10value_typeET2_T3_PNS13_IS18_E10value_typeET4_jRbjT5_S1E_jjP12ihipStream_tbEUljE_ZNSN_ISO_Lb1ESQ_SR_ST_SU_SY_EESZ_S10_S11_S12_S16_S17_S18_S1B_S1C_jS1D_jS1E_S1E_jjS1G_bEUljE0_EEESZ_S10_S11_S18_S1C_S1E_T6_T7_T9_mT8_S1G_bDpT10_ENKUlT_T0_E_clISt17integral_constantIbLb1EES1T_IbLb0EEEEDaS1P_S1Q_EUlS1P_E_NS1_11comp_targetILNS1_3genE3ELNS1_11target_archE908ELNS1_3gpuE7ELNS1_3repE0EEENS1_30default_config_static_selectorELNS0_4arch9wavefront6targetE1EEEvS12_.num_named_barrier, 0
	.set _ZN7rocprim17ROCPRIM_400000_NS6detail17trampoline_kernelINS0_13select_configILj256ELj13ELNS0_17block_load_methodE3ELS4_3ELS4_3ELNS0_20block_scan_algorithmE0ELj4294967295EEENS1_25partition_config_selectorILNS1_17partition_subalgoE4EjNS0_10empty_typeEbEEZZNS1_14partition_implILS8_4ELb0ES6_15HIP_vector_typeIjLj2EENS0_17counting_iteratorIjlEEPS9_SG_NS0_5tupleIJPjSI_NS0_16reverse_iteratorISI_EEEEENSH_IJSG_SG_SG_EEES9_SI_JZNS1_25segmented_radix_sort_implINS0_14default_configELb1EPKhPhPKlPlN2at6native12_GLOBAL__N_18offset_tEEE10hipError_tPvRmT1_PNSt15iterator_traitsIS12_E10value_typeET2_T3_PNS13_IS18_E10value_typeET4_jRbjT5_S1E_jjP12ihipStream_tbEUljE_ZNSN_ISO_Lb1ESQ_SR_ST_SU_SY_EESZ_S10_S11_S12_S16_S17_S18_S1B_S1C_jS1D_jS1E_S1E_jjS1G_bEUljE0_EEESZ_S10_S11_S18_S1C_S1E_T6_T7_T9_mT8_S1G_bDpT10_ENKUlT_T0_E_clISt17integral_constantIbLb1EES1T_IbLb0EEEEDaS1P_S1Q_EUlS1P_E_NS1_11comp_targetILNS1_3genE3ELNS1_11target_archE908ELNS1_3gpuE7ELNS1_3repE0EEENS1_30default_config_static_selectorELNS0_4arch9wavefront6targetE1EEEvS12_.private_seg_size, 0
	.set _ZN7rocprim17ROCPRIM_400000_NS6detail17trampoline_kernelINS0_13select_configILj256ELj13ELNS0_17block_load_methodE3ELS4_3ELS4_3ELNS0_20block_scan_algorithmE0ELj4294967295EEENS1_25partition_config_selectorILNS1_17partition_subalgoE4EjNS0_10empty_typeEbEEZZNS1_14partition_implILS8_4ELb0ES6_15HIP_vector_typeIjLj2EENS0_17counting_iteratorIjlEEPS9_SG_NS0_5tupleIJPjSI_NS0_16reverse_iteratorISI_EEEEENSH_IJSG_SG_SG_EEES9_SI_JZNS1_25segmented_radix_sort_implINS0_14default_configELb1EPKhPhPKlPlN2at6native12_GLOBAL__N_18offset_tEEE10hipError_tPvRmT1_PNSt15iterator_traitsIS12_E10value_typeET2_T3_PNS13_IS18_E10value_typeET4_jRbjT5_S1E_jjP12ihipStream_tbEUljE_ZNSN_ISO_Lb1ESQ_SR_ST_SU_SY_EESZ_S10_S11_S12_S16_S17_S18_S1B_S1C_jS1D_jS1E_S1E_jjS1G_bEUljE0_EEESZ_S10_S11_S18_S1C_S1E_T6_T7_T9_mT8_S1G_bDpT10_ENKUlT_T0_E_clISt17integral_constantIbLb1EES1T_IbLb0EEEEDaS1P_S1Q_EUlS1P_E_NS1_11comp_targetILNS1_3genE3ELNS1_11target_archE908ELNS1_3gpuE7ELNS1_3repE0EEENS1_30default_config_static_selectorELNS0_4arch9wavefront6targetE1EEEvS12_.uses_vcc, 0
	.set _ZN7rocprim17ROCPRIM_400000_NS6detail17trampoline_kernelINS0_13select_configILj256ELj13ELNS0_17block_load_methodE3ELS4_3ELS4_3ELNS0_20block_scan_algorithmE0ELj4294967295EEENS1_25partition_config_selectorILNS1_17partition_subalgoE4EjNS0_10empty_typeEbEEZZNS1_14partition_implILS8_4ELb0ES6_15HIP_vector_typeIjLj2EENS0_17counting_iteratorIjlEEPS9_SG_NS0_5tupleIJPjSI_NS0_16reverse_iteratorISI_EEEEENSH_IJSG_SG_SG_EEES9_SI_JZNS1_25segmented_radix_sort_implINS0_14default_configELb1EPKhPhPKlPlN2at6native12_GLOBAL__N_18offset_tEEE10hipError_tPvRmT1_PNSt15iterator_traitsIS12_E10value_typeET2_T3_PNS13_IS18_E10value_typeET4_jRbjT5_S1E_jjP12ihipStream_tbEUljE_ZNSN_ISO_Lb1ESQ_SR_ST_SU_SY_EESZ_S10_S11_S12_S16_S17_S18_S1B_S1C_jS1D_jS1E_S1E_jjS1G_bEUljE0_EEESZ_S10_S11_S18_S1C_S1E_T6_T7_T9_mT8_S1G_bDpT10_ENKUlT_T0_E_clISt17integral_constantIbLb1EES1T_IbLb0EEEEDaS1P_S1Q_EUlS1P_E_NS1_11comp_targetILNS1_3genE3ELNS1_11target_archE908ELNS1_3gpuE7ELNS1_3repE0EEENS1_30default_config_static_selectorELNS0_4arch9wavefront6targetE1EEEvS12_.uses_flat_scratch, 0
	.set _ZN7rocprim17ROCPRIM_400000_NS6detail17trampoline_kernelINS0_13select_configILj256ELj13ELNS0_17block_load_methodE3ELS4_3ELS4_3ELNS0_20block_scan_algorithmE0ELj4294967295EEENS1_25partition_config_selectorILNS1_17partition_subalgoE4EjNS0_10empty_typeEbEEZZNS1_14partition_implILS8_4ELb0ES6_15HIP_vector_typeIjLj2EENS0_17counting_iteratorIjlEEPS9_SG_NS0_5tupleIJPjSI_NS0_16reverse_iteratorISI_EEEEENSH_IJSG_SG_SG_EEES9_SI_JZNS1_25segmented_radix_sort_implINS0_14default_configELb1EPKhPhPKlPlN2at6native12_GLOBAL__N_18offset_tEEE10hipError_tPvRmT1_PNSt15iterator_traitsIS12_E10value_typeET2_T3_PNS13_IS18_E10value_typeET4_jRbjT5_S1E_jjP12ihipStream_tbEUljE_ZNSN_ISO_Lb1ESQ_SR_ST_SU_SY_EESZ_S10_S11_S12_S16_S17_S18_S1B_S1C_jS1D_jS1E_S1E_jjS1G_bEUljE0_EEESZ_S10_S11_S18_S1C_S1E_T6_T7_T9_mT8_S1G_bDpT10_ENKUlT_T0_E_clISt17integral_constantIbLb1EES1T_IbLb0EEEEDaS1P_S1Q_EUlS1P_E_NS1_11comp_targetILNS1_3genE3ELNS1_11target_archE908ELNS1_3gpuE7ELNS1_3repE0EEENS1_30default_config_static_selectorELNS0_4arch9wavefront6targetE1EEEvS12_.has_dyn_sized_stack, 0
	.set _ZN7rocprim17ROCPRIM_400000_NS6detail17trampoline_kernelINS0_13select_configILj256ELj13ELNS0_17block_load_methodE3ELS4_3ELS4_3ELNS0_20block_scan_algorithmE0ELj4294967295EEENS1_25partition_config_selectorILNS1_17partition_subalgoE4EjNS0_10empty_typeEbEEZZNS1_14partition_implILS8_4ELb0ES6_15HIP_vector_typeIjLj2EENS0_17counting_iteratorIjlEEPS9_SG_NS0_5tupleIJPjSI_NS0_16reverse_iteratorISI_EEEEENSH_IJSG_SG_SG_EEES9_SI_JZNS1_25segmented_radix_sort_implINS0_14default_configELb1EPKhPhPKlPlN2at6native12_GLOBAL__N_18offset_tEEE10hipError_tPvRmT1_PNSt15iterator_traitsIS12_E10value_typeET2_T3_PNS13_IS18_E10value_typeET4_jRbjT5_S1E_jjP12ihipStream_tbEUljE_ZNSN_ISO_Lb1ESQ_SR_ST_SU_SY_EESZ_S10_S11_S12_S16_S17_S18_S1B_S1C_jS1D_jS1E_S1E_jjS1G_bEUljE0_EEESZ_S10_S11_S18_S1C_S1E_T6_T7_T9_mT8_S1G_bDpT10_ENKUlT_T0_E_clISt17integral_constantIbLb1EES1T_IbLb0EEEEDaS1P_S1Q_EUlS1P_E_NS1_11comp_targetILNS1_3genE3ELNS1_11target_archE908ELNS1_3gpuE7ELNS1_3repE0EEENS1_30default_config_static_selectorELNS0_4arch9wavefront6targetE1EEEvS12_.has_recursion, 0
	.set _ZN7rocprim17ROCPRIM_400000_NS6detail17trampoline_kernelINS0_13select_configILj256ELj13ELNS0_17block_load_methodE3ELS4_3ELS4_3ELNS0_20block_scan_algorithmE0ELj4294967295EEENS1_25partition_config_selectorILNS1_17partition_subalgoE4EjNS0_10empty_typeEbEEZZNS1_14partition_implILS8_4ELb0ES6_15HIP_vector_typeIjLj2EENS0_17counting_iteratorIjlEEPS9_SG_NS0_5tupleIJPjSI_NS0_16reverse_iteratorISI_EEEEENSH_IJSG_SG_SG_EEES9_SI_JZNS1_25segmented_radix_sort_implINS0_14default_configELb1EPKhPhPKlPlN2at6native12_GLOBAL__N_18offset_tEEE10hipError_tPvRmT1_PNSt15iterator_traitsIS12_E10value_typeET2_T3_PNS13_IS18_E10value_typeET4_jRbjT5_S1E_jjP12ihipStream_tbEUljE_ZNSN_ISO_Lb1ESQ_SR_ST_SU_SY_EESZ_S10_S11_S12_S16_S17_S18_S1B_S1C_jS1D_jS1E_S1E_jjS1G_bEUljE0_EEESZ_S10_S11_S18_S1C_S1E_T6_T7_T9_mT8_S1G_bDpT10_ENKUlT_T0_E_clISt17integral_constantIbLb1EES1T_IbLb0EEEEDaS1P_S1Q_EUlS1P_E_NS1_11comp_targetILNS1_3genE3ELNS1_11target_archE908ELNS1_3gpuE7ELNS1_3repE0EEENS1_30default_config_static_selectorELNS0_4arch9wavefront6targetE1EEEvS12_.has_indirect_call, 0
	.section	.AMDGPU.csdata,"",@progbits
; Kernel info:
; codeLenInByte = 0
; TotalNumSgprs: 4
; NumVgprs: 0
; ScratchSize: 0
; MemoryBound: 0
; FloatMode: 240
; IeeeMode: 1
; LDSByteSize: 0 bytes/workgroup (compile time only)
; SGPRBlocks: 0
; VGPRBlocks: 0
; NumSGPRsForWavesPerEU: 4
; NumVGPRsForWavesPerEU: 1
; Occupancy: 10
; WaveLimiterHint : 0
; COMPUTE_PGM_RSRC2:SCRATCH_EN: 0
; COMPUTE_PGM_RSRC2:USER_SGPR: 6
; COMPUTE_PGM_RSRC2:TRAP_HANDLER: 0
; COMPUTE_PGM_RSRC2:TGID_X_EN: 1
; COMPUTE_PGM_RSRC2:TGID_Y_EN: 0
; COMPUTE_PGM_RSRC2:TGID_Z_EN: 0
; COMPUTE_PGM_RSRC2:TIDIG_COMP_CNT: 0
	.section	.text._ZN7rocprim17ROCPRIM_400000_NS6detail17trampoline_kernelINS0_13select_configILj256ELj13ELNS0_17block_load_methodE3ELS4_3ELS4_3ELNS0_20block_scan_algorithmE0ELj4294967295EEENS1_25partition_config_selectorILNS1_17partition_subalgoE4EjNS0_10empty_typeEbEEZZNS1_14partition_implILS8_4ELb0ES6_15HIP_vector_typeIjLj2EENS0_17counting_iteratorIjlEEPS9_SG_NS0_5tupleIJPjSI_NS0_16reverse_iteratorISI_EEEEENSH_IJSG_SG_SG_EEES9_SI_JZNS1_25segmented_radix_sort_implINS0_14default_configELb1EPKhPhPKlPlN2at6native12_GLOBAL__N_18offset_tEEE10hipError_tPvRmT1_PNSt15iterator_traitsIS12_E10value_typeET2_T3_PNS13_IS18_E10value_typeET4_jRbjT5_S1E_jjP12ihipStream_tbEUljE_ZNSN_ISO_Lb1ESQ_SR_ST_SU_SY_EESZ_S10_S11_S12_S16_S17_S18_S1B_S1C_jS1D_jS1E_S1E_jjS1G_bEUljE0_EEESZ_S10_S11_S18_S1C_S1E_T6_T7_T9_mT8_S1G_bDpT10_ENKUlT_T0_E_clISt17integral_constantIbLb1EES1T_IbLb0EEEEDaS1P_S1Q_EUlS1P_E_NS1_11comp_targetILNS1_3genE2ELNS1_11target_archE906ELNS1_3gpuE6ELNS1_3repE0EEENS1_30default_config_static_selectorELNS0_4arch9wavefront6targetE1EEEvS12_,"axG",@progbits,_ZN7rocprim17ROCPRIM_400000_NS6detail17trampoline_kernelINS0_13select_configILj256ELj13ELNS0_17block_load_methodE3ELS4_3ELS4_3ELNS0_20block_scan_algorithmE0ELj4294967295EEENS1_25partition_config_selectorILNS1_17partition_subalgoE4EjNS0_10empty_typeEbEEZZNS1_14partition_implILS8_4ELb0ES6_15HIP_vector_typeIjLj2EENS0_17counting_iteratorIjlEEPS9_SG_NS0_5tupleIJPjSI_NS0_16reverse_iteratorISI_EEEEENSH_IJSG_SG_SG_EEES9_SI_JZNS1_25segmented_radix_sort_implINS0_14default_configELb1EPKhPhPKlPlN2at6native12_GLOBAL__N_18offset_tEEE10hipError_tPvRmT1_PNSt15iterator_traitsIS12_E10value_typeET2_T3_PNS13_IS18_E10value_typeET4_jRbjT5_S1E_jjP12ihipStream_tbEUljE_ZNSN_ISO_Lb1ESQ_SR_ST_SU_SY_EESZ_S10_S11_S12_S16_S17_S18_S1B_S1C_jS1D_jS1E_S1E_jjS1G_bEUljE0_EEESZ_S10_S11_S18_S1C_S1E_T6_T7_T9_mT8_S1G_bDpT10_ENKUlT_T0_E_clISt17integral_constantIbLb1EES1T_IbLb0EEEEDaS1P_S1Q_EUlS1P_E_NS1_11comp_targetILNS1_3genE2ELNS1_11target_archE906ELNS1_3gpuE6ELNS1_3repE0EEENS1_30default_config_static_selectorELNS0_4arch9wavefront6targetE1EEEvS12_,comdat
	.globl	_ZN7rocprim17ROCPRIM_400000_NS6detail17trampoline_kernelINS0_13select_configILj256ELj13ELNS0_17block_load_methodE3ELS4_3ELS4_3ELNS0_20block_scan_algorithmE0ELj4294967295EEENS1_25partition_config_selectorILNS1_17partition_subalgoE4EjNS0_10empty_typeEbEEZZNS1_14partition_implILS8_4ELb0ES6_15HIP_vector_typeIjLj2EENS0_17counting_iteratorIjlEEPS9_SG_NS0_5tupleIJPjSI_NS0_16reverse_iteratorISI_EEEEENSH_IJSG_SG_SG_EEES9_SI_JZNS1_25segmented_radix_sort_implINS0_14default_configELb1EPKhPhPKlPlN2at6native12_GLOBAL__N_18offset_tEEE10hipError_tPvRmT1_PNSt15iterator_traitsIS12_E10value_typeET2_T3_PNS13_IS18_E10value_typeET4_jRbjT5_S1E_jjP12ihipStream_tbEUljE_ZNSN_ISO_Lb1ESQ_SR_ST_SU_SY_EESZ_S10_S11_S12_S16_S17_S18_S1B_S1C_jS1D_jS1E_S1E_jjS1G_bEUljE0_EEESZ_S10_S11_S18_S1C_S1E_T6_T7_T9_mT8_S1G_bDpT10_ENKUlT_T0_E_clISt17integral_constantIbLb1EES1T_IbLb0EEEEDaS1P_S1Q_EUlS1P_E_NS1_11comp_targetILNS1_3genE2ELNS1_11target_archE906ELNS1_3gpuE6ELNS1_3repE0EEENS1_30default_config_static_selectorELNS0_4arch9wavefront6targetE1EEEvS12_ ; -- Begin function _ZN7rocprim17ROCPRIM_400000_NS6detail17trampoline_kernelINS0_13select_configILj256ELj13ELNS0_17block_load_methodE3ELS4_3ELS4_3ELNS0_20block_scan_algorithmE0ELj4294967295EEENS1_25partition_config_selectorILNS1_17partition_subalgoE4EjNS0_10empty_typeEbEEZZNS1_14partition_implILS8_4ELb0ES6_15HIP_vector_typeIjLj2EENS0_17counting_iteratorIjlEEPS9_SG_NS0_5tupleIJPjSI_NS0_16reverse_iteratorISI_EEEEENSH_IJSG_SG_SG_EEES9_SI_JZNS1_25segmented_radix_sort_implINS0_14default_configELb1EPKhPhPKlPlN2at6native12_GLOBAL__N_18offset_tEEE10hipError_tPvRmT1_PNSt15iterator_traitsIS12_E10value_typeET2_T3_PNS13_IS18_E10value_typeET4_jRbjT5_S1E_jjP12ihipStream_tbEUljE_ZNSN_ISO_Lb1ESQ_SR_ST_SU_SY_EESZ_S10_S11_S12_S16_S17_S18_S1B_S1C_jS1D_jS1E_S1E_jjS1G_bEUljE0_EEESZ_S10_S11_S18_S1C_S1E_T6_T7_T9_mT8_S1G_bDpT10_ENKUlT_T0_E_clISt17integral_constantIbLb1EES1T_IbLb0EEEEDaS1P_S1Q_EUlS1P_E_NS1_11comp_targetILNS1_3genE2ELNS1_11target_archE906ELNS1_3gpuE6ELNS1_3repE0EEENS1_30default_config_static_selectorELNS0_4arch9wavefront6targetE1EEEvS12_
	.p2align	8
	.type	_ZN7rocprim17ROCPRIM_400000_NS6detail17trampoline_kernelINS0_13select_configILj256ELj13ELNS0_17block_load_methodE3ELS4_3ELS4_3ELNS0_20block_scan_algorithmE0ELj4294967295EEENS1_25partition_config_selectorILNS1_17partition_subalgoE4EjNS0_10empty_typeEbEEZZNS1_14partition_implILS8_4ELb0ES6_15HIP_vector_typeIjLj2EENS0_17counting_iteratorIjlEEPS9_SG_NS0_5tupleIJPjSI_NS0_16reverse_iteratorISI_EEEEENSH_IJSG_SG_SG_EEES9_SI_JZNS1_25segmented_radix_sort_implINS0_14default_configELb1EPKhPhPKlPlN2at6native12_GLOBAL__N_18offset_tEEE10hipError_tPvRmT1_PNSt15iterator_traitsIS12_E10value_typeET2_T3_PNS13_IS18_E10value_typeET4_jRbjT5_S1E_jjP12ihipStream_tbEUljE_ZNSN_ISO_Lb1ESQ_SR_ST_SU_SY_EESZ_S10_S11_S12_S16_S17_S18_S1B_S1C_jS1D_jS1E_S1E_jjS1G_bEUljE0_EEESZ_S10_S11_S18_S1C_S1E_T6_T7_T9_mT8_S1G_bDpT10_ENKUlT_T0_E_clISt17integral_constantIbLb1EES1T_IbLb0EEEEDaS1P_S1Q_EUlS1P_E_NS1_11comp_targetILNS1_3genE2ELNS1_11target_archE906ELNS1_3gpuE6ELNS1_3repE0EEENS1_30default_config_static_selectorELNS0_4arch9wavefront6targetE1EEEvS12_,@function
_ZN7rocprim17ROCPRIM_400000_NS6detail17trampoline_kernelINS0_13select_configILj256ELj13ELNS0_17block_load_methodE3ELS4_3ELS4_3ELNS0_20block_scan_algorithmE0ELj4294967295EEENS1_25partition_config_selectorILNS1_17partition_subalgoE4EjNS0_10empty_typeEbEEZZNS1_14partition_implILS8_4ELb0ES6_15HIP_vector_typeIjLj2EENS0_17counting_iteratorIjlEEPS9_SG_NS0_5tupleIJPjSI_NS0_16reverse_iteratorISI_EEEEENSH_IJSG_SG_SG_EEES9_SI_JZNS1_25segmented_radix_sort_implINS0_14default_configELb1EPKhPhPKlPlN2at6native12_GLOBAL__N_18offset_tEEE10hipError_tPvRmT1_PNSt15iterator_traitsIS12_E10value_typeET2_T3_PNS13_IS18_E10value_typeET4_jRbjT5_S1E_jjP12ihipStream_tbEUljE_ZNSN_ISO_Lb1ESQ_SR_ST_SU_SY_EESZ_S10_S11_S12_S16_S17_S18_S1B_S1C_jS1D_jS1E_S1E_jjS1G_bEUljE0_EEESZ_S10_S11_S18_S1C_S1E_T6_T7_T9_mT8_S1G_bDpT10_ENKUlT_T0_E_clISt17integral_constantIbLb1EES1T_IbLb0EEEEDaS1P_S1Q_EUlS1P_E_NS1_11comp_targetILNS1_3genE2ELNS1_11target_archE906ELNS1_3gpuE6ELNS1_3repE0EEENS1_30default_config_static_selectorELNS0_4arch9wavefront6targetE1EEEvS12_: ; @_ZN7rocprim17ROCPRIM_400000_NS6detail17trampoline_kernelINS0_13select_configILj256ELj13ELNS0_17block_load_methodE3ELS4_3ELS4_3ELNS0_20block_scan_algorithmE0ELj4294967295EEENS1_25partition_config_selectorILNS1_17partition_subalgoE4EjNS0_10empty_typeEbEEZZNS1_14partition_implILS8_4ELb0ES6_15HIP_vector_typeIjLj2EENS0_17counting_iteratorIjlEEPS9_SG_NS0_5tupleIJPjSI_NS0_16reverse_iteratorISI_EEEEENSH_IJSG_SG_SG_EEES9_SI_JZNS1_25segmented_radix_sort_implINS0_14default_configELb1EPKhPhPKlPlN2at6native12_GLOBAL__N_18offset_tEEE10hipError_tPvRmT1_PNSt15iterator_traitsIS12_E10value_typeET2_T3_PNS13_IS18_E10value_typeET4_jRbjT5_S1E_jjP12ihipStream_tbEUljE_ZNSN_ISO_Lb1ESQ_SR_ST_SU_SY_EESZ_S10_S11_S12_S16_S17_S18_S1B_S1C_jS1D_jS1E_S1E_jjS1G_bEUljE0_EEESZ_S10_S11_S18_S1C_S1E_T6_T7_T9_mT8_S1G_bDpT10_ENKUlT_T0_E_clISt17integral_constantIbLb1EES1T_IbLb0EEEEDaS1P_S1Q_EUlS1P_E_NS1_11comp_targetILNS1_3genE2ELNS1_11target_archE906ELNS1_3gpuE6ELNS1_3repE0EEENS1_30default_config_static_selectorELNS0_4arch9wavefront6targetE1EEEvS12_
; %bb.0:
	s_endpgm
	.section	.rodata,"a",@progbits
	.p2align	6, 0x0
	.amdhsa_kernel _ZN7rocprim17ROCPRIM_400000_NS6detail17trampoline_kernelINS0_13select_configILj256ELj13ELNS0_17block_load_methodE3ELS4_3ELS4_3ELNS0_20block_scan_algorithmE0ELj4294967295EEENS1_25partition_config_selectorILNS1_17partition_subalgoE4EjNS0_10empty_typeEbEEZZNS1_14partition_implILS8_4ELb0ES6_15HIP_vector_typeIjLj2EENS0_17counting_iteratorIjlEEPS9_SG_NS0_5tupleIJPjSI_NS0_16reverse_iteratorISI_EEEEENSH_IJSG_SG_SG_EEES9_SI_JZNS1_25segmented_radix_sort_implINS0_14default_configELb1EPKhPhPKlPlN2at6native12_GLOBAL__N_18offset_tEEE10hipError_tPvRmT1_PNSt15iterator_traitsIS12_E10value_typeET2_T3_PNS13_IS18_E10value_typeET4_jRbjT5_S1E_jjP12ihipStream_tbEUljE_ZNSN_ISO_Lb1ESQ_SR_ST_SU_SY_EESZ_S10_S11_S12_S16_S17_S18_S1B_S1C_jS1D_jS1E_S1E_jjS1G_bEUljE0_EEESZ_S10_S11_S18_S1C_S1E_T6_T7_T9_mT8_S1G_bDpT10_ENKUlT_T0_E_clISt17integral_constantIbLb1EES1T_IbLb0EEEEDaS1P_S1Q_EUlS1P_E_NS1_11comp_targetILNS1_3genE2ELNS1_11target_archE906ELNS1_3gpuE6ELNS1_3repE0EEENS1_30default_config_static_selectorELNS0_4arch9wavefront6targetE1EEEvS12_
		.amdhsa_group_segment_fixed_size 0
		.amdhsa_private_segment_fixed_size 0
		.amdhsa_kernarg_size 176
		.amdhsa_user_sgpr_count 6
		.amdhsa_user_sgpr_private_segment_buffer 1
		.amdhsa_user_sgpr_dispatch_ptr 0
		.amdhsa_user_sgpr_queue_ptr 0
		.amdhsa_user_sgpr_kernarg_segment_ptr 1
		.amdhsa_user_sgpr_dispatch_id 0
		.amdhsa_user_sgpr_flat_scratch_init 0
		.amdhsa_user_sgpr_private_segment_size 0
		.amdhsa_uses_dynamic_stack 0
		.amdhsa_system_sgpr_private_segment_wavefront_offset 0
		.amdhsa_system_sgpr_workgroup_id_x 1
		.amdhsa_system_sgpr_workgroup_id_y 0
		.amdhsa_system_sgpr_workgroup_id_z 0
		.amdhsa_system_sgpr_workgroup_info 0
		.amdhsa_system_vgpr_workitem_id 0
		.amdhsa_next_free_vgpr 1
		.amdhsa_next_free_sgpr 0
		.amdhsa_reserve_vcc 0
		.amdhsa_reserve_flat_scratch 0
		.amdhsa_float_round_mode_32 0
		.amdhsa_float_round_mode_16_64 0
		.amdhsa_float_denorm_mode_32 3
		.amdhsa_float_denorm_mode_16_64 3
		.amdhsa_dx10_clamp 1
		.amdhsa_ieee_mode 1
		.amdhsa_fp16_overflow 0
		.amdhsa_exception_fp_ieee_invalid_op 0
		.amdhsa_exception_fp_denorm_src 0
		.amdhsa_exception_fp_ieee_div_zero 0
		.amdhsa_exception_fp_ieee_overflow 0
		.amdhsa_exception_fp_ieee_underflow 0
		.amdhsa_exception_fp_ieee_inexact 0
		.amdhsa_exception_int_div_zero 0
	.end_amdhsa_kernel
	.section	.text._ZN7rocprim17ROCPRIM_400000_NS6detail17trampoline_kernelINS0_13select_configILj256ELj13ELNS0_17block_load_methodE3ELS4_3ELS4_3ELNS0_20block_scan_algorithmE0ELj4294967295EEENS1_25partition_config_selectorILNS1_17partition_subalgoE4EjNS0_10empty_typeEbEEZZNS1_14partition_implILS8_4ELb0ES6_15HIP_vector_typeIjLj2EENS0_17counting_iteratorIjlEEPS9_SG_NS0_5tupleIJPjSI_NS0_16reverse_iteratorISI_EEEEENSH_IJSG_SG_SG_EEES9_SI_JZNS1_25segmented_radix_sort_implINS0_14default_configELb1EPKhPhPKlPlN2at6native12_GLOBAL__N_18offset_tEEE10hipError_tPvRmT1_PNSt15iterator_traitsIS12_E10value_typeET2_T3_PNS13_IS18_E10value_typeET4_jRbjT5_S1E_jjP12ihipStream_tbEUljE_ZNSN_ISO_Lb1ESQ_SR_ST_SU_SY_EESZ_S10_S11_S12_S16_S17_S18_S1B_S1C_jS1D_jS1E_S1E_jjS1G_bEUljE0_EEESZ_S10_S11_S18_S1C_S1E_T6_T7_T9_mT8_S1G_bDpT10_ENKUlT_T0_E_clISt17integral_constantIbLb1EES1T_IbLb0EEEEDaS1P_S1Q_EUlS1P_E_NS1_11comp_targetILNS1_3genE2ELNS1_11target_archE906ELNS1_3gpuE6ELNS1_3repE0EEENS1_30default_config_static_selectorELNS0_4arch9wavefront6targetE1EEEvS12_,"axG",@progbits,_ZN7rocprim17ROCPRIM_400000_NS6detail17trampoline_kernelINS0_13select_configILj256ELj13ELNS0_17block_load_methodE3ELS4_3ELS4_3ELNS0_20block_scan_algorithmE0ELj4294967295EEENS1_25partition_config_selectorILNS1_17partition_subalgoE4EjNS0_10empty_typeEbEEZZNS1_14partition_implILS8_4ELb0ES6_15HIP_vector_typeIjLj2EENS0_17counting_iteratorIjlEEPS9_SG_NS0_5tupleIJPjSI_NS0_16reverse_iteratorISI_EEEEENSH_IJSG_SG_SG_EEES9_SI_JZNS1_25segmented_radix_sort_implINS0_14default_configELb1EPKhPhPKlPlN2at6native12_GLOBAL__N_18offset_tEEE10hipError_tPvRmT1_PNSt15iterator_traitsIS12_E10value_typeET2_T3_PNS13_IS18_E10value_typeET4_jRbjT5_S1E_jjP12ihipStream_tbEUljE_ZNSN_ISO_Lb1ESQ_SR_ST_SU_SY_EESZ_S10_S11_S12_S16_S17_S18_S1B_S1C_jS1D_jS1E_S1E_jjS1G_bEUljE0_EEESZ_S10_S11_S18_S1C_S1E_T6_T7_T9_mT8_S1G_bDpT10_ENKUlT_T0_E_clISt17integral_constantIbLb1EES1T_IbLb0EEEEDaS1P_S1Q_EUlS1P_E_NS1_11comp_targetILNS1_3genE2ELNS1_11target_archE906ELNS1_3gpuE6ELNS1_3repE0EEENS1_30default_config_static_selectorELNS0_4arch9wavefront6targetE1EEEvS12_,comdat
.Lfunc_end34:
	.size	_ZN7rocprim17ROCPRIM_400000_NS6detail17trampoline_kernelINS0_13select_configILj256ELj13ELNS0_17block_load_methodE3ELS4_3ELS4_3ELNS0_20block_scan_algorithmE0ELj4294967295EEENS1_25partition_config_selectorILNS1_17partition_subalgoE4EjNS0_10empty_typeEbEEZZNS1_14partition_implILS8_4ELb0ES6_15HIP_vector_typeIjLj2EENS0_17counting_iteratorIjlEEPS9_SG_NS0_5tupleIJPjSI_NS0_16reverse_iteratorISI_EEEEENSH_IJSG_SG_SG_EEES9_SI_JZNS1_25segmented_radix_sort_implINS0_14default_configELb1EPKhPhPKlPlN2at6native12_GLOBAL__N_18offset_tEEE10hipError_tPvRmT1_PNSt15iterator_traitsIS12_E10value_typeET2_T3_PNS13_IS18_E10value_typeET4_jRbjT5_S1E_jjP12ihipStream_tbEUljE_ZNSN_ISO_Lb1ESQ_SR_ST_SU_SY_EESZ_S10_S11_S12_S16_S17_S18_S1B_S1C_jS1D_jS1E_S1E_jjS1G_bEUljE0_EEESZ_S10_S11_S18_S1C_S1E_T6_T7_T9_mT8_S1G_bDpT10_ENKUlT_T0_E_clISt17integral_constantIbLb1EES1T_IbLb0EEEEDaS1P_S1Q_EUlS1P_E_NS1_11comp_targetILNS1_3genE2ELNS1_11target_archE906ELNS1_3gpuE6ELNS1_3repE0EEENS1_30default_config_static_selectorELNS0_4arch9wavefront6targetE1EEEvS12_, .Lfunc_end34-_ZN7rocprim17ROCPRIM_400000_NS6detail17trampoline_kernelINS0_13select_configILj256ELj13ELNS0_17block_load_methodE3ELS4_3ELS4_3ELNS0_20block_scan_algorithmE0ELj4294967295EEENS1_25partition_config_selectorILNS1_17partition_subalgoE4EjNS0_10empty_typeEbEEZZNS1_14partition_implILS8_4ELb0ES6_15HIP_vector_typeIjLj2EENS0_17counting_iteratorIjlEEPS9_SG_NS0_5tupleIJPjSI_NS0_16reverse_iteratorISI_EEEEENSH_IJSG_SG_SG_EEES9_SI_JZNS1_25segmented_radix_sort_implINS0_14default_configELb1EPKhPhPKlPlN2at6native12_GLOBAL__N_18offset_tEEE10hipError_tPvRmT1_PNSt15iterator_traitsIS12_E10value_typeET2_T3_PNS13_IS18_E10value_typeET4_jRbjT5_S1E_jjP12ihipStream_tbEUljE_ZNSN_ISO_Lb1ESQ_SR_ST_SU_SY_EESZ_S10_S11_S12_S16_S17_S18_S1B_S1C_jS1D_jS1E_S1E_jjS1G_bEUljE0_EEESZ_S10_S11_S18_S1C_S1E_T6_T7_T9_mT8_S1G_bDpT10_ENKUlT_T0_E_clISt17integral_constantIbLb1EES1T_IbLb0EEEEDaS1P_S1Q_EUlS1P_E_NS1_11comp_targetILNS1_3genE2ELNS1_11target_archE906ELNS1_3gpuE6ELNS1_3repE0EEENS1_30default_config_static_selectorELNS0_4arch9wavefront6targetE1EEEvS12_
                                        ; -- End function
	.set _ZN7rocprim17ROCPRIM_400000_NS6detail17trampoline_kernelINS0_13select_configILj256ELj13ELNS0_17block_load_methodE3ELS4_3ELS4_3ELNS0_20block_scan_algorithmE0ELj4294967295EEENS1_25partition_config_selectorILNS1_17partition_subalgoE4EjNS0_10empty_typeEbEEZZNS1_14partition_implILS8_4ELb0ES6_15HIP_vector_typeIjLj2EENS0_17counting_iteratorIjlEEPS9_SG_NS0_5tupleIJPjSI_NS0_16reverse_iteratorISI_EEEEENSH_IJSG_SG_SG_EEES9_SI_JZNS1_25segmented_radix_sort_implINS0_14default_configELb1EPKhPhPKlPlN2at6native12_GLOBAL__N_18offset_tEEE10hipError_tPvRmT1_PNSt15iterator_traitsIS12_E10value_typeET2_T3_PNS13_IS18_E10value_typeET4_jRbjT5_S1E_jjP12ihipStream_tbEUljE_ZNSN_ISO_Lb1ESQ_SR_ST_SU_SY_EESZ_S10_S11_S12_S16_S17_S18_S1B_S1C_jS1D_jS1E_S1E_jjS1G_bEUljE0_EEESZ_S10_S11_S18_S1C_S1E_T6_T7_T9_mT8_S1G_bDpT10_ENKUlT_T0_E_clISt17integral_constantIbLb1EES1T_IbLb0EEEEDaS1P_S1Q_EUlS1P_E_NS1_11comp_targetILNS1_3genE2ELNS1_11target_archE906ELNS1_3gpuE6ELNS1_3repE0EEENS1_30default_config_static_selectorELNS0_4arch9wavefront6targetE1EEEvS12_.num_vgpr, 0
	.set _ZN7rocprim17ROCPRIM_400000_NS6detail17trampoline_kernelINS0_13select_configILj256ELj13ELNS0_17block_load_methodE3ELS4_3ELS4_3ELNS0_20block_scan_algorithmE0ELj4294967295EEENS1_25partition_config_selectorILNS1_17partition_subalgoE4EjNS0_10empty_typeEbEEZZNS1_14partition_implILS8_4ELb0ES6_15HIP_vector_typeIjLj2EENS0_17counting_iteratorIjlEEPS9_SG_NS0_5tupleIJPjSI_NS0_16reverse_iteratorISI_EEEEENSH_IJSG_SG_SG_EEES9_SI_JZNS1_25segmented_radix_sort_implINS0_14default_configELb1EPKhPhPKlPlN2at6native12_GLOBAL__N_18offset_tEEE10hipError_tPvRmT1_PNSt15iterator_traitsIS12_E10value_typeET2_T3_PNS13_IS18_E10value_typeET4_jRbjT5_S1E_jjP12ihipStream_tbEUljE_ZNSN_ISO_Lb1ESQ_SR_ST_SU_SY_EESZ_S10_S11_S12_S16_S17_S18_S1B_S1C_jS1D_jS1E_S1E_jjS1G_bEUljE0_EEESZ_S10_S11_S18_S1C_S1E_T6_T7_T9_mT8_S1G_bDpT10_ENKUlT_T0_E_clISt17integral_constantIbLb1EES1T_IbLb0EEEEDaS1P_S1Q_EUlS1P_E_NS1_11comp_targetILNS1_3genE2ELNS1_11target_archE906ELNS1_3gpuE6ELNS1_3repE0EEENS1_30default_config_static_selectorELNS0_4arch9wavefront6targetE1EEEvS12_.num_agpr, 0
	.set _ZN7rocprim17ROCPRIM_400000_NS6detail17trampoline_kernelINS0_13select_configILj256ELj13ELNS0_17block_load_methodE3ELS4_3ELS4_3ELNS0_20block_scan_algorithmE0ELj4294967295EEENS1_25partition_config_selectorILNS1_17partition_subalgoE4EjNS0_10empty_typeEbEEZZNS1_14partition_implILS8_4ELb0ES6_15HIP_vector_typeIjLj2EENS0_17counting_iteratorIjlEEPS9_SG_NS0_5tupleIJPjSI_NS0_16reverse_iteratorISI_EEEEENSH_IJSG_SG_SG_EEES9_SI_JZNS1_25segmented_radix_sort_implINS0_14default_configELb1EPKhPhPKlPlN2at6native12_GLOBAL__N_18offset_tEEE10hipError_tPvRmT1_PNSt15iterator_traitsIS12_E10value_typeET2_T3_PNS13_IS18_E10value_typeET4_jRbjT5_S1E_jjP12ihipStream_tbEUljE_ZNSN_ISO_Lb1ESQ_SR_ST_SU_SY_EESZ_S10_S11_S12_S16_S17_S18_S1B_S1C_jS1D_jS1E_S1E_jjS1G_bEUljE0_EEESZ_S10_S11_S18_S1C_S1E_T6_T7_T9_mT8_S1G_bDpT10_ENKUlT_T0_E_clISt17integral_constantIbLb1EES1T_IbLb0EEEEDaS1P_S1Q_EUlS1P_E_NS1_11comp_targetILNS1_3genE2ELNS1_11target_archE906ELNS1_3gpuE6ELNS1_3repE0EEENS1_30default_config_static_selectorELNS0_4arch9wavefront6targetE1EEEvS12_.numbered_sgpr, 0
	.set _ZN7rocprim17ROCPRIM_400000_NS6detail17trampoline_kernelINS0_13select_configILj256ELj13ELNS0_17block_load_methodE3ELS4_3ELS4_3ELNS0_20block_scan_algorithmE0ELj4294967295EEENS1_25partition_config_selectorILNS1_17partition_subalgoE4EjNS0_10empty_typeEbEEZZNS1_14partition_implILS8_4ELb0ES6_15HIP_vector_typeIjLj2EENS0_17counting_iteratorIjlEEPS9_SG_NS0_5tupleIJPjSI_NS0_16reverse_iteratorISI_EEEEENSH_IJSG_SG_SG_EEES9_SI_JZNS1_25segmented_radix_sort_implINS0_14default_configELb1EPKhPhPKlPlN2at6native12_GLOBAL__N_18offset_tEEE10hipError_tPvRmT1_PNSt15iterator_traitsIS12_E10value_typeET2_T3_PNS13_IS18_E10value_typeET4_jRbjT5_S1E_jjP12ihipStream_tbEUljE_ZNSN_ISO_Lb1ESQ_SR_ST_SU_SY_EESZ_S10_S11_S12_S16_S17_S18_S1B_S1C_jS1D_jS1E_S1E_jjS1G_bEUljE0_EEESZ_S10_S11_S18_S1C_S1E_T6_T7_T9_mT8_S1G_bDpT10_ENKUlT_T0_E_clISt17integral_constantIbLb1EES1T_IbLb0EEEEDaS1P_S1Q_EUlS1P_E_NS1_11comp_targetILNS1_3genE2ELNS1_11target_archE906ELNS1_3gpuE6ELNS1_3repE0EEENS1_30default_config_static_selectorELNS0_4arch9wavefront6targetE1EEEvS12_.num_named_barrier, 0
	.set _ZN7rocprim17ROCPRIM_400000_NS6detail17trampoline_kernelINS0_13select_configILj256ELj13ELNS0_17block_load_methodE3ELS4_3ELS4_3ELNS0_20block_scan_algorithmE0ELj4294967295EEENS1_25partition_config_selectorILNS1_17partition_subalgoE4EjNS0_10empty_typeEbEEZZNS1_14partition_implILS8_4ELb0ES6_15HIP_vector_typeIjLj2EENS0_17counting_iteratorIjlEEPS9_SG_NS0_5tupleIJPjSI_NS0_16reverse_iteratorISI_EEEEENSH_IJSG_SG_SG_EEES9_SI_JZNS1_25segmented_radix_sort_implINS0_14default_configELb1EPKhPhPKlPlN2at6native12_GLOBAL__N_18offset_tEEE10hipError_tPvRmT1_PNSt15iterator_traitsIS12_E10value_typeET2_T3_PNS13_IS18_E10value_typeET4_jRbjT5_S1E_jjP12ihipStream_tbEUljE_ZNSN_ISO_Lb1ESQ_SR_ST_SU_SY_EESZ_S10_S11_S12_S16_S17_S18_S1B_S1C_jS1D_jS1E_S1E_jjS1G_bEUljE0_EEESZ_S10_S11_S18_S1C_S1E_T6_T7_T9_mT8_S1G_bDpT10_ENKUlT_T0_E_clISt17integral_constantIbLb1EES1T_IbLb0EEEEDaS1P_S1Q_EUlS1P_E_NS1_11comp_targetILNS1_3genE2ELNS1_11target_archE906ELNS1_3gpuE6ELNS1_3repE0EEENS1_30default_config_static_selectorELNS0_4arch9wavefront6targetE1EEEvS12_.private_seg_size, 0
	.set _ZN7rocprim17ROCPRIM_400000_NS6detail17trampoline_kernelINS0_13select_configILj256ELj13ELNS0_17block_load_methodE3ELS4_3ELS4_3ELNS0_20block_scan_algorithmE0ELj4294967295EEENS1_25partition_config_selectorILNS1_17partition_subalgoE4EjNS0_10empty_typeEbEEZZNS1_14partition_implILS8_4ELb0ES6_15HIP_vector_typeIjLj2EENS0_17counting_iteratorIjlEEPS9_SG_NS0_5tupleIJPjSI_NS0_16reverse_iteratorISI_EEEEENSH_IJSG_SG_SG_EEES9_SI_JZNS1_25segmented_radix_sort_implINS0_14default_configELb1EPKhPhPKlPlN2at6native12_GLOBAL__N_18offset_tEEE10hipError_tPvRmT1_PNSt15iterator_traitsIS12_E10value_typeET2_T3_PNS13_IS18_E10value_typeET4_jRbjT5_S1E_jjP12ihipStream_tbEUljE_ZNSN_ISO_Lb1ESQ_SR_ST_SU_SY_EESZ_S10_S11_S12_S16_S17_S18_S1B_S1C_jS1D_jS1E_S1E_jjS1G_bEUljE0_EEESZ_S10_S11_S18_S1C_S1E_T6_T7_T9_mT8_S1G_bDpT10_ENKUlT_T0_E_clISt17integral_constantIbLb1EES1T_IbLb0EEEEDaS1P_S1Q_EUlS1P_E_NS1_11comp_targetILNS1_3genE2ELNS1_11target_archE906ELNS1_3gpuE6ELNS1_3repE0EEENS1_30default_config_static_selectorELNS0_4arch9wavefront6targetE1EEEvS12_.uses_vcc, 0
	.set _ZN7rocprim17ROCPRIM_400000_NS6detail17trampoline_kernelINS0_13select_configILj256ELj13ELNS0_17block_load_methodE3ELS4_3ELS4_3ELNS0_20block_scan_algorithmE0ELj4294967295EEENS1_25partition_config_selectorILNS1_17partition_subalgoE4EjNS0_10empty_typeEbEEZZNS1_14partition_implILS8_4ELb0ES6_15HIP_vector_typeIjLj2EENS0_17counting_iteratorIjlEEPS9_SG_NS0_5tupleIJPjSI_NS0_16reverse_iteratorISI_EEEEENSH_IJSG_SG_SG_EEES9_SI_JZNS1_25segmented_radix_sort_implINS0_14default_configELb1EPKhPhPKlPlN2at6native12_GLOBAL__N_18offset_tEEE10hipError_tPvRmT1_PNSt15iterator_traitsIS12_E10value_typeET2_T3_PNS13_IS18_E10value_typeET4_jRbjT5_S1E_jjP12ihipStream_tbEUljE_ZNSN_ISO_Lb1ESQ_SR_ST_SU_SY_EESZ_S10_S11_S12_S16_S17_S18_S1B_S1C_jS1D_jS1E_S1E_jjS1G_bEUljE0_EEESZ_S10_S11_S18_S1C_S1E_T6_T7_T9_mT8_S1G_bDpT10_ENKUlT_T0_E_clISt17integral_constantIbLb1EES1T_IbLb0EEEEDaS1P_S1Q_EUlS1P_E_NS1_11comp_targetILNS1_3genE2ELNS1_11target_archE906ELNS1_3gpuE6ELNS1_3repE0EEENS1_30default_config_static_selectorELNS0_4arch9wavefront6targetE1EEEvS12_.uses_flat_scratch, 0
	.set _ZN7rocprim17ROCPRIM_400000_NS6detail17trampoline_kernelINS0_13select_configILj256ELj13ELNS0_17block_load_methodE3ELS4_3ELS4_3ELNS0_20block_scan_algorithmE0ELj4294967295EEENS1_25partition_config_selectorILNS1_17partition_subalgoE4EjNS0_10empty_typeEbEEZZNS1_14partition_implILS8_4ELb0ES6_15HIP_vector_typeIjLj2EENS0_17counting_iteratorIjlEEPS9_SG_NS0_5tupleIJPjSI_NS0_16reverse_iteratorISI_EEEEENSH_IJSG_SG_SG_EEES9_SI_JZNS1_25segmented_radix_sort_implINS0_14default_configELb1EPKhPhPKlPlN2at6native12_GLOBAL__N_18offset_tEEE10hipError_tPvRmT1_PNSt15iterator_traitsIS12_E10value_typeET2_T3_PNS13_IS18_E10value_typeET4_jRbjT5_S1E_jjP12ihipStream_tbEUljE_ZNSN_ISO_Lb1ESQ_SR_ST_SU_SY_EESZ_S10_S11_S12_S16_S17_S18_S1B_S1C_jS1D_jS1E_S1E_jjS1G_bEUljE0_EEESZ_S10_S11_S18_S1C_S1E_T6_T7_T9_mT8_S1G_bDpT10_ENKUlT_T0_E_clISt17integral_constantIbLb1EES1T_IbLb0EEEEDaS1P_S1Q_EUlS1P_E_NS1_11comp_targetILNS1_3genE2ELNS1_11target_archE906ELNS1_3gpuE6ELNS1_3repE0EEENS1_30default_config_static_selectorELNS0_4arch9wavefront6targetE1EEEvS12_.has_dyn_sized_stack, 0
	.set _ZN7rocprim17ROCPRIM_400000_NS6detail17trampoline_kernelINS0_13select_configILj256ELj13ELNS0_17block_load_methodE3ELS4_3ELS4_3ELNS0_20block_scan_algorithmE0ELj4294967295EEENS1_25partition_config_selectorILNS1_17partition_subalgoE4EjNS0_10empty_typeEbEEZZNS1_14partition_implILS8_4ELb0ES6_15HIP_vector_typeIjLj2EENS0_17counting_iteratorIjlEEPS9_SG_NS0_5tupleIJPjSI_NS0_16reverse_iteratorISI_EEEEENSH_IJSG_SG_SG_EEES9_SI_JZNS1_25segmented_radix_sort_implINS0_14default_configELb1EPKhPhPKlPlN2at6native12_GLOBAL__N_18offset_tEEE10hipError_tPvRmT1_PNSt15iterator_traitsIS12_E10value_typeET2_T3_PNS13_IS18_E10value_typeET4_jRbjT5_S1E_jjP12ihipStream_tbEUljE_ZNSN_ISO_Lb1ESQ_SR_ST_SU_SY_EESZ_S10_S11_S12_S16_S17_S18_S1B_S1C_jS1D_jS1E_S1E_jjS1G_bEUljE0_EEESZ_S10_S11_S18_S1C_S1E_T6_T7_T9_mT8_S1G_bDpT10_ENKUlT_T0_E_clISt17integral_constantIbLb1EES1T_IbLb0EEEEDaS1P_S1Q_EUlS1P_E_NS1_11comp_targetILNS1_3genE2ELNS1_11target_archE906ELNS1_3gpuE6ELNS1_3repE0EEENS1_30default_config_static_selectorELNS0_4arch9wavefront6targetE1EEEvS12_.has_recursion, 0
	.set _ZN7rocprim17ROCPRIM_400000_NS6detail17trampoline_kernelINS0_13select_configILj256ELj13ELNS0_17block_load_methodE3ELS4_3ELS4_3ELNS0_20block_scan_algorithmE0ELj4294967295EEENS1_25partition_config_selectorILNS1_17partition_subalgoE4EjNS0_10empty_typeEbEEZZNS1_14partition_implILS8_4ELb0ES6_15HIP_vector_typeIjLj2EENS0_17counting_iteratorIjlEEPS9_SG_NS0_5tupleIJPjSI_NS0_16reverse_iteratorISI_EEEEENSH_IJSG_SG_SG_EEES9_SI_JZNS1_25segmented_radix_sort_implINS0_14default_configELb1EPKhPhPKlPlN2at6native12_GLOBAL__N_18offset_tEEE10hipError_tPvRmT1_PNSt15iterator_traitsIS12_E10value_typeET2_T3_PNS13_IS18_E10value_typeET4_jRbjT5_S1E_jjP12ihipStream_tbEUljE_ZNSN_ISO_Lb1ESQ_SR_ST_SU_SY_EESZ_S10_S11_S12_S16_S17_S18_S1B_S1C_jS1D_jS1E_S1E_jjS1G_bEUljE0_EEESZ_S10_S11_S18_S1C_S1E_T6_T7_T9_mT8_S1G_bDpT10_ENKUlT_T0_E_clISt17integral_constantIbLb1EES1T_IbLb0EEEEDaS1P_S1Q_EUlS1P_E_NS1_11comp_targetILNS1_3genE2ELNS1_11target_archE906ELNS1_3gpuE6ELNS1_3repE0EEENS1_30default_config_static_selectorELNS0_4arch9wavefront6targetE1EEEvS12_.has_indirect_call, 0
	.section	.AMDGPU.csdata,"",@progbits
; Kernel info:
; codeLenInByte = 4
; TotalNumSgprs: 4
; NumVgprs: 0
; ScratchSize: 0
; MemoryBound: 0
; FloatMode: 240
; IeeeMode: 1
; LDSByteSize: 0 bytes/workgroup (compile time only)
; SGPRBlocks: 0
; VGPRBlocks: 0
; NumSGPRsForWavesPerEU: 4
; NumVGPRsForWavesPerEU: 1
; Occupancy: 10
; WaveLimiterHint : 0
; COMPUTE_PGM_RSRC2:SCRATCH_EN: 0
; COMPUTE_PGM_RSRC2:USER_SGPR: 6
; COMPUTE_PGM_RSRC2:TRAP_HANDLER: 0
; COMPUTE_PGM_RSRC2:TGID_X_EN: 1
; COMPUTE_PGM_RSRC2:TGID_Y_EN: 0
; COMPUTE_PGM_RSRC2:TGID_Z_EN: 0
; COMPUTE_PGM_RSRC2:TIDIG_COMP_CNT: 0
	.section	.text._ZN7rocprim17ROCPRIM_400000_NS6detail17trampoline_kernelINS0_13select_configILj256ELj13ELNS0_17block_load_methodE3ELS4_3ELS4_3ELNS0_20block_scan_algorithmE0ELj4294967295EEENS1_25partition_config_selectorILNS1_17partition_subalgoE4EjNS0_10empty_typeEbEEZZNS1_14partition_implILS8_4ELb0ES6_15HIP_vector_typeIjLj2EENS0_17counting_iteratorIjlEEPS9_SG_NS0_5tupleIJPjSI_NS0_16reverse_iteratorISI_EEEEENSH_IJSG_SG_SG_EEES9_SI_JZNS1_25segmented_radix_sort_implINS0_14default_configELb1EPKhPhPKlPlN2at6native12_GLOBAL__N_18offset_tEEE10hipError_tPvRmT1_PNSt15iterator_traitsIS12_E10value_typeET2_T3_PNS13_IS18_E10value_typeET4_jRbjT5_S1E_jjP12ihipStream_tbEUljE_ZNSN_ISO_Lb1ESQ_SR_ST_SU_SY_EESZ_S10_S11_S12_S16_S17_S18_S1B_S1C_jS1D_jS1E_S1E_jjS1G_bEUljE0_EEESZ_S10_S11_S18_S1C_S1E_T6_T7_T9_mT8_S1G_bDpT10_ENKUlT_T0_E_clISt17integral_constantIbLb1EES1T_IbLb0EEEEDaS1P_S1Q_EUlS1P_E_NS1_11comp_targetILNS1_3genE10ELNS1_11target_archE1200ELNS1_3gpuE4ELNS1_3repE0EEENS1_30default_config_static_selectorELNS0_4arch9wavefront6targetE1EEEvS12_,"axG",@progbits,_ZN7rocprim17ROCPRIM_400000_NS6detail17trampoline_kernelINS0_13select_configILj256ELj13ELNS0_17block_load_methodE3ELS4_3ELS4_3ELNS0_20block_scan_algorithmE0ELj4294967295EEENS1_25partition_config_selectorILNS1_17partition_subalgoE4EjNS0_10empty_typeEbEEZZNS1_14partition_implILS8_4ELb0ES6_15HIP_vector_typeIjLj2EENS0_17counting_iteratorIjlEEPS9_SG_NS0_5tupleIJPjSI_NS0_16reverse_iteratorISI_EEEEENSH_IJSG_SG_SG_EEES9_SI_JZNS1_25segmented_radix_sort_implINS0_14default_configELb1EPKhPhPKlPlN2at6native12_GLOBAL__N_18offset_tEEE10hipError_tPvRmT1_PNSt15iterator_traitsIS12_E10value_typeET2_T3_PNS13_IS18_E10value_typeET4_jRbjT5_S1E_jjP12ihipStream_tbEUljE_ZNSN_ISO_Lb1ESQ_SR_ST_SU_SY_EESZ_S10_S11_S12_S16_S17_S18_S1B_S1C_jS1D_jS1E_S1E_jjS1G_bEUljE0_EEESZ_S10_S11_S18_S1C_S1E_T6_T7_T9_mT8_S1G_bDpT10_ENKUlT_T0_E_clISt17integral_constantIbLb1EES1T_IbLb0EEEEDaS1P_S1Q_EUlS1P_E_NS1_11comp_targetILNS1_3genE10ELNS1_11target_archE1200ELNS1_3gpuE4ELNS1_3repE0EEENS1_30default_config_static_selectorELNS0_4arch9wavefront6targetE1EEEvS12_,comdat
	.globl	_ZN7rocprim17ROCPRIM_400000_NS6detail17trampoline_kernelINS0_13select_configILj256ELj13ELNS0_17block_load_methodE3ELS4_3ELS4_3ELNS0_20block_scan_algorithmE0ELj4294967295EEENS1_25partition_config_selectorILNS1_17partition_subalgoE4EjNS0_10empty_typeEbEEZZNS1_14partition_implILS8_4ELb0ES6_15HIP_vector_typeIjLj2EENS0_17counting_iteratorIjlEEPS9_SG_NS0_5tupleIJPjSI_NS0_16reverse_iteratorISI_EEEEENSH_IJSG_SG_SG_EEES9_SI_JZNS1_25segmented_radix_sort_implINS0_14default_configELb1EPKhPhPKlPlN2at6native12_GLOBAL__N_18offset_tEEE10hipError_tPvRmT1_PNSt15iterator_traitsIS12_E10value_typeET2_T3_PNS13_IS18_E10value_typeET4_jRbjT5_S1E_jjP12ihipStream_tbEUljE_ZNSN_ISO_Lb1ESQ_SR_ST_SU_SY_EESZ_S10_S11_S12_S16_S17_S18_S1B_S1C_jS1D_jS1E_S1E_jjS1G_bEUljE0_EEESZ_S10_S11_S18_S1C_S1E_T6_T7_T9_mT8_S1G_bDpT10_ENKUlT_T0_E_clISt17integral_constantIbLb1EES1T_IbLb0EEEEDaS1P_S1Q_EUlS1P_E_NS1_11comp_targetILNS1_3genE10ELNS1_11target_archE1200ELNS1_3gpuE4ELNS1_3repE0EEENS1_30default_config_static_selectorELNS0_4arch9wavefront6targetE1EEEvS12_ ; -- Begin function _ZN7rocprim17ROCPRIM_400000_NS6detail17trampoline_kernelINS0_13select_configILj256ELj13ELNS0_17block_load_methodE3ELS4_3ELS4_3ELNS0_20block_scan_algorithmE0ELj4294967295EEENS1_25partition_config_selectorILNS1_17partition_subalgoE4EjNS0_10empty_typeEbEEZZNS1_14partition_implILS8_4ELb0ES6_15HIP_vector_typeIjLj2EENS0_17counting_iteratorIjlEEPS9_SG_NS0_5tupleIJPjSI_NS0_16reverse_iteratorISI_EEEEENSH_IJSG_SG_SG_EEES9_SI_JZNS1_25segmented_radix_sort_implINS0_14default_configELb1EPKhPhPKlPlN2at6native12_GLOBAL__N_18offset_tEEE10hipError_tPvRmT1_PNSt15iterator_traitsIS12_E10value_typeET2_T3_PNS13_IS18_E10value_typeET4_jRbjT5_S1E_jjP12ihipStream_tbEUljE_ZNSN_ISO_Lb1ESQ_SR_ST_SU_SY_EESZ_S10_S11_S12_S16_S17_S18_S1B_S1C_jS1D_jS1E_S1E_jjS1G_bEUljE0_EEESZ_S10_S11_S18_S1C_S1E_T6_T7_T9_mT8_S1G_bDpT10_ENKUlT_T0_E_clISt17integral_constantIbLb1EES1T_IbLb0EEEEDaS1P_S1Q_EUlS1P_E_NS1_11comp_targetILNS1_3genE10ELNS1_11target_archE1200ELNS1_3gpuE4ELNS1_3repE0EEENS1_30default_config_static_selectorELNS0_4arch9wavefront6targetE1EEEvS12_
	.p2align	8
	.type	_ZN7rocprim17ROCPRIM_400000_NS6detail17trampoline_kernelINS0_13select_configILj256ELj13ELNS0_17block_load_methodE3ELS4_3ELS4_3ELNS0_20block_scan_algorithmE0ELj4294967295EEENS1_25partition_config_selectorILNS1_17partition_subalgoE4EjNS0_10empty_typeEbEEZZNS1_14partition_implILS8_4ELb0ES6_15HIP_vector_typeIjLj2EENS0_17counting_iteratorIjlEEPS9_SG_NS0_5tupleIJPjSI_NS0_16reverse_iteratorISI_EEEEENSH_IJSG_SG_SG_EEES9_SI_JZNS1_25segmented_radix_sort_implINS0_14default_configELb1EPKhPhPKlPlN2at6native12_GLOBAL__N_18offset_tEEE10hipError_tPvRmT1_PNSt15iterator_traitsIS12_E10value_typeET2_T3_PNS13_IS18_E10value_typeET4_jRbjT5_S1E_jjP12ihipStream_tbEUljE_ZNSN_ISO_Lb1ESQ_SR_ST_SU_SY_EESZ_S10_S11_S12_S16_S17_S18_S1B_S1C_jS1D_jS1E_S1E_jjS1G_bEUljE0_EEESZ_S10_S11_S18_S1C_S1E_T6_T7_T9_mT8_S1G_bDpT10_ENKUlT_T0_E_clISt17integral_constantIbLb1EES1T_IbLb0EEEEDaS1P_S1Q_EUlS1P_E_NS1_11comp_targetILNS1_3genE10ELNS1_11target_archE1200ELNS1_3gpuE4ELNS1_3repE0EEENS1_30default_config_static_selectorELNS0_4arch9wavefront6targetE1EEEvS12_,@function
_ZN7rocprim17ROCPRIM_400000_NS6detail17trampoline_kernelINS0_13select_configILj256ELj13ELNS0_17block_load_methodE3ELS4_3ELS4_3ELNS0_20block_scan_algorithmE0ELj4294967295EEENS1_25partition_config_selectorILNS1_17partition_subalgoE4EjNS0_10empty_typeEbEEZZNS1_14partition_implILS8_4ELb0ES6_15HIP_vector_typeIjLj2EENS0_17counting_iteratorIjlEEPS9_SG_NS0_5tupleIJPjSI_NS0_16reverse_iteratorISI_EEEEENSH_IJSG_SG_SG_EEES9_SI_JZNS1_25segmented_radix_sort_implINS0_14default_configELb1EPKhPhPKlPlN2at6native12_GLOBAL__N_18offset_tEEE10hipError_tPvRmT1_PNSt15iterator_traitsIS12_E10value_typeET2_T3_PNS13_IS18_E10value_typeET4_jRbjT5_S1E_jjP12ihipStream_tbEUljE_ZNSN_ISO_Lb1ESQ_SR_ST_SU_SY_EESZ_S10_S11_S12_S16_S17_S18_S1B_S1C_jS1D_jS1E_S1E_jjS1G_bEUljE0_EEESZ_S10_S11_S18_S1C_S1E_T6_T7_T9_mT8_S1G_bDpT10_ENKUlT_T0_E_clISt17integral_constantIbLb1EES1T_IbLb0EEEEDaS1P_S1Q_EUlS1P_E_NS1_11comp_targetILNS1_3genE10ELNS1_11target_archE1200ELNS1_3gpuE4ELNS1_3repE0EEENS1_30default_config_static_selectorELNS0_4arch9wavefront6targetE1EEEvS12_: ; @_ZN7rocprim17ROCPRIM_400000_NS6detail17trampoline_kernelINS0_13select_configILj256ELj13ELNS0_17block_load_methodE3ELS4_3ELS4_3ELNS0_20block_scan_algorithmE0ELj4294967295EEENS1_25partition_config_selectorILNS1_17partition_subalgoE4EjNS0_10empty_typeEbEEZZNS1_14partition_implILS8_4ELb0ES6_15HIP_vector_typeIjLj2EENS0_17counting_iteratorIjlEEPS9_SG_NS0_5tupleIJPjSI_NS0_16reverse_iteratorISI_EEEEENSH_IJSG_SG_SG_EEES9_SI_JZNS1_25segmented_radix_sort_implINS0_14default_configELb1EPKhPhPKlPlN2at6native12_GLOBAL__N_18offset_tEEE10hipError_tPvRmT1_PNSt15iterator_traitsIS12_E10value_typeET2_T3_PNS13_IS18_E10value_typeET4_jRbjT5_S1E_jjP12ihipStream_tbEUljE_ZNSN_ISO_Lb1ESQ_SR_ST_SU_SY_EESZ_S10_S11_S12_S16_S17_S18_S1B_S1C_jS1D_jS1E_S1E_jjS1G_bEUljE0_EEESZ_S10_S11_S18_S1C_S1E_T6_T7_T9_mT8_S1G_bDpT10_ENKUlT_T0_E_clISt17integral_constantIbLb1EES1T_IbLb0EEEEDaS1P_S1Q_EUlS1P_E_NS1_11comp_targetILNS1_3genE10ELNS1_11target_archE1200ELNS1_3gpuE4ELNS1_3repE0EEENS1_30default_config_static_selectorELNS0_4arch9wavefront6targetE1EEEvS12_
; %bb.0:
	.section	.rodata,"a",@progbits
	.p2align	6, 0x0
	.amdhsa_kernel _ZN7rocprim17ROCPRIM_400000_NS6detail17trampoline_kernelINS0_13select_configILj256ELj13ELNS0_17block_load_methodE3ELS4_3ELS4_3ELNS0_20block_scan_algorithmE0ELj4294967295EEENS1_25partition_config_selectorILNS1_17partition_subalgoE4EjNS0_10empty_typeEbEEZZNS1_14partition_implILS8_4ELb0ES6_15HIP_vector_typeIjLj2EENS0_17counting_iteratorIjlEEPS9_SG_NS0_5tupleIJPjSI_NS0_16reverse_iteratorISI_EEEEENSH_IJSG_SG_SG_EEES9_SI_JZNS1_25segmented_radix_sort_implINS0_14default_configELb1EPKhPhPKlPlN2at6native12_GLOBAL__N_18offset_tEEE10hipError_tPvRmT1_PNSt15iterator_traitsIS12_E10value_typeET2_T3_PNS13_IS18_E10value_typeET4_jRbjT5_S1E_jjP12ihipStream_tbEUljE_ZNSN_ISO_Lb1ESQ_SR_ST_SU_SY_EESZ_S10_S11_S12_S16_S17_S18_S1B_S1C_jS1D_jS1E_S1E_jjS1G_bEUljE0_EEESZ_S10_S11_S18_S1C_S1E_T6_T7_T9_mT8_S1G_bDpT10_ENKUlT_T0_E_clISt17integral_constantIbLb1EES1T_IbLb0EEEEDaS1P_S1Q_EUlS1P_E_NS1_11comp_targetILNS1_3genE10ELNS1_11target_archE1200ELNS1_3gpuE4ELNS1_3repE0EEENS1_30default_config_static_selectorELNS0_4arch9wavefront6targetE1EEEvS12_
		.amdhsa_group_segment_fixed_size 0
		.amdhsa_private_segment_fixed_size 0
		.amdhsa_kernarg_size 176
		.amdhsa_user_sgpr_count 6
		.amdhsa_user_sgpr_private_segment_buffer 1
		.amdhsa_user_sgpr_dispatch_ptr 0
		.amdhsa_user_sgpr_queue_ptr 0
		.amdhsa_user_sgpr_kernarg_segment_ptr 1
		.amdhsa_user_sgpr_dispatch_id 0
		.amdhsa_user_sgpr_flat_scratch_init 0
		.amdhsa_user_sgpr_private_segment_size 0
		.amdhsa_uses_dynamic_stack 0
		.amdhsa_system_sgpr_private_segment_wavefront_offset 0
		.amdhsa_system_sgpr_workgroup_id_x 1
		.amdhsa_system_sgpr_workgroup_id_y 0
		.amdhsa_system_sgpr_workgroup_id_z 0
		.amdhsa_system_sgpr_workgroup_info 0
		.amdhsa_system_vgpr_workitem_id 0
		.amdhsa_next_free_vgpr 1
		.amdhsa_next_free_sgpr 0
		.amdhsa_reserve_vcc 0
		.amdhsa_reserve_flat_scratch 0
		.amdhsa_float_round_mode_32 0
		.amdhsa_float_round_mode_16_64 0
		.amdhsa_float_denorm_mode_32 3
		.amdhsa_float_denorm_mode_16_64 3
		.amdhsa_dx10_clamp 1
		.amdhsa_ieee_mode 1
		.amdhsa_fp16_overflow 0
		.amdhsa_exception_fp_ieee_invalid_op 0
		.amdhsa_exception_fp_denorm_src 0
		.amdhsa_exception_fp_ieee_div_zero 0
		.amdhsa_exception_fp_ieee_overflow 0
		.amdhsa_exception_fp_ieee_underflow 0
		.amdhsa_exception_fp_ieee_inexact 0
		.amdhsa_exception_int_div_zero 0
	.end_amdhsa_kernel
	.section	.text._ZN7rocprim17ROCPRIM_400000_NS6detail17trampoline_kernelINS0_13select_configILj256ELj13ELNS0_17block_load_methodE3ELS4_3ELS4_3ELNS0_20block_scan_algorithmE0ELj4294967295EEENS1_25partition_config_selectorILNS1_17partition_subalgoE4EjNS0_10empty_typeEbEEZZNS1_14partition_implILS8_4ELb0ES6_15HIP_vector_typeIjLj2EENS0_17counting_iteratorIjlEEPS9_SG_NS0_5tupleIJPjSI_NS0_16reverse_iteratorISI_EEEEENSH_IJSG_SG_SG_EEES9_SI_JZNS1_25segmented_radix_sort_implINS0_14default_configELb1EPKhPhPKlPlN2at6native12_GLOBAL__N_18offset_tEEE10hipError_tPvRmT1_PNSt15iterator_traitsIS12_E10value_typeET2_T3_PNS13_IS18_E10value_typeET4_jRbjT5_S1E_jjP12ihipStream_tbEUljE_ZNSN_ISO_Lb1ESQ_SR_ST_SU_SY_EESZ_S10_S11_S12_S16_S17_S18_S1B_S1C_jS1D_jS1E_S1E_jjS1G_bEUljE0_EEESZ_S10_S11_S18_S1C_S1E_T6_T7_T9_mT8_S1G_bDpT10_ENKUlT_T0_E_clISt17integral_constantIbLb1EES1T_IbLb0EEEEDaS1P_S1Q_EUlS1P_E_NS1_11comp_targetILNS1_3genE10ELNS1_11target_archE1200ELNS1_3gpuE4ELNS1_3repE0EEENS1_30default_config_static_selectorELNS0_4arch9wavefront6targetE1EEEvS12_,"axG",@progbits,_ZN7rocprim17ROCPRIM_400000_NS6detail17trampoline_kernelINS0_13select_configILj256ELj13ELNS0_17block_load_methodE3ELS4_3ELS4_3ELNS0_20block_scan_algorithmE0ELj4294967295EEENS1_25partition_config_selectorILNS1_17partition_subalgoE4EjNS0_10empty_typeEbEEZZNS1_14partition_implILS8_4ELb0ES6_15HIP_vector_typeIjLj2EENS0_17counting_iteratorIjlEEPS9_SG_NS0_5tupleIJPjSI_NS0_16reverse_iteratorISI_EEEEENSH_IJSG_SG_SG_EEES9_SI_JZNS1_25segmented_radix_sort_implINS0_14default_configELb1EPKhPhPKlPlN2at6native12_GLOBAL__N_18offset_tEEE10hipError_tPvRmT1_PNSt15iterator_traitsIS12_E10value_typeET2_T3_PNS13_IS18_E10value_typeET4_jRbjT5_S1E_jjP12ihipStream_tbEUljE_ZNSN_ISO_Lb1ESQ_SR_ST_SU_SY_EESZ_S10_S11_S12_S16_S17_S18_S1B_S1C_jS1D_jS1E_S1E_jjS1G_bEUljE0_EEESZ_S10_S11_S18_S1C_S1E_T6_T7_T9_mT8_S1G_bDpT10_ENKUlT_T0_E_clISt17integral_constantIbLb1EES1T_IbLb0EEEEDaS1P_S1Q_EUlS1P_E_NS1_11comp_targetILNS1_3genE10ELNS1_11target_archE1200ELNS1_3gpuE4ELNS1_3repE0EEENS1_30default_config_static_selectorELNS0_4arch9wavefront6targetE1EEEvS12_,comdat
.Lfunc_end35:
	.size	_ZN7rocprim17ROCPRIM_400000_NS6detail17trampoline_kernelINS0_13select_configILj256ELj13ELNS0_17block_load_methodE3ELS4_3ELS4_3ELNS0_20block_scan_algorithmE0ELj4294967295EEENS1_25partition_config_selectorILNS1_17partition_subalgoE4EjNS0_10empty_typeEbEEZZNS1_14partition_implILS8_4ELb0ES6_15HIP_vector_typeIjLj2EENS0_17counting_iteratorIjlEEPS9_SG_NS0_5tupleIJPjSI_NS0_16reverse_iteratorISI_EEEEENSH_IJSG_SG_SG_EEES9_SI_JZNS1_25segmented_radix_sort_implINS0_14default_configELb1EPKhPhPKlPlN2at6native12_GLOBAL__N_18offset_tEEE10hipError_tPvRmT1_PNSt15iterator_traitsIS12_E10value_typeET2_T3_PNS13_IS18_E10value_typeET4_jRbjT5_S1E_jjP12ihipStream_tbEUljE_ZNSN_ISO_Lb1ESQ_SR_ST_SU_SY_EESZ_S10_S11_S12_S16_S17_S18_S1B_S1C_jS1D_jS1E_S1E_jjS1G_bEUljE0_EEESZ_S10_S11_S18_S1C_S1E_T6_T7_T9_mT8_S1G_bDpT10_ENKUlT_T0_E_clISt17integral_constantIbLb1EES1T_IbLb0EEEEDaS1P_S1Q_EUlS1P_E_NS1_11comp_targetILNS1_3genE10ELNS1_11target_archE1200ELNS1_3gpuE4ELNS1_3repE0EEENS1_30default_config_static_selectorELNS0_4arch9wavefront6targetE1EEEvS12_, .Lfunc_end35-_ZN7rocprim17ROCPRIM_400000_NS6detail17trampoline_kernelINS0_13select_configILj256ELj13ELNS0_17block_load_methodE3ELS4_3ELS4_3ELNS0_20block_scan_algorithmE0ELj4294967295EEENS1_25partition_config_selectorILNS1_17partition_subalgoE4EjNS0_10empty_typeEbEEZZNS1_14partition_implILS8_4ELb0ES6_15HIP_vector_typeIjLj2EENS0_17counting_iteratorIjlEEPS9_SG_NS0_5tupleIJPjSI_NS0_16reverse_iteratorISI_EEEEENSH_IJSG_SG_SG_EEES9_SI_JZNS1_25segmented_radix_sort_implINS0_14default_configELb1EPKhPhPKlPlN2at6native12_GLOBAL__N_18offset_tEEE10hipError_tPvRmT1_PNSt15iterator_traitsIS12_E10value_typeET2_T3_PNS13_IS18_E10value_typeET4_jRbjT5_S1E_jjP12ihipStream_tbEUljE_ZNSN_ISO_Lb1ESQ_SR_ST_SU_SY_EESZ_S10_S11_S12_S16_S17_S18_S1B_S1C_jS1D_jS1E_S1E_jjS1G_bEUljE0_EEESZ_S10_S11_S18_S1C_S1E_T6_T7_T9_mT8_S1G_bDpT10_ENKUlT_T0_E_clISt17integral_constantIbLb1EES1T_IbLb0EEEEDaS1P_S1Q_EUlS1P_E_NS1_11comp_targetILNS1_3genE10ELNS1_11target_archE1200ELNS1_3gpuE4ELNS1_3repE0EEENS1_30default_config_static_selectorELNS0_4arch9wavefront6targetE1EEEvS12_
                                        ; -- End function
	.set _ZN7rocprim17ROCPRIM_400000_NS6detail17trampoline_kernelINS0_13select_configILj256ELj13ELNS0_17block_load_methodE3ELS4_3ELS4_3ELNS0_20block_scan_algorithmE0ELj4294967295EEENS1_25partition_config_selectorILNS1_17partition_subalgoE4EjNS0_10empty_typeEbEEZZNS1_14partition_implILS8_4ELb0ES6_15HIP_vector_typeIjLj2EENS0_17counting_iteratorIjlEEPS9_SG_NS0_5tupleIJPjSI_NS0_16reverse_iteratorISI_EEEEENSH_IJSG_SG_SG_EEES9_SI_JZNS1_25segmented_radix_sort_implINS0_14default_configELb1EPKhPhPKlPlN2at6native12_GLOBAL__N_18offset_tEEE10hipError_tPvRmT1_PNSt15iterator_traitsIS12_E10value_typeET2_T3_PNS13_IS18_E10value_typeET4_jRbjT5_S1E_jjP12ihipStream_tbEUljE_ZNSN_ISO_Lb1ESQ_SR_ST_SU_SY_EESZ_S10_S11_S12_S16_S17_S18_S1B_S1C_jS1D_jS1E_S1E_jjS1G_bEUljE0_EEESZ_S10_S11_S18_S1C_S1E_T6_T7_T9_mT8_S1G_bDpT10_ENKUlT_T0_E_clISt17integral_constantIbLb1EES1T_IbLb0EEEEDaS1P_S1Q_EUlS1P_E_NS1_11comp_targetILNS1_3genE10ELNS1_11target_archE1200ELNS1_3gpuE4ELNS1_3repE0EEENS1_30default_config_static_selectorELNS0_4arch9wavefront6targetE1EEEvS12_.num_vgpr, 0
	.set _ZN7rocprim17ROCPRIM_400000_NS6detail17trampoline_kernelINS0_13select_configILj256ELj13ELNS0_17block_load_methodE3ELS4_3ELS4_3ELNS0_20block_scan_algorithmE0ELj4294967295EEENS1_25partition_config_selectorILNS1_17partition_subalgoE4EjNS0_10empty_typeEbEEZZNS1_14partition_implILS8_4ELb0ES6_15HIP_vector_typeIjLj2EENS0_17counting_iteratorIjlEEPS9_SG_NS0_5tupleIJPjSI_NS0_16reverse_iteratorISI_EEEEENSH_IJSG_SG_SG_EEES9_SI_JZNS1_25segmented_radix_sort_implINS0_14default_configELb1EPKhPhPKlPlN2at6native12_GLOBAL__N_18offset_tEEE10hipError_tPvRmT1_PNSt15iterator_traitsIS12_E10value_typeET2_T3_PNS13_IS18_E10value_typeET4_jRbjT5_S1E_jjP12ihipStream_tbEUljE_ZNSN_ISO_Lb1ESQ_SR_ST_SU_SY_EESZ_S10_S11_S12_S16_S17_S18_S1B_S1C_jS1D_jS1E_S1E_jjS1G_bEUljE0_EEESZ_S10_S11_S18_S1C_S1E_T6_T7_T9_mT8_S1G_bDpT10_ENKUlT_T0_E_clISt17integral_constantIbLb1EES1T_IbLb0EEEEDaS1P_S1Q_EUlS1P_E_NS1_11comp_targetILNS1_3genE10ELNS1_11target_archE1200ELNS1_3gpuE4ELNS1_3repE0EEENS1_30default_config_static_selectorELNS0_4arch9wavefront6targetE1EEEvS12_.num_agpr, 0
	.set _ZN7rocprim17ROCPRIM_400000_NS6detail17trampoline_kernelINS0_13select_configILj256ELj13ELNS0_17block_load_methodE3ELS4_3ELS4_3ELNS0_20block_scan_algorithmE0ELj4294967295EEENS1_25partition_config_selectorILNS1_17partition_subalgoE4EjNS0_10empty_typeEbEEZZNS1_14partition_implILS8_4ELb0ES6_15HIP_vector_typeIjLj2EENS0_17counting_iteratorIjlEEPS9_SG_NS0_5tupleIJPjSI_NS0_16reverse_iteratorISI_EEEEENSH_IJSG_SG_SG_EEES9_SI_JZNS1_25segmented_radix_sort_implINS0_14default_configELb1EPKhPhPKlPlN2at6native12_GLOBAL__N_18offset_tEEE10hipError_tPvRmT1_PNSt15iterator_traitsIS12_E10value_typeET2_T3_PNS13_IS18_E10value_typeET4_jRbjT5_S1E_jjP12ihipStream_tbEUljE_ZNSN_ISO_Lb1ESQ_SR_ST_SU_SY_EESZ_S10_S11_S12_S16_S17_S18_S1B_S1C_jS1D_jS1E_S1E_jjS1G_bEUljE0_EEESZ_S10_S11_S18_S1C_S1E_T6_T7_T9_mT8_S1G_bDpT10_ENKUlT_T0_E_clISt17integral_constantIbLb1EES1T_IbLb0EEEEDaS1P_S1Q_EUlS1P_E_NS1_11comp_targetILNS1_3genE10ELNS1_11target_archE1200ELNS1_3gpuE4ELNS1_3repE0EEENS1_30default_config_static_selectorELNS0_4arch9wavefront6targetE1EEEvS12_.numbered_sgpr, 0
	.set _ZN7rocprim17ROCPRIM_400000_NS6detail17trampoline_kernelINS0_13select_configILj256ELj13ELNS0_17block_load_methodE3ELS4_3ELS4_3ELNS0_20block_scan_algorithmE0ELj4294967295EEENS1_25partition_config_selectorILNS1_17partition_subalgoE4EjNS0_10empty_typeEbEEZZNS1_14partition_implILS8_4ELb0ES6_15HIP_vector_typeIjLj2EENS0_17counting_iteratorIjlEEPS9_SG_NS0_5tupleIJPjSI_NS0_16reverse_iteratorISI_EEEEENSH_IJSG_SG_SG_EEES9_SI_JZNS1_25segmented_radix_sort_implINS0_14default_configELb1EPKhPhPKlPlN2at6native12_GLOBAL__N_18offset_tEEE10hipError_tPvRmT1_PNSt15iterator_traitsIS12_E10value_typeET2_T3_PNS13_IS18_E10value_typeET4_jRbjT5_S1E_jjP12ihipStream_tbEUljE_ZNSN_ISO_Lb1ESQ_SR_ST_SU_SY_EESZ_S10_S11_S12_S16_S17_S18_S1B_S1C_jS1D_jS1E_S1E_jjS1G_bEUljE0_EEESZ_S10_S11_S18_S1C_S1E_T6_T7_T9_mT8_S1G_bDpT10_ENKUlT_T0_E_clISt17integral_constantIbLb1EES1T_IbLb0EEEEDaS1P_S1Q_EUlS1P_E_NS1_11comp_targetILNS1_3genE10ELNS1_11target_archE1200ELNS1_3gpuE4ELNS1_3repE0EEENS1_30default_config_static_selectorELNS0_4arch9wavefront6targetE1EEEvS12_.num_named_barrier, 0
	.set _ZN7rocprim17ROCPRIM_400000_NS6detail17trampoline_kernelINS0_13select_configILj256ELj13ELNS0_17block_load_methodE3ELS4_3ELS4_3ELNS0_20block_scan_algorithmE0ELj4294967295EEENS1_25partition_config_selectorILNS1_17partition_subalgoE4EjNS0_10empty_typeEbEEZZNS1_14partition_implILS8_4ELb0ES6_15HIP_vector_typeIjLj2EENS0_17counting_iteratorIjlEEPS9_SG_NS0_5tupleIJPjSI_NS0_16reverse_iteratorISI_EEEEENSH_IJSG_SG_SG_EEES9_SI_JZNS1_25segmented_radix_sort_implINS0_14default_configELb1EPKhPhPKlPlN2at6native12_GLOBAL__N_18offset_tEEE10hipError_tPvRmT1_PNSt15iterator_traitsIS12_E10value_typeET2_T3_PNS13_IS18_E10value_typeET4_jRbjT5_S1E_jjP12ihipStream_tbEUljE_ZNSN_ISO_Lb1ESQ_SR_ST_SU_SY_EESZ_S10_S11_S12_S16_S17_S18_S1B_S1C_jS1D_jS1E_S1E_jjS1G_bEUljE0_EEESZ_S10_S11_S18_S1C_S1E_T6_T7_T9_mT8_S1G_bDpT10_ENKUlT_T0_E_clISt17integral_constantIbLb1EES1T_IbLb0EEEEDaS1P_S1Q_EUlS1P_E_NS1_11comp_targetILNS1_3genE10ELNS1_11target_archE1200ELNS1_3gpuE4ELNS1_3repE0EEENS1_30default_config_static_selectorELNS0_4arch9wavefront6targetE1EEEvS12_.private_seg_size, 0
	.set _ZN7rocprim17ROCPRIM_400000_NS6detail17trampoline_kernelINS0_13select_configILj256ELj13ELNS0_17block_load_methodE3ELS4_3ELS4_3ELNS0_20block_scan_algorithmE0ELj4294967295EEENS1_25partition_config_selectorILNS1_17partition_subalgoE4EjNS0_10empty_typeEbEEZZNS1_14partition_implILS8_4ELb0ES6_15HIP_vector_typeIjLj2EENS0_17counting_iteratorIjlEEPS9_SG_NS0_5tupleIJPjSI_NS0_16reverse_iteratorISI_EEEEENSH_IJSG_SG_SG_EEES9_SI_JZNS1_25segmented_radix_sort_implINS0_14default_configELb1EPKhPhPKlPlN2at6native12_GLOBAL__N_18offset_tEEE10hipError_tPvRmT1_PNSt15iterator_traitsIS12_E10value_typeET2_T3_PNS13_IS18_E10value_typeET4_jRbjT5_S1E_jjP12ihipStream_tbEUljE_ZNSN_ISO_Lb1ESQ_SR_ST_SU_SY_EESZ_S10_S11_S12_S16_S17_S18_S1B_S1C_jS1D_jS1E_S1E_jjS1G_bEUljE0_EEESZ_S10_S11_S18_S1C_S1E_T6_T7_T9_mT8_S1G_bDpT10_ENKUlT_T0_E_clISt17integral_constantIbLb1EES1T_IbLb0EEEEDaS1P_S1Q_EUlS1P_E_NS1_11comp_targetILNS1_3genE10ELNS1_11target_archE1200ELNS1_3gpuE4ELNS1_3repE0EEENS1_30default_config_static_selectorELNS0_4arch9wavefront6targetE1EEEvS12_.uses_vcc, 0
	.set _ZN7rocprim17ROCPRIM_400000_NS6detail17trampoline_kernelINS0_13select_configILj256ELj13ELNS0_17block_load_methodE3ELS4_3ELS4_3ELNS0_20block_scan_algorithmE0ELj4294967295EEENS1_25partition_config_selectorILNS1_17partition_subalgoE4EjNS0_10empty_typeEbEEZZNS1_14partition_implILS8_4ELb0ES6_15HIP_vector_typeIjLj2EENS0_17counting_iteratorIjlEEPS9_SG_NS0_5tupleIJPjSI_NS0_16reverse_iteratorISI_EEEEENSH_IJSG_SG_SG_EEES9_SI_JZNS1_25segmented_radix_sort_implINS0_14default_configELb1EPKhPhPKlPlN2at6native12_GLOBAL__N_18offset_tEEE10hipError_tPvRmT1_PNSt15iterator_traitsIS12_E10value_typeET2_T3_PNS13_IS18_E10value_typeET4_jRbjT5_S1E_jjP12ihipStream_tbEUljE_ZNSN_ISO_Lb1ESQ_SR_ST_SU_SY_EESZ_S10_S11_S12_S16_S17_S18_S1B_S1C_jS1D_jS1E_S1E_jjS1G_bEUljE0_EEESZ_S10_S11_S18_S1C_S1E_T6_T7_T9_mT8_S1G_bDpT10_ENKUlT_T0_E_clISt17integral_constantIbLb1EES1T_IbLb0EEEEDaS1P_S1Q_EUlS1P_E_NS1_11comp_targetILNS1_3genE10ELNS1_11target_archE1200ELNS1_3gpuE4ELNS1_3repE0EEENS1_30default_config_static_selectorELNS0_4arch9wavefront6targetE1EEEvS12_.uses_flat_scratch, 0
	.set _ZN7rocprim17ROCPRIM_400000_NS6detail17trampoline_kernelINS0_13select_configILj256ELj13ELNS0_17block_load_methodE3ELS4_3ELS4_3ELNS0_20block_scan_algorithmE0ELj4294967295EEENS1_25partition_config_selectorILNS1_17partition_subalgoE4EjNS0_10empty_typeEbEEZZNS1_14partition_implILS8_4ELb0ES6_15HIP_vector_typeIjLj2EENS0_17counting_iteratorIjlEEPS9_SG_NS0_5tupleIJPjSI_NS0_16reverse_iteratorISI_EEEEENSH_IJSG_SG_SG_EEES9_SI_JZNS1_25segmented_radix_sort_implINS0_14default_configELb1EPKhPhPKlPlN2at6native12_GLOBAL__N_18offset_tEEE10hipError_tPvRmT1_PNSt15iterator_traitsIS12_E10value_typeET2_T3_PNS13_IS18_E10value_typeET4_jRbjT5_S1E_jjP12ihipStream_tbEUljE_ZNSN_ISO_Lb1ESQ_SR_ST_SU_SY_EESZ_S10_S11_S12_S16_S17_S18_S1B_S1C_jS1D_jS1E_S1E_jjS1G_bEUljE0_EEESZ_S10_S11_S18_S1C_S1E_T6_T7_T9_mT8_S1G_bDpT10_ENKUlT_T0_E_clISt17integral_constantIbLb1EES1T_IbLb0EEEEDaS1P_S1Q_EUlS1P_E_NS1_11comp_targetILNS1_3genE10ELNS1_11target_archE1200ELNS1_3gpuE4ELNS1_3repE0EEENS1_30default_config_static_selectorELNS0_4arch9wavefront6targetE1EEEvS12_.has_dyn_sized_stack, 0
	.set _ZN7rocprim17ROCPRIM_400000_NS6detail17trampoline_kernelINS0_13select_configILj256ELj13ELNS0_17block_load_methodE3ELS4_3ELS4_3ELNS0_20block_scan_algorithmE0ELj4294967295EEENS1_25partition_config_selectorILNS1_17partition_subalgoE4EjNS0_10empty_typeEbEEZZNS1_14partition_implILS8_4ELb0ES6_15HIP_vector_typeIjLj2EENS0_17counting_iteratorIjlEEPS9_SG_NS0_5tupleIJPjSI_NS0_16reverse_iteratorISI_EEEEENSH_IJSG_SG_SG_EEES9_SI_JZNS1_25segmented_radix_sort_implINS0_14default_configELb1EPKhPhPKlPlN2at6native12_GLOBAL__N_18offset_tEEE10hipError_tPvRmT1_PNSt15iterator_traitsIS12_E10value_typeET2_T3_PNS13_IS18_E10value_typeET4_jRbjT5_S1E_jjP12ihipStream_tbEUljE_ZNSN_ISO_Lb1ESQ_SR_ST_SU_SY_EESZ_S10_S11_S12_S16_S17_S18_S1B_S1C_jS1D_jS1E_S1E_jjS1G_bEUljE0_EEESZ_S10_S11_S18_S1C_S1E_T6_T7_T9_mT8_S1G_bDpT10_ENKUlT_T0_E_clISt17integral_constantIbLb1EES1T_IbLb0EEEEDaS1P_S1Q_EUlS1P_E_NS1_11comp_targetILNS1_3genE10ELNS1_11target_archE1200ELNS1_3gpuE4ELNS1_3repE0EEENS1_30default_config_static_selectorELNS0_4arch9wavefront6targetE1EEEvS12_.has_recursion, 0
	.set _ZN7rocprim17ROCPRIM_400000_NS6detail17trampoline_kernelINS0_13select_configILj256ELj13ELNS0_17block_load_methodE3ELS4_3ELS4_3ELNS0_20block_scan_algorithmE0ELj4294967295EEENS1_25partition_config_selectorILNS1_17partition_subalgoE4EjNS0_10empty_typeEbEEZZNS1_14partition_implILS8_4ELb0ES6_15HIP_vector_typeIjLj2EENS0_17counting_iteratorIjlEEPS9_SG_NS0_5tupleIJPjSI_NS0_16reverse_iteratorISI_EEEEENSH_IJSG_SG_SG_EEES9_SI_JZNS1_25segmented_radix_sort_implINS0_14default_configELb1EPKhPhPKlPlN2at6native12_GLOBAL__N_18offset_tEEE10hipError_tPvRmT1_PNSt15iterator_traitsIS12_E10value_typeET2_T3_PNS13_IS18_E10value_typeET4_jRbjT5_S1E_jjP12ihipStream_tbEUljE_ZNSN_ISO_Lb1ESQ_SR_ST_SU_SY_EESZ_S10_S11_S12_S16_S17_S18_S1B_S1C_jS1D_jS1E_S1E_jjS1G_bEUljE0_EEESZ_S10_S11_S18_S1C_S1E_T6_T7_T9_mT8_S1G_bDpT10_ENKUlT_T0_E_clISt17integral_constantIbLb1EES1T_IbLb0EEEEDaS1P_S1Q_EUlS1P_E_NS1_11comp_targetILNS1_3genE10ELNS1_11target_archE1200ELNS1_3gpuE4ELNS1_3repE0EEENS1_30default_config_static_selectorELNS0_4arch9wavefront6targetE1EEEvS12_.has_indirect_call, 0
	.section	.AMDGPU.csdata,"",@progbits
; Kernel info:
; codeLenInByte = 0
; TotalNumSgprs: 4
; NumVgprs: 0
; ScratchSize: 0
; MemoryBound: 0
; FloatMode: 240
; IeeeMode: 1
; LDSByteSize: 0 bytes/workgroup (compile time only)
; SGPRBlocks: 0
; VGPRBlocks: 0
; NumSGPRsForWavesPerEU: 4
; NumVGPRsForWavesPerEU: 1
; Occupancy: 10
; WaveLimiterHint : 0
; COMPUTE_PGM_RSRC2:SCRATCH_EN: 0
; COMPUTE_PGM_RSRC2:USER_SGPR: 6
; COMPUTE_PGM_RSRC2:TRAP_HANDLER: 0
; COMPUTE_PGM_RSRC2:TGID_X_EN: 1
; COMPUTE_PGM_RSRC2:TGID_Y_EN: 0
; COMPUTE_PGM_RSRC2:TGID_Z_EN: 0
; COMPUTE_PGM_RSRC2:TIDIG_COMP_CNT: 0
	.section	.text._ZN7rocprim17ROCPRIM_400000_NS6detail17trampoline_kernelINS0_13select_configILj256ELj13ELNS0_17block_load_methodE3ELS4_3ELS4_3ELNS0_20block_scan_algorithmE0ELj4294967295EEENS1_25partition_config_selectorILNS1_17partition_subalgoE4EjNS0_10empty_typeEbEEZZNS1_14partition_implILS8_4ELb0ES6_15HIP_vector_typeIjLj2EENS0_17counting_iteratorIjlEEPS9_SG_NS0_5tupleIJPjSI_NS0_16reverse_iteratorISI_EEEEENSH_IJSG_SG_SG_EEES9_SI_JZNS1_25segmented_radix_sort_implINS0_14default_configELb1EPKhPhPKlPlN2at6native12_GLOBAL__N_18offset_tEEE10hipError_tPvRmT1_PNSt15iterator_traitsIS12_E10value_typeET2_T3_PNS13_IS18_E10value_typeET4_jRbjT5_S1E_jjP12ihipStream_tbEUljE_ZNSN_ISO_Lb1ESQ_SR_ST_SU_SY_EESZ_S10_S11_S12_S16_S17_S18_S1B_S1C_jS1D_jS1E_S1E_jjS1G_bEUljE0_EEESZ_S10_S11_S18_S1C_S1E_T6_T7_T9_mT8_S1G_bDpT10_ENKUlT_T0_E_clISt17integral_constantIbLb1EES1T_IbLb0EEEEDaS1P_S1Q_EUlS1P_E_NS1_11comp_targetILNS1_3genE9ELNS1_11target_archE1100ELNS1_3gpuE3ELNS1_3repE0EEENS1_30default_config_static_selectorELNS0_4arch9wavefront6targetE1EEEvS12_,"axG",@progbits,_ZN7rocprim17ROCPRIM_400000_NS6detail17trampoline_kernelINS0_13select_configILj256ELj13ELNS0_17block_load_methodE3ELS4_3ELS4_3ELNS0_20block_scan_algorithmE0ELj4294967295EEENS1_25partition_config_selectorILNS1_17partition_subalgoE4EjNS0_10empty_typeEbEEZZNS1_14partition_implILS8_4ELb0ES6_15HIP_vector_typeIjLj2EENS0_17counting_iteratorIjlEEPS9_SG_NS0_5tupleIJPjSI_NS0_16reverse_iteratorISI_EEEEENSH_IJSG_SG_SG_EEES9_SI_JZNS1_25segmented_radix_sort_implINS0_14default_configELb1EPKhPhPKlPlN2at6native12_GLOBAL__N_18offset_tEEE10hipError_tPvRmT1_PNSt15iterator_traitsIS12_E10value_typeET2_T3_PNS13_IS18_E10value_typeET4_jRbjT5_S1E_jjP12ihipStream_tbEUljE_ZNSN_ISO_Lb1ESQ_SR_ST_SU_SY_EESZ_S10_S11_S12_S16_S17_S18_S1B_S1C_jS1D_jS1E_S1E_jjS1G_bEUljE0_EEESZ_S10_S11_S18_S1C_S1E_T6_T7_T9_mT8_S1G_bDpT10_ENKUlT_T0_E_clISt17integral_constantIbLb1EES1T_IbLb0EEEEDaS1P_S1Q_EUlS1P_E_NS1_11comp_targetILNS1_3genE9ELNS1_11target_archE1100ELNS1_3gpuE3ELNS1_3repE0EEENS1_30default_config_static_selectorELNS0_4arch9wavefront6targetE1EEEvS12_,comdat
	.globl	_ZN7rocprim17ROCPRIM_400000_NS6detail17trampoline_kernelINS0_13select_configILj256ELj13ELNS0_17block_load_methodE3ELS4_3ELS4_3ELNS0_20block_scan_algorithmE0ELj4294967295EEENS1_25partition_config_selectorILNS1_17partition_subalgoE4EjNS0_10empty_typeEbEEZZNS1_14partition_implILS8_4ELb0ES6_15HIP_vector_typeIjLj2EENS0_17counting_iteratorIjlEEPS9_SG_NS0_5tupleIJPjSI_NS0_16reverse_iteratorISI_EEEEENSH_IJSG_SG_SG_EEES9_SI_JZNS1_25segmented_radix_sort_implINS0_14default_configELb1EPKhPhPKlPlN2at6native12_GLOBAL__N_18offset_tEEE10hipError_tPvRmT1_PNSt15iterator_traitsIS12_E10value_typeET2_T3_PNS13_IS18_E10value_typeET4_jRbjT5_S1E_jjP12ihipStream_tbEUljE_ZNSN_ISO_Lb1ESQ_SR_ST_SU_SY_EESZ_S10_S11_S12_S16_S17_S18_S1B_S1C_jS1D_jS1E_S1E_jjS1G_bEUljE0_EEESZ_S10_S11_S18_S1C_S1E_T6_T7_T9_mT8_S1G_bDpT10_ENKUlT_T0_E_clISt17integral_constantIbLb1EES1T_IbLb0EEEEDaS1P_S1Q_EUlS1P_E_NS1_11comp_targetILNS1_3genE9ELNS1_11target_archE1100ELNS1_3gpuE3ELNS1_3repE0EEENS1_30default_config_static_selectorELNS0_4arch9wavefront6targetE1EEEvS12_ ; -- Begin function _ZN7rocprim17ROCPRIM_400000_NS6detail17trampoline_kernelINS0_13select_configILj256ELj13ELNS0_17block_load_methodE3ELS4_3ELS4_3ELNS0_20block_scan_algorithmE0ELj4294967295EEENS1_25partition_config_selectorILNS1_17partition_subalgoE4EjNS0_10empty_typeEbEEZZNS1_14partition_implILS8_4ELb0ES6_15HIP_vector_typeIjLj2EENS0_17counting_iteratorIjlEEPS9_SG_NS0_5tupleIJPjSI_NS0_16reverse_iteratorISI_EEEEENSH_IJSG_SG_SG_EEES9_SI_JZNS1_25segmented_radix_sort_implINS0_14default_configELb1EPKhPhPKlPlN2at6native12_GLOBAL__N_18offset_tEEE10hipError_tPvRmT1_PNSt15iterator_traitsIS12_E10value_typeET2_T3_PNS13_IS18_E10value_typeET4_jRbjT5_S1E_jjP12ihipStream_tbEUljE_ZNSN_ISO_Lb1ESQ_SR_ST_SU_SY_EESZ_S10_S11_S12_S16_S17_S18_S1B_S1C_jS1D_jS1E_S1E_jjS1G_bEUljE0_EEESZ_S10_S11_S18_S1C_S1E_T6_T7_T9_mT8_S1G_bDpT10_ENKUlT_T0_E_clISt17integral_constantIbLb1EES1T_IbLb0EEEEDaS1P_S1Q_EUlS1P_E_NS1_11comp_targetILNS1_3genE9ELNS1_11target_archE1100ELNS1_3gpuE3ELNS1_3repE0EEENS1_30default_config_static_selectorELNS0_4arch9wavefront6targetE1EEEvS12_
	.p2align	8
	.type	_ZN7rocprim17ROCPRIM_400000_NS6detail17trampoline_kernelINS0_13select_configILj256ELj13ELNS0_17block_load_methodE3ELS4_3ELS4_3ELNS0_20block_scan_algorithmE0ELj4294967295EEENS1_25partition_config_selectorILNS1_17partition_subalgoE4EjNS0_10empty_typeEbEEZZNS1_14partition_implILS8_4ELb0ES6_15HIP_vector_typeIjLj2EENS0_17counting_iteratorIjlEEPS9_SG_NS0_5tupleIJPjSI_NS0_16reverse_iteratorISI_EEEEENSH_IJSG_SG_SG_EEES9_SI_JZNS1_25segmented_radix_sort_implINS0_14default_configELb1EPKhPhPKlPlN2at6native12_GLOBAL__N_18offset_tEEE10hipError_tPvRmT1_PNSt15iterator_traitsIS12_E10value_typeET2_T3_PNS13_IS18_E10value_typeET4_jRbjT5_S1E_jjP12ihipStream_tbEUljE_ZNSN_ISO_Lb1ESQ_SR_ST_SU_SY_EESZ_S10_S11_S12_S16_S17_S18_S1B_S1C_jS1D_jS1E_S1E_jjS1G_bEUljE0_EEESZ_S10_S11_S18_S1C_S1E_T6_T7_T9_mT8_S1G_bDpT10_ENKUlT_T0_E_clISt17integral_constantIbLb1EES1T_IbLb0EEEEDaS1P_S1Q_EUlS1P_E_NS1_11comp_targetILNS1_3genE9ELNS1_11target_archE1100ELNS1_3gpuE3ELNS1_3repE0EEENS1_30default_config_static_selectorELNS0_4arch9wavefront6targetE1EEEvS12_,@function
_ZN7rocprim17ROCPRIM_400000_NS6detail17trampoline_kernelINS0_13select_configILj256ELj13ELNS0_17block_load_methodE3ELS4_3ELS4_3ELNS0_20block_scan_algorithmE0ELj4294967295EEENS1_25partition_config_selectorILNS1_17partition_subalgoE4EjNS0_10empty_typeEbEEZZNS1_14partition_implILS8_4ELb0ES6_15HIP_vector_typeIjLj2EENS0_17counting_iteratorIjlEEPS9_SG_NS0_5tupleIJPjSI_NS0_16reverse_iteratorISI_EEEEENSH_IJSG_SG_SG_EEES9_SI_JZNS1_25segmented_radix_sort_implINS0_14default_configELb1EPKhPhPKlPlN2at6native12_GLOBAL__N_18offset_tEEE10hipError_tPvRmT1_PNSt15iterator_traitsIS12_E10value_typeET2_T3_PNS13_IS18_E10value_typeET4_jRbjT5_S1E_jjP12ihipStream_tbEUljE_ZNSN_ISO_Lb1ESQ_SR_ST_SU_SY_EESZ_S10_S11_S12_S16_S17_S18_S1B_S1C_jS1D_jS1E_S1E_jjS1G_bEUljE0_EEESZ_S10_S11_S18_S1C_S1E_T6_T7_T9_mT8_S1G_bDpT10_ENKUlT_T0_E_clISt17integral_constantIbLb1EES1T_IbLb0EEEEDaS1P_S1Q_EUlS1P_E_NS1_11comp_targetILNS1_3genE9ELNS1_11target_archE1100ELNS1_3gpuE3ELNS1_3repE0EEENS1_30default_config_static_selectorELNS0_4arch9wavefront6targetE1EEEvS12_: ; @_ZN7rocprim17ROCPRIM_400000_NS6detail17trampoline_kernelINS0_13select_configILj256ELj13ELNS0_17block_load_methodE3ELS4_3ELS4_3ELNS0_20block_scan_algorithmE0ELj4294967295EEENS1_25partition_config_selectorILNS1_17partition_subalgoE4EjNS0_10empty_typeEbEEZZNS1_14partition_implILS8_4ELb0ES6_15HIP_vector_typeIjLj2EENS0_17counting_iteratorIjlEEPS9_SG_NS0_5tupleIJPjSI_NS0_16reverse_iteratorISI_EEEEENSH_IJSG_SG_SG_EEES9_SI_JZNS1_25segmented_radix_sort_implINS0_14default_configELb1EPKhPhPKlPlN2at6native12_GLOBAL__N_18offset_tEEE10hipError_tPvRmT1_PNSt15iterator_traitsIS12_E10value_typeET2_T3_PNS13_IS18_E10value_typeET4_jRbjT5_S1E_jjP12ihipStream_tbEUljE_ZNSN_ISO_Lb1ESQ_SR_ST_SU_SY_EESZ_S10_S11_S12_S16_S17_S18_S1B_S1C_jS1D_jS1E_S1E_jjS1G_bEUljE0_EEESZ_S10_S11_S18_S1C_S1E_T6_T7_T9_mT8_S1G_bDpT10_ENKUlT_T0_E_clISt17integral_constantIbLb1EES1T_IbLb0EEEEDaS1P_S1Q_EUlS1P_E_NS1_11comp_targetILNS1_3genE9ELNS1_11target_archE1100ELNS1_3gpuE3ELNS1_3repE0EEENS1_30default_config_static_selectorELNS0_4arch9wavefront6targetE1EEEvS12_
; %bb.0:
	.section	.rodata,"a",@progbits
	.p2align	6, 0x0
	.amdhsa_kernel _ZN7rocprim17ROCPRIM_400000_NS6detail17trampoline_kernelINS0_13select_configILj256ELj13ELNS0_17block_load_methodE3ELS4_3ELS4_3ELNS0_20block_scan_algorithmE0ELj4294967295EEENS1_25partition_config_selectorILNS1_17partition_subalgoE4EjNS0_10empty_typeEbEEZZNS1_14partition_implILS8_4ELb0ES6_15HIP_vector_typeIjLj2EENS0_17counting_iteratorIjlEEPS9_SG_NS0_5tupleIJPjSI_NS0_16reverse_iteratorISI_EEEEENSH_IJSG_SG_SG_EEES9_SI_JZNS1_25segmented_radix_sort_implINS0_14default_configELb1EPKhPhPKlPlN2at6native12_GLOBAL__N_18offset_tEEE10hipError_tPvRmT1_PNSt15iterator_traitsIS12_E10value_typeET2_T3_PNS13_IS18_E10value_typeET4_jRbjT5_S1E_jjP12ihipStream_tbEUljE_ZNSN_ISO_Lb1ESQ_SR_ST_SU_SY_EESZ_S10_S11_S12_S16_S17_S18_S1B_S1C_jS1D_jS1E_S1E_jjS1G_bEUljE0_EEESZ_S10_S11_S18_S1C_S1E_T6_T7_T9_mT8_S1G_bDpT10_ENKUlT_T0_E_clISt17integral_constantIbLb1EES1T_IbLb0EEEEDaS1P_S1Q_EUlS1P_E_NS1_11comp_targetILNS1_3genE9ELNS1_11target_archE1100ELNS1_3gpuE3ELNS1_3repE0EEENS1_30default_config_static_selectorELNS0_4arch9wavefront6targetE1EEEvS12_
		.amdhsa_group_segment_fixed_size 0
		.amdhsa_private_segment_fixed_size 0
		.amdhsa_kernarg_size 176
		.amdhsa_user_sgpr_count 6
		.amdhsa_user_sgpr_private_segment_buffer 1
		.amdhsa_user_sgpr_dispatch_ptr 0
		.amdhsa_user_sgpr_queue_ptr 0
		.amdhsa_user_sgpr_kernarg_segment_ptr 1
		.amdhsa_user_sgpr_dispatch_id 0
		.amdhsa_user_sgpr_flat_scratch_init 0
		.amdhsa_user_sgpr_private_segment_size 0
		.amdhsa_uses_dynamic_stack 0
		.amdhsa_system_sgpr_private_segment_wavefront_offset 0
		.amdhsa_system_sgpr_workgroup_id_x 1
		.amdhsa_system_sgpr_workgroup_id_y 0
		.amdhsa_system_sgpr_workgroup_id_z 0
		.amdhsa_system_sgpr_workgroup_info 0
		.amdhsa_system_vgpr_workitem_id 0
		.amdhsa_next_free_vgpr 1
		.amdhsa_next_free_sgpr 0
		.amdhsa_reserve_vcc 0
		.amdhsa_reserve_flat_scratch 0
		.amdhsa_float_round_mode_32 0
		.amdhsa_float_round_mode_16_64 0
		.amdhsa_float_denorm_mode_32 3
		.amdhsa_float_denorm_mode_16_64 3
		.amdhsa_dx10_clamp 1
		.amdhsa_ieee_mode 1
		.amdhsa_fp16_overflow 0
		.amdhsa_exception_fp_ieee_invalid_op 0
		.amdhsa_exception_fp_denorm_src 0
		.amdhsa_exception_fp_ieee_div_zero 0
		.amdhsa_exception_fp_ieee_overflow 0
		.amdhsa_exception_fp_ieee_underflow 0
		.amdhsa_exception_fp_ieee_inexact 0
		.amdhsa_exception_int_div_zero 0
	.end_amdhsa_kernel
	.section	.text._ZN7rocprim17ROCPRIM_400000_NS6detail17trampoline_kernelINS0_13select_configILj256ELj13ELNS0_17block_load_methodE3ELS4_3ELS4_3ELNS0_20block_scan_algorithmE0ELj4294967295EEENS1_25partition_config_selectorILNS1_17partition_subalgoE4EjNS0_10empty_typeEbEEZZNS1_14partition_implILS8_4ELb0ES6_15HIP_vector_typeIjLj2EENS0_17counting_iteratorIjlEEPS9_SG_NS0_5tupleIJPjSI_NS0_16reverse_iteratorISI_EEEEENSH_IJSG_SG_SG_EEES9_SI_JZNS1_25segmented_radix_sort_implINS0_14default_configELb1EPKhPhPKlPlN2at6native12_GLOBAL__N_18offset_tEEE10hipError_tPvRmT1_PNSt15iterator_traitsIS12_E10value_typeET2_T3_PNS13_IS18_E10value_typeET4_jRbjT5_S1E_jjP12ihipStream_tbEUljE_ZNSN_ISO_Lb1ESQ_SR_ST_SU_SY_EESZ_S10_S11_S12_S16_S17_S18_S1B_S1C_jS1D_jS1E_S1E_jjS1G_bEUljE0_EEESZ_S10_S11_S18_S1C_S1E_T6_T7_T9_mT8_S1G_bDpT10_ENKUlT_T0_E_clISt17integral_constantIbLb1EES1T_IbLb0EEEEDaS1P_S1Q_EUlS1P_E_NS1_11comp_targetILNS1_3genE9ELNS1_11target_archE1100ELNS1_3gpuE3ELNS1_3repE0EEENS1_30default_config_static_selectorELNS0_4arch9wavefront6targetE1EEEvS12_,"axG",@progbits,_ZN7rocprim17ROCPRIM_400000_NS6detail17trampoline_kernelINS0_13select_configILj256ELj13ELNS0_17block_load_methodE3ELS4_3ELS4_3ELNS0_20block_scan_algorithmE0ELj4294967295EEENS1_25partition_config_selectorILNS1_17partition_subalgoE4EjNS0_10empty_typeEbEEZZNS1_14partition_implILS8_4ELb0ES6_15HIP_vector_typeIjLj2EENS0_17counting_iteratorIjlEEPS9_SG_NS0_5tupleIJPjSI_NS0_16reverse_iteratorISI_EEEEENSH_IJSG_SG_SG_EEES9_SI_JZNS1_25segmented_radix_sort_implINS0_14default_configELb1EPKhPhPKlPlN2at6native12_GLOBAL__N_18offset_tEEE10hipError_tPvRmT1_PNSt15iterator_traitsIS12_E10value_typeET2_T3_PNS13_IS18_E10value_typeET4_jRbjT5_S1E_jjP12ihipStream_tbEUljE_ZNSN_ISO_Lb1ESQ_SR_ST_SU_SY_EESZ_S10_S11_S12_S16_S17_S18_S1B_S1C_jS1D_jS1E_S1E_jjS1G_bEUljE0_EEESZ_S10_S11_S18_S1C_S1E_T6_T7_T9_mT8_S1G_bDpT10_ENKUlT_T0_E_clISt17integral_constantIbLb1EES1T_IbLb0EEEEDaS1P_S1Q_EUlS1P_E_NS1_11comp_targetILNS1_3genE9ELNS1_11target_archE1100ELNS1_3gpuE3ELNS1_3repE0EEENS1_30default_config_static_selectorELNS0_4arch9wavefront6targetE1EEEvS12_,comdat
.Lfunc_end36:
	.size	_ZN7rocprim17ROCPRIM_400000_NS6detail17trampoline_kernelINS0_13select_configILj256ELj13ELNS0_17block_load_methodE3ELS4_3ELS4_3ELNS0_20block_scan_algorithmE0ELj4294967295EEENS1_25partition_config_selectorILNS1_17partition_subalgoE4EjNS0_10empty_typeEbEEZZNS1_14partition_implILS8_4ELb0ES6_15HIP_vector_typeIjLj2EENS0_17counting_iteratorIjlEEPS9_SG_NS0_5tupleIJPjSI_NS0_16reverse_iteratorISI_EEEEENSH_IJSG_SG_SG_EEES9_SI_JZNS1_25segmented_radix_sort_implINS0_14default_configELb1EPKhPhPKlPlN2at6native12_GLOBAL__N_18offset_tEEE10hipError_tPvRmT1_PNSt15iterator_traitsIS12_E10value_typeET2_T3_PNS13_IS18_E10value_typeET4_jRbjT5_S1E_jjP12ihipStream_tbEUljE_ZNSN_ISO_Lb1ESQ_SR_ST_SU_SY_EESZ_S10_S11_S12_S16_S17_S18_S1B_S1C_jS1D_jS1E_S1E_jjS1G_bEUljE0_EEESZ_S10_S11_S18_S1C_S1E_T6_T7_T9_mT8_S1G_bDpT10_ENKUlT_T0_E_clISt17integral_constantIbLb1EES1T_IbLb0EEEEDaS1P_S1Q_EUlS1P_E_NS1_11comp_targetILNS1_3genE9ELNS1_11target_archE1100ELNS1_3gpuE3ELNS1_3repE0EEENS1_30default_config_static_selectorELNS0_4arch9wavefront6targetE1EEEvS12_, .Lfunc_end36-_ZN7rocprim17ROCPRIM_400000_NS6detail17trampoline_kernelINS0_13select_configILj256ELj13ELNS0_17block_load_methodE3ELS4_3ELS4_3ELNS0_20block_scan_algorithmE0ELj4294967295EEENS1_25partition_config_selectorILNS1_17partition_subalgoE4EjNS0_10empty_typeEbEEZZNS1_14partition_implILS8_4ELb0ES6_15HIP_vector_typeIjLj2EENS0_17counting_iteratorIjlEEPS9_SG_NS0_5tupleIJPjSI_NS0_16reverse_iteratorISI_EEEEENSH_IJSG_SG_SG_EEES9_SI_JZNS1_25segmented_radix_sort_implINS0_14default_configELb1EPKhPhPKlPlN2at6native12_GLOBAL__N_18offset_tEEE10hipError_tPvRmT1_PNSt15iterator_traitsIS12_E10value_typeET2_T3_PNS13_IS18_E10value_typeET4_jRbjT5_S1E_jjP12ihipStream_tbEUljE_ZNSN_ISO_Lb1ESQ_SR_ST_SU_SY_EESZ_S10_S11_S12_S16_S17_S18_S1B_S1C_jS1D_jS1E_S1E_jjS1G_bEUljE0_EEESZ_S10_S11_S18_S1C_S1E_T6_T7_T9_mT8_S1G_bDpT10_ENKUlT_T0_E_clISt17integral_constantIbLb1EES1T_IbLb0EEEEDaS1P_S1Q_EUlS1P_E_NS1_11comp_targetILNS1_3genE9ELNS1_11target_archE1100ELNS1_3gpuE3ELNS1_3repE0EEENS1_30default_config_static_selectorELNS0_4arch9wavefront6targetE1EEEvS12_
                                        ; -- End function
	.set _ZN7rocprim17ROCPRIM_400000_NS6detail17trampoline_kernelINS0_13select_configILj256ELj13ELNS0_17block_load_methodE3ELS4_3ELS4_3ELNS0_20block_scan_algorithmE0ELj4294967295EEENS1_25partition_config_selectorILNS1_17partition_subalgoE4EjNS0_10empty_typeEbEEZZNS1_14partition_implILS8_4ELb0ES6_15HIP_vector_typeIjLj2EENS0_17counting_iteratorIjlEEPS9_SG_NS0_5tupleIJPjSI_NS0_16reverse_iteratorISI_EEEEENSH_IJSG_SG_SG_EEES9_SI_JZNS1_25segmented_radix_sort_implINS0_14default_configELb1EPKhPhPKlPlN2at6native12_GLOBAL__N_18offset_tEEE10hipError_tPvRmT1_PNSt15iterator_traitsIS12_E10value_typeET2_T3_PNS13_IS18_E10value_typeET4_jRbjT5_S1E_jjP12ihipStream_tbEUljE_ZNSN_ISO_Lb1ESQ_SR_ST_SU_SY_EESZ_S10_S11_S12_S16_S17_S18_S1B_S1C_jS1D_jS1E_S1E_jjS1G_bEUljE0_EEESZ_S10_S11_S18_S1C_S1E_T6_T7_T9_mT8_S1G_bDpT10_ENKUlT_T0_E_clISt17integral_constantIbLb1EES1T_IbLb0EEEEDaS1P_S1Q_EUlS1P_E_NS1_11comp_targetILNS1_3genE9ELNS1_11target_archE1100ELNS1_3gpuE3ELNS1_3repE0EEENS1_30default_config_static_selectorELNS0_4arch9wavefront6targetE1EEEvS12_.num_vgpr, 0
	.set _ZN7rocprim17ROCPRIM_400000_NS6detail17trampoline_kernelINS0_13select_configILj256ELj13ELNS0_17block_load_methodE3ELS4_3ELS4_3ELNS0_20block_scan_algorithmE0ELj4294967295EEENS1_25partition_config_selectorILNS1_17partition_subalgoE4EjNS0_10empty_typeEbEEZZNS1_14partition_implILS8_4ELb0ES6_15HIP_vector_typeIjLj2EENS0_17counting_iteratorIjlEEPS9_SG_NS0_5tupleIJPjSI_NS0_16reverse_iteratorISI_EEEEENSH_IJSG_SG_SG_EEES9_SI_JZNS1_25segmented_radix_sort_implINS0_14default_configELb1EPKhPhPKlPlN2at6native12_GLOBAL__N_18offset_tEEE10hipError_tPvRmT1_PNSt15iterator_traitsIS12_E10value_typeET2_T3_PNS13_IS18_E10value_typeET4_jRbjT5_S1E_jjP12ihipStream_tbEUljE_ZNSN_ISO_Lb1ESQ_SR_ST_SU_SY_EESZ_S10_S11_S12_S16_S17_S18_S1B_S1C_jS1D_jS1E_S1E_jjS1G_bEUljE0_EEESZ_S10_S11_S18_S1C_S1E_T6_T7_T9_mT8_S1G_bDpT10_ENKUlT_T0_E_clISt17integral_constantIbLb1EES1T_IbLb0EEEEDaS1P_S1Q_EUlS1P_E_NS1_11comp_targetILNS1_3genE9ELNS1_11target_archE1100ELNS1_3gpuE3ELNS1_3repE0EEENS1_30default_config_static_selectorELNS0_4arch9wavefront6targetE1EEEvS12_.num_agpr, 0
	.set _ZN7rocprim17ROCPRIM_400000_NS6detail17trampoline_kernelINS0_13select_configILj256ELj13ELNS0_17block_load_methodE3ELS4_3ELS4_3ELNS0_20block_scan_algorithmE0ELj4294967295EEENS1_25partition_config_selectorILNS1_17partition_subalgoE4EjNS0_10empty_typeEbEEZZNS1_14partition_implILS8_4ELb0ES6_15HIP_vector_typeIjLj2EENS0_17counting_iteratorIjlEEPS9_SG_NS0_5tupleIJPjSI_NS0_16reverse_iteratorISI_EEEEENSH_IJSG_SG_SG_EEES9_SI_JZNS1_25segmented_radix_sort_implINS0_14default_configELb1EPKhPhPKlPlN2at6native12_GLOBAL__N_18offset_tEEE10hipError_tPvRmT1_PNSt15iterator_traitsIS12_E10value_typeET2_T3_PNS13_IS18_E10value_typeET4_jRbjT5_S1E_jjP12ihipStream_tbEUljE_ZNSN_ISO_Lb1ESQ_SR_ST_SU_SY_EESZ_S10_S11_S12_S16_S17_S18_S1B_S1C_jS1D_jS1E_S1E_jjS1G_bEUljE0_EEESZ_S10_S11_S18_S1C_S1E_T6_T7_T9_mT8_S1G_bDpT10_ENKUlT_T0_E_clISt17integral_constantIbLb1EES1T_IbLb0EEEEDaS1P_S1Q_EUlS1P_E_NS1_11comp_targetILNS1_3genE9ELNS1_11target_archE1100ELNS1_3gpuE3ELNS1_3repE0EEENS1_30default_config_static_selectorELNS0_4arch9wavefront6targetE1EEEvS12_.numbered_sgpr, 0
	.set _ZN7rocprim17ROCPRIM_400000_NS6detail17trampoline_kernelINS0_13select_configILj256ELj13ELNS0_17block_load_methodE3ELS4_3ELS4_3ELNS0_20block_scan_algorithmE0ELj4294967295EEENS1_25partition_config_selectorILNS1_17partition_subalgoE4EjNS0_10empty_typeEbEEZZNS1_14partition_implILS8_4ELb0ES6_15HIP_vector_typeIjLj2EENS0_17counting_iteratorIjlEEPS9_SG_NS0_5tupleIJPjSI_NS0_16reverse_iteratorISI_EEEEENSH_IJSG_SG_SG_EEES9_SI_JZNS1_25segmented_radix_sort_implINS0_14default_configELb1EPKhPhPKlPlN2at6native12_GLOBAL__N_18offset_tEEE10hipError_tPvRmT1_PNSt15iterator_traitsIS12_E10value_typeET2_T3_PNS13_IS18_E10value_typeET4_jRbjT5_S1E_jjP12ihipStream_tbEUljE_ZNSN_ISO_Lb1ESQ_SR_ST_SU_SY_EESZ_S10_S11_S12_S16_S17_S18_S1B_S1C_jS1D_jS1E_S1E_jjS1G_bEUljE0_EEESZ_S10_S11_S18_S1C_S1E_T6_T7_T9_mT8_S1G_bDpT10_ENKUlT_T0_E_clISt17integral_constantIbLb1EES1T_IbLb0EEEEDaS1P_S1Q_EUlS1P_E_NS1_11comp_targetILNS1_3genE9ELNS1_11target_archE1100ELNS1_3gpuE3ELNS1_3repE0EEENS1_30default_config_static_selectorELNS0_4arch9wavefront6targetE1EEEvS12_.num_named_barrier, 0
	.set _ZN7rocprim17ROCPRIM_400000_NS6detail17trampoline_kernelINS0_13select_configILj256ELj13ELNS0_17block_load_methodE3ELS4_3ELS4_3ELNS0_20block_scan_algorithmE0ELj4294967295EEENS1_25partition_config_selectorILNS1_17partition_subalgoE4EjNS0_10empty_typeEbEEZZNS1_14partition_implILS8_4ELb0ES6_15HIP_vector_typeIjLj2EENS0_17counting_iteratorIjlEEPS9_SG_NS0_5tupleIJPjSI_NS0_16reverse_iteratorISI_EEEEENSH_IJSG_SG_SG_EEES9_SI_JZNS1_25segmented_radix_sort_implINS0_14default_configELb1EPKhPhPKlPlN2at6native12_GLOBAL__N_18offset_tEEE10hipError_tPvRmT1_PNSt15iterator_traitsIS12_E10value_typeET2_T3_PNS13_IS18_E10value_typeET4_jRbjT5_S1E_jjP12ihipStream_tbEUljE_ZNSN_ISO_Lb1ESQ_SR_ST_SU_SY_EESZ_S10_S11_S12_S16_S17_S18_S1B_S1C_jS1D_jS1E_S1E_jjS1G_bEUljE0_EEESZ_S10_S11_S18_S1C_S1E_T6_T7_T9_mT8_S1G_bDpT10_ENKUlT_T0_E_clISt17integral_constantIbLb1EES1T_IbLb0EEEEDaS1P_S1Q_EUlS1P_E_NS1_11comp_targetILNS1_3genE9ELNS1_11target_archE1100ELNS1_3gpuE3ELNS1_3repE0EEENS1_30default_config_static_selectorELNS0_4arch9wavefront6targetE1EEEvS12_.private_seg_size, 0
	.set _ZN7rocprim17ROCPRIM_400000_NS6detail17trampoline_kernelINS0_13select_configILj256ELj13ELNS0_17block_load_methodE3ELS4_3ELS4_3ELNS0_20block_scan_algorithmE0ELj4294967295EEENS1_25partition_config_selectorILNS1_17partition_subalgoE4EjNS0_10empty_typeEbEEZZNS1_14partition_implILS8_4ELb0ES6_15HIP_vector_typeIjLj2EENS0_17counting_iteratorIjlEEPS9_SG_NS0_5tupleIJPjSI_NS0_16reverse_iteratorISI_EEEEENSH_IJSG_SG_SG_EEES9_SI_JZNS1_25segmented_radix_sort_implINS0_14default_configELb1EPKhPhPKlPlN2at6native12_GLOBAL__N_18offset_tEEE10hipError_tPvRmT1_PNSt15iterator_traitsIS12_E10value_typeET2_T3_PNS13_IS18_E10value_typeET4_jRbjT5_S1E_jjP12ihipStream_tbEUljE_ZNSN_ISO_Lb1ESQ_SR_ST_SU_SY_EESZ_S10_S11_S12_S16_S17_S18_S1B_S1C_jS1D_jS1E_S1E_jjS1G_bEUljE0_EEESZ_S10_S11_S18_S1C_S1E_T6_T7_T9_mT8_S1G_bDpT10_ENKUlT_T0_E_clISt17integral_constantIbLb1EES1T_IbLb0EEEEDaS1P_S1Q_EUlS1P_E_NS1_11comp_targetILNS1_3genE9ELNS1_11target_archE1100ELNS1_3gpuE3ELNS1_3repE0EEENS1_30default_config_static_selectorELNS0_4arch9wavefront6targetE1EEEvS12_.uses_vcc, 0
	.set _ZN7rocprim17ROCPRIM_400000_NS6detail17trampoline_kernelINS0_13select_configILj256ELj13ELNS0_17block_load_methodE3ELS4_3ELS4_3ELNS0_20block_scan_algorithmE0ELj4294967295EEENS1_25partition_config_selectorILNS1_17partition_subalgoE4EjNS0_10empty_typeEbEEZZNS1_14partition_implILS8_4ELb0ES6_15HIP_vector_typeIjLj2EENS0_17counting_iteratorIjlEEPS9_SG_NS0_5tupleIJPjSI_NS0_16reverse_iteratorISI_EEEEENSH_IJSG_SG_SG_EEES9_SI_JZNS1_25segmented_radix_sort_implINS0_14default_configELb1EPKhPhPKlPlN2at6native12_GLOBAL__N_18offset_tEEE10hipError_tPvRmT1_PNSt15iterator_traitsIS12_E10value_typeET2_T3_PNS13_IS18_E10value_typeET4_jRbjT5_S1E_jjP12ihipStream_tbEUljE_ZNSN_ISO_Lb1ESQ_SR_ST_SU_SY_EESZ_S10_S11_S12_S16_S17_S18_S1B_S1C_jS1D_jS1E_S1E_jjS1G_bEUljE0_EEESZ_S10_S11_S18_S1C_S1E_T6_T7_T9_mT8_S1G_bDpT10_ENKUlT_T0_E_clISt17integral_constantIbLb1EES1T_IbLb0EEEEDaS1P_S1Q_EUlS1P_E_NS1_11comp_targetILNS1_3genE9ELNS1_11target_archE1100ELNS1_3gpuE3ELNS1_3repE0EEENS1_30default_config_static_selectorELNS0_4arch9wavefront6targetE1EEEvS12_.uses_flat_scratch, 0
	.set _ZN7rocprim17ROCPRIM_400000_NS6detail17trampoline_kernelINS0_13select_configILj256ELj13ELNS0_17block_load_methodE3ELS4_3ELS4_3ELNS0_20block_scan_algorithmE0ELj4294967295EEENS1_25partition_config_selectorILNS1_17partition_subalgoE4EjNS0_10empty_typeEbEEZZNS1_14partition_implILS8_4ELb0ES6_15HIP_vector_typeIjLj2EENS0_17counting_iteratorIjlEEPS9_SG_NS0_5tupleIJPjSI_NS0_16reverse_iteratorISI_EEEEENSH_IJSG_SG_SG_EEES9_SI_JZNS1_25segmented_radix_sort_implINS0_14default_configELb1EPKhPhPKlPlN2at6native12_GLOBAL__N_18offset_tEEE10hipError_tPvRmT1_PNSt15iterator_traitsIS12_E10value_typeET2_T3_PNS13_IS18_E10value_typeET4_jRbjT5_S1E_jjP12ihipStream_tbEUljE_ZNSN_ISO_Lb1ESQ_SR_ST_SU_SY_EESZ_S10_S11_S12_S16_S17_S18_S1B_S1C_jS1D_jS1E_S1E_jjS1G_bEUljE0_EEESZ_S10_S11_S18_S1C_S1E_T6_T7_T9_mT8_S1G_bDpT10_ENKUlT_T0_E_clISt17integral_constantIbLb1EES1T_IbLb0EEEEDaS1P_S1Q_EUlS1P_E_NS1_11comp_targetILNS1_3genE9ELNS1_11target_archE1100ELNS1_3gpuE3ELNS1_3repE0EEENS1_30default_config_static_selectorELNS0_4arch9wavefront6targetE1EEEvS12_.has_dyn_sized_stack, 0
	.set _ZN7rocprim17ROCPRIM_400000_NS6detail17trampoline_kernelINS0_13select_configILj256ELj13ELNS0_17block_load_methodE3ELS4_3ELS4_3ELNS0_20block_scan_algorithmE0ELj4294967295EEENS1_25partition_config_selectorILNS1_17partition_subalgoE4EjNS0_10empty_typeEbEEZZNS1_14partition_implILS8_4ELb0ES6_15HIP_vector_typeIjLj2EENS0_17counting_iteratorIjlEEPS9_SG_NS0_5tupleIJPjSI_NS0_16reverse_iteratorISI_EEEEENSH_IJSG_SG_SG_EEES9_SI_JZNS1_25segmented_radix_sort_implINS0_14default_configELb1EPKhPhPKlPlN2at6native12_GLOBAL__N_18offset_tEEE10hipError_tPvRmT1_PNSt15iterator_traitsIS12_E10value_typeET2_T3_PNS13_IS18_E10value_typeET4_jRbjT5_S1E_jjP12ihipStream_tbEUljE_ZNSN_ISO_Lb1ESQ_SR_ST_SU_SY_EESZ_S10_S11_S12_S16_S17_S18_S1B_S1C_jS1D_jS1E_S1E_jjS1G_bEUljE0_EEESZ_S10_S11_S18_S1C_S1E_T6_T7_T9_mT8_S1G_bDpT10_ENKUlT_T0_E_clISt17integral_constantIbLb1EES1T_IbLb0EEEEDaS1P_S1Q_EUlS1P_E_NS1_11comp_targetILNS1_3genE9ELNS1_11target_archE1100ELNS1_3gpuE3ELNS1_3repE0EEENS1_30default_config_static_selectorELNS0_4arch9wavefront6targetE1EEEvS12_.has_recursion, 0
	.set _ZN7rocprim17ROCPRIM_400000_NS6detail17trampoline_kernelINS0_13select_configILj256ELj13ELNS0_17block_load_methodE3ELS4_3ELS4_3ELNS0_20block_scan_algorithmE0ELj4294967295EEENS1_25partition_config_selectorILNS1_17partition_subalgoE4EjNS0_10empty_typeEbEEZZNS1_14partition_implILS8_4ELb0ES6_15HIP_vector_typeIjLj2EENS0_17counting_iteratorIjlEEPS9_SG_NS0_5tupleIJPjSI_NS0_16reverse_iteratorISI_EEEEENSH_IJSG_SG_SG_EEES9_SI_JZNS1_25segmented_radix_sort_implINS0_14default_configELb1EPKhPhPKlPlN2at6native12_GLOBAL__N_18offset_tEEE10hipError_tPvRmT1_PNSt15iterator_traitsIS12_E10value_typeET2_T3_PNS13_IS18_E10value_typeET4_jRbjT5_S1E_jjP12ihipStream_tbEUljE_ZNSN_ISO_Lb1ESQ_SR_ST_SU_SY_EESZ_S10_S11_S12_S16_S17_S18_S1B_S1C_jS1D_jS1E_S1E_jjS1G_bEUljE0_EEESZ_S10_S11_S18_S1C_S1E_T6_T7_T9_mT8_S1G_bDpT10_ENKUlT_T0_E_clISt17integral_constantIbLb1EES1T_IbLb0EEEEDaS1P_S1Q_EUlS1P_E_NS1_11comp_targetILNS1_3genE9ELNS1_11target_archE1100ELNS1_3gpuE3ELNS1_3repE0EEENS1_30default_config_static_selectorELNS0_4arch9wavefront6targetE1EEEvS12_.has_indirect_call, 0
	.section	.AMDGPU.csdata,"",@progbits
; Kernel info:
; codeLenInByte = 0
; TotalNumSgprs: 4
; NumVgprs: 0
; ScratchSize: 0
; MemoryBound: 0
; FloatMode: 240
; IeeeMode: 1
; LDSByteSize: 0 bytes/workgroup (compile time only)
; SGPRBlocks: 0
; VGPRBlocks: 0
; NumSGPRsForWavesPerEU: 4
; NumVGPRsForWavesPerEU: 1
; Occupancy: 10
; WaveLimiterHint : 0
; COMPUTE_PGM_RSRC2:SCRATCH_EN: 0
; COMPUTE_PGM_RSRC2:USER_SGPR: 6
; COMPUTE_PGM_RSRC2:TRAP_HANDLER: 0
; COMPUTE_PGM_RSRC2:TGID_X_EN: 1
; COMPUTE_PGM_RSRC2:TGID_Y_EN: 0
; COMPUTE_PGM_RSRC2:TGID_Z_EN: 0
; COMPUTE_PGM_RSRC2:TIDIG_COMP_CNT: 0
	.section	.text._ZN7rocprim17ROCPRIM_400000_NS6detail17trampoline_kernelINS0_13select_configILj256ELj13ELNS0_17block_load_methodE3ELS4_3ELS4_3ELNS0_20block_scan_algorithmE0ELj4294967295EEENS1_25partition_config_selectorILNS1_17partition_subalgoE4EjNS0_10empty_typeEbEEZZNS1_14partition_implILS8_4ELb0ES6_15HIP_vector_typeIjLj2EENS0_17counting_iteratorIjlEEPS9_SG_NS0_5tupleIJPjSI_NS0_16reverse_iteratorISI_EEEEENSH_IJSG_SG_SG_EEES9_SI_JZNS1_25segmented_radix_sort_implINS0_14default_configELb1EPKhPhPKlPlN2at6native12_GLOBAL__N_18offset_tEEE10hipError_tPvRmT1_PNSt15iterator_traitsIS12_E10value_typeET2_T3_PNS13_IS18_E10value_typeET4_jRbjT5_S1E_jjP12ihipStream_tbEUljE_ZNSN_ISO_Lb1ESQ_SR_ST_SU_SY_EESZ_S10_S11_S12_S16_S17_S18_S1B_S1C_jS1D_jS1E_S1E_jjS1G_bEUljE0_EEESZ_S10_S11_S18_S1C_S1E_T6_T7_T9_mT8_S1G_bDpT10_ENKUlT_T0_E_clISt17integral_constantIbLb1EES1T_IbLb0EEEEDaS1P_S1Q_EUlS1P_E_NS1_11comp_targetILNS1_3genE8ELNS1_11target_archE1030ELNS1_3gpuE2ELNS1_3repE0EEENS1_30default_config_static_selectorELNS0_4arch9wavefront6targetE1EEEvS12_,"axG",@progbits,_ZN7rocprim17ROCPRIM_400000_NS6detail17trampoline_kernelINS0_13select_configILj256ELj13ELNS0_17block_load_methodE3ELS4_3ELS4_3ELNS0_20block_scan_algorithmE0ELj4294967295EEENS1_25partition_config_selectorILNS1_17partition_subalgoE4EjNS0_10empty_typeEbEEZZNS1_14partition_implILS8_4ELb0ES6_15HIP_vector_typeIjLj2EENS0_17counting_iteratorIjlEEPS9_SG_NS0_5tupleIJPjSI_NS0_16reverse_iteratorISI_EEEEENSH_IJSG_SG_SG_EEES9_SI_JZNS1_25segmented_radix_sort_implINS0_14default_configELb1EPKhPhPKlPlN2at6native12_GLOBAL__N_18offset_tEEE10hipError_tPvRmT1_PNSt15iterator_traitsIS12_E10value_typeET2_T3_PNS13_IS18_E10value_typeET4_jRbjT5_S1E_jjP12ihipStream_tbEUljE_ZNSN_ISO_Lb1ESQ_SR_ST_SU_SY_EESZ_S10_S11_S12_S16_S17_S18_S1B_S1C_jS1D_jS1E_S1E_jjS1G_bEUljE0_EEESZ_S10_S11_S18_S1C_S1E_T6_T7_T9_mT8_S1G_bDpT10_ENKUlT_T0_E_clISt17integral_constantIbLb1EES1T_IbLb0EEEEDaS1P_S1Q_EUlS1P_E_NS1_11comp_targetILNS1_3genE8ELNS1_11target_archE1030ELNS1_3gpuE2ELNS1_3repE0EEENS1_30default_config_static_selectorELNS0_4arch9wavefront6targetE1EEEvS12_,comdat
	.globl	_ZN7rocprim17ROCPRIM_400000_NS6detail17trampoline_kernelINS0_13select_configILj256ELj13ELNS0_17block_load_methodE3ELS4_3ELS4_3ELNS0_20block_scan_algorithmE0ELj4294967295EEENS1_25partition_config_selectorILNS1_17partition_subalgoE4EjNS0_10empty_typeEbEEZZNS1_14partition_implILS8_4ELb0ES6_15HIP_vector_typeIjLj2EENS0_17counting_iteratorIjlEEPS9_SG_NS0_5tupleIJPjSI_NS0_16reverse_iteratorISI_EEEEENSH_IJSG_SG_SG_EEES9_SI_JZNS1_25segmented_radix_sort_implINS0_14default_configELb1EPKhPhPKlPlN2at6native12_GLOBAL__N_18offset_tEEE10hipError_tPvRmT1_PNSt15iterator_traitsIS12_E10value_typeET2_T3_PNS13_IS18_E10value_typeET4_jRbjT5_S1E_jjP12ihipStream_tbEUljE_ZNSN_ISO_Lb1ESQ_SR_ST_SU_SY_EESZ_S10_S11_S12_S16_S17_S18_S1B_S1C_jS1D_jS1E_S1E_jjS1G_bEUljE0_EEESZ_S10_S11_S18_S1C_S1E_T6_T7_T9_mT8_S1G_bDpT10_ENKUlT_T0_E_clISt17integral_constantIbLb1EES1T_IbLb0EEEEDaS1P_S1Q_EUlS1P_E_NS1_11comp_targetILNS1_3genE8ELNS1_11target_archE1030ELNS1_3gpuE2ELNS1_3repE0EEENS1_30default_config_static_selectorELNS0_4arch9wavefront6targetE1EEEvS12_ ; -- Begin function _ZN7rocprim17ROCPRIM_400000_NS6detail17trampoline_kernelINS0_13select_configILj256ELj13ELNS0_17block_load_methodE3ELS4_3ELS4_3ELNS0_20block_scan_algorithmE0ELj4294967295EEENS1_25partition_config_selectorILNS1_17partition_subalgoE4EjNS0_10empty_typeEbEEZZNS1_14partition_implILS8_4ELb0ES6_15HIP_vector_typeIjLj2EENS0_17counting_iteratorIjlEEPS9_SG_NS0_5tupleIJPjSI_NS0_16reverse_iteratorISI_EEEEENSH_IJSG_SG_SG_EEES9_SI_JZNS1_25segmented_radix_sort_implINS0_14default_configELb1EPKhPhPKlPlN2at6native12_GLOBAL__N_18offset_tEEE10hipError_tPvRmT1_PNSt15iterator_traitsIS12_E10value_typeET2_T3_PNS13_IS18_E10value_typeET4_jRbjT5_S1E_jjP12ihipStream_tbEUljE_ZNSN_ISO_Lb1ESQ_SR_ST_SU_SY_EESZ_S10_S11_S12_S16_S17_S18_S1B_S1C_jS1D_jS1E_S1E_jjS1G_bEUljE0_EEESZ_S10_S11_S18_S1C_S1E_T6_T7_T9_mT8_S1G_bDpT10_ENKUlT_T0_E_clISt17integral_constantIbLb1EES1T_IbLb0EEEEDaS1P_S1Q_EUlS1P_E_NS1_11comp_targetILNS1_3genE8ELNS1_11target_archE1030ELNS1_3gpuE2ELNS1_3repE0EEENS1_30default_config_static_selectorELNS0_4arch9wavefront6targetE1EEEvS12_
	.p2align	8
	.type	_ZN7rocprim17ROCPRIM_400000_NS6detail17trampoline_kernelINS0_13select_configILj256ELj13ELNS0_17block_load_methodE3ELS4_3ELS4_3ELNS0_20block_scan_algorithmE0ELj4294967295EEENS1_25partition_config_selectorILNS1_17partition_subalgoE4EjNS0_10empty_typeEbEEZZNS1_14partition_implILS8_4ELb0ES6_15HIP_vector_typeIjLj2EENS0_17counting_iteratorIjlEEPS9_SG_NS0_5tupleIJPjSI_NS0_16reverse_iteratorISI_EEEEENSH_IJSG_SG_SG_EEES9_SI_JZNS1_25segmented_radix_sort_implINS0_14default_configELb1EPKhPhPKlPlN2at6native12_GLOBAL__N_18offset_tEEE10hipError_tPvRmT1_PNSt15iterator_traitsIS12_E10value_typeET2_T3_PNS13_IS18_E10value_typeET4_jRbjT5_S1E_jjP12ihipStream_tbEUljE_ZNSN_ISO_Lb1ESQ_SR_ST_SU_SY_EESZ_S10_S11_S12_S16_S17_S18_S1B_S1C_jS1D_jS1E_S1E_jjS1G_bEUljE0_EEESZ_S10_S11_S18_S1C_S1E_T6_T7_T9_mT8_S1G_bDpT10_ENKUlT_T0_E_clISt17integral_constantIbLb1EES1T_IbLb0EEEEDaS1P_S1Q_EUlS1P_E_NS1_11comp_targetILNS1_3genE8ELNS1_11target_archE1030ELNS1_3gpuE2ELNS1_3repE0EEENS1_30default_config_static_selectorELNS0_4arch9wavefront6targetE1EEEvS12_,@function
_ZN7rocprim17ROCPRIM_400000_NS6detail17trampoline_kernelINS0_13select_configILj256ELj13ELNS0_17block_load_methodE3ELS4_3ELS4_3ELNS0_20block_scan_algorithmE0ELj4294967295EEENS1_25partition_config_selectorILNS1_17partition_subalgoE4EjNS0_10empty_typeEbEEZZNS1_14partition_implILS8_4ELb0ES6_15HIP_vector_typeIjLj2EENS0_17counting_iteratorIjlEEPS9_SG_NS0_5tupleIJPjSI_NS0_16reverse_iteratorISI_EEEEENSH_IJSG_SG_SG_EEES9_SI_JZNS1_25segmented_radix_sort_implINS0_14default_configELb1EPKhPhPKlPlN2at6native12_GLOBAL__N_18offset_tEEE10hipError_tPvRmT1_PNSt15iterator_traitsIS12_E10value_typeET2_T3_PNS13_IS18_E10value_typeET4_jRbjT5_S1E_jjP12ihipStream_tbEUljE_ZNSN_ISO_Lb1ESQ_SR_ST_SU_SY_EESZ_S10_S11_S12_S16_S17_S18_S1B_S1C_jS1D_jS1E_S1E_jjS1G_bEUljE0_EEESZ_S10_S11_S18_S1C_S1E_T6_T7_T9_mT8_S1G_bDpT10_ENKUlT_T0_E_clISt17integral_constantIbLb1EES1T_IbLb0EEEEDaS1P_S1Q_EUlS1P_E_NS1_11comp_targetILNS1_3genE8ELNS1_11target_archE1030ELNS1_3gpuE2ELNS1_3repE0EEENS1_30default_config_static_selectorELNS0_4arch9wavefront6targetE1EEEvS12_: ; @_ZN7rocprim17ROCPRIM_400000_NS6detail17trampoline_kernelINS0_13select_configILj256ELj13ELNS0_17block_load_methodE3ELS4_3ELS4_3ELNS0_20block_scan_algorithmE0ELj4294967295EEENS1_25partition_config_selectorILNS1_17partition_subalgoE4EjNS0_10empty_typeEbEEZZNS1_14partition_implILS8_4ELb0ES6_15HIP_vector_typeIjLj2EENS0_17counting_iteratorIjlEEPS9_SG_NS0_5tupleIJPjSI_NS0_16reverse_iteratorISI_EEEEENSH_IJSG_SG_SG_EEES9_SI_JZNS1_25segmented_radix_sort_implINS0_14default_configELb1EPKhPhPKlPlN2at6native12_GLOBAL__N_18offset_tEEE10hipError_tPvRmT1_PNSt15iterator_traitsIS12_E10value_typeET2_T3_PNS13_IS18_E10value_typeET4_jRbjT5_S1E_jjP12ihipStream_tbEUljE_ZNSN_ISO_Lb1ESQ_SR_ST_SU_SY_EESZ_S10_S11_S12_S16_S17_S18_S1B_S1C_jS1D_jS1E_S1E_jjS1G_bEUljE0_EEESZ_S10_S11_S18_S1C_S1E_T6_T7_T9_mT8_S1G_bDpT10_ENKUlT_T0_E_clISt17integral_constantIbLb1EES1T_IbLb0EEEEDaS1P_S1Q_EUlS1P_E_NS1_11comp_targetILNS1_3genE8ELNS1_11target_archE1030ELNS1_3gpuE2ELNS1_3repE0EEENS1_30default_config_static_selectorELNS0_4arch9wavefront6targetE1EEEvS12_
; %bb.0:
	.section	.rodata,"a",@progbits
	.p2align	6, 0x0
	.amdhsa_kernel _ZN7rocprim17ROCPRIM_400000_NS6detail17trampoline_kernelINS0_13select_configILj256ELj13ELNS0_17block_load_methodE3ELS4_3ELS4_3ELNS0_20block_scan_algorithmE0ELj4294967295EEENS1_25partition_config_selectorILNS1_17partition_subalgoE4EjNS0_10empty_typeEbEEZZNS1_14partition_implILS8_4ELb0ES6_15HIP_vector_typeIjLj2EENS0_17counting_iteratorIjlEEPS9_SG_NS0_5tupleIJPjSI_NS0_16reverse_iteratorISI_EEEEENSH_IJSG_SG_SG_EEES9_SI_JZNS1_25segmented_radix_sort_implINS0_14default_configELb1EPKhPhPKlPlN2at6native12_GLOBAL__N_18offset_tEEE10hipError_tPvRmT1_PNSt15iterator_traitsIS12_E10value_typeET2_T3_PNS13_IS18_E10value_typeET4_jRbjT5_S1E_jjP12ihipStream_tbEUljE_ZNSN_ISO_Lb1ESQ_SR_ST_SU_SY_EESZ_S10_S11_S12_S16_S17_S18_S1B_S1C_jS1D_jS1E_S1E_jjS1G_bEUljE0_EEESZ_S10_S11_S18_S1C_S1E_T6_T7_T9_mT8_S1G_bDpT10_ENKUlT_T0_E_clISt17integral_constantIbLb1EES1T_IbLb0EEEEDaS1P_S1Q_EUlS1P_E_NS1_11comp_targetILNS1_3genE8ELNS1_11target_archE1030ELNS1_3gpuE2ELNS1_3repE0EEENS1_30default_config_static_selectorELNS0_4arch9wavefront6targetE1EEEvS12_
		.amdhsa_group_segment_fixed_size 0
		.amdhsa_private_segment_fixed_size 0
		.amdhsa_kernarg_size 176
		.amdhsa_user_sgpr_count 6
		.amdhsa_user_sgpr_private_segment_buffer 1
		.amdhsa_user_sgpr_dispatch_ptr 0
		.amdhsa_user_sgpr_queue_ptr 0
		.amdhsa_user_sgpr_kernarg_segment_ptr 1
		.amdhsa_user_sgpr_dispatch_id 0
		.amdhsa_user_sgpr_flat_scratch_init 0
		.amdhsa_user_sgpr_private_segment_size 0
		.amdhsa_uses_dynamic_stack 0
		.amdhsa_system_sgpr_private_segment_wavefront_offset 0
		.amdhsa_system_sgpr_workgroup_id_x 1
		.amdhsa_system_sgpr_workgroup_id_y 0
		.amdhsa_system_sgpr_workgroup_id_z 0
		.amdhsa_system_sgpr_workgroup_info 0
		.amdhsa_system_vgpr_workitem_id 0
		.amdhsa_next_free_vgpr 1
		.amdhsa_next_free_sgpr 0
		.amdhsa_reserve_vcc 0
		.amdhsa_reserve_flat_scratch 0
		.amdhsa_float_round_mode_32 0
		.amdhsa_float_round_mode_16_64 0
		.amdhsa_float_denorm_mode_32 3
		.amdhsa_float_denorm_mode_16_64 3
		.amdhsa_dx10_clamp 1
		.amdhsa_ieee_mode 1
		.amdhsa_fp16_overflow 0
		.amdhsa_exception_fp_ieee_invalid_op 0
		.amdhsa_exception_fp_denorm_src 0
		.amdhsa_exception_fp_ieee_div_zero 0
		.amdhsa_exception_fp_ieee_overflow 0
		.amdhsa_exception_fp_ieee_underflow 0
		.amdhsa_exception_fp_ieee_inexact 0
		.amdhsa_exception_int_div_zero 0
	.end_amdhsa_kernel
	.section	.text._ZN7rocprim17ROCPRIM_400000_NS6detail17trampoline_kernelINS0_13select_configILj256ELj13ELNS0_17block_load_methodE3ELS4_3ELS4_3ELNS0_20block_scan_algorithmE0ELj4294967295EEENS1_25partition_config_selectorILNS1_17partition_subalgoE4EjNS0_10empty_typeEbEEZZNS1_14partition_implILS8_4ELb0ES6_15HIP_vector_typeIjLj2EENS0_17counting_iteratorIjlEEPS9_SG_NS0_5tupleIJPjSI_NS0_16reverse_iteratorISI_EEEEENSH_IJSG_SG_SG_EEES9_SI_JZNS1_25segmented_radix_sort_implINS0_14default_configELb1EPKhPhPKlPlN2at6native12_GLOBAL__N_18offset_tEEE10hipError_tPvRmT1_PNSt15iterator_traitsIS12_E10value_typeET2_T3_PNS13_IS18_E10value_typeET4_jRbjT5_S1E_jjP12ihipStream_tbEUljE_ZNSN_ISO_Lb1ESQ_SR_ST_SU_SY_EESZ_S10_S11_S12_S16_S17_S18_S1B_S1C_jS1D_jS1E_S1E_jjS1G_bEUljE0_EEESZ_S10_S11_S18_S1C_S1E_T6_T7_T9_mT8_S1G_bDpT10_ENKUlT_T0_E_clISt17integral_constantIbLb1EES1T_IbLb0EEEEDaS1P_S1Q_EUlS1P_E_NS1_11comp_targetILNS1_3genE8ELNS1_11target_archE1030ELNS1_3gpuE2ELNS1_3repE0EEENS1_30default_config_static_selectorELNS0_4arch9wavefront6targetE1EEEvS12_,"axG",@progbits,_ZN7rocprim17ROCPRIM_400000_NS6detail17trampoline_kernelINS0_13select_configILj256ELj13ELNS0_17block_load_methodE3ELS4_3ELS4_3ELNS0_20block_scan_algorithmE0ELj4294967295EEENS1_25partition_config_selectorILNS1_17partition_subalgoE4EjNS0_10empty_typeEbEEZZNS1_14partition_implILS8_4ELb0ES6_15HIP_vector_typeIjLj2EENS0_17counting_iteratorIjlEEPS9_SG_NS0_5tupleIJPjSI_NS0_16reverse_iteratorISI_EEEEENSH_IJSG_SG_SG_EEES9_SI_JZNS1_25segmented_radix_sort_implINS0_14default_configELb1EPKhPhPKlPlN2at6native12_GLOBAL__N_18offset_tEEE10hipError_tPvRmT1_PNSt15iterator_traitsIS12_E10value_typeET2_T3_PNS13_IS18_E10value_typeET4_jRbjT5_S1E_jjP12ihipStream_tbEUljE_ZNSN_ISO_Lb1ESQ_SR_ST_SU_SY_EESZ_S10_S11_S12_S16_S17_S18_S1B_S1C_jS1D_jS1E_S1E_jjS1G_bEUljE0_EEESZ_S10_S11_S18_S1C_S1E_T6_T7_T9_mT8_S1G_bDpT10_ENKUlT_T0_E_clISt17integral_constantIbLb1EES1T_IbLb0EEEEDaS1P_S1Q_EUlS1P_E_NS1_11comp_targetILNS1_3genE8ELNS1_11target_archE1030ELNS1_3gpuE2ELNS1_3repE0EEENS1_30default_config_static_selectorELNS0_4arch9wavefront6targetE1EEEvS12_,comdat
.Lfunc_end37:
	.size	_ZN7rocprim17ROCPRIM_400000_NS6detail17trampoline_kernelINS0_13select_configILj256ELj13ELNS0_17block_load_methodE3ELS4_3ELS4_3ELNS0_20block_scan_algorithmE0ELj4294967295EEENS1_25partition_config_selectorILNS1_17partition_subalgoE4EjNS0_10empty_typeEbEEZZNS1_14partition_implILS8_4ELb0ES6_15HIP_vector_typeIjLj2EENS0_17counting_iteratorIjlEEPS9_SG_NS0_5tupleIJPjSI_NS0_16reverse_iteratorISI_EEEEENSH_IJSG_SG_SG_EEES9_SI_JZNS1_25segmented_radix_sort_implINS0_14default_configELb1EPKhPhPKlPlN2at6native12_GLOBAL__N_18offset_tEEE10hipError_tPvRmT1_PNSt15iterator_traitsIS12_E10value_typeET2_T3_PNS13_IS18_E10value_typeET4_jRbjT5_S1E_jjP12ihipStream_tbEUljE_ZNSN_ISO_Lb1ESQ_SR_ST_SU_SY_EESZ_S10_S11_S12_S16_S17_S18_S1B_S1C_jS1D_jS1E_S1E_jjS1G_bEUljE0_EEESZ_S10_S11_S18_S1C_S1E_T6_T7_T9_mT8_S1G_bDpT10_ENKUlT_T0_E_clISt17integral_constantIbLb1EES1T_IbLb0EEEEDaS1P_S1Q_EUlS1P_E_NS1_11comp_targetILNS1_3genE8ELNS1_11target_archE1030ELNS1_3gpuE2ELNS1_3repE0EEENS1_30default_config_static_selectorELNS0_4arch9wavefront6targetE1EEEvS12_, .Lfunc_end37-_ZN7rocprim17ROCPRIM_400000_NS6detail17trampoline_kernelINS0_13select_configILj256ELj13ELNS0_17block_load_methodE3ELS4_3ELS4_3ELNS0_20block_scan_algorithmE0ELj4294967295EEENS1_25partition_config_selectorILNS1_17partition_subalgoE4EjNS0_10empty_typeEbEEZZNS1_14partition_implILS8_4ELb0ES6_15HIP_vector_typeIjLj2EENS0_17counting_iteratorIjlEEPS9_SG_NS0_5tupleIJPjSI_NS0_16reverse_iteratorISI_EEEEENSH_IJSG_SG_SG_EEES9_SI_JZNS1_25segmented_radix_sort_implINS0_14default_configELb1EPKhPhPKlPlN2at6native12_GLOBAL__N_18offset_tEEE10hipError_tPvRmT1_PNSt15iterator_traitsIS12_E10value_typeET2_T3_PNS13_IS18_E10value_typeET4_jRbjT5_S1E_jjP12ihipStream_tbEUljE_ZNSN_ISO_Lb1ESQ_SR_ST_SU_SY_EESZ_S10_S11_S12_S16_S17_S18_S1B_S1C_jS1D_jS1E_S1E_jjS1G_bEUljE0_EEESZ_S10_S11_S18_S1C_S1E_T6_T7_T9_mT8_S1G_bDpT10_ENKUlT_T0_E_clISt17integral_constantIbLb1EES1T_IbLb0EEEEDaS1P_S1Q_EUlS1P_E_NS1_11comp_targetILNS1_3genE8ELNS1_11target_archE1030ELNS1_3gpuE2ELNS1_3repE0EEENS1_30default_config_static_selectorELNS0_4arch9wavefront6targetE1EEEvS12_
                                        ; -- End function
	.set _ZN7rocprim17ROCPRIM_400000_NS6detail17trampoline_kernelINS0_13select_configILj256ELj13ELNS0_17block_load_methodE3ELS4_3ELS4_3ELNS0_20block_scan_algorithmE0ELj4294967295EEENS1_25partition_config_selectorILNS1_17partition_subalgoE4EjNS0_10empty_typeEbEEZZNS1_14partition_implILS8_4ELb0ES6_15HIP_vector_typeIjLj2EENS0_17counting_iteratorIjlEEPS9_SG_NS0_5tupleIJPjSI_NS0_16reverse_iteratorISI_EEEEENSH_IJSG_SG_SG_EEES9_SI_JZNS1_25segmented_radix_sort_implINS0_14default_configELb1EPKhPhPKlPlN2at6native12_GLOBAL__N_18offset_tEEE10hipError_tPvRmT1_PNSt15iterator_traitsIS12_E10value_typeET2_T3_PNS13_IS18_E10value_typeET4_jRbjT5_S1E_jjP12ihipStream_tbEUljE_ZNSN_ISO_Lb1ESQ_SR_ST_SU_SY_EESZ_S10_S11_S12_S16_S17_S18_S1B_S1C_jS1D_jS1E_S1E_jjS1G_bEUljE0_EEESZ_S10_S11_S18_S1C_S1E_T6_T7_T9_mT8_S1G_bDpT10_ENKUlT_T0_E_clISt17integral_constantIbLb1EES1T_IbLb0EEEEDaS1P_S1Q_EUlS1P_E_NS1_11comp_targetILNS1_3genE8ELNS1_11target_archE1030ELNS1_3gpuE2ELNS1_3repE0EEENS1_30default_config_static_selectorELNS0_4arch9wavefront6targetE1EEEvS12_.num_vgpr, 0
	.set _ZN7rocprim17ROCPRIM_400000_NS6detail17trampoline_kernelINS0_13select_configILj256ELj13ELNS0_17block_load_methodE3ELS4_3ELS4_3ELNS0_20block_scan_algorithmE0ELj4294967295EEENS1_25partition_config_selectorILNS1_17partition_subalgoE4EjNS0_10empty_typeEbEEZZNS1_14partition_implILS8_4ELb0ES6_15HIP_vector_typeIjLj2EENS0_17counting_iteratorIjlEEPS9_SG_NS0_5tupleIJPjSI_NS0_16reverse_iteratorISI_EEEEENSH_IJSG_SG_SG_EEES9_SI_JZNS1_25segmented_radix_sort_implINS0_14default_configELb1EPKhPhPKlPlN2at6native12_GLOBAL__N_18offset_tEEE10hipError_tPvRmT1_PNSt15iterator_traitsIS12_E10value_typeET2_T3_PNS13_IS18_E10value_typeET4_jRbjT5_S1E_jjP12ihipStream_tbEUljE_ZNSN_ISO_Lb1ESQ_SR_ST_SU_SY_EESZ_S10_S11_S12_S16_S17_S18_S1B_S1C_jS1D_jS1E_S1E_jjS1G_bEUljE0_EEESZ_S10_S11_S18_S1C_S1E_T6_T7_T9_mT8_S1G_bDpT10_ENKUlT_T0_E_clISt17integral_constantIbLb1EES1T_IbLb0EEEEDaS1P_S1Q_EUlS1P_E_NS1_11comp_targetILNS1_3genE8ELNS1_11target_archE1030ELNS1_3gpuE2ELNS1_3repE0EEENS1_30default_config_static_selectorELNS0_4arch9wavefront6targetE1EEEvS12_.num_agpr, 0
	.set _ZN7rocprim17ROCPRIM_400000_NS6detail17trampoline_kernelINS0_13select_configILj256ELj13ELNS0_17block_load_methodE3ELS4_3ELS4_3ELNS0_20block_scan_algorithmE0ELj4294967295EEENS1_25partition_config_selectorILNS1_17partition_subalgoE4EjNS0_10empty_typeEbEEZZNS1_14partition_implILS8_4ELb0ES6_15HIP_vector_typeIjLj2EENS0_17counting_iteratorIjlEEPS9_SG_NS0_5tupleIJPjSI_NS0_16reverse_iteratorISI_EEEEENSH_IJSG_SG_SG_EEES9_SI_JZNS1_25segmented_radix_sort_implINS0_14default_configELb1EPKhPhPKlPlN2at6native12_GLOBAL__N_18offset_tEEE10hipError_tPvRmT1_PNSt15iterator_traitsIS12_E10value_typeET2_T3_PNS13_IS18_E10value_typeET4_jRbjT5_S1E_jjP12ihipStream_tbEUljE_ZNSN_ISO_Lb1ESQ_SR_ST_SU_SY_EESZ_S10_S11_S12_S16_S17_S18_S1B_S1C_jS1D_jS1E_S1E_jjS1G_bEUljE0_EEESZ_S10_S11_S18_S1C_S1E_T6_T7_T9_mT8_S1G_bDpT10_ENKUlT_T0_E_clISt17integral_constantIbLb1EES1T_IbLb0EEEEDaS1P_S1Q_EUlS1P_E_NS1_11comp_targetILNS1_3genE8ELNS1_11target_archE1030ELNS1_3gpuE2ELNS1_3repE0EEENS1_30default_config_static_selectorELNS0_4arch9wavefront6targetE1EEEvS12_.numbered_sgpr, 0
	.set _ZN7rocprim17ROCPRIM_400000_NS6detail17trampoline_kernelINS0_13select_configILj256ELj13ELNS0_17block_load_methodE3ELS4_3ELS4_3ELNS0_20block_scan_algorithmE0ELj4294967295EEENS1_25partition_config_selectorILNS1_17partition_subalgoE4EjNS0_10empty_typeEbEEZZNS1_14partition_implILS8_4ELb0ES6_15HIP_vector_typeIjLj2EENS0_17counting_iteratorIjlEEPS9_SG_NS0_5tupleIJPjSI_NS0_16reverse_iteratorISI_EEEEENSH_IJSG_SG_SG_EEES9_SI_JZNS1_25segmented_radix_sort_implINS0_14default_configELb1EPKhPhPKlPlN2at6native12_GLOBAL__N_18offset_tEEE10hipError_tPvRmT1_PNSt15iterator_traitsIS12_E10value_typeET2_T3_PNS13_IS18_E10value_typeET4_jRbjT5_S1E_jjP12ihipStream_tbEUljE_ZNSN_ISO_Lb1ESQ_SR_ST_SU_SY_EESZ_S10_S11_S12_S16_S17_S18_S1B_S1C_jS1D_jS1E_S1E_jjS1G_bEUljE0_EEESZ_S10_S11_S18_S1C_S1E_T6_T7_T9_mT8_S1G_bDpT10_ENKUlT_T0_E_clISt17integral_constantIbLb1EES1T_IbLb0EEEEDaS1P_S1Q_EUlS1P_E_NS1_11comp_targetILNS1_3genE8ELNS1_11target_archE1030ELNS1_3gpuE2ELNS1_3repE0EEENS1_30default_config_static_selectorELNS0_4arch9wavefront6targetE1EEEvS12_.num_named_barrier, 0
	.set _ZN7rocprim17ROCPRIM_400000_NS6detail17trampoline_kernelINS0_13select_configILj256ELj13ELNS0_17block_load_methodE3ELS4_3ELS4_3ELNS0_20block_scan_algorithmE0ELj4294967295EEENS1_25partition_config_selectorILNS1_17partition_subalgoE4EjNS0_10empty_typeEbEEZZNS1_14partition_implILS8_4ELb0ES6_15HIP_vector_typeIjLj2EENS0_17counting_iteratorIjlEEPS9_SG_NS0_5tupleIJPjSI_NS0_16reverse_iteratorISI_EEEEENSH_IJSG_SG_SG_EEES9_SI_JZNS1_25segmented_radix_sort_implINS0_14default_configELb1EPKhPhPKlPlN2at6native12_GLOBAL__N_18offset_tEEE10hipError_tPvRmT1_PNSt15iterator_traitsIS12_E10value_typeET2_T3_PNS13_IS18_E10value_typeET4_jRbjT5_S1E_jjP12ihipStream_tbEUljE_ZNSN_ISO_Lb1ESQ_SR_ST_SU_SY_EESZ_S10_S11_S12_S16_S17_S18_S1B_S1C_jS1D_jS1E_S1E_jjS1G_bEUljE0_EEESZ_S10_S11_S18_S1C_S1E_T6_T7_T9_mT8_S1G_bDpT10_ENKUlT_T0_E_clISt17integral_constantIbLb1EES1T_IbLb0EEEEDaS1P_S1Q_EUlS1P_E_NS1_11comp_targetILNS1_3genE8ELNS1_11target_archE1030ELNS1_3gpuE2ELNS1_3repE0EEENS1_30default_config_static_selectorELNS0_4arch9wavefront6targetE1EEEvS12_.private_seg_size, 0
	.set _ZN7rocprim17ROCPRIM_400000_NS6detail17trampoline_kernelINS0_13select_configILj256ELj13ELNS0_17block_load_methodE3ELS4_3ELS4_3ELNS0_20block_scan_algorithmE0ELj4294967295EEENS1_25partition_config_selectorILNS1_17partition_subalgoE4EjNS0_10empty_typeEbEEZZNS1_14partition_implILS8_4ELb0ES6_15HIP_vector_typeIjLj2EENS0_17counting_iteratorIjlEEPS9_SG_NS0_5tupleIJPjSI_NS0_16reverse_iteratorISI_EEEEENSH_IJSG_SG_SG_EEES9_SI_JZNS1_25segmented_radix_sort_implINS0_14default_configELb1EPKhPhPKlPlN2at6native12_GLOBAL__N_18offset_tEEE10hipError_tPvRmT1_PNSt15iterator_traitsIS12_E10value_typeET2_T3_PNS13_IS18_E10value_typeET4_jRbjT5_S1E_jjP12ihipStream_tbEUljE_ZNSN_ISO_Lb1ESQ_SR_ST_SU_SY_EESZ_S10_S11_S12_S16_S17_S18_S1B_S1C_jS1D_jS1E_S1E_jjS1G_bEUljE0_EEESZ_S10_S11_S18_S1C_S1E_T6_T7_T9_mT8_S1G_bDpT10_ENKUlT_T0_E_clISt17integral_constantIbLb1EES1T_IbLb0EEEEDaS1P_S1Q_EUlS1P_E_NS1_11comp_targetILNS1_3genE8ELNS1_11target_archE1030ELNS1_3gpuE2ELNS1_3repE0EEENS1_30default_config_static_selectorELNS0_4arch9wavefront6targetE1EEEvS12_.uses_vcc, 0
	.set _ZN7rocprim17ROCPRIM_400000_NS6detail17trampoline_kernelINS0_13select_configILj256ELj13ELNS0_17block_load_methodE3ELS4_3ELS4_3ELNS0_20block_scan_algorithmE0ELj4294967295EEENS1_25partition_config_selectorILNS1_17partition_subalgoE4EjNS0_10empty_typeEbEEZZNS1_14partition_implILS8_4ELb0ES6_15HIP_vector_typeIjLj2EENS0_17counting_iteratorIjlEEPS9_SG_NS0_5tupleIJPjSI_NS0_16reverse_iteratorISI_EEEEENSH_IJSG_SG_SG_EEES9_SI_JZNS1_25segmented_radix_sort_implINS0_14default_configELb1EPKhPhPKlPlN2at6native12_GLOBAL__N_18offset_tEEE10hipError_tPvRmT1_PNSt15iterator_traitsIS12_E10value_typeET2_T3_PNS13_IS18_E10value_typeET4_jRbjT5_S1E_jjP12ihipStream_tbEUljE_ZNSN_ISO_Lb1ESQ_SR_ST_SU_SY_EESZ_S10_S11_S12_S16_S17_S18_S1B_S1C_jS1D_jS1E_S1E_jjS1G_bEUljE0_EEESZ_S10_S11_S18_S1C_S1E_T6_T7_T9_mT8_S1G_bDpT10_ENKUlT_T0_E_clISt17integral_constantIbLb1EES1T_IbLb0EEEEDaS1P_S1Q_EUlS1P_E_NS1_11comp_targetILNS1_3genE8ELNS1_11target_archE1030ELNS1_3gpuE2ELNS1_3repE0EEENS1_30default_config_static_selectorELNS0_4arch9wavefront6targetE1EEEvS12_.uses_flat_scratch, 0
	.set _ZN7rocprim17ROCPRIM_400000_NS6detail17trampoline_kernelINS0_13select_configILj256ELj13ELNS0_17block_load_methodE3ELS4_3ELS4_3ELNS0_20block_scan_algorithmE0ELj4294967295EEENS1_25partition_config_selectorILNS1_17partition_subalgoE4EjNS0_10empty_typeEbEEZZNS1_14partition_implILS8_4ELb0ES6_15HIP_vector_typeIjLj2EENS0_17counting_iteratorIjlEEPS9_SG_NS0_5tupleIJPjSI_NS0_16reverse_iteratorISI_EEEEENSH_IJSG_SG_SG_EEES9_SI_JZNS1_25segmented_radix_sort_implINS0_14default_configELb1EPKhPhPKlPlN2at6native12_GLOBAL__N_18offset_tEEE10hipError_tPvRmT1_PNSt15iterator_traitsIS12_E10value_typeET2_T3_PNS13_IS18_E10value_typeET4_jRbjT5_S1E_jjP12ihipStream_tbEUljE_ZNSN_ISO_Lb1ESQ_SR_ST_SU_SY_EESZ_S10_S11_S12_S16_S17_S18_S1B_S1C_jS1D_jS1E_S1E_jjS1G_bEUljE0_EEESZ_S10_S11_S18_S1C_S1E_T6_T7_T9_mT8_S1G_bDpT10_ENKUlT_T0_E_clISt17integral_constantIbLb1EES1T_IbLb0EEEEDaS1P_S1Q_EUlS1P_E_NS1_11comp_targetILNS1_3genE8ELNS1_11target_archE1030ELNS1_3gpuE2ELNS1_3repE0EEENS1_30default_config_static_selectorELNS0_4arch9wavefront6targetE1EEEvS12_.has_dyn_sized_stack, 0
	.set _ZN7rocprim17ROCPRIM_400000_NS6detail17trampoline_kernelINS0_13select_configILj256ELj13ELNS0_17block_load_methodE3ELS4_3ELS4_3ELNS0_20block_scan_algorithmE0ELj4294967295EEENS1_25partition_config_selectorILNS1_17partition_subalgoE4EjNS0_10empty_typeEbEEZZNS1_14partition_implILS8_4ELb0ES6_15HIP_vector_typeIjLj2EENS0_17counting_iteratorIjlEEPS9_SG_NS0_5tupleIJPjSI_NS0_16reverse_iteratorISI_EEEEENSH_IJSG_SG_SG_EEES9_SI_JZNS1_25segmented_radix_sort_implINS0_14default_configELb1EPKhPhPKlPlN2at6native12_GLOBAL__N_18offset_tEEE10hipError_tPvRmT1_PNSt15iterator_traitsIS12_E10value_typeET2_T3_PNS13_IS18_E10value_typeET4_jRbjT5_S1E_jjP12ihipStream_tbEUljE_ZNSN_ISO_Lb1ESQ_SR_ST_SU_SY_EESZ_S10_S11_S12_S16_S17_S18_S1B_S1C_jS1D_jS1E_S1E_jjS1G_bEUljE0_EEESZ_S10_S11_S18_S1C_S1E_T6_T7_T9_mT8_S1G_bDpT10_ENKUlT_T0_E_clISt17integral_constantIbLb1EES1T_IbLb0EEEEDaS1P_S1Q_EUlS1P_E_NS1_11comp_targetILNS1_3genE8ELNS1_11target_archE1030ELNS1_3gpuE2ELNS1_3repE0EEENS1_30default_config_static_selectorELNS0_4arch9wavefront6targetE1EEEvS12_.has_recursion, 0
	.set _ZN7rocprim17ROCPRIM_400000_NS6detail17trampoline_kernelINS0_13select_configILj256ELj13ELNS0_17block_load_methodE3ELS4_3ELS4_3ELNS0_20block_scan_algorithmE0ELj4294967295EEENS1_25partition_config_selectorILNS1_17partition_subalgoE4EjNS0_10empty_typeEbEEZZNS1_14partition_implILS8_4ELb0ES6_15HIP_vector_typeIjLj2EENS0_17counting_iteratorIjlEEPS9_SG_NS0_5tupleIJPjSI_NS0_16reverse_iteratorISI_EEEEENSH_IJSG_SG_SG_EEES9_SI_JZNS1_25segmented_radix_sort_implINS0_14default_configELb1EPKhPhPKlPlN2at6native12_GLOBAL__N_18offset_tEEE10hipError_tPvRmT1_PNSt15iterator_traitsIS12_E10value_typeET2_T3_PNS13_IS18_E10value_typeET4_jRbjT5_S1E_jjP12ihipStream_tbEUljE_ZNSN_ISO_Lb1ESQ_SR_ST_SU_SY_EESZ_S10_S11_S12_S16_S17_S18_S1B_S1C_jS1D_jS1E_S1E_jjS1G_bEUljE0_EEESZ_S10_S11_S18_S1C_S1E_T6_T7_T9_mT8_S1G_bDpT10_ENKUlT_T0_E_clISt17integral_constantIbLb1EES1T_IbLb0EEEEDaS1P_S1Q_EUlS1P_E_NS1_11comp_targetILNS1_3genE8ELNS1_11target_archE1030ELNS1_3gpuE2ELNS1_3repE0EEENS1_30default_config_static_selectorELNS0_4arch9wavefront6targetE1EEEvS12_.has_indirect_call, 0
	.section	.AMDGPU.csdata,"",@progbits
; Kernel info:
; codeLenInByte = 0
; TotalNumSgprs: 4
; NumVgprs: 0
; ScratchSize: 0
; MemoryBound: 0
; FloatMode: 240
; IeeeMode: 1
; LDSByteSize: 0 bytes/workgroup (compile time only)
; SGPRBlocks: 0
; VGPRBlocks: 0
; NumSGPRsForWavesPerEU: 4
; NumVGPRsForWavesPerEU: 1
; Occupancy: 10
; WaveLimiterHint : 0
; COMPUTE_PGM_RSRC2:SCRATCH_EN: 0
; COMPUTE_PGM_RSRC2:USER_SGPR: 6
; COMPUTE_PGM_RSRC2:TRAP_HANDLER: 0
; COMPUTE_PGM_RSRC2:TGID_X_EN: 1
; COMPUTE_PGM_RSRC2:TGID_Y_EN: 0
; COMPUTE_PGM_RSRC2:TGID_Z_EN: 0
; COMPUTE_PGM_RSRC2:TIDIG_COMP_CNT: 0
	.section	.text._ZN7rocprim17ROCPRIM_400000_NS6detail31init_lookback_scan_state_kernelINS1_19lookback_scan_stateI15HIP_vector_typeIjLj2EELb0ELb1EEENS1_16block_id_wrapperIjLb1EEEEEvT_jT0_jPNS9_10value_typeE,"axG",@progbits,_ZN7rocprim17ROCPRIM_400000_NS6detail31init_lookback_scan_state_kernelINS1_19lookback_scan_stateI15HIP_vector_typeIjLj2EELb0ELb1EEENS1_16block_id_wrapperIjLb1EEEEEvT_jT0_jPNS9_10value_typeE,comdat
	.protected	_ZN7rocprim17ROCPRIM_400000_NS6detail31init_lookback_scan_state_kernelINS1_19lookback_scan_stateI15HIP_vector_typeIjLj2EELb0ELb1EEENS1_16block_id_wrapperIjLb1EEEEEvT_jT0_jPNS9_10value_typeE ; -- Begin function _ZN7rocprim17ROCPRIM_400000_NS6detail31init_lookback_scan_state_kernelINS1_19lookback_scan_stateI15HIP_vector_typeIjLj2EELb0ELb1EEENS1_16block_id_wrapperIjLb1EEEEEvT_jT0_jPNS9_10value_typeE
	.globl	_ZN7rocprim17ROCPRIM_400000_NS6detail31init_lookback_scan_state_kernelINS1_19lookback_scan_stateI15HIP_vector_typeIjLj2EELb0ELb1EEENS1_16block_id_wrapperIjLb1EEEEEvT_jT0_jPNS9_10value_typeE
	.p2align	8
	.type	_ZN7rocprim17ROCPRIM_400000_NS6detail31init_lookback_scan_state_kernelINS1_19lookback_scan_stateI15HIP_vector_typeIjLj2EELb0ELb1EEENS1_16block_id_wrapperIjLb1EEEEEvT_jT0_jPNS9_10value_typeE,@function
_ZN7rocprim17ROCPRIM_400000_NS6detail31init_lookback_scan_state_kernelINS1_19lookback_scan_stateI15HIP_vector_typeIjLj2EELb0ELb1EEENS1_16block_id_wrapperIjLb1EEEEEvT_jT0_jPNS9_10value_typeE: ; @_ZN7rocprim17ROCPRIM_400000_NS6detail31init_lookback_scan_state_kernelINS1_19lookback_scan_stateI15HIP_vector_typeIjLj2EELb0ELb1EEENS1_16block_id_wrapperIjLb1EEEEEvT_jT0_jPNS9_10value_typeE
; %bb.0:
	s_load_dword s7, s[4:5], 0x34
	s_load_dwordx2 s[2:3], s[4:5], 0x20
	s_load_dwordx2 s[0:1], s[4:5], 0x0
	s_load_dword s14, s[4:5], 0x8
	s_waitcnt lgkmcnt(0)
	s_and_b32 s7, s7, 0xffff
	s_mul_i32 s6, s6, s7
	s_cmp_eq_u64 s[2:3], 0
	v_add_u32_e32 v0, s6, v0
	s_cbranch_scc1 .LBB38_8
; %bb.1:
	s_load_dword s8, s[4:5], 0x18
	s_mov_b32 s9, 0
	s_waitcnt lgkmcnt(0)
	s_cmp_lt_u32 s8, s14
	s_cselect_b32 s6, s8, 0
	v_cmp_eq_u32_e32 vcc, s6, v0
	s_and_saveexec_b64 s[6:7], vcc
	s_cbranch_execz .LBB38_7
; %bb.2:
	s_add_i32 s8, s8, 64
	s_lshl_b64 s[8:9], s[8:9], 4
	s_add_u32 s12, s0, s8
	s_addc_u32 s13, s1, s9
	v_mov_b32_e32 v1, s12
	v_mov_b32_e32 v2, s13
	;;#ASMSTART
	global_load_dwordx4 v[1:4], v[1:2] off glc	
s_waitcnt vmcnt(0)
	;;#ASMEND
	v_and_b32_e32 v4, 0xff, v3
	v_mov_b32_e32 v5, 0
	v_cmp_eq_u64_e32 vcc, 0, v[4:5]
	s_mov_b64 s[10:11], 0
	s_and_saveexec_b64 s[8:9], vcc
	s_cbranch_execz .LBB38_6
; %bb.3:
	v_mov_b32_e32 v6, s12
	v_mov_b32_e32 v7, s13
.LBB38_4:                               ; =>This Inner Loop Header: Depth=1
	;;#ASMSTART
	global_load_dwordx4 v[1:4], v[6:7] off glc	
s_waitcnt vmcnt(0)
	;;#ASMEND
	v_and_b32_e32 v4, 0xff, v3
	v_cmp_ne_u64_e32 vcc, 0, v[4:5]
	s_or_b64 s[10:11], vcc, s[10:11]
	s_andn2_b64 exec, exec, s[10:11]
	s_cbranch_execnz .LBB38_4
; %bb.5:
	s_or_b64 exec, exec, s[10:11]
.LBB38_6:
	s_or_b64 exec, exec, s[8:9]
	v_mov_b32_e32 v3, 0
	global_store_dwordx2 v3, v[1:2], s[2:3]
.LBB38_7:
	s_or_b64 exec, exec, s[6:7]
.LBB38_8:
	v_cmp_eq_u32_e32 vcc, 0, v0
	s_and_saveexec_b64 s[2:3], vcc
	s_cbranch_execnz .LBB38_12
; %bb.9:
	s_or_b64 exec, exec, s[2:3]
	v_cmp_gt_u32_e32 vcc, s14, v0
	s_and_saveexec_b64 s[2:3], vcc
	s_cbranch_execnz .LBB38_13
.LBB38_10:
	s_or_b64 exec, exec, s[2:3]
	v_cmp_gt_u32_e32 vcc, 64, v0
	s_and_saveexec_b64 s[2:3], vcc
	s_cbranch_execnz .LBB38_14
.LBB38_11:
	s_endpgm
.LBB38_12:
	s_load_dwordx2 s[4:5], s[4:5], 0x10
	v_mov_b32_e32 v1, 0
	s_waitcnt lgkmcnt(0)
	global_store_dword v1, v1, s[4:5]
	s_or_b64 exec, exec, s[2:3]
	v_cmp_gt_u32_e32 vcc, s14, v0
	s_and_saveexec_b64 s[2:3], vcc
	s_cbranch_execz .LBB38_10
.LBB38_13:
	v_add_u32_e32 v1, 64, v0
	v_mov_b32_e32 v2, 0
	v_lshlrev_b64 v[3:4], 4, v[1:2]
	v_mov_b32_e32 v1, s1
	v_add_co_u32_e32 v5, vcc, s0, v3
	v_addc_co_u32_e32 v6, vcc, v1, v4, vcc
	v_mov_b32_e32 v1, v2
	v_mov_b32_e32 v3, v2
	;; [unrolled: 1-line block ×3, first 2 shown]
	global_store_dwordx4 v[5:6], v[1:4], off
	s_or_b64 exec, exec, s[2:3]
	v_cmp_gt_u32_e32 vcc, 64, v0
	s_and_saveexec_b64 s[2:3], vcc
	s_cbranch_execz .LBB38_11
.LBB38_14:
	v_mov_b32_e32 v1, 0
	v_lshlrev_b64 v[2:3], 4, v[0:1]
	v_mov_b32_e32 v0, s1
	v_add_co_u32_e32 v4, vcc, s0, v2
	v_addc_co_u32_e32 v5, vcc, v0, v3, vcc
	v_mov_b32_e32 v2, 0xff
	v_mov_b32_e32 v0, v1
	;; [unrolled: 1-line block ×3, first 2 shown]
	global_store_dwordx4 v[4:5], v[0:3], off
	s_endpgm
	.section	.rodata,"a",@progbits
	.p2align	6, 0x0
	.amdhsa_kernel _ZN7rocprim17ROCPRIM_400000_NS6detail31init_lookback_scan_state_kernelINS1_19lookback_scan_stateI15HIP_vector_typeIjLj2EELb0ELb1EEENS1_16block_id_wrapperIjLb1EEEEEvT_jT0_jPNS9_10value_typeE
		.amdhsa_group_segment_fixed_size 0
		.amdhsa_private_segment_fixed_size 0
		.amdhsa_kernarg_size 296
		.amdhsa_user_sgpr_count 6
		.amdhsa_user_sgpr_private_segment_buffer 1
		.amdhsa_user_sgpr_dispatch_ptr 0
		.amdhsa_user_sgpr_queue_ptr 0
		.amdhsa_user_sgpr_kernarg_segment_ptr 1
		.amdhsa_user_sgpr_dispatch_id 0
		.amdhsa_user_sgpr_flat_scratch_init 0
		.amdhsa_user_sgpr_private_segment_size 0
		.amdhsa_uses_dynamic_stack 0
		.amdhsa_system_sgpr_private_segment_wavefront_offset 0
		.amdhsa_system_sgpr_workgroup_id_x 1
		.amdhsa_system_sgpr_workgroup_id_y 0
		.amdhsa_system_sgpr_workgroup_id_z 0
		.amdhsa_system_sgpr_workgroup_info 0
		.amdhsa_system_vgpr_workitem_id 0
		.amdhsa_next_free_vgpr 8
		.amdhsa_next_free_sgpr 15
		.amdhsa_reserve_vcc 1
		.amdhsa_reserve_flat_scratch 0
		.amdhsa_float_round_mode_32 0
		.amdhsa_float_round_mode_16_64 0
		.amdhsa_float_denorm_mode_32 3
		.amdhsa_float_denorm_mode_16_64 3
		.amdhsa_dx10_clamp 1
		.amdhsa_ieee_mode 1
		.amdhsa_fp16_overflow 0
		.amdhsa_exception_fp_ieee_invalid_op 0
		.amdhsa_exception_fp_denorm_src 0
		.amdhsa_exception_fp_ieee_div_zero 0
		.amdhsa_exception_fp_ieee_overflow 0
		.amdhsa_exception_fp_ieee_underflow 0
		.amdhsa_exception_fp_ieee_inexact 0
		.amdhsa_exception_int_div_zero 0
	.end_amdhsa_kernel
	.section	.text._ZN7rocprim17ROCPRIM_400000_NS6detail31init_lookback_scan_state_kernelINS1_19lookback_scan_stateI15HIP_vector_typeIjLj2EELb0ELb1EEENS1_16block_id_wrapperIjLb1EEEEEvT_jT0_jPNS9_10value_typeE,"axG",@progbits,_ZN7rocprim17ROCPRIM_400000_NS6detail31init_lookback_scan_state_kernelINS1_19lookback_scan_stateI15HIP_vector_typeIjLj2EELb0ELb1EEENS1_16block_id_wrapperIjLb1EEEEEvT_jT0_jPNS9_10value_typeE,comdat
.Lfunc_end38:
	.size	_ZN7rocprim17ROCPRIM_400000_NS6detail31init_lookback_scan_state_kernelINS1_19lookback_scan_stateI15HIP_vector_typeIjLj2EELb0ELb1EEENS1_16block_id_wrapperIjLb1EEEEEvT_jT0_jPNS9_10value_typeE, .Lfunc_end38-_ZN7rocprim17ROCPRIM_400000_NS6detail31init_lookback_scan_state_kernelINS1_19lookback_scan_stateI15HIP_vector_typeIjLj2EELb0ELb1EEENS1_16block_id_wrapperIjLb1EEEEEvT_jT0_jPNS9_10value_typeE
                                        ; -- End function
	.set _ZN7rocprim17ROCPRIM_400000_NS6detail31init_lookback_scan_state_kernelINS1_19lookback_scan_stateI15HIP_vector_typeIjLj2EELb0ELb1EEENS1_16block_id_wrapperIjLb1EEEEEvT_jT0_jPNS9_10value_typeE.num_vgpr, 8
	.set _ZN7rocprim17ROCPRIM_400000_NS6detail31init_lookback_scan_state_kernelINS1_19lookback_scan_stateI15HIP_vector_typeIjLj2EELb0ELb1EEENS1_16block_id_wrapperIjLb1EEEEEvT_jT0_jPNS9_10value_typeE.num_agpr, 0
	.set _ZN7rocprim17ROCPRIM_400000_NS6detail31init_lookback_scan_state_kernelINS1_19lookback_scan_stateI15HIP_vector_typeIjLj2EELb0ELb1EEENS1_16block_id_wrapperIjLb1EEEEEvT_jT0_jPNS9_10value_typeE.numbered_sgpr, 15
	.set _ZN7rocprim17ROCPRIM_400000_NS6detail31init_lookback_scan_state_kernelINS1_19lookback_scan_stateI15HIP_vector_typeIjLj2EELb0ELb1EEENS1_16block_id_wrapperIjLb1EEEEEvT_jT0_jPNS9_10value_typeE.num_named_barrier, 0
	.set _ZN7rocprim17ROCPRIM_400000_NS6detail31init_lookback_scan_state_kernelINS1_19lookback_scan_stateI15HIP_vector_typeIjLj2EELb0ELb1EEENS1_16block_id_wrapperIjLb1EEEEEvT_jT0_jPNS9_10value_typeE.private_seg_size, 0
	.set _ZN7rocprim17ROCPRIM_400000_NS6detail31init_lookback_scan_state_kernelINS1_19lookback_scan_stateI15HIP_vector_typeIjLj2EELb0ELb1EEENS1_16block_id_wrapperIjLb1EEEEEvT_jT0_jPNS9_10value_typeE.uses_vcc, 1
	.set _ZN7rocprim17ROCPRIM_400000_NS6detail31init_lookback_scan_state_kernelINS1_19lookback_scan_stateI15HIP_vector_typeIjLj2EELb0ELb1EEENS1_16block_id_wrapperIjLb1EEEEEvT_jT0_jPNS9_10value_typeE.uses_flat_scratch, 0
	.set _ZN7rocprim17ROCPRIM_400000_NS6detail31init_lookback_scan_state_kernelINS1_19lookback_scan_stateI15HIP_vector_typeIjLj2EELb0ELb1EEENS1_16block_id_wrapperIjLb1EEEEEvT_jT0_jPNS9_10value_typeE.has_dyn_sized_stack, 0
	.set _ZN7rocprim17ROCPRIM_400000_NS6detail31init_lookback_scan_state_kernelINS1_19lookback_scan_stateI15HIP_vector_typeIjLj2EELb0ELb1EEENS1_16block_id_wrapperIjLb1EEEEEvT_jT0_jPNS9_10value_typeE.has_recursion, 0
	.set _ZN7rocprim17ROCPRIM_400000_NS6detail31init_lookback_scan_state_kernelINS1_19lookback_scan_stateI15HIP_vector_typeIjLj2EELb0ELb1EEENS1_16block_id_wrapperIjLb1EEEEEvT_jT0_jPNS9_10value_typeE.has_indirect_call, 0
	.section	.AMDGPU.csdata,"",@progbits
; Kernel info:
; codeLenInByte = 440
; TotalNumSgprs: 19
; NumVgprs: 8
; ScratchSize: 0
; MemoryBound: 0
; FloatMode: 240
; IeeeMode: 1
; LDSByteSize: 0 bytes/workgroup (compile time only)
; SGPRBlocks: 2
; VGPRBlocks: 1
; NumSGPRsForWavesPerEU: 19
; NumVGPRsForWavesPerEU: 8
; Occupancy: 10
; WaveLimiterHint : 0
; COMPUTE_PGM_RSRC2:SCRATCH_EN: 0
; COMPUTE_PGM_RSRC2:USER_SGPR: 6
; COMPUTE_PGM_RSRC2:TRAP_HANDLER: 0
; COMPUTE_PGM_RSRC2:TGID_X_EN: 1
; COMPUTE_PGM_RSRC2:TGID_Y_EN: 0
; COMPUTE_PGM_RSRC2:TGID_Z_EN: 0
; COMPUTE_PGM_RSRC2:TIDIG_COMP_CNT: 0
	.section	.text._ZN7rocprim17ROCPRIM_400000_NS6detail17trampoline_kernelINS0_13select_configILj256ELj13ELNS0_17block_load_methodE3ELS4_3ELS4_3ELNS0_20block_scan_algorithmE0ELj4294967295EEENS1_25partition_config_selectorILNS1_17partition_subalgoE4EjNS0_10empty_typeEbEEZZNS1_14partition_implILS8_4ELb0ES6_15HIP_vector_typeIjLj2EENS0_17counting_iteratorIjlEEPS9_SG_NS0_5tupleIJPjSI_NS0_16reverse_iteratorISI_EEEEENSH_IJSG_SG_SG_EEES9_SI_JZNS1_25segmented_radix_sort_implINS0_14default_configELb1EPKhPhPKlPlN2at6native12_GLOBAL__N_18offset_tEEE10hipError_tPvRmT1_PNSt15iterator_traitsIS12_E10value_typeET2_T3_PNS13_IS18_E10value_typeET4_jRbjT5_S1E_jjP12ihipStream_tbEUljE_ZNSN_ISO_Lb1ESQ_SR_ST_SU_SY_EESZ_S10_S11_S12_S16_S17_S18_S1B_S1C_jS1D_jS1E_S1E_jjS1G_bEUljE0_EEESZ_S10_S11_S18_S1C_S1E_T6_T7_T9_mT8_S1G_bDpT10_ENKUlT_T0_E_clISt17integral_constantIbLb0EES1T_IbLb1EEEEDaS1P_S1Q_EUlS1P_E_NS1_11comp_targetILNS1_3genE0ELNS1_11target_archE4294967295ELNS1_3gpuE0ELNS1_3repE0EEENS1_30default_config_static_selectorELNS0_4arch9wavefront6targetE1EEEvS12_,"axG",@progbits,_ZN7rocprim17ROCPRIM_400000_NS6detail17trampoline_kernelINS0_13select_configILj256ELj13ELNS0_17block_load_methodE3ELS4_3ELS4_3ELNS0_20block_scan_algorithmE0ELj4294967295EEENS1_25partition_config_selectorILNS1_17partition_subalgoE4EjNS0_10empty_typeEbEEZZNS1_14partition_implILS8_4ELb0ES6_15HIP_vector_typeIjLj2EENS0_17counting_iteratorIjlEEPS9_SG_NS0_5tupleIJPjSI_NS0_16reverse_iteratorISI_EEEEENSH_IJSG_SG_SG_EEES9_SI_JZNS1_25segmented_radix_sort_implINS0_14default_configELb1EPKhPhPKlPlN2at6native12_GLOBAL__N_18offset_tEEE10hipError_tPvRmT1_PNSt15iterator_traitsIS12_E10value_typeET2_T3_PNS13_IS18_E10value_typeET4_jRbjT5_S1E_jjP12ihipStream_tbEUljE_ZNSN_ISO_Lb1ESQ_SR_ST_SU_SY_EESZ_S10_S11_S12_S16_S17_S18_S1B_S1C_jS1D_jS1E_S1E_jjS1G_bEUljE0_EEESZ_S10_S11_S18_S1C_S1E_T6_T7_T9_mT8_S1G_bDpT10_ENKUlT_T0_E_clISt17integral_constantIbLb0EES1T_IbLb1EEEEDaS1P_S1Q_EUlS1P_E_NS1_11comp_targetILNS1_3genE0ELNS1_11target_archE4294967295ELNS1_3gpuE0ELNS1_3repE0EEENS1_30default_config_static_selectorELNS0_4arch9wavefront6targetE1EEEvS12_,comdat
	.globl	_ZN7rocprim17ROCPRIM_400000_NS6detail17trampoline_kernelINS0_13select_configILj256ELj13ELNS0_17block_load_methodE3ELS4_3ELS4_3ELNS0_20block_scan_algorithmE0ELj4294967295EEENS1_25partition_config_selectorILNS1_17partition_subalgoE4EjNS0_10empty_typeEbEEZZNS1_14partition_implILS8_4ELb0ES6_15HIP_vector_typeIjLj2EENS0_17counting_iteratorIjlEEPS9_SG_NS0_5tupleIJPjSI_NS0_16reverse_iteratorISI_EEEEENSH_IJSG_SG_SG_EEES9_SI_JZNS1_25segmented_radix_sort_implINS0_14default_configELb1EPKhPhPKlPlN2at6native12_GLOBAL__N_18offset_tEEE10hipError_tPvRmT1_PNSt15iterator_traitsIS12_E10value_typeET2_T3_PNS13_IS18_E10value_typeET4_jRbjT5_S1E_jjP12ihipStream_tbEUljE_ZNSN_ISO_Lb1ESQ_SR_ST_SU_SY_EESZ_S10_S11_S12_S16_S17_S18_S1B_S1C_jS1D_jS1E_S1E_jjS1G_bEUljE0_EEESZ_S10_S11_S18_S1C_S1E_T6_T7_T9_mT8_S1G_bDpT10_ENKUlT_T0_E_clISt17integral_constantIbLb0EES1T_IbLb1EEEEDaS1P_S1Q_EUlS1P_E_NS1_11comp_targetILNS1_3genE0ELNS1_11target_archE4294967295ELNS1_3gpuE0ELNS1_3repE0EEENS1_30default_config_static_selectorELNS0_4arch9wavefront6targetE1EEEvS12_ ; -- Begin function _ZN7rocprim17ROCPRIM_400000_NS6detail17trampoline_kernelINS0_13select_configILj256ELj13ELNS0_17block_load_methodE3ELS4_3ELS4_3ELNS0_20block_scan_algorithmE0ELj4294967295EEENS1_25partition_config_selectorILNS1_17partition_subalgoE4EjNS0_10empty_typeEbEEZZNS1_14partition_implILS8_4ELb0ES6_15HIP_vector_typeIjLj2EENS0_17counting_iteratorIjlEEPS9_SG_NS0_5tupleIJPjSI_NS0_16reverse_iteratorISI_EEEEENSH_IJSG_SG_SG_EEES9_SI_JZNS1_25segmented_radix_sort_implINS0_14default_configELb1EPKhPhPKlPlN2at6native12_GLOBAL__N_18offset_tEEE10hipError_tPvRmT1_PNSt15iterator_traitsIS12_E10value_typeET2_T3_PNS13_IS18_E10value_typeET4_jRbjT5_S1E_jjP12ihipStream_tbEUljE_ZNSN_ISO_Lb1ESQ_SR_ST_SU_SY_EESZ_S10_S11_S12_S16_S17_S18_S1B_S1C_jS1D_jS1E_S1E_jjS1G_bEUljE0_EEESZ_S10_S11_S18_S1C_S1E_T6_T7_T9_mT8_S1G_bDpT10_ENKUlT_T0_E_clISt17integral_constantIbLb0EES1T_IbLb1EEEEDaS1P_S1Q_EUlS1P_E_NS1_11comp_targetILNS1_3genE0ELNS1_11target_archE4294967295ELNS1_3gpuE0ELNS1_3repE0EEENS1_30default_config_static_selectorELNS0_4arch9wavefront6targetE1EEEvS12_
	.p2align	8
	.type	_ZN7rocprim17ROCPRIM_400000_NS6detail17trampoline_kernelINS0_13select_configILj256ELj13ELNS0_17block_load_methodE3ELS4_3ELS4_3ELNS0_20block_scan_algorithmE0ELj4294967295EEENS1_25partition_config_selectorILNS1_17partition_subalgoE4EjNS0_10empty_typeEbEEZZNS1_14partition_implILS8_4ELb0ES6_15HIP_vector_typeIjLj2EENS0_17counting_iteratorIjlEEPS9_SG_NS0_5tupleIJPjSI_NS0_16reverse_iteratorISI_EEEEENSH_IJSG_SG_SG_EEES9_SI_JZNS1_25segmented_radix_sort_implINS0_14default_configELb1EPKhPhPKlPlN2at6native12_GLOBAL__N_18offset_tEEE10hipError_tPvRmT1_PNSt15iterator_traitsIS12_E10value_typeET2_T3_PNS13_IS18_E10value_typeET4_jRbjT5_S1E_jjP12ihipStream_tbEUljE_ZNSN_ISO_Lb1ESQ_SR_ST_SU_SY_EESZ_S10_S11_S12_S16_S17_S18_S1B_S1C_jS1D_jS1E_S1E_jjS1G_bEUljE0_EEESZ_S10_S11_S18_S1C_S1E_T6_T7_T9_mT8_S1G_bDpT10_ENKUlT_T0_E_clISt17integral_constantIbLb0EES1T_IbLb1EEEEDaS1P_S1Q_EUlS1P_E_NS1_11comp_targetILNS1_3genE0ELNS1_11target_archE4294967295ELNS1_3gpuE0ELNS1_3repE0EEENS1_30default_config_static_selectorELNS0_4arch9wavefront6targetE1EEEvS12_,@function
_ZN7rocprim17ROCPRIM_400000_NS6detail17trampoline_kernelINS0_13select_configILj256ELj13ELNS0_17block_load_methodE3ELS4_3ELS4_3ELNS0_20block_scan_algorithmE0ELj4294967295EEENS1_25partition_config_selectorILNS1_17partition_subalgoE4EjNS0_10empty_typeEbEEZZNS1_14partition_implILS8_4ELb0ES6_15HIP_vector_typeIjLj2EENS0_17counting_iteratorIjlEEPS9_SG_NS0_5tupleIJPjSI_NS0_16reverse_iteratorISI_EEEEENSH_IJSG_SG_SG_EEES9_SI_JZNS1_25segmented_radix_sort_implINS0_14default_configELb1EPKhPhPKlPlN2at6native12_GLOBAL__N_18offset_tEEE10hipError_tPvRmT1_PNSt15iterator_traitsIS12_E10value_typeET2_T3_PNS13_IS18_E10value_typeET4_jRbjT5_S1E_jjP12ihipStream_tbEUljE_ZNSN_ISO_Lb1ESQ_SR_ST_SU_SY_EESZ_S10_S11_S12_S16_S17_S18_S1B_S1C_jS1D_jS1E_S1E_jjS1G_bEUljE0_EEESZ_S10_S11_S18_S1C_S1E_T6_T7_T9_mT8_S1G_bDpT10_ENKUlT_T0_E_clISt17integral_constantIbLb0EES1T_IbLb1EEEEDaS1P_S1Q_EUlS1P_E_NS1_11comp_targetILNS1_3genE0ELNS1_11target_archE4294967295ELNS1_3gpuE0ELNS1_3repE0EEENS1_30default_config_static_selectorELNS0_4arch9wavefront6targetE1EEEvS12_: ; @_ZN7rocprim17ROCPRIM_400000_NS6detail17trampoline_kernelINS0_13select_configILj256ELj13ELNS0_17block_load_methodE3ELS4_3ELS4_3ELNS0_20block_scan_algorithmE0ELj4294967295EEENS1_25partition_config_selectorILNS1_17partition_subalgoE4EjNS0_10empty_typeEbEEZZNS1_14partition_implILS8_4ELb0ES6_15HIP_vector_typeIjLj2EENS0_17counting_iteratorIjlEEPS9_SG_NS0_5tupleIJPjSI_NS0_16reverse_iteratorISI_EEEEENSH_IJSG_SG_SG_EEES9_SI_JZNS1_25segmented_radix_sort_implINS0_14default_configELb1EPKhPhPKlPlN2at6native12_GLOBAL__N_18offset_tEEE10hipError_tPvRmT1_PNSt15iterator_traitsIS12_E10value_typeET2_T3_PNS13_IS18_E10value_typeET4_jRbjT5_S1E_jjP12ihipStream_tbEUljE_ZNSN_ISO_Lb1ESQ_SR_ST_SU_SY_EESZ_S10_S11_S12_S16_S17_S18_S1B_S1C_jS1D_jS1E_S1E_jjS1G_bEUljE0_EEESZ_S10_S11_S18_S1C_S1E_T6_T7_T9_mT8_S1G_bDpT10_ENKUlT_T0_E_clISt17integral_constantIbLb0EES1T_IbLb1EEEEDaS1P_S1Q_EUlS1P_E_NS1_11comp_targetILNS1_3genE0ELNS1_11target_archE4294967295ELNS1_3gpuE0ELNS1_3repE0EEENS1_30default_config_static_selectorELNS0_4arch9wavefront6targetE1EEEvS12_
; %bb.0:
	.section	.rodata,"a",@progbits
	.p2align	6, 0x0
	.amdhsa_kernel _ZN7rocprim17ROCPRIM_400000_NS6detail17trampoline_kernelINS0_13select_configILj256ELj13ELNS0_17block_load_methodE3ELS4_3ELS4_3ELNS0_20block_scan_algorithmE0ELj4294967295EEENS1_25partition_config_selectorILNS1_17partition_subalgoE4EjNS0_10empty_typeEbEEZZNS1_14partition_implILS8_4ELb0ES6_15HIP_vector_typeIjLj2EENS0_17counting_iteratorIjlEEPS9_SG_NS0_5tupleIJPjSI_NS0_16reverse_iteratorISI_EEEEENSH_IJSG_SG_SG_EEES9_SI_JZNS1_25segmented_radix_sort_implINS0_14default_configELb1EPKhPhPKlPlN2at6native12_GLOBAL__N_18offset_tEEE10hipError_tPvRmT1_PNSt15iterator_traitsIS12_E10value_typeET2_T3_PNS13_IS18_E10value_typeET4_jRbjT5_S1E_jjP12ihipStream_tbEUljE_ZNSN_ISO_Lb1ESQ_SR_ST_SU_SY_EESZ_S10_S11_S12_S16_S17_S18_S1B_S1C_jS1D_jS1E_S1E_jjS1G_bEUljE0_EEESZ_S10_S11_S18_S1C_S1E_T6_T7_T9_mT8_S1G_bDpT10_ENKUlT_T0_E_clISt17integral_constantIbLb0EES1T_IbLb1EEEEDaS1P_S1Q_EUlS1P_E_NS1_11comp_targetILNS1_3genE0ELNS1_11target_archE4294967295ELNS1_3gpuE0ELNS1_3repE0EEENS1_30default_config_static_selectorELNS0_4arch9wavefront6targetE1EEEvS12_
		.amdhsa_group_segment_fixed_size 0
		.amdhsa_private_segment_fixed_size 0
		.amdhsa_kernarg_size 184
		.amdhsa_user_sgpr_count 6
		.amdhsa_user_sgpr_private_segment_buffer 1
		.amdhsa_user_sgpr_dispatch_ptr 0
		.amdhsa_user_sgpr_queue_ptr 0
		.amdhsa_user_sgpr_kernarg_segment_ptr 1
		.amdhsa_user_sgpr_dispatch_id 0
		.amdhsa_user_sgpr_flat_scratch_init 0
		.amdhsa_user_sgpr_private_segment_size 0
		.amdhsa_uses_dynamic_stack 0
		.amdhsa_system_sgpr_private_segment_wavefront_offset 0
		.amdhsa_system_sgpr_workgroup_id_x 1
		.amdhsa_system_sgpr_workgroup_id_y 0
		.amdhsa_system_sgpr_workgroup_id_z 0
		.amdhsa_system_sgpr_workgroup_info 0
		.amdhsa_system_vgpr_workitem_id 0
		.amdhsa_next_free_vgpr 1
		.amdhsa_next_free_sgpr 0
		.amdhsa_reserve_vcc 0
		.amdhsa_reserve_flat_scratch 0
		.amdhsa_float_round_mode_32 0
		.amdhsa_float_round_mode_16_64 0
		.amdhsa_float_denorm_mode_32 3
		.amdhsa_float_denorm_mode_16_64 3
		.amdhsa_dx10_clamp 1
		.amdhsa_ieee_mode 1
		.amdhsa_fp16_overflow 0
		.amdhsa_exception_fp_ieee_invalid_op 0
		.amdhsa_exception_fp_denorm_src 0
		.amdhsa_exception_fp_ieee_div_zero 0
		.amdhsa_exception_fp_ieee_overflow 0
		.amdhsa_exception_fp_ieee_underflow 0
		.amdhsa_exception_fp_ieee_inexact 0
		.amdhsa_exception_int_div_zero 0
	.end_amdhsa_kernel
	.section	.text._ZN7rocprim17ROCPRIM_400000_NS6detail17trampoline_kernelINS0_13select_configILj256ELj13ELNS0_17block_load_methodE3ELS4_3ELS4_3ELNS0_20block_scan_algorithmE0ELj4294967295EEENS1_25partition_config_selectorILNS1_17partition_subalgoE4EjNS0_10empty_typeEbEEZZNS1_14partition_implILS8_4ELb0ES6_15HIP_vector_typeIjLj2EENS0_17counting_iteratorIjlEEPS9_SG_NS0_5tupleIJPjSI_NS0_16reverse_iteratorISI_EEEEENSH_IJSG_SG_SG_EEES9_SI_JZNS1_25segmented_radix_sort_implINS0_14default_configELb1EPKhPhPKlPlN2at6native12_GLOBAL__N_18offset_tEEE10hipError_tPvRmT1_PNSt15iterator_traitsIS12_E10value_typeET2_T3_PNS13_IS18_E10value_typeET4_jRbjT5_S1E_jjP12ihipStream_tbEUljE_ZNSN_ISO_Lb1ESQ_SR_ST_SU_SY_EESZ_S10_S11_S12_S16_S17_S18_S1B_S1C_jS1D_jS1E_S1E_jjS1G_bEUljE0_EEESZ_S10_S11_S18_S1C_S1E_T6_T7_T9_mT8_S1G_bDpT10_ENKUlT_T0_E_clISt17integral_constantIbLb0EES1T_IbLb1EEEEDaS1P_S1Q_EUlS1P_E_NS1_11comp_targetILNS1_3genE0ELNS1_11target_archE4294967295ELNS1_3gpuE0ELNS1_3repE0EEENS1_30default_config_static_selectorELNS0_4arch9wavefront6targetE1EEEvS12_,"axG",@progbits,_ZN7rocprim17ROCPRIM_400000_NS6detail17trampoline_kernelINS0_13select_configILj256ELj13ELNS0_17block_load_methodE3ELS4_3ELS4_3ELNS0_20block_scan_algorithmE0ELj4294967295EEENS1_25partition_config_selectorILNS1_17partition_subalgoE4EjNS0_10empty_typeEbEEZZNS1_14partition_implILS8_4ELb0ES6_15HIP_vector_typeIjLj2EENS0_17counting_iteratorIjlEEPS9_SG_NS0_5tupleIJPjSI_NS0_16reverse_iteratorISI_EEEEENSH_IJSG_SG_SG_EEES9_SI_JZNS1_25segmented_radix_sort_implINS0_14default_configELb1EPKhPhPKlPlN2at6native12_GLOBAL__N_18offset_tEEE10hipError_tPvRmT1_PNSt15iterator_traitsIS12_E10value_typeET2_T3_PNS13_IS18_E10value_typeET4_jRbjT5_S1E_jjP12ihipStream_tbEUljE_ZNSN_ISO_Lb1ESQ_SR_ST_SU_SY_EESZ_S10_S11_S12_S16_S17_S18_S1B_S1C_jS1D_jS1E_S1E_jjS1G_bEUljE0_EEESZ_S10_S11_S18_S1C_S1E_T6_T7_T9_mT8_S1G_bDpT10_ENKUlT_T0_E_clISt17integral_constantIbLb0EES1T_IbLb1EEEEDaS1P_S1Q_EUlS1P_E_NS1_11comp_targetILNS1_3genE0ELNS1_11target_archE4294967295ELNS1_3gpuE0ELNS1_3repE0EEENS1_30default_config_static_selectorELNS0_4arch9wavefront6targetE1EEEvS12_,comdat
.Lfunc_end39:
	.size	_ZN7rocprim17ROCPRIM_400000_NS6detail17trampoline_kernelINS0_13select_configILj256ELj13ELNS0_17block_load_methodE3ELS4_3ELS4_3ELNS0_20block_scan_algorithmE0ELj4294967295EEENS1_25partition_config_selectorILNS1_17partition_subalgoE4EjNS0_10empty_typeEbEEZZNS1_14partition_implILS8_4ELb0ES6_15HIP_vector_typeIjLj2EENS0_17counting_iteratorIjlEEPS9_SG_NS0_5tupleIJPjSI_NS0_16reverse_iteratorISI_EEEEENSH_IJSG_SG_SG_EEES9_SI_JZNS1_25segmented_radix_sort_implINS0_14default_configELb1EPKhPhPKlPlN2at6native12_GLOBAL__N_18offset_tEEE10hipError_tPvRmT1_PNSt15iterator_traitsIS12_E10value_typeET2_T3_PNS13_IS18_E10value_typeET4_jRbjT5_S1E_jjP12ihipStream_tbEUljE_ZNSN_ISO_Lb1ESQ_SR_ST_SU_SY_EESZ_S10_S11_S12_S16_S17_S18_S1B_S1C_jS1D_jS1E_S1E_jjS1G_bEUljE0_EEESZ_S10_S11_S18_S1C_S1E_T6_T7_T9_mT8_S1G_bDpT10_ENKUlT_T0_E_clISt17integral_constantIbLb0EES1T_IbLb1EEEEDaS1P_S1Q_EUlS1P_E_NS1_11comp_targetILNS1_3genE0ELNS1_11target_archE4294967295ELNS1_3gpuE0ELNS1_3repE0EEENS1_30default_config_static_selectorELNS0_4arch9wavefront6targetE1EEEvS12_, .Lfunc_end39-_ZN7rocprim17ROCPRIM_400000_NS6detail17trampoline_kernelINS0_13select_configILj256ELj13ELNS0_17block_load_methodE3ELS4_3ELS4_3ELNS0_20block_scan_algorithmE0ELj4294967295EEENS1_25partition_config_selectorILNS1_17partition_subalgoE4EjNS0_10empty_typeEbEEZZNS1_14partition_implILS8_4ELb0ES6_15HIP_vector_typeIjLj2EENS0_17counting_iteratorIjlEEPS9_SG_NS0_5tupleIJPjSI_NS0_16reverse_iteratorISI_EEEEENSH_IJSG_SG_SG_EEES9_SI_JZNS1_25segmented_radix_sort_implINS0_14default_configELb1EPKhPhPKlPlN2at6native12_GLOBAL__N_18offset_tEEE10hipError_tPvRmT1_PNSt15iterator_traitsIS12_E10value_typeET2_T3_PNS13_IS18_E10value_typeET4_jRbjT5_S1E_jjP12ihipStream_tbEUljE_ZNSN_ISO_Lb1ESQ_SR_ST_SU_SY_EESZ_S10_S11_S12_S16_S17_S18_S1B_S1C_jS1D_jS1E_S1E_jjS1G_bEUljE0_EEESZ_S10_S11_S18_S1C_S1E_T6_T7_T9_mT8_S1G_bDpT10_ENKUlT_T0_E_clISt17integral_constantIbLb0EES1T_IbLb1EEEEDaS1P_S1Q_EUlS1P_E_NS1_11comp_targetILNS1_3genE0ELNS1_11target_archE4294967295ELNS1_3gpuE0ELNS1_3repE0EEENS1_30default_config_static_selectorELNS0_4arch9wavefront6targetE1EEEvS12_
                                        ; -- End function
	.set _ZN7rocprim17ROCPRIM_400000_NS6detail17trampoline_kernelINS0_13select_configILj256ELj13ELNS0_17block_load_methodE3ELS4_3ELS4_3ELNS0_20block_scan_algorithmE0ELj4294967295EEENS1_25partition_config_selectorILNS1_17partition_subalgoE4EjNS0_10empty_typeEbEEZZNS1_14partition_implILS8_4ELb0ES6_15HIP_vector_typeIjLj2EENS0_17counting_iteratorIjlEEPS9_SG_NS0_5tupleIJPjSI_NS0_16reverse_iteratorISI_EEEEENSH_IJSG_SG_SG_EEES9_SI_JZNS1_25segmented_radix_sort_implINS0_14default_configELb1EPKhPhPKlPlN2at6native12_GLOBAL__N_18offset_tEEE10hipError_tPvRmT1_PNSt15iterator_traitsIS12_E10value_typeET2_T3_PNS13_IS18_E10value_typeET4_jRbjT5_S1E_jjP12ihipStream_tbEUljE_ZNSN_ISO_Lb1ESQ_SR_ST_SU_SY_EESZ_S10_S11_S12_S16_S17_S18_S1B_S1C_jS1D_jS1E_S1E_jjS1G_bEUljE0_EEESZ_S10_S11_S18_S1C_S1E_T6_T7_T9_mT8_S1G_bDpT10_ENKUlT_T0_E_clISt17integral_constantIbLb0EES1T_IbLb1EEEEDaS1P_S1Q_EUlS1P_E_NS1_11comp_targetILNS1_3genE0ELNS1_11target_archE4294967295ELNS1_3gpuE0ELNS1_3repE0EEENS1_30default_config_static_selectorELNS0_4arch9wavefront6targetE1EEEvS12_.num_vgpr, 0
	.set _ZN7rocprim17ROCPRIM_400000_NS6detail17trampoline_kernelINS0_13select_configILj256ELj13ELNS0_17block_load_methodE3ELS4_3ELS4_3ELNS0_20block_scan_algorithmE0ELj4294967295EEENS1_25partition_config_selectorILNS1_17partition_subalgoE4EjNS0_10empty_typeEbEEZZNS1_14partition_implILS8_4ELb0ES6_15HIP_vector_typeIjLj2EENS0_17counting_iteratorIjlEEPS9_SG_NS0_5tupleIJPjSI_NS0_16reverse_iteratorISI_EEEEENSH_IJSG_SG_SG_EEES9_SI_JZNS1_25segmented_radix_sort_implINS0_14default_configELb1EPKhPhPKlPlN2at6native12_GLOBAL__N_18offset_tEEE10hipError_tPvRmT1_PNSt15iterator_traitsIS12_E10value_typeET2_T3_PNS13_IS18_E10value_typeET4_jRbjT5_S1E_jjP12ihipStream_tbEUljE_ZNSN_ISO_Lb1ESQ_SR_ST_SU_SY_EESZ_S10_S11_S12_S16_S17_S18_S1B_S1C_jS1D_jS1E_S1E_jjS1G_bEUljE0_EEESZ_S10_S11_S18_S1C_S1E_T6_T7_T9_mT8_S1G_bDpT10_ENKUlT_T0_E_clISt17integral_constantIbLb0EES1T_IbLb1EEEEDaS1P_S1Q_EUlS1P_E_NS1_11comp_targetILNS1_3genE0ELNS1_11target_archE4294967295ELNS1_3gpuE0ELNS1_3repE0EEENS1_30default_config_static_selectorELNS0_4arch9wavefront6targetE1EEEvS12_.num_agpr, 0
	.set _ZN7rocprim17ROCPRIM_400000_NS6detail17trampoline_kernelINS0_13select_configILj256ELj13ELNS0_17block_load_methodE3ELS4_3ELS4_3ELNS0_20block_scan_algorithmE0ELj4294967295EEENS1_25partition_config_selectorILNS1_17partition_subalgoE4EjNS0_10empty_typeEbEEZZNS1_14partition_implILS8_4ELb0ES6_15HIP_vector_typeIjLj2EENS0_17counting_iteratorIjlEEPS9_SG_NS0_5tupleIJPjSI_NS0_16reverse_iteratorISI_EEEEENSH_IJSG_SG_SG_EEES9_SI_JZNS1_25segmented_radix_sort_implINS0_14default_configELb1EPKhPhPKlPlN2at6native12_GLOBAL__N_18offset_tEEE10hipError_tPvRmT1_PNSt15iterator_traitsIS12_E10value_typeET2_T3_PNS13_IS18_E10value_typeET4_jRbjT5_S1E_jjP12ihipStream_tbEUljE_ZNSN_ISO_Lb1ESQ_SR_ST_SU_SY_EESZ_S10_S11_S12_S16_S17_S18_S1B_S1C_jS1D_jS1E_S1E_jjS1G_bEUljE0_EEESZ_S10_S11_S18_S1C_S1E_T6_T7_T9_mT8_S1G_bDpT10_ENKUlT_T0_E_clISt17integral_constantIbLb0EES1T_IbLb1EEEEDaS1P_S1Q_EUlS1P_E_NS1_11comp_targetILNS1_3genE0ELNS1_11target_archE4294967295ELNS1_3gpuE0ELNS1_3repE0EEENS1_30default_config_static_selectorELNS0_4arch9wavefront6targetE1EEEvS12_.numbered_sgpr, 0
	.set _ZN7rocprim17ROCPRIM_400000_NS6detail17trampoline_kernelINS0_13select_configILj256ELj13ELNS0_17block_load_methodE3ELS4_3ELS4_3ELNS0_20block_scan_algorithmE0ELj4294967295EEENS1_25partition_config_selectorILNS1_17partition_subalgoE4EjNS0_10empty_typeEbEEZZNS1_14partition_implILS8_4ELb0ES6_15HIP_vector_typeIjLj2EENS0_17counting_iteratorIjlEEPS9_SG_NS0_5tupleIJPjSI_NS0_16reverse_iteratorISI_EEEEENSH_IJSG_SG_SG_EEES9_SI_JZNS1_25segmented_radix_sort_implINS0_14default_configELb1EPKhPhPKlPlN2at6native12_GLOBAL__N_18offset_tEEE10hipError_tPvRmT1_PNSt15iterator_traitsIS12_E10value_typeET2_T3_PNS13_IS18_E10value_typeET4_jRbjT5_S1E_jjP12ihipStream_tbEUljE_ZNSN_ISO_Lb1ESQ_SR_ST_SU_SY_EESZ_S10_S11_S12_S16_S17_S18_S1B_S1C_jS1D_jS1E_S1E_jjS1G_bEUljE0_EEESZ_S10_S11_S18_S1C_S1E_T6_T7_T9_mT8_S1G_bDpT10_ENKUlT_T0_E_clISt17integral_constantIbLb0EES1T_IbLb1EEEEDaS1P_S1Q_EUlS1P_E_NS1_11comp_targetILNS1_3genE0ELNS1_11target_archE4294967295ELNS1_3gpuE0ELNS1_3repE0EEENS1_30default_config_static_selectorELNS0_4arch9wavefront6targetE1EEEvS12_.num_named_barrier, 0
	.set _ZN7rocprim17ROCPRIM_400000_NS6detail17trampoline_kernelINS0_13select_configILj256ELj13ELNS0_17block_load_methodE3ELS4_3ELS4_3ELNS0_20block_scan_algorithmE0ELj4294967295EEENS1_25partition_config_selectorILNS1_17partition_subalgoE4EjNS0_10empty_typeEbEEZZNS1_14partition_implILS8_4ELb0ES6_15HIP_vector_typeIjLj2EENS0_17counting_iteratorIjlEEPS9_SG_NS0_5tupleIJPjSI_NS0_16reverse_iteratorISI_EEEEENSH_IJSG_SG_SG_EEES9_SI_JZNS1_25segmented_radix_sort_implINS0_14default_configELb1EPKhPhPKlPlN2at6native12_GLOBAL__N_18offset_tEEE10hipError_tPvRmT1_PNSt15iterator_traitsIS12_E10value_typeET2_T3_PNS13_IS18_E10value_typeET4_jRbjT5_S1E_jjP12ihipStream_tbEUljE_ZNSN_ISO_Lb1ESQ_SR_ST_SU_SY_EESZ_S10_S11_S12_S16_S17_S18_S1B_S1C_jS1D_jS1E_S1E_jjS1G_bEUljE0_EEESZ_S10_S11_S18_S1C_S1E_T6_T7_T9_mT8_S1G_bDpT10_ENKUlT_T0_E_clISt17integral_constantIbLb0EES1T_IbLb1EEEEDaS1P_S1Q_EUlS1P_E_NS1_11comp_targetILNS1_3genE0ELNS1_11target_archE4294967295ELNS1_3gpuE0ELNS1_3repE0EEENS1_30default_config_static_selectorELNS0_4arch9wavefront6targetE1EEEvS12_.private_seg_size, 0
	.set _ZN7rocprim17ROCPRIM_400000_NS6detail17trampoline_kernelINS0_13select_configILj256ELj13ELNS0_17block_load_methodE3ELS4_3ELS4_3ELNS0_20block_scan_algorithmE0ELj4294967295EEENS1_25partition_config_selectorILNS1_17partition_subalgoE4EjNS0_10empty_typeEbEEZZNS1_14partition_implILS8_4ELb0ES6_15HIP_vector_typeIjLj2EENS0_17counting_iteratorIjlEEPS9_SG_NS0_5tupleIJPjSI_NS0_16reverse_iteratorISI_EEEEENSH_IJSG_SG_SG_EEES9_SI_JZNS1_25segmented_radix_sort_implINS0_14default_configELb1EPKhPhPKlPlN2at6native12_GLOBAL__N_18offset_tEEE10hipError_tPvRmT1_PNSt15iterator_traitsIS12_E10value_typeET2_T3_PNS13_IS18_E10value_typeET4_jRbjT5_S1E_jjP12ihipStream_tbEUljE_ZNSN_ISO_Lb1ESQ_SR_ST_SU_SY_EESZ_S10_S11_S12_S16_S17_S18_S1B_S1C_jS1D_jS1E_S1E_jjS1G_bEUljE0_EEESZ_S10_S11_S18_S1C_S1E_T6_T7_T9_mT8_S1G_bDpT10_ENKUlT_T0_E_clISt17integral_constantIbLb0EES1T_IbLb1EEEEDaS1P_S1Q_EUlS1P_E_NS1_11comp_targetILNS1_3genE0ELNS1_11target_archE4294967295ELNS1_3gpuE0ELNS1_3repE0EEENS1_30default_config_static_selectorELNS0_4arch9wavefront6targetE1EEEvS12_.uses_vcc, 0
	.set _ZN7rocprim17ROCPRIM_400000_NS6detail17trampoline_kernelINS0_13select_configILj256ELj13ELNS0_17block_load_methodE3ELS4_3ELS4_3ELNS0_20block_scan_algorithmE0ELj4294967295EEENS1_25partition_config_selectorILNS1_17partition_subalgoE4EjNS0_10empty_typeEbEEZZNS1_14partition_implILS8_4ELb0ES6_15HIP_vector_typeIjLj2EENS0_17counting_iteratorIjlEEPS9_SG_NS0_5tupleIJPjSI_NS0_16reverse_iteratorISI_EEEEENSH_IJSG_SG_SG_EEES9_SI_JZNS1_25segmented_radix_sort_implINS0_14default_configELb1EPKhPhPKlPlN2at6native12_GLOBAL__N_18offset_tEEE10hipError_tPvRmT1_PNSt15iterator_traitsIS12_E10value_typeET2_T3_PNS13_IS18_E10value_typeET4_jRbjT5_S1E_jjP12ihipStream_tbEUljE_ZNSN_ISO_Lb1ESQ_SR_ST_SU_SY_EESZ_S10_S11_S12_S16_S17_S18_S1B_S1C_jS1D_jS1E_S1E_jjS1G_bEUljE0_EEESZ_S10_S11_S18_S1C_S1E_T6_T7_T9_mT8_S1G_bDpT10_ENKUlT_T0_E_clISt17integral_constantIbLb0EES1T_IbLb1EEEEDaS1P_S1Q_EUlS1P_E_NS1_11comp_targetILNS1_3genE0ELNS1_11target_archE4294967295ELNS1_3gpuE0ELNS1_3repE0EEENS1_30default_config_static_selectorELNS0_4arch9wavefront6targetE1EEEvS12_.uses_flat_scratch, 0
	.set _ZN7rocprim17ROCPRIM_400000_NS6detail17trampoline_kernelINS0_13select_configILj256ELj13ELNS0_17block_load_methodE3ELS4_3ELS4_3ELNS0_20block_scan_algorithmE0ELj4294967295EEENS1_25partition_config_selectorILNS1_17partition_subalgoE4EjNS0_10empty_typeEbEEZZNS1_14partition_implILS8_4ELb0ES6_15HIP_vector_typeIjLj2EENS0_17counting_iteratorIjlEEPS9_SG_NS0_5tupleIJPjSI_NS0_16reverse_iteratorISI_EEEEENSH_IJSG_SG_SG_EEES9_SI_JZNS1_25segmented_radix_sort_implINS0_14default_configELb1EPKhPhPKlPlN2at6native12_GLOBAL__N_18offset_tEEE10hipError_tPvRmT1_PNSt15iterator_traitsIS12_E10value_typeET2_T3_PNS13_IS18_E10value_typeET4_jRbjT5_S1E_jjP12ihipStream_tbEUljE_ZNSN_ISO_Lb1ESQ_SR_ST_SU_SY_EESZ_S10_S11_S12_S16_S17_S18_S1B_S1C_jS1D_jS1E_S1E_jjS1G_bEUljE0_EEESZ_S10_S11_S18_S1C_S1E_T6_T7_T9_mT8_S1G_bDpT10_ENKUlT_T0_E_clISt17integral_constantIbLb0EES1T_IbLb1EEEEDaS1P_S1Q_EUlS1P_E_NS1_11comp_targetILNS1_3genE0ELNS1_11target_archE4294967295ELNS1_3gpuE0ELNS1_3repE0EEENS1_30default_config_static_selectorELNS0_4arch9wavefront6targetE1EEEvS12_.has_dyn_sized_stack, 0
	.set _ZN7rocprim17ROCPRIM_400000_NS6detail17trampoline_kernelINS0_13select_configILj256ELj13ELNS0_17block_load_methodE3ELS4_3ELS4_3ELNS0_20block_scan_algorithmE0ELj4294967295EEENS1_25partition_config_selectorILNS1_17partition_subalgoE4EjNS0_10empty_typeEbEEZZNS1_14partition_implILS8_4ELb0ES6_15HIP_vector_typeIjLj2EENS0_17counting_iteratorIjlEEPS9_SG_NS0_5tupleIJPjSI_NS0_16reverse_iteratorISI_EEEEENSH_IJSG_SG_SG_EEES9_SI_JZNS1_25segmented_radix_sort_implINS0_14default_configELb1EPKhPhPKlPlN2at6native12_GLOBAL__N_18offset_tEEE10hipError_tPvRmT1_PNSt15iterator_traitsIS12_E10value_typeET2_T3_PNS13_IS18_E10value_typeET4_jRbjT5_S1E_jjP12ihipStream_tbEUljE_ZNSN_ISO_Lb1ESQ_SR_ST_SU_SY_EESZ_S10_S11_S12_S16_S17_S18_S1B_S1C_jS1D_jS1E_S1E_jjS1G_bEUljE0_EEESZ_S10_S11_S18_S1C_S1E_T6_T7_T9_mT8_S1G_bDpT10_ENKUlT_T0_E_clISt17integral_constantIbLb0EES1T_IbLb1EEEEDaS1P_S1Q_EUlS1P_E_NS1_11comp_targetILNS1_3genE0ELNS1_11target_archE4294967295ELNS1_3gpuE0ELNS1_3repE0EEENS1_30default_config_static_selectorELNS0_4arch9wavefront6targetE1EEEvS12_.has_recursion, 0
	.set _ZN7rocprim17ROCPRIM_400000_NS6detail17trampoline_kernelINS0_13select_configILj256ELj13ELNS0_17block_load_methodE3ELS4_3ELS4_3ELNS0_20block_scan_algorithmE0ELj4294967295EEENS1_25partition_config_selectorILNS1_17partition_subalgoE4EjNS0_10empty_typeEbEEZZNS1_14partition_implILS8_4ELb0ES6_15HIP_vector_typeIjLj2EENS0_17counting_iteratorIjlEEPS9_SG_NS0_5tupleIJPjSI_NS0_16reverse_iteratorISI_EEEEENSH_IJSG_SG_SG_EEES9_SI_JZNS1_25segmented_radix_sort_implINS0_14default_configELb1EPKhPhPKlPlN2at6native12_GLOBAL__N_18offset_tEEE10hipError_tPvRmT1_PNSt15iterator_traitsIS12_E10value_typeET2_T3_PNS13_IS18_E10value_typeET4_jRbjT5_S1E_jjP12ihipStream_tbEUljE_ZNSN_ISO_Lb1ESQ_SR_ST_SU_SY_EESZ_S10_S11_S12_S16_S17_S18_S1B_S1C_jS1D_jS1E_S1E_jjS1G_bEUljE0_EEESZ_S10_S11_S18_S1C_S1E_T6_T7_T9_mT8_S1G_bDpT10_ENKUlT_T0_E_clISt17integral_constantIbLb0EES1T_IbLb1EEEEDaS1P_S1Q_EUlS1P_E_NS1_11comp_targetILNS1_3genE0ELNS1_11target_archE4294967295ELNS1_3gpuE0ELNS1_3repE0EEENS1_30default_config_static_selectorELNS0_4arch9wavefront6targetE1EEEvS12_.has_indirect_call, 0
	.section	.AMDGPU.csdata,"",@progbits
; Kernel info:
; codeLenInByte = 0
; TotalNumSgprs: 4
; NumVgprs: 0
; ScratchSize: 0
; MemoryBound: 0
; FloatMode: 240
; IeeeMode: 1
; LDSByteSize: 0 bytes/workgroup (compile time only)
; SGPRBlocks: 0
; VGPRBlocks: 0
; NumSGPRsForWavesPerEU: 4
; NumVGPRsForWavesPerEU: 1
; Occupancy: 10
; WaveLimiterHint : 0
; COMPUTE_PGM_RSRC2:SCRATCH_EN: 0
; COMPUTE_PGM_RSRC2:USER_SGPR: 6
; COMPUTE_PGM_RSRC2:TRAP_HANDLER: 0
; COMPUTE_PGM_RSRC2:TGID_X_EN: 1
; COMPUTE_PGM_RSRC2:TGID_Y_EN: 0
; COMPUTE_PGM_RSRC2:TGID_Z_EN: 0
; COMPUTE_PGM_RSRC2:TIDIG_COMP_CNT: 0
	.section	.text._ZN7rocprim17ROCPRIM_400000_NS6detail17trampoline_kernelINS0_13select_configILj256ELj13ELNS0_17block_load_methodE3ELS4_3ELS4_3ELNS0_20block_scan_algorithmE0ELj4294967295EEENS1_25partition_config_selectorILNS1_17partition_subalgoE4EjNS0_10empty_typeEbEEZZNS1_14partition_implILS8_4ELb0ES6_15HIP_vector_typeIjLj2EENS0_17counting_iteratorIjlEEPS9_SG_NS0_5tupleIJPjSI_NS0_16reverse_iteratorISI_EEEEENSH_IJSG_SG_SG_EEES9_SI_JZNS1_25segmented_radix_sort_implINS0_14default_configELb1EPKhPhPKlPlN2at6native12_GLOBAL__N_18offset_tEEE10hipError_tPvRmT1_PNSt15iterator_traitsIS12_E10value_typeET2_T3_PNS13_IS18_E10value_typeET4_jRbjT5_S1E_jjP12ihipStream_tbEUljE_ZNSN_ISO_Lb1ESQ_SR_ST_SU_SY_EESZ_S10_S11_S12_S16_S17_S18_S1B_S1C_jS1D_jS1E_S1E_jjS1G_bEUljE0_EEESZ_S10_S11_S18_S1C_S1E_T6_T7_T9_mT8_S1G_bDpT10_ENKUlT_T0_E_clISt17integral_constantIbLb0EES1T_IbLb1EEEEDaS1P_S1Q_EUlS1P_E_NS1_11comp_targetILNS1_3genE5ELNS1_11target_archE942ELNS1_3gpuE9ELNS1_3repE0EEENS1_30default_config_static_selectorELNS0_4arch9wavefront6targetE1EEEvS12_,"axG",@progbits,_ZN7rocprim17ROCPRIM_400000_NS6detail17trampoline_kernelINS0_13select_configILj256ELj13ELNS0_17block_load_methodE3ELS4_3ELS4_3ELNS0_20block_scan_algorithmE0ELj4294967295EEENS1_25partition_config_selectorILNS1_17partition_subalgoE4EjNS0_10empty_typeEbEEZZNS1_14partition_implILS8_4ELb0ES6_15HIP_vector_typeIjLj2EENS0_17counting_iteratorIjlEEPS9_SG_NS0_5tupleIJPjSI_NS0_16reverse_iteratorISI_EEEEENSH_IJSG_SG_SG_EEES9_SI_JZNS1_25segmented_radix_sort_implINS0_14default_configELb1EPKhPhPKlPlN2at6native12_GLOBAL__N_18offset_tEEE10hipError_tPvRmT1_PNSt15iterator_traitsIS12_E10value_typeET2_T3_PNS13_IS18_E10value_typeET4_jRbjT5_S1E_jjP12ihipStream_tbEUljE_ZNSN_ISO_Lb1ESQ_SR_ST_SU_SY_EESZ_S10_S11_S12_S16_S17_S18_S1B_S1C_jS1D_jS1E_S1E_jjS1G_bEUljE0_EEESZ_S10_S11_S18_S1C_S1E_T6_T7_T9_mT8_S1G_bDpT10_ENKUlT_T0_E_clISt17integral_constantIbLb0EES1T_IbLb1EEEEDaS1P_S1Q_EUlS1P_E_NS1_11comp_targetILNS1_3genE5ELNS1_11target_archE942ELNS1_3gpuE9ELNS1_3repE0EEENS1_30default_config_static_selectorELNS0_4arch9wavefront6targetE1EEEvS12_,comdat
	.globl	_ZN7rocprim17ROCPRIM_400000_NS6detail17trampoline_kernelINS0_13select_configILj256ELj13ELNS0_17block_load_methodE3ELS4_3ELS4_3ELNS0_20block_scan_algorithmE0ELj4294967295EEENS1_25partition_config_selectorILNS1_17partition_subalgoE4EjNS0_10empty_typeEbEEZZNS1_14partition_implILS8_4ELb0ES6_15HIP_vector_typeIjLj2EENS0_17counting_iteratorIjlEEPS9_SG_NS0_5tupleIJPjSI_NS0_16reverse_iteratorISI_EEEEENSH_IJSG_SG_SG_EEES9_SI_JZNS1_25segmented_radix_sort_implINS0_14default_configELb1EPKhPhPKlPlN2at6native12_GLOBAL__N_18offset_tEEE10hipError_tPvRmT1_PNSt15iterator_traitsIS12_E10value_typeET2_T3_PNS13_IS18_E10value_typeET4_jRbjT5_S1E_jjP12ihipStream_tbEUljE_ZNSN_ISO_Lb1ESQ_SR_ST_SU_SY_EESZ_S10_S11_S12_S16_S17_S18_S1B_S1C_jS1D_jS1E_S1E_jjS1G_bEUljE0_EEESZ_S10_S11_S18_S1C_S1E_T6_T7_T9_mT8_S1G_bDpT10_ENKUlT_T0_E_clISt17integral_constantIbLb0EES1T_IbLb1EEEEDaS1P_S1Q_EUlS1P_E_NS1_11comp_targetILNS1_3genE5ELNS1_11target_archE942ELNS1_3gpuE9ELNS1_3repE0EEENS1_30default_config_static_selectorELNS0_4arch9wavefront6targetE1EEEvS12_ ; -- Begin function _ZN7rocprim17ROCPRIM_400000_NS6detail17trampoline_kernelINS0_13select_configILj256ELj13ELNS0_17block_load_methodE3ELS4_3ELS4_3ELNS0_20block_scan_algorithmE0ELj4294967295EEENS1_25partition_config_selectorILNS1_17partition_subalgoE4EjNS0_10empty_typeEbEEZZNS1_14partition_implILS8_4ELb0ES6_15HIP_vector_typeIjLj2EENS0_17counting_iteratorIjlEEPS9_SG_NS0_5tupleIJPjSI_NS0_16reverse_iteratorISI_EEEEENSH_IJSG_SG_SG_EEES9_SI_JZNS1_25segmented_radix_sort_implINS0_14default_configELb1EPKhPhPKlPlN2at6native12_GLOBAL__N_18offset_tEEE10hipError_tPvRmT1_PNSt15iterator_traitsIS12_E10value_typeET2_T3_PNS13_IS18_E10value_typeET4_jRbjT5_S1E_jjP12ihipStream_tbEUljE_ZNSN_ISO_Lb1ESQ_SR_ST_SU_SY_EESZ_S10_S11_S12_S16_S17_S18_S1B_S1C_jS1D_jS1E_S1E_jjS1G_bEUljE0_EEESZ_S10_S11_S18_S1C_S1E_T6_T7_T9_mT8_S1G_bDpT10_ENKUlT_T0_E_clISt17integral_constantIbLb0EES1T_IbLb1EEEEDaS1P_S1Q_EUlS1P_E_NS1_11comp_targetILNS1_3genE5ELNS1_11target_archE942ELNS1_3gpuE9ELNS1_3repE0EEENS1_30default_config_static_selectorELNS0_4arch9wavefront6targetE1EEEvS12_
	.p2align	8
	.type	_ZN7rocprim17ROCPRIM_400000_NS6detail17trampoline_kernelINS0_13select_configILj256ELj13ELNS0_17block_load_methodE3ELS4_3ELS4_3ELNS0_20block_scan_algorithmE0ELj4294967295EEENS1_25partition_config_selectorILNS1_17partition_subalgoE4EjNS0_10empty_typeEbEEZZNS1_14partition_implILS8_4ELb0ES6_15HIP_vector_typeIjLj2EENS0_17counting_iteratorIjlEEPS9_SG_NS0_5tupleIJPjSI_NS0_16reverse_iteratorISI_EEEEENSH_IJSG_SG_SG_EEES9_SI_JZNS1_25segmented_radix_sort_implINS0_14default_configELb1EPKhPhPKlPlN2at6native12_GLOBAL__N_18offset_tEEE10hipError_tPvRmT1_PNSt15iterator_traitsIS12_E10value_typeET2_T3_PNS13_IS18_E10value_typeET4_jRbjT5_S1E_jjP12ihipStream_tbEUljE_ZNSN_ISO_Lb1ESQ_SR_ST_SU_SY_EESZ_S10_S11_S12_S16_S17_S18_S1B_S1C_jS1D_jS1E_S1E_jjS1G_bEUljE0_EEESZ_S10_S11_S18_S1C_S1E_T6_T7_T9_mT8_S1G_bDpT10_ENKUlT_T0_E_clISt17integral_constantIbLb0EES1T_IbLb1EEEEDaS1P_S1Q_EUlS1P_E_NS1_11comp_targetILNS1_3genE5ELNS1_11target_archE942ELNS1_3gpuE9ELNS1_3repE0EEENS1_30default_config_static_selectorELNS0_4arch9wavefront6targetE1EEEvS12_,@function
_ZN7rocprim17ROCPRIM_400000_NS6detail17trampoline_kernelINS0_13select_configILj256ELj13ELNS0_17block_load_methodE3ELS4_3ELS4_3ELNS0_20block_scan_algorithmE0ELj4294967295EEENS1_25partition_config_selectorILNS1_17partition_subalgoE4EjNS0_10empty_typeEbEEZZNS1_14partition_implILS8_4ELb0ES6_15HIP_vector_typeIjLj2EENS0_17counting_iteratorIjlEEPS9_SG_NS0_5tupleIJPjSI_NS0_16reverse_iteratorISI_EEEEENSH_IJSG_SG_SG_EEES9_SI_JZNS1_25segmented_radix_sort_implINS0_14default_configELb1EPKhPhPKlPlN2at6native12_GLOBAL__N_18offset_tEEE10hipError_tPvRmT1_PNSt15iterator_traitsIS12_E10value_typeET2_T3_PNS13_IS18_E10value_typeET4_jRbjT5_S1E_jjP12ihipStream_tbEUljE_ZNSN_ISO_Lb1ESQ_SR_ST_SU_SY_EESZ_S10_S11_S12_S16_S17_S18_S1B_S1C_jS1D_jS1E_S1E_jjS1G_bEUljE0_EEESZ_S10_S11_S18_S1C_S1E_T6_T7_T9_mT8_S1G_bDpT10_ENKUlT_T0_E_clISt17integral_constantIbLb0EES1T_IbLb1EEEEDaS1P_S1Q_EUlS1P_E_NS1_11comp_targetILNS1_3genE5ELNS1_11target_archE942ELNS1_3gpuE9ELNS1_3repE0EEENS1_30default_config_static_selectorELNS0_4arch9wavefront6targetE1EEEvS12_: ; @_ZN7rocprim17ROCPRIM_400000_NS6detail17trampoline_kernelINS0_13select_configILj256ELj13ELNS0_17block_load_methodE3ELS4_3ELS4_3ELNS0_20block_scan_algorithmE0ELj4294967295EEENS1_25partition_config_selectorILNS1_17partition_subalgoE4EjNS0_10empty_typeEbEEZZNS1_14partition_implILS8_4ELb0ES6_15HIP_vector_typeIjLj2EENS0_17counting_iteratorIjlEEPS9_SG_NS0_5tupleIJPjSI_NS0_16reverse_iteratorISI_EEEEENSH_IJSG_SG_SG_EEES9_SI_JZNS1_25segmented_radix_sort_implINS0_14default_configELb1EPKhPhPKlPlN2at6native12_GLOBAL__N_18offset_tEEE10hipError_tPvRmT1_PNSt15iterator_traitsIS12_E10value_typeET2_T3_PNS13_IS18_E10value_typeET4_jRbjT5_S1E_jjP12ihipStream_tbEUljE_ZNSN_ISO_Lb1ESQ_SR_ST_SU_SY_EESZ_S10_S11_S12_S16_S17_S18_S1B_S1C_jS1D_jS1E_S1E_jjS1G_bEUljE0_EEESZ_S10_S11_S18_S1C_S1E_T6_T7_T9_mT8_S1G_bDpT10_ENKUlT_T0_E_clISt17integral_constantIbLb0EES1T_IbLb1EEEEDaS1P_S1Q_EUlS1P_E_NS1_11comp_targetILNS1_3genE5ELNS1_11target_archE942ELNS1_3gpuE9ELNS1_3repE0EEENS1_30default_config_static_selectorELNS0_4arch9wavefront6targetE1EEEvS12_
; %bb.0:
	.section	.rodata,"a",@progbits
	.p2align	6, 0x0
	.amdhsa_kernel _ZN7rocprim17ROCPRIM_400000_NS6detail17trampoline_kernelINS0_13select_configILj256ELj13ELNS0_17block_load_methodE3ELS4_3ELS4_3ELNS0_20block_scan_algorithmE0ELj4294967295EEENS1_25partition_config_selectorILNS1_17partition_subalgoE4EjNS0_10empty_typeEbEEZZNS1_14partition_implILS8_4ELb0ES6_15HIP_vector_typeIjLj2EENS0_17counting_iteratorIjlEEPS9_SG_NS0_5tupleIJPjSI_NS0_16reverse_iteratorISI_EEEEENSH_IJSG_SG_SG_EEES9_SI_JZNS1_25segmented_radix_sort_implINS0_14default_configELb1EPKhPhPKlPlN2at6native12_GLOBAL__N_18offset_tEEE10hipError_tPvRmT1_PNSt15iterator_traitsIS12_E10value_typeET2_T3_PNS13_IS18_E10value_typeET4_jRbjT5_S1E_jjP12ihipStream_tbEUljE_ZNSN_ISO_Lb1ESQ_SR_ST_SU_SY_EESZ_S10_S11_S12_S16_S17_S18_S1B_S1C_jS1D_jS1E_S1E_jjS1G_bEUljE0_EEESZ_S10_S11_S18_S1C_S1E_T6_T7_T9_mT8_S1G_bDpT10_ENKUlT_T0_E_clISt17integral_constantIbLb0EES1T_IbLb1EEEEDaS1P_S1Q_EUlS1P_E_NS1_11comp_targetILNS1_3genE5ELNS1_11target_archE942ELNS1_3gpuE9ELNS1_3repE0EEENS1_30default_config_static_selectorELNS0_4arch9wavefront6targetE1EEEvS12_
		.amdhsa_group_segment_fixed_size 0
		.amdhsa_private_segment_fixed_size 0
		.amdhsa_kernarg_size 184
		.amdhsa_user_sgpr_count 6
		.amdhsa_user_sgpr_private_segment_buffer 1
		.amdhsa_user_sgpr_dispatch_ptr 0
		.amdhsa_user_sgpr_queue_ptr 0
		.amdhsa_user_sgpr_kernarg_segment_ptr 1
		.amdhsa_user_sgpr_dispatch_id 0
		.amdhsa_user_sgpr_flat_scratch_init 0
		.amdhsa_user_sgpr_private_segment_size 0
		.amdhsa_uses_dynamic_stack 0
		.amdhsa_system_sgpr_private_segment_wavefront_offset 0
		.amdhsa_system_sgpr_workgroup_id_x 1
		.amdhsa_system_sgpr_workgroup_id_y 0
		.amdhsa_system_sgpr_workgroup_id_z 0
		.amdhsa_system_sgpr_workgroup_info 0
		.amdhsa_system_vgpr_workitem_id 0
		.amdhsa_next_free_vgpr 1
		.amdhsa_next_free_sgpr 0
		.amdhsa_reserve_vcc 0
		.amdhsa_reserve_flat_scratch 0
		.amdhsa_float_round_mode_32 0
		.amdhsa_float_round_mode_16_64 0
		.amdhsa_float_denorm_mode_32 3
		.amdhsa_float_denorm_mode_16_64 3
		.amdhsa_dx10_clamp 1
		.amdhsa_ieee_mode 1
		.amdhsa_fp16_overflow 0
		.amdhsa_exception_fp_ieee_invalid_op 0
		.amdhsa_exception_fp_denorm_src 0
		.amdhsa_exception_fp_ieee_div_zero 0
		.amdhsa_exception_fp_ieee_overflow 0
		.amdhsa_exception_fp_ieee_underflow 0
		.amdhsa_exception_fp_ieee_inexact 0
		.amdhsa_exception_int_div_zero 0
	.end_amdhsa_kernel
	.section	.text._ZN7rocprim17ROCPRIM_400000_NS6detail17trampoline_kernelINS0_13select_configILj256ELj13ELNS0_17block_load_methodE3ELS4_3ELS4_3ELNS0_20block_scan_algorithmE0ELj4294967295EEENS1_25partition_config_selectorILNS1_17partition_subalgoE4EjNS0_10empty_typeEbEEZZNS1_14partition_implILS8_4ELb0ES6_15HIP_vector_typeIjLj2EENS0_17counting_iteratorIjlEEPS9_SG_NS0_5tupleIJPjSI_NS0_16reverse_iteratorISI_EEEEENSH_IJSG_SG_SG_EEES9_SI_JZNS1_25segmented_radix_sort_implINS0_14default_configELb1EPKhPhPKlPlN2at6native12_GLOBAL__N_18offset_tEEE10hipError_tPvRmT1_PNSt15iterator_traitsIS12_E10value_typeET2_T3_PNS13_IS18_E10value_typeET4_jRbjT5_S1E_jjP12ihipStream_tbEUljE_ZNSN_ISO_Lb1ESQ_SR_ST_SU_SY_EESZ_S10_S11_S12_S16_S17_S18_S1B_S1C_jS1D_jS1E_S1E_jjS1G_bEUljE0_EEESZ_S10_S11_S18_S1C_S1E_T6_T7_T9_mT8_S1G_bDpT10_ENKUlT_T0_E_clISt17integral_constantIbLb0EES1T_IbLb1EEEEDaS1P_S1Q_EUlS1P_E_NS1_11comp_targetILNS1_3genE5ELNS1_11target_archE942ELNS1_3gpuE9ELNS1_3repE0EEENS1_30default_config_static_selectorELNS0_4arch9wavefront6targetE1EEEvS12_,"axG",@progbits,_ZN7rocprim17ROCPRIM_400000_NS6detail17trampoline_kernelINS0_13select_configILj256ELj13ELNS0_17block_load_methodE3ELS4_3ELS4_3ELNS0_20block_scan_algorithmE0ELj4294967295EEENS1_25partition_config_selectorILNS1_17partition_subalgoE4EjNS0_10empty_typeEbEEZZNS1_14partition_implILS8_4ELb0ES6_15HIP_vector_typeIjLj2EENS0_17counting_iteratorIjlEEPS9_SG_NS0_5tupleIJPjSI_NS0_16reverse_iteratorISI_EEEEENSH_IJSG_SG_SG_EEES9_SI_JZNS1_25segmented_radix_sort_implINS0_14default_configELb1EPKhPhPKlPlN2at6native12_GLOBAL__N_18offset_tEEE10hipError_tPvRmT1_PNSt15iterator_traitsIS12_E10value_typeET2_T3_PNS13_IS18_E10value_typeET4_jRbjT5_S1E_jjP12ihipStream_tbEUljE_ZNSN_ISO_Lb1ESQ_SR_ST_SU_SY_EESZ_S10_S11_S12_S16_S17_S18_S1B_S1C_jS1D_jS1E_S1E_jjS1G_bEUljE0_EEESZ_S10_S11_S18_S1C_S1E_T6_T7_T9_mT8_S1G_bDpT10_ENKUlT_T0_E_clISt17integral_constantIbLb0EES1T_IbLb1EEEEDaS1P_S1Q_EUlS1P_E_NS1_11comp_targetILNS1_3genE5ELNS1_11target_archE942ELNS1_3gpuE9ELNS1_3repE0EEENS1_30default_config_static_selectorELNS0_4arch9wavefront6targetE1EEEvS12_,comdat
.Lfunc_end40:
	.size	_ZN7rocprim17ROCPRIM_400000_NS6detail17trampoline_kernelINS0_13select_configILj256ELj13ELNS0_17block_load_methodE3ELS4_3ELS4_3ELNS0_20block_scan_algorithmE0ELj4294967295EEENS1_25partition_config_selectorILNS1_17partition_subalgoE4EjNS0_10empty_typeEbEEZZNS1_14partition_implILS8_4ELb0ES6_15HIP_vector_typeIjLj2EENS0_17counting_iteratorIjlEEPS9_SG_NS0_5tupleIJPjSI_NS0_16reverse_iteratorISI_EEEEENSH_IJSG_SG_SG_EEES9_SI_JZNS1_25segmented_radix_sort_implINS0_14default_configELb1EPKhPhPKlPlN2at6native12_GLOBAL__N_18offset_tEEE10hipError_tPvRmT1_PNSt15iterator_traitsIS12_E10value_typeET2_T3_PNS13_IS18_E10value_typeET4_jRbjT5_S1E_jjP12ihipStream_tbEUljE_ZNSN_ISO_Lb1ESQ_SR_ST_SU_SY_EESZ_S10_S11_S12_S16_S17_S18_S1B_S1C_jS1D_jS1E_S1E_jjS1G_bEUljE0_EEESZ_S10_S11_S18_S1C_S1E_T6_T7_T9_mT8_S1G_bDpT10_ENKUlT_T0_E_clISt17integral_constantIbLb0EES1T_IbLb1EEEEDaS1P_S1Q_EUlS1P_E_NS1_11comp_targetILNS1_3genE5ELNS1_11target_archE942ELNS1_3gpuE9ELNS1_3repE0EEENS1_30default_config_static_selectorELNS0_4arch9wavefront6targetE1EEEvS12_, .Lfunc_end40-_ZN7rocprim17ROCPRIM_400000_NS6detail17trampoline_kernelINS0_13select_configILj256ELj13ELNS0_17block_load_methodE3ELS4_3ELS4_3ELNS0_20block_scan_algorithmE0ELj4294967295EEENS1_25partition_config_selectorILNS1_17partition_subalgoE4EjNS0_10empty_typeEbEEZZNS1_14partition_implILS8_4ELb0ES6_15HIP_vector_typeIjLj2EENS0_17counting_iteratorIjlEEPS9_SG_NS0_5tupleIJPjSI_NS0_16reverse_iteratorISI_EEEEENSH_IJSG_SG_SG_EEES9_SI_JZNS1_25segmented_radix_sort_implINS0_14default_configELb1EPKhPhPKlPlN2at6native12_GLOBAL__N_18offset_tEEE10hipError_tPvRmT1_PNSt15iterator_traitsIS12_E10value_typeET2_T3_PNS13_IS18_E10value_typeET4_jRbjT5_S1E_jjP12ihipStream_tbEUljE_ZNSN_ISO_Lb1ESQ_SR_ST_SU_SY_EESZ_S10_S11_S12_S16_S17_S18_S1B_S1C_jS1D_jS1E_S1E_jjS1G_bEUljE0_EEESZ_S10_S11_S18_S1C_S1E_T6_T7_T9_mT8_S1G_bDpT10_ENKUlT_T0_E_clISt17integral_constantIbLb0EES1T_IbLb1EEEEDaS1P_S1Q_EUlS1P_E_NS1_11comp_targetILNS1_3genE5ELNS1_11target_archE942ELNS1_3gpuE9ELNS1_3repE0EEENS1_30default_config_static_selectorELNS0_4arch9wavefront6targetE1EEEvS12_
                                        ; -- End function
	.set _ZN7rocprim17ROCPRIM_400000_NS6detail17trampoline_kernelINS0_13select_configILj256ELj13ELNS0_17block_load_methodE3ELS4_3ELS4_3ELNS0_20block_scan_algorithmE0ELj4294967295EEENS1_25partition_config_selectorILNS1_17partition_subalgoE4EjNS0_10empty_typeEbEEZZNS1_14partition_implILS8_4ELb0ES6_15HIP_vector_typeIjLj2EENS0_17counting_iteratorIjlEEPS9_SG_NS0_5tupleIJPjSI_NS0_16reverse_iteratorISI_EEEEENSH_IJSG_SG_SG_EEES9_SI_JZNS1_25segmented_radix_sort_implINS0_14default_configELb1EPKhPhPKlPlN2at6native12_GLOBAL__N_18offset_tEEE10hipError_tPvRmT1_PNSt15iterator_traitsIS12_E10value_typeET2_T3_PNS13_IS18_E10value_typeET4_jRbjT5_S1E_jjP12ihipStream_tbEUljE_ZNSN_ISO_Lb1ESQ_SR_ST_SU_SY_EESZ_S10_S11_S12_S16_S17_S18_S1B_S1C_jS1D_jS1E_S1E_jjS1G_bEUljE0_EEESZ_S10_S11_S18_S1C_S1E_T6_T7_T9_mT8_S1G_bDpT10_ENKUlT_T0_E_clISt17integral_constantIbLb0EES1T_IbLb1EEEEDaS1P_S1Q_EUlS1P_E_NS1_11comp_targetILNS1_3genE5ELNS1_11target_archE942ELNS1_3gpuE9ELNS1_3repE0EEENS1_30default_config_static_selectorELNS0_4arch9wavefront6targetE1EEEvS12_.num_vgpr, 0
	.set _ZN7rocprim17ROCPRIM_400000_NS6detail17trampoline_kernelINS0_13select_configILj256ELj13ELNS0_17block_load_methodE3ELS4_3ELS4_3ELNS0_20block_scan_algorithmE0ELj4294967295EEENS1_25partition_config_selectorILNS1_17partition_subalgoE4EjNS0_10empty_typeEbEEZZNS1_14partition_implILS8_4ELb0ES6_15HIP_vector_typeIjLj2EENS0_17counting_iteratorIjlEEPS9_SG_NS0_5tupleIJPjSI_NS0_16reverse_iteratorISI_EEEEENSH_IJSG_SG_SG_EEES9_SI_JZNS1_25segmented_radix_sort_implINS0_14default_configELb1EPKhPhPKlPlN2at6native12_GLOBAL__N_18offset_tEEE10hipError_tPvRmT1_PNSt15iterator_traitsIS12_E10value_typeET2_T3_PNS13_IS18_E10value_typeET4_jRbjT5_S1E_jjP12ihipStream_tbEUljE_ZNSN_ISO_Lb1ESQ_SR_ST_SU_SY_EESZ_S10_S11_S12_S16_S17_S18_S1B_S1C_jS1D_jS1E_S1E_jjS1G_bEUljE0_EEESZ_S10_S11_S18_S1C_S1E_T6_T7_T9_mT8_S1G_bDpT10_ENKUlT_T0_E_clISt17integral_constantIbLb0EES1T_IbLb1EEEEDaS1P_S1Q_EUlS1P_E_NS1_11comp_targetILNS1_3genE5ELNS1_11target_archE942ELNS1_3gpuE9ELNS1_3repE0EEENS1_30default_config_static_selectorELNS0_4arch9wavefront6targetE1EEEvS12_.num_agpr, 0
	.set _ZN7rocprim17ROCPRIM_400000_NS6detail17trampoline_kernelINS0_13select_configILj256ELj13ELNS0_17block_load_methodE3ELS4_3ELS4_3ELNS0_20block_scan_algorithmE0ELj4294967295EEENS1_25partition_config_selectorILNS1_17partition_subalgoE4EjNS0_10empty_typeEbEEZZNS1_14partition_implILS8_4ELb0ES6_15HIP_vector_typeIjLj2EENS0_17counting_iteratorIjlEEPS9_SG_NS0_5tupleIJPjSI_NS0_16reverse_iteratorISI_EEEEENSH_IJSG_SG_SG_EEES9_SI_JZNS1_25segmented_radix_sort_implINS0_14default_configELb1EPKhPhPKlPlN2at6native12_GLOBAL__N_18offset_tEEE10hipError_tPvRmT1_PNSt15iterator_traitsIS12_E10value_typeET2_T3_PNS13_IS18_E10value_typeET4_jRbjT5_S1E_jjP12ihipStream_tbEUljE_ZNSN_ISO_Lb1ESQ_SR_ST_SU_SY_EESZ_S10_S11_S12_S16_S17_S18_S1B_S1C_jS1D_jS1E_S1E_jjS1G_bEUljE0_EEESZ_S10_S11_S18_S1C_S1E_T6_T7_T9_mT8_S1G_bDpT10_ENKUlT_T0_E_clISt17integral_constantIbLb0EES1T_IbLb1EEEEDaS1P_S1Q_EUlS1P_E_NS1_11comp_targetILNS1_3genE5ELNS1_11target_archE942ELNS1_3gpuE9ELNS1_3repE0EEENS1_30default_config_static_selectorELNS0_4arch9wavefront6targetE1EEEvS12_.numbered_sgpr, 0
	.set _ZN7rocprim17ROCPRIM_400000_NS6detail17trampoline_kernelINS0_13select_configILj256ELj13ELNS0_17block_load_methodE3ELS4_3ELS4_3ELNS0_20block_scan_algorithmE0ELj4294967295EEENS1_25partition_config_selectorILNS1_17partition_subalgoE4EjNS0_10empty_typeEbEEZZNS1_14partition_implILS8_4ELb0ES6_15HIP_vector_typeIjLj2EENS0_17counting_iteratorIjlEEPS9_SG_NS0_5tupleIJPjSI_NS0_16reverse_iteratorISI_EEEEENSH_IJSG_SG_SG_EEES9_SI_JZNS1_25segmented_radix_sort_implINS0_14default_configELb1EPKhPhPKlPlN2at6native12_GLOBAL__N_18offset_tEEE10hipError_tPvRmT1_PNSt15iterator_traitsIS12_E10value_typeET2_T3_PNS13_IS18_E10value_typeET4_jRbjT5_S1E_jjP12ihipStream_tbEUljE_ZNSN_ISO_Lb1ESQ_SR_ST_SU_SY_EESZ_S10_S11_S12_S16_S17_S18_S1B_S1C_jS1D_jS1E_S1E_jjS1G_bEUljE0_EEESZ_S10_S11_S18_S1C_S1E_T6_T7_T9_mT8_S1G_bDpT10_ENKUlT_T0_E_clISt17integral_constantIbLb0EES1T_IbLb1EEEEDaS1P_S1Q_EUlS1P_E_NS1_11comp_targetILNS1_3genE5ELNS1_11target_archE942ELNS1_3gpuE9ELNS1_3repE0EEENS1_30default_config_static_selectorELNS0_4arch9wavefront6targetE1EEEvS12_.num_named_barrier, 0
	.set _ZN7rocprim17ROCPRIM_400000_NS6detail17trampoline_kernelINS0_13select_configILj256ELj13ELNS0_17block_load_methodE3ELS4_3ELS4_3ELNS0_20block_scan_algorithmE0ELj4294967295EEENS1_25partition_config_selectorILNS1_17partition_subalgoE4EjNS0_10empty_typeEbEEZZNS1_14partition_implILS8_4ELb0ES6_15HIP_vector_typeIjLj2EENS0_17counting_iteratorIjlEEPS9_SG_NS0_5tupleIJPjSI_NS0_16reverse_iteratorISI_EEEEENSH_IJSG_SG_SG_EEES9_SI_JZNS1_25segmented_radix_sort_implINS0_14default_configELb1EPKhPhPKlPlN2at6native12_GLOBAL__N_18offset_tEEE10hipError_tPvRmT1_PNSt15iterator_traitsIS12_E10value_typeET2_T3_PNS13_IS18_E10value_typeET4_jRbjT5_S1E_jjP12ihipStream_tbEUljE_ZNSN_ISO_Lb1ESQ_SR_ST_SU_SY_EESZ_S10_S11_S12_S16_S17_S18_S1B_S1C_jS1D_jS1E_S1E_jjS1G_bEUljE0_EEESZ_S10_S11_S18_S1C_S1E_T6_T7_T9_mT8_S1G_bDpT10_ENKUlT_T0_E_clISt17integral_constantIbLb0EES1T_IbLb1EEEEDaS1P_S1Q_EUlS1P_E_NS1_11comp_targetILNS1_3genE5ELNS1_11target_archE942ELNS1_3gpuE9ELNS1_3repE0EEENS1_30default_config_static_selectorELNS0_4arch9wavefront6targetE1EEEvS12_.private_seg_size, 0
	.set _ZN7rocprim17ROCPRIM_400000_NS6detail17trampoline_kernelINS0_13select_configILj256ELj13ELNS0_17block_load_methodE3ELS4_3ELS4_3ELNS0_20block_scan_algorithmE0ELj4294967295EEENS1_25partition_config_selectorILNS1_17partition_subalgoE4EjNS0_10empty_typeEbEEZZNS1_14partition_implILS8_4ELb0ES6_15HIP_vector_typeIjLj2EENS0_17counting_iteratorIjlEEPS9_SG_NS0_5tupleIJPjSI_NS0_16reverse_iteratorISI_EEEEENSH_IJSG_SG_SG_EEES9_SI_JZNS1_25segmented_radix_sort_implINS0_14default_configELb1EPKhPhPKlPlN2at6native12_GLOBAL__N_18offset_tEEE10hipError_tPvRmT1_PNSt15iterator_traitsIS12_E10value_typeET2_T3_PNS13_IS18_E10value_typeET4_jRbjT5_S1E_jjP12ihipStream_tbEUljE_ZNSN_ISO_Lb1ESQ_SR_ST_SU_SY_EESZ_S10_S11_S12_S16_S17_S18_S1B_S1C_jS1D_jS1E_S1E_jjS1G_bEUljE0_EEESZ_S10_S11_S18_S1C_S1E_T6_T7_T9_mT8_S1G_bDpT10_ENKUlT_T0_E_clISt17integral_constantIbLb0EES1T_IbLb1EEEEDaS1P_S1Q_EUlS1P_E_NS1_11comp_targetILNS1_3genE5ELNS1_11target_archE942ELNS1_3gpuE9ELNS1_3repE0EEENS1_30default_config_static_selectorELNS0_4arch9wavefront6targetE1EEEvS12_.uses_vcc, 0
	.set _ZN7rocprim17ROCPRIM_400000_NS6detail17trampoline_kernelINS0_13select_configILj256ELj13ELNS0_17block_load_methodE3ELS4_3ELS4_3ELNS0_20block_scan_algorithmE0ELj4294967295EEENS1_25partition_config_selectorILNS1_17partition_subalgoE4EjNS0_10empty_typeEbEEZZNS1_14partition_implILS8_4ELb0ES6_15HIP_vector_typeIjLj2EENS0_17counting_iteratorIjlEEPS9_SG_NS0_5tupleIJPjSI_NS0_16reverse_iteratorISI_EEEEENSH_IJSG_SG_SG_EEES9_SI_JZNS1_25segmented_radix_sort_implINS0_14default_configELb1EPKhPhPKlPlN2at6native12_GLOBAL__N_18offset_tEEE10hipError_tPvRmT1_PNSt15iterator_traitsIS12_E10value_typeET2_T3_PNS13_IS18_E10value_typeET4_jRbjT5_S1E_jjP12ihipStream_tbEUljE_ZNSN_ISO_Lb1ESQ_SR_ST_SU_SY_EESZ_S10_S11_S12_S16_S17_S18_S1B_S1C_jS1D_jS1E_S1E_jjS1G_bEUljE0_EEESZ_S10_S11_S18_S1C_S1E_T6_T7_T9_mT8_S1G_bDpT10_ENKUlT_T0_E_clISt17integral_constantIbLb0EES1T_IbLb1EEEEDaS1P_S1Q_EUlS1P_E_NS1_11comp_targetILNS1_3genE5ELNS1_11target_archE942ELNS1_3gpuE9ELNS1_3repE0EEENS1_30default_config_static_selectorELNS0_4arch9wavefront6targetE1EEEvS12_.uses_flat_scratch, 0
	.set _ZN7rocprim17ROCPRIM_400000_NS6detail17trampoline_kernelINS0_13select_configILj256ELj13ELNS0_17block_load_methodE3ELS4_3ELS4_3ELNS0_20block_scan_algorithmE0ELj4294967295EEENS1_25partition_config_selectorILNS1_17partition_subalgoE4EjNS0_10empty_typeEbEEZZNS1_14partition_implILS8_4ELb0ES6_15HIP_vector_typeIjLj2EENS0_17counting_iteratorIjlEEPS9_SG_NS0_5tupleIJPjSI_NS0_16reverse_iteratorISI_EEEEENSH_IJSG_SG_SG_EEES9_SI_JZNS1_25segmented_radix_sort_implINS0_14default_configELb1EPKhPhPKlPlN2at6native12_GLOBAL__N_18offset_tEEE10hipError_tPvRmT1_PNSt15iterator_traitsIS12_E10value_typeET2_T3_PNS13_IS18_E10value_typeET4_jRbjT5_S1E_jjP12ihipStream_tbEUljE_ZNSN_ISO_Lb1ESQ_SR_ST_SU_SY_EESZ_S10_S11_S12_S16_S17_S18_S1B_S1C_jS1D_jS1E_S1E_jjS1G_bEUljE0_EEESZ_S10_S11_S18_S1C_S1E_T6_T7_T9_mT8_S1G_bDpT10_ENKUlT_T0_E_clISt17integral_constantIbLb0EES1T_IbLb1EEEEDaS1P_S1Q_EUlS1P_E_NS1_11comp_targetILNS1_3genE5ELNS1_11target_archE942ELNS1_3gpuE9ELNS1_3repE0EEENS1_30default_config_static_selectorELNS0_4arch9wavefront6targetE1EEEvS12_.has_dyn_sized_stack, 0
	.set _ZN7rocprim17ROCPRIM_400000_NS6detail17trampoline_kernelINS0_13select_configILj256ELj13ELNS0_17block_load_methodE3ELS4_3ELS4_3ELNS0_20block_scan_algorithmE0ELj4294967295EEENS1_25partition_config_selectorILNS1_17partition_subalgoE4EjNS0_10empty_typeEbEEZZNS1_14partition_implILS8_4ELb0ES6_15HIP_vector_typeIjLj2EENS0_17counting_iteratorIjlEEPS9_SG_NS0_5tupleIJPjSI_NS0_16reverse_iteratorISI_EEEEENSH_IJSG_SG_SG_EEES9_SI_JZNS1_25segmented_radix_sort_implINS0_14default_configELb1EPKhPhPKlPlN2at6native12_GLOBAL__N_18offset_tEEE10hipError_tPvRmT1_PNSt15iterator_traitsIS12_E10value_typeET2_T3_PNS13_IS18_E10value_typeET4_jRbjT5_S1E_jjP12ihipStream_tbEUljE_ZNSN_ISO_Lb1ESQ_SR_ST_SU_SY_EESZ_S10_S11_S12_S16_S17_S18_S1B_S1C_jS1D_jS1E_S1E_jjS1G_bEUljE0_EEESZ_S10_S11_S18_S1C_S1E_T6_T7_T9_mT8_S1G_bDpT10_ENKUlT_T0_E_clISt17integral_constantIbLb0EES1T_IbLb1EEEEDaS1P_S1Q_EUlS1P_E_NS1_11comp_targetILNS1_3genE5ELNS1_11target_archE942ELNS1_3gpuE9ELNS1_3repE0EEENS1_30default_config_static_selectorELNS0_4arch9wavefront6targetE1EEEvS12_.has_recursion, 0
	.set _ZN7rocprim17ROCPRIM_400000_NS6detail17trampoline_kernelINS0_13select_configILj256ELj13ELNS0_17block_load_methodE3ELS4_3ELS4_3ELNS0_20block_scan_algorithmE0ELj4294967295EEENS1_25partition_config_selectorILNS1_17partition_subalgoE4EjNS0_10empty_typeEbEEZZNS1_14partition_implILS8_4ELb0ES6_15HIP_vector_typeIjLj2EENS0_17counting_iteratorIjlEEPS9_SG_NS0_5tupleIJPjSI_NS0_16reverse_iteratorISI_EEEEENSH_IJSG_SG_SG_EEES9_SI_JZNS1_25segmented_radix_sort_implINS0_14default_configELb1EPKhPhPKlPlN2at6native12_GLOBAL__N_18offset_tEEE10hipError_tPvRmT1_PNSt15iterator_traitsIS12_E10value_typeET2_T3_PNS13_IS18_E10value_typeET4_jRbjT5_S1E_jjP12ihipStream_tbEUljE_ZNSN_ISO_Lb1ESQ_SR_ST_SU_SY_EESZ_S10_S11_S12_S16_S17_S18_S1B_S1C_jS1D_jS1E_S1E_jjS1G_bEUljE0_EEESZ_S10_S11_S18_S1C_S1E_T6_T7_T9_mT8_S1G_bDpT10_ENKUlT_T0_E_clISt17integral_constantIbLb0EES1T_IbLb1EEEEDaS1P_S1Q_EUlS1P_E_NS1_11comp_targetILNS1_3genE5ELNS1_11target_archE942ELNS1_3gpuE9ELNS1_3repE0EEENS1_30default_config_static_selectorELNS0_4arch9wavefront6targetE1EEEvS12_.has_indirect_call, 0
	.section	.AMDGPU.csdata,"",@progbits
; Kernel info:
; codeLenInByte = 0
; TotalNumSgprs: 4
; NumVgprs: 0
; ScratchSize: 0
; MemoryBound: 0
; FloatMode: 240
; IeeeMode: 1
; LDSByteSize: 0 bytes/workgroup (compile time only)
; SGPRBlocks: 0
; VGPRBlocks: 0
; NumSGPRsForWavesPerEU: 4
; NumVGPRsForWavesPerEU: 1
; Occupancy: 10
; WaveLimiterHint : 0
; COMPUTE_PGM_RSRC2:SCRATCH_EN: 0
; COMPUTE_PGM_RSRC2:USER_SGPR: 6
; COMPUTE_PGM_RSRC2:TRAP_HANDLER: 0
; COMPUTE_PGM_RSRC2:TGID_X_EN: 1
; COMPUTE_PGM_RSRC2:TGID_Y_EN: 0
; COMPUTE_PGM_RSRC2:TGID_Z_EN: 0
; COMPUTE_PGM_RSRC2:TIDIG_COMP_CNT: 0
	.section	.text._ZN7rocprim17ROCPRIM_400000_NS6detail17trampoline_kernelINS0_13select_configILj256ELj13ELNS0_17block_load_methodE3ELS4_3ELS4_3ELNS0_20block_scan_algorithmE0ELj4294967295EEENS1_25partition_config_selectorILNS1_17partition_subalgoE4EjNS0_10empty_typeEbEEZZNS1_14partition_implILS8_4ELb0ES6_15HIP_vector_typeIjLj2EENS0_17counting_iteratorIjlEEPS9_SG_NS0_5tupleIJPjSI_NS0_16reverse_iteratorISI_EEEEENSH_IJSG_SG_SG_EEES9_SI_JZNS1_25segmented_radix_sort_implINS0_14default_configELb1EPKhPhPKlPlN2at6native12_GLOBAL__N_18offset_tEEE10hipError_tPvRmT1_PNSt15iterator_traitsIS12_E10value_typeET2_T3_PNS13_IS18_E10value_typeET4_jRbjT5_S1E_jjP12ihipStream_tbEUljE_ZNSN_ISO_Lb1ESQ_SR_ST_SU_SY_EESZ_S10_S11_S12_S16_S17_S18_S1B_S1C_jS1D_jS1E_S1E_jjS1G_bEUljE0_EEESZ_S10_S11_S18_S1C_S1E_T6_T7_T9_mT8_S1G_bDpT10_ENKUlT_T0_E_clISt17integral_constantIbLb0EES1T_IbLb1EEEEDaS1P_S1Q_EUlS1P_E_NS1_11comp_targetILNS1_3genE4ELNS1_11target_archE910ELNS1_3gpuE8ELNS1_3repE0EEENS1_30default_config_static_selectorELNS0_4arch9wavefront6targetE1EEEvS12_,"axG",@progbits,_ZN7rocprim17ROCPRIM_400000_NS6detail17trampoline_kernelINS0_13select_configILj256ELj13ELNS0_17block_load_methodE3ELS4_3ELS4_3ELNS0_20block_scan_algorithmE0ELj4294967295EEENS1_25partition_config_selectorILNS1_17partition_subalgoE4EjNS0_10empty_typeEbEEZZNS1_14partition_implILS8_4ELb0ES6_15HIP_vector_typeIjLj2EENS0_17counting_iteratorIjlEEPS9_SG_NS0_5tupleIJPjSI_NS0_16reverse_iteratorISI_EEEEENSH_IJSG_SG_SG_EEES9_SI_JZNS1_25segmented_radix_sort_implINS0_14default_configELb1EPKhPhPKlPlN2at6native12_GLOBAL__N_18offset_tEEE10hipError_tPvRmT1_PNSt15iterator_traitsIS12_E10value_typeET2_T3_PNS13_IS18_E10value_typeET4_jRbjT5_S1E_jjP12ihipStream_tbEUljE_ZNSN_ISO_Lb1ESQ_SR_ST_SU_SY_EESZ_S10_S11_S12_S16_S17_S18_S1B_S1C_jS1D_jS1E_S1E_jjS1G_bEUljE0_EEESZ_S10_S11_S18_S1C_S1E_T6_T7_T9_mT8_S1G_bDpT10_ENKUlT_T0_E_clISt17integral_constantIbLb0EES1T_IbLb1EEEEDaS1P_S1Q_EUlS1P_E_NS1_11comp_targetILNS1_3genE4ELNS1_11target_archE910ELNS1_3gpuE8ELNS1_3repE0EEENS1_30default_config_static_selectorELNS0_4arch9wavefront6targetE1EEEvS12_,comdat
	.globl	_ZN7rocprim17ROCPRIM_400000_NS6detail17trampoline_kernelINS0_13select_configILj256ELj13ELNS0_17block_load_methodE3ELS4_3ELS4_3ELNS0_20block_scan_algorithmE0ELj4294967295EEENS1_25partition_config_selectorILNS1_17partition_subalgoE4EjNS0_10empty_typeEbEEZZNS1_14partition_implILS8_4ELb0ES6_15HIP_vector_typeIjLj2EENS0_17counting_iteratorIjlEEPS9_SG_NS0_5tupleIJPjSI_NS0_16reverse_iteratorISI_EEEEENSH_IJSG_SG_SG_EEES9_SI_JZNS1_25segmented_radix_sort_implINS0_14default_configELb1EPKhPhPKlPlN2at6native12_GLOBAL__N_18offset_tEEE10hipError_tPvRmT1_PNSt15iterator_traitsIS12_E10value_typeET2_T3_PNS13_IS18_E10value_typeET4_jRbjT5_S1E_jjP12ihipStream_tbEUljE_ZNSN_ISO_Lb1ESQ_SR_ST_SU_SY_EESZ_S10_S11_S12_S16_S17_S18_S1B_S1C_jS1D_jS1E_S1E_jjS1G_bEUljE0_EEESZ_S10_S11_S18_S1C_S1E_T6_T7_T9_mT8_S1G_bDpT10_ENKUlT_T0_E_clISt17integral_constantIbLb0EES1T_IbLb1EEEEDaS1P_S1Q_EUlS1P_E_NS1_11comp_targetILNS1_3genE4ELNS1_11target_archE910ELNS1_3gpuE8ELNS1_3repE0EEENS1_30default_config_static_selectorELNS0_4arch9wavefront6targetE1EEEvS12_ ; -- Begin function _ZN7rocprim17ROCPRIM_400000_NS6detail17trampoline_kernelINS0_13select_configILj256ELj13ELNS0_17block_load_methodE3ELS4_3ELS4_3ELNS0_20block_scan_algorithmE0ELj4294967295EEENS1_25partition_config_selectorILNS1_17partition_subalgoE4EjNS0_10empty_typeEbEEZZNS1_14partition_implILS8_4ELb0ES6_15HIP_vector_typeIjLj2EENS0_17counting_iteratorIjlEEPS9_SG_NS0_5tupleIJPjSI_NS0_16reverse_iteratorISI_EEEEENSH_IJSG_SG_SG_EEES9_SI_JZNS1_25segmented_radix_sort_implINS0_14default_configELb1EPKhPhPKlPlN2at6native12_GLOBAL__N_18offset_tEEE10hipError_tPvRmT1_PNSt15iterator_traitsIS12_E10value_typeET2_T3_PNS13_IS18_E10value_typeET4_jRbjT5_S1E_jjP12ihipStream_tbEUljE_ZNSN_ISO_Lb1ESQ_SR_ST_SU_SY_EESZ_S10_S11_S12_S16_S17_S18_S1B_S1C_jS1D_jS1E_S1E_jjS1G_bEUljE0_EEESZ_S10_S11_S18_S1C_S1E_T6_T7_T9_mT8_S1G_bDpT10_ENKUlT_T0_E_clISt17integral_constantIbLb0EES1T_IbLb1EEEEDaS1P_S1Q_EUlS1P_E_NS1_11comp_targetILNS1_3genE4ELNS1_11target_archE910ELNS1_3gpuE8ELNS1_3repE0EEENS1_30default_config_static_selectorELNS0_4arch9wavefront6targetE1EEEvS12_
	.p2align	8
	.type	_ZN7rocprim17ROCPRIM_400000_NS6detail17trampoline_kernelINS0_13select_configILj256ELj13ELNS0_17block_load_methodE3ELS4_3ELS4_3ELNS0_20block_scan_algorithmE0ELj4294967295EEENS1_25partition_config_selectorILNS1_17partition_subalgoE4EjNS0_10empty_typeEbEEZZNS1_14partition_implILS8_4ELb0ES6_15HIP_vector_typeIjLj2EENS0_17counting_iteratorIjlEEPS9_SG_NS0_5tupleIJPjSI_NS0_16reverse_iteratorISI_EEEEENSH_IJSG_SG_SG_EEES9_SI_JZNS1_25segmented_radix_sort_implINS0_14default_configELb1EPKhPhPKlPlN2at6native12_GLOBAL__N_18offset_tEEE10hipError_tPvRmT1_PNSt15iterator_traitsIS12_E10value_typeET2_T3_PNS13_IS18_E10value_typeET4_jRbjT5_S1E_jjP12ihipStream_tbEUljE_ZNSN_ISO_Lb1ESQ_SR_ST_SU_SY_EESZ_S10_S11_S12_S16_S17_S18_S1B_S1C_jS1D_jS1E_S1E_jjS1G_bEUljE0_EEESZ_S10_S11_S18_S1C_S1E_T6_T7_T9_mT8_S1G_bDpT10_ENKUlT_T0_E_clISt17integral_constantIbLb0EES1T_IbLb1EEEEDaS1P_S1Q_EUlS1P_E_NS1_11comp_targetILNS1_3genE4ELNS1_11target_archE910ELNS1_3gpuE8ELNS1_3repE0EEENS1_30default_config_static_selectorELNS0_4arch9wavefront6targetE1EEEvS12_,@function
_ZN7rocprim17ROCPRIM_400000_NS6detail17trampoline_kernelINS0_13select_configILj256ELj13ELNS0_17block_load_methodE3ELS4_3ELS4_3ELNS0_20block_scan_algorithmE0ELj4294967295EEENS1_25partition_config_selectorILNS1_17partition_subalgoE4EjNS0_10empty_typeEbEEZZNS1_14partition_implILS8_4ELb0ES6_15HIP_vector_typeIjLj2EENS0_17counting_iteratorIjlEEPS9_SG_NS0_5tupleIJPjSI_NS0_16reverse_iteratorISI_EEEEENSH_IJSG_SG_SG_EEES9_SI_JZNS1_25segmented_radix_sort_implINS0_14default_configELb1EPKhPhPKlPlN2at6native12_GLOBAL__N_18offset_tEEE10hipError_tPvRmT1_PNSt15iterator_traitsIS12_E10value_typeET2_T3_PNS13_IS18_E10value_typeET4_jRbjT5_S1E_jjP12ihipStream_tbEUljE_ZNSN_ISO_Lb1ESQ_SR_ST_SU_SY_EESZ_S10_S11_S12_S16_S17_S18_S1B_S1C_jS1D_jS1E_S1E_jjS1G_bEUljE0_EEESZ_S10_S11_S18_S1C_S1E_T6_T7_T9_mT8_S1G_bDpT10_ENKUlT_T0_E_clISt17integral_constantIbLb0EES1T_IbLb1EEEEDaS1P_S1Q_EUlS1P_E_NS1_11comp_targetILNS1_3genE4ELNS1_11target_archE910ELNS1_3gpuE8ELNS1_3repE0EEENS1_30default_config_static_selectorELNS0_4arch9wavefront6targetE1EEEvS12_: ; @_ZN7rocprim17ROCPRIM_400000_NS6detail17trampoline_kernelINS0_13select_configILj256ELj13ELNS0_17block_load_methodE3ELS4_3ELS4_3ELNS0_20block_scan_algorithmE0ELj4294967295EEENS1_25partition_config_selectorILNS1_17partition_subalgoE4EjNS0_10empty_typeEbEEZZNS1_14partition_implILS8_4ELb0ES6_15HIP_vector_typeIjLj2EENS0_17counting_iteratorIjlEEPS9_SG_NS0_5tupleIJPjSI_NS0_16reverse_iteratorISI_EEEEENSH_IJSG_SG_SG_EEES9_SI_JZNS1_25segmented_radix_sort_implINS0_14default_configELb1EPKhPhPKlPlN2at6native12_GLOBAL__N_18offset_tEEE10hipError_tPvRmT1_PNSt15iterator_traitsIS12_E10value_typeET2_T3_PNS13_IS18_E10value_typeET4_jRbjT5_S1E_jjP12ihipStream_tbEUljE_ZNSN_ISO_Lb1ESQ_SR_ST_SU_SY_EESZ_S10_S11_S12_S16_S17_S18_S1B_S1C_jS1D_jS1E_S1E_jjS1G_bEUljE0_EEESZ_S10_S11_S18_S1C_S1E_T6_T7_T9_mT8_S1G_bDpT10_ENKUlT_T0_E_clISt17integral_constantIbLb0EES1T_IbLb1EEEEDaS1P_S1Q_EUlS1P_E_NS1_11comp_targetILNS1_3genE4ELNS1_11target_archE910ELNS1_3gpuE8ELNS1_3repE0EEENS1_30default_config_static_selectorELNS0_4arch9wavefront6targetE1EEEvS12_
; %bb.0:
	.section	.rodata,"a",@progbits
	.p2align	6, 0x0
	.amdhsa_kernel _ZN7rocprim17ROCPRIM_400000_NS6detail17trampoline_kernelINS0_13select_configILj256ELj13ELNS0_17block_load_methodE3ELS4_3ELS4_3ELNS0_20block_scan_algorithmE0ELj4294967295EEENS1_25partition_config_selectorILNS1_17partition_subalgoE4EjNS0_10empty_typeEbEEZZNS1_14partition_implILS8_4ELb0ES6_15HIP_vector_typeIjLj2EENS0_17counting_iteratorIjlEEPS9_SG_NS0_5tupleIJPjSI_NS0_16reverse_iteratorISI_EEEEENSH_IJSG_SG_SG_EEES9_SI_JZNS1_25segmented_radix_sort_implINS0_14default_configELb1EPKhPhPKlPlN2at6native12_GLOBAL__N_18offset_tEEE10hipError_tPvRmT1_PNSt15iterator_traitsIS12_E10value_typeET2_T3_PNS13_IS18_E10value_typeET4_jRbjT5_S1E_jjP12ihipStream_tbEUljE_ZNSN_ISO_Lb1ESQ_SR_ST_SU_SY_EESZ_S10_S11_S12_S16_S17_S18_S1B_S1C_jS1D_jS1E_S1E_jjS1G_bEUljE0_EEESZ_S10_S11_S18_S1C_S1E_T6_T7_T9_mT8_S1G_bDpT10_ENKUlT_T0_E_clISt17integral_constantIbLb0EES1T_IbLb1EEEEDaS1P_S1Q_EUlS1P_E_NS1_11comp_targetILNS1_3genE4ELNS1_11target_archE910ELNS1_3gpuE8ELNS1_3repE0EEENS1_30default_config_static_selectorELNS0_4arch9wavefront6targetE1EEEvS12_
		.amdhsa_group_segment_fixed_size 0
		.amdhsa_private_segment_fixed_size 0
		.amdhsa_kernarg_size 184
		.amdhsa_user_sgpr_count 6
		.amdhsa_user_sgpr_private_segment_buffer 1
		.amdhsa_user_sgpr_dispatch_ptr 0
		.amdhsa_user_sgpr_queue_ptr 0
		.amdhsa_user_sgpr_kernarg_segment_ptr 1
		.amdhsa_user_sgpr_dispatch_id 0
		.amdhsa_user_sgpr_flat_scratch_init 0
		.amdhsa_user_sgpr_private_segment_size 0
		.amdhsa_uses_dynamic_stack 0
		.amdhsa_system_sgpr_private_segment_wavefront_offset 0
		.amdhsa_system_sgpr_workgroup_id_x 1
		.amdhsa_system_sgpr_workgroup_id_y 0
		.amdhsa_system_sgpr_workgroup_id_z 0
		.amdhsa_system_sgpr_workgroup_info 0
		.amdhsa_system_vgpr_workitem_id 0
		.amdhsa_next_free_vgpr 1
		.amdhsa_next_free_sgpr 0
		.amdhsa_reserve_vcc 0
		.amdhsa_reserve_flat_scratch 0
		.amdhsa_float_round_mode_32 0
		.amdhsa_float_round_mode_16_64 0
		.amdhsa_float_denorm_mode_32 3
		.amdhsa_float_denorm_mode_16_64 3
		.amdhsa_dx10_clamp 1
		.amdhsa_ieee_mode 1
		.amdhsa_fp16_overflow 0
		.amdhsa_exception_fp_ieee_invalid_op 0
		.amdhsa_exception_fp_denorm_src 0
		.amdhsa_exception_fp_ieee_div_zero 0
		.amdhsa_exception_fp_ieee_overflow 0
		.amdhsa_exception_fp_ieee_underflow 0
		.amdhsa_exception_fp_ieee_inexact 0
		.amdhsa_exception_int_div_zero 0
	.end_amdhsa_kernel
	.section	.text._ZN7rocprim17ROCPRIM_400000_NS6detail17trampoline_kernelINS0_13select_configILj256ELj13ELNS0_17block_load_methodE3ELS4_3ELS4_3ELNS0_20block_scan_algorithmE0ELj4294967295EEENS1_25partition_config_selectorILNS1_17partition_subalgoE4EjNS0_10empty_typeEbEEZZNS1_14partition_implILS8_4ELb0ES6_15HIP_vector_typeIjLj2EENS0_17counting_iteratorIjlEEPS9_SG_NS0_5tupleIJPjSI_NS0_16reverse_iteratorISI_EEEEENSH_IJSG_SG_SG_EEES9_SI_JZNS1_25segmented_radix_sort_implINS0_14default_configELb1EPKhPhPKlPlN2at6native12_GLOBAL__N_18offset_tEEE10hipError_tPvRmT1_PNSt15iterator_traitsIS12_E10value_typeET2_T3_PNS13_IS18_E10value_typeET4_jRbjT5_S1E_jjP12ihipStream_tbEUljE_ZNSN_ISO_Lb1ESQ_SR_ST_SU_SY_EESZ_S10_S11_S12_S16_S17_S18_S1B_S1C_jS1D_jS1E_S1E_jjS1G_bEUljE0_EEESZ_S10_S11_S18_S1C_S1E_T6_T7_T9_mT8_S1G_bDpT10_ENKUlT_T0_E_clISt17integral_constantIbLb0EES1T_IbLb1EEEEDaS1P_S1Q_EUlS1P_E_NS1_11comp_targetILNS1_3genE4ELNS1_11target_archE910ELNS1_3gpuE8ELNS1_3repE0EEENS1_30default_config_static_selectorELNS0_4arch9wavefront6targetE1EEEvS12_,"axG",@progbits,_ZN7rocprim17ROCPRIM_400000_NS6detail17trampoline_kernelINS0_13select_configILj256ELj13ELNS0_17block_load_methodE3ELS4_3ELS4_3ELNS0_20block_scan_algorithmE0ELj4294967295EEENS1_25partition_config_selectorILNS1_17partition_subalgoE4EjNS0_10empty_typeEbEEZZNS1_14partition_implILS8_4ELb0ES6_15HIP_vector_typeIjLj2EENS0_17counting_iteratorIjlEEPS9_SG_NS0_5tupleIJPjSI_NS0_16reverse_iteratorISI_EEEEENSH_IJSG_SG_SG_EEES9_SI_JZNS1_25segmented_radix_sort_implINS0_14default_configELb1EPKhPhPKlPlN2at6native12_GLOBAL__N_18offset_tEEE10hipError_tPvRmT1_PNSt15iterator_traitsIS12_E10value_typeET2_T3_PNS13_IS18_E10value_typeET4_jRbjT5_S1E_jjP12ihipStream_tbEUljE_ZNSN_ISO_Lb1ESQ_SR_ST_SU_SY_EESZ_S10_S11_S12_S16_S17_S18_S1B_S1C_jS1D_jS1E_S1E_jjS1G_bEUljE0_EEESZ_S10_S11_S18_S1C_S1E_T6_T7_T9_mT8_S1G_bDpT10_ENKUlT_T0_E_clISt17integral_constantIbLb0EES1T_IbLb1EEEEDaS1P_S1Q_EUlS1P_E_NS1_11comp_targetILNS1_3genE4ELNS1_11target_archE910ELNS1_3gpuE8ELNS1_3repE0EEENS1_30default_config_static_selectorELNS0_4arch9wavefront6targetE1EEEvS12_,comdat
.Lfunc_end41:
	.size	_ZN7rocprim17ROCPRIM_400000_NS6detail17trampoline_kernelINS0_13select_configILj256ELj13ELNS0_17block_load_methodE3ELS4_3ELS4_3ELNS0_20block_scan_algorithmE0ELj4294967295EEENS1_25partition_config_selectorILNS1_17partition_subalgoE4EjNS0_10empty_typeEbEEZZNS1_14partition_implILS8_4ELb0ES6_15HIP_vector_typeIjLj2EENS0_17counting_iteratorIjlEEPS9_SG_NS0_5tupleIJPjSI_NS0_16reverse_iteratorISI_EEEEENSH_IJSG_SG_SG_EEES9_SI_JZNS1_25segmented_radix_sort_implINS0_14default_configELb1EPKhPhPKlPlN2at6native12_GLOBAL__N_18offset_tEEE10hipError_tPvRmT1_PNSt15iterator_traitsIS12_E10value_typeET2_T3_PNS13_IS18_E10value_typeET4_jRbjT5_S1E_jjP12ihipStream_tbEUljE_ZNSN_ISO_Lb1ESQ_SR_ST_SU_SY_EESZ_S10_S11_S12_S16_S17_S18_S1B_S1C_jS1D_jS1E_S1E_jjS1G_bEUljE0_EEESZ_S10_S11_S18_S1C_S1E_T6_T7_T9_mT8_S1G_bDpT10_ENKUlT_T0_E_clISt17integral_constantIbLb0EES1T_IbLb1EEEEDaS1P_S1Q_EUlS1P_E_NS1_11comp_targetILNS1_3genE4ELNS1_11target_archE910ELNS1_3gpuE8ELNS1_3repE0EEENS1_30default_config_static_selectorELNS0_4arch9wavefront6targetE1EEEvS12_, .Lfunc_end41-_ZN7rocprim17ROCPRIM_400000_NS6detail17trampoline_kernelINS0_13select_configILj256ELj13ELNS0_17block_load_methodE3ELS4_3ELS4_3ELNS0_20block_scan_algorithmE0ELj4294967295EEENS1_25partition_config_selectorILNS1_17partition_subalgoE4EjNS0_10empty_typeEbEEZZNS1_14partition_implILS8_4ELb0ES6_15HIP_vector_typeIjLj2EENS0_17counting_iteratorIjlEEPS9_SG_NS0_5tupleIJPjSI_NS0_16reverse_iteratorISI_EEEEENSH_IJSG_SG_SG_EEES9_SI_JZNS1_25segmented_radix_sort_implINS0_14default_configELb1EPKhPhPKlPlN2at6native12_GLOBAL__N_18offset_tEEE10hipError_tPvRmT1_PNSt15iterator_traitsIS12_E10value_typeET2_T3_PNS13_IS18_E10value_typeET4_jRbjT5_S1E_jjP12ihipStream_tbEUljE_ZNSN_ISO_Lb1ESQ_SR_ST_SU_SY_EESZ_S10_S11_S12_S16_S17_S18_S1B_S1C_jS1D_jS1E_S1E_jjS1G_bEUljE0_EEESZ_S10_S11_S18_S1C_S1E_T6_T7_T9_mT8_S1G_bDpT10_ENKUlT_T0_E_clISt17integral_constantIbLb0EES1T_IbLb1EEEEDaS1P_S1Q_EUlS1P_E_NS1_11comp_targetILNS1_3genE4ELNS1_11target_archE910ELNS1_3gpuE8ELNS1_3repE0EEENS1_30default_config_static_selectorELNS0_4arch9wavefront6targetE1EEEvS12_
                                        ; -- End function
	.set _ZN7rocprim17ROCPRIM_400000_NS6detail17trampoline_kernelINS0_13select_configILj256ELj13ELNS0_17block_load_methodE3ELS4_3ELS4_3ELNS0_20block_scan_algorithmE0ELj4294967295EEENS1_25partition_config_selectorILNS1_17partition_subalgoE4EjNS0_10empty_typeEbEEZZNS1_14partition_implILS8_4ELb0ES6_15HIP_vector_typeIjLj2EENS0_17counting_iteratorIjlEEPS9_SG_NS0_5tupleIJPjSI_NS0_16reverse_iteratorISI_EEEEENSH_IJSG_SG_SG_EEES9_SI_JZNS1_25segmented_radix_sort_implINS0_14default_configELb1EPKhPhPKlPlN2at6native12_GLOBAL__N_18offset_tEEE10hipError_tPvRmT1_PNSt15iterator_traitsIS12_E10value_typeET2_T3_PNS13_IS18_E10value_typeET4_jRbjT5_S1E_jjP12ihipStream_tbEUljE_ZNSN_ISO_Lb1ESQ_SR_ST_SU_SY_EESZ_S10_S11_S12_S16_S17_S18_S1B_S1C_jS1D_jS1E_S1E_jjS1G_bEUljE0_EEESZ_S10_S11_S18_S1C_S1E_T6_T7_T9_mT8_S1G_bDpT10_ENKUlT_T0_E_clISt17integral_constantIbLb0EES1T_IbLb1EEEEDaS1P_S1Q_EUlS1P_E_NS1_11comp_targetILNS1_3genE4ELNS1_11target_archE910ELNS1_3gpuE8ELNS1_3repE0EEENS1_30default_config_static_selectorELNS0_4arch9wavefront6targetE1EEEvS12_.num_vgpr, 0
	.set _ZN7rocprim17ROCPRIM_400000_NS6detail17trampoline_kernelINS0_13select_configILj256ELj13ELNS0_17block_load_methodE3ELS4_3ELS4_3ELNS0_20block_scan_algorithmE0ELj4294967295EEENS1_25partition_config_selectorILNS1_17partition_subalgoE4EjNS0_10empty_typeEbEEZZNS1_14partition_implILS8_4ELb0ES6_15HIP_vector_typeIjLj2EENS0_17counting_iteratorIjlEEPS9_SG_NS0_5tupleIJPjSI_NS0_16reverse_iteratorISI_EEEEENSH_IJSG_SG_SG_EEES9_SI_JZNS1_25segmented_radix_sort_implINS0_14default_configELb1EPKhPhPKlPlN2at6native12_GLOBAL__N_18offset_tEEE10hipError_tPvRmT1_PNSt15iterator_traitsIS12_E10value_typeET2_T3_PNS13_IS18_E10value_typeET4_jRbjT5_S1E_jjP12ihipStream_tbEUljE_ZNSN_ISO_Lb1ESQ_SR_ST_SU_SY_EESZ_S10_S11_S12_S16_S17_S18_S1B_S1C_jS1D_jS1E_S1E_jjS1G_bEUljE0_EEESZ_S10_S11_S18_S1C_S1E_T6_T7_T9_mT8_S1G_bDpT10_ENKUlT_T0_E_clISt17integral_constantIbLb0EES1T_IbLb1EEEEDaS1P_S1Q_EUlS1P_E_NS1_11comp_targetILNS1_3genE4ELNS1_11target_archE910ELNS1_3gpuE8ELNS1_3repE0EEENS1_30default_config_static_selectorELNS0_4arch9wavefront6targetE1EEEvS12_.num_agpr, 0
	.set _ZN7rocprim17ROCPRIM_400000_NS6detail17trampoline_kernelINS0_13select_configILj256ELj13ELNS0_17block_load_methodE3ELS4_3ELS4_3ELNS0_20block_scan_algorithmE0ELj4294967295EEENS1_25partition_config_selectorILNS1_17partition_subalgoE4EjNS0_10empty_typeEbEEZZNS1_14partition_implILS8_4ELb0ES6_15HIP_vector_typeIjLj2EENS0_17counting_iteratorIjlEEPS9_SG_NS0_5tupleIJPjSI_NS0_16reverse_iteratorISI_EEEEENSH_IJSG_SG_SG_EEES9_SI_JZNS1_25segmented_radix_sort_implINS0_14default_configELb1EPKhPhPKlPlN2at6native12_GLOBAL__N_18offset_tEEE10hipError_tPvRmT1_PNSt15iterator_traitsIS12_E10value_typeET2_T3_PNS13_IS18_E10value_typeET4_jRbjT5_S1E_jjP12ihipStream_tbEUljE_ZNSN_ISO_Lb1ESQ_SR_ST_SU_SY_EESZ_S10_S11_S12_S16_S17_S18_S1B_S1C_jS1D_jS1E_S1E_jjS1G_bEUljE0_EEESZ_S10_S11_S18_S1C_S1E_T6_T7_T9_mT8_S1G_bDpT10_ENKUlT_T0_E_clISt17integral_constantIbLb0EES1T_IbLb1EEEEDaS1P_S1Q_EUlS1P_E_NS1_11comp_targetILNS1_3genE4ELNS1_11target_archE910ELNS1_3gpuE8ELNS1_3repE0EEENS1_30default_config_static_selectorELNS0_4arch9wavefront6targetE1EEEvS12_.numbered_sgpr, 0
	.set _ZN7rocprim17ROCPRIM_400000_NS6detail17trampoline_kernelINS0_13select_configILj256ELj13ELNS0_17block_load_methodE3ELS4_3ELS4_3ELNS0_20block_scan_algorithmE0ELj4294967295EEENS1_25partition_config_selectorILNS1_17partition_subalgoE4EjNS0_10empty_typeEbEEZZNS1_14partition_implILS8_4ELb0ES6_15HIP_vector_typeIjLj2EENS0_17counting_iteratorIjlEEPS9_SG_NS0_5tupleIJPjSI_NS0_16reverse_iteratorISI_EEEEENSH_IJSG_SG_SG_EEES9_SI_JZNS1_25segmented_radix_sort_implINS0_14default_configELb1EPKhPhPKlPlN2at6native12_GLOBAL__N_18offset_tEEE10hipError_tPvRmT1_PNSt15iterator_traitsIS12_E10value_typeET2_T3_PNS13_IS18_E10value_typeET4_jRbjT5_S1E_jjP12ihipStream_tbEUljE_ZNSN_ISO_Lb1ESQ_SR_ST_SU_SY_EESZ_S10_S11_S12_S16_S17_S18_S1B_S1C_jS1D_jS1E_S1E_jjS1G_bEUljE0_EEESZ_S10_S11_S18_S1C_S1E_T6_T7_T9_mT8_S1G_bDpT10_ENKUlT_T0_E_clISt17integral_constantIbLb0EES1T_IbLb1EEEEDaS1P_S1Q_EUlS1P_E_NS1_11comp_targetILNS1_3genE4ELNS1_11target_archE910ELNS1_3gpuE8ELNS1_3repE0EEENS1_30default_config_static_selectorELNS0_4arch9wavefront6targetE1EEEvS12_.num_named_barrier, 0
	.set _ZN7rocprim17ROCPRIM_400000_NS6detail17trampoline_kernelINS0_13select_configILj256ELj13ELNS0_17block_load_methodE3ELS4_3ELS4_3ELNS0_20block_scan_algorithmE0ELj4294967295EEENS1_25partition_config_selectorILNS1_17partition_subalgoE4EjNS0_10empty_typeEbEEZZNS1_14partition_implILS8_4ELb0ES6_15HIP_vector_typeIjLj2EENS0_17counting_iteratorIjlEEPS9_SG_NS0_5tupleIJPjSI_NS0_16reverse_iteratorISI_EEEEENSH_IJSG_SG_SG_EEES9_SI_JZNS1_25segmented_radix_sort_implINS0_14default_configELb1EPKhPhPKlPlN2at6native12_GLOBAL__N_18offset_tEEE10hipError_tPvRmT1_PNSt15iterator_traitsIS12_E10value_typeET2_T3_PNS13_IS18_E10value_typeET4_jRbjT5_S1E_jjP12ihipStream_tbEUljE_ZNSN_ISO_Lb1ESQ_SR_ST_SU_SY_EESZ_S10_S11_S12_S16_S17_S18_S1B_S1C_jS1D_jS1E_S1E_jjS1G_bEUljE0_EEESZ_S10_S11_S18_S1C_S1E_T6_T7_T9_mT8_S1G_bDpT10_ENKUlT_T0_E_clISt17integral_constantIbLb0EES1T_IbLb1EEEEDaS1P_S1Q_EUlS1P_E_NS1_11comp_targetILNS1_3genE4ELNS1_11target_archE910ELNS1_3gpuE8ELNS1_3repE0EEENS1_30default_config_static_selectorELNS0_4arch9wavefront6targetE1EEEvS12_.private_seg_size, 0
	.set _ZN7rocprim17ROCPRIM_400000_NS6detail17trampoline_kernelINS0_13select_configILj256ELj13ELNS0_17block_load_methodE3ELS4_3ELS4_3ELNS0_20block_scan_algorithmE0ELj4294967295EEENS1_25partition_config_selectorILNS1_17partition_subalgoE4EjNS0_10empty_typeEbEEZZNS1_14partition_implILS8_4ELb0ES6_15HIP_vector_typeIjLj2EENS0_17counting_iteratorIjlEEPS9_SG_NS0_5tupleIJPjSI_NS0_16reverse_iteratorISI_EEEEENSH_IJSG_SG_SG_EEES9_SI_JZNS1_25segmented_radix_sort_implINS0_14default_configELb1EPKhPhPKlPlN2at6native12_GLOBAL__N_18offset_tEEE10hipError_tPvRmT1_PNSt15iterator_traitsIS12_E10value_typeET2_T3_PNS13_IS18_E10value_typeET4_jRbjT5_S1E_jjP12ihipStream_tbEUljE_ZNSN_ISO_Lb1ESQ_SR_ST_SU_SY_EESZ_S10_S11_S12_S16_S17_S18_S1B_S1C_jS1D_jS1E_S1E_jjS1G_bEUljE0_EEESZ_S10_S11_S18_S1C_S1E_T6_T7_T9_mT8_S1G_bDpT10_ENKUlT_T0_E_clISt17integral_constantIbLb0EES1T_IbLb1EEEEDaS1P_S1Q_EUlS1P_E_NS1_11comp_targetILNS1_3genE4ELNS1_11target_archE910ELNS1_3gpuE8ELNS1_3repE0EEENS1_30default_config_static_selectorELNS0_4arch9wavefront6targetE1EEEvS12_.uses_vcc, 0
	.set _ZN7rocprim17ROCPRIM_400000_NS6detail17trampoline_kernelINS0_13select_configILj256ELj13ELNS0_17block_load_methodE3ELS4_3ELS4_3ELNS0_20block_scan_algorithmE0ELj4294967295EEENS1_25partition_config_selectorILNS1_17partition_subalgoE4EjNS0_10empty_typeEbEEZZNS1_14partition_implILS8_4ELb0ES6_15HIP_vector_typeIjLj2EENS0_17counting_iteratorIjlEEPS9_SG_NS0_5tupleIJPjSI_NS0_16reverse_iteratorISI_EEEEENSH_IJSG_SG_SG_EEES9_SI_JZNS1_25segmented_radix_sort_implINS0_14default_configELb1EPKhPhPKlPlN2at6native12_GLOBAL__N_18offset_tEEE10hipError_tPvRmT1_PNSt15iterator_traitsIS12_E10value_typeET2_T3_PNS13_IS18_E10value_typeET4_jRbjT5_S1E_jjP12ihipStream_tbEUljE_ZNSN_ISO_Lb1ESQ_SR_ST_SU_SY_EESZ_S10_S11_S12_S16_S17_S18_S1B_S1C_jS1D_jS1E_S1E_jjS1G_bEUljE0_EEESZ_S10_S11_S18_S1C_S1E_T6_T7_T9_mT8_S1G_bDpT10_ENKUlT_T0_E_clISt17integral_constantIbLb0EES1T_IbLb1EEEEDaS1P_S1Q_EUlS1P_E_NS1_11comp_targetILNS1_3genE4ELNS1_11target_archE910ELNS1_3gpuE8ELNS1_3repE0EEENS1_30default_config_static_selectorELNS0_4arch9wavefront6targetE1EEEvS12_.uses_flat_scratch, 0
	.set _ZN7rocprim17ROCPRIM_400000_NS6detail17trampoline_kernelINS0_13select_configILj256ELj13ELNS0_17block_load_methodE3ELS4_3ELS4_3ELNS0_20block_scan_algorithmE0ELj4294967295EEENS1_25partition_config_selectorILNS1_17partition_subalgoE4EjNS0_10empty_typeEbEEZZNS1_14partition_implILS8_4ELb0ES6_15HIP_vector_typeIjLj2EENS0_17counting_iteratorIjlEEPS9_SG_NS0_5tupleIJPjSI_NS0_16reverse_iteratorISI_EEEEENSH_IJSG_SG_SG_EEES9_SI_JZNS1_25segmented_radix_sort_implINS0_14default_configELb1EPKhPhPKlPlN2at6native12_GLOBAL__N_18offset_tEEE10hipError_tPvRmT1_PNSt15iterator_traitsIS12_E10value_typeET2_T3_PNS13_IS18_E10value_typeET4_jRbjT5_S1E_jjP12ihipStream_tbEUljE_ZNSN_ISO_Lb1ESQ_SR_ST_SU_SY_EESZ_S10_S11_S12_S16_S17_S18_S1B_S1C_jS1D_jS1E_S1E_jjS1G_bEUljE0_EEESZ_S10_S11_S18_S1C_S1E_T6_T7_T9_mT8_S1G_bDpT10_ENKUlT_T0_E_clISt17integral_constantIbLb0EES1T_IbLb1EEEEDaS1P_S1Q_EUlS1P_E_NS1_11comp_targetILNS1_3genE4ELNS1_11target_archE910ELNS1_3gpuE8ELNS1_3repE0EEENS1_30default_config_static_selectorELNS0_4arch9wavefront6targetE1EEEvS12_.has_dyn_sized_stack, 0
	.set _ZN7rocprim17ROCPRIM_400000_NS6detail17trampoline_kernelINS0_13select_configILj256ELj13ELNS0_17block_load_methodE3ELS4_3ELS4_3ELNS0_20block_scan_algorithmE0ELj4294967295EEENS1_25partition_config_selectorILNS1_17partition_subalgoE4EjNS0_10empty_typeEbEEZZNS1_14partition_implILS8_4ELb0ES6_15HIP_vector_typeIjLj2EENS0_17counting_iteratorIjlEEPS9_SG_NS0_5tupleIJPjSI_NS0_16reverse_iteratorISI_EEEEENSH_IJSG_SG_SG_EEES9_SI_JZNS1_25segmented_radix_sort_implINS0_14default_configELb1EPKhPhPKlPlN2at6native12_GLOBAL__N_18offset_tEEE10hipError_tPvRmT1_PNSt15iterator_traitsIS12_E10value_typeET2_T3_PNS13_IS18_E10value_typeET4_jRbjT5_S1E_jjP12ihipStream_tbEUljE_ZNSN_ISO_Lb1ESQ_SR_ST_SU_SY_EESZ_S10_S11_S12_S16_S17_S18_S1B_S1C_jS1D_jS1E_S1E_jjS1G_bEUljE0_EEESZ_S10_S11_S18_S1C_S1E_T6_T7_T9_mT8_S1G_bDpT10_ENKUlT_T0_E_clISt17integral_constantIbLb0EES1T_IbLb1EEEEDaS1P_S1Q_EUlS1P_E_NS1_11comp_targetILNS1_3genE4ELNS1_11target_archE910ELNS1_3gpuE8ELNS1_3repE0EEENS1_30default_config_static_selectorELNS0_4arch9wavefront6targetE1EEEvS12_.has_recursion, 0
	.set _ZN7rocprim17ROCPRIM_400000_NS6detail17trampoline_kernelINS0_13select_configILj256ELj13ELNS0_17block_load_methodE3ELS4_3ELS4_3ELNS0_20block_scan_algorithmE0ELj4294967295EEENS1_25partition_config_selectorILNS1_17partition_subalgoE4EjNS0_10empty_typeEbEEZZNS1_14partition_implILS8_4ELb0ES6_15HIP_vector_typeIjLj2EENS0_17counting_iteratorIjlEEPS9_SG_NS0_5tupleIJPjSI_NS0_16reverse_iteratorISI_EEEEENSH_IJSG_SG_SG_EEES9_SI_JZNS1_25segmented_radix_sort_implINS0_14default_configELb1EPKhPhPKlPlN2at6native12_GLOBAL__N_18offset_tEEE10hipError_tPvRmT1_PNSt15iterator_traitsIS12_E10value_typeET2_T3_PNS13_IS18_E10value_typeET4_jRbjT5_S1E_jjP12ihipStream_tbEUljE_ZNSN_ISO_Lb1ESQ_SR_ST_SU_SY_EESZ_S10_S11_S12_S16_S17_S18_S1B_S1C_jS1D_jS1E_S1E_jjS1G_bEUljE0_EEESZ_S10_S11_S18_S1C_S1E_T6_T7_T9_mT8_S1G_bDpT10_ENKUlT_T0_E_clISt17integral_constantIbLb0EES1T_IbLb1EEEEDaS1P_S1Q_EUlS1P_E_NS1_11comp_targetILNS1_3genE4ELNS1_11target_archE910ELNS1_3gpuE8ELNS1_3repE0EEENS1_30default_config_static_selectorELNS0_4arch9wavefront6targetE1EEEvS12_.has_indirect_call, 0
	.section	.AMDGPU.csdata,"",@progbits
; Kernel info:
; codeLenInByte = 0
; TotalNumSgprs: 4
; NumVgprs: 0
; ScratchSize: 0
; MemoryBound: 0
; FloatMode: 240
; IeeeMode: 1
; LDSByteSize: 0 bytes/workgroup (compile time only)
; SGPRBlocks: 0
; VGPRBlocks: 0
; NumSGPRsForWavesPerEU: 4
; NumVGPRsForWavesPerEU: 1
; Occupancy: 10
; WaveLimiterHint : 0
; COMPUTE_PGM_RSRC2:SCRATCH_EN: 0
; COMPUTE_PGM_RSRC2:USER_SGPR: 6
; COMPUTE_PGM_RSRC2:TRAP_HANDLER: 0
; COMPUTE_PGM_RSRC2:TGID_X_EN: 1
; COMPUTE_PGM_RSRC2:TGID_Y_EN: 0
; COMPUTE_PGM_RSRC2:TGID_Z_EN: 0
; COMPUTE_PGM_RSRC2:TIDIG_COMP_CNT: 0
	.section	.text._ZN7rocprim17ROCPRIM_400000_NS6detail17trampoline_kernelINS0_13select_configILj256ELj13ELNS0_17block_load_methodE3ELS4_3ELS4_3ELNS0_20block_scan_algorithmE0ELj4294967295EEENS1_25partition_config_selectorILNS1_17partition_subalgoE4EjNS0_10empty_typeEbEEZZNS1_14partition_implILS8_4ELb0ES6_15HIP_vector_typeIjLj2EENS0_17counting_iteratorIjlEEPS9_SG_NS0_5tupleIJPjSI_NS0_16reverse_iteratorISI_EEEEENSH_IJSG_SG_SG_EEES9_SI_JZNS1_25segmented_radix_sort_implINS0_14default_configELb1EPKhPhPKlPlN2at6native12_GLOBAL__N_18offset_tEEE10hipError_tPvRmT1_PNSt15iterator_traitsIS12_E10value_typeET2_T3_PNS13_IS18_E10value_typeET4_jRbjT5_S1E_jjP12ihipStream_tbEUljE_ZNSN_ISO_Lb1ESQ_SR_ST_SU_SY_EESZ_S10_S11_S12_S16_S17_S18_S1B_S1C_jS1D_jS1E_S1E_jjS1G_bEUljE0_EEESZ_S10_S11_S18_S1C_S1E_T6_T7_T9_mT8_S1G_bDpT10_ENKUlT_T0_E_clISt17integral_constantIbLb0EES1T_IbLb1EEEEDaS1P_S1Q_EUlS1P_E_NS1_11comp_targetILNS1_3genE3ELNS1_11target_archE908ELNS1_3gpuE7ELNS1_3repE0EEENS1_30default_config_static_selectorELNS0_4arch9wavefront6targetE1EEEvS12_,"axG",@progbits,_ZN7rocprim17ROCPRIM_400000_NS6detail17trampoline_kernelINS0_13select_configILj256ELj13ELNS0_17block_load_methodE3ELS4_3ELS4_3ELNS0_20block_scan_algorithmE0ELj4294967295EEENS1_25partition_config_selectorILNS1_17partition_subalgoE4EjNS0_10empty_typeEbEEZZNS1_14partition_implILS8_4ELb0ES6_15HIP_vector_typeIjLj2EENS0_17counting_iteratorIjlEEPS9_SG_NS0_5tupleIJPjSI_NS0_16reverse_iteratorISI_EEEEENSH_IJSG_SG_SG_EEES9_SI_JZNS1_25segmented_radix_sort_implINS0_14default_configELb1EPKhPhPKlPlN2at6native12_GLOBAL__N_18offset_tEEE10hipError_tPvRmT1_PNSt15iterator_traitsIS12_E10value_typeET2_T3_PNS13_IS18_E10value_typeET4_jRbjT5_S1E_jjP12ihipStream_tbEUljE_ZNSN_ISO_Lb1ESQ_SR_ST_SU_SY_EESZ_S10_S11_S12_S16_S17_S18_S1B_S1C_jS1D_jS1E_S1E_jjS1G_bEUljE0_EEESZ_S10_S11_S18_S1C_S1E_T6_T7_T9_mT8_S1G_bDpT10_ENKUlT_T0_E_clISt17integral_constantIbLb0EES1T_IbLb1EEEEDaS1P_S1Q_EUlS1P_E_NS1_11comp_targetILNS1_3genE3ELNS1_11target_archE908ELNS1_3gpuE7ELNS1_3repE0EEENS1_30default_config_static_selectorELNS0_4arch9wavefront6targetE1EEEvS12_,comdat
	.globl	_ZN7rocprim17ROCPRIM_400000_NS6detail17trampoline_kernelINS0_13select_configILj256ELj13ELNS0_17block_load_methodE3ELS4_3ELS4_3ELNS0_20block_scan_algorithmE0ELj4294967295EEENS1_25partition_config_selectorILNS1_17partition_subalgoE4EjNS0_10empty_typeEbEEZZNS1_14partition_implILS8_4ELb0ES6_15HIP_vector_typeIjLj2EENS0_17counting_iteratorIjlEEPS9_SG_NS0_5tupleIJPjSI_NS0_16reverse_iteratorISI_EEEEENSH_IJSG_SG_SG_EEES9_SI_JZNS1_25segmented_radix_sort_implINS0_14default_configELb1EPKhPhPKlPlN2at6native12_GLOBAL__N_18offset_tEEE10hipError_tPvRmT1_PNSt15iterator_traitsIS12_E10value_typeET2_T3_PNS13_IS18_E10value_typeET4_jRbjT5_S1E_jjP12ihipStream_tbEUljE_ZNSN_ISO_Lb1ESQ_SR_ST_SU_SY_EESZ_S10_S11_S12_S16_S17_S18_S1B_S1C_jS1D_jS1E_S1E_jjS1G_bEUljE0_EEESZ_S10_S11_S18_S1C_S1E_T6_T7_T9_mT8_S1G_bDpT10_ENKUlT_T0_E_clISt17integral_constantIbLb0EES1T_IbLb1EEEEDaS1P_S1Q_EUlS1P_E_NS1_11comp_targetILNS1_3genE3ELNS1_11target_archE908ELNS1_3gpuE7ELNS1_3repE0EEENS1_30default_config_static_selectorELNS0_4arch9wavefront6targetE1EEEvS12_ ; -- Begin function _ZN7rocprim17ROCPRIM_400000_NS6detail17trampoline_kernelINS0_13select_configILj256ELj13ELNS0_17block_load_methodE3ELS4_3ELS4_3ELNS0_20block_scan_algorithmE0ELj4294967295EEENS1_25partition_config_selectorILNS1_17partition_subalgoE4EjNS0_10empty_typeEbEEZZNS1_14partition_implILS8_4ELb0ES6_15HIP_vector_typeIjLj2EENS0_17counting_iteratorIjlEEPS9_SG_NS0_5tupleIJPjSI_NS0_16reverse_iteratorISI_EEEEENSH_IJSG_SG_SG_EEES9_SI_JZNS1_25segmented_radix_sort_implINS0_14default_configELb1EPKhPhPKlPlN2at6native12_GLOBAL__N_18offset_tEEE10hipError_tPvRmT1_PNSt15iterator_traitsIS12_E10value_typeET2_T3_PNS13_IS18_E10value_typeET4_jRbjT5_S1E_jjP12ihipStream_tbEUljE_ZNSN_ISO_Lb1ESQ_SR_ST_SU_SY_EESZ_S10_S11_S12_S16_S17_S18_S1B_S1C_jS1D_jS1E_S1E_jjS1G_bEUljE0_EEESZ_S10_S11_S18_S1C_S1E_T6_T7_T9_mT8_S1G_bDpT10_ENKUlT_T0_E_clISt17integral_constantIbLb0EES1T_IbLb1EEEEDaS1P_S1Q_EUlS1P_E_NS1_11comp_targetILNS1_3genE3ELNS1_11target_archE908ELNS1_3gpuE7ELNS1_3repE0EEENS1_30default_config_static_selectorELNS0_4arch9wavefront6targetE1EEEvS12_
	.p2align	8
	.type	_ZN7rocprim17ROCPRIM_400000_NS6detail17trampoline_kernelINS0_13select_configILj256ELj13ELNS0_17block_load_methodE3ELS4_3ELS4_3ELNS0_20block_scan_algorithmE0ELj4294967295EEENS1_25partition_config_selectorILNS1_17partition_subalgoE4EjNS0_10empty_typeEbEEZZNS1_14partition_implILS8_4ELb0ES6_15HIP_vector_typeIjLj2EENS0_17counting_iteratorIjlEEPS9_SG_NS0_5tupleIJPjSI_NS0_16reverse_iteratorISI_EEEEENSH_IJSG_SG_SG_EEES9_SI_JZNS1_25segmented_radix_sort_implINS0_14default_configELb1EPKhPhPKlPlN2at6native12_GLOBAL__N_18offset_tEEE10hipError_tPvRmT1_PNSt15iterator_traitsIS12_E10value_typeET2_T3_PNS13_IS18_E10value_typeET4_jRbjT5_S1E_jjP12ihipStream_tbEUljE_ZNSN_ISO_Lb1ESQ_SR_ST_SU_SY_EESZ_S10_S11_S12_S16_S17_S18_S1B_S1C_jS1D_jS1E_S1E_jjS1G_bEUljE0_EEESZ_S10_S11_S18_S1C_S1E_T6_T7_T9_mT8_S1G_bDpT10_ENKUlT_T0_E_clISt17integral_constantIbLb0EES1T_IbLb1EEEEDaS1P_S1Q_EUlS1P_E_NS1_11comp_targetILNS1_3genE3ELNS1_11target_archE908ELNS1_3gpuE7ELNS1_3repE0EEENS1_30default_config_static_selectorELNS0_4arch9wavefront6targetE1EEEvS12_,@function
_ZN7rocprim17ROCPRIM_400000_NS6detail17trampoline_kernelINS0_13select_configILj256ELj13ELNS0_17block_load_methodE3ELS4_3ELS4_3ELNS0_20block_scan_algorithmE0ELj4294967295EEENS1_25partition_config_selectorILNS1_17partition_subalgoE4EjNS0_10empty_typeEbEEZZNS1_14partition_implILS8_4ELb0ES6_15HIP_vector_typeIjLj2EENS0_17counting_iteratorIjlEEPS9_SG_NS0_5tupleIJPjSI_NS0_16reverse_iteratorISI_EEEEENSH_IJSG_SG_SG_EEES9_SI_JZNS1_25segmented_radix_sort_implINS0_14default_configELb1EPKhPhPKlPlN2at6native12_GLOBAL__N_18offset_tEEE10hipError_tPvRmT1_PNSt15iterator_traitsIS12_E10value_typeET2_T3_PNS13_IS18_E10value_typeET4_jRbjT5_S1E_jjP12ihipStream_tbEUljE_ZNSN_ISO_Lb1ESQ_SR_ST_SU_SY_EESZ_S10_S11_S12_S16_S17_S18_S1B_S1C_jS1D_jS1E_S1E_jjS1G_bEUljE0_EEESZ_S10_S11_S18_S1C_S1E_T6_T7_T9_mT8_S1G_bDpT10_ENKUlT_T0_E_clISt17integral_constantIbLb0EES1T_IbLb1EEEEDaS1P_S1Q_EUlS1P_E_NS1_11comp_targetILNS1_3genE3ELNS1_11target_archE908ELNS1_3gpuE7ELNS1_3repE0EEENS1_30default_config_static_selectorELNS0_4arch9wavefront6targetE1EEEvS12_: ; @_ZN7rocprim17ROCPRIM_400000_NS6detail17trampoline_kernelINS0_13select_configILj256ELj13ELNS0_17block_load_methodE3ELS4_3ELS4_3ELNS0_20block_scan_algorithmE0ELj4294967295EEENS1_25partition_config_selectorILNS1_17partition_subalgoE4EjNS0_10empty_typeEbEEZZNS1_14partition_implILS8_4ELb0ES6_15HIP_vector_typeIjLj2EENS0_17counting_iteratorIjlEEPS9_SG_NS0_5tupleIJPjSI_NS0_16reverse_iteratorISI_EEEEENSH_IJSG_SG_SG_EEES9_SI_JZNS1_25segmented_radix_sort_implINS0_14default_configELb1EPKhPhPKlPlN2at6native12_GLOBAL__N_18offset_tEEE10hipError_tPvRmT1_PNSt15iterator_traitsIS12_E10value_typeET2_T3_PNS13_IS18_E10value_typeET4_jRbjT5_S1E_jjP12ihipStream_tbEUljE_ZNSN_ISO_Lb1ESQ_SR_ST_SU_SY_EESZ_S10_S11_S12_S16_S17_S18_S1B_S1C_jS1D_jS1E_S1E_jjS1G_bEUljE0_EEESZ_S10_S11_S18_S1C_S1E_T6_T7_T9_mT8_S1G_bDpT10_ENKUlT_T0_E_clISt17integral_constantIbLb0EES1T_IbLb1EEEEDaS1P_S1Q_EUlS1P_E_NS1_11comp_targetILNS1_3genE3ELNS1_11target_archE908ELNS1_3gpuE7ELNS1_3repE0EEENS1_30default_config_static_selectorELNS0_4arch9wavefront6targetE1EEEvS12_
; %bb.0:
	.section	.rodata,"a",@progbits
	.p2align	6, 0x0
	.amdhsa_kernel _ZN7rocprim17ROCPRIM_400000_NS6detail17trampoline_kernelINS0_13select_configILj256ELj13ELNS0_17block_load_methodE3ELS4_3ELS4_3ELNS0_20block_scan_algorithmE0ELj4294967295EEENS1_25partition_config_selectorILNS1_17partition_subalgoE4EjNS0_10empty_typeEbEEZZNS1_14partition_implILS8_4ELb0ES6_15HIP_vector_typeIjLj2EENS0_17counting_iteratorIjlEEPS9_SG_NS0_5tupleIJPjSI_NS0_16reverse_iteratorISI_EEEEENSH_IJSG_SG_SG_EEES9_SI_JZNS1_25segmented_radix_sort_implINS0_14default_configELb1EPKhPhPKlPlN2at6native12_GLOBAL__N_18offset_tEEE10hipError_tPvRmT1_PNSt15iterator_traitsIS12_E10value_typeET2_T3_PNS13_IS18_E10value_typeET4_jRbjT5_S1E_jjP12ihipStream_tbEUljE_ZNSN_ISO_Lb1ESQ_SR_ST_SU_SY_EESZ_S10_S11_S12_S16_S17_S18_S1B_S1C_jS1D_jS1E_S1E_jjS1G_bEUljE0_EEESZ_S10_S11_S18_S1C_S1E_T6_T7_T9_mT8_S1G_bDpT10_ENKUlT_T0_E_clISt17integral_constantIbLb0EES1T_IbLb1EEEEDaS1P_S1Q_EUlS1P_E_NS1_11comp_targetILNS1_3genE3ELNS1_11target_archE908ELNS1_3gpuE7ELNS1_3repE0EEENS1_30default_config_static_selectorELNS0_4arch9wavefront6targetE1EEEvS12_
		.amdhsa_group_segment_fixed_size 0
		.amdhsa_private_segment_fixed_size 0
		.amdhsa_kernarg_size 184
		.amdhsa_user_sgpr_count 6
		.amdhsa_user_sgpr_private_segment_buffer 1
		.amdhsa_user_sgpr_dispatch_ptr 0
		.amdhsa_user_sgpr_queue_ptr 0
		.amdhsa_user_sgpr_kernarg_segment_ptr 1
		.amdhsa_user_sgpr_dispatch_id 0
		.amdhsa_user_sgpr_flat_scratch_init 0
		.amdhsa_user_sgpr_private_segment_size 0
		.amdhsa_uses_dynamic_stack 0
		.amdhsa_system_sgpr_private_segment_wavefront_offset 0
		.amdhsa_system_sgpr_workgroup_id_x 1
		.amdhsa_system_sgpr_workgroup_id_y 0
		.amdhsa_system_sgpr_workgroup_id_z 0
		.amdhsa_system_sgpr_workgroup_info 0
		.amdhsa_system_vgpr_workitem_id 0
		.amdhsa_next_free_vgpr 1
		.amdhsa_next_free_sgpr 0
		.amdhsa_reserve_vcc 0
		.amdhsa_reserve_flat_scratch 0
		.amdhsa_float_round_mode_32 0
		.amdhsa_float_round_mode_16_64 0
		.amdhsa_float_denorm_mode_32 3
		.amdhsa_float_denorm_mode_16_64 3
		.amdhsa_dx10_clamp 1
		.amdhsa_ieee_mode 1
		.amdhsa_fp16_overflow 0
		.amdhsa_exception_fp_ieee_invalid_op 0
		.amdhsa_exception_fp_denorm_src 0
		.amdhsa_exception_fp_ieee_div_zero 0
		.amdhsa_exception_fp_ieee_overflow 0
		.amdhsa_exception_fp_ieee_underflow 0
		.amdhsa_exception_fp_ieee_inexact 0
		.amdhsa_exception_int_div_zero 0
	.end_amdhsa_kernel
	.section	.text._ZN7rocprim17ROCPRIM_400000_NS6detail17trampoline_kernelINS0_13select_configILj256ELj13ELNS0_17block_load_methodE3ELS4_3ELS4_3ELNS0_20block_scan_algorithmE0ELj4294967295EEENS1_25partition_config_selectorILNS1_17partition_subalgoE4EjNS0_10empty_typeEbEEZZNS1_14partition_implILS8_4ELb0ES6_15HIP_vector_typeIjLj2EENS0_17counting_iteratorIjlEEPS9_SG_NS0_5tupleIJPjSI_NS0_16reverse_iteratorISI_EEEEENSH_IJSG_SG_SG_EEES9_SI_JZNS1_25segmented_radix_sort_implINS0_14default_configELb1EPKhPhPKlPlN2at6native12_GLOBAL__N_18offset_tEEE10hipError_tPvRmT1_PNSt15iterator_traitsIS12_E10value_typeET2_T3_PNS13_IS18_E10value_typeET4_jRbjT5_S1E_jjP12ihipStream_tbEUljE_ZNSN_ISO_Lb1ESQ_SR_ST_SU_SY_EESZ_S10_S11_S12_S16_S17_S18_S1B_S1C_jS1D_jS1E_S1E_jjS1G_bEUljE0_EEESZ_S10_S11_S18_S1C_S1E_T6_T7_T9_mT8_S1G_bDpT10_ENKUlT_T0_E_clISt17integral_constantIbLb0EES1T_IbLb1EEEEDaS1P_S1Q_EUlS1P_E_NS1_11comp_targetILNS1_3genE3ELNS1_11target_archE908ELNS1_3gpuE7ELNS1_3repE0EEENS1_30default_config_static_selectorELNS0_4arch9wavefront6targetE1EEEvS12_,"axG",@progbits,_ZN7rocprim17ROCPRIM_400000_NS6detail17trampoline_kernelINS0_13select_configILj256ELj13ELNS0_17block_load_methodE3ELS4_3ELS4_3ELNS0_20block_scan_algorithmE0ELj4294967295EEENS1_25partition_config_selectorILNS1_17partition_subalgoE4EjNS0_10empty_typeEbEEZZNS1_14partition_implILS8_4ELb0ES6_15HIP_vector_typeIjLj2EENS0_17counting_iteratorIjlEEPS9_SG_NS0_5tupleIJPjSI_NS0_16reverse_iteratorISI_EEEEENSH_IJSG_SG_SG_EEES9_SI_JZNS1_25segmented_radix_sort_implINS0_14default_configELb1EPKhPhPKlPlN2at6native12_GLOBAL__N_18offset_tEEE10hipError_tPvRmT1_PNSt15iterator_traitsIS12_E10value_typeET2_T3_PNS13_IS18_E10value_typeET4_jRbjT5_S1E_jjP12ihipStream_tbEUljE_ZNSN_ISO_Lb1ESQ_SR_ST_SU_SY_EESZ_S10_S11_S12_S16_S17_S18_S1B_S1C_jS1D_jS1E_S1E_jjS1G_bEUljE0_EEESZ_S10_S11_S18_S1C_S1E_T6_T7_T9_mT8_S1G_bDpT10_ENKUlT_T0_E_clISt17integral_constantIbLb0EES1T_IbLb1EEEEDaS1P_S1Q_EUlS1P_E_NS1_11comp_targetILNS1_3genE3ELNS1_11target_archE908ELNS1_3gpuE7ELNS1_3repE0EEENS1_30default_config_static_selectorELNS0_4arch9wavefront6targetE1EEEvS12_,comdat
.Lfunc_end42:
	.size	_ZN7rocprim17ROCPRIM_400000_NS6detail17trampoline_kernelINS0_13select_configILj256ELj13ELNS0_17block_load_methodE3ELS4_3ELS4_3ELNS0_20block_scan_algorithmE0ELj4294967295EEENS1_25partition_config_selectorILNS1_17partition_subalgoE4EjNS0_10empty_typeEbEEZZNS1_14partition_implILS8_4ELb0ES6_15HIP_vector_typeIjLj2EENS0_17counting_iteratorIjlEEPS9_SG_NS0_5tupleIJPjSI_NS0_16reverse_iteratorISI_EEEEENSH_IJSG_SG_SG_EEES9_SI_JZNS1_25segmented_radix_sort_implINS0_14default_configELb1EPKhPhPKlPlN2at6native12_GLOBAL__N_18offset_tEEE10hipError_tPvRmT1_PNSt15iterator_traitsIS12_E10value_typeET2_T3_PNS13_IS18_E10value_typeET4_jRbjT5_S1E_jjP12ihipStream_tbEUljE_ZNSN_ISO_Lb1ESQ_SR_ST_SU_SY_EESZ_S10_S11_S12_S16_S17_S18_S1B_S1C_jS1D_jS1E_S1E_jjS1G_bEUljE0_EEESZ_S10_S11_S18_S1C_S1E_T6_T7_T9_mT8_S1G_bDpT10_ENKUlT_T0_E_clISt17integral_constantIbLb0EES1T_IbLb1EEEEDaS1P_S1Q_EUlS1P_E_NS1_11comp_targetILNS1_3genE3ELNS1_11target_archE908ELNS1_3gpuE7ELNS1_3repE0EEENS1_30default_config_static_selectorELNS0_4arch9wavefront6targetE1EEEvS12_, .Lfunc_end42-_ZN7rocprim17ROCPRIM_400000_NS6detail17trampoline_kernelINS0_13select_configILj256ELj13ELNS0_17block_load_methodE3ELS4_3ELS4_3ELNS0_20block_scan_algorithmE0ELj4294967295EEENS1_25partition_config_selectorILNS1_17partition_subalgoE4EjNS0_10empty_typeEbEEZZNS1_14partition_implILS8_4ELb0ES6_15HIP_vector_typeIjLj2EENS0_17counting_iteratorIjlEEPS9_SG_NS0_5tupleIJPjSI_NS0_16reverse_iteratorISI_EEEEENSH_IJSG_SG_SG_EEES9_SI_JZNS1_25segmented_radix_sort_implINS0_14default_configELb1EPKhPhPKlPlN2at6native12_GLOBAL__N_18offset_tEEE10hipError_tPvRmT1_PNSt15iterator_traitsIS12_E10value_typeET2_T3_PNS13_IS18_E10value_typeET4_jRbjT5_S1E_jjP12ihipStream_tbEUljE_ZNSN_ISO_Lb1ESQ_SR_ST_SU_SY_EESZ_S10_S11_S12_S16_S17_S18_S1B_S1C_jS1D_jS1E_S1E_jjS1G_bEUljE0_EEESZ_S10_S11_S18_S1C_S1E_T6_T7_T9_mT8_S1G_bDpT10_ENKUlT_T0_E_clISt17integral_constantIbLb0EES1T_IbLb1EEEEDaS1P_S1Q_EUlS1P_E_NS1_11comp_targetILNS1_3genE3ELNS1_11target_archE908ELNS1_3gpuE7ELNS1_3repE0EEENS1_30default_config_static_selectorELNS0_4arch9wavefront6targetE1EEEvS12_
                                        ; -- End function
	.set _ZN7rocprim17ROCPRIM_400000_NS6detail17trampoline_kernelINS0_13select_configILj256ELj13ELNS0_17block_load_methodE3ELS4_3ELS4_3ELNS0_20block_scan_algorithmE0ELj4294967295EEENS1_25partition_config_selectorILNS1_17partition_subalgoE4EjNS0_10empty_typeEbEEZZNS1_14partition_implILS8_4ELb0ES6_15HIP_vector_typeIjLj2EENS0_17counting_iteratorIjlEEPS9_SG_NS0_5tupleIJPjSI_NS0_16reverse_iteratorISI_EEEEENSH_IJSG_SG_SG_EEES9_SI_JZNS1_25segmented_radix_sort_implINS0_14default_configELb1EPKhPhPKlPlN2at6native12_GLOBAL__N_18offset_tEEE10hipError_tPvRmT1_PNSt15iterator_traitsIS12_E10value_typeET2_T3_PNS13_IS18_E10value_typeET4_jRbjT5_S1E_jjP12ihipStream_tbEUljE_ZNSN_ISO_Lb1ESQ_SR_ST_SU_SY_EESZ_S10_S11_S12_S16_S17_S18_S1B_S1C_jS1D_jS1E_S1E_jjS1G_bEUljE0_EEESZ_S10_S11_S18_S1C_S1E_T6_T7_T9_mT8_S1G_bDpT10_ENKUlT_T0_E_clISt17integral_constantIbLb0EES1T_IbLb1EEEEDaS1P_S1Q_EUlS1P_E_NS1_11comp_targetILNS1_3genE3ELNS1_11target_archE908ELNS1_3gpuE7ELNS1_3repE0EEENS1_30default_config_static_selectorELNS0_4arch9wavefront6targetE1EEEvS12_.num_vgpr, 0
	.set _ZN7rocprim17ROCPRIM_400000_NS6detail17trampoline_kernelINS0_13select_configILj256ELj13ELNS0_17block_load_methodE3ELS4_3ELS4_3ELNS0_20block_scan_algorithmE0ELj4294967295EEENS1_25partition_config_selectorILNS1_17partition_subalgoE4EjNS0_10empty_typeEbEEZZNS1_14partition_implILS8_4ELb0ES6_15HIP_vector_typeIjLj2EENS0_17counting_iteratorIjlEEPS9_SG_NS0_5tupleIJPjSI_NS0_16reverse_iteratorISI_EEEEENSH_IJSG_SG_SG_EEES9_SI_JZNS1_25segmented_radix_sort_implINS0_14default_configELb1EPKhPhPKlPlN2at6native12_GLOBAL__N_18offset_tEEE10hipError_tPvRmT1_PNSt15iterator_traitsIS12_E10value_typeET2_T3_PNS13_IS18_E10value_typeET4_jRbjT5_S1E_jjP12ihipStream_tbEUljE_ZNSN_ISO_Lb1ESQ_SR_ST_SU_SY_EESZ_S10_S11_S12_S16_S17_S18_S1B_S1C_jS1D_jS1E_S1E_jjS1G_bEUljE0_EEESZ_S10_S11_S18_S1C_S1E_T6_T7_T9_mT8_S1G_bDpT10_ENKUlT_T0_E_clISt17integral_constantIbLb0EES1T_IbLb1EEEEDaS1P_S1Q_EUlS1P_E_NS1_11comp_targetILNS1_3genE3ELNS1_11target_archE908ELNS1_3gpuE7ELNS1_3repE0EEENS1_30default_config_static_selectorELNS0_4arch9wavefront6targetE1EEEvS12_.num_agpr, 0
	.set _ZN7rocprim17ROCPRIM_400000_NS6detail17trampoline_kernelINS0_13select_configILj256ELj13ELNS0_17block_load_methodE3ELS4_3ELS4_3ELNS0_20block_scan_algorithmE0ELj4294967295EEENS1_25partition_config_selectorILNS1_17partition_subalgoE4EjNS0_10empty_typeEbEEZZNS1_14partition_implILS8_4ELb0ES6_15HIP_vector_typeIjLj2EENS0_17counting_iteratorIjlEEPS9_SG_NS0_5tupleIJPjSI_NS0_16reverse_iteratorISI_EEEEENSH_IJSG_SG_SG_EEES9_SI_JZNS1_25segmented_radix_sort_implINS0_14default_configELb1EPKhPhPKlPlN2at6native12_GLOBAL__N_18offset_tEEE10hipError_tPvRmT1_PNSt15iterator_traitsIS12_E10value_typeET2_T3_PNS13_IS18_E10value_typeET4_jRbjT5_S1E_jjP12ihipStream_tbEUljE_ZNSN_ISO_Lb1ESQ_SR_ST_SU_SY_EESZ_S10_S11_S12_S16_S17_S18_S1B_S1C_jS1D_jS1E_S1E_jjS1G_bEUljE0_EEESZ_S10_S11_S18_S1C_S1E_T6_T7_T9_mT8_S1G_bDpT10_ENKUlT_T0_E_clISt17integral_constantIbLb0EES1T_IbLb1EEEEDaS1P_S1Q_EUlS1P_E_NS1_11comp_targetILNS1_3genE3ELNS1_11target_archE908ELNS1_3gpuE7ELNS1_3repE0EEENS1_30default_config_static_selectorELNS0_4arch9wavefront6targetE1EEEvS12_.numbered_sgpr, 0
	.set _ZN7rocprim17ROCPRIM_400000_NS6detail17trampoline_kernelINS0_13select_configILj256ELj13ELNS0_17block_load_methodE3ELS4_3ELS4_3ELNS0_20block_scan_algorithmE0ELj4294967295EEENS1_25partition_config_selectorILNS1_17partition_subalgoE4EjNS0_10empty_typeEbEEZZNS1_14partition_implILS8_4ELb0ES6_15HIP_vector_typeIjLj2EENS0_17counting_iteratorIjlEEPS9_SG_NS0_5tupleIJPjSI_NS0_16reverse_iteratorISI_EEEEENSH_IJSG_SG_SG_EEES9_SI_JZNS1_25segmented_radix_sort_implINS0_14default_configELb1EPKhPhPKlPlN2at6native12_GLOBAL__N_18offset_tEEE10hipError_tPvRmT1_PNSt15iterator_traitsIS12_E10value_typeET2_T3_PNS13_IS18_E10value_typeET4_jRbjT5_S1E_jjP12ihipStream_tbEUljE_ZNSN_ISO_Lb1ESQ_SR_ST_SU_SY_EESZ_S10_S11_S12_S16_S17_S18_S1B_S1C_jS1D_jS1E_S1E_jjS1G_bEUljE0_EEESZ_S10_S11_S18_S1C_S1E_T6_T7_T9_mT8_S1G_bDpT10_ENKUlT_T0_E_clISt17integral_constantIbLb0EES1T_IbLb1EEEEDaS1P_S1Q_EUlS1P_E_NS1_11comp_targetILNS1_3genE3ELNS1_11target_archE908ELNS1_3gpuE7ELNS1_3repE0EEENS1_30default_config_static_selectorELNS0_4arch9wavefront6targetE1EEEvS12_.num_named_barrier, 0
	.set _ZN7rocprim17ROCPRIM_400000_NS6detail17trampoline_kernelINS0_13select_configILj256ELj13ELNS0_17block_load_methodE3ELS4_3ELS4_3ELNS0_20block_scan_algorithmE0ELj4294967295EEENS1_25partition_config_selectorILNS1_17partition_subalgoE4EjNS0_10empty_typeEbEEZZNS1_14partition_implILS8_4ELb0ES6_15HIP_vector_typeIjLj2EENS0_17counting_iteratorIjlEEPS9_SG_NS0_5tupleIJPjSI_NS0_16reverse_iteratorISI_EEEEENSH_IJSG_SG_SG_EEES9_SI_JZNS1_25segmented_radix_sort_implINS0_14default_configELb1EPKhPhPKlPlN2at6native12_GLOBAL__N_18offset_tEEE10hipError_tPvRmT1_PNSt15iterator_traitsIS12_E10value_typeET2_T3_PNS13_IS18_E10value_typeET4_jRbjT5_S1E_jjP12ihipStream_tbEUljE_ZNSN_ISO_Lb1ESQ_SR_ST_SU_SY_EESZ_S10_S11_S12_S16_S17_S18_S1B_S1C_jS1D_jS1E_S1E_jjS1G_bEUljE0_EEESZ_S10_S11_S18_S1C_S1E_T6_T7_T9_mT8_S1G_bDpT10_ENKUlT_T0_E_clISt17integral_constantIbLb0EES1T_IbLb1EEEEDaS1P_S1Q_EUlS1P_E_NS1_11comp_targetILNS1_3genE3ELNS1_11target_archE908ELNS1_3gpuE7ELNS1_3repE0EEENS1_30default_config_static_selectorELNS0_4arch9wavefront6targetE1EEEvS12_.private_seg_size, 0
	.set _ZN7rocprim17ROCPRIM_400000_NS6detail17trampoline_kernelINS0_13select_configILj256ELj13ELNS0_17block_load_methodE3ELS4_3ELS4_3ELNS0_20block_scan_algorithmE0ELj4294967295EEENS1_25partition_config_selectorILNS1_17partition_subalgoE4EjNS0_10empty_typeEbEEZZNS1_14partition_implILS8_4ELb0ES6_15HIP_vector_typeIjLj2EENS0_17counting_iteratorIjlEEPS9_SG_NS0_5tupleIJPjSI_NS0_16reverse_iteratorISI_EEEEENSH_IJSG_SG_SG_EEES9_SI_JZNS1_25segmented_radix_sort_implINS0_14default_configELb1EPKhPhPKlPlN2at6native12_GLOBAL__N_18offset_tEEE10hipError_tPvRmT1_PNSt15iterator_traitsIS12_E10value_typeET2_T3_PNS13_IS18_E10value_typeET4_jRbjT5_S1E_jjP12ihipStream_tbEUljE_ZNSN_ISO_Lb1ESQ_SR_ST_SU_SY_EESZ_S10_S11_S12_S16_S17_S18_S1B_S1C_jS1D_jS1E_S1E_jjS1G_bEUljE0_EEESZ_S10_S11_S18_S1C_S1E_T6_T7_T9_mT8_S1G_bDpT10_ENKUlT_T0_E_clISt17integral_constantIbLb0EES1T_IbLb1EEEEDaS1P_S1Q_EUlS1P_E_NS1_11comp_targetILNS1_3genE3ELNS1_11target_archE908ELNS1_3gpuE7ELNS1_3repE0EEENS1_30default_config_static_selectorELNS0_4arch9wavefront6targetE1EEEvS12_.uses_vcc, 0
	.set _ZN7rocprim17ROCPRIM_400000_NS6detail17trampoline_kernelINS0_13select_configILj256ELj13ELNS0_17block_load_methodE3ELS4_3ELS4_3ELNS0_20block_scan_algorithmE0ELj4294967295EEENS1_25partition_config_selectorILNS1_17partition_subalgoE4EjNS0_10empty_typeEbEEZZNS1_14partition_implILS8_4ELb0ES6_15HIP_vector_typeIjLj2EENS0_17counting_iteratorIjlEEPS9_SG_NS0_5tupleIJPjSI_NS0_16reverse_iteratorISI_EEEEENSH_IJSG_SG_SG_EEES9_SI_JZNS1_25segmented_radix_sort_implINS0_14default_configELb1EPKhPhPKlPlN2at6native12_GLOBAL__N_18offset_tEEE10hipError_tPvRmT1_PNSt15iterator_traitsIS12_E10value_typeET2_T3_PNS13_IS18_E10value_typeET4_jRbjT5_S1E_jjP12ihipStream_tbEUljE_ZNSN_ISO_Lb1ESQ_SR_ST_SU_SY_EESZ_S10_S11_S12_S16_S17_S18_S1B_S1C_jS1D_jS1E_S1E_jjS1G_bEUljE0_EEESZ_S10_S11_S18_S1C_S1E_T6_T7_T9_mT8_S1G_bDpT10_ENKUlT_T0_E_clISt17integral_constantIbLb0EES1T_IbLb1EEEEDaS1P_S1Q_EUlS1P_E_NS1_11comp_targetILNS1_3genE3ELNS1_11target_archE908ELNS1_3gpuE7ELNS1_3repE0EEENS1_30default_config_static_selectorELNS0_4arch9wavefront6targetE1EEEvS12_.uses_flat_scratch, 0
	.set _ZN7rocprim17ROCPRIM_400000_NS6detail17trampoline_kernelINS0_13select_configILj256ELj13ELNS0_17block_load_methodE3ELS4_3ELS4_3ELNS0_20block_scan_algorithmE0ELj4294967295EEENS1_25partition_config_selectorILNS1_17partition_subalgoE4EjNS0_10empty_typeEbEEZZNS1_14partition_implILS8_4ELb0ES6_15HIP_vector_typeIjLj2EENS0_17counting_iteratorIjlEEPS9_SG_NS0_5tupleIJPjSI_NS0_16reverse_iteratorISI_EEEEENSH_IJSG_SG_SG_EEES9_SI_JZNS1_25segmented_radix_sort_implINS0_14default_configELb1EPKhPhPKlPlN2at6native12_GLOBAL__N_18offset_tEEE10hipError_tPvRmT1_PNSt15iterator_traitsIS12_E10value_typeET2_T3_PNS13_IS18_E10value_typeET4_jRbjT5_S1E_jjP12ihipStream_tbEUljE_ZNSN_ISO_Lb1ESQ_SR_ST_SU_SY_EESZ_S10_S11_S12_S16_S17_S18_S1B_S1C_jS1D_jS1E_S1E_jjS1G_bEUljE0_EEESZ_S10_S11_S18_S1C_S1E_T6_T7_T9_mT8_S1G_bDpT10_ENKUlT_T0_E_clISt17integral_constantIbLb0EES1T_IbLb1EEEEDaS1P_S1Q_EUlS1P_E_NS1_11comp_targetILNS1_3genE3ELNS1_11target_archE908ELNS1_3gpuE7ELNS1_3repE0EEENS1_30default_config_static_selectorELNS0_4arch9wavefront6targetE1EEEvS12_.has_dyn_sized_stack, 0
	.set _ZN7rocprim17ROCPRIM_400000_NS6detail17trampoline_kernelINS0_13select_configILj256ELj13ELNS0_17block_load_methodE3ELS4_3ELS4_3ELNS0_20block_scan_algorithmE0ELj4294967295EEENS1_25partition_config_selectorILNS1_17partition_subalgoE4EjNS0_10empty_typeEbEEZZNS1_14partition_implILS8_4ELb0ES6_15HIP_vector_typeIjLj2EENS0_17counting_iteratorIjlEEPS9_SG_NS0_5tupleIJPjSI_NS0_16reverse_iteratorISI_EEEEENSH_IJSG_SG_SG_EEES9_SI_JZNS1_25segmented_radix_sort_implINS0_14default_configELb1EPKhPhPKlPlN2at6native12_GLOBAL__N_18offset_tEEE10hipError_tPvRmT1_PNSt15iterator_traitsIS12_E10value_typeET2_T3_PNS13_IS18_E10value_typeET4_jRbjT5_S1E_jjP12ihipStream_tbEUljE_ZNSN_ISO_Lb1ESQ_SR_ST_SU_SY_EESZ_S10_S11_S12_S16_S17_S18_S1B_S1C_jS1D_jS1E_S1E_jjS1G_bEUljE0_EEESZ_S10_S11_S18_S1C_S1E_T6_T7_T9_mT8_S1G_bDpT10_ENKUlT_T0_E_clISt17integral_constantIbLb0EES1T_IbLb1EEEEDaS1P_S1Q_EUlS1P_E_NS1_11comp_targetILNS1_3genE3ELNS1_11target_archE908ELNS1_3gpuE7ELNS1_3repE0EEENS1_30default_config_static_selectorELNS0_4arch9wavefront6targetE1EEEvS12_.has_recursion, 0
	.set _ZN7rocprim17ROCPRIM_400000_NS6detail17trampoline_kernelINS0_13select_configILj256ELj13ELNS0_17block_load_methodE3ELS4_3ELS4_3ELNS0_20block_scan_algorithmE0ELj4294967295EEENS1_25partition_config_selectorILNS1_17partition_subalgoE4EjNS0_10empty_typeEbEEZZNS1_14partition_implILS8_4ELb0ES6_15HIP_vector_typeIjLj2EENS0_17counting_iteratorIjlEEPS9_SG_NS0_5tupleIJPjSI_NS0_16reverse_iteratorISI_EEEEENSH_IJSG_SG_SG_EEES9_SI_JZNS1_25segmented_radix_sort_implINS0_14default_configELb1EPKhPhPKlPlN2at6native12_GLOBAL__N_18offset_tEEE10hipError_tPvRmT1_PNSt15iterator_traitsIS12_E10value_typeET2_T3_PNS13_IS18_E10value_typeET4_jRbjT5_S1E_jjP12ihipStream_tbEUljE_ZNSN_ISO_Lb1ESQ_SR_ST_SU_SY_EESZ_S10_S11_S12_S16_S17_S18_S1B_S1C_jS1D_jS1E_S1E_jjS1G_bEUljE0_EEESZ_S10_S11_S18_S1C_S1E_T6_T7_T9_mT8_S1G_bDpT10_ENKUlT_T0_E_clISt17integral_constantIbLb0EES1T_IbLb1EEEEDaS1P_S1Q_EUlS1P_E_NS1_11comp_targetILNS1_3genE3ELNS1_11target_archE908ELNS1_3gpuE7ELNS1_3repE0EEENS1_30default_config_static_selectorELNS0_4arch9wavefront6targetE1EEEvS12_.has_indirect_call, 0
	.section	.AMDGPU.csdata,"",@progbits
; Kernel info:
; codeLenInByte = 0
; TotalNumSgprs: 4
; NumVgprs: 0
; ScratchSize: 0
; MemoryBound: 0
; FloatMode: 240
; IeeeMode: 1
; LDSByteSize: 0 bytes/workgroup (compile time only)
; SGPRBlocks: 0
; VGPRBlocks: 0
; NumSGPRsForWavesPerEU: 4
; NumVGPRsForWavesPerEU: 1
; Occupancy: 10
; WaveLimiterHint : 0
; COMPUTE_PGM_RSRC2:SCRATCH_EN: 0
; COMPUTE_PGM_RSRC2:USER_SGPR: 6
; COMPUTE_PGM_RSRC2:TRAP_HANDLER: 0
; COMPUTE_PGM_RSRC2:TGID_X_EN: 1
; COMPUTE_PGM_RSRC2:TGID_Y_EN: 0
; COMPUTE_PGM_RSRC2:TGID_Z_EN: 0
; COMPUTE_PGM_RSRC2:TIDIG_COMP_CNT: 0
	.section	.text._ZN7rocprim17ROCPRIM_400000_NS6detail17trampoline_kernelINS0_13select_configILj256ELj13ELNS0_17block_load_methodE3ELS4_3ELS4_3ELNS0_20block_scan_algorithmE0ELj4294967295EEENS1_25partition_config_selectorILNS1_17partition_subalgoE4EjNS0_10empty_typeEbEEZZNS1_14partition_implILS8_4ELb0ES6_15HIP_vector_typeIjLj2EENS0_17counting_iteratorIjlEEPS9_SG_NS0_5tupleIJPjSI_NS0_16reverse_iteratorISI_EEEEENSH_IJSG_SG_SG_EEES9_SI_JZNS1_25segmented_radix_sort_implINS0_14default_configELb1EPKhPhPKlPlN2at6native12_GLOBAL__N_18offset_tEEE10hipError_tPvRmT1_PNSt15iterator_traitsIS12_E10value_typeET2_T3_PNS13_IS18_E10value_typeET4_jRbjT5_S1E_jjP12ihipStream_tbEUljE_ZNSN_ISO_Lb1ESQ_SR_ST_SU_SY_EESZ_S10_S11_S12_S16_S17_S18_S1B_S1C_jS1D_jS1E_S1E_jjS1G_bEUljE0_EEESZ_S10_S11_S18_S1C_S1E_T6_T7_T9_mT8_S1G_bDpT10_ENKUlT_T0_E_clISt17integral_constantIbLb0EES1T_IbLb1EEEEDaS1P_S1Q_EUlS1P_E_NS1_11comp_targetILNS1_3genE2ELNS1_11target_archE906ELNS1_3gpuE6ELNS1_3repE0EEENS1_30default_config_static_selectorELNS0_4arch9wavefront6targetE1EEEvS12_,"axG",@progbits,_ZN7rocprim17ROCPRIM_400000_NS6detail17trampoline_kernelINS0_13select_configILj256ELj13ELNS0_17block_load_methodE3ELS4_3ELS4_3ELNS0_20block_scan_algorithmE0ELj4294967295EEENS1_25partition_config_selectorILNS1_17partition_subalgoE4EjNS0_10empty_typeEbEEZZNS1_14partition_implILS8_4ELb0ES6_15HIP_vector_typeIjLj2EENS0_17counting_iteratorIjlEEPS9_SG_NS0_5tupleIJPjSI_NS0_16reverse_iteratorISI_EEEEENSH_IJSG_SG_SG_EEES9_SI_JZNS1_25segmented_radix_sort_implINS0_14default_configELb1EPKhPhPKlPlN2at6native12_GLOBAL__N_18offset_tEEE10hipError_tPvRmT1_PNSt15iterator_traitsIS12_E10value_typeET2_T3_PNS13_IS18_E10value_typeET4_jRbjT5_S1E_jjP12ihipStream_tbEUljE_ZNSN_ISO_Lb1ESQ_SR_ST_SU_SY_EESZ_S10_S11_S12_S16_S17_S18_S1B_S1C_jS1D_jS1E_S1E_jjS1G_bEUljE0_EEESZ_S10_S11_S18_S1C_S1E_T6_T7_T9_mT8_S1G_bDpT10_ENKUlT_T0_E_clISt17integral_constantIbLb0EES1T_IbLb1EEEEDaS1P_S1Q_EUlS1P_E_NS1_11comp_targetILNS1_3genE2ELNS1_11target_archE906ELNS1_3gpuE6ELNS1_3repE0EEENS1_30default_config_static_selectorELNS0_4arch9wavefront6targetE1EEEvS12_,comdat
	.globl	_ZN7rocprim17ROCPRIM_400000_NS6detail17trampoline_kernelINS0_13select_configILj256ELj13ELNS0_17block_load_methodE3ELS4_3ELS4_3ELNS0_20block_scan_algorithmE0ELj4294967295EEENS1_25partition_config_selectorILNS1_17partition_subalgoE4EjNS0_10empty_typeEbEEZZNS1_14partition_implILS8_4ELb0ES6_15HIP_vector_typeIjLj2EENS0_17counting_iteratorIjlEEPS9_SG_NS0_5tupleIJPjSI_NS0_16reverse_iteratorISI_EEEEENSH_IJSG_SG_SG_EEES9_SI_JZNS1_25segmented_radix_sort_implINS0_14default_configELb1EPKhPhPKlPlN2at6native12_GLOBAL__N_18offset_tEEE10hipError_tPvRmT1_PNSt15iterator_traitsIS12_E10value_typeET2_T3_PNS13_IS18_E10value_typeET4_jRbjT5_S1E_jjP12ihipStream_tbEUljE_ZNSN_ISO_Lb1ESQ_SR_ST_SU_SY_EESZ_S10_S11_S12_S16_S17_S18_S1B_S1C_jS1D_jS1E_S1E_jjS1G_bEUljE0_EEESZ_S10_S11_S18_S1C_S1E_T6_T7_T9_mT8_S1G_bDpT10_ENKUlT_T0_E_clISt17integral_constantIbLb0EES1T_IbLb1EEEEDaS1P_S1Q_EUlS1P_E_NS1_11comp_targetILNS1_3genE2ELNS1_11target_archE906ELNS1_3gpuE6ELNS1_3repE0EEENS1_30default_config_static_selectorELNS0_4arch9wavefront6targetE1EEEvS12_ ; -- Begin function _ZN7rocprim17ROCPRIM_400000_NS6detail17trampoline_kernelINS0_13select_configILj256ELj13ELNS0_17block_load_methodE3ELS4_3ELS4_3ELNS0_20block_scan_algorithmE0ELj4294967295EEENS1_25partition_config_selectorILNS1_17partition_subalgoE4EjNS0_10empty_typeEbEEZZNS1_14partition_implILS8_4ELb0ES6_15HIP_vector_typeIjLj2EENS0_17counting_iteratorIjlEEPS9_SG_NS0_5tupleIJPjSI_NS0_16reverse_iteratorISI_EEEEENSH_IJSG_SG_SG_EEES9_SI_JZNS1_25segmented_radix_sort_implINS0_14default_configELb1EPKhPhPKlPlN2at6native12_GLOBAL__N_18offset_tEEE10hipError_tPvRmT1_PNSt15iterator_traitsIS12_E10value_typeET2_T3_PNS13_IS18_E10value_typeET4_jRbjT5_S1E_jjP12ihipStream_tbEUljE_ZNSN_ISO_Lb1ESQ_SR_ST_SU_SY_EESZ_S10_S11_S12_S16_S17_S18_S1B_S1C_jS1D_jS1E_S1E_jjS1G_bEUljE0_EEESZ_S10_S11_S18_S1C_S1E_T6_T7_T9_mT8_S1G_bDpT10_ENKUlT_T0_E_clISt17integral_constantIbLb0EES1T_IbLb1EEEEDaS1P_S1Q_EUlS1P_E_NS1_11comp_targetILNS1_3genE2ELNS1_11target_archE906ELNS1_3gpuE6ELNS1_3repE0EEENS1_30default_config_static_selectorELNS0_4arch9wavefront6targetE1EEEvS12_
	.p2align	8
	.type	_ZN7rocprim17ROCPRIM_400000_NS6detail17trampoline_kernelINS0_13select_configILj256ELj13ELNS0_17block_load_methodE3ELS4_3ELS4_3ELNS0_20block_scan_algorithmE0ELj4294967295EEENS1_25partition_config_selectorILNS1_17partition_subalgoE4EjNS0_10empty_typeEbEEZZNS1_14partition_implILS8_4ELb0ES6_15HIP_vector_typeIjLj2EENS0_17counting_iteratorIjlEEPS9_SG_NS0_5tupleIJPjSI_NS0_16reverse_iteratorISI_EEEEENSH_IJSG_SG_SG_EEES9_SI_JZNS1_25segmented_radix_sort_implINS0_14default_configELb1EPKhPhPKlPlN2at6native12_GLOBAL__N_18offset_tEEE10hipError_tPvRmT1_PNSt15iterator_traitsIS12_E10value_typeET2_T3_PNS13_IS18_E10value_typeET4_jRbjT5_S1E_jjP12ihipStream_tbEUljE_ZNSN_ISO_Lb1ESQ_SR_ST_SU_SY_EESZ_S10_S11_S12_S16_S17_S18_S1B_S1C_jS1D_jS1E_S1E_jjS1G_bEUljE0_EEESZ_S10_S11_S18_S1C_S1E_T6_T7_T9_mT8_S1G_bDpT10_ENKUlT_T0_E_clISt17integral_constantIbLb0EES1T_IbLb1EEEEDaS1P_S1Q_EUlS1P_E_NS1_11comp_targetILNS1_3genE2ELNS1_11target_archE906ELNS1_3gpuE6ELNS1_3repE0EEENS1_30default_config_static_selectorELNS0_4arch9wavefront6targetE1EEEvS12_,@function
_ZN7rocprim17ROCPRIM_400000_NS6detail17trampoline_kernelINS0_13select_configILj256ELj13ELNS0_17block_load_methodE3ELS4_3ELS4_3ELNS0_20block_scan_algorithmE0ELj4294967295EEENS1_25partition_config_selectorILNS1_17partition_subalgoE4EjNS0_10empty_typeEbEEZZNS1_14partition_implILS8_4ELb0ES6_15HIP_vector_typeIjLj2EENS0_17counting_iteratorIjlEEPS9_SG_NS0_5tupleIJPjSI_NS0_16reverse_iteratorISI_EEEEENSH_IJSG_SG_SG_EEES9_SI_JZNS1_25segmented_radix_sort_implINS0_14default_configELb1EPKhPhPKlPlN2at6native12_GLOBAL__N_18offset_tEEE10hipError_tPvRmT1_PNSt15iterator_traitsIS12_E10value_typeET2_T3_PNS13_IS18_E10value_typeET4_jRbjT5_S1E_jjP12ihipStream_tbEUljE_ZNSN_ISO_Lb1ESQ_SR_ST_SU_SY_EESZ_S10_S11_S12_S16_S17_S18_S1B_S1C_jS1D_jS1E_S1E_jjS1G_bEUljE0_EEESZ_S10_S11_S18_S1C_S1E_T6_T7_T9_mT8_S1G_bDpT10_ENKUlT_T0_E_clISt17integral_constantIbLb0EES1T_IbLb1EEEEDaS1P_S1Q_EUlS1P_E_NS1_11comp_targetILNS1_3genE2ELNS1_11target_archE906ELNS1_3gpuE6ELNS1_3repE0EEENS1_30default_config_static_selectorELNS0_4arch9wavefront6targetE1EEEvS12_: ; @_ZN7rocprim17ROCPRIM_400000_NS6detail17trampoline_kernelINS0_13select_configILj256ELj13ELNS0_17block_load_methodE3ELS4_3ELS4_3ELNS0_20block_scan_algorithmE0ELj4294967295EEENS1_25partition_config_selectorILNS1_17partition_subalgoE4EjNS0_10empty_typeEbEEZZNS1_14partition_implILS8_4ELb0ES6_15HIP_vector_typeIjLj2EENS0_17counting_iteratorIjlEEPS9_SG_NS0_5tupleIJPjSI_NS0_16reverse_iteratorISI_EEEEENSH_IJSG_SG_SG_EEES9_SI_JZNS1_25segmented_radix_sort_implINS0_14default_configELb1EPKhPhPKlPlN2at6native12_GLOBAL__N_18offset_tEEE10hipError_tPvRmT1_PNSt15iterator_traitsIS12_E10value_typeET2_T3_PNS13_IS18_E10value_typeET4_jRbjT5_S1E_jjP12ihipStream_tbEUljE_ZNSN_ISO_Lb1ESQ_SR_ST_SU_SY_EESZ_S10_S11_S12_S16_S17_S18_S1B_S1C_jS1D_jS1E_S1E_jjS1G_bEUljE0_EEESZ_S10_S11_S18_S1C_S1E_T6_T7_T9_mT8_S1G_bDpT10_ENKUlT_T0_E_clISt17integral_constantIbLb0EES1T_IbLb1EEEEDaS1P_S1Q_EUlS1P_E_NS1_11comp_targetILNS1_3genE2ELNS1_11target_archE906ELNS1_3gpuE6ELNS1_3repE0EEENS1_30default_config_static_selectorELNS0_4arch9wavefront6targetE1EEEvS12_
; %bb.0:
	s_load_dwordx2 s[52:53], s[4:5], 0x10
	s_load_dwordx4 s[48:51], s[4:5], 0x28
	s_load_dwordx2 s[30:31], s[4:5], 0x38
	s_load_dwordx4 s[44:47], s[4:5], 0x58
	s_load_dwordx2 s[6:7], s[4:5], 0x68
	s_load_dwordx2 s[54:55], s[4:5], 0x78
	;; [unrolled: 1-line block ×3, first 2 shown]
	s_load_dwordx8 s[36:43], s[4:5], 0x90
	v_cmp_eq_u32_e64 s[0:1], 0, v0
	s_and_saveexec_b64 s[2:3], s[0:1]
	s_cbranch_execz .LBB43_4
; %bb.1:
	s_mov_b64 s[10:11], exec
	v_mbcnt_lo_u32_b32 v1, s10, 0
	v_mbcnt_hi_u32_b32 v1, s11, v1
	v_cmp_eq_u32_e32 vcc, 0, v1
                                        ; implicit-def: $vgpr2
	s_and_saveexec_b64 s[8:9], vcc
	s_cbranch_execz .LBB43_3
; %bb.2:
	s_load_dwordx2 s[12:13], s[4:5], 0x88
	s_bcnt1_i32_b64 s10, s[10:11]
	v_mov_b32_e32 v2, 0
	v_mov_b32_e32 v3, s10
	s_waitcnt lgkmcnt(0)
	global_atomic_add v2, v2, v3, s[12:13] glc
.LBB43_3:
	s_or_b64 exec, exec, s[8:9]
	s_waitcnt vmcnt(0)
	v_readfirstlane_b32 s8, v2
	v_add_u32_e32 v1, s8, v1
	v_mov_b32_e32 v2, 0
	ds_write_b32 v2, v1
.LBB43_4:
	s_or_b64 exec, exec, s[2:3]
	v_mov_b32_e32 v1, 0
	s_load_dword s2, s[4:5], 0x8
	s_load_dword s8, s[4:5], 0x80
	s_waitcnt lgkmcnt(0)
	s_barrier
	ds_read_b32 v7, v1
	s_waitcnt lgkmcnt(0)
	s_barrier
	global_load_dwordx4 v[1:4], v1, s[46:47]
	s_add_i32 s9, s2, s52
	s_movk_i32 s2, 0xd00
	s_add_i32 s4, s8, -1
	s_mulk_i32 s8, 0xd00
	v_mul_lo_u32 v33, v7, s2
	s_add_u32 s2, s52, s8
	s_addc_u32 s3, s53, 0
	v_mov_b32_e32 v6, s3
	v_mov_b32_e32 v5, s2
	v_readfirstlane_b32 s33, v7
	v_cmp_gt_u64_e32 vcc, s[6:7], v[5:6]
	s_cmp_eq_u32 s33, s4
	v_cmp_ne_u32_e64 s[2:3], s4, v7
	s_cselect_b64 s[34:35], -1, 0
	s_or_b64 s[4:5], vcc, s[2:3]
	v_add_u32_e32 v5, s9, v33
	s_mov_b64 s[2:3], -1
	s_and_b64 vcc, exec, s[4:5]
	v_add_u32_e32 v5, v5, v0
	s_cbranch_vccz .LBB43_6
; %bb.5:
	v_add_u32_e32 v6, 0x100, v5
	v_lshlrev_b32_e32 v18, 2, v0
	v_add_u32_e32 v7, 0x200, v5
	v_add_u32_e32 v8, 0x300, v5
	;; [unrolled: 1-line block ×11, first 2 shown]
	ds_write2st64_b32 v18, v5, v6 offset1:4
	ds_write2st64_b32 v18, v7, v8 offset0:8 offset1:12
	ds_write2st64_b32 v18, v9, v10 offset0:16 offset1:20
	;; [unrolled: 1-line block ×5, first 2 shown]
	ds_write_b32 v18, v17 offset:12288
	s_waitcnt vmcnt(0) lgkmcnt(0)
	s_barrier
	s_mov_b64 s[2:3], 0
.LBB43_6:
	s_andn2_b64 vcc, exec, s[2:3]
	s_add_i32 s8, s8, s52
	s_cbranch_vccnz .LBB43_8
; %bb.7:
	v_add_u32_e32 v6, 0x100, v5
	v_lshlrev_b32_e32 v18, 2, v0
	v_add_u32_e32 v7, 0x200, v5
	v_add_u32_e32 v8, 0x300, v5
	;; [unrolled: 1-line block ×11, first 2 shown]
	ds_write2st64_b32 v18, v5, v6 offset1:4
	ds_write2st64_b32 v18, v7, v8 offset0:8 offset1:12
	ds_write2st64_b32 v18, v9, v10 offset0:16 offset1:20
	;; [unrolled: 1-line block ×5, first 2 shown]
	ds_write_b32 v18, v17 offset:12288
	s_waitcnt vmcnt(0) lgkmcnt(0)
	s_barrier
.LBB43_8:
	v_mul_u32_u24_e32 v35, 13, v0
	v_lshlrev_b32_e32 v5, 2, v35
	ds_read_b32 v34, v5 offset:48
	ds_read2_b32 v[13:14], v5 offset0:10 offset1:11
	ds_read2_b32 v[15:16], v5 offset0:8 offset1:9
	;; [unrolled: 1-line block ×4, first 2 shown]
	ds_read2_b32 v[23:24], v5 offset1:1
	ds_read2_b32 v[21:22], v5 offset0:2 offset1:3
	v_cndmask_b32_e64 v5, 0, 1, s[4:5]
	s_sub_i32 s86, s6, s8
	v_cmp_ne_u32_e64 s[2:3], 1, v5
	s_andn2_b64 vcc, exec, s[4:5]
	s_waitcnt vmcnt(0) lgkmcnt(0)
	s_barrier
	s_cbranch_vccnz .LBB43_36
; %bb.9:
	v_add_u32_e32 v5, s37, v23
	v_add_u32_e32 v6, s39, v23
	v_mul_lo_u32 v5, v5, s36
	v_mul_lo_u32 v6, v6, s38
	s_mov_b64 s[58:59], 0
	s_mov_b64 s[46:47], 0
	v_sub_u32_e32 v5, v5, v6
	v_cmp_lt_u32_e32 vcc, s40, v5
	v_cmp_ge_u32_e64 s[4:5], s40, v5
	s_and_saveexec_b64 s[6:7], s[4:5]
	s_cbranch_execz .LBB43_11
; %bb.10:
	v_add_u32_e32 v5, s42, v23
	v_add_u32_e32 v6, s56, v23
	v_mul_lo_u32 v5, v5, s41
	v_mul_lo_u32 v6, v6, s43
	v_sub_u32_e32 v5, v5, v6
	v_cmp_lt_u32_e64 s[4:5], s57, v5
	s_and_b64 s[46:47], s[4:5], exec
.LBB43_11:
	s_or_b64 exec, exec, s[6:7]
	v_add_u32_e32 v5, s37, v24
	v_add_u32_e32 v6, s39, v24
	v_mul_lo_u32 v5, v5, s36
	v_mul_lo_u32 v6, v6, s38
	v_sub_u32_e32 v5, v5, v6
	v_cmp_lt_u32_e64 s[4:5], s40, v5
	v_cmp_ge_u32_e64 s[6:7], s40, v5
	s_and_saveexec_b64 s[8:9], s[6:7]
	s_cbranch_execz .LBB43_13
; %bb.12:
	v_add_u32_e32 v5, s42, v24
	v_add_u32_e32 v6, s56, v24
	v_mul_lo_u32 v5, v5, s41
	v_mul_lo_u32 v6, v6, s43
	v_sub_u32_e32 v5, v5, v6
	v_cmp_lt_u32_e64 s[6:7], s57, v5
	s_and_b64 s[58:59], s[6:7], exec
.LBB43_13:
	s_or_b64 exec, exec, s[8:9]
	v_add_u32_e32 v5, s37, v21
	v_add_u32_e32 v6, s39, v21
	v_mul_lo_u32 v5, v5, s36
	v_mul_lo_u32 v6, v6, s38
	s_mov_b64 s[62:63], 0
	s_mov_b64 s[60:61], 0
	v_sub_u32_e32 v5, v5, v6
	v_cmp_lt_u32_e64 s[6:7], s40, v5
	v_cmp_ge_u32_e64 s[8:9], s40, v5
	s_and_saveexec_b64 s[10:11], s[8:9]
	s_cbranch_execz .LBB43_15
; %bb.14:
	v_add_u32_e32 v5, s42, v21
	v_add_u32_e32 v6, s56, v21
	v_mul_lo_u32 v5, v5, s41
	v_mul_lo_u32 v6, v6, s43
	v_sub_u32_e32 v5, v5, v6
	v_cmp_lt_u32_e64 s[8:9], s57, v5
	s_and_b64 s[60:61], s[8:9], exec
.LBB43_15:
	s_or_b64 exec, exec, s[10:11]
	v_add_u32_e32 v5, s37, v22
	v_add_u32_e32 v6, s39, v22
	v_mul_lo_u32 v5, v5, s36
	v_mul_lo_u32 v6, v6, s38
	v_sub_u32_e32 v5, v5, v6
	v_cmp_lt_u32_e64 s[8:9], s40, v5
	v_cmp_ge_u32_e64 s[10:11], s40, v5
	s_and_saveexec_b64 s[12:13], s[10:11]
	s_cbranch_execz .LBB43_17
; %bb.16:
	v_add_u32_e32 v5, s42, v22
	v_add_u32_e32 v6, s56, v22
	v_mul_lo_u32 v5, v5, s41
	v_mul_lo_u32 v6, v6, s43
	v_sub_u32_e32 v5, v5, v6
	v_cmp_lt_u32_e64 s[10:11], s57, v5
	s_and_b64 s[62:63], s[10:11], exec
.LBB43_17:
	s_or_b64 exec, exec, s[12:13]
	v_add_u32_e32 v5, s37, v19
	v_add_u32_e32 v6, s39, v19
	v_mul_lo_u32 v5, v5, s36
	v_mul_lo_u32 v6, v6, s38
	s_mov_b64 s[66:67], 0
	s_mov_b64 s[64:65], 0
	v_sub_u32_e32 v5, v5, v6
	v_cmp_lt_u32_e64 s[10:11], s40, v5
	;; [unrolled: 40-line block ×6, first 2 shown]
	v_cmp_ge_u32_e64 s[28:29], s40, v5
	s_and_saveexec_b64 s[84:85], s[28:29]
	s_cbranch_execz .LBB43_35
; %bb.34:
	v_add_u32_e32 v5, s42, v34
	v_add_u32_e32 v6, s56, v34
	v_mul_lo_u32 v5, v5, s41
	v_mul_lo_u32 v6, v6, s43
	v_sub_u32_e32 v5, v5, v6
	v_cmp_lt_u32_e64 s[28:29], s57, v5
	s_and_b64 s[82:83], s[28:29], exec
.LBB43_35:
	s_or_b64 exec, exec, s[84:85]
	v_cndmask_b32_e64 v6, 0, 1, s[4:5]
	v_cndmask_b32_e64 v5, 0, 1, vcc
	v_cndmask_b32_e64 v8, 0, 1, s[8:9]
	v_lshlrev_b16_e32 v6, 8, v6
	v_cndmask_b32_e64 v7, 0, 1, s[6:7]
	v_or_b32_e32 v5, v5, v6
	v_lshlrev_b16_e32 v6, 8, v8
	v_cndmask_b32_e64 v10, 0, 1, s[12:13]
	v_cndmask_b32_e64 v12, 0, 1, s[16:17]
	v_or_b32_sdwa v6, v7, v6 dst_sel:WORD_1 dst_unused:UNUSED_PAD src0_sel:DWORD src1_sel:DWORD
	v_cndmask_b32_e64 v9, 0, 1, s[10:11]
	v_cndmask_b32_e64 v11, 0, 1, s[14:15]
	v_or_b32_sdwa v36, v5, v6 dst_sel:DWORD dst_unused:UNUSED_PAD src0_sel:WORD_0 src1_sel:DWORD
	v_lshlrev_b16_e32 v5, 8, v10
	v_lshlrev_b16_e32 v6, 8, v12
	v_cndmask_b32_e64 v26, 0, 1, s[20:21]
	v_cndmask_b32_e64 v29, 0, 1, s[24:25]
	v_or_b32_e32 v5, v9, v5
	v_or_b32_sdwa v6, v11, v6 dst_sel:WORD_1 dst_unused:UNUSED_PAD src0_sel:DWORD src1_sel:DWORD
	v_cndmask_b32_e64 v25, 0, 1, s[18:19]
	v_cndmask_b32_e64 v27, 0, 1, s[22:23]
	v_or_b32_sdwa v38, v5, v6 dst_sel:DWORD dst_unused:UNUSED_PAD src0_sel:WORD_0 src1_sel:DWORD
	v_lshlrev_b16_e32 v5, 8, v26
	v_lshlrev_b16_e32 v6, 8, v29
	v_cndmask_b32_e64 v42, 0, 1, s[60:61]
	v_cndmask_b32_e64 v47, 0, 1, s[46:47]
	v_or_b32_e32 v5, v25, v5
	;; [unrolled: 9-line block ×4, first 2 shown]
	v_or_b32_sdwa v6, v39, v6 dst_sel:WORD_1 dst_unused:UNUSED_PAD src0_sel:DWORD src1_sel:DWORD
	v_cndmask_b32_e64 v30, 0, 1, s[74:75]
	v_cndmask_b32_e64 v32, 0, 1, s[70:71]
	v_or_b32_sdwa v37, v5, v6 dst_sel:DWORD dst_unused:UNUSED_PAD src0_sel:WORD_0 src1_sel:DWORD
	v_lshlrev_b16_e32 v5, 8, v31
	v_lshlrev_b16_e32 v6, 8, v28
	v_or_b32_e32 v5, v32, v5
	v_or_b32_sdwa v6, v30, v6 dst_sel:WORD_1 dst_unused:UNUSED_PAD src0_sel:DWORD src1_sel:DWORD
	v_cndmask_b32_e64 v40, 0, 1, s[78:79]
	v_cndmask_b32_e64 v43, 0, 1, s[82:83]
	v_or_b32_sdwa v39, v5, v6 dst_sel:DWORD dst_unused:UNUSED_PAD src0_sel:WORD_0 src1_sel:DWORD
	s_add_i32 s16, s86, 0xd00
	s_and_b64 vcc, exec, s[76:77]
	s_cbranch_vccnz .LBB43_37
	s_branch .LBB43_114
.LBB43_36:
                                        ; implicit-def: $vgpr43
                                        ; implicit-def: $vgpr40
                                        ; implicit-def: $vgpr39
                                        ; implicit-def: $vgpr37
                                        ; implicit-def: $vgpr42
                                        ; implicit-def: $vgpr41
                                        ; implicit-def: $vgpr38
                                        ; implicit-def: $vgpr36
	s_add_i32 s16, s86, 0xd00
	s_cbranch_execz .LBB43_114
.LBB43_37:
	v_cmp_gt_u32_e32 vcc, s16, v35
	v_mov_b32_e32 v6, 0
	v_mov_b32_e32 v5, 0
	s_and_saveexec_b64 s[6:7], vcc
	s_cbranch_execz .LBB43_41
; %bb.38:
	v_add_u32_e32 v5, s37, v23
	v_add_u32_e32 v6, s39, v23
	v_mul_lo_u32 v5, v5, s36
	v_mul_lo_u32 v6, v6, s38
	s_mov_b64 s[10:11], 0
	v_sub_u32_e32 v5, v5, v6
	v_cmp_lt_u32_e32 vcc, s40, v5
	v_cmp_ge_u32_e64 s[4:5], s40, v5
	s_and_saveexec_b64 s[8:9], s[4:5]
	s_cbranch_execz .LBB43_40
; %bb.39:
	v_add_u32_e32 v5, s42, v23
	v_add_u32_e32 v6, s56, v23
	v_mul_lo_u32 v5, v5, s41
	v_mul_lo_u32 v6, v6, s43
	v_sub_u32_e32 v5, v5, v6
	v_cmp_lt_u32_e64 s[4:5], s57, v5
	s_and_b64 s[10:11], s[4:5], exec
.LBB43_40:
	s_or_b64 exec, exec, s[8:9]
	v_cndmask_b32_e64 v6, 0, 1, s[10:11]
	v_cndmask_b32_e64 v5, 0, 1, vcc
.LBB43_41:
	s_or_b64 exec, exec, s[6:7]
	v_lshlrev_b16_e32 v11, 8, v6
	v_add_u32_e32 v6, 1, v35
	v_cmp_le_u32_e32 vcc, s16, v6
	v_lshlrev_b16_e64 v8, 8, 0
                                        ; implicit-def: $vgpr7
                                        ; implicit-def: $vgpr9
                                        ; implicit-def: $vgpr10
                                        ; implicit-def: $vgpr6
                                        ; implicit-def: $vgpr12
	s_and_saveexec_b64 s[4:5], vcc
	s_xor_b64 s[4:5], exec, s[4:5]
; %bb.42:
	v_mov_b32_e32 v6, 8
	v_lshrrev_b32_sdwa v7, v6, v11 dst_sel:BYTE_1 dst_unused:UNUSED_PAD src0_sel:DWORD src1_sel:DWORD
	v_and_b32_e32 v12, 0xff, v5
	v_or_b32_sdwa v5, v11, v7 dst_sel:DWORD dst_unused:UNUSED_PAD src0_sel:BYTE_0 src1_sel:DWORD
	v_mov_b32_e32 v9, 0
	v_lshlrev_b16_e64 v8, 8, 0
	v_lshlrev_b16_e64 v6, 8, 0
	v_and_b32_e32 v10, 0xffff, v5
	v_lshlrev_b16_e64 v7, 8, 0
                                        ; implicit-def: $vgpr5
                                        ; implicit-def: $vgpr11
; %bb.43:
	s_andn2_saveexec_b64 s[6:7], s[4:5]
	s_cbranch_execz .LBB43_47
; %bb.44:
	v_add_u32_e32 v6, s37, v24
	v_add_u32_e32 v7, s39, v24
	v_mul_lo_u32 v6, v6, s36
	v_mul_lo_u32 v7, v7, s38
	s_mov_b64 s[8:9], 0
	v_sub_u32_e32 v6, v6, v7
	v_cmp_lt_u32_e32 vcc, s40, v6
	v_cmp_ge_u32_e64 s[4:5], s40, v6
	s_and_saveexec_b64 s[10:11], s[4:5]
	s_cbranch_execz .LBB43_46
; %bb.45:
	v_add_u32_e32 v6, s42, v24
	v_add_u32_e32 v7, s56, v24
	v_mul_lo_u32 v6, v6, s41
	v_mul_lo_u32 v7, v7, s43
	v_sub_u32_e32 v6, v6, v7
	v_cmp_lt_u32_e64 s[4:5], s57, v6
	s_and_b64 s[8:9], s[4:5], exec
.LBB43_46:
	s_or_b64 exec, exec, s[10:11]
	v_cndmask_b32_e64 v7, 0, 1, vcc
	v_lshlrev_b16_e32 v7, 8, v7
	v_or_b32_sdwa v5, v5, v7 dst_sel:DWORD dst_unused:UNUSED_PAD src0_sel:BYTE_0 src1_sel:DWORD
	v_and_b32_e32 v12, 0xffff, v5
	v_mov_b32_e32 v5, 8
	v_lshrrev_b32_sdwa v5, v5, v11 dst_sel:BYTE_1 dst_unused:UNUSED_PAD src0_sel:DWORD src1_sel:DWORD
	v_or_b32_sdwa v5, v11, v5 dst_sel:DWORD dst_unused:UNUSED_PAD src0_sel:BYTE_0 src1_sel:DWORD
	v_and_b32_e32 v5, 0xffff, v5
	v_cndmask_b32_e64 v7, 0, 1, s[8:9]
	v_mov_b32_e32 v6, 0
	v_mov_b32_e32 v9, 0
	v_lshl_or_b32 v10, v7, 16, v5
	v_lshlrev_b16_e64 v7, 8, 0
.LBB43_47:
	s_or_b64 exec, exec, s[6:7]
	v_add_u32_e32 v5, 2, v35
	v_cmp_le_u32_e32 vcc, s16, v5
	v_lshrrev_b32_e32 v25, 24, v12
                                        ; implicit-def: $vgpr5
                                        ; implicit-def: $vgpr11
	s_and_saveexec_b64 s[4:5], vcc
	s_xor_b64 s[4:5], exec, s[4:5]
	s_cbranch_execz .LBB43_49
; %bb.48:
	s_mov_b32 s6, 0x40c0100
	v_perm_b32 v11, v25, v12, s6
	v_mov_b32_e32 v12, 8
	v_lshrrev_b32_sdwa v12, v12, v11 dst_sel:BYTE_1 dst_unused:UNUSED_PAD src0_sel:DWORD src1_sel:DWORD
	v_or_b32_sdwa v12, v11, v12 dst_sel:DWORD dst_unused:UNUSED_PAD src0_sel:BYTE_0 src1_sel:DWORD
	v_and_b32_e32 v12, 0xffff, v12
	s_mov_b32 s6, 0xff000000
	v_and_or_b32 v11, v11, s6, v12
	s_mov_b32 s6, 0x3060504
	v_and_b32_e32 v5, 0xff0000, v10
	v_perm_b32 v8, v8, v8, s6
	s_mov_b32 s6, 0x3020504
	v_perm_b32 v5, v10, v5, s6
                                        ; implicit-def: $vgpr12
                                        ; implicit-def: $vgpr25
                                        ; implicit-def: $vgpr10
.LBB43_49:
	s_andn2_saveexec_b64 s[6:7], s[4:5]
	s_cbranch_execz .LBB43_53
; %bb.50:
	v_add_u32_e32 v5, s37, v21
	v_add_u32_e32 v11, s39, v21
	v_mul_lo_u32 v5, v5, s36
	v_mul_lo_u32 v11, v11, s38
	s_mov_b64 s[8:9], 0
	v_sub_u32_e32 v5, v5, v11
	v_cmp_lt_u32_e32 vcc, s40, v5
	v_cmp_ge_u32_e64 s[4:5], s40, v5
	s_and_saveexec_b64 s[10:11], s[4:5]
	s_cbranch_execz .LBB43_52
; %bb.51:
	v_add_u32_e32 v5, s42, v21
	v_add_u32_e32 v11, s56, v21
	v_mul_lo_u32 v5, v5, s41
	v_mul_lo_u32 v11, v11, s43
	v_sub_u32_e32 v5, v5, v11
	v_cmp_lt_u32_e64 s[4:5], s57, v5
	s_and_b64 s[8:9], s[4:5], exec
.LBB43_52:
	s_or_b64 exec, exec, s[10:11]
	v_mov_b32_e32 v27, 8
	v_lshrrev_b32_sdwa v11, v27, v12 dst_sel:BYTE_1 dst_unused:UNUSED_PAD src0_sel:DWORD src1_sel:DWORD
	v_cndmask_b32_e64 v5, 0, 1, vcc
	v_or_b32_sdwa v11, v12, v11 dst_sel:DWORD dst_unused:UNUSED_PAD src0_sel:BYTE_0 src1_sel:DWORD
	v_lshlrev_b16_e32 v12, 8, v25
	v_or_b32_sdwa v5, v5, v12 dst_sel:WORD_1 dst_unused:UNUSED_PAD src0_sel:DWORD src1_sel:DWORD
	v_cndmask_b32_e64 v26, 0, 1, s[8:9]
	s_movk_i32 s4, 0xff
	v_or_b32_sdwa v11, v11, v5 dst_sel:DWORD dst_unused:UNUSED_PAD src0_sel:WORD_0 src1_sel:DWORD
	v_lshrrev_b32_sdwa v5, v27, v10 dst_sel:BYTE_1 dst_unused:UNUSED_PAD src0_sel:DWORD src1_sel:DWORD
	v_or_b32_sdwa v5, v10, v5 dst_sel:DWORD dst_unused:UNUSED_PAD src0_sel:BYTE_0 src1_sel:DWORD
	v_lshlrev_b16_e32 v12, 8, v26
	v_and_b32_sdwa v10, v10, s4 dst_sel:DWORD dst_unused:UNUSED_PAD src0_sel:WORD_1 src1_sel:DWORD
	v_or_b32_sdwa v10, v10, v12 dst_sel:WORD_1 dst_unused:UNUSED_PAD src0_sel:DWORD src1_sel:DWORD
	v_or_b32_sdwa v5, v5, v10 dst_sel:DWORD dst_unused:UNUSED_PAD src0_sel:WORD_0 src1_sel:DWORD
.LBB43_53:
	s_or_b64 exec, exec, s[6:7]
	v_add_u32_e32 v10, 3, v35
	v_cmp_le_u32_e32 vcc, s16, v10
	v_lshrrev_b32_e32 v12, 24, v9
                                        ; implicit-def: $vgpr10
                                        ; implicit-def: $vgpr36
	s_and_saveexec_b64 s[4:5], vcc
	s_xor_b64 s[4:5], exec, s[4:5]
	s_cbranch_execz .LBB43_55
; %bb.54:
	v_and_b32_e32 v10, 0xff0000, v11
	s_mov_b32 s6, 0x3020504
	s_movk_i32 s7, 0xff
	v_perm_b32 v36, v11, v10, s6
	v_lshlrev_b16_e32 v10, 8, v12
	v_and_b32_sdwa v11, v9, s7 dst_sel:DWORD dst_unused:UNUSED_PAD src0_sel:WORD_1 src1_sel:DWORD
	s_mov_b32 s6, 0x3060504
	v_or_b32_sdwa v10, v11, v10 dst_sel:WORD_1 dst_unused:UNUSED_PAD src0_sel:DWORD src1_sel:DWORD
	v_mov_b32_e32 v11, 8
	v_perm_b32 v8, v8, v8, s6
	v_lshrrev_b32_sdwa v10, v11, v9 dst_sel:BYTE_1 dst_unused:UNUSED_PRESERVE src0_sel:DWORD src1_sel:DWORD
	v_perm_b32 v7, v7, v7, s6
                                        ; implicit-def: $vgpr11
                                        ; implicit-def: $vgpr12
                                        ; implicit-def: $vgpr9
.LBB43_55:
	s_andn2_saveexec_b64 s[6:7], s[4:5]
	s_cbranch_execz .LBB43_59
; %bb.56:
	v_add_u32_e32 v10, s37, v22
	v_add_u32_e32 v25, s39, v22
	v_mul_lo_u32 v10, v10, s36
	v_mul_lo_u32 v25, v25, s38
	s_mov_b64 s[8:9], 0
	v_sub_u32_e32 v10, v10, v25
	v_cmp_lt_u32_e32 vcc, s40, v10
	v_cmp_ge_u32_e64 s[4:5], s40, v10
	s_and_saveexec_b64 s[10:11], s[4:5]
	s_cbranch_execz .LBB43_58
; %bb.57:
	v_add_u32_e32 v10, s42, v22
	v_add_u32_e32 v25, s56, v22
	v_mul_lo_u32 v10, v10, s41
	v_mul_lo_u32 v25, v25, s43
	v_sub_u32_e32 v10, v10, v25
	v_cmp_lt_u32_e64 s[4:5], s57, v10
	s_and_b64 s[8:9], s[4:5], exec
.LBB43_58:
	s_or_b64 exec, exec, s[10:11]
	v_mov_b32_e32 v26, 8
	v_cndmask_b32_e64 v10, 0, 1, vcc
	s_movk_i32 s4, 0xff
	v_lshrrev_b32_sdwa v27, v26, v11 dst_sel:BYTE_1 dst_unused:UNUSED_PAD src0_sel:DWORD src1_sel:DWORD
	v_or_b32_sdwa v27, v11, v27 dst_sel:DWORD dst_unused:UNUSED_PAD src0_sel:BYTE_0 src1_sel:DWORD
	v_lshlrev_b16_e32 v10, 8, v10
	v_and_b32_sdwa v11, v11, s4 dst_sel:DWORD dst_unused:UNUSED_PAD src0_sel:WORD_1 src1_sel:DWORD
	v_or_b32_sdwa v10, v11, v10 dst_sel:WORD_1 dst_unused:UNUSED_PAD src0_sel:DWORD src1_sel:DWORD
	v_cndmask_b32_e64 v25, 0, 1, s[8:9]
	v_or_b32_sdwa v36, v27, v10 dst_sel:DWORD dst_unused:UNUSED_PAD src0_sel:WORD_0 src1_sel:DWORD
	v_lshlrev_b16_e32 v10, 8, v12
	v_and_b32_sdwa v11, v9, s4 dst_sel:DWORD dst_unused:UNUSED_PAD src0_sel:WORD_1 src1_sel:DWORD
	v_lshrrev_b32_sdwa v9, v26, v9 dst_sel:BYTE_1 dst_unused:UNUSED_PAD src0_sel:DWORD src1_sel:DWORD
	v_or_b32_sdwa v10, v11, v10 dst_sel:WORD_1 dst_unused:UNUSED_PAD src0_sel:DWORD src1_sel:DWORD
	v_or_b32_e32 v9, v25, v9
	v_or_b32_sdwa v10, v9, v10 dst_sel:DWORD dst_unused:UNUSED_PAD src0_sel:WORD_0 src1_sel:DWORD
.LBB43_59:
	s_or_b64 exec, exec, s[6:7]
	v_add_u32_e32 v9, 4, v35
	v_cmp_le_u32_e32 vcc, s16, v9
	v_lshrrev_b32_e32 v25, 24, v8
	v_lshrrev_b32_e32 v12, 24, v10
                                        ; implicit-def: $vgpr11
                                        ; implicit-def: $vgpr9
	s_and_saveexec_b64 s[4:5], vcc
	s_xor_b64 s[4:5], exec, s[4:5]
	s_cbranch_execz .LBB43_61
; %bb.60:
	s_movk_i32 s6, 0xff
	v_lshlrev_b16_e32 v9, 8, v25
	v_and_b32_sdwa v25, v8, s6 dst_sel:DWORD dst_unused:UNUSED_PAD src0_sel:WORD_1 src1_sel:DWORD
	v_mov_b32_e32 v11, 8
	v_or_b32_sdwa v9, v25, v9 dst_sel:WORD_1 dst_unused:UNUSED_PAD src0_sel:DWORD src1_sel:DWORD
	v_lshrrev_b32_sdwa v9, v11, v8 dst_sel:BYTE_1 dst_unused:UNUSED_PRESERVE src0_sel:DWORD src1_sel:DWORD
	v_lshlrev_b16_e32 v8, 8, v12
	v_and_b32_sdwa v11, v10, s6 dst_sel:DWORD dst_unused:UNUSED_PAD src0_sel:WORD_1 src1_sel:DWORD
	v_or_b32_e32 v8, v11, v8
	s_mov_b32 s6, 0x5040c00
	v_perm_b32 v11, v8, v10, s6
	s_mov_b32 s6, 0x3060504
	v_perm_b32 v7, v7, v7, s6
                                        ; implicit-def: $vgpr25
                                        ; implicit-def: $vgpr8
                                        ; implicit-def: $vgpr10
                                        ; implicit-def: $vgpr12
.LBB43_61:
	s_andn2_saveexec_b64 s[6:7], s[4:5]
	s_cbranch_execz .LBB43_65
; %bb.62:
	v_add_u32_e32 v9, s37, v19
	v_add_u32_e32 v11, s39, v19
	v_mul_lo_u32 v9, v9, s36
	v_mul_lo_u32 v11, v11, s38
	s_mov_b64 s[8:9], 0
	v_sub_u32_e32 v9, v9, v11
	v_cmp_lt_u32_e32 vcc, s40, v9
	v_cmp_ge_u32_e64 s[4:5], s40, v9
	s_and_saveexec_b64 s[10:11], s[4:5]
	s_cbranch_execz .LBB43_64
; %bb.63:
	v_add_u32_e32 v9, s42, v19
	v_add_u32_e32 v11, s56, v19
	v_mul_lo_u32 v9, v9, s41
	v_mul_lo_u32 v11, v11, s43
	v_sub_u32_e32 v9, v9, v11
	v_cmp_lt_u32_e64 s[4:5], s57, v9
	s_and_b64 s[8:9], s[4:5], exec
.LBB43_64:
	s_or_b64 exec, exec, s[10:11]
	s_movk_i32 s4, 0xff
	v_lshlrev_b16_e32 v25, 8, v25
	v_and_b32_sdwa v26, v8, s4 dst_sel:DWORD dst_unused:UNUSED_PAD src0_sel:WORD_1 src1_sel:DWORD
	v_or_b32_sdwa v25, v26, v25 dst_sel:WORD_1 dst_unused:UNUSED_PAD src0_sel:DWORD src1_sel:DWORD
	v_mov_b32_e32 v26, 8
	v_cndmask_b32_e64 v9, 0, 1, vcc
	v_lshrrev_b32_sdwa v8, v26, v8 dst_sel:BYTE_1 dst_unused:UNUSED_PAD src0_sel:DWORD src1_sel:DWORD
	v_cndmask_b32_e64 v11, 0, 1, s[8:9]
	v_or_b32_e32 v8, v9, v8
	v_or_b32_sdwa v9, v8, v25 dst_sel:DWORD dst_unused:UNUSED_PAD src0_sel:WORD_0 src1_sel:DWORD
	v_lshlrev_b16_e32 v8, 8, v11
	v_or_b32_sdwa v8, v10, v8 dst_sel:DWORD dst_unused:UNUSED_PAD src0_sel:BYTE_0 src1_sel:DWORD
	v_lshlrev_b16_e32 v11, 8, v12
	v_and_b32_sdwa v10, v10, s4 dst_sel:DWORD dst_unused:UNUSED_PAD src0_sel:WORD_1 src1_sel:DWORD
	v_or_b32_sdwa v10, v10, v11 dst_sel:WORD_1 dst_unused:UNUSED_PAD src0_sel:DWORD src1_sel:DWORD
	v_or_b32_sdwa v11, v8, v10 dst_sel:DWORD dst_unused:UNUSED_PAD src0_sel:WORD_0 src1_sel:DWORD
.LBB43_65:
	s_or_b64 exec, exec, s[6:7]
	v_add_u32_e32 v8, 5, v35
	v_cmp_le_u32_e32 vcc, s16, v8
	v_lshrrev_b32_e32 v12, 24, v11
	v_lshrrev_b32_e32 v25, 24, v9
                                        ; implicit-def: $vgpr8
                                        ; implicit-def: $vgpr10
	s_and_saveexec_b64 s[4:5], vcc
	s_xor_b64 s[4:5], exec, s[4:5]
	s_cbranch_execz .LBB43_67
; %bb.66:
	s_mov_b32 s6, 0x40c0100
	v_perm_b32 v8, v12, v11, s6
	s_movk_i32 s6, 0xff
	v_lshlrev_b16_e32 v10, 8, v25
	v_and_b32_sdwa v11, v9, s6 dst_sel:DWORD dst_unused:UNUSED_PAD src0_sel:WORD_1 src1_sel:DWORD
	v_or_b32_e32 v10, v11, v10
	s_mov_b32 s6, 0x5040c00
	v_perm_b32 v10, v10, v9, s6
	v_mov_b32_e32 v9, 8
	v_lshrrev_b32_sdwa v9, v9, v8 dst_sel:BYTE_1 dst_unused:UNUSED_PAD src0_sel:DWORD src1_sel:DWORD
	v_or_b32_sdwa v9, v8, v9 dst_sel:DWORD dst_unused:UNUSED_PAD src0_sel:BYTE_0 src1_sel:DWORD
	v_and_b32_e32 v9, 0xffff, v9
	s_mov_b32 s6, 0xff000000
	v_and_or_b32 v8, v8, s6, v9
	s_mov_b32 s6, 0x3060504
	v_perm_b32 v7, v7, v7, s6
                                        ; implicit-def: $vgpr9
                                        ; implicit-def: $vgpr25
                                        ; implicit-def: $vgpr11
                                        ; implicit-def: $vgpr12
.LBB43_67:
	s_andn2_saveexec_b64 s[6:7], s[4:5]
	s_cbranch_execz .LBB43_71
; %bb.68:
	v_add_u32_e32 v8, s37, v20
	v_add_u32_e32 v10, s39, v20
	v_mul_lo_u32 v8, v8, s36
	v_mul_lo_u32 v10, v10, s38
	s_mov_b64 s[8:9], 0
	v_sub_u32_e32 v8, v8, v10
	v_cmp_lt_u32_e32 vcc, s40, v8
	v_cmp_ge_u32_e64 s[4:5], s40, v8
	s_and_saveexec_b64 s[10:11], s[4:5]
	s_cbranch_execz .LBB43_70
; %bb.69:
	v_add_u32_e32 v8, s42, v20
	v_add_u32_e32 v10, s56, v20
	v_mul_lo_u32 v8, v8, s41
	v_mul_lo_u32 v10, v10, s43
	v_sub_u32_e32 v8, v8, v10
	v_cmp_lt_u32_e64 s[4:5], s57, v8
	s_and_b64 s[8:9], s[4:5], exec
.LBB43_70:
	s_or_b64 exec, exec, s[10:11]
	v_cndmask_b32_e64 v8, 0, 1, vcc
	v_lshlrev_b16_e32 v8, 8, v8
	s_movk_i32 s4, 0xff
	v_or_b32_sdwa v8, v9, v8 dst_sel:DWORD dst_unused:UNUSED_PAD src0_sel:BYTE_0 src1_sel:DWORD
	v_lshlrev_b16_e32 v10, 8, v25
	v_and_b32_sdwa v9, v9, s4 dst_sel:DWORD dst_unused:UNUSED_PAD src0_sel:WORD_1 src1_sel:DWORD
	v_or_b32_sdwa v9, v9, v10 dst_sel:WORD_1 dst_unused:UNUSED_PAD src0_sel:DWORD src1_sel:DWORD
	v_or_b32_sdwa v10, v8, v9 dst_sel:DWORD dst_unused:UNUSED_PAD src0_sel:WORD_0 src1_sel:DWORD
	v_mov_b32_e32 v8, 8
	v_cndmask_b32_e64 v26, 0, 1, s[8:9]
	v_lshrrev_b32_sdwa v8, v8, v11 dst_sel:BYTE_1 dst_unused:UNUSED_PAD src0_sel:DWORD src1_sel:DWORD
	v_lshlrev_b16_e32 v9, 8, v12
	v_or_b32_sdwa v8, v11, v8 dst_sel:DWORD dst_unused:UNUSED_PAD src0_sel:BYTE_0 src1_sel:DWORD
	v_or_b32_sdwa v9, v26, v9 dst_sel:WORD_1 dst_unused:UNUSED_PAD src0_sel:DWORD src1_sel:DWORD
	v_or_b32_sdwa v8, v8, v9 dst_sel:DWORD dst_unused:UNUSED_PAD src0_sel:WORD_0 src1_sel:DWORD
.LBB43_71:
	s_or_b64 exec, exec, s[6:7]
	v_add_u32_e32 v9, 6, v35
	v_cmp_le_u32_e32 vcc, s16, v9
	v_lshrrev_b32_e32 v11, 24, v10
                                        ; implicit-def: $vgpr37
                                        ; implicit-def: $vgpr9
	s_and_saveexec_b64 s[4:5], vcc
	s_xor_b64 s[4:5], exec, s[4:5]
	s_cbranch_execz .LBB43_73
; %bb.72:
	s_mov_b32 s6, 0x40c0100
	v_perm_b32 v9, v11, v10, s6
	v_mov_b32_e32 v10, 8
	v_lshrrev_b32_sdwa v10, v10, v9 dst_sel:BYTE_1 dst_unused:UNUSED_PAD src0_sel:DWORD src1_sel:DWORD
	v_or_b32_sdwa v10, v9, v10 dst_sel:DWORD dst_unused:UNUSED_PAD src0_sel:BYTE_0 src1_sel:DWORD
	v_and_b32_e32 v10, 0xffff, v10
	s_mov_b32 s6, 0xff000000
	v_and_b32_e32 v12, 0xff0000, v8
	v_and_or_b32 v9, v9, s6, v10
	s_mov_b32 s6, 0x3020504
	v_perm_b32 v37, v8, v12, s6
	s_mov_b32 s6, 0x3060504
	v_perm_b32 v7, v7, v7, s6
                                        ; implicit-def: $vgpr10
                                        ; implicit-def: $vgpr11
                                        ; implicit-def: $vgpr8
.LBB43_73:
	s_andn2_saveexec_b64 s[6:7], s[4:5]
	s_cbranch_execz .LBB43_77
; %bb.74:
	v_add_u32_e32 v9, s37, v17
	v_add_u32_e32 v12, s39, v17
	v_mul_lo_u32 v9, v9, s36
	v_mul_lo_u32 v12, v12, s38
	s_mov_b64 s[8:9], 0
	v_sub_u32_e32 v9, v9, v12
	v_cmp_lt_u32_e32 vcc, s40, v9
	v_cmp_ge_u32_e64 s[4:5], s40, v9
	s_and_saveexec_b64 s[10:11], s[4:5]
	s_cbranch_execz .LBB43_76
; %bb.75:
	v_add_u32_e32 v9, s42, v17
	v_add_u32_e32 v12, s56, v17
	v_mul_lo_u32 v9, v9, s41
	v_mul_lo_u32 v12, v12, s43
	v_sub_u32_e32 v9, v9, v12
	v_cmp_lt_u32_e64 s[4:5], s57, v9
	s_and_b64 s[8:9], s[4:5], exec
.LBB43_76:
	s_or_b64 exec, exec, s[10:11]
	v_mov_b32_e32 v25, 8
	v_cndmask_b32_e64 v9, 0, 1, vcc
	v_lshrrev_b32_sdwa v26, v25, v10 dst_sel:BYTE_1 dst_unused:UNUSED_PAD src0_sel:DWORD src1_sel:DWORD
	v_lshlrev_b16_e32 v11, 8, v11
	v_or_b32_sdwa v10, v10, v26 dst_sel:DWORD dst_unused:UNUSED_PAD src0_sel:BYTE_0 src1_sel:DWORD
	v_or_b32_sdwa v9, v9, v11 dst_sel:WORD_1 dst_unused:UNUSED_PAD src0_sel:DWORD src1_sel:DWORD
	v_cndmask_b32_e64 v12, 0, 1, s[8:9]
	s_movk_i32 s4, 0xff
	v_or_b32_sdwa v9, v10, v9 dst_sel:DWORD dst_unused:UNUSED_PAD src0_sel:WORD_0 src1_sel:DWORD
	v_lshrrev_b32_sdwa v10, v25, v8 dst_sel:BYTE_1 dst_unused:UNUSED_PAD src0_sel:DWORD src1_sel:DWORD
	v_or_b32_sdwa v10, v8, v10 dst_sel:DWORD dst_unused:UNUSED_PAD src0_sel:BYTE_0 src1_sel:DWORD
	v_lshlrev_b16_e32 v11, 8, v12
	v_and_b32_sdwa v8, v8, s4 dst_sel:DWORD dst_unused:UNUSED_PAD src0_sel:WORD_1 src1_sel:DWORD
	v_or_b32_sdwa v8, v8, v11 dst_sel:WORD_1 dst_unused:UNUSED_PAD src0_sel:DWORD src1_sel:DWORD
	v_or_b32_sdwa v37, v10, v8 dst_sel:DWORD dst_unused:UNUSED_PAD src0_sel:WORD_0 src1_sel:DWORD
.LBB43_77:
	s_or_b64 exec, exec, s[6:7]
	v_add_u32_e32 v8, 7, v35
	v_cmp_le_u32_e32 vcc, s16, v8
	v_lshrrev_b32_e32 v10, 24, v7
                                        ; implicit-def: $vgpr8
                                        ; implicit-def: $vgpr38
	s_and_saveexec_b64 s[4:5], vcc
	s_xor_b64 s[4:5], exec, s[4:5]
; %bb.78:
	v_and_b32_e32 v8, 0xff0000, v9
	s_mov_b32 s6, 0x3020504
	v_perm_b32 v38, v9, v8, s6
	s_movk_i32 s6, 0xff
	v_lshlrev_b16_e32 v8, 8, v10
	v_and_b32_sdwa v9, v7, s6 dst_sel:DWORD dst_unused:UNUSED_PAD src0_sel:WORD_1 src1_sel:DWORD
	v_mov_b32_e32 v11, 8
	v_or_b32_sdwa v8, v9, v8 dst_sel:WORD_1 dst_unused:UNUSED_PAD src0_sel:DWORD src1_sel:DWORD
	v_lshrrev_b32_sdwa v8, v11, v7 dst_sel:BYTE_1 dst_unused:UNUSED_PRESERVE src0_sel:DWORD src1_sel:DWORD
                                        ; implicit-def: $vgpr9
                                        ; implicit-def: $vgpr10
                                        ; implicit-def: $vgpr7
; %bb.79:
	s_andn2_saveexec_b64 s[6:7], s[4:5]
	s_cbranch_execz .LBB43_83
; %bb.80:
	v_add_u32_e32 v8, s37, v18
	v_add_u32_e32 v11, s39, v18
	v_mul_lo_u32 v8, v8, s36
	v_mul_lo_u32 v11, v11, s38
	s_mov_b64 s[8:9], 0
	v_sub_u32_e32 v8, v8, v11
	v_cmp_lt_u32_e32 vcc, s40, v8
	v_cmp_ge_u32_e64 s[4:5], s40, v8
	s_and_saveexec_b64 s[10:11], s[4:5]
	s_cbranch_execz .LBB43_82
; %bb.81:
	v_add_u32_e32 v8, s42, v18
	v_add_u32_e32 v11, s56, v18
	v_mul_lo_u32 v8, v8, s41
	v_mul_lo_u32 v11, v11, s43
	v_sub_u32_e32 v8, v8, v11
	v_cmp_lt_u32_e64 s[4:5], s57, v8
	s_and_b64 s[8:9], s[4:5], exec
.LBB43_82:
	s_or_b64 exec, exec, s[10:11]
	v_mov_b32_e32 v12, 8
	v_cndmask_b32_e64 v8, 0, 1, vcc
	s_movk_i32 s4, 0xff
	v_lshrrev_b32_sdwa v25, v12, v9 dst_sel:BYTE_1 dst_unused:UNUSED_PAD src0_sel:DWORD src1_sel:DWORD
	v_or_b32_sdwa v25, v9, v25 dst_sel:DWORD dst_unused:UNUSED_PAD src0_sel:BYTE_0 src1_sel:DWORD
	v_lshlrev_b16_e32 v8, 8, v8
	v_and_b32_sdwa v9, v9, s4 dst_sel:DWORD dst_unused:UNUSED_PAD src0_sel:WORD_1 src1_sel:DWORD
	v_or_b32_sdwa v8, v9, v8 dst_sel:WORD_1 dst_unused:UNUSED_PAD src0_sel:DWORD src1_sel:DWORD
	v_cndmask_b32_e64 v11, 0, 1, s[8:9]
	v_or_b32_sdwa v38, v25, v8 dst_sel:DWORD dst_unused:UNUSED_PAD src0_sel:WORD_0 src1_sel:DWORD
	v_lshlrev_b16_e32 v8, 8, v10
	v_and_b32_sdwa v9, v7, s4 dst_sel:DWORD dst_unused:UNUSED_PAD src0_sel:WORD_1 src1_sel:DWORD
	v_lshrrev_b32_sdwa v7, v12, v7 dst_sel:BYTE_1 dst_unused:UNUSED_PAD src0_sel:DWORD src1_sel:DWORD
	v_or_b32_sdwa v8, v9, v8 dst_sel:WORD_1 dst_unused:UNUSED_PAD src0_sel:DWORD src1_sel:DWORD
	v_or_b32_e32 v7, v11, v7
	v_or_b32_sdwa v8, v7, v8 dst_sel:DWORD dst_unused:UNUSED_PAD src0_sel:WORD_0 src1_sel:DWORD
.LBB43_83:
	s_or_b64 exec, exec, s[6:7]
	v_add_u32_e32 v7, 8, v35
	v_cmp_le_u32_e32 vcc, s16, v7
	v_lshrrev_b32_e32 v10, 24, v8
	v_lshrrev_b32_e32 v11, 24, v6
                                        ; implicit-def: $vgpr9
                                        ; implicit-def: $vgpr7
	s_and_saveexec_b64 s[4:5], vcc
	s_xor_b64 s[4:5], exec, s[4:5]
	s_cbranch_execz .LBB43_85
; %bb.84:
	s_movk_i32 s6, 0xff
	v_lshlrev_b16_e32 v7, 8, v11
	v_and_b32_sdwa v9, v6, s6 dst_sel:DWORD dst_unused:UNUSED_PAD src0_sel:WORD_1 src1_sel:DWORD
	v_or_b32_sdwa v7, v9, v7 dst_sel:WORD_1 dst_unused:UNUSED_PAD src0_sel:DWORD src1_sel:DWORD
	v_mov_b32_e32 v9, 8
	v_lshrrev_b32_sdwa v7, v9, v6 dst_sel:BYTE_1 dst_unused:UNUSED_PRESERVE src0_sel:DWORD src1_sel:DWORD
	v_lshlrev_b16_e32 v6, 8, v10
	v_and_b32_sdwa v9, v8, s6 dst_sel:DWORD dst_unused:UNUSED_PAD src0_sel:WORD_1 src1_sel:DWORD
	s_mov_b32 s7, 0x3060504
	v_or_b32_e32 v6, v9, v6
	s_mov_b32 s6, 0x5040c00
	v_perm_b32 v5, v5, v5, s7
	v_perm_b32 v9, v6, v8, s6
                                        ; implicit-def: $vgpr11
                                        ; implicit-def: $vgpr6
                                        ; implicit-def: $vgpr8
                                        ; implicit-def: $vgpr10
.LBB43_85:
	s_andn2_saveexec_b64 s[6:7], s[4:5]
	s_cbranch_execz .LBB43_89
; %bb.86:
	v_add_u32_e32 v7, s37, v15
	v_add_u32_e32 v9, s39, v15
	v_mul_lo_u32 v7, v7, s36
	v_mul_lo_u32 v9, v9, s38
	s_mov_b64 s[8:9], 0
	v_sub_u32_e32 v7, v7, v9
	v_cmp_lt_u32_e32 vcc, s40, v7
	v_cmp_ge_u32_e64 s[4:5], s40, v7
	s_and_saveexec_b64 s[10:11], s[4:5]
	s_cbranch_execz .LBB43_88
; %bb.87:
	v_add_u32_e32 v7, s42, v15
	v_add_u32_e32 v9, s56, v15
	v_mul_lo_u32 v7, v7, s41
	v_mul_lo_u32 v9, v9, s43
	v_sub_u32_e32 v7, v7, v9
	v_cmp_lt_u32_e64 s[4:5], s57, v7
	s_and_b64 s[8:9], s[4:5], exec
.LBB43_88:
	s_or_b64 exec, exec, s[10:11]
	s_movk_i32 s4, 0xff
	v_lshlrev_b16_e32 v11, 8, v11
	v_and_b32_sdwa v12, v6, s4 dst_sel:DWORD dst_unused:UNUSED_PAD src0_sel:WORD_1 src1_sel:DWORD
	v_or_b32_sdwa v11, v12, v11 dst_sel:WORD_1 dst_unused:UNUSED_PAD src0_sel:DWORD src1_sel:DWORD
	v_mov_b32_e32 v12, 8
	v_cndmask_b32_e64 v7, 0, 1, vcc
	v_lshrrev_b32_sdwa v6, v12, v6 dst_sel:BYTE_1 dst_unused:UNUSED_PAD src0_sel:DWORD src1_sel:DWORD
	v_cndmask_b32_e64 v9, 0, 1, s[8:9]
	v_or_b32_e32 v6, v7, v6
	v_or_b32_sdwa v7, v6, v11 dst_sel:DWORD dst_unused:UNUSED_PAD src0_sel:WORD_0 src1_sel:DWORD
	v_lshlrev_b16_e32 v6, 8, v9
	v_or_b32_sdwa v6, v8, v6 dst_sel:DWORD dst_unused:UNUSED_PAD src0_sel:BYTE_0 src1_sel:DWORD
	v_lshlrev_b16_e32 v9, 8, v10
	v_and_b32_sdwa v8, v8, s4 dst_sel:DWORD dst_unused:UNUSED_PAD src0_sel:WORD_1 src1_sel:DWORD
	v_or_b32_sdwa v8, v8, v9 dst_sel:WORD_1 dst_unused:UNUSED_PAD src0_sel:DWORD src1_sel:DWORD
	v_or_b32_sdwa v9, v6, v8 dst_sel:DWORD dst_unused:UNUSED_PAD src0_sel:WORD_0 src1_sel:DWORD
.LBB43_89:
	s_or_b64 exec, exec, s[6:7]
	v_add_u32_e32 v6, 9, v35
	v_cmp_le_u32_e32 vcc, s16, v6
	v_lshrrev_b32_e32 v10, 24, v9
	v_lshrrev_b32_e32 v11, 24, v7
                                        ; implicit-def: $vgpr6
                                        ; implicit-def: $vgpr8
	s_and_saveexec_b64 s[4:5], vcc
	s_xor_b64 s[4:5], exec, s[4:5]
	s_cbranch_execz .LBB43_91
; %bb.90:
	s_mov_b32 s6, 0x40c0100
	v_perm_b32 v6, v10, v9, s6
	v_mov_b32_e32 v8, 8
	s_movk_i32 s6, 0xff
	v_lshrrev_b32_sdwa v9, v8, v6 dst_sel:BYTE_1 dst_unused:UNUSED_PAD src0_sel:DWORD src1_sel:DWORD
	v_lshlrev_b16_e32 v8, 8, v11
	v_and_b32_sdwa v10, v7, s6 dst_sel:DWORD dst_unused:UNUSED_PAD src0_sel:WORD_1 src1_sel:DWORD
	v_or_b32_e32 v8, v10, v8
	s_mov_b32 s6, 0x5040c00
	v_perm_b32 v8, v8, v7, s6
	s_mov_b32 s6, 0x3060504
	v_or_b32_sdwa v7, v6, v9 dst_sel:DWORD dst_unused:UNUSED_PAD src0_sel:BYTE_0 src1_sel:DWORD
	v_perm_b32 v5, v5, v5, s6
	v_and_b32_e32 v7, 0xffff, v7
	s_mov_b32 s6, 0xff000000
	v_and_or_b32 v6, v6, s6, v7
                                        ; implicit-def: $vgpr7
                                        ; implicit-def: $vgpr11
                                        ; implicit-def: $vgpr9
                                        ; implicit-def: $vgpr10
.LBB43_91:
	s_andn2_saveexec_b64 s[6:7], s[4:5]
	s_cbranch_execz .LBB43_95
; %bb.92:
	v_add_u32_e32 v6, s37, v16
	v_add_u32_e32 v8, s39, v16
	v_mul_lo_u32 v6, v6, s36
	v_mul_lo_u32 v8, v8, s38
	s_mov_b64 s[8:9], 0
	v_sub_u32_e32 v6, v6, v8
	v_cmp_lt_u32_e32 vcc, s40, v6
	v_cmp_ge_u32_e64 s[4:5], s40, v6
	s_and_saveexec_b64 s[10:11], s[4:5]
	s_cbranch_execz .LBB43_94
; %bb.93:
	v_add_u32_e32 v6, s42, v16
	v_add_u32_e32 v8, s56, v16
	v_mul_lo_u32 v6, v6, s41
	v_mul_lo_u32 v8, v8, s43
	v_sub_u32_e32 v6, v6, v8
	v_cmp_lt_u32_e64 s[4:5], s57, v6
	s_and_b64 s[8:9], s[4:5], exec
.LBB43_94:
	s_or_b64 exec, exec, s[10:11]
	v_cndmask_b32_e64 v6, 0, 1, vcc
	v_lshlrev_b16_e32 v6, 8, v6
	s_movk_i32 s4, 0xff
	v_or_b32_sdwa v6, v7, v6 dst_sel:DWORD dst_unused:UNUSED_PAD src0_sel:BYTE_0 src1_sel:DWORD
	v_lshlrev_b16_e32 v8, 8, v11
	v_and_b32_sdwa v7, v7, s4 dst_sel:DWORD dst_unused:UNUSED_PAD src0_sel:WORD_1 src1_sel:DWORD
	v_or_b32_sdwa v7, v7, v8 dst_sel:WORD_1 dst_unused:UNUSED_PAD src0_sel:DWORD src1_sel:DWORD
	v_or_b32_sdwa v8, v6, v7 dst_sel:DWORD dst_unused:UNUSED_PAD src0_sel:WORD_0 src1_sel:DWORD
	v_mov_b32_e32 v6, 8
	v_cndmask_b32_e64 v12, 0, 1, s[8:9]
	v_lshrrev_b32_sdwa v6, v6, v9 dst_sel:BYTE_1 dst_unused:UNUSED_PAD src0_sel:DWORD src1_sel:DWORD
	v_lshlrev_b16_e32 v7, 8, v10
	v_or_b32_sdwa v6, v9, v6 dst_sel:DWORD dst_unused:UNUSED_PAD src0_sel:BYTE_0 src1_sel:DWORD
	v_or_b32_sdwa v7, v12, v7 dst_sel:WORD_1 dst_unused:UNUSED_PAD src0_sel:DWORD src1_sel:DWORD
	v_or_b32_sdwa v6, v6, v7 dst_sel:DWORD dst_unused:UNUSED_PAD src0_sel:WORD_0 src1_sel:DWORD
.LBB43_95:
	s_or_b64 exec, exec, s[6:7]
	v_add_u32_e32 v7, 10, v35
	v_cmp_le_u32_e32 vcc, s16, v7
	v_lshrrev_b32_e32 v9, 24, v8
                                        ; implicit-def: $vgpr39
                                        ; implicit-def: $vgpr7
	s_and_saveexec_b64 s[4:5], vcc
	s_xor_b64 s[4:5], exec, s[4:5]
	s_cbranch_execz .LBB43_97
; %bb.96:
	s_mov_b32 s6, 0x40c0100
	v_perm_b32 v7, v9, v8, s6
	v_mov_b32_e32 v8, 8
	v_lshrrev_b32_sdwa v8, v8, v7 dst_sel:BYTE_1 dst_unused:UNUSED_PAD src0_sel:DWORD src1_sel:DWORD
	v_or_b32_sdwa v8, v7, v8 dst_sel:DWORD dst_unused:UNUSED_PAD src0_sel:BYTE_0 src1_sel:DWORD
	v_and_b32_e32 v8, 0xffff, v8
	s_mov_b32 s6, 0xff000000
	v_and_or_b32 v7, v7, s6, v8
	s_mov_b32 s6, 0x3060504
	v_and_b32_e32 v10, 0xff0000, v6
	v_perm_b32 v5, v5, v5, s6
	s_mov_b32 s6, 0x3020504
	v_perm_b32 v39, v6, v10, s6
                                        ; implicit-def: $vgpr8
                                        ; implicit-def: $vgpr9
                                        ; implicit-def: $vgpr6
.LBB43_97:
	s_andn2_saveexec_b64 s[6:7], s[4:5]
	s_cbranch_execz .LBB43_101
; %bb.98:
	v_add_u32_e32 v7, s37, v13
	v_add_u32_e32 v10, s39, v13
	v_mul_lo_u32 v7, v7, s36
	v_mul_lo_u32 v10, v10, s38
	s_mov_b64 s[8:9], 0
	v_sub_u32_e32 v7, v7, v10
	v_cmp_lt_u32_e32 vcc, s40, v7
	v_cmp_ge_u32_e64 s[4:5], s40, v7
	s_and_saveexec_b64 s[10:11], s[4:5]
	s_cbranch_execz .LBB43_100
; %bb.99:
	v_add_u32_e32 v7, s42, v13
	v_add_u32_e32 v10, s56, v13
	v_mul_lo_u32 v7, v7, s41
	v_mul_lo_u32 v10, v10, s43
	v_sub_u32_e32 v7, v7, v10
	v_cmp_lt_u32_e64 s[4:5], s57, v7
	s_and_b64 s[8:9], s[4:5], exec
.LBB43_100:
	s_or_b64 exec, exec, s[10:11]
	v_mov_b32_e32 v11, 8
	v_cndmask_b32_e64 v7, 0, 1, vcc
	v_lshrrev_b32_sdwa v12, v11, v8 dst_sel:BYTE_1 dst_unused:UNUSED_PAD src0_sel:DWORD src1_sel:DWORD
	v_lshlrev_b16_e32 v9, 8, v9
	v_or_b32_sdwa v8, v8, v12 dst_sel:DWORD dst_unused:UNUSED_PAD src0_sel:BYTE_0 src1_sel:DWORD
	v_or_b32_sdwa v7, v7, v9 dst_sel:WORD_1 dst_unused:UNUSED_PAD src0_sel:DWORD src1_sel:DWORD
	v_cndmask_b32_e64 v10, 0, 1, s[8:9]
	s_movk_i32 s4, 0xff
	v_or_b32_sdwa v7, v8, v7 dst_sel:DWORD dst_unused:UNUSED_PAD src0_sel:WORD_0 src1_sel:DWORD
	v_lshrrev_b32_sdwa v8, v11, v6 dst_sel:BYTE_1 dst_unused:UNUSED_PAD src0_sel:DWORD src1_sel:DWORD
	v_or_b32_sdwa v8, v6, v8 dst_sel:DWORD dst_unused:UNUSED_PAD src0_sel:BYTE_0 src1_sel:DWORD
	v_lshlrev_b16_e32 v9, 8, v10
	v_and_b32_sdwa v6, v6, s4 dst_sel:DWORD dst_unused:UNUSED_PAD src0_sel:WORD_1 src1_sel:DWORD
	v_or_b32_sdwa v6, v6, v9 dst_sel:WORD_1 dst_unused:UNUSED_PAD src0_sel:DWORD src1_sel:DWORD
	v_or_b32_sdwa v39, v8, v6 dst_sel:DWORD dst_unused:UNUSED_PAD src0_sel:WORD_0 src1_sel:DWORD
.LBB43_101:
	s_or_b64 exec, exec, s[6:7]
	v_add_u32_e32 v6, 11, v35
	v_mov_b32_e32 v40, 0
	v_cmp_le_u32_e32 vcc, s16, v6
                                        ; implicit-def: $vgpr41
	s_and_saveexec_b64 s[4:5], vcc
	s_xor_b64 s[4:5], exec, s[4:5]
; %bb.102:
	v_and_b32_e32 v6, 0xff0000, v7
	s_mov_b32 s6, 0x3020504
	v_perm_b32 v41, v7, v6, s6
	s_mov_b32 s6, 0x3060504
	v_perm_b32 v5, v5, v5, s6
                                        ; implicit-def: $vgpr7
; %bb.103:
	s_andn2_saveexec_b64 s[6:7], s[4:5]
	s_cbranch_execz .LBB43_107
; %bb.104:
	v_add_u32_e32 v6, s37, v14
	v_add_u32_e32 v8, s39, v14
	v_mul_lo_u32 v6, v6, s36
	v_mul_lo_u32 v8, v8, s38
	s_mov_b64 s[8:9], 0
	v_sub_u32_e32 v6, v6, v8
	v_cmp_lt_u32_e32 vcc, s40, v6
	v_cmp_ge_u32_e64 s[4:5], s40, v6
	s_and_saveexec_b64 s[10:11], s[4:5]
	s_cbranch_execz .LBB43_106
; %bb.105:
	v_add_u32_e32 v6, s42, v14
	v_add_u32_e32 v8, s56, v14
	v_mul_lo_u32 v6, v6, s41
	v_mul_lo_u32 v8, v8, s43
	v_sub_u32_e32 v6, v6, v8
	v_cmp_lt_u32_e64 s[4:5], s57, v6
	s_and_b64 s[8:9], s[4:5], exec
.LBB43_106:
	s_or_b64 exec, exec, s[10:11]
	v_mov_b32_e32 v8, 8
	v_cndmask_b32_e64 v6, 0, 1, vcc
	s_movk_i32 s4, 0xff
	v_lshrrev_b32_sdwa v8, v8, v7 dst_sel:BYTE_1 dst_unused:UNUSED_PAD src0_sel:DWORD src1_sel:DWORD
	v_or_b32_sdwa v8, v7, v8 dst_sel:DWORD dst_unused:UNUSED_PAD src0_sel:BYTE_0 src1_sel:DWORD
	v_lshlrev_b16_e32 v6, 8, v6
	v_and_b32_sdwa v7, v7, s4 dst_sel:DWORD dst_unused:UNUSED_PAD src0_sel:WORD_1 src1_sel:DWORD
	v_or_b32_sdwa v6, v7, v6 dst_sel:WORD_1 dst_unused:UNUSED_PAD src0_sel:DWORD src1_sel:DWORD
	v_cndmask_b32_e64 v40, 0, 1, s[8:9]
	v_or_b32_sdwa v41, v8, v6 dst_sel:DWORD dst_unused:UNUSED_PAD src0_sel:WORD_0 src1_sel:DWORD
.LBB43_107:
	s_or_b64 exec, exec, s[6:7]
	v_add_u32_e32 v6, 12, v35
	v_cmp_le_u32_e32 vcc, s16, v6
	v_lshrrev_b32_e32 v6, 24, v5
                                        ; implicit-def: $vgpr42
	s_and_saveexec_b64 s[4:5], vcc
	s_xor_b64 s[4:5], exec, s[4:5]
; %bb.108:
	s_movk_i32 s6, 0xff
	v_lshlrev_b16_e32 v6, 8, v6
	v_and_b32_sdwa v8, v5, s6 dst_sel:DWORD dst_unused:UNUSED_PAD src0_sel:WORD_1 src1_sel:DWORD
	v_mov_b32_e32 v7, 8
	v_or_b32_sdwa v42, v8, v6 dst_sel:WORD_1 dst_unused:UNUSED_PAD src0_sel:DWORD src1_sel:DWORD
	v_lshrrev_b32_sdwa v42, v7, v5 dst_sel:BYTE_1 dst_unused:UNUSED_PRESERVE src0_sel:DWORD src1_sel:DWORD
                                        ; implicit-def: $vgpr6
                                        ; implicit-def: $vgpr5
; %bb.109:
	s_or_saveexec_b64 s[6:7], s[4:5]
	v_mov_b32_e32 v43, 0
	s_xor_b64 exec, exec, s[6:7]
	s_cbranch_execz .LBB43_113
; %bb.110:
	v_add_u32_e32 v7, s37, v34
	v_add_u32_e32 v8, s39, v34
	v_mul_lo_u32 v7, v7, s36
	v_mul_lo_u32 v8, v8, s38
	s_mov_b64 s[8:9], 0
	v_sub_u32_e32 v7, v7, v8
	v_cmp_lt_u32_e32 vcc, s40, v7
	v_cmp_ge_u32_e64 s[4:5], s40, v7
	s_and_saveexec_b64 s[10:11], s[4:5]
	s_cbranch_execz .LBB43_112
; %bb.111:
	v_add_u32_e32 v7, s42, v34
	v_add_u32_e32 v8, s56, v34
	v_mul_lo_u32 v7, v7, s41
	v_mul_lo_u32 v8, v8, s43
	v_sub_u32_e32 v7, v7, v8
	v_cmp_lt_u32_e64 s[4:5], s57, v7
	s_and_b64 s[8:9], s[4:5], exec
.LBB43_112:
	s_or_b64 exec, exec, s[10:11]
	s_movk_i32 s4, 0xff
	v_lshlrev_b16_e32 v6, 8, v6
	v_and_b32_sdwa v8, v5, s4 dst_sel:DWORD dst_unused:UNUSED_PAD src0_sel:WORD_1 src1_sel:DWORD
	v_or_b32_sdwa v6, v8, v6 dst_sel:WORD_1 dst_unused:UNUSED_PAD src0_sel:DWORD src1_sel:DWORD
	v_mov_b32_e32 v8, 8
	v_cndmask_b32_e64 v7, 0, 1, vcc
	v_lshrrev_b32_sdwa v5, v8, v5 dst_sel:BYTE_1 dst_unused:UNUSED_PAD src0_sel:DWORD src1_sel:DWORD
	v_or_b32_e32 v5, v7, v5
	v_cndmask_b32_e64 v43, 0, 1, s[8:9]
	v_or_b32_sdwa v42, v5, v6 dst_sel:DWORD dst_unused:UNUSED_PAD src0_sel:WORD_0 src1_sel:DWORD
.LBB43_113:
	s_or_b64 exec, exec, s[6:7]
.LBB43_114:
	v_and_b32_e32 v53, 0xff, v36
	v_bfe_u32 v50, v36, 8, 8
	v_bfe_u32 v55, v36, 16, 8
	v_lshrrev_b32_e32 v48, 24, v36
	v_and_b32_e32 v56, 0xff, v38
	v_add3_u32 v8, v50, v53, v55
	v_bfe_u32 v51, v38, 8, 8
	v_bfe_u32 v58, v38, 16, 8
	v_add3_u32 v8, v8, v48, v56
	v_bfe_u32 v54, v42, 8, 8
	v_bfe_u32 v62, v42, 16, 8
	v_lshrrev_b32_e32 v49, 24, v42
	v_lshrrev_b32_e32 v46, 24, v38
	v_and_b32_e32 v59, 0xff, v41
	v_add3_u32 v8, v8, v51, v58
	v_and_b32_e32 v63, 0xff, v37
	v_bfe_u32 v57, v37, 8, 8
	v_bfe_u32 v52, v41, 8, 8
	;; [unrolled: 1-line block ×3, first 2 shown]
	v_add3_u32 v7, v62, v54, v49
	v_add3_u32 v8, v8, v46, v59
	v_bfe_u32 v64, v37, 16, 8
	v_lshrrev_b32_e32 v47, 24, v37
	v_lshrrev_b32_e32 v44, 24, v41
	v_and_b32_e32 v5, 0xff, v42
	v_add3_u32 v7, v7, v63, v57
	v_add3_u32 v8, v8, v52, v61
	v_and_b32_e32 v65, 0xff, v39
	v_bfe_u32 v60, v39, 8, 8
	v_add3_u32 v7, v7, v64, v47
	v_add3_u32 v73, v8, v44, v5
	v_mbcnt_lo_u32_b32 v5, -1, 0
	v_bfe_u32 v66, v39, 16, 8
	v_lshrrev_b32_e32 v45, 24, v39
	v_add3_u32 v7, v7, v65, v60
	v_mbcnt_hi_u32_b32 v68, -1, v5
	v_and_b32_e32 v67, 0xff, v40
	v_and_b32_e32 v6, 0xff, v43
	v_add3_u32 v7, v7, v66, v45
	v_and_b32_e32 v72, 15, v68
	s_cmp_lg_u32 s33, 0
	v_add3_u32 v74, v7, v67, v6
	v_cmp_eq_u32_e64 s[6:7], 0, v72
	v_cmp_lt_u32_e64 s[4:5], 1, v72
	v_cmp_lt_u32_e64 s[10:11], 3, v72
	;; [unrolled: 1-line block ×3, first 2 shown]
	v_and_b32_e32 v71, 16, v68
	v_cmp_lt_u32_e32 vcc, 31, v68
	v_lshrrev_b32_e32 v69, 6, v0
	v_or_b32_e32 v70, 63, v0
	s_cbranch_scc0 .LBB43_136
; %bb.115:
	v_mov_b32_dpp v5, v73 row_shr:1 row_mask:0xf bank_mask:0xf
	v_mov_b32_dpp v6, v74 row_shr:1 row_mask:0xf bank_mask:0xf
	v_add_u32_e32 v5, v5, v73
	v_add_u32_e32 v6, v6, v74
	v_cndmask_b32_e64 v6, v6, v74, s[6:7]
	v_cndmask_b32_e64 v5, v5, v73, s[6:7]
	s_nop 0
	v_mov_b32_dpp v8, v6 row_shr:2 row_mask:0xf bank_mask:0xf
	v_mov_b32_dpp v7, v5 row_shr:2 row_mask:0xf bank_mask:0xf
	v_add_u32_e32 v7, v5, v7
	v_add_u32_e32 v8, v6, v8
	v_cndmask_b32_e64 v6, v6, v8, s[4:5]
	v_cndmask_b32_e64 v5, v5, v7, s[4:5]
	s_nop 0
	;; [unrolled: 7-line block ×3, first 2 shown]
	v_mov_b32_dpp v8, v6 row_shr:8 row_mask:0xf bank_mask:0xf
	v_mov_b32_dpp v7, v5 row_shr:8 row_mask:0xf bank_mask:0xf
	v_add_u32_e32 v7, v5, v7
	v_add_u32_e32 v8, v6, v8
	v_cndmask_b32_e64 v6, v6, v8, s[8:9]
	v_cndmask_b32_e64 v7, v5, v7, s[8:9]
	v_cmp_eq_u32_e64 s[8:9], 0, v71
	v_mov_b32_dpp v8, v6 row_bcast:15 row_mask:0xf bank_mask:0xf
	v_mov_b32_dpp v5, v7 row_bcast:15 row_mask:0xf bank_mask:0xf
	v_add_u32_e32 v9, v7, v5
	v_add_u32_e32 v5, v6, v8
	v_cndmask_b32_e64 v5, v5, v6, s[8:9]
	v_cndmask_b32_e64 v6, v9, v7, s[8:9]
	v_cmp_eq_u32_e64 s[8:9], v0, v70
	v_mov_b32_dpp v7, v5 row_bcast:31 row_mask:0xf bank_mask:0xf
	v_mov_b32_dpp v8, v6 row_bcast:31 row_mask:0xf bank_mask:0xf
	v_add_u32_e32 v7, v5, v7
	v_add_u32_e32 v8, v6, v8
	s_and_saveexec_b64 s[10:11], s[8:9]
; %bb.116:
	v_lshlrev_b32_e32 v11, 3, v69
	v_cndmask_b32_e32 v10, v5, v7, vcc
	v_cndmask_b32_e32 v9, v6, v8, vcc
	ds_write_b64 v11, v[9:10]
; %bb.117:
	s_or_b64 exec, exec, s[10:11]
	v_cmp_gt_u32_e64 s[8:9], 4, v0
	s_waitcnt lgkmcnt(0)
	s_barrier
	s_and_saveexec_b64 s[10:11], s[8:9]
	s_cbranch_execz .LBB43_119
; %bb.118:
	v_lshlrev_b32_e32 v11, 3, v0
	ds_read_b64 v[9:10], v11
	v_and_b32_e32 v12, 3, v68
	v_cmp_eq_u32_e64 s[8:9], 0, v12
	s_waitcnt lgkmcnt(0)
	v_mov_b32_dpp v25, v9 row_shr:1 row_mask:0xf bank_mask:0xf
	v_mov_b32_dpp v26, v10 row_shr:1 row_mask:0xf bank_mask:0xf
	v_add_u32_e32 v25, v25, v9
	v_add_u32_e32 v26, v26, v10
	v_cndmask_b32_e64 v10, v26, v10, s[8:9]
	v_cndmask_b32_e64 v9, v25, v9, s[8:9]
	v_cmp_lt_u32_e64 s[8:9], 1, v12
	v_mov_b32_dpp v26, v10 row_shr:2 row_mask:0xf bank_mask:0xf
	v_mov_b32_dpp v25, v9 row_shr:2 row_mask:0xf bank_mask:0xf
	v_cndmask_b32_e64 v12, 0, v25, s[8:9]
	v_cndmask_b32_e64 v25, 0, v26, s[8:9]
	v_add_u32_e32 v10, v25, v10
	v_add_u32_e32 v9, v12, v9
	ds_write_b64 v11, v[9:10]
.LBB43_119:
	s_or_b64 exec, exec, s[10:11]
	v_cndmask_b32_e32 v5, v5, v7, vcc
	v_cndmask_b32_e32 v6, v6, v8, vcc
	v_cmp_gt_u32_e32 vcc, 64, v0
	v_cmp_lt_u32_e64 s[8:9], 63, v0
	s_waitcnt lgkmcnt(0)
	s_barrier
                                        ; implicit-def: $vgpr25
	s_and_saveexec_b64 s[10:11], s[8:9]
	s_cbranch_execz .LBB43_121
; %bb.120:
	v_lshl_add_u32 v7, v69, 3, -8
	ds_read_b64 v[25:26], v7
	s_waitcnt lgkmcnt(0)
	v_add_u32_e32 v5, v26, v5
	v_add_u32_e32 v6, v25, v6
.LBB43_121:
	s_or_b64 exec, exec, s[10:11]
	v_subrev_co_u32_e64 v7, s[8:9], 1, v68
	v_and_b32_e32 v8, 64, v68
	v_cmp_lt_i32_e64 s[10:11], v7, v8
	v_cndmask_b32_e64 v7, v7, v68, s[10:11]
	v_lshlrev_b32_e32 v7, 2, v7
	ds_bpermute_b32 v75, v7, v6
	ds_bpermute_b32 v76, v7, v5
	s_and_saveexec_b64 s[10:11], vcc
	s_cbranch_execz .LBB43_141
; %bb.122:
	v_mov_b32_e32 v8, 0
	ds_read_b64 v[5:6], v8 offset:24
	s_and_saveexec_b64 s[12:13], s[8:9]
	s_cbranch_execz .LBB43_124
; %bb.123:
	s_add_i32 s14, s33, 64
	s_mov_b32 s15, 0
	s_lshl_b64 s[14:15], s[14:15], 4
	s_add_u32 s14, s54, s14
	s_addc_u32 s15, s55, s15
	v_mov_b32_e32 v9, s14
	v_mov_b32_e32 v7, 1
	;; [unrolled: 1-line block ×3, first 2 shown]
	s_waitcnt lgkmcnt(0)
	;;#ASMSTART
	global_store_dwordx4 v[9:10], v[5:8] off	
s_waitcnt vmcnt(0)
	;;#ASMEND
.LBB43_124:
	s_or_b64 exec, exec, s[12:13]
	v_xad_u32 v27, v68, -1, s33
	v_add_u32_e32 v7, 64, v27
	v_lshlrev_b64 v[9:10], 4, v[7:8]
	v_mov_b32_e32 v7, s55
	v_add_co_u32_e32 v28, vcc, s54, v9
	v_addc_co_u32_e32 v29, vcc, v7, v10, vcc
	;;#ASMSTART
	global_load_dwordx4 v[9:12], v[28:29] off glc	
s_waitcnt vmcnt(0)
	;;#ASMEND
	v_cmp_eq_u16_sdwa s[14:15], v11, v8 src0_sel:BYTE_0 src1_sel:DWORD
	s_and_saveexec_b64 s[12:13], s[14:15]
	s_cbranch_execz .LBB43_128
; %bb.125:
	s_mov_b64 s[14:15], 0
	v_mov_b32_e32 v7, 0
.LBB43_126:                             ; =>This Inner Loop Header: Depth=1
	;;#ASMSTART
	global_load_dwordx4 v[9:12], v[28:29] off glc	
s_waitcnt vmcnt(0)
	;;#ASMEND
	v_cmp_ne_u16_sdwa s[18:19], v11, v7 src0_sel:BYTE_0 src1_sel:DWORD
	s_or_b64 s[14:15], s[18:19], s[14:15]
	s_andn2_b64 exec, exec, s[14:15]
	s_cbranch_execnz .LBB43_126
; %bb.127:
	s_or_b64 exec, exec, s[14:15]
.LBB43_128:
	s_or_b64 exec, exec, s[12:13]
	v_and_b32_e32 v78, 63, v68
	v_cmp_ne_u32_e32 vcc, 63, v78
	v_mov_b32_e32 v77, 2
	v_lshlrev_b64 v[29:30], v68, -1
	v_addc_co_u32_e32 v12, vcc, 0, v68, vcc
	v_cmp_eq_u16_sdwa s[12:13], v11, v77 src0_sel:BYTE_0 src1_sel:DWORD
	v_lshlrev_b32_e32 v79, 2, v12
	v_and_b32_e32 v7, s13, v30
	ds_bpermute_b32 v12, v79, v9
	ds_bpermute_b32 v28, v79, v10
	v_or_b32_e32 v7, 0x80000000, v7
	v_and_b32_e32 v8, s12, v29
	v_ffbl_b32_e32 v7, v7
	v_add_u32_e32 v7, 32, v7
	v_ffbl_b32_e32 v8, v8
	v_min_u32_e32 v7, v8, v7
	s_waitcnt lgkmcnt(1)
	v_add_u32_e32 v8, v12, v9
	s_waitcnt lgkmcnt(0)
	v_add_u32_e32 v12, v28, v10
	v_cmp_lt_u32_e32 vcc, v78, v7
	v_cndmask_b32_e32 v10, v10, v12, vcc
	v_cndmask_b32_e32 v8, v9, v8, vcc
	v_cmp_gt_u32_e32 vcc, 62, v78
	v_cndmask_b32_e64 v9, 0, 2, vcc
	v_add_lshl_u32 v80, v9, v68, 2
	ds_bpermute_b32 v9, v80, v8
	ds_bpermute_b32 v12, v80, v10
	v_add_u32_e32 v81, 2, v78
	v_cmp_gt_u32_e32 vcc, v81, v7
	v_add_u32_e32 v83, 4, v78
	s_waitcnt lgkmcnt(1)
	v_add_u32_e32 v9, v8, v9
	s_waitcnt lgkmcnt(0)
	v_add_u32_e32 v12, v10, v12
	v_cndmask_b32_e32 v10, v12, v10, vcc
	v_cndmask_b32_e32 v8, v9, v8, vcc
	v_cmp_gt_u32_e32 vcc, 60, v78
	v_cndmask_b32_e64 v9, 0, 4, vcc
	v_add_lshl_u32 v82, v9, v68, 2
	ds_bpermute_b32 v9, v82, v8
	ds_bpermute_b32 v12, v82, v10
	v_cmp_gt_u32_e32 vcc, v83, v7
	v_add_u32_e32 v85, 8, v78
	v_add_u32_e32 v87, 16, v78
	s_waitcnt lgkmcnt(1)
	v_add_u32_e32 v9, v8, v9
	s_waitcnt lgkmcnt(0)
	v_add_u32_e32 v12, v10, v12
	v_cndmask_b32_e32 v10, v12, v10, vcc
	v_cndmask_b32_e32 v8, v9, v8, vcc
	v_cmp_gt_u32_e32 vcc, 56, v78
	v_cndmask_b32_e64 v9, 0, 8, vcc
	v_add_lshl_u32 v84, v9, v68, 2
	ds_bpermute_b32 v9, v84, v8
	ds_bpermute_b32 v12, v84, v10
	v_cmp_gt_u32_e32 vcc, v85, v7
	v_add_u32_e32 v89, 32, v78
	v_mov_b32_e32 v28, 0
	s_waitcnt lgkmcnt(1)
	v_add_u32_e32 v9, v8, v9
	s_waitcnt lgkmcnt(0)
	v_add_u32_e32 v12, v10, v12
	v_cndmask_b32_e32 v10, v12, v10, vcc
	v_cndmask_b32_e32 v8, v9, v8, vcc
	v_cmp_gt_u32_e32 vcc, 48, v78
	v_cndmask_b32_e64 v9, 0, 16, vcc
	v_add_lshl_u32 v86, v9, v68, 2
	ds_bpermute_b32 v9, v86, v8
	ds_bpermute_b32 v12, v86, v10
	v_cmp_gt_u32_e32 vcc, v87, v7
	s_waitcnt lgkmcnt(1)
	v_add_u32_e32 v9, v8, v9
	s_waitcnt lgkmcnt(0)
	v_add_u32_e32 v12, v10, v12
	v_cndmask_b32_e32 v8, v9, v8, vcc
	v_mov_b32_e32 v9, 0x80
	v_cndmask_b32_e32 v10, v12, v10, vcc
	v_lshl_or_b32 v88, v68, 2, v9
	ds_bpermute_b32 v9, v88, v8
	ds_bpermute_b32 v12, v88, v10
	v_cmp_le_u32_e32 vcc, v89, v7
	s_waitcnt lgkmcnt(1)
	v_cndmask_b32_e32 v7, 0, v9, vcc
	s_waitcnt lgkmcnt(0)
	v_cndmask_b32_e32 v9, 0, v12, vcc
	v_add_u32_e32 v10, v10, v9
	v_add_u32_e32 v9, v8, v7
	s_branch .LBB43_132
.LBB43_129:                             ;   in Loop: Header=BB43_132 Depth=1
	s_or_b64 exec, exec, s[14:15]
.LBB43_130:                             ;   in Loop: Header=BB43_132 Depth=1
	s_or_b64 exec, exec, s[12:13]
	v_cmp_eq_u16_sdwa s[12:13], v11, v77 src0_sel:BYTE_0 src1_sel:DWORD
	v_and_b32_e32 v12, s13, v30
	ds_bpermute_b32 v32, v79, v9
	ds_bpermute_b32 v90, v79, v10
	v_or_b32_e32 v12, 0x80000000, v12
	v_and_b32_e32 v31, s12, v29
	v_ffbl_b32_e32 v12, v12
	v_add_u32_e32 v12, 32, v12
	v_ffbl_b32_e32 v31, v31
	v_min_u32_e32 v12, v31, v12
	s_waitcnt lgkmcnt(1)
	v_add_u32_e32 v31, v32, v9
	s_waitcnt lgkmcnt(0)
	v_add_u32_e32 v32, v90, v10
	v_cmp_lt_u32_e32 vcc, v78, v12
	v_cndmask_b32_e32 v10, v10, v32, vcc
	v_cndmask_b32_e32 v9, v9, v31, vcc
	ds_bpermute_b32 v31, v80, v9
	ds_bpermute_b32 v32, v80, v10
	v_cmp_gt_u32_e32 vcc, v81, v12
	v_subrev_u32_e32 v27, 64, v27
	s_mov_b64 s[12:13], 0
	s_waitcnt lgkmcnt(1)
	v_add_u32_e32 v31, v9, v31
	s_waitcnt lgkmcnt(0)
	v_add_u32_e32 v32, v10, v32
	v_cndmask_b32_e32 v10, v32, v10, vcc
	v_cndmask_b32_e32 v9, v31, v9, vcc
	ds_bpermute_b32 v31, v82, v9
	ds_bpermute_b32 v32, v82, v10
	v_cmp_gt_u32_e32 vcc, v83, v12
	s_waitcnt lgkmcnt(1)
	v_add_u32_e32 v31, v9, v31
	s_waitcnt lgkmcnt(0)
	v_add_u32_e32 v32, v10, v32
	v_cndmask_b32_e32 v10, v32, v10, vcc
	v_cndmask_b32_e32 v9, v31, v9, vcc
	ds_bpermute_b32 v31, v84, v9
	ds_bpermute_b32 v32, v84, v10
	v_cmp_gt_u32_e32 vcc, v85, v12
	s_waitcnt lgkmcnt(1)
	v_add_u32_e32 v31, v9, v31
	s_waitcnt lgkmcnt(0)
	v_add_u32_e32 v32, v10, v32
	v_cndmask_b32_e32 v10, v32, v10, vcc
	v_cndmask_b32_e32 v9, v31, v9, vcc
	ds_bpermute_b32 v31, v86, v9
	ds_bpermute_b32 v32, v86, v10
	v_cmp_gt_u32_e32 vcc, v87, v12
	s_waitcnt lgkmcnt(1)
	v_add_u32_e32 v31, v9, v31
	s_waitcnt lgkmcnt(0)
	v_add_u32_e32 v32, v10, v32
	v_cndmask_b32_e32 v10, v32, v10, vcc
	v_cndmask_b32_e32 v9, v31, v9, vcc
	ds_bpermute_b32 v31, v88, v9
	ds_bpermute_b32 v32, v88, v10
	v_cmp_le_u32_e32 vcc, v89, v12
	s_waitcnt lgkmcnt(1)
	v_cndmask_b32_e32 v12, 0, v31, vcc
	s_waitcnt lgkmcnt(0)
	v_cndmask_b32_e32 v31, 0, v32, vcc
	v_add3_u32 v10, v31, v8, v10
	v_add3_u32 v9, v12, v7, v9
.LBB43_131:                             ;   in Loop: Header=BB43_132 Depth=1
	s_and_b64 vcc, exec, s[12:13]
	s_cbranch_vccnz .LBB43_137
.LBB43_132:                             ; =>This Loop Header: Depth=1
                                        ;     Child Loop BB43_135 Depth 2
	v_mov_b32_e32 v7, v9
	v_cmp_ne_u16_sdwa s[12:13], v11, v77 src0_sel:BYTE_0 src1_sel:DWORD
	v_mov_b32_e32 v8, v10
	s_cmp_lg_u64 s[12:13], exec
	s_mov_b64 s[12:13], -1
                                        ; implicit-def: $vgpr11
                                        ; implicit-def: $vgpr9_vgpr10
	s_cbranch_scc1 .LBB43_131
; %bb.133:                              ;   in Loop: Header=BB43_132 Depth=1
	v_lshlrev_b64 v[9:10], 4, v[27:28]
	v_mov_b32_e32 v11, s55
	v_add_co_u32_e32 v31, vcc, s54, v9
	v_addc_co_u32_e32 v32, vcc, v11, v10, vcc
	;;#ASMSTART
	global_load_dwordx4 v[9:12], v[31:32] off glc	
s_waitcnt vmcnt(0)
	;;#ASMEND
	v_cmp_eq_u16_sdwa s[14:15], v11, v28 src0_sel:BYTE_0 src1_sel:DWORD
	s_and_saveexec_b64 s[12:13], s[14:15]
	s_cbranch_execz .LBB43_130
; %bb.134:                              ;   in Loop: Header=BB43_132 Depth=1
	s_mov_b64 s[14:15], 0
.LBB43_135:                             ;   Parent Loop BB43_132 Depth=1
                                        ; =>  This Inner Loop Header: Depth=2
	;;#ASMSTART
	global_load_dwordx4 v[9:12], v[31:32] off glc	
s_waitcnt vmcnt(0)
	;;#ASMEND
	v_cmp_ne_u16_sdwa s[18:19], v11, v28 src0_sel:BYTE_0 src1_sel:DWORD
	s_or_b64 s[14:15], s[18:19], s[14:15]
	s_andn2_b64 exec, exec, s[14:15]
	s_cbranch_execnz .LBB43_135
	s_branch .LBB43_129
.LBB43_136:
                                        ; implicit-def: $vgpr12
                                        ; implicit-def: $vgpr7
                                        ; implicit-def: $vgpr25
	s_cbranch_execnz .LBB43_142
	s_branch .LBB43_151
.LBB43_137:
	s_and_saveexec_b64 s[12:13], s[8:9]
	s_cbranch_execnz .LBB43_379
; %bb.138:
	s_or_b64 exec, exec, s[12:13]
	s_and_saveexec_b64 s[12:13], s[8:9]
	s_cbranch_execnz .LBB43_380
.LBB43_139:
	s_or_b64 exec, exec, s[12:13]
	s_and_b64 exec, exec, s[0:1]
.LBB43_140:
	v_mov_b32_e32 v5, 0
	ds_write_b64 v5, v[7:8] offset:24
.LBB43_141:
	s_or_b64 exec, exec, s[10:11]
	v_mov_b32_e32 v5, 0
	s_waitcnt lgkmcnt(0)
	s_barrier
	ds_read_b64 v[9:10], v5 offset:24
	v_cndmask_b32_e64 v6, v75, v25, s[8:9]
	s_waitcnt lgkmcnt(0)
	s_barrier
	v_add_u32_e32 v25, v9, v6
	ds_read_b128 v[5:8], v5 offset:13312
	v_cndmask_b32_e64 v11, v76, v26, s[8:9]
	v_add_u32_e32 v11, v10, v11
	v_cndmask_b32_e64 v12, v11, v10, s[0:1]
	v_cndmask_b32_e64 v25, v25, v9, s[0:1]
	s_branch .LBB43_151
.LBB43_142:
	s_waitcnt lgkmcnt(0)
	v_mov_b32_dpp v5, v73 row_shr:1 row_mask:0xf bank_mask:0xf
	v_mov_b32_dpp v6, v74 row_shr:1 row_mask:0xf bank_mask:0xf
	v_add_u32_e32 v5, v5, v73
	v_add_u32_e32 v6, v6, v74
	v_cndmask_b32_e64 v6, v6, v74, s[6:7]
	v_cndmask_b32_e64 v5, v5, v73, s[6:7]
	v_cmp_lt_u32_e32 vcc, 3, v72
	v_mov_b32_dpp v8, v6 row_shr:2 row_mask:0xf bank_mask:0xf
	v_mov_b32_dpp v7, v5 row_shr:2 row_mask:0xf bank_mask:0xf
	v_add_u32_e32 v7, v5, v7
	v_add_u32_e32 v8, v6, v8
	v_cndmask_b32_e64 v6, v6, v8, s[4:5]
	v_cndmask_b32_e64 v5, v5, v7, s[4:5]
	v_cmp_eq_u32_e64 s[4:5], v0, v70
	v_mov_b32_dpp v8, v6 row_shr:4 row_mask:0xf bank_mask:0xf
	v_mov_b32_dpp v7, v5 row_shr:4 row_mask:0xf bank_mask:0xf
	v_add_u32_e32 v7, v5, v7
	v_add_u32_e32 v8, v6, v8
	v_cndmask_b32_e32 v6, v6, v8, vcc
	v_cndmask_b32_e32 v5, v5, v7, vcc
	v_cmp_lt_u32_e32 vcc, 7, v72
	v_mov_b32_dpp v8, v6 row_shr:8 row_mask:0xf bank_mask:0xf
	v_mov_b32_dpp v7, v5 row_shr:8 row_mask:0xf bank_mask:0xf
	v_add_u32_e32 v7, v5, v7
	v_add_u32_e32 v8, v6, v8
	v_cndmask_b32_e32 v6, v6, v8, vcc
	v_cndmask_b32_e32 v7, v5, v7, vcc
	v_cmp_eq_u32_e32 vcc, 0, v71
	v_mov_b32_dpp v8, v6 row_bcast:15 row_mask:0xf bank_mask:0xf
	v_mov_b32_dpp v5, v7 row_bcast:15 row_mask:0xf bank_mask:0xf
	v_add_u32_e32 v9, v7, v5
	v_add_u32_e32 v5, v6, v8
	v_cndmask_b32_e32 v5, v5, v6, vcc
	v_cndmask_b32_e32 v6, v9, v7, vcc
	v_cmp_lt_u32_e32 vcc, 31, v68
	v_mov_b32_dpp v7, v5 row_bcast:31 row_mask:0xf bank_mask:0xf
	v_mov_b32_dpp v8, v6 row_bcast:31 row_mask:0xf bank_mask:0xf
	v_add_u32_e32 v7, v5, v7
	v_add_u32_e32 v8, v6, v8
	s_and_saveexec_b64 s[6:7], s[4:5]
; %bb.143:
	v_cndmask_b32_e32 v9, v6, v8, vcc
	v_cndmask_b32_e32 v10, v5, v7, vcc
	v_lshlrev_b32_e32 v11, 3, v69
	ds_write_b64 v11, v[9:10]
; %bb.144:
	s_or_b64 exec, exec, s[6:7]
	v_cmp_gt_u32_e64 s[4:5], 4, v0
	s_waitcnt lgkmcnt(0)
	s_barrier
	s_and_saveexec_b64 s[6:7], s[4:5]
	s_cbranch_execz .LBB43_146
; %bb.145:
	v_lshlrev_b32_e32 v11, 3, v0
	ds_read_b64 v[9:10], v11
	v_and_b32_e32 v12, 3, v68
	v_cmp_eq_u32_e64 s[4:5], 0, v12
	s_waitcnt lgkmcnt(0)
	v_mov_b32_dpp v25, v9 row_shr:1 row_mask:0xf bank_mask:0xf
	v_mov_b32_dpp v26, v10 row_shr:1 row_mask:0xf bank_mask:0xf
	v_add_u32_e32 v25, v25, v9
	v_add_u32_e32 v26, v26, v10
	v_cndmask_b32_e64 v10, v26, v10, s[4:5]
	v_cndmask_b32_e64 v9, v25, v9, s[4:5]
	v_cmp_lt_u32_e64 s[4:5], 1, v12
	v_mov_b32_dpp v26, v10 row_shr:2 row_mask:0xf bank_mask:0xf
	v_mov_b32_dpp v25, v9 row_shr:2 row_mask:0xf bank_mask:0xf
	v_cndmask_b32_e64 v12, 0, v25, s[4:5]
	v_cndmask_b32_e64 v25, 0, v26, s[4:5]
	v_add_u32_e32 v10, v25, v10
	v_add_u32_e32 v9, v12, v9
	ds_write_b64 v11, v[9:10]
.LBB43_146:
	s_or_b64 exec, exec, s[6:7]
	v_cmp_lt_u32_e64 s[4:5], 63, v0
	v_mov_b32_e32 v11, 0
	v_mov_b32_e32 v9, 0
	;; [unrolled: 1-line block ×3, first 2 shown]
	s_waitcnt lgkmcnt(0)
	s_barrier
	s_and_saveexec_b64 s[6:7], s[4:5]
; %bb.147:
	v_lshl_add_u32 v9, v69, 3, -8
	ds_read_b64 v[9:10], v9
; %bb.148:
	s_or_b64 exec, exec, s[6:7]
	v_cndmask_b32_e32 v6, v6, v8, vcc
	v_cndmask_b32_e32 v5, v5, v7, vcc
	v_subrev_co_u32_e32 v7, vcc, 1, v68
	v_and_b32_e32 v8, 64, v68
	v_cmp_lt_i32_e64 s[4:5], v7, v8
	v_cndmask_b32_e64 v7, v7, v68, s[4:5]
	s_waitcnt lgkmcnt(0)
	v_add_u32_e32 v5, v10, v5
	v_add_u32_e32 v6, v9, v6
	v_lshlrev_b32_e32 v7, 2, v7
	ds_bpermute_b32 v12, v7, v6
	ds_bpermute_b32 v25, v7, v5
	ds_read_b64 v[5:6], v11 offset:24
	s_and_saveexec_b64 s[4:5], s[0:1]
	s_cbranch_execz .LBB43_150
; %bb.149:
	s_add_u32 s6, s54, 0x400
	s_addc_u32 s7, s55, 0
	v_mov_b32_e32 v27, s7
	v_mov_b32_e32 v7, 2
	v_mov_b32_e32 v8, 0
	v_mov_b32_e32 v26, s6
	s_waitcnt lgkmcnt(0)
	;;#ASMSTART
	global_store_dwordx4 v[26:27], v[5:8] off	
s_waitcnt vmcnt(0)
	;;#ASMEND
.LBB43_150:
	s_or_b64 exec, exec, s[4:5]
	s_waitcnt lgkmcnt(2)
	v_cndmask_b32_e32 v7, v12, v9, vcc
	s_waitcnt lgkmcnt(1)
	v_cndmask_b32_e32 v8, v25, v10, vcc
	v_cndmask_b32_e64 v12, v8, 0, s[0:1]
	v_cndmask_b32_e64 v25, v7, 0, s[0:1]
	v_mov_b32_e32 v8, 0
	v_mov_b32_e32 v7, 0
	s_waitcnt lgkmcnt(0)
	s_barrier
.LBB43_151:
	s_waitcnt lgkmcnt(0)
	v_add_co_u32_e32 v1, vcc, v1, v7
	v_addc_co_u32_e32 v2, vcc, 0, v2, vcc
	v_sub_co_u32_e32 v29, vcc, v3, v5
	v_add_u32_e32 v32, v12, v54
	v_subbrev_co_u32_e32 v30, vcc, 0, v4, vcc
	v_lshlrev_b32_e32 v72, 1, v5
	v_sub_u32_e32 v12, v12, v8
	v_lshrrev_b32_e32 v28, 8, v42
	v_add_u32_e32 v31, v25, v53
	v_add_co_u32_e32 v29, vcc, v29, v8
	v_add_u32_e32 v73, v72, v6
	v_sub_u32_e32 v25, v25, v7
	v_add_u32_e32 v12, v12, v5
	v_addc_co_u32_e32 v30, vcc, 0, v30, vcc
	v_add_u32_e32 v35, v73, v35
	v_and_b32_e32 v28, 1, v28
	v_add_u32_e32 v74, v25, v12
	v_and_b32_e32 v73, 1, v36
	v_sub_u32_e32 v74, v35, v74
	v_cmp_eq_u32_e32 vcc, 1, v28
	v_cndmask_b32_e32 v12, v74, v12, vcc
	v_cmp_eq_u32_e32 vcc, 1, v73
	v_cndmask_b32_e32 v12, v12, v25, vcc
	v_lshlrev_b32_e32 v12, 2, v12
	v_sub_u32_e32 v25, v32, v8
	v_lshrrev_b32_e32 v27, 8, v36
	ds_write_b32 v12, v23
	v_sub_u32_e32 v12, v31, v7
	v_add_u32_e32 v25, v25, v5
	v_add_u32_e32 v50, v31, v50
	v_and_b32_e32 v23, 1, v27
	v_mov_b32_e32 v27, 1
	v_add_u32_e32 v31, v25, v12
	v_and_b32_sdwa v28, v27, v42 dst_sel:DWORD dst_unused:UNUSED_PAD src0_sel:DWORD src1_sel:WORD_1
	v_sub_u32_e32 v31, v35, v31
	v_add_u32_e32 v31, 1, v31
	v_cmp_eq_u32_e32 vcc, 1, v28
	v_cndmask_b32_e32 v25, v31, v25, vcc
	v_cmp_eq_u32_e32 vcc, 1, v23
	v_cndmask_b32_e32 v12, v25, v12, vcc
	v_add_u32_e32 v53, v32, v62
	v_lshlrev_b32_e32 v12, 2, v12
	ds_write_b32 v12, v24
	v_sub_u32_e32 v24, v53, v8
	v_sub_u32_e32 v12, v50, v7
	v_add_u32_e32 v24, v24, v5
	v_add_u32_e32 v28, v24, v12
	v_and_b32_e32 v25, 1, v49
	v_sub_u32_e32 v28, v35, v28
	v_and_b32_sdwa v23, v27, v36 dst_sel:DWORD dst_unused:UNUSED_PAD src0_sel:DWORD src1_sel:WORD_1
	v_add_u32_e32 v28, 2, v28
	v_cmp_eq_u32_e32 vcc, 1, v25
	v_cndmask_b32_e32 v24, v28, v24, vcc
	v_cmp_eq_u32_e32 vcc, 1, v23
	v_add_u32_e32 v54, v50, v55
	v_add_u32_e32 v55, v53, v49
	v_cndmask_b32_e32 v12, v24, v12, vcc
	v_lshlrev_b32_e32 v12, 2, v12
	v_sub_u32_e32 v23, v55, v8
	ds_write_b32 v12, v21
	v_sub_u32_e32 v12, v54, v7
	v_add_u32_e32 v23, v23, v5
	v_add_u32_e32 v25, v12, v23
	v_and_b32_e32 v24, 1, v37
	v_sub_u32_e32 v25, v35, v25
	v_and_b32_e32 v21, 1, v48
	v_add_u32_e32 v25, 3, v25
	v_cmp_eq_u32_e32 vcc, 1, v24
	v_cndmask_b32_e32 v23, v25, v23, vcc
	v_cmp_eq_u32_e32 vcc, 1, v21
	v_cndmask_b32_e32 v12, v23, v12, vcc
	v_add_u32_e32 v62, v55, v63
	v_lshlrev_b32_e32 v12, 2, v12
	v_add_u32_e32 v63, v54, v48
	ds_write_b32 v12, v22
	v_sub_u32_e32 v22, v62, v8
	v_sub_u32_e32 v12, v63, v7
	v_add_u32_e32 v22, v22, v5
	v_lshrrev_b32_e32 v26, 8, v37
	v_add_u32_e32 v24, v12, v22
	v_and_b32_e32 v23, 1, v26
	v_sub_u32_e32 v24, v35, v24
	v_and_b32_e32 v21, 1, v38
	v_add_u32_e32 v24, 4, v24
	v_cmp_eq_u32_e32 vcc, 1, v23
	v_cndmask_b32_e32 v22, v24, v22, vcc
	v_cmp_eq_u32_e32 vcc, 1, v21
	v_cndmask_b32_e32 v12, v22, v12, vcc
	v_add_u32_e32 v57, v62, v57
	v_lshlrev_b32_e32 v12, 2, v12
	v_add_u32_e32 v56, v63, v56
	ds_write_b32 v12, v19
	v_sub_u32_e32 v19, v57, v8
	v_sub_u32_e32 v12, v56, v7
	v_add_u32_e32 v19, v19, v5
	v_add_u32_e32 v22, v12, v19
	v_lshrrev_b32_e32 v11, 8, v38
	v_and_b32_sdwa v21, v27, v37 dst_sel:DWORD dst_unused:UNUSED_PAD src0_sel:DWORD src1_sel:WORD_1
	v_sub_u32_e32 v22, v35, v22
	v_and_b32_e32 v11, 1, v11
	v_add_u32_e32 v22, 5, v22
	v_cmp_eq_u32_e32 vcc, 1, v21
	v_cndmask_b32_e32 v19, v22, v19, vcc
	v_cmp_eq_u32_e32 vcc, 1, v11
	v_add_u32_e32 v64, v57, v64
	v_cndmask_b32_e32 v11, v19, v12, vcc
	v_add_u32_e32 v51, v56, v51
	v_lshlrev_b32_e32 v11, 2, v11
	v_sub_u32_e32 v19, v64, v8
	ds_write_b32 v11, v20
	v_sub_u32_e32 v11, v51, v7
	v_add_u32_e32 v19, v19, v5
	v_add_u32_e32 v21, v11, v19
	v_and_b32_e32 v20, 1, v47
	v_sub_u32_e32 v21, v35, v21
	v_and_b32_sdwa v12, v27, v38 dst_sel:DWORD dst_unused:UNUSED_PAD src0_sel:DWORD src1_sel:WORD_1
	v_add_u32_e32 v21, 6, v21
	v_cmp_eq_u32_e32 vcc, 1, v20
	v_cndmask_b32_e32 v19, v21, v19, vcc
	v_cmp_eq_u32_e32 vcc, 1, v12
	v_cndmask_b32_e32 v11, v19, v11, vcc
	v_add_u32_e32 v68, v64, v47
	v_lshlrev_b32_e32 v11, 2, v11
	v_add_u32_e32 v58, v51, v58
	ds_write_b32 v11, v17
	v_sub_u32_e32 v17, v68, v8
	v_sub_u32_e32 v11, v58, v7
	v_add_u32_e32 v17, v17, v5
	v_add_u32_e32 v20, v11, v17
	v_and_b32_e32 v19, 1, v39
	v_sub_u32_e32 v20, v35, v20
	v_and_b32_e32 v12, 1, v46
	v_add_u32_e32 v20, 7, v20
	v_cmp_eq_u32_e32 vcc, 1, v19
	v_cndmask_b32_e32 v17, v20, v17, vcc
	v_cmp_eq_u32_e32 vcc, 1, v12
	v_add_u32_e32 v65, v68, v65
	v_cndmask_b32_e32 v11, v17, v11, vcc
	v_add_u32_e32 v69, v58, v46
	v_lshlrev_b32_e32 v11, 2, v11
	v_sub_u32_e32 v17, v65, v8
	ds_write_b32 v11, v18
	v_sub_u32_e32 v11, v69, v7
	v_add_u32_e32 v17, v17, v5
	v_lshrrev_b32_e32 v10, 8, v39
	v_add_u32_e32 v18, v11, v17
	v_and_b32_e32 v10, 1, v10
	v_sub_u32_e32 v18, v35, v18
	v_and_b32_e32 v12, 1, v41
	v_add_u32_e32 v18, 8, v18
	v_cmp_eq_u32_e32 vcc, 1, v10
	v_cndmask_b32_e32 v10, v18, v17, vcc
	v_cmp_eq_u32_e32 vcc, 1, v12
	v_add_u32_e32 v60, v65, v60
	v_cndmask_b32_e32 v10, v10, v11, vcc
	v_add_u32_e32 v59, v69, v59
	v_lshlrev_b32_e32 v10, 2, v10
	v_sub_u32_e32 v11, v60, v8
	ds_write_b32 v10, v15
	v_sub_u32_e32 v10, v59, v7
	v_add_u32_e32 v11, v11, v5
	v_add_u32_e32 v15, v10, v11
	v_lshrrev_b32_e32 v9, 8, v41
	v_and_b32_sdwa v12, v27, v39 dst_sel:DWORD dst_unused:UNUSED_PAD src0_sel:DWORD src1_sel:WORD_1
	v_sub_u32_e32 v15, v35, v15
	v_and_b32_e32 v9, 1, v9
	v_add_u32_e32 v15, 9, v15
	v_cmp_eq_u32_e32 vcc, 1, v12
	v_cndmask_b32_e32 v11, v15, v11, vcc
	v_cmp_eq_u32_e32 vcc, 1, v9
	v_add_u32_e32 v66, v60, v66
	v_cndmask_b32_e32 v9, v11, v10, vcc
	v_add_u32_e32 v52, v59, v52
	v_lshlrev_b32_e32 v9, 2, v9
	v_sub_u32_e32 v11, v66, v8
	ds_write_b32 v9, v16
	v_sub_u32_e32 v9, v52, v7
	v_add_u32_e32 v11, v11, v5
	v_add_u32_e32 v15, v9, v11
	v_and_b32_e32 v12, 1, v45
	v_sub_u32_e32 v15, v35, v15
	v_and_b32_sdwa v10, v27, v41 dst_sel:DWORD dst_unused:UNUSED_PAD src0_sel:DWORD src1_sel:WORD_1
	v_add_u32_e32 v15, 10, v15
	v_cmp_eq_u32_e32 vcc, 1, v12
	v_cndmask_b32_e32 v11, v15, v11, vcc
	v_cmp_eq_u32_e32 vcc, 1, v10
	v_add_u32_e32 v70, v66, v45
	v_cndmask_b32_e32 v9, v11, v9, vcc
	v_add_u32_e32 v61, v52, v61
	v_lshlrev_b32_e32 v9, 2, v9
	v_sub_u32_e32 v11, v70, v8
	ds_write_b32 v9, v13
	v_sub_u32_e32 v9, v61, v7
	v_add_u32_e32 v11, v11, v5
	v_add_u32_e32 v13, v9, v11
	v_and_b32_e32 v12, 1, v40
	v_sub_u32_e32 v13, v35, v13
	v_add_u32_e32 v67, v70, v67
	v_and_b32_e32 v10, 1, v44
	v_add_u32_e32 v13, 11, v13
	v_cmp_eq_u32_e32 vcc, 1, v12
	v_add_u32_e32 v71, v61, v44
	v_cndmask_b32_e32 v11, v13, v11, vcc
	v_cmp_eq_u32_e32 vcc, 1, v10
	v_sub_u32_e32 v10, v67, v8
	v_sub_u32_e32 v7, v71, v7
	v_add_u32_e32 v10, v10, v5
	v_cndmask_b32_e32 v9, v11, v9, vcc
	v_add_u32_e32 v12, v7, v10
	v_lshlrev_b32_e32 v9, 2, v9
	v_and_b32_e32 v11, 1, v43
	v_sub_u32_e32 v12, v35, v12
	ds_write_b32 v9, v14
	v_and_b32_e32 v9, 1, v42
	v_add_u32_e32 v12, 12, v12
	v_cmp_eq_u32_e32 vcc, 1, v11
	v_cndmask_b32_e32 v10, v12, v10, vcc
	v_cmp_eq_u32_e32 vcc, 1, v9
	v_cndmask_b32_e32 v7, v10, v7, vcc
	v_lshlrev_b32_e32 v7, 2, v7
	ds_write_b32 v7, v34
	v_mov_b32_e32 v7, s53
	v_add_co_u32_e32 v9, vcc, s52, v33
	v_addc_co_u32_e32 v10, vcc, 0, v7, vcc
	v_add_co_u32_e32 v7, vcc, v6, v72
	v_addc_co_u32_e64 v11, s[4:5], 0, 0, vcc
	v_add_co_u32_e32 v7, vcc, v7, v29
	v_addc_co_u32_e32 v11, vcc, v11, v30, vcc
	v_add_co_u32_e32 v7, vcc, v7, v1
	v_addc_co_u32_e32 v11, vcc, v11, v2, vcc
	v_sub_co_u32_e32 v7, vcc, v9, v7
	v_subb_co_u32_e32 v13, vcc, v10, v11, vcc
	v_lshlrev_b64 v[9:10], 2, v[29:30]
	v_mov_b32_e32 v11, s51
	v_add_co_u32_e32 v9, vcc, s50, v9
	v_addc_co_u32_e32 v10, vcc, v11, v10, vcc
	v_lshlrev_b64 v[11:12], 2, v[1:2]
	v_mov_b32_e32 v15, s49
	v_add_co_u32_e32 v11, vcc, s48, v11
	v_addc_co_u32_e32 v12, vcc, v15, v12, vcc
	v_add_u32_e32 v14, v5, v6
	s_and_b64 vcc, exec, s[2:3]
	s_mov_b64 s[2:3], -1
	s_waitcnt lgkmcnt(0)
	s_barrier
	s_cbranch_vccz .LBB43_155
; %bb.152:
	s_and_b64 vcc, exec, s[2:3]
	s_cbranch_vccnz .LBB43_260
.LBB43_153:
	s_and_b64 s[0:1], s[0:1], s[34:35]
	s_and_saveexec_b64 s[2:3], s[0:1]
	s_cbranch_execnz .LBB43_378
.LBB43_154:
	s_endpgm
.LBB43_155:
	v_cmp_ge_u32_e32 vcc, v0, v5
	s_and_saveexec_b64 s[2:3], vcc
	s_xor_b64 s[2:3], exec, s[2:3]
	s_cbranch_execz .LBB43_161
; %bb.156:
	v_cmp_ge_u32_e32 vcc, v0, v14
	s_and_saveexec_b64 s[4:5], vcc
	s_xor_b64 s[4:5], exec, s[4:5]
	s_cbranch_execz .LBB43_158
; %bb.157:
	v_add_co_u32_e32 v15, vcc, v7, v0
	v_lshlrev_b32_e32 v17, 2, v0
	v_addc_co_u32_e32 v16, vcc, 0, v13, vcc
	ds_read_b32 v17, v17
	v_lshlrev_b64 v[15:16], 2, v[15:16]
	v_mov_b32_e32 v18, s31
	v_sub_co_u32_e32 v15, vcc, s30, v15
	v_subb_co_u32_e32 v16, vcc, v18, v16, vcc
	s_waitcnt lgkmcnt(0)
	global_store_dword v[15:16], v17, off offset:-4
.LBB43_158:
	s_andn2_saveexec_b64 s[4:5], s[4:5]
	s_cbranch_execz .LBB43_160
; %bb.159:
	v_lshlrev_b32_e32 v15, 2, v0
	ds_read_b32 v16, v15
	v_readfirstlane_b32 s6, v9
	v_readfirstlane_b32 s7, v10
	s_waitcnt lgkmcnt(0)
	s_nop 3
	global_store_dword v15, v16, s[6:7]
.LBB43_160:
	s_or_b64 exec, exec, s[4:5]
.LBB43_161:
	s_andn2_saveexec_b64 s[2:3], s[2:3]
	s_cbranch_execz .LBB43_163
; %bb.162:
	v_lshlrev_b32_e32 v15, 2, v0
	ds_read_b32 v16, v15
	v_readfirstlane_b32 s4, v11
	v_readfirstlane_b32 s5, v12
	s_waitcnt lgkmcnt(0)
	s_nop 3
	global_store_dword v15, v16, s[4:5]
.LBB43_163:
	s_or_b64 exec, exec, s[2:3]
	v_or_b32_e32 v15, 0x100, v0
	v_cmp_ge_u32_e32 vcc, v15, v5
	s_and_saveexec_b64 s[2:3], vcc
	s_xor_b64 s[2:3], exec, s[2:3]
	s_cbranch_execz .LBB43_169
; %bb.164:
	v_cmp_ge_u32_e32 vcc, v15, v14
	s_and_saveexec_b64 s[4:5], vcc
	s_xor_b64 s[4:5], exec, s[4:5]
	s_cbranch_execz .LBB43_166
; %bb.165:
	v_lshlrev_b32_e32 v15, 2, v0
	ds_read_b32 v17, v15 offset:1024
	v_add_co_u32_e32 v15, vcc, v7, v0
	v_addc_co_u32_e32 v16, vcc, 0, v13, vcc
	v_lshlrev_b64 v[15:16], 2, v[15:16]
	v_mov_b32_e32 v18, s31
	v_sub_co_u32_e32 v15, vcc, s30, v15
	v_subb_co_u32_e32 v16, vcc, v18, v16, vcc
	s_waitcnt lgkmcnt(0)
	global_store_dword v[15:16], v17, off offset:-1028
.LBB43_166:
	s_andn2_saveexec_b64 s[4:5], s[4:5]
	s_cbranch_execz .LBB43_168
; %bb.167:
	v_lshlrev_b32_e32 v15, 2, v0
	ds_read_b32 v16, v15 offset:1024
	v_readfirstlane_b32 s6, v9
	v_readfirstlane_b32 s7, v10
	s_waitcnt lgkmcnt(0)
	s_nop 3
	global_store_dword v15, v16, s[6:7] offset:1024
.LBB43_168:
	s_or_b64 exec, exec, s[4:5]
.LBB43_169:
	s_andn2_saveexec_b64 s[2:3], s[2:3]
	s_cbranch_execz .LBB43_171
; %bb.170:
	v_lshlrev_b32_e32 v15, 2, v0
	ds_read_b32 v16, v15 offset:1024
	v_readfirstlane_b32 s4, v11
	v_readfirstlane_b32 s5, v12
	s_waitcnt lgkmcnt(0)
	s_nop 3
	global_store_dword v15, v16, s[4:5] offset:1024
.LBB43_171:
	s_or_b64 exec, exec, s[2:3]
	v_or_b32_e32 v15, 0x200, v0
	v_cmp_ge_u32_e32 vcc, v15, v5
	s_and_saveexec_b64 s[2:3], vcc
	s_xor_b64 s[2:3], exec, s[2:3]
	s_cbranch_execz .LBB43_177
; %bb.172:
	v_cmp_ge_u32_e32 vcc, v15, v14
	s_and_saveexec_b64 s[4:5], vcc
	s_xor_b64 s[4:5], exec, s[4:5]
	s_cbranch_execz .LBB43_174
; %bb.173:
	v_lshlrev_b32_e32 v15, 2, v0
	ds_read_b32 v17, v15 offset:2048
	v_add_co_u32_e32 v15, vcc, v7, v0
	v_addc_co_u32_e32 v16, vcc, 0, v13, vcc
	v_lshlrev_b64 v[15:16], 2, v[15:16]
	v_mov_b32_e32 v18, s31
	v_sub_co_u32_e32 v15, vcc, s30, v15
	v_subb_co_u32_e32 v16, vcc, v18, v16, vcc
	s_waitcnt lgkmcnt(0)
	global_store_dword v[15:16], v17, off offset:-2052
.LBB43_174:
	s_andn2_saveexec_b64 s[4:5], s[4:5]
	s_cbranch_execz .LBB43_176
; %bb.175:
	v_lshlrev_b32_e32 v15, 2, v0
	ds_read_b32 v16, v15 offset:2048
	v_readfirstlane_b32 s6, v9
	v_readfirstlane_b32 s7, v10
	s_waitcnt lgkmcnt(0)
	s_nop 3
	global_store_dword v15, v16, s[6:7] offset:2048
.LBB43_176:
	s_or_b64 exec, exec, s[4:5]
.LBB43_177:
	s_andn2_saveexec_b64 s[2:3], s[2:3]
	s_cbranch_execz .LBB43_179
; %bb.178:
	v_lshlrev_b32_e32 v15, 2, v0
	ds_read_b32 v16, v15 offset:2048
	v_readfirstlane_b32 s4, v11
	v_readfirstlane_b32 s5, v12
	s_waitcnt lgkmcnt(0)
	s_nop 3
	global_store_dword v15, v16, s[4:5] offset:2048
.LBB43_179:
	;; [unrolled: 47-line block ×3, first 2 shown]
	s_or_b64 exec, exec, s[2:3]
	v_or_b32_e32 v15, 0x400, v0
	v_cmp_ge_u32_e32 vcc, v15, v5
	s_and_saveexec_b64 s[2:3], vcc
	s_xor_b64 s[2:3], exec, s[2:3]
	s_cbranch_execz .LBB43_193
; %bb.188:
	v_cmp_ge_u32_e32 vcc, v15, v14
	s_and_saveexec_b64 s[4:5], vcc
	s_xor_b64 s[4:5], exec, s[4:5]
	s_cbranch_execz .LBB43_190
; %bb.189:
	v_lshlrev_b32_e32 v15, 2, v0
	ds_read_b32 v17, v15 offset:4096
	v_add_co_u32_e32 v15, vcc, v7, v0
	v_addc_co_u32_e32 v16, vcc, 0, v13, vcc
	v_lshlrev_b64 v[15:16], 2, v[15:16]
	v_mov_b32_e32 v18, s31
	v_sub_co_u32_e32 v15, vcc, s30, v15
	v_subb_co_u32_e32 v16, vcc, v18, v16, vcc
	v_add_co_u32_e32 v15, vcc, 0xfffff000, v15
	v_addc_co_u32_e32 v16, vcc, -1, v16, vcc
	s_waitcnt lgkmcnt(0)
	global_store_dword v[15:16], v17, off offset:-4
                                        ; implicit-def: $vgpr15
.LBB43_190:
	s_andn2_saveexec_b64 s[4:5], s[4:5]
	s_cbranch_execz .LBB43_192
; %bb.191:
	v_lshlrev_b32_e32 v16, 2, v0
	ds_read_b32 v16, v16 offset:4096
	v_lshlrev_b32_e32 v15, 2, v15
	v_readfirstlane_b32 s6, v9
	v_readfirstlane_b32 s7, v10
	s_waitcnt lgkmcnt(0)
	s_nop 3
	global_store_dword v15, v16, s[6:7]
.LBB43_192:
	s_or_b64 exec, exec, s[4:5]
                                        ; implicit-def: $vgpr15
.LBB43_193:
	s_andn2_saveexec_b64 s[2:3], s[2:3]
	s_cbranch_execz .LBB43_195
; %bb.194:
	v_lshlrev_b32_e32 v16, 2, v0
	ds_read_b32 v16, v16 offset:4096
	v_lshlrev_b32_e32 v15, 2, v15
	v_readfirstlane_b32 s4, v11
	v_readfirstlane_b32 s5, v12
	s_waitcnt lgkmcnt(0)
	s_nop 3
	global_store_dword v15, v16, s[4:5]
.LBB43_195:
	s_or_b64 exec, exec, s[2:3]
	v_or_b32_e32 v15, 0x500, v0
	v_cmp_ge_u32_e32 vcc, v15, v5
	s_and_saveexec_b64 s[2:3], vcc
	s_xor_b64 s[2:3], exec, s[2:3]
	s_cbranch_execz .LBB43_201
; %bb.196:
	v_cmp_ge_u32_e32 vcc, v15, v14
	s_and_saveexec_b64 s[4:5], vcc
	s_xor_b64 s[4:5], exec, s[4:5]
	s_cbranch_execz .LBB43_198
; %bb.197:
	v_add_co_u32_e32 v15, vcc, v7, v15
	v_lshlrev_b32_e32 v17, 2, v0
	v_addc_co_u32_e32 v16, vcc, 0, v13, vcc
	ds_read_b32 v17, v17 offset:5120
	v_lshlrev_b64 v[15:16], 2, v[15:16]
	v_mov_b32_e32 v18, s31
	v_sub_co_u32_e32 v15, vcc, s30, v15
	v_subb_co_u32_e32 v16, vcc, v18, v16, vcc
	s_waitcnt lgkmcnt(0)
	global_store_dword v[15:16], v17, off offset:-4
                                        ; implicit-def: $vgpr15
.LBB43_198:
	s_andn2_saveexec_b64 s[4:5], s[4:5]
	s_cbranch_execz .LBB43_200
; %bb.199:
	v_lshlrev_b32_e32 v16, 2, v0
	ds_read_b32 v16, v16 offset:5120
	v_lshlrev_b32_e32 v15, 2, v15
	v_readfirstlane_b32 s6, v9
	v_readfirstlane_b32 s7, v10
	s_waitcnt lgkmcnt(0)
	s_nop 3
	global_store_dword v15, v16, s[6:7]
.LBB43_200:
	s_or_b64 exec, exec, s[4:5]
                                        ; implicit-def: $vgpr15
.LBB43_201:
	s_andn2_saveexec_b64 s[2:3], s[2:3]
	s_cbranch_execz .LBB43_203
; %bb.202:
	v_lshlrev_b32_e32 v16, 2, v0
	ds_read_b32 v16, v16 offset:5120
	v_lshlrev_b32_e32 v15, 2, v15
	v_readfirstlane_b32 s4, v11
	v_readfirstlane_b32 s5, v12
	s_waitcnt lgkmcnt(0)
	s_nop 3
	global_store_dword v15, v16, s[4:5]
.LBB43_203:
	s_or_b64 exec, exec, s[2:3]
	v_or_b32_e32 v15, 0x600, v0
	v_cmp_ge_u32_e32 vcc, v15, v5
	s_and_saveexec_b64 s[2:3], vcc
	s_xor_b64 s[2:3], exec, s[2:3]
	s_cbranch_execz .LBB43_209
; %bb.204:
	v_cmp_ge_u32_e32 vcc, v15, v14
	s_and_saveexec_b64 s[4:5], vcc
	s_xor_b64 s[4:5], exec, s[4:5]
	s_cbranch_execz .LBB43_206
; %bb.205:
	v_add_co_u32_e32 v15, vcc, v7, v15
	v_lshlrev_b32_e32 v17, 2, v0
	v_addc_co_u32_e32 v16, vcc, 0, v13, vcc
	ds_read_b32 v17, v17 offset:6144
	v_lshlrev_b64 v[15:16], 2, v[15:16]
	v_mov_b32_e32 v18, s31
	v_sub_co_u32_e32 v15, vcc, s30, v15
	v_subb_co_u32_e32 v16, vcc, v18, v16, vcc
	s_waitcnt lgkmcnt(0)
	global_store_dword v[15:16], v17, off offset:-4
                                        ; implicit-def: $vgpr15
.LBB43_206:
	s_andn2_saveexec_b64 s[4:5], s[4:5]
	s_cbranch_execz .LBB43_208
; %bb.207:
	v_lshlrev_b32_e32 v16, 2, v0
	ds_read_b32 v16, v16 offset:6144
	v_lshlrev_b32_e32 v15, 2, v15
	v_readfirstlane_b32 s6, v9
	v_readfirstlane_b32 s7, v10
	s_waitcnt lgkmcnt(0)
	s_nop 3
	global_store_dword v15, v16, s[6:7]
.LBB43_208:
	s_or_b64 exec, exec, s[4:5]
                                        ; implicit-def: $vgpr15
.LBB43_209:
	;; [unrolled: 51-line block ×8, first 2 shown]
	s_andn2_saveexec_b64 s[2:3], s[2:3]
	s_cbranch_execz .LBB43_259
; %bb.258:
	v_lshlrev_b32_e32 v16, 2, v0
	ds_read_b32 v16, v16 offset:12288
	v_lshlrev_b32_e32 v15, 2, v15
	v_readfirstlane_b32 s4, v11
	v_readfirstlane_b32 s5, v12
	s_waitcnt lgkmcnt(0)
	s_nop 3
	global_store_dword v15, v16, s[4:5]
.LBB43_259:
	s_or_b64 exec, exec, s[2:3]
	s_branch .LBB43_153
.LBB43_260:
	v_cmp_gt_u32_e32 vcc, s16, v0
	s_and_saveexec_b64 s[2:3], vcc
	s_cbranch_execz .LBB43_269
; %bb.261:
	v_cmp_ge_u32_e32 vcc, v0, v5
	s_and_saveexec_b64 s[4:5], vcc
	s_xor_b64 s[4:5], exec, s[4:5]
	s_cbranch_execz .LBB43_267
; %bb.262:
	v_cmp_ge_u32_e32 vcc, v0, v14
	s_and_saveexec_b64 s[6:7], vcc
	s_xor_b64 s[6:7], exec, s[6:7]
	s_cbranch_execz .LBB43_264
; %bb.263:
	v_add_co_u32_e32 v15, vcc, v7, v0
	v_lshlrev_b32_e32 v17, 2, v0
	v_addc_co_u32_e32 v16, vcc, 0, v13, vcc
	ds_read_b32 v17, v17
	v_lshlrev_b64 v[15:16], 2, v[15:16]
	v_mov_b32_e32 v18, s31
	v_sub_co_u32_e32 v15, vcc, s30, v15
	v_subb_co_u32_e32 v16, vcc, v18, v16, vcc
	s_waitcnt lgkmcnt(0)
	global_store_dword v[15:16], v17, off offset:-4
.LBB43_264:
	s_andn2_saveexec_b64 s[6:7], s[6:7]
	s_cbranch_execz .LBB43_266
; %bb.265:
	v_lshlrev_b32_e32 v15, 2, v0
	ds_read_b32 v16, v15
	v_readfirstlane_b32 s8, v9
	v_readfirstlane_b32 s9, v10
	s_waitcnt lgkmcnt(0)
	s_nop 3
	global_store_dword v15, v16, s[8:9]
.LBB43_266:
	s_or_b64 exec, exec, s[6:7]
.LBB43_267:
	s_andn2_saveexec_b64 s[4:5], s[4:5]
	s_cbranch_execz .LBB43_269
; %bb.268:
	v_lshlrev_b32_e32 v15, 2, v0
	ds_read_b32 v16, v15
	v_readfirstlane_b32 s4, v11
	v_readfirstlane_b32 s5, v12
	s_waitcnt lgkmcnt(0)
	s_nop 3
	global_store_dword v15, v16, s[4:5]
.LBB43_269:
	s_or_b64 exec, exec, s[2:3]
	v_or_b32_e32 v15, 0x100, v0
	v_cmp_gt_u32_e32 vcc, s16, v15
	s_and_saveexec_b64 s[2:3], vcc
	s_cbranch_execz .LBB43_278
; %bb.270:
	v_cmp_ge_u32_e32 vcc, v15, v5
	s_and_saveexec_b64 s[4:5], vcc
	s_xor_b64 s[4:5], exec, s[4:5]
	s_cbranch_execz .LBB43_276
; %bb.271:
	v_cmp_ge_u32_e32 vcc, v15, v14
	s_and_saveexec_b64 s[6:7], vcc
	s_xor_b64 s[6:7], exec, s[6:7]
	s_cbranch_execz .LBB43_273
; %bb.272:
	v_lshlrev_b32_e32 v15, 2, v0
	ds_read_b32 v17, v15 offset:1024
	v_add_co_u32_e32 v15, vcc, v7, v0
	v_addc_co_u32_e32 v16, vcc, 0, v13, vcc
	v_lshlrev_b64 v[15:16], 2, v[15:16]
	v_mov_b32_e32 v18, s31
	v_sub_co_u32_e32 v15, vcc, s30, v15
	v_subb_co_u32_e32 v16, vcc, v18, v16, vcc
	s_waitcnt lgkmcnt(0)
	global_store_dword v[15:16], v17, off offset:-1028
.LBB43_273:
	s_andn2_saveexec_b64 s[6:7], s[6:7]
	s_cbranch_execz .LBB43_275
; %bb.274:
	v_lshlrev_b32_e32 v15, 2, v0
	ds_read_b32 v16, v15 offset:1024
	v_readfirstlane_b32 s8, v9
	v_readfirstlane_b32 s9, v10
	s_waitcnt lgkmcnt(0)
	s_nop 3
	global_store_dword v15, v16, s[8:9] offset:1024
.LBB43_275:
	s_or_b64 exec, exec, s[6:7]
.LBB43_276:
	s_andn2_saveexec_b64 s[4:5], s[4:5]
	s_cbranch_execz .LBB43_278
; %bb.277:
	v_lshlrev_b32_e32 v15, 2, v0
	ds_read_b32 v16, v15 offset:1024
	v_readfirstlane_b32 s4, v11
	v_readfirstlane_b32 s5, v12
	s_waitcnt lgkmcnt(0)
	s_nop 3
	global_store_dword v15, v16, s[4:5] offset:1024
.LBB43_278:
	s_or_b64 exec, exec, s[2:3]
	v_or_b32_e32 v15, 0x200, v0
	v_cmp_gt_u32_e32 vcc, s16, v15
	s_and_saveexec_b64 s[2:3], vcc
	s_cbranch_execz .LBB43_287
; %bb.279:
	v_cmp_ge_u32_e32 vcc, v15, v5
	s_and_saveexec_b64 s[4:5], vcc
	s_xor_b64 s[4:5], exec, s[4:5]
	s_cbranch_execz .LBB43_285
; %bb.280:
	v_cmp_ge_u32_e32 vcc, v15, v14
	s_and_saveexec_b64 s[6:7], vcc
	s_xor_b64 s[6:7], exec, s[6:7]
	s_cbranch_execz .LBB43_282
; %bb.281:
	v_lshlrev_b32_e32 v15, 2, v0
	ds_read_b32 v17, v15 offset:2048
	v_add_co_u32_e32 v15, vcc, v7, v0
	v_addc_co_u32_e32 v16, vcc, 0, v13, vcc
	v_lshlrev_b64 v[15:16], 2, v[15:16]
	v_mov_b32_e32 v18, s31
	v_sub_co_u32_e32 v15, vcc, s30, v15
	v_subb_co_u32_e32 v16, vcc, v18, v16, vcc
	s_waitcnt lgkmcnt(0)
	global_store_dword v[15:16], v17, off offset:-2052
.LBB43_282:
	s_andn2_saveexec_b64 s[6:7], s[6:7]
	s_cbranch_execz .LBB43_284
; %bb.283:
	v_lshlrev_b32_e32 v15, 2, v0
	ds_read_b32 v16, v15 offset:2048
	v_readfirstlane_b32 s8, v9
	v_readfirstlane_b32 s9, v10
	s_waitcnt lgkmcnt(0)
	s_nop 3
	global_store_dword v15, v16, s[8:9] offset:2048
.LBB43_284:
	s_or_b64 exec, exec, s[6:7]
.LBB43_285:
	s_andn2_saveexec_b64 s[4:5], s[4:5]
	s_cbranch_execz .LBB43_287
; %bb.286:
	v_lshlrev_b32_e32 v15, 2, v0
	ds_read_b32 v16, v15 offset:2048
	v_readfirstlane_b32 s4, v11
	v_readfirstlane_b32 s5, v12
	s_waitcnt lgkmcnt(0)
	s_nop 3
	global_store_dword v15, v16, s[4:5] offset:2048
.LBB43_287:
	;; [unrolled: 51-line block ×3, first 2 shown]
	s_or_b64 exec, exec, s[2:3]
	v_or_b32_e32 v15, 0x400, v0
	v_cmp_gt_u32_e32 vcc, s16, v15
	s_and_saveexec_b64 s[2:3], vcc
	s_cbranch_execz .LBB43_305
; %bb.297:
	v_cmp_ge_u32_e32 vcc, v15, v5
	s_and_saveexec_b64 s[4:5], vcc
	s_xor_b64 s[4:5], exec, s[4:5]
	s_cbranch_execz .LBB43_303
; %bb.298:
	v_cmp_ge_u32_e32 vcc, v15, v14
	s_and_saveexec_b64 s[6:7], vcc
	s_xor_b64 s[6:7], exec, s[6:7]
	s_cbranch_execz .LBB43_300
; %bb.299:
	v_lshlrev_b32_e32 v15, 2, v0
	ds_read_b32 v17, v15 offset:4096
	v_add_co_u32_e32 v15, vcc, v7, v0
	v_addc_co_u32_e32 v16, vcc, 0, v13, vcc
	v_lshlrev_b64 v[15:16], 2, v[15:16]
	v_mov_b32_e32 v18, s31
	v_sub_co_u32_e32 v15, vcc, s30, v15
	v_subb_co_u32_e32 v16, vcc, v18, v16, vcc
	v_add_co_u32_e32 v15, vcc, 0xfffff000, v15
	v_addc_co_u32_e32 v16, vcc, -1, v16, vcc
	s_waitcnt lgkmcnt(0)
	global_store_dword v[15:16], v17, off offset:-4
                                        ; implicit-def: $vgpr15
.LBB43_300:
	s_andn2_saveexec_b64 s[6:7], s[6:7]
	s_cbranch_execz .LBB43_302
; %bb.301:
	v_lshlrev_b32_e32 v16, 2, v0
	ds_read_b32 v16, v16 offset:4096
	v_lshlrev_b32_e32 v15, 2, v15
	v_readfirstlane_b32 s8, v9
	v_readfirstlane_b32 s9, v10
	s_waitcnt lgkmcnt(0)
	s_nop 3
	global_store_dword v15, v16, s[8:9]
.LBB43_302:
	s_or_b64 exec, exec, s[6:7]
                                        ; implicit-def: $vgpr15
.LBB43_303:
	s_andn2_saveexec_b64 s[4:5], s[4:5]
	s_cbranch_execz .LBB43_305
; %bb.304:
	v_lshlrev_b32_e32 v16, 2, v0
	ds_read_b32 v16, v16 offset:4096
	v_lshlrev_b32_e32 v15, 2, v15
	v_readfirstlane_b32 s4, v11
	v_readfirstlane_b32 s5, v12
	s_waitcnt lgkmcnt(0)
	s_nop 3
	global_store_dword v15, v16, s[4:5]
.LBB43_305:
	s_or_b64 exec, exec, s[2:3]
	v_or_b32_e32 v15, 0x500, v0
	v_cmp_gt_u32_e32 vcc, s16, v15
	s_and_saveexec_b64 s[2:3], vcc
	s_cbranch_execz .LBB43_314
; %bb.306:
	v_cmp_ge_u32_e32 vcc, v15, v5
	s_and_saveexec_b64 s[4:5], vcc
	s_xor_b64 s[4:5], exec, s[4:5]
	s_cbranch_execz .LBB43_312
; %bb.307:
	v_cmp_ge_u32_e32 vcc, v15, v14
	s_and_saveexec_b64 s[6:7], vcc
	s_xor_b64 s[6:7], exec, s[6:7]
	s_cbranch_execz .LBB43_309
; %bb.308:
	v_add_co_u32_e32 v15, vcc, v7, v15
	v_lshlrev_b32_e32 v17, 2, v0
	v_addc_co_u32_e32 v16, vcc, 0, v13, vcc
	ds_read_b32 v17, v17 offset:5120
	v_lshlrev_b64 v[15:16], 2, v[15:16]
	v_mov_b32_e32 v18, s31
	v_sub_co_u32_e32 v15, vcc, s30, v15
	v_subb_co_u32_e32 v16, vcc, v18, v16, vcc
	s_waitcnt lgkmcnt(0)
	global_store_dword v[15:16], v17, off offset:-4
                                        ; implicit-def: $vgpr15
.LBB43_309:
	s_andn2_saveexec_b64 s[6:7], s[6:7]
	s_cbranch_execz .LBB43_311
; %bb.310:
	v_lshlrev_b32_e32 v16, 2, v0
	ds_read_b32 v16, v16 offset:5120
	v_lshlrev_b32_e32 v15, 2, v15
	v_readfirstlane_b32 s8, v9
	v_readfirstlane_b32 s9, v10
	s_waitcnt lgkmcnt(0)
	s_nop 3
	global_store_dword v15, v16, s[8:9]
.LBB43_311:
	s_or_b64 exec, exec, s[6:7]
                                        ; implicit-def: $vgpr15
.LBB43_312:
	s_andn2_saveexec_b64 s[4:5], s[4:5]
	s_cbranch_execz .LBB43_314
; %bb.313:
	v_lshlrev_b32_e32 v16, 2, v0
	ds_read_b32 v16, v16 offset:5120
	v_lshlrev_b32_e32 v15, 2, v15
	v_readfirstlane_b32 s4, v11
	v_readfirstlane_b32 s5, v12
	s_waitcnt lgkmcnt(0)
	s_nop 3
	global_store_dword v15, v16, s[4:5]
.LBB43_314:
	s_or_b64 exec, exec, s[2:3]
	v_or_b32_e32 v15, 0x600, v0
	v_cmp_gt_u32_e32 vcc, s16, v15
	s_and_saveexec_b64 s[2:3], vcc
	s_cbranch_execz .LBB43_323
; %bb.315:
	v_cmp_ge_u32_e32 vcc, v15, v5
	s_and_saveexec_b64 s[4:5], vcc
	s_xor_b64 s[4:5], exec, s[4:5]
	s_cbranch_execz .LBB43_321
; %bb.316:
	v_cmp_ge_u32_e32 vcc, v15, v14
	s_and_saveexec_b64 s[6:7], vcc
	s_xor_b64 s[6:7], exec, s[6:7]
	s_cbranch_execz .LBB43_318
; %bb.317:
	v_add_co_u32_e32 v15, vcc, v7, v15
	v_lshlrev_b32_e32 v17, 2, v0
	v_addc_co_u32_e32 v16, vcc, 0, v13, vcc
	ds_read_b32 v17, v17 offset:6144
	v_lshlrev_b64 v[15:16], 2, v[15:16]
	v_mov_b32_e32 v18, s31
	v_sub_co_u32_e32 v15, vcc, s30, v15
	v_subb_co_u32_e32 v16, vcc, v18, v16, vcc
	s_waitcnt lgkmcnt(0)
	global_store_dword v[15:16], v17, off offset:-4
                                        ; implicit-def: $vgpr15
.LBB43_318:
	s_andn2_saveexec_b64 s[6:7], s[6:7]
	s_cbranch_execz .LBB43_320
; %bb.319:
	v_lshlrev_b32_e32 v16, 2, v0
	ds_read_b32 v16, v16 offset:6144
	v_lshlrev_b32_e32 v15, 2, v15
	v_readfirstlane_b32 s8, v9
	v_readfirstlane_b32 s9, v10
	s_waitcnt lgkmcnt(0)
	s_nop 3
	global_store_dword v15, v16, s[8:9]
.LBB43_320:
	s_or_b64 exec, exec, s[6:7]
                                        ; implicit-def: $vgpr15
.LBB43_321:
	s_andn2_saveexec_b64 s[4:5], s[4:5]
	s_cbranch_execz .LBB43_323
; %bb.322:
	v_lshlrev_b32_e32 v16, 2, v0
	ds_read_b32 v16, v16 offset:6144
	v_lshlrev_b32_e32 v15, 2, v15
	v_readfirstlane_b32 s4, v11
	v_readfirstlane_b32 s5, v12
	s_waitcnt lgkmcnt(0)
	s_nop 3
	global_store_dword v15, v16, s[4:5]
.LBB43_323:
	;; [unrolled: 55-line block ×7, first 2 shown]
	s_or_b64 exec, exec, s[2:3]
	v_or_b32_e32 v15, 0xc00, v0
	v_cmp_gt_u32_e32 vcc, s16, v15
	s_and_saveexec_b64 s[2:3], vcc
	s_cbranch_execz .LBB43_377
; %bb.369:
	v_cmp_ge_u32_e32 vcc, v15, v5
	s_and_saveexec_b64 s[4:5], vcc
	s_xor_b64 s[4:5], exec, s[4:5]
	s_cbranch_execz .LBB43_375
; %bb.370:
	v_cmp_ge_u32_e32 vcc, v15, v14
	s_and_saveexec_b64 s[6:7], vcc
	s_xor_b64 s[6:7], exec, s[6:7]
	s_cbranch_execz .LBB43_372
; %bb.371:
	v_add_co_u32_e32 v9, vcc, v7, v15
	v_lshlrev_b32_e32 v0, 2, v0
	v_addc_co_u32_e32 v10, vcc, 0, v13, vcc
	ds_read_b32 v0, v0 offset:12288
	v_lshlrev_b64 v[9:10], 2, v[9:10]
	v_mov_b32_e32 v7, s31
	v_sub_co_u32_e32 v9, vcc, s30, v9
	v_subb_co_u32_e32 v10, vcc, v7, v10, vcc
	s_waitcnt lgkmcnt(0)
	global_store_dword v[9:10], v0, off offset:-4
                                        ; implicit-def: $vgpr0
                                        ; implicit-def: $vgpr15
                                        ; implicit-def: $vgpr9_vgpr10
.LBB43_372:
	s_andn2_saveexec_b64 s[6:7], s[6:7]
	s_cbranch_execz .LBB43_374
; %bb.373:
	v_lshlrev_b32_e32 v0, 2, v0
	ds_read_b32 v0, v0 offset:12288
	v_lshlrev_b32_e32 v7, 2, v15
	v_readfirstlane_b32 s8, v9
	v_readfirstlane_b32 s9, v10
	s_waitcnt lgkmcnt(0)
	s_nop 3
	global_store_dword v7, v0, s[8:9]
.LBB43_374:
	s_or_b64 exec, exec, s[6:7]
                                        ; implicit-def: $vgpr0
                                        ; implicit-def: $vgpr15
                                        ; implicit-def: $vgpr11_vgpr12
.LBB43_375:
	s_andn2_saveexec_b64 s[4:5], s[4:5]
	s_cbranch_execz .LBB43_377
; %bb.376:
	v_lshlrev_b32_e32 v0, 2, v0
	ds_read_b32 v0, v0 offset:12288
	v_lshlrev_b32_e32 v7, 2, v15
	v_readfirstlane_b32 s4, v11
	v_readfirstlane_b32 s5, v12
	s_waitcnt lgkmcnt(0)
	s_nop 3
	global_store_dword v7, v0, s[4:5]
.LBB43_377:
	s_or_b64 exec, exec, s[2:3]
	s_and_b64 s[0:1], s[0:1], s[34:35]
	s_and_saveexec_b64 s[2:3], s[0:1]
	s_cbranch_execz .LBB43_154
.LBB43_378:
	v_add_co_u32_e32 v3, vcc, v3, v6
	v_addc_co_u32_e32 v4, vcc, 0, v4, vcc
	v_add_co_u32_e32 v3, vcc, v3, v8
	v_addc_co_u32_e32 v4, vcc, 0, v4, vcc
	v_add_co_u32_e32 v1, vcc, v1, v5
	v_mov_b32_e32 v0, 0
	v_addc_co_u32_e32 v2, vcc, 0, v2, vcc
	global_store_dwordx4 v0, v[1:4], s[44:45]
	s_endpgm
.LBB43_379:
	s_add_i32 s14, s33, 64
	s_mov_b32 s15, 0
	s_lshl_b64 s[14:15], s[14:15], 4
	s_add_u32 s14, s54, s14
	s_addc_u32 s15, s55, s15
	v_mov_b32_e32 v28, s15
	v_add_u32_e32 v10, v8, v6
	v_add_u32_e32 v9, v7, v5
	v_mov_b32_e32 v11, 2
	v_mov_b32_e32 v12, 0
	;; [unrolled: 1-line block ×3, first 2 shown]
	;;#ASMSTART
	global_store_dwordx4 v[27:28], v[9:12] off	
s_waitcnt vmcnt(0)
	;;#ASMEND
	s_or_b64 exec, exec, s[12:13]
	s_and_saveexec_b64 s[12:13], s[8:9]
	s_cbranch_execz .LBB43_139
.LBB43_380:
	v_mov_b32_e32 v9, 0
	ds_write_b128 v9, v[5:8] offset:13312
	s_or_b64 exec, exec, s[12:13]
	s_and_b64 exec, exec, s[0:1]
	s_cbranch_execnz .LBB43_140
	s_branch .LBB43_141
	.section	.rodata,"a",@progbits
	.p2align	6, 0x0
	.amdhsa_kernel _ZN7rocprim17ROCPRIM_400000_NS6detail17trampoline_kernelINS0_13select_configILj256ELj13ELNS0_17block_load_methodE3ELS4_3ELS4_3ELNS0_20block_scan_algorithmE0ELj4294967295EEENS1_25partition_config_selectorILNS1_17partition_subalgoE4EjNS0_10empty_typeEbEEZZNS1_14partition_implILS8_4ELb0ES6_15HIP_vector_typeIjLj2EENS0_17counting_iteratorIjlEEPS9_SG_NS0_5tupleIJPjSI_NS0_16reverse_iteratorISI_EEEEENSH_IJSG_SG_SG_EEES9_SI_JZNS1_25segmented_radix_sort_implINS0_14default_configELb1EPKhPhPKlPlN2at6native12_GLOBAL__N_18offset_tEEE10hipError_tPvRmT1_PNSt15iterator_traitsIS12_E10value_typeET2_T3_PNS13_IS18_E10value_typeET4_jRbjT5_S1E_jjP12ihipStream_tbEUljE_ZNSN_ISO_Lb1ESQ_SR_ST_SU_SY_EESZ_S10_S11_S12_S16_S17_S18_S1B_S1C_jS1D_jS1E_S1E_jjS1G_bEUljE0_EEESZ_S10_S11_S18_S1C_S1E_T6_T7_T9_mT8_S1G_bDpT10_ENKUlT_T0_E_clISt17integral_constantIbLb0EES1T_IbLb1EEEEDaS1P_S1Q_EUlS1P_E_NS1_11comp_targetILNS1_3genE2ELNS1_11target_archE906ELNS1_3gpuE6ELNS1_3repE0EEENS1_30default_config_static_selectorELNS0_4arch9wavefront6targetE1EEEvS12_
		.amdhsa_group_segment_fixed_size 13328
		.amdhsa_private_segment_fixed_size 0
		.amdhsa_kernarg_size 184
		.amdhsa_user_sgpr_count 6
		.amdhsa_user_sgpr_private_segment_buffer 1
		.amdhsa_user_sgpr_dispatch_ptr 0
		.amdhsa_user_sgpr_queue_ptr 0
		.amdhsa_user_sgpr_kernarg_segment_ptr 1
		.amdhsa_user_sgpr_dispatch_id 0
		.amdhsa_user_sgpr_flat_scratch_init 0
		.amdhsa_user_sgpr_private_segment_size 0
		.amdhsa_uses_dynamic_stack 0
		.amdhsa_system_sgpr_private_segment_wavefront_offset 0
		.amdhsa_system_sgpr_workgroup_id_x 1
		.amdhsa_system_sgpr_workgroup_id_y 0
		.amdhsa_system_sgpr_workgroup_id_z 0
		.amdhsa_system_sgpr_workgroup_info 0
		.amdhsa_system_vgpr_workitem_id 0
		.amdhsa_next_free_vgpr 91
		.amdhsa_next_free_sgpr 98
		.amdhsa_reserve_vcc 1
		.amdhsa_reserve_flat_scratch 0
		.amdhsa_float_round_mode_32 0
		.amdhsa_float_round_mode_16_64 0
		.amdhsa_float_denorm_mode_32 3
		.amdhsa_float_denorm_mode_16_64 3
		.amdhsa_dx10_clamp 1
		.amdhsa_ieee_mode 1
		.amdhsa_fp16_overflow 0
		.amdhsa_exception_fp_ieee_invalid_op 0
		.amdhsa_exception_fp_denorm_src 0
		.amdhsa_exception_fp_ieee_div_zero 0
		.amdhsa_exception_fp_ieee_overflow 0
		.amdhsa_exception_fp_ieee_underflow 0
		.amdhsa_exception_fp_ieee_inexact 0
		.amdhsa_exception_int_div_zero 0
	.end_amdhsa_kernel
	.section	.text._ZN7rocprim17ROCPRIM_400000_NS6detail17trampoline_kernelINS0_13select_configILj256ELj13ELNS0_17block_load_methodE3ELS4_3ELS4_3ELNS0_20block_scan_algorithmE0ELj4294967295EEENS1_25partition_config_selectorILNS1_17partition_subalgoE4EjNS0_10empty_typeEbEEZZNS1_14partition_implILS8_4ELb0ES6_15HIP_vector_typeIjLj2EENS0_17counting_iteratorIjlEEPS9_SG_NS0_5tupleIJPjSI_NS0_16reverse_iteratorISI_EEEEENSH_IJSG_SG_SG_EEES9_SI_JZNS1_25segmented_radix_sort_implINS0_14default_configELb1EPKhPhPKlPlN2at6native12_GLOBAL__N_18offset_tEEE10hipError_tPvRmT1_PNSt15iterator_traitsIS12_E10value_typeET2_T3_PNS13_IS18_E10value_typeET4_jRbjT5_S1E_jjP12ihipStream_tbEUljE_ZNSN_ISO_Lb1ESQ_SR_ST_SU_SY_EESZ_S10_S11_S12_S16_S17_S18_S1B_S1C_jS1D_jS1E_S1E_jjS1G_bEUljE0_EEESZ_S10_S11_S18_S1C_S1E_T6_T7_T9_mT8_S1G_bDpT10_ENKUlT_T0_E_clISt17integral_constantIbLb0EES1T_IbLb1EEEEDaS1P_S1Q_EUlS1P_E_NS1_11comp_targetILNS1_3genE2ELNS1_11target_archE906ELNS1_3gpuE6ELNS1_3repE0EEENS1_30default_config_static_selectorELNS0_4arch9wavefront6targetE1EEEvS12_,"axG",@progbits,_ZN7rocprim17ROCPRIM_400000_NS6detail17trampoline_kernelINS0_13select_configILj256ELj13ELNS0_17block_load_methodE3ELS4_3ELS4_3ELNS0_20block_scan_algorithmE0ELj4294967295EEENS1_25partition_config_selectorILNS1_17partition_subalgoE4EjNS0_10empty_typeEbEEZZNS1_14partition_implILS8_4ELb0ES6_15HIP_vector_typeIjLj2EENS0_17counting_iteratorIjlEEPS9_SG_NS0_5tupleIJPjSI_NS0_16reverse_iteratorISI_EEEEENSH_IJSG_SG_SG_EEES9_SI_JZNS1_25segmented_radix_sort_implINS0_14default_configELb1EPKhPhPKlPlN2at6native12_GLOBAL__N_18offset_tEEE10hipError_tPvRmT1_PNSt15iterator_traitsIS12_E10value_typeET2_T3_PNS13_IS18_E10value_typeET4_jRbjT5_S1E_jjP12ihipStream_tbEUljE_ZNSN_ISO_Lb1ESQ_SR_ST_SU_SY_EESZ_S10_S11_S12_S16_S17_S18_S1B_S1C_jS1D_jS1E_S1E_jjS1G_bEUljE0_EEESZ_S10_S11_S18_S1C_S1E_T6_T7_T9_mT8_S1G_bDpT10_ENKUlT_T0_E_clISt17integral_constantIbLb0EES1T_IbLb1EEEEDaS1P_S1Q_EUlS1P_E_NS1_11comp_targetILNS1_3genE2ELNS1_11target_archE906ELNS1_3gpuE6ELNS1_3repE0EEENS1_30default_config_static_selectorELNS0_4arch9wavefront6targetE1EEEvS12_,comdat
.Lfunc_end43:
	.size	_ZN7rocprim17ROCPRIM_400000_NS6detail17trampoline_kernelINS0_13select_configILj256ELj13ELNS0_17block_load_methodE3ELS4_3ELS4_3ELNS0_20block_scan_algorithmE0ELj4294967295EEENS1_25partition_config_selectorILNS1_17partition_subalgoE4EjNS0_10empty_typeEbEEZZNS1_14partition_implILS8_4ELb0ES6_15HIP_vector_typeIjLj2EENS0_17counting_iteratorIjlEEPS9_SG_NS0_5tupleIJPjSI_NS0_16reverse_iteratorISI_EEEEENSH_IJSG_SG_SG_EEES9_SI_JZNS1_25segmented_radix_sort_implINS0_14default_configELb1EPKhPhPKlPlN2at6native12_GLOBAL__N_18offset_tEEE10hipError_tPvRmT1_PNSt15iterator_traitsIS12_E10value_typeET2_T3_PNS13_IS18_E10value_typeET4_jRbjT5_S1E_jjP12ihipStream_tbEUljE_ZNSN_ISO_Lb1ESQ_SR_ST_SU_SY_EESZ_S10_S11_S12_S16_S17_S18_S1B_S1C_jS1D_jS1E_S1E_jjS1G_bEUljE0_EEESZ_S10_S11_S18_S1C_S1E_T6_T7_T9_mT8_S1G_bDpT10_ENKUlT_T0_E_clISt17integral_constantIbLb0EES1T_IbLb1EEEEDaS1P_S1Q_EUlS1P_E_NS1_11comp_targetILNS1_3genE2ELNS1_11target_archE906ELNS1_3gpuE6ELNS1_3repE0EEENS1_30default_config_static_selectorELNS0_4arch9wavefront6targetE1EEEvS12_, .Lfunc_end43-_ZN7rocprim17ROCPRIM_400000_NS6detail17trampoline_kernelINS0_13select_configILj256ELj13ELNS0_17block_load_methodE3ELS4_3ELS4_3ELNS0_20block_scan_algorithmE0ELj4294967295EEENS1_25partition_config_selectorILNS1_17partition_subalgoE4EjNS0_10empty_typeEbEEZZNS1_14partition_implILS8_4ELb0ES6_15HIP_vector_typeIjLj2EENS0_17counting_iteratorIjlEEPS9_SG_NS0_5tupleIJPjSI_NS0_16reverse_iteratorISI_EEEEENSH_IJSG_SG_SG_EEES9_SI_JZNS1_25segmented_radix_sort_implINS0_14default_configELb1EPKhPhPKlPlN2at6native12_GLOBAL__N_18offset_tEEE10hipError_tPvRmT1_PNSt15iterator_traitsIS12_E10value_typeET2_T3_PNS13_IS18_E10value_typeET4_jRbjT5_S1E_jjP12ihipStream_tbEUljE_ZNSN_ISO_Lb1ESQ_SR_ST_SU_SY_EESZ_S10_S11_S12_S16_S17_S18_S1B_S1C_jS1D_jS1E_S1E_jjS1G_bEUljE0_EEESZ_S10_S11_S18_S1C_S1E_T6_T7_T9_mT8_S1G_bDpT10_ENKUlT_T0_E_clISt17integral_constantIbLb0EES1T_IbLb1EEEEDaS1P_S1Q_EUlS1P_E_NS1_11comp_targetILNS1_3genE2ELNS1_11target_archE906ELNS1_3gpuE6ELNS1_3repE0EEENS1_30default_config_static_selectorELNS0_4arch9wavefront6targetE1EEEvS12_
                                        ; -- End function
	.set _ZN7rocprim17ROCPRIM_400000_NS6detail17trampoline_kernelINS0_13select_configILj256ELj13ELNS0_17block_load_methodE3ELS4_3ELS4_3ELNS0_20block_scan_algorithmE0ELj4294967295EEENS1_25partition_config_selectorILNS1_17partition_subalgoE4EjNS0_10empty_typeEbEEZZNS1_14partition_implILS8_4ELb0ES6_15HIP_vector_typeIjLj2EENS0_17counting_iteratorIjlEEPS9_SG_NS0_5tupleIJPjSI_NS0_16reverse_iteratorISI_EEEEENSH_IJSG_SG_SG_EEES9_SI_JZNS1_25segmented_radix_sort_implINS0_14default_configELb1EPKhPhPKlPlN2at6native12_GLOBAL__N_18offset_tEEE10hipError_tPvRmT1_PNSt15iterator_traitsIS12_E10value_typeET2_T3_PNS13_IS18_E10value_typeET4_jRbjT5_S1E_jjP12ihipStream_tbEUljE_ZNSN_ISO_Lb1ESQ_SR_ST_SU_SY_EESZ_S10_S11_S12_S16_S17_S18_S1B_S1C_jS1D_jS1E_S1E_jjS1G_bEUljE0_EEESZ_S10_S11_S18_S1C_S1E_T6_T7_T9_mT8_S1G_bDpT10_ENKUlT_T0_E_clISt17integral_constantIbLb0EES1T_IbLb1EEEEDaS1P_S1Q_EUlS1P_E_NS1_11comp_targetILNS1_3genE2ELNS1_11target_archE906ELNS1_3gpuE6ELNS1_3repE0EEENS1_30default_config_static_selectorELNS0_4arch9wavefront6targetE1EEEvS12_.num_vgpr, 91
	.set _ZN7rocprim17ROCPRIM_400000_NS6detail17trampoline_kernelINS0_13select_configILj256ELj13ELNS0_17block_load_methodE3ELS4_3ELS4_3ELNS0_20block_scan_algorithmE0ELj4294967295EEENS1_25partition_config_selectorILNS1_17partition_subalgoE4EjNS0_10empty_typeEbEEZZNS1_14partition_implILS8_4ELb0ES6_15HIP_vector_typeIjLj2EENS0_17counting_iteratorIjlEEPS9_SG_NS0_5tupleIJPjSI_NS0_16reverse_iteratorISI_EEEEENSH_IJSG_SG_SG_EEES9_SI_JZNS1_25segmented_radix_sort_implINS0_14default_configELb1EPKhPhPKlPlN2at6native12_GLOBAL__N_18offset_tEEE10hipError_tPvRmT1_PNSt15iterator_traitsIS12_E10value_typeET2_T3_PNS13_IS18_E10value_typeET4_jRbjT5_S1E_jjP12ihipStream_tbEUljE_ZNSN_ISO_Lb1ESQ_SR_ST_SU_SY_EESZ_S10_S11_S12_S16_S17_S18_S1B_S1C_jS1D_jS1E_S1E_jjS1G_bEUljE0_EEESZ_S10_S11_S18_S1C_S1E_T6_T7_T9_mT8_S1G_bDpT10_ENKUlT_T0_E_clISt17integral_constantIbLb0EES1T_IbLb1EEEEDaS1P_S1Q_EUlS1P_E_NS1_11comp_targetILNS1_3genE2ELNS1_11target_archE906ELNS1_3gpuE6ELNS1_3repE0EEENS1_30default_config_static_selectorELNS0_4arch9wavefront6targetE1EEEvS12_.num_agpr, 0
	.set _ZN7rocprim17ROCPRIM_400000_NS6detail17trampoline_kernelINS0_13select_configILj256ELj13ELNS0_17block_load_methodE3ELS4_3ELS4_3ELNS0_20block_scan_algorithmE0ELj4294967295EEENS1_25partition_config_selectorILNS1_17partition_subalgoE4EjNS0_10empty_typeEbEEZZNS1_14partition_implILS8_4ELb0ES6_15HIP_vector_typeIjLj2EENS0_17counting_iteratorIjlEEPS9_SG_NS0_5tupleIJPjSI_NS0_16reverse_iteratorISI_EEEEENSH_IJSG_SG_SG_EEES9_SI_JZNS1_25segmented_radix_sort_implINS0_14default_configELb1EPKhPhPKlPlN2at6native12_GLOBAL__N_18offset_tEEE10hipError_tPvRmT1_PNSt15iterator_traitsIS12_E10value_typeET2_T3_PNS13_IS18_E10value_typeET4_jRbjT5_S1E_jjP12ihipStream_tbEUljE_ZNSN_ISO_Lb1ESQ_SR_ST_SU_SY_EESZ_S10_S11_S12_S16_S17_S18_S1B_S1C_jS1D_jS1E_S1E_jjS1G_bEUljE0_EEESZ_S10_S11_S18_S1C_S1E_T6_T7_T9_mT8_S1G_bDpT10_ENKUlT_T0_E_clISt17integral_constantIbLb0EES1T_IbLb1EEEEDaS1P_S1Q_EUlS1P_E_NS1_11comp_targetILNS1_3genE2ELNS1_11target_archE906ELNS1_3gpuE6ELNS1_3repE0EEENS1_30default_config_static_selectorELNS0_4arch9wavefront6targetE1EEEvS12_.numbered_sgpr, 87
	.set _ZN7rocprim17ROCPRIM_400000_NS6detail17trampoline_kernelINS0_13select_configILj256ELj13ELNS0_17block_load_methodE3ELS4_3ELS4_3ELNS0_20block_scan_algorithmE0ELj4294967295EEENS1_25partition_config_selectorILNS1_17partition_subalgoE4EjNS0_10empty_typeEbEEZZNS1_14partition_implILS8_4ELb0ES6_15HIP_vector_typeIjLj2EENS0_17counting_iteratorIjlEEPS9_SG_NS0_5tupleIJPjSI_NS0_16reverse_iteratorISI_EEEEENSH_IJSG_SG_SG_EEES9_SI_JZNS1_25segmented_radix_sort_implINS0_14default_configELb1EPKhPhPKlPlN2at6native12_GLOBAL__N_18offset_tEEE10hipError_tPvRmT1_PNSt15iterator_traitsIS12_E10value_typeET2_T3_PNS13_IS18_E10value_typeET4_jRbjT5_S1E_jjP12ihipStream_tbEUljE_ZNSN_ISO_Lb1ESQ_SR_ST_SU_SY_EESZ_S10_S11_S12_S16_S17_S18_S1B_S1C_jS1D_jS1E_S1E_jjS1G_bEUljE0_EEESZ_S10_S11_S18_S1C_S1E_T6_T7_T9_mT8_S1G_bDpT10_ENKUlT_T0_E_clISt17integral_constantIbLb0EES1T_IbLb1EEEEDaS1P_S1Q_EUlS1P_E_NS1_11comp_targetILNS1_3genE2ELNS1_11target_archE906ELNS1_3gpuE6ELNS1_3repE0EEENS1_30default_config_static_selectorELNS0_4arch9wavefront6targetE1EEEvS12_.num_named_barrier, 0
	.set _ZN7rocprim17ROCPRIM_400000_NS6detail17trampoline_kernelINS0_13select_configILj256ELj13ELNS0_17block_load_methodE3ELS4_3ELS4_3ELNS0_20block_scan_algorithmE0ELj4294967295EEENS1_25partition_config_selectorILNS1_17partition_subalgoE4EjNS0_10empty_typeEbEEZZNS1_14partition_implILS8_4ELb0ES6_15HIP_vector_typeIjLj2EENS0_17counting_iteratorIjlEEPS9_SG_NS0_5tupleIJPjSI_NS0_16reverse_iteratorISI_EEEEENSH_IJSG_SG_SG_EEES9_SI_JZNS1_25segmented_radix_sort_implINS0_14default_configELb1EPKhPhPKlPlN2at6native12_GLOBAL__N_18offset_tEEE10hipError_tPvRmT1_PNSt15iterator_traitsIS12_E10value_typeET2_T3_PNS13_IS18_E10value_typeET4_jRbjT5_S1E_jjP12ihipStream_tbEUljE_ZNSN_ISO_Lb1ESQ_SR_ST_SU_SY_EESZ_S10_S11_S12_S16_S17_S18_S1B_S1C_jS1D_jS1E_S1E_jjS1G_bEUljE0_EEESZ_S10_S11_S18_S1C_S1E_T6_T7_T9_mT8_S1G_bDpT10_ENKUlT_T0_E_clISt17integral_constantIbLb0EES1T_IbLb1EEEEDaS1P_S1Q_EUlS1P_E_NS1_11comp_targetILNS1_3genE2ELNS1_11target_archE906ELNS1_3gpuE6ELNS1_3repE0EEENS1_30default_config_static_selectorELNS0_4arch9wavefront6targetE1EEEvS12_.private_seg_size, 0
	.set _ZN7rocprim17ROCPRIM_400000_NS6detail17trampoline_kernelINS0_13select_configILj256ELj13ELNS0_17block_load_methodE3ELS4_3ELS4_3ELNS0_20block_scan_algorithmE0ELj4294967295EEENS1_25partition_config_selectorILNS1_17partition_subalgoE4EjNS0_10empty_typeEbEEZZNS1_14partition_implILS8_4ELb0ES6_15HIP_vector_typeIjLj2EENS0_17counting_iteratorIjlEEPS9_SG_NS0_5tupleIJPjSI_NS0_16reverse_iteratorISI_EEEEENSH_IJSG_SG_SG_EEES9_SI_JZNS1_25segmented_radix_sort_implINS0_14default_configELb1EPKhPhPKlPlN2at6native12_GLOBAL__N_18offset_tEEE10hipError_tPvRmT1_PNSt15iterator_traitsIS12_E10value_typeET2_T3_PNS13_IS18_E10value_typeET4_jRbjT5_S1E_jjP12ihipStream_tbEUljE_ZNSN_ISO_Lb1ESQ_SR_ST_SU_SY_EESZ_S10_S11_S12_S16_S17_S18_S1B_S1C_jS1D_jS1E_S1E_jjS1G_bEUljE0_EEESZ_S10_S11_S18_S1C_S1E_T6_T7_T9_mT8_S1G_bDpT10_ENKUlT_T0_E_clISt17integral_constantIbLb0EES1T_IbLb1EEEEDaS1P_S1Q_EUlS1P_E_NS1_11comp_targetILNS1_3genE2ELNS1_11target_archE906ELNS1_3gpuE6ELNS1_3repE0EEENS1_30default_config_static_selectorELNS0_4arch9wavefront6targetE1EEEvS12_.uses_vcc, 1
	.set _ZN7rocprim17ROCPRIM_400000_NS6detail17trampoline_kernelINS0_13select_configILj256ELj13ELNS0_17block_load_methodE3ELS4_3ELS4_3ELNS0_20block_scan_algorithmE0ELj4294967295EEENS1_25partition_config_selectorILNS1_17partition_subalgoE4EjNS0_10empty_typeEbEEZZNS1_14partition_implILS8_4ELb0ES6_15HIP_vector_typeIjLj2EENS0_17counting_iteratorIjlEEPS9_SG_NS0_5tupleIJPjSI_NS0_16reverse_iteratorISI_EEEEENSH_IJSG_SG_SG_EEES9_SI_JZNS1_25segmented_radix_sort_implINS0_14default_configELb1EPKhPhPKlPlN2at6native12_GLOBAL__N_18offset_tEEE10hipError_tPvRmT1_PNSt15iterator_traitsIS12_E10value_typeET2_T3_PNS13_IS18_E10value_typeET4_jRbjT5_S1E_jjP12ihipStream_tbEUljE_ZNSN_ISO_Lb1ESQ_SR_ST_SU_SY_EESZ_S10_S11_S12_S16_S17_S18_S1B_S1C_jS1D_jS1E_S1E_jjS1G_bEUljE0_EEESZ_S10_S11_S18_S1C_S1E_T6_T7_T9_mT8_S1G_bDpT10_ENKUlT_T0_E_clISt17integral_constantIbLb0EES1T_IbLb1EEEEDaS1P_S1Q_EUlS1P_E_NS1_11comp_targetILNS1_3genE2ELNS1_11target_archE906ELNS1_3gpuE6ELNS1_3repE0EEENS1_30default_config_static_selectorELNS0_4arch9wavefront6targetE1EEEvS12_.uses_flat_scratch, 0
	.set _ZN7rocprim17ROCPRIM_400000_NS6detail17trampoline_kernelINS0_13select_configILj256ELj13ELNS0_17block_load_methodE3ELS4_3ELS4_3ELNS0_20block_scan_algorithmE0ELj4294967295EEENS1_25partition_config_selectorILNS1_17partition_subalgoE4EjNS0_10empty_typeEbEEZZNS1_14partition_implILS8_4ELb0ES6_15HIP_vector_typeIjLj2EENS0_17counting_iteratorIjlEEPS9_SG_NS0_5tupleIJPjSI_NS0_16reverse_iteratorISI_EEEEENSH_IJSG_SG_SG_EEES9_SI_JZNS1_25segmented_radix_sort_implINS0_14default_configELb1EPKhPhPKlPlN2at6native12_GLOBAL__N_18offset_tEEE10hipError_tPvRmT1_PNSt15iterator_traitsIS12_E10value_typeET2_T3_PNS13_IS18_E10value_typeET4_jRbjT5_S1E_jjP12ihipStream_tbEUljE_ZNSN_ISO_Lb1ESQ_SR_ST_SU_SY_EESZ_S10_S11_S12_S16_S17_S18_S1B_S1C_jS1D_jS1E_S1E_jjS1G_bEUljE0_EEESZ_S10_S11_S18_S1C_S1E_T6_T7_T9_mT8_S1G_bDpT10_ENKUlT_T0_E_clISt17integral_constantIbLb0EES1T_IbLb1EEEEDaS1P_S1Q_EUlS1P_E_NS1_11comp_targetILNS1_3genE2ELNS1_11target_archE906ELNS1_3gpuE6ELNS1_3repE0EEENS1_30default_config_static_selectorELNS0_4arch9wavefront6targetE1EEEvS12_.has_dyn_sized_stack, 0
	.set _ZN7rocprim17ROCPRIM_400000_NS6detail17trampoline_kernelINS0_13select_configILj256ELj13ELNS0_17block_load_methodE3ELS4_3ELS4_3ELNS0_20block_scan_algorithmE0ELj4294967295EEENS1_25partition_config_selectorILNS1_17partition_subalgoE4EjNS0_10empty_typeEbEEZZNS1_14partition_implILS8_4ELb0ES6_15HIP_vector_typeIjLj2EENS0_17counting_iteratorIjlEEPS9_SG_NS0_5tupleIJPjSI_NS0_16reverse_iteratorISI_EEEEENSH_IJSG_SG_SG_EEES9_SI_JZNS1_25segmented_radix_sort_implINS0_14default_configELb1EPKhPhPKlPlN2at6native12_GLOBAL__N_18offset_tEEE10hipError_tPvRmT1_PNSt15iterator_traitsIS12_E10value_typeET2_T3_PNS13_IS18_E10value_typeET4_jRbjT5_S1E_jjP12ihipStream_tbEUljE_ZNSN_ISO_Lb1ESQ_SR_ST_SU_SY_EESZ_S10_S11_S12_S16_S17_S18_S1B_S1C_jS1D_jS1E_S1E_jjS1G_bEUljE0_EEESZ_S10_S11_S18_S1C_S1E_T6_T7_T9_mT8_S1G_bDpT10_ENKUlT_T0_E_clISt17integral_constantIbLb0EES1T_IbLb1EEEEDaS1P_S1Q_EUlS1P_E_NS1_11comp_targetILNS1_3genE2ELNS1_11target_archE906ELNS1_3gpuE6ELNS1_3repE0EEENS1_30default_config_static_selectorELNS0_4arch9wavefront6targetE1EEEvS12_.has_recursion, 0
	.set _ZN7rocprim17ROCPRIM_400000_NS6detail17trampoline_kernelINS0_13select_configILj256ELj13ELNS0_17block_load_methodE3ELS4_3ELS4_3ELNS0_20block_scan_algorithmE0ELj4294967295EEENS1_25partition_config_selectorILNS1_17partition_subalgoE4EjNS0_10empty_typeEbEEZZNS1_14partition_implILS8_4ELb0ES6_15HIP_vector_typeIjLj2EENS0_17counting_iteratorIjlEEPS9_SG_NS0_5tupleIJPjSI_NS0_16reverse_iteratorISI_EEEEENSH_IJSG_SG_SG_EEES9_SI_JZNS1_25segmented_radix_sort_implINS0_14default_configELb1EPKhPhPKlPlN2at6native12_GLOBAL__N_18offset_tEEE10hipError_tPvRmT1_PNSt15iterator_traitsIS12_E10value_typeET2_T3_PNS13_IS18_E10value_typeET4_jRbjT5_S1E_jjP12ihipStream_tbEUljE_ZNSN_ISO_Lb1ESQ_SR_ST_SU_SY_EESZ_S10_S11_S12_S16_S17_S18_S1B_S1C_jS1D_jS1E_S1E_jjS1G_bEUljE0_EEESZ_S10_S11_S18_S1C_S1E_T6_T7_T9_mT8_S1G_bDpT10_ENKUlT_T0_E_clISt17integral_constantIbLb0EES1T_IbLb1EEEEDaS1P_S1Q_EUlS1P_E_NS1_11comp_targetILNS1_3genE2ELNS1_11target_archE906ELNS1_3gpuE6ELNS1_3repE0EEENS1_30default_config_static_selectorELNS0_4arch9wavefront6targetE1EEEvS12_.has_indirect_call, 0
	.section	.AMDGPU.csdata,"",@progbits
; Kernel info:
; codeLenInByte = 15580
; TotalNumSgprs: 91
; NumVgprs: 91
; ScratchSize: 0
; MemoryBound: 0
; FloatMode: 240
; IeeeMode: 1
; LDSByteSize: 13328 bytes/workgroup (compile time only)
; SGPRBlocks: 12
; VGPRBlocks: 22
; NumSGPRsForWavesPerEU: 102
; NumVGPRsForWavesPerEU: 91
; Occupancy: 2
; WaveLimiterHint : 1
; COMPUTE_PGM_RSRC2:SCRATCH_EN: 0
; COMPUTE_PGM_RSRC2:USER_SGPR: 6
; COMPUTE_PGM_RSRC2:TRAP_HANDLER: 0
; COMPUTE_PGM_RSRC2:TGID_X_EN: 1
; COMPUTE_PGM_RSRC2:TGID_Y_EN: 0
; COMPUTE_PGM_RSRC2:TGID_Z_EN: 0
; COMPUTE_PGM_RSRC2:TIDIG_COMP_CNT: 0
	.section	.text._ZN7rocprim17ROCPRIM_400000_NS6detail17trampoline_kernelINS0_13select_configILj256ELj13ELNS0_17block_load_methodE3ELS4_3ELS4_3ELNS0_20block_scan_algorithmE0ELj4294967295EEENS1_25partition_config_selectorILNS1_17partition_subalgoE4EjNS0_10empty_typeEbEEZZNS1_14partition_implILS8_4ELb0ES6_15HIP_vector_typeIjLj2EENS0_17counting_iteratorIjlEEPS9_SG_NS0_5tupleIJPjSI_NS0_16reverse_iteratorISI_EEEEENSH_IJSG_SG_SG_EEES9_SI_JZNS1_25segmented_radix_sort_implINS0_14default_configELb1EPKhPhPKlPlN2at6native12_GLOBAL__N_18offset_tEEE10hipError_tPvRmT1_PNSt15iterator_traitsIS12_E10value_typeET2_T3_PNS13_IS18_E10value_typeET4_jRbjT5_S1E_jjP12ihipStream_tbEUljE_ZNSN_ISO_Lb1ESQ_SR_ST_SU_SY_EESZ_S10_S11_S12_S16_S17_S18_S1B_S1C_jS1D_jS1E_S1E_jjS1G_bEUljE0_EEESZ_S10_S11_S18_S1C_S1E_T6_T7_T9_mT8_S1G_bDpT10_ENKUlT_T0_E_clISt17integral_constantIbLb0EES1T_IbLb1EEEEDaS1P_S1Q_EUlS1P_E_NS1_11comp_targetILNS1_3genE10ELNS1_11target_archE1200ELNS1_3gpuE4ELNS1_3repE0EEENS1_30default_config_static_selectorELNS0_4arch9wavefront6targetE1EEEvS12_,"axG",@progbits,_ZN7rocprim17ROCPRIM_400000_NS6detail17trampoline_kernelINS0_13select_configILj256ELj13ELNS0_17block_load_methodE3ELS4_3ELS4_3ELNS0_20block_scan_algorithmE0ELj4294967295EEENS1_25partition_config_selectorILNS1_17partition_subalgoE4EjNS0_10empty_typeEbEEZZNS1_14partition_implILS8_4ELb0ES6_15HIP_vector_typeIjLj2EENS0_17counting_iteratorIjlEEPS9_SG_NS0_5tupleIJPjSI_NS0_16reverse_iteratorISI_EEEEENSH_IJSG_SG_SG_EEES9_SI_JZNS1_25segmented_radix_sort_implINS0_14default_configELb1EPKhPhPKlPlN2at6native12_GLOBAL__N_18offset_tEEE10hipError_tPvRmT1_PNSt15iterator_traitsIS12_E10value_typeET2_T3_PNS13_IS18_E10value_typeET4_jRbjT5_S1E_jjP12ihipStream_tbEUljE_ZNSN_ISO_Lb1ESQ_SR_ST_SU_SY_EESZ_S10_S11_S12_S16_S17_S18_S1B_S1C_jS1D_jS1E_S1E_jjS1G_bEUljE0_EEESZ_S10_S11_S18_S1C_S1E_T6_T7_T9_mT8_S1G_bDpT10_ENKUlT_T0_E_clISt17integral_constantIbLb0EES1T_IbLb1EEEEDaS1P_S1Q_EUlS1P_E_NS1_11comp_targetILNS1_3genE10ELNS1_11target_archE1200ELNS1_3gpuE4ELNS1_3repE0EEENS1_30default_config_static_selectorELNS0_4arch9wavefront6targetE1EEEvS12_,comdat
	.globl	_ZN7rocprim17ROCPRIM_400000_NS6detail17trampoline_kernelINS0_13select_configILj256ELj13ELNS0_17block_load_methodE3ELS4_3ELS4_3ELNS0_20block_scan_algorithmE0ELj4294967295EEENS1_25partition_config_selectorILNS1_17partition_subalgoE4EjNS0_10empty_typeEbEEZZNS1_14partition_implILS8_4ELb0ES6_15HIP_vector_typeIjLj2EENS0_17counting_iteratorIjlEEPS9_SG_NS0_5tupleIJPjSI_NS0_16reverse_iteratorISI_EEEEENSH_IJSG_SG_SG_EEES9_SI_JZNS1_25segmented_radix_sort_implINS0_14default_configELb1EPKhPhPKlPlN2at6native12_GLOBAL__N_18offset_tEEE10hipError_tPvRmT1_PNSt15iterator_traitsIS12_E10value_typeET2_T3_PNS13_IS18_E10value_typeET4_jRbjT5_S1E_jjP12ihipStream_tbEUljE_ZNSN_ISO_Lb1ESQ_SR_ST_SU_SY_EESZ_S10_S11_S12_S16_S17_S18_S1B_S1C_jS1D_jS1E_S1E_jjS1G_bEUljE0_EEESZ_S10_S11_S18_S1C_S1E_T6_T7_T9_mT8_S1G_bDpT10_ENKUlT_T0_E_clISt17integral_constantIbLb0EES1T_IbLb1EEEEDaS1P_S1Q_EUlS1P_E_NS1_11comp_targetILNS1_3genE10ELNS1_11target_archE1200ELNS1_3gpuE4ELNS1_3repE0EEENS1_30default_config_static_selectorELNS0_4arch9wavefront6targetE1EEEvS12_ ; -- Begin function _ZN7rocprim17ROCPRIM_400000_NS6detail17trampoline_kernelINS0_13select_configILj256ELj13ELNS0_17block_load_methodE3ELS4_3ELS4_3ELNS0_20block_scan_algorithmE0ELj4294967295EEENS1_25partition_config_selectorILNS1_17partition_subalgoE4EjNS0_10empty_typeEbEEZZNS1_14partition_implILS8_4ELb0ES6_15HIP_vector_typeIjLj2EENS0_17counting_iteratorIjlEEPS9_SG_NS0_5tupleIJPjSI_NS0_16reverse_iteratorISI_EEEEENSH_IJSG_SG_SG_EEES9_SI_JZNS1_25segmented_radix_sort_implINS0_14default_configELb1EPKhPhPKlPlN2at6native12_GLOBAL__N_18offset_tEEE10hipError_tPvRmT1_PNSt15iterator_traitsIS12_E10value_typeET2_T3_PNS13_IS18_E10value_typeET4_jRbjT5_S1E_jjP12ihipStream_tbEUljE_ZNSN_ISO_Lb1ESQ_SR_ST_SU_SY_EESZ_S10_S11_S12_S16_S17_S18_S1B_S1C_jS1D_jS1E_S1E_jjS1G_bEUljE0_EEESZ_S10_S11_S18_S1C_S1E_T6_T7_T9_mT8_S1G_bDpT10_ENKUlT_T0_E_clISt17integral_constantIbLb0EES1T_IbLb1EEEEDaS1P_S1Q_EUlS1P_E_NS1_11comp_targetILNS1_3genE10ELNS1_11target_archE1200ELNS1_3gpuE4ELNS1_3repE0EEENS1_30default_config_static_selectorELNS0_4arch9wavefront6targetE1EEEvS12_
	.p2align	8
	.type	_ZN7rocprim17ROCPRIM_400000_NS6detail17trampoline_kernelINS0_13select_configILj256ELj13ELNS0_17block_load_methodE3ELS4_3ELS4_3ELNS0_20block_scan_algorithmE0ELj4294967295EEENS1_25partition_config_selectorILNS1_17partition_subalgoE4EjNS0_10empty_typeEbEEZZNS1_14partition_implILS8_4ELb0ES6_15HIP_vector_typeIjLj2EENS0_17counting_iteratorIjlEEPS9_SG_NS0_5tupleIJPjSI_NS0_16reverse_iteratorISI_EEEEENSH_IJSG_SG_SG_EEES9_SI_JZNS1_25segmented_radix_sort_implINS0_14default_configELb1EPKhPhPKlPlN2at6native12_GLOBAL__N_18offset_tEEE10hipError_tPvRmT1_PNSt15iterator_traitsIS12_E10value_typeET2_T3_PNS13_IS18_E10value_typeET4_jRbjT5_S1E_jjP12ihipStream_tbEUljE_ZNSN_ISO_Lb1ESQ_SR_ST_SU_SY_EESZ_S10_S11_S12_S16_S17_S18_S1B_S1C_jS1D_jS1E_S1E_jjS1G_bEUljE0_EEESZ_S10_S11_S18_S1C_S1E_T6_T7_T9_mT8_S1G_bDpT10_ENKUlT_T0_E_clISt17integral_constantIbLb0EES1T_IbLb1EEEEDaS1P_S1Q_EUlS1P_E_NS1_11comp_targetILNS1_3genE10ELNS1_11target_archE1200ELNS1_3gpuE4ELNS1_3repE0EEENS1_30default_config_static_selectorELNS0_4arch9wavefront6targetE1EEEvS12_,@function
_ZN7rocprim17ROCPRIM_400000_NS6detail17trampoline_kernelINS0_13select_configILj256ELj13ELNS0_17block_load_methodE3ELS4_3ELS4_3ELNS0_20block_scan_algorithmE0ELj4294967295EEENS1_25partition_config_selectorILNS1_17partition_subalgoE4EjNS0_10empty_typeEbEEZZNS1_14partition_implILS8_4ELb0ES6_15HIP_vector_typeIjLj2EENS0_17counting_iteratorIjlEEPS9_SG_NS0_5tupleIJPjSI_NS0_16reverse_iteratorISI_EEEEENSH_IJSG_SG_SG_EEES9_SI_JZNS1_25segmented_radix_sort_implINS0_14default_configELb1EPKhPhPKlPlN2at6native12_GLOBAL__N_18offset_tEEE10hipError_tPvRmT1_PNSt15iterator_traitsIS12_E10value_typeET2_T3_PNS13_IS18_E10value_typeET4_jRbjT5_S1E_jjP12ihipStream_tbEUljE_ZNSN_ISO_Lb1ESQ_SR_ST_SU_SY_EESZ_S10_S11_S12_S16_S17_S18_S1B_S1C_jS1D_jS1E_S1E_jjS1G_bEUljE0_EEESZ_S10_S11_S18_S1C_S1E_T6_T7_T9_mT8_S1G_bDpT10_ENKUlT_T0_E_clISt17integral_constantIbLb0EES1T_IbLb1EEEEDaS1P_S1Q_EUlS1P_E_NS1_11comp_targetILNS1_3genE10ELNS1_11target_archE1200ELNS1_3gpuE4ELNS1_3repE0EEENS1_30default_config_static_selectorELNS0_4arch9wavefront6targetE1EEEvS12_: ; @_ZN7rocprim17ROCPRIM_400000_NS6detail17trampoline_kernelINS0_13select_configILj256ELj13ELNS0_17block_load_methodE3ELS4_3ELS4_3ELNS0_20block_scan_algorithmE0ELj4294967295EEENS1_25partition_config_selectorILNS1_17partition_subalgoE4EjNS0_10empty_typeEbEEZZNS1_14partition_implILS8_4ELb0ES6_15HIP_vector_typeIjLj2EENS0_17counting_iteratorIjlEEPS9_SG_NS0_5tupleIJPjSI_NS0_16reverse_iteratorISI_EEEEENSH_IJSG_SG_SG_EEES9_SI_JZNS1_25segmented_radix_sort_implINS0_14default_configELb1EPKhPhPKlPlN2at6native12_GLOBAL__N_18offset_tEEE10hipError_tPvRmT1_PNSt15iterator_traitsIS12_E10value_typeET2_T3_PNS13_IS18_E10value_typeET4_jRbjT5_S1E_jjP12ihipStream_tbEUljE_ZNSN_ISO_Lb1ESQ_SR_ST_SU_SY_EESZ_S10_S11_S12_S16_S17_S18_S1B_S1C_jS1D_jS1E_S1E_jjS1G_bEUljE0_EEESZ_S10_S11_S18_S1C_S1E_T6_T7_T9_mT8_S1G_bDpT10_ENKUlT_T0_E_clISt17integral_constantIbLb0EES1T_IbLb1EEEEDaS1P_S1Q_EUlS1P_E_NS1_11comp_targetILNS1_3genE10ELNS1_11target_archE1200ELNS1_3gpuE4ELNS1_3repE0EEENS1_30default_config_static_selectorELNS0_4arch9wavefront6targetE1EEEvS12_
; %bb.0:
	.section	.rodata,"a",@progbits
	.p2align	6, 0x0
	.amdhsa_kernel _ZN7rocprim17ROCPRIM_400000_NS6detail17trampoline_kernelINS0_13select_configILj256ELj13ELNS0_17block_load_methodE3ELS4_3ELS4_3ELNS0_20block_scan_algorithmE0ELj4294967295EEENS1_25partition_config_selectorILNS1_17partition_subalgoE4EjNS0_10empty_typeEbEEZZNS1_14partition_implILS8_4ELb0ES6_15HIP_vector_typeIjLj2EENS0_17counting_iteratorIjlEEPS9_SG_NS0_5tupleIJPjSI_NS0_16reverse_iteratorISI_EEEEENSH_IJSG_SG_SG_EEES9_SI_JZNS1_25segmented_radix_sort_implINS0_14default_configELb1EPKhPhPKlPlN2at6native12_GLOBAL__N_18offset_tEEE10hipError_tPvRmT1_PNSt15iterator_traitsIS12_E10value_typeET2_T3_PNS13_IS18_E10value_typeET4_jRbjT5_S1E_jjP12ihipStream_tbEUljE_ZNSN_ISO_Lb1ESQ_SR_ST_SU_SY_EESZ_S10_S11_S12_S16_S17_S18_S1B_S1C_jS1D_jS1E_S1E_jjS1G_bEUljE0_EEESZ_S10_S11_S18_S1C_S1E_T6_T7_T9_mT8_S1G_bDpT10_ENKUlT_T0_E_clISt17integral_constantIbLb0EES1T_IbLb1EEEEDaS1P_S1Q_EUlS1P_E_NS1_11comp_targetILNS1_3genE10ELNS1_11target_archE1200ELNS1_3gpuE4ELNS1_3repE0EEENS1_30default_config_static_selectorELNS0_4arch9wavefront6targetE1EEEvS12_
		.amdhsa_group_segment_fixed_size 0
		.amdhsa_private_segment_fixed_size 0
		.amdhsa_kernarg_size 184
		.amdhsa_user_sgpr_count 6
		.amdhsa_user_sgpr_private_segment_buffer 1
		.amdhsa_user_sgpr_dispatch_ptr 0
		.amdhsa_user_sgpr_queue_ptr 0
		.amdhsa_user_sgpr_kernarg_segment_ptr 1
		.amdhsa_user_sgpr_dispatch_id 0
		.amdhsa_user_sgpr_flat_scratch_init 0
		.amdhsa_user_sgpr_private_segment_size 0
		.amdhsa_uses_dynamic_stack 0
		.amdhsa_system_sgpr_private_segment_wavefront_offset 0
		.amdhsa_system_sgpr_workgroup_id_x 1
		.amdhsa_system_sgpr_workgroup_id_y 0
		.amdhsa_system_sgpr_workgroup_id_z 0
		.amdhsa_system_sgpr_workgroup_info 0
		.amdhsa_system_vgpr_workitem_id 0
		.amdhsa_next_free_vgpr 1
		.amdhsa_next_free_sgpr 0
		.amdhsa_reserve_vcc 0
		.amdhsa_reserve_flat_scratch 0
		.amdhsa_float_round_mode_32 0
		.amdhsa_float_round_mode_16_64 0
		.amdhsa_float_denorm_mode_32 3
		.amdhsa_float_denorm_mode_16_64 3
		.amdhsa_dx10_clamp 1
		.amdhsa_ieee_mode 1
		.amdhsa_fp16_overflow 0
		.amdhsa_exception_fp_ieee_invalid_op 0
		.amdhsa_exception_fp_denorm_src 0
		.amdhsa_exception_fp_ieee_div_zero 0
		.amdhsa_exception_fp_ieee_overflow 0
		.amdhsa_exception_fp_ieee_underflow 0
		.amdhsa_exception_fp_ieee_inexact 0
		.amdhsa_exception_int_div_zero 0
	.end_amdhsa_kernel
	.section	.text._ZN7rocprim17ROCPRIM_400000_NS6detail17trampoline_kernelINS0_13select_configILj256ELj13ELNS0_17block_load_methodE3ELS4_3ELS4_3ELNS0_20block_scan_algorithmE0ELj4294967295EEENS1_25partition_config_selectorILNS1_17partition_subalgoE4EjNS0_10empty_typeEbEEZZNS1_14partition_implILS8_4ELb0ES6_15HIP_vector_typeIjLj2EENS0_17counting_iteratorIjlEEPS9_SG_NS0_5tupleIJPjSI_NS0_16reverse_iteratorISI_EEEEENSH_IJSG_SG_SG_EEES9_SI_JZNS1_25segmented_radix_sort_implINS0_14default_configELb1EPKhPhPKlPlN2at6native12_GLOBAL__N_18offset_tEEE10hipError_tPvRmT1_PNSt15iterator_traitsIS12_E10value_typeET2_T3_PNS13_IS18_E10value_typeET4_jRbjT5_S1E_jjP12ihipStream_tbEUljE_ZNSN_ISO_Lb1ESQ_SR_ST_SU_SY_EESZ_S10_S11_S12_S16_S17_S18_S1B_S1C_jS1D_jS1E_S1E_jjS1G_bEUljE0_EEESZ_S10_S11_S18_S1C_S1E_T6_T7_T9_mT8_S1G_bDpT10_ENKUlT_T0_E_clISt17integral_constantIbLb0EES1T_IbLb1EEEEDaS1P_S1Q_EUlS1P_E_NS1_11comp_targetILNS1_3genE10ELNS1_11target_archE1200ELNS1_3gpuE4ELNS1_3repE0EEENS1_30default_config_static_selectorELNS0_4arch9wavefront6targetE1EEEvS12_,"axG",@progbits,_ZN7rocprim17ROCPRIM_400000_NS6detail17trampoline_kernelINS0_13select_configILj256ELj13ELNS0_17block_load_methodE3ELS4_3ELS4_3ELNS0_20block_scan_algorithmE0ELj4294967295EEENS1_25partition_config_selectorILNS1_17partition_subalgoE4EjNS0_10empty_typeEbEEZZNS1_14partition_implILS8_4ELb0ES6_15HIP_vector_typeIjLj2EENS0_17counting_iteratorIjlEEPS9_SG_NS0_5tupleIJPjSI_NS0_16reverse_iteratorISI_EEEEENSH_IJSG_SG_SG_EEES9_SI_JZNS1_25segmented_radix_sort_implINS0_14default_configELb1EPKhPhPKlPlN2at6native12_GLOBAL__N_18offset_tEEE10hipError_tPvRmT1_PNSt15iterator_traitsIS12_E10value_typeET2_T3_PNS13_IS18_E10value_typeET4_jRbjT5_S1E_jjP12ihipStream_tbEUljE_ZNSN_ISO_Lb1ESQ_SR_ST_SU_SY_EESZ_S10_S11_S12_S16_S17_S18_S1B_S1C_jS1D_jS1E_S1E_jjS1G_bEUljE0_EEESZ_S10_S11_S18_S1C_S1E_T6_T7_T9_mT8_S1G_bDpT10_ENKUlT_T0_E_clISt17integral_constantIbLb0EES1T_IbLb1EEEEDaS1P_S1Q_EUlS1P_E_NS1_11comp_targetILNS1_3genE10ELNS1_11target_archE1200ELNS1_3gpuE4ELNS1_3repE0EEENS1_30default_config_static_selectorELNS0_4arch9wavefront6targetE1EEEvS12_,comdat
.Lfunc_end44:
	.size	_ZN7rocprim17ROCPRIM_400000_NS6detail17trampoline_kernelINS0_13select_configILj256ELj13ELNS0_17block_load_methodE3ELS4_3ELS4_3ELNS0_20block_scan_algorithmE0ELj4294967295EEENS1_25partition_config_selectorILNS1_17partition_subalgoE4EjNS0_10empty_typeEbEEZZNS1_14partition_implILS8_4ELb0ES6_15HIP_vector_typeIjLj2EENS0_17counting_iteratorIjlEEPS9_SG_NS0_5tupleIJPjSI_NS0_16reverse_iteratorISI_EEEEENSH_IJSG_SG_SG_EEES9_SI_JZNS1_25segmented_radix_sort_implINS0_14default_configELb1EPKhPhPKlPlN2at6native12_GLOBAL__N_18offset_tEEE10hipError_tPvRmT1_PNSt15iterator_traitsIS12_E10value_typeET2_T3_PNS13_IS18_E10value_typeET4_jRbjT5_S1E_jjP12ihipStream_tbEUljE_ZNSN_ISO_Lb1ESQ_SR_ST_SU_SY_EESZ_S10_S11_S12_S16_S17_S18_S1B_S1C_jS1D_jS1E_S1E_jjS1G_bEUljE0_EEESZ_S10_S11_S18_S1C_S1E_T6_T7_T9_mT8_S1G_bDpT10_ENKUlT_T0_E_clISt17integral_constantIbLb0EES1T_IbLb1EEEEDaS1P_S1Q_EUlS1P_E_NS1_11comp_targetILNS1_3genE10ELNS1_11target_archE1200ELNS1_3gpuE4ELNS1_3repE0EEENS1_30default_config_static_selectorELNS0_4arch9wavefront6targetE1EEEvS12_, .Lfunc_end44-_ZN7rocprim17ROCPRIM_400000_NS6detail17trampoline_kernelINS0_13select_configILj256ELj13ELNS0_17block_load_methodE3ELS4_3ELS4_3ELNS0_20block_scan_algorithmE0ELj4294967295EEENS1_25partition_config_selectorILNS1_17partition_subalgoE4EjNS0_10empty_typeEbEEZZNS1_14partition_implILS8_4ELb0ES6_15HIP_vector_typeIjLj2EENS0_17counting_iteratorIjlEEPS9_SG_NS0_5tupleIJPjSI_NS0_16reverse_iteratorISI_EEEEENSH_IJSG_SG_SG_EEES9_SI_JZNS1_25segmented_radix_sort_implINS0_14default_configELb1EPKhPhPKlPlN2at6native12_GLOBAL__N_18offset_tEEE10hipError_tPvRmT1_PNSt15iterator_traitsIS12_E10value_typeET2_T3_PNS13_IS18_E10value_typeET4_jRbjT5_S1E_jjP12ihipStream_tbEUljE_ZNSN_ISO_Lb1ESQ_SR_ST_SU_SY_EESZ_S10_S11_S12_S16_S17_S18_S1B_S1C_jS1D_jS1E_S1E_jjS1G_bEUljE0_EEESZ_S10_S11_S18_S1C_S1E_T6_T7_T9_mT8_S1G_bDpT10_ENKUlT_T0_E_clISt17integral_constantIbLb0EES1T_IbLb1EEEEDaS1P_S1Q_EUlS1P_E_NS1_11comp_targetILNS1_3genE10ELNS1_11target_archE1200ELNS1_3gpuE4ELNS1_3repE0EEENS1_30default_config_static_selectorELNS0_4arch9wavefront6targetE1EEEvS12_
                                        ; -- End function
	.set _ZN7rocprim17ROCPRIM_400000_NS6detail17trampoline_kernelINS0_13select_configILj256ELj13ELNS0_17block_load_methodE3ELS4_3ELS4_3ELNS0_20block_scan_algorithmE0ELj4294967295EEENS1_25partition_config_selectorILNS1_17partition_subalgoE4EjNS0_10empty_typeEbEEZZNS1_14partition_implILS8_4ELb0ES6_15HIP_vector_typeIjLj2EENS0_17counting_iteratorIjlEEPS9_SG_NS0_5tupleIJPjSI_NS0_16reverse_iteratorISI_EEEEENSH_IJSG_SG_SG_EEES9_SI_JZNS1_25segmented_radix_sort_implINS0_14default_configELb1EPKhPhPKlPlN2at6native12_GLOBAL__N_18offset_tEEE10hipError_tPvRmT1_PNSt15iterator_traitsIS12_E10value_typeET2_T3_PNS13_IS18_E10value_typeET4_jRbjT5_S1E_jjP12ihipStream_tbEUljE_ZNSN_ISO_Lb1ESQ_SR_ST_SU_SY_EESZ_S10_S11_S12_S16_S17_S18_S1B_S1C_jS1D_jS1E_S1E_jjS1G_bEUljE0_EEESZ_S10_S11_S18_S1C_S1E_T6_T7_T9_mT8_S1G_bDpT10_ENKUlT_T0_E_clISt17integral_constantIbLb0EES1T_IbLb1EEEEDaS1P_S1Q_EUlS1P_E_NS1_11comp_targetILNS1_3genE10ELNS1_11target_archE1200ELNS1_3gpuE4ELNS1_3repE0EEENS1_30default_config_static_selectorELNS0_4arch9wavefront6targetE1EEEvS12_.num_vgpr, 0
	.set _ZN7rocprim17ROCPRIM_400000_NS6detail17trampoline_kernelINS0_13select_configILj256ELj13ELNS0_17block_load_methodE3ELS4_3ELS4_3ELNS0_20block_scan_algorithmE0ELj4294967295EEENS1_25partition_config_selectorILNS1_17partition_subalgoE4EjNS0_10empty_typeEbEEZZNS1_14partition_implILS8_4ELb0ES6_15HIP_vector_typeIjLj2EENS0_17counting_iteratorIjlEEPS9_SG_NS0_5tupleIJPjSI_NS0_16reverse_iteratorISI_EEEEENSH_IJSG_SG_SG_EEES9_SI_JZNS1_25segmented_radix_sort_implINS0_14default_configELb1EPKhPhPKlPlN2at6native12_GLOBAL__N_18offset_tEEE10hipError_tPvRmT1_PNSt15iterator_traitsIS12_E10value_typeET2_T3_PNS13_IS18_E10value_typeET4_jRbjT5_S1E_jjP12ihipStream_tbEUljE_ZNSN_ISO_Lb1ESQ_SR_ST_SU_SY_EESZ_S10_S11_S12_S16_S17_S18_S1B_S1C_jS1D_jS1E_S1E_jjS1G_bEUljE0_EEESZ_S10_S11_S18_S1C_S1E_T6_T7_T9_mT8_S1G_bDpT10_ENKUlT_T0_E_clISt17integral_constantIbLb0EES1T_IbLb1EEEEDaS1P_S1Q_EUlS1P_E_NS1_11comp_targetILNS1_3genE10ELNS1_11target_archE1200ELNS1_3gpuE4ELNS1_3repE0EEENS1_30default_config_static_selectorELNS0_4arch9wavefront6targetE1EEEvS12_.num_agpr, 0
	.set _ZN7rocprim17ROCPRIM_400000_NS6detail17trampoline_kernelINS0_13select_configILj256ELj13ELNS0_17block_load_methodE3ELS4_3ELS4_3ELNS0_20block_scan_algorithmE0ELj4294967295EEENS1_25partition_config_selectorILNS1_17partition_subalgoE4EjNS0_10empty_typeEbEEZZNS1_14partition_implILS8_4ELb0ES6_15HIP_vector_typeIjLj2EENS0_17counting_iteratorIjlEEPS9_SG_NS0_5tupleIJPjSI_NS0_16reverse_iteratorISI_EEEEENSH_IJSG_SG_SG_EEES9_SI_JZNS1_25segmented_radix_sort_implINS0_14default_configELb1EPKhPhPKlPlN2at6native12_GLOBAL__N_18offset_tEEE10hipError_tPvRmT1_PNSt15iterator_traitsIS12_E10value_typeET2_T3_PNS13_IS18_E10value_typeET4_jRbjT5_S1E_jjP12ihipStream_tbEUljE_ZNSN_ISO_Lb1ESQ_SR_ST_SU_SY_EESZ_S10_S11_S12_S16_S17_S18_S1B_S1C_jS1D_jS1E_S1E_jjS1G_bEUljE0_EEESZ_S10_S11_S18_S1C_S1E_T6_T7_T9_mT8_S1G_bDpT10_ENKUlT_T0_E_clISt17integral_constantIbLb0EES1T_IbLb1EEEEDaS1P_S1Q_EUlS1P_E_NS1_11comp_targetILNS1_3genE10ELNS1_11target_archE1200ELNS1_3gpuE4ELNS1_3repE0EEENS1_30default_config_static_selectorELNS0_4arch9wavefront6targetE1EEEvS12_.numbered_sgpr, 0
	.set _ZN7rocprim17ROCPRIM_400000_NS6detail17trampoline_kernelINS0_13select_configILj256ELj13ELNS0_17block_load_methodE3ELS4_3ELS4_3ELNS0_20block_scan_algorithmE0ELj4294967295EEENS1_25partition_config_selectorILNS1_17partition_subalgoE4EjNS0_10empty_typeEbEEZZNS1_14partition_implILS8_4ELb0ES6_15HIP_vector_typeIjLj2EENS0_17counting_iteratorIjlEEPS9_SG_NS0_5tupleIJPjSI_NS0_16reverse_iteratorISI_EEEEENSH_IJSG_SG_SG_EEES9_SI_JZNS1_25segmented_radix_sort_implINS0_14default_configELb1EPKhPhPKlPlN2at6native12_GLOBAL__N_18offset_tEEE10hipError_tPvRmT1_PNSt15iterator_traitsIS12_E10value_typeET2_T3_PNS13_IS18_E10value_typeET4_jRbjT5_S1E_jjP12ihipStream_tbEUljE_ZNSN_ISO_Lb1ESQ_SR_ST_SU_SY_EESZ_S10_S11_S12_S16_S17_S18_S1B_S1C_jS1D_jS1E_S1E_jjS1G_bEUljE0_EEESZ_S10_S11_S18_S1C_S1E_T6_T7_T9_mT8_S1G_bDpT10_ENKUlT_T0_E_clISt17integral_constantIbLb0EES1T_IbLb1EEEEDaS1P_S1Q_EUlS1P_E_NS1_11comp_targetILNS1_3genE10ELNS1_11target_archE1200ELNS1_3gpuE4ELNS1_3repE0EEENS1_30default_config_static_selectorELNS0_4arch9wavefront6targetE1EEEvS12_.num_named_barrier, 0
	.set _ZN7rocprim17ROCPRIM_400000_NS6detail17trampoline_kernelINS0_13select_configILj256ELj13ELNS0_17block_load_methodE3ELS4_3ELS4_3ELNS0_20block_scan_algorithmE0ELj4294967295EEENS1_25partition_config_selectorILNS1_17partition_subalgoE4EjNS0_10empty_typeEbEEZZNS1_14partition_implILS8_4ELb0ES6_15HIP_vector_typeIjLj2EENS0_17counting_iteratorIjlEEPS9_SG_NS0_5tupleIJPjSI_NS0_16reverse_iteratorISI_EEEEENSH_IJSG_SG_SG_EEES9_SI_JZNS1_25segmented_radix_sort_implINS0_14default_configELb1EPKhPhPKlPlN2at6native12_GLOBAL__N_18offset_tEEE10hipError_tPvRmT1_PNSt15iterator_traitsIS12_E10value_typeET2_T3_PNS13_IS18_E10value_typeET4_jRbjT5_S1E_jjP12ihipStream_tbEUljE_ZNSN_ISO_Lb1ESQ_SR_ST_SU_SY_EESZ_S10_S11_S12_S16_S17_S18_S1B_S1C_jS1D_jS1E_S1E_jjS1G_bEUljE0_EEESZ_S10_S11_S18_S1C_S1E_T6_T7_T9_mT8_S1G_bDpT10_ENKUlT_T0_E_clISt17integral_constantIbLb0EES1T_IbLb1EEEEDaS1P_S1Q_EUlS1P_E_NS1_11comp_targetILNS1_3genE10ELNS1_11target_archE1200ELNS1_3gpuE4ELNS1_3repE0EEENS1_30default_config_static_selectorELNS0_4arch9wavefront6targetE1EEEvS12_.private_seg_size, 0
	.set _ZN7rocprim17ROCPRIM_400000_NS6detail17trampoline_kernelINS0_13select_configILj256ELj13ELNS0_17block_load_methodE3ELS4_3ELS4_3ELNS0_20block_scan_algorithmE0ELj4294967295EEENS1_25partition_config_selectorILNS1_17partition_subalgoE4EjNS0_10empty_typeEbEEZZNS1_14partition_implILS8_4ELb0ES6_15HIP_vector_typeIjLj2EENS0_17counting_iteratorIjlEEPS9_SG_NS0_5tupleIJPjSI_NS0_16reverse_iteratorISI_EEEEENSH_IJSG_SG_SG_EEES9_SI_JZNS1_25segmented_radix_sort_implINS0_14default_configELb1EPKhPhPKlPlN2at6native12_GLOBAL__N_18offset_tEEE10hipError_tPvRmT1_PNSt15iterator_traitsIS12_E10value_typeET2_T3_PNS13_IS18_E10value_typeET4_jRbjT5_S1E_jjP12ihipStream_tbEUljE_ZNSN_ISO_Lb1ESQ_SR_ST_SU_SY_EESZ_S10_S11_S12_S16_S17_S18_S1B_S1C_jS1D_jS1E_S1E_jjS1G_bEUljE0_EEESZ_S10_S11_S18_S1C_S1E_T6_T7_T9_mT8_S1G_bDpT10_ENKUlT_T0_E_clISt17integral_constantIbLb0EES1T_IbLb1EEEEDaS1P_S1Q_EUlS1P_E_NS1_11comp_targetILNS1_3genE10ELNS1_11target_archE1200ELNS1_3gpuE4ELNS1_3repE0EEENS1_30default_config_static_selectorELNS0_4arch9wavefront6targetE1EEEvS12_.uses_vcc, 0
	.set _ZN7rocprim17ROCPRIM_400000_NS6detail17trampoline_kernelINS0_13select_configILj256ELj13ELNS0_17block_load_methodE3ELS4_3ELS4_3ELNS0_20block_scan_algorithmE0ELj4294967295EEENS1_25partition_config_selectorILNS1_17partition_subalgoE4EjNS0_10empty_typeEbEEZZNS1_14partition_implILS8_4ELb0ES6_15HIP_vector_typeIjLj2EENS0_17counting_iteratorIjlEEPS9_SG_NS0_5tupleIJPjSI_NS0_16reverse_iteratorISI_EEEEENSH_IJSG_SG_SG_EEES9_SI_JZNS1_25segmented_radix_sort_implINS0_14default_configELb1EPKhPhPKlPlN2at6native12_GLOBAL__N_18offset_tEEE10hipError_tPvRmT1_PNSt15iterator_traitsIS12_E10value_typeET2_T3_PNS13_IS18_E10value_typeET4_jRbjT5_S1E_jjP12ihipStream_tbEUljE_ZNSN_ISO_Lb1ESQ_SR_ST_SU_SY_EESZ_S10_S11_S12_S16_S17_S18_S1B_S1C_jS1D_jS1E_S1E_jjS1G_bEUljE0_EEESZ_S10_S11_S18_S1C_S1E_T6_T7_T9_mT8_S1G_bDpT10_ENKUlT_T0_E_clISt17integral_constantIbLb0EES1T_IbLb1EEEEDaS1P_S1Q_EUlS1P_E_NS1_11comp_targetILNS1_3genE10ELNS1_11target_archE1200ELNS1_3gpuE4ELNS1_3repE0EEENS1_30default_config_static_selectorELNS0_4arch9wavefront6targetE1EEEvS12_.uses_flat_scratch, 0
	.set _ZN7rocprim17ROCPRIM_400000_NS6detail17trampoline_kernelINS0_13select_configILj256ELj13ELNS0_17block_load_methodE3ELS4_3ELS4_3ELNS0_20block_scan_algorithmE0ELj4294967295EEENS1_25partition_config_selectorILNS1_17partition_subalgoE4EjNS0_10empty_typeEbEEZZNS1_14partition_implILS8_4ELb0ES6_15HIP_vector_typeIjLj2EENS0_17counting_iteratorIjlEEPS9_SG_NS0_5tupleIJPjSI_NS0_16reverse_iteratorISI_EEEEENSH_IJSG_SG_SG_EEES9_SI_JZNS1_25segmented_radix_sort_implINS0_14default_configELb1EPKhPhPKlPlN2at6native12_GLOBAL__N_18offset_tEEE10hipError_tPvRmT1_PNSt15iterator_traitsIS12_E10value_typeET2_T3_PNS13_IS18_E10value_typeET4_jRbjT5_S1E_jjP12ihipStream_tbEUljE_ZNSN_ISO_Lb1ESQ_SR_ST_SU_SY_EESZ_S10_S11_S12_S16_S17_S18_S1B_S1C_jS1D_jS1E_S1E_jjS1G_bEUljE0_EEESZ_S10_S11_S18_S1C_S1E_T6_T7_T9_mT8_S1G_bDpT10_ENKUlT_T0_E_clISt17integral_constantIbLb0EES1T_IbLb1EEEEDaS1P_S1Q_EUlS1P_E_NS1_11comp_targetILNS1_3genE10ELNS1_11target_archE1200ELNS1_3gpuE4ELNS1_3repE0EEENS1_30default_config_static_selectorELNS0_4arch9wavefront6targetE1EEEvS12_.has_dyn_sized_stack, 0
	.set _ZN7rocprim17ROCPRIM_400000_NS6detail17trampoline_kernelINS0_13select_configILj256ELj13ELNS0_17block_load_methodE3ELS4_3ELS4_3ELNS0_20block_scan_algorithmE0ELj4294967295EEENS1_25partition_config_selectorILNS1_17partition_subalgoE4EjNS0_10empty_typeEbEEZZNS1_14partition_implILS8_4ELb0ES6_15HIP_vector_typeIjLj2EENS0_17counting_iteratorIjlEEPS9_SG_NS0_5tupleIJPjSI_NS0_16reverse_iteratorISI_EEEEENSH_IJSG_SG_SG_EEES9_SI_JZNS1_25segmented_radix_sort_implINS0_14default_configELb1EPKhPhPKlPlN2at6native12_GLOBAL__N_18offset_tEEE10hipError_tPvRmT1_PNSt15iterator_traitsIS12_E10value_typeET2_T3_PNS13_IS18_E10value_typeET4_jRbjT5_S1E_jjP12ihipStream_tbEUljE_ZNSN_ISO_Lb1ESQ_SR_ST_SU_SY_EESZ_S10_S11_S12_S16_S17_S18_S1B_S1C_jS1D_jS1E_S1E_jjS1G_bEUljE0_EEESZ_S10_S11_S18_S1C_S1E_T6_T7_T9_mT8_S1G_bDpT10_ENKUlT_T0_E_clISt17integral_constantIbLb0EES1T_IbLb1EEEEDaS1P_S1Q_EUlS1P_E_NS1_11comp_targetILNS1_3genE10ELNS1_11target_archE1200ELNS1_3gpuE4ELNS1_3repE0EEENS1_30default_config_static_selectorELNS0_4arch9wavefront6targetE1EEEvS12_.has_recursion, 0
	.set _ZN7rocprim17ROCPRIM_400000_NS6detail17trampoline_kernelINS0_13select_configILj256ELj13ELNS0_17block_load_methodE3ELS4_3ELS4_3ELNS0_20block_scan_algorithmE0ELj4294967295EEENS1_25partition_config_selectorILNS1_17partition_subalgoE4EjNS0_10empty_typeEbEEZZNS1_14partition_implILS8_4ELb0ES6_15HIP_vector_typeIjLj2EENS0_17counting_iteratorIjlEEPS9_SG_NS0_5tupleIJPjSI_NS0_16reverse_iteratorISI_EEEEENSH_IJSG_SG_SG_EEES9_SI_JZNS1_25segmented_radix_sort_implINS0_14default_configELb1EPKhPhPKlPlN2at6native12_GLOBAL__N_18offset_tEEE10hipError_tPvRmT1_PNSt15iterator_traitsIS12_E10value_typeET2_T3_PNS13_IS18_E10value_typeET4_jRbjT5_S1E_jjP12ihipStream_tbEUljE_ZNSN_ISO_Lb1ESQ_SR_ST_SU_SY_EESZ_S10_S11_S12_S16_S17_S18_S1B_S1C_jS1D_jS1E_S1E_jjS1G_bEUljE0_EEESZ_S10_S11_S18_S1C_S1E_T6_T7_T9_mT8_S1G_bDpT10_ENKUlT_T0_E_clISt17integral_constantIbLb0EES1T_IbLb1EEEEDaS1P_S1Q_EUlS1P_E_NS1_11comp_targetILNS1_3genE10ELNS1_11target_archE1200ELNS1_3gpuE4ELNS1_3repE0EEENS1_30default_config_static_selectorELNS0_4arch9wavefront6targetE1EEEvS12_.has_indirect_call, 0
	.section	.AMDGPU.csdata,"",@progbits
; Kernel info:
; codeLenInByte = 0
; TotalNumSgprs: 4
; NumVgprs: 0
; ScratchSize: 0
; MemoryBound: 0
; FloatMode: 240
; IeeeMode: 1
; LDSByteSize: 0 bytes/workgroup (compile time only)
; SGPRBlocks: 0
; VGPRBlocks: 0
; NumSGPRsForWavesPerEU: 4
; NumVGPRsForWavesPerEU: 1
; Occupancy: 10
; WaveLimiterHint : 0
; COMPUTE_PGM_RSRC2:SCRATCH_EN: 0
; COMPUTE_PGM_RSRC2:USER_SGPR: 6
; COMPUTE_PGM_RSRC2:TRAP_HANDLER: 0
; COMPUTE_PGM_RSRC2:TGID_X_EN: 1
; COMPUTE_PGM_RSRC2:TGID_Y_EN: 0
; COMPUTE_PGM_RSRC2:TGID_Z_EN: 0
; COMPUTE_PGM_RSRC2:TIDIG_COMP_CNT: 0
	.section	.text._ZN7rocprim17ROCPRIM_400000_NS6detail17trampoline_kernelINS0_13select_configILj256ELj13ELNS0_17block_load_methodE3ELS4_3ELS4_3ELNS0_20block_scan_algorithmE0ELj4294967295EEENS1_25partition_config_selectorILNS1_17partition_subalgoE4EjNS0_10empty_typeEbEEZZNS1_14partition_implILS8_4ELb0ES6_15HIP_vector_typeIjLj2EENS0_17counting_iteratorIjlEEPS9_SG_NS0_5tupleIJPjSI_NS0_16reverse_iteratorISI_EEEEENSH_IJSG_SG_SG_EEES9_SI_JZNS1_25segmented_radix_sort_implINS0_14default_configELb1EPKhPhPKlPlN2at6native12_GLOBAL__N_18offset_tEEE10hipError_tPvRmT1_PNSt15iterator_traitsIS12_E10value_typeET2_T3_PNS13_IS18_E10value_typeET4_jRbjT5_S1E_jjP12ihipStream_tbEUljE_ZNSN_ISO_Lb1ESQ_SR_ST_SU_SY_EESZ_S10_S11_S12_S16_S17_S18_S1B_S1C_jS1D_jS1E_S1E_jjS1G_bEUljE0_EEESZ_S10_S11_S18_S1C_S1E_T6_T7_T9_mT8_S1G_bDpT10_ENKUlT_T0_E_clISt17integral_constantIbLb0EES1T_IbLb1EEEEDaS1P_S1Q_EUlS1P_E_NS1_11comp_targetILNS1_3genE9ELNS1_11target_archE1100ELNS1_3gpuE3ELNS1_3repE0EEENS1_30default_config_static_selectorELNS0_4arch9wavefront6targetE1EEEvS12_,"axG",@progbits,_ZN7rocprim17ROCPRIM_400000_NS6detail17trampoline_kernelINS0_13select_configILj256ELj13ELNS0_17block_load_methodE3ELS4_3ELS4_3ELNS0_20block_scan_algorithmE0ELj4294967295EEENS1_25partition_config_selectorILNS1_17partition_subalgoE4EjNS0_10empty_typeEbEEZZNS1_14partition_implILS8_4ELb0ES6_15HIP_vector_typeIjLj2EENS0_17counting_iteratorIjlEEPS9_SG_NS0_5tupleIJPjSI_NS0_16reverse_iteratorISI_EEEEENSH_IJSG_SG_SG_EEES9_SI_JZNS1_25segmented_radix_sort_implINS0_14default_configELb1EPKhPhPKlPlN2at6native12_GLOBAL__N_18offset_tEEE10hipError_tPvRmT1_PNSt15iterator_traitsIS12_E10value_typeET2_T3_PNS13_IS18_E10value_typeET4_jRbjT5_S1E_jjP12ihipStream_tbEUljE_ZNSN_ISO_Lb1ESQ_SR_ST_SU_SY_EESZ_S10_S11_S12_S16_S17_S18_S1B_S1C_jS1D_jS1E_S1E_jjS1G_bEUljE0_EEESZ_S10_S11_S18_S1C_S1E_T6_T7_T9_mT8_S1G_bDpT10_ENKUlT_T0_E_clISt17integral_constantIbLb0EES1T_IbLb1EEEEDaS1P_S1Q_EUlS1P_E_NS1_11comp_targetILNS1_3genE9ELNS1_11target_archE1100ELNS1_3gpuE3ELNS1_3repE0EEENS1_30default_config_static_selectorELNS0_4arch9wavefront6targetE1EEEvS12_,comdat
	.globl	_ZN7rocprim17ROCPRIM_400000_NS6detail17trampoline_kernelINS0_13select_configILj256ELj13ELNS0_17block_load_methodE3ELS4_3ELS4_3ELNS0_20block_scan_algorithmE0ELj4294967295EEENS1_25partition_config_selectorILNS1_17partition_subalgoE4EjNS0_10empty_typeEbEEZZNS1_14partition_implILS8_4ELb0ES6_15HIP_vector_typeIjLj2EENS0_17counting_iteratorIjlEEPS9_SG_NS0_5tupleIJPjSI_NS0_16reverse_iteratorISI_EEEEENSH_IJSG_SG_SG_EEES9_SI_JZNS1_25segmented_radix_sort_implINS0_14default_configELb1EPKhPhPKlPlN2at6native12_GLOBAL__N_18offset_tEEE10hipError_tPvRmT1_PNSt15iterator_traitsIS12_E10value_typeET2_T3_PNS13_IS18_E10value_typeET4_jRbjT5_S1E_jjP12ihipStream_tbEUljE_ZNSN_ISO_Lb1ESQ_SR_ST_SU_SY_EESZ_S10_S11_S12_S16_S17_S18_S1B_S1C_jS1D_jS1E_S1E_jjS1G_bEUljE0_EEESZ_S10_S11_S18_S1C_S1E_T6_T7_T9_mT8_S1G_bDpT10_ENKUlT_T0_E_clISt17integral_constantIbLb0EES1T_IbLb1EEEEDaS1P_S1Q_EUlS1P_E_NS1_11comp_targetILNS1_3genE9ELNS1_11target_archE1100ELNS1_3gpuE3ELNS1_3repE0EEENS1_30default_config_static_selectorELNS0_4arch9wavefront6targetE1EEEvS12_ ; -- Begin function _ZN7rocprim17ROCPRIM_400000_NS6detail17trampoline_kernelINS0_13select_configILj256ELj13ELNS0_17block_load_methodE3ELS4_3ELS4_3ELNS0_20block_scan_algorithmE0ELj4294967295EEENS1_25partition_config_selectorILNS1_17partition_subalgoE4EjNS0_10empty_typeEbEEZZNS1_14partition_implILS8_4ELb0ES6_15HIP_vector_typeIjLj2EENS0_17counting_iteratorIjlEEPS9_SG_NS0_5tupleIJPjSI_NS0_16reverse_iteratorISI_EEEEENSH_IJSG_SG_SG_EEES9_SI_JZNS1_25segmented_radix_sort_implINS0_14default_configELb1EPKhPhPKlPlN2at6native12_GLOBAL__N_18offset_tEEE10hipError_tPvRmT1_PNSt15iterator_traitsIS12_E10value_typeET2_T3_PNS13_IS18_E10value_typeET4_jRbjT5_S1E_jjP12ihipStream_tbEUljE_ZNSN_ISO_Lb1ESQ_SR_ST_SU_SY_EESZ_S10_S11_S12_S16_S17_S18_S1B_S1C_jS1D_jS1E_S1E_jjS1G_bEUljE0_EEESZ_S10_S11_S18_S1C_S1E_T6_T7_T9_mT8_S1G_bDpT10_ENKUlT_T0_E_clISt17integral_constantIbLb0EES1T_IbLb1EEEEDaS1P_S1Q_EUlS1P_E_NS1_11comp_targetILNS1_3genE9ELNS1_11target_archE1100ELNS1_3gpuE3ELNS1_3repE0EEENS1_30default_config_static_selectorELNS0_4arch9wavefront6targetE1EEEvS12_
	.p2align	8
	.type	_ZN7rocprim17ROCPRIM_400000_NS6detail17trampoline_kernelINS0_13select_configILj256ELj13ELNS0_17block_load_methodE3ELS4_3ELS4_3ELNS0_20block_scan_algorithmE0ELj4294967295EEENS1_25partition_config_selectorILNS1_17partition_subalgoE4EjNS0_10empty_typeEbEEZZNS1_14partition_implILS8_4ELb0ES6_15HIP_vector_typeIjLj2EENS0_17counting_iteratorIjlEEPS9_SG_NS0_5tupleIJPjSI_NS0_16reverse_iteratorISI_EEEEENSH_IJSG_SG_SG_EEES9_SI_JZNS1_25segmented_radix_sort_implINS0_14default_configELb1EPKhPhPKlPlN2at6native12_GLOBAL__N_18offset_tEEE10hipError_tPvRmT1_PNSt15iterator_traitsIS12_E10value_typeET2_T3_PNS13_IS18_E10value_typeET4_jRbjT5_S1E_jjP12ihipStream_tbEUljE_ZNSN_ISO_Lb1ESQ_SR_ST_SU_SY_EESZ_S10_S11_S12_S16_S17_S18_S1B_S1C_jS1D_jS1E_S1E_jjS1G_bEUljE0_EEESZ_S10_S11_S18_S1C_S1E_T6_T7_T9_mT8_S1G_bDpT10_ENKUlT_T0_E_clISt17integral_constantIbLb0EES1T_IbLb1EEEEDaS1P_S1Q_EUlS1P_E_NS1_11comp_targetILNS1_3genE9ELNS1_11target_archE1100ELNS1_3gpuE3ELNS1_3repE0EEENS1_30default_config_static_selectorELNS0_4arch9wavefront6targetE1EEEvS12_,@function
_ZN7rocprim17ROCPRIM_400000_NS6detail17trampoline_kernelINS0_13select_configILj256ELj13ELNS0_17block_load_methodE3ELS4_3ELS4_3ELNS0_20block_scan_algorithmE0ELj4294967295EEENS1_25partition_config_selectorILNS1_17partition_subalgoE4EjNS0_10empty_typeEbEEZZNS1_14partition_implILS8_4ELb0ES6_15HIP_vector_typeIjLj2EENS0_17counting_iteratorIjlEEPS9_SG_NS0_5tupleIJPjSI_NS0_16reverse_iteratorISI_EEEEENSH_IJSG_SG_SG_EEES9_SI_JZNS1_25segmented_radix_sort_implINS0_14default_configELb1EPKhPhPKlPlN2at6native12_GLOBAL__N_18offset_tEEE10hipError_tPvRmT1_PNSt15iterator_traitsIS12_E10value_typeET2_T3_PNS13_IS18_E10value_typeET4_jRbjT5_S1E_jjP12ihipStream_tbEUljE_ZNSN_ISO_Lb1ESQ_SR_ST_SU_SY_EESZ_S10_S11_S12_S16_S17_S18_S1B_S1C_jS1D_jS1E_S1E_jjS1G_bEUljE0_EEESZ_S10_S11_S18_S1C_S1E_T6_T7_T9_mT8_S1G_bDpT10_ENKUlT_T0_E_clISt17integral_constantIbLb0EES1T_IbLb1EEEEDaS1P_S1Q_EUlS1P_E_NS1_11comp_targetILNS1_3genE9ELNS1_11target_archE1100ELNS1_3gpuE3ELNS1_3repE0EEENS1_30default_config_static_selectorELNS0_4arch9wavefront6targetE1EEEvS12_: ; @_ZN7rocprim17ROCPRIM_400000_NS6detail17trampoline_kernelINS0_13select_configILj256ELj13ELNS0_17block_load_methodE3ELS4_3ELS4_3ELNS0_20block_scan_algorithmE0ELj4294967295EEENS1_25partition_config_selectorILNS1_17partition_subalgoE4EjNS0_10empty_typeEbEEZZNS1_14partition_implILS8_4ELb0ES6_15HIP_vector_typeIjLj2EENS0_17counting_iteratorIjlEEPS9_SG_NS0_5tupleIJPjSI_NS0_16reverse_iteratorISI_EEEEENSH_IJSG_SG_SG_EEES9_SI_JZNS1_25segmented_radix_sort_implINS0_14default_configELb1EPKhPhPKlPlN2at6native12_GLOBAL__N_18offset_tEEE10hipError_tPvRmT1_PNSt15iterator_traitsIS12_E10value_typeET2_T3_PNS13_IS18_E10value_typeET4_jRbjT5_S1E_jjP12ihipStream_tbEUljE_ZNSN_ISO_Lb1ESQ_SR_ST_SU_SY_EESZ_S10_S11_S12_S16_S17_S18_S1B_S1C_jS1D_jS1E_S1E_jjS1G_bEUljE0_EEESZ_S10_S11_S18_S1C_S1E_T6_T7_T9_mT8_S1G_bDpT10_ENKUlT_T0_E_clISt17integral_constantIbLb0EES1T_IbLb1EEEEDaS1P_S1Q_EUlS1P_E_NS1_11comp_targetILNS1_3genE9ELNS1_11target_archE1100ELNS1_3gpuE3ELNS1_3repE0EEENS1_30default_config_static_selectorELNS0_4arch9wavefront6targetE1EEEvS12_
; %bb.0:
	.section	.rodata,"a",@progbits
	.p2align	6, 0x0
	.amdhsa_kernel _ZN7rocprim17ROCPRIM_400000_NS6detail17trampoline_kernelINS0_13select_configILj256ELj13ELNS0_17block_load_methodE3ELS4_3ELS4_3ELNS0_20block_scan_algorithmE0ELj4294967295EEENS1_25partition_config_selectorILNS1_17partition_subalgoE4EjNS0_10empty_typeEbEEZZNS1_14partition_implILS8_4ELb0ES6_15HIP_vector_typeIjLj2EENS0_17counting_iteratorIjlEEPS9_SG_NS0_5tupleIJPjSI_NS0_16reverse_iteratorISI_EEEEENSH_IJSG_SG_SG_EEES9_SI_JZNS1_25segmented_radix_sort_implINS0_14default_configELb1EPKhPhPKlPlN2at6native12_GLOBAL__N_18offset_tEEE10hipError_tPvRmT1_PNSt15iterator_traitsIS12_E10value_typeET2_T3_PNS13_IS18_E10value_typeET4_jRbjT5_S1E_jjP12ihipStream_tbEUljE_ZNSN_ISO_Lb1ESQ_SR_ST_SU_SY_EESZ_S10_S11_S12_S16_S17_S18_S1B_S1C_jS1D_jS1E_S1E_jjS1G_bEUljE0_EEESZ_S10_S11_S18_S1C_S1E_T6_T7_T9_mT8_S1G_bDpT10_ENKUlT_T0_E_clISt17integral_constantIbLb0EES1T_IbLb1EEEEDaS1P_S1Q_EUlS1P_E_NS1_11comp_targetILNS1_3genE9ELNS1_11target_archE1100ELNS1_3gpuE3ELNS1_3repE0EEENS1_30default_config_static_selectorELNS0_4arch9wavefront6targetE1EEEvS12_
		.amdhsa_group_segment_fixed_size 0
		.amdhsa_private_segment_fixed_size 0
		.amdhsa_kernarg_size 184
		.amdhsa_user_sgpr_count 6
		.amdhsa_user_sgpr_private_segment_buffer 1
		.amdhsa_user_sgpr_dispatch_ptr 0
		.amdhsa_user_sgpr_queue_ptr 0
		.amdhsa_user_sgpr_kernarg_segment_ptr 1
		.amdhsa_user_sgpr_dispatch_id 0
		.amdhsa_user_sgpr_flat_scratch_init 0
		.amdhsa_user_sgpr_private_segment_size 0
		.amdhsa_uses_dynamic_stack 0
		.amdhsa_system_sgpr_private_segment_wavefront_offset 0
		.amdhsa_system_sgpr_workgroup_id_x 1
		.amdhsa_system_sgpr_workgroup_id_y 0
		.amdhsa_system_sgpr_workgroup_id_z 0
		.amdhsa_system_sgpr_workgroup_info 0
		.amdhsa_system_vgpr_workitem_id 0
		.amdhsa_next_free_vgpr 1
		.amdhsa_next_free_sgpr 0
		.amdhsa_reserve_vcc 0
		.amdhsa_reserve_flat_scratch 0
		.amdhsa_float_round_mode_32 0
		.amdhsa_float_round_mode_16_64 0
		.amdhsa_float_denorm_mode_32 3
		.amdhsa_float_denorm_mode_16_64 3
		.amdhsa_dx10_clamp 1
		.amdhsa_ieee_mode 1
		.amdhsa_fp16_overflow 0
		.amdhsa_exception_fp_ieee_invalid_op 0
		.amdhsa_exception_fp_denorm_src 0
		.amdhsa_exception_fp_ieee_div_zero 0
		.amdhsa_exception_fp_ieee_overflow 0
		.amdhsa_exception_fp_ieee_underflow 0
		.amdhsa_exception_fp_ieee_inexact 0
		.amdhsa_exception_int_div_zero 0
	.end_amdhsa_kernel
	.section	.text._ZN7rocprim17ROCPRIM_400000_NS6detail17trampoline_kernelINS0_13select_configILj256ELj13ELNS0_17block_load_methodE3ELS4_3ELS4_3ELNS0_20block_scan_algorithmE0ELj4294967295EEENS1_25partition_config_selectorILNS1_17partition_subalgoE4EjNS0_10empty_typeEbEEZZNS1_14partition_implILS8_4ELb0ES6_15HIP_vector_typeIjLj2EENS0_17counting_iteratorIjlEEPS9_SG_NS0_5tupleIJPjSI_NS0_16reverse_iteratorISI_EEEEENSH_IJSG_SG_SG_EEES9_SI_JZNS1_25segmented_radix_sort_implINS0_14default_configELb1EPKhPhPKlPlN2at6native12_GLOBAL__N_18offset_tEEE10hipError_tPvRmT1_PNSt15iterator_traitsIS12_E10value_typeET2_T3_PNS13_IS18_E10value_typeET4_jRbjT5_S1E_jjP12ihipStream_tbEUljE_ZNSN_ISO_Lb1ESQ_SR_ST_SU_SY_EESZ_S10_S11_S12_S16_S17_S18_S1B_S1C_jS1D_jS1E_S1E_jjS1G_bEUljE0_EEESZ_S10_S11_S18_S1C_S1E_T6_T7_T9_mT8_S1G_bDpT10_ENKUlT_T0_E_clISt17integral_constantIbLb0EES1T_IbLb1EEEEDaS1P_S1Q_EUlS1P_E_NS1_11comp_targetILNS1_3genE9ELNS1_11target_archE1100ELNS1_3gpuE3ELNS1_3repE0EEENS1_30default_config_static_selectorELNS0_4arch9wavefront6targetE1EEEvS12_,"axG",@progbits,_ZN7rocprim17ROCPRIM_400000_NS6detail17trampoline_kernelINS0_13select_configILj256ELj13ELNS0_17block_load_methodE3ELS4_3ELS4_3ELNS0_20block_scan_algorithmE0ELj4294967295EEENS1_25partition_config_selectorILNS1_17partition_subalgoE4EjNS0_10empty_typeEbEEZZNS1_14partition_implILS8_4ELb0ES6_15HIP_vector_typeIjLj2EENS0_17counting_iteratorIjlEEPS9_SG_NS0_5tupleIJPjSI_NS0_16reverse_iteratorISI_EEEEENSH_IJSG_SG_SG_EEES9_SI_JZNS1_25segmented_radix_sort_implINS0_14default_configELb1EPKhPhPKlPlN2at6native12_GLOBAL__N_18offset_tEEE10hipError_tPvRmT1_PNSt15iterator_traitsIS12_E10value_typeET2_T3_PNS13_IS18_E10value_typeET4_jRbjT5_S1E_jjP12ihipStream_tbEUljE_ZNSN_ISO_Lb1ESQ_SR_ST_SU_SY_EESZ_S10_S11_S12_S16_S17_S18_S1B_S1C_jS1D_jS1E_S1E_jjS1G_bEUljE0_EEESZ_S10_S11_S18_S1C_S1E_T6_T7_T9_mT8_S1G_bDpT10_ENKUlT_T0_E_clISt17integral_constantIbLb0EES1T_IbLb1EEEEDaS1P_S1Q_EUlS1P_E_NS1_11comp_targetILNS1_3genE9ELNS1_11target_archE1100ELNS1_3gpuE3ELNS1_3repE0EEENS1_30default_config_static_selectorELNS0_4arch9wavefront6targetE1EEEvS12_,comdat
.Lfunc_end45:
	.size	_ZN7rocprim17ROCPRIM_400000_NS6detail17trampoline_kernelINS0_13select_configILj256ELj13ELNS0_17block_load_methodE3ELS4_3ELS4_3ELNS0_20block_scan_algorithmE0ELj4294967295EEENS1_25partition_config_selectorILNS1_17partition_subalgoE4EjNS0_10empty_typeEbEEZZNS1_14partition_implILS8_4ELb0ES6_15HIP_vector_typeIjLj2EENS0_17counting_iteratorIjlEEPS9_SG_NS0_5tupleIJPjSI_NS0_16reverse_iteratorISI_EEEEENSH_IJSG_SG_SG_EEES9_SI_JZNS1_25segmented_radix_sort_implINS0_14default_configELb1EPKhPhPKlPlN2at6native12_GLOBAL__N_18offset_tEEE10hipError_tPvRmT1_PNSt15iterator_traitsIS12_E10value_typeET2_T3_PNS13_IS18_E10value_typeET4_jRbjT5_S1E_jjP12ihipStream_tbEUljE_ZNSN_ISO_Lb1ESQ_SR_ST_SU_SY_EESZ_S10_S11_S12_S16_S17_S18_S1B_S1C_jS1D_jS1E_S1E_jjS1G_bEUljE0_EEESZ_S10_S11_S18_S1C_S1E_T6_T7_T9_mT8_S1G_bDpT10_ENKUlT_T0_E_clISt17integral_constantIbLb0EES1T_IbLb1EEEEDaS1P_S1Q_EUlS1P_E_NS1_11comp_targetILNS1_3genE9ELNS1_11target_archE1100ELNS1_3gpuE3ELNS1_3repE0EEENS1_30default_config_static_selectorELNS0_4arch9wavefront6targetE1EEEvS12_, .Lfunc_end45-_ZN7rocprim17ROCPRIM_400000_NS6detail17trampoline_kernelINS0_13select_configILj256ELj13ELNS0_17block_load_methodE3ELS4_3ELS4_3ELNS0_20block_scan_algorithmE0ELj4294967295EEENS1_25partition_config_selectorILNS1_17partition_subalgoE4EjNS0_10empty_typeEbEEZZNS1_14partition_implILS8_4ELb0ES6_15HIP_vector_typeIjLj2EENS0_17counting_iteratorIjlEEPS9_SG_NS0_5tupleIJPjSI_NS0_16reverse_iteratorISI_EEEEENSH_IJSG_SG_SG_EEES9_SI_JZNS1_25segmented_radix_sort_implINS0_14default_configELb1EPKhPhPKlPlN2at6native12_GLOBAL__N_18offset_tEEE10hipError_tPvRmT1_PNSt15iterator_traitsIS12_E10value_typeET2_T3_PNS13_IS18_E10value_typeET4_jRbjT5_S1E_jjP12ihipStream_tbEUljE_ZNSN_ISO_Lb1ESQ_SR_ST_SU_SY_EESZ_S10_S11_S12_S16_S17_S18_S1B_S1C_jS1D_jS1E_S1E_jjS1G_bEUljE0_EEESZ_S10_S11_S18_S1C_S1E_T6_T7_T9_mT8_S1G_bDpT10_ENKUlT_T0_E_clISt17integral_constantIbLb0EES1T_IbLb1EEEEDaS1P_S1Q_EUlS1P_E_NS1_11comp_targetILNS1_3genE9ELNS1_11target_archE1100ELNS1_3gpuE3ELNS1_3repE0EEENS1_30default_config_static_selectorELNS0_4arch9wavefront6targetE1EEEvS12_
                                        ; -- End function
	.set _ZN7rocprim17ROCPRIM_400000_NS6detail17trampoline_kernelINS0_13select_configILj256ELj13ELNS0_17block_load_methodE3ELS4_3ELS4_3ELNS0_20block_scan_algorithmE0ELj4294967295EEENS1_25partition_config_selectorILNS1_17partition_subalgoE4EjNS0_10empty_typeEbEEZZNS1_14partition_implILS8_4ELb0ES6_15HIP_vector_typeIjLj2EENS0_17counting_iteratorIjlEEPS9_SG_NS0_5tupleIJPjSI_NS0_16reverse_iteratorISI_EEEEENSH_IJSG_SG_SG_EEES9_SI_JZNS1_25segmented_radix_sort_implINS0_14default_configELb1EPKhPhPKlPlN2at6native12_GLOBAL__N_18offset_tEEE10hipError_tPvRmT1_PNSt15iterator_traitsIS12_E10value_typeET2_T3_PNS13_IS18_E10value_typeET4_jRbjT5_S1E_jjP12ihipStream_tbEUljE_ZNSN_ISO_Lb1ESQ_SR_ST_SU_SY_EESZ_S10_S11_S12_S16_S17_S18_S1B_S1C_jS1D_jS1E_S1E_jjS1G_bEUljE0_EEESZ_S10_S11_S18_S1C_S1E_T6_T7_T9_mT8_S1G_bDpT10_ENKUlT_T0_E_clISt17integral_constantIbLb0EES1T_IbLb1EEEEDaS1P_S1Q_EUlS1P_E_NS1_11comp_targetILNS1_3genE9ELNS1_11target_archE1100ELNS1_3gpuE3ELNS1_3repE0EEENS1_30default_config_static_selectorELNS0_4arch9wavefront6targetE1EEEvS12_.num_vgpr, 0
	.set _ZN7rocprim17ROCPRIM_400000_NS6detail17trampoline_kernelINS0_13select_configILj256ELj13ELNS0_17block_load_methodE3ELS4_3ELS4_3ELNS0_20block_scan_algorithmE0ELj4294967295EEENS1_25partition_config_selectorILNS1_17partition_subalgoE4EjNS0_10empty_typeEbEEZZNS1_14partition_implILS8_4ELb0ES6_15HIP_vector_typeIjLj2EENS0_17counting_iteratorIjlEEPS9_SG_NS0_5tupleIJPjSI_NS0_16reverse_iteratorISI_EEEEENSH_IJSG_SG_SG_EEES9_SI_JZNS1_25segmented_radix_sort_implINS0_14default_configELb1EPKhPhPKlPlN2at6native12_GLOBAL__N_18offset_tEEE10hipError_tPvRmT1_PNSt15iterator_traitsIS12_E10value_typeET2_T3_PNS13_IS18_E10value_typeET4_jRbjT5_S1E_jjP12ihipStream_tbEUljE_ZNSN_ISO_Lb1ESQ_SR_ST_SU_SY_EESZ_S10_S11_S12_S16_S17_S18_S1B_S1C_jS1D_jS1E_S1E_jjS1G_bEUljE0_EEESZ_S10_S11_S18_S1C_S1E_T6_T7_T9_mT8_S1G_bDpT10_ENKUlT_T0_E_clISt17integral_constantIbLb0EES1T_IbLb1EEEEDaS1P_S1Q_EUlS1P_E_NS1_11comp_targetILNS1_3genE9ELNS1_11target_archE1100ELNS1_3gpuE3ELNS1_3repE0EEENS1_30default_config_static_selectorELNS0_4arch9wavefront6targetE1EEEvS12_.num_agpr, 0
	.set _ZN7rocprim17ROCPRIM_400000_NS6detail17trampoline_kernelINS0_13select_configILj256ELj13ELNS0_17block_load_methodE3ELS4_3ELS4_3ELNS0_20block_scan_algorithmE0ELj4294967295EEENS1_25partition_config_selectorILNS1_17partition_subalgoE4EjNS0_10empty_typeEbEEZZNS1_14partition_implILS8_4ELb0ES6_15HIP_vector_typeIjLj2EENS0_17counting_iteratorIjlEEPS9_SG_NS0_5tupleIJPjSI_NS0_16reverse_iteratorISI_EEEEENSH_IJSG_SG_SG_EEES9_SI_JZNS1_25segmented_radix_sort_implINS0_14default_configELb1EPKhPhPKlPlN2at6native12_GLOBAL__N_18offset_tEEE10hipError_tPvRmT1_PNSt15iterator_traitsIS12_E10value_typeET2_T3_PNS13_IS18_E10value_typeET4_jRbjT5_S1E_jjP12ihipStream_tbEUljE_ZNSN_ISO_Lb1ESQ_SR_ST_SU_SY_EESZ_S10_S11_S12_S16_S17_S18_S1B_S1C_jS1D_jS1E_S1E_jjS1G_bEUljE0_EEESZ_S10_S11_S18_S1C_S1E_T6_T7_T9_mT8_S1G_bDpT10_ENKUlT_T0_E_clISt17integral_constantIbLb0EES1T_IbLb1EEEEDaS1P_S1Q_EUlS1P_E_NS1_11comp_targetILNS1_3genE9ELNS1_11target_archE1100ELNS1_3gpuE3ELNS1_3repE0EEENS1_30default_config_static_selectorELNS0_4arch9wavefront6targetE1EEEvS12_.numbered_sgpr, 0
	.set _ZN7rocprim17ROCPRIM_400000_NS6detail17trampoline_kernelINS0_13select_configILj256ELj13ELNS0_17block_load_methodE3ELS4_3ELS4_3ELNS0_20block_scan_algorithmE0ELj4294967295EEENS1_25partition_config_selectorILNS1_17partition_subalgoE4EjNS0_10empty_typeEbEEZZNS1_14partition_implILS8_4ELb0ES6_15HIP_vector_typeIjLj2EENS0_17counting_iteratorIjlEEPS9_SG_NS0_5tupleIJPjSI_NS0_16reverse_iteratorISI_EEEEENSH_IJSG_SG_SG_EEES9_SI_JZNS1_25segmented_radix_sort_implINS0_14default_configELb1EPKhPhPKlPlN2at6native12_GLOBAL__N_18offset_tEEE10hipError_tPvRmT1_PNSt15iterator_traitsIS12_E10value_typeET2_T3_PNS13_IS18_E10value_typeET4_jRbjT5_S1E_jjP12ihipStream_tbEUljE_ZNSN_ISO_Lb1ESQ_SR_ST_SU_SY_EESZ_S10_S11_S12_S16_S17_S18_S1B_S1C_jS1D_jS1E_S1E_jjS1G_bEUljE0_EEESZ_S10_S11_S18_S1C_S1E_T6_T7_T9_mT8_S1G_bDpT10_ENKUlT_T0_E_clISt17integral_constantIbLb0EES1T_IbLb1EEEEDaS1P_S1Q_EUlS1P_E_NS1_11comp_targetILNS1_3genE9ELNS1_11target_archE1100ELNS1_3gpuE3ELNS1_3repE0EEENS1_30default_config_static_selectorELNS0_4arch9wavefront6targetE1EEEvS12_.num_named_barrier, 0
	.set _ZN7rocprim17ROCPRIM_400000_NS6detail17trampoline_kernelINS0_13select_configILj256ELj13ELNS0_17block_load_methodE3ELS4_3ELS4_3ELNS0_20block_scan_algorithmE0ELj4294967295EEENS1_25partition_config_selectorILNS1_17partition_subalgoE4EjNS0_10empty_typeEbEEZZNS1_14partition_implILS8_4ELb0ES6_15HIP_vector_typeIjLj2EENS0_17counting_iteratorIjlEEPS9_SG_NS0_5tupleIJPjSI_NS0_16reverse_iteratorISI_EEEEENSH_IJSG_SG_SG_EEES9_SI_JZNS1_25segmented_radix_sort_implINS0_14default_configELb1EPKhPhPKlPlN2at6native12_GLOBAL__N_18offset_tEEE10hipError_tPvRmT1_PNSt15iterator_traitsIS12_E10value_typeET2_T3_PNS13_IS18_E10value_typeET4_jRbjT5_S1E_jjP12ihipStream_tbEUljE_ZNSN_ISO_Lb1ESQ_SR_ST_SU_SY_EESZ_S10_S11_S12_S16_S17_S18_S1B_S1C_jS1D_jS1E_S1E_jjS1G_bEUljE0_EEESZ_S10_S11_S18_S1C_S1E_T6_T7_T9_mT8_S1G_bDpT10_ENKUlT_T0_E_clISt17integral_constantIbLb0EES1T_IbLb1EEEEDaS1P_S1Q_EUlS1P_E_NS1_11comp_targetILNS1_3genE9ELNS1_11target_archE1100ELNS1_3gpuE3ELNS1_3repE0EEENS1_30default_config_static_selectorELNS0_4arch9wavefront6targetE1EEEvS12_.private_seg_size, 0
	.set _ZN7rocprim17ROCPRIM_400000_NS6detail17trampoline_kernelINS0_13select_configILj256ELj13ELNS0_17block_load_methodE3ELS4_3ELS4_3ELNS0_20block_scan_algorithmE0ELj4294967295EEENS1_25partition_config_selectorILNS1_17partition_subalgoE4EjNS0_10empty_typeEbEEZZNS1_14partition_implILS8_4ELb0ES6_15HIP_vector_typeIjLj2EENS0_17counting_iteratorIjlEEPS9_SG_NS0_5tupleIJPjSI_NS0_16reverse_iteratorISI_EEEEENSH_IJSG_SG_SG_EEES9_SI_JZNS1_25segmented_radix_sort_implINS0_14default_configELb1EPKhPhPKlPlN2at6native12_GLOBAL__N_18offset_tEEE10hipError_tPvRmT1_PNSt15iterator_traitsIS12_E10value_typeET2_T3_PNS13_IS18_E10value_typeET4_jRbjT5_S1E_jjP12ihipStream_tbEUljE_ZNSN_ISO_Lb1ESQ_SR_ST_SU_SY_EESZ_S10_S11_S12_S16_S17_S18_S1B_S1C_jS1D_jS1E_S1E_jjS1G_bEUljE0_EEESZ_S10_S11_S18_S1C_S1E_T6_T7_T9_mT8_S1G_bDpT10_ENKUlT_T0_E_clISt17integral_constantIbLb0EES1T_IbLb1EEEEDaS1P_S1Q_EUlS1P_E_NS1_11comp_targetILNS1_3genE9ELNS1_11target_archE1100ELNS1_3gpuE3ELNS1_3repE0EEENS1_30default_config_static_selectorELNS0_4arch9wavefront6targetE1EEEvS12_.uses_vcc, 0
	.set _ZN7rocprim17ROCPRIM_400000_NS6detail17trampoline_kernelINS0_13select_configILj256ELj13ELNS0_17block_load_methodE3ELS4_3ELS4_3ELNS0_20block_scan_algorithmE0ELj4294967295EEENS1_25partition_config_selectorILNS1_17partition_subalgoE4EjNS0_10empty_typeEbEEZZNS1_14partition_implILS8_4ELb0ES6_15HIP_vector_typeIjLj2EENS0_17counting_iteratorIjlEEPS9_SG_NS0_5tupleIJPjSI_NS0_16reverse_iteratorISI_EEEEENSH_IJSG_SG_SG_EEES9_SI_JZNS1_25segmented_radix_sort_implINS0_14default_configELb1EPKhPhPKlPlN2at6native12_GLOBAL__N_18offset_tEEE10hipError_tPvRmT1_PNSt15iterator_traitsIS12_E10value_typeET2_T3_PNS13_IS18_E10value_typeET4_jRbjT5_S1E_jjP12ihipStream_tbEUljE_ZNSN_ISO_Lb1ESQ_SR_ST_SU_SY_EESZ_S10_S11_S12_S16_S17_S18_S1B_S1C_jS1D_jS1E_S1E_jjS1G_bEUljE0_EEESZ_S10_S11_S18_S1C_S1E_T6_T7_T9_mT8_S1G_bDpT10_ENKUlT_T0_E_clISt17integral_constantIbLb0EES1T_IbLb1EEEEDaS1P_S1Q_EUlS1P_E_NS1_11comp_targetILNS1_3genE9ELNS1_11target_archE1100ELNS1_3gpuE3ELNS1_3repE0EEENS1_30default_config_static_selectorELNS0_4arch9wavefront6targetE1EEEvS12_.uses_flat_scratch, 0
	.set _ZN7rocprim17ROCPRIM_400000_NS6detail17trampoline_kernelINS0_13select_configILj256ELj13ELNS0_17block_load_methodE3ELS4_3ELS4_3ELNS0_20block_scan_algorithmE0ELj4294967295EEENS1_25partition_config_selectorILNS1_17partition_subalgoE4EjNS0_10empty_typeEbEEZZNS1_14partition_implILS8_4ELb0ES6_15HIP_vector_typeIjLj2EENS0_17counting_iteratorIjlEEPS9_SG_NS0_5tupleIJPjSI_NS0_16reverse_iteratorISI_EEEEENSH_IJSG_SG_SG_EEES9_SI_JZNS1_25segmented_radix_sort_implINS0_14default_configELb1EPKhPhPKlPlN2at6native12_GLOBAL__N_18offset_tEEE10hipError_tPvRmT1_PNSt15iterator_traitsIS12_E10value_typeET2_T3_PNS13_IS18_E10value_typeET4_jRbjT5_S1E_jjP12ihipStream_tbEUljE_ZNSN_ISO_Lb1ESQ_SR_ST_SU_SY_EESZ_S10_S11_S12_S16_S17_S18_S1B_S1C_jS1D_jS1E_S1E_jjS1G_bEUljE0_EEESZ_S10_S11_S18_S1C_S1E_T6_T7_T9_mT8_S1G_bDpT10_ENKUlT_T0_E_clISt17integral_constantIbLb0EES1T_IbLb1EEEEDaS1P_S1Q_EUlS1P_E_NS1_11comp_targetILNS1_3genE9ELNS1_11target_archE1100ELNS1_3gpuE3ELNS1_3repE0EEENS1_30default_config_static_selectorELNS0_4arch9wavefront6targetE1EEEvS12_.has_dyn_sized_stack, 0
	.set _ZN7rocprim17ROCPRIM_400000_NS6detail17trampoline_kernelINS0_13select_configILj256ELj13ELNS0_17block_load_methodE3ELS4_3ELS4_3ELNS0_20block_scan_algorithmE0ELj4294967295EEENS1_25partition_config_selectorILNS1_17partition_subalgoE4EjNS0_10empty_typeEbEEZZNS1_14partition_implILS8_4ELb0ES6_15HIP_vector_typeIjLj2EENS0_17counting_iteratorIjlEEPS9_SG_NS0_5tupleIJPjSI_NS0_16reverse_iteratorISI_EEEEENSH_IJSG_SG_SG_EEES9_SI_JZNS1_25segmented_radix_sort_implINS0_14default_configELb1EPKhPhPKlPlN2at6native12_GLOBAL__N_18offset_tEEE10hipError_tPvRmT1_PNSt15iterator_traitsIS12_E10value_typeET2_T3_PNS13_IS18_E10value_typeET4_jRbjT5_S1E_jjP12ihipStream_tbEUljE_ZNSN_ISO_Lb1ESQ_SR_ST_SU_SY_EESZ_S10_S11_S12_S16_S17_S18_S1B_S1C_jS1D_jS1E_S1E_jjS1G_bEUljE0_EEESZ_S10_S11_S18_S1C_S1E_T6_T7_T9_mT8_S1G_bDpT10_ENKUlT_T0_E_clISt17integral_constantIbLb0EES1T_IbLb1EEEEDaS1P_S1Q_EUlS1P_E_NS1_11comp_targetILNS1_3genE9ELNS1_11target_archE1100ELNS1_3gpuE3ELNS1_3repE0EEENS1_30default_config_static_selectorELNS0_4arch9wavefront6targetE1EEEvS12_.has_recursion, 0
	.set _ZN7rocprim17ROCPRIM_400000_NS6detail17trampoline_kernelINS0_13select_configILj256ELj13ELNS0_17block_load_methodE3ELS4_3ELS4_3ELNS0_20block_scan_algorithmE0ELj4294967295EEENS1_25partition_config_selectorILNS1_17partition_subalgoE4EjNS0_10empty_typeEbEEZZNS1_14partition_implILS8_4ELb0ES6_15HIP_vector_typeIjLj2EENS0_17counting_iteratorIjlEEPS9_SG_NS0_5tupleIJPjSI_NS0_16reverse_iteratorISI_EEEEENSH_IJSG_SG_SG_EEES9_SI_JZNS1_25segmented_radix_sort_implINS0_14default_configELb1EPKhPhPKlPlN2at6native12_GLOBAL__N_18offset_tEEE10hipError_tPvRmT1_PNSt15iterator_traitsIS12_E10value_typeET2_T3_PNS13_IS18_E10value_typeET4_jRbjT5_S1E_jjP12ihipStream_tbEUljE_ZNSN_ISO_Lb1ESQ_SR_ST_SU_SY_EESZ_S10_S11_S12_S16_S17_S18_S1B_S1C_jS1D_jS1E_S1E_jjS1G_bEUljE0_EEESZ_S10_S11_S18_S1C_S1E_T6_T7_T9_mT8_S1G_bDpT10_ENKUlT_T0_E_clISt17integral_constantIbLb0EES1T_IbLb1EEEEDaS1P_S1Q_EUlS1P_E_NS1_11comp_targetILNS1_3genE9ELNS1_11target_archE1100ELNS1_3gpuE3ELNS1_3repE0EEENS1_30default_config_static_selectorELNS0_4arch9wavefront6targetE1EEEvS12_.has_indirect_call, 0
	.section	.AMDGPU.csdata,"",@progbits
; Kernel info:
; codeLenInByte = 0
; TotalNumSgprs: 4
; NumVgprs: 0
; ScratchSize: 0
; MemoryBound: 0
; FloatMode: 240
; IeeeMode: 1
; LDSByteSize: 0 bytes/workgroup (compile time only)
; SGPRBlocks: 0
; VGPRBlocks: 0
; NumSGPRsForWavesPerEU: 4
; NumVGPRsForWavesPerEU: 1
; Occupancy: 10
; WaveLimiterHint : 0
; COMPUTE_PGM_RSRC2:SCRATCH_EN: 0
; COMPUTE_PGM_RSRC2:USER_SGPR: 6
; COMPUTE_PGM_RSRC2:TRAP_HANDLER: 0
; COMPUTE_PGM_RSRC2:TGID_X_EN: 1
; COMPUTE_PGM_RSRC2:TGID_Y_EN: 0
; COMPUTE_PGM_RSRC2:TGID_Z_EN: 0
; COMPUTE_PGM_RSRC2:TIDIG_COMP_CNT: 0
	.section	.text._ZN7rocprim17ROCPRIM_400000_NS6detail17trampoline_kernelINS0_13select_configILj256ELj13ELNS0_17block_load_methodE3ELS4_3ELS4_3ELNS0_20block_scan_algorithmE0ELj4294967295EEENS1_25partition_config_selectorILNS1_17partition_subalgoE4EjNS0_10empty_typeEbEEZZNS1_14partition_implILS8_4ELb0ES6_15HIP_vector_typeIjLj2EENS0_17counting_iteratorIjlEEPS9_SG_NS0_5tupleIJPjSI_NS0_16reverse_iteratorISI_EEEEENSH_IJSG_SG_SG_EEES9_SI_JZNS1_25segmented_radix_sort_implINS0_14default_configELb1EPKhPhPKlPlN2at6native12_GLOBAL__N_18offset_tEEE10hipError_tPvRmT1_PNSt15iterator_traitsIS12_E10value_typeET2_T3_PNS13_IS18_E10value_typeET4_jRbjT5_S1E_jjP12ihipStream_tbEUljE_ZNSN_ISO_Lb1ESQ_SR_ST_SU_SY_EESZ_S10_S11_S12_S16_S17_S18_S1B_S1C_jS1D_jS1E_S1E_jjS1G_bEUljE0_EEESZ_S10_S11_S18_S1C_S1E_T6_T7_T9_mT8_S1G_bDpT10_ENKUlT_T0_E_clISt17integral_constantIbLb0EES1T_IbLb1EEEEDaS1P_S1Q_EUlS1P_E_NS1_11comp_targetILNS1_3genE8ELNS1_11target_archE1030ELNS1_3gpuE2ELNS1_3repE0EEENS1_30default_config_static_selectorELNS0_4arch9wavefront6targetE1EEEvS12_,"axG",@progbits,_ZN7rocprim17ROCPRIM_400000_NS6detail17trampoline_kernelINS0_13select_configILj256ELj13ELNS0_17block_load_methodE3ELS4_3ELS4_3ELNS0_20block_scan_algorithmE0ELj4294967295EEENS1_25partition_config_selectorILNS1_17partition_subalgoE4EjNS0_10empty_typeEbEEZZNS1_14partition_implILS8_4ELb0ES6_15HIP_vector_typeIjLj2EENS0_17counting_iteratorIjlEEPS9_SG_NS0_5tupleIJPjSI_NS0_16reverse_iteratorISI_EEEEENSH_IJSG_SG_SG_EEES9_SI_JZNS1_25segmented_radix_sort_implINS0_14default_configELb1EPKhPhPKlPlN2at6native12_GLOBAL__N_18offset_tEEE10hipError_tPvRmT1_PNSt15iterator_traitsIS12_E10value_typeET2_T3_PNS13_IS18_E10value_typeET4_jRbjT5_S1E_jjP12ihipStream_tbEUljE_ZNSN_ISO_Lb1ESQ_SR_ST_SU_SY_EESZ_S10_S11_S12_S16_S17_S18_S1B_S1C_jS1D_jS1E_S1E_jjS1G_bEUljE0_EEESZ_S10_S11_S18_S1C_S1E_T6_T7_T9_mT8_S1G_bDpT10_ENKUlT_T0_E_clISt17integral_constantIbLb0EES1T_IbLb1EEEEDaS1P_S1Q_EUlS1P_E_NS1_11comp_targetILNS1_3genE8ELNS1_11target_archE1030ELNS1_3gpuE2ELNS1_3repE0EEENS1_30default_config_static_selectorELNS0_4arch9wavefront6targetE1EEEvS12_,comdat
	.globl	_ZN7rocprim17ROCPRIM_400000_NS6detail17trampoline_kernelINS0_13select_configILj256ELj13ELNS0_17block_load_methodE3ELS4_3ELS4_3ELNS0_20block_scan_algorithmE0ELj4294967295EEENS1_25partition_config_selectorILNS1_17partition_subalgoE4EjNS0_10empty_typeEbEEZZNS1_14partition_implILS8_4ELb0ES6_15HIP_vector_typeIjLj2EENS0_17counting_iteratorIjlEEPS9_SG_NS0_5tupleIJPjSI_NS0_16reverse_iteratorISI_EEEEENSH_IJSG_SG_SG_EEES9_SI_JZNS1_25segmented_radix_sort_implINS0_14default_configELb1EPKhPhPKlPlN2at6native12_GLOBAL__N_18offset_tEEE10hipError_tPvRmT1_PNSt15iterator_traitsIS12_E10value_typeET2_T3_PNS13_IS18_E10value_typeET4_jRbjT5_S1E_jjP12ihipStream_tbEUljE_ZNSN_ISO_Lb1ESQ_SR_ST_SU_SY_EESZ_S10_S11_S12_S16_S17_S18_S1B_S1C_jS1D_jS1E_S1E_jjS1G_bEUljE0_EEESZ_S10_S11_S18_S1C_S1E_T6_T7_T9_mT8_S1G_bDpT10_ENKUlT_T0_E_clISt17integral_constantIbLb0EES1T_IbLb1EEEEDaS1P_S1Q_EUlS1P_E_NS1_11comp_targetILNS1_3genE8ELNS1_11target_archE1030ELNS1_3gpuE2ELNS1_3repE0EEENS1_30default_config_static_selectorELNS0_4arch9wavefront6targetE1EEEvS12_ ; -- Begin function _ZN7rocprim17ROCPRIM_400000_NS6detail17trampoline_kernelINS0_13select_configILj256ELj13ELNS0_17block_load_methodE3ELS4_3ELS4_3ELNS0_20block_scan_algorithmE0ELj4294967295EEENS1_25partition_config_selectorILNS1_17partition_subalgoE4EjNS0_10empty_typeEbEEZZNS1_14partition_implILS8_4ELb0ES6_15HIP_vector_typeIjLj2EENS0_17counting_iteratorIjlEEPS9_SG_NS0_5tupleIJPjSI_NS0_16reverse_iteratorISI_EEEEENSH_IJSG_SG_SG_EEES9_SI_JZNS1_25segmented_radix_sort_implINS0_14default_configELb1EPKhPhPKlPlN2at6native12_GLOBAL__N_18offset_tEEE10hipError_tPvRmT1_PNSt15iterator_traitsIS12_E10value_typeET2_T3_PNS13_IS18_E10value_typeET4_jRbjT5_S1E_jjP12ihipStream_tbEUljE_ZNSN_ISO_Lb1ESQ_SR_ST_SU_SY_EESZ_S10_S11_S12_S16_S17_S18_S1B_S1C_jS1D_jS1E_S1E_jjS1G_bEUljE0_EEESZ_S10_S11_S18_S1C_S1E_T6_T7_T9_mT8_S1G_bDpT10_ENKUlT_T0_E_clISt17integral_constantIbLb0EES1T_IbLb1EEEEDaS1P_S1Q_EUlS1P_E_NS1_11comp_targetILNS1_3genE8ELNS1_11target_archE1030ELNS1_3gpuE2ELNS1_3repE0EEENS1_30default_config_static_selectorELNS0_4arch9wavefront6targetE1EEEvS12_
	.p2align	8
	.type	_ZN7rocprim17ROCPRIM_400000_NS6detail17trampoline_kernelINS0_13select_configILj256ELj13ELNS0_17block_load_methodE3ELS4_3ELS4_3ELNS0_20block_scan_algorithmE0ELj4294967295EEENS1_25partition_config_selectorILNS1_17partition_subalgoE4EjNS0_10empty_typeEbEEZZNS1_14partition_implILS8_4ELb0ES6_15HIP_vector_typeIjLj2EENS0_17counting_iteratorIjlEEPS9_SG_NS0_5tupleIJPjSI_NS0_16reverse_iteratorISI_EEEEENSH_IJSG_SG_SG_EEES9_SI_JZNS1_25segmented_radix_sort_implINS0_14default_configELb1EPKhPhPKlPlN2at6native12_GLOBAL__N_18offset_tEEE10hipError_tPvRmT1_PNSt15iterator_traitsIS12_E10value_typeET2_T3_PNS13_IS18_E10value_typeET4_jRbjT5_S1E_jjP12ihipStream_tbEUljE_ZNSN_ISO_Lb1ESQ_SR_ST_SU_SY_EESZ_S10_S11_S12_S16_S17_S18_S1B_S1C_jS1D_jS1E_S1E_jjS1G_bEUljE0_EEESZ_S10_S11_S18_S1C_S1E_T6_T7_T9_mT8_S1G_bDpT10_ENKUlT_T0_E_clISt17integral_constantIbLb0EES1T_IbLb1EEEEDaS1P_S1Q_EUlS1P_E_NS1_11comp_targetILNS1_3genE8ELNS1_11target_archE1030ELNS1_3gpuE2ELNS1_3repE0EEENS1_30default_config_static_selectorELNS0_4arch9wavefront6targetE1EEEvS12_,@function
_ZN7rocprim17ROCPRIM_400000_NS6detail17trampoline_kernelINS0_13select_configILj256ELj13ELNS0_17block_load_methodE3ELS4_3ELS4_3ELNS0_20block_scan_algorithmE0ELj4294967295EEENS1_25partition_config_selectorILNS1_17partition_subalgoE4EjNS0_10empty_typeEbEEZZNS1_14partition_implILS8_4ELb0ES6_15HIP_vector_typeIjLj2EENS0_17counting_iteratorIjlEEPS9_SG_NS0_5tupleIJPjSI_NS0_16reverse_iteratorISI_EEEEENSH_IJSG_SG_SG_EEES9_SI_JZNS1_25segmented_radix_sort_implINS0_14default_configELb1EPKhPhPKlPlN2at6native12_GLOBAL__N_18offset_tEEE10hipError_tPvRmT1_PNSt15iterator_traitsIS12_E10value_typeET2_T3_PNS13_IS18_E10value_typeET4_jRbjT5_S1E_jjP12ihipStream_tbEUljE_ZNSN_ISO_Lb1ESQ_SR_ST_SU_SY_EESZ_S10_S11_S12_S16_S17_S18_S1B_S1C_jS1D_jS1E_S1E_jjS1G_bEUljE0_EEESZ_S10_S11_S18_S1C_S1E_T6_T7_T9_mT8_S1G_bDpT10_ENKUlT_T0_E_clISt17integral_constantIbLb0EES1T_IbLb1EEEEDaS1P_S1Q_EUlS1P_E_NS1_11comp_targetILNS1_3genE8ELNS1_11target_archE1030ELNS1_3gpuE2ELNS1_3repE0EEENS1_30default_config_static_selectorELNS0_4arch9wavefront6targetE1EEEvS12_: ; @_ZN7rocprim17ROCPRIM_400000_NS6detail17trampoline_kernelINS0_13select_configILj256ELj13ELNS0_17block_load_methodE3ELS4_3ELS4_3ELNS0_20block_scan_algorithmE0ELj4294967295EEENS1_25partition_config_selectorILNS1_17partition_subalgoE4EjNS0_10empty_typeEbEEZZNS1_14partition_implILS8_4ELb0ES6_15HIP_vector_typeIjLj2EENS0_17counting_iteratorIjlEEPS9_SG_NS0_5tupleIJPjSI_NS0_16reverse_iteratorISI_EEEEENSH_IJSG_SG_SG_EEES9_SI_JZNS1_25segmented_radix_sort_implINS0_14default_configELb1EPKhPhPKlPlN2at6native12_GLOBAL__N_18offset_tEEE10hipError_tPvRmT1_PNSt15iterator_traitsIS12_E10value_typeET2_T3_PNS13_IS18_E10value_typeET4_jRbjT5_S1E_jjP12ihipStream_tbEUljE_ZNSN_ISO_Lb1ESQ_SR_ST_SU_SY_EESZ_S10_S11_S12_S16_S17_S18_S1B_S1C_jS1D_jS1E_S1E_jjS1G_bEUljE0_EEESZ_S10_S11_S18_S1C_S1E_T6_T7_T9_mT8_S1G_bDpT10_ENKUlT_T0_E_clISt17integral_constantIbLb0EES1T_IbLb1EEEEDaS1P_S1Q_EUlS1P_E_NS1_11comp_targetILNS1_3genE8ELNS1_11target_archE1030ELNS1_3gpuE2ELNS1_3repE0EEENS1_30default_config_static_selectorELNS0_4arch9wavefront6targetE1EEEvS12_
; %bb.0:
	.section	.rodata,"a",@progbits
	.p2align	6, 0x0
	.amdhsa_kernel _ZN7rocprim17ROCPRIM_400000_NS6detail17trampoline_kernelINS0_13select_configILj256ELj13ELNS0_17block_load_methodE3ELS4_3ELS4_3ELNS0_20block_scan_algorithmE0ELj4294967295EEENS1_25partition_config_selectorILNS1_17partition_subalgoE4EjNS0_10empty_typeEbEEZZNS1_14partition_implILS8_4ELb0ES6_15HIP_vector_typeIjLj2EENS0_17counting_iteratorIjlEEPS9_SG_NS0_5tupleIJPjSI_NS0_16reverse_iteratorISI_EEEEENSH_IJSG_SG_SG_EEES9_SI_JZNS1_25segmented_radix_sort_implINS0_14default_configELb1EPKhPhPKlPlN2at6native12_GLOBAL__N_18offset_tEEE10hipError_tPvRmT1_PNSt15iterator_traitsIS12_E10value_typeET2_T3_PNS13_IS18_E10value_typeET4_jRbjT5_S1E_jjP12ihipStream_tbEUljE_ZNSN_ISO_Lb1ESQ_SR_ST_SU_SY_EESZ_S10_S11_S12_S16_S17_S18_S1B_S1C_jS1D_jS1E_S1E_jjS1G_bEUljE0_EEESZ_S10_S11_S18_S1C_S1E_T6_T7_T9_mT8_S1G_bDpT10_ENKUlT_T0_E_clISt17integral_constantIbLb0EES1T_IbLb1EEEEDaS1P_S1Q_EUlS1P_E_NS1_11comp_targetILNS1_3genE8ELNS1_11target_archE1030ELNS1_3gpuE2ELNS1_3repE0EEENS1_30default_config_static_selectorELNS0_4arch9wavefront6targetE1EEEvS12_
		.amdhsa_group_segment_fixed_size 0
		.amdhsa_private_segment_fixed_size 0
		.amdhsa_kernarg_size 184
		.amdhsa_user_sgpr_count 6
		.amdhsa_user_sgpr_private_segment_buffer 1
		.amdhsa_user_sgpr_dispatch_ptr 0
		.amdhsa_user_sgpr_queue_ptr 0
		.amdhsa_user_sgpr_kernarg_segment_ptr 1
		.amdhsa_user_sgpr_dispatch_id 0
		.amdhsa_user_sgpr_flat_scratch_init 0
		.amdhsa_user_sgpr_private_segment_size 0
		.amdhsa_uses_dynamic_stack 0
		.amdhsa_system_sgpr_private_segment_wavefront_offset 0
		.amdhsa_system_sgpr_workgroup_id_x 1
		.amdhsa_system_sgpr_workgroup_id_y 0
		.amdhsa_system_sgpr_workgroup_id_z 0
		.amdhsa_system_sgpr_workgroup_info 0
		.amdhsa_system_vgpr_workitem_id 0
		.amdhsa_next_free_vgpr 1
		.amdhsa_next_free_sgpr 0
		.amdhsa_reserve_vcc 0
		.amdhsa_reserve_flat_scratch 0
		.amdhsa_float_round_mode_32 0
		.amdhsa_float_round_mode_16_64 0
		.amdhsa_float_denorm_mode_32 3
		.amdhsa_float_denorm_mode_16_64 3
		.amdhsa_dx10_clamp 1
		.amdhsa_ieee_mode 1
		.amdhsa_fp16_overflow 0
		.amdhsa_exception_fp_ieee_invalid_op 0
		.amdhsa_exception_fp_denorm_src 0
		.amdhsa_exception_fp_ieee_div_zero 0
		.amdhsa_exception_fp_ieee_overflow 0
		.amdhsa_exception_fp_ieee_underflow 0
		.amdhsa_exception_fp_ieee_inexact 0
		.amdhsa_exception_int_div_zero 0
	.end_amdhsa_kernel
	.section	.text._ZN7rocprim17ROCPRIM_400000_NS6detail17trampoline_kernelINS0_13select_configILj256ELj13ELNS0_17block_load_methodE3ELS4_3ELS4_3ELNS0_20block_scan_algorithmE0ELj4294967295EEENS1_25partition_config_selectorILNS1_17partition_subalgoE4EjNS0_10empty_typeEbEEZZNS1_14partition_implILS8_4ELb0ES6_15HIP_vector_typeIjLj2EENS0_17counting_iteratorIjlEEPS9_SG_NS0_5tupleIJPjSI_NS0_16reverse_iteratorISI_EEEEENSH_IJSG_SG_SG_EEES9_SI_JZNS1_25segmented_radix_sort_implINS0_14default_configELb1EPKhPhPKlPlN2at6native12_GLOBAL__N_18offset_tEEE10hipError_tPvRmT1_PNSt15iterator_traitsIS12_E10value_typeET2_T3_PNS13_IS18_E10value_typeET4_jRbjT5_S1E_jjP12ihipStream_tbEUljE_ZNSN_ISO_Lb1ESQ_SR_ST_SU_SY_EESZ_S10_S11_S12_S16_S17_S18_S1B_S1C_jS1D_jS1E_S1E_jjS1G_bEUljE0_EEESZ_S10_S11_S18_S1C_S1E_T6_T7_T9_mT8_S1G_bDpT10_ENKUlT_T0_E_clISt17integral_constantIbLb0EES1T_IbLb1EEEEDaS1P_S1Q_EUlS1P_E_NS1_11comp_targetILNS1_3genE8ELNS1_11target_archE1030ELNS1_3gpuE2ELNS1_3repE0EEENS1_30default_config_static_selectorELNS0_4arch9wavefront6targetE1EEEvS12_,"axG",@progbits,_ZN7rocprim17ROCPRIM_400000_NS6detail17trampoline_kernelINS0_13select_configILj256ELj13ELNS0_17block_load_methodE3ELS4_3ELS4_3ELNS0_20block_scan_algorithmE0ELj4294967295EEENS1_25partition_config_selectorILNS1_17partition_subalgoE4EjNS0_10empty_typeEbEEZZNS1_14partition_implILS8_4ELb0ES6_15HIP_vector_typeIjLj2EENS0_17counting_iteratorIjlEEPS9_SG_NS0_5tupleIJPjSI_NS0_16reverse_iteratorISI_EEEEENSH_IJSG_SG_SG_EEES9_SI_JZNS1_25segmented_radix_sort_implINS0_14default_configELb1EPKhPhPKlPlN2at6native12_GLOBAL__N_18offset_tEEE10hipError_tPvRmT1_PNSt15iterator_traitsIS12_E10value_typeET2_T3_PNS13_IS18_E10value_typeET4_jRbjT5_S1E_jjP12ihipStream_tbEUljE_ZNSN_ISO_Lb1ESQ_SR_ST_SU_SY_EESZ_S10_S11_S12_S16_S17_S18_S1B_S1C_jS1D_jS1E_S1E_jjS1G_bEUljE0_EEESZ_S10_S11_S18_S1C_S1E_T6_T7_T9_mT8_S1G_bDpT10_ENKUlT_T0_E_clISt17integral_constantIbLb0EES1T_IbLb1EEEEDaS1P_S1Q_EUlS1P_E_NS1_11comp_targetILNS1_3genE8ELNS1_11target_archE1030ELNS1_3gpuE2ELNS1_3repE0EEENS1_30default_config_static_selectorELNS0_4arch9wavefront6targetE1EEEvS12_,comdat
.Lfunc_end46:
	.size	_ZN7rocprim17ROCPRIM_400000_NS6detail17trampoline_kernelINS0_13select_configILj256ELj13ELNS0_17block_load_methodE3ELS4_3ELS4_3ELNS0_20block_scan_algorithmE0ELj4294967295EEENS1_25partition_config_selectorILNS1_17partition_subalgoE4EjNS0_10empty_typeEbEEZZNS1_14partition_implILS8_4ELb0ES6_15HIP_vector_typeIjLj2EENS0_17counting_iteratorIjlEEPS9_SG_NS0_5tupleIJPjSI_NS0_16reverse_iteratorISI_EEEEENSH_IJSG_SG_SG_EEES9_SI_JZNS1_25segmented_radix_sort_implINS0_14default_configELb1EPKhPhPKlPlN2at6native12_GLOBAL__N_18offset_tEEE10hipError_tPvRmT1_PNSt15iterator_traitsIS12_E10value_typeET2_T3_PNS13_IS18_E10value_typeET4_jRbjT5_S1E_jjP12ihipStream_tbEUljE_ZNSN_ISO_Lb1ESQ_SR_ST_SU_SY_EESZ_S10_S11_S12_S16_S17_S18_S1B_S1C_jS1D_jS1E_S1E_jjS1G_bEUljE0_EEESZ_S10_S11_S18_S1C_S1E_T6_T7_T9_mT8_S1G_bDpT10_ENKUlT_T0_E_clISt17integral_constantIbLb0EES1T_IbLb1EEEEDaS1P_S1Q_EUlS1P_E_NS1_11comp_targetILNS1_3genE8ELNS1_11target_archE1030ELNS1_3gpuE2ELNS1_3repE0EEENS1_30default_config_static_selectorELNS0_4arch9wavefront6targetE1EEEvS12_, .Lfunc_end46-_ZN7rocprim17ROCPRIM_400000_NS6detail17trampoline_kernelINS0_13select_configILj256ELj13ELNS0_17block_load_methodE3ELS4_3ELS4_3ELNS0_20block_scan_algorithmE0ELj4294967295EEENS1_25partition_config_selectorILNS1_17partition_subalgoE4EjNS0_10empty_typeEbEEZZNS1_14partition_implILS8_4ELb0ES6_15HIP_vector_typeIjLj2EENS0_17counting_iteratorIjlEEPS9_SG_NS0_5tupleIJPjSI_NS0_16reverse_iteratorISI_EEEEENSH_IJSG_SG_SG_EEES9_SI_JZNS1_25segmented_radix_sort_implINS0_14default_configELb1EPKhPhPKlPlN2at6native12_GLOBAL__N_18offset_tEEE10hipError_tPvRmT1_PNSt15iterator_traitsIS12_E10value_typeET2_T3_PNS13_IS18_E10value_typeET4_jRbjT5_S1E_jjP12ihipStream_tbEUljE_ZNSN_ISO_Lb1ESQ_SR_ST_SU_SY_EESZ_S10_S11_S12_S16_S17_S18_S1B_S1C_jS1D_jS1E_S1E_jjS1G_bEUljE0_EEESZ_S10_S11_S18_S1C_S1E_T6_T7_T9_mT8_S1G_bDpT10_ENKUlT_T0_E_clISt17integral_constantIbLb0EES1T_IbLb1EEEEDaS1P_S1Q_EUlS1P_E_NS1_11comp_targetILNS1_3genE8ELNS1_11target_archE1030ELNS1_3gpuE2ELNS1_3repE0EEENS1_30default_config_static_selectorELNS0_4arch9wavefront6targetE1EEEvS12_
                                        ; -- End function
	.set _ZN7rocprim17ROCPRIM_400000_NS6detail17trampoline_kernelINS0_13select_configILj256ELj13ELNS0_17block_load_methodE3ELS4_3ELS4_3ELNS0_20block_scan_algorithmE0ELj4294967295EEENS1_25partition_config_selectorILNS1_17partition_subalgoE4EjNS0_10empty_typeEbEEZZNS1_14partition_implILS8_4ELb0ES6_15HIP_vector_typeIjLj2EENS0_17counting_iteratorIjlEEPS9_SG_NS0_5tupleIJPjSI_NS0_16reverse_iteratorISI_EEEEENSH_IJSG_SG_SG_EEES9_SI_JZNS1_25segmented_radix_sort_implINS0_14default_configELb1EPKhPhPKlPlN2at6native12_GLOBAL__N_18offset_tEEE10hipError_tPvRmT1_PNSt15iterator_traitsIS12_E10value_typeET2_T3_PNS13_IS18_E10value_typeET4_jRbjT5_S1E_jjP12ihipStream_tbEUljE_ZNSN_ISO_Lb1ESQ_SR_ST_SU_SY_EESZ_S10_S11_S12_S16_S17_S18_S1B_S1C_jS1D_jS1E_S1E_jjS1G_bEUljE0_EEESZ_S10_S11_S18_S1C_S1E_T6_T7_T9_mT8_S1G_bDpT10_ENKUlT_T0_E_clISt17integral_constantIbLb0EES1T_IbLb1EEEEDaS1P_S1Q_EUlS1P_E_NS1_11comp_targetILNS1_3genE8ELNS1_11target_archE1030ELNS1_3gpuE2ELNS1_3repE0EEENS1_30default_config_static_selectorELNS0_4arch9wavefront6targetE1EEEvS12_.num_vgpr, 0
	.set _ZN7rocprim17ROCPRIM_400000_NS6detail17trampoline_kernelINS0_13select_configILj256ELj13ELNS0_17block_load_methodE3ELS4_3ELS4_3ELNS0_20block_scan_algorithmE0ELj4294967295EEENS1_25partition_config_selectorILNS1_17partition_subalgoE4EjNS0_10empty_typeEbEEZZNS1_14partition_implILS8_4ELb0ES6_15HIP_vector_typeIjLj2EENS0_17counting_iteratorIjlEEPS9_SG_NS0_5tupleIJPjSI_NS0_16reverse_iteratorISI_EEEEENSH_IJSG_SG_SG_EEES9_SI_JZNS1_25segmented_radix_sort_implINS0_14default_configELb1EPKhPhPKlPlN2at6native12_GLOBAL__N_18offset_tEEE10hipError_tPvRmT1_PNSt15iterator_traitsIS12_E10value_typeET2_T3_PNS13_IS18_E10value_typeET4_jRbjT5_S1E_jjP12ihipStream_tbEUljE_ZNSN_ISO_Lb1ESQ_SR_ST_SU_SY_EESZ_S10_S11_S12_S16_S17_S18_S1B_S1C_jS1D_jS1E_S1E_jjS1G_bEUljE0_EEESZ_S10_S11_S18_S1C_S1E_T6_T7_T9_mT8_S1G_bDpT10_ENKUlT_T0_E_clISt17integral_constantIbLb0EES1T_IbLb1EEEEDaS1P_S1Q_EUlS1P_E_NS1_11comp_targetILNS1_3genE8ELNS1_11target_archE1030ELNS1_3gpuE2ELNS1_3repE0EEENS1_30default_config_static_selectorELNS0_4arch9wavefront6targetE1EEEvS12_.num_agpr, 0
	.set _ZN7rocprim17ROCPRIM_400000_NS6detail17trampoline_kernelINS0_13select_configILj256ELj13ELNS0_17block_load_methodE3ELS4_3ELS4_3ELNS0_20block_scan_algorithmE0ELj4294967295EEENS1_25partition_config_selectorILNS1_17partition_subalgoE4EjNS0_10empty_typeEbEEZZNS1_14partition_implILS8_4ELb0ES6_15HIP_vector_typeIjLj2EENS0_17counting_iteratorIjlEEPS9_SG_NS0_5tupleIJPjSI_NS0_16reverse_iteratorISI_EEEEENSH_IJSG_SG_SG_EEES9_SI_JZNS1_25segmented_radix_sort_implINS0_14default_configELb1EPKhPhPKlPlN2at6native12_GLOBAL__N_18offset_tEEE10hipError_tPvRmT1_PNSt15iterator_traitsIS12_E10value_typeET2_T3_PNS13_IS18_E10value_typeET4_jRbjT5_S1E_jjP12ihipStream_tbEUljE_ZNSN_ISO_Lb1ESQ_SR_ST_SU_SY_EESZ_S10_S11_S12_S16_S17_S18_S1B_S1C_jS1D_jS1E_S1E_jjS1G_bEUljE0_EEESZ_S10_S11_S18_S1C_S1E_T6_T7_T9_mT8_S1G_bDpT10_ENKUlT_T0_E_clISt17integral_constantIbLb0EES1T_IbLb1EEEEDaS1P_S1Q_EUlS1P_E_NS1_11comp_targetILNS1_3genE8ELNS1_11target_archE1030ELNS1_3gpuE2ELNS1_3repE0EEENS1_30default_config_static_selectorELNS0_4arch9wavefront6targetE1EEEvS12_.numbered_sgpr, 0
	.set _ZN7rocprim17ROCPRIM_400000_NS6detail17trampoline_kernelINS0_13select_configILj256ELj13ELNS0_17block_load_methodE3ELS4_3ELS4_3ELNS0_20block_scan_algorithmE0ELj4294967295EEENS1_25partition_config_selectorILNS1_17partition_subalgoE4EjNS0_10empty_typeEbEEZZNS1_14partition_implILS8_4ELb0ES6_15HIP_vector_typeIjLj2EENS0_17counting_iteratorIjlEEPS9_SG_NS0_5tupleIJPjSI_NS0_16reverse_iteratorISI_EEEEENSH_IJSG_SG_SG_EEES9_SI_JZNS1_25segmented_radix_sort_implINS0_14default_configELb1EPKhPhPKlPlN2at6native12_GLOBAL__N_18offset_tEEE10hipError_tPvRmT1_PNSt15iterator_traitsIS12_E10value_typeET2_T3_PNS13_IS18_E10value_typeET4_jRbjT5_S1E_jjP12ihipStream_tbEUljE_ZNSN_ISO_Lb1ESQ_SR_ST_SU_SY_EESZ_S10_S11_S12_S16_S17_S18_S1B_S1C_jS1D_jS1E_S1E_jjS1G_bEUljE0_EEESZ_S10_S11_S18_S1C_S1E_T6_T7_T9_mT8_S1G_bDpT10_ENKUlT_T0_E_clISt17integral_constantIbLb0EES1T_IbLb1EEEEDaS1P_S1Q_EUlS1P_E_NS1_11comp_targetILNS1_3genE8ELNS1_11target_archE1030ELNS1_3gpuE2ELNS1_3repE0EEENS1_30default_config_static_selectorELNS0_4arch9wavefront6targetE1EEEvS12_.num_named_barrier, 0
	.set _ZN7rocprim17ROCPRIM_400000_NS6detail17trampoline_kernelINS0_13select_configILj256ELj13ELNS0_17block_load_methodE3ELS4_3ELS4_3ELNS0_20block_scan_algorithmE0ELj4294967295EEENS1_25partition_config_selectorILNS1_17partition_subalgoE4EjNS0_10empty_typeEbEEZZNS1_14partition_implILS8_4ELb0ES6_15HIP_vector_typeIjLj2EENS0_17counting_iteratorIjlEEPS9_SG_NS0_5tupleIJPjSI_NS0_16reverse_iteratorISI_EEEEENSH_IJSG_SG_SG_EEES9_SI_JZNS1_25segmented_radix_sort_implINS0_14default_configELb1EPKhPhPKlPlN2at6native12_GLOBAL__N_18offset_tEEE10hipError_tPvRmT1_PNSt15iterator_traitsIS12_E10value_typeET2_T3_PNS13_IS18_E10value_typeET4_jRbjT5_S1E_jjP12ihipStream_tbEUljE_ZNSN_ISO_Lb1ESQ_SR_ST_SU_SY_EESZ_S10_S11_S12_S16_S17_S18_S1B_S1C_jS1D_jS1E_S1E_jjS1G_bEUljE0_EEESZ_S10_S11_S18_S1C_S1E_T6_T7_T9_mT8_S1G_bDpT10_ENKUlT_T0_E_clISt17integral_constantIbLb0EES1T_IbLb1EEEEDaS1P_S1Q_EUlS1P_E_NS1_11comp_targetILNS1_3genE8ELNS1_11target_archE1030ELNS1_3gpuE2ELNS1_3repE0EEENS1_30default_config_static_selectorELNS0_4arch9wavefront6targetE1EEEvS12_.private_seg_size, 0
	.set _ZN7rocprim17ROCPRIM_400000_NS6detail17trampoline_kernelINS0_13select_configILj256ELj13ELNS0_17block_load_methodE3ELS4_3ELS4_3ELNS0_20block_scan_algorithmE0ELj4294967295EEENS1_25partition_config_selectorILNS1_17partition_subalgoE4EjNS0_10empty_typeEbEEZZNS1_14partition_implILS8_4ELb0ES6_15HIP_vector_typeIjLj2EENS0_17counting_iteratorIjlEEPS9_SG_NS0_5tupleIJPjSI_NS0_16reverse_iteratorISI_EEEEENSH_IJSG_SG_SG_EEES9_SI_JZNS1_25segmented_radix_sort_implINS0_14default_configELb1EPKhPhPKlPlN2at6native12_GLOBAL__N_18offset_tEEE10hipError_tPvRmT1_PNSt15iterator_traitsIS12_E10value_typeET2_T3_PNS13_IS18_E10value_typeET4_jRbjT5_S1E_jjP12ihipStream_tbEUljE_ZNSN_ISO_Lb1ESQ_SR_ST_SU_SY_EESZ_S10_S11_S12_S16_S17_S18_S1B_S1C_jS1D_jS1E_S1E_jjS1G_bEUljE0_EEESZ_S10_S11_S18_S1C_S1E_T6_T7_T9_mT8_S1G_bDpT10_ENKUlT_T0_E_clISt17integral_constantIbLb0EES1T_IbLb1EEEEDaS1P_S1Q_EUlS1P_E_NS1_11comp_targetILNS1_3genE8ELNS1_11target_archE1030ELNS1_3gpuE2ELNS1_3repE0EEENS1_30default_config_static_selectorELNS0_4arch9wavefront6targetE1EEEvS12_.uses_vcc, 0
	.set _ZN7rocprim17ROCPRIM_400000_NS6detail17trampoline_kernelINS0_13select_configILj256ELj13ELNS0_17block_load_methodE3ELS4_3ELS4_3ELNS0_20block_scan_algorithmE0ELj4294967295EEENS1_25partition_config_selectorILNS1_17partition_subalgoE4EjNS0_10empty_typeEbEEZZNS1_14partition_implILS8_4ELb0ES6_15HIP_vector_typeIjLj2EENS0_17counting_iteratorIjlEEPS9_SG_NS0_5tupleIJPjSI_NS0_16reverse_iteratorISI_EEEEENSH_IJSG_SG_SG_EEES9_SI_JZNS1_25segmented_radix_sort_implINS0_14default_configELb1EPKhPhPKlPlN2at6native12_GLOBAL__N_18offset_tEEE10hipError_tPvRmT1_PNSt15iterator_traitsIS12_E10value_typeET2_T3_PNS13_IS18_E10value_typeET4_jRbjT5_S1E_jjP12ihipStream_tbEUljE_ZNSN_ISO_Lb1ESQ_SR_ST_SU_SY_EESZ_S10_S11_S12_S16_S17_S18_S1B_S1C_jS1D_jS1E_S1E_jjS1G_bEUljE0_EEESZ_S10_S11_S18_S1C_S1E_T6_T7_T9_mT8_S1G_bDpT10_ENKUlT_T0_E_clISt17integral_constantIbLb0EES1T_IbLb1EEEEDaS1P_S1Q_EUlS1P_E_NS1_11comp_targetILNS1_3genE8ELNS1_11target_archE1030ELNS1_3gpuE2ELNS1_3repE0EEENS1_30default_config_static_selectorELNS0_4arch9wavefront6targetE1EEEvS12_.uses_flat_scratch, 0
	.set _ZN7rocprim17ROCPRIM_400000_NS6detail17trampoline_kernelINS0_13select_configILj256ELj13ELNS0_17block_load_methodE3ELS4_3ELS4_3ELNS0_20block_scan_algorithmE0ELj4294967295EEENS1_25partition_config_selectorILNS1_17partition_subalgoE4EjNS0_10empty_typeEbEEZZNS1_14partition_implILS8_4ELb0ES6_15HIP_vector_typeIjLj2EENS0_17counting_iteratorIjlEEPS9_SG_NS0_5tupleIJPjSI_NS0_16reverse_iteratorISI_EEEEENSH_IJSG_SG_SG_EEES9_SI_JZNS1_25segmented_radix_sort_implINS0_14default_configELb1EPKhPhPKlPlN2at6native12_GLOBAL__N_18offset_tEEE10hipError_tPvRmT1_PNSt15iterator_traitsIS12_E10value_typeET2_T3_PNS13_IS18_E10value_typeET4_jRbjT5_S1E_jjP12ihipStream_tbEUljE_ZNSN_ISO_Lb1ESQ_SR_ST_SU_SY_EESZ_S10_S11_S12_S16_S17_S18_S1B_S1C_jS1D_jS1E_S1E_jjS1G_bEUljE0_EEESZ_S10_S11_S18_S1C_S1E_T6_T7_T9_mT8_S1G_bDpT10_ENKUlT_T0_E_clISt17integral_constantIbLb0EES1T_IbLb1EEEEDaS1P_S1Q_EUlS1P_E_NS1_11comp_targetILNS1_3genE8ELNS1_11target_archE1030ELNS1_3gpuE2ELNS1_3repE0EEENS1_30default_config_static_selectorELNS0_4arch9wavefront6targetE1EEEvS12_.has_dyn_sized_stack, 0
	.set _ZN7rocprim17ROCPRIM_400000_NS6detail17trampoline_kernelINS0_13select_configILj256ELj13ELNS0_17block_load_methodE3ELS4_3ELS4_3ELNS0_20block_scan_algorithmE0ELj4294967295EEENS1_25partition_config_selectorILNS1_17partition_subalgoE4EjNS0_10empty_typeEbEEZZNS1_14partition_implILS8_4ELb0ES6_15HIP_vector_typeIjLj2EENS0_17counting_iteratorIjlEEPS9_SG_NS0_5tupleIJPjSI_NS0_16reverse_iteratorISI_EEEEENSH_IJSG_SG_SG_EEES9_SI_JZNS1_25segmented_radix_sort_implINS0_14default_configELb1EPKhPhPKlPlN2at6native12_GLOBAL__N_18offset_tEEE10hipError_tPvRmT1_PNSt15iterator_traitsIS12_E10value_typeET2_T3_PNS13_IS18_E10value_typeET4_jRbjT5_S1E_jjP12ihipStream_tbEUljE_ZNSN_ISO_Lb1ESQ_SR_ST_SU_SY_EESZ_S10_S11_S12_S16_S17_S18_S1B_S1C_jS1D_jS1E_S1E_jjS1G_bEUljE0_EEESZ_S10_S11_S18_S1C_S1E_T6_T7_T9_mT8_S1G_bDpT10_ENKUlT_T0_E_clISt17integral_constantIbLb0EES1T_IbLb1EEEEDaS1P_S1Q_EUlS1P_E_NS1_11comp_targetILNS1_3genE8ELNS1_11target_archE1030ELNS1_3gpuE2ELNS1_3repE0EEENS1_30default_config_static_selectorELNS0_4arch9wavefront6targetE1EEEvS12_.has_recursion, 0
	.set _ZN7rocprim17ROCPRIM_400000_NS6detail17trampoline_kernelINS0_13select_configILj256ELj13ELNS0_17block_load_methodE3ELS4_3ELS4_3ELNS0_20block_scan_algorithmE0ELj4294967295EEENS1_25partition_config_selectorILNS1_17partition_subalgoE4EjNS0_10empty_typeEbEEZZNS1_14partition_implILS8_4ELb0ES6_15HIP_vector_typeIjLj2EENS0_17counting_iteratorIjlEEPS9_SG_NS0_5tupleIJPjSI_NS0_16reverse_iteratorISI_EEEEENSH_IJSG_SG_SG_EEES9_SI_JZNS1_25segmented_radix_sort_implINS0_14default_configELb1EPKhPhPKlPlN2at6native12_GLOBAL__N_18offset_tEEE10hipError_tPvRmT1_PNSt15iterator_traitsIS12_E10value_typeET2_T3_PNS13_IS18_E10value_typeET4_jRbjT5_S1E_jjP12ihipStream_tbEUljE_ZNSN_ISO_Lb1ESQ_SR_ST_SU_SY_EESZ_S10_S11_S12_S16_S17_S18_S1B_S1C_jS1D_jS1E_S1E_jjS1G_bEUljE0_EEESZ_S10_S11_S18_S1C_S1E_T6_T7_T9_mT8_S1G_bDpT10_ENKUlT_T0_E_clISt17integral_constantIbLb0EES1T_IbLb1EEEEDaS1P_S1Q_EUlS1P_E_NS1_11comp_targetILNS1_3genE8ELNS1_11target_archE1030ELNS1_3gpuE2ELNS1_3repE0EEENS1_30default_config_static_selectorELNS0_4arch9wavefront6targetE1EEEvS12_.has_indirect_call, 0
	.section	.AMDGPU.csdata,"",@progbits
; Kernel info:
; codeLenInByte = 0
; TotalNumSgprs: 4
; NumVgprs: 0
; ScratchSize: 0
; MemoryBound: 0
; FloatMode: 240
; IeeeMode: 1
; LDSByteSize: 0 bytes/workgroup (compile time only)
; SGPRBlocks: 0
; VGPRBlocks: 0
; NumSGPRsForWavesPerEU: 4
; NumVGPRsForWavesPerEU: 1
; Occupancy: 10
; WaveLimiterHint : 0
; COMPUTE_PGM_RSRC2:SCRATCH_EN: 0
; COMPUTE_PGM_RSRC2:USER_SGPR: 6
; COMPUTE_PGM_RSRC2:TRAP_HANDLER: 0
; COMPUTE_PGM_RSRC2:TGID_X_EN: 1
; COMPUTE_PGM_RSRC2:TGID_Y_EN: 0
; COMPUTE_PGM_RSRC2:TGID_Z_EN: 0
; COMPUTE_PGM_RSRC2:TIDIG_COMP_CNT: 0
	.section	.text._ZN7rocprim17ROCPRIM_400000_NS6detail31init_lookback_scan_state_kernelINS1_19lookback_scan_stateIjLb0ELb1EEENS1_16block_id_wrapperIjLb0EEEEEvT_jT0_jPNS7_10value_typeE,"axG",@progbits,_ZN7rocprim17ROCPRIM_400000_NS6detail31init_lookback_scan_state_kernelINS1_19lookback_scan_stateIjLb0ELb1EEENS1_16block_id_wrapperIjLb0EEEEEvT_jT0_jPNS7_10value_typeE,comdat
	.protected	_ZN7rocprim17ROCPRIM_400000_NS6detail31init_lookback_scan_state_kernelINS1_19lookback_scan_stateIjLb0ELb1EEENS1_16block_id_wrapperIjLb0EEEEEvT_jT0_jPNS7_10value_typeE ; -- Begin function _ZN7rocprim17ROCPRIM_400000_NS6detail31init_lookback_scan_state_kernelINS1_19lookback_scan_stateIjLb0ELb1EEENS1_16block_id_wrapperIjLb0EEEEEvT_jT0_jPNS7_10value_typeE
	.globl	_ZN7rocprim17ROCPRIM_400000_NS6detail31init_lookback_scan_state_kernelINS1_19lookback_scan_stateIjLb0ELb1EEENS1_16block_id_wrapperIjLb0EEEEEvT_jT0_jPNS7_10value_typeE
	.p2align	8
	.type	_ZN7rocprim17ROCPRIM_400000_NS6detail31init_lookback_scan_state_kernelINS1_19lookback_scan_stateIjLb0ELb1EEENS1_16block_id_wrapperIjLb0EEEEEvT_jT0_jPNS7_10value_typeE,@function
_ZN7rocprim17ROCPRIM_400000_NS6detail31init_lookback_scan_state_kernelINS1_19lookback_scan_stateIjLb0ELb1EEENS1_16block_id_wrapperIjLb0EEEEEvT_jT0_jPNS7_10value_typeE: ; @_ZN7rocprim17ROCPRIM_400000_NS6detail31init_lookback_scan_state_kernelINS1_19lookback_scan_stateIjLb0ELb1EEENS1_16block_id_wrapperIjLb0EEEEEvT_jT0_jPNS7_10value_typeE
; %bb.0:
	s_load_dword s7, s[4:5], 0x2c
	s_load_dwordx2 s[2:3], s[4:5], 0x18
	s_load_dwordx2 s[0:1], s[4:5], 0x0
	s_load_dword s8, s[4:5], 0x8
	s_waitcnt lgkmcnt(0)
	s_and_b32 s7, s7, 0xffff
	s_mul_i32 s6, s6, s7
	s_cmp_eq_u64 s[2:3], 0
	v_add_u32_e32 v0, s6, v0
	s_cbranch_scc1 .LBB47_6
; %bb.1:
	s_load_dword s6, s[4:5], 0x10
	s_mov_b32 s7, 0
	s_waitcnt lgkmcnt(0)
	s_cmp_lt_u32 s6, s8
	s_cselect_b32 s4, s6, 0
	v_cmp_eq_u32_e32 vcc, s4, v0
	s_and_saveexec_b64 s[4:5], vcc
	s_cbranch_execz .LBB47_5
; %bb.2:
	s_add_i32 s6, s6, 64
	s_lshl_b64 s[6:7], s[6:7], 3
	s_add_u32 s6, s0, s6
	s_addc_u32 s7, s1, s7
	v_mov_b32_e32 v3, 0
	global_load_dwordx2 v[1:2], v3, s[6:7] glc
	s_waitcnt vmcnt(0)
	v_and_b32_e32 v4, 0xff, v2
	v_cmp_ne_u64_e32 vcc, 0, v[3:4]
	s_cbranch_vccnz .LBB47_4
.LBB47_3:                               ; =>This Inner Loop Header: Depth=1
	global_load_dwordx2 v[1:2], v3, s[6:7] glc
	s_waitcnt vmcnt(0)
	v_and_b32_e32 v4, 0xff, v2
	v_cmp_eq_u64_e32 vcc, 0, v[3:4]
	s_cbranch_vccnz .LBB47_3
.LBB47_4:
	v_mov_b32_e32 v2, 0
	global_store_dword v2, v1, s[2:3]
.LBB47_5:
	s_or_b64 exec, exec, s[4:5]
.LBB47_6:
	v_cmp_gt_u32_e32 vcc, s8, v0
	s_and_saveexec_b64 s[2:3], vcc
	s_cbranch_execnz .LBB47_9
; %bb.7:
	s_or_b64 exec, exec, s[2:3]
	v_cmp_gt_u32_e32 vcc, 64, v0
	s_and_saveexec_b64 s[2:3], vcc
	s_cbranch_execnz .LBB47_10
.LBB47_8:
	s_endpgm
.LBB47_9:
	v_add_u32_e32 v1, 64, v0
	v_mov_b32_e32 v2, 0
	v_lshlrev_b64 v[3:4], 3, v[1:2]
	v_mov_b32_e32 v1, s1
	v_add_co_u32_e32 v3, vcc, s0, v3
	v_addc_co_u32_e32 v4, vcc, v1, v4, vcc
	v_mov_b32_e32 v1, v2
	global_store_dwordx2 v[3:4], v[1:2], off
	s_or_b64 exec, exec, s[2:3]
	v_cmp_gt_u32_e32 vcc, 64, v0
	s_and_saveexec_b64 s[2:3], vcc
	s_cbranch_execz .LBB47_8
.LBB47_10:
	v_mov_b32_e32 v1, 0
	v_lshlrev_b64 v[2:3], 3, v[0:1]
	v_mov_b32_e32 v0, s1
	v_add_co_u32_e32 v2, vcc, s0, v2
	v_addc_co_u32_e32 v3, vcc, v0, v3, vcc
	v_mov_b32_e32 v5, 0xff
	v_mov_b32_e32 v4, v1
	global_store_dwordx2 v[2:3], v[4:5], off
	s_endpgm
	.section	.rodata,"a",@progbits
	.p2align	6, 0x0
	.amdhsa_kernel _ZN7rocprim17ROCPRIM_400000_NS6detail31init_lookback_scan_state_kernelINS1_19lookback_scan_stateIjLb0ELb1EEENS1_16block_id_wrapperIjLb0EEEEEvT_jT0_jPNS7_10value_typeE
		.amdhsa_group_segment_fixed_size 0
		.amdhsa_private_segment_fixed_size 0
		.amdhsa_kernarg_size 288
		.amdhsa_user_sgpr_count 6
		.amdhsa_user_sgpr_private_segment_buffer 1
		.amdhsa_user_sgpr_dispatch_ptr 0
		.amdhsa_user_sgpr_queue_ptr 0
		.amdhsa_user_sgpr_kernarg_segment_ptr 1
		.amdhsa_user_sgpr_dispatch_id 0
		.amdhsa_user_sgpr_flat_scratch_init 0
		.amdhsa_user_sgpr_private_segment_size 0
		.amdhsa_uses_dynamic_stack 0
		.amdhsa_system_sgpr_private_segment_wavefront_offset 0
		.amdhsa_system_sgpr_workgroup_id_x 1
		.amdhsa_system_sgpr_workgroup_id_y 0
		.amdhsa_system_sgpr_workgroup_id_z 0
		.amdhsa_system_sgpr_workgroup_info 0
		.amdhsa_system_vgpr_workitem_id 0
		.amdhsa_next_free_vgpr 6
		.amdhsa_next_free_sgpr 9
		.amdhsa_reserve_vcc 1
		.amdhsa_reserve_flat_scratch 0
		.amdhsa_float_round_mode_32 0
		.amdhsa_float_round_mode_16_64 0
		.amdhsa_float_denorm_mode_32 3
		.amdhsa_float_denorm_mode_16_64 3
		.amdhsa_dx10_clamp 1
		.amdhsa_ieee_mode 1
		.amdhsa_fp16_overflow 0
		.amdhsa_exception_fp_ieee_invalid_op 0
		.amdhsa_exception_fp_denorm_src 0
		.amdhsa_exception_fp_ieee_div_zero 0
		.amdhsa_exception_fp_ieee_overflow 0
		.amdhsa_exception_fp_ieee_underflow 0
		.amdhsa_exception_fp_ieee_inexact 0
		.amdhsa_exception_int_div_zero 0
	.end_amdhsa_kernel
	.section	.text._ZN7rocprim17ROCPRIM_400000_NS6detail31init_lookback_scan_state_kernelINS1_19lookback_scan_stateIjLb0ELb1EEENS1_16block_id_wrapperIjLb0EEEEEvT_jT0_jPNS7_10value_typeE,"axG",@progbits,_ZN7rocprim17ROCPRIM_400000_NS6detail31init_lookback_scan_state_kernelINS1_19lookback_scan_stateIjLb0ELb1EEENS1_16block_id_wrapperIjLb0EEEEEvT_jT0_jPNS7_10value_typeE,comdat
.Lfunc_end47:
	.size	_ZN7rocprim17ROCPRIM_400000_NS6detail31init_lookback_scan_state_kernelINS1_19lookback_scan_stateIjLb0ELb1EEENS1_16block_id_wrapperIjLb0EEEEEvT_jT0_jPNS7_10value_typeE, .Lfunc_end47-_ZN7rocprim17ROCPRIM_400000_NS6detail31init_lookback_scan_state_kernelINS1_19lookback_scan_stateIjLb0ELb1EEENS1_16block_id_wrapperIjLb0EEEEEvT_jT0_jPNS7_10value_typeE
                                        ; -- End function
	.set _ZN7rocprim17ROCPRIM_400000_NS6detail31init_lookback_scan_state_kernelINS1_19lookback_scan_stateIjLb0ELb1EEENS1_16block_id_wrapperIjLb0EEEEEvT_jT0_jPNS7_10value_typeE.num_vgpr, 6
	.set _ZN7rocprim17ROCPRIM_400000_NS6detail31init_lookback_scan_state_kernelINS1_19lookback_scan_stateIjLb0ELb1EEENS1_16block_id_wrapperIjLb0EEEEEvT_jT0_jPNS7_10value_typeE.num_agpr, 0
	.set _ZN7rocprim17ROCPRIM_400000_NS6detail31init_lookback_scan_state_kernelINS1_19lookback_scan_stateIjLb0ELb1EEENS1_16block_id_wrapperIjLb0EEEEEvT_jT0_jPNS7_10value_typeE.numbered_sgpr, 9
	.set _ZN7rocprim17ROCPRIM_400000_NS6detail31init_lookback_scan_state_kernelINS1_19lookback_scan_stateIjLb0ELb1EEENS1_16block_id_wrapperIjLb0EEEEEvT_jT0_jPNS7_10value_typeE.num_named_barrier, 0
	.set _ZN7rocprim17ROCPRIM_400000_NS6detail31init_lookback_scan_state_kernelINS1_19lookback_scan_stateIjLb0ELb1EEENS1_16block_id_wrapperIjLb0EEEEEvT_jT0_jPNS7_10value_typeE.private_seg_size, 0
	.set _ZN7rocprim17ROCPRIM_400000_NS6detail31init_lookback_scan_state_kernelINS1_19lookback_scan_stateIjLb0ELb1EEENS1_16block_id_wrapperIjLb0EEEEEvT_jT0_jPNS7_10value_typeE.uses_vcc, 1
	.set _ZN7rocprim17ROCPRIM_400000_NS6detail31init_lookback_scan_state_kernelINS1_19lookback_scan_stateIjLb0ELb1EEENS1_16block_id_wrapperIjLb0EEEEEvT_jT0_jPNS7_10value_typeE.uses_flat_scratch, 0
	.set _ZN7rocprim17ROCPRIM_400000_NS6detail31init_lookback_scan_state_kernelINS1_19lookback_scan_stateIjLb0ELb1EEENS1_16block_id_wrapperIjLb0EEEEEvT_jT0_jPNS7_10value_typeE.has_dyn_sized_stack, 0
	.set _ZN7rocprim17ROCPRIM_400000_NS6detail31init_lookback_scan_state_kernelINS1_19lookback_scan_stateIjLb0ELb1EEENS1_16block_id_wrapperIjLb0EEEEEvT_jT0_jPNS7_10value_typeE.has_recursion, 0
	.set _ZN7rocprim17ROCPRIM_400000_NS6detail31init_lookback_scan_state_kernelINS1_19lookback_scan_stateIjLb0ELb1EEENS1_16block_id_wrapperIjLb0EEEEEvT_jT0_jPNS7_10value_typeE.has_indirect_call, 0
	.section	.AMDGPU.csdata,"",@progbits
; Kernel info:
; codeLenInByte = 324
; TotalNumSgprs: 13
; NumVgprs: 6
; ScratchSize: 0
; MemoryBound: 0
; FloatMode: 240
; IeeeMode: 1
; LDSByteSize: 0 bytes/workgroup (compile time only)
; SGPRBlocks: 1
; VGPRBlocks: 1
; NumSGPRsForWavesPerEU: 13
; NumVGPRsForWavesPerEU: 6
; Occupancy: 10
; WaveLimiterHint : 0
; COMPUTE_PGM_RSRC2:SCRATCH_EN: 0
; COMPUTE_PGM_RSRC2:USER_SGPR: 6
; COMPUTE_PGM_RSRC2:TRAP_HANDLER: 0
; COMPUTE_PGM_RSRC2:TGID_X_EN: 1
; COMPUTE_PGM_RSRC2:TGID_Y_EN: 0
; COMPUTE_PGM_RSRC2:TGID_Z_EN: 0
; COMPUTE_PGM_RSRC2:TIDIG_COMP_CNT: 0
	.section	.text._ZN7rocprim17ROCPRIM_400000_NS6detail17trampoline_kernelINS0_13select_configILj256ELj13ELNS0_17block_load_methodE3ELS4_3ELS4_3ELNS0_20block_scan_algorithmE0ELj4294967295EEENS1_25partition_config_selectorILNS1_17partition_subalgoE3EjNS0_10empty_typeEbEEZZNS1_14partition_implILS8_3ELb0ES6_jNS0_17counting_iteratorIjlEEPS9_SE_NS0_5tupleIJPjSE_EEENSF_IJSE_SE_EEES9_SG_JZNS1_25segmented_radix_sort_implINS0_14default_configELb1EPKhPhPKlPlN2at6native12_GLOBAL__N_18offset_tEEE10hipError_tPvRmT1_PNSt15iterator_traitsISY_E10value_typeET2_T3_PNSZ_IS14_E10value_typeET4_jRbjT5_S1A_jjP12ihipStream_tbEUljE_EEESV_SW_SX_S14_S18_S1A_T6_T7_T9_mT8_S1C_bDpT10_ENKUlT_T0_E_clISt17integral_constantIbLb0EES1P_EEDaS1K_S1L_EUlS1K_E_NS1_11comp_targetILNS1_3genE0ELNS1_11target_archE4294967295ELNS1_3gpuE0ELNS1_3repE0EEENS1_30default_config_static_selectorELNS0_4arch9wavefront6targetE1EEEvSY_,"axG",@progbits,_ZN7rocprim17ROCPRIM_400000_NS6detail17trampoline_kernelINS0_13select_configILj256ELj13ELNS0_17block_load_methodE3ELS4_3ELS4_3ELNS0_20block_scan_algorithmE0ELj4294967295EEENS1_25partition_config_selectorILNS1_17partition_subalgoE3EjNS0_10empty_typeEbEEZZNS1_14partition_implILS8_3ELb0ES6_jNS0_17counting_iteratorIjlEEPS9_SE_NS0_5tupleIJPjSE_EEENSF_IJSE_SE_EEES9_SG_JZNS1_25segmented_radix_sort_implINS0_14default_configELb1EPKhPhPKlPlN2at6native12_GLOBAL__N_18offset_tEEE10hipError_tPvRmT1_PNSt15iterator_traitsISY_E10value_typeET2_T3_PNSZ_IS14_E10value_typeET4_jRbjT5_S1A_jjP12ihipStream_tbEUljE_EEESV_SW_SX_S14_S18_S1A_T6_T7_T9_mT8_S1C_bDpT10_ENKUlT_T0_E_clISt17integral_constantIbLb0EES1P_EEDaS1K_S1L_EUlS1K_E_NS1_11comp_targetILNS1_3genE0ELNS1_11target_archE4294967295ELNS1_3gpuE0ELNS1_3repE0EEENS1_30default_config_static_selectorELNS0_4arch9wavefront6targetE1EEEvSY_,comdat
	.globl	_ZN7rocprim17ROCPRIM_400000_NS6detail17trampoline_kernelINS0_13select_configILj256ELj13ELNS0_17block_load_methodE3ELS4_3ELS4_3ELNS0_20block_scan_algorithmE0ELj4294967295EEENS1_25partition_config_selectorILNS1_17partition_subalgoE3EjNS0_10empty_typeEbEEZZNS1_14partition_implILS8_3ELb0ES6_jNS0_17counting_iteratorIjlEEPS9_SE_NS0_5tupleIJPjSE_EEENSF_IJSE_SE_EEES9_SG_JZNS1_25segmented_radix_sort_implINS0_14default_configELb1EPKhPhPKlPlN2at6native12_GLOBAL__N_18offset_tEEE10hipError_tPvRmT1_PNSt15iterator_traitsISY_E10value_typeET2_T3_PNSZ_IS14_E10value_typeET4_jRbjT5_S1A_jjP12ihipStream_tbEUljE_EEESV_SW_SX_S14_S18_S1A_T6_T7_T9_mT8_S1C_bDpT10_ENKUlT_T0_E_clISt17integral_constantIbLb0EES1P_EEDaS1K_S1L_EUlS1K_E_NS1_11comp_targetILNS1_3genE0ELNS1_11target_archE4294967295ELNS1_3gpuE0ELNS1_3repE0EEENS1_30default_config_static_selectorELNS0_4arch9wavefront6targetE1EEEvSY_ ; -- Begin function _ZN7rocprim17ROCPRIM_400000_NS6detail17trampoline_kernelINS0_13select_configILj256ELj13ELNS0_17block_load_methodE3ELS4_3ELS4_3ELNS0_20block_scan_algorithmE0ELj4294967295EEENS1_25partition_config_selectorILNS1_17partition_subalgoE3EjNS0_10empty_typeEbEEZZNS1_14partition_implILS8_3ELb0ES6_jNS0_17counting_iteratorIjlEEPS9_SE_NS0_5tupleIJPjSE_EEENSF_IJSE_SE_EEES9_SG_JZNS1_25segmented_radix_sort_implINS0_14default_configELb1EPKhPhPKlPlN2at6native12_GLOBAL__N_18offset_tEEE10hipError_tPvRmT1_PNSt15iterator_traitsISY_E10value_typeET2_T3_PNSZ_IS14_E10value_typeET4_jRbjT5_S1A_jjP12ihipStream_tbEUljE_EEESV_SW_SX_S14_S18_S1A_T6_T7_T9_mT8_S1C_bDpT10_ENKUlT_T0_E_clISt17integral_constantIbLb0EES1P_EEDaS1K_S1L_EUlS1K_E_NS1_11comp_targetILNS1_3genE0ELNS1_11target_archE4294967295ELNS1_3gpuE0ELNS1_3repE0EEENS1_30default_config_static_selectorELNS0_4arch9wavefront6targetE1EEEvSY_
	.p2align	8
	.type	_ZN7rocprim17ROCPRIM_400000_NS6detail17trampoline_kernelINS0_13select_configILj256ELj13ELNS0_17block_load_methodE3ELS4_3ELS4_3ELNS0_20block_scan_algorithmE0ELj4294967295EEENS1_25partition_config_selectorILNS1_17partition_subalgoE3EjNS0_10empty_typeEbEEZZNS1_14partition_implILS8_3ELb0ES6_jNS0_17counting_iteratorIjlEEPS9_SE_NS0_5tupleIJPjSE_EEENSF_IJSE_SE_EEES9_SG_JZNS1_25segmented_radix_sort_implINS0_14default_configELb1EPKhPhPKlPlN2at6native12_GLOBAL__N_18offset_tEEE10hipError_tPvRmT1_PNSt15iterator_traitsISY_E10value_typeET2_T3_PNSZ_IS14_E10value_typeET4_jRbjT5_S1A_jjP12ihipStream_tbEUljE_EEESV_SW_SX_S14_S18_S1A_T6_T7_T9_mT8_S1C_bDpT10_ENKUlT_T0_E_clISt17integral_constantIbLb0EES1P_EEDaS1K_S1L_EUlS1K_E_NS1_11comp_targetILNS1_3genE0ELNS1_11target_archE4294967295ELNS1_3gpuE0ELNS1_3repE0EEENS1_30default_config_static_selectorELNS0_4arch9wavefront6targetE1EEEvSY_,@function
_ZN7rocprim17ROCPRIM_400000_NS6detail17trampoline_kernelINS0_13select_configILj256ELj13ELNS0_17block_load_methodE3ELS4_3ELS4_3ELNS0_20block_scan_algorithmE0ELj4294967295EEENS1_25partition_config_selectorILNS1_17partition_subalgoE3EjNS0_10empty_typeEbEEZZNS1_14partition_implILS8_3ELb0ES6_jNS0_17counting_iteratorIjlEEPS9_SE_NS0_5tupleIJPjSE_EEENSF_IJSE_SE_EEES9_SG_JZNS1_25segmented_radix_sort_implINS0_14default_configELb1EPKhPhPKlPlN2at6native12_GLOBAL__N_18offset_tEEE10hipError_tPvRmT1_PNSt15iterator_traitsISY_E10value_typeET2_T3_PNSZ_IS14_E10value_typeET4_jRbjT5_S1A_jjP12ihipStream_tbEUljE_EEESV_SW_SX_S14_S18_S1A_T6_T7_T9_mT8_S1C_bDpT10_ENKUlT_T0_E_clISt17integral_constantIbLb0EES1P_EEDaS1K_S1L_EUlS1K_E_NS1_11comp_targetILNS1_3genE0ELNS1_11target_archE4294967295ELNS1_3gpuE0ELNS1_3repE0EEENS1_30default_config_static_selectorELNS0_4arch9wavefront6targetE1EEEvSY_: ; @_ZN7rocprim17ROCPRIM_400000_NS6detail17trampoline_kernelINS0_13select_configILj256ELj13ELNS0_17block_load_methodE3ELS4_3ELS4_3ELNS0_20block_scan_algorithmE0ELj4294967295EEENS1_25partition_config_selectorILNS1_17partition_subalgoE3EjNS0_10empty_typeEbEEZZNS1_14partition_implILS8_3ELb0ES6_jNS0_17counting_iteratorIjlEEPS9_SE_NS0_5tupleIJPjSE_EEENSF_IJSE_SE_EEES9_SG_JZNS1_25segmented_radix_sort_implINS0_14default_configELb1EPKhPhPKlPlN2at6native12_GLOBAL__N_18offset_tEEE10hipError_tPvRmT1_PNSt15iterator_traitsISY_E10value_typeET2_T3_PNSZ_IS14_E10value_typeET4_jRbjT5_S1A_jjP12ihipStream_tbEUljE_EEESV_SW_SX_S14_S18_S1A_T6_T7_T9_mT8_S1C_bDpT10_ENKUlT_T0_E_clISt17integral_constantIbLb0EES1P_EEDaS1K_S1L_EUlS1K_E_NS1_11comp_targetILNS1_3genE0ELNS1_11target_archE4294967295ELNS1_3gpuE0ELNS1_3repE0EEENS1_30default_config_static_selectorELNS0_4arch9wavefront6targetE1EEEvSY_
; %bb.0:
	.section	.rodata,"a",@progbits
	.p2align	6, 0x0
	.amdhsa_kernel _ZN7rocprim17ROCPRIM_400000_NS6detail17trampoline_kernelINS0_13select_configILj256ELj13ELNS0_17block_load_methodE3ELS4_3ELS4_3ELNS0_20block_scan_algorithmE0ELj4294967295EEENS1_25partition_config_selectorILNS1_17partition_subalgoE3EjNS0_10empty_typeEbEEZZNS1_14partition_implILS8_3ELb0ES6_jNS0_17counting_iteratorIjlEEPS9_SE_NS0_5tupleIJPjSE_EEENSF_IJSE_SE_EEES9_SG_JZNS1_25segmented_radix_sort_implINS0_14default_configELb1EPKhPhPKlPlN2at6native12_GLOBAL__N_18offset_tEEE10hipError_tPvRmT1_PNSt15iterator_traitsISY_E10value_typeET2_T3_PNSZ_IS14_E10value_typeET4_jRbjT5_S1A_jjP12ihipStream_tbEUljE_EEESV_SW_SX_S14_S18_S1A_T6_T7_T9_mT8_S1C_bDpT10_ENKUlT_T0_E_clISt17integral_constantIbLb0EES1P_EEDaS1K_S1L_EUlS1K_E_NS1_11comp_targetILNS1_3genE0ELNS1_11target_archE4294967295ELNS1_3gpuE0ELNS1_3repE0EEENS1_30default_config_static_selectorELNS0_4arch9wavefront6targetE1EEEvSY_
		.amdhsa_group_segment_fixed_size 0
		.amdhsa_private_segment_fixed_size 0
		.amdhsa_kernarg_size 144
		.amdhsa_user_sgpr_count 6
		.amdhsa_user_sgpr_private_segment_buffer 1
		.amdhsa_user_sgpr_dispatch_ptr 0
		.amdhsa_user_sgpr_queue_ptr 0
		.amdhsa_user_sgpr_kernarg_segment_ptr 1
		.amdhsa_user_sgpr_dispatch_id 0
		.amdhsa_user_sgpr_flat_scratch_init 0
		.amdhsa_user_sgpr_private_segment_size 0
		.amdhsa_uses_dynamic_stack 0
		.amdhsa_system_sgpr_private_segment_wavefront_offset 0
		.amdhsa_system_sgpr_workgroup_id_x 1
		.amdhsa_system_sgpr_workgroup_id_y 0
		.amdhsa_system_sgpr_workgroup_id_z 0
		.amdhsa_system_sgpr_workgroup_info 0
		.amdhsa_system_vgpr_workitem_id 0
		.amdhsa_next_free_vgpr 1
		.amdhsa_next_free_sgpr 0
		.amdhsa_reserve_vcc 0
		.amdhsa_reserve_flat_scratch 0
		.amdhsa_float_round_mode_32 0
		.amdhsa_float_round_mode_16_64 0
		.amdhsa_float_denorm_mode_32 3
		.amdhsa_float_denorm_mode_16_64 3
		.amdhsa_dx10_clamp 1
		.amdhsa_ieee_mode 1
		.amdhsa_fp16_overflow 0
		.amdhsa_exception_fp_ieee_invalid_op 0
		.amdhsa_exception_fp_denorm_src 0
		.amdhsa_exception_fp_ieee_div_zero 0
		.amdhsa_exception_fp_ieee_overflow 0
		.amdhsa_exception_fp_ieee_underflow 0
		.amdhsa_exception_fp_ieee_inexact 0
		.amdhsa_exception_int_div_zero 0
	.end_amdhsa_kernel
	.section	.text._ZN7rocprim17ROCPRIM_400000_NS6detail17trampoline_kernelINS0_13select_configILj256ELj13ELNS0_17block_load_methodE3ELS4_3ELS4_3ELNS0_20block_scan_algorithmE0ELj4294967295EEENS1_25partition_config_selectorILNS1_17partition_subalgoE3EjNS0_10empty_typeEbEEZZNS1_14partition_implILS8_3ELb0ES6_jNS0_17counting_iteratorIjlEEPS9_SE_NS0_5tupleIJPjSE_EEENSF_IJSE_SE_EEES9_SG_JZNS1_25segmented_radix_sort_implINS0_14default_configELb1EPKhPhPKlPlN2at6native12_GLOBAL__N_18offset_tEEE10hipError_tPvRmT1_PNSt15iterator_traitsISY_E10value_typeET2_T3_PNSZ_IS14_E10value_typeET4_jRbjT5_S1A_jjP12ihipStream_tbEUljE_EEESV_SW_SX_S14_S18_S1A_T6_T7_T9_mT8_S1C_bDpT10_ENKUlT_T0_E_clISt17integral_constantIbLb0EES1P_EEDaS1K_S1L_EUlS1K_E_NS1_11comp_targetILNS1_3genE0ELNS1_11target_archE4294967295ELNS1_3gpuE0ELNS1_3repE0EEENS1_30default_config_static_selectorELNS0_4arch9wavefront6targetE1EEEvSY_,"axG",@progbits,_ZN7rocprim17ROCPRIM_400000_NS6detail17trampoline_kernelINS0_13select_configILj256ELj13ELNS0_17block_load_methodE3ELS4_3ELS4_3ELNS0_20block_scan_algorithmE0ELj4294967295EEENS1_25partition_config_selectorILNS1_17partition_subalgoE3EjNS0_10empty_typeEbEEZZNS1_14partition_implILS8_3ELb0ES6_jNS0_17counting_iteratorIjlEEPS9_SE_NS0_5tupleIJPjSE_EEENSF_IJSE_SE_EEES9_SG_JZNS1_25segmented_radix_sort_implINS0_14default_configELb1EPKhPhPKlPlN2at6native12_GLOBAL__N_18offset_tEEE10hipError_tPvRmT1_PNSt15iterator_traitsISY_E10value_typeET2_T3_PNSZ_IS14_E10value_typeET4_jRbjT5_S1A_jjP12ihipStream_tbEUljE_EEESV_SW_SX_S14_S18_S1A_T6_T7_T9_mT8_S1C_bDpT10_ENKUlT_T0_E_clISt17integral_constantIbLb0EES1P_EEDaS1K_S1L_EUlS1K_E_NS1_11comp_targetILNS1_3genE0ELNS1_11target_archE4294967295ELNS1_3gpuE0ELNS1_3repE0EEENS1_30default_config_static_selectorELNS0_4arch9wavefront6targetE1EEEvSY_,comdat
.Lfunc_end48:
	.size	_ZN7rocprim17ROCPRIM_400000_NS6detail17trampoline_kernelINS0_13select_configILj256ELj13ELNS0_17block_load_methodE3ELS4_3ELS4_3ELNS0_20block_scan_algorithmE0ELj4294967295EEENS1_25partition_config_selectorILNS1_17partition_subalgoE3EjNS0_10empty_typeEbEEZZNS1_14partition_implILS8_3ELb0ES6_jNS0_17counting_iteratorIjlEEPS9_SE_NS0_5tupleIJPjSE_EEENSF_IJSE_SE_EEES9_SG_JZNS1_25segmented_radix_sort_implINS0_14default_configELb1EPKhPhPKlPlN2at6native12_GLOBAL__N_18offset_tEEE10hipError_tPvRmT1_PNSt15iterator_traitsISY_E10value_typeET2_T3_PNSZ_IS14_E10value_typeET4_jRbjT5_S1A_jjP12ihipStream_tbEUljE_EEESV_SW_SX_S14_S18_S1A_T6_T7_T9_mT8_S1C_bDpT10_ENKUlT_T0_E_clISt17integral_constantIbLb0EES1P_EEDaS1K_S1L_EUlS1K_E_NS1_11comp_targetILNS1_3genE0ELNS1_11target_archE4294967295ELNS1_3gpuE0ELNS1_3repE0EEENS1_30default_config_static_selectorELNS0_4arch9wavefront6targetE1EEEvSY_, .Lfunc_end48-_ZN7rocprim17ROCPRIM_400000_NS6detail17trampoline_kernelINS0_13select_configILj256ELj13ELNS0_17block_load_methodE3ELS4_3ELS4_3ELNS0_20block_scan_algorithmE0ELj4294967295EEENS1_25partition_config_selectorILNS1_17partition_subalgoE3EjNS0_10empty_typeEbEEZZNS1_14partition_implILS8_3ELb0ES6_jNS0_17counting_iteratorIjlEEPS9_SE_NS0_5tupleIJPjSE_EEENSF_IJSE_SE_EEES9_SG_JZNS1_25segmented_radix_sort_implINS0_14default_configELb1EPKhPhPKlPlN2at6native12_GLOBAL__N_18offset_tEEE10hipError_tPvRmT1_PNSt15iterator_traitsISY_E10value_typeET2_T3_PNSZ_IS14_E10value_typeET4_jRbjT5_S1A_jjP12ihipStream_tbEUljE_EEESV_SW_SX_S14_S18_S1A_T6_T7_T9_mT8_S1C_bDpT10_ENKUlT_T0_E_clISt17integral_constantIbLb0EES1P_EEDaS1K_S1L_EUlS1K_E_NS1_11comp_targetILNS1_3genE0ELNS1_11target_archE4294967295ELNS1_3gpuE0ELNS1_3repE0EEENS1_30default_config_static_selectorELNS0_4arch9wavefront6targetE1EEEvSY_
                                        ; -- End function
	.set _ZN7rocprim17ROCPRIM_400000_NS6detail17trampoline_kernelINS0_13select_configILj256ELj13ELNS0_17block_load_methodE3ELS4_3ELS4_3ELNS0_20block_scan_algorithmE0ELj4294967295EEENS1_25partition_config_selectorILNS1_17partition_subalgoE3EjNS0_10empty_typeEbEEZZNS1_14partition_implILS8_3ELb0ES6_jNS0_17counting_iteratorIjlEEPS9_SE_NS0_5tupleIJPjSE_EEENSF_IJSE_SE_EEES9_SG_JZNS1_25segmented_radix_sort_implINS0_14default_configELb1EPKhPhPKlPlN2at6native12_GLOBAL__N_18offset_tEEE10hipError_tPvRmT1_PNSt15iterator_traitsISY_E10value_typeET2_T3_PNSZ_IS14_E10value_typeET4_jRbjT5_S1A_jjP12ihipStream_tbEUljE_EEESV_SW_SX_S14_S18_S1A_T6_T7_T9_mT8_S1C_bDpT10_ENKUlT_T0_E_clISt17integral_constantIbLb0EES1P_EEDaS1K_S1L_EUlS1K_E_NS1_11comp_targetILNS1_3genE0ELNS1_11target_archE4294967295ELNS1_3gpuE0ELNS1_3repE0EEENS1_30default_config_static_selectorELNS0_4arch9wavefront6targetE1EEEvSY_.num_vgpr, 0
	.set _ZN7rocprim17ROCPRIM_400000_NS6detail17trampoline_kernelINS0_13select_configILj256ELj13ELNS0_17block_load_methodE3ELS4_3ELS4_3ELNS0_20block_scan_algorithmE0ELj4294967295EEENS1_25partition_config_selectorILNS1_17partition_subalgoE3EjNS0_10empty_typeEbEEZZNS1_14partition_implILS8_3ELb0ES6_jNS0_17counting_iteratorIjlEEPS9_SE_NS0_5tupleIJPjSE_EEENSF_IJSE_SE_EEES9_SG_JZNS1_25segmented_radix_sort_implINS0_14default_configELb1EPKhPhPKlPlN2at6native12_GLOBAL__N_18offset_tEEE10hipError_tPvRmT1_PNSt15iterator_traitsISY_E10value_typeET2_T3_PNSZ_IS14_E10value_typeET4_jRbjT5_S1A_jjP12ihipStream_tbEUljE_EEESV_SW_SX_S14_S18_S1A_T6_T7_T9_mT8_S1C_bDpT10_ENKUlT_T0_E_clISt17integral_constantIbLb0EES1P_EEDaS1K_S1L_EUlS1K_E_NS1_11comp_targetILNS1_3genE0ELNS1_11target_archE4294967295ELNS1_3gpuE0ELNS1_3repE0EEENS1_30default_config_static_selectorELNS0_4arch9wavefront6targetE1EEEvSY_.num_agpr, 0
	.set _ZN7rocprim17ROCPRIM_400000_NS6detail17trampoline_kernelINS0_13select_configILj256ELj13ELNS0_17block_load_methodE3ELS4_3ELS4_3ELNS0_20block_scan_algorithmE0ELj4294967295EEENS1_25partition_config_selectorILNS1_17partition_subalgoE3EjNS0_10empty_typeEbEEZZNS1_14partition_implILS8_3ELb0ES6_jNS0_17counting_iteratorIjlEEPS9_SE_NS0_5tupleIJPjSE_EEENSF_IJSE_SE_EEES9_SG_JZNS1_25segmented_radix_sort_implINS0_14default_configELb1EPKhPhPKlPlN2at6native12_GLOBAL__N_18offset_tEEE10hipError_tPvRmT1_PNSt15iterator_traitsISY_E10value_typeET2_T3_PNSZ_IS14_E10value_typeET4_jRbjT5_S1A_jjP12ihipStream_tbEUljE_EEESV_SW_SX_S14_S18_S1A_T6_T7_T9_mT8_S1C_bDpT10_ENKUlT_T0_E_clISt17integral_constantIbLb0EES1P_EEDaS1K_S1L_EUlS1K_E_NS1_11comp_targetILNS1_3genE0ELNS1_11target_archE4294967295ELNS1_3gpuE0ELNS1_3repE0EEENS1_30default_config_static_selectorELNS0_4arch9wavefront6targetE1EEEvSY_.numbered_sgpr, 0
	.set _ZN7rocprim17ROCPRIM_400000_NS6detail17trampoline_kernelINS0_13select_configILj256ELj13ELNS0_17block_load_methodE3ELS4_3ELS4_3ELNS0_20block_scan_algorithmE0ELj4294967295EEENS1_25partition_config_selectorILNS1_17partition_subalgoE3EjNS0_10empty_typeEbEEZZNS1_14partition_implILS8_3ELb0ES6_jNS0_17counting_iteratorIjlEEPS9_SE_NS0_5tupleIJPjSE_EEENSF_IJSE_SE_EEES9_SG_JZNS1_25segmented_radix_sort_implINS0_14default_configELb1EPKhPhPKlPlN2at6native12_GLOBAL__N_18offset_tEEE10hipError_tPvRmT1_PNSt15iterator_traitsISY_E10value_typeET2_T3_PNSZ_IS14_E10value_typeET4_jRbjT5_S1A_jjP12ihipStream_tbEUljE_EEESV_SW_SX_S14_S18_S1A_T6_T7_T9_mT8_S1C_bDpT10_ENKUlT_T0_E_clISt17integral_constantIbLb0EES1P_EEDaS1K_S1L_EUlS1K_E_NS1_11comp_targetILNS1_3genE0ELNS1_11target_archE4294967295ELNS1_3gpuE0ELNS1_3repE0EEENS1_30default_config_static_selectorELNS0_4arch9wavefront6targetE1EEEvSY_.num_named_barrier, 0
	.set _ZN7rocprim17ROCPRIM_400000_NS6detail17trampoline_kernelINS0_13select_configILj256ELj13ELNS0_17block_load_methodE3ELS4_3ELS4_3ELNS0_20block_scan_algorithmE0ELj4294967295EEENS1_25partition_config_selectorILNS1_17partition_subalgoE3EjNS0_10empty_typeEbEEZZNS1_14partition_implILS8_3ELb0ES6_jNS0_17counting_iteratorIjlEEPS9_SE_NS0_5tupleIJPjSE_EEENSF_IJSE_SE_EEES9_SG_JZNS1_25segmented_radix_sort_implINS0_14default_configELb1EPKhPhPKlPlN2at6native12_GLOBAL__N_18offset_tEEE10hipError_tPvRmT1_PNSt15iterator_traitsISY_E10value_typeET2_T3_PNSZ_IS14_E10value_typeET4_jRbjT5_S1A_jjP12ihipStream_tbEUljE_EEESV_SW_SX_S14_S18_S1A_T6_T7_T9_mT8_S1C_bDpT10_ENKUlT_T0_E_clISt17integral_constantIbLb0EES1P_EEDaS1K_S1L_EUlS1K_E_NS1_11comp_targetILNS1_3genE0ELNS1_11target_archE4294967295ELNS1_3gpuE0ELNS1_3repE0EEENS1_30default_config_static_selectorELNS0_4arch9wavefront6targetE1EEEvSY_.private_seg_size, 0
	.set _ZN7rocprim17ROCPRIM_400000_NS6detail17trampoline_kernelINS0_13select_configILj256ELj13ELNS0_17block_load_methodE3ELS4_3ELS4_3ELNS0_20block_scan_algorithmE0ELj4294967295EEENS1_25partition_config_selectorILNS1_17partition_subalgoE3EjNS0_10empty_typeEbEEZZNS1_14partition_implILS8_3ELb0ES6_jNS0_17counting_iteratorIjlEEPS9_SE_NS0_5tupleIJPjSE_EEENSF_IJSE_SE_EEES9_SG_JZNS1_25segmented_radix_sort_implINS0_14default_configELb1EPKhPhPKlPlN2at6native12_GLOBAL__N_18offset_tEEE10hipError_tPvRmT1_PNSt15iterator_traitsISY_E10value_typeET2_T3_PNSZ_IS14_E10value_typeET4_jRbjT5_S1A_jjP12ihipStream_tbEUljE_EEESV_SW_SX_S14_S18_S1A_T6_T7_T9_mT8_S1C_bDpT10_ENKUlT_T0_E_clISt17integral_constantIbLb0EES1P_EEDaS1K_S1L_EUlS1K_E_NS1_11comp_targetILNS1_3genE0ELNS1_11target_archE4294967295ELNS1_3gpuE0ELNS1_3repE0EEENS1_30default_config_static_selectorELNS0_4arch9wavefront6targetE1EEEvSY_.uses_vcc, 0
	.set _ZN7rocprim17ROCPRIM_400000_NS6detail17trampoline_kernelINS0_13select_configILj256ELj13ELNS0_17block_load_methodE3ELS4_3ELS4_3ELNS0_20block_scan_algorithmE0ELj4294967295EEENS1_25partition_config_selectorILNS1_17partition_subalgoE3EjNS0_10empty_typeEbEEZZNS1_14partition_implILS8_3ELb0ES6_jNS0_17counting_iteratorIjlEEPS9_SE_NS0_5tupleIJPjSE_EEENSF_IJSE_SE_EEES9_SG_JZNS1_25segmented_radix_sort_implINS0_14default_configELb1EPKhPhPKlPlN2at6native12_GLOBAL__N_18offset_tEEE10hipError_tPvRmT1_PNSt15iterator_traitsISY_E10value_typeET2_T3_PNSZ_IS14_E10value_typeET4_jRbjT5_S1A_jjP12ihipStream_tbEUljE_EEESV_SW_SX_S14_S18_S1A_T6_T7_T9_mT8_S1C_bDpT10_ENKUlT_T0_E_clISt17integral_constantIbLb0EES1P_EEDaS1K_S1L_EUlS1K_E_NS1_11comp_targetILNS1_3genE0ELNS1_11target_archE4294967295ELNS1_3gpuE0ELNS1_3repE0EEENS1_30default_config_static_selectorELNS0_4arch9wavefront6targetE1EEEvSY_.uses_flat_scratch, 0
	.set _ZN7rocprim17ROCPRIM_400000_NS6detail17trampoline_kernelINS0_13select_configILj256ELj13ELNS0_17block_load_methodE3ELS4_3ELS4_3ELNS0_20block_scan_algorithmE0ELj4294967295EEENS1_25partition_config_selectorILNS1_17partition_subalgoE3EjNS0_10empty_typeEbEEZZNS1_14partition_implILS8_3ELb0ES6_jNS0_17counting_iteratorIjlEEPS9_SE_NS0_5tupleIJPjSE_EEENSF_IJSE_SE_EEES9_SG_JZNS1_25segmented_radix_sort_implINS0_14default_configELb1EPKhPhPKlPlN2at6native12_GLOBAL__N_18offset_tEEE10hipError_tPvRmT1_PNSt15iterator_traitsISY_E10value_typeET2_T3_PNSZ_IS14_E10value_typeET4_jRbjT5_S1A_jjP12ihipStream_tbEUljE_EEESV_SW_SX_S14_S18_S1A_T6_T7_T9_mT8_S1C_bDpT10_ENKUlT_T0_E_clISt17integral_constantIbLb0EES1P_EEDaS1K_S1L_EUlS1K_E_NS1_11comp_targetILNS1_3genE0ELNS1_11target_archE4294967295ELNS1_3gpuE0ELNS1_3repE0EEENS1_30default_config_static_selectorELNS0_4arch9wavefront6targetE1EEEvSY_.has_dyn_sized_stack, 0
	.set _ZN7rocprim17ROCPRIM_400000_NS6detail17trampoline_kernelINS0_13select_configILj256ELj13ELNS0_17block_load_methodE3ELS4_3ELS4_3ELNS0_20block_scan_algorithmE0ELj4294967295EEENS1_25partition_config_selectorILNS1_17partition_subalgoE3EjNS0_10empty_typeEbEEZZNS1_14partition_implILS8_3ELb0ES6_jNS0_17counting_iteratorIjlEEPS9_SE_NS0_5tupleIJPjSE_EEENSF_IJSE_SE_EEES9_SG_JZNS1_25segmented_radix_sort_implINS0_14default_configELb1EPKhPhPKlPlN2at6native12_GLOBAL__N_18offset_tEEE10hipError_tPvRmT1_PNSt15iterator_traitsISY_E10value_typeET2_T3_PNSZ_IS14_E10value_typeET4_jRbjT5_S1A_jjP12ihipStream_tbEUljE_EEESV_SW_SX_S14_S18_S1A_T6_T7_T9_mT8_S1C_bDpT10_ENKUlT_T0_E_clISt17integral_constantIbLb0EES1P_EEDaS1K_S1L_EUlS1K_E_NS1_11comp_targetILNS1_3genE0ELNS1_11target_archE4294967295ELNS1_3gpuE0ELNS1_3repE0EEENS1_30default_config_static_selectorELNS0_4arch9wavefront6targetE1EEEvSY_.has_recursion, 0
	.set _ZN7rocprim17ROCPRIM_400000_NS6detail17trampoline_kernelINS0_13select_configILj256ELj13ELNS0_17block_load_methodE3ELS4_3ELS4_3ELNS0_20block_scan_algorithmE0ELj4294967295EEENS1_25partition_config_selectorILNS1_17partition_subalgoE3EjNS0_10empty_typeEbEEZZNS1_14partition_implILS8_3ELb0ES6_jNS0_17counting_iteratorIjlEEPS9_SE_NS0_5tupleIJPjSE_EEENSF_IJSE_SE_EEES9_SG_JZNS1_25segmented_radix_sort_implINS0_14default_configELb1EPKhPhPKlPlN2at6native12_GLOBAL__N_18offset_tEEE10hipError_tPvRmT1_PNSt15iterator_traitsISY_E10value_typeET2_T3_PNSZ_IS14_E10value_typeET4_jRbjT5_S1A_jjP12ihipStream_tbEUljE_EEESV_SW_SX_S14_S18_S1A_T6_T7_T9_mT8_S1C_bDpT10_ENKUlT_T0_E_clISt17integral_constantIbLb0EES1P_EEDaS1K_S1L_EUlS1K_E_NS1_11comp_targetILNS1_3genE0ELNS1_11target_archE4294967295ELNS1_3gpuE0ELNS1_3repE0EEENS1_30default_config_static_selectorELNS0_4arch9wavefront6targetE1EEEvSY_.has_indirect_call, 0
	.section	.AMDGPU.csdata,"",@progbits
; Kernel info:
; codeLenInByte = 0
; TotalNumSgprs: 4
; NumVgprs: 0
; ScratchSize: 0
; MemoryBound: 0
; FloatMode: 240
; IeeeMode: 1
; LDSByteSize: 0 bytes/workgroup (compile time only)
; SGPRBlocks: 0
; VGPRBlocks: 0
; NumSGPRsForWavesPerEU: 4
; NumVGPRsForWavesPerEU: 1
; Occupancy: 10
; WaveLimiterHint : 0
; COMPUTE_PGM_RSRC2:SCRATCH_EN: 0
; COMPUTE_PGM_RSRC2:USER_SGPR: 6
; COMPUTE_PGM_RSRC2:TRAP_HANDLER: 0
; COMPUTE_PGM_RSRC2:TGID_X_EN: 1
; COMPUTE_PGM_RSRC2:TGID_Y_EN: 0
; COMPUTE_PGM_RSRC2:TGID_Z_EN: 0
; COMPUTE_PGM_RSRC2:TIDIG_COMP_CNT: 0
	.section	.text._ZN7rocprim17ROCPRIM_400000_NS6detail17trampoline_kernelINS0_13select_configILj256ELj13ELNS0_17block_load_methodE3ELS4_3ELS4_3ELNS0_20block_scan_algorithmE0ELj4294967295EEENS1_25partition_config_selectorILNS1_17partition_subalgoE3EjNS0_10empty_typeEbEEZZNS1_14partition_implILS8_3ELb0ES6_jNS0_17counting_iteratorIjlEEPS9_SE_NS0_5tupleIJPjSE_EEENSF_IJSE_SE_EEES9_SG_JZNS1_25segmented_radix_sort_implINS0_14default_configELb1EPKhPhPKlPlN2at6native12_GLOBAL__N_18offset_tEEE10hipError_tPvRmT1_PNSt15iterator_traitsISY_E10value_typeET2_T3_PNSZ_IS14_E10value_typeET4_jRbjT5_S1A_jjP12ihipStream_tbEUljE_EEESV_SW_SX_S14_S18_S1A_T6_T7_T9_mT8_S1C_bDpT10_ENKUlT_T0_E_clISt17integral_constantIbLb0EES1P_EEDaS1K_S1L_EUlS1K_E_NS1_11comp_targetILNS1_3genE5ELNS1_11target_archE942ELNS1_3gpuE9ELNS1_3repE0EEENS1_30default_config_static_selectorELNS0_4arch9wavefront6targetE1EEEvSY_,"axG",@progbits,_ZN7rocprim17ROCPRIM_400000_NS6detail17trampoline_kernelINS0_13select_configILj256ELj13ELNS0_17block_load_methodE3ELS4_3ELS4_3ELNS0_20block_scan_algorithmE0ELj4294967295EEENS1_25partition_config_selectorILNS1_17partition_subalgoE3EjNS0_10empty_typeEbEEZZNS1_14partition_implILS8_3ELb0ES6_jNS0_17counting_iteratorIjlEEPS9_SE_NS0_5tupleIJPjSE_EEENSF_IJSE_SE_EEES9_SG_JZNS1_25segmented_radix_sort_implINS0_14default_configELb1EPKhPhPKlPlN2at6native12_GLOBAL__N_18offset_tEEE10hipError_tPvRmT1_PNSt15iterator_traitsISY_E10value_typeET2_T3_PNSZ_IS14_E10value_typeET4_jRbjT5_S1A_jjP12ihipStream_tbEUljE_EEESV_SW_SX_S14_S18_S1A_T6_T7_T9_mT8_S1C_bDpT10_ENKUlT_T0_E_clISt17integral_constantIbLb0EES1P_EEDaS1K_S1L_EUlS1K_E_NS1_11comp_targetILNS1_3genE5ELNS1_11target_archE942ELNS1_3gpuE9ELNS1_3repE0EEENS1_30default_config_static_selectorELNS0_4arch9wavefront6targetE1EEEvSY_,comdat
	.globl	_ZN7rocprim17ROCPRIM_400000_NS6detail17trampoline_kernelINS0_13select_configILj256ELj13ELNS0_17block_load_methodE3ELS4_3ELS4_3ELNS0_20block_scan_algorithmE0ELj4294967295EEENS1_25partition_config_selectorILNS1_17partition_subalgoE3EjNS0_10empty_typeEbEEZZNS1_14partition_implILS8_3ELb0ES6_jNS0_17counting_iteratorIjlEEPS9_SE_NS0_5tupleIJPjSE_EEENSF_IJSE_SE_EEES9_SG_JZNS1_25segmented_radix_sort_implINS0_14default_configELb1EPKhPhPKlPlN2at6native12_GLOBAL__N_18offset_tEEE10hipError_tPvRmT1_PNSt15iterator_traitsISY_E10value_typeET2_T3_PNSZ_IS14_E10value_typeET4_jRbjT5_S1A_jjP12ihipStream_tbEUljE_EEESV_SW_SX_S14_S18_S1A_T6_T7_T9_mT8_S1C_bDpT10_ENKUlT_T0_E_clISt17integral_constantIbLb0EES1P_EEDaS1K_S1L_EUlS1K_E_NS1_11comp_targetILNS1_3genE5ELNS1_11target_archE942ELNS1_3gpuE9ELNS1_3repE0EEENS1_30default_config_static_selectorELNS0_4arch9wavefront6targetE1EEEvSY_ ; -- Begin function _ZN7rocprim17ROCPRIM_400000_NS6detail17trampoline_kernelINS0_13select_configILj256ELj13ELNS0_17block_load_methodE3ELS4_3ELS4_3ELNS0_20block_scan_algorithmE0ELj4294967295EEENS1_25partition_config_selectorILNS1_17partition_subalgoE3EjNS0_10empty_typeEbEEZZNS1_14partition_implILS8_3ELb0ES6_jNS0_17counting_iteratorIjlEEPS9_SE_NS0_5tupleIJPjSE_EEENSF_IJSE_SE_EEES9_SG_JZNS1_25segmented_radix_sort_implINS0_14default_configELb1EPKhPhPKlPlN2at6native12_GLOBAL__N_18offset_tEEE10hipError_tPvRmT1_PNSt15iterator_traitsISY_E10value_typeET2_T3_PNSZ_IS14_E10value_typeET4_jRbjT5_S1A_jjP12ihipStream_tbEUljE_EEESV_SW_SX_S14_S18_S1A_T6_T7_T9_mT8_S1C_bDpT10_ENKUlT_T0_E_clISt17integral_constantIbLb0EES1P_EEDaS1K_S1L_EUlS1K_E_NS1_11comp_targetILNS1_3genE5ELNS1_11target_archE942ELNS1_3gpuE9ELNS1_3repE0EEENS1_30default_config_static_selectorELNS0_4arch9wavefront6targetE1EEEvSY_
	.p2align	8
	.type	_ZN7rocprim17ROCPRIM_400000_NS6detail17trampoline_kernelINS0_13select_configILj256ELj13ELNS0_17block_load_methodE3ELS4_3ELS4_3ELNS0_20block_scan_algorithmE0ELj4294967295EEENS1_25partition_config_selectorILNS1_17partition_subalgoE3EjNS0_10empty_typeEbEEZZNS1_14partition_implILS8_3ELb0ES6_jNS0_17counting_iteratorIjlEEPS9_SE_NS0_5tupleIJPjSE_EEENSF_IJSE_SE_EEES9_SG_JZNS1_25segmented_radix_sort_implINS0_14default_configELb1EPKhPhPKlPlN2at6native12_GLOBAL__N_18offset_tEEE10hipError_tPvRmT1_PNSt15iterator_traitsISY_E10value_typeET2_T3_PNSZ_IS14_E10value_typeET4_jRbjT5_S1A_jjP12ihipStream_tbEUljE_EEESV_SW_SX_S14_S18_S1A_T6_T7_T9_mT8_S1C_bDpT10_ENKUlT_T0_E_clISt17integral_constantIbLb0EES1P_EEDaS1K_S1L_EUlS1K_E_NS1_11comp_targetILNS1_3genE5ELNS1_11target_archE942ELNS1_3gpuE9ELNS1_3repE0EEENS1_30default_config_static_selectorELNS0_4arch9wavefront6targetE1EEEvSY_,@function
_ZN7rocprim17ROCPRIM_400000_NS6detail17trampoline_kernelINS0_13select_configILj256ELj13ELNS0_17block_load_methodE3ELS4_3ELS4_3ELNS0_20block_scan_algorithmE0ELj4294967295EEENS1_25partition_config_selectorILNS1_17partition_subalgoE3EjNS0_10empty_typeEbEEZZNS1_14partition_implILS8_3ELb0ES6_jNS0_17counting_iteratorIjlEEPS9_SE_NS0_5tupleIJPjSE_EEENSF_IJSE_SE_EEES9_SG_JZNS1_25segmented_radix_sort_implINS0_14default_configELb1EPKhPhPKlPlN2at6native12_GLOBAL__N_18offset_tEEE10hipError_tPvRmT1_PNSt15iterator_traitsISY_E10value_typeET2_T3_PNSZ_IS14_E10value_typeET4_jRbjT5_S1A_jjP12ihipStream_tbEUljE_EEESV_SW_SX_S14_S18_S1A_T6_T7_T9_mT8_S1C_bDpT10_ENKUlT_T0_E_clISt17integral_constantIbLb0EES1P_EEDaS1K_S1L_EUlS1K_E_NS1_11comp_targetILNS1_3genE5ELNS1_11target_archE942ELNS1_3gpuE9ELNS1_3repE0EEENS1_30default_config_static_selectorELNS0_4arch9wavefront6targetE1EEEvSY_: ; @_ZN7rocprim17ROCPRIM_400000_NS6detail17trampoline_kernelINS0_13select_configILj256ELj13ELNS0_17block_load_methodE3ELS4_3ELS4_3ELNS0_20block_scan_algorithmE0ELj4294967295EEENS1_25partition_config_selectorILNS1_17partition_subalgoE3EjNS0_10empty_typeEbEEZZNS1_14partition_implILS8_3ELb0ES6_jNS0_17counting_iteratorIjlEEPS9_SE_NS0_5tupleIJPjSE_EEENSF_IJSE_SE_EEES9_SG_JZNS1_25segmented_radix_sort_implINS0_14default_configELb1EPKhPhPKlPlN2at6native12_GLOBAL__N_18offset_tEEE10hipError_tPvRmT1_PNSt15iterator_traitsISY_E10value_typeET2_T3_PNSZ_IS14_E10value_typeET4_jRbjT5_S1A_jjP12ihipStream_tbEUljE_EEESV_SW_SX_S14_S18_S1A_T6_T7_T9_mT8_S1C_bDpT10_ENKUlT_T0_E_clISt17integral_constantIbLb0EES1P_EEDaS1K_S1L_EUlS1K_E_NS1_11comp_targetILNS1_3genE5ELNS1_11target_archE942ELNS1_3gpuE9ELNS1_3repE0EEENS1_30default_config_static_selectorELNS0_4arch9wavefront6targetE1EEEvSY_
; %bb.0:
	.section	.rodata,"a",@progbits
	.p2align	6, 0x0
	.amdhsa_kernel _ZN7rocprim17ROCPRIM_400000_NS6detail17trampoline_kernelINS0_13select_configILj256ELj13ELNS0_17block_load_methodE3ELS4_3ELS4_3ELNS0_20block_scan_algorithmE0ELj4294967295EEENS1_25partition_config_selectorILNS1_17partition_subalgoE3EjNS0_10empty_typeEbEEZZNS1_14partition_implILS8_3ELb0ES6_jNS0_17counting_iteratorIjlEEPS9_SE_NS0_5tupleIJPjSE_EEENSF_IJSE_SE_EEES9_SG_JZNS1_25segmented_radix_sort_implINS0_14default_configELb1EPKhPhPKlPlN2at6native12_GLOBAL__N_18offset_tEEE10hipError_tPvRmT1_PNSt15iterator_traitsISY_E10value_typeET2_T3_PNSZ_IS14_E10value_typeET4_jRbjT5_S1A_jjP12ihipStream_tbEUljE_EEESV_SW_SX_S14_S18_S1A_T6_T7_T9_mT8_S1C_bDpT10_ENKUlT_T0_E_clISt17integral_constantIbLb0EES1P_EEDaS1K_S1L_EUlS1K_E_NS1_11comp_targetILNS1_3genE5ELNS1_11target_archE942ELNS1_3gpuE9ELNS1_3repE0EEENS1_30default_config_static_selectorELNS0_4arch9wavefront6targetE1EEEvSY_
		.amdhsa_group_segment_fixed_size 0
		.amdhsa_private_segment_fixed_size 0
		.amdhsa_kernarg_size 144
		.amdhsa_user_sgpr_count 6
		.amdhsa_user_sgpr_private_segment_buffer 1
		.amdhsa_user_sgpr_dispatch_ptr 0
		.amdhsa_user_sgpr_queue_ptr 0
		.amdhsa_user_sgpr_kernarg_segment_ptr 1
		.amdhsa_user_sgpr_dispatch_id 0
		.amdhsa_user_sgpr_flat_scratch_init 0
		.amdhsa_user_sgpr_private_segment_size 0
		.amdhsa_uses_dynamic_stack 0
		.amdhsa_system_sgpr_private_segment_wavefront_offset 0
		.amdhsa_system_sgpr_workgroup_id_x 1
		.amdhsa_system_sgpr_workgroup_id_y 0
		.amdhsa_system_sgpr_workgroup_id_z 0
		.amdhsa_system_sgpr_workgroup_info 0
		.amdhsa_system_vgpr_workitem_id 0
		.amdhsa_next_free_vgpr 1
		.amdhsa_next_free_sgpr 0
		.amdhsa_reserve_vcc 0
		.amdhsa_reserve_flat_scratch 0
		.amdhsa_float_round_mode_32 0
		.amdhsa_float_round_mode_16_64 0
		.amdhsa_float_denorm_mode_32 3
		.amdhsa_float_denorm_mode_16_64 3
		.amdhsa_dx10_clamp 1
		.amdhsa_ieee_mode 1
		.amdhsa_fp16_overflow 0
		.amdhsa_exception_fp_ieee_invalid_op 0
		.amdhsa_exception_fp_denorm_src 0
		.amdhsa_exception_fp_ieee_div_zero 0
		.amdhsa_exception_fp_ieee_overflow 0
		.amdhsa_exception_fp_ieee_underflow 0
		.amdhsa_exception_fp_ieee_inexact 0
		.amdhsa_exception_int_div_zero 0
	.end_amdhsa_kernel
	.section	.text._ZN7rocprim17ROCPRIM_400000_NS6detail17trampoline_kernelINS0_13select_configILj256ELj13ELNS0_17block_load_methodE3ELS4_3ELS4_3ELNS0_20block_scan_algorithmE0ELj4294967295EEENS1_25partition_config_selectorILNS1_17partition_subalgoE3EjNS0_10empty_typeEbEEZZNS1_14partition_implILS8_3ELb0ES6_jNS0_17counting_iteratorIjlEEPS9_SE_NS0_5tupleIJPjSE_EEENSF_IJSE_SE_EEES9_SG_JZNS1_25segmented_radix_sort_implINS0_14default_configELb1EPKhPhPKlPlN2at6native12_GLOBAL__N_18offset_tEEE10hipError_tPvRmT1_PNSt15iterator_traitsISY_E10value_typeET2_T3_PNSZ_IS14_E10value_typeET4_jRbjT5_S1A_jjP12ihipStream_tbEUljE_EEESV_SW_SX_S14_S18_S1A_T6_T7_T9_mT8_S1C_bDpT10_ENKUlT_T0_E_clISt17integral_constantIbLb0EES1P_EEDaS1K_S1L_EUlS1K_E_NS1_11comp_targetILNS1_3genE5ELNS1_11target_archE942ELNS1_3gpuE9ELNS1_3repE0EEENS1_30default_config_static_selectorELNS0_4arch9wavefront6targetE1EEEvSY_,"axG",@progbits,_ZN7rocprim17ROCPRIM_400000_NS6detail17trampoline_kernelINS0_13select_configILj256ELj13ELNS0_17block_load_methodE3ELS4_3ELS4_3ELNS0_20block_scan_algorithmE0ELj4294967295EEENS1_25partition_config_selectorILNS1_17partition_subalgoE3EjNS0_10empty_typeEbEEZZNS1_14partition_implILS8_3ELb0ES6_jNS0_17counting_iteratorIjlEEPS9_SE_NS0_5tupleIJPjSE_EEENSF_IJSE_SE_EEES9_SG_JZNS1_25segmented_radix_sort_implINS0_14default_configELb1EPKhPhPKlPlN2at6native12_GLOBAL__N_18offset_tEEE10hipError_tPvRmT1_PNSt15iterator_traitsISY_E10value_typeET2_T3_PNSZ_IS14_E10value_typeET4_jRbjT5_S1A_jjP12ihipStream_tbEUljE_EEESV_SW_SX_S14_S18_S1A_T6_T7_T9_mT8_S1C_bDpT10_ENKUlT_T0_E_clISt17integral_constantIbLb0EES1P_EEDaS1K_S1L_EUlS1K_E_NS1_11comp_targetILNS1_3genE5ELNS1_11target_archE942ELNS1_3gpuE9ELNS1_3repE0EEENS1_30default_config_static_selectorELNS0_4arch9wavefront6targetE1EEEvSY_,comdat
.Lfunc_end49:
	.size	_ZN7rocprim17ROCPRIM_400000_NS6detail17trampoline_kernelINS0_13select_configILj256ELj13ELNS0_17block_load_methodE3ELS4_3ELS4_3ELNS0_20block_scan_algorithmE0ELj4294967295EEENS1_25partition_config_selectorILNS1_17partition_subalgoE3EjNS0_10empty_typeEbEEZZNS1_14partition_implILS8_3ELb0ES6_jNS0_17counting_iteratorIjlEEPS9_SE_NS0_5tupleIJPjSE_EEENSF_IJSE_SE_EEES9_SG_JZNS1_25segmented_radix_sort_implINS0_14default_configELb1EPKhPhPKlPlN2at6native12_GLOBAL__N_18offset_tEEE10hipError_tPvRmT1_PNSt15iterator_traitsISY_E10value_typeET2_T3_PNSZ_IS14_E10value_typeET4_jRbjT5_S1A_jjP12ihipStream_tbEUljE_EEESV_SW_SX_S14_S18_S1A_T6_T7_T9_mT8_S1C_bDpT10_ENKUlT_T0_E_clISt17integral_constantIbLb0EES1P_EEDaS1K_S1L_EUlS1K_E_NS1_11comp_targetILNS1_3genE5ELNS1_11target_archE942ELNS1_3gpuE9ELNS1_3repE0EEENS1_30default_config_static_selectorELNS0_4arch9wavefront6targetE1EEEvSY_, .Lfunc_end49-_ZN7rocprim17ROCPRIM_400000_NS6detail17trampoline_kernelINS0_13select_configILj256ELj13ELNS0_17block_load_methodE3ELS4_3ELS4_3ELNS0_20block_scan_algorithmE0ELj4294967295EEENS1_25partition_config_selectorILNS1_17partition_subalgoE3EjNS0_10empty_typeEbEEZZNS1_14partition_implILS8_3ELb0ES6_jNS0_17counting_iteratorIjlEEPS9_SE_NS0_5tupleIJPjSE_EEENSF_IJSE_SE_EEES9_SG_JZNS1_25segmented_radix_sort_implINS0_14default_configELb1EPKhPhPKlPlN2at6native12_GLOBAL__N_18offset_tEEE10hipError_tPvRmT1_PNSt15iterator_traitsISY_E10value_typeET2_T3_PNSZ_IS14_E10value_typeET4_jRbjT5_S1A_jjP12ihipStream_tbEUljE_EEESV_SW_SX_S14_S18_S1A_T6_T7_T9_mT8_S1C_bDpT10_ENKUlT_T0_E_clISt17integral_constantIbLb0EES1P_EEDaS1K_S1L_EUlS1K_E_NS1_11comp_targetILNS1_3genE5ELNS1_11target_archE942ELNS1_3gpuE9ELNS1_3repE0EEENS1_30default_config_static_selectorELNS0_4arch9wavefront6targetE1EEEvSY_
                                        ; -- End function
	.set _ZN7rocprim17ROCPRIM_400000_NS6detail17trampoline_kernelINS0_13select_configILj256ELj13ELNS0_17block_load_methodE3ELS4_3ELS4_3ELNS0_20block_scan_algorithmE0ELj4294967295EEENS1_25partition_config_selectorILNS1_17partition_subalgoE3EjNS0_10empty_typeEbEEZZNS1_14partition_implILS8_3ELb0ES6_jNS0_17counting_iteratorIjlEEPS9_SE_NS0_5tupleIJPjSE_EEENSF_IJSE_SE_EEES9_SG_JZNS1_25segmented_radix_sort_implINS0_14default_configELb1EPKhPhPKlPlN2at6native12_GLOBAL__N_18offset_tEEE10hipError_tPvRmT1_PNSt15iterator_traitsISY_E10value_typeET2_T3_PNSZ_IS14_E10value_typeET4_jRbjT5_S1A_jjP12ihipStream_tbEUljE_EEESV_SW_SX_S14_S18_S1A_T6_T7_T9_mT8_S1C_bDpT10_ENKUlT_T0_E_clISt17integral_constantIbLb0EES1P_EEDaS1K_S1L_EUlS1K_E_NS1_11comp_targetILNS1_3genE5ELNS1_11target_archE942ELNS1_3gpuE9ELNS1_3repE0EEENS1_30default_config_static_selectorELNS0_4arch9wavefront6targetE1EEEvSY_.num_vgpr, 0
	.set _ZN7rocprim17ROCPRIM_400000_NS6detail17trampoline_kernelINS0_13select_configILj256ELj13ELNS0_17block_load_methodE3ELS4_3ELS4_3ELNS0_20block_scan_algorithmE0ELj4294967295EEENS1_25partition_config_selectorILNS1_17partition_subalgoE3EjNS0_10empty_typeEbEEZZNS1_14partition_implILS8_3ELb0ES6_jNS0_17counting_iteratorIjlEEPS9_SE_NS0_5tupleIJPjSE_EEENSF_IJSE_SE_EEES9_SG_JZNS1_25segmented_radix_sort_implINS0_14default_configELb1EPKhPhPKlPlN2at6native12_GLOBAL__N_18offset_tEEE10hipError_tPvRmT1_PNSt15iterator_traitsISY_E10value_typeET2_T3_PNSZ_IS14_E10value_typeET4_jRbjT5_S1A_jjP12ihipStream_tbEUljE_EEESV_SW_SX_S14_S18_S1A_T6_T7_T9_mT8_S1C_bDpT10_ENKUlT_T0_E_clISt17integral_constantIbLb0EES1P_EEDaS1K_S1L_EUlS1K_E_NS1_11comp_targetILNS1_3genE5ELNS1_11target_archE942ELNS1_3gpuE9ELNS1_3repE0EEENS1_30default_config_static_selectorELNS0_4arch9wavefront6targetE1EEEvSY_.num_agpr, 0
	.set _ZN7rocprim17ROCPRIM_400000_NS6detail17trampoline_kernelINS0_13select_configILj256ELj13ELNS0_17block_load_methodE3ELS4_3ELS4_3ELNS0_20block_scan_algorithmE0ELj4294967295EEENS1_25partition_config_selectorILNS1_17partition_subalgoE3EjNS0_10empty_typeEbEEZZNS1_14partition_implILS8_3ELb0ES6_jNS0_17counting_iteratorIjlEEPS9_SE_NS0_5tupleIJPjSE_EEENSF_IJSE_SE_EEES9_SG_JZNS1_25segmented_radix_sort_implINS0_14default_configELb1EPKhPhPKlPlN2at6native12_GLOBAL__N_18offset_tEEE10hipError_tPvRmT1_PNSt15iterator_traitsISY_E10value_typeET2_T3_PNSZ_IS14_E10value_typeET4_jRbjT5_S1A_jjP12ihipStream_tbEUljE_EEESV_SW_SX_S14_S18_S1A_T6_T7_T9_mT8_S1C_bDpT10_ENKUlT_T0_E_clISt17integral_constantIbLb0EES1P_EEDaS1K_S1L_EUlS1K_E_NS1_11comp_targetILNS1_3genE5ELNS1_11target_archE942ELNS1_3gpuE9ELNS1_3repE0EEENS1_30default_config_static_selectorELNS0_4arch9wavefront6targetE1EEEvSY_.numbered_sgpr, 0
	.set _ZN7rocprim17ROCPRIM_400000_NS6detail17trampoline_kernelINS0_13select_configILj256ELj13ELNS0_17block_load_methodE3ELS4_3ELS4_3ELNS0_20block_scan_algorithmE0ELj4294967295EEENS1_25partition_config_selectorILNS1_17partition_subalgoE3EjNS0_10empty_typeEbEEZZNS1_14partition_implILS8_3ELb0ES6_jNS0_17counting_iteratorIjlEEPS9_SE_NS0_5tupleIJPjSE_EEENSF_IJSE_SE_EEES9_SG_JZNS1_25segmented_radix_sort_implINS0_14default_configELb1EPKhPhPKlPlN2at6native12_GLOBAL__N_18offset_tEEE10hipError_tPvRmT1_PNSt15iterator_traitsISY_E10value_typeET2_T3_PNSZ_IS14_E10value_typeET4_jRbjT5_S1A_jjP12ihipStream_tbEUljE_EEESV_SW_SX_S14_S18_S1A_T6_T7_T9_mT8_S1C_bDpT10_ENKUlT_T0_E_clISt17integral_constantIbLb0EES1P_EEDaS1K_S1L_EUlS1K_E_NS1_11comp_targetILNS1_3genE5ELNS1_11target_archE942ELNS1_3gpuE9ELNS1_3repE0EEENS1_30default_config_static_selectorELNS0_4arch9wavefront6targetE1EEEvSY_.num_named_barrier, 0
	.set _ZN7rocprim17ROCPRIM_400000_NS6detail17trampoline_kernelINS0_13select_configILj256ELj13ELNS0_17block_load_methodE3ELS4_3ELS4_3ELNS0_20block_scan_algorithmE0ELj4294967295EEENS1_25partition_config_selectorILNS1_17partition_subalgoE3EjNS0_10empty_typeEbEEZZNS1_14partition_implILS8_3ELb0ES6_jNS0_17counting_iteratorIjlEEPS9_SE_NS0_5tupleIJPjSE_EEENSF_IJSE_SE_EEES9_SG_JZNS1_25segmented_radix_sort_implINS0_14default_configELb1EPKhPhPKlPlN2at6native12_GLOBAL__N_18offset_tEEE10hipError_tPvRmT1_PNSt15iterator_traitsISY_E10value_typeET2_T3_PNSZ_IS14_E10value_typeET4_jRbjT5_S1A_jjP12ihipStream_tbEUljE_EEESV_SW_SX_S14_S18_S1A_T6_T7_T9_mT8_S1C_bDpT10_ENKUlT_T0_E_clISt17integral_constantIbLb0EES1P_EEDaS1K_S1L_EUlS1K_E_NS1_11comp_targetILNS1_3genE5ELNS1_11target_archE942ELNS1_3gpuE9ELNS1_3repE0EEENS1_30default_config_static_selectorELNS0_4arch9wavefront6targetE1EEEvSY_.private_seg_size, 0
	.set _ZN7rocprim17ROCPRIM_400000_NS6detail17trampoline_kernelINS0_13select_configILj256ELj13ELNS0_17block_load_methodE3ELS4_3ELS4_3ELNS0_20block_scan_algorithmE0ELj4294967295EEENS1_25partition_config_selectorILNS1_17partition_subalgoE3EjNS0_10empty_typeEbEEZZNS1_14partition_implILS8_3ELb0ES6_jNS0_17counting_iteratorIjlEEPS9_SE_NS0_5tupleIJPjSE_EEENSF_IJSE_SE_EEES9_SG_JZNS1_25segmented_radix_sort_implINS0_14default_configELb1EPKhPhPKlPlN2at6native12_GLOBAL__N_18offset_tEEE10hipError_tPvRmT1_PNSt15iterator_traitsISY_E10value_typeET2_T3_PNSZ_IS14_E10value_typeET4_jRbjT5_S1A_jjP12ihipStream_tbEUljE_EEESV_SW_SX_S14_S18_S1A_T6_T7_T9_mT8_S1C_bDpT10_ENKUlT_T0_E_clISt17integral_constantIbLb0EES1P_EEDaS1K_S1L_EUlS1K_E_NS1_11comp_targetILNS1_3genE5ELNS1_11target_archE942ELNS1_3gpuE9ELNS1_3repE0EEENS1_30default_config_static_selectorELNS0_4arch9wavefront6targetE1EEEvSY_.uses_vcc, 0
	.set _ZN7rocprim17ROCPRIM_400000_NS6detail17trampoline_kernelINS0_13select_configILj256ELj13ELNS0_17block_load_methodE3ELS4_3ELS4_3ELNS0_20block_scan_algorithmE0ELj4294967295EEENS1_25partition_config_selectorILNS1_17partition_subalgoE3EjNS0_10empty_typeEbEEZZNS1_14partition_implILS8_3ELb0ES6_jNS0_17counting_iteratorIjlEEPS9_SE_NS0_5tupleIJPjSE_EEENSF_IJSE_SE_EEES9_SG_JZNS1_25segmented_radix_sort_implINS0_14default_configELb1EPKhPhPKlPlN2at6native12_GLOBAL__N_18offset_tEEE10hipError_tPvRmT1_PNSt15iterator_traitsISY_E10value_typeET2_T3_PNSZ_IS14_E10value_typeET4_jRbjT5_S1A_jjP12ihipStream_tbEUljE_EEESV_SW_SX_S14_S18_S1A_T6_T7_T9_mT8_S1C_bDpT10_ENKUlT_T0_E_clISt17integral_constantIbLb0EES1P_EEDaS1K_S1L_EUlS1K_E_NS1_11comp_targetILNS1_3genE5ELNS1_11target_archE942ELNS1_3gpuE9ELNS1_3repE0EEENS1_30default_config_static_selectorELNS0_4arch9wavefront6targetE1EEEvSY_.uses_flat_scratch, 0
	.set _ZN7rocprim17ROCPRIM_400000_NS6detail17trampoline_kernelINS0_13select_configILj256ELj13ELNS0_17block_load_methodE3ELS4_3ELS4_3ELNS0_20block_scan_algorithmE0ELj4294967295EEENS1_25partition_config_selectorILNS1_17partition_subalgoE3EjNS0_10empty_typeEbEEZZNS1_14partition_implILS8_3ELb0ES6_jNS0_17counting_iteratorIjlEEPS9_SE_NS0_5tupleIJPjSE_EEENSF_IJSE_SE_EEES9_SG_JZNS1_25segmented_radix_sort_implINS0_14default_configELb1EPKhPhPKlPlN2at6native12_GLOBAL__N_18offset_tEEE10hipError_tPvRmT1_PNSt15iterator_traitsISY_E10value_typeET2_T3_PNSZ_IS14_E10value_typeET4_jRbjT5_S1A_jjP12ihipStream_tbEUljE_EEESV_SW_SX_S14_S18_S1A_T6_T7_T9_mT8_S1C_bDpT10_ENKUlT_T0_E_clISt17integral_constantIbLb0EES1P_EEDaS1K_S1L_EUlS1K_E_NS1_11comp_targetILNS1_3genE5ELNS1_11target_archE942ELNS1_3gpuE9ELNS1_3repE0EEENS1_30default_config_static_selectorELNS0_4arch9wavefront6targetE1EEEvSY_.has_dyn_sized_stack, 0
	.set _ZN7rocprim17ROCPRIM_400000_NS6detail17trampoline_kernelINS0_13select_configILj256ELj13ELNS0_17block_load_methodE3ELS4_3ELS4_3ELNS0_20block_scan_algorithmE0ELj4294967295EEENS1_25partition_config_selectorILNS1_17partition_subalgoE3EjNS0_10empty_typeEbEEZZNS1_14partition_implILS8_3ELb0ES6_jNS0_17counting_iteratorIjlEEPS9_SE_NS0_5tupleIJPjSE_EEENSF_IJSE_SE_EEES9_SG_JZNS1_25segmented_radix_sort_implINS0_14default_configELb1EPKhPhPKlPlN2at6native12_GLOBAL__N_18offset_tEEE10hipError_tPvRmT1_PNSt15iterator_traitsISY_E10value_typeET2_T3_PNSZ_IS14_E10value_typeET4_jRbjT5_S1A_jjP12ihipStream_tbEUljE_EEESV_SW_SX_S14_S18_S1A_T6_T7_T9_mT8_S1C_bDpT10_ENKUlT_T0_E_clISt17integral_constantIbLb0EES1P_EEDaS1K_S1L_EUlS1K_E_NS1_11comp_targetILNS1_3genE5ELNS1_11target_archE942ELNS1_3gpuE9ELNS1_3repE0EEENS1_30default_config_static_selectorELNS0_4arch9wavefront6targetE1EEEvSY_.has_recursion, 0
	.set _ZN7rocprim17ROCPRIM_400000_NS6detail17trampoline_kernelINS0_13select_configILj256ELj13ELNS0_17block_load_methodE3ELS4_3ELS4_3ELNS0_20block_scan_algorithmE0ELj4294967295EEENS1_25partition_config_selectorILNS1_17partition_subalgoE3EjNS0_10empty_typeEbEEZZNS1_14partition_implILS8_3ELb0ES6_jNS0_17counting_iteratorIjlEEPS9_SE_NS0_5tupleIJPjSE_EEENSF_IJSE_SE_EEES9_SG_JZNS1_25segmented_radix_sort_implINS0_14default_configELb1EPKhPhPKlPlN2at6native12_GLOBAL__N_18offset_tEEE10hipError_tPvRmT1_PNSt15iterator_traitsISY_E10value_typeET2_T3_PNSZ_IS14_E10value_typeET4_jRbjT5_S1A_jjP12ihipStream_tbEUljE_EEESV_SW_SX_S14_S18_S1A_T6_T7_T9_mT8_S1C_bDpT10_ENKUlT_T0_E_clISt17integral_constantIbLb0EES1P_EEDaS1K_S1L_EUlS1K_E_NS1_11comp_targetILNS1_3genE5ELNS1_11target_archE942ELNS1_3gpuE9ELNS1_3repE0EEENS1_30default_config_static_selectorELNS0_4arch9wavefront6targetE1EEEvSY_.has_indirect_call, 0
	.section	.AMDGPU.csdata,"",@progbits
; Kernel info:
; codeLenInByte = 0
; TotalNumSgprs: 4
; NumVgprs: 0
; ScratchSize: 0
; MemoryBound: 0
; FloatMode: 240
; IeeeMode: 1
; LDSByteSize: 0 bytes/workgroup (compile time only)
; SGPRBlocks: 0
; VGPRBlocks: 0
; NumSGPRsForWavesPerEU: 4
; NumVGPRsForWavesPerEU: 1
; Occupancy: 10
; WaveLimiterHint : 0
; COMPUTE_PGM_RSRC2:SCRATCH_EN: 0
; COMPUTE_PGM_RSRC2:USER_SGPR: 6
; COMPUTE_PGM_RSRC2:TRAP_HANDLER: 0
; COMPUTE_PGM_RSRC2:TGID_X_EN: 1
; COMPUTE_PGM_RSRC2:TGID_Y_EN: 0
; COMPUTE_PGM_RSRC2:TGID_Z_EN: 0
; COMPUTE_PGM_RSRC2:TIDIG_COMP_CNT: 0
	.section	.text._ZN7rocprim17ROCPRIM_400000_NS6detail17trampoline_kernelINS0_13select_configILj256ELj13ELNS0_17block_load_methodE3ELS4_3ELS4_3ELNS0_20block_scan_algorithmE0ELj4294967295EEENS1_25partition_config_selectorILNS1_17partition_subalgoE3EjNS0_10empty_typeEbEEZZNS1_14partition_implILS8_3ELb0ES6_jNS0_17counting_iteratorIjlEEPS9_SE_NS0_5tupleIJPjSE_EEENSF_IJSE_SE_EEES9_SG_JZNS1_25segmented_radix_sort_implINS0_14default_configELb1EPKhPhPKlPlN2at6native12_GLOBAL__N_18offset_tEEE10hipError_tPvRmT1_PNSt15iterator_traitsISY_E10value_typeET2_T3_PNSZ_IS14_E10value_typeET4_jRbjT5_S1A_jjP12ihipStream_tbEUljE_EEESV_SW_SX_S14_S18_S1A_T6_T7_T9_mT8_S1C_bDpT10_ENKUlT_T0_E_clISt17integral_constantIbLb0EES1P_EEDaS1K_S1L_EUlS1K_E_NS1_11comp_targetILNS1_3genE4ELNS1_11target_archE910ELNS1_3gpuE8ELNS1_3repE0EEENS1_30default_config_static_selectorELNS0_4arch9wavefront6targetE1EEEvSY_,"axG",@progbits,_ZN7rocprim17ROCPRIM_400000_NS6detail17trampoline_kernelINS0_13select_configILj256ELj13ELNS0_17block_load_methodE3ELS4_3ELS4_3ELNS0_20block_scan_algorithmE0ELj4294967295EEENS1_25partition_config_selectorILNS1_17partition_subalgoE3EjNS0_10empty_typeEbEEZZNS1_14partition_implILS8_3ELb0ES6_jNS0_17counting_iteratorIjlEEPS9_SE_NS0_5tupleIJPjSE_EEENSF_IJSE_SE_EEES9_SG_JZNS1_25segmented_radix_sort_implINS0_14default_configELb1EPKhPhPKlPlN2at6native12_GLOBAL__N_18offset_tEEE10hipError_tPvRmT1_PNSt15iterator_traitsISY_E10value_typeET2_T3_PNSZ_IS14_E10value_typeET4_jRbjT5_S1A_jjP12ihipStream_tbEUljE_EEESV_SW_SX_S14_S18_S1A_T6_T7_T9_mT8_S1C_bDpT10_ENKUlT_T0_E_clISt17integral_constantIbLb0EES1P_EEDaS1K_S1L_EUlS1K_E_NS1_11comp_targetILNS1_3genE4ELNS1_11target_archE910ELNS1_3gpuE8ELNS1_3repE0EEENS1_30default_config_static_selectorELNS0_4arch9wavefront6targetE1EEEvSY_,comdat
	.globl	_ZN7rocprim17ROCPRIM_400000_NS6detail17trampoline_kernelINS0_13select_configILj256ELj13ELNS0_17block_load_methodE3ELS4_3ELS4_3ELNS0_20block_scan_algorithmE0ELj4294967295EEENS1_25partition_config_selectorILNS1_17partition_subalgoE3EjNS0_10empty_typeEbEEZZNS1_14partition_implILS8_3ELb0ES6_jNS0_17counting_iteratorIjlEEPS9_SE_NS0_5tupleIJPjSE_EEENSF_IJSE_SE_EEES9_SG_JZNS1_25segmented_radix_sort_implINS0_14default_configELb1EPKhPhPKlPlN2at6native12_GLOBAL__N_18offset_tEEE10hipError_tPvRmT1_PNSt15iterator_traitsISY_E10value_typeET2_T3_PNSZ_IS14_E10value_typeET4_jRbjT5_S1A_jjP12ihipStream_tbEUljE_EEESV_SW_SX_S14_S18_S1A_T6_T7_T9_mT8_S1C_bDpT10_ENKUlT_T0_E_clISt17integral_constantIbLb0EES1P_EEDaS1K_S1L_EUlS1K_E_NS1_11comp_targetILNS1_3genE4ELNS1_11target_archE910ELNS1_3gpuE8ELNS1_3repE0EEENS1_30default_config_static_selectorELNS0_4arch9wavefront6targetE1EEEvSY_ ; -- Begin function _ZN7rocprim17ROCPRIM_400000_NS6detail17trampoline_kernelINS0_13select_configILj256ELj13ELNS0_17block_load_methodE3ELS4_3ELS4_3ELNS0_20block_scan_algorithmE0ELj4294967295EEENS1_25partition_config_selectorILNS1_17partition_subalgoE3EjNS0_10empty_typeEbEEZZNS1_14partition_implILS8_3ELb0ES6_jNS0_17counting_iteratorIjlEEPS9_SE_NS0_5tupleIJPjSE_EEENSF_IJSE_SE_EEES9_SG_JZNS1_25segmented_radix_sort_implINS0_14default_configELb1EPKhPhPKlPlN2at6native12_GLOBAL__N_18offset_tEEE10hipError_tPvRmT1_PNSt15iterator_traitsISY_E10value_typeET2_T3_PNSZ_IS14_E10value_typeET4_jRbjT5_S1A_jjP12ihipStream_tbEUljE_EEESV_SW_SX_S14_S18_S1A_T6_T7_T9_mT8_S1C_bDpT10_ENKUlT_T0_E_clISt17integral_constantIbLb0EES1P_EEDaS1K_S1L_EUlS1K_E_NS1_11comp_targetILNS1_3genE4ELNS1_11target_archE910ELNS1_3gpuE8ELNS1_3repE0EEENS1_30default_config_static_selectorELNS0_4arch9wavefront6targetE1EEEvSY_
	.p2align	8
	.type	_ZN7rocprim17ROCPRIM_400000_NS6detail17trampoline_kernelINS0_13select_configILj256ELj13ELNS0_17block_load_methodE3ELS4_3ELS4_3ELNS0_20block_scan_algorithmE0ELj4294967295EEENS1_25partition_config_selectorILNS1_17partition_subalgoE3EjNS0_10empty_typeEbEEZZNS1_14partition_implILS8_3ELb0ES6_jNS0_17counting_iteratorIjlEEPS9_SE_NS0_5tupleIJPjSE_EEENSF_IJSE_SE_EEES9_SG_JZNS1_25segmented_radix_sort_implINS0_14default_configELb1EPKhPhPKlPlN2at6native12_GLOBAL__N_18offset_tEEE10hipError_tPvRmT1_PNSt15iterator_traitsISY_E10value_typeET2_T3_PNSZ_IS14_E10value_typeET4_jRbjT5_S1A_jjP12ihipStream_tbEUljE_EEESV_SW_SX_S14_S18_S1A_T6_T7_T9_mT8_S1C_bDpT10_ENKUlT_T0_E_clISt17integral_constantIbLb0EES1P_EEDaS1K_S1L_EUlS1K_E_NS1_11comp_targetILNS1_3genE4ELNS1_11target_archE910ELNS1_3gpuE8ELNS1_3repE0EEENS1_30default_config_static_selectorELNS0_4arch9wavefront6targetE1EEEvSY_,@function
_ZN7rocprim17ROCPRIM_400000_NS6detail17trampoline_kernelINS0_13select_configILj256ELj13ELNS0_17block_load_methodE3ELS4_3ELS4_3ELNS0_20block_scan_algorithmE0ELj4294967295EEENS1_25partition_config_selectorILNS1_17partition_subalgoE3EjNS0_10empty_typeEbEEZZNS1_14partition_implILS8_3ELb0ES6_jNS0_17counting_iteratorIjlEEPS9_SE_NS0_5tupleIJPjSE_EEENSF_IJSE_SE_EEES9_SG_JZNS1_25segmented_radix_sort_implINS0_14default_configELb1EPKhPhPKlPlN2at6native12_GLOBAL__N_18offset_tEEE10hipError_tPvRmT1_PNSt15iterator_traitsISY_E10value_typeET2_T3_PNSZ_IS14_E10value_typeET4_jRbjT5_S1A_jjP12ihipStream_tbEUljE_EEESV_SW_SX_S14_S18_S1A_T6_T7_T9_mT8_S1C_bDpT10_ENKUlT_T0_E_clISt17integral_constantIbLb0EES1P_EEDaS1K_S1L_EUlS1K_E_NS1_11comp_targetILNS1_3genE4ELNS1_11target_archE910ELNS1_3gpuE8ELNS1_3repE0EEENS1_30default_config_static_selectorELNS0_4arch9wavefront6targetE1EEEvSY_: ; @_ZN7rocprim17ROCPRIM_400000_NS6detail17trampoline_kernelINS0_13select_configILj256ELj13ELNS0_17block_load_methodE3ELS4_3ELS4_3ELNS0_20block_scan_algorithmE0ELj4294967295EEENS1_25partition_config_selectorILNS1_17partition_subalgoE3EjNS0_10empty_typeEbEEZZNS1_14partition_implILS8_3ELb0ES6_jNS0_17counting_iteratorIjlEEPS9_SE_NS0_5tupleIJPjSE_EEENSF_IJSE_SE_EEES9_SG_JZNS1_25segmented_radix_sort_implINS0_14default_configELb1EPKhPhPKlPlN2at6native12_GLOBAL__N_18offset_tEEE10hipError_tPvRmT1_PNSt15iterator_traitsISY_E10value_typeET2_T3_PNSZ_IS14_E10value_typeET4_jRbjT5_S1A_jjP12ihipStream_tbEUljE_EEESV_SW_SX_S14_S18_S1A_T6_T7_T9_mT8_S1C_bDpT10_ENKUlT_T0_E_clISt17integral_constantIbLb0EES1P_EEDaS1K_S1L_EUlS1K_E_NS1_11comp_targetILNS1_3genE4ELNS1_11target_archE910ELNS1_3gpuE8ELNS1_3repE0EEENS1_30default_config_static_selectorELNS0_4arch9wavefront6targetE1EEEvSY_
; %bb.0:
	.section	.rodata,"a",@progbits
	.p2align	6, 0x0
	.amdhsa_kernel _ZN7rocprim17ROCPRIM_400000_NS6detail17trampoline_kernelINS0_13select_configILj256ELj13ELNS0_17block_load_methodE3ELS4_3ELS4_3ELNS0_20block_scan_algorithmE0ELj4294967295EEENS1_25partition_config_selectorILNS1_17partition_subalgoE3EjNS0_10empty_typeEbEEZZNS1_14partition_implILS8_3ELb0ES6_jNS0_17counting_iteratorIjlEEPS9_SE_NS0_5tupleIJPjSE_EEENSF_IJSE_SE_EEES9_SG_JZNS1_25segmented_radix_sort_implINS0_14default_configELb1EPKhPhPKlPlN2at6native12_GLOBAL__N_18offset_tEEE10hipError_tPvRmT1_PNSt15iterator_traitsISY_E10value_typeET2_T3_PNSZ_IS14_E10value_typeET4_jRbjT5_S1A_jjP12ihipStream_tbEUljE_EEESV_SW_SX_S14_S18_S1A_T6_T7_T9_mT8_S1C_bDpT10_ENKUlT_T0_E_clISt17integral_constantIbLb0EES1P_EEDaS1K_S1L_EUlS1K_E_NS1_11comp_targetILNS1_3genE4ELNS1_11target_archE910ELNS1_3gpuE8ELNS1_3repE0EEENS1_30default_config_static_selectorELNS0_4arch9wavefront6targetE1EEEvSY_
		.amdhsa_group_segment_fixed_size 0
		.amdhsa_private_segment_fixed_size 0
		.amdhsa_kernarg_size 144
		.amdhsa_user_sgpr_count 6
		.amdhsa_user_sgpr_private_segment_buffer 1
		.amdhsa_user_sgpr_dispatch_ptr 0
		.amdhsa_user_sgpr_queue_ptr 0
		.amdhsa_user_sgpr_kernarg_segment_ptr 1
		.amdhsa_user_sgpr_dispatch_id 0
		.amdhsa_user_sgpr_flat_scratch_init 0
		.amdhsa_user_sgpr_private_segment_size 0
		.amdhsa_uses_dynamic_stack 0
		.amdhsa_system_sgpr_private_segment_wavefront_offset 0
		.amdhsa_system_sgpr_workgroup_id_x 1
		.amdhsa_system_sgpr_workgroup_id_y 0
		.amdhsa_system_sgpr_workgroup_id_z 0
		.amdhsa_system_sgpr_workgroup_info 0
		.amdhsa_system_vgpr_workitem_id 0
		.amdhsa_next_free_vgpr 1
		.amdhsa_next_free_sgpr 0
		.amdhsa_reserve_vcc 0
		.amdhsa_reserve_flat_scratch 0
		.amdhsa_float_round_mode_32 0
		.amdhsa_float_round_mode_16_64 0
		.amdhsa_float_denorm_mode_32 3
		.amdhsa_float_denorm_mode_16_64 3
		.amdhsa_dx10_clamp 1
		.amdhsa_ieee_mode 1
		.amdhsa_fp16_overflow 0
		.amdhsa_exception_fp_ieee_invalid_op 0
		.amdhsa_exception_fp_denorm_src 0
		.amdhsa_exception_fp_ieee_div_zero 0
		.amdhsa_exception_fp_ieee_overflow 0
		.amdhsa_exception_fp_ieee_underflow 0
		.amdhsa_exception_fp_ieee_inexact 0
		.amdhsa_exception_int_div_zero 0
	.end_amdhsa_kernel
	.section	.text._ZN7rocprim17ROCPRIM_400000_NS6detail17trampoline_kernelINS0_13select_configILj256ELj13ELNS0_17block_load_methodE3ELS4_3ELS4_3ELNS0_20block_scan_algorithmE0ELj4294967295EEENS1_25partition_config_selectorILNS1_17partition_subalgoE3EjNS0_10empty_typeEbEEZZNS1_14partition_implILS8_3ELb0ES6_jNS0_17counting_iteratorIjlEEPS9_SE_NS0_5tupleIJPjSE_EEENSF_IJSE_SE_EEES9_SG_JZNS1_25segmented_radix_sort_implINS0_14default_configELb1EPKhPhPKlPlN2at6native12_GLOBAL__N_18offset_tEEE10hipError_tPvRmT1_PNSt15iterator_traitsISY_E10value_typeET2_T3_PNSZ_IS14_E10value_typeET4_jRbjT5_S1A_jjP12ihipStream_tbEUljE_EEESV_SW_SX_S14_S18_S1A_T6_T7_T9_mT8_S1C_bDpT10_ENKUlT_T0_E_clISt17integral_constantIbLb0EES1P_EEDaS1K_S1L_EUlS1K_E_NS1_11comp_targetILNS1_3genE4ELNS1_11target_archE910ELNS1_3gpuE8ELNS1_3repE0EEENS1_30default_config_static_selectorELNS0_4arch9wavefront6targetE1EEEvSY_,"axG",@progbits,_ZN7rocprim17ROCPRIM_400000_NS6detail17trampoline_kernelINS0_13select_configILj256ELj13ELNS0_17block_load_methodE3ELS4_3ELS4_3ELNS0_20block_scan_algorithmE0ELj4294967295EEENS1_25partition_config_selectorILNS1_17partition_subalgoE3EjNS0_10empty_typeEbEEZZNS1_14partition_implILS8_3ELb0ES6_jNS0_17counting_iteratorIjlEEPS9_SE_NS0_5tupleIJPjSE_EEENSF_IJSE_SE_EEES9_SG_JZNS1_25segmented_radix_sort_implINS0_14default_configELb1EPKhPhPKlPlN2at6native12_GLOBAL__N_18offset_tEEE10hipError_tPvRmT1_PNSt15iterator_traitsISY_E10value_typeET2_T3_PNSZ_IS14_E10value_typeET4_jRbjT5_S1A_jjP12ihipStream_tbEUljE_EEESV_SW_SX_S14_S18_S1A_T6_T7_T9_mT8_S1C_bDpT10_ENKUlT_T0_E_clISt17integral_constantIbLb0EES1P_EEDaS1K_S1L_EUlS1K_E_NS1_11comp_targetILNS1_3genE4ELNS1_11target_archE910ELNS1_3gpuE8ELNS1_3repE0EEENS1_30default_config_static_selectorELNS0_4arch9wavefront6targetE1EEEvSY_,comdat
.Lfunc_end50:
	.size	_ZN7rocprim17ROCPRIM_400000_NS6detail17trampoline_kernelINS0_13select_configILj256ELj13ELNS0_17block_load_methodE3ELS4_3ELS4_3ELNS0_20block_scan_algorithmE0ELj4294967295EEENS1_25partition_config_selectorILNS1_17partition_subalgoE3EjNS0_10empty_typeEbEEZZNS1_14partition_implILS8_3ELb0ES6_jNS0_17counting_iteratorIjlEEPS9_SE_NS0_5tupleIJPjSE_EEENSF_IJSE_SE_EEES9_SG_JZNS1_25segmented_radix_sort_implINS0_14default_configELb1EPKhPhPKlPlN2at6native12_GLOBAL__N_18offset_tEEE10hipError_tPvRmT1_PNSt15iterator_traitsISY_E10value_typeET2_T3_PNSZ_IS14_E10value_typeET4_jRbjT5_S1A_jjP12ihipStream_tbEUljE_EEESV_SW_SX_S14_S18_S1A_T6_T7_T9_mT8_S1C_bDpT10_ENKUlT_T0_E_clISt17integral_constantIbLb0EES1P_EEDaS1K_S1L_EUlS1K_E_NS1_11comp_targetILNS1_3genE4ELNS1_11target_archE910ELNS1_3gpuE8ELNS1_3repE0EEENS1_30default_config_static_selectorELNS0_4arch9wavefront6targetE1EEEvSY_, .Lfunc_end50-_ZN7rocprim17ROCPRIM_400000_NS6detail17trampoline_kernelINS0_13select_configILj256ELj13ELNS0_17block_load_methodE3ELS4_3ELS4_3ELNS0_20block_scan_algorithmE0ELj4294967295EEENS1_25partition_config_selectorILNS1_17partition_subalgoE3EjNS0_10empty_typeEbEEZZNS1_14partition_implILS8_3ELb0ES6_jNS0_17counting_iteratorIjlEEPS9_SE_NS0_5tupleIJPjSE_EEENSF_IJSE_SE_EEES9_SG_JZNS1_25segmented_radix_sort_implINS0_14default_configELb1EPKhPhPKlPlN2at6native12_GLOBAL__N_18offset_tEEE10hipError_tPvRmT1_PNSt15iterator_traitsISY_E10value_typeET2_T3_PNSZ_IS14_E10value_typeET4_jRbjT5_S1A_jjP12ihipStream_tbEUljE_EEESV_SW_SX_S14_S18_S1A_T6_T7_T9_mT8_S1C_bDpT10_ENKUlT_T0_E_clISt17integral_constantIbLb0EES1P_EEDaS1K_S1L_EUlS1K_E_NS1_11comp_targetILNS1_3genE4ELNS1_11target_archE910ELNS1_3gpuE8ELNS1_3repE0EEENS1_30default_config_static_selectorELNS0_4arch9wavefront6targetE1EEEvSY_
                                        ; -- End function
	.set _ZN7rocprim17ROCPRIM_400000_NS6detail17trampoline_kernelINS0_13select_configILj256ELj13ELNS0_17block_load_methodE3ELS4_3ELS4_3ELNS0_20block_scan_algorithmE0ELj4294967295EEENS1_25partition_config_selectorILNS1_17partition_subalgoE3EjNS0_10empty_typeEbEEZZNS1_14partition_implILS8_3ELb0ES6_jNS0_17counting_iteratorIjlEEPS9_SE_NS0_5tupleIJPjSE_EEENSF_IJSE_SE_EEES9_SG_JZNS1_25segmented_radix_sort_implINS0_14default_configELb1EPKhPhPKlPlN2at6native12_GLOBAL__N_18offset_tEEE10hipError_tPvRmT1_PNSt15iterator_traitsISY_E10value_typeET2_T3_PNSZ_IS14_E10value_typeET4_jRbjT5_S1A_jjP12ihipStream_tbEUljE_EEESV_SW_SX_S14_S18_S1A_T6_T7_T9_mT8_S1C_bDpT10_ENKUlT_T0_E_clISt17integral_constantIbLb0EES1P_EEDaS1K_S1L_EUlS1K_E_NS1_11comp_targetILNS1_3genE4ELNS1_11target_archE910ELNS1_3gpuE8ELNS1_3repE0EEENS1_30default_config_static_selectorELNS0_4arch9wavefront6targetE1EEEvSY_.num_vgpr, 0
	.set _ZN7rocprim17ROCPRIM_400000_NS6detail17trampoline_kernelINS0_13select_configILj256ELj13ELNS0_17block_load_methodE3ELS4_3ELS4_3ELNS0_20block_scan_algorithmE0ELj4294967295EEENS1_25partition_config_selectorILNS1_17partition_subalgoE3EjNS0_10empty_typeEbEEZZNS1_14partition_implILS8_3ELb0ES6_jNS0_17counting_iteratorIjlEEPS9_SE_NS0_5tupleIJPjSE_EEENSF_IJSE_SE_EEES9_SG_JZNS1_25segmented_radix_sort_implINS0_14default_configELb1EPKhPhPKlPlN2at6native12_GLOBAL__N_18offset_tEEE10hipError_tPvRmT1_PNSt15iterator_traitsISY_E10value_typeET2_T3_PNSZ_IS14_E10value_typeET4_jRbjT5_S1A_jjP12ihipStream_tbEUljE_EEESV_SW_SX_S14_S18_S1A_T6_T7_T9_mT8_S1C_bDpT10_ENKUlT_T0_E_clISt17integral_constantIbLb0EES1P_EEDaS1K_S1L_EUlS1K_E_NS1_11comp_targetILNS1_3genE4ELNS1_11target_archE910ELNS1_3gpuE8ELNS1_3repE0EEENS1_30default_config_static_selectorELNS0_4arch9wavefront6targetE1EEEvSY_.num_agpr, 0
	.set _ZN7rocprim17ROCPRIM_400000_NS6detail17trampoline_kernelINS0_13select_configILj256ELj13ELNS0_17block_load_methodE3ELS4_3ELS4_3ELNS0_20block_scan_algorithmE0ELj4294967295EEENS1_25partition_config_selectorILNS1_17partition_subalgoE3EjNS0_10empty_typeEbEEZZNS1_14partition_implILS8_3ELb0ES6_jNS0_17counting_iteratorIjlEEPS9_SE_NS0_5tupleIJPjSE_EEENSF_IJSE_SE_EEES9_SG_JZNS1_25segmented_radix_sort_implINS0_14default_configELb1EPKhPhPKlPlN2at6native12_GLOBAL__N_18offset_tEEE10hipError_tPvRmT1_PNSt15iterator_traitsISY_E10value_typeET2_T3_PNSZ_IS14_E10value_typeET4_jRbjT5_S1A_jjP12ihipStream_tbEUljE_EEESV_SW_SX_S14_S18_S1A_T6_T7_T9_mT8_S1C_bDpT10_ENKUlT_T0_E_clISt17integral_constantIbLb0EES1P_EEDaS1K_S1L_EUlS1K_E_NS1_11comp_targetILNS1_3genE4ELNS1_11target_archE910ELNS1_3gpuE8ELNS1_3repE0EEENS1_30default_config_static_selectorELNS0_4arch9wavefront6targetE1EEEvSY_.numbered_sgpr, 0
	.set _ZN7rocprim17ROCPRIM_400000_NS6detail17trampoline_kernelINS0_13select_configILj256ELj13ELNS0_17block_load_methodE3ELS4_3ELS4_3ELNS0_20block_scan_algorithmE0ELj4294967295EEENS1_25partition_config_selectorILNS1_17partition_subalgoE3EjNS0_10empty_typeEbEEZZNS1_14partition_implILS8_3ELb0ES6_jNS0_17counting_iteratorIjlEEPS9_SE_NS0_5tupleIJPjSE_EEENSF_IJSE_SE_EEES9_SG_JZNS1_25segmented_radix_sort_implINS0_14default_configELb1EPKhPhPKlPlN2at6native12_GLOBAL__N_18offset_tEEE10hipError_tPvRmT1_PNSt15iterator_traitsISY_E10value_typeET2_T3_PNSZ_IS14_E10value_typeET4_jRbjT5_S1A_jjP12ihipStream_tbEUljE_EEESV_SW_SX_S14_S18_S1A_T6_T7_T9_mT8_S1C_bDpT10_ENKUlT_T0_E_clISt17integral_constantIbLb0EES1P_EEDaS1K_S1L_EUlS1K_E_NS1_11comp_targetILNS1_3genE4ELNS1_11target_archE910ELNS1_3gpuE8ELNS1_3repE0EEENS1_30default_config_static_selectorELNS0_4arch9wavefront6targetE1EEEvSY_.num_named_barrier, 0
	.set _ZN7rocprim17ROCPRIM_400000_NS6detail17trampoline_kernelINS0_13select_configILj256ELj13ELNS0_17block_load_methodE3ELS4_3ELS4_3ELNS0_20block_scan_algorithmE0ELj4294967295EEENS1_25partition_config_selectorILNS1_17partition_subalgoE3EjNS0_10empty_typeEbEEZZNS1_14partition_implILS8_3ELb0ES6_jNS0_17counting_iteratorIjlEEPS9_SE_NS0_5tupleIJPjSE_EEENSF_IJSE_SE_EEES9_SG_JZNS1_25segmented_radix_sort_implINS0_14default_configELb1EPKhPhPKlPlN2at6native12_GLOBAL__N_18offset_tEEE10hipError_tPvRmT1_PNSt15iterator_traitsISY_E10value_typeET2_T3_PNSZ_IS14_E10value_typeET4_jRbjT5_S1A_jjP12ihipStream_tbEUljE_EEESV_SW_SX_S14_S18_S1A_T6_T7_T9_mT8_S1C_bDpT10_ENKUlT_T0_E_clISt17integral_constantIbLb0EES1P_EEDaS1K_S1L_EUlS1K_E_NS1_11comp_targetILNS1_3genE4ELNS1_11target_archE910ELNS1_3gpuE8ELNS1_3repE0EEENS1_30default_config_static_selectorELNS0_4arch9wavefront6targetE1EEEvSY_.private_seg_size, 0
	.set _ZN7rocprim17ROCPRIM_400000_NS6detail17trampoline_kernelINS0_13select_configILj256ELj13ELNS0_17block_load_methodE3ELS4_3ELS4_3ELNS0_20block_scan_algorithmE0ELj4294967295EEENS1_25partition_config_selectorILNS1_17partition_subalgoE3EjNS0_10empty_typeEbEEZZNS1_14partition_implILS8_3ELb0ES6_jNS0_17counting_iteratorIjlEEPS9_SE_NS0_5tupleIJPjSE_EEENSF_IJSE_SE_EEES9_SG_JZNS1_25segmented_radix_sort_implINS0_14default_configELb1EPKhPhPKlPlN2at6native12_GLOBAL__N_18offset_tEEE10hipError_tPvRmT1_PNSt15iterator_traitsISY_E10value_typeET2_T3_PNSZ_IS14_E10value_typeET4_jRbjT5_S1A_jjP12ihipStream_tbEUljE_EEESV_SW_SX_S14_S18_S1A_T6_T7_T9_mT8_S1C_bDpT10_ENKUlT_T0_E_clISt17integral_constantIbLb0EES1P_EEDaS1K_S1L_EUlS1K_E_NS1_11comp_targetILNS1_3genE4ELNS1_11target_archE910ELNS1_3gpuE8ELNS1_3repE0EEENS1_30default_config_static_selectorELNS0_4arch9wavefront6targetE1EEEvSY_.uses_vcc, 0
	.set _ZN7rocprim17ROCPRIM_400000_NS6detail17trampoline_kernelINS0_13select_configILj256ELj13ELNS0_17block_load_methodE3ELS4_3ELS4_3ELNS0_20block_scan_algorithmE0ELj4294967295EEENS1_25partition_config_selectorILNS1_17partition_subalgoE3EjNS0_10empty_typeEbEEZZNS1_14partition_implILS8_3ELb0ES6_jNS0_17counting_iteratorIjlEEPS9_SE_NS0_5tupleIJPjSE_EEENSF_IJSE_SE_EEES9_SG_JZNS1_25segmented_radix_sort_implINS0_14default_configELb1EPKhPhPKlPlN2at6native12_GLOBAL__N_18offset_tEEE10hipError_tPvRmT1_PNSt15iterator_traitsISY_E10value_typeET2_T3_PNSZ_IS14_E10value_typeET4_jRbjT5_S1A_jjP12ihipStream_tbEUljE_EEESV_SW_SX_S14_S18_S1A_T6_T7_T9_mT8_S1C_bDpT10_ENKUlT_T0_E_clISt17integral_constantIbLb0EES1P_EEDaS1K_S1L_EUlS1K_E_NS1_11comp_targetILNS1_3genE4ELNS1_11target_archE910ELNS1_3gpuE8ELNS1_3repE0EEENS1_30default_config_static_selectorELNS0_4arch9wavefront6targetE1EEEvSY_.uses_flat_scratch, 0
	.set _ZN7rocprim17ROCPRIM_400000_NS6detail17trampoline_kernelINS0_13select_configILj256ELj13ELNS0_17block_load_methodE3ELS4_3ELS4_3ELNS0_20block_scan_algorithmE0ELj4294967295EEENS1_25partition_config_selectorILNS1_17partition_subalgoE3EjNS0_10empty_typeEbEEZZNS1_14partition_implILS8_3ELb0ES6_jNS0_17counting_iteratorIjlEEPS9_SE_NS0_5tupleIJPjSE_EEENSF_IJSE_SE_EEES9_SG_JZNS1_25segmented_radix_sort_implINS0_14default_configELb1EPKhPhPKlPlN2at6native12_GLOBAL__N_18offset_tEEE10hipError_tPvRmT1_PNSt15iterator_traitsISY_E10value_typeET2_T3_PNSZ_IS14_E10value_typeET4_jRbjT5_S1A_jjP12ihipStream_tbEUljE_EEESV_SW_SX_S14_S18_S1A_T6_T7_T9_mT8_S1C_bDpT10_ENKUlT_T0_E_clISt17integral_constantIbLb0EES1P_EEDaS1K_S1L_EUlS1K_E_NS1_11comp_targetILNS1_3genE4ELNS1_11target_archE910ELNS1_3gpuE8ELNS1_3repE0EEENS1_30default_config_static_selectorELNS0_4arch9wavefront6targetE1EEEvSY_.has_dyn_sized_stack, 0
	.set _ZN7rocprim17ROCPRIM_400000_NS6detail17trampoline_kernelINS0_13select_configILj256ELj13ELNS0_17block_load_methodE3ELS4_3ELS4_3ELNS0_20block_scan_algorithmE0ELj4294967295EEENS1_25partition_config_selectorILNS1_17partition_subalgoE3EjNS0_10empty_typeEbEEZZNS1_14partition_implILS8_3ELb0ES6_jNS0_17counting_iteratorIjlEEPS9_SE_NS0_5tupleIJPjSE_EEENSF_IJSE_SE_EEES9_SG_JZNS1_25segmented_radix_sort_implINS0_14default_configELb1EPKhPhPKlPlN2at6native12_GLOBAL__N_18offset_tEEE10hipError_tPvRmT1_PNSt15iterator_traitsISY_E10value_typeET2_T3_PNSZ_IS14_E10value_typeET4_jRbjT5_S1A_jjP12ihipStream_tbEUljE_EEESV_SW_SX_S14_S18_S1A_T6_T7_T9_mT8_S1C_bDpT10_ENKUlT_T0_E_clISt17integral_constantIbLb0EES1P_EEDaS1K_S1L_EUlS1K_E_NS1_11comp_targetILNS1_3genE4ELNS1_11target_archE910ELNS1_3gpuE8ELNS1_3repE0EEENS1_30default_config_static_selectorELNS0_4arch9wavefront6targetE1EEEvSY_.has_recursion, 0
	.set _ZN7rocprim17ROCPRIM_400000_NS6detail17trampoline_kernelINS0_13select_configILj256ELj13ELNS0_17block_load_methodE3ELS4_3ELS4_3ELNS0_20block_scan_algorithmE0ELj4294967295EEENS1_25partition_config_selectorILNS1_17partition_subalgoE3EjNS0_10empty_typeEbEEZZNS1_14partition_implILS8_3ELb0ES6_jNS0_17counting_iteratorIjlEEPS9_SE_NS0_5tupleIJPjSE_EEENSF_IJSE_SE_EEES9_SG_JZNS1_25segmented_radix_sort_implINS0_14default_configELb1EPKhPhPKlPlN2at6native12_GLOBAL__N_18offset_tEEE10hipError_tPvRmT1_PNSt15iterator_traitsISY_E10value_typeET2_T3_PNSZ_IS14_E10value_typeET4_jRbjT5_S1A_jjP12ihipStream_tbEUljE_EEESV_SW_SX_S14_S18_S1A_T6_T7_T9_mT8_S1C_bDpT10_ENKUlT_T0_E_clISt17integral_constantIbLb0EES1P_EEDaS1K_S1L_EUlS1K_E_NS1_11comp_targetILNS1_3genE4ELNS1_11target_archE910ELNS1_3gpuE8ELNS1_3repE0EEENS1_30default_config_static_selectorELNS0_4arch9wavefront6targetE1EEEvSY_.has_indirect_call, 0
	.section	.AMDGPU.csdata,"",@progbits
; Kernel info:
; codeLenInByte = 0
; TotalNumSgprs: 4
; NumVgprs: 0
; ScratchSize: 0
; MemoryBound: 0
; FloatMode: 240
; IeeeMode: 1
; LDSByteSize: 0 bytes/workgroup (compile time only)
; SGPRBlocks: 0
; VGPRBlocks: 0
; NumSGPRsForWavesPerEU: 4
; NumVGPRsForWavesPerEU: 1
; Occupancy: 10
; WaveLimiterHint : 0
; COMPUTE_PGM_RSRC2:SCRATCH_EN: 0
; COMPUTE_PGM_RSRC2:USER_SGPR: 6
; COMPUTE_PGM_RSRC2:TRAP_HANDLER: 0
; COMPUTE_PGM_RSRC2:TGID_X_EN: 1
; COMPUTE_PGM_RSRC2:TGID_Y_EN: 0
; COMPUTE_PGM_RSRC2:TGID_Z_EN: 0
; COMPUTE_PGM_RSRC2:TIDIG_COMP_CNT: 0
	.section	.text._ZN7rocprim17ROCPRIM_400000_NS6detail17trampoline_kernelINS0_13select_configILj256ELj13ELNS0_17block_load_methodE3ELS4_3ELS4_3ELNS0_20block_scan_algorithmE0ELj4294967295EEENS1_25partition_config_selectorILNS1_17partition_subalgoE3EjNS0_10empty_typeEbEEZZNS1_14partition_implILS8_3ELb0ES6_jNS0_17counting_iteratorIjlEEPS9_SE_NS0_5tupleIJPjSE_EEENSF_IJSE_SE_EEES9_SG_JZNS1_25segmented_radix_sort_implINS0_14default_configELb1EPKhPhPKlPlN2at6native12_GLOBAL__N_18offset_tEEE10hipError_tPvRmT1_PNSt15iterator_traitsISY_E10value_typeET2_T3_PNSZ_IS14_E10value_typeET4_jRbjT5_S1A_jjP12ihipStream_tbEUljE_EEESV_SW_SX_S14_S18_S1A_T6_T7_T9_mT8_S1C_bDpT10_ENKUlT_T0_E_clISt17integral_constantIbLb0EES1P_EEDaS1K_S1L_EUlS1K_E_NS1_11comp_targetILNS1_3genE3ELNS1_11target_archE908ELNS1_3gpuE7ELNS1_3repE0EEENS1_30default_config_static_selectorELNS0_4arch9wavefront6targetE1EEEvSY_,"axG",@progbits,_ZN7rocprim17ROCPRIM_400000_NS6detail17trampoline_kernelINS0_13select_configILj256ELj13ELNS0_17block_load_methodE3ELS4_3ELS4_3ELNS0_20block_scan_algorithmE0ELj4294967295EEENS1_25partition_config_selectorILNS1_17partition_subalgoE3EjNS0_10empty_typeEbEEZZNS1_14partition_implILS8_3ELb0ES6_jNS0_17counting_iteratorIjlEEPS9_SE_NS0_5tupleIJPjSE_EEENSF_IJSE_SE_EEES9_SG_JZNS1_25segmented_radix_sort_implINS0_14default_configELb1EPKhPhPKlPlN2at6native12_GLOBAL__N_18offset_tEEE10hipError_tPvRmT1_PNSt15iterator_traitsISY_E10value_typeET2_T3_PNSZ_IS14_E10value_typeET4_jRbjT5_S1A_jjP12ihipStream_tbEUljE_EEESV_SW_SX_S14_S18_S1A_T6_T7_T9_mT8_S1C_bDpT10_ENKUlT_T0_E_clISt17integral_constantIbLb0EES1P_EEDaS1K_S1L_EUlS1K_E_NS1_11comp_targetILNS1_3genE3ELNS1_11target_archE908ELNS1_3gpuE7ELNS1_3repE0EEENS1_30default_config_static_selectorELNS0_4arch9wavefront6targetE1EEEvSY_,comdat
	.globl	_ZN7rocprim17ROCPRIM_400000_NS6detail17trampoline_kernelINS0_13select_configILj256ELj13ELNS0_17block_load_methodE3ELS4_3ELS4_3ELNS0_20block_scan_algorithmE0ELj4294967295EEENS1_25partition_config_selectorILNS1_17partition_subalgoE3EjNS0_10empty_typeEbEEZZNS1_14partition_implILS8_3ELb0ES6_jNS0_17counting_iteratorIjlEEPS9_SE_NS0_5tupleIJPjSE_EEENSF_IJSE_SE_EEES9_SG_JZNS1_25segmented_radix_sort_implINS0_14default_configELb1EPKhPhPKlPlN2at6native12_GLOBAL__N_18offset_tEEE10hipError_tPvRmT1_PNSt15iterator_traitsISY_E10value_typeET2_T3_PNSZ_IS14_E10value_typeET4_jRbjT5_S1A_jjP12ihipStream_tbEUljE_EEESV_SW_SX_S14_S18_S1A_T6_T7_T9_mT8_S1C_bDpT10_ENKUlT_T0_E_clISt17integral_constantIbLb0EES1P_EEDaS1K_S1L_EUlS1K_E_NS1_11comp_targetILNS1_3genE3ELNS1_11target_archE908ELNS1_3gpuE7ELNS1_3repE0EEENS1_30default_config_static_selectorELNS0_4arch9wavefront6targetE1EEEvSY_ ; -- Begin function _ZN7rocprim17ROCPRIM_400000_NS6detail17trampoline_kernelINS0_13select_configILj256ELj13ELNS0_17block_load_methodE3ELS4_3ELS4_3ELNS0_20block_scan_algorithmE0ELj4294967295EEENS1_25partition_config_selectorILNS1_17partition_subalgoE3EjNS0_10empty_typeEbEEZZNS1_14partition_implILS8_3ELb0ES6_jNS0_17counting_iteratorIjlEEPS9_SE_NS0_5tupleIJPjSE_EEENSF_IJSE_SE_EEES9_SG_JZNS1_25segmented_radix_sort_implINS0_14default_configELb1EPKhPhPKlPlN2at6native12_GLOBAL__N_18offset_tEEE10hipError_tPvRmT1_PNSt15iterator_traitsISY_E10value_typeET2_T3_PNSZ_IS14_E10value_typeET4_jRbjT5_S1A_jjP12ihipStream_tbEUljE_EEESV_SW_SX_S14_S18_S1A_T6_T7_T9_mT8_S1C_bDpT10_ENKUlT_T0_E_clISt17integral_constantIbLb0EES1P_EEDaS1K_S1L_EUlS1K_E_NS1_11comp_targetILNS1_3genE3ELNS1_11target_archE908ELNS1_3gpuE7ELNS1_3repE0EEENS1_30default_config_static_selectorELNS0_4arch9wavefront6targetE1EEEvSY_
	.p2align	8
	.type	_ZN7rocprim17ROCPRIM_400000_NS6detail17trampoline_kernelINS0_13select_configILj256ELj13ELNS0_17block_load_methodE3ELS4_3ELS4_3ELNS0_20block_scan_algorithmE0ELj4294967295EEENS1_25partition_config_selectorILNS1_17partition_subalgoE3EjNS0_10empty_typeEbEEZZNS1_14partition_implILS8_3ELb0ES6_jNS0_17counting_iteratorIjlEEPS9_SE_NS0_5tupleIJPjSE_EEENSF_IJSE_SE_EEES9_SG_JZNS1_25segmented_radix_sort_implINS0_14default_configELb1EPKhPhPKlPlN2at6native12_GLOBAL__N_18offset_tEEE10hipError_tPvRmT1_PNSt15iterator_traitsISY_E10value_typeET2_T3_PNSZ_IS14_E10value_typeET4_jRbjT5_S1A_jjP12ihipStream_tbEUljE_EEESV_SW_SX_S14_S18_S1A_T6_T7_T9_mT8_S1C_bDpT10_ENKUlT_T0_E_clISt17integral_constantIbLb0EES1P_EEDaS1K_S1L_EUlS1K_E_NS1_11comp_targetILNS1_3genE3ELNS1_11target_archE908ELNS1_3gpuE7ELNS1_3repE0EEENS1_30default_config_static_selectorELNS0_4arch9wavefront6targetE1EEEvSY_,@function
_ZN7rocprim17ROCPRIM_400000_NS6detail17trampoline_kernelINS0_13select_configILj256ELj13ELNS0_17block_load_methodE3ELS4_3ELS4_3ELNS0_20block_scan_algorithmE0ELj4294967295EEENS1_25partition_config_selectorILNS1_17partition_subalgoE3EjNS0_10empty_typeEbEEZZNS1_14partition_implILS8_3ELb0ES6_jNS0_17counting_iteratorIjlEEPS9_SE_NS0_5tupleIJPjSE_EEENSF_IJSE_SE_EEES9_SG_JZNS1_25segmented_radix_sort_implINS0_14default_configELb1EPKhPhPKlPlN2at6native12_GLOBAL__N_18offset_tEEE10hipError_tPvRmT1_PNSt15iterator_traitsISY_E10value_typeET2_T3_PNSZ_IS14_E10value_typeET4_jRbjT5_S1A_jjP12ihipStream_tbEUljE_EEESV_SW_SX_S14_S18_S1A_T6_T7_T9_mT8_S1C_bDpT10_ENKUlT_T0_E_clISt17integral_constantIbLb0EES1P_EEDaS1K_S1L_EUlS1K_E_NS1_11comp_targetILNS1_3genE3ELNS1_11target_archE908ELNS1_3gpuE7ELNS1_3repE0EEENS1_30default_config_static_selectorELNS0_4arch9wavefront6targetE1EEEvSY_: ; @_ZN7rocprim17ROCPRIM_400000_NS6detail17trampoline_kernelINS0_13select_configILj256ELj13ELNS0_17block_load_methodE3ELS4_3ELS4_3ELNS0_20block_scan_algorithmE0ELj4294967295EEENS1_25partition_config_selectorILNS1_17partition_subalgoE3EjNS0_10empty_typeEbEEZZNS1_14partition_implILS8_3ELb0ES6_jNS0_17counting_iteratorIjlEEPS9_SE_NS0_5tupleIJPjSE_EEENSF_IJSE_SE_EEES9_SG_JZNS1_25segmented_radix_sort_implINS0_14default_configELb1EPKhPhPKlPlN2at6native12_GLOBAL__N_18offset_tEEE10hipError_tPvRmT1_PNSt15iterator_traitsISY_E10value_typeET2_T3_PNSZ_IS14_E10value_typeET4_jRbjT5_S1A_jjP12ihipStream_tbEUljE_EEESV_SW_SX_S14_S18_S1A_T6_T7_T9_mT8_S1C_bDpT10_ENKUlT_T0_E_clISt17integral_constantIbLb0EES1P_EEDaS1K_S1L_EUlS1K_E_NS1_11comp_targetILNS1_3genE3ELNS1_11target_archE908ELNS1_3gpuE7ELNS1_3repE0EEENS1_30default_config_static_selectorELNS0_4arch9wavefront6targetE1EEEvSY_
; %bb.0:
	.section	.rodata,"a",@progbits
	.p2align	6, 0x0
	.amdhsa_kernel _ZN7rocprim17ROCPRIM_400000_NS6detail17trampoline_kernelINS0_13select_configILj256ELj13ELNS0_17block_load_methodE3ELS4_3ELS4_3ELNS0_20block_scan_algorithmE0ELj4294967295EEENS1_25partition_config_selectorILNS1_17partition_subalgoE3EjNS0_10empty_typeEbEEZZNS1_14partition_implILS8_3ELb0ES6_jNS0_17counting_iteratorIjlEEPS9_SE_NS0_5tupleIJPjSE_EEENSF_IJSE_SE_EEES9_SG_JZNS1_25segmented_radix_sort_implINS0_14default_configELb1EPKhPhPKlPlN2at6native12_GLOBAL__N_18offset_tEEE10hipError_tPvRmT1_PNSt15iterator_traitsISY_E10value_typeET2_T3_PNSZ_IS14_E10value_typeET4_jRbjT5_S1A_jjP12ihipStream_tbEUljE_EEESV_SW_SX_S14_S18_S1A_T6_T7_T9_mT8_S1C_bDpT10_ENKUlT_T0_E_clISt17integral_constantIbLb0EES1P_EEDaS1K_S1L_EUlS1K_E_NS1_11comp_targetILNS1_3genE3ELNS1_11target_archE908ELNS1_3gpuE7ELNS1_3repE0EEENS1_30default_config_static_selectorELNS0_4arch9wavefront6targetE1EEEvSY_
		.amdhsa_group_segment_fixed_size 0
		.amdhsa_private_segment_fixed_size 0
		.amdhsa_kernarg_size 144
		.amdhsa_user_sgpr_count 6
		.amdhsa_user_sgpr_private_segment_buffer 1
		.amdhsa_user_sgpr_dispatch_ptr 0
		.amdhsa_user_sgpr_queue_ptr 0
		.amdhsa_user_sgpr_kernarg_segment_ptr 1
		.amdhsa_user_sgpr_dispatch_id 0
		.amdhsa_user_sgpr_flat_scratch_init 0
		.amdhsa_user_sgpr_private_segment_size 0
		.amdhsa_uses_dynamic_stack 0
		.amdhsa_system_sgpr_private_segment_wavefront_offset 0
		.amdhsa_system_sgpr_workgroup_id_x 1
		.amdhsa_system_sgpr_workgroup_id_y 0
		.amdhsa_system_sgpr_workgroup_id_z 0
		.amdhsa_system_sgpr_workgroup_info 0
		.amdhsa_system_vgpr_workitem_id 0
		.amdhsa_next_free_vgpr 1
		.amdhsa_next_free_sgpr 0
		.amdhsa_reserve_vcc 0
		.amdhsa_reserve_flat_scratch 0
		.amdhsa_float_round_mode_32 0
		.amdhsa_float_round_mode_16_64 0
		.amdhsa_float_denorm_mode_32 3
		.amdhsa_float_denorm_mode_16_64 3
		.amdhsa_dx10_clamp 1
		.amdhsa_ieee_mode 1
		.amdhsa_fp16_overflow 0
		.amdhsa_exception_fp_ieee_invalid_op 0
		.amdhsa_exception_fp_denorm_src 0
		.amdhsa_exception_fp_ieee_div_zero 0
		.amdhsa_exception_fp_ieee_overflow 0
		.amdhsa_exception_fp_ieee_underflow 0
		.amdhsa_exception_fp_ieee_inexact 0
		.amdhsa_exception_int_div_zero 0
	.end_amdhsa_kernel
	.section	.text._ZN7rocprim17ROCPRIM_400000_NS6detail17trampoline_kernelINS0_13select_configILj256ELj13ELNS0_17block_load_methodE3ELS4_3ELS4_3ELNS0_20block_scan_algorithmE0ELj4294967295EEENS1_25partition_config_selectorILNS1_17partition_subalgoE3EjNS0_10empty_typeEbEEZZNS1_14partition_implILS8_3ELb0ES6_jNS0_17counting_iteratorIjlEEPS9_SE_NS0_5tupleIJPjSE_EEENSF_IJSE_SE_EEES9_SG_JZNS1_25segmented_radix_sort_implINS0_14default_configELb1EPKhPhPKlPlN2at6native12_GLOBAL__N_18offset_tEEE10hipError_tPvRmT1_PNSt15iterator_traitsISY_E10value_typeET2_T3_PNSZ_IS14_E10value_typeET4_jRbjT5_S1A_jjP12ihipStream_tbEUljE_EEESV_SW_SX_S14_S18_S1A_T6_T7_T9_mT8_S1C_bDpT10_ENKUlT_T0_E_clISt17integral_constantIbLb0EES1P_EEDaS1K_S1L_EUlS1K_E_NS1_11comp_targetILNS1_3genE3ELNS1_11target_archE908ELNS1_3gpuE7ELNS1_3repE0EEENS1_30default_config_static_selectorELNS0_4arch9wavefront6targetE1EEEvSY_,"axG",@progbits,_ZN7rocprim17ROCPRIM_400000_NS6detail17trampoline_kernelINS0_13select_configILj256ELj13ELNS0_17block_load_methodE3ELS4_3ELS4_3ELNS0_20block_scan_algorithmE0ELj4294967295EEENS1_25partition_config_selectorILNS1_17partition_subalgoE3EjNS0_10empty_typeEbEEZZNS1_14partition_implILS8_3ELb0ES6_jNS0_17counting_iteratorIjlEEPS9_SE_NS0_5tupleIJPjSE_EEENSF_IJSE_SE_EEES9_SG_JZNS1_25segmented_radix_sort_implINS0_14default_configELb1EPKhPhPKlPlN2at6native12_GLOBAL__N_18offset_tEEE10hipError_tPvRmT1_PNSt15iterator_traitsISY_E10value_typeET2_T3_PNSZ_IS14_E10value_typeET4_jRbjT5_S1A_jjP12ihipStream_tbEUljE_EEESV_SW_SX_S14_S18_S1A_T6_T7_T9_mT8_S1C_bDpT10_ENKUlT_T0_E_clISt17integral_constantIbLb0EES1P_EEDaS1K_S1L_EUlS1K_E_NS1_11comp_targetILNS1_3genE3ELNS1_11target_archE908ELNS1_3gpuE7ELNS1_3repE0EEENS1_30default_config_static_selectorELNS0_4arch9wavefront6targetE1EEEvSY_,comdat
.Lfunc_end51:
	.size	_ZN7rocprim17ROCPRIM_400000_NS6detail17trampoline_kernelINS0_13select_configILj256ELj13ELNS0_17block_load_methodE3ELS4_3ELS4_3ELNS0_20block_scan_algorithmE0ELj4294967295EEENS1_25partition_config_selectorILNS1_17partition_subalgoE3EjNS0_10empty_typeEbEEZZNS1_14partition_implILS8_3ELb0ES6_jNS0_17counting_iteratorIjlEEPS9_SE_NS0_5tupleIJPjSE_EEENSF_IJSE_SE_EEES9_SG_JZNS1_25segmented_radix_sort_implINS0_14default_configELb1EPKhPhPKlPlN2at6native12_GLOBAL__N_18offset_tEEE10hipError_tPvRmT1_PNSt15iterator_traitsISY_E10value_typeET2_T3_PNSZ_IS14_E10value_typeET4_jRbjT5_S1A_jjP12ihipStream_tbEUljE_EEESV_SW_SX_S14_S18_S1A_T6_T7_T9_mT8_S1C_bDpT10_ENKUlT_T0_E_clISt17integral_constantIbLb0EES1P_EEDaS1K_S1L_EUlS1K_E_NS1_11comp_targetILNS1_3genE3ELNS1_11target_archE908ELNS1_3gpuE7ELNS1_3repE0EEENS1_30default_config_static_selectorELNS0_4arch9wavefront6targetE1EEEvSY_, .Lfunc_end51-_ZN7rocprim17ROCPRIM_400000_NS6detail17trampoline_kernelINS0_13select_configILj256ELj13ELNS0_17block_load_methodE3ELS4_3ELS4_3ELNS0_20block_scan_algorithmE0ELj4294967295EEENS1_25partition_config_selectorILNS1_17partition_subalgoE3EjNS0_10empty_typeEbEEZZNS1_14partition_implILS8_3ELb0ES6_jNS0_17counting_iteratorIjlEEPS9_SE_NS0_5tupleIJPjSE_EEENSF_IJSE_SE_EEES9_SG_JZNS1_25segmented_radix_sort_implINS0_14default_configELb1EPKhPhPKlPlN2at6native12_GLOBAL__N_18offset_tEEE10hipError_tPvRmT1_PNSt15iterator_traitsISY_E10value_typeET2_T3_PNSZ_IS14_E10value_typeET4_jRbjT5_S1A_jjP12ihipStream_tbEUljE_EEESV_SW_SX_S14_S18_S1A_T6_T7_T9_mT8_S1C_bDpT10_ENKUlT_T0_E_clISt17integral_constantIbLb0EES1P_EEDaS1K_S1L_EUlS1K_E_NS1_11comp_targetILNS1_3genE3ELNS1_11target_archE908ELNS1_3gpuE7ELNS1_3repE0EEENS1_30default_config_static_selectorELNS0_4arch9wavefront6targetE1EEEvSY_
                                        ; -- End function
	.set _ZN7rocprim17ROCPRIM_400000_NS6detail17trampoline_kernelINS0_13select_configILj256ELj13ELNS0_17block_load_methodE3ELS4_3ELS4_3ELNS0_20block_scan_algorithmE0ELj4294967295EEENS1_25partition_config_selectorILNS1_17partition_subalgoE3EjNS0_10empty_typeEbEEZZNS1_14partition_implILS8_3ELb0ES6_jNS0_17counting_iteratorIjlEEPS9_SE_NS0_5tupleIJPjSE_EEENSF_IJSE_SE_EEES9_SG_JZNS1_25segmented_radix_sort_implINS0_14default_configELb1EPKhPhPKlPlN2at6native12_GLOBAL__N_18offset_tEEE10hipError_tPvRmT1_PNSt15iterator_traitsISY_E10value_typeET2_T3_PNSZ_IS14_E10value_typeET4_jRbjT5_S1A_jjP12ihipStream_tbEUljE_EEESV_SW_SX_S14_S18_S1A_T6_T7_T9_mT8_S1C_bDpT10_ENKUlT_T0_E_clISt17integral_constantIbLb0EES1P_EEDaS1K_S1L_EUlS1K_E_NS1_11comp_targetILNS1_3genE3ELNS1_11target_archE908ELNS1_3gpuE7ELNS1_3repE0EEENS1_30default_config_static_selectorELNS0_4arch9wavefront6targetE1EEEvSY_.num_vgpr, 0
	.set _ZN7rocprim17ROCPRIM_400000_NS6detail17trampoline_kernelINS0_13select_configILj256ELj13ELNS0_17block_load_methodE3ELS4_3ELS4_3ELNS0_20block_scan_algorithmE0ELj4294967295EEENS1_25partition_config_selectorILNS1_17partition_subalgoE3EjNS0_10empty_typeEbEEZZNS1_14partition_implILS8_3ELb0ES6_jNS0_17counting_iteratorIjlEEPS9_SE_NS0_5tupleIJPjSE_EEENSF_IJSE_SE_EEES9_SG_JZNS1_25segmented_radix_sort_implINS0_14default_configELb1EPKhPhPKlPlN2at6native12_GLOBAL__N_18offset_tEEE10hipError_tPvRmT1_PNSt15iterator_traitsISY_E10value_typeET2_T3_PNSZ_IS14_E10value_typeET4_jRbjT5_S1A_jjP12ihipStream_tbEUljE_EEESV_SW_SX_S14_S18_S1A_T6_T7_T9_mT8_S1C_bDpT10_ENKUlT_T0_E_clISt17integral_constantIbLb0EES1P_EEDaS1K_S1L_EUlS1K_E_NS1_11comp_targetILNS1_3genE3ELNS1_11target_archE908ELNS1_3gpuE7ELNS1_3repE0EEENS1_30default_config_static_selectorELNS0_4arch9wavefront6targetE1EEEvSY_.num_agpr, 0
	.set _ZN7rocprim17ROCPRIM_400000_NS6detail17trampoline_kernelINS0_13select_configILj256ELj13ELNS0_17block_load_methodE3ELS4_3ELS4_3ELNS0_20block_scan_algorithmE0ELj4294967295EEENS1_25partition_config_selectorILNS1_17partition_subalgoE3EjNS0_10empty_typeEbEEZZNS1_14partition_implILS8_3ELb0ES6_jNS0_17counting_iteratorIjlEEPS9_SE_NS0_5tupleIJPjSE_EEENSF_IJSE_SE_EEES9_SG_JZNS1_25segmented_radix_sort_implINS0_14default_configELb1EPKhPhPKlPlN2at6native12_GLOBAL__N_18offset_tEEE10hipError_tPvRmT1_PNSt15iterator_traitsISY_E10value_typeET2_T3_PNSZ_IS14_E10value_typeET4_jRbjT5_S1A_jjP12ihipStream_tbEUljE_EEESV_SW_SX_S14_S18_S1A_T6_T7_T9_mT8_S1C_bDpT10_ENKUlT_T0_E_clISt17integral_constantIbLb0EES1P_EEDaS1K_S1L_EUlS1K_E_NS1_11comp_targetILNS1_3genE3ELNS1_11target_archE908ELNS1_3gpuE7ELNS1_3repE0EEENS1_30default_config_static_selectorELNS0_4arch9wavefront6targetE1EEEvSY_.numbered_sgpr, 0
	.set _ZN7rocprim17ROCPRIM_400000_NS6detail17trampoline_kernelINS0_13select_configILj256ELj13ELNS0_17block_load_methodE3ELS4_3ELS4_3ELNS0_20block_scan_algorithmE0ELj4294967295EEENS1_25partition_config_selectorILNS1_17partition_subalgoE3EjNS0_10empty_typeEbEEZZNS1_14partition_implILS8_3ELb0ES6_jNS0_17counting_iteratorIjlEEPS9_SE_NS0_5tupleIJPjSE_EEENSF_IJSE_SE_EEES9_SG_JZNS1_25segmented_radix_sort_implINS0_14default_configELb1EPKhPhPKlPlN2at6native12_GLOBAL__N_18offset_tEEE10hipError_tPvRmT1_PNSt15iterator_traitsISY_E10value_typeET2_T3_PNSZ_IS14_E10value_typeET4_jRbjT5_S1A_jjP12ihipStream_tbEUljE_EEESV_SW_SX_S14_S18_S1A_T6_T7_T9_mT8_S1C_bDpT10_ENKUlT_T0_E_clISt17integral_constantIbLb0EES1P_EEDaS1K_S1L_EUlS1K_E_NS1_11comp_targetILNS1_3genE3ELNS1_11target_archE908ELNS1_3gpuE7ELNS1_3repE0EEENS1_30default_config_static_selectorELNS0_4arch9wavefront6targetE1EEEvSY_.num_named_barrier, 0
	.set _ZN7rocprim17ROCPRIM_400000_NS6detail17trampoline_kernelINS0_13select_configILj256ELj13ELNS0_17block_load_methodE3ELS4_3ELS4_3ELNS0_20block_scan_algorithmE0ELj4294967295EEENS1_25partition_config_selectorILNS1_17partition_subalgoE3EjNS0_10empty_typeEbEEZZNS1_14partition_implILS8_3ELb0ES6_jNS0_17counting_iteratorIjlEEPS9_SE_NS0_5tupleIJPjSE_EEENSF_IJSE_SE_EEES9_SG_JZNS1_25segmented_radix_sort_implINS0_14default_configELb1EPKhPhPKlPlN2at6native12_GLOBAL__N_18offset_tEEE10hipError_tPvRmT1_PNSt15iterator_traitsISY_E10value_typeET2_T3_PNSZ_IS14_E10value_typeET4_jRbjT5_S1A_jjP12ihipStream_tbEUljE_EEESV_SW_SX_S14_S18_S1A_T6_T7_T9_mT8_S1C_bDpT10_ENKUlT_T0_E_clISt17integral_constantIbLb0EES1P_EEDaS1K_S1L_EUlS1K_E_NS1_11comp_targetILNS1_3genE3ELNS1_11target_archE908ELNS1_3gpuE7ELNS1_3repE0EEENS1_30default_config_static_selectorELNS0_4arch9wavefront6targetE1EEEvSY_.private_seg_size, 0
	.set _ZN7rocprim17ROCPRIM_400000_NS6detail17trampoline_kernelINS0_13select_configILj256ELj13ELNS0_17block_load_methodE3ELS4_3ELS4_3ELNS0_20block_scan_algorithmE0ELj4294967295EEENS1_25partition_config_selectorILNS1_17partition_subalgoE3EjNS0_10empty_typeEbEEZZNS1_14partition_implILS8_3ELb0ES6_jNS0_17counting_iteratorIjlEEPS9_SE_NS0_5tupleIJPjSE_EEENSF_IJSE_SE_EEES9_SG_JZNS1_25segmented_radix_sort_implINS0_14default_configELb1EPKhPhPKlPlN2at6native12_GLOBAL__N_18offset_tEEE10hipError_tPvRmT1_PNSt15iterator_traitsISY_E10value_typeET2_T3_PNSZ_IS14_E10value_typeET4_jRbjT5_S1A_jjP12ihipStream_tbEUljE_EEESV_SW_SX_S14_S18_S1A_T6_T7_T9_mT8_S1C_bDpT10_ENKUlT_T0_E_clISt17integral_constantIbLb0EES1P_EEDaS1K_S1L_EUlS1K_E_NS1_11comp_targetILNS1_3genE3ELNS1_11target_archE908ELNS1_3gpuE7ELNS1_3repE0EEENS1_30default_config_static_selectorELNS0_4arch9wavefront6targetE1EEEvSY_.uses_vcc, 0
	.set _ZN7rocprim17ROCPRIM_400000_NS6detail17trampoline_kernelINS0_13select_configILj256ELj13ELNS0_17block_load_methodE3ELS4_3ELS4_3ELNS0_20block_scan_algorithmE0ELj4294967295EEENS1_25partition_config_selectorILNS1_17partition_subalgoE3EjNS0_10empty_typeEbEEZZNS1_14partition_implILS8_3ELb0ES6_jNS0_17counting_iteratorIjlEEPS9_SE_NS0_5tupleIJPjSE_EEENSF_IJSE_SE_EEES9_SG_JZNS1_25segmented_radix_sort_implINS0_14default_configELb1EPKhPhPKlPlN2at6native12_GLOBAL__N_18offset_tEEE10hipError_tPvRmT1_PNSt15iterator_traitsISY_E10value_typeET2_T3_PNSZ_IS14_E10value_typeET4_jRbjT5_S1A_jjP12ihipStream_tbEUljE_EEESV_SW_SX_S14_S18_S1A_T6_T7_T9_mT8_S1C_bDpT10_ENKUlT_T0_E_clISt17integral_constantIbLb0EES1P_EEDaS1K_S1L_EUlS1K_E_NS1_11comp_targetILNS1_3genE3ELNS1_11target_archE908ELNS1_3gpuE7ELNS1_3repE0EEENS1_30default_config_static_selectorELNS0_4arch9wavefront6targetE1EEEvSY_.uses_flat_scratch, 0
	.set _ZN7rocprim17ROCPRIM_400000_NS6detail17trampoline_kernelINS0_13select_configILj256ELj13ELNS0_17block_load_methodE3ELS4_3ELS4_3ELNS0_20block_scan_algorithmE0ELj4294967295EEENS1_25partition_config_selectorILNS1_17partition_subalgoE3EjNS0_10empty_typeEbEEZZNS1_14partition_implILS8_3ELb0ES6_jNS0_17counting_iteratorIjlEEPS9_SE_NS0_5tupleIJPjSE_EEENSF_IJSE_SE_EEES9_SG_JZNS1_25segmented_radix_sort_implINS0_14default_configELb1EPKhPhPKlPlN2at6native12_GLOBAL__N_18offset_tEEE10hipError_tPvRmT1_PNSt15iterator_traitsISY_E10value_typeET2_T3_PNSZ_IS14_E10value_typeET4_jRbjT5_S1A_jjP12ihipStream_tbEUljE_EEESV_SW_SX_S14_S18_S1A_T6_T7_T9_mT8_S1C_bDpT10_ENKUlT_T0_E_clISt17integral_constantIbLb0EES1P_EEDaS1K_S1L_EUlS1K_E_NS1_11comp_targetILNS1_3genE3ELNS1_11target_archE908ELNS1_3gpuE7ELNS1_3repE0EEENS1_30default_config_static_selectorELNS0_4arch9wavefront6targetE1EEEvSY_.has_dyn_sized_stack, 0
	.set _ZN7rocprim17ROCPRIM_400000_NS6detail17trampoline_kernelINS0_13select_configILj256ELj13ELNS0_17block_load_methodE3ELS4_3ELS4_3ELNS0_20block_scan_algorithmE0ELj4294967295EEENS1_25partition_config_selectorILNS1_17partition_subalgoE3EjNS0_10empty_typeEbEEZZNS1_14partition_implILS8_3ELb0ES6_jNS0_17counting_iteratorIjlEEPS9_SE_NS0_5tupleIJPjSE_EEENSF_IJSE_SE_EEES9_SG_JZNS1_25segmented_radix_sort_implINS0_14default_configELb1EPKhPhPKlPlN2at6native12_GLOBAL__N_18offset_tEEE10hipError_tPvRmT1_PNSt15iterator_traitsISY_E10value_typeET2_T3_PNSZ_IS14_E10value_typeET4_jRbjT5_S1A_jjP12ihipStream_tbEUljE_EEESV_SW_SX_S14_S18_S1A_T6_T7_T9_mT8_S1C_bDpT10_ENKUlT_T0_E_clISt17integral_constantIbLb0EES1P_EEDaS1K_S1L_EUlS1K_E_NS1_11comp_targetILNS1_3genE3ELNS1_11target_archE908ELNS1_3gpuE7ELNS1_3repE0EEENS1_30default_config_static_selectorELNS0_4arch9wavefront6targetE1EEEvSY_.has_recursion, 0
	.set _ZN7rocprim17ROCPRIM_400000_NS6detail17trampoline_kernelINS0_13select_configILj256ELj13ELNS0_17block_load_methodE3ELS4_3ELS4_3ELNS0_20block_scan_algorithmE0ELj4294967295EEENS1_25partition_config_selectorILNS1_17partition_subalgoE3EjNS0_10empty_typeEbEEZZNS1_14partition_implILS8_3ELb0ES6_jNS0_17counting_iteratorIjlEEPS9_SE_NS0_5tupleIJPjSE_EEENSF_IJSE_SE_EEES9_SG_JZNS1_25segmented_radix_sort_implINS0_14default_configELb1EPKhPhPKlPlN2at6native12_GLOBAL__N_18offset_tEEE10hipError_tPvRmT1_PNSt15iterator_traitsISY_E10value_typeET2_T3_PNSZ_IS14_E10value_typeET4_jRbjT5_S1A_jjP12ihipStream_tbEUljE_EEESV_SW_SX_S14_S18_S1A_T6_T7_T9_mT8_S1C_bDpT10_ENKUlT_T0_E_clISt17integral_constantIbLb0EES1P_EEDaS1K_S1L_EUlS1K_E_NS1_11comp_targetILNS1_3genE3ELNS1_11target_archE908ELNS1_3gpuE7ELNS1_3repE0EEENS1_30default_config_static_selectorELNS0_4arch9wavefront6targetE1EEEvSY_.has_indirect_call, 0
	.section	.AMDGPU.csdata,"",@progbits
; Kernel info:
; codeLenInByte = 0
; TotalNumSgprs: 4
; NumVgprs: 0
; ScratchSize: 0
; MemoryBound: 0
; FloatMode: 240
; IeeeMode: 1
; LDSByteSize: 0 bytes/workgroup (compile time only)
; SGPRBlocks: 0
; VGPRBlocks: 0
; NumSGPRsForWavesPerEU: 4
; NumVGPRsForWavesPerEU: 1
; Occupancy: 10
; WaveLimiterHint : 0
; COMPUTE_PGM_RSRC2:SCRATCH_EN: 0
; COMPUTE_PGM_RSRC2:USER_SGPR: 6
; COMPUTE_PGM_RSRC2:TRAP_HANDLER: 0
; COMPUTE_PGM_RSRC2:TGID_X_EN: 1
; COMPUTE_PGM_RSRC2:TGID_Y_EN: 0
; COMPUTE_PGM_RSRC2:TGID_Z_EN: 0
; COMPUTE_PGM_RSRC2:TIDIG_COMP_CNT: 0
	.section	.text._ZN7rocprim17ROCPRIM_400000_NS6detail17trampoline_kernelINS0_13select_configILj256ELj13ELNS0_17block_load_methodE3ELS4_3ELS4_3ELNS0_20block_scan_algorithmE0ELj4294967295EEENS1_25partition_config_selectorILNS1_17partition_subalgoE3EjNS0_10empty_typeEbEEZZNS1_14partition_implILS8_3ELb0ES6_jNS0_17counting_iteratorIjlEEPS9_SE_NS0_5tupleIJPjSE_EEENSF_IJSE_SE_EEES9_SG_JZNS1_25segmented_radix_sort_implINS0_14default_configELb1EPKhPhPKlPlN2at6native12_GLOBAL__N_18offset_tEEE10hipError_tPvRmT1_PNSt15iterator_traitsISY_E10value_typeET2_T3_PNSZ_IS14_E10value_typeET4_jRbjT5_S1A_jjP12ihipStream_tbEUljE_EEESV_SW_SX_S14_S18_S1A_T6_T7_T9_mT8_S1C_bDpT10_ENKUlT_T0_E_clISt17integral_constantIbLb0EES1P_EEDaS1K_S1L_EUlS1K_E_NS1_11comp_targetILNS1_3genE2ELNS1_11target_archE906ELNS1_3gpuE6ELNS1_3repE0EEENS1_30default_config_static_selectorELNS0_4arch9wavefront6targetE1EEEvSY_,"axG",@progbits,_ZN7rocprim17ROCPRIM_400000_NS6detail17trampoline_kernelINS0_13select_configILj256ELj13ELNS0_17block_load_methodE3ELS4_3ELS4_3ELNS0_20block_scan_algorithmE0ELj4294967295EEENS1_25partition_config_selectorILNS1_17partition_subalgoE3EjNS0_10empty_typeEbEEZZNS1_14partition_implILS8_3ELb0ES6_jNS0_17counting_iteratorIjlEEPS9_SE_NS0_5tupleIJPjSE_EEENSF_IJSE_SE_EEES9_SG_JZNS1_25segmented_radix_sort_implINS0_14default_configELb1EPKhPhPKlPlN2at6native12_GLOBAL__N_18offset_tEEE10hipError_tPvRmT1_PNSt15iterator_traitsISY_E10value_typeET2_T3_PNSZ_IS14_E10value_typeET4_jRbjT5_S1A_jjP12ihipStream_tbEUljE_EEESV_SW_SX_S14_S18_S1A_T6_T7_T9_mT8_S1C_bDpT10_ENKUlT_T0_E_clISt17integral_constantIbLb0EES1P_EEDaS1K_S1L_EUlS1K_E_NS1_11comp_targetILNS1_3genE2ELNS1_11target_archE906ELNS1_3gpuE6ELNS1_3repE0EEENS1_30default_config_static_selectorELNS0_4arch9wavefront6targetE1EEEvSY_,comdat
	.globl	_ZN7rocprim17ROCPRIM_400000_NS6detail17trampoline_kernelINS0_13select_configILj256ELj13ELNS0_17block_load_methodE3ELS4_3ELS4_3ELNS0_20block_scan_algorithmE0ELj4294967295EEENS1_25partition_config_selectorILNS1_17partition_subalgoE3EjNS0_10empty_typeEbEEZZNS1_14partition_implILS8_3ELb0ES6_jNS0_17counting_iteratorIjlEEPS9_SE_NS0_5tupleIJPjSE_EEENSF_IJSE_SE_EEES9_SG_JZNS1_25segmented_radix_sort_implINS0_14default_configELb1EPKhPhPKlPlN2at6native12_GLOBAL__N_18offset_tEEE10hipError_tPvRmT1_PNSt15iterator_traitsISY_E10value_typeET2_T3_PNSZ_IS14_E10value_typeET4_jRbjT5_S1A_jjP12ihipStream_tbEUljE_EEESV_SW_SX_S14_S18_S1A_T6_T7_T9_mT8_S1C_bDpT10_ENKUlT_T0_E_clISt17integral_constantIbLb0EES1P_EEDaS1K_S1L_EUlS1K_E_NS1_11comp_targetILNS1_3genE2ELNS1_11target_archE906ELNS1_3gpuE6ELNS1_3repE0EEENS1_30default_config_static_selectorELNS0_4arch9wavefront6targetE1EEEvSY_ ; -- Begin function _ZN7rocprim17ROCPRIM_400000_NS6detail17trampoline_kernelINS0_13select_configILj256ELj13ELNS0_17block_load_methodE3ELS4_3ELS4_3ELNS0_20block_scan_algorithmE0ELj4294967295EEENS1_25partition_config_selectorILNS1_17partition_subalgoE3EjNS0_10empty_typeEbEEZZNS1_14partition_implILS8_3ELb0ES6_jNS0_17counting_iteratorIjlEEPS9_SE_NS0_5tupleIJPjSE_EEENSF_IJSE_SE_EEES9_SG_JZNS1_25segmented_radix_sort_implINS0_14default_configELb1EPKhPhPKlPlN2at6native12_GLOBAL__N_18offset_tEEE10hipError_tPvRmT1_PNSt15iterator_traitsISY_E10value_typeET2_T3_PNSZ_IS14_E10value_typeET4_jRbjT5_S1A_jjP12ihipStream_tbEUljE_EEESV_SW_SX_S14_S18_S1A_T6_T7_T9_mT8_S1C_bDpT10_ENKUlT_T0_E_clISt17integral_constantIbLb0EES1P_EEDaS1K_S1L_EUlS1K_E_NS1_11comp_targetILNS1_3genE2ELNS1_11target_archE906ELNS1_3gpuE6ELNS1_3repE0EEENS1_30default_config_static_selectorELNS0_4arch9wavefront6targetE1EEEvSY_
	.p2align	8
	.type	_ZN7rocprim17ROCPRIM_400000_NS6detail17trampoline_kernelINS0_13select_configILj256ELj13ELNS0_17block_load_methodE3ELS4_3ELS4_3ELNS0_20block_scan_algorithmE0ELj4294967295EEENS1_25partition_config_selectorILNS1_17partition_subalgoE3EjNS0_10empty_typeEbEEZZNS1_14partition_implILS8_3ELb0ES6_jNS0_17counting_iteratorIjlEEPS9_SE_NS0_5tupleIJPjSE_EEENSF_IJSE_SE_EEES9_SG_JZNS1_25segmented_radix_sort_implINS0_14default_configELb1EPKhPhPKlPlN2at6native12_GLOBAL__N_18offset_tEEE10hipError_tPvRmT1_PNSt15iterator_traitsISY_E10value_typeET2_T3_PNSZ_IS14_E10value_typeET4_jRbjT5_S1A_jjP12ihipStream_tbEUljE_EEESV_SW_SX_S14_S18_S1A_T6_T7_T9_mT8_S1C_bDpT10_ENKUlT_T0_E_clISt17integral_constantIbLb0EES1P_EEDaS1K_S1L_EUlS1K_E_NS1_11comp_targetILNS1_3genE2ELNS1_11target_archE906ELNS1_3gpuE6ELNS1_3repE0EEENS1_30default_config_static_selectorELNS0_4arch9wavefront6targetE1EEEvSY_,@function
_ZN7rocprim17ROCPRIM_400000_NS6detail17trampoline_kernelINS0_13select_configILj256ELj13ELNS0_17block_load_methodE3ELS4_3ELS4_3ELNS0_20block_scan_algorithmE0ELj4294967295EEENS1_25partition_config_selectorILNS1_17partition_subalgoE3EjNS0_10empty_typeEbEEZZNS1_14partition_implILS8_3ELb0ES6_jNS0_17counting_iteratorIjlEEPS9_SE_NS0_5tupleIJPjSE_EEENSF_IJSE_SE_EEES9_SG_JZNS1_25segmented_radix_sort_implINS0_14default_configELb1EPKhPhPKlPlN2at6native12_GLOBAL__N_18offset_tEEE10hipError_tPvRmT1_PNSt15iterator_traitsISY_E10value_typeET2_T3_PNSZ_IS14_E10value_typeET4_jRbjT5_S1A_jjP12ihipStream_tbEUljE_EEESV_SW_SX_S14_S18_S1A_T6_T7_T9_mT8_S1C_bDpT10_ENKUlT_T0_E_clISt17integral_constantIbLb0EES1P_EEDaS1K_S1L_EUlS1K_E_NS1_11comp_targetILNS1_3genE2ELNS1_11target_archE906ELNS1_3gpuE6ELNS1_3repE0EEENS1_30default_config_static_selectorELNS0_4arch9wavefront6targetE1EEEvSY_: ; @_ZN7rocprim17ROCPRIM_400000_NS6detail17trampoline_kernelINS0_13select_configILj256ELj13ELNS0_17block_load_methodE3ELS4_3ELS4_3ELNS0_20block_scan_algorithmE0ELj4294967295EEENS1_25partition_config_selectorILNS1_17partition_subalgoE3EjNS0_10empty_typeEbEEZZNS1_14partition_implILS8_3ELb0ES6_jNS0_17counting_iteratorIjlEEPS9_SE_NS0_5tupleIJPjSE_EEENSF_IJSE_SE_EEES9_SG_JZNS1_25segmented_radix_sort_implINS0_14default_configELb1EPKhPhPKlPlN2at6native12_GLOBAL__N_18offset_tEEE10hipError_tPvRmT1_PNSt15iterator_traitsISY_E10value_typeET2_T3_PNSZ_IS14_E10value_typeET4_jRbjT5_S1A_jjP12ihipStream_tbEUljE_EEESV_SW_SX_S14_S18_S1A_T6_T7_T9_mT8_S1C_bDpT10_ENKUlT_T0_E_clISt17integral_constantIbLb0EES1P_EEDaS1K_S1L_EUlS1K_E_NS1_11comp_targetILNS1_3genE2ELNS1_11target_archE906ELNS1_3gpuE6ELNS1_3repE0EEENS1_30default_config_static_selectorELNS0_4arch9wavefront6targetE1EEEvSY_
; %bb.0:
	s_load_dwordx2 s[28:29], s[4:5], 0x58
	s_load_dwordx4 s[24:27], s[4:5], 0x48
	s_load_dword s12, s[4:5], 0x8
	s_load_dwordx2 s[30:31], s[4:5], 0x10
	s_load_dword s0, s[4:5], 0x70
	s_load_dword s7, s[4:5], 0x88
	s_load_dwordx4 s[8:11], s[4:5], 0x78
	s_waitcnt lgkmcnt(0)
	s_load_dwordx2 s[34:35], s[26:27], 0x0
	s_mul_i32 s44, s6, 0xd00
	s_add_i32 s2, s0, -1
	s_mulk_i32 s0, 0xd00
	s_add_i32 s1, s0, s30
	s_sub_i32 s33, s28, s1
	s_addk_i32 s33, 0xd00
	s_add_u32 s0, s30, s0
	s_addc_u32 s1, s31, 0
	v_mov_b32_e32 v2, s1
	v_mov_b32_e32 v1, s0
	s_cmp_eq_u32 s6, s2
	v_cmp_gt_u64_e32 vcc, s[28:29], v[1:2]
	s_cselect_b64 s[22:23], -1, 0
	s_cmp_lg_u32 s6, s2
	s_cselect_b64 s[0:1], -1, 0
	s_add_i32 s12, s12, s44
	s_or_b64 s[2:3], s[0:1], vcc
	s_add_i32 s12, s12, s30
	s_mov_b64 s[0:1], -1
	s_and_b64 vcc, exec, s[2:3]
	v_add_u32_e32 v1, s12, v0
	v_lshlrev_b32_e32 v23, 2, v0
	s_cbranch_vccz .LBB52_2
; %bb.1:
	v_add_u32_e32 v2, 0x100, v1
	v_add_u32_e32 v3, 0x200, v1
	;; [unrolled: 1-line block ×12, first 2 shown]
	ds_write2st64_b32 v23, v1, v2 offset1:4
	ds_write2st64_b32 v23, v3, v4 offset0:8 offset1:12
	ds_write2st64_b32 v23, v5, v6 offset0:16 offset1:20
	;; [unrolled: 1-line block ×5, first 2 shown]
	ds_write_b32 v23, v13 offset:12288
	s_waitcnt lgkmcnt(0)
	s_barrier
	s_mov_b64 s[0:1], 0
.LBB52_2:
	s_andn2_b64 vcc, exec, s[0:1]
	v_cmp_gt_u32_e64 s[0:1], s33, v0
	s_cbranch_vccnz .LBB52_4
; %bb.3:
	v_or_b32_e32 v2, 0x100, v0
	v_add_u32_e32 v3, s12, v2
	v_cmp_gt_u32_e32 vcc, s33, v2
	v_cndmask_b32_e32 v2, 0, v3, vcc
	v_or_b32_e32 v3, 0x200, v0
	v_add_u32_e32 v4, s12, v3
	v_cmp_gt_u32_e32 vcc, s33, v3
	v_cndmask_b32_e32 v3, 0, v4, vcc
	;; [unrolled: 4-line block ×11, first 2 shown]
	v_or_b32_e32 v13, 0xc00, v0
	v_cndmask_b32_e64 v1, 0, v1, s[0:1]
	v_add_u32_e32 v14, s12, v13
	v_cmp_gt_u32_e32 vcc, s33, v13
	v_cndmask_b32_e32 v13, 0, v14, vcc
	ds_write2st64_b32 v23, v1, v2 offset1:4
	ds_write2st64_b32 v23, v3, v4 offset0:8 offset1:12
	ds_write2st64_b32 v23, v5, v6 offset0:16 offset1:20
	;; [unrolled: 1-line block ×5, first 2 shown]
	ds_write_b32 v23, v13 offset:12288
	s_waitcnt lgkmcnt(0)
	s_barrier
.LBB52_4:
	v_mul_u32_u24_e32 v25, 13, v0
	v_lshlrev_b32_e32 v1, 2, v25
	s_waitcnt lgkmcnt(0)
	ds_read2_b32 v[13:14], v1 offset1:1
	ds_read2_b32 v[11:12], v1 offset0:2 offset1:3
	ds_read2_b32 v[9:10], v1 offset0:4 offset1:5
	;; [unrolled: 1-line block ×5, first 2 shown]
	ds_read_b32 v24, v1 offset:48
	v_cndmask_b32_e64 v1, 0, 1, s[2:3]
	v_cmp_ne_u32_e64 s[0:1], 1, v1
	s_andn2_b64 vcc, exec, s[2:3]
	s_waitcnt lgkmcnt(0)
	s_barrier
	s_cbranch_vccnz .LBB52_6
; %bb.5:
	v_add_u32_e32 v1, s9, v13
	v_add_u32_e32 v2, s11, v13
	v_mul_lo_u32 v1, v1, s8
	v_mul_lo_u32 v2, v2, s10
	v_add_u32_e32 v15, s9, v11
	v_add_u32_e32 v16, s11, v11
	v_mul_lo_u32 v15, v15, s8
	v_sub_u32_e32 v1, v1, v2
	v_cmp_lt_u32_e32 vcc, s7, v1
	v_add_u32_e32 v1, s9, v14
	v_add_u32_e32 v2, s11, v14
	v_mul_lo_u32 v1, v1, s8
	v_mul_lo_u32 v2, v2, s10
	;; [unrolled: 1-line block ×3, first 2 shown]
	v_cndmask_b32_e64 v26, 0, 1, vcc
	v_sub_u32_e32 v1, v1, v2
	v_cmp_lt_u32_e32 vcc, s7, v1
	v_sub_u32_e32 v1, v15, v16
	v_cndmask_b32_e64 v27, 0, 1, vcc
	v_cmp_lt_u32_e32 vcc, s7, v1
	v_add_u32_e32 v1, s9, v12
	v_add_u32_e32 v2, s11, v12
	v_mul_lo_u32 v1, v1, s8
	v_mul_lo_u32 v2, v2, s10
	v_add_u32_e32 v15, s9, v9
	v_add_u32_e32 v16, s11, v9
	v_mul_lo_u32 v15, v15, s8
	v_mul_lo_u32 v16, v16, s10
	v_sub_u32_e32 v1, v1, v2
	v_cndmask_b32_e64 v28, 0, 1, vcc
	v_cmp_lt_u32_e32 vcc, s7, v1
	v_sub_u32_e32 v1, v15, v16
	v_cndmask_b32_e64 v29, 0, 1, vcc
	v_cmp_lt_u32_e32 vcc, s7, v1
	v_add_u32_e32 v1, s9, v10
	v_add_u32_e32 v2, s11, v10
	v_mul_lo_u32 v1, v1, s8
	v_mul_lo_u32 v2, v2, s10
	v_add_u32_e32 v15, s9, v7
	v_add_u32_e32 v16, s11, v7
	v_mul_lo_u32 v15, v15, s8
	v_mul_lo_u32 v16, v16, s10
	v_sub_u32_e32 v1, v1, v2
	v_cndmask_b32_e64 v30, 0, 1, vcc
	;; [unrolled: 14-line block ×5, first 2 shown]
	v_cmp_lt_u32_e32 vcc, s7, v1
	v_sub_u32_e32 v1, v15, v16
	v_cndmask_b32_e64 v37, 0, 1, vcc
	v_cmp_lt_u32_e64 s[38:39], s7, v1
	s_load_dwordx2 s[26:27], s[4:5], 0x28
	s_load_dwordx2 s[36:37], s[4:5], 0x68
	s_cbranch_execz .LBB52_7
	s_branch .LBB52_34
.LBB52_6:
                                        ; implicit-def: $sgpr38_sgpr39
                                        ; implicit-def: $vgpr37
                                        ; implicit-def: $vgpr36
                                        ; implicit-def: $vgpr35
                                        ; implicit-def: $vgpr34
                                        ; implicit-def: $vgpr33
                                        ; implicit-def: $vgpr32
                                        ; implicit-def: $vgpr31
                                        ; implicit-def: $vgpr30
                                        ; implicit-def: $vgpr26
                                        ; implicit-def: $vgpr27
                                        ; implicit-def: $vgpr28
                                        ; implicit-def: $vgpr29
	s_load_dwordx2 s[26:27], s[4:5], 0x28
	s_load_dwordx2 s[36:37], s[4:5], 0x68
.LBB52_7:
	v_cmp_gt_u32_e32 vcc, s33, v25
	v_mov_b32_e32 v27, 0
	v_mov_b32_e32 v26, 0
	s_and_saveexec_b64 s[2:3], vcc
	s_cbranch_execz .LBB52_9
; %bb.8:
	v_add_u32_e32 v1, s9, v13
	v_add_u32_e32 v2, s11, v13
	v_mul_lo_u32 v1, v1, s8
	v_mul_lo_u32 v2, v2, s10
	v_sub_u32_e32 v1, v1, v2
	v_cmp_lt_u32_e32 vcc, s7, v1
	v_cndmask_b32_e64 v26, 0, 1, vcc
.LBB52_9:
	s_or_b64 exec, exec, s[2:3]
	v_add_u32_e32 v1, 1, v25
	v_cmp_gt_u32_e32 vcc, s33, v1
	s_and_saveexec_b64 s[2:3], vcc
	s_cbranch_execz .LBB52_11
; %bb.10:
	v_add_u32_e32 v1, s9, v14
	v_add_u32_e32 v2, s11, v14
	v_mul_lo_u32 v1, v1, s8
	v_mul_lo_u32 v2, v2, s10
	v_sub_u32_e32 v1, v1, v2
	v_cmp_lt_u32_e32 vcc, s7, v1
	v_cndmask_b32_e64 v27, 0, 1, vcc
.LBB52_11:
	s_or_b64 exec, exec, s[2:3]
	v_add_u32_e32 v1, 2, v25
	v_cmp_gt_u32_e32 vcc, s33, v1
	v_mov_b32_e32 v29, 0
	v_mov_b32_e32 v28, 0
	s_and_saveexec_b64 s[2:3], vcc
	s_cbranch_execz .LBB52_13
; %bb.12:
	v_add_u32_e32 v1, s9, v11
	v_add_u32_e32 v2, s11, v11
	v_mul_lo_u32 v1, v1, s8
	v_mul_lo_u32 v2, v2, s10
	v_sub_u32_e32 v1, v1, v2
	v_cmp_lt_u32_e32 vcc, s7, v1
	v_cndmask_b32_e64 v28, 0, 1, vcc
.LBB52_13:
	s_or_b64 exec, exec, s[2:3]
	v_add_u32_e32 v1, 3, v25
	v_cmp_gt_u32_e32 vcc, s33, v1
	s_and_saveexec_b64 s[2:3], vcc
	s_cbranch_execz .LBB52_15
; %bb.14:
	v_add_u32_e32 v1, s9, v12
	v_add_u32_e32 v2, s11, v12
	v_mul_lo_u32 v1, v1, s8
	v_mul_lo_u32 v2, v2, s10
	v_sub_u32_e32 v1, v1, v2
	v_cmp_lt_u32_e32 vcc, s7, v1
	v_cndmask_b32_e64 v29, 0, 1, vcc
.LBB52_15:
	s_or_b64 exec, exec, s[2:3]
	v_add_u32_e32 v1, 4, v25
	;; [unrolled: 30-line block ×6, first 2 shown]
	v_cmp_gt_u32_e32 vcc, s33, v1
	s_mov_b64 s[38:39], 0
	s_and_saveexec_b64 s[2:3], vcc
	s_cbranch_execz .LBB52_33
; %bb.32:
	v_add_u32_e32 v1, s9, v24
	v_add_u32_e32 v2, s11, v24
	v_mul_lo_u32 v1, v1, s8
	v_mul_lo_u32 v2, v2, s10
	v_sub_u32_e32 v1, v1, v2
	v_cmp_lt_u32_e32 vcc, s7, v1
	s_and_b64 s[38:39], vcc, exec
.LBB52_33:
	s_or_b64 exec, exec, s[2:3]
.LBB52_34:
	v_and_b32_e32 v40, 0xff, v27
	v_and_b32_e32 v41, 0xff, v28
	v_and_b32_e32 v42, 0xff, v29
	v_and_b32_e32 v39, 0xff, v26
	v_and_b32_e32 v43, 0xff, v30
	v_add3_u32 v2, v41, v42, v40
	v_and_b32_e32 v44, 0xff, v31
	v_and_b32_e32 v45, 0xff, v32
	v_add3_u32 v2, v2, v39, v43
	v_and_b32_e32 v46, 0xff, v33
	v_and_b32_e32 v47, 0xff, v34
	;; [unrolled: 3-line block ×3, first 2 shown]
	v_add3_u32 v2, v2, v46, v47
	v_and_b32_e32 v38, 0xff, v37
	v_cndmask_b32_e64 v1, 0, 1, s[38:39]
	v_add3_u32 v2, v2, v48, v49
	v_add3_u32 v52, v2, v38, v1
	v_mbcnt_lo_u32_b32 v1, -1, 0
	v_mbcnt_hi_u32_b32 v50, -1, v1
	v_and_b32_e32 v1, 15, v50
	v_cmp_eq_u32_e64 s[14:15], 0, v1
	v_cmp_lt_u32_e64 s[12:13], 1, v1
	v_cmp_lt_u32_e64 s[10:11], 3, v1
	v_cmp_lt_u32_e64 s[8:9], 7, v1
	v_and_b32_e32 v1, 16, v50
	v_cmp_eq_u32_e64 s[18:19], 0, v1
	v_or_b32_e32 v1, 63, v0
	s_cmp_lg_u32 s6, 0
	v_cmp_lt_u32_e64 s[2:3], 31, v50
	v_lshrrev_b32_e32 v51, 6, v0
	v_cmp_eq_u32_e64 s[4:5], v0, v1
	s_cbranch_scc0 .LBB52_56
; %bb.35:
	v_mov_b32_dpp v1, v52 row_shr:1 row_mask:0xf bank_mask:0xf
	v_cndmask_b32_e64 v1, v1, 0, s[14:15]
	v_add_u32_e32 v1, v1, v52
	s_nop 1
	v_mov_b32_dpp v2, v1 row_shr:2 row_mask:0xf bank_mask:0xf
	v_cndmask_b32_e64 v2, 0, v2, s[12:13]
	v_add_u32_e32 v1, v1, v2
	s_nop 1
	;; [unrolled: 4-line block ×4, first 2 shown]
	v_mov_b32_dpp v2, v1 row_bcast:15 row_mask:0xf bank_mask:0xf
	v_cndmask_b32_e64 v2, v2, 0, s[18:19]
	v_add_u32_e32 v1, v1, v2
	s_nop 1
	v_mov_b32_dpp v2, v1 row_bcast:31 row_mask:0xf bank_mask:0xf
	v_cndmask_b32_e64 v2, 0, v2, s[2:3]
	v_add_u32_e32 v1, v1, v2
	s_and_saveexec_b64 s[16:17], s[4:5]
; %bb.36:
	v_lshlrev_b32_e32 v2, 2, v51
	ds_write_b32 v2, v1
; %bb.37:
	s_or_b64 exec, exec, s[16:17]
	v_cmp_gt_u32_e32 vcc, 4, v0
	s_waitcnt lgkmcnt(0)
	s_barrier
	s_and_saveexec_b64 s[16:17], vcc
	s_cbranch_execz .LBB52_39
; %bb.38:
	ds_read_b32 v2, v23
	v_and_b32_e32 v15, 3, v50
	v_cmp_ne_u32_e32 vcc, 0, v15
	s_waitcnt lgkmcnt(0)
	v_mov_b32_dpp v16, v2 row_shr:1 row_mask:0xf bank_mask:0xf
	v_cndmask_b32_e32 v16, 0, v16, vcc
	v_add_u32_e32 v2, v16, v2
	v_cmp_lt_u32_e32 vcc, 1, v15
	s_nop 0
	v_mov_b32_dpp v16, v2 row_shr:2 row_mask:0xf bank_mask:0xf
	v_cndmask_b32_e32 v15, 0, v16, vcc
	v_add_u32_e32 v2, v2, v15
	ds_write_b32 v23, v2
.LBB52_39:
	s_or_b64 exec, exec, s[16:17]
	v_cmp_gt_u32_e32 vcc, 64, v0
	v_cmp_lt_u32_e64 s[16:17], 63, v0
	s_waitcnt lgkmcnt(0)
	s_barrier
                                        ; implicit-def: $vgpr53
	s_and_saveexec_b64 s[20:21], s[16:17]
	s_cbranch_execz .LBB52_41
; %bb.40:
	v_lshl_add_u32 v2, v51, 2, -4
	ds_read_b32 v53, v2
	s_waitcnt lgkmcnt(0)
	v_add_u32_e32 v1, v53, v1
.LBB52_41:
	s_or_b64 exec, exec, s[20:21]
	v_subrev_co_u32_e64 v2, s[16:17], 1, v50
	v_and_b32_e32 v15, 64, v50
	v_cmp_lt_i32_e64 s[20:21], v2, v15
	v_cndmask_b32_e64 v2, v2, v50, s[20:21]
	v_lshlrev_b32_e32 v2, 2, v2
	ds_bpermute_b32 v54, v2, v1
	s_and_saveexec_b64 s[20:21], vcc
	s_cbranch_execz .LBB52_61
; %bb.42:
	v_mov_b32_e32 v19, 0
	ds_read_b32 v1, v19 offset:12
	s_and_saveexec_b64 s[40:41], s[16:17]
	s_cbranch_execz .LBB52_44
; %bb.43:
	s_add_i32 s42, s6, 64
	s_mov_b32 s43, 0
	s_lshl_b64 s[42:43], s[42:43], 3
	s_add_u32 s42, s36, s42
	v_mov_b32_e32 v2, 1
	s_addc_u32 s43, s37, s43
	s_waitcnt lgkmcnt(0)
	global_store_dwordx2 v19, v[1:2], s[42:43]
.LBB52_44:
	s_or_b64 exec, exec, s[40:41]
	v_xad_u32 v15, v50, -1, s6
	v_add_u32_e32 v18, 64, v15
	v_lshlrev_b64 v[16:17], 3, v[18:19]
	v_mov_b32_e32 v2, s37
	v_add_co_u32_e32 v20, vcc, s36, v16
	v_addc_co_u32_e32 v21, vcc, v2, v17, vcc
	global_load_dwordx2 v[17:18], v[20:21], off glc
	s_waitcnt vmcnt(0)
	v_cmp_eq_u16_sdwa s[42:43], v18, v19 src0_sel:BYTE_0 src1_sel:DWORD
	s_and_saveexec_b64 s[40:41], s[42:43]
	s_cbranch_execz .LBB52_48
; %bb.45:
	s_mov_b64 s[42:43], 0
	v_mov_b32_e32 v2, 0
.LBB52_46:                              ; =>This Inner Loop Header: Depth=1
	global_load_dwordx2 v[17:18], v[20:21], off glc
	s_waitcnt vmcnt(0)
	v_cmp_ne_u16_sdwa s[46:47], v18, v2 src0_sel:BYTE_0 src1_sel:DWORD
	s_or_b64 s[42:43], s[46:47], s[42:43]
	s_andn2_b64 exec, exec, s[42:43]
	s_cbranch_execnz .LBB52_46
; %bb.47:
	s_or_b64 exec, exec, s[42:43]
.LBB52_48:
	s_or_b64 exec, exec, s[40:41]
	v_and_b32_e32 v56, 63, v50
	v_mov_b32_e32 v55, 2
	v_lshlrev_b64 v[19:20], v50, -1
	v_cmp_ne_u32_e32 vcc, 63, v56
	v_cmp_eq_u16_sdwa s[40:41], v18, v55 src0_sel:BYTE_0 src1_sel:DWORD
	v_addc_co_u32_e32 v21, vcc, 0, v50, vcc
	v_and_b32_e32 v2, s41, v20
	v_lshlrev_b32_e32 v57, 2, v21
	v_or_b32_e32 v2, 0x80000000, v2
	ds_bpermute_b32 v21, v57, v17
	v_and_b32_e32 v16, s40, v19
	v_ffbl_b32_e32 v2, v2
	v_add_u32_e32 v2, 32, v2
	v_ffbl_b32_e32 v16, v16
	v_min_u32_e32 v2, v16, v2
	v_cmp_lt_u32_e32 vcc, v56, v2
	s_waitcnt lgkmcnt(0)
	v_cndmask_b32_e32 v16, 0, v21, vcc
	v_cmp_gt_u32_e32 vcc, 62, v56
	v_add_u32_e32 v16, v16, v17
	v_cndmask_b32_e64 v17, 0, 2, vcc
	v_add_lshl_u32 v58, v17, v50, 2
	ds_bpermute_b32 v17, v58, v16
	v_add_u32_e32 v59, 2, v56
	v_cmp_le_u32_e32 vcc, v59, v2
	v_add_u32_e32 v61, 4, v56
	v_add_u32_e32 v63, 8, v56
	s_waitcnt lgkmcnt(0)
	v_cndmask_b32_e32 v17, 0, v17, vcc
	v_cmp_gt_u32_e32 vcc, 60, v56
	v_add_u32_e32 v16, v16, v17
	v_cndmask_b32_e64 v17, 0, 4, vcc
	v_add_lshl_u32 v60, v17, v50, 2
	ds_bpermute_b32 v17, v60, v16
	v_cmp_le_u32_e32 vcc, v61, v2
	v_add_u32_e32 v65, 16, v56
	v_add_u32_e32 v67, 32, v56
	s_waitcnt lgkmcnt(0)
	v_cndmask_b32_e32 v17, 0, v17, vcc
	v_cmp_gt_u32_e32 vcc, 56, v56
	v_add_u32_e32 v16, v16, v17
	v_cndmask_b32_e64 v17, 0, 8, vcc
	v_add_lshl_u32 v62, v17, v50, 2
	ds_bpermute_b32 v17, v62, v16
	v_cmp_le_u32_e32 vcc, v63, v2
	s_waitcnt lgkmcnt(0)
	v_cndmask_b32_e32 v17, 0, v17, vcc
	v_cmp_gt_u32_e32 vcc, 48, v56
	v_add_u32_e32 v16, v16, v17
	v_cndmask_b32_e64 v17, 0, 16, vcc
	v_add_lshl_u32 v64, v17, v50, 2
	ds_bpermute_b32 v17, v64, v16
	v_cmp_le_u32_e32 vcc, v65, v2
	s_waitcnt lgkmcnt(0)
	v_cndmask_b32_e32 v17, 0, v17, vcc
	v_add_u32_e32 v16, v16, v17
	v_mov_b32_e32 v17, 0x80
	v_lshl_or_b32 v66, v50, 2, v17
	ds_bpermute_b32 v17, v66, v16
	v_cmp_le_u32_e32 vcc, v67, v2
	s_waitcnt lgkmcnt(0)
	v_cndmask_b32_e32 v2, 0, v17, vcc
	v_add_u32_e32 v17, v16, v2
	v_mov_b32_e32 v16, 0
	s_branch .LBB52_52
.LBB52_49:                              ;   in Loop: Header=BB52_52 Depth=1
	s_or_b64 exec, exec, s[42:43]
.LBB52_50:                              ;   in Loop: Header=BB52_52 Depth=1
	s_or_b64 exec, exec, s[40:41]
	v_cmp_eq_u16_sdwa s[40:41], v18, v55 src0_sel:BYTE_0 src1_sel:DWORD
	v_and_b32_e32 v21, s41, v20
	v_or_b32_e32 v21, 0x80000000, v21
	ds_bpermute_b32 v68, v57, v17
	v_and_b32_e32 v22, s40, v19
	v_ffbl_b32_e32 v21, v21
	v_add_u32_e32 v21, 32, v21
	v_ffbl_b32_e32 v22, v22
	v_min_u32_e32 v21, v22, v21
	v_cmp_lt_u32_e32 vcc, v56, v21
	s_waitcnt lgkmcnt(0)
	v_cndmask_b32_e32 v22, 0, v68, vcc
	v_add_u32_e32 v17, v22, v17
	ds_bpermute_b32 v22, v58, v17
	v_cmp_le_u32_e32 vcc, v59, v21
	v_subrev_u32_e32 v15, 64, v15
	s_mov_b64 s[40:41], 0
	s_waitcnt lgkmcnt(0)
	v_cndmask_b32_e32 v22, 0, v22, vcc
	v_add_u32_e32 v17, v17, v22
	ds_bpermute_b32 v22, v60, v17
	v_cmp_le_u32_e32 vcc, v61, v21
	s_waitcnt lgkmcnt(0)
	v_cndmask_b32_e32 v22, 0, v22, vcc
	v_add_u32_e32 v17, v17, v22
	ds_bpermute_b32 v22, v62, v17
	v_cmp_le_u32_e32 vcc, v63, v21
	;; [unrolled: 5-line block ×4, first 2 shown]
	s_waitcnt lgkmcnt(0)
	v_cndmask_b32_e32 v21, 0, v22, vcc
	v_add3_u32 v17, v21, v2, v17
.LBB52_51:                              ;   in Loop: Header=BB52_52 Depth=1
	s_and_b64 vcc, exec, s[40:41]
	s_cbranch_vccnz .LBB52_57
.LBB52_52:                              ; =>This Loop Header: Depth=1
                                        ;     Child Loop BB52_55 Depth 2
	v_cmp_ne_u16_sdwa s[40:41], v18, v55 src0_sel:BYTE_0 src1_sel:DWORD
	v_mov_b32_e32 v2, v17
	s_cmp_lg_u64 s[40:41], exec
	s_mov_b64 s[40:41], -1
                                        ; implicit-def: $vgpr17
                                        ; implicit-def: $vgpr18
	s_cbranch_scc1 .LBB52_51
; %bb.53:                               ;   in Loop: Header=BB52_52 Depth=1
	v_lshlrev_b64 v[17:18], 3, v[15:16]
	v_mov_b32_e32 v22, s37
	v_add_co_u32_e32 v21, vcc, s36, v17
	v_addc_co_u32_e32 v22, vcc, v22, v18, vcc
	global_load_dwordx2 v[17:18], v[21:22], off glc
	s_waitcnt vmcnt(0)
	v_cmp_eq_u16_sdwa s[42:43], v18, v16 src0_sel:BYTE_0 src1_sel:DWORD
	s_and_saveexec_b64 s[40:41], s[42:43]
	s_cbranch_execz .LBB52_50
; %bb.54:                               ;   in Loop: Header=BB52_52 Depth=1
	s_mov_b64 s[42:43], 0
.LBB52_55:                              ;   Parent Loop BB52_52 Depth=1
                                        ; =>  This Inner Loop Header: Depth=2
	global_load_dwordx2 v[17:18], v[21:22], off glc
	s_waitcnt vmcnt(0)
	v_cmp_ne_u16_sdwa s[46:47], v18, v16 src0_sel:BYTE_0 src1_sel:DWORD
	s_or_b64 s[42:43], s[46:47], s[42:43]
	s_andn2_b64 exec, exec, s[42:43]
	s_cbranch_execnz .LBB52_55
	s_branch .LBB52_49
.LBB52_56:
                                        ; implicit-def: $vgpr2
                                        ; implicit-def: $vgpr15
	s_cbranch_execnz .LBB52_62
	s_branch .LBB52_71
.LBB52_57:
	s_and_saveexec_b64 s[40:41], s[16:17]
	s_cbranch_execz .LBB52_59
; %bb.58:
	s_add_i32 s6, s6, 64
	s_mov_b32 s7, 0
	s_lshl_b64 s[6:7], s[6:7], 3
	s_add_u32 s6, s36, s6
	v_add_u32_e32 v15, v2, v1
	v_mov_b32_e32 v16, 2
	s_addc_u32 s7, s37, s7
	v_mov_b32_e32 v17, 0
	global_store_dwordx2 v17, v[15:16], s[6:7]
	ds_write_b64 v17, v[1:2] offset:13312
.LBB52_59:
	s_or_b64 exec, exec, s[40:41]
	v_cmp_eq_u32_e32 vcc, 0, v0
	s_and_b64 exec, exec, vcc
; %bb.60:
	v_mov_b32_e32 v1, 0
	ds_write_b32 v1, v2 offset:12
.LBB52_61:
	s_or_b64 exec, exec, s[20:21]
	v_mov_b32_e32 v1, 0
	s_waitcnt vmcnt(0) lgkmcnt(0)
	s_barrier
	ds_read_b32 v16, v1 offset:12
	s_waitcnt lgkmcnt(0)
	s_barrier
	ds_read_b64 v[1:2], v1 offset:13312
	v_cndmask_b32_e64 v15, v54, v53, s[16:17]
	v_cmp_ne_u32_e32 vcc, 0, v0
	v_cndmask_b32_e32 v15, 0, v15, vcc
	v_add_u32_e32 v15, v16, v15
	s_branch .LBB52_71
.LBB52_62:
	s_waitcnt lgkmcnt(0)
	v_mov_b32_dpp v1, v52 row_shr:1 row_mask:0xf bank_mask:0xf
	v_cndmask_b32_e64 v1, v1, 0, s[14:15]
	v_add_u32_e32 v1, v1, v52
	s_nop 1
	v_mov_b32_dpp v2, v1 row_shr:2 row_mask:0xf bank_mask:0xf
	v_cndmask_b32_e64 v2, 0, v2, s[12:13]
	v_add_u32_e32 v1, v1, v2
	s_nop 1
	;; [unrolled: 4-line block ×4, first 2 shown]
	v_mov_b32_dpp v2, v1 row_bcast:15 row_mask:0xf bank_mask:0xf
	v_cndmask_b32_e64 v2, v2, 0, s[18:19]
	v_add_u32_e32 v1, v1, v2
	s_nop 1
	v_mov_b32_dpp v2, v1 row_bcast:31 row_mask:0xf bank_mask:0xf
	v_cndmask_b32_e64 v2, 0, v2, s[2:3]
	v_add_u32_e32 v1, v1, v2
	s_and_saveexec_b64 s[2:3], s[4:5]
; %bb.63:
	v_lshlrev_b32_e32 v2, 2, v51
	ds_write_b32 v2, v1
; %bb.64:
	s_or_b64 exec, exec, s[2:3]
	v_cmp_gt_u32_e32 vcc, 4, v0
	s_waitcnt lgkmcnt(0)
	s_barrier
	s_and_saveexec_b64 s[2:3], vcc
	s_cbranch_execz .LBB52_66
; %bb.65:
	ds_read_b32 v2, v23
	v_and_b32_e32 v15, 3, v50
	v_cmp_ne_u32_e32 vcc, 0, v15
	s_waitcnt lgkmcnt(0)
	v_mov_b32_dpp v16, v2 row_shr:1 row_mask:0xf bank_mask:0xf
	v_cndmask_b32_e32 v16, 0, v16, vcc
	v_add_u32_e32 v2, v16, v2
	v_cmp_lt_u32_e32 vcc, 1, v15
	s_nop 0
	v_mov_b32_dpp v16, v2 row_shr:2 row_mask:0xf bank_mask:0xf
	v_cndmask_b32_e32 v15, 0, v16, vcc
	v_add_u32_e32 v2, v2, v15
	ds_write_b32 v23, v2
.LBB52_66:
	s_or_b64 exec, exec, s[2:3]
	v_cmp_lt_u32_e32 vcc, 63, v0
	v_mov_b32_e32 v2, 0
	v_mov_b32_e32 v15, 0
	s_waitcnt lgkmcnt(0)
	s_barrier
	s_and_saveexec_b64 s[2:3], vcc
; %bb.67:
	v_lshl_add_u32 v15, v51, 2, -4
	ds_read_b32 v15, v15
; %bb.68:
	s_or_b64 exec, exec, s[2:3]
	v_subrev_co_u32_e32 v16, vcc, 1, v50
	v_and_b32_e32 v17, 64, v50
	v_cmp_lt_i32_e64 s[2:3], v16, v17
	v_cndmask_b32_e64 v16, v16, v50, s[2:3]
	s_waitcnt lgkmcnt(0)
	v_add_u32_e32 v1, v15, v1
	v_lshlrev_b32_e32 v16, 2, v16
	ds_bpermute_b32 v16, v16, v1
	ds_read_b32 v1, v2 offset:12
	v_cmp_eq_u32_e64 s[2:3], 0, v0
	s_and_saveexec_b64 s[4:5], s[2:3]
	s_cbranch_execz .LBB52_70
; %bb.69:
	v_mov_b32_e32 v17, 0
	v_mov_b32_e32 v2, 2
	s_waitcnt lgkmcnt(0)
	global_store_dwordx2 v17, v[1:2], s[36:37] offset:512
.LBB52_70:
	s_or_b64 exec, exec, s[4:5]
	s_waitcnt lgkmcnt(1)
	v_cndmask_b32_e32 v2, v16, v15, vcc
	v_cndmask_b32_e64 v15, v2, 0, s[2:3]
	s_waitcnt vmcnt(0) lgkmcnt(0)
	s_barrier
	v_mov_b32_e32 v2, 0
.LBB52_71:
	v_add_u32_e32 v16, v15, v39
	v_add_u32_e32 v17, v16, v40
	;; [unrolled: 1-line block ×4, first 2 shown]
	s_waitcnt lgkmcnt(0)
	v_add_u32_e32 v25, v1, v25
	v_sub_u32_e32 v15, v15, v2
	v_and_b32_e32 v26, 1, v26
	v_add_u32_e32 v20, v19, v43
	v_sub_u32_e32 v43, v25, v15
	v_cmp_eq_u32_e32 vcc, 1, v26
	v_cndmask_b32_e32 v15, v43, v15, vcc
	v_lshlrev_b32_e32 v15, 2, v15
	ds_write_b32 v15, v13
	v_sub_u32_e32 v13, v16, v2
	v_sub_u32_e32 v15, v25, v13
	v_and_b32_e32 v16, 1, v27
	v_add_u32_e32 v15, 1, v15
	v_cmp_eq_u32_e32 vcc, 1, v16
	v_cndmask_b32_e32 v13, v15, v13, vcc
	v_lshlrev_b32_e32 v13, 2, v13
	ds_write_b32 v13, v14
	v_sub_u32_e32 v13, v17, v2
	v_sub_u32_e32 v14, v25, v13
	v_and_b32_e32 v15, 1, v28
	v_add_u32_e32 v14, 2, v14
	;; [unrolled: 8-line block ×5, first 2 shown]
	v_cmp_eq_u32_e32 vcc, 1, v12
	v_cndmask_b32_e32 v9, v11, v9, vcc
	v_add_u32_e32 v21, v20, v44
	v_lshlrev_b32_e32 v9, 2, v9
	ds_write_b32 v9, v10
	v_sub_u32_e32 v9, v21, v2
	v_sub_u32_e32 v10, v25, v9
	v_and_b32_e32 v11, 1, v32
	v_add_u32_e32 v10, 6, v10
	v_cmp_eq_u32_e32 vcc, 1, v11
	v_cndmask_b32_e32 v9, v10, v9, vcc
	v_add_u32_e32 v22, v21, v45
	v_lshlrev_b32_e32 v9, 2, v9
	ds_write_b32 v9, v7
	v_sub_u32_e32 v7, v22, v2
	v_sub_u32_e32 v9, v25, v7
	v_and_b32_e32 v10, 1, v33
	v_add_u32_e32 v9, 7, v9
	;; [unrolled: 9-line block ×6, first 2 shown]
	v_cmp_eq_u32_e32 vcc, 1, v6
	v_cndmask_b32_e32 v3, v5, v3, vcc
	v_lshlrev_b32_e32 v3, 2, v3
	ds_write_b32 v3, v4
	v_sub_u32_e32 v3, v38, v2
	v_add_u32_e32 v3, v42, v3
	v_sub_u32_e32 v4, v25, v3
	v_add_u32_e32 v4, 12, v4
	v_cndmask_b32_e64 v3, v4, v3, s[38:39]
	v_lshlrev_b32_e32 v3, 2, v3
	ds_write_b32 v3, v24
	s_waitcnt lgkmcnt(0)
	s_barrier
	ds_read2st64_b32 v[13:14], v23 offset1:4
	ds_read2st64_b32 v[11:12], v23 offset0:8 offset1:12
	ds_read2st64_b32 v[9:10], v23 offset0:16 offset1:20
	;; [unrolled: 1-line block ×5, first 2 shown]
	ds_read_b32 v19, v23 offset:12288
	v_mov_b32_e32 v15, s35
	s_and_b64 vcc, exec, s[0:1]
	v_add_co_u32_e64 v17, s[0:1], s34, v2
	v_or_b32_e32 v33, 0x100, v0
	v_or_b32_e32 v31, 0x200, v0
	;; [unrolled: 1-line block ×12, first 2 shown]
	v_addc_co_u32_e64 v18, s[0:1], 0, v15, s[0:1]
	s_cbranch_vccnz .LBB52_125
; %bb.72:
	v_mov_b32_e32 v2, s31
	v_subrev_co_u32_e32 v15, vcc, s30, v17
	s_sub_u32 s0, s28, s44
	v_subb_co_u32_e32 v16, vcc, v18, v2, vcc
	s_subb_u32 s1, s29, 0
	v_mov_b32_e32 v2, s1
	v_add_co_u32_e32 v23, vcc, s0, v1
	v_addc_co_u32_e32 v32, vcc, 0, v2, vcc
	v_add_co_u32_e32 v2, vcc, v23, v15
	v_addc_co_u32_e32 v23, vcc, v32, v16, vcc
	v_cmp_ge_u32_e32 vcc, v0, v1
                                        ; implicit-def: $vgpr15_vgpr16
	s_and_saveexec_b64 s[0:1], vcc
	s_xor_b64 s[0:1], exec, s[0:1]
; %bb.73:
	v_not_b32_e32 v15, v0
	v_ashrrev_i32_e32 v16, 31, v15
	v_add_co_u32_e32 v15, vcc, v2, v15
	v_addc_co_u32_e32 v16, vcc, v23, v16, vcc
; %bb.74:
	s_andn2_saveexec_b64 s[0:1], s[0:1]
; %bb.75:
	v_add_co_u32_e32 v15, vcc, v17, v0
	v_addc_co_u32_e32 v16, vcc, 0, v18, vcc
; %bb.76:
	s_or_b64 exec, exec, s[0:1]
	v_lshlrev_b64 v[15:16], 2, v[15:16]
	v_mov_b32_e32 v32, s27
	v_add_co_u32_e32 v15, vcc, s26, v15
	v_addc_co_u32_e32 v16, vcc, v32, v16, vcc
	v_cmp_ge_u32_e32 vcc, v33, v1
	s_waitcnt lgkmcnt(6)
	global_store_dword v[15:16], v13, off
                                        ; implicit-def: $vgpr15_vgpr16
	s_and_saveexec_b64 s[0:1], vcc
	s_xor_b64 s[0:1], exec, s[0:1]
; %bb.77:
	v_xor_b32_e32 v15, 0xfffffeff, v0
	v_ashrrev_i32_e32 v16, 31, v15
	v_add_co_u32_e32 v15, vcc, v2, v15
	v_addc_co_u32_e32 v16, vcc, v23, v16, vcc
; %bb.78:
	s_andn2_saveexec_b64 s[0:1], s[0:1]
; %bb.79:
	v_add_co_u32_e32 v15, vcc, v17, v33
	v_addc_co_u32_e32 v16, vcc, 0, v18, vcc
; %bb.80:
	s_or_b64 exec, exec, s[0:1]
	v_lshlrev_b64 v[15:16], 2, v[15:16]
	v_mov_b32_e32 v32, s27
	v_add_co_u32_e32 v15, vcc, s26, v15
	v_addc_co_u32_e32 v16, vcc, v32, v16, vcc
	v_cmp_ge_u32_e32 vcc, v31, v1
	global_store_dword v[15:16], v14, off
                                        ; implicit-def: $vgpr15_vgpr16
	s_and_saveexec_b64 s[0:1], vcc
	s_xor_b64 s[0:1], exec, s[0:1]
; %bb.81:
	v_xor_b32_e32 v15, 0xfffffdff, v0
	v_ashrrev_i32_e32 v16, 31, v15
	v_add_co_u32_e32 v15, vcc, v2, v15
	v_addc_co_u32_e32 v16, vcc, v23, v16, vcc
; %bb.82:
	s_andn2_saveexec_b64 s[0:1], s[0:1]
; %bb.83:
	v_add_co_u32_e32 v15, vcc, v17, v31
	v_addc_co_u32_e32 v16, vcc, 0, v18, vcc
; %bb.84:
	s_or_b64 exec, exec, s[0:1]
	v_lshlrev_b64 v[15:16], 2, v[15:16]
	v_mov_b32_e32 v32, s27
	v_add_co_u32_e32 v15, vcc, s26, v15
	v_addc_co_u32_e32 v16, vcc, v32, v16, vcc
	v_cmp_ge_u32_e32 vcc, v30, v1
	s_waitcnt lgkmcnt(5)
	global_store_dword v[15:16], v11, off
                                        ; implicit-def: $vgpr15_vgpr16
	s_and_saveexec_b64 s[0:1], vcc
	s_xor_b64 s[0:1], exec, s[0:1]
; %bb.85:
	v_xor_b32_e32 v15, 0xfffffcff, v0
	v_ashrrev_i32_e32 v16, 31, v15
	v_add_co_u32_e32 v15, vcc, v2, v15
	v_addc_co_u32_e32 v16, vcc, v23, v16, vcc
; %bb.86:
	s_andn2_saveexec_b64 s[0:1], s[0:1]
; %bb.87:
	v_add_co_u32_e32 v15, vcc, v17, v30
	v_addc_co_u32_e32 v16, vcc, 0, v18, vcc
; %bb.88:
	s_or_b64 exec, exec, s[0:1]
	v_lshlrev_b64 v[15:16], 2, v[15:16]
	v_mov_b32_e32 v32, s27
	v_add_co_u32_e32 v15, vcc, s26, v15
	v_addc_co_u32_e32 v16, vcc, v32, v16, vcc
	v_cmp_ge_u32_e32 vcc, v29, v1
	global_store_dword v[15:16], v12, off
                                        ; implicit-def: $vgpr15_vgpr16
	s_and_saveexec_b64 s[0:1], vcc
	s_xor_b64 s[0:1], exec, s[0:1]
; %bb.89:
	v_xor_b32_e32 v15, 0xfffffbff, v0
	;; [unrolled: 43-line block ×6, first 2 shown]
	v_ashrrev_i32_e32 v16, 31, v15
	v_add_co_u32_e32 v15, vcc, v2, v15
	v_addc_co_u32_e32 v16, vcc, v23, v16, vcc
; %bb.122:
	s_andn2_saveexec_b64 s[0:1], s[0:1]
; %bb.123:
	v_add_co_u32_e32 v15, vcc, v17, v20
	v_addc_co_u32_e32 v16, vcc, 0, v18, vcc
; %bb.124:
	s_or_b64 exec, exec, s[0:1]
	s_mov_b64 s[0:1], -1
	s_branch .LBB52_205
.LBB52_125:
	s_mov_b64 s[0:1], 0
                                        ; implicit-def: $vgpr15_vgpr16
	s_cbranch_execz .LBB52_205
; %bb.126:
	s_add_u32 s2, s30, s44
	s_addc_u32 s3, s31, 0
	s_sub_u32 s2, s28, s2
	s_subb_u32 s3, s29, s3
	v_mov_b32_e32 v2, s3
	v_add_co_u32_e32 v15, vcc, s2, v1
	v_addc_co_u32_e32 v2, vcc, 0, v2, vcc
	v_add_co_u32_e32 v23, vcc, v15, v17
	v_addc_co_u32_e32 v32, vcc, v2, v18, vcc
	v_cmp_gt_u32_e32 vcc, s33, v0
	s_and_saveexec_b64 s[2:3], vcc
	s_cbranch_execz .LBB52_162
; %bb.127:
	v_cmp_ge_u32_e32 vcc, v0, v1
                                        ; implicit-def: $vgpr15_vgpr16
	s_and_saveexec_b64 s[4:5], vcc
	s_xor_b64 s[4:5], exec, s[4:5]
; %bb.128:
	v_not_b32_e32 v2, v0
	v_ashrrev_i32_e32 v16, 31, v2
	v_add_co_u32_e32 v15, vcc, v23, v2
	v_addc_co_u32_e32 v16, vcc, v32, v16, vcc
; %bb.129:
	s_andn2_saveexec_b64 s[4:5], s[4:5]
; %bb.130:
	v_add_co_u32_e32 v15, vcc, v17, v0
	v_addc_co_u32_e32 v16, vcc, 0, v18, vcc
; %bb.131:
	s_or_b64 exec, exec, s[4:5]
	v_lshlrev_b64 v[15:16], 2, v[15:16]
	v_mov_b32_e32 v2, s27
	v_add_co_u32_e32 v15, vcc, s26, v15
	v_addc_co_u32_e32 v16, vcc, v2, v16, vcc
	s_waitcnt lgkmcnt(6)
	global_store_dword v[15:16], v13, off
	s_or_b64 exec, exec, s[2:3]
	v_cmp_gt_u32_e32 vcc, s33, v33
	s_and_saveexec_b64 s[2:3], vcc
	s_cbranch_execnz .LBB52_163
.LBB52_132:
	s_or_b64 exec, exec, s[2:3]
	v_cmp_gt_u32_e32 vcc, s33, v31
	s_and_saveexec_b64 s[2:3], vcc
	s_cbranch_execz .LBB52_168
.LBB52_133:
	v_cmp_ge_u32_e32 vcc, v31, v1
                                        ; implicit-def: $vgpr13_vgpr14
	s_and_saveexec_b64 s[4:5], vcc
	s_xor_b64 s[4:5], exec, s[4:5]
	s_cbranch_execz .LBB52_135
; %bb.134:
	v_xor_b32_e32 v2, 0xfffffdff, v0
	s_waitcnt lgkmcnt(6)
	v_ashrrev_i32_e32 v14, 31, v2
	v_add_co_u32_e32 v13, vcc, v23, v2
	v_addc_co_u32_e32 v14, vcc, v32, v14, vcc
                                        ; implicit-def: $vgpr31
.LBB52_135:
	s_andn2_saveexec_b64 s[4:5], s[4:5]
	s_cbranch_execz .LBB52_137
; %bb.136:
	s_waitcnt lgkmcnt(6)
	v_add_co_u32_e32 v13, vcc, v17, v31
	v_addc_co_u32_e32 v14, vcc, 0, v18, vcc
.LBB52_137:
	s_or_b64 exec, exec, s[4:5]
	s_waitcnt lgkmcnt(6)
	v_lshlrev_b64 v[13:14], 2, v[13:14]
	v_mov_b32_e32 v2, s27
	v_add_co_u32_e32 v13, vcc, s26, v13
	v_addc_co_u32_e32 v14, vcc, v2, v14, vcc
	s_waitcnt lgkmcnt(5)
	global_store_dword v[13:14], v11, off
	s_or_b64 exec, exec, s[2:3]
	v_cmp_gt_u32_e32 vcc, s33, v30
	s_and_saveexec_b64 s[2:3], vcc
	s_cbranch_execnz .LBB52_169
.LBB52_138:
	s_or_b64 exec, exec, s[2:3]
	v_cmp_gt_u32_e32 vcc, s33, v29
	s_and_saveexec_b64 s[2:3], vcc
	s_cbranch_execz .LBB52_174
.LBB52_139:
	v_cmp_ge_u32_e32 vcc, v29, v1
                                        ; implicit-def: $vgpr11_vgpr12
	s_and_saveexec_b64 s[4:5], vcc
	s_xor_b64 s[4:5], exec, s[4:5]
	s_cbranch_execz .LBB52_141
; %bb.140:
	v_xor_b32_e32 v2, 0xfffffbff, v0
	s_waitcnt lgkmcnt(5)
	v_ashrrev_i32_e32 v12, 31, v2
	v_add_co_u32_e32 v11, vcc, v23, v2
	v_addc_co_u32_e32 v12, vcc, v32, v12, vcc
                                        ; implicit-def: $vgpr29
.LBB52_141:
	s_andn2_saveexec_b64 s[4:5], s[4:5]
	s_cbranch_execz .LBB52_143
; %bb.142:
	s_waitcnt lgkmcnt(5)
	v_add_co_u32_e32 v11, vcc, v17, v29
	v_addc_co_u32_e32 v12, vcc, 0, v18, vcc
.LBB52_143:
	s_or_b64 exec, exec, s[4:5]
	s_waitcnt lgkmcnt(5)
	v_lshlrev_b64 v[11:12], 2, v[11:12]
	v_mov_b32_e32 v2, s27
	v_add_co_u32_e32 v11, vcc, s26, v11
	v_addc_co_u32_e32 v12, vcc, v2, v12, vcc
	s_waitcnt lgkmcnt(4)
	global_store_dword v[11:12], v9, off
	s_or_b64 exec, exec, s[2:3]
	v_cmp_gt_u32_e32 vcc, s33, v28
	s_and_saveexec_b64 s[2:3], vcc
	s_cbranch_execnz .LBB52_175
.LBB52_144:
	s_or_b64 exec, exec, s[2:3]
	v_cmp_gt_u32_e32 vcc, s33, v27
	s_and_saveexec_b64 s[2:3], vcc
	s_cbranch_execz .LBB52_180
.LBB52_145:
	v_cmp_ge_u32_e32 vcc, v27, v1
                                        ; implicit-def: $vgpr9_vgpr10
	s_and_saveexec_b64 s[4:5], vcc
	s_xor_b64 s[4:5], exec, s[4:5]
	s_cbranch_execz .LBB52_147
; %bb.146:
	v_xor_b32_e32 v2, 0xfffff9ff, v0
	s_waitcnt lgkmcnt(4)
	v_ashrrev_i32_e32 v10, 31, v2
	v_add_co_u32_e32 v9, vcc, v23, v2
	v_addc_co_u32_e32 v10, vcc, v32, v10, vcc
                                        ; implicit-def: $vgpr27
.LBB52_147:
	s_andn2_saveexec_b64 s[4:5], s[4:5]
	s_cbranch_execz .LBB52_149
; %bb.148:
	s_waitcnt lgkmcnt(4)
	v_add_co_u32_e32 v9, vcc, v17, v27
	v_addc_co_u32_e32 v10, vcc, 0, v18, vcc
.LBB52_149:
	s_or_b64 exec, exec, s[4:5]
	s_waitcnt lgkmcnt(4)
	v_lshlrev_b64 v[9:10], 2, v[9:10]
	v_mov_b32_e32 v2, s27
	v_add_co_u32_e32 v9, vcc, s26, v9
	v_addc_co_u32_e32 v10, vcc, v2, v10, vcc
	s_waitcnt lgkmcnt(3)
	global_store_dword v[9:10], v7, off
	s_or_b64 exec, exec, s[2:3]
	v_cmp_gt_u32_e32 vcc, s33, v26
	s_and_saveexec_b64 s[2:3], vcc
	s_cbranch_execnz .LBB52_181
.LBB52_150:
	s_or_b64 exec, exec, s[2:3]
	v_cmp_gt_u32_e32 vcc, s33, v25
	s_and_saveexec_b64 s[2:3], vcc
	s_cbranch_execz .LBB52_186
.LBB52_151:
	v_cmp_ge_u32_e32 vcc, v25, v1
                                        ; implicit-def: $vgpr7_vgpr8
	s_and_saveexec_b64 s[4:5], vcc
	s_xor_b64 s[4:5], exec, s[4:5]
	s_cbranch_execz .LBB52_153
; %bb.152:
	v_xor_b32_e32 v2, 0xfffff7ff, v0
	s_waitcnt lgkmcnt(3)
	v_ashrrev_i32_e32 v8, 31, v2
	v_add_co_u32_e32 v7, vcc, v23, v2
	v_addc_co_u32_e32 v8, vcc, v32, v8, vcc
                                        ; implicit-def: $vgpr25
.LBB52_153:
	s_andn2_saveexec_b64 s[4:5], s[4:5]
	s_cbranch_execz .LBB52_155
; %bb.154:
	s_waitcnt lgkmcnt(3)
	v_add_co_u32_e32 v7, vcc, v17, v25
	v_addc_co_u32_e32 v8, vcc, 0, v18, vcc
.LBB52_155:
	s_or_b64 exec, exec, s[4:5]
	s_waitcnt lgkmcnt(3)
	v_lshlrev_b64 v[7:8], 2, v[7:8]
	v_mov_b32_e32 v2, s27
	v_add_co_u32_e32 v7, vcc, s26, v7
	v_addc_co_u32_e32 v8, vcc, v2, v8, vcc
	s_waitcnt lgkmcnt(2)
	global_store_dword v[7:8], v5, off
	s_or_b64 exec, exec, s[2:3]
	v_cmp_gt_u32_e32 vcc, s33, v24
	s_and_saveexec_b64 s[2:3], vcc
	s_cbranch_execnz .LBB52_187
.LBB52_156:
	s_or_b64 exec, exec, s[2:3]
	v_cmp_gt_u32_e32 vcc, s33, v22
	s_and_saveexec_b64 s[2:3], vcc
	s_cbranch_execz .LBB52_192
.LBB52_157:
	v_cmp_ge_u32_e32 vcc, v22, v1
                                        ; implicit-def: $vgpr5_vgpr6
	s_and_saveexec_b64 s[4:5], vcc
	s_xor_b64 s[4:5], exec, s[4:5]
	s_cbranch_execz .LBB52_159
; %bb.158:
	v_xor_b32_e32 v2, 0xfffff5ff, v0
	s_waitcnt lgkmcnt(2)
	v_ashrrev_i32_e32 v6, 31, v2
	v_add_co_u32_e32 v5, vcc, v23, v2
	v_addc_co_u32_e32 v6, vcc, v32, v6, vcc
                                        ; implicit-def: $vgpr22
.LBB52_159:
	s_andn2_saveexec_b64 s[4:5], s[4:5]
	s_cbranch_execz .LBB52_161
; %bb.160:
	s_waitcnt lgkmcnt(2)
	v_add_co_u32_e32 v5, vcc, v17, v22
	v_addc_co_u32_e32 v6, vcc, 0, v18, vcc
.LBB52_161:
	s_or_b64 exec, exec, s[4:5]
	s_waitcnt lgkmcnt(2)
	v_lshlrev_b64 v[5:6], 2, v[5:6]
	v_mov_b32_e32 v2, s27
	v_add_co_u32_e32 v5, vcc, s26, v5
	v_addc_co_u32_e32 v6, vcc, v2, v6, vcc
	s_waitcnt lgkmcnt(1)
	global_store_dword v[5:6], v3, off
	s_or_b64 exec, exec, s[2:3]
	v_cmp_gt_u32_e32 vcc, s33, v21
	s_and_saveexec_b64 s[2:3], vcc
	s_cbranch_execz .LBB52_198
	s_branch .LBB52_193
.LBB52_162:
	s_or_b64 exec, exec, s[2:3]
	v_cmp_gt_u32_e32 vcc, s33, v33
	s_and_saveexec_b64 s[2:3], vcc
	s_cbranch_execz .LBB52_132
.LBB52_163:
	v_cmp_ge_u32_e32 vcc, v33, v1
                                        ; implicit-def: $vgpr15_vgpr16
	s_and_saveexec_b64 s[4:5], vcc
	s_xor_b64 s[4:5], exec, s[4:5]
	s_cbranch_execz .LBB52_165
; %bb.164:
	v_xor_b32_e32 v2, 0xfffffeff, v0
	s_waitcnt lgkmcnt(6)
	v_ashrrev_i32_e32 v13, 31, v2
	v_add_co_u32_e32 v15, vcc, v23, v2
	v_addc_co_u32_e32 v16, vcc, v32, v13, vcc
                                        ; implicit-def: $vgpr33
.LBB52_165:
	s_andn2_saveexec_b64 s[4:5], s[4:5]
; %bb.166:
	v_add_co_u32_e32 v15, vcc, v17, v33
	v_addc_co_u32_e32 v16, vcc, 0, v18, vcc
; %bb.167:
	s_or_b64 exec, exec, s[4:5]
	v_lshlrev_b64 v[15:16], 2, v[15:16]
	v_mov_b32_e32 v2, s27
	v_add_co_u32_e32 v15, vcc, s26, v15
	v_addc_co_u32_e32 v16, vcc, v2, v16, vcc
	s_waitcnt lgkmcnt(6)
	global_store_dword v[15:16], v14, off
	s_or_b64 exec, exec, s[2:3]
	v_cmp_gt_u32_e32 vcc, s33, v31
	s_and_saveexec_b64 s[2:3], vcc
	s_cbranch_execnz .LBB52_133
.LBB52_168:
	s_or_b64 exec, exec, s[2:3]
	v_cmp_gt_u32_e32 vcc, s33, v30
	s_and_saveexec_b64 s[2:3], vcc
	s_cbranch_execz .LBB52_138
.LBB52_169:
	v_cmp_ge_u32_e32 vcc, v30, v1
                                        ; implicit-def: $vgpr13_vgpr14
	s_and_saveexec_b64 s[4:5], vcc
	s_xor_b64 s[4:5], exec, s[4:5]
	s_cbranch_execz .LBB52_171
; %bb.170:
	v_xor_b32_e32 v2, 0xfffffcff, v0
	s_waitcnt lgkmcnt(5)
	v_ashrrev_i32_e32 v11, 31, v2
	v_add_co_u32_e32 v13, vcc, v23, v2
	v_addc_co_u32_e32 v14, vcc, v32, v11, vcc
                                        ; implicit-def: $vgpr30
.LBB52_171:
	s_andn2_saveexec_b64 s[4:5], s[4:5]
	s_cbranch_execz .LBB52_173
; %bb.172:
	s_waitcnt lgkmcnt(6)
	v_add_co_u32_e32 v13, vcc, v17, v30
	v_addc_co_u32_e32 v14, vcc, 0, v18, vcc
.LBB52_173:
	s_or_b64 exec, exec, s[4:5]
	s_waitcnt lgkmcnt(6)
	v_lshlrev_b64 v[13:14], 2, v[13:14]
	v_mov_b32_e32 v2, s27
	v_add_co_u32_e32 v13, vcc, s26, v13
	v_addc_co_u32_e32 v14, vcc, v2, v14, vcc
	s_waitcnt lgkmcnt(5)
	global_store_dword v[13:14], v12, off
	s_or_b64 exec, exec, s[2:3]
	v_cmp_gt_u32_e32 vcc, s33, v29
	s_and_saveexec_b64 s[2:3], vcc
	s_cbranch_execnz .LBB52_139
.LBB52_174:
	s_or_b64 exec, exec, s[2:3]
	v_cmp_gt_u32_e32 vcc, s33, v28
	s_and_saveexec_b64 s[2:3], vcc
	s_cbranch_execz .LBB52_144
.LBB52_175:
	v_cmp_ge_u32_e32 vcc, v28, v1
                                        ; implicit-def: $vgpr11_vgpr12
	s_and_saveexec_b64 s[4:5], vcc
	s_xor_b64 s[4:5], exec, s[4:5]
	s_cbranch_execz .LBB52_177
; %bb.176:
	v_xor_b32_e32 v2, 0xfffffaff, v0
	s_waitcnt lgkmcnt(4)
	v_ashrrev_i32_e32 v9, 31, v2
	v_add_co_u32_e32 v11, vcc, v23, v2
	v_addc_co_u32_e32 v12, vcc, v32, v9, vcc
                                        ; implicit-def: $vgpr28
.LBB52_177:
	s_andn2_saveexec_b64 s[4:5], s[4:5]
	s_cbranch_execz .LBB52_179
; %bb.178:
	s_waitcnt lgkmcnt(5)
	v_add_co_u32_e32 v11, vcc, v17, v28
	v_addc_co_u32_e32 v12, vcc, 0, v18, vcc
.LBB52_179:
	s_or_b64 exec, exec, s[4:5]
	s_waitcnt lgkmcnt(5)
	v_lshlrev_b64 v[11:12], 2, v[11:12]
	v_mov_b32_e32 v2, s27
	v_add_co_u32_e32 v11, vcc, s26, v11
	v_addc_co_u32_e32 v12, vcc, v2, v12, vcc
	s_waitcnt lgkmcnt(4)
	global_store_dword v[11:12], v10, off
	s_or_b64 exec, exec, s[2:3]
	v_cmp_gt_u32_e32 vcc, s33, v27
	s_and_saveexec_b64 s[2:3], vcc
	s_cbranch_execnz .LBB52_145
.LBB52_180:
	s_or_b64 exec, exec, s[2:3]
	v_cmp_gt_u32_e32 vcc, s33, v26
	s_and_saveexec_b64 s[2:3], vcc
	s_cbranch_execz .LBB52_150
.LBB52_181:
	v_cmp_ge_u32_e32 vcc, v26, v1
                                        ; implicit-def: $vgpr9_vgpr10
	s_and_saveexec_b64 s[4:5], vcc
	s_xor_b64 s[4:5], exec, s[4:5]
	s_cbranch_execz .LBB52_183
; %bb.182:
	v_xor_b32_e32 v2, 0xfffff8ff, v0
	s_waitcnt lgkmcnt(3)
	v_ashrrev_i32_e32 v7, 31, v2
	v_add_co_u32_e32 v9, vcc, v23, v2
	v_addc_co_u32_e32 v10, vcc, v32, v7, vcc
                                        ; implicit-def: $vgpr26
.LBB52_183:
	s_andn2_saveexec_b64 s[4:5], s[4:5]
	s_cbranch_execz .LBB52_185
; %bb.184:
	s_waitcnt lgkmcnt(4)
	v_add_co_u32_e32 v9, vcc, v17, v26
	v_addc_co_u32_e32 v10, vcc, 0, v18, vcc
.LBB52_185:
	s_or_b64 exec, exec, s[4:5]
	s_waitcnt lgkmcnt(4)
	v_lshlrev_b64 v[9:10], 2, v[9:10]
	v_mov_b32_e32 v2, s27
	v_add_co_u32_e32 v9, vcc, s26, v9
	v_addc_co_u32_e32 v10, vcc, v2, v10, vcc
	s_waitcnt lgkmcnt(3)
	global_store_dword v[9:10], v8, off
	s_or_b64 exec, exec, s[2:3]
	v_cmp_gt_u32_e32 vcc, s33, v25
	s_and_saveexec_b64 s[2:3], vcc
	s_cbranch_execnz .LBB52_151
.LBB52_186:
	s_or_b64 exec, exec, s[2:3]
	v_cmp_gt_u32_e32 vcc, s33, v24
	s_and_saveexec_b64 s[2:3], vcc
	s_cbranch_execz .LBB52_156
.LBB52_187:
	v_cmp_ge_u32_e32 vcc, v24, v1
                                        ; implicit-def: $vgpr7_vgpr8
	s_and_saveexec_b64 s[4:5], vcc
	s_xor_b64 s[4:5], exec, s[4:5]
	s_cbranch_execz .LBB52_189
; %bb.188:
	v_xor_b32_e32 v2, 0xfffff6ff, v0
	s_waitcnt lgkmcnt(2)
	v_ashrrev_i32_e32 v5, 31, v2
	v_add_co_u32_e32 v7, vcc, v23, v2
	v_addc_co_u32_e32 v8, vcc, v32, v5, vcc
                                        ; implicit-def: $vgpr24
.LBB52_189:
	s_andn2_saveexec_b64 s[4:5], s[4:5]
	s_cbranch_execz .LBB52_191
; %bb.190:
	s_waitcnt lgkmcnt(3)
	v_add_co_u32_e32 v7, vcc, v17, v24
	v_addc_co_u32_e32 v8, vcc, 0, v18, vcc
.LBB52_191:
	s_or_b64 exec, exec, s[4:5]
	s_waitcnt lgkmcnt(3)
	v_lshlrev_b64 v[7:8], 2, v[7:8]
	v_mov_b32_e32 v2, s27
	v_add_co_u32_e32 v7, vcc, s26, v7
	v_addc_co_u32_e32 v8, vcc, v2, v8, vcc
	s_waitcnt lgkmcnt(2)
	global_store_dword v[7:8], v6, off
	s_or_b64 exec, exec, s[2:3]
	v_cmp_gt_u32_e32 vcc, s33, v22
	s_and_saveexec_b64 s[2:3], vcc
	s_cbranch_execnz .LBB52_157
.LBB52_192:
	s_or_b64 exec, exec, s[2:3]
	v_cmp_gt_u32_e32 vcc, s33, v21
	s_and_saveexec_b64 s[2:3], vcc
	s_cbranch_execz .LBB52_198
.LBB52_193:
	v_cmp_ge_u32_e32 vcc, v21, v1
                                        ; implicit-def: $vgpr2_vgpr3
	s_and_saveexec_b64 s[4:5], vcc
	s_xor_b64 s[4:5], exec, s[4:5]
	s_cbranch_execz .LBB52_195
; %bb.194:
	v_xor_b32_e32 v2, 0xfffff4ff, v0
	s_waitcnt lgkmcnt(1)
	v_ashrrev_i32_e32 v3, 31, v2
	v_add_co_u32_e32 v2, vcc, v23, v2
	v_addc_co_u32_e32 v3, vcc, v32, v3, vcc
                                        ; implicit-def: $vgpr21
.LBB52_195:
	s_andn2_saveexec_b64 s[4:5], s[4:5]
	s_cbranch_execz .LBB52_197
; %bb.196:
	v_add_co_u32_e32 v2, vcc, v17, v21
	s_waitcnt lgkmcnt(1)
	v_addc_co_u32_e32 v3, vcc, 0, v18, vcc
.LBB52_197:
	s_or_b64 exec, exec, s[4:5]
	s_waitcnt lgkmcnt(1)
	v_lshlrev_b64 v[2:3], 2, v[2:3]
	v_mov_b32_e32 v5, s27
	v_add_co_u32_e32 v2, vcc, s26, v2
	v_addc_co_u32_e32 v3, vcc, v5, v3, vcc
	global_store_dword v[2:3], v4, off
.LBB52_198:
	s_or_b64 exec, exec, s[2:3]
	v_cmp_gt_u32_e32 vcc, s33, v20
                                        ; implicit-def: $vgpr15_vgpr16
	s_and_saveexec_b64 s[2:3], vcc
	s_cbranch_execz .LBB52_204
; %bb.199:
	v_cmp_ge_u32_e32 vcc, v20, v1
                                        ; implicit-def: $vgpr15_vgpr16
	s_and_saveexec_b64 s[4:5], vcc
	s_xor_b64 s[4:5], exec, s[4:5]
	s_cbranch_execz .LBB52_201
; %bb.200:
	v_xor_b32_e32 v2, 0xfffff3ff, v0
	s_waitcnt lgkmcnt(1)
	v_ashrrev_i32_e32 v3, 31, v2
	v_add_co_u32_e32 v15, vcc, v23, v2
	v_addc_co_u32_e32 v16, vcc, v32, v3, vcc
                                        ; implicit-def: $vgpr20
.LBB52_201:
	s_andn2_saveexec_b64 s[4:5], s[4:5]
; %bb.202:
	v_add_co_u32_e32 v15, vcc, v17, v20
	v_addc_co_u32_e32 v16, vcc, 0, v18, vcc
; %bb.203:
	s_or_b64 exec, exec, s[4:5]
	s_or_b64 s[0:1], s[0:1], exec
.LBB52_204:
	s_or_b64 exec, exec, s[2:3]
.LBB52_205:
	s_and_saveexec_b64 s[2:3], s[0:1]
	s_cbranch_execz .LBB52_207
; %bb.206:
	s_waitcnt lgkmcnt(1)
	v_lshlrev_b64 v[2:3], 2, v[15:16]
	v_mov_b32_e32 v4, s27
	v_add_co_u32_e32 v2, vcc, s26, v2
	v_addc_co_u32_e32 v3, vcc, v4, v3, vcc
	s_waitcnt lgkmcnt(0)
	global_store_dword v[2:3], v19, off
.LBB52_207:
	s_or_b64 exec, exec, s[2:3]
	v_cmp_eq_u32_e32 vcc, 0, v0
	s_and_b64 s[0:1], vcc, s[22:23]
	s_and_saveexec_b64 s[2:3], s[0:1]
	s_cbranch_execz .LBB52_209
; %bb.208:
	v_add_co_u32_e32 v0, vcc, v17, v1
	v_mov_b32_e32 v2, 0
	v_addc_co_u32_e32 v1, vcc, 0, v18, vcc
	global_store_dwordx2 v2, v[0:1], s[24:25]
.LBB52_209:
	s_endpgm
	.section	.rodata,"a",@progbits
	.p2align	6, 0x0
	.amdhsa_kernel _ZN7rocprim17ROCPRIM_400000_NS6detail17trampoline_kernelINS0_13select_configILj256ELj13ELNS0_17block_load_methodE3ELS4_3ELS4_3ELNS0_20block_scan_algorithmE0ELj4294967295EEENS1_25partition_config_selectorILNS1_17partition_subalgoE3EjNS0_10empty_typeEbEEZZNS1_14partition_implILS8_3ELb0ES6_jNS0_17counting_iteratorIjlEEPS9_SE_NS0_5tupleIJPjSE_EEENSF_IJSE_SE_EEES9_SG_JZNS1_25segmented_radix_sort_implINS0_14default_configELb1EPKhPhPKlPlN2at6native12_GLOBAL__N_18offset_tEEE10hipError_tPvRmT1_PNSt15iterator_traitsISY_E10value_typeET2_T3_PNSZ_IS14_E10value_typeET4_jRbjT5_S1A_jjP12ihipStream_tbEUljE_EEESV_SW_SX_S14_S18_S1A_T6_T7_T9_mT8_S1C_bDpT10_ENKUlT_T0_E_clISt17integral_constantIbLb0EES1P_EEDaS1K_S1L_EUlS1K_E_NS1_11comp_targetILNS1_3genE2ELNS1_11target_archE906ELNS1_3gpuE6ELNS1_3repE0EEENS1_30default_config_static_selectorELNS0_4arch9wavefront6targetE1EEEvSY_
		.amdhsa_group_segment_fixed_size 13320
		.amdhsa_private_segment_fixed_size 0
		.amdhsa_kernarg_size 144
		.amdhsa_user_sgpr_count 6
		.amdhsa_user_sgpr_private_segment_buffer 1
		.amdhsa_user_sgpr_dispatch_ptr 0
		.amdhsa_user_sgpr_queue_ptr 0
		.amdhsa_user_sgpr_kernarg_segment_ptr 1
		.amdhsa_user_sgpr_dispatch_id 0
		.amdhsa_user_sgpr_flat_scratch_init 0
		.amdhsa_user_sgpr_private_segment_size 0
		.amdhsa_uses_dynamic_stack 0
		.amdhsa_system_sgpr_private_segment_wavefront_offset 0
		.amdhsa_system_sgpr_workgroup_id_x 1
		.amdhsa_system_sgpr_workgroup_id_y 0
		.amdhsa_system_sgpr_workgroup_id_z 0
		.amdhsa_system_sgpr_workgroup_info 0
		.amdhsa_system_vgpr_workitem_id 0
		.amdhsa_next_free_vgpr 69
		.amdhsa_next_free_sgpr 98
		.amdhsa_reserve_vcc 1
		.amdhsa_reserve_flat_scratch 0
		.amdhsa_float_round_mode_32 0
		.amdhsa_float_round_mode_16_64 0
		.amdhsa_float_denorm_mode_32 3
		.amdhsa_float_denorm_mode_16_64 3
		.amdhsa_dx10_clamp 1
		.amdhsa_ieee_mode 1
		.amdhsa_fp16_overflow 0
		.amdhsa_exception_fp_ieee_invalid_op 0
		.amdhsa_exception_fp_denorm_src 0
		.amdhsa_exception_fp_ieee_div_zero 0
		.amdhsa_exception_fp_ieee_overflow 0
		.amdhsa_exception_fp_ieee_underflow 0
		.amdhsa_exception_fp_ieee_inexact 0
		.amdhsa_exception_int_div_zero 0
	.end_amdhsa_kernel
	.section	.text._ZN7rocprim17ROCPRIM_400000_NS6detail17trampoline_kernelINS0_13select_configILj256ELj13ELNS0_17block_load_methodE3ELS4_3ELS4_3ELNS0_20block_scan_algorithmE0ELj4294967295EEENS1_25partition_config_selectorILNS1_17partition_subalgoE3EjNS0_10empty_typeEbEEZZNS1_14partition_implILS8_3ELb0ES6_jNS0_17counting_iteratorIjlEEPS9_SE_NS0_5tupleIJPjSE_EEENSF_IJSE_SE_EEES9_SG_JZNS1_25segmented_radix_sort_implINS0_14default_configELb1EPKhPhPKlPlN2at6native12_GLOBAL__N_18offset_tEEE10hipError_tPvRmT1_PNSt15iterator_traitsISY_E10value_typeET2_T3_PNSZ_IS14_E10value_typeET4_jRbjT5_S1A_jjP12ihipStream_tbEUljE_EEESV_SW_SX_S14_S18_S1A_T6_T7_T9_mT8_S1C_bDpT10_ENKUlT_T0_E_clISt17integral_constantIbLb0EES1P_EEDaS1K_S1L_EUlS1K_E_NS1_11comp_targetILNS1_3genE2ELNS1_11target_archE906ELNS1_3gpuE6ELNS1_3repE0EEENS1_30default_config_static_selectorELNS0_4arch9wavefront6targetE1EEEvSY_,"axG",@progbits,_ZN7rocprim17ROCPRIM_400000_NS6detail17trampoline_kernelINS0_13select_configILj256ELj13ELNS0_17block_load_methodE3ELS4_3ELS4_3ELNS0_20block_scan_algorithmE0ELj4294967295EEENS1_25partition_config_selectorILNS1_17partition_subalgoE3EjNS0_10empty_typeEbEEZZNS1_14partition_implILS8_3ELb0ES6_jNS0_17counting_iteratorIjlEEPS9_SE_NS0_5tupleIJPjSE_EEENSF_IJSE_SE_EEES9_SG_JZNS1_25segmented_radix_sort_implINS0_14default_configELb1EPKhPhPKlPlN2at6native12_GLOBAL__N_18offset_tEEE10hipError_tPvRmT1_PNSt15iterator_traitsISY_E10value_typeET2_T3_PNSZ_IS14_E10value_typeET4_jRbjT5_S1A_jjP12ihipStream_tbEUljE_EEESV_SW_SX_S14_S18_S1A_T6_T7_T9_mT8_S1C_bDpT10_ENKUlT_T0_E_clISt17integral_constantIbLb0EES1P_EEDaS1K_S1L_EUlS1K_E_NS1_11comp_targetILNS1_3genE2ELNS1_11target_archE906ELNS1_3gpuE6ELNS1_3repE0EEENS1_30default_config_static_selectorELNS0_4arch9wavefront6targetE1EEEvSY_,comdat
.Lfunc_end52:
	.size	_ZN7rocprim17ROCPRIM_400000_NS6detail17trampoline_kernelINS0_13select_configILj256ELj13ELNS0_17block_load_methodE3ELS4_3ELS4_3ELNS0_20block_scan_algorithmE0ELj4294967295EEENS1_25partition_config_selectorILNS1_17partition_subalgoE3EjNS0_10empty_typeEbEEZZNS1_14partition_implILS8_3ELb0ES6_jNS0_17counting_iteratorIjlEEPS9_SE_NS0_5tupleIJPjSE_EEENSF_IJSE_SE_EEES9_SG_JZNS1_25segmented_radix_sort_implINS0_14default_configELb1EPKhPhPKlPlN2at6native12_GLOBAL__N_18offset_tEEE10hipError_tPvRmT1_PNSt15iterator_traitsISY_E10value_typeET2_T3_PNSZ_IS14_E10value_typeET4_jRbjT5_S1A_jjP12ihipStream_tbEUljE_EEESV_SW_SX_S14_S18_S1A_T6_T7_T9_mT8_S1C_bDpT10_ENKUlT_T0_E_clISt17integral_constantIbLb0EES1P_EEDaS1K_S1L_EUlS1K_E_NS1_11comp_targetILNS1_3genE2ELNS1_11target_archE906ELNS1_3gpuE6ELNS1_3repE0EEENS1_30default_config_static_selectorELNS0_4arch9wavefront6targetE1EEEvSY_, .Lfunc_end52-_ZN7rocprim17ROCPRIM_400000_NS6detail17trampoline_kernelINS0_13select_configILj256ELj13ELNS0_17block_load_methodE3ELS4_3ELS4_3ELNS0_20block_scan_algorithmE0ELj4294967295EEENS1_25partition_config_selectorILNS1_17partition_subalgoE3EjNS0_10empty_typeEbEEZZNS1_14partition_implILS8_3ELb0ES6_jNS0_17counting_iteratorIjlEEPS9_SE_NS0_5tupleIJPjSE_EEENSF_IJSE_SE_EEES9_SG_JZNS1_25segmented_radix_sort_implINS0_14default_configELb1EPKhPhPKlPlN2at6native12_GLOBAL__N_18offset_tEEE10hipError_tPvRmT1_PNSt15iterator_traitsISY_E10value_typeET2_T3_PNSZ_IS14_E10value_typeET4_jRbjT5_S1A_jjP12ihipStream_tbEUljE_EEESV_SW_SX_S14_S18_S1A_T6_T7_T9_mT8_S1C_bDpT10_ENKUlT_T0_E_clISt17integral_constantIbLb0EES1P_EEDaS1K_S1L_EUlS1K_E_NS1_11comp_targetILNS1_3genE2ELNS1_11target_archE906ELNS1_3gpuE6ELNS1_3repE0EEENS1_30default_config_static_selectorELNS0_4arch9wavefront6targetE1EEEvSY_
                                        ; -- End function
	.set _ZN7rocprim17ROCPRIM_400000_NS6detail17trampoline_kernelINS0_13select_configILj256ELj13ELNS0_17block_load_methodE3ELS4_3ELS4_3ELNS0_20block_scan_algorithmE0ELj4294967295EEENS1_25partition_config_selectorILNS1_17partition_subalgoE3EjNS0_10empty_typeEbEEZZNS1_14partition_implILS8_3ELb0ES6_jNS0_17counting_iteratorIjlEEPS9_SE_NS0_5tupleIJPjSE_EEENSF_IJSE_SE_EEES9_SG_JZNS1_25segmented_radix_sort_implINS0_14default_configELb1EPKhPhPKlPlN2at6native12_GLOBAL__N_18offset_tEEE10hipError_tPvRmT1_PNSt15iterator_traitsISY_E10value_typeET2_T3_PNSZ_IS14_E10value_typeET4_jRbjT5_S1A_jjP12ihipStream_tbEUljE_EEESV_SW_SX_S14_S18_S1A_T6_T7_T9_mT8_S1C_bDpT10_ENKUlT_T0_E_clISt17integral_constantIbLb0EES1P_EEDaS1K_S1L_EUlS1K_E_NS1_11comp_targetILNS1_3genE2ELNS1_11target_archE906ELNS1_3gpuE6ELNS1_3repE0EEENS1_30default_config_static_selectorELNS0_4arch9wavefront6targetE1EEEvSY_.num_vgpr, 69
	.set _ZN7rocprim17ROCPRIM_400000_NS6detail17trampoline_kernelINS0_13select_configILj256ELj13ELNS0_17block_load_methodE3ELS4_3ELS4_3ELNS0_20block_scan_algorithmE0ELj4294967295EEENS1_25partition_config_selectorILNS1_17partition_subalgoE3EjNS0_10empty_typeEbEEZZNS1_14partition_implILS8_3ELb0ES6_jNS0_17counting_iteratorIjlEEPS9_SE_NS0_5tupleIJPjSE_EEENSF_IJSE_SE_EEES9_SG_JZNS1_25segmented_radix_sort_implINS0_14default_configELb1EPKhPhPKlPlN2at6native12_GLOBAL__N_18offset_tEEE10hipError_tPvRmT1_PNSt15iterator_traitsISY_E10value_typeET2_T3_PNSZ_IS14_E10value_typeET4_jRbjT5_S1A_jjP12ihipStream_tbEUljE_EEESV_SW_SX_S14_S18_S1A_T6_T7_T9_mT8_S1C_bDpT10_ENKUlT_T0_E_clISt17integral_constantIbLb0EES1P_EEDaS1K_S1L_EUlS1K_E_NS1_11comp_targetILNS1_3genE2ELNS1_11target_archE906ELNS1_3gpuE6ELNS1_3repE0EEENS1_30default_config_static_selectorELNS0_4arch9wavefront6targetE1EEEvSY_.num_agpr, 0
	.set _ZN7rocprim17ROCPRIM_400000_NS6detail17trampoline_kernelINS0_13select_configILj256ELj13ELNS0_17block_load_methodE3ELS4_3ELS4_3ELNS0_20block_scan_algorithmE0ELj4294967295EEENS1_25partition_config_selectorILNS1_17partition_subalgoE3EjNS0_10empty_typeEbEEZZNS1_14partition_implILS8_3ELb0ES6_jNS0_17counting_iteratorIjlEEPS9_SE_NS0_5tupleIJPjSE_EEENSF_IJSE_SE_EEES9_SG_JZNS1_25segmented_radix_sort_implINS0_14default_configELb1EPKhPhPKlPlN2at6native12_GLOBAL__N_18offset_tEEE10hipError_tPvRmT1_PNSt15iterator_traitsISY_E10value_typeET2_T3_PNSZ_IS14_E10value_typeET4_jRbjT5_S1A_jjP12ihipStream_tbEUljE_EEESV_SW_SX_S14_S18_S1A_T6_T7_T9_mT8_S1C_bDpT10_ENKUlT_T0_E_clISt17integral_constantIbLb0EES1P_EEDaS1K_S1L_EUlS1K_E_NS1_11comp_targetILNS1_3genE2ELNS1_11target_archE906ELNS1_3gpuE6ELNS1_3repE0EEENS1_30default_config_static_selectorELNS0_4arch9wavefront6targetE1EEEvSY_.numbered_sgpr, 48
	.set _ZN7rocprim17ROCPRIM_400000_NS6detail17trampoline_kernelINS0_13select_configILj256ELj13ELNS0_17block_load_methodE3ELS4_3ELS4_3ELNS0_20block_scan_algorithmE0ELj4294967295EEENS1_25partition_config_selectorILNS1_17partition_subalgoE3EjNS0_10empty_typeEbEEZZNS1_14partition_implILS8_3ELb0ES6_jNS0_17counting_iteratorIjlEEPS9_SE_NS0_5tupleIJPjSE_EEENSF_IJSE_SE_EEES9_SG_JZNS1_25segmented_radix_sort_implINS0_14default_configELb1EPKhPhPKlPlN2at6native12_GLOBAL__N_18offset_tEEE10hipError_tPvRmT1_PNSt15iterator_traitsISY_E10value_typeET2_T3_PNSZ_IS14_E10value_typeET4_jRbjT5_S1A_jjP12ihipStream_tbEUljE_EEESV_SW_SX_S14_S18_S1A_T6_T7_T9_mT8_S1C_bDpT10_ENKUlT_T0_E_clISt17integral_constantIbLb0EES1P_EEDaS1K_S1L_EUlS1K_E_NS1_11comp_targetILNS1_3genE2ELNS1_11target_archE906ELNS1_3gpuE6ELNS1_3repE0EEENS1_30default_config_static_selectorELNS0_4arch9wavefront6targetE1EEEvSY_.num_named_barrier, 0
	.set _ZN7rocprim17ROCPRIM_400000_NS6detail17trampoline_kernelINS0_13select_configILj256ELj13ELNS0_17block_load_methodE3ELS4_3ELS4_3ELNS0_20block_scan_algorithmE0ELj4294967295EEENS1_25partition_config_selectorILNS1_17partition_subalgoE3EjNS0_10empty_typeEbEEZZNS1_14partition_implILS8_3ELb0ES6_jNS0_17counting_iteratorIjlEEPS9_SE_NS0_5tupleIJPjSE_EEENSF_IJSE_SE_EEES9_SG_JZNS1_25segmented_radix_sort_implINS0_14default_configELb1EPKhPhPKlPlN2at6native12_GLOBAL__N_18offset_tEEE10hipError_tPvRmT1_PNSt15iterator_traitsISY_E10value_typeET2_T3_PNSZ_IS14_E10value_typeET4_jRbjT5_S1A_jjP12ihipStream_tbEUljE_EEESV_SW_SX_S14_S18_S1A_T6_T7_T9_mT8_S1C_bDpT10_ENKUlT_T0_E_clISt17integral_constantIbLb0EES1P_EEDaS1K_S1L_EUlS1K_E_NS1_11comp_targetILNS1_3genE2ELNS1_11target_archE906ELNS1_3gpuE6ELNS1_3repE0EEENS1_30default_config_static_selectorELNS0_4arch9wavefront6targetE1EEEvSY_.private_seg_size, 0
	.set _ZN7rocprim17ROCPRIM_400000_NS6detail17trampoline_kernelINS0_13select_configILj256ELj13ELNS0_17block_load_methodE3ELS4_3ELS4_3ELNS0_20block_scan_algorithmE0ELj4294967295EEENS1_25partition_config_selectorILNS1_17partition_subalgoE3EjNS0_10empty_typeEbEEZZNS1_14partition_implILS8_3ELb0ES6_jNS0_17counting_iteratorIjlEEPS9_SE_NS0_5tupleIJPjSE_EEENSF_IJSE_SE_EEES9_SG_JZNS1_25segmented_radix_sort_implINS0_14default_configELb1EPKhPhPKlPlN2at6native12_GLOBAL__N_18offset_tEEE10hipError_tPvRmT1_PNSt15iterator_traitsISY_E10value_typeET2_T3_PNSZ_IS14_E10value_typeET4_jRbjT5_S1A_jjP12ihipStream_tbEUljE_EEESV_SW_SX_S14_S18_S1A_T6_T7_T9_mT8_S1C_bDpT10_ENKUlT_T0_E_clISt17integral_constantIbLb0EES1P_EEDaS1K_S1L_EUlS1K_E_NS1_11comp_targetILNS1_3genE2ELNS1_11target_archE906ELNS1_3gpuE6ELNS1_3repE0EEENS1_30default_config_static_selectorELNS0_4arch9wavefront6targetE1EEEvSY_.uses_vcc, 1
	.set _ZN7rocprim17ROCPRIM_400000_NS6detail17trampoline_kernelINS0_13select_configILj256ELj13ELNS0_17block_load_methodE3ELS4_3ELS4_3ELNS0_20block_scan_algorithmE0ELj4294967295EEENS1_25partition_config_selectorILNS1_17partition_subalgoE3EjNS0_10empty_typeEbEEZZNS1_14partition_implILS8_3ELb0ES6_jNS0_17counting_iteratorIjlEEPS9_SE_NS0_5tupleIJPjSE_EEENSF_IJSE_SE_EEES9_SG_JZNS1_25segmented_radix_sort_implINS0_14default_configELb1EPKhPhPKlPlN2at6native12_GLOBAL__N_18offset_tEEE10hipError_tPvRmT1_PNSt15iterator_traitsISY_E10value_typeET2_T3_PNSZ_IS14_E10value_typeET4_jRbjT5_S1A_jjP12ihipStream_tbEUljE_EEESV_SW_SX_S14_S18_S1A_T6_T7_T9_mT8_S1C_bDpT10_ENKUlT_T0_E_clISt17integral_constantIbLb0EES1P_EEDaS1K_S1L_EUlS1K_E_NS1_11comp_targetILNS1_3genE2ELNS1_11target_archE906ELNS1_3gpuE6ELNS1_3repE0EEENS1_30default_config_static_selectorELNS0_4arch9wavefront6targetE1EEEvSY_.uses_flat_scratch, 0
	.set _ZN7rocprim17ROCPRIM_400000_NS6detail17trampoline_kernelINS0_13select_configILj256ELj13ELNS0_17block_load_methodE3ELS4_3ELS4_3ELNS0_20block_scan_algorithmE0ELj4294967295EEENS1_25partition_config_selectorILNS1_17partition_subalgoE3EjNS0_10empty_typeEbEEZZNS1_14partition_implILS8_3ELb0ES6_jNS0_17counting_iteratorIjlEEPS9_SE_NS0_5tupleIJPjSE_EEENSF_IJSE_SE_EEES9_SG_JZNS1_25segmented_radix_sort_implINS0_14default_configELb1EPKhPhPKlPlN2at6native12_GLOBAL__N_18offset_tEEE10hipError_tPvRmT1_PNSt15iterator_traitsISY_E10value_typeET2_T3_PNSZ_IS14_E10value_typeET4_jRbjT5_S1A_jjP12ihipStream_tbEUljE_EEESV_SW_SX_S14_S18_S1A_T6_T7_T9_mT8_S1C_bDpT10_ENKUlT_T0_E_clISt17integral_constantIbLb0EES1P_EEDaS1K_S1L_EUlS1K_E_NS1_11comp_targetILNS1_3genE2ELNS1_11target_archE906ELNS1_3gpuE6ELNS1_3repE0EEENS1_30default_config_static_selectorELNS0_4arch9wavefront6targetE1EEEvSY_.has_dyn_sized_stack, 0
	.set _ZN7rocprim17ROCPRIM_400000_NS6detail17trampoline_kernelINS0_13select_configILj256ELj13ELNS0_17block_load_methodE3ELS4_3ELS4_3ELNS0_20block_scan_algorithmE0ELj4294967295EEENS1_25partition_config_selectorILNS1_17partition_subalgoE3EjNS0_10empty_typeEbEEZZNS1_14partition_implILS8_3ELb0ES6_jNS0_17counting_iteratorIjlEEPS9_SE_NS0_5tupleIJPjSE_EEENSF_IJSE_SE_EEES9_SG_JZNS1_25segmented_radix_sort_implINS0_14default_configELb1EPKhPhPKlPlN2at6native12_GLOBAL__N_18offset_tEEE10hipError_tPvRmT1_PNSt15iterator_traitsISY_E10value_typeET2_T3_PNSZ_IS14_E10value_typeET4_jRbjT5_S1A_jjP12ihipStream_tbEUljE_EEESV_SW_SX_S14_S18_S1A_T6_T7_T9_mT8_S1C_bDpT10_ENKUlT_T0_E_clISt17integral_constantIbLb0EES1P_EEDaS1K_S1L_EUlS1K_E_NS1_11comp_targetILNS1_3genE2ELNS1_11target_archE906ELNS1_3gpuE6ELNS1_3repE0EEENS1_30default_config_static_selectorELNS0_4arch9wavefront6targetE1EEEvSY_.has_recursion, 0
	.set _ZN7rocprim17ROCPRIM_400000_NS6detail17trampoline_kernelINS0_13select_configILj256ELj13ELNS0_17block_load_methodE3ELS4_3ELS4_3ELNS0_20block_scan_algorithmE0ELj4294967295EEENS1_25partition_config_selectorILNS1_17partition_subalgoE3EjNS0_10empty_typeEbEEZZNS1_14partition_implILS8_3ELb0ES6_jNS0_17counting_iteratorIjlEEPS9_SE_NS0_5tupleIJPjSE_EEENSF_IJSE_SE_EEES9_SG_JZNS1_25segmented_radix_sort_implINS0_14default_configELb1EPKhPhPKlPlN2at6native12_GLOBAL__N_18offset_tEEE10hipError_tPvRmT1_PNSt15iterator_traitsISY_E10value_typeET2_T3_PNSZ_IS14_E10value_typeET4_jRbjT5_S1A_jjP12ihipStream_tbEUljE_EEESV_SW_SX_S14_S18_S1A_T6_T7_T9_mT8_S1C_bDpT10_ENKUlT_T0_E_clISt17integral_constantIbLb0EES1P_EEDaS1K_S1L_EUlS1K_E_NS1_11comp_targetILNS1_3genE2ELNS1_11target_archE906ELNS1_3gpuE6ELNS1_3repE0EEENS1_30default_config_static_selectorELNS0_4arch9wavefront6targetE1EEEvSY_.has_indirect_call, 0
	.section	.AMDGPU.csdata,"",@progbits
; Kernel info:
; codeLenInByte = 7612
; TotalNumSgprs: 52
; NumVgprs: 69
; ScratchSize: 0
; MemoryBound: 0
; FloatMode: 240
; IeeeMode: 1
; LDSByteSize: 13320 bytes/workgroup (compile time only)
; SGPRBlocks: 12
; VGPRBlocks: 17
; NumSGPRsForWavesPerEU: 102
; NumVGPRsForWavesPerEU: 69
; Occupancy: 3
; WaveLimiterHint : 0
; COMPUTE_PGM_RSRC2:SCRATCH_EN: 0
; COMPUTE_PGM_RSRC2:USER_SGPR: 6
; COMPUTE_PGM_RSRC2:TRAP_HANDLER: 0
; COMPUTE_PGM_RSRC2:TGID_X_EN: 1
; COMPUTE_PGM_RSRC2:TGID_Y_EN: 0
; COMPUTE_PGM_RSRC2:TGID_Z_EN: 0
; COMPUTE_PGM_RSRC2:TIDIG_COMP_CNT: 0
	.section	.text._ZN7rocprim17ROCPRIM_400000_NS6detail17trampoline_kernelINS0_13select_configILj256ELj13ELNS0_17block_load_methodE3ELS4_3ELS4_3ELNS0_20block_scan_algorithmE0ELj4294967295EEENS1_25partition_config_selectorILNS1_17partition_subalgoE3EjNS0_10empty_typeEbEEZZNS1_14partition_implILS8_3ELb0ES6_jNS0_17counting_iteratorIjlEEPS9_SE_NS0_5tupleIJPjSE_EEENSF_IJSE_SE_EEES9_SG_JZNS1_25segmented_radix_sort_implINS0_14default_configELb1EPKhPhPKlPlN2at6native12_GLOBAL__N_18offset_tEEE10hipError_tPvRmT1_PNSt15iterator_traitsISY_E10value_typeET2_T3_PNSZ_IS14_E10value_typeET4_jRbjT5_S1A_jjP12ihipStream_tbEUljE_EEESV_SW_SX_S14_S18_S1A_T6_T7_T9_mT8_S1C_bDpT10_ENKUlT_T0_E_clISt17integral_constantIbLb0EES1P_EEDaS1K_S1L_EUlS1K_E_NS1_11comp_targetILNS1_3genE10ELNS1_11target_archE1200ELNS1_3gpuE4ELNS1_3repE0EEENS1_30default_config_static_selectorELNS0_4arch9wavefront6targetE1EEEvSY_,"axG",@progbits,_ZN7rocprim17ROCPRIM_400000_NS6detail17trampoline_kernelINS0_13select_configILj256ELj13ELNS0_17block_load_methodE3ELS4_3ELS4_3ELNS0_20block_scan_algorithmE0ELj4294967295EEENS1_25partition_config_selectorILNS1_17partition_subalgoE3EjNS0_10empty_typeEbEEZZNS1_14partition_implILS8_3ELb0ES6_jNS0_17counting_iteratorIjlEEPS9_SE_NS0_5tupleIJPjSE_EEENSF_IJSE_SE_EEES9_SG_JZNS1_25segmented_radix_sort_implINS0_14default_configELb1EPKhPhPKlPlN2at6native12_GLOBAL__N_18offset_tEEE10hipError_tPvRmT1_PNSt15iterator_traitsISY_E10value_typeET2_T3_PNSZ_IS14_E10value_typeET4_jRbjT5_S1A_jjP12ihipStream_tbEUljE_EEESV_SW_SX_S14_S18_S1A_T6_T7_T9_mT8_S1C_bDpT10_ENKUlT_T0_E_clISt17integral_constantIbLb0EES1P_EEDaS1K_S1L_EUlS1K_E_NS1_11comp_targetILNS1_3genE10ELNS1_11target_archE1200ELNS1_3gpuE4ELNS1_3repE0EEENS1_30default_config_static_selectorELNS0_4arch9wavefront6targetE1EEEvSY_,comdat
	.globl	_ZN7rocprim17ROCPRIM_400000_NS6detail17trampoline_kernelINS0_13select_configILj256ELj13ELNS0_17block_load_methodE3ELS4_3ELS4_3ELNS0_20block_scan_algorithmE0ELj4294967295EEENS1_25partition_config_selectorILNS1_17partition_subalgoE3EjNS0_10empty_typeEbEEZZNS1_14partition_implILS8_3ELb0ES6_jNS0_17counting_iteratorIjlEEPS9_SE_NS0_5tupleIJPjSE_EEENSF_IJSE_SE_EEES9_SG_JZNS1_25segmented_radix_sort_implINS0_14default_configELb1EPKhPhPKlPlN2at6native12_GLOBAL__N_18offset_tEEE10hipError_tPvRmT1_PNSt15iterator_traitsISY_E10value_typeET2_T3_PNSZ_IS14_E10value_typeET4_jRbjT5_S1A_jjP12ihipStream_tbEUljE_EEESV_SW_SX_S14_S18_S1A_T6_T7_T9_mT8_S1C_bDpT10_ENKUlT_T0_E_clISt17integral_constantIbLb0EES1P_EEDaS1K_S1L_EUlS1K_E_NS1_11comp_targetILNS1_3genE10ELNS1_11target_archE1200ELNS1_3gpuE4ELNS1_3repE0EEENS1_30default_config_static_selectorELNS0_4arch9wavefront6targetE1EEEvSY_ ; -- Begin function _ZN7rocprim17ROCPRIM_400000_NS6detail17trampoline_kernelINS0_13select_configILj256ELj13ELNS0_17block_load_methodE3ELS4_3ELS4_3ELNS0_20block_scan_algorithmE0ELj4294967295EEENS1_25partition_config_selectorILNS1_17partition_subalgoE3EjNS0_10empty_typeEbEEZZNS1_14partition_implILS8_3ELb0ES6_jNS0_17counting_iteratorIjlEEPS9_SE_NS0_5tupleIJPjSE_EEENSF_IJSE_SE_EEES9_SG_JZNS1_25segmented_radix_sort_implINS0_14default_configELb1EPKhPhPKlPlN2at6native12_GLOBAL__N_18offset_tEEE10hipError_tPvRmT1_PNSt15iterator_traitsISY_E10value_typeET2_T3_PNSZ_IS14_E10value_typeET4_jRbjT5_S1A_jjP12ihipStream_tbEUljE_EEESV_SW_SX_S14_S18_S1A_T6_T7_T9_mT8_S1C_bDpT10_ENKUlT_T0_E_clISt17integral_constantIbLb0EES1P_EEDaS1K_S1L_EUlS1K_E_NS1_11comp_targetILNS1_3genE10ELNS1_11target_archE1200ELNS1_3gpuE4ELNS1_3repE0EEENS1_30default_config_static_selectorELNS0_4arch9wavefront6targetE1EEEvSY_
	.p2align	8
	.type	_ZN7rocprim17ROCPRIM_400000_NS6detail17trampoline_kernelINS0_13select_configILj256ELj13ELNS0_17block_load_methodE3ELS4_3ELS4_3ELNS0_20block_scan_algorithmE0ELj4294967295EEENS1_25partition_config_selectorILNS1_17partition_subalgoE3EjNS0_10empty_typeEbEEZZNS1_14partition_implILS8_3ELb0ES6_jNS0_17counting_iteratorIjlEEPS9_SE_NS0_5tupleIJPjSE_EEENSF_IJSE_SE_EEES9_SG_JZNS1_25segmented_radix_sort_implINS0_14default_configELb1EPKhPhPKlPlN2at6native12_GLOBAL__N_18offset_tEEE10hipError_tPvRmT1_PNSt15iterator_traitsISY_E10value_typeET2_T3_PNSZ_IS14_E10value_typeET4_jRbjT5_S1A_jjP12ihipStream_tbEUljE_EEESV_SW_SX_S14_S18_S1A_T6_T7_T9_mT8_S1C_bDpT10_ENKUlT_T0_E_clISt17integral_constantIbLb0EES1P_EEDaS1K_S1L_EUlS1K_E_NS1_11comp_targetILNS1_3genE10ELNS1_11target_archE1200ELNS1_3gpuE4ELNS1_3repE0EEENS1_30default_config_static_selectorELNS0_4arch9wavefront6targetE1EEEvSY_,@function
_ZN7rocprim17ROCPRIM_400000_NS6detail17trampoline_kernelINS0_13select_configILj256ELj13ELNS0_17block_load_methodE3ELS4_3ELS4_3ELNS0_20block_scan_algorithmE0ELj4294967295EEENS1_25partition_config_selectorILNS1_17partition_subalgoE3EjNS0_10empty_typeEbEEZZNS1_14partition_implILS8_3ELb0ES6_jNS0_17counting_iteratorIjlEEPS9_SE_NS0_5tupleIJPjSE_EEENSF_IJSE_SE_EEES9_SG_JZNS1_25segmented_radix_sort_implINS0_14default_configELb1EPKhPhPKlPlN2at6native12_GLOBAL__N_18offset_tEEE10hipError_tPvRmT1_PNSt15iterator_traitsISY_E10value_typeET2_T3_PNSZ_IS14_E10value_typeET4_jRbjT5_S1A_jjP12ihipStream_tbEUljE_EEESV_SW_SX_S14_S18_S1A_T6_T7_T9_mT8_S1C_bDpT10_ENKUlT_T0_E_clISt17integral_constantIbLb0EES1P_EEDaS1K_S1L_EUlS1K_E_NS1_11comp_targetILNS1_3genE10ELNS1_11target_archE1200ELNS1_3gpuE4ELNS1_3repE0EEENS1_30default_config_static_selectorELNS0_4arch9wavefront6targetE1EEEvSY_: ; @_ZN7rocprim17ROCPRIM_400000_NS6detail17trampoline_kernelINS0_13select_configILj256ELj13ELNS0_17block_load_methodE3ELS4_3ELS4_3ELNS0_20block_scan_algorithmE0ELj4294967295EEENS1_25partition_config_selectorILNS1_17partition_subalgoE3EjNS0_10empty_typeEbEEZZNS1_14partition_implILS8_3ELb0ES6_jNS0_17counting_iteratorIjlEEPS9_SE_NS0_5tupleIJPjSE_EEENSF_IJSE_SE_EEES9_SG_JZNS1_25segmented_radix_sort_implINS0_14default_configELb1EPKhPhPKlPlN2at6native12_GLOBAL__N_18offset_tEEE10hipError_tPvRmT1_PNSt15iterator_traitsISY_E10value_typeET2_T3_PNSZ_IS14_E10value_typeET4_jRbjT5_S1A_jjP12ihipStream_tbEUljE_EEESV_SW_SX_S14_S18_S1A_T6_T7_T9_mT8_S1C_bDpT10_ENKUlT_T0_E_clISt17integral_constantIbLb0EES1P_EEDaS1K_S1L_EUlS1K_E_NS1_11comp_targetILNS1_3genE10ELNS1_11target_archE1200ELNS1_3gpuE4ELNS1_3repE0EEENS1_30default_config_static_selectorELNS0_4arch9wavefront6targetE1EEEvSY_
; %bb.0:
	.section	.rodata,"a",@progbits
	.p2align	6, 0x0
	.amdhsa_kernel _ZN7rocprim17ROCPRIM_400000_NS6detail17trampoline_kernelINS0_13select_configILj256ELj13ELNS0_17block_load_methodE3ELS4_3ELS4_3ELNS0_20block_scan_algorithmE0ELj4294967295EEENS1_25partition_config_selectorILNS1_17partition_subalgoE3EjNS0_10empty_typeEbEEZZNS1_14partition_implILS8_3ELb0ES6_jNS0_17counting_iteratorIjlEEPS9_SE_NS0_5tupleIJPjSE_EEENSF_IJSE_SE_EEES9_SG_JZNS1_25segmented_radix_sort_implINS0_14default_configELb1EPKhPhPKlPlN2at6native12_GLOBAL__N_18offset_tEEE10hipError_tPvRmT1_PNSt15iterator_traitsISY_E10value_typeET2_T3_PNSZ_IS14_E10value_typeET4_jRbjT5_S1A_jjP12ihipStream_tbEUljE_EEESV_SW_SX_S14_S18_S1A_T6_T7_T9_mT8_S1C_bDpT10_ENKUlT_T0_E_clISt17integral_constantIbLb0EES1P_EEDaS1K_S1L_EUlS1K_E_NS1_11comp_targetILNS1_3genE10ELNS1_11target_archE1200ELNS1_3gpuE4ELNS1_3repE0EEENS1_30default_config_static_selectorELNS0_4arch9wavefront6targetE1EEEvSY_
		.amdhsa_group_segment_fixed_size 0
		.amdhsa_private_segment_fixed_size 0
		.amdhsa_kernarg_size 144
		.amdhsa_user_sgpr_count 6
		.amdhsa_user_sgpr_private_segment_buffer 1
		.amdhsa_user_sgpr_dispatch_ptr 0
		.amdhsa_user_sgpr_queue_ptr 0
		.amdhsa_user_sgpr_kernarg_segment_ptr 1
		.amdhsa_user_sgpr_dispatch_id 0
		.amdhsa_user_sgpr_flat_scratch_init 0
		.amdhsa_user_sgpr_private_segment_size 0
		.amdhsa_uses_dynamic_stack 0
		.amdhsa_system_sgpr_private_segment_wavefront_offset 0
		.amdhsa_system_sgpr_workgroup_id_x 1
		.amdhsa_system_sgpr_workgroup_id_y 0
		.amdhsa_system_sgpr_workgroup_id_z 0
		.amdhsa_system_sgpr_workgroup_info 0
		.amdhsa_system_vgpr_workitem_id 0
		.amdhsa_next_free_vgpr 1
		.amdhsa_next_free_sgpr 0
		.amdhsa_reserve_vcc 0
		.amdhsa_reserve_flat_scratch 0
		.amdhsa_float_round_mode_32 0
		.amdhsa_float_round_mode_16_64 0
		.amdhsa_float_denorm_mode_32 3
		.amdhsa_float_denorm_mode_16_64 3
		.amdhsa_dx10_clamp 1
		.amdhsa_ieee_mode 1
		.amdhsa_fp16_overflow 0
		.amdhsa_exception_fp_ieee_invalid_op 0
		.amdhsa_exception_fp_denorm_src 0
		.amdhsa_exception_fp_ieee_div_zero 0
		.amdhsa_exception_fp_ieee_overflow 0
		.amdhsa_exception_fp_ieee_underflow 0
		.amdhsa_exception_fp_ieee_inexact 0
		.amdhsa_exception_int_div_zero 0
	.end_amdhsa_kernel
	.section	.text._ZN7rocprim17ROCPRIM_400000_NS6detail17trampoline_kernelINS0_13select_configILj256ELj13ELNS0_17block_load_methodE3ELS4_3ELS4_3ELNS0_20block_scan_algorithmE0ELj4294967295EEENS1_25partition_config_selectorILNS1_17partition_subalgoE3EjNS0_10empty_typeEbEEZZNS1_14partition_implILS8_3ELb0ES6_jNS0_17counting_iteratorIjlEEPS9_SE_NS0_5tupleIJPjSE_EEENSF_IJSE_SE_EEES9_SG_JZNS1_25segmented_radix_sort_implINS0_14default_configELb1EPKhPhPKlPlN2at6native12_GLOBAL__N_18offset_tEEE10hipError_tPvRmT1_PNSt15iterator_traitsISY_E10value_typeET2_T3_PNSZ_IS14_E10value_typeET4_jRbjT5_S1A_jjP12ihipStream_tbEUljE_EEESV_SW_SX_S14_S18_S1A_T6_T7_T9_mT8_S1C_bDpT10_ENKUlT_T0_E_clISt17integral_constantIbLb0EES1P_EEDaS1K_S1L_EUlS1K_E_NS1_11comp_targetILNS1_3genE10ELNS1_11target_archE1200ELNS1_3gpuE4ELNS1_3repE0EEENS1_30default_config_static_selectorELNS0_4arch9wavefront6targetE1EEEvSY_,"axG",@progbits,_ZN7rocprim17ROCPRIM_400000_NS6detail17trampoline_kernelINS0_13select_configILj256ELj13ELNS0_17block_load_methodE3ELS4_3ELS4_3ELNS0_20block_scan_algorithmE0ELj4294967295EEENS1_25partition_config_selectorILNS1_17partition_subalgoE3EjNS0_10empty_typeEbEEZZNS1_14partition_implILS8_3ELb0ES6_jNS0_17counting_iteratorIjlEEPS9_SE_NS0_5tupleIJPjSE_EEENSF_IJSE_SE_EEES9_SG_JZNS1_25segmented_radix_sort_implINS0_14default_configELb1EPKhPhPKlPlN2at6native12_GLOBAL__N_18offset_tEEE10hipError_tPvRmT1_PNSt15iterator_traitsISY_E10value_typeET2_T3_PNSZ_IS14_E10value_typeET4_jRbjT5_S1A_jjP12ihipStream_tbEUljE_EEESV_SW_SX_S14_S18_S1A_T6_T7_T9_mT8_S1C_bDpT10_ENKUlT_T0_E_clISt17integral_constantIbLb0EES1P_EEDaS1K_S1L_EUlS1K_E_NS1_11comp_targetILNS1_3genE10ELNS1_11target_archE1200ELNS1_3gpuE4ELNS1_3repE0EEENS1_30default_config_static_selectorELNS0_4arch9wavefront6targetE1EEEvSY_,comdat
.Lfunc_end53:
	.size	_ZN7rocprim17ROCPRIM_400000_NS6detail17trampoline_kernelINS0_13select_configILj256ELj13ELNS0_17block_load_methodE3ELS4_3ELS4_3ELNS0_20block_scan_algorithmE0ELj4294967295EEENS1_25partition_config_selectorILNS1_17partition_subalgoE3EjNS0_10empty_typeEbEEZZNS1_14partition_implILS8_3ELb0ES6_jNS0_17counting_iteratorIjlEEPS9_SE_NS0_5tupleIJPjSE_EEENSF_IJSE_SE_EEES9_SG_JZNS1_25segmented_radix_sort_implINS0_14default_configELb1EPKhPhPKlPlN2at6native12_GLOBAL__N_18offset_tEEE10hipError_tPvRmT1_PNSt15iterator_traitsISY_E10value_typeET2_T3_PNSZ_IS14_E10value_typeET4_jRbjT5_S1A_jjP12ihipStream_tbEUljE_EEESV_SW_SX_S14_S18_S1A_T6_T7_T9_mT8_S1C_bDpT10_ENKUlT_T0_E_clISt17integral_constantIbLb0EES1P_EEDaS1K_S1L_EUlS1K_E_NS1_11comp_targetILNS1_3genE10ELNS1_11target_archE1200ELNS1_3gpuE4ELNS1_3repE0EEENS1_30default_config_static_selectorELNS0_4arch9wavefront6targetE1EEEvSY_, .Lfunc_end53-_ZN7rocprim17ROCPRIM_400000_NS6detail17trampoline_kernelINS0_13select_configILj256ELj13ELNS0_17block_load_methodE3ELS4_3ELS4_3ELNS0_20block_scan_algorithmE0ELj4294967295EEENS1_25partition_config_selectorILNS1_17partition_subalgoE3EjNS0_10empty_typeEbEEZZNS1_14partition_implILS8_3ELb0ES6_jNS0_17counting_iteratorIjlEEPS9_SE_NS0_5tupleIJPjSE_EEENSF_IJSE_SE_EEES9_SG_JZNS1_25segmented_radix_sort_implINS0_14default_configELb1EPKhPhPKlPlN2at6native12_GLOBAL__N_18offset_tEEE10hipError_tPvRmT1_PNSt15iterator_traitsISY_E10value_typeET2_T3_PNSZ_IS14_E10value_typeET4_jRbjT5_S1A_jjP12ihipStream_tbEUljE_EEESV_SW_SX_S14_S18_S1A_T6_T7_T9_mT8_S1C_bDpT10_ENKUlT_T0_E_clISt17integral_constantIbLb0EES1P_EEDaS1K_S1L_EUlS1K_E_NS1_11comp_targetILNS1_3genE10ELNS1_11target_archE1200ELNS1_3gpuE4ELNS1_3repE0EEENS1_30default_config_static_selectorELNS0_4arch9wavefront6targetE1EEEvSY_
                                        ; -- End function
	.set _ZN7rocprim17ROCPRIM_400000_NS6detail17trampoline_kernelINS0_13select_configILj256ELj13ELNS0_17block_load_methodE3ELS4_3ELS4_3ELNS0_20block_scan_algorithmE0ELj4294967295EEENS1_25partition_config_selectorILNS1_17partition_subalgoE3EjNS0_10empty_typeEbEEZZNS1_14partition_implILS8_3ELb0ES6_jNS0_17counting_iteratorIjlEEPS9_SE_NS0_5tupleIJPjSE_EEENSF_IJSE_SE_EEES9_SG_JZNS1_25segmented_radix_sort_implINS0_14default_configELb1EPKhPhPKlPlN2at6native12_GLOBAL__N_18offset_tEEE10hipError_tPvRmT1_PNSt15iterator_traitsISY_E10value_typeET2_T3_PNSZ_IS14_E10value_typeET4_jRbjT5_S1A_jjP12ihipStream_tbEUljE_EEESV_SW_SX_S14_S18_S1A_T6_T7_T9_mT8_S1C_bDpT10_ENKUlT_T0_E_clISt17integral_constantIbLb0EES1P_EEDaS1K_S1L_EUlS1K_E_NS1_11comp_targetILNS1_3genE10ELNS1_11target_archE1200ELNS1_3gpuE4ELNS1_3repE0EEENS1_30default_config_static_selectorELNS0_4arch9wavefront6targetE1EEEvSY_.num_vgpr, 0
	.set _ZN7rocprim17ROCPRIM_400000_NS6detail17trampoline_kernelINS0_13select_configILj256ELj13ELNS0_17block_load_methodE3ELS4_3ELS4_3ELNS0_20block_scan_algorithmE0ELj4294967295EEENS1_25partition_config_selectorILNS1_17partition_subalgoE3EjNS0_10empty_typeEbEEZZNS1_14partition_implILS8_3ELb0ES6_jNS0_17counting_iteratorIjlEEPS9_SE_NS0_5tupleIJPjSE_EEENSF_IJSE_SE_EEES9_SG_JZNS1_25segmented_radix_sort_implINS0_14default_configELb1EPKhPhPKlPlN2at6native12_GLOBAL__N_18offset_tEEE10hipError_tPvRmT1_PNSt15iterator_traitsISY_E10value_typeET2_T3_PNSZ_IS14_E10value_typeET4_jRbjT5_S1A_jjP12ihipStream_tbEUljE_EEESV_SW_SX_S14_S18_S1A_T6_T7_T9_mT8_S1C_bDpT10_ENKUlT_T0_E_clISt17integral_constantIbLb0EES1P_EEDaS1K_S1L_EUlS1K_E_NS1_11comp_targetILNS1_3genE10ELNS1_11target_archE1200ELNS1_3gpuE4ELNS1_3repE0EEENS1_30default_config_static_selectorELNS0_4arch9wavefront6targetE1EEEvSY_.num_agpr, 0
	.set _ZN7rocprim17ROCPRIM_400000_NS6detail17trampoline_kernelINS0_13select_configILj256ELj13ELNS0_17block_load_methodE3ELS4_3ELS4_3ELNS0_20block_scan_algorithmE0ELj4294967295EEENS1_25partition_config_selectorILNS1_17partition_subalgoE3EjNS0_10empty_typeEbEEZZNS1_14partition_implILS8_3ELb0ES6_jNS0_17counting_iteratorIjlEEPS9_SE_NS0_5tupleIJPjSE_EEENSF_IJSE_SE_EEES9_SG_JZNS1_25segmented_radix_sort_implINS0_14default_configELb1EPKhPhPKlPlN2at6native12_GLOBAL__N_18offset_tEEE10hipError_tPvRmT1_PNSt15iterator_traitsISY_E10value_typeET2_T3_PNSZ_IS14_E10value_typeET4_jRbjT5_S1A_jjP12ihipStream_tbEUljE_EEESV_SW_SX_S14_S18_S1A_T6_T7_T9_mT8_S1C_bDpT10_ENKUlT_T0_E_clISt17integral_constantIbLb0EES1P_EEDaS1K_S1L_EUlS1K_E_NS1_11comp_targetILNS1_3genE10ELNS1_11target_archE1200ELNS1_3gpuE4ELNS1_3repE0EEENS1_30default_config_static_selectorELNS0_4arch9wavefront6targetE1EEEvSY_.numbered_sgpr, 0
	.set _ZN7rocprim17ROCPRIM_400000_NS6detail17trampoline_kernelINS0_13select_configILj256ELj13ELNS0_17block_load_methodE3ELS4_3ELS4_3ELNS0_20block_scan_algorithmE0ELj4294967295EEENS1_25partition_config_selectorILNS1_17partition_subalgoE3EjNS0_10empty_typeEbEEZZNS1_14partition_implILS8_3ELb0ES6_jNS0_17counting_iteratorIjlEEPS9_SE_NS0_5tupleIJPjSE_EEENSF_IJSE_SE_EEES9_SG_JZNS1_25segmented_radix_sort_implINS0_14default_configELb1EPKhPhPKlPlN2at6native12_GLOBAL__N_18offset_tEEE10hipError_tPvRmT1_PNSt15iterator_traitsISY_E10value_typeET2_T3_PNSZ_IS14_E10value_typeET4_jRbjT5_S1A_jjP12ihipStream_tbEUljE_EEESV_SW_SX_S14_S18_S1A_T6_T7_T9_mT8_S1C_bDpT10_ENKUlT_T0_E_clISt17integral_constantIbLb0EES1P_EEDaS1K_S1L_EUlS1K_E_NS1_11comp_targetILNS1_3genE10ELNS1_11target_archE1200ELNS1_3gpuE4ELNS1_3repE0EEENS1_30default_config_static_selectorELNS0_4arch9wavefront6targetE1EEEvSY_.num_named_barrier, 0
	.set _ZN7rocprim17ROCPRIM_400000_NS6detail17trampoline_kernelINS0_13select_configILj256ELj13ELNS0_17block_load_methodE3ELS4_3ELS4_3ELNS0_20block_scan_algorithmE0ELj4294967295EEENS1_25partition_config_selectorILNS1_17partition_subalgoE3EjNS0_10empty_typeEbEEZZNS1_14partition_implILS8_3ELb0ES6_jNS0_17counting_iteratorIjlEEPS9_SE_NS0_5tupleIJPjSE_EEENSF_IJSE_SE_EEES9_SG_JZNS1_25segmented_radix_sort_implINS0_14default_configELb1EPKhPhPKlPlN2at6native12_GLOBAL__N_18offset_tEEE10hipError_tPvRmT1_PNSt15iterator_traitsISY_E10value_typeET2_T3_PNSZ_IS14_E10value_typeET4_jRbjT5_S1A_jjP12ihipStream_tbEUljE_EEESV_SW_SX_S14_S18_S1A_T6_T7_T9_mT8_S1C_bDpT10_ENKUlT_T0_E_clISt17integral_constantIbLb0EES1P_EEDaS1K_S1L_EUlS1K_E_NS1_11comp_targetILNS1_3genE10ELNS1_11target_archE1200ELNS1_3gpuE4ELNS1_3repE0EEENS1_30default_config_static_selectorELNS0_4arch9wavefront6targetE1EEEvSY_.private_seg_size, 0
	.set _ZN7rocprim17ROCPRIM_400000_NS6detail17trampoline_kernelINS0_13select_configILj256ELj13ELNS0_17block_load_methodE3ELS4_3ELS4_3ELNS0_20block_scan_algorithmE0ELj4294967295EEENS1_25partition_config_selectorILNS1_17partition_subalgoE3EjNS0_10empty_typeEbEEZZNS1_14partition_implILS8_3ELb0ES6_jNS0_17counting_iteratorIjlEEPS9_SE_NS0_5tupleIJPjSE_EEENSF_IJSE_SE_EEES9_SG_JZNS1_25segmented_radix_sort_implINS0_14default_configELb1EPKhPhPKlPlN2at6native12_GLOBAL__N_18offset_tEEE10hipError_tPvRmT1_PNSt15iterator_traitsISY_E10value_typeET2_T3_PNSZ_IS14_E10value_typeET4_jRbjT5_S1A_jjP12ihipStream_tbEUljE_EEESV_SW_SX_S14_S18_S1A_T6_T7_T9_mT8_S1C_bDpT10_ENKUlT_T0_E_clISt17integral_constantIbLb0EES1P_EEDaS1K_S1L_EUlS1K_E_NS1_11comp_targetILNS1_3genE10ELNS1_11target_archE1200ELNS1_3gpuE4ELNS1_3repE0EEENS1_30default_config_static_selectorELNS0_4arch9wavefront6targetE1EEEvSY_.uses_vcc, 0
	.set _ZN7rocprim17ROCPRIM_400000_NS6detail17trampoline_kernelINS0_13select_configILj256ELj13ELNS0_17block_load_methodE3ELS4_3ELS4_3ELNS0_20block_scan_algorithmE0ELj4294967295EEENS1_25partition_config_selectorILNS1_17partition_subalgoE3EjNS0_10empty_typeEbEEZZNS1_14partition_implILS8_3ELb0ES6_jNS0_17counting_iteratorIjlEEPS9_SE_NS0_5tupleIJPjSE_EEENSF_IJSE_SE_EEES9_SG_JZNS1_25segmented_radix_sort_implINS0_14default_configELb1EPKhPhPKlPlN2at6native12_GLOBAL__N_18offset_tEEE10hipError_tPvRmT1_PNSt15iterator_traitsISY_E10value_typeET2_T3_PNSZ_IS14_E10value_typeET4_jRbjT5_S1A_jjP12ihipStream_tbEUljE_EEESV_SW_SX_S14_S18_S1A_T6_T7_T9_mT8_S1C_bDpT10_ENKUlT_T0_E_clISt17integral_constantIbLb0EES1P_EEDaS1K_S1L_EUlS1K_E_NS1_11comp_targetILNS1_3genE10ELNS1_11target_archE1200ELNS1_3gpuE4ELNS1_3repE0EEENS1_30default_config_static_selectorELNS0_4arch9wavefront6targetE1EEEvSY_.uses_flat_scratch, 0
	.set _ZN7rocprim17ROCPRIM_400000_NS6detail17trampoline_kernelINS0_13select_configILj256ELj13ELNS0_17block_load_methodE3ELS4_3ELS4_3ELNS0_20block_scan_algorithmE0ELj4294967295EEENS1_25partition_config_selectorILNS1_17partition_subalgoE3EjNS0_10empty_typeEbEEZZNS1_14partition_implILS8_3ELb0ES6_jNS0_17counting_iteratorIjlEEPS9_SE_NS0_5tupleIJPjSE_EEENSF_IJSE_SE_EEES9_SG_JZNS1_25segmented_radix_sort_implINS0_14default_configELb1EPKhPhPKlPlN2at6native12_GLOBAL__N_18offset_tEEE10hipError_tPvRmT1_PNSt15iterator_traitsISY_E10value_typeET2_T3_PNSZ_IS14_E10value_typeET4_jRbjT5_S1A_jjP12ihipStream_tbEUljE_EEESV_SW_SX_S14_S18_S1A_T6_T7_T9_mT8_S1C_bDpT10_ENKUlT_T0_E_clISt17integral_constantIbLb0EES1P_EEDaS1K_S1L_EUlS1K_E_NS1_11comp_targetILNS1_3genE10ELNS1_11target_archE1200ELNS1_3gpuE4ELNS1_3repE0EEENS1_30default_config_static_selectorELNS0_4arch9wavefront6targetE1EEEvSY_.has_dyn_sized_stack, 0
	.set _ZN7rocprim17ROCPRIM_400000_NS6detail17trampoline_kernelINS0_13select_configILj256ELj13ELNS0_17block_load_methodE3ELS4_3ELS4_3ELNS0_20block_scan_algorithmE0ELj4294967295EEENS1_25partition_config_selectorILNS1_17partition_subalgoE3EjNS0_10empty_typeEbEEZZNS1_14partition_implILS8_3ELb0ES6_jNS0_17counting_iteratorIjlEEPS9_SE_NS0_5tupleIJPjSE_EEENSF_IJSE_SE_EEES9_SG_JZNS1_25segmented_radix_sort_implINS0_14default_configELb1EPKhPhPKlPlN2at6native12_GLOBAL__N_18offset_tEEE10hipError_tPvRmT1_PNSt15iterator_traitsISY_E10value_typeET2_T3_PNSZ_IS14_E10value_typeET4_jRbjT5_S1A_jjP12ihipStream_tbEUljE_EEESV_SW_SX_S14_S18_S1A_T6_T7_T9_mT8_S1C_bDpT10_ENKUlT_T0_E_clISt17integral_constantIbLb0EES1P_EEDaS1K_S1L_EUlS1K_E_NS1_11comp_targetILNS1_3genE10ELNS1_11target_archE1200ELNS1_3gpuE4ELNS1_3repE0EEENS1_30default_config_static_selectorELNS0_4arch9wavefront6targetE1EEEvSY_.has_recursion, 0
	.set _ZN7rocprim17ROCPRIM_400000_NS6detail17trampoline_kernelINS0_13select_configILj256ELj13ELNS0_17block_load_methodE3ELS4_3ELS4_3ELNS0_20block_scan_algorithmE0ELj4294967295EEENS1_25partition_config_selectorILNS1_17partition_subalgoE3EjNS0_10empty_typeEbEEZZNS1_14partition_implILS8_3ELb0ES6_jNS0_17counting_iteratorIjlEEPS9_SE_NS0_5tupleIJPjSE_EEENSF_IJSE_SE_EEES9_SG_JZNS1_25segmented_radix_sort_implINS0_14default_configELb1EPKhPhPKlPlN2at6native12_GLOBAL__N_18offset_tEEE10hipError_tPvRmT1_PNSt15iterator_traitsISY_E10value_typeET2_T3_PNSZ_IS14_E10value_typeET4_jRbjT5_S1A_jjP12ihipStream_tbEUljE_EEESV_SW_SX_S14_S18_S1A_T6_T7_T9_mT8_S1C_bDpT10_ENKUlT_T0_E_clISt17integral_constantIbLb0EES1P_EEDaS1K_S1L_EUlS1K_E_NS1_11comp_targetILNS1_3genE10ELNS1_11target_archE1200ELNS1_3gpuE4ELNS1_3repE0EEENS1_30default_config_static_selectorELNS0_4arch9wavefront6targetE1EEEvSY_.has_indirect_call, 0
	.section	.AMDGPU.csdata,"",@progbits
; Kernel info:
; codeLenInByte = 0
; TotalNumSgprs: 4
; NumVgprs: 0
; ScratchSize: 0
; MemoryBound: 0
; FloatMode: 240
; IeeeMode: 1
; LDSByteSize: 0 bytes/workgroup (compile time only)
; SGPRBlocks: 0
; VGPRBlocks: 0
; NumSGPRsForWavesPerEU: 4
; NumVGPRsForWavesPerEU: 1
; Occupancy: 10
; WaveLimiterHint : 0
; COMPUTE_PGM_RSRC2:SCRATCH_EN: 0
; COMPUTE_PGM_RSRC2:USER_SGPR: 6
; COMPUTE_PGM_RSRC2:TRAP_HANDLER: 0
; COMPUTE_PGM_RSRC2:TGID_X_EN: 1
; COMPUTE_PGM_RSRC2:TGID_Y_EN: 0
; COMPUTE_PGM_RSRC2:TGID_Z_EN: 0
; COMPUTE_PGM_RSRC2:TIDIG_COMP_CNT: 0
	.section	.text._ZN7rocprim17ROCPRIM_400000_NS6detail17trampoline_kernelINS0_13select_configILj256ELj13ELNS0_17block_load_methodE3ELS4_3ELS4_3ELNS0_20block_scan_algorithmE0ELj4294967295EEENS1_25partition_config_selectorILNS1_17partition_subalgoE3EjNS0_10empty_typeEbEEZZNS1_14partition_implILS8_3ELb0ES6_jNS0_17counting_iteratorIjlEEPS9_SE_NS0_5tupleIJPjSE_EEENSF_IJSE_SE_EEES9_SG_JZNS1_25segmented_radix_sort_implINS0_14default_configELb1EPKhPhPKlPlN2at6native12_GLOBAL__N_18offset_tEEE10hipError_tPvRmT1_PNSt15iterator_traitsISY_E10value_typeET2_T3_PNSZ_IS14_E10value_typeET4_jRbjT5_S1A_jjP12ihipStream_tbEUljE_EEESV_SW_SX_S14_S18_S1A_T6_T7_T9_mT8_S1C_bDpT10_ENKUlT_T0_E_clISt17integral_constantIbLb0EES1P_EEDaS1K_S1L_EUlS1K_E_NS1_11comp_targetILNS1_3genE9ELNS1_11target_archE1100ELNS1_3gpuE3ELNS1_3repE0EEENS1_30default_config_static_selectorELNS0_4arch9wavefront6targetE1EEEvSY_,"axG",@progbits,_ZN7rocprim17ROCPRIM_400000_NS6detail17trampoline_kernelINS0_13select_configILj256ELj13ELNS0_17block_load_methodE3ELS4_3ELS4_3ELNS0_20block_scan_algorithmE0ELj4294967295EEENS1_25partition_config_selectorILNS1_17partition_subalgoE3EjNS0_10empty_typeEbEEZZNS1_14partition_implILS8_3ELb0ES6_jNS0_17counting_iteratorIjlEEPS9_SE_NS0_5tupleIJPjSE_EEENSF_IJSE_SE_EEES9_SG_JZNS1_25segmented_radix_sort_implINS0_14default_configELb1EPKhPhPKlPlN2at6native12_GLOBAL__N_18offset_tEEE10hipError_tPvRmT1_PNSt15iterator_traitsISY_E10value_typeET2_T3_PNSZ_IS14_E10value_typeET4_jRbjT5_S1A_jjP12ihipStream_tbEUljE_EEESV_SW_SX_S14_S18_S1A_T6_T7_T9_mT8_S1C_bDpT10_ENKUlT_T0_E_clISt17integral_constantIbLb0EES1P_EEDaS1K_S1L_EUlS1K_E_NS1_11comp_targetILNS1_3genE9ELNS1_11target_archE1100ELNS1_3gpuE3ELNS1_3repE0EEENS1_30default_config_static_selectorELNS0_4arch9wavefront6targetE1EEEvSY_,comdat
	.globl	_ZN7rocprim17ROCPRIM_400000_NS6detail17trampoline_kernelINS0_13select_configILj256ELj13ELNS0_17block_load_methodE3ELS4_3ELS4_3ELNS0_20block_scan_algorithmE0ELj4294967295EEENS1_25partition_config_selectorILNS1_17partition_subalgoE3EjNS0_10empty_typeEbEEZZNS1_14partition_implILS8_3ELb0ES6_jNS0_17counting_iteratorIjlEEPS9_SE_NS0_5tupleIJPjSE_EEENSF_IJSE_SE_EEES9_SG_JZNS1_25segmented_radix_sort_implINS0_14default_configELb1EPKhPhPKlPlN2at6native12_GLOBAL__N_18offset_tEEE10hipError_tPvRmT1_PNSt15iterator_traitsISY_E10value_typeET2_T3_PNSZ_IS14_E10value_typeET4_jRbjT5_S1A_jjP12ihipStream_tbEUljE_EEESV_SW_SX_S14_S18_S1A_T6_T7_T9_mT8_S1C_bDpT10_ENKUlT_T0_E_clISt17integral_constantIbLb0EES1P_EEDaS1K_S1L_EUlS1K_E_NS1_11comp_targetILNS1_3genE9ELNS1_11target_archE1100ELNS1_3gpuE3ELNS1_3repE0EEENS1_30default_config_static_selectorELNS0_4arch9wavefront6targetE1EEEvSY_ ; -- Begin function _ZN7rocprim17ROCPRIM_400000_NS6detail17trampoline_kernelINS0_13select_configILj256ELj13ELNS0_17block_load_methodE3ELS4_3ELS4_3ELNS0_20block_scan_algorithmE0ELj4294967295EEENS1_25partition_config_selectorILNS1_17partition_subalgoE3EjNS0_10empty_typeEbEEZZNS1_14partition_implILS8_3ELb0ES6_jNS0_17counting_iteratorIjlEEPS9_SE_NS0_5tupleIJPjSE_EEENSF_IJSE_SE_EEES9_SG_JZNS1_25segmented_radix_sort_implINS0_14default_configELb1EPKhPhPKlPlN2at6native12_GLOBAL__N_18offset_tEEE10hipError_tPvRmT1_PNSt15iterator_traitsISY_E10value_typeET2_T3_PNSZ_IS14_E10value_typeET4_jRbjT5_S1A_jjP12ihipStream_tbEUljE_EEESV_SW_SX_S14_S18_S1A_T6_T7_T9_mT8_S1C_bDpT10_ENKUlT_T0_E_clISt17integral_constantIbLb0EES1P_EEDaS1K_S1L_EUlS1K_E_NS1_11comp_targetILNS1_3genE9ELNS1_11target_archE1100ELNS1_3gpuE3ELNS1_3repE0EEENS1_30default_config_static_selectorELNS0_4arch9wavefront6targetE1EEEvSY_
	.p2align	8
	.type	_ZN7rocprim17ROCPRIM_400000_NS6detail17trampoline_kernelINS0_13select_configILj256ELj13ELNS0_17block_load_methodE3ELS4_3ELS4_3ELNS0_20block_scan_algorithmE0ELj4294967295EEENS1_25partition_config_selectorILNS1_17partition_subalgoE3EjNS0_10empty_typeEbEEZZNS1_14partition_implILS8_3ELb0ES6_jNS0_17counting_iteratorIjlEEPS9_SE_NS0_5tupleIJPjSE_EEENSF_IJSE_SE_EEES9_SG_JZNS1_25segmented_radix_sort_implINS0_14default_configELb1EPKhPhPKlPlN2at6native12_GLOBAL__N_18offset_tEEE10hipError_tPvRmT1_PNSt15iterator_traitsISY_E10value_typeET2_T3_PNSZ_IS14_E10value_typeET4_jRbjT5_S1A_jjP12ihipStream_tbEUljE_EEESV_SW_SX_S14_S18_S1A_T6_T7_T9_mT8_S1C_bDpT10_ENKUlT_T0_E_clISt17integral_constantIbLb0EES1P_EEDaS1K_S1L_EUlS1K_E_NS1_11comp_targetILNS1_3genE9ELNS1_11target_archE1100ELNS1_3gpuE3ELNS1_3repE0EEENS1_30default_config_static_selectorELNS0_4arch9wavefront6targetE1EEEvSY_,@function
_ZN7rocprim17ROCPRIM_400000_NS6detail17trampoline_kernelINS0_13select_configILj256ELj13ELNS0_17block_load_methodE3ELS4_3ELS4_3ELNS0_20block_scan_algorithmE0ELj4294967295EEENS1_25partition_config_selectorILNS1_17partition_subalgoE3EjNS0_10empty_typeEbEEZZNS1_14partition_implILS8_3ELb0ES6_jNS0_17counting_iteratorIjlEEPS9_SE_NS0_5tupleIJPjSE_EEENSF_IJSE_SE_EEES9_SG_JZNS1_25segmented_radix_sort_implINS0_14default_configELb1EPKhPhPKlPlN2at6native12_GLOBAL__N_18offset_tEEE10hipError_tPvRmT1_PNSt15iterator_traitsISY_E10value_typeET2_T3_PNSZ_IS14_E10value_typeET4_jRbjT5_S1A_jjP12ihipStream_tbEUljE_EEESV_SW_SX_S14_S18_S1A_T6_T7_T9_mT8_S1C_bDpT10_ENKUlT_T0_E_clISt17integral_constantIbLb0EES1P_EEDaS1K_S1L_EUlS1K_E_NS1_11comp_targetILNS1_3genE9ELNS1_11target_archE1100ELNS1_3gpuE3ELNS1_3repE0EEENS1_30default_config_static_selectorELNS0_4arch9wavefront6targetE1EEEvSY_: ; @_ZN7rocprim17ROCPRIM_400000_NS6detail17trampoline_kernelINS0_13select_configILj256ELj13ELNS0_17block_load_methodE3ELS4_3ELS4_3ELNS0_20block_scan_algorithmE0ELj4294967295EEENS1_25partition_config_selectorILNS1_17partition_subalgoE3EjNS0_10empty_typeEbEEZZNS1_14partition_implILS8_3ELb0ES6_jNS0_17counting_iteratorIjlEEPS9_SE_NS0_5tupleIJPjSE_EEENSF_IJSE_SE_EEES9_SG_JZNS1_25segmented_radix_sort_implINS0_14default_configELb1EPKhPhPKlPlN2at6native12_GLOBAL__N_18offset_tEEE10hipError_tPvRmT1_PNSt15iterator_traitsISY_E10value_typeET2_T3_PNSZ_IS14_E10value_typeET4_jRbjT5_S1A_jjP12ihipStream_tbEUljE_EEESV_SW_SX_S14_S18_S1A_T6_T7_T9_mT8_S1C_bDpT10_ENKUlT_T0_E_clISt17integral_constantIbLb0EES1P_EEDaS1K_S1L_EUlS1K_E_NS1_11comp_targetILNS1_3genE9ELNS1_11target_archE1100ELNS1_3gpuE3ELNS1_3repE0EEENS1_30default_config_static_selectorELNS0_4arch9wavefront6targetE1EEEvSY_
; %bb.0:
	.section	.rodata,"a",@progbits
	.p2align	6, 0x0
	.amdhsa_kernel _ZN7rocprim17ROCPRIM_400000_NS6detail17trampoline_kernelINS0_13select_configILj256ELj13ELNS0_17block_load_methodE3ELS4_3ELS4_3ELNS0_20block_scan_algorithmE0ELj4294967295EEENS1_25partition_config_selectorILNS1_17partition_subalgoE3EjNS0_10empty_typeEbEEZZNS1_14partition_implILS8_3ELb0ES6_jNS0_17counting_iteratorIjlEEPS9_SE_NS0_5tupleIJPjSE_EEENSF_IJSE_SE_EEES9_SG_JZNS1_25segmented_radix_sort_implINS0_14default_configELb1EPKhPhPKlPlN2at6native12_GLOBAL__N_18offset_tEEE10hipError_tPvRmT1_PNSt15iterator_traitsISY_E10value_typeET2_T3_PNSZ_IS14_E10value_typeET4_jRbjT5_S1A_jjP12ihipStream_tbEUljE_EEESV_SW_SX_S14_S18_S1A_T6_T7_T9_mT8_S1C_bDpT10_ENKUlT_T0_E_clISt17integral_constantIbLb0EES1P_EEDaS1K_S1L_EUlS1K_E_NS1_11comp_targetILNS1_3genE9ELNS1_11target_archE1100ELNS1_3gpuE3ELNS1_3repE0EEENS1_30default_config_static_selectorELNS0_4arch9wavefront6targetE1EEEvSY_
		.amdhsa_group_segment_fixed_size 0
		.amdhsa_private_segment_fixed_size 0
		.amdhsa_kernarg_size 144
		.amdhsa_user_sgpr_count 6
		.amdhsa_user_sgpr_private_segment_buffer 1
		.amdhsa_user_sgpr_dispatch_ptr 0
		.amdhsa_user_sgpr_queue_ptr 0
		.amdhsa_user_sgpr_kernarg_segment_ptr 1
		.amdhsa_user_sgpr_dispatch_id 0
		.amdhsa_user_sgpr_flat_scratch_init 0
		.amdhsa_user_sgpr_private_segment_size 0
		.amdhsa_uses_dynamic_stack 0
		.amdhsa_system_sgpr_private_segment_wavefront_offset 0
		.amdhsa_system_sgpr_workgroup_id_x 1
		.amdhsa_system_sgpr_workgroup_id_y 0
		.amdhsa_system_sgpr_workgroup_id_z 0
		.amdhsa_system_sgpr_workgroup_info 0
		.amdhsa_system_vgpr_workitem_id 0
		.amdhsa_next_free_vgpr 1
		.amdhsa_next_free_sgpr 0
		.amdhsa_reserve_vcc 0
		.amdhsa_reserve_flat_scratch 0
		.amdhsa_float_round_mode_32 0
		.amdhsa_float_round_mode_16_64 0
		.amdhsa_float_denorm_mode_32 3
		.amdhsa_float_denorm_mode_16_64 3
		.amdhsa_dx10_clamp 1
		.amdhsa_ieee_mode 1
		.amdhsa_fp16_overflow 0
		.amdhsa_exception_fp_ieee_invalid_op 0
		.amdhsa_exception_fp_denorm_src 0
		.amdhsa_exception_fp_ieee_div_zero 0
		.amdhsa_exception_fp_ieee_overflow 0
		.amdhsa_exception_fp_ieee_underflow 0
		.amdhsa_exception_fp_ieee_inexact 0
		.amdhsa_exception_int_div_zero 0
	.end_amdhsa_kernel
	.section	.text._ZN7rocprim17ROCPRIM_400000_NS6detail17trampoline_kernelINS0_13select_configILj256ELj13ELNS0_17block_load_methodE3ELS4_3ELS4_3ELNS0_20block_scan_algorithmE0ELj4294967295EEENS1_25partition_config_selectorILNS1_17partition_subalgoE3EjNS0_10empty_typeEbEEZZNS1_14partition_implILS8_3ELb0ES6_jNS0_17counting_iteratorIjlEEPS9_SE_NS0_5tupleIJPjSE_EEENSF_IJSE_SE_EEES9_SG_JZNS1_25segmented_radix_sort_implINS0_14default_configELb1EPKhPhPKlPlN2at6native12_GLOBAL__N_18offset_tEEE10hipError_tPvRmT1_PNSt15iterator_traitsISY_E10value_typeET2_T3_PNSZ_IS14_E10value_typeET4_jRbjT5_S1A_jjP12ihipStream_tbEUljE_EEESV_SW_SX_S14_S18_S1A_T6_T7_T9_mT8_S1C_bDpT10_ENKUlT_T0_E_clISt17integral_constantIbLb0EES1P_EEDaS1K_S1L_EUlS1K_E_NS1_11comp_targetILNS1_3genE9ELNS1_11target_archE1100ELNS1_3gpuE3ELNS1_3repE0EEENS1_30default_config_static_selectorELNS0_4arch9wavefront6targetE1EEEvSY_,"axG",@progbits,_ZN7rocprim17ROCPRIM_400000_NS6detail17trampoline_kernelINS0_13select_configILj256ELj13ELNS0_17block_load_methodE3ELS4_3ELS4_3ELNS0_20block_scan_algorithmE0ELj4294967295EEENS1_25partition_config_selectorILNS1_17partition_subalgoE3EjNS0_10empty_typeEbEEZZNS1_14partition_implILS8_3ELb0ES6_jNS0_17counting_iteratorIjlEEPS9_SE_NS0_5tupleIJPjSE_EEENSF_IJSE_SE_EEES9_SG_JZNS1_25segmented_radix_sort_implINS0_14default_configELb1EPKhPhPKlPlN2at6native12_GLOBAL__N_18offset_tEEE10hipError_tPvRmT1_PNSt15iterator_traitsISY_E10value_typeET2_T3_PNSZ_IS14_E10value_typeET4_jRbjT5_S1A_jjP12ihipStream_tbEUljE_EEESV_SW_SX_S14_S18_S1A_T6_T7_T9_mT8_S1C_bDpT10_ENKUlT_T0_E_clISt17integral_constantIbLb0EES1P_EEDaS1K_S1L_EUlS1K_E_NS1_11comp_targetILNS1_3genE9ELNS1_11target_archE1100ELNS1_3gpuE3ELNS1_3repE0EEENS1_30default_config_static_selectorELNS0_4arch9wavefront6targetE1EEEvSY_,comdat
.Lfunc_end54:
	.size	_ZN7rocprim17ROCPRIM_400000_NS6detail17trampoline_kernelINS0_13select_configILj256ELj13ELNS0_17block_load_methodE3ELS4_3ELS4_3ELNS0_20block_scan_algorithmE0ELj4294967295EEENS1_25partition_config_selectorILNS1_17partition_subalgoE3EjNS0_10empty_typeEbEEZZNS1_14partition_implILS8_3ELb0ES6_jNS0_17counting_iteratorIjlEEPS9_SE_NS0_5tupleIJPjSE_EEENSF_IJSE_SE_EEES9_SG_JZNS1_25segmented_radix_sort_implINS0_14default_configELb1EPKhPhPKlPlN2at6native12_GLOBAL__N_18offset_tEEE10hipError_tPvRmT1_PNSt15iterator_traitsISY_E10value_typeET2_T3_PNSZ_IS14_E10value_typeET4_jRbjT5_S1A_jjP12ihipStream_tbEUljE_EEESV_SW_SX_S14_S18_S1A_T6_T7_T9_mT8_S1C_bDpT10_ENKUlT_T0_E_clISt17integral_constantIbLb0EES1P_EEDaS1K_S1L_EUlS1K_E_NS1_11comp_targetILNS1_3genE9ELNS1_11target_archE1100ELNS1_3gpuE3ELNS1_3repE0EEENS1_30default_config_static_selectorELNS0_4arch9wavefront6targetE1EEEvSY_, .Lfunc_end54-_ZN7rocprim17ROCPRIM_400000_NS6detail17trampoline_kernelINS0_13select_configILj256ELj13ELNS0_17block_load_methodE3ELS4_3ELS4_3ELNS0_20block_scan_algorithmE0ELj4294967295EEENS1_25partition_config_selectorILNS1_17partition_subalgoE3EjNS0_10empty_typeEbEEZZNS1_14partition_implILS8_3ELb0ES6_jNS0_17counting_iteratorIjlEEPS9_SE_NS0_5tupleIJPjSE_EEENSF_IJSE_SE_EEES9_SG_JZNS1_25segmented_radix_sort_implINS0_14default_configELb1EPKhPhPKlPlN2at6native12_GLOBAL__N_18offset_tEEE10hipError_tPvRmT1_PNSt15iterator_traitsISY_E10value_typeET2_T3_PNSZ_IS14_E10value_typeET4_jRbjT5_S1A_jjP12ihipStream_tbEUljE_EEESV_SW_SX_S14_S18_S1A_T6_T7_T9_mT8_S1C_bDpT10_ENKUlT_T0_E_clISt17integral_constantIbLb0EES1P_EEDaS1K_S1L_EUlS1K_E_NS1_11comp_targetILNS1_3genE9ELNS1_11target_archE1100ELNS1_3gpuE3ELNS1_3repE0EEENS1_30default_config_static_selectorELNS0_4arch9wavefront6targetE1EEEvSY_
                                        ; -- End function
	.set _ZN7rocprim17ROCPRIM_400000_NS6detail17trampoline_kernelINS0_13select_configILj256ELj13ELNS0_17block_load_methodE3ELS4_3ELS4_3ELNS0_20block_scan_algorithmE0ELj4294967295EEENS1_25partition_config_selectorILNS1_17partition_subalgoE3EjNS0_10empty_typeEbEEZZNS1_14partition_implILS8_3ELb0ES6_jNS0_17counting_iteratorIjlEEPS9_SE_NS0_5tupleIJPjSE_EEENSF_IJSE_SE_EEES9_SG_JZNS1_25segmented_radix_sort_implINS0_14default_configELb1EPKhPhPKlPlN2at6native12_GLOBAL__N_18offset_tEEE10hipError_tPvRmT1_PNSt15iterator_traitsISY_E10value_typeET2_T3_PNSZ_IS14_E10value_typeET4_jRbjT5_S1A_jjP12ihipStream_tbEUljE_EEESV_SW_SX_S14_S18_S1A_T6_T7_T9_mT8_S1C_bDpT10_ENKUlT_T0_E_clISt17integral_constantIbLb0EES1P_EEDaS1K_S1L_EUlS1K_E_NS1_11comp_targetILNS1_3genE9ELNS1_11target_archE1100ELNS1_3gpuE3ELNS1_3repE0EEENS1_30default_config_static_selectorELNS0_4arch9wavefront6targetE1EEEvSY_.num_vgpr, 0
	.set _ZN7rocprim17ROCPRIM_400000_NS6detail17trampoline_kernelINS0_13select_configILj256ELj13ELNS0_17block_load_methodE3ELS4_3ELS4_3ELNS0_20block_scan_algorithmE0ELj4294967295EEENS1_25partition_config_selectorILNS1_17partition_subalgoE3EjNS0_10empty_typeEbEEZZNS1_14partition_implILS8_3ELb0ES6_jNS0_17counting_iteratorIjlEEPS9_SE_NS0_5tupleIJPjSE_EEENSF_IJSE_SE_EEES9_SG_JZNS1_25segmented_radix_sort_implINS0_14default_configELb1EPKhPhPKlPlN2at6native12_GLOBAL__N_18offset_tEEE10hipError_tPvRmT1_PNSt15iterator_traitsISY_E10value_typeET2_T3_PNSZ_IS14_E10value_typeET4_jRbjT5_S1A_jjP12ihipStream_tbEUljE_EEESV_SW_SX_S14_S18_S1A_T6_T7_T9_mT8_S1C_bDpT10_ENKUlT_T0_E_clISt17integral_constantIbLb0EES1P_EEDaS1K_S1L_EUlS1K_E_NS1_11comp_targetILNS1_3genE9ELNS1_11target_archE1100ELNS1_3gpuE3ELNS1_3repE0EEENS1_30default_config_static_selectorELNS0_4arch9wavefront6targetE1EEEvSY_.num_agpr, 0
	.set _ZN7rocprim17ROCPRIM_400000_NS6detail17trampoline_kernelINS0_13select_configILj256ELj13ELNS0_17block_load_methodE3ELS4_3ELS4_3ELNS0_20block_scan_algorithmE0ELj4294967295EEENS1_25partition_config_selectorILNS1_17partition_subalgoE3EjNS0_10empty_typeEbEEZZNS1_14partition_implILS8_3ELb0ES6_jNS0_17counting_iteratorIjlEEPS9_SE_NS0_5tupleIJPjSE_EEENSF_IJSE_SE_EEES9_SG_JZNS1_25segmented_radix_sort_implINS0_14default_configELb1EPKhPhPKlPlN2at6native12_GLOBAL__N_18offset_tEEE10hipError_tPvRmT1_PNSt15iterator_traitsISY_E10value_typeET2_T3_PNSZ_IS14_E10value_typeET4_jRbjT5_S1A_jjP12ihipStream_tbEUljE_EEESV_SW_SX_S14_S18_S1A_T6_T7_T9_mT8_S1C_bDpT10_ENKUlT_T0_E_clISt17integral_constantIbLb0EES1P_EEDaS1K_S1L_EUlS1K_E_NS1_11comp_targetILNS1_3genE9ELNS1_11target_archE1100ELNS1_3gpuE3ELNS1_3repE0EEENS1_30default_config_static_selectorELNS0_4arch9wavefront6targetE1EEEvSY_.numbered_sgpr, 0
	.set _ZN7rocprim17ROCPRIM_400000_NS6detail17trampoline_kernelINS0_13select_configILj256ELj13ELNS0_17block_load_methodE3ELS4_3ELS4_3ELNS0_20block_scan_algorithmE0ELj4294967295EEENS1_25partition_config_selectorILNS1_17partition_subalgoE3EjNS0_10empty_typeEbEEZZNS1_14partition_implILS8_3ELb0ES6_jNS0_17counting_iteratorIjlEEPS9_SE_NS0_5tupleIJPjSE_EEENSF_IJSE_SE_EEES9_SG_JZNS1_25segmented_radix_sort_implINS0_14default_configELb1EPKhPhPKlPlN2at6native12_GLOBAL__N_18offset_tEEE10hipError_tPvRmT1_PNSt15iterator_traitsISY_E10value_typeET2_T3_PNSZ_IS14_E10value_typeET4_jRbjT5_S1A_jjP12ihipStream_tbEUljE_EEESV_SW_SX_S14_S18_S1A_T6_T7_T9_mT8_S1C_bDpT10_ENKUlT_T0_E_clISt17integral_constantIbLb0EES1P_EEDaS1K_S1L_EUlS1K_E_NS1_11comp_targetILNS1_3genE9ELNS1_11target_archE1100ELNS1_3gpuE3ELNS1_3repE0EEENS1_30default_config_static_selectorELNS0_4arch9wavefront6targetE1EEEvSY_.num_named_barrier, 0
	.set _ZN7rocprim17ROCPRIM_400000_NS6detail17trampoline_kernelINS0_13select_configILj256ELj13ELNS0_17block_load_methodE3ELS4_3ELS4_3ELNS0_20block_scan_algorithmE0ELj4294967295EEENS1_25partition_config_selectorILNS1_17partition_subalgoE3EjNS0_10empty_typeEbEEZZNS1_14partition_implILS8_3ELb0ES6_jNS0_17counting_iteratorIjlEEPS9_SE_NS0_5tupleIJPjSE_EEENSF_IJSE_SE_EEES9_SG_JZNS1_25segmented_radix_sort_implINS0_14default_configELb1EPKhPhPKlPlN2at6native12_GLOBAL__N_18offset_tEEE10hipError_tPvRmT1_PNSt15iterator_traitsISY_E10value_typeET2_T3_PNSZ_IS14_E10value_typeET4_jRbjT5_S1A_jjP12ihipStream_tbEUljE_EEESV_SW_SX_S14_S18_S1A_T6_T7_T9_mT8_S1C_bDpT10_ENKUlT_T0_E_clISt17integral_constantIbLb0EES1P_EEDaS1K_S1L_EUlS1K_E_NS1_11comp_targetILNS1_3genE9ELNS1_11target_archE1100ELNS1_3gpuE3ELNS1_3repE0EEENS1_30default_config_static_selectorELNS0_4arch9wavefront6targetE1EEEvSY_.private_seg_size, 0
	.set _ZN7rocprim17ROCPRIM_400000_NS6detail17trampoline_kernelINS0_13select_configILj256ELj13ELNS0_17block_load_methodE3ELS4_3ELS4_3ELNS0_20block_scan_algorithmE0ELj4294967295EEENS1_25partition_config_selectorILNS1_17partition_subalgoE3EjNS0_10empty_typeEbEEZZNS1_14partition_implILS8_3ELb0ES6_jNS0_17counting_iteratorIjlEEPS9_SE_NS0_5tupleIJPjSE_EEENSF_IJSE_SE_EEES9_SG_JZNS1_25segmented_radix_sort_implINS0_14default_configELb1EPKhPhPKlPlN2at6native12_GLOBAL__N_18offset_tEEE10hipError_tPvRmT1_PNSt15iterator_traitsISY_E10value_typeET2_T3_PNSZ_IS14_E10value_typeET4_jRbjT5_S1A_jjP12ihipStream_tbEUljE_EEESV_SW_SX_S14_S18_S1A_T6_T7_T9_mT8_S1C_bDpT10_ENKUlT_T0_E_clISt17integral_constantIbLb0EES1P_EEDaS1K_S1L_EUlS1K_E_NS1_11comp_targetILNS1_3genE9ELNS1_11target_archE1100ELNS1_3gpuE3ELNS1_3repE0EEENS1_30default_config_static_selectorELNS0_4arch9wavefront6targetE1EEEvSY_.uses_vcc, 0
	.set _ZN7rocprim17ROCPRIM_400000_NS6detail17trampoline_kernelINS0_13select_configILj256ELj13ELNS0_17block_load_methodE3ELS4_3ELS4_3ELNS0_20block_scan_algorithmE0ELj4294967295EEENS1_25partition_config_selectorILNS1_17partition_subalgoE3EjNS0_10empty_typeEbEEZZNS1_14partition_implILS8_3ELb0ES6_jNS0_17counting_iteratorIjlEEPS9_SE_NS0_5tupleIJPjSE_EEENSF_IJSE_SE_EEES9_SG_JZNS1_25segmented_radix_sort_implINS0_14default_configELb1EPKhPhPKlPlN2at6native12_GLOBAL__N_18offset_tEEE10hipError_tPvRmT1_PNSt15iterator_traitsISY_E10value_typeET2_T3_PNSZ_IS14_E10value_typeET4_jRbjT5_S1A_jjP12ihipStream_tbEUljE_EEESV_SW_SX_S14_S18_S1A_T6_T7_T9_mT8_S1C_bDpT10_ENKUlT_T0_E_clISt17integral_constantIbLb0EES1P_EEDaS1K_S1L_EUlS1K_E_NS1_11comp_targetILNS1_3genE9ELNS1_11target_archE1100ELNS1_3gpuE3ELNS1_3repE0EEENS1_30default_config_static_selectorELNS0_4arch9wavefront6targetE1EEEvSY_.uses_flat_scratch, 0
	.set _ZN7rocprim17ROCPRIM_400000_NS6detail17trampoline_kernelINS0_13select_configILj256ELj13ELNS0_17block_load_methodE3ELS4_3ELS4_3ELNS0_20block_scan_algorithmE0ELj4294967295EEENS1_25partition_config_selectorILNS1_17partition_subalgoE3EjNS0_10empty_typeEbEEZZNS1_14partition_implILS8_3ELb0ES6_jNS0_17counting_iteratorIjlEEPS9_SE_NS0_5tupleIJPjSE_EEENSF_IJSE_SE_EEES9_SG_JZNS1_25segmented_radix_sort_implINS0_14default_configELb1EPKhPhPKlPlN2at6native12_GLOBAL__N_18offset_tEEE10hipError_tPvRmT1_PNSt15iterator_traitsISY_E10value_typeET2_T3_PNSZ_IS14_E10value_typeET4_jRbjT5_S1A_jjP12ihipStream_tbEUljE_EEESV_SW_SX_S14_S18_S1A_T6_T7_T9_mT8_S1C_bDpT10_ENKUlT_T0_E_clISt17integral_constantIbLb0EES1P_EEDaS1K_S1L_EUlS1K_E_NS1_11comp_targetILNS1_3genE9ELNS1_11target_archE1100ELNS1_3gpuE3ELNS1_3repE0EEENS1_30default_config_static_selectorELNS0_4arch9wavefront6targetE1EEEvSY_.has_dyn_sized_stack, 0
	.set _ZN7rocprim17ROCPRIM_400000_NS6detail17trampoline_kernelINS0_13select_configILj256ELj13ELNS0_17block_load_methodE3ELS4_3ELS4_3ELNS0_20block_scan_algorithmE0ELj4294967295EEENS1_25partition_config_selectorILNS1_17partition_subalgoE3EjNS0_10empty_typeEbEEZZNS1_14partition_implILS8_3ELb0ES6_jNS0_17counting_iteratorIjlEEPS9_SE_NS0_5tupleIJPjSE_EEENSF_IJSE_SE_EEES9_SG_JZNS1_25segmented_radix_sort_implINS0_14default_configELb1EPKhPhPKlPlN2at6native12_GLOBAL__N_18offset_tEEE10hipError_tPvRmT1_PNSt15iterator_traitsISY_E10value_typeET2_T3_PNSZ_IS14_E10value_typeET4_jRbjT5_S1A_jjP12ihipStream_tbEUljE_EEESV_SW_SX_S14_S18_S1A_T6_T7_T9_mT8_S1C_bDpT10_ENKUlT_T0_E_clISt17integral_constantIbLb0EES1P_EEDaS1K_S1L_EUlS1K_E_NS1_11comp_targetILNS1_3genE9ELNS1_11target_archE1100ELNS1_3gpuE3ELNS1_3repE0EEENS1_30default_config_static_selectorELNS0_4arch9wavefront6targetE1EEEvSY_.has_recursion, 0
	.set _ZN7rocprim17ROCPRIM_400000_NS6detail17trampoline_kernelINS0_13select_configILj256ELj13ELNS0_17block_load_methodE3ELS4_3ELS4_3ELNS0_20block_scan_algorithmE0ELj4294967295EEENS1_25partition_config_selectorILNS1_17partition_subalgoE3EjNS0_10empty_typeEbEEZZNS1_14partition_implILS8_3ELb0ES6_jNS0_17counting_iteratorIjlEEPS9_SE_NS0_5tupleIJPjSE_EEENSF_IJSE_SE_EEES9_SG_JZNS1_25segmented_radix_sort_implINS0_14default_configELb1EPKhPhPKlPlN2at6native12_GLOBAL__N_18offset_tEEE10hipError_tPvRmT1_PNSt15iterator_traitsISY_E10value_typeET2_T3_PNSZ_IS14_E10value_typeET4_jRbjT5_S1A_jjP12ihipStream_tbEUljE_EEESV_SW_SX_S14_S18_S1A_T6_T7_T9_mT8_S1C_bDpT10_ENKUlT_T0_E_clISt17integral_constantIbLb0EES1P_EEDaS1K_S1L_EUlS1K_E_NS1_11comp_targetILNS1_3genE9ELNS1_11target_archE1100ELNS1_3gpuE3ELNS1_3repE0EEENS1_30default_config_static_selectorELNS0_4arch9wavefront6targetE1EEEvSY_.has_indirect_call, 0
	.section	.AMDGPU.csdata,"",@progbits
; Kernel info:
; codeLenInByte = 0
; TotalNumSgprs: 4
; NumVgprs: 0
; ScratchSize: 0
; MemoryBound: 0
; FloatMode: 240
; IeeeMode: 1
; LDSByteSize: 0 bytes/workgroup (compile time only)
; SGPRBlocks: 0
; VGPRBlocks: 0
; NumSGPRsForWavesPerEU: 4
; NumVGPRsForWavesPerEU: 1
; Occupancy: 10
; WaveLimiterHint : 0
; COMPUTE_PGM_RSRC2:SCRATCH_EN: 0
; COMPUTE_PGM_RSRC2:USER_SGPR: 6
; COMPUTE_PGM_RSRC2:TRAP_HANDLER: 0
; COMPUTE_PGM_RSRC2:TGID_X_EN: 1
; COMPUTE_PGM_RSRC2:TGID_Y_EN: 0
; COMPUTE_PGM_RSRC2:TGID_Z_EN: 0
; COMPUTE_PGM_RSRC2:TIDIG_COMP_CNT: 0
	.section	.text._ZN7rocprim17ROCPRIM_400000_NS6detail17trampoline_kernelINS0_13select_configILj256ELj13ELNS0_17block_load_methodE3ELS4_3ELS4_3ELNS0_20block_scan_algorithmE0ELj4294967295EEENS1_25partition_config_selectorILNS1_17partition_subalgoE3EjNS0_10empty_typeEbEEZZNS1_14partition_implILS8_3ELb0ES6_jNS0_17counting_iteratorIjlEEPS9_SE_NS0_5tupleIJPjSE_EEENSF_IJSE_SE_EEES9_SG_JZNS1_25segmented_radix_sort_implINS0_14default_configELb1EPKhPhPKlPlN2at6native12_GLOBAL__N_18offset_tEEE10hipError_tPvRmT1_PNSt15iterator_traitsISY_E10value_typeET2_T3_PNSZ_IS14_E10value_typeET4_jRbjT5_S1A_jjP12ihipStream_tbEUljE_EEESV_SW_SX_S14_S18_S1A_T6_T7_T9_mT8_S1C_bDpT10_ENKUlT_T0_E_clISt17integral_constantIbLb0EES1P_EEDaS1K_S1L_EUlS1K_E_NS1_11comp_targetILNS1_3genE8ELNS1_11target_archE1030ELNS1_3gpuE2ELNS1_3repE0EEENS1_30default_config_static_selectorELNS0_4arch9wavefront6targetE1EEEvSY_,"axG",@progbits,_ZN7rocprim17ROCPRIM_400000_NS6detail17trampoline_kernelINS0_13select_configILj256ELj13ELNS0_17block_load_methodE3ELS4_3ELS4_3ELNS0_20block_scan_algorithmE0ELj4294967295EEENS1_25partition_config_selectorILNS1_17partition_subalgoE3EjNS0_10empty_typeEbEEZZNS1_14partition_implILS8_3ELb0ES6_jNS0_17counting_iteratorIjlEEPS9_SE_NS0_5tupleIJPjSE_EEENSF_IJSE_SE_EEES9_SG_JZNS1_25segmented_radix_sort_implINS0_14default_configELb1EPKhPhPKlPlN2at6native12_GLOBAL__N_18offset_tEEE10hipError_tPvRmT1_PNSt15iterator_traitsISY_E10value_typeET2_T3_PNSZ_IS14_E10value_typeET4_jRbjT5_S1A_jjP12ihipStream_tbEUljE_EEESV_SW_SX_S14_S18_S1A_T6_T7_T9_mT8_S1C_bDpT10_ENKUlT_T0_E_clISt17integral_constantIbLb0EES1P_EEDaS1K_S1L_EUlS1K_E_NS1_11comp_targetILNS1_3genE8ELNS1_11target_archE1030ELNS1_3gpuE2ELNS1_3repE0EEENS1_30default_config_static_selectorELNS0_4arch9wavefront6targetE1EEEvSY_,comdat
	.globl	_ZN7rocprim17ROCPRIM_400000_NS6detail17trampoline_kernelINS0_13select_configILj256ELj13ELNS0_17block_load_methodE3ELS4_3ELS4_3ELNS0_20block_scan_algorithmE0ELj4294967295EEENS1_25partition_config_selectorILNS1_17partition_subalgoE3EjNS0_10empty_typeEbEEZZNS1_14partition_implILS8_3ELb0ES6_jNS0_17counting_iteratorIjlEEPS9_SE_NS0_5tupleIJPjSE_EEENSF_IJSE_SE_EEES9_SG_JZNS1_25segmented_radix_sort_implINS0_14default_configELb1EPKhPhPKlPlN2at6native12_GLOBAL__N_18offset_tEEE10hipError_tPvRmT1_PNSt15iterator_traitsISY_E10value_typeET2_T3_PNSZ_IS14_E10value_typeET4_jRbjT5_S1A_jjP12ihipStream_tbEUljE_EEESV_SW_SX_S14_S18_S1A_T6_T7_T9_mT8_S1C_bDpT10_ENKUlT_T0_E_clISt17integral_constantIbLb0EES1P_EEDaS1K_S1L_EUlS1K_E_NS1_11comp_targetILNS1_3genE8ELNS1_11target_archE1030ELNS1_3gpuE2ELNS1_3repE0EEENS1_30default_config_static_selectorELNS0_4arch9wavefront6targetE1EEEvSY_ ; -- Begin function _ZN7rocprim17ROCPRIM_400000_NS6detail17trampoline_kernelINS0_13select_configILj256ELj13ELNS0_17block_load_methodE3ELS4_3ELS4_3ELNS0_20block_scan_algorithmE0ELj4294967295EEENS1_25partition_config_selectorILNS1_17partition_subalgoE3EjNS0_10empty_typeEbEEZZNS1_14partition_implILS8_3ELb0ES6_jNS0_17counting_iteratorIjlEEPS9_SE_NS0_5tupleIJPjSE_EEENSF_IJSE_SE_EEES9_SG_JZNS1_25segmented_radix_sort_implINS0_14default_configELb1EPKhPhPKlPlN2at6native12_GLOBAL__N_18offset_tEEE10hipError_tPvRmT1_PNSt15iterator_traitsISY_E10value_typeET2_T3_PNSZ_IS14_E10value_typeET4_jRbjT5_S1A_jjP12ihipStream_tbEUljE_EEESV_SW_SX_S14_S18_S1A_T6_T7_T9_mT8_S1C_bDpT10_ENKUlT_T0_E_clISt17integral_constantIbLb0EES1P_EEDaS1K_S1L_EUlS1K_E_NS1_11comp_targetILNS1_3genE8ELNS1_11target_archE1030ELNS1_3gpuE2ELNS1_3repE0EEENS1_30default_config_static_selectorELNS0_4arch9wavefront6targetE1EEEvSY_
	.p2align	8
	.type	_ZN7rocprim17ROCPRIM_400000_NS6detail17trampoline_kernelINS0_13select_configILj256ELj13ELNS0_17block_load_methodE3ELS4_3ELS4_3ELNS0_20block_scan_algorithmE0ELj4294967295EEENS1_25partition_config_selectorILNS1_17partition_subalgoE3EjNS0_10empty_typeEbEEZZNS1_14partition_implILS8_3ELb0ES6_jNS0_17counting_iteratorIjlEEPS9_SE_NS0_5tupleIJPjSE_EEENSF_IJSE_SE_EEES9_SG_JZNS1_25segmented_radix_sort_implINS0_14default_configELb1EPKhPhPKlPlN2at6native12_GLOBAL__N_18offset_tEEE10hipError_tPvRmT1_PNSt15iterator_traitsISY_E10value_typeET2_T3_PNSZ_IS14_E10value_typeET4_jRbjT5_S1A_jjP12ihipStream_tbEUljE_EEESV_SW_SX_S14_S18_S1A_T6_T7_T9_mT8_S1C_bDpT10_ENKUlT_T0_E_clISt17integral_constantIbLb0EES1P_EEDaS1K_S1L_EUlS1K_E_NS1_11comp_targetILNS1_3genE8ELNS1_11target_archE1030ELNS1_3gpuE2ELNS1_3repE0EEENS1_30default_config_static_selectorELNS0_4arch9wavefront6targetE1EEEvSY_,@function
_ZN7rocprim17ROCPRIM_400000_NS6detail17trampoline_kernelINS0_13select_configILj256ELj13ELNS0_17block_load_methodE3ELS4_3ELS4_3ELNS0_20block_scan_algorithmE0ELj4294967295EEENS1_25partition_config_selectorILNS1_17partition_subalgoE3EjNS0_10empty_typeEbEEZZNS1_14partition_implILS8_3ELb0ES6_jNS0_17counting_iteratorIjlEEPS9_SE_NS0_5tupleIJPjSE_EEENSF_IJSE_SE_EEES9_SG_JZNS1_25segmented_radix_sort_implINS0_14default_configELb1EPKhPhPKlPlN2at6native12_GLOBAL__N_18offset_tEEE10hipError_tPvRmT1_PNSt15iterator_traitsISY_E10value_typeET2_T3_PNSZ_IS14_E10value_typeET4_jRbjT5_S1A_jjP12ihipStream_tbEUljE_EEESV_SW_SX_S14_S18_S1A_T6_T7_T9_mT8_S1C_bDpT10_ENKUlT_T0_E_clISt17integral_constantIbLb0EES1P_EEDaS1K_S1L_EUlS1K_E_NS1_11comp_targetILNS1_3genE8ELNS1_11target_archE1030ELNS1_3gpuE2ELNS1_3repE0EEENS1_30default_config_static_selectorELNS0_4arch9wavefront6targetE1EEEvSY_: ; @_ZN7rocprim17ROCPRIM_400000_NS6detail17trampoline_kernelINS0_13select_configILj256ELj13ELNS0_17block_load_methodE3ELS4_3ELS4_3ELNS0_20block_scan_algorithmE0ELj4294967295EEENS1_25partition_config_selectorILNS1_17partition_subalgoE3EjNS0_10empty_typeEbEEZZNS1_14partition_implILS8_3ELb0ES6_jNS0_17counting_iteratorIjlEEPS9_SE_NS0_5tupleIJPjSE_EEENSF_IJSE_SE_EEES9_SG_JZNS1_25segmented_radix_sort_implINS0_14default_configELb1EPKhPhPKlPlN2at6native12_GLOBAL__N_18offset_tEEE10hipError_tPvRmT1_PNSt15iterator_traitsISY_E10value_typeET2_T3_PNSZ_IS14_E10value_typeET4_jRbjT5_S1A_jjP12ihipStream_tbEUljE_EEESV_SW_SX_S14_S18_S1A_T6_T7_T9_mT8_S1C_bDpT10_ENKUlT_T0_E_clISt17integral_constantIbLb0EES1P_EEDaS1K_S1L_EUlS1K_E_NS1_11comp_targetILNS1_3genE8ELNS1_11target_archE1030ELNS1_3gpuE2ELNS1_3repE0EEENS1_30default_config_static_selectorELNS0_4arch9wavefront6targetE1EEEvSY_
; %bb.0:
	.section	.rodata,"a",@progbits
	.p2align	6, 0x0
	.amdhsa_kernel _ZN7rocprim17ROCPRIM_400000_NS6detail17trampoline_kernelINS0_13select_configILj256ELj13ELNS0_17block_load_methodE3ELS4_3ELS4_3ELNS0_20block_scan_algorithmE0ELj4294967295EEENS1_25partition_config_selectorILNS1_17partition_subalgoE3EjNS0_10empty_typeEbEEZZNS1_14partition_implILS8_3ELb0ES6_jNS0_17counting_iteratorIjlEEPS9_SE_NS0_5tupleIJPjSE_EEENSF_IJSE_SE_EEES9_SG_JZNS1_25segmented_radix_sort_implINS0_14default_configELb1EPKhPhPKlPlN2at6native12_GLOBAL__N_18offset_tEEE10hipError_tPvRmT1_PNSt15iterator_traitsISY_E10value_typeET2_T3_PNSZ_IS14_E10value_typeET4_jRbjT5_S1A_jjP12ihipStream_tbEUljE_EEESV_SW_SX_S14_S18_S1A_T6_T7_T9_mT8_S1C_bDpT10_ENKUlT_T0_E_clISt17integral_constantIbLb0EES1P_EEDaS1K_S1L_EUlS1K_E_NS1_11comp_targetILNS1_3genE8ELNS1_11target_archE1030ELNS1_3gpuE2ELNS1_3repE0EEENS1_30default_config_static_selectorELNS0_4arch9wavefront6targetE1EEEvSY_
		.amdhsa_group_segment_fixed_size 0
		.amdhsa_private_segment_fixed_size 0
		.amdhsa_kernarg_size 144
		.amdhsa_user_sgpr_count 6
		.amdhsa_user_sgpr_private_segment_buffer 1
		.amdhsa_user_sgpr_dispatch_ptr 0
		.amdhsa_user_sgpr_queue_ptr 0
		.amdhsa_user_sgpr_kernarg_segment_ptr 1
		.amdhsa_user_sgpr_dispatch_id 0
		.amdhsa_user_sgpr_flat_scratch_init 0
		.amdhsa_user_sgpr_private_segment_size 0
		.amdhsa_uses_dynamic_stack 0
		.amdhsa_system_sgpr_private_segment_wavefront_offset 0
		.amdhsa_system_sgpr_workgroup_id_x 1
		.amdhsa_system_sgpr_workgroup_id_y 0
		.amdhsa_system_sgpr_workgroup_id_z 0
		.amdhsa_system_sgpr_workgroup_info 0
		.amdhsa_system_vgpr_workitem_id 0
		.amdhsa_next_free_vgpr 1
		.amdhsa_next_free_sgpr 0
		.amdhsa_reserve_vcc 0
		.amdhsa_reserve_flat_scratch 0
		.amdhsa_float_round_mode_32 0
		.amdhsa_float_round_mode_16_64 0
		.amdhsa_float_denorm_mode_32 3
		.amdhsa_float_denorm_mode_16_64 3
		.amdhsa_dx10_clamp 1
		.amdhsa_ieee_mode 1
		.amdhsa_fp16_overflow 0
		.amdhsa_exception_fp_ieee_invalid_op 0
		.amdhsa_exception_fp_denorm_src 0
		.amdhsa_exception_fp_ieee_div_zero 0
		.amdhsa_exception_fp_ieee_overflow 0
		.amdhsa_exception_fp_ieee_underflow 0
		.amdhsa_exception_fp_ieee_inexact 0
		.amdhsa_exception_int_div_zero 0
	.end_amdhsa_kernel
	.section	.text._ZN7rocprim17ROCPRIM_400000_NS6detail17trampoline_kernelINS0_13select_configILj256ELj13ELNS0_17block_load_methodE3ELS4_3ELS4_3ELNS0_20block_scan_algorithmE0ELj4294967295EEENS1_25partition_config_selectorILNS1_17partition_subalgoE3EjNS0_10empty_typeEbEEZZNS1_14partition_implILS8_3ELb0ES6_jNS0_17counting_iteratorIjlEEPS9_SE_NS0_5tupleIJPjSE_EEENSF_IJSE_SE_EEES9_SG_JZNS1_25segmented_radix_sort_implINS0_14default_configELb1EPKhPhPKlPlN2at6native12_GLOBAL__N_18offset_tEEE10hipError_tPvRmT1_PNSt15iterator_traitsISY_E10value_typeET2_T3_PNSZ_IS14_E10value_typeET4_jRbjT5_S1A_jjP12ihipStream_tbEUljE_EEESV_SW_SX_S14_S18_S1A_T6_T7_T9_mT8_S1C_bDpT10_ENKUlT_T0_E_clISt17integral_constantIbLb0EES1P_EEDaS1K_S1L_EUlS1K_E_NS1_11comp_targetILNS1_3genE8ELNS1_11target_archE1030ELNS1_3gpuE2ELNS1_3repE0EEENS1_30default_config_static_selectorELNS0_4arch9wavefront6targetE1EEEvSY_,"axG",@progbits,_ZN7rocprim17ROCPRIM_400000_NS6detail17trampoline_kernelINS0_13select_configILj256ELj13ELNS0_17block_load_methodE3ELS4_3ELS4_3ELNS0_20block_scan_algorithmE0ELj4294967295EEENS1_25partition_config_selectorILNS1_17partition_subalgoE3EjNS0_10empty_typeEbEEZZNS1_14partition_implILS8_3ELb0ES6_jNS0_17counting_iteratorIjlEEPS9_SE_NS0_5tupleIJPjSE_EEENSF_IJSE_SE_EEES9_SG_JZNS1_25segmented_radix_sort_implINS0_14default_configELb1EPKhPhPKlPlN2at6native12_GLOBAL__N_18offset_tEEE10hipError_tPvRmT1_PNSt15iterator_traitsISY_E10value_typeET2_T3_PNSZ_IS14_E10value_typeET4_jRbjT5_S1A_jjP12ihipStream_tbEUljE_EEESV_SW_SX_S14_S18_S1A_T6_T7_T9_mT8_S1C_bDpT10_ENKUlT_T0_E_clISt17integral_constantIbLb0EES1P_EEDaS1K_S1L_EUlS1K_E_NS1_11comp_targetILNS1_3genE8ELNS1_11target_archE1030ELNS1_3gpuE2ELNS1_3repE0EEENS1_30default_config_static_selectorELNS0_4arch9wavefront6targetE1EEEvSY_,comdat
.Lfunc_end55:
	.size	_ZN7rocprim17ROCPRIM_400000_NS6detail17trampoline_kernelINS0_13select_configILj256ELj13ELNS0_17block_load_methodE3ELS4_3ELS4_3ELNS0_20block_scan_algorithmE0ELj4294967295EEENS1_25partition_config_selectorILNS1_17partition_subalgoE3EjNS0_10empty_typeEbEEZZNS1_14partition_implILS8_3ELb0ES6_jNS0_17counting_iteratorIjlEEPS9_SE_NS0_5tupleIJPjSE_EEENSF_IJSE_SE_EEES9_SG_JZNS1_25segmented_radix_sort_implINS0_14default_configELb1EPKhPhPKlPlN2at6native12_GLOBAL__N_18offset_tEEE10hipError_tPvRmT1_PNSt15iterator_traitsISY_E10value_typeET2_T3_PNSZ_IS14_E10value_typeET4_jRbjT5_S1A_jjP12ihipStream_tbEUljE_EEESV_SW_SX_S14_S18_S1A_T6_T7_T9_mT8_S1C_bDpT10_ENKUlT_T0_E_clISt17integral_constantIbLb0EES1P_EEDaS1K_S1L_EUlS1K_E_NS1_11comp_targetILNS1_3genE8ELNS1_11target_archE1030ELNS1_3gpuE2ELNS1_3repE0EEENS1_30default_config_static_selectorELNS0_4arch9wavefront6targetE1EEEvSY_, .Lfunc_end55-_ZN7rocprim17ROCPRIM_400000_NS6detail17trampoline_kernelINS0_13select_configILj256ELj13ELNS0_17block_load_methodE3ELS4_3ELS4_3ELNS0_20block_scan_algorithmE0ELj4294967295EEENS1_25partition_config_selectorILNS1_17partition_subalgoE3EjNS0_10empty_typeEbEEZZNS1_14partition_implILS8_3ELb0ES6_jNS0_17counting_iteratorIjlEEPS9_SE_NS0_5tupleIJPjSE_EEENSF_IJSE_SE_EEES9_SG_JZNS1_25segmented_radix_sort_implINS0_14default_configELb1EPKhPhPKlPlN2at6native12_GLOBAL__N_18offset_tEEE10hipError_tPvRmT1_PNSt15iterator_traitsISY_E10value_typeET2_T3_PNSZ_IS14_E10value_typeET4_jRbjT5_S1A_jjP12ihipStream_tbEUljE_EEESV_SW_SX_S14_S18_S1A_T6_T7_T9_mT8_S1C_bDpT10_ENKUlT_T0_E_clISt17integral_constantIbLb0EES1P_EEDaS1K_S1L_EUlS1K_E_NS1_11comp_targetILNS1_3genE8ELNS1_11target_archE1030ELNS1_3gpuE2ELNS1_3repE0EEENS1_30default_config_static_selectorELNS0_4arch9wavefront6targetE1EEEvSY_
                                        ; -- End function
	.set _ZN7rocprim17ROCPRIM_400000_NS6detail17trampoline_kernelINS0_13select_configILj256ELj13ELNS0_17block_load_methodE3ELS4_3ELS4_3ELNS0_20block_scan_algorithmE0ELj4294967295EEENS1_25partition_config_selectorILNS1_17partition_subalgoE3EjNS0_10empty_typeEbEEZZNS1_14partition_implILS8_3ELb0ES6_jNS0_17counting_iteratorIjlEEPS9_SE_NS0_5tupleIJPjSE_EEENSF_IJSE_SE_EEES9_SG_JZNS1_25segmented_radix_sort_implINS0_14default_configELb1EPKhPhPKlPlN2at6native12_GLOBAL__N_18offset_tEEE10hipError_tPvRmT1_PNSt15iterator_traitsISY_E10value_typeET2_T3_PNSZ_IS14_E10value_typeET4_jRbjT5_S1A_jjP12ihipStream_tbEUljE_EEESV_SW_SX_S14_S18_S1A_T6_T7_T9_mT8_S1C_bDpT10_ENKUlT_T0_E_clISt17integral_constantIbLb0EES1P_EEDaS1K_S1L_EUlS1K_E_NS1_11comp_targetILNS1_3genE8ELNS1_11target_archE1030ELNS1_3gpuE2ELNS1_3repE0EEENS1_30default_config_static_selectorELNS0_4arch9wavefront6targetE1EEEvSY_.num_vgpr, 0
	.set _ZN7rocprim17ROCPRIM_400000_NS6detail17trampoline_kernelINS0_13select_configILj256ELj13ELNS0_17block_load_methodE3ELS4_3ELS4_3ELNS0_20block_scan_algorithmE0ELj4294967295EEENS1_25partition_config_selectorILNS1_17partition_subalgoE3EjNS0_10empty_typeEbEEZZNS1_14partition_implILS8_3ELb0ES6_jNS0_17counting_iteratorIjlEEPS9_SE_NS0_5tupleIJPjSE_EEENSF_IJSE_SE_EEES9_SG_JZNS1_25segmented_radix_sort_implINS0_14default_configELb1EPKhPhPKlPlN2at6native12_GLOBAL__N_18offset_tEEE10hipError_tPvRmT1_PNSt15iterator_traitsISY_E10value_typeET2_T3_PNSZ_IS14_E10value_typeET4_jRbjT5_S1A_jjP12ihipStream_tbEUljE_EEESV_SW_SX_S14_S18_S1A_T6_T7_T9_mT8_S1C_bDpT10_ENKUlT_T0_E_clISt17integral_constantIbLb0EES1P_EEDaS1K_S1L_EUlS1K_E_NS1_11comp_targetILNS1_3genE8ELNS1_11target_archE1030ELNS1_3gpuE2ELNS1_3repE0EEENS1_30default_config_static_selectorELNS0_4arch9wavefront6targetE1EEEvSY_.num_agpr, 0
	.set _ZN7rocprim17ROCPRIM_400000_NS6detail17trampoline_kernelINS0_13select_configILj256ELj13ELNS0_17block_load_methodE3ELS4_3ELS4_3ELNS0_20block_scan_algorithmE0ELj4294967295EEENS1_25partition_config_selectorILNS1_17partition_subalgoE3EjNS0_10empty_typeEbEEZZNS1_14partition_implILS8_3ELb0ES6_jNS0_17counting_iteratorIjlEEPS9_SE_NS0_5tupleIJPjSE_EEENSF_IJSE_SE_EEES9_SG_JZNS1_25segmented_radix_sort_implINS0_14default_configELb1EPKhPhPKlPlN2at6native12_GLOBAL__N_18offset_tEEE10hipError_tPvRmT1_PNSt15iterator_traitsISY_E10value_typeET2_T3_PNSZ_IS14_E10value_typeET4_jRbjT5_S1A_jjP12ihipStream_tbEUljE_EEESV_SW_SX_S14_S18_S1A_T6_T7_T9_mT8_S1C_bDpT10_ENKUlT_T0_E_clISt17integral_constantIbLb0EES1P_EEDaS1K_S1L_EUlS1K_E_NS1_11comp_targetILNS1_3genE8ELNS1_11target_archE1030ELNS1_3gpuE2ELNS1_3repE0EEENS1_30default_config_static_selectorELNS0_4arch9wavefront6targetE1EEEvSY_.numbered_sgpr, 0
	.set _ZN7rocprim17ROCPRIM_400000_NS6detail17trampoline_kernelINS0_13select_configILj256ELj13ELNS0_17block_load_methodE3ELS4_3ELS4_3ELNS0_20block_scan_algorithmE0ELj4294967295EEENS1_25partition_config_selectorILNS1_17partition_subalgoE3EjNS0_10empty_typeEbEEZZNS1_14partition_implILS8_3ELb0ES6_jNS0_17counting_iteratorIjlEEPS9_SE_NS0_5tupleIJPjSE_EEENSF_IJSE_SE_EEES9_SG_JZNS1_25segmented_radix_sort_implINS0_14default_configELb1EPKhPhPKlPlN2at6native12_GLOBAL__N_18offset_tEEE10hipError_tPvRmT1_PNSt15iterator_traitsISY_E10value_typeET2_T3_PNSZ_IS14_E10value_typeET4_jRbjT5_S1A_jjP12ihipStream_tbEUljE_EEESV_SW_SX_S14_S18_S1A_T6_T7_T9_mT8_S1C_bDpT10_ENKUlT_T0_E_clISt17integral_constantIbLb0EES1P_EEDaS1K_S1L_EUlS1K_E_NS1_11comp_targetILNS1_3genE8ELNS1_11target_archE1030ELNS1_3gpuE2ELNS1_3repE0EEENS1_30default_config_static_selectorELNS0_4arch9wavefront6targetE1EEEvSY_.num_named_barrier, 0
	.set _ZN7rocprim17ROCPRIM_400000_NS6detail17trampoline_kernelINS0_13select_configILj256ELj13ELNS0_17block_load_methodE3ELS4_3ELS4_3ELNS0_20block_scan_algorithmE0ELj4294967295EEENS1_25partition_config_selectorILNS1_17partition_subalgoE3EjNS0_10empty_typeEbEEZZNS1_14partition_implILS8_3ELb0ES6_jNS0_17counting_iteratorIjlEEPS9_SE_NS0_5tupleIJPjSE_EEENSF_IJSE_SE_EEES9_SG_JZNS1_25segmented_radix_sort_implINS0_14default_configELb1EPKhPhPKlPlN2at6native12_GLOBAL__N_18offset_tEEE10hipError_tPvRmT1_PNSt15iterator_traitsISY_E10value_typeET2_T3_PNSZ_IS14_E10value_typeET4_jRbjT5_S1A_jjP12ihipStream_tbEUljE_EEESV_SW_SX_S14_S18_S1A_T6_T7_T9_mT8_S1C_bDpT10_ENKUlT_T0_E_clISt17integral_constantIbLb0EES1P_EEDaS1K_S1L_EUlS1K_E_NS1_11comp_targetILNS1_3genE8ELNS1_11target_archE1030ELNS1_3gpuE2ELNS1_3repE0EEENS1_30default_config_static_selectorELNS0_4arch9wavefront6targetE1EEEvSY_.private_seg_size, 0
	.set _ZN7rocprim17ROCPRIM_400000_NS6detail17trampoline_kernelINS0_13select_configILj256ELj13ELNS0_17block_load_methodE3ELS4_3ELS4_3ELNS0_20block_scan_algorithmE0ELj4294967295EEENS1_25partition_config_selectorILNS1_17partition_subalgoE3EjNS0_10empty_typeEbEEZZNS1_14partition_implILS8_3ELb0ES6_jNS0_17counting_iteratorIjlEEPS9_SE_NS0_5tupleIJPjSE_EEENSF_IJSE_SE_EEES9_SG_JZNS1_25segmented_radix_sort_implINS0_14default_configELb1EPKhPhPKlPlN2at6native12_GLOBAL__N_18offset_tEEE10hipError_tPvRmT1_PNSt15iterator_traitsISY_E10value_typeET2_T3_PNSZ_IS14_E10value_typeET4_jRbjT5_S1A_jjP12ihipStream_tbEUljE_EEESV_SW_SX_S14_S18_S1A_T6_T7_T9_mT8_S1C_bDpT10_ENKUlT_T0_E_clISt17integral_constantIbLb0EES1P_EEDaS1K_S1L_EUlS1K_E_NS1_11comp_targetILNS1_3genE8ELNS1_11target_archE1030ELNS1_3gpuE2ELNS1_3repE0EEENS1_30default_config_static_selectorELNS0_4arch9wavefront6targetE1EEEvSY_.uses_vcc, 0
	.set _ZN7rocprim17ROCPRIM_400000_NS6detail17trampoline_kernelINS0_13select_configILj256ELj13ELNS0_17block_load_methodE3ELS4_3ELS4_3ELNS0_20block_scan_algorithmE0ELj4294967295EEENS1_25partition_config_selectorILNS1_17partition_subalgoE3EjNS0_10empty_typeEbEEZZNS1_14partition_implILS8_3ELb0ES6_jNS0_17counting_iteratorIjlEEPS9_SE_NS0_5tupleIJPjSE_EEENSF_IJSE_SE_EEES9_SG_JZNS1_25segmented_radix_sort_implINS0_14default_configELb1EPKhPhPKlPlN2at6native12_GLOBAL__N_18offset_tEEE10hipError_tPvRmT1_PNSt15iterator_traitsISY_E10value_typeET2_T3_PNSZ_IS14_E10value_typeET4_jRbjT5_S1A_jjP12ihipStream_tbEUljE_EEESV_SW_SX_S14_S18_S1A_T6_T7_T9_mT8_S1C_bDpT10_ENKUlT_T0_E_clISt17integral_constantIbLb0EES1P_EEDaS1K_S1L_EUlS1K_E_NS1_11comp_targetILNS1_3genE8ELNS1_11target_archE1030ELNS1_3gpuE2ELNS1_3repE0EEENS1_30default_config_static_selectorELNS0_4arch9wavefront6targetE1EEEvSY_.uses_flat_scratch, 0
	.set _ZN7rocprim17ROCPRIM_400000_NS6detail17trampoline_kernelINS0_13select_configILj256ELj13ELNS0_17block_load_methodE3ELS4_3ELS4_3ELNS0_20block_scan_algorithmE0ELj4294967295EEENS1_25partition_config_selectorILNS1_17partition_subalgoE3EjNS0_10empty_typeEbEEZZNS1_14partition_implILS8_3ELb0ES6_jNS0_17counting_iteratorIjlEEPS9_SE_NS0_5tupleIJPjSE_EEENSF_IJSE_SE_EEES9_SG_JZNS1_25segmented_radix_sort_implINS0_14default_configELb1EPKhPhPKlPlN2at6native12_GLOBAL__N_18offset_tEEE10hipError_tPvRmT1_PNSt15iterator_traitsISY_E10value_typeET2_T3_PNSZ_IS14_E10value_typeET4_jRbjT5_S1A_jjP12ihipStream_tbEUljE_EEESV_SW_SX_S14_S18_S1A_T6_T7_T9_mT8_S1C_bDpT10_ENKUlT_T0_E_clISt17integral_constantIbLb0EES1P_EEDaS1K_S1L_EUlS1K_E_NS1_11comp_targetILNS1_3genE8ELNS1_11target_archE1030ELNS1_3gpuE2ELNS1_3repE0EEENS1_30default_config_static_selectorELNS0_4arch9wavefront6targetE1EEEvSY_.has_dyn_sized_stack, 0
	.set _ZN7rocprim17ROCPRIM_400000_NS6detail17trampoline_kernelINS0_13select_configILj256ELj13ELNS0_17block_load_methodE3ELS4_3ELS4_3ELNS0_20block_scan_algorithmE0ELj4294967295EEENS1_25partition_config_selectorILNS1_17partition_subalgoE3EjNS0_10empty_typeEbEEZZNS1_14partition_implILS8_3ELb0ES6_jNS0_17counting_iteratorIjlEEPS9_SE_NS0_5tupleIJPjSE_EEENSF_IJSE_SE_EEES9_SG_JZNS1_25segmented_radix_sort_implINS0_14default_configELb1EPKhPhPKlPlN2at6native12_GLOBAL__N_18offset_tEEE10hipError_tPvRmT1_PNSt15iterator_traitsISY_E10value_typeET2_T3_PNSZ_IS14_E10value_typeET4_jRbjT5_S1A_jjP12ihipStream_tbEUljE_EEESV_SW_SX_S14_S18_S1A_T6_T7_T9_mT8_S1C_bDpT10_ENKUlT_T0_E_clISt17integral_constantIbLb0EES1P_EEDaS1K_S1L_EUlS1K_E_NS1_11comp_targetILNS1_3genE8ELNS1_11target_archE1030ELNS1_3gpuE2ELNS1_3repE0EEENS1_30default_config_static_selectorELNS0_4arch9wavefront6targetE1EEEvSY_.has_recursion, 0
	.set _ZN7rocprim17ROCPRIM_400000_NS6detail17trampoline_kernelINS0_13select_configILj256ELj13ELNS0_17block_load_methodE3ELS4_3ELS4_3ELNS0_20block_scan_algorithmE0ELj4294967295EEENS1_25partition_config_selectorILNS1_17partition_subalgoE3EjNS0_10empty_typeEbEEZZNS1_14partition_implILS8_3ELb0ES6_jNS0_17counting_iteratorIjlEEPS9_SE_NS0_5tupleIJPjSE_EEENSF_IJSE_SE_EEES9_SG_JZNS1_25segmented_radix_sort_implINS0_14default_configELb1EPKhPhPKlPlN2at6native12_GLOBAL__N_18offset_tEEE10hipError_tPvRmT1_PNSt15iterator_traitsISY_E10value_typeET2_T3_PNSZ_IS14_E10value_typeET4_jRbjT5_S1A_jjP12ihipStream_tbEUljE_EEESV_SW_SX_S14_S18_S1A_T6_T7_T9_mT8_S1C_bDpT10_ENKUlT_T0_E_clISt17integral_constantIbLb0EES1P_EEDaS1K_S1L_EUlS1K_E_NS1_11comp_targetILNS1_3genE8ELNS1_11target_archE1030ELNS1_3gpuE2ELNS1_3repE0EEENS1_30default_config_static_selectorELNS0_4arch9wavefront6targetE1EEEvSY_.has_indirect_call, 0
	.section	.AMDGPU.csdata,"",@progbits
; Kernel info:
; codeLenInByte = 0
; TotalNumSgprs: 4
; NumVgprs: 0
; ScratchSize: 0
; MemoryBound: 0
; FloatMode: 240
; IeeeMode: 1
; LDSByteSize: 0 bytes/workgroup (compile time only)
; SGPRBlocks: 0
; VGPRBlocks: 0
; NumSGPRsForWavesPerEU: 4
; NumVGPRsForWavesPerEU: 1
; Occupancy: 10
; WaveLimiterHint : 0
; COMPUTE_PGM_RSRC2:SCRATCH_EN: 0
; COMPUTE_PGM_RSRC2:USER_SGPR: 6
; COMPUTE_PGM_RSRC2:TRAP_HANDLER: 0
; COMPUTE_PGM_RSRC2:TGID_X_EN: 1
; COMPUTE_PGM_RSRC2:TGID_Y_EN: 0
; COMPUTE_PGM_RSRC2:TGID_Z_EN: 0
; COMPUTE_PGM_RSRC2:TIDIG_COMP_CNT: 0
	.section	.text._ZN7rocprim17ROCPRIM_400000_NS6detail31init_lookback_scan_state_kernelINS1_19lookback_scan_stateIjLb1ELb1EEENS1_16block_id_wrapperIjLb1EEEEEvT_jT0_jPNS7_10value_typeE,"axG",@progbits,_ZN7rocprim17ROCPRIM_400000_NS6detail31init_lookback_scan_state_kernelINS1_19lookback_scan_stateIjLb1ELb1EEENS1_16block_id_wrapperIjLb1EEEEEvT_jT0_jPNS7_10value_typeE,comdat
	.protected	_ZN7rocprim17ROCPRIM_400000_NS6detail31init_lookback_scan_state_kernelINS1_19lookback_scan_stateIjLb1ELb1EEENS1_16block_id_wrapperIjLb1EEEEEvT_jT0_jPNS7_10value_typeE ; -- Begin function _ZN7rocprim17ROCPRIM_400000_NS6detail31init_lookback_scan_state_kernelINS1_19lookback_scan_stateIjLb1ELb1EEENS1_16block_id_wrapperIjLb1EEEEEvT_jT0_jPNS7_10value_typeE
	.globl	_ZN7rocprim17ROCPRIM_400000_NS6detail31init_lookback_scan_state_kernelINS1_19lookback_scan_stateIjLb1ELb1EEENS1_16block_id_wrapperIjLb1EEEEEvT_jT0_jPNS7_10value_typeE
	.p2align	8
	.type	_ZN7rocprim17ROCPRIM_400000_NS6detail31init_lookback_scan_state_kernelINS1_19lookback_scan_stateIjLb1ELb1EEENS1_16block_id_wrapperIjLb1EEEEEvT_jT0_jPNS7_10value_typeE,@function
_ZN7rocprim17ROCPRIM_400000_NS6detail31init_lookback_scan_state_kernelINS1_19lookback_scan_stateIjLb1ELb1EEENS1_16block_id_wrapperIjLb1EEEEEvT_jT0_jPNS7_10value_typeE: ; @_ZN7rocprim17ROCPRIM_400000_NS6detail31init_lookback_scan_state_kernelINS1_19lookback_scan_stateIjLb1ELb1EEENS1_16block_id_wrapperIjLb1EEEEEvT_jT0_jPNS7_10value_typeE
; %bb.0:
	s_load_dword s7, s[4:5], 0x34
	s_load_dwordx2 s[2:3], s[4:5], 0x20
	s_load_dwordx2 s[0:1], s[4:5], 0x0
	s_load_dword s10, s[4:5], 0x8
	s_waitcnt lgkmcnt(0)
	s_and_b32 s7, s7, 0xffff
	s_mul_i32 s6, s6, s7
	s_cmp_eq_u64 s[2:3], 0
	v_add_u32_e32 v0, s6, v0
	s_cbranch_scc1 .LBB56_9
; %bb.1:
	s_load_dword s8, s[4:5], 0x18
	s_mov_b32 s9, 0
	s_waitcnt lgkmcnt(0)
	s_cmp_lt_u32 s8, s10
	s_cselect_b32 s6, s8, 0
	v_cmp_eq_u32_e32 vcc, s6, v0
	s_and_saveexec_b64 s[6:7], vcc
	s_cbranch_execz .LBB56_8
; %bb.2:
	s_add_i32 s8, s8, 64
	s_lshl_b64 s[8:9], s[8:9], 3
	s_add_u32 s8, s0, s8
	s_addc_u32 s9, s1, s9
	v_mov_b32_e32 v1, 0
	global_load_dwordx2 v[3:4], v1, s[8:9] glc
	s_waitcnt vmcnt(0)
	v_and_b32_e32 v2, 0xff, v4
	v_cmp_ne_u64_e32 vcc, 0, v[1:2]
	s_cbranch_vccnz .LBB56_7
; %bb.3:
	s_mov_b32 s11, 1
.LBB56_4:                               ; =>This Loop Header: Depth=1
                                        ;     Child Loop BB56_5 Depth 2
	s_mov_b32 s12, s11
.LBB56_5:                               ;   Parent Loop BB56_4 Depth=1
                                        ; =>  This Inner Loop Header: Depth=2
	s_add_i32 s12, s12, -1
	s_cmp_eq_u32 s12, 0
	s_sleep 1
	s_cbranch_scc0 .LBB56_5
; %bb.6:                                ;   in Loop: Header=BB56_4 Depth=1
	global_load_dwordx2 v[3:4], v1, s[8:9] glc
	s_cmp_lt_u32 s11, 32
	s_cselect_b64 s[12:13], -1, 0
	s_cmp_lg_u64 s[12:13], 0
	s_addc_u32 s11, s11, 0
	s_waitcnt vmcnt(0)
	v_and_b32_e32 v2, 0xff, v4
	v_cmp_ne_u64_e32 vcc, 0, v[1:2]
	s_cbranch_vccz .LBB56_4
.LBB56_7:
	v_mov_b32_e32 v1, 0
	global_store_dword v1, v3, s[2:3]
.LBB56_8:
	s_or_b64 exec, exec, s[6:7]
.LBB56_9:
	v_cmp_eq_u32_e32 vcc, 0, v0
	s_and_saveexec_b64 s[2:3], vcc
	s_cbranch_execnz .LBB56_13
; %bb.10:
	s_or_b64 exec, exec, s[2:3]
	v_cmp_gt_u32_e32 vcc, s10, v0
	s_and_saveexec_b64 s[2:3], vcc
	s_cbranch_execnz .LBB56_14
.LBB56_11:
	s_or_b64 exec, exec, s[2:3]
	v_cmp_gt_u32_e32 vcc, 64, v0
	s_and_saveexec_b64 s[2:3], vcc
	s_cbranch_execnz .LBB56_15
.LBB56_12:
	s_endpgm
.LBB56_13:
	s_load_dwordx2 s[4:5], s[4:5], 0x10
	v_mov_b32_e32 v1, 0
	s_waitcnt lgkmcnt(0)
	global_store_dword v1, v1, s[4:5]
	s_or_b64 exec, exec, s[2:3]
	v_cmp_gt_u32_e32 vcc, s10, v0
	s_and_saveexec_b64 s[2:3], vcc
	s_cbranch_execz .LBB56_11
.LBB56_14:
	v_add_u32_e32 v1, 64, v0
	v_mov_b32_e32 v2, 0
	v_lshlrev_b64 v[3:4], 3, v[1:2]
	v_mov_b32_e32 v1, s1
	v_add_co_u32_e32 v3, vcc, s0, v3
	v_addc_co_u32_e32 v4, vcc, v1, v4, vcc
	v_mov_b32_e32 v1, v2
	global_store_dwordx2 v[3:4], v[1:2], off
	s_or_b64 exec, exec, s[2:3]
	v_cmp_gt_u32_e32 vcc, 64, v0
	s_and_saveexec_b64 s[2:3], vcc
	s_cbranch_execz .LBB56_12
.LBB56_15:
	v_mov_b32_e32 v1, 0
	v_lshlrev_b64 v[2:3], 3, v[0:1]
	v_mov_b32_e32 v0, s1
	v_add_co_u32_e32 v2, vcc, s0, v2
	v_addc_co_u32_e32 v3, vcc, v0, v3, vcc
	v_mov_b32_e32 v5, 0xff
	v_mov_b32_e32 v4, v1
	global_store_dwordx2 v[2:3], v[4:5], off
	s_endpgm
	.section	.rodata,"a",@progbits
	.p2align	6, 0x0
	.amdhsa_kernel _ZN7rocprim17ROCPRIM_400000_NS6detail31init_lookback_scan_state_kernelINS1_19lookback_scan_stateIjLb1ELb1EEENS1_16block_id_wrapperIjLb1EEEEEvT_jT0_jPNS7_10value_typeE
		.amdhsa_group_segment_fixed_size 0
		.amdhsa_private_segment_fixed_size 0
		.amdhsa_kernarg_size 296
		.amdhsa_user_sgpr_count 6
		.amdhsa_user_sgpr_private_segment_buffer 1
		.amdhsa_user_sgpr_dispatch_ptr 0
		.amdhsa_user_sgpr_queue_ptr 0
		.amdhsa_user_sgpr_kernarg_segment_ptr 1
		.amdhsa_user_sgpr_dispatch_id 0
		.amdhsa_user_sgpr_flat_scratch_init 0
		.amdhsa_user_sgpr_private_segment_size 0
		.amdhsa_uses_dynamic_stack 0
		.amdhsa_system_sgpr_private_segment_wavefront_offset 0
		.amdhsa_system_sgpr_workgroup_id_x 1
		.amdhsa_system_sgpr_workgroup_id_y 0
		.amdhsa_system_sgpr_workgroup_id_z 0
		.amdhsa_system_sgpr_workgroup_info 0
		.amdhsa_system_vgpr_workitem_id 0
		.amdhsa_next_free_vgpr 6
		.amdhsa_next_free_sgpr 14
		.amdhsa_reserve_vcc 1
		.amdhsa_reserve_flat_scratch 0
		.amdhsa_float_round_mode_32 0
		.amdhsa_float_round_mode_16_64 0
		.amdhsa_float_denorm_mode_32 3
		.amdhsa_float_denorm_mode_16_64 3
		.amdhsa_dx10_clamp 1
		.amdhsa_ieee_mode 1
		.amdhsa_fp16_overflow 0
		.amdhsa_exception_fp_ieee_invalid_op 0
		.amdhsa_exception_fp_denorm_src 0
		.amdhsa_exception_fp_ieee_div_zero 0
		.amdhsa_exception_fp_ieee_overflow 0
		.amdhsa_exception_fp_ieee_underflow 0
		.amdhsa_exception_fp_ieee_inexact 0
		.amdhsa_exception_int_div_zero 0
	.end_amdhsa_kernel
	.section	.text._ZN7rocprim17ROCPRIM_400000_NS6detail31init_lookback_scan_state_kernelINS1_19lookback_scan_stateIjLb1ELb1EEENS1_16block_id_wrapperIjLb1EEEEEvT_jT0_jPNS7_10value_typeE,"axG",@progbits,_ZN7rocprim17ROCPRIM_400000_NS6detail31init_lookback_scan_state_kernelINS1_19lookback_scan_stateIjLb1ELb1EEENS1_16block_id_wrapperIjLb1EEEEEvT_jT0_jPNS7_10value_typeE,comdat
.Lfunc_end56:
	.size	_ZN7rocprim17ROCPRIM_400000_NS6detail31init_lookback_scan_state_kernelINS1_19lookback_scan_stateIjLb1ELb1EEENS1_16block_id_wrapperIjLb1EEEEEvT_jT0_jPNS7_10value_typeE, .Lfunc_end56-_ZN7rocprim17ROCPRIM_400000_NS6detail31init_lookback_scan_state_kernelINS1_19lookback_scan_stateIjLb1ELb1EEENS1_16block_id_wrapperIjLb1EEEEEvT_jT0_jPNS7_10value_typeE
                                        ; -- End function
	.set _ZN7rocprim17ROCPRIM_400000_NS6detail31init_lookback_scan_state_kernelINS1_19lookback_scan_stateIjLb1ELb1EEENS1_16block_id_wrapperIjLb1EEEEEvT_jT0_jPNS7_10value_typeE.num_vgpr, 6
	.set _ZN7rocprim17ROCPRIM_400000_NS6detail31init_lookback_scan_state_kernelINS1_19lookback_scan_stateIjLb1ELb1EEENS1_16block_id_wrapperIjLb1EEEEEvT_jT0_jPNS7_10value_typeE.num_agpr, 0
	.set _ZN7rocprim17ROCPRIM_400000_NS6detail31init_lookback_scan_state_kernelINS1_19lookback_scan_stateIjLb1ELb1EEENS1_16block_id_wrapperIjLb1EEEEEvT_jT0_jPNS7_10value_typeE.numbered_sgpr, 14
	.set _ZN7rocprim17ROCPRIM_400000_NS6detail31init_lookback_scan_state_kernelINS1_19lookback_scan_stateIjLb1ELb1EEENS1_16block_id_wrapperIjLb1EEEEEvT_jT0_jPNS7_10value_typeE.num_named_barrier, 0
	.set _ZN7rocprim17ROCPRIM_400000_NS6detail31init_lookback_scan_state_kernelINS1_19lookback_scan_stateIjLb1ELb1EEENS1_16block_id_wrapperIjLb1EEEEEvT_jT0_jPNS7_10value_typeE.private_seg_size, 0
	.set _ZN7rocprim17ROCPRIM_400000_NS6detail31init_lookback_scan_state_kernelINS1_19lookback_scan_stateIjLb1ELb1EEENS1_16block_id_wrapperIjLb1EEEEEvT_jT0_jPNS7_10value_typeE.uses_vcc, 1
	.set _ZN7rocprim17ROCPRIM_400000_NS6detail31init_lookback_scan_state_kernelINS1_19lookback_scan_stateIjLb1ELb1EEENS1_16block_id_wrapperIjLb1EEEEEvT_jT0_jPNS7_10value_typeE.uses_flat_scratch, 0
	.set _ZN7rocprim17ROCPRIM_400000_NS6detail31init_lookback_scan_state_kernelINS1_19lookback_scan_stateIjLb1ELb1EEENS1_16block_id_wrapperIjLb1EEEEEvT_jT0_jPNS7_10value_typeE.has_dyn_sized_stack, 0
	.set _ZN7rocprim17ROCPRIM_400000_NS6detail31init_lookback_scan_state_kernelINS1_19lookback_scan_stateIjLb1ELb1EEENS1_16block_id_wrapperIjLb1EEEEEvT_jT0_jPNS7_10value_typeE.has_recursion, 0
	.set _ZN7rocprim17ROCPRIM_400000_NS6detail31init_lookback_scan_state_kernelINS1_19lookback_scan_stateIjLb1ELb1EEENS1_16block_id_wrapperIjLb1EEEEEvT_jT0_jPNS7_10value_typeE.has_indirect_call, 0
	.section	.AMDGPU.csdata,"",@progbits
; Kernel info:
; codeLenInByte = 420
; TotalNumSgprs: 18
; NumVgprs: 6
; ScratchSize: 0
; MemoryBound: 0
; FloatMode: 240
; IeeeMode: 1
; LDSByteSize: 0 bytes/workgroup (compile time only)
; SGPRBlocks: 2
; VGPRBlocks: 1
; NumSGPRsForWavesPerEU: 18
; NumVGPRsForWavesPerEU: 6
; Occupancy: 10
; WaveLimiterHint : 0
; COMPUTE_PGM_RSRC2:SCRATCH_EN: 0
; COMPUTE_PGM_RSRC2:USER_SGPR: 6
; COMPUTE_PGM_RSRC2:TRAP_HANDLER: 0
; COMPUTE_PGM_RSRC2:TGID_X_EN: 1
; COMPUTE_PGM_RSRC2:TGID_Y_EN: 0
; COMPUTE_PGM_RSRC2:TGID_Z_EN: 0
; COMPUTE_PGM_RSRC2:TIDIG_COMP_CNT: 0
	.section	.text._ZN7rocprim17ROCPRIM_400000_NS6detail17trampoline_kernelINS0_13select_configILj256ELj13ELNS0_17block_load_methodE3ELS4_3ELS4_3ELNS0_20block_scan_algorithmE0ELj4294967295EEENS1_25partition_config_selectorILNS1_17partition_subalgoE3EjNS0_10empty_typeEbEEZZNS1_14partition_implILS8_3ELb0ES6_jNS0_17counting_iteratorIjlEEPS9_SE_NS0_5tupleIJPjSE_EEENSF_IJSE_SE_EEES9_SG_JZNS1_25segmented_radix_sort_implINS0_14default_configELb1EPKhPhPKlPlN2at6native12_GLOBAL__N_18offset_tEEE10hipError_tPvRmT1_PNSt15iterator_traitsISY_E10value_typeET2_T3_PNSZ_IS14_E10value_typeET4_jRbjT5_S1A_jjP12ihipStream_tbEUljE_EEESV_SW_SX_S14_S18_S1A_T6_T7_T9_mT8_S1C_bDpT10_ENKUlT_T0_E_clISt17integral_constantIbLb1EES1P_EEDaS1K_S1L_EUlS1K_E_NS1_11comp_targetILNS1_3genE0ELNS1_11target_archE4294967295ELNS1_3gpuE0ELNS1_3repE0EEENS1_30default_config_static_selectorELNS0_4arch9wavefront6targetE1EEEvSY_,"axG",@progbits,_ZN7rocprim17ROCPRIM_400000_NS6detail17trampoline_kernelINS0_13select_configILj256ELj13ELNS0_17block_load_methodE3ELS4_3ELS4_3ELNS0_20block_scan_algorithmE0ELj4294967295EEENS1_25partition_config_selectorILNS1_17partition_subalgoE3EjNS0_10empty_typeEbEEZZNS1_14partition_implILS8_3ELb0ES6_jNS0_17counting_iteratorIjlEEPS9_SE_NS0_5tupleIJPjSE_EEENSF_IJSE_SE_EEES9_SG_JZNS1_25segmented_radix_sort_implINS0_14default_configELb1EPKhPhPKlPlN2at6native12_GLOBAL__N_18offset_tEEE10hipError_tPvRmT1_PNSt15iterator_traitsISY_E10value_typeET2_T3_PNSZ_IS14_E10value_typeET4_jRbjT5_S1A_jjP12ihipStream_tbEUljE_EEESV_SW_SX_S14_S18_S1A_T6_T7_T9_mT8_S1C_bDpT10_ENKUlT_T0_E_clISt17integral_constantIbLb1EES1P_EEDaS1K_S1L_EUlS1K_E_NS1_11comp_targetILNS1_3genE0ELNS1_11target_archE4294967295ELNS1_3gpuE0ELNS1_3repE0EEENS1_30default_config_static_selectorELNS0_4arch9wavefront6targetE1EEEvSY_,comdat
	.globl	_ZN7rocprim17ROCPRIM_400000_NS6detail17trampoline_kernelINS0_13select_configILj256ELj13ELNS0_17block_load_methodE3ELS4_3ELS4_3ELNS0_20block_scan_algorithmE0ELj4294967295EEENS1_25partition_config_selectorILNS1_17partition_subalgoE3EjNS0_10empty_typeEbEEZZNS1_14partition_implILS8_3ELb0ES6_jNS0_17counting_iteratorIjlEEPS9_SE_NS0_5tupleIJPjSE_EEENSF_IJSE_SE_EEES9_SG_JZNS1_25segmented_radix_sort_implINS0_14default_configELb1EPKhPhPKlPlN2at6native12_GLOBAL__N_18offset_tEEE10hipError_tPvRmT1_PNSt15iterator_traitsISY_E10value_typeET2_T3_PNSZ_IS14_E10value_typeET4_jRbjT5_S1A_jjP12ihipStream_tbEUljE_EEESV_SW_SX_S14_S18_S1A_T6_T7_T9_mT8_S1C_bDpT10_ENKUlT_T0_E_clISt17integral_constantIbLb1EES1P_EEDaS1K_S1L_EUlS1K_E_NS1_11comp_targetILNS1_3genE0ELNS1_11target_archE4294967295ELNS1_3gpuE0ELNS1_3repE0EEENS1_30default_config_static_selectorELNS0_4arch9wavefront6targetE1EEEvSY_ ; -- Begin function _ZN7rocprim17ROCPRIM_400000_NS6detail17trampoline_kernelINS0_13select_configILj256ELj13ELNS0_17block_load_methodE3ELS4_3ELS4_3ELNS0_20block_scan_algorithmE0ELj4294967295EEENS1_25partition_config_selectorILNS1_17partition_subalgoE3EjNS0_10empty_typeEbEEZZNS1_14partition_implILS8_3ELb0ES6_jNS0_17counting_iteratorIjlEEPS9_SE_NS0_5tupleIJPjSE_EEENSF_IJSE_SE_EEES9_SG_JZNS1_25segmented_radix_sort_implINS0_14default_configELb1EPKhPhPKlPlN2at6native12_GLOBAL__N_18offset_tEEE10hipError_tPvRmT1_PNSt15iterator_traitsISY_E10value_typeET2_T3_PNSZ_IS14_E10value_typeET4_jRbjT5_S1A_jjP12ihipStream_tbEUljE_EEESV_SW_SX_S14_S18_S1A_T6_T7_T9_mT8_S1C_bDpT10_ENKUlT_T0_E_clISt17integral_constantIbLb1EES1P_EEDaS1K_S1L_EUlS1K_E_NS1_11comp_targetILNS1_3genE0ELNS1_11target_archE4294967295ELNS1_3gpuE0ELNS1_3repE0EEENS1_30default_config_static_selectorELNS0_4arch9wavefront6targetE1EEEvSY_
	.p2align	8
	.type	_ZN7rocprim17ROCPRIM_400000_NS6detail17trampoline_kernelINS0_13select_configILj256ELj13ELNS0_17block_load_methodE3ELS4_3ELS4_3ELNS0_20block_scan_algorithmE0ELj4294967295EEENS1_25partition_config_selectorILNS1_17partition_subalgoE3EjNS0_10empty_typeEbEEZZNS1_14partition_implILS8_3ELb0ES6_jNS0_17counting_iteratorIjlEEPS9_SE_NS0_5tupleIJPjSE_EEENSF_IJSE_SE_EEES9_SG_JZNS1_25segmented_radix_sort_implINS0_14default_configELb1EPKhPhPKlPlN2at6native12_GLOBAL__N_18offset_tEEE10hipError_tPvRmT1_PNSt15iterator_traitsISY_E10value_typeET2_T3_PNSZ_IS14_E10value_typeET4_jRbjT5_S1A_jjP12ihipStream_tbEUljE_EEESV_SW_SX_S14_S18_S1A_T6_T7_T9_mT8_S1C_bDpT10_ENKUlT_T0_E_clISt17integral_constantIbLb1EES1P_EEDaS1K_S1L_EUlS1K_E_NS1_11comp_targetILNS1_3genE0ELNS1_11target_archE4294967295ELNS1_3gpuE0ELNS1_3repE0EEENS1_30default_config_static_selectorELNS0_4arch9wavefront6targetE1EEEvSY_,@function
_ZN7rocprim17ROCPRIM_400000_NS6detail17trampoline_kernelINS0_13select_configILj256ELj13ELNS0_17block_load_methodE3ELS4_3ELS4_3ELNS0_20block_scan_algorithmE0ELj4294967295EEENS1_25partition_config_selectorILNS1_17partition_subalgoE3EjNS0_10empty_typeEbEEZZNS1_14partition_implILS8_3ELb0ES6_jNS0_17counting_iteratorIjlEEPS9_SE_NS0_5tupleIJPjSE_EEENSF_IJSE_SE_EEES9_SG_JZNS1_25segmented_radix_sort_implINS0_14default_configELb1EPKhPhPKlPlN2at6native12_GLOBAL__N_18offset_tEEE10hipError_tPvRmT1_PNSt15iterator_traitsISY_E10value_typeET2_T3_PNSZ_IS14_E10value_typeET4_jRbjT5_S1A_jjP12ihipStream_tbEUljE_EEESV_SW_SX_S14_S18_S1A_T6_T7_T9_mT8_S1C_bDpT10_ENKUlT_T0_E_clISt17integral_constantIbLb1EES1P_EEDaS1K_S1L_EUlS1K_E_NS1_11comp_targetILNS1_3genE0ELNS1_11target_archE4294967295ELNS1_3gpuE0ELNS1_3repE0EEENS1_30default_config_static_selectorELNS0_4arch9wavefront6targetE1EEEvSY_: ; @_ZN7rocprim17ROCPRIM_400000_NS6detail17trampoline_kernelINS0_13select_configILj256ELj13ELNS0_17block_load_methodE3ELS4_3ELS4_3ELNS0_20block_scan_algorithmE0ELj4294967295EEENS1_25partition_config_selectorILNS1_17partition_subalgoE3EjNS0_10empty_typeEbEEZZNS1_14partition_implILS8_3ELb0ES6_jNS0_17counting_iteratorIjlEEPS9_SE_NS0_5tupleIJPjSE_EEENSF_IJSE_SE_EEES9_SG_JZNS1_25segmented_radix_sort_implINS0_14default_configELb1EPKhPhPKlPlN2at6native12_GLOBAL__N_18offset_tEEE10hipError_tPvRmT1_PNSt15iterator_traitsISY_E10value_typeET2_T3_PNSZ_IS14_E10value_typeET4_jRbjT5_S1A_jjP12ihipStream_tbEUljE_EEESV_SW_SX_S14_S18_S1A_T6_T7_T9_mT8_S1C_bDpT10_ENKUlT_T0_E_clISt17integral_constantIbLb1EES1P_EEDaS1K_S1L_EUlS1K_E_NS1_11comp_targetILNS1_3genE0ELNS1_11target_archE4294967295ELNS1_3gpuE0ELNS1_3repE0EEENS1_30default_config_static_selectorELNS0_4arch9wavefront6targetE1EEEvSY_
; %bb.0:
	.section	.rodata,"a",@progbits
	.p2align	6, 0x0
	.amdhsa_kernel _ZN7rocprim17ROCPRIM_400000_NS6detail17trampoline_kernelINS0_13select_configILj256ELj13ELNS0_17block_load_methodE3ELS4_3ELS4_3ELNS0_20block_scan_algorithmE0ELj4294967295EEENS1_25partition_config_selectorILNS1_17partition_subalgoE3EjNS0_10empty_typeEbEEZZNS1_14partition_implILS8_3ELb0ES6_jNS0_17counting_iteratorIjlEEPS9_SE_NS0_5tupleIJPjSE_EEENSF_IJSE_SE_EEES9_SG_JZNS1_25segmented_radix_sort_implINS0_14default_configELb1EPKhPhPKlPlN2at6native12_GLOBAL__N_18offset_tEEE10hipError_tPvRmT1_PNSt15iterator_traitsISY_E10value_typeET2_T3_PNSZ_IS14_E10value_typeET4_jRbjT5_S1A_jjP12ihipStream_tbEUljE_EEESV_SW_SX_S14_S18_S1A_T6_T7_T9_mT8_S1C_bDpT10_ENKUlT_T0_E_clISt17integral_constantIbLb1EES1P_EEDaS1K_S1L_EUlS1K_E_NS1_11comp_targetILNS1_3genE0ELNS1_11target_archE4294967295ELNS1_3gpuE0ELNS1_3repE0EEENS1_30default_config_static_selectorELNS0_4arch9wavefront6targetE1EEEvSY_
		.amdhsa_group_segment_fixed_size 0
		.amdhsa_private_segment_fixed_size 0
		.amdhsa_kernarg_size 152
		.amdhsa_user_sgpr_count 6
		.amdhsa_user_sgpr_private_segment_buffer 1
		.amdhsa_user_sgpr_dispatch_ptr 0
		.amdhsa_user_sgpr_queue_ptr 0
		.amdhsa_user_sgpr_kernarg_segment_ptr 1
		.amdhsa_user_sgpr_dispatch_id 0
		.amdhsa_user_sgpr_flat_scratch_init 0
		.amdhsa_user_sgpr_private_segment_size 0
		.amdhsa_uses_dynamic_stack 0
		.amdhsa_system_sgpr_private_segment_wavefront_offset 0
		.amdhsa_system_sgpr_workgroup_id_x 1
		.amdhsa_system_sgpr_workgroup_id_y 0
		.amdhsa_system_sgpr_workgroup_id_z 0
		.amdhsa_system_sgpr_workgroup_info 0
		.amdhsa_system_vgpr_workitem_id 0
		.amdhsa_next_free_vgpr 1
		.amdhsa_next_free_sgpr 0
		.amdhsa_reserve_vcc 0
		.amdhsa_reserve_flat_scratch 0
		.amdhsa_float_round_mode_32 0
		.amdhsa_float_round_mode_16_64 0
		.amdhsa_float_denorm_mode_32 3
		.amdhsa_float_denorm_mode_16_64 3
		.amdhsa_dx10_clamp 1
		.amdhsa_ieee_mode 1
		.amdhsa_fp16_overflow 0
		.amdhsa_exception_fp_ieee_invalid_op 0
		.amdhsa_exception_fp_denorm_src 0
		.amdhsa_exception_fp_ieee_div_zero 0
		.amdhsa_exception_fp_ieee_overflow 0
		.amdhsa_exception_fp_ieee_underflow 0
		.amdhsa_exception_fp_ieee_inexact 0
		.amdhsa_exception_int_div_zero 0
	.end_amdhsa_kernel
	.section	.text._ZN7rocprim17ROCPRIM_400000_NS6detail17trampoline_kernelINS0_13select_configILj256ELj13ELNS0_17block_load_methodE3ELS4_3ELS4_3ELNS0_20block_scan_algorithmE0ELj4294967295EEENS1_25partition_config_selectorILNS1_17partition_subalgoE3EjNS0_10empty_typeEbEEZZNS1_14partition_implILS8_3ELb0ES6_jNS0_17counting_iteratorIjlEEPS9_SE_NS0_5tupleIJPjSE_EEENSF_IJSE_SE_EEES9_SG_JZNS1_25segmented_radix_sort_implINS0_14default_configELb1EPKhPhPKlPlN2at6native12_GLOBAL__N_18offset_tEEE10hipError_tPvRmT1_PNSt15iterator_traitsISY_E10value_typeET2_T3_PNSZ_IS14_E10value_typeET4_jRbjT5_S1A_jjP12ihipStream_tbEUljE_EEESV_SW_SX_S14_S18_S1A_T6_T7_T9_mT8_S1C_bDpT10_ENKUlT_T0_E_clISt17integral_constantIbLb1EES1P_EEDaS1K_S1L_EUlS1K_E_NS1_11comp_targetILNS1_3genE0ELNS1_11target_archE4294967295ELNS1_3gpuE0ELNS1_3repE0EEENS1_30default_config_static_selectorELNS0_4arch9wavefront6targetE1EEEvSY_,"axG",@progbits,_ZN7rocprim17ROCPRIM_400000_NS6detail17trampoline_kernelINS0_13select_configILj256ELj13ELNS0_17block_load_methodE3ELS4_3ELS4_3ELNS0_20block_scan_algorithmE0ELj4294967295EEENS1_25partition_config_selectorILNS1_17partition_subalgoE3EjNS0_10empty_typeEbEEZZNS1_14partition_implILS8_3ELb0ES6_jNS0_17counting_iteratorIjlEEPS9_SE_NS0_5tupleIJPjSE_EEENSF_IJSE_SE_EEES9_SG_JZNS1_25segmented_radix_sort_implINS0_14default_configELb1EPKhPhPKlPlN2at6native12_GLOBAL__N_18offset_tEEE10hipError_tPvRmT1_PNSt15iterator_traitsISY_E10value_typeET2_T3_PNSZ_IS14_E10value_typeET4_jRbjT5_S1A_jjP12ihipStream_tbEUljE_EEESV_SW_SX_S14_S18_S1A_T6_T7_T9_mT8_S1C_bDpT10_ENKUlT_T0_E_clISt17integral_constantIbLb1EES1P_EEDaS1K_S1L_EUlS1K_E_NS1_11comp_targetILNS1_3genE0ELNS1_11target_archE4294967295ELNS1_3gpuE0ELNS1_3repE0EEENS1_30default_config_static_selectorELNS0_4arch9wavefront6targetE1EEEvSY_,comdat
.Lfunc_end57:
	.size	_ZN7rocprim17ROCPRIM_400000_NS6detail17trampoline_kernelINS0_13select_configILj256ELj13ELNS0_17block_load_methodE3ELS4_3ELS4_3ELNS0_20block_scan_algorithmE0ELj4294967295EEENS1_25partition_config_selectorILNS1_17partition_subalgoE3EjNS0_10empty_typeEbEEZZNS1_14partition_implILS8_3ELb0ES6_jNS0_17counting_iteratorIjlEEPS9_SE_NS0_5tupleIJPjSE_EEENSF_IJSE_SE_EEES9_SG_JZNS1_25segmented_radix_sort_implINS0_14default_configELb1EPKhPhPKlPlN2at6native12_GLOBAL__N_18offset_tEEE10hipError_tPvRmT1_PNSt15iterator_traitsISY_E10value_typeET2_T3_PNSZ_IS14_E10value_typeET4_jRbjT5_S1A_jjP12ihipStream_tbEUljE_EEESV_SW_SX_S14_S18_S1A_T6_T7_T9_mT8_S1C_bDpT10_ENKUlT_T0_E_clISt17integral_constantIbLb1EES1P_EEDaS1K_S1L_EUlS1K_E_NS1_11comp_targetILNS1_3genE0ELNS1_11target_archE4294967295ELNS1_3gpuE0ELNS1_3repE0EEENS1_30default_config_static_selectorELNS0_4arch9wavefront6targetE1EEEvSY_, .Lfunc_end57-_ZN7rocprim17ROCPRIM_400000_NS6detail17trampoline_kernelINS0_13select_configILj256ELj13ELNS0_17block_load_methodE3ELS4_3ELS4_3ELNS0_20block_scan_algorithmE0ELj4294967295EEENS1_25partition_config_selectorILNS1_17partition_subalgoE3EjNS0_10empty_typeEbEEZZNS1_14partition_implILS8_3ELb0ES6_jNS0_17counting_iteratorIjlEEPS9_SE_NS0_5tupleIJPjSE_EEENSF_IJSE_SE_EEES9_SG_JZNS1_25segmented_radix_sort_implINS0_14default_configELb1EPKhPhPKlPlN2at6native12_GLOBAL__N_18offset_tEEE10hipError_tPvRmT1_PNSt15iterator_traitsISY_E10value_typeET2_T3_PNSZ_IS14_E10value_typeET4_jRbjT5_S1A_jjP12ihipStream_tbEUljE_EEESV_SW_SX_S14_S18_S1A_T6_T7_T9_mT8_S1C_bDpT10_ENKUlT_T0_E_clISt17integral_constantIbLb1EES1P_EEDaS1K_S1L_EUlS1K_E_NS1_11comp_targetILNS1_3genE0ELNS1_11target_archE4294967295ELNS1_3gpuE0ELNS1_3repE0EEENS1_30default_config_static_selectorELNS0_4arch9wavefront6targetE1EEEvSY_
                                        ; -- End function
	.set _ZN7rocprim17ROCPRIM_400000_NS6detail17trampoline_kernelINS0_13select_configILj256ELj13ELNS0_17block_load_methodE3ELS4_3ELS4_3ELNS0_20block_scan_algorithmE0ELj4294967295EEENS1_25partition_config_selectorILNS1_17partition_subalgoE3EjNS0_10empty_typeEbEEZZNS1_14partition_implILS8_3ELb0ES6_jNS0_17counting_iteratorIjlEEPS9_SE_NS0_5tupleIJPjSE_EEENSF_IJSE_SE_EEES9_SG_JZNS1_25segmented_radix_sort_implINS0_14default_configELb1EPKhPhPKlPlN2at6native12_GLOBAL__N_18offset_tEEE10hipError_tPvRmT1_PNSt15iterator_traitsISY_E10value_typeET2_T3_PNSZ_IS14_E10value_typeET4_jRbjT5_S1A_jjP12ihipStream_tbEUljE_EEESV_SW_SX_S14_S18_S1A_T6_T7_T9_mT8_S1C_bDpT10_ENKUlT_T0_E_clISt17integral_constantIbLb1EES1P_EEDaS1K_S1L_EUlS1K_E_NS1_11comp_targetILNS1_3genE0ELNS1_11target_archE4294967295ELNS1_3gpuE0ELNS1_3repE0EEENS1_30default_config_static_selectorELNS0_4arch9wavefront6targetE1EEEvSY_.num_vgpr, 0
	.set _ZN7rocprim17ROCPRIM_400000_NS6detail17trampoline_kernelINS0_13select_configILj256ELj13ELNS0_17block_load_methodE3ELS4_3ELS4_3ELNS0_20block_scan_algorithmE0ELj4294967295EEENS1_25partition_config_selectorILNS1_17partition_subalgoE3EjNS0_10empty_typeEbEEZZNS1_14partition_implILS8_3ELb0ES6_jNS0_17counting_iteratorIjlEEPS9_SE_NS0_5tupleIJPjSE_EEENSF_IJSE_SE_EEES9_SG_JZNS1_25segmented_radix_sort_implINS0_14default_configELb1EPKhPhPKlPlN2at6native12_GLOBAL__N_18offset_tEEE10hipError_tPvRmT1_PNSt15iterator_traitsISY_E10value_typeET2_T3_PNSZ_IS14_E10value_typeET4_jRbjT5_S1A_jjP12ihipStream_tbEUljE_EEESV_SW_SX_S14_S18_S1A_T6_T7_T9_mT8_S1C_bDpT10_ENKUlT_T0_E_clISt17integral_constantIbLb1EES1P_EEDaS1K_S1L_EUlS1K_E_NS1_11comp_targetILNS1_3genE0ELNS1_11target_archE4294967295ELNS1_3gpuE0ELNS1_3repE0EEENS1_30default_config_static_selectorELNS0_4arch9wavefront6targetE1EEEvSY_.num_agpr, 0
	.set _ZN7rocprim17ROCPRIM_400000_NS6detail17trampoline_kernelINS0_13select_configILj256ELj13ELNS0_17block_load_methodE3ELS4_3ELS4_3ELNS0_20block_scan_algorithmE0ELj4294967295EEENS1_25partition_config_selectorILNS1_17partition_subalgoE3EjNS0_10empty_typeEbEEZZNS1_14partition_implILS8_3ELb0ES6_jNS0_17counting_iteratorIjlEEPS9_SE_NS0_5tupleIJPjSE_EEENSF_IJSE_SE_EEES9_SG_JZNS1_25segmented_radix_sort_implINS0_14default_configELb1EPKhPhPKlPlN2at6native12_GLOBAL__N_18offset_tEEE10hipError_tPvRmT1_PNSt15iterator_traitsISY_E10value_typeET2_T3_PNSZ_IS14_E10value_typeET4_jRbjT5_S1A_jjP12ihipStream_tbEUljE_EEESV_SW_SX_S14_S18_S1A_T6_T7_T9_mT8_S1C_bDpT10_ENKUlT_T0_E_clISt17integral_constantIbLb1EES1P_EEDaS1K_S1L_EUlS1K_E_NS1_11comp_targetILNS1_3genE0ELNS1_11target_archE4294967295ELNS1_3gpuE0ELNS1_3repE0EEENS1_30default_config_static_selectorELNS0_4arch9wavefront6targetE1EEEvSY_.numbered_sgpr, 0
	.set _ZN7rocprim17ROCPRIM_400000_NS6detail17trampoline_kernelINS0_13select_configILj256ELj13ELNS0_17block_load_methodE3ELS4_3ELS4_3ELNS0_20block_scan_algorithmE0ELj4294967295EEENS1_25partition_config_selectorILNS1_17partition_subalgoE3EjNS0_10empty_typeEbEEZZNS1_14partition_implILS8_3ELb0ES6_jNS0_17counting_iteratorIjlEEPS9_SE_NS0_5tupleIJPjSE_EEENSF_IJSE_SE_EEES9_SG_JZNS1_25segmented_radix_sort_implINS0_14default_configELb1EPKhPhPKlPlN2at6native12_GLOBAL__N_18offset_tEEE10hipError_tPvRmT1_PNSt15iterator_traitsISY_E10value_typeET2_T3_PNSZ_IS14_E10value_typeET4_jRbjT5_S1A_jjP12ihipStream_tbEUljE_EEESV_SW_SX_S14_S18_S1A_T6_T7_T9_mT8_S1C_bDpT10_ENKUlT_T0_E_clISt17integral_constantIbLb1EES1P_EEDaS1K_S1L_EUlS1K_E_NS1_11comp_targetILNS1_3genE0ELNS1_11target_archE4294967295ELNS1_3gpuE0ELNS1_3repE0EEENS1_30default_config_static_selectorELNS0_4arch9wavefront6targetE1EEEvSY_.num_named_barrier, 0
	.set _ZN7rocprim17ROCPRIM_400000_NS6detail17trampoline_kernelINS0_13select_configILj256ELj13ELNS0_17block_load_methodE3ELS4_3ELS4_3ELNS0_20block_scan_algorithmE0ELj4294967295EEENS1_25partition_config_selectorILNS1_17partition_subalgoE3EjNS0_10empty_typeEbEEZZNS1_14partition_implILS8_3ELb0ES6_jNS0_17counting_iteratorIjlEEPS9_SE_NS0_5tupleIJPjSE_EEENSF_IJSE_SE_EEES9_SG_JZNS1_25segmented_radix_sort_implINS0_14default_configELb1EPKhPhPKlPlN2at6native12_GLOBAL__N_18offset_tEEE10hipError_tPvRmT1_PNSt15iterator_traitsISY_E10value_typeET2_T3_PNSZ_IS14_E10value_typeET4_jRbjT5_S1A_jjP12ihipStream_tbEUljE_EEESV_SW_SX_S14_S18_S1A_T6_T7_T9_mT8_S1C_bDpT10_ENKUlT_T0_E_clISt17integral_constantIbLb1EES1P_EEDaS1K_S1L_EUlS1K_E_NS1_11comp_targetILNS1_3genE0ELNS1_11target_archE4294967295ELNS1_3gpuE0ELNS1_3repE0EEENS1_30default_config_static_selectorELNS0_4arch9wavefront6targetE1EEEvSY_.private_seg_size, 0
	.set _ZN7rocprim17ROCPRIM_400000_NS6detail17trampoline_kernelINS0_13select_configILj256ELj13ELNS0_17block_load_methodE3ELS4_3ELS4_3ELNS0_20block_scan_algorithmE0ELj4294967295EEENS1_25partition_config_selectorILNS1_17partition_subalgoE3EjNS0_10empty_typeEbEEZZNS1_14partition_implILS8_3ELb0ES6_jNS0_17counting_iteratorIjlEEPS9_SE_NS0_5tupleIJPjSE_EEENSF_IJSE_SE_EEES9_SG_JZNS1_25segmented_radix_sort_implINS0_14default_configELb1EPKhPhPKlPlN2at6native12_GLOBAL__N_18offset_tEEE10hipError_tPvRmT1_PNSt15iterator_traitsISY_E10value_typeET2_T3_PNSZ_IS14_E10value_typeET4_jRbjT5_S1A_jjP12ihipStream_tbEUljE_EEESV_SW_SX_S14_S18_S1A_T6_T7_T9_mT8_S1C_bDpT10_ENKUlT_T0_E_clISt17integral_constantIbLb1EES1P_EEDaS1K_S1L_EUlS1K_E_NS1_11comp_targetILNS1_3genE0ELNS1_11target_archE4294967295ELNS1_3gpuE0ELNS1_3repE0EEENS1_30default_config_static_selectorELNS0_4arch9wavefront6targetE1EEEvSY_.uses_vcc, 0
	.set _ZN7rocprim17ROCPRIM_400000_NS6detail17trampoline_kernelINS0_13select_configILj256ELj13ELNS0_17block_load_methodE3ELS4_3ELS4_3ELNS0_20block_scan_algorithmE0ELj4294967295EEENS1_25partition_config_selectorILNS1_17partition_subalgoE3EjNS0_10empty_typeEbEEZZNS1_14partition_implILS8_3ELb0ES6_jNS0_17counting_iteratorIjlEEPS9_SE_NS0_5tupleIJPjSE_EEENSF_IJSE_SE_EEES9_SG_JZNS1_25segmented_radix_sort_implINS0_14default_configELb1EPKhPhPKlPlN2at6native12_GLOBAL__N_18offset_tEEE10hipError_tPvRmT1_PNSt15iterator_traitsISY_E10value_typeET2_T3_PNSZ_IS14_E10value_typeET4_jRbjT5_S1A_jjP12ihipStream_tbEUljE_EEESV_SW_SX_S14_S18_S1A_T6_T7_T9_mT8_S1C_bDpT10_ENKUlT_T0_E_clISt17integral_constantIbLb1EES1P_EEDaS1K_S1L_EUlS1K_E_NS1_11comp_targetILNS1_3genE0ELNS1_11target_archE4294967295ELNS1_3gpuE0ELNS1_3repE0EEENS1_30default_config_static_selectorELNS0_4arch9wavefront6targetE1EEEvSY_.uses_flat_scratch, 0
	.set _ZN7rocprim17ROCPRIM_400000_NS6detail17trampoline_kernelINS0_13select_configILj256ELj13ELNS0_17block_load_methodE3ELS4_3ELS4_3ELNS0_20block_scan_algorithmE0ELj4294967295EEENS1_25partition_config_selectorILNS1_17partition_subalgoE3EjNS0_10empty_typeEbEEZZNS1_14partition_implILS8_3ELb0ES6_jNS0_17counting_iteratorIjlEEPS9_SE_NS0_5tupleIJPjSE_EEENSF_IJSE_SE_EEES9_SG_JZNS1_25segmented_radix_sort_implINS0_14default_configELb1EPKhPhPKlPlN2at6native12_GLOBAL__N_18offset_tEEE10hipError_tPvRmT1_PNSt15iterator_traitsISY_E10value_typeET2_T3_PNSZ_IS14_E10value_typeET4_jRbjT5_S1A_jjP12ihipStream_tbEUljE_EEESV_SW_SX_S14_S18_S1A_T6_T7_T9_mT8_S1C_bDpT10_ENKUlT_T0_E_clISt17integral_constantIbLb1EES1P_EEDaS1K_S1L_EUlS1K_E_NS1_11comp_targetILNS1_3genE0ELNS1_11target_archE4294967295ELNS1_3gpuE0ELNS1_3repE0EEENS1_30default_config_static_selectorELNS0_4arch9wavefront6targetE1EEEvSY_.has_dyn_sized_stack, 0
	.set _ZN7rocprim17ROCPRIM_400000_NS6detail17trampoline_kernelINS0_13select_configILj256ELj13ELNS0_17block_load_methodE3ELS4_3ELS4_3ELNS0_20block_scan_algorithmE0ELj4294967295EEENS1_25partition_config_selectorILNS1_17partition_subalgoE3EjNS0_10empty_typeEbEEZZNS1_14partition_implILS8_3ELb0ES6_jNS0_17counting_iteratorIjlEEPS9_SE_NS0_5tupleIJPjSE_EEENSF_IJSE_SE_EEES9_SG_JZNS1_25segmented_radix_sort_implINS0_14default_configELb1EPKhPhPKlPlN2at6native12_GLOBAL__N_18offset_tEEE10hipError_tPvRmT1_PNSt15iterator_traitsISY_E10value_typeET2_T3_PNSZ_IS14_E10value_typeET4_jRbjT5_S1A_jjP12ihipStream_tbEUljE_EEESV_SW_SX_S14_S18_S1A_T6_T7_T9_mT8_S1C_bDpT10_ENKUlT_T0_E_clISt17integral_constantIbLb1EES1P_EEDaS1K_S1L_EUlS1K_E_NS1_11comp_targetILNS1_3genE0ELNS1_11target_archE4294967295ELNS1_3gpuE0ELNS1_3repE0EEENS1_30default_config_static_selectorELNS0_4arch9wavefront6targetE1EEEvSY_.has_recursion, 0
	.set _ZN7rocprim17ROCPRIM_400000_NS6detail17trampoline_kernelINS0_13select_configILj256ELj13ELNS0_17block_load_methodE3ELS4_3ELS4_3ELNS0_20block_scan_algorithmE0ELj4294967295EEENS1_25partition_config_selectorILNS1_17partition_subalgoE3EjNS0_10empty_typeEbEEZZNS1_14partition_implILS8_3ELb0ES6_jNS0_17counting_iteratorIjlEEPS9_SE_NS0_5tupleIJPjSE_EEENSF_IJSE_SE_EEES9_SG_JZNS1_25segmented_radix_sort_implINS0_14default_configELb1EPKhPhPKlPlN2at6native12_GLOBAL__N_18offset_tEEE10hipError_tPvRmT1_PNSt15iterator_traitsISY_E10value_typeET2_T3_PNSZ_IS14_E10value_typeET4_jRbjT5_S1A_jjP12ihipStream_tbEUljE_EEESV_SW_SX_S14_S18_S1A_T6_T7_T9_mT8_S1C_bDpT10_ENKUlT_T0_E_clISt17integral_constantIbLb1EES1P_EEDaS1K_S1L_EUlS1K_E_NS1_11comp_targetILNS1_3genE0ELNS1_11target_archE4294967295ELNS1_3gpuE0ELNS1_3repE0EEENS1_30default_config_static_selectorELNS0_4arch9wavefront6targetE1EEEvSY_.has_indirect_call, 0
	.section	.AMDGPU.csdata,"",@progbits
; Kernel info:
; codeLenInByte = 0
; TotalNumSgprs: 4
; NumVgprs: 0
; ScratchSize: 0
; MemoryBound: 0
; FloatMode: 240
; IeeeMode: 1
; LDSByteSize: 0 bytes/workgroup (compile time only)
; SGPRBlocks: 0
; VGPRBlocks: 0
; NumSGPRsForWavesPerEU: 4
; NumVGPRsForWavesPerEU: 1
; Occupancy: 10
; WaveLimiterHint : 0
; COMPUTE_PGM_RSRC2:SCRATCH_EN: 0
; COMPUTE_PGM_RSRC2:USER_SGPR: 6
; COMPUTE_PGM_RSRC2:TRAP_HANDLER: 0
; COMPUTE_PGM_RSRC2:TGID_X_EN: 1
; COMPUTE_PGM_RSRC2:TGID_Y_EN: 0
; COMPUTE_PGM_RSRC2:TGID_Z_EN: 0
; COMPUTE_PGM_RSRC2:TIDIG_COMP_CNT: 0
	.section	.text._ZN7rocprim17ROCPRIM_400000_NS6detail17trampoline_kernelINS0_13select_configILj256ELj13ELNS0_17block_load_methodE3ELS4_3ELS4_3ELNS0_20block_scan_algorithmE0ELj4294967295EEENS1_25partition_config_selectorILNS1_17partition_subalgoE3EjNS0_10empty_typeEbEEZZNS1_14partition_implILS8_3ELb0ES6_jNS0_17counting_iteratorIjlEEPS9_SE_NS0_5tupleIJPjSE_EEENSF_IJSE_SE_EEES9_SG_JZNS1_25segmented_radix_sort_implINS0_14default_configELb1EPKhPhPKlPlN2at6native12_GLOBAL__N_18offset_tEEE10hipError_tPvRmT1_PNSt15iterator_traitsISY_E10value_typeET2_T3_PNSZ_IS14_E10value_typeET4_jRbjT5_S1A_jjP12ihipStream_tbEUljE_EEESV_SW_SX_S14_S18_S1A_T6_T7_T9_mT8_S1C_bDpT10_ENKUlT_T0_E_clISt17integral_constantIbLb1EES1P_EEDaS1K_S1L_EUlS1K_E_NS1_11comp_targetILNS1_3genE5ELNS1_11target_archE942ELNS1_3gpuE9ELNS1_3repE0EEENS1_30default_config_static_selectorELNS0_4arch9wavefront6targetE1EEEvSY_,"axG",@progbits,_ZN7rocprim17ROCPRIM_400000_NS6detail17trampoline_kernelINS0_13select_configILj256ELj13ELNS0_17block_load_methodE3ELS4_3ELS4_3ELNS0_20block_scan_algorithmE0ELj4294967295EEENS1_25partition_config_selectorILNS1_17partition_subalgoE3EjNS0_10empty_typeEbEEZZNS1_14partition_implILS8_3ELb0ES6_jNS0_17counting_iteratorIjlEEPS9_SE_NS0_5tupleIJPjSE_EEENSF_IJSE_SE_EEES9_SG_JZNS1_25segmented_radix_sort_implINS0_14default_configELb1EPKhPhPKlPlN2at6native12_GLOBAL__N_18offset_tEEE10hipError_tPvRmT1_PNSt15iterator_traitsISY_E10value_typeET2_T3_PNSZ_IS14_E10value_typeET4_jRbjT5_S1A_jjP12ihipStream_tbEUljE_EEESV_SW_SX_S14_S18_S1A_T6_T7_T9_mT8_S1C_bDpT10_ENKUlT_T0_E_clISt17integral_constantIbLb1EES1P_EEDaS1K_S1L_EUlS1K_E_NS1_11comp_targetILNS1_3genE5ELNS1_11target_archE942ELNS1_3gpuE9ELNS1_3repE0EEENS1_30default_config_static_selectorELNS0_4arch9wavefront6targetE1EEEvSY_,comdat
	.globl	_ZN7rocprim17ROCPRIM_400000_NS6detail17trampoline_kernelINS0_13select_configILj256ELj13ELNS0_17block_load_methodE3ELS4_3ELS4_3ELNS0_20block_scan_algorithmE0ELj4294967295EEENS1_25partition_config_selectorILNS1_17partition_subalgoE3EjNS0_10empty_typeEbEEZZNS1_14partition_implILS8_3ELb0ES6_jNS0_17counting_iteratorIjlEEPS9_SE_NS0_5tupleIJPjSE_EEENSF_IJSE_SE_EEES9_SG_JZNS1_25segmented_radix_sort_implINS0_14default_configELb1EPKhPhPKlPlN2at6native12_GLOBAL__N_18offset_tEEE10hipError_tPvRmT1_PNSt15iterator_traitsISY_E10value_typeET2_T3_PNSZ_IS14_E10value_typeET4_jRbjT5_S1A_jjP12ihipStream_tbEUljE_EEESV_SW_SX_S14_S18_S1A_T6_T7_T9_mT8_S1C_bDpT10_ENKUlT_T0_E_clISt17integral_constantIbLb1EES1P_EEDaS1K_S1L_EUlS1K_E_NS1_11comp_targetILNS1_3genE5ELNS1_11target_archE942ELNS1_3gpuE9ELNS1_3repE0EEENS1_30default_config_static_selectorELNS0_4arch9wavefront6targetE1EEEvSY_ ; -- Begin function _ZN7rocprim17ROCPRIM_400000_NS6detail17trampoline_kernelINS0_13select_configILj256ELj13ELNS0_17block_load_methodE3ELS4_3ELS4_3ELNS0_20block_scan_algorithmE0ELj4294967295EEENS1_25partition_config_selectorILNS1_17partition_subalgoE3EjNS0_10empty_typeEbEEZZNS1_14partition_implILS8_3ELb0ES6_jNS0_17counting_iteratorIjlEEPS9_SE_NS0_5tupleIJPjSE_EEENSF_IJSE_SE_EEES9_SG_JZNS1_25segmented_radix_sort_implINS0_14default_configELb1EPKhPhPKlPlN2at6native12_GLOBAL__N_18offset_tEEE10hipError_tPvRmT1_PNSt15iterator_traitsISY_E10value_typeET2_T3_PNSZ_IS14_E10value_typeET4_jRbjT5_S1A_jjP12ihipStream_tbEUljE_EEESV_SW_SX_S14_S18_S1A_T6_T7_T9_mT8_S1C_bDpT10_ENKUlT_T0_E_clISt17integral_constantIbLb1EES1P_EEDaS1K_S1L_EUlS1K_E_NS1_11comp_targetILNS1_3genE5ELNS1_11target_archE942ELNS1_3gpuE9ELNS1_3repE0EEENS1_30default_config_static_selectorELNS0_4arch9wavefront6targetE1EEEvSY_
	.p2align	8
	.type	_ZN7rocprim17ROCPRIM_400000_NS6detail17trampoline_kernelINS0_13select_configILj256ELj13ELNS0_17block_load_methodE3ELS4_3ELS4_3ELNS0_20block_scan_algorithmE0ELj4294967295EEENS1_25partition_config_selectorILNS1_17partition_subalgoE3EjNS0_10empty_typeEbEEZZNS1_14partition_implILS8_3ELb0ES6_jNS0_17counting_iteratorIjlEEPS9_SE_NS0_5tupleIJPjSE_EEENSF_IJSE_SE_EEES9_SG_JZNS1_25segmented_radix_sort_implINS0_14default_configELb1EPKhPhPKlPlN2at6native12_GLOBAL__N_18offset_tEEE10hipError_tPvRmT1_PNSt15iterator_traitsISY_E10value_typeET2_T3_PNSZ_IS14_E10value_typeET4_jRbjT5_S1A_jjP12ihipStream_tbEUljE_EEESV_SW_SX_S14_S18_S1A_T6_T7_T9_mT8_S1C_bDpT10_ENKUlT_T0_E_clISt17integral_constantIbLb1EES1P_EEDaS1K_S1L_EUlS1K_E_NS1_11comp_targetILNS1_3genE5ELNS1_11target_archE942ELNS1_3gpuE9ELNS1_3repE0EEENS1_30default_config_static_selectorELNS0_4arch9wavefront6targetE1EEEvSY_,@function
_ZN7rocprim17ROCPRIM_400000_NS6detail17trampoline_kernelINS0_13select_configILj256ELj13ELNS0_17block_load_methodE3ELS4_3ELS4_3ELNS0_20block_scan_algorithmE0ELj4294967295EEENS1_25partition_config_selectorILNS1_17partition_subalgoE3EjNS0_10empty_typeEbEEZZNS1_14partition_implILS8_3ELb0ES6_jNS0_17counting_iteratorIjlEEPS9_SE_NS0_5tupleIJPjSE_EEENSF_IJSE_SE_EEES9_SG_JZNS1_25segmented_radix_sort_implINS0_14default_configELb1EPKhPhPKlPlN2at6native12_GLOBAL__N_18offset_tEEE10hipError_tPvRmT1_PNSt15iterator_traitsISY_E10value_typeET2_T3_PNSZ_IS14_E10value_typeET4_jRbjT5_S1A_jjP12ihipStream_tbEUljE_EEESV_SW_SX_S14_S18_S1A_T6_T7_T9_mT8_S1C_bDpT10_ENKUlT_T0_E_clISt17integral_constantIbLb1EES1P_EEDaS1K_S1L_EUlS1K_E_NS1_11comp_targetILNS1_3genE5ELNS1_11target_archE942ELNS1_3gpuE9ELNS1_3repE0EEENS1_30default_config_static_selectorELNS0_4arch9wavefront6targetE1EEEvSY_: ; @_ZN7rocprim17ROCPRIM_400000_NS6detail17trampoline_kernelINS0_13select_configILj256ELj13ELNS0_17block_load_methodE3ELS4_3ELS4_3ELNS0_20block_scan_algorithmE0ELj4294967295EEENS1_25partition_config_selectorILNS1_17partition_subalgoE3EjNS0_10empty_typeEbEEZZNS1_14partition_implILS8_3ELb0ES6_jNS0_17counting_iteratorIjlEEPS9_SE_NS0_5tupleIJPjSE_EEENSF_IJSE_SE_EEES9_SG_JZNS1_25segmented_radix_sort_implINS0_14default_configELb1EPKhPhPKlPlN2at6native12_GLOBAL__N_18offset_tEEE10hipError_tPvRmT1_PNSt15iterator_traitsISY_E10value_typeET2_T3_PNSZ_IS14_E10value_typeET4_jRbjT5_S1A_jjP12ihipStream_tbEUljE_EEESV_SW_SX_S14_S18_S1A_T6_T7_T9_mT8_S1C_bDpT10_ENKUlT_T0_E_clISt17integral_constantIbLb1EES1P_EEDaS1K_S1L_EUlS1K_E_NS1_11comp_targetILNS1_3genE5ELNS1_11target_archE942ELNS1_3gpuE9ELNS1_3repE0EEENS1_30default_config_static_selectorELNS0_4arch9wavefront6targetE1EEEvSY_
; %bb.0:
	.section	.rodata,"a",@progbits
	.p2align	6, 0x0
	.amdhsa_kernel _ZN7rocprim17ROCPRIM_400000_NS6detail17trampoline_kernelINS0_13select_configILj256ELj13ELNS0_17block_load_methodE3ELS4_3ELS4_3ELNS0_20block_scan_algorithmE0ELj4294967295EEENS1_25partition_config_selectorILNS1_17partition_subalgoE3EjNS0_10empty_typeEbEEZZNS1_14partition_implILS8_3ELb0ES6_jNS0_17counting_iteratorIjlEEPS9_SE_NS0_5tupleIJPjSE_EEENSF_IJSE_SE_EEES9_SG_JZNS1_25segmented_radix_sort_implINS0_14default_configELb1EPKhPhPKlPlN2at6native12_GLOBAL__N_18offset_tEEE10hipError_tPvRmT1_PNSt15iterator_traitsISY_E10value_typeET2_T3_PNSZ_IS14_E10value_typeET4_jRbjT5_S1A_jjP12ihipStream_tbEUljE_EEESV_SW_SX_S14_S18_S1A_T6_T7_T9_mT8_S1C_bDpT10_ENKUlT_T0_E_clISt17integral_constantIbLb1EES1P_EEDaS1K_S1L_EUlS1K_E_NS1_11comp_targetILNS1_3genE5ELNS1_11target_archE942ELNS1_3gpuE9ELNS1_3repE0EEENS1_30default_config_static_selectorELNS0_4arch9wavefront6targetE1EEEvSY_
		.amdhsa_group_segment_fixed_size 0
		.amdhsa_private_segment_fixed_size 0
		.amdhsa_kernarg_size 152
		.amdhsa_user_sgpr_count 6
		.amdhsa_user_sgpr_private_segment_buffer 1
		.amdhsa_user_sgpr_dispatch_ptr 0
		.amdhsa_user_sgpr_queue_ptr 0
		.amdhsa_user_sgpr_kernarg_segment_ptr 1
		.amdhsa_user_sgpr_dispatch_id 0
		.amdhsa_user_sgpr_flat_scratch_init 0
		.amdhsa_user_sgpr_private_segment_size 0
		.amdhsa_uses_dynamic_stack 0
		.amdhsa_system_sgpr_private_segment_wavefront_offset 0
		.amdhsa_system_sgpr_workgroup_id_x 1
		.amdhsa_system_sgpr_workgroup_id_y 0
		.amdhsa_system_sgpr_workgroup_id_z 0
		.amdhsa_system_sgpr_workgroup_info 0
		.amdhsa_system_vgpr_workitem_id 0
		.amdhsa_next_free_vgpr 1
		.amdhsa_next_free_sgpr 0
		.amdhsa_reserve_vcc 0
		.amdhsa_reserve_flat_scratch 0
		.amdhsa_float_round_mode_32 0
		.amdhsa_float_round_mode_16_64 0
		.amdhsa_float_denorm_mode_32 3
		.amdhsa_float_denorm_mode_16_64 3
		.amdhsa_dx10_clamp 1
		.amdhsa_ieee_mode 1
		.amdhsa_fp16_overflow 0
		.amdhsa_exception_fp_ieee_invalid_op 0
		.amdhsa_exception_fp_denorm_src 0
		.amdhsa_exception_fp_ieee_div_zero 0
		.amdhsa_exception_fp_ieee_overflow 0
		.amdhsa_exception_fp_ieee_underflow 0
		.amdhsa_exception_fp_ieee_inexact 0
		.amdhsa_exception_int_div_zero 0
	.end_amdhsa_kernel
	.section	.text._ZN7rocprim17ROCPRIM_400000_NS6detail17trampoline_kernelINS0_13select_configILj256ELj13ELNS0_17block_load_methodE3ELS4_3ELS4_3ELNS0_20block_scan_algorithmE0ELj4294967295EEENS1_25partition_config_selectorILNS1_17partition_subalgoE3EjNS0_10empty_typeEbEEZZNS1_14partition_implILS8_3ELb0ES6_jNS0_17counting_iteratorIjlEEPS9_SE_NS0_5tupleIJPjSE_EEENSF_IJSE_SE_EEES9_SG_JZNS1_25segmented_radix_sort_implINS0_14default_configELb1EPKhPhPKlPlN2at6native12_GLOBAL__N_18offset_tEEE10hipError_tPvRmT1_PNSt15iterator_traitsISY_E10value_typeET2_T3_PNSZ_IS14_E10value_typeET4_jRbjT5_S1A_jjP12ihipStream_tbEUljE_EEESV_SW_SX_S14_S18_S1A_T6_T7_T9_mT8_S1C_bDpT10_ENKUlT_T0_E_clISt17integral_constantIbLb1EES1P_EEDaS1K_S1L_EUlS1K_E_NS1_11comp_targetILNS1_3genE5ELNS1_11target_archE942ELNS1_3gpuE9ELNS1_3repE0EEENS1_30default_config_static_selectorELNS0_4arch9wavefront6targetE1EEEvSY_,"axG",@progbits,_ZN7rocprim17ROCPRIM_400000_NS6detail17trampoline_kernelINS0_13select_configILj256ELj13ELNS0_17block_load_methodE3ELS4_3ELS4_3ELNS0_20block_scan_algorithmE0ELj4294967295EEENS1_25partition_config_selectorILNS1_17partition_subalgoE3EjNS0_10empty_typeEbEEZZNS1_14partition_implILS8_3ELb0ES6_jNS0_17counting_iteratorIjlEEPS9_SE_NS0_5tupleIJPjSE_EEENSF_IJSE_SE_EEES9_SG_JZNS1_25segmented_radix_sort_implINS0_14default_configELb1EPKhPhPKlPlN2at6native12_GLOBAL__N_18offset_tEEE10hipError_tPvRmT1_PNSt15iterator_traitsISY_E10value_typeET2_T3_PNSZ_IS14_E10value_typeET4_jRbjT5_S1A_jjP12ihipStream_tbEUljE_EEESV_SW_SX_S14_S18_S1A_T6_T7_T9_mT8_S1C_bDpT10_ENKUlT_T0_E_clISt17integral_constantIbLb1EES1P_EEDaS1K_S1L_EUlS1K_E_NS1_11comp_targetILNS1_3genE5ELNS1_11target_archE942ELNS1_3gpuE9ELNS1_3repE0EEENS1_30default_config_static_selectorELNS0_4arch9wavefront6targetE1EEEvSY_,comdat
.Lfunc_end58:
	.size	_ZN7rocprim17ROCPRIM_400000_NS6detail17trampoline_kernelINS0_13select_configILj256ELj13ELNS0_17block_load_methodE3ELS4_3ELS4_3ELNS0_20block_scan_algorithmE0ELj4294967295EEENS1_25partition_config_selectorILNS1_17partition_subalgoE3EjNS0_10empty_typeEbEEZZNS1_14partition_implILS8_3ELb0ES6_jNS0_17counting_iteratorIjlEEPS9_SE_NS0_5tupleIJPjSE_EEENSF_IJSE_SE_EEES9_SG_JZNS1_25segmented_radix_sort_implINS0_14default_configELb1EPKhPhPKlPlN2at6native12_GLOBAL__N_18offset_tEEE10hipError_tPvRmT1_PNSt15iterator_traitsISY_E10value_typeET2_T3_PNSZ_IS14_E10value_typeET4_jRbjT5_S1A_jjP12ihipStream_tbEUljE_EEESV_SW_SX_S14_S18_S1A_T6_T7_T9_mT8_S1C_bDpT10_ENKUlT_T0_E_clISt17integral_constantIbLb1EES1P_EEDaS1K_S1L_EUlS1K_E_NS1_11comp_targetILNS1_3genE5ELNS1_11target_archE942ELNS1_3gpuE9ELNS1_3repE0EEENS1_30default_config_static_selectorELNS0_4arch9wavefront6targetE1EEEvSY_, .Lfunc_end58-_ZN7rocprim17ROCPRIM_400000_NS6detail17trampoline_kernelINS0_13select_configILj256ELj13ELNS0_17block_load_methodE3ELS4_3ELS4_3ELNS0_20block_scan_algorithmE0ELj4294967295EEENS1_25partition_config_selectorILNS1_17partition_subalgoE3EjNS0_10empty_typeEbEEZZNS1_14partition_implILS8_3ELb0ES6_jNS0_17counting_iteratorIjlEEPS9_SE_NS0_5tupleIJPjSE_EEENSF_IJSE_SE_EEES9_SG_JZNS1_25segmented_radix_sort_implINS0_14default_configELb1EPKhPhPKlPlN2at6native12_GLOBAL__N_18offset_tEEE10hipError_tPvRmT1_PNSt15iterator_traitsISY_E10value_typeET2_T3_PNSZ_IS14_E10value_typeET4_jRbjT5_S1A_jjP12ihipStream_tbEUljE_EEESV_SW_SX_S14_S18_S1A_T6_T7_T9_mT8_S1C_bDpT10_ENKUlT_T0_E_clISt17integral_constantIbLb1EES1P_EEDaS1K_S1L_EUlS1K_E_NS1_11comp_targetILNS1_3genE5ELNS1_11target_archE942ELNS1_3gpuE9ELNS1_3repE0EEENS1_30default_config_static_selectorELNS0_4arch9wavefront6targetE1EEEvSY_
                                        ; -- End function
	.set _ZN7rocprim17ROCPRIM_400000_NS6detail17trampoline_kernelINS0_13select_configILj256ELj13ELNS0_17block_load_methodE3ELS4_3ELS4_3ELNS0_20block_scan_algorithmE0ELj4294967295EEENS1_25partition_config_selectorILNS1_17partition_subalgoE3EjNS0_10empty_typeEbEEZZNS1_14partition_implILS8_3ELb0ES6_jNS0_17counting_iteratorIjlEEPS9_SE_NS0_5tupleIJPjSE_EEENSF_IJSE_SE_EEES9_SG_JZNS1_25segmented_radix_sort_implINS0_14default_configELb1EPKhPhPKlPlN2at6native12_GLOBAL__N_18offset_tEEE10hipError_tPvRmT1_PNSt15iterator_traitsISY_E10value_typeET2_T3_PNSZ_IS14_E10value_typeET4_jRbjT5_S1A_jjP12ihipStream_tbEUljE_EEESV_SW_SX_S14_S18_S1A_T6_T7_T9_mT8_S1C_bDpT10_ENKUlT_T0_E_clISt17integral_constantIbLb1EES1P_EEDaS1K_S1L_EUlS1K_E_NS1_11comp_targetILNS1_3genE5ELNS1_11target_archE942ELNS1_3gpuE9ELNS1_3repE0EEENS1_30default_config_static_selectorELNS0_4arch9wavefront6targetE1EEEvSY_.num_vgpr, 0
	.set _ZN7rocprim17ROCPRIM_400000_NS6detail17trampoline_kernelINS0_13select_configILj256ELj13ELNS0_17block_load_methodE3ELS4_3ELS4_3ELNS0_20block_scan_algorithmE0ELj4294967295EEENS1_25partition_config_selectorILNS1_17partition_subalgoE3EjNS0_10empty_typeEbEEZZNS1_14partition_implILS8_3ELb0ES6_jNS0_17counting_iteratorIjlEEPS9_SE_NS0_5tupleIJPjSE_EEENSF_IJSE_SE_EEES9_SG_JZNS1_25segmented_radix_sort_implINS0_14default_configELb1EPKhPhPKlPlN2at6native12_GLOBAL__N_18offset_tEEE10hipError_tPvRmT1_PNSt15iterator_traitsISY_E10value_typeET2_T3_PNSZ_IS14_E10value_typeET4_jRbjT5_S1A_jjP12ihipStream_tbEUljE_EEESV_SW_SX_S14_S18_S1A_T6_T7_T9_mT8_S1C_bDpT10_ENKUlT_T0_E_clISt17integral_constantIbLb1EES1P_EEDaS1K_S1L_EUlS1K_E_NS1_11comp_targetILNS1_3genE5ELNS1_11target_archE942ELNS1_3gpuE9ELNS1_3repE0EEENS1_30default_config_static_selectorELNS0_4arch9wavefront6targetE1EEEvSY_.num_agpr, 0
	.set _ZN7rocprim17ROCPRIM_400000_NS6detail17trampoline_kernelINS0_13select_configILj256ELj13ELNS0_17block_load_methodE3ELS4_3ELS4_3ELNS0_20block_scan_algorithmE0ELj4294967295EEENS1_25partition_config_selectorILNS1_17partition_subalgoE3EjNS0_10empty_typeEbEEZZNS1_14partition_implILS8_3ELb0ES6_jNS0_17counting_iteratorIjlEEPS9_SE_NS0_5tupleIJPjSE_EEENSF_IJSE_SE_EEES9_SG_JZNS1_25segmented_radix_sort_implINS0_14default_configELb1EPKhPhPKlPlN2at6native12_GLOBAL__N_18offset_tEEE10hipError_tPvRmT1_PNSt15iterator_traitsISY_E10value_typeET2_T3_PNSZ_IS14_E10value_typeET4_jRbjT5_S1A_jjP12ihipStream_tbEUljE_EEESV_SW_SX_S14_S18_S1A_T6_T7_T9_mT8_S1C_bDpT10_ENKUlT_T0_E_clISt17integral_constantIbLb1EES1P_EEDaS1K_S1L_EUlS1K_E_NS1_11comp_targetILNS1_3genE5ELNS1_11target_archE942ELNS1_3gpuE9ELNS1_3repE0EEENS1_30default_config_static_selectorELNS0_4arch9wavefront6targetE1EEEvSY_.numbered_sgpr, 0
	.set _ZN7rocprim17ROCPRIM_400000_NS6detail17trampoline_kernelINS0_13select_configILj256ELj13ELNS0_17block_load_methodE3ELS4_3ELS4_3ELNS0_20block_scan_algorithmE0ELj4294967295EEENS1_25partition_config_selectorILNS1_17partition_subalgoE3EjNS0_10empty_typeEbEEZZNS1_14partition_implILS8_3ELb0ES6_jNS0_17counting_iteratorIjlEEPS9_SE_NS0_5tupleIJPjSE_EEENSF_IJSE_SE_EEES9_SG_JZNS1_25segmented_radix_sort_implINS0_14default_configELb1EPKhPhPKlPlN2at6native12_GLOBAL__N_18offset_tEEE10hipError_tPvRmT1_PNSt15iterator_traitsISY_E10value_typeET2_T3_PNSZ_IS14_E10value_typeET4_jRbjT5_S1A_jjP12ihipStream_tbEUljE_EEESV_SW_SX_S14_S18_S1A_T6_T7_T9_mT8_S1C_bDpT10_ENKUlT_T0_E_clISt17integral_constantIbLb1EES1P_EEDaS1K_S1L_EUlS1K_E_NS1_11comp_targetILNS1_3genE5ELNS1_11target_archE942ELNS1_3gpuE9ELNS1_3repE0EEENS1_30default_config_static_selectorELNS0_4arch9wavefront6targetE1EEEvSY_.num_named_barrier, 0
	.set _ZN7rocprim17ROCPRIM_400000_NS6detail17trampoline_kernelINS0_13select_configILj256ELj13ELNS0_17block_load_methodE3ELS4_3ELS4_3ELNS0_20block_scan_algorithmE0ELj4294967295EEENS1_25partition_config_selectorILNS1_17partition_subalgoE3EjNS0_10empty_typeEbEEZZNS1_14partition_implILS8_3ELb0ES6_jNS0_17counting_iteratorIjlEEPS9_SE_NS0_5tupleIJPjSE_EEENSF_IJSE_SE_EEES9_SG_JZNS1_25segmented_radix_sort_implINS0_14default_configELb1EPKhPhPKlPlN2at6native12_GLOBAL__N_18offset_tEEE10hipError_tPvRmT1_PNSt15iterator_traitsISY_E10value_typeET2_T3_PNSZ_IS14_E10value_typeET4_jRbjT5_S1A_jjP12ihipStream_tbEUljE_EEESV_SW_SX_S14_S18_S1A_T6_T7_T9_mT8_S1C_bDpT10_ENKUlT_T0_E_clISt17integral_constantIbLb1EES1P_EEDaS1K_S1L_EUlS1K_E_NS1_11comp_targetILNS1_3genE5ELNS1_11target_archE942ELNS1_3gpuE9ELNS1_3repE0EEENS1_30default_config_static_selectorELNS0_4arch9wavefront6targetE1EEEvSY_.private_seg_size, 0
	.set _ZN7rocprim17ROCPRIM_400000_NS6detail17trampoline_kernelINS0_13select_configILj256ELj13ELNS0_17block_load_methodE3ELS4_3ELS4_3ELNS0_20block_scan_algorithmE0ELj4294967295EEENS1_25partition_config_selectorILNS1_17partition_subalgoE3EjNS0_10empty_typeEbEEZZNS1_14partition_implILS8_3ELb0ES6_jNS0_17counting_iteratorIjlEEPS9_SE_NS0_5tupleIJPjSE_EEENSF_IJSE_SE_EEES9_SG_JZNS1_25segmented_radix_sort_implINS0_14default_configELb1EPKhPhPKlPlN2at6native12_GLOBAL__N_18offset_tEEE10hipError_tPvRmT1_PNSt15iterator_traitsISY_E10value_typeET2_T3_PNSZ_IS14_E10value_typeET4_jRbjT5_S1A_jjP12ihipStream_tbEUljE_EEESV_SW_SX_S14_S18_S1A_T6_T7_T9_mT8_S1C_bDpT10_ENKUlT_T0_E_clISt17integral_constantIbLb1EES1P_EEDaS1K_S1L_EUlS1K_E_NS1_11comp_targetILNS1_3genE5ELNS1_11target_archE942ELNS1_3gpuE9ELNS1_3repE0EEENS1_30default_config_static_selectorELNS0_4arch9wavefront6targetE1EEEvSY_.uses_vcc, 0
	.set _ZN7rocprim17ROCPRIM_400000_NS6detail17trampoline_kernelINS0_13select_configILj256ELj13ELNS0_17block_load_methodE3ELS4_3ELS4_3ELNS0_20block_scan_algorithmE0ELj4294967295EEENS1_25partition_config_selectorILNS1_17partition_subalgoE3EjNS0_10empty_typeEbEEZZNS1_14partition_implILS8_3ELb0ES6_jNS0_17counting_iteratorIjlEEPS9_SE_NS0_5tupleIJPjSE_EEENSF_IJSE_SE_EEES9_SG_JZNS1_25segmented_radix_sort_implINS0_14default_configELb1EPKhPhPKlPlN2at6native12_GLOBAL__N_18offset_tEEE10hipError_tPvRmT1_PNSt15iterator_traitsISY_E10value_typeET2_T3_PNSZ_IS14_E10value_typeET4_jRbjT5_S1A_jjP12ihipStream_tbEUljE_EEESV_SW_SX_S14_S18_S1A_T6_T7_T9_mT8_S1C_bDpT10_ENKUlT_T0_E_clISt17integral_constantIbLb1EES1P_EEDaS1K_S1L_EUlS1K_E_NS1_11comp_targetILNS1_3genE5ELNS1_11target_archE942ELNS1_3gpuE9ELNS1_3repE0EEENS1_30default_config_static_selectorELNS0_4arch9wavefront6targetE1EEEvSY_.uses_flat_scratch, 0
	.set _ZN7rocprim17ROCPRIM_400000_NS6detail17trampoline_kernelINS0_13select_configILj256ELj13ELNS0_17block_load_methodE3ELS4_3ELS4_3ELNS0_20block_scan_algorithmE0ELj4294967295EEENS1_25partition_config_selectorILNS1_17partition_subalgoE3EjNS0_10empty_typeEbEEZZNS1_14partition_implILS8_3ELb0ES6_jNS0_17counting_iteratorIjlEEPS9_SE_NS0_5tupleIJPjSE_EEENSF_IJSE_SE_EEES9_SG_JZNS1_25segmented_radix_sort_implINS0_14default_configELb1EPKhPhPKlPlN2at6native12_GLOBAL__N_18offset_tEEE10hipError_tPvRmT1_PNSt15iterator_traitsISY_E10value_typeET2_T3_PNSZ_IS14_E10value_typeET4_jRbjT5_S1A_jjP12ihipStream_tbEUljE_EEESV_SW_SX_S14_S18_S1A_T6_T7_T9_mT8_S1C_bDpT10_ENKUlT_T0_E_clISt17integral_constantIbLb1EES1P_EEDaS1K_S1L_EUlS1K_E_NS1_11comp_targetILNS1_3genE5ELNS1_11target_archE942ELNS1_3gpuE9ELNS1_3repE0EEENS1_30default_config_static_selectorELNS0_4arch9wavefront6targetE1EEEvSY_.has_dyn_sized_stack, 0
	.set _ZN7rocprim17ROCPRIM_400000_NS6detail17trampoline_kernelINS0_13select_configILj256ELj13ELNS0_17block_load_methodE3ELS4_3ELS4_3ELNS0_20block_scan_algorithmE0ELj4294967295EEENS1_25partition_config_selectorILNS1_17partition_subalgoE3EjNS0_10empty_typeEbEEZZNS1_14partition_implILS8_3ELb0ES6_jNS0_17counting_iteratorIjlEEPS9_SE_NS0_5tupleIJPjSE_EEENSF_IJSE_SE_EEES9_SG_JZNS1_25segmented_radix_sort_implINS0_14default_configELb1EPKhPhPKlPlN2at6native12_GLOBAL__N_18offset_tEEE10hipError_tPvRmT1_PNSt15iterator_traitsISY_E10value_typeET2_T3_PNSZ_IS14_E10value_typeET4_jRbjT5_S1A_jjP12ihipStream_tbEUljE_EEESV_SW_SX_S14_S18_S1A_T6_T7_T9_mT8_S1C_bDpT10_ENKUlT_T0_E_clISt17integral_constantIbLb1EES1P_EEDaS1K_S1L_EUlS1K_E_NS1_11comp_targetILNS1_3genE5ELNS1_11target_archE942ELNS1_3gpuE9ELNS1_3repE0EEENS1_30default_config_static_selectorELNS0_4arch9wavefront6targetE1EEEvSY_.has_recursion, 0
	.set _ZN7rocprim17ROCPRIM_400000_NS6detail17trampoline_kernelINS0_13select_configILj256ELj13ELNS0_17block_load_methodE3ELS4_3ELS4_3ELNS0_20block_scan_algorithmE0ELj4294967295EEENS1_25partition_config_selectorILNS1_17partition_subalgoE3EjNS0_10empty_typeEbEEZZNS1_14partition_implILS8_3ELb0ES6_jNS0_17counting_iteratorIjlEEPS9_SE_NS0_5tupleIJPjSE_EEENSF_IJSE_SE_EEES9_SG_JZNS1_25segmented_radix_sort_implINS0_14default_configELb1EPKhPhPKlPlN2at6native12_GLOBAL__N_18offset_tEEE10hipError_tPvRmT1_PNSt15iterator_traitsISY_E10value_typeET2_T3_PNSZ_IS14_E10value_typeET4_jRbjT5_S1A_jjP12ihipStream_tbEUljE_EEESV_SW_SX_S14_S18_S1A_T6_T7_T9_mT8_S1C_bDpT10_ENKUlT_T0_E_clISt17integral_constantIbLb1EES1P_EEDaS1K_S1L_EUlS1K_E_NS1_11comp_targetILNS1_3genE5ELNS1_11target_archE942ELNS1_3gpuE9ELNS1_3repE0EEENS1_30default_config_static_selectorELNS0_4arch9wavefront6targetE1EEEvSY_.has_indirect_call, 0
	.section	.AMDGPU.csdata,"",@progbits
; Kernel info:
; codeLenInByte = 0
; TotalNumSgprs: 4
; NumVgprs: 0
; ScratchSize: 0
; MemoryBound: 0
; FloatMode: 240
; IeeeMode: 1
; LDSByteSize: 0 bytes/workgroup (compile time only)
; SGPRBlocks: 0
; VGPRBlocks: 0
; NumSGPRsForWavesPerEU: 4
; NumVGPRsForWavesPerEU: 1
; Occupancy: 10
; WaveLimiterHint : 0
; COMPUTE_PGM_RSRC2:SCRATCH_EN: 0
; COMPUTE_PGM_RSRC2:USER_SGPR: 6
; COMPUTE_PGM_RSRC2:TRAP_HANDLER: 0
; COMPUTE_PGM_RSRC2:TGID_X_EN: 1
; COMPUTE_PGM_RSRC2:TGID_Y_EN: 0
; COMPUTE_PGM_RSRC2:TGID_Z_EN: 0
; COMPUTE_PGM_RSRC2:TIDIG_COMP_CNT: 0
	.section	.text._ZN7rocprim17ROCPRIM_400000_NS6detail17trampoline_kernelINS0_13select_configILj256ELj13ELNS0_17block_load_methodE3ELS4_3ELS4_3ELNS0_20block_scan_algorithmE0ELj4294967295EEENS1_25partition_config_selectorILNS1_17partition_subalgoE3EjNS0_10empty_typeEbEEZZNS1_14partition_implILS8_3ELb0ES6_jNS0_17counting_iteratorIjlEEPS9_SE_NS0_5tupleIJPjSE_EEENSF_IJSE_SE_EEES9_SG_JZNS1_25segmented_radix_sort_implINS0_14default_configELb1EPKhPhPKlPlN2at6native12_GLOBAL__N_18offset_tEEE10hipError_tPvRmT1_PNSt15iterator_traitsISY_E10value_typeET2_T3_PNSZ_IS14_E10value_typeET4_jRbjT5_S1A_jjP12ihipStream_tbEUljE_EEESV_SW_SX_S14_S18_S1A_T6_T7_T9_mT8_S1C_bDpT10_ENKUlT_T0_E_clISt17integral_constantIbLb1EES1P_EEDaS1K_S1L_EUlS1K_E_NS1_11comp_targetILNS1_3genE4ELNS1_11target_archE910ELNS1_3gpuE8ELNS1_3repE0EEENS1_30default_config_static_selectorELNS0_4arch9wavefront6targetE1EEEvSY_,"axG",@progbits,_ZN7rocprim17ROCPRIM_400000_NS6detail17trampoline_kernelINS0_13select_configILj256ELj13ELNS0_17block_load_methodE3ELS4_3ELS4_3ELNS0_20block_scan_algorithmE0ELj4294967295EEENS1_25partition_config_selectorILNS1_17partition_subalgoE3EjNS0_10empty_typeEbEEZZNS1_14partition_implILS8_3ELb0ES6_jNS0_17counting_iteratorIjlEEPS9_SE_NS0_5tupleIJPjSE_EEENSF_IJSE_SE_EEES9_SG_JZNS1_25segmented_radix_sort_implINS0_14default_configELb1EPKhPhPKlPlN2at6native12_GLOBAL__N_18offset_tEEE10hipError_tPvRmT1_PNSt15iterator_traitsISY_E10value_typeET2_T3_PNSZ_IS14_E10value_typeET4_jRbjT5_S1A_jjP12ihipStream_tbEUljE_EEESV_SW_SX_S14_S18_S1A_T6_T7_T9_mT8_S1C_bDpT10_ENKUlT_T0_E_clISt17integral_constantIbLb1EES1P_EEDaS1K_S1L_EUlS1K_E_NS1_11comp_targetILNS1_3genE4ELNS1_11target_archE910ELNS1_3gpuE8ELNS1_3repE0EEENS1_30default_config_static_selectorELNS0_4arch9wavefront6targetE1EEEvSY_,comdat
	.globl	_ZN7rocprim17ROCPRIM_400000_NS6detail17trampoline_kernelINS0_13select_configILj256ELj13ELNS0_17block_load_methodE3ELS4_3ELS4_3ELNS0_20block_scan_algorithmE0ELj4294967295EEENS1_25partition_config_selectorILNS1_17partition_subalgoE3EjNS0_10empty_typeEbEEZZNS1_14partition_implILS8_3ELb0ES6_jNS0_17counting_iteratorIjlEEPS9_SE_NS0_5tupleIJPjSE_EEENSF_IJSE_SE_EEES9_SG_JZNS1_25segmented_radix_sort_implINS0_14default_configELb1EPKhPhPKlPlN2at6native12_GLOBAL__N_18offset_tEEE10hipError_tPvRmT1_PNSt15iterator_traitsISY_E10value_typeET2_T3_PNSZ_IS14_E10value_typeET4_jRbjT5_S1A_jjP12ihipStream_tbEUljE_EEESV_SW_SX_S14_S18_S1A_T6_T7_T9_mT8_S1C_bDpT10_ENKUlT_T0_E_clISt17integral_constantIbLb1EES1P_EEDaS1K_S1L_EUlS1K_E_NS1_11comp_targetILNS1_3genE4ELNS1_11target_archE910ELNS1_3gpuE8ELNS1_3repE0EEENS1_30default_config_static_selectorELNS0_4arch9wavefront6targetE1EEEvSY_ ; -- Begin function _ZN7rocprim17ROCPRIM_400000_NS6detail17trampoline_kernelINS0_13select_configILj256ELj13ELNS0_17block_load_methodE3ELS4_3ELS4_3ELNS0_20block_scan_algorithmE0ELj4294967295EEENS1_25partition_config_selectorILNS1_17partition_subalgoE3EjNS0_10empty_typeEbEEZZNS1_14partition_implILS8_3ELb0ES6_jNS0_17counting_iteratorIjlEEPS9_SE_NS0_5tupleIJPjSE_EEENSF_IJSE_SE_EEES9_SG_JZNS1_25segmented_radix_sort_implINS0_14default_configELb1EPKhPhPKlPlN2at6native12_GLOBAL__N_18offset_tEEE10hipError_tPvRmT1_PNSt15iterator_traitsISY_E10value_typeET2_T3_PNSZ_IS14_E10value_typeET4_jRbjT5_S1A_jjP12ihipStream_tbEUljE_EEESV_SW_SX_S14_S18_S1A_T6_T7_T9_mT8_S1C_bDpT10_ENKUlT_T0_E_clISt17integral_constantIbLb1EES1P_EEDaS1K_S1L_EUlS1K_E_NS1_11comp_targetILNS1_3genE4ELNS1_11target_archE910ELNS1_3gpuE8ELNS1_3repE0EEENS1_30default_config_static_selectorELNS0_4arch9wavefront6targetE1EEEvSY_
	.p2align	8
	.type	_ZN7rocprim17ROCPRIM_400000_NS6detail17trampoline_kernelINS0_13select_configILj256ELj13ELNS0_17block_load_methodE3ELS4_3ELS4_3ELNS0_20block_scan_algorithmE0ELj4294967295EEENS1_25partition_config_selectorILNS1_17partition_subalgoE3EjNS0_10empty_typeEbEEZZNS1_14partition_implILS8_3ELb0ES6_jNS0_17counting_iteratorIjlEEPS9_SE_NS0_5tupleIJPjSE_EEENSF_IJSE_SE_EEES9_SG_JZNS1_25segmented_radix_sort_implINS0_14default_configELb1EPKhPhPKlPlN2at6native12_GLOBAL__N_18offset_tEEE10hipError_tPvRmT1_PNSt15iterator_traitsISY_E10value_typeET2_T3_PNSZ_IS14_E10value_typeET4_jRbjT5_S1A_jjP12ihipStream_tbEUljE_EEESV_SW_SX_S14_S18_S1A_T6_T7_T9_mT8_S1C_bDpT10_ENKUlT_T0_E_clISt17integral_constantIbLb1EES1P_EEDaS1K_S1L_EUlS1K_E_NS1_11comp_targetILNS1_3genE4ELNS1_11target_archE910ELNS1_3gpuE8ELNS1_3repE0EEENS1_30default_config_static_selectorELNS0_4arch9wavefront6targetE1EEEvSY_,@function
_ZN7rocprim17ROCPRIM_400000_NS6detail17trampoline_kernelINS0_13select_configILj256ELj13ELNS0_17block_load_methodE3ELS4_3ELS4_3ELNS0_20block_scan_algorithmE0ELj4294967295EEENS1_25partition_config_selectorILNS1_17partition_subalgoE3EjNS0_10empty_typeEbEEZZNS1_14partition_implILS8_3ELb0ES6_jNS0_17counting_iteratorIjlEEPS9_SE_NS0_5tupleIJPjSE_EEENSF_IJSE_SE_EEES9_SG_JZNS1_25segmented_radix_sort_implINS0_14default_configELb1EPKhPhPKlPlN2at6native12_GLOBAL__N_18offset_tEEE10hipError_tPvRmT1_PNSt15iterator_traitsISY_E10value_typeET2_T3_PNSZ_IS14_E10value_typeET4_jRbjT5_S1A_jjP12ihipStream_tbEUljE_EEESV_SW_SX_S14_S18_S1A_T6_T7_T9_mT8_S1C_bDpT10_ENKUlT_T0_E_clISt17integral_constantIbLb1EES1P_EEDaS1K_S1L_EUlS1K_E_NS1_11comp_targetILNS1_3genE4ELNS1_11target_archE910ELNS1_3gpuE8ELNS1_3repE0EEENS1_30default_config_static_selectorELNS0_4arch9wavefront6targetE1EEEvSY_: ; @_ZN7rocprim17ROCPRIM_400000_NS6detail17trampoline_kernelINS0_13select_configILj256ELj13ELNS0_17block_load_methodE3ELS4_3ELS4_3ELNS0_20block_scan_algorithmE0ELj4294967295EEENS1_25partition_config_selectorILNS1_17partition_subalgoE3EjNS0_10empty_typeEbEEZZNS1_14partition_implILS8_3ELb0ES6_jNS0_17counting_iteratorIjlEEPS9_SE_NS0_5tupleIJPjSE_EEENSF_IJSE_SE_EEES9_SG_JZNS1_25segmented_radix_sort_implINS0_14default_configELb1EPKhPhPKlPlN2at6native12_GLOBAL__N_18offset_tEEE10hipError_tPvRmT1_PNSt15iterator_traitsISY_E10value_typeET2_T3_PNSZ_IS14_E10value_typeET4_jRbjT5_S1A_jjP12ihipStream_tbEUljE_EEESV_SW_SX_S14_S18_S1A_T6_T7_T9_mT8_S1C_bDpT10_ENKUlT_T0_E_clISt17integral_constantIbLb1EES1P_EEDaS1K_S1L_EUlS1K_E_NS1_11comp_targetILNS1_3genE4ELNS1_11target_archE910ELNS1_3gpuE8ELNS1_3repE0EEENS1_30default_config_static_selectorELNS0_4arch9wavefront6targetE1EEEvSY_
; %bb.0:
	.section	.rodata,"a",@progbits
	.p2align	6, 0x0
	.amdhsa_kernel _ZN7rocprim17ROCPRIM_400000_NS6detail17trampoline_kernelINS0_13select_configILj256ELj13ELNS0_17block_load_methodE3ELS4_3ELS4_3ELNS0_20block_scan_algorithmE0ELj4294967295EEENS1_25partition_config_selectorILNS1_17partition_subalgoE3EjNS0_10empty_typeEbEEZZNS1_14partition_implILS8_3ELb0ES6_jNS0_17counting_iteratorIjlEEPS9_SE_NS0_5tupleIJPjSE_EEENSF_IJSE_SE_EEES9_SG_JZNS1_25segmented_radix_sort_implINS0_14default_configELb1EPKhPhPKlPlN2at6native12_GLOBAL__N_18offset_tEEE10hipError_tPvRmT1_PNSt15iterator_traitsISY_E10value_typeET2_T3_PNSZ_IS14_E10value_typeET4_jRbjT5_S1A_jjP12ihipStream_tbEUljE_EEESV_SW_SX_S14_S18_S1A_T6_T7_T9_mT8_S1C_bDpT10_ENKUlT_T0_E_clISt17integral_constantIbLb1EES1P_EEDaS1K_S1L_EUlS1K_E_NS1_11comp_targetILNS1_3genE4ELNS1_11target_archE910ELNS1_3gpuE8ELNS1_3repE0EEENS1_30default_config_static_selectorELNS0_4arch9wavefront6targetE1EEEvSY_
		.amdhsa_group_segment_fixed_size 0
		.amdhsa_private_segment_fixed_size 0
		.amdhsa_kernarg_size 152
		.amdhsa_user_sgpr_count 6
		.amdhsa_user_sgpr_private_segment_buffer 1
		.amdhsa_user_sgpr_dispatch_ptr 0
		.amdhsa_user_sgpr_queue_ptr 0
		.amdhsa_user_sgpr_kernarg_segment_ptr 1
		.amdhsa_user_sgpr_dispatch_id 0
		.amdhsa_user_sgpr_flat_scratch_init 0
		.amdhsa_user_sgpr_private_segment_size 0
		.amdhsa_uses_dynamic_stack 0
		.amdhsa_system_sgpr_private_segment_wavefront_offset 0
		.amdhsa_system_sgpr_workgroup_id_x 1
		.amdhsa_system_sgpr_workgroup_id_y 0
		.amdhsa_system_sgpr_workgroup_id_z 0
		.amdhsa_system_sgpr_workgroup_info 0
		.amdhsa_system_vgpr_workitem_id 0
		.amdhsa_next_free_vgpr 1
		.amdhsa_next_free_sgpr 0
		.amdhsa_reserve_vcc 0
		.amdhsa_reserve_flat_scratch 0
		.amdhsa_float_round_mode_32 0
		.amdhsa_float_round_mode_16_64 0
		.amdhsa_float_denorm_mode_32 3
		.amdhsa_float_denorm_mode_16_64 3
		.amdhsa_dx10_clamp 1
		.amdhsa_ieee_mode 1
		.amdhsa_fp16_overflow 0
		.amdhsa_exception_fp_ieee_invalid_op 0
		.amdhsa_exception_fp_denorm_src 0
		.amdhsa_exception_fp_ieee_div_zero 0
		.amdhsa_exception_fp_ieee_overflow 0
		.amdhsa_exception_fp_ieee_underflow 0
		.amdhsa_exception_fp_ieee_inexact 0
		.amdhsa_exception_int_div_zero 0
	.end_amdhsa_kernel
	.section	.text._ZN7rocprim17ROCPRIM_400000_NS6detail17trampoline_kernelINS0_13select_configILj256ELj13ELNS0_17block_load_methodE3ELS4_3ELS4_3ELNS0_20block_scan_algorithmE0ELj4294967295EEENS1_25partition_config_selectorILNS1_17partition_subalgoE3EjNS0_10empty_typeEbEEZZNS1_14partition_implILS8_3ELb0ES6_jNS0_17counting_iteratorIjlEEPS9_SE_NS0_5tupleIJPjSE_EEENSF_IJSE_SE_EEES9_SG_JZNS1_25segmented_radix_sort_implINS0_14default_configELb1EPKhPhPKlPlN2at6native12_GLOBAL__N_18offset_tEEE10hipError_tPvRmT1_PNSt15iterator_traitsISY_E10value_typeET2_T3_PNSZ_IS14_E10value_typeET4_jRbjT5_S1A_jjP12ihipStream_tbEUljE_EEESV_SW_SX_S14_S18_S1A_T6_T7_T9_mT8_S1C_bDpT10_ENKUlT_T0_E_clISt17integral_constantIbLb1EES1P_EEDaS1K_S1L_EUlS1K_E_NS1_11comp_targetILNS1_3genE4ELNS1_11target_archE910ELNS1_3gpuE8ELNS1_3repE0EEENS1_30default_config_static_selectorELNS0_4arch9wavefront6targetE1EEEvSY_,"axG",@progbits,_ZN7rocprim17ROCPRIM_400000_NS6detail17trampoline_kernelINS0_13select_configILj256ELj13ELNS0_17block_load_methodE3ELS4_3ELS4_3ELNS0_20block_scan_algorithmE0ELj4294967295EEENS1_25partition_config_selectorILNS1_17partition_subalgoE3EjNS0_10empty_typeEbEEZZNS1_14partition_implILS8_3ELb0ES6_jNS0_17counting_iteratorIjlEEPS9_SE_NS0_5tupleIJPjSE_EEENSF_IJSE_SE_EEES9_SG_JZNS1_25segmented_radix_sort_implINS0_14default_configELb1EPKhPhPKlPlN2at6native12_GLOBAL__N_18offset_tEEE10hipError_tPvRmT1_PNSt15iterator_traitsISY_E10value_typeET2_T3_PNSZ_IS14_E10value_typeET4_jRbjT5_S1A_jjP12ihipStream_tbEUljE_EEESV_SW_SX_S14_S18_S1A_T6_T7_T9_mT8_S1C_bDpT10_ENKUlT_T0_E_clISt17integral_constantIbLb1EES1P_EEDaS1K_S1L_EUlS1K_E_NS1_11comp_targetILNS1_3genE4ELNS1_11target_archE910ELNS1_3gpuE8ELNS1_3repE0EEENS1_30default_config_static_selectorELNS0_4arch9wavefront6targetE1EEEvSY_,comdat
.Lfunc_end59:
	.size	_ZN7rocprim17ROCPRIM_400000_NS6detail17trampoline_kernelINS0_13select_configILj256ELj13ELNS0_17block_load_methodE3ELS4_3ELS4_3ELNS0_20block_scan_algorithmE0ELj4294967295EEENS1_25partition_config_selectorILNS1_17partition_subalgoE3EjNS0_10empty_typeEbEEZZNS1_14partition_implILS8_3ELb0ES6_jNS0_17counting_iteratorIjlEEPS9_SE_NS0_5tupleIJPjSE_EEENSF_IJSE_SE_EEES9_SG_JZNS1_25segmented_radix_sort_implINS0_14default_configELb1EPKhPhPKlPlN2at6native12_GLOBAL__N_18offset_tEEE10hipError_tPvRmT1_PNSt15iterator_traitsISY_E10value_typeET2_T3_PNSZ_IS14_E10value_typeET4_jRbjT5_S1A_jjP12ihipStream_tbEUljE_EEESV_SW_SX_S14_S18_S1A_T6_T7_T9_mT8_S1C_bDpT10_ENKUlT_T0_E_clISt17integral_constantIbLb1EES1P_EEDaS1K_S1L_EUlS1K_E_NS1_11comp_targetILNS1_3genE4ELNS1_11target_archE910ELNS1_3gpuE8ELNS1_3repE0EEENS1_30default_config_static_selectorELNS0_4arch9wavefront6targetE1EEEvSY_, .Lfunc_end59-_ZN7rocprim17ROCPRIM_400000_NS6detail17trampoline_kernelINS0_13select_configILj256ELj13ELNS0_17block_load_methodE3ELS4_3ELS4_3ELNS0_20block_scan_algorithmE0ELj4294967295EEENS1_25partition_config_selectorILNS1_17partition_subalgoE3EjNS0_10empty_typeEbEEZZNS1_14partition_implILS8_3ELb0ES6_jNS0_17counting_iteratorIjlEEPS9_SE_NS0_5tupleIJPjSE_EEENSF_IJSE_SE_EEES9_SG_JZNS1_25segmented_radix_sort_implINS0_14default_configELb1EPKhPhPKlPlN2at6native12_GLOBAL__N_18offset_tEEE10hipError_tPvRmT1_PNSt15iterator_traitsISY_E10value_typeET2_T3_PNSZ_IS14_E10value_typeET4_jRbjT5_S1A_jjP12ihipStream_tbEUljE_EEESV_SW_SX_S14_S18_S1A_T6_T7_T9_mT8_S1C_bDpT10_ENKUlT_T0_E_clISt17integral_constantIbLb1EES1P_EEDaS1K_S1L_EUlS1K_E_NS1_11comp_targetILNS1_3genE4ELNS1_11target_archE910ELNS1_3gpuE8ELNS1_3repE0EEENS1_30default_config_static_selectorELNS0_4arch9wavefront6targetE1EEEvSY_
                                        ; -- End function
	.set _ZN7rocprim17ROCPRIM_400000_NS6detail17trampoline_kernelINS0_13select_configILj256ELj13ELNS0_17block_load_methodE3ELS4_3ELS4_3ELNS0_20block_scan_algorithmE0ELj4294967295EEENS1_25partition_config_selectorILNS1_17partition_subalgoE3EjNS0_10empty_typeEbEEZZNS1_14partition_implILS8_3ELb0ES6_jNS0_17counting_iteratorIjlEEPS9_SE_NS0_5tupleIJPjSE_EEENSF_IJSE_SE_EEES9_SG_JZNS1_25segmented_radix_sort_implINS0_14default_configELb1EPKhPhPKlPlN2at6native12_GLOBAL__N_18offset_tEEE10hipError_tPvRmT1_PNSt15iterator_traitsISY_E10value_typeET2_T3_PNSZ_IS14_E10value_typeET4_jRbjT5_S1A_jjP12ihipStream_tbEUljE_EEESV_SW_SX_S14_S18_S1A_T6_T7_T9_mT8_S1C_bDpT10_ENKUlT_T0_E_clISt17integral_constantIbLb1EES1P_EEDaS1K_S1L_EUlS1K_E_NS1_11comp_targetILNS1_3genE4ELNS1_11target_archE910ELNS1_3gpuE8ELNS1_3repE0EEENS1_30default_config_static_selectorELNS0_4arch9wavefront6targetE1EEEvSY_.num_vgpr, 0
	.set _ZN7rocprim17ROCPRIM_400000_NS6detail17trampoline_kernelINS0_13select_configILj256ELj13ELNS0_17block_load_methodE3ELS4_3ELS4_3ELNS0_20block_scan_algorithmE0ELj4294967295EEENS1_25partition_config_selectorILNS1_17partition_subalgoE3EjNS0_10empty_typeEbEEZZNS1_14partition_implILS8_3ELb0ES6_jNS0_17counting_iteratorIjlEEPS9_SE_NS0_5tupleIJPjSE_EEENSF_IJSE_SE_EEES9_SG_JZNS1_25segmented_radix_sort_implINS0_14default_configELb1EPKhPhPKlPlN2at6native12_GLOBAL__N_18offset_tEEE10hipError_tPvRmT1_PNSt15iterator_traitsISY_E10value_typeET2_T3_PNSZ_IS14_E10value_typeET4_jRbjT5_S1A_jjP12ihipStream_tbEUljE_EEESV_SW_SX_S14_S18_S1A_T6_T7_T9_mT8_S1C_bDpT10_ENKUlT_T0_E_clISt17integral_constantIbLb1EES1P_EEDaS1K_S1L_EUlS1K_E_NS1_11comp_targetILNS1_3genE4ELNS1_11target_archE910ELNS1_3gpuE8ELNS1_3repE0EEENS1_30default_config_static_selectorELNS0_4arch9wavefront6targetE1EEEvSY_.num_agpr, 0
	.set _ZN7rocprim17ROCPRIM_400000_NS6detail17trampoline_kernelINS0_13select_configILj256ELj13ELNS0_17block_load_methodE3ELS4_3ELS4_3ELNS0_20block_scan_algorithmE0ELj4294967295EEENS1_25partition_config_selectorILNS1_17partition_subalgoE3EjNS0_10empty_typeEbEEZZNS1_14partition_implILS8_3ELb0ES6_jNS0_17counting_iteratorIjlEEPS9_SE_NS0_5tupleIJPjSE_EEENSF_IJSE_SE_EEES9_SG_JZNS1_25segmented_radix_sort_implINS0_14default_configELb1EPKhPhPKlPlN2at6native12_GLOBAL__N_18offset_tEEE10hipError_tPvRmT1_PNSt15iterator_traitsISY_E10value_typeET2_T3_PNSZ_IS14_E10value_typeET4_jRbjT5_S1A_jjP12ihipStream_tbEUljE_EEESV_SW_SX_S14_S18_S1A_T6_T7_T9_mT8_S1C_bDpT10_ENKUlT_T0_E_clISt17integral_constantIbLb1EES1P_EEDaS1K_S1L_EUlS1K_E_NS1_11comp_targetILNS1_3genE4ELNS1_11target_archE910ELNS1_3gpuE8ELNS1_3repE0EEENS1_30default_config_static_selectorELNS0_4arch9wavefront6targetE1EEEvSY_.numbered_sgpr, 0
	.set _ZN7rocprim17ROCPRIM_400000_NS6detail17trampoline_kernelINS0_13select_configILj256ELj13ELNS0_17block_load_methodE3ELS4_3ELS4_3ELNS0_20block_scan_algorithmE0ELj4294967295EEENS1_25partition_config_selectorILNS1_17partition_subalgoE3EjNS0_10empty_typeEbEEZZNS1_14partition_implILS8_3ELb0ES6_jNS0_17counting_iteratorIjlEEPS9_SE_NS0_5tupleIJPjSE_EEENSF_IJSE_SE_EEES9_SG_JZNS1_25segmented_radix_sort_implINS0_14default_configELb1EPKhPhPKlPlN2at6native12_GLOBAL__N_18offset_tEEE10hipError_tPvRmT1_PNSt15iterator_traitsISY_E10value_typeET2_T3_PNSZ_IS14_E10value_typeET4_jRbjT5_S1A_jjP12ihipStream_tbEUljE_EEESV_SW_SX_S14_S18_S1A_T6_T7_T9_mT8_S1C_bDpT10_ENKUlT_T0_E_clISt17integral_constantIbLb1EES1P_EEDaS1K_S1L_EUlS1K_E_NS1_11comp_targetILNS1_3genE4ELNS1_11target_archE910ELNS1_3gpuE8ELNS1_3repE0EEENS1_30default_config_static_selectorELNS0_4arch9wavefront6targetE1EEEvSY_.num_named_barrier, 0
	.set _ZN7rocprim17ROCPRIM_400000_NS6detail17trampoline_kernelINS0_13select_configILj256ELj13ELNS0_17block_load_methodE3ELS4_3ELS4_3ELNS0_20block_scan_algorithmE0ELj4294967295EEENS1_25partition_config_selectorILNS1_17partition_subalgoE3EjNS0_10empty_typeEbEEZZNS1_14partition_implILS8_3ELb0ES6_jNS0_17counting_iteratorIjlEEPS9_SE_NS0_5tupleIJPjSE_EEENSF_IJSE_SE_EEES9_SG_JZNS1_25segmented_radix_sort_implINS0_14default_configELb1EPKhPhPKlPlN2at6native12_GLOBAL__N_18offset_tEEE10hipError_tPvRmT1_PNSt15iterator_traitsISY_E10value_typeET2_T3_PNSZ_IS14_E10value_typeET4_jRbjT5_S1A_jjP12ihipStream_tbEUljE_EEESV_SW_SX_S14_S18_S1A_T6_T7_T9_mT8_S1C_bDpT10_ENKUlT_T0_E_clISt17integral_constantIbLb1EES1P_EEDaS1K_S1L_EUlS1K_E_NS1_11comp_targetILNS1_3genE4ELNS1_11target_archE910ELNS1_3gpuE8ELNS1_3repE0EEENS1_30default_config_static_selectorELNS0_4arch9wavefront6targetE1EEEvSY_.private_seg_size, 0
	.set _ZN7rocprim17ROCPRIM_400000_NS6detail17trampoline_kernelINS0_13select_configILj256ELj13ELNS0_17block_load_methodE3ELS4_3ELS4_3ELNS0_20block_scan_algorithmE0ELj4294967295EEENS1_25partition_config_selectorILNS1_17partition_subalgoE3EjNS0_10empty_typeEbEEZZNS1_14partition_implILS8_3ELb0ES6_jNS0_17counting_iteratorIjlEEPS9_SE_NS0_5tupleIJPjSE_EEENSF_IJSE_SE_EEES9_SG_JZNS1_25segmented_radix_sort_implINS0_14default_configELb1EPKhPhPKlPlN2at6native12_GLOBAL__N_18offset_tEEE10hipError_tPvRmT1_PNSt15iterator_traitsISY_E10value_typeET2_T3_PNSZ_IS14_E10value_typeET4_jRbjT5_S1A_jjP12ihipStream_tbEUljE_EEESV_SW_SX_S14_S18_S1A_T6_T7_T9_mT8_S1C_bDpT10_ENKUlT_T0_E_clISt17integral_constantIbLb1EES1P_EEDaS1K_S1L_EUlS1K_E_NS1_11comp_targetILNS1_3genE4ELNS1_11target_archE910ELNS1_3gpuE8ELNS1_3repE0EEENS1_30default_config_static_selectorELNS0_4arch9wavefront6targetE1EEEvSY_.uses_vcc, 0
	.set _ZN7rocprim17ROCPRIM_400000_NS6detail17trampoline_kernelINS0_13select_configILj256ELj13ELNS0_17block_load_methodE3ELS4_3ELS4_3ELNS0_20block_scan_algorithmE0ELj4294967295EEENS1_25partition_config_selectorILNS1_17partition_subalgoE3EjNS0_10empty_typeEbEEZZNS1_14partition_implILS8_3ELb0ES6_jNS0_17counting_iteratorIjlEEPS9_SE_NS0_5tupleIJPjSE_EEENSF_IJSE_SE_EEES9_SG_JZNS1_25segmented_radix_sort_implINS0_14default_configELb1EPKhPhPKlPlN2at6native12_GLOBAL__N_18offset_tEEE10hipError_tPvRmT1_PNSt15iterator_traitsISY_E10value_typeET2_T3_PNSZ_IS14_E10value_typeET4_jRbjT5_S1A_jjP12ihipStream_tbEUljE_EEESV_SW_SX_S14_S18_S1A_T6_T7_T9_mT8_S1C_bDpT10_ENKUlT_T0_E_clISt17integral_constantIbLb1EES1P_EEDaS1K_S1L_EUlS1K_E_NS1_11comp_targetILNS1_3genE4ELNS1_11target_archE910ELNS1_3gpuE8ELNS1_3repE0EEENS1_30default_config_static_selectorELNS0_4arch9wavefront6targetE1EEEvSY_.uses_flat_scratch, 0
	.set _ZN7rocprim17ROCPRIM_400000_NS6detail17trampoline_kernelINS0_13select_configILj256ELj13ELNS0_17block_load_methodE3ELS4_3ELS4_3ELNS0_20block_scan_algorithmE0ELj4294967295EEENS1_25partition_config_selectorILNS1_17partition_subalgoE3EjNS0_10empty_typeEbEEZZNS1_14partition_implILS8_3ELb0ES6_jNS0_17counting_iteratorIjlEEPS9_SE_NS0_5tupleIJPjSE_EEENSF_IJSE_SE_EEES9_SG_JZNS1_25segmented_radix_sort_implINS0_14default_configELb1EPKhPhPKlPlN2at6native12_GLOBAL__N_18offset_tEEE10hipError_tPvRmT1_PNSt15iterator_traitsISY_E10value_typeET2_T3_PNSZ_IS14_E10value_typeET4_jRbjT5_S1A_jjP12ihipStream_tbEUljE_EEESV_SW_SX_S14_S18_S1A_T6_T7_T9_mT8_S1C_bDpT10_ENKUlT_T0_E_clISt17integral_constantIbLb1EES1P_EEDaS1K_S1L_EUlS1K_E_NS1_11comp_targetILNS1_3genE4ELNS1_11target_archE910ELNS1_3gpuE8ELNS1_3repE0EEENS1_30default_config_static_selectorELNS0_4arch9wavefront6targetE1EEEvSY_.has_dyn_sized_stack, 0
	.set _ZN7rocprim17ROCPRIM_400000_NS6detail17trampoline_kernelINS0_13select_configILj256ELj13ELNS0_17block_load_methodE3ELS4_3ELS4_3ELNS0_20block_scan_algorithmE0ELj4294967295EEENS1_25partition_config_selectorILNS1_17partition_subalgoE3EjNS0_10empty_typeEbEEZZNS1_14partition_implILS8_3ELb0ES6_jNS0_17counting_iteratorIjlEEPS9_SE_NS0_5tupleIJPjSE_EEENSF_IJSE_SE_EEES9_SG_JZNS1_25segmented_radix_sort_implINS0_14default_configELb1EPKhPhPKlPlN2at6native12_GLOBAL__N_18offset_tEEE10hipError_tPvRmT1_PNSt15iterator_traitsISY_E10value_typeET2_T3_PNSZ_IS14_E10value_typeET4_jRbjT5_S1A_jjP12ihipStream_tbEUljE_EEESV_SW_SX_S14_S18_S1A_T6_T7_T9_mT8_S1C_bDpT10_ENKUlT_T0_E_clISt17integral_constantIbLb1EES1P_EEDaS1K_S1L_EUlS1K_E_NS1_11comp_targetILNS1_3genE4ELNS1_11target_archE910ELNS1_3gpuE8ELNS1_3repE0EEENS1_30default_config_static_selectorELNS0_4arch9wavefront6targetE1EEEvSY_.has_recursion, 0
	.set _ZN7rocprim17ROCPRIM_400000_NS6detail17trampoline_kernelINS0_13select_configILj256ELj13ELNS0_17block_load_methodE3ELS4_3ELS4_3ELNS0_20block_scan_algorithmE0ELj4294967295EEENS1_25partition_config_selectorILNS1_17partition_subalgoE3EjNS0_10empty_typeEbEEZZNS1_14partition_implILS8_3ELb0ES6_jNS0_17counting_iteratorIjlEEPS9_SE_NS0_5tupleIJPjSE_EEENSF_IJSE_SE_EEES9_SG_JZNS1_25segmented_radix_sort_implINS0_14default_configELb1EPKhPhPKlPlN2at6native12_GLOBAL__N_18offset_tEEE10hipError_tPvRmT1_PNSt15iterator_traitsISY_E10value_typeET2_T3_PNSZ_IS14_E10value_typeET4_jRbjT5_S1A_jjP12ihipStream_tbEUljE_EEESV_SW_SX_S14_S18_S1A_T6_T7_T9_mT8_S1C_bDpT10_ENKUlT_T0_E_clISt17integral_constantIbLb1EES1P_EEDaS1K_S1L_EUlS1K_E_NS1_11comp_targetILNS1_3genE4ELNS1_11target_archE910ELNS1_3gpuE8ELNS1_3repE0EEENS1_30default_config_static_selectorELNS0_4arch9wavefront6targetE1EEEvSY_.has_indirect_call, 0
	.section	.AMDGPU.csdata,"",@progbits
; Kernel info:
; codeLenInByte = 0
; TotalNumSgprs: 4
; NumVgprs: 0
; ScratchSize: 0
; MemoryBound: 0
; FloatMode: 240
; IeeeMode: 1
; LDSByteSize: 0 bytes/workgroup (compile time only)
; SGPRBlocks: 0
; VGPRBlocks: 0
; NumSGPRsForWavesPerEU: 4
; NumVGPRsForWavesPerEU: 1
; Occupancy: 10
; WaveLimiterHint : 0
; COMPUTE_PGM_RSRC2:SCRATCH_EN: 0
; COMPUTE_PGM_RSRC2:USER_SGPR: 6
; COMPUTE_PGM_RSRC2:TRAP_HANDLER: 0
; COMPUTE_PGM_RSRC2:TGID_X_EN: 1
; COMPUTE_PGM_RSRC2:TGID_Y_EN: 0
; COMPUTE_PGM_RSRC2:TGID_Z_EN: 0
; COMPUTE_PGM_RSRC2:TIDIG_COMP_CNT: 0
	.section	.text._ZN7rocprim17ROCPRIM_400000_NS6detail17trampoline_kernelINS0_13select_configILj256ELj13ELNS0_17block_load_methodE3ELS4_3ELS4_3ELNS0_20block_scan_algorithmE0ELj4294967295EEENS1_25partition_config_selectorILNS1_17partition_subalgoE3EjNS0_10empty_typeEbEEZZNS1_14partition_implILS8_3ELb0ES6_jNS0_17counting_iteratorIjlEEPS9_SE_NS0_5tupleIJPjSE_EEENSF_IJSE_SE_EEES9_SG_JZNS1_25segmented_radix_sort_implINS0_14default_configELb1EPKhPhPKlPlN2at6native12_GLOBAL__N_18offset_tEEE10hipError_tPvRmT1_PNSt15iterator_traitsISY_E10value_typeET2_T3_PNSZ_IS14_E10value_typeET4_jRbjT5_S1A_jjP12ihipStream_tbEUljE_EEESV_SW_SX_S14_S18_S1A_T6_T7_T9_mT8_S1C_bDpT10_ENKUlT_T0_E_clISt17integral_constantIbLb1EES1P_EEDaS1K_S1L_EUlS1K_E_NS1_11comp_targetILNS1_3genE3ELNS1_11target_archE908ELNS1_3gpuE7ELNS1_3repE0EEENS1_30default_config_static_selectorELNS0_4arch9wavefront6targetE1EEEvSY_,"axG",@progbits,_ZN7rocprim17ROCPRIM_400000_NS6detail17trampoline_kernelINS0_13select_configILj256ELj13ELNS0_17block_load_methodE3ELS4_3ELS4_3ELNS0_20block_scan_algorithmE0ELj4294967295EEENS1_25partition_config_selectorILNS1_17partition_subalgoE3EjNS0_10empty_typeEbEEZZNS1_14partition_implILS8_3ELb0ES6_jNS0_17counting_iteratorIjlEEPS9_SE_NS0_5tupleIJPjSE_EEENSF_IJSE_SE_EEES9_SG_JZNS1_25segmented_radix_sort_implINS0_14default_configELb1EPKhPhPKlPlN2at6native12_GLOBAL__N_18offset_tEEE10hipError_tPvRmT1_PNSt15iterator_traitsISY_E10value_typeET2_T3_PNSZ_IS14_E10value_typeET4_jRbjT5_S1A_jjP12ihipStream_tbEUljE_EEESV_SW_SX_S14_S18_S1A_T6_T7_T9_mT8_S1C_bDpT10_ENKUlT_T0_E_clISt17integral_constantIbLb1EES1P_EEDaS1K_S1L_EUlS1K_E_NS1_11comp_targetILNS1_3genE3ELNS1_11target_archE908ELNS1_3gpuE7ELNS1_3repE0EEENS1_30default_config_static_selectorELNS0_4arch9wavefront6targetE1EEEvSY_,comdat
	.globl	_ZN7rocprim17ROCPRIM_400000_NS6detail17trampoline_kernelINS0_13select_configILj256ELj13ELNS0_17block_load_methodE3ELS4_3ELS4_3ELNS0_20block_scan_algorithmE0ELj4294967295EEENS1_25partition_config_selectorILNS1_17partition_subalgoE3EjNS0_10empty_typeEbEEZZNS1_14partition_implILS8_3ELb0ES6_jNS0_17counting_iteratorIjlEEPS9_SE_NS0_5tupleIJPjSE_EEENSF_IJSE_SE_EEES9_SG_JZNS1_25segmented_radix_sort_implINS0_14default_configELb1EPKhPhPKlPlN2at6native12_GLOBAL__N_18offset_tEEE10hipError_tPvRmT1_PNSt15iterator_traitsISY_E10value_typeET2_T3_PNSZ_IS14_E10value_typeET4_jRbjT5_S1A_jjP12ihipStream_tbEUljE_EEESV_SW_SX_S14_S18_S1A_T6_T7_T9_mT8_S1C_bDpT10_ENKUlT_T0_E_clISt17integral_constantIbLb1EES1P_EEDaS1K_S1L_EUlS1K_E_NS1_11comp_targetILNS1_3genE3ELNS1_11target_archE908ELNS1_3gpuE7ELNS1_3repE0EEENS1_30default_config_static_selectorELNS0_4arch9wavefront6targetE1EEEvSY_ ; -- Begin function _ZN7rocprim17ROCPRIM_400000_NS6detail17trampoline_kernelINS0_13select_configILj256ELj13ELNS0_17block_load_methodE3ELS4_3ELS4_3ELNS0_20block_scan_algorithmE0ELj4294967295EEENS1_25partition_config_selectorILNS1_17partition_subalgoE3EjNS0_10empty_typeEbEEZZNS1_14partition_implILS8_3ELb0ES6_jNS0_17counting_iteratorIjlEEPS9_SE_NS0_5tupleIJPjSE_EEENSF_IJSE_SE_EEES9_SG_JZNS1_25segmented_radix_sort_implINS0_14default_configELb1EPKhPhPKlPlN2at6native12_GLOBAL__N_18offset_tEEE10hipError_tPvRmT1_PNSt15iterator_traitsISY_E10value_typeET2_T3_PNSZ_IS14_E10value_typeET4_jRbjT5_S1A_jjP12ihipStream_tbEUljE_EEESV_SW_SX_S14_S18_S1A_T6_T7_T9_mT8_S1C_bDpT10_ENKUlT_T0_E_clISt17integral_constantIbLb1EES1P_EEDaS1K_S1L_EUlS1K_E_NS1_11comp_targetILNS1_3genE3ELNS1_11target_archE908ELNS1_3gpuE7ELNS1_3repE0EEENS1_30default_config_static_selectorELNS0_4arch9wavefront6targetE1EEEvSY_
	.p2align	8
	.type	_ZN7rocprim17ROCPRIM_400000_NS6detail17trampoline_kernelINS0_13select_configILj256ELj13ELNS0_17block_load_methodE3ELS4_3ELS4_3ELNS0_20block_scan_algorithmE0ELj4294967295EEENS1_25partition_config_selectorILNS1_17partition_subalgoE3EjNS0_10empty_typeEbEEZZNS1_14partition_implILS8_3ELb0ES6_jNS0_17counting_iteratorIjlEEPS9_SE_NS0_5tupleIJPjSE_EEENSF_IJSE_SE_EEES9_SG_JZNS1_25segmented_radix_sort_implINS0_14default_configELb1EPKhPhPKlPlN2at6native12_GLOBAL__N_18offset_tEEE10hipError_tPvRmT1_PNSt15iterator_traitsISY_E10value_typeET2_T3_PNSZ_IS14_E10value_typeET4_jRbjT5_S1A_jjP12ihipStream_tbEUljE_EEESV_SW_SX_S14_S18_S1A_T6_T7_T9_mT8_S1C_bDpT10_ENKUlT_T0_E_clISt17integral_constantIbLb1EES1P_EEDaS1K_S1L_EUlS1K_E_NS1_11comp_targetILNS1_3genE3ELNS1_11target_archE908ELNS1_3gpuE7ELNS1_3repE0EEENS1_30default_config_static_selectorELNS0_4arch9wavefront6targetE1EEEvSY_,@function
_ZN7rocprim17ROCPRIM_400000_NS6detail17trampoline_kernelINS0_13select_configILj256ELj13ELNS0_17block_load_methodE3ELS4_3ELS4_3ELNS0_20block_scan_algorithmE0ELj4294967295EEENS1_25partition_config_selectorILNS1_17partition_subalgoE3EjNS0_10empty_typeEbEEZZNS1_14partition_implILS8_3ELb0ES6_jNS0_17counting_iteratorIjlEEPS9_SE_NS0_5tupleIJPjSE_EEENSF_IJSE_SE_EEES9_SG_JZNS1_25segmented_radix_sort_implINS0_14default_configELb1EPKhPhPKlPlN2at6native12_GLOBAL__N_18offset_tEEE10hipError_tPvRmT1_PNSt15iterator_traitsISY_E10value_typeET2_T3_PNSZ_IS14_E10value_typeET4_jRbjT5_S1A_jjP12ihipStream_tbEUljE_EEESV_SW_SX_S14_S18_S1A_T6_T7_T9_mT8_S1C_bDpT10_ENKUlT_T0_E_clISt17integral_constantIbLb1EES1P_EEDaS1K_S1L_EUlS1K_E_NS1_11comp_targetILNS1_3genE3ELNS1_11target_archE908ELNS1_3gpuE7ELNS1_3repE0EEENS1_30default_config_static_selectorELNS0_4arch9wavefront6targetE1EEEvSY_: ; @_ZN7rocprim17ROCPRIM_400000_NS6detail17trampoline_kernelINS0_13select_configILj256ELj13ELNS0_17block_load_methodE3ELS4_3ELS4_3ELNS0_20block_scan_algorithmE0ELj4294967295EEENS1_25partition_config_selectorILNS1_17partition_subalgoE3EjNS0_10empty_typeEbEEZZNS1_14partition_implILS8_3ELb0ES6_jNS0_17counting_iteratorIjlEEPS9_SE_NS0_5tupleIJPjSE_EEENSF_IJSE_SE_EEES9_SG_JZNS1_25segmented_radix_sort_implINS0_14default_configELb1EPKhPhPKlPlN2at6native12_GLOBAL__N_18offset_tEEE10hipError_tPvRmT1_PNSt15iterator_traitsISY_E10value_typeET2_T3_PNSZ_IS14_E10value_typeET4_jRbjT5_S1A_jjP12ihipStream_tbEUljE_EEESV_SW_SX_S14_S18_S1A_T6_T7_T9_mT8_S1C_bDpT10_ENKUlT_T0_E_clISt17integral_constantIbLb1EES1P_EEDaS1K_S1L_EUlS1K_E_NS1_11comp_targetILNS1_3genE3ELNS1_11target_archE908ELNS1_3gpuE7ELNS1_3repE0EEENS1_30default_config_static_selectorELNS0_4arch9wavefront6targetE1EEEvSY_
; %bb.0:
	.section	.rodata,"a",@progbits
	.p2align	6, 0x0
	.amdhsa_kernel _ZN7rocprim17ROCPRIM_400000_NS6detail17trampoline_kernelINS0_13select_configILj256ELj13ELNS0_17block_load_methodE3ELS4_3ELS4_3ELNS0_20block_scan_algorithmE0ELj4294967295EEENS1_25partition_config_selectorILNS1_17partition_subalgoE3EjNS0_10empty_typeEbEEZZNS1_14partition_implILS8_3ELb0ES6_jNS0_17counting_iteratorIjlEEPS9_SE_NS0_5tupleIJPjSE_EEENSF_IJSE_SE_EEES9_SG_JZNS1_25segmented_radix_sort_implINS0_14default_configELb1EPKhPhPKlPlN2at6native12_GLOBAL__N_18offset_tEEE10hipError_tPvRmT1_PNSt15iterator_traitsISY_E10value_typeET2_T3_PNSZ_IS14_E10value_typeET4_jRbjT5_S1A_jjP12ihipStream_tbEUljE_EEESV_SW_SX_S14_S18_S1A_T6_T7_T9_mT8_S1C_bDpT10_ENKUlT_T0_E_clISt17integral_constantIbLb1EES1P_EEDaS1K_S1L_EUlS1K_E_NS1_11comp_targetILNS1_3genE3ELNS1_11target_archE908ELNS1_3gpuE7ELNS1_3repE0EEENS1_30default_config_static_selectorELNS0_4arch9wavefront6targetE1EEEvSY_
		.amdhsa_group_segment_fixed_size 0
		.amdhsa_private_segment_fixed_size 0
		.amdhsa_kernarg_size 152
		.amdhsa_user_sgpr_count 6
		.amdhsa_user_sgpr_private_segment_buffer 1
		.amdhsa_user_sgpr_dispatch_ptr 0
		.amdhsa_user_sgpr_queue_ptr 0
		.amdhsa_user_sgpr_kernarg_segment_ptr 1
		.amdhsa_user_sgpr_dispatch_id 0
		.amdhsa_user_sgpr_flat_scratch_init 0
		.amdhsa_user_sgpr_private_segment_size 0
		.amdhsa_uses_dynamic_stack 0
		.amdhsa_system_sgpr_private_segment_wavefront_offset 0
		.amdhsa_system_sgpr_workgroup_id_x 1
		.amdhsa_system_sgpr_workgroup_id_y 0
		.amdhsa_system_sgpr_workgroup_id_z 0
		.amdhsa_system_sgpr_workgroup_info 0
		.amdhsa_system_vgpr_workitem_id 0
		.amdhsa_next_free_vgpr 1
		.amdhsa_next_free_sgpr 0
		.amdhsa_reserve_vcc 0
		.amdhsa_reserve_flat_scratch 0
		.amdhsa_float_round_mode_32 0
		.amdhsa_float_round_mode_16_64 0
		.amdhsa_float_denorm_mode_32 3
		.amdhsa_float_denorm_mode_16_64 3
		.amdhsa_dx10_clamp 1
		.amdhsa_ieee_mode 1
		.amdhsa_fp16_overflow 0
		.amdhsa_exception_fp_ieee_invalid_op 0
		.amdhsa_exception_fp_denorm_src 0
		.amdhsa_exception_fp_ieee_div_zero 0
		.amdhsa_exception_fp_ieee_overflow 0
		.amdhsa_exception_fp_ieee_underflow 0
		.amdhsa_exception_fp_ieee_inexact 0
		.amdhsa_exception_int_div_zero 0
	.end_amdhsa_kernel
	.section	.text._ZN7rocprim17ROCPRIM_400000_NS6detail17trampoline_kernelINS0_13select_configILj256ELj13ELNS0_17block_load_methodE3ELS4_3ELS4_3ELNS0_20block_scan_algorithmE0ELj4294967295EEENS1_25partition_config_selectorILNS1_17partition_subalgoE3EjNS0_10empty_typeEbEEZZNS1_14partition_implILS8_3ELb0ES6_jNS0_17counting_iteratorIjlEEPS9_SE_NS0_5tupleIJPjSE_EEENSF_IJSE_SE_EEES9_SG_JZNS1_25segmented_radix_sort_implINS0_14default_configELb1EPKhPhPKlPlN2at6native12_GLOBAL__N_18offset_tEEE10hipError_tPvRmT1_PNSt15iterator_traitsISY_E10value_typeET2_T3_PNSZ_IS14_E10value_typeET4_jRbjT5_S1A_jjP12ihipStream_tbEUljE_EEESV_SW_SX_S14_S18_S1A_T6_T7_T9_mT8_S1C_bDpT10_ENKUlT_T0_E_clISt17integral_constantIbLb1EES1P_EEDaS1K_S1L_EUlS1K_E_NS1_11comp_targetILNS1_3genE3ELNS1_11target_archE908ELNS1_3gpuE7ELNS1_3repE0EEENS1_30default_config_static_selectorELNS0_4arch9wavefront6targetE1EEEvSY_,"axG",@progbits,_ZN7rocprim17ROCPRIM_400000_NS6detail17trampoline_kernelINS0_13select_configILj256ELj13ELNS0_17block_load_methodE3ELS4_3ELS4_3ELNS0_20block_scan_algorithmE0ELj4294967295EEENS1_25partition_config_selectorILNS1_17partition_subalgoE3EjNS0_10empty_typeEbEEZZNS1_14partition_implILS8_3ELb0ES6_jNS0_17counting_iteratorIjlEEPS9_SE_NS0_5tupleIJPjSE_EEENSF_IJSE_SE_EEES9_SG_JZNS1_25segmented_radix_sort_implINS0_14default_configELb1EPKhPhPKlPlN2at6native12_GLOBAL__N_18offset_tEEE10hipError_tPvRmT1_PNSt15iterator_traitsISY_E10value_typeET2_T3_PNSZ_IS14_E10value_typeET4_jRbjT5_S1A_jjP12ihipStream_tbEUljE_EEESV_SW_SX_S14_S18_S1A_T6_T7_T9_mT8_S1C_bDpT10_ENKUlT_T0_E_clISt17integral_constantIbLb1EES1P_EEDaS1K_S1L_EUlS1K_E_NS1_11comp_targetILNS1_3genE3ELNS1_11target_archE908ELNS1_3gpuE7ELNS1_3repE0EEENS1_30default_config_static_selectorELNS0_4arch9wavefront6targetE1EEEvSY_,comdat
.Lfunc_end60:
	.size	_ZN7rocprim17ROCPRIM_400000_NS6detail17trampoline_kernelINS0_13select_configILj256ELj13ELNS0_17block_load_methodE3ELS4_3ELS4_3ELNS0_20block_scan_algorithmE0ELj4294967295EEENS1_25partition_config_selectorILNS1_17partition_subalgoE3EjNS0_10empty_typeEbEEZZNS1_14partition_implILS8_3ELb0ES6_jNS0_17counting_iteratorIjlEEPS9_SE_NS0_5tupleIJPjSE_EEENSF_IJSE_SE_EEES9_SG_JZNS1_25segmented_radix_sort_implINS0_14default_configELb1EPKhPhPKlPlN2at6native12_GLOBAL__N_18offset_tEEE10hipError_tPvRmT1_PNSt15iterator_traitsISY_E10value_typeET2_T3_PNSZ_IS14_E10value_typeET4_jRbjT5_S1A_jjP12ihipStream_tbEUljE_EEESV_SW_SX_S14_S18_S1A_T6_T7_T9_mT8_S1C_bDpT10_ENKUlT_T0_E_clISt17integral_constantIbLb1EES1P_EEDaS1K_S1L_EUlS1K_E_NS1_11comp_targetILNS1_3genE3ELNS1_11target_archE908ELNS1_3gpuE7ELNS1_3repE0EEENS1_30default_config_static_selectorELNS0_4arch9wavefront6targetE1EEEvSY_, .Lfunc_end60-_ZN7rocprim17ROCPRIM_400000_NS6detail17trampoline_kernelINS0_13select_configILj256ELj13ELNS0_17block_load_methodE3ELS4_3ELS4_3ELNS0_20block_scan_algorithmE0ELj4294967295EEENS1_25partition_config_selectorILNS1_17partition_subalgoE3EjNS0_10empty_typeEbEEZZNS1_14partition_implILS8_3ELb0ES6_jNS0_17counting_iteratorIjlEEPS9_SE_NS0_5tupleIJPjSE_EEENSF_IJSE_SE_EEES9_SG_JZNS1_25segmented_radix_sort_implINS0_14default_configELb1EPKhPhPKlPlN2at6native12_GLOBAL__N_18offset_tEEE10hipError_tPvRmT1_PNSt15iterator_traitsISY_E10value_typeET2_T3_PNSZ_IS14_E10value_typeET4_jRbjT5_S1A_jjP12ihipStream_tbEUljE_EEESV_SW_SX_S14_S18_S1A_T6_T7_T9_mT8_S1C_bDpT10_ENKUlT_T0_E_clISt17integral_constantIbLb1EES1P_EEDaS1K_S1L_EUlS1K_E_NS1_11comp_targetILNS1_3genE3ELNS1_11target_archE908ELNS1_3gpuE7ELNS1_3repE0EEENS1_30default_config_static_selectorELNS0_4arch9wavefront6targetE1EEEvSY_
                                        ; -- End function
	.set _ZN7rocprim17ROCPRIM_400000_NS6detail17trampoline_kernelINS0_13select_configILj256ELj13ELNS0_17block_load_methodE3ELS4_3ELS4_3ELNS0_20block_scan_algorithmE0ELj4294967295EEENS1_25partition_config_selectorILNS1_17partition_subalgoE3EjNS0_10empty_typeEbEEZZNS1_14partition_implILS8_3ELb0ES6_jNS0_17counting_iteratorIjlEEPS9_SE_NS0_5tupleIJPjSE_EEENSF_IJSE_SE_EEES9_SG_JZNS1_25segmented_radix_sort_implINS0_14default_configELb1EPKhPhPKlPlN2at6native12_GLOBAL__N_18offset_tEEE10hipError_tPvRmT1_PNSt15iterator_traitsISY_E10value_typeET2_T3_PNSZ_IS14_E10value_typeET4_jRbjT5_S1A_jjP12ihipStream_tbEUljE_EEESV_SW_SX_S14_S18_S1A_T6_T7_T9_mT8_S1C_bDpT10_ENKUlT_T0_E_clISt17integral_constantIbLb1EES1P_EEDaS1K_S1L_EUlS1K_E_NS1_11comp_targetILNS1_3genE3ELNS1_11target_archE908ELNS1_3gpuE7ELNS1_3repE0EEENS1_30default_config_static_selectorELNS0_4arch9wavefront6targetE1EEEvSY_.num_vgpr, 0
	.set _ZN7rocprim17ROCPRIM_400000_NS6detail17trampoline_kernelINS0_13select_configILj256ELj13ELNS0_17block_load_methodE3ELS4_3ELS4_3ELNS0_20block_scan_algorithmE0ELj4294967295EEENS1_25partition_config_selectorILNS1_17partition_subalgoE3EjNS0_10empty_typeEbEEZZNS1_14partition_implILS8_3ELb0ES6_jNS0_17counting_iteratorIjlEEPS9_SE_NS0_5tupleIJPjSE_EEENSF_IJSE_SE_EEES9_SG_JZNS1_25segmented_radix_sort_implINS0_14default_configELb1EPKhPhPKlPlN2at6native12_GLOBAL__N_18offset_tEEE10hipError_tPvRmT1_PNSt15iterator_traitsISY_E10value_typeET2_T3_PNSZ_IS14_E10value_typeET4_jRbjT5_S1A_jjP12ihipStream_tbEUljE_EEESV_SW_SX_S14_S18_S1A_T6_T7_T9_mT8_S1C_bDpT10_ENKUlT_T0_E_clISt17integral_constantIbLb1EES1P_EEDaS1K_S1L_EUlS1K_E_NS1_11comp_targetILNS1_3genE3ELNS1_11target_archE908ELNS1_3gpuE7ELNS1_3repE0EEENS1_30default_config_static_selectorELNS0_4arch9wavefront6targetE1EEEvSY_.num_agpr, 0
	.set _ZN7rocprim17ROCPRIM_400000_NS6detail17trampoline_kernelINS0_13select_configILj256ELj13ELNS0_17block_load_methodE3ELS4_3ELS4_3ELNS0_20block_scan_algorithmE0ELj4294967295EEENS1_25partition_config_selectorILNS1_17partition_subalgoE3EjNS0_10empty_typeEbEEZZNS1_14partition_implILS8_3ELb0ES6_jNS0_17counting_iteratorIjlEEPS9_SE_NS0_5tupleIJPjSE_EEENSF_IJSE_SE_EEES9_SG_JZNS1_25segmented_radix_sort_implINS0_14default_configELb1EPKhPhPKlPlN2at6native12_GLOBAL__N_18offset_tEEE10hipError_tPvRmT1_PNSt15iterator_traitsISY_E10value_typeET2_T3_PNSZ_IS14_E10value_typeET4_jRbjT5_S1A_jjP12ihipStream_tbEUljE_EEESV_SW_SX_S14_S18_S1A_T6_T7_T9_mT8_S1C_bDpT10_ENKUlT_T0_E_clISt17integral_constantIbLb1EES1P_EEDaS1K_S1L_EUlS1K_E_NS1_11comp_targetILNS1_3genE3ELNS1_11target_archE908ELNS1_3gpuE7ELNS1_3repE0EEENS1_30default_config_static_selectorELNS0_4arch9wavefront6targetE1EEEvSY_.numbered_sgpr, 0
	.set _ZN7rocprim17ROCPRIM_400000_NS6detail17trampoline_kernelINS0_13select_configILj256ELj13ELNS0_17block_load_methodE3ELS4_3ELS4_3ELNS0_20block_scan_algorithmE0ELj4294967295EEENS1_25partition_config_selectorILNS1_17partition_subalgoE3EjNS0_10empty_typeEbEEZZNS1_14partition_implILS8_3ELb0ES6_jNS0_17counting_iteratorIjlEEPS9_SE_NS0_5tupleIJPjSE_EEENSF_IJSE_SE_EEES9_SG_JZNS1_25segmented_radix_sort_implINS0_14default_configELb1EPKhPhPKlPlN2at6native12_GLOBAL__N_18offset_tEEE10hipError_tPvRmT1_PNSt15iterator_traitsISY_E10value_typeET2_T3_PNSZ_IS14_E10value_typeET4_jRbjT5_S1A_jjP12ihipStream_tbEUljE_EEESV_SW_SX_S14_S18_S1A_T6_T7_T9_mT8_S1C_bDpT10_ENKUlT_T0_E_clISt17integral_constantIbLb1EES1P_EEDaS1K_S1L_EUlS1K_E_NS1_11comp_targetILNS1_3genE3ELNS1_11target_archE908ELNS1_3gpuE7ELNS1_3repE0EEENS1_30default_config_static_selectorELNS0_4arch9wavefront6targetE1EEEvSY_.num_named_barrier, 0
	.set _ZN7rocprim17ROCPRIM_400000_NS6detail17trampoline_kernelINS0_13select_configILj256ELj13ELNS0_17block_load_methodE3ELS4_3ELS4_3ELNS0_20block_scan_algorithmE0ELj4294967295EEENS1_25partition_config_selectorILNS1_17partition_subalgoE3EjNS0_10empty_typeEbEEZZNS1_14partition_implILS8_3ELb0ES6_jNS0_17counting_iteratorIjlEEPS9_SE_NS0_5tupleIJPjSE_EEENSF_IJSE_SE_EEES9_SG_JZNS1_25segmented_radix_sort_implINS0_14default_configELb1EPKhPhPKlPlN2at6native12_GLOBAL__N_18offset_tEEE10hipError_tPvRmT1_PNSt15iterator_traitsISY_E10value_typeET2_T3_PNSZ_IS14_E10value_typeET4_jRbjT5_S1A_jjP12ihipStream_tbEUljE_EEESV_SW_SX_S14_S18_S1A_T6_T7_T9_mT8_S1C_bDpT10_ENKUlT_T0_E_clISt17integral_constantIbLb1EES1P_EEDaS1K_S1L_EUlS1K_E_NS1_11comp_targetILNS1_3genE3ELNS1_11target_archE908ELNS1_3gpuE7ELNS1_3repE0EEENS1_30default_config_static_selectorELNS0_4arch9wavefront6targetE1EEEvSY_.private_seg_size, 0
	.set _ZN7rocprim17ROCPRIM_400000_NS6detail17trampoline_kernelINS0_13select_configILj256ELj13ELNS0_17block_load_methodE3ELS4_3ELS4_3ELNS0_20block_scan_algorithmE0ELj4294967295EEENS1_25partition_config_selectorILNS1_17partition_subalgoE3EjNS0_10empty_typeEbEEZZNS1_14partition_implILS8_3ELb0ES6_jNS0_17counting_iteratorIjlEEPS9_SE_NS0_5tupleIJPjSE_EEENSF_IJSE_SE_EEES9_SG_JZNS1_25segmented_radix_sort_implINS0_14default_configELb1EPKhPhPKlPlN2at6native12_GLOBAL__N_18offset_tEEE10hipError_tPvRmT1_PNSt15iterator_traitsISY_E10value_typeET2_T3_PNSZ_IS14_E10value_typeET4_jRbjT5_S1A_jjP12ihipStream_tbEUljE_EEESV_SW_SX_S14_S18_S1A_T6_T7_T9_mT8_S1C_bDpT10_ENKUlT_T0_E_clISt17integral_constantIbLb1EES1P_EEDaS1K_S1L_EUlS1K_E_NS1_11comp_targetILNS1_3genE3ELNS1_11target_archE908ELNS1_3gpuE7ELNS1_3repE0EEENS1_30default_config_static_selectorELNS0_4arch9wavefront6targetE1EEEvSY_.uses_vcc, 0
	.set _ZN7rocprim17ROCPRIM_400000_NS6detail17trampoline_kernelINS0_13select_configILj256ELj13ELNS0_17block_load_methodE3ELS4_3ELS4_3ELNS0_20block_scan_algorithmE0ELj4294967295EEENS1_25partition_config_selectorILNS1_17partition_subalgoE3EjNS0_10empty_typeEbEEZZNS1_14partition_implILS8_3ELb0ES6_jNS0_17counting_iteratorIjlEEPS9_SE_NS0_5tupleIJPjSE_EEENSF_IJSE_SE_EEES9_SG_JZNS1_25segmented_radix_sort_implINS0_14default_configELb1EPKhPhPKlPlN2at6native12_GLOBAL__N_18offset_tEEE10hipError_tPvRmT1_PNSt15iterator_traitsISY_E10value_typeET2_T3_PNSZ_IS14_E10value_typeET4_jRbjT5_S1A_jjP12ihipStream_tbEUljE_EEESV_SW_SX_S14_S18_S1A_T6_T7_T9_mT8_S1C_bDpT10_ENKUlT_T0_E_clISt17integral_constantIbLb1EES1P_EEDaS1K_S1L_EUlS1K_E_NS1_11comp_targetILNS1_3genE3ELNS1_11target_archE908ELNS1_3gpuE7ELNS1_3repE0EEENS1_30default_config_static_selectorELNS0_4arch9wavefront6targetE1EEEvSY_.uses_flat_scratch, 0
	.set _ZN7rocprim17ROCPRIM_400000_NS6detail17trampoline_kernelINS0_13select_configILj256ELj13ELNS0_17block_load_methodE3ELS4_3ELS4_3ELNS0_20block_scan_algorithmE0ELj4294967295EEENS1_25partition_config_selectorILNS1_17partition_subalgoE3EjNS0_10empty_typeEbEEZZNS1_14partition_implILS8_3ELb0ES6_jNS0_17counting_iteratorIjlEEPS9_SE_NS0_5tupleIJPjSE_EEENSF_IJSE_SE_EEES9_SG_JZNS1_25segmented_radix_sort_implINS0_14default_configELb1EPKhPhPKlPlN2at6native12_GLOBAL__N_18offset_tEEE10hipError_tPvRmT1_PNSt15iterator_traitsISY_E10value_typeET2_T3_PNSZ_IS14_E10value_typeET4_jRbjT5_S1A_jjP12ihipStream_tbEUljE_EEESV_SW_SX_S14_S18_S1A_T6_T7_T9_mT8_S1C_bDpT10_ENKUlT_T0_E_clISt17integral_constantIbLb1EES1P_EEDaS1K_S1L_EUlS1K_E_NS1_11comp_targetILNS1_3genE3ELNS1_11target_archE908ELNS1_3gpuE7ELNS1_3repE0EEENS1_30default_config_static_selectorELNS0_4arch9wavefront6targetE1EEEvSY_.has_dyn_sized_stack, 0
	.set _ZN7rocprim17ROCPRIM_400000_NS6detail17trampoline_kernelINS0_13select_configILj256ELj13ELNS0_17block_load_methodE3ELS4_3ELS4_3ELNS0_20block_scan_algorithmE0ELj4294967295EEENS1_25partition_config_selectorILNS1_17partition_subalgoE3EjNS0_10empty_typeEbEEZZNS1_14partition_implILS8_3ELb0ES6_jNS0_17counting_iteratorIjlEEPS9_SE_NS0_5tupleIJPjSE_EEENSF_IJSE_SE_EEES9_SG_JZNS1_25segmented_radix_sort_implINS0_14default_configELb1EPKhPhPKlPlN2at6native12_GLOBAL__N_18offset_tEEE10hipError_tPvRmT1_PNSt15iterator_traitsISY_E10value_typeET2_T3_PNSZ_IS14_E10value_typeET4_jRbjT5_S1A_jjP12ihipStream_tbEUljE_EEESV_SW_SX_S14_S18_S1A_T6_T7_T9_mT8_S1C_bDpT10_ENKUlT_T0_E_clISt17integral_constantIbLb1EES1P_EEDaS1K_S1L_EUlS1K_E_NS1_11comp_targetILNS1_3genE3ELNS1_11target_archE908ELNS1_3gpuE7ELNS1_3repE0EEENS1_30default_config_static_selectorELNS0_4arch9wavefront6targetE1EEEvSY_.has_recursion, 0
	.set _ZN7rocprim17ROCPRIM_400000_NS6detail17trampoline_kernelINS0_13select_configILj256ELj13ELNS0_17block_load_methodE3ELS4_3ELS4_3ELNS0_20block_scan_algorithmE0ELj4294967295EEENS1_25partition_config_selectorILNS1_17partition_subalgoE3EjNS0_10empty_typeEbEEZZNS1_14partition_implILS8_3ELb0ES6_jNS0_17counting_iteratorIjlEEPS9_SE_NS0_5tupleIJPjSE_EEENSF_IJSE_SE_EEES9_SG_JZNS1_25segmented_radix_sort_implINS0_14default_configELb1EPKhPhPKlPlN2at6native12_GLOBAL__N_18offset_tEEE10hipError_tPvRmT1_PNSt15iterator_traitsISY_E10value_typeET2_T3_PNSZ_IS14_E10value_typeET4_jRbjT5_S1A_jjP12ihipStream_tbEUljE_EEESV_SW_SX_S14_S18_S1A_T6_T7_T9_mT8_S1C_bDpT10_ENKUlT_T0_E_clISt17integral_constantIbLb1EES1P_EEDaS1K_S1L_EUlS1K_E_NS1_11comp_targetILNS1_3genE3ELNS1_11target_archE908ELNS1_3gpuE7ELNS1_3repE0EEENS1_30default_config_static_selectorELNS0_4arch9wavefront6targetE1EEEvSY_.has_indirect_call, 0
	.section	.AMDGPU.csdata,"",@progbits
; Kernel info:
; codeLenInByte = 0
; TotalNumSgprs: 4
; NumVgprs: 0
; ScratchSize: 0
; MemoryBound: 0
; FloatMode: 240
; IeeeMode: 1
; LDSByteSize: 0 bytes/workgroup (compile time only)
; SGPRBlocks: 0
; VGPRBlocks: 0
; NumSGPRsForWavesPerEU: 4
; NumVGPRsForWavesPerEU: 1
; Occupancy: 10
; WaveLimiterHint : 0
; COMPUTE_PGM_RSRC2:SCRATCH_EN: 0
; COMPUTE_PGM_RSRC2:USER_SGPR: 6
; COMPUTE_PGM_RSRC2:TRAP_HANDLER: 0
; COMPUTE_PGM_RSRC2:TGID_X_EN: 1
; COMPUTE_PGM_RSRC2:TGID_Y_EN: 0
; COMPUTE_PGM_RSRC2:TGID_Z_EN: 0
; COMPUTE_PGM_RSRC2:TIDIG_COMP_CNT: 0
	.section	.text._ZN7rocprim17ROCPRIM_400000_NS6detail17trampoline_kernelINS0_13select_configILj256ELj13ELNS0_17block_load_methodE3ELS4_3ELS4_3ELNS0_20block_scan_algorithmE0ELj4294967295EEENS1_25partition_config_selectorILNS1_17partition_subalgoE3EjNS0_10empty_typeEbEEZZNS1_14partition_implILS8_3ELb0ES6_jNS0_17counting_iteratorIjlEEPS9_SE_NS0_5tupleIJPjSE_EEENSF_IJSE_SE_EEES9_SG_JZNS1_25segmented_radix_sort_implINS0_14default_configELb1EPKhPhPKlPlN2at6native12_GLOBAL__N_18offset_tEEE10hipError_tPvRmT1_PNSt15iterator_traitsISY_E10value_typeET2_T3_PNSZ_IS14_E10value_typeET4_jRbjT5_S1A_jjP12ihipStream_tbEUljE_EEESV_SW_SX_S14_S18_S1A_T6_T7_T9_mT8_S1C_bDpT10_ENKUlT_T0_E_clISt17integral_constantIbLb1EES1P_EEDaS1K_S1L_EUlS1K_E_NS1_11comp_targetILNS1_3genE2ELNS1_11target_archE906ELNS1_3gpuE6ELNS1_3repE0EEENS1_30default_config_static_selectorELNS0_4arch9wavefront6targetE1EEEvSY_,"axG",@progbits,_ZN7rocprim17ROCPRIM_400000_NS6detail17trampoline_kernelINS0_13select_configILj256ELj13ELNS0_17block_load_methodE3ELS4_3ELS4_3ELNS0_20block_scan_algorithmE0ELj4294967295EEENS1_25partition_config_selectorILNS1_17partition_subalgoE3EjNS0_10empty_typeEbEEZZNS1_14partition_implILS8_3ELb0ES6_jNS0_17counting_iteratorIjlEEPS9_SE_NS0_5tupleIJPjSE_EEENSF_IJSE_SE_EEES9_SG_JZNS1_25segmented_radix_sort_implINS0_14default_configELb1EPKhPhPKlPlN2at6native12_GLOBAL__N_18offset_tEEE10hipError_tPvRmT1_PNSt15iterator_traitsISY_E10value_typeET2_T3_PNSZ_IS14_E10value_typeET4_jRbjT5_S1A_jjP12ihipStream_tbEUljE_EEESV_SW_SX_S14_S18_S1A_T6_T7_T9_mT8_S1C_bDpT10_ENKUlT_T0_E_clISt17integral_constantIbLb1EES1P_EEDaS1K_S1L_EUlS1K_E_NS1_11comp_targetILNS1_3genE2ELNS1_11target_archE906ELNS1_3gpuE6ELNS1_3repE0EEENS1_30default_config_static_selectorELNS0_4arch9wavefront6targetE1EEEvSY_,comdat
	.globl	_ZN7rocprim17ROCPRIM_400000_NS6detail17trampoline_kernelINS0_13select_configILj256ELj13ELNS0_17block_load_methodE3ELS4_3ELS4_3ELNS0_20block_scan_algorithmE0ELj4294967295EEENS1_25partition_config_selectorILNS1_17partition_subalgoE3EjNS0_10empty_typeEbEEZZNS1_14partition_implILS8_3ELb0ES6_jNS0_17counting_iteratorIjlEEPS9_SE_NS0_5tupleIJPjSE_EEENSF_IJSE_SE_EEES9_SG_JZNS1_25segmented_radix_sort_implINS0_14default_configELb1EPKhPhPKlPlN2at6native12_GLOBAL__N_18offset_tEEE10hipError_tPvRmT1_PNSt15iterator_traitsISY_E10value_typeET2_T3_PNSZ_IS14_E10value_typeET4_jRbjT5_S1A_jjP12ihipStream_tbEUljE_EEESV_SW_SX_S14_S18_S1A_T6_T7_T9_mT8_S1C_bDpT10_ENKUlT_T0_E_clISt17integral_constantIbLb1EES1P_EEDaS1K_S1L_EUlS1K_E_NS1_11comp_targetILNS1_3genE2ELNS1_11target_archE906ELNS1_3gpuE6ELNS1_3repE0EEENS1_30default_config_static_selectorELNS0_4arch9wavefront6targetE1EEEvSY_ ; -- Begin function _ZN7rocprim17ROCPRIM_400000_NS6detail17trampoline_kernelINS0_13select_configILj256ELj13ELNS0_17block_load_methodE3ELS4_3ELS4_3ELNS0_20block_scan_algorithmE0ELj4294967295EEENS1_25partition_config_selectorILNS1_17partition_subalgoE3EjNS0_10empty_typeEbEEZZNS1_14partition_implILS8_3ELb0ES6_jNS0_17counting_iteratorIjlEEPS9_SE_NS0_5tupleIJPjSE_EEENSF_IJSE_SE_EEES9_SG_JZNS1_25segmented_radix_sort_implINS0_14default_configELb1EPKhPhPKlPlN2at6native12_GLOBAL__N_18offset_tEEE10hipError_tPvRmT1_PNSt15iterator_traitsISY_E10value_typeET2_T3_PNSZ_IS14_E10value_typeET4_jRbjT5_S1A_jjP12ihipStream_tbEUljE_EEESV_SW_SX_S14_S18_S1A_T6_T7_T9_mT8_S1C_bDpT10_ENKUlT_T0_E_clISt17integral_constantIbLb1EES1P_EEDaS1K_S1L_EUlS1K_E_NS1_11comp_targetILNS1_3genE2ELNS1_11target_archE906ELNS1_3gpuE6ELNS1_3repE0EEENS1_30default_config_static_selectorELNS0_4arch9wavefront6targetE1EEEvSY_
	.p2align	8
	.type	_ZN7rocprim17ROCPRIM_400000_NS6detail17trampoline_kernelINS0_13select_configILj256ELj13ELNS0_17block_load_methodE3ELS4_3ELS4_3ELNS0_20block_scan_algorithmE0ELj4294967295EEENS1_25partition_config_selectorILNS1_17partition_subalgoE3EjNS0_10empty_typeEbEEZZNS1_14partition_implILS8_3ELb0ES6_jNS0_17counting_iteratorIjlEEPS9_SE_NS0_5tupleIJPjSE_EEENSF_IJSE_SE_EEES9_SG_JZNS1_25segmented_radix_sort_implINS0_14default_configELb1EPKhPhPKlPlN2at6native12_GLOBAL__N_18offset_tEEE10hipError_tPvRmT1_PNSt15iterator_traitsISY_E10value_typeET2_T3_PNSZ_IS14_E10value_typeET4_jRbjT5_S1A_jjP12ihipStream_tbEUljE_EEESV_SW_SX_S14_S18_S1A_T6_T7_T9_mT8_S1C_bDpT10_ENKUlT_T0_E_clISt17integral_constantIbLb1EES1P_EEDaS1K_S1L_EUlS1K_E_NS1_11comp_targetILNS1_3genE2ELNS1_11target_archE906ELNS1_3gpuE6ELNS1_3repE0EEENS1_30default_config_static_selectorELNS0_4arch9wavefront6targetE1EEEvSY_,@function
_ZN7rocprim17ROCPRIM_400000_NS6detail17trampoline_kernelINS0_13select_configILj256ELj13ELNS0_17block_load_methodE3ELS4_3ELS4_3ELNS0_20block_scan_algorithmE0ELj4294967295EEENS1_25partition_config_selectorILNS1_17partition_subalgoE3EjNS0_10empty_typeEbEEZZNS1_14partition_implILS8_3ELb0ES6_jNS0_17counting_iteratorIjlEEPS9_SE_NS0_5tupleIJPjSE_EEENSF_IJSE_SE_EEES9_SG_JZNS1_25segmented_radix_sort_implINS0_14default_configELb1EPKhPhPKlPlN2at6native12_GLOBAL__N_18offset_tEEE10hipError_tPvRmT1_PNSt15iterator_traitsISY_E10value_typeET2_T3_PNSZ_IS14_E10value_typeET4_jRbjT5_S1A_jjP12ihipStream_tbEUljE_EEESV_SW_SX_S14_S18_S1A_T6_T7_T9_mT8_S1C_bDpT10_ENKUlT_T0_E_clISt17integral_constantIbLb1EES1P_EEDaS1K_S1L_EUlS1K_E_NS1_11comp_targetILNS1_3genE2ELNS1_11target_archE906ELNS1_3gpuE6ELNS1_3repE0EEENS1_30default_config_static_selectorELNS0_4arch9wavefront6targetE1EEEvSY_: ; @_ZN7rocprim17ROCPRIM_400000_NS6detail17trampoline_kernelINS0_13select_configILj256ELj13ELNS0_17block_load_methodE3ELS4_3ELS4_3ELNS0_20block_scan_algorithmE0ELj4294967295EEENS1_25partition_config_selectorILNS1_17partition_subalgoE3EjNS0_10empty_typeEbEEZZNS1_14partition_implILS8_3ELb0ES6_jNS0_17counting_iteratorIjlEEPS9_SE_NS0_5tupleIJPjSE_EEENSF_IJSE_SE_EEES9_SG_JZNS1_25segmented_radix_sort_implINS0_14default_configELb1EPKhPhPKlPlN2at6native12_GLOBAL__N_18offset_tEEE10hipError_tPvRmT1_PNSt15iterator_traitsISY_E10value_typeET2_T3_PNSZ_IS14_E10value_typeET4_jRbjT5_S1A_jjP12ihipStream_tbEUljE_EEESV_SW_SX_S14_S18_S1A_T6_T7_T9_mT8_S1C_bDpT10_ENKUlT_T0_E_clISt17integral_constantIbLb1EES1P_EEDaS1K_S1L_EUlS1K_E_NS1_11comp_targetILNS1_3genE2ELNS1_11target_archE906ELNS1_3gpuE6ELNS1_3repE0EEENS1_30default_config_static_selectorELNS0_4arch9wavefront6targetE1EEEvSY_
; %bb.0:
	s_endpgm
	.section	.rodata,"a",@progbits
	.p2align	6, 0x0
	.amdhsa_kernel _ZN7rocprim17ROCPRIM_400000_NS6detail17trampoline_kernelINS0_13select_configILj256ELj13ELNS0_17block_load_methodE3ELS4_3ELS4_3ELNS0_20block_scan_algorithmE0ELj4294967295EEENS1_25partition_config_selectorILNS1_17partition_subalgoE3EjNS0_10empty_typeEbEEZZNS1_14partition_implILS8_3ELb0ES6_jNS0_17counting_iteratorIjlEEPS9_SE_NS0_5tupleIJPjSE_EEENSF_IJSE_SE_EEES9_SG_JZNS1_25segmented_radix_sort_implINS0_14default_configELb1EPKhPhPKlPlN2at6native12_GLOBAL__N_18offset_tEEE10hipError_tPvRmT1_PNSt15iterator_traitsISY_E10value_typeET2_T3_PNSZ_IS14_E10value_typeET4_jRbjT5_S1A_jjP12ihipStream_tbEUljE_EEESV_SW_SX_S14_S18_S1A_T6_T7_T9_mT8_S1C_bDpT10_ENKUlT_T0_E_clISt17integral_constantIbLb1EES1P_EEDaS1K_S1L_EUlS1K_E_NS1_11comp_targetILNS1_3genE2ELNS1_11target_archE906ELNS1_3gpuE6ELNS1_3repE0EEENS1_30default_config_static_selectorELNS0_4arch9wavefront6targetE1EEEvSY_
		.amdhsa_group_segment_fixed_size 0
		.amdhsa_private_segment_fixed_size 0
		.amdhsa_kernarg_size 152
		.amdhsa_user_sgpr_count 6
		.amdhsa_user_sgpr_private_segment_buffer 1
		.amdhsa_user_sgpr_dispatch_ptr 0
		.amdhsa_user_sgpr_queue_ptr 0
		.amdhsa_user_sgpr_kernarg_segment_ptr 1
		.amdhsa_user_sgpr_dispatch_id 0
		.amdhsa_user_sgpr_flat_scratch_init 0
		.amdhsa_user_sgpr_private_segment_size 0
		.amdhsa_uses_dynamic_stack 0
		.amdhsa_system_sgpr_private_segment_wavefront_offset 0
		.amdhsa_system_sgpr_workgroup_id_x 1
		.amdhsa_system_sgpr_workgroup_id_y 0
		.amdhsa_system_sgpr_workgroup_id_z 0
		.amdhsa_system_sgpr_workgroup_info 0
		.amdhsa_system_vgpr_workitem_id 0
		.amdhsa_next_free_vgpr 1
		.amdhsa_next_free_sgpr 0
		.amdhsa_reserve_vcc 0
		.amdhsa_reserve_flat_scratch 0
		.amdhsa_float_round_mode_32 0
		.amdhsa_float_round_mode_16_64 0
		.amdhsa_float_denorm_mode_32 3
		.amdhsa_float_denorm_mode_16_64 3
		.amdhsa_dx10_clamp 1
		.amdhsa_ieee_mode 1
		.amdhsa_fp16_overflow 0
		.amdhsa_exception_fp_ieee_invalid_op 0
		.amdhsa_exception_fp_denorm_src 0
		.amdhsa_exception_fp_ieee_div_zero 0
		.amdhsa_exception_fp_ieee_overflow 0
		.amdhsa_exception_fp_ieee_underflow 0
		.amdhsa_exception_fp_ieee_inexact 0
		.amdhsa_exception_int_div_zero 0
	.end_amdhsa_kernel
	.section	.text._ZN7rocprim17ROCPRIM_400000_NS6detail17trampoline_kernelINS0_13select_configILj256ELj13ELNS0_17block_load_methodE3ELS4_3ELS4_3ELNS0_20block_scan_algorithmE0ELj4294967295EEENS1_25partition_config_selectorILNS1_17partition_subalgoE3EjNS0_10empty_typeEbEEZZNS1_14partition_implILS8_3ELb0ES6_jNS0_17counting_iteratorIjlEEPS9_SE_NS0_5tupleIJPjSE_EEENSF_IJSE_SE_EEES9_SG_JZNS1_25segmented_radix_sort_implINS0_14default_configELb1EPKhPhPKlPlN2at6native12_GLOBAL__N_18offset_tEEE10hipError_tPvRmT1_PNSt15iterator_traitsISY_E10value_typeET2_T3_PNSZ_IS14_E10value_typeET4_jRbjT5_S1A_jjP12ihipStream_tbEUljE_EEESV_SW_SX_S14_S18_S1A_T6_T7_T9_mT8_S1C_bDpT10_ENKUlT_T0_E_clISt17integral_constantIbLb1EES1P_EEDaS1K_S1L_EUlS1K_E_NS1_11comp_targetILNS1_3genE2ELNS1_11target_archE906ELNS1_3gpuE6ELNS1_3repE0EEENS1_30default_config_static_selectorELNS0_4arch9wavefront6targetE1EEEvSY_,"axG",@progbits,_ZN7rocprim17ROCPRIM_400000_NS6detail17trampoline_kernelINS0_13select_configILj256ELj13ELNS0_17block_load_methodE3ELS4_3ELS4_3ELNS0_20block_scan_algorithmE0ELj4294967295EEENS1_25partition_config_selectorILNS1_17partition_subalgoE3EjNS0_10empty_typeEbEEZZNS1_14partition_implILS8_3ELb0ES6_jNS0_17counting_iteratorIjlEEPS9_SE_NS0_5tupleIJPjSE_EEENSF_IJSE_SE_EEES9_SG_JZNS1_25segmented_radix_sort_implINS0_14default_configELb1EPKhPhPKlPlN2at6native12_GLOBAL__N_18offset_tEEE10hipError_tPvRmT1_PNSt15iterator_traitsISY_E10value_typeET2_T3_PNSZ_IS14_E10value_typeET4_jRbjT5_S1A_jjP12ihipStream_tbEUljE_EEESV_SW_SX_S14_S18_S1A_T6_T7_T9_mT8_S1C_bDpT10_ENKUlT_T0_E_clISt17integral_constantIbLb1EES1P_EEDaS1K_S1L_EUlS1K_E_NS1_11comp_targetILNS1_3genE2ELNS1_11target_archE906ELNS1_3gpuE6ELNS1_3repE0EEENS1_30default_config_static_selectorELNS0_4arch9wavefront6targetE1EEEvSY_,comdat
.Lfunc_end61:
	.size	_ZN7rocprim17ROCPRIM_400000_NS6detail17trampoline_kernelINS0_13select_configILj256ELj13ELNS0_17block_load_methodE3ELS4_3ELS4_3ELNS0_20block_scan_algorithmE0ELj4294967295EEENS1_25partition_config_selectorILNS1_17partition_subalgoE3EjNS0_10empty_typeEbEEZZNS1_14partition_implILS8_3ELb0ES6_jNS0_17counting_iteratorIjlEEPS9_SE_NS0_5tupleIJPjSE_EEENSF_IJSE_SE_EEES9_SG_JZNS1_25segmented_radix_sort_implINS0_14default_configELb1EPKhPhPKlPlN2at6native12_GLOBAL__N_18offset_tEEE10hipError_tPvRmT1_PNSt15iterator_traitsISY_E10value_typeET2_T3_PNSZ_IS14_E10value_typeET4_jRbjT5_S1A_jjP12ihipStream_tbEUljE_EEESV_SW_SX_S14_S18_S1A_T6_T7_T9_mT8_S1C_bDpT10_ENKUlT_T0_E_clISt17integral_constantIbLb1EES1P_EEDaS1K_S1L_EUlS1K_E_NS1_11comp_targetILNS1_3genE2ELNS1_11target_archE906ELNS1_3gpuE6ELNS1_3repE0EEENS1_30default_config_static_selectorELNS0_4arch9wavefront6targetE1EEEvSY_, .Lfunc_end61-_ZN7rocprim17ROCPRIM_400000_NS6detail17trampoline_kernelINS0_13select_configILj256ELj13ELNS0_17block_load_methodE3ELS4_3ELS4_3ELNS0_20block_scan_algorithmE0ELj4294967295EEENS1_25partition_config_selectorILNS1_17partition_subalgoE3EjNS0_10empty_typeEbEEZZNS1_14partition_implILS8_3ELb0ES6_jNS0_17counting_iteratorIjlEEPS9_SE_NS0_5tupleIJPjSE_EEENSF_IJSE_SE_EEES9_SG_JZNS1_25segmented_radix_sort_implINS0_14default_configELb1EPKhPhPKlPlN2at6native12_GLOBAL__N_18offset_tEEE10hipError_tPvRmT1_PNSt15iterator_traitsISY_E10value_typeET2_T3_PNSZ_IS14_E10value_typeET4_jRbjT5_S1A_jjP12ihipStream_tbEUljE_EEESV_SW_SX_S14_S18_S1A_T6_T7_T9_mT8_S1C_bDpT10_ENKUlT_T0_E_clISt17integral_constantIbLb1EES1P_EEDaS1K_S1L_EUlS1K_E_NS1_11comp_targetILNS1_3genE2ELNS1_11target_archE906ELNS1_3gpuE6ELNS1_3repE0EEENS1_30default_config_static_selectorELNS0_4arch9wavefront6targetE1EEEvSY_
                                        ; -- End function
	.set _ZN7rocprim17ROCPRIM_400000_NS6detail17trampoline_kernelINS0_13select_configILj256ELj13ELNS0_17block_load_methodE3ELS4_3ELS4_3ELNS0_20block_scan_algorithmE0ELj4294967295EEENS1_25partition_config_selectorILNS1_17partition_subalgoE3EjNS0_10empty_typeEbEEZZNS1_14partition_implILS8_3ELb0ES6_jNS0_17counting_iteratorIjlEEPS9_SE_NS0_5tupleIJPjSE_EEENSF_IJSE_SE_EEES9_SG_JZNS1_25segmented_radix_sort_implINS0_14default_configELb1EPKhPhPKlPlN2at6native12_GLOBAL__N_18offset_tEEE10hipError_tPvRmT1_PNSt15iterator_traitsISY_E10value_typeET2_T3_PNSZ_IS14_E10value_typeET4_jRbjT5_S1A_jjP12ihipStream_tbEUljE_EEESV_SW_SX_S14_S18_S1A_T6_T7_T9_mT8_S1C_bDpT10_ENKUlT_T0_E_clISt17integral_constantIbLb1EES1P_EEDaS1K_S1L_EUlS1K_E_NS1_11comp_targetILNS1_3genE2ELNS1_11target_archE906ELNS1_3gpuE6ELNS1_3repE0EEENS1_30default_config_static_selectorELNS0_4arch9wavefront6targetE1EEEvSY_.num_vgpr, 0
	.set _ZN7rocprim17ROCPRIM_400000_NS6detail17trampoline_kernelINS0_13select_configILj256ELj13ELNS0_17block_load_methodE3ELS4_3ELS4_3ELNS0_20block_scan_algorithmE0ELj4294967295EEENS1_25partition_config_selectorILNS1_17partition_subalgoE3EjNS0_10empty_typeEbEEZZNS1_14partition_implILS8_3ELb0ES6_jNS0_17counting_iteratorIjlEEPS9_SE_NS0_5tupleIJPjSE_EEENSF_IJSE_SE_EEES9_SG_JZNS1_25segmented_radix_sort_implINS0_14default_configELb1EPKhPhPKlPlN2at6native12_GLOBAL__N_18offset_tEEE10hipError_tPvRmT1_PNSt15iterator_traitsISY_E10value_typeET2_T3_PNSZ_IS14_E10value_typeET4_jRbjT5_S1A_jjP12ihipStream_tbEUljE_EEESV_SW_SX_S14_S18_S1A_T6_T7_T9_mT8_S1C_bDpT10_ENKUlT_T0_E_clISt17integral_constantIbLb1EES1P_EEDaS1K_S1L_EUlS1K_E_NS1_11comp_targetILNS1_3genE2ELNS1_11target_archE906ELNS1_3gpuE6ELNS1_3repE0EEENS1_30default_config_static_selectorELNS0_4arch9wavefront6targetE1EEEvSY_.num_agpr, 0
	.set _ZN7rocprim17ROCPRIM_400000_NS6detail17trampoline_kernelINS0_13select_configILj256ELj13ELNS0_17block_load_methodE3ELS4_3ELS4_3ELNS0_20block_scan_algorithmE0ELj4294967295EEENS1_25partition_config_selectorILNS1_17partition_subalgoE3EjNS0_10empty_typeEbEEZZNS1_14partition_implILS8_3ELb0ES6_jNS0_17counting_iteratorIjlEEPS9_SE_NS0_5tupleIJPjSE_EEENSF_IJSE_SE_EEES9_SG_JZNS1_25segmented_radix_sort_implINS0_14default_configELb1EPKhPhPKlPlN2at6native12_GLOBAL__N_18offset_tEEE10hipError_tPvRmT1_PNSt15iterator_traitsISY_E10value_typeET2_T3_PNSZ_IS14_E10value_typeET4_jRbjT5_S1A_jjP12ihipStream_tbEUljE_EEESV_SW_SX_S14_S18_S1A_T6_T7_T9_mT8_S1C_bDpT10_ENKUlT_T0_E_clISt17integral_constantIbLb1EES1P_EEDaS1K_S1L_EUlS1K_E_NS1_11comp_targetILNS1_3genE2ELNS1_11target_archE906ELNS1_3gpuE6ELNS1_3repE0EEENS1_30default_config_static_selectorELNS0_4arch9wavefront6targetE1EEEvSY_.numbered_sgpr, 0
	.set _ZN7rocprim17ROCPRIM_400000_NS6detail17trampoline_kernelINS0_13select_configILj256ELj13ELNS0_17block_load_methodE3ELS4_3ELS4_3ELNS0_20block_scan_algorithmE0ELj4294967295EEENS1_25partition_config_selectorILNS1_17partition_subalgoE3EjNS0_10empty_typeEbEEZZNS1_14partition_implILS8_3ELb0ES6_jNS0_17counting_iteratorIjlEEPS9_SE_NS0_5tupleIJPjSE_EEENSF_IJSE_SE_EEES9_SG_JZNS1_25segmented_radix_sort_implINS0_14default_configELb1EPKhPhPKlPlN2at6native12_GLOBAL__N_18offset_tEEE10hipError_tPvRmT1_PNSt15iterator_traitsISY_E10value_typeET2_T3_PNSZ_IS14_E10value_typeET4_jRbjT5_S1A_jjP12ihipStream_tbEUljE_EEESV_SW_SX_S14_S18_S1A_T6_T7_T9_mT8_S1C_bDpT10_ENKUlT_T0_E_clISt17integral_constantIbLb1EES1P_EEDaS1K_S1L_EUlS1K_E_NS1_11comp_targetILNS1_3genE2ELNS1_11target_archE906ELNS1_3gpuE6ELNS1_3repE0EEENS1_30default_config_static_selectorELNS0_4arch9wavefront6targetE1EEEvSY_.num_named_barrier, 0
	.set _ZN7rocprim17ROCPRIM_400000_NS6detail17trampoline_kernelINS0_13select_configILj256ELj13ELNS0_17block_load_methodE3ELS4_3ELS4_3ELNS0_20block_scan_algorithmE0ELj4294967295EEENS1_25partition_config_selectorILNS1_17partition_subalgoE3EjNS0_10empty_typeEbEEZZNS1_14partition_implILS8_3ELb0ES6_jNS0_17counting_iteratorIjlEEPS9_SE_NS0_5tupleIJPjSE_EEENSF_IJSE_SE_EEES9_SG_JZNS1_25segmented_radix_sort_implINS0_14default_configELb1EPKhPhPKlPlN2at6native12_GLOBAL__N_18offset_tEEE10hipError_tPvRmT1_PNSt15iterator_traitsISY_E10value_typeET2_T3_PNSZ_IS14_E10value_typeET4_jRbjT5_S1A_jjP12ihipStream_tbEUljE_EEESV_SW_SX_S14_S18_S1A_T6_T7_T9_mT8_S1C_bDpT10_ENKUlT_T0_E_clISt17integral_constantIbLb1EES1P_EEDaS1K_S1L_EUlS1K_E_NS1_11comp_targetILNS1_3genE2ELNS1_11target_archE906ELNS1_3gpuE6ELNS1_3repE0EEENS1_30default_config_static_selectorELNS0_4arch9wavefront6targetE1EEEvSY_.private_seg_size, 0
	.set _ZN7rocprim17ROCPRIM_400000_NS6detail17trampoline_kernelINS0_13select_configILj256ELj13ELNS0_17block_load_methodE3ELS4_3ELS4_3ELNS0_20block_scan_algorithmE0ELj4294967295EEENS1_25partition_config_selectorILNS1_17partition_subalgoE3EjNS0_10empty_typeEbEEZZNS1_14partition_implILS8_3ELb0ES6_jNS0_17counting_iteratorIjlEEPS9_SE_NS0_5tupleIJPjSE_EEENSF_IJSE_SE_EEES9_SG_JZNS1_25segmented_radix_sort_implINS0_14default_configELb1EPKhPhPKlPlN2at6native12_GLOBAL__N_18offset_tEEE10hipError_tPvRmT1_PNSt15iterator_traitsISY_E10value_typeET2_T3_PNSZ_IS14_E10value_typeET4_jRbjT5_S1A_jjP12ihipStream_tbEUljE_EEESV_SW_SX_S14_S18_S1A_T6_T7_T9_mT8_S1C_bDpT10_ENKUlT_T0_E_clISt17integral_constantIbLb1EES1P_EEDaS1K_S1L_EUlS1K_E_NS1_11comp_targetILNS1_3genE2ELNS1_11target_archE906ELNS1_3gpuE6ELNS1_3repE0EEENS1_30default_config_static_selectorELNS0_4arch9wavefront6targetE1EEEvSY_.uses_vcc, 0
	.set _ZN7rocprim17ROCPRIM_400000_NS6detail17trampoline_kernelINS0_13select_configILj256ELj13ELNS0_17block_load_methodE3ELS4_3ELS4_3ELNS0_20block_scan_algorithmE0ELj4294967295EEENS1_25partition_config_selectorILNS1_17partition_subalgoE3EjNS0_10empty_typeEbEEZZNS1_14partition_implILS8_3ELb0ES6_jNS0_17counting_iteratorIjlEEPS9_SE_NS0_5tupleIJPjSE_EEENSF_IJSE_SE_EEES9_SG_JZNS1_25segmented_radix_sort_implINS0_14default_configELb1EPKhPhPKlPlN2at6native12_GLOBAL__N_18offset_tEEE10hipError_tPvRmT1_PNSt15iterator_traitsISY_E10value_typeET2_T3_PNSZ_IS14_E10value_typeET4_jRbjT5_S1A_jjP12ihipStream_tbEUljE_EEESV_SW_SX_S14_S18_S1A_T6_T7_T9_mT8_S1C_bDpT10_ENKUlT_T0_E_clISt17integral_constantIbLb1EES1P_EEDaS1K_S1L_EUlS1K_E_NS1_11comp_targetILNS1_3genE2ELNS1_11target_archE906ELNS1_3gpuE6ELNS1_3repE0EEENS1_30default_config_static_selectorELNS0_4arch9wavefront6targetE1EEEvSY_.uses_flat_scratch, 0
	.set _ZN7rocprim17ROCPRIM_400000_NS6detail17trampoline_kernelINS0_13select_configILj256ELj13ELNS0_17block_load_methodE3ELS4_3ELS4_3ELNS0_20block_scan_algorithmE0ELj4294967295EEENS1_25partition_config_selectorILNS1_17partition_subalgoE3EjNS0_10empty_typeEbEEZZNS1_14partition_implILS8_3ELb0ES6_jNS0_17counting_iteratorIjlEEPS9_SE_NS0_5tupleIJPjSE_EEENSF_IJSE_SE_EEES9_SG_JZNS1_25segmented_radix_sort_implINS0_14default_configELb1EPKhPhPKlPlN2at6native12_GLOBAL__N_18offset_tEEE10hipError_tPvRmT1_PNSt15iterator_traitsISY_E10value_typeET2_T3_PNSZ_IS14_E10value_typeET4_jRbjT5_S1A_jjP12ihipStream_tbEUljE_EEESV_SW_SX_S14_S18_S1A_T6_T7_T9_mT8_S1C_bDpT10_ENKUlT_T0_E_clISt17integral_constantIbLb1EES1P_EEDaS1K_S1L_EUlS1K_E_NS1_11comp_targetILNS1_3genE2ELNS1_11target_archE906ELNS1_3gpuE6ELNS1_3repE0EEENS1_30default_config_static_selectorELNS0_4arch9wavefront6targetE1EEEvSY_.has_dyn_sized_stack, 0
	.set _ZN7rocprim17ROCPRIM_400000_NS6detail17trampoline_kernelINS0_13select_configILj256ELj13ELNS0_17block_load_methodE3ELS4_3ELS4_3ELNS0_20block_scan_algorithmE0ELj4294967295EEENS1_25partition_config_selectorILNS1_17partition_subalgoE3EjNS0_10empty_typeEbEEZZNS1_14partition_implILS8_3ELb0ES6_jNS0_17counting_iteratorIjlEEPS9_SE_NS0_5tupleIJPjSE_EEENSF_IJSE_SE_EEES9_SG_JZNS1_25segmented_radix_sort_implINS0_14default_configELb1EPKhPhPKlPlN2at6native12_GLOBAL__N_18offset_tEEE10hipError_tPvRmT1_PNSt15iterator_traitsISY_E10value_typeET2_T3_PNSZ_IS14_E10value_typeET4_jRbjT5_S1A_jjP12ihipStream_tbEUljE_EEESV_SW_SX_S14_S18_S1A_T6_T7_T9_mT8_S1C_bDpT10_ENKUlT_T0_E_clISt17integral_constantIbLb1EES1P_EEDaS1K_S1L_EUlS1K_E_NS1_11comp_targetILNS1_3genE2ELNS1_11target_archE906ELNS1_3gpuE6ELNS1_3repE0EEENS1_30default_config_static_selectorELNS0_4arch9wavefront6targetE1EEEvSY_.has_recursion, 0
	.set _ZN7rocprim17ROCPRIM_400000_NS6detail17trampoline_kernelINS0_13select_configILj256ELj13ELNS0_17block_load_methodE3ELS4_3ELS4_3ELNS0_20block_scan_algorithmE0ELj4294967295EEENS1_25partition_config_selectorILNS1_17partition_subalgoE3EjNS0_10empty_typeEbEEZZNS1_14partition_implILS8_3ELb0ES6_jNS0_17counting_iteratorIjlEEPS9_SE_NS0_5tupleIJPjSE_EEENSF_IJSE_SE_EEES9_SG_JZNS1_25segmented_radix_sort_implINS0_14default_configELb1EPKhPhPKlPlN2at6native12_GLOBAL__N_18offset_tEEE10hipError_tPvRmT1_PNSt15iterator_traitsISY_E10value_typeET2_T3_PNSZ_IS14_E10value_typeET4_jRbjT5_S1A_jjP12ihipStream_tbEUljE_EEESV_SW_SX_S14_S18_S1A_T6_T7_T9_mT8_S1C_bDpT10_ENKUlT_T0_E_clISt17integral_constantIbLb1EES1P_EEDaS1K_S1L_EUlS1K_E_NS1_11comp_targetILNS1_3genE2ELNS1_11target_archE906ELNS1_3gpuE6ELNS1_3repE0EEENS1_30default_config_static_selectorELNS0_4arch9wavefront6targetE1EEEvSY_.has_indirect_call, 0
	.section	.AMDGPU.csdata,"",@progbits
; Kernel info:
; codeLenInByte = 4
; TotalNumSgprs: 4
; NumVgprs: 0
; ScratchSize: 0
; MemoryBound: 0
; FloatMode: 240
; IeeeMode: 1
; LDSByteSize: 0 bytes/workgroup (compile time only)
; SGPRBlocks: 0
; VGPRBlocks: 0
; NumSGPRsForWavesPerEU: 4
; NumVGPRsForWavesPerEU: 1
; Occupancy: 10
; WaveLimiterHint : 0
; COMPUTE_PGM_RSRC2:SCRATCH_EN: 0
; COMPUTE_PGM_RSRC2:USER_SGPR: 6
; COMPUTE_PGM_RSRC2:TRAP_HANDLER: 0
; COMPUTE_PGM_RSRC2:TGID_X_EN: 1
; COMPUTE_PGM_RSRC2:TGID_Y_EN: 0
; COMPUTE_PGM_RSRC2:TGID_Z_EN: 0
; COMPUTE_PGM_RSRC2:TIDIG_COMP_CNT: 0
	.section	.text._ZN7rocprim17ROCPRIM_400000_NS6detail17trampoline_kernelINS0_13select_configILj256ELj13ELNS0_17block_load_methodE3ELS4_3ELS4_3ELNS0_20block_scan_algorithmE0ELj4294967295EEENS1_25partition_config_selectorILNS1_17partition_subalgoE3EjNS0_10empty_typeEbEEZZNS1_14partition_implILS8_3ELb0ES6_jNS0_17counting_iteratorIjlEEPS9_SE_NS0_5tupleIJPjSE_EEENSF_IJSE_SE_EEES9_SG_JZNS1_25segmented_radix_sort_implINS0_14default_configELb1EPKhPhPKlPlN2at6native12_GLOBAL__N_18offset_tEEE10hipError_tPvRmT1_PNSt15iterator_traitsISY_E10value_typeET2_T3_PNSZ_IS14_E10value_typeET4_jRbjT5_S1A_jjP12ihipStream_tbEUljE_EEESV_SW_SX_S14_S18_S1A_T6_T7_T9_mT8_S1C_bDpT10_ENKUlT_T0_E_clISt17integral_constantIbLb1EES1P_EEDaS1K_S1L_EUlS1K_E_NS1_11comp_targetILNS1_3genE10ELNS1_11target_archE1200ELNS1_3gpuE4ELNS1_3repE0EEENS1_30default_config_static_selectorELNS0_4arch9wavefront6targetE1EEEvSY_,"axG",@progbits,_ZN7rocprim17ROCPRIM_400000_NS6detail17trampoline_kernelINS0_13select_configILj256ELj13ELNS0_17block_load_methodE3ELS4_3ELS4_3ELNS0_20block_scan_algorithmE0ELj4294967295EEENS1_25partition_config_selectorILNS1_17partition_subalgoE3EjNS0_10empty_typeEbEEZZNS1_14partition_implILS8_3ELb0ES6_jNS0_17counting_iteratorIjlEEPS9_SE_NS0_5tupleIJPjSE_EEENSF_IJSE_SE_EEES9_SG_JZNS1_25segmented_radix_sort_implINS0_14default_configELb1EPKhPhPKlPlN2at6native12_GLOBAL__N_18offset_tEEE10hipError_tPvRmT1_PNSt15iterator_traitsISY_E10value_typeET2_T3_PNSZ_IS14_E10value_typeET4_jRbjT5_S1A_jjP12ihipStream_tbEUljE_EEESV_SW_SX_S14_S18_S1A_T6_T7_T9_mT8_S1C_bDpT10_ENKUlT_T0_E_clISt17integral_constantIbLb1EES1P_EEDaS1K_S1L_EUlS1K_E_NS1_11comp_targetILNS1_3genE10ELNS1_11target_archE1200ELNS1_3gpuE4ELNS1_3repE0EEENS1_30default_config_static_selectorELNS0_4arch9wavefront6targetE1EEEvSY_,comdat
	.globl	_ZN7rocprim17ROCPRIM_400000_NS6detail17trampoline_kernelINS0_13select_configILj256ELj13ELNS0_17block_load_methodE3ELS4_3ELS4_3ELNS0_20block_scan_algorithmE0ELj4294967295EEENS1_25partition_config_selectorILNS1_17partition_subalgoE3EjNS0_10empty_typeEbEEZZNS1_14partition_implILS8_3ELb0ES6_jNS0_17counting_iteratorIjlEEPS9_SE_NS0_5tupleIJPjSE_EEENSF_IJSE_SE_EEES9_SG_JZNS1_25segmented_radix_sort_implINS0_14default_configELb1EPKhPhPKlPlN2at6native12_GLOBAL__N_18offset_tEEE10hipError_tPvRmT1_PNSt15iterator_traitsISY_E10value_typeET2_T3_PNSZ_IS14_E10value_typeET4_jRbjT5_S1A_jjP12ihipStream_tbEUljE_EEESV_SW_SX_S14_S18_S1A_T6_T7_T9_mT8_S1C_bDpT10_ENKUlT_T0_E_clISt17integral_constantIbLb1EES1P_EEDaS1K_S1L_EUlS1K_E_NS1_11comp_targetILNS1_3genE10ELNS1_11target_archE1200ELNS1_3gpuE4ELNS1_3repE0EEENS1_30default_config_static_selectorELNS0_4arch9wavefront6targetE1EEEvSY_ ; -- Begin function _ZN7rocprim17ROCPRIM_400000_NS6detail17trampoline_kernelINS0_13select_configILj256ELj13ELNS0_17block_load_methodE3ELS4_3ELS4_3ELNS0_20block_scan_algorithmE0ELj4294967295EEENS1_25partition_config_selectorILNS1_17partition_subalgoE3EjNS0_10empty_typeEbEEZZNS1_14partition_implILS8_3ELb0ES6_jNS0_17counting_iteratorIjlEEPS9_SE_NS0_5tupleIJPjSE_EEENSF_IJSE_SE_EEES9_SG_JZNS1_25segmented_radix_sort_implINS0_14default_configELb1EPKhPhPKlPlN2at6native12_GLOBAL__N_18offset_tEEE10hipError_tPvRmT1_PNSt15iterator_traitsISY_E10value_typeET2_T3_PNSZ_IS14_E10value_typeET4_jRbjT5_S1A_jjP12ihipStream_tbEUljE_EEESV_SW_SX_S14_S18_S1A_T6_T7_T9_mT8_S1C_bDpT10_ENKUlT_T0_E_clISt17integral_constantIbLb1EES1P_EEDaS1K_S1L_EUlS1K_E_NS1_11comp_targetILNS1_3genE10ELNS1_11target_archE1200ELNS1_3gpuE4ELNS1_3repE0EEENS1_30default_config_static_selectorELNS0_4arch9wavefront6targetE1EEEvSY_
	.p2align	8
	.type	_ZN7rocprim17ROCPRIM_400000_NS6detail17trampoline_kernelINS0_13select_configILj256ELj13ELNS0_17block_load_methodE3ELS4_3ELS4_3ELNS0_20block_scan_algorithmE0ELj4294967295EEENS1_25partition_config_selectorILNS1_17partition_subalgoE3EjNS0_10empty_typeEbEEZZNS1_14partition_implILS8_3ELb0ES6_jNS0_17counting_iteratorIjlEEPS9_SE_NS0_5tupleIJPjSE_EEENSF_IJSE_SE_EEES9_SG_JZNS1_25segmented_radix_sort_implINS0_14default_configELb1EPKhPhPKlPlN2at6native12_GLOBAL__N_18offset_tEEE10hipError_tPvRmT1_PNSt15iterator_traitsISY_E10value_typeET2_T3_PNSZ_IS14_E10value_typeET4_jRbjT5_S1A_jjP12ihipStream_tbEUljE_EEESV_SW_SX_S14_S18_S1A_T6_T7_T9_mT8_S1C_bDpT10_ENKUlT_T0_E_clISt17integral_constantIbLb1EES1P_EEDaS1K_S1L_EUlS1K_E_NS1_11comp_targetILNS1_3genE10ELNS1_11target_archE1200ELNS1_3gpuE4ELNS1_3repE0EEENS1_30default_config_static_selectorELNS0_4arch9wavefront6targetE1EEEvSY_,@function
_ZN7rocprim17ROCPRIM_400000_NS6detail17trampoline_kernelINS0_13select_configILj256ELj13ELNS0_17block_load_methodE3ELS4_3ELS4_3ELNS0_20block_scan_algorithmE0ELj4294967295EEENS1_25partition_config_selectorILNS1_17partition_subalgoE3EjNS0_10empty_typeEbEEZZNS1_14partition_implILS8_3ELb0ES6_jNS0_17counting_iteratorIjlEEPS9_SE_NS0_5tupleIJPjSE_EEENSF_IJSE_SE_EEES9_SG_JZNS1_25segmented_radix_sort_implINS0_14default_configELb1EPKhPhPKlPlN2at6native12_GLOBAL__N_18offset_tEEE10hipError_tPvRmT1_PNSt15iterator_traitsISY_E10value_typeET2_T3_PNSZ_IS14_E10value_typeET4_jRbjT5_S1A_jjP12ihipStream_tbEUljE_EEESV_SW_SX_S14_S18_S1A_T6_T7_T9_mT8_S1C_bDpT10_ENKUlT_T0_E_clISt17integral_constantIbLb1EES1P_EEDaS1K_S1L_EUlS1K_E_NS1_11comp_targetILNS1_3genE10ELNS1_11target_archE1200ELNS1_3gpuE4ELNS1_3repE0EEENS1_30default_config_static_selectorELNS0_4arch9wavefront6targetE1EEEvSY_: ; @_ZN7rocprim17ROCPRIM_400000_NS6detail17trampoline_kernelINS0_13select_configILj256ELj13ELNS0_17block_load_methodE3ELS4_3ELS4_3ELNS0_20block_scan_algorithmE0ELj4294967295EEENS1_25partition_config_selectorILNS1_17partition_subalgoE3EjNS0_10empty_typeEbEEZZNS1_14partition_implILS8_3ELb0ES6_jNS0_17counting_iteratorIjlEEPS9_SE_NS0_5tupleIJPjSE_EEENSF_IJSE_SE_EEES9_SG_JZNS1_25segmented_radix_sort_implINS0_14default_configELb1EPKhPhPKlPlN2at6native12_GLOBAL__N_18offset_tEEE10hipError_tPvRmT1_PNSt15iterator_traitsISY_E10value_typeET2_T3_PNSZ_IS14_E10value_typeET4_jRbjT5_S1A_jjP12ihipStream_tbEUljE_EEESV_SW_SX_S14_S18_S1A_T6_T7_T9_mT8_S1C_bDpT10_ENKUlT_T0_E_clISt17integral_constantIbLb1EES1P_EEDaS1K_S1L_EUlS1K_E_NS1_11comp_targetILNS1_3genE10ELNS1_11target_archE1200ELNS1_3gpuE4ELNS1_3repE0EEENS1_30default_config_static_selectorELNS0_4arch9wavefront6targetE1EEEvSY_
; %bb.0:
	.section	.rodata,"a",@progbits
	.p2align	6, 0x0
	.amdhsa_kernel _ZN7rocprim17ROCPRIM_400000_NS6detail17trampoline_kernelINS0_13select_configILj256ELj13ELNS0_17block_load_methodE3ELS4_3ELS4_3ELNS0_20block_scan_algorithmE0ELj4294967295EEENS1_25partition_config_selectorILNS1_17partition_subalgoE3EjNS0_10empty_typeEbEEZZNS1_14partition_implILS8_3ELb0ES6_jNS0_17counting_iteratorIjlEEPS9_SE_NS0_5tupleIJPjSE_EEENSF_IJSE_SE_EEES9_SG_JZNS1_25segmented_radix_sort_implINS0_14default_configELb1EPKhPhPKlPlN2at6native12_GLOBAL__N_18offset_tEEE10hipError_tPvRmT1_PNSt15iterator_traitsISY_E10value_typeET2_T3_PNSZ_IS14_E10value_typeET4_jRbjT5_S1A_jjP12ihipStream_tbEUljE_EEESV_SW_SX_S14_S18_S1A_T6_T7_T9_mT8_S1C_bDpT10_ENKUlT_T0_E_clISt17integral_constantIbLb1EES1P_EEDaS1K_S1L_EUlS1K_E_NS1_11comp_targetILNS1_3genE10ELNS1_11target_archE1200ELNS1_3gpuE4ELNS1_3repE0EEENS1_30default_config_static_selectorELNS0_4arch9wavefront6targetE1EEEvSY_
		.amdhsa_group_segment_fixed_size 0
		.amdhsa_private_segment_fixed_size 0
		.amdhsa_kernarg_size 152
		.amdhsa_user_sgpr_count 6
		.amdhsa_user_sgpr_private_segment_buffer 1
		.amdhsa_user_sgpr_dispatch_ptr 0
		.amdhsa_user_sgpr_queue_ptr 0
		.amdhsa_user_sgpr_kernarg_segment_ptr 1
		.amdhsa_user_sgpr_dispatch_id 0
		.amdhsa_user_sgpr_flat_scratch_init 0
		.amdhsa_user_sgpr_private_segment_size 0
		.amdhsa_uses_dynamic_stack 0
		.amdhsa_system_sgpr_private_segment_wavefront_offset 0
		.amdhsa_system_sgpr_workgroup_id_x 1
		.amdhsa_system_sgpr_workgroup_id_y 0
		.amdhsa_system_sgpr_workgroup_id_z 0
		.amdhsa_system_sgpr_workgroup_info 0
		.amdhsa_system_vgpr_workitem_id 0
		.amdhsa_next_free_vgpr 1
		.amdhsa_next_free_sgpr 0
		.amdhsa_reserve_vcc 0
		.amdhsa_reserve_flat_scratch 0
		.amdhsa_float_round_mode_32 0
		.amdhsa_float_round_mode_16_64 0
		.amdhsa_float_denorm_mode_32 3
		.amdhsa_float_denorm_mode_16_64 3
		.amdhsa_dx10_clamp 1
		.amdhsa_ieee_mode 1
		.amdhsa_fp16_overflow 0
		.amdhsa_exception_fp_ieee_invalid_op 0
		.amdhsa_exception_fp_denorm_src 0
		.amdhsa_exception_fp_ieee_div_zero 0
		.amdhsa_exception_fp_ieee_overflow 0
		.amdhsa_exception_fp_ieee_underflow 0
		.amdhsa_exception_fp_ieee_inexact 0
		.amdhsa_exception_int_div_zero 0
	.end_amdhsa_kernel
	.section	.text._ZN7rocprim17ROCPRIM_400000_NS6detail17trampoline_kernelINS0_13select_configILj256ELj13ELNS0_17block_load_methodE3ELS4_3ELS4_3ELNS0_20block_scan_algorithmE0ELj4294967295EEENS1_25partition_config_selectorILNS1_17partition_subalgoE3EjNS0_10empty_typeEbEEZZNS1_14partition_implILS8_3ELb0ES6_jNS0_17counting_iteratorIjlEEPS9_SE_NS0_5tupleIJPjSE_EEENSF_IJSE_SE_EEES9_SG_JZNS1_25segmented_radix_sort_implINS0_14default_configELb1EPKhPhPKlPlN2at6native12_GLOBAL__N_18offset_tEEE10hipError_tPvRmT1_PNSt15iterator_traitsISY_E10value_typeET2_T3_PNSZ_IS14_E10value_typeET4_jRbjT5_S1A_jjP12ihipStream_tbEUljE_EEESV_SW_SX_S14_S18_S1A_T6_T7_T9_mT8_S1C_bDpT10_ENKUlT_T0_E_clISt17integral_constantIbLb1EES1P_EEDaS1K_S1L_EUlS1K_E_NS1_11comp_targetILNS1_3genE10ELNS1_11target_archE1200ELNS1_3gpuE4ELNS1_3repE0EEENS1_30default_config_static_selectorELNS0_4arch9wavefront6targetE1EEEvSY_,"axG",@progbits,_ZN7rocprim17ROCPRIM_400000_NS6detail17trampoline_kernelINS0_13select_configILj256ELj13ELNS0_17block_load_methodE3ELS4_3ELS4_3ELNS0_20block_scan_algorithmE0ELj4294967295EEENS1_25partition_config_selectorILNS1_17partition_subalgoE3EjNS0_10empty_typeEbEEZZNS1_14partition_implILS8_3ELb0ES6_jNS0_17counting_iteratorIjlEEPS9_SE_NS0_5tupleIJPjSE_EEENSF_IJSE_SE_EEES9_SG_JZNS1_25segmented_radix_sort_implINS0_14default_configELb1EPKhPhPKlPlN2at6native12_GLOBAL__N_18offset_tEEE10hipError_tPvRmT1_PNSt15iterator_traitsISY_E10value_typeET2_T3_PNSZ_IS14_E10value_typeET4_jRbjT5_S1A_jjP12ihipStream_tbEUljE_EEESV_SW_SX_S14_S18_S1A_T6_T7_T9_mT8_S1C_bDpT10_ENKUlT_T0_E_clISt17integral_constantIbLb1EES1P_EEDaS1K_S1L_EUlS1K_E_NS1_11comp_targetILNS1_3genE10ELNS1_11target_archE1200ELNS1_3gpuE4ELNS1_3repE0EEENS1_30default_config_static_selectorELNS0_4arch9wavefront6targetE1EEEvSY_,comdat
.Lfunc_end62:
	.size	_ZN7rocprim17ROCPRIM_400000_NS6detail17trampoline_kernelINS0_13select_configILj256ELj13ELNS0_17block_load_methodE3ELS4_3ELS4_3ELNS0_20block_scan_algorithmE0ELj4294967295EEENS1_25partition_config_selectorILNS1_17partition_subalgoE3EjNS0_10empty_typeEbEEZZNS1_14partition_implILS8_3ELb0ES6_jNS0_17counting_iteratorIjlEEPS9_SE_NS0_5tupleIJPjSE_EEENSF_IJSE_SE_EEES9_SG_JZNS1_25segmented_radix_sort_implINS0_14default_configELb1EPKhPhPKlPlN2at6native12_GLOBAL__N_18offset_tEEE10hipError_tPvRmT1_PNSt15iterator_traitsISY_E10value_typeET2_T3_PNSZ_IS14_E10value_typeET4_jRbjT5_S1A_jjP12ihipStream_tbEUljE_EEESV_SW_SX_S14_S18_S1A_T6_T7_T9_mT8_S1C_bDpT10_ENKUlT_T0_E_clISt17integral_constantIbLb1EES1P_EEDaS1K_S1L_EUlS1K_E_NS1_11comp_targetILNS1_3genE10ELNS1_11target_archE1200ELNS1_3gpuE4ELNS1_3repE0EEENS1_30default_config_static_selectorELNS0_4arch9wavefront6targetE1EEEvSY_, .Lfunc_end62-_ZN7rocprim17ROCPRIM_400000_NS6detail17trampoline_kernelINS0_13select_configILj256ELj13ELNS0_17block_load_methodE3ELS4_3ELS4_3ELNS0_20block_scan_algorithmE0ELj4294967295EEENS1_25partition_config_selectorILNS1_17partition_subalgoE3EjNS0_10empty_typeEbEEZZNS1_14partition_implILS8_3ELb0ES6_jNS0_17counting_iteratorIjlEEPS9_SE_NS0_5tupleIJPjSE_EEENSF_IJSE_SE_EEES9_SG_JZNS1_25segmented_radix_sort_implINS0_14default_configELb1EPKhPhPKlPlN2at6native12_GLOBAL__N_18offset_tEEE10hipError_tPvRmT1_PNSt15iterator_traitsISY_E10value_typeET2_T3_PNSZ_IS14_E10value_typeET4_jRbjT5_S1A_jjP12ihipStream_tbEUljE_EEESV_SW_SX_S14_S18_S1A_T6_T7_T9_mT8_S1C_bDpT10_ENKUlT_T0_E_clISt17integral_constantIbLb1EES1P_EEDaS1K_S1L_EUlS1K_E_NS1_11comp_targetILNS1_3genE10ELNS1_11target_archE1200ELNS1_3gpuE4ELNS1_3repE0EEENS1_30default_config_static_selectorELNS0_4arch9wavefront6targetE1EEEvSY_
                                        ; -- End function
	.set _ZN7rocprim17ROCPRIM_400000_NS6detail17trampoline_kernelINS0_13select_configILj256ELj13ELNS0_17block_load_methodE3ELS4_3ELS4_3ELNS0_20block_scan_algorithmE0ELj4294967295EEENS1_25partition_config_selectorILNS1_17partition_subalgoE3EjNS0_10empty_typeEbEEZZNS1_14partition_implILS8_3ELb0ES6_jNS0_17counting_iteratorIjlEEPS9_SE_NS0_5tupleIJPjSE_EEENSF_IJSE_SE_EEES9_SG_JZNS1_25segmented_radix_sort_implINS0_14default_configELb1EPKhPhPKlPlN2at6native12_GLOBAL__N_18offset_tEEE10hipError_tPvRmT1_PNSt15iterator_traitsISY_E10value_typeET2_T3_PNSZ_IS14_E10value_typeET4_jRbjT5_S1A_jjP12ihipStream_tbEUljE_EEESV_SW_SX_S14_S18_S1A_T6_T7_T9_mT8_S1C_bDpT10_ENKUlT_T0_E_clISt17integral_constantIbLb1EES1P_EEDaS1K_S1L_EUlS1K_E_NS1_11comp_targetILNS1_3genE10ELNS1_11target_archE1200ELNS1_3gpuE4ELNS1_3repE0EEENS1_30default_config_static_selectorELNS0_4arch9wavefront6targetE1EEEvSY_.num_vgpr, 0
	.set _ZN7rocprim17ROCPRIM_400000_NS6detail17trampoline_kernelINS0_13select_configILj256ELj13ELNS0_17block_load_methodE3ELS4_3ELS4_3ELNS0_20block_scan_algorithmE0ELj4294967295EEENS1_25partition_config_selectorILNS1_17partition_subalgoE3EjNS0_10empty_typeEbEEZZNS1_14partition_implILS8_3ELb0ES6_jNS0_17counting_iteratorIjlEEPS9_SE_NS0_5tupleIJPjSE_EEENSF_IJSE_SE_EEES9_SG_JZNS1_25segmented_radix_sort_implINS0_14default_configELb1EPKhPhPKlPlN2at6native12_GLOBAL__N_18offset_tEEE10hipError_tPvRmT1_PNSt15iterator_traitsISY_E10value_typeET2_T3_PNSZ_IS14_E10value_typeET4_jRbjT5_S1A_jjP12ihipStream_tbEUljE_EEESV_SW_SX_S14_S18_S1A_T6_T7_T9_mT8_S1C_bDpT10_ENKUlT_T0_E_clISt17integral_constantIbLb1EES1P_EEDaS1K_S1L_EUlS1K_E_NS1_11comp_targetILNS1_3genE10ELNS1_11target_archE1200ELNS1_3gpuE4ELNS1_3repE0EEENS1_30default_config_static_selectorELNS0_4arch9wavefront6targetE1EEEvSY_.num_agpr, 0
	.set _ZN7rocprim17ROCPRIM_400000_NS6detail17trampoline_kernelINS0_13select_configILj256ELj13ELNS0_17block_load_methodE3ELS4_3ELS4_3ELNS0_20block_scan_algorithmE0ELj4294967295EEENS1_25partition_config_selectorILNS1_17partition_subalgoE3EjNS0_10empty_typeEbEEZZNS1_14partition_implILS8_3ELb0ES6_jNS0_17counting_iteratorIjlEEPS9_SE_NS0_5tupleIJPjSE_EEENSF_IJSE_SE_EEES9_SG_JZNS1_25segmented_radix_sort_implINS0_14default_configELb1EPKhPhPKlPlN2at6native12_GLOBAL__N_18offset_tEEE10hipError_tPvRmT1_PNSt15iterator_traitsISY_E10value_typeET2_T3_PNSZ_IS14_E10value_typeET4_jRbjT5_S1A_jjP12ihipStream_tbEUljE_EEESV_SW_SX_S14_S18_S1A_T6_T7_T9_mT8_S1C_bDpT10_ENKUlT_T0_E_clISt17integral_constantIbLb1EES1P_EEDaS1K_S1L_EUlS1K_E_NS1_11comp_targetILNS1_3genE10ELNS1_11target_archE1200ELNS1_3gpuE4ELNS1_3repE0EEENS1_30default_config_static_selectorELNS0_4arch9wavefront6targetE1EEEvSY_.numbered_sgpr, 0
	.set _ZN7rocprim17ROCPRIM_400000_NS6detail17trampoline_kernelINS0_13select_configILj256ELj13ELNS0_17block_load_methodE3ELS4_3ELS4_3ELNS0_20block_scan_algorithmE0ELj4294967295EEENS1_25partition_config_selectorILNS1_17partition_subalgoE3EjNS0_10empty_typeEbEEZZNS1_14partition_implILS8_3ELb0ES6_jNS0_17counting_iteratorIjlEEPS9_SE_NS0_5tupleIJPjSE_EEENSF_IJSE_SE_EEES9_SG_JZNS1_25segmented_radix_sort_implINS0_14default_configELb1EPKhPhPKlPlN2at6native12_GLOBAL__N_18offset_tEEE10hipError_tPvRmT1_PNSt15iterator_traitsISY_E10value_typeET2_T3_PNSZ_IS14_E10value_typeET4_jRbjT5_S1A_jjP12ihipStream_tbEUljE_EEESV_SW_SX_S14_S18_S1A_T6_T7_T9_mT8_S1C_bDpT10_ENKUlT_T0_E_clISt17integral_constantIbLb1EES1P_EEDaS1K_S1L_EUlS1K_E_NS1_11comp_targetILNS1_3genE10ELNS1_11target_archE1200ELNS1_3gpuE4ELNS1_3repE0EEENS1_30default_config_static_selectorELNS0_4arch9wavefront6targetE1EEEvSY_.num_named_barrier, 0
	.set _ZN7rocprim17ROCPRIM_400000_NS6detail17trampoline_kernelINS0_13select_configILj256ELj13ELNS0_17block_load_methodE3ELS4_3ELS4_3ELNS0_20block_scan_algorithmE0ELj4294967295EEENS1_25partition_config_selectorILNS1_17partition_subalgoE3EjNS0_10empty_typeEbEEZZNS1_14partition_implILS8_3ELb0ES6_jNS0_17counting_iteratorIjlEEPS9_SE_NS0_5tupleIJPjSE_EEENSF_IJSE_SE_EEES9_SG_JZNS1_25segmented_radix_sort_implINS0_14default_configELb1EPKhPhPKlPlN2at6native12_GLOBAL__N_18offset_tEEE10hipError_tPvRmT1_PNSt15iterator_traitsISY_E10value_typeET2_T3_PNSZ_IS14_E10value_typeET4_jRbjT5_S1A_jjP12ihipStream_tbEUljE_EEESV_SW_SX_S14_S18_S1A_T6_T7_T9_mT8_S1C_bDpT10_ENKUlT_T0_E_clISt17integral_constantIbLb1EES1P_EEDaS1K_S1L_EUlS1K_E_NS1_11comp_targetILNS1_3genE10ELNS1_11target_archE1200ELNS1_3gpuE4ELNS1_3repE0EEENS1_30default_config_static_selectorELNS0_4arch9wavefront6targetE1EEEvSY_.private_seg_size, 0
	.set _ZN7rocprim17ROCPRIM_400000_NS6detail17trampoline_kernelINS0_13select_configILj256ELj13ELNS0_17block_load_methodE3ELS4_3ELS4_3ELNS0_20block_scan_algorithmE0ELj4294967295EEENS1_25partition_config_selectorILNS1_17partition_subalgoE3EjNS0_10empty_typeEbEEZZNS1_14partition_implILS8_3ELb0ES6_jNS0_17counting_iteratorIjlEEPS9_SE_NS0_5tupleIJPjSE_EEENSF_IJSE_SE_EEES9_SG_JZNS1_25segmented_radix_sort_implINS0_14default_configELb1EPKhPhPKlPlN2at6native12_GLOBAL__N_18offset_tEEE10hipError_tPvRmT1_PNSt15iterator_traitsISY_E10value_typeET2_T3_PNSZ_IS14_E10value_typeET4_jRbjT5_S1A_jjP12ihipStream_tbEUljE_EEESV_SW_SX_S14_S18_S1A_T6_T7_T9_mT8_S1C_bDpT10_ENKUlT_T0_E_clISt17integral_constantIbLb1EES1P_EEDaS1K_S1L_EUlS1K_E_NS1_11comp_targetILNS1_3genE10ELNS1_11target_archE1200ELNS1_3gpuE4ELNS1_3repE0EEENS1_30default_config_static_selectorELNS0_4arch9wavefront6targetE1EEEvSY_.uses_vcc, 0
	.set _ZN7rocprim17ROCPRIM_400000_NS6detail17trampoline_kernelINS0_13select_configILj256ELj13ELNS0_17block_load_methodE3ELS4_3ELS4_3ELNS0_20block_scan_algorithmE0ELj4294967295EEENS1_25partition_config_selectorILNS1_17partition_subalgoE3EjNS0_10empty_typeEbEEZZNS1_14partition_implILS8_3ELb0ES6_jNS0_17counting_iteratorIjlEEPS9_SE_NS0_5tupleIJPjSE_EEENSF_IJSE_SE_EEES9_SG_JZNS1_25segmented_radix_sort_implINS0_14default_configELb1EPKhPhPKlPlN2at6native12_GLOBAL__N_18offset_tEEE10hipError_tPvRmT1_PNSt15iterator_traitsISY_E10value_typeET2_T3_PNSZ_IS14_E10value_typeET4_jRbjT5_S1A_jjP12ihipStream_tbEUljE_EEESV_SW_SX_S14_S18_S1A_T6_T7_T9_mT8_S1C_bDpT10_ENKUlT_T0_E_clISt17integral_constantIbLb1EES1P_EEDaS1K_S1L_EUlS1K_E_NS1_11comp_targetILNS1_3genE10ELNS1_11target_archE1200ELNS1_3gpuE4ELNS1_3repE0EEENS1_30default_config_static_selectorELNS0_4arch9wavefront6targetE1EEEvSY_.uses_flat_scratch, 0
	.set _ZN7rocprim17ROCPRIM_400000_NS6detail17trampoline_kernelINS0_13select_configILj256ELj13ELNS0_17block_load_methodE3ELS4_3ELS4_3ELNS0_20block_scan_algorithmE0ELj4294967295EEENS1_25partition_config_selectorILNS1_17partition_subalgoE3EjNS0_10empty_typeEbEEZZNS1_14partition_implILS8_3ELb0ES6_jNS0_17counting_iteratorIjlEEPS9_SE_NS0_5tupleIJPjSE_EEENSF_IJSE_SE_EEES9_SG_JZNS1_25segmented_radix_sort_implINS0_14default_configELb1EPKhPhPKlPlN2at6native12_GLOBAL__N_18offset_tEEE10hipError_tPvRmT1_PNSt15iterator_traitsISY_E10value_typeET2_T3_PNSZ_IS14_E10value_typeET4_jRbjT5_S1A_jjP12ihipStream_tbEUljE_EEESV_SW_SX_S14_S18_S1A_T6_T7_T9_mT8_S1C_bDpT10_ENKUlT_T0_E_clISt17integral_constantIbLb1EES1P_EEDaS1K_S1L_EUlS1K_E_NS1_11comp_targetILNS1_3genE10ELNS1_11target_archE1200ELNS1_3gpuE4ELNS1_3repE0EEENS1_30default_config_static_selectorELNS0_4arch9wavefront6targetE1EEEvSY_.has_dyn_sized_stack, 0
	.set _ZN7rocprim17ROCPRIM_400000_NS6detail17trampoline_kernelINS0_13select_configILj256ELj13ELNS0_17block_load_methodE3ELS4_3ELS4_3ELNS0_20block_scan_algorithmE0ELj4294967295EEENS1_25partition_config_selectorILNS1_17partition_subalgoE3EjNS0_10empty_typeEbEEZZNS1_14partition_implILS8_3ELb0ES6_jNS0_17counting_iteratorIjlEEPS9_SE_NS0_5tupleIJPjSE_EEENSF_IJSE_SE_EEES9_SG_JZNS1_25segmented_radix_sort_implINS0_14default_configELb1EPKhPhPKlPlN2at6native12_GLOBAL__N_18offset_tEEE10hipError_tPvRmT1_PNSt15iterator_traitsISY_E10value_typeET2_T3_PNSZ_IS14_E10value_typeET4_jRbjT5_S1A_jjP12ihipStream_tbEUljE_EEESV_SW_SX_S14_S18_S1A_T6_T7_T9_mT8_S1C_bDpT10_ENKUlT_T0_E_clISt17integral_constantIbLb1EES1P_EEDaS1K_S1L_EUlS1K_E_NS1_11comp_targetILNS1_3genE10ELNS1_11target_archE1200ELNS1_3gpuE4ELNS1_3repE0EEENS1_30default_config_static_selectorELNS0_4arch9wavefront6targetE1EEEvSY_.has_recursion, 0
	.set _ZN7rocprim17ROCPRIM_400000_NS6detail17trampoline_kernelINS0_13select_configILj256ELj13ELNS0_17block_load_methodE3ELS4_3ELS4_3ELNS0_20block_scan_algorithmE0ELj4294967295EEENS1_25partition_config_selectorILNS1_17partition_subalgoE3EjNS0_10empty_typeEbEEZZNS1_14partition_implILS8_3ELb0ES6_jNS0_17counting_iteratorIjlEEPS9_SE_NS0_5tupleIJPjSE_EEENSF_IJSE_SE_EEES9_SG_JZNS1_25segmented_radix_sort_implINS0_14default_configELb1EPKhPhPKlPlN2at6native12_GLOBAL__N_18offset_tEEE10hipError_tPvRmT1_PNSt15iterator_traitsISY_E10value_typeET2_T3_PNSZ_IS14_E10value_typeET4_jRbjT5_S1A_jjP12ihipStream_tbEUljE_EEESV_SW_SX_S14_S18_S1A_T6_T7_T9_mT8_S1C_bDpT10_ENKUlT_T0_E_clISt17integral_constantIbLb1EES1P_EEDaS1K_S1L_EUlS1K_E_NS1_11comp_targetILNS1_3genE10ELNS1_11target_archE1200ELNS1_3gpuE4ELNS1_3repE0EEENS1_30default_config_static_selectorELNS0_4arch9wavefront6targetE1EEEvSY_.has_indirect_call, 0
	.section	.AMDGPU.csdata,"",@progbits
; Kernel info:
; codeLenInByte = 0
; TotalNumSgprs: 4
; NumVgprs: 0
; ScratchSize: 0
; MemoryBound: 0
; FloatMode: 240
; IeeeMode: 1
; LDSByteSize: 0 bytes/workgroup (compile time only)
; SGPRBlocks: 0
; VGPRBlocks: 0
; NumSGPRsForWavesPerEU: 4
; NumVGPRsForWavesPerEU: 1
; Occupancy: 10
; WaveLimiterHint : 0
; COMPUTE_PGM_RSRC2:SCRATCH_EN: 0
; COMPUTE_PGM_RSRC2:USER_SGPR: 6
; COMPUTE_PGM_RSRC2:TRAP_HANDLER: 0
; COMPUTE_PGM_RSRC2:TGID_X_EN: 1
; COMPUTE_PGM_RSRC2:TGID_Y_EN: 0
; COMPUTE_PGM_RSRC2:TGID_Z_EN: 0
; COMPUTE_PGM_RSRC2:TIDIG_COMP_CNT: 0
	.section	.text._ZN7rocprim17ROCPRIM_400000_NS6detail17trampoline_kernelINS0_13select_configILj256ELj13ELNS0_17block_load_methodE3ELS4_3ELS4_3ELNS0_20block_scan_algorithmE0ELj4294967295EEENS1_25partition_config_selectorILNS1_17partition_subalgoE3EjNS0_10empty_typeEbEEZZNS1_14partition_implILS8_3ELb0ES6_jNS0_17counting_iteratorIjlEEPS9_SE_NS0_5tupleIJPjSE_EEENSF_IJSE_SE_EEES9_SG_JZNS1_25segmented_radix_sort_implINS0_14default_configELb1EPKhPhPKlPlN2at6native12_GLOBAL__N_18offset_tEEE10hipError_tPvRmT1_PNSt15iterator_traitsISY_E10value_typeET2_T3_PNSZ_IS14_E10value_typeET4_jRbjT5_S1A_jjP12ihipStream_tbEUljE_EEESV_SW_SX_S14_S18_S1A_T6_T7_T9_mT8_S1C_bDpT10_ENKUlT_T0_E_clISt17integral_constantIbLb1EES1P_EEDaS1K_S1L_EUlS1K_E_NS1_11comp_targetILNS1_3genE9ELNS1_11target_archE1100ELNS1_3gpuE3ELNS1_3repE0EEENS1_30default_config_static_selectorELNS0_4arch9wavefront6targetE1EEEvSY_,"axG",@progbits,_ZN7rocprim17ROCPRIM_400000_NS6detail17trampoline_kernelINS0_13select_configILj256ELj13ELNS0_17block_load_methodE3ELS4_3ELS4_3ELNS0_20block_scan_algorithmE0ELj4294967295EEENS1_25partition_config_selectorILNS1_17partition_subalgoE3EjNS0_10empty_typeEbEEZZNS1_14partition_implILS8_3ELb0ES6_jNS0_17counting_iteratorIjlEEPS9_SE_NS0_5tupleIJPjSE_EEENSF_IJSE_SE_EEES9_SG_JZNS1_25segmented_radix_sort_implINS0_14default_configELb1EPKhPhPKlPlN2at6native12_GLOBAL__N_18offset_tEEE10hipError_tPvRmT1_PNSt15iterator_traitsISY_E10value_typeET2_T3_PNSZ_IS14_E10value_typeET4_jRbjT5_S1A_jjP12ihipStream_tbEUljE_EEESV_SW_SX_S14_S18_S1A_T6_T7_T9_mT8_S1C_bDpT10_ENKUlT_T0_E_clISt17integral_constantIbLb1EES1P_EEDaS1K_S1L_EUlS1K_E_NS1_11comp_targetILNS1_3genE9ELNS1_11target_archE1100ELNS1_3gpuE3ELNS1_3repE0EEENS1_30default_config_static_selectorELNS0_4arch9wavefront6targetE1EEEvSY_,comdat
	.globl	_ZN7rocprim17ROCPRIM_400000_NS6detail17trampoline_kernelINS0_13select_configILj256ELj13ELNS0_17block_load_methodE3ELS4_3ELS4_3ELNS0_20block_scan_algorithmE0ELj4294967295EEENS1_25partition_config_selectorILNS1_17partition_subalgoE3EjNS0_10empty_typeEbEEZZNS1_14partition_implILS8_3ELb0ES6_jNS0_17counting_iteratorIjlEEPS9_SE_NS0_5tupleIJPjSE_EEENSF_IJSE_SE_EEES9_SG_JZNS1_25segmented_radix_sort_implINS0_14default_configELb1EPKhPhPKlPlN2at6native12_GLOBAL__N_18offset_tEEE10hipError_tPvRmT1_PNSt15iterator_traitsISY_E10value_typeET2_T3_PNSZ_IS14_E10value_typeET4_jRbjT5_S1A_jjP12ihipStream_tbEUljE_EEESV_SW_SX_S14_S18_S1A_T6_T7_T9_mT8_S1C_bDpT10_ENKUlT_T0_E_clISt17integral_constantIbLb1EES1P_EEDaS1K_S1L_EUlS1K_E_NS1_11comp_targetILNS1_3genE9ELNS1_11target_archE1100ELNS1_3gpuE3ELNS1_3repE0EEENS1_30default_config_static_selectorELNS0_4arch9wavefront6targetE1EEEvSY_ ; -- Begin function _ZN7rocprim17ROCPRIM_400000_NS6detail17trampoline_kernelINS0_13select_configILj256ELj13ELNS0_17block_load_methodE3ELS4_3ELS4_3ELNS0_20block_scan_algorithmE0ELj4294967295EEENS1_25partition_config_selectorILNS1_17partition_subalgoE3EjNS0_10empty_typeEbEEZZNS1_14partition_implILS8_3ELb0ES6_jNS0_17counting_iteratorIjlEEPS9_SE_NS0_5tupleIJPjSE_EEENSF_IJSE_SE_EEES9_SG_JZNS1_25segmented_radix_sort_implINS0_14default_configELb1EPKhPhPKlPlN2at6native12_GLOBAL__N_18offset_tEEE10hipError_tPvRmT1_PNSt15iterator_traitsISY_E10value_typeET2_T3_PNSZ_IS14_E10value_typeET4_jRbjT5_S1A_jjP12ihipStream_tbEUljE_EEESV_SW_SX_S14_S18_S1A_T6_T7_T9_mT8_S1C_bDpT10_ENKUlT_T0_E_clISt17integral_constantIbLb1EES1P_EEDaS1K_S1L_EUlS1K_E_NS1_11comp_targetILNS1_3genE9ELNS1_11target_archE1100ELNS1_3gpuE3ELNS1_3repE0EEENS1_30default_config_static_selectorELNS0_4arch9wavefront6targetE1EEEvSY_
	.p2align	8
	.type	_ZN7rocprim17ROCPRIM_400000_NS6detail17trampoline_kernelINS0_13select_configILj256ELj13ELNS0_17block_load_methodE3ELS4_3ELS4_3ELNS0_20block_scan_algorithmE0ELj4294967295EEENS1_25partition_config_selectorILNS1_17partition_subalgoE3EjNS0_10empty_typeEbEEZZNS1_14partition_implILS8_3ELb0ES6_jNS0_17counting_iteratorIjlEEPS9_SE_NS0_5tupleIJPjSE_EEENSF_IJSE_SE_EEES9_SG_JZNS1_25segmented_radix_sort_implINS0_14default_configELb1EPKhPhPKlPlN2at6native12_GLOBAL__N_18offset_tEEE10hipError_tPvRmT1_PNSt15iterator_traitsISY_E10value_typeET2_T3_PNSZ_IS14_E10value_typeET4_jRbjT5_S1A_jjP12ihipStream_tbEUljE_EEESV_SW_SX_S14_S18_S1A_T6_T7_T9_mT8_S1C_bDpT10_ENKUlT_T0_E_clISt17integral_constantIbLb1EES1P_EEDaS1K_S1L_EUlS1K_E_NS1_11comp_targetILNS1_3genE9ELNS1_11target_archE1100ELNS1_3gpuE3ELNS1_3repE0EEENS1_30default_config_static_selectorELNS0_4arch9wavefront6targetE1EEEvSY_,@function
_ZN7rocprim17ROCPRIM_400000_NS6detail17trampoline_kernelINS0_13select_configILj256ELj13ELNS0_17block_load_methodE3ELS4_3ELS4_3ELNS0_20block_scan_algorithmE0ELj4294967295EEENS1_25partition_config_selectorILNS1_17partition_subalgoE3EjNS0_10empty_typeEbEEZZNS1_14partition_implILS8_3ELb0ES6_jNS0_17counting_iteratorIjlEEPS9_SE_NS0_5tupleIJPjSE_EEENSF_IJSE_SE_EEES9_SG_JZNS1_25segmented_radix_sort_implINS0_14default_configELb1EPKhPhPKlPlN2at6native12_GLOBAL__N_18offset_tEEE10hipError_tPvRmT1_PNSt15iterator_traitsISY_E10value_typeET2_T3_PNSZ_IS14_E10value_typeET4_jRbjT5_S1A_jjP12ihipStream_tbEUljE_EEESV_SW_SX_S14_S18_S1A_T6_T7_T9_mT8_S1C_bDpT10_ENKUlT_T0_E_clISt17integral_constantIbLb1EES1P_EEDaS1K_S1L_EUlS1K_E_NS1_11comp_targetILNS1_3genE9ELNS1_11target_archE1100ELNS1_3gpuE3ELNS1_3repE0EEENS1_30default_config_static_selectorELNS0_4arch9wavefront6targetE1EEEvSY_: ; @_ZN7rocprim17ROCPRIM_400000_NS6detail17trampoline_kernelINS0_13select_configILj256ELj13ELNS0_17block_load_methodE3ELS4_3ELS4_3ELNS0_20block_scan_algorithmE0ELj4294967295EEENS1_25partition_config_selectorILNS1_17partition_subalgoE3EjNS0_10empty_typeEbEEZZNS1_14partition_implILS8_3ELb0ES6_jNS0_17counting_iteratorIjlEEPS9_SE_NS0_5tupleIJPjSE_EEENSF_IJSE_SE_EEES9_SG_JZNS1_25segmented_radix_sort_implINS0_14default_configELb1EPKhPhPKlPlN2at6native12_GLOBAL__N_18offset_tEEE10hipError_tPvRmT1_PNSt15iterator_traitsISY_E10value_typeET2_T3_PNSZ_IS14_E10value_typeET4_jRbjT5_S1A_jjP12ihipStream_tbEUljE_EEESV_SW_SX_S14_S18_S1A_T6_T7_T9_mT8_S1C_bDpT10_ENKUlT_T0_E_clISt17integral_constantIbLb1EES1P_EEDaS1K_S1L_EUlS1K_E_NS1_11comp_targetILNS1_3genE9ELNS1_11target_archE1100ELNS1_3gpuE3ELNS1_3repE0EEENS1_30default_config_static_selectorELNS0_4arch9wavefront6targetE1EEEvSY_
; %bb.0:
	.section	.rodata,"a",@progbits
	.p2align	6, 0x0
	.amdhsa_kernel _ZN7rocprim17ROCPRIM_400000_NS6detail17trampoline_kernelINS0_13select_configILj256ELj13ELNS0_17block_load_methodE3ELS4_3ELS4_3ELNS0_20block_scan_algorithmE0ELj4294967295EEENS1_25partition_config_selectorILNS1_17partition_subalgoE3EjNS0_10empty_typeEbEEZZNS1_14partition_implILS8_3ELb0ES6_jNS0_17counting_iteratorIjlEEPS9_SE_NS0_5tupleIJPjSE_EEENSF_IJSE_SE_EEES9_SG_JZNS1_25segmented_radix_sort_implINS0_14default_configELb1EPKhPhPKlPlN2at6native12_GLOBAL__N_18offset_tEEE10hipError_tPvRmT1_PNSt15iterator_traitsISY_E10value_typeET2_T3_PNSZ_IS14_E10value_typeET4_jRbjT5_S1A_jjP12ihipStream_tbEUljE_EEESV_SW_SX_S14_S18_S1A_T6_T7_T9_mT8_S1C_bDpT10_ENKUlT_T0_E_clISt17integral_constantIbLb1EES1P_EEDaS1K_S1L_EUlS1K_E_NS1_11comp_targetILNS1_3genE9ELNS1_11target_archE1100ELNS1_3gpuE3ELNS1_3repE0EEENS1_30default_config_static_selectorELNS0_4arch9wavefront6targetE1EEEvSY_
		.amdhsa_group_segment_fixed_size 0
		.amdhsa_private_segment_fixed_size 0
		.amdhsa_kernarg_size 152
		.amdhsa_user_sgpr_count 6
		.amdhsa_user_sgpr_private_segment_buffer 1
		.amdhsa_user_sgpr_dispatch_ptr 0
		.amdhsa_user_sgpr_queue_ptr 0
		.amdhsa_user_sgpr_kernarg_segment_ptr 1
		.amdhsa_user_sgpr_dispatch_id 0
		.amdhsa_user_sgpr_flat_scratch_init 0
		.amdhsa_user_sgpr_private_segment_size 0
		.amdhsa_uses_dynamic_stack 0
		.amdhsa_system_sgpr_private_segment_wavefront_offset 0
		.amdhsa_system_sgpr_workgroup_id_x 1
		.amdhsa_system_sgpr_workgroup_id_y 0
		.amdhsa_system_sgpr_workgroup_id_z 0
		.amdhsa_system_sgpr_workgroup_info 0
		.amdhsa_system_vgpr_workitem_id 0
		.amdhsa_next_free_vgpr 1
		.amdhsa_next_free_sgpr 0
		.amdhsa_reserve_vcc 0
		.amdhsa_reserve_flat_scratch 0
		.amdhsa_float_round_mode_32 0
		.amdhsa_float_round_mode_16_64 0
		.amdhsa_float_denorm_mode_32 3
		.amdhsa_float_denorm_mode_16_64 3
		.amdhsa_dx10_clamp 1
		.amdhsa_ieee_mode 1
		.amdhsa_fp16_overflow 0
		.amdhsa_exception_fp_ieee_invalid_op 0
		.amdhsa_exception_fp_denorm_src 0
		.amdhsa_exception_fp_ieee_div_zero 0
		.amdhsa_exception_fp_ieee_overflow 0
		.amdhsa_exception_fp_ieee_underflow 0
		.amdhsa_exception_fp_ieee_inexact 0
		.amdhsa_exception_int_div_zero 0
	.end_amdhsa_kernel
	.section	.text._ZN7rocprim17ROCPRIM_400000_NS6detail17trampoline_kernelINS0_13select_configILj256ELj13ELNS0_17block_load_methodE3ELS4_3ELS4_3ELNS0_20block_scan_algorithmE0ELj4294967295EEENS1_25partition_config_selectorILNS1_17partition_subalgoE3EjNS0_10empty_typeEbEEZZNS1_14partition_implILS8_3ELb0ES6_jNS0_17counting_iteratorIjlEEPS9_SE_NS0_5tupleIJPjSE_EEENSF_IJSE_SE_EEES9_SG_JZNS1_25segmented_radix_sort_implINS0_14default_configELb1EPKhPhPKlPlN2at6native12_GLOBAL__N_18offset_tEEE10hipError_tPvRmT1_PNSt15iterator_traitsISY_E10value_typeET2_T3_PNSZ_IS14_E10value_typeET4_jRbjT5_S1A_jjP12ihipStream_tbEUljE_EEESV_SW_SX_S14_S18_S1A_T6_T7_T9_mT8_S1C_bDpT10_ENKUlT_T0_E_clISt17integral_constantIbLb1EES1P_EEDaS1K_S1L_EUlS1K_E_NS1_11comp_targetILNS1_3genE9ELNS1_11target_archE1100ELNS1_3gpuE3ELNS1_3repE0EEENS1_30default_config_static_selectorELNS0_4arch9wavefront6targetE1EEEvSY_,"axG",@progbits,_ZN7rocprim17ROCPRIM_400000_NS6detail17trampoline_kernelINS0_13select_configILj256ELj13ELNS0_17block_load_methodE3ELS4_3ELS4_3ELNS0_20block_scan_algorithmE0ELj4294967295EEENS1_25partition_config_selectorILNS1_17partition_subalgoE3EjNS0_10empty_typeEbEEZZNS1_14partition_implILS8_3ELb0ES6_jNS0_17counting_iteratorIjlEEPS9_SE_NS0_5tupleIJPjSE_EEENSF_IJSE_SE_EEES9_SG_JZNS1_25segmented_radix_sort_implINS0_14default_configELb1EPKhPhPKlPlN2at6native12_GLOBAL__N_18offset_tEEE10hipError_tPvRmT1_PNSt15iterator_traitsISY_E10value_typeET2_T3_PNSZ_IS14_E10value_typeET4_jRbjT5_S1A_jjP12ihipStream_tbEUljE_EEESV_SW_SX_S14_S18_S1A_T6_T7_T9_mT8_S1C_bDpT10_ENKUlT_T0_E_clISt17integral_constantIbLb1EES1P_EEDaS1K_S1L_EUlS1K_E_NS1_11comp_targetILNS1_3genE9ELNS1_11target_archE1100ELNS1_3gpuE3ELNS1_3repE0EEENS1_30default_config_static_selectorELNS0_4arch9wavefront6targetE1EEEvSY_,comdat
.Lfunc_end63:
	.size	_ZN7rocprim17ROCPRIM_400000_NS6detail17trampoline_kernelINS0_13select_configILj256ELj13ELNS0_17block_load_methodE3ELS4_3ELS4_3ELNS0_20block_scan_algorithmE0ELj4294967295EEENS1_25partition_config_selectorILNS1_17partition_subalgoE3EjNS0_10empty_typeEbEEZZNS1_14partition_implILS8_3ELb0ES6_jNS0_17counting_iteratorIjlEEPS9_SE_NS0_5tupleIJPjSE_EEENSF_IJSE_SE_EEES9_SG_JZNS1_25segmented_radix_sort_implINS0_14default_configELb1EPKhPhPKlPlN2at6native12_GLOBAL__N_18offset_tEEE10hipError_tPvRmT1_PNSt15iterator_traitsISY_E10value_typeET2_T3_PNSZ_IS14_E10value_typeET4_jRbjT5_S1A_jjP12ihipStream_tbEUljE_EEESV_SW_SX_S14_S18_S1A_T6_T7_T9_mT8_S1C_bDpT10_ENKUlT_T0_E_clISt17integral_constantIbLb1EES1P_EEDaS1K_S1L_EUlS1K_E_NS1_11comp_targetILNS1_3genE9ELNS1_11target_archE1100ELNS1_3gpuE3ELNS1_3repE0EEENS1_30default_config_static_selectorELNS0_4arch9wavefront6targetE1EEEvSY_, .Lfunc_end63-_ZN7rocprim17ROCPRIM_400000_NS6detail17trampoline_kernelINS0_13select_configILj256ELj13ELNS0_17block_load_methodE3ELS4_3ELS4_3ELNS0_20block_scan_algorithmE0ELj4294967295EEENS1_25partition_config_selectorILNS1_17partition_subalgoE3EjNS0_10empty_typeEbEEZZNS1_14partition_implILS8_3ELb0ES6_jNS0_17counting_iteratorIjlEEPS9_SE_NS0_5tupleIJPjSE_EEENSF_IJSE_SE_EEES9_SG_JZNS1_25segmented_radix_sort_implINS0_14default_configELb1EPKhPhPKlPlN2at6native12_GLOBAL__N_18offset_tEEE10hipError_tPvRmT1_PNSt15iterator_traitsISY_E10value_typeET2_T3_PNSZ_IS14_E10value_typeET4_jRbjT5_S1A_jjP12ihipStream_tbEUljE_EEESV_SW_SX_S14_S18_S1A_T6_T7_T9_mT8_S1C_bDpT10_ENKUlT_T0_E_clISt17integral_constantIbLb1EES1P_EEDaS1K_S1L_EUlS1K_E_NS1_11comp_targetILNS1_3genE9ELNS1_11target_archE1100ELNS1_3gpuE3ELNS1_3repE0EEENS1_30default_config_static_selectorELNS0_4arch9wavefront6targetE1EEEvSY_
                                        ; -- End function
	.set _ZN7rocprim17ROCPRIM_400000_NS6detail17trampoline_kernelINS0_13select_configILj256ELj13ELNS0_17block_load_methodE3ELS4_3ELS4_3ELNS0_20block_scan_algorithmE0ELj4294967295EEENS1_25partition_config_selectorILNS1_17partition_subalgoE3EjNS0_10empty_typeEbEEZZNS1_14partition_implILS8_3ELb0ES6_jNS0_17counting_iteratorIjlEEPS9_SE_NS0_5tupleIJPjSE_EEENSF_IJSE_SE_EEES9_SG_JZNS1_25segmented_radix_sort_implINS0_14default_configELb1EPKhPhPKlPlN2at6native12_GLOBAL__N_18offset_tEEE10hipError_tPvRmT1_PNSt15iterator_traitsISY_E10value_typeET2_T3_PNSZ_IS14_E10value_typeET4_jRbjT5_S1A_jjP12ihipStream_tbEUljE_EEESV_SW_SX_S14_S18_S1A_T6_T7_T9_mT8_S1C_bDpT10_ENKUlT_T0_E_clISt17integral_constantIbLb1EES1P_EEDaS1K_S1L_EUlS1K_E_NS1_11comp_targetILNS1_3genE9ELNS1_11target_archE1100ELNS1_3gpuE3ELNS1_3repE0EEENS1_30default_config_static_selectorELNS0_4arch9wavefront6targetE1EEEvSY_.num_vgpr, 0
	.set _ZN7rocprim17ROCPRIM_400000_NS6detail17trampoline_kernelINS0_13select_configILj256ELj13ELNS0_17block_load_methodE3ELS4_3ELS4_3ELNS0_20block_scan_algorithmE0ELj4294967295EEENS1_25partition_config_selectorILNS1_17partition_subalgoE3EjNS0_10empty_typeEbEEZZNS1_14partition_implILS8_3ELb0ES6_jNS0_17counting_iteratorIjlEEPS9_SE_NS0_5tupleIJPjSE_EEENSF_IJSE_SE_EEES9_SG_JZNS1_25segmented_radix_sort_implINS0_14default_configELb1EPKhPhPKlPlN2at6native12_GLOBAL__N_18offset_tEEE10hipError_tPvRmT1_PNSt15iterator_traitsISY_E10value_typeET2_T3_PNSZ_IS14_E10value_typeET4_jRbjT5_S1A_jjP12ihipStream_tbEUljE_EEESV_SW_SX_S14_S18_S1A_T6_T7_T9_mT8_S1C_bDpT10_ENKUlT_T0_E_clISt17integral_constantIbLb1EES1P_EEDaS1K_S1L_EUlS1K_E_NS1_11comp_targetILNS1_3genE9ELNS1_11target_archE1100ELNS1_3gpuE3ELNS1_3repE0EEENS1_30default_config_static_selectorELNS0_4arch9wavefront6targetE1EEEvSY_.num_agpr, 0
	.set _ZN7rocprim17ROCPRIM_400000_NS6detail17trampoline_kernelINS0_13select_configILj256ELj13ELNS0_17block_load_methodE3ELS4_3ELS4_3ELNS0_20block_scan_algorithmE0ELj4294967295EEENS1_25partition_config_selectorILNS1_17partition_subalgoE3EjNS0_10empty_typeEbEEZZNS1_14partition_implILS8_3ELb0ES6_jNS0_17counting_iteratorIjlEEPS9_SE_NS0_5tupleIJPjSE_EEENSF_IJSE_SE_EEES9_SG_JZNS1_25segmented_radix_sort_implINS0_14default_configELb1EPKhPhPKlPlN2at6native12_GLOBAL__N_18offset_tEEE10hipError_tPvRmT1_PNSt15iterator_traitsISY_E10value_typeET2_T3_PNSZ_IS14_E10value_typeET4_jRbjT5_S1A_jjP12ihipStream_tbEUljE_EEESV_SW_SX_S14_S18_S1A_T6_T7_T9_mT8_S1C_bDpT10_ENKUlT_T0_E_clISt17integral_constantIbLb1EES1P_EEDaS1K_S1L_EUlS1K_E_NS1_11comp_targetILNS1_3genE9ELNS1_11target_archE1100ELNS1_3gpuE3ELNS1_3repE0EEENS1_30default_config_static_selectorELNS0_4arch9wavefront6targetE1EEEvSY_.numbered_sgpr, 0
	.set _ZN7rocprim17ROCPRIM_400000_NS6detail17trampoline_kernelINS0_13select_configILj256ELj13ELNS0_17block_load_methodE3ELS4_3ELS4_3ELNS0_20block_scan_algorithmE0ELj4294967295EEENS1_25partition_config_selectorILNS1_17partition_subalgoE3EjNS0_10empty_typeEbEEZZNS1_14partition_implILS8_3ELb0ES6_jNS0_17counting_iteratorIjlEEPS9_SE_NS0_5tupleIJPjSE_EEENSF_IJSE_SE_EEES9_SG_JZNS1_25segmented_radix_sort_implINS0_14default_configELb1EPKhPhPKlPlN2at6native12_GLOBAL__N_18offset_tEEE10hipError_tPvRmT1_PNSt15iterator_traitsISY_E10value_typeET2_T3_PNSZ_IS14_E10value_typeET4_jRbjT5_S1A_jjP12ihipStream_tbEUljE_EEESV_SW_SX_S14_S18_S1A_T6_T7_T9_mT8_S1C_bDpT10_ENKUlT_T0_E_clISt17integral_constantIbLb1EES1P_EEDaS1K_S1L_EUlS1K_E_NS1_11comp_targetILNS1_3genE9ELNS1_11target_archE1100ELNS1_3gpuE3ELNS1_3repE0EEENS1_30default_config_static_selectorELNS0_4arch9wavefront6targetE1EEEvSY_.num_named_barrier, 0
	.set _ZN7rocprim17ROCPRIM_400000_NS6detail17trampoline_kernelINS0_13select_configILj256ELj13ELNS0_17block_load_methodE3ELS4_3ELS4_3ELNS0_20block_scan_algorithmE0ELj4294967295EEENS1_25partition_config_selectorILNS1_17partition_subalgoE3EjNS0_10empty_typeEbEEZZNS1_14partition_implILS8_3ELb0ES6_jNS0_17counting_iteratorIjlEEPS9_SE_NS0_5tupleIJPjSE_EEENSF_IJSE_SE_EEES9_SG_JZNS1_25segmented_radix_sort_implINS0_14default_configELb1EPKhPhPKlPlN2at6native12_GLOBAL__N_18offset_tEEE10hipError_tPvRmT1_PNSt15iterator_traitsISY_E10value_typeET2_T3_PNSZ_IS14_E10value_typeET4_jRbjT5_S1A_jjP12ihipStream_tbEUljE_EEESV_SW_SX_S14_S18_S1A_T6_T7_T9_mT8_S1C_bDpT10_ENKUlT_T0_E_clISt17integral_constantIbLb1EES1P_EEDaS1K_S1L_EUlS1K_E_NS1_11comp_targetILNS1_3genE9ELNS1_11target_archE1100ELNS1_3gpuE3ELNS1_3repE0EEENS1_30default_config_static_selectorELNS0_4arch9wavefront6targetE1EEEvSY_.private_seg_size, 0
	.set _ZN7rocprim17ROCPRIM_400000_NS6detail17trampoline_kernelINS0_13select_configILj256ELj13ELNS0_17block_load_methodE3ELS4_3ELS4_3ELNS0_20block_scan_algorithmE0ELj4294967295EEENS1_25partition_config_selectorILNS1_17partition_subalgoE3EjNS0_10empty_typeEbEEZZNS1_14partition_implILS8_3ELb0ES6_jNS0_17counting_iteratorIjlEEPS9_SE_NS0_5tupleIJPjSE_EEENSF_IJSE_SE_EEES9_SG_JZNS1_25segmented_radix_sort_implINS0_14default_configELb1EPKhPhPKlPlN2at6native12_GLOBAL__N_18offset_tEEE10hipError_tPvRmT1_PNSt15iterator_traitsISY_E10value_typeET2_T3_PNSZ_IS14_E10value_typeET4_jRbjT5_S1A_jjP12ihipStream_tbEUljE_EEESV_SW_SX_S14_S18_S1A_T6_T7_T9_mT8_S1C_bDpT10_ENKUlT_T0_E_clISt17integral_constantIbLb1EES1P_EEDaS1K_S1L_EUlS1K_E_NS1_11comp_targetILNS1_3genE9ELNS1_11target_archE1100ELNS1_3gpuE3ELNS1_3repE0EEENS1_30default_config_static_selectorELNS0_4arch9wavefront6targetE1EEEvSY_.uses_vcc, 0
	.set _ZN7rocprim17ROCPRIM_400000_NS6detail17trampoline_kernelINS0_13select_configILj256ELj13ELNS0_17block_load_methodE3ELS4_3ELS4_3ELNS0_20block_scan_algorithmE0ELj4294967295EEENS1_25partition_config_selectorILNS1_17partition_subalgoE3EjNS0_10empty_typeEbEEZZNS1_14partition_implILS8_3ELb0ES6_jNS0_17counting_iteratorIjlEEPS9_SE_NS0_5tupleIJPjSE_EEENSF_IJSE_SE_EEES9_SG_JZNS1_25segmented_radix_sort_implINS0_14default_configELb1EPKhPhPKlPlN2at6native12_GLOBAL__N_18offset_tEEE10hipError_tPvRmT1_PNSt15iterator_traitsISY_E10value_typeET2_T3_PNSZ_IS14_E10value_typeET4_jRbjT5_S1A_jjP12ihipStream_tbEUljE_EEESV_SW_SX_S14_S18_S1A_T6_T7_T9_mT8_S1C_bDpT10_ENKUlT_T0_E_clISt17integral_constantIbLb1EES1P_EEDaS1K_S1L_EUlS1K_E_NS1_11comp_targetILNS1_3genE9ELNS1_11target_archE1100ELNS1_3gpuE3ELNS1_3repE0EEENS1_30default_config_static_selectorELNS0_4arch9wavefront6targetE1EEEvSY_.uses_flat_scratch, 0
	.set _ZN7rocprim17ROCPRIM_400000_NS6detail17trampoline_kernelINS0_13select_configILj256ELj13ELNS0_17block_load_methodE3ELS4_3ELS4_3ELNS0_20block_scan_algorithmE0ELj4294967295EEENS1_25partition_config_selectorILNS1_17partition_subalgoE3EjNS0_10empty_typeEbEEZZNS1_14partition_implILS8_3ELb0ES6_jNS0_17counting_iteratorIjlEEPS9_SE_NS0_5tupleIJPjSE_EEENSF_IJSE_SE_EEES9_SG_JZNS1_25segmented_radix_sort_implINS0_14default_configELb1EPKhPhPKlPlN2at6native12_GLOBAL__N_18offset_tEEE10hipError_tPvRmT1_PNSt15iterator_traitsISY_E10value_typeET2_T3_PNSZ_IS14_E10value_typeET4_jRbjT5_S1A_jjP12ihipStream_tbEUljE_EEESV_SW_SX_S14_S18_S1A_T6_T7_T9_mT8_S1C_bDpT10_ENKUlT_T0_E_clISt17integral_constantIbLb1EES1P_EEDaS1K_S1L_EUlS1K_E_NS1_11comp_targetILNS1_3genE9ELNS1_11target_archE1100ELNS1_3gpuE3ELNS1_3repE0EEENS1_30default_config_static_selectorELNS0_4arch9wavefront6targetE1EEEvSY_.has_dyn_sized_stack, 0
	.set _ZN7rocprim17ROCPRIM_400000_NS6detail17trampoline_kernelINS0_13select_configILj256ELj13ELNS0_17block_load_methodE3ELS4_3ELS4_3ELNS0_20block_scan_algorithmE0ELj4294967295EEENS1_25partition_config_selectorILNS1_17partition_subalgoE3EjNS0_10empty_typeEbEEZZNS1_14partition_implILS8_3ELb0ES6_jNS0_17counting_iteratorIjlEEPS9_SE_NS0_5tupleIJPjSE_EEENSF_IJSE_SE_EEES9_SG_JZNS1_25segmented_radix_sort_implINS0_14default_configELb1EPKhPhPKlPlN2at6native12_GLOBAL__N_18offset_tEEE10hipError_tPvRmT1_PNSt15iterator_traitsISY_E10value_typeET2_T3_PNSZ_IS14_E10value_typeET4_jRbjT5_S1A_jjP12ihipStream_tbEUljE_EEESV_SW_SX_S14_S18_S1A_T6_T7_T9_mT8_S1C_bDpT10_ENKUlT_T0_E_clISt17integral_constantIbLb1EES1P_EEDaS1K_S1L_EUlS1K_E_NS1_11comp_targetILNS1_3genE9ELNS1_11target_archE1100ELNS1_3gpuE3ELNS1_3repE0EEENS1_30default_config_static_selectorELNS0_4arch9wavefront6targetE1EEEvSY_.has_recursion, 0
	.set _ZN7rocprim17ROCPRIM_400000_NS6detail17trampoline_kernelINS0_13select_configILj256ELj13ELNS0_17block_load_methodE3ELS4_3ELS4_3ELNS0_20block_scan_algorithmE0ELj4294967295EEENS1_25partition_config_selectorILNS1_17partition_subalgoE3EjNS0_10empty_typeEbEEZZNS1_14partition_implILS8_3ELb0ES6_jNS0_17counting_iteratorIjlEEPS9_SE_NS0_5tupleIJPjSE_EEENSF_IJSE_SE_EEES9_SG_JZNS1_25segmented_radix_sort_implINS0_14default_configELb1EPKhPhPKlPlN2at6native12_GLOBAL__N_18offset_tEEE10hipError_tPvRmT1_PNSt15iterator_traitsISY_E10value_typeET2_T3_PNSZ_IS14_E10value_typeET4_jRbjT5_S1A_jjP12ihipStream_tbEUljE_EEESV_SW_SX_S14_S18_S1A_T6_T7_T9_mT8_S1C_bDpT10_ENKUlT_T0_E_clISt17integral_constantIbLb1EES1P_EEDaS1K_S1L_EUlS1K_E_NS1_11comp_targetILNS1_3genE9ELNS1_11target_archE1100ELNS1_3gpuE3ELNS1_3repE0EEENS1_30default_config_static_selectorELNS0_4arch9wavefront6targetE1EEEvSY_.has_indirect_call, 0
	.section	.AMDGPU.csdata,"",@progbits
; Kernel info:
; codeLenInByte = 0
; TotalNumSgprs: 4
; NumVgprs: 0
; ScratchSize: 0
; MemoryBound: 0
; FloatMode: 240
; IeeeMode: 1
; LDSByteSize: 0 bytes/workgroup (compile time only)
; SGPRBlocks: 0
; VGPRBlocks: 0
; NumSGPRsForWavesPerEU: 4
; NumVGPRsForWavesPerEU: 1
; Occupancy: 10
; WaveLimiterHint : 0
; COMPUTE_PGM_RSRC2:SCRATCH_EN: 0
; COMPUTE_PGM_RSRC2:USER_SGPR: 6
; COMPUTE_PGM_RSRC2:TRAP_HANDLER: 0
; COMPUTE_PGM_RSRC2:TGID_X_EN: 1
; COMPUTE_PGM_RSRC2:TGID_Y_EN: 0
; COMPUTE_PGM_RSRC2:TGID_Z_EN: 0
; COMPUTE_PGM_RSRC2:TIDIG_COMP_CNT: 0
	.section	.text._ZN7rocprim17ROCPRIM_400000_NS6detail17trampoline_kernelINS0_13select_configILj256ELj13ELNS0_17block_load_methodE3ELS4_3ELS4_3ELNS0_20block_scan_algorithmE0ELj4294967295EEENS1_25partition_config_selectorILNS1_17partition_subalgoE3EjNS0_10empty_typeEbEEZZNS1_14partition_implILS8_3ELb0ES6_jNS0_17counting_iteratorIjlEEPS9_SE_NS0_5tupleIJPjSE_EEENSF_IJSE_SE_EEES9_SG_JZNS1_25segmented_radix_sort_implINS0_14default_configELb1EPKhPhPKlPlN2at6native12_GLOBAL__N_18offset_tEEE10hipError_tPvRmT1_PNSt15iterator_traitsISY_E10value_typeET2_T3_PNSZ_IS14_E10value_typeET4_jRbjT5_S1A_jjP12ihipStream_tbEUljE_EEESV_SW_SX_S14_S18_S1A_T6_T7_T9_mT8_S1C_bDpT10_ENKUlT_T0_E_clISt17integral_constantIbLb1EES1P_EEDaS1K_S1L_EUlS1K_E_NS1_11comp_targetILNS1_3genE8ELNS1_11target_archE1030ELNS1_3gpuE2ELNS1_3repE0EEENS1_30default_config_static_selectorELNS0_4arch9wavefront6targetE1EEEvSY_,"axG",@progbits,_ZN7rocprim17ROCPRIM_400000_NS6detail17trampoline_kernelINS0_13select_configILj256ELj13ELNS0_17block_load_methodE3ELS4_3ELS4_3ELNS0_20block_scan_algorithmE0ELj4294967295EEENS1_25partition_config_selectorILNS1_17partition_subalgoE3EjNS0_10empty_typeEbEEZZNS1_14partition_implILS8_3ELb0ES6_jNS0_17counting_iteratorIjlEEPS9_SE_NS0_5tupleIJPjSE_EEENSF_IJSE_SE_EEES9_SG_JZNS1_25segmented_radix_sort_implINS0_14default_configELb1EPKhPhPKlPlN2at6native12_GLOBAL__N_18offset_tEEE10hipError_tPvRmT1_PNSt15iterator_traitsISY_E10value_typeET2_T3_PNSZ_IS14_E10value_typeET4_jRbjT5_S1A_jjP12ihipStream_tbEUljE_EEESV_SW_SX_S14_S18_S1A_T6_T7_T9_mT8_S1C_bDpT10_ENKUlT_T0_E_clISt17integral_constantIbLb1EES1P_EEDaS1K_S1L_EUlS1K_E_NS1_11comp_targetILNS1_3genE8ELNS1_11target_archE1030ELNS1_3gpuE2ELNS1_3repE0EEENS1_30default_config_static_selectorELNS0_4arch9wavefront6targetE1EEEvSY_,comdat
	.globl	_ZN7rocprim17ROCPRIM_400000_NS6detail17trampoline_kernelINS0_13select_configILj256ELj13ELNS0_17block_load_methodE3ELS4_3ELS4_3ELNS0_20block_scan_algorithmE0ELj4294967295EEENS1_25partition_config_selectorILNS1_17partition_subalgoE3EjNS0_10empty_typeEbEEZZNS1_14partition_implILS8_3ELb0ES6_jNS0_17counting_iteratorIjlEEPS9_SE_NS0_5tupleIJPjSE_EEENSF_IJSE_SE_EEES9_SG_JZNS1_25segmented_radix_sort_implINS0_14default_configELb1EPKhPhPKlPlN2at6native12_GLOBAL__N_18offset_tEEE10hipError_tPvRmT1_PNSt15iterator_traitsISY_E10value_typeET2_T3_PNSZ_IS14_E10value_typeET4_jRbjT5_S1A_jjP12ihipStream_tbEUljE_EEESV_SW_SX_S14_S18_S1A_T6_T7_T9_mT8_S1C_bDpT10_ENKUlT_T0_E_clISt17integral_constantIbLb1EES1P_EEDaS1K_S1L_EUlS1K_E_NS1_11comp_targetILNS1_3genE8ELNS1_11target_archE1030ELNS1_3gpuE2ELNS1_3repE0EEENS1_30default_config_static_selectorELNS0_4arch9wavefront6targetE1EEEvSY_ ; -- Begin function _ZN7rocprim17ROCPRIM_400000_NS6detail17trampoline_kernelINS0_13select_configILj256ELj13ELNS0_17block_load_methodE3ELS4_3ELS4_3ELNS0_20block_scan_algorithmE0ELj4294967295EEENS1_25partition_config_selectorILNS1_17partition_subalgoE3EjNS0_10empty_typeEbEEZZNS1_14partition_implILS8_3ELb0ES6_jNS0_17counting_iteratorIjlEEPS9_SE_NS0_5tupleIJPjSE_EEENSF_IJSE_SE_EEES9_SG_JZNS1_25segmented_radix_sort_implINS0_14default_configELb1EPKhPhPKlPlN2at6native12_GLOBAL__N_18offset_tEEE10hipError_tPvRmT1_PNSt15iterator_traitsISY_E10value_typeET2_T3_PNSZ_IS14_E10value_typeET4_jRbjT5_S1A_jjP12ihipStream_tbEUljE_EEESV_SW_SX_S14_S18_S1A_T6_T7_T9_mT8_S1C_bDpT10_ENKUlT_T0_E_clISt17integral_constantIbLb1EES1P_EEDaS1K_S1L_EUlS1K_E_NS1_11comp_targetILNS1_3genE8ELNS1_11target_archE1030ELNS1_3gpuE2ELNS1_3repE0EEENS1_30default_config_static_selectorELNS0_4arch9wavefront6targetE1EEEvSY_
	.p2align	8
	.type	_ZN7rocprim17ROCPRIM_400000_NS6detail17trampoline_kernelINS0_13select_configILj256ELj13ELNS0_17block_load_methodE3ELS4_3ELS4_3ELNS0_20block_scan_algorithmE0ELj4294967295EEENS1_25partition_config_selectorILNS1_17partition_subalgoE3EjNS0_10empty_typeEbEEZZNS1_14partition_implILS8_3ELb0ES6_jNS0_17counting_iteratorIjlEEPS9_SE_NS0_5tupleIJPjSE_EEENSF_IJSE_SE_EEES9_SG_JZNS1_25segmented_radix_sort_implINS0_14default_configELb1EPKhPhPKlPlN2at6native12_GLOBAL__N_18offset_tEEE10hipError_tPvRmT1_PNSt15iterator_traitsISY_E10value_typeET2_T3_PNSZ_IS14_E10value_typeET4_jRbjT5_S1A_jjP12ihipStream_tbEUljE_EEESV_SW_SX_S14_S18_S1A_T6_T7_T9_mT8_S1C_bDpT10_ENKUlT_T0_E_clISt17integral_constantIbLb1EES1P_EEDaS1K_S1L_EUlS1K_E_NS1_11comp_targetILNS1_3genE8ELNS1_11target_archE1030ELNS1_3gpuE2ELNS1_3repE0EEENS1_30default_config_static_selectorELNS0_4arch9wavefront6targetE1EEEvSY_,@function
_ZN7rocprim17ROCPRIM_400000_NS6detail17trampoline_kernelINS0_13select_configILj256ELj13ELNS0_17block_load_methodE3ELS4_3ELS4_3ELNS0_20block_scan_algorithmE0ELj4294967295EEENS1_25partition_config_selectorILNS1_17partition_subalgoE3EjNS0_10empty_typeEbEEZZNS1_14partition_implILS8_3ELb0ES6_jNS0_17counting_iteratorIjlEEPS9_SE_NS0_5tupleIJPjSE_EEENSF_IJSE_SE_EEES9_SG_JZNS1_25segmented_radix_sort_implINS0_14default_configELb1EPKhPhPKlPlN2at6native12_GLOBAL__N_18offset_tEEE10hipError_tPvRmT1_PNSt15iterator_traitsISY_E10value_typeET2_T3_PNSZ_IS14_E10value_typeET4_jRbjT5_S1A_jjP12ihipStream_tbEUljE_EEESV_SW_SX_S14_S18_S1A_T6_T7_T9_mT8_S1C_bDpT10_ENKUlT_T0_E_clISt17integral_constantIbLb1EES1P_EEDaS1K_S1L_EUlS1K_E_NS1_11comp_targetILNS1_3genE8ELNS1_11target_archE1030ELNS1_3gpuE2ELNS1_3repE0EEENS1_30default_config_static_selectorELNS0_4arch9wavefront6targetE1EEEvSY_: ; @_ZN7rocprim17ROCPRIM_400000_NS6detail17trampoline_kernelINS0_13select_configILj256ELj13ELNS0_17block_load_methodE3ELS4_3ELS4_3ELNS0_20block_scan_algorithmE0ELj4294967295EEENS1_25partition_config_selectorILNS1_17partition_subalgoE3EjNS0_10empty_typeEbEEZZNS1_14partition_implILS8_3ELb0ES6_jNS0_17counting_iteratorIjlEEPS9_SE_NS0_5tupleIJPjSE_EEENSF_IJSE_SE_EEES9_SG_JZNS1_25segmented_radix_sort_implINS0_14default_configELb1EPKhPhPKlPlN2at6native12_GLOBAL__N_18offset_tEEE10hipError_tPvRmT1_PNSt15iterator_traitsISY_E10value_typeET2_T3_PNSZ_IS14_E10value_typeET4_jRbjT5_S1A_jjP12ihipStream_tbEUljE_EEESV_SW_SX_S14_S18_S1A_T6_T7_T9_mT8_S1C_bDpT10_ENKUlT_T0_E_clISt17integral_constantIbLb1EES1P_EEDaS1K_S1L_EUlS1K_E_NS1_11comp_targetILNS1_3genE8ELNS1_11target_archE1030ELNS1_3gpuE2ELNS1_3repE0EEENS1_30default_config_static_selectorELNS0_4arch9wavefront6targetE1EEEvSY_
; %bb.0:
	.section	.rodata,"a",@progbits
	.p2align	6, 0x0
	.amdhsa_kernel _ZN7rocprim17ROCPRIM_400000_NS6detail17trampoline_kernelINS0_13select_configILj256ELj13ELNS0_17block_load_methodE3ELS4_3ELS4_3ELNS0_20block_scan_algorithmE0ELj4294967295EEENS1_25partition_config_selectorILNS1_17partition_subalgoE3EjNS0_10empty_typeEbEEZZNS1_14partition_implILS8_3ELb0ES6_jNS0_17counting_iteratorIjlEEPS9_SE_NS0_5tupleIJPjSE_EEENSF_IJSE_SE_EEES9_SG_JZNS1_25segmented_radix_sort_implINS0_14default_configELb1EPKhPhPKlPlN2at6native12_GLOBAL__N_18offset_tEEE10hipError_tPvRmT1_PNSt15iterator_traitsISY_E10value_typeET2_T3_PNSZ_IS14_E10value_typeET4_jRbjT5_S1A_jjP12ihipStream_tbEUljE_EEESV_SW_SX_S14_S18_S1A_T6_T7_T9_mT8_S1C_bDpT10_ENKUlT_T0_E_clISt17integral_constantIbLb1EES1P_EEDaS1K_S1L_EUlS1K_E_NS1_11comp_targetILNS1_3genE8ELNS1_11target_archE1030ELNS1_3gpuE2ELNS1_3repE0EEENS1_30default_config_static_selectorELNS0_4arch9wavefront6targetE1EEEvSY_
		.amdhsa_group_segment_fixed_size 0
		.amdhsa_private_segment_fixed_size 0
		.amdhsa_kernarg_size 152
		.amdhsa_user_sgpr_count 6
		.amdhsa_user_sgpr_private_segment_buffer 1
		.amdhsa_user_sgpr_dispatch_ptr 0
		.amdhsa_user_sgpr_queue_ptr 0
		.amdhsa_user_sgpr_kernarg_segment_ptr 1
		.amdhsa_user_sgpr_dispatch_id 0
		.amdhsa_user_sgpr_flat_scratch_init 0
		.amdhsa_user_sgpr_private_segment_size 0
		.amdhsa_uses_dynamic_stack 0
		.amdhsa_system_sgpr_private_segment_wavefront_offset 0
		.amdhsa_system_sgpr_workgroup_id_x 1
		.amdhsa_system_sgpr_workgroup_id_y 0
		.amdhsa_system_sgpr_workgroup_id_z 0
		.amdhsa_system_sgpr_workgroup_info 0
		.amdhsa_system_vgpr_workitem_id 0
		.amdhsa_next_free_vgpr 1
		.amdhsa_next_free_sgpr 0
		.amdhsa_reserve_vcc 0
		.amdhsa_reserve_flat_scratch 0
		.amdhsa_float_round_mode_32 0
		.amdhsa_float_round_mode_16_64 0
		.amdhsa_float_denorm_mode_32 3
		.amdhsa_float_denorm_mode_16_64 3
		.amdhsa_dx10_clamp 1
		.amdhsa_ieee_mode 1
		.amdhsa_fp16_overflow 0
		.amdhsa_exception_fp_ieee_invalid_op 0
		.amdhsa_exception_fp_denorm_src 0
		.amdhsa_exception_fp_ieee_div_zero 0
		.amdhsa_exception_fp_ieee_overflow 0
		.amdhsa_exception_fp_ieee_underflow 0
		.amdhsa_exception_fp_ieee_inexact 0
		.amdhsa_exception_int_div_zero 0
	.end_amdhsa_kernel
	.section	.text._ZN7rocprim17ROCPRIM_400000_NS6detail17trampoline_kernelINS0_13select_configILj256ELj13ELNS0_17block_load_methodE3ELS4_3ELS4_3ELNS0_20block_scan_algorithmE0ELj4294967295EEENS1_25partition_config_selectorILNS1_17partition_subalgoE3EjNS0_10empty_typeEbEEZZNS1_14partition_implILS8_3ELb0ES6_jNS0_17counting_iteratorIjlEEPS9_SE_NS0_5tupleIJPjSE_EEENSF_IJSE_SE_EEES9_SG_JZNS1_25segmented_radix_sort_implINS0_14default_configELb1EPKhPhPKlPlN2at6native12_GLOBAL__N_18offset_tEEE10hipError_tPvRmT1_PNSt15iterator_traitsISY_E10value_typeET2_T3_PNSZ_IS14_E10value_typeET4_jRbjT5_S1A_jjP12ihipStream_tbEUljE_EEESV_SW_SX_S14_S18_S1A_T6_T7_T9_mT8_S1C_bDpT10_ENKUlT_T0_E_clISt17integral_constantIbLb1EES1P_EEDaS1K_S1L_EUlS1K_E_NS1_11comp_targetILNS1_3genE8ELNS1_11target_archE1030ELNS1_3gpuE2ELNS1_3repE0EEENS1_30default_config_static_selectorELNS0_4arch9wavefront6targetE1EEEvSY_,"axG",@progbits,_ZN7rocprim17ROCPRIM_400000_NS6detail17trampoline_kernelINS0_13select_configILj256ELj13ELNS0_17block_load_methodE3ELS4_3ELS4_3ELNS0_20block_scan_algorithmE0ELj4294967295EEENS1_25partition_config_selectorILNS1_17partition_subalgoE3EjNS0_10empty_typeEbEEZZNS1_14partition_implILS8_3ELb0ES6_jNS0_17counting_iteratorIjlEEPS9_SE_NS0_5tupleIJPjSE_EEENSF_IJSE_SE_EEES9_SG_JZNS1_25segmented_radix_sort_implINS0_14default_configELb1EPKhPhPKlPlN2at6native12_GLOBAL__N_18offset_tEEE10hipError_tPvRmT1_PNSt15iterator_traitsISY_E10value_typeET2_T3_PNSZ_IS14_E10value_typeET4_jRbjT5_S1A_jjP12ihipStream_tbEUljE_EEESV_SW_SX_S14_S18_S1A_T6_T7_T9_mT8_S1C_bDpT10_ENKUlT_T0_E_clISt17integral_constantIbLb1EES1P_EEDaS1K_S1L_EUlS1K_E_NS1_11comp_targetILNS1_3genE8ELNS1_11target_archE1030ELNS1_3gpuE2ELNS1_3repE0EEENS1_30default_config_static_selectorELNS0_4arch9wavefront6targetE1EEEvSY_,comdat
.Lfunc_end64:
	.size	_ZN7rocprim17ROCPRIM_400000_NS6detail17trampoline_kernelINS0_13select_configILj256ELj13ELNS0_17block_load_methodE3ELS4_3ELS4_3ELNS0_20block_scan_algorithmE0ELj4294967295EEENS1_25partition_config_selectorILNS1_17partition_subalgoE3EjNS0_10empty_typeEbEEZZNS1_14partition_implILS8_3ELb0ES6_jNS0_17counting_iteratorIjlEEPS9_SE_NS0_5tupleIJPjSE_EEENSF_IJSE_SE_EEES9_SG_JZNS1_25segmented_radix_sort_implINS0_14default_configELb1EPKhPhPKlPlN2at6native12_GLOBAL__N_18offset_tEEE10hipError_tPvRmT1_PNSt15iterator_traitsISY_E10value_typeET2_T3_PNSZ_IS14_E10value_typeET4_jRbjT5_S1A_jjP12ihipStream_tbEUljE_EEESV_SW_SX_S14_S18_S1A_T6_T7_T9_mT8_S1C_bDpT10_ENKUlT_T0_E_clISt17integral_constantIbLb1EES1P_EEDaS1K_S1L_EUlS1K_E_NS1_11comp_targetILNS1_3genE8ELNS1_11target_archE1030ELNS1_3gpuE2ELNS1_3repE0EEENS1_30default_config_static_selectorELNS0_4arch9wavefront6targetE1EEEvSY_, .Lfunc_end64-_ZN7rocprim17ROCPRIM_400000_NS6detail17trampoline_kernelINS0_13select_configILj256ELj13ELNS0_17block_load_methodE3ELS4_3ELS4_3ELNS0_20block_scan_algorithmE0ELj4294967295EEENS1_25partition_config_selectorILNS1_17partition_subalgoE3EjNS0_10empty_typeEbEEZZNS1_14partition_implILS8_3ELb0ES6_jNS0_17counting_iteratorIjlEEPS9_SE_NS0_5tupleIJPjSE_EEENSF_IJSE_SE_EEES9_SG_JZNS1_25segmented_radix_sort_implINS0_14default_configELb1EPKhPhPKlPlN2at6native12_GLOBAL__N_18offset_tEEE10hipError_tPvRmT1_PNSt15iterator_traitsISY_E10value_typeET2_T3_PNSZ_IS14_E10value_typeET4_jRbjT5_S1A_jjP12ihipStream_tbEUljE_EEESV_SW_SX_S14_S18_S1A_T6_T7_T9_mT8_S1C_bDpT10_ENKUlT_T0_E_clISt17integral_constantIbLb1EES1P_EEDaS1K_S1L_EUlS1K_E_NS1_11comp_targetILNS1_3genE8ELNS1_11target_archE1030ELNS1_3gpuE2ELNS1_3repE0EEENS1_30default_config_static_selectorELNS0_4arch9wavefront6targetE1EEEvSY_
                                        ; -- End function
	.set _ZN7rocprim17ROCPRIM_400000_NS6detail17trampoline_kernelINS0_13select_configILj256ELj13ELNS0_17block_load_methodE3ELS4_3ELS4_3ELNS0_20block_scan_algorithmE0ELj4294967295EEENS1_25partition_config_selectorILNS1_17partition_subalgoE3EjNS0_10empty_typeEbEEZZNS1_14partition_implILS8_3ELb0ES6_jNS0_17counting_iteratorIjlEEPS9_SE_NS0_5tupleIJPjSE_EEENSF_IJSE_SE_EEES9_SG_JZNS1_25segmented_radix_sort_implINS0_14default_configELb1EPKhPhPKlPlN2at6native12_GLOBAL__N_18offset_tEEE10hipError_tPvRmT1_PNSt15iterator_traitsISY_E10value_typeET2_T3_PNSZ_IS14_E10value_typeET4_jRbjT5_S1A_jjP12ihipStream_tbEUljE_EEESV_SW_SX_S14_S18_S1A_T6_T7_T9_mT8_S1C_bDpT10_ENKUlT_T0_E_clISt17integral_constantIbLb1EES1P_EEDaS1K_S1L_EUlS1K_E_NS1_11comp_targetILNS1_3genE8ELNS1_11target_archE1030ELNS1_3gpuE2ELNS1_3repE0EEENS1_30default_config_static_selectorELNS0_4arch9wavefront6targetE1EEEvSY_.num_vgpr, 0
	.set _ZN7rocprim17ROCPRIM_400000_NS6detail17trampoline_kernelINS0_13select_configILj256ELj13ELNS0_17block_load_methodE3ELS4_3ELS4_3ELNS0_20block_scan_algorithmE0ELj4294967295EEENS1_25partition_config_selectorILNS1_17partition_subalgoE3EjNS0_10empty_typeEbEEZZNS1_14partition_implILS8_3ELb0ES6_jNS0_17counting_iteratorIjlEEPS9_SE_NS0_5tupleIJPjSE_EEENSF_IJSE_SE_EEES9_SG_JZNS1_25segmented_radix_sort_implINS0_14default_configELb1EPKhPhPKlPlN2at6native12_GLOBAL__N_18offset_tEEE10hipError_tPvRmT1_PNSt15iterator_traitsISY_E10value_typeET2_T3_PNSZ_IS14_E10value_typeET4_jRbjT5_S1A_jjP12ihipStream_tbEUljE_EEESV_SW_SX_S14_S18_S1A_T6_T7_T9_mT8_S1C_bDpT10_ENKUlT_T0_E_clISt17integral_constantIbLb1EES1P_EEDaS1K_S1L_EUlS1K_E_NS1_11comp_targetILNS1_3genE8ELNS1_11target_archE1030ELNS1_3gpuE2ELNS1_3repE0EEENS1_30default_config_static_selectorELNS0_4arch9wavefront6targetE1EEEvSY_.num_agpr, 0
	.set _ZN7rocprim17ROCPRIM_400000_NS6detail17trampoline_kernelINS0_13select_configILj256ELj13ELNS0_17block_load_methodE3ELS4_3ELS4_3ELNS0_20block_scan_algorithmE0ELj4294967295EEENS1_25partition_config_selectorILNS1_17partition_subalgoE3EjNS0_10empty_typeEbEEZZNS1_14partition_implILS8_3ELb0ES6_jNS0_17counting_iteratorIjlEEPS9_SE_NS0_5tupleIJPjSE_EEENSF_IJSE_SE_EEES9_SG_JZNS1_25segmented_radix_sort_implINS0_14default_configELb1EPKhPhPKlPlN2at6native12_GLOBAL__N_18offset_tEEE10hipError_tPvRmT1_PNSt15iterator_traitsISY_E10value_typeET2_T3_PNSZ_IS14_E10value_typeET4_jRbjT5_S1A_jjP12ihipStream_tbEUljE_EEESV_SW_SX_S14_S18_S1A_T6_T7_T9_mT8_S1C_bDpT10_ENKUlT_T0_E_clISt17integral_constantIbLb1EES1P_EEDaS1K_S1L_EUlS1K_E_NS1_11comp_targetILNS1_3genE8ELNS1_11target_archE1030ELNS1_3gpuE2ELNS1_3repE0EEENS1_30default_config_static_selectorELNS0_4arch9wavefront6targetE1EEEvSY_.numbered_sgpr, 0
	.set _ZN7rocprim17ROCPRIM_400000_NS6detail17trampoline_kernelINS0_13select_configILj256ELj13ELNS0_17block_load_methodE3ELS4_3ELS4_3ELNS0_20block_scan_algorithmE0ELj4294967295EEENS1_25partition_config_selectorILNS1_17partition_subalgoE3EjNS0_10empty_typeEbEEZZNS1_14partition_implILS8_3ELb0ES6_jNS0_17counting_iteratorIjlEEPS9_SE_NS0_5tupleIJPjSE_EEENSF_IJSE_SE_EEES9_SG_JZNS1_25segmented_radix_sort_implINS0_14default_configELb1EPKhPhPKlPlN2at6native12_GLOBAL__N_18offset_tEEE10hipError_tPvRmT1_PNSt15iterator_traitsISY_E10value_typeET2_T3_PNSZ_IS14_E10value_typeET4_jRbjT5_S1A_jjP12ihipStream_tbEUljE_EEESV_SW_SX_S14_S18_S1A_T6_T7_T9_mT8_S1C_bDpT10_ENKUlT_T0_E_clISt17integral_constantIbLb1EES1P_EEDaS1K_S1L_EUlS1K_E_NS1_11comp_targetILNS1_3genE8ELNS1_11target_archE1030ELNS1_3gpuE2ELNS1_3repE0EEENS1_30default_config_static_selectorELNS0_4arch9wavefront6targetE1EEEvSY_.num_named_barrier, 0
	.set _ZN7rocprim17ROCPRIM_400000_NS6detail17trampoline_kernelINS0_13select_configILj256ELj13ELNS0_17block_load_methodE3ELS4_3ELS4_3ELNS0_20block_scan_algorithmE0ELj4294967295EEENS1_25partition_config_selectorILNS1_17partition_subalgoE3EjNS0_10empty_typeEbEEZZNS1_14partition_implILS8_3ELb0ES6_jNS0_17counting_iteratorIjlEEPS9_SE_NS0_5tupleIJPjSE_EEENSF_IJSE_SE_EEES9_SG_JZNS1_25segmented_radix_sort_implINS0_14default_configELb1EPKhPhPKlPlN2at6native12_GLOBAL__N_18offset_tEEE10hipError_tPvRmT1_PNSt15iterator_traitsISY_E10value_typeET2_T3_PNSZ_IS14_E10value_typeET4_jRbjT5_S1A_jjP12ihipStream_tbEUljE_EEESV_SW_SX_S14_S18_S1A_T6_T7_T9_mT8_S1C_bDpT10_ENKUlT_T0_E_clISt17integral_constantIbLb1EES1P_EEDaS1K_S1L_EUlS1K_E_NS1_11comp_targetILNS1_3genE8ELNS1_11target_archE1030ELNS1_3gpuE2ELNS1_3repE0EEENS1_30default_config_static_selectorELNS0_4arch9wavefront6targetE1EEEvSY_.private_seg_size, 0
	.set _ZN7rocprim17ROCPRIM_400000_NS6detail17trampoline_kernelINS0_13select_configILj256ELj13ELNS0_17block_load_methodE3ELS4_3ELS4_3ELNS0_20block_scan_algorithmE0ELj4294967295EEENS1_25partition_config_selectorILNS1_17partition_subalgoE3EjNS0_10empty_typeEbEEZZNS1_14partition_implILS8_3ELb0ES6_jNS0_17counting_iteratorIjlEEPS9_SE_NS0_5tupleIJPjSE_EEENSF_IJSE_SE_EEES9_SG_JZNS1_25segmented_radix_sort_implINS0_14default_configELb1EPKhPhPKlPlN2at6native12_GLOBAL__N_18offset_tEEE10hipError_tPvRmT1_PNSt15iterator_traitsISY_E10value_typeET2_T3_PNSZ_IS14_E10value_typeET4_jRbjT5_S1A_jjP12ihipStream_tbEUljE_EEESV_SW_SX_S14_S18_S1A_T6_T7_T9_mT8_S1C_bDpT10_ENKUlT_T0_E_clISt17integral_constantIbLb1EES1P_EEDaS1K_S1L_EUlS1K_E_NS1_11comp_targetILNS1_3genE8ELNS1_11target_archE1030ELNS1_3gpuE2ELNS1_3repE0EEENS1_30default_config_static_selectorELNS0_4arch9wavefront6targetE1EEEvSY_.uses_vcc, 0
	.set _ZN7rocprim17ROCPRIM_400000_NS6detail17trampoline_kernelINS0_13select_configILj256ELj13ELNS0_17block_load_methodE3ELS4_3ELS4_3ELNS0_20block_scan_algorithmE0ELj4294967295EEENS1_25partition_config_selectorILNS1_17partition_subalgoE3EjNS0_10empty_typeEbEEZZNS1_14partition_implILS8_3ELb0ES6_jNS0_17counting_iteratorIjlEEPS9_SE_NS0_5tupleIJPjSE_EEENSF_IJSE_SE_EEES9_SG_JZNS1_25segmented_radix_sort_implINS0_14default_configELb1EPKhPhPKlPlN2at6native12_GLOBAL__N_18offset_tEEE10hipError_tPvRmT1_PNSt15iterator_traitsISY_E10value_typeET2_T3_PNSZ_IS14_E10value_typeET4_jRbjT5_S1A_jjP12ihipStream_tbEUljE_EEESV_SW_SX_S14_S18_S1A_T6_T7_T9_mT8_S1C_bDpT10_ENKUlT_T0_E_clISt17integral_constantIbLb1EES1P_EEDaS1K_S1L_EUlS1K_E_NS1_11comp_targetILNS1_3genE8ELNS1_11target_archE1030ELNS1_3gpuE2ELNS1_3repE0EEENS1_30default_config_static_selectorELNS0_4arch9wavefront6targetE1EEEvSY_.uses_flat_scratch, 0
	.set _ZN7rocprim17ROCPRIM_400000_NS6detail17trampoline_kernelINS0_13select_configILj256ELj13ELNS0_17block_load_methodE3ELS4_3ELS4_3ELNS0_20block_scan_algorithmE0ELj4294967295EEENS1_25partition_config_selectorILNS1_17partition_subalgoE3EjNS0_10empty_typeEbEEZZNS1_14partition_implILS8_3ELb0ES6_jNS0_17counting_iteratorIjlEEPS9_SE_NS0_5tupleIJPjSE_EEENSF_IJSE_SE_EEES9_SG_JZNS1_25segmented_radix_sort_implINS0_14default_configELb1EPKhPhPKlPlN2at6native12_GLOBAL__N_18offset_tEEE10hipError_tPvRmT1_PNSt15iterator_traitsISY_E10value_typeET2_T3_PNSZ_IS14_E10value_typeET4_jRbjT5_S1A_jjP12ihipStream_tbEUljE_EEESV_SW_SX_S14_S18_S1A_T6_T7_T9_mT8_S1C_bDpT10_ENKUlT_T0_E_clISt17integral_constantIbLb1EES1P_EEDaS1K_S1L_EUlS1K_E_NS1_11comp_targetILNS1_3genE8ELNS1_11target_archE1030ELNS1_3gpuE2ELNS1_3repE0EEENS1_30default_config_static_selectorELNS0_4arch9wavefront6targetE1EEEvSY_.has_dyn_sized_stack, 0
	.set _ZN7rocprim17ROCPRIM_400000_NS6detail17trampoline_kernelINS0_13select_configILj256ELj13ELNS0_17block_load_methodE3ELS4_3ELS4_3ELNS0_20block_scan_algorithmE0ELj4294967295EEENS1_25partition_config_selectorILNS1_17partition_subalgoE3EjNS0_10empty_typeEbEEZZNS1_14partition_implILS8_3ELb0ES6_jNS0_17counting_iteratorIjlEEPS9_SE_NS0_5tupleIJPjSE_EEENSF_IJSE_SE_EEES9_SG_JZNS1_25segmented_radix_sort_implINS0_14default_configELb1EPKhPhPKlPlN2at6native12_GLOBAL__N_18offset_tEEE10hipError_tPvRmT1_PNSt15iterator_traitsISY_E10value_typeET2_T3_PNSZ_IS14_E10value_typeET4_jRbjT5_S1A_jjP12ihipStream_tbEUljE_EEESV_SW_SX_S14_S18_S1A_T6_T7_T9_mT8_S1C_bDpT10_ENKUlT_T0_E_clISt17integral_constantIbLb1EES1P_EEDaS1K_S1L_EUlS1K_E_NS1_11comp_targetILNS1_3genE8ELNS1_11target_archE1030ELNS1_3gpuE2ELNS1_3repE0EEENS1_30default_config_static_selectorELNS0_4arch9wavefront6targetE1EEEvSY_.has_recursion, 0
	.set _ZN7rocprim17ROCPRIM_400000_NS6detail17trampoline_kernelINS0_13select_configILj256ELj13ELNS0_17block_load_methodE3ELS4_3ELS4_3ELNS0_20block_scan_algorithmE0ELj4294967295EEENS1_25partition_config_selectorILNS1_17partition_subalgoE3EjNS0_10empty_typeEbEEZZNS1_14partition_implILS8_3ELb0ES6_jNS0_17counting_iteratorIjlEEPS9_SE_NS0_5tupleIJPjSE_EEENSF_IJSE_SE_EEES9_SG_JZNS1_25segmented_radix_sort_implINS0_14default_configELb1EPKhPhPKlPlN2at6native12_GLOBAL__N_18offset_tEEE10hipError_tPvRmT1_PNSt15iterator_traitsISY_E10value_typeET2_T3_PNSZ_IS14_E10value_typeET4_jRbjT5_S1A_jjP12ihipStream_tbEUljE_EEESV_SW_SX_S14_S18_S1A_T6_T7_T9_mT8_S1C_bDpT10_ENKUlT_T0_E_clISt17integral_constantIbLb1EES1P_EEDaS1K_S1L_EUlS1K_E_NS1_11comp_targetILNS1_3genE8ELNS1_11target_archE1030ELNS1_3gpuE2ELNS1_3repE0EEENS1_30default_config_static_selectorELNS0_4arch9wavefront6targetE1EEEvSY_.has_indirect_call, 0
	.section	.AMDGPU.csdata,"",@progbits
; Kernel info:
; codeLenInByte = 0
; TotalNumSgprs: 4
; NumVgprs: 0
; ScratchSize: 0
; MemoryBound: 0
; FloatMode: 240
; IeeeMode: 1
; LDSByteSize: 0 bytes/workgroup (compile time only)
; SGPRBlocks: 0
; VGPRBlocks: 0
; NumSGPRsForWavesPerEU: 4
; NumVGPRsForWavesPerEU: 1
; Occupancy: 10
; WaveLimiterHint : 0
; COMPUTE_PGM_RSRC2:SCRATCH_EN: 0
; COMPUTE_PGM_RSRC2:USER_SGPR: 6
; COMPUTE_PGM_RSRC2:TRAP_HANDLER: 0
; COMPUTE_PGM_RSRC2:TGID_X_EN: 1
; COMPUTE_PGM_RSRC2:TGID_Y_EN: 0
; COMPUTE_PGM_RSRC2:TGID_Z_EN: 0
; COMPUTE_PGM_RSRC2:TIDIG_COMP_CNT: 0
	.section	.text._ZN7rocprim17ROCPRIM_400000_NS6detail31init_lookback_scan_state_kernelINS1_19lookback_scan_stateIjLb1ELb1EEENS1_16block_id_wrapperIjLb0EEEEEvT_jT0_jPNS7_10value_typeE,"axG",@progbits,_ZN7rocprim17ROCPRIM_400000_NS6detail31init_lookback_scan_state_kernelINS1_19lookback_scan_stateIjLb1ELb1EEENS1_16block_id_wrapperIjLb0EEEEEvT_jT0_jPNS7_10value_typeE,comdat
	.protected	_ZN7rocprim17ROCPRIM_400000_NS6detail31init_lookback_scan_state_kernelINS1_19lookback_scan_stateIjLb1ELb1EEENS1_16block_id_wrapperIjLb0EEEEEvT_jT0_jPNS7_10value_typeE ; -- Begin function _ZN7rocprim17ROCPRIM_400000_NS6detail31init_lookback_scan_state_kernelINS1_19lookback_scan_stateIjLb1ELb1EEENS1_16block_id_wrapperIjLb0EEEEEvT_jT0_jPNS7_10value_typeE
	.globl	_ZN7rocprim17ROCPRIM_400000_NS6detail31init_lookback_scan_state_kernelINS1_19lookback_scan_stateIjLb1ELb1EEENS1_16block_id_wrapperIjLb0EEEEEvT_jT0_jPNS7_10value_typeE
	.p2align	8
	.type	_ZN7rocprim17ROCPRIM_400000_NS6detail31init_lookback_scan_state_kernelINS1_19lookback_scan_stateIjLb1ELb1EEENS1_16block_id_wrapperIjLb0EEEEEvT_jT0_jPNS7_10value_typeE,@function
_ZN7rocprim17ROCPRIM_400000_NS6detail31init_lookback_scan_state_kernelINS1_19lookback_scan_stateIjLb1ELb1EEENS1_16block_id_wrapperIjLb0EEEEEvT_jT0_jPNS7_10value_typeE: ; @_ZN7rocprim17ROCPRIM_400000_NS6detail31init_lookback_scan_state_kernelINS1_19lookback_scan_stateIjLb1ELb1EEENS1_16block_id_wrapperIjLb0EEEEEvT_jT0_jPNS7_10value_typeE
; %bb.0:
	s_load_dword s7, s[4:5], 0x2c
	s_load_dwordx2 s[2:3], s[4:5], 0x18
	s_load_dwordx2 s[0:1], s[4:5], 0x0
	s_load_dword s8, s[4:5], 0x8
	s_waitcnt lgkmcnt(0)
	s_and_b32 s7, s7, 0xffff
	s_mul_i32 s6, s6, s7
	s_cmp_eq_u64 s[2:3], 0
	v_add_u32_e32 v0, s6, v0
	s_cbranch_scc1 .LBB65_9
; %bb.1:
	s_load_dword s6, s[4:5], 0x10
	s_mov_b32 s7, 0
	s_waitcnt lgkmcnt(0)
	s_cmp_lt_u32 s6, s8
	s_cselect_b32 s4, s6, 0
	v_cmp_eq_u32_e32 vcc, s4, v0
	s_and_saveexec_b64 s[4:5], vcc
	s_cbranch_execz .LBB65_8
; %bb.2:
	s_add_i32 s6, s6, 64
	s_lshl_b64 s[6:7], s[6:7], 3
	s_add_u32 s6, s0, s6
	s_addc_u32 s7, s1, s7
	v_mov_b32_e32 v1, 0
	global_load_dwordx2 v[3:4], v1, s[6:7] glc
	s_waitcnt vmcnt(0)
	v_and_b32_e32 v2, 0xff, v4
	v_cmp_ne_u64_e32 vcc, 0, v[1:2]
	s_cbranch_vccnz .LBB65_7
; %bb.3:
	s_mov_b32 s9, 1
.LBB65_4:                               ; =>This Loop Header: Depth=1
                                        ;     Child Loop BB65_5 Depth 2
	s_mov_b32 s10, s9
.LBB65_5:                               ;   Parent Loop BB65_4 Depth=1
                                        ; =>  This Inner Loop Header: Depth=2
	s_add_i32 s10, s10, -1
	s_cmp_eq_u32 s10, 0
	s_sleep 1
	s_cbranch_scc0 .LBB65_5
; %bb.6:                                ;   in Loop: Header=BB65_4 Depth=1
	global_load_dwordx2 v[3:4], v1, s[6:7] glc
	s_cmp_lt_u32 s9, 32
	s_cselect_b64 s[10:11], -1, 0
	s_cmp_lg_u64 s[10:11], 0
	s_addc_u32 s9, s9, 0
	s_waitcnt vmcnt(0)
	v_and_b32_e32 v2, 0xff, v4
	v_cmp_ne_u64_e32 vcc, 0, v[1:2]
	s_cbranch_vccz .LBB65_4
.LBB65_7:
	v_mov_b32_e32 v1, 0
	global_store_dword v1, v3, s[2:3]
.LBB65_8:
	s_or_b64 exec, exec, s[4:5]
.LBB65_9:
	v_cmp_gt_u32_e32 vcc, s8, v0
	s_and_saveexec_b64 s[2:3], vcc
	s_cbranch_execnz .LBB65_12
; %bb.10:
	s_or_b64 exec, exec, s[2:3]
	v_cmp_gt_u32_e32 vcc, 64, v0
	s_and_saveexec_b64 s[2:3], vcc
	s_cbranch_execnz .LBB65_13
.LBB65_11:
	s_endpgm
.LBB65_12:
	v_add_u32_e32 v1, 64, v0
	v_mov_b32_e32 v2, 0
	v_lshlrev_b64 v[3:4], 3, v[1:2]
	v_mov_b32_e32 v1, s1
	v_add_co_u32_e32 v3, vcc, s0, v3
	v_addc_co_u32_e32 v4, vcc, v1, v4, vcc
	v_mov_b32_e32 v1, v2
	global_store_dwordx2 v[3:4], v[1:2], off
	s_or_b64 exec, exec, s[2:3]
	v_cmp_gt_u32_e32 vcc, 64, v0
	s_and_saveexec_b64 s[2:3], vcc
	s_cbranch_execz .LBB65_11
.LBB65_13:
	v_mov_b32_e32 v1, 0
	v_lshlrev_b64 v[2:3], 3, v[0:1]
	v_mov_b32_e32 v0, s1
	v_add_co_u32_e32 v2, vcc, s0, v2
	v_addc_co_u32_e32 v3, vcc, v0, v3, vcc
	v_mov_b32_e32 v5, 0xff
	v_mov_b32_e32 v4, v1
	global_store_dwordx2 v[2:3], v[4:5], off
	s_endpgm
	.section	.rodata,"a",@progbits
	.p2align	6, 0x0
	.amdhsa_kernel _ZN7rocprim17ROCPRIM_400000_NS6detail31init_lookback_scan_state_kernelINS1_19lookback_scan_stateIjLb1ELb1EEENS1_16block_id_wrapperIjLb0EEEEEvT_jT0_jPNS7_10value_typeE
		.amdhsa_group_segment_fixed_size 0
		.amdhsa_private_segment_fixed_size 0
		.amdhsa_kernarg_size 288
		.amdhsa_user_sgpr_count 6
		.amdhsa_user_sgpr_private_segment_buffer 1
		.amdhsa_user_sgpr_dispatch_ptr 0
		.amdhsa_user_sgpr_queue_ptr 0
		.amdhsa_user_sgpr_kernarg_segment_ptr 1
		.amdhsa_user_sgpr_dispatch_id 0
		.amdhsa_user_sgpr_flat_scratch_init 0
		.amdhsa_user_sgpr_private_segment_size 0
		.amdhsa_uses_dynamic_stack 0
		.amdhsa_system_sgpr_private_segment_wavefront_offset 0
		.amdhsa_system_sgpr_workgroup_id_x 1
		.amdhsa_system_sgpr_workgroup_id_y 0
		.amdhsa_system_sgpr_workgroup_id_z 0
		.amdhsa_system_sgpr_workgroup_info 0
		.amdhsa_system_vgpr_workitem_id 0
		.amdhsa_next_free_vgpr 6
		.amdhsa_next_free_sgpr 12
		.amdhsa_reserve_vcc 1
		.amdhsa_reserve_flat_scratch 0
		.amdhsa_float_round_mode_32 0
		.amdhsa_float_round_mode_16_64 0
		.amdhsa_float_denorm_mode_32 3
		.amdhsa_float_denorm_mode_16_64 3
		.amdhsa_dx10_clamp 1
		.amdhsa_ieee_mode 1
		.amdhsa_fp16_overflow 0
		.amdhsa_exception_fp_ieee_invalid_op 0
		.amdhsa_exception_fp_denorm_src 0
		.amdhsa_exception_fp_ieee_div_zero 0
		.amdhsa_exception_fp_ieee_overflow 0
		.amdhsa_exception_fp_ieee_underflow 0
		.amdhsa_exception_fp_ieee_inexact 0
		.amdhsa_exception_int_div_zero 0
	.end_amdhsa_kernel
	.section	.text._ZN7rocprim17ROCPRIM_400000_NS6detail31init_lookback_scan_state_kernelINS1_19lookback_scan_stateIjLb1ELb1EEENS1_16block_id_wrapperIjLb0EEEEEvT_jT0_jPNS7_10value_typeE,"axG",@progbits,_ZN7rocprim17ROCPRIM_400000_NS6detail31init_lookback_scan_state_kernelINS1_19lookback_scan_stateIjLb1ELb1EEENS1_16block_id_wrapperIjLb0EEEEEvT_jT0_jPNS7_10value_typeE,comdat
.Lfunc_end65:
	.size	_ZN7rocprim17ROCPRIM_400000_NS6detail31init_lookback_scan_state_kernelINS1_19lookback_scan_stateIjLb1ELb1EEENS1_16block_id_wrapperIjLb0EEEEEvT_jT0_jPNS7_10value_typeE, .Lfunc_end65-_ZN7rocprim17ROCPRIM_400000_NS6detail31init_lookback_scan_state_kernelINS1_19lookback_scan_stateIjLb1ELb1EEENS1_16block_id_wrapperIjLb0EEEEEvT_jT0_jPNS7_10value_typeE
                                        ; -- End function
	.set _ZN7rocprim17ROCPRIM_400000_NS6detail31init_lookback_scan_state_kernelINS1_19lookback_scan_stateIjLb1ELb1EEENS1_16block_id_wrapperIjLb0EEEEEvT_jT0_jPNS7_10value_typeE.num_vgpr, 6
	.set _ZN7rocprim17ROCPRIM_400000_NS6detail31init_lookback_scan_state_kernelINS1_19lookback_scan_stateIjLb1ELb1EEENS1_16block_id_wrapperIjLb0EEEEEvT_jT0_jPNS7_10value_typeE.num_agpr, 0
	.set _ZN7rocprim17ROCPRIM_400000_NS6detail31init_lookback_scan_state_kernelINS1_19lookback_scan_stateIjLb1ELb1EEENS1_16block_id_wrapperIjLb0EEEEEvT_jT0_jPNS7_10value_typeE.numbered_sgpr, 12
	.set _ZN7rocprim17ROCPRIM_400000_NS6detail31init_lookback_scan_state_kernelINS1_19lookback_scan_stateIjLb1ELb1EEENS1_16block_id_wrapperIjLb0EEEEEvT_jT0_jPNS7_10value_typeE.num_named_barrier, 0
	.set _ZN7rocprim17ROCPRIM_400000_NS6detail31init_lookback_scan_state_kernelINS1_19lookback_scan_stateIjLb1ELb1EEENS1_16block_id_wrapperIjLb0EEEEEvT_jT0_jPNS7_10value_typeE.private_seg_size, 0
	.set _ZN7rocprim17ROCPRIM_400000_NS6detail31init_lookback_scan_state_kernelINS1_19lookback_scan_stateIjLb1ELb1EEENS1_16block_id_wrapperIjLb0EEEEEvT_jT0_jPNS7_10value_typeE.uses_vcc, 1
	.set _ZN7rocprim17ROCPRIM_400000_NS6detail31init_lookback_scan_state_kernelINS1_19lookback_scan_stateIjLb1ELb1EEENS1_16block_id_wrapperIjLb0EEEEEvT_jT0_jPNS7_10value_typeE.uses_flat_scratch, 0
	.set _ZN7rocprim17ROCPRIM_400000_NS6detail31init_lookback_scan_state_kernelINS1_19lookback_scan_stateIjLb1ELb1EEENS1_16block_id_wrapperIjLb0EEEEEvT_jT0_jPNS7_10value_typeE.has_dyn_sized_stack, 0
	.set _ZN7rocprim17ROCPRIM_400000_NS6detail31init_lookback_scan_state_kernelINS1_19lookback_scan_stateIjLb1ELb1EEENS1_16block_id_wrapperIjLb0EEEEEvT_jT0_jPNS7_10value_typeE.has_recursion, 0
	.set _ZN7rocprim17ROCPRIM_400000_NS6detail31init_lookback_scan_state_kernelINS1_19lookback_scan_stateIjLb1ELb1EEENS1_16block_id_wrapperIjLb0EEEEEvT_jT0_jPNS7_10value_typeE.has_indirect_call, 0
	.section	.AMDGPU.csdata,"",@progbits
; Kernel info:
; codeLenInByte = 364
; TotalNumSgprs: 16
; NumVgprs: 6
; ScratchSize: 0
; MemoryBound: 0
; FloatMode: 240
; IeeeMode: 1
; LDSByteSize: 0 bytes/workgroup (compile time only)
; SGPRBlocks: 1
; VGPRBlocks: 1
; NumSGPRsForWavesPerEU: 16
; NumVGPRsForWavesPerEU: 6
; Occupancy: 10
; WaveLimiterHint : 0
; COMPUTE_PGM_RSRC2:SCRATCH_EN: 0
; COMPUTE_PGM_RSRC2:USER_SGPR: 6
; COMPUTE_PGM_RSRC2:TRAP_HANDLER: 0
; COMPUTE_PGM_RSRC2:TGID_X_EN: 1
; COMPUTE_PGM_RSRC2:TGID_Y_EN: 0
; COMPUTE_PGM_RSRC2:TGID_Z_EN: 0
; COMPUTE_PGM_RSRC2:TIDIG_COMP_CNT: 0
	.section	.text._ZN7rocprim17ROCPRIM_400000_NS6detail17trampoline_kernelINS0_13select_configILj256ELj13ELNS0_17block_load_methodE3ELS4_3ELS4_3ELNS0_20block_scan_algorithmE0ELj4294967295EEENS1_25partition_config_selectorILNS1_17partition_subalgoE3EjNS0_10empty_typeEbEEZZNS1_14partition_implILS8_3ELb0ES6_jNS0_17counting_iteratorIjlEEPS9_SE_NS0_5tupleIJPjSE_EEENSF_IJSE_SE_EEES9_SG_JZNS1_25segmented_radix_sort_implINS0_14default_configELb1EPKhPhPKlPlN2at6native12_GLOBAL__N_18offset_tEEE10hipError_tPvRmT1_PNSt15iterator_traitsISY_E10value_typeET2_T3_PNSZ_IS14_E10value_typeET4_jRbjT5_S1A_jjP12ihipStream_tbEUljE_EEESV_SW_SX_S14_S18_S1A_T6_T7_T9_mT8_S1C_bDpT10_ENKUlT_T0_E_clISt17integral_constantIbLb1EES1O_IbLb0EEEEDaS1K_S1L_EUlS1K_E_NS1_11comp_targetILNS1_3genE0ELNS1_11target_archE4294967295ELNS1_3gpuE0ELNS1_3repE0EEENS1_30default_config_static_selectorELNS0_4arch9wavefront6targetE1EEEvSY_,"axG",@progbits,_ZN7rocprim17ROCPRIM_400000_NS6detail17trampoline_kernelINS0_13select_configILj256ELj13ELNS0_17block_load_methodE3ELS4_3ELS4_3ELNS0_20block_scan_algorithmE0ELj4294967295EEENS1_25partition_config_selectorILNS1_17partition_subalgoE3EjNS0_10empty_typeEbEEZZNS1_14partition_implILS8_3ELb0ES6_jNS0_17counting_iteratorIjlEEPS9_SE_NS0_5tupleIJPjSE_EEENSF_IJSE_SE_EEES9_SG_JZNS1_25segmented_radix_sort_implINS0_14default_configELb1EPKhPhPKlPlN2at6native12_GLOBAL__N_18offset_tEEE10hipError_tPvRmT1_PNSt15iterator_traitsISY_E10value_typeET2_T3_PNSZ_IS14_E10value_typeET4_jRbjT5_S1A_jjP12ihipStream_tbEUljE_EEESV_SW_SX_S14_S18_S1A_T6_T7_T9_mT8_S1C_bDpT10_ENKUlT_T0_E_clISt17integral_constantIbLb1EES1O_IbLb0EEEEDaS1K_S1L_EUlS1K_E_NS1_11comp_targetILNS1_3genE0ELNS1_11target_archE4294967295ELNS1_3gpuE0ELNS1_3repE0EEENS1_30default_config_static_selectorELNS0_4arch9wavefront6targetE1EEEvSY_,comdat
	.globl	_ZN7rocprim17ROCPRIM_400000_NS6detail17trampoline_kernelINS0_13select_configILj256ELj13ELNS0_17block_load_methodE3ELS4_3ELS4_3ELNS0_20block_scan_algorithmE0ELj4294967295EEENS1_25partition_config_selectorILNS1_17partition_subalgoE3EjNS0_10empty_typeEbEEZZNS1_14partition_implILS8_3ELb0ES6_jNS0_17counting_iteratorIjlEEPS9_SE_NS0_5tupleIJPjSE_EEENSF_IJSE_SE_EEES9_SG_JZNS1_25segmented_radix_sort_implINS0_14default_configELb1EPKhPhPKlPlN2at6native12_GLOBAL__N_18offset_tEEE10hipError_tPvRmT1_PNSt15iterator_traitsISY_E10value_typeET2_T3_PNSZ_IS14_E10value_typeET4_jRbjT5_S1A_jjP12ihipStream_tbEUljE_EEESV_SW_SX_S14_S18_S1A_T6_T7_T9_mT8_S1C_bDpT10_ENKUlT_T0_E_clISt17integral_constantIbLb1EES1O_IbLb0EEEEDaS1K_S1L_EUlS1K_E_NS1_11comp_targetILNS1_3genE0ELNS1_11target_archE4294967295ELNS1_3gpuE0ELNS1_3repE0EEENS1_30default_config_static_selectorELNS0_4arch9wavefront6targetE1EEEvSY_ ; -- Begin function _ZN7rocprim17ROCPRIM_400000_NS6detail17trampoline_kernelINS0_13select_configILj256ELj13ELNS0_17block_load_methodE3ELS4_3ELS4_3ELNS0_20block_scan_algorithmE0ELj4294967295EEENS1_25partition_config_selectorILNS1_17partition_subalgoE3EjNS0_10empty_typeEbEEZZNS1_14partition_implILS8_3ELb0ES6_jNS0_17counting_iteratorIjlEEPS9_SE_NS0_5tupleIJPjSE_EEENSF_IJSE_SE_EEES9_SG_JZNS1_25segmented_radix_sort_implINS0_14default_configELb1EPKhPhPKlPlN2at6native12_GLOBAL__N_18offset_tEEE10hipError_tPvRmT1_PNSt15iterator_traitsISY_E10value_typeET2_T3_PNSZ_IS14_E10value_typeET4_jRbjT5_S1A_jjP12ihipStream_tbEUljE_EEESV_SW_SX_S14_S18_S1A_T6_T7_T9_mT8_S1C_bDpT10_ENKUlT_T0_E_clISt17integral_constantIbLb1EES1O_IbLb0EEEEDaS1K_S1L_EUlS1K_E_NS1_11comp_targetILNS1_3genE0ELNS1_11target_archE4294967295ELNS1_3gpuE0ELNS1_3repE0EEENS1_30default_config_static_selectorELNS0_4arch9wavefront6targetE1EEEvSY_
	.p2align	8
	.type	_ZN7rocprim17ROCPRIM_400000_NS6detail17trampoline_kernelINS0_13select_configILj256ELj13ELNS0_17block_load_methodE3ELS4_3ELS4_3ELNS0_20block_scan_algorithmE0ELj4294967295EEENS1_25partition_config_selectorILNS1_17partition_subalgoE3EjNS0_10empty_typeEbEEZZNS1_14partition_implILS8_3ELb0ES6_jNS0_17counting_iteratorIjlEEPS9_SE_NS0_5tupleIJPjSE_EEENSF_IJSE_SE_EEES9_SG_JZNS1_25segmented_radix_sort_implINS0_14default_configELb1EPKhPhPKlPlN2at6native12_GLOBAL__N_18offset_tEEE10hipError_tPvRmT1_PNSt15iterator_traitsISY_E10value_typeET2_T3_PNSZ_IS14_E10value_typeET4_jRbjT5_S1A_jjP12ihipStream_tbEUljE_EEESV_SW_SX_S14_S18_S1A_T6_T7_T9_mT8_S1C_bDpT10_ENKUlT_T0_E_clISt17integral_constantIbLb1EES1O_IbLb0EEEEDaS1K_S1L_EUlS1K_E_NS1_11comp_targetILNS1_3genE0ELNS1_11target_archE4294967295ELNS1_3gpuE0ELNS1_3repE0EEENS1_30default_config_static_selectorELNS0_4arch9wavefront6targetE1EEEvSY_,@function
_ZN7rocprim17ROCPRIM_400000_NS6detail17trampoline_kernelINS0_13select_configILj256ELj13ELNS0_17block_load_methodE3ELS4_3ELS4_3ELNS0_20block_scan_algorithmE0ELj4294967295EEENS1_25partition_config_selectorILNS1_17partition_subalgoE3EjNS0_10empty_typeEbEEZZNS1_14partition_implILS8_3ELb0ES6_jNS0_17counting_iteratorIjlEEPS9_SE_NS0_5tupleIJPjSE_EEENSF_IJSE_SE_EEES9_SG_JZNS1_25segmented_radix_sort_implINS0_14default_configELb1EPKhPhPKlPlN2at6native12_GLOBAL__N_18offset_tEEE10hipError_tPvRmT1_PNSt15iterator_traitsISY_E10value_typeET2_T3_PNSZ_IS14_E10value_typeET4_jRbjT5_S1A_jjP12ihipStream_tbEUljE_EEESV_SW_SX_S14_S18_S1A_T6_T7_T9_mT8_S1C_bDpT10_ENKUlT_T0_E_clISt17integral_constantIbLb1EES1O_IbLb0EEEEDaS1K_S1L_EUlS1K_E_NS1_11comp_targetILNS1_3genE0ELNS1_11target_archE4294967295ELNS1_3gpuE0ELNS1_3repE0EEENS1_30default_config_static_selectorELNS0_4arch9wavefront6targetE1EEEvSY_: ; @_ZN7rocprim17ROCPRIM_400000_NS6detail17trampoline_kernelINS0_13select_configILj256ELj13ELNS0_17block_load_methodE3ELS4_3ELS4_3ELNS0_20block_scan_algorithmE0ELj4294967295EEENS1_25partition_config_selectorILNS1_17partition_subalgoE3EjNS0_10empty_typeEbEEZZNS1_14partition_implILS8_3ELb0ES6_jNS0_17counting_iteratorIjlEEPS9_SE_NS0_5tupleIJPjSE_EEENSF_IJSE_SE_EEES9_SG_JZNS1_25segmented_radix_sort_implINS0_14default_configELb1EPKhPhPKlPlN2at6native12_GLOBAL__N_18offset_tEEE10hipError_tPvRmT1_PNSt15iterator_traitsISY_E10value_typeET2_T3_PNSZ_IS14_E10value_typeET4_jRbjT5_S1A_jjP12ihipStream_tbEUljE_EEESV_SW_SX_S14_S18_S1A_T6_T7_T9_mT8_S1C_bDpT10_ENKUlT_T0_E_clISt17integral_constantIbLb1EES1O_IbLb0EEEEDaS1K_S1L_EUlS1K_E_NS1_11comp_targetILNS1_3genE0ELNS1_11target_archE4294967295ELNS1_3gpuE0ELNS1_3repE0EEENS1_30default_config_static_selectorELNS0_4arch9wavefront6targetE1EEEvSY_
; %bb.0:
	.section	.rodata,"a",@progbits
	.p2align	6, 0x0
	.amdhsa_kernel _ZN7rocprim17ROCPRIM_400000_NS6detail17trampoline_kernelINS0_13select_configILj256ELj13ELNS0_17block_load_methodE3ELS4_3ELS4_3ELNS0_20block_scan_algorithmE0ELj4294967295EEENS1_25partition_config_selectorILNS1_17partition_subalgoE3EjNS0_10empty_typeEbEEZZNS1_14partition_implILS8_3ELb0ES6_jNS0_17counting_iteratorIjlEEPS9_SE_NS0_5tupleIJPjSE_EEENSF_IJSE_SE_EEES9_SG_JZNS1_25segmented_radix_sort_implINS0_14default_configELb1EPKhPhPKlPlN2at6native12_GLOBAL__N_18offset_tEEE10hipError_tPvRmT1_PNSt15iterator_traitsISY_E10value_typeET2_T3_PNSZ_IS14_E10value_typeET4_jRbjT5_S1A_jjP12ihipStream_tbEUljE_EEESV_SW_SX_S14_S18_S1A_T6_T7_T9_mT8_S1C_bDpT10_ENKUlT_T0_E_clISt17integral_constantIbLb1EES1O_IbLb0EEEEDaS1K_S1L_EUlS1K_E_NS1_11comp_targetILNS1_3genE0ELNS1_11target_archE4294967295ELNS1_3gpuE0ELNS1_3repE0EEENS1_30default_config_static_selectorELNS0_4arch9wavefront6targetE1EEEvSY_
		.amdhsa_group_segment_fixed_size 0
		.amdhsa_private_segment_fixed_size 0
		.amdhsa_kernarg_size 144
		.amdhsa_user_sgpr_count 6
		.amdhsa_user_sgpr_private_segment_buffer 1
		.amdhsa_user_sgpr_dispatch_ptr 0
		.amdhsa_user_sgpr_queue_ptr 0
		.amdhsa_user_sgpr_kernarg_segment_ptr 1
		.amdhsa_user_sgpr_dispatch_id 0
		.amdhsa_user_sgpr_flat_scratch_init 0
		.amdhsa_user_sgpr_private_segment_size 0
		.amdhsa_uses_dynamic_stack 0
		.amdhsa_system_sgpr_private_segment_wavefront_offset 0
		.amdhsa_system_sgpr_workgroup_id_x 1
		.amdhsa_system_sgpr_workgroup_id_y 0
		.amdhsa_system_sgpr_workgroup_id_z 0
		.amdhsa_system_sgpr_workgroup_info 0
		.amdhsa_system_vgpr_workitem_id 0
		.amdhsa_next_free_vgpr 1
		.amdhsa_next_free_sgpr 0
		.amdhsa_reserve_vcc 0
		.amdhsa_reserve_flat_scratch 0
		.amdhsa_float_round_mode_32 0
		.amdhsa_float_round_mode_16_64 0
		.amdhsa_float_denorm_mode_32 3
		.amdhsa_float_denorm_mode_16_64 3
		.amdhsa_dx10_clamp 1
		.amdhsa_ieee_mode 1
		.amdhsa_fp16_overflow 0
		.amdhsa_exception_fp_ieee_invalid_op 0
		.amdhsa_exception_fp_denorm_src 0
		.amdhsa_exception_fp_ieee_div_zero 0
		.amdhsa_exception_fp_ieee_overflow 0
		.amdhsa_exception_fp_ieee_underflow 0
		.amdhsa_exception_fp_ieee_inexact 0
		.amdhsa_exception_int_div_zero 0
	.end_amdhsa_kernel
	.section	.text._ZN7rocprim17ROCPRIM_400000_NS6detail17trampoline_kernelINS0_13select_configILj256ELj13ELNS0_17block_load_methodE3ELS4_3ELS4_3ELNS0_20block_scan_algorithmE0ELj4294967295EEENS1_25partition_config_selectorILNS1_17partition_subalgoE3EjNS0_10empty_typeEbEEZZNS1_14partition_implILS8_3ELb0ES6_jNS0_17counting_iteratorIjlEEPS9_SE_NS0_5tupleIJPjSE_EEENSF_IJSE_SE_EEES9_SG_JZNS1_25segmented_radix_sort_implINS0_14default_configELb1EPKhPhPKlPlN2at6native12_GLOBAL__N_18offset_tEEE10hipError_tPvRmT1_PNSt15iterator_traitsISY_E10value_typeET2_T3_PNSZ_IS14_E10value_typeET4_jRbjT5_S1A_jjP12ihipStream_tbEUljE_EEESV_SW_SX_S14_S18_S1A_T6_T7_T9_mT8_S1C_bDpT10_ENKUlT_T0_E_clISt17integral_constantIbLb1EES1O_IbLb0EEEEDaS1K_S1L_EUlS1K_E_NS1_11comp_targetILNS1_3genE0ELNS1_11target_archE4294967295ELNS1_3gpuE0ELNS1_3repE0EEENS1_30default_config_static_selectorELNS0_4arch9wavefront6targetE1EEEvSY_,"axG",@progbits,_ZN7rocprim17ROCPRIM_400000_NS6detail17trampoline_kernelINS0_13select_configILj256ELj13ELNS0_17block_load_methodE3ELS4_3ELS4_3ELNS0_20block_scan_algorithmE0ELj4294967295EEENS1_25partition_config_selectorILNS1_17partition_subalgoE3EjNS0_10empty_typeEbEEZZNS1_14partition_implILS8_3ELb0ES6_jNS0_17counting_iteratorIjlEEPS9_SE_NS0_5tupleIJPjSE_EEENSF_IJSE_SE_EEES9_SG_JZNS1_25segmented_radix_sort_implINS0_14default_configELb1EPKhPhPKlPlN2at6native12_GLOBAL__N_18offset_tEEE10hipError_tPvRmT1_PNSt15iterator_traitsISY_E10value_typeET2_T3_PNSZ_IS14_E10value_typeET4_jRbjT5_S1A_jjP12ihipStream_tbEUljE_EEESV_SW_SX_S14_S18_S1A_T6_T7_T9_mT8_S1C_bDpT10_ENKUlT_T0_E_clISt17integral_constantIbLb1EES1O_IbLb0EEEEDaS1K_S1L_EUlS1K_E_NS1_11comp_targetILNS1_3genE0ELNS1_11target_archE4294967295ELNS1_3gpuE0ELNS1_3repE0EEENS1_30default_config_static_selectorELNS0_4arch9wavefront6targetE1EEEvSY_,comdat
.Lfunc_end66:
	.size	_ZN7rocprim17ROCPRIM_400000_NS6detail17trampoline_kernelINS0_13select_configILj256ELj13ELNS0_17block_load_methodE3ELS4_3ELS4_3ELNS0_20block_scan_algorithmE0ELj4294967295EEENS1_25partition_config_selectorILNS1_17partition_subalgoE3EjNS0_10empty_typeEbEEZZNS1_14partition_implILS8_3ELb0ES6_jNS0_17counting_iteratorIjlEEPS9_SE_NS0_5tupleIJPjSE_EEENSF_IJSE_SE_EEES9_SG_JZNS1_25segmented_radix_sort_implINS0_14default_configELb1EPKhPhPKlPlN2at6native12_GLOBAL__N_18offset_tEEE10hipError_tPvRmT1_PNSt15iterator_traitsISY_E10value_typeET2_T3_PNSZ_IS14_E10value_typeET4_jRbjT5_S1A_jjP12ihipStream_tbEUljE_EEESV_SW_SX_S14_S18_S1A_T6_T7_T9_mT8_S1C_bDpT10_ENKUlT_T0_E_clISt17integral_constantIbLb1EES1O_IbLb0EEEEDaS1K_S1L_EUlS1K_E_NS1_11comp_targetILNS1_3genE0ELNS1_11target_archE4294967295ELNS1_3gpuE0ELNS1_3repE0EEENS1_30default_config_static_selectorELNS0_4arch9wavefront6targetE1EEEvSY_, .Lfunc_end66-_ZN7rocprim17ROCPRIM_400000_NS6detail17trampoline_kernelINS0_13select_configILj256ELj13ELNS0_17block_load_methodE3ELS4_3ELS4_3ELNS0_20block_scan_algorithmE0ELj4294967295EEENS1_25partition_config_selectorILNS1_17partition_subalgoE3EjNS0_10empty_typeEbEEZZNS1_14partition_implILS8_3ELb0ES6_jNS0_17counting_iteratorIjlEEPS9_SE_NS0_5tupleIJPjSE_EEENSF_IJSE_SE_EEES9_SG_JZNS1_25segmented_radix_sort_implINS0_14default_configELb1EPKhPhPKlPlN2at6native12_GLOBAL__N_18offset_tEEE10hipError_tPvRmT1_PNSt15iterator_traitsISY_E10value_typeET2_T3_PNSZ_IS14_E10value_typeET4_jRbjT5_S1A_jjP12ihipStream_tbEUljE_EEESV_SW_SX_S14_S18_S1A_T6_T7_T9_mT8_S1C_bDpT10_ENKUlT_T0_E_clISt17integral_constantIbLb1EES1O_IbLb0EEEEDaS1K_S1L_EUlS1K_E_NS1_11comp_targetILNS1_3genE0ELNS1_11target_archE4294967295ELNS1_3gpuE0ELNS1_3repE0EEENS1_30default_config_static_selectorELNS0_4arch9wavefront6targetE1EEEvSY_
                                        ; -- End function
	.set _ZN7rocprim17ROCPRIM_400000_NS6detail17trampoline_kernelINS0_13select_configILj256ELj13ELNS0_17block_load_methodE3ELS4_3ELS4_3ELNS0_20block_scan_algorithmE0ELj4294967295EEENS1_25partition_config_selectorILNS1_17partition_subalgoE3EjNS0_10empty_typeEbEEZZNS1_14partition_implILS8_3ELb0ES6_jNS0_17counting_iteratorIjlEEPS9_SE_NS0_5tupleIJPjSE_EEENSF_IJSE_SE_EEES9_SG_JZNS1_25segmented_radix_sort_implINS0_14default_configELb1EPKhPhPKlPlN2at6native12_GLOBAL__N_18offset_tEEE10hipError_tPvRmT1_PNSt15iterator_traitsISY_E10value_typeET2_T3_PNSZ_IS14_E10value_typeET4_jRbjT5_S1A_jjP12ihipStream_tbEUljE_EEESV_SW_SX_S14_S18_S1A_T6_T7_T9_mT8_S1C_bDpT10_ENKUlT_T0_E_clISt17integral_constantIbLb1EES1O_IbLb0EEEEDaS1K_S1L_EUlS1K_E_NS1_11comp_targetILNS1_3genE0ELNS1_11target_archE4294967295ELNS1_3gpuE0ELNS1_3repE0EEENS1_30default_config_static_selectorELNS0_4arch9wavefront6targetE1EEEvSY_.num_vgpr, 0
	.set _ZN7rocprim17ROCPRIM_400000_NS6detail17trampoline_kernelINS0_13select_configILj256ELj13ELNS0_17block_load_methodE3ELS4_3ELS4_3ELNS0_20block_scan_algorithmE0ELj4294967295EEENS1_25partition_config_selectorILNS1_17partition_subalgoE3EjNS0_10empty_typeEbEEZZNS1_14partition_implILS8_3ELb0ES6_jNS0_17counting_iteratorIjlEEPS9_SE_NS0_5tupleIJPjSE_EEENSF_IJSE_SE_EEES9_SG_JZNS1_25segmented_radix_sort_implINS0_14default_configELb1EPKhPhPKlPlN2at6native12_GLOBAL__N_18offset_tEEE10hipError_tPvRmT1_PNSt15iterator_traitsISY_E10value_typeET2_T3_PNSZ_IS14_E10value_typeET4_jRbjT5_S1A_jjP12ihipStream_tbEUljE_EEESV_SW_SX_S14_S18_S1A_T6_T7_T9_mT8_S1C_bDpT10_ENKUlT_T0_E_clISt17integral_constantIbLb1EES1O_IbLb0EEEEDaS1K_S1L_EUlS1K_E_NS1_11comp_targetILNS1_3genE0ELNS1_11target_archE4294967295ELNS1_3gpuE0ELNS1_3repE0EEENS1_30default_config_static_selectorELNS0_4arch9wavefront6targetE1EEEvSY_.num_agpr, 0
	.set _ZN7rocprim17ROCPRIM_400000_NS6detail17trampoline_kernelINS0_13select_configILj256ELj13ELNS0_17block_load_methodE3ELS4_3ELS4_3ELNS0_20block_scan_algorithmE0ELj4294967295EEENS1_25partition_config_selectorILNS1_17partition_subalgoE3EjNS0_10empty_typeEbEEZZNS1_14partition_implILS8_3ELb0ES6_jNS0_17counting_iteratorIjlEEPS9_SE_NS0_5tupleIJPjSE_EEENSF_IJSE_SE_EEES9_SG_JZNS1_25segmented_radix_sort_implINS0_14default_configELb1EPKhPhPKlPlN2at6native12_GLOBAL__N_18offset_tEEE10hipError_tPvRmT1_PNSt15iterator_traitsISY_E10value_typeET2_T3_PNSZ_IS14_E10value_typeET4_jRbjT5_S1A_jjP12ihipStream_tbEUljE_EEESV_SW_SX_S14_S18_S1A_T6_T7_T9_mT8_S1C_bDpT10_ENKUlT_T0_E_clISt17integral_constantIbLb1EES1O_IbLb0EEEEDaS1K_S1L_EUlS1K_E_NS1_11comp_targetILNS1_3genE0ELNS1_11target_archE4294967295ELNS1_3gpuE0ELNS1_3repE0EEENS1_30default_config_static_selectorELNS0_4arch9wavefront6targetE1EEEvSY_.numbered_sgpr, 0
	.set _ZN7rocprim17ROCPRIM_400000_NS6detail17trampoline_kernelINS0_13select_configILj256ELj13ELNS0_17block_load_methodE3ELS4_3ELS4_3ELNS0_20block_scan_algorithmE0ELj4294967295EEENS1_25partition_config_selectorILNS1_17partition_subalgoE3EjNS0_10empty_typeEbEEZZNS1_14partition_implILS8_3ELb0ES6_jNS0_17counting_iteratorIjlEEPS9_SE_NS0_5tupleIJPjSE_EEENSF_IJSE_SE_EEES9_SG_JZNS1_25segmented_radix_sort_implINS0_14default_configELb1EPKhPhPKlPlN2at6native12_GLOBAL__N_18offset_tEEE10hipError_tPvRmT1_PNSt15iterator_traitsISY_E10value_typeET2_T3_PNSZ_IS14_E10value_typeET4_jRbjT5_S1A_jjP12ihipStream_tbEUljE_EEESV_SW_SX_S14_S18_S1A_T6_T7_T9_mT8_S1C_bDpT10_ENKUlT_T0_E_clISt17integral_constantIbLb1EES1O_IbLb0EEEEDaS1K_S1L_EUlS1K_E_NS1_11comp_targetILNS1_3genE0ELNS1_11target_archE4294967295ELNS1_3gpuE0ELNS1_3repE0EEENS1_30default_config_static_selectorELNS0_4arch9wavefront6targetE1EEEvSY_.num_named_barrier, 0
	.set _ZN7rocprim17ROCPRIM_400000_NS6detail17trampoline_kernelINS0_13select_configILj256ELj13ELNS0_17block_load_methodE3ELS4_3ELS4_3ELNS0_20block_scan_algorithmE0ELj4294967295EEENS1_25partition_config_selectorILNS1_17partition_subalgoE3EjNS0_10empty_typeEbEEZZNS1_14partition_implILS8_3ELb0ES6_jNS0_17counting_iteratorIjlEEPS9_SE_NS0_5tupleIJPjSE_EEENSF_IJSE_SE_EEES9_SG_JZNS1_25segmented_radix_sort_implINS0_14default_configELb1EPKhPhPKlPlN2at6native12_GLOBAL__N_18offset_tEEE10hipError_tPvRmT1_PNSt15iterator_traitsISY_E10value_typeET2_T3_PNSZ_IS14_E10value_typeET4_jRbjT5_S1A_jjP12ihipStream_tbEUljE_EEESV_SW_SX_S14_S18_S1A_T6_T7_T9_mT8_S1C_bDpT10_ENKUlT_T0_E_clISt17integral_constantIbLb1EES1O_IbLb0EEEEDaS1K_S1L_EUlS1K_E_NS1_11comp_targetILNS1_3genE0ELNS1_11target_archE4294967295ELNS1_3gpuE0ELNS1_3repE0EEENS1_30default_config_static_selectorELNS0_4arch9wavefront6targetE1EEEvSY_.private_seg_size, 0
	.set _ZN7rocprim17ROCPRIM_400000_NS6detail17trampoline_kernelINS0_13select_configILj256ELj13ELNS0_17block_load_methodE3ELS4_3ELS4_3ELNS0_20block_scan_algorithmE0ELj4294967295EEENS1_25partition_config_selectorILNS1_17partition_subalgoE3EjNS0_10empty_typeEbEEZZNS1_14partition_implILS8_3ELb0ES6_jNS0_17counting_iteratorIjlEEPS9_SE_NS0_5tupleIJPjSE_EEENSF_IJSE_SE_EEES9_SG_JZNS1_25segmented_radix_sort_implINS0_14default_configELb1EPKhPhPKlPlN2at6native12_GLOBAL__N_18offset_tEEE10hipError_tPvRmT1_PNSt15iterator_traitsISY_E10value_typeET2_T3_PNSZ_IS14_E10value_typeET4_jRbjT5_S1A_jjP12ihipStream_tbEUljE_EEESV_SW_SX_S14_S18_S1A_T6_T7_T9_mT8_S1C_bDpT10_ENKUlT_T0_E_clISt17integral_constantIbLb1EES1O_IbLb0EEEEDaS1K_S1L_EUlS1K_E_NS1_11comp_targetILNS1_3genE0ELNS1_11target_archE4294967295ELNS1_3gpuE0ELNS1_3repE0EEENS1_30default_config_static_selectorELNS0_4arch9wavefront6targetE1EEEvSY_.uses_vcc, 0
	.set _ZN7rocprim17ROCPRIM_400000_NS6detail17trampoline_kernelINS0_13select_configILj256ELj13ELNS0_17block_load_methodE3ELS4_3ELS4_3ELNS0_20block_scan_algorithmE0ELj4294967295EEENS1_25partition_config_selectorILNS1_17partition_subalgoE3EjNS0_10empty_typeEbEEZZNS1_14partition_implILS8_3ELb0ES6_jNS0_17counting_iteratorIjlEEPS9_SE_NS0_5tupleIJPjSE_EEENSF_IJSE_SE_EEES9_SG_JZNS1_25segmented_radix_sort_implINS0_14default_configELb1EPKhPhPKlPlN2at6native12_GLOBAL__N_18offset_tEEE10hipError_tPvRmT1_PNSt15iterator_traitsISY_E10value_typeET2_T3_PNSZ_IS14_E10value_typeET4_jRbjT5_S1A_jjP12ihipStream_tbEUljE_EEESV_SW_SX_S14_S18_S1A_T6_T7_T9_mT8_S1C_bDpT10_ENKUlT_T0_E_clISt17integral_constantIbLb1EES1O_IbLb0EEEEDaS1K_S1L_EUlS1K_E_NS1_11comp_targetILNS1_3genE0ELNS1_11target_archE4294967295ELNS1_3gpuE0ELNS1_3repE0EEENS1_30default_config_static_selectorELNS0_4arch9wavefront6targetE1EEEvSY_.uses_flat_scratch, 0
	.set _ZN7rocprim17ROCPRIM_400000_NS6detail17trampoline_kernelINS0_13select_configILj256ELj13ELNS0_17block_load_methodE3ELS4_3ELS4_3ELNS0_20block_scan_algorithmE0ELj4294967295EEENS1_25partition_config_selectorILNS1_17partition_subalgoE3EjNS0_10empty_typeEbEEZZNS1_14partition_implILS8_3ELb0ES6_jNS0_17counting_iteratorIjlEEPS9_SE_NS0_5tupleIJPjSE_EEENSF_IJSE_SE_EEES9_SG_JZNS1_25segmented_radix_sort_implINS0_14default_configELb1EPKhPhPKlPlN2at6native12_GLOBAL__N_18offset_tEEE10hipError_tPvRmT1_PNSt15iterator_traitsISY_E10value_typeET2_T3_PNSZ_IS14_E10value_typeET4_jRbjT5_S1A_jjP12ihipStream_tbEUljE_EEESV_SW_SX_S14_S18_S1A_T6_T7_T9_mT8_S1C_bDpT10_ENKUlT_T0_E_clISt17integral_constantIbLb1EES1O_IbLb0EEEEDaS1K_S1L_EUlS1K_E_NS1_11comp_targetILNS1_3genE0ELNS1_11target_archE4294967295ELNS1_3gpuE0ELNS1_3repE0EEENS1_30default_config_static_selectorELNS0_4arch9wavefront6targetE1EEEvSY_.has_dyn_sized_stack, 0
	.set _ZN7rocprim17ROCPRIM_400000_NS6detail17trampoline_kernelINS0_13select_configILj256ELj13ELNS0_17block_load_methodE3ELS4_3ELS4_3ELNS0_20block_scan_algorithmE0ELj4294967295EEENS1_25partition_config_selectorILNS1_17partition_subalgoE3EjNS0_10empty_typeEbEEZZNS1_14partition_implILS8_3ELb0ES6_jNS0_17counting_iteratorIjlEEPS9_SE_NS0_5tupleIJPjSE_EEENSF_IJSE_SE_EEES9_SG_JZNS1_25segmented_radix_sort_implINS0_14default_configELb1EPKhPhPKlPlN2at6native12_GLOBAL__N_18offset_tEEE10hipError_tPvRmT1_PNSt15iterator_traitsISY_E10value_typeET2_T3_PNSZ_IS14_E10value_typeET4_jRbjT5_S1A_jjP12ihipStream_tbEUljE_EEESV_SW_SX_S14_S18_S1A_T6_T7_T9_mT8_S1C_bDpT10_ENKUlT_T0_E_clISt17integral_constantIbLb1EES1O_IbLb0EEEEDaS1K_S1L_EUlS1K_E_NS1_11comp_targetILNS1_3genE0ELNS1_11target_archE4294967295ELNS1_3gpuE0ELNS1_3repE0EEENS1_30default_config_static_selectorELNS0_4arch9wavefront6targetE1EEEvSY_.has_recursion, 0
	.set _ZN7rocprim17ROCPRIM_400000_NS6detail17trampoline_kernelINS0_13select_configILj256ELj13ELNS0_17block_load_methodE3ELS4_3ELS4_3ELNS0_20block_scan_algorithmE0ELj4294967295EEENS1_25partition_config_selectorILNS1_17partition_subalgoE3EjNS0_10empty_typeEbEEZZNS1_14partition_implILS8_3ELb0ES6_jNS0_17counting_iteratorIjlEEPS9_SE_NS0_5tupleIJPjSE_EEENSF_IJSE_SE_EEES9_SG_JZNS1_25segmented_radix_sort_implINS0_14default_configELb1EPKhPhPKlPlN2at6native12_GLOBAL__N_18offset_tEEE10hipError_tPvRmT1_PNSt15iterator_traitsISY_E10value_typeET2_T3_PNSZ_IS14_E10value_typeET4_jRbjT5_S1A_jjP12ihipStream_tbEUljE_EEESV_SW_SX_S14_S18_S1A_T6_T7_T9_mT8_S1C_bDpT10_ENKUlT_T0_E_clISt17integral_constantIbLb1EES1O_IbLb0EEEEDaS1K_S1L_EUlS1K_E_NS1_11comp_targetILNS1_3genE0ELNS1_11target_archE4294967295ELNS1_3gpuE0ELNS1_3repE0EEENS1_30default_config_static_selectorELNS0_4arch9wavefront6targetE1EEEvSY_.has_indirect_call, 0
	.section	.AMDGPU.csdata,"",@progbits
; Kernel info:
; codeLenInByte = 0
; TotalNumSgprs: 4
; NumVgprs: 0
; ScratchSize: 0
; MemoryBound: 0
; FloatMode: 240
; IeeeMode: 1
; LDSByteSize: 0 bytes/workgroup (compile time only)
; SGPRBlocks: 0
; VGPRBlocks: 0
; NumSGPRsForWavesPerEU: 4
; NumVGPRsForWavesPerEU: 1
; Occupancy: 10
; WaveLimiterHint : 0
; COMPUTE_PGM_RSRC2:SCRATCH_EN: 0
; COMPUTE_PGM_RSRC2:USER_SGPR: 6
; COMPUTE_PGM_RSRC2:TRAP_HANDLER: 0
; COMPUTE_PGM_RSRC2:TGID_X_EN: 1
; COMPUTE_PGM_RSRC2:TGID_Y_EN: 0
; COMPUTE_PGM_RSRC2:TGID_Z_EN: 0
; COMPUTE_PGM_RSRC2:TIDIG_COMP_CNT: 0
	.section	.text._ZN7rocprim17ROCPRIM_400000_NS6detail17trampoline_kernelINS0_13select_configILj256ELj13ELNS0_17block_load_methodE3ELS4_3ELS4_3ELNS0_20block_scan_algorithmE0ELj4294967295EEENS1_25partition_config_selectorILNS1_17partition_subalgoE3EjNS0_10empty_typeEbEEZZNS1_14partition_implILS8_3ELb0ES6_jNS0_17counting_iteratorIjlEEPS9_SE_NS0_5tupleIJPjSE_EEENSF_IJSE_SE_EEES9_SG_JZNS1_25segmented_radix_sort_implINS0_14default_configELb1EPKhPhPKlPlN2at6native12_GLOBAL__N_18offset_tEEE10hipError_tPvRmT1_PNSt15iterator_traitsISY_E10value_typeET2_T3_PNSZ_IS14_E10value_typeET4_jRbjT5_S1A_jjP12ihipStream_tbEUljE_EEESV_SW_SX_S14_S18_S1A_T6_T7_T9_mT8_S1C_bDpT10_ENKUlT_T0_E_clISt17integral_constantIbLb1EES1O_IbLb0EEEEDaS1K_S1L_EUlS1K_E_NS1_11comp_targetILNS1_3genE5ELNS1_11target_archE942ELNS1_3gpuE9ELNS1_3repE0EEENS1_30default_config_static_selectorELNS0_4arch9wavefront6targetE1EEEvSY_,"axG",@progbits,_ZN7rocprim17ROCPRIM_400000_NS6detail17trampoline_kernelINS0_13select_configILj256ELj13ELNS0_17block_load_methodE3ELS4_3ELS4_3ELNS0_20block_scan_algorithmE0ELj4294967295EEENS1_25partition_config_selectorILNS1_17partition_subalgoE3EjNS0_10empty_typeEbEEZZNS1_14partition_implILS8_3ELb0ES6_jNS0_17counting_iteratorIjlEEPS9_SE_NS0_5tupleIJPjSE_EEENSF_IJSE_SE_EEES9_SG_JZNS1_25segmented_radix_sort_implINS0_14default_configELb1EPKhPhPKlPlN2at6native12_GLOBAL__N_18offset_tEEE10hipError_tPvRmT1_PNSt15iterator_traitsISY_E10value_typeET2_T3_PNSZ_IS14_E10value_typeET4_jRbjT5_S1A_jjP12ihipStream_tbEUljE_EEESV_SW_SX_S14_S18_S1A_T6_T7_T9_mT8_S1C_bDpT10_ENKUlT_T0_E_clISt17integral_constantIbLb1EES1O_IbLb0EEEEDaS1K_S1L_EUlS1K_E_NS1_11comp_targetILNS1_3genE5ELNS1_11target_archE942ELNS1_3gpuE9ELNS1_3repE0EEENS1_30default_config_static_selectorELNS0_4arch9wavefront6targetE1EEEvSY_,comdat
	.globl	_ZN7rocprim17ROCPRIM_400000_NS6detail17trampoline_kernelINS0_13select_configILj256ELj13ELNS0_17block_load_methodE3ELS4_3ELS4_3ELNS0_20block_scan_algorithmE0ELj4294967295EEENS1_25partition_config_selectorILNS1_17partition_subalgoE3EjNS0_10empty_typeEbEEZZNS1_14partition_implILS8_3ELb0ES6_jNS0_17counting_iteratorIjlEEPS9_SE_NS0_5tupleIJPjSE_EEENSF_IJSE_SE_EEES9_SG_JZNS1_25segmented_radix_sort_implINS0_14default_configELb1EPKhPhPKlPlN2at6native12_GLOBAL__N_18offset_tEEE10hipError_tPvRmT1_PNSt15iterator_traitsISY_E10value_typeET2_T3_PNSZ_IS14_E10value_typeET4_jRbjT5_S1A_jjP12ihipStream_tbEUljE_EEESV_SW_SX_S14_S18_S1A_T6_T7_T9_mT8_S1C_bDpT10_ENKUlT_T0_E_clISt17integral_constantIbLb1EES1O_IbLb0EEEEDaS1K_S1L_EUlS1K_E_NS1_11comp_targetILNS1_3genE5ELNS1_11target_archE942ELNS1_3gpuE9ELNS1_3repE0EEENS1_30default_config_static_selectorELNS0_4arch9wavefront6targetE1EEEvSY_ ; -- Begin function _ZN7rocprim17ROCPRIM_400000_NS6detail17trampoline_kernelINS0_13select_configILj256ELj13ELNS0_17block_load_methodE3ELS4_3ELS4_3ELNS0_20block_scan_algorithmE0ELj4294967295EEENS1_25partition_config_selectorILNS1_17partition_subalgoE3EjNS0_10empty_typeEbEEZZNS1_14partition_implILS8_3ELb0ES6_jNS0_17counting_iteratorIjlEEPS9_SE_NS0_5tupleIJPjSE_EEENSF_IJSE_SE_EEES9_SG_JZNS1_25segmented_radix_sort_implINS0_14default_configELb1EPKhPhPKlPlN2at6native12_GLOBAL__N_18offset_tEEE10hipError_tPvRmT1_PNSt15iterator_traitsISY_E10value_typeET2_T3_PNSZ_IS14_E10value_typeET4_jRbjT5_S1A_jjP12ihipStream_tbEUljE_EEESV_SW_SX_S14_S18_S1A_T6_T7_T9_mT8_S1C_bDpT10_ENKUlT_T0_E_clISt17integral_constantIbLb1EES1O_IbLb0EEEEDaS1K_S1L_EUlS1K_E_NS1_11comp_targetILNS1_3genE5ELNS1_11target_archE942ELNS1_3gpuE9ELNS1_3repE0EEENS1_30default_config_static_selectorELNS0_4arch9wavefront6targetE1EEEvSY_
	.p2align	8
	.type	_ZN7rocprim17ROCPRIM_400000_NS6detail17trampoline_kernelINS0_13select_configILj256ELj13ELNS0_17block_load_methodE3ELS4_3ELS4_3ELNS0_20block_scan_algorithmE0ELj4294967295EEENS1_25partition_config_selectorILNS1_17partition_subalgoE3EjNS0_10empty_typeEbEEZZNS1_14partition_implILS8_3ELb0ES6_jNS0_17counting_iteratorIjlEEPS9_SE_NS0_5tupleIJPjSE_EEENSF_IJSE_SE_EEES9_SG_JZNS1_25segmented_radix_sort_implINS0_14default_configELb1EPKhPhPKlPlN2at6native12_GLOBAL__N_18offset_tEEE10hipError_tPvRmT1_PNSt15iterator_traitsISY_E10value_typeET2_T3_PNSZ_IS14_E10value_typeET4_jRbjT5_S1A_jjP12ihipStream_tbEUljE_EEESV_SW_SX_S14_S18_S1A_T6_T7_T9_mT8_S1C_bDpT10_ENKUlT_T0_E_clISt17integral_constantIbLb1EES1O_IbLb0EEEEDaS1K_S1L_EUlS1K_E_NS1_11comp_targetILNS1_3genE5ELNS1_11target_archE942ELNS1_3gpuE9ELNS1_3repE0EEENS1_30default_config_static_selectorELNS0_4arch9wavefront6targetE1EEEvSY_,@function
_ZN7rocprim17ROCPRIM_400000_NS6detail17trampoline_kernelINS0_13select_configILj256ELj13ELNS0_17block_load_methodE3ELS4_3ELS4_3ELNS0_20block_scan_algorithmE0ELj4294967295EEENS1_25partition_config_selectorILNS1_17partition_subalgoE3EjNS0_10empty_typeEbEEZZNS1_14partition_implILS8_3ELb0ES6_jNS0_17counting_iteratorIjlEEPS9_SE_NS0_5tupleIJPjSE_EEENSF_IJSE_SE_EEES9_SG_JZNS1_25segmented_radix_sort_implINS0_14default_configELb1EPKhPhPKlPlN2at6native12_GLOBAL__N_18offset_tEEE10hipError_tPvRmT1_PNSt15iterator_traitsISY_E10value_typeET2_T3_PNSZ_IS14_E10value_typeET4_jRbjT5_S1A_jjP12ihipStream_tbEUljE_EEESV_SW_SX_S14_S18_S1A_T6_T7_T9_mT8_S1C_bDpT10_ENKUlT_T0_E_clISt17integral_constantIbLb1EES1O_IbLb0EEEEDaS1K_S1L_EUlS1K_E_NS1_11comp_targetILNS1_3genE5ELNS1_11target_archE942ELNS1_3gpuE9ELNS1_3repE0EEENS1_30default_config_static_selectorELNS0_4arch9wavefront6targetE1EEEvSY_: ; @_ZN7rocprim17ROCPRIM_400000_NS6detail17trampoline_kernelINS0_13select_configILj256ELj13ELNS0_17block_load_methodE3ELS4_3ELS4_3ELNS0_20block_scan_algorithmE0ELj4294967295EEENS1_25partition_config_selectorILNS1_17partition_subalgoE3EjNS0_10empty_typeEbEEZZNS1_14partition_implILS8_3ELb0ES6_jNS0_17counting_iteratorIjlEEPS9_SE_NS0_5tupleIJPjSE_EEENSF_IJSE_SE_EEES9_SG_JZNS1_25segmented_radix_sort_implINS0_14default_configELb1EPKhPhPKlPlN2at6native12_GLOBAL__N_18offset_tEEE10hipError_tPvRmT1_PNSt15iterator_traitsISY_E10value_typeET2_T3_PNSZ_IS14_E10value_typeET4_jRbjT5_S1A_jjP12ihipStream_tbEUljE_EEESV_SW_SX_S14_S18_S1A_T6_T7_T9_mT8_S1C_bDpT10_ENKUlT_T0_E_clISt17integral_constantIbLb1EES1O_IbLb0EEEEDaS1K_S1L_EUlS1K_E_NS1_11comp_targetILNS1_3genE5ELNS1_11target_archE942ELNS1_3gpuE9ELNS1_3repE0EEENS1_30default_config_static_selectorELNS0_4arch9wavefront6targetE1EEEvSY_
; %bb.0:
	.section	.rodata,"a",@progbits
	.p2align	6, 0x0
	.amdhsa_kernel _ZN7rocprim17ROCPRIM_400000_NS6detail17trampoline_kernelINS0_13select_configILj256ELj13ELNS0_17block_load_methodE3ELS4_3ELS4_3ELNS0_20block_scan_algorithmE0ELj4294967295EEENS1_25partition_config_selectorILNS1_17partition_subalgoE3EjNS0_10empty_typeEbEEZZNS1_14partition_implILS8_3ELb0ES6_jNS0_17counting_iteratorIjlEEPS9_SE_NS0_5tupleIJPjSE_EEENSF_IJSE_SE_EEES9_SG_JZNS1_25segmented_radix_sort_implINS0_14default_configELb1EPKhPhPKlPlN2at6native12_GLOBAL__N_18offset_tEEE10hipError_tPvRmT1_PNSt15iterator_traitsISY_E10value_typeET2_T3_PNSZ_IS14_E10value_typeET4_jRbjT5_S1A_jjP12ihipStream_tbEUljE_EEESV_SW_SX_S14_S18_S1A_T6_T7_T9_mT8_S1C_bDpT10_ENKUlT_T0_E_clISt17integral_constantIbLb1EES1O_IbLb0EEEEDaS1K_S1L_EUlS1K_E_NS1_11comp_targetILNS1_3genE5ELNS1_11target_archE942ELNS1_3gpuE9ELNS1_3repE0EEENS1_30default_config_static_selectorELNS0_4arch9wavefront6targetE1EEEvSY_
		.amdhsa_group_segment_fixed_size 0
		.amdhsa_private_segment_fixed_size 0
		.amdhsa_kernarg_size 144
		.amdhsa_user_sgpr_count 6
		.amdhsa_user_sgpr_private_segment_buffer 1
		.amdhsa_user_sgpr_dispatch_ptr 0
		.amdhsa_user_sgpr_queue_ptr 0
		.amdhsa_user_sgpr_kernarg_segment_ptr 1
		.amdhsa_user_sgpr_dispatch_id 0
		.amdhsa_user_sgpr_flat_scratch_init 0
		.amdhsa_user_sgpr_private_segment_size 0
		.amdhsa_uses_dynamic_stack 0
		.amdhsa_system_sgpr_private_segment_wavefront_offset 0
		.amdhsa_system_sgpr_workgroup_id_x 1
		.amdhsa_system_sgpr_workgroup_id_y 0
		.amdhsa_system_sgpr_workgroup_id_z 0
		.amdhsa_system_sgpr_workgroup_info 0
		.amdhsa_system_vgpr_workitem_id 0
		.amdhsa_next_free_vgpr 1
		.amdhsa_next_free_sgpr 0
		.amdhsa_reserve_vcc 0
		.amdhsa_reserve_flat_scratch 0
		.amdhsa_float_round_mode_32 0
		.amdhsa_float_round_mode_16_64 0
		.amdhsa_float_denorm_mode_32 3
		.amdhsa_float_denorm_mode_16_64 3
		.amdhsa_dx10_clamp 1
		.amdhsa_ieee_mode 1
		.amdhsa_fp16_overflow 0
		.amdhsa_exception_fp_ieee_invalid_op 0
		.amdhsa_exception_fp_denorm_src 0
		.amdhsa_exception_fp_ieee_div_zero 0
		.amdhsa_exception_fp_ieee_overflow 0
		.amdhsa_exception_fp_ieee_underflow 0
		.amdhsa_exception_fp_ieee_inexact 0
		.amdhsa_exception_int_div_zero 0
	.end_amdhsa_kernel
	.section	.text._ZN7rocprim17ROCPRIM_400000_NS6detail17trampoline_kernelINS0_13select_configILj256ELj13ELNS0_17block_load_methodE3ELS4_3ELS4_3ELNS0_20block_scan_algorithmE0ELj4294967295EEENS1_25partition_config_selectorILNS1_17partition_subalgoE3EjNS0_10empty_typeEbEEZZNS1_14partition_implILS8_3ELb0ES6_jNS0_17counting_iteratorIjlEEPS9_SE_NS0_5tupleIJPjSE_EEENSF_IJSE_SE_EEES9_SG_JZNS1_25segmented_radix_sort_implINS0_14default_configELb1EPKhPhPKlPlN2at6native12_GLOBAL__N_18offset_tEEE10hipError_tPvRmT1_PNSt15iterator_traitsISY_E10value_typeET2_T3_PNSZ_IS14_E10value_typeET4_jRbjT5_S1A_jjP12ihipStream_tbEUljE_EEESV_SW_SX_S14_S18_S1A_T6_T7_T9_mT8_S1C_bDpT10_ENKUlT_T0_E_clISt17integral_constantIbLb1EES1O_IbLb0EEEEDaS1K_S1L_EUlS1K_E_NS1_11comp_targetILNS1_3genE5ELNS1_11target_archE942ELNS1_3gpuE9ELNS1_3repE0EEENS1_30default_config_static_selectorELNS0_4arch9wavefront6targetE1EEEvSY_,"axG",@progbits,_ZN7rocprim17ROCPRIM_400000_NS6detail17trampoline_kernelINS0_13select_configILj256ELj13ELNS0_17block_load_methodE3ELS4_3ELS4_3ELNS0_20block_scan_algorithmE0ELj4294967295EEENS1_25partition_config_selectorILNS1_17partition_subalgoE3EjNS0_10empty_typeEbEEZZNS1_14partition_implILS8_3ELb0ES6_jNS0_17counting_iteratorIjlEEPS9_SE_NS0_5tupleIJPjSE_EEENSF_IJSE_SE_EEES9_SG_JZNS1_25segmented_radix_sort_implINS0_14default_configELb1EPKhPhPKlPlN2at6native12_GLOBAL__N_18offset_tEEE10hipError_tPvRmT1_PNSt15iterator_traitsISY_E10value_typeET2_T3_PNSZ_IS14_E10value_typeET4_jRbjT5_S1A_jjP12ihipStream_tbEUljE_EEESV_SW_SX_S14_S18_S1A_T6_T7_T9_mT8_S1C_bDpT10_ENKUlT_T0_E_clISt17integral_constantIbLb1EES1O_IbLb0EEEEDaS1K_S1L_EUlS1K_E_NS1_11comp_targetILNS1_3genE5ELNS1_11target_archE942ELNS1_3gpuE9ELNS1_3repE0EEENS1_30default_config_static_selectorELNS0_4arch9wavefront6targetE1EEEvSY_,comdat
.Lfunc_end67:
	.size	_ZN7rocprim17ROCPRIM_400000_NS6detail17trampoline_kernelINS0_13select_configILj256ELj13ELNS0_17block_load_methodE3ELS4_3ELS4_3ELNS0_20block_scan_algorithmE0ELj4294967295EEENS1_25partition_config_selectorILNS1_17partition_subalgoE3EjNS0_10empty_typeEbEEZZNS1_14partition_implILS8_3ELb0ES6_jNS0_17counting_iteratorIjlEEPS9_SE_NS0_5tupleIJPjSE_EEENSF_IJSE_SE_EEES9_SG_JZNS1_25segmented_radix_sort_implINS0_14default_configELb1EPKhPhPKlPlN2at6native12_GLOBAL__N_18offset_tEEE10hipError_tPvRmT1_PNSt15iterator_traitsISY_E10value_typeET2_T3_PNSZ_IS14_E10value_typeET4_jRbjT5_S1A_jjP12ihipStream_tbEUljE_EEESV_SW_SX_S14_S18_S1A_T6_T7_T9_mT8_S1C_bDpT10_ENKUlT_T0_E_clISt17integral_constantIbLb1EES1O_IbLb0EEEEDaS1K_S1L_EUlS1K_E_NS1_11comp_targetILNS1_3genE5ELNS1_11target_archE942ELNS1_3gpuE9ELNS1_3repE0EEENS1_30default_config_static_selectorELNS0_4arch9wavefront6targetE1EEEvSY_, .Lfunc_end67-_ZN7rocprim17ROCPRIM_400000_NS6detail17trampoline_kernelINS0_13select_configILj256ELj13ELNS0_17block_load_methodE3ELS4_3ELS4_3ELNS0_20block_scan_algorithmE0ELj4294967295EEENS1_25partition_config_selectorILNS1_17partition_subalgoE3EjNS0_10empty_typeEbEEZZNS1_14partition_implILS8_3ELb0ES6_jNS0_17counting_iteratorIjlEEPS9_SE_NS0_5tupleIJPjSE_EEENSF_IJSE_SE_EEES9_SG_JZNS1_25segmented_radix_sort_implINS0_14default_configELb1EPKhPhPKlPlN2at6native12_GLOBAL__N_18offset_tEEE10hipError_tPvRmT1_PNSt15iterator_traitsISY_E10value_typeET2_T3_PNSZ_IS14_E10value_typeET4_jRbjT5_S1A_jjP12ihipStream_tbEUljE_EEESV_SW_SX_S14_S18_S1A_T6_T7_T9_mT8_S1C_bDpT10_ENKUlT_T0_E_clISt17integral_constantIbLb1EES1O_IbLb0EEEEDaS1K_S1L_EUlS1K_E_NS1_11comp_targetILNS1_3genE5ELNS1_11target_archE942ELNS1_3gpuE9ELNS1_3repE0EEENS1_30default_config_static_selectorELNS0_4arch9wavefront6targetE1EEEvSY_
                                        ; -- End function
	.set _ZN7rocprim17ROCPRIM_400000_NS6detail17trampoline_kernelINS0_13select_configILj256ELj13ELNS0_17block_load_methodE3ELS4_3ELS4_3ELNS0_20block_scan_algorithmE0ELj4294967295EEENS1_25partition_config_selectorILNS1_17partition_subalgoE3EjNS0_10empty_typeEbEEZZNS1_14partition_implILS8_3ELb0ES6_jNS0_17counting_iteratorIjlEEPS9_SE_NS0_5tupleIJPjSE_EEENSF_IJSE_SE_EEES9_SG_JZNS1_25segmented_radix_sort_implINS0_14default_configELb1EPKhPhPKlPlN2at6native12_GLOBAL__N_18offset_tEEE10hipError_tPvRmT1_PNSt15iterator_traitsISY_E10value_typeET2_T3_PNSZ_IS14_E10value_typeET4_jRbjT5_S1A_jjP12ihipStream_tbEUljE_EEESV_SW_SX_S14_S18_S1A_T6_T7_T9_mT8_S1C_bDpT10_ENKUlT_T0_E_clISt17integral_constantIbLb1EES1O_IbLb0EEEEDaS1K_S1L_EUlS1K_E_NS1_11comp_targetILNS1_3genE5ELNS1_11target_archE942ELNS1_3gpuE9ELNS1_3repE0EEENS1_30default_config_static_selectorELNS0_4arch9wavefront6targetE1EEEvSY_.num_vgpr, 0
	.set _ZN7rocprim17ROCPRIM_400000_NS6detail17trampoline_kernelINS0_13select_configILj256ELj13ELNS0_17block_load_methodE3ELS4_3ELS4_3ELNS0_20block_scan_algorithmE0ELj4294967295EEENS1_25partition_config_selectorILNS1_17partition_subalgoE3EjNS0_10empty_typeEbEEZZNS1_14partition_implILS8_3ELb0ES6_jNS0_17counting_iteratorIjlEEPS9_SE_NS0_5tupleIJPjSE_EEENSF_IJSE_SE_EEES9_SG_JZNS1_25segmented_radix_sort_implINS0_14default_configELb1EPKhPhPKlPlN2at6native12_GLOBAL__N_18offset_tEEE10hipError_tPvRmT1_PNSt15iterator_traitsISY_E10value_typeET2_T3_PNSZ_IS14_E10value_typeET4_jRbjT5_S1A_jjP12ihipStream_tbEUljE_EEESV_SW_SX_S14_S18_S1A_T6_T7_T9_mT8_S1C_bDpT10_ENKUlT_T0_E_clISt17integral_constantIbLb1EES1O_IbLb0EEEEDaS1K_S1L_EUlS1K_E_NS1_11comp_targetILNS1_3genE5ELNS1_11target_archE942ELNS1_3gpuE9ELNS1_3repE0EEENS1_30default_config_static_selectorELNS0_4arch9wavefront6targetE1EEEvSY_.num_agpr, 0
	.set _ZN7rocprim17ROCPRIM_400000_NS6detail17trampoline_kernelINS0_13select_configILj256ELj13ELNS0_17block_load_methodE3ELS4_3ELS4_3ELNS0_20block_scan_algorithmE0ELj4294967295EEENS1_25partition_config_selectorILNS1_17partition_subalgoE3EjNS0_10empty_typeEbEEZZNS1_14partition_implILS8_3ELb0ES6_jNS0_17counting_iteratorIjlEEPS9_SE_NS0_5tupleIJPjSE_EEENSF_IJSE_SE_EEES9_SG_JZNS1_25segmented_radix_sort_implINS0_14default_configELb1EPKhPhPKlPlN2at6native12_GLOBAL__N_18offset_tEEE10hipError_tPvRmT1_PNSt15iterator_traitsISY_E10value_typeET2_T3_PNSZ_IS14_E10value_typeET4_jRbjT5_S1A_jjP12ihipStream_tbEUljE_EEESV_SW_SX_S14_S18_S1A_T6_T7_T9_mT8_S1C_bDpT10_ENKUlT_T0_E_clISt17integral_constantIbLb1EES1O_IbLb0EEEEDaS1K_S1L_EUlS1K_E_NS1_11comp_targetILNS1_3genE5ELNS1_11target_archE942ELNS1_3gpuE9ELNS1_3repE0EEENS1_30default_config_static_selectorELNS0_4arch9wavefront6targetE1EEEvSY_.numbered_sgpr, 0
	.set _ZN7rocprim17ROCPRIM_400000_NS6detail17trampoline_kernelINS0_13select_configILj256ELj13ELNS0_17block_load_methodE3ELS4_3ELS4_3ELNS0_20block_scan_algorithmE0ELj4294967295EEENS1_25partition_config_selectorILNS1_17partition_subalgoE3EjNS0_10empty_typeEbEEZZNS1_14partition_implILS8_3ELb0ES6_jNS0_17counting_iteratorIjlEEPS9_SE_NS0_5tupleIJPjSE_EEENSF_IJSE_SE_EEES9_SG_JZNS1_25segmented_radix_sort_implINS0_14default_configELb1EPKhPhPKlPlN2at6native12_GLOBAL__N_18offset_tEEE10hipError_tPvRmT1_PNSt15iterator_traitsISY_E10value_typeET2_T3_PNSZ_IS14_E10value_typeET4_jRbjT5_S1A_jjP12ihipStream_tbEUljE_EEESV_SW_SX_S14_S18_S1A_T6_T7_T9_mT8_S1C_bDpT10_ENKUlT_T0_E_clISt17integral_constantIbLb1EES1O_IbLb0EEEEDaS1K_S1L_EUlS1K_E_NS1_11comp_targetILNS1_3genE5ELNS1_11target_archE942ELNS1_3gpuE9ELNS1_3repE0EEENS1_30default_config_static_selectorELNS0_4arch9wavefront6targetE1EEEvSY_.num_named_barrier, 0
	.set _ZN7rocprim17ROCPRIM_400000_NS6detail17trampoline_kernelINS0_13select_configILj256ELj13ELNS0_17block_load_methodE3ELS4_3ELS4_3ELNS0_20block_scan_algorithmE0ELj4294967295EEENS1_25partition_config_selectorILNS1_17partition_subalgoE3EjNS0_10empty_typeEbEEZZNS1_14partition_implILS8_3ELb0ES6_jNS0_17counting_iteratorIjlEEPS9_SE_NS0_5tupleIJPjSE_EEENSF_IJSE_SE_EEES9_SG_JZNS1_25segmented_radix_sort_implINS0_14default_configELb1EPKhPhPKlPlN2at6native12_GLOBAL__N_18offset_tEEE10hipError_tPvRmT1_PNSt15iterator_traitsISY_E10value_typeET2_T3_PNSZ_IS14_E10value_typeET4_jRbjT5_S1A_jjP12ihipStream_tbEUljE_EEESV_SW_SX_S14_S18_S1A_T6_T7_T9_mT8_S1C_bDpT10_ENKUlT_T0_E_clISt17integral_constantIbLb1EES1O_IbLb0EEEEDaS1K_S1L_EUlS1K_E_NS1_11comp_targetILNS1_3genE5ELNS1_11target_archE942ELNS1_3gpuE9ELNS1_3repE0EEENS1_30default_config_static_selectorELNS0_4arch9wavefront6targetE1EEEvSY_.private_seg_size, 0
	.set _ZN7rocprim17ROCPRIM_400000_NS6detail17trampoline_kernelINS0_13select_configILj256ELj13ELNS0_17block_load_methodE3ELS4_3ELS4_3ELNS0_20block_scan_algorithmE0ELj4294967295EEENS1_25partition_config_selectorILNS1_17partition_subalgoE3EjNS0_10empty_typeEbEEZZNS1_14partition_implILS8_3ELb0ES6_jNS0_17counting_iteratorIjlEEPS9_SE_NS0_5tupleIJPjSE_EEENSF_IJSE_SE_EEES9_SG_JZNS1_25segmented_radix_sort_implINS0_14default_configELb1EPKhPhPKlPlN2at6native12_GLOBAL__N_18offset_tEEE10hipError_tPvRmT1_PNSt15iterator_traitsISY_E10value_typeET2_T3_PNSZ_IS14_E10value_typeET4_jRbjT5_S1A_jjP12ihipStream_tbEUljE_EEESV_SW_SX_S14_S18_S1A_T6_T7_T9_mT8_S1C_bDpT10_ENKUlT_T0_E_clISt17integral_constantIbLb1EES1O_IbLb0EEEEDaS1K_S1L_EUlS1K_E_NS1_11comp_targetILNS1_3genE5ELNS1_11target_archE942ELNS1_3gpuE9ELNS1_3repE0EEENS1_30default_config_static_selectorELNS0_4arch9wavefront6targetE1EEEvSY_.uses_vcc, 0
	.set _ZN7rocprim17ROCPRIM_400000_NS6detail17trampoline_kernelINS0_13select_configILj256ELj13ELNS0_17block_load_methodE3ELS4_3ELS4_3ELNS0_20block_scan_algorithmE0ELj4294967295EEENS1_25partition_config_selectorILNS1_17partition_subalgoE3EjNS0_10empty_typeEbEEZZNS1_14partition_implILS8_3ELb0ES6_jNS0_17counting_iteratorIjlEEPS9_SE_NS0_5tupleIJPjSE_EEENSF_IJSE_SE_EEES9_SG_JZNS1_25segmented_radix_sort_implINS0_14default_configELb1EPKhPhPKlPlN2at6native12_GLOBAL__N_18offset_tEEE10hipError_tPvRmT1_PNSt15iterator_traitsISY_E10value_typeET2_T3_PNSZ_IS14_E10value_typeET4_jRbjT5_S1A_jjP12ihipStream_tbEUljE_EEESV_SW_SX_S14_S18_S1A_T6_T7_T9_mT8_S1C_bDpT10_ENKUlT_T0_E_clISt17integral_constantIbLb1EES1O_IbLb0EEEEDaS1K_S1L_EUlS1K_E_NS1_11comp_targetILNS1_3genE5ELNS1_11target_archE942ELNS1_3gpuE9ELNS1_3repE0EEENS1_30default_config_static_selectorELNS0_4arch9wavefront6targetE1EEEvSY_.uses_flat_scratch, 0
	.set _ZN7rocprim17ROCPRIM_400000_NS6detail17trampoline_kernelINS0_13select_configILj256ELj13ELNS0_17block_load_methodE3ELS4_3ELS4_3ELNS0_20block_scan_algorithmE0ELj4294967295EEENS1_25partition_config_selectorILNS1_17partition_subalgoE3EjNS0_10empty_typeEbEEZZNS1_14partition_implILS8_3ELb0ES6_jNS0_17counting_iteratorIjlEEPS9_SE_NS0_5tupleIJPjSE_EEENSF_IJSE_SE_EEES9_SG_JZNS1_25segmented_radix_sort_implINS0_14default_configELb1EPKhPhPKlPlN2at6native12_GLOBAL__N_18offset_tEEE10hipError_tPvRmT1_PNSt15iterator_traitsISY_E10value_typeET2_T3_PNSZ_IS14_E10value_typeET4_jRbjT5_S1A_jjP12ihipStream_tbEUljE_EEESV_SW_SX_S14_S18_S1A_T6_T7_T9_mT8_S1C_bDpT10_ENKUlT_T0_E_clISt17integral_constantIbLb1EES1O_IbLb0EEEEDaS1K_S1L_EUlS1K_E_NS1_11comp_targetILNS1_3genE5ELNS1_11target_archE942ELNS1_3gpuE9ELNS1_3repE0EEENS1_30default_config_static_selectorELNS0_4arch9wavefront6targetE1EEEvSY_.has_dyn_sized_stack, 0
	.set _ZN7rocprim17ROCPRIM_400000_NS6detail17trampoline_kernelINS0_13select_configILj256ELj13ELNS0_17block_load_methodE3ELS4_3ELS4_3ELNS0_20block_scan_algorithmE0ELj4294967295EEENS1_25partition_config_selectorILNS1_17partition_subalgoE3EjNS0_10empty_typeEbEEZZNS1_14partition_implILS8_3ELb0ES6_jNS0_17counting_iteratorIjlEEPS9_SE_NS0_5tupleIJPjSE_EEENSF_IJSE_SE_EEES9_SG_JZNS1_25segmented_radix_sort_implINS0_14default_configELb1EPKhPhPKlPlN2at6native12_GLOBAL__N_18offset_tEEE10hipError_tPvRmT1_PNSt15iterator_traitsISY_E10value_typeET2_T3_PNSZ_IS14_E10value_typeET4_jRbjT5_S1A_jjP12ihipStream_tbEUljE_EEESV_SW_SX_S14_S18_S1A_T6_T7_T9_mT8_S1C_bDpT10_ENKUlT_T0_E_clISt17integral_constantIbLb1EES1O_IbLb0EEEEDaS1K_S1L_EUlS1K_E_NS1_11comp_targetILNS1_3genE5ELNS1_11target_archE942ELNS1_3gpuE9ELNS1_3repE0EEENS1_30default_config_static_selectorELNS0_4arch9wavefront6targetE1EEEvSY_.has_recursion, 0
	.set _ZN7rocprim17ROCPRIM_400000_NS6detail17trampoline_kernelINS0_13select_configILj256ELj13ELNS0_17block_load_methodE3ELS4_3ELS4_3ELNS0_20block_scan_algorithmE0ELj4294967295EEENS1_25partition_config_selectorILNS1_17partition_subalgoE3EjNS0_10empty_typeEbEEZZNS1_14partition_implILS8_3ELb0ES6_jNS0_17counting_iteratorIjlEEPS9_SE_NS0_5tupleIJPjSE_EEENSF_IJSE_SE_EEES9_SG_JZNS1_25segmented_radix_sort_implINS0_14default_configELb1EPKhPhPKlPlN2at6native12_GLOBAL__N_18offset_tEEE10hipError_tPvRmT1_PNSt15iterator_traitsISY_E10value_typeET2_T3_PNSZ_IS14_E10value_typeET4_jRbjT5_S1A_jjP12ihipStream_tbEUljE_EEESV_SW_SX_S14_S18_S1A_T6_T7_T9_mT8_S1C_bDpT10_ENKUlT_T0_E_clISt17integral_constantIbLb1EES1O_IbLb0EEEEDaS1K_S1L_EUlS1K_E_NS1_11comp_targetILNS1_3genE5ELNS1_11target_archE942ELNS1_3gpuE9ELNS1_3repE0EEENS1_30default_config_static_selectorELNS0_4arch9wavefront6targetE1EEEvSY_.has_indirect_call, 0
	.section	.AMDGPU.csdata,"",@progbits
; Kernel info:
; codeLenInByte = 0
; TotalNumSgprs: 4
; NumVgprs: 0
; ScratchSize: 0
; MemoryBound: 0
; FloatMode: 240
; IeeeMode: 1
; LDSByteSize: 0 bytes/workgroup (compile time only)
; SGPRBlocks: 0
; VGPRBlocks: 0
; NumSGPRsForWavesPerEU: 4
; NumVGPRsForWavesPerEU: 1
; Occupancy: 10
; WaveLimiterHint : 0
; COMPUTE_PGM_RSRC2:SCRATCH_EN: 0
; COMPUTE_PGM_RSRC2:USER_SGPR: 6
; COMPUTE_PGM_RSRC2:TRAP_HANDLER: 0
; COMPUTE_PGM_RSRC2:TGID_X_EN: 1
; COMPUTE_PGM_RSRC2:TGID_Y_EN: 0
; COMPUTE_PGM_RSRC2:TGID_Z_EN: 0
; COMPUTE_PGM_RSRC2:TIDIG_COMP_CNT: 0
	.section	.text._ZN7rocprim17ROCPRIM_400000_NS6detail17trampoline_kernelINS0_13select_configILj256ELj13ELNS0_17block_load_methodE3ELS4_3ELS4_3ELNS0_20block_scan_algorithmE0ELj4294967295EEENS1_25partition_config_selectorILNS1_17partition_subalgoE3EjNS0_10empty_typeEbEEZZNS1_14partition_implILS8_3ELb0ES6_jNS0_17counting_iteratorIjlEEPS9_SE_NS0_5tupleIJPjSE_EEENSF_IJSE_SE_EEES9_SG_JZNS1_25segmented_radix_sort_implINS0_14default_configELb1EPKhPhPKlPlN2at6native12_GLOBAL__N_18offset_tEEE10hipError_tPvRmT1_PNSt15iterator_traitsISY_E10value_typeET2_T3_PNSZ_IS14_E10value_typeET4_jRbjT5_S1A_jjP12ihipStream_tbEUljE_EEESV_SW_SX_S14_S18_S1A_T6_T7_T9_mT8_S1C_bDpT10_ENKUlT_T0_E_clISt17integral_constantIbLb1EES1O_IbLb0EEEEDaS1K_S1L_EUlS1K_E_NS1_11comp_targetILNS1_3genE4ELNS1_11target_archE910ELNS1_3gpuE8ELNS1_3repE0EEENS1_30default_config_static_selectorELNS0_4arch9wavefront6targetE1EEEvSY_,"axG",@progbits,_ZN7rocprim17ROCPRIM_400000_NS6detail17trampoline_kernelINS0_13select_configILj256ELj13ELNS0_17block_load_methodE3ELS4_3ELS4_3ELNS0_20block_scan_algorithmE0ELj4294967295EEENS1_25partition_config_selectorILNS1_17partition_subalgoE3EjNS0_10empty_typeEbEEZZNS1_14partition_implILS8_3ELb0ES6_jNS0_17counting_iteratorIjlEEPS9_SE_NS0_5tupleIJPjSE_EEENSF_IJSE_SE_EEES9_SG_JZNS1_25segmented_radix_sort_implINS0_14default_configELb1EPKhPhPKlPlN2at6native12_GLOBAL__N_18offset_tEEE10hipError_tPvRmT1_PNSt15iterator_traitsISY_E10value_typeET2_T3_PNSZ_IS14_E10value_typeET4_jRbjT5_S1A_jjP12ihipStream_tbEUljE_EEESV_SW_SX_S14_S18_S1A_T6_T7_T9_mT8_S1C_bDpT10_ENKUlT_T0_E_clISt17integral_constantIbLb1EES1O_IbLb0EEEEDaS1K_S1L_EUlS1K_E_NS1_11comp_targetILNS1_3genE4ELNS1_11target_archE910ELNS1_3gpuE8ELNS1_3repE0EEENS1_30default_config_static_selectorELNS0_4arch9wavefront6targetE1EEEvSY_,comdat
	.globl	_ZN7rocprim17ROCPRIM_400000_NS6detail17trampoline_kernelINS0_13select_configILj256ELj13ELNS0_17block_load_methodE3ELS4_3ELS4_3ELNS0_20block_scan_algorithmE0ELj4294967295EEENS1_25partition_config_selectorILNS1_17partition_subalgoE3EjNS0_10empty_typeEbEEZZNS1_14partition_implILS8_3ELb0ES6_jNS0_17counting_iteratorIjlEEPS9_SE_NS0_5tupleIJPjSE_EEENSF_IJSE_SE_EEES9_SG_JZNS1_25segmented_radix_sort_implINS0_14default_configELb1EPKhPhPKlPlN2at6native12_GLOBAL__N_18offset_tEEE10hipError_tPvRmT1_PNSt15iterator_traitsISY_E10value_typeET2_T3_PNSZ_IS14_E10value_typeET4_jRbjT5_S1A_jjP12ihipStream_tbEUljE_EEESV_SW_SX_S14_S18_S1A_T6_T7_T9_mT8_S1C_bDpT10_ENKUlT_T0_E_clISt17integral_constantIbLb1EES1O_IbLb0EEEEDaS1K_S1L_EUlS1K_E_NS1_11comp_targetILNS1_3genE4ELNS1_11target_archE910ELNS1_3gpuE8ELNS1_3repE0EEENS1_30default_config_static_selectorELNS0_4arch9wavefront6targetE1EEEvSY_ ; -- Begin function _ZN7rocprim17ROCPRIM_400000_NS6detail17trampoline_kernelINS0_13select_configILj256ELj13ELNS0_17block_load_methodE3ELS4_3ELS4_3ELNS0_20block_scan_algorithmE0ELj4294967295EEENS1_25partition_config_selectorILNS1_17partition_subalgoE3EjNS0_10empty_typeEbEEZZNS1_14partition_implILS8_3ELb0ES6_jNS0_17counting_iteratorIjlEEPS9_SE_NS0_5tupleIJPjSE_EEENSF_IJSE_SE_EEES9_SG_JZNS1_25segmented_radix_sort_implINS0_14default_configELb1EPKhPhPKlPlN2at6native12_GLOBAL__N_18offset_tEEE10hipError_tPvRmT1_PNSt15iterator_traitsISY_E10value_typeET2_T3_PNSZ_IS14_E10value_typeET4_jRbjT5_S1A_jjP12ihipStream_tbEUljE_EEESV_SW_SX_S14_S18_S1A_T6_T7_T9_mT8_S1C_bDpT10_ENKUlT_T0_E_clISt17integral_constantIbLb1EES1O_IbLb0EEEEDaS1K_S1L_EUlS1K_E_NS1_11comp_targetILNS1_3genE4ELNS1_11target_archE910ELNS1_3gpuE8ELNS1_3repE0EEENS1_30default_config_static_selectorELNS0_4arch9wavefront6targetE1EEEvSY_
	.p2align	8
	.type	_ZN7rocprim17ROCPRIM_400000_NS6detail17trampoline_kernelINS0_13select_configILj256ELj13ELNS0_17block_load_methodE3ELS4_3ELS4_3ELNS0_20block_scan_algorithmE0ELj4294967295EEENS1_25partition_config_selectorILNS1_17partition_subalgoE3EjNS0_10empty_typeEbEEZZNS1_14partition_implILS8_3ELb0ES6_jNS0_17counting_iteratorIjlEEPS9_SE_NS0_5tupleIJPjSE_EEENSF_IJSE_SE_EEES9_SG_JZNS1_25segmented_radix_sort_implINS0_14default_configELb1EPKhPhPKlPlN2at6native12_GLOBAL__N_18offset_tEEE10hipError_tPvRmT1_PNSt15iterator_traitsISY_E10value_typeET2_T3_PNSZ_IS14_E10value_typeET4_jRbjT5_S1A_jjP12ihipStream_tbEUljE_EEESV_SW_SX_S14_S18_S1A_T6_T7_T9_mT8_S1C_bDpT10_ENKUlT_T0_E_clISt17integral_constantIbLb1EES1O_IbLb0EEEEDaS1K_S1L_EUlS1K_E_NS1_11comp_targetILNS1_3genE4ELNS1_11target_archE910ELNS1_3gpuE8ELNS1_3repE0EEENS1_30default_config_static_selectorELNS0_4arch9wavefront6targetE1EEEvSY_,@function
_ZN7rocprim17ROCPRIM_400000_NS6detail17trampoline_kernelINS0_13select_configILj256ELj13ELNS0_17block_load_methodE3ELS4_3ELS4_3ELNS0_20block_scan_algorithmE0ELj4294967295EEENS1_25partition_config_selectorILNS1_17partition_subalgoE3EjNS0_10empty_typeEbEEZZNS1_14partition_implILS8_3ELb0ES6_jNS0_17counting_iteratorIjlEEPS9_SE_NS0_5tupleIJPjSE_EEENSF_IJSE_SE_EEES9_SG_JZNS1_25segmented_radix_sort_implINS0_14default_configELb1EPKhPhPKlPlN2at6native12_GLOBAL__N_18offset_tEEE10hipError_tPvRmT1_PNSt15iterator_traitsISY_E10value_typeET2_T3_PNSZ_IS14_E10value_typeET4_jRbjT5_S1A_jjP12ihipStream_tbEUljE_EEESV_SW_SX_S14_S18_S1A_T6_T7_T9_mT8_S1C_bDpT10_ENKUlT_T0_E_clISt17integral_constantIbLb1EES1O_IbLb0EEEEDaS1K_S1L_EUlS1K_E_NS1_11comp_targetILNS1_3genE4ELNS1_11target_archE910ELNS1_3gpuE8ELNS1_3repE0EEENS1_30default_config_static_selectorELNS0_4arch9wavefront6targetE1EEEvSY_: ; @_ZN7rocprim17ROCPRIM_400000_NS6detail17trampoline_kernelINS0_13select_configILj256ELj13ELNS0_17block_load_methodE3ELS4_3ELS4_3ELNS0_20block_scan_algorithmE0ELj4294967295EEENS1_25partition_config_selectorILNS1_17partition_subalgoE3EjNS0_10empty_typeEbEEZZNS1_14partition_implILS8_3ELb0ES6_jNS0_17counting_iteratorIjlEEPS9_SE_NS0_5tupleIJPjSE_EEENSF_IJSE_SE_EEES9_SG_JZNS1_25segmented_radix_sort_implINS0_14default_configELb1EPKhPhPKlPlN2at6native12_GLOBAL__N_18offset_tEEE10hipError_tPvRmT1_PNSt15iterator_traitsISY_E10value_typeET2_T3_PNSZ_IS14_E10value_typeET4_jRbjT5_S1A_jjP12ihipStream_tbEUljE_EEESV_SW_SX_S14_S18_S1A_T6_T7_T9_mT8_S1C_bDpT10_ENKUlT_T0_E_clISt17integral_constantIbLb1EES1O_IbLb0EEEEDaS1K_S1L_EUlS1K_E_NS1_11comp_targetILNS1_3genE4ELNS1_11target_archE910ELNS1_3gpuE8ELNS1_3repE0EEENS1_30default_config_static_selectorELNS0_4arch9wavefront6targetE1EEEvSY_
; %bb.0:
	.section	.rodata,"a",@progbits
	.p2align	6, 0x0
	.amdhsa_kernel _ZN7rocprim17ROCPRIM_400000_NS6detail17trampoline_kernelINS0_13select_configILj256ELj13ELNS0_17block_load_methodE3ELS4_3ELS4_3ELNS0_20block_scan_algorithmE0ELj4294967295EEENS1_25partition_config_selectorILNS1_17partition_subalgoE3EjNS0_10empty_typeEbEEZZNS1_14partition_implILS8_3ELb0ES6_jNS0_17counting_iteratorIjlEEPS9_SE_NS0_5tupleIJPjSE_EEENSF_IJSE_SE_EEES9_SG_JZNS1_25segmented_radix_sort_implINS0_14default_configELb1EPKhPhPKlPlN2at6native12_GLOBAL__N_18offset_tEEE10hipError_tPvRmT1_PNSt15iterator_traitsISY_E10value_typeET2_T3_PNSZ_IS14_E10value_typeET4_jRbjT5_S1A_jjP12ihipStream_tbEUljE_EEESV_SW_SX_S14_S18_S1A_T6_T7_T9_mT8_S1C_bDpT10_ENKUlT_T0_E_clISt17integral_constantIbLb1EES1O_IbLb0EEEEDaS1K_S1L_EUlS1K_E_NS1_11comp_targetILNS1_3genE4ELNS1_11target_archE910ELNS1_3gpuE8ELNS1_3repE0EEENS1_30default_config_static_selectorELNS0_4arch9wavefront6targetE1EEEvSY_
		.amdhsa_group_segment_fixed_size 0
		.amdhsa_private_segment_fixed_size 0
		.amdhsa_kernarg_size 144
		.amdhsa_user_sgpr_count 6
		.amdhsa_user_sgpr_private_segment_buffer 1
		.amdhsa_user_sgpr_dispatch_ptr 0
		.amdhsa_user_sgpr_queue_ptr 0
		.amdhsa_user_sgpr_kernarg_segment_ptr 1
		.amdhsa_user_sgpr_dispatch_id 0
		.amdhsa_user_sgpr_flat_scratch_init 0
		.amdhsa_user_sgpr_private_segment_size 0
		.amdhsa_uses_dynamic_stack 0
		.amdhsa_system_sgpr_private_segment_wavefront_offset 0
		.amdhsa_system_sgpr_workgroup_id_x 1
		.amdhsa_system_sgpr_workgroup_id_y 0
		.amdhsa_system_sgpr_workgroup_id_z 0
		.amdhsa_system_sgpr_workgroup_info 0
		.amdhsa_system_vgpr_workitem_id 0
		.amdhsa_next_free_vgpr 1
		.amdhsa_next_free_sgpr 0
		.amdhsa_reserve_vcc 0
		.amdhsa_reserve_flat_scratch 0
		.amdhsa_float_round_mode_32 0
		.amdhsa_float_round_mode_16_64 0
		.amdhsa_float_denorm_mode_32 3
		.amdhsa_float_denorm_mode_16_64 3
		.amdhsa_dx10_clamp 1
		.amdhsa_ieee_mode 1
		.amdhsa_fp16_overflow 0
		.amdhsa_exception_fp_ieee_invalid_op 0
		.amdhsa_exception_fp_denorm_src 0
		.amdhsa_exception_fp_ieee_div_zero 0
		.amdhsa_exception_fp_ieee_overflow 0
		.amdhsa_exception_fp_ieee_underflow 0
		.amdhsa_exception_fp_ieee_inexact 0
		.amdhsa_exception_int_div_zero 0
	.end_amdhsa_kernel
	.section	.text._ZN7rocprim17ROCPRIM_400000_NS6detail17trampoline_kernelINS0_13select_configILj256ELj13ELNS0_17block_load_methodE3ELS4_3ELS4_3ELNS0_20block_scan_algorithmE0ELj4294967295EEENS1_25partition_config_selectorILNS1_17partition_subalgoE3EjNS0_10empty_typeEbEEZZNS1_14partition_implILS8_3ELb0ES6_jNS0_17counting_iteratorIjlEEPS9_SE_NS0_5tupleIJPjSE_EEENSF_IJSE_SE_EEES9_SG_JZNS1_25segmented_radix_sort_implINS0_14default_configELb1EPKhPhPKlPlN2at6native12_GLOBAL__N_18offset_tEEE10hipError_tPvRmT1_PNSt15iterator_traitsISY_E10value_typeET2_T3_PNSZ_IS14_E10value_typeET4_jRbjT5_S1A_jjP12ihipStream_tbEUljE_EEESV_SW_SX_S14_S18_S1A_T6_T7_T9_mT8_S1C_bDpT10_ENKUlT_T0_E_clISt17integral_constantIbLb1EES1O_IbLb0EEEEDaS1K_S1L_EUlS1K_E_NS1_11comp_targetILNS1_3genE4ELNS1_11target_archE910ELNS1_3gpuE8ELNS1_3repE0EEENS1_30default_config_static_selectorELNS0_4arch9wavefront6targetE1EEEvSY_,"axG",@progbits,_ZN7rocprim17ROCPRIM_400000_NS6detail17trampoline_kernelINS0_13select_configILj256ELj13ELNS0_17block_load_methodE3ELS4_3ELS4_3ELNS0_20block_scan_algorithmE0ELj4294967295EEENS1_25partition_config_selectorILNS1_17partition_subalgoE3EjNS0_10empty_typeEbEEZZNS1_14partition_implILS8_3ELb0ES6_jNS0_17counting_iteratorIjlEEPS9_SE_NS0_5tupleIJPjSE_EEENSF_IJSE_SE_EEES9_SG_JZNS1_25segmented_radix_sort_implINS0_14default_configELb1EPKhPhPKlPlN2at6native12_GLOBAL__N_18offset_tEEE10hipError_tPvRmT1_PNSt15iterator_traitsISY_E10value_typeET2_T3_PNSZ_IS14_E10value_typeET4_jRbjT5_S1A_jjP12ihipStream_tbEUljE_EEESV_SW_SX_S14_S18_S1A_T6_T7_T9_mT8_S1C_bDpT10_ENKUlT_T0_E_clISt17integral_constantIbLb1EES1O_IbLb0EEEEDaS1K_S1L_EUlS1K_E_NS1_11comp_targetILNS1_3genE4ELNS1_11target_archE910ELNS1_3gpuE8ELNS1_3repE0EEENS1_30default_config_static_selectorELNS0_4arch9wavefront6targetE1EEEvSY_,comdat
.Lfunc_end68:
	.size	_ZN7rocprim17ROCPRIM_400000_NS6detail17trampoline_kernelINS0_13select_configILj256ELj13ELNS0_17block_load_methodE3ELS4_3ELS4_3ELNS0_20block_scan_algorithmE0ELj4294967295EEENS1_25partition_config_selectorILNS1_17partition_subalgoE3EjNS0_10empty_typeEbEEZZNS1_14partition_implILS8_3ELb0ES6_jNS0_17counting_iteratorIjlEEPS9_SE_NS0_5tupleIJPjSE_EEENSF_IJSE_SE_EEES9_SG_JZNS1_25segmented_radix_sort_implINS0_14default_configELb1EPKhPhPKlPlN2at6native12_GLOBAL__N_18offset_tEEE10hipError_tPvRmT1_PNSt15iterator_traitsISY_E10value_typeET2_T3_PNSZ_IS14_E10value_typeET4_jRbjT5_S1A_jjP12ihipStream_tbEUljE_EEESV_SW_SX_S14_S18_S1A_T6_T7_T9_mT8_S1C_bDpT10_ENKUlT_T0_E_clISt17integral_constantIbLb1EES1O_IbLb0EEEEDaS1K_S1L_EUlS1K_E_NS1_11comp_targetILNS1_3genE4ELNS1_11target_archE910ELNS1_3gpuE8ELNS1_3repE0EEENS1_30default_config_static_selectorELNS0_4arch9wavefront6targetE1EEEvSY_, .Lfunc_end68-_ZN7rocprim17ROCPRIM_400000_NS6detail17trampoline_kernelINS0_13select_configILj256ELj13ELNS0_17block_load_methodE3ELS4_3ELS4_3ELNS0_20block_scan_algorithmE0ELj4294967295EEENS1_25partition_config_selectorILNS1_17partition_subalgoE3EjNS0_10empty_typeEbEEZZNS1_14partition_implILS8_3ELb0ES6_jNS0_17counting_iteratorIjlEEPS9_SE_NS0_5tupleIJPjSE_EEENSF_IJSE_SE_EEES9_SG_JZNS1_25segmented_radix_sort_implINS0_14default_configELb1EPKhPhPKlPlN2at6native12_GLOBAL__N_18offset_tEEE10hipError_tPvRmT1_PNSt15iterator_traitsISY_E10value_typeET2_T3_PNSZ_IS14_E10value_typeET4_jRbjT5_S1A_jjP12ihipStream_tbEUljE_EEESV_SW_SX_S14_S18_S1A_T6_T7_T9_mT8_S1C_bDpT10_ENKUlT_T0_E_clISt17integral_constantIbLb1EES1O_IbLb0EEEEDaS1K_S1L_EUlS1K_E_NS1_11comp_targetILNS1_3genE4ELNS1_11target_archE910ELNS1_3gpuE8ELNS1_3repE0EEENS1_30default_config_static_selectorELNS0_4arch9wavefront6targetE1EEEvSY_
                                        ; -- End function
	.set _ZN7rocprim17ROCPRIM_400000_NS6detail17trampoline_kernelINS0_13select_configILj256ELj13ELNS0_17block_load_methodE3ELS4_3ELS4_3ELNS0_20block_scan_algorithmE0ELj4294967295EEENS1_25partition_config_selectorILNS1_17partition_subalgoE3EjNS0_10empty_typeEbEEZZNS1_14partition_implILS8_3ELb0ES6_jNS0_17counting_iteratorIjlEEPS9_SE_NS0_5tupleIJPjSE_EEENSF_IJSE_SE_EEES9_SG_JZNS1_25segmented_radix_sort_implINS0_14default_configELb1EPKhPhPKlPlN2at6native12_GLOBAL__N_18offset_tEEE10hipError_tPvRmT1_PNSt15iterator_traitsISY_E10value_typeET2_T3_PNSZ_IS14_E10value_typeET4_jRbjT5_S1A_jjP12ihipStream_tbEUljE_EEESV_SW_SX_S14_S18_S1A_T6_T7_T9_mT8_S1C_bDpT10_ENKUlT_T0_E_clISt17integral_constantIbLb1EES1O_IbLb0EEEEDaS1K_S1L_EUlS1K_E_NS1_11comp_targetILNS1_3genE4ELNS1_11target_archE910ELNS1_3gpuE8ELNS1_3repE0EEENS1_30default_config_static_selectorELNS0_4arch9wavefront6targetE1EEEvSY_.num_vgpr, 0
	.set _ZN7rocprim17ROCPRIM_400000_NS6detail17trampoline_kernelINS0_13select_configILj256ELj13ELNS0_17block_load_methodE3ELS4_3ELS4_3ELNS0_20block_scan_algorithmE0ELj4294967295EEENS1_25partition_config_selectorILNS1_17partition_subalgoE3EjNS0_10empty_typeEbEEZZNS1_14partition_implILS8_3ELb0ES6_jNS0_17counting_iteratorIjlEEPS9_SE_NS0_5tupleIJPjSE_EEENSF_IJSE_SE_EEES9_SG_JZNS1_25segmented_radix_sort_implINS0_14default_configELb1EPKhPhPKlPlN2at6native12_GLOBAL__N_18offset_tEEE10hipError_tPvRmT1_PNSt15iterator_traitsISY_E10value_typeET2_T3_PNSZ_IS14_E10value_typeET4_jRbjT5_S1A_jjP12ihipStream_tbEUljE_EEESV_SW_SX_S14_S18_S1A_T6_T7_T9_mT8_S1C_bDpT10_ENKUlT_T0_E_clISt17integral_constantIbLb1EES1O_IbLb0EEEEDaS1K_S1L_EUlS1K_E_NS1_11comp_targetILNS1_3genE4ELNS1_11target_archE910ELNS1_3gpuE8ELNS1_3repE0EEENS1_30default_config_static_selectorELNS0_4arch9wavefront6targetE1EEEvSY_.num_agpr, 0
	.set _ZN7rocprim17ROCPRIM_400000_NS6detail17trampoline_kernelINS0_13select_configILj256ELj13ELNS0_17block_load_methodE3ELS4_3ELS4_3ELNS0_20block_scan_algorithmE0ELj4294967295EEENS1_25partition_config_selectorILNS1_17partition_subalgoE3EjNS0_10empty_typeEbEEZZNS1_14partition_implILS8_3ELb0ES6_jNS0_17counting_iteratorIjlEEPS9_SE_NS0_5tupleIJPjSE_EEENSF_IJSE_SE_EEES9_SG_JZNS1_25segmented_radix_sort_implINS0_14default_configELb1EPKhPhPKlPlN2at6native12_GLOBAL__N_18offset_tEEE10hipError_tPvRmT1_PNSt15iterator_traitsISY_E10value_typeET2_T3_PNSZ_IS14_E10value_typeET4_jRbjT5_S1A_jjP12ihipStream_tbEUljE_EEESV_SW_SX_S14_S18_S1A_T6_T7_T9_mT8_S1C_bDpT10_ENKUlT_T0_E_clISt17integral_constantIbLb1EES1O_IbLb0EEEEDaS1K_S1L_EUlS1K_E_NS1_11comp_targetILNS1_3genE4ELNS1_11target_archE910ELNS1_3gpuE8ELNS1_3repE0EEENS1_30default_config_static_selectorELNS0_4arch9wavefront6targetE1EEEvSY_.numbered_sgpr, 0
	.set _ZN7rocprim17ROCPRIM_400000_NS6detail17trampoline_kernelINS0_13select_configILj256ELj13ELNS0_17block_load_methodE3ELS4_3ELS4_3ELNS0_20block_scan_algorithmE0ELj4294967295EEENS1_25partition_config_selectorILNS1_17partition_subalgoE3EjNS0_10empty_typeEbEEZZNS1_14partition_implILS8_3ELb0ES6_jNS0_17counting_iteratorIjlEEPS9_SE_NS0_5tupleIJPjSE_EEENSF_IJSE_SE_EEES9_SG_JZNS1_25segmented_radix_sort_implINS0_14default_configELb1EPKhPhPKlPlN2at6native12_GLOBAL__N_18offset_tEEE10hipError_tPvRmT1_PNSt15iterator_traitsISY_E10value_typeET2_T3_PNSZ_IS14_E10value_typeET4_jRbjT5_S1A_jjP12ihipStream_tbEUljE_EEESV_SW_SX_S14_S18_S1A_T6_T7_T9_mT8_S1C_bDpT10_ENKUlT_T0_E_clISt17integral_constantIbLb1EES1O_IbLb0EEEEDaS1K_S1L_EUlS1K_E_NS1_11comp_targetILNS1_3genE4ELNS1_11target_archE910ELNS1_3gpuE8ELNS1_3repE0EEENS1_30default_config_static_selectorELNS0_4arch9wavefront6targetE1EEEvSY_.num_named_barrier, 0
	.set _ZN7rocprim17ROCPRIM_400000_NS6detail17trampoline_kernelINS0_13select_configILj256ELj13ELNS0_17block_load_methodE3ELS4_3ELS4_3ELNS0_20block_scan_algorithmE0ELj4294967295EEENS1_25partition_config_selectorILNS1_17partition_subalgoE3EjNS0_10empty_typeEbEEZZNS1_14partition_implILS8_3ELb0ES6_jNS0_17counting_iteratorIjlEEPS9_SE_NS0_5tupleIJPjSE_EEENSF_IJSE_SE_EEES9_SG_JZNS1_25segmented_radix_sort_implINS0_14default_configELb1EPKhPhPKlPlN2at6native12_GLOBAL__N_18offset_tEEE10hipError_tPvRmT1_PNSt15iterator_traitsISY_E10value_typeET2_T3_PNSZ_IS14_E10value_typeET4_jRbjT5_S1A_jjP12ihipStream_tbEUljE_EEESV_SW_SX_S14_S18_S1A_T6_T7_T9_mT8_S1C_bDpT10_ENKUlT_T0_E_clISt17integral_constantIbLb1EES1O_IbLb0EEEEDaS1K_S1L_EUlS1K_E_NS1_11comp_targetILNS1_3genE4ELNS1_11target_archE910ELNS1_3gpuE8ELNS1_3repE0EEENS1_30default_config_static_selectorELNS0_4arch9wavefront6targetE1EEEvSY_.private_seg_size, 0
	.set _ZN7rocprim17ROCPRIM_400000_NS6detail17trampoline_kernelINS0_13select_configILj256ELj13ELNS0_17block_load_methodE3ELS4_3ELS4_3ELNS0_20block_scan_algorithmE0ELj4294967295EEENS1_25partition_config_selectorILNS1_17partition_subalgoE3EjNS0_10empty_typeEbEEZZNS1_14partition_implILS8_3ELb0ES6_jNS0_17counting_iteratorIjlEEPS9_SE_NS0_5tupleIJPjSE_EEENSF_IJSE_SE_EEES9_SG_JZNS1_25segmented_radix_sort_implINS0_14default_configELb1EPKhPhPKlPlN2at6native12_GLOBAL__N_18offset_tEEE10hipError_tPvRmT1_PNSt15iterator_traitsISY_E10value_typeET2_T3_PNSZ_IS14_E10value_typeET4_jRbjT5_S1A_jjP12ihipStream_tbEUljE_EEESV_SW_SX_S14_S18_S1A_T6_T7_T9_mT8_S1C_bDpT10_ENKUlT_T0_E_clISt17integral_constantIbLb1EES1O_IbLb0EEEEDaS1K_S1L_EUlS1K_E_NS1_11comp_targetILNS1_3genE4ELNS1_11target_archE910ELNS1_3gpuE8ELNS1_3repE0EEENS1_30default_config_static_selectorELNS0_4arch9wavefront6targetE1EEEvSY_.uses_vcc, 0
	.set _ZN7rocprim17ROCPRIM_400000_NS6detail17trampoline_kernelINS0_13select_configILj256ELj13ELNS0_17block_load_methodE3ELS4_3ELS4_3ELNS0_20block_scan_algorithmE0ELj4294967295EEENS1_25partition_config_selectorILNS1_17partition_subalgoE3EjNS0_10empty_typeEbEEZZNS1_14partition_implILS8_3ELb0ES6_jNS0_17counting_iteratorIjlEEPS9_SE_NS0_5tupleIJPjSE_EEENSF_IJSE_SE_EEES9_SG_JZNS1_25segmented_radix_sort_implINS0_14default_configELb1EPKhPhPKlPlN2at6native12_GLOBAL__N_18offset_tEEE10hipError_tPvRmT1_PNSt15iterator_traitsISY_E10value_typeET2_T3_PNSZ_IS14_E10value_typeET4_jRbjT5_S1A_jjP12ihipStream_tbEUljE_EEESV_SW_SX_S14_S18_S1A_T6_T7_T9_mT8_S1C_bDpT10_ENKUlT_T0_E_clISt17integral_constantIbLb1EES1O_IbLb0EEEEDaS1K_S1L_EUlS1K_E_NS1_11comp_targetILNS1_3genE4ELNS1_11target_archE910ELNS1_3gpuE8ELNS1_3repE0EEENS1_30default_config_static_selectorELNS0_4arch9wavefront6targetE1EEEvSY_.uses_flat_scratch, 0
	.set _ZN7rocprim17ROCPRIM_400000_NS6detail17trampoline_kernelINS0_13select_configILj256ELj13ELNS0_17block_load_methodE3ELS4_3ELS4_3ELNS0_20block_scan_algorithmE0ELj4294967295EEENS1_25partition_config_selectorILNS1_17partition_subalgoE3EjNS0_10empty_typeEbEEZZNS1_14partition_implILS8_3ELb0ES6_jNS0_17counting_iteratorIjlEEPS9_SE_NS0_5tupleIJPjSE_EEENSF_IJSE_SE_EEES9_SG_JZNS1_25segmented_radix_sort_implINS0_14default_configELb1EPKhPhPKlPlN2at6native12_GLOBAL__N_18offset_tEEE10hipError_tPvRmT1_PNSt15iterator_traitsISY_E10value_typeET2_T3_PNSZ_IS14_E10value_typeET4_jRbjT5_S1A_jjP12ihipStream_tbEUljE_EEESV_SW_SX_S14_S18_S1A_T6_T7_T9_mT8_S1C_bDpT10_ENKUlT_T0_E_clISt17integral_constantIbLb1EES1O_IbLb0EEEEDaS1K_S1L_EUlS1K_E_NS1_11comp_targetILNS1_3genE4ELNS1_11target_archE910ELNS1_3gpuE8ELNS1_3repE0EEENS1_30default_config_static_selectorELNS0_4arch9wavefront6targetE1EEEvSY_.has_dyn_sized_stack, 0
	.set _ZN7rocprim17ROCPRIM_400000_NS6detail17trampoline_kernelINS0_13select_configILj256ELj13ELNS0_17block_load_methodE3ELS4_3ELS4_3ELNS0_20block_scan_algorithmE0ELj4294967295EEENS1_25partition_config_selectorILNS1_17partition_subalgoE3EjNS0_10empty_typeEbEEZZNS1_14partition_implILS8_3ELb0ES6_jNS0_17counting_iteratorIjlEEPS9_SE_NS0_5tupleIJPjSE_EEENSF_IJSE_SE_EEES9_SG_JZNS1_25segmented_radix_sort_implINS0_14default_configELb1EPKhPhPKlPlN2at6native12_GLOBAL__N_18offset_tEEE10hipError_tPvRmT1_PNSt15iterator_traitsISY_E10value_typeET2_T3_PNSZ_IS14_E10value_typeET4_jRbjT5_S1A_jjP12ihipStream_tbEUljE_EEESV_SW_SX_S14_S18_S1A_T6_T7_T9_mT8_S1C_bDpT10_ENKUlT_T0_E_clISt17integral_constantIbLb1EES1O_IbLb0EEEEDaS1K_S1L_EUlS1K_E_NS1_11comp_targetILNS1_3genE4ELNS1_11target_archE910ELNS1_3gpuE8ELNS1_3repE0EEENS1_30default_config_static_selectorELNS0_4arch9wavefront6targetE1EEEvSY_.has_recursion, 0
	.set _ZN7rocprim17ROCPRIM_400000_NS6detail17trampoline_kernelINS0_13select_configILj256ELj13ELNS0_17block_load_methodE3ELS4_3ELS4_3ELNS0_20block_scan_algorithmE0ELj4294967295EEENS1_25partition_config_selectorILNS1_17partition_subalgoE3EjNS0_10empty_typeEbEEZZNS1_14partition_implILS8_3ELb0ES6_jNS0_17counting_iteratorIjlEEPS9_SE_NS0_5tupleIJPjSE_EEENSF_IJSE_SE_EEES9_SG_JZNS1_25segmented_radix_sort_implINS0_14default_configELb1EPKhPhPKlPlN2at6native12_GLOBAL__N_18offset_tEEE10hipError_tPvRmT1_PNSt15iterator_traitsISY_E10value_typeET2_T3_PNSZ_IS14_E10value_typeET4_jRbjT5_S1A_jjP12ihipStream_tbEUljE_EEESV_SW_SX_S14_S18_S1A_T6_T7_T9_mT8_S1C_bDpT10_ENKUlT_T0_E_clISt17integral_constantIbLb1EES1O_IbLb0EEEEDaS1K_S1L_EUlS1K_E_NS1_11comp_targetILNS1_3genE4ELNS1_11target_archE910ELNS1_3gpuE8ELNS1_3repE0EEENS1_30default_config_static_selectorELNS0_4arch9wavefront6targetE1EEEvSY_.has_indirect_call, 0
	.section	.AMDGPU.csdata,"",@progbits
; Kernel info:
; codeLenInByte = 0
; TotalNumSgprs: 4
; NumVgprs: 0
; ScratchSize: 0
; MemoryBound: 0
; FloatMode: 240
; IeeeMode: 1
; LDSByteSize: 0 bytes/workgroup (compile time only)
; SGPRBlocks: 0
; VGPRBlocks: 0
; NumSGPRsForWavesPerEU: 4
; NumVGPRsForWavesPerEU: 1
; Occupancy: 10
; WaveLimiterHint : 0
; COMPUTE_PGM_RSRC2:SCRATCH_EN: 0
; COMPUTE_PGM_RSRC2:USER_SGPR: 6
; COMPUTE_PGM_RSRC2:TRAP_HANDLER: 0
; COMPUTE_PGM_RSRC2:TGID_X_EN: 1
; COMPUTE_PGM_RSRC2:TGID_Y_EN: 0
; COMPUTE_PGM_RSRC2:TGID_Z_EN: 0
; COMPUTE_PGM_RSRC2:TIDIG_COMP_CNT: 0
	.section	.text._ZN7rocprim17ROCPRIM_400000_NS6detail17trampoline_kernelINS0_13select_configILj256ELj13ELNS0_17block_load_methodE3ELS4_3ELS4_3ELNS0_20block_scan_algorithmE0ELj4294967295EEENS1_25partition_config_selectorILNS1_17partition_subalgoE3EjNS0_10empty_typeEbEEZZNS1_14partition_implILS8_3ELb0ES6_jNS0_17counting_iteratorIjlEEPS9_SE_NS0_5tupleIJPjSE_EEENSF_IJSE_SE_EEES9_SG_JZNS1_25segmented_radix_sort_implINS0_14default_configELb1EPKhPhPKlPlN2at6native12_GLOBAL__N_18offset_tEEE10hipError_tPvRmT1_PNSt15iterator_traitsISY_E10value_typeET2_T3_PNSZ_IS14_E10value_typeET4_jRbjT5_S1A_jjP12ihipStream_tbEUljE_EEESV_SW_SX_S14_S18_S1A_T6_T7_T9_mT8_S1C_bDpT10_ENKUlT_T0_E_clISt17integral_constantIbLb1EES1O_IbLb0EEEEDaS1K_S1L_EUlS1K_E_NS1_11comp_targetILNS1_3genE3ELNS1_11target_archE908ELNS1_3gpuE7ELNS1_3repE0EEENS1_30default_config_static_selectorELNS0_4arch9wavefront6targetE1EEEvSY_,"axG",@progbits,_ZN7rocprim17ROCPRIM_400000_NS6detail17trampoline_kernelINS0_13select_configILj256ELj13ELNS0_17block_load_methodE3ELS4_3ELS4_3ELNS0_20block_scan_algorithmE0ELj4294967295EEENS1_25partition_config_selectorILNS1_17partition_subalgoE3EjNS0_10empty_typeEbEEZZNS1_14partition_implILS8_3ELb0ES6_jNS0_17counting_iteratorIjlEEPS9_SE_NS0_5tupleIJPjSE_EEENSF_IJSE_SE_EEES9_SG_JZNS1_25segmented_radix_sort_implINS0_14default_configELb1EPKhPhPKlPlN2at6native12_GLOBAL__N_18offset_tEEE10hipError_tPvRmT1_PNSt15iterator_traitsISY_E10value_typeET2_T3_PNSZ_IS14_E10value_typeET4_jRbjT5_S1A_jjP12ihipStream_tbEUljE_EEESV_SW_SX_S14_S18_S1A_T6_T7_T9_mT8_S1C_bDpT10_ENKUlT_T0_E_clISt17integral_constantIbLb1EES1O_IbLb0EEEEDaS1K_S1L_EUlS1K_E_NS1_11comp_targetILNS1_3genE3ELNS1_11target_archE908ELNS1_3gpuE7ELNS1_3repE0EEENS1_30default_config_static_selectorELNS0_4arch9wavefront6targetE1EEEvSY_,comdat
	.globl	_ZN7rocprim17ROCPRIM_400000_NS6detail17trampoline_kernelINS0_13select_configILj256ELj13ELNS0_17block_load_methodE3ELS4_3ELS4_3ELNS0_20block_scan_algorithmE0ELj4294967295EEENS1_25partition_config_selectorILNS1_17partition_subalgoE3EjNS0_10empty_typeEbEEZZNS1_14partition_implILS8_3ELb0ES6_jNS0_17counting_iteratorIjlEEPS9_SE_NS0_5tupleIJPjSE_EEENSF_IJSE_SE_EEES9_SG_JZNS1_25segmented_radix_sort_implINS0_14default_configELb1EPKhPhPKlPlN2at6native12_GLOBAL__N_18offset_tEEE10hipError_tPvRmT1_PNSt15iterator_traitsISY_E10value_typeET2_T3_PNSZ_IS14_E10value_typeET4_jRbjT5_S1A_jjP12ihipStream_tbEUljE_EEESV_SW_SX_S14_S18_S1A_T6_T7_T9_mT8_S1C_bDpT10_ENKUlT_T0_E_clISt17integral_constantIbLb1EES1O_IbLb0EEEEDaS1K_S1L_EUlS1K_E_NS1_11comp_targetILNS1_3genE3ELNS1_11target_archE908ELNS1_3gpuE7ELNS1_3repE0EEENS1_30default_config_static_selectorELNS0_4arch9wavefront6targetE1EEEvSY_ ; -- Begin function _ZN7rocprim17ROCPRIM_400000_NS6detail17trampoline_kernelINS0_13select_configILj256ELj13ELNS0_17block_load_methodE3ELS4_3ELS4_3ELNS0_20block_scan_algorithmE0ELj4294967295EEENS1_25partition_config_selectorILNS1_17partition_subalgoE3EjNS0_10empty_typeEbEEZZNS1_14partition_implILS8_3ELb0ES6_jNS0_17counting_iteratorIjlEEPS9_SE_NS0_5tupleIJPjSE_EEENSF_IJSE_SE_EEES9_SG_JZNS1_25segmented_radix_sort_implINS0_14default_configELb1EPKhPhPKlPlN2at6native12_GLOBAL__N_18offset_tEEE10hipError_tPvRmT1_PNSt15iterator_traitsISY_E10value_typeET2_T3_PNSZ_IS14_E10value_typeET4_jRbjT5_S1A_jjP12ihipStream_tbEUljE_EEESV_SW_SX_S14_S18_S1A_T6_T7_T9_mT8_S1C_bDpT10_ENKUlT_T0_E_clISt17integral_constantIbLb1EES1O_IbLb0EEEEDaS1K_S1L_EUlS1K_E_NS1_11comp_targetILNS1_3genE3ELNS1_11target_archE908ELNS1_3gpuE7ELNS1_3repE0EEENS1_30default_config_static_selectorELNS0_4arch9wavefront6targetE1EEEvSY_
	.p2align	8
	.type	_ZN7rocprim17ROCPRIM_400000_NS6detail17trampoline_kernelINS0_13select_configILj256ELj13ELNS0_17block_load_methodE3ELS4_3ELS4_3ELNS0_20block_scan_algorithmE0ELj4294967295EEENS1_25partition_config_selectorILNS1_17partition_subalgoE3EjNS0_10empty_typeEbEEZZNS1_14partition_implILS8_3ELb0ES6_jNS0_17counting_iteratorIjlEEPS9_SE_NS0_5tupleIJPjSE_EEENSF_IJSE_SE_EEES9_SG_JZNS1_25segmented_radix_sort_implINS0_14default_configELb1EPKhPhPKlPlN2at6native12_GLOBAL__N_18offset_tEEE10hipError_tPvRmT1_PNSt15iterator_traitsISY_E10value_typeET2_T3_PNSZ_IS14_E10value_typeET4_jRbjT5_S1A_jjP12ihipStream_tbEUljE_EEESV_SW_SX_S14_S18_S1A_T6_T7_T9_mT8_S1C_bDpT10_ENKUlT_T0_E_clISt17integral_constantIbLb1EES1O_IbLb0EEEEDaS1K_S1L_EUlS1K_E_NS1_11comp_targetILNS1_3genE3ELNS1_11target_archE908ELNS1_3gpuE7ELNS1_3repE0EEENS1_30default_config_static_selectorELNS0_4arch9wavefront6targetE1EEEvSY_,@function
_ZN7rocprim17ROCPRIM_400000_NS6detail17trampoline_kernelINS0_13select_configILj256ELj13ELNS0_17block_load_methodE3ELS4_3ELS4_3ELNS0_20block_scan_algorithmE0ELj4294967295EEENS1_25partition_config_selectorILNS1_17partition_subalgoE3EjNS0_10empty_typeEbEEZZNS1_14partition_implILS8_3ELb0ES6_jNS0_17counting_iteratorIjlEEPS9_SE_NS0_5tupleIJPjSE_EEENSF_IJSE_SE_EEES9_SG_JZNS1_25segmented_radix_sort_implINS0_14default_configELb1EPKhPhPKlPlN2at6native12_GLOBAL__N_18offset_tEEE10hipError_tPvRmT1_PNSt15iterator_traitsISY_E10value_typeET2_T3_PNSZ_IS14_E10value_typeET4_jRbjT5_S1A_jjP12ihipStream_tbEUljE_EEESV_SW_SX_S14_S18_S1A_T6_T7_T9_mT8_S1C_bDpT10_ENKUlT_T0_E_clISt17integral_constantIbLb1EES1O_IbLb0EEEEDaS1K_S1L_EUlS1K_E_NS1_11comp_targetILNS1_3genE3ELNS1_11target_archE908ELNS1_3gpuE7ELNS1_3repE0EEENS1_30default_config_static_selectorELNS0_4arch9wavefront6targetE1EEEvSY_: ; @_ZN7rocprim17ROCPRIM_400000_NS6detail17trampoline_kernelINS0_13select_configILj256ELj13ELNS0_17block_load_methodE3ELS4_3ELS4_3ELNS0_20block_scan_algorithmE0ELj4294967295EEENS1_25partition_config_selectorILNS1_17partition_subalgoE3EjNS0_10empty_typeEbEEZZNS1_14partition_implILS8_3ELb0ES6_jNS0_17counting_iteratorIjlEEPS9_SE_NS0_5tupleIJPjSE_EEENSF_IJSE_SE_EEES9_SG_JZNS1_25segmented_radix_sort_implINS0_14default_configELb1EPKhPhPKlPlN2at6native12_GLOBAL__N_18offset_tEEE10hipError_tPvRmT1_PNSt15iterator_traitsISY_E10value_typeET2_T3_PNSZ_IS14_E10value_typeET4_jRbjT5_S1A_jjP12ihipStream_tbEUljE_EEESV_SW_SX_S14_S18_S1A_T6_T7_T9_mT8_S1C_bDpT10_ENKUlT_T0_E_clISt17integral_constantIbLb1EES1O_IbLb0EEEEDaS1K_S1L_EUlS1K_E_NS1_11comp_targetILNS1_3genE3ELNS1_11target_archE908ELNS1_3gpuE7ELNS1_3repE0EEENS1_30default_config_static_selectorELNS0_4arch9wavefront6targetE1EEEvSY_
; %bb.0:
	.section	.rodata,"a",@progbits
	.p2align	6, 0x0
	.amdhsa_kernel _ZN7rocprim17ROCPRIM_400000_NS6detail17trampoline_kernelINS0_13select_configILj256ELj13ELNS0_17block_load_methodE3ELS4_3ELS4_3ELNS0_20block_scan_algorithmE0ELj4294967295EEENS1_25partition_config_selectorILNS1_17partition_subalgoE3EjNS0_10empty_typeEbEEZZNS1_14partition_implILS8_3ELb0ES6_jNS0_17counting_iteratorIjlEEPS9_SE_NS0_5tupleIJPjSE_EEENSF_IJSE_SE_EEES9_SG_JZNS1_25segmented_radix_sort_implINS0_14default_configELb1EPKhPhPKlPlN2at6native12_GLOBAL__N_18offset_tEEE10hipError_tPvRmT1_PNSt15iterator_traitsISY_E10value_typeET2_T3_PNSZ_IS14_E10value_typeET4_jRbjT5_S1A_jjP12ihipStream_tbEUljE_EEESV_SW_SX_S14_S18_S1A_T6_T7_T9_mT8_S1C_bDpT10_ENKUlT_T0_E_clISt17integral_constantIbLb1EES1O_IbLb0EEEEDaS1K_S1L_EUlS1K_E_NS1_11comp_targetILNS1_3genE3ELNS1_11target_archE908ELNS1_3gpuE7ELNS1_3repE0EEENS1_30default_config_static_selectorELNS0_4arch9wavefront6targetE1EEEvSY_
		.amdhsa_group_segment_fixed_size 0
		.amdhsa_private_segment_fixed_size 0
		.amdhsa_kernarg_size 144
		.amdhsa_user_sgpr_count 6
		.amdhsa_user_sgpr_private_segment_buffer 1
		.amdhsa_user_sgpr_dispatch_ptr 0
		.amdhsa_user_sgpr_queue_ptr 0
		.amdhsa_user_sgpr_kernarg_segment_ptr 1
		.amdhsa_user_sgpr_dispatch_id 0
		.amdhsa_user_sgpr_flat_scratch_init 0
		.amdhsa_user_sgpr_private_segment_size 0
		.amdhsa_uses_dynamic_stack 0
		.amdhsa_system_sgpr_private_segment_wavefront_offset 0
		.amdhsa_system_sgpr_workgroup_id_x 1
		.amdhsa_system_sgpr_workgroup_id_y 0
		.amdhsa_system_sgpr_workgroup_id_z 0
		.amdhsa_system_sgpr_workgroup_info 0
		.amdhsa_system_vgpr_workitem_id 0
		.amdhsa_next_free_vgpr 1
		.amdhsa_next_free_sgpr 0
		.amdhsa_reserve_vcc 0
		.amdhsa_reserve_flat_scratch 0
		.amdhsa_float_round_mode_32 0
		.amdhsa_float_round_mode_16_64 0
		.amdhsa_float_denorm_mode_32 3
		.amdhsa_float_denorm_mode_16_64 3
		.amdhsa_dx10_clamp 1
		.amdhsa_ieee_mode 1
		.amdhsa_fp16_overflow 0
		.amdhsa_exception_fp_ieee_invalid_op 0
		.amdhsa_exception_fp_denorm_src 0
		.amdhsa_exception_fp_ieee_div_zero 0
		.amdhsa_exception_fp_ieee_overflow 0
		.amdhsa_exception_fp_ieee_underflow 0
		.amdhsa_exception_fp_ieee_inexact 0
		.amdhsa_exception_int_div_zero 0
	.end_amdhsa_kernel
	.section	.text._ZN7rocprim17ROCPRIM_400000_NS6detail17trampoline_kernelINS0_13select_configILj256ELj13ELNS0_17block_load_methodE3ELS4_3ELS4_3ELNS0_20block_scan_algorithmE0ELj4294967295EEENS1_25partition_config_selectorILNS1_17partition_subalgoE3EjNS0_10empty_typeEbEEZZNS1_14partition_implILS8_3ELb0ES6_jNS0_17counting_iteratorIjlEEPS9_SE_NS0_5tupleIJPjSE_EEENSF_IJSE_SE_EEES9_SG_JZNS1_25segmented_radix_sort_implINS0_14default_configELb1EPKhPhPKlPlN2at6native12_GLOBAL__N_18offset_tEEE10hipError_tPvRmT1_PNSt15iterator_traitsISY_E10value_typeET2_T3_PNSZ_IS14_E10value_typeET4_jRbjT5_S1A_jjP12ihipStream_tbEUljE_EEESV_SW_SX_S14_S18_S1A_T6_T7_T9_mT8_S1C_bDpT10_ENKUlT_T0_E_clISt17integral_constantIbLb1EES1O_IbLb0EEEEDaS1K_S1L_EUlS1K_E_NS1_11comp_targetILNS1_3genE3ELNS1_11target_archE908ELNS1_3gpuE7ELNS1_3repE0EEENS1_30default_config_static_selectorELNS0_4arch9wavefront6targetE1EEEvSY_,"axG",@progbits,_ZN7rocprim17ROCPRIM_400000_NS6detail17trampoline_kernelINS0_13select_configILj256ELj13ELNS0_17block_load_methodE3ELS4_3ELS4_3ELNS0_20block_scan_algorithmE0ELj4294967295EEENS1_25partition_config_selectorILNS1_17partition_subalgoE3EjNS0_10empty_typeEbEEZZNS1_14partition_implILS8_3ELb0ES6_jNS0_17counting_iteratorIjlEEPS9_SE_NS0_5tupleIJPjSE_EEENSF_IJSE_SE_EEES9_SG_JZNS1_25segmented_radix_sort_implINS0_14default_configELb1EPKhPhPKlPlN2at6native12_GLOBAL__N_18offset_tEEE10hipError_tPvRmT1_PNSt15iterator_traitsISY_E10value_typeET2_T3_PNSZ_IS14_E10value_typeET4_jRbjT5_S1A_jjP12ihipStream_tbEUljE_EEESV_SW_SX_S14_S18_S1A_T6_T7_T9_mT8_S1C_bDpT10_ENKUlT_T0_E_clISt17integral_constantIbLb1EES1O_IbLb0EEEEDaS1K_S1L_EUlS1K_E_NS1_11comp_targetILNS1_3genE3ELNS1_11target_archE908ELNS1_3gpuE7ELNS1_3repE0EEENS1_30default_config_static_selectorELNS0_4arch9wavefront6targetE1EEEvSY_,comdat
.Lfunc_end69:
	.size	_ZN7rocprim17ROCPRIM_400000_NS6detail17trampoline_kernelINS0_13select_configILj256ELj13ELNS0_17block_load_methodE3ELS4_3ELS4_3ELNS0_20block_scan_algorithmE0ELj4294967295EEENS1_25partition_config_selectorILNS1_17partition_subalgoE3EjNS0_10empty_typeEbEEZZNS1_14partition_implILS8_3ELb0ES6_jNS0_17counting_iteratorIjlEEPS9_SE_NS0_5tupleIJPjSE_EEENSF_IJSE_SE_EEES9_SG_JZNS1_25segmented_radix_sort_implINS0_14default_configELb1EPKhPhPKlPlN2at6native12_GLOBAL__N_18offset_tEEE10hipError_tPvRmT1_PNSt15iterator_traitsISY_E10value_typeET2_T3_PNSZ_IS14_E10value_typeET4_jRbjT5_S1A_jjP12ihipStream_tbEUljE_EEESV_SW_SX_S14_S18_S1A_T6_T7_T9_mT8_S1C_bDpT10_ENKUlT_T0_E_clISt17integral_constantIbLb1EES1O_IbLb0EEEEDaS1K_S1L_EUlS1K_E_NS1_11comp_targetILNS1_3genE3ELNS1_11target_archE908ELNS1_3gpuE7ELNS1_3repE0EEENS1_30default_config_static_selectorELNS0_4arch9wavefront6targetE1EEEvSY_, .Lfunc_end69-_ZN7rocprim17ROCPRIM_400000_NS6detail17trampoline_kernelINS0_13select_configILj256ELj13ELNS0_17block_load_methodE3ELS4_3ELS4_3ELNS0_20block_scan_algorithmE0ELj4294967295EEENS1_25partition_config_selectorILNS1_17partition_subalgoE3EjNS0_10empty_typeEbEEZZNS1_14partition_implILS8_3ELb0ES6_jNS0_17counting_iteratorIjlEEPS9_SE_NS0_5tupleIJPjSE_EEENSF_IJSE_SE_EEES9_SG_JZNS1_25segmented_radix_sort_implINS0_14default_configELb1EPKhPhPKlPlN2at6native12_GLOBAL__N_18offset_tEEE10hipError_tPvRmT1_PNSt15iterator_traitsISY_E10value_typeET2_T3_PNSZ_IS14_E10value_typeET4_jRbjT5_S1A_jjP12ihipStream_tbEUljE_EEESV_SW_SX_S14_S18_S1A_T6_T7_T9_mT8_S1C_bDpT10_ENKUlT_T0_E_clISt17integral_constantIbLb1EES1O_IbLb0EEEEDaS1K_S1L_EUlS1K_E_NS1_11comp_targetILNS1_3genE3ELNS1_11target_archE908ELNS1_3gpuE7ELNS1_3repE0EEENS1_30default_config_static_selectorELNS0_4arch9wavefront6targetE1EEEvSY_
                                        ; -- End function
	.set _ZN7rocprim17ROCPRIM_400000_NS6detail17trampoline_kernelINS0_13select_configILj256ELj13ELNS0_17block_load_methodE3ELS4_3ELS4_3ELNS0_20block_scan_algorithmE0ELj4294967295EEENS1_25partition_config_selectorILNS1_17partition_subalgoE3EjNS0_10empty_typeEbEEZZNS1_14partition_implILS8_3ELb0ES6_jNS0_17counting_iteratorIjlEEPS9_SE_NS0_5tupleIJPjSE_EEENSF_IJSE_SE_EEES9_SG_JZNS1_25segmented_radix_sort_implINS0_14default_configELb1EPKhPhPKlPlN2at6native12_GLOBAL__N_18offset_tEEE10hipError_tPvRmT1_PNSt15iterator_traitsISY_E10value_typeET2_T3_PNSZ_IS14_E10value_typeET4_jRbjT5_S1A_jjP12ihipStream_tbEUljE_EEESV_SW_SX_S14_S18_S1A_T6_T7_T9_mT8_S1C_bDpT10_ENKUlT_T0_E_clISt17integral_constantIbLb1EES1O_IbLb0EEEEDaS1K_S1L_EUlS1K_E_NS1_11comp_targetILNS1_3genE3ELNS1_11target_archE908ELNS1_3gpuE7ELNS1_3repE0EEENS1_30default_config_static_selectorELNS0_4arch9wavefront6targetE1EEEvSY_.num_vgpr, 0
	.set _ZN7rocprim17ROCPRIM_400000_NS6detail17trampoline_kernelINS0_13select_configILj256ELj13ELNS0_17block_load_methodE3ELS4_3ELS4_3ELNS0_20block_scan_algorithmE0ELj4294967295EEENS1_25partition_config_selectorILNS1_17partition_subalgoE3EjNS0_10empty_typeEbEEZZNS1_14partition_implILS8_3ELb0ES6_jNS0_17counting_iteratorIjlEEPS9_SE_NS0_5tupleIJPjSE_EEENSF_IJSE_SE_EEES9_SG_JZNS1_25segmented_radix_sort_implINS0_14default_configELb1EPKhPhPKlPlN2at6native12_GLOBAL__N_18offset_tEEE10hipError_tPvRmT1_PNSt15iterator_traitsISY_E10value_typeET2_T3_PNSZ_IS14_E10value_typeET4_jRbjT5_S1A_jjP12ihipStream_tbEUljE_EEESV_SW_SX_S14_S18_S1A_T6_T7_T9_mT8_S1C_bDpT10_ENKUlT_T0_E_clISt17integral_constantIbLb1EES1O_IbLb0EEEEDaS1K_S1L_EUlS1K_E_NS1_11comp_targetILNS1_3genE3ELNS1_11target_archE908ELNS1_3gpuE7ELNS1_3repE0EEENS1_30default_config_static_selectorELNS0_4arch9wavefront6targetE1EEEvSY_.num_agpr, 0
	.set _ZN7rocprim17ROCPRIM_400000_NS6detail17trampoline_kernelINS0_13select_configILj256ELj13ELNS0_17block_load_methodE3ELS4_3ELS4_3ELNS0_20block_scan_algorithmE0ELj4294967295EEENS1_25partition_config_selectorILNS1_17partition_subalgoE3EjNS0_10empty_typeEbEEZZNS1_14partition_implILS8_3ELb0ES6_jNS0_17counting_iteratorIjlEEPS9_SE_NS0_5tupleIJPjSE_EEENSF_IJSE_SE_EEES9_SG_JZNS1_25segmented_radix_sort_implINS0_14default_configELb1EPKhPhPKlPlN2at6native12_GLOBAL__N_18offset_tEEE10hipError_tPvRmT1_PNSt15iterator_traitsISY_E10value_typeET2_T3_PNSZ_IS14_E10value_typeET4_jRbjT5_S1A_jjP12ihipStream_tbEUljE_EEESV_SW_SX_S14_S18_S1A_T6_T7_T9_mT8_S1C_bDpT10_ENKUlT_T0_E_clISt17integral_constantIbLb1EES1O_IbLb0EEEEDaS1K_S1L_EUlS1K_E_NS1_11comp_targetILNS1_3genE3ELNS1_11target_archE908ELNS1_3gpuE7ELNS1_3repE0EEENS1_30default_config_static_selectorELNS0_4arch9wavefront6targetE1EEEvSY_.numbered_sgpr, 0
	.set _ZN7rocprim17ROCPRIM_400000_NS6detail17trampoline_kernelINS0_13select_configILj256ELj13ELNS0_17block_load_methodE3ELS4_3ELS4_3ELNS0_20block_scan_algorithmE0ELj4294967295EEENS1_25partition_config_selectorILNS1_17partition_subalgoE3EjNS0_10empty_typeEbEEZZNS1_14partition_implILS8_3ELb0ES6_jNS0_17counting_iteratorIjlEEPS9_SE_NS0_5tupleIJPjSE_EEENSF_IJSE_SE_EEES9_SG_JZNS1_25segmented_radix_sort_implINS0_14default_configELb1EPKhPhPKlPlN2at6native12_GLOBAL__N_18offset_tEEE10hipError_tPvRmT1_PNSt15iterator_traitsISY_E10value_typeET2_T3_PNSZ_IS14_E10value_typeET4_jRbjT5_S1A_jjP12ihipStream_tbEUljE_EEESV_SW_SX_S14_S18_S1A_T6_T7_T9_mT8_S1C_bDpT10_ENKUlT_T0_E_clISt17integral_constantIbLb1EES1O_IbLb0EEEEDaS1K_S1L_EUlS1K_E_NS1_11comp_targetILNS1_3genE3ELNS1_11target_archE908ELNS1_3gpuE7ELNS1_3repE0EEENS1_30default_config_static_selectorELNS0_4arch9wavefront6targetE1EEEvSY_.num_named_barrier, 0
	.set _ZN7rocprim17ROCPRIM_400000_NS6detail17trampoline_kernelINS0_13select_configILj256ELj13ELNS0_17block_load_methodE3ELS4_3ELS4_3ELNS0_20block_scan_algorithmE0ELj4294967295EEENS1_25partition_config_selectorILNS1_17partition_subalgoE3EjNS0_10empty_typeEbEEZZNS1_14partition_implILS8_3ELb0ES6_jNS0_17counting_iteratorIjlEEPS9_SE_NS0_5tupleIJPjSE_EEENSF_IJSE_SE_EEES9_SG_JZNS1_25segmented_radix_sort_implINS0_14default_configELb1EPKhPhPKlPlN2at6native12_GLOBAL__N_18offset_tEEE10hipError_tPvRmT1_PNSt15iterator_traitsISY_E10value_typeET2_T3_PNSZ_IS14_E10value_typeET4_jRbjT5_S1A_jjP12ihipStream_tbEUljE_EEESV_SW_SX_S14_S18_S1A_T6_T7_T9_mT8_S1C_bDpT10_ENKUlT_T0_E_clISt17integral_constantIbLb1EES1O_IbLb0EEEEDaS1K_S1L_EUlS1K_E_NS1_11comp_targetILNS1_3genE3ELNS1_11target_archE908ELNS1_3gpuE7ELNS1_3repE0EEENS1_30default_config_static_selectorELNS0_4arch9wavefront6targetE1EEEvSY_.private_seg_size, 0
	.set _ZN7rocprim17ROCPRIM_400000_NS6detail17trampoline_kernelINS0_13select_configILj256ELj13ELNS0_17block_load_methodE3ELS4_3ELS4_3ELNS0_20block_scan_algorithmE0ELj4294967295EEENS1_25partition_config_selectorILNS1_17partition_subalgoE3EjNS0_10empty_typeEbEEZZNS1_14partition_implILS8_3ELb0ES6_jNS0_17counting_iteratorIjlEEPS9_SE_NS0_5tupleIJPjSE_EEENSF_IJSE_SE_EEES9_SG_JZNS1_25segmented_radix_sort_implINS0_14default_configELb1EPKhPhPKlPlN2at6native12_GLOBAL__N_18offset_tEEE10hipError_tPvRmT1_PNSt15iterator_traitsISY_E10value_typeET2_T3_PNSZ_IS14_E10value_typeET4_jRbjT5_S1A_jjP12ihipStream_tbEUljE_EEESV_SW_SX_S14_S18_S1A_T6_T7_T9_mT8_S1C_bDpT10_ENKUlT_T0_E_clISt17integral_constantIbLb1EES1O_IbLb0EEEEDaS1K_S1L_EUlS1K_E_NS1_11comp_targetILNS1_3genE3ELNS1_11target_archE908ELNS1_3gpuE7ELNS1_3repE0EEENS1_30default_config_static_selectorELNS0_4arch9wavefront6targetE1EEEvSY_.uses_vcc, 0
	.set _ZN7rocprim17ROCPRIM_400000_NS6detail17trampoline_kernelINS0_13select_configILj256ELj13ELNS0_17block_load_methodE3ELS4_3ELS4_3ELNS0_20block_scan_algorithmE0ELj4294967295EEENS1_25partition_config_selectorILNS1_17partition_subalgoE3EjNS0_10empty_typeEbEEZZNS1_14partition_implILS8_3ELb0ES6_jNS0_17counting_iteratorIjlEEPS9_SE_NS0_5tupleIJPjSE_EEENSF_IJSE_SE_EEES9_SG_JZNS1_25segmented_radix_sort_implINS0_14default_configELb1EPKhPhPKlPlN2at6native12_GLOBAL__N_18offset_tEEE10hipError_tPvRmT1_PNSt15iterator_traitsISY_E10value_typeET2_T3_PNSZ_IS14_E10value_typeET4_jRbjT5_S1A_jjP12ihipStream_tbEUljE_EEESV_SW_SX_S14_S18_S1A_T6_T7_T9_mT8_S1C_bDpT10_ENKUlT_T0_E_clISt17integral_constantIbLb1EES1O_IbLb0EEEEDaS1K_S1L_EUlS1K_E_NS1_11comp_targetILNS1_3genE3ELNS1_11target_archE908ELNS1_3gpuE7ELNS1_3repE0EEENS1_30default_config_static_selectorELNS0_4arch9wavefront6targetE1EEEvSY_.uses_flat_scratch, 0
	.set _ZN7rocprim17ROCPRIM_400000_NS6detail17trampoline_kernelINS0_13select_configILj256ELj13ELNS0_17block_load_methodE3ELS4_3ELS4_3ELNS0_20block_scan_algorithmE0ELj4294967295EEENS1_25partition_config_selectorILNS1_17partition_subalgoE3EjNS0_10empty_typeEbEEZZNS1_14partition_implILS8_3ELb0ES6_jNS0_17counting_iteratorIjlEEPS9_SE_NS0_5tupleIJPjSE_EEENSF_IJSE_SE_EEES9_SG_JZNS1_25segmented_radix_sort_implINS0_14default_configELb1EPKhPhPKlPlN2at6native12_GLOBAL__N_18offset_tEEE10hipError_tPvRmT1_PNSt15iterator_traitsISY_E10value_typeET2_T3_PNSZ_IS14_E10value_typeET4_jRbjT5_S1A_jjP12ihipStream_tbEUljE_EEESV_SW_SX_S14_S18_S1A_T6_T7_T9_mT8_S1C_bDpT10_ENKUlT_T0_E_clISt17integral_constantIbLb1EES1O_IbLb0EEEEDaS1K_S1L_EUlS1K_E_NS1_11comp_targetILNS1_3genE3ELNS1_11target_archE908ELNS1_3gpuE7ELNS1_3repE0EEENS1_30default_config_static_selectorELNS0_4arch9wavefront6targetE1EEEvSY_.has_dyn_sized_stack, 0
	.set _ZN7rocprim17ROCPRIM_400000_NS6detail17trampoline_kernelINS0_13select_configILj256ELj13ELNS0_17block_load_methodE3ELS4_3ELS4_3ELNS0_20block_scan_algorithmE0ELj4294967295EEENS1_25partition_config_selectorILNS1_17partition_subalgoE3EjNS0_10empty_typeEbEEZZNS1_14partition_implILS8_3ELb0ES6_jNS0_17counting_iteratorIjlEEPS9_SE_NS0_5tupleIJPjSE_EEENSF_IJSE_SE_EEES9_SG_JZNS1_25segmented_radix_sort_implINS0_14default_configELb1EPKhPhPKlPlN2at6native12_GLOBAL__N_18offset_tEEE10hipError_tPvRmT1_PNSt15iterator_traitsISY_E10value_typeET2_T3_PNSZ_IS14_E10value_typeET4_jRbjT5_S1A_jjP12ihipStream_tbEUljE_EEESV_SW_SX_S14_S18_S1A_T6_T7_T9_mT8_S1C_bDpT10_ENKUlT_T0_E_clISt17integral_constantIbLb1EES1O_IbLb0EEEEDaS1K_S1L_EUlS1K_E_NS1_11comp_targetILNS1_3genE3ELNS1_11target_archE908ELNS1_3gpuE7ELNS1_3repE0EEENS1_30default_config_static_selectorELNS0_4arch9wavefront6targetE1EEEvSY_.has_recursion, 0
	.set _ZN7rocprim17ROCPRIM_400000_NS6detail17trampoline_kernelINS0_13select_configILj256ELj13ELNS0_17block_load_methodE3ELS4_3ELS4_3ELNS0_20block_scan_algorithmE0ELj4294967295EEENS1_25partition_config_selectorILNS1_17partition_subalgoE3EjNS0_10empty_typeEbEEZZNS1_14partition_implILS8_3ELb0ES6_jNS0_17counting_iteratorIjlEEPS9_SE_NS0_5tupleIJPjSE_EEENSF_IJSE_SE_EEES9_SG_JZNS1_25segmented_radix_sort_implINS0_14default_configELb1EPKhPhPKlPlN2at6native12_GLOBAL__N_18offset_tEEE10hipError_tPvRmT1_PNSt15iterator_traitsISY_E10value_typeET2_T3_PNSZ_IS14_E10value_typeET4_jRbjT5_S1A_jjP12ihipStream_tbEUljE_EEESV_SW_SX_S14_S18_S1A_T6_T7_T9_mT8_S1C_bDpT10_ENKUlT_T0_E_clISt17integral_constantIbLb1EES1O_IbLb0EEEEDaS1K_S1L_EUlS1K_E_NS1_11comp_targetILNS1_3genE3ELNS1_11target_archE908ELNS1_3gpuE7ELNS1_3repE0EEENS1_30default_config_static_selectorELNS0_4arch9wavefront6targetE1EEEvSY_.has_indirect_call, 0
	.section	.AMDGPU.csdata,"",@progbits
; Kernel info:
; codeLenInByte = 0
; TotalNumSgprs: 4
; NumVgprs: 0
; ScratchSize: 0
; MemoryBound: 0
; FloatMode: 240
; IeeeMode: 1
; LDSByteSize: 0 bytes/workgroup (compile time only)
; SGPRBlocks: 0
; VGPRBlocks: 0
; NumSGPRsForWavesPerEU: 4
; NumVGPRsForWavesPerEU: 1
; Occupancy: 10
; WaveLimiterHint : 0
; COMPUTE_PGM_RSRC2:SCRATCH_EN: 0
; COMPUTE_PGM_RSRC2:USER_SGPR: 6
; COMPUTE_PGM_RSRC2:TRAP_HANDLER: 0
; COMPUTE_PGM_RSRC2:TGID_X_EN: 1
; COMPUTE_PGM_RSRC2:TGID_Y_EN: 0
; COMPUTE_PGM_RSRC2:TGID_Z_EN: 0
; COMPUTE_PGM_RSRC2:TIDIG_COMP_CNT: 0
	.section	.text._ZN7rocprim17ROCPRIM_400000_NS6detail17trampoline_kernelINS0_13select_configILj256ELj13ELNS0_17block_load_methodE3ELS4_3ELS4_3ELNS0_20block_scan_algorithmE0ELj4294967295EEENS1_25partition_config_selectorILNS1_17partition_subalgoE3EjNS0_10empty_typeEbEEZZNS1_14partition_implILS8_3ELb0ES6_jNS0_17counting_iteratorIjlEEPS9_SE_NS0_5tupleIJPjSE_EEENSF_IJSE_SE_EEES9_SG_JZNS1_25segmented_radix_sort_implINS0_14default_configELb1EPKhPhPKlPlN2at6native12_GLOBAL__N_18offset_tEEE10hipError_tPvRmT1_PNSt15iterator_traitsISY_E10value_typeET2_T3_PNSZ_IS14_E10value_typeET4_jRbjT5_S1A_jjP12ihipStream_tbEUljE_EEESV_SW_SX_S14_S18_S1A_T6_T7_T9_mT8_S1C_bDpT10_ENKUlT_T0_E_clISt17integral_constantIbLb1EES1O_IbLb0EEEEDaS1K_S1L_EUlS1K_E_NS1_11comp_targetILNS1_3genE2ELNS1_11target_archE906ELNS1_3gpuE6ELNS1_3repE0EEENS1_30default_config_static_selectorELNS0_4arch9wavefront6targetE1EEEvSY_,"axG",@progbits,_ZN7rocprim17ROCPRIM_400000_NS6detail17trampoline_kernelINS0_13select_configILj256ELj13ELNS0_17block_load_methodE3ELS4_3ELS4_3ELNS0_20block_scan_algorithmE0ELj4294967295EEENS1_25partition_config_selectorILNS1_17partition_subalgoE3EjNS0_10empty_typeEbEEZZNS1_14partition_implILS8_3ELb0ES6_jNS0_17counting_iteratorIjlEEPS9_SE_NS0_5tupleIJPjSE_EEENSF_IJSE_SE_EEES9_SG_JZNS1_25segmented_radix_sort_implINS0_14default_configELb1EPKhPhPKlPlN2at6native12_GLOBAL__N_18offset_tEEE10hipError_tPvRmT1_PNSt15iterator_traitsISY_E10value_typeET2_T3_PNSZ_IS14_E10value_typeET4_jRbjT5_S1A_jjP12ihipStream_tbEUljE_EEESV_SW_SX_S14_S18_S1A_T6_T7_T9_mT8_S1C_bDpT10_ENKUlT_T0_E_clISt17integral_constantIbLb1EES1O_IbLb0EEEEDaS1K_S1L_EUlS1K_E_NS1_11comp_targetILNS1_3genE2ELNS1_11target_archE906ELNS1_3gpuE6ELNS1_3repE0EEENS1_30default_config_static_selectorELNS0_4arch9wavefront6targetE1EEEvSY_,comdat
	.globl	_ZN7rocprim17ROCPRIM_400000_NS6detail17trampoline_kernelINS0_13select_configILj256ELj13ELNS0_17block_load_methodE3ELS4_3ELS4_3ELNS0_20block_scan_algorithmE0ELj4294967295EEENS1_25partition_config_selectorILNS1_17partition_subalgoE3EjNS0_10empty_typeEbEEZZNS1_14partition_implILS8_3ELb0ES6_jNS0_17counting_iteratorIjlEEPS9_SE_NS0_5tupleIJPjSE_EEENSF_IJSE_SE_EEES9_SG_JZNS1_25segmented_radix_sort_implINS0_14default_configELb1EPKhPhPKlPlN2at6native12_GLOBAL__N_18offset_tEEE10hipError_tPvRmT1_PNSt15iterator_traitsISY_E10value_typeET2_T3_PNSZ_IS14_E10value_typeET4_jRbjT5_S1A_jjP12ihipStream_tbEUljE_EEESV_SW_SX_S14_S18_S1A_T6_T7_T9_mT8_S1C_bDpT10_ENKUlT_T0_E_clISt17integral_constantIbLb1EES1O_IbLb0EEEEDaS1K_S1L_EUlS1K_E_NS1_11comp_targetILNS1_3genE2ELNS1_11target_archE906ELNS1_3gpuE6ELNS1_3repE0EEENS1_30default_config_static_selectorELNS0_4arch9wavefront6targetE1EEEvSY_ ; -- Begin function _ZN7rocprim17ROCPRIM_400000_NS6detail17trampoline_kernelINS0_13select_configILj256ELj13ELNS0_17block_load_methodE3ELS4_3ELS4_3ELNS0_20block_scan_algorithmE0ELj4294967295EEENS1_25partition_config_selectorILNS1_17partition_subalgoE3EjNS0_10empty_typeEbEEZZNS1_14partition_implILS8_3ELb0ES6_jNS0_17counting_iteratorIjlEEPS9_SE_NS0_5tupleIJPjSE_EEENSF_IJSE_SE_EEES9_SG_JZNS1_25segmented_radix_sort_implINS0_14default_configELb1EPKhPhPKlPlN2at6native12_GLOBAL__N_18offset_tEEE10hipError_tPvRmT1_PNSt15iterator_traitsISY_E10value_typeET2_T3_PNSZ_IS14_E10value_typeET4_jRbjT5_S1A_jjP12ihipStream_tbEUljE_EEESV_SW_SX_S14_S18_S1A_T6_T7_T9_mT8_S1C_bDpT10_ENKUlT_T0_E_clISt17integral_constantIbLb1EES1O_IbLb0EEEEDaS1K_S1L_EUlS1K_E_NS1_11comp_targetILNS1_3genE2ELNS1_11target_archE906ELNS1_3gpuE6ELNS1_3repE0EEENS1_30default_config_static_selectorELNS0_4arch9wavefront6targetE1EEEvSY_
	.p2align	8
	.type	_ZN7rocprim17ROCPRIM_400000_NS6detail17trampoline_kernelINS0_13select_configILj256ELj13ELNS0_17block_load_methodE3ELS4_3ELS4_3ELNS0_20block_scan_algorithmE0ELj4294967295EEENS1_25partition_config_selectorILNS1_17partition_subalgoE3EjNS0_10empty_typeEbEEZZNS1_14partition_implILS8_3ELb0ES6_jNS0_17counting_iteratorIjlEEPS9_SE_NS0_5tupleIJPjSE_EEENSF_IJSE_SE_EEES9_SG_JZNS1_25segmented_radix_sort_implINS0_14default_configELb1EPKhPhPKlPlN2at6native12_GLOBAL__N_18offset_tEEE10hipError_tPvRmT1_PNSt15iterator_traitsISY_E10value_typeET2_T3_PNSZ_IS14_E10value_typeET4_jRbjT5_S1A_jjP12ihipStream_tbEUljE_EEESV_SW_SX_S14_S18_S1A_T6_T7_T9_mT8_S1C_bDpT10_ENKUlT_T0_E_clISt17integral_constantIbLb1EES1O_IbLb0EEEEDaS1K_S1L_EUlS1K_E_NS1_11comp_targetILNS1_3genE2ELNS1_11target_archE906ELNS1_3gpuE6ELNS1_3repE0EEENS1_30default_config_static_selectorELNS0_4arch9wavefront6targetE1EEEvSY_,@function
_ZN7rocprim17ROCPRIM_400000_NS6detail17trampoline_kernelINS0_13select_configILj256ELj13ELNS0_17block_load_methodE3ELS4_3ELS4_3ELNS0_20block_scan_algorithmE0ELj4294967295EEENS1_25partition_config_selectorILNS1_17partition_subalgoE3EjNS0_10empty_typeEbEEZZNS1_14partition_implILS8_3ELb0ES6_jNS0_17counting_iteratorIjlEEPS9_SE_NS0_5tupleIJPjSE_EEENSF_IJSE_SE_EEES9_SG_JZNS1_25segmented_radix_sort_implINS0_14default_configELb1EPKhPhPKlPlN2at6native12_GLOBAL__N_18offset_tEEE10hipError_tPvRmT1_PNSt15iterator_traitsISY_E10value_typeET2_T3_PNSZ_IS14_E10value_typeET4_jRbjT5_S1A_jjP12ihipStream_tbEUljE_EEESV_SW_SX_S14_S18_S1A_T6_T7_T9_mT8_S1C_bDpT10_ENKUlT_T0_E_clISt17integral_constantIbLb1EES1O_IbLb0EEEEDaS1K_S1L_EUlS1K_E_NS1_11comp_targetILNS1_3genE2ELNS1_11target_archE906ELNS1_3gpuE6ELNS1_3repE0EEENS1_30default_config_static_selectorELNS0_4arch9wavefront6targetE1EEEvSY_: ; @_ZN7rocprim17ROCPRIM_400000_NS6detail17trampoline_kernelINS0_13select_configILj256ELj13ELNS0_17block_load_methodE3ELS4_3ELS4_3ELNS0_20block_scan_algorithmE0ELj4294967295EEENS1_25partition_config_selectorILNS1_17partition_subalgoE3EjNS0_10empty_typeEbEEZZNS1_14partition_implILS8_3ELb0ES6_jNS0_17counting_iteratorIjlEEPS9_SE_NS0_5tupleIJPjSE_EEENSF_IJSE_SE_EEES9_SG_JZNS1_25segmented_radix_sort_implINS0_14default_configELb1EPKhPhPKlPlN2at6native12_GLOBAL__N_18offset_tEEE10hipError_tPvRmT1_PNSt15iterator_traitsISY_E10value_typeET2_T3_PNSZ_IS14_E10value_typeET4_jRbjT5_S1A_jjP12ihipStream_tbEUljE_EEESV_SW_SX_S14_S18_S1A_T6_T7_T9_mT8_S1C_bDpT10_ENKUlT_T0_E_clISt17integral_constantIbLb1EES1O_IbLb0EEEEDaS1K_S1L_EUlS1K_E_NS1_11comp_targetILNS1_3genE2ELNS1_11target_archE906ELNS1_3gpuE6ELNS1_3repE0EEENS1_30default_config_static_selectorELNS0_4arch9wavefront6targetE1EEEvSY_
; %bb.0:
	s_endpgm
	.section	.rodata,"a",@progbits
	.p2align	6, 0x0
	.amdhsa_kernel _ZN7rocprim17ROCPRIM_400000_NS6detail17trampoline_kernelINS0_13select_configILj256ELj13ELNS0_17block_load_methodE3ELS4_3ELS4_3ELNS0_20block_scan_algorithmE0ELj4294967295EEENS1_25partition_config_selectorILNS1_17partition_subalgoE3EjNS0_10empty_typeEbEEZZNS1_14partition_implILS8_3ELb0ES6_jNS0_17counting_iteratorIjlEEPS9_SE_NS0_5tupleIJPjSE_EEENSF_IJSE_SE_EEES9_SG_JZNS1_25segmented_radix_sort_implINS0_14default_configELb1EPKhPhPKlPlN2at6native12_GLOBAL__N_18offset_tEEE10hipError_tPvRmT1_PNSt15iterator_traitsISY_E10value_typeET2_T3_PNSZ_IS14_E10value_typeET4_jRbjT5_S1A_jjP12ihipStream_tbEUljE_EEESV_SW_SX_S14_S18_S1A_T6_T7_T9_mT8_S1C_bDpT10_ENKUlT_T0_E_clISt17integral_constantIbLb1EES1O_IbLb0EEEEDaS1K_S1L_EUlS1K_E_NS1_11comp_targetILNS1_3genE2ELNS1_11target_archE906ELNS1_3gpuE6ELNS1_3repE0EEENS1_30default_config_static_selectorELNS0_4arch9wavefront6targetE1EEEvSY_
		.amdhsa_group_segment_fixed_size 0
		.amdhsa_private_segment_fixed_size 0
		.amdhsa_kernarg_size 144
		.amdhsa_user_sgpr_count 6
		.amdhsa_user_sgpr_private_segment_buffer 1
		.amdhsa_user_sgpr_dispatch_ptr 0
		.amdhsa_user_sgpr_queue_ptr 0
		.amdhsa_user_sgpr_kernarg_segment_ptr 1
		.amdhsa_user_sgpr_dispatch_id 0
		.amdhsa_user_sgpr_flat_scratch_init 0
		.amdhsa_user_sgpr_private_segment_size 0
		.amdhsa_uses_dynamic_stack 0
		.amdhsa_system_sgpr_private_segment_wavefront_offset 0
		.amdhsa_system_sgpr_workgroup_id_x 1
		.amdhsa_system_sgpr_workgroup_id_y 0
		.amdhsa_system_sgpr_workgroup_id_z 0
		.amdhsa_system_sgpr_workgroup_info 0
		.amdhsa_system_vgpr_workitem_id 0
		.amdhsa_next_free_vgpr 1
		.amdhsa_next_free_sgpr 0
		.amdhsa_reserve_vcc 0
		.amdhsa_reserve_flat_scratch 0
		.amdhsa_float_round_mode_32 0
		.amdhsa_float_round_mode_16_64 0
		.amdhsa_float_denorm_mode_32 3
		.amdhsa_float_denorm_mode_16_64 3
		.amdhsa_dx10_clamp 1
		.amdhsa_ieee_mode 1
		.amdhsa_fp16_overflow 0
		.amdhsa_exception_fp_ieee_invalid_op 0
		.amdhsa_exception_fp_denorm_src 0
		.amdhsa_exception_fp_ieee_div_zero 0
		.amdhsa_exception_fp_ieee_overflow 0
		.amdhsa_exception_fp_ieee_underflow 0
		.amdhsa_exception_fp_ieee_inexact 0
		.amdhsa_exception_int_div_zero 0
	.end_amdhsa_kernel
	.section	.text._ZN7rocprim17ROCPRIM_400000_NS6detail17trampoline_kernelINS0_13select_configILj256ELj13ELNS0_17block_load_methodE3ELS4_3ELS4_3ELNS0_20block_scan_algorithmE0ELj4294967295EEENS1_25partition_config_selectorILNS1_17partition_subalgoE3EjNS0_10empty_typeEbEEZZNS1_14partition_implILS8_3ELb0ES6_jNS0_17counting_iteratorIjlEEPS9_SE_NS0_5tupleIJPjSE_EEENSF_IJSE_SE_EEES9_SG_JZNS1_25segmented_radix_sort_implINS0_14default_configELb1EPKhPhPKlPlN2at6native12_GLOBAL__N_18offset_tEEE10hipError_tPvRmT1_PNSt15iterator_traitsISY_E10value_typeET2_T3_PNSZ_IS14_E10value_typeET4_jRbjT5_S1A_jjP12ihipStream_tbEUljE_EEESV_SW_SX_S14_S18_S1A_T6_T7_T9_mT8_S1C_bDpT10_ENKUlT_T0_E_clISt17integral_constantIbLb1EES1O_IbLb0EEEEDaS1K_S1L_EUlS1K_E_NS1_11comp_targetILNS1_3genE2ELNS1_11target_archE906ELNS1_3gpuE6ELNS1_3repE0EEENS1_30default_config_static_selectorELNS0_4arch9wavefront6targetE1EEEvSY_,"axG",@progbits,_ZN7rocprim17ROCPRIM_400000_NS6detail17trampoline_kernelINS0_13select_configILj256ELj13ELNS0_17block_load_methodE3ELS4_3ELS4_3ELNS0_20block_scan_algorithmE0ELj4294967295EEENS1_25partition_config_selectorILNS1_17partition_subalgoE3EjNS0_10empty_typeEbEEZZNS1_14partition_implILS8_3ELb0ES6_jNS0_17counting_iteratorIjlEEPS9_SE_NS0_5tupleIJPjSE_EEENSF_IJSE_SE_EEES9_SG_JZNS1_25segmented_radix_sort_implINS0_14default_configELb1EPKhPhPKlPlN2at6native12_GLOBAL__N_18offset_tEEE10hipError_tPvRmT1_PNSt15iterator_traitsISY_E10value_typeET2_T3_PNSZ_IS14_E10value_typeET4_jRbjT5_S1A_jjP12ihipStream_tbEUljE_EEESV_SW_SX_S14_S18_S1A_T6_T7_T9_mT8_S1C_bDpT10_ENKUlT_T0_E_clISt17integral_constantIbLb1EES1O_IbLb0EEEEDaS1K_S1L_EUlS1K_E_NS1_11comp_targetILNS1_3genE2ELNS1_11target_archE906ELNS1_3gpuE6ELNS1_3repE0EEENS1_30default_config_static_selectorELNS0_4arch9wavefront6targetE1EEEvSY_,comdat
.Lfunc_end70:
	.size	_ZN7rocprim17ROCPRIM_400000_NS6detail17trampoline_kernelINS0_13select_configILj256ELj13ELNS0_17block_load_methodE3ELS4_3ELS4_3ELNS0_20block_scan_algorithmE0ELj4294967295EEENS1_25partition_config_selectorILNS1_17partition_subalgoE3EjNS0_10empty_typeEbEEZZNS1_14partition_implILS8_3ELb0ES6_jNS0_17counting_iteratorIjlEEPS9_SE_NS0_5tupleIJPjSE_EEENSF_IJSE_SE_EEES9_SG_JZNS1_25segmented_radix_sort_implINS0_14default_configELb1EPKhPhPKlPlN2at6native12_GLOBAL__N_18offset_tEEE10hipError_tPvRmT1_PNSt15iterator_traitsISY_E10value_typeET2_T3_PNSZ_IS14_E10value_typeET4_jRbjT5_S1A_jjP12ihipStream_tbEUljE_EEESV_SW_SX_S14_S18_S1A_T6_T7_T9_mT8_S1C_bDpT10_ENKUlT_T0_E_clISt17integral_constantIbLb1EES1O_IbLb0EEEEDaS1K_S1L_EUlS1K_E_NS1_11comp_targetILNS1_3genE2ELNS1_11target_archE906ELNS1_3gpuE6ELNS1_3repE0EEENS1_30default_config_static_selectorELNS0_4arch9wavefront6targetE1EEEvSY_, .Lfunc_end70-_ZN7rocprim17ROCPRIM_400000_NS6detail17trampoline_kernelINS0_13select_configILj256ELj13ELNS0_17block_load_methodE3ELS4_3ELS4_3ELNS0_20block_scan_algorithmE0ELj4294967295EEENS1_25partition_config_selectorILNS1_17partition_subalgoE3EjNS0_10empty_typeEbEEZZNS1_14partition_implILS8_3ELb0ES6_jNS0_17counting_iteratorIjlEEPS9_SE_NS0_5tupleIJPjSE_EEENSF_IJSE_SE_EEES9_SG_JZNS1_25segmented_radix_sort_implINS0_14default_configELb1EPKhPhPKlPlN2at6native12_GLOBAL__N_18offset_tEEE10hipError_tPvRmT1_PNSt15iterator_traitsISY_E10value_typeET2_T3_PNSZ_IS14_E10value_typeET4_jRbjT5_S1A_jjP12ihipStream_tbEUljE_EEESV_SW_SX_S14_S18_S1A_T6_T7_T9_mT8_S1C_bDpT10_ENKUlT_T0_E_clISt17integral_constantIbLb1EES1O_IbLb0EEEEDaS1K_S1L_EUlS1K_E_NS1_11comp_targetILNS1_3genE2ELNS1_11target_archE906ELNS1_3gpuE6ELNS1_3repE0EEENS1_30default_config_static_selectorELNS0_4arch9wavefront6targetE1EEEvSY_
                                        ; -- End function
	.set _ZN7rocprim17ROCPRIM_400000_NS6detail17trampoline_kernelINS0_13select_configILj256ELj13ELNS0_17block_load_methodE3ELS4_3ELS4_3ELNS0_20block_scan_algorithmE0ELj4294967295EEENS1_25partition_config_selectorILNS1_17partition_subalgoE3EjNS0_10empty_typeEbEEZZNS1_14partition_implILS8_3ELb0ES6_jNS0_17counting_iteratorIjlEEPS9_SE_NS0_5tupleIJPjSE_EEENSF_IJSE_SE_EEES9_SG_JZNS1_25segmented_radix_sort_implINS0_14default_configELb1EPKhPhPKlPlN2at6native12_GLOBAL__N_18offset_tEEE10hipError_tPvRmT1_PNSt15iterator_traitsISY_E10value_typeET2_T3_PNSZ_IS14_E10value_typeET4_jRbjT5_S1A_jjP12ihipStream_tbEUljE_EEESV_SW_SX_S14_S18_S1A_T6_T7_T9_mT8_S1C_bDpT10_ENKUlT_T0_E_clISt17integral_constantIbLb1EES1O_IbLb0EEEEDaS1K_S1L_EUlS1K_E_NS1_11comp_targetILNS1_3genE2ELNS1_11target_archE906ELNS1_3gpuE6ELNS1_3repE0EEENS1_30default_config_static_selectorELNS0_4arch9wavefront6targetE1EEEvSY_.num_vgpr, 0
	.set _ZN7rocprim17ROCPRIM_400000_NS6detail17trampoline_kernelINS0_13select_configILj256ELj13ELNS0_17block_load_methodE3ELS4_3ELS4_3ELNS0_20block_scan_algorithmE0ELj4294967295EEENS1_25partition_config_selectorILNS1_17partition_subalgoE3EjNS0_10empty_typeEbEEZZNS1_14partition_implILS8_3ELb0ES6_jNS0_17counting_iteratorIjlEEPS9_SE_NS0_5tupleIJPjSE_EEENSF_IJSE_SE_EEES9_SG_JZNS1_25segmented_radix_sort_implINS0_14default_configELb1EPKhPhPKlPlN2at6native12_GLOBAL__N_18offset_tEEE10hipError_tPvRmT1_PNSt15iterator_traitsISY_E10value_typeET2_T3_PNSZ_IS14_E10value_typeET4_jRbjT5_S1A_jjP12ihipStream_tbEUljE_EEESV_SW_SX_S14_S18_S1A_T6_T7_T9_mT8_S1C_bDpT10_ENKUlT_T0_E_clISt17integral_constantIbLb1EES1O_IbLb0EEEEDaS1K_S1L_EUlS1K_E_NS1_11comp_targetILNS1_3genE2ELNS1_11target_archE906ELNS1_3gpuE6ELNS1_3repE0EEENS1_30default_config_static_selectorELNS0_4arch9wavefront6targetE1EEEvSY_.num_agpr, 0
	.set _ZN7rocprim17ROCPRIM_400000_NS6detail17trampoline_kernelINS0_13select_configILj256ELj13ELNS0_17block_load_methodE3ELS4_3ELS4_3ELNS0_20block_scan_algorithmE0ELj4294967295EEENS1_25partition_config_selectorILNS1_17partition_subalgoE3EjNS0_10empty_typeEbEEZZNS1_14partition_implILS8_3ELb0ES6_jNS0_17counting_iteratorIjlEEPS9_SE_NS0_5tupleIJPjSE_EEENSF_IJSE_SE_EEES9_SG_JZNS1_25segmented_radix_sort_implINS0_14default_configELb1EPKhPhPKlPlN2at6native12_GLOBAL__N_18offset_tEEE10hipError_tPvRmT1_PNSt15iterator_traitsISY_E10value_typeET2_T3_PNSZ_IS14_E10value_typeET4_jRbjT5_S1A_jjP12ihipStream_tbEUljE_EEESV_SW_SX_S14_S18_S1A_T6_T7_T9_mT8_S1C_bDpT10_ENKUlT_T0_E_clISt17integral_constantIbLb1EES1O_IbLb0EEEEDaS1K_S1L_EUlS1K_E_NS1_11comp_targetILNS1_3genE2ELNS1_11target_archE906ELNS1_3gpuE6ELNS1_3repE0EEENS1_30default_config_static_selectorELNS0_4arch9wavefront6targetE1EEEvSY_.numbered_sgpr, 0
	.set _ZN7rocprim17ROCPRIM_400000_NS6detail17trampoline_kernelINS0_13select_configILj256ELj13ELNS0_17block_load_methodE3ELS4_3ELS4_3ELNS0_20block_scan_algorithmE0ELj4294967295EEENS1_25partition_config_selectorILNS1_17partition_subalgoE3EjNS0_10empty_typeEbEEZZNS1_14partition_implILS8_3ELb0ES6_jNS0_17counting_iteratorIjlEEPS9_SE_NS0_5tupleIJPjSE_EEENSF_IJSE_SE_EEES9_SG_JZNS1_25segmented_radix_sort_implINS0_14default_configELb1EPKhPhPKlPlN2at6native12_GLOBAL__N_18offset_tEEE10hipError_tPvRmT1_PNSt15iterator_traitsISY_E10value_typeET2_T3_PNSZ_IS14_E10value_typeET4_jRbjT5_S1A_jjP12ihipStream_tbEUljE_EEESV_SW_SX_S14_S18_S1A_T6_T7_T9_mT8_S1C_bDpT10_ENKUlT_T0_E_clISt17integral_constantIbLb1EES1O_IbLb0EEEEDaS1K_S1L_EUlS1K_E_NS1_11comp_targetILNS1_3genE2ELNS1_11target_archE906ELNS1_3gpuE6ELNS1_3repE0EEENS1_30default_config_static_selectorELNS0_4arch9wavefront6targetE1EEEvSY_.num_named_barrier, 0
	.set _ZN7rocprim17ROCPRIM_400000_NS6detail17trampoline_kernelINS0_13select_configILj256ELj13ELNS0_17block_load_methodE3ELS4_3ELS4_3ELNS0_20block_scan_algorithmE0ELj4294967295EEENS1_25partition_config_selectorILNS1_17partition_subalgoE3EjNS0_10empty_typeEbEEZZNS1_14partition_implILS8_3ELb0ES6_jNS0_17counting_iteratorIjlEEPS9_SE_NS0_5tupleIJPjSE_EEENSF_IJSE_SE_EEES9_SG_JZNS1_25segmented_radix_sort_implINS0_14default_configELb1EPKhPhPKlPlN2at6native12_GLOBAL__N_18offset_tEEE10hipError_tPvRmT1_PNSt15iterator_traitsISY_E10value_typeET2_T3_PNSZ_IS14_E10value_typeET4_jRbjT5_S1A_jjP12ihipStream_tbEUljE_EEESV_SW_SX_S14_S18_S1A_T6_T7_T9_mT8_S1C_bDpT10_ENKUlT_T0_E_clISt17integral_constantIbLb1EES1O_IbLb0EEEEDaS1K_S1L_EUlS1K_E_NS1_11comp_targetILNS1_3genE2ELNS1_11target_archE906ELNS1_3gpuE6ELNS1_3repE0EEENS1_30default_config_static_selectorELNS0_4arch9wavefront6targetE1EEEvSY_.private_seg_size, 0
	.set _ZN7rocprim17ROCPRIM_400000_NS6detail17trampoline_kernelINS0_13select_configILj256ELj13ELNS0_17block_load_methodE3ELS4_3ELS4_3ELNS0_20block_scan_algorithmE0ELj4294967295EEENS1_25partition_config_selectorILNS1_17partition_subalgoE3EjNS0_10empty_typeEbEEZZNS1_14partition_implILS8_3ELb0ES6_jNS0_17counting_iteratorIjlEEPS9_SE_NS0_5tupleIJPjSE_EEENSF_IJSE_SE_EEES9_SG_JZNS1_25segmented_radix_sort_implINS0_14default_configELb1EPKhPhPKlPlN2at6native12_GLOBAL__N_18offset_tEEE10hipError_tPvRmT1_PNSt15iterator_traitsISY_E10value_typeET2_T3_PNSZ_IS14_E10value_typeET4_jRbjT5_S1A_jjP12ihipStream_tbEUljE_EEESV_SW_SX_S14_S18_S1A_T6_T7_T9_mT8_S1C_bDpT10_ENKUlT_T0_E_clISt17integral_constantIbLb1EES1O_IbLb0EEEEDaS1K_S1L_EUlS1K_E_NS1_11comp_targetILNS1_3genE2ELNS1_11target_archE906ELNS1_3gpuE6ELNS1_3repE0EEENS1_30default_config_static_selectorELNS0_4arch9wavefront6targetE1EEEvSY_.uses_vcc, 0
	.set _ZN7rocprim17ROCPRIM_400000_NS6detail17trampoline_kernelINS0_13select_configILj256ELj13ELNS0_17block_load_methodE3ELS4_3ELS4_3ELNS0_20block_scan_algorithmE0ELj4294967295EEENS1_25partition_config_selectorILNS1_17partition_subalgoE3EjNS0_10empty_typeEbEEZZNS1_14partition_implILS8_3ELb0ES6_jNS0_17counting_iteratorIjlEEPS9_SE_NS0_5tupleIJPjSE_EEENSF_IJSE_SE_EEES9_SG_JZNS1_25segmented_radix_sort_implINS0_14default_configELb1EPKhPhPKlPlN2at6native12_GLOBAL__N_18offset_tEEE10hipError_tPvRmT1_PNSt15iterator_traitsISY_E10value_typeET2_T3_PNSZ_IS14_E10value_typeET4_jRbjT5_S1A_jjP12ihipStream_tbEUljE_EEESV_SW_SX_S14_S18_S1A_T6_T7_T9_mT8_S1C_bDpT10_ENKUlT_T0_E_clISt17integral_constantIbLb1EES1O_IbLb0EEEEDaS1K_S1L_EUlS1K_E_NS1_11comp_targetILNS1_3genE2ELNS1_11target_archE906ELNS1_3gpuE6ELNS1_3repE0EEENS1_30default_config_static_selectorELNS0_4arch9wavefront6targetE1EEEvSY_.uses_flat_scratch, 0
	.set _ZN7rocprim17ROCPRIM_400000_NS6detail17trampoline_kernelINS0_13select_configILj256ELj13ELNS0_17block_load_methodE3ELS4_3ELS4_3ELNS0_20block_scan_algorithmE0ELj4294967295EEENS1_25partition_config_selectorILNS1_17partition_subalgoE3EjNS0_10empty_typeEbEEZZNS1_14partition_implILS8_3ELb0ES6_jNS0_17counting_iteratorIjlEEPS9_SE_NS0_5tupleIJPjSE_EEENSF_IJSE_SE_EEES9_SG_JZNS1_25segmented_radix_sort_implINS0_14default_configELb1EPKhPhPKlPlN2at6native12_GLOBAL__N_18offset_tEEE10hipError_tPvRmT1_PNSt15iterator_traitsISY_E10value_typeET2_T3_PNSZ_IS14_E10value_typeET4_jRbjT5_S1A_jjP12ihipStream_tbEUljE_EEESV_SW_SX_S14_S18_S1A_T6_T7_T9_mT8_S1C_bDpT10_ENKUlT_T0_E_clISt17integral_constantIbLb1EES1O_IbLb0EEEEDaS1K_S1L_EUlS1K_E_NS1_11comp_targetILNS1_3genE2ELNS1_11target_archE906ELNS1_3gpuE6ELNS1_3repE0EEENS1_30default_config_static_selectorELNS0_4arch9wavefront6targetE1EEEvSY_.has_dyn_sized_stack, 0
	.set _ZN7rocprim17ROCPRIM_400000_NS6detail17trampoline_kernelINS0_13select_configILj256ELj13ELNS0_17block_load_methodE3ELS4_3ELS4_3ELNS0_20block_scan_algorithmE0ELj4294967295EEENS1_25partition_config_selectorILNS1_17partition_subalgoE3EjNS0_10empty_typeEbEEZZNS1_14partition_implILS8_3ELb0ES6_jNS0_17counting_iteratorIjlEEPS9_SE_NS0_5tupleIJPjSE_EEENSF_IJSE_SE_EEES9_SG_JZNS1_25segmented_radix_sort_implINS0_14default_configELb1EPKhPhPKlPlN2at6native12_GLOBAL__N_18offset_tEEE10hipError_tPvRmT1_PNSt15iterator_traitsISY_E10value_typeET2_T3_PNSZ_IS14_E10value_typeET4_jRbjT5_S1A_jjP12ihipStream_tbEUljE_EEESV_SW_SX_S14_S18_S1A_T6_T7_T9_mT8_S1C_bDpT10_ENKUlT_T0_E_clISt17integral_constantIbLb1EES1O_IbLb0EEEEDaS1K_S1L_EUlS1K_E_NS1_11comp_targetILNS1_3genE2ELNS1_11target_archE906ELNS1_3gpuE6ELNS1_3repE0EEENS1_30default_config_static_selectorELNS0_4arch9wavefront6targetE1EEEvSY_.has_recursion, 0
	.set _ZN7rocprim17ROCPRIM_400000_NS6detail17trampoline_kernelINS0_13select_configILj256ELj13ELNS0_17block_load_methodE3ELS4_3ELS4_3ELNS0_20block_scan_algorithmE0ELj4294967295EEENS1_25partition_config_selectorILNS1_17partition_subalgoE3EjNS0_10empty_typeEbEEZZNS1_14partition_implILS8_3ELb0ES6_jNS0_17counting_iteratorIjlEEPS9_SE_NS0_5tupleIJPjSE_EEENSF_IJSE_SE_EEES9_SG_JZNS1_25segmented_radix_sort_implINS0_14default_configELb1EPKhPhPKlPlN2at6native12_GLOBAL__N_18offset_tEEE10hipError_tPvRmT1_PNSt15iterator_traitsISY_E10value_typeET2_T3_PNSZ_IS14_E10value_typeET4_jRbjT5_S1A_jjP12ihipStream_tbEUljE_EEESV_SW_SX_S14_S18_S1A_T6_T7_T9_mT8_S1C_bDpT10_ENKUlT_T0_E_clISt17integral_constantIbLb1EES1O_IbLb0EEEEDaS1K_S1L_EUlS1K_E_NS1_11comp_targetILNS1_3genE2ELNS1_11target_archE906ELNS1_3gpuE6ELNS1_3repE0EEENS1_30default_config_static_selectorELNS0_4arch9wavefront6targetE1EEEvSY_.has_indirect_call, 0
	.section	.AMDGPU.csdata,"",@progbits
; Kernel info:
; codeLenInByte = 4
; TotalNumSgprs: 4
; NumVgprs: 0
; ScratchSize: 0
; MemoryBound: 0
; FloatMode: 240
; IeeeMode: 1
; LDSByteSize: 0 bytes/workgroup (compile time only)
; SGPRBlocks: 0
; VGPRBlocks: 0
; NumSGPRsForWavesPerEU: 4
; NumVGPRsForWavesPerEU: 1
; Occupancy: 10
; WaveLimiterHint : 0
; COMPUTE_PGM_RSRC2:SCRATCH_EN: 0
; COMPUTE_PGM_RSRC2:USER_SGPR: 6
; COMPUTE_PGM_RSRC2:TRAP_HANDLER: 0
; COMPUTE_PGM_RSRC2:TGID_X_EN: 1
; COMPUTE_PGM_RSRC2:TGID_Y_EN: 0
; COMPUTE_PGM_RSRC2:TGID_Z_EN: 0
; COMPUTE_PGM_RSRC2:TIDIG_COMP_CNT: 0
	.section	.text._ZN7rocprim17ROCPRIM_400000_NS6detail17trampoline_kernelINS0_13select_configILj256ELj13ELNS0_17block_load_methodE3ELS4_3ELS4_3ELNS0_20block_scan_algorithmE0ELj4294967295EEENS1_25partition_config_selectorILNS1_17partition_subalgoE3EjNS0_10empty_typeEbEEZZNS1_14partition_implILS8_3ELb0ES6_jNS0_17counting_iteratorIjlEEPS9_SE_NS0_5tupleIJPjSE_EEENSF_IJSE_SE_EEES9_SG_JZNS1_25segmented_radix_sort_implINS0_14default_configELb1EPKhPhPKlPlN2at6native12_GLOBAL__N_18offset_tEEE10hipError_tPvRmT1_PNSt15iterator_traitsISY_E10value_typeET2_T3_PNSZ_IS14_E10value_typeET4_jRbjT5_S1A_jjP12ihipStream_tbEUljE_EEESV_SW_SX_S14_S18_S1A_T6_T7_T9_mT8_S1C_bDpT10_ENKUlT_T0_E_clISt17integral_constantIbLb1EES1O_IbLb0EEEEDaS1K_S1L_EUlS1K_E_NS1_11comp_targetILNS1_3genE10ELNS1_11target_archE1200ELNS1_3gpuE4ELNS1_3repE0EEENS1_30default_config_static_selectorELNS0_4arch9wavefront6targetE1EEEvSY_,"axG",@progbits,_ZN7rocprim17ROCPRIM_400000_NS6detail17trampoline_kernelINS0_13select_configILj256ELj13ELNS0_17block_load_methodE3ELS4_3ELS4_3ELNS0_20block_scan_algorithmE0ELj4294967295EEENS1_25partition_config_selectorILNS1_17partition_subalgoE3EjNS0_10empty_typeEbEEZZNS1_14partition_implILS8_3ELb0ES6_jNS0_17counting_iteratorIjlEEPS9_SE_NS0_5tupleIJPjSE_EEENSF_IJSE_SE_EEES9_SG_JZNS1_25segmented_radix_sort_implINS0_14default_configELb1EPKhPhPKlPlN2at6native12_GLOBAL__N_18offset_tEEE10hipError_tPvRmT1_PNSt15iterator_traitsISY_E10value_typeET2_T3_PNSZ_IS14_E10value_typeET4_jRbjT5_S1A_jjP12ihipStream_tbEUljE_EEESV_SW_SX_S14_S18_S1A_T6_T7_T9_mT8_S1C_bDpT10_ENKUlT_T0_E_clISt17integral_constantIbLb1EES1O_IbLb0EEEEDaS1K_S1L_EUlS1K_E_NS1_11comp_targetILNS1_3genE10ELNS1_11target_archE1200ELNS1_3gpuE4ELNS1_3repE0EEENS1_30default_config_static_selectorELNS0_4arch9wavefront6targetE1EEEvSY_,comdat
	.globl	_ZN7rocprim17ROCPRIM_400000_NS6detail17trampoline_kernelINS0_13select_configILj256ELj13ELNS0_17block_load_methodE3ELS4_3ELS4_3ELNS0_20block_scan_algorithmE0ELj4294967295EEENS1_25partition_config_selectorILNS1_17partition_subalgoE3EjNS0_10empty_typeEbEEZZNS1_14partition_implILS8_3ELb0ES6_jNS0_17counting_iteratorIjlEEPS9_SE_NS0_5tupleIJPjSE_EEENSF_IJSE_SE_EEES9_SG_JZNS1_25segmented_radix_sort_implINS0_14default_configELb1EPKhPhPKlPlN2at6native12_GLOBAL__N_18offset_tEEE10hipError_tPvRmT1_PNSt15iterator_traitsISY_E10value_typeET2_T3_PNSZ_IS14_E10value_typeET4_jRbjT5_S1A_jjP12ihipStream_tbEUljE_EEESV_SW_SX_S14_S18_S1A_T6_T7_T9_mT8_S1C_bDpT10_ENKUlT_T0_E_clISt17integral_constantIbLb1EES1O_IbLb0EEEEDaS1K_S1L_EUlS1K_E_NS1_11comp_targetILNS1_3genE10ELNS1_11target_archE1200ELNS1_3gpuE4ELNS1_3repE0EEENS1_30default_config_static_selectorELNS0_4arch9wavefront6targetE1EEEvSY_ ; -- Begin function _ZN7rocprim17ROCPRIM_400000_NS6detail17trampoline_kernelINS0_13select_configILj256ELj13ELNS0_17block_load_methodE3ELS4_3ELS4_3ELNS0_20block_scan_algorithmE0ELj4294967295EEENS1_25partition_config_selectorILNS1_17partition_subalgoE3EjNS0_10empty_typeEbEEZZNS1_14partition_implILS8_3ELb0ES6_jNS0_17counting_iteratorIjlEEPS9_SE_NS0_5tupleIJPjSE_EEENSF_IJSE_SE_EEES9_SG_JZNS1_25segmented_radix_sort_implINS0_14default_configELb1EPKhPhPKlPlN2at6native12_GLOBAL__N_18offset_tEEE10hipError_tPvRmT1_PNSt15iterator_traitsISY_E10value_typeET2_T3_PNSZ_IS14_E10value_typeET4_jRbjT5_S1A_jjP12ihipStream_tbEUljE_EEESV_SW_SX_S14_S18_S1A_T6_T7_T9_mT8_S1C_bDpT10_ENKUlT_T0_E_clISt17integral_constantIbLb1EES1O_IbLb0EEEEDaS1K_S1L_EUlS1K_E_NS1_11comp_targetILNS1_3genE10ELNS1_11target_archE1200ELNS1_3gpuE4ELNS1_3repE0EEENS1_30default_config_static_selectorELNS0_4arch9wavefront6targetE1EEEvSY_
	.p2align	8
	.type	_ZN7rocprim17ROCPRIM_400000_NS6detail17trampoline_kernelINS0_13select_configILj256ELj13ELNS0_17block_load_methodE3ELS4_3ELS4_3ELNS0_20block_scan_algorithmE0ELj4294967295EEENS1_25partition_config_selectorILNS1_17partition_subalgoE3EjNS0_10empty_typeEbEEZZNS1_14partition_implILS8_3ELb0ES6_jNS0_17counting_iteratorIjlEEPS9_SE_NS0_5tupleIJPjSE_EEENSF_IJSE_SE_EEES9_SG_JZNS1_25segmented_radix_sort_implINS0_14default_configELb1EPKhPhPKlPlN2at6native12_GLOBAL__N_18offset_tEEE10hipError_tPvRmT1_PNSt15iterator_traitsISY_E10value_typeET2_T3_PNSZ_IS14_E10value_typeET4_jRbjT5_S1A_jjP12ihipStream_tbEUljE_EEESV_SW_SX_S14_S18_S1A_T6_T7_T9_mT8_S1C_bDpT10_ENKUlT_T0_E_clISt17integral_constantIbLb1EES1O_IbLb0EEEEDaS1K_S1L_EUlS1K_E_NS1_11comp_targetILNS1_3genE10ELNS1_11target_archE1200ELNS1_3gpuE4ELNS1_3repE0EEENS1_30default_config_static_selectorELNS0_4arch9wavefront6targetE1EEEvSY_,@function
_ZN7rocprim17ROCPRIM_400000_NS6detail17trampoline_kernelINS0_13select_configILj256ELj13ELNS0_17block_load_methodE3ELS4_3ELS4_3ELNS0_20block_scan_algorithmE0ELj4294967295EEENS1_25partition_config_selectorILNS1_17partition_subalgoE3EjNS0_10empty_typeEbEEZZNS1_14partition_implILS8_3ELb0ES6_jNS0_17counting_iteratorIjlEEPS9_SE_NS0_5tupleIJPjSE_EEENSF_IJSE_SE_EEES9_SG_JZNS1_25segmented_radix_sort_implINS0_14default_configELb1EPKhPhPKlPlN2at6native12_GLOBAL__N_18offset_tEEE10hipError_tPvRmT1_PNSt15iterator_traitsISY_E10value_typeET2_T3_PNSZ_IS14_E10value_typeET4_jRbjT5_S1A_jjP12ihipStream_tbEUljE_EEESV_SW_SX_S14_S18_S1A_T6_T7_T9_mT8_S1C_bDpT10_ENKUlT_T0_E_clISt17integral_constantIbLb1EES1O_IbLb0EEEEDaS1K_S1L_EUlS1K_E_NS1_11comp_targetILNS1_3genE10ELNS1_11target_archE1200ELNS1_3gpuE4ELNS1_3repE0EEENS1_30default_config_static_selectorELNS0_4arch9wavefront6targetE1EEEvSY_: ; @_ZN7rocprim17ROCPRIM_400000_NS6detail17trampoline_kernelINS0_13select_configILj256ELj13ELNS0_17block_load_methodE3ELS4_3ELS4_3ELNS0_20block_scan_algorithmE0ELj4294967295EEENS1_25partition_config_selectorILNS1_17partition_subalgoE3EjNS0_10empty_typeEbEEZZNS1_14partition_implILS8_3ELb0ES6_jNS0_17counting_iteratorIjlEEPS9_SE_NS0_5tupleIJPjSE_EEENSF_IJSE_SE_EEES9_SG_JZNS1_25segmented_radix_sort_implINS0_14default_configELb1EPKhPhPKlPlN2at6native12_GLOBAL__N_18offset_tEEE10hipError_tPvRmT1_PNSt15iterator_traitsISY_E10value_typeET2_T3_PNSZ_IS14_E10value_typeET4_jRbjT5_S1A_jjP12ihipStream_tbEUljE_EEESV_SW_SX_S14_S18_S1A_T6_T7_T9_mT8_S1C_bDpT10_ENKUlT_T0_E_clISt17integral_constantIbLb1EES1O_IbLb0EEEEDaS1K_S1L_EUlS1K_E_NS1_11comp_targetILNS1_3genE10ELNS1_11target_archE1200ELNS1_3gpuE4ELNS1_3repE0EEENS1_30default_config_static_selectorELNS0_4arch9wavefront6targetE1EEEvSY_
; %bb.0:
	.section	.rodata,"a",@progbits
	.p2align	6, 0x0
	.amdhsa_kernel _ZN7rocprim17ROCPRIM_400000_NS6detail17trampoline_kernelINS0_13select_configILj256ELj13ELNS0_17block_load_methodE3ELS4_3ELS4_3ELNS0_20block_scan_algorithmE0ELj4294967295EEENS1_25partition_config_selectorILNS1_17partition_subalgoE3EjNS0_10empty_typeEbEEZZNS1_14partition_implILS8_3ELb0ES6_jNS0_17counting_iteratorIjlEEPS9_SE_NS0_5tupleIJPjSE_EEENSF_IJSE_SE_EEES9_SG_JZNS1_25segmented_radix_sort_implINS0_14default_configELb1EPKhPhPKlPlN2at6native12_GLOBAL__N_18offset_tEEE10hipError_tPvRmT1_PNSt15iterator_traitsISY_E10value_typeET2_T3_PNSZ_IS14_E10value_typeET4_jRbjT5_S1A_jjP12ihipStream_tbEUljE_EEESV_SW_SX_S14_S18_S1A_T6_T7_T9_mT8_S1C_bDpT10_ENKUlT_T0_E_clISt17integral_constantIbLb1EES1O_IbLb0EEEEDaS1K_S1L_EUlS1K_E_NS1_11comp_targetILNS1_3genE10ELNS1_11target_archE1200ELNS1_3gpuE4ELNS1_3repE0EEENS1_30default_config_static_selectorELNS0_4arch9wavefront6targetE1EEEvSY_
		.amdhsa_group_segment_fixed_size 0
		.amdhsa_private_segment_fixed_size 0
		.amdhsa_kernarg_size 144
		.amdhsa_user_sgpr_count 6
		.amdhsa_user_sgpr_private_segment_buffer 1
		.amdhsa_user_sgpr_dispatch_ptr 0
		.amdhsa_user_sgpr_queue_ptr 0
		.amdhsa_user_sgpr_kernarg_segment_ptr 1
		.amdhsa_user_sgpr_dispatch_id 0
		.amdhsa_user_sgpr_flat_scratch_init 0
		.amdhsa_user_sgpr_private_segment_size 0
		.amdhsa_uses_dynamic_stack 0
		.amdhsa_system_sgpr_private_segment_wavefront_offset 0
		.amdhsa_system_sgpr_workgroup_id_x 1
		.amdhsa_system_sgpr_workgroup_id_y 0
		.amdhsa_system_sgpr_workgroup_id_z 0
		.amdhsa_system_sgpr_workgroup_info 0
		.amdhsa_system_vgpr_workitem_id 0
		.amdhsa_next_free_vgpr 1
		.amdhsa_next_free_sgpr 0
		.amdhsa_reserve_vcc 0
		.amdhsa_reserve_flat_scratch 0
		.amdhsa_float_round_mode_32 0
		.amdhsa_float_round_mode_16_64 0
		.amdhsa_float_denorm_mode_32 3
		.amdhsa_float_denorm_mode_16_64 3
		.amdhsa_dx10_clamp 1
		.amdhsa_ieee_mode 1
		.amdhsa_fp16_overflow 0
		.amdhsa_exception_fp_ieee_invalid_op 0
		.amdhsa_exception_fp_denorm_src 0
		.amdhsa_exception_fp_ieee_div_zero 0
		.amdhsa_exception_fp_ieee_overflow 0
		.amdhsa_exception_fp_ieee_underflow 0
		.amdhsa_exception_fp_ieee_inexact 0
		.amdhsa_exception_int_div_zero 0
	.end_amdhsa_kernel
	.section	.text._ZN7rocprim17ROCPRIM_400000_NS6detail17trampoline_kernelINS0_13select_configILj256ELj13ELNS0_17block_load_methodE3ELS4_3ELS4_3ELNS0_20block_scan_algorithmE0ELj4294967295EEENS1_25partition_config_selectorILNS1_17partition_subalgoE3EjNS0_10empty_typeEbEEZZNS1_14partition_implILS8_3ELb0ES6_jNS0_17counting_iteratorIjlEEPS9_SE_NS0_5tupleIJPjSE_EEENSF_IJSE_SE_EEES9_SG_JZNS1_25segmented_radix_sort_implINS0_14default_configELb1EPKhPhPKlPlN2at6native12_GLOBAL__N_18offset_tEEE10hipError_tPvRmT1_PNSt15iterator_traitsISY_E10value_typeET2_T3_PNSZ_IS14_E10value_typeET4_jRbjT5_S1A_jjP12ihipStream_tbEUljE_EEESV_SW_SX_S14_S18_S1A_T6_T7_T9_mT8_S1C_bDpT10_ENKUlT_T0_E_clISt17integral_constantIbLb1EES1O_IbLb0EEEEDaS1K_S1L_EUlS1K_E_NS1_11comp_targetILNS1_3genE10ELNS1_11target_archE1200ELNS1_3gpuE4ELNS1_3repE0EEENS1_30default_config_static_selectorELNS0_4arch9wavefront6targetE1EEEvSY_,"axG",@progbits,_ZN7rocprim17ROCPRIM_400000_NS6detail17trampoline_kernelINS0_13select_configILj256ELj13ELNS0_17block_load_methodE3ELS4_3ELS4_3ELNS0_20block_scan_algorithmE0ELj4294967295EEENS1_25partition_config_selectorILNS1_17partition_subalgoE3EjNS0_10empty_typeEbEEZZNS1_14partition_implILS8_3ELb0ES6_jNS0_17counting_iteratorIjlEEPS9_SE_NS0_5tupleIJPjSE_EEENSF_IJSE_SE_EEES9_SG_JZNS1_25segmented_radix_sort_implINS0_14default_configELb1EPKhPhPKlPlN2at6native12_GLOBAL__N_18offset_tEEE10hipError_tPvRmT1_PNSt15iterator_traitsISY_E10value_typeET2_T3_PNSZ_IS14_E10value_typeET4_jRbjT5_S1A_jjP12ihipStream_tbEUljE_EEESV_SW_SX_S14_S18_S1A_T6_T7_T9_mT8_S1C_bDpT10_ENKUlT_T0_E_clISt17integral_constantIbLb1EES1O_IbLb0EEEEDaS1K_S1L_EUlS1K_E_NS1_11comp_targetILNS1_3genE10ELNS1_11target_archE1200ELNS1_3gpuE4ELNS1_3repE0EEENS1_30default_config_static_selectorELNS0_4arch9wavefront6targetE1EEEvSY_,comdat
.Lfunc_end71:
	.size	_ZN7rocprim17ROCPRIM_400000_NS6detail17trampoline_kernelINS0_13select_configILj256ELj13ELNS0_17block_load_methodE3ELS4_3ELS4_3ELNS0_20block_scan_algorithmE0ELj4294967295EEENS1_25partition_config_selectorILNS1_17partition_subalgoE3EjNS0_10empty_typeEbEEZZNS1_14partition_implILS8_3ELb0ES6_jNS0_17counting_iteratorIjlEEPS9_SE_NS0_5tupleIJPjSE_EEENSF_IJSE_SE_EEES9_SG_JZNS1_25segmented_radix_sort_implINS0_14default_configELb1EPKhPhPKlPlN2at6native12_GLOBAL__N_18offset_tEEE10hipError_tPvRmT1_PNSt15iterator_traitsISY_E10value_typeET2_T3_PNSZ_IS14_E10value_typeET4_jRbjT5_S1A_jjP12ihipStream_tbEUljE_EEESV_SW_SX_S14_S18_S1A_T6_T7_T9_mT8_S1C_bDpT10_ENKUlT_T0_E_clISt17integral_constantIbLb1EES1O_IbLb0EEEEDaS1K_S1L_EUlS1K_E_NS1_11comp_targetILNS1_3genE10ELNS1_11target_archE1200ELNS1_3gpuE4ELNS1_3repE0EEENS1_30default_config_static_selectorELNS0_4arch9wavefront6targetE1EEEvSY_, .Lfunc_end71-_ZN7rocprim17ROCPRIM_400000_NS6detail17trampoline_kernelINS0_13select_configILj256ELj13ELNS0_17block_load_methodE3ELS4_3ELS4_3ELNS0_20block_scan_algorithmE0ELj4294967295EEENS1_25partition_config_selectorILNS1_17partition_subalgoE3EjNS0_10empty_typeEbEEZZNS1_14partition_implILS8_3ELb0ES6_jNS0_17counting_iteratorIjlEEPS9_SE_NS0_5tupleIJPjSE_EEENSF_IJSE_SE_EEES9_SG_JZNS1_25segmented_radix_sort_implINS0_14default_configELb1EPKhPhPKlPlN2at6native12_GLOBAL__N_18offset_tEEE10hipError_tPvRmT1_PNSt15iterator_traitsISY_E10value_typeET2_T3_PNSZ_IS14_E10value_typeET4_jRbjT5_S1A_jjP12ihipStream_tbEUljE_EEESV_SW_SX_S14_S18_S1A_T6_T7_T9_mT8_S1C_bDpT10_ENKUlT_T0_E_clISt17integral_constantIbLb1EES1O_IbLb0EEEEDaS1K_S1L_EUlS1K_E_NS1_11comp_targetILNS1_3genE10ELNS1_11target_archE1200ELNS1_3gpuE4ELNS1_3repE0EEENS1_30default_config_static_selectorELNS0_4arch9wavefront6targetE1EEEvSY_
                                        ; -- End function
	.set _ZN7rocprim17ROCPRIM_400000_NS6detail17trampoline_kernelINS0_13select_configILj256ELj13ELNS0_17block_load_methodE3ELS4_3ELS4_3ELNS0_20block_scan_algorithmE0ELj4294967295EEENS1_25partition_config_selectorILNS1_17partition_subalgoE3EjNS0_10empty_typeEbEEZZNS1_14partition_implILS8_3ELb0ES6_jNS0_17counting_iteratorIjlEEPS9_SE_NS0_5tupleIJPjSE_EEENSF_IJSE_SE_EEES9_SG_JZNS1_25segmented_radix_sort_implINS0_14default_configELb1EPKhPhPKlPlN2at6native12_GLOBAL__N_18offset_tEEE10hipError_tPvRmT1_PNSt15iterator_traitsISY_E10value_typeET2_T3_PNSZ_IS14_E10value_typeET4_jRbjT5_S1A_jjP12ihipStream_tbEUljE_EEESV_SW_SX_S14_S18_S1A_T6_T7_T9_mT8_S1C_bDpT10_ENKUlT_T0_E_clISt17integral_constantIbLb1EES1O_IbLb0EEEEDaS1K_S1L_EUlS1K_E_NS1_11comp_targetILNS1_3genE10ELNS1_11target_archE1200ELNS1_3gpuE4ELNS1_3repE0EEENS1_30default_config_static_selectorELNS0_4arch9wavefront6targetE1EEEvSY_.num_vgpr, 0
	.set _ZN7rocprim17ROCPRIM_400000_NS6detail17trampoline_kernelINS0_13select_configILj256ELj13ELNS0_17block_load_methodE3ELS4_3ELS4_3ELNS0_20block_scan_algorithmE0ELj4294967295EEENS1_25partition_config_selectorILNS1_17partition_subalgoE3EjNS0_10empty_typeEbEEZZNS1_14partition_implILS8_3ELb0ES6_jNS0_17counting_iteratorIjlEEPS9_SE_NS0_5tupleIJPjSE_EEENSF_IJSE_SE_EEES9_SG_JZNS1_25segmented_radix_sort_implINS0_14default_configELb1EPKhPhPKlPlN2at6native12_GLOBAL__N_18offset_tEEE10hipError_tPvRmT1_PNSt15iterator_traitsISY_E10value_typeET2_T3_PNSZ_IS14_E10value_typeET4_jRbjT5_S1A_jjP12ihipStream_tbEUljE_EEESV_SW_SX_S14_S18_S1A_T6_T7_T9_mT8_S1C_bDpT10_ENKUlT_T0_E_clISt17integral_constantIbLb1EES1O_IbLb0EEEEDaS1K_S1L_EUlS1K_E_NS1_11comp_targetILNS1_3genE10ELNS1_11target_archE1200ELNS1_3gpuE4ELNS1_3repE0EEENS1_30default_config_static_selectorELNS0_4arch9wavefront6targetE1EEEvSY_.num_agpr, 0
	.set _ZN7rocprim17ROCPRIM_400000_NS6detail17trampoline_kernelINS0_13select_configILj256ELj13ELNS0_17block_load_methodE3ELS4_3ELS4_3ELNS0_20block_scan_algorithmE0ELj4294967295EEENS1_25partition_config_selectorILNS1_17partition_subalgoE3EjNS0_10empty_typeEbEEZZNS1_14partition_implILS8_3ELb0ES6_jNS0_17counting_iteratorIjlEEPS9_SE_NS0_5tupleIJPjSE_EEENSF_IJSE_SE_EEES9_SG_JZNS1_25segmented_radix_sort_implINS0_14default_configELb1EPKhPhPKlPlN2at6native12_GLOBAL__N_18offset_tEEE10hipError_tPvRmT1_PNSt15iterator_traitsISY_E10value_typeET2_T3_PNSZ_IS14_E10value_typeET4_jRbjT5_S1A_jjP12ihipStream_tbEUljE_EEESV_SW_SX_S14_S18_S1A_T6_T7_T9_mT8_S1C_bDpT10_ENKUlT_T0_E_clISt17integral_constantIbLb1EES1O_IbLb0EEEEDaS1K_S1L_EUlS1K_E_NS1_11comp_targetILNS1_3genE10ELNS1_11target_archE1200ELNS1_3gpuE4ELNS1_3repE0EEENS1_30default_config_static_selectorELNS0_4arch9wavefront6targetE1EEEvSY_.numbered_sgpr, 0
	.set _ZN7rocprim17ROCPRIM_400000_NS6detail17trampoline_kernelINS0_13select_configILj256ELj13ELNS0_17block_load_methodE3ELS4_3ELS4_3ELNS0_20block_scan_algorithmE0ELj4294967295EEENS1_25partition_config_selectorILNS1_17partition_subalgoE3EjNS0_10empty_typeEbEEZZNS1_14partition_implILS8_3ELb0ES6_jNS0_17counting_iteratorIjlEEPS9_SE_NS0_5tupleIJPjSE_EEENSF_IJSE_SE_EEES9_SG_JZNS1_25segmented_radix_sort_implINS0_14default_configELb1EPKhPhPKlPlN2at6native12_GLOBAL__N_18offset_tEEE10hipError_tPvRmT1_PNSt15iterator_traitsISY_E10value_typeET2_T3_PNSZ_IS14_E10value_typeET4_jRbjT5_S1A_jjP12ihipStream_tbEUljE_EEESV_SW_SX_S14_S18_S1A_T6_T7_T9_mT8_S1C_bDpT10_ENKUlT_T0_E_clISt17integral_constantIbLb1EES1O_IbLb0EEEEDaS1K_S1L_EUlS1K_E_NS1_11comp_targetILNS1_3genE10ELNS1_11target_archE1200ELNS1_3gpuE4ELNS1_3repE0EEENS1_30default_config_static_selectorELNS0_4arch9wavefront6targetE1EEEvSY_.num_named_barrier, 0
	.set _ZN7rocprim17ROCPRIM_400000_NS6detail17trampoline_kernelINS0_13select_configILj256ELj13ELNS0_17block_load_methodE3ELS4_3ELS4_3ELNS0_20block_scan_algorithmE0ELj4294967295EEENS1_25partition_config_selectorILNS1_17partition_subalgoE3EjNS0_10empty_typeEbEEZZNS1_14partition_implILS8_3ELb0ES6_jNS0_17counting_iteratorIjlEEPS9_SE_NS0_5tupleIJPjSE_EEENSF_IJSE_SE_EEES9_SG_JZNS1_25segmented_radix_sort_implINS0_14default_configELb1EPKhPhPKlPlN2at6native12_GLOBAL__N_18offset_tEEE10hipError_tPvRmT1_PNSt15iterator_traitsISY_E10value_typeET2_T3_PNSZ_IS14_E10value_typeET4_jRbjT5_S1A_jjP12ihipStream_tbEUljE_EEESV_SW_SX_S14_S18_S1A_T6_T7_T9_mT8_S1C_bDpT10_ENKUlT_T0_E_clISt17integral_constantIbLb1EES1O_IbLb0EEEEDaS1K_S1L_EUlS1K_E_NS1_11comp_targetILNS1_3genE10ELNS1_11target_archE1200ELNS1_3gpuE4ELNS1_3repE0EEENS1_30default_config_static_selectorELNS0_4arch9wavefront6targetE1EEEvSY_.private_seg_size, 0
	.set _ZN7rocprim17ROCPRIM_400000_NS6detail17trampoline_kernelINS0_13select_configILj256ELj13ELNS0_17block_load_methodE3ELS4_3ELS4_3ELNS0_20block_scan_algorithmE0ELj4294967295EEENS1_25partition_config_selectorILNS1_17partition_subalgoE3EjNS0_10empty_typeEbEEZZNS1_14partition_implILS8_3ELb0ES6_jNS0_17counting_iteratorIjlEEPS9_SE_NS0_5tupleIJPjSE_EEENSF_IJSE_SE_EEES9_SG_JZNS1_25segmented_radix_sort_implINS0_14default_configELb1EPKhPhPKlPlN2at6native12_GLOBAL__N_18offset_tEEE10hipError_tPvRmT1_PNSt15iterator_traitsISY_E10value_typeET2_T3_PNSZ_IS14_E10value_typeET4_jRbjT5_S1A_jjP12ihipStream_tbEUljE_EEESV_SW_SX_S14_S18_S1A_T6_T7_T9_mT8_S1C_bDpT10_ENKUlT_T0_E_clISt17integral_constantIbLb1EES1O_IbLb0EEEEDaS1K_S1L_EUlS1K_E_NS1_11comp_targetILNS1_3genE10ELNS1_11target_archE1200ELNS1_3gpuE4ELNS1_3repE0EEENS1_30default_config_static_selectorELNS0_4arch9wavefront6targetE1EEEvSY_.uses_vcc, 0
	.set _ZN7rocprim17ROCPRIM_400000_NS6detail17trampoline_kernelINS0_13select_configILj256ELj13ELNS0_17block_load_methodE3ELS4_3ELS4_3ELNS0_20block_scan_algorithmE0ELj4294967295EEENS1_25partition_config_selectorILNS1_17partition_subalgoE3EjNS0_10empty_typeEbEEZZNS1_14partition_implILS8_3ELb0ES6_jNS0_17counting_iteratorIjlEEPS9_SE_NS0_5tupleIJPjSE_EEENSF_IJSE_SE_EEES9_SG_JZNS1_25segmented_radix_sort_implINS0_14default_configELb1EPKhPhPKlPlN2at6native12_GLOBAL__N_18offset_tEEE10hipError_tPvRmT1_PNSt15iterator_traitsISY_E10value_typeET2_T3_PNSZ_IS14_E10value_typeET4_jRbjT5_S1A_jjP12ihipStream_tbEUljE_EEESV_SW_SX_S14_S18_S1A_T6_T7_T9_mT8_S1C_bDpT10_ENKUlT_T0_E_clISt17integral_constantIbLb1EES1O_IbLb0EEEEDaS1K_S1L_EUlS1K_E_NS1_11comp_targetILNS1_3genE10ELNS1_11target_archE1200ELNS1_3gpuE4ELNS1_3repE0EEENS1_30default_config_static_selectorELNS0_4arch9wavefront6targetE1EEEvSY_.uses_flat_scratch, 0
	.set _ZN7rocprim17ROCPRIM_400000_NS6detail17trampoline_kernelINS0_13select_configILj256ELj13ELNS0_17block_load_methodE3ELS4_3ELS4_3ELNS0_20block_scan_algorithmE0ELj4294967295EEENS1_25partition_config_selectorILNS1_17partition_subalgoE3EjNS0_10empty_typeEbEEZZNS1_14partition_implILS8_3ELb0ES6_jNS0_17counting_iteratorIjlEEPS9_SE_NS0_5tupleIJPjSE_EEENSF_IJSE_SE_EEES9_SG_JZNS1_25segmented_radix_sort_implINS0_14default_configELb1EPKhPhPKlPlN2at6native12_GLOBAL__N_18offset_tEEE10hipError_tPvRmT1_PNSt15iterator_traitsISY_E10value_typeET2_T3_PNSZ_IS14_E10value_typeET4_jRbjT5_S1A_jjP12ihipStream_tbEUljE_EEESV_SW_SX_S14_S18_S1A_T6_T7_T9_mT8_S1C_bDpT10_ENKUlT_T0_E_clISt17integral_constantIbLb1EES1O_IbLb0EEEEDaS1K_S1L_EUlS1K_E_NS1_11comp_targetILNS1_3genE10ELNS1_11target_archE1200ELNS1_3gpuE4ELNS1_3repE0EEENS1_30default_config_static_selectorELNS0_4arch9wavefront6targetE1EEEvSY_.has_dyn_sized_stack, 0
	.set _ZN7rocprim17ROCPRIM_400000_NS6detail17trampoline_kernelINS0_13select_configILj256ELj13ELNS0_17block_load_methodE3ELS4_3ELS4_3ELNS0_20block_scan_algorithmE0ELj4294967295EEENS1_25partition_config_selectorILNS1_17partition_subalgoE3EjNS0_10empty_typeEbEEZZNS1_14partition_implILS8_3ELb0ES6_jNS0_17counting_iteratorIjlEEPS9_SE_NS0_5tupleIJPjSE_EEENSF_IJSE_SE_EEES9_SG_JZNS1_25segmented_radix_sort_implINS0_14default_configELb1EPKhPhPKlPlN2at6native12_GLOBAL__N_18offset_tEEE10hipError_tPvRmT1_PNSt15iterator_traitsISY_E10value_typeET2_T3_PNSZ_IS14_E10value_typeET4_jRbjT5_S1A_jjP12ihipStream_tbEUljE_EEESV_SW_SX_S14_S18_S1A_T6_T7_T9_mT8_S1C_bDpT10_ENKUlT_T0_E_clISt17integral_constantIbLb1EES1O_IbLb0EEEEDaS1K_S1L_EUlS1K_E_NS1_11comp_targetILNS1_3genE10ELNS1_11target_archE1200ELNS1_3gpuE4ELNS1_3repE0EEENS1_30default_config_static_selectorELNS0_4arch9wavefront6targetE1EEEvSY_.has_recursion, 0
	.set _ZN7rocprim17ROCPRIM_400000_NS6detail17trampoline_kernelINS0_13select_configILj256ELj13ELNS0_17block_load_methodE3ELS4_3ELS4_3ELNS0_20block_scan_algorithmE0ELj4294967295EEENS1_25partition_config_selectorILNS1_17partition_subalgoE3EjNS0_10empty_typeEbEEZZNS1_14partition_implILS8_3ELb0ES6_jNS0_17counting_iteratorIjlEEPS9_SE_NS0_5tupleIJPjSE_EEENSF_IJSE_SE_EEES9_SG_JZNS1_25segmented_radix_sort_implINS0_14default_configELb1EPKhPhPKlPlN2at6native12_GLOBAL__N_18offset_tEEE10hipError_tPvRmT1_PNSt15iterator_traitsISY_E10value_typeET2_T3_PNSZ_IS14_E10value_typeET4_jRbjT5_S1A_jjP12ihipStream_tbEUljE_EEESV_SW_SX_S14_S18_S1A_T6_T7_T9_mT8_S1C_bDpT10_ENKUlT_T0_E_clISt17integral_constantIbLb1EES1O_IbLb0EEEEDaS1K_S1L_EUlS1K_E_NS1_11comp_targetILNS1_3genE10ELNS1_11target_archE1200ELNS1_3gpuE4ELNS1_3repE0EEENS1_30default_config_static_selectorELNS0_4arch9wavefront6targetE1EEEvSY_.has_indirect_call, 0
	.section	.AMDGPU.csdata,"",@progbits
; Kernel info:
; codeLenInByte = 0
; TotalNumSgprs: 4
; NumVgprs: 0
; ScratchSize: 0
; MemoryBound: 0
; FloatMode: 240
; IeeeMode: 1
; LDSByteSize: 0 bytes/workgroup (compile time only)
; SGPRBlocks: 0
; VGPRBlocks: 0
; NumSGPRsForWavesPerEU: 4
; NumVGPRsForWavesPerEU: 1
; Occupancy: 10
; WaveLimiterHint : 0
; COMPUTE_PGM_RSRC2:SCRATCH_EN: 0
; COMPUTE_PGM_RSRC2:USER_SGPR: 6
; COMPUTE_PGM_RSRC2:TRAP_HANDLER: 0
; COMPUTE_PGM_RSRC2:TGID_X_EN: 1
; COMPUTE_PGM_RSRC2:TGID_Y_EN: 0
; COMPUTE_PGM_RSRC2:TGID_Z_EN: 0
; COMPUTE_PGM_RSRC2:TIDIG_COMP_CNT: 0
	.section	.text._ZN7rocprim17ROCPRIM_400000_NS6detail17trampoline_kernelINS0_13select_configILj256ELj13ELNS0_17block_load_methodE3ELS4_3ELS4_3ELNS0_20block_scan_algorithmE0ELj4294967295EEENS1_25partition_config_selectorILNS1_17partition_subalgoE3EjNS0_10empty_typeEbEEZZNS1_14partition_implILS8_3ELb0ES6_jNS0_17counting_iteratorIjlEEPS9_SE_NS0_5tupleIJPjSE_EEENSF_IJSE_SE_EEES9_SG_JZNS1_25segmented_radix_sort_implINS0_14default_configELb1EPKhPhPKlPlN2at6native12_GLOBAL__N_18offset_tEEE10hipError_tPvRmT1_PNSt15iterator_traitsISY_E10value_typeET2_T3_PNSZ_IS14_E10value_typeET4_jRbjT5_S1A_jjP12ihipStream_tbEUljE_EEESV_SW_SX_S14_S18_S1A_T6_T7_T9_mT8_S1C_bDpT10_ENKUlT_T0_E_clISt17integral_constantIbLb1EES1O_IbLb0EEEEDaS1K_S1L_EUlS1K_E_NS1_11comp_targetILNS1_3genE9ELNS1_11target_archE1100ELNS1_3gpuE3ELNS1_3repE0EEENS1_30default_config_static_selectorELNS0_4arch9wavefront6targetE1EEEvSY_,"axG",@progbits,_ZN7rocprim17ROCPRIM_400000_NS6detail17trampoline_kernelINS0_13select_configILj256ELj13ELNS0_17block_load_methodE3ELS4_3ELS4_3ELNS0_20block_scan_algorithmE0ELj4294967295EEENS1_25partition_config_selectorILNS1_17partition_subalgoE3EjNS0_10empty_typeEbEEZZNS1_14partition_implILS8_3ELb0ES6_jNS0_17counting_iteratorIjlEEPS9_SE_NS0_5tupleIJPjSE_EEENSF_IJSE_SE_EEES9_SG_JZNS1_25segmented_radix_sort_implINS0_14default_configELb1EPKhPhPKlPlN2at6native12_GLOBAL__N_18offset_tEEE10hipError_tPvRmT1_PNSt15iterator_traitsISY_E10value_typeET2_T3_PNSZ_IS14_E10value_typeET4_jRbjT5_S1A_jjP12ihipStream_tbEUljE_EEESV_SW_SX_S14_S18_S1A_T6_T7_T9_mT8_S1C_bDpT10_ENKUlT_T0_E_clISt17integral_constantIbLb1EES1O_IbLb0EEEEDaS1K_S1L_EUlS1K_E_NS1_11comp_targetILNS1_3genE9ELNS1_11target_archE1100ELNS1_3gpuE3ELNS1_3repE0EEENS1_30default_config_static_selectorELNS0_4arch9wavefront6targetE1EEEvSY_,comdat
	.globl	_ZN7rocprim17ROCPRIM_400000_NS6detail17trampoline_kernelINS0_13select_configILj256ELj13ELNS0_17block_load_methodE3ELS4_3ELS4_3ELNS0_20block_scan_algorithmE0ELj4294967295EEENS1_25partition_config_selectorILNS1_17partition_subalgoE3EjNS0_10empty_typeEbEEZZNS1_14partition_implILS8_3ELb0ES6_jNS0_17counting_iteratorIjlEEPS9_SE_NS0_5tupleIJPjSE_EEENSF_IJSE_SE_EEES9_SG_JZNS1_25segmented_radix_sort_implINS0_14default_configELb1EPKhPhPKlPlN2at6native12_GLOBAL__N_18offset_tEEE10hipError_tPvRmT1_PNSt15iterator_traitsISY_E10value_typeET2_T3_PNSZ_IS14_E10value_typeET4_jRbjT5_S1A_jjP12ihipStream_tbEUljE_EEESV_SW_SX_S14_S18_S1A_T6_T7_T9_mT8_S1C_bDpT10_ENKUlT_T0_E_clISt17integral_constantIbLb1EES1O_IbLb0EEEEDaS1K_S1L_EUlS1K_E_NS1_11comp_targetILNS1_3genE9ELNS1_11target_archE1100ELNS1_3gpuE3ELNS1_3repE0EEENS1_30default_config_static_selectorELNS0_4arch9wavefront6targetE1EEEvSY_ ; -- Begin function _ZN7rocprim17ROCPRIM_400000_NS6detail17trampoline_kernelINS0_13select_configILj256ELj13ELNS0_17block_load_methodE3ELS4_3ELS4_3ELNS0_20block_scan_algorithmE0ELj4294967295EEENS1_25partition_config_selectorILNS1_17partition_subalgoE3EjNS0_10empty_typeEbEEZZNS1_14partition_implILS8_3ELb0ES6_jNS0_17counting_iteratorIjlEEPS9_SE_NS0_5tupleIJPjSE_EEENSF_IJSE_SE_EEES9_SG_JZNS1_25segmented_radix_sort_implINS0_14default_configELb1EPKhPhPKlPlN2at6native12_GLOBAL__N_18offset_tEEE10hipError_tPvRmT1_PNSt15iterator_traitsISY_E10value_typeET2_T3_PNSZ_IS14_E10value_typeET4_jRbjT5_S1A_jjP12ihipStream_tbEUljE_EEESV_SW_SX_S14_S18_S1A_T6_T7_T9_mT8_S1C_bDpT10_ENKUlT_T0_E_clISt17integral_constantIbLb1EES1O_IbLb0EEEEDaS1K_S1L_EUlS1K_E_NS1_11comp_targetILNS1_3genE9ELNS1_11target_archE1100ELNS1_3gpuE3ELNS1_3repE0EEENS1_30default_config_static_selectorELNS0_4arch9wavefront6targetE1EEEvSY_
	.p2align	8
	.type	_ZN7rocprim17ROCPRIM_400000_NS6detail17trampoline_kernelINS0_13select_configILj256ELj13ELNS0_17block_load_methodE3ELS4_3ELS4_3ELNS0_20block_scan_algorithmE0ELj4294967295EEENS1_25partition_config_selectorILNS1_17partition_subalgoE3EjNS0_10empty_typeEbEEZZNS1_14partition_implILS8_3ELb0ES6_jNS0_17counting_iteratorIjlEEPS9_SE_NS0_5tupleIJPjSE_EEENSF_IJSE_SE_EEES9_SG_JZNS1_25segmented_radix_sort_implINS0_14default_configELb1EPKhPhPKlPlN2at6native12_GLOBAL__N_18offset_tEEE10hipError_tPvRmT1_PNSt15iterator_traitsISY_E10value_typeET2_T3_PNSZ_IS14_E10value_typeET4_jRbjT5_S1A_jjP12ihipStream_tbEUljE_EEESV_SW_SX_S14_S18_S1A_T6_T7_T9_mT8_S1C_bDpT10_ENKUlT_T0_E_clISt17integral_constantIbLb1EES1O_IbLb0EEEEDaS1K_S1L_EUlS1K_E_NS1_11comp_targetILNS1_3genE9ELNS1_11target_archE1100ELNS1_3gpuE3ELNS1_3repE0EEENS1_30default_config_static_selectorELNS0_4arch9wavefront6targetE1EEEvSY_,@function
_ZN7rocprim17ROCPRIM_400000_NS6detail17trampoline_kernelINS0_13select_configILj256ELj13ELNS0_17block_load_methodE3ELS4_3ELS4_3ELNS0_20block_scan_algorithmE0ELj4294967295EEENS1_25partition_config_selectorILNS1_17partition_subalgoE3EjNS0_10empty_typeEbEEZZNS1_14partition_implILS8_3ELb0ES6_jNS0_17counting_iteratorIjlEEPS9_SE_NS0_5tupleIJPjSE_EEENSF_IJSE_SE_EEES9_SG_JZNS1_25segmented_radix_sort_implINS0_14default_configELb1EPKhPhPKlPlN2at6native12_GLOBAL__N_18offset_tEEE10hipError_tPvRmT1_PNSt15iterator_traitsISY_E10value_typeET2_T3_PNSZ_IS14_E10value_typeET4_jRbjT5_S1A_jjP12ihipStream_tbEUljE_EEESV_SW_SX_S14_S18_S1A_T6_T7_T9_mT8_S1C_bDpT10_ENKUlT_T0_E_clISt17integral_constantIbLb1EES1O_IbLb0EEEEDaS1K_S1L_EUlS1K_E_NS1_11comp_targetILNS1_3genE9ELNS1_11target_archE1100ELNS1_3gpuE3ELNS1_3repE0EEENS1_30default_config_static_selectorELNS0_4arch9wavefront6targetE1EEEvSY_: ; @_ZN7rocprim17ROCPRIM_400000_NS6detail17trampoline_kernelINS0_13select_configILj256ELj13ELNS0_17block_load_methodE3ELS4_3ELS4_3ELNS0_20block_scan_algorithmE0ELj4294967295EEENS1_25partition_config_selectorILNS1_17partition_subalgoE3EjNS0_10empty_typeEbEEZZNS1_14partition_implILS8_3ELb0ES6_jNS0_17counting_iteratorIjlEEPS9_SE_NS0_5tupleIJPjSE_EEENSF_IJSE_SE_EEES9_SG_JZNS1_25segmented_radix_sort_implINS0_14default_configELb1EPKhPhPKlPlN2at6native12_GLOBAL__N_18offset_tEEE10hipError_tPvRmT1_PNSt15iterator_traitsISY_E10value_typeET2_T3_PNSZ_IS14_E10value_typeET4_jRbjT5_S1A_jjP12ihipStream_tbEUljE_EEESV_SW_SX_S14_S18_S1A_T6_T7_T9_mT8_S1C_bDpT10_ENKUlT_T0_E_clISt17integral_constantIbLb1EES1O_IbLb0EEEEDaS1K_S1L_EUlS1K_E_NS1_11comp_targetILNS1_3genE9ELNS1_11target_archE1100ELNS1_3gpuE3ELNS1_3repE0EEENS1_30default_config_static_selectorELNS0_4arch9wavefront6targetE1EEEvSY_
; %bb.0:
	.section	.rodata,"a",@progbits
	.p2align	6, 0x0
	.amdhsa_kernel _ZN7rocprim17ROCPRIM_400000_NS6detail17trampoline_kernelINS0_13select_configILj256ELj13ELNS0_17block_load_methodE3ELS4_3ELS4_3ELNS0_20block_scan_algorithmE0ELj4294967295EEENS1_25partition_config_selectorILNS1_17partition_subalgoE3EjNS0_10empty_typeEbEEZZNS1_14partition_implILS8_3ELb0ES6_jNS0_17counting_iteratorIjlEEPS9_SE_NS0_5tupleIJPjSE_EEENSF_IJSE_SE_EEES9_SG_JZNS1_25segmented_radix_sort_implINS0_14default_configELb1EPKhPhPKlPlN2at6native12_GLOBAL__N_18offset_tEEE10hipError_tPvRmT1_PNSt15iterator_traitsISY_E10value_typeET2_T3_PNSZ_IS14_E10value_typeET4_jRbjT5_S1A_jjP12ihipStream_tbEUljE_EEESV_SW_SX_S14_S18_S1A_T6_T7_T9_mT8_S1C_bDpT10_ENKUlT_T0_E_clISt17integral_constantIbLb1EES1O_IbLb0EEEEDaS1K_S1L_EUlS1K_E_NS1_11comp_targetILNS1_3genE9ELNS1_11target_archE1100ELNS1_3gpuE3ELNS1_3repE0EEENS1_30default_config_static_selectorELNS0_4arch9wavefront6targetE1EEEvSY_
		.amdhsa_group_segment_fixed_size 0
		.amdhsa_private_segment_fixed_size 0
		.amdhsa_kernarg_size 144
		.amdhsa_user_sgpr_count 6
		.amdhsa_user_sgpr_private_segment_buffer 1
		.amdhsa_user_sgpr_dispatch_ptr 0
		.amdhsa_user_sgpr_queue_ptr 0
		.amdhsa_user_sgpr_kernarg_segment_ptr 1
		.amdhsa_user_sgpr_dispatch_id 0
		.amdhsa_user_sgpr_flat_scratch_init 0
		.amdhsa_user_sgpr_private_segment_size 0
		.amdhsa_uses_dynamic_stack 0
		.amdhsa_system_sgpr_private_segment_wavefront_offset 0
		.amdhsa_system_sgpr_workgroup_id_x 1
		.amdhsa_system_sgpr_workgroup_id_y 0
		.amdhsa_system_sgpr_workgroup_id_z 0
		.amdhsa_system_sgpr_workgroup_info 0
		.amdhsa_system_vgpr_workitem_id 0
		.amdhsa_next_free_vgpr 1
		.amdhsa_next_free_sgpr 0
		.amdhsa_reserve_vcc 0
		.amdhsa_reserve_flat_scratch 0
		.amdhsa_float_round_mode_32 0
		.amdhsa_float_round_mode_16_64 0
		.amdhsa_float_denorm_mode_32 3
		.amdhsa_float_denorm_mode_16_64 3
		.amdhsa_dx10_clamp 1
		.amdhsa_ieee_mode 1
		.amdhsa_fp16_overflow 0
		.amdhsa_exception_fp_ieee_invalid_op 0
		.amdhsa_exception_fp_denorm_src 0
		.amdhsa_exception_fp_ieee_div_zero 0
		.amdhsa_exception_fp_ieee_overflow 0
		.amdhsa_exception_fp_ieee_underflow 0
		.amdhsa_exception_fp_ieee_inexact 0
		.amdhsa_exception_int_div_zero 0
	.end_amdhsa_kernel
	.section	.text._ZN7rocprim17ROCPRIM_400000_NS6detail17trampoline_kernelINS0_13select_configILj256ELj13ELNS0_17block_load_methodE3ELS4_3ELS4_3ELNS0_20block_scan_algorithmE0ELj4294967295EEENS1_25partition_config_selectorILNS1_17partition_subalgoE3EjNS0_10empty_typeEbEEZZNS1_14partition_implILS8_3ELb0ES6_jNS0_17counting_iteratorIjlEEPS9_SE_NS0_5tupleIJPjSE_EEENSF_IJSE_SE_EEES9_SG_JZNS1_25segmented_radix_sort_implINS0_14default_configELb1EPKhPhPKlPlN2at6native12_GLOBAL__N_18offset_tEEE10hipError_tPvRmT1_PNSt15iterator_traitsISY_E10value_typeET2_T3_PNSZ_IS14_E10value_typeET4_jRbjT5_S1A_jjP12ihipStream_tbEUljE_EEESV_SW_SX_S14_S18_S1A_T6_T7_T9_mT8_S1C_bDpT10_ENKUlT_T0_E_clISt17integral_constantIbLb1EES1O_IbLb0EEEEDaS1K_S1L_EUlS1K_E_NS1_11comp_targetILNS1_3genE9ELNS1_11target_archE1100ELNS1_3gpuE3ELNS1_3repE0EEENS1_30default_config_static_selectorELNS0_4arch9wavefront6targetE1EEEvSY_,"axG",@progbits,_ZN7rocprim17ROCPRIM_400000_NS6detail17trampoline_kernelINS0_13select_configILj256ELj13ELNS0_17block_load_methodE3ELS4_3ELS4_3ELNS0_20block_scan_algorithmE0ELj4294967295EEENS1_25partition_config_selectorILNS1_17partition_subalgoE3EjNS0_10empty_typeEbEEZZNS1_14partition_implILS8_3ELb0ES6_jNS0_17counting_iteratorIjlEEPS9_SE_NS0_5tupleIJPjSE_EEENSF_IJSE_SE_EEES9_SG_JZNS1_25segmented_radix_sort_implINS0_14default_configELb1EPKhPhPKlPlN2at6native12_GLOBAL__N_18offset_tEEE10hipError_tPvRmT1_PNSt15iterator_traitsISY_E10value_typeET2_T3_PNSZ_IS14_E10value_typeET4_jRbjT5_S1A_jjP12ihipStream_tbEUljE_EEESV_SW_SX_S14_S18_S1A_T6_T7_T9_mT8_S1C_bDpT10_ENKUlT_T0_E_clISt17integral_constantIbLb1EES1O_IbLb0EEEEDaS1K_S1L_EUlS1K_E_NS1_11comp_targetILNS1_3genE9ELNS1_11target_archE1100ELNS1_3gpuE3ELNS1_3repE0EEENS1_30default_config_static_selectorELNS0_4arch9wavefront6targetE1EEEvSY_,comdat
.Lfunc_end72:
	.size	_ZN7rocprim17ROCPRIM_400000_NS6detail17trampoline_kernelINS0_13select_configILj256ELj13ELNS0_17block_load_methodE3ELS4_3ELS4_3ELNS0_20block_scan_algorithmE0ELj4294967295EEENS1_25partition_config_selectorILNS1_17partition_subalgoE3EjNS0_10empty_typeEbEEZZNS1_14partition_implILS8_3ELb0ES6_jNS0_17counting_iteratorIjlEEPS9_SE_NS0_5tupleIJPjSE_EEENSF_IJSE_SE_EEES9_SG_JZNS1_25segmented_radix_sort_implINS0_14default_configELb1EPKhPhPKlPlN2at6native12_GLOBAL__N_18offset_tEEE10hipError_tPvRmT1_PNSt15iterator_traitsISY_E10value_typeET2_T3_PNSZ_IS14_E10value_typeET4_jRbjT5_S1A_jjP12ihipStream_tbEUljE_EEESV_SW_SX_S14_S18_S1A_T6_T7_T9_mT8_S1C_bDpT10_ENKUlT_T0_E_clISt17integral_constantIbLb1EES1O_IbLb0EEEEDaS1K_S1L_EUlS1K_E_NS1_11comp_targetILNS1_3genE9ELNS1_11target_archE1100ELNS1_3gpuE3ELNS1_3repE0EEENS1_30default_config_static_selectorELNS0_4arch9wavefront6targetE1EEEvSY_, .Lfunc_end72-_ZN7rocprim17ROCPRIM_400000_NS6detail17trampoline_kernelINS0_13select_configILj256ELj13ELNS0_17block_load_methodE3ELS4_3ELS4_3ELNS0_20block_scan_algorithmE0ELj4294967295EEENS1_25partition_config_selectorILNS1_17partition_subalgoE3EjNS0_10empty_typeEbEEZZNS1_14partition_implILS8_3ELb0ES6_jNS0_17counting_iteratorIjlEEPS9_SE_NS0_5tupleIJPjSE_EEENSF_IJSE_SE_EEES9_SG_JZNS1_25segmented_radix_sort_implINS0_14default_configELb1EPKhPhPKlPlN2at6native12_GLOBAL__N_18offset_tEEE10hipError_tPvRmT1_PNSt15iterator_traitsISY_E10value_typeET2_T3_PNSZ_IS14_E10value_typeET4_jRbjT5_S1A_jjP12ihipStream_tbEUljE_EEESV_SW_SX_S14_S18_S1A_T6_T7_T9_mT8_S1C_bDpT10_ENKUlT_T0_E_clISt17integral_constantIbLb1EES1O_IbLb0EEEEDaS1K_S1L_EUlS1K_E_NS1_11comp_targetILNS1_3genE9ELNS1_11target_archE1100ELNS1_3gpuE3ELNS1_3repE0EEENS1_30default_config_static_selectorELNS0_4arch9wavefront6targetE1EEEvSY_
                                        ; -- End function
	.set _ZN7rocprim17ROCPRIM_400000_NS6detail17trampoline_kernelINS0_13select_configILj256ELj13ELNS0_17block_load_methodE3ELS4_3ELS4_3ELNS0_20block_scan_algorithmE0ELj4294967295EEENS1_25partition_config_selectorILNS1_17partition_subalgoE3EjNS0_10empty_typeEbEEZZNS1_14partition_implILS8_3ELb0ES6_jNS0_17counting_iteratorIjlEEPS9_SE_NS0_5tupleIJPjSE_EEENSF_IJSE_SE_EEES9_SG_JZNS1_25segmented_radix_sort_implINS0_14default_configELb1EPKhPhPKlPlN2at6native12_GLOBAL__N_18offset_tEEE10hipError_tPvRmT1_PNSt15iterator_traitsISY_E10value_typeET2_T3_PNSZ_IS14_E10value_typeET4_jRbjT5_S1A_jjP12ihipStream_tbEUljE_EEESV_SW_SX_S14_S18_S1A_T6_T7_T9_mT8_S1C_bDpT10_ENKUlT_T0_E_clISt17integral_constantIbLb1EES1O_IbLb0EEEEDaS1K_S1L_EUlS1K_E_NS1_11comp_targetILNS1_3genE9ELNS1_11target_archE1100ELNS1_3gpuE3ELNS1_3repE0EEENS1_30default_config_static_selectorELNS0_4arch9wavefront6targetE1EEEvSY_.num_vgpr, 0
	.set _ZN7rocprim17ROCPRIM_400000_NS6detail17trampoline_kernelINS0_13select_configILj256ELj13ELNS0_17block_load_methodE3ELS4_3ELS4_3ELNS0_20block_scan_algorithmE0ELj4294967295EEENS1_25partition_config_selectorILNS1_17partition_subalgoE3EjNS0_10empty_typeEbEEZZNS1_14partition_implILS8_3ELb0ES6_jNS0_17counting_iteratorIjlEEPS9_SE_NS0_5tupleIJPjSE_EEENSF_IJSE_SE_EEES9_SG_JZNS1_25segmented_radix_sort_implINS0_14default_configELb1EPKhPhPKlPlN2at6native12_GLOBAL__N_18offset_tEEE10hipError_tPvRmT1_PNSt15iterator_traitsISY_E10value_typeET2_T3_PNSZ_IS14_E10value_typeET4_jRbjT5_S1A_jjP12ihipStream_tbEUljE_EEESV_SW_SX_S14_S18_S1A_T6_T7_T9_mT8_S1C_bDpT10_ENKUlT_T0_E_clISt17integral_constantIbLb1EES1O_IbLb0EEEEDaS1K_S1L_EUlS1K_E_NS1_11comp_targetILNS1_3genE9ELNS1_11target_archE1100ELNS1_3gpuE3ELNS1_3repE0EEENS1_30default_config_static_selectorELNS0_4arch9wavefront6targetE1EEEvSY_.num_agpr, 0
	.set _ZN7rocprim17ROCPRIM_400000_NS6detail17trampoline_kernelINS0_13select_configILj256ELj13ELNS0_17block_load_methodE3ELS4_3ELS4_3ELNS0_20block_scan_algorithmE0ELj4294967295EEENS1_25partition_config_selectorILNS1_17partition_subalgoE3EjNS0_10empty_typeEbEEZZNS1_14partition_implILS8_3ELb0ES6_jNS0_17counting_iteratorIjlEEPS9_SE_NS0_5tupleIJPjSE_EEENSF_IJSE_SE_EEES9_SG_JZNS1_25segmented_radix_sort_implINS0_14default_configELb1EPKhPhPKlPlN2at6native12_GLOBAL__N_18offset_tEEE10hipError_tPvRmT1_PNSt15iterator_traitsISY_E10value_typeET2_T3_PNSZ_IS14_E10value_typeET4_jRbjT5_S1A_jjP12ihipStream_tbEUljE_EEESV_SW_SX_S14_S18_S1A_T6_T7_T9_mT8_S1C_bDpT10_ENKUlT_T0_E_clISt17integral_constantIbLb1EES1O_IbLb0EEEEDaS1K_S1L_EUlS1K_E_NS1_11comp_targetILNS1_3genE9ELNS1_11target_archE1100ELNS1_3gpuE3ELNS1_3repE0EEENS1_30default_config_static_selectorELNS0_4arch9wavefront6targetE1EEEvSY_.numbered_sgpr, 0
	.set _ZN7rocprim17ROCPRIM_400000_NS6detail17trampoline_kernelINS0_13select_configILj256ELj13ELNS0_17block_load_methodE3ELS4_3ELS4_3ELNS0_20block_scan_algorithmE0ELj4294967295EEENS1_25partition_config_selectorILNS1_17partition_subalgoE3EjNS0_10empty_typeEbEEZZNS1_14partition_implILS8_3ELb0ES6_jNS0_17counting_iteratorIjlEEPS9_SE_NS0_5tupleIJPjSE_EEENSF_IJSE_SE_EEES9_SG_JZNS1_25segmented_radix_sort_implINS0_14default_configELb1EPKhPhPKlPlN2at6native12_GLOBAL__N_18offset_tEEE10hipError_tPvRmT1_PNSt15iterator_traitsISY_E10value_typeET2_T3_PNSZ_IS14_E10value_typeET4_jRbjT5_S1A_jjP12ihipStream_tbEUljE_EEESV_SW_SX_S14_S18_S1A_T6_T7_T9_mT8_S1C_bDpT10_ENKUlT_T0_E_clISt17integral_constantIbLb1EES1O_IbLb0EEEEDaS1K_S1L_EUlS1K_E_NS1_11comp_targetILNS1_3genE9ELNS1_11target_archE1100ELNS1_3gpuE3ELNS1_3repE0EEENS1_30default_config_static_selectorELNS0_4arch9wavefront6targetE1EEEvSY_.num_named_barrier, 0
	.set _ZN7rocprim17ROCPRIM_400000_NS6detail17trampoline_kernelINS0_13select_configILj256ELj13ELNS0_17block_load_methodE3ELS4_3ELS4_3ELNS0_20block_scan_algorithmE0ELj4294967295EEENS1_25partition_config_selectorILNS1_17partition_subalgoE3EjNS0_10empty_typeEbEEZZNS1_14partition_implILS8_3ELb0ES6_jNS0_17counting_iteratorIjlEEPS9_SE_NS0_5tupleIJPjSE_EEENSF_IJSE_SE_EEES9_SG_JZNS1_25segmented_radix_sort_implINS0_14default_configELb1EPKhPhPKlPlN2at6native12_GLOBAL__N_18offset_tEEE10hipError_tPvRmT1_PNSt15iterator_traitsISY_E10value_typeET2_T3_PNSZ_IS14_E10value_typeET4_jRbjT5_S1A_jjP12ihipStream_tbEUljE_EEESV_SW_SX_S14_S18_S1A_T6_T7_T9_mT8_S1C_bDpT10_ENKUlT_T0_E_clISt17integral_constantIbLb1EES1O_IbLb0EEEEDaS1K_S1L_EUlS1K_E_NS1_11comp_targetILNS1_3genE9ELNS1_11target_archE1100ELNS1_3gpuE3ELNS1_3repE0EEENS1_30default_config_static_selectorELNS0_4arch9wavefront6targetE1EEEvSY_.private_seg_size, 0
	.set _ZN7rocprim17ROCPRIM_400000_NS6detail17trampoline_kernelINS0_13select_configILj256ELj13ELNS0_17block_load_methodE3ELS4_3ELS4_3ELNS0_20block_scan_algorithmE0ELj4294967295EEENS1_25partition_config_selectorILNS1_17partition_subalgoE3EjNS0_10empty_typeEbEEZZNS1_14partition_implILS8_3ELb0ES6_jNS0_17counting_iteratorIjlEEPS9_SE_NS0_5tupleIJPjSE_EEENSF_IJSE_SE_EEES9_SG_JZNS1_25segmented_radix_sort_implINS0_14default_configELb1EPKhPhPKlPlN2at6native12_GLOBAL__N_18offset_tEEE10hipError_tPvRmT1_PNSt15iterator_traitsISY_E10value_typeET2_T3_PNSZ_IS14_E10value_typeET4_jRbjT5_S1A_jjP12ihipStream_tbEUljE_EEESV_SW_SX_S14_S18_S1A_T6_T7_T9_mT8_S1C_bDpT10_ENKUlT_T0_E_clISt17integral_constantIbLb1EES1O_IbLb0EEEEDaS1K_S1L_EUlS1K_E_NS1_11comp_targetILNS1_3genE9ELNS1_11target_archE1100ELNS1_3gpuE3ELNS1_3repE0EEENS1_30default_config_static_selectorELNS0_4arch9wavefront6targetE1EEEvSY_.uses_vcc, 0
	.set _ZN7rocprim17ROCPRIM_400000_NS6detail17trampoline_kernelINS0_13select_configILj256ELj13ELNS0_17block_load_methodE3ELS4_3ELS4_3ELNS0_20block_scan_algorithmE0ELj4294967295EEENS1_25partition_config_selectorILNS1_17partition_subalgoE3EjNS0_10empty_typeEbEEZZNS1_14partition_implILS8_3ELb0ES6_jNS0_17counting_iteratorIjlEEPS9_SE_NS0_5tupleIJPjSE_EEENSF_IJSE_SE_EEES9_SG_JZNS1_25segmented_radix_sort_implINS0_14default_configELb1EPKhPhPKlPlN2at6native12_GLOBAL__N_18offset_tEEE10hipError_tPvRmT1_PNSt15iterator_traitsISY_E10value_typeET2_T3_PNSZ_IS14_E10value_typeET4_jRbjT5_S1A_jjP12ihipStream_tbEUljE_EEESV_SW_SX_S14_S18_S1A_T6_T7_T9_mT8_S1C_bDpT10_ENKUlT_T0_E_clISt17integral_constantIbLb1EES1O_IbLb0EEEEDaS1K_S1L_EUlS1K_E_NS1_11comp_targetILNS1_3genE9ELNS1_11target_archE1100ELNS1_3gpuE3ELNS1_3repE0EEENS1_30default_config_static_selectorELNS0_4arch9wavefront6targetE1EEEvSY_.uses_flat_scratch, 0
	.set _ZN7rocprim17ROCPRIM_400000_NS6detail17trampoline_kernelINS0_13select_configILj256ELj13ELNS0_17block_load_methodE3ELS4_3ELS4_3ELNS0_20block_scan_algorithmE0ELj4294967295EEENS1_25partition_config_selectorILNS1_17partition_subalgoE3EjNS0_10empty_typeEbEEZZNS1_14partition_implILS8_3ELb0ES6_jNS0_17counting_iteratorIjlEEPS9_SE_NS0_5tupleIJPjSE_EEENSF_IJSE_SE_EEES9_SG_JZNS1_25segmented_radix_sort_implINS0_14default_configELb1EPKhPhPKlPlN2at6native12_GLOBAL__N_18offset_tEEE10hipError_tPvRmT1_PNSt15iterator_traitsISY_E10value_typeET2_T3_PNSZ_IS14_E10value_typeET4_jRbjT5_S1A_jjP12ihipStream_tbEUljE_EEESV_SW_SX_S14_S18_S1A_T6_T7_T9_mT8_S1C_bDpT10_ENKUlT_T0_E_clISt17integral_constantIbLb1EES1O_IbLb0EEEEDaS1K_S1L_EUlS1K_E_NS1_11comp_targetILNS1_3genE9ELNS1_11target_archE1100ELNS1_3gpuE3ELNS1_3repE0EEENS1_30default_config_static_selectorELNS0_4arch9wavefront6targetE1EEEvSY_.has_dyn_sized_stack, 0
	.set _ZN7rocprim17ROCPRIM_400000_NS6detail17trampoline_kernelINS0_13select_configILj256ELj13ELNS0_17block_load_methodE3ELS4_3ELS4_3ELNS0_20block_scan_algorithmE0ELj4294967295EEENS1_25partition_config_selectorILNS1_17partition_subalgoE3EjNS0_10empty_typeEbEEZZNS1_14partition_implILS8_3ELb0ES6_jNS0_17counting_iteratorIjlEEPS9_SE_NS0_5tupleIJPjSE_EEENSF_IJSE_SE_EEES9_SG_JZNS1_25segmented_radix_sort_implINS0_14default_configELb1EPKhPhPKlPlN2at6native12_GLOBAL__N_18offset_tEEE10hipError_tPvRmT1_PNSt15iterator_traitsISY_E10value_typeET2_T3_PNSZ_IS14_E10value_typeET4_jRbjT5_S1A_jjP12ihipStream_tbEUljE_EEESV_SW_SX_S14_S18_S1A_T6_T7_T9_mT8_S1C_bDpT10_ENKUlT_T0_E_clISt17integral_constantIbLb1EES1O_IbLb0EEEEDaS1K_S1L_EUlS1K_E_NS1_11comp_targetILNS1_3genE9ELNS1_11target_archE1100ELNS1_3gpuE3ELNS1_3repE0EEENS1_30default_config_static_selectorELNS0_4arch9wavefront6targetE1EEEvSY_.has_recursion, 0
	.set _ZN7rocprim17ROCPRIM_400000_NS6detail17trampoline_kernelINS0_13select_configILj256ELj13ELNS0_17block_load_methodE3ELS4_3ELS4_3ELNS0_20block_scan_algorithmE0ELj4294967295EEENS1_25partition_config_selectorILNS1_17partition_subalgoE3EjNS0_10empty_typeEbEEZZNS1_14partition_implILS8_3ELb0ES6_jNS0_17counting_iteratorIjlEEPS9_SE_NS0_5tupleIJPjSE_EEENSF_IJSE_SE_EEES9_SG_JZNS1_25segmented_radix_sort_implINS0_14default_configELb1EPKhPhPKlPlN2at6native12_GLOBAL__N_18offset_tEEE10hipError_tPvRmT1_PNSt15iterator_traitsISY_E10value_typeET2_T3_PNSZ_IS14_E10value_typeET4_jRbjT5_S1A_jjP12ihipStream_tbEUljE_EEESV_SW_SX_S14_S18_S1A_T6_T7_T9_mT8_S1C_bDpT10_ENKUlT_T0_E_clISt17integral_constantIbLb1EES1O_IbLb0EEEEDaS1K_S1L_EUlS1K_E_NS1_11comp_targetILNS1_3genE9ELNS1_11target_archE1100ELNS1_3gpuE3ELNS1_3repE0EEENS1_30default_config_static_selectorELNS0_4arch9wavefront6targetE1EEEvSY_.has_indirect_call, 0
	.section	.AMDGPU.csdata,"",@progbits
; Kernel info:
; codeLenInByte = 0
; TotalNumSgprs: 4
; NumVgprs: 0
; ScratchSize: 0
; MemoryBound: 0
; FloatMode: 240
; IeeeMode: 1
; LDSByteSize: 0 bytes/workgroup (compile time only)
; SGPRBlocks: 0
; VGPRBlocks: 0
; NumSGPRsForWavesPerEU: 4
; NumVGPRsForWavesPerEU: 1
; Occupancy: 10
; WaveLimiterHint : 0
; COMPUTE_PGM_RSRC2:SCRATCH_EN: 0
; COMPUTE_PGM_RSRC2:USER_SGPR: 6
; COMPUTE_PGM_RSRC2:TRAP_HANDLER: 0
; COMPUTE_PGM_RSRC2:TGID_X_EN: 1
; COMPUTE_PGM_RSRC2:TGID_Y_EN: 0
; COMPUTE_PGM_RSRC2:TGID_Z_EN: 0
; COMPUTE_PGM_RSRC2:TIDIG_COMP_CNT: 0
	.section	.text._ZN7rocprim17ROCPRIM_400000_NS6detail17trampoline_kernelINS0_13select_configILj256ELj13ELNS0_17block_load_methodE3ELS4_3ELS4_3ELNS0_20block_scan_algorithmE0ELj4294967295EEENS1_25partition_config_selectorILNS1_17partition_subalgoE3EjNS0_10empty_typeEbEEZZNS1_14partition_implILS8_3ELb0ES6_jNS0_17counting_iteratorIjlEEPS9_SE_NS0_5tupleIJPjSE_EEENSF_IJSE_SE_EEES9_SG_JZNS1_25segmented_radix_sort_implINS0_14default_configELb1EPKhPhPKlPlN2at6native12_GLOBAL__N_18offset_tEEE10hipError_tPvRmT1_PNSt15iterator_traitsISY_E10value_typeET2_T3_PNSZ_IS14_E10value_typeET4_jRbjT5_S1A_jjP12ihipStream_tbEUljE_EEESV_SW_SX_S14_S18_S1A_T6_T7_T9_mT8_S1C_bDpT10_ENKUlT_T0_E_clISt17integral_constantIbLb1EES1O_IbLb0EEEEDaS1K_S1L_EUlS1K_E_NS1_11comp_targetILNS1_3genE8ELNS1_11target_archE1030ELNS1_3gpuE2ELNS1_3repE0EEENS1_30default_config_static_selectorELNS0_4arch9wavefront6targetE1EEEvSY_,"axG",@progbits,_ZN7rocprim17ROCPRIM_400000_NS6detail17trampoline_kernelINS0_13select_configILj256ELj13ELNS0_17block_load_methodE3ELS4_3ELS4_3ELNS0_20block_scan_algorithmE0ELj4294967295EEENS1_25partition_config_selectorILNS1_17partition_subalgoE3EjNS0_10empty_typeEbEEZZNS1_14partition_implILS8_3ELb0ES6_jNS0_17counting_iteratorIjlEEPS9_SE_NS0_5tupleIJPjSE_EEENSF_IJSE_SE_EEES9_SG_JZNS1_25segmented_radix_sort_implINS0_14default_configELb1EPKhPhPKlPlN2at6native12_GLOBAL__N_18offset_tEEE10hipError_tPvRmT1_PNSt15iterator_traitsISY_E10value_typeET2_T3_PNSZ_IS14_E10value_typeET4_jRbjT5_S1A_jjP12ihipStream_tbEUljE_EEESV_SW_SX_S14_S18_S1A_T6_T7_T9_mT8_S1C_bDpT10_ENKUlT_T0_E_clISt17integral_constantIbLb1EES1O_IbLb0EEEEDaS1K_S1L_EUlS1K_E_NS1_11comp_targetILNS1_3genE8ELNS1_11target_archE1030ELNS1_3gpuE2ELNS1_3repE0EEENS1_30default_config_static_selectorELNS0_4arch9wavefront6targetE1EEEvSY_,comdat
	.globl	_ZN7rocprim17ROCPRIM_400000_NS6detail17trampoline_kernelINS0_13select_configILj256ELj13ELNS0_17block_load_methodE3ELS4_3ELS4_3ELNS0_20block_scan_algorithmE0ELj4294967295EEENS1_25partition_config_selectorILNS1_17partition_subalgoE3EjNS0_10empty_typeEbEEZZNS1_14partition_implILS8_3ELb0ES6_jNS0_17counting_iteratorIjlEEPS9_SE_NS0_5tupleIJPjSE_EEENSF_IJSE_SE_EEES9_SG_JZNS1_25segmented_radix_sort_implINS0_14default_configELb1EPKhPhPKlPlN2at6native12_GLOBAL__N_18offset_tEEE10hipError_tPvRmT1_PNSt15iterator_traitsISY_E10value_typeET2_T3_PNSZ_IS14_E10value_typeET4_jRbjT5_S1A_jjP12ihipStream_tbEUljE_EEESV_SW_SX_S14_S18_S1A_T6_T7_T9_mT8_S1C_bDpT10_ENKUlT_T0_E_clISt17integral_constantIbLb1EES1O_IbLb0EEEEDaS1K_S1L_EUlS1K_E_NS1_11comp_targetILNS1_3genE8ELNS1_11target_archE1030ELNS1_3gpuE2ELNS1_3repE0EEENS1_30default_config_static_selectorELNS0_4arch9wavefront6targetE1EEEvSY_ ; -- Begin function _ZN7rocprim17ROCPRIM_400000_NS6detail17trampoline_kernelINS0_13select_configILj256ELj13ELNS0_17block_load_methodE3ELS4_3ELS4_3ELNS0_20block_scan_algorithmE0ELj4294967295EEENS1_25partition_config_selectorILNS1_17partition_subalgoE3EjNS0_10empty_typeEbEEZZNS1_14partition_implILS8_3ELb0ES6_jNS0_17counting_iteratorIjlEEPS9_SE_NS0_5tupleIJPjSE_EEENSF_IJSE_SE_EEES9_SG_JZNS1_25segmented_radix_sort_implINS0_14default_configELb1EPKhPhPKlPlN2at6native12_GLOBAL__N_18offset_tEEE10hipError_tPvRmT1_PNSt15iterator_traitsISY_E10value_typeET2_T3_PNSZ_IS14_E10value_typeET4_jRbjT5_S1A_jjP12ihipStream_tbEUljE_EEESV_SW_SX_S14_S18_S1A_T6_T7_T9_mT8_S1C_bDpT10_ENKUlT_T0_E_clISt17integral_constantIbLb1EES1O_IbLb0EEEEDaS1K_S1L_EUlS1K_E_NS1_11comp_targetILNS1_3genE8ELNS1_11target_archE1030ELNS1_3gpuE2ELNS1_3repE0EEENS1_30default_config_static_selectorELNS0_4arch9wavefront6targetE1EEEvSY_
	.p2align	8
	.type	_ZN7rocprim17ROCPRIM_400000_NS6detail17trampoline_kernelINS0_13select_configILj256ELj13ELNS0_17block_load_methodE3ELS4_3ELS4_3ELNS0_20block_scan_algorithmE0ELj4294967295EEENS1_25partition_config_selectorILNS1_17partition_subalgoE3EjNS0_10empty_typeEbEEZZNS1_14partition_implILS8_3ELb0ES6_jNS0_17counting_iteratorIjlEEPS9_SE_NS0_5tupleIJPjSE_EEENSF_IJSE_SE_EEES9_SG_JZNS1_25segmented_radix_sort_implINS0_14default_configELb1EPKhPhPKlPlN2at6native12_GLOBAL__N_18offset_tEEE10hipError_tPvRmT1_PNSt15iterator_traitsISY_E10value_typeET2_T3_PNSZ_IS14_E10value_typeET4_jRbjT5_S1A_jjP12ihipStream_tbEUljE_EEESV_SW_SX_S14_S18_S1A_T6_T7_T9_mT8_S1C_bDpT10_ENKUlT_T0_E_clISt17integral_constantIbLb1EES1O_IbLb0EEEEDaS1K_S1L_EUlS1K_E_NS1_11comp_targetILNS1_3genE8ELNS1_11target_archE1030ELNS1_3gpuE2ELNS1_3repE0EEENS1_30default_config_static_selectorELNS0_4arch9wavefront6targetE1EEEvSY_,@function
_ZN7rocprim17ROCPRIM_400000_NS6detail17trampoline_kernelINS0_13select_configILj256ELj13ELNS0_17block_load_methodE3ELS4_3ELS4_3ELNS0_20block_scan_algorithmE0ELj4294967295EEENS1_25partition_config_selectorILNS1_17partition_subalgoE3EjNS0_10empty_typeEbEEZZNS1_14partition_implILS8_3ELb0ES6_jNS0_17counting_iteratorIjlEEPS9_SE_NS0_5tupleIJPjSE_EEENSF_IJSE_SE_EEES9_SG_JZNS1_25segmented_radix_sort_implINS0_14default_configELb1EPKhPhPKlPlN2at6native12_GLOBAL__N_18offset_tEEE10hipError_tPvRmT1_PNSt15iterator_traitsISY_E10value_typeET2_T3_PNSZ_IS14_E10value_typeET4_jRbjT5_S1A_jjP12ihipStream_tbEUljE_EEESV_SW_SX_S14_S18_S1A_T6_T7_T9_mT8_S1C_bDpT10_ENKUlT_T0_E_clISt17integral_constantIbLb1EES1O_IbLb0EEEEDaS1K_S1L_EUlS1K_E_NS1_11comp_targetILNS1_3genE8ELNS1_11target_archE1030ELNS1_3gpuE2ELNS1_3repE0EEENS1_30default_config_static_selectorELNS0_4arch9wavefront6targetE1EEEvSY_: ; @_ZN7rocprim17ROCPRIM_400000_NS6detail17trampoline_kernelINS0_13select_configILj256ELj13ELNS0_17block_load_methodE3ELS4_3ELS4_3ELNS0_20block_scan_algorithmE0ELj4294967295EEENS1_25partition_config_selectorILNS1_17partition_subalgoE3EjNS0_10empty_typeEbEEZZNS1_14partition_implILS8_3ELb0ES6_jNS0_17counting_iteratorIjlEEPS9_SE_NS0_5tupleIJPjSE_EEENSF_IJSE_SE_EEES9_SG_JZNS1_25segmented_radix_sort_implINS0_14default_configELb1EPKhPhPKlPlN2at6native12_GLOBAL__N_18offset_tEEE10hipError_tPvRmT1_PNSt15iterator_traitsISY_E10value_typeET2_T3_PNSZ_IS14_E10value_typeET4_jRbjT5_S1A_jjP12ihipStream_tbEUljE_EEESV_SW_SX_S14_S18_S1A_T6_T7_T9_mT8_S1C_bDpT10_ENKUlT_T0_E_clISt17integral_constantIbLb1EES1O_IbLb0EEEEDaS1K_S1L_EUlS1K_E_NS1_11comp_targetILNS1_3genE8ELNS1_11target_archE1030ELNS1_3gpuE2ELNS1_3repE0EEENS1_30default_config_static_selectorELNS0_4arch9wavefront6targetE1EEEvSY_
; %bb.0:
	.section	.rodata,"a",@progbits
	.p2align	6, 0x0
	.amdhsa_kernel _ZN7rocprim17ROCPRIM_400000_NS6detail17trampoline_kernelINS0_13select_configILj256ELj13ELNS0_17block_load_methodE3ELS4_3ELS4_3ELNS0_20block_scan_algorithmE0ELj4294967295EEENS1_25partition_config_selectorILNS1_17partition_subalgoE3EjNS0_10empty_typeEbEEZZNS1_14partition_implILS8_3ELb0ES6_jNS0_17counting_iteratorIjlEEPS9_SE_NS0_5tupleIJPjSE_EEENSF_IJSE_SE_EEES9_SG_JZNS1_25segmented_radix_sort_implINS0_14default_configELb1EPKhPhPKlPlN2at6native12_GLOBAL__N_18offset_tEEE10hipError_tPvRmT1_PNSt15iterator_traitsISY_E10value_typeET2_T3_PNSZ_IS14_E10value_typeET4_jRbjT5_S1A_jjP12ihipStream_tbEUljE_EEESV_SW_SX_S14_S18_S1A_T6_T7_T9_mT8_S1C_bDpT10_ENKUlT_T0_E_clISt17integral_constantIbLb1EES1O_IbLb0EEEEDaS1K_S1L_EUlS1K_E_NS1_11comp_targetILNS1_3genE8ELNS1_11target_archE1030ELNS1_3gpuE2ELNS1_3repE0EEENS1_30default_config_static_selectorELNS0_4arch9wavefront6targetE1EEEvSY_
		.amdhsa_group_segment_fixed_size 0
		.amdhsa_private_segment_fixed_size 0
		.amdhsa_kernarg_size 144
		.amdhsa_user_sgpr_count 6
		.amdhsa_user_sgpr_private_segment_buffer 1
		.amdhsa_user_sgpr_dispatch_ptr 0
		.amdhsa_user_sgpr_queue_ptr 0
		.amdhsa_user_sgpr_kernarg_segment_ptr 1
		.amdhsa_user_sgpr_dispatch_id 0
		.amdhsa_user_sgpr_flat_scratch_init 0
		.amdhsa_user_sgpr_private_segment_size 0
		.amdhsa_uses_dynamic_stack 0
		.amdhsa_system_sgpr_private_segment_wavefront_offset 0
		.amdhsa_system_sgpr_workgroup_id_x 1
		.amdhsa_system_sgpr_workgroup_id_y 0
		.amdhsa_system_sgpr_workgroup_id_z 0
		.amdhsa_system_sgpr_workgroup_info 0
		.amdhsa_system_vgpr_workitem_id 0
		.amdhsa_next_free_vgpr 1
		.amdhsa_next_free_sgpr 0
		.amdhsa_reserve_vcc 0
		.amdhsa_reserve_flat_scratch 0
		.amdhsa_float_round_mode_32 0
		.amdhsa_float_round_mode_16_64 0
		.amdhsa_float_denorm_mode_32 3
		.amdhsa_float_denorm_mode_16_64 3
		.amdhsa_dx10_clamp 1
		.amdhsa_ieee_mode 1
		.amdhsa_fp16_overflow 0
		.amdhsa_exception_fp_ieee_invalid_op 0
		.amdhsa_exception_fp_denorm_src 0
		.amdhsa_exception_fp_ieee_div_zero 0
		.amdhsa_exception_fp_ieee_overflow 0
		.amdhsa_exception_fp_ieee_underflow 0
		.amdhsa_exception_fp_ieee_inexact 0
		.amdhsa_exception_int_div_zero 0
	.end_amdhsa_kernel
	.section	.text._ZN7rocprim17ROCPRIM_400000_NS6detail17trampoline_kernelINS0_13select_configILj256ELj13ELNS0_17block_load_methodE3ELS4_3ELS4_3ELNS0_20block_scan_algorithmE0ELj4294967295EEENS1_25partition_config_selectorILNS1_17partition_subalgoE3EjNS0_10empty_typeEbEEZZNS1_14partition_implILS8_3ELb0ES6_jNS0_17counting_iteratorIjlEEPS9_SE_NS0_5tupleIJPjSE_EEENSF_IJSE_SE_EEES9_SG_JZNS1_25segmented_radix_sort_implINS0_14default_configELb1EPKhPhPKlPlN2at6native12_GLOBAL__N_18offset_tEEE10hipError_tPvRmT1_PNSt15iterator_traitsISY_E10value_typeET2_T3_PNSZ_IS14_E10value_typeET4_jRbjT5_S1A_jjP12ihipStream_tbEUljE_EEESV_SW_SX_S14_S18_S1A_T6_T7_T9_mT8_S1C_bDpT10_ENKUlT_T0_E_clISt17integral_constantIbLb1EES1O_IbLb0EEEEDaS1K_S1L_EUlS1K_E_NS1_11comp_targetILNS1_3genE8ELNS1_11target_archE1030ELNS1_3gpuE2ELNS1_3repE0EEENS1_30default_config_static_selectorELNS0_4arch9wavefront6targetE1EEEvSY_,"axG",@progbits,_ZN7rocprim17ROCPRIM_400000_NS6detail17trampoline_kernelINS0_13select_configILj256ELj13ELNS0_17block_load_methodE3ELS4_3ELS4_3ELNS0_20block_scan_algorithmE0ELj4294967295EEENS1_25partition_config_selectorILNS1_17partition_subalgoE3EjNS0_10empty_typeEbEEZZNS1_14partition_implILS8_3ELb0ES6_jNS0_17counting_iteratorIjlEEPS9_SE_NS0_5tupleIJPjSE_EEENSF_IJSE_SE_EEES9_SG_JZNS1_25segmented_radix_sort_implINS0_14default_configELb1EPKhPhPKlPlN2at6native12_GLOBAL__N_18offset_tEEE10hipError_tPvRmT1_PNSt15iterator_traitsISY_E10value_typeET2_T3_PNSZ_IS14_E10value_typeET4_jRbjT5_S1A_jjP12ihipStream_tbEUljE_EEESV_SW_SX_S14_S18_S1A_T6_T7_T9_mT8_S1C_bDpT10_ENKUlT_T0_E_clISt17integral_constantIbLb1EES1O_IbLb0EEEEDaS1K_S1L_EUlS1K_E_NS1_11comp_targetILNS1_3genE8ELNS1_11target_archE1030ELNS1_3gpuE2ELNS1_3repE0EEENS1_30default_config_static_selectorELNS0_4arch9wavefront6targetE1EEEvSY_,comdat
.Lfunc_end73:
	.size	_ZN7rocprim17ROCPRIM_400000_NS6detail17trampoline_kernelINS0_13select_configILj256ELj13ELNS0_17block_load_methodE3ELS4_3ELS4_3ELNS0_20block_scan_algorithmE0ELj4294967295EEENS1_25partition_config_selectorILNS1_17partition_subalgoE3EjNS0_10empty_typeEbEEZZNS1_14partition_implILS8_3ELb0ES6_jNS0_17counting_iteratorIjlEEPS9_SE_NS0_5tupleIJPjSE_EEENSF_IJSE_SE_EEES9_SG_JZNS1_25segmented_radix_sort_implINS0_14default_configELb1EPKhPhPKlPlN2at6native12_GLOBAL__N_18offset_tEEE10hipError_tPvRmT1_PNSt15iterator_traitsISY_E10value_typeET2_T3_PNSZ_IS14_E10value_typeET4_jRbjT5_S1A_jjP12ihipStream_tbEUljE_EEESV_SW_SX_S14_S18_S1A_T6_T7_T9_mT8_S1C_bDpT10_ENKUlT_T0_E_clISt17integral_constantIbLb1EES1O_IbLb0EEEEDaS1K_S1L_EUlS1K_E_NS1_11comp_targetILNS1_3genE8ELNS1_11target_archE1030ELNS1_3gpuE2ELNS1_3repE0EEENS1_30default_config_static_selectorELNS0_4arch9wavefront6targetE1EEEvSY_, .Lfunc_end73-_ZN7rocprim17ROCPRIM_400000_NS6detail17trampoline_kernelINS0_13select_configILj256ELj13ELNS0_17block_load_methodE3ELS4_3ELS4_3ELNS0_20block_scan_algorithmE0ELj4294967295EEENS1_25partition_config_selectorILNS1_17partition_subalgoE3EjNS0_10empty_typeEbEEZZNS1_14partition_implILS8_3ELb0ES6_jNS0_17counting_iteratorIjlEEPS9_SE_NS0_5tupleIJPjSE_EEENSF_IJSE_SE_EEES9_SG_JZNS1_25segmented_radix_sort_implINS0_14default_configELb1EPKhPhPKlPlN2at6native12_GLOBAL__N_18offset_tEEE10hipError_tPvRmT1_PNSt15iterator_traitsISY_E10value_typeET2_T3_PNSZ_IS14_E10value_typeET4_jRbjT5_S1A_jjP12ihipStream_tbEUljE_EEESV_SW_SX_S14_S18_S1A_T6_T7_T9_mT8_S1C_bDpT10_ENKUlT_T0_E_clISt17integral_constantIbLb1EES1O_IbLb0EEEEDaS1K_S1L_EUlS1K_E_NS1_11comp_targetILNS1_3genE8ELNS1_11target_archE1030ELNS1_3gpuE2ELNS1_3repE0EEENS1_30default_config_static_selectorELNS0_4arch9wavefront6targetE1EEEvSY_
                                        ; -- End function
	.set _ZN7rocprim17ROCPRIM_400000_NS6detail17trampoline_kernelINS0_13select_configILj256ELj13ELNS0_17block_load_methodE3ELS4_3ELS4_3ELNS0_20block_scan_algorithmE0ELj4294967295EEENS1_25partition_config_selectorILNS1_17partition_subalgoE3EjNS0_10empty_typeEbEEZZNS1_14partition_implILS8_3ELb0ES6_jNS0_17counting_iteratorIjlEEPS9_SE_NS0_5tupleIJPjSE_EEENSF_IJSE_SE_EEES9_SG_JZNS1_25segmented_radix_sort_implINS0_14default_configELb1EPKhPhPKlPlN2at6native12_GLOBAL__N_18offset_tEEE10hipError_tPvRmT1_PNSt15iterator_traitsISY_E10value_typeET2_T3_PNSZ_IS14_E10value_typeET4_jRbjT5_S1A_jjP12ihipStream_tbEUljE_EEESV_SW_SX_S14_S18_S1A_T6_T7_T9_mT8_S1C_bDpT10_ENKUlT_T0_E_clISt17integral_constantIbLb1EES1O_IbLb0EEEEDaS1K_S1L_EUlS1K_E_NS1_11comp_targetILNS1_3genE8ELNS1_11target_archE1030ELNS1_3gpuE2ELNS1_3repE0EEENS1_30default_config_static_selectorELNS0_4arch9wavefront6targetE1EEEvSY_.num_vgpr, 0
	.set _ZN7rocprim17ROCPRIM_400000_NS6detail17trampoline_kernelINS0_13select_configILj256ELj13ELNS0_17block_load_methodE3ELS4_3ELS4_3ELNS0_20block_scan_algorithmE0ELj4294967295EEENS1_25partition_config_selectorILNS1_17partition_subalgoE3EjNS0_10empty_typeEbEEZZNS1_14partition_implILS8_3ELb0ES6_jNS0_17counting_iteratorIjlEEPS9_SE_NS0_5tupleIJPjSE_EEENSF_IJSE_SE_EEES9_SG_JZNS1_25segmented_radix_sort_implINS0_14default_configELb1EPKhPhPKlPlN2at6native12_GLOBAL__N_18offset_tEEE10hipError_tPvRmT1_PNSt15iterator_traitsISY_E10value_typeET2_T3_PNSZ_IS14_E10value_typeET4_jRbjT5_S1A_jjP12ihipStream_tbEUljE_EEESV_SW_SX_S14_S18_S1A_T6_T7_T9_mT8_S1C_bDpT10_ENKUlT_T0_E_clISt17integral_constantIbLb1EES1O_IbLb0EEEEDaS1K_S1L_EUlS1K_E_NS1_11comp_targetILNS1_3genE8ELNS1_11target_archE1030ELNS1_3gpuE2ELNS1_3repE0EEENS1_30default_config_static_selectorELNS0_4arch9wavefront6targetE1EEEvSY_.num_agpr, 0
	.set _ZN7rocprim17ROCPRIM_400000_NS6detail17trampoline_kernelINS0_13select_configILj256ELj13ELNS0_17block_load_methodE3ELS4_3ELS4_3ELNS0_20block_scan_algorithmE0ELj4294967295EEENS1_25partition_config_selectorILNS1_17partition_subalgoE3EjNS0_10empty_typeEbEEZZNS1_14partition_implILS8_3ELb0ES6_jNS0_17counting_iteratorIjlEEPS9_SE_NS0_5tupleIJPjSE_EEENSF_IJSE_SE_EEES9_SG_JZNS1_25segmented_radix_sort_implINS0_14default_configELb1EPKhPhPKlPlN2at6native12_GLOBAL__N_18offset_tEEE10hipError_tPvRmT1_PNSt15iterator_traitsISY_E10value_typeET2_T3_PNSZ_IS14_E10value_typeET4_jRbjT5_S1A_jjP12ihipStream_tbEUljE_EEESV_SW_SX_S14_S18_S1A_T6_T7_T9_mT8_S1C_bDpT10_ENKUlT_T0_E_clISt17integral_constantIbLb1EES1O_IbLb0EEEEDaS1K_S1L_EUlS1K_E_NS1_11comp_targetILNS1_3genE8ELNS1_11target_archE1030ELNS1_3gpuE2ELNS1_3repE0EEENS1_30default_config_static_selectorELNS0_4arch9wavefront6targetE1EEEvSY_.numbered_sgpr, 0
	.set _ZN7rocprim17ROCPRIM_400000_NS6detail17trampoline_kernelINS0_13select_configILj256ELj13ELNS0_17block_load_methodE3ELS4_3ELS4_3ELNS0_20block_scan_algorithmE0ELj4294967295EEENS1_25partition_config_selectorILNS1_17partition_subalgoE3EjNS0_10empty_typeEbEEZZNS1_14partition_implILS8_3ELb0ES6_jNS0_17counting_iteratorIjlEEPS9_SE_NS0_5tupleIJPjSE_EEENSF_IJSE_SE_EEES9_SG_JZNS1_25segmented_radix_sort_implINS0_14default_configELb1EPKhPhPKlPlN2at6native12_GLOBAL__N_18offset_tEEE10hipError_tPvRmT1_PNSt15iterator_traitsISY_E10value_typeET2_T3_PNSZ_IS14_E10value_typeET4_jRbjT5_S1A_jjP12ihipStream_tbEUljE_EEESV_SW_SX_S14_S18_S1A_T6_T7_T9_mT8_S1C_bDpT10_ENKUlT_T0_E_clISt17integral_constantIbLb1EES1O_IbLb0EEEEDaS1K_S1L_EUlS1K_E_NS1_11comp_targetILNS1_3genE8ELNS1_11target_archE1030ELNS1_3gpuE2ELNS1_3repE0EEENS1_30default_config_static_selectorELNS0_4arch9wavefront6targetE1EEEvSY_.num_named_barrier, 0
	.set _ZN7rocprim17ROCPRIM_400000_NS6detail17trampoline_kernelINS0_13select_configILj256ELj13ELNS0_17block_load_methodE3ELS4_3ELS4_3ELNS0_20block_scan_algorithmE0ELj4294967295EEENS1_25partition_config_selectorILNS1_17partition_subalgoE3EjNS0_10empty_typeEbEEZZNS1_14partition_implILS8_3ELb0ES6_jNS0_17counting_iteratorIjlEEPS9_SE_NS0_5tupleIJPjSE_EEENSF_IJSE_SE_EEES9_SG_JZNS1_25segmented_radix_sort_implINS0_14default_configELb1EPKhPhPKlPlN2at6native12_GLOBAL__N_18offset_tEEE10hipError_tPvRmT1_PNSt15iterator_traitsISY_E10value_typeET2_T3_PNSZ_IS14_E10value_typeET4_jRbjT5_S1A_jjP12ihipStream_tbEUljE_EEESV_SW_SX_S14_S18_S1A_T6_T7_T9_mT8_S1C_bDpT10_ENKUlT_T0_E_clISt17integral_constantIbLb1EES1O_IbLb0EEEEDaS1K_S1L_EUlS1K_E_NS1_11comp_targetILNS1_3genE8ELNS1_11target_archE1030ELNS1_3gpuE2ELNS1_3repE0EEENS1_30default_config_static_selectorELNS0_4arch9wavefront6targetE1EEEvSY_.private_seg_size, 0
	.set _ZN7rocprim17ROCPRIM_400000_NS6detail17trampoline_kernelINS0_13select_configILj256ELj13ELNS0_17block_load_methodE3ELS4_3ELS4_3ELNS0_20block_scan_algorithmE0ELj4294967295EEENS1_25partition_config_selectorILNS1_17partition_subalgoE3EjNS0_10empty_typeEbEEZZNS1_14partition_implILS8_3ELb0ES6_jNS0_17counting_iteratorIjlEEPS9_SE_NS0_5tupleIJPjSE_EEENSF_IJSE_SE_EEES9_SG_JZNS1_25segmented_radix_sort_implINS0_14default_configELb1EPKhPhPKlPlN2at6native12_GLOBAL__N_18offset_tEEE10hipError_tPvRmT1_PNSt15iterator_traitsISY_E10value_typeET2_T3_PNSZ_IS14_E10value_typeET4_jRbjT5_S1A_jjP12ihipStream_tbEUljE_EEESV_SW_SX_S14_S18_S1A_T6_T7_T9_mT8_S1C_bDpT10_ENKUlT_T0_E_clISt17integral_constantIbLb1EES1O_IbLb0EEEEDaS1K_S1L_EUlS1K_E_NS1_11comp_targetILNS1_3genE8ELNS1_11target_archE1030ELNS1_3gpuE2ELNS1_3repE0EEENS1_30default_config_static_selectorELNS0_4arch9wavefront6targetE1EEEvSY_.uses_vcc, 0
	.set _ZN7rocprim17ROCPRIM_400000_NS6detail17trampoline_kernelINS0_13select_configILj256ELj13ELNS0_17block_load_methodE3ELS4_3ELS4_3ELNS0_20block_scan_algorithmE0ELj4294967295EEENS1_25partition_config_selectorILNS1_17partition_subalgoE3EjNS0_10empty_typeEbEEZZNS1_14partition_implILS8_3ELb0ES6_jNS0_17counting_iteratorIjlEEPS9_SE_NS0_5tupleIJPjSE_EEENSF_IJSE_SE_EEES9_SG_JZNS1_25segmented_radix_sort_implINS0_14default_configELb1EPKhPhPKlPlN2at6native12_GLOBAL__N_18offset_tEEE10hipError_tPvRmT1_PNSt15iterator_traitsISY_E10value_typeET2_T3_PNSZ_IS14_E10value_typeET4_jRbjT5_S1A_jjP12ihipStream_tbEUljE_EEESV_SW_SX_S14_S18_S1A_T6_T7_T9_mT8_S1C_bDpT10_ENKUlT_T0_E_clISt17integral_constantIbLb1EES1O_IbLb0EEEEDaS1K_S1L_EUlS1K_E_NS1_11comp_targetILNS1_3genE8ELNS1_11target_archE1030ELNS1_3gpuE2ELNS1_3repE0EEENS1_30default_config_static_selectorELNS0_4arch9wavefront6targetE1EEEvSY_.uses_flat_scratch, 0
	.set _ZN7rocprim17ROCPRIM_400000_NS6detail17trampoline_kernelINS0_13select_configILj256ELj13ELNS0_17block_load_methodE3ELS4_3ELS4_3ELNS0_20block_scan_algorithmE0ELj4294967295EEENS1_25partition_config_selectorILNS1_17partition_subalgoE3EjNS0_10empty_typeEbEEZZNS1_14partition_implILS8_3ELb0ES6_jNS0_17counting_iteratorIjlEEPS9_SE_NS0_5tupleIJPjSE_EEENSF_IJSE_SE_EEES9_SG_JZNS1_25segmented_radix_sort_implINS0_14default_configELb1EPKhPhPKlPlN2at6native12_GLOBAL__N_18offset_tEEE10hipError_tPvRmT1_PNSt15iterator_traitsISY_E10value_typeET2_T3_PNSZ_IS14_E10value_typeET4_jRbjT5_S1A_jjP12ihipStream_tbEUljE_EEESV_SW_SX_S14_S18_S1A_T6_T7_T9_mT8_S1C_bDpT10_ENKUlT_T0_E_clISt17integral_constantIbLb1EES1O_IbLb0EEEEDaS1K_S1L_EUlS1K_E_NS1_11comp_targetILNS1_3genE8ELNS1_11target_archE1030ELNS1_3gpuE2ELNS1_3repE0EEENS1_30default_config_static_selectorELNS0_4arch9wavefront6targetE1EEEvSY_.has_dyn_sized_stack, 0
	.set _ZN7rocprim17ROCPRIM_400000_NS6detail17trampoline_kernelINS0_13select_configILj256ELj13ELNS0_17block_load_methodE3ELS4_3ELS4_3ELNS0_20block_scan_algorithmE0ELj4294967295EEENS1_25partition_config_selectorILNS1_17partition_subalgoE3EjNS0_10empty_typeEbEEZZNS1_14partition_implILS8_3ELb0ES6_jNS0_17counting_iteratorIjlEEPS9_SE_NS0_5tupleIJPjSE_EEENSF_IJSE_SE_EEES9_SG_JZNS1_25segmented_radix_sort_implINS0_14default_configELb1EPKhPhPKlPlN2at6native12_GLOBAL__N_18offset_tEEE10hipError_tPvRmT1_PNSt15iterator_traitsISY_E10value_typeET2_T3_PNSZ_IS14_E10value_typeET4_jRbjT5_S1A_jjP12ihipStream_tbEUljE_EEESV_SW_SX_S14_S18_S1A_T6_T7_T9_mT8_S1C_bDpT10_ENKUlT_T0_E_clISt17integral_constantIbLb1EES1O_IbLb0EEEEDaS1K_S1L_EUlS1K_E_NS1_11comp_targetILNS1_3genE8ELNS1_11target_archE1030ELNS1_3gpuE2ELNS1_3repE0EEENS1_30default_config_static_selectorELNS0_4arch9wavefront6targetE1EEEvSY_.has_recursion, 0
	.set _ZN7rocprim17ROCPRIM_400000_NS6detail17trampoline_kernelINS0_13select_configILj256ELj13ELNS0_17block_load_methodE3ELS4_3ELS4_3ELNS0_20block_scan_algorithmE0ELj4294967295EEENS1_25partition_config_selectorILNS1_17partition_subalgoE3EjNS0_10empty_typeEbEEZZNS1_14partition_implILS8_3ELb0ES6_jNS0_17counting_iteratorIjlEEPS9_SE_NS0_5tupleIJPjSE_EEENSF_IJSE_SE_EEES9_SG_JZNS1_25segmented_radix_sort_implINS0_14default_configELb1EPKhPhPKlPlN2at6native12_GLOBAL__N_18offset_tEEE10hipError_tPvRmT1_PNSt15iterator_traitsISY_E10value_typeET2_T3_PNSZ_IS14_E10value_typeET4_jRbjT5_S1A_jjP12ihipStream_tbEUljE_EEESV_SW_SX_S14_S18_S1A_T6_T7_T9_mT8_S1C_bDpT10_ENKUlT_T0_E_clISt17integral_constantIbLb1EES1O_IbLb0EEEEDaS1K_S1L_EUlS1K_E_NS1_11comp_targetILNS1_3genE8ELNS1_11target_archE1030ELNS1_3gpuE2ELNS1_3repE0EEENS1_30default_config_static_selectorELNS0_4arch9wavefront6targetE1EEEvSY_.has_indirect_call, 0
	.section	.AMDGPU.csdata,"",@progbits
; Kernel info:
; codeLenInByte = 0
; TotalNumSgprs: 4
; NumVgprs: 0
; ScratchSize: 0
; MemoryBound: 0
; FloatMode: 240
; IeeeMode: 1
; LDSByteSize: 0 bytes/workgroup (compile time only)
; SGPRBlocks: 0
; VGPRBlocks: 0
; NumSGPRsForWavesPerEU: 4
; NumVGPRsForWavesPerEU: 1
; Occupancy: 10
; WaveLimiterHint : 0
; COMPUTE_PGM_RSRC2:SCRATCH_EN: 0
; COMPUTE_PGM_RSRC2:USER_SGPR: 6
; COMPUTE_PGM_RSRC2:TRAP_HANDLER: 0
; COMPUTE_PGM_RSRC2:TGID_X_EN: 1
; COMPUTE_PGM_RSRC2:TGID_Y_EN: 0
; COMPUTE_PGM_RSRC2:TGID_Z_EN: 0
; COMPUTE_PGM_RSRC2:TIDIG_COMP_CNT: 0
	.section	.text._ZN7rocprim17ROCPRIM_400000_NS6detail31init_lookback_scan_state_kernelINS1_19lookback_scan_stateIjLb0ELb1EEENS1_16block_id_wrapperIjLb1EEEEEvT_jT0_jPNS7_10value_typeE,"axG",@progbits,_ZN7rocprim17ROCPRIM_400000_NS6detail31init_lookback_scan_state_kernelINS1_19lookback_scan_stateIjLb0ELb1EEENS1_16block_id_wrapperIjLb1EEEEEvT_jT0_jPNS7_10value_typeE,comdat
	.protected	_ZN7rocprim17ROCPRIM_400000_NS6detail31init_lookback_scan_state_kernelINS1_19lookback_scan_stateIjLb0ELb1EEENS1_16block_id_wrapperIjLb1EEEEEvT_jT0_jPNS7_10value_typeE ; -- Begin function _ZN7rocprim17ROCPRIM_400000_NS6detail31init_lookback_scan_state_kernelINS1_19lookback_scan_stateIjLb0ELb1EEENS1_16block_id_wrapperIjLb1EEEEEvT_jT0_jPNS7_10value_typeE
	.globl	_ZN7rocprim17ROCPRIM_400000_NS6detail31init_lookback_scan_state_kernelINS1_19lookback_scan_stateIjLb0ELb1EEENS1_16block_id_wrapperIjLb1EEEEEvT_jT0_jPNS7_10value_typeE
	.p2align	8
	.type	_ZN7rocprim17ROCPRIM_400000_NS6detail31init_lookback_scan_state_kernelINS1_19lookback_scan_stateIjLb0ELb1EEENS1_16block_id_wrapperIjLb1EEEEEvT_jT0_jPNS7_10value_typeE,@function
_ZN7rocprim17ROCPRIM_400000_NS6detail31init_lookback_scan_state_kernelINS1_19lookback_scan_stateIjLb0ELb1EEENS1_16block_id_wrapperIjLb1EEEEEvT_jT0_jPNS7_10value_typeE: ; @_ZN7rocprim17ROCPRIM_400000_NS6detail31init_lookback_scan_state_kernelINS1_19lookback_scan_stateIjLb0ELb1EEENS1_16block_id_wrapperIjLb1EEEEEvT_jT0_jPNS7_10value_typeE
; %bb.0:
	s_load_dword s7, s[4:5], 0x34
	s_load_dwordx2 s[2:3], s[4:5], 0x20
	s_load_dwordx2 s[0:1], s[4:5], 0x0
	s_load_dword s10, s[4:5], 0x8
	s_waitcnt lgkmcnt(0)
	s_and_b32 s7, s7, 0xffff
	s_mul_i32 s6, s6, s7
	s_cmp_eq_u64 s[2:3], 0
	v_add_u32_e32 v0, s6, v0
	s_cbranch_scc1 .LBB74_6
; %bb.1:
	s_load_dword s8, s[4:5], 0x18
	s_mov_b32 s9, 0
	s_waitcnt lgkmcnt(0)
	s_cmp_lt_u32 s8, s10
	s_cselect_b32 s6, s8, 0
	v_cmp_eq_u32_e32 vcc, s6, v0
	s_and_saveexec_b64 s[6:7], vcc
	s_cbranch_execz .LBB74_5
; %bb.2:
	s_add_i32 s8, s8, 64
	s_lshl_b64 s[8:9], s[8:9], 3
	s_add_u32 s8, s0, s8
	s_addc_u32 s9, s1, s9
	v_mov_b32_e32 v3, 0
	global_load_dwordx2 v[1:2], v3, s[8:9] glc
	s_waitcnt vmcnt(0)
	v_and_b32_e32 v4, 0xff, v2
	v_cmp_ne_u64_e32 vcc, 0, v[3:4]
	s_cbranch_vccnz .LBB74_4
.LBB74_3:                               ; =>This Inner Loop Header: Depth=1
	global_load_dwordx2 v[1:2], v3, s[8:9] glc
	s_waitcnt vmcnt(0)
	v_and_b32_e32 v4, 0xff, v2
	v_cmp_eq_u64_e32 vcc, 0, v[3:4]
	s_cbranch_vccnz .LBB74_3
.LBB74_4:
	v_mov_b32_e32 v2, 0
	global_store_dword v2, v1, s[2:3]
.LBB74_5:
	s_or_b64 exec, exec, s[6:7]
.LBB74_6:
	v_cmp_eq_u32_e32 vcc, 0, v0
	s_and_saveexec_b64 s[2:3], vcc
	s_cbranch_execnz .LBB74_10
; %bb.7:
	s_or_b64 exec, exec, s[2:3]
	v_cmp_gt_u32_e32 vcc, s10, v0
	s_and_saveexec_b64 s[2:3], vcc
	s_cbranch_execnz .LBB74_11
.LBB74_8:
	s_or_b64 exec, exec, s[2:3]
	v_cmp_gt_u32_e32 vcc, 64, v0
	s_and_saveexec_b64 s[2:3], vcc
	s_cbranch_execnz .LBB74_12
.LBB74_9:
	s_endpgm
.LBB74_10:
	s_load_dwordx2 s[4:5], s[4:5], 0x10
	v_mov_b32_e32 v1, 0
	s_waitcnt lgkmcnt(0)
	global_store_dword v1, v1, s[4:5]
	s_or_b64 exec, exec, s[2:3]
	v_cmp_gt_u32_e32 vcc, s10, v0
	s_and_saveexec_b64 s[2:3], vcc
	s_cbranch_execz .LBB74_8
.LBB74_11:
	v_add_u32_e32 v1, 64, v0
	v_mov_b32_e32 v2, 0
	v_lshlrev_b64 v[3:4], 3, v[1:2]
	v_mov_b32_e32 v1, s1
	v_add_co_u32_e32 v3, vcc, s0, v3
	v_addc_co_u32_e32 v4, vcc, v1, v4, vcc
	v_mov_b32_e32 v1, v2
	global_store_dwordx2 v[3:4], v[1:2], off
	s_or_b64 exec, exec, s[2:3]
	v_cmp_gt_u32_e32 vcc, 64, v0
	s_and_saveexec_b64 s[2:3], vcc
	s_cbranch_execz .LBB74_9
.LBB74_12:
	v_mov_b32_e32 v1, 0
	v_lshlrev_b64 v[2:3], 3, v[0:1]
	v_mov_b32_e32 v0, s1
	v_add_co_u32_e32 v2, vcc, s0, v2
	v_addc_co_u32_e32 v3, vcc, v0, v3, vcc
	v_mov_b32_e32 v5, 0xff
	v_mov_b32_e32 v4, v1
	global_store_dwordx2 v[2:3], v[4:5], off
	s_endpgm
	.section	.rodata,"a",@progbits
	.p2align	6, 0x0
	.amdhsa_kernel _ZN7rocprim17ROCPRIM_400000_NS6detail31init_lookback_scan_state_kernelINS1_19lookback_scan_stateIjLb0ELb1EEENS1_16block_id_wrapperIjLb1EEEEEvT_jT0_jPNS7_10value_typeE
		.amdhsa_group_segment_fixed_size 0
		.amdhsa_private_segment_fixed_size 0
		.amdhsa_kernarg_size 296
		.amdhsa_user_sgpr_count 6
		.amdhsa_user_sgpr_private_segment_buffer 1
		.amdhsa_user_sgpr_dispatch_ptr 0
		.amdhsa_user_sgpr_queue_ptr 0
		.amdhsa_user_sgpr_kernarg_segment_ptr 1
		.amdhsa_user_sgpr_dispatch_id 0
		.amdhsa_user_sgpr_flat_scratch_init 0
		.amdhsa_user_sgpr_private_segment_size 0
		.amdhsa_uses_dynamic_stack 0
		.amdhsa_system_sgpr_private_segment_wavefront_offset 0
		.amdhsa_system_sgpr_workgroup_id_x 1
		.amdhsa_system_sgpr_workgroup_id_y 0
		.amdhsa_system_sgpr_workgroup_id_z 0
		.amdhsa_system_sgpr_workgroup_info 0
		.amdhsa_system_vgpr_workitem_id 0
		.amdhsa_next_free_vgpr 6
		.amdhsa_next_free_sgpr 11
		.amdhsa_reserve_vcc 1
		.amdhsa_reserve_flat_scratch 0
		.amdhsa_float_round_mode_32 0
		.amdhsa_float_round_mode_16_64 0
		.amdhsa_float_denorm_mode_32 3
		.amdhsa_float_denorm_mode_16_64 3
		.amdhsa_dx10_clamp 1
		.amdhsa_ieee_mode 1
		.amdhsa_fp16_overflow 0
		.amdhsa_exception_fp_ieee_invalid_op 0
		.amdhsa_exception_fp_denorm_src 0
		.amdhsa_exception_fp_ieee_div_zero 0
		.amdhsa_exception_fp_ieee_overflow 0
		.amdhsa_exception_fp_ieee_underflow 0
		.amdhsa_exception_fp_ieee_inexact 0
		.amdhsa_exception_int_div_zero 0
	.end_amdhsa_kernel
	.section	.text._ZN7rocprim17ROCPRIM_400000_NS6detail31init_lookback_scan_state_kernelINS1_19lookback_scan_stateIjLb0ELb1EEENS1_16block_id_wrapperIjLb1EEEEEvT_jT0_jPNS7_10value_typeE,"axG",@progbits,_ZN7rocprim17ROCPRIM_400000_NS6detail31init_lookback_scan_state_kernelINS1_19lookback_scan_stateIjLb0ELb1EEENS1_16block_id_wrapperIjLb1EEEEEvT_jT0_jPNS7_10value_typeE,comdat
.Lfunc_end74:
	.size	_ZN7rocprim17ROCPRIM_400000_NS6detail31init_lookback_scan_state_kernelINS1_19lookback_scan_stateIjLb0ELb1EEENS1_16block_id_wrapperIjLb1EEEEEvT_jT0_jPNS7_10value_typeE, .Lfunc_end74-_ZN7rocprim17ROCPRIM_400000_NS6detail31init_lookback_scan_state_kernelINS1_19lookback_scan_stateIjLb0ELb1EEENS1_16block_id_wrapperIjLb1EEEEEvT_jT0_jPNS7_10value_typeE
                                        ; -- End function
	.set _ZN7rocprim17ROCPRIM_400000_NS6detail31init_lookback_scan_state_kernelINS1_19lookback_scan_stateIjLb0ELb1EEENS1_16block_id_wrapperIjLb1EEEEEvT_jT0_jPNS7_10value_typeE.num_vgpr, 6
	.set _ZN7rocprim17ROCPRIM_400000_NS6detail31init_lookback_scan_state_kernelINS1_19lookback_scan_stateIjLb0ELb1EEENS1_16block_id_wrapperIjLb1EEEEEvT_jT0_jPNS7_10value_typeE.num_agpr, 0
	.set _ZN7rocprim17ROCPRIM_400000_NS6detail31init_lookback_scan_state_kernelINS1_19lookback_scan_stateIjLb0ELb1EEENS1_16block_id_wrapperIjLb1EEEEEvT_jT0_jPNS7_10value_typeE.numbered_sgpr, 11
	.set _ZN7rocprim17ROCPRIM_400000_NS6detail31init_lookback_scan_state_kernelINS1_19lookback_scan_stateIjLb0ELb1EEENS1_16block_id_wrapperIjLb1EEEEEvT_jT0_jPNS7_10value_typeE.num_named_barrier, 0
	.set _ZN7rocprim17ROCPRIM_400000_NS6detail31init_lookback_scan_state_kernelINS1_19lookback_scan_stateIjLb0ELb1EEENS1_16block_id_wrapperIjLb1EEEEEvT_jT0_jPNS7_10value_typeE.private_seg_size, 0
	.set _ZN7rocprim17ROCPRIM_400000_NS6detail31init_lookback_scan_state_kernelINS1_19lookback_scan_stateIjLb0ELb1EEENS1_16block_id_wrapperIjLb1EEEEEvT_jT0_jPNS7_10value_typeE.uses_vcc, 1
	.set _ZN7rocprim17ROCPRIM_400000_NS6detail31init_lookback_scan_state_kernelINS1_19lookback_scan_stateIjLb0ELb1EEENS1_16block_id_wrapperIjLb1EEEEEvT_jT0_jPNS7_10value_typeE.uses_flat_scratch, 0
	.set _ZN7rocprim17ROCPRIM_400000_NS6detail31init_lookback_scan_state_kernelINS1_19lookback_scan_stateIjLb0ELb1EEENS1_16block_id_wrapperIjLb1EEEEEvT_jT0_jPNS7_10value_typeE.has_dyn_sized_stack, 0
	.set _ZN7rocprim17ROCPRIM_400000_NS6detail31init_lookback_scan_state_kernelINS1_19lookback_scan_stateIjLb0ELb1EEENS1_16block_id_wrapperIjLb1EEEEEvT_jT0_jPNS7_10value_typeE.has_recursion, 0
	.set _ZN7rocprim17ROCPRIM_400000_NS6detail31init_lookback_scan_state_kernelINS1_19lookback_scan_stateIjLb0ELb1EEENS1_16block_id_wrapperIjLb1EEEEEvT_jT0_jPNS7_10value_typeE.has_indirect_call, 0
	.section	.AMDGPU.csdata,"",@progbits
; Kernel info:
; codeLenInByte = 380
; TotalNumSgprs: 15
; NumVgprs: 6
; ScratchSize: 0
; MemoryBound: 0
; FloatMode: 240
; IeeeMode: 1
; LDSByteSize: 0 bytes/workgroup (compile time only)
; SGPRBlocks: 1
; VGPRBlocks: 1
; NumSGPRsForWavesPerEU: 15
; NumVGPRsForWavesPerEU: 6
; Occupancy: 10
; WaveLimiterHint : 0
; COMPUTE_PGM_RSRC2:SCRATCH_EN: 0
; COMPUTE_PGM_RSRC2:USER_SGPR: 6
; COMPUTE_PGM_RSRC2:TRAP_HANDLER: 0
; COMPUTE_PGM_RSRC2:TGID_X_EN: 1
; COMPUTE_PGM_RSRC2:TGID_Y_EN: 0
; COMPUTE_PGM_RSRC2:TGID_Z_EN: 0
; COMPUTE_PGM_RSRC2:TIDIG_COMP_CNT: 0
	.section	.text._ZN7rocprim17ROCPRIM_400000_NS6detail17trampoline_kernelINS0_13select_configILj256ELj13ELNS0_17block_load_methodE3ELS4_3ELS4_3ELNS0_20block_scan_algorithmE0ELj4294967295EEENS1_25partition_config_selectorILNS1_17partition_subalgoE3EjNS0_10empty_typeEbEEZZNS1_14partition_implILS8_3ELb0ES6_jNS0_17counting_iteratorIjlEEPS9_SE_NS0_5tupleIJPjSE_EEENSF_IJSE_SE_EEES9_SG_JZNS1_25segmented_radix_sort_implINS0_14default_configELb1EPKhPhPKlPlN2at6native12_GLOBAL__N_18offset_tEEE10hipError_tPvRmT1_PNSt15iterator_traitsISY_E10value_typeET2_T3_PNSZ_IS14_E10value_typeET4_jRbjT5_S1A_jjP12ihipStream_tbEUljE_EEESV_SW_SX_S14_S18_S1A_T6_T7_T9_mT8_S1C_bDpT10_ENKUlT_T0_E_clISt17integral_constantIbLb0EES1O_IbLb1EEEEDaS1K_S1L_EUlS1K_E_NS1_11comp_targetILNS1_3genE0ELNS1_11target_archE4294967295ELNS1_3gpuE0ELNS1_3repE0EEENS1_30default_config_static_selectorELNS0_4arch9wavefront6targetE1EEEvSY_,"axG",@progbits,_ZN7rocprim17ROCPRIM_400000_NS6detail17trampoline_kernelINS0_13select_configILj256ELj13ELNS0_17block_load_methodE3ELS4_3ELS4_3ELNS0_20block_scan_algorithmE0ELj4294967295EEENS1_25partition_config_selectorILNS1_17partition_subalgoE3EjNS0_10empty_typeEbEEZZNS1_14partition_implILS8_3ELb0ES6_jNS0_17counting_iteratorIjlEEPS9_SE_NS0_5tupleIJPjSE_EEENSF_IJSE_SE_EEES9_SG_JZNS1_25segmented_radix_sort_implINS0_14default_configELb1EPKhPhPKlPlN2at6native12_GLOBAL__N_18offset_tEEE10hipError_tPvRmT1_PNSt15iterator_traitsISY_E10value_typeET2_T3_PNSZ_IS14_E10value_typeET4_jRbjT5_S1A_jjP12ihipStream_tbEUljE_EEESV_SW_SX_S14_S18_S1A_T6_T7_T9_mT8_S1C_bDpT10_ENKUlT_T0_E_clISt17integral_constantIbLb0EES1O_IbLb1EEEEDaS1K_S1L_EUlS1K_E_NS1_11comp_targetILNS1_3genE0ELNS1_11target_archE4294967295ELNS1_3gpuE0ELNS1_3repE0EEENS1_30default_config_static_selectorELNS0_4arch9wavefront6targetE1EEEvSY_,comdat
	.globl	_ZN7rocprim17ROCPRIM_400000_NS6detail17trampoline_kernelINS0_13select_configILj256ELj13ELNS0_17block_load_methodE3ELS4_3ELS4_3ELNS0_20block_scan_algorithmE0ELj4294967295EEENS1_25partition_config_selectorILNS1_17partition_subalgoE3EjNS0_10empty_typeEbEEZZNS1_14partition_implILS8_3ELb0ES6_jNS0_17counting_iteratorIjlEEPS9_SE_NS0_5tupleIJPjSE_EEENSF_IJSE_SE_EEES9_SG_JZNS1_25segmented_radix_sort_implINS0_14default_configELb1EPKhPhPKlPlN2at6native12_GLOBAL__N_18offset_tEEE10hipError_tPvRmT1_PNSt15iterator_traitsISY_E10value_typeET2_T3_PNSZ_IS14_E10value_typeET4_jRbjT5_S1A_jjP12ihipStream_tbEUljE_EEESV_SW_SX_S14_S18_S1A_T6_T7_T9_mT8_S1C_bDpT10_ENKUlT_T0_E_clISt17integral_constantIbLb0EES1O_IbLb1EEEEDaS1K_S1L_EUlS1K_E_NS1_11comp_targetILNS1_3genE0ELNS1_11target_archE4294967295ELNS1_3gpuE0ELNS1_3repE0EEENS1_30default_config_static_selectorELNS0_4arch9wavefront6targetE1EEEvSY_ ; -- Begin function _ZN7rocprim17ROCPRIM_400000_NS6detail17trampoline_kernelINS0_13select_configILj256ELj13ELNS0_17block_load_methodE3ELS4_3ELS4_3ELNS0_20block_scan_algorithmE0ELj4294967295EEENS1_25partition_config_selectorILNS1_17partition_subalgoE3EjNS0_10empty_typeEbEEZZNS1_14partition_implILS8_3ELb0ES6_jNS0_17counting_iteratorIjlEEPS9_SE_NS0_5tupleIJPjSE_EEENSF_IJSE_SE_EEES9_SG_JZNS1_25segmented_radix_sort_implINS0_14default_configELb1EPKhPhPKlPlN2at6native12_GLOBAL__N_18offset_tEEE10hipError_tPvRmT1_PNSt15iterator_traitsISY_E10value_typeET2_T3_PNSZ_IS14_E10value_typeET4_jRbjT5_S1A_jjP12ihipStream_tbEUljE_EEESV_SW_SX_S14_S18_S1A_T6_T7_T9_mT8_S1C_bDpT10_ENKUlT_T0_E_clISt17integral_constantIbLb0EES1O_IbLb1EEEEDaS1K_S1L_EUlS1K_E_NS1_11comp_targetILNS1_3genE0ELNS1_11target_archE4294967295ELNS1_3gpuE0ELNS1_3repE0EEENS1_30default_config_static_selectorELNS0_4arch9wavefront6targetE1EEEvSY_
	.p2align	8
	.type	_ZN7rocprim17ROCPRIM_400000_NS6detail17trampoline_kernelINS0_13select_configILj256ELj13ELNS0_17block_load_methodE3ELS4_3ELS4_3ELNS0_20block_scan_algorithmE0ELj4294967295EEENS1_25partition_config_selectorILNS1_17partition_subalgoE3EjNS0_10empty_typeEbEEZZNS1_14partition_implILS8_3ELb0ES6_jNS0_17counting_iteratorIjlEEPS9_SE_NS0_5tupleIJPjSE_EEENSF_IJSE_SE_EEES9_SG_JZNS1_25segmented_radix_sort_implINS0_14default_configELb1EPKhPhPKlPlN2at6native12_GLOBAL__N_18offset_tEEE10hipError_tPvRmT1_PNSt15iterator_traitsISY_E10value_typeET2_T3_PNSZ_IS14_E10value_typeET4_jRbjT5_S1A_jjP12ihipStream_tbEUljE_EEESV_SW_SX_S14_S18_S1A_T6_T7_T9_mT8_S1C_bDpT10_ENKUlT_T0_E_clISt17integral_constantIbLb0EES1O_IbLb1EEEEDaS1K_S1L_EUlS1K_E_NS1_11comp_targetILNS1_3genE0ELNS1_11target_archE4294967295ELNS1_3gpuE0ELNS1_3repE0EEENS1_30default_config_static_selectorELNS0_4arch9wavefront6targetE1EEEvSY_,@function
_ZN7rocprim17ROCPRIM_400000_NS6detail17trampoline_kernelINS0_13select_configILj256ELj13ELNS0_17block_load_methodE3ELS4_3ELS4_3ELNS0_20block_scan_algorithmE0ELj4294967295EEENS1_25partition_config_selectorILNS1_17partition_subalgoE3EjNS0_10empty_typeEbEEZZNS1_14partition_implILS8_3ELb0ES6_jNS0_17counting_iteratorIjlEEPS9_SE_NS0_5tupleIJPjSE_EEENSF_IJSE_SE_EEES9_SG_JZNS1_25segmented_radix_sort_implINS0_14default_configELb1EPKhPhPKlPlN2at6native12_GLOBAL__N_18offset_tEEE10hipError_tPvRmT1_PNSt15iterator_traitsISY_E10value_typeET2_T3_PNSZ_IS14_E10value_typeET4_jRbjT5_S1A_jjP12ihipStream_tbEUljE_EEESV_SW_SX_S14_S18_S1A_T6_T7_T9_mT8_S1C_bDpT10_ENKUlT_T0_E_clISt17integral_constantIbLb0EES1O_IbLb1EEEEDaS1K_S1L_EUlS1K_E_NS1_11comp_targetILNS1_3genE0ELNS1_11target_archE4294967295ELNS1_3gpuE0ELNS1_3repE0EEENS1_30default_config_static_selectorELNS0_4arch9wavefront6targetE1EEEvSY_: ; @_ZN7rocprim17ROCPRIM_400000_NS6detail17trampoline_kernelINS0_13select_configILj256ELj13ELNS0_17block_load_methodE3ELS4_3ELS4_3ELNS0_20block_scan_algorithmE0ELj4294967295EEENS1_25partition_config_selectorILNS1_17partition_subalgoE3EjNS0_10empty_typeEbEEZZNS1_14partition_implILS8_3ELb0ES6_jNS0_17counting_iteratorIjlEEPS9_SE_NS0_5tupleIJPjSE_EEENSF_IJSE_SE_EEES9_SG_JZNS1_25segmented_radix_sort_implINS0_14default_configELb1EPKhPhPKlPlN2at6native12_GLOBAL__N_18offset_tEEE10hipError_tPvRmT1_PNSt15iterator_traitsISY_E10value_typeET2_T3_PNSZ_IS14_E10value_typeET4_jRbjT5_S1A_jjP12ihipStream_tbEUljE_EEESV_SW_SX_S14_S18_S1A_T6_T7_T9_mT8_S1C_bDpT10_ENKUlT_T0_E_clISt17integral_constantIbLb0EES1O_IbLb1EEEEDaS1K_S1L_EUlS1K_E_NS1_11comp_targetILNS1_3genE0ELNS1_11target_archE4294967295ELNS1_3gpuE0ELNS1_3repE0EEENS1_30default_config_static_selectorELNS0_4arch9wavefront6targetE1EEEvSY_
; %bb.0:
	.section	.rodata,"a",@progbits
	.p2align	6, 0x0
	.amdhsa_kernel _ZN7rocprim17ROCPRIM_400000_NS6detail17trampoline_kernelINS0_13select_configILj256ELj13ELNS0_17block_load_methodE3ELS4_3ELS4_3ELNS0_20block_scan_algorithmE0ELj4294967295EEENS1_25partition_config_selectorILNS1_17partition_subalgoE3EjNS0_10empty_typeEbEEZZNS1_14partition_implILS8_3ELb0ES6_jNS0_17counting_iteratorIjlEEPS9_SE_NS0_5tupleIJPjSE_EEENSF_IJSE_SE_EEES9_SG_JZNS1_25segmented_radix_sort_implINS0_14default_configELb1EPKhPhPKlPlN2at6native12_GLOBAL__N_18offset_tEEE10hipError_tPvRmT1_PNSt15iterator_traitsISY_E10value_typeET2_T3_PNSZ_IS14_E10value_typeET4_jRbjT5_S1A_jjP12ihipStream_tbEUljE_EEESV_SW_SX_S14_S18_S1A_T6_T7_T9_mT8_S1C_bDpT10_ENKUlT_T0_E_clISt17integral_constantIbLb0EES1O_IbLb1EEEEDaS1K_S1L_EUlS1K_E_NS1_11comp_targetILNS1_3genE0ELNS1_11target_archE4294967295ELNS1_3gpuE0ELNS1_3repE0EEENS1_30default_config_static_selectorELNS0_4arch9wavefront6targetE1EEEvSY_
		.amdhsa_group_segment_fixed_size 0
		.amdhsa_private_segment_fixed_size 0
		.amdhsa_kernarg_size 152
		.amdhsa_user_sgpr_count 6
		.amdhsa_user_sgpr_private_segment_buffer 1
		.amdhsa_user_sgpr_dispatch_ptr 0
		.amdhsa_user_sgpr_queue_ptr 0
		.amdhsa_user_sgpr_kernarg_segment_ptr 1
		.amdhsa_user_sgpr_dispatch_id 0
		.amdhsa_user_sgpr_flat_scratch_init 0
		.amdhsa_user_sgpr_private_segment_size 0
		.amdhsa_uses_dynamic_stack 0
		.amdhsa_system_sgpr_private_segment_wavefront_offset 0
		.amdhsa_system_sgpr_workgroup_id_x 1
		.amdhsa_system_sgpr_workgroup_id_y 0
		.amdhsa_system_sgpr_workgroup_id_z 0
		.amdhsa_system_sgpr_workgroup_info 0
		.amdhsa_system_vgpr_workitem_id 0
		.amdhsa_next_free_vgpr 1
		.amdhsa_next_free_sgpr 0
		.amdhsa_reserve_vcc 0
		.amdhsa_reserve_flat_scratch 0
		.amdhsa_float_round_mode_32 0
		.amdhsa_float_round_mode_16_64 0
		.amdhsa_float_denorm_mode_32 3
		.amdhsa_float_denorm_mode_16_64 3
		.amdhsa_dx10_clamp 1
		.amdhsa_ieee_mode 1
		.amdhsa_fp16_overflow 0
		.amdhsa_exception_fp_ieee_invalid_op 0
		.amdhsa_exception_fp_denorm_src 0
		.amdhsa_exception_fp_ieee_div_zero 0
		.amdhsa_exception_fp_ieee_overflow 0
		.amdhsa_exception_fp_ieee_underflow 0
		.amdhsa_exception_fp_ieee_inexact 0
		.amdhsa_exception_int_div_zero 0
	.end_amdhsa_kernel
	.section	.text._ZN7rocprim17ROCPRIM_400000_NS6detail17trampoline_kernelINS0_13select_configILj256ELj13ELNS0_17block_load_methodE3ELS4_3ELS4_3ELNS0_20block_scan_algorithmE0ELj4294967295EEENS1_25partition_config_selectorILNS1_17partition_subalgoE3EjNS0_10empty_typeEbEEZZNS1_14partition_implILS8_3ELb0ES6_jNS0_17counting_iteratorIjlEEPS9_SE_NS0_5tupleIJPjSE_EEENSF_IJSE_SE_EEES9_SG_JZNS1_25segmented_radix_sort_implINS0_14default_configELb1EPKhPhPKlPlN2at6native12_GLOBAL__N_18offset_tEEE10hipError_tPvRmT1_PNSt15iterator_traitsISY_E10value_typeET2_T3_PNSZ_IS14_E10value_typeET4_jRbjT5_S1A_jjP12ihipStream_tbEUljE_EEESV_SW_SX_S14_S18_S1A_T6_T7_T9_mT8_S1C_bDpT10_ENKUlT_T0_E_clISt17integral_constantIbLb0EES1O_IbLb1EEEEDaS1K_S1L_EUlS1K_E_NS1_11comp_targetILNS1_3genE0ELNS1_11target_archE4294967295ELNS1_3gpuE0ELNS1_3repE0EEENS1_30default_config_static_selectorELNS0_4arch9wavefront6targetE1EEEvSY_,"axG",@progbits,_ZN7rocprim17ROCPRIM_400000_NS6detail17trampoline_kernelINS0_13select_configILj256ELj13ELNS0_17block_load_methodE3ELS4_3ELS4_3ELNS0_20block_scan_algorithmE0ELj4294967295EEENS1_25partition_config_selectorILNS1_17partition_subalgoE3EjNS0_10empty_typeEbEEZZNS1_14partition_implILS8_3ELb0ES6_jNS0_17counting_iteratorIjlEEPS9_SE_NS0_5tupleIJPjSE_EEENSF_IJSE_SE_EEES9_SG_JZNS1_25segmented_radix_sort_implINS0_14default_configELb1EPKhPhPKlPlN2at6native12_GLOBAL__N_18offset_tEEE10hipError_tPvRmT1_PNSt15iterator_traitsISY_E10value_typeET2_T3_PNSZ_IS14_E10value_typeET4_jRbjT5_S1A_jjP12ihipStream_tbEUljE_EEESV_SW_SX_S14_S18_S1A_T6_T7_T9_mT8_S1C_bDpT10_ENKUlT_T0_E_clISt17integral_constantIbLb0EES1O_IbLb1EEEEDaS1K_S1L_EUlS1K_E_NS1_11comp_targetILNS1_3genE0ELNS1_11target_archE4294967295ELNS1_3gpuE0ELNS1_3repE0EEENS1_30default_config_static_selectorELNS0_4arch9wavefront6targetE1EEEvSY_,comdat
.Lfunc_end75:
	.size	_ZN7rocprim17ROCPRIM_400000_NS6detail17trampoline_kernelINS0_13select_configILj256ELj13ELNS0_17block_load_methodE3ELS4_3ELS4_3ELNS0_20block_scan_algorithmE0ELj4294967295EEENS1_25partition_config_selectorILNS1_17partition_subalgoE3EjNS0_10empty_typeEbEEZZNS1_14partition_implILS8_3ELb0ES6_jNS0_17counting_iteratorIjlEEPS9_SE_NS0_5tupleIJPjSE_EEENSF_IJSE_SE_EEES9_SG_JZNS1_25segmented_radix_sort_implINS0_14default_configELb1EPKhPhPKlPlN2at6native12_GLOBAL__N_18offset_tEEE10hipError_tPvRmT1_PNSt15iterator_traitsISY_E10value_typeET2_T3_PNSZ_IS14_E10value_typeET4_jRbjT5_S1A_jjP12ihipStream_tbEUljE_EEESV_SW_SX_S14_S18_S1A_T6_T7_T9_mT8_S1C_bDpT10_ENKUlT_T0_E_clISt17integral_constantIbLb0EES1O_IbLb1EEEEDaS1K_S1L_EUlS1K_E_NS1_11comp_targetILNS1_3genE0ELNS1_11target_archE4294967295ELNS1_3gpuE0ELNS1_3repE0EEENS1_30default_config_static_selectorELNS0_4arch9wavefront6targetE1EEEvSY_, .Lfunc_end75-_ZN7rocprim17ROCPRIM_400000_NS6detail17trampoline_kernelINS0_13select_configILj256ELj13ELNS0_17block_load_methodE3ELS4_3ELS4_3ELNS0_20block_scan_algorithmE0ELj4294967295EEENS1_25partition_config_selectorILNS1_17partition_subalgoE3EjNS0_10empty_typeEbEEZZNS1_14partition_implILS8_3ELb0ES6_jNS0_17counting_iteratorIjlEEPS9_SE_NS0_5tupleIJPjSE_EEENSF_IJSE_SE_EEES9_SG_JZNS1_25segmented_radix_sort_implINS0_14default_configELb1EPKhPhPKlPlN2at6native12_GLOBAL__N_18offset_tEEE10hipError_tPvRmT1_PNSt15iterator_traitsISY_E10value_typeET2_T3_PNSZ_IS14_E10value_typeET4_jRbjT5_S1A_jjP12ihipStream_tbEUljE_EEESV_SW_SX_S14_S18_S1A_T6_T7_T9_mT8_S1C_bDpT10_ENKUlT_T0_E_clISt17integral_constantIbLb0EES1O_IbLb1EEEEDaS1K_S1L_EUlS1K_E_NS1_11comp_targetILNS1_3genE0ELNS1_11target_archE4294967295ELNS1_3gpuE0ELNS1_3repE0EEENS1_30default_config_static_selectorELNS0_4arch9wavefront6targetE1EEEvSY_
                                        ; -- End function
	.set _ZN7rocprim17ROCPRIM_400000_NS6detail17trampoline_kernelINS0_13select_configILj256ELj13ELNS0_17block_load_methodE3ELS4_3ELS4_3ELNS0_20block_scan_algorithmE0ELj4294967295EEENS1_25partition_config_selectorILNS1_17partition_subalgoE3EjNS0_10empty_typeEbEEZZNS1_14partition_implILS8_3ELb0ES6_jNS0_17counting_iteratorIjlEEPS9_SE_NS0_5tupleIJPjSE_EEENSF_IJSE_SE_EEES9_SG_JZNS1_25segmented_radix_sort_implINS0_14default_configELb1EPKhPhPKlPlN2at6native12_GLOBAL__N_18offset_tEEE10hipError_tPvRmT1_PNSt15iterator_traitsISY_E10value_typeET2_T3_PNSZ_IS14_E10value_typeET4_jRbjT5_S1A_jjP12ihipStream_tbEUljE_EEESV_SW_SX_S14_S18_S1A_T6_T7_T9_mT8_S1C_bDpT10_ENKUlT_T0_E_clISt17integral_constantIbLb0EES1O_IbLb1EEEEDaS1K_S1L_EUlS1K_E_NS1_11comp_targetILNS1_3genE0ELNS1_11target_archE4294967295ELNS1_3gpuE0ELNS1_3repE0EEENS1_30default_config_static_selectorELNS0_4arch9wavefront6targetE1EEEvSY_.num_vgpr, 0
	.set _ZN7rocprim17ROCPRIM_400000_NS6detail17trampoline_kernelINS0_13select_configILj256ELj13ELNS0_17block_load_methodE3ELS4_3ELS4_3ELNS0_20block_scan_algorithmE0ELj4294967295EEENS1_25partition_config_selectorILNS1_17partition_subalgoE3EjNS0_10empty_typeEbEEZZNS1_14partition_implILS8_3ELb0ES6_jNS0_17counting_iteratorIjlEEPS9_SE_NS0_5tupleIJPjSE_EEENSF_IJSE_SE_EEES9_SG_JZNS1_25segmented_radix_sort_implINS0_14default_configELb1EPKhPhPKlPlN2at6native12_GLOBAL__N_18offset_tEEE10hipError_tPvRmT1_PNSt15iterator_traitsISY_E10value_typeET2_T3_PNSZ_IS14_E10value_typeET4_jRbjT5_S1A_jjP12ihipStream_tbEUljE_EEESV_SW_SX_S14_S18_S1A_T6_T7_T9_mT8_S1C_bDpT10_ENKUlT_T0_E_clISt17integral_constantIbLb0EES1O_IbLb1EEEEDaS1K_S1L_EUlS1K_E_NS1_11comp_targetILNS1_3genE0ELNS1_11target_archE4294967295ELNS1_3gpuE0ELNS1_3repE0EEENS1_30default_config_static_selectorELNS0_4arch9wavefront6targetE1EEEvSY_.num_agpr, 0
	.set _ZN7rocprim17ROCPRIM_400000_NS6detail17trampoline_kernelINS0_13select_configILj256ELj13ELNS0_17block_load_methodE3ELS4_3ELS4_3ELNS0_20block_scan_algorithmE0ELj4294967295EEENS1_25partition_config_selectorILNS1_17partition_subalgoE3EjNS0_10empty_typeEbEEZZNS1_14partition_implILS8_3ELb0ES6_jNS0_17counting_iteratorIjlEEPS9_SE_NS0_5tupleIJPjSE_EEENSF_IJSE_SE_EEES9_SG_JZNS1_25segmented_radix_sort_implINS0_14default_configELb1EPKhPhPKlPlN2at6native12_GLOBAL__N_18offset_tEEE10hipError_tPvRmT1_PNSt15iterator_traitsISY_E10value_typeET2_T3_PNSZ_IS14_E10value_typeET4_jRbjT5_S1A_jjP12ihipStream_tbEUljE_EEESV_SW_SX_S14_S18_S1A_T6_T7_T9_mT8_S1C_bDpT10_ENKUlT_T0_E_clISt17integral_constantIbLb0EES1O_IbLb1EEEEDaS1K_S1L_EUlS1K_E_NS1_11comp_targetILNS1_3genE0ELNS1_11target_archE4294967295ELNS1_3gpuE0ELNS1_3repE0EEENS1_30default_config_static_selectorELNS0_4arch9wavefront6targetE1EEEvSY_.numbered_sgpr, 0
	.set _ZN7rocprim17ROCPRIM_400000_NS6detail17trampoline_kernelINS0_13select_configILj256ELj13ELNS0_17block_load_methodE3ELS4_3ELS4_3ELNS0_20block_scan_algorithmE0ELj4294967295EEENS1_25partition_config_selectorILNS1_17partition_subalgoE3EjNS0_10empty_typeEbEEZZNS1_14partition_implILS8_3ELb0ES6_jNS0_17counting_iteratorIjlEEPS9_SE_NS0_5tupleIJPjSE_EEENSF_IJSE_SE_EEES9_SG_JZNS1_25segmented_radix_sort_implINS0_14default_configELb1EPKhPhPKlPlN2at6native12_GLOBAL__N_18offset_tEEE10hipError_tPvRmT1_PNSt15iterator_traitsISY_E10value_typeET2_T3_PNSZ_IS14_E10value_typeET4_jRbjT5_S1A_jjP12ihipStream_tbEUljE_EEESV_SW_SX_S14_S18_S1A_T6_T7_T9_mT8_S1C_bDpT10_ENKUlT_T0_E_clISt17integral_constantIbLb0EES1O_IbLb1EEEEDaS1K_S1L_EUlS1K_E_NS1_11comp_targetILNS1_3genE0ELNS1_11target_archE4294967295ELNS1_3gpuE0ELNS1_3repE0EEENS1_30default_config_static_selectorELNS0_4arch9wavefront6targetE1EEEvSY_.num_named_barrier, 0
	.set _ZN7rocprim17ROCPRIM_400000_NS6detail17trampoline_kernelINS0_13select_configILj256ELj13ELNS0_17block_load_methodE3ELS4_3ELS4_3ELNS0_20block_scan_algorithmE0ELj4294967295EEENS1_25partition_config_selectorILNS1_17partition_subalgoE3EjNS0_10empty_typeEbEEZZNS1_14partition_implILS8_3ELb0ES6_jNS0_17counting_iteratorIjlEEPS9_SE_NS0_5tupleIJPjSE_EEENSF_IJSE_SE_EEES9_SG_JZNS1_25segmented_radix_sort_implINS0_14default_configELb1EPKhPhPKlPlN2at6native12_GLOBAL__N_18offset_tEEE10hipError_tPvRmT1_PNSt15iterator_traitsISY_E10value_typeET2_T3_PNSZ_IS14_E10value_typeET4_jRbjT5_S1A_jjP12ihipStream_tbEUljE_EEESV_SW_SX_S14_S18_S1A_T6_T7_T9_mT8_S1C_bDpT10_ENKUlT_T0_E_clISt17integral_constantIbLb0EES1O_IbLb1EEEEDaS1K_S1L_EUlS1K_E_NS1_11comp_targetILNS1_3genE0ELNS1_11target_archE4294967295ELNS1_3gpuE0ELNS1_3repE0EEENS1_30default_config_static_selectorELNS0_4arch9wavefront6targetE1EEEvSY_.private_seg_size, 0
	.set _ZN7rocprim17ROCPRIM_400000_NS6detail17trampoline_kernelINS0_13select_configILj256ELj13ELNS0_17block_load_methodE3ELS4_3ELS4_3ELNS0_20block_scan_algorithmE0ELj4294967295EEENS1_25partition_config_selectorILNS1_17partition_subalgoE3EjNS0_10empty_typeEbEEZZNS1_14partition_implILS8_3ELb0ES6_jNS0_17counting_iteratorIjlEEPS9_SE_NS0_5tupleIJPjSE_EEENSF_IJSE_SE_EEES9_SG_JZNS1_25segmented_radix_sort_implINS0_14default_configELb1EPKhPhPKlPlN2at6native12_GLOBAL__N_18offset_tEEE10hipError_tPvRmT1_PNSt15iterator_traitsISY_E10value_typeET2_T3_PNSZ_IS14_E10value_typeET4_jRbjT5_S1A_jjP12ihipStream_tbEUljE_EEESV_SW_SX_S14_S18_S1A_T6_T7_T9_mT8_S1C_bDpT10_ENKUlT_T0_E_clISt17integral_constantIbLb0EES1O_IbLb1EEEEDaS1K_S1L_EUlS1K_E_NS1_11comp_targetILNS1_3genE0ELNS1_11target_archE4294967295ELNS1_3gpuE0ELNS1_3repE0EEENS1_30default_config_static_selectorELNS0_4arch9wavefront6targetE1EEEvSY_.uses_vcc, 0
	.set _ZN7rocprim17ROCPRIM_400000_NS6detail17trampoline_kernelINS0_13select_configILj256ELj13ELNS0_17block_load_methodE3ELS4_3ELS4_3ELNS0_20block_scan_algorithmE0ELj4294967295EEENS1_25partition_config_selectorILNS1_17partition_subalgoE3EjNS0_10empty_typeEbEEZZNS1_14partition_implILS8_3ELb0ES6_jNS0_17counting_iteratorIjlEEPS9_SE_NS0_5tupleIJPjSE_EEENSF_IJSE_SE_EEES9_SG_JZNS1_25segmented_radix_sort_implINS0_14default_configELb1EPKhPhPKlPlN2at6native12_GLOBAL__N_18offset_tEEE10hipError_tPvRmT1_PNSt15iterator_traitsISY_E10value_typeET2_T3_PNSZ_IS14_E10value_typeET4_jRbjT5_S1A_jjP12ihipStream_tbEUljE_EEESV_SW_SX_S14_S18_S1A_T6_T7_T9_mT8_S1C_bDpT10_ENKUlT_T0_E_clISt17integral_constantIbLb0EES1O_IbLb1EEEEDaS1K_S1L_EUlS1K_E_NS1_11comp_targetILNS1_3genE0ELNS1_11target_archE4294967295ELNS1_3gpuE0ELNS1_3repE0EEENS1_30default_config_static_selectorELNS0_4arch9wavefront6targetE1EEEvSY_.uses_flat_scratch, 0
	.set _ZN7rocprim17ROCPRIM_400000_NS6detail17trampoline_kernelINS0_13select_configILj256ELj13ELNS0_17block_load_methodE3ELS4_3ELS4_3ELNS0_20block_scan_algorithmE0ELj4294967295EEENS1_25partition_config_selectorILNS1_17partition_subalgoE3EjNS0_10empty_typeEbEEZZNS1_14partition_implILS8_3ELb0ES6_jNS0_17counting_iteratorIjlEEPS9_SE_NS0_5tupleIJPjSE_EEENSF_IJSE_SE_EEES9_SG_JZNS1_25segmented_radix_sort_implINS0_14default_configELb1EPKhPhPKlPlN2at6native12_GLOBAL__N_18offset_tEEE10hipError_tPvRmT1_PNSt15iterator_traitsISY_E10value_typeET2_T3_PNSZ_IS14_E10value_typeET4_jRbjT5_S1A_jjP12ihipStream_tbEUljE_EEESV_SW_SX_S14_S18_S1A_T6_T7_T9_mT8_S1C_bDpT10_ENKUlT_T0_E_clISt17integral_constantIbLb0EES1O_IbLb1EEEEDaS1K_S1L_EUlS1K_E_NS1_11comp_targetILNS1_3genE0ELNS1_11target_archE4294967295ELNS1_3gpuE0ELNS1_3repE0EEENS1_30default_config_static_selectorELNS0_4arch9wavefront6targetE1EEEvSY_.has_dyn_sized_stack, 0
	.set _ZN7rocprim17ROCPRIM_400000_NS6detail17trampoline_kernelINS0_13select_configILj256ELj13ELNS0_17block_load_methodE3ELS4_3ELS4_3ELNS0_20block_scan_algorithmE0ELj4294967295EEENS1_25partition_config_selectorILNS1_17partition_subalgoE3EjNS0_10empty_typeEbEEZZNS1_14partition_implILS8_3ELb0ES6_jNS0_17counting_iteratorIjlEEPS9_SE_NS0_5tupleIJPjSE_EEENSF_IJSE_SE_EEES9_SG_JZNS1_25segmented_radix_sort_implINS0_14default_configELb1EPKhPhPKlPlN2at6native12_GLOBAL__N_18offset_tEEE10hipError_tPvRmT1_PNSt15iterator_traitsISY_E10value_typeET2_T3_PNSZ_IS14_E10value_typeET4_jRbjT5_S1A_jjP12ihipStream_tbEUljE_EEESV_SW_SX_S14_S18_S1A_T6_T7_T9_mT8_S1C_bDpT10_ENKUlT_T0_E_clISt17integral_constantIbLb0EES1O_IbLb1EEEEDaS1K_S1L_EUlS1K_E_NS1_11comp_targetILNS1_3genE0ELNS1_11target_archE4294967295ELNS1_3gpuE0ELNS1_3repE0EEENS1_30default_config_static_selectorELNS0_4arch9wavefront6targetE1EEEvSY_.has_recursion, 0
	.set _ZN7rocprim17ROCPRIM_400000_NS6detail17trampoline_kernelINS0_13select_configILj256ELj13ELNS0_17block_load_methodE3ELS4_3ELS4_3ELNS0_20block_scan_algorithmE0ELj4294967295EEENS1_25partition_config_selectorILNS1_17partition_subalgoE3EjNS0_10empty_typeEbEEZZNS1_14partition_implILS8_3ELb0ES6_jNS0_17counting_iteratorIjlEEPS9_SE_NS0_5tupleIJPjSE_EEENSF_IJSE_SE_EEES9_SG_JZNS1_25segmented_radix_sort_implINS0_14default_configELb1EPKhPhPKlPlN2at6native12_GLOBAL__N_18offset_tEEE10hipError_tPvRmT1_PNSt15iterator_traitsISY_E10value_typeET2_T3_PNSZ_IS14_E10value_typeET4_jRbjT5_S1A_jjP12ihipStream_tbEUljE_EEESV_SW_SX_S14_S18_S1A_T6_T7_T9_mT8_S1C_bDpT10_ENKUlT_T0_E_clISt17integral_constantIbLb0EES1O_IbLb1EEEEDaS1K_S1L_EUlS1K_E_NS1_11comp_targetILNS1_3genE0ELNS1_11target_archE4294967295ELNS1_3gpuE0ELNS1_3repE0EEENS1_30default_config_static_selectorELNS0_4arch9wavefront6targetE1EEEvSY_.has_indirect_call, 0
	.section	.AMDGPU.csdata,"",@progbits
; Kernel info:
; codeLenInByte = 0
; TotalNumSgprs: 4
; NumVgprs: 0
; ScratchSize: 0
; MemoryBound: 0
; FloatMode: 240
; IeeeMode: 1
; LDSByteSize: 0 bytes/workgroup (compile time only)
; SGPRBlocks: 0
; VGPRBlocks: 0
; NumSGPRsForWavesPerEU: 4
; NumVGPRsForWavesPerEU: 1
; Occupancy: 10
; WaveLimiterHint : 0
; COMPUTE_PGM_RSRC2:SCRATCH_EN: 0
; COMPUTE_PGM_RSRC2:USER_SGPR: 6
; COMPUTE_PGM_RSRC2:TRAP_HANDLER: 0
; COMPUTE_PGM_RSRC2:TGID_X_EN: 1
; COMPUTE_PGM_RSRC2:TGID_Y_EN: 0
; COMPUTE_PGM_RSRC2:TGID_Z_EN: 0
; COMPUTE_PGM_RSRC2:TIDIG_COMP_CNT: 0
	.section	.text._ZN7rocprim17ROCPRIM_400000_NS6detail17trampoline_kernelINS0_13select_configILj256ELj13ELNS0_17block_load_methodE3ELS4_3ELS4_3ELNS0_20block_scan_algorithmE0ELj4294967295EEENS1_25partition_config_selectorILNS1_17partition_subalgoE3EjNS0_10empty_typeEbEEZZNS1_14partition_implILS8_3ELb0ES6_jNS0_17counting_iteratorIjlEEPS9_SE_NS0_5tupleIJPjSE_EEENSF_IJSE_SE_EEES9_SG_JZNS1_25segmented_radix_sort_implINS0_14default_configELb1EPKhPhPKlPlN2at6native12_GLOBAL__N_18offset_tEEE10hipError_tPvRmT1_PNSt15iterator_traitsISY_E10value_typeET2_T3_PNSZ_IS14_E10value_typeET4_jRbjT5_S1A_jjP12ihipStream_tbEUljE_EEESV_SW_SX_S14_S18_S1A_T6_T7_T9_mT8_S1C_bDpT10_ENKUlT_T0_E_clISt17integral_constantIbLb0EES1O_IbLb1EEEEDaS1K_S1L_EUlS1K_E_NS1_11comp_targetILNS1_3genE5ELNS1_11target_archE942ELNS1_3gpuE9ELNS1_3repE0EEENS1_30default_config_static_selectorELNS0_4arch9wavefront6targetE1EEEvSY_,"axG",@progbits,_ZN7rocprim17ROCPRIM_400000_NS6detail17trampoline_kernelINS0_13select_configILj256ELj13ELNS0_17block_load_methodE3ELS4_3ELS4_3ELNS0_20block_scan_algorithmE0ELj4294967295EEENS1_25partition_config_selectorILNS1_17partition_subalgoE3EjNS0_10empty_typeEbEEZZNS1_14partition_implILS8_3ELb0ES6_jNS0_17counting_iteratorIjlEEPS9_SE_NS0_5tupleIJPjSE_EEENSF_IJSE_SE_EEES9_SG_JZNS1_25segmented_radix_sort_implINS0_14default_configELb1EPKhPhPKlPlN2at6native12_GLOBAL__N_18offset_tEEE10hipError_tPvRmT1_PNSt15iterator_traitsISY_E10value_typeET2_T3_PNSZ_IS14_E10value_typeET4_jRbjT5_S1A_jjP12ihipStream_tbEUljE_EEESV_SW_SX_S14_S18_S1A_T6_T7_T9_mT8_S1C_bDpT10_ENKUlT_T0_E_clISt17integral_constantIbLb0EES1O_IbLb1EEEEDaS1K_S1L_EUlS1K_E_NS1_11comp_targetILNS1_3genE5ELNS1_11target_archE942ELNS1_3gpuE9ELNS1_3repE0EEENS1_30default_config_static_selectorELNS0_4arch9wavefront6targetE1EEEvSY_,comdat
	.globl	_ZN7rocprim17ROCPRIM_400000_NS6detail17trampoline_kernelINS0_13select_configILj256ELj13ELNS0_17block_load_methodE3ELS4_3ELS4_3ELNS0_20block_scan_algorithmE0ELj4294967295EEENS1_25partition_config_selectorILNS1_17partition_subalgoE3EjNS0_10empty_typeEbEEZZNS1_14partition_implILS8_3ELb0ES6_jNS0_17counting_iteratorIjlEEPS9_SE_NS0_5tupleIJPjSE_EEENSF_IJSE_SE_EEES9_SG_JZNS1_25segmented_radix_sort_implINS0_14default_configELb1EPKhPhPKlPlN2at6native12_GLOBAL__N_18offset_tEEE10hipError_tPvRmT1_PNSt15iterator_traitsISY_E10value_typeET2_T3_PNSZ_IS14_E10value_typeET4_jRbjT5_S1A_jjP12ihipStream_tbEUljE_EEESV_SW_SX_S14_S18_S1A_T6_T7_T9_mT8_S1C_bDpT10_ENKUlT_T0_E_clISt17integral_constantIbLb0EES1O_IbLb1EEEEDaS1K_S1L_EUlS1K_E_NS1_11comp_targetILNS1_3genE5ELNS1_11target_archE942ELNS1_3gpuE9ELNS1_3repE0EEENS1_30default_config_static_selectorELNS0_4arch9wavefront6targetE1EEEvSY_ ; -- Begin function _ZN7rocprim17ROCPRIM_400000_NS6detail17trampoline_kernelINS0_13select_configILj256ELj13ELNS0_17block_load_methodE3ELS4_3ELS4_3ELNS0_20block_scan_algorithmE0ELj4294967295EEENS1_25partition_config_selectorILNS1_17partition_subalgoE3EjNS0_10empty_typeEbEEZZNS1_14partition_implILS8_3ELb0ES6_jNS0_17counting_iteratorIjlEEPS9_SE_NS0_5tupleIJPjSE_EEENSF_IJSE_SE_EEES9_SG_JZNS1_25segmented_radix_sort_implINS0_14default_configELb1EPKhPhPKlPlN2at6native12_GLOBAL__N_18offset_tEEE10hipError_tPvRmT1_PNSt15iterator_traitsISY_E10value_typeET2_T3_PNSZ_IS14_E10value_typeET4_jRbjT5_S1A_jjP12ihipStream_tbEUljE_EEESV_SW_SX_S14_S18_S1A_T6_T7_T9_mT8_S1C_bDpT10_ENKUlT_T0_E_clISt17integral_constantIbLb0EES1O_IbLb1EEEEDaS1K_S1L_EUlS1K_E_NS1_11comp_targetILNS1_3genE5ELNS1_11target_archE942ELNS1_3gpuE9ELNS1_3repE0EEENS1_30default_config_static_selectorELNS0_4arch9wavefront6targetE1EEEvSY_
	.p2align	8
	.type	_ZN7rocprim17ROCPRIM_400000_NS6detail17trampoline_kernelINS0_13select_configILj256ELj13ELNS0_17block_load_methodE3ELS4_3ELS4_3ELNS0_20block_scan_algorithmE0ELj4294967295EEENS1_25partition_config_selectorILNS1_17partition_subalgoE3EjNS0_10empty_typeEbEEZZNS1_14partition_implILS8_3ELb0ES6_jNS0_17counting_iteratorIjlEEPS9_SE_NS0_5tupleIJPjSE_EEENSF_IJSE_SE_EEES9_SG_JZNS1_25segmented_radix_sort_implINS0_14default_configELb1EPKhPhPKlPlN2at6native12_GLOBAL__N_18offset_tEEE10hipError_tPvRmT1_PNSt15iterator_traitsISY_E10value_typeET2_T3_PNSZ_IS14_E10value_typeET4_jRbjT5_S1A_jjP12ihipStream_tbEUljE_EEESV_SW_SX_S14_S18_S1A_T6_T7_T9_mT8_S1C_bDpT10_ENKUlT_T0_E_clISt17integral_constantIbLb0EES1O_IbLb1EEEEDaS1K_S1L_EUlS1K_E_NS1_11comp_targetILNS1_3genE5ELNS1_11target_archE942ELNS1_3gpuE9ELNS1_3repE0EEENS1_30default_config_static_selectorELNS0_4arch9wavefront6targetE1EEEvSY_,@function
_ZN7rocprim17ROCPRIM_400000_NS6detail17trampoline_kernelINS0_13select_configILj256ELj13ELNS0_17block_load_methodE3ELS4_3ELS4_3ELNS0_20block_scan_algorithmE0ELj4294967295EEENS1_25partition_config_selectorILNS1_17partition_subalgoE3EjNS0_10empty_typeEbEEZZNS1_14partition_implILS8_3ELb0ES6_jNS0_17counting_iteratorIjlEEPS9_SE_NS0_5tupleIJPjSE_EEENSF_IJSE_SE_EEES9_SG_JZNS1_25segmented_radix_sort_implINS0_14default_configELb1EPKhPhPKlPlN2at6native12_GLOBAL__N_18offset_tEEE10hipError_tPvRmT1_PNSt15iterator_traitsISY_E10value_typeET2_T3_PNSZ_IS14_E10value_typeET4_jRbjT5_S1A_jjP12ihipStream_tbEUljE_EEESV_SW_SX_S14_S18_S1A_T6_T7_T9_mT8_S1C_bDpT10_ENKUlT_T0_E_clISt17integral_constantIbLb0EES1O_IbLb1EEEEDaS1K_S1L_EUlS1K_E_NS1_11comp_targetILNS1_3genE5ELNS1_11target_archE942ELNS1_3gpuE9ELNS1_3repE0EEENS1_30default_config_static_selectorELNS0_4arch9wavefront6targetE1EEEvSY_: ; @_ZN7rocprim17ROCPRIM_400000_NS6detail17trampoline_kernelINS0_13select_configILj256ELj13ELNS0_17block_load_methodE3ELS4_3ELS4_3ELNS0_20block_scan_algorithmE0ELj4294967295EEENS1_25partition_config_selectorILNS1_17partition_subalgoE3EjNS0_10empty_typeEbEEZZNS1_14partition_implILS8_3ELb0ES6_jNS0_17counting_iteratorIjlEEPS9_SE_NS0_5tupleIJPjSE_EEENSF_IJSE_SE_EEES9_SG_JZNS1_25segmented_radix_sort_implINS0_14default_configELb1EPKhPhPKlPlN2at6native12_GLOBAL__N_18offset_tEEE10hipError_tPvRmT1_PNSt15iterator_traitsISY_E10value_typeET2_T3_PNSZ_IS14_E10value_typeET4_jRbjT5_S1A_jjP12ihipStream_tbEUljE_EEESV_SW_SX_S14_S18_S1A_T6_T7_T9_mT8_S1C_bDpT10_ENKUlT_T0_E_clISt17integral_constantIbLb0EES1O_IbLb1EEEEDaS1K_S1L_EUlS1K_E_NS1_11comp_targetILNS1_3genE5ELNS1_11target_archE942ELNS1_3gpuE9ELNS1_3repE0EEENS1_30default_config_static_selectorELNS0_4arch9wavefront6targetE1EEEvSY_
; %bb.0:
	.section	.rodata,"a",@progbits
	.p2align	6, 0x0
	.amdhsa_kernel _ZN7rocprim17ROCPRIM_400000_NS6detail17trampoline_kernelINS0_13select_configILj256ELj13ELNS0_17block_load_methodE3ELS4_3ELS4_3ELNS0_20block_scan_algorithmE0ELj4294967295EEENS1_25partition_config_selectorILNS1_17partition_subalgoE3EjNS0_10empty_typeEbEEZZNS1_14partition_implILS8_3ELb0ES6_jNS0_17counting_iteratorIjlEEPS9_SE_NS0_5tupleIJPjSE_EEENSF_IJSE_SE_EEES9_SG_JZNS1_25segmented_radix_sort_implINS0_14default_configELb1EPKhPhPKlPlN2at6native12_GLOBAL__N_18offset_tEEE10hipError_tPvRmT1_PNSt15iterator_traitsISY_E10value_typeET2_T3_PNSZ_IS14_E10value_typeET4_jRbjT5_S1A_jjP12ihipStream_tbEUljE_EEESV_SW_SX_S14_S18_S1A_T6_T7_T9_mT8_S1C_bDpT10_ENKUlT_T0_E_clISt17integral_constantIbLb0EES1O_IbLb1EEEEDaS1K_S1L_EUlS1K_E_NS1_11comp_targetILNS1_3genE5ELNS1_11target_archE942ELNS1_3gpuE9ELNS1_3repE0EEENS1_30default_config_static_selectorELNS0_4arch9wavefront6targetE1EEEvSY_
		.amdhsa_group_segment_fixed_size 0
		.amdhsa_private_segment_fixed_size 0
		.amdhsa_kernarg_size 152
		.amdhsa_user_sgpr_count 6
		.amdhsa_user_sgpr_private_segment_buffer 1
		.amdhsa_user_sgpr_dispatch_ptr 0
		.amdhsa_user_sgpr_queue_ptr 0
		.amdhsa_user_sgpr_kernarg_segment_ptr 1
		.amdhsa_user_sgpr_dispatch_id 0
		.amdhsa_user_sgpr_flat_scratch_init 0
		.amdhsa_user_sgpr_private_segment_size 0
		.amdhsa_uses_dynamic_stack 0
		.amdhsa_system_sgpr_private_segment_wavefront_offset 0
		.amdhsa_system_sgpr_workgroup_id_x 1
		.amdhsa_system_sgpr_workgroup_id_y 0
		.amdhsa_system_sgpr_workgroup_id_z 0
		.amdhsa_system_sgpr_workgroup_info 0
		.amdhsa_system_vgpr_workitem_id 0
		.amdhsa_next_free_vgpr 1
		.amdhsa_next_free_sgpr 0
		.amdhsa_reserve_vcc 0
		.amdhsa_reserve_flat_scratch 0
		.amdhsa_float_round_mode_32 0
		.amdhsa_float_round_mode_16_64 0
		.amdhsa_float_denorm_mode_32 3
		.amdhsa_float_denorm_mode_16_64 3
		.amdhsa_dx10_clamp 1
		.amdhsa_ieee_mode 1
		.amdhsa_fp16_overflow 0
		.amdhsa_exception_fp_ieee_invalid_op 0
		.amdhsa_exception_fp_denorm_src 0
		.amdhsa_exception_fp_ieee_div_zero 0
		.amdhsa_exception_fp_ieee_overflow 0
		.amdhsa_exception_fp_ieee_underflow 0
		.amdhsa_exception_fp_ieee_inexact 0
		.amdhsa_exception_int_div_zero 0
	.end_amdhsa_kernel
	.section	.text._ZN7rocprim17ROCPRIM_400000_NS6detail17trampoline_kernelINS0_13select_configILj256ELj13ELNS0_17block_load_methodE3ELS4_3ELS4_3ELNS0_20block_scan_algorithmE0ELj4294967295EEENS1_25partition_config_selectorILNS1_17partition_subalgoE3EjNS0_10empty_typeEbEEZZNS1_14partition_implILS8_3ELb0ES6_jNS0_17counting_iteratorIjlEEPS9_SE_NS0_5tupleIJPjSE_EEENSF_IJSE_SE_EEES9_SG_JZNS1_25segmented_radix_sort_implINS0_14default_configELb1EPKhPhPKlPlN2at6native12_GLOBAL__N_18offset_tEEE10hipError_tPvRmT1_PNSt15iterator_traitsISY_E10value_typeET2_T3_PNSZ_IS14_E10value_typeET4_jRbjT5_S1A_jjP12ihipStream_tbEUljE_EEESV_SW_SX_S14_S18_S1A_T6_T7_T9_mT8_S1C_bDpT10_ENKUlT_T0_E_clISt17integral_constantIbLb0EES1O_IbLb1EEEEDaS1K_S1L_EUlS1K_E_NS1_11comp_targetILNS1_3genE5ELNS1_11target_archE942ELNS1_3gpuE9ELNS1_3repE0EEENS1_30default_config_static_selectorELNS0_4arch9wavefront6targetE1EEEvSY_,"axG",@progbits,_ZN7rocprim17ROCPRIM_400000_NS6detail17trampoline_kernelINS0_13select_configILj256ELj13ELNS0_17block_load_methodE3ELS4_3ELS4_3ELNS0_20block_scan_algorithmE0ELj4294967295EEENS1_25partition_config_selectorILNS1_17partition_subalgoE3EjNS0_10empty_typeEbEEZZNS1_14partition_implILS8_3ELb0ES6_jNS0_17counting_iteratorIjlEEPS9_SE_NS0_5tupleIJPjSE_EEENSF_IJSE_SE_EEES9_SG_JZNS1_25segmented_radix_sort_implINS0_14default_configELb1EPKhPhPKlPlN2at6native12_GLOBAL__N_18offset_tEEE10hipError_tPvRmT1_PNSt15iterator_traitsISY_E10value_typeET2_T3_PNSZ_IS14_E10value_typeET4_jRbjT5_S1A_jjP12ihipStream_tbEUljE_EEESV_SW_SX_S14_S18_S1A_T6_T7_T9_mT8_S1C_bDpT10_ENKUlT_T0_E_clISt17integral_constantIbLb0EES1O_IbLb1EEEEDaS1K_S1L_EUlS1K_E_NS1_11comp_targetILNS1_3genE5ELNS1_11target_archE942ELNS1_3gpuE9ELNS1_3repE0EEENS1_30default_config_static_selectorELNS0_4arch9wavefront6targetE1EEEvSY_,comdat
.Lfunc_end76:
	.size	_ZN7rocprim17ROCPRIM_400000_NS6detail17trampoline_kernelINS0_13select_configILj256ELj13ELNS0_17block_load_methodE3ELS4_3ELS4_3ELNS0_20block_scan_algorithmE0ELj4294967295EEENS1_25partition_config_selectorILNS1_17partition_subalgoE3EjNS0_10empty_typeEbEEZZNS1_14partition_implILS8_3ELb0ES6_jNS0_17counting_iteratorIjlEEPS9_SE_NS0_5tupleIJPjSE_EEENSF_IJSE_SE_EEES9_SG_JZNS1_25segmented_radix_sort_implINS0_14default_configELb1EPKhPhPKlPlN2at6native12_GLOBAL__N_18offset_tEEE10hipError_tPvRmT1_PNSt15iterator_traitsISY_E10value_typeET2_T3_PNSZ_IS14_E10value_typeET4_jRbjT5_S1A_jjP12ihipStream_tbEUljE_EEESV_SW_SX_S14_S18_S1A_T6_T7_T9_mT8_S1C_bDpT10_ENKUlT_T0_E_clISt17integral_constantIbLb0EES1O_IbLb1EEEEDaS1K_S1L_EUlS1K_E_NS1_11comp_targetILNS1_3genE5ELNS1_11target_archE942ELNS1_3gpuE9ELNS1_3repE0EEENS1_30default_config_static_selectorELNS0_4arch9wavefront6targetE1EEEvSY_, .Lfunc_end76-_ZN7rocprim17ROCPRIM_400000_NS6detail17trampoline_kernelINS0_13select_configILj256ELj13ELNS0_17block_load_methodE3ELS4_3ELS4_3ELNS0_20block_scan_algorithmE0ELj4294967295EEENS1_25partition_config_selectorILNS1_17partition_subalgoE3EjNS0_10empty_typeEbEEZZNS1_14partition_implILS8_3ELb0ES6_jNS0_17counting_iteratorIjlEEPS9_SE_NS0_5tupleIJPjSE_EEENSF_IJSE_SE_EEES9_SG_JZNS1_25segmented_radix_sort_implINS0_14default_configELb1EPKhPhPKlPlN2at6native12_GLOBAL__N_18offset_tEEE10hipError_tPvRmT1_PNSt15iterator_traitsISY_E10value_typeET2_T3_PNSZ_IS14_E10value_typeET4_jRbjT5_S1A_jjP12ihipStream_tbEUljE_EEESV_SW_SX_S14_S18_S1A_T6_T7_T9_mT8_S1C_bDpT10_ENKUlT_T0_E_clISt17integral_constantIbLb0EES1O_IbLb1EEEEDaS1K_S1L_EUlS1K_E_NS1_11comp_targetILNS1_3genE5ELNS1_11target_archE942ELNS1_3gpuE9ELNS1_3repE0EEENS1_30default_config_static_selectorELNS0_4arch9wavefront6targetE1EEEvSY_
                                        ; -- End function
	.set _ZN7rocprim17ROCPRIM_400000_NS6detail17trampoline_kernelINS0_13select_configILj256ELj13ELNS0_17block_load_methodE3ELS4_3ELS4_3ELNS0_20block_scan_algorithmE0ELj4294967295EEENS1_25partition_config_selectorILNS1_17partition_subalgoE3EjNS0_10empty_typeEbEEZZNS1_14partition_implILS8_3ELb0ES6_jNS0_17counting_iteratorIjlEEPS9_SE_NS0_5tupleIJPjSE_EEENSF_IJSE_SE_EEES9_SG_JZNS1_25segmented_radix_sort_implINS0_14default_configELb1EPKhPhPKlPlN2at6native12_GLOBAL__N_18offset_tEEE10hipError_tPvRmT1_PNSt15iterator_traitsISY_E10value_typeET2_T3_PNSZ_IS14_E10value_typeET4_jRbjT5_S1A_jjP12ihipStream_tbEUljE_EEESV_SW_SX_S14_S18_S1A_T6_T7_T9_mT8_S1C_bDpT10_ENKUlT_T0_E_clISt17integral_constantIbLb0EES1O_IbLb1EEEEDaS1K_S1L_EUlS1K_E_NS1_11comp_targetILNS1_3genE5ELNS1_11target_archE942ELNS1_3gpuE9ELNS1_3repE0EEENS1_30default_config_static_selectorELNS0_4arch9wavefront6targetE1EEEvSY_.num_vgpr, 0
	.set _ZN7rocprim17ROCPRIM_400000_NS6detail17trampoline_kernelINS0_13select_configILj256ELj13ELNS0_17block_load_methodE3ELS4_3ELS4_3ELNS0_20block_scan_algorithmE0ELj4294967295EEENS1_25partition_config_selectorILNS1_17partition_subalgoE3EjNS0_10empty_typeEbEEZZNS1_14partition_implILS8_3ELb0ES6_jNS0_17counting_iteratorIjlEEPS9_SE_NS0_5tupleIJPjSE_EEENSF_IJSE_SE_EEES9_SG_JZNS1_25segmented_radix_sort_implINS0_14default_configELb1EPKhPhPKlPlN2at6native12_GLOBAL__N_18offset_tEEE10hipError_tPvRmT1_PNSt15iterator_traitsISY_E10value_typeET2_T3_PNSZ_IS14_E10value_typeET4_jRbjT5_S1A_jjP12ihipStream_tbEUljE_EEESV_SW_SX_S14_S18_S1A_T6_T7_T9_mT8_S1C_bDpT10_ENKUlT_T0_E_clISt17integral_constantIbLb0EES1O_IbLb1EEEEDaS1K_S1L_EUlS1K_E_NS1_11comp_targetILNS1_3genE5ELNS1_11target_archE942ELNS1_3gpuE9ELNS1_3repE0EEENS1_30default_config_static_selectorELNS0_4arch9wavefront6targetE1EEEvSY_.num_agpr, 0
	.set _ZN7rocprim17ROCPRIM_400000_NS6detail17trampoline_kernelINS0_13select_configILj256ELj13ELNS0_17block_load_methodE3ELS4_3ELS4_3ELNS0_20block_scan_algorithmE0ELj4294967295EEENS1_25partition_config_selectorILNS1_17partition_subalgoE3EjNS0_10empty_typeEbEEZZNS1_14partition_implILS8_3ELb0ES6_jNS0_17counting_iteratorIjlEEPS9_SE_NS0_5tupleIJPjSE_EEENSF_IJSE_SE_EEES9_SG_JZNS1_25segmented_radix_sort_implINS0_14default_configELb1EPKhPhPKlPlN2at6native12_GLOBAL__N_18offset_tEEE10hipError_tPvRmT1_PNSt15iterator_traitsISY_E10value_typeET2_T3_PNSZ_IS14_E10value_typeET4_jRbjT5_S1A_jjP12ihipStream_tbEUljE_EEESV_SW_SX_S14_S18_S1A_T6_T7_T9_mT8_S1C_bDpT10_ENKUlT_T0_E_clISt17integral_constantIbLb0EES1O_IbLb1EEEEDaS1K_S1L_EUlS1K_E_NS1_11comp_targetILNS1_3genE5ELNS1_11target_archE942ELNS1_3gpuE9ELNS1_3repE0EEENS1_30default_config_static_selectorELNS0_4arch9wavefront6targetE1EEEvSY_.numbered_sgpr, 0
	.set _ZN7rocprim17ROCPRIM_400000_NS6detail17trampoline_kernelINS0_13select_configILj256ELj13ELNS0_17block_load_methodE3ELS4_3ELS4_3ELNS0_20block_scan_algorithmE0ELj4294967295EEENS1_25partition_config_selectorILNS1_17partition_subalgoE3EjNS0_10empty_typeEbEEZZNS1_14partition_implILS8_3ELb0ES6_jNS0_17counting_iteratorIjlEEPS9_SE_NS0_5tupleIJPjSE_EEENSF_IJSE_SE_EEES9_SG_JZNS1_25segmented_radix_sort_implINS0_14default_configELb1EPKhPhPKlPlN2at6native12_GLOBAL__N_18offset_tEEE10hipError_tPvRmT1_PNSt15iterator_traitsISY_E10value_typeET2_T3_PNSZ_IS14_E10value_typeET4_jRbjT5_S1A_jjP12ihipStream_tbEUljE_EEESV_SW_SX_S14_S18_S1A_T6_T7_T9_mT8_S1C_bDpT10_ENKUlT_T0_E_clISt17integral_constantIbLb0EES1O_IbLb1EEEEDaS1K_S1L_EUlS1K_E_NS1_11comp_targetILNS1_3genE5ELNS1_11target_archE942ELNS1_3gpuE9ELNS1_3repE0EEENS1_30default_config_static_selectorELNS0_4arch9wavefront6targetE1EEEvSY_.num_named_barrier, 0
	.set _ZN7rocprim17ROCPRIM_400000_NS6detail17trampoline_kernelINS0_13select_configILj256ELj13ELNS0_17block_load_methodE3ELS4_3ELS4_3ELNS0_20block_scan_algorithmE0ELj4294967295EEENS1_25partition_config_selectorILNS1_17partition_subalgoE3EjNS0_10empty_typeEbEEZZNS1_14partition_implILS8_3ELb0ES6_jNS0_17counting_iteratorIjlEEPS9_SE_NS0_5tupleIJPjSE_EEENSF_IJSE_SE_EEES9_SG_JZNS1_25segmented_radix_sort_implINS0_14default_configELb1EPKhPhPKlPlN2at6native12_GLOBAL__N_18offset_tEEE10hipError_tPvRmT1_PNSt15iterator_traitsISY_E10value_typeET2_T3_PNSZ_IS14_E10value_typeET4_jRbjT5_S1A_jjP12ihipStream_tbEUljE_EEESV_SW_SX_S14_S18_S1A_T6_T7_T9_mT8_S1C_bDpT10_ENKUlT_T0_E_clISt17integral_constantIbLb0EES1O_IbLb1EEEEDaS1K_S1L_EUlS1K_E_NS1_11comp_targetILNS1_3genE5ELNS1_11target_archE942ELNS1_3gpuE9ELNS1_3repE0EEENS1_30default_config_static_selectorELNS0_4arch9wavefront6targetE1EEEvSY_.private_seg_size, 0
	.set _ZN7rocprim17ROCPRIM_400000_NS6detail17trampoline_kernelINS0_13select_configILj256ELj13ELNS0_17block_load_methodE3ELS4_3ELS4_3ELNS0_20block_scan_algorithmE0ELj4294967295EEENS1_25partition_config_selectorILNS1_17partition_subalgoE3EjNS0_10empty_typeEbEEZZNS1_14partition_implILS8_3ELb0ES6_jNS0_17counting_iteratorIjlEEPS9_SE_NS0_5tupleIJPjSE_EEENSF_IJSE_SE_EEES9_SG_JZNS1_25segmented_radix_sort_implINS0_14default_configELb1EPKhPhPKlPlN2at6native12_GLOBAL__N_18offset_tEEE10hipError_tPvRmT1_PNSt15iterator_traitsISY_E10value_typeET2_T3_PNSZ_IS14_E10value_typeET4_jRbjT5_S1A_jjP12ihipStream_tbEUljE_EEESV_SW_SX_S14_S18_S1A_T6_T7_T9_mT8_S1C_bDpT10_ENKUlT_T0_E_clISt17integral_constantIbLb0EES1O_IbLb1EEEEDaS1K_S1L_EUlS1K_E_NS1_11comp_targetILNS1_3genE5ELNS1_11target_archE942ELNS1_3gpuE9ELNS1_3repE0EEENS1_30default_config_static_selectorELNS0_4arch9wavefront6targetE1EEEvSY_.uses_vcc, 0
	.set _ZN7rocprim17ROCPRIM_400000_NS6detail17trampoline_kernelINS0_13select_configILj256ELj13ELNS0_17block_load_methodE3ELS4_3ELS4_3ELNS0_20block_scan_algorithmE0ELj4294967295EEENS1_25partition_config_selectorILNS1_17partition_subalgoE3EjNS0_10empty_typeEbEEZZNS1_14partition_implILS8_3ELb0ES6_jNS0_17counting_iteratorIjlEEPS9_SE_NS0_5tupleIJPjSE_EEENSF_IJSE_SE_EEES9_SG_JZNS1_25segmented_radix_sort_implINS0_14default_configELb1EPKhPhPKlPlN2at6native12_GLOBAL__N_18offset_tEEE10hipError_tPvRmT1_PNSt15iterator_traitsISY_E10value_typeET2_T3_PNSZ_IS14_E10value_typeET4_jRbjT5_S1A_jjP12ihipStream_tbEUljE_EEESV_SW_SX_S14_S18_S1A_T6_T7_T9_mT8_S1C_bDpT10_ENKUlT_T0_E_clISt17integral_constantIbLb0EES1O_IbLb1EEEEDaS1K_S1L_EUlS1K_E_NS1_11comp_targetILNS1_3genE5ELNS1_11target_archE942ELNS1_3gpuE9ELNS1_3repE0EEENS1_30default_config_static_selectorELNS0_4arch9wavefront6targetE1EEEvSY_.uses_flat_scratch, 0
	.set _ZN7rocprim17ROCPRIM_400000_NS6detail17trampoline_kernelINS0_13select_configILj256ELj13ELNS0_17block_load_methodE3ELS4_3ELS4_3ELNS0_20block_scan_algorithmE0ELj4294967295EEENS1_25partition_config_selectorILNS1_17partition_subalgoE3EjNS0_10empty_typeEbEEZZNS1_14partition_implILS8_3ELb0ES6_jNS0_17counting_iteratorIjlEEPS9_SE_NS0_5tupleIJPjSE_EEENSF_IJSE_SE_EEES9_SG_JZNS1_25segmented_radix_sort_implINS0_14default_configELb1EPKhPhPKlPlN2at6native12_GLOBAL__N_18offset_tEEE10hipError_tPvRmT1_PNSt15iterator_traitsISY_E10value_typeET2_T3_PNSZ_IS14_E10value_typeET4_jRbjT5_S1A_jjP12ihipStream_tbEUljE_EEESV_SW_SX_S14_S18_S1A_T6_T7_T9_mT8_S1C_bDpT10_ENKUlT_T0_E_clISt17integral_constantIbLb0EES1O_IbLb1EEEEDaS1K_S1L_EUlS1K_E_NS1_11comp_targetILNS1_3genE5ELNS1_11target_archE942ELNS1_3gpuE9ELNS1_3repE0EEENS1_30default_config_static_selectorELNS0_4arch9wavefront6targetE1EEEvSY_.has_dyn_sized_stack, 0
	.set _ZN7rocprim17ROCPRIM_400000_NS6detail17trampoline_kernelINS0_13select_configILj256ELj13ELNS0_17block_load_methodE3ELS4_3ELS4_3ELNS0_20block_scan_algorithmE0ELj4294967295EEENS1_25partition_config_selectorILNS1_17partition_subalgoE3EjNS0_10empty_typeEbEEZZNS1_14partition_implILS8_3ELb0ES6_jNS0_17counting_iteratorIjlEEPS9_SE_NS0_5tupleIJPjSE_EEENSF_IJSE_SE_EEES9_SG_JZNS1_25segmented_radix_sort_implINS0_14default_configELb1EPKhPhPKlPlN2at6native12_GLOBAL__N_18offset_tEEE10hipError_tPvRmT1_PNSt15iterator_traitsISY_E10value_typeET2_T3_PNSZ_IS14_E10value_typeET4_jRbjT5_S1A_jjP12ihipStream_tbEUljE_EEESV_SW_SX_S14_S18_S1A_T6_T7_T9_mT8_S1C_bDpT10_ENKUlT_T0_E_clISt17integral_constantIbLb0EES1O_IbLb1EEEEDaS1K_S1L_EUlS1K_E_NS1_11comp_targetILNS1_3genE5ELNS1_11target_archE942ELNS1_3gpuE9ELNS1_3repE0EEENS1_30default_config_static_selectorELNS0_4arch9wavefront6targetE1EEEvSY_.has_recursion, 0
	.set _ZN7rocprim17ROCPRIM_400000_NS6detail17trampoline_kernelINS0_13select_configILj256ELj13ELNS0_17block_load_methodE3ELS4_3ELS4_3ELNS0_20block_scan_algorithmE0ELj4294967295EEENS1_25partition_config_selectorILNS1_17partition_subalgoE3EjNS0_10empty_typeEbEEZZNS1_14partition_implILS8_3ELb0ES6_jNS0_17counting_iteratorIjlEEPS9_SE_NS0_5tupleIJPjSE_EEENSF_IJSE_SE_EEES9_SG_JZNS1_25segmented_radix_sort_implINS0_14default_configELb1EPKhPhPKlPlN2at6native12_GLOBAL__N_18offset_tEEE10hipError_tPvRmT1_PNSt15iterator_traitsISY_E10value_typeET2_T3_PNSZ_IS14_E10value_typeET4_jRbjT5_S1A_jjP12ihipStream_tbEUljE_EEESV_SW_SX_S14_S18_S1A_T6_T7_T9_mT8_S1C_bDpT10_ENKUlT_T0_E_clISt17integral_constantIbLb0EES1O_IbLb1EEEEDaS1K_S1L_EUlS1K_E_NS1_11comp_targetILNS1_3genE5ELNS1_11target_archE942ELNS1_3gpuE9ELNS1_3repE0EEENS1_30default_config_static_selectorELNS0_4arch9wavefront6targetE1EEEvSY_.has_indirect_call, 0
	.section	.AMDGPU.csdata,"",@progbits
; Kernel info:
; codeLenInByte = 0
; TotalNumSgprs: 4
; NumVgprs: 0
; ScratchSize: 0
; MemoryBound: 0
; FloatMode: 240
; IeeeMode: 1
; LDSByteSize: 0 bytes/workgroup (compile time only)
; SGPRBlocks: 0
; VGPRBlocks: 0
; NumSGPRsForWavesPerEU: 4
; NumVGPRsForWavesPerEU: 1
; Occupancy: 10
; WaveLimiterHint : 0
; COMPUTE_PGM_RSRC2:SCRATCH_EN: 0
; COMPUTE_PGM_RSRC2:USER_SGPR: 6
; COMPUTE_PGM_RSRC2:TRAP_HANDLER: 0
; COMPUTE_PGM_RSRC2:TGID_X_EN: 1
; COMPUTE_PGM_RSRC2:TGID_Y_EN: 0
; COMPUTE_PGM_RSRC2:TGID_Z_EN: 0
; COMPUTE_PGM_RSRC2:TIDIG_COMP_CNT: 0
	.section	.text._ZN7rocprim17ROCPRIM_400000_NS6detail17trampoline_kernelINS0_13select_configILj256ELj13ELNS0_17block_load_methodE3ELS4_3ELS4_3ELNS0_20block_scan_algorithmE0ELj4294967295EEENS1_25partition_config_selectorILNS1_17partition_subalgoE3EjNS0_10empty_typeEbEEZZNS1_14partition_implILS8_3ELb0ES6_jNS0_17counting_iteratorIjlEEPS9_SE_NS0_5tupleIJPjSE_EEENSF_IJSE_SE_EEES9_SG_JZNS1_25segmented_radix_sort_implINS0_14default_configELb1EPKhPhPKlPlN2at6native12_GLOBAL__N_18offset_tEEE10hipError_tPvRmT1_PNSt15iterator_traitsISY_E10value_typeET2_T3_PNSZ_IS14_E10value_typeET4_jRbjT5_S1A_jjP12ihipStream_tbEUljE_EEESV_SW_SX_S14_S18_S1A_T6_T7_T9_mT8_S1C_bDpT10_ENKUlT_T0_E_clISt17integral_constantIbLb0EES1O_IbLb1EEEEDaS1K_S1L_EUlS1K_E_NS1_11comp_targetILNS1_3genE4ELNS1_11target_archE910ELNS1_3gpuE8ELNS1_3repE0EEENS1_30default_config_static_selectorELNS0_4arch9wavefront6targetE1EEEvSY_,"axG",@progbits,_ZN7rocprim17ROCPRIM_400000_NS6detail17trampoline_kernelINS0_13select_configILj256ELj13ELNS0_17block_load_methodE3ELS4_3ELS4_3ELNS0_20block_scan_algorithmE0ELj4294967295EEENS1_25partition_config_selectorILNS1_17partition_subalgoE3EjNS0_10empty_typeEbEEZZNS1_14partition_implILS8_3ELb0ES6_jNS0_17counting_iteratorIjlEEPS9_SE_NS0_5tupleIJPjSE_EEENSF_IJSE_SE_EEES9_SG_JZNS1_25segmented_radix_sort_implINS0_14default_configELb1EPKhPhPKlPlN2at6native12_GLOBAL__N_18offset_tEEE10hipError_tPvRmT1_PNSt15iterator_traitsISY_E10value_typeET2_T3_PNSZ_IS14_E10value_typeET4_jRbjT5_S1A_jjP12ihipStream_tbEUljE_EEESV_SW_SX_S14_S18_S1A_T6_T7_T9_mT8_S1C_bDpT10_ENKUlT_T0_E_clISt17integral_constantIbLb0EES1O_IbLb1EEEEDaS1K_S1L_EUlS1K_E_NS1_11comp_targetILNS1_3genE4ELNS1_11target_archE910ELNS1_3gpuE8ELNS1_3repE0EEENS1_30default_config_static_selectorELNS0_4arch9wavefront6targetE1EEEvSY_,comdat
	.globl	_ZN7rocprim17ROCPRIM_400000_NS6detail17trampoline_kernelINS0_13select_configILj256ELj13ELNS0_17block_load_methodE3ELS4_3ELS4_3ELNS0_20block_scan_algorithmE0ELj4294967295EEENS1_25partition_config_selectorILNS1_17partition_subalgoE3EjNS0_10empty_typeEbEEZZNS1_14partition_implILS8_3ELb0ES6_jNS0_17counting_iteratorIjlEEPS9_SE_NS0_5tupleIJPjSE_EEENSF_IJSE_SE_EEES9_SG_JZNS1_25segmented_radix_sort_implINS0_14default_configELb1EPKhPhPKlPlN2at6native12_GLOBAL__N_18offset_tEEE10hipError_tPvRmT1_PNSt15iterator_traitsISY_E10value_typeET2_T3_PNSZ_IS14_E10value_typeET4_jRbjT5_S1A_jjP12ihipStream_tbEUljE_EEESV_SW_SX_S14_S18_S1A_T6_T7_T9_mT8_S1C_bDpT10_ENKUlT_T0_E_clISt17integral_constantIbLb0EES1O_IbLb1EEEEDaS1K_S1L_EUlS1K_E_NS1_11comp_targetILNS1_3genE4ELNS1_11target_archE910ELNS1_3gpuE8ELNS1_3repE0EEENS1_30default_config_static_selectorELNS0_4arch9wavefront6targetE1EEEvSY_ ; -- Begin function _ZN7rocprim17ROCPRIM_400000_NS6detail17trampoline_kernelINS0_13select_configILj256ELj13ELNS0_17block_load_methodE3ELS4_3ELS4_3ELNS0_20block_scan_algorithmE0ELj4294967295EEENS1_25partition_config_selectorILNS1_17partition_subalgoE3EjNS0_10empty_typeEbEEZZNS1_14partition_implILS8_3ELb0ES6_jNS0_17counting_iteratorIjlEEPS9_SE_NS0_5tupleIJPjSE_EEENSF_IJSE_SE_EEES9_SG_JZNS1_25segmented_radix_sort_implINS0_14default_configELb1EPKhPhPKlPlN2at6native12_GLOBAL__N_18offset_tEEE10hipError_tPvRmT1_PNSt15iterator_traitsISY_E10value_typeET2_T3_PNSZ_IS14_E10value_typeET4_jRbjT5_S1A_jjP12ihipStream_tbEUljE_EEESV_SW_SX_S14_S18_S1A_T6_T7_T9_mT8_S1C_bDpT10_ENKUlT_T0_E_clISt17integral_constantIbLb0EES1O_IbLb1EEEEDaS1K_S1L_EUlS1K_E_NS1_11comp_targetILNS1_3genE4ELNS1_11target_archE910ELNS1_3gpuE8ELNS1_3repE0EEENS1_30default_config_static_selectorELNS0_4arch9wavefront6targetE1EEEvSY_
	.p2align	8
	.type	_ZN7rocprim17ROCPRIM_400000_NS6detail17trampoline_kernelINS0_13select_configILj256ELj13ELNS0_17block_load_methodE3ELS4_3ELS4_3ELNS0_20block_scan_algorithmE0ELj4294967295EEENS1_25partition_config_selectorILNS1_17partition_subalgoE3EjNS0_10empty_typeEbEEZZNS1_14partition_implILS8_3ELb0ES6_jNS0_17counting_iteratorIjlEEPS9_SE_NS0_5tupleIJPjSE_EEENSF_IJSE_SE_EEES9_SG_JZNS1_25segmented_radix_sort_implINS0_14default_configELb1EPKhPhPKlPlN2at6native12_GLOBAL__N_18offset_tEEE10hipError_tPvRmT1_PNSt15iterator_traitsISY_E10value_typeET2_T3_PNSZ_IS14_E10value_typeET4_jRbjT5_S1A_jjP12ihipStream_tbEUljE_EEESV_SW_SX_S14_S18_S1A_T6_T7_T9_mT8_S1C_bDpT10_ENKUlT_T0_E_clISt17integral_constantIbLb0EES1O_IbLb1EEEEDaS1K_S1L_EUlS1K_E_NS1_11comp_targetILNS1_3genE4ELNS1_11target_archE910ELNS1_3gpuE8ELNS1_3repE0EEENS1_30default_config_static_selectorELNS0_4arch9wavefront6targetE1EEEvSY_,@function
_ZN7rocprim17ROCPRIM_400000_NS6detail17trampoline_kernelINS0_13select_configILj256ELj13ELNS0_17block_load_methodE3ELS4_3ELS4_3ELNS0_20block_scan_algorithmE0ELj4294967295EEENS1_25partition_config_selectorILNS1_17partition_subalgoE3EjNS0_10empty_typeEbEEZZNS1_14partition_implILS8_3ELb0ES6_jNS0_17counting_iteratorIjlEEPS9_SE_NS0_5tupleIJPjSE_EEENSF_IJSE_SE_EEES9_SG_JZNS1_25segmented_radix_sort_implINS0_14default_configELb1EPKhPhPKlPlN2at6native12_GLOBAL__N_18offset_tEEE10hipError_tPvRmT1_PNSt15iterator_traitsISY_E10value_typeET2_T3_PNSZ_IS14_E10value_typeET4_jRbjT5_S1A_jjP12ihipStream_tbEUljE_EEESV_SW_SX_S14_S18_S1A_T6_T7_T9_mT8_S1C_bDpT10_ENKUlT_T0_E_clISt17integral_constantIbLb0EES1O_IbLb1EEEEDaS1K_S1L_EUlS1K_E_NS1_11comp_targetILNS1_3genE4ELNS1_11target_archE910ELNS1_3gpuE8ELNS1_3repE0EEENS1_30default_config_static_selectorELNS0_4arch9wavefront6targetE1EEEvSY_: ; @_ZN7rocprim17ROCPRIM_400000_NS6detail17trampoline_kernelINS0_13select_configILj256ELj13ELNS0_17block_load_methodE3ELS4_3ELS4_3ELNS0_20block_scan_algorithmE0ELj4294967295EEENS1_25partition_config_selectorILNS1_17partition_subalgoE3EjNS0_10empty_typeEbEEZZNS1_14partition_implILS8_3ELb0ES6_jNS0_17counting_iteratorIjlEEPS9_SE_NS0_5tupleIJPjSE_EEENSF_IJSE_SE_EEES9_SG_JZNS1_25segmented_radix_sort_implINS0_14default_configELb1EPKhPhPKlPlN2at6native12_GLOBAL__N_18offset_tEEE10hipError_tPvRmT1_PNSt15iterator_traitsISY_E10value_typeET2_T3_PNSZ_IS14_E10value_typeET4_jRbjT5_S1A_jjP12ihipStream_tbEUljE_EEESV_SW_SX_S14_S18_S1A_T6_T7_T9_mT8_S1C_bDpT10_ENKUlT_T0_E_clISt17integral_constantIbLb0EES1O_IbLb1EEEEDaS1K_S1L_EUlS1K_E_NS1_11comp_targetILNS1_3genE4ELNS1_11target_archE910ELNS1_3gpuE8ELNS1_3repE0EEENS1_30default_config_static_selectorELNS0_4arch9wavefront6targetE1EEEvSY_
; %bb.0:
	.section	.rodata,"a",@progbits
	.p2align	6, 0x0
	.amdhsa_kernel _ZN7rocprim17ROCPRIM_400000_NS6detail17trampoline_kernelINS0_13select_configILj256ELj13ELNS0_17block_load_methodE3ELS4_3ELS4_3ELNS0_20block_scan_algorithmE0ELj4294967295EEENS1_25partition_config_selectorILNS1_17partition_subalgoE3EjNS0_10empty_typeEbEEZZNS1_14partition_implILS8_3ELb0ES6_jNS0_17counting_iteratorIjlEEPS9_SE_NS0_5tupleIJPjSE_EEENSF_IJSE_SE_EEES9_SG_JZNS1_25segmented_radix_sort_implINS0_14default_configELb1EPKhPhPKlPlN2at6native12_GLOBAL__N_18offset_tEEE10hipError_tPvRmT1_PNSt15iterator_traitsISY_E10value_typeET2_T3_PNSZ_IS14_E10value_typeET4_jRbjT5_S1A_jjP12ihipStream_tbEUljE_EEESV_SW_SX_S14_S18_S1A_T6_T7_T9_mT8_S1C_bDpT10_ENKUlT_T0_E_clISt17integral_constantIbLb0EES1O_IbLb1EEEEDaS1K_S1L_EUlS1K_E_NS1_11comp_targetILNS1_3genE4ELNS1_11target_archE910ELNS1_3gpuE8ELNS1_3repE0EEENS1_30default_config_static_selectorELNS0_4arch9wavefront6targetE1EEEvSY_
		.amdhsa_group_segment_fixed_size 0
		.amdhsa_private_segment_fixed_size 0
		.amdhsa_kernarg_size 152
		.amdhsa_user_sgpr_count 6
		.amdhsa_user_sgpr_private_segment_buffer 1
		.amdhsa_user_sgpr_dispatch_ptr 0
		.amdhsa_user_sgpr_queue_ptr 0
		.amdhsa_user_sgpr_kernarg_segment_ptr 1
		.amdhsa_user_sgpr_dispatch_id 0
		.amdhsa_user_sgpr_flat_scratch_init 0
		.amdhsa_user_sgpr_private_segment_size 0
		.amdhsa_uses_dynamic_stack 0
		.amdhsa_system_sgpr_private_segment_wavefront_offset 0
		.amdhsa_system_sgpr_workgroup_id_x 1
		.amdhsa_system_sgpr_workgroup_id_y 0
		.amdhsa_system_sgpr_workgroup_id_z 0
		.amdhsa_system_sgpr_workgroup_info 0
		.amdhsa_system_vgpr_workitem_id 0
		.amdhsa_next_free_vgpr 1
		.amdhsa_next_free_sgpr 0
		.amdhsa_reserve_vcc 0
		.amdhsa_reserve_flat_scratch 0
		.amdhsa_float_round_mode_32 0
		.amdhsa_float_round_mode_16_64 0
		.amdhsa_float_denorm_mode_32 3
		.amdhsa_float_denorm_mode_16_64 3
		.amdhsa_dx10_clamp 1
		.amdhsa_ieee_mode 1
		.amdhsa_fp16_overflow 0
		.amdhsa_exception_fp_ieee_invalid_op 0
		.amdhsa_exception_fp_denorm_src 0
		.amdhsa_exception_fp_ieee_div_zero 0
		.amdhsa_exception_fp_ieee_overflow 0
		.amdhsa_exception_fp_ieee_underflow 0
		.amdhsa_exception_fp_ieee_inexact 0
		.amdhsa_exception_int_div_zero 0
	.end_amdhsa_kernel
	.section	.text._ZN7rocprim17ROCPRIM_400000_NS6detail17trampoline_kernelINS0_13select_configILj256ELj13ELNS0_17block_load_methodE3ELS4_3ELS4_3ELNS0_20block_scan_algorithmE0ELj4294967295EEENS1_25partition_config_selectorILNS1_17partition_subalgoE3EjNS0_10empty_typeEbEEZZNS1_14partition_implILS8_3ELb0ES6_jNS0_17counting_iteratorIjlEEPS9_SE_NS0_5tupleIJPjSE_EEENSF_IJSE_SE_EEES9_SG_JZNS1_25segmented_radix_sort_implINS0_14default_configELb1EPKhPhPKlPlN2at6native12_GLOBAL__N_18offset_tEEE10hipError_tPvRmT1_PNSt15iterator_traitsISY_E10value_typeET2_T3_PNSZ_IS14_E10value_typeET4_jRbjT5_S1A_jjP12ihipStream_tbEUljE_EEESV_SW_SX_S14_S18_S1A_T6_T7_T9_mT8_S1C_bDpT10_ENKUlT_T0_E_clISt17integral_constantIbLb0EES1O_IbLb1EEEEDaS1K_S1L_EUlS1K_E_NS1_11comp_targetILNS1_3genE4ELNS1_11target_archE910ELNS1_3gpuE8ELNS1_3repE0EEENS1_30default_config_static_selectorELNS0_4arch9wavefront6targetE1EEEvSY_,"axG",@progbits,_ZN7rocprim17ROCPRIM_400000_NS6detail17trampoline_kernelINS0_13select_configILj256ELj13ELNS0_17block_load_methodE3ELS4_3ELS4_3ELNS0_20block_scan_algorithmE0ELj4294967295EEENS1_25partition_config_selectorILNS1_17partition_subalgoE3EjNS0_10empty_typeEbEEZZNS1_14partition_implILS8_3ELb0ES6_jNS0_17counting_iteratorIjlEEPS9_SE_NS0_5tupleIJPjSE_EEENSF_IJSE_SE_EEES9_SG_JZNS1_25segmented_radix_sort_implINS0_14default_configELb1EPKhPhPKlPlN2at6native12_GLOBAL__N_18offset_tEEE10hipError_tPvRmT1_PNSt15iterator_traitsISY_E10value_typeET2_T3_PNSZ_IS14_E10value_typeET4_jRbjT5_S1A_jjP12ihipStream_tbEUljE_EEESV_SW_SX_S14_S18_S1A_T6_T7_T9_mT8_S1C_bDpT10_ENKUlT_T0_E_clISt17integral_constantIbLb0EES1O_IbLb1EEEEDaS1K_S1L_EUlS1K_E_NS1_11comp_targetILNS1_3genE4ELNS1_11target_archE910ELNS1_3gpuE8ELNS1_3repE0EEENS1_30default_config_static_selectorELNS0_4arch9wavefront6targetE1EEEvSY_,comdat
.Lfunc_end77:
	.size	_ZN7rocprim17ROCPRIM_400000_NS6detail17trampoline_kernelINS0_13select_configILj256ELj13ELNS0_17block_load_methodE3ELS4_3ELS4_3ELNS0_20block_scan_algorithmE0ELj4294967295EEENS1_25partition_config_selectorILNS1_17partition_subalgoE3EjNS0_10empty_typeEbEEZZNS1_14partition_implILS8_3ELb0ES6_jNS0_17counting_iteratorIjlEEPS9_SE_NS0_5tupleIJPjSE_EEENSF_IJSE_SE_EEES9_SG_JZNS1_25segmented_radix_sort_implINS0_14default_configELb1EPKhPhPKlPlN2at6native12_GLOBAL__N_18offset_tEEE10hipError_tPvRmT1_PNSt15iterator_traitsISY_E10value_typeET2_T3_PNSZ_IS14_E10value_typeET4_jRbjT5_S1A_jjP12ihipStream_tbEUljE_EEESV_SW_SX_S14_S18_S1A_T6_T7_T9_mT8_S1C_bDpT10_ENKUlT_T0_E_clISt17integral_constantIbLb0EES1O_IbLb1EEEEDaS1K_S1L_EUlS1K_E_NS1_11comp_targetILNS1_3genE4ELNS1_11target_archE910ELNS1_3gpuE8ELNS1_3repE0EEENS1_30default_config_static_selectorELNS0_4arch9wavefront6targetE1EEEvSY_, .Lfunc_end77-_ZN7rocprim17ROCPRIM_400000_NS6detail17trampoline_kernelINS0_13select_configILj256ELj13ELNS0_17block_load_methodE3ELS4_3ELS4_3ELNS0_20block_scan_algorithmE0ELj4294967295EEENS1_25partition_config_selectorILNS1_17partition_subalgoE3EjNS0_10empty_typeEbEEZZNS1_14partition_implILS8_3ELb0ES6_jNS0_17counting_iteratorIjlEEPS9_SE_NS0_5tupleIJPjSE_EEENSF_IJSE_SE_EEES9_SG_JZNS1_25segmented_radix_sort_implINS0_14default_configELb1EPKhPhPKlPlN2at6native12_GLOBAL__N_18offset_tEEE10hipError_tPvRmT1_PNSt15iterator_traitsISY_E10value_typeET2_T3_PNSZ_IS14_E10value_typeET4_jRbjT5_S1A_jjP12ihipStream_tbEUljE_EEESV_SW_SX_S14_S18_S1A_T6_T7_T9_mT8_S1C_bDpT10_ENKUlT_T0_E_clISt17integral_constantIbLb0EES1O_IbLb1EEEEDaS1K_S1L_EUlS1K_E_NS1_11comp_targetILNS1_3genE4ELNS1_11target_archE910ELNS1_3gpuE8ELNS1_3repE0EEENS1_30default_config_static_selectorELNS0_4arch9wavefront6targetE1EEEvSY_
                                        ; -- End function
	.set _ZN7rocprim17ROCPRIM_400000_NS6detail17trampoline_kernelINS0_13select_configILj256ELj13ELNS0_17block_load_methodE3ELS4_3ELS4_3ELNS0_20block_scan_algorithmE0ELj4294967295EEENS1_25partition_config_selectorILNS1_17partition_subalgoE3EjNS0_10empty_typeEbEEZZNS1_14partition_implILS8_3ELb0ES6_jNS0_17counting_iteratorIjlEEPS9_SE_NS0_5tupleIJPjSE_EEENSF_IJSE_SE_EEES9_SG_JZNS1_25segmented_radix_sort_implINS0_14default_configELb1EPKhPhPKlPlN2at6native12_GLOBAL__N_18offset_tEEE10hipError_tPvRmT1_PNSt15iterator_traitsISY_E10value_typeET2_T3_PNSZ_IS14_E10value_typeET4_jRbjT5_S1A_jjP12ihipStream_tbEUljE_EEESV_SW_SX_S14_S18_S1A_T6_T7_T9_mT8_S1C_bDpT10_ENKUlT_T0_E_clISt17integral_constantIbLb0EES1O_IbLb1EEEEDaS1K_S1L_EUlS1K_E_NS1_11comp_targetILNS1_3genE4ELNS1_11target_archE910ELNS1_3gpuE8ELNS1_3repE0EEENS1_30default_config_static_selectorELNS0_4arch9wavefront6targetE1EEEvSY_.num_vgpr, 0
	.set _ZN7rocprim17ROCPRIM_400000_NS6detail17trampoline_kernelINS0_13select_configILj256ELj13ELNS0_17block_load_methodE3ELS4_3ELS4_3ELNS0_20block_scan_algorithmE0ELj4294967295EEENS1_25partition_config_selectorILNS1_17partition_subalgoE3EjNS0_10empty_typeEbEEZZNS1_14partition_implILS8_3ELb0ES6_jNS0_17counting_iteratorIjlEEPS9_SE_NS0_5tupleIJPjSE_EEENSF_IJSE_SE_EEES9_SG_JZNS1_25segmented_radix_sort_implINS0_14default_configELb1EPKhPhPKlPlN2at6native12_GLOBAL__N_18offset_tEEE10hipError_tPvRmT1_PNSt15iterator_traitsISY_E10value_typeET2_T3_PNSZ_IS14_E10value_typeET4_jRbjT5_S1A_jjP12ihipStream_tbEUljE_EEESV_SW_SX_S14_S18_S1A_T6_T7_T9_mT8_S1C_bDpT10_ENKUlT_T0_E_clISt17integral_constantIbLb0EES1O_IbLb1EEEEDaS1K_S1L_EUlS1K_E_NS1_11comp_targetILNS1_3genE4ELNS1_11target_archE910ELNS1_3gpuE8ELNS1_3repE0EEENS1_30default_config_static_selectorELNS0_4arch9wavefront6targetE1EEEvSY_.num_agpr, 0
	.set _ZN7rocprim17ROCPRIM_400000_NS6detail17trampoline_kernelINS0_13select_configILj256ELj13ELNS0_17block_load_methodE3ELS4_3ELS4_3ELNS0_20block_scan_algorithmE0ELj4294967295EEENS1_25partition_config_selectorILNS1_17partition_subalgoE3EjNS0_10empty_typeEbEEZZNS1_14partition_implILS8_3ELb0ES6_jNS0_17counting_iteratorIjlEEPS9_SE_NS0_5tupleIJPjSE_EEENSF_IJSE_SE_EEES9_SG_JZNS1_25segmented_radix_sort_implINS0_14default_configELb1EPKhPhPKlPlN2at6native12_GLOBAL__N_18offset_tEEE10hipError_tPvRmT1_PNSt15iterator_traitsISY_E10value_typeET2_T3_PNSZ_IS14_E10value_typeET4_jRbjT5_S1A_jjP12ihipStream_tbEUljE_EEESV_SW_SX_S14_S18_S1A_T6_T7_T9_mT8_S1C_bDpT10_ENKUlT_T0_E_clISt17integral_constantIbLb0EES1O_IbLb1EEEEDaS1K_S1L_EUlS1K_E_NS1_11comp_targetILNS1_3genE4ELNS1_11target_archE910ELNS1_3gpuE8ELNS1_3repE0EEENS1_30default_config_static_selectorELNS0_4arch9wavefront6targetE1EEEvSY_.numbered_sgpr, 0
	.set _ZN7rocprim17ROCPRIM_400000_NS6detail17trampoline_kernelINS0_13select_configILj256ELj13ELNS0_17block_load_methodE3ELS4_3ELS4_3ELNS0_20block_scan_algorithmE0ELj4294967295EEENS1_25partition_config_selectorILNS1_17partition_subalgoE3EjNS0_10empty_typeEbEEZZNS1_14partition_implILS8_3ELb0ES6_jNS0_17counting_iteratorIjlEEPS9_SE_NS0_5tupleIJPjSE_EEENSF_IJSE_SE_EEES9_SG_JZNS1_25segmented_radix_sort_implINS0_14default_configELb1EPKhPhPKlPlN2at6native12_GLOBAL__N_18offset_tEEE10hipError_tPvRmT1_PNSt15iterator_traitsISY_E10value_typeET2_T3_PNSZ_IS14_E10value_typeET4_jRbjT5_S1A_jjP12ihipStream_tbEUljE_EEESV_SW_SX_S14_S18_S1A_T6_T7_T9_mT8_S1C_bDpT10_ENKUlT_T0_E_clISt17integral_constantIbLb0EES1O_IbLb1EEEEDaS1K_S1L_EUlS1K_E_NS1_11comp_targetILNS1_3genE4ELNS1_11target_archE910ELNS1_3gpuE8ELNS1_3repE0EEENS1_30default_config_static_selectorELNS0_4arch9wavefront6targetE1EEEvSY_.num_named_barrier, 0
	.set _ZN7rocprim17ROCPRIM_400000_NS6detail17trampoline_kernelINS0_13select_configILj256ELj13ELNS0_17block_load_methodE3ELS4_3ELS4_3ELNS0_20block_scan_algorithmE0ELj4294967295EEENS1_25partition_config_selectorILNS1_17partition_subalgoE3EjNS0_10empty_typeEbEEZZNS1_14partition_implILS8_3ELb0ES6_jNS0_17counting_iteratorIjlEEPS9_SE_NS0_5tupleIJPjSE_EEENSF_IJSE_SE_EEES9_SG_JZNS1_25segmented_radix_sort_implINS0_14default_configELb1EPKhPhPKlPlN2at6native12_GLOBAL__N_18offset_tEEE10hipError_tPvRmT1_PNSt15iterator_traitsISY_E10value_typeET2_T3_PNSZ_IS14_E10value_typeET4_jRbjT5_S1A_jjP12ihipStream_tbEUljE_EEESV_SW_SX_S14_S18_S1A_T6_T7_T9_mT8_S1C_bDpT10_ENKUlT_T0_E_clISt17integral_constantIbLb0EES1O_IbLb1EEEEDaS1K_S1L_EUlS1K_E_NS1_11comp_targetILNS1_3genE4ELNS1_11target_archE910ELNS1_3gpuE8ELNS1_3repE0EEENS1_30default_config_static_selectorELNS0_4arch9wavefront6targetE1EEEvSY_.private_seg_size, 0
	.set _ZN7rocprim17ROCPRIM_400000_NS6detail17trampoline_kernelINS0_13select_configILj256ELj13ELNS0_17block_load_methodE3ELS4_3ELS4_3ELNS0_20block_scan_algorithmE0ELj4294967295EEENS1_25partition_config_selectorILNS1_17partition_subalgoE3EjNS0_10empty_typeEbEEZZNS1_14partition_implILS8_3ELb0ES6_jNS0_17counting_iteratorIjlEEPS9_SE_NS0_5tupleIJPjSE_EEENSF_IJSE_SE_EEES9_SG_JZNS1_25segmented_radix_sort_implINS0_14default_configELb1EPKhPhPKlPlN2at6native12_GLOBAL__N_18offset_tEEE10hipError_tPvRmT1_PNSt15iterator_traitsISY_E10value_typeET2_T3_PNSZ_IS14_E10value_typeET4_jRbjT5_S1A_jjP12ihipStream_tbEUljE_EEESV_SW_SX_S14_S18_S1A_T6_T7_T9_mT8_S1C_bDpT10_ENKUlT_T0_E_clISt17integral_constantIbLb0EES1O_IbLb1EEEEDaS1K_S1L_EUlS1K_E_NS1_11comp_targetILNS1_3genE4ELNS1_11target_archE910ELNS1_3gpuE8ELNS1_3repE0EEENS1_30default_config_static_selectorELNS0_4arch9wavefront6targetE1EEEvSY_.uses_vcc, 0
	.set _ZN7rocprim17ROCPRIM_400000_NS6detail17trampoline_kernelINS0_13select_configILj256ELj13ELNS0_17block_load_methodE3ELS4_3ELS4_3ELNS0_20block_scan_algorithmE0ELj4294967295EEENS1_25partition_config_selectorILNS1_17partition_subalgoE3EjNS0_10empty_typeEbEEZZNS1_14partition_implILS8_3ELb0ES6_jNS0_17counting_iteratorIjlEEPS9_SE_NS0_5tupleIJPjSE_EEENSF_IJSE_SE_EEES9_SG_JZNS1_25segmented_radix_sort_implINS0_14default_configELb1EPKhPhPKlPlN2at6native12_GLOBAL__N_18offset_tEEE10hipError_tPvRmT1_PNSt15iterator_traitsISY_E10value_typeET2_T3_PNSZ_IS14_E10value_typeET4_jRbjT5_S1A_jjP12ihipStream_tbEUljE_EEESV_SW_SX_S14_S18_S1A_T6_T7_T9_mT8_S1C_bDpT10_ENKUlT_T0_E_clISt17integral_constantIbLb0EES1O_IbLb1EEEEDaS1K_S1L_EUlS1K_E_NS1_11comp_targetILNS1_3genE4ELNS1_11target_archE910ELNS1_3gpuE8ELNS1_3repE0EEENS1_30default_config_static_selectorELNS0_4arch9wavefront6targetE1EEEvSY_.uses_flat_scratch, 0
	.set _ZN7rocprim17ROCPRIM_400000_NS6detail17trampoline_kernelINS0_13select_configILj256ELj13ELNS0_17block_load_methodE3ELS4_3ELS4_3ELNS0_20block_scan_algorithmE0ELj4294967295EEENS1_25partition_config_selectorILNS1_17partition_subalgoE3EjNS0_10empty_typeEbEEZZNS1_14partition_implILS8_3ELb0ES6_jNS0_17counting_iteratorIjlEEPS9_SE_NS0_5tupleIJPjSE_EEENSF_IJSE_SE_EEES9_SG_JZNS1_25segmented_radix_sort_implINS0_14default_configELb1EPKhPhPKlPlN2at6native12_GLOBAL__N_18offset_tEEE10hipError_tPvRmT1_PNSt15iterator_traitsISY_E10value_typeET2_T3_PNSZ_IS14_E10value_typeET4_jRbjT5_S1A_jjP12ihipStream_tbEUljE_EEESV_SW_SX_S14_S18_S1A_T6_T7_T9_mT8_S1C_bDpT10_ENKUlT_T0_E_clISt17integral_constantIbLb0EES1O_IbLb1EEEEDaS1K_S1L_EUlS1K_E_NS1_11comp_targetILNS1_3genE4ELNS1_11target_archE910ELNS1_3gpuE8ELNS1_3repE0EEENS1_30default_config_static_selectorELNS0_4arch9wavefront6targetE1EEEvSY_.has_dyn_sized_stack, 0
	.set _ZN7rocprim17ROCPRIM_400000_NS6detail17trampoline_kernelINS0_13select_configILj256ELj13ELNS0_17block_load_methodE3ELS4_3ELS4_3ELNS0_20block_scan_algorithmE0ELj4294967295EEENS1_25partition_config_selectorILNS1_17partition_subalgoE3EjNS0_10empty_typeEbEEZZNS1_14partition_implILS8_3ELb0ES6_jNS0_17counting_iteratorIjlEEPS9_SE_NS0_5tupleIJPjSE_EEENSF_IJSE_SE_EEES9_SG_JZNS1_25segmented_radix_sort_implINS0_14default_configELb1EPKhPhPKlPlN2at6native12_GLOBAL__N_18offset_tEEE10hipError_tPvRmT1_PNSt15iterator_traitsISY_E10value_typeET2_T3_PNSZ_IS14_E10value_typeET4_jRbjT5_S1A_jjP12ihipStream_tbEUljE_EEESV_SW_SX_S14_S18_S1A_T6_T7_T9_mT8_S1C_bDpT10_ENKUlT_T0_E_clISt17integral_constantIbLb0EES1O_IbLb1EEEEDaS1K_S1L_EUlS1K_E_NS1_11comp_targetILNS1_3genE4ELNS1_11target_archE910ELNS1_3gpuE8ELNS1_3repE0EEENS1_30default_config_static_selectorELNS0_4arch9wavefront6targetE1EEEvSY_.has_recursion, 0
	.set _ZN7rocprim17ROCPRIM_400000_NS6detail17trampoline_kernelINS0_13select_configILj256ELj13ELNS0_17block_load_methodE3ELS4_3ELS4_3ELNS0_20block_scan_algorithmE0ELj4294967295EEENS1_25partition_config_selectorILNS1_17partition_subalgoE3EjNS0_10empty_typeEbEEZZNS1_14partition_implILS8_3ELb0ES6_jNS0_17counting_iteratorIjlEEPS9_SE_NS0_5tupleIJPjSE_EEENSF_IJSE_SE_EEES9_SG_JZNS1_25segmented_radix_sort_implINS0_14default_configELb1EPKhPhPKlPlN2at6native12_GLOBAL__N_18offset_tEEE10hipError_tPvRmT1_PNSt15iterator_traitsISY_E10value_typeET2_T3_PNSZ_IS14_E10value_typeET4_jRbjT5_S1A_jjP12ihipStream_tbEUljE_EEESV_SW_SX_S14_S18_S1A_T6_T7_T9_mT8_S1C_bDpT10_ENKUlT_T0_E_clISt17integral_constantIbLb0EES1O_IbLb1EEEEDaS1K_S1L_EUlS1K_E_NS1_11comp_targetILNS1_3genE4ELNS1_11target_archE910ELNS1_3gpuE8ELNS1_3repE0EEENS1_30default_config_static_selectorELNS0_4arch9wavefront6targetE1EEEvSY_.has_indirect_call, 0
	.section	.AMDGPU.csdata,"",@progbits
; Kernel info:
; codeLenInByte = 0
; TotalNumSgprs: 4
; NumVgprs: 0
; ScratchSize: 0
; MemoryBound: 0
; FloatMode: 240
; IeeeMode: 1
; LDSByteSize: 0 bytes/workgroup (compile time only)
; SGPRBlocks: 0
; VGPRBlocks: 0
; NumSGPRsForWavesPerEU: 4
; NumVGPRsForWavesPerEU: 1
; Occupancy: 10
; WaveLimiterHint : 0
; COMPUTE_PGM_RSRC2:SCRATCH_EN: 0
; COMPUTE_PGM_RSRC2:USER_SGPR: 6
; COMPUTE_PGM_RSRC2:TRAP_HANDLER: 0
; COMPUTE_PGM_RSRC2:TGID_X_EN: 1
; COMPUTE_PGM_RSRC2:TGID_Y_EN: 0
; COMPUTE_PGM_RSRC2:TGID_Z_EN: 0
; COMPUTE_PGM_RSRC2:TIDIG_COMP_CNT: 0
	.section	.text._ZN7rocprim17ROCPRIM_400000_NS6detail17trampoline_kernelINS0_13select_configILj256ELj13ELNS0_17block_load_methodE3ELS4_3ELS4_3ELNS0_20block_scan_algorithmE0ELj4294967295EEENS1_25partition_config_selectorILNS1_17partition_subalgoE3EjNS0_10empty_typeEbEEZZNS1_14partition_implILS8_3ELb0ES6_jNS0_17counting_iteratorIjlEEPS9_SE_NS0_5tupleIJPjSE_EEENSF_IJSE_SE_EEES9_SG_JZNS1_25segmented_radix_sort_implINS0_14default_configELb1EPKhPhPKlPlN2at6native12_GLOBAL__N_18offset_tEEE10hipError_tPvRmT1_PNSt15iterator_traitsISY_E10value_typeET2_T3_PNSZ_IS14_E10value_typeET4_jRbjT5_S1A_jjP12ihipStream_tbEUljE_EEESV_SW_SX_S14_S18_S1A_T6_T7_T9_mT8_S1C_bDpT10_ENKUlT_T0_E_clISt17integral_constantIbLb0EES1O_IbLb1EEEEDaS1K_S1L_EUlS1K_E_NS1_11comp_targetILNS1_3genE3ELNS1_11target_archE908ELNS1_3gpuE7ELNS1_3repE0EEENS1_30default_config_static_selectorELNS0_4arch9wavefront6targetE1EEEvSY_,"axG",@progbits,_ZN7rocprim17ROCPRIM_400000_NS6detail17trampoline_kernelINS0_13select_configILj256ELj13ELNS0_17block_load_methodE3ELS4_3ELS4_3ELNS0_20block_scan_algorithmE0ELj4294967295EEENS1_25partition_config_selectorILNS1_17partition_subalgoE3EjNS0_10empty_typeEbEEZZNS1_14partition_implILS8_3ELb0ES6_jNS0_17counting_iteratorIjlEEPS9_SE_NS0_5tupleIJPjSE_EEENSF_IJSE_SE_EEES9_SG_JZNS1_25segmented_radix_sort_implINS0_14default_configELb1EPKhPhPKlPlN2at6native12_GLOBAL__N_18offset_tEEE10hipError_tPvRmT1_PNSt15iterator_traitsISY_E10value_typeET2_T3_PNSZ_IS14_E10value_typeET4_jRbjT5_S1A_jjP12ihipStream_tbEUljE_EEESV_SW_SX_S14_S18_S1A_T6_T7_T9_mT8_S1C_bDpT10_ENKUlT_T0_E_clISt17integral_constantIbLb0EES1O_IbLb1EEEEDaS1K_S1L_EUlS1K_E_NS1_11comp_targetILNS1_3genE3ELNS1_11target_archE908ELNS1_3gpuE7ELNS1_3repE0EEENS1_30default_config_static_selectorELNS0_4arch9wavefront6targetE1EEEvSY_,comdat
	.globl	_ZN7rocprim17ROCPRIM_400000_NS6detail17trampoline_kernelINS0_13select_configILj256ELj13ELNS0_17block_load_methodE3ELS4_3ELS4_3ELNS0_20block_scan_algorithmE0ELj4294967295EEENS1_25partition_config_selectorILNS1_17partition_subalgoE3EjNS0_10empty_typeEbEEZZNS1_14partition_implILS8_3ELb0ES6_jNS0_17counting_iteratorIjlEEPS9_SE_NS0_5tupleIJPjSE_EEENSF_IJSE_SE_EEES9_SG_JZNS1_25segmented_radix_sort_implINS0_14default_configELb1EPKhPhPKlPlN2at6native12_GLOBAL__N_18offset_tEEE10hipError_tPvRmT1_PNSt15iterator_traitsISY_E10value_typeET2_T3_PNSZ_IS14_E10value_typeET4_jRbjT5_S1A_jjP12ihipStream_tbEUljE_EEESV_SW_SX_S14_S18_S1A_T6_T7_T9_mT8_S1C_bDpT10_ENKUlT_T0_E_clISt17integral_constantIbLb0EES1O_IbLb1EEEEDaS1K_S1L_EUlS1K_E_NS1_11comp_targetILNS1_3genE3ELNS1_11target_archE908ELNS1_3gpuE7ELNS1_3repE0EEENS1_30default_config_static_selectorELNS0_4arch9wavefront6targetE1EEEvSY_ ; -- Begin function _ZN7rocprim17ROCPRIM_400000_NS6detail17trampoline_kernelINS0_13select_configILj256ELj13ELNS0_17block_load_methodE3ELS4_3ELS4_3ELNS0_20block_scan_algorithmE0ELj4294967295EEENS1_25partition_config_selectorILNS1_17partition_subalgoE3EjNS0_10empty_typeEbEEZZNS1_14partition_implILS8_3ELb0ES6_jNS0_17counting_iteratorIjlEEPS9_SE_NS0_5tupleIJPjSE_EEENSF_IJSE_SE_EEES9_SG_JZNS1_25segmented_radix_sort_implINS0_14default_configELb1EPKhPhPKlPlN2at6native12_GLOBAL__N_18offset_tEEE10hipError_tPvRmT1_PNSt15iterator_traitsISY_E10value_typeET2_T3_PNSZ_IS14_E10value_typeET4_jRbjT5_S1A_jjP12ihipStream_tbEUljE_EEESV_SW_SX_S14_S18_S1A_T6_T7_T9_mT8_S1C_bDpT10_ENKUlT_T0_E_clISt17integral_constantIbLb0EES1O_IbLb1EEEEDaS1K_S1L_EUlS1K_E_NS1_11comp_targetILNS1_3genE3ELNS1_11target_archE908ELNS1_3gpuE7ELNS1_3repE0EEENS1_30default_config_static_selectorELNS0_4arch9wavefront6targetE1EEEvSY_
	.p2align	8
	.type	_ZN7rocprim17ROCPRIM_400000_NS6detail17trampoline_kernelINS0_13select_configILj256ELj13ELNS0_17block_load_methodE3ELS4_3ELS4_3ELNS0_20block_scan_algorithmE0ELj4294967295EEENS1_25partition_config_selectorILNS1_17partition_subalgoE3EjNS0_10empty_typeEbEEZZNS1_14partition_implILS8_3ELb0ES6_jNS0_17counting_iteratorIjlEEPS9_SE_NS0_5tupleIJPjSE_EEENSF_IJSE_SE_EEES9_SG_JZNS1_25segmented_radix_sort_implINS0_14default_configELb1EPKhPhPKlPlN2at6native12_GLOBAL__N_18offset_tEEE10hipError_tPvRmT1_PNSt15iterator_traitsISY_E10value_typeET2_T3_PNSZ_IS14_E10value_typeET4_jRbjT5_S1A_jjP12ihipStream_tbEUljE_EEESV_SW_SX_S14_S18_S1A_T6_T7_T9_mT8_S1C_bDpT10_ENKUlT_T0_E_clISt17integral_constantIbLb0EES1O_IbLb1EEEEDaS1K_S1L_EUlS1K_E_NS1_11comp_targetILNS1_3genE3ELNS1_11target_archE908ELNS1_3gpuE7ELNS1_3repE0EEENS1_30default_config_static_selectorELNS0_4arch9wavefront6targetE1EEEvSY_,@function
_ZN7rocprim17ROCPRIM_400000_NS6detail17trampoline_kernelINS0_13select_configILj256ELj13ELNS0_17block_load_methodE3ELS4_3ELS4_3ELNS0_20block_scan_algorithmE0ELj4294967295EEENS1_25partition_config_selectorILNS1_17partition_subalgoE3EjNS0_10empty_typeEbEEZZNS1_14partition_implILS8_3ELb0ES6_jNS0_17counting_iteratorIjlEEPS9_SE_NS0_5tupleIJPjSE_EEENSF_IJSE_SE_EEES9_SG_JZNS1_25segmented_radix_sort_implINS0_14default_configELb1EPKhPhPKlPlN2at6native12_GLOBAL__N_18offset_tEEE10hipError_tPvRmT1_PNSt15iterator_traitsISY_E10value_typeET2_T3_PNSZ_IS14_E10value_typeET4_jRbjT5_S1A_jjP12ihipStream_tbEUljE_EEESV_SW_SX_S14_S18_S1A_T6_T7_T9_mT8_S1C_bDpT10_ENKUlT_T0_E_clISt17integral_constantIbLb0EES1O_IbLb1EEEEDaS1K_S1L_EUlS1K_E_NS1_11comp_targetILNS1_3genE3ELNS1_11target_archE908ELNS1_3gpuE7ELNS1_3repE0EEENS1_30default_config_static_selectorELNS0_4arch9wavefront6targetE1EEEvSY_: ; @_ZN7rocprim17ROCPRIM_400000_NS6detail17trampoline_kernelINS0_13select_configILj256ELj13ELNS0_17block_load_methodE3ELS4_3ELS4_3ELNS0_20block_scan_algorithmE0ELj4294967295EEENS1_25partition_config_selectorILNS1_17partition_subalgoE3EjNS0_10empty_typeEbEEZZNS1_14partition_implILS8_3ELb0ES6_jNS0_17counting_iteratorIjlEEPS9_SE_NS0_5tupleIJPjSE_EEENSF_IJSE_SE_EEES9_SG_JZNS1_25segmented_radix_sort_implINS0_14default_configELb1EPKhPhPKlPlN2at6native12_GLOBAL__N_18offset_tEEE10hipError_tPvRmT1_PNSt15iterator_traitsISY_E10value_typeET2_T3_PNSZ_IS14_E10value_typeET4_jRbjT5_S1A_jjP12ihipStream_tbEUljE_EEESV_SW_SX_S14_S18_S1A_T6_T7_T9_mT8_S1C_bDpT10_ENKUlT_T0_E_clISt17integral_constantIbLb0EES1O_IbLb1EEEEDaS1K_S1L_EUlS1K_E_NS1_11comp_targetILNS1_3genE3ELNS1_11target_archE908ELNS1_3gpuE7ELNS1_3repE0EEENS1_30default_config_static_selectorELNS0_4arch9wavefront6targetE1EEEvSY_
; %bb.0:
	.section	.rodata,"a",@progbits
	.p2align	6, 0x0
	.amdhsa_kernel _ZN7rocprim17ROCPRIM_400000_NS6detail17trampoline_kernelINS0_13select_configILj256ELj13ELNS0_17block_load_methodE3ELS4_3ELS4_3ELNS0_20block_scan_algorithmE0ELj4294967295EEENS1_25partition_config_selectorILNS1_17partition_subalgoE3EjNS0_10empty_typeEbEEZZNS1_14partition_implILS8_3ELb0ES6_jNS0_17counting_iteratorIjlEEPS9_SE_NS0_5tupleIJPjSE_EEENSF_IJSE_SE_EEES9_SG_JZNS1_25segmented_radix_sort_implINS0_14default_configELb1EPKhPhPKlPlN2at6native12_GLOBAL__N_18offset_tEEE10hipError_tPvRmT1_PNSt15iterator_traitsISY_E10value_typeET2_T3_PNSZ_IS14_E10value_typeET4_jRbjT5_S1A_jjP12ihipStream_tbEUljE_EEESV_SW_SX_S14_S18_S1A_T6_T7_T9_mT8_S1C_bDpT10_ENKUlT_T0_E_clISt17integral_constantIbLb0EES1O_IbLb1EEEEDaS1K_S1L_EUlS1K_E_NS1_11comp_targetILNS1_3genE3ELNS1_11target_archE908ELNS1_3gpuE7ELNS1_3repE0EEENS1_30default_config_static_selectorELNS0_4arch9wavefront6targetE1EEEvSY_
		.amdhsa_group_segment_fixed_size 0
		.amdhsa_private_segment_fixed_size 0
		.amdhsa_kernarg_size 152
		.amdhsa_user_sgpr_count 6
		.amdhsa_user_sgpr_private_segment_buffer 1
		.amdhsa_user_sgpr_dispatch_ptr 0
		.amdhsa_user_sgpr_queue_ptr 0
		.amdhsa_user_sgpr_kernarg_segment_ptr 1
		.amdhsa_user_sgpr_dispatch_id 0
		.amdhsa_user_sgpr_flat_scratch_init 0
		.amdhsa_user_sgpr_private_segment_size 0
		.amdhsa_uses_dynamic_stack 0
		.amdhsa_system_sgpr_private_segment_wavefront_offset 0
		.amdhsa_system_sgpr_workgroup_id_x 1
		.amdhsa_system_sgpr_workgroup_id_y 0
		.amdhsa_system_sgpr_workgroup_id_z 0
		.amdhsa_system_sgpr_workgroup_info 0
		.amdhsa_system_vgpr_workitem_id 0
		.amdhsa_next_free_vgpr 1
		.amdhsa_next_free_sgpr 0
		.amdhsa_reserve_vcc 0
		.amdhsa_reserve_flat_scratch 0
		.amdhsa_float_round_mode_32 0
		.amdhsa_float_round_mode_16_64 0
		.amdhsa_float_denorm_mode_32 3
		.amdhsa_float_denorm_mode_16_64 3
		.amdhsa_dx10_clamp 1
		.amdhsa_ieee_mode 1
		.amdhsa_fp16_overflow 0
		.amdhsa_exception_fp_ieee_invalid_op 0
		.amdhsa_exception_fp_denorm_src 0
		.amdhsa_exception_fp_ieee_div_zero 0
		.amdhsa_exception_fp_ieee_overflow 0
		.amdhsa_exception_fp_ieee_underflow 0
		.amdhsa_exception_fp_ieee_inexact 0
		.amdhsa_exception_int_div_zero 0
	.end_amdhsa_kernel
	.section	.text._ZN7rocprim17ROCPRIM_400000_NS6detail17trampoline_kernelINS0_13select_configILj256ELj13ELNS0_17block_load_methodE3ELS4_3ELS4_3ELNS0_20block_scan_algorithmE0ELj4294967295EEENS1_25partition_config_selectorILNS1_17partition_subalgoE3EjNS0_10empty_typeEbEEZZNS1_14partition_implILS8_3ELb0ES6_jNS0_17counting_iteratorIjlEEPS9_SE_NS0_5tupleIJPjSE_EEENSF_IJSE_SE_EEES9_SG_JZNS1_25segmented_radix_sort_implINS0_14default_configELb1EPKhPhPKlPlN2at6native12_GLOBAL__N_18offset_tEEE10hipError_tPvRmT1_PNSt15iterator_traitsISY_E10value_typeET2_T3_PNSZ_IS14_E10value_typeET4_jRbjT5_S1A_jjP12ihipStream_tbEUljE_EEESV_SW_SX_S14_S18_S1A_T6_T7_T9_mT8_S1C_bDpT10_ENKUlT_T0_E_clISt17integral_constantIbLb0EES1O_IbLb1EEEEDaS1K_S1L_EUlS1K_E_NS1_11comp_targetILNS1_3genE3ELNS1_11target_archE908ELNS1_3gpuE7ELNS1_3repE0EEENS1_30default_config_static_selectorELNS0_4arch9wavefront6targetE1EEEvSY_,"axG",@progbits,_ZN7rocprim17ROCPRIM_400000_NS6detail17trampoline_kernelINS0_13select_configILj256ELj13ELNS0_17block_load_methodE3ELS4_3ELS4_3ELNS0_20block_scan_algorithmE0ELj4294967295EEENS1_25partition_config_selectorILNS1_17partition_subalgoE3EjNS0_10empty_typeEbEEZZNS1_14partition_implILS8_3ELb0ES6_jNS0_17counting_iteratorIjlEEPS9_SE_NS0_5tupleIJPjSE_EEENSF_IJSE_SE_EEES9_SG_JZNS1_25segmented_radix_sort_implINS0_14default_configELb1EPKhPhPKlPlN2at6native12_GLOBAL__N_18offset_tEEE10hipError_tPvRmT1_PNSt15iterator_traitsISY_E10value_typeET2_T3_PNSZ_IS14_E10value_typeET4_jRbjT5_S1A_jjP12ihipStream_tbEUljE_EEESV_SW_SX_S14_S18_S1A_T6_T7_T9_mT8_S1C_bDpT10_ENKUlT_T0_E_clISt17integral_constantIbLb0EES1O_IbLb1EEEEDaS1K_S1L_EUlS1K_E_NS1_11comp_targetILNS1_3genE3ELNS1_11target_archE908ELNS1_3gpuE7ELNS1_3repE0EEENS1_30default_config_static_selectorELNS0_4arch9wavefront6targetE1EEEvSY_,comdat
.Lfunc_end78:
	.size	_ZN7rocprim17ROCPRIM_400000_NS6detail17trampoline_kernelINS0_13select_configILj256ELj13ELNS0_17block_load_methodE3ELS4_3ELS4_3ELNS0_20block_scan_algorithmE0ELj4294967295EEENS1_25partition_config_selectorILNS1_17partition_subalgoE3EjNS0_10empty_typeEbEEZZNS1_14partition_implILS8_3ELb0ES6_jNS0_17counting_iteratorIjlEEPS9_SE_NS0_5tupleIJPjSE_EEENSF_IJSE_SE_EEES9_SG_JZNS1_25segmented_radix_sort_implINS0_14default_configELb1EPKhPhPKlPlN2at6native12_GLOBAL__N_18offset_tEEE10hipError_tPvRmT1_PNSt15iterator_traitsISY_E10value_typeET2_T3_PNSZ_IS14_E10value_typeET4_jRbjT5_S1A_jjP12ihipStream_tbEUljE_EEESV_SW_SX_S14_S18_S1A_T6_T7_T9_mT8_S1C_bDpT10_ENKUlT_T0_E_clISt17integral_constantIbLb0EES1O_IbLb1EEEEDaS1K_S1L_EUlS1K_E_NS1_11comp_targetILNS1_3genE3ELNS1_11target_archE908ELNS1_3gpuE7ELNS1_3repE0EEENS1_30default_config_static_selectorELNS0_4arch9wavefront6targetE1EEEvSY_, .Lfunc_end78-_ZN7rocprim17ROCPRIM_400000_NS6detail17trampoline_kernelINS0_13select_configILj256ELj13ELNS0_17block_load_methodE3ELS4_3ELS4_3ELNS0_20block_scan_algorithmE0ELj4294967295EEENS1_25partition_config_selectorILNS1_17partition_subalgoE3EjNS0_10empty_typeEbEEZZNS1_14partition_implILS8_3ELb0ES6_jNS0_17counting_iteratorIjlEEPS9_SE_NS0_5tupleIJPjSE_EEENSF_IJSE_SE_EEES9_SG_JZNS1_25segmented_radix_sort_implINS0_14default_configELb1EPKhPhPKlPlN2at6native12_GLOBAL__N_18offset_tEEE10hipError_tPvRmT1_PNSt15iterator_traitsISY_E10value_typeET2_T3_PNSZ_IS14_E10value_typeET4_jRbjT5_S1A_jjP12ihipStream_tbEUljE_EEESV_SW_SX_S14_S18_S1A_T6_T7_T9_mT8_S1C_bDpT10_ENKUlT_T0_E_clISt17integral_constantIbLb0EES1O_IbLb1EEEEDaS1K_S1L_EUlS1K_E_NS1_11comp_targetILNS1_3genE3ELNS1_11target_archE908ELNS1_3gpuE7ELNS1_3repE0EEENS1_30default_config_static_selectorELNS0_4arch9wavefront6targetE1EEEvSY_
                                        ; -- End function
	.set _ZN7rocprim17ROCPRIM_400000_NS6detail17trampoline_kernelINS0_13select_configILj256ELj13ELNS0_17block_load_methodE3ELS4_3ELS4_3ELNS0_20block_scan_algorithmE0ELj4294967295EEENS1_25partition_config_selectorILNS1_17partition_subalgoE3EjNS0_10empty_typeEbEEZZNS1_14partition_implILS8_3ELb0ES6_jNS0_17counting_iteratorIjlEEPS9_SE_NS0_5tupleIJPjSE_EEENSF_IJSE_SE_EEES9_SG_JZNS1_25segmented_radix_sort_implINS0_14default_configELb1EPKhPhPKlPlN2at6native12_GLOBAL__N_18offset_tEEE10hipError_tPvRmT1_PNSt15iterator_traitsISY_E10value_typeET2_T3_PNSZ_IS14_E10value_typeET4_jRbjT5_S1A_jjP12ihipStream_tbEUljE_EEESV_SW_SX_S14_S18_S1A_T6_T7_T9_mT8_S1C_bDpT10_ENKUlT_T0_E_clISt17integral_constantIbLb0EES1O_IbLb1EEEEDaS1K_S1L_EUlS1K_E_NS1_11comp_targetILNS1_3genE3ELNS1_11target_archE908ELNS1_3gpuE7ELNS1_3repE0EEENS1_30default_config_static_selectorELNS0_4arch9wavefront6targetE1EEEvSY_.num_vgpr, 0
	.set _ZN7rocprim17ROCPRIM_400000_NS6detail17trampoline_kernelINS0_13select_configILj256ELj13ELNS0_17block_load_methodE3ELS4_3ELS4_3ELNS0_20block_scan_algorithmE0ELj4294967295EEENS1_25partition_config_selectorILNS1_17partition_subalgoE3EjNS0_10empty_typeEbEEZZNS1_14partition_implILS8_3ELb0ES6_jNS0_17counting_iteratorIjlEEPS9_SE_NS0_5tupleIJPjSE_EEENSF_IJSE_SE_EEES9_SG_JZNS1_25segmented_radix_sort_implINS0_14default_configELb1EPKhPhPKlPlN2at6native12_GLOBAL__N_18offset_tEEE10hipError_tPvRmT1_PNSt15iterator_traitsISY_E10value_typeET2_T3_PNSZ_IS14_E10value_typeET4_jRbjT5_S1A_jjP12ihipStream_tbEUljE_EEESV_SW_SX_S14_S18_S1A_T6_T7_T9_mT8_S1C_bDpT10_ENKUlT_T0_E_clISt17integral_constantIbLb0EES1O_IbLb1EEEEDaS1K_S1L_EUlS1K_E_NS1_11comp_targetILNS1_3genE3ELNS1_11target_archE908ELNS1_3gpuE7ELNS1_3repE0EEENS1_30default_config_static_selectorELNS0_4arch9wavefront6targetE1EEEvSY_.num_agpr, 0
	.set _ZN7rocprim17ROCPRIM_400000_NS6detail17trampoline_kernelINS0_13select_configILj256ELj13ELNS0_17block_load_methodE3ELS4_3ELS4_3ELNS0_20block_scan_algorithmE0ELj4294967295EEENS1_25partition_config_selectorILNS1_17partition_subalgoE3EjNS0_10empty_typeEbEEZZNS1_14partition_implILS8_3ELb0ES6_jNS0_17counting_iteratorIjlEEPS9_SE_NS0_5tupleIJPjSE_EEENSF_IJSE_SE_EEES9_SG_JZNS1_25segmented_radix_sort_implINS0_14default_configELb1EPKhPhPKlPlN2at6native12_GLOBAL__N_18offset_tEEE10hipError_tPvRmT1_PNSt15iterator_traitsISY_E10value_typeET2_T3_PNSZ_IS14_E10value_typeET4_jRbjT5_S1A_jjP12ihipStream_tbEUljE_EEESV_SW_SX_S14_S18_S1A_T6_T7_T9_mT8_S1C_bDpT10_ENKUlT_T0_E_clISt17integral_constantIbLb0EES1O_IbLb1EEEEDaS1K_S1L_EUlS1K_E_NS1_11comp_targetILNS1_3genE3ELNS1_11target_archE908ELNS1_3gpuE7ELNS1_3repE0EEENS1_30default_config_static_selectorELNS0_4arch9wavefront6targetE1EEEvSY_.numbered_sgpr, 0
	.set _ZN7rocprim17ROCPRIM_400000_NS6detail17trampoline_kernelINS0_13select_configILj256ELj13ELNS0_17block_load_methodE3ELS4_3ELS4_3ELNS0_20block_scan_algorithmE0ELj4294967295EEENS1_25partition_config_selectorILNS1_17partition_subalgoE3EjNS0_10empty_typeEbEEZZNS1_14partition_implILS8_3ELb0ES6_jNS0_17counting_iteratorIjlEEPS9_SE_NS0_5tupleIJPjSE_EEENSF_IJSE_SE_EEES9_SG_JZNS1_25segmented_radix_sort_implINS0_14default_configELb1EPKhPhPKlPlN2at6native12_GLOBAL__N_18offset_tEEE10hipError_tPvRmT1_PNSt15iterator_traitsISY_E10value_typeET2_T3_PNSZ_IS14_E10value_typeET4_jRbjT5_S1A_jjP12ihipStream_tbEUljE_EEESV_SW_SX_S14_S18_S1A_T6_T7_T9_mT8_S1C_bDpT10_ENKUlT_T0_E_clISt17integral_constantIbLb0EES1O_IbLb1EEEEDaS1K_S1L_EUlS1K_E_NS1_11comp_targetILNS1_3genE3ELNS1_11target_archE908ELNS1_3gpuE7ELNS1_3repE0EEENS1_30default_config_static_selectorELNS0_4arch9wavefront6targetE1EEEvSY_.num_named_barrier, 0
	.set _ZN7rocprim17ROCPRIM_400000_NS6detail17trampoline_kernelINS0_13select_configILj256ELj13ELNS0_17block_load_methodE3ELS4_3ELS4_3ELNS0_20block_scan_algorithmE0ELj4294967295EEENS1_25partition_config_selectorILNS1_17partition_subalgoE3EjNS0_10empty_typeEbEEZZNS1_14partition_implILS8_3ELb0ES6_jNS0_17counting_iteratorIjlEEPS9_SE_NS0_5tupleIJPjSE_EEENSF_IJSE_SE_EEES9_SG_JZNS1_25segmented_radix_sort_implINS0_14default_configELb1EPKhPhPKlPlN2at6native12_GLOBAL__N_18offset_tEEE10hipError_tPvRmT1_PNSt15iterator_traitsISY_E10value_typeET2_T3_PNSZ_IS14_E10value_typeET4_jRbjT5_S1A_jjP12ihipStream_tbEUljE_EEESV_SW_SX_S14_S18_S1A_T6_T7_T9_mT8_S1C_bDpT10_ENKUlT_T0_E_clISt17integral_constantIbLb0EES1O_IbLb1EEEEDaS1K_S1L_EUlS1K_E_NS1_11comp_targetILNS1_3genE3ELNS1_11target_archE908ELNS1_3gpuE7ELNS1_3repE0EEENS1_30default_config_static_selectorELNS0_4arch9wavefront6targetE1EEEvSY_.private_seg_size, 0
	.set _ZN7rocprim17ROCPRIM_400000_NS6detail17trampoline_kernelINS0_13select_configILj256ELj13ELNS0_17block_load_methodE3ELS4_3ELS4_3ELNS0_20block_scan_algorithmE0ELj4294967295EEENS1_25partition_config_selectorILNS1_17partition_subalgoE3EjNS0_10empty_typeEbEEZZNS1_14partition_implILS8_3ELb0ES6_jNS0_17counting_iteratorIjlEEPS9_SE_NS0_5tupleIJPjSE_EEENSF_IJSE_SE_EEES9_SG_JZNS1_25segmented_radix_sort_implINS0_14default_configELb1EPKhPhPKlPlN2at6native12_GLOBAL__N_18offset_tEEE10hipError_tPvRmT1_PNSt15iterator_traitsISY_E10value_typeET2_T3_PNSZ_IS14_E10value_typeET4_jRbjT5_S1A_jjP12ihipStream_tbEUljE_EEESV_SW_SX_S14_S18_S1A_T6_T7_T9_mT8_S1C_bDpT10_ENKUlT_T0_E_clISt17integral_constantIbLb0EES1O_IbLb1EEEEDaS1K_S1L_EUlS1K_E_NS1_11comp_targetILNS1_3genE3ELNS1_11target_archE908ELNS1_3gpuE7ELNS1_3repE0EEENS1_30default_config_static_selectorELNS0_4arch9wavefront6targetE1EEEvSY_.uses_vcc, 0
	.set _ZN7rocprim17ROCPRIM_400000_NS6detail17trampoline_kernelINS0_13select_configILj256ELj13ELNS0_17block_load_methodE3ELS4_3ELS4_3ELNS0_20block_scan_algorithmE0ELj4294967295EEENS1_25partition_config_selectorILNS1_17partition_subalgoE3EjNS0_10empty_typeEbEEZZNS1_14partition_implILS8_3ELb0ES6_jNS0_17counting_iteratorIjlEEPS9_SE_NS0_5tupleIJPjSE_EEENSF_IJSE_SE_EEES9_SG_JZNS1_25segmented_radix_sort_implINS0_14default_configELb1EPKhPhPKlPlN2at6native12_GLOBAL__N_18offset_tEEE10hipError_tPvRmT1_PNSt15iterator_traitsISY_E10value_typeET2_T3_PNSZ_IS14_E10value_typeET4_jRbjT5_S1A_jjP12ihipStream_tbEUljE_EEESV_SW_SX_S14_S18_S1A_T6_T7_T9_mT8_S1C_bDpT10_ENKUlT_T0_E_clISt17integral_constantIbLb0EES1O_IbLb1EEEEDaS1K_S1L_EUlS1K_E_NS1_11comp_targetILNS1_3genE3ELNS1_11target_archE908ELNS1_3gpuE7ELNS1_3repE0EEENS1_30default_config_static_selectorELNS0_4arch9wavefront6targetE1EEEvSY_.uses_flat_scratch, 0
	.set _ZN7rocprim17ROCPRIM_400000_NS6detail17trampoline_kernelINS0_13select_configILj256ELj13ELNS0_17block_load_methodE3ELS4_3ELS4_3ELNS0_20block_scan_algorithmE0ELj4294967295EEENS1_25partition_config_selectorILNS1_17partition_subalgoE3EjNS0_10empty_typeEbEEZZNS1_14partition_implILS8_3ELb0ES6_jNS0_17counting_iteratorIjlEEPS9_SE_NS0_5tupleIJPjSE_EEENSF_IJSE_SE_EEES9_SG_JZNS1_25segmented_radix_sort_implINS0_14default_configELb1EPKhPhPKlPlN2at6native12_GLOBAL__N_18offset_tEEE10hipError_tPvRmT1_PNSt15iterator_traitsISY_E10value_typeET2_T3_PNSZ_IS14_E10value_typeET4_jRbjT5_S1A_jjP12ihipStream_tbEUljE_EEESV_SW_SX_S14_S18_S1A_T6_T7_T9_mT8_S1C_bDpT10_ENKUlT_T0_E_clISt17integral_constantIbLb0EES1O_IbLb1EEEEDaS1K_S1L_EUlS1K_E_NS1_11comp_targetILNS1_3genE3ELNS1_11target_archE908ELNS1_3gpuE7ELNS1_3repE0EEENS1_30default_config_static_selectorELNS0_4arch9wavefront6targetE1EEEvSY_.has_dyn_sized_stack, 0
	.set _ZN7rocprim17ROCPRIM_400000_NS6detail17trampoline_kernelINS0_13select_configILj256ELj13ELNS0_17block_load_methodE3ELS4_3ELS4_3ELNS0_20block_scan_algorithmE0ELj4294967295EEENS1_25partition_config_selectorILNS1_17partition_subalgoE3EjNS0_10empty_typeEbEEZZNS1_14partition_implILS8_3ELb0ES6_jNS0_17counting_iteratorIjlEEPS9_SE_NS0_5tupleIJPjSE_EEENSF_IJSE_SE_EEES9_SG_JZNS1_25segmented_radix_sort_implINS0_14default_configELb1EPKhPhPKlPlN2at6native12_GLOBAL__N_18offset_tEEE10hipError_tPvRmT1_PNSt15iterator_traitsISY_E10value_typeET2_T3_PNSZ_IS14_E10value_typeET4_jRbjT5_S1A_jjP12ihipStream_tbEUljE_EEESV_SW_SX_S14_S18_S1A_T6_T7_T9_mT8_S1C_bDpT10_ENKUlT_T0_E_clISt17integral_constantIbLb0EES1O_IbLb1EEEEDaS1K_S1L_EUlS1K_E_NS1_11comp_targetILNS1_3genE3ELNS1_11target_archE908ELNS1_3gpuE7ELNS1_3repE0EEENS1_30default_config_static_selectorELNS0_4arch9wavefront6targetE1EEEvSY_.has_recursion, 0
	.set _ZN7rocprim17ROCPRIM_400000_NS6detail17trampoline_kernelINS0_13select_configILj256ELj13ELNS0_17block_load_methodE3ELS4_3ELS4_3ELNS0_20block_scan_algorithmE0ELj4294967295EEENS1_25partition_config_selectorILNS1_17partition_subalgoE3EjNS0_10empty_typeEbEEZZNS1_14partition_implILS8_3ELb0ES6_jNS0_17counting_iteratorIjlEEPS9_SE_NS0_5tupleIJPjSE_EEENSF_IJSE_SE_EEES9_SG_JZNS1_25segmented_radix_sort_implINS0_14default_configELb1EPKhPhPKlPlN2at6native12_GLOBAL__N_18offset_tEEE10hipError_tPvRmT1_PNSt15iterator_traitsISY_E10value_typeET2_T3_PNSZ_IS14_E10value_typeET4_jRbjT5_S1A_jjP12ihipStream_tbEUljE_EEESV_SW_SX_S14_S18_S1A_T6_T7_T9_mT8_S1C_bDpT10_ENKUlT_T0_E_clISt17integral_constantIbLb0EES1O_IbLb1EEEEDaS1K_S1L_EUlS1K_E_NS1_11comp_targetILNS1_3genE3ELNS1_11target_archE908ELNS1_3gpuE7ELNS1_3repE0EEENS1_30default_config_static_selectorELNS0_4arch9wavefront6targetE1EEEvSY_.has_indirect_call, 0
	.section	.AMDGPU.csdata,"",@progbits
; Kernel info:
; codeLenInByte = 0
; TotalNumSgprs: 4
; NumVgprs: 0
; ScratchSize: 0
; MemoryBound: 0
; FloatMode: 240
; IeeeMode: 1
; LDSByteSize: 0 bytes/workgroup (compile time only)
; SGPRBlocks: 0
; VGPRBlocks: 0
; NumSGPRsForWavesPerEU: 4
; NumVGPRsForWavesPerEU: 1
; Occupancy: 10
; WaveLimiterHint : 0
; COMPUTE_PGM_RSRC2:SCRATCH_EN: 0
; COMPUTE_PGM_RSRC2:USER_SGPR: 6
; COMPUTE_PGM_RSRC2:TRAP_HANDLER: 0
; COMPUTE_PGM_RSRC2:TGID_X_EN: 1
; COMPUTE_PGM_RSRC2:TGID_Y_EN: 0
; COMPUTE_PGM_RSRC2:TGID_Z_EN: 0
; COMPUTE_PGM_RSRC2:TIDIG_COMP_CNT: 0
	.section	.text._ZN7rocprim17ROCPRIM_400000_NS6detail17trampoline_kernelINS0_13select_configILj256ELj13ELNS0_17block_load_methodE3ELS4_3ELS4_3ELNS0_20block_scan_algorithmE0ELj4294967295EEENS1_25partition_config_selectorILNS1_17partition_subalgoE3EjNS0_10empty_typeEbEEZZNS1_14partition_implILS8_3ELb0ES6_jNS0_17counting_iteratorIjlEEPS9_SE_NS0_5tupleIJPjSE_EEENSF_IJSE_SE_EEES9_SG_JZNS1_25segmented_radix_sort_implINS0_14default_configELb1EPKhPhPKlPlN2at6native12_GLOBAL__N_18offset_tEEE10hipError_tPvRmT1_PNSt15iterator_traitsISY_E10value_typeET2_T3_PNSZ_IS14_E10value_typeET4_jRbjT5_S1A_jjP12ihipStream_tbEUljE_EEESV_SW_SX_S14_S18_S1A_T6_T7_T9_mT8_S1C_bDpT10_ENKUlT_T0_E_clISt17integral_constantIbLb0EES1O_IbLb1EEEEDaS1K_S1L_EUlS1K_E_NS1_11comp_targetILNS1_3genE2ELNS1_11target_archE906ELNS1_3gpuE6ELNS1_3repE0EEENS1_30default_config_static_selectorELNS0_4arch9wavefront6targetE1EEEvSY_,"axG",@progbits,_ZN7rocprim17ROCPRIM_400000_NS6detail17trampoline_kernelINS0_13select_configILj256ELj13ELNS0_17block_load_methodE3ELS4_3ELS4_3ELNS0_20block_scan_algorithmE0ELj4294967295EEENS1_25partition_config_selectorILNS1_17partition_subalgoE3EjNS0_10empty_typeEbEEZZNS1_14partition_implILS8_3ELb0ES6_jNS0_17counting_iteratorIjlEEPS9_SE_NS0_5tupleIJPjSE_EEENSF_IJSE_SE_EEES9_SG_JZNS1_25segmented_radix_sort_implINS0_14default_configELb1EPKhPhPKlPlN2at6native12_GLOBAL__N_18offset_tEEE10hipError_tPvRmT1_PNSt15iterator_traitsISY_E10value_typeET2_T3_PNSZ_IS14_E10value_typeET4_jRbjT5_S1A_jjP12ihipStream_tbEUljE_EEESV_SW_SX_S14_S18_S1A_T6_T7_T9_mT8_S1C_bDpT10_ENKUlT_T0_E_clISt17integral_constantIbLb0EES1O_IbLb1EEEEDaS1K_S1L_EUlS1K_E_NS1_11comp_targetILNS1_3genE2ELNS1_11target_archE906ELNS1_3gpuE6ELNS1_3repE0EEENS1_30default_config_static_selectorELNS0_4arch9wavefront6targetE1EEEvSY_,comdat
	.globl	_ZN7rocprim17ROCPRIM_400000_NS6detail17trampoline_kernelINS0_13select_configILj256ELj13ELNS0_17block_load_methodE3ELS4_3ELS4_3ELNS0_20block_scan_algorithmE0ELj4294967295EEENS1_25partition_config_selectorILNS1_17partition_subalgoE3EjNS0_10empty_typeEbEEZZNS1_14partition_implILS8_3ELb0ES6_jNS0_17counting_iteratorIjlEEPS9_SE_NS0_5tupleIJPjSE_EEENSF_IJSE_SE_EEES9_SG_JZNS1_25segmented_radix_sort_implINS0_14default_configELb1EPKhPhPKlPlN2at6native12_GLOBAL__N_18offset_tEEE10hipError_tPvRmT1_PNSt15iterator_traitsISY_E10value_typeET2_T3_PNSZ_IS14_E10value_typeET4_jRbjT5_S1A_jjP12ihipStream_tbEUljE_EEESV_SW_SX_S14_S18_S1A_T6_T7_T9_mT8_S1C_bDpT10_ENKUlT_T0_E_clISt17integral_constantIbLb0EES1O_IbLb1EEEEDaS1K_S1L_EUlS1K_E_NS1_11comp_targetILNS1_3genE2ELNS1_11target_archE906ELNS1_3gpuE6ELNS1_3repE0EEENS1_30default_config_static_selectorELNS0_4arch9wavefront6targetE1EEEvSY_ ; -- Begin function _ZN7rocprim17ROCPRIM_400000_NS6detail17trampoline_kernelINS0_13select_configILj256ELj13ELNS0_17block_load_methodE3ELS4_3ELS4_3ELNS0_20block_scan_algorithmE0ELj4294967295EEENS1_25partition_config_selectorILNS1_17partition_subalgoE3EjNS0_10empty_typeEbEEZZNS1_14partition_implILS8_3ELb0ES6_jNS0_17counting_iteratorIjlEEPS9_SE_NS0_5tupleIJPjSE_EEENSF_IJSE_SE_EEES9_SG_JZNS1_25segmented_radix_sort_implINS0_14default_configELb1EPKhPhPKlPlN2at6native12_GLOBAL__N_18offset_tEEE10hipError_tPvRmT1_PNSt15iterator_traitsISY_E10value_typeET2_T3_PNSZ_IS14_E10value_typeET4_jRbjT5_S1A_jjP12ihipStream_tbEUljE_EEESV_SW_SX_S14_S18_S1A_T6_T7_T9_mT8_S1C_bDpT10_ENKUlT_T0_E_clISt17integral_constantIbLb0EES1O_IbLb1EEEEDaS1K_S1L_EUlS1K_E_NS1_11comp_targetILNS1_3genE2ELNS1_11target_archE906ELNS1_3gpuE6ELNS1_3repE0EEENS1_30default_config_static_selectorELNS0_4arch9wavefront6targetE1EEEvSY_
	.p2align	8
	.type	_ZN7rocprim17ROCPRIM_400000_NS6detail17trampoline_kernelINS0_13select_configILj256ELj13ELNS0_17block_load_methodE3ELS4_3ELS4_3ELNS0_20block_scan_algorithmE0ELj4294967295EEENS1_25partition_config_selectorILNS1_17partition_subalgoE3EjNS0_10empty_typeEbEEZZNS1_14partition_implILS8_3ELb0ES6_jNS0_17counting_iteratorIjlEEPS9_SE_NS0_5tupleIJPjSE_EEENSF_IJSE_SE_EEES9_SG_JZNS1_25segmented_radix_sort_implINS0_14default_configELb1EPKhPhPKlPlN2at6native12_GLOBAL__N_18offset_tEEE10hipError_tPvRmT1_PNSt15iterator_traitsISY_E10value_typeET2_T3_PNSZ_IS14_E10value_typeET4_jRbjT5_S1A_jjP12ihipStream_tbEUljE_EEESV_SW_SX_S14_S18_S1A_T6_T7_T9_mT8_S1C_bDpT10_ENKUlT_T0_E_clISt17integral_constantIbLb0EES1O_IbLb1EEEEDaS1K_S1L_EUlS1K_E_NS1_11comp_targetILNS1_3genE2ELNS1_11target_archE906ELNS1_3gpuE6ELNS1_3repE0EEENS1_30default_config_static_selectorELNS0_4arch9wavefront6targetE1EEEvSY_,@function
_ZN7rocprim17ROCPRIM_400000_NS6detail17trampoline_kernelINS0_13select_configILj256ELj13ELNS0_17block_load_methodE3ELS4_3ELS4_3ELNS0_20block_scan_algorithmE0ELj4294967295EEENS1_25partition_config_selectorILNS1_17partition_subalgoE3EjNS0_10empty_typeEbEEZZNS1_14partition_implILS8_3ELb0ES6_jNS0_17counting_iteratorIjlEEPS9_SE_NS0_5tupleIJPjSE_EEENSF_IJSE_SE_EEES9_SG_JZNS1_25segmented_radix_sort_implINS0_14default_configELb1EPKhPhPKlPlN2at6native12_GLOBAL__N_18offset_tEEE10hipError_tPvRmT1_PNSt15iterator_traitsISY_E10value_typeET2_T3_PNSZ_IS14_E10value_typeET4_jRbjT5_S1A_jjP12ihipStream_tbEUljE_EEESV_SW_SX_S14_S18_S1A_T6_T7_T9_mT8_S1C_bDpT10_ENKUlT_T0_E_clISt17integral_constantIbLb0EES1O_IbLb1EEEEDaS1K_S1L_EUlS1K_E_NS1_11comp_targetILNS1_3genE2ELNS1_11target_archE906ELNS1_3gpuE6ELNS1_3repE0EEENS1_30default_config_static_selectorELNS0_4arch9wavefront6targetE1EEEvSY_: ; @_ZN7rocprim17ROCPRIM_400000_NS6detail17trampoline_kernelINS0_13select_configILj256ELj13ELNS0_17block_load_methodE3ELS4_3ELS4_3ELNS0_20block_scan_algorithmE0ELj4294967295EEENS1_25partition_config_selectorILNS1_17partition_subalgoE3EjNS0_10empty_typeEbEEZZNS1_14partition_implILS8_3ELb0ES6_jNS0_17counting_iteratorIjlEEPS9_SE_NS0_5tupleIJPjSE_EEENSF_IJSE_SE_EEES9_SG_JZNS1_25segmented_radix_sort_implINS0_14default_configELb1EPKhPhPKlPlN2at6native12_GLOBAL__N_18offset_tEEE10hipError_tPvRmT1_PNSt15iterator_traitsISY_E10value_typeET2_T3_PNSZ_IS14_E10value_typeET4_jRbjT5_S1A_jjP12ihipStream_tbEUljE_EEESV_SW_SX_S14_S18_S1A_T6_T7_T9_mT8_S1C_bDpT10_ENKUlT_T0_E_clISt17integral_constantIbLb0EES1O_IbLb1EEEEDaS1K_S1L_EUlS1K_E_NS1_11comp_targetILNS1_3genE2ELNS1_11target_archE906ELNS1_3gpuE6ELNS1_3repE0EEENS1_30default_config_static_selectorELNS0_4arch9wavefront6targetE1EEEvSY_
; %bb.0:
	s_load_dwordx2 s[28:29], s[4:5], 0x10
	s_load_dwordx2 s[22:23], s[4:5], 0x28
	;; [unrolled: 1-line block ×3, first 2 shown]
	s_load_dwordx4 s[24:27], s[4:5], 0x48
	s_load_dword s14, s[4:5], 0x90
	s_load_dwordx2 s[34:35], s[4:5], 0x68
	s_load_dwordx4 s[8:11], s[4:5], 0x80
	v_cmp_eq_u32_e64 s[0:1], 0, v0
	s_and_saveexec_b64 s[2:3], s[0:1]
	s_cbranch_execz .LBB79_4
; %bb.1:
	s_mov_b64 s[12:13], exec
	v_mbcnt_lo_u32_b32 v1, s12, 0
	v_mbcnt_hi_u32_b32 v1, s13, v1
	v_cmp_eq_u32_e32 vcc, 0, v1
                                        ; implicit-def: $vgpr2
	s_and_saveexec_b64 s[6:7], vcc
	s_cbranch_execz .LBB79_3
; %bb.2:
	s_load_dwordx2 s[16:17], s[4:5], 0x78
	s_bcnt1_i32_b64 s12, s[12:13]
	v_mov_b32_e32 v2, 0
	v_mov_b32_e32 v3, s12
	s_waitcnt lgkmcnt(0)
	global_atomic_add v2, v2, v3, s[16:17] glc
.LBB79_3:
	s_or_b64 exec, exec, s[6:7]
	s_waitcnt vmcnt(0)
	v_readfirstlane_b32 s6, v2
	v_add_u32_e32 v1, s6, v1
	v_mov_b32_e32 v2, 0
	ds_write_b32 v2, v1
.LBB79_4:
	s_or_b64 exec, exec, s[2:3]
	v_mov_b32_e32 v1, 0
	s_load_dword s6, s[4:5], 0x8
	s_load_dword s2, s[4:5], 0x70
	s_waitcnt lgkmcnt(0)
	s_barrier
	ds_read_b32 v5, v1
	s_waitcnt lgkmcnt(0)
	s_barrier
	global_load_dwordx2 v[3:4], v1, s[26:27]
	s_add_i32 s4, s2, -1
	s_mulk_i32 s2, 0xd00
	s_add_i32 s3, s2, s28
	s_sub_i32 s33, s30, s3
	s_add_i32 s6, s6, s28
	s_addk_i32 s33, 0xd00
	s_add_u32 s2, s28, s2
	s_addc_u32 s3, s29, 0
	v_mov_b32_e32 v1, s2
	v_mov_b32_e32 v2, s3
	v_readfirstlane_b32 s43, v5
	v_cmp_gt_u64_e32 vcc, s[30:31], v[1:2]
	s_cmp_eq_u32 s43, s4
	v_cmp_ne_u32_e64 s[2:3], s4, v5
	s_cselect_b64 s[26:27], -1, 0
	s_or_b64 s[4:5], vcc, s[2:3]
	s_mul_i32 s42, s43, 0xd00
	s_mov_b64 s[2:3], -1
	s_and_b64 vcc, exec, s[4:5]
	v_lshlrev_b32_e32 v25, 2, v0
	s_cbranch_vccz .LBB79_6
; %bb.5:
	s_add_i32 s2, s42, s6
	v_add_u32_e32 v1, s2, v0
	v_add_u32_e32 v2, 0x100, v1
	;; [unrolled: 1-line block ×13, first 2 shown]
	ds_write2st64_b32 v25, v1, v2 offset1:4
	ds_write2st64_b32 v25, v5, v6 offset0:8 offset1:12
	ds_write2st64_b32 v25, v7, v8 offset0:16 offset1:20
	;; [unrolled: 1-line block ×5, first 2 shown]
	ds_write_b32 v25, v15 offset:12288
	s_waitcnt vmcnt(0) lgkmcnt(0)
	s_barrier
	s_mov_b64 s[2:3], 0
.LBB79_6:
	s_andn2_b64 vcc, exec, s[2:3]
	v_cmp_gt_u32_e64 s[2:3], s33, v0
	s_cbranch_vccnz .LBB79_8
; %bb.7:
	s_add_i32 s6, s42, s6
	v_or_b32_e32 v2, 0x100, v0
	v_add_u32_e32 v5, s6, v2
	v_cmp_gt_u32_e32 vcc, s33, v2
	v_cndmask_b32_e32 v2, 0, v5, vcc
	v_or_b32_e32 v5, 0x200, v0
	v_add_u32_e32 v6, s6, v5
	v_cmp_gt_u32_e32 vcc, s33, v5
	v_cndmask_b32_e32 v5, 0, v6, vcc
	;; [unrolled: 4-line block ×10, first 2 shown]
	v_or_b32_e32 v14, 0xb00, v0
	v_add_u32_e32 v15, s6, v14
	v_cmp_gt_u32_e32 vcc, s33, v14
	v_add_u32_e32 v1, s6, v0
	v_cndmask_b32_e32 v14, 0, v15, vcc
	v_or_b32_e32 v15, 0xc00, v0
	v_cndmask_b32_e64 v1, 0, v1, s[2:3]
	v_add_u32_e32 v16, s6, v15
	v_cmp_gt_u32_e32 vcc, s33, v15
	v_cndmask_b32_e32 v15, 0, v16, vcc
	ds_write2st64_b32 v25, v1, v2 offset1:4
	ds_write2st64_b32 v25, v5, v6 offset0:8 offset1:12
	ds_write2st64_b32 v25, v7, v8 offset0:16 offset1:20
	;; [unrolled: 1-line block ×5, first 2 shown]
	ds_write_b32 v25, v15 offset:12288
	s_waitcnt vmcnt(0) lgkmcnt(0)
	s_barrier
.LBB79_8:
	v_mul_u32_u24_e32 v27, 13, v0
	v_lshlrev_b32_e32 v1, 2, v27
	ds_read2_b32 v[15:16], v1 offset1:1
	ds_read2_b32 v[13:14], v1 offset0:2 offset1:3
	ds_read2_b32 v[11:12], v1 offset0:4 offset1:5
	;; [unrolled: 1-line block ×5, first 2 shown]
	ds_read_b32 v26, v1 offset:48
	v_cndmask_b32_e64 v1, 0, 1, s[4:5]
	v_cmp_ne_u32_e64 s[2:3], 1, v1
	s_andn2_b64 vcc, exec, s[4:5]
	s_waitcnt vmcnt(0) lgkmcnt(0)
	s_barrier
	s_cbranch_vccnz .LBB79_10
; %bb.9:
	v_add_u32_e32 v1, s9, v15
	v_add_u32_e32 v2, s11, v15
	v_mul_lo_u32 v1, v1, s8
	v_mul_lo_u32 v2, v2, s10
	v_add_u32_e32 v17, s9, v13
	v_add_u32_e32 v18, s11, v13
	v_mul_lo_u32 v17, v17, s8
	v_sub_u32_e32 v1, v1, v2
	v_cmp_lt_u32_e32 vcc, s14, v1
	v_add_u32_e32 v1, s9, v16
	v_add_u32_e32 v2, s11, v16
	v_mul_lo_u32 v1, v1, s8
	v_mul_lo_u32 v2, v2, s10
	;; [unrolled: 1-line block ×3, first 2 shown]
	v_cndmask_b32_e64 v28, 0, 1, vcc
	v_sub_u32_e32 v1, v1, v2
	v_cmp_lt_u32_e32 vcc, s14, v1
	v_sub_u32_e32 v1, v17, v18
	v_cndmask_b32_e64 v29, 0, 1, vcc
	v_cmp_lt_u32_e32 vcc, s14, v1
	v_add_u32_e32 v1, s9, v14
	v_add_u32_e32 v2, s11, v14
	v_mul_lo_u32 v1, v1, s8
	v_mul_lo_u32 v2, v2, s10
	v_add_u32_e32 v17, s9, v11
	v_add_u32_e32 v18, s11, v11
	v_mul_lo_u32 v17, v17, s8
	v_mul_lo_u32 v18, v18, s10
	v_sub_u32_e32 v1, v1, v2
	v_cndmask_b32_e64 v30, 0, 1, vcc
	v_cmp_lt_u32_e32 vcc, s14, v1
	v_sub_u32_e32 v1, v17, v18
	v_cndmask_b32_e64 v31, 0, 1, vcc
	v_cmp_lt_u32_e32 vcc, s14, v1
	v_add_u32_e32 v1, s9, v12
	v_add_u32_e32 v2, s11, v12
	v_mul_lo_u32 v1, v1, s8
	v_mul_lo_u32 v2, v2, s10
	v_add_u32_e32 v17, s9, v9
	v_add_u32_e32 v18, s11, v9
	v_mul_lo_u32 v17, v17, s8
	v_mul_lo_u32 v18, v18, s10
	v_sub_u32_e32 v1, v1, v2
	v_cndmask_b32_e64 v32, 0, 1, vcc
	;; [unrolled: 14-line block ×5, first 2 shown]
	v_cmp_lt_u32_e32 vcc, s14, v1
	v_sub_u32_e32 v1, v17, v18
	v_cndmask_b32_e64 v39, 0, 1, vcc
	v_cmp_lt_u32_e64 s[36:37], s14, v1
	s_cbranch_execz .LBB79_11
	s_branch .LBB79_38
.LBB79_10:
                                        ; implicit-def: $sgpr36_sgpr37
                                        ; implicit-def: $vgpr39
                                        ; implicit-def: $vgpr38
                                        ; implicit-def: $vgpr37
                                        ; implicit-def: $vgpr36
                                        ; implicit-def: $vgpr35
                                        ; implicit-def: $vgpr34
                                        ; implicit-def: $vgpr33
                                        ; implicit-def: $vgpr32
                                        ; implicit-def: $vgpr28
                                        ; implicit-def: $vgpr29
                                        ; implicit-def: $vgpr30
                                        ; implicit-def: $vgpr31
.LBB79_11:
	v_cmp_gt_u32_e32 vcc, s33, v27
	v_mov_b32_e32 v29, 0
	v_mov_b32_e32 v28, 0
	s_and_saveexec_b64 s[4:5], vcc
	s_cbranch_execz .LBB79_13
; %bb.12:
	v_add_u32_e32 v1, s9, v15
	v_add_u32_e32 v2, s11, v15
	v_mul_lo_u32 v1, v1, s8
	v_mul_lo_u32 v2, v2, s10
	v_sub_u32_e32 v1, v1, v2
	v_cmp_lt_u32_e32 vcc, s14, v1
	v_cndmask_b32_e64 v28, 0, 1, vcc
.LBB79_13:
	s_or_b64 exec, exec, s[4:5]
	v_add_u32_e32 v1, 1, v27
	v_cmp_gt_u32_e32 vcc, s33, v1
	s_and_saveexec_b64 s[4:5], vcc
	s_cbranch_execz .LBB79_15
; %bb.14:
	v_add_u32_e32 v1, s9, v16
	v_add_u32_e32 v2, s11, v16
	v_mul_lo_u32 v1, v1, s8
	v_mul_lo_u32 v2, v2, s10
	v_sub_u32_e32 v1, v1, v2
	v_cmp_lt_u32_e32 vcc, s14, v1
	v_cndmask_b32_e64 v29, 0, 1, vcc
.LBB79_15:
	s_or_b64 exec, exec, s[4:5]
	v_add_u32_e32 v1, 2, v27
	v_cmp_gt_u32_e32 vcc, s33, v1
	v_mov_b32_e32 v31, 0
	v_mov_b32_e32 v30, 0
	s_and_saveexec_b64 s[4:5], vcc
	s_cbranch_execz .LBB79_17
; %bb.16:
	v_add_u32_e32 v1, s9, v13
	v_add_u32_e32 v2, s11, v13
	v_mul_lo_u32 v1, v1, s8
	v_mul_lo_u32 v2, v2, s10
	v_sub_u32_e32 v1, v1, v2
	v_cmp_lt_u32_e32 vcc, s14, v1
	v_cndmask_b32_e64 v30, 0, 1, vcc
.LBB79_17:
	s_or_b64 exec, exec, s[4:5]
	v_add_u32_e32 v1, 3, v27
	v_cmp_gt_u32_e32 vcc, s33, v1
	s_and_saveexec_b64 s[4:5], vcc
	s_cbranch_execz .LBB79_19
; %bb.18:
	v_add_u32_e32 v1, s9, v14
	v_add_u32_e32 v2, s11, v14
	v_mul_lo_u32 v1, v1, s8
	v_mul_lo_u32 v2, v2, s10
	v_sub_u32_e32 v1, v1, v2
	v_cmp_lt_u32_e32 vcc, s14, v1
	v_cndmask_b32_e64 v31, 0, 1, vcc
.LBB79_19:
	s_or_b64 exec, exec, s[4:5]
	v_add_u32_e32 v1, 4, v27
	;; [unrolled: 30-line block ×6, first 2 shown]
	v_cmp_gt_u32_e32 vcc, s33, v1
	s_mov_b64 s[36:37], 0
	s_and_saveexec_b64 s[4:5], vcc
	s_cbranch_execz .LBB79_37
; %bb.36:
	v_add_u32_e32 v1, s9, v26
	v_add_u32_e32 v2, s11, v26
	v_mul_lo_u32 v1, v1, s8
	v_mul_lo_u32 v2, v2, s10
	v_sub_u32_e32 v1, v1, v2
	v_cmp_lt_u32_e32 vcc, s14, v1
	s_and_b64 s[36:37], vcc, exec
.LBB79_37:
	s_or_b64 exec, exec, s[4:5]
.LBB79_38:
	v_and_b32_e32 v42, 0xff, v29
	v_and_b32_e32 v43, 0xff, v30
	;; [unrolled: 1-line block ×5, first 2 shown]
	v_add3_u32 v2, v43, v44, v42
	v_and_b32_e32 v46, 0xff, v33
	v_and_b32_e32 v47, 0xff, v34
	v_add3_u32 v2, v2, v41, v45
	v_and_b32_e32 v48, 0xff, v35
	v_and_b32_e32 v49, 0xff, v36
	;; [unrolled: 3-line block ×3, first 2 shown]
	v_add3_u32 v2, v2, v48, v49
	v_and_b32_e32 v40, 0xff, v39
	v_cndmask_b32_e64 v1, 0, 1, s[36:37]
	v_add3_u32 v2, v2, v50, v51
	v_add3_u32 v54, v2, v40, v1
	v_mbcnt_lo_u32_b32 v1, -1, 0
	v_mbcnt_hi_u32_b32 v52, -1, v1
	v_and_b32_e32 v1, 15, v52
	v_cmp_eq_u32_e64 s[16:17], 0, v1
	v_cmp_lt_u32_e64 s[14:15], 1, v1
	v_cmp_lt_u32_e64 s[12:13], 3, v1
	;; [unrolled: 1-line block ×3, first 2 shown]
	v_and_b32_e32 v1, 16, v52
	v_cmp_eq_u32_e64 s[8:9], 0, v1
	v_or_b32_e32 v1, 63, v0
	s_cmp_lg_u32 s43, 0
	v_cmp_lt_u32_e64 s[4:5], 31, v52
	v_lshrrev_b32_e32 v53, 6, v0
	v_cmp_eq_u32_e64 s[6:7], v0, v1
	s_cbranch_scc0 .LBB79_60
; %bb.39:
	v_mov_b32_dpp v1, v54 row_shr:1 row_mask:0xf bank_mask:0xf
	v_cndmask_b32_e64 v1, v1, 0, s[16:17]
	v_add_u32_e32 v1, v1, v54
	s_nop 1
	v_mov_b32_dpp v2, v1 row_shr:2 row_mask:0xf bank_mask:0xf
	v_cndmask_b32_e64 v2, 0, v2, s[14:15]
	v_add_u32_e32 v1, v1, v2
	s_nop 1
	;; [unrolled: 4-line block ×4, first 2 shown]
	v_mov_b32_dpp v2, v1 row_bcast:15 row_mask:0xf bank_mask:0xf
	v_cndmask_b32_e64 v2, v2, 0, s[8:9]
	v_add_u32_e32 v1, v1, v2
	s_nop 1
	v_mov_b32_dpp v2, v1 row_bcast:31 row_mask:0xf bank_mask:0xf
	v_cndmask_b32_e64 v2, 0, v2, s[4:5]
	v_add_u32_e32 v1, v1, v2
	s_and_saveexec_b64 s[18:19], s[6:7]
; %bb.40:
	v_lshlrev_b32_e32 v2, 2, v53
	ds_write_b32 v2, v1
; %bb.41:
	s_or_b64 exec, exec, s[18:19]
	v_cmp_gt_u32_e32 vcc, 4, v0
	s_waitcnt lgkmcnt(0)
	s_barrier
	s_and_saveexec_b64 s[18:19], vcc
	s_cbranch_execz .LBB79_43
; %bb.42:
	ds_read_b32 v2, v25
	v_and_b32_e32 v17, 3, v52
	v_cmp_ne_u32_e32 vcc, 0, v17
	s_waitcnt lgkmcnt(0)
	v_mov_b32_dpp v18, v2 row_shr:1 row_mask:0xf bank_mask:0xf
	v_cndmask_b32_e32 v18, 0, v18, vcc
	v_add_u32_e32 v2, v18, v2
	v_cmp_lt_u32_e32 vcc, 1, v17
	s_nop 0
	v_mov_b32_dpp v18, v2 row_shr:2 row_mask:0xf bank_mask:0xf
	v_cndmask_b32_e32 v17, 0, v18, vcc
	v_add_u32_e32 v2, v2, v17
	ds_write_b32 v25, v2
.LBB79_43:
	s_or_b64 exec, exec, s[18:19]
	v_cmp_gt_u32_e32 vcc, 64, v0
	v_cmp_lt_u32_e64 s[18:19], 63, v0
	s_waitcnt lgkmcnt(0)
	s_barrier
                                        ; implicit-def: $vgpr55
	s_and_saveexec_b64 s[20:21], s[18:19]
	s_cbranch_execz .LBB79_45
; %bb.44:
	v_lshl_add_u32 v2, v53, 2, -4
	ds_read_b32 v55, v2
	s_waitcnt lgkmcnt(0)
	v_add_u32_e32 v1, v55, v1
.LBB79_45:
	s_or_b64 exec, exec, s[20:21]
	v_subrev_co_u32_e64 v2, s[18:19], 1, v52
	v_and_b32_e32 v17, 64, v52
	v_cmp_lt_i32_e64 s[20:21], v2, v17
	v_cndmask_b32_e64 v2, v2, v52, s[20:21]
	v_lshlrev_b32_e32 v2, 2, v2
	ds_bpermute_b32 v56, v2, v1
	s_and_saveexec_b64 s[20:21], vcc
	s_cbranch_execz .LBB79_65
; %bb.46:
	v_mov_b32_e32 v21, 0
	ds_read_b32 v1, v21 offset:12
	s_and_saveexec_b64 s[38:39], s[18:19]
	s_cbranch_execz .LBB79_48
; %bb.47:
	s_add_i32 s40, s43, 64
	s_mov_b32 s41, 0
	s_lshl_b64 s[40:41], s[40:41], 3
	s_add_u32 s40, s34, s40
	v_mov_b32_e32 v2, 1
	s_addc_u32 s41, s35, s41
	s_waitcnt lgkmcnt(0)
	global_store_dwordx2 v21, v[1:2], s[40:41]
.LBB79_48:
	s_or_b64 exec, exec, s[38:39]
	v_xad_u32 v17, v52, -1, s43
	v_add_u32_e32 v20, 64, v17
	v_lshlrev_b64 v[18:19], 3, v[20:21]
	v_mov_b32_e32 v2, s35
	v_add_co_u32_e32 v22, vcc, s34, v18
	v_addc_co_u32_e32 v23, vcc, v2, v19, vcc
	global_load_dwordx2 v[19:20], v[22:23], off glc
	s_waitcnt vmcnt(0)
	v_cmp_eq_u16_sdwa s[40:41], v20, v21 src0_sel:BYTE_0 src1_sel:DWORD
	s_and_saveexec_b64 s[38:39], s[40:41]
	s_cbranch_execz .LBB79_52
; %bb.49:
	s_mov_b64 s[40:41], 0
	v_mov_b32_e32 v2, 0
.LBB79_50:                              ; =>This Inner Loop Header: Depth=1
	global_load_dwordx2 v[19:20], v[22:23], off glc
	s_waitcnt vmcnt(0)
	v_cmp_ne_u16_sdwa s[44:45], v20, v2 src0_sel:BYTE_0 src1_sel:DWORD
	s_or_b64 s[40:41], s[44:45], s[40:41]
	s_andn2_b64 exec, exec, s[40:41]
	s_cbranch_execnz .LBB79_50
; %bb.51:
	s_or_b64 exec, exec, s[40:41]
.LBB79_52:
	s_or_b64 exec, exec, s[38:39]
	v_and_b32_e32 v58, 63, v52
	v_mov_b32_e32 v57, 2
	v_lshlrev_b64 v[21:22], v52, -1
	v_cmp_ne_u32_e32 vcc, 63, v58
	v_cmp_eq_u16_sdwa s[38:39], v20, v57 src0_sel:BYTE_0 src1_sel:DWORD
	v_addc_co_u32_e32 v23, vcc, 0, v52, vcc
	v_and_b32_e32 v2, s39, v22
	v_lshlrev_b32_e32 v59, 2, v23
	v_or_b32_e32 v2, 0x80000000, v2
	ds_bpermute_b32 v23, v59, v19
	v_and_b32_e32 v18, s38, v21
	v_ffbl_b32_e32 v2, v2
	v_add_u32_e32 v2, 32, v2
	v_ffbl_b32_e32 v18, v18
	v_min_u32_e32 v2, v18, v2
	v_cmp_lt_u32_e32 vcc, v58, v2
	s_waitcnt lgkmcnt(0)
	v_cndmask_b32_e32 v18, 0, v23, vcc
	v_cmp_gt_u32_e32 vcc, 62, v58
	v_add_u32_e32 v18, v18, v19
	v_cndmask_b32_e64 v19, 0, 2, vcc
	v_add_lshl_u32 v60, v19, v52, 2
	ds_bpermute_b32 v19, v60, v18
	v_add_u32_e32 v61, 2, v58
	v_cmp_le_u32_e32 vcc, v61, v2
	v_add_u32_e32 v63, 4, v58
	v_add_u32_e32 v65, 8, v58
	s_waitcnt lgkmcnt(0)
	v_cndmask_b32_e32 v19, 0, v19, vcc
	v_cmp_gt_u32_e32 vcc, 60, v58
	v_add_u32_e32 v18, v18, v19
	v_cndmask_b32_e64 v19, 0, 4, vcc
	v_add_lshl_u32 v62, v19, v52, 2
	ds_bpermute_b32 v19, v62, v18
	v_cmp_le_u32_e32 vcc, v63, v2
	v_add_u32_e32 v67, 16, v58
	v_add_u32_e32 v69, 32, v58
	s_waitcnt lgkmcnt(0)
	v_cndmask_b32_e32 v19, 0, v19, vcc
	v_cmp_gt_u32_e32 vcc, 56, v58
	v_add_u32_e32 v18, v18, v19
	v_cndmask_b32_e64 v19, 0, 8, vcc
	v_add_lshl_u32 v64, v19, v52, 2
	ds_bpermute_b32 v19, v64, v18
	v_cmp_le_u32_e32 vcc, v65, v2
	s_waitcnt lgkmcnt(0)
	v_cndmask_b32_e32 v19, 0, v19, vcc
	v_cmp_gt_u32_e32 vcc, 48, v58
	v_add_u32_e32 v18, v18, v19
	v_cndmask_b32_e64 v19, 0, 16, vcc
	v_add_lshl_u32 v66, v19, v52, 2
	ds_bpermute_b32 v19, v66, v18
	v_cmp_le_u32_e32 vcc, v67, v2
	s_waitcnt lgkmcnt(0)
	v_cndmask_b32_e32 v19, 0, v19, vcc
	v_add_u32_e32 v18, v18, v19
	v_mov_b32_e32 v19, 0x80
	v_lshl_or_b32 v68, v52, 2, v19
	ds_bpermute_b32 v19, v68, v18
	v_cmp_le_u32_e32 vcc, v69, v2
	s_waitcnt lgkmcnt(0)
	v_cndmask_b32_e32 v2, 0, v19, vcc
	v_add_u32_e32 v19, v18, v2
	v_mov_b32_e32 v18, 0
	s_branch .LBB79_56
.LBB79_53:                              ;   in Loop: Header=BB79_56 Depth=1
	s_or_b64 exec, exec, s[40:41]
.LBB79_54:                              ;   in Loop: Header=BB79_56 Depth=1
	s_or_b64 exec, exec, s[38:39]
	v_cmp_eq_u16_sdwa s[38:39], v20, v57 src0_sel:BYTE_0 src1_sel:DWORD
	v_and_b32_e32 v23, s39, v22
	v_or_b32_e32 v23, 0x80000000, v23
	ds_bpermute_b32 v70, v59, v19
	v_and_b32_e32 v24, s38, v21
	v_ffbl_b32_e32 v23, v23
	v_add_u32_e32 v23, 32, v23
	v_ffbl_b32_e32 v24, v24
	v_min_u32_e32 v23, v24, v23
	v_cmp_lt_u32_e32 vcc, v58, v23
	s_waitcnt lgkmcnt(0)
	v_cndmask_b32_e32 v24, 0, v70, vcc
	v_add_u32_e32 v19, v24, v19
	ds_bpermute_b32 v24, v60, v19
	v_cmp_le_u32_e32 vcc, v61, v23
	v_subrev_u32_e32 v17, 64, v17
	s_mov_b64 s[38:39], 0
	s_waitcnt lgkmcnt(0)
	v_cndmask_b32_e32 v24, 0, v24, vcc
	v_add_u32_e32 v19, v19, v24
	ds_bpermute_b32 v24, v62, v19
	v_cmp_le_u32_e32 vcc, v63, v23
	s_waitcnt lgkmcnt(0)
	v_cndmask_b32_e32 v24, 0, v24, vcc
	v_add_u32_e32 v19, v19, v24
	ds_bpermute_b32 v24, v64, v19
	v_cmp_le_u32_e32 vcc, v65, v23
	;; [unrolled: 5-line block ×4, first 2 shown]
	s_waitcnt lgkmcnt(0)
	v_cndmask_b32_e32 v23, 0, v24, vcc
	v_add3_u32 v19, v23, v2, v19
.LBB79_55:                              ;   in Loop: Header=BB79_56 Depth=1
	s_and_b64 vcc, exec, s[38:39]
	s_cbranch_vccnz .LBB79_61
.LBB79_56:                              ; =>This Loop Header: Depth=1
                                        ;     Child Loop BB79_59 Depth 2
	v_cmp_ne_u16_sdwa s[38:39], v20, v57 src0_sel:BYTE_0 src1_sel:DWORD
	v_mov_b32_e32 v2, v19
	s_cmp_lg_u64 s[38:39], exec
	s_mov_b64 s[38:39], -1
                                        ; implicit-def: $vgpr19
                                        ; implicit-def: $vgpr20
	s_cbranch_scc1 .LBB79_55
; %bb.57:                               ;   in Loop: Header=BB79_56 Depth=1
	v_lshlrev_b64 v[19:20], 3, v[17:18]
	v_mov_b32_e32 v24, s35
	v_add_co_u32_e32 v23, vcc, s34, v19
	v_addc_co_u32_e32 v24, vcc, v24, v20, vcc
	global_load_dwordx2 v[19:20], v[23:24], off glc
	s_waitcnt vmcnt(0)
	v_cmp_eq_u16_sdwa s[40:41], v20, v18 src0_sel:BYTE_0 src1_sel:DWORD
	s_and_saveexec_b64 s[38:39], s[40:41]
	s_cbranch_execz .LBB79_54
; %bb.58:                               ;   in Loop: Header=BB79_56 Depth=1
	s_mov_b64 s[40:41], 0
.LBB79_59:                              ;   Parent Loop BB79_56 Depth=1
                                        ; =>  This Inner Loop Header: Depth=2
	global_load_dwordx2 v[19:20], v[23:24], off glc
	s_waitcnt vmcnt(0)
	v_cmp_ne_u16_sdwa s[44:45], v20, v18 src0_sel:BYTE_0 src1_sel:DWORD
	s_or_b64 s[40:41], s[44:45], s[40:41]
	s_andn2_b64 exec, exec, s[40:41]
	s_cbranch_execnz .LBB79_59
	s_branch .LBB79_53
.LBB79_60:
                                        ; implicit-def: $vgpr2
                                        ; implicit-def: $vgpr17
	s_cbranch_execnz .LBB79_66
	s_branch .LBB79_75
.LBB79_61:
	s_and_saveexec_b64 s[38:39], s[18:19]
	s_cbranch_execz .LBB79_63
; %bb.62:
	s_add_i32 s40, s43, 64
	s_mov_b32 s41, 0
	s_lshl_b64 s[40:41], s[40:41], 3
	s_add_u32 s40, s34, s40
	v_add_u32_e32 v17, v2, v1
	v_mov_b32_e32 v18, 2
	s_addc_u32 s41, s35, s41
	v_mov_b32_e32 v19, 0
	global_store_dwordx2 v19, v[17:18], s[40:41]
	ds_write_b64 v19, v[1:2] offset:13312
.LBB79_63:
	s_or_b64 exec, exec, s[38:39]
	s_and_b64 exec, exec, s[0:1]
; %bb.64:
	v_mov_b32_e32 v1, 0
	ds_write_b32 v1, v2 offset:12
.LBB79_65:
	s_or_b64 exec, exec, s[20:21]
	v_mov_b32_e32 v1, 0
	s_waitcnt vmcnt(0) lgkmcnt(0)
	s_barrier
	ds_read_b32 v17, v1 offset:12
	s_waitcnt lgkmcnt(0)
	s_barrier
	ds_read_b64 v[1:2], v1 offset:13312
	v_cndmask_b32_e64 v18, v56, v55, s[18:19]
	v_cndmask_b32_e64 v18, v18, 0, s[0:1]
	v_add_u32_e32 v17, v17, v18
	s_branch .LBB79_75
.LBB79_66:
	s_waitcnt lgkmcnt(0)
	v_mov_b32_dpp v1, v54 row_shr:1 row_mask:0xf bank_mask:0xf
	v_cndmask_b32_e64 v1, v1, 0, s[16:17]
	v_add_u32_e32 v1, v1, v54
	s_nop 1
	v_mov_b32_dpp v2, v1 row_shr:2 row_mask:0xf bank_mask:0xf
	v_cndmask_b32_e64 v2, 0, v2, s[14:15]
	v_add_u32_e32 v1, v1, v2
	s_nop 1
	v_mov_b32_dpp v2, v1 row_shr:4 row_mask:0xf bank_mask:0xf
	v_cndmask_b32_e64 v2, 0, v2, s[12:13]
	v_add_u32_e32 v1, v1, v2
	s_nop 1
	v_mov_b32_dpp v2, v1 row_shr:8 row_mask:0xf bank_mask:0xf
	v_cndmask_b32_e64 v2, 0, v2, s[10:11]
	v_add_u32_e32 v1, v1, v2
	s_nop 1
	v_mov_b32_dpp v2, v1 row_bcast:15 row_mask:0xf bank_mask:0xf
	v_cndmask_b32_e64 v2, v2, 0, s[8:9]
	v_add_u32_e32 v1, v1, v2
	s_nop 1
	v_mov_b32_dpp v2, v1 row_bcast:31 row_mask:0xf bank_mask:0xf
	v_cndmask_b32_e64 v2, 0, v2, s[4:5]
	v_add_u32_e32 v1, v1, v2
	s_and_saveexec_b64 s[4:5], s[6:7]
; %bb.67:
	v_lshlrev_b32_e32 v2, 2, v53
	ds_write_b32 v2, v1
; %bb.68:
	s_or_b64 exec, exec, s[4:5]
	v_cmp_gt_u32_e32 vcc, 4, v0
	s_waitcnt lgkmcnt(0)
	s_barrier
	s_and_saveexec_b64 s[4:5], vcc
	s_cbranch_execz .LBB79_70
; %bb.69:
	ds_read_b32 v2, v25
	v_and_b32_e32 v17, 3, v52
	v_cmp_ne_u32_e32 vcc, 0, v17
	s_waitcnt lgkmcnt(0)
	v_mov_b32_dpp v18, v2 row_shr:1 row_mask:0xf bank_mask:0xf
	v_cndmask_b32_e32 v18, 0, v18, vcc
	v_add_u32_e32 v2, v18, v2
	v_cmp_lt_u32_e32 vcc, 1, v17
	s_nop 0
	v_mov_b32_dpp v18, v2 row_shr:2 row_mask:0xf bank_mask:0xf
	v_cndmask_b32_e32 v17, 0, v18, vcc
	v_add_u32_e32 v2, v2, v17
	ds_write_b32 v25, v2
.LBB79_70:
	s_or_b64 exec, exec, s[4:5]
	v_cmp_lt_u32_e32 vcc, 63, v0
	v_mov_b32_e32 v2, 0
	v_mov_b32_e32 v17, 0
	s_waitcnt lgkmcnt(0)
	s_barrier
	s_and_saveexec_b64 s[4:5], vcc
; %bb.71:
	v_lshl_add_u32 v17, v53, 2, -4
	ds_read_b32 v17, v17
; %bb.72:
	s_or_b64 exec, exec, s[4:5]
	v_subrev_co_u32_e32 v18, vcc, 1, v52
	v_and_b32_e32 v19, 64, v52
	v_cmp_lt_i32_e64 s[4:5], v18, v19
	v_cndmask_b32_e64 v18, v18, v52, s[4:5]
	s_waitcnt lgkmcnt(0)
	v_add_u32_e32 v1, v17, v1
	v_lshlrev_b32_e32 v18, 2, v18
	ds_bpermute_b32 v18, v18, v1
	ds_read_b32 v1, v2 offset:12
	s_and_saveexec_b64 s[4:5], s[0:1]
	s_cbranch_execz .LBB79_74
; %bb.73:
	v_mov_b32_e32 v19, 0
	v_mov_b32_e32 v2, 2
	s_waitcnt lgkmcnt(0)
	global_store_dwordx2 v19, v[1:2], s[34:35] offset:512
.LBB79_74:
	s_or_b64 exec, exec, s[4:5]
	s_waitcnt lgkmcnt(1)
	v_cndmask_b32_e32 v2, v18, v17, vcc
	v_cndmask_b32_e64 v17, v2, 0, s[0:1]
	s_waitcnt vmcnt(0) lgkmcnt(0)
	s_barrier
	v_mov_b32_e32 v2, 0
.LBB79_75:
	v_add_u32_e32 v18, v17, v41
	v_add_u32_e32 v19, v18, v42
	;; [unrolled: 1-line block ×4, first 2 shown]
	s_waitcnt lgkmcnt(0)
	v_add_u32_e32 v27, v1, v27
	v_sub_u32_e32 v17, v17, v2
	v_and_b32_e32 v28, 1, v28
	v_add_u32_e32 v22, v21, v45
	v_sub_u32_e32 v45, v27, v17
	v_cmp_eq_u32_e32 vcc, 1, v28
	v_cndmask_b32_e32 v17, v45, v17, vcc
	v_lshlrev_b32_e32 v17, 2, v17
	ds_write_b32 v17, v15
	v_sub_u32_e32 v15, v18, v2
	v_sub_u32_e32 v17, v27, v15
	v_and_b32_e32 v18, 1, v29
	v_add_u32_e32 v17, 1, v17
	v_cmp_eq_u32_e32 vcc, 1, v18
	v_cndmask_b32_e32 v15, v17, v15, vcc
	v_lshlrev_b32_e32 v15, 2, v15
	ds_write_b32 v15, v16
	v_sub_u32_e32 v15, v19, v2
	v_sub_u32_e32 v16, v27, v15
	v_and_b32_e32 v17, 1, v30
	v_add_u32_e32 v16, 2, v16
	;; [unrolled: 8-line block ×5, first 2 shown]
	v_cmp_eq_u32_e32 vcc, 1, v14
	v_cndmask_b32_e32 v11, v13, v11, vcc
	v_add_u32_e32 v23, v22, v46
	v_lshlrev_b32_e32 v11, 2, v11
	ds_write_b32 v11, v12
	v_sub_u32_e32 v11, v23, v2
	v_sub_u32_e32 v12, v27, v11
	v_and_b32_e32 v13, 1, v34
	v_add_u32_e32 v12, 6, v12
	v_cmp_eq_u32_e32 vcc, 1, v13
	v_cndmask_b32_e32 v11, v12, v11, vcc
	v_add_u32_e32 v24, v23, v47
	v_lshlrev_b32_e32 v11, 2, v11
	ds_write_b32 v11, v9
	v_sub_u32_e32 v9, v24, v2
	v_sub_u32_e32 v11, v27, v9
	v_and_b32_e32 v12, 1, v35
	v_add_u32_e32 v11, 7, v11
	v_cmp_eq_u32_e32 vcc, 1, v12
	v_cndmask_b32_e32 v9, v11, v9, vcc
	v_add_u32_e32 v41, v24, v48
	v_lshlrev_b32_e32 v9, 2, v9
	ds_write_b32 v9, v10
	v_sub_u32_e32 v9, v41, v2
	v_sub_u32_e32 v10, v27, v9
	v_and_b32_e32 v11, 1, v36
	v_add_u32_e32 v10, 8, v10
	v_cmp_eq_u32_e32 vcc, 1, v11
	v_cndmask_b32_e32 v9, v10, v9, vcc
	v_add_u32_e32 v42, v41, v49
	v_lshlrev_b32_e32 v9, 2, v9
	ds_write_b32 v9, v7
	v_sub_u32_e32 v7, v42, v2
	v_sub_u32_e32 v9, v27, v7
	v_and_b32_e32 v10, 1, v37
	v_add_u32_e32 v9, 9, v9
	v_cmp_eq_u32_e32 vcc, 1, v10
	v_cndmask_b32_e32 v7, v9, v7, vcc
	v_add_u32_e32 v43, v42, v50
	v_lshlrev_b32_e32 v7, 2, v7
	ds_write_b32 v7, v8
	v_sub_u32_e32 v7, v43, v2
	v_sub_u32_e32 v8, v27, v7
	v_and_b32_e32 v9, 1, v38
	v_add_u32_e32 v8, 10, v8
	v_cmp_eq_u32_e32 vcc, 1, v9
	v_cndmask_b32_e32 v7, v8, v7, vcc
	v_add_u32_e32 v44, v43, v51
	v_lshlrev_b32_e32 v7, 2, v7
	ds_write_b32 v7, v5
	v_sub_u32_e32 v5, v44, v2
	v_sub_u32_e32 v7, v27, v5
	v_and_b32_e32 v8, 1, v39
	v_add_u32_e32 v7, 11, v7
	v_cmp_eq_u32_e32 vcc, 1, v8
	v_cndmask_b32_e32 v5, v7, v5, vcc
	v_lshlrev_b32_e32 v5, 2, v5
	ds_write_b32 v5, v6
	v_sub_u32_e32 v5, v40, v2
	v_add_u32_e32 v5, v44, v5
	v_sub_u32_e32 v6, v27, v5
	v_add_u32_e32 v6, 12, v6
	v_cndmask_b32_e64 v5, v6, v5, s[36:37]
	v_lshlrev_b32_e32 v5, 2, v5
	ds_write_b32 v5, v26
	s_waitcnt lgkmcnt(0)
	s_barrier
	ds_read2st64_b32 v[15:16], v25 offset1:4
	ds_read2st64_b32 v[13:14], v25 offset0:8 offset1:12
	ds_read2st64_b32 v[11:12], v25 offset0:16 offset1:20
	;; [unrolled: 1-line block ×5, first 2 shown]
	ds_read_b32 v18, v25 offset:12288
	s_and_b64 vcc, exec, s[2:3]
	v_add_co_u32_e64 v17, s[2:3], v3, v2
	v_or_b32_e32 v32, 0x100, v0
	v_or_b32_e32 v30, 0x200, v0
	;; [unrolled: 1-line block ×12, first 2 shown]
	v_addc_co_u32_e64 v4, s[2:3], 0, v4, s[2:3]
	s_cbranch_vccnz .LBB79_132
; %bb.76:
	v_mov_b32_e32 v2, s29
	v_subrev_co_u32_e32 v3, vcc, s28, v17
	s_sub_u32 s2, s30, s42
	v_subb_co_u32_e32 v2, vcc, v4, v2, vcc
	s_subb_u32 s3, s31, 0
	v_mov_b32_e32 v25, s3
	v_add_co_u32_e32 v31, vcc, s2, v1
	v_addc_co_u32_e32 v33, vcc, 0, v25, vcc
	v_add_co_u32_e32 v25, vcc, v31, v3
	v_addc_co_u32_e32 v31, vcc, v33, v2, vcc
	v_cmp_ge_u32_e32 vcc, v0, v1
                                        ; implicit-def: $vgpr2_vgpr3
	s_and_saveexec_b64 s[2:3], vcc
	s_xor_b64 s[2:3], exec, s[2:3]
; %bb.77:
	v_not_b32_e32 v2, v0
	v_ashrrev_i32_e32 v3, 31, v2
	v_add_co_u32_e32 v2, vcc, v25, v2
	v_addc_co_u32_e32 v3, vcc, v31, v3, vcc
; %bb.78:
	s_andn2_saveexec_b64 s[2:3], s[2:3]
; %bb.79:
	v_add_co_u32_e32 v2, vcc, v17, v0
	v_addc_co_u32_e32 v3, vcc, 0, v4, vcc
; %bb.80:
	s_or_b64 exec, exec, s[2:3]
	v_lshlrev_b64 v[2:3], 2, v[2:3]
	v_mov_b32_e32 v33, s23
	v_add_co_u32_e32 v2, vcc, s22, v2
	v_addc_co_u32_e32 v3, vcc, v33, v3, vcc
	v_cmp_ge_u32_e32 vcc, v32, v1
	s_waitcnt lgkmcnt(6)
	global_store_dword v[2:3], v15, off
                                        ; implicit-def: $vgpr2_vgpr3
	s_and_saveexec_b64 s[2:3], vcc
	s_xor_b64 s[2:3], exec, s[2:3]
; %bb.81:
	v_xor_b32_e32 v2, 0xfffffeff, v0
	v_ashrrev_i32_e32 v3, 31, v2
	v_add_co_u32_e32 v2, vcc, v25, v2
	v_addc_co_u32_e32 v3, vcc, v31, v3, vcc
; %bb.82:
	s_andn2_saveexec_b64 s[2:3], s[2:3]
; %bb.83:
	v_add_co_u32_e32 v2, vcc, v17, v32
	v_addc_co_u32_e32 v3, vcc, 0, v4, vcc
; %bb.84:
	s_or_b64 exec, exec, s[2:3]
	v_lshlrev_b64 v[2:3], 2, v[2:3]
	v_mov_b32_e32 v33, s23
	v_add_co_u32_e32 v2, vcc, s22, v2
	v_addc_co_u32_e32 v3, vcc, v33, v3, vcc
	v_cmp_ge_u32_e32 vcc, v30, v1
	global_store_dword v[2:3], v16, off
                                        ; implicit-def: $vgpr2_vgpr3
	s_and_saveexec_b64 s[2:3], vcc
	s_xor_b64 s[2:3], exec, s[2:3]
; %bb.85:
	v_xor_b32_e32 v2, 0xfffffdff, v0
	v_ashrrev_i32_e32 v3, 31, v2
	v_add_co_u32_e32 v2, vcc, v25, v2
	v_addc_co_u32_e32 v3, vcc, v31, v3, vcc
; %bb.86:
	s_andn2_saveexec_b64 s[2:3], s[2:3]
; %bb.87:
	v_add_co_u32_e32 v2, vcc, v17, v30
	v_addc_co_u32_e32 v3, vcc, 0, v4, vcc
; %bb.88:
	s_or_b64 exec, exec, s[2:3]
	v_lshlrev_b64 v[2:3], 2, v[2:3]
	v_mov_b32_e32 v33, s23
	v_add_co_u32_e32 v2, vcc, s22, v2
	v_addc_co_u32_e32 v3, vcc, v33, v3, vcc
	v_cmp_ge_u32_e32 vcc, v29, v1
	s_waitcnt lgkmcnt(5)
	global_store_dword v[2:3], v13, off
                                        ; implicit-def: $vgpr2_vgpr3
	s_and_saveexec_b64 s[2:3], vcc
	s_xor_b64 s[2:3], exec, s[2:3]
; %bb.89:
	v_xor_b32_e32 v2, 0xfffffcff, v0
	v_ashrrev_i32_e32 v3, 31, v2
	v_add_co_u32_e32 v2, vcc, v25, v2
	v_addc_co_u32_e32 v3, vcc, v31, v3, vcc
; %bb.90:
	s_andn2_saveexec_b64 s[2:3], s[2:3]
; %bb.91:
	v_add_co_u32_e32 v2, vcc, v17, v29
	v_addc_co_u32_e32 v3, vcc, 0, v4, vcc
; %bb.92:
	s_or_b64 exec, exec, s[2:3]
	v_lshlrev_b64 v[2:3], 2, v[2:3]
	v_mov_b32_e32 v33, s23
	v_add_co_u32_e32 v2, vcc, s22, v2
	v_addc_co_u32_e32 v3, vcc, v33, v3, vcc
	v_cmp_ge_u32_e32 vcc, v28, v1
	global_store_dword v[2:3], v14, off
                                        ; implicit-def: $vgpr2_vgpr3
	s_and_saveexec_b64 s[2:3], vcc
	s_xor_b64 s[2:3], exec, s[2:3]
; %bb.93:
	v_xor_b32_e32 v2, 0xfffffbff, v0
	;; [unrolled: 43-line block ×6, first 2 shown]
	v_ashrrev_i32_e32 v3, 31, v2
	v_add_co_u32_e32 v2, vcc, v25, v2
	v_addc_co_u32_e32 v3, vcc, v31, v3, vcc
; %bb.126:
	s_andn2_saveexec_b64 s[2:3], s[2:3]
; %bb.127:
	v_add_co_u32_e32 v2, vcc, v17, v19
	v_addc_co_u32_e32 v3, vcc, 0, v4, vcc
; %bb.128:
	s_or_b64 exec, exec, s[2:3]
	s_mov_b64 s[2:3], -1
.LBB79_129:
	s_and_saveexec_b64 s[4:5], s[2:3]
	s_cbranch_execz .LBB79_212
.LBB79_130:
	v_lshlrev_b64 v[2:3], 2, v[2:3]
	v_mov_b32_e32 v0, s23
	v_add_co_u32_e32 v2, vcc, s22, v2
	v_addc_co_u32_e32 v3, vcc, v0, v3, vcc
	s_waitcnt lgkmcnt(0)
	global_store_dword v[2:3], v18, off
	s_or_b64 exec, exec, s[4:5]
	s_and_b64 s[0:1], s[0:1], s[26:27]
	s_and_saveexec_b64 s[2:3], s[0:1]
	s_cbranch_execnz .LBB79_213
.LBB79_131:
	s_endpgm
.LBB79_132:
	s_mov_b64 s[2:3], 0
                                        ; implicit-def: $vgpr2_vgpr3
	s_cbranch_execz .LBB79_129
; %bb.133:
	s_add_u32 s4, s28, s42
	s_addc_u32 s5, s29, 0
	s_sub_u32 s4, s30, s4
	s_subb_u32 s5, s31, s5
	v_mov_b32_e32 v2, s5
	v_add_co_u32_e32 v3, vcc, s4, v1
	v_addc_co_u32_e32 v2, vcc, 0, v2, vcc
	v_add_co_u32_e32 v25, vcc, v3, v17
	v_addc_co_u32_e32 v31, vcc, v2, v4, vcc
	v_cmp_gt_u32_e32 vcc, s33, v0
	s_and_saveexec_b64 s[4:5], vcc
	s_cbranch_execz .LBB79_169
; %bb.134:
	v_cmp_ge_u32_e32 vcc, v0, v1
                                        ; implicit-def: $vgpr2_vgpr3
	s_and_saveexec_b64 s[6:7], vcc
	s_xor_b64 s[6:7], exec, s[6:7]
; %bb.135:
	v_not_b32_e32 v2, v0
	v_ashrrev_i32_e32 v3, 31, v2
	v_add_co_u32_e32 v2, vcc, v25, v2
	v_addc_co_u32_e32 v3, vcc, v31, v3, vcc
; %bb.136:
	s_andn2_saveexec_b64 s[6:7], s[6:7]
; %bb.137:
	v_add_co_u32_e32 v2, vcc, v17, v0
	v_addc_co_u32_e32 v3, vcc, 0, v4, vcc
; %bb.138:
	s_or_b64 exec, exec, s[6:7]
	v_lshlrev_b64 v[2:3], 2, v[2:3]
	v_mov_b32_e32 v33, s23
	v_add_co_u32_e32 v2, vcc, s22, v2
	v_addc_co_u32_e32 v3, vcc, v33, v3, vcc
	s_waitcnt lgkmcnt(6)
	global_store_dword v[2:3], v15, off
	s_or_b64 exec, exec, s[4:5]
	v_cmp_gt_u32_e32 vcc, s33, v32
	s_and_saveexec_b64 s[4:5], vcc
	s_cbranch_execnz .LBB79_170
.LBB79_139:
	s_or_b64 exec, exec, s[4:5]
	v_cmp_gt_u32_e32 vcc, s33, v30
	s_and_saveexec_b64 s[4:5], vcc
	s_cbranch_execz .LBB79_175
.LBB79_140:
	v_cmp_ge_u32_e32 vcc, v30, v1
                                        ; implicit-def: $vgpr2_vgpr3
	s_and_saveexec_b64 s[6:7], vcc
	s_xor_b64 s[6:7], exec, s[6:7]
; %bb.141:
	v_xor_b32_e32 v2, 0xfffffdff, v0
	v_ashrrev_i32_e32 v3, 31, v2
	v_add_co_u32_e32 v2, vcc, v25, v2
	v_addc_co_u32_e32 v3, vcc, v31, v3, vcc
                                        ; implicit-def: $vgpr30
; %bb.142:
	s_andn2_saveexec_b64 s[6:7], s[6:7]
; %bb.143:
	v_add_co_u32_e32 v2, vcc, v17, v30
	v_addc_co_u32_e32 v3, vcc, 0, v4, vcc
; %bb.144:
	s_or_b64 exec, exec, s[6:7]
	v_lshlrev_b64 v[2:3], 2, v[2:3]
	s_waitcnt lgkmcnt(6)
	v_mov_b32_e32 v15, s23
	v_add_co_u32_e32 v2, vcc, s22, v2
	v_addc_co_u32_e32 v3, vcc, v15, v3, vcc
	s_waitcnt lgkmcnt(5)
	global_store_dword v[2:3], v13, off
	s_or_b64 exec, exec, s[4:5]
	v_cmp_gt_u32_e32 vcc, s33, v29
	s_and_saveexec_b64 s[4:5], vcc
	s_cbranch_execnz .LBB79_176
.LBB79_145:
	s_or_b64 exec, exec, s[4:5]
	v_cmp_gt_u32_e32 vcc, s33, v28
	s_and_saveexec_b64 s[4:5], vcc
	s_cbranch_execz .LBB79_181
.LBB79_146:
	v_cmp_ge_u32_e32 vcc, v28, v1
                                        ; implicit-def: $vgpr2_vgpr3
	s_and_saveexec_b64 s[6:7], vcc
	s_xor_b64 s[6:7], exec, s[6:7]
; %bb.147:
	v_xor_b32_e32 v2, 0xfffffbff, v0
	v_ashrrev_i32_e32 v3, 31, v2
	v_add_co_u32_e32 v2, vcc, v25, v2
	v_addc_co_u32_e32 v3, vcc, v31, v3, vcc
                                        ; implicit-def: $vgpr28
; %bb.148:
	s_andn2_saveexec_b64 s[6:7], s[6:7]
; %bb.149:
	v_add_co_u32_e32 v2, vcc, v17, v28
	v_addc_co_u32_e32 v3, vcc, 0, v4, vcc
; %bb.150:
	s_or_b64 exec, exec, s[6:7]
	v_lshlrev_b64 v[2:3], 2, v[2:3]
	s_waitcnt lgkmcnt(5)
	v_mov_b32_e32 v13, s23
	v_add_co_u32_e32 v2, vcc, s22, v2
	v_addc_co_u32_e32 v3, vcc, v13, v3, vcc
	s_waitcnt lgkmcnt(4)
	global_store_dword v[2:3], v11, off
	s_or_b64 exec, exec, s[4:5]
	v_cmp_gt_u32_e32 vcc, s33, v27
	s_and_saveexec_b64 s[4:5], vcc
	s_cbranch_execnz .LBB79_182
.LBB79_151:
	s_or_b64 exec, exec, s[4:5]
	v_cmp_gt_u32_e32 vcc, s33, v26
	s_and_saveexec_b64 s[4:5], vcc
	s_cbranch_execz .LBB79_187
.LBB79_152:
	v_cmp_ge_u32_e32 vcc, v26, v1
                                        ; implicit-def: $vgpr2_vgpr3
	s_and_saveexec_b64 s[6:7], vcc
	s_xor_b64 s[6:7], exec, s[6:7]
; %bb.153:
	v_xor_b32_e32 v2, 0xfffff9ff, v0
	v_ashrrev_i32_e32 v3, 31, v2
	v_add_co_u32_e32 v2, vcc, v25, v2
	v_addc_co_u32_e32 v3, vcc, v31, v3, vcc
                                        ; implicit-def: $vgpr26
; %bb.154:
	s_andn2_saveexec_b64 s[6:7], s[6:7]
; %bb.155:
	v_add_co_u32_e32 v2, vcc, v17, v26
	v_addc_co_u32_e32 v3, vcc, 0, v4, vcc
; %bb.156:
	s_or_b64 exec, exec, s[6:7]
	v_lshlrev_b64 v[2:3], 2, v[2:3]
	s_waitcnt lgkmcnt(4)
	v_mov_b32_e32 v11, s23
	v_add_co_u32_e32 v2, vcc, s22, v2
	v_addc_co_u32_e32 v3, vcc, v11, v3, vcc
	s_waitcnt lgkmcnt(3)
	global_store_dword v[2:3], v9, off
	s_or_b64 exec, exec, s[4:5]
	v_cmp_gt_u32_e32 vcc, s33, v24
	s_and_saveexec_b64 s[4:5], vcc
	s_cbranch_execnz .LBB79_188
.LBB79_157:
	s_or_b64 exec, exec, s[4:5]
	v_cmp_gt_u32_e32 vcc, s33, v23
	s_and_saveexec_b64 s[4:5], vcc
	s_cbranch_execz .LBB79_193
.LBB79_158:
	v_cmp_ge_u32_e32 vcc, v23, v1
                                        ; implicit-def: $vgpr2_vgpr3
	s_and_saveexec_b64 s[6:7], vcc
	s_xor_b64 s[6:7], exec, s[6:7]
; %bb.159:
	v_xor_b32_e32 v2, 0xfffff7ff, v0
	v_ashrrev_i32_e32 v3, 31, v2
	v_add_co_u32_e32 v2, vcc, v25, v2
	v_addc_co_u32_e32 v3, vcc, v31, v3, vcc
                                        ; implicit-def: $vgpr23
; %bb.160:
	s_andn2_saveexec_b64 s[6:7], s[6:7]
; %bb.161:
	v_add_co_u32_e32 v2, vcc, v17, v23
	v_addc_co_u32_e32 v3, vcc, 0, v4, vcc
; %bb.162:
	s_or_b64 exec, exec, s[6:7]
	v_lshlrev_b64 v[2:3], 2, v[2:3]
	s_waitcnt lgkmcnt(3)
	v_mov_b32_e32 v9, s23
	v_add_co_u32_e32 v2, vcc, s22, v2
	v_addc_co_u32_e32 v3, vcc, v9, v3, vcc
	s_waitcnt lgkmcnt(2)
	global_store_dword v[2:3], v7, off
	s_or_b64 exec, exec, s[4:5]
	v_cmp_gt_u32_e32 vcc, s33, v22
	s_and_saveexec_b64 s[4:5], vcc
	s_cbranch_execnz .LBB79_194
.LBB79_163:
	s_or_b64 exec, exec, s[4:5]
	v_cmp_gt_u32_e32 vcc, s33, v21
	s_and_saveexec_b64 s[4:5], vcc
	s_cbranch_execz .LBB79_199
.LBB79_164:
	v_cmp_ge_u32_e32 vcc, v21, v1
                                        ; implicit-def: $vgpr2_vgpr3
	s_and_saveexec_b64 s[6:7], vcc
	s_xor_b64 s[6:7], exec, s[6:7]
; %bb.165:
	v_xor_b32_e32 v2, 0xfffff5ff, v0
	v_ashrrev_i32_e32 v3, 31, v2
	v_add_co_u32_e32 v2, vcc, v25, v2
	v_addc_co_u32_e32 v3, vcc, v31, v3, vcc
                                        ; implicit-def: $vgpr21
; %bb.166:
	s_andn2_saveexec_b64 s[6:7], s[6:7]
; %bb.167:
	v_add_co_u32_e32 v2, vcc, v17, v21
	v_addc_co_u32_e32 v3, vcc, 0, v4, vcc
; %bb.168:
	s_or_b64 exec, exec, s[6:7]
	v_lshlrev_b64 v[2:3], 2, v[2:3]
	s_waitcnt lgkmcnt(2)
	v_mov_b32_e32 v7, s23
	v_add_co_u32_e32 v2, vcc, s22, v2
	v_addc_co_u32_e32 v3, vcc, v7, v3, vcc
	s_waitcnt lgkmcnt(1)
	global_store_dword v[2:3], v5, off
	s_or_b64 exec, exec, s[4:5]
	v_cmp_gt_u32_e32 vcc, s33, v20
	s_and_saveexec_b64 s[4:5], vcc
	s_cbranch_execz .LBB79_205
	s_branch .LBB79_200
.LBB79_169:
	s_or_b64 exec, exec, s[4:5]
	v_cmp_gt_u32_e32 vcc, s33, v32
	s_and_saveexec_b64 s[4:5], vcc
	s_cbranch_execz .LBB79_139
.LBB79_170:
	v_cmp_ge_u32_e32 vcc, v32, v1
                                        ; implicit-def: $vgpr2_vgpr3
	s_and_saveexec_b64 s[6:7], vcc
	s_xor_b64 s[6:7], exec, s[6:7]
; %bb.171:
	v_xor_b32_e32 v2, 0xfffffeff, v0
	v_ashrrev_i32_e32 v3, 31, v2
	v_add_co_u32_e32 v2, vcc, v25, v2
	v_addc_co_u32_e32 v3, vcc, v31, v3, vcc
                                        ; implicit-def: $vgpr32
; %bb.172:
	s_andn2_saveexec_b64 s[6:7], s[6:7]
; %bb.173:
	v_add_co_u32_e32 v2, vcc, v17, v32
	v_addc_co_u32_e32 v3, vcc, 0, v4, vcc
; %bb.174:
	s_or_b64 exec, exec, s[6:7]
	v_lshlrev_b64 v[2:3], 2, v[2:3]
	s_waitcnt lgkmcnt(6)
	v_mov_b32_e32 v15, s23
	v_add_co_u32_e32 v2, vcc, s22, v2
	v_addc_co_u32_e32 v3, vcc, v15, v3, vcc
	global_store_dword v[2:3], v16, off
	s_or_b64 exec, exec, s[4:5]
	v_cmp_gt_u32_e32 vcc, s33, v30
	s_and_saveexec_b64 s[4:5], vcc
	s_cbranch_execnz .LBB79_140
.LBB79_175:
	s_or_b64 exec, exec, s[4:5]
	v_cmp_gt_u32_e32 vcc, s33, v29
	s_and_saveexec_b64 s[4:5], vcc
	s_cbranch_execz .LBB79_145
.LBB79_176:
	v_cmp_ge_u32_e32 vcc, v29, v1
                                        ; implicit-def: $vgpr2_vgpr3
	s_and_saveexec_b64 s[6:7], vcc
	s_xor_b64 s[6:7], exec, s[6:7]
; %bb.177:
	v_xor_b32_e32 v2, 0xfffffcff, v0
	v_ashrrev_i32_e32 v3, 31, v2
	v_add_co_u32_e32 v2, vcc, v25, v2
	v_addc_co_u32_e32 v3, vcc, v31, v3, vcc
                                        ; implicit-def: $vgpr29
; %bb.178:
	s_andn2_saveexec_b64 s[6:7], s[6:7]
; %bb.179:
	v_add_co_u32_e32 v2, vcc, v17, v29
	v_addc_co_u32_e32 v3, vcc, 0, v4, vcc
; %bb.180:
	s_or_b64 exec, exec, s[6:7]
	v_lshlrev_b64 v[2:3], 2, v[2:3]
	s_waitcnt lgkmcnt(5)
	v_mov_b32_e32 v13, s23
	v_add_co_u32_e32 v2, vcc, s22, v2
	v_addc_co_u32_e32 v3, vcc, v13, v3, vcc
	global_store_dword v[2:3], v14, off
	s_or_b64 exec, exec, s[4:5]
	v_cmp_gt_u32_e32 vcc, s33, v28
	s_and_saveexec_b64 s[4:5], vcc
	s_cbranch_execnz .LBB79_146
.LBB79_181:
	s_or_b64 exec, exec, s[4:5]
	v_cmp_gt_u32_e32 vcc, s33, v27
	s_and_saveexec_b64 s[4:5], vcc
	s_cbranch_execz .LBB79_151
.LBB79_182:
	v_cmp_ge_u32_e32 vcc, v27, v1
                                        ; implicit-def: $vgpr2_vgpr3
	s_and_saveexec_b64 s[6:7], vcc
	s_xor_b64 s[6:7], exec, s[6:7]
; %bb.183:
	v_xor_b32_e32 v2, 0xfffffaff, v0
	v_ashrrev_i32_e32 v3, 31, v2
	v_add_co_u32_e32 v2, vcc, v25, v2
	v_addc_co_u32_e32 v3, vcc, v31, v3, vcc
                                        ; implicit-def: $vgpr27
; %bb.184:
	s_andn2_saveexec_b64 s[6:7], s[6:7]
; %bb.185:
	v_add_co_u32_e32 v2, vcc, v17, v27
	v_addc_co_u32_e32 v3, vcc, 0, v4, vcc
; %bb.186:
	s_or_b64 exec, exec, s[6:7]
	v_lshlrev_b64 v[2:3], 2, v[2:3]
	s_waitcnt lgkmcnt(4)
	v_mov_b32_e32 v11, s23
	v_add_co_u32_e32 v2, vcc, s22, v2
	v_addc_co_u32_e32 v3, vcc, v11, v3, vcc
	global_store_dword v[2:3], v12, off
	s_or_b64 exec, exec, s[4:5]
	v_cmp_gt_u32_e32 vcc, s33, v26
	s_and_saveexec_b64 s[4:5], vcc
	s_cbranch_execnz .LBB79_152
.LBB79_187:
	s_or_b64 exec, exec, s[4:5]
	v_cmp_gt_u32_e32 vcc, s33, v24
	s_and_saveexec_b64 s[4:5], vcc
	s_cbranch_execz .LBB79_157
.LBB79_188:
	v_cmp_ge_u32_e32 vcc, v24, v1
                                        ; implicit-def: $vgpr2_vgpr3
	s_and_saveexec_b64 s[6:7], vcc
	s_xor_b64 s[6:7], exec, s[6:7]
; %bb.189:
	v_xor_b32_e32 v2, 0xfffff8ff, v0
	v_ashrrev_i32_e32 v3, 31, v2
	v_add_co_u32_e32 v2, vcc, v25, v2
	v_addc_co_u32_e32 v3, vcc, v31, v3, vcc
                                        ; implicit-def: $vgpr24
; %bb.190:
	s_andn2_saveexec_b64 s[6:7], s[6:7]
; %bb.191:
	v_add_co_u32_e32 v2, vcc, v17, v24
	v_addc_co_u32_e32 v3, vcc, 0, v4, vcc
; %bb.192:
	s_or_b64 exec, exec, s[6:7]
	v_lshlrev_b64 v[2:3], 2, v[2:3]
	s_waitcnt lgkmcnt(3)
	v_mov_b32_e32 v9, s23
	v_add_co_u32_e32 v2, vcc, s22, v2
	v_addc_co_u32_e32 v3, vcc, v9, v3, vcc
	global_store_dword v[2:3], v10, off
	s_or_b64 exec, exec, s[4:5]
	v_cmp_gt_u32_e32 vcc, s33, v23
	s_and_saveexec_b64 s[4:5], vcc
	s_cbranch_execnz .LBB79_158
.LBB79_193:
	s_or_b64 exec, exec, s[4:5]
	v_cmp_gt_u32_e32 vcc, s33, v22
	s_and_saveexec_b64 s[4:5], vcc
	s_cbranch_execz .LBB79_163
.LBB79_194:
	v_cmp_ge_u32_e32 vcc, v22, v1
                                        ; implicit-def: $vgpr2_vgpr3
	s_and_saveexec_b64 s[6:7], vcc
	s_xor_b64 s[6:7], exec, s[6:7]
; %bb.195:
	v_xor_b32_e32 v2, 0xfffff6ff, v0
	v_ashrrev_i32_e32 v3, 31, v2
	v_add_co_u32_e32 v2, vcc, v25, v2
	v_addc_co_u32_e32 v3, vcc, v31, v3, vcc
                                        ; implicit-def: $vgpr22
; %bb.196:
	s_andn2_saveexec_b64 s[6:7], s[6:7]
; %bb.197:
	v_add_co_u32_e32 v2, vcc, v17, v22
	v_addc_co_u32_e32 v3, vcc, 0, v4, vcc
; %bb.198:
	s_or_b64 exec, exec, s[6:7]
	v_lshlrev_b64 v[2:3], 2, v[2:3]
	s_waitcnt lgkmcnt(2)
	v_mov_b32_e32 v7, s23
	v_add_co_u32_e32 v2, vcc, s22, v2
	v_addc_co_u32_e32 v3, vcc, v7, v3, vcc
	global_store_dword v[2:3], v8, off
	s_or_b64 exec, exec, s[4:5]
	v_cmp_gt_u32_e32 vcc, s33, v21
	s_and_saveexec_b64 s[4:5], vcc
	s_cbranch_execnz .LBB79_164
.LBB79_199:
	s_or_b64 exec, exec, s[4:5]
	v_cmp_gt_u32_e32 vcc, s33, v20
	s_and_saveexec_b64 s[4:5], vcc
	s_cbranch_execz .LBB79_205
.LBB79_200:
	v_cmp_ge_u32_e32 vcc, v20, v1
                                        ; implicit-def: $vgpr2_vgpr3
	s_and_saveexec_b64 s[6:7], vcc
	s_xor_b64 s[6:7], exec, s[6:7]
; %bb.201:
	v_xor_b32_e32 v2, 0xfffff4ff, v0
	v_ashrrev_i32_e32 v3, 31, v2
	v_add_co_u32_e32 v2, vcc, v25, v2
	v_addc_co_u32_e32 v3, vcc, v31, v3, vcc
                                        ; implicit-def: $vgpr20
; %bb.202:
	s_andn2_saveexec_b64 s[6:7], s[6:7]
; %bb.203:
	v_add_co_u32_e32 v2, vcc, v17, v20
	v_addc_co_u32_e32 v3, vcc, 0, v4, vcc
; %bb.204:
	s_or_b64 exec, exec, s[6:7]
	v_lshlrev_b64 v[2:3], 2, v[2:3]
	s_waitcnt lgkmcnt(1)
	v_mov_b32_e32 v5, s23
	v_add_co_u32_e32 v2, vcc, s22, v2
	v_addc_co_u32_e32 v3, vcc, v5, v3, vcc
	global_store_dword v[2:3], v6, off
.LBB79_205:
	s_or_b64 exec, exec, s[4:5]
	v_cmp_gt_u32_e32 vcc, s33, v19
                                        ; implicit-def: $vgpr2_vgpr3
	s_and_saveexec_b64 s[4:5], vcc
	s_cbranch_execz .LBB79_211
; %bb.206:
	v_cmp_ge_u32_e32 vcc, v19, v1
                                        ; implicit-def: $vgpr2_vgpr3
	s_and_saveexec_b64 s[6:7], vcc
	s_xor_b64 s[6:7], exec, s[6:7]
; %bb.207:
	v_xor_b32_e32 v0, 0xfffff3ff, v0
	v_ashrrev_i32_e32 v3, 31, v0
	v_add_co_u32_e32 v2, vcc, v25, v0
	v_addc_co_u32_e32 v3, vcc, v31, v3, vcc
                                        ; implicit-def: $vgpr19
; %bb.208:
	s_andn2_saveexec_b64 s[6:7], s[6:7]
; %bb.209:
	v_add_co_u32_e32 v2, vcc, v17, v19
	v_addc_co_u32_e32 v3, vcc, 0, v4, vcc
; %bb.210:
	s_or_b64 exec, exec, s[6:7]
	s_or_b64 s[2:3], s[2:3], exec
.LBB79_211:
	s_or_b64 exec, exec, s[4:5]
	s_and_saveexec_b64 s[4:5], s[2:3]
	s_cbranch_execnz .LBB79_130
.LBB79_212:
	s_or_b64 exec, exec, s[4:5]
	s_and_b64 s[0:1], s[0:1], s[26:27]
	s_and_saveexec_b64 s[2:3], s[0:1]
	s_cbranch_execz .LBB79_131
.LBB79_213:
	v_add_co_u32_e32 v0, vcc, v17, v1
	v_mov_b32_e32 v2, 0
	v_addc_co_u32_e32 v1, vcc, 0, v4, vcc
	global_store_dwordx2 v2, v[0:1], s[24:25]
	s_endpgm
	.section	.rodata,"a",@progbits
	.p2align	6, 0x0
	.amdhsa_kernel _ZN7rocprim17ROCPRIM_400000_NS6detail17trampoline_kernelINS0_13select_configILj256ELj13ELNS0_17block_load_methodE3ELS4_3ELS4_3ELNS0_20block_scan_algorithmE0ELj4294967295EEENS1_25partition_config_selectorILNS1_17partition_subalgoE3EjNS0_10empty_typeEbEEZZNS1_14partition_implILS8_3ELb0ES6_jNS0_17counting_iteratorIjlEEPS9_SE_NS0_5tupleIJPjSE_EEENSF_IJSE_SE_EEES9_SG_JZNS1_25segmented_radix_sort_implINS0_14default_configELb1EPKhPhPKlPlN2at6native12_GLOBAL__N_18offset_tEEE10hipError_tPvRmT1_PNSt15iterator_traitsISY_E10value_typeET2_T3_PNSZ_IS14_E10value_typeET4_jRbjT5_S1A_jjP12ihipStream_tbEUljE_EEESV_SW_SX_S14_S18_S1A_T6_T7_T9_mT8_S1C_bDpT10_ENKUlT_T0_E_clISt17integral_constantIbLb0EES1O_IbLb1EEEEDaS1K_S1L_EUlS1K_E_NS1_11comp_targetILNS1_3genE2ELNS1_11target_archE906ELNS1_3gpuE6ELNS1_3repE0EEENS1_30default_config_static_selectorELNS0_4arch9wavefront6targetE1EEEvSY_
		.amdhsa_group_segment_fixed_size 13320
		.amdhsa_private_segment_fixed_size 0
		.amdhsa_kernarg_size 152
		.amdhsa_user_sgpr_count 6
		.amdhsa_user_sgpr_private_segment_buffer 1
		.amdhsa_user_sgpr_dispatch_ptr 0
		.amdhsa_user_sgpr_queue_ptr 0
		.amdhsa_user_sgpr_kernarg_segment_ptr 1
		.amdhsa_user_sgpr_dispatch_id 0
		.amdhsa_user_sgpr_flat_scratch_init 0
		.amdhsa_user_sgpr_private_segment_size 0
		.amdhsa_uses_dynamic_stack 0
		.amdhsa_system_sgpr_private_segment_wavefront_offset 0
		.amdhsa_system_sgpr_workgroup_id_x 1
		.amdhsa_system_sgpr_workgroup_id_y 0
		.amdhsa_system_sgpr_workgroup_id_z 0
		.amdhsa_system_sgpr_workgroup_info 0
		.amdhsa_system_vgpr_workitem_id 0
		.amdhsa_next_free_vgpr 71
		.amdhsa_next_free_sgpr 98
		.amdhsa_reserve_vcc 1
		.amdhsa_reserve_flat_scratch 0
		.amdhsa_float_round_mode_32 0
		.amdhsa_float_round_mode_16_64 0
		.amdhsa_float_denorm_mode_32 3
		.amdhsa_float_denorm_mode_16_64 3
		.amdhsa_dx10_clamp 1
		.amdhsa_ieee_mode 1
		.amdhsa_fp16_overflow 0
		.amdhsa_exception_fp_ieee_invalid_op 0
		.amdhsa_exception_fp_denorm_src 0
		.amdhsa_exception_fp_ieee_div_zero 0
		.amdhsa_exception_fp_ieee_overflow 0
		.amdhsa_exception_fp_ieee_underflow 0
		.amdhsa_exception_fp_ieee_inexact 0
		.amdhsa_exception_int_div_zero 0
	.end_amdhsa_kernel
	.section	.text._ZN7rocprim17ROCPRIM_400000_NS6detail17trampoline_kernelINS0_13select_configILj256ELj13ELNS0_17block_load_methodE3ELS4_3ELS4_3ELNS0_20block_scan_algorithmE0ELj4294967295EEENS1_25partition_config_selectorILNS1_17partition_subalgoE3EjNS0_10empty_typeEbEEZZNS1_14partition_implILS8_3ELb0ES6_jNS0_17counting_iteratorIjlEEPS9_SE_NS0_5tupleIJPjSE_EEENSF_IJSE_SE_EEES9_SG_JZNS1_25segmented_radix_sort_implINS0_14default_configELb1EPKhPhPKlPlN2at6native12_GLOBAL__N_18offset_tEEE10hipError_tPvRmT1_PNSt15iterator_traitsISY_E10value_typeET2_T3_PNSZ_IS14_E10value_typeET4_jRbjT5_S1A_jjP12ihipStream_tbEUljE_EEESV_SW_SX_S14_S18_S1A_T6_T7_T9_mT8_S1C_bDpT10_ENKUlT_T0_E_clISt17integral_constantIbLb0EES1O_IbLb1EEEEDaS1K_S1L_EUlS1K_E_NS1_11comp_targetILNS1_3genE2ELNS1_11target_archE906ELNS1_3gpuE6ELNS1_3repE0EEENS1_30default_config_static_selectorELNS0_4arch9wavefront6targetE1EEEvSY_,"axG",@progbits,_ZN7rocprim17ROCPRIM_400000_NS6detail17trampoline_kernelINS0_13select_configILj256ELj13ELNS0_17block_load_methodE3ELS4_3ELS4_3ELNS0_20block_scan_algorithmE0ELj4294967295EEENS1_25partition_config_selectorILNS1_17partition_subalgoE3EjNS0_10empty_typeEbEEZZNS1_14partition_implILS8_3ELb0ES6_jNS0_17counting_iteratorIjlEEPS9_SE_NS0_5tupleIJPjSE_EEENSF_IJSE_SE_EEES9_SG_JZNS1_25segmented_radix_sort_implINS0_14default_configELb1EPKhPhPKlPlN2at6native12_GLOBAL__N_18offset_tEEE10hipError_tPvRmT1_PNSt15iterator_traitsISY_E10value_typeET2_T3_PNSZ_IS14_E10value_typeET4_jRbjT5_S1A_jjP12ihipStream_tbEUljE_EEESV_SW_SX_S14_S18_S1A_T6_T7_T9_mT8_S1C_bDpT10_ENKUlT_T0_E_clISt17integral_constantIbLb0EES1O_IbLb1EEEEDaS1K_S1L_EUlS1K_E_NS1_11comp_targetILNS1_3genE2ELNS1_11target_archE906ELNS1_3gpuE6ELNS1_3repE0EEENS1_30default_config_static_selectorELNS0_4arch9wavefront6targetE1EEEvSY_,comdat
.Lfunc_end79:
	.size	_ZN7rocprim17ROCPRIM_400000_NS6detail17trampoline_kernelINS0_13select_configILj256ELj13ELNS0_17block_load_methodE3ELS4_3ELS4_3ELNS0_20block_scan_algorithmE0ELj4294967295EEENS1_25partition_config_selectorILNS1_17partition_subalgoE3EjNS0_10empty_typeEbEEZZNS1_14partition_implILS8_3ELb0ES6_jNS0_17counting_iteratorIjlEEPS9_SE_NS0_5tupleIJPjSE_EEENSF_IJSE_SE_EEES9_SG_JZNS1_25segmented_radix_sort_implINS0_14default_configELb1EPKhPhPKlPlN2at6native12_GLOBAL__N_18offset_tEEE10hipError_tPvRmT1_PNSt15iterator_traitsISY_E10value_typeET2_T3_PNSZ_IS14_E10value_typeET4_jRbjT5_S1A_jjP12ihipStream_tbEUljE_EEESV_SW_SX_S14_S18_S1A_T6_T7_T9_mT8_S1C_bDpT10_ENKUlT_T0_E_clISt17integral_constantIbLb0EES1O_IbLb1EEEEDaS1K_S1L_EUlS1K_E_NS1_11comp_targetILNS1_3genE2ELNS1_11target_archE906ELNS1_3gpuE6ELNS1_3repE0EEENS1_30default_config_static_selectorELNS0_4arch9wavefront6targetE1EEEvSY_, .Lfunc_end79-_ZN7rocprim17ROCPRIM_400000_NS6detail17trampoline_kernelINS0_13select_configILj256ELj13ELNS0_17block_load_methodE3ELS4_3ELS4_3ELNS0_20block_scan_algorithmE0ELj4294967295EEENS1_25partition_config_selectorILNS1_17partition_subalgoE3EjNS0_10empty_typeEbEEZZNS1_14partition_implILS8_3ELb0ES6_jNS0_17counting_iteratorIjlEEPS9_SE_NS0_5tupleIJPjSE_EEENSF_IJSE_SE_EEES9_SG_JZNS1_25segmented_radix_sort_implINS0_14default_configELb1EPKhPhPKlPlN2at6native12_GLOBAL__N_18offset_tEEE10hipError_tPvRmT1_PNSt15iterator_traitsISY_E10value_typeET2_T3_PNSZ_IS14_E10value_typeET4_jRbjT5_S1A_jjP12ihipStream_tbEUljE_EEESV_SW_SX_S14_S18_S1A_T6_T7_T9_mT8_S1C_bDpT10_ENKUlT_T0_E_clISt17integral_constantIbLb0EES1O_IbLb1EEEEDaS1K_S1L_EUlS1K_E_NS1_11comp_targetILNS1_3genE2ELNS1_11target_archE906ELNS1_3gpuE6ELNS1_3repE0EEENS1_30default_config_static_selectorELNS0_4arch9wavefront6targetE1EEEvSY_
                                        ; -- End function
	.set _ZN7rocprim17ROCPRIM_400000_NS6detail17trampoline_kernelINS0_13select_configILj256ELj13ELNS0_17block_load_methodE3ELS4_3ELS4_3ELNS0_20block_scan_algorithmE0ELj4294967295EEENS1_25partition_config_selectorILNS1_17partition_subalgoE3EjNS0_10empty_typeEbEEZZNS1_14partition_implILS8_3ELb0ES6_jNS0_17counting_iteratorIjlEEPS9_SE_NS0_5tupleIJPjSE_EEENSF_IJSE_SE_EEES9_SG_JZNS1_25segmented_radix_sort_implINS0_14default_configELb1EPKhPhPKlPlN2at6native12_GLOBAL__N_18offset_tEEE10hipError_tPvRmT1_PNSt15iterator_traitsISY_E10value_typeET2_T3_PNSZ_IS14_E10value_typeET4_jRbjT5_S1A_jjP12ihipStream_tbEUljE_EEESV_SW_SX_S14_S18_S1A_T6_T7_T9_mT8_S1C_bDpT10_ENKUlT_T0_E_clISt17integral_constantIbLb0EES1O_IbLb1EEEEDaS1K_S1L_EUlS1K_E_NS1_11comp_targetILNS1_3genE2ELNS1_11target_archE906ELNS1_3gpuE6ELNS1_3repE0EEENS1_30default_config_static_selectorELNS0_4arch9wavefront6targetE1EEEvSY_.num_vgpr, 71
	.set _ZN7rocprim17ROCPRIM_400000_NS6detail17trampoline_kernelINS0_13select_configILj256ELj13ELNS0_17block_load_methodE3ELS4_3ELS4_3ELNS0_20block_scan_algorithmE0ELj4294967295EEENS1_25partition_config_selectorILNS1_17partition_subalgoE3EjNS0_10empty_typeEbEEZZNS1_14partition_implILS8_3ELb0ES6_jNS0_17counting_iteratorIjlEEPS9_SE_NS0_5tupleIJPjSE_EEENSF_IJSE_SE_EEES9_SG_JZNS1_25segmented_radix_sort_implINS0_14default_configELb1EPKhPhPKlPlN2at6native12_GLOBAL__N_18offset_tEEE10hipError_tPvRmT1_PNSt15iterator_traitsISY_E10value_typeET2_T3_PNSZ_IS14_E10value_typeET4_jRbjT5_S1A_jjP12ihipStream_tbEUljE_EEESV_SW_SX_S14_S18_S1A_T6_T7_T9_mT8_S1C_bDpT10_ENKUlT_T0_E_clISt17integral_constantIbLb0EES1O_IbLb1EEEEDaS1K_S1L_EUlS1K_E_NS1_11comp_targetILNS1_3genE2ELNS1_11target_archE906ELNS1_3gpuE6ELNS1_3repE0EEENS1_30default_config_static_selectorELNS0_4arch9wavefront6targetE1EEEvSY_.num_agpr, 0
	.set _ZN7rocprim17ROCPRIM_400000_NS6detail17trampoline_kernelINS0_13select_configILj256ELj13ELNS0_17block_load_methodE3ELS4_3ELS4_3ELNS0_20block_scan_algorithmE0ELj4294967295EEENS1_25partition_config_selectorILNS1_17partition_subalgoE3EjNS0_10empty_typeEbEEZZNS1_14partition_implILS8_3ELb0ES6_jNS0_17counting_iteratorIjlEEPS9_SE_NS0_5tupleIJPjSE_EEENSF_IJSE_SE_EEES9_SG_JZNS1_25segmented_radix_sort_implINS0_14default_configELb1EPKhPhPKlPlN2at6native12_GLOBAL__N_18offset_tEEE10hipError_tPvRmT1_PNSt15iterator_traitsISY_E10value_typeET2_T3_PNSZ_IS14_E10value_typeET4_jRbjT5_S1A_jjP12ihipStream_tbEUljE_EEESV_SW_SX_S14_S18_S1A_T6_T7_T9_mT8_S1C_bDpT10_ENKUlT_T0_E_clISt17integral_constantIbLb0EES1O_IbLb1EEEEDaS1K_S1L_EUlS1K_E_NS1_11comp_targetILNS1_3genE2ELNS1_11target_archE906ELNS1_3gpuE6ELNS1_3repE0EEENS1_30default_config_static_selectorELNS0_4arch9wavefront6targetE1EEEvSY_.numbered_sgpr, 46
	.set _ZN7rocprim17ROCPRIM_400000_NS6detail17trampoline_kernelINS0_13select_configILj256ELj13ELNS0_17block_load_methodE3ELS4_3ELS4_3ELNS0_20block_scan_algorithmE0ELj4294967295EEENS1_25partition_config_selectorILNS1_17partition_subalgoE3EjNS0_10empty_typeEbEEZZNS1_14partition_implILS8_3ELb0ES6_jNS0_17counting_iteratorIjlEEPS9_SE_NS0_5tupleIJPjSE_EEENSF_IJSE_SE_EEES9_SG_JZNS1_25segmented_radix_sort_implINS0_14default_configELb1EPKhPhPKlPlN2at6native12_GLOBAL__N_18offset_tEEE10hipError_tPvRmT1_PNSt15iterator_traitsISY_E10value_typeET2_T3_PNSZ_IS14_E10value_typeET4_jRbjT5_S1A_jjP12ihipStream_tbEUljE_EEESV_SW_SX_S14_S18_S1A_T6_T7_T9_mT8_S1C_bDpT10_ENKUlT_T0_E_clISt17integral_constantIbLb0EES1O_IbLb1EEEEDaS1K_S1L_EUlS1K_E_NS1_11comp_targetILNS1_3genE2ELNS1_11target_archE906ELNS1_3gpuE6ELNS1_3repE0EEENS1_30default_config_static_selectorELNS0_4arch9wavefront6targetE1EEEvSY_.num_named_barrier, 0
	.set _ZN7rocprim17ROCPRIM_400000_NS6detail17trampoline_kernelINS0_13select_configILj256ELj13ELNS0_17block_load_methodE3ELS4_3ELS4_3ELNS0_20block_scan_algorithmE0ELj4294967295EEENS1_25partition_config_selectorILNS1_17partition_subalgoE3EjNS0_10empty_typeEbEEZZNS1_14partition_implILS8_3ELb0ES6_jNS0_17counting_iteratorIjlEEPS9_SE_NS0_5tupleIJPjSE_EEENSF_IJSE_SE_EEES9_SG_JZNS1_25segmented_radix_sort_implINS0_14default_configELb1EPKhPhPKlPlN2at6native12_GLOBAL__N_18offset_tEEE10hipError_tPvRmT1_PNSt15iterator_traitsISY_E10value_typeET2_T3_PNSZ_IS14_E10value_typeET4_jRbjT5_S1A_jjP12ihipStream_tbEUljE_EEESV_SW_SX_S14_S18_S1A_T6_T7_T9_mT8_S1C_bDpT10_ENKUlT_T0_E_clISt17integral_constantIbLb0EES1O_IbLb1EEEEDaS1K_S1L_EUlS1K_E_NS1_11comp_targetILNS1_3genE2ELNS1_11target_archE906ELNS1_3gpuE6ELNS1_3repE0EEENS1_30default_config_static_selectorELNS0_4arch9wavefront6targetE1EEEvSY_.private_seg_size, 0
	.set _ZN7rocprim17ROCPRIM_400000_NS6detail17trampoline_kernelINS0_13select_configILj256ELj13ELNS0_17block_load_methodE3ELS4_3ELS4_3ELNS0_20block_scan_algorithmE0ELj4294967295EEENS1_25partition_config_selectorILNS1_17partition_subalgoE3EjNS0_10empty_typeEbEEZZNS1_14partition_implILS8_3ELb0ES6_jNS0_17counting_iteratorIjlEEPS9_SE_NS0_5tupleIJPjSE_EEENSF_IJSE_SE_EEES9_SG_JZNS1_25segmented_radix_sort_implINS0_14default_configELb1EPKhPhPKlPlN2at6native12_GLOBAL__N_18offset_tEEE10hipError_tPvRmT1_PNSt15iterator_traitsISY_E10value_typeET2_T3_PNSZ_IS14_E10value_typeET4_jRbjT5_S1A_jjP12ihipStream_tbEUljE_EEESV_SW_SX_S14_S18_S1A_T6_T7_T9_mT8_S1C_bDpT10_ENKUlT_T0_E_clISt17integral_constantIbLb0EES1O_IbLb1EEEEDaS1K_S1L_EUlS1K_E_NS1_11comp_targetILNS1_3genE2ELNS1_11target_archE906ELNS1_3gpuE6ELNS1_3repE0EEENS1_30default_config_static_selectorELNS0_4arch9wavefront6targetE1EEEvSY_.uses_vcc, 1
	.set _ZN7rocprim17ROCPRIM_400000_NS6detail17trampoline_kernelINS0_13select_configILj256ELj13ELNS0_17block_load_methodE3ELS4_3ELS4_3ELNS0_20block_scan_algorithmE0ELj4294967295EEENS1_25partition_config_selectorILNS1_17partition_subalgoE3EjNS0_10empty_typeEbEEZZNS1_14partition_implILS8_3ELb0ES6_jNS0_17counting_iteratorIjlEEPS9_SE_NS0_5tupleIJPjSE_EEENSF_IJSE_SE_EEES9_SG_JZNS1_25segmented_radix_sort_implINS0_14default_configELb1EPKhPhPKlPlN2at6native12_GLOBAL__N_18offset_tEEE10hipError_tPvRmT1_PNSt15iterator_traitsISY_E10value_typeET2_T3_PNSZ_IS14_E10value_typeET4_jRbjT5_S1A_jjP12ihipStream_tbEUljE_EEESV_SW_SX_S14_S18_S1A_T6_T7_T9_mT8_S1C_bDpT10_ENKUlT_T0_E_clISt17integral_constantIbLb0EES1O_IbLb1EEEEDaS1K_S1L_EUlS1K_E_NS1_11comp_targetILNS1_3genE2ELNS1_11target_archE906ELNS1_3gpuE6ELNS1_3repE0EEENS1_30default_config_static_selectorELNS0_4arch9wavefront6targetE1EEEvSY_.uses_flat_scratch, 0
	.set _ZN7rocprim17ROCPRIM_400000_NS6detail17trampoline_kernelINS0_13select_configILj256ELj13ELNS0_17block_load_methodE3ELS4_3ELS4_3ELNS0_20block_scan_algorithmE0ELj4294967295EEENS1_25partition_config_selectorILNS1_17partition_subalgoE3EjNS0_10empty_typeEbEEZZNS1_14partition_implILS8_3ELb0ES6_jNS0_17counting_iteratorIjlEEPS9_SE_NS0_5tupleIJPjSE_EEENSF_IJSE_SE_EEES9_SG_JZNS1_25segmented_radix_sort_implINS0_14default_configELb1EPKhPhPKlPlN2at6native12_GLOBAL__N_18offset_tEEE10hipError_tPvRmT1_PNSt15iterator_traitsISY_E10value_typeET2_T3_PNSZ_IS14_E10value_typeET4_jRbjT5_S1A_jjP12ihipStream_tbEUljE_EEESV_SW_SX_S14_S18_S1A_T6_T7_T9_mT8_S1C_bDpT10_ENKUlT_T0_E_clISt17integral_constantIbLb0EES1O_IbLb1EEEEDaS1K_S1L_EUlS1K_E_NS1_11comp_targetILNS1_3genE2ELNS1_11target_archE906ELNS1_3gpuE6ELNS1_3repE0EEENS1_30default_config_static_selectorELNS0_4arch9wavefront6targetE1EEEvSY_.has_dyn_sized_stack, 0
	.set _ZN7rocprim17ROCPRIM_400000_NS6detail17trampoline_kernelINS0_13select_configILj256ELj13ELNS0_17block_load_methodE3ELS4_3ELS4_3ELNS0_20block_scan_algorithmE0ELj4294967295EEENS1_25partition_config_selectorILNS1_17partition_subalgoE3EjNS0_10empty_typeEbEEZZNS1_14partition_implILS8_3ELb0ES6_jNS0_17counting_iteratorIjlEEPS9_SE_NS0_5tupleIJPjSE_EEENSF_IJSE_SE_EEES9_SG_JZNS1_25segmented_radix_sort_implINS0_14default_configELb1EPKhPhPKlPlN2at6native12_GLOBAL__N_18offset_tEEE10hipError_tPvRmT1_PNSt15iterator_traitsISY_E10value_typeET2_T3_PNSZ_IS14_E10value_typeET4_jRbjT5_S1A_jjP12ihipStream_tbEUljE_EEESV_SW_SX_S14_S18_S1A_T6_T7_T9_mT8_S1C_bDpT10_ENKUlT_T0_E_clISt17integral_constantIbLb0EES1O_IbLb1EEEEDaS1K_S1L_EUlS1K_E_NS1_11comp_targetILNS1_3genE2ELNS1_11target_archE906ELNS1_3gpuE6ELNS1_3repE0EEENS1_30default_config_static_selectorELNS0_4arch9wavefront6targetE1EEEvSY_.has_recursion, 0
	.set _ZN7rocprim17ROCPRIM_400000_NS6detail17trampoline_kernelINS0_13select_configILj256ELj13ELNS0_17block_load_methodE3ELS4_3ELS4_3ELNS0_20block_scan_algorithmE0ELj4294967295EEENS1_25partition_config_selectorILNS1_17partition_subalgoE3EjNS0_10empty_typeEbEEZZNS1_14partition_implILS8_3ELb0ES6_jNS0_17counting_iteratorIjlEEPS9_SE_NS0_5tupleIJPjSE_EEENSF_IJSE_SE_EEES9_SG_JZNS1_25segmented_radix_sort_implINS0_14default_configELb1EPKhPhPKlPlN2at6native12_GLOBAL__N_18offset_tEEE10hipError_tPvRmT1_PNSt15iterator_traitsISY_E10value_typeET2_T3_PNSZ_IS14_E10value_typeET4_jRbjT5_S1A_jjP12ihipStream_tbEUljE_EEESV_SW_SX_S14_S18_S1A_T6_T7_T9_mT8_S1C_bDpT10_ENKUlT_T0_E_clISt17integral_constantIbLb0EES1O_IbLb1EEEEDaS1K_S1L_EUlS1K_E_NS1_11comp_targetILNS1_3genE2ELNS1_11target_archE906ELNS1_3gpuE6ELNS1_3repE0EEENS1_30default_config_static_selectorELNS0_4arch9wavefront6targetE1EEEvSY_.has_indirect_call, 0
	.section	.AMDGPU.csdata,"",@progbits
; Kernel info:
; codeLenInByte = 7548
; TotalNumSgprs: 50
; NumVgprs: 71
; ScratchSize: 0
; MemoryBound: 0
; FloatMode: 240
; IeeeMode: 1
; LDSByteSize: 13320 bytes/workgroup (compile time only)
; SGPRBlocks: 12
; VGPRBlocks: 17
; NumSGPRsForWavesPerEU: 102
; NumVGPRsForWavesPerEU: 71
; Occupancy: 3
; WaveLimiterHint : 0
; COMPUTE_PGM_RSRC2:SCRATCH_EN: 0
; COMPUTE_PGM_RSRC2:USER_SGPR: 6
; COMPUTE_PGM_RSRC2:TRAP_HANDLER: 0
; COMPUTE_PGM_RSRC2:TGID_X_EN: 1
; COMPUTE_PGM_RSRC2:TGID_Y_EN: 0
; COMPUTE_PGM_RSRC2:TGID_Z_EN: 0
; COMPUTE_PGM_RSRC2:TIDIG_COMP_CNT: 0
	.section	.text._ZN7rocprim17ROCPRIM_400000_NS6detail17trampoline_kernelINS0_13select_configILj256ELj13ELNS0_17block_load_methodE3ELS4_3ELS4_3ELNS0_20block_scan_algorithmE0ELj4294967295EEENS1_25partition_config_selectorILNS1_17partition_subalgoE3EjNS0_10empty_typeEbEEZZNS1_14partition_implILS8_3ELb0ES6_jNS0_17counting_iteratorIjlEEPS9_SE_NS0_5tupleIJPjSE_EEENSF_IJSE_SE_EEES9_SG_JZNS1_25segmented_radix_sort_implINS0_14default_configELb1EPKhPhPKlPlN2at6native12_GLOBAL__N_18offset_tEEE10hipError_tPvRmT1_PNSt15iterator_traitsISY_E10value_typeET2_T3_PNSZ_IS14_E10value_typeET4_jRbjT5_S1A_jjP12ihipStream_tbEUljE_EEESV_SW_SX_S14_S18_S1A_T6_T7_T9_mT8_S1C_bDpT10_ENKUlT_T0_E_clISt17integral_constantIbLb0EES1O_IbLb1EEEEDaS1K_S1L_EUlS1K_E_NS1_11comp_targetILNS1_3genE10ELNS1_11target_archE1200ELNS1_3gpuE4ELNS1_3repE0EEENS1_30default_config_static_selectorELNS0_4arch9wavefront6targetE1EEEvSY_,"axG",@progbits,_ZN7rocprim17ROCPRIM_400000_NS6detail17trampoline_kernelINS0_13select_configILj256ELj13ELNS0_17block_load_methodE3ELS4_3ELS4_3ELNS0_20block_scan_algorithmE0ELj4294967295EEENS1_25partition_config_selectorILNS1_17partition_subalgoE3EjNS0_10empty_typeEbEEZZNS1_14partition_implILS8_3ELb0ES6_jNS0_17counting_iteratorIjlEEPS9_SE_NS0_5tupleIJPjSE_EEENSF_IJSE_SE_EEES9_SG_JZNS1_25segmented_radix_sort_implINS0_14default_configELb1EPKhPhPKlPlN2at6native12_GLOBAL__N_18offset_tEEE10hipError_tPvRmT1_PNSt15iterator_traitsISY_E10value_typeET2_T3_PNSZ_IS14_E10value_typeET4_jRbjT5_S1A_jjP12ihipStream_tbEUljE_EEESV_SW_SX_S14_S18_S1A_T6_T7_T9_mT8_S1C_bDpT10_ENKUlT_T0_E_clISt17integral_constantIbLb0EES1O_IbLb1EEEEDaS1K_S1L_EUlS1K_E_NS1_11comp_targetILNS1_3genE10ELNS1_11target_archE1200ELNS1_3gpuE4ELNS1_3repE0EEENS1_30default_config_static_selectorELNS0_4arch9wavefront6targetE1EEEvSY_,comdat
	.globl	_ZN7rocprim17ROCPRIM_400000_NS6detail17trampoline_kernelINS0_13select_configILj256ELj13ELNS0_17block_load_methodE3ELS4_3ELS4_3ELNS0_20block_scan_algorithmE0ELj4294967295EEENS1_25partition_config_selectorILNS1_17partition_subalgoE3EjNS0_10empty_typeEbEEZZNS1_14partition_implILS8_3ELb0ES6_jNS0_17counting_iteratorIjlEEPS9_SE_NS0_5tupleIJPjSE_EEENSF_IJSE_SE_EEES9_SG_JZNS1_25segmented_radix_sort_implINS0_14default_configELb1EPKhPhPKlPlN2at6native12_GLOBAL__N_18offset_tEEE10hipError_tPvRmT1_PNSt15iterator_traitsISY_E10value_typeET2_T3_PNSZ_IS14_E10value_typeET4_jRbjT5_S1A_jjP12ihipStream_tbEUljE_EEESV_SW_SX_S14_S18_S1A_T6_T7_T9_mT8_S1C_bDpT10_ENKUlT_T0_E_clISt17integral_constantIbLb0EES1O_IbLb1EEEEDaS1K_S1L_EUlS1K_E_NS1_11comp_targetILNS1_3genE10ELNS1_11target_archE1200ELNS1_3gpuE4ELNS1_3repE0EEENS1_30default_config_static_selectorELNS0_4arch9wavefront6targetE1EEEvSY_ ; -- Begin function _ZN7rocprim17ROCPRIM_400000_NS6detail17trampoline_kernelINS0_13select_configILj256ELj13ELNS0_17block_load_methodE3ELS4_3ELS4_3ELNS0_20block_scan_algorithmE0ELj4294967295EEENS1_25partition_config_selectorILNS1_17partition_subalgoE3EjNS0_10empty_typeEbEEZZNS1_14partition_implILS8_3ELb0ES6_jNS0_17counting_iteratorIjlEEPS9_SE_NS0_5tupleIJPjSE_EEENSF_IJSE_SE_EEES9_SG_JZNS1_25segmented_radix_sort_implINS0_14default_configELb1EPKhPhPKlPlN2at6native12_GLOBAL__N_18offset_tEEE10hipError_tPvRmT1_PNSt15iterator_traitsISY_E10value_typeET2_T3_PNSZ_IS14_E10value_typeET4_jRbjT5_S1A_jjP12ihipStream_tbEUljE_EEESV_SW_SX_S14_S18_S1A_T6_T7_T9_mT8_S1C_bDpT10_ENKUlT_T0_E_clISt17integral_constantIbLb0EES1O_IbLb1EEEEDaS1K_S1L_EUlS1K_E_NS1_11comp_targetILNS1_3genE10ELNS1_11target_archE1200ELNS1_3gpuE4ELNS1_3repE0EEENS1_30default_config_static_selectorELNS0_4arch9wavefront6targetE1EEEvSY_
	.p2align	8
	.type	_ZN7rocprim17ROCPRIM_400000_NS6detail17trampoline_kernelINS0_13select_configILj256ELj13ELNS0_17block_load_methodE3ELS4_3ELS4_3ELNS0_20block_scan_algorithmE0ELj4294967295EEENS1_25partition_config_selectorILNS1_17partition_subalgoE3EjNS0_10empty_typeEbEEZZNS1_14partition_implILS8_3ELb0ES6_jNS0_17counting_iteratorIjlEEPS9_SE_NS0_5tupleIJPjSE_EEENSF_IJSE_SE_EEES9_SG_JZNS1_25segmented_radix_sort_implINS0_14default_configELb1EPKhPhPKlPlN2at6native12_GLOBAL__N_18offset_tEEE10hipError_tPvRmT1_PNSt15iterator_traitsISY_E10value_typeET2_T3_PNSZ_IS14_E10value_typeET4_jRbjT5_S1A_jjP12ihipStream_tbEUljE_EEESV_SW_SX_S14_S18_S1A_T6_T7_T9_mT8_S1C_bDpT10_ENKUlT_T0_E_clISt17integral_constantIbLb0EES1O_IbLb1EEEEDaS1K_S1L_EUlS1K_E_NS1_11comp_targetILNS1_3genE10ELNS1_11target_archE1200ELNS1_3gpuE4ELNS1_3repE0EEENS1_30default_config_static_selectorELNS0_4arch9wavefront6targetE1EEEvSY_,@function
_ZN7rocprim17ROCPRIM_400000_NS6detail17trampoline_kernelINS0_13select_configILj256ELj13ELNS0_17block_load_methodE3ELS4_3ELS4_3ELNS0_20block_scan_algorithmE0ELj4294967295EEENS1_25partition_config_selectorILNS1_17partition_subalgoE3EjNS0_10empty_typeEbEEZZNS1_14partition_implILS8_3ELb0ES6_jNS0_17counting_iteratorIjlEEPS9_SE_NS0_5tupleIJPjSE_EEENSF_IJSE_SE_EEES9_SG_JZNS1_25segmented_radix_sort_implINS0_14default_configELb1EPKhPhPKlPlN2at6native12_GLOBAL__N_18offset_tEEE10hipError_tPvRmT1_PNSt15iterator_traitsISY_E10value_typeET2_T3_PNSZ_IS14_E10value_typeET4_jRbjT5_S1A_jjP12ihipStream_tbEUljE_EEESV_SW_SX_S14_S18_S1A_T6_T7_T9_mT8_S1C_bDpT10_ENKUlT_T0_E_clISt17integral_constantIbLb0EES1O_IbLb1EEEEDaS1K_S1L_EUlS1K_E_NS1_11comp_targetILNS1_3genE10ELNS1_11target_archE1200ELNS1_3gpuE4ELNS1_3repE0EEENS1_30default_config_static_selectorELNS0_4arch9wavefront6targetE1EEEvSY_: ; @_ZN7rocprim17ROCPRIM_400000_NS6detail17trampoline_kernelINS0_13select_configILj256ELj13ELNS0_17block_load_methodE3ELS4_3ELS4_3ELNS0_20block_scan_algorithmE0ELj4294967295EEENS1_25partition_config_selectorILNS1_17partition_subalgoE3EjNS0_10empty_typeEbEEZZNS1_14partition_implILS8_3ELb0ES6_jNS0_17counting_iteratorIjlEEPS9_SE_NS0_5tupleIJPjSE_EEENSF_IJSE_SE_EEES9_SG_JZNS1_25segmented_radix_sort_implINS0_14default_configELb1EPKhPhPKlPlN2at6native12_GLOBAL__N_18offset_tEEE10hipError_tPvRmT1_PNSt15iterator_traitsISY_E10value_typeET2_T3_PNSZ_IS14_E10value_typeET4_jRbjT5_S1A_jjP12ihipStream_tbEUljE_EEESV_SW_SX_S14_S18_S1A_T6_T7_T9_mT8_S1C_bDpT10_ENKUlT_T0_E_clISt17integral_constantIbLb0EES1O_IbLb1EEEEDaS1K_S1L_EUlS1K_E_NS1_11comp_targetILNS1_3genE10ELNS1_11target_archE1200ELNS1_3gpuE4ELNS1_3repE0EEENS1_30default_config_static_selectorELNS0_4arch9wavefront6targetE1EEEvSY_
; %bb.0:
	.section	.rodata,"a",@progbits
	.p2align	6, 0x0
	.amdhsa_kernel _ZN7rocprim17ROCPRIM_400000_NS6detail17trampoline_kernelINS0_13select_configILj256ELj13ELNS0_17block_load_methodE3ELS4_3ELS4_3ELNS0_20block_scan_algorithmE0ELj4294967295EEENS1_25partition_config_selectorILNS1_17partition_subalgoE3EjNS0_10empty_typeEbEEZZNS1_14partition_implILS8_3ELb0ES6_jNS0_17counting_iteratorIjlEEPS9_SE_NS0_5tupleIJPjSE_EEENSF_IJSE_SE_EEES9_SG_JZNS1_25segmented_radix_sort_implINS0_14default_configELb1EPKhPhPKlPlN2at6native12_GLOBAL__N_18offset_tEEE10hipError_tPvRmT1_PNSt15iterator_traitsISY_E10value_typeET2_T3_PNSZ_IS14_E10value_typeET4_jRbjT5_S1A_jjP12ihipStream_tbEUljE_EEESV_SW_SX_S14_S18_S1A_T6_T7_T9_mT8_S1C_bDpT10_ENKUlT_T0_E_clISt17integral_constantIbLb0EES1O_IbLb1EEEEDaS1K_S1L_EUlS1K_E_NS1_11comp_targetILNS1_3genE10ELNS1_11target_archE1200ELNS1_3gpuE4ELNS1_3repE0EEENS1_30default_config_static_selectorELNS0_4arch9wavefront6targetE1EEEvSY_
		.amdhsa_group_segment_fixed_size 0
		.amdhsa_private_segment_fixed_size 0
		.amdhsa_kernarg_size 152
		.amdhsa_user_sgpr_count 6
		.amdhsa_user_sgpr_private_segment_buffer 1
		.amdhsa_user_sgpr_dispatch_ptr 0
		.amdhsa_user_sgpr_queue_ptr 0
		.amdhsa_user_sgpr_kernarg_segment_ptr 1
		.amdhsa_user_sgpr_dispatch_id 0
		.amdhsa_user_sgpr_flat_scratch_init 0
		.amdhsa_user_sgpr_private_segment_size 0
		.amdhsa_uses_dynamic_stack 0
		.amdhsa_system_sgpr_private_segment_wavefront_offset 0
		.amdhsa_system_sgpr_workgroup_id_x 1
		.amdhsa_system_sgpr_workgroup_id_y 0
		.amdhsa_system_sgpr_workgroup_id_z 0
		.amdhsa_system_sgpr_workgroup_info 0
		.amdhsa_system_vgpr_workitem_id 0
		.amdhsa_next_free_vgpr 1
		.amdhsa_next_free_sgpr 0
		.amdhsa_reserve_vcc 0
		.amdhsa_reserve_flat_scratch 0
		.amdhsa_float_round_mode_32 0
		.amdhsa_float_round_mode_16_64 0
		.amdhsa_float_denorm_mode_32 3
		.amdhsa_float_denorm_mode_16_64 3
		.amdhsa_dx10_clamp 1
		.amdhsa_ieee_mode 1
		.amdhsa_fp16_overflow 0
		.amdhsa_exception_fp_ieee_invalid_op 0
		.amdhsa_exception_fp_denorm_src 0
		.amdhsa_exception_fp_ieee_div_zero 0
		.amdhsa_exception_fp_ieee_overflow 0
		.amdhsa_exception_fp_ieee_underflow 0
		.amdhsa_exception_fp_ieee_inexact 0
		.amdhsa_exception_int_div_zero 0
	.end_amdhsa_kernel
	.section	.text._ZN7rocprim17ROCPRIM_400000_NS6detail17trampoline_kernelINS0_13select_configILj256ELj13ELNS0_17block_load_methodE3ELS4_3ELS4_3ELNS0_20block_scan_algorithmE0ELj4294967295EEENS1_25partition_config_selectorILNS1_17partition_subalgoE3EjNS0_10empty_typeEbEEZZNS1_14partition_implILS8_3ELb0ES6_jNS0_17counting_iteratorIjlEEPS9_SE_NS0_5tupleIJPjSE_EEENSF_IJSE_SE_EEES9_SG_JZNS1_25segmented_radix_sort_implINS0_14default_configELb1EPKhPhPKlPlN2at6native12_GLOBAL__N_18offset_tEEE10hipError_tPvRmT1_PNSt15iterator_traitsISY_E10value_typeET2_T3_PNSZ_IS14_E10value_typeET4_jRbjT5_S1A_jjP12ihipStream_tbEUljE_EEESV_SW_SX_S14_S18_S1A_T6_T7_T9_mT8_S1C_bDpT10_ENKUlT_T0_E_clISt17integral_constantIbLb0EES1O_IbLb1EEEEDaS1K_S1L_EUlS1K_E_NS1_11comp_targetILNS1_3genE10ELNS1_11target_archE1200ELNS1_3gpuE4ELNS1_3repE0EEENS1_30default_config_static_selectorELNS0_4arch9wavefront6targetE1EEEvSY_,"axG",@progbits,_ZN7rocprim17ROCPRIM_400000_NS6detail17trampoline_kernelINS0_13select_configILj256ELj13ELNS0_17block_load_methodE3ELS4_3ELS4_3ELNS0_20block_scan_algorithmE0ELj4294967295EEENS1_25partition_config_selectorILNS1_17partition_subalgoE3EjNS0_10empty_typeEbEEZZNS1_14partition_implILS8_3ELb0ES6_jNS0_17counting_iteratorIjlEEPS9_SE_NS0_5tupleIJPjSE_EEENSF_IJSE_SE_EEES9_SG_JZNS1_25segmented_radix_sort_implINS0_14default_configELb1EPKhPhPKlPlN2at6native12_GLOBAL__N_18offset_tEEE10hipError_tPvRmT1_PNSt15iterator_traitsISY_E10value_typeET2_T3_PNSZ_IS14_E10value_typeET4_jRbjT5_S1A_jjP12ihipStream_tbEUljE_EEESV_SW_SX_S14_S18_S1A_T6_T7_T9_mT8_S1C_bDpT10_ENKUlT_T0_E_clISt17integral_constantIbLb0EES1O_IbLb1EEEEDaS1K_S1L_EUlS1K_E_NS1_11comp_targetILNS1_3genE10ELNS1_11target_archE1200ELNS1_3gpuE4ELNS1_3repE0EEENS1_30default_config_static_selectorELNS0_4arch9wavefront6targetE1EEEvSY_,comdat
.Lfunc_end80:
	.size	_ZN7rocprim17ROCPRIM_400000_NS6detail17trampoline_kernelINS0_13select_configILj256ELj13ELNS0_17block_load_methodE3ELS4_3ELS4_3ELNS0_20block_scan_algorithmE0ELj4294967295EEENS1_25partition_config_selectorILNS1_17partition_subalgoE3EjNS0_10empty_typeEbEEZZNS1_14partition_implILS8_3ELb0ES6_jNS0_17counting_iteratorIjlEEPS9_SE_NS0_5tupleIJPjSE_EEENSF_IJSE_SE_EEES9_SG_JZNS1_25segmented_radix_sort_implINS0_14default_configELb1EPKhPhPKlPlN2at6native12_GLOBAL__N_18offset_tEEE10hipError_tPvRmT1_PNSt15iterator_traitsISY_E10value_typeET2_T3_PNSZ_IS14_E10value_typeET4_jRbjT5_S1A_jjP12ihipStream_tbEUljE_EEESV_SW_SX_S14_S18_S1A_T6_T7_T9_mT8_S1C_bDpT10_ENKUlT_T0_E_clISt17integral_constantIbLb0EES1O_IbLb1EEEEDaS1K_S1L_EUlS1K_E_NS1_11comp_targetILNS1_3genE10ELNS1_11target_archE1200ELNS1_3gpuE4ELNS1_3repE0EEENS1_30default_config_static_selectorELNS0_4arch9wavefront6targetE1EEEvSY_, .Lfunc_end80-_ZN7rocprim17ROCPRIM_400000_NS6detail17trampoline_kernelINS0_13select_configILj256ELj13ELNS0_17block_load_methodE3ELS4_3ELS4_3ELNS0_20block_scan_algorithmE0ELj4294967295EEENS1_25partition_config_selectorILNS1_17partition_subalgoE3EjNS0_10empty_typeEbEEZZNS1_14partition_implILS8_3ELb0ES6_jNS0_17counting_iteratorIjlEEPS9_SE_NS0_5tupleIJPjSE_EEENSF_IJSE_SE_EEES9_SG_JZNS1_25segmented_radix_sort_implINS0_14default_configELb1EPKhPhPKlPlN2at6native12_GLOBAL__N_18offset_tEEE10hipError_tPvRmT1_PNSt15iterator_traitsISY_E10value_typeET2_T3_PNSZ_IS14_E10value_typeET4_jRbjT5_S1A_jjP12ihipStream_tbEUljE_EEESV_SW_SX_S14_S18_S1A_T6_T7_T9_mT8_S1C_bDpT10_ENKUlT_T0_E_clISt17integral_constantIbLb0EES1O_IbLb1EEEEDaS1K_S1L_EUlS1K_E_NS1_11comp_targetILNS1_3genE10ELNS1_11target_archE1200ELNS1_3gpuE4ELNS1_3repE0EEENS1_30default_config_static_selectorELNS0_4arch9wavefront6targetE1EEEvSY_
                                        ; -- End function
	.set _ZN7rocprim17ROCPRIM_400000_NS6detail17trampoline_kernelINS0_13select_configILj256ELj13ELNS0_17block_load_methodE3ELS4_3ELS4_3ELNS0_20block_scan_algorithmE0ELj4294967295EEENS1_25partition_config_selectorILNS1_17partition_subalgoE3EjNS0_10empty_typeEbEEZZNS1_14partition_implILS8_3ELb0ES6_jNS0_17counting_iteratorIjlEEPS9_SE_NS0_5tupleIJPjSE_EEENSF_IJSE_SE_EEES9_SG_JZNS1_25segmented_radix_sort_implINS0_14default_configELb1EPKhPhPKlPlN2at6native12_GLOBAL__N_18offset_tEEE10hipError_tPvRmT1_PNSt15iterator_traitsISY_E10value_typeET2_T3_PNSZ_IS14_E10value_typeET4_jRbjT5_S1A_jjP12ihipStream_tbEUljE_EEESV_SW_SX_S14_S18_S1A_T6_T7_T9_mT8_S1C_bDpT10_ENKUlT_T0_E_clISt17integral_constantIbLb0EES1O_IbLb1EEEEDaS1K_S1L_EUlS1K_E_NS1_11comp_targetILNS1_3genE10ELNS1_11target_archE1200ELNS1_3gpuE4ELNS1_3repE0EEENS1_30default_config_static_selectorELNS0_4arch9wavefront6targetE1EEEvSY_.num_vgpr, 0
	.set _ZN7rocprim17ROCPRIM_400000_NS6detail17trampoline_kernelINS0_13select_configILj256ELj13ELNS0_17block_load_methodE3ELS4_3ELS4_3ELNS0_20block_scan_algorithmE0ELj4294967295EEENS1_25partition_config_selectorILNS1_17partition_subalgoE3EjNS0_10empty_typeEbEEZZNS1_14partition_implILS8_3ELb0ES6_jNS0_17counting_iteratorIjlEEPS9_SE_NS0_5tupleIJPjSE_EEENSF_IJSE_SE_EEES9_SG_JZNS1_25segmented_radix_sort_implINS0_14default_configELb1EPKhPhPKlPlN2at6native12_GLOBAL__N_18offset_tEEE10hipError_tPvRmT1_PNSt15iterator_traitsISY_E10value_typeET2_T3_PNSZ_IS14_E10value_typeET4_jRbjT5_S1A_jjP12ihipStream_tbEUljE_EEESV_SW_SX_S14_S18_S1A_T6_T7_T9_mT8_S1C_bDpT10_ENKUlT_T0_E_clISt17integral_constantIbLb0EES1O_IbLb1EEEEDaS1K_S1L_EUlS1K_E_NS1_11comp_targetILNS1_3genE10ELNS1_11target_archE1200ELNS1_3gpuE4ELNS1_3repE0EEENS1_30default_config_static_selectorELNS0_4arch9wavefront6targetE1EEEvSY_.num_agpr, 0
	.set _ZN7rocprim17ROCPRIM_400000_NS6detail17trampoline_kernelINS0_13select_configILj256ELj13ELNS0_17block_load_methodE3ELS4_3ELS4_3ELNS0_20block_scan_algorithmE0ELj4294967295EEENS1_25partition_config_selectorILNS1_17partition_subalgoE3EjNS0_10empty_typeEbEEZZNS1_14partition_implILS8_3ELb0ES6_jNS0_17counting_iteratorIjlEEPS9_SE_NS0_5tupleIJPjSE_EEENSF_IJSE_SE_EEES9_SG_JZNS1_25segmented_radix_sort_implINS0_14default_configELb1EPKhPhPKlPlN2at6native12_GLOBAL__N_18offset_tEEE10hipError_tPvRmT1_PNSt15iterator_traitsISY_E10value_typeET2_T3_PNSZ_IS14_E10value_typeET4_jRbjT5_S1A_jjP12ihipStream_tbEUljE_EEESV_SW_SX_S14_S18_S1A_T6_T7_T9_mT8_S1C_bDpT10_ENKUlT_T0_E_clISt17integral_constantIbLb0EES1O_IbLb1EEEEDaS1K_S1L_EUlS1K_E_NS1_11comp_targetILNS1_3genE10ELNS1_11target_archE1200ELNS1_3gpuE4ELNS1_3repE0EEENS1_30default_config_static_selectorELNS0_4arch9wavefront6targetE1EEEvSY_.numbered_sgpr, 0
	.set _ZN7rocprim17ROCPRIM_400000_NS6detail17trampoline_kernelINS0_13select_configILj256ELj13ELNS0_17block_load_methodE3ELS4_3ELS4_3ELNS0_20block_scan_algorithmE0ELj4294967295EEENS1_25partition_config_selectorILNS1_17partition_subalgoE3EjNS0_10empty_typeEbEEZZNS1_14partition_implILS8_3ELb0ES6_jNS0_17counting_iteratorIjlEEPS9_SE_NS0_5tupleIJPjSE_EEENSF_IJSE_SE_EEES9_SG_JZNS1_25segmented_radix_sort_implINS0_14default_configELb1EPKhPhPKlPlN2at6native12_GLOBAL__N_18offset_tEEE10hipError_tPvRmT1_PNSt15iterator_traitsISY_E10value_typeET2_T3_PNSZ_IS14_E10value_typeET4_jRbjT5_S1A_jjP12ihipStream_tbEUljE_EEESV_SW_SX_S14_S18_S1A_T6_T7_T9_mT8_S1C_bDpT10_ENKUlT_T0_E_clISt17integral_constantIbLb0EES1O_IbLb1EEEEDaS1K_S1L_EUlS1K_E_NS1_11comp_targetILNS1_3genE10ELNS1_11target_archE1200ELNS1_3gpuE4ELNS1_3repE0EEENS1_30default_config_static_selectorELNS0_4arch9wavefront6targetE1EEEvSY_.num_named_barrier, 0
	.set _ZN7rocprim17ROCPRIM_400000_NS6detail17trampoline_kernelINS0_13select_configILj256ELj13ELNS0_17block_load_methodE3ELS4_3ELS4_3ELNS0_20block_scan_algorithmE0ELj4294967295EEENS1_25partition_config_selectorILNS1_17partition_subalgoE3EjNS0_10empty_typeEbEEZZNS1_14partition_implILS8_3ELb0ES6_jNS0_17counting_iteratorIjlEEPS9_SE_NS0_5tupleIJPjSE_EEENSF_IJSE_SE_EEES9_SG_JZNS1_25segmented_radix_sort_implINS0_14default_configELb1EPKhPhPKlPlN2at6native12_GLOBAL__N_18offset_tEEE10hipError_tPvRmT1_PNSt15iterator_traitsISY_E10value_typeET2_T3_PNSZ_IS14_E10value_typeET4_jRbjT5_S1A_jjP12ihipStream_tbEUljE_EEESV_SW_SX_S14_S18_S1A_T6_T7_T9_mT8_S1C_bDpT10_ENKUlT_T0_E_clISt17integral_constantIbLb0EES1O_IbLb1EEEEDaS1K_S1L_EUlS1K_E_NS1_11comp_targetILNS1_3genE10ELNS1_11target_archE1200ELNS1_3gpuE4ELNS1_3repE0EEENS1_30default_config_static_selectorELNS0_4arch9wavefront6targetE1EEEvSY_.private_seg_size, 0
	.set _ZN7rocprim17ROCPRIM_400000_NS6detail17trampoline_kernelINS0_13select_configILj256ELj13ELNS0_17block_load_methodE3ELS4_3ELS4_3ELNS0_20block_scan_algorithmE0ELj4294967295EEENS1_25partition_config_selectorILNS1_17partition_subalgoE3EjNS0_10empty_typeEbEEZZNS1_14partition_implILS8_3ELb0ES6_jNS0_17counting_iteratorIjlEEPS9_SE_NS0_5tupleIJPjSE_EEENSF_IJSE_SE_EEES9_SG_JZNS1_25segmented_radix_sort_implINS0_14default_configELb1EPKhPhPKlPlN2at6native12_GLOBAL__N_18offset_tEEE10hipError_tPvRmT1_PNSt15iterator_traitsISY_E10value_typeET2_T3_PNSZ_IS14_E10value_typeET4_jRbjT5_S1A_jjP12ihipStream_tbEUljE_EEESV_SW_SX_S14_S18_S1A_T6_T7_T9_mT8_S1C_bDpT10_ENKUlT_T0_E_clISt17integral_constantIbLb0EES1O_IbLb1EEEEDaS1K_S1L_EUlS1K_E_NS1_11comp_targetILNS1_3genE10ELNS1_11target_archE1200ELNS1_3gpuE4ELNS1_3repE0EEENS1_30default_config_static_selectorELNS0_4arch9wavefront6targetE1EEEvSY_.uses_vcc, 0
	.set _ZN7rocprim17ROCPRIM_400000_NS6detail17trampoline_kernelINS0_13select_configILj256ELj13ELNS0_17block_load_methodE3ELS4_3ELS4_3ELNS0_20block_scan_algorithmE0ELj4294967295EEENS1_25partition_config_selectorILNS1_17partition_subalgoE3EjNS0_10empty_typeEbEEZZNS1_14partition_implILS8_3ELb0ES6_jNS0_17counting_iteratorIjlEEPS9_SE_NS0_5tupleIJPjSE_EEENSF_IJSE_SE_EEES9_SG_JZNS1_25segmented_radix_sort_implINS0_14default_configELb1EPKhPhPKlPlN2at6native12_GLOBAL__N_18offset_tEEE10hipError_tPvRmT1_PNSt15iterator_traitsISY_E10value_typeET2_T3_PNSZ_IS14_E10value_typeET4_jRbjT5_S1A_jjP12ihipStream_tbEUljE_EEESV_SW_SX_S14_S18_S1A_T6_T7_T9_mT8_S1C_bDpT10_ENKUlT_T0_E_clISt17integral_constantIbLb0EES1O_IbLb1EEEEDaS1K_S1L_EUlS1K_E_NS1_11comp_targetILNS1_3genE10ELNS1_11target_archE1200ELNS1_3gpuE4ELNS1_3repE0EEENS1_30default_config_static_selectorELNS0_4arch9wavefront6targetE1EEEvSY_.uses_flat_scratch, 0
	.set _ZN7rocprim17ROCPRIM_400000_NS6detail17trampoline_kernelINS0_13select_configILj256ELj13ELNS0_17block_load_methodE3ELS4_3ELS4_3ELNS0_20block_scan_algorithmE0ELj4294967295EEENS1_25partition_config_selectorILNS1_17partition_subalgoE3EjNS0_10empty_typeEbEEZZNS1_14partition_implILS8_3ELb0ES6_jNS0_17counting_iteratorIjlEEPS9_SE_NS0_5tupleIJPjSE_EEENSF_IJSE_SE_EEES9_SG_JZNS1_25segmented_radix_sort_implINS0_14default_configELb1EPKhPhPKlPlN2at6native12_GLOBAL__N_18offset_tEEE10hipError_tPvRmT1_PNSt15iterator_traitsISY_E10value_typeET2_T3_PNSZ_IS14_E10value_typeET4_jRbjT5_S1A_jjP12ihipStream_tbEUljE_EEESV_SW_SX_S14_S18_S1A_T6_T7_T9_mT8_S1C_bDpT10_ENKUlT_T0_E_clISt17integral_constantIbLb0EES1O_IbLb1EEEEDaS1K_S1L_EUlS1K_E_NS1_11comp_targetILNS1_3genE10ELNS1_11target_archE1200ELNS1_3gpuE4ELNS1_3repE0EEENS1_30default_config_static_selectorELNS0_4arch9wavefront6targetE1EEEvSY_.has_dyn_sized_stack, 0
	.set _ZN7rocprim17ROCPRIM_400000_NS6detail17trampoline_kernelINS0_13select_configILj256ELj13ELNS0_17block_load_methodE3ELS4_3ELS4_3ELNS0_20block_scan_algorithmE0ELj4294967295EEENS1_25partition_config_selectorILNS1_17partition_subalgoE3EjNS0_10empty_typeEbEEZZNS1_14partition_implILS8_3ELb0ES6_jNS0_17counting_iteratorIjlEEPS9_SE_NS0_5tupleIJPjSE_EEENSF_IJSE_SE_EEES9_SG_JZNS1_25segmented_radix_sort_implINS0_14default_configELb1EPKhPhPKlPlN2at6native12_GLOBAL__N_18offset_tEEE10hipError_tPvRmT1_PNSt15iterator_traitsISY_E10value_typeET2_T3_PNSZ_IS14_E10value_typeET4_jRbjT5_S1A_jjP12ihipStream_tbEUljE_EEESV_SW_SX_S14_S18_S1A_T6_T7_T9_mT8_S1C_bDpT10_ENKUlT_T0_E_clISt17integral_constantIbLb0EES1O_IbLb1EEEEDaS1K_S1L_EUlS1K_E_NS1_11comp_targetILNS1_3genE10ELNS1_11target_archE1200ELNS1_3gpuE4ELNS1_3repE0EEENS1_30default_config_static_selectorELNS0_4arch9wavefront6targetE1EEEvSY_.has_recursion, 0
	.set _ZN7rocprim17ROCPRIM_400000_NS6detail17trampoline_kernelINS0_13select_configILj256ELj13ELNS0_17block_load_methodE3ELS4_3ELS4_3ELNS0_20block_scan_algorithmE0ELj4294967295EEENS1_25partition_config_selectorILNS1_17partition_subalgoE3EjNS0_10empty_typeEbEEZZNS1_14partition_implILS8_3ELb0ES6_jNS0_17counting_iteratorIjlEEPS9_SE_NS0_5tupleIJPjSE_EEENSF_IJSE_SE_EEES9_SG_JZNS1_25segmented_radix_sort_implINS0_14default_configELb1EPKhPhPKlPlN2at6native12_GLOBAL__N_18offset_tEEE10hipError_tPvRmT1_PNSt15iterator_traitsISY_E10value_typeET2_T3_PNSZ_IS14_E10value_typeET4_jRbjT5_S1A_jjP12ihipStream_tbEUljE_EEESV_SW_SX_S14_S18_S1A_T6_T7_T9_mT8_S1C_bDpT10_ENKUlT_T0_E_clISt17integral_constantIbLb0EES1O_IbLb1EEEEDaS1K_S1L_EUlS1K_E_NS1_11comp_targetILNS1_3genE10ELNS1_11target_archE1200ELNS1_3gpuE4ELNS1_3repE0EEENS1_30default_config_static_selectorELNS0_4arch9wavefront6targetE1EEEvSY_.has_indirect_call, 0
	.section	.AMDGPU.csdata,"",@progbits
; Kernel info:
; codeLenInByte = 0
; TotalNumSgprs: 4
; NumVgprs: 0
; ScratchSize: 0
; MemoryBound: 0
; FloatMode: 240
; IeeeMode: 1
; LDSByteSize: 0 bytes/workgroup (compile time only)
; SGPRBlocks: 0
; VGPRBlocks: 0
; NumSGPRsForWavesPerEU: 4
; NumVGPRsForWavesPerEU: 1
; Occupancy: 10
; WaveLimiterHint : 0
; COMPUTE_PGM_RSRC2:SCRATCH_EN: 0
; COMPUTE_PGM_RSRC2:USER_SGPR: 6
; COMPUTE_PGM_RSRC2:TRAP_HANDLER: 0
; COMPUTE_PGM_RSRC2:TGID_X_EN: 1
; COMPUTE_PGM_RSRC2:TGID_Y_EN: 0
; COMPUTE_PGM_RSRC2:TGID_Z_EN: 0
; COMPUTE_PGM_RSRC2:TIDIG_COMP_CNT: 0
	.section	.text._ZN7rocprim17ROCPRIM_400000_NS6detail17trampoline_kernelINS0_13select_configILj256ELj13ELNS0_17block_load_methodE3ELS4_3ELS4_3ELNS0_20block_scan_algorithmE0ELj4294967295EEENS1_25partition_config_selectorILNS1_17partition_subalgoE3EjNS0_10empty_typeEbEEZZNS1_14partition_implILS8_3ELb0ES6_jNS0_17counting_iteratorIjlEEPS9_SE_NS0_5tupleIJPjSE_EEENSF_IJSE_SE_EEES9_SG_JZNS1_25segmented_radix_sort_implINS0_14default_configELb1EPKhPhPKlPlN2at6native12_GLOBAL__N_18offset_tEEE10hipError_tPvRmT1_PNSt15iterator_traitsISY_E10value_typeET2_T3_PNSZ_IS14_E10value_typeET4_jRbjT5_S1A_jjP12ihipStream_tbEUljE_EEESV_SW_SX_S14_S18_S1A_T6_T7_T9_mT8_S1C_bDpT10_ENKUlT_T0_E_clISt17integral_constantIbLb0EES1O_IbLb1EEEEDaS1K_S1L_EUlS1K_E_NS1_11comp_targetILNS1_3genE9ELNS1_11target_archE1100ELNS1_3gpuE3ELNS1_3repE0EEENS1_30default_config_static_selectorELNS0_4arch9wavefront6targetE1EEEvSY_,"axG",@progbits,_ZN7rocprim17ROCPRIM_400000_NS6detail17trampoline_kernelINS0_13select_configILj256ELj13ELNS0_17block_load_methodE3ELS4_3ELS4_3ELNS0_20block_scan_algorithmE0ELj4294967295EEENS1_25partition_config_selectorILNS1_17partition_subalgoE3EjNS0_10empty_typeEbEEZZNS1_14partition_implILS8_3ELb0ES6_jNS0_17counting_iteratorIjlEEPS9_SE_NS0_5tupleIJPjSE_EEENSF_IJSE_SE_EEES9_SG_JZNS1_25segmented_radix_sort_implINS0_14default_configELb1EPKhPhPKlPlN2at6native12_GLOBAL__N_18offset_tEEE10hipError_tPvRmT1_PNSt15iterator_traitsISY_E10value_typeET2_T3_PNSZ_IS14_E10value_typeET4_jRbjT5_S1A_jjP12ihipStream_tbEUljE_EEESV_SW_SX_S14_S18_S1A_T6_T7_T9_mT8_S1C_bDpT10_ENKUlT_T0_E_clISt17integral_constantIbLb0EES1O_IbLb1EEEEDaS1K_S1L_EUlS1K_E_NS1_11comp_targetILNS1_3genE9ELNS1_11target_archE1100ELNS1_3gpuE3ELNS1_3repE0EEENS1_30default_config_static_selectorELNS0_4arch9wavefront6targetE1EEEvSY_,comdat
	.globl	_ZN7rocprim17ROCPRIM_400000_NS6detail17trampoline_kernelINS0_13select_configILj256ELj13ELNS0_17block_load_methodE3ELS4_3ELS4_3ELNS0_20block_scan_algorithmE0ELj4294967295EEENS1_25partition_config_selectorILNS1_17partition_subalgoE3EjNS0_10empty_typeEbEEZZNS1_14partition_implILS8_3ELb0ES6_jNS0_17counting_iteratorIjlEEPS9_SE_NS0_5tupleIJPjSE_EEENSF_IJSE_SE_EEES9_SG_JZNS1_25segmented_radix_sort_implINS0_14default_configELb1EPKhPhPKlPlN2at6native12_GLOBAL__N_18offset_tEEE10hipError_tPvRmT1_PNSt15iterator_traitsISY_E10value_typeET2_T3_PNSZ_IS14_E10value_typeET4_jRbjT5_S1A_jjP12ihipStream_tbEUljE_EEESV_SW_SX_S14_S18_S1A_T6_T7_T9_mT8_S1C_bDpT10_ENKUlT_T0_E_clISt17integral_constantIbLb0EES1O_IbLb1EEEEDaS1K_S1L_EUlS1K_E_NS1_11comp_targetILNS1_3genE9ELNS1_11target_archE1100ELNS1_3gpuE3ELNS1_3repE0EEENS1_30default_config_static_selectorELNS0_4arch9wavefront6targetE1EEEvSY_ ; -- Begin function _ZN7rocprim17ROCPRIM_400000_NS6detail17trampoline_kernelINS0_13select_configILj256ELj13ELNS0_17block_load_methodE3ELS4_3ELS4_3ELNS0_20block_scan_algorithmE0ELj4294967295EEENS1_25partition_config_selectorILNS1_17partition_subalgoE3EjNS0_10empty_typeEbEEZZNS1_14partition_implILS8_3ELb0ES6_jNS0_17counting_iteratorIjlEEPS9_SE_NS0_5tupleIJPjSE_EEENSF_IJSE_SE_EEES9_SG_JZNS1_25segmented_radix_sort_implINS0_14default_configELb1EPKhPhPKlPlN2at6native12_GLOBAL__N_18offset_tEEE10hipError_tPvRmT1_PNSt15iterator_traitsISY_E10value_typeET2_T3_PNSZ_IS14_E10value_typeET4_jRbjT5_S1A_jjP12ihipStream_tbEUljE_EEESV_SW_SX_S14_S18_S1A_T6_T7_T9_mT8_S1C_bDpT10_ENKUlT_T0_E_clISt17integral_constantIbLb0EES1O_IbLb1EEEEDaS1K_S1L_EUlS1K_E_NS1_11comp_targetILNS1_3genE9ELNS1_11target_archE1100ELNS1_3gpuE3ELNS1_3repE0EEENS1_30default_config_static_selectorELNS0_4arch9wavefront6targetE1EEEvSY_
	.p2align	8
	.type	_ZN7rocprim17ROCPRIM_400000_NS6detail17trampoline_kernelINS0_13select_configILj256ELj13ELNS0_17block_load_methodE3ELS4_3ELS4_3ELNS0_20block_scan_algorithmE0ELj4294967295EEENS1_25partition_config_selectorILNS1_17partition_subalgoE3EjNS0_10empty_typeEbEEZZNS1_14partition_implILS8_3ELb0ES6_jNS0_17counting_iteratorIjlEEPS9_SE_NS0_5tupleIJPjSE_EEENSF_IJSE_SE_EEES9_SG_JZNS1_25segmented_radix_sort_implINS0_14default_configELb1EPKhPhPKlPlN2at6native12_GLOBAL__N_18offset_tEEE10hipError_tPvRmT1_PNSt15iterator_traitsISY_E10value_typeET2_T3_PNSZ_IS14_E10value_typeET4_jRbjT5_S1A_jjP12ihipStream_tbEUljE_EEESV_SW_SX_S14_S18_S1A_T6_T7_T9_mT8_S1C_bDpT10_ENKUlT_T0_E_clISt17integral_constantIbLb0EES1O_IbLb1EEEEDaS1K_S1L_EUlS1K_E_NS1_11comp_targetILNS1_3genE9ELNS1_11target_archE1100ELNS1_3gpuE3ELNS1_3repE0EEENS1_30default_config_static_selectorELNS0_4arch9wavefront6targetE1EEEvSY_,@function
_ZN7rocprim17ROCPRIM_400000_NS6detail17trampoline_kernelINS0_13select_configILj256ELj13ELNS0_17block_load_methodE3ELS4_3ELS4_3ELNS0_20block_scan_algorithmE0ELj4294967295EEENS1_25partition_config_selectorILNS1_17partition_subalgoE3EjNS0_10empty_typeEbEEZZNS1_14partition_implILS8_3ELb0ES6_jNS0_17counting_iteratorIjlEEPS9_SE_NS0_5tupleIJPjSE_EEENSF_IJSE_SE_EEES9_SG_JZNS1_25segmented_radix_sort_implINS0_14default_configELb1EPKhPhPKlPlN2at6native12_GLOBAL__N_18offset_tEEE10hipError_tPvRmT1_PNSt15iterator_traitsISY_E10value_typeET2_T3_PNSZ_IS14_E10value_typeET4_jRbjT5_S1A_jjP12ihipStream_tbEUljE_EEESV_SW_SX_S14_S18_S1A_T6_T7_T9_mT8_S1C_bDpT10_ENKUlT_T0_E_clISt17integral_constantIbLb0EES1O_IbLb1EEEEDaS1K_S1L_EUlS1K_E_NS1_11comp_targetILNS1_3genE9ELNS1_11target_archE1100ELNS1_3gpuE3ELNS1_3repE0EEENS1_30default_config_static_selectorELNS0_4arch9wavefront6targetE1EEEvSY_: ; @_ZN7rocprim17ROCPRIM_400000_NS6detail17trampoline_kernelINS0_13select_configILj256ELj13ELNS0_17block_load_methodE3ELS4_3ELS4_3ELNS0_20block_scan_algorithmE0ELj4294967295EEENS1_25partition_config_selectorILNS1_17partition_subalgoE3EjNS0_10empty_typeEbEEZZNS1_14partition_implILS8_3ELb0ES6_jNS0_17counting_iteratorIjlEEPS9_SE_NS0_5tupleIJPjSE_EEENSF_IJSE_SE_EEES9_SG_JZNS1_25segmented_radix_sort_implINS0_14default_configELb1EPKhPhPKlPlN2at6native12_GLOBAL__N_18offset_tEEE10hipError_tPvRmT1_PNSt15iterator_traitsISY_E10value_typeET2_T3_PNSZ_IS14_E10value_typeET4_jRbjT5_S1A_jjP12ihipStream_tbEUljE_EEESV_SW_SX_S14_S18_S1A_T6_T7_T9_mT8_S1C_bDpT10_ENKUlT_T0_E_clISt17integral_constantIbLb0EES1O_IbLb1EEEEDaS1K_S1L_EUlS1K_E_NS1_11comp_targetILNS1_3genE9ELNS1_11target_archE1100ELNS1_3gpuE3ELNS1_3repE0EEENS1_30default_config_static_selectorELNS0_4arch9wavefront6targetE1EEEvSY_
; %bb.0:
	.section	.rodata,"a",@progbits
	.p2align	6, 0x0
	.amdhsa_kernel _ZN7rocprim17ROCPRIM_400000_NS6detail17trampoline_kernelINS0_13select_configILj256ELj13ELNS0_17block_load_methodE3ELS4_3ELS4_3ELNS0_20block_scan_algorithmE0ELj4294967295EEENS1_25partition_config_selectorILNS1_17partition_subalgoE3EjNS0_10empty_typeEbEEZZNS1_14partition_implILS8_3ELb0ES6_jNS0_17counting_iteratorIjlEEPS9_SE_NS0_5tupleIJPjSE_EEENSF_IJSE_SE_EEES9_SG_JZNS1_25segmented_radix_sort_implINS0_14default_configELb1EPKhPhPKlPlN2at6native12_GLOBAL__N_18offset_tEEE10hipError_tPvRmT1_PNSt15iterator_traitsISY_E10value_typeET2_T3_PNSZ_IS14_E10value_typeET4_jRbjT5_S1A_jjP12ihipStream_tbEUljE_EEESV_SW_SX_S14_S18_S1A_T6_T7_T9_mT8_S1C_bDpT10_ENKUlT_T0_E_clISt17integral_constantIbLb0EES1O_IbLb1EEEEDaS1K_S1L_EUlS1K_E_NS1_11comp_targetILNS1_3genE9ELNS1_11target_archE1100ELNS1_3gpuE3ELNS1_3repE0EEENS1_30default_config_static_selectorELNS0_4arch9wavefront6targetE1EEEvSY_
		.amdhsa_group_segment_fixed_size 0
		.amdhsa_private_segment_fixed_size 0
		.amdhsa_kernarg_size 152
		.amdhsa_user_sgpr_count 6
		.amdhsa_user_sgpr_private_segment_buffer 1
		.amdhsa_user_sgpr_dispatch_ptr 0
		.amdhsa_user_sgpr_queue_ptr 0
		.amdhsa_user_sgpr_kernarg_segment_ptr 1
		.amdhsa_user_sgpr_dispatch_id 0
		.amdhsa_user_sgpr_flat_scratch_init 0
		.amdhsa_user_sgpr_private_segment_size 0
		.amdhsa_uses_dynamic_stack 0
		.amdhsa_system_sgpr_private_segment_wavefront_offset 0
		.amdhsa_system_sgpr_workgroup_id_x 1
		.amdhsa_system_sgpr_workgroup_id_y 0
		.amdhsa_system_sgpr_workgroup_id_z 0
		.amdhsa_system_sgpr_workgroup_info 0
		.amdhsa_system_vgpr_workitem_id 0
		.amdhsa_next_free_vgpr 1
		.amdhsa_next_free_sgpr 0
		.amdhsa_reserve_vcc 0
		.amdhsa_reserve_flat_scratch 0
		.amdhsa_float_round_mode_32 0
		.amdhsa_float_round_mode_16_64 0
		.amdhsa_float_denorm_mode_32 3
		.amdhsa_float_denorm_mode_16_64 3
		.amdhsa_dx10_clamp 1
		.amdhsa_ieee_mode 1
		.amdhsa_fp16_overflow 0
		.amdhsa_exception_fp_ieee_invalid_op 0
		.amdhsa_exception_fp_denorm_src 0
		.amdhsa_exception_fp_ieee_div_zero 0
		.amdhsa_exception_fp_ieee_overflow 0
		.amdhsa_exception_fp_ieee_underflow 0
		.amdhsa_exception_fp_ieee_inexact 0
		.amdhsa_exception_int_div_zero 0
	.end_amdhsa_kernel
	.section	.text._ZN7rocprim17ROCPRIM_400000_NS6detail17trampoline_kernelINS0_13select_configILj256ELj13ELNS0_17block_load_methodE3ELS4_3ELS4_3ELNS0_20block_scan_algorithmE0ELj4294967295EEENS1_25partition_config_selectorILNS1_17partition_subalgoE3EjNS0_10empty_typeEbEEZZNS1_14partition_implILS8_3ELb0ES6_jNS0_17counting_iteratorIjlEEPS9_SE_NS0_5tupleIJPjSE_EEENSF_IJSE_SE_EEES9_SG_JZNS1_25segmented_radix_sort_implINS0_14default_configELb1EPKhPhPKlPlN2at6native12_GLOBAL__N_18offset_tEEE10hipError_tPvRmT1_PNSt15iterator_traitsISY_E10value_typeET2_T3_PNSZ_IS14_E10value_typeET4_jRbjT5_S1A_jjP12ihipStream_tbEUljE_EEESV_SW_SX_S14_S18_S1A_T6_T7_T9_mT8_S1C_bDpT10_ENKUlT_T0_E_clISt17integral_constantIbLb0EES1O_IbLb1EEEEDaS1K_S1L_EUlS1K_E_NS1_11comp_targetILNS1_3genE9ELNS1_11target_archE1100ELNS1_3gpuE3ELNS1_3repE0EEENS1_30default_config_static_selectorELNS0_4arch9wavefront6targetE1EEEvSY_,"axG",@progbits,_ZN7rocprim17ROCPRIM_400000_NS6detail17trampoline_kernelINS0_13select_configILj256ELj13ELNS0_17block_load_methodE3ELS4_3ELS4_3ELNS0_20block_scan_algorithmE0ELj4294967295EEENS1_25partition_config_selectorILNS1_17partition_subalgoE3EjNS0_10empty_typeEbEEZZNS1_14partition_implILS8_3ELb0ES6_jNS0_17counting_iteratorIjlEEPS9_SE_NS0_5tupleIJPjSE_EEENSF_IJSE_SE_EEES9_SG_JZNS1_25segmented_radix_sort_implINS0_14default_configELb1EPKhPhPKlPlN2at6native12_GLOBAL__N_18offset_tEEE10hipError_tPvRmT1_PNSt15iterator_traitsISY_E10value_typeET2_T3_PNSZ_IS14_E10value_typeET4_jRbjT5_S1A_jjP12ihipStream_tbEUljE_EEESV_SW_SX_S14_S18_S1A_T6_T7_T9_mT8_S1C_bDpT10_ENKUlT_T0_E_clISt17integral_constantIbLb0EES1O_IbLb1EEEEDaS1K_S1L_EUlS1K_E_NS1_11comp_targetILNS1_3genE9ELNS1_11target_archE1100ELNS1_3gpuE3ELNS1_3repE0EEENS1_30default_config_static_selectorELNS0_4arch9wavefront6targetE1EEEvSY_,comdat
.Lfunc_end81:
	.size	_ZN7rocprim17ROCPRIM_400000_NS6detail17trampoline_kernelINS0_13select_configILj256ELj13ELNS0_17block_load_methodE3ELS4_3ELS4_3ELNS0_20block_scan_algorithmE0ELj4294967295EEENS1_25partition_config_selectorILNS1_17partition_subalgoE3EjNS0_10empty_typeEbEEZZNS1_14partition_implILS8_3ELb0ES6_jNS0_17counting_iteratorIjlEEPS9_SE_NS0_5tupleIJPjSE_EEENSF_IJSE_SE_EEES9_SG_JZNS1_25segmented_radix_sort_implINS0_14default_configELb1EPKhPhPKlPlN2at6native12_GLOBAL__N_18offset_tEEE10hipError_tPvRmT1_PNSt15iterator_traitsISY_E10value_typeET2_T3_PNSZ_IS14_E10value_typeET4_jRbjT5_S1A_jjP12ihipStream_tbEUljE_EEESV_SW_SX_S14_S18_S1A_T6_T7_T9_mT8_S1C_bDpT10_ENKUlT_T0_E_clISt17integral_constantIbLb0EES1O_IbLb1EEEEDaS1K_S1L_EUlS1K_E_NS1_11comp_targetILNS1_3genE9ELNS1_11target_archE1100ELNS1_3gpuE3ELNS1_3repE0EEENS1_30default_config_static_selectorELNS0_4arch9wavefront6targetE1EEEvSY_, .Lfunc_end81-_ZN7rocprim17ROCPRIM_400000_NS6detail17trampoline_kernelINS0_13select_configILj256ELj13ELNS0_17block_load_methodE3ELS4_3ELS4_3ELNS0_20block_scan_algorithmE0ELj4294967295EEENS1_25partition_config_selectorILNS1_17partition_subalgoE3EjNS0_10empty_typeEbEEZZNS1_14partition_implILS8_3ELb0ES6_jNS0_17counting_iteratorIjlEEPS9_SE_NS0_5tupleIJPjSE_EEENSF_IJSE_SE_EEES9_SG_JZNS1_25segmented_radix_sort_implINS0_14default_configELb1EPKhPhPKlPlN2at6native12_GLOBAL__N_18offset_tEEE10hipError_tPvRmT1_PNSt15iterator_traitsISY_E10value_typeET2_T3_PNSZ_IS14_E10value_typeET4_jRbjT5_S1A_jjP12ihipStream_tbEUljE_EEESV_SW_SX_S14_S18_S1A_T6_T7_T9_mT8_S1C_bDpT10_ENKUlT_T0_E_clISt17integral_constantIbLb0EES1O_IbLb1EEEEDaS1K_S1L_EUlS1K_E_NS1_11comp_targetILNS1_3genE9ELNS1_11target_archE1100ELNS1_3gpuE3ELNS1_3repE0EEENS1_30default_config_static_selectorELNS0_4arch9wavefront6targetE1EEEvSY_
                                        ; -- End function
	.set _ZN7rocprim17ROCPRIM_400000_NS6detail17trampoline_kernelINS0_13select_configILj256ELj13ELNS0_17block_load_methodE3ELS4_3ELS4_3ELNS0_20block_scan_algorithmE0ELj4294967295EEENS1_25partition_config_selectorILNS1_17partition_subalgoE3EjNS0_10empty_typeEbEEZZNS1_14partition_implILS8_3ELb0ES6_jNS0_17counting_iteratorIjlEEPS9_SE_NS0_5tupleIJPjSE_EEENSF_IJSE_SE_EEES9_SG_JZNS1_25segmented_radix_sort_implINS0_14default_configELb1EPKhPhPKlPlN2at6native12_GLOBAL__N_18offset_tEEE10hipError_tPvRmT1_PNSt15iterator_traitsISY_E10value_typeET2_T3_PNSZ_IS14_E10value_typeET4_jRbjT5_S1A_jjP12ihipStream_tbEUljE_EEESV_SW_SX_S14_S18_S1A_T6_T7_T9_mT8_S1C_bDpT10_ENKUlT_T0_E_clISt17integral_constantIbLb0EES1O_IbLb1EEEEDaS1K_S1L_EUlS1K_E_NS1_11comp_targetILNS1_3genE9ELNS1_11target_archE1100ELNS1_3gpuE3ELNS1_3repE0EEENS1_30default_config_static_selectorELNS0_4arch9wavefront6targetE1EEEvSY_.num_vgpr, 0
	.set _ZN7rocprim17ROCPRIM_400000_NS6detail17trampoline_kernelINS0_13select_configILj256ELj13ELNS0_17block_load_methodE3ELS4_3ELS4_3ELNS0_20block_scan_algorithmE0ELj4294967295EEENS1_25partition_config_selectorILNS1_17partition_subalgoE3EjNS0_10empty_typeEbEEZZNS1_14partition_implILS8_3ELb0ES6_jNS0_17counting_iteratorIjlEEPS9_SE_NS0_5tupleIJPjSE_EEENSF_IJSE_SE_EEES9_SG_JZNS1_25segmented_radix_sort_implINS0_14default_configELb1EPKhPhPKlPlN2at6native12_GLOBAL__N_18offset_tEEE10hipError_tPvRmT1_PNSt15iterator_traitsISY_E10value_typeET2_T3_PNSZ_IS14_E10value_typeET4_jRbjT5_S1A_jjP12ihipStream_tbEUljE_EEESV_SW_SX_S14_S18_S1A_T6_T7_T9_mT8_S1C_bDpT10_ENKUlT_T0_E_clISt17integral_constantIbLb0EES1O_IbLb1EEEEDaS1K_S1L_EUlS1K_E_NS1_11comp_targetILNS1_3genE9ELNS1_11target_archE1100ELNS1_3gpuE3ELNS1_3repE0EEENS1_30default_config_static_selectorELNS0_4arch9wavefront6targetE1EEEvSY_.num_agpr, 0
	.set _ZN7rocprim17ROCPRIM_400000_NS6detail17trampoline_kernelINS0_13select_configILj256ELj13ELNS0_17block_load_methodE3ELS4_3ELS4_3ELNS0_20block_scan_algorithmE0ELj4294967295EEENS1_25partition_config_selectorILNS1_17partition_subalgoE3EjNS0_10empty_typeEbEEZZNS1_14partition_implILS8_3ELb0ES6_jNS0_17counting_iteratorIjlEEPS9_SE_NS0_5tupleIJPjSE_EEENSF_IJSE_SE_EEES9_SG_JZNS1_25segmented_radix_sort_implINS0_14default_configELb1EPKhPhPKlPlN2at6native12_GLOBAL__N_18offset_tEEE10hipError_tPvRmT1_PNSt15iterator_traitsISY_E10value_typeET2_T3_PNSZ_IS14_E10value_typeET4_jRbjT5_S1A_jjP12ihipStream_tbEUljE_EEESV_SW_SX_S14_S18_S1A_T6_T7_T9_mT8_S1C_bDpT10_ENKUlT_T0_E_clISt17integral_constantIbLb0EES1O_IbLb1EEEEDaS1K_S1L_EUlS1K_E_NS1_11comp_targetILNS1_3genE9ELNS1_11target_archE1100ELNS1_3gpuE3ELNS1_3repE0EEENS1_30default_config_static_selectorELNS0_4arch9wavefront6targetE1EEEvSY_.numbered_sgpr, 0
	.set _ZN7rocprim17ROCPRIM_400000_NS6detail17trampoline_kernelINS0_13select_configILj256ELj13ELNS0_17block_load_methodE3ELS4_3ELS4_3ELNS0_20block_scan_algorithmE0ELj4294967295EEENS1_25partition_config_selectorILNS1_17partition_subalgoE3EjNS0_10empty_typeEbEEZZNS1_14partition_implILS8_3ELb0ES6_jNS0_17counting_iteratorIjlEEPS9_SE_NS0_5tupleIJPjSE_EEENSF_IJSE_SE_EEES9_SG_JZNS1_25segmented_radix_sort_implINS0_14default_configELb1EPKhPhPKlPlN2at6native12_GLOBAL__N_18offset_tEEE10hipError_tPvRmT1_PNSt15iterator_traitsISY_E10value_typeET2_T3_PNSZ_IS14_E10value_typeET4_jRbjT5_S1A_jjP12ihipStream_tbEUljE_EEESV_SW_SX_S14_S18_S1A_T6_T7_T9_mT8_S1C_bDpT10_ENKUlT_T0_E_clISt17integral_constantIbLb0EES1O_IbLb1EEEEDaS1K_S1L_EUlS1K_E_NS1_11comp_targetILNS1_3genE9ELNS1_11target_archE1100ELNS1_3gpuE3ELNS1_3repE0EEENS1_30default_config_static_selectorELNS0_4arch9wavefront6targetE1EEEvSY_.num_named_barrier, 0
	.set _ZN7rocprim17ROCPRIM_400000_NS6detail17trampoline_kernelINS0_13select_configILj256ELj13ELNS0_17block_load_methodE3ELS4_3ELS4_3ELNS0_20block_scan_algorithmE0ELj4294967295EEENS1_25partition_config_selectorILNS1_17partition_subalgoE3EjNS0_10empty_typeEbEEZZNS1_14partition_implILS8_3ELb0ES6_jNS0_17counting_iteratorIjlEEPS9_SE_NS0_5tupleIJPjSE_EEENSF_IJSE_SE_EEES9_SG_JZNS1_25segmented_radix_sort_implINS0_14default_configELb1EPKhPhPKlPlN2at6native12_GLOBAL__N_18offset_tEEE10hipError_tPvRmT1_PNSt15iterator_traitsISY_E10value_typeET2_T3_PNSZ_IS14_E10value_typeET4_jRbjT5_S1A_jjP12ihipStream_tbEUljE_EEESV_SW_SX_S14_S18_S1A_T6_T7_T9_mT8_S1C_bDpT10_ENKUlT_T0_E_clISt17integral_constantIbLb0EES1O_IbLb1EEEEDaS1K_S1L_EUlS1K_E_NS1_11comp_targetILNS1_3genE9ELNS1_11target_archE1100ELNS1_3gpuE3ELNS1_3repE0EEENS1_30default_config_static_selectorELNS0_4arch9wavefront6targetE1EEEvSY_.private_seg_size, 0
	.set _ZN7rocprim17ROCPRIM_400000_NS6detail17trampoline_kernelINS0_13select_configILj256ELj13ELNS0_17block_load_methodE3ELS4_3ELS4_3ELNS0_20block_scan_algorithmE0ELj4294967295EEENS1_25partition_config_selectorILNS1_17partition_subalgoE3EjNS0_10empty_typeEbEEZZNS1_14partition_implILS8_3ELb0ES6_jNS0_17counting_iteratorIjlEEPS9_SE_NS0_5tupleIJPjSE_EEENSF_IJSE_SE_EEES9_SG_JZNS1_25segmented_radix_sort_implINS0_14default_configELb1EPKhPhPKlPlN2at6native12_GLOBAL__N_18offset_tEEE10hipError_tPvRmT1_PNSt15iterator_traitsISY_E10value_typeET2_T3_PNSZ_IS14_E10value_typeET4_jRbjT5_S1A_jjP12ihipStream_tbEUljE_EEESV_SW_SX_S14_S18_S1A_T6_T7_T9_mT8_S1C_bDpT10_ENKUlT_T0_E_clISt17integral_constantIbLb0EES1O_IbLb1EEEEDaS1K_S1L_EUlS1K_E_NS1_11comp_targetILNS1_3genE9ELNS1_11target_archE1100ELNS1_3gpuE3ELNS1_3repE0EEENS1_30default_config_static_selectorELNS0_4arch9wavefront6targetE1EEEvSY_.uses_vcc, 0
	.set _ZN7rocprim17ROCPRIM_400000_NS6detail17trampoline_kernelINS0_13select_configILj256ELj13ELNS0_17block_load_methodE3ELS4_3ELS4_3ELNS0_20block_scan_algorithmE0ELj4294967295EEENS1_25partition_config_selectorILNS1_17partition_subalgoE3EjNS0_10empty_typeEbEEZZNS1_14partition_implILS8_3ELb0ES6_jNS0_17counting_iteratorIjlEEPS9_SE_NS0_5tupleIJPjSE_EEENSF_IJSE_SE_EEES9_SG_JZNS1_25segmented_radix_sort_implINS0_14default_configELb1EPKhPhPKlPlN2at6native12_GLOBAL__N_18offset_tEEE10hipError_tPvRmT1_PNSt15iterator_traitsISY_E10value_typeET2_T3_PNSZ_IS14_E10value_typeET4_jRbjT5_S1A_jjP12ihipStream_tbEUljE_EEESV_SW_SX_S14_S18_S1A_T6_T7_T9_mT8_S1C_bDpT10_ENKUlT_T0_E_clISt17integral_constantIbLb0EES1O_IbLb1EEEEDaS1K_S1L_EUlS1K_E_NS1_11comp_targetILNS1_3genE9ELNS1_11target_archE1100ELNS1_3gpuE3ELNS1_3repE0EEENS1_30default_config_static_selectorELNS0_4arch9wavefront6targetE1EEEvSY_.uses_flat_scratch, 0
	.set _ZN7rocprim17ROCPRIM_400000_NS6detail17trampoline_kernelINS0_13select_configILj256ELj13ELNS0_17block_load_methodE3ELS4_3ELS4_3ELNS0_20block_scan_algorithmE0ELj4294967295EEENS1_25partition_config_selectorILNS1_17partition_subalgoE3EjNS0_10empty_typeEbEEZZNS1_14partition_implILS8_3ELb0ES6_jNS0_17counting_iteratorIjlEEPS9_SE_NS0_5tupleIJPjSE_EEENSF_IJSE_SE_EEES9_SG_JZNS1_25segmented_radix_sort_implINS0_14default_configELb1EPKhPhPKlPlN2at6native12_GLOBAL__N_18offset_tEEE10hipError_tPvRmT1_PNSt15iterator_traitsISY_E10value_typeET2_T3_PNSZ_IS14_E10value_typeET4_jRbjT5_S1A_jjP12ihipStream_tbEUljE_EEESV_SW_SX_S14_S18_S1A_T6_T7_T9_mT8_S1C_bDpT10_ENKUlT_T0_E_clISt17integral_constantIbLb0EES1O_IbLb1EEEEDaS1K_S1L_EUlS1K_E_NS1_11comp_targetILNS1_3genE9ELNS1_11target_archE1100ELNS1_3gpuE3ELNS1_3repE0EEENS1_30default_config_static_selectorELNS0_4arch9wavefront6targetE1EEEvSY_.has_dyn_sized_stack, 0
	.set _ZN7rocprim17ROCPRIM_400000_NS6detail17trampoline_kernelINS0_13select_configILj256ELj13ELNS0_17block_load_methodE3ELS4_3ELS4_3ELNS0_20block_scan_algorithmE0ELj4294967295EEENS1_25partition_config_selectorILNS1_17partition_subalgoE3EjNS0_10empty_typeEbEEZZNS1_14partition_implILS8_3ELb0ES6_jNS0_17counting_iteratorIjlEEPS9_SE_NS0_5tupleIJPjSE_EEENSF_IJSE_SE_EEES9_SG_JZNS1_25segmented_radix_sort_implINS0_14default_configELb1EPKhPhPKlPlN2at6native12_GLOBAL__N_18offset_tEEE10hipError_tPvRmT1_PNSt15iterator_traitsISY_E10value_typeET2_T3_PNSZ_IS14_E10value_typeET4_jRbjT5_S1A_jjP12ihipStream_tbEUljE_EEESV_SW_SX_S14_S18_S1A_T6_T7_T9_mT8_S1C_bDpT10_ENKUlT_T0_E_clISt17integral_constantIbLb0EES1O_IbLb1EEEEDaS1K_S1L_EUlS1K_E_NS1_11comp_targetILNS1_3genE9ELNS1_11target_archE1100ELNS1_3gpuE3ELNS1_3repE0EEENS1_30default_config_static_selectorELNS0_4arch9wavefront6targetE1EEEvSY_.has_recursion, 0
	.set _ZN7rocprim17ROCPRIM_400000_NS6detail17trampoline_kernelINS0_13select_configILj256ELj13ELNS0_17block_load_methodE3ELS4_3ELS4_3ELNS0_20block_scan_algorithmE0ELj4294967295EEENS1_25partition_config_selectorILNS1_17partition_subalgoE3EjNS0_10empty_typeEbEEZZNS1_14partition_implILS8_3ELb0ES6_jNS0_17counting_iteratorIjlEEPS9_SE_NS0_5tupleIJPjSE_EEENSF_IJSE_SE_EEES9_SG_JZNS1_25segmented_radix_sort_implINS0_14default_configELb1EPKhPhPKlPlN2at6native12_GLOBAL__N_18offset_tEEE10hipError_tPvRmT1_PNSt15iterator_traitsISY_E10value_typeET2_T3_PNSZ_IS14_E10value_typeET4_jRbjT5_S1A_jjP12ihipStream_tbEUljE_EEESV_SW_SX_S14_S18_S1A_T6_T7_T9_mT8_S1C_bDpT10_ENKUlT_T0_E_clISt17integral_constantIbLb0EES1O_IbLb1EEEEDaS1K_S1L_EUlS1K_E_NS1_11comp_targetILNS1_3genE9ELNS1_11target_archE1100ELNS1_3gpuE3ELNS1_3repE0EEENS1_30default_config_static_selectorELNS0_4arch9wavefront6targetE1EEEvSY_.has_indirect_call, 0
	.section	.AMDGPU.csdata,"",@progbits
; Kernel info:
; codeLenInByte = 0
; TotalNumSgprs: 4
; NumVgprs: 0
; ScratchSize: 0
; MemoryBound: 0
; FloatMode: 240
; IeeeMode: 1
; LDSByteSize: 0 bytes/workgroup (compile time only)
; SGPRBlocks: 0
; VGPRBlocks: 0
; NumSGPRsForWavesPerEU: 4
; NumVGPRsForWavesPerEU: 1
; Occupancy: 10
; WaveLimiterHint : 0
; COMPUTE_PGM_RSRC2:SCRATCH_EN: 0
; COMPUTE_PGM_RSRC2:USER_SGPR: 6
; COMPUTE_PGM_RSRC2:TRAP_HANDLER: 0
; COMPUTE_PGM_RSRC2:TGID_X_EN: 1
; COMPUTE_PGM_RSRC2:TGID_Y_EN: 0
; COMPUTE_PGM_RSRC2:TGID_Z_EN: 0
; COMPUTE_PGM_RSRC2:TIDIG_COMP_CNT: 0
	.section	.text._ZN7rocprim17ROCPRIM_400000_NS6detail17trampoline_kernelINS0_13select_configILj256ELj13ELNS0_17block_load_methodE3ELS4_3ELS4_3ELNS0_20block_scan_algorithmE0ELj4294967295EEENS1_25partition_config_selectorILNS1_17partition_subalgoE3EjNS0_10empty_typeEbEEZZNS1_14partition_implILS8_3ELb0ES6_jNS0_17counting_iteratorIjlEEPS9_SE_NS0_5tupleIJPjSE_EEENSF_IJSE_SE_EEES9_SG_JZNS1_25segmented_radix_sort_implINS0_14default_configELb1EPKhPhPKlPlN2at6native12_GLOBAL__N_18offset_tEEE10hipError_tPvRmT1_PNSt15iterator_traitsISY_E10value_typeET2_T3_PNSZ_IS14_E10value_typeET4_jRbjT5_S1A_jjP12ihipStream_tbEUljE_EEESV_SW_SX_S14_S18_S1A_T6_T7_T9_mT8_S1C_bDpT10_ENKUlT_T0_E_clISt17integral_constantIbLb0EES1O_IbLb1EEEEDaS1K_S1L_EUlS1K_E_NS1_11comp_targetILNS1_3genE8ELNS1_11target_archE1030ELNS1_3gpuE2ELNS1_3repE0EEENS1_30default_config_static_selectorELNS0_4arch9wavefront6targetE1EEEvSY_,"axG",@progbits,_ZN7rocprim17ROCPRIM_400000_NS6detail17trampoline_kernelINS0_13select_configILj256ELj13ELNS0_17block_load_methodE3ELS4_3ELS4_3ELNS0_20block_scan_algorithmE0ELj4294967295EEENS1_25partition_config_selectorILNS1_17partition_subalgoE3EjNS0_10empty_typeEbEEZZNS1_14partition_implILS8_3ELb0ES6_jNS0_17counting_iteratorIjlEEPS9_SE_NS0_5tupleIJPjSE_EEENSF_IJSE_SE_EEES9_SG_JZNS1_25segmented_radix_sort_implINS0_14default_configELb1EPKhPhPKlPlN2at6native12_GLOBAL__N_18offset_tEEE10hipError_tPvRmT1_PNSt15iterator_traitsISY_E10value_typeET2_T3_PNSZ_IS14_E10value_typeET4_jRbjT5_S1A_jjP12ihipStream_tbEUljE_EEESV_SW_SX_S14_S18_S1A_T6_T7_T9_mT8_S1C_bDpT10_ENKUlT_T0_E_clISt17integral_constantIbLb0EES1O_IbLb1EEEEDaS1K_S1L_EUlS1K_E_NS1_11comp_targetILNS1_3genE8ELNS1_11target_archE1030ELNS1_3gpuE2ELNS1_3repE0EEENS1_30default_config_static_selectorELNS0_4arch9wavefront6targetE1EEEvSY_,comdat
	.globl	_ZN7rocprim17ROCPRIM_400000_NS6detail17trampoline_kernelINS0_13select_configILj256ELj13ELNS0_17block_load_methodE3ELS4_3ELS4_3ELNS0_20block_scan_algorithmE0ELj4294967295EEENS1_25partition_config_selectorILNS1_17partition_subalgoE3EjNS0_10empty_typeEbEEZZNS1_14partition_implILS8_3ELb0ES6_jNS0_17counting_iteratorIjlEEPS9_SE_NS0_5tupleIJPjSE_EEENSF_IJSE_SE_EEES9_SG_JZNS1_25segmented_radix_sort_implINS0_14default_configELb1EPKhPhPKlPlN2at6native12_GLOBAL__N_18offset_tEEE10hipError_tPvRmT1_PNSt15iterator_traitsISY_E10value_typeET2_T3_PNSZ_IS14_E10value_typeET4_jRbjT5_S1A_jjP12ihipStream_tbEUljE_EEESV_SW_SX_S14_S18_S1A_T6_T7_T9_mT8_S1C_bDpT10_ENKUlT_T0_E_clISt17integral_constantIbLb0EES1O_IbLb1EEEEDaS1K_S1L_EUlS1K_E_NS1_11comp_targetILNS1_3genE8ELNS1_11target_archE1030ELNS1_3gpuE2ELNS1_3repE0EEENS1_30default_config_static_selectorELNS0_4arch9wavefront6targetE1EEEvSY_ ; -- Begin function _ZN7rocprim17ROCPRIM_400000_NS6detail17trampoline_kernelINS0_13select_configILj256ELj13ELNS0_17block_load_methodE3ELS4_3ELS4_3ELNS0_20block_scan_algorithmE0ELj4294967295EEENS1_25partition_config_selectorILNS1_17partition_subalgoE3EjNS0_10empty_typeEbEEZZNS1_14partition_implILS8_3ELb0ES6_jNS0_17counting_iteratorIjlEEPS9_SE_NS0_5tupleIJPjSE_EEENSF_IJSE_SE_EEES9_SG_JZNS1_25segmented_radix_sort_implINS0_14default_configELb1EPKhPhPKlPlN2at6native12_GLOBAL__N_18offset_tEEE10hipError_tPvRmT1_PNSt15iterator_traitsISY_E10value_typeET2_T3_PNSZ_IS14_E10value_typeET4_jRbjT5_S1A_jjP12ihipStream_tbEUljE_EEESV_SW_SX_S14_S18_S1A_T6_T7_T9_mT8_S1C_bDpT10_ENKUlT_T0_E_clISt17integral_constantIbLb0EES1O_IbLb1EEEEDaS1K_S1L_EUlS1K_E_NS1_11comp_targetILNS1_3genE8ELNS1_11target_archE1030ELNS1_3gpuE2ELNS1_3repE0EEENS1_30default_config_static_selectorELNS0_4arch9wavefront6targetE1EEEvSY_
	.p2align	8
	.type	_ZN7rocprim17ROCPRIM_400000_NS6detail17trampoline_kernelINS0_13select_configILj256ELj13ELNS0_17block_load_methodE3ELS4_3ELS4_3ELNS0_20block_scan_algorithmE0ELj4294967295EEENS1_25partition_config_selectorILNS1_17partition_subalgoE3EjNS0_10empty_typeEbEEZZNS1_14partition_implILS8_3ELb0ES6_jNS0_17counting_iteratorIjlEEPS9_SE_NS0_5tupleIJPjSE_EEENSF_IJSE_SE_EEES9_SG_JZNS1_25segmented_radix_sort_implINS0_14default_configELb1EPKhPhPKlPlN2at6native12_GLOBAL__N_18offset_tEEE10hipError_tPvRmT1_PNSt15iterator_traitsISY_E10value_typeET2_T3_PNSZ_IS14_E10value_typeET4_jRbjT5_S1A_jjP12ihipStream_tbEUljE_EEESV_SW_SX_S14_S18_S1A_T6_T7_T9_mT8_S1C_bDpT10_ENKUlT_T0_E_clISt17integral_constantIbLb0EES1O_IbLb1EEEEDaS1K_S1L_EUlS1K_E_NS1_11comp_targetILNS1_3genE8ELNS1_11target_archE1030ELNS1_3gpuE2ELNS1_3repE0EEENS1_30default_config_static_selectorELNS0_4arch9wavefront6targetE1EEEvSY_,@function
_ZN7rocprim17ROCPRIM_400000_NS6detail17trampoline_kernelINS0_13select_configILj256ELj13ELNS0_17block_load_methodE3ELS4_3ELS4_3ELNS0_20block_scan_algorithmE0ELj4294967295EEENS1_25partition_config_selectorILNS1_17partition_subalgoE3EjNS0_10empty_typeEbEEZZNS1_14partition_implILS8_3ELb0ES6_jNS0_17counting_iteratorIjlEEPS9_SE_NS0_5tupleIJPjSE_EEENSF_IJSE_SE_EEES9_SG_JZNS1_25segmented_radix_sort_implINS0_14default_configELb1EPKhPhPKlPlN2at6native12_GLOBAL__N_18offset_tEEE10hipError_tPvRmT1_PNSt15iterator_traitsISY_E10value_typeET2_T3_PNSZ_IS14_E10value_typeET4_jRbjT5_S1A_jjP12ihipStream_tbEUljE_EEESV_SW_SX_S14_S18_S1A_T6_T7_T9_mT8_S1C_bDpT10_ENKUlT_T0_E_clISt17integral_constantIbLb0EES1O_IbLb1EEEEDaS1K_S1L_EUlS1K_E_NS1_11comp_targetILNS1_3genE8ELNS1_11target_archE1030ELNS1_3gpuE2ELNS1_3repE0EEENS1_30default_config_static_selectorELNS0_4arch9wavefront6targetE1EEEvSY_: ; @_ZN7rocprim17ROCPRIM_400000_NS6detail17trampoline_kernelINS0_13select_configILj256ELj13ELNS0_17block_load_methodE3ELS4_3ELS4_3ELNS0_20block_scan_algorithmE0ELj4294967295EEENS1_25partition_config_selectorILNS1_17partition_subalgoE3EjNS0_10empty_typeEbEEZZNS1_14partition_implILS8_3ELb0ES6_jNS0_17counting_iteratorIjlEEPS9_SE_NS0_5tupleIJPjSE_EEENSF_IJSE_SE_EEES9_SG_JZNS1_25segmented_radix_sort_implINS0_14default_configELb1EPKhPhPKlPlN2at6native12_GLOBAL__N_18offset_tEEE10hipError_tPvRmT1_PNSt15iterator_traitsISY_E10value_typeET2_T3_PNSZ_IS14_E10value_typeET4_jRbjT5_S1A_jjP12ihipStream_tbEUljE_EEESV_SW_SX_S14_S18_S1A_T6_T7_T9_mT8_S1C_bDpT10_ENKUlT_T0_E_clISt17integral_constantIbLb0EES1O_IbLb1EEEEDaS1K_S1L_EUlS1K_E_NS1_11comp_targetILNS1_3genE8ELNS1_11target_archE1030ELNS1_3gpuE2ELNS1_3repE0EEENS1_30default_config_static_selectorELNS0_4arch9wavefront6targetE1EEEvSY_
; %bb.0:
	.section	.rodata,"a",@progbits
	.p2align	6, 0x0
	.amdhsa_kernel _ZN7rocprim17ROCPRIM_400000_NS6detail17trampoline_kernelINS0_13select_configILj256ELj13ELNS0_17block_load_methodE3ELS4_3ELS4_3ELNS0_20block_scan_algorithmE0ELj4294967295EEENS1_25partition_config_selectorILNS1_17partition_subalgoE3EjNS0_10empty_typeEbEEZZNS1_14partition_implILS8_3ELb0ES6_jNS0_17counting_iteratorIjlEEPS9_SE_NS0_5tupleIJPjSE_EEENSF_IJSE_SE_EEES9_SG_JZNS1_25segmented_radix_sort_implINS0_14default_configELb1EPKhPhPKlPlN2at6native12_GLOBAL__N_18offset_tEEE10hipError_tPvRmT1_PNSt15iterator_traitsISY_E10value_typeET2_T3_PNSZ_IS14_E10value_typeET4_jRbjT5_S1A_jjP12ihipStream_tbEUljE_EEESV_SW_SX_S14_S18_S1A_T6_T7_T9_mT8_S1C_bDpT10_ENKUlT_T0_E_clISt17integral_constantIbLb0EES1O_IbLb1EEEEDaS1K_S1L_EUlS1K_E_NS1_11comp_targetILNS1_3genE8ELNS1_11target_archE1030ELNS1_3gpuE2ELNS1_3repE0EEENS1_30default_config_static_selectorELNS0_4arch9wavefront6targetE1EEEvSY_
		.amdhsa_group_segment_fixed_size 0
		.amdhsa_private_segment_fixed_size 0
		.amdhsa_kernarg_size 152
		.amdhsa_user_sgpr_count 6
		.amdhsa_user_sgpr_private_segment_buffer 1
		.amdhsa_user_sgpr_dispatch_ptr 0
		.amdhsa_user_sgpr_queue_ptr 0
		.amdhsa_user_sgpr_kernarg_segment_ptr 1
		.amdhsa_user_sgpr_dispatch_id 0
		.amdhsa_user_sgpr_flat_scratch_init 0
		.amdhsa_user_sgpr_private_segment_size 0
		.amdhsa_uses_dynamic_stack 0
		.amdhsa_system_sgpr_private_segment_wavefront_offset 0
		.amdhsa_system_sgpr_workgroup_id_x 1
		.amdhsa_system_sgpr_workgroup_id_y 0
		.amdhsa_system_sgpr_workgroup_id_z 0
		.amdhsa_system_sgpr_workgroup_info 0
		.amdhsa_system_vgpr_workitem_id 0
		.amdhsa_next_free_vgpr 1
		.amdhsa_next_free_sgpr 0
		.amdhsa_reserve_vcc 0
		.amdhsa_reserve_flat_scratch 0
		.amdhsa_float_round_mode_32 0
		.amdhsa_float_round_mode_16_64 0
		.amdhsa_float_denorm_mode_32 3
		.amdhsa_float_denorm_mode_16_64 3
		.amdhsa_dx10_clamp 1
		.amdhsa_ieee_mode 1
		.amdhsa_fp16_overflow 0
		.amdhsa_exception_fp_ieee_invalid_op 0
		.amdhsa_exception_fp_denorm_src 0
		.amdhsa_exception_fp_ieee_div_zero 0
		.amdhsa_exception_fp_ieee_overflow 0
		.amdhsa_exception_fp_ieee_underflow 0
		.amdhsa_exception_fp_ieee_inexact 0
		.amdhsa_exception_int_div_zero 0
	.end_amdhsa_kernel
	.section	.text._ZN7rocprim17ROCPRIM_400000_NS6detail17trampoline_kernelINS0_13select_configILj256ELj13ELNS0_17block_load_methodE3ELS4_3ELS4_3ELNS0_20block_scan_algorithmE0ELj4294967295EEENS1_25partition_config_selectorILNS1_17partition_subalgoE3EjNS0_10empty_typeEbEEZZNS1_14partition_implILS8_3ELb0ES6_jNS0_17counting_iteratorIjlEEPS9_SE_NS0_5tupleIJPjSE_EEENSF_IJSE_SE_EEES9_SG_JZNS1_25segmented_radix_sort_implINS0_14default_configELb1EPKhPhPKlPlN2at6native12_GLOBAL__N_18offset_tEEE10hipError_tPvRmT1_PNSt15iterator_traitsISY_E10value_typeET2_T3_PNSZ_IS14_E10value_typeET4_jRbjT5_S1A_jjP12ihipStream_tbEUljE_EEESV_SW_SX_S14_S18_S1A_T6_T7_T9_mT8_S1C_bDpT10_ENKUlT_T0_E_clISt17integral_constantIbLb0EES1O_IbLb1EEEEDaS1K_S1L_EUlS1K_E_NS1_11comp_targetILNS1_3genE8ELNS1_11target_archE1030ELNS1_3gpuE2ELNS1_3repE0EEENS1_30default_config_static_selectorELNS0_4arch9wavefront6targetE1EEEvSY_,"axG",@progbits,_ZN7rocprim17ROCPRIM_400000_NS6detail17trampoline_kernelINS0_13select_configILj256ELj13ELNS0_17block_load_methodE3ELS4_3ELS4_3ELNS0_20block_scan_algorithmE0ELj4294967295EEENS1_25partition_config_selectorILNS1_17partition_subalgoE3EjNS0_10empty_typeEbEEZZNS1_14partition_implILS8_3ELb0ES6_jNS0_17counting_iteratorIjlEEPS9_SE_NS0_5tupleIJPjSE_EEENSF_IJSE_SE_EEES9_SG_JZNS1_25segmented_radix_sort_implINS0_14default_configELb1EPKhPhPKlPlN2at6native12_GLOBAL__N_18offset_tEEE10hipError_tPvRmT1_PNSt15iterator_traitsISY_E10value_typeET2_T3_PNSZ_IS14_E10value_typeET4_jRbjT5_S1A_jjP12ihipStream_tbEUljE_EEESV_SW_SX_S14_S18_S1A_T6_T7_T9_mT8_S1C_bDpT10_ENKUlT_T0_E_clISt17integral_constantIbLb0EES1O_IbLb1EEEEDaS1K_S1L_EUlS1K_E_NS1_11comp_targetILNS1_3genE8ELNS1_11target_archE1030ELNS1_3gpuE2ELNS1_3repE0EEENS1_30default_config_static_selectorELNS0_4arch9wavefront6targetE1EEEvSY_,comdat
.Lfunc_end82:
	.size	_ZN7rocprim17ROCPRIM_400000_NS6detail17trampoline_kernelINS0_13select_configILj256ELj13ELNS0_17block_load_methodE3ELS4_3ELS4_3ELNS0_20block_scan_algorithmE0ELj4294967295EEENS1_25partition_config_selectorILNS1_17partition_subalgoE3EjNS0_10empty_typeEbEEZZNS1_14partition_implILS8_3ELb0ES6_jNS0_17counting_iteratorIjlEEPS9_SE_NS0_5tupleIJPjSE_EEENSF_IJSE_SE_EEES9_SG_JZNS1_25segmented_radix_sort_implINS0_14default_configELb1EPKhPhPKlPlN2at6native12_GLOBAL__N_18offset_tEEE10hipError_tPvRmT1_PNSt15iterator_traitsISY_E10value_typeET2_T3_PNSZ_IS14_E10value_typeET4_jRbjT5_S1A_jjP12ihipStream_tbEUljE_EEESV_SW_SX_S14_S18_S1A_T6_T7_T9_mT8_S1C_bDpT10_ENKUlT_T0_E_clISt17integral_constantIbLb0EES1O_IbLb1EEEEDaS1K_S1L_EUlS1K_E_NS1_11comp_targetILNS1_3genE8ELNS1_11target_archE1030ELNS1_3gpuE2ELNS1_3repE0EEENS1_30default_config_static_selectorELNS0_4arch9wavefront6targetE1EEEvSY_, .Lfunc_end82-_ZN7rocprim17ROCPRIM_400000_NS6detail17trampoline_kernelINS0_13select_configILj256ELj13ELNS0_17block_load_methodE3ELS4_3ELS4_3ELNS0_20block_scan_algorithmE0ELj4294967295EEENS1_25partition_config_selectorILNS1_17partition_subalgoE3EjNS0_10empty_typeEbEEZZNS1_14partition_implILS8_3ELb0ES6_jNS0_17counting_iteratorIjlEEPS9_SE_NS0_5tupleIJPjSE_EEENSF_IJSE_SE_EEES9_SG_JZNS1_25segmented_radix_sort_implINS0_14default_configELb1EPKhPhPKlPlN2at6native12_GLOBAL__N_18offset_tEEE10hipError_tPvRmT1_PNSt15iterator_traitsISY_E10value_typeET2_T3_PNSZ_IS14_E10value_typeET4_jRbjT5_S1A_jjP12ihipStream_tbEUljE_EEESV_SW_SX_S14_S18_S1A_T6_T7_T9_mT8_S1C_bDpT10_ENKUlT_T0_E_clISt17integral_constantIbLb0EES1O_IbLb1EEEEDaS1K_S1L_EUlS1K_E_NS1_11comp_targetILNS1_3genE8ELNS1_11target_archE1030ELNS1_3gpuE2ELNS1_3repE0EEENS1_30default_config_static_selectorELNS0_4arch9wavefront6targetE1EEEvSY_
                                        ; -- End function
	.set _ZN7rocprim17ROCPRIM_400000_NS6detail17trampoline_kernelINS0_13select_configILj256ELj13ELNS0_17block_load_methodE3ELS4_3ELS4_3ELNS0_20block_scan_algorithmE0ELj4294967295EEENS1_25partition_config_selectorILNS1_17partition_subalgoE3EjNS0_10empty_typeEbEEZZNS1_14partition_implILS8_3ELb0ES6_jNS0_17counting_iteratorIjlEEPS9_SE_NS0_5tupleIJPjSE_EEENSF_IJSE_SE_EEES9_SG_JZNS1_25segmented_radix_sort_implINS0_14default_configELb1EPKhPhPKlPlN2at6native12_GLOBAL__N_18offset_tEEE10hipError_tPvRmT1_PNSt15iterator_traitsISY_E10value_typeET2_T3_PNSZ_IS14_E10value_typeET4_jRbjT5_S1A_jjP12ihipStream_tbEUljE_EEESV_SW_SX_S14_S18_S1A_T6_T7_T9_mT8_S1C_bDpT10_ENKUlT_T0_E_clISt17integral_constantIbLb0EES1O_IbLb1EEEEDaS1K_S1L_EUlS1K_E_NS1_11comp_targetILNS1_3genE8ELNS1_11target_archE1030ELNS1_3gpuE2ELNS1_3repE0EEENS1_30default_config_static_selectorELNS0_4arch9wavefront6targetE1EEEvSY_.num_vgpr, 0
	.set _ZN7rocprim17ROCPRIM_400000_NS6detail17trampoline_kernelINS0_13select_configILj256ELj13ELNS0_17block_load_methodE3ELS4_3ELS4_3ELNS0_20block_scan_algorithmE0ELj4294967295EEENS1_25partition_config_selectorILNS1_17partition_subalgoE3EjNS0_10empty_typeEbEEZZNS1_14partition_implILS8_3ELb0ES6_jNS0_17counting_iteratorIjlEEPS9_SE_NS0_5tupleIJPjSE_EEENSF_IJSE_SE_EEES9_SG_JZNS1_25segmented_radix_sort_implINS0_14default_configELb1EPKhPhPKlPlN2at6native12_GLOBAL__N_18offset_tEEE10hipError_tPvRmT1_PNSt15iterator_traitsISY_E10value_typeET2_T3_PNSZ_IS14_E10value_typeET4_jRbjT5_S1A_jjP12ihipStream_tbEUljE_EEESV_SW_SX_S14_S18_S1A_T6_T7_T9_mT8_S1C_bDpT10_ENKUlT_T0_E_clISt17integral_constantIbLb0EES1O_IbLb1EEEEDaS1K_S1L_EUlS1K_E_NS1_11comp_targetILNS1_3genE8ELNS1_11target_archE1030ELNS1_3gpuE2ELNS1_3repE0EEENS1_30default_config_static_selectorELNS0_4arch9wavefront6targetE1EEEvSY_.num_agpr, 0
	.set _ZN7rocprim17ROCPRIM_400000_NS6detail17trampoline_kernelINS0_13select_configILj256ELj13ELNS0_17block_load_methodE3ELS4_3ELS4_3ELNS0_20block_scan_algorithmE0ELj4294967295EEENS1_25partition_config_selectorILNS1_17partition_subalgoE3EjNS0_10empty_typeEbEEZZNS1_14partition_implILS8_3ELb0ES6_jNS0_17counting_iteratorIjlEEPS9_SE_NS0_5tupleIJPjSE_EEENSF_IJSE_SE_EEES9_SG_JZNS1_25segmented_radix_sort_implINS0_14default_configELb1EPKhPhPKlPlN2at6native12_GLOBAL__N_18offset_tEEE10hipError_tPvRmT1_PNSt15iterator_traitsISY_E10value_typeET2_T3_PNSZ_IS14_E10value_typeET4_jRbjT5_S1A_jjP12ihipStream_tbEUljE_EEESV_SW_SX_S14_S18_S1A_T6_T7_T9_mT8_S1C_bDpT10_ENKUlT_T0_E_clISt17integral_constantIbLb0EES1O_IbLb1EEEEDaS1K_S1L_EUlS1K_E_NS1_11comp_targetILNS1_3genE8ELNS1_11target_archE1030ELNS1_3gpuE2ELNS1_3repE0EEENS1_30default_config_static_selectorELNS0_4arch9wavefront6targetE1EEEvSY_.numbered_sgpr, 0
	.set _ZN7rocprim17ROCPRIM_400000_NS6detail17trampoline_kernelINS0_13select_configILj256ELj13ELNS0_17block_load_methodE3ELS4_3ELS4_3ELNS0_20block_scan_algorithmE0ELj4294967295EEENS1_25partition_config_selectorILNS1_17partition_subalgoE3EjNS0_10empty_typeEbEEZZNS1_14partition_implILS8_3ELb0ES6_jNS0_17counting_iteratorIjlEEPS9_SE_NS0_5tupleIJPjSE_EEENSF_IJSE_SE_EEES9_SG_JZNS1_25segmented_radix_sort_implINS0_14default_configELb1EPKhPhPKlPlN2at6native12_GLOBAL__N_18offset_tEEE10hipError_tPvRmT1_PNSt15iterator_traitsISY_E10value_typeET2_T3_PNSZ_IS14_E10value_typeET4_jRbjT5_S1A_jjP12ihipStream_tbEUljE_EEESV_SW_SX_S14_S18_S1A_T6_T7_T9_mT8_S1C_bDpT10_ENKUlT_T0_E_clISt17integral_constantIbLb0EES1O_IbLb1EEEEDaS1K_S1L_EUlS1K_E_NS1_11comp_targetILNS1_3genE8ELNS1_11target_archE1030ELNS1_3gpuE2ELNS1_3repE0EEENS1_30default_config_static_selectorELNS0_4arch9wavefront6targetE1EEEvSY_.num_named_barrier, 0
	.set _ZN7rocprim17ROCPRIM_400000_NS6detail17trampoline_kernelINS0_13select_configILj256ELj13ELNS0_17block_load_methodE3ELS4_3ELS4_3ELNS0_20block_scan_algorithmE0ELj4294967295EEENS1_25partition_config_selectorILNS1_17partition_subalgoE3EjNS0_10empty_typeEbEEZZNS1_14partition_implILS8_3ELb0ES6_jNS0_17counting_iteratorIjlEEPS9_SE_NS0_5tupleIJPjSE_EEENSF_IJSE_SE_EEES9_SG_JZNS1_25segmented_radix_sort_implINS0_14default_configELb1EPKhPhPKlPlN2at6native12_GLOBAL__N_18offset_tEEE10hipError_tPvRmT1_PNSt15iterator_traitsISY_E10value_typeET2_T3_PNSZ_IS14_E10value_typeET4_jRbjT5_S1A_jjP12ihipStream_tbEUljE_EEESV_SW_SX_S14_S18_S1A_T6_T7_T9_mT8_S1C_bDpT10_ENKUlT_T0_E_clISt17integral_constantIbLb0EES1O_IbLb1EEEEDaS1K_S1L_EUlS1K_E_NS1_11comp_targetILNS1_3genE8ELNS1_11target_archE1030ELNS1_3gpuE2ELNS1_3repE0EEENS1_30default_config_static_selectorELNS0_4arch9wavefront6targetE1EEEvSY_.private_seg_size, 0
	.set _ZN7rocprim17ROCPRIM_400000_NS6detail17trampoline_kernelINS0_13select_configILj256ELj13ELNS0_17block_load_methodE3ELS4_3ELS4_3ELNS0_20block_scan_algorithmE0ELj4294967295EEENS1_25partition_config_selectorILNS1_17partition_subalgoE3EjNS0_10empty_typeEbEEZZNS1_14partition_implILS8_3ELb0ES6_jNS0_17counting_iteratorIjlEEPS9_SE_NS0_5tupleIJPjSE_EEENSF_IJSE_SE_EEES9_SG_JZNS1_25segmented_radix_sort_implINS0_14default_configELb1EPKhPhPKlPlN2at6native12_GLOBAL__N_18offset_tEEE10hipError_tPvRmT1_PNSt15iterator_traitsISY_E10value_typeET2_T3_PNSZ_IS14_E10value_typeET4_jRbjT5_S1A_jjP12ihipStream_tbEUljE_EEESV_SW_SX_S14_S18_S1A_T6_T7_T9_mT8_S1C_bDpT10_ENKUlT_T0_E_clISt17integral_constantIbLb0EES1O_IbLb1EEEEDaS1K_S1L_EUlS1K_E_NS1_11comp_targetILNS1_3genE8ELNS1_11target_archE1030ELNS1_3gpuE2ELNS1_3repE0EEENS1_30default_config_static_selectorELNS0_4arch9wavefront6targetE1EEEvSY_.uses_vcc, 0
	.set _ZN7rocprim17ROCPRIM_400000_NS6detail17trampoline_kernelINS0_13select_configILj256ELj13ELNS0_17block_load_methodE3ELS4_3ELS4_3ELNS0_20block_scan_algorithmE0ELj4294967295EEENS1_25partition_config_selectorILNS1_17partition_subalgoE3EjNS0_10empty_typeEbEEZZNS1_14partition_implILS8_3ELb0ES6_jNS0_17counting_iteratorIjlEEPS9_SE_NS0_5tupleIJPjSE_EEENSF_IJSE_SE_EEES9_SG_JZNS1_25segmented_radix_sort_implINS0_14default_configELb1EPKhPhPKlPlN2at6native12_GLOBAL__N_18offset_tEEE10hipError_tPvRmT1_PNSt15iterator_traitsISY_E10value_typeET2_T3_PNSZ_IS14_E10value_typeET4_jRbjT5_S1A_jjP12ihipStream_tbEUljE_EEESV_SW_SX_S14_S18_S1A_T6_T7_T9_mT8_S1C_bDpT10_ENKUlT_T0_E_clISt17integral_constantIbLb0EES1O_IbLb1EEEEDaS1K_S1L_EUlS1K_E_NS1_11comp_targetILNS1_3genE8ELNS1_11target_archE1030ELNS1_3gpuE2ELNS1_3repE0EEENS1_30default_config_static_selectorELNS0_4arch9wavefront6targetE1EEEvSY_.uses_flat_scratch, 0
	.set _ZN7rocprim17ROCPRIM_400000_NS6detail17trampoline_kernelINS0_13select_configILj256ELj13ELNS0_17block_load_methodE3ELS4_3ELS4_3ELNS0_20block_scan_algorithmE0ELj4294967295EEENS1_25partition_config_selectorILNS1_17partition_subalgoE3EjNS0_10empty_typeEbEEZZNS1_14partition_implILS8_3ELb0ES6_jNS0_17counting_iteratorIjlEEPS9_SE_NS0_5tupleIJPjSE_EEENSF_IJSE_SE_EEES9_SG_JZNS1_25segmented_radix_sort_implINS0_14default_configELb1EPKhPhPKlPlN2at6native12_GLOBAL__N_18offset_tEEE10hipError_tPvRmT1_PNSt15iterator_traitsISY_E10value_typeET2_T3_PNSZ_IS14_E10value_typeET4_jRbjT5_S1A_jjP12ihipStream_tbEUljE_EEESV_SW_SX_S14_S18_S1A_T6_T7_T9_mT8_S1C_bDpT10_ENKUlT_T0_E_clISt17integral_constantIbLb0EES1O_IbLb1EEEEDaS1K_S1L_EUlS1K_E_NS1_11comp_targetILNS1_3genE8ELNS1_11target_archE1030ELNS1_3gpuE2ELNS1_3repE0EEENS1_30default_config_static_selectorELNS0_4arch9wavefront6targetE1EEEvSY_.has_dyn_sized_stack, 0
	.set _ZN7rocprim17ROCPRIM_400000_NS6detail17trampoline_kernelINS0_13select_configILj256ELj13ELNS0_17block_load_methodE3ELS4_3ELS4_3ELNS0_20block_scan_algorithmE0ELj4294967295EEENS1_25partition_config_selectorILNS1_17partition_subalgoE3EjNS0_10empty_typeEbEEZZNS1_14partition_implILS8_3ELb0ES6_jNS0_17counting_iteratorIjlEEPS9_SE_NS0_5tupleIJPjSE_EEENSF_IJSE_SE_EEES9_SG_JZNS1_25segmented_radix_sort_implINS0_14default_configELb1EPKhPhPKlPlN2at6native12_GLOBAL__N_18offset_tEEE10hipError_tPvRmT1_PNSt15iterator_traitsISY_E10value_typeET2_T3_PNSZ_IS14_E10value_typeET4_jRbjT5_S1A_jjP12ihipStream_tbEUljE_EEESV_SW_SX_S14_S18_S1A_T6_T7_T9_mT8_S1C_bDpT10_ENKUlT_T0_E_clISt17integral_constantIbLb0EES1O_IbLb1EEEEDaS1K_S1L_EUlS1K_E_NS1_11comp_targetILNS1_3genE8ELNS1_11target_archE1030ELNS1_3gpuE2ELNS1_3repE0EEENS1_30default_config_static_selectorELNS0_4arch9wavefront6targetE1EEEvSY_.has_recursion, 0
	.set _ZN7rocprim17ROCPRIM_400000_NS6detail17trampoline_kernelINS0_13select_configILj256ELj13ELNS0_17block_load_methodE3ELS4_3ELS4_3ELNS0_20block_scan_algorithmE0ELj4294967295EEENS1_25partition_config_selectorILNS1_17partition_subalgoE3EjNS0_10empty_typeEbEEZZNS1_14partition_implILS8_3ELb0ES6_jNS0_17counting_iteratorIjlEEPS9_SE_NS0_5tupleIJPjSE_EEENSF_IJSE_SE_EEES9_SG_JZNS1_25segmented_radix_sort_implINS0_14default_configELb1EPKhPhPKlPlN2at6native12_GLOBAL__N_18offset_tEEE10hipError_tPvRmT1_PNSt15iterator_traitsISY_E10value_typeET2_T3_PNSZ_IS14_E10value_typeET4_jRbjT5_S1A_jjP12ihipStream_tbEUljE_EEESV_SW_SX_S14_S18_S1A_T6_T7_T9_mT8_S1C_bDpT10_ENKUlT_T0_E_clISt17integral_constantIbLb0EES1O_IbLb1EEEEDaS1K_S1L_EUlS1K_E_NS1_11comp_targetILNS1_3genE8ELNS1_11target_archE1030ELNS1_3gpuE2ELNS1_3repE0EEENS1_30default_config_static_selectorELNS0_4arch9wavefront6targetE1EEEvSY_.has_indirect_call, 0
	.section	.AMDGPU.csdata,"",@progbits
; Kernel info:
; codeLenInByte = 0
; TotalNumSgprs: 4
; NumVgprs: 0
; ScratchSize: 0
; MemoryBound: 0
; FloatMode: 240
; IeeeMode: 1
; LDSByteSize: 0 bytes/workgroup (compile time only)
; SGPRBlocks: 0
; VGPRBlocks: 0
; NumSGPRsForWavesPerEU: 4
; NumVGPRsForWavesPerEU: 1
; Occupancy: 10
; WaveLimiterHint : 0
; COMPUTE_PGM_RSRC2:SCRATCH_EN: 0
; COMPUTE_PGM_RSRC2:USER_SGPR: 6
; COMPUTE_PGM_RSRC2:TRAP_HANDLER: 0
; COMPUTE_PGM_RSRC2:TGID_X_EN: 1
; COMPUTE_PGM_RSRC2:TGID_Y_EN: 0
; COMPUTE_PGM_RSRC2:TGID_Z_EN: 0
; COMPUTE_PGM_RSRC2:TIDIG_COMP_CNT: 0
	.section	.text._ZN7rocprim17ROCPRIM_400000_NS6detail17trampoline_kernelINS0_14default_configENS1_36segmented_radix_sort_config_selectorIhlEEZNS1_25segmented_radix_sort_implIS3_Lb1EPKhPhPKlPlN2at6native12_GLOBAL__N_18offset_tEEE10hipError_tPvRmT1_PNSt15iterator_traitsISK_E10value_typeET2_T3_PNSL_ISQ_E10value_typeET4_jRbjT5_SW_jjP12ihipStream_tbEUlT_E_NS1_11comp_targetILNS1_3genE0ELNS1_11target_archE4294967295ELNS1_3gpuE0ELNS1_3repE0EEENS1_30default_config_static_selectorELNS0_4arch9wavefront6targetE1EEEvSK_,"axG",@progbits,_ZN7rocprim17ROCPRIM_400000_NS6detail17trampoline_kernelINS0_14default_configENS1_36segmented_radix_sort_config_selectorIhlEEZNS1_25segmented_radix_sort_implIS3_Lb1EPKhPhPKlPlN2at6native12_GLOBAL__N_18offset_tEEE10hipError_tPvRmT1_PNSt15iterator_traitsISK_E10value_typeET2_T3_PNSL_ISQ_E10value_typeET4_jRbjT5_SW_jjP12ihipStream_tbEUlT_E_NS1_11comp_targetILNS1_3genE0ELNS1_11target_archE4294967295ELNS1_3gpuE0ELNS1_3repE0EEENS1_30default_config_static_selectorELNS0_4arch9wavefront6targetE1EEEvSK_,comdat
	.globl	_ZN7rocprim17ROCPRIM_400000_NS6detail17trampoline_kernelINS0_14default_configENS1_36segmented_radix_sort_config_selectorIhlEEZNS1_25segmented_radix_sort_implIS3_Lb1EPKhPhPKlPlN2at6native12_GLOBAL__N_18offset_tEEE10hipError_tPvRmT1_PNSt15iterator_traitsISK_E10value_typeET2_T3_PNSL_ISQ_E10value_typeET4_jRbjT5_SW_jjP12ihipStream_tbEUlT_E_NS1_11comp_targetILNS1_3genE0ELNS1_11target_archE4294967295ELNS1_3gpuE0ELNS1_3repE0EEENS1_30default_config_static_selectorELNS0_4arch9wavefront6targetE1EEEvSK_ ; -- Begin function _ZN7rocprim17ROCPRIM_400000_NS6detail17trampoline_kernelINS0_14default_configENS1_36segmented_radix_sort_config_selectorIhlEEZNS1_25segmented_radix_sort_implIS3_Lb1EPKhPhPKlPlN2at6native12_GLOBAL__N_18offset_tEEE10hipError_tPvRmT1_PNSt15iterator_traitsISK_E10value_typeET2_T3_PNSL_ISQ_E10value_typeET4_jRbjT5_SW_jjP12ihipStream_tbEUlT_E_NS1_11comp_targetILNS1_3genE0ELNS1_11target_archE4294967295ELNS1_3gpuE0ELNS1_3repE0EEENS1_30default_config_static_selectorELNS0_4arch9wavefront6targetE1EEEvSK_
	.p2align	8
	.type	_ZN7rocprim17ROCPRIM_400000_NS6detail17trampoline_kernelINS0_14default_configENS1_36segmented_radix_sort_config_selectorIhlEEZNS1_25segmented_radix_sort_implIS3_Lb1EPKhPhPKlPlN2at6native12_GLOBAL__N_18offset_tEEE10hipError_tPvRmT1_PNSt15iterator_traitsISK_E10value_typeET2_T3_PNSL_ISQ_E10value_typeET4_jRbjT5_SW_jjP12ihipStream_tbEUlT_E_NS1_11comp_targetILNS1_3genE0ELNS1_11target_archE4294967295ELNS1_3gpuE0ELNS1_3repE0EEENS1_30default_config_static_selectorELNS0_4arch9wavefront6targetE1EEEvSK_,@function
_ZN7rocprim17ROCPRIM_400000_NS6detail17trampoline_kernelINS0_14default_configENS1_36segmented_radix_sort_config_selectorIhlEEZNS1_25segmented_radix_sort_implIS3_Lb1EPKhPhPKlPlN2at6native12_GLOBAL__N_18offset_tEEE10hipError_tPvRmT1_PNSt15iterator_traitsISK_E10value_typeET2_T3_PNSL_ISQ_E10value_typeET4_jRbjT5_SW_jjP12ihipStream_tbEUlT_E_NS1_11comp_targetILNS1_3genE0ELNS1_11target_archE4294967295ELNS1_3gpuE0ELNS1_3repE0EEENS1_30default_config_static_selectorELNS0_4arch9wavefront6targetE1EEEvSK_: ; @_ZN7rocprim17ROCPRIM_400000_NS6detail17trampoline_kernelINS0_14default_configENS1_36segmented_radix_sort_config_selectorIhlEEZNS1_25segmented_radix_sort_implIS3_Lb1EPKhPhPKlPlN2at6native12_GLOBAL__N_18offset_tEEE10hipError_tPvRmT1_PNSt15iterator_traitsISK_E10value_typeET2_T3_PNSL_ISQ_E10value_typeET4_jRbjT5_SW_jjP12ihipStream_tbEUlT_E_NS1_11comp_targetILNS1_3genE0ELNS1_11target_archE4294967295ELNS1_3gpuE0ELNS1_3repE0EEENS1_30default_config_static_selectorELNS0_4arch9wavefront6targetE1EEEvSK_
; %bb.0:
	.section	.rodata,"a",@progbits
	.p2align	6, 0x0
	.amdhsa_kernel _ZN7rocprim17ROCPRIM_400000_NS6detail17trampoline_kernelINS0_14default_configENS1_36segmented_radix_sort_config_selectorIhlEEZNS1_25segmented_radix_sort_implIS3_Lb1EPKhPhPKlPlN2at6native12_GLOBAL__N_18offset_tEEE10hipError_tPvRmT1_PNSt15iterator_traitsISK_E10value_typeET2_T3_PNSL_ISQ_E10value_typeET4_jRbjT5_SW_jjP12ihipStream_tbEUlT_E_NS1_11comp_targetILNS1_3genE0ELNS1_11target_archE4294967295ELNS1_3gpuE0ELNS1_3repE0EEENS1_30default_config_static_selectorELNS0_4arch9wavefront6targetE1EEEvSK_
		.amdhsa_group_segment_fixed_size 0
		.amdhsa_private_segment_fixed_size 0
		.amdhsa_kernarg_size 96
		.amdhsa_user_sgpr_count 6
		.amdhsa_user_sgpr_private_segment_buffer 1
		.amdhsa_user_sgpr_dispatch_ptr 0
		.amdhsa_user_sgpr_queue_ptr 0
		.amdhsa_user_sgpr_kernarg_segment_ptr 1
		.amdhsa_user_sgpr_dispatch_id 0
		.amdhsa_user_sgpr_flat_scratch_init 0
		.amdhsa_user_sgpr_private_segment_size 0
		.amdhsa_uses_dynamic_stack 0
		.amdhsa_system_sgpr_private_segment_wavefront_offset 0
		.amdhsa_system_sgpr_workgroup_id_x 1
		.amdhsa_system_sgpr_workgroup_id_y 0
		.amdhsa_system_sgpr_workgroup_id_z 0
		.amdhsa_system_sgpr_workgroup_info 0
		.amdhsa_system_vgpr_workitem_id 0
		.amdhsa_next_free_vgpr 1
		.amdhsa_next_free_sgpr 0
		.amdhsa_reserve_vcc 0
		.amdhsa_reserve_flat_scratch 0
		.amdhsa_float_round_mode_32 0
		.amdhsa_float_round_mode_16_64 0
		.amdhsa_float_denorm_mode_32 3
		.amdhsa_float_denorm_mode_16_64 3
		.amdhsa_dx10_clamp 1
		.amdhsa_ieee_mode 1
		.amdhsa_fp16_overflow 0
		.amdhsa_exception_fp_ieee_invalid_op 0
		.amdhsa_exception_fp_denorm_src 0
		.amdhsa_exception_fp_ieee_div_zero 0
		.amdhsa_exception_fp_ieee_overflow 0
		.amdhsa_exception_fp_ieee_underflow 0
		.amdhsa_exception_fp_ieee_inexact 0
		.amdhsa_exception_int_div_zero 0
	.end_amdhsa_kernel
	.section	.text._ZN7rocprim17ROCPRIM_400000_NS6detail17trampoline_kernelINS0_14default_configENS1_36segmented_radix_sort_config_selectorIhlEEZNS1_25segmented_radix_sort_implIS3_Lb1EPKhPhPKlPlN2at6native12_GLOBAL__N_18offset_tEEE10hipError_tPvRmT1_PNSt15iterator_traitsISK_E10value_typeET2_T3_PNSL_ISQ_E10value_typeET4_jRbjT5_SW_jjP12ihipStream_tbEUlT_E_NS1_11comp_targetILNS1_3genE0ELNS1_11target_archE4294967295ELNS1_3gpuE0ELNS1_3repE0EEENS1_30default_config_static_selectorELNS0_4arch9wavefront6targetE1EEEvSK_,"axG",@progbits,_ZN7rocprim17ROCPRIM_400000_NS6detail17trampoline_kernelINS0_14default_configENS1_36segmented_radix_sort_config_selectorIhlEEZNS1_25segmented_radix_sort_implIS3_Lb1EPKhPhPKlPlN2at6native12_GLOBAL__N_18offset_tEEE10hipError_tPvRmT1_PNSt15iterator_traitsISK_E10value_typeET2_T3_PNSL_ISQ_E10value_typeET4_jRbjT5_SW_jjP12ihipStream_tbEUlT_E_NS1_11comp_targetILNS1_3genE0ELNS1_11target_archE4294967295ELNS1_3gpuE0ELNS1_3repE0EEENS1_30default_config_static_selectorELNS0_4arch9wavefront6targetE1EEEvSK_,comdat
.Lfunc_end83:
	.size	_ZN7rocprim17ROCPRIM_400000_NS6detail17trampoline_kernelINS0_14default_configENS1_36segmented_radix_sort_config_selectorIhlEEZNS1_25segmented_radix_sort_implIS3_Lb1EPKhPhPKlPlN2at6native12_GLOBAL__N_18offset_tEEE10hipError_tPvRmT1_PNSt15iterator_traitsISK_E10value_typeET2_T3_PNSL_ISQ_E10value_typeET4_jRbjT5_SW_jjP12ihipStream_tbEUlT_E_NS1_11comp_targetILNS1_3genE0ELNS1_11target_archE4294967295ELNS1_3gpuE0ELNS1_3repE0EEENS1_30default_config_static_selectorELNS0_4arch9wavefront6targetE1EEEvSK_, .Lfunc_end83-_ZN7rocprim17ROCPRIM_400000_NS6detail17trampoline_kernelINS0_14default_configENS1_36segmented_radix_sort_config_selectorIhlEEZNS1_25segmented_radix_sort_implIS3_Lb1EPKhPhPKlPlN2at6native12_GLOBAL__N_18offset_tEEE10hipError_tPvRmT1_PNSt15iterator_traitsISK_E10value_typeET2_T3_PNSL_ISQ_E10value_typeET4_jRbjT5_SW_jjP12ihipStream_tbEUlT_E_NS1_11comp_targetILNS1_3genE0ELNS1_11target_archE4294967295ELNS1_3gpuE0ELNS1_3repE0EEENS1_30default_config_static_selectorELNS0_4arch9wavefront6targetE1EEEvSK_
                                        ; -- End function
	.set _ZN7rocprim17ROCPRIM_400000_NS6detail17trampoline_kernelINS0_14default_configENS1_36segmented_radix_sort_config_selectorIhlEEZNS1_25segmented_radix_sort_implIS3_Lb1EPKhPhPKlPlN2at6native12_GLOBAL__N_18offset_tEEE10hipError_tPvRmT1_PNSt15iterator_traitsISK_E10value_typeET2_T3_PNSL_ISQ_E10value_typeET4_jRbjT5_SW_jjP12ihipStream_tbEUlT_E_NS1_11comp_targetILNS1_3genE0ELNS1_11target_archE4294967295ELNS1_3gpuE0ELNS1_3repE0EEENS1_30default_config_static_selectorELNS0_4arch9wavefront6targetE1EEEvSK_.num_vgpr, 0
	.set _ZN7rocprim17ROCPRIM_400000_NS6detail17trampoline_kernelINS0_14default_configENS1_36segmented_radix_sort_config_selectorIhlEEZNS1_25segmented_radix_sort_implIS3_Lb1EPKhPhPKlPlN2at6native12_GLOBAL__N_18offset_tEEE10hipError_tPvRmT1_PNSt15iterator_traitsISK_E10value_typeET2_T3_PNSL_ISQ_E10value_typeET4_jRbjT5_SW_jjP12ihipStream_tbEUlT_E_NS1_11comp_targetILNS1_3genE0ELNS1_11target_archE4294967295ELNS1_3gpuE0ELNS1_3repE0EEENS1_30default_config_static_selectorELNS0_4arch9wavefront6targetE1EEEvSK_.num_agpr, 0
	.set _ZN7rocprim17ROCPRIM_400000_NS6detail17trampoline_kernelINS0_14default_configENS1_36segmented_radix_sort_config_selectorIhlEEZNS1_25segmented_radix_sort_implIS3_Lb1EPKhPhPKlPlN2at6native12_GLOBAL__N_18offset_tEEE10hipError_tPvRmT1_PNSt15iterator_traitsISK_E10value_typeET2_T3_PNSL_ISQ_E10value_typeET4_jRbjT5_SW_jjP12ihipStream_tbEUlT_E_NS1_11comp_targetILNS1_3genE0ELNS1_11target_archE4294967295ELNS1_3gpuE0ELNS1_3repE0EEENS1_30default_config_static_selectorELNS0_4arch9wavefront6targetE1EEEvSK_.numbered_sgpr, 0
	.set _ZN7rocprim17ROCPRIM_400000_NS6detail17trampoline_kernelINS0_14default_configENS1_36segmented_radix_sort_config_selectorIhlEEZNS1_25segmented_radix_sort_implIS3_Lb1EPKhPhPKlPlN2at6native12_GLOBAL__N_18offset_tEEE10hipError_tPvRmT1_PNSt15iterator_traitsISK_E10value_typeET2_T3_PNSL_ISQ_E10value_typeET4_jRbjT5_SW_jjP12ihipStream_tbEUlT_E_NS1_11comp_targetILNS1_3genE0ELNS1_11target_archE4294967295ELNS1_3gpuE0ELNS1_3repE0EEENS1_30default_config_static_selectorELNS0_4arch9wavefront6targetE1EEEvSK_.num_named_barrier, 0
	.set _ZN7rocprim17ROCPRIM_400000_NS6detail17trampoline_kernelINS0_14default_configENS1_36segmented_radix_sort_config_selectorIhlEEZNS1_25segmented_radix_sort_implIS3_Lb1EPKhPhPKlPlN2at6native12_GLOBAL__N_18offset_tEEE10hipError_tPvRmT1_PNSt15iterator_traitsISK_E10value_typeET2_T3_PNSL_ISQ_E10value_typeET4_jRbjT5_SW_jjP12ihipStream_tbEUlT_E_NS1_11comp_targetILNS1_3genE0ELNS1_11target_archE4294967295ELNS1_3gpuE0ELNS1_3repE0EEENS1_30default_config_static_selectorELNS0_4arch9wavefront6targetE1EEEvSK_.private_seg_size, 0
	.set _ZN7rocprim17ROCPRIM_400000_NS6detail17trampoline_kernelINS0_14default_configENS1_36segmented_radix_sort_config_selectorIhlEEZNS1_25segmented_radix_sort_implIS3_Lb1EPKhPhPKlPlN2at6native12_GLOBAL__N_18offset_tEEE10hipError_tPvRmT1_PNSt15iterator_traitsISK_E10value_typeET2_T3_PNSL_ISQ_E10value_typeET4_jRbjT5_SW_jjP12ihipStream_tbEUlT_E_NS1_11comp_targetILNS1_3genE0ELNS1_11target_archE4294967295ELNS1_3gpuE0ELNS1_3repE0EEENS1_30default_config_static_selectorELNS0_4arch9wavefront6targetE1EEEvSK_.uses_vcc, 0
	.set _ZN7rocprim17ROCPRIM_400000_NS6detail17trampoline_kernelINS0_14default_configENS1_36segmented_radix_sort_config_selectorIhlEEZNS1_25segmented_radix_sort_implIS3_Lb1EPKhPhPKlPlN2at6native12_GLOBAL__N_18offset_tEEE10hipError_tPvRmT1_PNSt15iterator_traitsISK_E10value_typeET2_T3_PNSL_ISQ_E10value_typeET4_jRbjT5_SW_jjP12ihipStream_tbEUlT_E_NS1_11comp_targetILNS1_3genE0ELNS1_11target_archE4294967295ELNS1_3gpuE0ELNS1_3repE0EEENS1_30default_config_static_selectorELNS0_4arch9wavefront6targetE1EEEvSK_.uses_flat_scratch, 0
	.set _ZN7rocprim17ROCPRIM_400000_NS6detail17trampoline_kernelINS0_14default_configENS1_36segmented_radix_sort_config_selectorIhlEEZNS1_25segmented_radix_sort_implIS3_Lb1EPKhPhPKlPlN2at6native12_GLOBAL__N_18offset_tEEE10hipError_tPvRmT1_PNSt15iterator_traitsISK_E10value_typeET2_T3_PNSL_ISQ_E10value_typeET4_jRbjT5_SW_jjP12ihipStream_tbEUlT_E_NS1_11comp_targetILNS1_3genE0ELNS1_11target_archE4294967295ELNS1_3gpuE0ELNS1_3repE0EEENS1_30default_config_static_selectorELNS0_4arch9wavefront6targetE1EEEvSK_.has_dyn_sized_stack, 0
	.set _ZN7rocprim17ROCPRIM_400000_NS6detail17trampoline_kernelINS0_14default_configENS1_36segmented_radix_sort_config_selectorIhlEEZNS1_25segmented_radix_sort_implIS3_Lb1EPKhPhPKlPlN2at6native12_GLOBAL__N_18offset_tEEE10hipError_tPvRmT1_PNSt15iterator_traitsISK_E10value_typeET2_T3_PNSL_ISQ_E10value_typeET4_jRbjT5_SW_jjP12ihipStream_tbEUlT_E_NS1_11comp_targetILNS1_3genE0ELNS1_11target_archE4294967295ELNS1_3gpuE0ELNS1_3repE0EEENS1_30default_config_static_selectorELNS0_4arch9wavefront6targetE1EEEvSK_.has_recursion, 0
	.set _ZN7rocprim17ROCPRIM_400000_NS6detail17trampoline_kernelINS0_14default_configENS1_36segmented_radix_sort_config_selectorIhlEEZNS1_25segmented_radix_sort_implIS3_Lb1EPKhPhPKlPlN2at6native12_GLOBAL__N_18offset_tEEE10hipError_tPvRmT1_PNSt15iterator_traitsISK_E10value_typeET2_T3_PNSL_ISQ_E10value_typeET4_jRbjT5_SW_jjP12ihipStream_tbEUlT_E_NS1_11comp_targetILNS1_3genE0ELNS1_11target_archE4294967295ELNS1_3gpuE0ELNS1_3repE0EEENS1_30default_config_static_selectorELNS0_4arch9wavefront6targetE1EEEvSK_.has_indirect_call, 0
	.section	.AMDGPU.csdata,"",@progbits
; Kernel info:
; codeLenInByte = 0
; TotalNumSgprs: 4
; NumVgprs: 0
; ScratchSize: 0
; MemoryBound: 0
; FloatMode: 240
; IeeeMode: 1
; LDSByteSize: 0 bytes/workgroup (compile time only)
; SGPRBlocks: 0
; VGPRBlocks: 0
; NumSGPRsForWavesPerEU: 4
; NumVGPRsForWavesPerEU: 1
; Occupancy: 10
; WaveLimiterHint : 0
; COMPUTE_PGM_RSRC2:SCRATCH_EN: 0
; COMPUTE_PGM_RSRC2:USER_SGPR: 6
; COMPUTE_PGM_RSRC2:TRAP_HANDLER: 0
; COMPUTE_PGM_RSRC2:TGID_X_EN: 1
; COMPUTE_PGM_RSRC2:TGID_Y_EN: 0
; COMPUTE_PGM_RSRC2:TGID_Z_EN: 0
; COMPUTE_PGM_RSRC2:TIDIG_COMP_CNT: 0
	.section	.text._ZN7rocprim17ROCPRIM_400000_NS6detail17trampoline_kernelINS0_14default_configENS1_36segmented_radix_sort_config_selectorIhlEEZNS1_25segmented_radix_sort_implIS3_Lb1EPKhPhPKlPlN2at6native12_GLOBAL__N_18offset_tEEE10hipError_tPvRmT1_PNSt15iterator_traitsISK_E10value_typeET2_T3_PNSL_ISQ_E10value_typeET4_jRbjT5_SW_jjP12ihipStream_tbEUlT_E_NS1_11comp_targetILNS1_3genE5ELNS1_11target_archE942ELNS1_3gpuE9ELNS1_3repE0EEENS1_30default_config_static_selectorELNS0_4arch9wavefront6targetE1EEEvSK_,"axG",@progbits,_ZN7rocprim17ROCPRIM_400000_NS6detail17trampoline_kernelINS0_14default_configENS1_36segmented_radix_sort_config_selectorIhlEEZNS1_25segmented_radix_sort_implIS3_Lb1EPKhPhPKlPlN2at6native12_GLOBAL__N_18offset_tEEE10hipError_tPvRmT1_PNSt15iterator_traitsISK_E10value_typeET2_T3_PNSL_ISQ_E10value_typeET4_jRbjT5_SW_jjP12ihipStream_tbEUlT_E_NS1_11comp_targetILNS1_3genE5ELNS1_11target_archE942ELNS1_3gpuE9ELNS1_3repE0EEENS1_30default_config_static_selectorELNS0_4arch9wavefront6targetE1EEEvSK_,comdat
	.globl	_ZN7rocprim17ROCPRIM_400000_NS6detail17trampoline_kernelINS0_14default_configENS1_36segmented_radix_sort_config_selectorIhlEEZNS1_25segmented_radix_sort_implIS3_Lb1EPKhPhPKlPlN2at6native12_GLOBAL__N_18offset_tEEE10hipError_tPvRmT1_PNSt15iterator_traitsISK_E10value_typeET2_T3_PNSL_ISQ_E10value_typeET4_jRbjT5_SW_jjP12ihipStream_tbEUlT_E_NS1_11comp_targetILNS1_3genE5ELNS1_11target_archE942ELNS1_3gpuE9ELNS1_3repE0EEENS1_30default_config_static_selectorELNS0_4arch9wavefront6targetE1EEEvSK_ ; -- Begin function _ZN7rocprim17ROCPRIM_400000_NS6detail17trampoline_kernelINS0_14default_configENS1_36segmented_radix_sort_config_selectorIhlEEZNS1_25segmented_radix_sort_implIS3_Lb1EPKhPhPKlPlN2at6native12_GLOBAL__N_18offset_tEEE10hipError_tPvRmT1_PNSt15iterator_traitsISK_E10value_typeET2_T3_PNSL_ISQ_E10value_typeET4_jRbjT5_SW_jjP12ihipStream_tbEUlT_E_NS1_11comp_targetILNS1_3genE5ELNS1_11target_archE942ELNS1_3gpuE9ELNS1_3repE0EEENS1_30default_config_static_selectorELNS0_4arch9wavefront6targetE1EEEvSK_
	.p2align	8
	.type	_ZN7rocprim17ROCPRIM_400000_NS6detail17trampoline_kernelINS0_14default_configENS1_36segmented_radix_sort_config_selectorIhlEEZNS1_25segmented_radix_sort_implIS3_Lb1EPKhPhPKlPlN2at6native12_GLOBAL__N_18offset_tEEE10hipError_tPvRmT1_PNSt15iterator_traitsISK_E10value_typeET2_T3_PNSL_ISQ_E10value_typeET4_jRbjT5_SW_jjP12ihipStream_tbEUlT_E_NS1_11comp_targetILNS1_3genE5ELNS1_11target_archE942ELNS1_3gpuE9ELNS1_3repE0EEENS1_30default_config_static_selectorELNS0_4arch9wavefront6targetE1EEEvSK_,@function
_ZN7rocprim17ROCPRIM_400000_NS6detail17trampoline_kernelINS0_14default_configENS1_36segmented_radix_sort_config_selectorIhlEEZNS1_25segmented_radix_sort_implIS3_Lb1EPKhPhPKlPlN2at6native12_GLOBAL__N_18offset_tEEE10hipError_tPvRmT1_PNSt15iterator_traitsISK_E10value_typeET2_T3_PNSL_ISQ_E10value_typeET4_jRbjT5_SW_jjP12ihipStream_tbEUlT_E_NS1_11comp_targetILNS1_3genE5ELNS1_11target_archE942ELNS1_3gpuE9ELNS1_3repE0EEENS1_30default_config_static_selectorELNS0_4arch9wavefront6targetE1EEEvSK_: ; @_ZN7rocprim17ROCPRIM_400000_NS6detail17trampoline_kernelINS0_14default_configENS1_36segmented_radix_sort_config_selectorIhlEEZNS1_25segmented_radix_sort_implIS3_Lb1EPKhPhPKlPlN2at6native12_GLOBAL__N_18offset_tEEE10hipError_tPvRmT1_PNSt15iterator_traitsISK_E10value_typeET2_T3_PNSL_ISQ_E10value_typeET4_jRbjT5_SW_jjP12ihipStream_tbEUlT_E_NS1_11comp_targetILNS1_3genE5ELNS1_11target_archE942ELNS1_3gpuE9ELNS1_3repE0EEENS1_30default_config_static_selectorELNS0_4arch9wavefront6targetE1EEEvSK_
; %bb.0:
	.section	.rodata,"a",@progbits
	.p2align	6, 0x0
	.amdhsa_kernel _ZN7rocprim17ROCPRIM_400000_NS6detail17trampoline_kernelINS0_14default_configENS1_36segmented_radix_sort_config_selectorIhlEEZNS1_25segmented_radix_sort_implIS3_Lb1EPKhPhPKlPlN2at6native12_GLOBAL__N_18offset_tEEE10hipError_tPvRmT1_PNSt15iterator_traitsISK_E10value_typeET2_T3_PNSL_ISQ_E10value_typeET4_jRbjT5_SW_jjP12ihipStream_tbEUlT_E_NS1_11comp_targetILNS1_3genE5ELNS1_11target_archE942ELNS1_3gpuE9ELNS1_3repE0EEENS1_30default_config_static_selectorELNS0_4arch9wavefront6targetE1EEEvSK_
		.amdhsa_group_segment_fixed_size 0
		.amdhsa_private_segment_fixed_size 0
		.amdhsa_kernarg_size 96
		.amdhsa_user_sgpr_count 6
		.amdhsa_user_sgpr_private_segment_buffer 1
		.amdhsa_user_sgpr_dispatch_ptr 0
		.amdhsa_user_sgpr_queue_ptr 0
		.amdhsa_user_sgpr_kernarg_segment_ptr 1
		.amdhsa_user_sgpr_dispatch_id 0
		.amdhsa_user_sgpr_flat_scratch_init 0
		.amdhsa_user_sgpr_private_segment_size 0
		.amdhsa_uses_dynamic_stack 0
		.amdhsa_system_sgpr_private_segment_wavefront_offset 0
		.amdhsa_system_sgpr_workgroup_id_x 1
		.amdhsa_system_sgpr_workgroup_id_y 0
		.amdhsa_system_sgpr_workgroup_id_z 0
		.amdhsa_system_sgpr_workgroup_info 0
		.amdhsa_system_vgpr_workitem_id 0
		.amdhsa_next_free_vgpr 1
		.amdhsa_next_free_sgpr 0
		.amdhsa_reserve_vcc 0
		.amdhsa_reserve_flat_scratch 0
		.amdhsa_float_round_mode_32 0
		.amdhsa_float_round_mode_16_64 0
		.amdhsa_float_denorm_mode_32 3
		.amdhsa_float_denorm_mode_16_64 3
		.amdhsa_dx10_clamp 1
		.amdhsa_ieee_mode 1
		.amdhsa_fp16_overflow 0
		.amdhsa_exception_fp_ieee_invalid_op 0
		.amdhsa_exception_fp_denorm_src 0
		.amdhsa_exception_fp_ieee_div_zero 0
		.amdhsa_exception_fp_ieee_overflow 0
		.amdhsa_exception_fp_ieee_underflow 0
		.amdhsa_exception_fp_ieee_inexact 0
		.amdhsa_exception_int_div_zero 0
	.end_amdhsa_kernel
	.section	.text._ZN7rocprim17ROCPRIM_400000_NS6detail17trampoline_kernelINS0_14default_configENS1_36segmented_radix_sort_config_selectorIhlEEZNS1_25segmented_radix_sort_implIS3_Lb1EPKhPhPKlPlN2at6native12_GLOBAL__N_18offset_tEEE10hipError_tPvRmT1_PNSt15iterator_traitsISK_E10value_typeET2_T3_PNSL_ISQ_E10value_typeET4_jRbjT5_SW_jjP12ihipStream_tbEUlT_E_NS1_11comp_targetILNS1_3genE5ELNS1_11target_archE942ELNS1_3gpuE9ELNS1_3repE0EEENS1_30default_config_static_selectorELNS0_4arch9wavefront6targetE1EEEvSK_,"axG",@progbits,_ZN7rocprim17ROCPRIM_400000_NS6detail17trampoline_kernelINS0_14default_configENS1_36segmented_radix_sort_config_selectorIhlEEZNS1_25segmented_radix_sort_implIS3_Lb1EPKhPhPKlPlN2at6native12_GLOBAL__N_18offset_tEEE10hipError_tPvRmT1_PNSt15iterator_traitsISK_E10value_typeET2_T3_PNSL_ISQ_E10value_typeET4_jRbjT5_SW_jjP12ihipStream_tbEUlT_E_NS1_11comp_targetILNS1_3genE5ELNS1_11target_archE942ELNS1_3gpuE9ELNS1_3repE0EEENS1_30default_config_static_selectorELNS0_4arch9wavefront6targetE1EEEvSK_,comdat
.Lfunc_end84:
	.size	_ZN7rocprim17ROCPRIM_400000_NS6detail17trampoline_kernelINS0_14default_configENS1_36segmented_radix_sort_config_selectorIhlEEZNS1_25segmented_radix_sort_implIS3_Lb1EPKhPhPKlPlN2at6native12_GLOBAL__N_18offset_tEEE10hipError_tPvRmT1_PNSt15iterator_traitsISK_E10value_typeET2_T3_PNSL_ISQ_E10value_typeET4_jRbjT5_SW_jjP12ihipStream_tbEUlT_E_NS1_11comp_targetILNS1_3genE5ELNS1_11target_archE942ELNS1_3gpuE9ELNS1_3repE0EEENS1_30default_config_static_selectorELNS0_4arch9wavefront6targetE1EEEvSK_, .Lfunc_end84-_ZN7rocprim17ROCPRIM_400000_NS6detail17trampoline_kernelINS0_14default_configENS1_36segmented_radix_sort_config_selectorIhlEEZNS1_25segmented_radix_sort_implIS3_Lb1EPKhPhPKlPlN2at6native12_GLOBAL__N_18offset_tEEE10hipError_tPvRmT1_PNSt15iterator_traitsISK_E10value_typeET2_T3_PNSL_ISQ_E10value_typeET4_jRbjT5_SW_jjP12ihipStream_tbEUlT_E_NS1_11comp_targetILNS1_3genE5ELNS1_11target_archE942ELNS1_3gpuE9ELNS1_3repE0EEENS1_30default_config_static_selectorELNS0_4arch9wavefront6targetE1EEEvSK_
                                        ; -- End function
	.set _ZN7rocprim17ROCPRIM_400000_NS6detail17trampoline_kernelINS0_14default_configENS1_36segmented_radix_sort_config_selectorIhlEEZNS1_25segmented_radix_sort_implIS3_Lb1EPKhPhPKlPlN2at6native12_GLOBAL__N_18offset_tEEE10hipError_tPvRmT1_PNSt15iterator_traitsISK_E10value_typeET2_T3_PNSL_ISQ_E10value_typeET4_jRbjT5_SW_jjP12ihipStream_tbEUlT_E_NS1_11comp_targetILNS1_3genE5ELNS1_11target_archE942ELNS1_3gpuE9ELNS1_3repE0EEENS1_30default_config_static_selectorELNS0_4arch9wavefront6targetE1EEEvSK_.num_vgpr, 0
	.set _ZN7rocprim17ROCPRIM_400000_NS6detail17trampoline_kernelINS0_14default_configENS1_36segmented_radix_sort_config_selectorIhlEEZNS1_25segmented_radix_sort_implIS3_Lb1EPKhPhPKlPlN2at6native12_GLOBAL__N_18offset_tEEE10hipError_tPvRmT1_PNSt15iterator_traitsISK_E10value_typeET2_T3_PNSL_ISQ_E10value_typeET4_jRbjT5_SW_jjP12ihipStream_tbEUlT_E_NS1_11comp_targetILNS1_3genE5ELNS1_11target_archE942ELNS1_3gpuE9ELNS1_3repE0EEENS1_30default_config_static_selectorELNS0_4arch9wavefront6targetE1EEEvSK_.num_agpr, 0
	.set _ZN7rocprim17ROCPRIM_400000_NS6detail17trampoline_kernelINS0_14default_configENS1_36segmented_radix_sort_config_selectorIhlEEZNS1_25segmented_radix_sort_implIS3_Lb1EPKhPhPKlPlN2at6native12_GLOBAL__N_18offset_tEEE10hipError_tPvRmT1_PNSt15iterator_traitsISK_E10value_typeET2_T3_PNSL_ISQ_E10value_typeET4_jRbjT5_SW_jjP12ihipStream_tbEUlT_E_NS1_11comp_targetILNS1_3genE5ELNS1_11target_archE942ELNS1_3gpuE9ELNS1_3repE0EEENS1_30default_config_static_selectorELNS0_4arch9wavefront6targetE1EEEvSK_.numbered_sgpr, 0
	.set _ZN7rocprim17ROCPRIM_400000_NS6detail17trampoline_kernelINS0_14default_configENS1_36segmented_radix_sort_config_selectorIhlEEZNS1_25segmented_radix_sort_implIS3_Lb1EPKhPhPKlPlN2at6native12_GLOBAL__N_18offset_tEEE10hipError_tPvRmT1_PNSt15iterator_traitsISK_E10value_typeET2_T3_PNSL_ISQ_E10value_typeET4_jRbjT5_SW_jjP12ihipStream_tbEUlT_E_NS1_11comp_targetILNS1_3genE5ELNS1_11target_archE942ELNS1_3gpuE9ELNS1_3repE0EEENS1_30default_config_static_selectorELNS0_4arch9wavefront6targetE1EEEvSK_.num_named_barrier, 0
	.set _ZN7rocprim17ROCPRIM_400000_NS6detail17trampoline_kernelINS0_14default_configENS1_36segmented_radix_sort_config_selectorIhlEEZNS1_25segmented_radix_sort_implIS3_Lb1EPKhPhPKlPlN2at6native12_GLOBAL__N_18offset_tEEE10hipError_tPvRmT1_PNSt15iterator_traitsISK_E10value_typeET2_T3_PNSL_ISQ_E10value_typeET4_jRbjT5_SW_jjP12ihipStream_tbEUlT_E_NS1_11comp_targetILNS1_3genE5ELNS1_11target_archE942ELNS1_3gpuE9ELNS1_3repE0EEENS1_30default_config_static_selectorELNS0_4arch9wavefront6targetE1EEEvSK_.private_seg_size, 0
	.set _ZN7rocprim17ROCPRIM_400000_NS6detail17trampoline_kernelINS0_14default_configENS1_36segmented_radix_sort_config_selectorIhlEEZNS1_25segmented_radix_sort_implIS3_Lb1EPKhPhPKlPlN2at6native12_GLOBAL__N_18offset_tEEE10hipError_tPvRmT1_PNSt15iterator_traitsISK_E10value_typeET2_T3_PNSL_ISQ_E10value_typeET4_jRbjT5_SW_jjP12ihipStream_tbEUlT_E_NS1_11comp_targetILNS1_3genE5ELNS1_11target_archE942ELNS1_3gpuE9ELNS1_3repE0EEENS1_30default_config_static_selectorELNS0_4arch9wavefront6targetE1EEEvSK_.uses_vcc, 0
	.set _ZN7rocprim17ROCPRIM_400000_NS6detail17trampoline_kernelINS0_14default_configENS1_36segmented_radix_sort_config_selectorIhlEEZNS1_25segmented_radix_sort_implIS3_Lb1EPKhPhPKlPlN2at6native12_GLOBAL__N_18offset_tEEE10hipError_tPvRmT1_PNSt15iterator_traitsISK_E10value_typeET2_T3_PNSL_ISQ_E10value_typeET4_jRbjT5_SW_jjP12ihipStream_tbEUlT_E_NS1_11comp_targetILNS1_3genE5ELNS1_11target_archE942ELNS1_3gpuE9ELNS1_3repE0EEENS1_30default_config_static_selectorELNS0_4arch9wavefront6targetE1EEEvSK_.uses_flat_scratch, 0
	.set _ZN7rocprim17ROCPRIM_400000_NS6detail17trampoline_kernelINS0_14default_configENS1_36segmented_radix_sort_config_selectorIhlEEZNS1_25segmented_radix_sort_implIS3_Lb1EPKhPhPKlPlN2at6native12_GLOBAL__N_18offset_tEEE10hipError_tPvRmT1_PNSt15iterator_traitsISK_E10value_typeET2_T3_PNSL_ISQ_E10value_typeET4_jRbjT5_SW_jjP12ihipStream_tbEUlT_E_NS1_11comp_targetILNS1_3genE5ELNS1_11target_archE942ELNS1_3gpuE9ELNS1_3repE0EEENS1_30default_config_static_selectorELNS0_4arch9wavefront6targetE1EEEvSK_.has_dyn_sized_stack, 0
	.set _ZN7rocprim17ROCPRIM_400000_NS6detail17trampoline_kernelINS0_14default_configENS1_36segmented_radix_sort_config_selectorIhlEEZNS1_25segmented_radix_sort_implIS3_Lb1EPKhPhPKlPlN2at6native12_GLOBAL__N_18offset_tEEE10hipError_tPvRmT1_PNSt15iterator_traitsISK_E10value_typeET2_T3_PNSL_ISQ_E10value_typeET4_jRbjT5_SW_jjP12ihipStream_tbEUlT_E_NS1_11comp_targetILNS1_3genE5ELNS1_11target_archE942ELNS1_3gpuE9ELNS1_3repE0EEENS1_30default_config_static_selectorELNS0_4arch9wavefront6targetE1EEEvSK_.has_recursion, 0
	.set _ZN7rocprim17ROCPRIM_400000_NS6detail17trampoline_kernelINS0_14default_configENS1_36segmented_radix_sort_config_selectorIhlEEZNS1_25segmented_radix_sort_implIS3_Lb1EPKhPhPKlPlN2at6native12_GLOBAL__N_18offset_tEEE10hipError_tPvRmT1_PNSt15iterator_traitsISK_E10value_typeET2_T3_PNSL_ISQ_E10value_typeET4_jRbjT5_SW_jjP12ihipStream_tbEUlT_E_NS1_11comp_targetILNS1_3genE5ELNS1_11target_archE942ELNS1_3gpuE9ELNS1_3repE0EEENS1_30default_config_static_selectorELNS0_4arch9wavefront6targetE1EEEvSK_.has_indirect_call, 0
	.section	.AMDGPU.csdata,"",@progbits
; Kernel info:
; codeLenInByte = 0
; TotalNumSgprs: 4
; NumVgprs: 0
; ScratchSize: 0
; MemoryBound: 0
; FloatMode: 240
; IeeeMode: 1
; LDSByteSize: 0 bytes/workgroup (compile time only)
; SGPRBlocks: 0
; VGPRBlocks: 0
; NumSGPRsForWavesPerEU: 4
; NumVGPRsForWavesPerEU: 1
; Occupancy: 10
; WaveLimiterHint : 0
; COMPUTE_PGM_RSRC2:SCRATCH_EN: 0
; COMPUTE_PGM_RSRC2:USER_SGPR: 6
; COMPUTE_PGM_RSRC2:TRAP_HANDLER: 0
; COMPUTE_PGM_RSRC2:TGID_X_EN: 1
; COMPUTE_PGM_RSRC2:TGID_Y_EN: 0
; COMPUTE_PGM_RSRC2:TGID_Z_EN: 0
; COMPUTE_PGM_RSRC2:TIDIG_COMP_CNT: 0
	.section	.text._ZN7rocprim17ROCPRIM_400000_NS6detail17trampoline_kernelINS0_14default_configENS1_36segmented_radix_sort_config_selectorIhlEEZNS1_25segmented_radix_sort_implIS3_Lb1EPKhPhPKlPlN2at6native12_GLOBAL__N_18offset_tEEE10hipError_tPvRmT1_PNSt15iterator_traitsISK_E10value_typeET2_T3_PNSL_ISQ_E10value_typeET4_jRbjT5_SW_jjP12ihipStream_tbEUlT_E_NS1_11comp_targetILNS1_3genE4ELNS1_11target_archE910ELNS1_3gpuE8ELNS1_3repE0EEENS1_30default_config_static_selectorELNS0_4arch9wavefront6targetE1EEEvSK_,"axG",@progbits,_ZN7rocprim17ROCPRIM_400000_NS6detail17trampoline_kernelINS0_14default_configENS1_36segmented_radix_sort_config_selectorIhlEEZNS1_25segmented_radix_sort_implIS3_Lb1EPKhPhPKlPlN2at6native12_GLOBAL__N_18offset_tEEE10hipError_tPvRmT1_PNSt15iterator_traitsISK_E10value_typeET2_T3_PNSL_ISQ_E10value_typeET4_jRbjT5_SW_jjP12ihipStream_tbEUlT_E_NS1_11comp_targetILNS1_3genE4ELNS1_11target_archE910ELNS1_3gpuE8ELNS1_3repE0EEENS1_30default_config_static_selectorELNS0_4arch9wavefront6targetE1EEEvSK_,comdat
	.globl	_ZN7rocprim17ROCPRIM_400000_NS6detail17trampoline_kernelINS0_14default_configENS1_36segmented_radix_sort_config_selectorIhlEEZNS1_25segmented_radix_sort_implIS3_Lb1EPKhPhPKlPlN2at6native12_GLOBAL__N_18offset_tEEE10hipError_tPvRmT1_PNSt15iterator_traitsISK_E10value_typeET2_T3_PNSL_ISQ_E10value_typeET4_jRbjT5_SW_jjP12ihipStream_tbEUlT_E_NS1_11comp_targetILNS1_3genE4ELNS1_11target_archE910ELNS1_3gpuE8ELNS1_3repE0EEENS1_30default_config_static_selectorELNS0_4arch9wavefront6targetE1EEEvSK_ ; -- Begin function _ZN7rocprim17ROCPRIM_400000_NS6detail17trampoline_kernelINS0_14default_configENS1_36segmented_radix_sort_config_selectorIhlEEZNS1_25segmented_radix_sort_implIS3_Lb1EPKhPhPKlPlN2at6native12_GLOBAL__N_18offset_tEEE10hipError_tPvRmT1_PNSt15iterator_traitsISK_E10value_typeET2_T3_PNSL_ISQ_E10value_typeET4_jRbjT5_SW_jjP12ihipStream_tbEUlT_E_NS1_11comp_targetILNS1_3genE4ELNS1_11target_archE910ELNS1_3gpuE8ELNS1_3repE0EEENS1_30default_config_static_selectorELNS0_4arch9wavefront6targetE1EEEvSK_
	.p2align	8
	.type	_ZN7rocprim17ROCPRIM_400000_NS6detail17trampoline_kernelINS0_14default_configENS1_36segmented_radix_sort_config_selectorIhlEEZNS1_25segmented_radix_sort_implIS3_Lb1EPKhPhPKlPlN2at6native12_GLOBAL__N_18offset_tEEE10hipError_tPvRmT1_PNSt15iterator_traitsISK_E10value_typeET2_T3_PNSL_ISQ_E10value_typeET4_jRbjT5_SW_jjP12ihipStream_tbEUlT_E_NS1_11comp_targetILNS1_3genE4ELNS1_11target_archE910ELNS1_3gpuE8ELNS1_3repE0EEENS1_30default_config_static_selectorELNS0_4arch9wavefront6targetE1EEEvSK_,@function
_ZN7rocprim17ROCPRIM_400000_NS6detail17trampoline_kernelINS0_14default_configENS1_36segmented_radix_sort_config_selectorIhlEEZNS1_25segmented_radix_sort_implIS3_Lb1EPKhPhPKlPlN2at6native12_GLOBAL__N_18offset_tEEE10hipError_tPvRmT1_PNSt15iterator_traitsISK_E10value_typeET2_T3_PNSL_ISQ_E10value_typeET4_jRbjT5_SW_jjP12ihipStream_tbEUlT_E_NS1_11comp_targetILNS1_3genE4ELNS1_11target_archE910ELNS1_3gpuE8ELNS1_3repE0EEENS1_30default_config_static_selectorELNS0_4arch9wavefront6targetE1EEEvSK_: ; @_ZN7rocprim17ROCPRIM_400000_NS6detail17trampoline_kernelINS0_14default_configENS1_36segmented_radix_sort_config_selectorIhlEEZNS1_25segmented_radix_sort_implIS3_Lb1EPKhPhPKlPlN2at6native12_GLOBAL__N_18offset_tEEE10hipError_tPvRmT1_PNSt15iterator_traitsISK_E10value_typeET2_T3_PNSL_ISQ_E10value_typeET4_jRbjT5_SW_jjP12ihipStream_tbEUlT_E_NS1_11comp_targetILNS1_3genE4ELNS1_11target_archE910ELNS1_3gpuE8ELNS1_3repE0EEENS1_30default_config_static_selectorELNS0_4arch9wavefront6targetE1EEEvSK_
; %bb.0:
	.section	.rodata,"a",@progbits
	.p2align	6, 0x0
	.amdhsa_kernel _ZN7rocprim17ROCPRIM_400000_NS6detail17trampoline_kernelINS0_14default_configENS1_36segmented_radix_sort_config_selectorIhlEEZNS1_25segmented_radix_sort_implIS3_Lb1EPKhPhPKlPlN2at6native12_GLOBAL__N_18offset_tEEE10hipError_tPvRmT1_PNSt15iterator_traitsISK_E10value_typeET2_T3_PNSL_ISQ_E10value_typeET4_jRbjT5_SW_jjP12ihipStream_tbEUlT_E_NS1_11comp_targetILNS1_3genE4ELNS1_11target_archE910ELNS1_3gpuE8ELNS1_3repE0EEENS1_30default_config_static_selectorELNS0_4arch9wavefront6targetE1EEEvSK_
		.amdhsa_group_segment_fixed_size 0
		.amdhsa_private_segment_fixed_size 0
		.amdhsa_kernarg_size 96
		.amdhsa_user_sgpr_count 6
		.amdhsa_user_sgpr_private_segment_buffer 1
		.amdhsa_user_sgpr_dispatch_ptr 0
		.amdhsa_user_sgpr_queue_ptr 0
		.amdhsa_user_sgpr_kernarg_segment_ptr 1
		.amdhsa_user_sgpr_dispatch_id 0
		.amdhsa_user_sgpr_flat_scratch_init 0
		.amdhsa_user_sgpr_private_segment_size 0
		.amdhsa_uses_dynamic_stack 0
		.amdhsa_system_sgpr_private_segment_wavefront_offset 0
		.amdhsa_system_sgpr_workgroup_id_x 1
		.amdhsa_system_sgpr_workgroup_id_y 0
		.amdhsa_system_sgpr_workgroup_id_z 0
		.amdhsa_system_sgpr_workgroup_info 0
		.amdhsa_system_vgpr_workitem_id 0
		.amdhsa_next_free_vgpr 1
		.amdhsa_next_free_sgpr 0
		.amdhsa_reserve_vcc 0
		.amdhsa_reserve_flat_scratch 0
		.amdhsa_float_round_mode_32 0
		.amdhsa_float_round_mode_16_64 0
		.amdhsa_float_denorm_mode_32 3
		.amdhsa_float_denorm_mode_16_64 3
		.amdhsa_dx10_clamp 1
		.amdhsa_ieee_mode 1
		.amdhsa_fp16_overflow 0
		.amdhsa_exception_fp_ieee_invalid_op 0
		.amdhsa_exception_fp_denorm_src 0
		.amdhsa_exception_fp_ieee_div_zero 0
		.amdhsa_exception_fp_ieee_overflow 0
		.amdhsa_exception_fp_ieee_underflow 0
		.amdhsa_exception_fp_ieee_inexact 0
		.amdhsa_exception_int_div_zero 0
	.end_amdhsa_kernel
	.section	.text._ZN7rocprim17ROCPRIM_400000_NS6detail17trampoline_kernelINS0_14default_configENS1_36segmented_radix_sort_config_selectorIhlEEZNS1_25segmented_radix_sort_implIS3_Lb1EPKhPhPKlPlN2at6native12_GLOBAL__N_18offset_tEEE10hipError_tPvRmT1_PNSt15iterator_traitsISK_E10value_typeET2_T3_PNSL_ISQ_E10value_typeET4_jRbjT5_SW_jjP12ihipStream_tbEUlT_E_NS1_11comp_targetILNS1_3genE4ELNS1_11target_archE910ELNS1_3gpuE8ELNS1_3repE0EEENS1_30default_config_static_selectorELNS0_4arch9wavefront6targetE1EEEvSK_,"axG",@progbits,_ZN7rocprim17ROCPRIM_400000_NS6detail17trampoline_kernelINS0_14default_configENS1_36segmented_radix_sort_config_selectorIhlEEZNS1_25segmented_radix_sort_implIS3_Lb1EPKhPhPKlPlN2at6native12_GLOBAL__N_18offset_tEEE10hipError_tPvRmT1_PNSt15iterator_traitsISK_E10value_typeET2_T3_PNSL_ISQ_E10value_typeET4_jRbjT5_SW_jjP12ihipStream_tbEUlT_E_NS1_11comp_targetILNS1_3genE4ELNS1_11target_archE910ELNS1_3gpuE8ELNS1_3repE0EEENS1_30default_config_static_selectorELNS0_4arch9wavefront6targetE1EEEvSK_,comdat
.Lfunc_end85:
	.size	_ZN7rocprim17ROCPRIM_400000_NS6detail17trampoline_kernelINS0_14default_configENS1_36segmented_radix_sort_config_selectorIhlEEZNS1_25segmented_radix_sort_implIS3_Lb1EPKhPhPKlPlN2at6native12_GLOBAL__N_18offset_tEEE10hipError_tPvRmT1_PNSt15iterator_traitsISK_E10value_typeET2_T3_PNSL_ISQ_E10value_typeET4_jRbjT5_SW_jjP12ihipStream_tbEUlT_E_NS1_11comp_targetILNS1_3genE4ELNS1_11target_archE910ELNS1_3gpuE8ELNS1_3repE0EEENS1_30default_config_static_selectorELNS0_4arch9wavefront6targetE1EEEvSK_, .Lfunc_end85-_ZN7rocprim17ROCPRIM_400000_NS6detail17trampoline_kernelINS0_14default_configENS1_36segmented_radix_sort_config_selectorIhlEEZNS1_25segmented_radix_sort_implIS3_Lb1EPKhPhPKlPlN2at6native12_GLOBAL__N_18offset_tEEE10hipError_tPvRmT1_PNSt15iterator_traitsISK_E10value_typeET2_T3_PNSL_ISQ_E10value_typeET4_jRbjT5_SW_jjP12ihipStream_tbEUlT_E_NS1_11comp_targetILNS1_3genE4ELNS1_11target_archE910ELNS1_3gpuE8ELNS1_3repE0EEENS1_30default_config_static_selectorELNS0_4arch9wavefront6targetE1EEEvSK_
                                        ; -- End function
	.set _ZN7rocprim17ROCPRIM_400000_NS6detail17trampoline_kernelINS0_14default_configENS1_36segmented_radix_sort_config_selectorIhlEEZNS1_25segmented_radix_sort_implIS3_Lb1EPKhPhPKlPlN2at6native12_GLOBAL__N_18offset_tEEE10hipError_tPvRmT1_PNSt15iterator_traitsISK_E10value_typeET2_T3_PNSL_ISQ_E10value_typeET4_jRbjT5_SW_jjP12ihipStream_tbEUlT_E_NS1_11comp_targetILNS1_3genE4ELNS1_11target_archE910ELNS1_3gpuE8ELNS1_3repE0EEENS1_30default_config_static_selectorELNS0_4arch9wavefront6targetE1EEEvSK_.num_vgpr, 0
	.set _ZN7rocprim17ROCPRIM_400000_NS6detail17trampoline_kernelINS0_14default_configENS1_36segmented_radix_sort_config_selectorIhlEEZNS1_25segmented_radix_sort_implIS3_Lb1EPKhPhPKlPlN2at6native12_GLOBAL__N_18offset_tEEE10hipError_tPvRmT1_PNSt15iterator_traitsISK_E10value_typeET2_T3_PNSL_ISQ_E10value_typeET4_jRbjT5_SW_jjP12ihipStream_tbEUlT_E_NS1_11comp_targetILNS1_3genE4ELNS1_11target_archE910ELNS1_3gpuE8ELNS1_3repE0EEENS1_30default_config_static_selectorELNS0_4arch9wavefront6targetE1EEEvSK_.num_agpr, 0
	.set _ZN7rocprim17ROCPRIM_400000_NS6detail17trampoline_kernelINS0_14default_configENS1_36segmented_radix_sort_config_selectorIhlEEZNS1_25segmented_radix_sort_implIS3_Lb1EPKhPhPKlPlN2at6native12_GLOBAL__N_18offset_tEEE10hipError_tPvRmT1_PNSt15iterator_traitsISK_E10value_typeET2_T3_PNSL_ISQ_E10value_typeET4_jRbjT5_SW_jjP12ihipStream_tbEUlT_E_NS1_11comp_targetILNS1_3genE4ELNS1_11target_archE910ELNS1_3gpuE8ELNS1_3repE0EEENS1_30default_config_static_selectorELNS0_4arch9wavefront6targetE1EEEvSK_.numbered_sgpr, 0
	.set _ZN7rocprim17ROCPRIM_400000_NS6detail17trampoline_kernelINS0_14default_configENS1_36segmented_radix_sort_config_selectorIhlEEZNS1_25segmented_radix_sort_implIS3_Lb1EPKhPhPKlPlN2at6native12_GLOBAL__N_18offset_tEEE10hipError_tPvRmT1_PNSt15iterator_traitsISK_E10value_typeET2_T3_PNSL_ISQ_E10value_typeET4_jRbjT5_SW_jjP12ihipStream_tbEUlT_E_NS1_11comp_targetILNS1_3genE4ELNS1_11target_archE910ELNS1_3gpuE8ELNS1_3repE0EEENS1_30default_config_static_selectorELNS0_4arch9wavefront6targetE1EEEvSK_.num_named_barrier, 0
	.set _ZN7rocprim17ROCPRIM_400000_NS6detail17trampoline_kernelINS0_14default_configENS1_36segmented_radix_sort_config_selectorIhlEEZNS1_25segmented_radix_sort_implIS3_Lb1EPKhPhPKlPlN2at6native12_GLOBAL__N_18offset_tEEE10hipError_tPvRmT1_PNSt15iterator_traitsISK_E10value_typeET2_T3_PNSL_ISQ_E10value_typeET4_jRbjT5_SW_jjP12ihipStream_tbEUlT_E_NS1_11comp_targetILNS1_3genE4ELNS1_11target_archE910ELNS1_3gpuE8ELNS1_3repE0EEENS1_30default_config_static_selectorELNS0_4arch9wavefront6targetE1EEEvSK_.private_seg_size, 0
	.set _ZN7rocprim17ROCPRIM_400000_NS6detail17trampoline_kernelINS0_14default_configENS1_36segmented_radix_sort_config_selectorIhlEEZNS1_25segmented_radix_sort_implIS3_Lb1EPKhPhPKlPlN2at6native12_GLOBAL__N_18offset_tEEE10hipError_tPvRmT1_PNSt15iterator_traitsISK_E10value_typeET2_T3_PNSL_ISQ_E10value_typeET4_jRbjT5_SW_jjP12ihipStream_tbEUlT_E_NS1_11comp_targetILNS1_3genE4ELNS1_11target_archE910ELNS1_3gpuE8ELNS1_3repE0EEENS1_30default_config_static_selectorELNS0_4arch9wavefront6targetE1EEEvSK_.uses_vcc, 0
	.set _ZN7rocprim17ROCPRIM_400000_NS6detail17trampoline_kernelINS0_14default_configENS1_36segmented_radix_sort_config_selectorIhlEEZNS1_25segmented_radix_sort_implIS3_Lb1EPKhPhPKlPlN2at6native12_GLOBAL__N_18offset_tEEE10hipError_tPvRmT1_PNSt15iterator_traitsISK_E10value_typeET2_T3_PNSL_ISQ_E10value_typeET4_jRbjT5_SW_jjP12ihipStream_tbEUlT_E_NS1_11comp_targetILNS1_3genE4ELNS1_11target_archE910ELNS1_3gpuE8ELNS1_3repE0EEENS1_30default_config_static_selectorELNS0_4arch9wavefront6targetE1EEEvSK_.uses_flat_scratch, 0
	.set _ZN7rocprim17ROCPRIM_400000_NS6detail17trampoline_kernelINS0_14default_configENS1_36segmented_radix_sort_config_selectorIhlEEZNS1_25segmented_radix_sort_implIS3_Lb1EPKhPhPKlPlN2at6native12_GLOBAL__N_18offset_tEEE10hipError_tPvRmT1_PNSt15iterator_traitsISK_E10value_typeET2_T3_PNSL_ISQ_E10value_typeET4_jRbjT5_SW_jjP12ihipStream_tbEUlT_E_NS1_11comp_targetILNS1_3genE4ELNS1_11target_archE910ELNS1_3gpuE8ELNS1_3repE0EEENS1_30default_config_static_selectorELNS0_4arch9wavefront6targetE1EEEvSK_.has_dyn_sized_stack, 0
	.set _ZN7rocprim17ROCPRIM_400000_NS6detail17trampoline_kernelINS0_14default_configENS1_36segmented_radix_sort_config_selectorIhlEEZNS1_25segmented_radix_sort_implIS3_Lb1EPKhPhPKlPlN2at6native12_GLOBAL__N_18offset_tEEE10hipError_tPvRmT1_PNSt15iterator_traitsISK_E10value_typeET2_T3_PNSL_ISQ_E10value_typeET4_jRbjT5_SW_jjP12ihipStream_tbEUlT_E_NS1_11comp_targetILNS1_3genE4ELNS1_11target_archE910ELNS1_3gpuE8ELNS1_3repE0EEENS1_30default_config_static_selectorELNS0_4arch9wavefront6targetE1EEEvSK_.has_recursion, 0
	.set _ZN7rocprim17ROCPRIM_400000_NS6detail17trampoline_kernelINS0_14default_configENS1_36segmented_radix_sort_config_selectorIhlEEZNS1_25segmented_radix_sort_implIS3_Lb1EPKhPhPKlPlN2at6native12_GLOBAL__N_18offset_tEEE10hipError_tPvRmT1_PNSt15iterator_traitsISK_E10value_typeET2_T3_PNSL_ISQ_E10value_typeET4_jRbjT5_SW_jjP12ihipStream_tbEUlT_E_NS1_11comp_targetILNS1_3genE4ELNS1_11target_archE910ELNS1_3gpuE8ELNS1_3repE0EEENS1_30default_config_static_selectorELNS0_4arch9wavefront6targetE1EEEvSK_.has_indirect_call, 0
	.section	.AMDGPU.csdata,"",@progbits
; Kernel info:
; codeLenInByte = 0
; TotalNumSgprs: 4
; NumVgprs: 0
; ScratchSize: 0
; MemoryBound: 0
; FloatMode: 240
; IeeeMode: 1
; LDSByteSize: 0 bytes/workgroup (compile time only)
; SGPRBlocks: 0
; VGPRBlocks: 0
; NumSGPRsForWavesPerEU: 4
; NumVGPRsForWavesPerEU: 1
; Occupancy: 10
; WaveLimiterHint : 0
; COMPUTE_PGM_RSRC2:SCRATCH_EN: 0
; COMPUTE_PGM_RSRC2:USER_SGPR: 6
; COMPUTE_PGM_RSRC2:TRAP_HANDLER: 0
; COMPUTE_PGM_RSRC2:TGID_X_EN: 1
; COMPUTE_PGM_RSRC2:TGID_Y_EN: 0
; COMPUTE_PGM_RSRC2:TGID_Z_EN: 0
; COMPUTE_PGM_RSRC2:TIDIG_COMP_CNT: 0
	.section	.text._ZN7rocprim17ROCPRIM_400000_NS6detail17trampoline_kernelINS0_14default_configENS1_36segmented_radix_sort_config_selectorIhlEEZNS1_25segmented_radix_sort_implIS3_Lb1EPKhPhPKlPlN2at6native12_GLOBAL__N_18offset_tEEE10hipError_tPvRmT1_PNSt15iterator_traitsISK_E10value_typeET2_T3_PNSL_ISQ_E10value_typeET4_jRbjT5_SW_jjP12ihipStream_tbEUlT_E_NS1_11comp_targetILNS1_3genE3ELNS1_11target_archE908ELNS1_3gpuE7ELNS1_3repE0EEENS1_30default_config_static_selectorELNS0_4arch9wavefront6targetE1EEEvSK_,"axG",@progbits,_ZN7rocprim17ROCPRIM_400000_NS6detail17trampoline_kernelINS0_14default_configENS1_36segmented_radix_sort_config_selectorIhlEEZNS1_25segmented_radix_sort_implIS3_Lb1EPKhPhPKlPlN2at6native12_GLOBAL__N_18offset_tEEE10hipError_tPvRmT1_PNSt15iterator_traitsISK_E10value_typeET2_T3_PNSL_ISQ_E10value_typeET4_jRbjT5_SW_jjP12ihipStream_tbEUlT_E_NS1_11comp_targetILNS1_3genE3ELNS1_11target_archE908ELNS1_3gpuE7ELNS1_3repE0EEENS1_30default_config_static_selectorELNS0_4arch9wavefront6targetE1EEEvSK_,comdat
	.globl	_ZN7rocprim17ROCPRIM_400000_NS6detail17trampoline_kernelINS0_14default_configENS1_36segmented_radix_sort_config_selectorIhlEEZNS1_25segmented_radix_sort_implIS3_Lb1EPKhPhPKlPlN2at6native12_GLOBAL__N_18offset_tEEE10hipError_tPvRmT1_PNSt15iterator_traitsISK_E10value_typeET2_T3_PNSL_ISQ_E10value_typeET4_jRbjT5_SW_jjP12ihipStream_tbEUlT_E_NS1_11comp_targetILNS1_3genE3ELNS1_11target_archE908ELNS1_3gpuE7ELNS1_3repE0EEENS1_30default_config_static_selectorELNS0_4arch9wavefront6targetE1EEEvSK_ ; -- Begin function _ZN7rocprim17ROCPRIM_400000_NS6detail17trampoline_kernelINS0_14default_configENS1_36segmented_radix_sort_config_selectorIhlEEZNS1_25segmented_radix_sort_implIS3_Lb1EPKhPhPKlPlN2at6native12_GLOBAL__N_18offset_tEEE10hipError_tPvRmT1_PNSt15iterator_traitsISK_E10value_typeET2_T3_PNSL_ISQ_E10value_typeET4_jRbjT5_SW_jjP12ihipStream_tbEUlT_E_NS1_11comp_targetILNS1_3genE3ELNS1_11target_archE908ELNS1_3gpuE7ELNS1_3repE0EEENS1_30default_config_static_selectorELNS0_4arch9wavefront6targetE1EEEvSK_
	.p2align	8
	.type	_ZN7rocprim17ROCPRIM_400000_NS6detail17trampoline_kernelINS0_14default_configENS1_36segmented_radix_sort_config_selectorIhlEEZNS1_25segmented_radix_sort_implIS3_Lb1EPKhPhPKlPlN2at6native12_GLOBAL__N_18offset_tEEE10hipError_tPvRmT1_PNSt15iterator_traitsISK_E10value_typeET2_T3_PNSL_ISQ_E10value_typeET4_jRbjT5_SW_jjP12ihipStream_tbEUlT_E_NS1_11comp_targetILNS1_3genE3ELNS1_11target_archE908ELNS1_3gpuE7ELNS1_3repE0EEENS1_30default_config_static_selectorELNS0_4arch9wavefront6targetE1EEEvSK_,@function
_ZN7rocprim17ROCPRIM_400000_NS6detail17trampoline_kernelINS0_14default_configENS1_36segmented_radix_sort_config_selectorIhlEEZNS1_25segmented_radix_sort_implIS3_Lb1EPKhPhPKlPlN2at6native12_GLOBAL__N_18offset_tEEE10hipError_tPvRmT1_PNSt15iterator_traitsISK_E10value_typeET2_T3_PNSL_ISQ_E10value_typeET4_jRbjT5_SW_jjP12ihipStream_tbEUlT_E_NS1_11comp_targetILNS1_3genE3ELNS1_11target_archE908ELNS1_3gpuE7ELNS1_3repE0EEENS1_30default_config_static_selectorELNS0_4arch9wavefront6targetE1EEEvSK_: ; @_ZN7rocprim17ROCPRIM_400000_NS6detail17trampoline_kernelINS0_14default_configENS1_36segmented_radix_sort_config_selectorIhlEEZNS1_25segmented_radix_sort_implIS3_Lb1EPKhPhPKlPlN2at6native12_GLOBAL__N_18offset_tEEE10hipError_tPvRmT1_PNSt15iterator_traitsISK_E10value_typeET2_T3_PNSL_ISQ_E10value_typeET4_jRbjT5_SW_jjP12ihipStream_tbEUlT_E_NS1_11comp_targetILNS1_3genE3ELNS1_11target_archE908ELNS1_3gpuE7ELNS1_3repE0EEENS1_30default_config_static_selectorELNS0_4arch9wavefront6targetE1EEEvSK_
; %bb.0:
	.section	.rodata,"a",@progbits
	.p2align	6, 0x0
	.amdhsa_kernel _ZN7rocprim17ROCPRIM_400000_NS6detail17trampoline_kernelINS0_14default_configENS1_36segmented_radix_sort_config_selectorIhlEEZNS1_25segmented_radix_sort_implIS3_Lb1EPKhPhPKlPlN2at6native12_GLOBAL__N_18offset_tEEE10hipError_tPvRmT1_PNSt15iterator_traitsISK_E10value_typeET2_T3_PNSL_ISQ_E10value_typeET4_jRbjT5_SW_jjP12ihipStream_tbEUlT_E_NS1_11comp_targetILNS1_3genE3ELNS1_11target_archE908ELNS1_3gpuE7ELNS1_3repE0EEENS1_30default_config_static_selectorELNS0_4arch9wavefront6targetE1EEEvSK_
		.amdhsa_group_segment_fixed_size 0
		.amdhsa_private_segment_fixed_size 0
		.amdhsa_kernarg_size 96
		.amdhsa_user_sgpr_count 6
		.amdhsa_user_sgpr_private_segment_buffer 1
		.amdhsa_user_sgpr_dispatch_ptr 0
		.amdhsa_user_sgpr_queue_ptr 0
		.amdhsa_user_sgpr_kernarg_segment_ptr 1
		.amdhsa_user_sgpr_dispatch_id 0
		.amdhsa_user_sgpr_flat_scratch_init 0
		.amdhsa_user_sgpr_private_segment_size 0
		.amdhsa_uses_dynamic_stack 0
		.amdhsa_system_sgpr_private_segment_wavefront_offset 0
		.amdhsa_system_sgpr_workgroup_id_x 1
		.amdhsa_system_sgpr_workgroup_id_y 0
		.amdhsa_system_sgpr_workgroup_id_z 0
		.amdhsa_system_sgpr_workgroup_info 0
		.amdhsa_system_vgpr_workitem_id 0
		.amdhsa_next_free_vgpr 1
		.amdhsa_next_free_sgpr 0
		.amdhsa_reserve_vcc 0
		.amdhsa_reserve_flat_scratch 0
		.amdhsa_float_round_mode_32 0
		.amdhsa_float_round_mode_16_64 0
		.amdhsa_float_denorm_mode_32 3
		.amdhsa_float_denorm_mode_16_64 3
		.amdhsa_dx10_clamp 1
		.amdhsa_ieee_mode 1
		.amdhsa_fp16_overflow 0
		.amdhsa_exception_fp_ieee_invalid_op 0
		.amdhsa_exception_fp_denorm_src 0
		.amdhsa_exception_fp_ieee_div_zero 0
		.amdhsa_exception_fp_ieee_overflow 0
		.amdhsa_exception_fp_ieee_underflow 0
		.amdhsa_exception_fp_ieee_inexact 0
		.amdhsa_exception_int_div_zero 0
	.end_amdhsa_kernel
	.section	.text._ZN7rocprim17ROCPRIM_400000_NS6detail17trampoline_kernelINS0_14default_configENS1_36segmented_radix_sort_config_selectorIhlEEZNS1_25segmented_radix_sort_implIS3_Lb1EPKhPhPKlPlN2at6native12_GLOBAL__N_18offset_tEEE10hipError_tPvRmT1_PNSt15iterator_traitsISK_E10value_typeET2_T3_PNSL_ISQ_E10value_typeET4_jRbjT5_SW_jjP12ihipStream_tbEUlT_E_NS1_11comp_targetILNS1_3genE3ELNS1_11target_archE908ELNS1_3gpuE7ELNS1_3repE0EEENS1_30default_config_static_selectorELNS0_4arch9wavefront6targetE1EEEvSK_,"axG",@progbits,_ZN7rocprim17ROCPRIM_400000_NS6detail17trampoline_kernelINS0_14default_configENS1_36segmented_radix_sort_config_selectorIhlEEZNS1_25segmented_radix_sort_implIS3_Lb1EPKhPhPKlPlN2at6native12_GLOBAL__N_18offset_tEEE10hipError_tPvRmT1_PNSt15iterator_traitsISK_E10value_typeET2_T3_PNSL_ISQ_E10value_typeET4_jRbjT5_SW_jjP12ihipStream_tbEUlT_E_NS1_11comp_targetILNS1_3genE3ELNS1_11target_archE908ELNS1_3gpuE7ELNS1_3repE0EEENS1_30default_config_static_selectorELNS0_4arch9wavefront6targetE1EEEvSK_,comdat
.Lfunc_end86:
	.size	_ZN7rocprim17ROCPRIM_400000_NS6detail17trampoline_kernelINS0_14default_configENS1_36segmented_radix_sort_config_selectorIhlEEZNS1_25segmented_radix_sort_implIS3_Lb1EPKhPhPKlPlN2at6native12_GLOBAL__N_18offset_tEEE10hipError_tPvRmT1_PNSt15iterator_traitsISK_E10value_typeET2_T3_PNSL_ISQ_E10value_typeET4_jRbjT5_SW_jjP12ihipStream_tbEUlT_E_NS1_11comp_targetILNS1_3genE3ELNS1_11target_archE908ELNS1_3gpuE7ELNS1_3repE0EEENS1_30default_config_static_selectorELNS0_4arch9wavefront6targetE1EEEvSK_, .Lfunc_end86-_ZN7rocprim17ROCPRIM_400000_NS6detail17trampoline_kernelINS0_14default_configENS1_36segmented_radix_sort_config_selectorIhlEEZNS1_25segmented_radix_sort_implIS3_Lb1EPKhPhPKlPlN2at6native12_GLOBAL__N_18offset_tEEE10hipError_tPvRmT1_PNSt15iterator_traitsISK_E10value_typeET2_T3_PNSL_ISQ_E10value_typeET4_jRbjT5_SW_jjP12ihipStream_tbEUlT_E_NS1_11comp_targetILNS1_3genE3ELNS1_11target_archE908ELNS1_3gpuE7ELNS1_3repE0EEENS1_30default_config_static_selectorELNS0_4arch9wavefront6targetE1EEEvSK_
                                        ; -- End function
	.set _ZN7rocprim17ROCPRIM_400000_NS6detail17trampoline_kernelINS0_14default_configENS1_36segmented_radix_sort_config_selectorIhlEEZNS1_25segmented_radix_sort_implIS3_Lb1EPKhPhPKlPlN2at6native12_GLOBAL__N_18offset_tEEE10hipError_tPvRmT1_PNSt15iterator_traitsISK_E10value_typeET2_T3_PNSL_ISQ_E10value_typeET4_jRbjT5_SW_jjP12ihipStream_tbEUlT_E_NS1_11comp_targetILNS1_3genE3ELNS1_11target_archE908ELNS1_3gpuE7ELNS1_3repE0EEENS1_30default_config_static_selectorELNS0_4arch9wavefront6targetE1EEEvSK_.num_vgpr, 0
	.set _ZN7rocprim17ROCPRIM_400000_NS6detail17trampoline_kernelINS0_14default_configENS1_36segmented_radix_sort_config_selectorIhlEEZNS1_25segmented_radix_sort_implIS3_Lb1EPKhPhPKlPlN2at6native12_GLOBAL__N_18offset_tEEE10hipError_tPvRmT1_PNSt15iterator_traitsISK_E10value_typeET2_T3_PNSL_ISQ_E10value_typeET4_jRbjT5_SW_jjP12ihipStream_tbEUlT_E_NS1_11comp_targetILNS1_3genE3ELNS1_11target_archE908ELNS1_3gpuE7ELNS1_3repE0EEENS1_30default_config_static_selectorELNS0_4arch9wavefront6targetE1EEEvSK_.num_agpr, 0
	.set _ZN7rocprim17ROCPRIM_400000_NS6detail17trampoline_kernelINS0_14default_configENS1_36segmented_radix_sort_config_selectorIhlEEZNS1_25segmented_radix_sort_implIS3_Lb1EPKhPhPKlPlN2at6native12_GLOBAL__N_18offset_tEEE10hipError_tPvRmT1_PNSt15iterator_traitsISK_E10value_typeET2_T3_PNSL_ISQ_E10value_typeET4_jRbjT5_SW_jjP12ihipStream_tbEUlT_E_NS1_11comp_targetILNS1_3genE3ELNS1_11target_archE908ELNS1_3gpuE7ELNS1_3repE0EEENS1_30default_config_static_selectorELNS0_4arch9wavefront6targetE1EEEvSK_.numbered_sgpr, 0
	.set _ZN7rocprim17ROCPRIM_400000_NS6detail17trampoline_kernelINS0_14default_configENS1_36segmented_radix_sort_config_selectorIhlEEZNS1_25segmented_radix_sort_implIS3_Lb1EPKhPhPKlPlN2at6native12_GLOBAL__N_18offset_tEEE10hipError_tPvRmT1_PNSt15iterator_traitsISK_E10value_typeET2_T3_PNSL_ISQ_E10value_typeET4_jRbjT5_SW_jjP12ihipStream_tbEUlT_E_NS1_11comp_targetILNS1_3genE3ELNS1_11target_archE908ELNS1_3gpuE7ELNS1_3repE0EEENS1_30default_config_static_selectorELNS0_4arch9wavefront6targetE1EEEvSK_.num_named_barrier, 0
	.set _ZN7rocprim17ROCPRIM_400000_NS6detail17trampoline_kernelINS0_14default_configENS1_36segmented_radix_sort_config_selectorIhlEEZNS1_25segmented_radix_sort_implIS3_Lb1EPKhPhPKlPlN2at6native12_GLOBAL__N_18offset_tEEE10hipError_tPvRmT1_PNSt15iterator_traitsISK_E10value_typeET2_T3_PNSL_ISQ_E10value_typeET4_jRbjT5_SW_jjP12ihipStream_tbEUlT_E_NS1_11comp_targetILNS1_3genE3ELNS1_11target_archE908ELNS1_3gpuE7ELNS1_3repE0EEENS1_30default_config_static_selectorELNS0_4arch9wavefront6targetE1EEEvSK_.private_seg_size, 0
	.set _ZN7rocprim17ROCPRIM_400000_NS6detail17trampoline_kernelINS0_14default_configENS1_36segmented_radix_sort_config_selectorIhlEEZNS1_25segmented_radix_sort_implIS3_Lb1EPKhPhPKlPlN2at6native12_GLOBAL__N_18offset_tEEE10hipError_tPvRmT1_PNSt15iterator_traitsISK_E10value_typeET2_T3_PNSL_ISQ_E10value_typeET4_jRbjT5_SW_jjP12ihipStream_tbEUlT_E_NS1_11comp_targetILNS1_3genE3ELNS1_11target_archE908ELNS1_3gpuE7ELNS1_3repE0EEENS1_30default_config_static_selectorELNS0_4arch9wavefront6targetE1EEEvSK_.uses_vcc, 0
	.set _ZN7rocprim17ROCPRIM_400000_NS6detail17trampoline_kernelINS0_14default_configENS1_36segmented_radix_sort_config_selectorIhlEEZNS1_25segmented_radix_sort_implIS3_Lb1EPKhPhPKlPlN2at6native12_GLOBAL__N_18offset_tEEE10hipError_tPvRmT1_PNSt15iterator_traitsISK_E10value_typeET2_T3_PNSL_ISQ_E10value_typeET4_jRbjT5_SW_jjP12ihipStream_tbEUlT_E_NS1_11comp_targetILNS1_3genE3ELNS1_11target_archE908ELNS1_3gpuE7ELNS1_3repE0EEENS1_30default_config_static_selectorELNS0_4arch9wavefront6targetE1EEEvSK_.uses_flat_scratch, 0
	.set _ZN7rocprim17ROCPRIM_400000_NS6detail17trampoline_kernelINS0_14default_configENS1_36segmented_radix_sort_config_selectorIhlEEZNS1_25segmented_radix_sort_implIS3_Lb1EPKhPhPKlPlN2at6native12_GLOBAL__N_18offset_tEEE10hipError_tPvRmT1_PNSt15iterator_traitsISK_E10value_typeET2_T3_PNSL_ISQ_E10value_typeET4_jRbjT5_SW_jjP12ihipStream_tbEUlT_E_NS1_11comp_targetILNS1_3genE3ELNS1_11target_archE908ELNS1_3gpuE7ELNS1_3repE0EEENS1_30default_config_static_selectorELNS0_4arch9wavefront6targetE1EEEvSK_.has_dyn_sized_stack, 0
	.set _ZN7rocprim17ROCPRIM_400000_NS6detail17trampoline_kernelINS0_14default_configENS1_36segmented_radix_sort_config_selectorIhlEEZNS1_25segmented_radix_sort_implIS3_Lb1EPKhPhPKlPlN2at6native12_GLOBAL__N_18offset_tEEE10hipError_tPvRmT1_PNSt15iterator_traitsISK_E10value_typeET2_T3_PNSL_ISQ_E10value_typeET4_jRbjT5_SW_jjP12ihipStream_tbEUlT_E_NS1_11comp_targetILNS1_3genE3ELNS1_11target_archE908ELNS1_3gpuE7ELNS1_3repE0EEENS1_30default_config_static_selectorELNS0_4arch9wavefront6targetE1EEEvSK_.has_recursion, 0
	.set _ZN7rocprim17ROCPRIM_400000_NS6detail17trampoline_kernelINS0_14default_configENS1_36segmented_radix_sort_config_selectorIhlEEZNS1_25segmented_radix_sort_implIS3_Lb1EPKhPhPKlPlN2at6native12_GLOBAL__N_18offset_tEEE10hipError_tPvRmT1_PNSt15iterator_traitsISK_E10value_typeET2_T3_PNSL_ISQ_E10value_typeET4_jRbjT5_SW_jjP12ihipStream_tbEUlT_E_NS1_11comp_targetILNS1_3genE3ELNS1_11target_archE908ELNS1_3gpuE7ELNS1_3repE0EEENS1_30default_config_static_selectorELNS0_4arch9wavefront6targetE1EEEvSK_.has_indirect_call, 0
	.section	.AMDGPU.csdata,"",@progbits
; Kernel info:
; codeLenInByte = 0
; TotalNumSgprs: 4
; NumVgprs: 0
; ScratchSize: 0
; MemoryBound: 0
; FloatMode: 240
; IeeeMode: 1
; LDSByteSize: 0 bytes/workgroup (compile time only)
; SGPRBlocks: 0
; VGPRBlocks: 0
; NumSGPRsForWavesPerEU: 4
; NumVGPRsForWavesPerEU: 1
; Occupancy: 10
; WaveLimiterHint : 0
; COMPUTE_PGM_RSRC2:SCRATCH_EN: 0
; COMPUTE_PGM_RSRC2:USER_SGPR: 6
; COMPUTE_PGM_RSRC2:TRAP_HANDLER: 0
; COMPUTE_PGM_RSRC2:TGID_X_EN: 1
; COMPUTE_PGM_RSRC2:TGID_Y_EN: 0
; COMPUTE_PGM_RSRC2:TGID_Z_EN: 0
; COMPUTE_PGM_RSRC2:TIDIG_COMP_CNT: 0
	.text
	.p2align	2                               ; -- Begin function _ZN7rocprim17ROCPRIM_400000_NS6detail40segmented_radix_sort_single_block_helperIhlLj256ELj4ELb1EE4sortIPKhPhPKlPlEEbT_T0_T1_T2_jjjjRNS3_12storage_typeE
	.type	_ZN7rocprim17ROCPRIM_400000_NS6detail40segmented_radix_sort_single_block_helperIhlLj256ELj4ELb1EE4sortIPKhPhPKlPlEEbT_T0_T1_T2_jjjjRNS3_12storage_typeE,@function
_ZN7rocprim17ROCPRIM_400000_NS6detail40segmented_radix_sort_single_block_helperIhlLj256ELj4ELb1EE4sortIPKhPhPKlPlEEbT_T0_T1_T2_jjjjRNS3_12storage_typeE: ; @_ZN7rocprim17ROCPRIM_400000_NS6detail40segmented_radix_sort_single_block_helperIhlLj256ELj4ELb1EE4sortIPKhPhPKlPlEEbT_T0_T1_T2_jjjjRNS3_12storage_typeE
; %bb.0:
	s_waitcnt vmcnt(0) expcnt(0) lgkmcnt(0)
	v_sub_u32_e32 v50, v9, v8
	s_movk_i32 s4, 0x401
	v_cmp_gt_u32_e32 vcc, s4, v50
	s_and_saveexec_b64 s[46:47], vcc
	s_cbranch_execz .LBB87_106
; %bb.1:
	s_movk_i32 s4, 0x200
	v_cmp_lt_u32_e32 vcc, s4, v50
	v_bfe_u32 v15, v31, 10, 10
	v_bfe_u32 v18, v31, 20, 10
	v_mbcnt_lo_u32_b32 v17, -1, 0
	s_and_saveexec_b64 s[4:5], vcc
	s_xor_b64 s[56:57], exec, s[4:5]
	s_cbranch_execz .LBB87_47
; %bb.2:
	s_load_dwordx2 s[4:5], s[8:9], 0x0
	v_mov_b32_e32 v9, 0
	v_and_b32_e32 v14, 0x3ff, v31
	v_add_co_u32_e32 v25, vcc, v0, v8
	s_waitcnt lgkmcnt(0)
	s_cmp_lt_u32 s13, s5
	s_cselect_b32 s5, 14, 20
	s_add_u32 s6, s8, s5
	s_addc_u32 s7, s9, 0
	s_cmp_lt_u32 s12, s4
	s_cselect_b32 s4, 12, 18
	s_add_u32 s4, s8, s4
	global_load_ushort v23, v9, s[6:7]
	s_addc_u32 s5, s9, 0
	global_load_ushort v24, v9, s[4:5]
	v_addc_co_u32_e32 v26, vcc, 0, v1, vcc
	v_mbcnt_hi_u32_b32 v20, -1, v17
	v_and_b32_e32 v19, 63, v20
	v_mov_b32_e32 v16, v9
	v_mov_b32_e32 v21, v9
	;; [unrolled: 1-line block ×3, first 2 shown]
	s_waitcnt vmcnt(1)
	v_mad_u32_u24 v0, v18, v23, v15
	s_waitcnt vmcnt(0)
	v_mad_u64_u32 v[0:1], s[4:5], v0, v24, v[14:15]
	v_add_co_u32_e32 v1, vcc, v25, v19
	v_lshlrev_b32_e32 v15, 2, v0
	v_addc_co_u32_e32 v18, vcc, 0, v26, vcc
	v_and_b32_e32 v15, 0xffffff00, v15
	v_add_co_u32_e32 v17, vcc, v1, v15
	v_addc_co_u32_e32 v18, vcc, 0, v18, vcc
	v_or_b32_e32 v24, v15, v19
	v_cmp_lt_u32_e32 vcc, v24, v50
	v_mov_b32_e32 v1, v9
	s_and_saveexec_b64 s[4:5], vcc
	s_cbranch_execz .LBB87_4
; %bb.3:
	flat_load_ubyte v21, v[17:18]
	v_mov_b32_e32 v22, v9
	v_mov_b32_e32 v1, v9
.LBB87_4:
	s_or_b64 exec, exec, s[4:5]
	v_or_b32_e32 v23, 64, v24
	v_cmp_lt_u32_e64 s[4:5], v23, v50
	v_mov_b32_e32 v23, v9
	s_and_saveexec_b64 s[6:7], s[4:5]
	s_cbranch_execz .LBB87_6
; %bb.5:
	flat_load_ubyte v23, v[17:18] offset:64
.LBB87_6:
	s_or_b64 exec, exec, s[6:7]
	v_or_b32_e32 v25, 0x80, v24
	v_cmp_lt_u32_e64 s[6:7], v25, v50
	s_and_saveexec_b64 s[10:11], s[6:7]
	s_cbranch_execz .LBB87_8
; %bb.7:
	flat_load_ubyte v22, v[17:18] offset:128
.LBB87_8:
	s_or_b64 exec, exec, s[10:11]
	v_or_b32_e32 v24, 0xc0, v24
	v_cmp_lt_u32_e64 s[10:11], v24, v50
	s_and_saveexec_b64 s[14:15], s[10:11]
	s_cbranch_execz .LBB87_10
; %bb.9:
	flat_load_ubyte v1, v[17:18] offset:192
.LBB87_10:
	s_or_b64 exec, exec, s[14:15]
	v_lshlrev_b64 v[17:18], 3, v[8:9]
	v_lshlrev_b32_e32 v9, 3, v19
	v_add_co_u32_e64 v4, s[14:15], v4, v17
	v_addc_co_u32_e64 v5, s[14:15], v5, v18, s[14:15]
	v_add_co_u32_e64 v9, s[14:15], v4, v9
	v_addc_co_u32_e64 v24, s[14:15], 0, v5, s[14:15]
	v_lshlrev_b64 v[4:5], 3, v[15:16]
                                        ; implicit-def: $vgpr25_vgpr26
	v_add_co_u32_e64 v4, s[14:15], v9, v4
	v_addc_co_u32_e64 v5, s[14:15], v24, v5, s[14:15]
	s_and_saveexec_b64 s[14:15], vcc
	s_cbranch_execnz .LBB87_71
; %bb.11:
	s_or_b64 exec, exec, s[14:15]
                                        ; implicit-def: $vgpr27_vgpr28
	s_and_saveexec_b64 s[14:15], s[4:5]
	s_cbranch_execnz .LBB87_72
.LBB87_12:
	s_or_b64 exec, exec, s[14:15]
                                        ; implicit-def: $vgpr29_vgpr30
	s_and_saveexec_b64 s[4:5], s[6:7]
	s_cbranch_execnz .LBB87_73
.LBB87_13:
	s_or_b64 exec, exec, s[4:5]
                                        ; implicit-def: $vgpr31_vgpr32
	s_and_saveexec_b64 s[4:5], s[10:11]
	s_cbranch_execz .LBB87_15
.LBB87_14:
	flat_load_dwordx2 v[31:32], v[4:5] offset:1536
.LBB87_15:
	s_or_b64 exec, exec, s[4:5]
	v_mov_b32_e32 v5, -1
	s_waitcnt vmcnt(0) lgkmcnt(0)
	v_xor_b32_e32 v4, -1, v21
	v_xor_b32_sdwa v9, v23, v5 dst_sel:BYTE_1 dst_unused:UNUSED_PAD src0_sel:DWORD src1_sel:DWORD
	v_or_b32_sdwa v4, v4, v9 dst_sel:DWORD dst_unused:UNUSED_PAD src0_sel:BYTE_0 src1_sel:DWORD
	v_xor_b32_e32 v9, -1, v22
	v_xor_b32_sdwa v1, v1, v5 dst_sel:BYTE_1 dst_unused:UNUSED_PAD src0_sel:DWORD src1_sel:DWORD
	v_or_b32_sdwa v1, v9, v1 dst_sel:WORD_1 dst_unused:UNUSED_PAD src0_sel:BYTE_0 src1_sel:DWORD
	v_or_b32_sdwa v54, v4, v1 dst_sel:DWORD dst_unused:UNUSED_PAD src0_sel:WORD_0 src1_sel:DWORD
	v_lshl_add_u32 v4, v14, 4, v12
	s_getpc_b64 s[4:5]
	s_add_u32 s4, s4, _ZN7rocprim17ROCPRIM_400000_NS16block_radix_sortIhLj256ELj4ElLj1ELj1ELj8ELNS0_26block_radix_rank_algorithmE2ELNS0_18block_padding_hintE2ELNS0_4arch9wavefront6targetE1EE19radix_bits_per_passE@rel32@lo+4
	s_addc_u32 s5, s5, _ZN7rocprim17ROCPRIM_400000_NS16block_radix_sortIhLj256ELj4ElLj1ELj1ELj8ELNS0_26block_radix_rank_algorithmE2ELNS0_18block_padding_hintE2ELNS0_4arch9wavefront6targetE1EE19radix_bits_per_passE@rel32@hi+12
	v_add_u32_e32 v1, 16, v4
	v_add_u32_e32 v9, 20, v4
	;; [unrolled: 1-line block ×4, first 2 shown]
	v_and_b32_e32 v4, 15, v20
	s_load_dword s62, s[4:5], 0x0
	v_cmp_eq_u32_e32 vcc, 0, v4
	v_cmp_lt_u32_e64 s[4:5], 1, v4
	v_cmp_lt_u32_e64 s[6:7], 3, v4
	;; [unrolled: 1-line block ×3, first 2 shown]
	v_and_b32_e32 v4, 16, v20
	v_cmp_eq_u32_e64 s[40:41], 0, v4
	v_and_b32_e32 v4, 0x3c0, v14
	v_min_u32_e32 v4, 0xc0, v4
	v_or_b32_e32 v4, 63, v4
	v_cmp_eq_u32_e64 s[16:17], v14, v4
	v_subrev_co_u32_e64 v4, s[22:23], 1, v20
	v_and_b32_e32 v15, 64, v20
	v_lshlrev_b32_e32 v5, 2, v14
	v_cmp_lt_i32_e64 s[24:25], v4, v15
	s_movk_i32 s42, 0xf00
	v_cndmask_b32_e64 v4, v4, v20, s[24:25]
	v_add_u32_e32 v65, v12, v5
	v_and_or_b32 v5, v5, s42, v19
	v_lshlrev_b32_e32 v55, 2, v4
	v_lshrrev_b32_e32 v4, 4, v14
	v_add_u32_e32 v66, v12, v5
	v_mul_u32_u24_e32 v5, 7, v5
	v_and_b32_e32 v4, 60, v4
	v_and_b32_e32 v15, 3, v20
	v_add_u32_e32 v70, v66, v5
	v_lshrrev_b32_e32 v53, 6, v0
	v_cmp_lt_u32_e64 s[14:15], 31, v20
	v_cmp_gt_u32_e64 s[18:19], 4, v14
	v_cmp_lt_u32_e64 s[20:21], 63, v14
	v_cmp_eq_u32_e64 s[24:25], 0, v14
	v_add_u32_e32 v64, v12, v4
	v_mov_b32_e32 v4, 0
	v_cmp_eq_u32_e64 s[26:27], 0, v15
	v_cmp_lt_u32_e64 s[28:29], 1, v15
	v_add_u32_e32 v67, 64, v66
	v_add_u32_e32 v68, 0x80, v66
	;; [unrolled: 1-line block ×6, first 2 shown]
	v_sub_u32_e32 v82, v11, v10
	s_mov_b64 s[58:59], 0
	s_mov_b32 s63, 0xc0c0004
	s_waitcnt lgkmcnt(0)
	s_barrier
	s_branch .LBB87_17
.LBB87_16:                              ;   in Loop: Header=BB87_17 Depth=1
	s_or_b64 exec, exec, s[44:45]
	s_and_b64 s[42:43], exec, s[60:61]
	s_or_b64 s[58:59], s[42:43], s[58:59]
	s_andn2_b64 exec, exec, s[58:59]
	s_cbranch_execz .LBB87_33
.LBB87_17:                              ; =>This Inner Loop Header: Depth=1
	v_min_u32_e32 v5, s62, v82
	v_mov_b32_e32 v15, v31
	v_lshlrev_b32_e64 v5, v5, -1
	v_mov_b32_e32 v23, v25
	v_mov_b32_e32 v16, v32
	v_not_b32_e32 v32, v5
	v_lshrrev_b32_sdwa v5, v10, v54 dst_sel:DWORD dst_unused:UNUSED_PAD src0_sel:DWORD src1_sel:BYTE_0
	v_mov_b32_e32 v24, v26
	v_and_b32_e32 v25, v5, v32
	v_lshlrev_b32_e32 v5, 2, v25
	v_add_lshl_u32 v5, v5, v53, 2
	v_mov_b32_e32 v21, v27
	v_add_co_u32_e64 v5, s[42:43], v12, v5
	v_mov_b32_e32 v22, v28
	v_add_co_u32_e64 v27, s[42:43], 16, v5
	v_and_b32_e32 v5, 1, v25
	v_add_co_u32_e64 v26, s[42:43], -1, v5
	v_addc_co_u32_e64 v28, s[42:43], 0, -1, s[42:43]
	v_cmp_ne_u32_e64 s[42:43], 0, v5
	v_xor_b32_e32 v5, s43, v28
	v_and_b32_e32 v28, exec_hi, v5
	v_lshlrev_b32_e32 v5, 30, v25
	v_xor_b32_e32 v26, s42, v26
	v_cmp_gt_i64_e64 s[42:43], 0, v[4:5]
	v_not_b32_e32 v5, v5
	v_mov_b32_e32 v19, v29
	v_ashrrev_i32_e32 v5, 31, v5
	v_mov_b32_e32 v20, v30
	v_and_b32_e32 v26, exec_lo, v26
	v_xor_b32_e32 v29, s43, v5
	v_xor_b32_e32 v5, s42, v5
	v_and_b32_e32 v26, v26, v5
	v_lshlrev_b32_e32 v5, 29, v25
	v_cmp_gt_i64_e64 s[42:43], 0, v[4:5]
	v_not_b32_e32 v5, v5
	v_ashrrev_i32_e32 v5, 31, v5
	v_and_b32_e32 v28, v28, v29
	v_xor_b32_e32 v29, s43, v5
	v_xor_b32_e32 v5, s42, v5
	v_and_b32_e32 v26, v26, v5
	v_lshlrev_b32_e32 v5, 28, v25
	v_cmp_gt_i64_e64 s[42:43], 0, v[4:5]
	v_not_b32_e32 v5, v5
	v_ashrrev_i32_e32 v5, 31, v5
	v_and_b32_e32 v28, v28, v29
	;; [unrolled: 8-line block ×5, first 2 shown]
	v_xor_b32_e32 v29, s43, v5
	v_xor_b32_e32 v5, s42, v5
	v_and_b32_e32 v28, v28, v29
	v_and_b32_e32 v29, v26, v5
	v_lshlrev_b32_e32 v5, 24, v25
	v_cmp_gt_i64_e64 s[42:43], 0, v[4:5]
	v_not_b32_e32 v5, v5
	v_ashrrev_i32_e32 v5, 31, v5
	v_xor_b32_e32 v25, s43, v5
	v_xor_b32_e32 v5, s42, v5
	v_and_b32_e32 v26, v28, v25
	v_and_b32_e32 v25, v29, v5
	v_mbcnt_lo_u32_b32 v5, v25, 0
	v_mbcnt_hi_u32_b32 v28, v26, v5
	v_cmp_ne_u64_e64 s[42:43], 0, v[25:26]
	v_cmp_eq_u32_e64 s[44:45], 0, v28
	s_and_b64 s[44:45], s[42:43], s[44:45]
	ds_write_b32 v1, v4
	ds_write_b32 v9, v4
	;; [unrolled: 1-line block ×4, first 2 shown]
	s_waitcnt lgkmcnt(0)
	s_barrier
	; wave barrier
	s_and_saveexec_b64 s[42:43], s[44:45]
; %bb.18:                               ;   in Loop: Header=BB87_17 Depth=1
	v_bcnt_u32_b32 v5, v25, 0
	v_bcnt_u32_b32 v5, v26, v5
	ds_write_b32 v27, v5
; %bb.19:                               ;   in Loop: Header=BB87_17 Depth=1
	s_or_b64 exec, exec, s[42:43]
	v_lshrrev_b32_sdwa v5, v10, v54 dst_sel:DWORD dst_unused:UNUSED_PAD src0_sel:DWORD src1_sel:BYTE_1
	v_and_b32_e32 v25, v5, v32
	v_lshl_add_u32 v5, v25, 2, v53
	v_lshl_add_u32 v5, v5, 2, v12
	; wave barrier
	v_add_u32_e32 v30, 16, v5
	ds_read_b32 v29, v5 offset:16
	v_and_b32_e32 v5, 1, v25
	v_add_co_u32_e64 v26, s[42:43], -1, v5
	v_addc_co_u32_e64 v31, s[42:43], 0, -1, s[42:43]
	v_cmp_ne_u32_e64 s[42:43], 0, v5
	v_xor_b32_e32 v5, s43, v31
	v_and_b32_e32 v31, exec_hi, v5
	v_lshlrev_b32_e32 v5, 30, v25
	v_xor_b32_e32 v26, s42, v26
	v_cmp_gt_i64_e64 s[42:43], 0, v[4:5]
	v_not_b32_e32 v5, v5
	v_ashrrev_i32_e32 v5, 31, v5
	v_and_b32_e32 v26, exec_lo, v26
	v_xor_b32_e32 v33, s43, v5
	v_xor_b32_e32 v5, s42, v5
	v_and_b32_e32 v26, v26, v5
	v_lshlrev_b32_e32 v5, 29, v25
	v_cmp_gt_i64_e64 s[42:43], 0, v[4:5]
	v_not_b32_e32 v5, v5
	v_ashrrev_i32_e32 v5, 31, v5
	v_and_b32_e32 v31, v31, v33
	v_xor_b32_e32 v33, s43, v5
	v_xor_b32_e32 v5, s42, v5
	v_and_b32_e32 v26, v26, v5
	v_lshlrev_b32_e32 v5, 28, v25
	v_cmp_gt_i64_e64 s[42:43], 0, v[4:5]
	v_not_b32_e32 v5, v5
	v_ashrrev_i32_e32 v5, 31, v5
	v_and_b32_e32 v31, v31, v33
	;; [unrolled: 8-line block ×5, first 2 shown]
	v_xor_b32_e32 v33, s43, v5
	v_xor_b32_e32 v5, s42, v5
	v_and_b32_e32 v31, v31, v33
	v_and_b32_e32 v33, v26, v5
	v_lshlrev_b32_e32 v5, 24, v25
	v_cmp_gt_i64_e64 s[42:43], 0, v[4:5]
	v_not_b32_e32 v5, v5
	v_ashrrev_i32_e32 v5, 31, v5
	v_xor_b32_e32 v25, s43, v5
	v_xor_b32_e32 v5, s42, v5
	v_and_b32_e32 v26, v31, v25
	v_and_b32_e32 v25, v33, v5
	v_mbcnt_lo_u32_b32 v5, v25, 0
	v_mbcnt_hi_u32_b32 v31, v26, v5
	v_cmp_ne_u64_e64 s[42:43], 0, v[25:26]
	v_cmp_eq_u32_e64 s[44:45], 0, v31
	s_and_b64 s[44:45], s[42:43], s[44:45]
	; wave barrier
	s_and_saveexec_b64 s[42:43], s[44:45]
	s_cbranch_execz .LBB87_21
; %bb.20:                               ;   in Loop: Header=BB87_17 Depth=1
	v_bcnt_u32_b32 v5, v25, 0
	v_bcnt_u32_b32 v5, v26, v5
	s_waitcnt lgkmcnt(0)
	v_add_u32_e32 v5, v29, v5
	ds_write_b32 v30, v5
.LBB87_21:                              ;   in Loop: Header=BB87_17 Depth=1
	s_or_b64 exec, exec, s[42:43]
	v_lshrrev_b32_sdwa v5, v10, v54 dst_sel:DWORD dst_unused:UNUSED_PAD src0_sel:DWORD src1_sel:BYTE_2
	v_and_b32_e32 v25, v5, v32
	v_lshl_add_u32 v5, v25, 2, v53
	v_lshl_add_u32 v5, v5, 2, v12
	; wave barrier
	v_add_u32_e32 v34, 16, v5
	ds_read_b32 v33, v5 offset:16
	v_and_b32_e32 v5, 1, v25
	v_add_co_u32_e64 v26, s[42:43], -1, v5
	v_addc_co_u32_e64 v35, s[42:43], 0, -1, s[42:43]
	v_cmp_ne_u32_e64 s[42:43], 0, v5
	v_xor_b32_e32 v5, s43, v35
	v_and_b32_e32 v35, exec_hi, v5
	v_lshlrev_b32_e32 v5, 30, v25
	v_xor_b32_e32 v26, s42, v26
	v_cmp_gt_i64_e64 s[42:43], 0, v[4:5]
	v_not_b32_e32 v5, v5
	v_ashrrev_i32_e32 v5, 31, v5
	v_and_b32_e32 v26, exec_lo, v26
	v_xor_b32_e32 v36, s43, v5
	v_xor_b32_e32 v5, s42, v5
	v_and_b32_e32 v26, v26, v5
	v_lshlrev_b32_e32 v5, 29, v25
	v_cmp_gt_i64_e64 s[42:43], 0, v[4:5]
	v_not_b32_e32 v5, v5
	v_ashrrev_i32_e32 v5, 31, v5
	v_and_b32_e32 v35, v35, v36
	v_xor_b32_e32 v36, s43, v5
	v_xor_b32_e32 v5, s42, v5
	v_and_b32_e32 v26, v26, v5
	v_lshlrev_b32_e32 v5, 28, v25
	v_cmp_gt_i64_e64 s[42:43], 0, v[4:5]
	v_not_b32_e32 v5, v5
	v_ashrrev_i32_e32 v5, 31, v5
	v_and_b32_e32 v35, v35, v36
	;; [unrolled: 8-line block ×5, first 2 shown]
	v_xor_b32_e32 v36, s43, v5
	v_xor_b32_e32 v5, s42, v5
	v_and_b32_e32 v35, v35, v36
	v_and_b32_e32 v36, v26, v5
	v_lshlrev_b32_e32 v5, 24, v25
	v_cmp_gt_i64_e64 s[42:43], 0, v[4:5]
	v_not_b32_e32 v5, v5
	v_ashrrev_i32_e32 v5, 31, v5
	v_xor_b32_e32 v25, s43, v5
	v_xor_b32_e32 v5, s42, v5
	v_and_b32_e32 v26, v35, v25
	v_and_b32_e32 v25, v36, v5
	v_mbcnt_lo_u32_b32 v5, v25, 0
	v_mbcnt_hi_u32_b32 v35, v26, v5
	v_cmp_ne_u64_e64 s[42:43], 0, v[25:26]
	v_cmp_eq_u32_e64 s[44:45], 0, v35
	s_and_b64 s[44:45], s[42:43], s[44:45]
	; wave barrier
	s_and_saveexec_b64 s[42:43], s[44:45]
	s_cbranch_execz .LBB87_23
; %bb.22:                               ;   in Loop: Header=BB87_17 Depth=1
	v_bcnt_u32_b32 v5, v25, 0
	v_bcnt_u32_b32 v5, v26, v5
	s_waitcnt lgkmcnt(0)
	v_add_u32_e32 v5, v33, v5
	ds_write_b32 v34, v5
.LBB87_23:                              ;   in Loop: Header=BB87_17 Depth=1
	s_or_b64 exec, exec, s[42:43]
	v_lshrrev_b32_e32 v83, 24, v54
	v_lshrrev_b32_e32 v5, v10, v83
	v_and_b32_e32 v25, v5, v32
	v_lshl_add_u32 v5, v25, 2, v53
	v_lshl_add_u32 v5, v5, 2, v12
	; wave barrier
	v_add_u32_e32 v36, 16, v5
	ds_read_b32 v32, v5 offset:16
	v_and_b32_e32 v5, 1, v25
	v_add_co_u32_e64 v26, s[42:43], -1, v5
	v_addc_co_u32_e64 v37, s[42:43], 0, -1, s[42:43]
	v_cmp_ne_u32_e64 s[42:43], 0, v5
	v_xor_b32_e32 v5, s43, v37
	v_and_b32_e32 v37, exec_hi, v5
	v_lshlrev_b32_e32 v5, 30, v25
	v_xor_b32_e32 v26, s42, v26
	v_cmp_gt_i64_e64 s[42:43], 0, v[4:5]
	v_not_b32_e32 v5, v5
	v_ashrrev_i32_e32 v5, 31, v5
	v_and_b32_e32 v26, exec_lo, v26
	v_xor_b32_e32 v38, s43, v5
	v_xor_b32_e32 v5, s42, v5
	v_and_b32_e32 v26, v26, v5
	v_lshlrev_b32_e32 v5, 29, v25
	v_cmp_gt_i64_e64 s[42:43], 0, v[4:5]
	v_not_b32_e32 v5, v5
	v_ashrrev_i32_e32 v5, 31, v5
	v_and_b32_e32 v37, v37, v38
	v_xor_b32_e32 v38, s43, v5
	v_xor_b32_e32 v5, s42, v5
	v_and_b32_e32 v26, v26, v5
	v_lshlrev_b32_e32 v5, 28, v25
	v_cmp_gt_i64_e64 s[42:43], 0, v[4:5]
	v_not_b32_e32 v5, v5
	v_ashrrev_i32_e32 v5, 31, v5
	v_and_b32_e32 v37, v37, v38
	v_xor_b32_e32 v38, s43, v5
	v_xor_b32_e32 v5, s42, v5
	v_and_b32_e32 v26, v26, v5
	v_lshlrev_b32_e32 v5, 27, v25
	v_cmp_gt_i64_e64 s[42:43], 0, v[4:5]
	v_not_b32_e32 v5, v5
	v_ashrrev_i32_e32 v5, 31, v5
	v_and_b32_e32 v37, v37, v38
	v_xor_b32_e32 v38, s43, v5
	v_xor_b32_e32 v5, s42, v5
	v_and_b32_e32 v26, v26, v5
	v_lshlrev_b32_e32 v5, 26, v25
	v_cmp_gt_i64_e64 s[42:43], 0, v[4:5]
	v_not_b32_e32 v5, v5
	v_ashrrev_i32_e32 v5, 31, v5
	v_and_b32_e32 v37, v37, v38
	v_xor_b32_e32 v38, s43, v5
	v_xor_b32_e32 v5, s42, v5
	v_and_b32_e32 v26, v26, v5
	v_lshlrev_b32_e32 v5, 25, v25
	v_cmp_gt_i64_e64 s[42:43], 0, v[4:5]
	v_not_b32_e32 v5, v5
	v_ashrrev_i32_e32 v5, 31, v5
	v_and_b32_e32 v37, v37, v38
	v_xor_b32_e32 v38, s43, v5
	v_xor_b32_e32 v5, s42, v5
	v_and_b32_e32 v37, v37, v38
	v_and_b32_e32 v38, v26, v5
	v_lshlrev_b32_e32 v5, 24, v25
	v_cmp_gt_i64_e64 s[42:43], 0, v[4:5]
	v_not_b32_e32 v5, v5
	v_ashrrev_i32_e32 v5, 31, v5
	v_xor_b32_e32 v25, s43, v5
	v_xor_b32_e32 v5, s42, v5
	v_and_b32_e32 v26, v37, v25
	v_and_b32_e32 v25, v38, v5
	v_mbcnt_lo_u32_b32 v5, v25, 0
	v_mbcnt_hi_u32_b32 v37, v26, v5
	v_cmp_ne_u64_e64 s[42:43], 0, v[25:26]
	v_cmp_eq_u32_e64 s[44:45], 0, v37
	s_and_b64 s[44:45], s[42:43], s[44:45]
	; wave barrier
	s_and_saveexec_b64 s[42:43], s[44:45]
	s_cbranch_execz .LBB87_25
; %bb.24:                               ;   in Loop: Header=BB87_17 Depth=1
	v_bcnt_u32_b32 v5, v25, 0
	v_bcnt_u32_b32 v5, v26, v5
	s_waitcnt lgkmcnt(0)
	v_add_u32_e32 v5, v32, v5
	ds_write_b32 v36, v5
.LBB87_25:                              ;   in Loop: Header=BB87_17 Depth=1
	s_or_b64 exec, exec, s[42:43]
	; wave barrier
	s_waitcnt lgkmcnt(0)
	s_barrier
	ds_read_b32 v38, v1
	ds_read_b32 v26, v9
	;; [unrolled: 1-line block ×4, first 2 shown]
	s_waitcnt lgkmcnt(2)
	v_add_u32_e32 v39, v26, v38
	s_waitcnt lgkmcnt(0)
	v_add3_u32 v5, v39, v25, v5
	s_nop 1
	v_mov_b32_dpp v39, v5 row_shr:1 row_mask:0xf bank_mask:0xf
	v_cndmask_b32_e64 v39, v39, 0, vcc
	v_add_u32_e32 v5, v39, v5
	s_nop 1
	v_mov_b32_dpp v39, v5 row_shr:2 row_mask:0xf bank_mask:0xf
	v_cndmask_b32_e64 v39, 0, v39, s[4:5]
	v_add_u32_e32 v5, v5, v39
	s_nop 1
	v_mov_b32_dpp v39, v5 row_shr:4 row_mask:0xf bank_mask:0xf
	v_cndmask_b32_e64 v39, 0, v39, s[6:7]
	;; [unrolled: 4-line block ×3, first 2 shown]
	v_add_u32_e32 v5, v5, v39
	s_nop 1
	v_mov_b32_dpp v39, v5 row_bcast:15 row_mask:0xf bank_mask:0xf
	v_cndmask_b32_e64 v39, v39, 0, s[40:41]
	v_add_u32_e32 v5, v5, v39
	s_nop 1
	v_mov_b32_dpp v39, v5 row_bcast:31 row_mask:0xf bank_mask:0xf
	v_cndmask_b32_e64 v39, 0, v39, s[14:15]
	v_add_u32_e32 v5, v5, v39
	s_and_saveexec_b64 s[42:43], s[16:17]
; %bb.26:                               ;   in Loop: Header=BB87_17 Depth=1
	ds_write_b32 v64, v5
; %bb.27:                               ;   in Loop: Header=BB87_17 Depth=1
	s_or_b64 exec, exec, s[42:43]
	s_waitcnt lgkmcnt(0)
	s_barrier
	s_and_saveexec_b64 s[42:43], s[18:19]
	s_cbranch_execz .LBB87_29
; %bb.28:                               ;   in Loop: Header=BB87_17 Depth=1
	ds_read_b32 v39, v65
	s_waitcnt lgkmcnt(0)
	s_nop 0
	v_mov_b32_dpp v48, v39 row_shr:1 row_mask:0xf bank_mask:0xf
	v_cndmask_b32_e64 v48, v48, 0, s[26:27]
	v_add_u32_e32 v39, v48, v39
	s_nop 1
	v_mov_b32_dpp v48, v39 row_shr:2 row_mask:0xf bank_mask:0xf
	v_cndmask_b32_e64 v48, 0, v48, s[28:29]
	v_add_u32_e32 v39, v39, v48
	ds_write_b32 v65, v39
.LBB87_29:                              ;   in Loop: Header=BB87_17 Depth=1
	s_or_b64 exec, exec, s[42:43]
	v_mov_b32_e32 v39, 0
	s_waitcnt lgkmcnt(0)
	s_barrier
	s_and_saveexec_b64 s[42:43], s[20:21]
; %bb.30:                               ;   in Loop: Header=BB87_17 Depth=1
	v_add_u32_e32 v39, -4, v64
	ds_read_b32 v39, v39
; %bb.31:                               ;   in Loop: Header=BB87_17 Depth=1
	s_or_b64 exec, exec, s[42:43]
	s_waitcnt lgkmcnt(0)
	v_add_u32_e32 v5, v39, v5
	ds_bpermute_b32 v48, v55, v5
	v_add_u32_e32 v10, 8, v10
	v_mov_b32_e32 v5, v54
	v_lshrrev_b32_e32 v84, 8, v54
	v_lshrrev_b32_e32 v96, 16, v54
	s_waitcnt lgkmcnt(0)
	v_cndmask_b32_e64 v39, v48, v39, s[22:23]
	v_cndmask_b32_e64 v39, v39, 0, s[24:25]
	v_add_u32_e32 v38, v39, v38
	v_add_u32_e32 v26, v38, v26
	;; [unrolled: 1-line block ×3, first 2 shown]
	ds_write_b32 v1, v39
	ds_write_b32 v9, v38
	;; [unrolled: 1-line block ×4, first 2 shown]
	s_waitcnt lgkmcnt(0)
	s_barrier
	ds_read_b32 v25, v27
	ds_read_b32 v26, v30
	;; [unrolled: 1-line block ×4, first 2 shown]
	v_cmp_lt_u32_e64 s[42:43], v10, v11
	s_waitcnt lgkmcnt(3)
	v_add_u32_e32 v25, v25, v28
	v_add_co_u32_e64 v48, s[44:45], v12, v25
	s_waitcnt lgkmcnt(2)
	v_add3_u32 v87, v31, v29, v26
	v_addc_co_u32_e64 v49, s[44:45], 0, v13, s[44:45]
	s_waitcnt lgkmcnt(1)
	v_add3_u32 v86, v35, v33, v27
	v_add_co_u32_e64 v33, s[44:45], v12, v87
	v_addc_co_u32_e64 v34, s[44:45], 0, v13, s[44:45]
	v_add_co_u32_e64 v35, s[44:45], v12, v86
	s_waitcnt lgkmcnt(0)
	v_add3_u32 v85, v37, v32, v30
	v_addc_co_u32_e64 v36, s[44:45], 0, v13, s[44:45]
	v_mad_u64_u32 v[37:38], s[44:45], v25, 7, v[48:49]
	v_add_co_u32_e64 v38, s[44:45], v12, v85
	v_addc_co_u32_e64 v39, s[44:45], 0, v13, s[44:45]
	s_mov_b64 s[60:61], -1
                                        ; implicit-def: $vgpr25_vgpr26
                                        ; implicit-def: $vgpr27_vgpr28
                                        ; implicit-def: $vgpr29_vgpr30
                                        ; implicit-def: $vgpr31_vgpr32
	s_and_saveexec_b64 s[44:45], s[42:43]
	s_cbranch_execz .LBB87_16
; %bb.32:                               ;   in Loop: Header=BB87_17 Depth=1
	s_barrier
	ds_write_b8 v48, v54
	ds_write_b8 v33, v84
	;; [unrolled: 1-line block ×4, first 2 shown]
	s_waitcnt lgkmcnt(0)
	s_barrier
	ds_read_u8 v25, v67
	ds_read_u8 v26, v66
	;; [unrolled: 1-line block ×4, first 2 shown]
	s_waitcnt lgkmcnt(0)
	s_barrier
	v_perm_b32 v25, v26, v25, s63
	v_perm_b32 v26, v28, v27, s63
	v_lshl_or_b32 v54, v26, 16, v25
	v_mad_u64_u32 v[25:26], s[42:43], v87, 7, v[33:34]
	v_mad_u64_u32 v[26:27], s[42:43], v86, 7, v[35:36]
	;; [unrolled: 1-line block ×3, first 2 shown]
	ds_write_b64 v37, v[23:24]
	ds_write_b64 v25, v[21:22]
	ds_write_b64 v26, v[19:20]
	ds_write_b64 v27, v[15:16]
	s_waitcnt lgkmcnt(0)
	s_barrier
	ds_read_b64 v[25:26], v70
	ds_read_b64 v[27:28], v71
	;; [unrolled: 1-line block ×4, first 2 shown]
	v_add_u32_e32 v82, -8, v82
	s_xor_b64 s[60:61], exec, -1
	s_waitcnt lgkmcnt(0)
	s_barrier
	s_branch .LBB87_16
.LBB87_33:
	s_or_b64 exec, exec, s[58:59]
	v_mad_u64_u32 v[9:10], s[4:5], v87, 7, v[33:34]
	v_mad_u64_u32 v[10:11], s[4:5], v86, 7, v[35:36]
	v_add_u32_e32 v1, v12, v14
	v_mad_u64_u32 v[11:12], s[4:5], v85, 7, v[38:39]
	s_barrier
	ds_write_b8 v48, v5
	ds_write_b8 v33, v84
	ds_write_b8 v35, v96
	ds_write_b8 v38, v83
	s_waitcnt lgkmcnt(0)
	s_barrier
	ds_read_u8 v26, v1
	ds_read_u8 v25, v1 offset:256
	ds_read_u8 v5, v1 offset:512
	;; [unrolled: 1-line block ×3, first 2 shown]
	s_waitcnt lgkmcnt(0)
	s_barrier
	ds_write_b64 v37, v[23:24]
	ds_write_b64 v9, v[21:22]
	;; [unrolled: 1-line block ×4, first 2 shown]
	v_mul_u32_u24_e32 v9, 7, v14
	v_add_u32_e32 v1, v1, v9
	s_waitcnt lgkmcnt(0)
	s_barrier
	ds_read2st64_b64 v[13:16], v1 offset1:4
	ds_read2st64_b64 v[9:12], v1 offset0:8 offset1:12
	v_add_co_u32_e32 v2, vcc, v2, v8
	v_addc_co_u32_e32 v3, vcc, 0, v3, vcc
	v_add_co_u32_e32 v2, vcc, v2, v0
	v_addc_co_u32_e32 v3, vcc, 0, v3, vcc
	v_mov_b32_e32 v1, 0
	v_cmp_lt_u32_e32 vcc, v0, v50
	s_waitcnt lgkmcnt(0)
	s_barrier
	s_and_saveexec_b64 s[4:5], vcc
	s_cbranch_execz .LBB87_35
; %bb.34:
	v_xor_b32_e32 v8, -1, v26
	flat_store_byte v[2:3], v8
.LBB87_35:
	s_or_b64 exec, exec, s[4:5]
	v_add_u32_e32 v8, 0x100, v0
	v_cmp_lt_u32_e64 s[4:5], v8, v50
	s_and_saveexec_b64 s[6:7], s[4:5]
	s_cbranch_execz .LBB87_37
; %bb.36:
	v_xor_b32_e32 v8, -1, v25
	flat_store_byte v[2:3], v8 offset:256
.LBB87_37:
	s_or_b64 exec, exec, s[6:7]
	v_add_u32_e32 v8, 0x200, v0
	v_cmp_lt_u32_e64 s[10:11], v8, v50
	s_and_saveexec_b64 s[6:7], s[10:11]
	s_cbranch_execz .LBB87_39
; %bb.38:
	v_xor_b32_e32 v5, -1, v5
	flat_store_byte v[2:3], v5 offset:512
.LBB87_39:
	;; [unrolled: 9-line block ×3, first 2 shown]
	s_or_b64 exec, exec, s[14:15]
	v_add_co_u32_e64 v2, s[14:15], v6, v17
	v_lshlrev_b64 v[0:1], 3, v[0:1]
	v_addc_co_u32_e64 v3, s[14:15], v7, v18, s[14:15]
	v_add_co_u32_e64 v0, s[14:15], v2, v0
	v_addc_co_u32_e64 v1, s[14:15], v3, v1, s[14:15]
	s_and_saveexec_b64 s[14:15], vcc
	s_cbranch_execnz .LBB87_74
; %bb.42:
	s_or_b64 exec, exec, s[14:15]
	s_and_saveexec_b64 s[14:15], s[4:5]
	s_cbranch_execnz .LBB87_75
.LBB87_43:
	s_or_b64 exec, exec, s[14:15]
	s_and_saveexec_b64 s[4:5], s[10:11]
	s_cbranch_execnz .LBB87_76
.LBB87_44:
	s_or_b64 exec, exec, s[4:5]
	s_and_saveexec_b64 s[4:5], s[6:7]
	s_cbranch_execz .LBB87_46
.LBB87_45:
	v_add_co_u32_e32 v0, vcc, 0x1000, v0
	v_addc_co_u32_e32 v1, vcc, 0, v1, vcc
	flat_store_dwordx2 v[0:1], v[11:12] offset:2048
.LBB87_46:
	s_or_b64 exec, exec, s[4:5]
                                        ; implicit-def: $vgpr50
                                        ; implicit-def: $vgpr0
                                        ; implicit-def: $vgpr1
                                        ; implicit-def: $vgpr2
                                        ; implicit-def: $vgpr3
                                        ; implicit-def: $vgpr4
                                        ; implicit-def: $vgpr5
                                        ; implicit-def: $vgpr6
                                        ; implicit-def: $vgpr7
                                        ; implicit-def: $vgpr8
                                        ; implicit-def: $vgpr10
                                        ; implicit-def: $vgpr11
                                        ; implicit-def: $vgpr12
                                        ; implicit-def: $vgpr13
                                        ; implicit-def: $vgpr31
                                        ; implicit-def: $vgpr15
                                        ; implicit-def: $vgpr18
                                        ; implicit-def: $vgpr17
.LBB87_47:
	s_andn2_saveexec_b64 s[4:5], s[56:57]
	s_cbranch_execz .LBB87_106
; %bb.48:
	s_load_dwordx2 s[4:5], s[8:9], 0x0
	v_mov_b32_e32 v9, 0
	v_and_b32_e32 v16, 0x3ff, v31
	s_waitcnt lgkmcnt(0)
	s_cmp_lt_u32 s13, s5
	s_cselect_b32 s5, 14, 20
	s_add_u32 s6, s8, s5
	s_addc_u32 s7, s9, 0
	s_cmp_lt_u32 s12, s4
	s_cselect_b32 s4, 12, 18
	s_add_u32 s4, s8, s4
	global_load_ushort v14, v9, s[6:7]
	s_addc_u32 s5, s9, 0
	global_load_ushort v19, v9, s[4:5]
	s_waitcnt vmcnt(0)
	v_mad_u32_u24 v14, v18, v14, v15
	v_mad_u64_u32 v[14:15], s[4:5], v14, v19, v[16:17]
	s_movk_i32 s4, 0x100
	v_cmp_lt_u32_e32 vcc, s4, v50
	s_and_saveexec_b64 s[4:5], vcc
	s_xor_b64 s[42:43], exec, s[4:5]
	s_cbranch_execz .LBB87_86
; %bb.49:
	v_add_co_u32_e32 v0, vcc, v0, v8
	v_mbcnt_hi_u32_b32 v20, -1, v17
	v_addc_co_u32_e32 v1, vcc, 0, v1, vcc
	v_and_b32_e32 v19, 63, v20
	v_lshlrev_b32_e32 v15, 1, v14
	v_add_co_u32_e32 v0, vcc, v0, v19
	v_and_b32_e32 v17, 0xffffff80, v15
	v_addc_co_u32_e32 v1, vcc, 0, v1, vcc
	v_add_co_u32_e32 v0, vcc, v0, v17
	v_addc_co_u32_e32 v1, vcc, 0, v1, vcc
	v_or_b32_e32 v21, v19, v17
	v_mov_b32_e32 v18, v9
	v_cmp_lt_u32_e32 vcc, v21, v50
	v_mov_b32_e32 v15, v9
	s_and_saveexec_b64 s[4:5], vcc
	s_cbranch_execz .LBB87_51
; %bb.50:
	flat_load_ubyte v15, v[0:1]
.LBB87_51:
	s_or_b64 exec, exec, s[4:5]
	v_or_b32_e32 v21, 64, v21
	v_cmp_lt_u32_e64 s[4:5], v21, v50
	v_mov_b32_e32 v25, v9
	s_and_saveexec_b64 s[6:7], s[4:5]
	s_cbranch_execz .LBB87_53
; %bb.52:
	flat_load_ubyte v25, v[0:1] offset:64
.LBB87_53:
	s_or_b64 exec, exec, s[6:7]
	v_lshlrev_b64 v[0:1], 3, v[8:9]
	v_lshlrev_b32_e32 v9, 3, v19
	v_add_co_u32_e64 v4, s[6:7], v4, v0
	v_addc_co_u32_e64 v5, s[6:7], v5, v1, s[6:7]
	v_add_co_u32_e64 v9, s[6:7], v4, v9
	v_addc_co_u32_e64 v26, s[6:7], 0, v5, s[6:7]
	v_lshlrev_b64 v[4:5], 3, v[17:18]
	v_mov_b32_e32 v23, 0
	v_mov_b32_e32 v21, 0
	v_add_co_u32_e64 v4, s[6:7], v9, v4
	v_mov_b32_e32 v24, 0
	v_mov_b32_e32 v22, 0
	v_addc_co_u32_e64 v5, s[6:7], v26, v5, s[6:7]
	s_and_saveexec_b64 s[6:7], vcc
	s_cbranch_execz .LBB87_55
; %bb.54:
	flat_load_dwordx2 v[21:22], v[4:5]
.LBB87_55:
	s_or_b64 exec, exec, s[6:7]
	s_and_saveexec_b64 s[6:7], s[4:5]
	s_cbranch_execz .LBB87_57
; %bb.56:
	flat_load_dwordx2 v[23:24], v[4:5] offset:512
.LBB87_57:
	s_or_b64 exec, exec, s[6:7]
	v_mov_b32_e32 v5, -1
	s_waitcnt vmcnt(0) lgkmcnt(0)
	v_xor_b32_e32 v4, -1, v15
	v_xor_b32_sdwa v5, v25, v5 dst_sel:BYTE_1 dst_unused:UNUSED_PAD src0_sel:DWORD src1_sel:DWORD
	v_or_b32_sdwa v4, v4, v5 dst_sel:DWORD dst_unused:UNUSED_PAD src0_sel:BYTE_0 src1_sel:DWORD
	v_and_b32_e32 v34, 0xffff, v4
	v_lshl_add_u32 v4, v16, 4, v12
	s_getpc_b64 s[4:5]
	s_add_u32 s4, s4, _ZN7rocprim17ROCPRIM_400000_NS16block_radix_sortIhLj256ELj2ElLj1ELj1ELj8ELNS0_26block_radix_rank_algorithmE2ELNS0_18block_padding_hintE2ELNS0_4arch9wavefront6targetE1EE19radix_bits_per_passE@rel32@lo+4
	s_addc_u32 s5, s5, _ZN7rocprim17ROCPRIM_400000_NS16block_radix_sortIhLj256ELj2ElLj1ELj1ELj8ELNS0_26block_radix_rank_algorithmE2ELNS0_18block_padding_hintE2ELNS0_4arch9wavefront6targetE1EE19radix_bits_per_passE@rel32@hi+12
	v_add_u32_e32 v9, 16, v4
	v_add_u32_e32 v15, 20, v4
	;; [unrolled: 1-line block ×4, first 2 shown]
	v_and_b32_e32 v4, 15, v20
	s_load_dword s58, s[4:5], 0x0
	v_cmp_eq_u32_e32 vcc, 0, v4
	v_cmp_lt_u32_e64 s[4:5], 1, v4
	v_cmp_lt_u32_e64 s[6:7], 3, v4
	;; [unrolled: 1-line block ×3, first 2 shown]
	v_and_b32_e32 v4, 16, v20
	v_cmp_eq_u32_e64 s[10:11], 0, v4
	v_and_b32_e32 v4, 0x3c0, v16
	v_min_u32_e32 v4, 0xc0, v4
	v_or_b32_e32 v4, 63, v4
	v_cmp_eq_u32_e64 s[14:15], v16, v4
	v_subrev_co_u32_e64 v4, s[20:21], 1, v20
	v_and_b32_e32 v5, 64, v20
	v_cmp_lt_i32_e64 s[22:23], v4, v5
	v_and_b32_e32 v5, 3, v20
	v_cndmask_b32_e64 v4, v4, v20, s[22:23]
	v_cmp_eq_u32_e64 s[24:25], 0, v5
	v_cmp_lt_u32_e64 s[26:27], 1, v5
	v_lshlrev_b32_e32 v5, 1, v16
	s_movk_i32 s28, 0x780
	v_lshlrev_b32_e32 v36, 2, v4
	v_lshrrev_b32_e32 v4, 4, v16
	v_and_or_b32 v5, v5, s28, v19
	v_and_b32_e32 v4, 60, v4
	v_add_u32_e32 v48, v12, v5
	v_mul_u32_u24_e32 v5, 7, v5
	v_add_u32_e32 v37, v12, v4
	v_add_u32_e32 v51, v48, v5
	v_lshrrev_b32_e32 v35, 6, v14
	v_cmp_lt_u32_e64 s[12:13], 31, v20
	v_cmp_gt_u32_e64 s[16:17], 4, v16
	v_cmp_lt_u32_e64 s[18:19], 63, v16
	v_cmp_eq_u32_e64 s[22:23], 0, v16
	v_mov_b32_e32 v4, 0
	v_lshl_add_u32 v38, v16, 2, v12
	v_add_u32_e32 v39, -4, v37
	v_add_u32_e32 v49, 64, v48
	v_add_u32_e32 v52, 0x200, v51
	v_sub_u32_e32 v53, v11, v10
	s_mov_b64 s[44:45], 0
	s_mov_b32 s59, 0xc0c0004
	s_waitcnt lgkmcnt(0)
	s_barrier
	s_branch .LBB87_59
.LBB87_58:                              ;   in Loop: Header=BB87_59 Depth=1
	s_or_b64 exec, exec, s[40:41]
	s_and_b64 s[28:29], exec, s[56:57]
	s_or_b64 s[44:45], s[28:29], s[44:45]
	s_andn2_b64 exec, exec, s[44:45]
	s_cbranch_execz .LBB87_77
.LBB87_59:                              ; =>This Inner Loop Header: Depth=1
	v_min_u32_e32 v5, s58, v53
	v_lshlrev_b32_e64 v5, v5, -1
	v_mov_b32_e32 v19, v21
	v_not_b32_e32 v25, v5
	v_lshrrev_b32_sdwa v5, v10, v34 dst_sel:DWORD dst_unused:UNUSED_PAD src0_sel:DWORD src1_sel:BYTE_0
	v_mov_b32_e32 v20, v22
	v_and_b32_e32 v21, v5, v25
	v_lshlrev_b32_e32 v5, 2, v21
	v_add_lshl_u32 v5, v5, v35, 2
	v_mov_b32_e32 v17, v23
	v_add_co_u32_e64 v5, s[28:29], v12, v5
	v_mov_b32_e32 v18, v24
	v_add_co_u32_e64 v23, s[28:29], 16, v5
	v_and_b32_e32 v5, 1, v21
	v_add_co_u32_e64 v22, s[28:29], -1, v5
	v_addc_co_u32_e64 v24, s[28:29], 0, -1, s[28:29]
	v_cmp_ne_u32_e64 s[28:29], 0, v5
	v_xor_b32_e32 v5, s29, v24
	v_and_b32_e32 v24, exec_hi, v5
	v_lshlrev_b32_e32 v5, 30, v21
	v_xor_b32_e32 v22, s28, v22
	v_cmp_gt_i64_e64 s[28:29], 0, v[4:5]
	v_not_b32_e32 v5, v5
	v_ashrrev_i32_e32 v5, 31, v5
	v_and_b32_e32 v22, exec_lo, v22
	v_xor_b32_e32 v26, s29, v5
	v_xor_b32_e32 v5, s28, v5
	v_and_b32_e32 v22, v22, v5
	v_lshlrev_b32_e32 v5, 29, v21
	v_cmp_gt_i64_e64 s[28:29], 0, v[4:5]
	v_not_b32_e32 v5, v5
	v_ashrrev_i32_e32 v5, 31, v5
	v_and_b32_e32 v24, v24, v26
	v_xor_b32_e32 v26, s29, v5
	v_xor_b32_e32 v5, s28, v5
	v_and_b32_e32 v22, v22, v5
	v_lshlrev_b32_e32 v5, 28, v21
	v_cmp_gt_i64_e64 s[28:29], 0, v[4:5]
	v_not_b32_e32 v5, v5
	v_ashrrev_i32_e32 v5, 31, v5
	v_and_b32_e32 v24, v24, v26
	;; [unrolled: 8-line block ×5, first 2 shown]
	v_xor_b32_e32 v26, s29, v5
	v_xor_b32_e32 v5, s28, v5
	v_and_b32_e32 v24, v24, v26
	v_and_b32_e32 v26, v22, v5
	v_lshlrev_b32_e32 v5, 24, v21
	v_cmp_gt_i64_e64 s[28:29], 0, v[4:5]
	v_not_b32_e32 v5, v5
	v_ashrrev_i32_e32 v5, 31, v5
	v_xor_b32_e32 v21, s29, v5
	v_xor_b32_e32 v5, s28, v5
	v_and_b32_e32 v22, v24, v21
	v_and_b32_e32 v21, v26, v5
	v_mbcnt_lo_u32_b32 v5, v21, 0
	v_mbcnt_hi_u32_b32 v24, v22, v5
	v_cmp_ne_u64_e64 s[28:29], 0, v[21:22]
	v_cmp_eq_u32_e64 s[40:41], 0, v24
	s_and_b64 s[40:41], s[28:29], s[40:41]
	ds_write_b32 v9, v4
	ds_write_b32 v15, v4
	;; [unrolled: 1-line block ×4, first 2 shown]
	s_waitcnt lgkmcnt(0)
	s_barrier
	; wave barrier
	s_and_saveexec_b64 s[28:29], s[40:41]
; %bb.60:                               ;   in Loop: Header=BB87_59 Depth=1
	v_bcnt_u32_b32 v5, v21, 0
	v_bcnt_u32_b32 v5, v22, v5
	ds_write_b32 v23, v5
; %bb.61:                               ;   in Loop: Header=BB87_59 Depth=1
	s_or_b64 exec, exec, s[28:29]
	v_lshrrev_b16_e32 v54, 8, v34
	v_lshrrev_b32_e32 v5, v10, v54
	v_and_b32_e32 v21, v5, v25
	v_lshl_add_u32 v5, v21, 2, v35
	v_lshl_add_u32 v5, v5, 2, v12
	; wave barrier
	v_add_u32_e32 v26, 16, v5
	ds_read_b32 v25, v5 offset:16
	v_and_b32_e32 v5, 1, v21
	v_add_co_u32_e64 v22, s[28:29], -1, v5
	v_addc_co_u32_e64 v27, s[28:29], 0, -1, s[28:29]
	v_cmp_ne_u32_e64 s[28:29], 0, v5
	v_xor_b32_e32 v5, s29, v27
	v_and_b32_e32 v27, exec_hi, v5
	v_lshlrev_b32_e32 v5, 30, v21
	v_xor_b32_e32 v22, s28, v22
	v_cmp_gt_i64_e64 s[28:29], 0, v[4:5]
	v_not_b32_e32 v5, v5
	v_ashrrev_i32_e32 v5, 31, v5
	v_and_b32_e32 v22, exec_lo, v22
	v_xor_b32_e32 v28, s29, v5
	v_xor_b32_e32 v5, s28, v5
	v_and_b32_e32 v22, v22, v5
	v_lshlrev_b32_e32 v5, 29, v21
	v_cmp_gt_i64_e64 s[28:29], 0, v[4:5]
	v_not_b32_e32 v5, v5
	v_ashrrev_i32_e32 v5, 31, v5
	v_and_b32_e32 v27, v27, v28
	v_xor_b32_e32 v28, s29, v5
	v_xor_b32_e32 v5, s28, v5
	v_and_b32_e32 v22, v22, v5
	v_lshlrev_b32_e32 v5, 28, v21
	v_cmp_gt_i64_e64 s[28:29], 0, v[4:5]
	v_not_b32_e32 v5, v5
	v_ashrrev_i32_e32 v5, 31, v5
	v_and_b32_e32 v27, v27, v28
	;; [unrolled: 8-line block ×5, first 2 shown]
	v_xor_b32_e32 v28, s29, v5
	v_xor_b32_e32 v5, s28, v5
	v_and_b32_e32 v27, v27, v28
	v_and_b32_e32 v28, v22, v5
	v_lshlrev_b32_e32 v5, 24, v21
	v_cmp_gt_i64_e64 s[28:29], 0, v[4:5]
	v_not_b32_e32 v5, v5
	v_ashrrev_i32_e32 v5, 31, v5
	v_xor_b32_e32 v21, s29, v5
	v_xor_b32_e32 v5, s28, v5
	v_and_b32_e32 v22, v27, v21
	v_and_b32_e32 v21, v28, v5
	v_mbcnt_lo_u32_b32 v5, v21, 0
	v_mbcnt_hi_u32_b32 v5, v22, v5
	v_cmp_ne_u64_e64 s[28:29], 0, v[21:22]
	v_cmp_eq_u32_e64 s[40:41], 0, v5
	s_and_b64 s[40:41], s[28:29], s[40:41]
	; wave barrier
	s_and_saveexec_b64 s[28:29], s[40:41]
	s_cbranch_execz .LBB87_63
; %bb.62:                               ;   in Loop: Header=BB87_59 Depth=1
	v_bcnt_u32_b32 v21, v21, 0
	v_bcnt_u32_b32 v21, v22, v21
	s_waitcnt lgkmcnt(0)
	v_add_u32_e32 v21, v25, v21
	ds_write_b32 v26, v21
.LBB87_63:                              ;   in Loop: Header=BB87_59 Depth=1
	s_or_b64 exec, exec, s[28:29]
	; wave barrier
	s_waitcnt lgkmcnt(0)
	s_barrier
	ds_read_b32 v27, v9
	ds_read_b32 v22, v15
	;; [unrolled: 1-line block ×4, first 2 shown]
	s_waitcnt lgkmcnt(2)
	v_add_u32_e32 v29, v22, v27
	s_waitcnt lgkmcnt(0)
	v_add3_u32 v28, v29, v21, v28
	s_nop 1
	v_mov_b32_dpp v29, v28 row_shr:1 row_mask:0xf bank_mask:0xf
	v_cndmask_b32_e64 v29, v29, 0, vcc
	v_add_u32_e32 v28, v29, v28
	s_nop 1
	v_mov_b32_dpp v29, v28 row_shr:2 row_mask:0xf bank_mask:0xf
	v_cndmask_b32_e64 v29, 0, v29, s[4:5]
	v_add_u32_e32 v28, v28, v29
	s_nop 1
	v_mov_b32_dpp v29, v28 row_shr:4 row_mask:0xf bank_mask:0xf
	v_cndmask_b32_e64 v29, 0, v29, s[6:7]
	;; [unrolled: 4-line block ×3, first 2 shown]
	v_add_u32_e32 v28, v28, v29
	s_nop 1
	v_mov_b32_dpp v29, v28 row_bcast:15 row_mask:0xf bank_mask:0xf
	v_cndmask_b32_e64 v29, v29, 0, s[10:11]
	v_add_u32_e32 v28, v28, v29
	s_nop 1
	v_mov_b32_dpp v29, v28 row_bcast:31 row_mask:0xf bank_mask:0xf
	v_cndmask_b32_e64 v29, 0, v29, s[12:13]
	v_add_u32_e32 v28, v28, v29
	s_and_saveexec_b64 s[28:29], s[14:15]
; %bb.64:                               ;   in Loop: Header=BB87_59 Depth=1
	ds_write_b32 v37, v28
; %bb.65:                               ;   in Loop: Header=BB87_59 Depth=1
	s_or_b64 exec, exec, s[28:29]
	s_waitcnt lgkmcnt(0)
	s_barrier
	s_and_saveexec_b64 s[28:29], s[16:17]
	s_cbranch_execz .LBB87_67
; %bb.66:                               ;   in Loop: Header=BB87_59 Depth=1
	ds_read_b32 v29, v38
	s_waitcnt lgkmcnt(0)
	s_nop 0
	v_mov_b32_dpp v30, v29 row_shr:1 row_mask:0xf bank_mask:0xf
	v_cndmask_b32_e64 v30, v30, 0, s[24:25]
	v_add_u32_e32 v29, v30, v29
	s_nop 1
	v_mov_b32_dpp v30, v29 row_shr:2 row_mask:0xf bank_mask:0xf
	v_cndmask_b32_e64 v30, 0, v30, s[26:27]
	v_add_u32_e32 v29, v29, v30
	ds_write_b32 v38, v29
.LBB87_67:                              ;   in Loop: Header=BB87_59 Depth=1
	s_or_b64 exec, exec, s[28:29]
	v_mov_b32_e32 v29, 0
	s_waitcnt lgkmcnt(0)
	s_barrier
	s_and_saveexec_b64 s[28:29], s[18:19]
; %bb.68:                               ;   in Loop: Header=BB87_59 Depth=1
	ds_read_b32 v29, v39
; %bb.69:                               ;   in Loop: Header=BB87_59 Depth=1
	s_or_b64 exec, exec, s[28:29]
	s_waitcnt lgkmcnt(0)
	v_add_u32_e32 v28, v29, v28
	ds_bpermute_b32 v28, v36, v28
	v_add_u32_e32 v10, 8, v10
	v_mov_b32_e32 v55, v34
	s_mov_b64 s[56:57], -1
	s_waitcnt lgkmcnt(0)
	v_cndmask_b32_e64 v28, v28, v29, s[20:21]
	v_cndmask_b32_e64 v28, v28, 0, s[22:23]
	v_add_u32_e32 v27, v28, v27
	v_add_u32_e32 v22, v27, v22
	;; [unrolled: 1-line block ×3, first 2 shown]
	ds_write_b32 v9, v28
	ds_write_b32 v15, v27
	;; [unrolled: 1-line block ×4, first 2 shown]
	s_waitcnt lgkmcnt(0)
	s_barrier
	ds_read_b32 v21, v23
	ds_read_b32 v22, v26
	s_waitcnt lgkmcnt(0)
	v_add_u32_e32 v21, v21, v24
	v_add_co_u32_e64 v28, s[28:29], v12, v21
	v_add3_u32 v5, v5, v25, v22
	v_addc_co_u32_e64 v29, s[28:29], 0, v13, s[28:29]
	v_add_co_u32_e64 v30, s[28:29], v12, v5
	v_addc_co_u32_e64 v31, s[28:29], 0, v13, s[28:29]
	v_mad_u64_u32 v[25:26], s[28:29], v21, 7, v[28:29]
	v_mad_u64_u32 v[26:27], s[28:29], v5, 7, v[30:31]
	v_cmp_lt_u32_e64 s[28:29], v10, v11
                                        ; implicit-def: $vgpr23_vgpr24
                                        ; implicit-def: $vgpr21_vgpr22
	s_and_saveexec_b64 s[40:41], s[28:29]
	s_cbranch_execz .LBB87_58
; %bb.70:                               ;   in Loop: Header=BB87_59 Depth=1
	s_barrier
	ds_write_b8 v28, v34
	ds_write_b8 v30, v54
	s_waitcnt lgkmcnt(0)
	s_barrier
	ds_read_u8 v5, v49
	ds_read_u8 v21, v48
	s_waitcnt lgkmcnt(0)
	s_barrier
	ds_write_b64 v25, v[19:20]
	ds_write_b64 v26, v[17:18]
	v_perm_b32 v34, v21, v5, s59
	s_waitcnt lgkmcnt(0)
	s_barrier
	ds_read_b64 v[21:22], v51
	ds_read_b64 v[23:24], v52
	v_add_u32_e32 v53, -8, v53
	s_xor_b64 s[56:57], exec, -1
	s_waitcnt lgkmcnt(0)
	s_barrier
	s_branch .LBB87_58
.LBB87_71:
	flat_load_dwordx2 v[25:26], v[4:5]
	s_or_b64 exec, exec, s[14:15]
                                        ; implicit-def: $vgpr27_vgpr28
	s_and_saveexec_b64 s[14:15], s[4:5]
	s_cbranch_execz .LBB87_12
.LBB87_72:
	flat_load_dwordx2 v[27:28], v[4:5] offset:512
	s_or_b64 exec, exec, s[14:15]
                                        ; implicit-def: $vgpr29_vgpr30
	s_and_saveexec_b64 s[4:5], s[6:7]
	s_cbranch_execz .LBB87_13
.LBB87_73:
	flat_load_dwordx2 v[29:30], v[4:5] offset:1024
	s_or_b64 exec, exec, s[4:5]
                                        ; implicit-def: $vgpr31_vgpr32
	s_and_saveexec_b64 s[4:5], s[10:11]
	s_cbranch_execnz .LBB87_14
	s_branch .LBB87_15
.LBB87_74:
	flat_store_dwordx2 v[0:1], v[13:14]
	s_or_b64 exec, exec, s[14:15]
	s_and_saveexec_b64 s[14:15], s[4:5]
	s_cbranch_execz .LBB87_43
.LBB87_75:
	flat_store_dwordx2 v[0:1], v[15:16] offset:2048
	s_or_b64 exec, exec, s[14:15]
	s_and_saveexec_b64 s[4:5], s[10:11]
	s_cbranch_execz .LBB87_44
.LBB87_76:
	v_add_co_u32_e32 v2, vcc, 0x1000, v0
	v_addc_co_u32_e32 v3, vcc, 0, v1, vcc
	flat_store_dwordx2 v[2:3], v[9:10]
	s_or_b64 exec, exec, s[4:5]
	s_and_saveexec_b64 s[4:5], s[6:7]
	s_cbranch_execnz .LBB87_45
	s_branch .LBB87_46
.LBB87_77:
	s_or_b64 exec, exec, s[44:45]
	v_add_u32_e32 v9, v12, v16
	v_mul_u32_u24_e32 v10, 7, v16
	s_barrier
	ds_write_b8 v28, v55
	ds_write_b8 v30, v54
	s_waitcnt lgkmcnt(0)
	s_barrier
	ds_read_u8 v5, v9
	ds_read_u8 v4, v9 offset:256
	v_add_u32_e32 v9, v9, v10
	s_waitcnt lgkmcnt(0)
	s_barrier
	ds_write_b64 v25, v[19:20]
	ds_write_b64 v26, v[17:18]
	s_waitcnt lgkmcnt(0)
	s_barrier
	ds_read2st64_b64 v[9:12], v9 offset1:4
	v_add_co_u32_e32 v2, vcc, v2, v8
	v_addc_co_u32_e32 v3, vcc, 0, v3, vcc
	v_add_co_u32_e32 v2, vcc, v2, v14
	v_addc_co_u32_e32 v3, vcc, 0, v3, vcc
	v_mov_b32_e32 v15, 0
	v_cmp_lt_u32_e32 vcc, v14, v50
	s_waitcnt lgkmcnt(0)
	s_barrier
	s_and_saveexec_b64 s[4:5], vcc
	s_cbranch_execz .LBB87_79
; %bb.78:
	v_xor_b32_e32 v5, -1, v5
	flat_store_byte v[2:3], v5
.LBB87_79:
	s_or_b64 exec, exec, s[4:5]
	v_add_u32_e32 v5, 0x100, v14
	v_cmp_lt_u32_e64 s[4:5], v5, v50
	s_and_saveexec_b64 s[6:7], s[4:5]
	s_cbranch_execz .LBB87_81
; %bb.80:
	v_xor_b32_e32 v4, -1, v4
	flat_store_byte v[2:3], v4 offset:256
.LBB87_81:
	s_or_b64 exec, exec, s[6:7]
	v_add_co_u32_e64 v2, s[6:7], v6, v0
	v_addc_co_u32_e64 v3, s[6:7], v7, v1, s[6:7]
	v_lshlrev_b64 v[0:1], 3, v[14:15]
	v_add_co_u32_e64 v0, s[6:7], v2, v0
	v_addc_co_u32_e64 v1, s[6:7], v3, v1, s[6:7]
	s_and_saveexec_b64 s[6:7], vcc
	s_cbranch_execz .LBB87_83
; %bb.82:
	flat_store_dwordx2 v[0:1], v[9:10]
.LBB87_83:
	s_or_b64 exec, exec, s[6:7]
	s_and_saveexec_b64 s[6:7], s[4:5]
	s_cbranch_execz .LBB87_85
; %bb.84:
	flat_store_dwordx2 v[0:1], v[11:12] offset:2048
.LBB87_85:
	s_or_b64 exec, exec, s[6:7]
                                        ; implicit-def: $vgpr16
                                        ; implicit-def: $vgpr14_vgpr15
                                        ; implicit-def: $vgpr8_vgpr9
                                        ; implicit-def: $vgpr50
                                        ; implicit-def: $vgpr0
                                        ; implicit-def: $vgpr1
                                        ; implicit-def: $vgpr2
                                        ; implicit-def: $vgpr3
                                        ; implicit-def: $vgpr4
                                        ; implicit-def: $vgpr5
                                        ; implicit-def: $vgpr6
                                        ; implicit-def: $vgpr7
                                        ; implicit-def: $vgpr10
                                        ; implicit-def: $vgpr11
                                        ; implicit-def: $vgpr12
                                        ; implicit-def: $vgpr13
                                        ; implicit-def: $vgpr17
.LBB87_86:
	s_andn2_saveexec_b64 s[4:5], s[42:43]
	s_cbranch_execz .LBB87_106
; %bb.87:
	v_mbcnt_hi_u32_b32 v22, -1, v17
	v_bfi_b32 v15, 63, v22, v14
	v_and_b32_e32 v21, 63, v22
	v_and_b32_e32 v17, 0xffffffc0, v14
	v_cmp_lt_u32_e32 vcc, v15, v50
	v_mov_b32_e32 v34, 0xff
	s_and_saveexec_b64 s[6:7], vcc
	s_cbranch_execz .LBB87_89
; %bb.88:
	v_add_co_u32_e64 v0, s[4:5], v0, v8
	v_addc_co_u32_e64 v1, s[4:5], 0, v1, s[4:5]
	v_add_co_u32_e64 v0, s[4:5], v0, v21
	v_addc_co_u32_e64 v1, s[4:5], 0, v1, s[4:5]
	v_add_co_u32_e64 v0, s[4:5], v0, v17
	v_addc_co_u32_e64 v1, s[4:5], 0, v1, s[4:5]
	flat_load_ubyte v0, v[0:1]
	s_waitcnt vmcnt(0) lgkmcnt(0)
	v_xor_b32_e32 v34, -1, v0
.LBB87_89:
	s_or_b64 exec, exec, s[6:7]
	v_lshlrev_b64 v[0:1], 3, v[8:9]
                                        ; implicit-def: $vgpr19_vgpr20
	s_and_saveexec_b64 s[4:5], vcc
	s_cbranch_execz .LBB87_91
; %bb.90:
	v_add_co_u32_e32 v4, vcc, v4, v0
	v_addc_co_u32_e32 v5, vcc, v5, v1, vcc
	v_lshlrev_b32_e32 v9, 3, v21
	v_mov_b32_e32 v18, 0
	v_add_co_u32_e32 v9, vcc, v4, v9
	v_addc_co_u32_e32 v15, vcc, 0, v5, vcc
	v_lshlrev_b64 v[4:5], 3, v[17:18]
	v_add_co_u32_e32 v4, vcc, v9, v4
	v_addc_co_u32_e32 v5, vcc, v15, v5, vcc
	flat_load_dwordx2 v[19:20], v[4:5]
.LBB87_91:
	s_or_b64 exec, exec, s[4:5]
	v_lshl_add_u32 v4, v16, 4, v12
	s_getpc_b64 s[4:5]
	s_add_u32 s4, s4, _ZN7rocprim17ROCPRIM_400000_NS16block_radix_sortIhLj256ELj1ElLj1ELj1ELj8ELNS0_26block_radix_rank_algorithmE2ELNS0_18block_padding_hintE2ELNS0_4arch9wavefront6targetE1EE19radix_bits_per_passE@rel32@lo+4
	s_addc_u32 s5, s5, _ZN7rocprim17ROCPRIM_400000_NS16block_radix_sortIhLj256ELj1ElLj1ELj1ELj8ELNS0_26block_radix_rank_algorithmE2ELNS0_18block_padding_hintE2ELNS0_4arch9wavefront6targetE1EE19radix_bits_per_passE@rel32@hi+12
	v_add_u32_e32 v9, 16, v4
	v_add_u32_e32 v15, 20, v4
	;; [unrolled: 1-line block ×4, first 2 shown]
	v_and_b32_e32 v4, 15, v22
	s_load_dword s56, s[4:5], 0x0
	v_cmp_eq_u32_e32 vcc, 0, v4
	v_cmp_lt_u32_e64 s[4:5], 1, v4
	v_cmp_lt_u32_e64 s[6:7], 3, v4
	;; [unrolled: 1-line block ×3, first 2 shown]
	v_and_b32_e32 v4, 16, v22
	v_and_b32_e32 v5, 0x3c0, v16
	v_cmp_eq_u32_e64 s[10:11], 0, v4
	v_min_u32_e32 v4, 0xc0, v5
	v_or_b32_e32 v4, 63, v4
	v_cmp_eq_u32_e64 s[14:15], v16, v4
	v_subrev_co_u32_e64 v4, s[20:21], 1, v22
	v_and_b32_e32 v17, 64, v22
	v_cmp_lt_i32_e64 s[22:23], v4, v17
	v_cndmask_b32_e64 v4, v4, v22, s[22:23]
	v_lshlrev_b32_e32 v26, 2, v4
	v_lshrrev_b32_e32 v4, 4, v16
	v_and_b32_e32 v4, 60, v4
	v_or_b32_e32 v5, v21, v5
	v_add_u32_e32 v27, v12, v4
	v_and_b32_e32 v17, 3, v22
	v_add_u32_e32 v30, v12, v5
	v_mul_u32_u24_e32 v5, 7, v5
	v_lshrrev_b32_e32 v25, 6, v14
	v_cmp_lt_u32_e64 s[12:13], 31, v22
	v_cmp_gt_u32_e64 s[16:17], 4, v16
	v_cmp_lt_u32_e64 s[18:19], 63, v16
	v_cmp_eq_u32_e64 s[22:23], 0, v16
	v_mov_b32_e32 v4, 0
	v_lshl_add_u32 v28, v16, 2, v12
	v_cmp_eq_u32_e64 s[24:25], 0, v17
	v_cmp_lt_u32_e64 s[26:27], 1, v17
	v_add_u32_e32 v29, -4, v27
	v_add_u32_e32 v31, v30, v5
	s_mov_b64 s[42:43], 0
	v_sub_u32_e32 v32, v11, v10
	s_waitcnt vmcnt(0) lgkmcnt(0)
	s_barrier
	s_branch .LBB87_93
.LBB87_92:                              ;   in Loop: Header=BB87_93 Depth=1
	s_or_b64 exec, exec, s[40:41]
	s_and_b64 s[28:29], exec, s[44:45]
	s_or_b64 s[42:43], s[28:29], s[42:43]
	s_andn2_b64 exec, exec, s[42:43]
	s_cbranch_execz .LBB87_103
.LBB87_93:                              ; =>This Inner Loop Header: Depth=1
	v_mov_b32_e32 v17, v19
	v_mov_b32_e32 v33, v34
	;; [unrolled: 1-line block ×3, first 2 shown]
	v_min_u32_e32 v5, s56, v32
	v_lshrrev_b32_sdwa v19, v10, v33 dst_sel:DWORD dst_unused:UNUSED_PAD src0_sel:DWORD src1_sel:BYTE_0
	v_bfe_u32 v19, v19, 0, v5
	v_lshlrev_b32_e32 v5, 2, v19
	v_add_lshl_u32 v5, v5, v25, 2
	v_add_co_u32_e64 v5, s[28:29], v12, v5
	v_add_co_u32_e64 v21, s[28:29], 16, v5
	v_and_b32_e32 v5, 1, v19
	v_add_co_u32_e64 v20, s[28:29], -1, v5
	v_addc_co_u32_e64 v22, s[28:29], 0, -1, s[28:29]
	v_cmp_ne_u32_e64 s[28:29], 0, v5
	v_xor_b32_e32 v5, s29, v22
	v_and_b32_e32 v22, exec_hi, v5
	v_lshlrev_b32_e32 v5, 30, v19
	v_xor_b32_e32 v20, s28, v20
	v_cmp_gt_i64_e64 s[28:29], 0, v[4:5]
	v_not_b32_e32 v5, v5
	v_ashrrev_i32_e32 v5, 31, v5
	v_and_b32_e32 v20, exec_lo, v20
	v_xor_b32_e32 v34, s29, v5
	v_xor_b32_e32 v5, s28, v5
	v_and_b32_e32 v20, v20, v5
	v_lshlrev_b32_e32 v5, 29, v19
	v_cmp_gt_i64_e64 s[28:29], 0, v[4:5]
	v_not_b32_e32 v5, v5
	v_ashrrev_i32_e32 v5, 31, v5
	v_and_b32_e32 v22, v22, v34
	v_xor_b32_e32 v34, s29, v5
	v_xor_b32_e32 v5, s28, v5
	v_and_b32_e32 v20, v20, v5
	v_lshlrev_b32_e32 v5, 28, v19
	v_cmp_gt_i64_e64 s[28:29], 0, v[4:5]
	v_not_b32_e32 v5, v5
	v_ashrrev_i32_e32 v5, 31, v5
	v_and_b32_e32 v22, v22, v34
	;; [unrolled: 8-line block ×5, first 2 shown]
	v_xor_b32_e32 v34, s29, v5
	v_xor_b32_e32 v5, s28, v5
	v_and_b32_e32 v22, v22, v34
	v_and_b32_e32 v34, v20, v5
	v_lshlrev_b32_e32 v5, 24, v19
	v_cmp_gt_i64_e64 s[28:29], 0, v[4:5]
	v_not_b32_e32 v5, v5
	v_ashrrev_i32_e32 v5, 31, v5
	v_xor_b32_e32 v19, s29, v5
	v_xor_b32_e32 v5, s28, v5
	v_and_b32_e32 v20, v22, v19
	v_and_b32_e32 v19, v34, v5
	v_mbcnt_lo_u32_b32 v5, v19, 0
	v_mbcnt_hi_u32_b32 v5, v20, v5
	v_cmp_ne_u64_e64 s[28:29], 0, v[19:20]
	v_cmp_eq_u32_e64 s[40:41], 0, v5
	s_and_b64 s[40:41], s[28:29], s[40:41]
	ds_write_b32 v9, v4
	ds_write_b32 v15, v4
	;; [unrolled: 1-line block ×4, first 2 shown]
	s_waitcnt lgkmcnt(0)
	s_barrier
	; wave barrier
	s_and_saveexec_b64 s[28:29], s[40:41]
; %bb.94:                               ;   in Loop: Header=BB87_93 Depth=1
	v_bcnt_u32_b32 v19, v19, 0
	v_bcnt_u32_b32 v19, v20, v19
	ds_write_b32 v21, v19
; %bb.95:                               ;   in Loop: Header=BB87_93 Depth=1
	s_or_b64 exec, exec, s[28:29]
	; wave barrier
	s_waitcnt lgkmcnt(0)
	s_barrier
	ds_read_b32 v22, v9
	ds_read_b32 v20, v15
	;; [unrolled: 1-line block ×4, first 2 shown]
	s_waitcnt lgkmcnt(2)
	v_add_u32_e32 v35, v20, v22
	s_waitcnt lgkmcnt(0)
	v_add3_u32 v34, v35, v19, v34
	s_nop 1
	v_mov_b32_dpp v35, v34 row_shr:1 row_mask:0xf bank_mask:0xf
	v_cndmask_b32_e64 v35, v35, 0, vcc
	v_add_u32_e32 v34, v35, v34
	s_nop 1
	v_mov_b32_dpp v35, v34 row_shr:2 row_mask:0xf bank_mask:0xf
	v_cndmask_b32_e64 v35, 0, v35, s[4:5]
	v_add_u32_e32 v34, v34, v35
	s_nop 1
	v_mov_b32_dpp v35, v34 row_shr:4 row_mask:0xf bank_mask:0xf
	v_cndmask_b32_e64 v35, 0, v35, s[6:7]
	v_add_u32_e32 v34, v34, v35
	s_nop 1
	v_mov_b32_dpp v35, v34 row_shr:8 row_mask:0xf bank_mask:0xf
	v_cndmask_b32_e64 v35, 0, v35, s[8:9]
	v_add_u32_e32 v34, v34, v35
	s_nop 1
	v_mov_b32_dpp v35, v34 row_bcast:15 row_mask:0xf bank_mask:0xf
	v_cndmask_b32_e64 v35, v35, 0, s[10:11]
	v_add_u32_e32 v34, v34, v35
	s_nop 1
	v_mov_b32_dpp v35, v34 row_bcast:31 row_mask:0xf bank_mask:0xf
	v_cndmask_b32_e64 v35, 0, v35, s[12:13]
	v_add_u32_e32 v34, v34, v35
	s_and_saveexec_b64 s[28:29], s[14:15]
; %bb.96:                               ;   in Loop: Header=BB87_93 Depth=1
	ds_write_b32 v27, v34
; %bb.97:                               ;   in Loop: Header=BB87_93 Depth=1
	s_or_b64 exec, exec, s[28:29]
	s_waitcnt lgkmcnt(0)
	s_barrier
	s_and_saveexec_b64 s[28:29], s[16:17]
	s_cbranch_execz .LBB87_99
; %bb.98:                               ;   in Loop: Header=BB87_93 Depth=1
	ds_read_b32 v35, v28
	s_waitcnt lgkmcnt(0)
	s_nop 0
	v_mov_b32_dpp v36, v35 row_shr:1 row_mask:0xf bank_mask:0xf
	v_cndmask_b32_e64 v36, v36, 0, s[24:25]
	v_add_u32_e32 v35, v36, v35
	s_nop 1
	v_mov_b32_dpp v36, v35 row_shr:2 row_mask:0xf bank_mask:0xf
	v_cndmask_b32_e64 v36, 0, v36, s[26:27]
	v_add_u32_e32 v35, v35, v36
	ds_write_b32 v28, v35
.LBB87_99:                              ;   in Loop: Header=BB87_93 Depth=1
	s_or_b64 exec, exec, s[28:29]
	v_mov_b32_e32 v35, 0
	s_waitcnt lgkmcnt(0)
	s_barrier
	s_and_saveexec_b64 s[28:29], s[18:19]
; %bb.100:                              ;   in Loop: Header=BB87_93 Depth=1
	ds_read_b32 v35, v29
; %bb.101:                              ;   in Loop: Header=BB87_93 Depth=1
	s_or_b64 exec, exec, s[28:29]
	s_waitcnt lgkmcnt(0)
	v_add_u32_e32 v34, v35, v34
	ds_bpermute_b32 v34, v26, v34
	v_add_u32_e32 v10, 8, v10
	v_cmp_lt_u32_e64 s[28:29], v10, v11
	s_mov_b64 s[44:45], -1
	s_waitcnt lgkmcnt(0)
	v_cndmask_b32_e64 v34, v34, v35, s[20:21]
	v_cndmask_b32_e64 v34, v34, 0, s[22:23]
	v_add_u32_e32 v22, v34, v22
	v_add_u32_e32 v20, v22, v20
	;; [unrolled: 1-line block ×3, first 2 shown]
	ds_write_b32 v9, v34
	ds_write_b32 v15, v22
	;; [unrolled: 1-line block ×4, first 2 shown]
	s_waitcnt lgkmcnt(0)
	s_barrier
	ds_read_b32 v19, v21
	s_waitcnt lgkmcnt(0)
                                        ; implicit-def: $vgpr34
	v_add_u32_e32 v5, v19, v5
	v_add_co_u32_e64 v21, s[40:41], v12, v5
	v_addc_co_u32_e64 v22, s[40:41], 0, v13, s[40:41]
                                        ; implicit-def: $vgpr19_vgpr20
	s_and_saveexec_b64 s[40:41], s[28:29]
	s_cbranch_execz .LBB87_92
; %bb.102:                              ;   in Loop: Header=BB87_93 Depth=1
	v_mad_u64_u32 v[19:20], s[28:29], v5, 7, v[21:22]
	s_barrier
	ds_write_b8 v21, v33
	s_waitcnt lgkmcnt(0)
	s_barrier
	ds_read_u8 v34, v30
	s_waitcnt lgkmcnt(0)
	s_barrier
	ds_write_b64 v19, v[17:18]
	s_waitcnt lgkmcnt(0)
	s_barrier
	ds_read_b64 v[19:20], v31
	v_add_u32_e32 v32, -8, v32
	s_xor_b64 s[44:45], exec, -1
	s_waitcnt lgkmcnt(0)
	s_barrier
	s_branch .LBB87_92
.LBB87_103:
	s_or_b64 exec, exec, s[42:43]
	v_mad_u64_u32 v[4:5], s[4:5], v5, 7, v[21:22]
	v_add_u32_e32 v10, v12, v16
	s_barrier
	ds_write_b8 v21, v33
	s_waitcnt lgkmcnt(0)
	s_barrier
	ds_read_u8 v9, v10
	s_waitcnt lgkmcnt(0)
	s_barrier
	ds_write_b64 v4, v[17:18]
	v_mul_u32_u24_e32 v4, 7, v16
	v_add_u32_e32 v4, v10, v4
	s_waitcnt lgkmcnt(0)
	s_barrier
	ds_read_b64 v[4:5], v4
	v_cmp_lt_u32_e32 vcc, v14, v50
	s_waitcnt lgkmcnt(0)
	s_barrier
	s_and_saveexec_b64 s[4:5], vcc
	s_cbranch_execz .LBB87_105
; %bb.104:
	v_add_co_u32_e32 v2, vcc, v2, v8
	v_addc_co_u32_e32 v3, vcc, 0, v3, vcc
	v_add_co_u32_e32 v2, vcc, v2, v14
	v_addc_co_u32_e32 v3, vcc, 0, v3, vcc
	v_mov_b32_e32 v15, 0
	v_add_co_u32_e32 v6, vcc, v6, v0
	v_addc_co_u32_e32 v7, vcc, v7, v1, vcc
	v_lshlrev_b64 v[0:1], 3, v[14:15]
	v_xor_b32_e32 v8, -1, v9
	v_add_co_u32_e32 v0, vcc, v6, v0
	v_addc_co_u32_e32 v1, vcc, v7, v1, vcc
	flat_store_byte v[2:3], v8
	flat_store_dwordx2 v[0:1], v[4:5]
.LBB87_105:
	s_or_b64 exec, exec, s[4:5]
.LBB87_106:
	s_or_b64 exec, exec, s[46:47]
	s_waitcnt vmcnt(0) lgkmcnt(0)
	s_setpc_b64 s[30:31]
.Lfunc_end87:
	.size	_ZN7rocprim17ROCPRIM_400000_NS6detail40segmented_radix_sort_single_block_helperIhlLj256ELj4ELb1EE4sortIPKhPhPKlPlEEbT_T0_T1_T2_jjjjRNS3_12storage_typeE, .Lfunc_end87-_ZN7rocprim17ROCPRIM_400000_NS6detail40segmented_radix_sort_single_block_helperIhlLj256ELj4ELb1EE4sortIPKhPhPKlPlEEbT_T0_T1_T2_jjjjRNS3_12storage_typeE
                                        ; -- End function
	.set .L_ZN7rocprim17ROCPRIM_400000_NS6detail40segmented_radix_sort_single_block_helperIhlLj256ELj4ELb1EE4sortIPKhPhPKlPlEEbT_T0_T1_T2_jjjjRNS3_12storage_typeE.num_vgpr, 97
	.set .L_ZN7rocprim17ROCPRIM_400000_NS6detail40segmented_radix_sort_single_block_helperIhlLj256ELj4ELb1EE4sortIPKhPhPKlPlEEbT_T0_T1_T2_jjjjRNS3_12storage_typeE.num_agpr, 0
	.set .L_ZN7rocprim17ROCPRIM_400000_NS6detail40segmented_radix_sort_single_block_helperIhlLj256ELj4ELb1EE4sortIPKhPhPKlPlEEbT_T0_T1_T2_jjjjRNS3_12storage_typeE.numbered_sgpr, 64
	.set .L_ZN7rocprim17ROCPRIM_400000_NS6detail40segmented_radix_sort_single_block_helperIhlLj256ELj4ELb1EE4sortIPKhPhPKlPlEEbT_T0_T1_T2_jjjjRNS3_12storage_typeE.num_named_barrier, 0
	.set .L_ZN7rocprim17ROCPRIM_400000_NS6detail40segmented_radix_sort_single_block_helperIhlLj256ELj4ELb1EE4sortIPKhPhPKlPlEEbT_T0_T1_T2_jjjjRNS3_12storage_typeE.private_seg_size, 0
	.set .L_ZN7rocprim17ROCPRIM_400000_NS6detail40segmented_radix_sort_single_block_helperIhlLj256ELj4ELb1EE4sortIPKhPhPKlPlEEbT_T0_T1_T2_jjjjRNS3_12storage_typeE.uses_vcc, 1
	.set .L_ZN7rocprim17ROCPRIM_400000_NS6detail40segmented_radix_sort_single_block_helperIhlLj256ELj4ELb1EE4sortIPKhPhPKlPlEEbT_T0_T1_T2_jjjjRNS3_12storage_typeE.uses_flat_scratch, 0
	.set .L_ZN7rocprim17ROCPRIM_400000_NS6detail40segmented_radix_sort_single_block_helperIhlLj256ELj4ELb1EE4sortIPKhPhPKlPlEEbT_T0_T1_T2_jjjjRNS3_12storage_typeE.has_dyn_sized_stack, 0
	.set .L_ZN7rocprim17ROCPRIM_400000_NS6detail40segmented_radix_sort_single_block_helperIhlLj256ELj4ELb1EE4sortIPKhPhPKlPlEEbT_T0_T1_T2_jjjjRNS3_12storage_typeE.has_recursion, 0
	.set .L_ZN7rocprim17ROCPRIM_400000_NS6detail40segmented_radix_sort_single_block_helperIhlLj256ELj4ELb1EE4sortIPKhPhPKlPlEEbT_T0_T1_T2_jjjjRNS3_12storage_typeE.has_indirect_call, 0
	.section	.AMDGPU.csdata,"",@progbits
; Function info:
; codeLenInByte = 8336
; TotalNumSgprs: 68
; NumVgprs: 97
; ScratchSize: 0
; MemoryBound: 1
	.section	.text._ZN7rocprim17ROCPRIM_400000_NS6detail17trampoline_kernelINS0_14default_configENS1_36segmented_radix_sort_config_selectorIhlEEZNS1_25segmented_radix_sort_implIS3_Lb1EPKhPhPKlPlN2at6native12_GLOBAL__N_18offset_tEEE10hipError_tPvRmT1_PNSt15iterator_traitsISK_E10value_typeET2_T3_PNSL_ISQ_E10value_typeET4_jRbjT5_SW_jjP12ihipStream_tbEUlT_E_NS1_11comp_targetILNS1_3genE2ELNS1_11target_archE906ELNS1_3gpuE6ELNS1_3repE0EEENS1_30default_config_static_selectorELNS0_4arch9wavefront6targetE1EEEvSK_,"axG",@progbits,_ZN7rocprim17ROCPRIM_400000_NS6detail17trampoline_kernelINS0_14default_configENS1_36segmented_radix_sort_config_selectorIhlEEZNS1_25segmented_radix_sort_implIS3_Lb1EPKhPhPKlPlN2at6native12_GLOBAL__N_18offset_tEEE10hipError_tPvRmT1_PNSt15iterator_traitsISK_E10value_typeET2_T3_PNSL_ISQ_E10value_typeET4_jRbjT5_SW_jjP12ihipStream_tbEUlT_E_NS1_11comp_targetILNS1_3genE2ELNS1_11target_archE906ELNS1_3gpuE6ELNS1_3repE0EEENS1_30default_config_static_selectorELNS0_4arch9wavefront6targetE1EEEvSK_,comdat
	.globl	_ZN7rocprim17ROCPRIM_400000_NS6detail17trampoline_kernelINS0_14default_configENS1_36segmented_radix_sort_config_selectorIhlEEZNS1_25segmented_radix_sort_implIS3_Lb1EPKhPhPKlPlN2at6native12_GLOBAL__N_18offset_tEEE10hipError_tPvRmT1_PNSt15iterator_traitsISK_E10value_typeET2_T3_PNSL_ISQ_E10value_typeET4_jRbjT5_SW_jjP12ihipStream_tbEUlT_E_NS1_11comp_targetILNS1_3genE2ELNS1_11target_archE906ELNS1_3gpuE6ELNS1_3repE0EEENS1_30default_config_static_selectorELNS0_4arch9wavefront6targetE1EEEvSK_ ; -- Begin function _ZN7rocprim17ROCPRIM_400000_NS6detail17trampoline_kernelINS0_14default_configENS1_36segmented_radix_sort_config_selectorIhlEEZNS1_25segmented_radix_sort_implIS3_Lb1EPKhPhPKlPlN2at6native12_GLOBAL__N_18offset_tEEE10hipError_tPvRmT1_PNSt15iterator_traitsISK_E10value_typeET2_T3_PNSL_ISQ_E10value_typeET4_jRbjT5_SW_jjP12ihipStream_tbEUlT_E_NS1_11comp_targetILNS1_3genE2ELNS1_11target_archE906ELNS1_3gpuE6ELNS1_3repE0EEENS1_30default_config_static_selectorELNS0_4arch9wavefront6targetE1EEEvSK_
	.p2align	8
	.type	_ZN7rocprim17ROCPRIM_400000_NS6detail17trampoline_kernelINS0_14default_configENS1_36segmented_radix_sort_config_selectorIhlEEZNS1_25segmented_radix_sort_implIS3_Lb1EPKhPhPKlPlN2at6native12_GLOBAL__N_18offset_tEEE10hipError_tPvRmT1_PNSt15iterator_traitsISK_E10value_typeET2_T3_PNSL_ISQ_E10value_typeET4_jRbjT5_SW_jjP12ihipStream_tbEUlT_E_NS1_11comp_targetILNS1_3genE2ELNS1_11target_archE906ELNS1_3gpuE6ELNS1_3repE0EEENS1_30default_config_static_selectorELNS0_4arch9wavefront6targetE1EEEvSK_,@function
_ZN7rocprim17ROCPRIM_400000_NS6detail17trampoline_kernelINS0_14default_configENS1_36segmented_radix_sort_config_selectorIhlEEZNS1_25segmented_radix_sort_implIS3_Lb1EPKhPhPKlPlN2at6native12_GLOBAL__N_18offset_tEEE10hipError_tPvRmT1_PNSt15iterator_traitsISK_E10value_typeET2_T3_PNSL_ISQ_E10value_typeET4_jRbjT5_SW_jjP12ihipStream_tbEUlT_E_NS1_11comp_targetILNS1_3genE2ELNS1_11target_archE906ELNS1_3gpuE6ELNS1_3repE0EEENS1_30default_config_static_selectorELNS0_4arch9wavefront6targetE1EEEvSK_: ; @_ZN7rocprim17ROCPRIM_400000_NS6detail17trampoline_kernelINS0_14default_configENS1_36segmented_radix_sort_config_selectorIhlEEZNS1_25segmented_radix_sort_implIS3_Lb1EPKhPhPKlPlN2at6native12_GLOBAL__N_18offset_tEEE10hipError_tPvRmT1_PNSt15iterator_traitsISK_E10value_typeET2_T3_PNSL_ISQ_E10value_typeET4_jRbjT5_SW_jjP12ihipStream_tbEUlT_E_NS1_11comp_targetILNS1_3genE2ELNS1_11target_archE906ELNS1_3gpuE6ELNS1_3repE0EEENS1_30default_config_static_selectorELNS0_4arch9wavefront6targetE1EEEvSK_
; %bb.0:
	s_add_u32 s0, s0, s8
	s_mov_b64 s[34:35], s[4:5]
	s_load_dwordx2 s[4:5], s[4:5], 0x38
	s_nop 0
	s_load_dwordx4 s[8:11], s[34:35], 0x40
	s_mov_b32 s33, s7
	s_mov_b32 s7, 0
	s_addc_u32 s1, s1, 0
	s_lshl_b64 s[12:13], s[6:7], 2
	s_waitcnt lgkmcnt(0)
	s_add_u32 s4, s4, s12
	s_addc_u32 s5, s5, s13
	s_load_dword s4, s[4:5], 0x0
	s_mov_b32 s32, 0
	s_waitcnt lgkmcnt(0)
	s_add_i32 s74, s4, s9
	s_add_i32 s75, s4, s11
	s_mul_i32 s74, s74, s8
	s_mul_i32 s75, s75, s10
	s_cmp_le_u32 s75, s74
	s_cbranch_scc1 .LBB88_414
; %bb.1:
	s_load_dword s4, s[34:35], 0x30
	s_load_dwordx4 s[64:67], s[34:35], 0x20
	s_load_dwordx4 s[68:71], s[34:35], 0x50
	s_load_dwordx8 s[48:55], s[34:35], 0x0
	s_waitcnt lgkmcnt(0)
	s_bitcmp1_b32 s4, 0
	s_cselect_b64 s[72:73], -1, 0
	s_sub_i32 s71, s75, s74
	s_cmpk_lt_u32 s71, 0x401
	s_mov_b64 s[4:5], -1
	s_cbranch_scc0 .LBB88_7
; %bb.2:
	s_and_b32 s4, s68, 1
	v_cndmask_b32_e64 v3, 0, 1, s[72:73]
	v_cmp_ne_u32_e32 vcc, s4, v3
	s_mov_b64 s[4:5], -1
	v_lshlrev_b32_e32 v41, 20, v2
	v_lshlrev_b32_e32 v42, 10, v1
	s_cbranch_vccnz .LBB88_4
; %bb.3:
	s_add_u32 s8, s34, 0x60
	s_mov_b64 s[4:5], src_shared_base
	s_addc_u32 s9, s35, 0
	s_getpc_b64 s[10:11]
	s_add_u32 s10, s10, _ZN7rocprim17ROCPRIM_400000_NS6detail40segmented_radix_sort_single_block_helperIhlLj256ELj4ELb1EE4sortIPKhPhPKlPlEEbT_T0_T1_T2_jjjjRNS3_12storage_typeE@rel32@lo+4
	s_addc_u32 s11, s11, _ZN7rocprim17ROCPRIM_400000_NS6detail40segmented_radix_sort_single_block_helperIhlLj256ELj4ELb1EE4sortIPKhPhPKlPlEEbT_T0_T1_T2_jjjjRNS3_12storage_typeE@rel32@hi+12
	v_or3_b32 v31, v0, v42, v41
	s_mov_b32 s12, s6
	s_mov_b32 s13, s33
	v_mov_b32_e32 v40, v0
	v_mov_b32_e32 v0, s48
	;; [unrolled: 1-line block ×17, first 2 shown]
	s_mov_b32 s36, s6
	s_swappc_b64 s[30:31], s[10:11]
	v_mov_b32_e32 v1, v43
	v_mov_b32_e32 v2, v44
	;; [unrolled: 1-line block ×3, first 2 shown]
	s_mov_b32 s6, s36
	s_mov_b64 s[4:5], 0
.LBB88_4:
	s_andn2_b64 vcc, exec, s[4:5]
	s_cbranch_vccnz .LBB88_6
; %bb.5:
	s_add_u32 s8, s34, 0x60
	s_mov_b64 s[4:5], src_shared_base
	s_addc_u32 s9, s35, 0
	s_getpc_b64 s[10:11]
	s_add_u32 s10, s10, _ZN7rocprim17ROCPRIM_400000_NS6detail40segmented_radix_sort_single_block_helperIhlLj256ELj4ELb1EE4sortIPKhPhPKlPlEEbT_T0_T1_T2_jjjjRNS3_12storage_typeE@rel32@lo+4
	s_addc_u32 s11, s11, _ZN7rocprim17ROCPRIM_400000_NS6detail40segmented_radix_sort_single_block_helperIhlLj256ELj4ELb1EE4sortIPKhPhPKlPlEEbT_T0_T1_T2_jjjjRNS3_12storage_typeE@rel32@hi+12
	v_or3_b32 v31, v0, v42, v41
	s_mov_b32 s12, s6
	s_mov_b32 s13, s33
	v_mov_b32_e32 v40, v0
	v_mov_b32_e32 v0, s48
	;; [unrolled: 1-line block ×17, first 2 shown]
	s_mov_b32 s36, s6
	s_swappc_b64 s[30:31], s[10:11]
	v_mov_b32_e32 v1, v41
	v_mov_b32_e32 v2, v42
	;; [unrolled: 1-line block ×3, first 2 shown]
	s_mov_b32 s6, s36
.LBB88_6:
	s_mov_b64 s[4:5], 0
.LBB88_7:
	s_andn2_b64 vcc, exec, s[4:5]
	s_cbranch_vccnz .LBB88_414
; %bb.8:
	s_cmp_ge_u32 s69, s70
	s_cbranch_scc1 .LBB88_414
; %bb.9:
	v_and_b32_e32 v3, 3, v0
	v_lshlrev_b32_e32 v24, 2, v3
	v_or_b32_e32 v3, 63, v0
	v_lshlrev_b32_e32 v18, 2, v0
	v_mov_b32_e32 v4, s53
	v_add_co_u32_e32 v22, vcc, s52, v0
	v_cmp_eq_u32_e64 s[8:9], v0, v3
	v_lshrrev_b32_e32 v3, 4, v0
	v_addc_co_u32_e32 v23, vcc, 0, v4, vcc
	v_and_b32_e32 v26, 12, v3
	v_and_b32_e32 v3, 0x300, v18
	v_lshlrev_b32_e32 v4, 4, v0
	v_sub_u32_e32 v28, 0, v4
	v_lshlrev_b32_e32 v4, 3, v3
	v_mov_b32_e32 v5, s67
	v_add_co_u32_e32 v29, vcc, s66, v4
	v_addc_co_u32_e32 v30, vcc, 0, v5, vcc
	v_mov_b32_e32 v5, s53
	v_add_co_u32_e32 v31, vcc, s52, v3
	v_addc_co_u32_e32 v32, vcc, 0, v5, vcc
	;; [unrolled: 3-line block ×8, first 2 shown]
	v_mbcnt_lo_u32_b32 v4, -1, 0
	v_mbcnt_hi_u32_b32 v45, -1, v4
	v_mad_u32_u24 v25, v0, 12, v18
	v_and_b32_e32 v46, 63, v45
	s_movk_i32 s4, 0x100
	s_add_u32 s46, s34, 0x60
	s_movk_i32 s7, 0xff
	v_or_b32_e32 v47, v46, v3
	v_add_u32_e32 v50, v25, v18
	v_or_b32_e32 v19, 0x100, v0
	v_or_b32_e32 v20, 0x200, v0
	;; [unrolled: 1-line block ×3, first 2 shown]
	v_cmp_gt_u32_e64 s[4:5], s4, v0
	v_or_b32_e32 v27, 0x2400, v26
	v_cmp_gt_u32_e64 s[10:11], 4, v0
	v_cmp_lt_u32_e64 s[12:13], 63, v0
	s_addc_u32 s47, s35, 0
	s_mov_b32 s57, 0
	v_cmp_eq_u32_e64 s[14:15], 0, v0
	v_cmp_ne_u32_e64 s[16:17], s7, v0
	s_mov_b32 s7, s69
	v_or_b32_e32 v48, 0x2400, v18
	v_add_u32_e32 v49, 0x23fc, v26
	v_mul_u32_u24_e32 v51, 7, v0
	v_mov_b32_e32 v52, 1
	v_add_u32_e32 v53, 0x410, v50
	v_add_u32_e32 v54, 0x418, v50
	v_and_b32_e32 v55, 15, v45
	v_bfe_i32 v56, v45, 4, 1
	v_and_b32_e32 v57, 16, v45
	v_and_b32_e32 v58, 3, v45
	;; [unrolled: 1-line block ×3, first 2 shown]
	v_lshlrev_b32_e32 v60, 3, v46
	v_or_b32_e32 v61, 64, v47
	v_or_b32_e32 v62, 0x80, v47
	;; [unrolled: 1-line block ×3, first 2 shown]
	v_mov_b32_e32 v3, 0
	s_branch .LBB88_12
.LBB88_10:                              ;   in Loop: Header=BB88_12 Depth=1
	s_waitcnt lgkmcnt(0)
	s_barrier
.LBB88_11:                              ;   in Loop: Header=BB88_12 Depth=1
	s_add_i32 s7, s7, 8
	s_cmp_ge_u32 s7, s70
	s_cbranch_scc1 .LBB88_414
.LBB88_12:                              ; =>This Loop Header: Depth=1
                                        ;     Child Loop BB88_16 Depth 2
                                        ;     Child Loop BB88_48 Depth 2
	;; [unrolled: 1-line block ×8, first 2 shown]
	s_sub_i32 s18, s70, s7
	s_min_u32 s18, s18, 8
	s_lshl_b32 s18, -1, s18
	s_xor_b64 s[72:73], s[72:73], -1
	s_not_b32 s58, s18
	s_cmp_lg_u32 s7, s69
	s_mov_b64 s[18:19], -1
	ds_write2st64_b32 v18, v3, v3 offset1:4
	ds_write2st64_b32 v18, v3, v3 offset0:8 offset1:12
	s_waitcnt lgkmcnt(0)
	s_cbranch_scc0 .LBB88_214
; %bb.13:                               ;   in Loop: Header=BB88_12 Depth=1
	s_and_b64 vcc, exec, s[72:73]
	s_cbranch_vccz .LBB88_113
; %bb.14:                               ;   in Loop: Header=BB88_12 Depth=1
	v_mov_b32_e32 v4, 0
	s_mov_b32 s20, s71
	s_mov_b32 s22, s74
	v_mov_b32_e32 v7, 0
	v_mov_b32_e32 v6, 0
	;; [unrolled: 1-line block ×3, first 2 shown]
	s_barrier
	s_branch .LBB88_16
.LBB88_15:                              ;   in Loop: Header=BB88_16 Depth=2
	s_or_b64 exec, exec, s[18:19]
	s_addk_i32 s20, 0xfc00
	s_cmp_ge_u32 s21, s75
	s_mov_b32 s22, s21
	s_cbranch_scc1 .LBB88_36
.LBB88_16:                              ;   Parent Loop BB88_12 Depth=1
                                        ; =>  This Inner Loop Header: Depth=2
	s_add_i32 s21, s22, 0x400
	s_cmp_gt_u32 s21, s75
	s_mov_b64 s[18:19], -1
                                        ; implicit-def: $vgpr8
                                        ; implicit-def: $vgpr9
                                        ; implicit-def: $vgpr10
                                        ; implicit-def: $vgpr11
	s_cbranch_scc1 .LBB88_18
; %bb.17:                               ;   in Loop: Header=BB88_16 Depth=2
	v_add_co_u32_e32 v12, vcc, s22, v22
	v_addc_co_u32_e32 v13, vcc, 0, v23, vcc
	global_load_ubyte v11, v[12:13], off offset:768
	global_load_ubyte v10, v[12:13], off offset:512
	;; [unrolled: 1-line block ×3, first 2 shown]
	global_load_ubyte v8, v[12:13], off
	s_mov_b64 s[18:19], 0
.LBB88_18:                              ;   in Loop: Header=BB88_16 Depth=2
	s_andn2_b64 vcc, exec, s[18:19]
	s_movk_i32 s23, 0x400
	s_cbranch_vccnz .LBB88_25
; %bb.19:                               ;   in Loop: Header=BB88_16 Depth=2
	s_add_u32 s22, s52, s22
	s_addc_u32 s23, s53, 0
	v_cmp_gt_u32_e32 vcc, s20, v0
	s_and_saveexec_b64 s[18:19], vcc
	s_cbranch_execnz .LBB88_33
; %bb.20:                               ;   in Loop: Header=BB88_16 Depth=2
	s_or_b64 exec, exec, s[18:19]
	v_cmp_gt_u32_e32 vcc, s20, v19
	s_and_saveexec_b64 s[18:19], vcc
	s_cbranch_execnz .LBB88_34
.LBB88_21:                              ;   in Loop: Header=BB88_16 Depth=2
	s_or_b64 exec, exec, s[18:19]
	v_cmp_gt_u32_e32 vcc, s20, v20
	s_and_saveexec_b64 s[18:19], vcc
	s_cbranch_execnz .LBB88_35
.LBB88_22:                              ;   in Loop: Header=BB88_16 Depth=2
	s_or_b64 exec, exec, s[18:19]
	v_cmp_gt_u32_e32 vcc, s20, v21
	s_and_saveexec_b64 s[18:19], vcc
	s_cbranch_execz .LBB88_24
.LBB88_23:                              ;   in Loop: Header=BB88_16 Depth=2
	v_mov_b32_e32 v5, s23
	s_waitcnt vmcnt(0)
	v_add_co_u32_e32 v8, vcc, s22, v0
	v_addc_co_u32_e32 v9, vcc, 0, v5, vcc
	global_load_ubyte v5, v[8:9], off offset:768
.LBB88_24:                              ;   in Loop: Header=BB88_16 Depth=2
	s_or_b64 exec, exec, s[18:19]
	s_mov_b32 s23, s20
	s_waitcnt vmcnt(0)
	v_mov_b32_e32 v8, v4
	v_mov_b32_e32 v9, v7
	;; [unrolled: 1-line block ×4, first 2 shown]
.LBB88_25:                              ;   in Loop: Header=BB88_16 Depth=2
	s_waitcnt vmcnt(3)
	v_mov_b32_e32 v5, v11
	s_waitcnt vmcnt(2)
	v_mov_b32_e32 v6, v10
	;; [unrolled: 2-line block ×4, first 2 shown]
	v_cmp_gt_u32_e32 vcc, s23, v0
	s_and_saveexec_b64 s[18:19], vcc
	s_cbranch_execnz .LBB88_29
; %bb.26:                               ;   in Loop: Header=BB88_16 Depth=2
	s_or_b64 exec, exec, s[18:19]
	v_cmp_gt_u32_e32 vcc, s23, v19
	s_and_saveexec_b64 s[18:19], vcc
	s_cbranch_execnz .LBB88_30
.LBB88_27:                              ;   in Loop: Header=BB88_16 Depth=2
	s_or_b64 exec, exec, s[18:19]
	v_cmp_gt_u32_e32 vcc, s23, v20
	s_and_saveexec_b64 s[18:19], vcc
	s_cbranch_execnz .LBB88_31
.LBB88_28:                              ;   in Loop: Header=BB88_16 Depth=2
	s_or_b64 exec, exec, s[18:19]
	v_cmp_gt_u32_e32 vcc, s23, v21
	s_and_saveexec_b64 s[18:19], vcc
	s_cbranch_execz .LBB88_15
	s_branch .LBB88_32
.LBB88_29:                              ;   in Loop: Header=BB88_16 Depth=2
	v_xor_b32_e32 v8, -1, v4
	v_lshrrev_b32_sdwa v8, s7, v8 dst_sel:DWORD dst_unused:UNUSED_PAD src0_sel:DWORD src1_sel:BYTE_0
	v_and_b32_e32 v8, s58, v8
	v_lshl_or_b32 v8, v8, 4, v24
	ds_add_u32 v8, v52
	s_or_b64 exec, exec, s[18:19]
	v_cmp_gt_u32_e32 vcc, s23, v19
	s_and_saveexec_b64 s[18:19], vcc
	s_cbranch_execz .LBB88_27
.LBB88_30:                              ;   in Loop: Header=BB88_16 Depth=2
	v_xor_b32_e32 v8, -1, v7
	v_lshrrev_b32_sdwa v8, s7, v8 dst_sel:DWORD dst_unused:UNUSED_PAD src0_sel:DWORD src1_sel:BYTE_0
	v_and_b32_e32 v8, s58, v8
	v_lshl_or_b32 v8, v8, 4, v24
	ds_add_u32 v8, v52
	s_or_b64 exec, exec, s[18:19]
	v_cmp_gt_u32_e32 vcc, s23, v20
	s_and_saveexec_b64 s[18:19], vcc
	s_cbranch_execz .LBB88_28
.LBB88_31:                              ;   in Loop: Header=BB88_16 Depth=2
	v_xor_b32_e32 v8, -1, v6
	v_lshrrev_b32_sdwa v8, s7, v8 dst_sel:DWORD dst_unused:UNUSED_PAD src0_sel:DWORD src1_sel:BYTE_0
	v_and_b32_e32 v8, s58, v8
	v_lshl_or_b32 v8, v8, 4, v24
	ds_add_u32 v8, v52
	s_or_b64 exec, exec, s[18:19]
	v_cmp_gt_u32_e32 vcc, s23, v21
	s_and_saveexec_b64 s[18:19], vcc
	s_cbranch_execz .LBB88_15
.LBB88_32:                              ;   in Loop: Header=BB88_16 Depth=2
	v_xor_b32_e32 v8, -1, v5
	v_lshrrev_b32_sdwa v8, s7, v8 dst_sel:DWORD dst_unused:UNUSED_PAD src0_sel:DWORD src1_sel:BYTE_0
	v_and_b32_e32 v8, s58, v8
	v_lshl_or_b32 v8, v8, 4, v24
	ds_add_u32 v8, v52
	s_branch .LBB88_15
.LBB88_33:                              ;   in Loop: Header=BB88_16 Depth=2
	v_mov_b32_e32 v4, s23
	s_waitcnt vmcnt(0)
	v_add_co_u32_e32 v8, vcc, s22, v0
	v_addc_co_u32_e32 v9, vcc, 0, v4, vcc
	global_load_ubyte v4, v[8:9], off
	s_or_b64 exec, exec, s[18:19]
	v_cmp_gt_u32_e32 vcc, s20, v19
	s_and_saveexec_b64 s[18:19], vcc
	s_cbranch_execz .LBB88_21
.LBB88_34:                              ;   in Loop: Header=BB88_16 Depth=2
	s_waitcnt vmcnt(0)
	v_mov_b32_e32 v8, s23
	v_add_co_u32_e32 v7, vcc, s22, v0
	v_addc_co_u32_e32 v8, vcc, 0, v8, vcc
	global_load_ubyte v7, v[7:8], off offset:256
	s_or_b64 exec, exec, s[18:19]
	v_cmp_gt_u32_e32 vcc, s20, v20
	s_and_saveexec_b64 s[18:19], vcc
	s_cbranch_execz .LBB88_22
.LBB88_35:                              ;   in Loop: Header=BB88_16 Depth=2
	v_mov_b32_e32 v6, s23
	s_waitcnt vmcnt(0)
	v_add_co_u32_e32 v8, vcc, s22, v0
	v_addc_co_u32_e32 v9, vcc, 0, v6, vcc
	global_load_ubyte v6, v[8:9], off offset:512
	s_or_b64 exec, exec, s[18:19]
	v_cmp_gt_u32_e32 vcc, s20, v21
	s_and_saveexec_b64 s[18:19], vcc
	s_cbranch_execnz .LBB88_23
	s_branch .LBB88_24
.LBB88_36:                              ;   in Loop: Header=BB88_12 Depth=1
	v_mov_b32_e32 v4, 0
	s_waitcnt lgkmcnt(0)
	s_barrier
	s_and_saveexec_b64 s[18:19], s[4:5]
	s_cbranch_execz .LBB88_38
; %bb.37:                               ;   in Loop: Header=BB88_12 Depth=1
	ds_read2_b64 v[4:7], v25 offset1:1
	s_waitcnt lgkmcnt(0)
	v_add_u32_e32 v4, v5, v4
	v_add3_u32 v4, v4, v6, v7
.LBB88_38:                              ;   in Loop: Header=BB88_12 Depth=1
	s_or_b64 exec, exec, s[18:19]
	s_nop 0
	v_mov_b32_dpp v5, v4 row_shr:1 row_mask:0xf bank_mask:0xf
	v_cmp_eq_u32_e64 s[18:19], 0, v55
	v_cndmask_b32_e64 v5, v5, 0, s[18:19]
	v_add_u32_e32 v4, v5, v4
	v_cmp_lt_u32_e64 s[20:21], 1, v55
	v_cmp_lt_u32_e64 s[22:23], 3, v55
	v_mov_b32_dpp v5, v4 row_shr:2 row_mask:0xf bank_mask:0xf
	v_cndmask_b32_e64 v5, 0, v5, s[20:21]
	v_add_u32_e32 v4, v4, v5
	v_cmp_lt_u32_e64 s[24:25], 7, v55
	v_cmp_lt_u32_e64 s[28:29], 31, v45
	v_mov_b32_dpp v5, v4 row_shr:4 row_mask:0xf bank_mask:0xf
	v_cndmask_b32_e64 v5, 0, v5, s[22:23]
	v_add_u32_e32 v4, v4, v5
	v_cmp_eq_u32_e64 s[26:27], 0, v57
	s_nop 0
	v_mov_b32_dpp v5, v4 row_shr:8 row_mask:0xf bank_mask:0xf
	v_cndmask_b32_e64 v5, 0, v5, s[24:25]
	v_add_u32_e32 v4, v4, v5
	s_nop 1
	v_mov_b32_dpp v5, v4 row_bcast:15 row_mask:0xf bank_mask:0xf
	v_and_b32_e32 v5, v56, v5
	v_add_u32_e32 v4, v4, v5
	s_nop 1
	v_mov_b32_dpp v5, v4 row_bcast:31 row_mask:0xf bank_mask:0xf
	v_cndmask_b32_e64 v5, 0, v5, s[28:29]
	v_add_u32_e32 v4, v4, v5
	s_and_saveexec_b64 s[30:31], s[8:9]
; %bb.39:                               ;   in Loop: Header=BB88_12 Depth=1
	ds_write_b32 v27, v4
; %bb.40:                               ;   in Loop: Header=BB88_12 Depth=1
	s_or_b64 exec, exec, s[30:31]
	s_waitcnt lgkmcnt(0)
	s_barrier
	s_and_saveexec_b64 s[30:31], s[10:11]
	s_cbranch_execz .LBB88_42
; %bb.41:                               ;   in Loop: Header=BB88_12 Depth=1
	ds_read_b32 v5, v48
	v_cmp_ne_u32_e32 vcc, 0, v58
	s_waitcnt lgkmcnt(0)
	v_mov_b32_dpp v6, v5 row_shr:1 row_mask:0xf bank_mask:0xf
	v_cndmask_b32_e32 v6, 0, v6, vcc
	v_add_u32_e32 v5, v6, v5
	v_cmp_lt_u32_e32 vcc, 1, v58
	s_nop 0
	v_mov_b32_dpp v6, v5 row_shr:2 row_mask:0xf bank_mask:0xf
	v_cndmask_b32_e32 v6, 0, v6, vcc
	v_add_u32_e32 v5, v5, v6
	ds_write_b32 v48, v5
.LBB88_42:                              ;   in Loop: Header=BB88_12 Depth=1
	s_or_b64 exec, exec, s[30:31]
	v_mov_b32_e32 v5, 0
	s_waitcnt lgkmcnt(0)
	s_barrier
	s_and_saveexec_b64 s[30:31], s[12:13]
; %bb.43:                               ;   in Loop: Header=BB88_12 Depth=1
	ds_read_b32 v5, v49
; %bb.44:                               ;   in Loop: Header=BB88_12 Depth=1
	s_or_b64 exec, exec, s[30:31]
	v_subrev_co_u32_e64 v6, s[30:31], 1, v45
	v_cmp_lt_i32_e32 vcc, v6, v59
	v_cndmask_b32_e32 v6, v6, v45, vcc
	s_waitcnt lgkmcnt(0)
	v_add_u32_e32 v4, v5, v4
	v_lshlrev_b32_e32 v64, 2, v6
	ds_bpermute_b32 v4, v64, v4
	s_waitcnt lgkmcnt(0)
	s_barrier
	s_and_saveexec_b64 s[34:35], s[4:5]
; %bb.45:                               ;   in Loop: Header=BB88_12 Depth=1
	v_cndmask_b32_e64 v4, v4, v5, s[30:31]
	v_add_u32_e32 v4, s74, v4
	ds_write_b32 v18, v4
; %bb.46:                               ;   in Loop: Header=BB88_12 Depth=1
	s_or_b64 exec, exec, s[34:35]
	s_load_dword s34, s[46:47], 0x4
	s_load_dword s38, s[46:47], 0xc
	v_add_co_u32_e32 v65, vcc, v29, v60
	v_addc_co_u32_e32 v66, vcc, 0, v30, vcc
	s_waitcnt lgkmcnt(0)
	s_cmp_lt_u32 s33, s34
	s_cselect_b32 s34, 14, 20
	s_add_u32 s34, s46, s34
	s_addc_u32 s35, s47, 0
	global_load_ushort v4, v3, s[34:35]
	s_and_b32 s38, s38, 0xffff
	v_add_co_u32_e32 v67, vcc, v31, v46
	v_cmp_eq_u32_e64 s[34:35], 0, v58
	v_cmp_lt_u32_e64 s[36:37], 1, v58
	v_addc_co_u32_e32 v68, vcc, 0, v32, vcc
	s_mov_b32 s59, s71
	s_mov_b32 s56, s74
                                        ; implicit-def: $vgpr7_vgpr8
                                        ; implicit-def: $vgpr9_vgpr10
                                        ; implicit-def: $vgpr11_vgpr12
                                        ; implicit-def: $vgpr69
                                        ; implicit-def: $vgpr70
                                        ; implicit-def: $vgpr72
                                        ; implicit-def: $vgpr73
	s_waitcnt vmcnt(0)
	v_mad_u32_u24 v4, v2, v4, v1
	v_mad_u64_u32 v[4:5], s[38:39], v4, s38, v[0:1]
                                        ; implicit-def: $vgpr5_vgpr6
	v_lshrrev_b32_e32 v4, 4, v4
	v_and_b32_e32 v71, 0xffffffc, v4
	s_branch .LBB88_48
.LBB88_47:                              ;   in Loop: Header=BB88_48 Depth=2
	s_or_b64 exec, exec, s[38:39]
	s_addk_i32 s59, 0xfc00
	s_cmp_lt_u32 s60, s75
	s_mov_b32 s56, s60
	s_cbranch_scc0 .LBB88_112
.LBB88_48:                              ;   Parent Loop BB88_12 Depth=1
                                        ; =>  This Inner Loop Header: Depth=2
	s_add_i32 s60, s56, 0x400
	s_cmp_gt_u32 s60, s75
	s_cbranch_scc1 .LBB88_50
; %bb.49:                               ;   in Loop: Header=BB88_48 Depth=2
	v_add_co_u32_e32 v13, vcc, s56, v67
	v_addc_co_u32_e32 v14, vcc, 0, v68, vcc
	global_load_ubyte v16, v[13:14], off offset:128
	global_load_ubyte v76, v[13:14], off offset:64
	global_load_ubyte v4, v[13:14], off
	s_mov_b64 s[38:39], -1
	s_movk_i32 s42, 0x400
                                        ; implicit-def: $vgpr15
	s_cbranch_execz .LBB88_51
	s_branch .LBB88_58
.LBB88_50:                              ;   in Loop: Header=BB88_48 Depth=2
	s_mov_b64 s[38:39], 0
                                        ; implicit-def: $vgpr4
                                        ; implicit-def: $vgpr76
                                        ; implicit-def: $vgpr16
	s_movk_i32 s42, 0x400
                                        ; implicit-def: $vgpr15
.LBB88_51:                              ;   in Loop: Header=BB88_48 Depth=2
	v_add_co_u32_e32 v13, vcc, s56, v67
	v_addc_co_u32_e32 v14, vcc, 0, v68, vcc
	v_cmp_gt_u32_e32 vcc, s59, v47
	s_waitcnt vmcnt(2)
	v_mov_b32_e32 v16, 0
	s_waitcnt vmcnt(0)
	v_mov_b32_e32 v4, 0
	v_mov_b32_e32 v15, 0
	s_and_saveexec_b64 s[38:39], vcc
	s_cbranch_execz .LBB88_53
; %bb.52:                               ;   in Loop: Header=BB88_48 Depth=2
	global_load_ubyte v4, v[13:14], off
	v_mov_b32_e32 v15, 0
.LBB88_53:                              ;   in Loop: Header=BB88_48 Depth=2
	s_or_b64 exec, exec, s[38:39]
	v_cmp_gt_u32_e32 vcc, s59, v61
	v_mov_b32_e32 v76, v16
	s_and_saveexec_b64 s[38:39], vcc
	s_cbranch_execz .LBB88_55
; %bb.54:                               ;   in Loop: Header=BB88_48 Depth=2
	global_load_ubyte v76, v[13:14], off offset:64
.LBB88_55:                              ;   in Loop: Header=BB88_48 Depth=2
	s_or_b64 exec, exec, s[38:39]
	v_cmp_gt_u32_e32 vcc, s59, v62
	s_and_saveexec_b64 s[38:39], vcc
	s_cbranch_execz .LBB88_57
; %bb.56:                               ;   in Loop: Header=BB88_48 Depth=2
	global_load_ubyte v16, v[13:14], off offset:128
.LBB88_57:                              ;   in Loop: Header=BB88_48 Depth=2
	s_or_b64 exec, exec, s[38:39]
	s_sub_i32 s42, s75, s56
	v_cmp_gt_u32_e64 s[38:39], s59, v63
.LBB88_58:                              ;   in Loop: Header=BB88_48 Depth=2
	v_mov_b32_e32 v74, s59
	s_and_saveexec_b64 s[40:41], s[38:39]
	s_cbranch_execz .LBB88_60
; %bb.59:                               ;   in Loop: Header=BB88_48 Depth=2
	v_mov_b32_e32 v14, s57
	v_add_co_u32_e32 v13, vcc, s56, v67
	v_addc_co_u32_e32 v14, vcc, v68, v14, vcc
	global_load_ubyte v15, v[13:14], off offset:192
	v_mov_b32_e32 v74, s42
.LBB88_60:                              ;   in Loop: Header=BB88_48 Depth=2
	s_or_b64 exec, exec, s[40:41]
	s_waitcnt vmcnt(0)
	v_xor_b32_e32 v17, -1, v4
	v_lshrrev_b32_sdwa v4, s7, v17 dst_sel:DWORD dst_unused:UNUSED_PAD src0_sel:DWORD src1_sel:BYTE_0
	v_and_b32_e32 v13, s58, v4
	v_and_b32_e32 v4, 1, v13
	v_add_co_u32_e32 v14, vcc, -1, v4
	v_addc_co_u32_e64 v75, s[38:39], 0, -1, vcc
	v_cmp_ne_u32_e32 vcc, 0, v4
	v_xor_b32_e32 v4, vcc_hi, v75
	v_and_b32_e32 v75, exec_hi, v4
	v_lshlrev_b32_e32 v4, 30, v13
	v_xor_b32_e32 v14, vcc_lo, v14
	v_cmp_gt_i64_e32 vcc, 0, v[3:4]
	v_not_b32_e32 v4, v4
	v_ashrrev_i32_e32 v4, 31, v4
	v_and_b32_e32 v14, exec_lo, v14
	v_xor_b32_e32 v78, vcc_hi, v4
	v_xor_b32_e32 v4, vcc_lo, v4
	v_and_b32_e32 v14, v14, v4
	v_lshlrev_b32_e32 v4, 29, v13
	v_cmp_gt_i64_e32 vcc, 0, v[3:4]
	v_not_b32_e32 v4, v4
	v_ashrrev_i32_e32 v4, 31, v4
	v_and_b32_e32 v75, v75, v78
	v_xor_b32_e32 v78, vcc_hi, v4
	v_xor_b32_e32 v4, vcc_lo, v4
	v_and_b32_e32 v14, v14, v4
	v_lshlrev_b32_e32 v4, 28, v13
	v_cmp_gt_i64_e32 vcc, 0, v[3:4]
	v_not_b32_e32 v4, v4
	v_ashrrev_i32_e32 v4, 31, v4
	v_and_b32_e32 v75, v75, v78
	v_xor_b32_e32 v78, vcc_hi, v4
	v_xor_b32_e32 v4, vcc_lo, v4
	v_and_b32_e32 v14, v14, v4
	v_lshlrev_b32_e32 v4, 27, v13
	v_cmp_gt_i64_e32 vcc, 0, v[3:4]
	v_not_b32_e32 v4, v4
	v_ashrrev_i32_e32 v4, 31, v4
	v_and_b32_e32 v75, v75, v78
	v_xor_b32_e32 v78, vcc_hi, v4
	v_xor_b32_e32 v4, vcc_lo, v4
	v_and_b32_e32 v14, v14, v4
	v_lshlrev_b32_e32 v4, 26, v13
	v_cmp_gt_i64_e32 vcc, 0, v[3:4]
	v_not_b32_e32 v4, v4
	v_ashrrev_i32_e32 v4, 31, v4
	v_and_b32_e32 v75, v75, v78
	v_xor_b32_e32 v78, vcc_hi, v4
	v_xor_b32_e32 v4, vcc_lo, v4
	v_and_b32_e32 v14, v14, v4
	v_lshlrev_b32_e32 v4, 25, v13
	v_cmp_gt_i64_e32 vcc, 0, v[3:4]
	v_not_b32_e32 v4, v4
	v_ashrrev_i32_e32 v4, 31, v4
	v_and_b32_e32 v75, v75, v78
	v_xor_b32_e32 v78, vcc_hi, v4
	v_xor_b32_e32 v4, vcc_lo, v4
	v_and_b32_e32 v75, v75, v78
	v_and_b32_e32 v78, v14, v4
	v_lshlrev_b32_e32 v4, 24, v13
	v_cmp_gt_i64_e32 vcc, 0, v[3:4]
	v_not_b32_e32 v4, v4
	v_ashrrev_i32_e32 v4, 31, v4
	v_mul_u32_u24_e32 v77, 20, v13
	v_xor_b32_e32 v13, vcc_hi, v4
	v_xor_b32_e32 v4, vcc_lo, v4
	v_and_b32_e32 v14, v75, v13
	v_and_b32_e32 v13, v78, v4
	v_mbcnt_lo_u32_b32 v4, v13, 0
	v_mbcnt_hi_u32_b32 v75, v14, v4
	v_cmp_ne_u64_e32 vcc, 0, v[13:14]
	v_cmp_eq_u32_e64 s[38:39], 0, v75
	s_and_b64 s[40:41], vcc, s[38:39]
	v_add_u32_e32 v78, v71, v77
	ds_write2_b32 v53, v3, v3 offset1:1
	ds_write2_b32 v54, v3, v3 offset1:1
	ds_write_b32 v50, v3 offset:1056
	s_waitcnt lgkmcnt(0)
	s_barrier
	; wave barrier
	s_and_saveexec_b64 s[38:39], s[40:41]
; %bb.61:                               ;   in Loop: Header=BB88_48 Depth=2
	v_bcnt_u32_b32 v4, v13, 0
	v_bcnt_u32_b32 v4, v14, v4
	ds_write_b32 v78, v4 offset:1040
; %bb.62:                               ;   in Loop: Header=BB88_48 Depth=2
	s_or_b64 exec, exec, s[38:39]
	v_xor_b32_e32 v76, -1, v76
	v_lshrrev_b32_sdwa v4, s7, v76 dst_sel:DWORD dst_unused:UNUSED_PAD src0_sel:DWORD src1_sel:BYTE_0
	v_and_b32_e32 v13, s58, v4
	v_mad_u32_u24 v4, v13, 20, v71
	; wave barrier
	ds_read_b32 v77, v4 offset:1040
	v_and_b32_e32 v4, 1, v13
	v_add_co_u32_e32 v14, vcc, -1, v4
	v_addc_co_u32_e64 v79, s[38:39], 0, -1, vcc
	v_cmp_ne_u32_e32 vcc, 0, v4
	v_xor_b32_e32 v4, vcc_hi, v79
	v_and_b32_e32 v79, exec_hi, v4
	v_lshlrev_b32_e32 v4, 30, v13
	v_xor_b32_e32 v14, vcc_lo, v14
	v_cmp_gt_i64_e32 vcc, 0, v[3:4]
	v_not_b32_e32 v4, v4
	v_ashrrev_i32_e32 v4, 31, v4
	v_and_b32_e32 v14, exec_lo, v14
	v_xor_b32_e32 v81, vcc_hi, v4
	v_xor_b32_e32 v4, vcc_lo, v4
	v_and_b32_e32 v14, v14, v4
	v_lshlrev_b32_e32 v4, 29, v13
	v_cmp_gt_i64_e32 vcc, 0, v[3:4]
	v_not_b32_e32 v4, v4
	v_ashrrev_i32_e32 v4, 31, v4
	v_and_b32_e32 v79, v79, v81
	v_xor_b32_e32 v81, vcc_hi, v4
	v_xor_b32_e32 v4, vcc_lo, v4
	v_and_b32_e32 v14, v14, v4
	v_lshlrev_b32_e32 v4, 28, v13
	v_cmp_gt_i64_e32 vcc, 0, v[3:4]
	v_not_b32_e32 v4, v4
	v_ashrrev_i32_e32 v4, 31, v4
	v_and_b32_e32 v79, v79, v81
	;; [unrolled: 8-line block ×5, first 2 shown]
	v_xor_b32_e32 v81, vcc_hi, v4
	v_xor_b32_e32 v4, vcc_lo, v4
	v_and_b32_e32 v79, v79, v81
	v_and_b32_e32 v81, v14, v4
	v_lshlrev_b32_e32 v4, 24, v13
	v_cmp_gt_i64_e32 vcc, 0, v[3:4]
	v_not_b32_e32 v4, v4
	v_ashrrev_i32_e32 v4, 31, v4
	v_mul_u32_u24_e32 v80, 20, v13
	v_xor_b32_e32 v13, vcc_hi, v4
	v_xor_b32_e32 v4, vcc_lo, v4
	v_and_b32_e32 v14, v79, v13
	v_and_b32_e32 v13, v81, v4
	v_mbcnt_lo_u32_b32 v4, v13, 0
	v_mbcnt_hi_u32_b32 v79, v14, v4
	v_cmp_ne_u64_e32 vcc, 0, v[13:14]
	v_cmp_eq_u32_e64 s[38:39], 0, v79
	s_and_b64 s[40:41], vcc, s[38:39]
	v_add_u32_e32 v82, v71, v80
	; wave barrier
	s_and_saveexec_b64 s[38:39], s[40:41]
	s_cbranch_execz .LBB88_64
; %bb.63:                               ;   in Loop: Header=BB88_48 Depth=2
	v_bcnt_u32_b32 v4, v13, 0
	v_bcnt_u32_b32 v4, v14, v4
	s_waitcnt lgkmcnt(0)
	v_add_u32_e32 v4, v77, v4
	ds_write_b32 v82, v4 offset:1040
.LBB88_64:                              ;   in Loop: Header=BB88_48 Depth=2
	s_or_b64 exec, exec, s[38:39]
	v_xor_b32_e32 v80, -1, v16
	v_lshrrev_b32_sdwa v4, s7, v80 dst_sel:DWORD dst_unused:UNUSED_PAD src0_sel:DWORD src1_sel:BYTE_0
	v_and_b32_e32 v13, s58, v4
	v_mad_u32_u24 v4, v13, 20, v71
	; wave barrier
	ds_read_b32 v81, v4 offset:1040
	v_and_b32_e32 v4, 1, v13
	v_add_co_u32_e32 v14, vcc, -1, v4
	v_addc_co_u32_e64 v83, s[38:39], 0, -1, vcc
	v_cmp_ne_u32_e32 vcc, 0, v4
	v_xor_b32_e32 v4, vcc_hi, v83
	v_and_b32_e32 v83, exec_hi, v4
	v_lshlrev_b32_e32 v4, 30, v13
	v_xor_b32_e32 v14, vcc_lo, v14
	v_cmp_gt_i64_e32 vcc, 0, v[3:4]
	v_not_b32_e32 v4, v4
	v_ashrrev_i32_e32 v4, 31, v4
	v_and_b32_e32 v14, exec_lo, v14
	v_xor_b32_e32 v84, vcc_hi, v4
	v_xor_b32_e32 v4, vcc_lo, v4
	v_and_b32_e32 v14, v14, v4
	v_lshlrev_b32_e32 v4, 29, v13
	v_cmp_gt_i64_e32 vcc, 0, v[3:4]
	v_not_b32_e32 v4, v4
	v_ashrrev_i32_e32 v4, 31, v4
	v_and_b32_e32 v83, v83, v84
	v_xor_b32_e32 v84, vcc_hi, v4
	v_xor_b32_e32 v4, vcc_lo, v4
	v_and_b32_e32 v14, v14, v4
	v_lshlrev_b32_e32 v4, 28, v13
	v_cmp_gt_i64_e32 vcc, 0, v[3:4]
	v_not_b32_e32 v4, v4
	v_ashrrev_i32_e32 v4, 31, v4
	v_and_b32_e32 v83, v83, v84
	;; [unrolled: 8-line block ×5, first 2 shown]
	v_xor_b32_e32 v84, vcc_hi, v4
	v_xor_b32_e32 v4, vcc_lo, v4
	v_and_b32_e32 v83, v83, v84
	v_and_b32_e32 v84, v14, v4
	v_lshlrev_b32_e32 v4, 24, v13
	v_cmp_gt_i64_e32 vcc, 0, v[3:4]
	v_not_b32_e32 v4, v4
	v_ashrrev_i32_e32 v4, 31, v4
	v_mul_u32_u24_e32 v16, 20, v13
	v_xor_b32_e32 v13, vcc_hi, v4
	v_xor_b32_e32 v4, vcc_lo, v4
	v_and_b32_e32 v14, v83, v13
	v_and_b32_e32 v13, v84, v4
	v_mbcnt_lo_u32_b32 v4, v13, 0
	v_mbcnt_hi_u32_b32 v83, v14, v4
	v_cmp_ne_u64_e32 vcc, 0, v[13:14]
	v_cmp_eq_u32_e64 s[38:39], 0, v83
	s_and_b64 s[40:41], vcc, s[38:39]
	v_add_u32_e32 v86, v71, v16
	; wave barrier
	s_and_saveexec_b64 s[38:39], s[40:41]
	s_cbranch_execz .LBB88_66
; %bb.65:                               ;   in Loop: Header=BB88_48 Depth=2
	v_bcnt_u32_b32 v4, v13, 0
	v_bcnt_u32_b32 v4, v14, v4
	s_waitcnt lgkmcnt(0)
	v_add_u32_e32 v4, v81, v4
	ds_write_b32 v86, v4 offset:1040
.LBB88_66:                              ;   in Loop: Header=BB88_48 Depth=2
	s_or_b64 exec, exec, s[38:39]
	v_xor_b32_e32 v84, -1, v15
	v_lshrrev_b32_sdwa v4, s7, v84 dst_sel:DWORD dst_unused:UNUSED_PAD src0_sel:DWORD src1_sel:BYTE_0
	v_and_b32_e32 v13, s58, v4
	v_mad_u32_u24 v4, v13, 20, v71
	; wave barrier
	ds_read_b32 v85, v4 offset:1040
	v_and_b32_e32 v4, 1, v13
	v_add_co_u32_e32 v14, vcc, -1, v4
	v_addc_co_u32_e64 v16, s[38:39], 0, -1, vcc
	v_cmp_ne_u32_e32 vcc, 0, v4
	v_xor_b32_e32 v4, vcc_hi, v16
	v_and_b32_e32 v16, exec_hi, v4
	v_lshlrev_b32_e32 v4, 30, v13
	v_xor_b32_e32 v14, vcc_lo, v14
	v_cmp_gt_i64_e32 vcc, 0, v[3:4]
	v_not_b32_e32 v4, v4
	v_ashrrev_i32_e32 v4, 31, v4
	v_and_b32_e32 v14, exec_lo, v14
	v_xor_b32_e32 v87, vcc_hi, v4
	v_xor_b32_e32 v4, vcc_lo, v4
	v_and_b32_e32 v14, v14, v4
	v_lshlrev_b32_e32 v4, 29, v13
	v_cmp_gt_i64_e32 vcc, 0, v[3:4]
	v_not_b32_e32 v4, v4
	v_ashrrev_i32_e32 v4, 31, v4
	v_and_b32_e32 v16, v16, v87
	v_xor_b32_e32 v87, vcc_hi, v4
	v_xor_b32_e32 v4, vcc_lo, v4
	v_and_b32_e32 v14, v14, v4
	v_lshlrev_b32_e32 v4, 28, v13
	v_cmp_gt_i64_e32 vcc, 0, v[3:4]
	v_not_b32_e32 v4, v4
	v_ashrrev_i32_e32 v4, 31, v4
	v_and_b32_e32 v16, v16, v87
	;; [unrolled: 8-line block ×5, first 2 shown]
	v_xor_b32_e32 v87, vcc_hi, v4
	v_xor_b32_e32 v4, vcc_lo, v4
	v_and_b32_e32 v16, v16, v87
	v_and_b32_e32 v87, v14, v4
	v_lshlrev_b32_e32 v4, 24, v13
	v_cmp_gt_i64_e32 vcc, 0, v[3:4]
	v_not_b32_e32 v4, v4
	v_ashrrev_i32_e32 v4, 31, v4
	v_mul_u32_u24_e32 v15, 20, v13
	v_xor_b32_e32 v13, vcc_hi, v4
	v_xor_b32_e32 v4, vcc_lo, v4
	v_and_b32_e32 v14, v16, v13
	v_and_b32_e32 v13, v87, v4
	v_mbcnt_lo_u32_b32 v4, v13, 0
	v_mbcnt_hi_u32_b32 v4, v14, v4
	v_cmp_ne_u64_e32 vcc, 0, v[13:14]
	v_cmp_eq_u32_e64 s[38:39], 0, v4
	s_and_b64 s[40:41], vcc, s[38:39]
	v_add_u32_e32 v87, v71, v15
	; wave barrier
	s_and_saveexec_b64 s[38:39], s[40:41]
	s_cbranch_execz .LBB88_68
; %bb.67:                               ;   in Loop: Header=BB88_48 Depth=2
	v_bcnt_u32_b32 v13, v13, 0
	v_bcnt_u32_b32 v13, v14, v13
	s_waitcnt lgkmcnt(0)
	v_add_u32_e32 v13, v85, v13
	ds_write_b32 v87, v13 offset:1040
.LBB88_68:                              ;   in Loop: Header=BB88_48 Depth=2
	s_or_b64 exec, exec, s[38:39]
	; wave barrier
	s_waitcnt lgkmcnt(0)
	s_barrier
	ds_read2_b32 v[15:16], v53 offset1:1
	ds_read2_b32 v[13:14], v54 offset1:1
	ds_read_b32 v88, v50 offset:1056
	s_waitcnt lgkmcnt(1)
	v_add3_u32 v89, v16, v15, v13
	s_waitcnt lgkmcnt(0)
	v_add3_u32 v88, v89, v14, v88
	s_nop 1
	v_mov_b32_dpp v89, v88 row_shr:1 row_mask:0xf bank_mask:0xf
	v_cndmask_b32_e64 v89, v89, 0, s[18:19]
	v_add_u32_e32 v88, v89, v88
	s_nop 1
	v_mov_b32_dpp v89, v88 row_shr:2 row_mask:0xf bank_mask:0xf
	v_cndmask_b32_e64 v89, 0, v89, s[20:21]
	v_add_u32_e32 v88, v88, v89
	s_nop 1
	v_mov_b32_dpp v89, v88 row_shr:4 row_mask:0xf bank_mask:0xf
	v_cndmask_b32_e64 v89, 0, v89, s[22:23]
	v_add_u32_e32 v88, v88, v89
	s_nop 1
	v_mov_b32_dpp v89, v88 row_shr:8 row_mask:0xf bank_mask:0xf
	v_cndmask_b32_e64 v89, 0, v89, s[24:25]
	v_add_u32_e32 v88, v88, v89
	s_nop 1
	v_mov_b32_dpp v89, v88 row_bcast:15 row_mask:0xf bank_mask:0xf
	v_cndmask_b32_e64 v89, v89, 0, s[26:27]
	v_add_u32_e32 v88, v88, v89
	s_nop 1
	v_mov_b32_dpp v89, v88 row_bcast:31 row_mask:0xf bank_mask:0xf
	v_cndmask_b32_e64 v89, 0, v89, s[28:29]
	v_add_u32_e32 v88, v88, v89
	s_and_saveexec_b64 s[38:39], s[8:9]
; %bb.69:                               ;   in Loop: Header=BB88_48 Depth=2
	ds_write_b32 v26, v88 offset:1024
; %bb.70:                               ;   in Loop: Header=BB88_48 Depth=2
	s_or_b64 exec, exec, s[38:39]
	s_waitcnt lgkmcnt(0)
	s_barrier
	s_and_saveexec_b64 s[38:39], s[10:11]
	s_cbranch_execz .LBB88_72
; %bb.71:                               ;   in Loop: Header=BB88_48 Depth=2
	v_add_u32_e32 v89, v50, v28
	ds_read_b32 v90, v89 offset:1024
	s_waitcnt lgkmcnt(0)
	s_nop 0
	v_mov_b32_dpp v91, v90 row_shr:1 row_mask:0xf bank_mask:0xf
	v_cndmask_b32_e64 v91, v91, 0, s[34:35]
	v_add_u32_e32 v90, v91, v90
	s_nop 1
	v_mov_b32_dpp v91, v90 row_shr:2 row_mask:0xf bank_mask:0xf
	v_cndmask_b32_e64 v91, 0, v91, s[36:37]
	v_add_u32_e32 v90, v90, v91
	ds_write_b32 v89, v90 offset:1024
.LBB88_72:                              ;   in Loop: Header=BB88_48 Depth=2
	s_or_b64 exec, exec, s[38:39]
	v_mov_b32_e32 v89, 0
	s_waitcnt lgkmcnt(0)
	s_barrier
	s_and_saveexec_b64 s[38:39], s[12:13]
; %bb.73:                               ;   in Loop: Header=BB88_48 Depth=2
	ds_read_b32 v89, v26 offset:1020
; %bb.74:                               ;   in Loop: Header=BB88_48 Depth=2
	s_or_b64 exec, exec, s[38:39]
	s_waitcnt lgkmcnt(0)
	v_add_u32_e32 v88, v89, v88
	ds_bpermute_b32 v88, v64, v88
	s_waitcnt lgkmcnt(0)
	v_cndmask_b32_e64 v88, v88, v89, s[30:31]
	v_cndmask_b32_e64 v88, v88, 0, s[14:15]
	v_add_u32_e32 v15, v88, v15
	v_add_u32_e32 v16, v15, v16
	;; [unrolled: 1-line block ×4, first 2 shown]
	ds_write2_b32 v53, v88, v15 offset1:1
	ds_write2_b32 v54, v16, v13 offset1:1
	ds_write_b32 v50, v14 offset:1056
	s_waitcnt lgkmcnt(0)
	s_barrier
	ds_read_b32 v13, v78 offset:1040
	ds_read_b32 v14, v82 offset:1040
	;; [unrolled: 1-line block ×5, first 2 shown]
	v_mov_b32_e32 v78, 0x400
	s_and_saveexec_b64 s[38:39], s[16:17]
; %bb.75:                               ;   in Loop: Header=BB88_48 Depth=2
	ds_read_b32 v78, v50 offset:1060
; %bb.76:                               ;   in Loop: Header=BB88_48 Depth=2
	s_or_b64 exec, exec, s[38:39]
	s_waitcnt lgkmcnt(0)
	s_barrier
	s_and_saveexec_b64 s[38:39], s[4:5]
	s_cbranch_execz .LBB88_78
; %bb.77:                               ;   in Loop: Header=BB88_48 Depth=2
	ds_read_b32 v86, v18
	s_waitcnt lgkmcnt(0)
	v_sub_u32_e32 v15, v86, v15
	ds_write_b32 v18, v15
.LBB88_78:                              ;   in Loop: Header=BB88_48 Depth=2
	s_or_b64 exec, exec, s[38:39]
	v_add_u32_e32 v15, v13, v75
	v_add3_u32 v14, v79, v77, v14
	v_add3_u32 v13, v83, v81, v16
	;; [unrolled: 1-line block ×3, first 2 shown]
	v_cmp_lt_u32_e64 s[42:43], v0, v74
	ds_write_b8 v15, v17 offset:1024
	ds_write_b8 v14, v76 offset:1024
	;; [unrolled: 1-line block ×4, first 2 shown]
	s_waitcnt lgkmcnt(0)
	s_barrier
	s_and_saveexec_b64 s[38:39], s[42:43]
	s_cbranch_execnz .LBB88_99
; %bb.79:                               ;   in Loop: Header=BB88_48 Depth=2
	s_or_b64 exec, exec, s[38:39]
	v_cmp_lt_u32_e64 s[40:41], v19, v74
	s_and_saveexec_b64 s[38:39], s[40:41]
	s_cbranch_execnz .LBB88_100
.LBB88_80:                              ;   in Loop: Header=BB88_48 Depth=2
	s_or_b64 exec, exec, s[38:39]
	v_cmp_lt_u32_e64 s[38:39], v20, v74
	s_and_saveexec_b64 s[44:45], s[38:39]
	s_cbranch_execnz .LBB88_101
.LBB88_81:                              ;   in Loop: Header=BB88_48 Depth=2
	s_or_b64 exec, exec, s[44:45]
	v_cmp_lt_u32_e32 vcc, v21, v74
	s_and_saveexec_b64 s[44:45], vcc
	s_cbranch_execz .LBB88_83
.LBB88_82:                              ;   in Loop: Header=BB88_48 Depth=2
	ds_read_u8 v16, v0 offset:1792
	s_waitcnt lgkmcnt(0)
	v_lshrrev_b32_sdwa v17, s7, v16 dst_sel:DWORD dst_unused:UNUSED_PAD src0_sel:DWORD src1_sel:BYTE_0
	v_and_b32_e32 v17, s58, v17
	v_lshlrev_b32_e32 v17, 2, v17
	ds_read_b32 v17, v17
	v_xor_b32_e32 v16, -1, v16
	s_waitcnt lgkmcnt(0)
	v_add_u32_e32 v17, v17, v21
	global_store_byte v17, v16, s[50:51]
.LBB88_83:                              ;   in Loop: Header=BB88_48 Depth=2
	s_or_b64 exec, exec, s[44:45]
	s_lshl_b64 s[44:45], s[56:57], 3
	v_mov_b32_e32 v17, s45
	v_add_co_u32_e64 v16, s[44:45], s44, v65
	v_addc_co_u32_e64 v17, s[44:45], v66, v17, s[44:45]
	v_cmp_lt_u32_e64 s[44:45], v47, v74
	s_and_saveexec_b64 s[54:55], s[44:45]
	s_xor_b64 s[44:45], exec, s[54:55]
	s_cbranch_execnz .LBB88_102
; %bb.84:                               ;   in Loop: Header=BB88_48 Depth=2
	s_or_b64 exec, exec, s[44:45]
	v_cmp_lt_u32_e64 s[44:45], v61, v74
	s_and_saveexec_b64 s[54:55], s[44:45]
	s_cbranch_execnz .LBB88_103
.LBB88_85:                              ;   in Loop: Header=BB88_48 Depth=2
	s_or_b64 exec, exec, s[54:55]
	v_cmp_lt_u32_e64 s[44:45], v62, v74
	s_and_saveexec_b64 s[54:55], s[44:45]
	s_cbranch_execnz .LBB88_104
.LBB88_86:                              ;   in Loop: Header=BB88_48 Depth=2
	s_or_b64 exec, exec, s[54:55]
	v_cmp_lt_u32_e64 s[44:45], v63, v74
	s_and_saveexec_b64 s[54:55], s[44:45]
	s_cbranch_execnz .LBB88_105
.LBB88_87:                              ;   in Loop: Header=BB88_48 Depth=2
	s_or_b64 exec, exec, s[54:55]
	s_and_saveexec_b64 s[44:45], s[42:43]
	s_cbranch_execnz .LBB88_106
.LBB88_88:                              ;   in Loop: Header=BB88_48 Depth=2
	s_or_b64 exec, exec, s[44:45]
	s_and_saveexec_b64 s[44:45], s[40:41]
	s_cbranch_execnz .LBB88_107
.LBB88_89:                              ;   in Loop: Header=BB88_48 Depth=2
	s_or_b64 exec, exec, s[44:45]
	s_and_saveexec_b64 s[44:45], s[38:39]
	s_cbranch_execnz .LBB88_108
.LBB88_90:                              ;   in Loop: Header=BB88_48 Depth=2
	s_or_b64 exec, exec, s[44:45]
	s_and_saveexec_b64 s[44:45], vcc
	s_cbranch_execz .LBB88_92
.LBB88_91:                              ;   in Loop: Header=BB88_48 Depth=2
	ds_read_u8 v16, v0 offset:1792
	s_waitcnt lgkmcnt(0)
	v_lshrrev_b32_e32 v16, s7, v16
	v_and_b32_e32 v69, s58, v16
.LBB88_92:                              ;   in Loop: Header=BB88_48 Depth=2
	s_or_b64 exec, exec, s[44:45]
	v_mad_u64_u32 v[15:16], s[44:45], v15, 7, v[15:16]
	s_waitcnt vmcnt(0)
	v_mad_u64_u32 v[74:75], s[44:45], v4, 7, v[4:5]
	v_mad_u64_u32 v[16:17], s[44:45], v14, 7, v[14:15]
	;; [unrolled: 1-line block ×3, first 2 shown]
	s_barrier
	ds_write_b64 v15, v[11:12] offset:1024
	ds_write_b64 v16, v[9:10] offset:1024
	;; [unrolled: 1-line block ×4, first 2 shown]
	s_waitcnt lgkmcnt(0)
	s_barrier
	s_and_saveexec_b64 s[44:45], s[42:43]
	s_cbranch_execnz .LBB88_109
; %bb.93:                               ;   in Loop: Header=BB88_48 Depth=2
	s_or_b64 exec, exec, s[44:45]
	s_and_saveexec_b64 s[42:43], s[40:41]
	s_cbranch_execnz .LBB88_110
.LBB88_94:                              ;   in Loop: Header=BB88_48 Depth=2
	s_or_b64 exec, exec, s[42:43]
	s_and_saveexec_b64 s[40:41], s[38:39]
	s_cbranch_execnz .LBB88_111
.LBB88_95:                              ;   in Loop: Header=BB88_48 Depth=2
	s_or_b64 exec, exec, s[40:41]
	s_and_saveexec_b64 s[38:39], vcc
	s_cbranch_execz .LBB88_97
.LBB88_96:                              ;   in Loop: Header=BB88_48 Depth=2
	v_lshlrev_b32_e32 v4, 2, v69
	ds_read_b32 v4, v4
	v_add_u32_e32 v13, v0, v51
	ds_read_b64 v[13:14], v13 offset:7168
	v_mov_b32_e32 v16, v3
	v_mov_b32_e32 v17, s65
	s_waitcnt lgkmcnt(1)
	v_add_u32_e32 v15, v4, v21
	v_lshlrev_b64 v[15:16], 3, v[15:16]
	v_add_co_u32_e32 v15, vcc, s64, v15
	v_addc_co_u32_e32 v16, vcc, v17, v16, vcc
	s_waitcnt lgkmcnt(0)
	global_store_dwordx2 v[15:16], v[13:14], off
.LBB88_97:                              ;   in Loop: Header=BB88_48 Depth=2
	s_or_b64 exec, exec, s[38:39]
	s_waitcnt vmcnt(0)
	s_barrier
	s_and_saveexec_b64 s[38:39], s[4:5]
	s_cbranch_execz .LBB88_47
; %bb.98:                               ;   in Loop: Header=BB88_48 Depth=2
	ds_read_b32 v4, v18
	s_waitcnt lgkmcnt(0)
	v_add_u32_e32 v4, v4, v78
	ds_write_b32 v18, v4
	s_branch .LBB88_47
.LBB88_99:                              ;   in Loop: Header=BB88_48 Depth=2
	ds_read_u8 v16, v0 offset:1024
	s_waitcnt lgkmcnt(0)
	v_lshrrev_b32_sdwa v17, s7, v16 dst_sel:DWORD dst_unused:UNUSED_PAD src0_sel:DWORD src1_sel:BYTE_0
	v_and_b32_e32 v17, s58, v17
	v_lshlrev_b32_e32 v17, 2, v17
	ds_read_b32 v17, v17
	v_xor_b32_e32 v16, -1, v16
	s_waitcnt lgkmcnt(0)
	v_add_u32_e32 v17, v17, v0
	global_store_byte v17, v16, s[50:51]
	s_or_b64 exec, exec, s[38:39]
	v_cmp_lt_u32_e64 s[40:41], v19, v74
	s_and_saveexec_b64 s[38:39], s[40:41]
	s_cbranch_execz .LBB88_80
.LBB88_100:                             ;   in Loop: Header=BB88_48 Depth=2
	ds_read_u8 v16, v0 offset:1280
	s_waitcnt lgkmcnt(0)
	v_lshrrev_b32_sdwa v17, s7, v16 dst_sel:DWORD dst_unused:UNUSED_PAD src0_sel:DWORD src1_sel:BYTE_0
	v_and_b32_e32 v17, s58, v17
	v_lshlrev_b32_e32 v17, 2, v17
	ds_read_b32 v17, v17
	v_xor_b32_e32 v16, -1, v16
	s_waitcnt lgkmcnt(0)
	v_add_u32_e32 v17, v17, v19
	global_store_byte v17, v16, s[50:51]
	s_or_b64 exec, exec, s[38:39]
	v_cmp_lt_u32_e64 s[38:39], v20, v74
	s_and_saveexec_b64 s[44:45], s[38:39]
	s_cbranch_execz .LBB88_81
.LBB88_101:                             ;   in Loop: Header=BB88_48 Depth=2
	ds_read_u8 v16, v0 offset:1536
	s_waitcnt lgkmcnt(0)
	v_lshrrev_b32_sdwa v17, s7, v16 dst_sel:DWORD dst_unused:UNUSED_PAD src0_sel:DWORD src1_sel:BYTE_0
	v_and_b32_e32 v17, s58, v17
	v_lshlrev_b32_e32 v17, 2, v17
	ds_read_b32 v17, v17
	v_xor_b32_e32 v16, -1, v16
	s_waitcnt lgkmcnt(0)
	v_add_u32_e32 v17, v17, v20
	global_store_byte v17, v16, s[50:51]
	s_or_b64 exec, exec, s[44:45]
	v_cmp_lt_u32_e32 vcc, v21, v74
	s_and_saveexec_b64 s[44:45], vcc
	s_cbranch_execnz .LBB88_82
	s_branch .LBB88_83
.LBB88_102:                             ;   in Loop: Header=BB88_48 Depth=2
	global_load_dwordx2 v[11:12], v[16:17], off
	s_or_b64 exec, exec, s[44:45]
	v_cmp_lt_u32_e64 s[44:45], v61, v74
	s_and_saveexec_b64 s[54:55], s[44:45]
	s_cbranch_execz .LBB88_85
.LBB88_103:                             ;   in Loop: Header=BB88_48 Depth=2
	global_load_dwordx2 v[9:10], v[16:17], off offset:512
	s_or_b64 exec, exec, s[54:55]
	v_cmp_lt_u32_e64 s[44:45], v62, v74
	s_and_saveexec_b64 s[54:55], s[44:45]
	s_cbranch_execz .LBB88_86
.LBB88_104:                             ;   in Loop: Header=BB88_48 Depth=2
	global_load_dwordx2 v[7:8], v[16:17], off offset:1024
	s_or_b64 exec, exec, s[54:55]
	v_cmp_lt_u32_e64 s[44:45], v63, v74
	s_and_saveexec_b64 s[54:55], s[44:45]
	s_cbranch_execz .LBB88_87
.LBB88_105:                             ;   in Loop: Header=BB88_48 Depth=2
	global_load_dwordx2 v[5:6], v[16:17], off offset:1536
	s_or_b64 exec, exec, s[54:55]
	s_and_saveexec_b64 s[44:45], s[42:43]
	s_cbranch_execz .LBB88_88
.LBB88_106:                             ;   in Loop: Header=BB88_48 Depth=2
	ds_read_u8 v16, v0 offset:1024
	s_waitcnt lgkmcnt(0)
	v_lshrrev_b32_e32 v16, s7, v16
	v_and_b32_e32 v73, s58, v16
	s_or_b64 exec, exec, s[44:45]
	s_and_saveexec_b64 s[44:45], s[40:41]
	s_cbranch_execz .LBB88_89
.LBB88_107:                             ;   in Loop: Header=BB88_48 Depth=2
	ds_read_u8 v16, v0 offset:1280
	s_waitcnt lgkmcnt(0)
	v_lshrrev_b32_e32 v16, s7, v16
	v_and_b32_e32 v72, s58, v16
	s_or_b64 exec, exec, s[44:45]
	s_and_saveexec_b64 s[44:45], s[38:39]
	s_cbranch_execz .LBB88_90
.LBB88_108:                             ;   in Loop: Header=BB88_48 Depth=2
	ds_read_u8 v16, v0 offset:1536
	s_waitcnt lgkmcnt(0)
	v_lshrrev_b32_e32 v16, s7, v16
	v_and_b32_e32 v70, s58, v16
	s_or_b64 exec, exec, s[44:45]
	s_and_saveexec_b64 s[44:45], vcc
	s_cbranch_execnz .LBB88_91
	s_branch .LBB88_92
.LBB88_109:                             ;   in Loop: Header=BB88_48 Depth=2
	v_lshlrev_b32_e32 v4, 2, v73
	ds_read_b32 v4, v4
	v_add_u32_e32 v13, v0, v51
	ds_read_b64 v[13:14], v13 offset:1024
	v_mov_b32_e32 v16, v3
	v_mov_b32_e32 v17, s65
	s_waitcnt lgkmcnt(1)
	v_add_u32_e32 v15, v4, v0
	v_lshlrev_b64 v[15:16], 3, v[15:16]
	v_add_co_u32_e64 v15, s[42:43], s64, v15
	v_addc_co_u32_e64 v16, s[42:43], v17, v16, s[42:43]
	s_waitcnt lgkmcnt(0)
	global_store_dwordx2 v[15:16], v[13:14], off
	s_or_b64 exec, exec, s[44:45]
	s_and_saveexec_b64 s[42:43], s[40:41]
	s_cbranch_execz .LBB88_94
.LBB88_110:                             ;   in Loop: Header=BB88_48 Depth=2
	v_lshlrev_b32_e32 v4, 2, v72
	ds_read_b32 v4, v4
	v_add_u32_e32 v13, v0, v51
	ds_read_b64 v[13:14], v13 offset:3072
	v_mov_b32_e32 v16, v3
	v_mov_b32_e32 v17, s65
	s_waitcnt lgkmcnt(1)
	v_add_u32_e32 v15, v4, v19
	v_lshlrev_b64 v[15:16], 3, v[15:16]
	v_add_co_u32_e64 v15, s[40:41], s64, v15
	v_addc_co_u32_e64 v16, s[40:41], v17, v16, s[40:41]
	s_waitcnt lgkmcnt(0)
	global_store_dwordx2 v[15:16], v[13:14], off
	s_or_b64 exec, exec, s[42:43]
	s_and_saveexec_b64 s[40:41], s[38:39]
	s_cbranch_execz .LBB88_95
.LBB88_111:                             ;   in Loop: Header=BB88_48 Depth=2
	v_lshlrev_b32_e32 v4, 2, v70
	ds_read_b32 v4, v4
	v_add_u32_e32 v13, v0, v51
	ds_read_b64 v[13:14], v13 offset:5120
	v_mov_b32_e32 v16, v3
	v_mov_b32_e32 v17, s65
	s_waitcnt lgkmcnt(1)
	v_add_u32_e32 v15, v4, v20
	v_lshlrev_b64 v[15:16], 3, v[15:16]
	v_add_co_u32_e64 v15, s[38:39], s64, v15
	v_addc_co_u32_e64 v16, s[38:39], v17, v16, s[38:39]
	s_waitcnt lgkmcnt(0)
	global_store_dwordx2 v[15:16], v[13:14], off
	s_or_b64 exec, exec, s[40:41]
	s_and_saveexec_b64 s[38:39], vcc
	s_cbranch_execnz .LBB88_96
	s_branch .LBB88_97
.LBB88_112:                             ;   in Loop: Header=BB88_12 Depth=1
	s_waitcnt lgkmcnt(0)
	s_barrier
	s_mov_b64 s[18:19], 0
.LBB88_113:                             ;   in Loop: Header=BB88_12 Depth=1
	s_and_b64 vcc, exec, s[18:19]
	s_cbranch_vccz .LBB88_213
; %bb.114:                              ;   in Loop: Header=BB88_12 Depth=1
	v_mov_b32_e32 v4, 0
	s_mov_b32 s20, s71
	s_mov_b32 s22, s74
	v_mov_b32_e32 v7, 0
	v_mov_b32_e32 v6, 0
	;; [unrolled: 1-line block ×3, first 2 shown]
	s_barrier
	s_branch .LBB88_116
.LBB88_115:                             ;   in Loop: Header=BB88_116 Depth=2
	s_or_b64 exec, exec, s[18:19]
	s_addk_i32 s20, 0xfc00
	s_cmp_ge_u32 s21, s75
	s_mov_b32 s22, s21
	s_cbranch_scc1 .LBB88_136
.LBB88_116:                             ;   Parent Loop BB88_12 Depth=1
                                        ; =>  This Inner Loop Header: Depth=2
	s_add_i32 s21, s22, 0x400
	s_cmp_gt_u32 s21, s75
	s_mov_b64 s[18:19], -1
                                        ; implicit-def: $vgpr8
                                        ; implicit-def: $vgpr9
                                        ; implicit-def: $vgpr10
                                        ; implicit-def: $vgpr11
	s_cbranch_scc1 .LBB88_118
; %bb.117:                              ;   in Loop: Header=BB88_116 Depth=2
	v_add_co_u32_e32 v12, vcc, s22, v33
	v_addc_co_u32_e32 v13, vcc, 0, v34, vcc
	global_load_ubyte v11, v[12:13], off offset:768
	global_load_ubyte v10, v[12:13], off offset:512
	;; [unrolled: 1-line block ×3, first 2 shown]
	global_load_ubyte v8, v[12:13], off
	s_mov_b64 s[18:19], 0
.LBB88_118:                             ;   in Loop: Header=BB88_116 Depth=2
	s_andn2_b64 vcc, exec, s[18:19]
	s_movk_i32 s23, 0x400
	s_cbranch_vccnz .LBB88_125
; %bb.119:                              ;   in Loop: Header=BB88_116 Depth=2
	s_add_u32 s22, s50, s22
	s_addc_u32 s23, s51, 0
	v_cmp_gt_u32_e32 vcc, s20, v0
	s_and_saveexec_b64 s[18:19], vcc
	s_cbranch_execnz .LBB88_133
; %bb.120:                              ;   in Loop: Header=BB88_116 Depth=2
	s_or_b64 exec, exec, s[18:19]
	v_cmp_gt_u32_e32 vcc, s20, v19
	s_and_saveexec_b64 s[18:19], vcc
	s_cbranch_execnz .LBB88_134
.LBB88_121:                             ;   in Loop: Header=BB88_116 Depth=2
	s_or_b64 exec, exec, s[18:19]
	v_cmp_gt_u32_e32 vcc, s20, v20
	s_and_saveexec_b64 s[18:19], vcc
	s_cbranch_execnz .LBB88_135
.LBB88_122:                             ;   in Loop: Header=BB88_116 Depth=2
	s_or_b64 exec, exec, s[18:19]
	v_cmp_gt_u32_e32 vcc, s20, v21
	s_and_saveexec_b64 s[18:19], vcc
	s_cbranch_execz .LBB88_124
.LBB88_123:                             ;   in Loop: Header=BB88_116 Depth=2
	v_mov_b32_e32 v5, s23
	s_waitcnt vmcnt(0)
	v_add_co_u32_e32 v8, vcc, s22, v0
	v_addc_co_u32_e32 v9, vcc, 0, v5, vcc
	global_load_ubyte v5, v[8:9], off offset:768
.LBB88_124:                             ;   in Loop: Header=BB88_116 Depth=2
	s_or_b64 exec, exec, s[18:19]
	s_mov_b32 s23, s20
	s_waitcnt vmcnt(0)
	v_mov_b32_e32 v8, v4
	v_mov_b32_e32 v9, v7
	;; [unrolled: 1-line block ×4, first 2 shown]
.LBB88_125:                             ;   in Loop: Header=BB88_116 Depth=2
	s_waitcnt vmcnt(3)
	v_mov_b32_e32 v5, v11
	s_waitcnt vmcnt(2)
	v_mov_b32_e32 v6, v10
	;; [unrolled: 2-line block ×4, first 2 shown]
	v_cmp_gt_u32_e32 vcc, s23, v0
	s_and_saveexec_b64 s[18:19], vcc
	s_cbranch_execnz .LBB88_129
; %bb.126:                              ;   in Loop: Header=BB88_116 Depth=2
	s_or_b64 exec, exec, s[18:19]
	v_cmp_gt_u32_e32 vcc, s23, v19
	s_and_saveexec_b64 s[18:19], vcc
	s_cbranch_execnz .LBB88_130
.LBB88_127:                             ;   in Loop: Header=BB88_116 Depth=2
	s_or_b64 exec, exec, s[18:19]
	v_cmp_gt_u32_e32 vcc, s23, v20
	s_and_saveexec_b64 s[18:19], vcc
	s_cbranch_execnz .LBB88_131
.LBB88_128:                             ;   in Loop: Header=BB88_116 Depth=2
	s_or_b64 exec, exec, s[18:19]
	v_cmp_gt_u32_e32 vcc, s23, v21
	s_and_saveexec_b64 s[18:19], vcc
	s_cbranch_execz .LBB88_115
	s_branch .LBB88_132
.LBB88_129:                             ;   in Loop: Header=BB88_116 Depth=2
	v_xor_b32_e32 v8, -1, v4
	v_lshrrev_b32_sdwa v8, s7, v8 dst_sel:DWORD dst_unused:UNUSED_PAD src0_sel:DWORD src1_sel:BYTE_0
	v_and_b32_e32 v8, s58, v8
	v_lshl_or_b32 v8, v8, 4, v24
	ds_add_u32 v8, v52
	s_or_b64 exec, exec, s[18:19]
	v_cmp_gt_u32_e32 vcc, s23, v19
	s_and_saveexec_b64 s[18:19], vcc
	s_cbranch_execz .LBB88_127
.LBB88_130:                             ;   in Loop: Header=BB88_116 Depth=2
	v_xor_b32_e32 v8, -1, v7
	v_lshrrev_b32_sdwa v8, s7, v8 dst_sel:DWORD dst_unused:UNUSED_PAD src0_sel:DWORD src1_sel:BYTE_0
	v_and_b32_e32 v8, s58, v8
	v_lshl_or_b32 v8, v8, 4, v24
	ds_add_u32 v8, v52
	s_or_b64 exec, exec, s[18:19]
	v_cmp_gt_u32_e32 vcc, s23, v20
	s_and_saveexec_b64 s[18:19], vcc
	s_cbranch_execz .LBB88_128
.LBB88_131:                             ;   in Loop: Header=BB88_116 Depth=2
	v_xor_b32_e32 v8, -1, v6
	v_lshrrev_b32_sdwa v8, s7, v8 dst_sel:DWORD dst_unused:UNUSED_PAD src0_sel:DWORD src1_sel:BYTE_0
	v_and_b32_e32 v8, s58, v8
	v_lshl_or_b32 v8, v8, 4, v24
	ds_add_u32 v8, v52
	s_or_b64 exec, exec, s[18:19]
	v_cmp_gt_u32_e32 vcc, s23, v21
	s_and_saveexec_b64 s[18:19], vcc
	s_cbranch_execz .LBB88_115
.LBB88_132:                             ;   in Loop: Header=BB88_116 Depth=2
	v_xor_b32_e32 v8, -1, v5
	v_lshrrev_b32_sdwa v8, s7, v8 dst_sel:DWORD dst_unused:UNUSED_PAD src0_sel:DWORD src1_sel:BYTE_0
	v_and_b32_e32 v8, s58, v8
	v_lshl_or_b32 v8, v8, 4, v24
	ds_add_u32 v8, v52
	s_branch .LBB88_115
.LBB88_133:                             ;   in Loop: Header=BB88_116 Depth=2
	v_mov_b32_e32 v4, s23
	s_waitcnt vmcnt(0)
	v_add_co_u32_e32 v8, vcc, s22, v0
	v_addc_co_u32_e32 v9, vcc, 0, v4, vcc
	global_load_ubyte v4, v[8:9], off
	s_or_b64 exec, exec, s[18:19]
	v_cmp_gt_u32_e32 vcc, s20, v19
	s_and_saveexec_b64 s[18:19], vcc
	s_cbranch_execz .LBB88_121
.LBB88_134:                             ;   in Loop: Header=BB88_116 Depth=2
	s_waitcnt vmcnt(0)
	v_mov_b32_e32 v8, s23
	v_add_co_u32_e32 v7, vcc, s22, v0
	v_addc_co_u32_e32 v8, vcc, 0, v8, vcc
	global_load_ubyte v7, v[7:8], off offset:256
	s_or_b64 exec, exec, s[18:19]
	v_cmp_gt_u32_e32 vcc, s20, v20
	s_and_saveexec_b64 s[18:19], vcc
	s_cbranch_execz .LBB88_122
.LBB88_135:                             ;   in Loop: Header=BB88_116 Depth=2
	v_mov_b32_e32 v6, s23
	s_waitcnt vmcnt(0)
	v_add_co_u32_e32 v8, vcc, s22, v0
	v_addc_co_u32_e32 v9, vcc, 0, v6, vcc
	global_load_ubyte v6, v[8:9], off offset:512
	s_or_b64 exec, exec, s[18:19]
	v_cmp_gt_u32_e32 vcc, s20, v21
	s_and_saveexec_b64 s[18:19], vcc
	s_cbranch_execnz .LBB88_123
	s_branch .LBB88_124
.LBB88_136:                             ;   in Loop: Header=BB88_12 Depth=1
	v_mov_b32_e32 v4, 0
	s_waitcnt lgkmcnt(0)
	s_barrier
	s_and_saveexec_b64 s[18:19], s[4:5]
	s_cbranch_execz .LBB88_138
; %bb.137:                              ;   in Loop: Header=BB88_12 Depth=1
	ds_read2_b64 v[4:7], v25 offset1:1
	s_waitcnt lgkmcnt(0)
	v_add_u32_e32 v4, v5, v4
	v_add3_u32 v4, v4, v6, v7
.LBB88_138:                             ;   in Loop: Header=BB88_12 Depth=1
	s_or_b64 exec, exec, s[18:19]
	s_nop 0
	v_mov_b32_dpp v5, v4 row_shr:1 row_mask:0xf bank_mask:0xf
	v_cmp_eq_u32_e64 s[18:19], 0, v55
	v_cndmask_b32_e64 v5, v5, 0, s[18:19]
	v_add_u32_e32 v4, v5, v4
	v_cmp_lt_u32_e64 s[20:21], 1, v55
	v_cmp_lt_u32_e64 s[22:23], 3, v55
	v_mov_b32_dpp v5, v4 row_shr:2 row_mask:0xf bank_mask:0xf
	v_cndmask_b32_e64 v5, 0, v5, s[20:21]
	v_add_u32_e32 v4, v4, v5
	v_cmp_lt_u32_e64 s[24:25], 7, v55
	v_cmp_lt_u32_e64 s[28:29], 31, v45
	v_mov_b32_dpp v5, v4 row_shr:4 row_mask:0xf bank_mask:0xf
	v_cndmask_b32_e64 v5, 0, v5, s[22:23]
	v_add_u32_e32 v4, v4, v5
	v_cmp_eq_u32_e64 s[26:27], 0, v57
	s_nop 0
	v_mov_b32_dpp v5, v4 row_shr:8 row_mask:0xf bank_mask:0xf
	v_cndmask_b32_e64 v5, 0, v5, s[24:25]
	v_add_u32_e32 v4, v4, v5
	s_nop 1
	v_mov_b32_dpp v5, v4 row_bcast:15 row_mask:0xf bank_mask:0xf
	v_and_b32_e32 v5, v56, v5
	v_add_u32_e32 v4, v4, v5
	s_nop 1
	v_mov_b32_dpp v5, v4 row_bcast:31 row_mask:0xf bank_mask:0xf
	v_cndmask_b32_e64 v5, 0, v5, s[28:29]
	v_add_u32_e32 v4, v4, v5
	s_and_saveexec_b64 s[30:31], s[8:9]
; %bb.139:                              ;   in Loop: Header=BB88_12 Depth=1
	ds_write_b32 v27, v4
; %bb.140:                              ;   in Loop: Header=BB88_12 Depth=1
	s_or_b64 exec, exec, s[30:31]
	s_waitcnt lgkmcnt(0)
	s_barrier
	s_and_saveexec_b64 s[30:31], s[10:11]
	s_cbranch_execz .LBB88_142
; %bb.141:                              ;   in Loop: Header=BB88_12 Depth=1
	ds_read_b32 v5, v48
	v_cmp_ne_u32_e32 vcc, 0, v58
	s_waitcnt lgkmcnt(0)
	v_mov_b32_dpp v6, v5 row_shr:1 row_mask:0xf bank_mask:0xf
	v_cndmask_b32_e32 v6, 0, v6, vcc
	v_add_u32_e32 v5, v6, v5
	v_cmp_lt_u32_e32 vcc, 1, v58
	s_nop 0
	v_mov_b32_dpp v6, v5 row_shr:2 row_mask:0xf bank_mask:0xf
	v_cndmask_b32_e32 v6, 0, v6, vcc
	v_add_u32_e32 v5, v5, v6
	ds_write_b32 v48, v5
.LBB88_142:                             ;   in Loop: Header=BB88_12 Depth=1
	s_or_b64 exec, exec, s[30:31]
	v_mov_b32_e32 v5, 0
	s_waitcnt lgkmcnt(0)
	s_barrier
	s_and_saveexec_b64 s[30:31], s[12:13]
; %bb.143:                              ;   in Loop: Header=BB88_12 Depth=1
	ds_read_b32 v5, v49
; %bb.144:                              ;   in Loop: Header=BB88_12 Depth=1
	s_or_b64 exec, exec, s[30:31]
	v_subrev_co_u32_e64 v6, s[30:31], 1, v45
	v_cmp_lt_i32_e32 vcc, v6, v59
	v_cndmask_b32_e32 v6, v6, v45, vcc
	s_waitcnt lgkmcnt(0)
	v_add_u32_e32 v4, v5, v4
	v_lshlrev_b32_e32 v64, 2, v6
	ds_bpermute_b32 v4, v64, v4
	s_waitcnt lgkmcnt(0)
	s_barrier
	s_and_saveexec_b64 s[34:35], s[4:5]
; %bb.145:                              ;   in Loop: Header=BB88_12 Depth=1
	v_cndmask_b32_e64 v4, v4, v5, s[30:31]
	v_add_u32_e32 v4, s74, v4
	ds_write_b32 v18, v4
; %bb.146:                              ;   in Loop: Header=BB88_12 Depth=1
	s_or_b64 exec, exec, s[34:35]
	s_load_dwordx2 s[34:35], s[46:47], 0x0
	v_add_co_u32_e32 v65, vcc, v35, v60
	v_addc_co_u32_e32 v66, vcc, 0, v36, vcc
	s_waitcnt lgkmcnt(0)
	s_cmp_lt_u32 s33, s35
	s_cselect_b32 s35, 14, 20
	s_add_u32 s36, s46, s35
	s_addc_u32 s37, s47, 0
	s_cmp_lt_u32 s6, s34
	s_cselect_b32 s34, 12, 18
	s_add_u32 s34, s46, s34
	global_load_ushort v4, v3, s[36:37]
	s_addc_u32 s35, s47, 0
	global_load_ushort v5, v3, s[34:35]
	v_add_co_u32_e32 v67, vcc, v37, v46
	v_cmp_eq_u32_e64 s[34:35], 0, v58
	v_cmp_lt_u32_e64 s[36:37], 1, v58
	v_addc_co_u32_e32 v68, vcc, 0, v38, vcc
	s_mov_b32 s59, s71
	s_mov_b32 s56, s74
                                        ; implicit-def: $vgpr7_vgpr8
                                        ; implicit-def: $vgpr9_vgpr10
                                        ; implicit-def: $vgpr11_vgpr12
                                        ; implicit-def: $vgpr69
                                        ; implicit-def: $vgpr70
                                        ; implicit-def: $vgpr72
                                        ; implicit-def: $vgpr73
	s_waitcnt vmcnt(1)
	v_mad_u32_u24 v4, v2, v4, v1
	s_waitcnt vmcnt(0)
	v_mad_u64_u32 v[4:5], s[38:39], v4, v5, v[0:1]
                                        ; implicit-def: $vgpr5_vgpr6
	v_lshrrev_b32_e32 v4, 4, v4
	v_and_b32_e32 v71, 0xffffffc, v4
	s_branch .LBB88_148
.LBB88_147:                             ;   in Loop: Header=BB88_148 Depth=2
	s_or_b64 exec, exec, s[38:39]
	s_addk_i32 s59, 0xfc00
	s_cmp_lt_u32 s60, s75
	s_mov_b32 s56, s60
	s_cbranch_scc0 .LBB88_212
.LBB88_148:                             ;   Parent Loop BB88_12 Depth=1
                                        ; =>  This Inner Loop Header: Depth=2
	s_add_i32 s60, s56, 0x400
	s_cmp_gt_u32 s60, s75
	s_cbranch_scc1 .LBB88_150
; %bb.149:                              ;   in Loop: Header=BB88_148 Depth=2
	v_add_co_u32_e32 v13, vcc, s56, v67
	v_addc_co_u32_e32 v14, vcc, 0, v68, vcc
	global_load_ubyte v16, v[13:14], off offset:128
	global_load_ubyte v76, v[13:14], off offset:64
	global_load_ubyte v4, v[13:14], off
	s_mov_b64 s[38:39], -1
	s_movk_i32 s42, 0x400
                                        ; implicit-def: $vgpr15
	s_cbranch_execz .LBB88_151
	s_branch .LBB88_158
.LBB88_150:                             ;   in Loop: Header=BB88_148 Depth=2
	s_mov_b64 s[38:39], 0
                                        ; implicit-def: $vgpr4
                                        ; implicit-def: $vgpr76
                                        ; implicit-def: $vgpr16
	s_movk_i32 s42, 0x400
                                        ; implicit-def: $vgpr15
.LBB88_151:                             ;   in Loop: Header=BB88_148 Depth=2
	v_add_co_u32_e32 v13, vcc, s56, v67
	v_addc_co_u32_e32 v14, vcc, 0, v68, vcc
	v_cmp_gt_u32_e32 vcc, s59, v47
	s_waitcnt vmcnt(2)
	v_mov_b32_e32 v16, 0
	s_waitcnt vmcnt(0)
	v_mov_b32_e32 v4, 0
	v_mov_b32_e32 v15, 0
	s_and_saveexec_b64 s[38:39], vcc
	s_cbranch_execz .LBB88_153
; %bb.152:                              ;   in Loop: Header=BB88_148 Depth=2
	global_load_ubyte v4, v[13:14], off
	v_mov_b32_e32 v15, 0
.LBB88_153:                             ;   in Loop: Header=BB88_148 Depth=2
	s_or_b64 exec, exec, s[38:39]
	v_cmp_gt_u32_e32 vcc, s59, v61
	v_mov_b32_e32 v76, v16
	s_and_saveexec_b64 s[38:39], vcc
	s_cbranch_execz .LBB88_155
; %bb.154:                              ;   in Loop: Header=BB88_148 Depth=2
	global_load_ubyte v76, v[13:14], off offset:64
.LBB88_155:                             ;   in Loop: Header=BB88_148 Depth=2
	s_or_b64 exec, exec, s[38:39]
	v_cmp_gt_u32_e32 vcc, s59, v62
	s_and_saveexec_b64 s[38:39], vcc
	s_cbranch_execz .LBB88_157
; %bb.156:                              ;   in Loop: Header=BB88_148 Depth=2
	global_load_ubyte v16, v[13:14], off offset:128
.LBB88_157:                             ;   in Loop: Header=BB88_148 Depth=2
	s_or_b64 exec, exec, s[38:39]
	s_sub_i32 s42, s75, s56
	v_cmp_gt_u32_e64 s[38:39], s59, v63
.LBB88_158:                             ;   in Loop: Header=BB88_148 Depth=2
	v_mov_b32_e32 v74, s59
	s_and_saveexec_b64 s[40:41], s[38:39]
	s_cbranch_execz .LBB88_160
; %bb.159:                              ;   in Loop: Header=BB88_148 Depth=2
	v_mov_b32_e32 v14, s57
	v_add_co_u32_e32 v13, vcc, s56, v67
	v_addc_co_u32_e32 v14, vcc, v68, v14, vcc
	global_load_ubyte v15, v[13:14], off offset:192
	v_mov_b32_e32 v74, s42
.LBB88_160:                             ;   in Loop: Header=BB88_148 Depth=2
	s_or_b64 exec, exec, s[40:41]
	s_waitcnt vmcnt(0)
	v_xor_b32_e32 v17, -1, v4
	v_lshrrev_b32_sdwa v4, s7, v17 dst_sel:DWORD dst_unused:UNUSED_PAD src0_sel:DWORD src1_sel:BYTE_0
	v_and_b32_e32 v13, s58, v4
	v_and_b32_e32 v4, 1, v13
	v_add_co_u32_e32 v14, vcc, -1, v4
	v_addc_co_u32_e64 v75, s[38:39], 0, -1, vcc
	v_cmp_ne_u32_e32 vcc, 0, v4
	v_xor_b32_e32 v4, vcc_hi, v75
	v_and_b32_e32 v75, exec_hi, v4
	v_lshlrev_b32_e32 v4, 30, v13
	v_xor_b32_e32 v14, vcc_lo, v14
	v_cmp_gt_i64_e32 vcc, 0, v[3:4]
	v_not_b32_e32 v4, v4
	v_ashrrev_i32_e32 v4, 31, v4
	v_and_b32_e32 v14, exec_lo, v14
	v_xor_b32_e32 v78, vcc_hi, v4
	v_xor_b32_e32 v4, vcc_lo, v4
	v_and_b32_e32 v14, v14, v4
	v_lshlrev_b32_e32 v4, 29, v13
	v_cmp_gt_i64_e32 vcc, 0, v[3:4]
	v_not_b32_e32 v4, v4
	v_ashrrev_i32_e32 v4, 31, v4
	v_and_b32_e32 v75, v75, v78
	v_xor_b32_e32 v78, vcc_hi, v4
	v_xor_b32_e32 v4, vcc_lo, v4
	v_and_b32_e32 v14, v14, v4
	v_lshlrev_b32_e32 v4, 28, v13
	v_cmp_gt_i64_e32 vcc, 0, v[3:4]
	v_not_b32_e32 v4, v4
	v_ashrrev_i32_e32 v4, 31, v4
	v_and_b32_e32 v75, v75, v78
	;; [unrolled: 8-line block ×5, first 2 shown]
	v_xor_b32_e32 v78, vcc_hi, v4
	v_xor_b32_e32 v4, vcc_lo, v4
	v_and_b32_e32 v75, v75, v78
	v_and_b32_e32 v78, v14, v4
	v_lshlrev_b32_e32 v4, 24, v13
	v_cmp_gt_i64_e32 vcc, 0, v[3:4]
	v_not_b32_e32 v4, v4
	v_ashrrev_i32_e32 v4, 31, v4
	v_mul_u32_u24_e32 v77, 20, v13
	v_xor_b32_e32 v13, vcc_hi, v4
	v_xor_b32_e32 v4, vcc_lo, v4
	v_and_b32_e32 v14, v75, v13
	v_and_b32_e32 v13, v78, v4
	v_mbcnt_lo_u32_b32 v4, v13, 0
	v_mbcnt_hi_u32_b32 v75, v14, v4
	v_cmp_ne_u64_e32 vcc, 0, v[13:14]
	v_cmp_eq_u32_e64 s[38:39], 0, v75
	s_and_b64 s[40:41], vcc, s[38:39]
	v_add_u32_e32 v78, v71, v77
	ds_write2_b32 v53, v3, v3 offset1:1
	ds_write2_b32 v54, v3, v3 offset1:1
	ds_write_b32 v50, v3 offset:1056
	s_waitcnt lgkmcnt(0)
	s_barrier
	; wave barrier
	s_and_saveexec_b64 s[38:39], s[40:41]
; %bb.161:                              ;   in Loop: Header=BB88_148 Depth=2
	v_bcnt_u32_b32 v4, v13, 0
	v_bcnt_u32_b32 v4, v14, v4
	ds_write_b32 v78, v4 offset:1040
; %bb.162:                              ;   in Loop: Header=BB88_148 Depth=2
	s_or_b64 exec, exec, s[38:39]
	v_xor_b32_e32 v76, -1, v76
	v_lshrrev_b32_sdwa v4, s7, v76 dst_sel:DWORD dst_unused:UNUSED_PAD src0_sel:DWORD src1_sel:BYTE_0
	v_and_b32_e32 v13, s58, v4
	v_mad_u32_u24 v4, v13, 20, v71
	; wave barrier
	ds_read_b32 v77, v4 offset:1040
	v_and_b32_e32 v4, 1, v13
	v_add_co_u32_e32 v14, vcc, -1, v4
	v_addc_co_u32_e64 v79, s[38:39], 0, -1, vcc
	v_cmp_ne_u32_e32 vcc, 0, v4
	v_xor_b32_e32 v4, vcc_hi, v79
	v_and_b32_e32 v79, exec_hi, v4
	v_lshlrev_b32_e32 v4, 30, v13
	v_xor_b32_e32 v14, vcc_lo, v14
	v_cmp_gt_i64_e32 vcc, 0, v[3:4]
	v_not_b32_e32 v4, v4
	v_ashrrev_i32_e32 v4, 31, v4
	v_and_b32_e32 v14, exec_lo, v14
	v_xor_b32_e32 v81, vcc_hi, v4
	v_xor_b32_e32 v4, vcc_lo, v4
	v_and_b32_e32 v14, v14, v4
	v_lshlrev_b32_e32 v4, 29, v13
	v_cmp_gt_i64_e32 vcc, 0, v[3:4]
	v_not_b32_e32 v4, v4
	v_ashrrev_i32_e32 v4, 31, v4
	v_and_b32_e32 v79, v79, v81
	v_xor_b32_e32 v81, vcc_hi, v4
	v_xor_b32_e32 v4, vcc_lo, v4
	v_and_b32_e32 v14, v14, v4
	v_lshlrev_b32_e32 v4, 28, v13
	v_cmp_gt_i64_e32 vcc, 0, v[3:4]
	v_not_b32_e32 v4, v4
	v_ashrrev_i32_e32 v4, 31, v4
	v_and_b32_e32 v79, v79, v81
	v_xor_b32_e32 v81, vcc_hi, v4
	v_xor_b32_e32 v4, vcc_lo, v4
	v_and_b32_e32 v14, v14, v4
	v_lshlrev_b32_e32 v4, 27, v13
	v_cmp_gt_i64_e32 vcc, 0, v[3:4]
	v_not_b32_e32 v4, v4
	v_ashrrev_i32_e32 v4, 31, v4
	v_and_b32_e32 v79, v79, v81
	v_xor_b32_e32 v81, vcc_hi, v4
	v_xor_b32_e32 v4, vcc_lo, v4
	v_and_b32_e32 v14, v14, v4
	v_lshlrev_b32_e32 v4, 26, v13
	v_cmp_gt_i64_e32 vcc, 0, v[3:4]
	v_not_b32_e32 v4, v4
	v_ashrrev_i32_e32 v4, 31, v4
	v_and_b32_e32 v79, v79, v81
	v_xor_b32_e32 v81, vcc_hi, v4
	v_xor_b32_e32 v4, vcc_lo, v4
	v_and_b32_e32 v14, v14, v4
	v_lshlrev_b32_e32 v4, 25, v13
	v_cmp_gt_i64_e32 vcc, 0, v[3:4]
	v_not_b32_e32 v4, v4
	v_ashrrev_i32_e32 v4, 31, v4
	v_and_b32_e32 v79, v79, v81
	v_xor_b32_e32 v81, vcc_hi, v4
	v_xor_b32_e32 v4, vcc_lo, v4
	v_and_b32_e32 v79, v79, v81
	v_and_b32_e32 v81, v14, v4
	v_lshlrev_b32_e32 v4, 24, v13
	v_cmp_gt_i64_e32 vcc, 0, v[3:4]
	v_not_b32_e32 v4, v4
	v_ashrrev_i32_e32 v4, 31, v4
	v_mul_u32_u24_e32 v80, 20, v13
	v_xor_b32_e32 v13, vcc_hi, v4
	v_xor_b32_e32 v4, vcc_lo, v4
	v_and_b32_e32 v14, v79, v13
	v_and_b32_e32 v13, v81, v4
	v_mbcnt_lo_u32_b32 v4, v13, 0
	v_mbcnt_hi_u32_b32 v79, v14, v4
	v_cmp_ne_u64_e32 vcc, 0, v[13:14]
	v_cmp_eq_u32_e64 s[38:39], 0, v79
	s_and_b64 s[40:41], vcc, s[38:39]
	v_add_u32_e32 v82, v71, v80
	; wave barrier
	s_and_saveexec_b64 s[38:39], s[40:41]
	s_cbranch_execz .LBB88_164
; %bb.163:                              ;   in Loop: Header=BB88_148 Depth=2
	v_bcnt_u32_b32 v4, v13, 0
	v_bcnt_u32_b32 v4, v14, v4
	s_waitcnt lgkmcnt(0)
	v_add_u32_e32 v4, v77, v4
	ds_write_b32 v82, v4 offset:1040
.LBB88_164:                             ;   in Loop: Header=BB88_148 Depth=2
	s_or_b64 exec, exec, s[38:39]
	v_xor_b32_e32 v80, -1, v16
	v_lshrrev_b32_sdwa v4, s7, v80 dst_sel:DWORD dst_unused:UNUSED_PAD src0_sel:DWORD src1_sel:BYTE_0
	v_and_b32_e32 v13, s58, v4
	v_mad_u32_u24 v4, v13, 20, v71
	; wave barrier
	ds_read_b32 v81, v4 offset:1040
	v_and_b32_e32 v4, 1, v13
	v_add_co_u32_e32 v14, vcc, -1, v4
	v_addc_co_u32_e64 v83, s[38:39], 0, -1, vcc
	v_cmp_ne_u32_e32 vcc, 0, v4
	v_xor_b32_e32 v4, vcc_hi, v83
	v_and_b32_e32 v83, exec_hi, v4
	v_lshlrev_b32_e32 v4, 30, v13
	v_xor_b32_e32 v14, vcc_lo, v14
	v_cmp_gt_i64_e32 vcc, 0, v[3:4]
	v_not_b32_e32 v4, v4
	v_ashrrev_i32_e32 v4, 31, v4
	v_and_b32_e32 v14, exec_lo, v14
	v_xor_b32_e32 v84, vcc_hi, v4
	v_xor_b32_e32 v4, vcc_lo, v4
	v_and_b32_e32 v14, v14, v4
	v_lshlrev_b32_e32 v4, 29, v13
	v_cmp_gt_i64_e32 vcc, 0, v[3:4]
	v_not_b32_e32 v4, v4
	v_ashrrev_i32_e32 v4, 31, v4
	v_and_b32_e32 v83, v83, v84
	v_xor_b32_e32 v84, vcc_hi, v4
	v_xor_b32_e32 v4, vcc_lo, v4
	v_and_b32_e32 v14, v14, v4
	v_lshlrev_b32_e32 v4, 28, v13
	v_cmp_gt_i64_e32 vcc, 0, v[3:4]
	v_not_b32_e32 v4, v4
	v_ashrrev_i32_e32 v4, 31, v4
	v_and_b32_e32 v83, v83, v84
	;; [unrolled: 8-line block ×5, first 2 shown]
	v_xor_b32_e32 v84, vcc_hi, v4
	v_xor_b32_e32 v4, vcc_lo, v4
	v_and_b32_e32 v83, v83, v84
	v_and_b32_e32 v84, v14, v4
	v_lshlrev_b32_e32 v4, 24, v13
	v_cmp_gt_i64_e32 vcc, 0, v[3:4]
	v_not_b32_e32 v4, v4
	v_ashrrev_i32_e32 v4, 31, v4
	v_mul_u32_u24_e32 v16, 20, v13
	v_xor_b32_e32 v13, vcc_hi, v4
	v_xor_b32_e32 v4, vcc_lo, v4
	v_and_b32_e32 v14, v83, v13
	v_and_b32_e32 v13, v84, v4
	v_mbcnt_lo_u32_b32 v4, v13, 0
	v_mbcnt_hi_u32_b32 v83, v14, v4
	v_cmp_ne_u64_e32 vcc, 0, v[13:14]
	v_cmp_eq_u32_e64 s[38:39], 0, v83
	s_and_b64 s[40:41], vcc, s[38:39]
	v_add_u32_e32 v86, v71, v16
	; wave barrier
	s_and_saveexec_b64 s[38:39], s[40:41]
	s_cbranch_execz .LBB88_166
; %bb.165:                              ;   in Loop: Header=BB88_148 Depth=2
	v_bcnt_u32_b32 v4, v13, 0
	v_bcnt_u32_b32 v4, v14, v4
	s_waitcnt lgkmcnt(0)
	v_add_u32_e32 v4, v81, v4
	ds_write_b32 v86, v4 offset:1040
.LBB88_166:                             ;   in Loop: Header=BB88_148 Depth=2
	s_or_b64 exec, exec, s[38:39]
	v_xor_b32_e32 v84, -1, v15
	v_lshrrev_b32_sdwa v4, s7, v84 dst_sel:DWORD dst_unused:UNUSED_PAD src0_sel:DWORD src1_sel:BYTE_0
	v_and_b32_e32 v13, s58, v4
	v_mad_u32_u24 v4, v13, 20, v71
	; wave barrier
	ds_read_b32 v85, v4 offset:1040
	v_and_b32_e32 v4, 1, v13
	v_add_co_u32_e32 v14, vcc, -1, v4
	v_addc_co_u32_e64 v16, s[38:39], 0, -1, vcc
	v_cmp_ne_u32_e32 vcc, 0, v4
	v_xor_b32_e32 v4, vcc_hi, v16
	v_and_b32_e32 v16, exec_hi, v4
	v_lshlrev_b32_e32 v4, 30, v13
	v_xor_b32_e32 v14, vcc_lo, v14
	v_cmp_gt_i64_e32 vcc, 0, v[3:4]
	v_not_b32_e32 v4, v4
	v_ashrrev_i32_e32 v4, 31, v4
	v_and_b32_e32 v14, exec_lo, v14
	v_xor_b32_e32 v87, vcc_hi, v4
	v_xor_b32_e32 v4, vcc_lo, v4
	v_and_b32_e32 v14, v14, v4
	v_lshlrev_b32_e32 v4, 29, v13
	v_cmp_gt_i64_e32 vcc, 0, v[3:4]
	v_not_b32_e32 v4, v4
	v_ashrrev_i32_e32 v4, 31, v4
	v_and_b32_e32 v16, v16, v87
	v_xor_b32_e32 v87, vcc_hi, v4
	v_xor_b32_e32 v4, vcc_lo, v4
	v_and_b32_e32 v14, v14, v4
	v_lshlrev_b32_e32 v4, 28, v13
	v_cmp_gt_i64_e32 vcc, 0, v[3:4]
	v_not_b32_e32 v4, v4
	v_ashrrev_i32_e32 v4, 31, v4
	v_and_b32_e32 v16, v16, v87
	;; [unrolled: 8-line block ×5, first 2 shown]
	v_xor_b32_e32 v87, vcc_hi, v4
	v_xor_b32_e32 v4, vcc_lo, v4
	v_and_b32_e32 v16, v16, v87
	v_and_b32_e32 v87, v14, v4
	v_lshlrev_b32_e32 v4, 24, v13
	v_cmp_gt_i64_e32 vcc, 0, v[3:4]
	v_not_b32_e32 v4, v4
	v_ashrrev_i32_e32 v4, 31, v4
	v_mul_u32_u24_e32 v15, 20, v13
	v_xor_b32_e32 v13, vcc_hi, v4
	v_xor_b32_e32 v4, vcc_lo, v4
	v_and_b32_e32 v14, v16, v13
	v_and_b32_e32 v13, v87, v4
	v_mbcnt_lo_u32_b32 v4, v13, 0
	v_mbcnt_hi_u32_b32 v4, v14, v4
	v_cmp_ne_u64_e32 vcc, 0, v[13:14]
	v_cmp_eq_u32_e64 s[38:39], 0, v4
	s_and_b64 s[40:41], vcc, s[38:39]
	v_add_u32_e32 v87, v71, v15
	; wave barrier
	s_and_saveexec_b64 s[38:39], s[40:41]
	s_cbranch_execz .LBB88_168
; %bb.167:                              ;   in Loop: Header=BB88_148 Depth=2
	v_bcnt_u32_b32 v13, v13, 0
	v_bcnt_u32_b32 v13, v14, v13
	s_waitcnt lgkmcnt(0)
	v_add_u32_e32 v13, v85, v13
	ds_write_b32 v87, v13 offset:1040
.LBB88_168:                             ;   in Loop: Header=BB88_148 Depth=2
	s_or_b64 exec, exec, s[38:39]
	; wave barrier
	s_waitcnt lgkmcnt(0)
	s_barrier
	ds_read2_b32 v[15:16], v53 offset1:1
	ds_read2_b32 v[13:14], v54 offset1:1
	ds_read_b32 v88, v50 offset:1056
	s_waitcnt lgkmcnt(1)
	v_add3_u32 v89, v16, v15, v13
	s_waitcnt lgkmcnt(0)
	v_add3_u32 v88, v89, v14, v88
	s_nop 1
	v_mov_b32_dpp v89, v88 row_shr:1 row_mask:0xf bank_mask:0xf
	v_cndmask_b32_e64 v89, v89, 0, s[18:19]
	v_add_u32_e32 v88, v89, v88
	s_nop 1
	v_mov_b32_dpp v89, v88 row_shr:2 row_mask:0xf bank_mask:0xf
	v_cndmask_b32_e64 v89, 0, v89, s[20:21]
	v_add_u32_e32 v88, v88, v89
	;; [unrolled: 4-line block ×4, first 2 shown]
	s_nop 1
	v_mov_b32_dpp v89, v88 row_bcast:15 row_mask:0xf bank_mask:0xf
	v_cndmask_b32_e64 v89, v89, 0, s[26:27]
	v_add_u32_e32 v88, v88, v89
	s_nop 1
	v_mov_b32_dpp v89, v88 row_bcast:31 row_mask:0xf bank_mask:0xf
	v_cndmask_b32_e64 v89, 0, v89, s[28:29]
	v_add_u32_e32 v88, v88, v89
	s_and_saveexec_b64 s[38:39], s[8:9]
; %bb.169:                              ;   in Loop: Header=BB88_148 Depth=2
	ds_write_b32 v26, v88 offset:1024
; %bb.170:                              ;   in Loop: Header=BB88_148 Depth=2
	s_or_b64 exec, exec, s[38:39]
	s_waitcnt lgkmcnt(0)
	s_barrier
	s_and_saveexec_b64 s[38:39], s[10:11]
	s_cbranch_execz .LBB88_172
; %bb.171:                              ;   in Loop: Header=BB88_148 Depth=2
	v_add_u32_e32 v89, v50, v28
	ds_read_b32 v90, v89 offset:1024
	s_waitcnt lgkmcnt(0)
	s_nop 0
	v_mov_b32_dpp v91, v90 row_shr:1 row_mask:0xf bank_mask:0xf
	v_cndmask_b32_e64 v91, v91, 0, s[34:35]
	v_add_u32_e32 v90, v91, v90
	s_nop 1
	v_mov_b32_dpp v91, v90 row_shr:2 row_mask:0xf bank_mask:0xf
	v_cndmask_b32_e64 v91, 0, v91, s[36:37]
	v_add_u32_e32 v90, v90, v91
	ds_write_b32 v89, v90 offset:1024
.LBB88_172:                             ;   in Loop: Header=BB88_148 Depth=2
	s_or_b64 exec, exec, s[38:39]
	v_mov_b32_e32 v89, 0
	s_waitcnt lgkmcnt(0)
	s_barrier
	s_and_saveexec_b64 s[38:39], s[12:13]
; %bb.173:                              ;   in Loop: Header=BB88_148 Depth=2
	ds_read_b32 v89, v26 offset:1020
; %bb.174:                              ;   in Loop: Header=BB88_148 Depth=2
	s_or_b64 exec, exec, s[38:39]
	s_waitcnt lgkmcnt(0)
	v_add_u32_e32 v88, v89, v88
	ds_bpermute_b32 v88, v64, v88
	s_waitcnt lgkmcnt(0)
	v_cndmask_b32_e64 v88, v88, v89, s[30:31]
	v_cndmask_b32_e64 v88, v88, 0, s[14:15]
	v_add_u32_e32 v15, v88, v15
	v_add_u32_e32 v16, v15, v16
	;; [unrolled: 1-line block ×4, first 2 shown]
	ds_write2_b32 v53, v88, v15 offset1:1
	ds_write2_b32 v54, v16, v13 offset1:1
	ds_write_b32 v50, v14 offset:1056
	s_waitcnt lgkmcnt(0)
	s_barrier
	ds_read_b32 v13, v78 offset:1040
	ds_read_b32 v14, v82 offset:1040
	;; [unrolled: 1-line block ×5, first 2 shown]
	v_mov_b32_e32 v78, 0x400
	s_and_saveexec_b64 s[38:39], s[16:17]
; %bb.175:                              ;   in Loop: Header=BB88_148 Depth=2
	ds_read_b32 v78, v50 offset:1060
; %bb.176:                              ;   in Loop: Header=BB88_148 Depth=2
	s_or_b64 exec, exec, s[38:39]
	s_waitcnt lgkmcnt(0)
	s_barrier
	s_and_saveexec_b64 s[38:39], s[4:5]
	s_cbranch_execz .LBB88_178
; %bb.177:                              ;   in Loop: Header=BB88_148 Depth=2
	ds_read_b32 v86, v18
	s_waitcnt lgkmcnt(0)
	v_sub_u32_e32 v15, v86, v15
	ds_write_b32 v18, v15
.LBB88_178:                             ;   in Loop: Header=BB88_148 Depth=2
	s_or_b64 exec, exec, s[38:39]
	v_add_u32_e32 v15, v13, v75
	v_add3_u32 v14, v79, v77, v14
	v_add3_u32 v13, v83, v81, v16
	v_add3_u32 v4, v4, v85, v82
	v_cmp_lt_u32_e64 s[42:43], v0, v74
	ds_write_b8 v15, v17 offset:1024
	ds_write_b8 v14, v76 offset:1024
	;; [unrolled: 1-line block ×4, first 2 shown]
	s_waitcnt lgkmcnt(0)
	s_barrier
	s_and_saveexec_b64 s[38:39], s[42:43]
	s_cbranch_execnz .LBB88_199
; %bb.179:                              ;   in Loop: Header=BB88_148 Depth=2
	s_or_b64 exec, exec, s[38:39]
	v_cmp_lt_u32_e64 s[40:41], v19, v74
	s_and_saveexec_b64 s[38:39], s[40:41]
	s_cbranch_execnz .LBB88_200
.LBB88_180:                             ;   in Loop: Header=BB88_148 Depth=2
	s_or_b64 exec, exec, s[38:39]
	v_cmp_lt_u32_e64 s[38:39], v20, v74
	s_and_saveexec_b64 s[44:45], s[38:39]
	s_cbranch_execnz .LBB88_201
.LBB88_181:                             ;   in Loop: Header=BB88_148 Depth=2
	s_or_b64 exec, exec, s[44:45]
	v_cmp_lt_u32_e32 vcc, v21, v74
	s_and_saveexec_b64 s[44:45], vcc
	s_cbranch_execz .LBB88_183
.LBB88_182:                             ;   in Loop: Header=BB88_148 Depth=2
	ds_read_u8 v16, v0 offset:1792
	s_waitcnt lgkmcnt(0)
	v_lshrrev_b32_sdwa v17, s7, v16 dst_sel:DWORD dst_unused:UNUSED_PAD src0_sel:DWORD src1_sel:BYTE_0
	v_and_b32_e32 v17, s58, v17
	v_lshlrev_b32_e32 v17, 2, v17
	ds_read_b32 v17, v17
	v_xor_b32_e32 v16, -1, v16
	s_waitcnt lgkmcnt(0)
	v_add_u32_e32 v17, v17, v21
	global_store_byte v17, v16, s[52:53]
.LBB88_183:                             ;   in Loop: Header=BB88_148 Depth=2
	s_or_b64 exec, exec, s[44:45]
	s_lshl_b64 s[44:45], s[56:57], 3
	v_mov_b32_e32 v17, s45
	v_add_co_u32_e64 v16, s[44:45], s44, v65
	v_addc_co_u32_e64 v17, s[44:45], v66, v17, s[44:45]
	v_cmp_lt_u32_e64 s[44:45], v47, v74
	s_and_saveexec_b64 s[54:55], s[44:45]
	s_xor_b64 s[44:45], exec, s[54:55]
	s_cbranch_execnz .LBB88_202
; %bb.184:                              ;   in Loop: Header=BB88_148 Depth=2
	s_or_b64 exec, exec, s[44:45]
	v_cmp_lt_u32_e64 s[44:45], v61, v74
	s_and_saveexec_b64 s[54:55], s[44:45]
	s_cbranch_execnz .LBB88_203
.LBB88_185:                             ;   in Loop: Header=BB88_148 Depth=2
	s_or_b64 exec, exec, s[54:55]
	v_cmp_lt_u32_e64 s[44:45], v62, v74
	s_and_saveexec_b64 s[54:55], s[44:45]
	s_cbranch_execnz .LBB88_204
.LBB88_186:                             ;   in Loop: Header=BB88_148 Depth=2
	s_or_b64 exec, exec, s[54:55]
	v_cmp_lt_u32_e64 s[44:45], v63, v74
	s_and_saveexec_b64 s[54:55], s[44:45]
	s_cbranch_execnz .LBB88_205
.LBB88_187:                             ;   in Loop: Header=BB88_148 Depth=2
	s_or_b64 exec, exec, s[54:55]
	s_and_saveexec_b64 s[44:45], s[42:43]
	s_cbranch_execnz .LBB88_206
.LBB88_188:                             ;   in Loop: Header=BB88_148 Depth=2
	s_or_b64 exec, exec, s[44:45]
	s_and_saveexec_b64 s[44:45], s[40:41]
	s_cbranch_execnz .LBB88_207
.LBB88_189:                             ;   in Loop: Header=BB88_148 Depth=2
	s_or_b64 exec, exec, s[44:45]
	s_and_saveexec_b64 s[44:45], s[38:39]
	s_cbranch_execnz .LBB88_208
.LBB88_190:                             ;   in Loop: Header=BB88_148 Depth=2
	s_or_b64 exec, exec, s[44:45]
	s_and_saveexec_b64 s[44:45], vcc
	s_cbranch_execz .LBB88_192
.LBB88_191:                             ;   in Loop: Header=BB88_148 Depth=2
	ds_read_u8 v16, v0 offset:1792
	s_waitcnt lgkmcnt(0)
	v_lshrrev_b32_e32 v16, s7, v16
	v_and_b32_e32 v69, s58, v16
.LBB88_192:                             ;   in Loop: Header=BB88_148 Depth=2
	s_or_b64 exec, exec, s[44:45]
	v_mad_u64_u32 v[15:16], s[44:45], v15, 7, v[15:16]
	s_waitcnt vmcnt(0)
	v_mad_u64_u32 v[74:75], s[44:45], v4, 7, v[4:5]
	v_mad_u64_u32 v[16:17], s[44:45], v14, 7, v[14:15]
	;; [unrolled: 1-line block ×3, first 2 shown]
	s_barrier
	ds_write_b64 v15, v[11:12] offset:1024
	ds_write_b64 v16, v[9:10] offset:1024
	;; [unrolled: 1-line block ×4, first 2 shown]
	s_waitcnt lgkmcnt(0)
	s_barrier
	s_and_saveexec_b64 s[44:45], s[42:43]
	s_cbranch_execnz .LBB88_209
; %bb.193:                              ;   in Loop: Header=BB88_148 Depth=2
	s_or_b64 exec, exec, s[44:45]
	s_and_saveexec_b64 s[42:43], s[40:41]
	s_cbranch_execnz .LBB88_210
.LBB88_194:                             ;   in Loop: Header=BB88_148 Depth=2
	s_or_b64 exec, exec, s[42:43]
	s_and_saveexec_b64 s[40:41], s[38:39]
	s_cbranch_execnz .LBB88_211
.LBB88_195:                             ;   in Loop: Header=BB88_148 Depth=2
	s_or_b64 exec, exec, s[40:41]
	s_and_saveexec_b64 s[38:39], vcc
	s_cbranch_execz .LBB88_197
.LBB88_196:                             ;   in Loop: Header=BB88_148 Depth=2
	v_lshlrev_b32_e32 v4, 2, v69
	ds_read_b32 v4, v4
	v_add_u32_e32 v13, v0, v51
	ds_read_b64 v[13:14], v13 offset:7168
	v_mov_b32_e32 v16, v3
	v_mov_b32_e32 v17, s67
	s_waitcnt lgkmcnt(1)
	v_add_u32_e32 v15, v4, v21
	v_lshlrev_b64 v[15:16], 3, v[15:16]
	v_add_co_u32_e32 v15, vcc, s66, v15
	v_addc_co_u32_e32 v16, vcc, v17, v16, vcc
	s_waitcnt lgkmcnt(0)
	global_store_dwordx2 v[15:16], v[13:14], off
.LBB88_197:                             ;   in Loop: Header=BB88_148 Depth=2
	s_or_b64 exec, exec, s[38:39]
	s_waitcnt vmcnt(0)
	s_barrier
	s_and_saveexec_b64 s[38:39], s[4:5]
	s_cbranch_execz .LBB88_147
; %bb.198:                              ;   in Loop: Header=BB88_148 Depth=2
	ds_read_b32 v4, v18
	s_waitcnt lgkmcnt(0)
	v_add_u32_e32 v4, v4, v78
	ds_write_b32 v18, v4
	s_branch .LBB88_147
.LBB88_199:                             ;   in Loop: Header=BB88_148 Depth=2
	ds_read_u8 v16, v0 offset:1024
	s_waitcnt lgkmcnt(0)
	v_lshrrev_b32_sdwa v17, s7, v16 dst_sel:DWORD dst_unused:UNUSED_PAD src0_sel:DWORD src1_sel:BYTE_0
	v_and_b32_e32 v17, s58, v17
	v_lshlrev_b32_e32 v17, 2, v17
	ds_read_b32 v17, v17
	v_xor_b32_e32 v16, -1, v16
	s_waitcnt lgkmcnt(0)
	v_add_u32_e32 v17, v17, v0
	global_store_byte v17, v16, s[52:53]
	s_or_b64 exec, exec, s[38:39]
	v_cmp_lt_u32_e64 s[40:41], v19, v74
	s_and_saveexec_b64 s[38:39], s[40:41]
	s_cbranch_execz .LBB88_180
.LBB88_200:                             ;   in Loop: Header=BB88_148 Depth=2
	ds_read_u8 v16, v0 offset:1280
	s_waitcnt lgkmcnt(0)
	v_lshrrev_b32_sdwa v17, s7, v16 dst_sel:DWORD dst_unused:UNUSED_PAD src0_sel:DWORD src1_sel:BYTE_0
	v_and_b32_e32 v17, s58, v17
	v_lshlrev_b32_e32 v17, 2, v17
	ds_read_b32 v17, v17
	v_xor_b32_e32 v16, -1, v16
	s_waitcnt lgkmcnt(0)
	v_add_u32_e32 v17, v17, v19
	global_store_byte v17, v16, s[52:53]
	s_or_b64 exec, exec, s[38:39]
	v_cmp_lt_u32_e64 s[38:39], v20, v74
	s_and_saveexec_b64 s[44:45], s[38:39]
	s_cbranch_execz .LBB88_181
.LBB88_201:                             ;   in Loop: Header=BB88_148 Depth=2
	ds_read_u8 v16, v0 offset:1536
	s_waitcnt lgkmcnt(0)
	v_lshrrev_b32_sdwa v17, s7, v16 dst_sel:DWORD dst_unused:UNUSED_PAD src0_sel:DWORD src1_sel:BYTE_0
	v_and_b32_e32 v17, s58, v17
	v_lshlrev_b32_e32 v17, 2, v17
	ds_read_b32 v17, v17
	v_xor_b32_e32 v16, -1, v16
	s_waitcnt lgkmcnt(0)
	v_add_u32_e32 v17, v17, v20
	global_store_byte v17, v16, s[52:53]
	s_or_b64 exec, exec, s[44:45]
	v_cmp_lt_u32_e32 vcc, v21, v74
	s_and_saveexec_b64 s[44:45], vcc
	s_cbranch_execnz .LBB88_182
	s_branch .LBB88_183
.LBB88_202:                             ;   in Loop: Header=BB88_148 Depth=2
	global_load_dwordx2 v[11:12], v[16:17], off
	s_or_b64 exec, exec, s[44:45]
	v_cmp_lt_u32_e64 s[44:45], v61, v74
	s_and_saveexec_b64 s[54:55], s[44:45]
	s_cbranch_execz .LBB88_185
.LBB88_203:                             ;   in Loop: Header=BB88_148 Depth=2
	global_load_dwordx2 v[9:10], v[16:17], off offset:512
	s_or_b64 exec, exec, s[54:55]
	v_cmp_lt_u32_e64 s[44:45], v62, v74
	s_and_saveexec_b64 s[54:55], s[44:45]
	s_cbranch_execz .LBB88_186
.LBB88_204:                             ;   in Loop: Header=BB88_148 Depth=2
	global_load_dwordx2 v[7:8], v[16:17], off offset:1024
	s_or_b64 exec, exec, s[54:55]
	v_cmp_lt_u32_e64 s[44:45], v63, v74
	s_and_saveexec_b64 s[54:55], s[44:45]
	s_cbranch_execz .LBB88_187
.LBB88_205:                             ;   in Loop: Header=BB88_148 Depth=2
	global_load_dwordx2 v[5:6], v[16:17], off offset:1536
	s_or_b64 exec, exec, s[54:55]
	s_and_saveexec_b64 s[44:45], s[42:43]
	s_cbranch_execz .LBB88_188
.LBB88_206:                             ;   in Loop: Header=BB88_148 Depth=2
	ds_read_u8 v16, v0 offset:1024
	s_waitcnt lgkmcnt(0)
	v_lshrrev_b32_e32 v16, s7, v16
	v_and_b32_e32 v73, s58, v16
	s_or_b64 exec, exec, s[44:45]
	s_and_saveexec_b64 s[44:45], s[40:41]
	s_cbranch_execz .LBB88_189
.LBB88_207:                             ;   in Loop: Header=BB88_148 Depth=2
	ds_read_u8 v16, v0 offset:1280
	s_waitcnt lgkmcnt(0)
	v_lshrrev_b32_e32 v16, s7, v16
	v_and_b32_e32 v72, s58, v16
	s_or_b64 exec, exec, s[44:45]
	s_and_saveexec_b64 s[44:45], s[38:39]
	s_cbranch_execz .LBB88_190
.LBB88_208:                             ;   in Loop: Header=BB88_148 Depth=2
	ds_read_u8 v16, v0 offset:1536
	s_waitcnt lgkmcnt(0)
	v_lshrrev_b32_e32 v16, s7, v16
	v_and_b32_e32 v70, s58, v16
	s_or_b64 exec, exec, s[44:45]
	s_and_saveexec_b64 s[44:45], vcc
	s_cbranch_execnz .LBB88_191
	s_branch .LBB88_192
.LBB88_209:                             ;   in Loop: Header=BB88_148 Depth=2
	v_lshlrev_b32_e32 v4, 2, v73
	ds_read_b32 v4, v4
	v_add_u32_e32 v13, v0, v51
	ds_read_b64 v[13:14], v13 offset:1024
	v_mov_b32_e32 v16, v3
	v_mov_b32_e32 v17, s67
	s_waitcnt lgkmcnt(1)
	v_add_u32_e32 v15, v4, v0
	v_lshlrev_b64 v[15:16], 3, v[15:16]
	v_add_co_u32_e64 v15, s[42:43], s66, v15
	v_addc_co_u32_e64 v16, s[42:43], v17, v16, s[42:43]
	s_waitcnt lgkmcnt(0)
	global_store_dwordx2 v[15:16], v[13:14], off
	s_or_b64 exec, exec, s[44:45]
	s_and_saveexec_b64 s[42:43], s[40:41]
	s_cbranch_execz .LBB88_194
.LBB88_210:                             ;   in Loop: Header=BB88_148 Depth=2
	v_lshlrev_b32_e32 v4, 2, v72
	ds_read_b32 v4, v4
	v_add_u32_e32 v13, v0, v51
	ds_read_b64 v[13:14], v13 offset:3072
	v_mov_b32_e32 v16, v3
	v_mov_b32_e32 v17, s67
	s_waitcnt lgkmcnt(1)
	v_add_u32_e32 v15, v4, v19
	v_lshlrev_b64 v[15:16], 3, v[15:16]
	v_add_co_u32_e64 v15, s[40:41], s66, v15
	v_addc_co_u32_e64 v16, s[40:41], v17, v16, s[40:41]
	s_waitcnt lgkmcnt(0)
	global_store_dwordx2 v[15:16], v[13:14], off
	s_or_b64 exec, exec, s[42:43]
	s_and_saveexec_b64 s[40:41], s[38:39]
	s_cbranch_execz .LBB88_195
.LBB88_211:                             ;   in Loop: Header=BB88_148 Depth=2
	v_lshlrev_b32_e32 v4, 2, v70
	ds_read_b32 v4, v4
	v_add_u32_e32 v13, v0, v51
	ds_read_b64 v[13:14], v13 offset:5120
	v_mov_b32_e32 v16, v3
	v_mov_b32_e32 v17, s67
	s_waitcnt lgkmcnt(1)
	v_add_u32_e32 v15, v4, v20
	v_lshlrev_b64 v[15:16], 3, v[15:16]
	v_add_co_u32_e64 v15, s[38:39], s66, v15
	v_addc_co_u32_e64 v16, s[38:39], v17, v16, s[38:39]
	s_waitcnt lgkmcnt(0)
	global_store_dwordx2 v[15:16], v[13:14], off
	s_or_b64 exec, exec, s[40:41]
	s_and_saveexec_b64 s[38:39], vcc
	s_cbranch_execnz .LBB88_196
	s_branch .LBB88_197
.LBB88_212:                             ;   in Loop: Header=BB88_12 Depth=1
	s_waitcnt lgkmcnt(0)
	s_barrier
.LBB88_213:                             ;   in Loop: Header=BB88_12 Depth=1
	s_mov_b64 s[18:19], 0
.LBB88_214:                             ;   in Loop: Header=BB88_12 Depth=1
	s_andn2_b64 vcc, exec, s[18:19]
	s_cbranch_vccnz .LBB88_11
; %bb.215:                              ;   in Loop: Header=BB88_12 Depth=1
	s_mov_b64 s[18:19], -1
	s_and_b64 vcc, exec, s[72:73]
	s_cbranch_vccz .LBB88_315
; %bb.216:                              ;   in Loop: Header=BB88_12 Depth=1
	v_mov_b32_e32 v4, 0
	s_mov_b32 s20, s71
	s_mov_b32 s22, s74
	v_mov_b32_e32 v7, 0
	v_mov_b32_e32 v6, 0
	;; [unrolled: 1-line block ×3, first 2 shown]
	s_barrier
	s_branch .LBB88_218
.LBB88_217:                             ;   in Loop: Header=BB88_218 Depth=2
	s_or_b64 exec, exec, s[18:19]
	s_addk_i32 s20, 0xfc00
	s_cmp_ge_u32 s21, s75
	s_mov_b32 s22, s21
	s_cbranch_scc1 .LBB88_238
.LBB88_218:                             ;   Parent Loop BB88_12 Depth=1
                                        ; =>  This Inner Loop Header: Depth=2
	s_add_i32 s21, s22, 0x400
	s_cmp_gt_u32 s21, s75
	s_mov_b64 s[18:19], -1
                                        ; implicit-def: $vgpr8
                                        ; implicit-def: $vgpr9
                                        ; implicit-def: $vgpr10
                                        ; implicit-def: $vgpr11
	s_cbranch_scc1 .LBB88_220
; %bb.219:                              ;   in Loop: Header=BB88_218 Depth=2
	v_add_co_u32_e32 v12, vcc, s22, v39
	v_addc_co_u32_e32 v13, vcc, 0, v40, vcc
	global_load_ubyte v11, v[12:13], off offset:768
	global_load_ubyte v10, v[12:13], off offset:512
	;; [unrolled: 1-line block ×3, first 2 shown]
	global_load_ubyte v8, v[12:13], off
	s_mov_b64 s[18:19], 0
.LBB88_220:                             ;   in Loop: Header=BB88_218 Depth=2
	s_andn2_b64 vcc, exec, s[18:19]
	s_movk_i32 s23, 0x400
	s_cbranch_vccnz .LBB88_227
; %bb.221:                              ;   in Loop: Header=BB88_218 Depth=2
	s_add_u32 s22, s48, s22
	s_addc_u32 s23, s49, 0
	v_cmp_gt_u32_e32 vcc, s20, v0
	s_and_saveexec_b64 s[18:19], vcc
	s_cbranch_execnz .LBB88_235
; %bb.222:                              ;   in Loop: Header=BB88_218 Depth=2
	s_or_b64 exec, exec, s[18:19]
	v_cmp_gt_u32_e32 vcc, s20, v19
	s_and_saveexec_b64 s[18:19], vcc
	s_cbranch_execnz .LBB88_236
.LBB88_223:                             ;   in Loop: Header=BB88_218 Depth=2
	s_or_b64 exec, exec, s[18:19]
	v_cmp_gt_u32_e32 vcc, s20, v20
	s_and_saveexec_b64 s[18:19], vcc
	s_cbranch_execnz .LBB88_237
.LBB88_224:                             ;   in Loop: Header=BB88_218 Depth=2
	s_or_b64 exec, exec, s[18:19]
	v_cmp_gt_u32_e32 vcc, s20, v21
	s_and_saveexec_b64 s[18:19], vcc
	s_cbranch_execz .LBB88_226
.LBB88_225:                             ;   in Loop: Header=BB88_218 Depth=2
	v_mov_b32_e32 v5, s23
	s_waitcnt vmcnt(0)
	v_add_co_u32_e32 v8, vcc, s22, v0
	v_addc_co_u32_e32 v9, vcc, 0, v5, vcc
	global_load_ubyte v5, v[8:9], off offset:768
.LBB88_226:                             ;   in Loop: Header=BB88_218 Depth=2
	s_or_b64 exec, exec, s[18:19]
	s_mov_b32 s23, s20
	s_waitcnt vmcnt(0)
	v_mov_b32_e32 v8, v4
	v_mov_b32_e32 v9, v7
	;; [unrolled: 1-line block ×4, first 2 shown]
.LBB88_227:                             ;   in Loop: Header=BB88_218 Depth=2
	s_waitcnt vmcnt(3)
	v_mov_b32_e32 v5, v11
	s_waitcnt vmcnt(2)
	v_mov_b32_e32 v6, v10
	;; [unrolled: 2-line block ×4, first 2 shown]
	v_cmp_gt_u32_e32 vcc, s23, v0
	s_and_saveexec_b64 s[18:19], vcc
	s_cbranch_execnz .LBB88_231
; %bb.228:                              ;   in Loop: Header=BB88_218 Depth=2
	s_or_b64 exec, exec, s[18:19]
	v_cmp_gt_u32_e32 vcc, s23, v19
	s_and_saveexec_b64 s[18:19], vcc
	s_cbranch_execnz .LBB88_232
.LBB88_229:                             ;   in Loop: Header=BB88_218 Depth=2
	s_or_b64 exec, exec, s[18:19]
	v_cmp_gt_u32_e32 vcc, s23, v20
	s_and_saveexec_b64 s[18:19], vcc
	s_cbranch_execnz .LBB88_233
.LBB88_230:                             ;   in Loop: Header=BB88_218 Depth=2
	s_or_b64 exec, exec, s[18:19]
	v_cmp_gt_u32_e32 vcc, s23, v21
	s_and_saveexec_b64 s[18:19], vcc
	s_cbranch_execz .LBB88_217
	s_branch .LBB88_234
.LBB88_231:                             ;   in Loop: Header=BB88_218 Depth=2
	v_xor_b32_e32 v8, -1, v4
	v_lshrrev_b32_sdwa v8, s69, v8 dst_sel:DWORD dst_unused:UNUSED_PAD src0_sel:DWORD src1_sel:BYTE_0
	v_and_b32_e32 v8, s58, v8
	v_lshl_or_b32 v8, v8, 4, v24
	ds_add_u32 v8, v52
	s_or_b64 exec, exec, s[18:19]
	v_cmp_gt_u32_e32 vcc, s23, v19
	s_and_saveexec_b64 s[18:19], vcc
	s_cbranch_execz .LBB88_229
.LBB88_232:                             ;   in Loop: Header=BB88_218 Depth=2
	v_xor_b32_e32 v8, -1, v7
	v_lshrrev_b32_sdwa v8, s69, v8 dst_sel:DWORD dst_unused:UNUSED_PAD src0_sel:DWORD src1_sel:BYTE_0
	v_and_b32_e32 v8, s58, v8
	v_lshl_or_b32 v8, v8, 4, v24
	ds_add_u32 v8, v52
	s_or_b64 exec, exec, s[18:19]
	v_cmp_gt_u32_e32 vcc, s23, v20
	s_and_saveexec_b64 s[18:19], vcc
	s_cbranch_execz .LBB88_230
.LBB88_233:                             ;   in Loop: Header=BB88_218 Depth=2
	v_xor_b32_e32 v8, -1, v6
	v_lshrrev_b32_sdwa v8, s69, v8 dst_sel:DWORD dst_unused:UNUSED_PAD src0_sel:DWORD src1_sel:BYTE_0
	v_and_b32_e32 v8, s58, v8
	v_lshl_or_b32 v8, v8, 4, v24
	ds_add_u32 v8, v52
	s_or_b64 exec, exec, s[18:19]
	v_cmp_gt_u32_e32 vcc, s23, v21
	s_and_saveexec_b64 s[18:19], vcc
	s_cbranch_execz .LBB88_217
.LBB88_234:                             ;   in Loop: Header=BB88_218 Depth=2
	v_xor_b32_e32 v8, -1, v5
	v_lshrrev_b32_sdwa v8, s69, v8 dst_sel:DWORD dst_unused:UNUSED_PAD src0_sel:DWORD src1_sel:BYTE_0
	v_and_b32_e32 v8, s58, v8
	v_lshl_or_b32 v8, v8, 4, v24
	ds_add_u32 v8, v52
	s_branch .LBB88_217
.LBB88_235:                             ;   in Loop: Header=BB88_218 Depth=2
	v_mov_b32_e32 v4, s23
	s_waitcnt vmcnt(0)
	v_add_co_u32_e32 v8, vcc, s22, v0
	v_addc_co_u32_e32 v9, vcc, 0, v4, vcc
	global_load_ubyte v4, v[8:9], off
	s_or_b64 exec, exec, s[18:19]
	v_cmp_gt_u32_e32 vcc, s20, v19
	s_and_saveexec_b64 s[18:19], vcc
	s_cbranch_execz .LBB88_223
.LBB88_236:                             ;   in Loop: Header=BB88_218 Depth=2
	s_waitcnt vmcnt(0)
	v_mov_b32_e32 v8, s23
	v_add_co_u32_e32 v7, vcc, s22, v0
	v_addc_co_u32_e32 v8, vcc, 0, v8, vcc
	global_load_ubyte v7, v[7:8], off offset:256
	s_or_b64 exec, exec, s[18:19]
	v_cmp_gt_u32_e32 vcc, s20, v20
	s_and_saveexec_b64 s[18:19], vcc
	s_cbranch_execz .LBB88_224
.LBB88_237:                             ;   in Loop: Header=BB88_218 Depth=2
	v_mov_b32_e32 v6, s23
	s_waitcnt vmcnt(0)
	v_add_co_u32_e32 v8, vcc, s22, v0
	v_addc_co_u32_e32 v9, vcc, 0, v6, vcc
	global_load_ubyte v6, v[8:9], off offset:512
	s_or_b64 exec, exec, s[18:19]
	v_cmp_gt_u32_e32 vcc, s20, v21
	s_and_saveexec_b64 s[18:19], vcc
	s_cbranch_execnz .LBB88_225
	s_branch .LBB88_226
.LBB88_238:                             ;   in Loop: Header=BB88_12 Depth=1
	v_mov_b32_e32 v4, 0
	s_waitcnt lgkmcnt(0)
	s_barrier
	s_and_saveexec_b64 s[18:19], s[4:5]
	s_cbranch_execz .LBB88_240
; %bb.239:                              ;   in Loop: Header=BB88_12 Depth=1
	ds_read2_b64 v[4:7], v25 offset1:1
	s_waitcnt lgkmcnt(0)
	v_add_u32_e32 v4, v5, v4
	v_add3_u32 v4, v4, v6, v7
.LBB88_240:                             ;   in Loop: Header=BB88_12 Depth=1
	s_or_b64 exec, exec, s[18:19]
	s_nop 0
	v_mov_b32_dpp v5, v4 row_shr:1 row_mask:0xf bank_mask:0xf
	v_cmp_eq_u32_e64 s[18:19], 0, v55
	v_cndmask_b32_e64 v5, v5, 0, s[18:19]
	v_add_u32_e32 v4, v5, v4
	v_cmp_lt_u32_e64 s[20:21], 1, v55
	v_cmp_lt_u32_e64 s[22:23], 3, v55
	v_mov_b32_dpp v5, v4 row_shr:2 row_mask:0xf bank_mask:0xf
	v_cndmask_b32_e64 v5, 0, v5, s[20:21]
	v_add_u32_e32 v4, v4, v5
	v_cmp_lt_u32_e64 s[24:25], 7, v55
	v_cmp_lt_u32_e64 s[28:29], 31, v45
	v_mov_b32_dpp v5, v4 row_shr:4 row_mask:0xf bank_mask:0xf
	v_cndmask_b32_e64 v5, 0, v5, s[22:23]
	v_add_u32_e32 v4, v4, v5
	v_cmp_eq_u32_e64 s[26:27], 0, v57
	s_nop 0
	v_mov_b32_dpp v5, v4 row_shr:8 row_mask:0xf bank_mask:0xf
	v_cndmask_b32_e64 v5, 0, v5, s[24:25]
	v_add_u32_e32 v4, v4, v5
	s_nop 1
	v_mov_b32_dpp v5, v4 row_bcast:15 row_mask:0xf bank_mask:0xf
	v_and_b32_e32 v5, v56, v5
	v_add_u32_e32 v4, v4, v5
	s_nop 1
	v_mov_b32_dpp v5, v4 row_bcast:31 row_mask:0xf bank_mask:0xf
	v_cndmask_b32_e64 v5, 0, v5, s[28:29]
	v_add_u32_e32 v4, v4, v5
	s_and_saveexec_b64 s[30:31], s[8:9]
; %bb.241:                              ;   in Loop: Header=BB88_12 Depth=1
	ds_write_b32 v27, v4
; %bb.242:                              ;   in Loop: Header=BB88_12 Depth=1
	s_or_b64 exec, exec, s[30:31]
	s_waitcnt lgkmcnt(0)
	s_barrier
	s_and_saveexec_b64 s[30:31], s[10:11]
	s_cbranch_execz .LBB88_244
; %bb.243:                              ;   in Loop: Header=BB88_12 Depth=1
	ds_read_b32 v5, v48
	v_cmp_ne_u32_e32 vcc, 0, v58
	s_waitcnt lgkmcnt(0)
	v_mov_b32_dpp v6, v5 row_shr:1 row_mask:0xf bank_mask:0xf
	v_cndmask_b32_e32 v6, 0, v6, vcc
	v_add_u32_e32 v5, v6, v5
	v_cmp_lt_u32_e32 vcc, 1, v58
	s_nop 0
	v_mov_b32_dpp v6, v5 row_shr:2 row_mask:0xf bank_mask:0xf
	v_cndmask_b32_e32 v6, 0, v6, vcc
	v_add_u32_e32 v5, v5, v6
	ds_write_b32 v48, v5
.LBB88_244:                             ;   in Loop: Header=BB88_12 Depth=1
	s_or_b64 exec, exec, s[30:31]
	v_mov_b32_e32 v5, 0
	s_waitcnt lgkmcnt(0)
	s_barrier
	s_and_saveexec_b64 s[30:31], s[12:13]
; %bb.245:                              ;   in Loop: Header=BB88_12 Depth=1
	ds_read_b32 v5, v49
; %bb.246:                              ;   in Loop: Header=BB88_12 Depth=1
	s_or_b64 exec, exec, s[30:31]
	v_subrev_co_u32_e64 v6, s[30:31], 1, v45
	v_cmp_lt_i32_e32 vcc, v6, v59
	v_cndmask_b32_e32 v6, v6, v45, vcc
	s_waitcnt lgkmcnt(0)
	v_add_u32_e32 v4, v5, v4
	v_lshlrev_b32_e32 v64, 2, v6
	ds_bpermute_b32 v4, v64, v4
	s_waitcnt lgkmcnt(0)
	s_barrier
	s_and_saveexec_b64 s[34:35], s[4:5]
; %bb.247:                              ;   in Loop: Header=BB88_12 Depth=1
	v_cndmask_b32_e64 v4, v4, v5, s[30:31]
	v_add_u32_e32 v4, s74, v4
	ds_write_b32 v18, v4
; %bb.248:                              ;   in Loop: Header=BB88_12 Depth=1
	s_or_b64 exec, exec, s[34:35]
	s_load_dwordx2 s[34:35], s[46:47], 0x0
	v_add_co_u32_e32 v65, vcc, v41, v60
	v_addc_co_u32_e32 v66, vcc, 0, v42, vcc
	s_waitcnt lgkmcnt(0)
	s_cmp_lt_u32 s33, s35
	s_cselect_b32 s35, 14, 20
	s_add_u32 s36, s46, s35
	s_addc_u32 s37, s47, 0
	s_cmp_lt_u32 s6, s34
	s_cselect_b32 s34, 12, 18
	s_add_u32 s34, s46, s34
	global_load_ushort v4, v3, s[36:37]
	s_addc_u32 s35, s47, 0
	global_load_ushort v5, v3, s[34:35]
	v_add_co_u32_e32 v67, vcc, v43, v46
	v_cmp_eq_u32_e64 s[34:35], 0, v58
	v_cmp_lt_u32_e64 s[36:37], 1, v58
	v_addc_co_u32_e32 v68, vcc, 0, v44, vcc
	s_mov_b32 s59, s71
	s_mov_b32 s56, s74
                                        ; implicit-def: $vgpr7_vgpr8
                                        ; implicit-def: $vgpr9_vgpr10
                                        ; implicit-def: $vgpr11_vgpr12
                                        ; implicit-def: $vgpr69
                                        ; implicit-def: $vgpr70
                                        ; implicit-def: $vgpr72
                                        ; implicit-def: $vgpr73
	s_waitcnt vmcnt(1)
	v_mad_u32_u24 v4, v2, v4, v1
	s_waitcnt vmcnt(0)
	v_mad_u64_u32 v[4:5], s[38:39], v4, v5, v[0:1]
                                        ; implicit-def: $vgpr5_vgpr6
	v_lshrrev_b32_e32 v4, 4, v4
	v_and_b32_e32 v71, 0xffffffc, v4
	s_branch .LBB88_250
.LBB88_249:                             ;   in Loop: Header=BB88_250 Depth=2
	s_or_b64 exec, exec, s[38:39]
	s_addk_i32 s59, 0xfc00
	s_cmp_lt_u32 s60, s75
	s_mov_b32 s56, s60
	s_cbranch_scc0 .LBB88_314
.LBB88_250:                             ;   Parent Loop BB88_12 Depth=1
                                        ; =>  This Inner Loop Header: Depth=2
	s_add_i32 s60, s56, 0x400
	s_cmp_gt_u32 s60, s75
	s_cbranch_scc1 .LBB88_252
; %bb.251:                              ;   in Loop: Header=BB88_250 Depth=2
	v_add_co_u32_e32 v13, vcc, s56, v67
	v_addc_co_u32_e32 v14, vcc, 0, v68, vcc
	global_load_ubyte v16, v[13:14], off offset:128
	global_load_ubyte v76, v[13:14], off offset:64
	global_load_ubyte v4, v[13:14], off
	s_mov_b64 s[38:39], -1
	s_movk_i32 s42, 0x400
                                        ; implicit-def: $vgpr15
	s_cbranch_execz .LBB88_253
	s_branch .LBB88_260
.LBB88_252:                             ;   in Loop: Header=BB88_250 Depth=2
	s_mov_b64 s[38:39], 0
                                        ; implicit-def: $vgpr4
                                        ; implicit-def: $vgpr76
                                        ; implicit-def: $vgpr16
	s_movk_i32 s42, 0x400
                                        ; implicit-def: $vgpr15
.LBB88_253:                             ;   in Loop: Header=BB88_250 Depth=2
	v_add_co_u32_e32 v13, vcc, s56, v67
	v_addc_co_u32_e32 v14, vcc, 0, v68, vcc
	v_cmp_gt_u32_e32 vcc, s59, v47
	s_waitcnt vmcnt(2)
	v_mov_b32_e32 v16, 0
	s_waitcnt vmcnt(0)
	v_mov_b32_e32 v4, 0
	v_mov_b32_e32 v15, 0
	s_and_saveexec_b64 s[38:39], vcc
	s_cbranch_execz .LBB88_255
; %bb.254:                              ;   in Loop: Header=BB88_250 Depth=2
	global_load_ubyte v4, v[13:14], off
	v_mov_b32_e32 v15, 0
.LBB88_255:                             ;   in Loop: Header=BB88_250 Depth=2
	s_or_b64 exec, exec, s[38:39]
	v_cmp_gt_u32_e32 vcc, s59, v61
	v_mov_b32_e32 v76, v16
	s_and_saveexec_b64 s[38:39], vcc
	s_cbranch_execz .LBB88_257
; %bb.256:                              ;   in Loop: Header=BB88_250 Depth=2
	global_load_ubyte v76, v[13:14], off offset:64
.LBB88_257:                             ;   in Loop: Header=BB88_250 Depth=2
	s_or_b64 exec, exec, s[38:39]
	v_cmp_gt_u32_e32 vcc, s59, v62
	s_and_saveexec_b64 s[38:39], vcc
	s_cbranch_execz .LBB88_259
; %bb.258:                              ;   in Loop: Header=BB88_250 Depth=2
	global_load_ubyte v16, v[13:14], off offset:128
.LBB88_259:                             ;   in Loop: Header=BB88_250 Depth=2
	s_or_b64 exec, exec, s[38:39]
	s_sub_i32 s42, s75, s56
	v_cmp_gt_u32_e64 s[38:39], s59, v63
.LBB88_260:                             ;   in Loop: Header=BB88_250 Depth=2
	v_mov_b32_e32 v74, s59
	s_and_saveexec_b64 s[40:41], s[38:39]
	s_cbranch_execz .LBB88_262
; %bb.261:                              ;   in Loop: Header=BB88_250 Depth=2
	v_mov_b32_e32 v14, s57
	v_add_co_u32_e32 v13, vcc, s56, v67
	v_addc_co_u32_e32 v14, vcc, v68, v14, vcc
	global_load_ubyte v15, v[13:14], off offset:192
	v_mov_b32_e32 v74, s42
.LBB88_262:                             ;   in Loop: Header=BB88_250 Depth=2
	s_or_b64 exec, exec, s[40:41]
	s_waitcnt vmcnt(0)
	v_xor_b32_e32 v17, -1, v4
	v_lshrrev_b32_sdwa v4, s69, v17 dst_sel:DWORD dst_unused:UNUSED_PAD src0_sel:DWORD src1_sel:BYTE_0
	v_and_b32_e32 v13, s58, v4
	v_and_b32_e32 v4, 1, v13
	v_add_co_u32_e32 v14, vcc, -1, v4
	v_addc_co_u32_e64 v75, s[38:39], 0, -1, vcc
	v_cmp_ne_u32_e32 vcc, 0, v4
	v_xor_b32_e32 v4, vcc_hi, v75
	v_and_b32_e32 v75, exec_hi, v4
	v_lshlrev_b32_e32 v4, 30, v13
	v_xor_b32_e32 v14, vcc_lo, v14
	v_cmp_gt_i64_e32 vcc, 0, v[3:4]
	v_not_b32_e32 v4, v4
	v_ashrrev_i32_e32 v4, 31, v4
	v_and_b32_e32 v14, exec_lo, v14
	v_xor_b32_e32 v78, vcc_hi, v4
	v_xor_b32_e32 v4, vcc_lo, v4
	v_and_b32_e32 v14, v14, v4
	v_lshlrev_b32_e32 v4, 29, v13
	v_cmp_gt_i64_e32 vcc, 0, v[3:4]
	v_not_b32_e32 v4, v4
	v_ashrrev_i32_e32 v4, 31, v4
	v_and_b32_e32 v75, v75, v78
	v_xor_b32_e32 v78, vcc_hi, v4
	v_xor_b32_e32 v4, vcc_lo, v4
	v_and_b32_e32 v14, v14, v4
	v_lshlrev_b32_e32 v4, 28, v13
	v_cmp_gt_i64_e32 vcc, 0, v[3:4]
	v_not_b32_e32 v4, v4
	v_ashrrev_i32_e32 v4, 31, v4
	v_and_b32_e32 v75, v75, v78
	;; [unrolled: 8-line block ×5, first 2 shown]
	v_xor_b32_e32 v78, vcc_hi, v4
	v_xor_b32_e32 v4, vcc_lo, v4
	v_and_b32_e32 v75, v75, v78
	v_and_b32_e32 v78, v14, v4
	v_lshlrev_b32_e32 v4, 24, v13
	v_cmp_gt_i64_e32 vcc, 0, v[3:4]
	v_not_b32_e32 v4, v4
	v_ashrrev_i32_e32 v4, 31, v4
	v_mul_u32_u24_e32 v77, 20, v13
	v_xor_b32_e32 v13, vcc_hi, v4
	v_xor_b32_e32 v4, vcc_lo, v4
	v_and_b32_e32 v14, v75, v13
	v_and_b32_e32 v13, v78, v4
	v_mbcnt_lo_u32_b32 v4, v13, 0
	v_mbcnt_hi_u32_b32 v75, v14, v4
	v_cmp_ne_u64_e32 vcc, 0, v[13:14]
	v_cmp_eq_u32_e64 s[38:39], 0, v75
	s_and_b64 s[40:41], vcc, s[38:39]
	v_add_u32_e32 v78, v71, v77
	ds_write2_b32 v53, v3, v3 offset1:1
	ds_write2_b32 v54, v3, v3 offset1:1
	ds_write_b32 v50, v3 offset:1056
	s_waitcnt lgkmcnt(0)
	s_barrier
	; wave barrier
	s_and_saveexec_b64 s[38:39], s[40:41]
; %bb.263:                              ;   in Loop: Header=BB88_250 Depth=2
	v_bcnt_u32_b32 v4, v13, 0
	v_bcnt_u32_b32 v4, v14, v4
	ds_write_b32 v78, v4 offset:1040
; %bb.264:                              ;   in Loop: Header=BB88_250 Depth=2
	s_or_b64 exec, exec, s[38:39]
	v_xor_b32_e32 v76, -1, v76
	v_lshrrev_b32_sdwa v4, s69, v76 dst_sel:DWORD dst_unused:UNUSED_PAD src0_sel:DWORD src1_sel:BYTE_0
	v_and_b32_e32 v13, s58, v4
	v_mad_u32_u24 v4, v13, 20, v71
	; wave barrier
	ds_read_b32 v77, v4 offset:1040
	v_and_b32_e32 v4, 1, v13
	v_add_co_u32_e32 v14, vcc, -1, v4
	v_addc_co_u32_e64 v79, s[38:39], 0, -1, vcc
	v_cmp_ne_u32_e32 vcc, 0, v4
	v_xor_b32_e32 v4, vcc_hi, v79
	v_and_b32_e32 v79, exec_hi, v4
	v_lshlrev_b32_e32 v4, 30, v13
	v_xor_b32_e32 v14, vcc_lo, v14
	v_cmp_gt_i64_e32 vcc, 0, v[3:4]
	v_not_b32_e32 v4, v4
	v_ashrrev_i32_e32 v4, 31, v4
	v_and_b32_e32 v14, exec_lo, v14
	v_xor_b32_e32 v81, vcc_hi, v4
	v_xor_b32_e32 v4, vcc_lo, v4
	v_and_b32_e32 v14, v14, v4
	v_lshlrev_b32_e32 v4, 29, v13
	v_cmp_gt_i64_e32 vcc, 0, v[3:4]
	v_not_b32_e32 v4, v4
	v_ashrrev_i32_e32 v4, 31, v4
	v_and_b32_e32 v79, v79, v81
	v_xor_b32_e32 v81, vcc_hi, v4
	v_xor_b32_e32 v4, vcc_lo, v4
	v_and_b32_e32 v14, v14, v4
	v_lshlrev_b32_e32 v4, 28, v13
	v_cmp_gt_i64_e32 vcc, 0, v[3:4]
	v_not_b32_e32 v4, v4
	v_ashrrev_i32_e32 v4, 31, v4
	v_and_b32_e32 v79, v79, v81
	;; [unrolled: 8-line block ×5, first 2 shown]
	v_xor_b32_e32 v81, vcc_hi, v4
	v_xor_b32_e32 v4, vcc_lo, v4
	v_and_b32_e32 v79, v79, v81
	v_and_b32_e32 v81, v14, v4
	v_lshlrev_b32_e32 v4, 24, v13
	v_cmp_gt_i64_e32 vcc, 0, v[3:4]
	v_not_b32_e32 v4, v4
	v_ashrrev_i32_e32 v4, 31, v4
	v_mul_u32_u24_e32 v80, 20, v13
	v_xor_b32_e32 v13, vcc_hi, v4
	v_xor_b32_e32 v4, vcc_lo, v4
	v_and_b32_e32 v14, v79, v13
	v_and_b32_e32 v13, v81, v4
	v_mbcnt_lo_u32_b32 v4, v13, 0
	v_mbcnt_hi_u32_b32 v79, v14, v4
	v_cmp_ne_u64_e32 vcc, 0, v[13:14]
	v_cmp_eq_u32_e64 s[38:39], 0, v79
	s_and_b64 s[40:41], vcc, s[38:39]
	v_add_u32_e32 v82, v71, v80
	; wave barrier
	s_and_saveexec_b64 s[38:39], s[40:41]
	s_cbranch_execz .LBB88_266
; %bb.265:                              ;   in Loop: Header=BB88_250 Depth=2
	v_bcnt_u32_b32 v4, v13, 0
	v_bcnt_u32_b32 v4, v14, v4
	s_waitcnt lgkmcnt(0)
	v_add_u32_e32 v4, v77, v4
	ds_write_b32 v82, v4 offset:1040
.LBB88_266:                             ;   in Loop: Header=BB88_250 Depth=2
	s_or_b64 exec, exec, s[38:39]
	v_xor_b32_e32 v80, -1, v16
	v_lshrrev_b32_sdwa v4, s69, v80 dst_sel:DWORD dst_unused:UNUSED_PAD src0_sel:DWORD src1_sel:BYTE_0
	v_and_b32_e32 v13, s58, v4
	v_mad_u32_u24 v4, v13, 20, v71
	; wave barrier
	ds_read_b32 v81, v4 offset:1040
	v_and_b32_e32 v4, 1, v13
	v_add_co_u32_e32 v14, vcc, -1, v4
	v_addc_co_u32_e64 v83, s[38:39], 0, -1, vcc
	v_cmp_ne_u32_e32 vcc, 0, v4
	v_xor_b32_e32 v4, vcc_hi, v83
	v_and_b32_e32 v83, exec_hi, v4
	v_lshlrev_b32_e32 v4, 30, v13
	v_xor_b32_e32 v14, vcc_lo, v14
	v_cmp_gt_i64_e32 vcc, 0, v[3:4]
	v_not_b32_e32 v4, v4
	v_ashrrev_i32_e32 v4, 31, v4
	v_and_b32_e32 v14, exec_lo, v14
	v_xor_b32_e32 v84, vcc_hi, v4
	v_xor_b32_e32 v4, vcc_lo, v4
	v_and_b32_e32 v14, v14, v4
	v_lshlrev_b32_e32 v4, 29, v13
	v_cmp_gt_i64_e32 vcc, 0, v[3:4]
	v_not_b32_e32 v4, v4
	v_ashrrev_i32_e32 v4, 31, v4
	v_and_b32_e32 v83, v83, v84
	v_xor_b32_e32 v84, vcc_hi, v4
	v_xor_b32_e32 v4, vcc_lo, v4
	v_and_b32_e32 v14, v14, v4
	v_lshlrev_b32_e32 v4, 28, v13
	v_cmp_gt_i64_e32 vcc, 0, v[3:4]
	v_not_b32_e32 v4, v4
	v_ashrrev_i32_e32 v4, 31, v4
	v_and_b32_e32 v83, v83, v84
	;; [unrolled: 8-line block ×5, first 2 shown]
	v_xor_b32_e32 v84, vcc_hi, v4
	v_xor_b32_e32 v4, vcc_lo, v4
	v_and_b32_e32 v83, v83, v84
	v_and_b32_e32 v84, v14, v4
	v_lshlrev_b32_e32 v4, 24, v13
	v_cmp_gt_i64_e32 vcc, 0, v[3:4]
	v_not_b32_e32 v4, v4
	v_ashrrev_i32_e32 v4, 31, v4
	v_mul_u32_u24_e32 v16, 20, v13
	v_xor_b32_e32 v13, vcc_hi, v4
	v_xor_b32_e32 v4, vcc_lo, v4
	v_and_b32_e32 v14, v83, v13
	v_and_b32_e32 v13, v84, v4
	v_mbcnt_lo_u32_b32 v4, v13, 0
	v_mbcnt_hi_u32_b32 v83, v14, v4
	v_cmp_ne_u64_e32 vcc, 0, v[13:14]
	v_cmp_eq_u32_e64 s[38:39], 0, v83
	s_and_b64 s[40:41], vcc, s[38:39]
	v_add_u32_e32 v86, v71, v16
	; wave barrier
	s_and_saveexec_b64 s[38:39], s[40:41]
	s_cbranch_execz .LBB88_268
; %bb.267:                              ;   in Loop: Header=BB88_250 Depth=2
	v_bcnt_u32_b32 v4, v13, 0
	v_bcnt_u32_b32 v4, v14, v4
	s_waitcnt lgkmcnt(0)
	v_add_u32_e32 v4, v81, v4
	ds_write_b32 v86, v4 offset:1040
.LBB88_268:                             ;   in Loop: Header=BB88_250 Depth=2
	s_or_b64 exec, exec, s[38:39]
	v_xor_b32_e32 v84, -1, v15
	v_lshrrev_b32_sdwa v4, s69, v84 dst_sel:DWORD dst_unused:UNUSED_PAD src0_sel:DWORD src1_sel:BYTE_0
	v_and_b32_e32 v13, s58, v4
	v_mad_u32_u24 v4, v13, 20, v71
	; wave barrier
	ds_read_b32 v85, v4 offset:1040
	v_and_b32_e32 v4, 1, v13
	v_add_co_u32_e32 v14, vcc, -1, v4
	v_addc_co_u32_e64 v16, s[38:39], 0, -1, vcc
	v_cmp_ne_u32_e32 vcc, 0, v4
	v_xor_b32_e32 v4, vcc_hi, v16
	v_and_b32_e32 v16, exec_hi, v4
	v_lshlrev_b32_e32 v4, 30, v13
	v_xor_b32_e32 v14, vcc_lo, v14
	v_cmp_gt_i64_e32 vcc, 0, v[3:4]
	v_not_b32_e32 v4, v4
	v_ashrrev_i32_e32 v4, 31, v4
	v_and_b32_e32 v14, exec_lo, v14
	v_xor_b32_e32 v87, vcc_hi, v4
	v_xor_b32_e32 v4, vcc_lo, v4
	v_and_b32_e32 v14, v14, v4
	v_lshlrev_b32_e32 v4, 29, v13
	v_cmp_gt_i64_e32 vcc, 0, v[3:4]
	v_not_b32_e32 v4, v4
	v_ashrrev_i32_e32 v4, 31, v4
	v_and_b32_e32 v16, v16, v87
	v_xor_b32_e32 v87, vcc_hi, v4
	v_xor_b32_e32 v4, vcc_lo, v4
	v_and_b32_e32 v14, v14, v4
	v_lshlrev_b32_e32 v4, 28, v13
	v_cmp_gt_i64_e32 vcc, 0, v[3:4]
	v_not_b32_e32 v4, v4
	v_ashrrev_i32_e32 v4, 31, v4
	v_and_b32_e32 v16, v16, v87
	;; [unrolled: 8-line block ×5, first 2 shown]
	v_xor_b32_e32 v87, vcc_hi, v4
	v_xor_b32_e32 v4, vcc_lo, v4
	v_and_b32_e32 v16, v16, v87
	v_and_b32_e32 v87, v14, v4
	v_lshlrev_b32_e32 v4, 24, v13
	v_cmp_gt_i64_e32 vcc, 0, v[3:4]
	v_not_b32_e32 v4, v4
	v_ashrrev_i32_e32 v4, 31, v4
	v_mul_u32_u24_e32 v15, 20, v13
	v_xor_b32_e32 v13, vcc_hi, v4
	v_xor_b32_e32 v4, vcc_lo, v4
	v_and_b32_e32 v14, v16, v13
	v_and_b32_e32 v13, v87, v4
	v_mbcnt_lo_u32_b32 v4, v13, 0
	v_mbcnt_hi_u32_b32 v4, v14, v4
	v_cmp_ne_u64_e32 vcc, 0, v[13:14]
	v_cmp_eq_u32_e64 s[38:39], 0, v4
	s_and_b64 s[40:41], vcc, s[38:39]
	v_add_u32_e32 v87, v71, v15
	; wave barrier
	s_and_saveexec_b64 s[38:39], s[40:41]
	s_cbranch_execz .LBB88_270
; %bb.269:                              ;   in Loop: Header=BB88_250 Depth=2
	v_bcnt_u32_b32 v13, v13, 0
	v_bcnt_u32_b32 v13, v14, v13
	s_waitcnt lgkmcnt(0)
	v_add_u32_e32 v13, v85, v13
	ds_write_b32 v87, v13 offset:1040
.LBB88_270:                             ;   in Loop: Header=BB88_250 Depth=2
	s_or_b64 exec, exec, s[38:39]
	; wave barrier
	s_waitcnt lgkmcnt(0)
	s_barrier
	ds_read2_b32 v[15:16], v53 offset1:1
	ds_read2_b32 v[13:14], v54 offset1:1
	ds_read_b32 v88, v50 offset:1056
	s_waitcnt lgkmcnt(1)
	v_add3_u32 v89, v16, v15, v13
	s_waitcnt lgkmcnt(0)
	v_add3_u32 v88, v89, v14, v88
	s_nop 1
	v_mov_b32_dpp v89, v88 row_shr:1 row_mask:0xf bank_mask:0xf
	v_cndmask_b32_e64 v89, v89, 0, s[18:19]
	v_add_u32_e32 v88, v89, v88
	s_nop 1
	v_mov_b32_dpp v89, v88 row_shr:2 row_mask:0xf bank_mask:0xf
	v_cndmask_b32_e64 v89, 0, v89, s[20:21]
	v_add_u32_e32 v88, v88, v89
	s_nop 1
	v_mov_b32_dpp v89, v88 row_shr:4 row_mask:0xf bank_mask:0xf
	v_cndmask_b32_e64 v89, 0, v89, s[22:23]
	v_add_u32_e32 v88, v88, v89
	s_nop 1
	v_mov_b32_dpp v89, v88 row_shr:8 row_mask:0xf bank_mask:0xf
	v_cndmask_b32_e64 v89, 0, v89, s[24:25]
	v_add_u32_e32 v88, v88, v89
	s_nop 1
	v_mov_b32_dpp v89, v88 row_bcast:15 row_mask:0xf bank_mask:0xf
	v_cndmask_b32_e64 v89, v89, 0, s[26:27]
	v_add_u32_e32 v88, v88, v89
	s_nop 1
	v_mov_b32_dpp v89, v88 row_bcast:31 row_mask:0xf bank_mask:0xf
	v_cndmask_b32_e64 v89, 0, v89, s[28:29]
	v_add_u32_e32 v88, v88, v89
	s_and_saveexec_b64 s[38:39], s[8:9]
; %bb.271:                              ;   in Loop: Header=BB88_250 Depth=2
	ds_write_b32 v26, v88 offset:1024
; %bb.272:                              ;   in Loop: Header=BB88_250 Depth=2
	s_or_b64 exec, exec, s[38:39]
	s_waitcnt lgkmcnt(0)
	s_barrier
	s_and_saveexec_b64 s[38:39], s[10:11]
	s_cbranch_execz .LBB88_274
; %bb.273:                              ;   in Loop: Header=BB88_250 Depth=2
	v_add_u32_e32 v89, v50, v28
	ds_read_b32 v90, v89 offset:1024
	s_waitcnt lgkmcnt(0)
	s_nop 0
	v_mov_b32_dpp v91, v90 row_shr:1 row_mask:0xf bank_mask:0xf
	v_cndmask_b32_e64 v91, v91, 0, s[34:35]
	v_add_u32_e32 v90, v91, v90
	s_nop 1
	v_mov_b32_dpp v91, v90 row_shr:2 row_mask:0xf bank_mask:0xf
	v_cndmask_b32_e64 v91, 0, v91, s[36:37]
	v_add_u32_e32 v90, v90, v91
	ds_write_b32 v89, v90 offset:1024
.LBB88_274:                             ;   in Loop: Header=BB88_250 Depth=2
	s_or_b64 exec, exec, s[38:39]
	v_mov_b32_e32 v89, 0
	s_waitcnt lgkmcnt(0)
	s_barrier
	s_and_saveexec_b64 s[38:39], s[12:13]
; %bb.275:                              ;   in Loop: Header=BB88_250 Depth=2
	ds_read_b32 v89, v26 offset:1020
; %bb.276:                              ;   in Loop: Header=BB88_250 Depth=2
	s_or_b64 exec, exec, s[38:39]
	s_waitcnt lgkmcnt(0)
	v_add_u32_e32 v88, v89, v88
	ds_bpermute_b32 v88, v64, v88
	s_waitcnt lgkmcnt(0)
	v_cndmask_b32_e64 v88, v88, v89, s[30:31]
	v_cndmask_b32_e64 v88, v88, 0, s[14:15]
	v_add_u32_e32 v15, v88, v15
	v_add_u32_e32 v16, v15, v16
	;; [unrolled: 1-line block ×4, first 2 shown]
	ds_write2_b32 v53, v88, v15 offset1:1
	ds_write2_b32 v54, v16, v13 offset1:1
	ds_write_b32 v50, v14 offset:1056
	s_waitcnt lgkmcnt(0)
	s_barrier
	ds_read_b32 v13, v78 offset:1040
	ds_read_b32 v14, v82 offset:1040
	;; [unrolled: 1-line block ×5, first 2 shown]
	v_mov_b32_e32 v78, 0x400
	s_and_saveexec_b64 s[38:39], s[16:17]
; %bb.277:                              ;   in Loop: Header=BB88_250 Depth=2
	ds_read_b32 v78, v50 offset:1060
; %bb.278:                              ;   in Loop: Header=BB88_250 Depth=2
	s_or_b64 exec, exec, s[38:39]
	s_waitcnt lgkmcnt(0)
	s_barrier
	s_and_saveexec_b64 s[38:39], s[4:5]
	s_cbranch_execz .LBB88_280
; %bb.279:                              ;   in Loop: Header=BB88_250 Depth=2
	ds_read_b32 v86, v18
	s_waitcnt lgkmcnt(0)
	v_sub_u32_e32 v15, v86, v15
	ds_write_b32 v18, v15
.LBB88_280:                             ;   in Loop: Header=BB88_250 Depth=2
	s_or_b64 exec, exec, s[38:39]
	v_add_u32_e32 v15, v13, v75
	v_add3_u32 v14, v79, v77, v14
	v_add3_u32 v13, v83, v81, v16
	;; [unrolled: 1-line block ×3, first 2 shown]
	v_cmp_lt_u32_e64 s[42:43], v0, v74
	ds_write_b8 v15, v17 offset:1024
	ds_write_b8 v14, v76 offset:1024
	;; [unrolled: 1-line block ×4, first 2 shown]
	s_waitcnt lgkmcnt(0)
	s_barrier
	s_and_saveexec_b64 s[38:39], s[42:43]
	s_cbranch_execnz .LBB88_301
; %bb.281:                              ;   in Loop: Header=BB88_250 Depth=2
	s_or_b64 exec, exec, s[38:39]
	v_cmp_lt_u32_e64 s[40:41], v19, v74
	s_and_saveexec_b64 s[38:39], s[40:41]
	s_cbranch_execnz .LBB88_302
.LBB88_282:                             ;   in Loop: Header=BB88_250 Depth=2
	s_or_b64 exec, exec, s[38:39]
	v_cmp_lt_u32_e64 s[38:39], v20, v74
	s_and_saveexec_b64 s[44:45], s[38:39]
	s_cbranch_execnz .LBB88_303
.LBB88_283:                             ;   in Loop: Header=BB88_250 Depth=2
	s_or_b64 exec, exec, s[44:45]
	v_cmp_lt_u32_e32 vcc, v21, v74
	s_and_saveexec_b64 s[44:45], vcc
	s_cbranch_execz .LBB88_285
.LBB88_284:                             ;   in Loop: Header=BB88_250 Depth=2
	ds_read_u8 v16, v0 offset:1792
	s_waitcnt lgkmcnt(0)
	v_lshrrev_b32_sdwa v17, s69, v16 dst_sel:DWORD dst_unused:UNUSED_PAD src0_sel:DWORD src1_sel:BYTE_0
	v_and_b32_e32 v17, s58, v17
	v_lshlrev_b32_e32 v17, 2, v17
	ds_read_b32 v17, v17
	v_xor_b32_e32 v16, -1, v16
	s_waitcnt lgkmcnt(0)
	v_add_u32_e32 v17, v17, v21
	global_store_byte v17, v16, s[50:51]
.LBB88_285:                             ;   in Loop: Header=BB88_250 Depth=2
	s_or_b64 exec, exec, s[44:45]
	s_lshl_b64 s[44:45], s[56:57], 3
	v_mov_b32_e32 v17, s45
	v_add_co_u32_e64 v16, s[44:45], s44, v65
	v_addc_co_u32_e64 v17, s[44:45], v66, v17, s[44:45]
	v_cmp_lt_u32_e64 s[44:45], v47, v74
	s_and_saveexec_b64 s[54:55], s[44:45]
	s_xor_b64 s[44:45], exec, s[54:55]
	s_cbranch_execnz .LBB88_304
; %bb.286:                              ;   in Loop: Header=BB88_250 Depth=2
	s_or_b64 exec, exec, s[44:45]
	v_cmp_lt_u32_e64 s[44:45], v61, v74
	s_and_saveexec_b64 s[54:55], s[44:45]
	s_cbranch_execnz .LBB88_305
.LBB88_287:                             ;   in Loop: Header=BB88_250 Depth=2
	s_or_b64 exec, exec, s[54:55]
	v_cmp_lt_u32_e64 s[44:45], v62, v74
	s_and_saveexec_b64 s[54:55], s[44:45]
	s_cbranch_execnz .LBB88_306
.LBB88_288:                             ;   in Loop: Header=BB88_250 Depth=2
	s_or_b64 exec, exec, s[54:55]
	v_cmp_lt_u32_e64 s[44:45], v63, v74
	s_and_saveexec_b64 s[54:55], s[44:45]
	s_cbranch_execnz .LBB88_307
.LBB88_289:                             ;   in Loop: Header=BB88_250 Depth=2
	s_or_b64 exec, exec, s[54:55]
	s_and_saveexec_b64 s[44:45], s[42:43]
	s_cbranch_execnz .LBB88_308
.LBB88_290:                             ;   in Loop: Header=BB88_250 Depth=2
	s_or_b64 exec, exec, s[44:45]
	s_and_saveexec_b64 s[44:45], s[40:41]
	s_cbranch_execnz .LBB88_309
.LBB88_291:                             ;   in Loop: Header=BB88_250 Depth=2
	s_or_b64 exec, exec, s[44:45]
	s_and_saveexec_b64 s[44:45], s[38:39]
	s_cbranch_execnz .LBB88_310
.LBB88_292:                             ;   in Loop: Header=BB88_250 Depth=2
	s_or_b64 exec, exec, s[44:45]
	s_and_saveexec_b64 s[44:45], vcc
	s_cbranch_execz .LBB88_294
.LBB88_293:                             ;   in Loop: Header=BB88_250 Depth=2
	ds_read_u8 v16, v0 offset:1792
	s_waitcnt lgkmcnt(0)
	v_lshrrev_b32_e32 v16, s69, v16
	v_and_b32_e32 v69, s58, v16
.LBB88_294:                             ;   in Loop: Header=BB88_250 Depth=2
	s_or_b64 exec, exec, s[44:45]
	v_mad_u64_u32 v[15:16], s[44:45], v15, 7, v[15:16]
	s_waitcnt vmcnt(0)
	v_mad_u64_u32 v[74:75], s[44:45], v4, 7, v[4:5]
	v_mad_u64_u32 v[16:17], s[44:45], v14, 7, v[14:15]
	;; [unrolled: 1-line block ×3, first 2 shown]
	s_barrier
	ds_write_b64 v15, v[11:12] offset:1024
	ds_write_b64 v16, v[9:10] offset:1024
	;; [unrolled: 1-line block ×4, first 2 shown]
	s_waitcnt lgkmcnt(0)
	s_barrier
	s_and_saveexec_b64 s[44:45], s[42:43]
	s_cbranch_execnz .LBB88_311
; %bb.295:                              ;   in Loop: Header=BB88_250 Depth=2
	s_or_b64 exec, exec, s[44:45]
	s_and_saveexec_b64 s[42:43], s[40:41]
	s_cbranch_execnz .LBB88_312
.LBB88_296:                             ;   in Loop: Header=BB88_250 Depth=2
	s_or_b64 exec, exec, s[42:43]
	s_and_saveexec_b64 s[40:41], s[38:39]
	s_cbranch_execnz .LBB88_313
.LBB88_297:                             ;   in Loop: Header=BB88_250 Depth=2
	s_or_b64 exec, exec, s[40:41]
	s_and_saveexec_b64 s[38:39], vcc
	s_cbranch_execz .LBB88_299
.LBB88_298:                             ;   in Loop: Header=BB88_250 Depth=2
	v_lshlrev_b32_e32 v4, 2, v69
	ds_read_b32 v4, v4
	v_add_u32_e32 v13, v0, v51
	ds_read_b64 v[13:14], v13 offset:7168
	v_mov_b32_e32 v16, v3
	v_mov_b32_e32 v17, s65
	s_waitcnt lgkmcnt(1)
	v_add_u32_e32 v15, v4, v21
	v_lshlrev_b64 v[15:16], 3, v[15:16]
	v_add_co_u32_e32 v15, vcc, s64, v15
	v_addc_co_u32_e32 v16, vcc, v17, v16, vcc
	s_waitcnt lgkmcnt(0)
	global_store_dwordx2 v[15:16], v[13:14], off
.LBB88_299:                             ;   in Loop: Header=BB88_250 Depth=2
	s_or_b64 exec, exec, s[38:39]
	s_waitcnt vmcnt(0)
	s_barrier
	s_and_saveexec_b64 s[38:39], s[4:5]
	s_cbranch_execz .LBB88_249
; %bb.300:                              ;   in Loop: Header=BB88_250 Depth=2
	ds_read_b32 v4, v18
	s_waitcnt lgkmcnt(0)
	v_add_u32_e32 v4, v4, v78
	ds_write_b32 v18, v4
	s_branch .LBB88_249
.LBB88_301:                             ;   in Loop: Header=BB88_250 Depth=2
	ds_read_u8 v16, v0 offset:1024
	s_waitcnt lgkmcnt(0)
	v_lshrrev_b32_sdwa v17, s69, v16 dst_sel:DWORD dst_unused:UNUSED_PAD src0_sel:DWORD src1_sel:BYTE_0
	v_and_b32_e32 v17, s58, v17
	v_lshlrev_b32_e32 v17, 2, v17
	ds_read_b32 v17, v17
	v_xor_b32_e32 v16, -1, v16
	s_waitcnt lgkmcnt(0)
	v_add_u32_e32 v17, v17, v0
	global_store_byte v17, v16, s[50:51]
	s_or_b64 exec, exec, s[38:39]
	v_cmp_lt_u32_e64 s[40:41], v19, v74
	s_and_saveexec_b64 s[38:39], s[40:41]
	s_cbranch_execz .LBB88_282
.LBB88_302:                             ;   in Loop: Header=BB88_250 Depth=2
	ds_read_u8 v16, v0 offset:1280
	s_waitcnt lgkmcnt(0)
	v_lshrrev_b32_sdwa v17, s69, v16 dst_sel:DWORD dst_unused:UNUSED_PAD src0_sel:DWORD src1_sel:BYTE_0
	v_and_b32_e32 v17, s58, v17
	v_lshlrev_b32_e32 v17, 2, v17
	ds_read_b32 v17, v17
	v_xor_b32_e32 v16, -1, v16
	s_waitcnt lgkmcnt(0)
	v_add_u32_e32 v17, v17, v19
	global_store_byte v17, v16, s[50:51]
	s_or_b64 exec, exec, s[38:39]
	v_cmp_lt_u32_e64 s[38:39], v20, v74
	s_and_saveexec_b64 s[44:45], s[38:39]
	s_cbranch_execz .LBB88_283
.LBB88_303:                             ;   in Loop: Header=BB88_250 Depth=2
	ds_read_u8 v16, v0 offset:1536
	s_waitcnt lgkmcnt(0)
	v_lshrrev_b32_sdwa v17, s69, v16 dst_sel:DWORD dst_unused:UNUSED_PAD src0_sel:DWORD src1_sel:BYTE_0
	v_and_b32_e32 v17, s58, v17
	v_lshlrev_b32_e32 v17, 2, v17
	ds_read_b32 v17, v17
	v_xor_b32_e32 v16, -1, v16
	s_waitcnt lgkmcnt(0)
	v_add_u32_e32 v17, v17, v20
	global_store_byte v17, v16, s[50:51]
	s_or_b64 exec, exec, s[44:45]
	v_cmp_lt_u32_e32 vcc, v21, v74
	s_and_saveexec_b64 s[44:45], vcc
	s_cbranch_execnz .LBB88_284
	s_branch .LBB88_285
.LBB88_304:                             ;   in Loop: Header=BB88_250 Depth=2
	global_load_dwordx2 v[11:12], v[16:17], off
	s_or_b64 exec, exec, s[44:45]
	v_cmp_lt_u32_e64 s[44:45], v61, v74
	s_and_saveexec_b64 s[54:55], s[44:45]
	s_cbranch_execz .LBB88_287
.LBB88_305:                             ;   in Loop: Header=BB88_250 Depth=2
	global_load_dwordx2 v[9:10], v[16:17], off offset:512
	s_or_b64 exec, exec, s[54:55]
	v_cmp_lt_u32_e64 s[44:45], v62, v74
	s_and_saveexec_b64 s[54:55], s[44:45]
	s_cbranch_execz .LBB88_288
.LBB88_306:                             ;   in Loop: Header=BB88_250 Depth=2
	global_load_dwordx2 v[7:8], v[16:17], off offset:1024
	s_or_b64 exec, exec, s[54:55]
	v_cmp_lt_u32_e64 s[44:45], v63, v74
	s_and_saveexec_b64 s[54:55], s[44:45]
	s_cbranch_execz .LBB88_289
.LBB88_307:                             ;   in Loop: Header=BB88_250 Depth=2
	global_load_dwordx2 v[5:6], v[16:17], off offset:1536
	s_or_b64 exec, exec, s[54:55]
	s_and_saveexec_b64 s[44:45], s[42:43]
	s_cbranch_execz .LBB88_290
.LBB88_308:                             ;   in Loop: Header=BB88_250 Depth=2
	ds_read_u8 v16, v0 offset:1024
	s_waitcnt lgkmcnt(0)
	v_lshrrev_b32_e32 v16, s69, v16
	v_and_b32_e32 v73, s58, v16
	s_or_b64 exec, exec, s[44:45]
	s_and_saveexec_b64 s[44:45], s[40:41]
	s_cbranch_execz .LBB88_291
.LBB88_309:                             ;   in Loop: Header=BB88_250 Depth=2
	ds_read_u8 v16, v0 offset:1280
	s_waitcnt lgkmcnt(0)
	v_lshrrev_b32_e32 v16, s69, v16
	v_and_b32_e32 v72, s58, v16
	s_or_b64 exec, exec, s[44:45]
	s_and_saveexec_b64 s[44:45], s[38:39]
	s_cbranch_execz .LBB88_292
.LBB88_310:                             ;   in Loop: Header=BB88_250 Depth=2
	ds_read_u8 v16, v0 offset:1536
	s_waitcnt lgkmcnt(0)
	v_lshrrev_b32_e32 v16, s69, v16
	v_and_b32_e32 v70, s58, v16
	s_or_b64 exec, exec, s[44:45]
	s_and_saveexec_b64 s[44:45], vcc
	s_cbranch_execnz .LBB88_293
	s_branch .LBB88_294
.LBB88_311:                             ;   in Loop: Header=BB88_250 Depth=2
	v_lshlrev_b32_e32 v4, 2, v73
	ds_read_b32 v4, v4
	v_add_u32_e32 v13, v0, v51
	ds_read_b64 v[13:14], v13 offset:1024
	v_mov_b32_e32 v16, v3
	v_mov_b32_e32 v17, s65
	s_waitcnt lgkmcnt(1)
	v_add_u32_e32 v15, v4, v0
	v_lshlrev_b64 v[15:16], 3, v[15:16]
	v_add_co_u32_e64 v15, s[42:43], s64, v15
	v_addc_co_u32_e64 v16, s[42:43], v17, v16, s[42:43]
	s_waitcnt lgkmcnt(0)
	global_store_dwordx2 v[15:16], v[13:14], off
	s_or_b64 exec, exec, s[44:45]
	s_and_saveexec_b64 s[42:43], s[40:41]
	s_cbranch_execz .LBB88_296
.LBB88_312:                             ;   in Loop: Header=BB88_250 Depth=2
	v_lshlrev_b32_e32 v4, 2, v72
	ds_read_b32 v4, v4
	v_add_u32_e32 v13, v0, v51
	ds_read_b64 v[13:14], v13 offset:3072
	v_mov_b32_e32 v16, v3
	v_mov_b32_e32 v17, s65
	s_waitcnt lgkmcnt(1)
	v_add_u32_e32 v15, v4, v19
	v_lshlrev_b64 v[15:16], 3, v[15:16]
	v_add_co_u32_e64 v15, s[40:41], s64, v15
	v_addc_co_u32_e64 v16, s[40:41], v17, v16, s[40:41]
	s_waitcnt lgkmcnt(0)
	global_store_dwordx2 v[15:16], v[13:14], off
	s_or_b64 exec, exec, s[42:43]
	s_and_saveexec_b64 s[40:41], s[38:39]
	s_cbranch_execz .LBB88_297
.LBB88_313:                             ;   in Loop: Header=BB88_250 Depth=2
	v_lshlrev_b32_e32 v4, 2, v70
	ds_read_b32 v4, v4
	v_add_u32_e32 v13, v0, v51
	ds_read_b64 v[13:14], v13 offset:5120
	v_mov_b32_e32 v16, v3
	v_mov_b32_e32 v17, s65
	s_waitcnt lgkmcnt(1)
	v_add_u32_e32 v15, v4, v20
	v_lshlrev_b64 v[15:16], 3, v[15:16]
	v_add_co_u32_e64 v15, s[38:39], s64, v15
	v_addc_co_u32_e64 v16, s[38:39], v17, v16, s[38:39]
	s_waitcnt lgkmcnt(0)
	global_store_dwordx2 v[15:16], v[13:14], off
	s_or_b64 exec, exec, s[40:41]
	s_and_saveexec_b64 s[38:39], vcc
	s_cbranch_execnz .LBB88_298
	s_branch .LBB88_299
.LBB88_314:                             ;   in Loop: Header=BB88_12 Depth=1
	s_waitcnt lgkmcnt(0)
	s_barrier
	s_mov_b64 s[18:19], 0
.LBB88_315:                             ;   in Loop: Header=BB88_12 Depth=1
	s_and_b64 vcc, exec, s[18:19]
	s_cbranch_vccz .LBB88_11
; %bb.316:                              ;   in Loop: Header=BB88_12 Depth=1
	v_mov_b32_e32 v4, 0
	s_mov_b32 s20, s71
	s_mov_b32 s22, s74
	v_mov_b32_e32 v7, 0
	v_mov_b32_e32 v6, 0
	v_mov_b32_e32 v5, 0
	s_barrier
	s_branch .LBB88_318
.LBB88_317:                             ;   in Loop: Header=BB88_318 Depth=2
	s_or_b64 exec, exec, s[18:19]
	s_addk_i32 s20, 0xfc00
	s_cmp_ge_u32 s21, s75
	s_mov_b32 s22, s21
	s_cbranch_scc1 .LBB88_338
.LBB88_318:                             ;   Parent Loop BB88_12 Depth=1
                                        ; =>  This Inner Loop Header: Depth=2
	s_add_i32 s21, s22, 0x400
	s_cmp_gt_u32 s21, s75
	s_mov_b64 s[18:19], -1
                                        ; implicit-def: $vgpr8
                                        ; implicit-def: $vgpr9
                                        ; implicit-def: $vgpr10
                                        ; implicit-def: $vgpr11
	s_cbranch_scc1 .LBB88_320
; %bb.319:                              ;   in Loop: Header=BB88_318 Depth=2
	v_add_co_u32_e32 v12, vcc, s22, v39
	v_addc_co_u32_e32 v13, vcc, 0, v40, vcc
	global_load_ubyte v11, v[12:13], off offset:768
	global_load_ubyte v10, v[12:13], off offset:512
	;; [unrolled: 1-line block ×3, first 2 shown]
	global_load_ubyte v8, v[12:13], off
	s_mov_b64 s[18:19], 0
.LBB88_320:                             ;   in Loop: Header=BB88_318 Depth=2
	s_andn2_b64 vcc, exec, s[18:19]
	s_movk_i32 s23, 0x400
	s_cbranch_vccnz .LBB88_327
; %bb.321:                              ;   in Loop: Header=BB88_318 Depth=2
	s_add_u32 s22, s48, s22
	s_addc_u32 s23, s49, 0
	v_cmp_gt_u32_e32 vcc, s20, v0
	s_and_saveexec_b64 s[18:19], vcc
	s_cbranch_execnz .LBB88_335
; %bb.322:                              ;   in Loop: Header=BB88_318 Depth=2
	s_or_b64 exec, exec, s[18:19]
	v_cmp_gt_u32_e32 vcc, s20, v19
	s_and_saveexec_b64 s[18:19], vcc
	s_cbranch_execnz .LBB88_336
.LBB88_323:                             ;   in Loop: Header=BB88_318 Depth=2
	s_or_b64 exec, exec, s[18:19]
	v_cmp_gt_u32_e32 vcc, s20, v20
	s_and_saveexec_b64 s[18:19], vcc
	s_cbranch_execnz .LBB88_337
.LBB88_324:                             ;   in Loop: Header=BB88_318 Depth=2
	s_or_b64 exec, exec, s[18:19]
	v_cmp_gt_u32_e32 vcc, s20, v21
	s_and_saveexec_b64 s[18:19], vcc
	s_cbranch_execz .LBB88_326
.LBB88_325:                             ;   in Loop: Header=BB88_318 Depth=2
	v_mov_b32_e32 v5, s23
	s_waitcnt vmcnt(0)
	v_add_co_u32_e32 v8, vcc, s22, v0
	v_addc_co_u32_e32 v9, vcc, 0, v5, vcc
	global_load_ubyte v5, v[8:9], off offset:768
.LBB88_326:                             ;   in Loop: Header=BB88_318 Depth=2
	s_or_b64 exec, exec, s[18:19]
	s_mov_b32 s23, s20
	s_waitcnt vmcnt(0)
	v_mov_b32_e32 v8, v4
	v_mov_b32_e32 v9, v7
	;; [unrolled: 1-line block ×4, first 2 shown]
.LBB88_327:                             ;   in Loop: Header=BB88_318 Depth=2
	s_waitcnt vmcnt(3)
	v_mov_b32_e32 v5, v11
	s_waitcnt vmcnt(2)
	v_mov_b32_e32 v6, v10
	;; [unrolled: 2-line block ×4, first 2 shown]
	v_cmp_gt_u32_e32 vcc, s23, v0
	s_and_saveexec_b64 s[18:19], vcc
	s_cbranch_execnz .LBB88_331
; %bb.328:                              ;   in Loop: Header=BB88_318 Depth=2
	s_or_b64 exec, exec, s[18:19]
	v_cmp_gt_u32_e32 vcc, s23, v19
	s_and_saveexec_b64 s[18:19], vcc
	s_cbranch_execnz .LBB88_332
.LBB88_329:                             ;   in Loop: Header=BB88_318 Depth=2
	s_or_b64 exec, exec, s[18:19]
	v_cmp_gt_u32_e32 vcc, s23, v20
	s_and_saveexec_b64 s[18:19], vcc
	s_cbranch_execnz .LBB88_333
.LBB88_330:                             ;   in Loop: Header=BB88_318 Depth=2
	s_or_b64 exec, exec, s[18:19]
	v_cmp_gt_u32_e32 vcc, s23, v21
	s_and_saveexec_b64 s[18:19], vcc
	s_cbranch_execz .LBB88_317
	s_branch .LBB88_334
.LBB88_331:                             ;   in Loop: Header=BB88_318 Depth=2
	v_xor_b32_e32 v8, -1, v4
	v_lshrrev_b32_sdwa v8, s69, v8 dst_sel:DWORD dst_unused:UNUSED_PAD src0_sel:DWORD src1_sel:BYTE_0
	v_and_b32_e32 v8, s58, v8
	v_lshl_or_b32 v8, v8, 4, v24
	ds_add_u32 v8, v52
	s_or_b64 exec, exec, s[18:19]
	v_cmp_gt_u32_e32 vcc, s23, v19
	s_and_saveexec_b64 s[18:19], vcc
	s_cbranch_execz .LBB88_329
.LBB88_332:                             ;   in Loop: Header=BB88_318 Depth=2
	v_xor_b32_e32 v8, -1, v7
	v_lshrrev_b32_sdwa v8, s69, v8 dst_sel:DWORD dst_unused:UNUSED_PAD src0_sel:DWORD src1_sel:BYTE_0
	v_and_b32_e32 v8, s58, v8
	v_lshl_or_b32 v8, v8, 4, v24
	ds_add_u32 v8, v52
	s_or_b64 exec, exec, s[18:19]
	v_cmp_gt_u32_e32 vcc, s23, v20
	s_and_saveexec_b64 s[18:19], vcc
	s_cbranch_execz .LBB88_330
.LBB88_333:                             ;   in Loop: Header=BB88_318 Depth=2
	v_xor_b32_e32 v8, -1, v6
	v_lshrrev_b32_sdwa v8, s69, v8 dst_sel:DWORD dst_unused:UNUSED_PAD src0_sel:DWORD src1_sel:BYTE_0
	v_and_b32_e32 v8, s58, v8
	v_lshl_or_b32 v8, v8, 4, v24
	ds_add_u32 v8, v52
	s_or_b64 exec, exec, s[18:19]
	v_cmp_gt_u32_e32 vcc, s23, v21
	s_and_saveexec_b64 s[18:19], vcc
	s_cbranch_execz .LBB88_317
.LBB88_334:                             ;   in Loop: Header=BB88_318 Depth=2
	v_xor_b32_e32 v8, -1, v5
	v_lshrrev_b32_sdwa v8, s69, v8 dst_sel:DWORD dst_unused:UNUSED_PAD src0_sel:DWORD src1_sel:BYTE_0
	v_and_b32_e32 v8, s58, v8
	v_lshl_or_b32 v8, v8, 4, v24
	ds_add_u32 v8, v52
	s_branch .LBB88_317
.LBB88_335:                             ;   in Loop: Header=BB88_318 Depth=2
	v_mov_b32_e32 v4, s23
	s_waitcnt vmcnt(0)
	v_add_co_u32_e32 v8, vcc, s22, v0
	v_addc_co_u32_e32 v9, vcc, 0, v4, vcc
	global_load_ubyte v4, v[8:9], off
	s_or_b64 exec, exec, s[18:19]
	v_cmp_gt_u32_e32 vcc, s20, v19
	s_and_saveexec_b64 s[18:19], vcc
	s_cbranch_execz .LBB88_323
.LBB88_336:                             ;   in Loop: Header=BB88_318 Depth=2
	s_waitcnt vmcnt(0)
	v_mov_b32_e32 v8, s23
	v_add_co_u32_e32 v7, vcc, s22, v0
	v_addc_co_u32_e32 v8, vcc, 0, v8, vcc
	global_load_ubyte v7, v[7:8], off offset:256
	s_or_b64 exec, exec, s[18:19]
	v_cmp_gt_u32_e32 vcc, s20, v20
	s_and_saveexec_b64 s[18:19], vcc
	s_cbranch_execz .LBB88_324
.LBB88_337:                             ;   in Loop: Header=BB88_318 Depth=2
	v_mov_b32_e32 v6, s23
	s_waitcnt vmcnt(0)
	v_add_co_u32_e32 v8, vcc, s22, v0
	v_addc_co_u32_e32 v9, vcc, 0, v6, vcc
	global_load_ubyte v6, v[8:9], off offset:512
	s_or_b64 exec, exec, s[18:19]
	v_cmp_gt_u32_e32 vcc, s20, v21
	s_and_saveexec_b64 s[18:19], vcc
	s_cbranch_execnz .LBB88_325
	s_branch .LBB88_326
.LBB88_338:                             ;   in Loop: Header=BB88_12 Depth=1
	v_mov_b32_e32 v4, 0
	s_waitcnt lgkmcnt(0)
	s_barrier
	s_and_saveexec_b64 s[18:19], s[4:5]
	s_cbranch_execz .LBB88_340
; %bb.339:                              ;   in Loop: Header=BB88_12 Depth=1
	ds_read2_b64 v[4:7], v25 offset1:1
	s_waitcnt lgkmcnt(0)
	v_add_u32_e32 v4, v5, v4
	v_add3_u32 v4, v4, v6, v7
.LBB88_340:                             ;   in Loop: Header=BB88_12 Depth=1
	s_or_b64 exec, exec, s[18:19]
	s_nop 0
	v_mov_b32_dpp v5, v4 row_shr:1 row_mask:0xf bank_mask:0xf
	v_cmp_eq_u32_e64 s[18:19], 0, v55
	v_cndmask_b32_e64 v5, v5, 0, s[18:19]
	v_add_u32_e32 v4, v5, v4
	v_cmp_lt_u32_e64 s[20:21], 1, v55
	v_cmp_lt_u32_e64 s[22:23], 3, v55
	v_mov_b32_dpp v5, v4 row_shr:2 row_mask:0xf bank_mask:0xf
	v_cndmask_b32_e64 v5, 0, v5, s[20:21]
	v_add_u32_e32 v4, v4, v5
	v_cmp_lt_u32_e64 s[24:25], 7, v55
	v_cmp_lt_u32_e64 s[28:29], 31, v45
	v_mov_b32_dpp v5, v4 row_shr:4 row_mask:0xf bank_mask:0xf
	v_cndmask_b32_e64 v5, 0, v5, s[22:23]
	v_add_u32_e32 v4, v4, v5
	v_cmp_eq_u32_e64 s[26:27], 0, v57
	s_nop 0
	v_mov_b32_dpp v5, v4 row_shr:8 row_mask:0xf bank_mask:0xf
	v_cndmask_b32_e64 v5, 0, v5, s[24:25]
	v_add_u32_e32 v4, v4, v5
	s_nop 1
	v_mov_b32_dpp v5, v4 row_bcast:15 row_mask:0xf bank_mask:0xf
	v_and_b32_e32 v5, v56, v5
	v_add_u32_e32 v4, v4, v5
	s_nop 1
	v_mov_b32_dpp v5, v4 row_bcast:31 row_mask:0xf bank_mask:0xf
	v_cndmask_b32_e64 v5, 0, v5, s[28:29]
	v_add_u32_e32 v4, v4, v5
	s_and_saveexec_b64 s[30:31], s[8:9]
; %bb.341:                              ;   in Loop: Header=BB88_12 Depth=1
	ds_write_b32 v27, v4
; %bb.342:                              ;   in Loop: Header=BB88_12 Depth=1
	s_or_b64 exec, exec, s[30:31]
	s_waitcnt lgkmcnt(0)
	s_barrier
	s_and_saveexec_b64 s[30:31], s[10:11]
	s_cbranch_execz .LBB88_344
; %bb.343:                              ;   in Loop: Header=BB88_12 Depth=1
	ds_read_b32 v5, v48
	v_cmp_ne_u32_e32 vcc, 0, v58
	s_waitcnt lgkmcnt(0)
	v_mov_b32_dpp v6, v5 row_shr:1 row_mask:0xf bank_mask:0xf
	v_cndmask_b32_e32 v6, 0, v6, vcc
	v_add_u32_e32 v5, v6, v5
	v_cmp_lt_u32_e32 vcc, 1, v58
	s_nop 0
	v_mov_b32_dpp v6, v5 row_shr:2 row_mask:0xf bank_mask:0xf
	v_cndmask_b32_e32 v6, 0, v6, vcc
	v_add_u32_e32 v5, v5, v6
	ds_write_b32 v48, v5
.LBB88_344:                             ;   in Loop: Header=BB88_12 Depth=1
	s_or_b64 exec, exec, s[30:31]
	v_mov_b32_e32 v5, 0
	s_waitcnt lgkmcnt(0)
	s_barrier
	s_and_saveexec_b64 s[30:31], s[12:13]
; %bb.345:                              ;   in Loop: Header=BB88_12 Depth=1
	ds_read_b32 v5, v49
; %bb.346:                              ;   in Loop: Header=BB88_12 Depth=1
	s_or_b64 exec, exec, s[30:31]
	v_subrev_co_u32_e64 v6, s[30:31], 1, v45
	v_cmp_lt_i32_e32 vcc, v6, v59
	v_cndmask_b32_e32 v6, v6, v45, vcc
	s_waitcnt lgkmcnt(0)
	v_add_u32_e32 v4, v5, v4
	v_lshlrev_b32_e32 v64, 2, v6
	ds_bpermute_b32 v4, v64, v4
	s_waitcnt lgkmcnt(0)
	s_barrier
	s_and_saveexec_b64 s[34:35], s[4:5]
; %bb.347:                              ;   in Loop: Header=BB88_12 Depth=1
	v_cndmask_b32_e64 v4, v4, v5, s[30:31]
	v_add_u32_e32 v4, s74, v4
	ds_write_b32 v18, v4
; %bb.348:                              ;   in Loop: Header=BB88_12 Depth=1
	s_or_b64 exec, exec, s[34:35]
	s_load_dwordx2 s[34:35], s[46:47], 0x0
	v_add_co_u32_e32 v65, vcc, v41, v60
	v_addc_co_u32_e32 v66, vcc, 0, v42, vcc
	s_waitcnt lgkmcnt(0)
	s_cmp_lt_u32 s33, s35
	s_cselect_b32 s35, 14, 20
	s_add_u32 s36, s46, s35
	s_addc_u32 s37, s47, 0
	s_cmp_lt_u32 s6, s34
	s_cselect_b32 s34, 12, 18
	s_add_u32 s34, s46, s34
	global_load_ushort v4, v3, s[36:37]
	s_addc_u32 s35, s47, 0
	global_load_ushort v5, v3, s[34:35]
	v_add_co_u32_e32 v67, vcc, v43, v46
	v_cmp_eq_u32_e64 s[34:35], 0, v58
	v_cmp_lt_u32_e64 s[36:37], 1, v58
	v_addc_co_u32_e32 v68, vcc, 0, v44, vcc
	s_mov_b32 s59, s71
	s_mov_b32 s56, s74
                                        ; implicit-def: $vgpr7_vgpr8
                                        ; implicit-def: $vgpr9_vgpr10
                                        ; implicit-def: $vgpr11_vgpr12
                                        ; implicit-def: $vgpr69
                                        ; implicit-def: $vgpr70
                                        ; implicit-def: $vgpr72
                                        ; implicit-def: $vgpr73
	s_waitcnt vmcnt(1)
	v_mad_u32_u24 v4, v2, v4, v1
	s_waitcnt vmcnt(0)
	v_mad_u64_u32 v[4:5], s[38:39], v4, v5, v[0:1]
                                        ; implicit-def: $vgpr5_vgpr6
	v_lshrrev_b32_e32 v4, 4, v4
	v_and_b32_e32 v71, 0xffffffc, v4
	s_branch .LBB88_350
.LBB88_349:                             ;   in Loop: Header=BB88_350 Depth=2
	s_or_b64 exec, exec, s[38:39]
	s_addk_i32 s59, 0xfc00
	s_cmp_lt_u32 s60, s75
	s_mov_b32 s56, s60
	s_cbranch_scc0 .LBB88_10
.LBB88_350:                             ;   Parent Loop BB88_12 Depth=1
                                        ; =>  This Inner Loop Header: Depth=2
	s_add_i32 s60, s56, 0x400
	s_cmp_gt_u32 s60, s75
	s_cbranch_scc1 .LBB88_352
; %bb.351:                              ;   in Loop: Header=BB88_350 Depth=2
	v_add_co_u32_e32 v13, vcc, s56, v67
	v_addc_co_u32_e32 v14, vcc, 0, v68, vcc
	global_load_ubyte v16, v[13:14], off offset:128
	global_load_ubyte v76, v[13:14], off offset:64
	global_load_ubyte v4, v[13:14], off
	s_mov_b64 s[38:39], -1
	s_movk_i32 s42, 0x400
                                        ; implicit-def: $vgpr15
	s_cbranch_execz .LBB88_353
	s_branch .LBB88_360
.LBB88_352:                             ;   in Loop: Header=BB88_350 Depth=2
	s_mov_b64 s[38:39], 0
                                        ; implicit-def: $vgpr4
                                        ; implicit-def: $vgpr76
                                        ; implicit-def: $vgpr16
	s_movk_i32 s42, 0x400
                                        ; implicit-def: $vgpr15
.LBB88_353:                             ;   in Loop: Header=BB88_350 Depth=2
	v_add_co_u32_e32 v13, vcc, s56, v67
	v_addc_co_u32_e32 v14, vcc, 0, v68, vcc
	v_cmp_gt_u32_e32 vcc, s59, v47
	s_waitcnt vmcnt(2)
	v_mov_b32_e32 v16, 0
	s_waitcnt vmcnt(0)
	v_mov_b32_e32 v4, 0
	v_mov_b32_e32 v15, 0
	s_and_saveexec_b64 s[38:39], vcc
	s_cbranch_execz .LBB88_355
; %bb.354:                              ;   in Loop: Header=BB88_350 Depth=2
	global_load_ubyte v4, v[13:14], off
	v_mov_b32_e32 v15, 0
.LBB88_355:                             ;   in Loop: Header=BB88_350 Depth=2
	s_or_b64 exec, exec, s[38:39]
	v_cmp_gt_u32_e32 vcc, s59, v61
	v_mov_b32_e32 v76, v16
	s_and_saveexec_b64 s[38:39], vcc
	s_cbranch_execz .LBB88_357
; %bb.356:                              ;   in Loop: Header=BB88_350 Depth=2
	global_load_ubyte v76, v[13:14], off offset:64
.LBB88_357:                             ;   in Loop: Header=BB88_350 Depth=2
	s_or_b64 exec, exec, s[38:39]
	v_cmp_gt_u32_e32 vcc, s59, v62
	s_and_saveexec_b64 s[38:39], vcc
	s_cbranch_execz .LBB88_359
; %bb.358:                              ;   in Loop: Header=BB88_350 Depth=2
	global_load_ubyte v16, v[13:14], off offset:128
.LBB88_359:                             ;   in Loop: Header=BB88_350 Depth=2
	s_or_b64 exec, exec, s[38:39]
	s_sub_i32 s42, s75, s56
	v_cmp_gt_u32_e64 s[38:39], s59, v63
.LBB88_360:                             ;   in Loop: Header=BB88_350 Depth=2
	v_mov_b32_e32 v74, s59
	s_and_saveexec_b64 s[40:41], s[38:39]
	s_cbranch_execz .LBB88_362
; %bb.361:                              ;   in Loop: Header=BB88_350 Depth=2
	v_mov_b32_e32 v14, s57
	v_add_co_u32_e32 v13, vcc, s56, v67
	v_addc_co_u32_e32 v14, vcc, v68, v14, vcc
	global_load_ubyte v15, v[13:14], off offset:192
	v_mov_b32_e32 v74, s42
.LBB88_362:                             ;   in Loop: Header=BB88_350 Depth=2
	s_or_b64 exec, exec, s[40:41]
	s_waitcnt vmcnt(0)
	v_xor_b32_e32 v17, -1, v4
	v_lshrrev_b32_sdwa v4, s69, v17 dst_sel:DWORD dst_unused:UNUSED_PAD src0_sel:DWORD src1_sel:BYTE_0
	v_and_b32_e32 v13, s58, v4
	v_and_b32_e32 v4, 1, v13
	v_add_co_u32_e32 v14, vcc, -1, v4
	v_addc_co_u32_e64 v75, s[38:39], 0, -1, vcc
	v_cmp_ne_u32_e32 vcc, 0, v4
	v_xor_b32_e32 v4, vcc_hi, v75
	v_and_b32_e32 v75, exec_hi, v4
	v_lshlrev_b32_e32 v4, 30, v13
	v_xor_b32_e32 v14, vcc_lo, v14
	v_cmp_gt_i64_e32 vcc, 0, v[3:4]
	v_not_b32_e32 v4, v4
	v_ashrrev_i32_e32 v4, 31, v4
	v_and_b32_e32 v14, exec_lo, v14
	v_xor_b32_e32 v78, vcc_hi, v4
	v_xor_b32_e32 v4, vcc_lo, v4
	v_and_b32_e32 v14, v14, v4
	v_lshlrev_b32_e32 v4, 29, v13
	v_cmp_gt_i64_e32 vcc, 0, v[3:4]
	v_not_b32_e32 v4, v4
	v_ashrrev_i32_e32 v4, 31, v4
	v_and_b32_e32 v75, v75, v78
	v_xor_b32_e32 v78, vcc_hi, v4
	v_xor_b32_e32 v4, vcc_lo, v4
	v_and_b32_e32 v14, v14, v4
	v_lshlrev_b32_e32 v4, 28, v13
	v_cmp_gt_i64_e32 vcc, 0, v[3:4]
	v_not_b32_e32 v4, v4
	v_ashrrev_i32_e32 v4, 31, v4
	v_and_b32_e32 v75, v75, v78
	;; [unrolled: 8-line block ×5, first 2 shown]
	v_xor_b32_e32 v78, vcc_hi, v4
	v_xor_b32_e32 v4, vcc_lo, v4
	v_and_b32_e32 v75, v75, v78
	v_and_b32_e32 v78, v14, v4
	v_lshlrev_b32_e32 v4, 24, v13
	v_cmp_gt_i64_e32 vcc, 0, v[3:4]
	v_not_b32_e32 v4, v4
	v_ashrrev_i32_e32 v4, 31, v4
	v_mul_u32_u24_e32 v77, 20, v13
	v_xor_b32_e32 v13, vcc_hi, v4
	v_xor_b32_e32 v4, vcc_lo, v4
	v_and_b32_e32 v14, v75, v13
	v_and_b32_e32 v13, v78, v4
	v_mbcnt_lo_u32_b32 v4, v13, 0
	v_mbcnt_hi_u32_b32 v75, v14, v4
	v_cmp_ne_u64_e32 vcc, 0, v[13:14]
	v_cmp_eq_u32_e64 s[38:39], 0, v75
	s_and_b64 s[40:41], vcc, s[38:39]
	v_add_u32_e32 v78, v71, v77
	ds_write2_b32 v53, v3, v3 offset1:1
	ds_write2_b32 v54, v3, v3 offset1:1
	ds_write_b32 v50, v3 offset:1056
	s_waitcnt lgkmcnt(0)
	s_barrier
	; wave barrier
	s_and_saveexec_b64 s[38:39], s[40:41]
; %bb.363:                              ;   in Loop: Header=BB88_350 Depth=2
	v_bcnt_u32_b32 v4, v13, 0
	v_bcnt_u32_b32 v4, v14, v4
	ds_write_b32 v78, v4 offset:1040
; %bb.364:                              ;   in Loop: Header=BB88_350 Depth=2
	s_or_b64 exec, exec, s[38:39]
	v_xor_b32_e32 v76, -1, v76
	v_lshrrev_b32_sdwa v4, s69, v76 dst_sel:DWORD dst_unused:UNUSED_PAD src0_sel:DWORD src1_sel:BYTE_0
	v_and_b32_e32 v13, s58, v4
	v_mad_u32_u24 v4, v13, 20, v71
	; wave barrier
	ds_read_b32 v77, v4 offset:1040
	v_and_b32_e32 v4, 1, v13
	v_add_co_u32_e32 v14, vcc, -1, v4
	v_addc_co_u32_e64 v79, s[38:39], 0, -1, vcc
	v_cmp_ne_u32_e32 vcc, 0, v4
	v_xor_b32_e32 v4, vcc_hi, v79
	v_and_b32_e32 v79, exec_hi, v4
	v_lshlrev_b32_e32 v4, 30, v13
	v_xor_b32_e32 v14, vcc_lo, v14
	v_cmp_gt_i64_e32 vcc, 0, v[3:4]
	v_not_b32_e32 v4, v4
	v_ashrrev_i32_e32 v4, 31, v4
	v_and_b32_e32 v14, exec_lo, v14
	v_xor_b32_e32 v81, vcc_hi, v4
	v_xor_b32_e32 v4, vcc_lo, v4
	v_and_b32_e32 v14, v14, v4
	v_lshlrev_b32_e32 v4, 29, v13
	v_cmp_gt_i64_e32 vcc, 0, v[3:4]
	v_not_b32_e32 v4, v4
	v_ashrrev_i32_e32 v4, 31, v4
	v_and_b32_e32 v79, v79, v81
	v_xor_b32_e32 v81, vcc_hi, v4
	v_xor_b32_e32 v4, vcc_lo, v4
	v_and_b32_e32 v14, v14, v4
	v_lshlrev_b32_e32 v4, 28, v13
	v_cmp_gt_i64_e32 vcc, 0, v[3:4]
	v_not_b32_e32 v4, v4
	v_ashrrev_i32_e32 v4, 31, v4
	v_and_b32_e32 v79, v79, v81
	;; [unrolled: 8-line block ×5, first 2 shown]
	v_xor_b32_e32 v81, vcc_hi, v4
	v_xor_b32_e32 v4, vcc_lo, v4
	v_and_b32_e32 v79, v79, v81
	v_and_b32_e32 v81, v14, v4
	v_lshlrev_b32_e32 v4, 24, v13
	v_cmp_gt_i64_e32 vcc, 0, v[3:4]
	v_not_b32_e32 v4, v4
	v_ashrrev_i32_e32 v4, 31, v4
	v_mul_u32_u24_e32 v80, 20, v13
	v_xor_b32_e32 v13, vcc_hi, v4
	v_xor_b32_e32 v4, vcc_lo, v4
	v_and_b32_e32 v14, v79, v13
	v_and_b32_e32 v13, v81, v4
	v_mbcnt_lo_u32_b32 v4, v13, 0
	v_mbcnt_hi_u32_b32 v79, v14, v4
	v_cmp_ne_u64_e32 vcc, 0, v[13:14]
	v_cmp_eq_u32_e64 s[38:39], 0, v79
	s_and_b64 s[40:41], vcc, s[38:39]
	v_add_u32_e32 v82, v71, v80
	; wave barrier
	s_and_saveexec_b64 s[38:39], s[40:41]
	s_cbranch_execz .LBB88_366
; %bb.365:                              ;   in Loop: Header=BB88_350 Depth=2
	v_bcnt_u32_b32 v4, v13, 0
	v_bcnt_u32_b32 v4, v14, v4
	s_waitcnt lgkmcnt(0)
	v_add_u32_e32 v4, v77, v4
	ds_write_b32 v82, v4 offset:1040
.LBB88_366:                             ;   in Loop: Header=BB88_350 Depth=2
	s_or_b64 exec, exec, s[38:39]
	v_xor_b32_e32 v80, -1, v16
	v_lshrrev_b32_sdwa v4, s69, v80 dst_sel:DWORD dst_unused:UNUSED_PAD src0_sel:DWORD src1_sel:BYTE_0
	v_and_b32_e32 v13, s58, v4
	v_mad_u32_u24 v4, v13, 20, v71
	; wave barrier
	ds_read_b32 v81, v4 offset:1040
	v_and_b32_e32 v4, 1, v13
	v_add_co_u32_e32 v14, vcc, -1, v4
	v_addc_co_u32_e64 v83, s[38:39], 0, -1, vcc
	v_cmp_ne_u32_e32 vcc, 0, v4
	v_xor_b32_e32 v4, vcc_hi, v83
	v_and_b32_e32 v83, exec_hi, v4
	v_lshlrev_b32_e32 v4, 30, v13
	v_xor_b32_e32 v14, vcc_lo, v14
	v_cmp_gt_i64_e32 vcc, 0, v[3:4]
	v_not_b32_e32 v4, v4
	v_ashrrev_i32_e32 v4, 31, v4
	v_and_b32_e32 v14, exec_lo, v14
	v_xor_b32_e32 v84, vcc_hi, v4
	v_xor_b32_e32 v4, vcc_lo, v4
	v_and_b32_e32 v14, v14, v4
	v_lshlrev_b32_e32 v4, 29, v13
	v_cmp_gt_i64_e32 vcc, 0, v[3:4]
	v_not_b32_e32 v4, v4
	v_ashrrev_i32_e32 v4, 31, v4
	v_and_b32_e32 v83, v83, v84
	v_xor_b32_e32 v84, vcc_hi, v4
	v_xor_b32_e32 v4, vcc_lo, v4
	v_and_b32_e32 v14, v14, v4
	v_lshlrev_b32_e32 v4, 28, v13
	v_cmp_gt_i64_e32 vcc, 0, v[3:4]
	v_not_b32_e32 v4, v4
	v_ashrrev_i32_e32 v4, 31, v4
	v_and_b32_e32 v83, v83, v84
	;; [unrolled: 8-line block ×5, first 2 shown]
	v_xor_b32_e32 v84, vcc_hi, v4
	v_xor_b32_e32 v4, vcc_lo, v4
	v_and_b32_e32 v83, v83, v84
	v_and_b32_e32 v84, v14, v4
	v_lshlrev_b32_e32 v4, 24, v13
	v_cmp_gt_i64_e32 vcc, 0, v[3:4]
	v_not_b32_e32 v4, v4
	v_ashrrev_i32_e32 v4, 31, v4
	v_mul_u32_u24_e32 v16, 20, v13
	v_xor_b32_e32 v13, vcc_hi, v4
	v_xor_b32_e32 v4, vcc_lo, v4
	v_and_b32_e32 v14, v83, v13
	v_and_b32_e32 v13, v84, v4
	v_mbcnt_lo_u32_b32 v4, v13, 0
	v_mbcnt_hi_u32_b32 v83, v14, v4
	v_cmp_ne_u64_e32 vcc, 0, v[13:14]
	v_cmp_eq_u32_e64 s[38:39], 0, v83
	s_and_b64 s[40:41], vcc, s[38:39]
	v_add_u32_e32 v86, v71, v16
	; wave barrier
	s_and_saveexec_b64 s[38:39], s[40:41]
	s_cbranch_execz .LBB88_368
; %bb.367:                              ;   in Loop: Header=BB88_350 Depth=2
	v_bcnt_u32_b32 v4, v13, 0
	v_bcnt_u32_b32 v4, v14, v4
	s_waitcnt lgkmcnt(0)
	v_add_u32_e32 v4, v81, v4
	ds_write_b32 v86, v4 offset:1040
.LBB88_368:                             ;   in Loop: Header=BB88_350 Depth=2
	s_or_b64 exec, exec, s[38:39]
	v_xor_b32_e32 v84, -1, v15
	v_lshrrev_b32_sdwa v4, s69, v84 dst_sel:DWORD dst_unused:UNUSED_PAD src0_sel:DWORD src1_sel:BYTE_0
	v_and_b32_e32 v13, s58, v4
	v_mad_u32_u24 v4, v13, 20, v71
	; wave barrier
	ds_read_b32 v85, v4 offset:1040
	v_and_b32_e32 v4, 1, v13
	v_add_co_u32_e32 v14, vcc, -1, v4
	v_addc_co_u32_e64 v16, s[38:39], 0, -1, vcc
	v_cmp_ne_u32_e32 vcc, 0, v4
	v_xor_b32_e32 v4, vcc_hi, v16
	v_and_b32_e32 v16, exec_hi, v4
	v_lshlrev_b32_e32 v4, 30, v13
	v_xor_b32_e32 v14, vcc_lo, v14
	v_cmp_gt_i64_e32 vcc, 0, v[3:4]
	v_not_b32_e32 v4, v4
	v_ashrrev_i32_e32 v4, 31, v4
	v_and_b32_e32 v14, exec_lo, v14
	v_xor_b32_e32 v87, vcc_hi, v4
	v_xor_b32_e32 v4, vcc_lo, v4
	v_and_b32_e32 v14, v14, v4
	v_lshlrev_b32_e32 v4, 29, v13
	v_cmp_gt_i64_e32 vcc, 0, v[3:4]
	v_not_b32_e32 v4, v4
	v_ashrrev_i32_e32 v4, 31, v4
	v_and_b32_e32 v16, v16, v87
	v_xor_b32_e32 v87, vcc_hi, v4
	v_xor_b32_e32 v4, vcc_lo, v4
	v_and_b32_e32 v14, v14, v4
	v_lshlrev_b32_e32 v4, 28, v13
	v_cmp_gt_i64_e32 vcc, 0, v[3:4]
	v_not_b32_e32 v4, v4
	v_ashrrev_i32_e32 v4, 31, v4
	v_and_b32_e32 v16, v16, v87
	;; [unrolled: 8-line block ×5, first 2 shown]
	v_xor_b32_e32 v87, vcc_hi, v4
	v_xor_b32_e32 v4, vcc_lo, v4
	v_and_b32_e32 v16, v16, v87
	v_and_b32_e32 v87, v14, v4
	v_lshlrev_b32_e32 v4, 24, v13
	v_cmp_gt_i64_e32 vcc, 0, v[3:4]
	v_not_b32_e32 v4, v4
	v_ashrrev_i32_e32 v4, 31, v4
	v_mul_u32_u24_e32 v15, 20, v13
	v_xor_b32_e32 v13, vcc_hi, v4
	v_xor_b32_e32 v4, vcc_lo, v4
	v_and_b32_e32 v14, v16, v13
	v_and_b32_e32 v13, v87, v4
	v_mbcnt_lo_u32_b32 v4, v13, 0
	v_mbcnt_hi_u32_b32 v4, v14, v4
	v_cmp_ne_u64_e32 vcc, 0, v[13:14]
	v_cmp_eq_u32_e64 s[38:39], 0, v4
	s_and_b64 s[40:41], vcc, s[38:39]
	v_add_u32_e32 v87, v71, v15
	; wave barrier
	s_and_saveexec_b64 s[38:39], s[40:41]
	s_cbranch_execz .LBB88_370
; %bb.369:                              ;   in Loop: Header=BB88_350 Depth=2
	v_bcnt_u32_b32 v13, v13, 0
	v_bcnt_u32_b32 v13, v14, v13
	s_waitcnt lgkmcnt(0)
	v_add_u32_e32 v13, v85, v13
	ds_write_b32 v87, v13 offset:1040
.LBB88_370:                             ;   in Loop: Header=BB88_350 Depth=2
	s_or_b64 exec, exec, s[38:39]
	; wave barrier
	s_waitcnt lgkmcnt(0)
	s_barrier
	ds_read2_b32 v[15:16], v53 offset1:1
	ds_read2_b32 v[13:14], v54 offset1:1
	ds_read_b32 v88, v50 offset:1056
	s_waitcnt lgkmcnt(1)
	v_add3_u32 v89, v16, v15, v13
	s_waitcnt lgkmcnt(0)
	v_add3_u32 v88, v89, v14, v88
	s_nop 1
	v_mov_b32_dpp v89, v88 row_shr:1 row_mask:0xf bank_mask:0xf
	v_cndmask_b32_e64 v89, v89, 0, s[18:19]
	v_add_u32_e32 v88, v89, v88
	s_nop 1
	v_mov_b32_dpp v89, v88 row_shr:2 row_mask:0xf bank_mask:0xf
	v_cndmask_b32_e64 v89, 0, v89, s[20:21]
	v_add_u32_e32 v88, v88, v89
	;; [unrolled: 4-line block ×4, first 2 shown]
	s_nop 1
	v_mov_b32_dpp v89, v88 row_bcast:15 row_mask:0xf bank_mask:0xf
	v_cndmask_b32_e64 v89, v89, 0, s[26:27]
	v_add_u32_e32 v88, v88, v89
	s_nop 1
	v_mov_b32_dpp v89, v88 row_bcast:31 row_mask:0xf bank_mask:0xf
	v_cndmask_b32_e64 v89, 0, v89, s[28:29]
	v_add_u32_e32 v88, v88, v89
	s_and_saveexec_b64 s[38:39], s[8:9]
; %bb.371:                              ;   in Loop: Header=BB88_350 Depth=2
	ds_write_b32 v26, v88 offset:1024
; %bb.372:                              ;   in Loop: Header=BB88_350 Depth=2
	s_or_b64 exec, exec, s[38:39]
	s_waitcnt lgkmcnt(0)
	s_barrier
	s_and_saveexec_b64 s[38:39], s[10:11]
	s_cbranch_execz .LBB88_374
; %bb.373:                              ;   in Loop: Header=BB88_350 Depth=2
	v_add_u32_e32 v89, v50, v28
	ds_read_b32 v90, v89 offset:1024
	s_waitcnt lgkmcnt(0)
	s_nop 0
	v_mov_b32_dpp v91, v90 row_shr:1 row_mask:0xf bank_mask:0xf
	v_cndmask_b32_e64 v91, v91, 0, s[34:35]
	v_add_u32_e32 v90, v91, v90
	s_nop 1
	v_mov_b32_dpp v91, v90 row_shr:2 row_mask:0xf bank_mask:0xf
	v_cndmask_b32_e64 v91, 0, v91, s[36:37]
	v_add_u32_e32 v90, v90, v91
	ds_write_b32 v89, v90 offset:1024
.LBB88_374:                             ;   in Loop: Header=BB88_350 Depth=2
	s_or_b64 exec, exec, s[38:39]
	v_mov_b32_e32 v89, 0
	s_waitcnt lgkmcnt(0)
	s_barrier
	s_and_saveexec_b64 s[38:39], s[12:13]
; %bb.375:                              ;   in Loop: Header=BB88_350 Depth=2
	ds_read_b32 v89, v26 offset:1020
; %bb.376:                              ;   in Loop: Header=BB88_350 Depth=2
	s_or_b64 exec, exec, s[38:39]
	s_waitcnt lgkmcnt(0)
	v_add_u32_e32 v88, v89, v88
	ds_bpermute_b32 v88, v64, v88
	s_waitcnt lgkmcnt(0)
	v_cndmask_b32_e64 v88, v88, v89, s[30:31]
	v_cndmask_b32_e64 v88, v88, 0, s[14:15]
	v_add_u32_e32 v15, v88, v15
	v_add_u32_e32 v16, v15, v16
	;; [unrolled: 1-line block ×4, first 2 shown]
	ds_write2_b32 v53, v88, v15 offset1:1
	ds_write2_b32 v54, v16, v13 offset1:1
	ds_write_b32 v50, v14 offset:1056
	s_waitcnt lgkmcnt(0)
	s_barrier
	ds_read_b32 v13, v78 offset:1040
	ds_read_b32 v14, v82 offset:1040
	;; [unrolled: 1-line block ×5, first 2 shown]
	v_mov_b32_e32 v78, 0x400
	s_and_saveexec_b64 s[38:39], s[16:17]
; %bb.377:                              ;   in Loop: Header=BB88_350 Depth=2
	ds_read_b32 v78, v50 offset:1060
; %bb.378:                              ;   in Loop: Header=BB88_350 Depth=2
	s_or_b64 exec, exec, s[38:39]
	s_waitcnt lgkmcnt(0)
	s_barrier
	s_and_saveexec_b64 s[38:39], s[4:5]
	s_cbranch_execz .LBB88_380
; %bb.379:                              ;   in Loop: Header=BB88_350 Depth=2
	ds_read_b32 v86, v18
	s_waitcnt lgkmcnt(0)
	v_sub_u32_e32 v15, v86, v15
	ds_write_b32 v18, v15
.LBB88_380:                             ;   in Loop: Header=BB88_350 Depth=2
	s_or_b64 exec, exec, s[38:39]
	v_add_u32_e32 v15, v13, v75
	v_add3_u32 v14, v79, v77, v14
	v_add3_u32 v13, v83, v81, v16
	;; [unrolled: 1-line block ×3, first 2 shown]
	v_cmp_lt_u32_e64 s[42:43], v0, v74
	ds_write_b8 v15, v17 offset:1024
	ds_write_b8 v14, v76 offset:1024
	;; [unrolled: 1-line block ×4, first 2 shown]
	s_waitcnt lgkmcnt(0)
	s_barrier
	s_and_saveexec_b64 s[38:39], s[42:43]
	s_cbranch_execnz .LBB88_401
; %bb.381:                              ;   in Loop: Header=BB88_350 Depth=2
	s_or_b64 exec, exec, s[38:39]
	v_cmp_lt_u32_e64 s[40:41], v19, v74
	s_and_saveexec_b64 s[38:39], s[40:41]
	s_cbranch_execnz .LBB88_402
.LBB88_382:                             ;   in Loop: Header=BB88_350 Depth=2
	s_or_b64 exec, exec, s[38:39]
	v_cmp_lt_u32_e64 s[38:39], v20, v74
	s_and_saveexec_b64 s[44:45], s[38:39]
	s_cbranch_execnz .LBB88_403
.LBB88_383:                             ;   in Loop: Header=BB88_350 Depth=2
	s_or_b64 exec, exec, s[44:45]
	v_cmp_lt_u32_e32 vcc, v21, v74
	s_and_saveexec_b64 s[44:45], vcc
	s_cbranch_execz .LBB88_385
.LBB88_384:                             ;   in Loop: Header=BB88_350 Depth=2
	ds_read_u8 v16, v0 offset:1792
	s_waitcnt lgkmcnt(0)
	v_lshrrev_b32_sdwa v17, s69, v16 dst_sel:DWORD dst_unused:UNUSED_PAD src0_sel:DWORD src1_sel:BYTE_0
	v_and_b32_e32 v17, s58, v17
	v_lshlrev_b32_e32 v17, 2, v17
	ds_read_b32 v17, v17
	v_xor_b32_e32 v16, -1, v16
	s_waitcnt lgkmcnt(0)
	v_add_u32_e32 v17, v17, v21
	global_store_byte v17, v16, s[52:53]
.LBB88_385:                             ;   in Loop: Header=BB88_350 Depth=2
	s_or_b64 exec, exec, s[44:45]
	s_lshl_b64 s[44:45], s[56:57], 3
	v_mov_b32_e32 v17, s45
	v_add_co_u32_e64 v16, s[44:45], s44, v65
	v_addc_co_u32_e64 v17, s[44:45], v66, v17, s[44:45]
	v_cmp_lt_u32_e64 s[44:45], v47, v74
	s_and_saveexec_b64 s[54:55], s[44:45]
	s_xor_b64 s[44:45], exec, s[54:55]
	s_cbranch_execnz .LBB88_404
; %bb.386:                              ;   in Loop: Header=BB88_350 Depth=2
	s_or_b64 exec, exec, s[44:45]
	v_cmp_lt_u32_e64 s[44:45], v61, v74
	s_and_saveexec_b64 s[54:55], s[44:45]
	s_cbranch_execnz .LBB88_405
.LBB88_387:                             ;   in Loop: Header=BB88_350 Depth=2
	s_or_b64 exec, exec, s[54:55]
	v_cmp_lt_u32_e64 s[44:45], v62, v74
	s_and_saveexec_b64 s[54:55], s[44:45]
	s_cbranch_execnz .LBB88_406
.LBB88_388:                             ;   in Loop: Header=BB88_350 Depth=2
	s_or_b64 exec, exec, s[54:55]
	v_cmp_lt_u32_e64 s[44:45], v63, v74
	s_and_saveexec_b64 s[54:55], s[44:45]
	s_cbranch_execnz .LBB88_407
.LBB88_389:                             ;   in Loop: Header=BB88_350 Depth=2
	s_or_b64 exec, exec, s[54:55]
	s_and_saveexec_b64 s[44:45], s[42:43]
	s_cbranch_execnz .LBB88_408
.LBB88_390:                             ;   in Loop: Header=BB88_350 Depth=2
	s_or_b64 exec, exec, s[44:45]
	s_and_saveexec_b64 s[44:45], s[40:41]
	s_cbranch_execnz .LBB88_409
.LBB88_391:                             ;   in Loop: Header=BB88_350 Depth=2
	s_or_b64 exec, exec, s[44:45]
	s_and_saveexec_b64 s[44:45], s[38:39]
	s_cbranch_execnz .LBB88_410
.LBB88_392:                             ;   in Loop: Header=BB88_350 Depth=2
	s_or_b64 exec, exec, s[44:45]
	s_and_saveexec_b64 s[44:45], vcc
	s_cbranch_execz .LBB88_394
.LBB88_393:                             ;   in Loop: Header=BB88_350 Depth=2
	ds_read_u8 v16, v0 offset:1792
	s_waitcnt lgkmcnt(0)
	v_lshrrev_b32_e32 v16, s69, v16
	v_and_b32_e32 v69, s58, v16
.LBB88_394:                             ;   in Loop: Header=BB88_350 Depth=2
	s_or_b64 exec, exec, s[44:45]
	v_mad_u64_u32 v[15:16], s[44:45], v15, 7, v[15:16]
	s_waitcnt vmcnt(0)
	v_mad_u64_u32 v[74:75], s[44:45], v4, 7, v[4:5]
	v_mad_u64_u32 v[16:17], s[44:45], v14, 7, v[14:15]
	;; [unrolled: 1-line block ×3, first 2 shown]
	v_add_u32_e32 v4, v0, v51
	s_barrier
	ds_write_b64 v15, v[11:12] offset:1024
	ds_write_b64 v16, v[9:10] offset:1024
	;; [unrolled: 1-line block ×4, first 2 shown]
	s_waitcnt lgkmcnt(0)
	s_barrier
	s_and_saveexec_b64 s[44:45], s[42:43]
	s_cbranch_execnz .LBB88_411
; %bb.395:                              ;   in Loop: Header=BB88_350 Depth=2
	s_or_b64 exec, exec, s[44:45]
	s_and_saveexec_b64 s[42:43], s[40:41]
	s_cbranch_execnz .LBB88_412
.LBB88_396:                             ;   in Loop: Header=BB88_350 Depth=2
	s_or_b64 exec, exec, s[42:43]
	s_and_saveexec_b64 s[40:41], s[38:39]
	s_cbranch_execnz .LBB88_413
.LBB88_397:                             ;   in Loop: Header=BB88_350 Depth=2
	s_or_b64 exec, exec, s[40:41]
	s_and_saveexec_b64 s[38:39], vcc
	s_cbranch_execz .LBB88_399
.LBB88_398:                             ;   in Loop: Header=BB88_350 Depth=2
	v_lshlrev_b32_e32 v13, 2, v69
	ds_read_b32 v15, v13
	ds_read_b64 v[13:14], v4 offset:7168
	v_mov_b32_e32 v16, v3
	v_mov_b32_e32 v4, s67
	s_waitcnt lgkmcnt(1)
	v_add_u32_e32 v15, v15, v21
	v_lshlrev_b64 v[15:16], 3, v[15:16]
	v_add_co_u32_e32 v15, vcc, s66, v15
	v_addc_co_u32_e32 v16, vcc, v4, v16, vcc
	s_waitcnt lgkmcnt(0)
	global_store_dwordx2 v[15:16], v[13:14], off
.LBB88_399:                             ;   in Loop: Header=BB88_350 Depth=2
	s_or_b64 exec, exec, s[38:39]
	s_waitcnt vmcnt(0)
	s_barrier
	s_and_saveexec_b64 s[38:39], s[4:5]
	s_cbranch_execz .LBB88_349
; %bb.400:                              ;   in Loop: Header=BB88_350 Depth=2
	ds_read_b32 v4, v18
	s_waitcnt lgkmcnt(0)
	v_add_u32_e32 v4, v4, v78
	ds_write_b32 v18, v4
	s_branch .LBB88_349
.LBB88_401:                             ;   in Loop: Header=BB88_350 Depth=2
	ds_read_u8 v16, v0 offset:1024
	s_waitcnt lgkmcnt(0)
	v_lshrrev_b32_sdwa v17, s69, v16 dst_sel:DWORD dst_unused:UNUSED_PAD src0_sel:DWORD src1_sel:BYTE_0
	v_and_b32_e32 v17, s58, v17
	v_lshlrev_b32_e32 v17, 2, v17
	ds_read_b32 v17, v17
	v_xor_b32_e32 v16, -1, v16
	s_waitcnt lgkmcnt(0)
	v_add_u32_e32 v17, v17, v0
	global_store_byte v17, v16, s[52:53]
	s_or_b64 exec, exec, s[38:39]
	v_cmp_lt_u32_e64 s[40:41], v19, v74
	s_and_saveexec_b64 s[38:39], s[40:41]
	s_cbranch_execz .LBB88_382
.LBB88_402:                             ;   in Loop: Header=BB88_350 Depth=2
	ds_read_u8 v16, v0 offset:1280
	s_waitcnt lgkmcnt(0)
	v_lshrrev_b32_sdwa v17, s69, v16 dst_sel:DWORD dst_unused:UNUSED_PAD src0_sel:DWORD src1_sel:BYTE_0
	v_and_b32_e32 v17, s58, v17
	v_lshlrev_b32_e32 v17, 2, v17
	ds_read_b32 v17, v17
	v_xor_b32_e32 v16, -1, v16
	s_waitcnt lgkmcnt(0)
	v_add_u32_e32 v17, v17, v19
	global_store_byte v17, v16, s[52:53]
	s_or_b64 exec, exec, s[38:39]
	v_cmp_lt_u32_e64 s[38:39], v20, v74
	s_and_saveexec_b64 s[44:45], s[38:39]
	s_cbranch_execz .LBB88_383
.LBB88_403:                             ;   in Loop: Header=BB88_350 Depth=2
	ds_read_u8 v16, v0 offset:1536
	s_waitcnt lgkmcnt(0)
	v_lshrrev_b32_sdwa v17, s69, v16 dst_sel:DWORD dst_unused:UNUSED_PAD src0_sel:DWORD src1_sel:BYTE_0
	v_and_b32_e32 v17, s58, v17
	v_lshlrev_b32_e32 v17, 2, v17
	ds_read_b32 v17, v17
	v_xor_b32_e32 v16, -1, v16
	s_waitcnt lgkmcnt(0)
	v_add_u32_e32 v17, v17, v20
	global_store_byte v17, v16, s[52:53]
	s_or_b64 exec, exec, s[44:45]
	v_cmp_lt_u32_e32 vcc, v21, v74
	s_and_saveexec_b64 s[44:45], vcc
	s_cbranch_execnz .LBB88_384
	s_branch .LBB88_385
.LBB88_404:                             ;   in Loop: Header=BB88_350 Depth=2
	global_load_dwordx2 v[11:12], v[16:17], off
	s_or_b64 exec, exec, s[44:45]
	v_cmp_lt_u32_e64 s[44:45], v61, v74
	s_and_saveexec_b64 s[54:55], s[44:45]
	s_cbranch_execz .LBB88_387
.LBB88_405:                             ;   in Loop: Header=BB88_350 Depth=2
	global_load_dwordx2 v[9:10], v[16:17], off offset:512
	s_or_b64 exec, exec, s[54:55]
	v_cmp_lt_u32_e64 s[44:45], v62, v74
	s_and_saveexec_b64 s[54:55], s[44:45]
	s_cbranch_execz .LBB88_388
.LBB88_406:                             ;   in Loop: Header=BB88_350 Depth=2
	global_load_dwordx2 v[7:8], v[16:17], off offset:1024
	s_or_b64 exec, exec, s[54:55]
	v_cmp_lt_u32_e64 s[44:45], v63, v74
	s_and_saveexec_b64 s[54:55], s[44:45]
	s_cbranch_execz .LBB88_389
.LBB88_407:                             ;   in Loop: Header=BB88_350 Depth=2
	global_load_dwordx2 v[5:6], v[16:17], off offset:1536
	s_or_b64 exec, exec, s[54:55]
	s_and_saveexec_b64 s[44:45], s[42:43]
	s_cbranch_execz .LBB88_390
.LBB88_408:                             ;   in Loop: Header=BB88_350 Depth=2
	ds_read_u8 v16, v0 offset:1024
	s_waitcnt lgkmcnt(0)
	v_lshrrev_b32_e32 v16, s69, v16
	v_and_b32_e32 v73, s58, v16
	s_or_b64 exec, exec, s[44:45]
	s_and_saveexec_b64 s[44:45], s[40:41]
	s_cbranch_execz .LBB88_391
.LBB88_409:                             ;   in Loop: Header=BB88_350 Depth=2
	ds_read_u8 v16, v0 offset:1280
	s_waitcnt lgkmcnt(0)
	v_lshrrev_b32_e32 v16, s69, v16
	v_and_b32_e32 v72, s58, v16
	s_or_b64 exec, exec, s[44:45]
	s_and_saveexec_b64 s[44:45], s[38:39]
	s_cbranch_execz .LBB88_392
.LBB88_410:                             ;   in Loop: Header=BB88_350 Depth=2
	ds_read_u8 v16, v0 offset:1536
	s_waitcnt lgkmcnt(0)
	v_lshrrev_b32_e32 v16, s69, v16
	v_and_b32_e32 v70, s58, v16
	s_or_b64 exec, exec, s[44:45]
	s_and_saveexec_b64 s[44:45], vcc
	s_cbranch_execnz .LBB88_393
	s_branch .LBB88_394
.LBB88_411:                             ;   in Loop: Header=BB88_350 Depth=2
	v_lshlrev_b32_e32 v13, 2, v73
	ds_read_b32 v15, v13
	ds_read_b64 v[13:14], v4 offset:1024
	v_mov_b32_e32 v16, v3
	v_mov_b32_e32 v17, s67
	s_waitcnt lgkmcnt(1)
	v_add_u32_e32 v15, v15, v0
	v_lshlrev_b64 v[15:16], 3, v[15:16]
	v_add_co_u32_e64 v15, s[42:43], s66, v15
	v_addc_co_u32_e64 v16, s[42:43], v17, v16, s[42:43]
	s_waitcnt lgkmcnt(0)
	global_store_dwordx2 v[15:16], v[13:14], off
	s_or_b64 exec, exec, s[44:45]
	s_and_saveexec_b64 s[42:43], s[40:41]
	s_cbranch_execz .LBB88_396
.LBB88_412:                             ;   in Loop: Header=BB88_350 Depth=2
	v_lshlrev_b32_e32 v13, 2, v72
	ds_read_b32 v15, v13
	ds_read_b64 v[13:14], v4 offset:3072
	v_mov_b32_e32 v16, v3
	v_mov_b32_e32 v17, s67
	s_waitcnt lgkmcnt(1)
	v_add_u32_e32 v15, v15, v19
	v_lshlrev_b64 v[15:16], 3, v[15:16]
	v_add_co_u32_e64 v15, s[40:41], s66, v15
	v_addc_co_u32_e64 v16, s[40:41], v17, v16, s[40:41]
	s_waitcnt lgkmcnt(0)
	global_store_dwordx2 v[15:16], v[13:14], off
	s_or_b64 exec, exec, s[42:43]
	s_and_saveexec_b64 s[40:41], s[38:39]
	s_cbranch_execz .LBB88_397
.LBB88_413:                             ;   in Loop: Header=BB88_350 Depth=2
	v_lshlrev_b32_e32 v13, 2, v70
	ds_read_b32 v15, v13
	ds_read_b64 v[13:14], v4 offset:5120
	v_mov_b32_e32 v16, v3
	v_mov_b32_e32 v17, s67
	s_waitcnt lgkmcnt(1)
	v_add_u32_e32 v15, v15, v20
	v_lshlrev_b64 v[15:16], 3, v[15:16]
	v_add_co_u32_e64 v15, s[38:39], s66, v15
	v_addc_co_u32_e64 v16, s[38:39], v17, v16, s[38:39]
	s_waitcnt lgkmcnt(0)
	global_store_dwordx2 v[15:16], v[13:14], off
	s_or_b64 exec, exec, s[40:41]
	s_and_saveexec_b64 s[38:39], vcc
	s_cbranch_execnz .LBB88_398
	s_branch .LBB88_399
.LBB88_414:
	s_endpgm
	.section	.rodata,"a",@progbits
	.p2align	6, 0x0
	.amdhsa_kernel _ZN7rocprim17ROCPRIM_400000_NS6detail17trampoline_kernelINS0_14default_configENS1_36segmented_radix_sort_config_selectorIhlEEZNS1_25segmented_radix_sort_implIS3_Lb1EPKhPhPKlPlN2at6native12_GLOBAL__N_18offset_tEEE10hipError_tPvRmT1_PNSt15iterator_traitsISK_E10value_typeET2_T3_PNSL_ISQ_E10value_typeET4_jRbjT5_SW_jjP12ihipStream_tbEUlT_E_NS1_11comp_targetILNS1_3genE2ELNS1_11target_archE906ELNS1_3gpuE6ELNS1_3repE0EEENS1_30default_config_static_selectorELNS0_4arch9wavefront6targetE1EEEvSK_
		.amdhsa_group_segment_fixed_size 9232
		.amdhsa_private_segment_fixed_size 0
		.amdhsa_kernarg_size 352
		.amdhsa_user_sgpr_count 6
		.amdhsa_user_sgpr_private_segment_buffer 1
		.amdhsa_user_sgpr_dispatch_ptr 0
		.amdhsa_user_sgpr_queue_ptr 0
		.amdhsa_user_sgpr_kernarg_segment_ptr 1
		.amdhsa_user_sgpr_dispatch_id 0
		.amdhsa_user_sgpr_flat_scratch_init 0
		.amdhsa_user_sgpr_private_segment_size 0
		.amdhsa_uses_dynamic_stack 0
		.amdhsa_system_sgpr_private_segment_wavefront_offset 0
		.amdhsa_system_sgpr_workgroup_id_x 1
		.amdhsa_system_sgpr_workgroup_id_y 1
		.amdhsa_system_sgpr_workgroup_id_z 0
		.amdhsa_system_sgpr_workgroup_info 0
		.amdhsa_system_vgpr_workitem_id 2
		.amdhsa_next_free_vgpr 97
		.amdhsa_next_free_sgpr 77
		.amdhsa_reserve_vcc 1
		.amdhsa_reserve_flat_scratch 0
		.amdhsa_float_round_mode_32 0
		.amdhsa_float_round_mode_16_64 0
		.amdhsa_float_denorm_mode_32 3
		.amdhsa_float_denorm_mode_16_64 3
		.amdhsa_dx10_clamp 1
		.amdhsa_ieee_mode 1
		.amdhsa_fp16_overflow 0
		.amdhsa_exception_fp_ieee_invalid_op 0
		.amdhsa_exception_fp_denorm_src 0
		.amdhsa_exception_fp_ieee_div_zero 0
		.amdhsa_exception_fp_ieee_overflow 0
		.amdhsa_exception_fp_ieee_underflow 0
		.amdhsa_exception_fp_ieee_inexact 0
		.amdhsa_exception_int_div_zero 0
	.end_amdhsa_kernel
	.section	.text._ZN7rocprim17ROCPRIM_400000_NS6detail17trampoline_kernelINS0_14default_configENS1_36segmented_radix_sort_config_selectorIhlEEZNS1_25segmented_radix_sort_implIS3_Lb1EPKhPhPKlPlN2at6native12_GLOBAL__N_18offset_tEEE10hipError_tPvRmT1_PNSt15iterator_traitsISK_E10value_typeET2_T3_PNSL_ISQ_E10value_typeET4_jRbjT5_SW_jjP12ihipStream_tbEUlT_E_NS1_11comp_targetILNS1_3genE2ELNS1_11target_archE906ELNS1_3gpuE6ELNS1_3repE0EEENS1_30default_config_static_selectorELNS0_4arch9wavefront6targetE1EEEvSK_,"axG",@progbits,_ZN7rocprim17ROCPRIM_400000_NS6detail17trampoline_kernelINS0_14default_configENS1_36segmented_radix_sort_config_selectorIhlEEZNS1_25segmented_radix_sort_implIS3_Lb1EPKhPhPKlPlN2at6native12_GLOBAL__N_18offset_tEEE10hipError_tPvRmT1_PNSt15iterator_traitsISK_E10value_typeET2_T3_PNSL_ISQ_E10value_typeET4_jRbjT5_SW_jjP12ihipStream_tbEUlT_E_NS1_11comp_targetILNS1_3genE2ELNS1_11target_archE906ELNS1_3gpuE6ELNS1_3repE0EEENS1_30default_config_static_selectorELNS0_4arch9wavefront6targetE1EEEvSK_,comdat
.Lfunc_end88:
	.size	_ZN7rocprim17ROCPRIM_400000_NS6detail17trampoline_kernelINS0_14default_configENS1_36segmented_radix_sort_config_selectorIhlEEZNS1_25segmented_radix_sort_implIS3_Lb1EPKhPhPKlPlN2at6native12_GLOBAL__N_18offset_tEEE10hipError_tPvRmT1_PNSt15iterator_traitsISK_E10value_typeET2_T3_PNSL_ISQ_E10value_typeET4_jRbjT5_SW_jjP12ihipStream_tbEUlT_E_NS1_11comp_targetILNS1_3genE2ELNS1_11target_archE906ELNS1_3gpuE6ELNS1_3repE0EEENS1_30default_config_static_selectorELNS0_4arch9wavefront6targetE1EEEvSK_, .Lfunc_end88-_ZN7rocprim17ROCPRIM_400000_NS6detail17trampoline_kernelINS0_14default_configENS1_36segmented_radix_sort_config_selectorIhlEEZNS1_25segmented_radix_sort_implIS3_Lb1EPKhPhPKlPlN2at6native12_GLOBAL__N_18offset_tEEE10hipError_tPvRmT1_PNSt15iterator_traitsISK_E10value_typeET2_T3_PNSL_ISQ_E10value_typeET4_jRbjT5_SW_jjP12ihipStream_tbEUlT_E_NS1_11comp_targetILNS1_3genE2ELNS1_11target_archE906ELNS1_3gpuE6ELNS1_3repE0EEENS1_30default_config_static_selectorELNS0_4arch9wavefront6targetE1EEEvSK_
                                        ; -- End function
	.set _ZN7rocprim17ROCPRIM_400000_NS6detail17trampoline_kernelINS0_14default_configENS1_36segmented_radix_sort_config_selectorIhlEEZNS1_25segmented_radix_sort_implIS3_Lb1EPKhPhPKlPlN2at6native12_GLOBAL__N_18offset_tEEE10hipError_tPvRmT1_PNSt15iterator_traitsISK_E10value_typeET2_T3_PNSL_ISQ_E10value_typeET4_jRbjT5_SW_jjP12ihipStream_tbEUlT_E_NS1_11comp_targetILNS1_3genE2ELNS1_11target_archE906ELNS1_3gpuE6ELNS1_3repE0EEENS1_30default_config_static_selectorELNS0_4arch9wavefront6targetE1EEEvSK_.num_vgpr, max(92, .L_ZN7rocprim17ROCPRIM_400000_NS6detail40segmented_radix_sort_single_block_helperIhlLj256ELj4ELb1EE4sortIPKhPhPKlPlEEbT_T0_T1_T2_jjjjRNS3_12storage_typeE.num_vgpr)
	.set _ZN7rocprim17ROCPRIM_400000_NS6detail17trampoline_kernelINS0_14default_configENS1_36segmented_radix_sort_config_selectorIhlEEZNS1_25segmented_radix_sort_implIS3_Lb1EPKhPhPKlPlN2at6native12_GLOBAL__N_18offset_tEEE10hipError_tPvRmT1_PNSt15iterator_traitsISK_E10value_typeET2_T3_PNSL_ISQ_E10value_typeET4_jRbjT5_SW_jjP12ihipStream_tbEUlT_E_NS1_11comp_targetILNS1_3genE2ELNS1_11target_archE906ELNS1_3gpuE6ELNS1_3repE0EEENS1_30default_config_static_selectorELNS0_4arch9wavefront6targetE1EEEvSK_.num_agpr, max(0, .L_ZN7rocprim17ROCPRIM_400000_NS6detail40segmented_radix_sort_single_block_helperIhlLj256ELj4ELb1EE4sortIPKhPhPKlPlEEbT_T0_T1_T2_jjjjRNS3_12storage_typeE.num_agpr)
	.set _ZN7rocprim17ROCPRIM_400000_NS6detail17trampoline_kernelINS0_14default_configENS1_36segmented_radix_sort_config_selectorIhlEEZNS1_25segmented_radix_sort_implIS3_Lb1EPKhPhPKlPlN2at6native12_GLOBAL__N_18offset_tEEE10hipError_tPvRmT1_PNSt15iterator_traitsISK_E10value_typeET2_T3_PNSL_ISQ_E10value_typeET4_jRbjT5_SW_jjP12ihipStream_tbEUlT_E_NS1_11comp_targetILNS1_3genE2ELNS1_11target_archE906ELNS1_3gpuE6ELNS1_3repE0EEENS1_30default_config_static_selectorELNS0_4arch9wavefront6targetE1EEEvSK_.numbered_sgpr, max(76, .L_ZN7rocprim17ROCPRIM_400000_NS6detail40segmented_radix_sort_single_block_helperIhlLj256ELj4ELb1EE4sortIPKhPhPKlPlEEbT_T0_T1_T2_jjjjRNS3_12storage_typeE.numbered_sgpr)
	.set _ZN7rocprim17ROCPRIM_400000_NS6detail17trampoline_kernelINS0_14default_configENS1_36segmented_radix_sort_config_selectorIhlEEZNS1_25segmented_radix_sort_implIS3_Lb1EPKhPhPKlPlN2at6native12_GLOBAL__N_18offset_tEEE10hipError_tPvRmT1_PNSt15iterator_traitsISK_E10value_typeET2_T3_PNSL_ISQ_E10value_typeET4_jRbjT5_SW_jjP12ihipStream_tbEUlT_E_NS1_11comp_targetILNS1_3genE2ELNS1_11target_archE906ELNS1_3gpuE6ELNS1_3repE0EEENS1_30default_config_static_selectorELNS0_4arch9wavefront6targetE1EEEvSK_.num_named_barrier, max(0, .L_ZN7rocprim17ROCPRIM_400000_NS6detail40segmented_radix_sort_single_block_helperIhlLj256ELj4ELb1EE4sortIPKhPhPKlPlEEbT_T0_T1_T2_jjjjRNS3_12storage_typeE.num_named_barrier)
	.set _ZN7rocprim17ROCPRIM_400000_NS6detail17trampoline_kernelINS0_14default_configENS1_36segmented_radix_sort_config_selectorIhlEEZNS1_25segmented_radix_sort_implIS3_Lb1EPKhPhPKlPlN2at6native12_GLOBAL__N_18offset_tEEE10hipError_tPvRmT1_PNSt15iterator_traitsISK_E10value_typeET2_T3_PNSL_ISQ_E10value_typeET4_jRbjT5_SW_jjP12ihipStream_tbEUlT_E_NS1_11comp_targetILNS1_3genE2ELNS1_11target_archE906ELNS1_3gpuE6ELNS1_3repE0EEENS1_30default_config_static_selectorELNS0_4arch9wavefront6targetE1EEEvSK_.private_seg_size, 0+max(.L_ZN7rocprim17ROCPRIM_400000_NS6detail40segmented_radix_sort_single_block_helperIhlLj256ELj4ELb1EE4sortIPKhPhPKlPlEEbT_T0_T1_T2_jjjjRNS3_12storage_typeE.private_seg_size)
	.set _ZN7rocprim17ROCPRIM_400000_NS6detail17trampoline_kernelINS0_14default_configENS1_36segmented_radix_sort_config_selectorIhlEEZNS1_25segmented_radix_sort_implIS3_Lb1EPKhPhPKlPlN2at6native12_GLOBAL__N_18offset_tEEE10hipError_tPvRmT1_PNSt15iterator_traitsISK_E10value_typeET2_T3_PNSL_ISQ_E10value_typeET4_jRbjT5_SW_jjP12ihipStream_tbEUlT_E_NS1_11comp_targetILNS1_3genE2ELNS1_11target_archE906ELNS1_3gpuE6ELNS1_3repE0EEENS1_30default_config_static_selectorELNS0_4arch9wavefront6targetE1EEEvSK_.uses_vcc, or(1, .L_ZN7rocprim17ROCPRIM_400000_NS6detail40segmented_radix_sort_single_block_helperIhlLj256ELj4ELb1EE4sortIPKhPhPKlPlEEbT_T0_T1_T2_jjjjRNS3_12storage_typeE.uses_vcc)
	.set _ZN7rocprim17ROCPRIM_400000_NS6detail17trampoline_kernelINS0_14default_configENS1_36segmented_radix_sort_config_selectorIhlEEZNS1_25segmented_radix_sort_implIS3_Lb1EPKhPhPKlPlN2at6native12_GLOBAL__N_18offset_tEEE10hipError_tPvRmT1_PNSt15iterator_traitsISK_E10value_typeET2_T3_PNSL_ISQ_E10value_typeET4_jRbjT5_SW_jjP12ihipStream_tbEUlT_E_NS1_11comp_targetILNS1_3genE2ELNS1_11target_archE906ELNS1_3gpuE6ELNS1_3repE0EEENS1_30default_config_static_selectorELNS0_4arch9wavefront6targetE1EEEvSK_.uses_flat_scratch, or(0, .L_ZN7rocprim17ROCPRIM_400000_NS6detail40segmented_radix_sort_single_block_helperIhlLj256ELj4ELb1EE4sortIPKhPhPKlPlEEbT_T0_T1_T2_jjjjRNS3_12storage_typeE.uses_flat_scratch)
	.set _ZN7rocprim17ROCPRIM_400000_NS6detail17trampoline_kernelINS0_14default_configENS1_36segmented_radix_sort_config_selectorIhlEEZNS1_25segmented_radix_sort_implIS3_Lb1EPKhPhPKlPlN2at6native12_GLOBAL__N_18offset_tEEE10hipError_tPvRmT1_PNSt15iterator_traitsISK_E10value_typeET2_T3_PNSL_ISQ_E10value_typeET4_jRbjT5_SW_jjP12ihipStream_tbEUlT_E_NS1_11comp_targetILNS1_3genE2ELNS1_11target_archE906ELNS1_3gpuE6ELNS1_3repE0EEENS1_30default_config_static_selectorELNS0_4arch9wavefront6targetE1EEEvSK_.has_dyn_sized_stack, or(0, .L_ZN7rocprim17ROCPRIM_400000_NS6detail40segmented_radix_sort_single_block_helperIhlLj256ELj4ELb1EE4sortIPKhPhPKlPlEEbT_T0_T1_T2_jjjjRNS3_12storage_typeE.has_dyn_sized_stack)
	.set _ZN7rocprim17ROCPRIM_400000_NS6detail17trampoline_kernelINS0_14default_configENS1_36segmented_radix_sort_config_selectorIhlEEZNS1_25segmented_radix_sort_implIS3_Lb1EPKhPhPKlPlN2at6native12_GLOBAL__N_18offset_tEEE10hipError_tPvRmT1_PNSt15iterator_traitsISK_E10value_typeET2_T3_PNSL_ISQ_E10value_typeET4_jRbjT5_SW_jjP12ihipStream_tbEUlT_E_NS1_11comp_targetILNS1_3genE2ELNS1_11target_archE906ELNS1_3gpuE6ELNS1_3repE0EEENS1_30default_config_static_selectorELNS0_4arch9wavefront6targetE1EEEvSK_.has_recursion, or(0, .L_ZN7rocprim17ROCPRIM_400000_NS6detail40segmented_radix_sort_single_block_helperIhlLj256ELj4ELb1EE4sortIPKhPhPKlPlEEbT_T0_T1_T2_jjjjRNS3_12storage_typeE.has_recursion)
	.set _ZN7rocprim17ROCPRIM_400000_NS6detail17trampoline_kernelINS0_14default_configENS1_36segmented_radix_sort_config_selectorIhlEEZNS1_25segmented_radix_sort_implIS3_Lb1EPKhPhPKlPlN2at6native12_GLOBAL__N_18offset_tEEE10hipError_tPvRmT1_PNSt15iterator_traitsISK_E10value_typeET2_T3_PNSL_ISQ_E10value_typeET4_jRbjT5_SW_jjP12ihipStream_tbEUlT_E_NS1_11comp_targetILNS1_3genE2ELNS1_11target_archE906ELNS1_3gpuE6ELNS1_3repE0EEENS1_30default_config_static_selectorELNS0_4arch9wavefront6targetE1EEEvSK_.has_indirect_call, or(0, .L_ZN7rocprim17ROCPRIM_400000_NS6detail40segmented_radix_sort_single_block_helperIhlLj256ELj4ELb1EE4sortIPKhPhPKlPlEEbT_T0_T1_T2_jjjjRNS3_12storage_typeE.has_indirect_call)
	.section	.AMDGPU.csdata,"",@progbits
; Kernel info:
; codeLenInByte = 20328
; TotalNumSgprs: 80
; NumVgprs: 97
; ScratchSize: 0
; MemoryBound: 0
; FloatMode: 240
; IeeeMode: 1
; LDSByteSize: 9232 bytes/workgroup (compile time only)
; SGPRBlocks: 10
; VGPRBlocks: 24
; NumSGPRsForWavesPerEU: 81
; NumVGPRsForWavesPerEU: 97
; Occupancy: 2
; WaveLimiterHint : 1
; COMPUTE_PGM_RSRC2:SCRATCH_EN: 0
; COMPUTE_PGM_RSRC2:USER_SGPR: 6
; COMPUTE_PGM_RSRC2:TRAP_HANDLER: 0
; COMPUTE_PGM_RSRC2:TGID_X_EN: 1
; COMPUTE_PGM_RSRC2:TGID_Y_EN: 1
; COMPUTE_PGM_RSRC2:TGID_Z_EN: 0
; COMPUTE_PGM_RSRC2:TIDIG_COMP_CNT: 2
	.section	.text._ZN7rocprim17ROCPRIM_400000_NS6detail17trampoline_kernelINS0_14default_configENS1_36segmented_radix_sort_config_selectorIhlEEZNS1_25segmented_radix_sort_implIS3_Lb1EPKhPhPKlPlN2at6native12_GLOBAL__N_18offset_tEEE10hipError_tPvRmT1_PNSt15iterator_traitsISK_E10value_typeET2_T3_PNSL_ISQ_E10value_typeET4_jRbjT5_SW_jjP12ihipStream_tbEUlT_E_NS1_11comp_targetILNS1_3genE10ELNS1_11target_archE1201ELNS1_3gpuE5ELNS1_3repE0EEENS1_30default_config_static_selectorELNS0_4arch9wavefront6targetE1EEEvSK_,"axG",@progbits,_ZN7rocprim17ROCPRIM_400000_NS6detail17trampoline_kernelINS0_14default_configENS1_36segmented_radix_sort_config_selectorIhlEEZNS1_25segmented_radix_sort_implIS3_Lb1EPKhPhPKlPlN2at6native12_GLOBAL__N_18offset_tEEE10hipError_tPvRmT1_PNSt15iterator_traitsISK_E10value_typeET2_T3_PNSL_ISQ_E10value_typeET4_jRbjT5_SW_jjP12ihipStream_tbEUlT_E_NS1_11comp_targetILNS1_3genE10ELNS1_11target_archE1201ELNS1_3gpuE5ELNS1_3repE0EEENS1_30default_config_static_selectorELNS0_4arch9wavefront6targetE1EEEvSK_,comdat
	.globl	_ZN7rocprim17ROCPRIM_400000_NS6detail17trampoline_kernelINS0_14default_configENS1_36segmented_radix_sort_config_selectorIhlEEZNS1_25segmented_radix_sort_implIS3_Lb1EPKhPhPKlPlN2at6native12_GLOBAL__N_18offset_tEEE10hipError_tPvRmT1_PNSt15iterator_traitsISK_E10value_typeET2_T3_PNSL_ISQ_E10value_typeET4_jRbjT5_SW_jjP12ihipStream_tbEUlT_E_NS1_11comp_targetILNS1_3genE10ELNS1_11target_archE1201ELNS1_3gpuE5ELNS1_3repE0EEENS1_30default_config_static_selectorELNS0_4arch9wavefront6targetE1EEEvSK_ ; -- Begin function _ZN7rocprim17ROCPRIM_400000_NS6detail17trampoline_kernelINS0_14default_configENS1_36segmented_radix_sort_config_selectorIhlEEZNS1_25segmented_radix_sort_implIS3_Lb1EPKhPhPKlPlN2at6native12_GLOBAL__N_18offset_tEEE10hipError_tPvRmT1_PNSt15iterator_traitsISK_E10value_typeET2_T3_PNSL_ISQ_E10value_typeET4_jRbjT5_SW_jjP12ihipStream_tbEUlT_E_NS1_11comp_targetILNS1_3genE10ELNS1_11target_archE1201ELNS1_3gpuE5ELNS1_3repE0EEENS1_30default_config_static_selectorELNS0_4arch9wavefront6targetE1EEEvSK_
	.p2align	8
	.type	_ZN7rocprim17ROCPRIM_400000_NS6detail17trampoline_kernelINS0_14default_configENS1_36segmented_radix_sort_config_selectorIhlEEZNS1_25segmented_radix_sort_implIS3_Lb1EPKhPhPKlPlN2at6native12_GLOBAL__N_18offset_tEEE10hipError_tPvRmT1_PNSt15iterator_traitsISK_E10value_typeET2_T3_PNSL_ISQ_E10value_typeET4_jRbjT5_SW_jjP12ihipStream_tbEUlT_E_NS1_11comp_targetILNS1_3genE10ELNS1_11target_archE1201ELNS1_3gpuE5ELNS1_3repE0EEENS1_30default_config_static_selectorELNS0_4arch9wavefront6targetE1EEEvSK_,@function
_ZN7rocprim17ROCPRIM_400000_NS6detail17trampoline_kernelINS0_14default_configENS1_36segmented_radix_sort_config_selectorIhlEEZNS1_25segmented_radix_sort_implIS3_Lb1EPKhPhPKlPlN2at6native12_GLOBAL__N_18offset_tEEE10hipError_tPvRmT1_PNSt15iterator_traitsISK_E10value_typeET2_T3_PNSL_ISQ_E10value_typeET4_jRbjT5_SW_jjP12ihipStream_tbEUlT_E_NS1_11comp_targetILNS1_3genE10ELNS1_11target_archE1201ELNS1_3gpuE5ELNS1_3repE0EEENS1_30default_config_static_selectorELNS0_4arch9wavefront6targetE1EEEvSK_: ; @_ZN7rocprim17ROCPRIM_400000_NS6detail17trampoline_kernelINS0_14default_configENS1_36segmented_radix_sort_config_selectorIhlEEZNS1_25segmented_radix_sort_implIS3_Lb1EPKhPhPKlPlN2at6native12_GLOBAL__N_18offset_tEEE10hipError_tPvRmT1_PNSt15iterator_traitsISK_E10value_typeET2_T3_PNSL_ISQ_E10value_typeET4_jRbjT5_SW_jjP12ihipStream_tbEUlT_E_NS1_11comp_targetILNS1_3genE10ELNS1_11target_archE1201ELNS1_3gpuE5ELNS1_3repE0EEENS1_30default_config_static_selectorELNS0_4arch9wavefront6targetE1EEEvSK_
; %bb.0:
	.section	.rodata,"a",@progbits
	.p2align	6, 0x0
	.amdhsa_kernel _ZN7rocprim17ROCPRIM_400000_NS6detail17trampoline_kernelINS0_14default_configENS1_36segmented_radix_sort_config_selectorIhlEEZNS1_25segmented_radix_sort_implIS3_Lb1EPKhPhPKlPlN2at6native12_GLOBAL__N_18offset_tEEE10hipError_tPvRmT1_PNSt15iterator_traitsISK_E10value_typeET2_T3_PNSL_ISQ_E10value_typeET4_jRbjT5_SW_jjP12ihipStream_tbEUlT_E_NS1_11comp_targetILNS1_3genE10ELNS1_11target_archE1201ELNS1_3gpuE5ELNS1_3repE0EEENS1_30default_config_static_selectorELNS0_4arch9wavefront6targetE1EEEvSK_
		.amdhsa_group_segment_fixed_size 0
		.amdhsa_private_segment_fixed_size 0
		.amdhsa_kernarg_size 96
		.amdhsa_user_sgpr_count 6
		.amdhsa_user_sgpr_private_segment_buffer 1
		.amdhsa_user_sgpr_dispatch_ptr 0
		.amdhsa_user_sgpr_queue_ptr 0
		.amdhsa_user_sgpr_kernarg_segment_ptr 1
		.amdhsa_user_sgpr_dispatch_id 0
		.amdhsa_user_sgpr_flat_scratch_init 0
		.amdhsa_user_sgpr_private_segment_size 0
		.amdhsa_uses_dynamic_stack 0
		.amdhsa_system_sgpr_private_segment_wavefront_offset 0
		.amdhsa_system_sgpr_workgroup_id_x 1
		.amdhsa_system_sgpr_workgroup_id_y 0
		.amdhsa_system_sgpr_workgroup_id_z 0
		.amdhsa_system_sgpr_workgroup_info 0
		.amdhsa_system_vgpr_workitem_id 0
		.amdhsa_next_free_vgpr 1
		.amdhsa_next_free_sgpr 0
		.amdhsa_reserve_vcc 0
		.amdhsa_reserve_flat_scratch 0
		.amdhsa_float_round_mode_32 0
		.amdhsa_float_round_mode_16_64 0
		.amdhsa_float_denorm_mode_32 3
		.amdhsa_float_denorm_mode_16_64 3
		.amdhsa_dx10_clamp 1
		.amdhsa_ieee_mode 1
		.amdhsa_fp16_overflow 0
		.amdhsa_exception_fp_ieee_invalid_op 0
		.amdhsa_exception_fp_denorm_src 0
		.amdhsa_exception_fp_ieee_div_zero 0
		.amdhsa_exception_fp_ieee_overflow 0
		.amdhsa_exception_fp_ieee_underflow 0
		.amdhsa_exception_fp_ieee_inexact 0
		.amdhsa_exception_int_div_zero 0
	.end_amdhsa_kernel
	.section	.text._ZN7rocprim17ROCPRIM_400000_NS6detail17trampoline_kernelINS0_14default_configENS1_36segmented_radix_sort_config_selectorIhlEEZNS1_25segmented_radix_sort_implIS3_Lb1EPKhPhPKlPlN2at6native12_GLOBAL__N_18offset_tEEE10hipError_tPvRmT1_PNSt15iterator_traitsISK_E10value_typeET2_T3_PNSL_ISQ_E10value_typeET4_jRbjT5_SW_jjP12ihipStream_tbEUlT_E_NS1_11comp_targetILNS1_3genE10ELNS1_11target_archE1201ELNS1_3gpuE5ELNS1_3repE0EEENS1_30default_config_static_selectorELNS0_4arch9wavefront6targetE1EEEvSK_,"axG",@progbits,_ZN7rocprim17ROCPRIM_400000_NS6detail17trampoline_kernelINS0_14default_configENS1_36segmented_radix_sort_config_selectorIhlEEZNS1_25segmented_radix_sort_implIS3_Lb1EPKhPhPKlPlN2at6native12_GLOBAL__N_18offset_tEEE10hipError_tPvRmT1_PNSt15iterator_traitsISK_E10value_typeET2_T3_PNSL_ISQ_E10value_typeET4_jRbjT5_SW_jjP12ihipStream_tbEUlT_E_NS1_11comp_targetILNS1_3genE10ELNS1_11target_archE1201ELNS1_3gpuE5ELNS1_3repE0EEENS1_30default_config_static_selectorELNS0_4arch9wavefront6targetE1EEEvSK_,comdat
.Lfunc_end89:
	.size	_ZN7rocprim17ROCPRIM_400000_NS6detail17trampoline_kernelINS0_14default_configENS1_36segmented_radix_sort_config_selectorIhlEEZNS1_25segmented_radix_sort_implIS3_Lb1EPKhPhPKlPlN2at6native12_GLOBAL__N_18offset_tEEE10hipError_tPvRmT1_PNSt15iterator_traitsISK_E10value_typeET2_T3_PNSL_ISQ_E10value_typeET4_jRbjT5_SW_jjP12ihipStream_tbEUlT_E_NS1_11comp_targetILNS1_3genE10ELNS1_11target_archE1201ELNS1_3gpuE5ELNS1_3repE0EEENS1_30default_config_static_selectorELNS0_4arch9wavefront6targetE1EEEvSK_, .Lfunc_end89-_ZN7rocprim17ROCPRIM_400000_NS6detail17trampoline_kernelINS0_14default_configENS1_36segmented_radix_sort_config_selectorIhlEEZNS1_25segmented_radix_sort_implIS3_Lb1EPKhPhPKlPlN2at6native12_GLOBAL__N_18offset_tEEE10hipError_tPvRmT1_PNSt15iterator_traitsISK_E10value_typeET2_T3_PNSL_ISQ_E10value_typeET4_jRbjT5_SW_jjP12ihipStream_tbEUlT_E_NS1_11comp_targetILNS1_3genE10ELNS1_11target_archE1201ELNS1_3gpuE5ELNS1_3repE0EEENS1_30default_config_static_selectorELNS0_4arch9wavefront6targetE1EEEvSK_
                                        ; -- End function
	.set _ZN7rocprim17ROCPRIM_400000_NS6detail17trampoline_kernelINS0_14default_configENS1_36segmented_radix_sort_config_selectorIhlEEZNS1_25segmented_radix_sort_implIS3_Lb1EPKhPhPKlPlN2at6native12_GLOBAL__N_18offset_tEEE10hipError_tPvRmT1_PNSt15iterator_traitsISK_E10value_typeET2_T3_PNSL_ISQ_E10value_typeET4_jRbjT5_SW_jjP12ihipStream_tbEUlT_E_NS1_11comp_targetILNS1_3genE10ELNS1_11target_archE1201ELNS1_3gpuE5ELNS1_3repE0EEENS1_30default_config_static_selectorELNS0_4arch9wavefront6targetE1EEEvSK_.num_vgpr, 0
	.set _ZN7rocprim17ROCPRIM_400000_NS6detail17trampoline_kernelINS0_14default_configENS1_36segmented_radix_sort_config_selectorIhlEEZNS1_25segmented_radix_sort_implIS3_Lb1EPKhPhPKlPlN2at6native12_GLOBAL__N_18offset_tEEE10hipError_tPvRmT1_PNSt15iterator_traitsISK_E10value_typeET2_T3_PNSL_ISQ_E10value_typeET4_jRbjT5_SW_jjP12ihipStream_tbEUlT_E_NS1_11comp_targetILNS1_3genE10ELNS1_11target_archE1201ELNS1_3gpuE5ELNS1_3repE0EEENS1_30default_config_static_selectorELNS0_4arch9wavefront6targetE1EEEvSK_.num_agpr, 0
	.set _ZN7rocprim17ROCPRIM_400000_NS6detail17trampoline_kernelINS0_14default_configENS1_36segmented_radix_sort_config_selectorIhlEEZNS1_25segmented_radix_sort_implIS3_Lb1EPKhPhPKlPlN2at6native12_GLOBAL__N_18offset_tEEE10hipError_tPvRmT1_PNSt15iterator_traitsISK_E10value_typeET2_T3_PNSL_ISQ_E10value_typeET4_jRbjT5_SW_jjP12ihipStream_tbEUlT_E_NS1_11comp_targetILNS1_3genE10ELNS1_11target_archE1201ELNS1_3gpuE5ELNS1_3repE0EEENS1_30default_config_static_selectorELNS0_4arch9wavefront6targetE1EEEvSK_.numbered_sgpr, 0
	.set _ZN7rocprim17ROCPRIM_400000_NS6detail17trampoline_kernelINS0_14default_configENS1_36segmented_radix_sort_config_selectorIhlEEZNS1_25segmented_radix_sort_implIS3_Lb1EPKhPhPKlPlN2at6native12_GLOBAL__N_18offset_tEEE10hipError_tPvRmT1_PNSt15iterator_traitsISK_E10value_typeET2_T3_PNSL_ISQ_E10value_typeET4_jRbjT5_SW_jjP12ihipStream_tbEUlT_E_NS1_11comp_targetILNS1_3genE10ELNS1_11target_archE1201ELNS1_3gpuE5ELNS1_3repE0EEENS1_30default_config_static_selectorELNS0_4arch9wavefront6targetE1EEEvSK_.num_named_barrier, 0
	.set _ZN7rocprim17ROCPRIM_400000_NS6detail17trampoline_kernelINS0_14default_configENS1_36segmented_radix_sort_config_selectorIhlEEZNS1_25segmented_radix_sort_implIS3_Lb1EPKhPhPKlPlN2at6native12_GLOBAL__N_18offset_tEEE10hipError_tPvRmT1_PNSt15iterator_traitsISK_E10value_typeET2_T3_PNSL_ISQ_E10value_typeET4_jRbjT5_SW_jjP12ihipStream_tbEUlT_E_NS1_11comp_targetILNS1_3genE10ELNS1_11target_archE1201ELNS1_3gpuE5ELNS1_3repE0EEENS1_30default_config_static_selectorELNS0_4arch9wavefront6targetE1EEEvSK_.private_seg_size, 0
	.set _ZN7rocprim17ROCPRIM_400000_NS6detail17trampoline_kernelINS0_14default_configENS1_36segmented_radix_sort_config_selectorIhlEEZNS1_25segmented_radix_sort_implIS3_Lb1EPKhPhPKlPlN2at6native12_GLOBAL__N_18offset_tEEE10hipError_tPvRmT1_PNSt15iterator_traitsISK_E10value_typeET2_T3_PNSL_ISQ_E10value_typeET4_jRbjT5_SW_jjP12ihipStream_tbEUlT_E_NS1_11comp_targetILNS1_3genE10ELNS1_11target_archE1201ELNS1_3gpuE5ELNS1_3repE0EEENS1_30default_config_static_selectorELNS0_4arch9wavefront6targetE1EEEvSK_.uses_vcc, 0
	.set _ZN7rocprim17ROCPRIM_400000_NS6detail17trampoline_kernelINS0_14default_configENS1_36segmented_radix_sort_config_selectorIhlEEZNS1_25segmented_radix_sort_implIS3_Lb1EPKhPhPKlPlN2at6native12_GLOBAL__N_18offset_tEEE10hipError_tPvRmT1_PNSt15iterator_traitsISK_E10value_typeET2_T3_PNSL_ISQ_E10value_typeET4_jRbjT5_SW_jjP12ihipStream_tbEUlT_E_NS1_11comp_targetILNS1_3genE10ELNS1_11target_archE1201ELNS1_3gpuE5ELNS1_3repE0EEENS1_30default_config_static_selectorELNS0_4arch9wavefront6targetE1EEEvSK_.uses_flat_scratch, 0
	.set _ZN7rocprim17ROCPRIM_400000_NS6detail17trampoline_kernelINS0_14default_configENS1_36segmented_radix_sort_config_selectorIhlEEZNS1_25segmented_radix_sort_implIS3_Lb1EPKhPhPKlPlN2at6native12_GLOBAL__N_18offset_tEEE10hipError_tPvRmT1_PNSt15iterator_traitsISK_E10value_typeET2_T3_PNSL_ISQ_E10value_typeET4_jRbjT5_SW_jjP12ihipStream_tbEUlT_E_NS1_11comp_targetILNS1_3genE10ELNS1_11target_archE1201ELNS1_3gpuE5ELNS1_3repE0EEENS1_30default_config_static_selectorELNS0_4arch9wavefront6targetE1EEEvSK_.has_dyn_sized_stack, 0
	.set _ZN7rocprim17ROCPRIM_400000_NS6detail17trampoline_kernelINS0_14default_configENS1_36segmented_radix_sort_config_selectorIhlEEZNS1_25segmented_radix_sort_implIS3_Lb1EPKhPhPKlPlN2at6native12_GLOBAL__N_18offset_tEEE10hipError_tPvRmT1_PNSt15iterator_traitsISK_E10value_typeET2_T3_PNSL_ISQ_E10value_typeET4_jRbjT5_SW_jjP12ihipStream_tbEUlT_E_NS1_11comp_targetILNS1_3genE10ELNS1_11target_archE1201ELNS1_3gpuE5ELNS1_3repE0EEENS1_30default_config_static_selectorELNS0_4arch9wavefront6targetE1EEEvSK_.has_recursion, 0
	.set _ZN7rocprim17ROCPRIM_400000_NS6detail17trampoline_kernelINS0_14default_configENS1_36segmented_radix_sort_config_selectorIhlEEZNS1_25segmented_radix_sort_implIS3_Lb1EPKhPhPKlPlN2at6native12_GLOBAL__N_18offset_tEEE10hipError_tPvRmT1_PNSt15iterator_traitsISK_E10value_typeET2_T3_PNSL_ISQ_E10value_typeET4_jRbjT5_SW_jjP12ihipStream_tbEUlT_E_NS1_11comp_targetILNS1_3genE10ELNS1_11target_archE1201ELNS1_3gpuE5ELNS1_3repE0EEENS1_30default_config_static_selectorELNS0_4arch9wavefront6targetE1EEEvSK_.has_indirect_call, 0
	.section	.AMDGPU.csdata,"",@progbits
; Kernel info:
; codeLenInByte = 0
; TotalNumSgprs: 4
; NumVgprs: 0
; ScratchSize: 0
; MemoryBound: 0
; FloatMode: 240
; IeeeMode: 1
; LDSByteSize: 0 bytes/workgroup (compile time only)
; SGPRBlocks: 0
; VGPRBlocks: 0
; NumSGPRsForWavesPerEU: 4
; NumVGPRsForWavesPerEU: 1
; Occupancy: 10
; WaveLimiterHint : 0
; COMPUTE_PGM_RSRC2:SCRATCH_EN: 0
; COMPUTE_PGM_RSRC2:USER_SGPR: 6
; COMPUTE_PGM_RSRC2:TRAP_HANDLER: 0
; COMPUTE_PGM_RSRC2:TGID_X_EN: 1
; COMPUTE_PGM_RSRC2:TGID_Y_EN: 0
; COMPUTE_PGM_RSRC2:TGID_Z_EN: 0
; COMPUTE_PGM_RSRC2:TIDIG_COMP_CNT: 0
	.section	.text._ZN7rocprim17ROCPRIM_400000_NS6detail17trampoline_kernelINS0_14default_configENS1_36segmented_radix_sort_config_selectorIhlEEZNS1_25segmented_radix_sort_implIS3_Lb1EPKhPhPKlPlN2at6native12_GLOBAL__N_18offset_tEEE10hipError_tPvRmT1_PNSt15iterator_traitsISK_E10value_typeET2_T3_PNSL_ISQ_E10value_typeET4_jRbjT5_SW_jjP12ihipStream_tbEUlT_E_NS1_11comp_targetILNS1_3genE10ELNS1_11target_archE1200ELNS1_3gpuE4ELNS1_3repE0EEENS1_30default_config_static_selectorELNS0_4arch9wavefront6targetE1EEEvSK_,"axG",@progbits,_ZN7rocprim17ROCPRIM_400000_NS6detail17trampoline_kernelINS0_14default_configENS1_36segmented_radix_sort_config_selectorIhlEEZNS1_25segmented_radix_sort_implIS3_Lb1EPKhPhPKlPlN2at6native12_GLOBAL__N_18offset_tEEE10hipError_tPvRmT1_PNSt15iterator_traitsISK_E10value_typeET2_T3_PNSL_ISQ_E10value_typeET4_jRbjT5_SW_jjP12ihipStream_tbEUlT_E_NS1_11comp_targetILNS1_3genE10ELNS1_11target_archE1200ELNS1_3gpuE4ELNS1_3repE0EEENS1_30default_config_static_selectorELNS0_4arch9wavefront6targetE1EEEvSK_,comdat
	.globl	_ZN7rocprim17ROCPRIM_400000_NS6detail17trampoline_kernelINS0_14default_configENS1_36segmented_radix_sort_config_selectorIhlEEZNS1_25segmented_radix_sort_implIS3_Lb1EPKhPhPKlPlN2at6native12_GLOBAL__N_18offset_tEEE10hipError_tPvRmT1_PNSt15iterator_traitsISK_E10value_typeET2_T3_PNSL_ISQ_E10value_typeET4_jRbjT5_SW_jjP12ihipStream_tbEUlT_E_NS1_11comp_targetILNS1_3genE10ELNS1_11target_archE1200ELNS1_3gpuE4ELNS1_3repE0EEENS1_30default_config_static_selectorELNS0_4arch9wavefront6targetE1EEEvSK_ ; -- Begin function _ZN7rocprim17ROCPRIM_400000_NS6detail17trampoline_kernelINS0_14default_configENS1_36segmented_radix_sort_config_selectorIhlEEZNS1_25segmented_radix_sort_implIS3_Lb1EPKhPhPKlPlN2at6native12_GLOBAL__N_18offset_tEEE10hipError_tPvRmT1_PNSt15iterator_traitsISK_E10value_typeET2_T3_PNSL_ISQ_E10value_typeET4_jRbjT5_SW_jjP12ihipStream_tbEUlT_E_NS1_11comp_targetILNS1_3genE10ELNS1_11target_archE1200ELNS1_3gpuE4ELNS1_3repE0EEENS1_30default_config_static_selectorELNS0_4arch9wavefront6targetE1EEEvSK_
	.p2align	8
	.type	_ZN7rocprim17ROCPRIM_400000_NS6detail17trampoline_kernelINS0_14default_configENS1_36segmented_radix_sort_config_selectorIhlEEZNS1_25segmented_radix_sort_implIS3_Lb1EPKhPhPKlPlN2at6native12_GLOBAL__N_18offset_tEEE10hipError_tPvRmT1_PNSt15iterator_traitsISK_E10value_typeET2_T3_PNSL_ISQ_E10value_typeET4_jRbjT5_SW_jjP12ihipStream_tbEUlT_E_NS1_11comp_targetILNS1_3genE10ELNS1_11target_archE1200ELNS1_3gpuE4ELNS1_3repE0EEENS1_30default_config_static_selectorELNS0_4arch9wavefront6targetE1EEEvSK_,@function
_ZN7rocprim17ROCPRIM_400000_NS6detail17trampoline_kernelINS0_14default_configENS1_36segmented_radix_sort_config_selectorIhlEEZNS1_25segmented_radix_sort_implIS3_Lb1EPKhPhPKlPlN2at6native12_GLOBAL__N_18offset_tEEE10hipError_tPvRmT1_PNSt15iterator_traitsISK_E10value_typeET2_T3_PNSL_ISQ_E10value_typeET4_jRbjT5_SW_jjP12ihipStream_tbEUlT_E_NS1_11comp_targetILNS1_3genE10ELNS1_11target_archE1200ELNS1_3gpuE4ELNS1_3repE0EEENS1_30default_config_static_selectorELNS0_4arch9wavefront6targetE1EEEvSK_: ; @_ZN7rocprim17ROCPRIM_400000_NS6detail17trampoline_kernelINS0_14default_configENS1_36segmented_radix_sort_config_selectorIhlEEZNS1_25segmented_radix_sort_implIS3_Lb1EPKhPhPKlPlN2at6native12_GLOBAL__N_18offset_tEEE10hipError_tPvRmT1_PNSt15iterator_traitsISK_E10value_typeET2_T3_PNSL_ISQ_E10value_typeET4_jRbjT5_SW_jjP12ihipStream_tbEUlT_E_NS1_11comp_targetILNS1_3genE10ELNS1_11target_archE1200ELNS1_3gpuE4ELNS1_3repE0EEENS1_30default_config_static_selectorELNS0_4arch9wavefront6targetE1EEEvSK_
; %bb.0:
	.section	.rodata,"a",@progbits
	.p2align	6, 0x0
	.amdhsa_kernel _ZN7rocprim17ROCPRIM_400000_NS6detail17trampoline_kernelINS0_14default_configENS1_36segmented_radix_sort_config_selectorIhlEEZNS1_25segmented_radix_sort_implIS3_Lb1EPKhPhPKlPlN2at6native12_GLOBAL__N_18offset_tEEE10hipError_tPvRmT1_PNSt15iterator_traitsISK_E10value_typeET2_T3_PNSL_ISQ_E10value_typeET4_jRbjT5_SW_jjP12ihipStream_tbEUlT_E_NS1_11comp_targetILNS1_3genE10ELNS1_11target_archE1200ELNS1_3gpuE4ELNS1_3repE0EEENS1_30default_config_static_selectorELNS0_4arch9wavefront6targetE1EEEvSK_
		.amdhsa_group_segment_fixed_size 0
		.amdhsa_private_segment_fixed_size 0
		.amdhsa_kernarg_size 96
		.amdhsa_user_sgpr_count 6
		.amdhsa_user_sgpr_private_segment_buffer 1
		.amdhsa_user_sgpr_dispatch_ptr 0
		.amdhsa_user_sgpr_queue_ptr 0
		.amdhsa_user_sgpr_kernarg_segment_ptr 1
		.amdhsa_user_sgpr_dispatch_id 0
		.amdhsa_user_sgpr_flat_scratch_init 0
		.amdhsa_user_sgpr_private_segment_size 0
		.amdhsa_uses_dynamic_stack 0
		.amdhsa_system_sgpr_private_segment_wavefront_offset 0
		.amdhsa_system_sgpr_workgroup_id_x 1
		.amdhsa_system_sgpr_workgroup_id_y 0
		.amdhsa_system_sgpr_workgroup_id_z 0
		.amdhsa_system_sgpr_workgroup_info 0
		.amdhsa_system_vgpr_workitem_id 0
		.amdhsa_next_free_vgpr 1
		.amdhsa_next_free_sgpr 0
		.amdhsa_reserve_vcc 0
		.amdhsa_reserve_flat_scratch 0
		.amdhsa_float_round_mode_32 0
		.amdhsa_float_round_mode_16_64 0
		.amdhsa_float_denorm_mode_32 3
		.amdhsa_float_denorm_mode_16_64 3
		.amdhsa_dx10_clamp 1
		.amdhsa_ieee_mode 1
		.amdhsa_fp16_overflow 0
		.amdhsa_exception_fp_ieee_invalid_op 0
		.amdhsa_exception_fp_denorm_src 0
		.amdhsa_exception_fp_ieee_div_zero 0
		.amdhsa_exception_fp_ieee_overflow 0
		.amdhsa_exception_fp_ieee_underflow 0
		.amdhsa_exception_fp_ieee_inexact 0
		.amdhsa_exception_int_div_zero 0
	.end_amdhsa_kernel
	.section	.text._ZN7rocprim17ROCPRIM_400000_NS6detail17trampoline_kernelINS0_14default_configENS1_36segmented_radix_sort_config_selectorIhlEEZNS1_25segmented_radix_sort_implIS3_Lb1EPKhPhPKlPlN2at6native12_GLOBAL__N_18offset_tEEE10hipError_tPvRmT1_PNSt15iterator_traitsISK_E10value_typeET2_T3_PNSL_ISQ_E10value_typeET4_jRbjT5_SW_jjP12ihipStream_tbEUlT_E_NS1_11comp_targetILNS1_3genE10ELNS1_11target_archE1200ELNS1_3gpuE4ELNS1_3repE0EEENS1_30default_config_static_selectorELNS0_4arch9wavefront6targetE1EEEvSK_,"axG",@progbits,_ZN7rocprim17ROCPRIM_400000_NS6detail17trampoline_kernelINS0_14default_configENS1_36segmented_radix_sort_config_selectorIhlEEZNS1_25segmented_radix_sort_implIS3_Lb1EPKhPhPKlPlN2at6native12_GLOBAL__N_18offset_tEEE10hipError_tPvRmT1_PNSt15iterator_traitsISK_E10value_typeET2_T3_PNSL_ISQ_E10value_typeET4_jRbjT5_SW_jjP12ihipStream_tbEUlT_E_NS1_11comp_targetILNS1_3genE10ELNS1_11target_archE1200ELNS1_3gpuE4ELNS1_3repE0EEENS1_30default_config_static_selectorELNS0_4arch9wavefront6targetE1EEEvSK_,comdat
.Lfunc_end90:
	.size	_ZN7rocprim17ROCPRIM_400000_NS6detail17trampoline_kernelINS0_14default_configENS1_36segmented_radix_sort_config_selectorIhlEEZNS1_25segmented_radix_sort_implIS3_Lb1EPKhPhPKlPlN2at6native12_GLOBAL__N_18offset_tEEE10hipError_tPvRmT1_PNSt15iterator_traitsISK_E10value_typeET2_T3_PNSL_ISQ_E10value_typeET4_jRbjT5_SW_jjP12ihipStream_tbEUlT_E_NS1_11comp_targetILNS1_3genE10ELNS1_11target_archE1200ELNS1_3gpuE4ELNS1_3repE0EEENS1_30default_config_static_selectorELNS0_4arch9wavefront6targetE1EEEvSK_, .Lfunc_end90-_ZN7rocprim17ROCPRIM_400000_NS6detail17trampoline_kernelINS0_14default_configENS1_36segmented_radix_sort_config_selectorIhlEEZNS1_25segmented_radix_sort_implIS3_Lb1EPKhPhPKlPlN2at6native12_GLOBAL__N_18offset_tEEE10hipError_tPvRmT1_PNSt15iterator_traitsISK_E10value_typeET2_T3_PNSL_ISQ_E10value_typeET4_jRbjT5_SW_jjP12ihipStream_tbEUlT_E_NS1_11comp_targetILNS1_3genE10ELNS1_11target_archE1200ELNS1_3gpuE4ELNS1_3repE0EEENS1_30default_config_static_selectorELNS0_4arch9wavefront6targetE1EEEvSK_
                                        ; -- End function
	.set _ZN7rocprim17ROCPRIM_400000_NS6detail17trampoline_kernelINS0_14default_configENS1_36segmented_radix_sort_config_selectorIhlEEZNS1_25segmented_radix_sort_implIS3_Lb1EPKhPhPKlPlN2at6native12_GLOBAL__N_18offset_tEEE10hipError_tPvRmT1_PNSt15iterator_traitsISK_E10value_typeET2_T3_PNSL_ISQ_E10value_typeET4_jRbjT5_SW_jjP12ihipStream_tbEUlT_E_NS1_11comp_targetILNS1_3genE10ELNS1_11target_archE1200ELNS1_3gpuE4ELNS1_3repE0EEENS1_30default_config_static_selectorELNS0_4arch9wavefront6targetE1EEEvSK_.num_vgpr, 0
	.set _ZN7rocprim17ROCPRIM_400000_NS6detail17trampoline_kernelINS0_14default_configENS1_36segmented_radix_sort_config_selectorIhlEEZNS1_25segmented_radix_sort_implIS3_Lb1EPKhPhPKlPlN2at6native12_GLOBAL__N_18offset_tEEE10hipError_tPvRmT1_PNSt15iterator_traitsISK_E10value_typeET2_T3_PNSL_ISQ_E10value_typeET4_jRbjT5_SW_jjP12ihipStream_tbEUlT_E_NS1_11comp_targetILNS1_3genE10ELNS1_11target_archE1200ELNS1_3gpuE4ELNS1_3repE0EEENS1_30default_config_static_selectorELNS0_4arch9wavefront6targetE1EEEvSK_.num_agpr, 0
	.set _ZN7rocprim17ROCPRIM_400000_NS6detail17trampoline_kernelINS0_14default_configENS1_36segmented_radix_sort_config_selectorIhlEEZNS1_25segmented_radix_sort_implIS3_Lb1EPKhPhPKlPlN2at6native12_GLOBAL__N_18offset_tEEE10hipError_tPvRmT1_PNSt15iterator_traitsISK_E10value_typeET2_T3_PNSL_ISQ_E10value_typeET4_jRbjT5_SW_jjP12ihipStream_tbEUlT_E_NS1_11comp_targetILNS1_3genE10ELNS1_11target_archE1200ELNS1_3gpuE4ELNS1_3repE0EEENS1_30default_config_static_selectorELNS0_4arch9wavefront6targetE1EEEvSK_.numbered_sgpr, 0
	.set _ZN7rocprim17ROCPRIM_400000_NS6detail17trampoline_kernelINS0_14default_configENS1_36segmented_radix_sort_config_selectorIhlEEZNS1_25segmented_radix_sort_implIS3_Lb1EPKhPhPKlPlN2at6native12_GLOBAL__N_18offset_tEEE10hipError_tPvRmT1_PNSt15iterator_traitsISK_E10value_typeET2_T3_PNSL_ISQ_E10value_typeET4_jRbjT5_SW_jjP12ihipStream_tbEUlT_E_NS1_11comp_targetILNS1_3genE10ELNS1_11target_archE1200ELNS1_3gpuE4ELNS1_3repE0EEENS1_30default_config_static_selectorELNS0_4arch9wavefront6targetE1EEEvSK_.num_named_barrier, 0
	.set _ZN7rocprim17ROCPRIM_400000_NS6detail17trampoline_kernelINS0_14default_configENS1_36segmented_radix_sort_config_selectorIhlEEZNS1_25segmented_radix_sort_implIS3_Lb1EPKhPhPKlPlN2at6native12_GLOBAL__N_18offset_tEEE10hipError_tPvRmT1_PNSt15iterator_traitsISK_E10value_typeET2_T3_PNSL_ISQ_E10value_typeET4_jRbjT5_SW_jjP12ihipStream_tbEUlT_E_NS1_11comp_targetILNS1_3genE10ELNS1_11target_archE1200ELNS1_3gpuE4ELNS1_3repE0EEENS1_30default_config_static_selectorELNS0_4arch9wavefront6targetE1EEEvSK_.private_seg_size, 0
	.set _ZN7rocprim17ROCPRIM_400000_NS6detail17trampoline_kernelINS0_14default_configENS1_36segmented_radix_sort_config_selectorIhlEEZNS1_25segmented_radix_sort_implIS3_Lb1EPKhPhPKlPlN2at6native12_GLOBAL__N_18offset_tEEE10hipError_tPvRmT1_PNSt15iterator_traitsISK_E10value_typeET2_T3_PNSL_ISQ_E10value_typeET4_jRbjT5_SW_jjP12ihipStream_tbEUlT_E_NS1_11comp_targetILNS1_3genE10ELNS1_11target_archE1200ELNS1_3gpuE4ELNS1_3repE0EEENS1_30default_config_static_selectorELNS0_4arch9wavefront6targetE1EEEvSK_.uses_vcc, 0
	.set _ZN7rocprim17ROCPRIM_400000_NS6detail17trampoline_kernelINS0_14default_configENS1_36segmented_radix_sort_config_selectorIhlEEZNS1_25segmented_radix_sort_implIS3_Lb1EPKhPhPKlPlN2at6native12_GLOBAL__N_18offset_tEEE10hipError_tPvRmT1_PNSt15iterator_traitsISK_E10value_typeET2_T3_PNSL_ISQ_E10value_typeET4_jRbjT5_SW_jjP12ihipStream_tbEUlT_E_NS1_11comp_targetILNS1_3genE10ELNS1_11target_archE1200ELNS1_3gpuE4ELNS1_3repE0EEENS1_30default_config_static_selectorELNS0_4arch9wavefront6targetE1EEEvSK_.uses_flat_scratch, 0
	.set _ZN7rocprim17ROCPRIM_400000_NS6detail17trampoline_kernelINS0_14default_configENS1_36segmented_radix_sort_config_selectorIhlEEZNS1_25segmented_radix_sort_implIS3_Lb1EPKhPhPKlPlN2at6native12_GLOBAL__N_18offset_tEEE10hipError_tPvRmT1_PNSt15iterator_traitsISK_E10value_typeET2_T3_PNSL_ISQ_E10value_typeET4_jRbjT5_SW_jjP12ihipStream_tbEUlT_E_NS1_11comp_targetILNS1_3genE10ELNS1_11target_archE1200ELNS1_3gpuE4ELNS1_3repE0EEENS1_30default_config_static_selectorELNS0_4arch9wavefront6targetE1EEEvSK_.has_dyn_sized_stack, 0
	.set _ZN7rocprim17ROCPRIM_400000_NS6detail17trampoline_kernelINS0_14default_configENS1_36segmented_radix_sort_config_selectorIhlEEZNS1_25segmented_radix_sort_implIS3_Lb1EPKhPhPKlPlN2at6native12_GLOBAL__N_18offset_tEEE10hipError_tPvRmT1_PNSt15iterator_traitsISK_E10value_typeET2_T3_PNSL_ISQ_E10value_typeET4_jRbjT5_SW_jjP12ihipStream_tbEUlT_E_NS1_11comp_targetILNS1_3genE10ELNS1_11target_archE1200ELNS1_3gpuE4ELNS1_3repE0EEENS1_30default_config_static_selectorELNS0_4arch9wavefront6targetE1EEEvSK_.has_recursion, 0
	.set _ZN7rocprim17ROCPRIM_400000_NS6detail17trampoline_kernelINS0_14default_configENS1_36segmented_radix_sort_config_selectorIhlEEZNS1_25segmented_radix_sort_implIS3_Lb1EPKhPhPKlPlN2at6native12_GLOBAL__N_18offset_tEEE10hipError_tPvRmT1_PNSt15iterator_traitsISK_E10value_typeET2_T3_PNSL_ISQ_E10value_typeET4_jRbjT5_SW_jjP12ihipStream_tbEUlT_E_NS1_11comp_targetILNS1_3genE10ELNS1_11target_archE1200ELNS1_3gpuE4ELNS1_3repE0EEENS1_30default_config_static_selectorELNS0_4arch9wavefront6targetE1EEEvSK_.has_indirect_call, 0
	.section	.AMDGPU.csdata,"",@progbits
; Kernel info:
; codeLenInByte = 0
; TotalNumSgprs: 4
; NumVgprs: 0
; ScratchSize: 0
; MemoryBound: 0
; FloatMode: 240
; IeeeMode: 1
; LDSByteSize: 0 bytes/workgroup (compile time only)
; SGPRBlocks: 0
; VGPRBlocks: 0
; NumSGPRsForWavesPerEU: 4
; NumVGPRsForWavesPerEU: 1
; Occupancy: 10
; WaveLimiterHint : 0
; COMPUTE_PGM_RSRC2:SCRATCH_EN: 0
; COMPUTE_PGM_RSRC2:USER_SGPR: 6
; COMPUTE_PGM_RSRC2:TRAP_HANDLER: 0
; COMPUTE_PGM_RSRC2:TGID_X_EN: 1
; COMPUTE_PGM_RSRC2:TGID_Y_EN: 0
; COMPUTE_PGM_RSRC2:TGID_Z_EN: 0
; COMPUTE_PGM_RSRC2:TIDIG_COMP_CNT: 0
	.section	.text._ZN7rocprim17ROCPRIM_400000_NS6detail17trampoline_kernelINS0_14default_configENS1_36segmented_radix_sort_config_selectorIhlEEZNS1_25segmented_radix_sort_implIS3_Lb1EPKhPhPKlPlN2at6native12_GLOBAL__N_18offset_tEEE10hipError_tPvRmT1_PNSt15iterator_traitsISK_E10value_typeET2_T3_PNSL_ISQ_E10value_typeET4_jRbjT5_SW_jjP12ihipStream_tbEUlT_E_NS1_11comp_targetILNS1_3genE9ELNS1_11target_archE1100ELNS1_3gpuE3ELNS1_3repE0EEENS1_30default_config_static_selectorELNS0_4arch9wavefront6targetE1EEEvSK_,"axG",@progbits,_ZN7rocprim17ROCPRIM_400000_NS6detail17trampoline_kernelINS0_14default_configENS1_36segmented_radix_sort_config_selectorIhlEEZNS1_25segmented_radix_sort_implIS3_Lb1EPKhPhPKlPlN2at6native12_GLOBAL__N_18offset_tEEE10hipError_tPvRmT1_PNSt15iterator_traitsISK_E10value_typeET2_T3_PNSL_ISQ_E10value_typeET4_jRbjT5_SW_jjP12ihipStream_tbEUlT_E_NS1_11comp_targetILNS1_3genE9ELNS1_11target_archE1100ELNS1_3gpuE3ELNS1_3repE0EEENS1_30default_config_static_selectorELNS0_4arch9wavefront6targetE1EEEvSK_,comdat
	.globl	_ZN7rocprim17ROCPRIM_400000_NS6detail17trampoline_kernelINS0_14default_configENS1_36segmented_radix_sort_config_selectorIhlEEZNS1_25segmented_radix_sort_implIS3_Lb1EPKhPhPKlPlN2at6native12_GLOBAL__N_18offset_tEEE10hipError_tPvRmT1_PNSt15iterator_traitsISK_E10value_typeET2_T3_PNSL_ISQ_E10value_typeET4_jRbjT5_SW_jjP12ihipStream_tbEUlT_E_NS1_11comp_targetILNS1_3genE9ELNS1_11target_archE1100ELNS1_3gpuE3ELNS1_3repE0EEENS1_30default_config_static_selectorELNS0_4arch9wavefront6targetE1EEEvSK_ ; -- Begin function _ZN7rocprim17ROCPRIM_400000_NS6detail17trampoline_kernelINS0_14default_configENS1_36segmented_radix_sort_config_selectorIhlEEZNS1_25segmented_radix_sort_implIS3_Lb1EPKhPhPKlPlN2at6native12_GLOBAL__N_18offset_tEEE10hipError_tPvRmT1_PNSt15iterator_traitsISK_E10value_typeET2_T3_PNSL_ISQ_E10value_typeET4_jRbjT5_SW_jjP12ihipStream_tbEUlT_E_NS1_11comp_targetILNS1_3genE9ELNS1_11target_archE1100ELNS1_3gpuE3ELNS1_3repE0EEENS1_30default_config_static_selectorELNS0_4arch9wavefront6targetE1EEEvSK_
	.p2align	8
	.type	_ZN7rocprim17ROCPRIM_400000_NS6detail17trampoline_kernelINS0_14default_configENS1_36segmented_radix_sort_config_selectorIhlEEZNS1_25segmented_radix_sort_implIS3_Lb1EPKhPhPKlPlN2at6native12_GLOBAL__N_18offset_tEEE10hipError_tPvRmT1_PNSt15iterator_traitsISK_E10value_typeET2_T3_PNSL_ISQ_E10value_typeET4_jRbjT5_SW_jjP12ihipStream_tbEUlT_E_NS1_11comp_targetILNS1_3genE9ELNS1_11target_archE1100ELNS1_3gpuE3ELNS1_3repE0EEENS1_30default_config_static_selectorELNS0_4arch9wavefront6targetE1EEEvSK_,@function
_ZN7rocprim17ROCPRIM_400000_NS6detail17trampoline_kernelINS0_14default_configENS1_36segmented_radix_sort_config_selectorIhlEEZNS1_25segmented_radix_sort_implIS3_Lb1EPKhPhPKlPlN2at6native12_GLOBAL__N_18offset_tEEE10hipError_tPvRmT1_PNSt15iterator_traitsISK_E10value_typeET2_T3_PNSL_ISQ_E10value_typeET4_jRbjT5_SW_jjP12ihipStream_tbEUlT_E_NS1_11comp_targetILNS1_3genE9ELNS1_11target_archE1100ELNS1_3gpuE3ELNS1_3repE0EEENS1_30default_config_static_selectorELNS0_4arch9wavefront6targetE1EEEvSK_: ; @_ZN7rocprim17ROCPRIM_400000_NS6detail17trampoline_kernelINS0_14default_configENS1_36segmented_radix_sort_config_selectorIhlEEZNS1_25segmented_radix_sort_implIS3_Lb1EPKhPhPKlPlN2at6native12_GLOBAL__N_18offset_tEEE10hipError_tPvRmT1_PNSt15iterator_traitsISK_E10value_typeET2_T3_PNSL_ISQ_E10value_typeET4_jRbjT5_SW_jjP12ihipStream_tbEUlT_E_NS1_11comp_targetILNS1_3genE9ELNS1_11target_archE1100ELNS1_3gpuE3ELNS1_3repE0EEENS1_30default_config_static_selectorELNS0_4arch9wavefront6targetE1EEEvSK_
; %bb.0:
	.section	.rodata,"a",@progbits
	.p2align	6, 0x0
	.amdhsa_kernel _ZN7rocprim17ROCPRIM_400000_NS6detail17trampoline_kernelINS0_14default_configENS1_36segmented_radix_sort_config_selectorIhlEEZNS1_25segmented_radix_sort_implIS3_Lb1EPKhPhPKlPlN2at6native12_GLOBAL__N_18offset_tEEE10hipError_tPvRmT1_PNSt15iterator_traitsISK_E10value_typeET2_T3_PNSL_ISQ_E10value_typeET4_jRbjT5_SW_jjP12ihipStream_tbEUlT_E_NS1_11comp_targetILNS1_3genE9ELNS1_11target_archE1100ELNS1_3gpuE3ELNS1_3repE0EEENS1_30default_config_static_selectorELNS0_4arch9wavefront6targetE1EEEvSK_
		.amdhsa_group_segment_fixed_size 0
		.amdhsa_private_segment_fixed_size 0
		.amdhsa_kernarg_size 96
		.amdhsa_user_sgpr_count 6
		.amdhsa_user_sgpr_private_segment_buffer 1
		.amdhsa_user_sgpr_dispatch_ptr 0
		.amdhsa_user_sgpr_queue_ptr 0
		.amdhsa_user_sgpr_kernarg_segment_ptr 1
		.amdhsa_user_sgpr_dispatch_id 0
		.amdhsa_user_sgpr_flat_scratch_init 0
		.amdhsa_user_sgpr_private_segment_size 0
		.amdhsa_uses_dynamic_stack 0
		.amdhsa_system_sgpr_private_segment_wavefront_offset 0
		.amdhsa_system_sgpr_workgroup_id_x 1
		.amdhsa_system_sgpr_workgroup_id_y 0
		.amdhsa_system_sgpr_workgroup_id_z 0
		.amdhsa_system_sgpr_workgroup_info 0
		.amdhsa_system_vgpr_workitem_id 0
		.amdhsa_next_free_vgpr 1
		.amdhsa_next_free_sgpr 0
		.amdhsa_reserve_vcc 0
		.amdhsa_reserve_flat_scratch 0
		.amdhsa_float_round_mode_32 0
		.amdhsa_float_round_mode_16_64 0
		.amdhsa_float_denorm_mode_32 3
		.amdhsa_float_denorm_mode_16_64 3
		.amdhsa_dx10_clamp 1
		.amdhsa_ieee_mode 1
		.amdhsa_fp16_overflow 0
		.amdhsa_exception_fp_ieee_invalid_op 0
		.amdhsa_exception_fp_denorm_src 0
		.amdhsa_exception_fp_ieee_div_zero 0
		.amdhsa_exception_fp_ieee_overflow 0
		.amdhsa_exception_fp_ieee_underflow 0
		.amdhsa_exception_fp_ieee_inexact 0
		.amdhsa_exception_int_div_zero 0
	.end_amdhsa_kernel
	.section	.text._ZN7rocprim17ROCPRIM_400000_NS6detail17trampoline_kernelINS0_14default_configENS1_36segmented_radix_sort_config_selectorIhlEEZNS1_25segmented_radix_sort_implIS3_Lb1EPKhPhPKlPlN2at6native12_GLOBAL__N_18offset_tEEE10hipError_tPvRmT1_PNSt15iterator_traitsISK_E10value_typeET2_T3_PNSL_ISQ_E10value_typeET4_jRbjT5_SW_jjP12ihipStream_tbEUlT_E_NS1_11comp_targetILNS1_3genE9ELNS1_11target_archE1100ELNS1_3gpuE3ELNS1_3repE0EEENS1_30default_config_static_selectorELNS0_4arch9wavefront6targetE1EEEvSK_,"axG",@progbits,_ZN7rocprim17ROCPRIM_400000_NS6detail17trampoline_kernelINS0_14default_configENS1_36segmented_radix_sort_config_selectorIhlEEZNS1_25segmented_radix_sort_implIS3_Lb1EPKhPhPKlPlN2at6native12_GLOBAL__N_18offset_tEEE10hipError_tPvRmT1_PNSt15iterator_traitsISK_E10value_typeET2_T3_PNSL_ISQ_E10value_typeET4_jRbjT5_SW_jjP12ihipStream_tbEUlT_E_NS1_11comp_targetILNS1_3genE9ELNS1_11target_archE1100ELNS1_3gpuE3ELNS1_3repE0EEENS1_30default_config_static_selectorELNS0_4arch9wavefront6targetE1EEEvSK_,comdat
.Lfunc_end91:
	.size	_ZN7rocprim17ROCPRIM_400000_NS6detail17trampoline_kernelINS0_14default_configENS1_36segmented_radix_sort_config_selectorIhlEEZNS1_25segmented_radix_sort_implIS3_Lb1EPKhPhPKlPlN2at6native12_GLOBAL__N_18offset_tEEE10hipError_tPvRmT1_PNSt15iterator_traitsISK_E10value_typeET2_T3_PNSL_ISQ_E10value_typeET4_jRbjT5_SW_jjP12ihipStream_tbEUlT_E_NS1_11comp_targetILNS1_3genE9ELNS1_11target_archE1100ELNS1_3gpuE3ELNS1_3repE0EEENS1_30default_config_static_selectorELNS0_4arch9wavefront6targetE1EEEvSK_, .Lfunc_end91-_ZN7rocprim17ROCPRIM_400000_NS6detail17trampoline_kernelINS0_14default_configENS1_36segmented_radix_sort_config_selectorIhlEEZNS1_25segmented_radix_sort_implIS3_Lb1EPKhPhPKlPlN2at6native12_GLOBAL__N_18offset_tEEE10hipError_tPvRmT1_PNSt15iterator_traitsISK_E10value_typeET2_T3_PNSL_ISQ_E10value_typeET4_jRbjT5_SW_jjP12ihipStream_tbEUlT_E_NS1_11comp_targetILNS1_3genE9ELNS1_11target_archE1100ELNS1_3gpuE3ELNS1_3repE0EEENS1_30default_config_static_selectorELNS0_4arch9wavefront6targetE1EEEvSK_
                                        ; -- End function
	.set _ZN7rocprim17ROCPRIM_400000_NS6detail17trampoline_kernelINS0_14default_configENS1_36segmented_radix_sort_config_selectorIhlEEZNS1_25segmented_radix_sort_implIS3_Lb1EPKhPhPKlPlN2at6native12_GLOBAL__N_18offset_tEEE10hipError_tPvRmT1_PNSt15iterator_traitsISK_E10value_typeET2_T3_PNSL_ISQ_E10value_typeET4_jRbjT5_SW_jjP12ihipStream_tbEUlT_E_NS1_11comp_targetILNS1_3genE9ELNS1_11target_archE1100ELNS1_3gpuE3ELNS1_3repE0EEENS1_30default_config_static_selectorELNS0_4arch9wavefront6targetE1EEEvSK_.num_vgpr, 0
	.set _ZN7rocprim17ROCPRIM_400000_NS6detail17trampoline_kernelINS0_14default_configENS1_36segmented_radix_sort_config_selectorIhlEEZNS1_25segmented_radix_sort_implIS3_Lb1EPKhPhPKlPlN2at6native12_GLOBAL__N_18offset_tEEE10hipError_tPvRmT1_PNSt15iterator_traitsISK_E10value_typeET2_T3_PNSL_ISQ_E10value_typeET4_jRbjT5_SW_jjP12ihipStream_tbEUlT_E_NS1_11comp_targetILNS1_3genE9ELNS1_11target_archE1100ELNS1_3gpuE3ELNS1_3repE0EEENS1_30default_config_static_selectorELNS0_4arch9wavefront6targetE1EEEvSK_.num_agpr, 0
	.set _ZN7rocprim17ROCPRIM_400000_NS6detail17trampoline_kernelINS0_14default_configENS1_36segmented_radix_sort_config_selectorIhlEEZNS1_25segmented_radix_sort_implIS3_Lb1EPKhPhPKlPlN2at6native12_GLOBAL__N_18offset_tEEE10hipError_tPvRmT1_PNSt15iterator_traitsISK_E10value_typeET2_T3_PNSL_ISQ_E10value_typeET4_jRbjT5_SW_jjP12ihipStream_tbEUlT_E_NS1_11comp_targetILNS1_3genE9ELNS1_11target_archE1100ELNS1_3gpuE3ELNS1_3repE0EEENS1_30default_config_static_selectorELNS0_4arch9wavefront6targetE1EEEvSK_.numbered_sgpr, 0
	.set _ZN7rocprim17ROCPRIM_400000_NS6detail17trampoline_kernelINS0_14default_configENS1_36segmented_radix_sort_config_selectorIhlEEZNS1_25segmented_radix_sort_implIS3_Lb1EPKhPhPKlPlN2at6native12_GLOBAL__N_18offset_tEEE10hipError_tPvRmT1_PNSt15iterator_traitsISK_E10value_typeET2_T3_PNSL_ISQ_E10value_typeET4_jRbjT5_SW_jjP12ihipStream_tbEUlT_E_NS1_11comp_targetILNS1_3genE9ELNS1_11target_archE1100ELNS1_3gpuE3ELNS1_3repE0EEENS1_30default_config_static_selectorELNS0_4arch9wavefront6targetE1EEEvSK_.num_named_barrier, 0
	.set _ZN7rocprim17ROCPRIM_400000_NS6detail17trampoline_kernelINS0_14default_configENS1_36segmented_radix_sort_config_selectorIhlEEZNS1_25segmented_radix_sort_implIS3_Lb1EPKhPhPKlPlN2at6native12_GLOBAL__N_18offset_tEEE10hipError_tPvRmT1_PNSt15iterator_traitsISK_E10value_typeET2_T3_PNSL_ISQ_E10value_typeET4_jRbjT5_SW_jjP12ihipStream_tbEUlT_E_NS1_11comp_targetILNS1_3genE9ELNS1_11target_archE1100ELNS1_3gpuE3ELNS1_3repE0EEENS1_30default_config_static_selectorELNS0_4arch9wavefront6targetE1EEEvSK_.private_seg_size, 0
	.set _ZN7rocprim17ROCPRIM_400000_NS6detail17trampoline_kernelINS0_14default_configENS1_36segmented_radix_sort_config_selectorIhlEEZNS1_25segmented_radix_sort_implIS3_Lb1EPKhPhPKlPlN2at6native12_GLOBAL__N_18offset_tEEE10hipError_tPvRmT1_PNSt15iterator_traitsISK_E10value_typeET2_T3_PNSL_ISQ_E10value_typeET4_jRbjT5_SW_jjP12ihipStream_tbEUlT_E_NS1_11comp_targetILNS1_3genE9ELNS1_11target_archE1100ELNS1_3gpuE3ELNS1_3repE0EEENS1_30default_config_static_selectorELNS0_4arch9wavefront6targetE1EEEvSK_.uses_vcc, 0
	.set _ZN7rocprim17ROCPRIM_400000_NS6detail17trampoline_kernelINS0_14default_configENS1_36segmented_radix_sort_config_selectorIhlEEZNS1_25segmented_radix_sort_implIS3_Lb1EPKhPhPKlPlN2at6native12_GLOBAL__N_18offset_tEEE10hipError_tPvRmT1_PNSt15iterator_traitsISK_E10value_typeET2_T3_PNSL_ISQ_E10value_typeET4_jRbjT5_SW_jjP12ihipStream_tbEUlT_E_NS1_11comp_targetILNS1_3genE9ELNS1_11target_archE1100ELNS1_3gpuE3ELNS1_3repE0EEENS1_30default_config_static_selectorELNS0_4arch9wavefront6targetE1EEEvSK_.uses_flat_scratch, 0
	.set _ZN7rocprim17ROCPRIM_400000_NS6detail17trampoline_kernelINS0_14default_configENS1_36segmented_radix_sort_config_selectorIhlEEZNS1_25segmented_radix_sort_implIS3_Lb1EPKhPhPKlPlN2at6native12_GLOBAL__N_18offset_tEEE10hipError_tPvRmT1_PNSt15iterator_traitsISK_E10value_typeET2_T3_PNSL_ISQ_E10value_typeET4_jRbjT5_SW_jjP12ihipStream_tbEUlT_E_NS1_11comp_targetILNS1_3genE9ELNS1_11target_archE1100ELNS1_3gpuE3ELNS1_3repE0EEENS1_30default_config_static_selectorELNS0_4arch9wavefront6targetE1EEEvSK_.has_dyn_sized_stack, 0
	.set _ZN7rocprim17ROCPRIM_400000_NS6detail17trampoline_kernelINS0_14default_configENS1_36segmented_radix_sort_config_selectorIhlEEZNS1_25segmented_radix_sort_implIS3_Lb1EPKhPhPKlPlN2at6native12_GLOBAL__N_18offset_tEEE10hipError_tPvRmT1_PNSt15iterator_traitsISK_E10value_typeET2_T3_PNSL_ISQ_E10value_typeET4_jRbjT5_SW_jjP12ihipStream_tbEUlT_E_NS1_11comp_targetILNS1_3genE9ELNS1_11target_archE1100ELNS1_3gpuE3ELNS1_3repE0EEENS1_30default_config_static_selectorELNS0_4arch9wavefront6targetE1EEEvSK_.has_recursion, 0
	.set _ZN7rocprim17ROCPRIM_400000_NS6detail17trampoline_kernelINS0_14default_configENS1_36segmented_radix_sort_config_selectorIhlEEZNS1_25segmented_radix_sort_implIS3_Lb1EPKhPhPKlPlN2at6native12_GLOBAL__N_18offset_tEEE10hipError_tPvRmT1_PNSt15iterator_traitsISK_E10value_typeET2_T3_PNSL_ISQ_E10value_typeET4_jRbjT5_SW_jjP12ihipStream_tbEUlT_E_NS1_11comp_targetILNS1_3genE9ELNS1_11target_archE1100ELNS1_3gpuE3ELNS1_3repE0EEENS1_30default_config_static_selectorELNS0_4arch9wavefront6targetE1EEEvSK_.has_indirect_call, 0
	.section	.AMDGPU.csdata,"",@progbits
; Kernel info:
; codeLenInByte = 0
; TotalNumSgprs: 4
; NumVgprs: 0
; ScratchSize: 0
; MemoryBound: 0
; FloatMode: 240
; IeeeMode: 1
; LDSByteSize: 0 bytes/workgroup (compile time only)
; SGPRBlocks: 0
; VGPRBlocks: 0
; NumSGPRsForWavesPerEU: 4
; NumVGPRsForWavesPerEU: 1
; Occupancy: 10
; WaveLimiterHint : 0
; COMPUTE_PGM_RSRC2:SCRATCH_EN: 0
; COMPUTE_PGM_RSRC2:USER_SGPR: 6
; COMPUTE_PGM_RSRC2:TRAP_HANDLER: 0
; COMPUTE_PGM_RSRC2:TGID_X_EN: 1
; COMPUTE_PGM_RSRC2:TGID_Y_EN: 0
; COMPUTE_PGM_RSRC2:TGID_Z_EN: 0
; COMPUTE_PGM_RSRC2:TIDIG_COMP_CNT: 0
	.section	.text._ZN7rocprim17ROCPRIM_400000_NS6detail17trampoline_kernelINS0_14default_configENS1_36segmented_radix_sort_config_selectorIhlEEZNS1_25segmented_radix_sort_implIS3_Lb1EPKhPhPKlPlN2at6native12_GLOBAL__N_18offset_tEEE10hipError_tPvRmT1_PNSt15iterator_traitsISK_E10value_typeET2_T3_PNSL_ISQ_E10value_typeET4_jRbjT5_SW_jjP12ihipStream_tbEUlT_E_NS1_11comp_targetILNS1_3genE8ELNS1_11target_archE1030ELNS1_3gpuE2ELNS1_3repE0EEENS1_30default_config_static_selectorELNS0_4arch9wavefront6targetE1EEEvSK_,"axG",@progbits,_ZN7rocprim17ROCPRIM_400000_NS6detail17trampoline_kernelINS0_14default_configENS1_36segmented_radix_sort_config_selectorIhlEEZNS1_25segmented_radix_sort_implIS3_Lb1EPKhPhPKlPlN2at6native12_GLOBAL__N_18offset_tEEE10hipError_tPvRmT1_PNSt15iterator_traitsISK_E10value_typeET2_T3_PNSL_ISQ_E10value_typeET4_jRbjT5_SW_jjP12ihipStream_tbEUlT_E_NS1_11comp_targetILNS1_3genE8ELNS1_11target_archE1030ELNS1_3gpuE2ELNS1_3repE0EEENS1_30default_config_static_selectorELNS0_4arch9wavefront6targetE1EEEvSK_,comdat
	.globl	_ZN7rocprim17ROCPRIM_400000_NS6detail17trampoline_kernelINS0_14default_configENS1_36segmented_radix_sort_config_selectorIhlEEZNS1_25segmented_radix_sort_implIS3_Lb1EPKhPhPKlPlN2at6native12_GLOBAL__N_18offset_tEEE10hipError_tPvRmT1_PNSt15iterator_traitsISK_E10value_typeET2_T3_PNSL_ISQ_E10value_typeET4_jRbjT5_SW_jjP12ihipStream_tbEUlT_E_NS1_11comp_targetILNS1_3genE8ELNS1_11target_archE1030ELNS1_3gpuE2ELNS1_3repE0EEENS1_30default_config_static_selectorELNS0_4arch9wavefront6targetE1EEEvSK_ ; -- Begin function _ZN7rocprim17ROCPRIM_400000_NS6detail17trampoline_kernelINS0_14default_configENS1_36segmented_radix_sort_config_selectorIhlEEZNS1_25segmented_radix_sort_implIS3_Lb1EPKhPhPKlPlN2at6native12_GLOBAL__N_18offset_tEEE10hipError_tPvRmT1_PNSt15iterator_traitsISK_E10value_typeET2_T3_PNSL_ISQ_E10value_typeET4_jRbjT5_SW_jjP12ihipStream_tbEUlT_E_NS1_11comp_targetILNS1_3genE8ELNS1_11target_archE1030ELNS1_3gpuE2ELNS1_3repE0EEENS1_30default_config_static_selectorELNS0_4arch9wavefront6targetE1EEEvSK_
	.p2align	8
	.type	_ZN7rocprim17ROCPRIM_400000_NS6detail17trampoline_kernelINS0_14default_configENS1_36segmented_radix_sort_config_selectorIhlEEZNS1_25segmented_radix_sort_implIS3_Lb1EPKhPhPKlPlN2at6native12_GLOBAL__N_18offset_tEEE10hipError_tPvRmT1_PNSt15iterator_traitsISK_E10value_typeET2_T3_PNSL_ISQ_E10value_typeET4_jRbjT5_SW_jjP12ihipStream_tbEUlT_E_NS1_11comp_targetILNS1_3genE8ELNS1_11target_archE1030ELNS1_3gpuE2ELNS1_3repE0EEENS1_30default_config_static_selectorELNS0_4arch9wavefront6targetE1EEEvSK_,@function
_ZN7rocprim17ROCPRIM_400000_NS6detail17trampoline_kernelINS0_14default_configENS1_36segmented_radix_sort_config_selectorIhlEEZNS1_25segmented_radix_sort_implIS3_Lb1EPKhPhPKlPlN2at6native12_GLOBAL__N_18offset_tEEE10hipError_tPvRmT1_PNSt15iterator_traitsISK_E10value_typeET2_T3_PNSL_ISQ_E10value_typeET4_jRbjT5_SW_jjP12ihipStream_tbEUlT_E_NS1_11comp_targetILNS1_3genE8ELNS1_11target_archE1030ELNS1_3gpuE2ELNS1_3repE0EEENS1_30default_config_static_selectorELNS0_4arch9wavefront6targetE1EEEvSK_: ; @_ZN7rocprim17ROCPRIM_400000_NS6detail17trampoline_kernelINS0_14default_configENS1_36segmented_radix_sort_config_selectorIhlEEZNS1_25segmented_radix_sort_implIS3_Lb1EPKhPhPKlPlN2at6native12_GLOBAL__N_18offset_tEEE10hipError_tPvRmT1_PNSt15iterator_traitsISK_E10value_typeET2_T3_PNSL_ISQ_E10value_typeET4_jRbjT5_SW_jjP12ihipStream_tbEUlT_E_NS1_11comp_targetILNS1_3genE8ELNS1_11target_archE1030ELNS1_3gpuE2ELNS1_3repE0EEENS1_30default_config_static_selectorELNS0_4arch9wavefront6targetE1EEEvSK_
; %bb.0:
	.section	.rodata,"a",@progbits
	.p2align	6, 0x0
	.amdhsa_kernel _ZN7rocprim17ROCPRIM_400000_NS6detail17trampoline_kernelINS0_14default_configENS1_36segmented_radix_sort_config_selectorIhlEEZNS1_25segmented_radix_sort_implIS3_Lb1EPKhPhPKlPlN2at6native12_GLOBAL__N_18offset_tEEE10hipError_tPvRmT1_PNSt15iterator_traitsISK_E10value_typeET2_T3_PNSL_ISQ_E10value_typeET4_jRbjT5_SW_jjP12ihipStream_tbEUlT_E_NS1_11comp_targetILNS1_3genE8ELNS1_11target_archE1030ELNS1_3gpuE2ELNS1_3repE0EEENS1_30default_config_static_selectorELNS0_4arch9wavefront6targetE1EEEvSK_
		.amdhsa_group_segment_fixed_size 0
		.amdhsa_private_segment_fixed_size 0
		.amdhsa_kernarg_size 96
		.amdhsa_user_sgpr_count 6
		.amdhsa_user_sgpr_private_segment_buffer 1
		.amdhsa_user_sgpr_dispatch_ptr 0
		.amdhsa_user_sgpr_queue_ptr 0
		.amdhsa_user_sgpr_kernarg_segment_ptr 1
		.amdhsa_user_sgpr_dispatch_id 0
		.amdhsa_user_sgpr_flat_scratch_init 0
		.amdhsa_user_sgpr_private_segment_size 0
		.amdhsa_uses_dynamic_stack 0
		.amdhsa_system_sgpr_private_segment_wavefront_offset 0
		.amdhsa_system_sgpr_workgroup_id_x 1
		.amdhsa_system_sgpr_workgroup_id_y 0
		.amdhsa_system_sgpr_workgroup_id_z 0
		.amdhsa_system_sgpr_workgroup_info 0
		.amdhsa_system_vgpr_workitem_id 0
		.amdhsa_next_free_vgpr 1
		.amdhsa_next_free_sgpr 0
		.amdhsa_reserve_vcc 0
		.amdhsa_reserve_flat_scratch 0
		.amdhsa_float_round_mode_32 0
		.amdhsa_float_round_mode_16_64 0
		.amdhsa_float_denorm_mode_32 3
		.amdhsa_float_denorm_mode_16_64 3
		.amdhsa_dx10_clamp 1
		.amdhsa_ieee_mode 1
		.amdhsa_fp16_overflow 0
		.amdhsa_exception_fp_ieee_invalid_op 0
		.amdhsa_exception_fp_denorm_src 0
		.amdhsa_exception_fp_ieee_div_zero 0
		.amdhsa_exception_fp_ieee_overflow 0
		.amdhsa_exception_fp_ieee_underflow 0
		.amdhsa_exception_fp_ieee_inexact 0
		.amdhsa_exception_int_div_zero 0
	.end_amdhsa_kernel
	.section	.text._ZN7rocprim17ROCPRIM_400000_NS6detail17trampoline_kernelINS0_14default_configENS1_36segmented_radix_sort_config_selectorIhlEEZNS1_25segmented_radix_sort_implIS3_Lb1EPKhPhPKlPlN2at6native12_GLOBAL__N_18offset_tEEE10hipError_tPvRmT1_PNSt15iterator_traitsISK_E10value_typeET2_T3_PNSL_ISQ_E10value_typeET4_jRbjT5_SW_jjP12ihipStream_tbEUlT_E_NS1_11comp_targetILNS1_3genE8ELNS1_11target_archE1030ELNS1_3gpuE2ELNS1_3repE0EEENS1_30default_config_static_selectorELNS0_4arch9wavefront6targetE1EEEvSK_,"axG",@progbits,_ZN7rocprim17ROCPRIM_400000_NS6detail17trampoline_kernelINS0_14default_configENS1_36segmented_radix_sort_config_selectorIhlEEZNS1_25segmented_radix_sort_implIS3_Lb1EPKhPhPKlPlN2at6native12_GLOBAL__N_18offset_tEEE10hipError_tPvRmT1_PNSt15iterator_traitsISK_E10value_typeET2_T3_PNSL_ISQ_E10value_typeET4_jRbjT5_SW_jjP12ihipStream_tbEUlT_E_NS1_11comp_targetILNS1_3genE8ELNS1_11target_archE1030ELNS1_3gpuE2ELNS1_3repE0EEENS1_30default_config_static_selectorELNS0_4arch9wavefront6targetE1EEEvSK_,comdat
.Lfunc_end92:
	.size	_ZN7rocprim17ROCPRIM_400000_NS6detail17trampoline_kernelINS0_14default_configENS1_36segmented_radix_sort_config_selectorIhlEEZNS1_25segmented_radix_sort_implIS3_Lb1EPKhPhPKlPlN2at6native12_GLOBAL__N_18offset_tEEE10hipError_tPvRmT1_PNSt15iterator_traitsISK_E10value_typeET2_T3_PNSL_ISQ_E10value_typeET4_jRbjT5_SW_jjP12ihipStream_tbEUlT_E_NS1_11comp_targetILNS1_3genE8ELNS1_11target_archE1030ELNS1_3gpuE2ELNS1_3repE0EEENS1_30default_config_static_selectorELNS0_4arch9wavefront6targetE1EEEvSK_, .Lfunc_end92-_ZN7rocprim17ROCPRIM_400000_NS6detail17trampoline_kernelINS0_14default_configENS1_36segmented_radix_sort_config_selectorIhlEEZNS1_25segmented_radix_sort_implIS3_Lb1EPKhPhPKlPlN2at6native12_GLOBAL__N_18offset_tEEE10hipError_tPvRmT1_PNSt15iterator_traitsISK_E10value_typeET2_T3_PNSL_ISQ_E10value_typeET4_jRbjT5_SW_jjP12ihipStream_tbEUlT_E_NS1_11comp_targetILNS1_3genE8ELNS1_11target_archE1030ELNS1_3gpuE2ELNS1_3repE0EEENS1_30default_config_static_selectorELNS0_4arch9wavefront6targetE1EEEvSK_
                                        ; -- End function
	.set _ZN7rocprim17ROCPRIM_400000_NS6detail17trampoline_kernelINS0_14default_configENS1_36segmented_radix_sort_config_selectorIhlEEZNS1_25segmented_radix_sort_implIS3_Lb1EPKhPhPKlPlN2at6native12_GLOBAL__N_18offset_tEEE10hipError_tPvRmT1_PNSt15iterator_traitsISK_E10value_typeET2_T3_PNSL_ISQ_E10value_typeET4_jRbjT5_SW_jjP12ihipStream_tbEUlT_E_NS1_11comp_targetILNS1_3genE8ELNS1_11target_archE1030ELNS1_3gpuE2ELNS1_3repE0EEENS1_30default_config_static_selectorELNS0_4arch9wavefront6targetE1EEEvSK_.num_vgpr, 0
	.set _ZN7rocprim17ROCPRIM_400000_NS6detail17trampoline_kernelINS0_14default_configENS1_36segmented_radix_sort_config_selectorIhlEEZNS1_25segmented_radix_sort_implIS3_Lb1EPKhPhPKlPlN2at6native12_GLOBAL__N_18offset_tEEE10hipError_tPvRmT1_PNSt15iterator_traitsISK_E10value_typeET2_T3_PNSL_ISQ_E10value_typeET4_jRbjT5_SW_jjP12ihipStream_tbEUlT_E_NS1_11comp_targetILNS1_3genE8ELNS1_11target_archE1030ELNS1_3gpuE2ELNS1_3repE0EEENS1_30default_config_static_selectorELNS0_4arch9wavefront6targetE1EEEvSK_.num_agpr, 0
	.set _ZN7rocprim17ROCPRIM_400000_NS6detail17trampoline_kernelINS0_14default_configENS1_36segmented_radix_sort_config_selectorIhlEEZNS1_25segmented_radix_sort_implIS3_Lb1EPKhPhPKlPlN2at6native12_GLOBAL__N_18offset_tEEE10hipError_tPvRmT1_PNSt15iterator_traitsISK_E10value_typeET2_T3_PNSL_ISQ_E10value_typeET4_jRbjT5_SW_jjP12ihipStream_tbEUlT_E_NS1_11comp_targetILNS1_3genE8ELNS1_11target_archE1030ELNS1_3gpuE2ELNS1_3repE0EEENS1_30default_config_static_selectorELNS0_4arch9wavefront6targetE1EEEvSK_.numbered_sgpr, 0
	.set _ZN7rocprim17ROCPRIM_400000_NS6detail17trampoline_kernelINS0_14default_configENS1_36segmented_radix_sort_config_selectorIhlEEZNS1_25segmented_radix_sort_implIS3_Lb1EPKhPhPKlPlN2at6native12_GLOBAL__N_18offset_tEEE10hipError_tPvRmT1_PNSt15iterator_traitsISK_E10value_typeET2_T3_PNSL_ISQ_E10value_typeET4_jRbjT5_SW_jjP12ihipStream_tbEUlT_E_NS1_11comp_targetILNS1_3genE8ELNS1_11target_archE1030ELNS1_3gpuE2ELNS1_3repE0EEENS1_30default_config_static_selectorELNS0_4arch9wavefront6targetE1EEEvSK_.num_named_barrier, 0
	.set _ZN7rocprim17ROCPRIM_400000_NS6detail17trampoline_kernelINS0_14default_configENS1_36segmented_radix_sort_config_selectorIhlEEZNS1_25segmented_radix_sort_implIS3_Lb1EPKhPhPKlPlN2at6native12_GLOBAL__N_18offset_tEEE10hipError_tPvRmT1_PNSt15iterator_traitsISK_E10value_typeET2_T3_PNSL_ISQ_E10value_typeET4_jRbjT5_SW_jjP12ihipStream_tbEUlT_E_NS1_11comp_targetILNS1_3genE8ELNS1_11target_archE1030ELNS1_3gpuE2ELNS1_3repE0EEENS1_30default_config_static_selectorELNS0_4arch9wavefront6targetE1EEEvSK_.private_seg_size, 0
	.set _ZN7rocprim17ROCPRIM_400000_NS6detail17trampoline_kernelINS0_14default_configENS1_36segmented_radix_sort_config_selectorIhlEEZNS1_25segmented_radix_sort_implIS3_Lb1EPKhPhPKlPlN2at6native12_GLOBAL__N_18offset_tEEE10hipError_tPvRmT1_PNSt15iterator_traitsISK_E10value_typeET2_T3_PNSL_ISQ_E10value_typeET4_jRbjT5_SW_jjP12ihipStream_tbEUlT_E_NS1_11comp_targetILNS1_3genE8ELNS1_11target_archE1030ELNS1_3gpuE2ELNS1_3repE0EEENS1_30default_config_static_selectorELNS0_4arch9wavefront6targetE1EEEvSK_.uses_vcc, 0
	.set _ZN7rocprim17ROCPRIM_400000_NS6detail17trampoline_kernelINS0_14default_configENS1_36segmented_radix_sort_config_selectorIhlEEZNS1_25segmented_radix_sort_implIS3_Lb1EPKhPhPKlPlN2at6native12_GLOBAL__N_18offset_tEEE10hipError_tPvRmT1_PNSt15iterator_traitsISK_E10value_typeET2_T3_PNSL_ISQ_E10value_typeET4_jRbjT5_SW_jjP12ihipStream_tbEUlT_E_NS1_11comp_targetILNS1_3genE8ELNS1_11target_archE1030ELNS1_3gpuE2ELNS1_3repE0EEENS1_30default_config_static_selectorELNS0_4arch9wavefront6targetE1EEEvSK_.uses_flat_scratch, 0
	.set _ZN7rocprim17ROCPRIM_400000_NS6detail17trampoline_kernelINS0_14default_configENS1_36segmented_radix_sort_config_selectorIhlEEZNS1_25segmented_radix_sort_implIS3_Lb1EPKhPhPKlPlN2at6native12_GLOBAL__N_18offset_tEEE10hipError_tPvRmT1_PNSt15iterator_traitsISK_E10value_typeET2_T3_PNSL_ISQ_E10value_typeET4_jRbjT5_SW_jjP12ihipStream_tbEUlT_E_NS1_11comp_targetILNS1_3genE8ELNS1_11target_archE1030ELNS1_3gpuE2ELNS1_3repE0EEENS1_30default_config_static_selectorELNS0_4arch9wavefront6targetE1EEEvSK_.has_dyn_sized_stack, 0
	.set _ZN7rocprim17ROCPRIM_400000_NS6detail17trampoline_kernelINS0_14default_configENS1_36segmented_radix_sort_config_selectorIhlEEZNS1_25segmented_radix_sort_implIS3_Lb1EPKhPhPKlPlN2at6native12_GLOBAL__N_18offset_tEEE10hipError_tPvRmT1_PNSt15iterator_traitsISK_E10value_typeET2_T3_PNSL_ISQ_E10value_typeET4_jRbjT5_SW_jjP12ihipStream_tbEUlT_E_NS1_11comp_targetILNS1_3genE8ELNS1_11target_archE1030ELNS1_3gpuE2ELNS1_3repE0EEENS1_30default_config_static_selectorELNS0_4arch9wavefront6targetE1EEEvSK_.has_recursion, 0
	.set _ZN7rocprim17ROCPRIM_400000_NS6detail17trampoline_kernelINS0_14default_configENS1_36segmented_radix_sort_config_selectorIhlEEZNS1_25segmented_radix_sort_implIS3_Lb1EPKhPhPKlPlN2at6native12_GLOBAL__N_18offset_tEEE10hipError_tPvRmT1_PNSt15iterator_traitsISK_E10value_typeET2_T3_PNSL_ISQ_E10value_typeET4_jRbjT5_SW_jjP12ihipStream_tbEUlT_E_NS1_11comp_targetILNS1_3genE8ELNS1_11target_archE1030ELNS1_3gpuE2ELNS1_3repE0EEENS1_30default_config_static_selectorELNS0_4arch9wavefront6targetE1EEEvSK_.has_indirect_call, 0
	.section	.AMDGPU.csdata,"",@progbits
; Kernel info:
; codeLenInByte = 0
; TotalNumSgprs: 4
; NumVgprs: 0
; ScratchSize: 0
; MemoryBound: 0
; FloatMode: 240
; IeeeMode: 1
; LDSByteSize: 0 bytes/workgroup (compile time only)
; SGPRBlocks: 0
; VGPRBlocks: 0
; NumSGPRsForWavesPerEU: 4
; NumVGPRsForWavesPerEU: 1
; Occupancy: 10
; WaveLimiterHint : 0
; COMPUTE_PGM_RSRC2:SCRATCH_EN: 0
; COMPUTE_PGM_RSRC2:USER_SGPR: 6
; COMPUTE_PGM_RSRC2:TRAP_HANDLER: 0
; COMPUTE_PGM_RSRC2:TGID_X_EN: 1
; COMPUTE_PGM_RSRC2:TGID_Y_EN: 0
; COMPUTE_PGM_RSRC2:TGID_Z_EN: 0
; COMPUTE_PGM_RSRC2:TIDIG_COMP_CNT: 0
	.section	.text._ZN7rocprim17ROCPRIM_400000_NS6detail17trampoline_kernelINS0_14default_configENS1_36segmented_radix_sort_config_selectorIhlEEZNS1_25segmented_radix_sort_implIS3_Lb1EPKhPhPKlPlN2at6native12_GLOBAL__N_18offset_tEEE10hipError_tPvRmT1_PNSt15iterator_traitsISK_E10value_typeET2_T3_PNSL_ISQ_E10value_typeET4_jRbjT5_SW_jjP12ihipStream_tbEUlT_E0_NS1_11comp_targetILNS1_3genE0ELNS1_11target_archE4294967295ELNS1_3gpuE0ELNS1_3repE0EEENS1_60segmented_radix_sort_warp_sort_medium_config_static_selectorELNS0_4arch9wavefront6targetE1EEEvSK_,"axG",@progbits,_ZN7rocprim17ROCPRIM_400000_NS6detail17trampoline_kernelINS0_14default_configENS1_36segmented_radix_sort_config_selectorIhlEEZNS1_25segmented_radix_sort_implIS3_Lb1EPKhPhPKlPlN2at6native12_GLOBAL__N_18offset_tEEE10hipError_tPvRmT1_PNSt15iterator_traitsISK_E10value_typeET2_T3_PNSL_ISQ_E10value_typeET4_jRbjT5_SW_jjP12ihipStream_tbEUlT_E0_NS1_11comp_targetILNS1_3genE0ELNS1_11target_archE4294967295ELNS1_3gpuE0ELNS1_3repE0EEENS1_60segmented_radix_sort_warp_sort_medium_config_static_selectorELNS0_4arch9wavefront6targetE1EEEvSK_,comdat
	.globl	_ZN7rocprim17ROCPRIM_400000_NS6detail17trampoline_kernelINS0_14default_configENS1_36segmented_radix_sort_config_selectorIhlEEZNS1_25segmented_radix_sort_implIS3_Lb1EPKhPhPKlPlN2at6native12_GLOBAL__N_18offset_tEEE10hipError_tPvRmT1_PNSt15iterator_traitsISK_E10value_typeET2_T3_PNSL_ISQ_E10value_typeET4_jRbjT5_SW_jjP12ihipStream_tbEUlT_E0_NS1_11comp_targetILNS1_3genE0ELNS1_11target_archE4294967295ELNS1_3gpuE0ELNS1_3repE0EEENS1_60segmented_radix_sort_warp_sort_medium_config_static_selectorELNS0_4arch9wavefront6targetE1EEEvSK_ ; -- Begin function _ZN7rocprim17ROCPRIM_400000_NS6detail17trampoline_kernelINS0_14default_configENS1_36segmented_radix_sort_config_selectorIhlEEZNS1_25segmented_radix_sort_implIS3_Lb1EPKhPhPKlPlN2at6native12_GLOBAL__N_18offset_tEEE10hipError_tPvRmT1_PNSt15iterator_traitsISK_E10value_typeET2_T3_PNSL_ISQ_E10value_typeET4_jRbjT5_SW_jjP12ihipStream_tbEUlT_E0_NS1_11comp_targetILNS1_3genE0ELNS1_11target_archE4294967295ELNS1_3gpuE0ELNS1_3repE0EEENS1_60segmented_radix_sort_warp_sort_medium_config_static_selectorELNS0_4arch9wavefront6targetE1EEEvSK_
	.p2align	8
	.type	_ZN7rocprim17ROCPRIM_400000_NS6detail17trampoline_kernelINS0_14default_configENS1_36segmented_radix_sort_config_selectorIhlEEZNS1_25segmented_radix_sort_implIS3_Lb1EPKhPhPKlPlN2at6native12_GLOBAL__N_18offset_tEEE10hipError_tPvRmT1_PNSt15iterator_traitsISK_E10value_typeET2_T3_PNSL_ISQ_E10value_typeET4_jRbjT5_SW_jjP12ihipStream_tbEUlT_E0_NS1_11comp_targetILNS1_3genE0ELNS1_11target_archE4294967295ELNS1_3gpuE0ELNS1_3repE0EEENS1_60segmented_radix_sort_warp_sort_medium_config_static_selectorELNS0_4arch9wavefront6targetE1EEEvSK_,@function
_ZN7rocprim17ROCPRIM_400000_NS6detail17trampoline_kernelINS0_14default_configENS1_36segmented_radix_sort_config_selectorIhlEEZNS1_25segmented_radix_sort_implIS3_Lb1EPKhPhPKlPlN2at6native12_GLOBAL__N_18offset_tEEE10hipError_tPvRmT1_PNSt15iterator_traitsISK_E10value_typeET2_T3_PNSL_ISQ_E10value_typeET4_jRbjT5_SW_jjP12ihipStream_tbEUlT_E0_NS1_11comp_targetILNS1_3genE0ELNS1_11target_archE4294967295ELNS1_3gpuE0ELNS1_3repE0EEENS1_60segmented_radix_sort_warp_sort_medium_config_static_selectorELNS0_4arch9wavefront6targetE1EEEvSK_: ; @_ZN7rocprim17ROCPRIM_400000_NS6detail17trampoline_kernelINS0_14default_configENS1_36segmented_radix_sort_config_selectorIhlEEZNS1_25segmented_radix_sort_implIS3_Lb1EPKhPhPKlPlN2at6native12_GLOBAL__N_18offset_tEEE10hipError_tPvRmT1_PNSt15iterator_traitsISK_E10value_typeET2_T3_PNSL_ISQ_E10value_typeET4_jRbjT5_SW_jjP12ihipStream_tbEUlT_E0_NS1_11comp_targetILNS1_3genE0ELNS1_11target_archE4294967295ELNS1_3gpuE0ELNS1_3repE0EEENS1_60segmented_radix_sort_warp_sort_medium_config_static_selectorELNS0_4arch9wavefront6targetE1EEEvSK_
; %bb.0:
	.section	.rodata,"a",@progbits
	.p2align	6, 0x0
	.amdhsa_kernel _ZN7rocprim17ROCPRIM_400000_NS6detail17trampoline_kernelINS0_14default_configENS1_36segmented_radix_sort_config_selectorIhlEEZNS1_25segmented_radix_sort_implIS3_Lb1EPKhPhPKlPlN2at6native12_GLOBAL__N_18offset_tEEE10hipError_tPvRmT1_PNSt15iterator_traitsISK_E10value_typeET2_T3_PNSL_ISQ_E10value_typeET4_jRbjT5_SW_jjP12ihipStream_tbEUlT_E0_NS1_11comp_targetILNS1_3genE0ELNS1_11target_archE4294967295ELNS1_3gpuE0ELNS1_3repE0EEENS1_60segmented_radix_sort_warp_sort_medium_config_static_selectorELNS0_4arch9wavefront6targetE1EEEvSK_
		.amdhsa_group_segment_fixed_size 0
		.amdhsa_private_segment_fixed_size 0
		.amdhsa_kernarg_size 88
		.amdhsa_user_sgpr_count 6
		.amdhsa_user_sgpr_private_segment_buffer 1
		.amdhsa_user_sgpr_dispatch_ptr 0
		.amdhsa_user_sgpr_queue_ptr 0
		.amdhsa_user_sgpr_kernarg_segment_ptr 1
		.amdhsa_user_sgpr_dispatch_id 0
		.amdhsa_user_sgpr_flat_scratch_init 0
		.amdhsa_user_sgpr_private_segment_size 0
		.amdhsa_uses_dynamic_stack 0
		.amdhsa_system_sgpr_private_segment_wavefront_offset 0
		.amdhsa_system_sgpr_workgroup_id_x 1
		.amdhsa_system_sgpr_workgroup_id_y 0
		.amdhsa_system_sgpr_workgroup_id_z 0
		.amdhsa_system_sgpr_workgroup_info 0
		.amdhsa_system_vgpr_workitem_id 0
		.amdhsa_next_free_vgpr 1
		.amdhsa_next_free_sgpr 0
		.amdhsa_reserve_vcc 0
		.amdhsa_reserve_flat_scratch 0
		.amdhsa_float_round_mode_32 0
		.amdhsa_float_round_mode_16_64 0
		.amdhsa_float_denorm_mode_32 3
		.amdhsa_float_denorm_mode_16_64 3
		.amdhsa_dx10_clamp 1
		.amdhsa_ieee_mode 1
		.amdhsa_fp16_overflow 0
		.amdhsa_exception_fp_ieee_invalid_op 0
		.amdhsa_exception_fp_denorm_src 0
		.amdhsa_exception_fp_ieee_div_zero 0
		.amdhsa_exception_fp_ieee_overflow 0
		.amdhsa_exception_fp_ieee_underflow 0
		.amdhsa_exception_fp_ieee_inexact 0
		.amdhsa_exception_int_div_zero 0
	.end_amdhsa_kernel
	.section	.text._ZN7rocprim17ROCPRIM_400000_NS6detail17trampoline_kernelINS0_14default_configENS1_36segmented_radix_sort_config_selectorIhlEEZNS1_25segmented_radix_sort_implIS3_Lb1EPKhPhPKlPlN2at6native12_GLOBAL__N_18offset_tEEE10hipError_tPvRmT1_PNSt15iterator_traitsISK_E10value_typeET2_T3_PNSL_ISQ_E10value_typeET4_jRbjT5_SW_jjP12ihipStream_tbEUlT_E0_NS1_11comp_targetILNS1_3genE0ELNS1_11target_archE4294967295ELNS1_3gpuE0ELNS1_3repE0EEENS1_60segmented_radix_sort_warp_sort_medium_config_static_selectorELNS0_4arch9wavefront6targetE1EEEvSK_,"axG",@progbits,_ZN7rocprim17ROCPRIM_400000_NS6detail17trampoline_kernelINS0_14default_configENS1_36segmented_radix_sort_config_selectorIhlEEZNS1_25segmented_radix_sort_implIS3_Lb1EPKhPhPKlPlN2at6native12_GLOBAL__N_18offset_tEEE10hipError_tPvRmT1_PNSt15iterator_traitsISK_E10value_typeET2_T3_PNSL_ISQ_E10value_typeET4_jRbjT5_SW_jjP12ihipStream_tbEUlT_E0_NS1_11comp_targetILNS1_3genE0ELNS1_11target_archE4294967295ELNS1_3gpuE0ELNS1_3repE0EEENS1_60segmented_radix_sort_warp_sort_medium_config_static_selectorELNS0_4arch9wavefront6targetE1EEEvSK_,comdat
.Lfunc_end93:
	.size	_ZN7rocprim17ROCPRIM_400000_NS6detail17trampoline_kernelINS0_14default_configENS1_36segmented_radix_sort_config_selectorIhlEEZNS1_25segmented_radix_sort_implIS3_Lb1EPKhPhPKlPlN2at6native12_GLOBAL__N_18offset_tEEE10hipError_tPvRmT1_PNSt15iterator_traitsISK_E10value_typeET2_T3_PNSL_ISQ_E10value_typeET4_jRbjT5_SW_jjP12ihipStream_tbEUlT_E0_NS1_11comp_targetILNS1_3genE0ELNS1_11target_archE4294967295ELNS1_3gpuE0ELNS1_3repE0EEENS1_60segmented_radix_sort_warp_sort_medium_config_static_selectorELNS0_4arch9wavefront6targetE1EEEvSK_, .Lfunc_end93-_ZN7rocprim17ROCPRIM_400000_NS6detail17trampoline_kernelINS0_14default_configENS1_36segmented_radix_sort_config_selectorIhlEEZNS1_25segmented_radix_sort_implIS3_Lb1EPKhPhPKlPlN2at6native12_GLOBAL__N_18offset_tEEE10hipError_tPvRmT1_PNSt15iterator_traitsISK_E10value_typeET2_T3_PNSL_ISQ_E10value_typeET4_jRbjT5_SW_jjP12ihipStream_tbEUlT_E0_NS1_11comp_targetILNS1_3genE0ELNS1_11target_archE4294967295ELNS1_3gpuE0ELNS1_3repE0EEENS1_60segmented_radix_sort_warp_sort_medium_config_static_selectorELNS0_4arch9wavefront6targetE1EEEvSK_
                                        ; -- End function
	.set _ZN7rocprim17ROCPRIM_400000_NS6detail17trampoline_kernelINS0_14default_configENS1_36segmented_radix_sort_config_selectorIhlEEZNS1_25segmented_radix_sort_implIS3_Lb1EPKhPhPKlPlN2at6native12_GLOBAL__N_18offset_tEEE10hipError_tPvRmT1_PNSt15iterator_traitsISK_E10value_typeET2_T3_PNSL_ISQ_E10value_typeET4_jRbjT5_SW_jjP12ihipStream_tbEUlT_E0_NS1_11comp_targetILNS1_3genE0ELNS1_11target_archE4294967295ELNS1_3gpuE0ELNS1_3repE0EEENS1_60segmented_radix_sort_warp_sort_medium_config_static_selectorELNS0_4arch9wavefront6targetE1EEEvSK_.num_vgpr, 0
	.set _ZN7rocprim17ROCPRIM_400000_NS6detail17trampoline_kernelINS0_14default_configENS1_36segmented_radix_sort_config_selectorIhlEEZNS1_25segmented_radix_sort_implIS3_Lb1EPKhPhPKlPlN2at6native12_GLOBAL__N_18offset_tEEE10hipError_tPvRmT1_PNSt15iterator_traitsISK_E10value_typeET2_T3_PNSL_ISQ_E10value_typeET4_jRbjT5_SW_jjP12ihipStream_tbEUlT_E0_NS1_11comp_targetILNS1_3genE0ELNS1_11target_archE4294967295ELNS1_3gpuE0ELNS1_3repE0EEENS1_60segmented_radix_sort_warp_sort_medium_config_static_selectorELNS0_4arch9wavefront6targetE1EEEvSK_.num_agpr, 0
	.set _ZN7rocprim17ROCPRIM_400000_NS6detail17trampoline_kernelINS0_14default_configENS1_36segmented_radix_sort_config_selectorIhlEEZNS1_25segmented_radix_sort_implIS3_Lb1EPKhPhPKlPlN2at6native12_GLOBAL__N_18offset_tEEE10hipError_tPvRmT1_PNSt15iterator_traitsISK_E10value_typeET2_T3_PNSL_ISQ_E10value_typeET4_jRbjT5_SW_jjP12ihipStream_tbEUlT_E0_NS1_11comp_targetILNS1_3genE0ELNS1_11target_archE4294967295ELNS1_3gpuE0ELNS1_3repE0EEENS1_60segmented_radix_sort_warp_sort_medium_config_static_selectorELNS0_4arch9wavefront6targetE1EEEvSK_.numbered_sgpr, 0
	.set _ZN7rocprim17ROCPRIM_400000_NS6detail17trampoline_kernelINS0_14default_configENS1_36segmented_radix_sort_config_selectorIhlEEZNS1_25segmented_radix_sort_implIS3_Lb1EPKhPhPKlPlN2at6native12_GLOBAL__N_18offset_tEEE10hipError_tPvRmT1_PNSt15iterator_traitsISK_E10value_typeET2_T3_PNSL_ISQ_E10value_typeET4_jRbjT5_SW_jjP12ihipStream_tbEUlT_E0_NS1_11comp_targetILNS1_3genE0ELNS1_11target_archE4294967295ELNS1_3gpuE0ELNS1_3repE0EEENS1_60segmented_radix_sort_warp_sort_medium_config_static_selectorELNS0_4arch9wavefront6targetE1EEEvSK_.num_named_barrier, 0
	.set _ZN7rocprim17ROCPRIM_400000_NS6detail17trampoline_kernelINS0_14default_configENS1_36segmented_radix_sort_config_selectorIhlEEZNS1_25segmented_radix_sort_implIS3_Lb1EPKhPhPKlPlN2at6native12_GLOBAL__N_18offset_tEEE10hipError_tPvRmT1_PNSt15iterator_traitsISK_E10value_typeET2_T3_PNSL_ISQ_E10value_typeET4_jRbjT5_SW_jjP12ihipStream_tbEUlT_E0_NS1_11comp_targetILNS1_3genE0ELNS1_11target_archE4294967295ELNS1_3gpuE0ELNS1_3repE0EEENS1_60segmented_radix_sort_warp_sort_medium_config_static_selectorELNS0_4arch9wavefront6targetE1EEEvSK_.private_seg_size, 0
	.set _ZN7rocprim17ROCPRIM_400000_NS6detail17trampoline_kernelINS0_14default_configENS1_36segmented_radix_sort_config_selectorIhlEEZNS1_25segmented_radix_sort_implIS3_Lb1EPKhPhPKlPlN2at6native12_GLOBAL__N_18offset_tEEE10hipError_tPvRmT1_PNSt15iterator_traitsISK_E10value_typeET2_T3_PNSL_ISQ_E10value_typeET4_jRbjT5_SW_jjP12ihipStream_tbEUlT_E0_NS1_11comp_targetILNS1_3genE0ELNS1_11target_archE4294967295ELNS1_3gpuE0ELNS1_3repE0EEENS1_60segmented_radix_sort_warp_sort_medium_config_static_selectorELNS0_4arch9wavefront6targetE1EEEvSK_.uses_vcc, 0
	.set _ZN7rocprim17ROCPRIM_400000_NS6detail17trampoline_kernelINS0_14default_configENS1_36segmented_radix_sort_config_selectorIhlEEZNS1_25segmented_radix_sort_implIS3_Lb1EPKhPhPKlPlN2at6native12_GLOBAL__N_18offset_tEEE10hipError_tPvRmT1_PNSt15iterator_traitsISK_E10value_typeET2_T3_PNSL_ISQ_E10value_typeET4_jRbjT5_SW_jjP12ihipStream_tbEUlT_E0_NS1_11comp_targetILNS1_3genE0ELNS1_11target_archE4294967295ELNS1_3gpuE0ELNS1_3repE0EEENS1_60segmented_radix_sort_warp_sort_medium_config_static_selectorELNS0_4arch9wavefront6targetE1EEEvSK_.uses_flat_scratch, 0
	.set _ZN7rocprim17ROCPRIM_400000_NS6detail17trampoline_kernelINS0_14default_configENS1_36segmented_radix_sort_config_selectorIhlEEZNS1_25segmented_radix_sort_implIS3_Lb1EPKhPhPKlPlN2at6native12_GLOBAL__N_18offset_tEEE10hipError_tPvRmT1_PNSt15iterator_traitsISK_E10value_typeET2_T3_PNSL_ISQ_E10value_typeET4_jRbjT5_SW_jjP12ihipStream_tbEUlT_E0_NS1_11comp_targetILNS1_3genE0ELNS1_11target_archE4294967295ELNS1_3gpuE0ELNS1_3repE0EEENS1_60segmented_radix_sort_warp_sort_medium_config_static_selectorELNS0_4arch9wavefront6targetE1EEEvSK_.has_dyn_sized_stack, 0
	.set _ZN7rocprim17ROCPRIM_400000_NS6detail17trampoline_kernelINS0_14default_configENS1_36segmented_radix_sort_config_selectorIhlEEZNS1_25segmented_radix_sort_implIS3_Lb1EPKhPhPKlPlN2at6native12_GLOBAL__N_18offset_tEEE10hipError_tPvRmT1_PNSt15iterator_traitsISK_E10value_typeET2_T3_PNSL_ISQ_E10value_typeET4_jRbjT5_SW_jjP12ihipStream_tbEUlT_E0_NS1_11comp_targetILNS1_3genE0ELNS1_11target_archE4294967295ELNS1_3gpuE0ELNS1_3repE0EEENS1_60segmented_radix_sort_warp_sort_medium_config_static_selectorELNS0_4arch9wavefront6targetE1EEEvSK_.has_recursion, 0
	.set _ZN7rocprim17ROCPRIM_400000_NS6detail17trampoline_kernelINS0_14default_configENS1_36segmented_radix_sort_config_selectorIhlEEZNS1_25segmented_radix_sort_implIS3_Lb1EPKhPhPKlPlN2at6native12_GLOBAL__N_18offset_tEEE10hipError_tPvRmT1_PNSt15iterator_traitsISK_E10value_typeET2_T3_PNSL_ISQ_E10value_typeET4_jRbjT5_SW_jjP12ihipStream_tbEUlT_E0_NS1_11comp_targetILNS1_3genE0ELNS1_11target_archE4294967295ELNS1_3gpuE0ELNS1_3repE0EEENS1_60segmented_radix_sort_warp_sort_medium_config_static_selectorELNS0_4arch9wavefront6targetE1EEEvSK_.has_indirect_call, 0
	.section	.AMDGPU.csdata,"",@progbits
; Kernel info:
; codeLenInByte = 0
; TotalNumSgprs: 4
; NumVgprs: 0
; ScratchSize: 0
; MemoryBound: 0
; FloatMode: 240
; IeeeMode: 1
; LDSByteSize: 0 bytes/workgroup (compile time only)
; SGPRBlocks: 0
; VGPRBlocks: 0
; NumSGPRsForWavesPerEU: 4
; NumVGPRsForWavesPerEU: 1
; Occupancy: 10
; WaveLimiterHint : 0
; COMPUTE_PGM_RSRC2:SCRATCH_EN: 0
; COMPUTE_PGM_RSRC2:USER_SGPR: 6
; COMPUTE_PGM_RSRC2:TRAP_HANDLER: 0
; COMPUTE_PGM_RSRC2:TGID_X_EN: 1
; COMPUTE_PGM_RSRC2:TGID_Y_EN: 0
; COMPUTE_PGM_RSRC2:TGID_Z_EN: 0
; COMPUTE_PGM_RSRC2:TIDIG_COMP_CNT: 0
	.section	.text._ZN7rocprim17ROCPRIM_400000_NS6detail17trampoline_kernelINS0_14default_configENS1_36segmented_radix_sort_config_selectorIhlEEZNS1_25segmented_radix_sort_implIS3_Lb1EPKhPhPKlPlN2at6native12_GLOBAL__N_18offset_tEEE10hipError_tPvRmT1_PNSt15iterator_traitsISK_E10value_typeET2_T3_PNSL_ISQ_E10value_typeET4_jRbjT5_SW_jjP12ihipStream_tbEUlT_E0_NS1_11comp_targetILNS1_3genE5ELNS1_11target_archE942ELNS1_3gpuE9ELNS1_3repE0EEENS1_60segmented_radix_sort_warp_sort_medium_config_static_selectorELNS0_4arch9wavefront6targetE1EEEvSK_,"axG",@progbits,_ZN7rocprim17ROCPRIM_400000_NS6detail17trampoline_kernelINS0_14default_configENS1_36segmented_radix_sort_config_selectorIhlEEZNS1_25segmented_radix_sort_implIS3_Lb1EPKhPhPKlPlN2at6native12_GLOBAL__N_18offset_tEEE10hipError_tPvRmT1_PNSt15iterator_traitsISK_E10value_typeET2_T3_PNSL_ISQ_E10value_typeET4_jRbjT5_SW_jjP12ihipStream_tbEUlT_E0_NS1_11comp_targetILNS1_3genE5ELNS1_11target_archE942ELNS1_3gpuE9ELNS1_3repE0EEENS1_60segmented_radix_sort_warp_sort_medium_config_static_selectorELNS0_4arch9wavefront6targetE1EEEvSK_,comdat
	.globl	_ZN7rocprim17ROCPRIM_400000_NS6detail17trampoline_kernelINS0_14default_configENS1_36segmented_radix_sort_config_selectorIhlEEZNS1_25segmented_radix_sort_implIS3_Lb1EPKhPhPKlPlN2at6native12_GLOBAL__N_18offset_tEEE10hipError_tPvRmT1_PNSt15iterator_traitsISK_E10value_typeET2_T3_PNSL_ISQ_E10value_typeET4_jRbjT5_SW_jjP12ihipStream_tbEUlT_E0_NS1_11comp_targetILNS1_3genE5ELNS1_11target_archE942ELNS1_3gpuE9ELNS1_3repE0EEENS1_60segmented_radix_sort_warp_sort_medium_config_static_selectorELNS0_4arch9wavefront6targetE1EEEvSK_ ; -- Begin function _ZN7rocprim17ROCPRIM_400000_NS6detail17trampoline_kernelINS0_14default_configENS1_36segmented_radix_sort_config_selectorIhlEEZNS1_25segmented_radix_sort_implIS3_Lb1EPKhPhPKlPlN2at6native12_GLOBAL__N_18offset_tEEE10hipError_tPvRmT1_PNSt15iterator_traitsISK_E10value_typeET2_T3_PNSL_ISQ_E10value_typeET4_jRbjT5_SW_jjP12ihipStream_tbEUlT_E0_NS1_11comp_targetILNS1_3genE5ELNS1_11target_archE942ELNS1_3gpuE9ELNS1_3repE0EEENS1_60segmented_radix_sort_warp_sort_medium_config_static_selectorELNS0_4arch9wavefront6targetE1EEEvSK_
	.p2align	8
	.type	_ZN7rocprim17ROCPRIM_400000_NS6detail17trampoline_kernelINS0_14default_configENS1_36segmented_radix_sort_config_selectorIhlEEZNS1_25segmented_radix_sort_implIS3_Lb1EPKhPhPKlPlN2at6native12_GLOBAL__N_18offset_tEEE10hipError_tPvRmT1_PNSt15iterator_traitsISK_E10value_typeET2_T3_PNSL_ISQ_E10value_typeET4_jRbjT5_SW_jjP12ihipStream_tbEUlT_E0_NS1_11comp_targetILNS1_3genE5ELNS1_11target_archE942ELNS1_3gpuE9ELNS1_3repE0EEENS1_60segmented_radix_sort_warp_sort_medium_config_static_selectorELNS0_4arch9wavefront6targetE1EEEvSK_,@function
_ZN7rocprim17ROCPRIM_400000_NS6detail17trampoline_kernelINS0_14default_configENS1_36segmented_radix_sort_config_selectorIhlEEZNS1_25segmented_radix_sort_implIS3_Lb1EPKhPhPKlPlN2at6native12_GLOBAL__N_18offset_tEEE10hipError_tPvRmT1_PNSt15iterator_traitsISK_E10value_typeET2_T3_PNSL_ISQ_E10value_typeET4_jRbjT5_SW_jjP12ihipStream_tbEUlT_E0_NS1_11comp_targetILNS1_3genE5ELNS1_11target_archE942ELNS1_3gpuE9ELNS1_3repE0EEENS1_60segmented_radix_sort_warp_sort_medium_config_static_selectorELNS0_4arch9wavefront6targetE1EEEvSK_: ; @_ZN7rocprim17ROCPRIM_400000_NS6detail17trampoline_kernelINS0_14default_configENS1_36segmented_radix_sort_config_selectorIhlEEZNS1_25segmented_radix_sort_implIS3_Lb1EPKhPhPKlPlN2at6native12_GLOBAL__N_18offset_tEEE10hipError_tPvRmT1_PNSt15iterator_traitsISK_E10value_typeET2_T3_PNSL_ISQ_E10value_typeET4_jRbjT5_SW_jjP12ihipStream_tbEUlT_E0_NS1_11comp_targetILNS1_3genE5ELNS1_11target_archE942ELNS1_3gpuE9ELNS1_3repE0EEENS1_60segmented_radix_sort_warp_sort_medium_config_static_selectorELNS0_4arch9wavefront6targetE1EEEvSK_
; %bb.0:
	.section	.rodata,"a",@progbits
	.p2align	6, 0x0
	.amdhsa_kernel _ZN7rocprim17ROCPRIM_400000_NS6detail17trampoline_kernelINS0_14default_configENS1_36segmented_radix_sort_config_selectorIhlEEZNS1_25segmented_radix_sort_implIS3_Lb1EPKhPhPKlPlN2at6native12_GLOBAL__N_18offset_tEEE10hipError_tPvRmT1_PNSt15iterator_traitsISK_E10value_typeET2_T3_PNSL_ISQ_E10value_typeET4_jRbjT5_SW_jjP12ihipStream_tbEUlT_E0_NS1_11comp_targetILNS1_3genE5ELNS1_11target_archE942ELNS1_3gpuE9ELNS1_3repE0EEENS1_60segmented_radix_sort_warp_sort_medium_config_static_selectorELNS0_4arch9wavefront6targetE1EEEvSK_
		.amdhsa_group_segment_fixed_size 0
		.amdhsa_private_segment_fixed_size 0
		.amdhsa_kernarg_size 88
		.amdhsa_user_sgpr_count 6
		.amdhsa_user_sgpr_private_segment_buffer 1
		.amdhsa_user_sgpr_dispatch_ptr 0
		.amdhsa_user_sgpr_queue_ptr 0
		.amdhsa_user_sgpr_kernarg_segment_ptr 1
		.amdhsa_user_sgpr_dispatch_id 0
		.amdhsa_user_sgpr_flat_scratch_init 0
		.amdhsa_user_sgpr_private_segment_size 0
		.amdhsa_uses_dynamic_stack 0
		.amdhsa_system_sgpr_private_segment_wavefront_offset 0
		.amdhsa_system_sgpr_workgroup_id_x 1
		.amdhsa_system_sgpr_workgroup_id_y 0
		.amdhsa_system_sgpr_workgroup_id_z 0
		.amdhsa_system_sgpr_workgroup_info 0
		.amdhsa_system_vgpr_workitem_id 0
		.amdhsa_next_free_vgpr 1
		.amdhsa_next_free_sgpr 0
		.amdhsa_reserve_vcc 0
		.amdhsa_reserve_flat_scratch 0
		.amdhsa_float_round_mode_32 0
		.amdhsa_float_round_mode_16_64 0
		.amdhsa_float_denorm_mode_32 3
		.amdhsa_float_denorm_mode_16_64 3
		.amdhsa_dx10_clamp 1
		.amdhsa_ieee_mode 1
		.amdhsa_fp16_overflow 0
		.amdhsa_exception_fp_ieee_invalid_op 0
		.amdhsa_exception_fp_denorm_src 0
		.amdhsa_exception_fp_ieee_div_zero 0
		.amdhsa_exception_fp_ieee_overflow 0
		.amdhsa_exception_fp_ieee_underflow 0
		.amdhsa_exception_fp_ieee_inexact 0
		.amdhsa_exception_int_div_zero 0
	.end_amdhsa_kernel
	.section	.text._ZN7rocprim17ROCPRIM_400000_NS6detail17trampoline_kernelINS0_14default_configENS1_36segmented_radix_sort_config_selectorIhlEEZNS1_25segmented_radix_sort_implIS3_Lb1EPKhPhPKlPlN2at6native12_GLOBAL__N_18offset_tEEE10hipError_tPvRmT1_PNSt15iterator_traitsISK_E10value_typeET2_T3_PNSL_ISQ_E10value_typeET4_jRbjT5_SW_jjP12ihipStream_tbEUlT_E0_NS1_11comp_targetILNS1_3genE5ELNS1_11target_archE942ELNS1_3gpuE9ELNS1_3repE0EEENS1_60segmented_radix_sort_warp_sort_medium_config_static_selectorELNS0_4arch9wavefront6targetE1EEEvSK_,"axG",@progbits,_ZN7rocprim17ROCPRIM_400000_NS6detail17trampoline_kernelINS0_14default_configENS1_36segmented_radix_sort_config_selectorIhlEEZNS1_25segmented_radix_sort_implIS3_Lb1EPKhPhPKlPlN2at6native12_GLOBAL__N_18offset_tEEE10hipError_tPvRmT1_PNSt15iterator_traitsISK_E10value_typeET2_T3_PNSL_ISQ_E10value_typeET4_jRbjT5_SW_jjP12ihipStream_tbEUlT_E0_NS1_11comp_targetILNS1_3genE5ELNS1_11target_archE942ELNS1_3gpuE9ELNS1_3repE0EEENS1_60segmented_radix_sort_warp_sort_medium_config_static_selectorELNS0_4arch9wavefront6targetE1EEEvSK_,comdat
.Lfunc_end94:
	.size	_ZN7rocprim17ROCPRIM_400000_NS6detail17trampoline_kernelINS0_14default_configENS1_36segmented_radix_sort_config_selectorIhlEEZNS1_25segmented_radix_sort_implIS3_Lb1EPKhPhPKlPlN2at6native12_GLOBAL__N_18offset_tEEE10hipError_tPvRmT1_PNSt15iterator_traitsISK_E10value_typeET2_T3_PNSL_ISQ_E10value_typeET4_jRbjT5_SW_jjP12ihipStream_tbEUlT_E0_NS1_11comp_targetILNS1_3genE5ELNS1_11target_archE942ELNS1_3gpuE9ELNS1_3repE0EEENS1_60segmented_radix_sort_warp_sort_medium_config_static_selectorELNS0_4arch9wavefront6targetE1EEEvSK_, .Lfunc_end94-_ZN7rocprim17ROCPRIM_400000_NS6detail17trampoline_kernelINS0_14default_configENS1_36segmented_radix_sort_config_selectorIhlEEZNS1_25segmented_radix_sort_implIS3_Lb1EPKhPhPKlPlN2at6native12_GLOBAL__N_18offset_tEEE10hipError_tPvRmT1_PNSt15iterator_traitsISK_E10value_typeET2_T3_PNSL_ISQ_E10value_typeET4_jRbjT5_SW_jjP12ihipStream_tbEUlT_E0_NS1_11comp_targetILNS1_3genE5ELNS1_11target_archE942ELNS1_3gpuE9ELNS1_3repE0EEENS1_60segmented_radix_sort_warp_sort_medium_config_static_selectorELNS0_4arch9wavefront6targetE1EEEvSK_
                                        ; -- End function
	.set _ZN7rocprim17ROCPRIM_400000_NS6detail17trampoline_kernelINS0_14default_configENS1_36segmented_radix_sort_config_selectorIhlEEZNS1_25segmented_radix_sort_implIS3_Lb1EPKhPhPKlPlN2at6native12_GLOBAL__N_18offset_tEEE10hipError_tPvRmT1_PNSt15iterator_traitsISK_E10value_typeET2_T3_PNSL_ISQ_E10value_typeET4_jRbjT5_SW_jjP12ihipStream_tbEUlT_E0_NS1_11comp_targetILNS1_3genE5ELNS1_11target_archE942ELNS1_3gpuE9ELNS1_3repE0EEENS1_60segmented_radix_sort_warp_sort_medium_config_static_selectorELNS0_4arch9wavefront6targetE1EEEvSK_.num_vgpr, 0
	.set _ZN7rocprim17ROCPRIM_400000_NS6detail17trampoline_kernelINS0_14default_configENS1_36segmented_radix_sort_config_selectorIhlEEZNS1_25segmented_radix_sort_implIS3_Lb1EPKhPhPKlPlN2at6native12_GLOBAL__N_18offset_tEEE10hipError_tPvRmT1_PNSt15iterator_traitsISK_E10value_typeET2_T3_PNSL_ISQ_E10value_typeET4_jRbjT5_SW_jjP12ihipStream_tbEUlT_E0_NS1_11comp_targetILNS1_3genE5ELNS1_11target_archE942ELNS1_3gpuE9ELNS1_3repE0EEENS1_60segmented_radix_sort_warp_sort_medium_config_static_selectorELNS0_4arch9wavefront6targetE1EEEvSK_.num_agpr, 0
	.set _ZN7rocprim17ROCPRIM_400000_NS6detail17trampoline_kernelINS0_14default_configENS1_36segmented_radix_sort_config_selectorIhlEEZNS1_25segmented_radix_sort_implIS3_Lb1EPKhPhPKlPlN2at6native12_GLOBAL__N_18offset_tEEE10hipError_tPvRmT1_PNSt15iterator_traitsISK_E10value_typeET2_T3_PNSL_ISQ_E10value_typeET4_jRbjT5_SW_jjP12ihipStream_tbEUlT_E0_NS1_11comp_targetILNS1_3genE5ELNS1_11target_archE942ELNS1_3gpuE9ELNS1_3repE0EEENS1_60segmented_radix_sort_warp_sort_medium_config_static_selectorELNS0_4arch9wavefront6targetE1EEEvSK_.numbered_sgpr, 0
	.set _ZN7rocprim17ROCPRIM_400000_NS6detail17trampoline_kernelINS0_14default_configENS1_36segmented_radix_sort_config_selectorIhlEEZNS1_25segmented_radix_sort_implIS3_Lb1EPKhPhPKlPlN2at6native12_GLOBAL__N_18offset_tEEE10hipError_tPvRmT1_PNSt15iterator_traitsISK_E10value_typeET2_T3_PNSL_ISQ_E10value_typeET4_jRbjT5_SW_jjP12ihipStream_tbEUlT_E0_NS1_11comp_targetILNS1_3genE5ELNS1_11target_archE942ELNS1_3gpuE9ELNS1_3repE0EEENS1_60segmented_radix_sort_warp_sort_medium_config_static_selectorELNS0_4arch9wavefront6targetE1EEEvSK_.num_named_barrier, 0
	.set _ZN7rocprim17ROCPRIM_400000_NS6detail17trampoline_kernelINS0_14default_configENS1_36segmented_radix_sort_config_selectorIhlEEZNS1_25segmented_radix_sort_implIS3_Lb1EPKhPhPKlPlN2at6native12_GLOBAL__N_18offset_tEEE10hipError_tPvRmT1_PNSt15iterator_traitsISK_E10value_typeET2_T3_PNSL_ISQ_E10value_typeET4_jRbjT5_SW_jjP12ihipStream_tbEUlT_E0_NS1_11comp_targetILNS1_3genE5ELNS1_11target_archE942ELNS1_3gpuE9ELNS1_3repE0EEENS1_60segmented_radix_sort_warp_sort_medium_config_static_selectorELNS0_4arch9wavefront6targetE1EEEvSK_.private_seg_size, 0
	.set _ZN7rocprim17ROCPRIM_400000_NS6detail17trampoline_kernelINS0_14default_configENS1_36segmented_radix_sort_config_selectorIhlEEZNS1_25segmented_radix_sort_implIS3_Lb1EPKhPhPKlPlN2at6native12_GLOBAL__N_18offset_tEEE10hipError_tPvRmT1_PNSt15iterator_traitsISK_E10value_typeET2_T3_PNSL_ISQ_E10value_typeET4_jRbjT5_SW_jjP12ihipStream_tbEUlT_E0_NS1_11comp_targetILNS1_3genE5ELNS1_11target_archE942ELNS1_3gpuE9ELNS1_3repE0EEENS1_60segmented_radix_sort_warp_sort_medium_config_static_selectorELNS0_4arch9wavefront6targetE1EEEvSK_.uses_vcc, 0
	.set _ZN7rocprim17ROCPRIM_400000_NS6detail17trampoline_kernelINS0_14default_configENS1_36segmented_radix_sort_config_selectorIhlEEZNS1_25segmented_radix_sort_implIS3_Lb1EPKhPhPKlPlN2at6native12_GLOBAL__N_18offset_tEEE10hipError_tPvRmT1_PNSt15iterator_traitsISK_E10value_typeET2_T3_PNSL_ISQ_E10value_typeET4_jRbjT5_SW_jjP12ihipStream_tbEUlT_E0_NS1_11comp_targetILNS1_3genE5ELNS1_11target_archE942ELNS1_3gpuE9ELNS1_3repE0EEENS1_60segmented_radix_sort_warp_sort_medium_config_static_selectorELNS0_4arch9wavefront6targetE1EEEvSK_.uses_flat_scratch, 0
	.set _ZN7rocprim17ROCPRIM_400000_NS6detail17trampoline_kernelINS0_14default_configENS1_36segmented_radix_sort_config_selectorIhlEEZNS1_25segmented_radix_sort_implIS3_Lb1EPKhPhPKlPlN2at6native12_GLOBAL__N_18offset_tEEE10hipError_tPvRmT1_PNSt15iterator_traitsISK_E10value_typeET2_T3_PNSL_ISQ_E10value_typeET4_jRbjT5_SW_jjP12ihipStream_tbEUlT_E0_NS1_11comp_targetILNS1_3genE5ELNS1_11target_archE942ELNS1_3gpuE9ELNS1_3repE0EEENS1_60segmented_radix_sort_warp_sort_medium_config_static_selectorELNS0_4arch9wavefront6targetE1EEEvSK_.has_dyn_sized_stack, 0
	.set _ZN7rocprim17ROCPRIM_400000_NS6detail17trampoline_kernelINS0_14default_configENS1_36segmented_radix_sort_config_selectorIhlEEZNS1_25segmented_radix_sort_implIS3_Lb1EPKhPhPKlPlN2at6native12_GLOBAL__N_18offset_tEEE10hipError_tPvRmT1_PNSt15iterator_traitsISK_E10value_typeET2_T3_PNSL_ISQ_E10value_typeET4_jRbjT5_SW_jjP12ihipStream_tbEUlT_E0_NS1_11comp_targetILNS1_3genE5ELNS1_11target_archE942ELNS1_3gpuE9ELNS1_3repE0EEENS1_60segmented_radix_sort_warp_sort_medium_config_static_selectorELNS0_4arch9wavefront6targetE1EEEvSK_.has_recursion, 0
	.set _ZN7rocprim17ROCPRIM_400000_NS6detail17trampoline_kernelINS0_14default_configENS1_36segmented_radix_sort_config_selectorIhlEEZNS1_25segmented_radix_sort_implIS3_Lb1EPKhPhPKlPlN2at6native12_GLOBAL__N_18offset_tEEE10hipError_tPvRmT1_PNSt15iterator_traitsISK_E10value_typeET2_T3_PNSL_ISQ_E10value_typeET4_jRbjT5_SW_jjP12ihipStream_tbEUlT_E0_NS1_11comp_targetILNS1_3genE5ELNS1_11target_archE942ELNS1_3gpuE9ELNS1_3repE0EEENS1_60segmented_radix_sort_warp_sort_medium_config_static_selectorELNS0_4arch9wavefront6targetE1EEEvSK_.has_indirect_call, 0
	.section	.AMDGPU.csdata,"",@progbits
; Kernel info:
; codeLenInByte = 0
; TotalNumSgprs: 4
; NumVgprs: 0
; ScratchSize: 0
; MemoryBound: 0
; FloatMode: 240
; IeeeMode: 1
; LDSByteSize: 0 bytes/workgroup (compile time only)
; SGPRBlocks: 0
; VGPRBlocks: 0
; NumSGPRsForWavesPerEU: 4
; NumVGPRsForWavesPerEU: 1
; Occupancy: 10
; WaveLimiterHint : 0
; COMPUTE_PGM_RSRC2:SCRATCH_EN: 0
; COMPUTE_PGM_RSRC2:USER_SGPR: 6
; COMPUTE_PGM_RSRC2:TRAP_HANDLER: 0
; COMPUTE_PGM_RSRC2:TGID_X_EN: 1
; COMPUTE_PGM_RSRC2:TGID_Y_EN: 0
; COMPUTE_PGM_RSRC2:TGID_Z_EN: 0
; COMPUTE_PGM_RSRC2:TIDIG_COMP_CNT: 0
	.section	.text._ZN7rocprim17ROCPRIM_400000_NS6detail17trampoline_kernelINS0_14default_configENS1_36segmented_radix_sort_config_selectorIhlEEZNS1_25segmented_radix_sort_implIS3_Lb1EPKhPhPKlPlN2at6native12_GLOBAL__N_18offset_tEEE10hipError_tPvRmT1_PNSt15iterator_traitsISK_E10value_typeET2_T3_PNSL_ISQ_E10value_typeET4_jRbjT5_SW_jjP12ihipStream_tbEUlT_E0_NS1_11comp_targetILNS1_3genE4ELNS1_11target_archE910ELNS1_3gpuE8ELNS1_3repE0EEENS1_60segmented_radix_sort_warp_sort_medium_config_static_selectorELNS0_4arch9wavefront6targetE1EEEvSK_,"axG",@progbits,_ZN7rocprim17ROCPRIM_400000_NS6detail17trampoline_kernelINS0_14default_configENS1_36segmented_radix_sort_config_selectorIhlEEZNS1_25segmented_radix_sort_implIS3_Lb1EPKhPhPKlPlN2at6native12_GLOBAL__N_18offset_tEEE10hipError_tPvRmT1_PNSt15iterator_traitsISK_E10value_typeET2_T3_PNSL_ISQ_E10value_typeET4_jRbjT5_SW_jjP12ihipStream_tbEUlT_E0_NS1_11comp_targetILNS1_3genE4ELNS1_11target_archE910ELNS1_3gpuE8ELNS1_3repE0EEENS1_60segmented_radix_sort_warp_sort_medium_config_static_selectorELNS0_4arch9wavefront6targetE1EEEvSK_,comdat
	.globl	_ZN7rocprim17ROCPRIM_400000_NS6detail17trampoline_kernelINS0_14default_configENS1_36segmented_radix_sort_config_selectorIhlEEZNS1_25segmented_radix_sort_implIS3_Lb1EPKhPhPKlPlN2at6native12_GLOBAL__N_18offset_tEEE10hipError_tPvRmT1_PNSt15iterator_traitsISK_E10value_typeET2_T3_PNSL_ISQ_E10value_typeET4_jRbjT5_SW_jjP12ihipStream_tbEUlT_E0_NS1_11comp_targetILNS1_3genE4ELNS1_11target_archE910ELNS1_3gpuE8ELNS1_3repE0EEENS1_60segmented_radix_sort_warp_sort_medium_config_static_selectorELNS0_4arch9wavefront6targetE1EEEvSK_ ; -- Begin function _ZN7rocprim17ROCPRIM_400000_NS6detail17trampoline_kernelINS0_14default_configENS1_36segmented_radix_sort_config_selectorIhlEEZNS1_25segmented_radix_sort_implIS3_Lb1EPKhPhPKlPlN2at6native12_GLOBAL__N_18offset_tEEE10hipError_tPvRmT1_PNSt15iterator_traitsISK_E10value_typeET2_T3_PNSL_ISQ_E10value_typeET4_jRbjT5_SW_jjP12ihipStream_tbEUlT_E0_NS1_11comp_targetILNS1_3genE4ELNS1_11target_archE910ELNS1_3gpuE8ELNS1_3repE0EEENS1_60segmented_radix_sort_warp_sort_medium_config_static_selectorELNS0_4arch9wavefront6targetE1EEEvSK_
	.p2align	8
	.type	_ZN7rocprim17ROCPRIM_400000_NS6detail17trampoline_kernelINS0_14default_configENS1_36segmented_radix_sort_config_selectorIhlEEZNS1_25segmented_radix_sort_implIS3_Lb1EPKhPhPKlPlN2at6native12_GLOBAL__N_18offset_tEEE10hipError_tPvRmT1_PNSt15iterator_traitsISK_E10value_typeET2_T3_PNSL_ISQ_E10value_typeET4_jRbjT5_SW_jjP12ihipStream_tbEUlT_E0_NS1_11comp_targetILNS1_3genE4ELNS1_11target_archE910ELNS1_3gpuE8ELNS1_3repE0EEENS1_60segmented_radix_sort_warp_sort_medium_config_static_selectorELNS0_4arch9wavefront6targetE1EEEvSK_,@function
_ZN7rocprim17ROCPRIM_400000_NS6detail17trampoline_kernelINS0_14default_configENS1_36segmented_radix_sort_config_selectorIhlEEZNS1_25segmented_radix_sort_implIS3_Lb1EPKhPhPKlPlN2at6native12_GLOBAL__N_18offset_tEEE10hipError_tPvRmT1_PNSt15iterator_traitsISK_E10value_typeET2_T3_PNSL_ISQ_E10value_typeET4_jRbjT5_SW_jjP12ihipStream_tbEUlT_E0_NS1_11comp_targetILNS1_3genE4ELNS1_11target_archE910ELNS1_3gpuE8ELNS1_3repE0EEENS1_60segmented_radix_sort_warp_sort_medium_config_static_selectorELNS0_4arch9wavefront6targetE1EEEvSK_: ; @_ZN7rocprim17ROCPRIM_400000_NS6detail17trampoline_kernelINS0_14default_configENS1_36segmented_radix_sort_config_selectorIhlEEZNS1_25segmented_radix_sort_implIS3_Lb1EPKhPhPKlPlN2at6native12_GLOBAL__N_18offset_tEEE10hipError_tPvRmT1_PNSt15iterator_traitsISK_E10value_typeET2_T3_PNSL_ISQ_E10value_typeET4_jRbjT5_SW_jjP12ihipStream_tbEUlT_E0_NS1_11comp_targetILNS1_3genE4ELNS1_11target_archE910ELNS1_3gpuE8ELNS1_3repE0EEENS1_60segmented_radix_sort_warp_sort_medium_config_static_selectorELNS0_4arch9wavefront6targetE1EEEvSK_
; %bb.0:
	.section	.rodata,"a",@progbits
	.p2align	6, 0x0
	.amdhsa_kernel _ZN7rocprim17ROCPRIM_400000_NS6detail17trampoline_kernelINS0_14default_configENS1_36segmented_radix_sort_config_selectorIhlEEZNS1_25segmented_radix_sort_implIS3_Lb1EPKhPhPKlPlN2at6native12_GLOBAL__N_18offset_tEEE10hipError_tPvRmT1_PNSt15iterator_traitsISK_E10value_typeET2_T3_PNSL_ISQ_E10value_typeET4_jRbjT5_SW_jjP12ihipStream_tbEUlT_E0_NS1_11comp_targetILNS1_3genE4ELNS1_11target_archE910ELNS1_3gpuE8ELNS1_3repE0EEENS1_60segmented_radix_sort_warp_sort_medium_config_static_selectorELNS0_4arch9wavefront6targetE1EEEvSK_
		.amdhsa_group_segment_fixed_size 0
		.amdhsa_private_segment_fixed_size 0
		.amdhsa_kernarg_size 88
		.amdhsa_user_sgpr_count 6
		.amdhsa_user_sgpr_private_segment_buffer 1
		.amdhsa_user_sgpr_dispatch_ptr 0
		.amdhsa_user_sgpr_queue_ptr 0
		.amdhsa_user_sgpr_kernarg_segment_ptr 1
		.amdhsa_user_sgpr_dispatch_id 0
		.amdhsa_user_sgpr_flat_scratch_init 0
		.amdhsa_user_sgpr_private_segment_size 0
		.amdhsa_uses_dynamic_stack 0
		.amdhsa_system_sgpr_private_segment_wavefront_offset 0
		.amdhsa_system_sgpr_workgroup_id_x 1
		.amdhsa_system_sgpr_workgroup_id_y 0
		.amdhsa_system_sgpr_workgroup_id_z 0
		.amdhsa_system_sgpr_workgroup_info 0
		.amdhsa_system_vgpr_workitem_id 0
		.amdhsa_next_free_vgpr 1
		.amdhsa_next_free_sgpr 0
		.amdhsa_reserve_vcc 0
		.amdhsa_reserve_flat_scratch 0
		.amdhsa_float_round_mode_32 0
		.amdhsa_float_round_mode_16_64 0
		.amdhsa_float_denorm_mode_32 3
		.amdhsa_float_denorm_mode_16_64 3
		.amdhsa_dx10_clamp 1
		.amdhsa_ieee_mode 1
		.amdhsa_fp16_overflow 0
		.amdhsa_exception_fp_ieee_invalid_op 0
		.amdhsa_exception_fp_denorm_src 0
		.amdhsa_exception_fp_ieee_div_zero 0
		.amdhsa_exception_fp_ieee_overflow 0
		.amdhsa_exception_fp_ieee_underflow 0
		.amdhsa_exception_fp_ieee_inexact 0
		.amdhsa_exception_int_div_zero 0
	.end_amdhsa_kernel
	.section	.text._ZN7rocprim17ROCPRIM_400000_NS6detail17trampoline_kernelINS0_14default_configENS1_36segmented_radix_sort_config_selectorIhlEEZNS1_25segmented_radix_sort_implIS3_Lb1EPKhPhPKlPlN2at6native12_GLOBAL__N_18offset_tEEE10hipError_tPvRmT1_PNSt15iterator_traitsISK_E10value_typeET2_T3_PNSL_ISQ_E10value_typeET4_jRbjT5_SW_jjP12ihipStream_tbEUlT_E0_NS1_11comp_targetILNS1_3genE4ELNS1_11target_archE910ELNS1_3gpuE8ELNS1_3repE0EEENS1_60segmented_radix_sort_warp_sort_medium_config_static_selectorELNS0_4arch9wavefront6targetE1EEEvSK_,"axG",@progbits,_ZN7rocprim17ROCPRIM_400000_NS6detail17trampoline_kernelINS0_14default_configENS1_36segmented_radix_sort_config_selectorIhlEEZNS1_25segmented_radix_sort_implIS3_Lb1EPKhPhPKlPlN2at6native12_GLOBAL__N_18offset_tEEE10hipError_tPvRmT1_PNSt15iterator_traitsISK_E10value_typeET2_T3_PNSL_ISQ_E10value_typeET4_jRbjT5_SW_jjP12ihipStream_tbEUlT_E0_NS1_11comp_targetILNS1_3genE4ELNS1_11target_archE910ELNS1_3gpuE8ELNS1_3repE0EEENS1_60segmented_radix_sort_warp_sort_medium_config_static_selectorELNS0_4arch9wavefront6targetE1EEEvSK_,comdat
.Lfunc_end95:
	.size	_ZN7rocprim17ROCPRIM_400000_NS6detail17trampoline_kernelINS0_14default_configENS1_36segmented_radix_sort_config_selectorIhlEEZNS1_25segmented_radix_sort_implIS3_Lb1EPKhPhPKlPlN2at6native12_GLOBAL__N_18offset_tEEE10hipError_tPvRmT1_PNSt15iterator_traitsISK_E10value_typeET2_T3_PNSL_ISQ_E10value_typeET4_jRbjT5_SW_jjP12ihipStream_tbEUlT_E0_NS1_11comp_targetILNS1_3genE4ELNS1_11target_archE910ELNS1_3gpuE8ELNS1_3repE0EEENS1_60segmented_radix_sort_warp_sort_medium_config_static_selectorELNS0_4arch9wavefront6targetE1EEEvSK_, .Lfunc_end95-_ZN7rocprim17ROCPRIM_400000_NS6detail17trampoline_kernelINS0_14default_configENS1_36segmented_radix_sort_config_selectorIhlEEZNS1_25segmented_radix_sort_implIS3_Lb1EPKhPhPKlPlN2at6native12_GLOBAL__N_18offset_tEEE10hipError_tPvRmT1_PNSt15iterator_traitsISK_E10value_typeET2_T3_PNSL_ISQ_E10value_typeET4_jRbjT5_SW_jjP12ihipStream_tbEUlT_E0_NS1_11comp_targetILNS1_3genE4ELNS1_11target_archE910ELNS1_3gpuE8ELNS1_3repE0EEENS1_60segmented_radix_sort_warp_sort_medium_config_static_selectorELNS0_4arch9wavefront6targetE1EEEvSK_
                                        ; -- End function
	.set _ZN7rocprim17ROCPRIM_400000_NS6detail17trampoline_kernelINS0_14default_configENS1_36segmented_radix_sort_config_selectorIhlEEZNS1_25segmented_radix_sort_implIS3_Lb1EPKhPhPKlPlN2at6native12_GLOBAL__N_18offset_tEEE10hipError_tPvRmT1_PNSt15iterator_traitsISK_E10value_typeET2_T3_PNSL_ISQ_E10value_typeET4_jRbjT5_SW_jjP12ihipStream_tbEUlT_E0_NS1_11comp_targetILNS1_3genE4ELNS1_11target_archE910ELNS1_3gpuE8ELNS1_3repE0EEENS1_60segmented_radix_sort_warp_sort_medium_config_static_selectorELNS0_4arch9wavefront6targetE1EEEvSK_.num_vgpr, 0
	.set _ZN7rocprim17ROCPRIM_400000_NS6detail17trampoline_kernelINS0_14default_configENS1_36segmented_radix_sort_config_selectorIhlEEZNS1_25segmented_radix_sort_implIS3_Lb1EPKhPhPKlPlN2at6native12_GLOBAL__N_18offset_tEEE10hipError_tPvRmT1_PNSt15iterator_traitsISK_E10value_typeET2_T3_PNSL_ISQ_E10value_typeET4_jRbjT5_SW_jjP12ihipStream_tbEUlT_E0_NS1_11comp_targetILNS1_3genE4ELNS1_11target_archE910ELNS1_3gpuE8ELNS1_3repE0EEENS1_60segmented_radix_sort_warp_sort_medium_config_static_selectorELNS0_4arch9wavefront6targetE1EEEvSK_.num_agpr, 0
	.set _ZN7rocprim17ROCPRIM_400000_NS6detail17trampoline_kernelINS0_14default_configENS1_36segmented_radix_sort_config_selectorIhlEEZNS1_25segmented_radix_sort_implIS3_Lb1EPKhPhPKlPlN2at6native12_GLOBAL__N_18offset_tEEE10hipError_tPvRmT1_PNSt15iterator_traitsISK_E10value_typeET2_T3_PNSL_ISQ_E10value_typeET4_jRbjT5_SW_jjP12ihipStream_tbEUlT_E0_NS1_11comp_targetILNS1_3genE4ELNS1_11target_archE910ELNS1_3gpuE8ELNS1_3repE0EEENS1_60segmented_radix_sort_warp_sort_medium_config_static_selectorELNS0_4arch9wavefront6targetE1EEEvSK_.numbered_sgpr, 0
	.set _ZN7rocprim17ROCPRIM_400000_NS6detail17trampoline_kernelINS0_14default_configENS1_36segmented_radix_sort_config_selectorIhlEEZNS1_25segmented_radix_sort_implIS3_Lb1EPKhPhPKlPlN2at6native12_GLOBAL__N_18offset_tEEE10hipError_tPvRmT1_PNSt15iterator_traitsISK_E10value_typeET2_T3_PNSL_ISQ_E10value_typeET4_jRbjT5_SW_jjP12ihipStream_tbEUlT_E0_NS1_11comp_targetILNS1_3genE4ELNS1_11target_archE910ELNS1_3gpuE8ELNS1_3repE0EEENS1_60segmented_radix_sort_warp_sort_medium_config_static_selectorELNS0_4arch9wavefront6targetE1EEEvSK_.num_named_barrier, 0
	.set _ZN7rocprim17ROCPRIM_400000_NS6detail17trampoline_kernelINS0_14default_configENS1_36segmented_radix_sort_config_selectorIhlEEZNS1_25segmented_radix_sort_implIS3_Lb1EPKhPhPKlPlN2at6native12_GLOBAL__N_18offset_tEEE10hipError_tPvRmT1_PNSt15iterator_traitsISK_E10value_typeET2_T3_PNSL_ISQ_E10value_typeET4_jRbjT5_SW_jjP12ihipStream_tbEUlT_E0_NS1_11comp_targetILNS1_3genE4ELNS1_11target_archE910ELNS1_3gpuE8ELNS1_3repE0EEENS1_60segmented_radix_sort_warp_sort_medium_config_static_selectorELNS0_4arch9wavefront6targetE1EEEvSK_.private_seg_size, 0
	.set _ZN7rocprim17ROCPRIM_400000_NS6detail17trampoline_kernelINS0_14default_configENS1_36segmented_radix_sort_config_selectorIhlEEZNS1_25segmented_radix_sort_implIS3_Lb1EPKhPhPKlPlN2at6native12_GLOBAL__N_18offset_tEEE10hipError_tPvRmT1_PNSt15iterator_traitsISK_E10value_typeET2_T3_PNSL_ISQ_E10value_typeET4_jRbjT5_SW_jjP12ihipStream_tbEUlT_E0_NS1_11comp_targetILNS1_3genE4ELNS1_11target_archE910ELNS1_3gpuE8ELNS1_3repE0EEENS1_60segmented_radix_sort_warp_sort_medium_config_static_selectorELNS0_4arch9wavefront6targetE1EEEvSK_.uses_vcc, 0
	.set _ZN7rocprim17ROCPRIM_400000_NS6detail17trampoline_kernelINS0_14default_configENS1_36segmented_radix_sort_config_selectorIhlEEZNS1_25segmented_radix_sort_implIS3_Lb1EPKhPhPKlPlN2at6native12_GLOBAL__N_18offset_tEEE10hipError_tPvRmT1_PNSt15iterator_traitsISK_E10value_typeET2_T3_PNSL_ISQ_E10value_typeET4_jRbjT5_SW_jjP12ihipStream_tbEUlT_E0_NS1_11comp_targetILNS1_3genE4ELNS1_11target_archE910ELNS1_3gpuE8ELNS1_3repE0EEENS1_60segmented_radix_sort_warp_sort_medium_config_static_selectorELNS0_4arch9wavefront6targetE1EEEvSK_.uses_flat_scratch, 0
	.set _ZN7rocprim17ROCPRIM_400000_NS6detail17trampoline_kernelINS0_14default_configENS1_36segmented_radix_sort_config_selectorIhlEEZNS1_25segmented_radix_sort_implIS3_Lb1EPKhPhPKlPlN2at6native12_GLOBAL__N_18offset_tEEE10hipError_tPvRmT1_PNSt15iterator_traitsISK_E10value_typeET2_T3_PNSL_ISQ_E10value_typeET4_jRbjT5_SW_jjP12ihipStream_tbEUlT_E0_NS1_11comp_targetILNS1_3genE4ELNS1_11target_archE910ELNS1_3gpuE8ELNS1_3repE0EEENS1_60segmented_radix_sort_warp_sort_medium_config_static_selectorELNS0_4arch9wavefront6targetE1EEEvSK_.has_dyn_sized_stack, 0
	.set _ZN7rocprim17ROCPRIM_400000_NS6detail17trampoline_kernelINS0_14default_configENS1_36segmented_radix_sort_config_selectorIhlEEZNS1_25segmented_radix_sort_implIS3_Lb1EPKhPhPKlPlN2at6native12_GLOBAL__N_18offset_tEEE10hipError_tPvRmT1_PNSt15iterator_traitsISK_E10value_typeET2_T3_PNSL_ISQ_E10value_typeET4_jRbjT5_SW_jjP12ihipStream_tbEUlT_E0_NS1_11comp_targetILNS1_3genE4ELNS1_11target_archE910ELNS1_3gpuE8ELNS1_3repE0EEENS1_60segmented_radix_sort_warp_sort_medium_config_static_selectorELNS0_4arch9wavefront6targetE1EEEvSK_.has_recursion, 0
	.set _ZN7rocprim17ROCPRIM_400000_NS6detail17trampoline_kernelINS0_14default_configENS1_36segmented_radix_sort_config_selectorIhlEEZNS1_25segmented_radix_sort_implIS3_Lb1EPKhPhPKlPlN2at6native12_GLOBAL__N_18offset_tEEE10hipError_tPvRmT1_PNSt15iterator_traitsISK_E10value_typeET2_T3_PNSL_ISQ_E10value_typeET4_jRbjT5_SW_jjP12ihipStream_tbEUlT_E0_NS1_11comp_targetILNS1_3genE4ELNS1_11target_archE910ELNS1_3gpuE8ELNS1_3repE0EEENS1_60segmented_radix_sort_warp_sort_medium_config_static_selectorELNS0_4arch9wavefront6targetE1EEEvSK_.has_indirect_call, 0
	.section	.AMDGPU.csdata,"",@progbits
; Kernel info:
; codeLenInByte = 0
; TotalNumSgprs: 4
; NumVgprs: 0
; ScratchSize: 0
; MemoryBound: 0
; FloatMode: 240
; IeeeMode: 1
; LDSByteSize: 0 bytes/workgroup (compile time only)
; SGPRBlocks: 0
; VGPRBlocks: 0
; NumSGPRsForWavesPerEU: 4
; NumVGPRsForWavesPerEU: 1
; Occupancy: 10
; WaveLimiterHint : 0
; COMPUTE_PGM_RSRC2:SCRATCH_EN: 0
; COMPUTE_PGM_RSRC2:USER_SGPR: 6
; COMPUTE_PGM_RSRC2:TRAP_HANDLER: 0
; COMPUTE_PGM_RSRC2:TGID_X_EN: 1
; COMPUTE_PGM_RSRC2:TGID_Y_EN: 0
; COMPUTE_PGM_RSRC2:TGID_Z_EN: 0
; COMPUTE_PGM_RSRC2:TIDIG_COMP_CNT: 0
	.section	.text._ZN7rocprim17ROCPRIM_400000_NS6detail17trampoline_kernelINS0_14default_configENS1_36segmented_radix_sort_config_selectorIhlEEZNS1_25segmented_radix_sort_implIS3_Lb1EPKhPhPKlPlN2at6native12_GLOBAL__N_18offset_tEEE10hipError_tPvRmT1_PNSt15iterator_traitsISK_E10value_typeET2_T3_PNSL_ISQ_E10value_typeET4_jRbjT5_SW_jjP12ihipStream_tbEUlT_E0_NS1_11comp_targetILNS1_3genE3ELNS1_11target_archE908ELNS1_3gpuE7ELNS1_3repE0EEENS1_60segmented_radix_sort_warp_sort_medium_config_static_selectorELNS0_4arch9wavefront6targetE1EEEvSK_,"axG",@progbits,_ZN7rocprim17ROCPRIM_400000_NS6detail17trampoline_kernelINS0_14default_configENS1_36segmented_radix_sort_config_selectorIhlEEZNS1_25segmented_radix_sort_implIS3_Lb1EPKhPhPKlPlN2at6native12_GLOBAL__N_18offset_tEEE10hipError_tPvRmT1_PNSt15iterator_traitsISK_E10value_typeET2_T3_PNSL_ISQ_E10value_typeET4_jRbjT5_SW_jjP12ihipStream_tbEUlT_E0_NS1_11comp_targetILNS1_3genE3ELNS1_11target_archE908ELNS1_3gpuE7ELNS1_3repE0EEENS1_60segmented_radix_sort_warp_sort_medium_config_static_selectorELNS0_4arch9wavefront6targetE1EEEvSK_,comdat
	.globl	_ZN7rocprim17ROCPRIM_400000_NS6detail17trampoline_kernelINS0_14default_configENS1_36segmented_radix_sort_config_selectorIhlEEZNS1_25segmented_radix_sort_implIS3_Lb1EPKhPhPKlPlN2at6native12_GLOBAL__N_18offset_tEEE10hipError_tPvRmT1_PNSt15iterator_traitsISK_E10value_typeET2_T3_PNSL_ISQ_E10value_typeET4_jRbjT5_SW_jjP12ihipStream_tbEUlT_E0_NS1_11comp_targetILNS1_3genE3ELNS1_11target_archE908ELNS1_3gpuE7ELNS1_3repE0EEENS1_60segmented_radix_sort_warp_sort_medium_config_static_selectorELNS0_4arch9wavefront6targetE1EEEvSK_ ; -- Begin function _ZN7rocprim17ROCPRIM_400000_NS6detail17trampoline_kernelINS0_14default_configENS1_36segmented_radix_sort_config_selectorIhlEEZNS1_25segmented_radix_sort_implIS3_Lb1EPKhPhPKlPlN2at6native12_GLOBAL__N_18offset_tEEE10hipError_tPvRmT1_PNSt15iterator_traitsISK_E10value_typeET2_T3_PNSL_ISQ_E10value_typeET4_jRbjT5_SW_jjP12ihipStream_tbEUlT_E0_NS1_11comp_targetILNS1_3genE3ELNS1_11target_archE908ELNS1_3gpuE7ELNS1_3repE0EEENS1_60segmented_radix_sort_warp_sort_medium_config_static_selectorELNS0_4arch9wavefront6targetE1EEEvSK_
	.p2align	8
	.type	_ZN7rocprim17ROCPRIM_400000_NS6detail17trampoline_kernelINS0_14default_configENS1_36segmented_radix_sort_config_selectorIhlEEZNS1_25segmented_radix_sort_implIS3_Lb1EPKhPhPKlPlN2at6native12_GLOBAL__N_18offset_tEEE10hipError_tPvRmT1_PNSt15iterator_traitsISK_E10value_typeET2_T3_PNSL_ISQ_E10value_typeET4_jRbjT5_SW_jjP12ihipStream_tbEUlT_E0_NS1_11comp_targetILNS1_3genE3ELNS1_11target_archE908ELNS1_3gpuE7ELNS1_3repE0EEENS1_60segmented_radix_sort_warp_sort_medium_config_static_selectorELNS0_4arch9wavefront6targetE1EEEvSK_,@function
_ZN7rocprim17ROCPRIM_400000_NS6detail17trampoline_kernelINS0_14default_configENS1_36segmented_radix_sort_config_selectorIhlEEZNS1_25segmented_radix_sort_implIS3_Lb1EPKhPhPKlPlN2at6native12_GLOBAL__N_18offset_tEEE10hipError_tPvRmT1_PNSt15iterator_traitsISK_E10value_typeET2_T3_PNSL_ISQ_E10value_typeET4_jRbjT5_SW_jjP12ihipStream_tbEUlT_E0_NS1_11comp_targetILNS1_3genE3ELNS1_11target_archE908ELNS1_3gpuE7ELNS1_3repE0EEENS1_60segmented_radix_sort_warp_sort_medium_config_static_selectorELNS0_4arch9wavefront6targetE1EEEvSK_: ; @_ZN7rocprim17ROCPRIM_400000_NS6detail17trampoline_kernelINS0_14default_configENS1_36segmented_radix_sort_config_selectorIhlEEZNS1_25segmented_radix_sort_implIS3_Lb1EPKhPhPKlPlN2at6native12_GLOBAL__N_18offset_tEEE10hipError_tPvRmT1_PNSt15iterator_traitsISK_E10value_typeET2_T3_PNSL_ISQ_E10value_typeET4_jRbjT5_SW_jjP12ihipStream_tbEUlT_E0_NS1_11comp_targetILNS1_3genE3ELNS1_11target_archE908ELNS1_3gpuE7ELNS1_3repE0EEENS1_60segmented_radix_sort_warp_sort_medium_config_static_selectorELNS0_4arch9wavefront6targetE1EEEvSK_
; %bb.0:
	.section	.rodata,"a",@progbits
	.p2align	6, 0x0
	.amdhsa_kernel _ZN7rocprim17ROCPRIM_400000_NS6detail17trampoline_kernelINS0_14default_configENS1_36segmented_radix_sort_config_selectorIhlEEZNS1_25segmented_radix_sort_implIS3_Lb1EPKhPhPKlPlN2at6native12_GLOBAL__N_18offset_tEEE10hipError_tPvRmT1_PNSt15iterator_traitsISK_E10value_typeET2_T3_PNSL_ISQ_E10value_typeET4_jRbjT5_SW_jjP12ihipStream_tbEUlT_E0_NS1_11comp_targetILNS1_3genE3ELNS1_11target_archE908ELNS1_3gpuE7ELNS1_3repE0EEENS1_60segmented_radix_sort_warp_sort_medium_config_static_selectorELNS0_4arch9wavefront6targetE1EEEvSK_
		.amdhsa_group_segment_fixed_size 0
		.amdhsa_private_segment_fixed_size 0
		.amdhsa_kernarg_size 88
		.amdhsa_user_sgpr_count 6
		.amdhsa_user_sgpr_private_segment_buffer 1
		.amdhsa_user_sgpr_dispatch_ptr 0
		.amdhsa_user_sgpr_queue_ptr 0
		.amdhsa_user_sgpr_kernarg_segment_ptr 1
		.amdhsa_user_sgpr_dispatch_id 0
		.amdhsa_user_sgpr_flat_scratch_init 0
		.amdhsa_user_sgpr_private_segment_size 0
		.amdhsa_uses_dynamic_stack 0
		.amdhsa_system_sgpr_private_segment_wavefront_offset 0
		.amdhsa_system_sgpr_workgroup_id_x 1
		.amdhsa_system_sgpr_workgroup_id_y 0
		.amdhsa_system_sgpr_workgroup_id_z 0
		.amdhsa_system_sgpr_workgroup_info 0
		.amdhsa_system_vgpr_workitem_id 0
		.amdhsa_next_free_vgpr 1
		.amdhsa_next_free_sgpr 0
		.amdhsa_reserve_vcc 0
		.amdhsa_reserve_flat_scratch 0
		.amdhsa_float_round_mode_32 0
		.amdhsa_float_round_mode_16_64 0
		.amdhsa_float_denorm_mode_32 3
		.amdhsa_float_denorm_mode_16_64 3
		.amdhsa_dx10_clamp 1
		.amdhsa_ieee_mode 1
		.amdhsa_fp16_overflow 0
		.amdhsa_exception_fp_ieee_invalid_op 0
		.amdhsa_exception_fp_denorm_src 0
		.amdhsa_exception_fp_ieee_div_zero 0
		.amdhsa_exception_fp_ieee_overflow 0
		.amdhsa_exception_fp_ieee_underflow 0
		.amdhsa_exception_fp_ieee_inexact 0
		.amdhsa_exception_int_div_zero 0
	.end_amdhsa_kernel
	.section	.text._ZN7rocprim17ROCPRIM_400000_NS6detail17trampoline_kernelINS0_14default_configENS1_36segmented_radix_sort_config_selectorIhlEEZNS1_25segmented_radix_sort_implIS3_Lb1EPKhPhPKlPlN2at6native12_GLOBAL__N_18offset_tEEE10hipError_tPvRmT1_PNSt15iterator_traitsISK_E10value_typeET2_T3_PNSL_ISQ_E10value_typeET4_jRbjT5_SW_jjP12ihipStream_tbEUlT_E0_NS1_11comp_targetILNS1_3genE3ELNS1_11target_archE908ELNS1_3gpuE7ELNS1_3repE0EEENS1_60segmented_radix_sort_warp_sort_medium_config_static_selectorELNS0_4arch9wavefront6targetE1EEEvSK_,"axG",@progbits,_ZN7rocprim17ROCPRIM_400000_NS6detail17trampoline_kernelINS0_14default_configENS1_36segmented_radix_sort_config_selectorIhlEEZNS1_25segmented_radix_sort_implIS3_Lb1EPKhPhPKlPlN2at6native12_GLOBAL__N_18offset_tEEE10hipError_tPvRmT1_PNSt15iterator_traitsISK_E10value_typeET2_T3_PNSL_ISQ_E10value_typeET4_jRbjT5_SW_jjP12ihipStream_tbEUlT_E0_NS1_11comp_targetILNS1_3genE3ELNS1_11target_archE908ELNS1_3gpuE7ELNS1_3repE0EEENS1_60segmented_radix_sort_warp_sort_medium_config_static_selectorELNS0_4arch9wavefront6targetE1EEEvSK_,comdat
.Lfunc_end96:
	.size	_ZN7rocprim17ROCPRIM_400000_NS6detail17trampoline_kernelINS0_14default_configENS1_36segmented_radix_sort_config_selectorIhlEEZNS1_25segmented_radix_sort_implIS3_Lb1EPKhPhPKlPlN2at6native12_GLOBAL__N_18offset_tEEE10hipError_tPvRmT1_PNSt15iterator_traitsISK_E10value_typeET2_T3_PNSL_ISQ_E10value_typeET4_jRbjT5_SW_jjP12ihipStream_tbEUlT_E0_NS1_11comp_targetILNS1_3genE3ELNS1_11target_archE908ELNS1_3gpuE7ELNS1_3repE0EEENS1_60segmented_radix_sort_warp_sort_medium_config_static_selectorELNS0_4arch9wavefront6targetE1EEEvSK_, .Lfunc_end96-_ZN7rocprim17ROCPRIM_400000_NS6detail17trampoline_kernelINS0_14default_configENS1_36segmented_radix_sort_config_selectorIhlEEZNS1_25segmented_radix_sort_implIS3_Lb1EPKhPhPKlPlN2at6native12_GLOBAL__N_18offset_tEEE10hipError_tPvRmT1_PNSt15iterator_traitsISK_E10value_typeET2_T3_PNSL_ISQ_E10value_typeET4_jRbjT5_SW_jjP12ihipStream_tbEUlT_E0_NS1_11comp_targetILNS1_3genE3ELNS1_11target_archE908ELNS1_3gpuE7ELNS1_3repE0EEENS1_60segmented_radix_sort_warp_sort_medium_config_static_selectorELNS0_4arch9wavefront6targetE1EEEvSK_
                                        ; -- End function
	.set _ZN7rocprim17ROCPRIM_400000_NS6detail17trampoline_kernelINS0_14default_configENS1_36segmented_radix_sort_config_selectorIhlEEZNS1_25segmented_radix_sort_implIS3_Lb1EPKhPhPKlPlN2at6native12_GLOBAL__N_18offset_tEEE10hipError_tPvRmT1_PNSt15iterator_traitsISK_E10value_typeET2_T3_PNSL_ISQ_E10value_typeET4_jRbjT5_SW_jjP12ihipStream_tbEUlT_E0_NS1_11comp_targetILNS1_3genE3ELNS1_11target_archE908ELNS1_3gpuE7ELNS1_3repE0EEENS1_60segmented_radix_sort_warp_sort_medium_config_static_selectorELNS0_4arch9wavefront6targetE1EEEvSK_.num_vgpr, 0
	.set _ZN7rocprim17ROCPRIM_400000_NS6detail17trampoline_kernelINS0_14default_configENS1_36segmented_radix_sort_config_selectorIhlEEZNS1_25segmented_radix_sort_implIS3_Lb1EPKhPhPKlPlN2at6native12_GLOBAL__N_18offset_tEEE10hipError_tPvRmT1_PNSt15iterator_traitsISK_E10value_typeET2_T3_PNSL_ISQ_E10value_typeET4_jRbjT5_SW_jjP12ihipStream_tbEUlT_E0_NS1_11comp_targetILNS1_3genE3ELNS1_11target_archE908ELNS1_3gpuE7ELNS1_3repE0EEENS1_60segmented_radix_sort_warp_sort_medium_config_static_selectorELNS0_4arch9wavefront6targetE1EEEvSK_.num_agpr, 0
	.set _ZN7rocprim17ROCPRIM_400000_NS6detail17trampoline_kernelINS0_14default_configENS1_36segmented_radix_sort_config_selectorIhlEEZNS1_25segmented_radix_sort_implIS3_Lb1EPKhPhPKlPlN2at6native12_GLOBAL__N_18offset_tEEE10hipError_tPvRmT1_PNSt15iterator_traitsISK_E10value_typeET2_T3_PNSL_ISQ_E10value_typeET4_jRbjT5_SW_jjP12ihipStream_tbEUlT_E0_NS1_11comp_targetILNS1_3genE3ELNS1_11target_archE908ELNS1_3gpuE7ELNS1_3repE0EEENS1_60segmented_radix_sort_warp_sort_medium_config_static_selectorELNS0_4arch9wavefront6targetE1EEEvSK_.numbered_sgpr, 0
	.set _ZN7rocprim17ROCPRIM_400000_NS6detail17trampoline_kernelINS0_14default_configENS1_36segmented_radix_sort_config_selectorIhlEEZNS1_25segmented_radix_sort_implIS3_Lb1EPKhPhPKlPlN2at6native12_GLOBAL__N_18offset_tEEE10hipError_tPvRmT1_PNSt15iterator_traitsISK_E10value_typeET2_T3_PNSL_ISQ_E10value_typeET4_jRbjT5_SW_jjP12ihipStream_tbEUlT_E0_NS1_11comp_targetILNS1_3genE3ELNS1_11target_archE908ELNS1_3gpuE7ELNS1_3repE0EEENS1_60segmented_radix_sort_warp_sort_medium_config_static_selectorELNS0_4arch9wavefront6targetE1EEEvSK_.num_named_barrier, 0
	.set _ZN7rocprim17ROCPRIM_400000_NS6detail17trampoline_kernelINS0_14default_configENS1_36segmented_radix_sort_config_selectorIhlEEZNS1_25segmented_radix_sort_implIS3_Lb1EPKhPhPKlPlN2at6native12_GLOBAL__N_18offset_tEEE10hipError_tPvRmT1_PNSt15iterator_traitsISK_E10value_typeET2_T3_PNSL_ISQ_E10value_typeET4_jRbjT5_SW_jjP12ihipStream_tbEUlT_E0_NS1_11comp_targetILNS1_3genE3ELNS1_11target_archE908ELNS1_3gpuE7ELNS1_3repE0EEENS1_60segmented_radix_sort_warp_sort_medium_config_static_selectorELNS0_4arch9wavefront6targetE1EEEvSK_.private_seg_size, 0
	.set _ZN7rocprim17ROCPRIM_400000_NS6detail17trampoline_kernelINS0_14default_configENS1_36segmented_radix_sort_config_selectorIhlEEZNS1_25segmented_radix_sort_implIS3_Lb1EPKhPhPKlPlN2at6native12_GLOBAL__N_18offset_tEEE10hipError_tPvRmT1_PNSt15iterator_traitsISK_E10value_typeET2_T3_PNSL_ISQ_E10value_typeET4_jRbjT5_SW_jjP12ihipStream_tbEUlT_E0_NS1_11comp_targetILNS1_3genE3ELNS1_11target_archE908ELNS1_3gpuE7ELNS1_3repE0EEENS1_60segmented_radix_sort_warp_sort_medium_config_static_selectorELNS0_4arch9wavefront6targetE1EEEvSK_.uses_vcc, 0
	.set _ZN7rocprim17ROCPRIM_400000_NS6detail17trampoline_kernelINS0_14default_configENS1_36segmented_radix_sort_config_selectorIhlEEZNS1_25segmented_radix_sort_implIS3_Lb1EPKhPhPKlPlN2at6native12_GLOBAL__N_18offset_tEEE10hipError_tPvRmT1_PNSt15iterator_traitsISK_E10value_typeET2_T3_PNSL_ISQ_E10value_typeET4_jRbjT5_SW_jjP12ihipStream_tbEUlT_E0_NS1_11comp_targetILNS1_3genE3ELNS1_11target_archE908ELNS1_3gpuE7ELNS1_3repE0EEENS1_60segmented_radix_sort_warp_sort_medium_config_static_selectorELNS0_4arch9wavefront6targetE1EEEvSK_.uses_flat_scratch, 0
	.set _ZN7rocprim17ROCPRIM_400000_NS6detail17trampoline_kernelINS0_14default_configENS1_36segmented_radix_sort_config_selectorIhlEEZNS1_25segmented_radix_sort_implIS3_Lb1EPKhPhPKlPlN2at6native12_GLOBAL__N_18offset_tEEE10hipError_tPvRmT1_PNSt15iterator_traitsISK_E10value_typeET2_T3_PNSL_ISQ_E10value_typeET4_jRbjT5_SW_jjP12ihipStream_tbEUlT_E0_NS1_11comp_targetILNS1_3genE3ELNS1_11target_archE908ELNS1_3gpuE7ELNS1_3repE0EEENS1_60segmented_radix_sort_warp_sort_medium_config_static_selectorELNS0_4arch9wavefront6targetE1EEEvSK_.has_dyn_sized_stack, 0
	.set _ZN7rocprim17ROCPRIM_400000_NS6detail17trampoline_kernelINS0_14default_configENS1_36segmented_radix_sort_config_selectorIhlEEZNS1_25segmented_radix_sort_implIS3_Lb1EPKhPhPKlPlN2at6native12_GLOBAL__N_18offset_tEEE10hipError_tPvRmT1_PNSt15iterator_traitsISK_E10value_typeET2_T3_PNSL_ISQ_E10value_typeET4_jRbjT5_SW_jjP12ihipStream_tbEUlT_E0_NS1_11comp_targetILNS1_3genE3ELNS1_11target_archE908ELNS1_3gpuE7ELNS1_3repE0EEENS1_60segmented_radix_sort_warp_sort_medium_config_static_selectorELNS0_4arch9wavefront6targetE1EEEvSK_.has_recursion, 0
	.set _ZN7rocprim17ROCPRIM_400000_NS6detail17trampoline_kernelINS0_14default_configENS1_36segmented_radix_sort_config_selectorIhlEEZNS1_25segmented_radix_sort_implIS3_Lb1EPKhPhPKlPlN2at6native12_GLOBAL__N_18offset_tEEE10hipError_tPvRmT1_PNSt15iterator_traitsISK_E10value_typeET2_T3_PNSL_ISQ_E10value_typeET4_jRbjT5_SW_jjP12ihipStream_tbEUlT_E0_NS1_11comp_targetILNS1_3genE3ELNS1_11target_archE908ELNS1_3gpuE7ELNS1_3repE0EEENS1_60segmented_radix_sort_warp_sort_medium_config_static_selectorELNS0_4arch9wavefront6targetE1EEEvSK_.has_indirect_call, 0
	.section	.AMDGPU.csdata,"",@progbits
; Kernel info:
; codeLenInByte = 0
; TotalNumSgprs: 4
; NumVgprs: 0
; ScratchSize: 0
; MemoryBound: 0
; FloatMode: 240
; IeeeMode: 1
; LDSByteSize: 0 bytes/workgroup (compile time only)
; SGPRBlocks: 0
; VGPRBlocks: 0
; NumSGPRsForWavesPerEU: 4
; NumVGPRsForWavesPerEU: 1
; Occupancy: 10
; WaveLimiterHint : 0
; COMPUTE_PGM_RSRC2:SCRATCH_EN: 0
; COMPUTE_PGM_RSRC2:USER_SGPR: 6
; COMPUTE_PGM_RSRC2:TRAP_HANDLER: 0
; COMPUTE_PGM_RSRC2:TGID_X_EN: 1
; COMPUTE_PGM_RSRC2:TGID_Y_EN: 0
; COMPUTE_PGM_RSRC2:TGID_Z_EN: 0
; COMPUTE_PGM_RSRC2:TIDIG_COMP_CNT: 0
	.text
	.p2align	2                               ; -- Begin function _ZN7rocprim17ROCPRIM_400000_NS6detail26segmented_warp_sort_helperINS1_20WarpSortHelperConfigILj16ELj8ELj256EEEhlLi256ELb1EvE4sortIPKhPhPKlPlEEvT_T0_T1_T2_jjjjRNS5_12storage_typeE
	.type	_ZN7rocprim17ROCPRIM_400000_NS6detail26segmented_warp_sort_helperINS1_20WarpSortHelperConfigILj16ELj8ELj256EEEhlLi256ELb1EvE4sortIPKhPhPKlPlEEvT_T0_T1_T2_jjjjRNS5_12storage_typeE,@function
_ZN7rocprim17ROCPRIM_400000_NS6detail26segmented_warp_sort_helperINS1_20WarpSortHelperConfigILj16ELj8ELj256EEEhlLi256ELb1EvE4sortIPKhPhPKlPlEEvT_T0_T1_T2_jjjjRNS5_12storage_typeE: ; @_ZN7rocprim17ROCPRIM_400000_NS6detail26segmented_warp_sort_helperINS1_20WarpSortHelperConfigILj16ELj8ELj256EEEhlLi256ELb1EvE4sortIPKhPhPKlPlEEvT_T0_T1_T2_jjjjRNS5_12storage_typeE
; %bb.0:
	s_waitcnt vmcnt(0) expcnt(0) lgkmcnt(0)
	v_mbcnt_lo_u32_b32 v13, -1, 0
	v_mbcnt_hi_u32_b32 v13, -1, v13
	v_add_co_u32_e32 v0, vcc, v0, v8
	v_lshlrev_b32_e32 v33, 3, v13
	v_addc_co_u32_e32 v1, vcc, 0, v1, vcc
	v_and_b32_e32 v30, 0x78, v33
	v_add_co_u32_e32 v0, vcc, v0, v30
	v_sub_u32_e32 v12, v9, v8
	v_mov_b32_e32 v9, 0
	v_addc_co_u32_e32 v1, vcc, 0, v1, vcc
	s_mov_b32 s6, 0
	v_cmp_lt_u32_e32 vcc, v30, v12
	v_mov_b32_e32 v22, v9
	v_mov_b32_e32 v23, v9
	s_and_saveexec_b64 s[4:5], vcc
	s_cbranch_execz .LBB97_2
; %bb.1:
	flat_load_ubyte v13, v[0:1]
	v_mov_b32_e32 v23, s6
	s_waitcnt vmcnt(0) lgkmcnt(0)
	v_and_b32_e32 v22, 0xffff, v13
.LBB97_2:
	s_or_b64 exec, exec, s[4:5]
	v_or_b32_e32 v13, 1, v30
	v_cmp_lt_u32_e64 s[4:5], v13, v12
	s_and_saveexec_b64 s[6:7], s[4:5]
	s_cbranch_execz .LBB97_4
; %bb.3:
	flat_load_ubyte v13, v[0:1] offset:1
	s_mov_b32 s10, 0x7060004
	s_waitcnt vmcnt(0) lgkmcnt(0)
	v_perm_b32 v22, v22, v13, s10
.LBB97_4:
	s_or_b64 exec, exec, s[6:7]
	v_or_b32_e32 v13, 2, v30
	v_cmp_lt_u32_e64 s[6:7], v13, v12
	s_and_saveexec_b64 s[10:11], s[6:7]
	s_cbranch_execz .LBB97_6
; %bb.5:
	flat_load_ubyte v13, v[0:1] offset:2
	s_mov_b32 s14, 0xc0c0304
	s_waitcnt vmcnt(0) lgkmcnt(0)
	v_perm_b32 v13, v13, v22, s14
	v_lshlrev_b32_e32 v13, 16, v13
	s_mov_b32 s14, 0xffff
	v_and_or_b32 v22, v22, s14, v13
.LBB97_6:
	s_or_b64 exec, exec, s[10:11]
	v_or_b32_e32 v13, 3, v30
	v_cmp_lt_u32_e64 s[18:19], v13, v12
	s_and_saveexec_b64 s[10:11], s[18:19]
	s_cbranch_execz .LBB97_8
; %bb.7:
	flat_load_ubyte v13, v[0:1] offset:3
	s_mov_b32 s14, 0xc0c0006
	s_waitcnt vmcnt(0) lgkmcnt(0)
	v_perm_b32 v13, v22, v13, s14
	v_lshlrev_b32_e32 v13, 16, v13
	s_mov_b32 s14, 0xffff
	v_and_or_b32 v22, v22, s14, v13
.LBB97_8:
	s_or_b64 exec, exec, s[10:11]
	v_or_b32_e32 v13, 4, v30
	v_cmp_lt_u32_e64 s[10:11], v13, v12
	s_and_saveexec_b64 s[14:15], s[10:11]
	s_cbranch_execz .LBB97_10
; %bb.9:
	flat_load_ubyte v13, v[0:1] offset:4
	s_mov_b32 s16, 0x3020104
	s_waitcnt vmcnt(0) lgkmcnt(0)
	v_perm_b32 v23, v13, v23, s16
.LBB97_10:
	s_or_b64 exec, exec, s[14:15]
	v_or_b32_e32 v13, 5, v30
	v_cmp_lt_u32_e64 s[24:25], v13, v12
	s_and_saveexec_b64 s[14:15], s[24:25]
	s_cbranch_execz .LBB97_12
; %bb.11:
	flat_load_ubyte v13, v[0:1] offset:5
	s_mov_b32 s16, 0x7060004
	s_waitcnt vmcnt(0) lgkmcnt(0)
	v_perm_b32 v23, v23, v13, s16
.LBB97_12:
	;; [unrolled: 11-line block ×4, first 2 shown]
	s_or_b64 exec, exec, s[20:21]
	v_lshlrev_b64 v[0:1], 3, v[8:9]
	v_lshlrev_b32_e32 v32, 3, v30
	v_add_co_u32_e64 v4, s[20:21], v4, v0
	v_addc_co_u32_e64 v5, s[20:21], v5, v1, s[20:21]
	v_add_co_u32_e64 v28, s[20:21], v4, v32
	v_addc_co_u32_e64 v29, s[20:21], 0, v5, s[20:21]
	; wave barrier
                                        ; implicit-def: $vgpr4_vgpr5
	s_and_saveexec_b64 s[20:21], vcc
	s_cbranch_execnz .LBB97_135
; %bb.17:
	s_or_b64 exec, exec, s[20:21]
                                        ; implicit-def: $vgpr14_vgpr15
	s_and_saveexec_b64 s[20:21], s[4:5]
	s_cbranch_execnz .LBB97_136
.LBB97_18:
	s_or_b64 exec, exec, s[20:21]
                                        ; implicit-def: $vgpr12_vgpr13
	s_and_saveexec_b64 s[20:21], s[6:7]
	s_cbranch_execnz .LBB97_137
.LBB97_19:
	s_or_b64 exec, exec, s[20:21]
                                        ; implicit-def: $vgpr16_vgpr17
	s_and_saveexec_b64 s[20:21], s[18:19]
	s_cbranch_execnz .LBB97_138
.LBB97_20:
	s_or_b64 exec, exec, s[20:21]
                                        ; implicit-def: $vgpr18_vgpr19
	s_and_saveexec_b64 s[20:21], s[10:11]
	s_cbranch_execnz .LBB97_139
.LBB97_21:
	s_or_b64 exec, exec, s[20:21]
                                        ; implicit-def: $vgpr20_vgpr21
	s_and_saveexec_b64 s[20:21], s[24:25]
	s_cbranch_execnz .LBB97_140
.LBB97_22:
	s_or_b64 exec, exec, s[20:21]
                                        ; implicit-def: $vgpr24_vgpr25
	s_and_saveexec_b64 s[20:21], s[14:15]
	s_cbranch_execnz .LBB97_141
.LBB97_23:
	s_or_b64 exec, exec, s[20:21]
                                        ; implicit-def: $vgpr26_vgpr27
	s_and_saveexec_b64 s[20:21], s[16:17]
	s_cbranch_execz .LBB97_25
.LBB97_24:
	flat_load_dwordx2 v[26:27], v[28:29] offset:56
.LBB97_25:
	s_or_b64 exec, exec, s[20:21]
	v_cmp_ne_u32_e64 s[20:21], 0, v10
	v_cmp_ne_u32_e64 s[22:23], 8, v11
	s_or_b64 s[20:21], s[20:21], s[22:23]
	v_bfe_u32 v9, v31, 10, 10
	v_bfe_u32 v28, v31, 20, 10
	; wave barrier
	s_and_saveexec_b64 s[22:23], s[20:21]
	s_xor_b64 s[46:47], exec, s[22:23]
	s_cbranch_execz .LBB97_71
; %bb.26:
	s_load_dwordx2 s[20:21], s[8:9], 0x0
	v_mov_b32_e32 v29, 0
	v_lshlrev_b32_e64 v11, v11, -1
	v_lshlrev_b32_e64 v10, v10, -1
	s_movk_i32 s26, 0x800
	s_waitcnt lgkmcnt(0)
	s_cmp_lt_u32 s13, s21
	s_cselect_b32 s21, 14, 20
	s_add_u32 s22, s8, s21
	s_addc_u32 s23, s9, 0
	s_cmp_lt_u32 s12, s20
	s_cselect_b32 s20, 12, 18
	s_add_u32 s20, s8, s20
	s_addc_u32 s21, s9, 0
	global_load_ushort v34, v29, s[22:23]
	global_load_ushort v35, v29, s[20:21]
	v_xor_b32_e32 v11, v11, v10
	s_waitcnt vmcnt(0)
	v_mad_u32_u24 v9, v28, v34, v9
	v_mul_lo_u32 v9, v9, v35
	v_and_b32_e32 v28, 0x3ff, v31
	v_add_lshl_u32 v28, v9, v28, 3
	v_cmp_gt_u32_e64 s[20:21], s26, v28
	s_and_saveexec_b64 s[22:23], s[20:21]
	s_cbranch_execz .LBB97_30
; %bb.27:
	s_mov_b32 s40, 0xc0c0001
	v_lshrrev_b32_e32 v10, 8, v22
	v_perm_b32 v9, 0, v22, s40
	s_mov_b32 s41, 0xffff0000
	v_and_b32_e32 v10, v10, v11
	v_and_b32_e32 v29, v22, v11
	v_and_or_b32 v9, v22, s41, v9
	v_cmp_gt_u16_sdwa s[20:21], v10, v29 src0_sel:BYTE_0 src1_sel:BYTE_0
	v_cndmask_b32_e64 v9, v22, v9, s[20:21]
	v_cndmask_b32_e64 v10, v14, v4, s[20:21]
	;; [unrolled: 1-line block ×3, first 2 shown]
	v_lshrrev_b32_e32 v14, 16, v9
	v_cndmask_b32_e64 v29, v15, v5, s[20:21]
	v_cndmask_b32_e64 v5, v5, v15, s[20:21]
	v_perm_b32 v15, 0, v14, s40
	v_and_b32_sdwa v22, v9, v11 dst_sel:DWORD dst_unused:UNUSED_PAD src0_sel:BYTE_3 src1_sel:DWORD
	v_and_b32_e32 v14, v14, v11
	v_cmp_gt_u16_sdwa s[20:21], v22, v14 src0_sel:DWORD src1_sel:BYTE_0
	v_lshlrev_b32_e32 v15, 16, v15
	s_mov_b32 s28, 0xffff
	v_cndmask_b32_e64 v14, v16, v12, s[20:21]
	v_cndmask_b32_e64 v12, v12, v16, s[20:21]
	v_lshrrev_b32_e32 v16, 8, v23
	v_and_or_b32 v15, v9, s28, v15
	v_cndmask_b32_e64 v22, v17, v13, s[20:21]
	v_cndmask_b32_e64 v13, v13, v17, s[20:21]
	s_mov_b32 s44, 0x7060405
	v_and_b32_e32 v16, v16, v11
	v_and_b32_e32 v17, v23, v11
	v_cndmask_b32_e64 v9, v9, v15, s[20:21]
	v_perm_b32 v15, v23, v23, s44
	v_cmp_gt_u16_sdwa s[20:21], v16, v17 src0_sel:BYTE_0 src1_sel:BYTE_0
	v_cndmask_b32_e64 v15, v23, v15, s[20:21]
	v_cndmask_b32_e64 v16, v18, v20, s[20:21]
	;; [unrolled: 1-line block ×5, first 2 shown]
	v_and_b32_sdwa v20, v15, v11 dst_sel:DWORD dst_unused:UNUSED_PAD src0_sel:BYTE_3 src1_sel:DWORD
	v_and_b32_sdwa v21, v15, v11 dst_sel:DWORD dst_unused:UNUSED_PAD src0_sel:WORD_1 src1_sel:DWORD
	s_mov_b32 s42, 0x6070504
	v_perm_b32 v23, v15, v15, s42
	v_cmp_gt_u16_sdwa s[20:21], v20, v21 src0_sel:DWORD src1_sel:BYTE_0
	v_cndmask_b32_e64 v15, v15, v23, s[20:21]
	v_lshrrev_b32_e32 v23, 8, v9
	v_cndmask_b32_e64 v20, v24, v26, s[20:21]
	v_cndmask_b32_e64 v24, v26, v24, s[20:21]
	v_and_b32_sdwa v26, v9, v11 dst_sel:DWORD dst_unused:UNUSED_PAD src0_sel:WORD_1 src1_sel:DWORD
	v_and_b32_e32 v23, v23, v11
	s_mov_b32 s29, 0x7050604
	v_cndmask_b32_e64 v21, v25, v27, s[20:21]
	v_cndmask_b32_e64 v25, v27, v25, s[20:21]
	v_perm_b32 v27, v9, v9, s29
	v_cmp_gt_u16_sdwa s[20:21], v26, v23 src0_sel:BYTE_0 src1_sel:BYTE_0
	s_movk_i32 s27, 0xff
	v_cndmask_b32_e64 v9, v9, v27, s[20:21]
	v_cndmask_b32_e64 v23, v13, v29, s[20:21]
	;; [unrolled: 1-line block ×3, first 2 shown]
	v_and_b32_sdwa v27, v9, s27 dst_sel:DWORD dst_unused:UNUSED_PAD src0_sel:WORD_1 src1_sel:DWORD
	v_lshlrev_b16_e32 v29, 8, v15
	s_mov_b32 s43, 0x3020107
	v_or_b32_sdwa v27, v27, v29 dst_sel:WORD_1 dst_unused:UNUSED_PAD src0_sel:DWORD src1_sel:DWORD
	v_and_b32_e32 v29, v15, v11
	v_and_b32_sdwa v31, v9, v11 dst_sel:DWORD dst_unused:UNUSED_PAD src0_sel:BYTE_3 src1_sel:DWORD
	v_cndmask_b32_e64 v26, v12, v10, s[20:21]
	v_cndmask_b32_e64 v10, v10, v12, s[20:21]
	v_perm_b32 v12, v9, v15, s43
	v_cmp_gt_u16_sdwa s[20:21], v29, v31 src0_sel:BYTE_0 src1_sel:DWORD
	v_cndmask_b32_e64 v12, v15, v12, s[20:21]
	v_lshrrev_b32_e32 v15, 8, v12
	v_and_or_b32 v27, v9, s28, v27
	v_cndmask_b32_e64 v31, v14, v16, s[20:21]
	v_cndmask_b32_e64 v14, v16, v14, s[20:21]
	v_and_b32_sdwa v16, v12, v11 dst_sel:DWORD dst_unused:UNUSED_PAD src0_sel:WORD_1 src1_sel:DWORD
	v_and_b32_e32 v15, v15, v11
	v_cndmask_b32_e64 v29, v22, v17, s[20:21]
	v_cndmask_b32_e64 v17, v17, v22, s[20:21]
	v_cndmask_b32_e64 v9, v9, v27, s[20:21]
	v_cmp_gt_u16_sdwa s[20:21], v16, v15 src0_sel:BYTE_0 src1_sel:BYTE_0
	v_perm_b32 v22, v12, v12, s29
	v_cndmask_b32_e64 v15, v19, v21, s[20:21]
	v_cndmask_b32_e64 v19, v21, v19, s[20:21]
	v_lshrrev_b32_e32 v21, 8, v9
	v_cndmask_b32_e64 v16, v18, v20, s[20:21]
	v_cndmask_b32_e64 v18, v20, v18, s[20:21]
	;; [unrolled: 1-line block ×3, first 2 shown]
	v_perm_b32 v20, 0, v9, s40
	v_and_b32_e32 v21, v21, v11
	v_and_b32_e32 v22, v9, v11
	v_and_or_b32 v20, v9, s41, v20
	v_cmp_gt_u16_sdwa s[20:21], v21, v22 src0_sel:BYTE_0 src1_sel:BYTE_0
	v_cndmask_b32_e64 v9, v9, v20, s[20:21]
	v_cndmask_b32_e64 v21, v10, v4, s[20:21]
	;; [unrolled: 1-line block ×3, first 2 shown]
	v_lshrrev_b32_e32 v10, 16, v9
	v_cndmask_b32_e64 v22, v13, v5, s[20:21]
	v_cndmask_b32_e64 v5, v5, v13, s[20:21]
	v_perm_b32 v13, 0, v10, s40
	v_and_b32_sdwa v20, v9, v11 dst_sel:DWORD dst_unused:UNUSED_PAD src0_sel:BYTE_3 src1_sel:DWORD
	v_and_b32_e32 v10, v10, v11
	v_lshlrev_b32_e32 v13, 16, v13
	v_cmp_gt_u16_sdwa s[20:21], v20, v10 src0_sel:DWORD src1_sel:BYTE_0
	v_lshrrev_b32_e32 v27, 8, v12
	v_and_or_b32 v13, v9, s28, v13
	v_cndmask_b32_e64 v20, v29, v23, s[20:21]
	v_cndmask_b32_e64 v23, v23, v29, s[20:21]
	v_and_b32_e32 v27, v27, v11
	v_and_b32_e32 v29, v12, v11
	v_cndmask_b32_e64 v10, v31, v26, s[20:21]
	v_cndmask_b32_e64 v26, v26, v31, s[20:21]
	;; [unrolled: 1-line block ×3, first 2 shown]
	v_perm_b32 v13, v12, v12, s44
	v_cmp_gt_u16_sdwa s[20:21], v27, v29 src0_sel:BYTE_0 src1_sel:BYTE_0
	v_cndmask_b32_e64 v12, v12, v13, s[20:21]
	v_cndmask_b32_e64 v27, v14, v16, s[20:21]
	;; [unrolled: 1-line block ×3, first 2 shown]
	v_and_b32_sdwa v13, v12, v11 dst_sel:DWORD dst_unused:UNUSED_PAD src0_sel:BYTE_3 src1_sel:DWORD
	v_and_b32_sdwa v16, v12, v11 dst_sel:DWORD dst_unused:UNUSED_PAD src0_sel:WORD_1 src1_sel:DWORD
	v_cndmask_b32_e64 v29, v17, v15, s[20:21]
	v_cndmask_b32_e64 v15, v15, v17, s[20:21]
	v_perm_b32 v17, v12, v12, s42
	v_cmp_gt_u16_sdwa s[20:21], v13, v16 src0_sel:DWORD src1_sel:BYTE_0
	v_cndmask_b32_e64 v12, v12, v17, s[20:21]
	v_lshrrev_b32_e32 v17, 8, v9
	v_cndmask_b32_e64 v13, v18, v24, s[20:21]
	v_cndmask_b32_e64 v18, v24, v18, s[20:21]
	v_and_b32_sdwa v24, v9, v11 dst_sel:DWORD dst_unused:UNUSED_PAD src0_sel:WORD_1 src1_sel:DWORD
	v_and_b32_e32 v17, v17, v11
	v_cndmask_b32_e64 v16, v19, v25, s[20:21]
	v_cndmask_b32_e64 v19, v25, v19, s[20:21]
	v_perm_b32 v25, v9, v9, s29
	v_cmp_gt_u16_sdwa s[20:21], v24, v17 src0_sel:BYTE_0 src1_sel:BYTE_0
	v_cndmask_b32_e64 v9, v9, v25, s[20:21]
	v_cndmask_b32_e64 v24, v26, v21, s[20:21]
	;; [unrolled: 1-line block ×3, first 2 shown]
	v_and_b32_sdwa v25, v9, s27 dst_sel:DWORD dst_unused:UNUSED_PAD src0_sel:WORD_1 src1_sel:DWORD
	v_lshlrev_b16_e32 v26, 8, v12
	v_or_b32_sdwa v25, v25, v26 dst_sel:WORD_1 dst_unused:UNUSED_PAD src0_sel:DWORD src1_sel:DWORD
	v_and_b32_e32 v26, v12, v11
	v_and_b32_sdwa v31, v9, v11 dst_sel:DWORD dst_unused:UNUSED_PAD src0_sel:BYTE_3 src1_sel:DWORD
	v_cndmask_b32_e64 v17, v23, v22, s[20:21]
	v_cndmask_b32_e64 v22, v22, v23, s[20:21]
	v_perm_b32 v23, v9, v12, s43
	v_cmp_gt_u16_sdwa s[20:21], v26, v31 src0_sel:BYTE_0 src1_sel:DWORD
	v_cndmask_b32_e64 v12, v12, v23, s[20:21]
	v_and_or_b32 v25, v9, s28, v25
	v_lshrrev_b32_e32 v23, 8, v12
	v_cndmask_b32_e64 v9, v9, v25, s[20:21]
	v_and_b32_sdwa v25, v12, v11 dst_sel:DWORD dst_unused:UNUSED_PAD src0_sel:WORD_1 src1_sel:DWORD
	v_and_b32_e32 v23, v23, v11
	v_cndmask_b32_e64 v26, v20, v29, s[20:21]
	v_cndmask_b32_e64 v31, v10, v27, s[20:21]
	;; [unrolled: 1-line block ×4, first 2 shown]
	v_cmp_gt_u16_sdwa s[20:21], v25, v23 src0_sel:BYTE_0 src1_sel:BYTE_0
	v_perm_b32 v27, v12, v12, s29
	v_cndmask_b32_e64 v23, v15, v16, s[20:21]
	v_cndmask_b32_e64 v15, v16, v15, s[20:21]
	v_lshrrev_b32_e32 v16, 8, v9
	v_cndmask_b32_e64 v25, v14, v13, s[20:21]
	v_cndmask_b32_e64 v13, v13, v14, s[20:21]
	;; [unrolled: 1-line block ×3, first 2 shown]
	v_perm_b32 v14, 0, v9, s40
	v_and_b32_e32 v16, v16, v11
	v_and_b32_e32 v27, v9, v11
	v_and_or_b32 v14, v9, s41, v14
	v_cmp_gt_u16_sdwa s[20:21], v16, v27 src0_sel:BYTE_0 src1_sel:BYTE_0
	v_cndmask_b32_e64 v9, v9, v14, s[20:21]
	v_lshrrev_b32_e32 v14, 16, v9
	v_cndmask_b32_e64 v16, v21, v4, s[20:21]
	v_cndmask_b32_e64 v27, v22, v5, s[20:21]
	;; [unrolled: 1-line block ×4, first 2 shown]
	v_perm_b32 v21, 0, v14, s40
	v_and_b32_sdwa v22, v9, v11 dst_sel:DWORD dst_unused:UNUSED_PAD src0_sel:BYTE_3 src1_sel:DWORD
	v_and_b32_e32 v14, v14, v11
	v_cmp_gt_u16_sdwa s[20:21], v22, v14 src0_sel:DWORD src1_sel:BYTE_0
	v_lshlrev_b32_e32 v21, 16, v21
	v_cndmask_b32_e64 v22, v26, v17, s[20:21]
	v_cndmask_b32_e64 v17, v17, v26, s[20:21]
	v_lshrrev_b32_e32 v26, 8, v12
	v_and_or_b32 v21, v9, s28, v21
	v_and_b32_e32 v26, v26, v11
	v_and_b32_e32 v29, v12, v11
	v_cndmask_b32_e64 v14, v31, v24, s[20:21]
	v_cndmask_b32_e64 v24, v24, v31, s[20:21]
	;; [unrolled: 1-line block ×3, first 2 shown]
	v_perm_b32 v21, v12, v12, s44
	v_cmp_gt_u16_sdwa s[20:21], v26, v29 src0_sel:BYTE_0 src1_sel:BYTE_0
	v_cndmask_b32_e64 v12, v12, v21, s[20:21]
	v_cndmask_b32_e64 v29, v20, v23, s[20:21]
	;; [unrolled: 1-line block ×3, first 2 shown]
	v_and_b32_sdwa v21, v12, v11 dst_sel:DWORD dst_unused:UNUSED_PAD src0_sel:BYTE_3 src1_sel:DWORD
	v_and_b32_sdwa v23, v12, v11 dst_sel:DWORD dst_unused:UNUSED_PAD src0_sel:WORD_1 src1_sel:DWORD
	v_cndmask_b32_e64 v26, v10, v25, s[20:21]
	v_cndmask_b32_e64 v10, v25, v10, s[20:21]
	v_cmp_gt_u16_sdwa s[20:21], v21, v23 src0_sel:DWORD src1_sel:BYTE_0
	v_cndmask_b32_e64 v21, v13, v18, s[20:21]
	v_cndmask_b32_e64 v13, v18, v13, s[20:21]
	v_lshrrev_b32_e32 v18, 8, v9
	v_perm_b32 v25, v12, v12, s42
	v_cndmask_b32_e64 v23, v15, v19, s[20:21]
	v_cndmask_b32_e64 v15, v19, v15, s[20:21]
	v_and_b32_sdwa v19, v9, v11 dst_sel:DWORD dst_unused:UNUSED_PAD src0_sel:WORD_1 src1_sel:DWORD
	v_and_b32_e32 v18, v18, v11
	v_cndmask_b32_e64 v12, v12, v25, s[20:21]
	v_perm_b32 v25, v9, v9, s29
	v_cmp_gt_u16_sdwa s[20:21], v19, v18 src0_sel:BYTE_0 src1_sel:BYTE_0
	v_cndmask_b32_e64 v9, v9, v25, s[20:21]
	v_cndmask_b32_e64 v18, v17, v27, s[20:21]
	;; [unrolled: 1-line block ×3, first 2 shown]
	v_and_b32_sdwa v25, v9, s27 dst_sel:DWORD dst_unused:UNUSED_PAD src0_sel:WORD_1 src1_sel:DWORD
	v_lshlrev_b16_e32 v27, 8, v12
	v_or_b32_sdwa v25, v25, v27 dst_sel:WORD_1 dst_unused:UNUSED_PAD src0_sel:DWORD src1_sel:DWORD
	v_and_b32_e32 v27, v12, v11
	v_and_b32_sdwa v31, v9, v11 dst_sel:DWORD dst_unused:UNUSED_PAD src0_sel:BYTE_3 src1_sel:DWORD
	v_cndmask_b32_e64 v19, v24, v16, s[20:21]
	v_cndmask_b32_e64 v16, v16, v24, s[20:21]
	v_perm_b32 v24, v9, v12, s43
	v_cmp_gt_u16_sdwa s[20:21], v27, v31 src0_sel:BYTE_0 src1_sel:DWORD
	v_cndmask_b32_e64 v12, v12, v24, s[20:21]
	v_and_or_b32 v25, v9, s28, v25
	v_lshrrev_b32_e32 v24, 8, v12
	v_cndmask_b32_e64 v9, v9, v25, s[20:21]
	v_and_b32_sdwa v25, v12, v11 dst_sel:DWORD dst_unused:UNUSED_PAD src0_sel:WORD_1 src1_sel:DWORD
	v_and_b32_e32 v24, v24, v11
	v_cndmask_b32_e64 v27, v22, v29, s[20:21]
	v_cndmask_b32_e64 v31, v14, v26, s[20:21]
	;; [unrolled: 1-line block ×4, first 2 shown]
	v_cmp_gt_u16_sdwa s[20:21], v25, v24 src0_sel:BYTE_0 src1_sel:BYTE_0
	v_perm_b32 v26, v12, v12, s29
	v_cndmask_b32_e64 v24, v20, v23, s[20:21]
	v_cndmask_b32_e64 v23, v23, v20, s[20:21]
	v_lshrrev_b32_e32 v20, 8, v9
	v_cndmask_b32_e64 v25, v10, v21, s[20:21]
	v_cndmask_b32_e64 v29, v21, v10, s[20:21]
	;; [unrolled: 1-line block ×3, first 2 shown]
	v_perm_b32 v12, 0, v9, s40
	v_and_b32_e32 v20, v20, v11
	v_and_b32_e32 v21, v9, v11
	v_and_or_b32 v12, v9, s41, v12
	v_cmp_gt_u16_sdwa s[20:21], v20, v21 src0_sel:BYTE_0 src1_sel:BYTE_0
	v_cndmask_b32_e64 v9, v9, v12, s[20:21]
	v_lshrrev_b32_e32 v12, 16, v9
	v_cndmask_b32_e64 v34, v16, v4, s[20:21]
	v_cndmask_b32_e64 v35, v17, v5, s[20:21]
	;; [unrolled: 1-line block ×4, first 2 shown]
	v_perm_b32 v16, 0, v12, s40
	v_and_b32_sdwa v17, v9, v11 dst_sel:DWORD dst_unused:UNUSED_PAD src0_sel:BYTE_3 src1_sel:DWORD
	v_and_b32_e32 v12, v12, v11
	v_lshlrev_b32_e32 v16, 16, v16
	v_cmp_gt_u16_sdwa s[20:21], v17, v12 src0_sel:DWORD src1_sel:BYTE_0
	v_lshrrev_b32_e32 v12, 8, v10
	v_and_or_b32 v16, v9, s28, v16
	v_cndmask_b32_e64 v36, v31, v19, s[20:21]
	v_cndmask_b32_e64 v17, v19, v31, s[20:21]
	v_and_b32_e32 v12, v12, v11
	v_and_b32_e32 v19, v10, v11
	v_cndmask_b32_e64 v37, v27, v18, s[20:21]
	v_cndmask_b32_e64 v18, v18, v27, s[20:21]
	;; [unrolled: 1-line block ×3, first 2 shown]
	v_perm_b32 v9, v10, v10, s44
	v_cmp_gt_u16_sdwa s[20:21], v12, v19 src0_sel:BYTE_0 src1_sel:BYTE_0
	v_cndmask_b32_e64 v12, v10, v9, s[20:21]
	v_and_b32_sdwa v9, v12, v11 dst_sel:DWORD dst_unused:UNUSED_PAD src0_sel:BYTE_3 src1_sel:DWORD
	v_and_b32_sdwa v10, v12, v11 dst_sel:DWORD dst_unused:UNUSED_PAD src0_sel:WORD_1 src1_sel:DWORD
	v_cndmask_b32_e64 v31, v14, v25, s[20:21]
	v_cndmask_b32_e64 v19, v22, v24, s[20:21]
	;; [unrolled: 1-line block ×4, first 2 shown]
	v_perm_b32 v14, v12, v12, s42
	v_cmp_gt_u16_sdwa s[20:21], v9, v10 src0_sel:DWORD src1_sel:BYTE_0
	v_cndmask_b32_e64 v22, v12, v14, s[20:21]
	v_lshrrev_b32_e32 v12, 8, v16
	v_cndmask_b32_e64 v9, v29, v13, s[20:21]
	v_cndmask_b32_e64 v26, v13, v29, s[20:21]
	v_and_b32_sdwa v13, v16, v11 dst_sel:DWORD dst_unused:UNUSED_PAD src0_sel:WORD_1 src1_sel:DWORD
	v_and_b32_e32 v12, v12, v11
	v_cndmask_b32_e64 v10, v23, v15, s[20:21]
	v_cndmask_b32_e64 v27, v15, v23, s[20:21]
	v_perm_b32 v23, v16, v16, s29
	v_cmp_gt_u16_sdwa s[20:21], v13, v12 src0_sel:BYTE_0 src1_sel:BYTE_0
	v_cndmask_b32_e64 v24, v16, v23, s[20:21]
	v_cndmask_b32_e64 v12, v17, v34, s[20:21]
	;; [unrolled: 1-line block ×3, first 2 shown]
	v_and_b32_sdwa v16, v24, s27 dst_sel:DWORD dst_unused:UNUSED_PAD src0_sel:WORD_1 src1_sel:DWORD
	v_lshlrev_b16_e32 v17, 8, v22
	v_cndmask_b32_e64 v13, v18, v35, s[20:21]
	v_cndmask_b32_e64 v15, v35, v18, s[20:21]
	v_or_b32_sdwa v16, v16, v17 dst_sel:WORD_1 dst_unused:UNUSED_PAD src0_sel:DWORD src1_sel:DWORD
	v_and_b32_e32 v17, v22, v11
	v_and_b32_sdwa v18, v24, v11 dst_sel:DWORD dst_unused:UNUSED_PAD src0_sel:BYTE_3 src1_sel:DWORD
	v_perm_b32 v23, v24, v22, s43
	v_cmp_gt_u16_sdwa s[20:21], v17, v18 src0_sel:BYTE_0 src1_sel:DWORD
	v_and_or_b32 v25, v24, s28, v16
	v_cndmask_b32_e64 v23, v22, v23, s[20:21]
	v_cndmask_b32_e64 v22, v24, v25, s[20:21]
	v_lshrrev_b32_e32 v24, 8, v23
	v_and_b32_sdwa v25, v23, v11 dst_sel:DWORD dst_unused:UNUSED_PAD src0_sel:WORD_1 src1_sel:DWORD
	v_and_b32_e32 v24, v24, v11
	v_cmp_gt_u16_sdwa s[40:41], v25, v24 src0_sel:BYTE_0 src1_sel:BYTE_0
	v_mov_b32_e32 v25, v10
	v_cndmask_b32_e64 v17, v37, v19, s[20:21]
	v_cndmask_b32_e64 v16, v36, v31, s[20:21]
	;; [unrolled: 1-line block ×4, first 2 shown]
	v_mov_b32_e32 v24, v9
	s_and_saveexec_b64 s[20:21], s[40:41]
; %bb.28:
	v_mov_b32_e32 v25, v21
	v_mov_b32_e32 v24, v20
	;; [unrolled: 1-line block ×3, first 2 shown]
	v_perm_b32 v23, v23, v23, s29
	v_mov_b32_e32 v20, v9
; %bb.29:
	s_or_b64 exec, exec, s[20:21]
.LBB97_30:
	s_or_b64 exec, exec, s[22:23]
	v_and_b32_e32 v29, 0xfffffe00, v28
	v_sub_u32_e64 v31, s26, v29 clamp
	v_or_b32_e32 v49, 8, v33
	v_min_u32_e32 v50, v31, v49
	v_add_u32_e32 v49, 8, v50
	v_and_b32_e32 v39, 0x3f0, v33
	v_min_u32_e32 v51, v31, v49
	v_and_b32_e32 v49, 8, v33
	v_min_u32_e32 v49, v31, v49
	v_sub_u32_e32 v52, v50, v39
	v_sub_u32_e32 v53, v51, v50
	v_lshlrev_b32_e32 v28, 3, v29
	v_lshrrev_b64 v[9:10], 24, v[22:23]
	v_sub_u32_e64 v53, v49, v53 clamp
	v_min_u32_e32 v52, v49, v52
	v_add_u32_e32 v34, v29, v33
	v_lshl_add_u32 v35, v33, 3, v28
	v_lshrrev_b32_e32 v36, 8, v22
	v_lshrrev_b32_e32 v37, 16, v22
	;; [unrolled: 1-line block ×5, first 2 shown]
	v_cmp_lt_u32_e64 s[20:21], v53, v52
	ds_write_b8 v34, v22
	ds_write_b64 v35, v[4:5] offset:2048
	ds_write_b8 v34, v36 offset:1
	ds_write_b64 v35, v[14:15] offset:2056
	ds_write_b8 v34, v37 offset:2
	;; [unrolled: 2-line block ×7, first 2 shown]
	ds_write_b64 v35, v[26:27] offset:2104
	; wave barrier
	s_and_saveexec_b64 s[22:23], s[20:21]
	s_cbranch_execz .LBB97_34
; %bb.31:
	v_add_u32_e32 v54, v29, v39
	v_add3_u32 v55, v29, v50, v49
	s_mov_b64 s[26:27], 0
.LBB97_32:                              ; =>This Inner Loop Header: Depth=1
	v_add_u32_e32 v64, v52, v53
	v_lshrrev_b32_e32 v64, 1, v64
	v_add_u32_e32 v65, v54, v64
	v_xad_u32 v66, v64, -1, v55
	ds_read_u8 v66, v66
	ds_read_u8 v65, v65
	v_add_u32_e32 v67, 1, v64
	s_waitcnt lgkmcnt(1)
	v_and_b32_e32 v66, v66, v11
	s_waitcnt lgkmcnt(0)
	v_and_b32_e32 v65, v65, v11
	v_cmp_gt_u16_sdwa s[20:21], v66, v65 src0_sel:BYTE_0 src1_sel:BYTE_0
	v_cndmask_b32_e64 v52, v52, v64, s[20:21]
	v_cndmask_b32_e64 v53, v67, v53, s[20:21]
	v_cmp_ge_u32_e64 s[20:21], v53, v52
	s_or_b64 s[26:27], s[20:21], s[26:27]
	s_andn2_b64 exec, exec, s[26:27]
	s_cbranch_execnz .LBB97_32
; %bb.33:
	s_or_b64 exec, exec, s[26:27]
.LBB97_34:
	s_or_b64 exec, exec, s[22:23]
	v_add_u32_e32 v52, v53, v39
	v_add_u32_e32 v39, v50, v49
	v_sub_u32_e32 v53, v39, v53
	v_cmp_le_u32_e64 s[20:21], v52, v50
	v_cmp_le_u32_e64 s[22:23], v53, v51
	s_or_b64 s[20:21], s[20:21], s[22:23]
	v_mov_b32_e32 v39, v22
	v_mov_b32_e32 v49, v23
	s_and_saveexec_b64 s[56:57], s[20:21]
	s_cbranch_execz .LBB97_40
; %bb.35:
	v_cmp_lt_u32_e64 s[20:21], v52, v50
                                        ; implicit-def: $vgpr9
	s_and_saveexec_b64 s[22:23], s[20:21]
; %bb.36:
	v_add_u32_e32 v4, v29, v52
	ds_read_u8 v9, v4
; %bb.37:
	s_or_b64 exec, exec, s[22:23]
	v_cmp_ge_u32_e64 s[22:23], v53, v51
	v_cmp_lt_u32_e64 s[26:27], v53, v51
                                        ; implicit-def: $vgpr10
	s_and_saveexec_b64 s[28:29], s[26:27]
; %bb.38:
	v_add_u32_e32 v4, v29, v53
	ds_read_u8 v10, v4
; %bb.39:
	s_or_b64 exec, exec, s[28:29]
	s_waitcnt lgkmcnt(0)
	v_and_b32_e32 v4, v10, v11
	v_and_b32_e32 v5, v9, v11
	v_cmp_le_u16_sdwa s[26:27], v4, v5 src0_sel:BYTE_0 src1_sel:BYTE_0
	s_and_b64 s[20:21], s[20:21], s[26:27]
	s_or_b64 s[20:21], s[22:23], s[20:21]
	v_cndmask_b32_e64 v4, v53, v52, s[20:21]
	v_cndmask_b32_e64 v5, v51, v50, s[20:21]
	v_add_u32_e32 v12, 1, v4
	v_add_u32_e32 v5, -1, v5
	v_min_u32_e32 v5, v12, v5
	v_add_u32_e32 v5, v29, v5
	ds_read_u8 v5, v5
	v_lshl_add_u32 v4, v4, 3, v28
	v_cndmask_b32_e64 v39, v10, v9, s[20:21]
	s_waitcnt lgkmcnt(0)
	v_cndmask_b32_e64 v22, v5, v10, s[20:21]
	v_cndmask_b32_e64 v23, v9, v5, s[20:21]
	;; [unrolled: 1-line block ×4, first 2 shown]
	v_and_b32_e32 v13, v22, v11
	v_and_b32_e32 v14, v23, v11
	v_cmp_lt_u32_e64 s[26:27], v12, v50
	v_cmp_le_u16_sdwa s[28:29], v13, v14 src0_sel:BYTE_0 src1_sel:BYTE_0
	v_cmp_ge_u32_e64 s[22:23], v5, v51
	s_and_b64 s[26:27], s[26:27], s[28:29]
	s_or_b64 s[22:23], s[22:23], s[26:27]
	v_cndmask_b32_e64 v13, v5, v12, s[22:23]
	v_cndmask_b32_e64 v14, v51, v50, s[22:23]
	v_add_u32_e32 v15, 1, v13
	v_add_u32_e32 v14, -1, v14
	v_min_u32_e32 v14, v15, v14
	v_add_u32_e32 v14, v29, v14
	ds_read_u8 v14, v14
	v_cndmask_b32_e64 v12, v12, v15, s[22:23]
	v_cmp_lt_u32_e64 s[28:29], v12, v50
	s_waitcnt lgkmcnt(0)
	v_cndmask_b32_e64 v24, v14, v22, s[22:23]
	v_cndmask_b32_e64 v25, v23, v14, s[22:23]
	;; [unrolled: 1-line block ×3, first 2 shown]
	v_and_b32_e32 v5, v24, v11
	v_and_b32_e32 v15, v25, v11
	v_cmp_le_u16_sdwa s[40:41], v5, v15 src0_sel:BYTE_0 src1_sel:BYTE_0
	v_cmp_ge_u32_e64 s[26:27], v14, v51
	s_and_b64 s[28:29], s[28:29], s[40:41]
	s_or_b64 s[26:27], s[26:27], s[28:29]
	v_cndmask_b32_e64 v16, v14, v12, s[26:27]
	v_cndmask_b32_e64 v5, v51, v50, s[26:27]
	v_add_u32_e32 v15, 1, v16
	v_add_u32_e32 v5, -1, v5
	v_min_u32_e32 v5, v15, v5
	v_add_u32_e32 v5, v29, v5
	ds_read_u8 v17, v5
	v_cndmask_b32_e64 v18, v12, v15, s[26:27]
	v_cmp_lt_u32_e64 s[40:41], v18, v50
	ds_read_b64 v[4:5], v4 offset:2048
	s_waitcnt lgkmcnt(1)
	v_cndmask_b32_e64 v26, v17, v24, s[26:27]
	v_cndmask_b32_e64 v27, v25, v17, s[26:27]
	;; [unrolled: 1-line block ×3, first 2 shown]
	v_and_b32_e32 v12, v26, v11
	v_and_b32_e32 v14, v27, v11
	v_cmp_le_u16_sdwa s[42:43], v12, v14 src0_sel:BYTE_0 src1_sel:BYTE_0
	v_cmp_ge_u32_e64 s[28:29], v17, v51
	s_and_b64 s[40:41], s[40:41], s[42:43]
	s_or_b64 s[28:29], s[28:29], s[40:41]
	v_cndmask_b32_e64 v19, v17, v18, s[28:29]
	v_cndmask_b32_e64 v12, v51, v50, s[28:29]
	v_add_u32_e32 v20, 1, v19
	v_add_u32_e32 v12, -1, v12
	v_min_u32_e32 v12, v20, v12
	v_add_u32_e32 v12, v29, v12
	ds_read_u8 v21, v12
	v_lshl_add_u32 v12, v13, 3, v28
	ds_read_b64 v[14:15], v12 offset:2048
	v_lshl_add_u32 v12, v16, 3, v28
	ds_read_b64 v[12:13], v12 offset:2048
	s_waitcnt lgkmcnt(2)
	v_cndmask_b32_e64 v38, v21, v26, s[28:29]
	v_cndmask_b32_e64 v48, v27, v21, s[28:29]
	v_cndmask_b32_e64 v21, v20, v17, s[28:29]
	v_cndmask_b32_e64 v20, v18, v20, s[28:29]
	v_and_b32_e32 v16, v38, v11
	v_and_b32_e32 v17, v48, v11
	v_cmp_lt_u32_e64 s[42:43], v20, v50
	v_cmp_le_u16_sdwa s[44:45], v16, v17 src0_sel:BYTE_0 src1_sel:BYTE_0
	v_cmp_ge_u32_e64 s[40:41], v21, v51
	s_and_b64 s[42:43], s[42:43], s[44:45]
	s_or_b64 s[40:41], s[40:41], s[42:43]
	v_cndmask_b32_e64 v18, v21, v20, s[40:41]
	v_cndmask_b32_e64 v16, v51, v50, s[40:41]
	v_add_u32_e32 v36, 1, v18
	v_add_u32_e32 v16, -1, v16
	v_min_u32_e32 v16, v36, v16
	v_add_u32_e32 v16, v29, v16
	ds_read_u8 v37, v16
	v_cndmask_b32_e64 v49, v36, v21, s[40:41]
	v_cndmask_b32_e64 v54, v20, v36, s[40:41]
	v_cmp_lt_u32_e64 s[44:45], v54, v50
	v_cmp_ge_u32_e64 s[42:43], v49, v51
	s_waitcnt lgkmcnt(0)
	v_cndmask_b32_e64 v52, v37, v38, s[40:41]
	v_cndmask_b32_e64 v53, v48, v37, s[40:41]
	v_and_b32_e32 v20, v52, v11
	v_and_b32_e32 v21, v53, v11
	v_cmp_le_u16_sdwa s[58:59], v20, v21 src0_sel:BYTE_0 src1_sel:BYTE_0
	s_and_b64 s[44:45], s[44:45], s[58:59]
	s_or_b64 s[42:43], s[42:43], s[44:45]
	v_cndmask_b32_e64 v20, v49, v54, s[42:43]
	v_cndmask_b32_e64 v21, v51, v50, s[42:43]
	v_lshl_add_u32 v36, v20, 3, v28
	v_add_u32_e32 v55, 1, v20
	v_add_u32_e32 v20, -1, v21
	v_min_u32_e32 v20, v55, v20
	v_lshl_add_u32 v16, v19, 3, v28
	v_lshl_add_u32 v18, v18, 3, v28
	v_add_u32_e32 v20, v29, v20
	ds_read_b64 v[16:17], v16 offset:2048
	ds_read_b64 v[18:19], v18 offset:2048
	ds_read_u8 v64, v20
	ds_read_b64 v[20:21], v36 offset:2048
	v_cndmask_b32_e64 v36, v22, v23, s[22:23]
	v_cndmask_b32_e64 v54, v54, v55, s[42:43]
	;; [unrolled: 1-line block ×3, first 2 shown]
	s_waitcnt lgkmcnt(1)
	v_cndmask_b32_e64 v22, v64, v52, s[42:43]
	v_cndmask_b32_e64 v23, v53, v64, s[42:43]
	v_and_b32_e32 v9, v22, v11
	v_and_b32_e32 v10, v23, v11
	v_cndmask_b32_e64 v64, v55, v49, s[42:43]
	v_cmp_lt_u32_e64 s[22:23], v54, v50
	v_cmp_le_u16_sdwa s[26:27], v9, v10 src0_sel:BYTE_0 src1_sel:BYTE_0
	v_cmp_ge_u32_e64 s[20:21], v64, v51
	s_and_b64 s[22:23], s[22:23], s[26:27]
	s_or_b64 s[20:21], s[20:21], s[22:23]
	v_cndmask_b32_e64 v9, v64, v54, s[20:21]
	v_cndmask_b32_e64 v10, v51, v50, s[20:21]
	v_lshl_add_u32 v24, v9, 3, v28
	v_add_u32_e32 v55, 1, v9
	v_add_u32_e32 v9, -1, v10
	v_min_u32_e32 v9, v55, v9
	v_add_u32_e32 v9, v29, v9
	ds_read_b64 v[24:25], v24 offset:2048
	ds_read_u8 v65, v9
	v_cndmask_b32_e64 v9, v26, v27, s[28:29]
	v_cndmask_b32_e64 v49, v38, v48, s[40:41]
	;; [unrolled: 1-line block ×4, first 2 shown]
	s_waitcnt lgkmcnt(0)
	v_cndmask_b32_e64 v22, v65, v22, s[20:21]
	v_cndmask_b32_e64 v23, v23, v65, s[20:21]
	v_cmp_lt_u32_e64 s[22:23], v27, v50
	v_and_b32_e32 v48, v22, v11
	v_and_b32_e32 v50, v23, v11
	v_cndmask_b32_e64 v26, v55, v64, s[20:21]
	v_cmp_le_u16_sdwa s[26:27], v48, v50 src0_sel:BYTE_0 src1_sel:BYTE_0
	v_cmp_ge_u32_e64 s[20:21], v26, v51
	s_and_b64 s[22:23], s[22:23], s[26:27]
	s_or_b64 s[20:21], s[20:21], s[22:23]
	v_cndmask_b32_e64 v26, v26, v27, s[20:21]
	v_cndmask_b32_e64 v10, v52, v53, s[42:43]
	;; [unrolled: 1-line block ×3, first 2 shown]
	v_lshl_add_u32 v26, v26, 3, v28
	v_lshlrev_b16_e32 v22, 8, v48
	v_lshlrev_b16_e32 v23, 8, v10
	ds_read_b64 v[26:27], v26 offset:2048
	v_or_b32_sdwa v22, v38, v22 dst_sel:WORD_1 dst_unused:UNUSED_PAD src0_sel:BYTE_0 src1_sel:DWORD
	v_or_b32_sdwa v23, v49, v23 dst_sel:DWORD dst_unused:UNUSED_PAD src0_sel:BYTE_0 src1_sel:DWORD
	v_or_b32_sdwa v23, v23, v22 dst_sel:DWORD dst_unused:UNUSED_PAD src0_sel:WORD_0 src1_sel:DWORD
	v_lshlrev_b16_e32 v22, 8, v9
	v_lshlrev_b16_e32 v50, 8, v36
	v_or_b32_sdwa v22, v37, v22 dst_sel:WORD_1 dst_unused:UNUSED_PAD src0_sel:BYTE_0 src1_sel:DWORD
	v_or_b32_sdwa v50, v39, v50 dst_sel:DWORD dst_unused:UNUSED_PAD src0_sel:BYTE_0 src1_sel:DWORD
	v_or_b32_sdwa v22, v50, v22 dst_sel:DWORD dst_unused:UNUSED_PAD src0_sel:WORD_0 src1_sel:DWORD
.LBB97_40:
	s_or_b64 exec, exec, s[56:57]
	v_and_b32_e32 v52, 0x3e0, v33
	v_or_b32_e32 v50, 16, v52
	v_min_u32_e32 v50, v31, v50
	v_add_u32_e32 v51, 16, v50
	v_min_u32_e32 v51, v31, v51
	v_and_b32_e32 v53, 24, v33
	v_min_u32_e32 v53, v31, v53
	v_sub_u32_e32 v55, v50, v52
	v_sub_u32_e32 v54, v51, v50
	v_sub_u32_e64 v54, v53, v54 clamp
	v_min_u32_e32 v55, v53, v55
	v_cmp_lt_u32_e64 s[20:21], v54, v55
	; wave barrier
	ds_write_b8 v34, v39
	ds_write_b64 v35, v[4:5] offset:2048
	ds_write_b8 v34, v36 offset:1
	ds_write_b64 v35, v[14:15] offset:2056
	ds_write_b8 v34, v37 offset:2
	;; [unrolled: 2-line block ×7, first 2 shown]
	s_waitcnt lgkmcnt(14)
	ds_write_b64 v35, v[26:27] offset:2104
	; wave barrier
	s_and_saveexec_b64 s[22:23], s[20:21]
	s_cbranch_execz .LBB97_44
; %bb.41:
	v_add_u32_e32 v64, v29, v52
	v_add3_u32 v65, v29, v50, v53
	s_mov_b64 s[26:27], 0
.LBB97_42:                              ; =>This Inner Loop Header: Depth=1
	v_add_u32_e32 v66, v55, v54
	v_lshrrev_b32_e32 v66, 1, v66
	v_add_u32_e32 v67, v64, v66
	v_xad_u32 v68, v66, -1, v65
	ds_read_u8 v68, v68
	ds_read_u8 v67, v67
	v_add_u32_e32 v69, 1, v66
	s_waitcnt lgkmcnt(1)
	v_and_b32_e32 v68, v68, v11
	s_waitcnt lgkmcnt(0)
	v_and_b32_e32 v67, v67, v11
	v_cmp_gt_u16_sdwa s[20:21], v68, v67 src0_sel:BYTE_0 src1_sel:BYTE_0
	v_cndmask_b32_e64 v55, v55, v66, s[20:21]
	v_cndmask_b32_e64 v54, v69, v54, s[20:21]
	v_cmp_ge_u32_e64 s[20:21], v54, v55
	s_or_b64 s[26:27], s[20:21], s[26:27]
	s_andn2_b64 exec, exec, s[26:27]
	s_cbranch_execnz .LBB97_42
; %bb.43:
	s_or_b64 exec, exec, s[26:27]
.LBB97_44:
	s_or_b64 exec, exec, s[22:23]
	v_add_u32_e32 v53, v50, v53
	v_add_u32_e32 v52, v54, v52
	v_sub_u32_e32 v53, v53, v54
	v_cmp_le_u32_e64 s[20:21], v52, v50
	v_cmp_le_u32_e64 s[22:23], v53, v51
	s_or_b64 s[20:21], s[20:21], s[22:23]
	s_and_saveexec_b64 s[56:57], s[20:21]
	s_cbranch_execz .LBB97_50
; %bb.45:
	v_cmp_lt_u32_e64 s[20:21], v52, v50
                                        ; implicit-def: $vgpr9
	s_and_saveexec_b64 s[22:23], s[20:21]
; %bb.46:
	v_add_u32_e32 v4, v29, v52
	ds_read_u8 v9, v4
; %bb.47:
	s_or_b64 exec, exec, s[22:23]
	v_cmp_ge_u32_e64 s[22:23], v53, v51
	v_cmp_lt_u32_e64 s[26:27], v53, v51
                                        ; implicit-def: $vgpr10
	s_and_saveexec_b64 s[28:29], s[26:27]
; %bb.48:
	v_add_u32_e32 v4, v29, v53
	ds_read_u8 v10, v4
; %bb.49:
	s_or_b64 exec, exec, s[28:29]
	s_waitcnt lgkmcnt(0)
	v_and_b32_e32 v4, v10, v11
	v_and_b32_e32 v5, v9, v11
	v_cmp_le_u16_sdwa s[26:27], v4, v5 src0_sel:BYTE_0 src1_sel:BYTE_0
	s_and_b64 s[20:21], s[20:21], s[26:27]
	s_or_b64 s[20:21], s[22:23], s[20:21]
	v_cndmask_b32_e64 v4, v53, v52, s[20:21]
	v_cndmask_b32_e64 v5, v51, v50, s[20:21]
	v_add_u32_e32 v12, 1, v4
	v_add_u32_e32 v5, -1, v5
	v_min_u32_e32 v5, v12, v5
	v_add_u32_e32 v5, v29, v5
	ds_read_u8 v5, v5
	v_lshl_add_u32 v4, v4, 3, v28
	v_cndmask_b32_e64 v39, v10, v9, s[20:21]
	s_waitcnt lgkmcnt(0)
	v_cndmask_b32_e64 v22, v5, v10, s[20:21]
	v_cndmask_b32_e64 v23, v9, v5, s[20:21]
	v_cndmask_b32_e64 v5, v12, v53, s[20:21]
	v_cndmask_b32_e64 v12, v52, v12, s[20:21]
	v_and_b32_e32 v13, v22, v11
	v_and_b32_e32 v14, v23, v11
	v_cmp_lt_u32_e64 s[26:27], v12, v50
	v_cmp_le_u16_sdwa s[28:29], v13, v14 src0_sel:BYTE_0 src1_sel:BYTE_0
	v_cmp_ge_u32_e64 s[22:23], v5, v51
	s_and_b64 s[26:27], s[26:27], s[28:29]
	s_or_b64 s[22:23], s[22:23], s[26:27]
	v_cndmask_b32_e64 v13, v5, v12, s[22:23]
	v_cndmask_b32_e64 v14, v51, v50, s[22:23]
	v_add_u32_e32 v15, 1, v13
	v_add_u32_e32 v14, -1, v14
	v_min_u32_e32 v14, v15, v14
	v_add_u32_e32 v14, v29, v14
	ds_read_u8 v14, v14
	v_cndmask_b32_e64 v12, v12, v15, s[22:23]
	v_cmp_lt_u32_e64 s[28:29], v12, v50
	s_waitcnt lgkmcnt(0)
	v_cndmask_b32_e64 v24, v14, v22, s[22:23]
	v_cndmask_b32_e64 v25, v23, v14, s[22:23]
	;; [unrolled: 1-line block ×3, first 2 shown]
	v_and_b32_e32 v5, v24, v11
	v_and_b32_e32 v15, v25, v11
	v_cmp_le_u16_sdwa s[40:41], v5, v15 src0_sel:BYTE_0 src1_sel:BYTE_0
	v_cmp_ge_u32_e64 s[26:27], v14, v51
	s_and_b64 s[28:29], s[28:29], s[40:41]
	s_or_b64 s[26:27], s[26:27], s[28:29]
	v_cndmask_b32_e64 v16, v14, v12, s[26:27]
	v_cndmask_b32_e64 v5, v51, v50, s[26:27]
	v_add_u32_e32 v15, 1, v16
	v_add_u32_e32 v5, -1, v5
	v_min_u32_e32 v5, v15, v5
	v_add_u32_e32 v5, v29, v5
	ds_read_u8 v17, v5
	v_cndmask_b32_e64 v18, v12, v15, s[26:27]
	v_cmp_lt_u32_e64 s[40:41], v18, v50
	ds_read_b64 v[4:5], v4 offset:2048
	s_waitcnt lgkmcnt(1)
	v_cndmask_b32_e64 v26, v17, v24, s[26:27]
	v_cndmask_b32_e64 v27, v25, v17, s[26:27]
	;; [unrolled: 1-line block ×3, first 2 shown]
	v_and_b32_e32 v12, v26, v11
	v_and_b32_e32 v14, v27, v11
	v_cmp_le_u16_sdwa s[42:43], v12, v14 src0_sel:BYTE_0 src1_sel:BYTE_0
	v_cmp_ge_u32_e64 s[28:29], v17, v51
	s_and_b64 s[40:41], s[40:41], s[42:43]
	s_or_b64 s[28:29], s[28:29], s[40:41]
	v_cndmask_b32_e64 v19, v17, v18, s[28:29]
	v_cndmask_b32_e64 v12, v51, v50, s[28:29]
	v_add_u32_e32 v20, 1, v19
	v_add_u32_e32 v12, -1, v12
	v_min_u32_e32 v12, v20, v12
	v_add_u32_e32 v12, v29, v12
	ds_read_u8 v21, v12
	v_lshl_add_u32 v12, v13, 3, v28
	ds_read_b64 v[14:15], v12 offset:2048
	v_lshl_add_u32 v12, v16, 3, v28
	ds_read_b64 v[12:13], v12 offset:2048
	s_waitcnt lgkmcnt(2)
	v_cndmask_b32_e64 v38, v21, v26, s[28:29]
	v_cndmask_b32_e64 v48, v27, v21, s[28:29]
	;; [unrolled: 1-line block ×4, first 2 shown]
	v_and_b32_e32 v16, v38, v11
	v_and_b32_e32 v17, v48, v11
	v_cmp_lt_u32_e64 s[42:43], v20, v50
	v_cmp_le_u16_sdwa s[44:45], v16, v17 src0_sel:BYTE_0 src1_sel:BYTE_0
	v_cmp_ge_u32_e64 s[40:41], v21, v51
	s_and_b64 s[42:43], s[42:43], s[44:45]
	s_or_b64 s[40:41], s[40:41], s[42:43]
	v_cndmask_b32_e64 v18, v21, v20, s[40:41]
	v_cndmask_b32_e64 v16, v51, v50, s[40:41]
	v_add_u32_e32 v36, 1, v18
	v_add_u32_e32 v16, -1, v16
	v_min_u32_e32 v16, v36, v16
	v_add_u32_e32 v16, v29, v16
	ds_read_u8 v37, v16
	v_cndmask_b32_e64 v49, v36, v21, s[40:41]
	v_cndmask_b32_e64 v54, v20, v36, s[40:41]
	v_cmp_lt_u32_e64 s[44:45], v54, v50
	v_cmp_ge_u32_e64 s[42:43], v49, v51
	s_waitcnt lgkmcnt(0)
	v_cndmask_b32_e64 v52, v37, v38, s[40:41]
	v_cndmask_b32_e64 v53, v48, v37, s[40:41]
	v_and_b32_e32 v20, v52, v11
	v_and_b32_e32 v21, v53, v11
	v_cmp_le_u16_sdwa s[58:59], v20, v21 src0_sel:BYTE_0 src1_sel:BYTE_0
	s_and_b64 s[44:45], s[44:45], s[58:59]
	s_or_b64 s[42:43], s[42:43], s[44:45]
	v_cndmask_b32_e64 v20, v49, v54, s[42:43]
	v_cndmask_b32_e64 v21, v51, v50, s[42:43]
	v_lshl_add_u32 v36, v20, 3, v28
	v_add_u32_e32 v55, 1, v20
	v_add_u32_e32 v20, -1, v21
	v_min_u32_e32 v20, v55, v20
	v_lshl_add_u32 v16, v19, 3, v28
	v_lshl_add_u32 v18, v18, 3, v28
	v_add_u32_e32 v20, v29, v20
	ds_read_b64 v[16:17], v16 offset:2048
	ds_read_b64 v[18:19], v18 offset:2048
	ds_read_u8 v64, v20
	ds_read_b64 v[20:21], v36 offset:2048
	v_cndmask_b32_e64 v36, v22, v23, s[22:23]
	v_cndmask_b32_e64 v54, v54, v55, s[42:43]
	;; [unrolled: 1-line block ×3, first 2 shown]
	s_waitcnt lgkmcnt(1)
	v_cndmask_b32_e64 v22, v64, v52, s[42:43]
	v_cndmask_b32_e64 v23, v53, v64, s[42:43]
	v_and_b32_e32 v9, v22, v11
	v_and_b32_e32 v10, v23, v11
	v_cndmask_b32_e64 v64, v55, v49, s[42:43]
	v_cmp_lt_u32_e64 s[22:23], v54, v50
	v_cmp_le_u16_sdwa s[26:27], v9, v10 src0_sel:BYTE_0 src1_sel:BYTE_0
	v_cmp_ge_u32_e64 s[20:21], v64, v51
	s_and_b64 s[22:23], s[22:23], s[26:27]
	s_or_b64 s[20:21], s[20:21], s[22:23]
	v_cndmask_b32_e64 v9, v64, v54, s[20:21]
	v_cndmask_b32_e64 v10, v51, v50, s[20:21]
	v_lshl_add_u32 v24, v9, 3, v28
	v_add_u32_e32 v55, 1, v9
	v_add_u32_e32 v9, -1, v10
	v_min_u32_e32 v9, v55, v9
	v_add_u32_e32 v9, v29, v9
	ds_read_b64 v[24:25], v24 offset:2048
	ds_read_u8 v65, v9
	v_cndmask_b32_e64 v9, v26, v27, s[28:29]
	v_cndmask_b32_e64 v49, v38, v48, s[40:41]
	;; [unrolled: 1-line block ×4, first 2 shown]
	s_waitcnt lgkmcnt(0)
	v_cndmask_b32_e64 v22, v65, v22, s[20:21]
	v_cndmask_b32_e64 v23, v23, v65, s[20:21]
	v_cmp_lt_u32_e64 s[22:23], v27, v50
	v_and_b32_e32 v48, v22, v11
	v_and_b32_e32 v50, v23, v11
	v_cndmask_b32_e64 v26, v55, v64, s[20:21]
	v_cmp_le_u16_sdwa s[26:27], v48, v50 src0_sel:BYTE_0 src1_sel:BYTE_0
	v_cmp_ge_u32_e64 s[20:21], v26, v51
	s_and_b64 s[22:23], s[22:23], s[26:27]
	s_or_b64 s[20:21], s[20:21], s[22:23]
	v_cndmask_b32_e64 v26, v26, v27, s[20:21]
	v_cndmask_b32_e64 v10, v52, v53, s[42:43]
	;; [unrolled: 1-line block ×3, first 2 shown]
	v_lshl_add_u32 v26, v26, 3, v28
	v_lshlrev_b16_e32 v22, 8, v48
	v_lshlrev_b16_e32 v23, 8, v10
	ds_read_b64 v[26:27], v26 offset:2048
	v_or_b32_sdwa v22, v38, v22 dst_sel:WORD_1 dst_unused:UNUSED_PAD src0_sel:BYTE_0 src1_sel:DWORD
	v_or_b32_sdwa v23, v49, v23 dst_sel:DWORD dst_unused:UNUSED_PAD src0_sel:BYTE_0 src1_sel:DWORD
	v_or_b32_sdwa v23, v23, v22 dst_sel:DWORD dst_unused:UNUSED_PAD src0_sel:WORD_0 src1_sel:DWORD
	v_lshlrev_b16_e32 v22, 8, v9
	v_lshlrev_b16_e32 v50, 8, v36
	v_or_b32_sdwa v22, v37, v22 dst_sel:WORD_1 dst_unused:UNUSED_PAD src0_sel:BYTE_0 src1_sel:DWORD
	v_or_b32_sdwa v50, v39, v50 dst_sel:DWORD dst_unused:UNUSED_PAD src0_sel:BYTE_0 src1_sel:DWORD
	v_or_b32_sdwa v22, v50, v22 dst_sel:DWORD dst_unused:UNUSED_PAD src0_sel:WORD_0 src1_sel:DWORD
.LBB97_50:
	s_or_b64 exec, exec, s[56:57]
	v_and_b32_e32 v52, 0x3c0, v33
	v_or_b32_e32 v50, 32, v52
	v_min_u32_e32 v50, v31, v50
	v_add_u32_e32 v51, 32, v50
	v_min_u32_e32 v51, v31, v51
	v_and_b32_e32 v53, 56, v33
	v_min_u32_e32 v53, v31, v53
	v_sub_u32_e32 v55, v50, v52
	v_sub_u32_e32 v54, v51, v50
	v_sub_u32_e64 v54, v53, v54 clamp
	v_min_u32_e32 v55, v53, v55
	v_cmp_lt_u32_e64 s[20:21], v54, v55
	; wave barrier
	ds_write_b8 v34, v39
	ds_write_b64 v35, v[4:5] offset:2048
	ds_write_b8 v34, v36 offset:1
	ds_write_b64 v35, v[14:15] offset:2056
	ds_write_b8 v34, v37 offset:2
	;; [unrolled: 2-line block ×7, first 2 shown]
	s_waitcnt lgkmcnt(14)
	ds_write_b64 v35, v[26:27] offset:2104
	; wave barrier
	s_and_saveexec_b64 s[22:23], s[20:21]
	s_cbranch_execz .LBB97_54
; %bb.51:
	v_add_u32_e32 v64, v29, v52
	v_add3_u32 v65, v29, v50, v53
	s_mov_b64 s[26:27], 0
.LBB97_52:                              ; =>This Inner Loop Header: Depth=1
	v_add_u32_e32 v66, v55, v54
	v_lshrrev_b32_e32 v66, 1, v66
	v_add_u32_e32 v67, v64, v66
	v_xad_u32 v68, v66, -1, v65
	ds_read_u8 v68, v68
	ds_read_u8 v67, v67
	v_add_u32_e32 v69, 1, v66
	s_waitcnt lgkmcnt(1)
	v_and_b32_e32 v68, v68, v11
	s_waitcnt lgkmcnt(0)
	v_and_b32_e32 v67, v67, v11
	v_cmp_gt_u16_sdwa s[20:21], v68, v67 src0_sel:BYTE_0 src1_sel:BYTE_0
	v_cndmask_b32_e64 v55, v55, v66, s[20:21]
	v_cndmask_b32_e64 v54, v69, v54, s[20:21]
	v_cmp_ge_u32_e64 s[20:21], v54, v55
	s_or_b64 s[26:27], s[20:21], s[26:27]
	s_andn2_b64 exec, exec, s[26:27]
	s_cbranch_execnz .LBB97_52
; %bb.53:
	s_or_b64 exec, exec, s[26:27]
.LBB97_54:
	s_or_b64 exec, exec, s[22:23]
	v_add_u32_e32 v53, v50, v53
	v_add_u32_e32 v52, v54, v52
	v_sub_u32_e32 v53, v53, v54
	v_cmp_le_u32_e64 s[20:21], v52, v50
	v_cmp_le_u32_e64 s[22:23], v53, v51
	s_or_b64 s[20:21], s[20:21], s[22:23]
	s_and_saveexec_b64 s[56:57], s[20:21]
	s_cbranch_execz .LBB97_60
; %bb.55:
	v_cmp_lt_u32_e64 s[20:21], v52, v50
                                        ; implicit-def: $vgpr9
	s_and_saveexec_b64 s[22:23], s[20:21]
; %bb.56:
	v_add_u32_e32 v4, v29, v52
	ds_read_u8 v9, v4
; %bb.57:
	s_or_b64 exec, exec, s[22:23]
	v_cmp_ge_u32_e64 s[22:23], v53, v51
	v_cmp_lt_u32_e64 s[26:27], v53, v51
                                        ; implicit-def: $vgpr10
	s_and_saveexec_b64 s[28:29], s[26:27]
; %bb.58:
	v_add_u32_e32 v4, v29, v53
	ds_read_u8 v10, v4
; %bb.59:
	s_or_b64 exec, exec, s[28:29]
	s_waitcnt lgkmcnt(0)
	v_and_b32_e32 v4, v10, v11
	v_and_b32_e32 v5, v9, v11
	v_cmp_le_u16_sdwa s[26:27], v4, v5 src0_sel:BYTE_0 src1_sel:BYTE_0
	s_and_b64 s[20:21], s[20:21], s[26:27]
	s_or_b64 s[20:21], s[22:23], s[20:21]
	v_cndmask_b32_e64 v4, v53, v52, s[20:21]
	v_cndmask_b32_e64 v5, v51, v50, s[20:21]
	v_add_u32_e32 v12, 1, v4
	v_add_u32_e32 v5, -1, v5
	v_min_u32_e32 v5, v12, v5
	v_add_u32_e32 v5, v29, v5
	ds_read_u8 v5, v5
	v_lshl_add_u32 v4, v4, 3, v28
	v_cndmask_b32_e64 v39, v10, v9, s[20:21]
	s_waitcnt lgkmcnt(0)
	v_cndmask_b32_e64 v22, v5, v10, s[20:21]
	v_cndmask_b32_e64 v23, v9, v5, s[20:21]
	;; [unrolled: 1-line block ×4, first 2 shown]
	v_and_b32_e32 v13, v22, v11
	v_and_b32_e32 v14, v23, v11
	v_cmp_lt_u32_e64 s[26:27], v12, v50
	v_cmp_le_u16_sdwa s[28:29], v13, v14 src0_sel:BYTE_0 src1_sel:BYTE_0
	v_cmp_ge_u32_e64 s[22:23], v5, v51
	s_and_b64 s[26:27], s[26:27], s[28:29]
	s_or_b64 s[22:23], s[22:23], s[26:27]
	v_cndmask_b32_e64 v13, v5, v12, s[22:23]
	v_cndmask_b32_e64 v14, v51, v50, s[22:23]
	v_add_u32_e32 v15, 1, v13
	v_add_u32_e32 v14, -1, v14
	v_min_u32_e32 v14, v15, v14
	v_add_u32_e32 v14, v29, v14
	ds_read_u8 v14, v14
	v_cndmask_b32_e64 v12, v12, v15, s[22:23]
	v_cmp_lt_u32_e64 s[28:29], v12, v50
	s_waitcnt lgkmcnt(0)
	v_cndmask_b32_e64 v24, v14, v22, s[22:23]
	v_cndmask_b32_e64 v25, v23, v14, s[22:23]
	;; [unrolled: 1-line block ×3, first 2 shown]
	v_and_b32_e32 v5, v24, v11
	v_and_b32_e32 v15, v25, v11
	v_cmp_le_u16_sdwa s[40:41], v5, v15 src0_sel:BYTE_0 src1_sel:BYTE_0
	v_cmp_ge_u32_e64 s[26:27], v14, v51
	s_and_b64 s[28:29], s[28:29], s[40:41]
	s_or_b64 s[26:27], s[26:27], s[28:29]
	v_cndmask_b32_e64 v16, v14, v12, s[26:27]
	v_cndmask_b32_e64 v5, v51, v50, s[26:27]
	v_add_u32_e32 v15, 1, v16
	v_add_u32_e32 v5, -1, v5
	v_min_u32_e32 v5, v15, v5
	v_add_u32_e32 v5, v29, v5
	ds_read_u8 v17, v5
	v_cndmask_b32_e64 v18, v12, v15, s[26:27]
	v_cmp_lt_u32_e64 s[40:41], v18, v50
	ds_read_b64 v[4:5], v4 offset:2048
	s_waitcnt lgkmcnt(1)
	v_cndmask_b32_e64 v26, v17, v24, s[26:27]
	v_cndmask_b32_e64 v27, v25, v17, s[26:27]
	v_cndmask_b32_e64 v17, v15, v14, s[26:27]
	v_and_b32_e32 v12, v26, v11
	v_and_b32_e32 v14, v27, v11
	v_cmp_le_u16_sdwa s[42:43], v12, v14 src0_sel:BYTE_0 src1_sel:BYTE_0
	v_cmp_ge_u32_e64 s[28:29], v17, v51
	s_and_b64 s[40:41], s[40:41], s[42:43]
	s_or_b64 s[28:29], s[28:29], s[40:41]
	v_cndmask_b32_e64 v19, v17, v18, s[28:29]
	v_cndmask_b32_e64 v12, v51, v50, s[28:29]
	v_add_u32_e32 v20, 1, v19
	v_add_u32_e32 v12, -1, v12
	v_min_u32_e32 v12, v20, v12
	v_add_u32_e32 v12, v29, v12
	ds_read_u8 v21, v12
	v_lshl_add_u32 v12, v13, 3, v28
	ds_read_b64 v[14:15], v12 offset:2048
	v_lshl_add_u32 v12, v16, 3, v28
	ds_read_b64 v[12:13], v12 offset:2048
	s_waitcnt lgkmcnt(2)
	v_cndmask_b32_e64 v38, v21, v26, s[28:29]
	v_cndmask_b32_e64 v48, v27, v21, s[28:29]
	;; [unrolled: 1-line block ×4, first 2 shown]
	v_and_b32_e32 v16, v38, v11
	v_and_b32_e32 v17, v48, v11
	v_cmp_lt_u32_e64 s[42:43], v20, v50
	v_cmp_le_u16_sdwa s[44:45], v16, v17 src0_sel:BYTE_0 src1_sel:BYTE_0
	v_cmp_ge_u32_e64 s[40:41], v21, v51
	s_and_b64 s[42:43], s[42:43], s[44:45]
	s_or_b64 s[40:41], s[40:41], s[42:43]
	v_cndmask_b32_e64 v18, v21, v20, s[40:41]
	v_cndmask_b32_e64 v16, v51, v50, s[40:41]
	v_add_u32_e32 v36, 1, v18
	v_add_u32_e32 v16, -1, v16
	v_min_u32_e32 v16, v36, v16
	v_add_u32_e32 v16, v29, v16
	ds_read_u8 v37, v16
	v_cndmask_b32_e64 v49, v36, v21, s[40:41]
	v_cndmask_b32_e64 v54, v20, v36, s[40:41]
	v_cmp_lt_u32_e64 s[44:45], v54, v50
	v_cmp_ge_u32_e64 s[42:43], v49, v51
	s_waitcnt lgkmcnt(0)
	v_cndmask_b32_e64 v52, v37, v38, s[40:41]
	v_cndmask_b32_e64 v53, v48, v37, s[40:41]
	v_and_b32_e32 v20, v52, v11
	v_and_b32_e32 v21, v53, v11
	v_cmp_le_u16_sdwa s[58:59], v20, v21 src0_sel:BYTE_0 src1_sel:BYTE_0
	s_and_b64 s[44:45], s[44:45], s[58:59]
	s_or_b64 s[42:43], s[42:43], s[44:45]
	v_cndmask_b32_e64 v20, v49, v54, s[42:43]
	v_cndmask_b32_e64 v21, v51, v50, s[42:43]
	v_lshl_add_u32 v36, v20, 3, v28
	v_add_u32_e32 v55, 1, v20
	v_add_u32_e32 v20, -1, v21
	v_min_u32_e32 v20, v55, v20
	v_lshl_add_u32 v16, v19, 3, v28
	v_lshl_add_u32 v18, v18, 3, v28
	v_add_u32_e32 v20, v29, v20
	ds_read_b64 v[16:17], v16 offset:2048
	ds_read_b64 v[18:19], v18 offset:2048
	ds_read_u8 v64, v20
	ds_read_b64 v[20:21], v36 offset:2048
	v_cndmask_b32_e64 v36, v22, v23, s[22:23]
	v_cndmask_b32_e64 v54, v54, v55, s[42:43]
	;; [unrolled: 1-line block ×3, first 2 shown]
	s_waitcnt lgkmcnt(1)
	v_cndmask_b32_e64 v22, v64, v52, s[42:43]
	v_cndmask_b32_e64 v23, v53, v64, s[42:43]
	v_and_b32_e32 v9, v22, v11
	v_and_b32_e32 v10, v23, v11
	v_cndmask_b32_e64 v64, v55, v49, s[42:43]
	v_cmp_lt_u32_e64 s[22:23], v54, v50
	v_cmp_le_u16_sdwa s[26:27], v9, v10 src0_sel:BYTE_0 src1_sel:BYTE_0
	v_cmp_ge_u32_e64 s[20:21], v64, v51
	s_and_b64 s[22:23], s[22:23], s[26:27]
	s_or_b64 s[20:21], s[20:21], s[22:23]
	v_cndmask_b32_e64 v9, v64, v54, s[20:21]
	v_cndmask_b32_e64 v10, v51, v50, s[20:21]
	v_lshl_add_u32 v24, v9, 3, v28
	v_add_u32_e32 v55, 1, v9
	v_add_u32_e32 v9, -1, v10
	v_min_u32_e32 v9, v55, v9
	v_add_u32_e32 v9, v29, v9
	ds_read_b64 v[24:25], v24 offset:2048
	ds_read_u8 v65, v9
	v_cndmask_b32_e64 v9, v26, v27, s[28:29]
	v_cndmask_b32_e64 v49, v38, v48, s[40:41]
	;; [unrolled: 1-line block ×4, first 2 shown]
	s_waitcnt lgkmcnt(0)
	v_cndmask_b32_e64 v22, v65, v22, s[20:21]
	v_cndmask_b32_e64 v23, v23, v65, s[20:21]
	v_cmp_lt_u32_e64 s[22:23], v27, v50
	v_and_b32_e32 v48, v22, v11
	v_and_b32_e32 v50, v23, v11
	v_cndmask_b32_e64 v26, v55, v64, s[20:21]
	v_cmp_le_u16_sdwa s[26:27], v48, v50 src0_sel:BYTE_0 src1_sel:BYTE_0
	v_cmp_ge_u32_e64 s[20:21], v26, v51
	s_and_b64 s[22:23], s[22:23], s[26:27]
	s_or_b64 s[20:21], s[20:21], s[22:23]
	v_cndmask_b32_e64 v26, v26, v27, s[20:21]
	v_cndmask_b32_e64 v10, v52, v53, s[42:43]
	;; [unrolled: 1-line block ×3, first 2 shown]
	v_lshl_add_u32 v26, v26, 3, v28
	v_lshlrev_b16_e32 v22, 8, v48
	v_lshlrev_b16_e32 v23, 8, v10
	ds_read_b64 v[26:27], v26 offset:2048
	v_or_b32_sdwa v22, v38, v22 dst_sel:WORD_1 dst_unused:UNUSED_PAD src0_sel:BYTE_0 src1_sel:DWORD
	v_or_b32_sdwa v23, v49, v23 dst_sel:DWORD dst_unused:UNUSED_PAD src0_sel:BYTE_0 src1_sel:DWORD
	v_or_b32_sdwa v23, v23, v22 dst_sel:DWORD dst_unused:UNUSED_PAD src0_sel:WORD_0 src1_sel:DWORD
	v_lshlrev_b16_e32 v22, 8, v9
	v_lshlrev_b16_e32 v50, 8, v36
	v_or_b32_sdwa v22, v37, v22 dst_sel:WORD_1 dst_unused:UNUSED_PAD src0_sel:BYTE_0 src1_sel:DWORD
	v_or_b32_sdwa v50, v39, v50 dst_sel:DWORD dst_unused:UNUSED_PAD src0_sel:BYTE_0 src1_sel:DWORD
	v_or_b32_sdwa v22, v50, v22 dst_sel:DWORD dst_unused:UNUSED_PAD src0_sel:WORD_0 src1_sel:DWORD
.LBB97_60:
	s_or_b64 exec, exec, s[56:57]
	v_and_b32_e32 v33, 0x380, v33
	; wave barrier
	ds_write_b8 v34, v39
	ds_write_b64 v35, v[4:5] offset:2048
	ds_write_b8 v34, v36 offset:1
	ds_write_b64 v35, v[14:15] offset:2056
	ds_write_b8 v34, v37 offset:2
	;; [unrolled: 2-line block ×7, first 2 shown]
	s_waitcnt lgkmcnt(14)
	ds_write_b64 v35, v[26:27] offset:2104
	v_or_b32_e32 v9, 64, v33
	v_min_u32_e32 v9, v31, v9
	v_add_u32_e32 v10, 64, v9
	v_min_u32_e32 v10, v31, v10
	v_min_u32_e32 v34, v31, v30
	v_sub_u32_e32 v31, v9, v33
	v_sub_u32_e32 v35, v10, v9
	v_sub_u32_e64 v35, v34, v35 clamp
	v_min_u32_e32 v31, v34, v31
	v_cmp_lt_u32_e64 s[20:21], v35, v31
	; wave barrier
	s_and_saveexec_b64 s[22:23], s[20:21]
	s_cbranch_execz .LBB97_64
; %bb.61:
	v_add_u32_e32 v36, v29, v33
	v_add3_u32 v37, v29, v9, v34
	s_mov_b64 s[26:27], 0
.LBB97_62:                              ; =>This Inner Loop Header: Depth=1
	v_add_u32_e32 v38, v31, v35
	v_lshrrev_b32_e32 v38, 1, v38
	v_add_u32_e32 v39, v36, v38
	v_xad_u32 v48, v38, -1, v37
	ds_read_u8 v48, v48
	ds_read_u8 v39, v39
	v_add_u32_e32 v49, 1, v38
	s_waitcnt lgkmcnt(1)
	v_and_b32_e32 v48, v48, v11
	s_waitcnt lgkmcnt(0)
	v_and_b32_e32 v39, v39, v11
	v_cmp_gt_u16_sdwa s[20:21], v48, v39 src0_sel:BYTE_0 src1_sel:BYTE_0
	v_cndmask_b32_e64 v31, v31, v38, s[20:21]
	v_cndmask_b32_e64 v35, v49, v35, s[20:21]
	v_cmp_ge_u32_e64 s[20:21], v35, v31
	s_or_b64 s[26:27], s[20:21], s[26:27]
	s_andn2_b64 exec, exec, s[26:27]
	s_cbranch_execnz .LBB97_62
; %bb.63:
	s_or_b64 exec, exec, s[26:27]
.LBB97_64:
	s_or_b64 exec, exec, s[22:23]
	v_add_u32_e32 v31, v35, v33
	v_add_u32_e32 v33, v9, v34
	v_sub_u32_e32 v33, v33, v35
	v_cmp_le_u32_e64 s[20:21], v31, v9
	v_cmp_le_u32_e64 s[22:23], v33, v10
	s_or_b64 s[20:21], s[20:21], s[22:23]
	s_and_saveexec_b64 s[56:57], s[20:21]
	s_cbranch_execz .LBB97_70
; %bb.65:
	v_cmp_lt_u32_e64 s[20:21], v31, v9
                                        ; implicit-def: $vgpr22
	s_and_saveexec_b64 s[22:23], s[20:21]
; %bb.66:
	v_add_u32_e32 v4, v29, v31
	ds_read_u8 v22, v4
; %bb.67:
	s_or_b64 exec, exec, s[22:23]
	v_cmp_ge_u32_e64 s[22:23], v33, v10
	v_cmp_lt_u32_e64 s[26:27], v33, v10
                                        ; implicit-def: $vgpr23
	s_and_saveexec_b64 s[28:29], s[26:27]
; %bb.68:
	v_add_u32_e32 v4, v29, v33
	ds_read_u8 v23, v4
; %bb.69:
	s_or_b64 exec, exec, s[28:29]
	s_waitcnt lgkmcnt(0)
	v_and_b32_e32 v4, v23, v11
	v_and_b32_e32 v5, v22, v11
	v_cmp_le_u16_sdwa s[26:27], v4, v5 src0_sel:BYTE_0 src1_sel:BYTE_0
	s_and_b64 s[20:21], s[20:21], s[26:27]
	s_or_b64 s[20:21], s[22:23], s[20:21]
	v_cndmask_b32_e64 v4, v33, v31, s[20:21]
	v_cndmask_b32_e64 v5, v10, v9, s[20:21]
	v_add_u32_e32 v12, 1, v4
	v_add_u32_e32 v5, -1, v5
	v_min_u32_e32 v5, v12, v5
	v_add_u32_e32 v5, v29, v5
	ds_read_u8 v5, v5
	v_lshl_add_u32 v4, v4, 3, v28
	s_waitcnt lgkmcnt(0)
	v_cndmask_b32_e64 v24, v5, v23, s[20:21]
	v_cndmask_b32_e64 v25, v22, v5, s[20:21]
	;; [unrolled: 1-line block ×4, first 2 shown]
	v_and_b32_e32 v13, v24, v11
	v_and_b32_e32 v14, v25, v11
	v_cmp_lt_u32_e64 s[26:27], v12, v9
	v_cmp_le_u16_sdwa s[28:29], v13, v14 src0_sel:BYTE_0 src1_sel:BYTE_0
	v_cmp_ge_u32_e64 s[22:23], v5, v10
	s_and_b64 s[26:27], s[26:27], s[28:29]
	s_or_b64 s[22:23], s[22:23], s[26:27]
	v_cndmask_b32_e64 v13, v5, v12, s[22:23]
	v_cndmask_b32_e64 v14, v10, v9, s[22:23]
	v_add_u32_e32 v15, 1, v13
	v_add_u32_e32 v14, -1, v14
	v_min_u32_e32 v14, v15, v14
	v_add_u32_e32 v14, v29, v14
	ds_read_u8 v14, v14
	v_cndmask_b32_e64 v12, v12, v15, s[22:23]
	v_cmp_lt_u32_e64 s[28:29], v12, v9
	v_cndmask_b32_e64 v22, v23, v22, s[20:21]
	s_waitcnt lgkmcnt(0)
	v_cndmask_b32_e64 v26, v14, v24, s[22:23]
	v_cndmask_b32_e64 v27, v25, v14, s[22:23]
	;; [unrolled: 1-line block ×3, first 2 shown]
	v_and_b32_e32 v5, v26, v11
	v_and_b32_e32 v15, v27, v11
	v_cmp_le_u16_sdwa s[40:41], v5, v15 src0_sel:BYTE_0 src1_sel:BYTE_0
	v_cmp_ge_u32_e64 s[26:27], v14, v10
	s_and_b64 s[28:29], s[28:29], s[40:41]
	s_or_b64 s[26:27], s[26:27], s[28:29]
	v_cndmask_b32_e64 v16, v14, v12, s[26:27]
	v_cndmask_b32_e64 v5, v10, v9, s[26:27]
	v_add_u32_e32 v15, 1, v16
	v_add_u32_e32 v5, -1, v5
	v_min_u32_e32 v5, v15, v5
	v_add_u32_e32 v5, v29, v5
	ds_read_u8 v17, v5
	v_cndmask_b32_e64 v18, v12, v15, s[26:27]
	v_cmp_lt_u32_e64 s[40:41], v18, v9
	ds_read_b64 v[4:5], v4 offset:2048
	v_cndmask_b32_e64 v51, v26, v27, s[26:27]
	s_waitcnt lgkmcnt(1)
	v_cndmask_b32_e64 v31, v17, v26, s[26:27]
	v_cndmask_b32_e64 v33, v27, v17, s[26:27]
	;; [unrolled: 1-line block ×3, first 2 shown]
	v_and_b32_e32 v12, v31, v11
	v_and_b32_e32 v14, v33, v11
	v_cmp_le_u16_sdwa s[42:43], v12, v14 src0_sel:BYTE_0 src1_sel:BYTE_0
	v_cmp_ge_u32_e64 s[28:29], v17, v10
	s_and_b64 s[40:41], s[40:41], s[42:43]
	s_or_b64 s[28:29], s[28:29], s[40:41]
	v_cndmask_b32_e64 v19, v17, v18, s[28:29]
	v_cndmask_b32_e64 v12, v10, v9, s[28:29]
	v_add_u32_e32 v20, 1, v19
	v_add_u32_e32 v12, -1, v12
	v_min_u32_e32 v12, v20, v12
	v_add_u32_e32 v12, v29, v12
	ds_read_u8 v21, v12
	v_lshl_add_u32 v12, v13, 3, v28
	ds_read_b64 v[14:15], v12 offset:2048
	v_lshl_add_u32 v12, v16, 3, v28
	ds_read_b64 v[12:13], v12 offset:2048
	s_waitcnt lgkmcnt(2)
	v_cndmask_b32_e64 v34, v21, v31, s[28:29]
	v_cndmask_b32_e64 v35, v33, v21, s[28:29]
	;; [unrolled: 1-line block ×4, first 2 shown]
	v_and_b32_e32 v16, v34, v11
	v_and_b32_e32 v17, v35, v11
	v_cmp_lt_u32_e64 s[42:43], v20, v9
	v_cmp_le_u16_sdwa s[44:45], v16, v17 src0_sel:BYTE_0 src1_sel:BYTE_0
	v_cmp_ge_u32_e64 s[40:41], v21, v10
	s_and_b64 s[42:43], s[42:43], s[44:45]
	s_or_b64 s[40:41], s[40:41], s[42:43]
	v_cndmask_b32_e64 v18, v21, v20, s[40:41]
	v_cndmask_b32_e64 v16, v10, v9, s[40:41]
	v_add_u32_e32 v36, 1, v18
	v_add_u32_e32 v16, -1, v16
	v_min_u32_e32 v16, v36, v16
	v_add_u32_e32 v16, v29, v16
	ds_read_u8 v37, v16
	v_cndmask_b32_e64 v39, v36, v21, s[40:41]
	v_cndmask_b32_e64 v36, v20, v36, s[40:41]
	v_cmp_lt_u32_e64 s[44:45], v36, v9
	v_cmp_ge_u32_e64 s[42:43], v39, v10
	s_waitcnt lgkmcnt(0)
	v_cndmask_b32_e64 v38, v37, v34, s[40:41]
	v_cndmask_b32_e64 v37, v35, v37, s[40:41]
	v_and_b32_e32 v20, v38, v11
	v_and_b32_e32 v21, v37, v11
	v_cmp_le_u16_sdwa s[58:59], v20, v21 src0_sel:BYTE_0 src1_sel:BYTE_0
	s_and_b64 s[44:45], s[44:45], s[58:59]
	s_or_b64 s[42:43], s[42:43], s[44:45]
	v_cndmask_b32_e64 v20, v39, v36, s[42:43]
	v_cndmask_b32_e64 v21, v10, v9, s[42:43]
	v_lshl_add_u32 v48, v20, 3, v28
	v_add_u32_e32 v49, 1, v20
	v_add_u32_e32 v20, -1, v21
	v_min_u32_e32 v20, v49, v20
	v_lshl_add_u32 v16, v19, 3, v28
	v_lshl_add_u32 v18, v18, 3, v28
	v_add_u32_e32 v20, v29, v20
	ds_read_b64 v[16:17], v16 offset:2048
	ds_read_b64 v[18:19], v18 offset:2048
	ds_read_u8 v50, v20
	ds_read_b64 v[20:21], v48 offset:2048
	v_cndmask_b32_e64 v48, v24, v25, s[22:23]
	v_cndmask_b32_e64 v36, v36, v49, s[42:43]
	;; [unrolled: 1-line block ×3, first 2 shown]
	s_waitcnt lgkmcnt(1)
	v_cndmask_b32_e64 v23, v50, v38, s[42:43]
	v_cndmask_b32_e64 v26, v37, v50, s[42:43]
	v_and_b32_e32 v24, v23, v11
	v_and_b32_e32 v25, v26, v11
	v_cmp_lt_u32_e64 s[22:23], v36, v9
	v_cmp_le_u16_sdwa s[26:27], v24, v25 src0_sel:BYTE_0 src1_sel:BYTE_0
	v_cmp_ge_u32_e64 s[20:21], v27, v10
	s_and_b64 s[22:23], s[22:23], s[26:27]
	s_or_b64 s[20:21], s[20:21], s[22:23]
	v_cndmask_b32_e64 v24, v27, v36, s[20:21]
	v_cndmask_b32_e64 v25, v10, v9, s[20:21]
	v_lshl_add_u32 v39, v24, 3, v28
	v_add_u32_e32 v49, 1, v24
	v_add_u32_e32 v24, -1, v25
	v_min_u32_e32 v24, v49, v24
	v_add_u32_e32 v29, v29, v24
	ds_read_b64 v[24:25], v39 offset:2048
	ds_read_u8 v29, v29
	v_cndmask_b32_e64 v31, v31, v33, s[28:29]
	v_cndmask_b32_e64 v33, v34, v35, s[40:41]
	v_cndmask_b32_e64 v35, v23, v26, s[20:21]
	v_cndmask_b32_e64 v27, v49, v27, s[20:21]
	s_waitcnt lgkmcnt(0)
	v_cndmask_b32_e64 v23, v29, v23, s[20:21]
	v_cndmask_b32_e64 v26, v26, v29, s[20:21]
	;; [unrolled: 1-line block ×3, first 2 shown]
	v_cmp_ge_u32_e64 s[20:21], v27, v10
	v_cmp_lt_u32_e64 s[22:23], v29, v9
	v_and_b32_e32 v9, v23, v11
	v_and_b32_e32 v10, v26, v11
	v_cmp_le_u16_sdwa s[26:27], v9, v10 src0_sel:BYTE_0 src1_sel:BYTE_0
	s_and_b64 s[22:23], s[22:23], s[26:27]
	s_or_b64 s[20:21], s[20:21], s[22:23]
	v_cndmask_b32_e64 v34, v38, v37, s[42:43]
	v_cndmask_b32_e64 v9, v27, v29, s[20:21]
	;; [unrolled: 1-line block ×3, first 2 shown]
	v_lshlrev_b16_e32 v10, 8, v10
	v_lshlrev_b16_e32 v11, 8, v34
	v_lshl_add_u32 v9, v9, 3, v28
	v_or_b32_sdwa v10, v35, v10 dst_sel:WORD_1 dst_unused:UNUSED_PAD src0_sel:BYTE_0 src1_sel:DWORD
	v_or_b32_sdwa v11, v33, v11 dst_sel:DWORD dst_unused:UNUSED_PAD src0_sel:BYTE_0 src1_sel:DWORD
	ds_read_b64 v[26:27], v9 offset:2048
	v_or_b32_sdwa v23, v11, v10 dst_sel:DWORD dst_unused:UNUSED_PAD src0_sel:WORD_0 src1_sel:DWORD
	v_lshlrev_b16_e32 v10, 8, v31
	v_or_b32_sdwa v9, v51, v10 dst_sel:WORD_1 dst_unused:UNUSED_PAD src0_sel:BYTE_0 src1_sel:DWORD
	v_lshlrev_b16_e32 v10, 8, v48
	v_or_b32_sdwa v10, v22, v10 dst_sel:DWORD dst_unused:UNUSED_PAD src0_sel:BYTE_0 src1_sel:DWORD
	v_or_b32_sdwa v22, v10, v9 dst_sel:DWORD dst_unused:UNUSED_PAD src0_sel:WORD_0 src1_sel:DWORD
.LBB97_70:
	s_or_b64 exec, exec, s[56:57]
	; wave barrier
	s_waitcnt lgkmcnt(0)
	s_barrier
                                        ; implicit-def: $vgpr33
                                        ; implicit-def: $vgpr31
                                        ; implicit-def: $vgpr9
                                        ; implicit-def: $vgpr28
.LBB97_71:
	s_andn2_saveexec_b64 s[42:43], s[46:47]
	s_cbranch_execz .LBB97_117
; %bb.72:
	s_load_dwordx2 s[20:21], s[8:9], 0x0
	v_mov_b32_e32 v10, 0
	s_waitcnt lgkmcnt(0)
	s_cmp_lt_u32 s13, s21
	s_cselect_b32 s13, 14, 20
	s_add_u32 s22, s8, s13
	s_addc_u32 s23, s9, 0
	s_cmp_lt_u32 s12, s20
	s_cselect_b32 s12, 12, 18
	s_add_u32 s8, s8, s12
	s_addc_u32 s9, s9, 0
	global_load_ushort v11, v10, s[22:23]
	global_load_ushort v29, v10, s[8:9]
	v_and_b32_e32 v10, 0x3ff, v31
	s_movk_i32 s20, 0x800
	s_waitcnt vmcnt(0)
	v_mad_u32_u24 v9, v28, v11, v9
	v_mul_lo_u32 v9, v9, v29
	v_add_lshl_u32 v11, v9, v10, 3
	v_cmp_gt_u32_e64 s[8:9], s20, v11
	s_and_saveexec_b64 s[12:13], s[8:9]
	s_cbranch_execz .LBB97_76
; %bb.73:
	s_mov_b32 s26, 0xc0c0001
	v_perm_b32 v9, 0, v22, s26
	s_mov_b32 s27, 0xffff0000
	v_lshrrev_b32_e32 v10, 8, v22
	v_and_or_b32 v9, v22, s27, v9
	v_cmp_gt_u16_sdwa s[8:9], v10, v22 src0_sel:BYTE_0 src1_sel:BYTE_0
	v_cndmask_b32_e64 v9, v22, v9, s[8:9]
	v_cndmask_b32_e64 v10, v14, v4, s[8:9]
	;; [unrolled: 1-line block ×3, first 2 shown]
	v_lshrrev_b32_e32 v14, 16, v9
	v_cndmask_b32_e64 v28, v15, v5, s[8:9]
	v_cndmask_b32_e64 v5, v5, v15, s[8:9]
	v_perm_b32 v15, 0, v14, s26
	v_lshlrev_b32_e32 v15, 16, v15
	s_mov_b32 s22, 0xffff
	v_cmp_gt_u16_sdwa s[8:9], v9, v14 src0_sel:BYTE_3 src1_sel:BYTE_0
	v_and_or_b32 v15, v9, s22, v15
	v_cndmask_b32_e64 v14, v16, v12, s[8:9]
	v_cndmask_b32_e64 v12, v12, v16, s[8:9]
	s_mov_b32 s40, 0x7060405
	v_lshrrev_b32_e32 v16, 8, v23
	v_cndmask_b32_e64 v22, v17, v13, s[8:9]
	v_cndmask_b32_e64 v13, v13, v17, s[8:9]
	;; [unrolled: 1-line block ×3, first 2 shown]
	v_perm_b32 v15, v23, v23, s40
	v_cmp_gt_u16_sdwa s[8:9], v16, v23 src0_sel:BYTE_0 src1_sel:BYTE_0
	s_movk_i32 s21, 0xff
	v_cndmask_b32_e64 v15, v23, v15, s[8:9]
	v_cndmask_b32_e64 v16, v18, v20, s[8:9]
	;; [unrolled: 1-line block ×3, first 2 shown]
	v_and_b32_sdwa v20, v15, s21 dst_sel:DWORD dst_unused:UNUSED_PAD src0_sel:WORD_1 src1_sel:DWORD
	s_mov_b32 s28, 0x6070504
	v_cndmask_b32_e64 v17, v19, v21, s[8:9]
	v_cndmask_b32_e64 v19, v21, v19, s[8:9]
	v_perm_b32 v21, v15, v15, s28
	v_cmp_gt_u16_sdwa s[8:9], v15, v20 src0_sel:BYTE_3 src1_sel:DWORD
	v_cndmask_b32_e64 v20, v24, v26, s[8:9]
	v_cndmask_b32_e64 v24, v26, v24, s[8:9]
	;; [unrolled: 1-line block ×3, first 2 shown]
	v_and_b32_sdwa v21, v9, s21 dst_sel:DWORD dst_unused:UNUSED_PAD src0_sel:WORD_1 src1_sel:DWORD
	v_lshrrev_b32_e32 v26, 8, v9
	s_mov_b32 s23, 0x7050604
	v_cndmask_b32_e64 v23, v25, v27, s[8:9]
	v_cndmask_b32_e64 v25, v27, v25, s[8:9]
	v_perm_b32 v27, v9, v9, s23
	v_cmp_gt_u16_sdwa s[8:9], v21, v26 src0_sel:DWORD src1_sel:BYTE_0
	v_cndmask_b32_e64 v9, v9, v27, s[8:9]
	s_mov_b32 s29, 0x3020107
	v_cndmask_b32_e64 v21, v13, v28, s[8:9]
	v_cndmask_b32_e64 v26, v12, v10, s[8:9]
	;; [unrolled: 1-line block ×4, first 2 shown]
	v_perm_b32 v12, v9, v15, s29
	v_and_b32_sdwa v27, v9, s21 dst_sel:DWORD dst_unused:UNUSED_PAD src0_sel:WORD_1 src1_sel:DWORD
	v_lshlrev_b16_e32 v28, 8, v15
	v_cmp_gt_u16_sdwa s[8:9], v15, v9 src0_sel:BYTE_0 src1_sel:BYTE_3
	v_or_b32_sdwa v27, v27, v28 dst_sel:WORD_1 dst_unused:UNUSED_PAD src0_sel:DWORD src1_sel:DWORD
	v_cndmask_b32_e64 v12, v15, v12, s[8:9]
	v_and_or_b32 v27, v9, s22, v27
	v_cndmask_b32_e64 v29, v14, v16, s[8:9]
	v_cndmask_b32_e64 v14, v16, v14, s[8:9]
	v_and_b32_sdwa v15, v12, s21 dst_sel:DWORD dst_unused:UNUSED_PAD src0_sel:WORD_1 src1_sel:DWORD
	v_lshrrev_b32_e32 v16, 8, v12
	v_cndmask_b32_e64 v28, v22, v17, s[8:9]
	v_cndmask_b32_e64 v17, v17, v22, s[8:9]
	;; [unrolled: 1-line block ×3, first 2 shown]
	v_perm_b32 v22, v12, v12, s23
	v_cmp_gt_u16_sdwa s[8:9], v15, v16 src0_sel:DWORD src1_sel:BYTE_0
	v_cndmask_b32_e64 v16, v18, v20, s[8:9]
	v_cndmask_b32_e64 v18, v20, v18, s[8:9]
	;; [unrolled: 1-line block ×3, first 2 shown]
	v_perm_b32 v20, 0, v9, s26
	v_lshrrev_b32_e32 v22, 8, v9
	v_cndmask_b32_e64 v15, v19, v23, s[8:9]
	v_cndmask_b32_e64 v19, v23, v19, s[8:9]
	v_and_or_b32 v20, v9, s27, v20
	v_cmp_gt_u16_sdwa s[8:9], v22, v9 src0_sel:BYTE_0 src1_sel:BYTE_0
	v_cndmask_b32_e64 v9, v9, v20, s[8:9]
	v_cndmask_b32_e64 v22, v10, v4, s[8:9]
	;; [unrolled: 1-line block ×3, first 2 shown]
	v_lshrrev_b32_e32 v10, 16, v9
	v_cndmask_b32_e64 v23, v13, v5, s[8:9]
	v_cndmask_b32_e64 v5, v5, v13, s[8:9]
	v_perm_b32 v13, 0, v10, s26
	v_lshlrev_b32_e32 v13, 16, v13
	v_and_or_b32 v13, v9, s22, v13
	v_cmp_gt_u16_sdwa s[8:9], v9, v10 src0_sel:BYTE_3 src1_sel:BYTE_0
	v_lshrrev_b32_e32 v27, 8, v12
	v_cndmask_b32_e64 v10, v29, v26, s[8:9]
	v_cndmask_b32_e64 v20, v28, v21, s[8:9]
	v_cndmask_b32_e64 v26, v26, v29, s[8:9]
	v_cndmask_b32_e64 v21, v21, v28, s[8:9]
	v_cndmask_b32_e64 v9, v9, v13, s[8:9]
	v_perm_b32 v13, v12, v12, s40
	v_cmp_gt_u16_sdwa s[8:9], v27, v12 src0_sel:BYTE_0 src1_sel:BYTE_0
	v_cndmask_b32_e64 v12, v12, v13, s[8:9]
	v_and_b32_sdwa v13, v12, s21 dst_sel:DWORD dst_unused:UNUSED_PAD src0_sel:WORD_1 src1_sel:DWORD
	v_cndmask_b32_e64 v27, v14, v16, s[8:9]
	v_cndmask_b32_e64 v28, v17, v15, s[8:9]
	;; [unrolled: 1-line block ×4, first 2 shown]
	v_perm_b32 v16, v12, v12, s28
	v_cmp_gt_u16_sdwa s[8:9], v12, v13 src0_sel:BYTE_3 src1_sel:DWORD
	v_cndmask_b32_e64 v13, v18, v24, s[8:9]
	v_cndmask_b32_e64 v18, v24, v18, s[8:9]
	;; [unrolled: 1-line block ×3, first 2 shown]
	v_and_b32_sdwa v16, v9, s21 dst_sel:DWORD dst_unused:UNUSED_PAD src0_sel:WORD_1 src1_sel:DWORD
	v_lshrrev_b32_e32 v24, 8, v9
	v_cndmask_b32_e64 v17, v19, v25, s[8:9]
	v_cndmask_b32_e64 v19, v25, v19, s[8:9]
	v_perm_b32 v25, v9, v9, s23
	v_cmp_gt_u16_sdwa s[8:9], v16, v24 src0_sel:DWORD src1_sel:BYTE_0
	v_cndmask_b32_e64 v9, v9, v25, s[8:9]
	v_cndmask_b32_e64 v24, v26, v22, s[8:9]
	v_cndmask_b32_e64 v22, v22, v26, s[8:9]
	v_and_b32_sdwa v25, v9, s21 dst_sel:DWORD dst_unused:UNUSED_PAD src0_sel:WORD_1 src1_sel:DWORD
	v_lshlrev_b16_e32 v26, 8, v12
	v_cndmask_b32_e64 v16, v21, v23, s[8:9]
	v_cndmask_b32_e64 v21, v23, v21, s[8:9]
	v_perm_b32 v23, v9, v12, s29
	v_or_b32_sdwa v25, v25, v26 dst_sel:WORD_1 dst_unused:UNUSED_PAD src0_sel:DWORD src1_sel:DWORD
	v_cmp_gt_u16_sdwa s[8:9], v12, v9 src0_sel:BYTE_0 src1_sel:BYTE_3
	v_and_or_b32 v25, v9, s22, v25
	v_cndmask_b32_e64 v12, v12, v23, s[8:9]
	v_cndmask_b32_e64 v9, v9, v25, s[8:9]
	v_and_b32_sdwa v23, v12, s21 dst_sel:DWORD dst_unused:UNUSED_PAD src0_sel:WORD_1 src1_sel:DWORD
	v_lshrrev_b32_e32 v25, 8, v12
	v_cndmask_b32_e64 v26, v20, v28, s[8:9]
	v_cndmask_b32_e64 v29, v10, v27, s[8:9]
	;; [unrolled: 1-line block ×4, first 2 shown]
	v_cmp_gt_u16_sdwa s[8:9], v23, v25 src0_sel:DWORD src1_sel:BYTE_0
	v_perm_b32 v27, v12, v12, s23
	v_cndmask_b32_e64 v23, v15, v17, s[8:9]
	v_cndmask_b32_e64 v25, v14, v13, s[8:9]
	;; [unrolled: 1-line block ×4, first 2 shown]
	v_perm_b32 v14, 0, v9, s26
	v_lshrrev_b32_e32 v17, 8, v9
	v_cndmask_b32_e64 v12, v12, v27, s[8:9]
	v_and_or_b32 v14, v9, s27, v14
	v_cmp_gt_u16_sdwa s[8:9], v17, v9 src0_sel:BYTE_0 src1_sel:BYTE_0
	v_cndmask_b32_e64 v9, v9, v14, s[8:9]
	v_lshrrev_b32_e32 v14, 16, v9
	v_cndmask_b32_e64 v27, v21, v5, s[8:9]
	v_cndmask_b32_e64 v5, v5, v21, s[8:9]
	v_perm_b32 v21, 0, v14, s26
	v_cndmask_b32_e64 v17, v22, v4, s[8:9]
	v_cndmask_b32_e64 v4, v4, v22, s[8:9]
	v_lshlrev_b32_e32 v21, 16, v21
	v_cmp_gt_u16_sdwa s[8:9], v9, v14 src0_sel:BYTE_3 src1_sel:BYTE_0
	v_and_or_b32 v21, v9, s22, v21
	v_cndmask_b32_e64 v22, v26, v16, s[8:9]
	v_cndmask_b32_e64 v16, v16, v26, s[8:9]
	v_lshrrev_b32_e32 v26, 8, v12
	v_cndmask_b32_e64 v14, v29, v24, s[8:9]
	v_cndmask_b32_e64 v24, v24, v29, s[8:9]
	;; [unrolled: 1-line block ×3, first 2 shown]
	v_perm_b32 v21, v12, v12, s40
	v_cmp_gt_u16_sdwa s[8:9], v26, v12 src0_sel:BYTE_0 src1_sel:BYTE_0
	v_cndmask_b32_e64 v12, v12, v21, s[8:9]
	v_and_b32_sdwa v21, v12, s21 dst_sel:DWORD dst_unused:UNUSED_PAD src0_sel:WORD_1 src1_sel:DWORD
	v_cndmask_b32_e64 v26, v10, v25, s[8:9]
	v_cndmask_b32_e64 v28, v20, v23, s[8:9]
	v_cndmask_b32_e64 v10, v25, v10, s[8:9]
	v_cndmask_b32_e64 v20, v23, v20, s[8:9]
	v_cmp_gt_u16_sdwa s[8:9], v12, v21 src0_sel:BYTE_3 src1_sel:DWORD
	v_perm_b32 v23, v12, v12, s28
	v_cndmask_b32_e64 v21, v13, v18, s[8:9]
	v_cndmask_b32_e64 v25, v15, v19, s[8:9]
	;; [unrolled: 1-line block ×4, first 2 shown]
	v_and_b32_sdwa v18, v9, s21 dst_sel:DWORD dst_unused:UNUSED_PAD src0_sel:WORD_1 src1_sel:DWORD
	v_lshrrev_b32_e32 v19, 8, v9
	v_cndmask_b32_e64 v12, v12, v23, s[8:9]
	v_perm_b32 v23, v9, v9, s23
	v_cmp_gt_u16_sdwa s[8:9], v18, v19 src0_sel:DWORD src1_sel:BYTE_0
	v_cndmask_b32_e64 v9, v9, v23, s[8:9]
	v_cndmask_b32_e64 v18, v16, v27, s[8:9]
	v_cndmask_b32_e64 v19, v24, v17, s[8:9]
	v_cndmask_b32_e64 v16, v27, v16, s[8:9]
	v_cndmask_b32_e64 v17, v17, v24, s[8:9]
	v_and_b32_sdwa v24, v9, s21 dst_sel:DWORD dst_unused:UNUSED_PAD src0_sel:WORD_1 src1_sel:DWORD
	v_lshlrev_b16_e32 v27, 8, v12
	v_perm_b32 v23, v9, v12, s29
	v_or_b32_sdwa v24, v24, v27 dst_sel:WORD_1 dst_unused:UNUSED_PAD src0_sel:DWORD src1_sel:DWORD
	v_cmp_gt_u16_sdwa s[8:9], v12, v9 src0_sel:BYTE_0 src1_sel:BYTE_3
	v_and_or_b32 v24, v9, s22, v24
	v_cndmask_b32_e64 v12, v12, v23, s[8:9]
	v_cndmask_b32_e64 v9, v9, v24, s[8:9]
	v_and_b32_sdwa v23, v12, s21 dst_sel:DWORD dst_unused:UNUSED_PAD src0_sel:WORD_1 src1_sel:DWORD
	v_lshrrev_b32_e32 v24, 8, v12
	v_cndmask_b32_e64 v27, v22, v28, s[8:9]
	v_cndmask_b32_e64 v29, v14, v26, s[8:9]
	;; [unrolled: 1-line block ×4, first 2 shown]
	v_perm_b32 v26, v12, v12, s23
	v_cmp_gt_u16_sdwa s[8:9], v23, v24 src0_sel:DWORD src1_sel:BYTE_0
	v_cndmask_b32_e64 v23, v20, v25, s[8:9]
	v_cndmask_b32_e64 v24, v10, v21, s[8:9]
	;; [unrolled: 1-line block ×5, first 2 shown]
	v_perm_b32 v12, 0, v9, s26
	v_lshrrev_b32_e32 v20, 8, v9
	v_and_or_b32 v12, v9, s27, v12
	v_cmp_gt_u16_sdwa s[8:9], v20, v9 src0_sel:BYTE_0 src1_sel:BYTE_0
	v_cndmask_b32_e64 v9, v9, v12, s[8:9]
	v_lshrrev_b32_e32 v12, 16, v9
	v_cndmask_b32_e64 v34, v16, v5, s[8:9]
	v_cndmask_b32_e64 v5, v5, v16, s[8:9]
	v_perm_b32 v16, 0, v12, s26
	v_lshlrev_b32_e32 v16, 16, v16
	v_cndmask_b32_e64 v31, v17, v4, s[8:9]
	v_cndmask_b32_e64 v4, v4, v17, s[8:9]
	v_and_or_b32 v16, v9, s22, v16
	v_cmp_gt_u16_sdwa s[8:9], v9, v12 src0_sel:BYTE_3 src1_sel:BYTE_0
	v_lshrrev_b32_e32 v12, 8, v10
	v_cndmask_b32_e64 v35, v29, v19, s[8:9]
	v_cndmask_b32_e64 v36, v27, v18, s[8:9]
	;; [unrolled: 1-line block ×5, first 2 shown]
	v_perm_b32 v9, v10, v10, s40
	v_cmp_gt_u16_sdwa s[8:9], v12, v10 src0_sel:BYTE_0 src1_sel:BYTE_0
	v_cndmask_b32_e64 v12, v10, v9, s[8:9]
	v_and_b32_sdwa v9, v12, s21 dst_sel:DWORD dst_unused:UNUSED_PAD src0_sel:WORD_1 src1_sel:DWORD
	v_cndmask_b32_e64 v29, v14, v24, s[8:9]
	v_cndmask_b32_e64 v19, v22, v23, s[8:9]
	;; [unrolled: 1-line block ×4, first 2 shown]
	v_perm_b32 v14, v12, v12, s28
	v_cmp_gt_u16_sdwa s[8:9], v12, v9 src0_sel:BYTE_3 src1_sel:DWORD
	v_cndmask_b32_e64 v9, v28, v13, s[8:9]
	v_cndmask_b32_e64 v26, v13, v28, s[8:9]
	;; [unrolled: 1-line block ×3, first 2 shown]
	v_and_b32_sdwa v12, v16, s21 dst_sel:DWORD dst_unused:UNUSED_PAD src0_sel:WORD_1 src1_sel:DWORD
	v_lshrrev_b32_e32 v13, 8, v16
	v_cndmask_b32_e64 v10, v25, v15, s[8:9]
	v_cndmask_b32_e64 v27, v15, v25, s[8:9]
	v_perm_b32 v23, v16, v16, s23
	v_cmp_gt_u16_sdwa s[8:9], v12, v13 src0_sel:DWORD src1_sel:BYTE_0
	v_cndmask_b32_e64 v24, v16, v23, s[8:9]
	v_cndmask_b32_e64 v12, v17, v31, s[8:9]
	;; [unrolled: 1-line block ×3, first 2 shown]
	v_and_b32_sdwa v16, v24, s21 dst_sel:DWORD dst_unused:UNUSED_PAD src0_sel:WORD_1 src1_sel:DWORD
	v_lshlrev_b16_e32 v17, 8, v22
	v_cndmask_b32_e64 v13, v18, v34, s[8:9]
	v_cndmask_b32_e64 v15, v34, v18, s[8:9]
	v_perm_b32 v23, v24, v22, s29
	v_or_b32_sdwa v16, v16, v17 dst_sel:WORD_1 dst_unused:UNUSED_PAD src0_sel:DWORD src1_sel:DWORD
	v_cmp_gt_u16_sdwa s[8:9], v22, v24 src0_sel:BYTE_0 src1_sel:BYTE_3
	v_and_or_b32 v25, v24, s22, v16
	v_cndmask_b32_e64 v23, v22, v23, s[8:9]
	v_cndmask_b32_e64 v22, v24, v25, s[8:9]
	v_and_b32_sdwa v24, v23, s21 dst_sel:DWORD dst_unused:UNUSED_PAD src0_sel:WORD_1 src1_sel:DWORD
	v_lshrrev_b32_e32 v25, 8, v23
	v_cmp_gt_u16_sdwa s[26:27], v24, v25 src0_sel:DWORD src1_sel:BYTE_0
	v_mov_b32_e32 v25, v10
	v_cndmask_b32_e64 v17, v36, v19, s[8:9]
	v_cndmask_b32_e64 v16, v35, v29, s[8:9]
	;; [unrolled: 1-line block ×4, first 2 shown]
	v_mov_b32_e32 v24, v9
	s_and_saveexec_b64 s[8:9], s[26:27]
; %bb.74:
	v_mov_b32_e32 v25, v21
	v_mov_b32_e32 v24, v20
	;; [unrolled: 1-line block ×3, first 2 shown]
	v_perm_b32 v23, v23, v23, s23
	v_mov_b32_e32 v20, v9
; %bb.75:
	s_or_b64 exec, exec, s[8:9]
.LBB97_76:
	s_or_b64 exec, exec, s[12:13]
	v_and_b32_e32 v28, 0xfffffe00, v11
	v_sub_u32_e64 v29, s20, v28 clamp
	v_or_b32_e32 v38, 8, v33
	v_min_u32_e32 v49, v29, v38
	v_add_u32_e32 v38, 8, v49
	v_min_u32_e32 v50, v29, v38
	v_and_b32_e32 v38, 8, v33
	v_and_b32_e32 v51, 0x3f0, v33
	v_min_u32_e32 v38, v29, v38
	v_sub_u32_e32 v48, v50, v49
	v_sub_u32_e32 v52, v49, v51
	v_lshlrev_b32_e32 v11, 3, v28
	v_lshrrev_b64 v[9:10], 24, v[22:23]
	v_sub_u32_e64 v48, v38, v48 clamp
	v_min_u32_e32 v52, v38, v52
	v_add_u32_e32 v31, v28, v33
	v_lshl_add_u32 v34, v33, 3, v11
	v_lshrrev_b32_e32 v35, 8, v22
	v_lshrrev_b32_e32 v36, 16, v22
	;; [unrolled: 1-line block ×5, first 2 shown]
	v_cmp_lt_u32_e64 s[8:9], v48, v52
	ds_write_b8 v31, v22
	ds_write_b64 v34, v[4:5] offset:2048
	ds_write_b8 v31, v35 offset:1
	ds_write_b64 v34, v[14:15] offset:2056
	ds_write_b8 v31, v36 offset:2
	;; [unrolled: 2-line block ×7, first 2 shown]
	ds_write_b64 v34, v[26:27] offset:2104
	; wave barrier
	s_and_saveexec_b64 s[12:13], s[8:9]
	s_cbranch_execz .LBB97_80
; %bb.77:
	v_add_u32_e32 v53, v28, v51
	v_add3_u32 v54, v28, v49, v38
	s_mov_b64 s[20:21], 0
.LBB97_78:                              ; =>This Inner Loop Header: Depth=1
	v_add_u32_e32 v55, v52, v48
	v_lshrrev_b32_e32 v55, 1, v55
	v_add_u32_e32 v64, v53, v55
	v_xad_u32 v65, v55, -1, v54
	ds_read_u8 v64, v64
	ds_read_u8 v65, v65
	v_add_u32_e32 v66, 1, v55
	s_waitcnt lgkmcnt(0)
	v_cmp_gt_u16_e64 s[8:9], v65, v64
	v_cndmask_b32_e64 v52, v52, v55, s[8:9]
	v_cndmask_b32_e64 v48, v66, v48, s[8:9]
	v_cmp_ge_u32_e64 s[8:9], v48, v52
	s_or_b64 s[20:21], s[8:9], s[20:21]
	s_andn2_b64 exec, exec, s[20:21]
	s_cbranch_execnz .LBB97_78
; %bb.79:
	s_or_b64 exec, exec, s[20:21]
.LBB97_80:
	s_or_b64 exec, exec, s[12:13]
	v_add_u32_e32 v38, v49, v38
	v_add_u32_e32 v51, v48, v51
	v_sub_u32_e32 v52, v38, v48
	v_cmp_le_u32_e64 s[8:9], v51, v49
	v_cmp_le_u32_e64 s[12:13], v52, v50
	s_or_b64 s[8:9], s[8:9], s[12:13]
	v_mov_b32_e32 v38, v22
	v_mov_b32_e32 v48, v23
	s_and_saveexec_b64 s[44:45], s[8:9]
	s_cbranch_execz .LBB97_86
; %bb.81:
	v_cmp_lt_u32_e64 s[8:9], v51, v49
                                        ; implicit-def: $vgpr9
	s_and_saveexec_b64 s[12:13], s[8:9]
; %bb.82:
	v_add_u32_e32 v4, v28, v51
	ds_read_u8 v9, v4
; %bb.83:
	s_or_b64 exec, exec, s[12:13]
	v_cmp_ge_u32_e64 s[20:21], v52, v50
	v_cmp_lt_u32_e64 s[12:13], v52, v50
                                        ; implicit-def: $vgpr10
	s_and_saveexec_b64 s[22:23], s[12:13]
; %bb.84:
	v_add_u32_e32 v4, v28, v52
	ds_read_u8 v10, v4
; %bb.85:
	s_or_b64 exec, exec, s[22:23]
	s_waitcnt lgkmcnt(0)
	v_cmp_le_u16_sdwa s[12:13], v10, v9 src0_sel:BYTE_0 src1_sel:BYTE_0
	s_and_b64 s[8:9], s[8:9], s[12:13]
	s_or_b64 s[8:9], s[20:21], s[8:9]
	v_cndmask_b32_e64 v4, v52, v51, s[8:9]
	v_cndmask_b32_e64 v5, v50, v49, s[8:9]
	v_add_u32_e32 v12, 1, v4
	v_add_u32_e32 v5, -1, v5
	v_min_u32_e32 v5, v12, v5
	v_add_u32_e32 v5, v28, v5
	ds_read_u8 v5, v5
	v_cndmask_b32_e64 v13, v12, v52, s[8:9]
	v_cmp_ge_u32_e64 s[12:13], v13, v50
	v_lshl_add_u32 v4, v4, 3, v11
	v_cndmask_b32_e64 v38, v10, v9, s[8:9]
	s_waitcnt lgkmcnt(0)
	v_cndmask_b32_e64 v22, v5, v10, s[8:9]
	v_cndmask_b32_e64 v23, v9, v5, s[8:9]
	;; [unrolled: 1-line block ×3, first 2 shown]
	v_cmp_lt_u32_e64 s[20:21], v5, v49
	v_cmp_le_u16_sdwa s[22:23], v22, v23 src0_sel:BYTE_0 src1_sel:BYTE_0
	s_and_b64 s[20:21], s[20:21], s[22:23]
	s_or_b64 s[20:21], s[12:13], s[20:21]
	v_cndmask_b32_e64 v12, v13, v5, s[20:21]
	v_cndmask_b32_e64 v14, v50, v49, s[20:21]
	v_add_u32_e32 v15, 1, v12
	v_add_u32_e32 v14, -1, v14
	v_min_u32_e32 v14, v15, v14
	v_add_u32_e32 v14, v28, v14
	ds_read_u8 v14, v14
	v_cndmask_b32_e64 v13, v15, v13, s[20:21]
	v_cmp_ge_u32_e64 s[12:13], v13, v50
	v_lshl_add_u32 v12, v12, 3, v11
	s_waitcnt lgkmcnt(0)
	v_cndmask_b32_e64 v24, v14, v22, s[20:21]
	v_cndmask_b32_e64 v25, v23, v14, s[20:21]
	;; [unrolled: 1-line block ×3, first 2 shown]
	v_cmp_lt_u32_e64 s[22:23], v14, v49
	v_cmp_le_u16_sdwa s[26:27], v24, v25 src0_sel:BYTE_0 src1_sel:BYTE_0
	s_and_b64 s[22:23], s[22:23], s[26:27]
	s_or_b64 s[12:13], s[12:13], s[22:23]
	v_cndmask_b32_e64 v16, v13, v14, s[12:13]
	v_cndmask_b32_e64 v5, v50, v49, s[12:13]
	v_add_u32_e32 v15, 1, v16
	v_add_u32_e32 v5, -1, v5
	v_min_u32_e32 v5, v15, v5
	v_add_u32_e32 v5, v28, v5
	ds_read_u8 v17, v5
	v_cndmask_b32_e64 v18, v14, v15, s[12:13]
	v_cmp_lt_u32_e64 s[26:27], v18, v49
	ds_read_b64 v[4:5], v4 offset:2048
	s_waitcnt lgkmcnt(1)
	v_cndmask_b32_e64 v26, v17, v24, s[12:13]
	v_cndmask_b32_e64 v27, v25, v17, s[12:13]
	;; [unrolled: 1-line block ×3, first 2 shown]
	v_cmp_le_u16_sdwa s[28:29], v26, v27 src0_sel:BYTE_0 src1_sel:BYTE_0
	v_cmp_ge_u32_e64 s[22:23], v17, v50
	s_and_b64 s[26:27], s[26:27], s[28:29]
	s_or_b64 s[22:23], s[22:23], s[26:27]
	v_cndmask_b32_e64 v19, v17, v18, s[22:23]
	v_cndmask_b32_e64 v13, v50, v49, s[22:23]
	v_add_u32_e32 v20, 1, v19
	v_add_u32_e32 v13, -1, v13
	v_min_u32_e32 v13, v20, v13
	v_add_u32_e32 v13, v28, v13
	ds_read_u8 v21, v13
	ds_read_b64 v[14:15], v12 offset:2048
	v_lshl_add_u32 v12, v16, 3, v11
	ds_read_b64 v[12:13], v12 offset:2048
	s_waitcnt lgkmcnt(2)
	v_cndmask_b32_e64 v37, v21, v26, s[22:23]
	v_cndmask_b32_e64 v39, v27, v21, s[22:23]
	;; [unrolled: 1-line block ×4, first 2 shown]
	v_cmp_lt_u32_e64 s[28:29], v20, v49
	v_cmp_le_u16_sdwa s[40:41], v37, v39 src0_sel:BYTE_0 src1_sel:BYTE_0
	v_cmp_ge_u32_e64 s[26:27], v21, v50
	s_and_b64 s[28:29], s[28:29], s[40:41]
	s_or_b64 s[26:27], s[26:27], s[28:29]
	v_cndmask_b32_e64 v18, v21, v20, s[26:27]
	v_cndmask_b32_e64 v16, v50, v49, s[26:27]
	v_add_u32_e32 v35, 1, v18
	v_add_u32_e32 v16, -1, v16
	v_min_u32_e32 v16, v35, v16
	v_add_u32_e32 v16, v28, v16
	ds_read_u8 v36, v16
	v_cndmask_b32_e64 v53, v20, v35, s[26:27]
	v_cndmask_b32_e64 v48, v35, v21, s[26:27]
	v_cmp_lt_u32_e64 s[40:41], v53, v49
	v_cmp_ge_u32_e64 s[28:29], v48, v50
	s_waitcnt lgkmcnt(0)
	v_cndmask_b32_e64 v51, v36, v37, s[26:27]
	v_cndmask_b32_e64 v52, v39, v36, s[26:27]
	v_cmp_le_u16_sdwa s[46:47], v51, v52 src0_sel:BYTE_0 src1_sel:BYTE_0
	s_and_b64 s[40:41], s[40:41], s[46:47]
	s_or_b64 s[28:29], s[28:29], s[40:41]
	v_cndmask_b32_e64 v20, v48, v53, s[28:29]
	v_cndmask_b32_e64 v21, v50, v49, s[28:29]
	v_lshl_add_u32 v35, v20, 3, v11
	v_add_u32_e32 v54, 1, v20
	v_add_u32_e32 v20, -1, v21
	v_min_u32_e32 v20, v54, v20
	v_lshl_add_u32 v16, v19, 3, v11
	v_lshl_add_u32 v18, v18, 3, v11
	v_add_u32_e32 v20, v28, v20
	ds_read_b64 v[16:17], v16 offset:2048
	ds_read_b64 v[18:19], v18 offset:2048
	ds_read_u8 v55, v20
	ds_read_b64 v[20:21], v35 offset:2048
	v_cndmask_b32_e64 v35, v22, v23, s[20:21]
	v_cndmask_b32_e64 v53, v53, v54, s[28:29]
	;; [unrolled: 1-line block ×3, first 2 shown]
	s_waitcnt lgkmcnt(1)
	v_cndmask_b32_e64 v22, v55, v51, s[28:29]
	v_cndmask_b32_e64 v23, v52, v55, s[28:29]
	;; [unrolled: 1-line block ×3, first 2 shown]
	v_cmp_lt_u32_e64 s[12:13], v53, v49
	v_cmp_le_u16_sdwa s[20:21], v22, v23 src0_sel:BYTE_0 src1_sel:BYTE_0
	v_cmp_ge_u32_e64 s[8:9], v55, v50
	s_and_b64 s[12:13], s[12:13], s[20:21]
	s_or_b64 s[8:9], s[8:9], s[12:13]
	v_cndmask_b32_e64 v9, v55, v53, s[8:9]
	v_cndmask_b32_e64 v10, v50, v49, s[8:9]
	v_lshl_add_u32 v24, v9, 3, v11
	v_add_u32_e32 v54, 1, v9
	v_add_u32_e32 v9, -1, v10
	v_min_u32_e32 v9, v54, v9
	v_add_u32_e32 v9, v28, v9
	ds_read_b64 v[24:25], v24 offset:2048
	ds_read_u8 v64, v9
	v_cndmask_b32_e64 v9, v26, v27, s[22:23]
	v_cndmask_b32_e64 v48, v37, v39, s[26:27]
	;; [unrolled: 1-line block ×4, first 2 shown]
	s_waitcnt lgkmcnt(0)
	v_cndmask_b32_e64 v22, v64, v22, s[8:9]
	v_cndmask_b32_e64 v23, v23, v64, s[8:9]
	;; [unrolled: 1-line block ×3, first 2 shown]
	v_cmp_lt_u32_e64 s[12:13], v27, v49
	v_cmp_le_u16_sdwa s[20:21], v22, v23 src0_sel:BYTE_0 src1_sel:BYTE_0
	v_cmp_ge_u32_e64 s[8:9], v26, v50
	s_and_b64 s[12:13], s[12:13], s[20:21]
	s_or_b64 s[8:9], s[8:9], s[12:13]
	v_cndmask_b32_e64 v26, v26, v27, s[8:9]
	v_cndmask_b32_e64 v10, v51, v52, s[28:29]
	;; [unrolled: 1-line block ×3, first 2 shown]
	v_lshl_add_u32 v26, v26, 3, v11
	v_lshlrev_b16_e32 v22, 8, v39
	v_lshlrev_b16_e32 v23, 8, v10
	ds_read_b64 v[26:27], v26 offset:2048
	v_or_b32_sdwa v22, v37, v22 dst_sel:WORD_1 dst_unused:UNUSED_PAD src0_sel:BYTE_0 src1_sel:DWORD
	v_or_b32_sdwa v23, v48, v23 dst_sel:DWORD dst_unused:UNUSED_PAD src0_sel:BYTE_0 src1_sel:DWORD
	v_or_b32_sdwa v23, v23, v22 dst_sel:DWORD dst_unused:UNUSED_PAD src0_sel:WORD_0 src1_sel:DWORD
	v_lshlrev_b16_e32 v22, 8, v9
	v_lshlrev_b16_e32 v49, 8, v35
	v_or_b32_sdwa v22, v36, v22 dst_sel:WORD_1 dst_unused:UNUSED_PAD src0_sel:BYTE_0 src1_sel:DWORD
	v_or_b32_sdwa v49, v38, v49 dst_sel:DWORD dst_unused:UNUSED_PAD src0_sel:BYTE_0 src1_sel:DWORD
	v_or_b32_sdwa v22, v49, v22 dst_sel:DWORD dst_unused:UNUSED_PAD src0_sel:WORD_0 src1_sel:DWORD
.LBB97_86:
	s_or_b64 exec, exec, s[44:45]
	v_and_b32_e32 v51, 0x3e0, v33
	v_or_b32_e32 v49, 16, v51
	v_min_u32_e32 v49, v29, v49
	v_add_u32_e32 v50, 16, v49
	v_min_u32_e32 v50, v29, v50
	v_and_b32_e32 v52, 24, v33
	v_min_u32_e32 v52, v29, v52
	v_sub_u32_e32 v54, v49, v51
	v_sub_u32_e32 v53, v50, v49
	v_sub_u32_e64 v53, v52, v53 clamp
	v_min_u32_e32 v54, v52, v54
	v_cmp_lt_u32_e64 s[8:9], v53, v54
	; wave barrier
	ds_write_b8 v31, v38
	ds_write_b64 v34, v[4:5] offset:2048
	ds_write_b8 v31, v35 offset:1
	ds_write_b64 v34, v[14:15] offset:2056
	ds_write_b8 v31, v36 offset:2
	;; [unrolled: 2-line block ×7, first 2 shown]
	s_waitcnt lgkmcnt(14)
	ds_write_b64 v34, v[26:27] offset:2104
	; wave barrier
	s_and_saveexec_b64 s[12:13], s[8:9]
	s_cbranch_execz .LBB97_90
; %bb.87:
	v_add_u32_e32 v55, v28, v51
	v_add3_u32 v64, v28, v49, v52
	s_mov_b64 s[20:21], 0
.LBB97_88:                              ; =>This Inner Loop Header: Depth=1
	v_add_u32_e32 v65, v54, v53
	v_lshrrev_b32_e32 v65, 1, v65
	v_add_u32_e32 v66, v55, v65
	v_xad_u32 v67, v65, -1, v64
	ds_read_u8 v66, v66
	ds_read_u8 v67, v67
	v_add_u32_e32 v68, 1, v65
	s_waitcnt lgkmcnt(0)
	v_cmp_gt_u16_e64 s[8:9], v67, v66
	v_cndmask_b32_e64 v54, v54, v65, s[8:9]
	v_cndmask_b32_e64 v53, v68, v53, s[8:9]
	v_cmp_ge_u32_e64 s[8:9], v53, v54
	s_or_b64 s[20:21], s[8:9], s[20:21]
	s_andn2_b64 exec, exec, s[20:21]
	s_cbranch_execnz .LBB97_88
; %bb.89:
	s_or_b64 exec, exec, s[20:21]
.LBB97_90:
	s_or_b64 exec, exec, s[12:13]
	v_add_u32_e32 v52, v49, v52
	v_add_u32_e32 v51, v53, v51
	v_sub_u32_e32 v52, v52, v53
	v_cmp_le_u32_e64 s[8:9], v51, v49
	v_cmp_le_u32_e64 s[12:13], v52, v50
	s_or_b64 s[8:9], s[8:9], s[12:13]
	s_and_saveexec_b64 s[44:45], s[8:9]
	s_cbranch_execz .LBB97_96
; %bb.91:
	v_cmp_lt_u32_e64 s[8:9], v51, v49
                                        ; implicit-def: $vgpr9
	s_and_saveexec_b64 s[12:13], s[8:9]
; %bb.92:
	v_add_u32_e32 v4, v28, v51
	ds_read_u8 v9, v4
; %bb.93:
	s_or_b64 exec, exec, s[12:13]
	v_cmp_ge_u32_e64 s[20:21], v52, v50
	v_cmp_lt_u32_e64 s[12:13], v52, v50
                                        ; implicit-def: $vgpr10
	s_and_saveexec_b64 s[22:23], s[12:13]
; %bb.94:
	v_add_u32_e32 v4, v28, v52
	ds_read_u8 v10, v4
; %bb.95:
	s_or_b64 exec, exec, s[22:23]
	s_waitcnt lgkmcnt(0)
	v_cmp_le_u16_sdwa s[12:13], v10, v9 src0_sel:BYTE_0 src1_sel:BYTE_0
	s_and_b64 s[8:9], s[8:9], s[12:13]
	s_or_b64 s[8:9], s[20:21], s[8:9]
	v_cndmask_b32_e64 v4, v52, v51, s[8:9]
	v_cndmask_b32_e64 v5, v50, v49, s[8:9]
	v_add_u32_e32 v12, 1, v4
	v_add_u32_e32 v5, -1, v5
	v_min_u32_e32 v5, v12, v5
	v_add_u32_e32 v5, v28, v5
	ds_read_u8 v5, v5
	v_cndmask_b32_e64 v13, v12, v52, s[8:9]
	v_cmp_ge_u32_e64 s[12:13], v13, v50
	v_lshl_add_u32 v4, v4, 3, v11
	v_cndmask_b32_e64 v38, v10, v9, s[8:9]
	s_waitcnt lgkmcnt(0)
	v_cndmask_b32_e64 v22, v5, v10, s[8:9]
	v_cndmask_b32_e64 v23, v9, v5, s[8:9]
	;; [unrolled: 1-line block ×3, first 2 shown]
	v_cmp_lt_u32_e64 s[20:21], v5, v49
	v_cmp_le_u16_sdwa s[22:23], v22, v23 src0_sel:BYTE_0 src1_sel:BYTE_0
	s_and_b64 s[20:21], s[20:21], s[22:23]
	s_or_b64 s[20:21], s[12:13], s[20:21]
	v_cndmask_b32_e64 v12, v13, v5, s[20:21]
	v_cndmask_b32_e64 v14, v50, v49, s[20:21]
	v_add_u32_e32 v15, 1, v12
	v_add_u32_e32 v14, -1, v14
	v_min_u32_e32 v14, v15, v14
	v_add_u32_e32 v14, v28, v14
	ds_read_u8 v14, v14
	v_cndmask_b32_e64 v13, v15, v13, s[20:21]
	v_cmp_ge_u32_e64 s[12:13], v13, v50
	v_lshl_add_u32 v12, v12, 3, v11
	s_waitcnt lgkmcnt(0)
	v_cndmask_b32_e64 v24, v14, v22, s[20:21]
	v_cndmask_b32_e64 v25, v23, v14, s[20:21]
	;; [unrolled: 1-line block ×3, first 2 shown]
	v_cmp_lt_u32_e64 s[22:23], v14, v49
	v_cmp_le_u16_sdwa s[26:27], v24, v25 src0_sel:BYTE_0 src1_sel:BYTE_0
	s_and_b64 s[22:23], s[22:23], s[26:27]
	s_or_b64 s[12:13], s[12:13], s[22:23]
	v_cndmask_b32_e64 v16, v13, v14, s[12:13]
	v_cndmask_b32_e64 v5, v50, v49, s[12:13]
	v_add_u32_e32 v15, 1, v16
	v_add_u32_e32 v5, -1, v5
	v_min_u32_e32 v5, v15, v5
	v_add_u32_e32 v5, v28, v5
	ds_read_u8 v17, v5
	v_cndmask_b32_e64 v18, v14, v15, s[12:13]
	v_cmp_lt_u32_e64 s[26:27], v18, v49
	ds_read_b64 v[4:5], v4 offset:2048
	s_waitcnt lgkmcnt(1)
	v_cndmask_b32_e64 v26, v17, v24, s[12:13]
	v_cndmask_b32_e64 v27, v25, v17, s[12:13]
	;; [unrolled: 1-line block ×3, first 2 shown]
	v_cmp_le_u16_sdwa s[28:29], v26, v27 src0_sel:BYTE_0 src1_sel:BYTE_0
	v_cmp_ge_u32_e64 s[22:23], v17, v50
	s_and_b64 s[26:27], s[26:27], s[28:29]
	s_or_b64 s[22:23], s[22:23], s[26:27]
	v_cndmask_b32_e64 v19, v17, v18, s[22:23]
	v_cndmask_b32_e64 v13, v50, v49, s[22:23]
	v_add_u32_e32 v20, 1, v19
	v_add_u32_e32 v13, -1, v13
	v_min_u32_e32 v13, v20, v13
	v_add_u32_e32 v13, v28, v13
	ds_read_u8 v21, v13
	ds_read_b64 v[14:15], v12 offset:2048
	v_lshl_add_u32 v12, v16, 3, v11
	ds_read_b64 v[12:13], v12 offset:2048
	s_waitcnt lgkmcnt(2)
	v_cndmask_b32_e64 v37, v21, v26, s[22:23]
	v_cndmask_b32_e64 v39, v27, v21, s[22:23]
	;; [unrolled: 1-line block ×4, first 2 shown]
	v_cmp_lt_u32_e64 s[28:29], v20, v49
	v_cmp_le_u16_sdwa s[40:41], v37, v39 src0_sel:BYTE_0 src1_sel:BYTE_0
	v_cmp_ge_u32_e64 s[26:27], v21, v50
	s_and_b64 s[28:29], s[28:29], s[40:41]
	s_or_b64 s[26:27], s[26:27], s[28:29]
	v_cndmask_b32_e64 v18, v21, v20, s[26:27]
	v_cndmask_b32_e64 v16, v50, v49, s[26:27]
	v_add_u32_e32 v35, 1, v18
	v_add_u32_e32 v16, -1, v16
	v_min_u32_e32 v16, v35, v16
	v_add_u32_e32 v16, v28, v16
	ds_read_u8 v36, v16
	v_cndmask_b32_e64 v53, v20, v35, s[26:27]
	v_cndmask_b32_e64 v48, v35, v21, s[26:27]
	v_cmp_lt_u32_e64 s[40:41], v53, v49
	v_cmp_ge_u32_e64 s[28:29], v48, v50
	s_waitcnt lgkmcnt(0)
	v_cndmask_b32_e64 v51, v36, v37, s[26:27]
	v_cndmask_b32_e64 v52, v39, v36, s[26:27]
	v_cmp_le_u16_sdwa s[46:47], v51, v52 src0_sel:BYTE_0 src1_sel:BYTE_0
	s_and_b64 s[40:41], s[40:41], s[46:47]
	s_or_b64 s[28:29], s[28:29], s[40:41]
	v_cndmask_b32_e64 v20, v48, v53, s[28:29]
	v_cndmask_b32_e64 v21, v50, v49, s[28:29]
	v_lshl_add_u32 v35, v20, 3, v11
	v_add_u32_e32 v54, 1, v20
	v_add_u32_e32 v20, -1, v21
	v_min_u32_e32 v20, v54, v20
	v_lshl_add_u32 v16, v19, 3, v11
	v_lshl_add_u32 v18, v18, 3, v11
	v_add_u32_e32 v20, v28, v20
	ds_read_b64 v[16:17], v16 offset:2048
	ds_read_b64 v[18:19], v18 offset:2048
	ds_read_u8 v55, v20
	ds_read_b64 v[20:21], v35 offset:2048
	v_cndmask_b32_e64 v35, v22, v23, s[20:21]
	v_cndmask_b32_e64 v53, v53, v54, s[28:29]
	v_cndmask_b32_e64 v36, v24, v25, s[12:13]
	s_waitcnt lgkmcnt(1)
	v_cndmask_b32_e64 v22, v55, v51, s[28:29]
	v_cndmask_b32_e64 v23, v52, v55, s[28:29]
	;; [unrolled: 1-line block ×3, first 2 shown]
	v_cmp_lt_u32_e64 s[12:13], v53, v49
	v_cmp_le_u16_sdwa s[20:21], v22, v23 src0_sel:BYTE_0 src1_sel:BYTE_0
	v_cmp_ge_u32_e64 s[8:9], v55, v50
	s_and_b64 s[12:13], s[12:13], s[20:21]
	s_or_b64 s[8:9], s[8:9], s[12:13]
	v_cndmask_b32_e64 v9, v55, v53, s[8:9]
	v_cndmask_b32_e64 v10, v50, v49, s[8:9]
	v_lshl_add_u32 v24, v9, 3, v11
	v_add_u32_e32 v54, 1, v9
	v_add_u32_e32 v9, -1, v10
	v_min_u32_e32 v9, v54, v9
	v_add_u32_e32 v9, v28, v9
	ds_read_b64 v[24:25], v24 offset:2048
	ds_read_u8 v64, v9
	v_cndmask_b32_e64 v9, v26, v27, s[22:23]
	v_cndmask_b32_e64 v48, v37, v39, s[26:27]
	;; [unrolled: 1-line block ×4, first 2 shown]
	s_waitcnt lgkmcnt(0)
	v_cndmask_b32_e64 v22, v64, v22, s[8:9]
	v_cndmask_b32_e64 v23, v23, v64, s[8:9]
	;; [unrolled: 1-line block ×3, first 2 shown]
	v_cmp_lt_u32_e64 s[12:13], v27, v49
	v_cmp_le_u16_sdwa s[20:21], v22, v23 src0_sel:BYTE_0 src1_sel:BYTE_0
	v_cmp_ge_u32_e64 s[8:9], v26, v50
	s_and_b64 s[12:13], s[12:13], s[20:21]
	s_or_b64 s[8:9], s[8:9], s[12:13]
	v_cndmask_b32_e64 v26, v26, v27, s[8:9]
	v_cndmask_b32_e64 v10, v51, v52, s[28:29]
	;; [unrolled: 1-line block ×3, first 2 shown]
	v_lshl_add_u32 v26, v26, 3, v11
	v_lshlrev_b16_e32 v22, 8, v39
	v_lshlrev_b16_e32 v23, 8, v10
	ds_read_b64 v[26:27], v26 offset:2048
	v_or_b32_sdwa v22, v37, v22 dst_sel:WORD_1 dst_unused:UNUSED_PAD src0_sel:BYTE_0 src1_sel:DWORD
	v_or_b32_sdwa v23, v48, v23 dst_sel:DWORD dst_unused:UNUSED_PAD src0_sel:BYTE_0 src1_sel:DWORD
	v_or_b32_sdwa v23, v23, v22 dst_sel:DWORD dst_unused:UNUSED_PAD src0_sel:WORD_0 src1_sel:DWORD
	v_lshlrev_b16_e32 v22, 8, v9
	v_lshlrev_b16_e32 v49, 8, v35
	v_or_b32_sdwa v22, v36, v22 dst_sel:WORD_1 dst_unused:UNUSED_PAD src0_sel:BYTE_0 src1_sel:DWORD
	v_or_b32_sdwa v49, v38, v49 dst_sel:DWORD dst_unused:UNUSED_PAD src0_sel:BYTE_0 src1_sel:DWORD
	v_or_b32_sdwa v22, v49, v22 dst_sel:DWORD dst_unused:UNUSED_PAD src0_sel:WORD_0 src1_sel:DWORD
.LBB97_96:
	s_or_b64 exec, exec, s[44:45]
	v_and_b32_e32 v51, 0x3c0, v33
	v_or_b32_e32 v49, 32, v51
	v_min_u32_e32 v49, v29, v49
	v_add_u32_e32 v50, 32, v49
	v_min_u32_e32 v50, v29, v50
	v_and_b32_e32 v52, 56, v33
	v_min_u32_e32 v52, v29, v52
	v_sub_u32_e32 v54, v49, v51
	v_sub_u32_e32 v53, v50, v49
	v_sub_u32_e64 v53, v52, v53 clamp
	v_min_u32_e32 v54, v52, v54
	v_cmp_lt_u32_e64 s[8:9], v53, v54
	; wave barrier
	ds_write_b8 v31, v38
	ds_write_b64 v34, v[4:5] offset:2048
	ds_write_b8 v31, v35 offset:1
	ds_write_b64 v34, v[14:15] offset:2056
	ds_write_b8 v31, v36 offset:2
	;; [unrolled: 2-line block ×7, first 2 shown]
	s_waitcnt lgkmcnt(14)
	ds_write_b64 v34, v[26:27] offset:2104
	; wave barrier
	s_and_saveexec_b64 s[12:13], s[8:9]
	s_cbranch_execz .LBB97_100
; %bb.97:
	v_add_u32_e32 v55, v28, v51
	v_add3_u32 v64, v28, v49, v52
	s_mov_b64 s[20:21], 0
.LBB97_98:                              ; =>This Inner Loop Header: Depth=1
	v_add_u32_e32 v65, v54, v53
	v_lshrrev_b32_e32 v65, 1, v65
	v_add_u32_e32 v66, v55, v65
	v_xad_u32 v67, v65, -1, v64
	ds_read_u8 v66, v66
	ds_read_u8 v67, v67
	v_add_u32_e32 v68, 1, v65
	s_waitcnt lgkmcnt(0)
	v_cmp_gt_u16_e64 s[8:9], v67, v66
	v_cndmask_b32_e64 v54, v54, v65, s[8:9]
	v_cndmask_b32_e64 v53, v68, v53, s[8:9]
	v_cmp_ge_u32_e64 s[8:9], v53, v54
	s_or_b64 s[20:21], s[8:9], s[20:21]
	s_andn2_b64 exec, exec, s[20:21]
	s_cbranch_execnz .LBB97_98
; %bb.99:
	s_or_b64 exec, exec, s[20:21]
.LBB97_100:
	s_or_b64 exec, exec, s[12:13]
	v_add_u32_e32 v52, v49, v52
	v_add_u32_e32 v51, v53, v51
	v_sub_u32_e32 v52, v52, v53
	v_cmp_le_u32_e64 s[8:9], v51, v49
	v_cmp_le_u32_e64 s[12:13], v52, v50
	s_or_b64 s[8:9], s[8:9], s[12:13]
	s_and_saveexec_b64 s[44:45], s[8:9]
	s_cbranch_execz .LBB97_106
; %bb.101:
	v_cmp_lt_u32_e64 s[8:9], v51, v49
                                        ; implicit-def: $vgpr9
	s_and_saveexec_b64 s[12:13], s[8:9]
; %bb.102:
	v_add_u32_e32 v4, v28, v51
	ds_read_u8 v9, v4
; %bb.103:
	s_or_b64 exec, exec, s[12:13]
	v_cmp_ge_u32_e64 s[20:21], v52, v50
	v_cmp_lt_u32_e64 s[12:13], v52, v50
                                        ; implicit-def: $vgpr10
	s_and_saveexec_b64 s[22:23], s[12:13]
; %bb.104:
	v_add_u32_e32 v4, v28, v52
	ds_read_u8 v10, v4
; %bb.105:
	s_or_b64 exec, exec, s[22:23]
	s_waitcnt lgkmcnt(0)
	v_cmp_le_u16_sdwa s[12:13], v10, v9 src0_sel:BYTE_0 src1_sel:BYTE_0
	s_and_b64 s[8:9], s[8:9], s[12:13]
	s_or_b64 s[8:9], s[20:21], s[8:9]
	v_cndmask_b32_e64 v4, v52, v51, s[8:9]
	v_cndmask_b32_e64 v5, v50, v49, s[8:9]
	v_add_u32_e32 v12, 1, v4
	v_add_u32_e32 v5, -1, v5
	v_min_u32_e32 v5, v12, v5
	v_add_u32_e32 v5, v28, v5
	ds_read_u8 v5, v5
	v_cndmask_b32_e64 v13, v12, v52, s[8:9]
	v_cmp_ge_u32_e64 s[12:13], v13, v50
	v_lshl_add_u32 v4, v4, 3, v11
	v_cndmask_b32_e64 v38, v10, v9, s[8:9]
	s_waitcnt lgkmcnt(0)
	v_cndmask_b32_e64 v22, v5, v10, s[8:9]
	v_cndmask_b32_e64 v23, v9, v5, s[8:9]
	;; [unrolled: 1-line block ×3, first 2 shown]
	v_cmp_lt_u32_e64 s[20:21], v5, v49
	v_cmp_le_u16_sdwa s[22:23], v22, v23 src0_sel:BYTE_0 src1_sel:BYTE_0
	s_and_b64 s[20:21], s[20:21], s[22:23]
	s_or_b64 s[20:21], s[12:13], s[20:21]
	v_cndmask_b32_e64 v12, v13, v5, s[20:21]
	v_cndmask_b32_e64 v14, v50, v49, s[20:21]
	v_add_u32_e32 v15, 1, v12
	v_add_u32_e32 v14, -1, v14
	v_min_u32_e32 v14, v15, v14
	v_add_u32_e32 v14, v28, v14
	ds_read_u8 v14, v14
	v_cndmask_b32_e64 v13, v15, v13, s[20:21]
	v_cmp_ge_u32_e64 s[12:13], v13, v50
	v_lshl_add_u32 v12, v12, 3, v11
	s_waitcnt lgkmcnt(0)
	v_cndmask_b32_e64 v24, v14, v22, s[20:21]
	v_cndmask_b32_e64 v25, v23, v14, s[20:21]
	;; [unrolled: 1-line block ×3, first 2 shown]
	v_cmp_lt_u32_e64 s[22:23], v14, v49
	v_cmp_le_u16_sdwa s[26:27], v24, v25 src0_sel:BYTE_0 src1_sel:BYTE_0
	s_and_b64 s[22:23], s[22:23], s[26:27]
	s_or_b64 s[12:13], s[12:13], s[22:23]
	v_cndmask_b32_e64 v16, v13, v14, s[12:13]
	v_cndmask_b32_e64 v5, v50, v49, s[12:13]
	v_add_u32_e32 v15, 1, v16
	v_add_u32_e32 v5, -1, v5
	v_min_u32_e32 v5, v15, v5
	v_add_u32_e32 v5, v28, v5
	ds_read_u8 v17, v5
	v_cndmask_b32_e64 v18, v14, v15, s[12:13]
	v_cmp_lt_u32_e64 s[26:27], v18, v49
	ds_read_b64 v[4:5], v4 offset:2048
	s_waitcnt lgkmcnt(1)
	v_cndmask_b32_e64 v26, v17, v24, s[12:13]
	v_cndmask_b32_e64 v27, v25, v17, s[12:13]
	v_cndmask_b32_e64 v17, v15, v13, s[12:13]
	v_cmp_le_u16_sdwa s[28:29], v26, v27 src0_sel:BYTE_0 src1_sel:BYTE_0
	v_cmp_ge_u32_e64 s[22:23], v17, v50
	s_and_b64 s[26:27], s[26:27], s[28:29]
	s_or_b64 s[22:23], s[22:23], s[26:27]
	v_cndmask_b32_e64 v19, v17, v18, s[22:23]
	v_cndmask_b32_e64 v13, v50, v49, s[22:23]
	v_add_u32_e32 v20, 1, v19
	v_add_u32_e32 v13, -1, v13
	v_min_u32_e32 v13, v20, v13
	v_add_u32_e32 v13, v28, v13
	ds_read_u8 v21, v13
	ds_read_b64 v[14:15], v12 offset:2048
	v_lshl_add_u32 v12, v16, 3, v11
	ds_read_b64 v[12:13], v12 offset:2048
	s_waitcnt lgkmcnt(2)
	v_cndmask_b32_e64 v37, v21, v26, s[22:23]
	v_cndmask_b32_e64 v39, v27, v21, s[22:23]
	;; [unrolled: 1-line block ×4, first 2 shown]
	v_cmp_lt_u32_e64 s[28:29], v20, v49
	v_cmp_le_u16_sdwa s[40:41], v37, v39 src0_sel:BYTE_0 src1_sel:BYTE_0
	v_cmp_ge_u32_e64 s[26:27], v21, v50
	s_and_b64 s[28:29], s[28:29], s[40:41]
	s_or_b64 s[26:27], s[26:27], s[28:29]
	v_cndmask_b32_e64 v18, v21, v20, s[26:27]
	v_cndmask_b32_e64 v16, v50, v49, s[26:27]
	v_add_u32_e32 v35, 1, v18
	v_add_u32_e32 v16, -1, v16
	v_min_u32_e32 v16, v35, v16
	v_add_u32_e32 v16, v28, v16
	ds_read_u8 v36, v16
	v_cndmask_b32_e64 v53, v20, v35, s[26:27]
	v_cndmask_b32_e64 v48, v35, v21, s[26:27]
	v_cmp_lt_u32_e64 s[40:41], v53, v49
	v_cmp_ge_u32_e64 s[28:29], v48, v50
	s_waitcnt lgkmcnt(0)
	v_cndmask_b32_e64 v51, v36, v37, s[26:27]
	v_cndmask_b32_e64 v52, v39, v36, s[26:27]
	v_cmp_le_u16_sdwa s[46:47], v51, v52 src0_sel:BYTE_0 src1_sel:BYTE_0
	s_and_b64 s[40:41], s[40:41], s[46:47]
	s_or_b64 s[28:29], s[28:29], s[40:41]
	v_cndmask_b32_e64 v20, v48, v53, s[28:29]
	v_cndmask_b32_e64 v21, v50, v49, s[28:29]
	v_lshl_add_u32 v35, v20, 3, v11
	v_add_u32_e32 v54, 1, v20
	v_add_u32_e32 v20, -1, v21
	v_min_u32_e32 v20, v54, v20
	v_lshl_add_u32 v16, v19, 3, v11
	v_lshl_add_u32 v18, v18, 3, v11
	v_add_u32_e32 v20, v28, v20
	ds_read_b64 v[16:17], v16 offset:2048
	ds_read_b64 v[18:19], v18 offset:2048
	ds_read_u8 v55, v20
	ds_read_b64 v[20:21], v35 offset:2048
	v_cndmask_b32_e64 v35, v22, v23, s[20:21]
	v_cndmask_b32_e64 v53, v53, v54, s[28:29]
	;; [unrolled: 1-line block ×3, first 2 shown]
	s_waitcnt lgkmcnt(1)
	v_cndmask_b32_e64 v22, v55, v51, s[28:29]
	v_cndmask_b32_e64 v23, v52, v55, s[28:29]
	;; [unrolled: 1-line block ×3, first 2 shown]
	v_cmp_lt_u32_e64 s[12:13], v53, v49
	v_cmp_le_u16_sdwa s[20:21], v22, v23 src0_sel:BYTE_0 src1_sel:BYTE_0
	v_cmp_ge_u32_e64 s[8:9], v55, v50
	s_and_b64 s[12:13], s[12:13], s[20:21]
	s_or_b64 s[8:9], s[8:9], s[12:13]
	v_cndmask_b32_e64 v9, v55, v53, s[8:9]
	v_cndmask_b32_e64 v10, v50, v49, s[8:9]
	v_lshl_add_u32 v24, v9, 3, v11
	v_add_u32_e32 v54, 1, v9
	v_add_u32_e32 v9, -1, v10
	v_min_u32_e32 v9, v54, v9
	v_add_u32_e32 v9, v28, v9
	ds_read_b64 v[24:25], v24 offset:2048
	ds_read_u8 v64, v9
	v_cndmask_b32_e64 v9, v26, v27, s[22:23]
	v_cndmask_b32_e64 v48, v37, v39, s[26:27]
	;; [unrolled: 1-line block ×4, first 2 shown]
	s_waitcnt lgkmcnt(0)
	v_cndmask_b32_e64 v22, v64, v22, s[8:9]
	v_cndmask_b32_e64 v23, v23, v64, s[8:9]
	;; [unrolled: 1-line block ×3, first 2 shown]
	v_cmp_lt_u32_e64 s[12:13], v27, v49
	v_cmp_le_u16_sdwa s[20:21], v22, v23 src0_sel:BYTE_0 src1_sel:BYTE_0
	v_cmp_ge_u32_e64 s[8:9], v26, v50
	s_and_b64 s[12:13], s[12:13], s[20:21]
	s_or_b64 s[8:9], s[8:9], s[12:13]
	v_cndmask_b32_e64 v26, v26, v27, s[8:9]
	v_cndmask_b32_e64 v10, v51, v52, s[28:29]
	;; [unrolled: 1-line block ×3, first 2 shown]
	v_lshl_add_u32 v26, v26, 3, v11
	v_lshlrev_b16_e32 v22, 8, v39
	v_lshlrev_b16_e32 v23, 8, v10
	ds_read_b64 v[26:27], v26 offset:2048
	v_or_b32_sdwa v22, v37, v22 dst_sel:WORD_1 dst_unused:UNUSED_PAD src0_sel:BYTE_0 src1_sel:DWORD
	v_or_b32_sdwa v23, v48, v23 dst_sel:DWORD dst_unused:UNUSED_PAD src0_sel:BYTE_0 src1_sel:DWORD
	v_or_b32_sdwa v23, v23, v22 dst_sel:DWORD dst_unused:UNUSED_PAD src0_sel:WORD_0 src1_sel:DWORD
	v_lshlrev_b16_e32 v22, 8, v9
	v_lshlrev_b16_e32 v49, 8, v35
	v_or_b32_sdwa v22, v36, v22 dst_sel:WORD_1 dst_unused:UNUSED_PAD src0_sel:BYTE_0 src1_sel:DWORD
	v_or_b32_sdwa v49, v38, v49 dst_sel:DWORD dst_unused:UNUSED_PAD src0_sel:BYTE_0 src1_sel:DWORD
	v_or_b32_sdwa v22, v49, v22 dst_sel:DWORD dst_unused:UNUSED_PAD src0_sel:WORD_0 src1_sel:DWORD
.LBB97_106:
	s_or_b64 exec, exec, s[44:45]
	; wave barrier
	ds_write_b8 v31, v38
	ds_write_b64 v34, v[4:5] offset:2048
	ds_write_b8 v31, v35 offset:1
	ds_write_b64 v34, v[14:15] offset:2056
	ds_write_b8 v31, v36 offset:2
	;; [unrolled: 2-line block ×7, first 2 shown]
	s_waitcnt lgkmcnt(14)
	ds_write_b64 v34, v[26:27] offset:2104
	v_and_b32_e32 v31, 0x380, v33
	v_or_b32_e32 v9, 64, v31
	v_min_u32_e32 v9, v29, v9
	v_add_u32_e32 v10, 64, v9
	v_min_u32_e32 v10, v29, v10
	v_min_u32_e32 v33, v29, v30
	v_sub_u32_e32 v29, v9, v31
	v_sub_u32_e32 v34, v10, v9
	v_sub_u32_e64 v34, v33, v34 clamp
	v_min_u32_e32 v29, v33, v29
	v_cmp_lt_u32_e64 s[8:9], v34, v29
	; wave barrier
	s_and_saveexec_b64 s[12:13], s[8:9]
	s_cbranch_execz .LBB97_110
; %bb.107:
	v_add_u32_e32 v35, v28, v31
	v_add3_u32 v36, v28, v9, v33
	s_mov_b64 s[20:21], 0
.LBB97_108:                             ; =>This Inner Loop Header: Depth=1
	v_add_u32_e32 v37, v29, v34
	v_lshrrev_b32_e32 v37, 1, v37
	v_add_u32_e32 v38, v35, v37
	v_xad_u32 v39, v37, -1, v36
	ds_read_u8 v38, v38
	ds_read_u8 v39, v39
	v_add_u32_e32 v48, 1, v37
	s_waitcnt lgkmcnt(0)
	v_cmp_gt_u16_e64 s[8:9], v39, v38
	v_cndmask_b32_e64 v29, v29, v37, s[8:9]
	v_cndmask_b32_e64 v34, v48, v34, s[8:9]
	v_cmp_ge_u32_e64 s[8:9], v34, v29
	s_or_b64 s[20:21], s[8:9], s[20:21]
	s_andn2_b64 exec, exec, s[20:21]
	s_cbranch_execnz .LBB97_108
; %bb.109:
	s_or_b64 exec, exec, s[20:21]
.LBB97_110:
	s_or_b64 exec, exec, s[12:13]
	v_add_u32_e32 v29, v34, v31
	v_add_u32_e32 v31, v9, v33
	v_sub_u32_e32 v31, v31, v34
	v_cmp_le_u32_e64 s[8:9], v29, v9
	v_cmp_le_u32_e64 s[12:13], v31, v10
	s_or_b64 s[8:9], s[8:9], s[12:13]
	s_and_saveexec_b64 s[44:45], s[8:9]
	s_cbranch_execz .LBB97_116
; %bb.111:
	v_cmp_lt_u32_e64 s[8:9], v29, v9
                                        ; implicit-def: $vgpr22
	s_and_saveexec_b64 s[12:13], s[8:9]
; %bb.112:
	v_add_u32_e32 v4, v28, v29
	ds_read_u8 v22, v4
; %bb.113:
	s_or_b64 exec, exec, s[12:13]
	v_cmp_ge_u32_e64 s[20:21], v31, v10
	v_cmp_lt_u32_e64 s[12:13], v31, v10
                                        ; implicit-def: $vgpr23
	s_and_saveexec_b64 s[22:23], s[12:13]
; %bb.114:
	v_add_u32_e32 v4, v28, v31
	ds_read_u8 v23, v4
; %bb.115:
	s_or_b64 exec, exec, s[22:23]
	s_waitcnt lgkmcnt(0)
	v_cmp_le_u16_sdwa s[12:13], v23, v22 src0_sel:BYTE_0 src1_sel:BYTE_0
	s_and_b64 s[8:9], s[8:9], s[12:13]
	s_or_b64 s[8:9], s[20:21], s[8:9]
	v_cndmask_b32_e64 v4, v31, v29, s[8:9]
	v_cndmask_b32_e64 v5, v10, v9, s[8:9]
	v_add_u32_e32 v12, 1, v4
	v_add_u32_e32 v5, -1, v5
	v_min_u32_e32 v5, v12, v5
	v_add_u32_e32 v5, v28, v5
	ds_read_u8 v5, v5
	v_cndmask_b32_e64 v13, v12, v31, s[8:9]
	v_cmp_ge_u32_e64 s[12:13], v13, v10
	v_lshl_add_u32 v4, v4, 3, v11
	s_waitcnt lgkmcnt(0)
	v_cndmask_b32_e64 v24, v5, v23, s[8:9]
	v_cndmask_b32_e64 v25, v22, v5, s[8:9]
	;; [unrolled: 1-line block ×3, first 2 shown]
	v_cmp_lt_u32_e64 s[20:21], v5, v9
	v_cmp_le_u16_sdwa s[22:23], v24, v25 src0_sel:BYTE_0 src1_sel:BYTE_0
	s_and_b64 s[20:21], s[20:21], s[22:23]
	s_or_b64 s[20:21], s[12:13], s[20:21]
	v_cndmask_b32_e64 v12, v13, v5, s[20:21]
	v_cndmask_b32_e64 v14, v10, v9, s[20:21]
	v_add_u32_e32 v15, 1, v12
	v_add_u32_e32 v14, -1, v14
	v_min_u32_e32 v14, v15, v14
	v_add_u32_e32 v14, v28, v14
	ds_read_u8 v14, v14
	v_cndmask_b32_e64 v13, v15, v13, s[20:21]
	v_cmp_ge_u32_e64 s[12:13], v13, v10
	v_lshl_add_u32 v12, v12, 3, v11
	v_cndmask_b32_e64 v22, v23, v22, s[8:9]
	s_waitcnt lgkmcnt(0)
	v_cndmask_b32_e64 v26, v14, v24, s[20:21]
	v_cndmask_b32_e64 v27, v25, v14, s[20:21]
	;; [unrolled: 1-line block ×3, first 2 shown]
	v_cmp_lt_u32_e64 s[22:23], v14, v9
	v_cmp_le_u16_sdwa s[26:27], v26, v27 src0_sel:BYTE_0 src1_sel:BYTE_0
	s_and_b64 s[22:23], s[22:23], s[26:27]
	s_or_b64 s[12:13], s[12:13], s[22:23]
	v_cndmask_b32_e64 v16, v13, v14, s[12:13]
	v_cndmask_b32_e64 v5, v10, v9, s[12:13]
	v_add_u32_e32 v15, 1, v16
	v_add_u32_e32 v5, -1, v5
	v_min_u32_e32 v5, v15, v5
	v_add_u32_e32 v5, v28, v5
	ds_read_u8 v17, v5
	v_cndmask_b32_e64 v18, v14, v15, s[12:13]
	v_cmp_lt_u32_e64 s[26:27], v18, v9
	ds_read_b64 v[4:5], v4 offset:2048
	v_cndmask_b32_e64 v50, v26, v27, s[12:13]
	s_waitcnt lgkmcnt(1)
	v_cndmask_b32_e64 v29, v17, v26, s[12:13]
	v_cndmask_b32_e64 v31, v27, v17, s[12:13]
	;; [unrolled: 1-line block ×3, first 2 shown]
	v_cmp_le_u16_sdwa s[28:29], v29, v31 src0_sel:BYTE_0 src1_sel:BYTE_0
	v_cmp_ge_u32_e64 s[22:23], v17, v10
	s_and_b64 s[26:27], s[26:27], s[28:29]
	s_or_b64 s[22:23], s[22:23], s[26:27]
	v_cndmask_b32_e64 v19, v17, v18, s[22:23]
	v_cndmask_b32_e64 v13, v10, v9, s[22:23]
	v_add_u32_e32 v20, 1, v19
	v_add_u32_e32 v13, -1, v13
	v_min_u32_e32 v13, v20, v13
	v_add_u32_e32 v13, v28, v13
	ds_read_u8 v21, v13
	ds_read_b64 v[14:15], v12 offset:2048
	v_lshl_add_u32 v12, v16, 3, v11
	ds_read_b64 v[12:13], v12 offset:2048
	s_waitcnt lgkmcnt(2)
	v_cndmask_b32_e64 v33, v21, v29, s[22:23]
	v_cndmask_b32_e64 v34, v31, v21, s[22:23]
	;; [unrolled: 1-line block ×4, first 2 shown]
	v_cmp_lt_u32_e64 s[28:29], v20, v9
	v_cmp_le_u16_sdwa s[40:41], v33, v34 src0_sel:BYTE_0 src1_sel:BYTE_0
	v_cmp_ge_u32_e64 s[26:27], v21, v10
	s_and_b64 s[28:29], s[28:29], s[40:41]
	s_or_b64 s[26:27], s[26:27], s[28:29]
	v_cndmask_b32_e64 v18, v21, v20, s[26:27]
	v_cndmask_b32_e64 v16, v10, v9, s[26:27]
	v_add_u32_e32 v35, 1, v18
	v_add_u32_e32 v16, -1, v16
	v_min_u32_e32 v16, v35, v16
	v_add_u32_e32 v16, v28, v16
	ds_read_u8 v36, v16
	v_cndmask_b32_e64 v38, v35, v21, s[26:27]
	v_cndmask_b32_e64 v35, v20, v35, s[26:27]
	v_cmp_lt_u32_e64 s[40:41], v35, v9
	v_cmp_ge_u32_e64 s[28:29], v38, v10
	s_waitcnt lgkmcnt(0)
	v_cndmask_b32_e64 v37, v36, v33, s[26:27]
	v_cndmask_b32_e64 v36, v34, v36, s[26:27]
	v_cmp_le_u16_sdwa s[46:47], v37, v36 src0_sel:BYTE_0 src1_sel:BYTE_0
	s_and_b64 s[40:41], s[40:41], s[46:47]
	s_or_b64 s[28:29], s[28:29], s[40:41]
	v_cndmask_b32_e64 v20, v38, v35, s[28:29]
	v_cndmask_b32_e64 v21, v10, v9, s[28:29]
	v_lshl_add_u32 v39, v20, 3, v11
	v_add_u32_e32 v48, 1, v20
	v_add_u32_e32 v20, -1, v21
	v_min_u32_e32 v20, v48, v20
	v_lshl_add_u32 v16, v19, 3, v11
	v_lshl_add_u32 v18, v18, 3, v11
	v_add_u32_e32 v20, v28, v20
	ds_read_b64 v[16:17], v16 offset:2048
	ds_read_b64 v[18:19], v18 offset:2048
	ds_read_u8 v49, v20
	ds_read_b64 v[20:21], v39 offset:2048
	v_cndmask_b32_e64 v35, v35, v48, s[28:29]
	v_cndmask_b32_e64 v39, v24, v25, s[20:21]
	;; [unrolled: 1-line block ×3, first 2 shown]
	s_waitcnt lgkmcnt(1)
	v_cndmask_b32_e64 v23, v49, v37, s[28:29]
	v_cndmask_b32_e64 v26, v36, v49, s[28:29]
	v_cmp_lt_u32_e64 s[12:13], v35, v9
	v_cmp_le_u16_sdwa s[20:21], v23, v26 src0_sel:BYTE_0 src1_sel:BYTE_0
	v_cmp_ge_u32_e64 s[8:9], v27, v10
	s_and_b64 s[12:13], s[12:13], s[20:21]
	s_or_b64 s[8:9], s[8:9], s[12:13]
	v_cndmask_b32_e64 v24, v27, v35, s[8:9]
	v_cndmask_b32_e64 v25, v10, v9, s[8:9]
	v_lshl_add_u32 v38, v24, 3, v11
	v_add_u32_e32 v48, 1, v24
	v_add_u32_e32 v24, -1, v25
	v_min_u32_e32 v24, v48, v24
	v_add_u32_e32 v28, v28, v24
	ds_read_b64 v[24:25], v38 offset:2048
	ds_read_u8 v28, v28
	v_cndmask_b32_e64 v29, v29, v31, s[22:23]
	v_cndmask_b32_e64 v31, v33, v34, s[26:27]
	;; [unrolled: 1-line block ×4, first 2 shown]
	s_waitcnt lgkmcnt(0)
	v_cndmask_b32_e64 v23, v28, v23, s[8:9]
	v_cndmask_b32_e64 v26, v26, v28, s[8:9]
	;; [unrolled: 1-line block ×3, first 2 shown]
	v_cmp_lt_u32_e64 s[12:13], v28, v9
	v_cmp_le_u16_sdwa s[20:21], v23, v26 src0_sel:BYTE_0 src1_sel:BYTE_0
	v_cmp_ge_u32_e64 s[8:9], v27, v10
	s_and_b64 s[12:13], s[12:13], s[20:21]
	s_or_b64 s[8:9], s[8:9], s[12:13]
	v_cndmask_b32_e64 v33, v37, v36, s[28:29]
	v_cndmask_b32_e64 v9, v27, v28, s[8:9]
	v_cndmask_b32_e64 v10, v23, v26, s[8:9]
	v_lshlrev_b16_e32 v10, 8, v10
	v_lshlrev_b16_e32 v23, 8, v33
	v_lshl_add_u32 v9, v9, 3, v11
	v_or_b32_sdwa v10, v34, v10 dst_sel:WORD_1 dst_unused:UNUSED_PAD src0_sel:BYTE_0 src1_sel:DWORD
	v_or_b32_sdwa v23, v31, v23 dst_sel:DWORD dst_unused:UNUSED_PAD src0_sel:BYTE_0 src1_sel:DWORD
	ds_read_b64 v[26:27], v9 offset:2048
	v_or_b32_sdwa v23, v23, v10 dst_sel:DWORD dst_unused:UNUSED_PAD src0_sel:WORD_0 src1_sel:DWORD
	v_lshlrev_b16_e32 v10, 8, v29
	v_or_b32_sdwa v9, v50, v10 dst_sel:WORD_1 dst_unused:UNUSED_PAD src0_sel:BYTE_0 src1_sel:DWORD
	v_lshlrev_b16_e32 v10, 8, v39
	v_or_b32_sdwa v10, v22, v10 dst_sel:DWORD dst_unused:UNUSED_PAD src0_sel:BYTE_0 src1_sel:DWORD
	v_or_b32_sdwa v22, v10, v9 dst_sel:DWORD dst_unused:UNUSED_PAD src0_sel:WORD_0 src1_sel:DWORD
.LBB97_116:
	s_or_b64 exec, exec, s[44:45]
	; wave barrier
	s_waitcnt lgkmcnt(0)
	s_barrier
.LBB97_117:
	s_or_b64 exec, exec, s[42:43]
	v_add_co_u32_e64 v2, s[8:9], v2, v8
	v_addc_co_u32_e64 v3, s[8:9], 0, v3, s[8:9]
	v_add_co_u32_e64 v2, s[8:9], v2, v30
	v_addc_co_u32_e64 v3, s[8:9], 0, v3, s[8:9]
	s_waitcnt lgkmcnt(0)
	; wave barrier
	s_and_saveexec_b64 s[8:9], vcc
	s_cbranch_execnz .LBB97_142
; %bb.118:
	s_or_b64 exec, exec, s[8:9]
	s_and_saveexec_b64 s[8:9], s[4:5]
	s_cbranch_execnz .LBB97_143
.LBB97_119:
	s_or_b64 exec, exec, s[8:9]
	s_and_saveexec_b64 s[8:9], s[6:7]
	s_cbranch_execnz .LBB97_144
.LBB97_120:
	s_or_b64 exec, exec, s[8:9]
	s_and_saveexec_b64 s[8:9], s[18:19]
	s_cbranch_execnz .LBB97_145
.LBB97_121:
	s_or_b64 exec, exec, s[8:9]
	s_and_saveexec_b64 s[8:9], s[10:11]
	s_cbranch_execnz .LBB97_146
.LBB97_122:
	s_or_b64 exec, exec, s[8:9]
	s_and_saveexec_b64 s[8:9], s[24:25]
	s_cbranch_execnz .LBB97_147
.LBB97_123:
	s_or_b64 exec, exec, s[8:9]
	s_and_saveexec_b64 s[8:9], s[14:15]
	s_cbranch_execnz .LBB97_148
.LBB97_124:
	s_or_b64 exec, exec, s[8:9]
	s_and_saveexec_b64 s[8:9], s[16:17]
	s_cbranch_execz .LBB97_126
.LBB97_125:
	v_lshrrev_b32_e32 v8, 24, v23
	flat_store_byte v[2:3], v8 offset:7
.LBB97_126:
	s_or_b64 exec, exec, s[8:9]
	v_add_co_u32_e64 v0, s[8:9], v6, v0
	v_addc_co_u32_e64 v1, s[8:9], v7, v1, s[8:9]
	v_add_co_u32_e64 v0, s[8:9], v0, v32
	v_addc_co_u32_e64 v1, s[8:9], 0, v1, s[8:9]
	; wave barrier
	s_and_saveexec_b64 s[8:9], vcc
	s_cbranch_execnz .LBB97_149
; %bb.127:
	s_or_b64 exec, exec, s[8:9]
	s_and_saveexec_b64 s[8:9], s[4:5]
	s_cbranch_execnz .LBB97_150
.LBB97_128:
	s_or_b64 exec, exec, s[8:9]
	s_and_saveexec_b64 s[4:5], s[6:7]
	s_cbranch_execnz .LBB97_151
.LBB97_129:
	s_or_b64 exec, exec, s[4:5]
	s_and_saveexec_b64 s[4:5], s[18:19]
	s_cbranch_execnz .LBB97_152
.LBB97_130:
	s_or_b64 exec, exec, s[4:5]
	s_and_saveexec_b64 s[4:5], s[10:11]
	s_cbranch_execnz .LBB97_153
.LBB97_131:
	s_or_b64 exec, exec, s[4:5]
	s_and_saveexec_b64 s[4:5], s[24:25]
	s_cbranch_execnz .LBB97_154
.LBB97_132:
	s_or_b64 exec, exec, s[4:5]
	s_and_saveexec_b64 s[4:5], s[14:15]
	s_cbranch_execnz .LBB97_155
.LBB97_133:
	s_or_b64 exec, exec, s[4:5]
	s_and_saveexec_b64 s[4:5], s[16:17]
	s_cbranch_execnz .LBB97_156
.LBB97_134:
	s_or_b64 exec, exec, s[4:5]
	s_waitcnt vmcnt(0) lgkmcnt(0)
	s_setpc_b64 s[30:31]
.LBB97_135:
	flat_load_dwordx2 v[4:5], v[28:29]
	s_or_b64 exec, exec, s[20:21]
                                        ; implicit-def: $vgpr14_vgpr15
	s_and_saveexec_b64 s[20:21], s[4:5]
	s_cbranch_execz .LBB97_18
.LBB97_136:
	flat_load_dwordx2 v[14:15], v[28:29] offset:8
	s_or_b64 exec, exec, s[20:21]
                                        ; implicit-def: $vgpr12_vgpr13
	s_and_saveexec_b64 s[20:21], s[6:7]
	s_cbranch_execz .LBB97_19
.LBB97_137:
	flat_load_dwordx2 v[12:13], v[28:29] offset:16
	s_or_b64 exec, exec, s[20:21]
                                        ; implicit-def: $vgpr16_vgpr17
	s_and_saveexec_b64 s[20:21], s[18:19]
	s_cbranch_execz .LBB97_20
.LBB97_138:
	flat_load_dwordx2 v[16:17], v[28:29] offset:24
	s_or_b64 exec, exec, s[20:21]
                                        ; implicit-def: $vgpr18_vgpr19
	s_and_saveexec_b64 s[20:21], s[10:11]
	s_cbranch_execz .LBB97_21
.LBB97_139:
	flat_load_dwordx2 v[18:19], v[28:29] offset:32
	s_or_b64 exec, exec, s[20:21]
                                        ; implicit-def: $vgpr20_vgpr21
	s_and_saveexec_b64 s[20:21], s[24:25]
	s_cbranch_execz .LBB97_22
.LBB97_140:
	flat_load_dwordx2 v[20:21], v[28:29] offset:40
	s_or_b64 exec, exec, s[20:21]
                                        ; implicit-def: $vgpr24_vgpr25
	s_and_saveexec_b64 s[20:21], s[14:15]
	s_cbranch_execz .LBB97_23
.LBB97_141:
	flat_load_dwordx2 v[24:25], v[28:29] offset:48
	s_or_b64 exec, exec, s[20:21]
                                        ; implicit-def: $vgpr26_vgpr27
	s_and_saveexec_b64 s[20:21], s[16:17]
	s_cbranch_execnz .LBB97_24
	s_branch .LBB97_25
.LBB97_142:
	flat_store_byte v[2:3], v22
	s_or_b64 exec, exec, s[8:9]
	s_and_saveexec_b64 s[8:9], s[4:5]
	s_cbranch_execz .LBB97_119
.LBB97_143:
	v_lshrrev_b32_e32 v8, 8, v22
	flat_store_byte v[2:3], v8 offset:1
	s_or_b64 exec, exec, s[8:9]
	s_and_saveexec_b64 s[8:9], s[6:7]
	s_cbranch_execz .LBB97_120
.LBB97_144:
	flat_store_byte_d16_hi v[2:3], v22 offset:2
	s_or_b64 exec, exec, s[8:9]
	s_and_saveexec_b64 s[8:9], s[18:19]
	s_cbranch_execz .LBB97_121
.LBB97_145:
	v_lshrrev_b32_e32 v8, 24, v22
	flat_store_byte v[2:3], v8 offset:3
	s_or_b64 exec, exec, s[8:9]
	s_and_saveexec_b64 s[8:9], s[10:11]
	s_cbranch_execz .LBB97_122
.LBB97_146:
	flat_store_byte v[2:3], v23 offset:4
	s_or_b64 exec, exec, s[8:9]
	s_and_saveexec_b64 s[8:9], s[24:25]
	s_cbranch_execz .LBB97_123
.LBB97_147:
	v_lshrrev_b32_e32 v8, 8, v23
	flat_store_byte v[2:3], v8 offset:5
	s_or_b64 exec, exec, s[8:9]
	s_and_saveexec_b64 s[8:9], s[14:15]
	s_cbranch_execz .LBB97_124
.LBB97_148:
	flat_store_byte_d16_hi v[2:3], v23 offset:6
	s_or_b64 exec, exec, s[8:9]
	s_and_saveexec_b64 s[8:9], s[16:17]
	s_cbranch_execnz .LBB97_125
	s_branch .LBB97_126
.LBB97_149:
	s_waitcnt vmcnt(0)
	flat_store_dwordx2 v[0:1], v[4:5]
	s_or_b64 exec, exec, s[8:9]
	s_and_saveexec_b64 s[8:9], s[4:5]
	s_cbranch_execz .LBB97_128
.LBB97_150:
	s_waitcnt vmcnt(0)
	flat_store_dwordx2 v[0:1], v[14:15] offset:8
	s_or_b64 exec, exec, s[8:9]
	s_and_saveexec_b64 s[4:5], s[6:7]
	s_cbranch_execz .LBB97_129
.LBB97_151:
	s_waitcnt vmcnt(0)
	flat_store_dwordx2 v[0:1], v[12:13] offset:16
	s_or_b64 exec, exec, s[4:5]
	s_and_saveexec_b64 s[4:5], s[18:19]
	s_cbranch_execz .LBB97_130
.LBB97_152:
	s_waitcnt vmcnt(0)
	flat_store_dwordx2 v[0:1], v[16:17] offset:24
	s_or_b64 exec, exec, s[4:5]
	s_and_saveexec_b64 s[4:5], s[10:11]
	s_cbranch_execz .LBB97_131
.LBB97_153:
	s_waitcnt vmcnt(0)
	flat_store_dwordx2 v[0:1], v[18:19] offset:32
	s_or_b64 exec, exec, s[4:5]
	s_and_saveexec_b64 s[4:5], s[24:25]
	s_cbranch_execz .LBB97_132
.LBB97_154:
	s_waitcnt vmcnt(0)
	flat_store_dwordx2 v[0:1], v[20:21] offset:40
	s_or_b64 exec, exec, s[4:5]
	s_and_saveexec_b64 s[4:5], s[14:15]
	s_cbranch_execz .LBB97_133
.LBB97_155:
	s_waitcnt vmcnt(0)
	flat_store_dwordx2 v[0:1], v[24:25] offset:48
	s_or_b64 exec, exec, s[4:5]
	s_and_saveexec_b64 s[4:5], s[16:17]
	s_cbranch_execz .LBB97_134
.LBB97_156:
	s_waitcnt vmcnt(0)
	flat_store_dwordx2 v[0:1], v[26:27] offset:56
	s_or_b64 exec, exec, s[4:5]
	s_waitcnt vmcnt(0) lgkmcnt(0)
	s_setpc_b64 s[30:31]
.Lfunc_end97:
	.size	_ZN7rocprim17ROCPRIM_400000_NS6detail26segmented_warp_sort_helperINS1_20WarpSortHelperConfigILj16ELj8ELj256EEEhlLi256ELb1EvE4sortIPKhPhPKlPlEEvT_T0_T1_T2_jjjjRNS5_12storage_typeE, .Lfunc_end97-_ZN7rocprim17ROCPRIM_400000_NS6detail26segmented_warp_sort_helperINS1_20WarpSortHelperConfigILj16ELj8ELj256EEEhlLi256ELb1EvE4sortIPKhPhPKlPlEEvT_T0_T1_T2_jjjjRNS5_12storage_typeE
                                        ; -- End function
	.set .L_ZN7rocprim17ROCPRIM_400000_NS6detail26segmented_warp_sort_helperINS1_20WarpSortHelperConfigILj16ELj8ELj256EEEhlLi256ELb1EvE4sortIPKhPhPKlPlEEvT_T0_T1_T2_jjjjRNS5_12storage_typeE.num_vgpr, 70
	.set .L_ZN7rocprim17ROCPRIM_400000_NS6detail26segmented_warp_sort_helperINS1_20WarpSortHelperConfigILj16ELj8ELj256EEEhlLi256ELb1EvE4sortIPKhPhPKlPlEEvT_T0_T1_T2_jjjjRNS5_12storage_typeE.num_agpr, 0
	.set .L_ZN7rocprim17ROCPRIM_400000_NS6detail26segmented_warp_sort_helperINS1_20WarpSortHelperConfigILj16ELj8ELj256EEEhlLi256ELb1EvE4sortIPKhPhPKlPlEEvT_T0_T1_T2_jjjjRNS5_12storage_typeE.numbered_sgpr, 60
	.set .L_ZN7rocprim17ROCPRIM_400000_NS6detail26segmented_warp_sort_helperINS1_20WarpSortHelperConfigILj16ELj8ELj256EEEhlLi256ELb1EvE4sortIPKhPhPKlPlEEvT_T0_T1_T2_jjjjRNS5_12storage_typeE.num_named_barrier, 0
	.set .L_ZN7rocprim17ROCPRIM_400000_NS6detail26segmented_warp_sort_helperINS1_20WarpSortHelperConfigILj16ELj8ELj256EEEhlLi256ELb1EvE4sortIPKhPhPKlPlEEvT_T0_T1_T2_jjjjRNS5_12storage_typeE.private_seg_size, 0
	.set .L_ZN7rocprim17ROCPRIM_400000_NS6detail26segmented_warp_sort_helperINS1_20WarpSortHelperConfigILj16ELj8ELj256EEEhlLi256ELb1EvE4sortIPKhPhPKlPlEEvT_T0_T1_T2_jjjjRNS5_12storage_typeE.uses_vcc, 1
	.set .L_ZN7rocprim17ROCPRIM_400000_NS6detail26segmented_warp_sort_helperINS1_20WarpSortHelperConfigILj16ELj8ELj256EEEhlLi256ELb1EvE4sortIPKhPhPKlPlEEvT_T0_T1_T2_jjjjRNS5_12storage_typeE.uses_flat_scratch, 0
	.set .L_ZN7rocprim17ROCPRIM_400000_NS6detail26segmented_warp_sort_helperINS1_20WarpSortHelperConfigILj16ELj8ELj256EEEhlLi256ELb1EvE4sortIPKhPhPKlPlEEvT_T0_T1_T2_jjjjRNS5_12storage_typeE.has_dyn_sized_stack, 0
	.set .L_ZN7rocprim17ROCPRIM_400000_NS6detail26segmented_warp_sort_helperINS1_20WarpSortHelperConfigILj16ELj8ELj256EEEhlLi256ELb1EvE4sortIPKhPhPKlPlEEvT_T0_T1_T2_jjjjRNS5_12storage_typeE.has_recursion, 0
	.set .L_ZN7rocprim17ROCPRIM_400000_NS6detail26segmented_warp_sort_helperINS1_20WarpSortHelperConfigILj16ELj8ELj256EEEhlLi256ELb1EvE4sortIPKhPhPKlPlEEvT_T0_T1_T2_jjjjRNS5_12storage_typeE.has_indirect_call, 0
	.section	.AMDGPU.csdata,"",@progbits
; Function info:
; codeLenInByte = 18144
; TotalNumSgprs: 64
; NumVgprs: 70
; ScratchSize: 0
; MemoryBound: 0
	.section	.text._ZN7rocprim17ROCPRIM_400000_NS6detail17trampoline_kernelINS0_14default_configENS1_36segmented_radix_sort_config_selectorIhlEEZNS1_25segmented_radix_sort_implIS3_Lb1EPKhPhPKlPlN2at6native12_GLOBAL__N_18offset_tEEE10hipError_tPvRmT1_PNSt15iterator_traitsISK_E10value_typeET2_T3_PNSL_ISQ_E10value_typeET4_jRbjT5_SW_jjP12ihipStream_tbEUlT_E0_NS1_11comp_targetILNS1_3genE2ELNS1_11target_archE906ELNS1_3gpuE6ELNS1_3repE0EEENS1_60segmented_radix_sort_warp_sort_medium_config_static_selectorELNS0_4arch9wavefront6targetE1EEEvSK_,"axG",@progbits,_ZN7rocprim17ROCPRIM_400000_NS6detail17trampoline_kernelINS0_14default_configENS1_36segmented_radix_sort_config_selectorIhlEEZNS1_25segmented_radix_sort_implIS3_Lb1EPKhPhPKlPlN2at6native12_GLOBAL__N_18offset_tEEE10hipError_tPvRmT1_PNSt15iterator_traitsISK_E10value_typeET2_T3_PNSL_ISQ_E10value_typeET4_jRbjT5_SW_jjP12ihipStream_tbEUlT_E0_NS1_11comp_targetILNS1_3genE2ELNS1_11target_archE906ELNS1_3gpuE6ELNS1_3repE0EEENS1_60segmented_radix_sort_warp_sort_medium_config_static_selectorELNS0_4arch9wavefront6targetE1EEEvSK_,comdat
	.globl	_ZN7rocprim17ROCPRIM_400000_NS6detail17trampoline_kernelINS0_14default_configENS1_36segmented_radix_sort_config_selectorIhlEEZNS1_25segmented_radix_sort_implIS3_Lb1EPKhPhPKlPlN2at6native12_GLOBAL__N_18offset_tEEE10hipError_tPvRmT1_PNSt15iterator_traitsISK_E10value_typeET2_T3_PNSL_ISQ_E10value_typeET4_jRbjT5_SW_jjP12ihipStream_tbEUlT_E0_NS1_11comp_targetILNS1_3genE2ELNS1_11target_archE906ELNS1_3gpuE6ELNS1_3repE0EEENS1_60segmented_radix_sort_warp_sort_medium_config_static_selectorELNS0_4arch9wavefront6targetE1EEEvSK_ ; -- Begin function _ZN7rocprim17ROCPRIM_400000_NS6detail17trampoline_kernelINS0_14default_configENS1_36segmented_radix_sort_config_selectorIhlEEZNS1_25segmented_radix_sort_implIS3_Lb1EPKhPhPKlPlN2at6native12_GLOBAL__N_18offset_tEEE10hipError_tPvRmT1_PNSt15iterator_traitsISK_E10value_typeET2_T3_PNSL_ISQ_E10value_typeET4_jRbjT5_SW_jjP12ihipStream_tbEUlT_E0_NS1_11comp_targetILNS1_3genE2ELNS1_11target_archE906ELNS1_3gpuE6ELNS1_3repE0EEENS1_60segmented_radix_sort_warp_sort_medium_config_static_selectorELNS0_4arch9wavefront6targetE1EEEvSK_
	.p2align	8
	.type	_ZN7rocprim17ROCPRIM_400000_NS6detail17trampoline_kernelINS0_14default_configENS1_36segmented_radix_sort_config_selectorIhlEEZNS1_25segmented_radix_sort_implIS3_Lb1EPKhPhPKlPlN2at6native12_GLOBAL__N_18offset_tEEE10hipError_tPvRmT1_PNSt15iterator_traitsISK_E10value_typeET2_T3_PNSL_ISQ_E10value_typeET4_jRbjT5_SW_jjP12ihipStream_tbEUlT_E0_NS1_11comp_targetILNS1_3genE2ELNS1_11target_archE906ELNS1_3gpuE6ELNS1_3repE0EEENS1_60segmented_radix_sort_warp_sort_medium_config_static_selectorELNS0_4arch9wavefront6targetE1EEEvSK_,@function
_ZN7rocprim17ROCPRIM_400000_NS6detail17trampoline_kernelINS0_14default_configENS1_36segmented_radix_sort_config_selectorIhlEEZNS1_25segmented_radix_sort_implIS3_Lb1EPKhPhPKlPlN2at6native12_GLOBAL__N_18offset_tEEE10hipError_tPvRmT1_PNSt15iterator_traitsISK_E10value_typeET2_T3_PNSL_ISQ_E10value_typeET4_jRbjT5_SW_jjP12ihipStream_tbEUlT_E0_NS1_11comp_targetILNS1_3genE2ELNS1_11target_archE906ELNS1_3gpuE6ELNS1_3repE0EEENS1_60segmented_radix_sort_warp_sort_medium_config_static_selectorELNS0_4arch9wavefront6targetE1EEEvSK_: ; @_ZN7rocprim17ROCPRIM_400000_NS6detail17trampoline_kernelINS0_14default_configENS1_36segmented_radix_sort_config_selectorIhlEEZNS1_25segmented_radix_sort_implIS3_Lb1EPKhPhPKlPlN2at6native12_GLOBAL__N_18offset_tEEE10hipError_tPvRmT1_PNSt15iterator_traitsISK_E10value_typeET2_T3_PNSL_ISQ_E10value_typeET4_jRbjT5_SW_jjP12ihipStream_tbEUlT_E0_NS1_11comp_targetILNS1_3genE2ELNS1_11target_archE906ELNS1_3gpuE6ELNS1_3repE0EEENS1_60segmented_radix_sort_warp_sort_medium_config_static_selectorELNS0_4arch9wavefront6targetE1EEEvSK_
; %bb.0:
	s_add_u32 s0, s0, s8
	s_load_dword s8, s[4:5], 0x64
	s_addc_u32 s1, s1, 0
	s_mov_b32 s32, 0
	s_waitcnt lgkmcnt(0)
	s_lshr_b32 s9, s8, 16
	s_and_b32 s8, s8, 0xffff
	v_mad_u32_u24 v3, v2, s9, v1
	v_mad_u64_u32 v[3:4], s[8:9], v3, s8, v[0:1]
	s_load_dword s8, s[4:5], 0x34
	v_lshrrev_b32_e32 v3, 4, v3
	v_lshl_add_u32 v3, s6, 4, v3
	s_waitcnt lgkmcnt(0)
	v_cmp_gt_u32_e32 vcc, s8, v3
	s_and_saveexec_b64 s[8:9], vcc
	s_cbranch_execz .LBB98_6
; %bb.1:
	s_load_dwordx2 s[12:13], s[4:5], 0x38
	s_load_dwordx4 s[8:11], s[4:5], 0x40
	v_mov_b32_e32 v4, 0
	v_lshlrev_b64 v[3:4], 2, v[3:4]
	s_waitcnt lgkmcnt(0)
	v_mov_b32_e32 v5, s13
	v_add_co_u32_e32 v3, vcc, s12, v3
	v_addc_co_u32_e32 v4, vcc, v5, v4, vcc
	global_load_dword v3, v[3:4], off
	s_waitcnt vmcnt(0)
	v_add_u32_e32 v4, s9, v3
	v_add_u32_e32 v3, s11, v3
	v_mul_lo_u32 v40, v4, s8
	v_mul_lo_u32 v41, v3, s10
	v_cmp_gt_u32_e32 vcc, v41, v40
	s_and_b64 exec, exec, vcc
	s_cbranch_execz .LBB98_6
; %bb.2:
	s_load_dword s10, s[4:5], 0x30
	s_load_dwordx4 s[36:39], s[4:5], 0x20
	s_load_dwordx8 s[48:55], s[4:5], 0x0
	s_load_dwordx2 s[34:35], s[4:5], 0x50
	s_mov_b64 s[8:9], -1
	s_waitcnt lgkmcnt(0)
	s_bitcmp0_b32 s10, 0
	v_lshlrev_b32_e32 v43, 20, v2
	v_lshlrev_b32_e32 v44, 10, v1
	s_cbranch_scc0 .LBB98_4
; %bb.3:
	s_add_u32 s8, s4, 0x58
	s_addc_u32 s9, s5, 0
	s_getpc_b64 s[10:11]
	s_add_u32 s10, s10, _ZN7rocprim17ROCPRIM_400000_NS6detail26segmented_warp_sort_helperINS1_20WarpSortHelperConfigILj16ELj8ELj256EEEhlLi256ELb1EvE4sortIPKhPhPKlPlEEvT_T0_T1_T2_jjjjRNS5_12storage_typeE@rel32@lo+4
	s_addc_u32 s11, s11, _ZN7rocprim17ROCPRIM_400000_NS6detail26segmented_warp_sort_helperINS1_20WarpSortHelperConfigILj16ELj8ELj256EEEhlLi256ELb1EvE4sortIPKhPhPKlPlEEvT_T0_T1_T2_jjjjRNS5_12storage_typeE@rel32@hi+12
	v_or3_b32 v31, v0, v44, v43
	s_mov_b32 s12, s6
	s_mov_b32 s13, s7
	v_mov_b32_e32 v42, v0
	v_mov_b32_e32 v0, s48
	;; [unrolled: 1-line block ×13, first 2 shown]
	s_mov_b64 s[36:37], s[4:5]
	s_mov_b32 s50, s7
	s_mov_b32 s33, s6
	s_swappc_b64 s[30:31], s[10:11]
	v_mov_b32_e32 v0, v42
	s_mov_b32 s6, s33
	s_mov_b32 s7, s50
	s_mov_b64 s[4:5], s[36:37]
	s_mov_b64 s[8:9], 0
.LBB98_4:
	s_andn2_b64 vcc, exec, s[8:9]
	s_cbranch_vccnz .LBB98_6
; %bb.5:
	s_add_u32 s8, s4, 0x58
	s_addc_u32 s9, s5, 0
	s_getpc_b64 s[4:5]
	s_add_u32 s4, s4, _ZN7rocprim17ROCPRIM_400000_NS6detail26segmented_warp_sort_helperINS1_20WarpSortHelperConfigILj16ELj8ELj256EEEhlLi256ELb1EvE4sortIPKhPhPKlPlEEvT_T0_T1_T2_jjjjRNS5_12storage_typeE@rel32@lo+4
	s_addc_u32 s5, s5, _ZN7rocprim17ROCPRIM_400000_NS6detail26segmented_warp_sort_helperINS1_20WarpSortHelperConfigILj16ELj8ELj256EEEhlLi256ELb1EvE4sortIPKhPhPKlPlEEvT_T0_T1_T2_jjjjRNS5_12storage_typeE@rel32@hi+12
	v_or3_b32 v31, v0, v44, v43
	s_mov_b32 s12, s6
	s_mov_b32 s13, s7
	v_mov_b32_e32 v0, s48
	v_mov_b32_e32 v1, s49
	;; [unrolled: 1-line block ×12, first 2 shown]
	s_swappc_b64 s[30:31], s[4:5]
.LBB98_6:
	s_endpgm
	.section	.rodata,"a",@progbits
	.p2align	6, 0x0
	.amdhsa_kernel _ZN7rocprim17ROCPRIM_400000_NS6detail17trampoline_kernelINS0_14default_configENS1_36segmented_radix_sort_config_selectorIhlEEZNS1_25segmented_radix_sort_implIS3_Lb1EPKhPhPKlPlN2at6native12_GLOBAL__N_18offset_tEEE10hipError_tPvRmT1_PNSt15iterator_traitsISK_E10value_typeET2_T3_PNSL_ISQ_E10value_typeET4_jRbjT5_SW_jjP12ihipStream_tbEUlT_E0_NS1_11comp_targetILNS1_3genE2ELNS1_11target_archE906ELNS1_3gpuE6ELNS1_3repE0EEENS1_60segmented_radix_sort_warp_sort_medium_config_static_selectorELNS0_4arch9wavefront6targetE1EEEvSK_
		.amdhsa_group_segment_fixed_size 18432
		.amdhsa_private_segment_fixed_size 0
		.amdhsa_kernarg_size 344
		.amdhsa_user_sgpr_count 6
		.amdhsa_user_sgpr_private_segment_buffer 1
		.amdhsa_user_sgpr_dispatch_ptr 0
		.amdhsa_user_sgpr_queue_ptr 0
		.amdhsa_user_sgpr_kernarg_segment_ptr 1
		.amdhsa_user_sgpr_dispatch_id 0
		.amdhsa_user_sgpr_flat_scratch_init 0
		.amdhsa_user_sgpr_private_segment_size 0
		.amdhsa_uses_dynamic_stack 0
		.amdhsa_system_sgpr_private_segment_wavefront_offset 0
		.amdhsa_system_sgpr_workgroup_id_x 1
		.amdhsa_system_sgpr_workgroup_id_y 1
		.amdhsa_system_sgpr_workgroup_id_z 0
		.amdhsa_system_sgpr_workgroup_info 0
		.amdhsa_system_vgpr_workitem_id 2
		.amdhsa_next_free_vgpr 70
		.amdhsa_next_free_sgpr 98
		.amdhsa_reserve_vcc 1
		.amdhsa_reserve_flat_scratch 0
		.amdhsa_float_round_mode_32 0
		.amdhsa_float_round_mode_16_64 0
		.amdhsa_float_denorm_mode_32 3
		.amdhsa_float_denorm_mode_16_64 3
		.amdhsa_dx10_clamp 1
		.amdhsa_ieee_mode 1
		.amdhsa_fp16_overflow 0
		.amdhsa_exception_fp_ieee_invalid_op 0
		.amdhsa_exception_fp_denorm_src 0
		.amdhsa_exception_fp_ieee_div_zero 0
		.amdhsa_exception_fp_ieee_overflow 0
		.amdhsa_exception_fp_ieee_underflow 0
		.amdhsa_exception_fp_ieee_inexact 0
		.amdhsa_exception_int_div_zero 0
	.end_amdhsa_kernel
	.section	.text._ZN7rocprim17ROCPRIM_400000_NS6detail17trampoline_kernelINS0_14default_configENS1_36segmented_radix_sort_config_selectorIhlEEZNS1_25segmented_radix_sort_implIS3_Lb1EPKhPhPKlPlN2at6native12_GLOBAL__N_18offset_tEEE10hipError_tPvRmT1_PNSt15iterator_traitsISK_E10value_typeET2_T3_PNSL_ISQ_E10value_typeET4_jRbjT5_SW_jjP12ihipStream_tbEUlT_E0_NS1_11comp_targetILNS1_3genE2ELNS1_11target_archE906ELNS1_3gpuE6ELNS1_3repE0EEENS1_60segmented_radix_sort_warp_sort_medium_config_static_selectorELNS0_4arch9wavefront6targetE1EEEvSK_,"axG",@progbits,_ZN7rocprim17ROCPRIM_400000_NS6detail17trampoline_kernelINS0_14default_configENS1_36segmented_radix_sort_config_selectorIhlEEZNS1_25segmented_radix_sort_implIS3_Lb1EPKhPhPKlPlN2at6native12_GLOBAL__N_18offset_tEEE10hipError_tPvRmT1_PNSt15iterator_traitsISK_E10value_typeET2_T3_PNSL_ISQ_E10value_typeET4_jRbjT5_SW_jjP12ihipStream_tbEUlT_E0_NS1_11comp_targetILNS1_3genE2ELNS1_11target_archE906ELNS1_3gpuE6ELNS1_3repE0EEENS1_60segmented_radix_sort_warp_sort_medium_config_static_selectorELNS0_4arch9wavefront6targetE1EEEvSK_,comdat
.Lfunc_end98:
	.size	_ZN7rocprim17ROCPRIM_400000_NS6detail17trampoline_kernelINS0_14default_configENS1_36segmented_radix_sort_config_selectorIhlEEZNS1_25segmented_radix_sort_implIS3_Lb1EPKhPhPKlPlN2at6native12_GLOBAL__N_18offset_tEEE10hipError_tPvRmT1_PNSt15iterator_traitsISK_E10value_typeET2_T3_PNSL_ISQ_E10value_typeET4_jRbjT5_SW_jjP12ihipStream_tbEUlT_E0_NS1_11comp_targetILNS1_3genE2ELNS1_11target_archE906ELNS1_3gpuE6ELNS1_3repE0EEENS1_60segmented_radix_sort_warp_sort_medium_config_static_selectorELNS0_4arch9wavefront6targetE1EEEvSK_, .Lfunc_end98-_ZN7rocprim17ROCPRIM_400000_NS6detail17trampoline_kernelINS0_14default_configENS1_36segmented_radix_sort_config_selectorIhlEEZNS1_25segmented_radix_sort_implIS3_Lb1EPKhPhPKlPlN2at6native12_GLOBAL__N_18offset_tEEE10hipError_tPvRmT1_PNSt15iterator_traitsISK_E10value_typeET2_T3_PNSL_ISQ_E10value_typeET4_jRbjT5_SW_jjP12ihipStream_tbEUlT_E0_NS1_11comp_targetILNS1_3genE2ELNS1_11target_archE906ELNS1_3gpuE6ELNS1_3repE0EEENS1_60segmented_radix_sort_warp_sort_medium_config_static_selectorELNS0_4arch9wavefront6targetE1EEEvSK_
                                        ; -- End function
	.set _ZN7rocprim17ROCPRIM_400000_NS6detail17trampoline_kernelINS0_14default_configENS1_36segmented_radix_sort_config_selectorIhlEEZNS1_25segmented_radix_sort_implIS3_Lb1EPKhPhPKlPlN2at6native12_GLOBAL__N_18offset_tEEE10hipError_tPvRmT1_PNSt15iterator_traitsISK_E10value_typeET2_T3_PNSL_ISQ_E10value_typeET4_jRbjT5_SW_jjP12ihipStream_tbEUlT_E0_NS1_11comp_targetILNS1_3genE2ELNS1_11target_archE906ELNS1_3gpuE6ELNS1_3repE0EEENS1_60segmented_radix_sort_warp_sort_medium_config_static_selectorELNS0_4arch9wavefront6targetE1EEEvSK_.num_vgpr, max(45, .L_ZN7rocprim17ROCPRIM_400000_NS6detail26segmented_warp_sort_helperINS1_20WarpSortHelperConfigILj16ELj8ELj256EEEhlLi256ELb1EvE4sortIPKhPhPKlPlEEvT_T0_T1_T2_jjjjRNS5_12storage_typeE.num_vgpr)
	.set _ZN7rocprim17ROCPRIM_400000_NS6detail17trampoline_kernelINS0_14default_configENS1_36segmented_radix_sort_config_selectorIhlEEZNS1_25segmented_radix_sort_implIS3_Lb1EPKhPhPKlPlN2at6native12_GLOBAL__N_18offset_tEEE10hipError_tPvRmT1_PNSt15iterator_traitsISK_E10value_typeET2_T3_PNSL_ISQ_E10value_typeET4_jRbjT5_SW_jjP12ihipStream_tbEUlT_E0_NS1_11comp_targetILNS1_3genE2ELNS1_11target_archE906ELNS1_3gpuE6ELNS1_3repE0EEENS1_60segmented_radix_sort_warp_sort_medium_config_static_selectorELNS0_4arch9wavefront6targetE1EEEvSK_.num_agpr, max(0, .L_ZN7rocprim17ROCPRIM_400000_NS6detail26segmented_warp_sort_helperINS1_20WarpSortHelperConfigILj16ELj8ELj256EEEhlLi256ELb1EvE4sortIPKhPhPKlPlEEvT_T0_T1_T2_jjjjRNS5_12storage_typeE.num_agpr)
	.set _ZN7rocprim17ROCPRIM_400000_NS6detail17trampoline_kernelINS0_14default_configENS1_36segmented_radix_sort_config_selectorIhlEEZNS1_25segmented_radix_sort_implIS3_Lb1EPKhPhPKlPlN2at6native12_GLOBAL__N_18offset_tEEE10hipError_tPvRmT1_PNSt15iterator_traitsISK_E10value_typeET2_T3_PNSL_ISQ_E10value_typeET4_jRbjT5_SW_jjP12ihipStream_tbEUlT_E0_NS1_11comp_targetILNS1_3genE2ELNS1_11target_archE906ELNS1_3gpuE6ELNS1_3repE0EEENS1_60segmented_radix_sort_warp_sort_medium_config_static_selectorELNS0_4arch9wavefront6targetE1EEEvSK_.numbered_sgpr, max(56, .L_ZN7rocprim17ROCPRIM_400000_NS6detail26segmented_warp_sort_helperINS1_20WarpSortHelperConfigILj16ELj8ELj256EEEhlLi256ELb1EvE4sortIPKhPhPKlPlEEvT_T0_T1_T2_jjjjRNS5_12storage_typeE.numbered_sgpr)
	.set _ZN7rocprim17ROCPRIM_400000_NS6detail17trampoline_kernelINS0_14default_configENS1_36segmented_radix_sort_config_selectorIhlEEZNS1_25segmented_radix_sort_implIS3_Lb1EPKhPhPKlPlN2at6native12_GLOBAL__N_18offset_tEEE10hipError_tPvRmT1_PNSt15iterator_traitsISK_E10value_typeET2_T3_PNSL_ISQ_E10value_typeET4_jRbjT5_SW_jjP12ihipStream_tbEUlT_E0_NS1_11comp_targetILNS1_3genE2ELNS1_11target_archE906ELNS1_3gpuE6ELNS1_3repE0EEENS1_60segmented_radix_sort_warp_sort_medium_config_static_selectorELNS0_4arch9wavefront6targetE1EEEvSK_.num_named_barrier, max(0, .L_ZN7rocprim17ROCPRIM_400000_NS6detail26segmented_warp_sort_helperINS1_20WarpSortHelperConfigILj16ELj8ELj256EEEhlLi256ELb1EvE4sortIPKhPhPKlPlEEvT_T0_T1_T2_jjjjRNS5_12storage_typeE.num_named_barrier)
	.set _ZN7rocprim17ROCPRIM_400000_NS6detail17trampoline_kernelINS0_14default_configENS1_36segmented_radix_sort_config_selectorIhlEEZNS1_25segmented_radix_sort_implIS3_Lb1EPKhPhPKlPlN2at6native12_GLOBAL__N_18offset_tEEE10hipError_tPvRmT1_PNSt15iterator_traitsISK_E10value_typeET2_T3_PNSL_ISQ_E10value_typeET4_jRbjT5_SW_jjP12ihipStream_tbEUlT_E0_NS1_11comp_targetILNS1_3genE2ELNS1_11target_archE906ELNS1_3gpuE6ELNS1_3repE0EEENS1_60segmented_radix_sort_warp_sort_medium_config_static_selectorELNS0_4arch9wavefront6targetE1EEEvSK_.private_seg_size, 0+max(.L_ZN7rocprim17ROCPRIM_400000_NS6detail26segmented_warp_sort_helperINS1_20WarpSortHelperConfigILj16ELj8ELj256EEEhlLi256ELb1EvE4sortIPKhPhPKlPlEEvT_T0_T1_T2_jjjjRNS5_12storage_typeE.private_seg_size)
	.set _ZN7rocprim17ROCPRIM_400000_NS6detail17trampoline_kernelINS0_14default_configENS1_36segmented_radix_sort_config_selectorIhlEEZNS1_25segmented_radix_sort_implIS3_Lb1EPKhPhPKlPlN2at6native12_GLOBAL__N_18offset_tEEE10hipError_tPvRmT1_PNSt15iterator_traitsISK_E10value_typeET2_T3_PNSL_ISQ_E10value_typeET4_jRbjT5_SW_jjP12ihipStream_tbEUlT_E0_NS1_11comp_targetILNS1_3genE2ELNS1_11target_archE906ELNS1_3gpuE6ELNS1_3repE0EEENS1_60segmented_radix_sort_warp_sort_medium_config_static_selectorELNS0_4arch9wavefront6targetE1EEEvSK_.uses_vcc, or(1, .L_ZN7rocprim17ROCPRIM_400000_NS6detail26segmented_warp_sort_helperINS1_20WarpSortHelperConfigILj16ELj8ELj256EEEhlLi256ELb1EvE4sortIPKhPhPKlPlEEvT_T0_T1_T2_jjjjRNS5_12storage_typeE.uses_vcc)
	.set _ZN7rocprim17ROCPRIM_400000_NS6detail17trampoline_kernelINS0_14default_configENS1_36segmented_radix_sort_config_selectorIhlEEZNS1_25segmented_radix_sort_implIS3_Lb1EPKhPhPKlPlN2at6native12_GLOBAL__N_18offset_tEEE10hipError_tPvRmT1_PNSt15iterator_traitsISK_E10value_typeET2_T3_PNSL_ISQ_E10value_typeET4_jRbjT5_SW_jjP12ihipStream_tbEUlT_E0_NS1_11comp_targetILNS1_3genE2ELNS1_11target_archE906ELNS1_3gpuE6ELNS1_3repE0EEENS1_60segmented_radix_sort_warp_sort_medium_config_static_selectorELNS0_4arch9wavefront6targetE1EEEvSK_.uses_flat_scratch, or(0, .L_ZN7rocprim17ROCPRIM_400000_NS6detail26segmented_warp_sort_helperINS1_20WarpSortHelperConfigILj16ELj8ELj256EEEhlLi256ELb1EvE4sortIPKhPhPKlPlEEvT_T0_T1_T2_jjjjRNS5_12storage_typeE.uses_flat_scratch)
	.set _ZN7rocprim17ROCPRIM_400000_NS6detail17trampoline_kernelINS0_14default_configENS1_36segmented_radix_sort_config_selectorIhlEEZNS1_25segmented_radix_sort_implIS3_Lb1EPKhPhPKlPlN2at6native12_GLOBAL__N_18offset_tEEE10hipError_tPvRmT1_PNSt15iterator_traitsISK_E10value_typeET2_T3_PNSL_ISQ_E10value_typeET4_jRbjT5_SW_jjP12ihipStream_tbEUlT_E0_NS1_11comp_targetILNS1_3genE2ELNS1_11target_archE906ELNS1_3gpuE6ELNS1_3repE0EEENS1_60segmented_radix_sort_warp_sort_medium_config_static_selectorELNS0_4arch9wavefront6targetE1EEEvSK_.has_dyn_sized_stack, or(0, .L_ZN7rocprim17ROCPRIM_400000_NS6detail26segmented_warp_sort_helperINS1_20WarpSortHelperConfigILj16ELj8ELj256EEEhlLi256ELb1EvE4sortIPKhPhPKlPlEEvT_T0_T1_T2_jjjjRNS5_12storage_typeE.has_dyn_sized_stack)
	.set _ZN7rocprim17ROCPRIM_400000_NS6detail17trampoline_kernelINS0_14default_configENS1_36segmented_radix_sort_config_selectorIhlEEZNS1_25segmented_radix_sort_implIS3_Lb1EPKhPhPKlPlN2at6native12_GLOBAL__N_18offset_tEEE10hipError_tPvRmT1_PNSt15iterator_traitsISK_E10value_typeET2_T3_PNSL_ISQ_E10value_typeET4_jRbjT5_SW_jjP12ihipStream_tbEUlT_E0_NS1_11comp_targetILNS1_3genE2ELNS1_11target_archE906ELNS1_3gpuE6ELNS1_3repE0EEENS1_60segmented_radix_sort_warp_sort_medium_config_static_selectorELNS0_4arch9wavefront6targetE1EEEvSK_.has_recursion, or(0, .L_ZN7rocprim17ROCPRIM_400000_NS6detail26segmented_warp_sort_helperINS1_20WarpSortHelperConfigILj16ELj8ELj256EEEhlLi256ELb1EvE4sortIPKhPhPKlPlEEvT_T0_T1_T2_jjjjRNS5_12storage_typeE.has_recursion)
	.set _ZN7rocprim17ROCPRIM_400000_NS6detail17trampoline_kernelINS0_14default_configENS1_36segmented_radix_sort_config_selectorIhlEEZNS1_25segmented_radix_sort_implIS3_Lb1EPKhPhPKlPlN2at6native12_GLOBAL__N_18offset_tEEE10hipError_tPvRmT1_PNSt15iterator_traitsISK_E10value_typeET2_T3_PNSL_ISQ_E10value_typeET4_jRbjT5_SW_jjP12ihipStream_tbEUlT_E0_NS1_11comp_targetILNS1_3genE2ELNS1_11target_archE906ELNS1_3gpuE6ELNS1_3repE0EEENS1_60segmented_radix_sort_warp_sort_medium_config_static_selectorELNS0_4arch9wavefront6targetE1EEEvSK_.has_indirect_call, or(0, .L_ZN7rocprim17ROCPRIM_400000_NS6detail26segmented_warp_sort_helperINS1_20WarpSortHelperConfigILj16ELj8ELj256EEEhlLi256ELb1EvE4sortIPKhPhPKlPlEEvT_T0_T1_T2_jjjjRNS5_12storage_typeE.has_indirect_call)
	.section	.AMDGPU.csdata,"",@progbits
; Kernel info:
; codeLenInByte = 484
; TotalNumSgprs: 64
; NumVgprs: 70
; ScratchSize: 0
; MemoryBound: 0
; FloatMode: 240
; IeeeMode: 1
; LDSByteSize: 18432 bytes/workgroup (compile time only)
; SGPRBlocks: 12
; VGPRBlocks: 17
; NumSGPRsForWavesPerEU: 102
; NumVGPRsForWavesPerEU: 70
; Occupancy: 3
; WaveLimiterHint : 0
; COMPUTE_PGM_RSRC2:SCRATCH_EN: 0
; COMPUTE_PGM_RSRC2:USER_SGPR: 6
; COMPUTE_PGM_RSRC2:TRAP_HANDLER: 0
; COMPUTE_PGM_RSRC2:TGID_X_EN: 1
; COMPUTE_PGM_RSRC2:TGID_Y_EN: 1
; COMPUTE_PGM_RSRC2:TGID_Z_EN: 0
; COMPUTE_PGM_RSRC2:TIDIG_COMP_CNT: 2
	.section	.text._ZN7rocprim17ROCPRIM_400000_NS6detail17trampoline_kernelINS0_14default_configENS1_36segmented_radix_sort_config_selectorIhlEEZNS1_25segmented_radix_sort_implIS3_Lb1EPKhPhPKlPlN2at6native12_GLOBAL__N_18offset_tEEE10hipError_tPvRmT1_PNSt15iterator_traitsISK_E10value_typeET2_T3_PNSL_ISQ_E10value_typeET4_jRbjT5_SW_jjP12ihipStream_tbEUlT_E0_NS1_11comp_targetILNS1_3genE10ELNS1_11target_archE1201ELNS1_3gpuE5ELNS1_3repE0EEENS1_60segmented_radix_sort_warp_sort_medium_config_static_selectorELNS0_4arch9wavefront6targetE1EEEvSK_,"axG",@progbits,_ZN7rocprim17ROCPRIM_400000_NS6detail17trampoline_kernelINS0_14default_configENS1_36segmented_radix_sort_config_selectorIhlEEZNS1_25segmented_radix_sort_implIS3_Lb1EPKhPhPKlPlN2at6native12_GLOBAL__N_18offset_tEEE10hipError_tPvRmT1_PNSt15iterator_traitsISK_E10value_typeET2_T3_PNSL_ISQ_E10value_typeET4_jRbjT5_SW_jjP12ihipStream_tbEUlT_E0_NS1_11comp_targetILNS1_3genE10ELNS1_11target_archE1201ELNS1_3gpuE5ELNS1_3repE0EEENS1_60segmented_radix_sort_warp_sort_medium_config_static_selectorELNS0_4arch9wavefront6targetE1EEEvSK_,comdat
	.globl	_ZN7rocprim17ROCPRIM_400000_NS6detail17trampoline_kernelINS0_14default_configENS1_36segmented_radix_sort_config_selectorIhlEEZNS1_25segmented_radix_sort_implIS3_Lb1EPKhPhPKlPlN2at6native12_GLOBAL__N_18offset_tEEE10hipError_tPvRmT1_PNSt15iterator_traitsISK_E10value_typeET2_T3_PNSL_ISQ_E10value_typeET4_jRbjT5_SW_jjP12ihipStream_tbEUlT_E0_NS1_11comp_targetILNS1_3genE10ELNS1_11target_archE1201ELNS1_3gpuE5ELNS1_3repE0EEENS1_60segmented_radix_sort_warp_sort_medium_config_static_selectorELNS0_4arch9wavefront6targetE1EEEvSK_ ; -- Begin function _ZN7rocprim17ROCPRIM_400000_NS6detail17trampoline_kernelINS0_14default_configENS1_36segmented_radix_sort_config_selectorIhlEEZNS1_25segmented_radix_sort_implIS3_Lb1EPKhPhPKlPlN2at6native12_GLOBAL__N_18offset_tEEE10hipError_tPvRmT1_PNSt15iterator_traitsISK_E10value_typeET2_T3_PNSL_ISQ_E10value_typeET4_jRbjT5_SW_jjP12ihipStream_tbEUlT_E0_NS1_11comp_targetILNS1_3genE10ELNS1_11target_archE1201ELNS1_3gpuE5ELNS1_3repE0EEENS1_60segmented_radix_sort_warp_sort_medium_config_static_selectorELNS0_4arch9wavefront6targetE1EEEvSK_
	.p2align	8
	.type	_ZN7rocprim17ROCPRIM_400000_NS6detail17trampoline_kernelINS0_14default_configENS1_36segmented_radix_sort_config_selectorIhlEEZNS1_25segmented_radix_sort_implIS3_Lb1EPKhPhPKlPlN2at6native12_GLOBAL__N_18offset_tEEE10hipError_tPvRmT1_PNSt15iterator_traitsISK_E10value_typeET2_T3_PNSL_ISQ_E10value_typeET4_jRbjT5_SW_jjP12ihipStream_tbEUlT_E0_NS1_11comp_targetILNS1_3genE10ELNS1_11target_archE1201ELNS1_3gpuE5ELNS1_3repE0EEENS1_60segmented_radix_sort_warp_sort_medium_config_static_selectorELNS0_4arch9wavefront6targetE1EEEvSK_,@function
_ZN7rocprim17ROCPRIM_400000_NS6detail17trampoline_kernelINS0_14default_configENS1_36segmented_radix_sort_config_selectorIhlEEZNS1_25segmented_radix_sort_implIS3_Lb1EPKhPhPKlPlN2at6native12_GLOBAL__N_18offset_tEEE10hipError_tPvRmT1_PNSt15iterator_traitsISK_E10value_typeET2_T3_PNSL_ISQ_E10value_typeET4_jRbjT5_SW_jjP12ihipStream_tbEUlT_E0_NS1_11comp_targetILNS1_3genE10ELNS1_11target_archE1201ELNS1_3gpuE5ELNS1_3repE0EEENS1_60segmented_radix_sort_warp_sort_medium_config_static_selectorELNS0_4arch9wavefront6targetE1EEEvSK_: ; @_ZN7rocprim17ROCPRIM_400000_NS6detail17trampoline_kernelINS0_14default_configENS1_36segmented_radix_sort_config_selectorIhlEEZNS1_25segmented_radix_sort_implIS3_Lb1EPKhPhPKlPlN2at6native12_GLOBAL__N_18offset_tEEE10hipError_tPvRmT1_PNSt15iterator_traitsISK_E10value_typeET2_T3_PNSL_ISQ_E10value_typeET4_jRbjT5_SW_jjP12ihipStream_tbEUlT_E0_NS1_11comp_targetILNS1_3genE10ELNS1_11target_archE1201ELNS1_3gpuE5ELNS1_3repE0EEENS1_60segmented_radix_sort_warp_sort_medium_config_static_selectorELNS0_4arch9wavefront6targetE1EEEvSK_
; %bb.0:
	.section	.rodata,"a",@progbits
	.p2align	6, 0x0
	.amdhsa_kernel _ZN7rocprim17ROCPRIM_400000_NS6detail17trampoline_kernelINS0_14default_configENS1_36segmented_radix_sort_config_selectorIhlEEZNS1_25segmented_radix_sort_implIS3_Lb1EPKhPhPKlPlN2at6native12_GLOBAL__N_18offset_tEEE10hipError_tPvRmT1_PNSt15iterator_traitsISK_E10value_typeET2_T3_PNSL_ISQ_E10value_typeET4_jRbjT5_SW_jjP12ihipStream_tbEUlT_E0_NS1_11comp_targetILNS1_3genE10ELNS1_11target_archE1201ELNS1_3gpuE5ELNS1_3repE0EEENS1_60segmented_radix_sort_warp_sort_medium_config_static_selectorELNS0_4arch9wavefront6targetE1EEEvSK_
		.amdhsa_group_segment_fixed_size 0
		.amdhsa_private_segment_fixed_size 0
		.amdhsa_kernarg_size 88
		.amdhsa_user_sgpr_count 6
		.amdhsa_user_sgpr_private_segment_buffer 1
		.amdhsa_user_sgpr_dispatch_ptr 0
		.amdhsa_user_sgpr_queue_ptr 0
		.amdhsa_user_sgpr_kernarg_segment_ptr 1
		.amdhsa_user_sgpr_dispatch_id 0
		.amdhsa_user_sgpr_flat_scratch_init 0
		.amdhsa_user_sgpr_private_segment_size 0
		.amdhsa_uses_dynamic_stack 0
		.amdhsa_system_sgpr_private_segment_wavefront_offset 0
		.amdhsa_system_sgpr_workgroup_id_x 1
		.amdhsa_system_sgpr_workgroup_id_y 0
		.amdhsa_system_sgpr_workgroup_id_z 0
		.amdhsa_system_sgpr_workgroup_info 0
		.amdhsa_system_vgpr_workitem_id 0
		.amdhsa_next_free_vgpr 1
		.amdhsa_next_free_sgpr 0
		.amdhsa_reserve_vcc 0
		.amdhsa_reserve_flat_scratch 0
		.amdhsa_float_round_mode_32 0
		.amdhsa_float_round_mode_16_64 0
		.amdhsa_float_denorm_mode_32 3
		.amdhsa_float_denorm_mode_16_64 3
		.amdhsa_dx10_clamp 1
		.amdhsa_ieee_mode 1
		.amdhsa_fp16_overflow 0
		.amdhsa_exception_fp_ieee_invalid_op 0
		.amdhsa_exception_fp_denorm_src 0
		.amdhsa_exception_fp_ieee_div_zero 0
		.amdhsa_exception_fp_ieee_overflow 0
		.amdhsa_exception_fp_ieee_underflow 0
		.amdhsa_exception_fp_ieee_inexact 0
		.amdhsa_exception_int_div_zero 0
	.end_amdhsa_kernel
	.section	.text._ZN7rocprim17ROCPRIM_400000_NS6detail17trampoline_kernelINS0_14default_configENS1_36segmented_radix_sort_config_selectorIhlEEZNS1_25segmented_radix_sort_implIS3_Lb1EPKhPhPKlPlN2at6native12_GLOBAL__N_18offset_tEEE10hipError_tPvRmT1_PNSt15iterator_traitsISK_E10value_typeET2_T3_PNSL_ISQ_E10value_typeET4_jRbjT5_SW_jjP12ihipStream_tbEUlT_E0_NS1_11comp_targetILNS1_3genE10ELNS1_11target_archE1201ELNS1_3gpuE5ELNS1_3repE0EEENS1_60segmented_radix_sort_warp_sort_medium_config_static_selectorELNS0_4arch9wavefront6targetE1EEEvSK_,"axG",@progbits,_ZN7rocprim17ROCPRIM_400000_NS6detail17trampoline_kernelINS0_14default_configENS1_36segmented_radix_sort_config_selectorIhlEEZNS1_25segmented_radix_sort_implIS3_Lb1EPKhPhPKlPlN2at6native12_GLOBAL__N_18offset_tEEE10hipError_tPvRmT1_PNSt15iterator_traitsISK_E10value_typeET2_T3_PNSL_ISQ_E10value_typeET4_jRbjT5_SW_jjP12ihipStream_tbEUlT_E0_NS1_11comp_targetILNS1_3genE10ELNS1_11target_archE1201ELNS1_3gpuE5ELNS1_3repE0EEENS1_60segmented_radix_sort_warp_sort_medium_config_static_selectorELNS0_4arch9wavefront6targetE1EEEvSK_,comdat
.Lfunc_end99:
	.size	_ZN7rocprim17ROCPRIM_400000_NS6detail17trampoline_kernelINS0_14default_configENS1_36segmented_radix_sort_config_selectorIhlEEZNS1_25segmented_radix_sort_implIS3_Lb1EPKhPhPKlPlN2at6native12_GLOBAL__N_18offset_tEEE10hipError_tPvRmT1_PNSt15iterator_traitsISK_E10value_typeET2_T3_PNSL_ISQ_E10value_typeET4_jRbjT5_SW_jjP12ihipStream_tbEUlT_E0_NS1_11comp_targetILNS1_3genE10ELNS1_11target_archE1201ELNS1_3gpuE5ELNS1_3repE0EEENS1_60segmented_radix_sort_warp_sort_medium_config_static_selectorELNS0_4arch9wavefront6targetE1EEEvSK_, .Lfunc_end99-_ZN7rocprim17ROCPRIM_400000_NS6detail17trampoline_kernelINS0_14default_configENS1_36segmented_radix_sort_config_selectorIhlEEZNS1_25segmented_radix_sort_implIS3_Lb1EPKhPhPKlPlN2at6native12_GLOBAL__N_18offset_tEEE10hipError_tPvRmT1_PNSt15iterator_traitsISK_E10value_typeET2_T3_PNSL_ISQ_E10value_typeET4_jRbjT5_SW_jjP12ihipStream_tbEUlT_E0_NS1_11comp_targetILNS1_3genE10ELNS1_11target_archE1201ELNS1_3gpuE5ELNS1_3repE0EEENS1_60segmented_radix_sort_warp_sort_medium_config_static_selectorELNS0_4arch9wavefront6targetE1EEEvSK_
                                        ; -- End function
	.set _ZN7rocprim17ROCPRIM_400000_NS6detail17trampoline_kernelINS0_14default_configENS1_36segmented_radix_sort_config_selectorIhlEEZNS1_25segmented_radix_sort_implIS3_Lb1EPKhPhPKlPlN2at6native12_GLOBAL__N_18offset_tEEE10hipError_tPvRmT1_PNSt15iterator_traitsISK_E10value_typeET2_T3_PNSL_ISQ_E10value_typeET4_jRbjT5_SW_jjP12ihipStream_tbEUlT_E0_NS1_11comp_targetILNS1_3genE10ELNS1_11target_archE1201ELNS1_3gpuE5ELNS1_3repE0EEENS1_60segmented_radix_sort_warp_sort_medium_config_static_selectorELNS0_4arch9wavefront6targetE1EEEvSK_.num_vgpr, 0
	.set _ZN7rocprim17ROCPRIM_400000_NS6detail17trampoline_kernelINS0_14default_configENS1_36segmented_radix_sort_config_selectorIhlEEZNS1_25segmented_radix_sort_implIS3_Lb1EPKhPhPKlPlN2at6native12_GLOBAL__N_18offset_tEEE10hipError_tPvRmT1_PNSt15iterator_traitsISK_E10value_typeET2_T3_PNSL_ISQ_E10value_typeET4_jRbjT5_SW_jjP12ihipStream_tbEUlT_E0_NS1_11comp_targetILNS1_3genE10ELNS1_11target_archE1201ELNS1_3gpuE5ELNS1_3repE0EEENS1_60segmented_radix_sort_warp_sort_medium_config_static_selectorELNS0_4arch9wavefront6targetE1EEEvSK_.num_agpr, 0
	.set _ZN7rocprim17ROCPRIM_400000_NS6detail17trampoline_kernelINS0_14default_configENS1_36segmented_radix_sort_config_selectorIhlEEZNS1_25segmented_radix_sort_implIS3_Lb1EPKhPhPKlPlN2at6native12_GLOBAL__N_18offset_tEEE10hipError_tPvRmT1_PNSt15iterator_traitsISK_E10value_typeET2_T3_PNSL_ISQ_E10value_typeET4_jRbjT5_SW_jjP12ihipStream_tbEUlT_E0_NS1_11comp_targetILNS1_3genE10ELNS1_11target_archE1201ELNS1_3gpuE5ELNS1_3repE0EEENS1_60segmented_radix_sort_warp_sort_medium_config_static_selectorELNS0_4arch9wavefront6targetE1EEEvSK_.numbered_sgpr, 0
	.set _ZN7rocprim17ROCPRIM_400000_NS6detail17trampoline_kernelINS0_14default_configENS1_36segmented_radix_sort_config_selectorIhlEEZNS1_25segmented_radix_sort_implIS3_Lb1EPKhPhPKlPlN2at6native12_GLOBAL__N_18offset_tEEE10hipError_tPvRmT1_PNSt15iterator_traitsISK_E10value_typeET2_T3_PNSL_ISQ_E10value_typeET4_jRbjT5_SW_jjP12ihipStream_tbEUlT_E0_NS1_11comp_targetILNS1_3genE10ELNS1_11target_archE1201ELNS1_3gpuE5ELNS1_3repE0EEENS1_60segmented_radix_sort_warp_sort_medium_config_static_selectorELNS0_4arch9wavefront6targetE1EEEvSK_.num_named_barrier, 0
	.set _ZN7rocprim17ROCPRIM_400000_NS6detail17trampoline_kernelINS0_14default_configENS1_36segmented_radix_sort_config_selectorIhlEEZNS1_25segmented_radix_sort_implIS3_Lb1EPKhPhPKlPlN2at6native12_GLOBAL__N_18offset_tEEE10hipError_tPvRmT1_PNSt15iterator_traitsISK_E10value_typeET2_T3_PNSL_ISQ_E10value_typeET4_jRbjT5_SW_jjP12ihipStream_tbEUlT_E0_NS1_11comp_targetILNS1_3genE10ELNS1_11target_archE1201ELNS1_3gpuE5ELNS1_3repE0EEENS1_60segmented_radix_sort_warp_sort_medium_config_static_selectorELNS0_4arch9wavefront6targetE1EEEvSK_.private_seg_size, 0
	.set _ZN7rocprim17ROCPRIM_400000_NS6detail17trampoline_kernelINS0_14default_configENS1_36segmented_radix_sort_config_selectorIhlEEZNS1_25segmented_radix_sort_implIS3_Lb1EPKhPhPKlPlN2at6native12_GLOBAL__N_18offset_tEEE10hipError_tPvRmT1_PNSt15iterator_traitsISK_E10value_typeET2_T3_PNSL_ISQ_E10value_typeET4_jRbjT5_SW_jjP12ihipStream_tbEUlT_E0_NS1_11comp_targetILNS1_3genE10ELNS1_11target_archE1201ELNS1_3gpuE5ELNS1_3repE0EEENS1_60segmented_radix_sort_warp_sort_medium_config_static_selectorELNS0_4arch9wavefront6targetE1EEEvSK_.uses_vcc, 0
	.set _ZN7rocprim17ROCPRIM_400000_NS6detail17trampoline_kernelINS0_14default_configENS1_36segmented_radix_sort_config_selectorIhlEEZNS1_25segmented_radix_sort_implIS3_Lb1EPKhPhPKlPlN2at6native12_GLOBAL__N_18offset_tEEE10hipError_tPvRmT1_PNSt15iterator_traitsISK_E10value_typeET2_T3_PNSL_ISQ_E10value_typeET4_jRbjT5_SW_jjP12ihipStream_tbEUlT_E0_NS1_11comp_targetILNS1_3genE10ELNS1_11target_archE1201ELNS1_3gpuE5ELNS1_3repE0EEENS1_60segmented_radix_sort_warp_sort_medium_config_static_selectorELNS0_4arch9wavefront6targetE1EEEvSK_.uses_flat_scratch, 0
	.set _ZN7rocprim17ROCPRIM_400000_NS6detail17trampoline_kernelINS0_14default_configENS1_36segmented_radix_sort_config_selectorIhlEEZNS1_25segmented_radix_sort_implIS3_Lb1EPKhPhPKlPlN2at6native12_GLOBAL__N_18offset_tEEE10hipError_tPvRmT1_PNSt15iterator_traitsISK_E10value_typeET2_T3_PNSL_ISQ_E10value_typeET4_jRbjT5_SW_jjP12ihipStream_tbEUlT_E0_NS1_11comp_targetILNS1_3genE10ELNS1_11target_archE1201ELNS1_3gpuE5ELNS1_3repE0EEENS1_60segmented_radix_sort_warp_sort_medium_config_static_selectorELNS0_4arch9wavefront6targetE1EEEvSK_.has_dyn_sized_stack, 0
	.set _ZN7rocprim17ROCPRIM_400000_NS6detail17trampoline_kernelINS0_14default_configENS1_36segmented_radix_sort_config_selectorIhlEEZNS1_25segmented_radix_sort_implIS3_Lb1EPKhPhPKlPlN2at6native12_GLOBAL__N_18offset_tEEE10hipError_tPvRmT1_PNSt15iterator_traitsISK_E10value_typeET2_T3_PNSL_ISQ_E10value_typeET4_jRbjT5_SW_jjP12ihipStream_tbEUlT_E0_NS1_11comp_targetILNS1_3genE10ELNS1_11target_archE1201ELNS1_3gpuE5ELNS1_3repE0EEENS1_60segmented_radix_sort_warp_sort_medium_config_static_selectorELNS0_4arch9wavefront6targetE1EEEvSK_.has_recursion, 0
	.set _ZN7rocprim17ROCPRIM_400000_NS6detail17trampoline_kernelINS0_14default_configENS1_36segmented_radix_sort_config_selectorIhlEEZNS1_25segmented_radix_sort_implIS3_Lb1EPKhPhPKlPlN2at6native12_GLOBAL__N_18offset_tEEE10hipError_tPvRmT1_PNSt15iterator_traitsISK_E10value_typeET2_T3_PNSL_ISQ_E10value_typeET4_jRbjT5_SW_jjP12ihipStream_tbEUlT_E0_NS1_11comp_targetILNS1_3genE10ELNS1_11target_archE1201ELNS1_3gpuE5ELNS1_3repE0EEENS1_60segmented_radix_sort_warp_sort_medium_config_static_selectorELNS0_4arch9wavefront6targetE1EEEvSK_.has_indirect_call, 0
	.section	.AMDGPU.csdata,"",@progbits
; Kernel info:
; codeLenInByte = 0
; TotalNumSgprs: 4
; NumVgprs: 0
; ScratchSize: 0
; MemoryBound: 0
; FloatMode: 240
; IeeeMode: 1
; LDSByteSize: 0 bytes/workgroup (compile time only)
; SGPRBlocks: 0
; VGPRBlocks: 0
; NumSGPRsForWavesPerEU: 4
; NumVGPRsForWavesPerEU: 1
; Occupancy: 10
; WaveLimiterHint : 0
; COMPUTE_PGM_RSRC2:SCRATCH_EN: 0
; COMPUTE_PGM_RSRC2:USER_SGPR: 6
; COMPUTE_PGM_RSRC2:TRAP_HANDLER: 0
; COMPUTE_PGM_RSRC2:TGID_X_EN: 1
; COMPUTE_PGM_RSRC2:TGID_Y_EN: 0
; COMPUTE_PGM_RSRC2:TGID_Z_EN: 0
; COMPUTE_PGM_RSRC2:TIDIG_COMP_CNT: 0
	.section	.text._ZN7rocprim17ROCPRIM_400000_NS6detail17trampoline_kernelINS0_14default_configENS1_36segmented_radix_sort_config_selectorIhlEEZNS1_25segmented_radix_sort_implIS3_Lb1EPKhPhPKlPlN2at6native12_GLOBAL__N_18offset_tEEE10hipError_tPvRmT1_PNSt15iterator_traitsISK_E10value_typeET2_T3_PNSL_ISQ_E10value_typeET4_jRbjT5_SW_jjP12ihipStream_tbEUlT_E0_NS1_11comp_targetILNS1_3genE10ELNS1_11target_archE1200ELNS1_3gpuE4ELNS1_3repE0EEENS1_60segmented_radix_sort_warp_sort_medium_config_static_selectorELNS0_4arch9wavefront6targetE1EEEvSK_,"axG",@progbits,_ZN7rocprim17ROCPRIM_400000_NS6detail17trampoline_kernelINS0_14default_configENS1_36segmented_radix_sort_config_selectorIhlEEZNS1_25segmented_radix_sort_implIS3_Lb1EPKhPhPKlPlN2at6native12_GLOBAL__N_18offset_tEEE10hipError_tPvRmT1_PNSt15iterator_traitsISK_E10value_typeET2_T3_PNSL_ISQ_E10value_typeET4_jRbjT5_SW_jjP12ihipStream_tbEUlT_E0_NS1_11comp_targetILNS1_3genE10ELNS1_11target_archE1200ELNS1_3gpuE4ELNS1_3repE0EEENS1_60segmented_radix_sort_warp_sort_medium_config_static_selectorELNS0_4arch9wavefront6targetE1EEEvSK_,comdat
	.globl	_ZN7rocprim17ROCPRIM_400000_NS6detail17trampoline_kernelINS0_14default_configENS1_36segmented_radix_sort_config_selectorIhlEEZNS1_25segmented_radix_sort_implIS3_Lb1EPKhPhPKlPlN2at6native12_GLOBAL__N_18offset_tEEE10hipError_tPvRmT1_PNSt15iterator_traitsISK_E10value_typeET2_T3_PNSL_ISQ_E10value_typeET4_jRbjT5_SW_jjP12ihipStream_tbEUlT_E0_NS1_11comp_targetILNS1_3genE10ELNS1_11target_archE1200ELNS1_3gpuE4ELNS1_3repE0EEENS1_60segmented_radix_sort_warp_sort_medium_config_static_selectorELNS0_4arch9wavefront6targetE1EEEvSK_ ; -- Begin function _ZN7rocprim17ROCPRIM_400000_NS6detail17trampoline_kernelINS0_14default_configENS1_36segmented_radix_sort_config_selectorIhlEEZNS1_25segmented_radix_sort_implIS3_Lb1EPKhPhPKlPlN2at6native12_GLOBAL__N_18offset_tEEE10hipError_tPvRmT1_PNSt15iterator_traitsISK_E10value_typeET2_T3_PNSL_ISQ_E10value_typeET4_jRbjT5_SW_jjP12ihipStream_tbEUlT_E0_NS1_11comp_targetILNS1_3genE10ELNS1_11target_archE1200ELNS1_3gpuE4ELNS1_3repE0EEENS1_60segmented_radix_sort_warp_sort_medium_config_static_selectorELNS0_4arch9wavefront6targetE1EEEvSK_
	.p2align	8
	.type	_ZN7rocprim17ROCPRIM_400000_NS6detail17trampoline_kernelINS0_14default_configENS1_36segmented_radix_sort_config_selectorIhlEEZNS1_25segmented_radix_sort_implIS3_Lb1EPKhPhPKlPlN2at6native12_GLOBAL__N_18offset_tEEE10hipError_tPvRmT1_PNSt15iterator_traitsISK_E10value_typeET2_T3_PNSL_ISQ_E10value_typeET4_jRbjT5_SW_jjP12ihipStream_tbEUlT_E0_NS1_11comp_targetILNS1_3genE10ELNS1_11target_archE1200ELNS1_3gpuE4ELNS1_3repE0EEENS1_60segmented_radix_sort_warp_sort_medium_config_static_selectorELNS0_4arch9wavefront6targetE1EEEvSK_,@function
_ZN7rocprim17ROCPRIM_400000_NS6detail17trampoline_kernelINS0_14default_configENS1_36segmented_radix_sort_config_selectorIhlEEZNS1_25segmented_radix_sort_implIS3_Lb1EPKhPhPKlPlN2at6native12_GLOBAL__N_18offset_tEEE10hipError_tPvRmT1_PNSt15iterator_traitsISK_E10value_typeET2_T3_PNSL_ISQ_E10value_typeET4_jRbjT5_SW_jjP12ihipStream_tbEUlT_E0_NS1_11comp_targetILNS1_3genE10ELNS1_11target_archE1200ELNS1_3gpuE4ELNS1_3repE0EEENS1_60segmented_radix_sort_warp_sort_medium_config_static_selectorELNS0_4arch9wavefront6targetE1EEEvSK_: ; @_ZN7rocprim17ROCPRIM_400000_NS6detail17trampoline_kernelINS0_14default_configENS1_36segmented_radix_sort_config_selectorIhlEEZNS1_25segmented_radix_sort_implIS3_Lb1EPKhPhPKlPlN2at6native12_GLOBAL__N_18offset_tEEE10hipError_tPvRmT1_PNSt15iterator_traitsISK_E10value_typeET2_T3_PNSL_ISQ_E10value_typeET4_jRbjT5_SW_jjP12ihipStream_tbEUlT_E0_NS1_11comp_targetILNS1_3genE10ELNS1_11target_archE1200ELNS1_3gpuE4ELNS1_3repE0EEENS1_60segmented_radix_sort_warp_sort_medium_config_static_selectorELNS0_4arch9wavefront6targetE1EEEvSK_
; %bb.0:
	.section	.rodata,"a",@progbits
	.p2align	6, 0x0
	.amdhsa_kernel _ZN7rocprim17ROCPRIM_400000_NS6detail17trampoline_kernelINS0_14default_configENS1_36segmented_radix_sort_config_selectorIhlEEZNS1_25segmented_radix_sort_implIS3_Lb1EPKhPhPKlPlN2at6native12_GLOBAL__N_18offset_tEEE10hipError_tPvRmT1_PNSt15iterator_traitsISK_E10value_typeET2_T3_PNSL_ISQ_E10value_typeET4_jRbjT5_SW_jjP12ihipStream_tbEUlT_E0_NS1_11comp_targetILNS1_3genE10ELNS1_11target_archE1200ELNS1_3gpuE4ELNS1_3repE0EEENS1_60segmented_radix_sort_warp_sort_medium_config_static_selectorELNS0_4arch9wavefront6targetE1EEEvSK_
		.amdhsa_group_segment_fixed_size 0
		.amdhsa_private_segment_fixed_size 0
		.amdhsa_kernarg_size 88
		.amdhsa_user_sgpr_count 6
		.amdhsa_user_sgpr_private_segment_buffer 1
		.amdhsa_user_sgpr_dispatch_ptr 0
		.amdhsa_user_sgpr_queue_ptr 0
		.amdhsa_user_sgpr_kernarg_segment_ptr 1
		.amdhsa_user_sgpr_dispatch_id 0
		.amdhsa_user_sgpr_flat_scratch_init 0
		.amdhsa_user_sgpr_private_segment_size 0
		.amdhsa_uses_dynamic_stack 0
		.amdhsa_system_sgpr_private_segment_wavefront_offset 0
		.amdhsa_system_sgpr_workgroup_id_x 1
		.amdhsa_system_sgpr_workgroup_id_y 0
		.amdhsa_system_sgpr_workgroup_id_z 0
		.amdhsa_system_sgpr_workgroup_info 0
		.amdhsa_system_vgpr_workitem_id 0
		.amdhsa_next_free_vgpr 1
		.amdhsa_next_free_sgpr 0
		.amdhsa_reserve_vcc 0
		.amdhsa_reserve_flat_scratch 0
		.amdhsa_float_round_mode_32 0
		.amdhsa_float_round_mode_16_64 0
		.amdhsa_float_denorm_mode_32 3
		.amdhsa_float_denorm_mode_16_64 3
		.amdhsa_dx10_clamp 1
		.amdhsa_ieee_mode 1
		.amdhsa_fp16_overflow 0
		.amdhsa_exception_fp_ieee_invalid_op 0
		.amdhsa_exception_fp_denorm_src 0
		.amdhsa_exception_fp_ieee_div_zero 0
		.amdhsa_exception_fp_ieee_overflow 0
		.amdhsa_exception_fp_ieee_underflow 0
		.amdhsa_exception_fp_ieee_inexact 0
		.amdhsa_exception_int_div_zero 0
	.end_amdhsa_kernel
	.section	.text._ZN7rocprim17ROCPRIM_400000_NS6detail17trampoline_kernelINS0_14default_configENS1_36segmented_radix_sort_config_selectorIhlEEZNS1_25segmented_radix_sort_implIS3_Lb1EPKhPhPKlPlN2at6native12_GLOBAL__N_18offset_tEEE10hipError_tPvRmT1_PNSt15iterator_traitsISK_E10value_typeET2_T3_PNSL_ISQ_E10value_typeET4_jRbjT5_SW_jjP12ihipStream_tbEUlT_E0_NS1_11comp_targetILNS1_3genE10ELNS1_11target_archE1200ELNS1_3gpuE4ELNS1_3repE0EEENS1_60segmented_radix_sort_warp_sort_medium_config_static_selectorELNS0_4arch9wavefront6targetE1EEEvSK_,"axG",@progbits,_ZN7rocprim17ROCPRIM_400000_NS6detail17trampoline_kernelINS0_14default_configENS1_36segmented_radix_sort_config_selectorIhlEEZNS1_25segmented_radix_sort_implIS3_Lb1EPKhPhPKlPlN2at6native12_GLOBAL__N_18offset_tEEE10hipError_tPvRmT1_PNSt15iterator_traitsISK_E10value_typeET2_T3_PNSL_ISQ_E10value_typeET4_jRbjT5_SW_jjP12ihipStream_tbEUlT_E0_NS1_11comp_targetILNS1_3genE10ELNS1_11target_archE1200ELNS1_3gpuE4ELNS1_3repE0EEENS1_60segmented_radix_sort_warp_sort_medium_config_static_selectorELNS0_4arch9wavefront6targetE1EEEvSK_,comdat
.Lfunc_end100:
	.size	_ZN7rocprim17ROCPRIM_400000_NS6detail17trampoline_kernelINS0_14default_configENS1_36segmented_radix_sort_config_selectorIhlEEZNS1_25segmented_radix_sort_implIS3_Lb1EPKhPhPKlPlN2at6native12_GLOBAL__N_18offset_tEEE10hipError_tPvRmT1_PNSt15iterator_traitsISK_E10value_typeET2_T3_PNSL_ISQ_E10value_typeET4_jRbjT5_SW_jjP12ihipStream_tbEUlT_E0_NS1_11comp_targetILNS1_3genE10ELNS1_11target_archE1200ELNS1_3gpuE4ELNS1_3repE0EEENS1_60segmented_radix_sort_warp_sort_medium_config_static_selectorELNS0_4arch9wavefront6targetE1EEEvSK_, .Lfunc_end100-_ZN7rocprim17ROCPRIM_400000_NS6detail17trampoline_kernelINS0_14default_configENS1_36segmented_radix_sort_config_selectorIhlEEZNS1_25segmented_radix_sort_implIS3_Lb1EPKhPhPKlPlN2at6native12_GLOBAL__N_18offset_tEEE10hipError_tPvRmT1_PNSt15iterator_traitsISK_E10value_typeET2_T3_PNSL_ISQ_E10value_typeET4_jRbjT5_SW_jjP12ihipStream_tbEUlT_E0_NS1_11comp_targetILNS1_3genE10ELNS1_11target_archE1200ELNS1_3gpuE4ELNS1_3repE0EEENS1_60segmented_radix_sort_warp_sort_medium_config_static_selectorELNS0_4arch9wavefront6targetE1EEEvSK_
                                        ; -- End function
	.set _ZN7rocprim17ROCPRIM_400000_NS6detail17trampoline_kernelINS0_14default_configENS1_36segmented_radix_sort_config_selectorIhlEEZNS1_25segmented_radix_sort_implIS3_Lb1EPKhPhPKlPlN2at6native12_GLOBAL__N_18offset_tEEE10hipError_tPvRmT1_PNSt15iterator_traitsISK_E10value_typeET2_T3_PNSL_ISQ_E10value_typeET4_jRbjT5_SW_jjP12ihipStream_tbEUlT_E0_NS1_11comp_targetILNS1_3genE10ELNS1_11target_archE1200ELNS1_3gpuE4ELNS1_3repE0EEENS1_60segmented_radix_sort_warp_sort_medium_config_static_selectorELNS0_4arch9wavefront6targetE1EEEvSK_.num_vgpr, 0
	.set _ZN7rocprim17ROCPRIM_400000_NS6detail17trampoline_kernelINS0_14default_configENS1_36segmented_radix_sort_config_selectorIhlEEZNS1_25segmented_radix_sort_implIS3_Lb1EPKhPhPKlPlN2at6native12_GLOBAL__N_18offset_tEEE10hipError_tPvRmT1_PNSt15iterator_traitsISK_E10value_typeET2_T3_PNSL_ISQ_E10value_typeET4_jRbjT5_SW_jjP12ihipStream_tbEUlT_E0_NS1_11comp_targetILNS1_3genE10ELNS1_11target_archE1200ELNS1_3gpuE4ELNS1_3repE0EEENS1_60segmented_radix_sort_warp_sort_medium_config_static_selectorELNS0_4arch9wavefront6targetE1EEEvSK_.num_agpr, 0
	.set _ZN7rocprim17ROCPRIM_400000_NS6detail17trampoline_kernelINS0_14default_configENS1_36segmented_radix_sort_config_selectorIhlEEZNS1_25segmented_radix_sort_implIS3_Lb1EPKhPhPKlPlN2at6native12_GLOBAL__N_18offset_tEEE10hipError_tPvRmT1_PNSt15iterator_traitsISK_E10value_typeET2_T3_PNSL_ISQ_E10value_typeET4_jRbjT5_SW_jjP12ihipStream_tbEUlT_E0_NS1_11comp_targetILNS1_3genE10ELNS1_11target_archE1200ELNS1_3gpuE4ELNS1_3repE0EEENS1_60segmented_radix_sort_warp_sort_medium_config_static_selectorELNS0_4arch9wavefront6targetE1EEEvSK_.numbered_sgpr, 0
	.set _ZN7rocprim17ROCPRIM_400000_NS6detail17trampoline_kernelINS0_14default_configENS1_36segmented_radix_sort_config_selectorIhlEEZNS1_25segmented_radix_sort_implIS3_Lb1EPKhPhPKlPlN2at6native12_GLOBAL__N_18offset_tEEE10hipError_tPvRmT1_PNSt15iterator_traitsISK_E10value_typeET2_T3_PNSL_ISQ_E10value_typeET4_jRbjT5_SW_jjP12ihipStream_tbEUlT_E0_NS1_11comp_targetILNS1_3genE10ELNS1_11target_archE1200ELNS1_3gpuE4ELNS1_3repE0EEENS1_60segmented_radix_sort_warp_sort_medium_config_static_selectorELNS0_4arch9wavefront6targetE1EEEvSK_.num_named_barrier, 0
	.set _ZN7rocprim17ROCPRIM_400000_NS6detail17trampoline_kernelINS0_14default_configENS1_36segmented_radix_sort_config_selectorIhlEEZNS1_25segmented_radix_sort_implIS3_Lb1EPKhPhPKlPlN2at6native12_GLOBAL__N_18offset_tEEE10hipError_tPvRmT1_PNSt15iterator_traitsISK_E10value_typeET2_T3_PNSL_ISQ_E10value_typeET4_jRbjT5_SW_jjP12ihipStream_tbEUlT_E0_NS1_11comp_targetILNS1_3genE10ELNS1_11target_archE1200ELNS1_3gpuE4ELNS1_3repE0EEENS1_60segmented_radix_sort_warp_sort_medium_config_static_selectorELNS0_4arch9wavefront6targetE1EEEvSK_.private_seg_size, 0
	.set _ZN7rocprim17ROCPRIM_400000_NS6detail17trampoline_kernelINS0_14default_configENS1_36segmented_radix_sort_config_selectorIhlEEZNS1_25segmented_radix_sort_implIS3_Lb1EPKhPhPKlPlN2at6native12_GLOBAL__N_18offset_tEEE10hipError_tPvRmT1_PNSt15iterator_traitsISK_E10value_typeET2_T3_PNSL_ISQ_E10value_typeET4_jRbjT5_SW_jjP12ihipStream_tbEUlT_E0_NS1_11comp_targetILNS1_3genE10ELNS1_11target_archE1200ELNS1_3gpuE4ELNS1_3repE0EEENS1_60segmented_radix_sort_warp_sort_medium_config_static_selectorELNS0_4arch9wavefront6targetE1EEEvSK_.uses_vcc, 0
	.set _ZN7rocprim17ROCPRIM_400000_NS6detail17trampoline_kernelINS0_14default_configENS1_36segmented_radix_sort_config_selectorIhlEEZNS1_25segmented_radix_sort_implIS3_Lb1EPKhPhPKlPlN2at6native12_GLOBAL__N_18offset_tEEE10hipError_tPvRmT1_PNSt15iterator_traitsISK_E10value_typeET2_T3_PNSL_ISQ_E10value_typeET4_jRbjT5_SW_jjP12ihipStream_tbEUlT_E0_NS1_11comp_targetILNS1_3genE10ELNS1_11target_archE1200ELNS1_3gpuE4ELNS1_3repE0EEENS1_60segmented_radix_sort_warp_sort_medium_config_static_selectorELNS0_4arch9wavefront6targetE1EEEvSK_.uses_flat_scratch, 0
	.set _ZN7rocprim17ROCPRIM_400000_NS6detail17trampoline_kernelINS0_14default_configENS1_36segmented_radix_sort_config_selectorIhlEEZNS1_25segmented_radix_sort_implIS3_Lb1EPKhPhPKlPlN2at6native12_GLOBAL__N_18offset_tEEE10hipError_tPvRmT1_PNSt15iterator_traitsISK_E10value_typeET2_T3_PNSL_ISQ_E10value_typeET4_jRbjT5_SW_jjP12ihipStream_tbEUlT_E0_NS1_11comp_targetILNS1_3genE10ELNS1_11target_archE1200ELNS1_3gpuE4ELNS1_3repE0EEENS1_60segmented_radix_sort_warp_sort_medium_config_static_selectorELNS0_4arch9wavefront6targetE1EEEvSK_.has_dyn_sized_stack, 0
	.set _ZN7rocprim17ROCPRIM_400000_NS6detail17trampoline_kernelINS0_14default_configENS1_36segmented_radix_sort_config_selectorIhlEEZNS1_25segmented_radix_sort_implIS3_Lb1EPKhPhPKlPlN2at6native12_GLOBAL__N_18offset_tEEE10hipError_tPvRmT1_PNSt15iterator_traitsISK_E10value_typeET2_T3_PNSL_ISQ_E10value_typeET4_jRbjT5_SW_jjP12ihipStream_tbEUlT_E0_NS1_11comp_targetILNS1_3genE10ELNS1_11target_archE1200ELNS1_3gpuE4ELNS1_3repE0EEENS1_60segmented_radix_sort_warp_sort_medium_config_static_selectorELNS0_4arch9wavefront6targetE1EEEvSK_.has_recursion, 0
	.set _ZN7rocprim17ROCPRIM_400000_NS6detail17trampoline_kernelINS0_14default_configENS1_36segmented_radix_sort_config_selectorIhlEEZNS1_25segmented_radix_sort_implIS3_Lb1EPKhPhPKlPlN2at6native12_GLOBAL__N_18offset_tEEE10hipError_tPvRmT1_PNSt15iterator_traitsISK_E10value_typeET2_T3_PNSL_ISQ_E10value_typeET4_jRbjT5_SW_jjP12ihipStream_tbEUlT_E0_NS1_11comp_targetILNS1_3genE10ELNS1_11target_archE1200ELNS1_3gpuE4ELNS1_3repE0EEENS1_60segmented_radix_sort_warp_sort_medium_config_static_selectorELNS0_4arch9wavefront6targetE1EEEvSK_.has_indirect_call, 0
	.section	.AMDGPU.csdata,"",@progbits
; Kernel info:
; codeLenInByte = 0
; TotalNumSgprs: 4
; NumVgprs: 0
; ScratchSize: 0
; MemoryBound: 0
; FloatMode: 240
; IeeeMode: 1
; LDSByteSize: 0 bytes/workgroup (compile time only)
; SGPRBlocks: 0
; VGPRBlocks: 0
; NumSGPRsForWavesPerEU: 4
; NumVGPRsForWavesPerEU: 1
; Occupancy: 10
; WaveLimiterHint : 0
; COMPUTE_PGM_RSRC2:SCRATCH_EN: 0
; COMPUTE_PGM_RSRC2:USER_SGPR: 6
; COMPUTE_PGM_RSRC2:TRAP_HANDLER: 0
; COMPUTE_PGM_RSRC2:TGID_X_EN: 1
; COMPUTE_PGM_RSRC2:TGID_Y_EN: 0
; COMPUTE_PGM_RSRC2:TGID_Z_EN: 0
; COMPUTE_PGM_RSRC2:TIDIG_COMP_CNT: 0
	.section	.text._ZN7rocprim17ROCPRIM_400000_NS6detail17trampoline_kernelINS0_14default_configENS1_36segmented_radix_sort_config_selectorIhlEEZNS1_25segmented_radix_sort_implIS3_Lb1EPKhPhPKlPlN2at6native12_GLOBAL__N_18offset_tEEE10hipError_tPvRmT1_PNSt15iterator_traitsISK_E10value_typeET2_T3_PNSL_ISQ_E10value_typeET4_jRbjT5_SW_jjP12ihipStream_tbEUlT_E0_NS1_11comp_targetILNS1_3genE9ELNS1_11target_archE1100ELNS1_3gpuE3ELNS1_3repE0EEENS1_60segmented_radix_sort_warp_sort_medium_config_static_selectorELNS0_4arch9wavefront6targetE1EEEvSK_,"axG",@progbits,_ZN7rocprim17ROCPRIM_400000_NS6detail17trampoline_kernelINS0_14default_configENS1_36segmented_radix_sort_config_selectorIhlEEZNS1_25segmented_radix_sort_implIS3_Lb1EPKhPhPKlPlN2at6native12_GLOBAL__N_18offset_tEEE10hipError_tPvRmT1_PNSt15iterator_traitsISK_E10value_typeET2_T3_PNSL_ISQ_E10value_typeET4_jRbjT5_SW_jjP12ihipStream_tbEUlT_E0_NS1_11comp_targetILNS1_3genE9ELNS1_11target_archE1100ELNS1_3gpuE3ELNS1_3repE0EEENS1_60segmented_radix_sort_warp_sort_medium_config_static_selectorELNS0_4arch9wavefront6targetE1EEEvSK_,comdat
	.globl	_ZN7rocprim17ROCPRIM_400000_NS6detail17trampoline_kernelINS0_14default_configENS1_36segmented_radix_sort_config_selectorIhlEEZNS1_25segmented_radix_sort_implIS3_Lb1EPKhPhPKlPlN2at6native12_GLOBAL__N_18offset_tEEE10hipError_tPvRmT1_PNSt15iterator_traitsISK_E10value_typeET2_T3_PNSL_ISQ_E10value_typeET4_jRbjT5_SW_jjP12ihipStream_tbEUlT_E0_NS1_11comp_targetILNS1_3genE9ELNS1_11target_archE1100ELNS1_3gpuE3ELNS1_3repE0EEENS1_60segmented_radix_sort_warp_sort_medium_config_static_selectorELNS0_4arch9wavefront6targetE1EEEvSK_ ; -- Begin function _ZN7rocprim17ROCPRIM_400000_NS6detail17trampoline_kernelINS0_14default_configENS1_36segmented_radix_sort_config_selectorIhlEEZNS1_25segmented_radix_sort_implIS3_Lb1EPKhPhPKlPlN2at6native12_GLOBAL__N_18offset_tEEE10hipError_tPvRmT1_PNSt15iterator_traitsISK_E10value_typeET2_T3_PNSL_ISQ_E10value_typeET4_jRbjT5_SW_jjP12ihipStream_tbEUlT_E0_NS1_11comp_targetILNS1_3genE9ELNS1_11target_archE1100ELNS1_3gpuE3ELNS1_3repE0EEENS1_60segmented_radix_sort_warp_sort_medium_config_static_selectorELNS0_4arch9wavefront6targetE1EEEvSK_
	.p2align	8
	.type	_ZN7rocprim17ROCPRIM_400000_NS6detail17trampoline_kernelINS0_14default_configENS1_36segmented_radix_sort_config_selectorIhlEEZNS1_25segmented_radix_sort_implIS3_Lb1EPKhPhPKlPlN2at6native12_GLOBAL__N_18offset_tEEE10hipError_tPvRmT1_PNSt15iterator_traitsISK_E10value_typeET2_T3_PNSL_ISQ_E10value_typeET4_jRbjT5_SW_jjP12ihipStream_tbEUlT_E0_NS1_11comp_targetILNS1_3genE9ELNS1_11target_archE1100ELNS1_3gpuE3ELNS1_3repE0EEENS1_60segmented_radix_sort_warp_sort_medium_config_static_selectorELNS0_4arch9wavefront6targetE1EEEvSK_,@function
_ZN7rocprim17ROCPRIM_400000_NS6detail17trampoline_kernelINS0_14default_configENS1_36segmented_radix_sort_config_selectorIhlEEZNS1_25segmented_radix_sort_implIS3_Lb1EPKhPhPKlPlN2at6native12_GLOBAL__N_18offset_tEEE10hipError_tPvRmT1_PNSt15iterator_traitsISK_E10value_typeET2_T3_PNSL_ISQ_E10value_typeET4_jRbjT5_SW_jjP12ihipStream_tbEUlT_E0_NS1_11comp_targetILNS1_3genE9ELNS1_11target_archE1100ELNS1_3gpuE3ELNS1_3repE0EEENS1_60segmented_radix_sort_warp_sort_medium_config_static_selectorELNS0_4arch9wavefront6targetE1EEEvSK_: ; @_ZN7rocprim17ROCPRIM_400000_NS6detail17trampoline_kernelINS0_14default_configENS1_36segmented_radix_sort_config_selectorIhlEEZNS1_25segmented_radix_sort_implIS3_Lb1EPKhPhPKlPlN2at6native12_GLOBAL__N_18offset_tEEE10hipError_tPvRmT1_PNSt15iterator_traitsISK_E10value_typeET2_T3_PNSL_ISQ_E10value_typeET4_jRbjT5_SW_jjP12ihipStream_tbEUlT_E0_NS1_11comp_targetILNS1_3genE9ELNS1_11target_archE1100ELNS1_3gpuE3ELNS1_3repE0EEENS1_60segmented_radix_sort_warp_sort_medium_config_static_selectorELNS0_4arch9wavefront6targetE1EEEvSK_
; %bb.0:
	.section	.rodata,"a",@progbits
	.p2align	6, 0x0
	.amdhsa_kernel _ZN7rocprim17ROCPRIM_400000_NS6detail17trampoline_kernelINS0_14default_configENS1_36segmented_radix_sort_config_selectorIhlEEZNS1_25segmented_radix_sort_implIS3_Lb1EPKhPhPKlPlN2at6native12_GLOBAL__N_18offset_tEEE10hipError_tPvRmT1_PNSt15iterator_traitsISK_E10value_typeET2_T3_PNSL_ISQ_E10value_typeET4_jRbjT5_SW_jjP12ihipStream_tbEUlT_E0_NS1_11comp_targetILNS1_3genE9ELNS1_11target_archE1100ELNS1_3gpuE3ELNS1_3repE0EEENS1_60segmented_radix_sort_warp_sort_medium_config_static_selectorELNS0_4arch9wavefront6targetE1EEEvSK_
		.amdhsa_group_segment_fixed_size 0
		.amdhsa_private_segment_fixed_size 0
		.amdhsa_kernarg_size 88
		.amdhsa_user_sgpr_count 6
		.amdhsa_user_sgpr_private_segment_buffer 1
		.amdhsa_user_sgpr_dispatch_ptr 0
		.amdhsa_user_sgpr_queue_ptr 0
		.amdhsa_user_sgpr_kernarg_segment_ptr 1
		.amdhsa_user_sgpr_dispatch_id 0
		.amdhsa_user_sgpr_flat_scratch_init 0
		.amdhsa_user_sgpr_private_segment_size 0
		.amdhsa_uses_dynamic_stack 0
		.amdhsa_system_sgpr_private_segment_wavefront_offset 0
		.amdhsa_system_sgpr_workgroup_id_x 1
		.amdhsa_system_sgpr_workgroup_id_y 0
		.amdhsa_system_sgpr_workgroup_id_z 0
		.amdhsa_system_sgpr_workgroup_info 0
		.amdhsa_system_vgpr_workitem_id 0
		.amdhsa_next_free_vgpr 1
		.amdhsa_next_free_sgpr 0
		.amdhsa_reserve_vcc 0
		.amdhsa_reserve_flat_scratch 0
		.amdhsa_float_round_mode_32 0
		.amdhsa_float_round_mode_16_64 0
		.amdhsa_float_denorm_mode_32 3
		.amdhsa_float_denorm_mode_16_64 3
		.amdhsa_dx10_clamp 1
		.amdhsa_ieee_mode 1
		.amdhsa_fp16_overflow 0
		.amdhsa_exception_fp_ieee_invalid_op 0
		.amdhsa_exception_fp_denorm_src 0
		.amdhsa_exception_fp_ieee_div_zero 0
		.amdhsa_exception_fp_ieee_overflow 0
		.amdhsa_exception_fp_ieee_underflow 0
		.amdhsa_exception_fp_ieee_inexact 0
		.amdhsa_exception_int_div_zero 0
	.end_amdhsa_kernel
	.section	.text._ZN7rocprim17ROCPRIM_400000_NS6detail17trampoline_kernelINS0_14default_configENS1_36segmented_radix_sort_config_selectorIhlEEZNS1_25segmented_radix_sort_implIS3_Lb1EPKhPhPKlPlN2at6native12_GLOBAL__N_18offset_tEEE10hipError_tPvRmT1_PNSt15iterator_traitsISK_E10value_typeET2_T3_PNSL_ISQ_E10value_typeET4_jRbjT5_SW_jjP12ihipStream_tbEUlT_E0_NS1_11comp_targetILNS1_3genE9ELNS1_11target_archE1100ELNS1_3gpuE3ELNS1_3repE0EEENS1_60segmented_radix_sort_warp_sort_medium_config_static_selectorELNS0_4arch9wavefront6targetE1EEEvSK_,"axG",@progbits,_ZN7rocprim17ROCPRIM_400000_NS6detail17trampoline_kernelINS0_14default_configENS1_36segmented_radix_sort_config_selectorIhlEEZNS1_25segmented_radix_sort_implIS3_Lb1EPKhPhPKlPlN2at6native12_GLOBAL__N_18offset_tEEE10hipError_tPvRmT1_PNSt15iterator_traitsISK_E10value_typeET2_T3_PNSL_ISQ_E10value_typeET4_jRbjT5_SW_jjP12ihipStream_tbEUlT_E0_NS1_11comp_targetILNS1_3genE9ELNS1_11target_archE1100ELNS1_3gpuE3ELNS1_3repE0EEENS1_60segmented_radix_sort_warp_sort_medium_config_static_selectorELNS0_4arch9wavefront6targetE1EEEvSK_,comdat
.Lfunc_end101:
	.size	_ZN7rocprim17ROCPRIM_400000_NS6detail17trampoline_kernelINS0_14default_configENS1_36segmented_radix_sort_config_selectorIhlEEZNS1_25segmented_radix_sort_implIS3_Lb1EPKhPhPKlPlN2at6native12_GLOBAL__N_18offset_tEEE10hipError_tPvRmT1_PNSt15iterator_traitsISK_E10value_typeET2_T3_PNSL_ISQ_E10value_typeET4_jRbjT5_SW_jjP12ihipStream_tbEUlT_E0_NS1_11comp_targetILNS1_3genE9ELNS1_11target_archE1100ELNS1_3gpuE3ELNS1_3repE0EEENS1_60segmented_radix_sort_warp_sort_medium_config_static_selectorELNS0_4arch9wavefront6targetE1EEEvSK_, .Lfunc_end101-_ZN7rocprim17ROCPRIM_400000_NS6detail17trampoline_kernelINS0_14default_configENS1_36segmented_radix_sort_config_selectorIhlEEZNS1_25segmented_radix_sort_implIS3_Lb1EPKhPhPKlPlN2at6native12_GLOBAL__N_18offset_tEEE10hipError_tPvRmT1_PNSt15iterator_traitsISK_E10value_typeET2_T3_PNSL_ISQ_E10value_typeET4_jRbjT5_SW_jjP12ihipStream_tbEUlT_E0_NS1_11comp_targetILNS1_3genE9ELNS1_11target_archE1100ELNS1_3gpuE3ELNS1_3repE0EEENS1_60segmented_radix_sort_warp_sort_medium_config_static_selectorELNS0_4arch9wavefront6targetE1EEEvSK_
                                        ; -- End function
	.set _ZN7rocprim17ROCPRIM_400000_NS6detail17trampoline_kernelINS0_14default_configENS1_36segmented_radix_sort_config_selectorIhlEEZNS1_25segmented_radix_sort_implIS3_Lb1EPKhPhPKlPlN2at6native12_GLOBAL__N_18offset_tEEE10hipError_tPvRmT1_PNSt15iterator_traitsISK_E10value_typeET2_T3_PNSL_ISQ_E10value_typeET4_jRbjT5_SW_jjP12ihipStream_tbEUlT_E0_NS1_11comp_targetILNS1_3genE9ELNS1_11target_archE1100ELNS1_3gpuE3ELNS1_3repE0EEENS1_60segmented_radix_sort_warp_sort_medium_config_static_selectorELNS0_4arch9wavefront6targetE1EEEvSK_.num_vgpr, 0
	.set _ZN7rocprim17ROCPRIM_400000_NS6detail17trampoline_kernelINS0_14default_configENS1_36segmented_radix_sort_config_selectorIhlEEZNS1_25segmented_radix_sort_implIS3_Lb1EPKhPhPKlPlN2at6native12_GLOBAL__N_18offset_tEEE10hipError_tPvRmT1_PNSt15iterator_traitsISK_E10value_typeET2_T3_PNSL_ISQ_E10value_typeET4_jRbjT5_SW_jjP12ihipStream_tbEUlT_E0_NS1_11comp_targetILNS1_3genE9ELNS1_11target_archE1100ELNS1_3gpuE3ELNS1_3repE0EEENS1_60segmented_radix_sort_warp_sort_medium_config_static_selectorELNS0_4arch9wavefront6targetE1EEEvSK_.num_agpr, 0
	.set _ZN7rocprim17ROCPRIM_400000_NS6detail17trampoline_kernelINS0_14default_configENS1_36segmented_radix_sort_config_selectorIhlEEZNS1_25segmented_radix_sort_implIS3_Lb1EPKhPhPKlPlN2at6native12_GLOBAL__N_18offset_tEEE10hipError_tPvRmT1_PNSt15iterator_traitsISK_E10value_typeET2_T3_PNSL_ISQ_E10value_typeET4_jRbjT5_SW_jjP12ihipStream_tbEUlT_E0_NS1_11comp_targetILNS1_3genE9ELNS1_11target_archE1100ELNS1_3gpuE3ELNS1_3repE0EEENS1_60segmented_radix_sort_warp_sort_medium_config_static_selectorELNS0_4arch9wavefront6targetE1EEEvSK_.numbered_sgpr, 0
	.set _ZN7rocprim17ROCPRIM_400000_NS6detail17trampoline_kernelINS0_14default_configENS1_36segmented_radix_sort_config_selectorIhlEEZNS1_25segmented_radix_sort_implIS3_Lb1EPKhPhPKlPlN2at6native12_GLOBAL__N_18offset_tEEE10hipError_tPvRmT1_PNSt15iterator_traitsISK_E10value_typeET2_T3_PNSL_ISQ_E10value_typeET4_jRbjT5_SW_jjP12ihipStream_tbEUlT_E0_NS1_11comp_targetILNS1_3genE9ELNS1_11target_archE1100ELNS1_3gpuE3ELNS1_3repE0EEENS1_60segmented_radix_sort_warp_sort_medium_config_static_selectorELNS0_4arch9wavefront6targetE1EEEvSK_.num_named_barrier, 0
	.set _ZN7rocprim17ROCPRIM_400000_NS6detail17trampoline_kernelINS0_14default_configENS1_36segmented_radix_sort_config_selectorIhlEEZNS1_25segmented_radix_sort_implIS3_Lb1EPKhPhPKlPlN2at6native12_GLOBAL__N_18offset_tEEE10hipError_tPvRmT1_PNSt15iterator_traitsISK_E10value_typeET2_T3_PNSL_ISQ_E10value_typeET4_jRbjT5_SW_jjP12ihipStream_tbEUlT_E0_NS1_11comp_targetILNS1_3genE9ELNS1_11target_archE1100ELNS1_3gpuE3ELNS1_3repE0EEENS1_60segmented_radix_sort_warp_sort_medium_config_static_selectorELNS0_4arch9wavefront6targetE1EEEvSK_.private_seg_size, 0
	.set _ZN7rocprim17ROCPRIM_400000_NS6detail17trampoline_kernelINS0_14default_configENS1_36segmented_radix_sort_config_selectorIhlEEZNS1_25segmented_radix_sort_implIS3_Lb1EPKhPhPKlPlN2at6native12_GLOBAL__N_18offset_tEEE10hipError_tPvRmT1_PNSt15iterator_traitsISK_E10value_typeET2_T3_PNSL_ISQ_E10value_typeET4_jRbjT5_SW_jjP12ihipStream_tbEUlT_E0_NS1_11comp_targetILNS1_3genE9ELNS1_11target_archE1100ELNS1_3gpuE3ELNS1_3repE0EEENS1_60segmented_radix_sort_warp_sort_medium_config_static_selectorELNS0_4arch9wavefront6targetE1EEEvSK_.uses_vcc, 0
	.set _ZN7rocprim17ROCPRIM_400000_NS6detail17trampoline_kernelINS0_14default_configENS1_36segmented_radix_sort_config_selectorIhlEEZNS1_25segmented_radix_sort_implIS3_Lb1EPKhPhPKlPlN2at6native12_GLOBAL__N_18offset_tEEE10hipError_tPvRmT1_PNSt15iterator_traitsISK_E10value_typeET2_T3_PNSL_ISQ_E10value_typeET4_jRbjT5_SW_jjP12ihipStream_tbEUlT_E0_NS1_11comp_targetILNS1_3genE9ELNS1_11target_archE1100ELNS1_3gpuE3ELNS1_3repE0EEENS1_60segmented_radix_sort_warp_sort_medium_config_static_selectorELNS0_4arch9wavefront6targetE1EEEvSK_.uses_flat_scratch, 0
	.set _ZN7rocprim17ROCPRIM_400000_NS6detail17trampoline_kernelINS0_14default_configENS1_36segmented_radix_sort_config_selectorIhlEEZNS1_25segmented_radix_sort_implIS3_Lb1EPKhPhPKlPlN2at6native12_GLOBAL__N_18offset_tEEE10hipError_tPvRmT1_PNSt15iterator_traitsISK_E10value_typeET2_T3_PNSL_ISQ_E10value_typeET4_jRbjT5_SW_jjP12ihipStream_tbEUlT_E0_NS1_11comp_targetILNS1_3genE9ELNS1_11target_archE1100ELNS1_3gpuE3ELNS1_3repE0EEENS1_60segmented_radix_sort_warp_sort_medium_config_static_selectorELNS0_4arch9wavefront6targetE1EEEvSK_.has_dyn_sized_stack, 0
	.set _ZN7rocprim17ROCPRIM_400000_NS6detail17trampoline_kernelINS0_14default_configENS1_36segmented_radix_sort_config_selectorIhlEEZNS1_25segmented_radix_sort_implIS3_Lb1EPKhPhPKlPlN2at6native12_GLOBAL__N_18offset_tEEE10hipError_tPvRmT1_PNSt15iterator_traitsISK_E10value_typeET2_T3_PNSL_ISQ_E10value_typeET4_jRbjT5_SW_jjP12ihipStream_tbEUlT_E0_NS1_11comp_targetILNS1_3genE9ELNS1_11target_archE1100ELNS1_3gpuE3ELNS1_3repE0EEENS1_60segmented_radix_sort_warp_sort_medium_config_static_selectorELNS0_4arch9wavefront6targetE1EEEvSK_.has_recursion, 0
	.set _ZN7rocprim17ROCPRIM_400000_NS6detail17trampoline_kernelINS0_14default_configENS1_36segmented_radix_sort_config_selectorIhlEEZNS1_25segmented_radix_sort_implIS3_Lb1EPKhPhPKlPlN2at6native12_GLOBAL__N_18offset_tEEE10hipError_tPvRmT1_PNSt15iterator_traitsISK_E10value_typeET2_T3_PNSL_ISQ_E10value_typeET4_jRbjT5_SW_jjP12ihipStream_tbEUlT_E0_NS1_11comp_targetILNS1_3genE9ELNS1_11target_archE1100ELNS1_3gpuE3ELNS1_3repE0EEENS1_60segmented_radix_sort_warp_sort_medium_config_static_selectorELNS0_4arch9wavefront6targetE1EEEvSK_.has_indirect_call, 0
	.section	.AMDGPU.csdata,"",@progbits
; Kernel info:
; codeLenInByte = 0
; TotalNumSgprs: 4
; NumVgprs: 0
; ScratchSize: 0
; MemoryBound: 0
; FloatMode: 240
; IeeeMode: 1
; LDSByteSize: 0 bytes/workgroup (compile time only)
; SGPRBlocks: 0
; VGPRBlocks: 0
; NumSGPRsForWavesPerEU: 4
; NumVGPRsForWavesPerEU: 1
; Occupancy: 10
; WaveLimiterHint : 0
; COMPUTE_PGM_RSRC2:SCRATCH_EN: 0
; COMPUTE_PGM_RSRC2:USER_SGPR: 6
; COMPUTE_PGM_RSRC2:TRAP_HANDLER: 0
; COMPUTE_PGM_RSRC2:TGID_X_EN: 1
; COMPUTE_PGM_RSRC2:TGID_Y_EN: 0
; COMPUTE_PGM_RSRC2:TGID_Z_EN: 0
; COMPUTE_PGM_RSRC2:TIDIG_COMP_CNT: 0
	.section	.text._ZN7rocprim17ROCPRIM_400000_NS6detail17trampoline_kernelINS0_14default_configENS1_36segmented_radix_sort_config_selectorIhlEEZNS1_25segmented_radix_sort_implIS3_Lb1EPKhPhPKlPlN2at6native12_GLOBAL__N_18offset_tEEE10hipError_tPvRmT1_PNSt15iterator_traitsISK_E10value_typeET2_T3_PNSL_ISQ_E10value_typeET4_jRbjT5_SW_jjP12ihipStream_tbEUlT_E0_NS1_11comp_targetILNS1_3genE8ELNS1_11target_archE1030ELNS1_3gpuE2ELNS1_3repE0EEENS1_60segmented_radix_sort_warp_sort_medium_config_static_selectorELNS0_4arch9wavefront6targetE1EEEvSK_,"axG",@progbits,_ZN7rocprim17ROCPRIM_400000_NS6detail17trampoline_kernelINS0_14default_configENS1_36segmented_radix_sort_config_selectorIhlEEZNS1_25segmented_radix_sort_implIS3_Lb1EPKhPhPKlPlN2at6native12_GLOBAL__N_18offset_tEEE10hipError_tPvRmT1_PNSt15iterator_traitsISK_E10value_typeET2_T3_PNSL_ISQ_E10value_typeET4_jRbjT5_SW_jjP12ihipStream_tbEUlT_E0_NS1_11comp_targetILNS1_3genE8ELNS1_11target_archE1030ELNS1_3gpuE2ELNS1_3repE0EEENS1_60segmented_radix_sort_warp_sort_medium_config_static_selectorELNS0_4arch9wavefront6targetE1EEEvSK_,comdat
	.globl	_ZN7rocprim17ROCPRIM_400000_NS6detail17trampoline_kernelINS0_14default_configENS1_36segmented_radix_sort_config_selectorIhlEEZNS1_25segmented_radix_sort_implIS3_Lb1EPKhPhPKlPlN2at6native12_GLOBAL__N_18offset_tEEE10hipError_tPvRmT1_PNSt15iterator_traitsISK_E10value_typeET2_T3_PNSL_ISQ_E10value_typeET4_jRbjT5_SW_jjP12ihipStream_tbEUlT_E0_NS1_11comp_targetILNS1_3genE8ELNS1_11target_archE1030ELNS1_3gpuE2ELNS1_3repE0EEENS1_60segmented_radix_sort_warp_sort_medium_config_static_selectorELNS0_4arch9wavefront6targetE1EEEvSK_ ; -- Begin function _ZN7rocprim17ROCPRIM_400000_NS6detail17trampoline_kernelINS0_14default_configENS1_36segmented_radix_sort_config_selectorIhlEEZNS1_25segmented_radix_sort_implIS3_Lb1EPKhPhPKlPlN2at6native12_GLOBAL__N_18offset_tEEE10hipError_tPvRmT1_PNSt15iterator_traitsISK_E10value_typeET2_T3_PNSL_ISQ_E10value_typeET4_jRbjT5_SW_jjP12ihipStream_tbEUlT_E0_NS1_11comp_targetILNS1_3genE8ELNS1_11target_archE1030ELNS1_3gpuE2ELNS1_3repE0EEENS1_60segmented_radix_sort_warp_sort_medium_config_static_selectorELNS0_4arch9wavefront6targetE1EEEvSK_
	.p2align	8
	.type	_ZN7rocprim17ROCPRIM_400000_NS6detail17trampoline_kernelINS0_14default_configENS1_36segmented_radix_sort_config_selectorIhlEEZNS1_25segmented_radix_sort_implIS3_Lb1EPKhPhPKlPlN2at6native12_GLOBAL__N_18offset_tEEE10hipError_tPvRmT1_PNSt15iterator_traitsISK_E10value_typeET2_T3_PNSL_ISQ_E10value_typeET4_jRbjT5_SW_jjP12ihipStream_tbEUlT_E0_NS1_11comp_targetILNS1_3genE8ELNS1_11target_archE1030ELNS1_3gpuE2ELNS1_3repE0EEENS1_60segmented_radix_sort_warp_sort_medium_config_static_selectorELNS0_4arch9wavefront6targetE1EEEvSK_,@function
_ZN7rocprim17ROCPRIM_400000_NS6detail17trampoline_kernelINS0_14default_configENS1_36segmented_radix_sort_config_selectorIhlEEZNS1_25segmented_radix_sort_implIS3_Lb1EPKhPhPKlPlN2at6native12_GLOBAL__N_18offset_tEEE10hipError_tPvRmT1_PNSt15iterator_traitsISK_E10value_typeET2_T3_PNSL_ISQ_E10value_typeET4_jRbjT5_SW_jjP12ihipStream_tbEUlT_E0_NS1_11comp_targetILNS1_3genE8ELNS1_11target_archE1030ELNS1_3gpuE2ELNS1_3repE0EEENS1_60segmented_radix_sort_warp_sort_medium_config_static_selectorELNS0_4arch9wavefront6targetE1EEEvSK_: ; @_ZN7rocprim17ROCPRIM_400000_NS6detail17trampoline_kernelINS0_14default_configENS1_36segmented_radix_sort_config_selectorIhlEEZNS1_25segmented_radix_sort_implIS3_Lb1EPKhPhPKlPlN2at6native12_GLOBAL__N_18offset_tEEE10hipError_tPvRmT1_PNSt15iterator_traitsISK_E10value_typeET2_T3_PNSL_ISQ_E10value_typeET4_jRbjT5_SW_jjP12ihipStream_tbEUlT_E0_NS1_11comp_targetILNS1_3genE8ELNS1_11target_archE1030ELNS1_3gpuE2ELNS1_3repE0EEENS1_60segmented_radix_sort_warp_sort_medium_config_static_selectorELNS0_4arch9wavefront6targetE1EEEvSK_
; %bb.0:
	.section	.rodata,"a",@progbits
	.p2align	6, 0x0
	.amdhsa_kernel _ZN7rocprim17ROCPRIM_400000_NS6detail17trampoline_kernelINS0_14default_configENS1_36segmented_radix_sort_config_selectorIhlEEZNS1_25segmented_radix_sort_implIS3_Lb1EPKhPhPKlPlN2at6native12_GLOBAL__N_18offset_tEEE10hipError_tPvRmT1_PNSt15iterator_traitsISK_E10value_typeET2_T3_PNSL_ISQ_E10value_typeET4_jRbjT5_SW_jjP12ihipStream_tbEUlT_E0_NS1_11comp_targetILNS1_3genE8ELNS1_11target_archE1030ELNS1_3gpuE2ELNS1_3repE0EEENS1_60segmented_radix_sort_warp_sort_medium_config_static_selectorELNS0_4arch9wavefront6targetE1EEEvSK_
		.amdhsa_group_segment_fixed_size 0
		.amdhsa_private_segment_fixed_size 0
		.amdhsa_kernarg_size 88
		.amdhsa_user_sgpr_count 6
		.amdhsa_user_sgpr_private_segment_buffer 1
		.amdhsa_user_sgpr_dispatch_ptr 0
		.amdhsa_user_sgpr_queue_ptr 0
		.amdhsa_user_sgpr_kernarg_segment_ptr 1
		.amdhsa_user_sgpr_dispatch_id 0
		.amdhsa_user_sgpr_flat_scratch_init 0
		.amdhsa_user_sgpr_private_segment_size 0
		.amdhsa_uses_dynamic_stack 0
		.amdhsa_system_sgpr_private_segment_wavefront_offset 0
		.amdhsa_system_sgpr_workgroup_id_x 1
		.amdhsa_system_sgpr_workgroup_id_y 0
		.amdhsa_system_sgpr_workgroup_id_z 0
		.amdhsa_system_sgpr_workgroup_info 0
		.amdhsa_system_vgpr_workitem_id 0
		.amdhsa_next_free_vgpr 1
		.amdhsa_next_free_sgpr 0
		.amdhsa_reserve_vcc 0
		.amdhsa_reserve_flat_scratch 0
		.amdhsa_float_round_mode_32 0
		.amdhsa_float_round_mode_16_64 0
		.amdhsa_float_denorm_mode_32 3
		.amdhsa_float_denorm_mode_16_64 3
		.amdhsa_dx10_clamp 1
		.amdhsa_ieee_mode 1
		.amdhsa_fp16_overflow 0
		.amdhsa_exception_fp_ieee_invalid_op 0
		.amdhsa_exception_fp_denorm_src 0
		.amdhsa_exception_fp_ieee_div_zero 0
		.amdhsa_exception_fp_ieee_overflow 0
		.amdhsa_exception_fp_ieee_underflow 0
		.amdhsa_exception_fp_ieee_inexact 0
		.amdhsa_exception_int_div_zero 0
	.end_amdhsa_kernel
	.section	.text._ZN7rocprim17ROCPRIM_400000_NS6detail17trampoline_kernelINS0_14default_configENS1_36segmented_radix_sort_config_selectorIhlEEZNS1_25segmented_radix_sort_implIS3_Lb1EPKhPhPKlPlN2at6native12_GLOBAL__N_18offset_tEEE10hipError_tPvRmT1_PNSt15iterator_traitsISK_E10value_typeET2_T3_PNSL_ISQ_E10value_typeET4_jRbjT5_SW_jjP12ihipStream_tbEUlT_E0_NS1_11comp_targetILNS1_3genE8ELNS1_11target_archE1030ELNS1_3gpuE2ELNS1_3repE0EEENS1_60segmented_radix_sort_warp_sort_medium_config_static_selectorELNS0_4arch9wavefront6targetE1EEEvSK_,"axG",@progbits,_ZN7rocprim17ROCPRIM_400000_NS6detail17trampoline_kernelINS0_14default_configENS1_36segmented_radix_sort_config_selectorIhlEEZNS1_25segmented_radix_sort_implIS3_Lb1EPKhPhPKlPlN2at6native12_GLOBAL__N_18offset_tEEE10hipError_tPvRmT1_PNSt15iterator_traitsISK_E10value_typeET2_T3_PNSL_ISQ_E10value_typeET4_jRbjT5_SW_jjP12ihipStream_tbEUlT_E0_NS1_11comp_targetILNS1_3genE8ELNS1_11target_archE1030ELNS1_3gpuE2ELNS1_3repE0EEENS1_60segmented_radix_sort_warp_sort_medium_config_static_selectorELNS0_4arch9wavefront6targetE1EEEvSK_,comdat
.Lfunc_end102:
	.size	_ZN7rocprim17ROCPRIM_400000_NS6detail17trampoline_kernelINS0_14default_configENS1_36segmented_radix_sort_config_selectorIhlEEZNS1_25segmented_radix_sort_implIS3_Lb1EPKhPhPKlPlN2at6native12_GLOBAL__N_18offset_tEEE10hipError_tPvRmT1_PNSt15iterator_traitsISK_E10value_typeET2_T3_PNSL_ISQ_E10value_typeET4_jRbjT5_SW_jjP12ihipStream_tbEUlT_E0_NS1_11comp_targetILNS1_3genE8ELNS1_11target_archE1030ELNS1_3gpuE2ELNS1_3repE0EEENS1_60segmented_radix_sort_warp_sort_medium_config_static_selectorELNS0_4arch9wavefront6targetE1EEEvSK_, .Lfunc_end102-_ZN7rocprim17ROCPRIM_400000_NS6detail17trampoline_kernelINS0_14default_configENS1_36segmented_radix_sort_config_selectorIhlEEZNS1_25segmented_radix_sort_implIS3_Lb1EPKhPhPKlPlN2at6native12_GLOBAL__N_18offset_tEEE10hipError_tPvRmT1_PNSt15iterator_traitsISK_E10value_typeET2_T3_PNSL_ISQ_E10value_typeET4_jRbjT5_SW_jjP12ihipStream_tbEUlT_E0_NS1_11comp_targetILNS1_3genE8ELNS1_11target_archE1030ELNS1_3gpuE2ELNS1_3repE0EEENS1_60segmented_radix_sort_warp_sort_medium_config_static_selectorELNS0_4arch9wavefront6targetE1EEEvSK_
                                        ; -- End function
	.set _ZN7rocprim17ROCPRIM_400000_NS6detail17trampoline_kernelINS0_14default_configENS1_36segmented_radix_sort_config_selectorIhlEEZNS1_25segmented_radix_sort_implIS3_Lb1EPKhPhPKlPlN2at6native12_GLOBAL__N_18offset_tEEE10hipError_tPvRmT1_PNSt15iterator_traitsISK_E10value_typeET2_T3_PNSL_ISQ_E10value_typeET4_jRbjT5_SW_jjP12ihipStream_tbEUlT_E0_NS1_11comp_targetILNS1_3genE8ELNS1_11target_archE1030ELNS1_3gpuE2ELNS1_3repE0EEENS1_60segmented_radix_sort_warp_sort_medium_config_static_selectorELNS0_4arch9wavefront6targetE1EEEvSK_.num_vgpr, 0
	.set _ZN7rocprim17ROCPRIM_400000_NS6detail17trampoline_kernelINS0_14default_configENS1_36segmented_radix_sort_config_selectorIhlEEZNS1_25segmented_radix_sort_implIS3_Lb1EPKhPhPKlPlN2at6native12_GLOBAL__N_18offset_tEEE10hipError_tPvRmT1_PNSt15iterator_traitsISK_E10value_typeET2_T3_PNSL_ISQ_E10value_typeET4_jRbjT5_SW_jjP12ihipStream_tbEUlT_E0_NS1_11comp_targetILNS1_3genE8ELNS1_11target_archE1030ELNS1_3gpuE2ELNS1_3repE0EEENS1_60segmented_radix_sort_warp_sort_medium_config_static_selectorELNS0_4arch9wavefront6targetE1EEEvSK_.num_agpr, 0
	.set _ZN7rocprim17ROCPRIM_400000_NS6detail17trampoline_kernelINS0_14default_configENS1_36segmented_radix_sort_config_selectorIhlEEZNS1_25segmented_radix_sort_implIS3_Lb1EPKhPhPKlPlN2at6native12_GLOBAL__N_18offset_tEEE10hipError_tPvRmT1_PNSt15iterator_traitsISK_E10value_typeET2_T3_PNSL_ISQ_E10value_typeET4_jRbjT5_SW_jjP12ihipStream_tbEUlT_E0_NS1_11comp_targetILNS1_3genE8ELNS1_11target_archE1030ELNS1_3gpuE2ELNS1_3repE0EEENS1_60segmented_radix_sort_warp_sort_medium_config_static_selectorELNS0_4arch9wavefront6targetE1EEEvSK_.numbered_sgpr, 0
	.set _ZN7rocprim17ROCPRIM_400000_NS6detail17trampoline_kernelINS0_14default_configENS1_36segmented_radix_sort_config_selectorIhlEEZNS1_25segmented_radix_sort_implIS3_Lb1EPKhPhPKlPlN2at6native12_GLOBAL__N_18offset_tEEE10hipError_tPvRmT1_PNSt15iterator_traitsISK_E10value_typeET2_T3_PNSL_ISQ_E10value_typeET4_jRbjT5_SW_jjP12ihipStream_tbEUlT_E0_NS1_11comp_targetILNS1_3genE8ELNS1_11target_archE1030ELNS1_3gpuE2ELNS1_3repE0EEENS1_60segmented_radix_sort_warp_sort_medium_config_static_selectorELNS0_4arch9wavefront6targetE1EEEvSK_.num_named_barrier, 0
	.set _ZN7rocprim17ROCPRIM_400000_NS6detail17trampoline_kernelINS0_14default_configENS1_36segmented_radix_sort_config_selectorIhlEEZNS1_25segmented_radix_sort_implIS3_Lb1EPKhPhPKlPlN2at6native12_GLOBAL__N_18offset_tEEE10hipError_tPvRmT1_PNSt15iterator_traitsISK_E10value_typeET2_T3_PNSL_ISQ_E10value_typeET4_jRbjT5_SW_jjP12ihipStream_tbEUlT_E0_NS1_11comp_targetILNS1_3genE8ELNS1_11target_archE1030ELNS1_3gpuE2ELNS1_3repE0EEENS1_60segmented_radix_sort_warp_sort_medium_config_static_selectorELNS0_4arch9wavefront6targetE1EEEvSK_.private_seg_size, 0
	.set _ZN7rocprim17ROCPRIM_400000_NS6detail17trampoline_kernelINS0_14default_configENS1_36segmented_radix_sort_config_selectorIhlEEZNS1_25segmented_radix_sort_implIS3_Lb1EPKhPhPKlPlN2at6native12_GLOBAL__N_18offset_tEEE10hipError_tPvRmT1_PNSt15iterator_traitsISK_E10value_typeET2_T3_PNSL_ISQ_E10value_typeET4_jRbjT5_SW_jjP12ihipStream_tbEUlT_E0_NS1_11comp_targetILNS1_3genE8ELNS1_11target_archE1030ELNS1_3gpuE2ELNS1_3repE0EEENS1_60segmented_radix_sort_warp_sort_medium_config_static_selectorELNS0_4arch9wavefront6targetE1EEEvSK_.uses_vcc, 0
	.set _ZN7rocprim17ROCPRIM_400000_NS6detail17trampoline_kernelINS0_14default_configENS1_36segmented_radix_sort_config_selectorIhlEEZNS1_25segmented_radix_sort_implIS3_Lb1EPKhPhPKlPlN2at6native12_GLOBAL__N_18offset_tEEE10hipError_tPvRmT1_PNSt15iterator_traitsISK_E10value_typeET2_T3_PNSL_ISQ_E10value_typeET4_jRbjT5_SW_jjP12ihipStream_tbEUlT_E0_NS1_11comp_targetILNS1_3genE8ELNS1_11target_archE1030ELNS1_3gpuE2ELNS1_3repE0EEENS1_60segmented_radix_sort_warp_sort_medium_config_static_selectorELNS0_4arch9wavefront6targetE1EEEvSK_.uses_flat_scratch, 0
	.set _ZN7rocprim17ROCPRIM_400000_NS6detail17trampoline_kernelINS0_14default_configENS1_36segmented_radix_sort_config_selectorIhlEEZNS1_25segmented_radix_sort_implIS3_Lb1EPKhPhPKlPlN2at6native12_GLOBAL__N_18offset_tEEE10hipError_tPvRmT1_PNSt15iterator_traitsISK_E10value_typeET2_T3_PNSL_ISQ_E10value_typeET4_jRbjT5_SW_jjP12ihipStream_tbEUlT_E0_NS1_11comp_targetILNS1_3genE8ELNS1_11target_archE1030ELNS1_3gpuE2ELNS1_3repE0EEENS1_60segmented_radix_sort_warp_sort_medium_config_static_selectorELNS0_4arch9wavefront6targetE1EEEvSK_.has_dyn_sized_stack, 0
	.set _ZN7rocprim17ROCPRIM_400000_NS6detail17trampoline_kernelINS0_14default_configENS1_36segmented_radix_sort_config_selectorIhlEEZNS1_25segmented_radix_sort_implIS3_Lb1EPKhPhPKlPlN2at6native12_GLOBAL__N_18offset_tEEE10hipError_tPvRmT1_PNSt15iterator_traitsISK_E10value_typeET2_T3_PNSL_ISQ_E10value_typeET4_jRbjT5_SW_jjP12ihipStream_tbEUlT_E0_NS1_11comp_targetILNS1_3genE8ELNS1_11target_archE1030ELNS1_3gpuE2ELNS1_3repE0EEENS1_60segmented_radix_sort_warp_sort_medium_config_static_selectorELNS0_4arch9wavefront6targetE1EEEvSK_.has_recursion, 0
	.set _ZN7rocprim17ROCPRIM_400000_NS6detail17trampoline_kernelINS0_14default_configENS1_36segmented_radix_sort_config_selectorIhlEEZNS1_25segmented_radix_sort_implIS3_Lb1EPKhPhPKlPlN2at6native12_GLOBAL__N_18offset_tEEE10hipError_tPvRmT1_PNSt15iterator_traitsISK_E10value_typeET2_T3_PNSL_ISQ_E10value_typeET4_jRbjT5_SW_jjP12ihipStream_tbEUlT_E0_NS1_11comp_targetILNS1_3genE8ELNS1_11target_archE1030ELNS1_3gpuE2ELNS1_3repE0EEENS1_60segmented_radix_sort_warp_sort_medium_config_static_selectorELNS0_4arch9wavefront6targetE1EEEvSK_.has_indirect_call, 0
	.section	.AMDGPU.csdata,"",@progbits
; Kernel info:
; codeLenInByte = 0
; TotalNumSgprs: 4
; NumVgprs: 0
; ScratchSize: 0
; MemoryBound: 0
; FloatMode: 240
; IeeeMode: 1
; LDSByteSize: 0 bytes/workgroup (compile time only)
; SGPRBlocks: 0
; VGPRBlocks: 0
; NumSGPRsForWavesPerEU: 4
; NumVGPRsForWavesPerEU: 1
; Occupancy: 10
; WaveLimiterHint : 0
; COMPUTE_PGM_RSRC2:SCRATCH_EN: 0
; COMPUTE_PGM_RSRC2:USER_SGPR: 6
; COMPUTE_PGM_RSRC2:TRAP_HANDLER: 0
; COMPUTE_PGM_RSRC2:TGID_X_EN: 1
; COMPUTE_PGM_RSRC2:TGID_Y_EN: 0
; COMPUTE_PGM_RSRC2:TGID_Z_EN: 0
; COMPUTE_PGM_RSRC2:TIDIG_COMP_CNT: 0
	.section	.text._ZN7rocprim17ROCPRIM_400000_NS6detail17trampoline_kernelINS0_14default_configENS1_36segmented_radix_sort_config_selectorIhlEEZNS1_25segmented_radix_sort_implIS3_Lb1EPKhPhPKlPlN2at6native12_GLOBAL__N_18offset_tEEE10hipError_tPvRmT1_PNSt15iterator_traitsISK_E10value_typeET2_T3_PNSL_ISQ_E10value_typeET4_jRbjT5_SW_jjP12ihipStream_tbEUlT_E1_NS1_11comp_targetILNS1_3genE0ELNS1_11target_archE4294967295ELNS1_3gpuE0ELNS1_3repE0EEENS1_59segmented_radix_sort_warp_sort_small_config_static_selectorELNS0_4arch9wavefront6targetE1EEEvSK_,"axG",@progbits,_ZN7rocprim17ROCPRIM_400000_NS6detail17trampoline_kernelINS0_14default_configENS1_36segmented_radix_sort_config_selectorIhlEEZNS1_25segmented_radix_sort_implIS3_Lb1EPKhPhPKlPlN2at6native12_GLOBAL__N_18offset_tEEE10hipError_tPvRmT1_PNSt15iterator_traitsISK_E10value_typeET2_T3_PNSL_ISQ_E10value_typeET4_jRbjT5_SW_jjP12ihipStream_tbEUlT_E1_NS1_11comp_targetILNS1_3genE0ELNS1_11target_archE4294967295ELNS1_3gpuE0ELNS1_3repE0EEENS1_59segmented_radix_sort_warp_sort_small_config_static_selectorELNS0_4arch9wavefront6targetE1EEEvSK_,comdat
	.globl	_ZN7rocprim17ROCPRIM_400000_NS6detail17trampoline_kernelINS0_14default_configENS1_36segmented_radix_sort_config_selectorIhlEEZNS1_25segmented_radix_sort_implIS3_Lb1EPKhPhPKlPlN2at6native12_GLOBAL__N_18offset_tEEE10hipError_tPvRmT1_PNSt15iterator_traitsISK_E10value_typeET2_T3_PNSL_ISQ_E10value_typeET4_jRbjT5_SW_jjP12ihipStream_tbEUlT_E1_NS1_11comp_targetILNS1_3genE0ELNS1_11target_archE4294967295ELNS1_3gpuE0ELNS1_3repE0EEENS1_59segmented_radix_sort_warp_sort_small_config_static_selectorELNS0_4arch9wavefront6targetE1EEEvSK_ ; -- Begin function _ZN7rocprim17ROCPRIM_400000_NS6detail17trampoline_kernelINS0_14default_configENS1_36segmented_radix_sort_config_selectorIhlEEZNS1_25segmented_radix_sort_implIS3_Lb1EPKhPhPKlPlN2at6native12_GLOBAL__N_18offset_tEEE10hipError_tPvRmT1_PNSt15iterator_traitsISK_E10value_typeET2_T3_PNSL_ISQ_E10value_typeET4_jRbjT5_SW_jjP12ihipStream_tbEUlT_E1_NS1_11comp_targetILNS1_3genE0ELNS1_11target_archE4294967295ELNS1_3gpuE0ELNS1_3repE0EEENS1_59segmented_radix_sort_warp_sort_small_config_static_selectorELNS0_4arch9wavefront6targetE1EEEvSK_
	.p2align	8
	.type	_ZN7rocprim17ROCPRIM_400000_NS6detail17trampoline_kernelINS0_14default_configENS1_36segmented_radix_sort_config_selectorIhlEEZNS1_25segmented_radix_sort_implIS3_Lb1EPKhPhPKlPlN2at6native12_GLOBAL__N_18offset_tEEE10hipError_tPvRmT1_PNSt15iterator_traitsISK_E10value_typeET2_T3_PNSL_ISQ_E10value_typeET4_jRbjT5_SW_jjP12ihipStream_tbEUlT_E1_NS1_11comp_targetILNS1_3genE0ELNS1_11target_archE4294967295ELNS1_3gpuE0ELNS1_3repE0EEENS1_59segmented_radix_sort_warp_sort_small_config_static_selectorELNS0_4arch9wavefront6targetE1EEEvSK_,@function
_ZN7rocprim17ROCPRIM_400000_NS6detail17trampoline_kernelINS0_14default_configENS1_36segmented_radix_sort_config_selectorIhlEEZNS1_25segmented_radix_sort_implIS3_Lb1EPKhPhPKlPlN2at6native12_GLOBAL__N_18offset_tEEE10hipError_tPvRmT1_PNSt15iterator_traitsISK_E10value_typeET2_T3_PNSL_ISQ_E10value_typeET4_jRbjT5_SW_jjP12ihipStream_tbEUlT_E1_NS1_11comp_targetILNS1_3genE0ELNS1_11target_archE4294967295ELNS1_3gpuE0ELNS1_3repE0EEENS1_59segmented_radix_sort_warp_sort_small_config_static_selectorELNS0_4arch9wavefront6targetE1EEEvSK_: ; @_ZN7rocprim17ROCPRIM_400000_NS6detail17trampoline_kernelINS0_14default_configENS1_36segmented_radix_sort_config_selectorIhlEEZNS1_25segmented_radix_sort_implIS3_Lb1EPKhPhPKlPlN2at6native12_GLOBAL__N_18offset_tEEE10hipError_tPvRmT1_PNSt15iterator_traitsISK_E10value_typeET2_T3_PNSL_ISQ_E10value_typeET4_jRbjT5_SW_jjP12ihipStream_tbEUlT_E1_NS1_11comp_targetILNS1_3genE0ELNS1_11target_archE4294967295ELNS1_3gpuE0ELNS1_3repE0EEENS1_59segmented_radix_sort_warp_sort_small_config_static_selectorELNS0_4arch9wavefront6targetE1EEEvSK_
; %bb.0:
	.section	.rodata,"a",@progbits
	.p2align	6, 0x0
	.amdhsa_kernel _ZN7rocprim17ROCPRIM_400000_NS6detail17trampoline_kernelINS0_14default_configENS1_36segmented_radix_sort_config_selectorIhlEEZNS1_25segmented_radix_sort_implIS3_Lb1EPKhPhPKlPlN2at6native12_GLOBAL__N_18offset_tEEE10hipError_tPvRmT1_PNSt15iterator_traitsISK_E10value_typeET2_T3_PNSL_ISQ_E10value_typeET4_jRbjT5_SW_jjP12ihipStream_tbEUlT_E1_NS1_11comp_targetILNS1_3genE0ELNS1_11target_archE4294967295ELNS1_3gpuE0ELNS1_3repE0EEENS1_59segmented_radix_sort_warp_sort_small_config_static_selectorELNS0_4arch9wavefront6targetE1EEEvSK_
		.amdhsa_group_segment_fixed_size 0
		.amdhsa_private_segment_fixed_size 0
		.amdhsa_kernarg_size 88
		.amdhsa_user_sgpr_count 6
		.amdhsa_user_sgpr_private_segment_buffer 1
		.amdhsa_user_sgpr_dispatch_ptr 0
		.amdhsa_user_sgpr_queue_ptr 0
		.amdhsa_user_sgpr_kernarg_segment_ptr 1
		.amdhsa_user_sgpr_dispatch_id 0
		.amdhsa_user_sgpr_flat_scratch_init 0
		.amdhsa_user_sgpr_private_segment_size 0
		.amdhsa_uses_dynamic_stack 0
		.amdhsa_system_sgpr_private_segment_wavefront_offset 0
		.amdhsa_system_sgpr_workgroup_id_x 1
		.amdhsa_system_sgpr_workgroup_id_y 0
		.amdhsa_system_sgpr_workgroup_id_z 0
		.amdhsa_system_sgpr_workgroup_info 0
		.amdhsa_system_vgpr_workitem_id 0
		.amdhsa_next_free_vgpr 1
		.amdhsa_next_free_sgpr 0
		.amdhsa_reserve_vcc 0
		.amdhsa_reserve_flat_scratch 0
		.amdhsa_float_round_mode_32 0
		.amdhsa_float_round_mode_16_64 0
		.amdhsa_float_denorm_mode_32 3
		.amdhsa_float_denorm_mode_16_64 3
		.amdhsa_dx10_clamp 1
		.amdhsa_ieee_mode 1
		.amdhsa_fp16_overflow 0
		.amdhsa_exception_fp_ieee_invalid_op 0
		.amdhsa_exception_fp_denorm_src 0
		.amdhsa_exception_fp_ieee_div_zero 0
		.amdhsa_exception_fp_ieee_overflow 0
		.amdhsa_exception_fp_ieee_underflow 0
		.amdhsa_exception_fp_ieee_inexact 0
		.amdhsa_exception_int_div_zero 0
	.end_amdhsa_kernel
	.section	.text._ZN7rocprim17ROCPRIM_400000_NS6detail17trampoline_kernelINS0_14default_configENS1_36segmented_radix_sort_config_selectorIhlEEZNS1_25segmented_radix_sort_implIS3_Lb1EPKhPhPKlPlN2at6native12_GLOBAL__N_18offset_tEEE10hipError_tPvRmT1_PNSt15iterator_traitsISK_E10value_typeET2_T3_PNSL_ISQ_E10value_typeET4_jRbjT5_SW_jjP12ihipStream_tbEUlT_E1_NS1_11comp_targetILNS1_3genE0ELNS1_11target_archE4294967295ELNS1_3gpuE0ELNS1_3repE0EEENS1_59segmented_radix_sort_warp_sort_small_config_static_selectorELNS0_4arch9wavefront6targetE1EEEvSK_,"axG",@progbits,_ZN7rocprim17ROCPRIM_400000_NS6detail17trampoline_kernelINS0_14default_configENS1_36segmented_radix_sort_config_selectorIhlEEZNS1_25segmented_radix_sort_implIS3_Lb1EPKhPhPKlPlN2at6native12_GLOBAL__N_18offset_tEEE10hipError_tPvRmT1_PNSt15iterator_traitsISK_E10value_typeET2_T3_PNSL_ISQ_E10value_typeET4_jRbjT5_SW_jjP12ihipStream_tbEUlT_E1_NS1_11comp_targetILNS1_3genE0ELNS1_11target_archE4294967295ELNS1_3gpuE0ELNS1_3repE0EEENS1_59segmented_radix_sort_warp_sort_small_config_static_selectorELNS0_4arch9wavefront6targetE1EEEvSK_,comdat
.Lfunc_end103:
	.size	_ZN7rocprim17ROCPRIM_400000_NS6detail17trampoline_kernelINS0_14default_configENS1_36segmented_radix_sort_config_selectorIhlEEZNS1_25segmented_radix_sort_implIS3_Lb1EPKhPhPKlPlN2at6native12_GLOBAL__N_18offset_tEEE10hipError_tPvRmT1_PNSt15iterator_traitsISK_E10value_typeET2_T3_PNSL_ISQ_E10value_typeET4_jRbjT5_SW_jjP12ihipStream_tbEUlT_E1_NS1_11comp_targetILNS1_3genE0ELNS1_11target_archE4294967295ELNS1_3gpuE0ELNS1_3repE0EEENS1_59segmented_radix_sort_warp_sort_small_config_static_selectorELNS0_4arch9wavefront6targetE1EEEvSK_, .Lfunc_end103-_ZN7rocprim17ROCPRIM_400000_NS6detail17trampoline_kernelINS0_14default_configENS1_36segmented_radix_sort_config_selectorIhlEEZNS1_25segmented_radix_sort_implIS3_Lb1EPKhPhPKlPlN2at6native12_GLOBAL__N_18offset_tEEE10hipError_tPvRmT1_PNSt15iterator_traitsISK_E10value_typeET2_T3_PNSL_ISQ_E10value_typeET4_jRbjT5_SW_jjP12ihipStream_tbEUlT_E1_NS1_11comp_targetILNS1_3genE0ELNS1_11target_archE4294967295ELNS1_3gpuE0ELNS1_3repE0EEENS1_59segmented_radix_sort_warp_sort_small_config_static_selectorELNS0_4arch9wavefront6targetE1EEEvSK_
                                        ; -- End function
	.set _ZN7rocprim17ROCPRIM_400000_NS6detail17trampoline_kernelINS0_14default_configENS1_36segmented_radix_sort_config_selectorIhlEEZNS1_25segmented_radix_sort_implIS3_Lb1EPKhPhPKlPlN2at6native12_GLOBAL__N_18offset_tEEE10hipError_tPvRmT1_PNSt15iterator_traitsISK_E10value_typeET2_T3_PNSL_ISQ_E10value_typeET4_jRbjT5_SW_jjP12ihipStream_tbEUlT_E1_NS1_11comp_targetILNS1_3genE0ELNS1_11target_archE4294967295ELNS1_3gpuE0ELNS1_3repE0EEENS1_59segmented_radix_sort_warp_sort_small_config_static_selectorELNS0_4arch9wavefront6targetE1EEEvSK_.num_vgpr, 0
	.set _ZN7rocprim17ROCPRIM_400000_NS6detail17trampoline_kernelINS0_14default_configENS1_36segmented_radix_sort_config_selectorIhlEEZNS1_25segmented_radix_sort_implIS3_Lb1EPKhPhPKlPlN2at6native12_GLOBAL__N_18offset_tEEE10hipError_tPvRmT1_PNSt15iterator_traitsISK_E10value_typeET2_T3_PNSL_ISQ_E10value_typeET4_jRbjT5_SW_jjP12ihipStream_tbEUlT_E1_NS1_11comp_targetILNS1_3genE0ELNS1_11target_archE4294967295ELNS1_3gpuE0ELNS1_3repE0EEENS1_59segmented_radix_sort_warp_sort_small_config_static_selectorELNS0_4arch9wavefront6targetE1EEEvSK_.num_agpr, 0
	.set _ZN7rocprim17ROCPRIM_400000_NS6detail17trampoline_kernelINS0_14default_configENS1_36segmented_radix_sort_config_selectorIhlEEZNS1_25segmented_radix_sort_implIS3_Lb1EPKhPhPKlPlN2at6native12_GLOBAL__N_18offset_tEEE10hipError_tPvRmT1_PNSt15iterator_traitsISK_E10value_typeET2_T3_PNSL_ISQ_E10value_typeET4_jRbjT5_SW_jjP12ihipStream_tbEUlT_E1_NS1_11comp_targetILNS1_3genE0ELNS1_11target_archE4294967295ELNS1_3gpuE0ELNS1_3repE0EEENS1_59segmented_radix_sort_warp_sort_small_config_static_selectorELNS0_4arch9wavefront6targetE1EEEvSK_.numbered_sgpr, 0
	.set _ZN7rocprim17ROCPRIM_400000_NS6detail17trampoline_kernelINS0_14default_configENS1_36segmented_radix_sort_config_selectorIhlEEZNS1_25segmented_radix_sort_implIS3_Lb1EPKhPhPKlPlN2at6native12_GLOBAL__N_18offset_tEEE10hipError_tPvRmT1_PNSt15iterator_traitsISK_E10value_typeET2_T3_PNSL_ISQ_E10value_typeET4_jRbjT5_SW_jjP12ihipStream_tbEUlT_E1_NS1_11comp_targetILNS1_3genE0ELNS1_11target_archE4294967295ELNS1_3gpuE0ELNS1_3repE0EEENS1_59segmented_radix_sort_warp_sort_small_config_static_selectorELNS0_4arch9wavefront6targetE1EEEvSK_.num_named_barrier, 0
	.set _ZN7rocprim17ROCPRIM_400000_NS6detail17trampoline_kernelINS0_14default_configENS1_36segmented_radix_sort_config_selectorIhlEEZNS1_25segmented_radix_sort_implIS3_Lb1EPKhPhPKlPlN2at6native12_GLOBAL__N_18offset_tEEE10hipError_tPvRmT1_PNSt15iterator_traitsISK_E10value_typeET2_T3_PNSL_ISQ_E10value_typeET4_jRbjT5_SW_jjP12ihipStream_tbEUlT_E1_NS1_11comp_targetILNS1_3genE0ELNS1_11target_archE4294967295ELNS1_3gpuE0ELNS1_3repE0EEENS1_59segmented_radix_sort_warp_sort_small_config_static_selectorELNS0_4arch9wavefront6targetE1EEEvSK_.private_seg_size, 0
	.set _ZN7rocprim17ROCPRIM_400000_NS6detail17trampoline_kernelINS0_14default_configENS1_36segmented_radix_sort_config_selectorIhlEEZNS1_25segmented_radix_sort_implIS3_Lb1EPKhPhPKlPlN2at6native12_GLOBAL__N_18offset_tEEE10hipError_tPvRmT1_PNSt15iterator_traitsISK_E10value_typeET2_T3_PNSL_ISQ_E10value_typeET4_jRbjT5_SW_jjP12ihipStream_tbEUlT_E1_NS1_11comp_targetILNS1_3genE0ELNS1_11target_archE4294967295ELNS1_3gpuE0ELNS1_3repE0EEENS1_59segmented_radix_sort_warp_sort_small_config_static_selectorELNS0_4arch9wavefront6targetE1EEEvSK_.uses_vcc, 0
	.set _ZN7rocprim17ROCPRIM_400000_NS6detail17trampoline_kernelINS0_14default_configENS1_36segmented_radix_sort_config_selectorIhlEEZNS1_25segmented_radix_sort_implIS3_Lb1EPKhPhPKlPlN2at6native12_GLOBAL__N_18offset_tEEE10hipError_tPvRmT1_PNSt15iterator_traitsISK_E10value_typeET2_T3_PNSL_ISQ_E10value_typeET4_jRbjT5_SW_jjP12ihipStream_tbEUlT_E1_NS1_11comp_targetILNS1_3genE0ELNS1_11target_archE4294967295ELNS1_3gpuE0ELNS1_3repE0EEENS1_59segmented_radix_sort_warp_sort_small_config_static_selectorELNS0_4arch9wavefront6targetE1EEEvSK_.uses_flat_scratch, 0
	.set _ZN7rocprim17ROCPRIM_400000_NS6detail17trampoline_kernelINS0_14default_configENS1_36segmented_radix_sort_config_selectorIhlEEZNS1_25segmented_radix_sort_implIS3_Lb1EPKhPhPKlPlN2at6native12_GLOBAL__N_18offset_tEEE10hipError_tPvRmT1_PNSt15iterator_traitsISK_E10value_typeET2_T3_PNSL_ISQ_E10value_typeET4_jRbjT5_SW_jjP12ihipStream_tbEUlT_E1_NS1_11comp_targetILNS1_3genE0ELNS1_11target_archE4294967295ELNS1_3gpuE0ELNS1_3repE0EEENS1_59segmented_radix_sort_warp_sort_small_config_static_selectorELNS0_4arch9wavefront6targetE1EEEvSK_.has_dyn_sized_stack, 0
	.set _ZN7rocprim17ROCPRIM_400000_NS6detail17trampoline_kernelINS0_14default_configENS1_36segmented_radix_sort_config_selectorIhlEEZNS1_25segmented_radix_sort_implIS3_Lb1EPKhPhPKlPlN2at6native12_GLOBAL__N_18offset_tEEE10hipError_tPvRmT1_PNSt15iterator_traitsISK_E10value_typeET2_T3_PNSL_ISQ_E10value_typeET4_jRbjT5_SW_jjP12ihipStream_tbEUlT_E1_NS1_11comp_targetILNS1_3genE0ELNS1_11target_archE4294967295ELNS1_3gpuE0ELNS1_3repE0EEENS1_59segmented_radix_sort_warp_sort_small_config_static_selectorELNS0_4arch9wavefront6targetE1EEEvSK_.has_recursion, 0
	.set _ZN7rocprim17ROCPRIM_400000_NS6detail17trampoline_kernelINS0_14default_configENS1_36segmented_radix_sort_config_selectorIhlEEZNS1_25segmented_radix_sort_implIS3_Lb1EPKhPhPKlPlN2at6native12_GLOBAL__N_18offset_tEEE10hipError_tPvRmT1_PNSt15iterator_traitsISK_E10value_typeET2_T3_PNSL_ISQ_E10value_typeET4_jRbjT5_SW_jjP12ihipStream_tbEUlT_E1_NS1_11comp_targetILNS1_3genE0ELNS1_11target_archE4294967295ELNS1_3gpuE0ELNS1_3repE0EEENS1_59segmented_radix_sort_warp_sort_small_config_static_selectorELNS0_4arch9wavefront6targetE1EEEvSK_.has_indirect_call, 0
	.section	.AMDGPU.csdata,"",@progbits
; Kernel info:
; codeLenInByte = 0
; TotalNumSgprs: 4
; NumVgprs: 0
; ScratchSize: 0
; MemoryBound: 0
; FloatMode: 240
; IeeeMode: 1
; LDSByteSize: 0 bytes/workgroup (compile time only)
; SGPRBlocks: 0
; VGPRBlocks: 0
; NumSGPRsForWavesPerEU: 4
; NumVGPRsForWavesPerEU: 1
; Occupancy: 10
; WaveLimiterHint : 0
; COMPUTE_PGM_RSRC2:SCRATCH_EN: 0
; COMPUTE_PGM_RSRC2:USER_SGPR: 6
; COMPUTE_PGM_RSRC2:TRAP_HANDLER: 0
; COMPUTE_PGM_RSRC2:TGID_X_EN: 1
; COMPUTE_PGM_RSRC2:TGID_Y_EN: 0
; COMPUTE_PGM_RSRC2:TGID_Z_EN: 0
; COMPUTE_PGM_RSRC2:TIDIG_COMP_CNT: 0
	.section	.text._ZN7rocprim17ROCPRIM_400000_NS6detail17trampoline_kernelINS0_14default_configENS1_36segmented_radix_sort_config_selectorIhlEEZNS1_25segmented_radix_sort_implIS3_Lb1EPKhPhPKlPlN2at6native12_GLOBAL__N_18offset_tEEE10hipError_tPvRmT1_PNSt15iterator_traitsISK_E10value_typeET2_T3_PNSL_ISQ_E10value_typeET4_jRbjT5_SW_jjP12ihipStream_tbEUlT_E1_NS1_11comp_targetILNS1_3genE5ELNS1_11target_archE942ELNS1_3gpuE9ELNS1_3repE0EEENS1_59segmented_radix_sort_warp_sort_small_config_static_selectorELNS0_4arch9wavefront6targetE1EEEvSK_,"axG",@progbits,_ZN7rocprim17ROCPRIM_400000_NS6detail17trampoline_kernelINS0_14default_configENS1_36segmented_radix_sort_config_selectorIhlEEZNS1_25segmented_radix_sort_implIS3_Lb1EPKhPhPKlPlN2at6native12_GLOBAL__N_18offset_tEEE10hipError_tPvRmT1_PNSt15iterator_traitsISK_E10value_typeET2_T3_PNSL_ISQ_E10value_typeET4_jRbjT5_SW_jjP12ihipStream_tbEUlT_E1_NS1_11comp_targetILNS1_3genE5ELNS1_11target_archE942ELNS1_3gpuE9ELNS1_3repE0EEENS1_59segmented_radix_sort_warp_sort_small_config_static_selectorELNS0_4arch9wavefront6targetE1EEEvSK_,comdat
	.globl	_ZN7rocprim17ROCPRIM_400000_NS6detail17trampoline_kernelINS0_14default_configENS1_36segmented_radix_sort_config_selectorIhlEEZNS1_25segmented_radix_sort_implIS3_Lb1EPKhPhPKlPlN2at6native12_GLOBAL__N_18offset_tEEE10hipError_tPvRmT1_PNSt15iterator_traitsISK_E10value_typeET2_T3_PNSL_ISQ_E10value_typeET4_jRbjT5_SW_jjP12ihipStream_tbEUlT_E1_NS1_11comp_targetILNS1_3genE5ELNS1_11target_archE942ELNS1_3gpuE9ELNS1_3repE0EEENS1_59segmented_radix_sort_warp_sort_small_config_static_selectorELNS0_4arch9wavefront6targetE1EEEvSK_ ; -- Begin function _ZN7rocprim17ROCPRIM_400000_NS6detail17trampoline_kernelINS0_14default_configENS1_36segmented_radix_sort_config_selectorIhlEEZNS1_25segmented_radix_sort_implIS3_Lb1EPKhPhPKlPlN2at6native12_GLOBAL__N_18offset_tEEE10hipError_tPvRmT1_PNSt15iterator_traitsISK_E10value_typeET2_T3_PNSL_ISQ_E10value_typeET4_jRbjT5_SW_jjP12ihipStream_tbEUlT_E1_NS1_11comp_targetILNS1_3genE5ELNS1_11target_archE942ELNS1_3gpuE9ELNS1_3repE0EEENS1_59segmented_radix_sort_warp_sort_small_config_static_selectorELNS0_4arch9wavefront6targetE1EEEvSK_
	.p2align	8
	.type	_ZN7rocprim17ROCPRIM_400000_NS6detail17trampoline_kernelINS0_14default_configENS1_36segmented_radix_sort_config_selectorIhlEEZNS1_25segmented_radix_sort_implIS3_Lb1EPKhPhPKlPlN2at6native12_GLOBAL__N_18offset_tEEE10hipError_tPvRmT1_PNSt15iterator_traitsISK_E10value_typeET2_T3_PNSL_ISQ_E10value_typeET4_jRbjT5_SW_jjP12ihipStream_tbEUlT_E1_NS1_11comp_targetILNS1_3genE5ELNS1_11target_archE942ELNS1_3gpuE9ELNS1_3repE0EEENS1_59segmented_radix_sort_warp_sort_small_config_static_selectorELNS0_4arch9wavefront6targetE1EEEvSK_,@function
_ZN7rocprim17ROCPRIM_400000_NS6detail17trampoline_kernelINS0_14default_configENS1_36segmented_radix_sort_config_selectorIhlEEZNS1_25segmented_radix_sort_implIS3_Lb1EPKhPhPKlPlN2at6native12_GLOBAL__N_18offset_tEEE10hipError_tPvRmT1_PNSt15iterator_traitsISK_E10value_typeET2_T3_PNSL_ISQ_E10value_typeET4_jRbjT5_SW_jjP12ihipStream_tbEUlT_E1_NS1_11comp_targetILNS1_3genE5ELNS1_11target_archE942ELNS1_3gpuE9ELNS1_3repE0EEENS1_59segmented_radix_sort_warp_sort_small_config_static_selectorELNS0_4arch9wavefront6targetE1EEEvSK_: ; @_ZN7rocprim17ROCPRIM_400000_NS6detail17trampoline_kernelINS0_14default_configENS1_36segmented_radix_sort_config_selectorIhlEEZNS1_25segmented_radix_sort_implIS3_Lb1EPKhPhPKlPlN2at6native12_GLOBAL__N_18offset_tEEE10hipError_tPvRmT1_PNSt15iterator_traitsISK_E10value_typeET2_T3_PNSL_ISQ_E10value_typeET4_jRbjT5_SW_jjP12ihipStream_tbEUlT_E1_NS1_11comp_targetILNS1_3genE5ELNS1_11target_archE942ELNS1_3gpuE9ELNS1_3repE0EEENS1_59segmented_radix_sort_warp_sort_small_config_static_selectorELNS0_4arch9wavefront6targetE1EEEvSK_
; %bb.0:
	.section	.rodata,"a",@progbits
	.p2align	6, 0x0
	.amdhsa_kernel _ZN7rocprim17ROCPRIM_400000_NS6detail17trampoline_kernelINS0_14default_configENS1_36segmented_radix_sort_config_selectorIhlEEZNS1_25segmented_radix_sort_implIS3_Lb1EPKhPhPKlPlN2at6native12_GLOBAL__N_18offset_tEEE10hipError_tPvRmT1_PNSt15iterator_traitsISK_E10value_typeET2_T3_PNSL_ISQ_E10value_typeET4_jRbjT5_SW_jjP12ihipStream_tbEUlT_E1_NS1_11comp_targetILNS1_3genE5ELNS1_11target_archE942ELNS1_3gpuE9ELNS1_3repE0EEENS1_59segmented_radix_sort_warp_sort_small_config_static_selectorELNS0_4arch9wavefront6targetE1EEEvSK_
		.amdhsa_group_segment_fixed_size 0
		.amdhsa_private_segment_fixed_size 0
		.amdhsa_kernarg_size 88
		.amdhsa_user_sgpr_count 6
		.amdhsa_user_sgpr_private_segment_buffer 1
		.amdhsa_user_sgpr_dispatch_ptr 0
		.amdhsa_user_sgpr_queue_ptr 0
		.amdhsa_user_sgpr_kernarg_segment_ptr 1
		.amdhsa_user_sgpr_dispatch_id 0
		.amdhsa_user_sgpr_flat_scratch_init 0
		.amdhsa_user_sgpr_private_segment_size 0
		.amdhsa_uses_dynamic_stack 0
		.amdhsa_system_sgpr_private_segment_wavefront_offset 0
		.amdhsa_system_sgpr_workgroup_id_x 1
		.amdhsa_system_sgpr_workgroup_id_y 0
		.amdhsa_system_sgpr_workgroup_id_z 0
		.amdhsa_system_sgpr_workgroup_info 0
		.amdhsa_system_vgpr_workitem_id 0
		.amdhsa_next_free_vgpr 1
		.amdhsa_next_free_sgpr 0
		.amdhsa_reserve_vcc 0
		.amdhsa_reserve_flat_scratch 0
		.amdhsa_float_round_mode_32 0
		.amdhsa_float_round_mode_16_64 0
		.amdhsa_float_denorm_mode_32 3
		.amdhsa_float_denorm_mode_16_64 3
		.amdhsa_dx10_clamp 1
		.amdhsa_ieee_mode 1
		.amdhsa_fp16_overflow 0
		.amdhsa_exception_fp_ieee_invalid_op 0
		.amdhsa_exception_fp_denorm_src 0
		.amdhsa_exception_fp_ieee_div_zero 0
		.amdhsa_exception_fp_ieee_overflow 0
		.amdhsa_exception_fp_ieee_underflow 0
		.amdhsa_exception_fp_ieee_inexact 0
		.amdhsa_exception_int_div_zero 0
	.end_amdhsa_kernel
	.section	.text._ZN7rocprim17ROCPRIM_400000_NS6detail17trampoline_kernelINS0_14default_configENS1_36segmented_radix_sort_config_selectorIhlEEZNS1_25segmented_radix_sort_implIS3_Lb1EPKhPhPKlPlN2at6native12_GLOBAL__N_18offset_tEEE10hipError_tPvRmT1_PNSt15iterator_traitsISK_E10value_typeET2_T3_PNSL_ISQ_E10value_typeET4_jRbjT5_SW_jjP12ihipStream_tbEUlT_E1_NS1_11comp_targetILNS1_3genE5ELNS1_11target_archE942ELNS1_3gpuE9ELNS1_3repE0EEENS1_59segmented_radix_sort_warp_sort_small_config_static_selectorELNS0_4arch9wavefront6targetE1EEEvSK_,"axG",@progbits,_ZN7rocprim17ROCPRIM_400000_NS6detail17trampoline_kernelINS0_14default_configENS1_36segmented_radix_sort_config_selectorIhlEEZNS1_25segmented_radix_sort_implIS3_Lb1EPKhPhPKlPlN2at6native12_GLOBAL__N_18offset_tEEE10hipError_tPvRmT1_PNSt15iterator_traitsISK_E10value_typeET2_T3_PNSL_ISQ_E10value_typeET4_jRbjT5_SW_jjP12ihipStream_tbEUlT_E1_NS1_11comp_targetILNS1_3genE5ELNS1_11target_archE942ELNS1_3gpuE9ELNS1_3repE0EEENS1_59segmented_radix_sort_warp_sort_small_config_static_selectorELNS0_4arch9wavefront6targetE1EEEvSK_,comdat
.Lfunc_end104:
	.size	_ZN7rocprim17ROCPRIM_400000_NS6detail17trampoline_kernelINS0_14default_configENS1_36segmented_radix_sort_config_selectorIhlEEZNS1_25segmented_radix_sort_implIS3_Lb1EPKhPhPKlPlN2at6native12_GLOBAL__N_18offset_tEEE10hipError_tPvRmT1_PNSt15iterator_traitsISK_E10value_typeET2_T3_PNSL_ISQ_E10value_typeET4_jRbjT5_SW_jjP12ihipStream_tbEUlT_E1_NS1_11comp_targetILNS1_3genE5ELNS1_11target_archE942ELNS1_3gpuE9ELNS1_3repE0EEENS1_59segmented_radix_sort_warp_sort_small_config_static_selectorELNS0_4arch9wavefront6targetE1EEEvSK_, .Lfunc_end104-_ZN7rocprim17ROCPRIM_400000_NS6detail17trampoline_kernelINS0_14default_configENS1_36segmented_radix_sort_config_selectorIhlEEZNS1_25segmented_radix_sort_implIS3_Lb1EPKhPhPKlPlN2at6native12_GLOBAL__N_18offset_tEEE10hipError_tPvRmT1_PNSt15iterator_traitsISK_E10value_typeET2_T3_PNSL_ISQ_E10value_typeET4_jRbjT5_SW_jjP12ihipStream_tbEUlT_E1_NS1_11comp_targetILNS1_3genE5ELNS1_11target_archE942ELNS1_3gpuE9ELNS1_3repE0EEENS1_59segmented_radix_sort_warp_sort_small_config_static_selectorELNS0_4arch9wavefront6targetE1EEEvSK_
                                        ; -- End function
	.set _ZN7rocprim17ROCPRIM_400000_NS6detail17trampoline_kernelINS0_14default_configENS1_36segmented_radix_sort_config_selectorIhlEEZNS1_25segmented_radix_sort_implIS3_Lb1EPKhPhPKlPlN2at6native12_GLOBAL__N_18offset_tEEE10hipError_tPvRmT1_PNSt15iterator_traitsISK_E10value_typeET2_T3_PNSL_ISQ_E10value_typeET4_jRbjT5_SW_jjP12ihipStream_tbEUlT_E1_NS1_11comp_targetILNS1_3genE5ELNS1_11target_archE942ELNS1_3gpuE9ELNS1_3repE0EEENS1_59segmented_radix_sort_warp_sort_small_config_static_selectorELNS0_4arch9wavefront6targetE1EEEvSK_.num_vgpr, 0
	.set _ZN7rocprim17ROCPRIM_400000_NS6detail17trampoline_kernelINS0_14default_configENS1_36segmented_radix_sort_config_selectorIhlEEZNS1_25segmented_radix_sort_implIS3_Lb1EPKhPhPKlPlN2at6native12_GLOBAL__N_18offset_tEEE10hipError_tPvRmT1_PNSt15iterator_traitsISK_E10value_typeET2_T3_PNSL_ISQ_E10value_typeET4_jRbjT5_SW_jjP12ihipStream_tbEUlT_E1_NS1_11comp_targetILNS1_3genE5ELNS1_11target_archE942ELNS1_3gpuE9ELNS1_3repE0EEENS1_59segmented_radix_sort_warp_sort_small_config_static_selectorELNS0_4arch9wavefront6targetE1EEEvSK_.num_agpr, 0
	.set _ZN7rocprim17ROCPRIM_400000_NS6detail17trampoline_kernelINS0_14default_configENS1_36segmented_radix_sort_config_selectorIhlEEZNS1_25segmented_radix_sort_implIS3_Lb1EPKhPhPKlPlN2at6native12_GLOBAL__N_18offset_tEEE10hipError_tPvRmT1_PNSt15iterator_traitsISK_E10value_typeET2_T3_PNSL_ISQ_E10value_typeET4_jRbjT5_SW_jjP12ihipStream_tbEUlT_E1_NS1_11comp_targetILNS1_3genE5ELNS1_11target_archE942ELNS1_3gpuE9ELNS1_3repE0EEENS1_59segmented_radix_sort_warp_sort_small_config_static_selectorELNS0_4arch9wavefront6targetE1EEEvSK_.numbered_sgpr, 0
	.set _ZN7rocprim17ROCPRIM_400000_NS6detail17trampoline_kernelINS0_14default_configENS1_36segmented_radix_sort_config_selectorIhlEEZNS1_25segmented_radix_sort_implIS3_Lb1EPKhPhPKlPlN2at6native12_GLOBAL__N_18offset_tEEE10hipError_tPvRmT1_PNSt15iterator_traitsISK_E10value_typeET2_T3_PNSL_ISQ_E10value_typeET4_jRbjT5_SW_jjP12ihipStream_tbEUlT_E1_NS1_11comp_targetILNS1_3genE5ELNS1_11target_archE942ELNS1_3gpuE9ELNS1_3repE0EEENS1_59segmented_radix_sort_warp_sort_small_config_static_selectorELNS0_4arch9wavefront6targetE1EEEvSK_.num_named_barrier, 0
	.set _ZN7rocprim17ROCPRIM_400000_NS6detail17trampoline_kernelINS0_14default_configENS1_36segmented_radix_sort_config_selectorIhlEEZNS1_25segmented_radix_sort_implIS3_Lb1EPKhPhPKlPlN2at6native12_GLOBAL__N_18offset_tEEE10hipError_tPvRmT1_PNSt15iterator_traitsISK_E10value_typeET2_T3_PNSL_ISQ_E10value_typeET4_jRbjT5_SW_jjP12ihipStream_tbEUlT_E1_NS1_11comp_targetILNS1_3genE5ELNS1_11target_archE942ELNS1_3gpuE9ELNS1_3repE0EEENS1_59segmented_radix_sort_warp_sort_small_config_static_selectorELNS0_4arch9wavefront6targetE1EEEvSK_.private_seg_size, 0
	.set _ZN7rocprim17ROCPRIM_400000_NS6detail17trampoline_kernelINS0_14default_configENS1_36segmented_radix_sort_config_selectorIhlEEZNS1_25segmented_radix_sort_implIS3_Lb1EPKhPhPKlPlN2at6native12_GLOBAL__N_18offset_tEEE10hipError_tPvRmT1_PNSt15iterator_traitsISK_E10value_typeET2_T3_PNSL_ISQ_E10value_typeET4_jRbjT5_SW_jjP12ihipStream_tbEUlT_E1_NS1_11comp_targetILNS1_3genE5ELNS1_11target_archE942ELNS1_3gpuE9ELNS1_3repE0EEENS1_59segmented_radix_sort_warp_sort_small_config_static_selectorELNS0_4arch9wavefront6targetE1EEEvSK_.uses_vcc, 0
	.set _ZN7rocprim17ROCPRIM_400000_NS6detail17trampoline_kernelINS0_14default_configENS1_36segmented_radix_sort_config_selectorIhlEEZNS1_25segmented_radix_sort_implIS3_Lb1EPKhPhPKlPlN2at6native12_GLOBAL__N_18offset_tEEE10hipError_tPvRmT1_PNSt15iterator_traitsISK_E10value_typeET2_T3_PNSL_ISQ_E10value_typeET4_jRbjT5_SW_jjP12ihipStream_tbEUlT_E1_NS1_11comp_targetILNS1_3genE5ELNS1_11target_archE942ELNS1_3gpuE9ELNS1_3repE0EEENS1_59segmented_radix_sort_warp_sort_small_config_static_selectorELNS0_4arch9wavefront6targetE1EEEvSK_.uses_flat_scratch, 0
	.set _ZN7rocprim17ROCPRIM_400000_NS6detail17trampoline_kernelINS0_14default_configENS1_36segmented_radix_sort_config_selectorIhlEEZNS1_25segmented_radix_sort_implIS3_Lb1EPKhPhPKlPlN2at6native12_GLOBAL__N_18offset_tEEE10hipError_tPvRmT1_PNSt15iterator_traitsISK_E10value_typeET2_T3_PNSL_ISQ_E10value_typeET4_jRbjT5_SW_jjP12ihipStream_tbEUlT_E1_NS1_11comp_targetILNS1_3genE5ELNS1_11target_archE942ELNS1_3gpuE9ELNS1_3repE0EEENS1_59segmented_radix_sort_warp_sort_small_config_static_selectorELNS0_4arch9wavefront6targetE1EEEvSK_.has_dyn_sized_stack, 0
	.set _ZN7rocprim17ROCPRIM_400000_NS6detail17trampoline_kernelINS0_14default_configENS1_36segmented_radix_sort_config_selectorIhlEEZNS1_25segmented_radix_sort_implIS3_Lb1EPKhPhPKlPlN2at6native12_GLOBAL__N_18offset_tEEE10hipError_tPvRmT1_PNSt15iterator_traitsISK_E10value_typeET2_T3_PNSL_ISQ_E10value_typeET4_jRbjT5_SW_jjP12ihipStream_tbEUlT_E1_NS1_11comp_targetILNS1_3genE5ELNS1_11target_archE942ELNS1_3gpuE9ELNS1_3repE0EEENS1_59segmented_radix_sort_warp_sort_small_config_static_selectorELNS0_4arch9wavefront6targetE1EEEvSK_.has_recursion, 0
	.set _ZN7rocprim17ROCPRIM_400000_NS6detail17trampoline_kernelINS0_14default_configENS1_36segmented_radix_sort_config_selectorIhlEEZNS1_25segmented_radix_sort_implIS3_Lb1EPKhPhPKlPlN2at6native12_GLOBAL__N_18offset_tEEE10hipError_tPvRmT1_PNSt15iterator_traitsISK_E10value_typeET2_T3_PNSL_ISQ_E10value_typeET4_jRbjT5_SW_jjP12ihipStream_tbEUlT_E1_NS1_11comp_targetILNS1_3genE5ELNS1_11target_archE942ELNS1_3gpuE9ELNS1_3repE0EEENS1_59segmented_radix_sort_warp_sort_small_config_static_selectorELNS0_4arch9wavefront6targetE1EEEvSK_.has_indirect_call, 0
	.section	.AMDGPU.csdata,"",@progbits
; Kernel info:
; codeLenInByte = 0
; TotalNumSgprs: 4
; NumVgprs: 0
; ScratchSize: 0
; MemoryBound: 0
; FloatMode: 240
; IeeeMode: 1
; LDSByteSize: 0 bytes/workgroup (compile time only)
; SGPRBlocks: 0
; VGPRBlocks: 0
; NumSGPRsForWavesPerEU: 4
; NumVGPRsForWavesPerEU: 1
; Occupancy: 10
; WaveLimiterHint : 0
; COMPUTE_PGM_RSRC2:SCRATCH_EN: 0
; COMPUTE_PGM_RSRC2:USER_SGPR: 6
; COMPUTE_PGM_RSRC2:TRAP_HANDLER: 0
; COMPUTE_PGM_RSRC2:TGID_X_EN: 1
; COMPUTE_PGM_RSRC2:TGID_Y_EN: 0
; COMPUTE_PGM_RSRC2:TGID_Z_EN: 0
; COMPUTE_PGM_RSRC2:TIDIG_COMP_CNT: 0
	.section	.text._ZN7rocprim17ROCPRIM_400000_NS6detail17trampoline_kernelINS0_14default_configENS1_36segmented_radix_sort_config_selectorIhlEEZNS1_25segmented_radix_sort_implIS3_Lb1EPKhPhPKlPlN2at6native12_GLOBAL__N_18offset_tEEE10hipError_tPvRmT1_PNSt15iterator_traitsISK_E10value_typeET2_T3_PNSL_ISQ_E10value_typeET4_jRbjT5_SW_jjP12ihipStream_tbEUlT_E1_NS1_11comp_targetILNS1_3genE4ELNS1_11target_archE910ELNS1_3gpuE8ELNS1_3repE0EEENS1_59segmented_radix_sort_warp_sort_small_config_static_selectorELNS0_4arch9wavefront6targetE1EEEvSK_,"axG",@progbits,_ZN7rocprim17ROCPRIM_400000_NS6detail17trampoline_kernelINS0_14default_configENS1_36segmented_radix_sort_config_selectorIhlEEZNS1_25segmented_radix_sort_implIS3_Lb1EPKhPhPKlPlN2at6native12_GLOBAL__N_18offset_tEEE10hipError_tPvRmT1_PNSt15iterator_traitsISK_E10value_typeET2_T3_PNSL_ISQ_E10value_typeET4_jRbjT5_SW_jjP12ihipStream_tbEUlT_E1_NS1_11comp_targetILNS1_3genE4ELNS1_11target_archE910ELNS1_3gpuE8ELNS1_3repE0EEENS1_59segmented_radix_sort_warp_sort_small_config_static_selectorELNS0_4arch9wavefront6targetE1EEEvSK_,comdat
	.globl	_ZN7rocprim17ROCPRIM_400000_NS6detail17trampoline_kernelINS0_14default_configENS1_36segmented_radix_sort_config_selectorIhlEEZNS1_25segmented_radix_sort_implIS3_Lb1EPKhPhPKlPlN2at6native12_GLOBAL__N_18offset_tEEE10hipError_tPvRmT1_PNSt15iterator_traitsISK_E10value_typeET2_T3_PNSL_ISQ_E10value_typeET4_jRbjT5_SW_jjP12ihipStream_tbEUlT_E1_NS1_11comp_targetILNS1_3genE4ELNS1_11target_archE910ELNS1_3gpuE8ELNS1_3repE0EEENS1_59segmented_radix_sort_warp_sort_small_config_static_selectorELNS0_4arch9wavefront6targetE1EEEvSK_ ; -- Begin function _ZN7rocprim17ROCPRIM_400000_NS6detail17trampoline_kernelINS0_14default_configENS1_36segmented_radix_sort_config_selectorIhlEEZNS1_25segmented_radix_sort_implIS3_Lb1EPKhPhPKlPlN2at6native12_GLOBAL__N_18offset_tEEE10hipError_tPvRmT1_PNSt15iterator_traitsISK_E10value_typeET2_T3_PNSL_ISQ_E10value_typeET4_jRbjT5_SW_jjP12ihipStream_tbEUlT_E1_NS1_11comp_targetILNS1_3genE4ELNS1_11target_archE910ELNS1_3gpuE8ELNS1_3repE0EEENS1_59segmented_radix_sort_warp_sort_small_config_static_selectorELNS0_4arch9wavefront6targetE1EEEvSK_
	.p2align	8
	.type	_ZN7rocprim17ROCPRIM_400000_NS6detail17trampoline_kernelINS0_14default_configENS1_36segmented_radix_sort_config_selectorIhlEEZNS1_25segmented_radix_sort_implIS3_Lb1EPKhPhPKlPlN2at6native12_GLOBAL__N_18offset_tEEE10hipError_tPvRmT1_PNSt15iterator_traitsISK_E10value_typeET2_T3_PNSL_ISQ_E10value_typeET4_jRbjT5_SW_jjP12ihipStream_tbEUlT_E1_NS1_11comp_targetILNS1_3genE4ELNS1_11target_archE910ELNS1_3gpuE8ELNS1_3repE0EEENS1_59segmented_radix_sort_warp_sort_small_config_static_selectorELNS0_4arch9wavefront6targetE1EEEvSK_,@function
_ZN7rocprim17ROCPRIM_400000_NS6detail17trampoline_kernelINS0_14default_configENS1_36segmented_radix_sort_config_selectorIhlEEZNS1_25segmented_radix_sort_implIS3_Lb1EPKhPhPKlPlN2at6native12_GLOBAL__N_18offset_tEEE10hipError_tPvRmT1_PNSt15iterator_traitsISK_E10value_typeET2_T3_PNSL_ISQ_E10value_typeET4_jRbjT5_SW_jjP12ihipStream_tbEUlT_E1_NS1_11comp_targetILNS1_3genE4ELNS1_11target_archE910ELNS1_3gpuE8ELNS1_3repE0EEENS1_59segmented_radix_sort_warp_sort_small_config_static_selectorELNS0_4arch9wavefront6targetE1EEEvSK_: ; @_ZN7rocprim17ROCPRIM_400000_NS6detail17trampoline_kernelINS0_14default_configENS1_36segmented_radix_sort_config_selectorIhlEEZNS1_25segmented_radix_sort_implIS3_Lb1EPKhPhPKlPlN2at6native12_GLOBAL__N_18offset_tEEE10hipError_tPvRmT1_PNSt15iterator_traitsISK_E10value_typeET2_T3_PNSL_ISQ_E10value_typeET4_jRbjT5_SW_jjP12ihipStream_tbEUlT_E1_NS1_11comp_targetILNS1_3genE4ELNS1_11target_archE910ELNS1_3gpuE8ELNS1_3repE0EEENS1_59segmented_radix_sort_warp_sort_small_config_static_selectorELNS0_4arch9wavefront6targetE1EEEvSK_
; %bb.0:
	.section	.rodata,"a",@progbits
	.p2align	6, 0x0
	.amdhsa_kernel _ZN7rocprim17ROCPRIM_400000_NS6detail17trampoline_kernelINS0_14default_configENS1_36segmented_radix_sort_config_selectorIhlEEZNS1_25segmented_radix_sort_implIS3_Lb1EPKhPhPKlPlN2at6native12_GLOBAL__N_18offset_tEEE10hipError_tPvRmT1_PNSt15iterator_traitsISK_E10value_typeET2_T3_PNSL_ISQ_E10value_typeET4_jRbjT5_SW_jjP12ihipStream_tbEUlT_E1_NS1_11comp_targetILNS1_3genE4ELNS1_11target_archE910ELNS1_3gpuE8ELNS1_3repE0EEENS1_59segmented_radix_sort_warp_sort_small_config_static_selectorELNS0_4arch9wavefront6targetE1EEEvSK_
		.amdhsa_group_segment_fixed_size 0
		.amdhsa_private_segment_fixed_size 0
		.amdhsa_kernarg_size 88
		.amdhsa_user_sgpr_count 6
		.amdhsa_user_sgpr_private_segment_buffer 1
		.amdhsa_user_sgpr_dispatch_ptr 0
		.amdhsa_user_sgpr_queue_ptr 0
		.amdhsa_user_sgpr_kernarg_segment_ptr 1
		.amdhsa_user_sgpr_dispatch_id 0
		.amdhsa_user_sgpr_flat_scratch_init 0
		.amdhsa_user_sgpr_private_segment_size 0
		.amdhsa_uses_dynamic_stack 0
		.amdhsa_system_sgpr_private_segment_wavefront_offset 0
		.amdhsa_system_sgpr_workgroup_id_x 1
		.amdhsa_system_sgpr_workgroup_id_y 0
		.amdhsa_system_sgpr_workgroup_id_z 0
		.amdhsa_system_sgpr_workgroup_info 0
		.amdhsa_system_vgpr_workitem_id 0
		.amdhsa_next_free_vgpr 1
		.amdhsa_next_free_sgpr 0
		.amdhsa_reserve_vcc 0
		.amdhsa_reserve_flat_scratch 0
		.amdhsa_float_round_mode_32 0
		.amdhsa_float_round_mode_16_64 0
		.amdhsa_float_denorm_mode_32 3
		.amdhsa_float_denorm_mode_16_64 3
		.amdhsa_dx10_clamp 1
		.amdhsa_ieee_mode 1
		.amdhsa_fp16_overflow 0
		.amdhsa_exception_fp_ieee_invalid_op 0
		.amdhsa_exception_fp_denorm_src 0
		.amdhsa_exception_fp_ieee_div_zero 0
		.amdhsa_exception_fp_ieee_overflow 0
		.amdhsa_exception_fp_ieee_underflow 0
		.amdhsa_exception_fp_ieee_inexact 0
		.amdhsa_exception_int_div_zero 0
	.end_amdhsa_kernel
	.section	.text._ZN7rocprim17ROCPRIM_400000_NS6detail17trampoline_kernelINS0_14default_configENS1_36segmented_radix_sort_config_selectorIhlEEZNS1_25segmented_radix_sort_implIS3_Lb1EPKhPhPKlPlN2at6native12_GLOBAL__N_18offset_tEEE10hipError_tPvRmT1_PNSt15iterator_traitsISK_E10value_typeET2_T3_PNSL_ISQ_E10value_typeET4_jRbjT5_SW_jjP12ihipStream_tbEUlT_E1_NS1_11comp_targetILNS1_3genE4ELNS1_11target_archE910ELNS1_3gpuE8ELNS1_3repE0EEENS1_59segmented_radix_sort_warp_sort_small_config_static_selectorELNS0_4arch9wavefront6targetE1EEEvSK_,"axG",@progbits,_ZN7rocprim17ROCPRIM_400000_NS6detail17trampoline_kernelINS0_14default_configENS1_36segmented_radix_sort_config_selectorIhlEEZNS1_25segmented_radix_sort_implIS3_Lb1EPKhPhPKlPlN2at6native12_GLOBAL__N_18offset_tEEE10hipError_tPvRmT1_PNSt15iterator_traitsISK_E10value_typeET2_T3_PNSL_ISQ_E10value_typeET4_jRbjT5_SW_jjP12ihipStream_tbEUlT_E1_NS1_11comp_targetILNS1_3genE4ELNS1_11target_archE910ELNS1_3gpuE8ELNS1_3repE0EEENS1_59segmented_radix_sort_warp_sort_small_config_static_selectorELNS0_4arch9wavefront6targetE1EEEvSK_,comdat
.Lfunc_end105:
	.size	_ZN7rocprim17ROCPRIM_400000_NS6detail17trampoline_kernelINS0_14default_configENS1_36segmented_radix_sort_config_selectorIhlEEZNS1_25segmented_radix_sort_implIS3_Lb1EPKhPhPKlPlN2at6native12_GLOBAL__N_18offset_tEEE10hipError_tPvRmT1_PNSt15iterator_traitsISK_E10value_typeET2_T3_PNSL_ISQ_E10value_typeET4_jRbjT5_SW_jjP12ihipStream_tbEUlT_E1_NS1_11comp_targetILNS1_3genE4ELNS1_11target_archE910ELNS1_3gpuE8ELNS1_3repE0EEENS1_59segmented_radix_sort_warp_sort_small_config_static_selectorELNS0_4arch9wavefront6targetE1EEEvSK_, .Lfunc_end105-_ZN7rocprim17ROCPRIM_400000_NS6detail17trampoline_kernelINS0_14default_configENS1_36segmented_radix_sort_config_selectorIhlEEZNS1_25segmented_radix_sort_implIS3_Lb1EPKhPhPKlPlN2at6native12_GLOBAL__N_18offset_tEEE10hipError_tPvRmT1_PNSt15iterator_traitsISK_E10value_typeET2_T3_PNSL_ISQ_E10value_typeET4_jRbjT5_SW_jjP12ihipStream_tbEUlT_E1_NS1_11comp_targetILNS1_3genE4ELNS1_11target_archE910ELNS1_3gpuE8ELNS1_3repE0EEENS1_59segmented_radix_sort_warp_sort_small_config_static_selectorELNS0_4arch9wavefront6targetE1EEEvSK_
                                        ; -- End function
	.set _ZN7rocprim17ROCPRIM_400000_NS6detail17trampoline_kernelINS0_14default_configENS1_36segmented_radix_sort_config_selectorIhlEEZNS1_25segmented_radix_sort_implIS3_Lb1EPKhPhPKlPlN2at6native12_GLOBAL__N_18offset_tEEE10hipError_tPvRmT1_PNSt15iterator_traitsISK_E10value_typeET2_T3_PNSL_ISQ_E10value_typeET4_jRbjT5_SW_jjP12ihipStream_tbEUlT_E1_NS1_11comp_targetILNS1_3genE4ELNS1_11target_archE910ELNS1_3gpuE8ELNS1_3repE0EEENS1_59segmented_radix_sort_warp_sort_small_config_static_selectorELNS0_4arch9wavefront6targetE1EEEvSK_.num_vgpr, 0
	.set _ZN7rocprim17ROCPRIM_400000_NS6detail17trampoline_kernelINS0_14default_configENS1_36segmented_radix_sort_config_selectorIhlEEZNS1_25segmented_radix_sort_implIS3_Lb1EPKhPhPKlPlN2at6native12_GLOBAL__N_18offset_tEEE10hipError_tPvRmT1_PNSt15iterator_traitsISK_E10value_typeET2_T3_PNSL_ISQ_E10value_typeET4_jRbjT5_SW_jjP12ihipStream_tbEUlT_E1_NS1_11comp_targetILNS1_3genE4ELNS1_11target_archE910ELNS1_3gpuE8ELNS1_3repE0EEENS1_59segmented_radix_sort_warp_sort_small_config_static_selectorELNS0_4arch9wavefront6targetE1EEEvSK_.num_agpr, 0
	.set _ZN7rocprim17ROCPRIM_400000_NS6detail17trampoline_kernelINS0_14default_configENS1_36segmented_radix_sort_config_selectorIhlEEZNS1_25segmented_radix_sort_implIS3_Lb1EPKhPhPKlPlN2at6native12_GLOBAL__N_18offset_tEEE10hipError_tPvRmT1_PNSt15iterator_traitsISK_E10value_typeET2_T3_PNSL_ISQ_E10value_typeET4_jRbjT5_SW_jjP12ihipStream_tbEUlT_E1_NS1_11comp_targetILNS1_3genE4ELNS1_11target_archE910ELNS1_3gpuE8ELNS1_3repE0EEENS1_59segmented_radix_sort_warp_sort_small_config_static_selectorELNS0_4arch9wavefront6targetE1EEEvSK_.numbered_sgpr, 0
	.set _ZN7rocprim17ROCPRIM_400000_NS6detail17trampoline_kernelINS0_14default_configENS1_36segmented_radix_sort_config_selectorIhlEEZNS1_25segmented_radix_sort_implIS3_Lb1EPKhPhPKlPlN2at6native12_GLOBAL__N_18offset_tEEE10hipError_tPvRmT1_PNSt15iterator_traitsISK_E10value_typeET2_T3_PNSL_ISQ_E10value_typeET4_jRbjT5_SW_jjP12ihipStream_tbEUlT_E1_NS1_11comp_targetILNS1_3genE4ELNS1_11target_archE910ELNS1_3gpuE8ELNS1_3repE0EEENS1_59segmented_radix_sort_warp_sort_small_config_static_selectorELNS0_4arch9wavefront6targetE1EEEvSK_.num_named_barrier, 0
	.set _ZN7rocprim17ROCPRIM_400000_NS6detail17trampoline_kernelINS0_14default_configENS1_36segmented_radix_sort_config_selectorIhlEEZNS1_25segmented_radix_sort_implIS3_Lb1EPKhPhPKlPlN2at6native12_GLOBAL__N_18offset_tEEE10hipError_tPvRmT1_PNSt15iterator_traitsISK_E10value_typeET2_T3_PNSL_ISQ_E10value_typeET4_jRbjT5_SW_jjP12ihipStream_tbEUlT_E1_NS1_11comp_targetILNS1_3genE4ELNS1_11target_archE910ELNS1_3gpuE8ELNS1_3repE0EEENS1_59segmented_radix_sort_warp_sort_small_config_static_selectorELNS0_4arch9wavefront6targetE1EEEvSK_.private_seg_size, 0
	.set _ZN7rocprim17ROCPRIM_400000_NS6detail17trampoline_kernelINS0_14default_configENS1_36segmented_radix_sort_config_selectorIhlEEZNS1_25segmented_radix_sort_implIS3_Lb1EPKhPhPKlPlN2at6native12_GLOBAL__N_18offset_tEEE10hipError_tPvRmT1_PNSt15iterator_traitsISK_E10value_typeET2_T3_PNSL_ISQ_E10value_typeET4_jRbjT5_SW_jjP12ihipStream_tbEUlT_E1_NS1_11comp_targetILNS1_3genE4ELNS1_11target_archE910ELNS1_3gpuE8ELNS1_3repE0EEENS1_59segmented_radix_sort_warp_sort_small_config_static_selectorELNS0_4arch9wavefront6targetE1EEEvSK_.uses_vcc, 0
	.set _ZN7rocprim17ROCPRIM_400000_NS6detail17trampoline_kernelINS0_14default_configENS1_36segmented_radix_sort_config_selectorIhlEEZNS1_25segmented_radix_sort_implIS3_Lb1EPKhPhPKlPlN2at6native12_GLOBAL__N_18offset_tEEE10hipError_tPvRmT1_PNSt15iterator_traitsISK_E10value_typeET2_T3_PNSL_ISQ_E10value_typeET4_jRbjT5_SW_jjP12ihipStream_tbEUlT_E1_NS1_11comp_targetILNS1_3genE4ELNS1_11target_archE910ELNS1_3gpuE8ELNS1_3repE0EEENS1_59segmented_radix_sort_warp_sort_small_config_static_selectorELNS0_4arch9wavefront6targetE1EEEvSK_.uses_flat_scratch, 0
	.set _ZN7rocprim17ROCPRIM_400000_NS6detail17trampoline_kernelINS0_14default_configENS1_36segmented_radix_sort_config_selectorIhlEEZNS1_25segmented_radix_sort_implIS3_Lb1EPKhPhPKlPlN2at6native12_GLOBAL__N_18offset_tEEE10hipError_tPvRmT1_PNSt15iterator_traitsISK_E10value_typeET2_T3_PNSL_ISQ_E10value_typeET4_jRbjT5_SW_jjP12ihipStream_tbEUlT_E1_NS1_11comp_targetILNS1_3genE4ELNS1_11target_archE910ELNS1_3gpuE8ELNS1_3repE0EEENS1_59segmented_radix_sort_warp_sort_small_config_static_selectorELNS0_4arch9wavefront6targetE1EEEvSK_.has_dyn_sized_stack, 0
	.set _ZN7rocprim17ROCPRIM_400000_NS6detail17trampoline_kernelINS0_14default_configENS1_36segmented_radix_sort_config_selectorIhlEEZNS1_25segmented_radix_sort_implIS3_Lb1EPKhPhPKlPlN2at6native12_GLOBAL__N_18offset_tEEE10hipError_tPvRmT1_PNSt15iterator_traitsISK_E10value_typeET2_T3_PNSL_ISQ_E10value_typeET4_jRbjT5_SW_jjP12ihipStream_tbEUlT_E1_NS1_11comp_targetILNS1_3genE4ELNS1_11target_archE910ELNS1_3gpuE8ELNS1_3repE0EEENS1_59segmented_radix_sort_warp_sort_small_config_static_selectorELNS0_4arch9wavefront6targetE1EEEvSK_.has_recursion, 0
	.set _ZN7rocprim17ROCPRIM_400000_NS6detail17trampoline_kernelINS0_14default_configENS1_36segmented_radix_sort_config_selectorIhlEEZNS1_25segmented_radix_sort_implIS3_Lb1EPKhPhPKlPlN2at6native12_GLOBAL__N_18offset_tEEE10hipError_tPvRmT1_PNSt15iterator_traitsISK_E10value_typeET2_T3_PNSL_ISQ_E10value_typeET4_jRbjT5_SW_jjP12ihipStream_tbEUlT_E1_NS1_11comp_targetILNS1_3genE4ELNS1_11target_archE910ELNS1_3gpuE8ELNS1_3repE0EEENS1_59segmented_radix_sort_warp_sort_small_config_static_selectorELNS0_4arch9wavefront6targetE1EEEvSK_.has_indirect_call, 0
	.section	.AMDGPU.csdata,"",@progbits
; Kernel info:
; codeLenInByte = 0
; TotalNumSgprs: 4
; NumVgprs: 0
; ScratchSize: 0
; MemoryBound: 0
; FloatMode: 240
; IeeeMode: 1
; LDSByteSize: 0 bytes/workgroup (compile time only)
; SGPRBlocks: 0
; VGPRBlocks: 0
; NumSGPRsForWavesPerEU: 4
; NumVGPRsForWavesPerEU: 1
; Occupancy: 10
; WaveLimiterHint : 0
; COMPUTE_PGM_RSRC2:SCRATCH_EN: 0
; COMPUTE_PGM_RSRC2:USER_SGPR: 6
; COMPUTE_PGM_RSRC2:TRAP_HANDLER: 0
; COMPUTE_PGM_RSRC2:TGID_X_EN: 1
; COMPUTE_PGM_RSRC2:TGID_Y_EN: 0
; COMPUTE_PGM_RSRC2:TGID_Z_EN: 0
; COMPUTE_PGM_RSRC2:TIDIG_COMP_CNT: 0
	.section	.text._ZN7rocprim17ROCPRIM_400000_NS6detail17trampoline_kernelINS0_14default_configENS1_36segmented_radix_sort_config_selectorIhlEEZNS1_25segmented_radix_sort_implIS3_Lb1EPKhPhPKlPlN2at6native12_GLOBAL__N_18offset_tEEE10hipError_tPvRmT1_PNSt15iterator_traitsISK_E10value_typeET2_T3_PNSL_ISQ_E10value_typeET4_jRbjT5_SW_jjP12ihipStream_tbEUlT_E1_NS1_11comp_targetILNS1_3genE3ELNS1_11target_archE908ELNS1_3gpuE7ELNS1_3repE0EEENS1_59segmented_radix_sort_warp_sort_small_config_static_selectorELNS0_4arch9wavefront6targetE1EEEvSK_,"axG",@progbits,_ZN7rocprim17ROCPRIM_400000_NS6detail17trampoline_kernelINS0_14default_configENS1_36segmented_radix_sort_config_selectorIhlEEZNS1_25segmented_radix_sort_implIS3_Lb1EPKhPhPKlPlN2at6native12_GLOBAL__N_18offset_tEEE10hipError_tPvRmT1_PNSt15iterator_traitsISK_E10value_typeET2_T3_PNSL_ISQ_E10value_typeET4_jRbjT5_SW_jjP12ihipStream_tbEUlT_E1_NS1_11comp_targetILNS1_3genE3ELNS1_11target_archE908ELNS1_3gpuE7ELNS1_3repE0EEENS1_59segmented_radix_sort_warp_sort_small_config_static_selectorELNS0_4arch9wavefront6targetE1EEEvSK_,comdat
	.globl	_ZN7rocprim17ROCPRIM_400000_NS6detail17trampoline_kernelINS0_14default_configENS1_36segmented_radix_sort_config_selectorIhlEEZNS1_25segmented_radix_sort_implIS3_Lb1EPKhPhPKlPlN2at6native12_GLOBAL__N_18offset_tEEE10hipError_tPvRmT1_PNSt15iterator_traitsISK_E10value_typeET2_T3_PNSL_ISQ_E10value_typeET4_jRbjT5_SW_jjP12ihipStream_tbEUlT_E1_NS1_11comp_targetILNS1_3genE3ELNS1_11target_archE908ELNS1_3gpuE7ELNS1_3repE0EEENS1_59segmented_radix_sort_warp_sort_small_config_static_selectorELNS0_4arch9wavefront6targetE1EEEvSK_ ; -- Begin function _ZN7rocprim17ROCPRIM_400000_NS6detail17trampoline_kernelINS0_14default_configENS1_36segmented_radix_sort_config_selectorIhlEEZNS1_25segmented_radix_sort_implIS3_Lb1EPKhPhPKlPlN2at6native12_GLOBAL__N_18offset_tEEE10hipError_tPvRmT1_PNSt15iterator_traitsISK_E10value_typeET2_T3_PNSL_ISQ_E10value_typeET4_jRbjT5_SW_jjP12ihipStream_tbEUlT_E1_NS1_11comp_targetILNS1_3genE3ELNS1_11target_archE908ELNS1_3gpuE7ELNS1_3repE0EEENS1_59segmented_radix_sort_warp_sort_small_config_static_selectorELNS0_4arch9wavefront6targetE1EEEvSK_
	.p2align	8
	.type	_ZN7rocprim17ROCPRIM_400000_NS6detail17trampoline_kernelINS0_14default_configENS1_36segmented_radix_sort_config_selectorIhlEEZNS1_25segmented_radix_sort_implIS3_Lb1EPKhPhPKlPlN2at6native12_GLOBAL__N_18offset_tEEE10hipError_tPvRmT1_PNSt15iterator_traitsISK_E10value_typeET2_T3_PNSL_ISQ_E10value_typeET4_jRbjT5_SW_jjP12ihipStream_tbEUlT_E1_NS1_11comp_targetILNS1_3genE3ELNS1_11target_archE908ELNS1_3gpuE7ELNS1_3repE0EEENS1_59segmented_radix_sort_warp_sort_small_config_static_selectorELNS0_4arch9wavefront6targetE1EEEvSK_,@function
_ZN7rocprim17ROCPRIM_400000_NS6detail17trampoline_kernelINS0_14default_configENS1_36segmented_radix_sort_config_selectorIhlEEZNS1_25segmented_radix_sort_implIS3_Lb1EPKhPhPKlPlN2at6native12_GLOBAL__N_18offset_tEEE10hipError_tPvRmT1_PNSt15iterator_traitsISK_E10value_typeET2_T3_PNSL_ISQ_E10value_typeET4_jRbjT5_SW_jjP12ihipStream_tbEUlT_E1_NS1_11comp_targetILNS1_3genE3ELNS1_11target_archE908ELNS1_3gpuE7ELNS1_3repE0EEENS1_59segmented_radix_sort_warp_sort_small_config_static_selectorELNS0_4arch9wavefront6targetE1EEEvSK_: ; @_ZN7rocprim17ROCPRIM_400000_NS6detail17trampoline_kernelINS0_14default_configENS1_36segmented_radix_sort_config_selectorIhlEEZNS1_25segmented_radix_sort_implIS3_Lb1EPKhPhPKlPlN2at6native12_GLOBAL__N_18offset_tEEE10hipError_tPvRmT1_PNSt15iterator_traitsISK_E10value_typeET2_T3_PNSL_ISQ_E10value_typeET4_jRbjT5_SW_jjP12ihipStream_tbEUlT_E1_NS1_11comp_targetILNS1_3genE3ELNS1_11target_archE908ELNS1_3gpuE7ELNS1_3repE0EEENS1_59segmented_radix_sort_warp_sort_small_config_static_selectorELNS0_4arch9wavefront6targetE1EEEvSK_
; %bb.0:
	.section	.rodata,"a",@progbits
	.p2align	6, 0x0
	.amdhsa_kernel _ZN7rocprim17ROCPRIM_400000_NS6detail17trampoline_kernelINS0_14default_configENS1_36segmented_radix_sort_config_selectorIhlEEZNS1_25segmented_radix_sort_implIS3_Lb1EPKhPhPKlPlN2at6native12_GLOBAL__N_18offset_tEEE10hipError_tPvRmT1_PNSt15iterator_traitsISK_E10value_typeET2_T3_PNSL_ISQ_E10value_typeET4_jRbjT5_SW_jjP12ihipStream_tbEUlT_E1_NS1_11comp_targetILNS1_3genE3ELNS1_11target_archE908ELNS1_3gpuE7ELNS1_3repE0EEENS1_59segmented_radix_sort_warp_sort_small_config_static_selectorELNS0_4arch9wavefront6targetE1EEEvSK_
		.amdhsa_group_segment_fixed_size 0
		.amdhsa_private_segment_fixed_size 0
		.amdhsa_kernarg_size 88
		.amdhsa_user_sgpr_count 6
		.amdhsa_user_sgpr_private_segment_buffer 1
		.amdhsa_user_sgpr_dispatch_ptr 0
		.amdhsa_user_sgpr_queue_ptr 0
		.amdhsa_user_sgpr_kernarg_segment_ptr 1
		.amdhsa_user_sgpr_dispatch_id 0
		.amdhsa_user_sgpr_flat_scratch_init 0
		.amdhsa_user_sgpr_private_segment_size 0
		.amdhsa_uses_dynamic_stack 0
		.amdhsa_system_sgpr_private_segment_wavefront_offset 0
		.amdhsa_system_sgpr_workgroup_id_x 1
		.amdhsa_system_sgpr_workgroup_id_y 0
		.amdhsa_system_sgpr_workgroup_id_z 0
		.amdhsa_system_sgpr_workgroup_info 0
		.amdhsa_system_vgpr_workitem_id 0
		.amdhsa_next_free_vgpr 1
		.amdhsa_next_free_sgpr 0
		.amdhsa_reserve_vcc 0
		.amdhsa_reserve_flat_scratch 0
		.amdhsa_float_round_mode_32 0
		.amdhsa_float_round_mode_16_64 0
		.amdhsa_float_denorm_mode_32 3
		.amdhsa_float_denorm_mode_16_64 3
		.amdhsa_dx10_clamp 1
		.amdhsa_ieee_mode 1
		.amdhsa_fp16_overflow 0
		.amdhsa_exception_fp_ieee_invalid_op 0
		.amdhsa_exception_fp_denorm_src 0
		.amdhsa_exception_fp_ieee_div_zero 0
		.amdhsa_exception_fp_ieee_overflow 0
		.amdhsa_exception_fp_ieee_underflow 0
		.amdhsa_exception_fp_ieee_inexact 0
		.amdhsa_exception_int_div_zero 0
	.end_amdhsa_kernel
	.section	.text._ZN7rocprim17ROCPRIM_400000_NS6detail17trampoline_kernelINS0_14default_configENS1_36segmented_radix_sort_config_selectorIhlEEZNS1_25segmented_radix_sort_implIS3_Lb1EPKhPhPKlPlN2at6native12_GLOBAL__N_18offset_tEEE10hipError_tPvRmT1_PNSt15iterator_traitsISK_E10value_typeET2_T3_PNSL_ISQ_E10value_typeET4_jRbjT5_SW_jjP12ihipStream_tbEUlT_E1_NS1_11comp_targetILNS1_3genE3ELNS1_11target_archE908ELNS1_3gpuE7ELNS1_3repE0EEENS1_59segmented_radix_sort_warp_sort_small_config_static_selectorELNS0_4arch9wavefront6targetE1EEEvSK_,"axG",@progbits,_ZN7rocprim17ROCPRIM_400000_NS6detail17trampoline_kernelINS0_14default_configENS1_36segmented_radix_sort_config_selectorIhlEEZNS1_25segmented_radix_sort_implIS3_Lb1EPKhPhPKlPlN2at6native12_GLOBAL__N_18offset_tEEE10hipError_tPvRmT1_PNSt15iterator_traitsISK_E10value_typeET2_T3_PNSL_ISQ_E10value_typeET4_jRbjT5_SW_jjP12ihipStream_tbEUlT_E1_NS1_11comp_targetILNS1_3genE3ELNS1_11target_archE908ELNS1_3gpuE7ELNS1_3repE0EEENS1_59segmented_radix_sort_warp_sort_small_config_static_selectorELNS0_4arch9wavefront6targetE1EEEvSK_,comdat
.Lfunc_end106:
	.size	_ZN7rocprim17ROCPRIM_400000_NS6detail17trampoline_kernelINS0_14default_configENS1_36segmented_radix_sort_config_selectorIhlEEZNS1_25segmented_radix_sort_implIS3_Lb1EPKhPhPKlPlN2at6native12_GLOBAL__N_18offset_tEEE10hipError_tPvRmT1_PNSt15iterator_traitsISK_E10value_typeET2_T3_PNSL_ISQ_E10value_typeET4_jRbjT5_SW_jjP12ihipStream_tbEUlT_E1_NS1_11comp_targetILNS1_3genE3ELNS1_11target_archE908ELNS1_3gpuE7ELNS1_3repE0EEENS1_59segmented_radix_sort_warp_sort_small_config_static_selectorELNS0_4arch9wavefront6targetE1EEEvSK_, .Lfunc_end106-_ZN7rocprim17ROCPRIM_400000_NS6detail17trampoline_kernelINS0_14default_configENS1_36segmented_radix_sort_config_selectorIhlEEZNS1_25segmented_radix_sort_implIS3_Lb1EPKhPhPKlPlN2at6native12_GLOBAL__N_18offset_tEEE10hipError_tPvRmT1_PNSt15iterator_traitsISK_E10value_typeET2_T3_PNSL_ISQ_E10value_typeET4_jRbjT5_SW_jjP12ihipStream_tbEUlT_E1_NS1_11comp_targetILNS1_3genE3ELNS1_11target_archE908ELNS1_3gpuE7ELNS1_3repE0EEENS1_59segmented_radix_sort_warp_sort_small_config_static_selectorELNS0_4arch9wavefront6targetE1EEEvSK_
                                        ; -- End function
	.set _ZN7rocprim17ROCPRIM_400000_NS6detail17trampoline_kernelINS0_14default_configENS1_36segmented_radix_sort_config_selectorIhlEEZNS1_25segmented_radix_sort_implIS3_Lb1EPKhPhPKlPlN2at6native12_GLOBAL__N_18offset_tEEE10hipError_tPvRmT1_PNSt15iterator_traitsISK_E10value_typeET2_T3_PNSL_ISQ_E10value_typeET4_jRbjT5_SW_jjP12ihipStream_tbEUlT_E1_NS1_11comp_targetILNS1_3genE3ELNS1_11target_archE908ELNS1_3gpuE7ELNS1_3repE0EEENS1_59segmented_radix_sort_warp_sort_small_config_static_selectorELNS0_4arch9wavefront6targetE1EEEvSK_.num_vgpr, 0
	.set _ZN7rocprim17ROCPRIM_400000_NS6detail17trampoline_kernelINS0_14default_configENS1_36segmented_radix_sort_config_selectorIhlEEZNS1_25segmented_radix_sort_implIS3_Lb1EPKhPhPKlPlN2at6native12_GLOBAL__N_18offset_tEEE10hipError_tPvRmT1_PNSt15iterator_traitsISK_E10value_typeET2_T3_PNSL_ISQ_E10value_typeET4_jRbjT5_SW_jjP12ihipStream_tbEUlT_E1_NS1_11comp_targetILNS1_3genE3ELNS1_11target_archE908ELNS1_3gpuE7ELNS1_3repE0EEENS1_59segmented_radix_sort_warp_sort_small_config_static_selectorELNS0_4arch9wavefront6targetE1EEEvSK_.num_agpr, 0
	.set _ZN7rocprim17ROCPRIM_400000_NS6detail17trampoline_kernelINS0_14default_configENS1_36segmented_radix_sort_config_selectorIhlEEZNS1_25segmented_radix_sort_implIS3_Lb1EPKhPhPKlPlN2at6native12_GLOBAL__N_18offset_tEEE10hipError_tPvRmT1_PNSt15iterator_traitsISK_E10value_typeET2_T3_PNSL_ISQ_E10value_typeET4_jRbjT5_SW_jjP12ihipStream_tbEUlT_E1_NS1_11comp_targetILNS1_3genE3ELNS1_11target_archE908ELNS1_3gpuE7ELNS1_3repE0EEENS1_59segmented_radix_sort_warp_sort_small_config_static_selectorELNS0_4arch9wavefront6targetE1EEEvSK_.numbered_sgpr, 0
	.set _ZN7rocprim17ROCPRIM_400000_NS6detail17trampoline_kernelINS0_14default_configENS1_36segmented_radix_sort_config_selectorIhlEEZNS1_25segmented_radix_sort_implIS3_Lb1EPKhPhPKlPlN2at6native12_GLOBAL__N_18offset_tEEE10hipError_tPvRmT1_PNSt15iterator_traitsISK_E10value_typeET2_T3_PNSL_ISQ_E10value_typeET4_jRbjT5_SW_jjP12ihipStream_tbEUlT_E1_NS1_11comp_targetILNS1_3genE3ELNS1_11target_archE908ELNS1_3gpuE7ELNS1_3repE0EEENS1_59segmented_radix_sort_warp_sort_small_config_static_selectorELNS0_4arch9wavefront6targetE1EEEvSK_.num_named_barrier, 0
	.set _ZN7rocprim17ROCPRIM_400000_NS6detail17trampoline_kernelINS0_14default_configENS1_36segmented_radix_sort_config_selectorIhlEEZNS1_25segmented_radix_sort_implIS3_Lb1EPKhPhPKlPlN2at6native12_GLOBAL__N_18offset_tEEE10hipError_tPvRmT1_PNSt15iterator_traitsISK_E10value_typeET2_T3_PNSL_ISQ_E10value_typeET4_jRbjT5_SW_jjP12ihipStream_tbEUlT_E1_NS1_11comp_targetILNS1_3genE3ELNS1_11target_archE908ELNS1_3gpuE7ELNS1_3repE0EEENS1_59segmented_radix_sort_warp_sort_small_config_static_selectorELNS0_4arch9wavefront6targetE1EEEvSK_.private_seg_size, 0
	.set _ZN7rocprim17ROCPRIM_400000_NS6detail17trampoline_kernelINS0_14default_configENS1_36segmented_radix_sort_config_selectorIhlEEZNS1_25segmented_radix_sort_implIS3_Lb1EPKhPhPKlPlN2at6native12_GLOBAL__N_18offset_tEEE10hipError_tPvRmT1_PNSt15iterator_traitsISK_E10value_typeET2_T3_PNSL_ISQ_E10value_typeET4_jRbjT5_SW_jjP12ihipStream_tbEUlT_E1_NS1_11comp_targetILNS1_3genE3ELNS1_11target_archE908ELNS1_3gpuE7ELNS1_3repE0EEENS1_59segmented_radix_sort_warp_sort_small_config_static_selectorELNS0_4arch9wavefront6targetE1EEEvSK_.uses_vcc, 0
	.set _ZN7rocprim17ROCPRIM_400000_NS6detail17trampoline_kernelINS0_14default_configENS1_36segmented_radix_sort_config_selectorIhlEEZNS1_25segmented_radix_sort_implIS3_Lb1EPKhPhPKlPlN2at6native12_GLOBAL__N_18offset_tEEE10hipError_tPvRmT1_PNSt15iterator_traitsISK_E10value_typeET2_T3_PNSL_ISQ_E10value_typeET4_jRbjT5_SW_jjP12ihipStream_tbEUlT_E1_NS1_11comp_targetILNS1_3genE3ELNS1_11target_archE908ELNS1_3gpuE7ELNS1_3repE0EEENS1_59segmented_radix_sort_warp_sort_small_config_static_selectorELNS0_4arch9wavefront6targetE1EEEvSK_.uses_flat_scratch, 0
	.set _ZN7rocprim17ROCPRIM_400000_NS6detail17trampoline_kernelINS0_14default_configENS1_36segmented_radix_sort_config_selectorIhlEEZNS1_25segmented_radix_sort_implIS3_Lb1EPKhPhPKlPlN2at6native12_GLOBAL__N_18offset_tEEE10hipError_tPvRmT1_PNSt15iterator_traitsISK_E10value_typeET2_T3_PNSL_ISQ_E10value_typeET4_jRbjT5_SW_jjP12ihipStream_tbEUlT_E1_NS1_11comp_targetILNS1_3genE3ELNS1_11target_archE908ELNS1_3gpuE7ELNS1_3repE0EEENS1_59segmented_radix_sort_warp_sort_small_config_static_selectorELNS0_4arch9wavefront6targetE1EEEvSK_.has_dyn_sized_stack, 0
	.set _ZN7rocprim17ROCPRIM_400000_NS6detail17trampoline_kernelINS0_14default_configENS1_36segmented_radix_sort_config_selectorIhlEEZNS1_25segmented_radix_sort_implIS3_Lb1EPKhPhPKlPlN2at6native12_GLOBAL__N_18offset_tEEE10hipError_tPvRmT1_PNSt15iterator_traitsISK_E10value_typeET2_T3_PNSL_ISQ_E10value_typeET4_jRbjT5_SW_jjP12ihipStream_tbEUlT_E1_NS1_11comp_targetILNS1_3genE3ELNS1_11target_archE908ELNS1_3gpuE7ELNS1_3repE0EEENS1_59segmented_radix_sort_warp_sort_small_config_static_selectorELNS0_4arch9wavefront6targetE1EEEvSK_.has_recursion, 0
	.set _ZN7rocprim17ROCPRIM_400000_NS6detail17trampoline_kernelINS0_14default_configENS1_36segmented_radix_sort_config_selectorIhlEEZNS1_25segmented_radix_sort_implIS3_Lb1EPKhPhPKlPlN2at6native12_GLOBAL__N_18offset_tEEE10hipError_tPvRmT1_PNSt15iterator_traitsISK_E10value_typeET2_T3_PNSL_ISQ_E10value_typeET4_jRbjT5_SW_jjP12ihipStream_tbEUlT_E1_NS1_11comp_targetILNS1_3genE3ELNS1_11target_archE908ELNS1_3gpuE7ELNS1_3repE0EEENS1_59segmented_radix_sort_warp_sort_small_config_static_selectorELNS0_4arch9wavefront6targetE1EEEvSK_.has_indirect_call, 0
	.section	.AMDGPU.csdata,"",@progbits
; Kernel info:
; codeLenInByte = 0
; TotalNumSgprs: 4
; NumVgprs: 0
; ScratchSize: 0
; MemoryBound: 0
; FloatMode: 240
; IeeeMode: 1
; LDSByteSize: 0 bytes/workgroup (compile time only)
; SGPRBlocks: 0
; VGPRBlocks: 0
; NumSGPRsForWavesPerEU: 4
; NumVGPRsForWavesPerEU: 1
; Occupancy: 10
; WaveLimiterHint : 0
; COMPUTE_PGM_RSRC2:SCRATCH_EN: 0
; COMPUTE_PGM_RSRC2:USER_SGPR: 6
; COMPUTE_PGM_RSRC2:TRAP_HANDLER: 0
; COMPUTE_PGM_RSRC2:TGID_X_EN: 1
; COMPUTE_PGM_RSRC2:TGID_Y_EN: 0
; COMPUTE_PGM_RSRC2:TGID_Z_EN: 0
; COMPUTE_PGM_RSRC2:TIDIG_COMP_CNT: 0
	.text
	.p2align	2                               ; -- Begin function _ZN7rocprim17ROCPRIM_400000_NS6detail26segmented_warp_sort_helperINS1_20WarpSortHelperConfigILj8ELj4ELj256EEEhlLi256ELb1EvE4sortIPKhPhPKlPlEEvT_T0_T1_T2_jjjjRNS5_12storage_typeE
	.type	_ZN7rocprim17ROCPRIM_400000_NS6detail26segmented_warp_sort_helperINS1_20WarpSortHelperConfigILj8ELj4ELj256EEEhlLi256ELb1EvE4sortIPKhPhPKlPlEEvT_T0_T1_T2_jjjjRNS5_12storage_typeE,@function
_ZN7rocprim17ROCPRIM_400000_NS6detail26segmented_warp_sort_helperINS1_20WarpSortHelperConfigILj8ELj4ELj256EEEhlLi256ELb1EvE4sortIPKhPhPKlPlEEvT_T0_T1_T2_jjjjRNS5_12storage_typeE: ; @_ZN7rocprim17ROCPRIM_400000_NS6detail26segmented_warp_sort_helperINS1_20WarpSortHelperConfigILj8ELj4ELj256EEEhlLi256ELb1EvE4sortIPKhPhPKlPlEEvT_T0_T1_T2_jjjjRNS5_12storage_typeE
; %bb.0:
	s_waitcnt vmcnt(0) expcnt(0) lgkmcnt(0)
	v_mbcnt_lo_u32_b32 v15, -1, 0
	v_mbcnt_hi_u32_b32 v15, -1, v15
	v_add_co_u32_e32 v0, vcc, v0, v8
	v_lshlrev_b32_e32 v24, 2, v15
	v_addc_co_u32_e32 v1, vcc, 0, v1, vcc
	v_and_b32_e32 v22, 28, v24
	v_add_co_u32_e32 v0, vcc, v0, v22
	v_sub_u32_e32 v14, v9, v8
	v_mov_b32_e32 v9, 0
	v_addc_co_u32_e32 v1, vcc, 0, v1, vcc
	v_cmp_lt_u32_e32 vcc, v22, v14
	v_mov_b32_e32 v25, v9
	s_and_saveexec_b64 s[4:5], vcc
	s_cbranch_execz .LBB107_2
; %bb.1:
	flat_load_ubyte v25, v[0:1]
.LBB107_2:
	s_or_b64 exec, exec, s[4:5]
	v_or_b32_e32 v15, 1, v22
	v_cmp_lt_u32_e64 s[4:5], v15, v14
	s_and_saveexec_b64 s[6:7], s[4:5]
	s_cbranch_execz .LBB107_4
; %bb.3:
	flat_load_ubyte v15, v[0:1] offset:1
	s_waitcnt vmcnt(0) lgkmcnt(0)
	v_lshlrev_b16_e32 v15, 8, v15
	v_or_b32_e32 v15, v25, v15
	v_and_b32_e32 v25, 0xffff, v15
.LBB107_4:
	s_or_b64 exec, exec, s[6:7]
	v_or_b32_e32 v15, 2, v22
	v_cmp_lt_u32_e64 s[6:7], v15, v14
	s_and_saveexec_b64 s[10:11], s[6:7]
	s_cbranch_execz .LBB107_6
; %bb.5:
	flat_load_ubyte v15, v[0:1] offset:2
	s_waitcnt vmcnt(0) lgkmcnt(0)
	v_lshl_or_b32 v25, v15, 16, v25
.LBB107_6:
	s_or_b64 exec, exec, s[10:11]
	v_or_b32_e32 v15, 3, v22
	v_cmp_lt_u32_e64 s[10:11], v15, v14
	s_and_saveexec_b64 s[14:15], s[10:11]
	s_cbranch_execz .LBB107_8
; %bb.7:
	flat_load_ubyte v0, v[0:1] offset:3
	s_mov_b32 s16, 0xffff
	s_waitcnt vmcnt(0) lgkmcnt(0)
	v_lshlrev_b16_e32 v0, 8, v0
	v_or_b32_sdwa v0, v25, v0 dst_sel:WORD_1 dst_unused:UNUSED_PAD src0_sel:WORD_1 src1_sel:DWORD
	v_and_or_b32 v25, v25, s16, v0
.LBB107_8:
	s_or_b64 exec, exec, s[14:15]
	v_lshlrev_b64 v[0:1], 3, v[8:9]
	v_lshlrev_b32_e32 v23, 3, v22
	v_add_co_u32_e64 v4, s[14:15], v4, v0
	v_addc_co_u32_e64 v5, s[14:15], v5, v1, s[14:15]
	v_add_co_u32_e64 v20, s[14:15], v4, v23
	v_addc_co_u32_e64 v21, s[14:15], 0, v5, s[14:15]
	; wave barrier
                                        ; implicit-def: $vgpr4_vgpr5
	s_and_saveexec_b64 s[14:15], vcc
	s_cbranch_execnz .LBB107_107
; %bb.9:
	s_or_b64 exec, exec, s[14:15]
                                        ; implicit-def: $vgpr14_vgpr15
	s_and_saveexec_b64 s[14:15], s[4:5]
	s_cbranch_execnz .LBB107_108
.LBB107_10:
	s_or_b64 exec, exec, s[14:15]
                                        ; implicit-def: $vgpr18_vgpr19
	s_and_saveexec_b64 s[14:15], s[6:7]
	s_cbranch_execnz .LBB107_109
.LBB107_11:
	s_or_b64 exec, exec, s[14:15]
                                        ; implicit-def: $vgpr16_vgpr17
	s_and_saveexec_b64 s[14:15], s[10:11]
	s_cbranch_execz .LBB107_13
.LBB107_12:
	flat_load_dwordx2 v[16:17], v[20:21] offset:24
.LBB107_13:
	s_or_b64 exec, exec, s[14:15]
	v_cmp_ne_u32_e64 s[14:15], 0, v10
	v_cmp_ne_u32_e64 s[16:17], 8, v11
	s_or_b64 s[14:15], s[14:15], s[16:17]
	v_bfe_u32 v9, v31, 10, 10
	v_bfe_u32 v20, v31, 20, 10
	; wave barrier
	s_and_saveexec_b64 s[16:17], s[14:15]
	s_xor_b64 s[20:21], exec, s[16:17]
	s_cbranch_execz .LBB107_55
; %bb.14:
	s_load_dwordx2 s[14:15], s[8:9], 0x0
	v_mov_b32_e32 v21, 0
	v_lshlrev_b32_e64 v11, v11, -1
	v_lshlrev_b32_e64 v10, v10, -1
	s_waitcnt lgkmcnt(0)
	s_cmp_lt_u32 s13, s15
	s_cselect_b32 s15, 14, 20
	s_add_u32 s16, s8, s15
	s_addc_u32 s17, s9, 0
	s_cmp_lt_u32 s12, s14
	s_cselect_b32 s14, 12, 18
	s_add_u32 s14, s8, s14
	s_addc_u32 s15, s9, 0
	global_load_ushort v26, v21, s[16:17]
	global_load_ushort v27, v21, s[14:15]
	s_movk_i32 s14, 0x400
	s_waitcnt vmcnt(0)
	v_mad_u32_u24 v9, v20, v26, v9
	v_mul_lo_u32 v9, v9, v27
	v_and_b32_e32 v20, 0x3ff, v31
	v_xor_b32_e32 v26, v11, v10
	v_add_lshl_u32 v11, v9, v20, 2
	v_cmp_gt_u32_e64 s[14:15], s14, v11
	s_and_saveexec_b64 s[18:19], s[14:15]
	s_cbranch_execz .LBB107_24
; %bb.15:
	v_lshrrev_b32_e32 v10, 8, v25
	s_mov_b32 s14, 0x7060405
	v_and_b32_e32 v10, v10, v26
	v_and_b32_e32 v20, v25, v26
	v_perm_b32 v9, v25, v25, s14
	v_cmp_gt_u16_sdwa s[16:17], v10, v20 src0_sel:BYTE_0 src1_sel:BYTE_0
	v_cndmask_b32_e64 v25, v25, v9, s[16:17]
	v_lshrrev_b32_e32 v28, 16, v25
	v_lshrrev_b32_e32 v20, 24, v25
	v_and_b32_e32 v21, v20, v26
	v_and_b32_e32 v31, v28, v26
	v_mov_b32_e32 v9, v18
	v_lshrrev_b32_e32 v27, 8, v25
	v_cmp_gt_u16_sdwa s[22:23], v21, v31 src0_sel:DWORD src1_sel:BYTE_0
	v_mov_b32_e32 v10, v19
	v_mov_b32_e32 v29, v20
	s_and_saveexec_b64 s[14:15], s[22:23]
; %bb.16:
	v_mov_b32_e32 v9, v16
	v_mov_b32_e32 v10, v17
	;; [unrolled: 1-line block ×7, first 2 shown]
; %bb.17:
	s_or_b64 exec, exec, s[14:15]
	v_cndmask_b32_e64 v20, v14, v4, s[16:17]
	v_cndmask_b32_e64 v21, v15, v5, s[16:17]
	v_and_b32_e32 v30, v27, v26
	v_mov_b32_e32 v18, v20
	v_cmp_gt_u16_sdwa s[14:15], v31, v30 src0_sel:BYTE_0 src1_sel:BYTE_0
	v_mov_b32_e32 v19, v21
	s_and_saveexec_b64 s[22:23], s[14:15]
	s_xor_b64 s[14:15], exec, s[22:23]
; %bb.18:
	v_mov_b32_e32 v19, v10
	v_and_b32_e32 v30, v28, v26
	v_mov_b32_e32 v31, v27
	v_mov_b32_e32 v18, v9
	;; [unrolled: 1-line block ×3, first 2 shown]
	v_swap_b32 v27, v28
	v_mov_b32_e32 v10, v21
; %bb.19:
	s_or_b64 exec, exec, s[14:15]
	s_mov_b32 s14, 0xc0c0004
	v_perm_b32 v20, v28, v29, s14
	v_lshlrev_b32_e32 v20, 16, v20
	v_perm_b32 v21, v27, v25, s14
	v_perm_b32 v27, v25, v27, s14
	v_and_b32_e32 v25, v25, v26
	v_or_b32_e32 v21, v21, v20
	v_or_b32_e32 v20, v27, v20
	v_cmp_gt_u16_sdwa s[14:15], v30, v25 src0_sel:BYTE_0 src1_sel:BYTE_0
	v_cndmask_b32_e64 v25, v20, v21, s[14:15]
	v_lshrrev_b32_e32 v27, 16, v25
	v_lshrrev_b32_e32 v29, 24, v25
	v_and_b32_e32 v30, v29, v26
	v_and_b32_e32 v28, v27, v26
	v_mov_b32_e32 v21, v10
	v_cmp_gt_u16_sdwa s[24:25], v30, v28 src0_sel:DWORD src1_sel:BYTE_0
	v_mov_b32_e32 v20, v9
	s_and_saveexec_b64 s[22:23], s[24:25]
; %bb.20:
	v_mov_b32_e32 v21, v17
	s_mov_b32 s24, 0x6070504
	v_mov_b32_e32 v20, v16
	v_mov_b32_e32 v17, v10
	v_perm_b32 v25, v25, v25, s24
	v_mov_b32_e32 v16, v9
	v_mov_b32_e32 v28, v30
	;; [unrolled: 1-line block ×3, first 2 shown]
; %bb.21:
	s_or_b64 exec, exec, s[22:23]
	v_cndmask_b32_e64 v9, v4, v14, s[16:17]
	v_cndmask_b32_e64 v10, v5, v15, s[16:17]
	;; [unrolled: 1-line block ×4, first 2 shown]
	v_lshrrev_b32_e32 v9, 8, v25
	v_cndmask_b32_e64 v5, v10, v19, s[14:15]
	v_cndmask_b32_e64 v15, v19, v10, s[14:15]
	v_and_b32_e32 v9, v9, v26
	v_mov_b32_e32 v18, v20
	v_cmp_gt_u16_sdwa s[16:17], v28, v9 src0_sel:BYTE_0 src1_sel:BYTE_0
	v_mov_b32_e32 v19, v21
	s_and_saveexec_b64 s[14:15], s[16:17]
; %bb.22:
	v_mov_b32_e32 v19, v15
	s_mov_b32 s16, 0x7050004
	v_mov_b32_e32 v18, v14
	v_mov_b32_e32 v14, v20
	v_perm_b32 v25, v25, v27, s16
	v_mov_b32_e32 v15, v21
; %bb.23:
	s_or_b64 exec, exec, s[14:15]
.LBB107_24:
	s_or_b64 exec, exec, s[18:19]
	v_and_b32_e32 v20, 0xffffff00, v11
	v_add_co_u32_e64 v11, s[14:15], v12, v20
	v_addc_co_u32_e64 v12, s[14:15], 0, v13, s[14:15]
	s_movk_i32 s16, 0x400
	v_mad_u64_u32 v[9:10], s[14:15], v20, 7, v[11:12]
	v_sub_u32_e64 v10, s16, v20 clamp
	v_or_b32_e32 v20, 4, v24
	v_min_u32_e32 v32, v10, v20
	v_add_u32_e32 v20, 4, v32
	v_and_b32_e32 v28, 0x1f8, v24
	v_min_u32_e32 v33, v10, v20
	v_and_b32_e32 v20, 4, v24
	v_min_u32_e32 v29, v10, v20
	v_sub_u32_e32 v20, v32, v28
	v_sub_u32_e32 v21, v33, v32
	v_add_co_u32_e64 v12, s[14:15], v11, v24
	v_sub_u32_e64 v31, v29, v21 clamp
	v_min_u32_e32 v20, v29, v20
	v_lshl_add_u32 v13, v24, 3, v9
	v_cmp_lt_u32_e64 s[14:15], v31, v20
	ds_write2_b64 v13, v[4:5], v[14:15] offset0:128 offset1:129
	ds_write_b64 v13, v[18:19] offset:1040
	ds_write_b32 v12, v25
	ds_write_b64 v13, v[16:17] offset:1048
	; wave barrier
	s_and_saveexec_b64 s[16:17], s[14:15]
	s_cbranch_execz .LBB107_28
; %bb.25:
	v_add_co_u32_e64 v21, s[14:15], v11, v28
	v_add_co_u32_e64 v27, s[14:15], v11, v32
	s_mov_b64 s[18:19], 0
.LBB107_26:                             ; =>This Inner Loop Header: Depth=1
	v_add_u32_e32 v30, v20, v31
	v_lshrrev_b32_e32 v30, 1, v30
	v_not_b32_e32 v34, v30
	v_add_u32_e32 v35, v21, v30
	v_add3_u32 v34, v29, v34, v27
	ds_read_u8 v35, v35
	ds_read_u8 v34, v34
	v_add_u32_e32 v36, 1, v30
	s_waitcnt lgkmcnt(1)
	v_and_b32_e32 v35, v35, v26
	s_waitcnt lgkmcnt(0)
	v_and_b32_e32 v34, v34, v26
	v_cmp_gt_u16_sdwa s[14:15], v34, v35 src0_sel:BYTE_0 src1_sel:BYTE_0
	v_cndmask_b32_e64 v20, v20, v30, s[14:15]
	v_cndmask_b32_e64 v31, v36, v31, s[14:15]
	v_cmp_ge_u32_e64 s[14:15], v31, v20
	s_or_b64 s[18:19], s[14:15], s[18:19]
	s_andn2_b64 exec, exec, s[18:19]
	s_cbranch_execnz .LBB107_26
; %bb.27:
	s_or_b64 exec, exec, s[18:19]
.LBB107_28:
	s_or_b64 exec, exec, s[16:17]
	v_add_u32_e32 v34, v31, v28
	v_add_u32_e32 v28, v32, v29
	v_sub_u32_e32 v35, v28, v31
	v_cmp_le_u32_e64 s[14:15], v34, v32
	v_cmp_le_u32_e64 s[16:17], v35, v33
	v_add_u32_e32 v27, 0x400, v13
	v_add_u32_e32 v21, 0x408, v13
	;; [unrolled: 1-line block ×4, first 2 shown]
	v_lshrrev_b32_e32 v30, 16, v25
	s_or_b64 s[14:15], s[14:15], s[16:17]
	v_lshrrev_b32_e32 v29, 8, v25
	v_lshrrev_b32_e32 v31, 24, v25
	v_mov_b32_e32 v28, v25
	s_and_saveexec_b64 s[22:23], s[14:15]
	s_cbranch_execz .LBB107_34
; %bb.29:
	v_cmp_lt_u32_e64 s[16:17], v34, v32
                                        ; implicit-def: $vgpr4
	s_and_saveexec_b64 s[14:15], s[16:17]
; %bb.30:
	v_add_u32_e32 v4, v11, v34
	ds_read_u8 v4, v4
; %bb.31:
	s_or_b64 exec, exec, s[14:15]
	v_cmp_ge_u32_e64 s[14:15], v35, v33
	v_cmp_lt_u32_e64 s[18:19], v35, v33
                                        ; implicit-def: $vgpr5
	s_and_saveexec_b64 s[24:25], s[18:19]
; %bb.32:
	v_add_u32_e32 v5, v11, v35
	ds_read_u8 v5, v5
; %bb.33:
	s_or_b64 exec, exec, s[24:25]
	s_waitcnt lgkmcnt(0)
	v_and_b32_e32 v14, v5, v26
	v_and_b32_e32 v15, v4, v26
	v_cmp_le_u16_sdwa s[18:19], v14, v15 src0_sel:BYTE_0 src1_sel:BYTE_0
	s_and_b64 s[16:17], s[16:17], s[18:19]
	s_or_b64 s[14:15], s[14:15], s[16:17]
	v_cndmask_b32_e64 v14, v35, v34, s[14:15]
	v_cndmask_b32_e64 v15, v33, v32, s[14:15]
	v_add_u32_e32 v16, 1, v14
	v_add_u32_e32 v15, -1, v15
	v_min_u32_e32 v15, v16, v15
	v_add_u32_e32 v15, v11, v15
	ds_read_u8 v15, v15
	v_cndmask_b32_e64 v28, v5, v4, s[14:15]
	v_cndmask_b32_e64 v18, v16, v35, s[14:15]
	;; [unrolled: 1-line block ×3, first 2 shown]
	v_cmp_lt_u32_e64 s[16:17], v16, v32
	s_waitcnt lgkmcnt(0)
	v_cndmask_b32_e64 v17, v15, v5, s[14:15]
	v_cndmask_b32_e64 v15, v4, v15, s[14:15]
	v_and_b32_e32 v4, v17, v26
	v_and_b32_e32 v5, v15, v26
	v_cmp_le_u16_sdwa s[18:19], v4, v5 src0_sel:BYTE_0 src1_sel:BYTE_0
	v_cmp_ge_u32_e64 s[14:15], v18, v33
	s_and_b64 s[16:17], s[16:17], s[18:19]
	s_or_b64 s[14:15], s[14:15], s[16:17]
	v_cndmask_b32_e64 v19, v18, v16, s[14:15]
	v_cndmask_b32_e64 v4, v33, v32, s[14:15]
	v_add_u32_e32 v25, 1, v19
	v_add_u32_e32 v4, -1, v4
	v_min_u32_e32 v4, v25, v4
	v_add_u32_e32 v4, v11, v4
	ds_read_u8 v30, v4
	v_cndmask_b32_e64 v29, v17, v15, s[14:15]
	v_cndmask_b32_e64 v34, v25, v18, s[14:15]
	;; [unrolled: 1-line block ×3, first 2 shown]
	v_cmp_lt_u32_e64 s[16:17], v16, v32
	s_waitcnt lgkmcnt(0)
	v_cndmask_b32_e64 v17, v30, v17, s[14:15]
	v_cndmask_b32_e64 v31, v15, v30, s[14:15]
	v_and_b32_e32 v15, v17, v26
	v_and_b32_e32 v18, v31, v26
	v_cmp_le_u16_sdwa s[18:19], v15, v18 src0_sel:BYTE_0 src1_sel:BYTE_0
	v_cmp_ge_u32_e64 s[14:15], v34, v33
	s_and_b64 s[16:17], s[16:17], s[18:19]
	s_or_b64 s[14:15], s[14:15], s[16:17]
	v_cndmask_b32_e64 v18, v34, v16, s[14:15]
	v_cndmask_b32_e64 v15, v33, v32, s[14:15]
	v_add_u32_e32 v25, 1, v18
	v_add_u32_e32 v15, -1, v15
	v_min_u32_e32 v15, v25, v15
	v_lshl_add_u32 v4, v14, 3, v9
	v_lshl_add_u32 v14, v19, 3, v9
	v_add_u32_e32 v15, v11, v15
	ds_read_b64 v[4:5], v4 offset:1024
	ds_read_u8 v35, v15
	ds_read_b64 v[14:15], v14 offset:1024
	v_cndmask_b32_e64 v30, v17, v31, s[14:15]
	v_cndmask_b32_e64 v16, v16, v25, s[14:15]
	;; [unrolled: 1-line block ×3, first 2 shown]
	s_waitcnt lgkmcnt(1)
	v_cndmask_b32_e64 v17, v35, v17, s[14:15]
	v_cndmask_b32_e64 v31, v31, v35, s[14:15]
	v_cmp_lt_u32_e64 s[16:17], v16, v32
	v_and_b32_e32 v25, v17, v26
	v_and_b32_e32 v32, v31, v26
	v_cmp_le_u16_sdwa s[18:19], v25, v32 src0_sel:BYTE_0 src1_sel:BYTE_0
	v_cmp_ge_u32_e64 s[14:15], v34, v33
	s_and_b64 s[16:17], s[16:17], s[18:19]
	s_or_b64 s[14:15], s[14:15], s[16:17]
	v_cndmask_b32_e64 v16, v34, v16, s[14:15]
	v_lshl_add_u32 v18, v18, 3, v9
	v_lshl_add_u32 v16, v16, 3, v9
	ds_read_b64 v[18:19], v18 offset:1024
	v_cndmask_b32_e64 v31, v17, v31, s[14:15]
	ds_read_b64 v[16:17], v16 offset:1024
	v_lshlrev_b16_e32 v25, 8, v31
	v_lshlrev_b16_e32 v32, 8, v29
	v_or_b32_sdwa v25, v30, v25 dst_sel:WORD_1 dst_unused:UNUSED_PAD src0_sel:BYTE_0 src1_sel:DWORD
	v_or_b32_sdwa v32, v28, v32 dst_sel:DWORD dst_unused:UNUSED_PAD src0_sel:BYTE_0 src1_sel:DWORD
	v_or_b32_sdwa v25, v32, v25 dst_sel:DWORD dst_unused:UNUSED_PAD src0_sel:WORD_0 src1_sel:DWORD
.LBB107_34:
	s_or_b64 exec, exec, s[22:23]
	v_and_b32_e32 v37, 0x1f0, v24
	v_or_b32_e32 v32, 8, v37
	v_min_u32_e32 v32, v10, v32
	v_add_u32_e32 v33, 8, v32
	v_min_u32_e32 v33, v10, v33
	v_and_b32_e32 v34, 12, v24
	v_min_u32_e32 v38, v10, v34
	v_sub_u32_e32 v34, v32, v37
	v_sub_u32_e32 v35, v33, v32
	v_sub_u32_e64 v39, v38, v35 clamp
	v_min_u32_e32 v34, v38, v34
	v_cmp_lt_u32_e64 s[14:15], v39, v34
	; wave barrier
	ds_write_b8 v12, v28
	ds_write_b64 v27, v[4:5]
	ds_write_b8 v12, v29 offset:1
	s_waitcnt lgkmcnt(5)
	ds_write_b64 v21, v[14:15]
	ds_write_b8 v12, v30 offset:2
	s_waitcnt lgkmcnt(6)
	;; [unrolled: 3-line block ×3, first 2 shown]
	ds_write_b64 v13, v[16:17]
	; wave barrier
	s_and_saveexec_b64 s[16:17], s[14:15]
	s_cbranch_execz .LBB107_38
; %bb.35:
	v_add_co_u32_e64 v35, s[14:15], v11, v37
	v_add_co_u32_e64 v36, s[14:15], v11, v32
	s_mov_b64 s[18:19], 0
.LBB107_36:                             ; =>This Inner Loop Header: Depth=1
	v_add_u32_e32 v48, v34, v39
	v_lshrrev_b32_e32 v48, 1, v48
	v_not_b32_e32 v49, v48
	v_add_u32_e32 v50, v35, v48
	v_add3_u32 v49, v38, v49, v36
	ds_read_u8 v50, v50
	ds_read_u8 v49, v49
	v_add_u32_e32 v51, 1, v48
	s_waitcnt lgkmcnt(1)
	v_and_b32_e32 v50, v50, v26
	s_waitcnt lgkmcnt(0)
	v_and_b32_e32 v49, v49, v26
	v_cmp_gt_u16_sdwa s[14:15], v49, v50 src0_sel:BYTE_0 src1_sel:BYTE_0
	v_cndmask_b32_e64 v34, v34, v48, s[14:15]
	v_cndmask_b32_e64 v39, v51, v39, s[14:15]
	v_cmp_ge_u32_e64 s[14:15], v39, v34
	s_or_b64 s[18:19], s[14:15], s[18:19]
	s_andn2_b64 exec, exec, s[18:19]
	s_cbranch_execnz .LBB107_36
; %bb.37:
	s_or_b64 exec, exec, s[18:19]
.LBB107_38:
	s_or_b64 exec, exec, s[16:17]
	v_add_u32_e32 v38, v32, v38
	v_add_u32_e32 v37, v39, v37
	v_sub_u32_e32 v38, v38, v39
	v_cmp_le_u32_e64 s[14:15], v37, v32
	v_cmp_le_u32_e64 s[16:17], v38, v33
	v_add_u32_e32 v36, 1, v12
	v_add_u32_e32 v35, 2, v12
	v_add_u32_e32 v34, 3, v12
	s_or_b64 s[14:15], s[14:15], s[16:17]
	s_and_saveexec_b64 s[22:23], s[14:15]
	s_cbranch_execz .LBB107_44
; %bb.39:
	v_cmp_lt_u32_e64 s[16:17], v37, v32
                                        ; implicit-def: $vgpr4
	s_and_saveexec_b64 s[14:15], s[16:17]
; %bb.40:
	v_add_u32_e32 v4, v11, v37
	ds_read_u8 v4, v4
; %bb.41:
	s_or_b64 exec, exec, s[14:15]
	v_cmp_ge_u32_e64 s[14:15], v38, v33
	v_cmp_lt_u32_e64 s[18:19], v38, v33
                                        ; implicit-def: $vgpr5
	s_and_saveexec_b64 s[24:25], s[18:19]
; %bb.42:
	v_add_u32_e32 v5, v11, v38
	ds_read_u8 v5, v5
; %bb.43:
	s_or_b64 exec, exec, s[24:25]
	s_waitcnt lgkmcnt(0)
	v_and_b32_e32 v14, v5, v26
	v_and_b32_e32 v15, v4, v26
	v_cmp_le_u16_sdwa s[18:19], v14, v15 src0_sel:BYTE_0 src1_sel:BYTE_0
	s_and_b64 s[16:17], s[16:17], s[18:19]
	s_or_b64 s[14:15], s[14:15], s[16:17]
	v_cndmask_b32_e64 v14, v38, v37, s[14:15]
	v_cndmask_b32_e64 v15, v33, v32, s[14:15]
	v_add_u32_e32 v16, 1, v14
	v_add_u32_e32 v15, -1, v15
	v_min_u32_e32 v15, v16, v15
	v_add_u32_e32 v15, v11, v15
	ds_read_u8 v15, v15
	v_cndmask_b32_e64 v28, v5, v4, s[14:15]
	v_cndmask_b32_e64 v18, v16, v38, s[14:15]
	;; [unrolled: 1-line block ×3, first 2 shown]
	v_cmp_lt_u32_e64 s[16:17], v16, v32
	s_waitcnt lgkmcnt(0)
	v_cndmask_b32_e64 v17, v15, v5, s[14:15]
	v_cndmask_b32_e64 v15, v4, v15, s[14:15]
	v_and_b32_e32 v4, v17, v26
	v_and_b32_e32 v5, v15, v26
	v_cmp_le_u16_sdwa s[18:19], v4, v5 src0_sel:BYTE_0 src1_sel:BYTE_0
	v_cmp_ge_u32_e64 s[14:15], v18, v33
	s_and_b64 s[16:17], s[16:17], s[18:19]
	s_or_b64 s[14:15], s[14:15], s[16:17]
	v_cndmask_b32_e64 v19, v18, v16, s[14:15]
	v_cndmask_b32_e64 v4, v33, v32, s[14:15]
	v_add_u32_e32 v25, 1, v19
	v_add_u32_e32 v4, -1, v4
	v_min_u32_e32 v4, v25, v4
	v_add_u32_e32 v4, v11, v4
	ds_read_u8 v30, v4
	v_cndmask_b32_e64 v29, v17, v15, s[14:15]
	v_cndmask_b32_e64 v37, v25, v18, s[14:15]
	v_cndmask_b32_e64 v16, v16, v25, s[14:15]
	v_cmp_lt_u32_e64 s[16:17], v16, v32
	s_waitcnt lgkmcnt(0)
	v_cndmask_b32_e64 v17, v30, v17, s[14:15]
	v_cndmask_b32_e64 v31, v15, v30, s[14:15]
	v_and_b32_e32 v15, v17, v26
	v_and_b32_e32 v18, v31, v26
	v_cmp_le_u16_sdwa s[18:19], v15, v18 src0_sel:BYTE_0 src1_sel:BYTE_0
	v_cmp_ge_u32_e64 s[14:15], v37, v33
	s_and_b64 s[16:17], s[16:17], s[18:19]
	s_or_b64 s[14:15], s[14:15], s[16:17]
	v_cndmask_b32_e64 v18, v37, v16, s[14:15]
	v_cndmask_b32_e64 v15, v33, v32, s[14:15]
	v_add_u32_e32 v25, 1, v18
	v_add_u32_e32 v15, -1, v15
	v_min_u32_e32 v15, v25, v15
	v_lshl_add_u32 v4, v14, 3, v9
	v_lshl_add_u32 v14, v19, 3, v9
	v_add_u32_e32 v15, v11, v15
	ds_read_b64 v[4:5], v4 offset:1024
	ds_read_u8 v38, v15
	ds_read_b64 v[14:15], v14 offset:1024
	v_cndmask_b32_e64 v30, v17, v31, s[14:15]
	v_cndmask_b32_e64 v16, v16, v25, s[14:15]
	;; [unrolled: 1-line block ×3, first 2 shown]
	s_waitcnt lgkmcnt(1)
	v_cndmask_b32_e64 v17, v38, v17, s[14:15]
	v_cndmask_b32_e64 v31, v31, v38, s[14:15]
	v_cmp_lt_u32_e64 s[16:17], v16, v32
	v_and_b32_e32 v25, v17, v26
	v_and_b32_e32 v32, v31, v26
	v_cmp_le_u16_sdwa s[18:19], v25, v32 src0_sel:BYTE_0 src1_sel:BYTE_0
	v_cmp_ge_u32_e64 s[14:15], v37, v33
	s_and_b64 s[16:17], s[16:17], s[18:19]
	s_or_b64 s[14:15], s[14:15], s[16:17]
	v_cndmask_b32_e64 v16, v37, v16, s[14:15]
	v_lshl_add_u32 v18, v18, 3, v9
	v_lshl_add_u32 v16, v16, 3, v9
	ds_read_b64 v[18:19], v18 offset:1024
	v_cndmask_b32_e64 v31, v17, v31, s[14:15]
	ds_read_b64 v[16:17], v16 offset:1024
	v_lshlrev_b16_e32 v25, 8, v31
	v_lshlrev_b16_e32 v32, 8, v29
	v_or_b32_sdwa v25, v30, v25 dst_sel:WORD_1 dst_unused:UNUSED_PAD src0_sel:BYTE_0 src1_sel:DWORD
	v_or_b32_sdwa v32, v28, v32 dst_sel:DWORD dst_unused:UNUSED_PAD src0_sel:BYTE_0 src1_sel:DWORD
	v_or_b32_sdwa v25, v32, v25 dst_sel:DWORD dst_unused:UNUSED_PAD src0_sel:WORD_0 src1_sel:DWORD
.LBB107_44:
	s_or_b64 exec, exec, s[22:23]
	; wave barrier
	ds_write_b8 v12, v28
	ds_write_b64 v27, v[4:5]
	ds_write_b8 v36, v29
	s_waitcnt lgkmcnt(5)
	ds_write_b64 v21, v[14:15]
	ds_write_b8 v35, v30
	s_waitcnt lgkmcnt(6)
	;; [unrolled: 3-line block ×3, first 2 shown]
	ds_write_b64 v13, v[16:17]
	v_and_b32_e32 v20, 0x1e0, v24
	v_or_b32_e32 v12, 16, v20
	v_min_u32_e32 v12, v10, v12
	v_add_u32_e32 v13, 16, v12
	v_min_u32_e32 v13, v10, v13
	v_min_u32_e32 v21, v10, v22
	v_sub_u32_e32 v10, v12, v20
	v_sub_u32_e32 v24, v13, v12
	v_sub_u32_e64 v24, v21, v24 clamp
	v_min_u32_e32 v10, v21, v10
	v_cmp_lt_u32_e64 s[14:15], v24, v10
	; wave barrier
	s_and_saveexec_b64 s[16:17], s[14:15]
	s_cbranch_execz .LBB107_48
; %bb.45:
	v_add_co_u32_e64 v27, s[14:15], v11, v20
	v_add_co_u32_e64 v28, s[14:15], v11, v12
	s_mov_b64 s[18:19], 0
.LBB107_46:                             ; =>This Inner Loop Header: Depth=1
	v_add_u32_e32 v29, v10, v24
	v_lshrrev_b32_e32 v29, 1, v29
	v_not_b32_e32 v30, v29
	v_add_u32_e32 v31, v27, v29
	v_add3_u32 v30, v21, v30, v28
	ds_read_u8 v31, v31
	ds_read_u8 v30, v30
	v_add_u32_e32 v32, 1, v29
	s_waitcnt lgkmcnt(1)
	v_and_b32_e32 v31, v31, v26
	s_waitcnt lgkmcnt(0)
	v_and_b32_e32 v30, v30, v26
	v_cmp_gt_u16_sdwa s[14:15], v30, v31 src0_sel:BYTE_0 src1_sel:BYTE_0
	v_cndmask_b32_e64 v10, v10, v29, s[14:15]
	v_cndmask_b32_e64 v24, v32, v24, s[14:15]
	v_cmp_ge_u32_e64 s[14:15], v24, v10
	s_or_b64 s[18:19], s[14:15], s[18:19]
	s_andn2_b64 exec, exec, s[18:19]
	s_cbranch_execnz .LBB107_46
; %bb.47:
	s_or_b64 exec, exec, s[18:19]
.LBB107_48:
	s_or_b64 exec, exec, s[16:17]
	v_add_u32_e32 v10, v24, v20
	v_add_u32_e32 v20, v12, v21
	v_sub_u32_e32 v20, v20, v24
	v_cmp_le_u32_e64 s[14:15], v10, v12
	v_cmp_le_u32_e64 s[16:17], v20, v13
	s_or_b64 s[14:15], s[14:15], s[16:17]
	s_and_saveexec_b64 s[22:23], s[14:15]
	s_cbranch_execz .LBB107_54
; %bb.49:
	v_cmp_lt_u32_e64 s[16:17], v10, v12
                                        ; implicit-def: $vgpr4
	s_and_saveexec_b64 s[14:15], s[16:17]
; %bb.50:
	v_add_u32_e32 v4, v11, v10
	ds_read_u8 v4, v4
; %bb.51:
	s_or_b64 exec, exec, s[14:15]
	v_cmp_ge_u32_e64 s[14:15], v20, v13
	v_cmp_lt_u32_e64 s[18:19], v20, v13
                                        ; implicit-def: $vgpr5
	s_and_saveexec_b64 s[24:25], s[18:19]
; %bb.52:
	v_add_u32_e32 v5, v11, v20
	ds_read_u8 v5, v5
; %bb.53:
	s_or_b64 exec, exec, s[24:25]
	s_waitcnt lgkmcnt(0)
	v_and_b32_e32 v14, v5, v26
	v_and_b32_e32 v15, v4, v26
	v_cmp_le_u16_sdwa s[18:19], v14, v15 src0_sel:BYTE_0 src1_sel:BYTE_0
	s_and_b64 s[16:17], s[16:17], s[18:19]
	s_or_b64 s[14:15], s[14:15], s[16:17]
	v_cndmask_b32_e64 v14, v20, v10, s[14:15]
	v_cndmask_b32_e64 v15, v13, v12, s[14:15]
	v_add_u32_e32 v16, 1, v14
	v_add_u32_e32 v15, -1, v15
	v_min_u32_e32 v15, v16, v15
	v_add_u32_e32 v15, v11, v15
	ds_read_u8 v15, v15
	v_cndmask_b32_e64 v21, v5, v4, s[14:15]
	v_cndmask_b32_e64 v10, v10, v16, s[14:15]
	;; [unrolled: 1-line block ×3, first 2 shown]
	v_cmp_lt_u32_e64 s[16:17], v10, v12
	s_waitcnt lgkmcnt(0)
	v_cndmask_b32_e64 v17, v15, v5, s[14:15]
	v_cndmask_b32_e64 v15, v4, v15, s[14:15]
	v_and_b32_e32 v4, v17, v26
	v_and_b32_e32 v5, v15, v26
	v_cmp_le_u16_sdwa s[18:19], v4, v5 src0_sel:BYTE_0 src1_sel:BYTE_0
	v_cmp_ge_u32_e64 s[14:15], v18, v13
	s_and_b64 s[16:17], s[16:17], s[18:19]
	s_or_b64 s[14:15], s[14:15], s[16:17]
	v_cndmask_b32_e64 v16, v18, v10, s[14:15]
	v_cndmask_b32_e64 v4, v13, v12, s[14:15]
	v_add_u32_e32 v19, 1, v16
	v_add_u32_e32 v4, -1, v4
	v_min_u32_e32 v4, v19, v4
	v_add_u32_e32 v4, v11, v4
	ds_read_u8 v20, v4
	v_lshl_add_u32 v4, v14, 3, v9
	v_cndmask_b32_e64 v24, v17, v15, s[14:15]
	v_lshl_add_u32 v14, v16, 3, v9
	v_cndmask_b32_e64 v10, v10, v19, s[14:15]
	s_waitcnt lgkmcnt(0)
	v_cndmask_b32_e64 v16, v20, v17, s[14:15]
	v_cndmask_b32_e64 v17, v15, v20, s[14:15]
	;; [unrolled: 1-line block ×3, first 2 shown]
	v_and_b32_e32 v15, v16, v26
	v_and_b32_e32 v18, v17, v26
	v_cmp_lt_u32_e64 s[16:17], v10, v12
	v_cmp_le_u16_sdwa s[18:19], v15, v18 src0_sel:BYTE_0 src1_sel:BYTE_0
	v_cmp_ge_u32_e64 s[14:15], v20, v13
	s_and_b64 s[16:17], s[16:17], s[18:19]
	s_or_b64 s[14:15], s[14:15], s[16:17]
	v_cndmask_b32_e64 v18, v20, v10, s[14:15]
	v_cndmask_b32_e64 v15, v13, v12, s[14:15]
	v_add_u32_e32 v25, 1, v18
	v_add_u32_e32 v15, -1, v15
	v_min_u32_e32 v15, v25, v15
	v_add_u32_e32 v11, v11, v15
	ds_read_b64 v[4:5], v4 offset:1024
	ds_read_u8 v11, v11
	ds_read_b64 v[14:15], v14 offset:1024
	v_cndmask_b32_e64 v27, v16, v17, s[14:15]
	v_cndmask_b32_e64 v10, v10, v25, s[14:15]
	v_cmp_lt_u32_e64 s[16:17], v10, v12
	s_waitcnt lgkmcnt(1)
	v_cndmask_b32_e64 v16, v11, v16, s[14:15]
	v_cndmask_b32_e64 v11, v17, v11, s[14:15]
	;; [unrolled: 1-line block ×3, first 2 shown]
	v_cmp_ge_u32_e64 s[14:15], v17, v13
	v_and_b32_e32 v12, v16, v26
	v_and_b32_e32 v13, v11, v26
	v_cmp_le_u16_sdwa s[18:19], v12, v13 src0_sel:BYTE_0 src1_sel:BYTE_0
	s_and_b64 s[16:17], s[16:17], s[18:19]
	s_or_b64 s[14:15], s[14:15], s[16:17]
	v_cndmask_b32_e64 v10, v17, v10, s[14:15]
	v_lshl_add_u32 v18, v18, 3, v9
	v_lshl_add_u32 v9, v10, 3, v9
	ds_read_b64 v[18:19], v18 offset:1024
	v_cndmask_b32_e64 v11, v16, v11, s[14:15]
	ds_read_b64 v[16:17], v9 offset:1024
	v_lshlrev_b16_e32 v11, 8, v11
	v_lshlrev_b16_e32 v10, 8, v24
	v_or_b32_sdwa v9, v27, v11 dst_sel:WORD_1 dst_unused:UNUSED_PAD src0_sel:BYTE_0 src1_sel:DWORD
	v_or_b32_sdwa v10, v21, v10 dst_sel:DWORD dst_unused:UNUSED_PAD src0_sel:BYTE_0 src1_sel:DWORD
	v_or_b32_sdwa v25, v10, v9 dst_sel:DWORD dst_unused:UNUSED_PAD src0_sel:WORD_0 src1_sel:DWORD
.LBB107_54:
	s_or_b64 exec, exec, s[22:23]
	; wave barrier
	s_waitcnt lgkmcnt(0)
	s_barrier
                                        ; implicit-def: $vgpr24
                                        ; implicit-def: $vgpr12
                                        ; implicit-def: $vgpr13
                                        ; implicit-def: $vgpr31
                                        ; implicit-def: $vgpr9
                                        ; implicit-def: $vgpr20
.LBB107_55:
	s_andn2_saveexec_b64 s[16:17], s[20:21]
	s_cbranch_execz .LBB107_97
; %bb.56:
	s_load_dwordx2 s[14:15], s[8:9], 0x0
	v_mov_b32_e32 v10, 0
	s_waitcnt lgkmcnt(0)
	s_cmp_lt_u32 s13, s15
	s_cselect_b32 s13, 14, 20
	s_add_u32 s18, s8, s13
	s_addc_u32 s19, s9, 0
	s_cmp_lt_u32 s12, s14
	s_cselect_b32 s12, 12, 18
	s_add_u32 s8, s8, s12
	s_addc_u32 s9, s9, 0
	global_load_ushort v11, v10, s[18:19]
	global_load_ushort v21, v10, s[8:9]
	v_and_b32_e32 v10, 0x3ff, v31
	s_movk_i32 s8, 0x400
	s_waitcnt vmcnt(0)
	v_mad_u32_u24 v9, v20, v11, v9
	v_mul_lo_u32 v9, v9, v21
	v_add_lshl_u32 v11, v9, v10, 2
	v_cmp_gt_u32_e64 s[8:9], s8, v11
	s_and_saveexec_b64 s[14:15], s[8:9]
	s_cbranch_execz .LBB107_66
; %bb.57:
	s_mov_b32 s8, 0x7060405
	v_lshrrev_b32_e32 v10, 8, v25
	v_perm_b32 v9, v25, v25, s8
	v_cmp_gt_u16_sdwa s[8:9], v10, v25 src0_sel:BYTE_0 src1_sel:BYTE_0
	v_cndmask_b32_e64 v25, v25, v9, s[8:9]
	v_lshrrev_b32_e32 v27, 16, v25
	v_lshrrev_b32_e32 v20, 24, v25
	v_mov_b32_e32 v9, v18
	v_lshrrev_b32_e32 v26, 8, v25
	v_cmp_gt_u16_sdwa s[18:19], v20, v27 src0_sel:DWORD src1_sel:BYTE_0
	v_mov_b32_e32 v10, v19
	v_mov_b32_e32 v28, v20
	s_and_saveexec_b64 s[12:13], s[18:19]
; %bb.58:
	v_mov_b32_e32 v9, v16
	v_mov_b32_e32 v10, v17
	v_mov_b32_e32 v16, v18
	v_mov_b32_e32 v28, v27
	v_mov_b32_e32 v17, v19
	v_mov_b32_e32 v27, v20
; %bb.59:
	s_or_b64 exec, exec, s[12:13]
	v_cndmask_b32_e64 v20, v14, v4, s[8:9]
	v_cndmask_b32_e64 v21, v15, v5, s[8:9]
	v_mov_b32_e32 v18, v20
	v_cmp_gt_u16_sdwa s[12:13], v27, v26 src0_sel:BYTE_0 src1_sel:BYTE_0
	v_mov_b32_e32 v19, v21
	s_and_saveexec_b64 s[18:19], s[12:13]
	s_xor_b64 s[12:13], exec, s[18:19]
; %bb.60:
	v_mov_b32_e32 v19, v10
	v_mov_b32_e32 v29, v26
	v_mov_b32_e32 v18, v9
	v_mov_b32_e32 v9, v20
	v_swap_b32 v26, v27
	v_mov_b32_e32 v10, v21
; %bb.61:
	s_or_b64 exec, exec, s[12:13]
	s_mov_b32 s12, 0xc0c0004
	v_perm_b32 v20, v27, v28, s12
	v_lshlrev_b32_e32 v20, 16, v20
	v_perm_b32 v21, v26, v25, s12
	v_perm_b32 v27, v25, v26, s12
	v_or_b32_e32 v21, v21, v20
	v_or_b32_e32 v20, v27, v20
	v_cmp_gt_u16_sdwa s[12:13], v26, v25 src0_sel:BYTE_0 src1_sel:BYTE_0
	v_cndmask_b32_e64 v25, v20, v21, s[12:13]
	v_lshrrev_b32_e32 v26, 16, v25
	v_lshrrev_b32_e32 v27, 24, v25
	v_mov_b32_e32 v21, v10
	v_cmp_gt_u16_sdwa s[20:21], v27, v26 src0_sel:DWORD src1_sel:BYTE_0
	v_mov_b32_e32 v20, v9
	s_and_saveexec_b64 s[18:19], s[20:21]
; %bb.62:
	v_mov_b32_e32 v21, v17
	s_mov_b32 s20, 0x6070504
	v_mov_b32_e32 v20, v16
	v_mov_b32_e32 v17, v10
	v_perm_b32 v25, v25, v25, s20
	v_mov_b32_e32 v16, v9
	v_mov_b32_e32 v26, v27
; %bb.63:
	s_or_b64 exec, exec, s[18:19]
	v_cndmask_b32_e64 v9, v4, v14, s[8:9]
	v_cndmask_b32_e64 v10, v5, v15, s[8:9]
	;; [unrolled: 1-line block ×6, first 2 shown]
	v_lshrrev_b32_e32 v9, 8, v25
	v_mov_b32_e32 v18, v20
	v_cmp_gt_u16_sdwa s[12:13], v26, v9 src0_sel:BYTE_0 src1_sel:BYTE_0
	v_mov_b32_e32 v19, v21
	s_and_saveexec_b64 s[8:9], s[12:13]
; %bb.64:
	v_mov_b32_e32 v19, v15
	s_mov_b32 s12, 0x7050004
	v_mov_b32_e32 v18, v14
	v_mov_b32_e32 v14, v20
	v_perm_b32 v25, v25, v26, s12
	v_mov_b32_e32 v15, v21
; %bb.65:
	s_or_b64 exec, exec, s[8:9]
.LBB107_66:
	s_or_b64 exec, exec, s[14:15]
	v_and_b32_e32 v20, 0xffffff00, v11
	v_add_co_u32_e64 v11, s[8:9], v12, v20
	v_addc_co_u32_e64 v12, s[8:9], 0, v13, s[8:9]
	s_movk_i32 s12, 0x400
	v_mad_u64_u32 v[9:10], s[8:9], v20, 7, v[11:12]
	v_sub_u32_e64 v10, s12, v20 clamp
	v_or_b32_e32 v20, 4, v24
	v_min_u32_e32 v31, v10, v20
	v_add_u32_e32 v20, 4, v31
	v_and_b32_e32 v27, 0x1f8, v24
	v_min_u32_e32 v32, v10, v20
	v_and_b32_e32 v20, 4, v24
	v_min_u32_e32 v28, v10, v20
	v_sub_u32_e32 v20, v31, v27
	v_sub_u32_e32 v21, v32, v31
	v_add_co_u32_e64 v12, s[8:9], v11, v24
	v_sub_u32_e64 v30, v28, v21 clamp
	v_min_u32_e32 v20, v28, v20
	v_lshl_add_u32 v13, v24, 3, v9
	v_cmp_lt_u32_e64 s[8:9], v30, v20
	ds_write2_b64 v13, v[4:5], v[14:15] offset0:128 offset1:129
	ds_write_b64 v13, v[18:19] offset:1040
	ds_write_b32 v12, v25
	ds_write_b64 v13, v[16:17] offset:1048
	; wave barrier
	s_and_saveexec_b64 s[12:13], s[8:9]
	s_cbranch_execz .LBB107_70
; %bb.67:
	v_add_co_u32_e64 v21, s[8:9], v11, v27
	v_add_co_u32_e64 v26, s[8:9], v11, v31
	s_mov_b64 s[14:15], 0
.LBB107_68:                             ; =>This Inner Loop Header: Depth=1
	v_add_u32_e32 v29, v20, v30
	v_lshrrev_b32_e32 v29, 1, v29
	v_not_b32_e32 v33, v29
	v_add_u32_e32 v34, v21, v29
	v_add3_u32 v33, v28, v33, v26
	ds_read_u8 v34, v34
	ds_read_u8 v33, v33
	v_add_u32_e32 v35, 1, v29
	s_waitcnt lgkmcnt(0)
	v_cmp_gt_u16_e64 s[8:9], v33, v34
	v_cndmask_b32_e64 v20, v20, v29, s[8:9]
	v_cndmask_b32_e64 v30, v35, v30, s[8:9]
	v_cmp_ge_u32_e64 s[8:9], v30, v20
	s_or_b64 s[14:15], s[8:9], s[14:15]
	s_andn2_b64 exec, exec, s[14:15]
	s_cbranch_execnz .LBB107_68
; %bb.69:
	s_or_b64 exec, exec, s[14:15]
.LBB107_70:
	s_or_b64 exec, exec, s[12:13]
	v_add_u32_e32 v33, v30, v27
	v_add_u32_e32 v27, v31, v28
	v_sub_u32_e32 v34, v27, v30
	v_cmp_le_u32_e64 s[8:9], v33, v31
	v_cmp_le_u32_e64 s[12:13], v34, v32
	v_add_u32_e32 v26, 0x400, v13
	v_add_u32_e32 v21, 0x408, v13
	;; [unrolled: 1-line block ×4, first 2 shown]
	v_lshrrev_b32_e32 v29, 16, v25
	s_or_b64 s[8:9], s[8:9], s[12:13]
	v_lshrrev_b32_e32 v28, 8, v25
	v_lshrrev_b32_e32 v30, 24, v25
	v_mov_b32_e32 v27, v25
	s_and_saveexec_b64 s[18:19], s[8:9]
	s_cbranch_execz .LBB107_76
; %bb.71:
	v_cmp_lt_u32_e64 s[8:9], v33, v31
                                        ; implicit-def: $vgpr4
	s_and_saveexec_b64 s[12:13], s[8:9]
; %bb.72:
	v_add_u32_e32 v4, v11, v33
	ds_read_u8 v4, v4
; %bb.73:
	s_or_b64 exec, exec, s[12:13]
	v_cmp_ge_u32_e64 s[12:13], v34, v32
	v_cmp_lt_u32_e64 s[14:15], v34, v32
                                        ; implicit-def: $vgpr5
	s_and_saveexec_b64 s[20:21], s[14:15]
; %bb.74:
	v_add_u32_e32 v5, v11, v34
	ds_read_u8 v5, v5
; %bb.75:
	s_or_b64 exec, exec, s[20:21]
	s_waitcnt lgkmcnt(0)
	v_cmp_le_u16_sdwa s[14:15], v5, v4 src0_sel:BYTE_0 src1_sel:BYTE_0
	s_and_b64 s[8:9], s[8:9], s[14:15]
	s_or_b64 s[8:9], s[12:13], s[8:9]
	v_cndmask_b32_e64 v14, v34, v33, s[8:9]
	v_cndmask_b32_e64 v15, v32, v31, s[8:9]
	v_add_u32_e32 v16, 1, v14
	v_add_u32_e32 v15, -1, v15
	v_min_u32_e32 v15, v16, v15
	v_add_u32_e32 v15, v11, v15
	ds_read_u8 v15, v15
	v_cndmask_b32_e64 v18, v16, v34, s[8:9]
	v_cndmask_b32_e64 v16, v33, v16, s[8:9]
	v_cmp_lt_u32_e64 s[12:13], v16, v31
	v_cndmask_b32_e64 v27, v5, v4, s[8:9]
	s_waitcnt lgkmcnt(0)
	v_cndmask_b32_e64 v17, v15, v5, s[8:9]
	v_cndmask_b32_e64 v15, v4, v15, s[8:9]
	v_cmp_le_u16_sdwa s[14:15], v17, v15 src0_sel:BYTE_0 src1_sel:BYTE_0
	v_cmp_ge_u32_e64 s[8:9], v18, v32
	s_and_b64 s[12:13], s[12:13], s[14:15]
	s_or_b64 s[8:9], s[8:9], s[12:13]
	v_cndmask_b32_e64 v19, v18, v16, s[8:9]
	v_cndmask_b32_e64 v4, v32, v31, s[8:9]
	v_add_u32_e32 v25, 1, v19
	v_add_u32_e32 v4, -1, v4
	v_min_u32_e32 v4, v25, v4
	v_add_u32_e32 v4, v11, v4
	ds_read_u8 v29, v4
	v_cndmask_b32_e64 v28, v17, v15, s[8:9]
	v_cndmask_b32_e64 v16, v16, v25, s[8:9]
	;; [unrolled: 1-line block ×3, first 2 shown]
	v_cmp_lt_u32_e64 s[12:13], v16, v31
	s_waitcnt lgkmcnt(0)
	v_cndmask_b32_e64 v17, v29, v17, s[8:9]
	v_cndmask_b32_e64 v30, v15, v29, s[8:9]
	v_cmp_le_u16_sdwa s[14:15], v17, v30 src0_sel:BYTE_0 src1_sel:BYTE_0
	v_cmp_ge_u32_e64 s[8:9], v33, v32
	s_and_b64 s[12:13], s[12:13], s[14:15]
	s_or_b64 s[8:9], s[8:9], s[12:13]
	v_cndmask_b32_e64 v18, v33, v16, s[8:9]
	v_cndmask_b32_e64 v15, v32, v31, s[8:9]
	v_add_u32_e32 v25, 1, v18
	v_add_u32_e32 v15, -1, v15
	v_min_u32_e32 v15, v25, v15
	v_lshl_add_u32 v4, v14, 3, v9
	v_lshl_add_u32 v14, v19, 3, v9
	v_add_u32_e32 v15, v11, v15
	ds_read_b64 v[4:5], v4 offset:1024
	ds_read_u8 v34, v15
	ds_read_b64 v[14:15], v14 offset:1024
	v_cndmask_b32_e64 v29, v17, v30, s[8:9]
	v_cndmask_b32_e64 v16, v16, v25, s[8:9]
	;; [unrolled: 1-line block ×3, first 2 shown]
	s_waitcnt lgkmcnt(1)
	v_cndmask_b32_e64 v17, v34, v17, s[8:9]
	v_cndmask_b32_e64 v30, v30, v34, s[8:9]
	v_cmp_lt_u32_e64 s[12:13], v16, v31
	v_cmp_le_u16_sdwa s[14:15], v17, v30 src0_sel:BYTE_0 src1_sel:BYTE_0
	v_cmp_ge_u32_e64 s[8:9], v33, v32
	s_and_b64 s[12:13], s[12:13], s[14:15]
	s_or_b64 s[8:9], s[8:9], s[12:13]
	v_cndmask_b32_e64 v16, v33, v16, s[8:9]
	v_lshl_add_u32 v18, v18, 3, v9
	v_lshl_add_u32 v16, v16, 3, v9
	ds_read_b64 v[18:19], v18 offset:1024
	v_cndmask_b32_e64 v30, v17, v30, s[8:9]
	ds_read_b64 v[16:17], v16 offset:1024
	v_lshlrev_b16_e32 v25, 8, v30
	v_lshlrev_b16_e32 v31, 8, v28
	v_or_b32_sdwa v25, v29, v25 dst_sel:WORD_1 dst_unused:UNUSED_PAD src0_sel:BYTE_0 src1_sel:DWORD
	v_or_b32_sdwa v31, v27, v31 dst_sel:DWORD dst_unused:UNUSED_PAD src0_sel:BYTE_0 src1_sel:DWORD
	v_or_b32_sdwa v25, v31, v25 dst_sel:DWORD dst_unused:UNUSED_PAD src0_sel:WORD_0 src1_sel:DWORD
.LBB107_76:
	s_or_b64 exec, exec, s[18:19]
	v_and_b32_e32 v36, 0x1f0, v24
	v_or_b32_e32 v31, 8, v36
	v_min_u32_e32 v31, v10, v31
	v_add_u32_e32 v32, 8, v31
	v_min_u32_e32 v32, v10, v32
	v_and_b32_e32 v33, 12, v24
	v_min_u32_e32 v37, v10, v33
	v_sub_u32_e32 v33, v31, v36
	v_sub_u32_e32 v34, v32, v31
	v_sub_u32_e64 v38, v37, v34 clamp
	v_min_u32_e32 v33, v37, v33
	v_cmp_lt_u32_e64 s[8:9], v38, v33
	; wave barrier
	ds_write_b8 v12, v27
	ds_write_b64 v26, v[4:5]
	ds_write_b8 v12, v28 offset:1
	s_waitcnt lgkmcnt(5)
	ds_write_b64 v21, v[14:15]
	ds_write_b8 v12, v29 offset:2
	s_waitcnt lgkmcnt(6)
	;; [unrolled: 3-line block ×3, first 2 shown]
	ds_write_b64 v13, v[16:17]
	; wave barrier
	s_and_saveexec_b64 s[12:13], s[8:9]
	s_cbranch_execz .LBB107_80
; %bb.77:
	v_add_co_u32_e64 v34, s[8:9], v11, v36
	v_add_co_u32_e64 v35, s[8:9], v11, v31
	s_mov_b64 s[14:15], 0
.LBB107_78:                             ; =>This Inner Loop Header: Depth=1
	v_add_u32_e32 v39, v33, v38
	v_lshrrev_b32_e32 v39, 1, v39
	v_not_b32_e32 v48, v39
	v_add_u32_e32 v49, v34, v39
	v_add3_u32 v48, v37, v48, v35
	ds_read_u8 v49, v49
	ds_read_u8 v48, v48
	v_add_u32_e32 v50, 1, v39
	s_waitcnt lgkmcnt(0)
	v_cmp_gt_u16_e64 s[8:9], v48, v49
	v_cndmask_b32_e64 v33, v33, v39, s[8:9]
	v_cndmask_b32_e64 v38, v50, v38, s[8:9]
	v_cmp_ge_u32_e64 s[8:9], v38, v33
	s_or_b64 s[14:15], s[8:9], s[14:15]
	s_andn2_b64 exec, exec, s[14:15]
	s_cbranch_execnz .LBB107_78
; %bb.79:
	s_or_b64 exec, exec, s[14:15]
.LBB107_80:
	s_or_b64 exec, exec, s[12:13]
	v_add_u32_e32 v37, v31, v37
	v_add_u32_e32 v36, v38, v36
	v_sub_u32_e32 v37, v37, v38
	v_cmp_le_u32_e64 s[8:9], v36, v31
	v_cmp_le_u32_e64 s[12:13], v37, v32
	v_add_u32_e32 v35, 1, v12
	v_add_u32_e32 v34, 2, v12
	;; [unrolled: 1-line block ×3, first 2 shown]
	s_or_b64 s[8:9], s[8:9], s[12:13]
	s_and_saveexec_b64 s[18:19], s[8:9]
	s_cbranch_execz .LBB107_86
; %bb.81:
	v_cmp_lt_u32_e64 s[8:9], v36, v31
                                        ; implicit-def: $vgpr4
	s_and_saveexec_b64 s[12:13], s[8:9]
; %bb.82:
	v_add_u32_e32 v4, v11, v36
	ds_read_u8 v4, v4
; %bb.83:
	s_or_b64 exec, exec, s[12:13]
	v_cmp_ge_u32_e64 s[12:13], v37, v32
	v_cmp_lt_u32_e64 s[14:15], v37, v32
                                        ; implicit-def: $vgpr5
	s_and_saveexec_b64 s[20:21], s[14:15]
; %bb.84:
	v_add_u32_e32 v5, v11, v37
	ds_read_u8 v5, v5
; %bb.85:
	s_or_b64 exec, exec, s[20:21]
	s_waitcnt lgkmcnt(0)
	v_cmp_le_u16_sdwa s[14:15], v5, v4 src0_sel:BYTE_0 src1_sel:BYTE_0
	s_and_b64 s[8:9], s[8:9], s[14:15]
	s_or_b64 s[8:9], s[12:13], s[8:9]
	v_cndmask_b32_e64 v14, v37, v36, s[8:9]
	v_cndmask_b32_e64 v15, v32, v31, s[8:9]
	v_add_u32_e32 v16, 1, v14
	v_add_u32_e32 v15, -1, v15
	v_min_u32_e32 v15, v16, v15
	v_add_u32_e32 v15, v11, v15
	ds_read_u8 v15, v15
	v_cndmask_b32_e64 v18, v16, v37, s[8:9]
	v_cndmask_b32_e64 v16, v36, v16, s[8:9]
	v_cmp_lt_u32_e64 s[12:13], v16, v31
	v_cndmask_b32_e64 v27, v5, v4, s[8:9]
	s_waitcnt lgkmcnt(0)
	v_cndmask_b32_e64 v17, v15, v5, s[8:9]
	v_cndmask_b32_e64 v15, v4, v15, s[8:9]
	v_cmp_le_u16_sdwa s[14:15], v17, v15 src0_sel:BYTE_0 src1_sel:BYTE_0
	v_cmp_ge_u32_e64 s[8:9], v18, v32
	s_and_b64 s[12:13], s[12:13], s[14:15]
	s_or_b64 s[8:9], s[8:9], s[12:13]
	v_cndmask_b32_e64 v19, v18, v16, s[8:9]
	v_cndmask_b32_e64 v4, v32, v31, s[8:9]
	v_add_u32_e32 v25, 1, v19
	v_add_u32_e32 v4, -1, v4
	v_min_u32_e32 v4, v25, v4
	v_add_u32_e32 v4, v11, v4
	ds_read_u8 v29, v4
	v_cndmask_b32_e64 v28, v17, v15, s[8:9]
	v_cndmask_b32_e64 v16, v16, v25, s[8:9]
	v_cndmask_b32_e64 v36, v25, v18, s[8:9]
	v_cmp_lt_u32_e64 s[12:13], v16, v31
	s_waitcnt lgkmcnt(0)
	v_cndmask_b32_e64 v17, v29, v17, s[8:9]
	v_cndmask_b32_e64 v30, v15, v29, s[8:9]
	v_cmp_le_u16_sdwa s[14:15], v17, v30 src0_sel:BYTE_0 src1_sel:BYTE_0
	v_cmp_ge_u32_e64 s[8:9], v36, v32
	s_and_b64 s[12:13], s[12:13], s[14:15]
	s_or_b64 s[8:9], s[8:9], s[12:13]
	v_cndmask_b32_e64 v18, v36, v16, s[8:9]
	v_cndmask_b32_e64 v15, v32, v31, s[8:9]
	v_add_u32_e32 v25, 1, v18
	v_add_u32_e32 v15, -1, v15
	v_min_u32_e32 v15, v25, v15
	v_lshl_add_u32 v4, v14, 3, v9
	v_lshl_add_u32 v14, v19, 3, v9
	v_add_u32_e32 v15, v11, v15
	ds_read_b64 v[4:5], v4 offset:1024
	ds_read_u8 v37, v15
	ds_read_b64 v[14:15], v14 offset:1024
	v_cndmask_b32_e64 v29, v17, v30, s[8:9]
	v_cndmask_b32_e64 v16, v16, v25, s[8:9]
	;; [unrolled: 1-line block ×3, first 2 shown]
	s_waitcnt lgkmcnt(1)
	v_cndmask_b32_e64 v17, v37, v17, s[8:9]
	v_cndmask_b32_e64 v30, v30, v37, s[8:9]
	v_cmp_lt_u32_e64 s[12:13], v16, v31
	v_cmp_le_u16_sdwa s[14:15], v17, v30 src0_sel:BYTE_0 src1_sel:BYTE_0
	v_cmp_ge_u32_e64 s[8:9], v36, v32
	s_and_b64 s[12:13], s[12:13], s[14:15]
	s_or_b64 s[8:9], s[8:9], s[12:13]
	v_cndmask_b32_e64 v16, v36, v16, s[8:9]
	v_lshl_add_u32 v18, v18, 3, v9
	v_lshl_add_u32 v16, v16, 3, v9
	ds_read_b64 v[18:19], v18 offset:1024
	v_cndmask_b32_e64 v30, v17, v30, s[8:9]
	ds_read_b64 v[16:17], v16 offset:1024
	v_lshlrev_b16_e32 v25, 8, v30
	v_lshlrev_b16_e32 v31, 8, v28
	v_or_b32_sdwa v25, v29, v25 dst_sel:WORD_1 dst_unused:UNUSED_PAD src0_sel:BYTE_0 src1_sel:DWORD
	v_or_b32_sdwa v31, v27, v31 dst_sel:DWORD dst_unused:UNUSED_PAD src0_sel:BYTE_0 src1_sel:DWORD
	v_or_b32_sdwa v25, v31, v25 dst_sel:DWORD dst_unused:UNUSED_PAD src0_sel:WORD_0 src1_sel:DWORD
.LBB107_86:
	s_or_b64 exec, exec, s[18:19]
	; wave barrier
	ds_write_b8 v12, v27
	ds_write_b64 v26, v[4:5]
	ds_write_b8 v35, v28
	s_waitcnt lgkmcnt(5)
	ds_write_b64 v21, v[14:15]
	ds_write_b8 v34, v29
	s_waitcnt lgkmcnt(6)
	;; [unrolled: 3-line block ×3, first 2 shown]
	ds_write_b64 v13, v[16:17]
	v_and_b32_e32 v20, 0x1e0, v24
	v_or_b32_e32 v12, 16, v20
	v_min_u32_e32 v12, v10, v12
	v_add_u32_e32 v13, 16, v12
	v_min_u32_e32 v13, v10, v13
	v_min_u32_e32 v21, v10, v22
	v_sub_u32_e32 v10, v12, v20
	v_sub_u32_e32 v24, v13, v12
	v_sub_u32_e64 v24, v21, v24 clamp
	v_min_u32_e32 v10, v21, v10
	v_cmp_lt_u32_e64 s[8:9], v24, v10
	; wave barrier
	s_and_saveexec_b64 s[12:13], s[8:9]
	s_cbranch_execz .LBB107_90
; %bb.87:
	v_add_co_u32_e64 v26, s[8:9], v11, v20
	v_add_co_u32_e64 v27, s[8:9], v11, v12
	s_mov_b64 s[14:15], 0
.LBB107_88:                             ; =>This Inner Loop Header: Depth=1
	v_add_u32_e32 v28, v10, v24
	v_lshrrev_b32_e32 v28, 1, v28
	v_not_b32_e32 v29, v28
	v_add_u32_e32 v30, v26, v28
	v_add3_u32 v29, v21, v29, v27
	ds_read_u8 v30, v30
	ds_read_u8 v29, v29
	v_add_u32_e32 v31, 1, v28
	s_waitcnt lgkmcnt(0)
	v_cmp_gt_u16_e64 s[8:9], v29, v30
	v_cndmask_b32_e64 v10, v10, v28, s[8:9]
	v_cndmask_b32_e64 v24, v31, v24, s[8:9]
	v_cmp_ge_u32_e64 s[8:9], v24, v10
	s_or_b64 s[14:15], s[8:9], s[14:15]
	s_andn2_b64 exec, exec, s[14:15]
	s_cbranch_execnz .LBB107_88
; %bb.89:
	s_or_b64 exec, exec, s[14:15]
.LBB107_90:
	s_or_b64 exec, exec, s[12:13]
	v_add_u32_e32 v10, v24, v20
	v_add_u32_e32 v20, v12, v21
	v_sub_u32_e32 v20, v20, v24
	v_cmp_le_u32_e64 s[8:9], v10, v12
	v_cmp_le_u32_e64 s[12:13], v20, v13
	s_or_b64 s[8:9], s[8:9], s[12:13]
	s_and_saveexec_b64 s[18:19], s[8:9]
	s_cbranch_execz .LBB107_96
; %bb.91:
	v_cmp_lt_u32_e64 s[8:9], v10, v12
                                        ; implicit-def: $vgpr4
	s_and_saveexec_b64 s[12:13], s[8:9]
; %bb.92:
	v_add_u32_e32 v4, v11, v10
	ds_read_u8 v4, v4
; %bb.93:
	s_or_b64 exec, exec, s[12:13]
	v_cmp_ge_u32_e64 s[12:13], v20, v13
	v_cmp_lt_u32_e64 s[14:15], v20, v13
                                        ; implicit-def: $vgpr5
	s_and_saveexec_b64 s[20:21], s[14:15]
; %bb.94:
	v_add_u32_e32 v5, v11, v20
	ds_read_u8 v5, v5
; %bb.95:
	s_or_b64 exec, exec, s[20:21]
	s_waitcnt lgkmcnt(0)
	v_cmp_le_u16_sdwa s[14:15], v5, v4 src0_sel:BYTE_0 src1_sel:BYTE_0
	s_and_b64 s[8:9], s[8:9], s[14:15]
	s_or_b64 s[8:9], s[12:13], s[8:9]
	v_cndmask_b32_e64 v14, v20, v10, s[8:9]
	v_cndmask_b32_e64 v15, v13, v12, s[8:9]
	v_add_u32_e32 v16, 1, v14
	v_add_u32_e32 v15, -1, v15
	v_min_u32_e32 v15, v16, v15
	v_add_u32_e32 v15, v11, v15
	ds_read_u8 v15, v15
	v_cndmask_b32_e64 v10, v10, v16, s[8:9]
	v_cndmask_b32_e64 v18, v16, v20, s[8:9]
	v_cmp_lt_u32_e64 s[12:13], v10, v12
	v_cndmask_b32_e64 v21, v5, v4, s[8:9]
	s_waitcnt lgkmcnt(0)
	v_cndmask_b32_e64 v17, v15, v5, s[8:9]
	v_cndmask_b32_e64 v15, v4, v15, s[8:9]
	v_cmp_le_u16_sdwa s[14:15], v17, v15 src0_sel:BYTE_0 src1_sel:BYTE_0
	v_cmp_ge_u32_e64 s[8:9], v18, v13
	s_and_b64 s[12:13], s[12:13], s[14:15]
	s_or_b64 s[8:9], s[8:9], s[12:13]
	v_cndmask_b32_e64 v16, v18, v10, s[8:9]
	v_cndmask_b32_e64 v4, v13, v12, s[8:9]
	v_add_u32_e32 v19, 1, v16
	v_add_u32_e32 v4, -1, v4
	v_min_u32_e32 v4, v19, v4
	v_add_u32_e32 v4, v11, v4
	ds_read_u8 v20, v4
	v_lshl_add_u32 v4, v14, 3, v9
	v_cndmask_b32_e64 v24, v17, v15, s[8:9]
	v_lshl_add_u32 v14, v16, 3, v9
	v_cndmask_b32_e64 v10, v10, v19, s[8:9]
	s_waitcnt lgkmcnt(0)
	v_cndmask_b32_e64 v16, v20, v17, s[8:9]
	v_cndmask_b32_e64 v17, v15, v20, s[8:9]
	;; [unrolled: 1-line block ×3, first 2 shown]
	v_cmp_lt_u32_e64 s[12:13], v10, v12
	v_cmp_le_u16_sdwa s[14:15], v16, v17 src0_sel:BYTE_0 src1_sel:BYTE_0
	v_cmp_ge_u32_e64 s[8:9], v20, v13
	s_and_b64 s[12:13], s[12:13], s[14:15]
	s_or_b64 s[8:9], s[8:9], s[12:13]
	v_cndmask_b32_e64 v18, v20, v10, s[8:9]
	v_cndmask_b32_e64 v15, v13, v12, s[8:9]
	v_add_u32_e32 v25, 1, v18
	v_add_u32_e32 v15, -1, v15
	v_min_u32_e32 v15, v25, v15
	v_add_u32_e32 v11, v11, v15
	ds_read_b64 v[4:5], v4 offset:1024
	ds_read_u8 v11, v11
	ds_read_b64 v[14:15], v14 offset:1024
	v_cndmask_b32_e64 v26, v16, v17, s[8:9]
	v_cndmask_b32_e64 v10, v10, v25, s[8:9]
	v_cmp_lt_u32_e64 s[12:13], v10, v12
	s_waitcnt lgkmcnt(1)
	v_cndmask_b32_e64 v16, v11, v16, s[8:9]
	v_cndmask_b32_e64 v11, v17, v11, s[8:9]
	;; [unrolled: 1-line block ×3, first 2 shown]
	v_cmp_le_u16_sdwa s[14:15], v16, v11 src0_sel:BYTE_0 src1_sel:BYTE_0
	v_cmp_ge_u32_e64 s[8:9], v17, v13
	s_and_b64 s[12:13], s[12:13], s[14:15]
	s_or_b64 s[8:9], s[8:9], s[12:13]
	v_cndmask_b32_e64 v10, v17, v10, s[8:9]
	v_lshl_add_u32 v18, v18, 3, v9
	v_lshl_add_u32 v9, v10, 3, v9
	ds_read_b64 v[18:19], v18 offset:1024
	v_cndmask_b32_e64 v11, v16, v11, s[8:9]
	ds_read_b64 v[16:17], v9 offset:1024
	v_lshlrev_b16_e32 v11, 8, v11
	v_lshlrev_b16_e32 v10, 8, v24
	v_or_b32_sdwa v9, v26, v11 dst_sel:WORD_1 dst_unused:UNUSED_PAD src0_sel:BYTE_0 src1_sel:DWORD
	v_or_b32_sdwa v10, v21, v10 dst_sel:DWORD dst_unused:UNUSED_PAD src0_sel:BYTE_0 src1_sel:DWORD
	v_or_b32_sdwa v25, v10, v9 dst_sel:DWORD dst_unused:UNUSED_PAD src0_sel:WORD_0 src1_sel:DWORD
.LBB107_96:
	s_or_b64 exec, exec, s[18:19]
	; wave barrier
	s_waitcnt lgkmcnt(0)
	s_barrier
.LBB107_97:
	s_or_b64 exec, exec, s[16:17]
	v_add_co_u32_e64 v2, s[8:9], v2, v8
	v_addc_co_u32_e64 v3, s[8:9], 0, v3, s[8:9]
	v_add_co_u32_e64 v2, s[8:9], v2, v22
	v_addc_co_u32_e64 v3, s[8:9], 0, v3, s[8:9]
	s_waitcnt lgkmcnt(0)
	; wave barrier
	s_and_saveexec_b64 s[8:9], vcc
	s_cbranch_execnz .LBB107_110
; %bb.98:
	s_or_b64 exec, exec, s[8:9]
	s_and_saveexec_b64 s[8:9], s[4:5]
	s_cbranch_execnz .LBB107_111
.LBB107_99:
	s_or_b64 exec, exec, s[8:9]
	s_and_saveexec_b64 s[8:9], s[6:7]
	s_cbranch_execnz .LBB107_112
.LBB107_100:
	s_or_b64 exec, exec, s[8:9]
	s_and_saveexec_b64 s[8:9], s[10:11]
	s_cbranch_execz .LBB107_102
.LBB107_101:
	s_waitcnt vmcnt(0)
	v_lshrrev_b32_e32 v8, 24, v25
	flat_store_byte v[2:3], v8 offset:3
.LBB107_102:
	s_or_b64 exec, exec, s[8:9]
	v_add_co_u32_e64 v0, s[8:9], v6, v0
	v_addc_co_u32_e64 v1, s[8:9], v7, v1, s[8:9]
	v_add_co_u32_e64 v0, s[8:9], v0, v23
	v_addc_co_u32_e64 v1, s[8:9], 0, v1, s[8:9]
	; wave barrier
	s_and_saveexec_b64 s[8:9], vcc
	s_cbranch_execnz .LBB107_113
; %bb.103:
	s_or_b64 exec, exec, s[8:9]
	s_and_saveexec_b64 s[8:9], s[4:5]
	s_cbranch_execnz .LBB107_114
.LBB107_104:
	s_or_b64 exec, exec, s[8:9]
	s_and_saveexec_b64 s[4:5], s[6:7]
	s_cbranch_execnz .LBB107_115
.LBB107_105:
	s_or_b64 exec, exec, s[4:5]
	s_and_saveexec_b64 s[4:5], s[10:11]
	s_cbranch_execnz .LBB107_116
.LBB107_106:
	s_or_b64 exec, exec, s[4:5]
	s_waitcnt vmcnt(0) lgkmcnt(0)
	s_setpc_b64 s[30:31]
.LBB107_107:
	flat_load_dwordx2 v[4:5], v[20:21]
	s_or_b64 exec, exec, s[14:15]
                                        ; implicit-def: $vgpr14_vgpr15
	s_and_saveexec_b64 s[14:15], s[4:5]
	s_cbranch_execz .LBB107_10
.LBB107_108:
	flat_load_dwordx2 v[14:15], v[20:21] offset:8
	s_or_b64 exec, exec, s[14:15]
                                        ; implicit-def: $vgpr18_vgpr19
	s_and_saveexec_b64 s[14:15], s[6:7]
	s_cbranch_execz .LBB107_11
.LBB107_109:
	flat_load_dwordx2 v[18:19], v[20:21] offset:16
	s_or_b64 exec, exec, s[14:15]
                                        ; implicit-def: $vgpr16_vgpr17
	s_and_saveexec_b64 s[14:15], s[10:11]
	s_cbranch_execnz .LBB107_12
	s_branch .LBB107_13
.LBB107_110:
	s_waitcnt vmcnt(0)
	flat_store_byte v[2:3], v25
	s_or_b64 exec, exec, s[8:9]
	s_and_saveexec_b64 s[8:9], s[4:5]
	s_cbranch_execz .LBB107_99
.LBB107_111:
	s_waitcnt vmcnt(0)
	v_lshrrev_b32_e32 v8, 8, v25
	flat_store_byte v[2:3], v8 offset:1
	s_or_b64 exec, exec, s[8:9]
	s_and_saveexec_b64 s[8:9], s[6:7]
	s_cbranch_execz .LBB107_100
.LBB107_112:
	s_waitcnt vmcnt(0)
	flat_store_byte_d16_hi v[2:3], v25 offset:2
	s_or_b64 exec, exec, s[8:9]
	s_and_saveexec_b64 s[8:9], s[10:11]
	s_cbranch_execnz .LBB107_101
	s_branch .LBB107_102
.LBB107_113:
	s_waitcnt vmcnt(0)
	flat_store_dwordx2 v[0:1], v[4:5]
	s_or_b64 exec, exec, s[8:9]
	s_and_saveexec_b64 s[8:9], s[4:5]
	s_cbranch_execz .LBB107_104
.LBB107_114:
	s_waitcnt vmcnt(0)
	flat_store_dwordx2 v[0:1], v[14:15] offset:8
	s_or_b64 exec, exec, s[8:9]
	s_and_saveexec_b64 s[4:5], s[6:7]
	s_cbranch_execz .LBB107_105
.LBB107_115:
	s_waitcnt vmcnt(0)
	flat_store_dwordx2 v[0:1], v[18:19] offset:16
	s_or_b64 exec, exec, s[4:5]
	s_and_saveexec_b64 s[4:5], s[10:11]
	s_cbranch_execz .LBB107_106
.LBB107_116:
	s_waitcnt vmcnt(0)
	flat_store_dwordx2 v[0:1], v[16:17] offset:24
	s_or_b64 exec, exec, s[4:5]
	s_waitcnt vmcnt(0) lgkmcnt(0)
	s_setpc_b64 s[30:31]
.Lfunc_end107:
	.size	_ZN7rocprim17ROCPRIM_400000_NS6detail26segmented_warp_sort_helperINS1_20WarpSortHelperConfigILj8ELj4ELj256EEEhlLi256ELb1EvE4sortIPKhPhPKlPlEEvT_T0_T1_T2_jjjjRNS5_12storage_typeE, .Lfunc_end107-_ZN7rocprim17ROCPRIM_400000_NS6detail26segmented_warp_sort_helperINS1_20WarpSortHelperConfigILj8ELj4ELj256EEEhlLi256ELb1EvE4sortIPKhPhPKlPlEEvT_T0_T1_T2_jjjjRNS5_12storage_typeE
                                        ; -- End function
	.set .L_ZN7rocprim17ROCPRIM_400000_NS6detail26segmented_warp_sort_helperINS1_20WarpSortHelperConfigILj8ELj4ELj256EEEhlLi256ELb1EvE4sortIPKhPhPKlPlEEvT_T0_T1_T2_jjjjRNS5_12storage_typeE.num_vgpr, 52
	.set .L_ZN7rocprim17ROCPRIM_400000_NS6detail26segmented_warp_sort_helperINS1_20WarpSortHelperConfigILj8ELj4ELj256EEEhlLi256ELb1EvE4sortIPKhPhPKlPlEEvT_T0_T1_T2_jjjjRNS5_12storage_typeE.num_agpr, 0
	.set .L_ZN7rocprim17ROCPRIM_400000_NS6detail26segmented_warp_sort_helperINS1_20WarpSortHelperConfigILj8ELj4ELj256EEEhlLi256ELb1EvE4sortIPKhPhPKlPlEEvT_T0_T1_T2_jjjjRNS5_12storage_typeE.numbered_sgpr, 32
	.set .L_ZN7rocprim17ROCPRIM_400000_NS6detail26segmented_warp_sort_helperINS1_20WarpSortHelperConfigILj8ELj4ELj256EEEhlLi256ELb1EvE4sortIPKhPhPKlPlEEvT_T0_T1_T2_jjjjRNS5_12storage_typeE.num_named_barrier, 0
	.set .L_ZN7rocprim17ROCPRIM_400000_NS6detail26segmented_warp_sort_helperINS1_20WarpSortHelperConfigILj8ELj4ELj256EEEhlLi256ELb1EvE4sortIPKhPhPKlPlEEvT_T0_T1_T2_jjjjRNS5_12storage_typeE.private_seg_size, 0
	.set .L_ZN7rocprim17ROCPRIM_400000_NS6detail26segmented_warp_sort_helperINS1_20WarpSortHelperConfigILj8ELj4ELj256EEEhlLi256ELb1EvE4sortIPKhPhPKlPlEEvT_T0_T1_T2_jjjjRNS5_12storage_typeE.uses_vcc, 1
	.set .L_ZN7rocprim17ROCPRIM_400000_NS6detail26segmented_warp_sort_helperINS1_20WarpSortHelperConfigILj8ELj4ELj256EEEhlLi256ELb1EvE4sortIPKhPhPKlPlEEvT_T0_T1_T2_jjjjRNS5_12storage_typeE.uses_flat_scratch, 0
	.set .L_ZN7rocprim17ROCPRIM_400000_NS6detail26segmented_warp_sort_helperINS1_20WarpSortHelperConfigILj8ELj4ELj256EEEhlLi256ELb1EvE4sortIPKhPhPKlPlEEvT_T0_T1_T2_jjjjRNS5_12storage_typeE.has_dyn_sized_stack, 0
	.set .L_ZN7rocprim17ROCPRIM_400000_NS6detail26segmented_warp_sort_helperINS1_20WarpSortHelperConfigILj8ELj4ELj256EEEhlLi256ELb1EvE4sortIPKhPhPKlPlEEvT_T0_T1_T2_jjjjRNS5_12storage_typeE.has_recursion, 0
	.set .L_ZN7rocprim17ROCPRIM_400000_NS6detail26segmented_warp_sort_helperINS1_20WarpSortHelperConfigILj8ELj4ELj256EEEhlLi256ELb1EvE4sortIPKhPhPKlPlEEvT_T0_T1_T2_jjjjRNS5_12storage_typeE.has_indirect_call, 0
	.section	.AMDGPU.csdata,"",@progbits
; Function info:
; codeLenInByte = 7356
; TotalNumSgprs: 36
; NumVgprs: 52
; ScratchSize: 0
; MemoryBound: 0
	.section	.text._ZN7rocprim17ROCPRIM_400000_NS6detail17trampoline_kernelINS0_14default_configENS1_36segmented_radix_sort_config_selectorIhlEEZNS1_25segmented_radix_sort_implIS3_Lb1EPKhPhPKlPlN2at6native12_GLOBAL__N_18offset_tEEE10hipError_tPvRmT1_PNSt15iterator_traitsISK_E10value_typeET2_T3_PNSL_ISQ_E10value_typeET4_jRbjT5_SW_jjP12ihipStream_tbEUlT_E1_NS1_11comp_targetILNS1_3genE2ELNS1_11target_archE906ELNS1_3gpuE6ELNS1_3repE0EEENS1_59segmented_radix_sort_warp_sort_small_config_static_selectorELNS0_4arch9wavefront6targetE1EEEvSK_,"axG",@progbits,_ZN7rocprim17ROCPRIM_400000_NS6detail17trampoline_kernelINS0_14default_configENS1_36segmented_radix_sort_config_selectorIhlEEZNS1_25segmented_radix_sort_implIS3_Lb1EPKhPhPKlPlN2at6native12_GLOBAL__N_18offset_tEEE10hipError_tPvRmT1_PNSt15iterator_traitsISK_E10value_typeET2_T3_PNSL_ISQ_E10value_typeET4_jRbjT5_SW_jjP12ihipStream_tbEUlT_E1_NS1_11comp_targetILNS1_3genE2ELNS1_11target_archE906ELNS1_3gpuE6ELNS1_3repE0EEENS1_59segmented_radix_sort_warp_sort_small_config_static_selectorELNS0_4arch9wavefront6targetE1EEEvSK_,comdat
	.globl	_ZN7rocprim17ROCPRIM_400000_NS6detail17trampoline_kernelINS0_14default_configENS1_36segmented_radix_sort_config_selectorIhlEEZNS1_25segmented_radix_sort_implIS3_Lb1EPKhPhPKlPlN2at6native12_GLOBAL__N_18offset_tEEE10hipError_tPvRmT1_PNSt15iterator_traitsISK_E10value_typeET2_T3_PNSL_ISQ_E10value_typeET4_jRbjT5_SW_jjP12ihipStream_tbEUlT_E1_NS1_11comp_targetILNS1_3genE2ELNS1_11target_archE906ELNS1_3gpuE6ELNS1_3repE0EEENS1_59segmented_radix_sort_warp_sort_small_config_static_selectorELNS0_4arch9wavefront6targetE1EEEvSK_ ; -- Begin function _ZN7rocprim17ROCPRIM_400000_NS6detail17trampoline_kernelINS0_14default_configENS1_36segmented_radix_sort_config_selectorIhlEEZNS1_25segmented_radix_sort_implIS3_Lb1EPKhPhPKlPlN2at6native12_GLOBAL__N_18offset_tEEE10hipError_tPvRmT1_PNSt15iterator_traitsISK_E10value_typeET2_T3_PNSL_ISQ_E10value_typeET4_jRbjT5_SW_jjP12ihipStream_tbEUlT_E1_NS1_11comp_targetILNS1_3genE2ELNS1_11target_archE906ELNS1_3gpuE6ELNS1_3repE0EEENS1_59segmented_radix_sort_warp_sort_small_config_static_selectorELNS0_4arch9wavefront6targetE1EEEvSK_
	.p2align	8
	.type	_ZN7rocprim17ROCPRIM_400000_NS6detail17trampoline_kernelINS0_14default_configENS1_36segmented_radix_sort_config_selectorIhlEEZNS1_25segmented_radix_sort_implIS3_Lb1EPKhPhPKlPlN2at6native12_GLOBAL__N_18offset_tEEE10hipError_tPvRmT1_PNSt15iterator_traitsISK_E10value_typeET2_T3_PNSL_ISQ_E10value_typeET4_jRbjT5_SW_jjP12ihipStream_tbEUlT_E1_NS1_11comp_targetILNS1_3genE2ELNS1_11target_archE906ELNS1_3gpuE6ELNS1_3repE0EEENS1_59segmented_radix_sort_warp_sort_small_config_static_selectorELNS0_4arch9wavefront6targetE1EEEvSK_,@function
_ZN7rocprim17ROCPRIM_400000_NS6detail17trampoline_kernelINS0_14default_configENS1_36segmented_radix_sort_config_selectorIhlEEZNS1_25segmented_radix_sort_implIS3_Lb1EPKhPhPKlPlN2at6native12_GLOBAL__N_18offset_tEEE10hipError_tPvRmT1_PNSt15iterator_traitsISK_E10value_typeET2_T3_PNSL_ISQ_E10value_typeET4_jRbjT5_SW_jjP12ihipStream_tbEUlT_E1_NS1_11comp_targetILNS1_3genE2ELNS1_11target_archE906ELNS1_3gpuE6ELNS1_3repE0EEENS1_59segmented_radix_sort_warp_sort_small_config_static_selectorELNS0_4arch9wavefront6targetE1EEEvSK_: ; @_ZN7rocprim17ROCPRIM_400000_NS6detail17trampoline_kernelINS0_14default_configENS1_36segmented_radix_sort_config_selectorIhlEEZNS1_25segmented_radix_sort_implIS3_Lb1EPKhPhPKlPlN2at6native12_GLOBAL__N_18offset_tEEE10hipError_tPvRmT1_PNSt15iterator_traitsISK_E10value_typeET2_T3_PNSL_ISQ_E10value_typeET4_jRbjT5_SW_jjP12ihipStream_tbEUlT_E1_NS1_11comp_targetILNS1_3genE2ELNS1_11target_archE906ELNS1_3gpuE6ELNS1_3repE0EEENS1_59segmented_radix_sort_warp_sort_small_config_static_selectorELNS0_4arch9wavefront6targetE1EEEvSK_
; %bb.0:
	s_add_u32 s0, s0, s8
	s_load_dword s8, s[4:5], 0x64
	s_addc_u32 s1, s1, 0
	s_mov_b32 s32, 0
	s_waitcnt lgkmcnt(0)
	s_lshr_b32 s9, s8, 16
	s_and_b32 s8, s8, 0xffff
	v_mad_u32_u24 v3, v2, s9, v1
	v_mad_u64_u32 v[3:4], s[8:9], v3, s8, v[0:1]
	s_load_dword s8, s[4:5], 0x34
	v_lshrrev_b32_e32 v3, 3, v3
	v_lshl_add_u32 v3, s6, 5, v3
	s_waitcnt lgkmcnt(0)
	v_cmp_gt_u32_e32 vcc, s8, v3
	s_and_saveexec_b64 s[8:9], vcc
	s_cbranch_execz .LBB108_6
; %bb.1:
	s_load_dwordx2 s[12:13], s[4:5], 0x38
	s_load_dwordx4 s[8:11], s[4:5], 0x40
	v_mov_b32_e32 v4, 0
	v_lshlrev_b64 v[3:4], 2, v[3:4]
	s_waitcnt lgkmcnt(0)
	v_mov_b32_e32 v5, s13
	v_sub_co_u32_e32 v3, vcc, s12, v3
	v_subb_co_u32_e32 v4, vcc, v5, v4, vcc
	global_load_dword v3, v[3:4], off offset:-4
	s_waitcnt vmcnt(0)
	v_add_u32_e32 v4, s9, v3
	v_add_u32_e32 v3, s11, v3
	v_mul_lo_u32 v40, v4, s8
	v_mul_lo_u32 v41, v3, s10
	v_cmp_gt_u32_e32 vcc, v41, v40
	s_and_b64 exec, exec, vcc
	s_cbranch_execz .LBB108_6
; %bb.2:
	s_load_dword s10, s[4:5], 0x30
	s_load_dwordx4 s[44:47], s[4:5], 0x20
	s_load_dwordx8 s[36:43], s[4:5], 0x0
	s_load_dwordx2 s[26:27], s[4:5], 0x50
	s_mov_b64 s[8:9], -1
	s_waitcnt lgkmcnt(0)
	s_bitcmp0_b32 s10, 0
	v_lshlrev_b32_e32 v43, 20, v2
	v_lshlrev_b32_e32 v44, 10, v1
	s_cbranch_scc0 .LBB108_4
; %bb.3:
	s_add_u32 s8, s4, 0x58
	s_mov_b64 s[10:11], src_shared_base
	s_addc_u32 s9, s5, 0
	s_getpc_b64 s[14:15]
	s_add_u32 s14, s14, _ZN7rocprim17ROCPRIM_400000_NS6detail26segmented_warp_sort_helperINS1_20WarpSortHelperConfigILj8ELj4ELj256EEEhlLi256ELb1EvE4sortIPKhPhPKlPlEEvT_T0_T1_T2_jjjjRNS5_12storage_typeE@rel32@lo+4
	s_addc_u32 s15, s15, _ZN7rocprim17ROCPRIM_400000_NS6detail26segmented_warp_sort_helperINS1_20WarpSortHelperConfigILj8ELj4ELj256EEEhlLi256ELb1EvE4sortIPKhPhPKlPlEEvT_T0_T1_T2_jjjjRNS5_12storage_typeE@rel32@hi+12
	v_or3_b32 v31, v0, v44, v43
	s_mov_b32 s12, s6
	s_mov_b32 s13, s7
	v_mov_b32_e32 v42, v0
	v_mov_b32_e32 v0, s36
	;; [unrolled: 1-line block ×15, first 2 shown]
	s_mov_b64 s[28:29], s[4:5]
	s_mov_b32 s34, s7
	s_mov_b32 s33, s6
	s_swappc_b64 s[30:31], s[14:15]
	v_mov_b32_e32 v0, v42
	s_mov_b32 s6, s33
	s_mov_b32 s7, s34
	s_mov_b64 s[4:5], s[28:29]
	s_mov_b64 s[8:9], 0
.LBB108_4:
	s_andn2_b64 vcc, exec, s[8:9]
	s_cbranch_vccnz .LBB108_6
; %bb.5:
	s_add_u32 s8, s4, 0x58
	s_mov_b64 s[10:11], src_shared_base
	s_addc_u32 s9, s5, 0
	s_getpc_b64 s[4:5]
	s_add_u32 s4, s4, _ZN7rocprim17ROCPRIM_400000_NS6detail26segmented_warp_sort_helperINS1_20WarpSortHelperConfigILj8ELj4ELj256EEEhlLi256ELb1EvE4sortIPKhPhPKlPlEEvT_T0_T1_T2_jjjjRNS5_12storage_typeE@rel32@lo+4
	s_addc_u32 s5, s5, _ZN7rocprim17ROCPRIM_400000_NS6detail26segmented_warp_sort_helperINS1_20WarpSortHelperConfigILj8ELj4ELj256EEEhlLi256ELb1EvE4sortIPKhPhPKlPlEEvT_T0_T1_T2_jjjjRNS5_12storage_typeE@rel32@hi+12
	v_or3_b32 v31, v0, v44, v43
	s_mov_b32 s12, s6
	s_mov_b32 s13, s7
	v_mov_b32_e32 v0, s36
	v_mov_b32_e32 v1, s37
	;; [unrolled: 1-line block ×14, first 2 shown]
	s_swappc_b64 s[30:31], s[4:5]
.LBB108_6:
	s_endpgm
	.section	.rodata,"a",@progbits
	.p2align	6, 0x0
	.amdhsa_kernel _ZN7rocprim17ROCPRIM_400000_NS6detail17trampoline_kernelINS0_14default_configENS1_36segmented_radix_sort_config_selectorIhlEEZNS1_25segmented_radix_sort_implIS3_Lb1EPKhPhPKlPlN2at6native12_GLOBAL__N_18offset_tEEE10hipError_tPvRmT1_PNSt15iterator_traitsISK_E10value_typeET2_T3_PNSL_ISQ_E10value_typeET4_jRbjT5_SW_jjP12ihipStream_tbEUlT_E1_NS1_11comp_targetILNS1_3genE2ELNS1_11target_archE906ELNS1_3gpuE6ELNS1_3repE0EEENS1_59segmented_radix_sort_warp_sort_small_config_static_selectorELNS0_4arch9wavefront6targetE1EEEvSK_
		.amdhsa_group_segment_fixed_size 9216
		.amdhsa_private_segment_fixed_size 0
		.amdhsa_kernarg_size 344
		.amdhsa_user_sgpr_count 6
		.amdhsa_user_sgpr_private_segment_buffer 1
		.amdhsa_user_sgpr_dispatch_ptr 0
		.amdhsa_user_sgpr_queue_ptr 0
		.amdhsa_user_sgpr_kernarg_segment_ptr 1
		.amdhsa_user_sgpr_dispatch_id 0
		.amdhsa_user_sgpr_flat_scratch_init 0
		.amdhsa_user_sgpr_private_segment_size 0
		.amdhsa_uses_dynamic_stack 0
		.amdhsa_system_sgpr_private_segment_wavefront_offset 0
		.amdhsa_system_sgpr_workgroup_id_x 1
		.amdhsa_system_sgpr_workgroup_id_y 1
		.amdhsa_system_sgpr_workgroup_id_z 0
		.amdhsa_system_sgpr_workgroup_info 0
		.amdhsa_system_vgpr_workitem_id 2
		.amdhsa_next_free_vgpr 52
		.amdhsa_next_free_sgpr 77
		.amdhsa_reserve_vcc 1
		.amdhsa_reserve_flat_scratch 0
		.amdhsa_float_round_mode_32 0
		.amdhsa_float_round_mode_16_64 0
		.amdhsa_float_denorm_mode_32 3
		.amdhsa_float_denorm_mode_16_64 3
		.amdhsa_dx10_clamp 1
		.amdhsa_ieee_mode 1
		.amdhsa_fp16_overflow 0
		.amdhsa_exception_fp_ieee_invalid_op 0
		.amdhsa_exception_fp_denorm_src 0
		.amdhsa_exception_fp_ieee_div_zero 0
		.amdhsa_exception_fp_ieee_overflow 0
		.amdhsa_exception_fp_ieee_underflow 0
		.amdhsa_exception_fp_ieee_inexact 0
		.amdhsa_exception_int_div_zero 0
	.end_amdhsa_kernel
	.section	.text._ZN7rocprim17ROCPRIM_400000_NS6detail17trampoline_kernelINS0_14default_configENS1_36segmented_radix_sort_config_selectorIhlEEZNS1_25segmented_radix_sort_implIS3_Lb1EPKhPhPKlPlN2at6native12_GLOBAL__N_18offset_tEEE10hipError_tPvRmT1_PNSt15iterator_traitsISK_E10value_typeET2_T3_PNSL_ISQ_E10value_typeET4_jRbjT5_SW_jjP12ihipStream_tbEUlT_E1_NS1_11comp_targetILNS1_3genE2ELNS1_11target_archE906ELNS1_3gpuE6ELNS1_3repE0EEENS1_59segmented_radix_sort_warp_sort_small_config_static_selectorELNS0_4arch9wavefront6targetE1EEEvSK_,"axG",@progbits,_ZN7rocprim17ROCPRIM_400000_NS6detail17trampoline_kernelINS0_14default_configENS1_36segmented_radix_sort_config_selectorIhlEEZNS1_25segmented_radix_sort_implIS3_Lb1EPKhPhPKlPlN2at6native12_GLOBAL__N_18offset_tEEE10hipError_tPvRmT1_PNSt15iterator_traitsISK_E10value_typeET2_T3_PNSL_ISQ_E10value_typeET4_jRbjT5_SW_jjP12ihipStream_tbEUlT_E1_NS1_11comp_targetILNS1_3genE2ELNS1_11target_archE906ELNS1_3gpuE6ELNS1_3repE0EEENS1_59segmented_radix_sort_warp_sort_small_config_static_selectorELNS0_4arch9wavefront6targetE1EEEvSK_,comdat
.Lfunc_end108:
	.size	_ZN7rocprim17ROCPRIM_400000_NS6detail17trampoline_kernelINS0_14default_configENS1_36segmented_radix_sort_config_selectorIhlEEZNS1_25segmented_radix_sort_implIS3_Lb1EPKhPhPKlPlN2at6native12_GLOBAL__N_18offset_tEEE10hipError_tPvRmT1_PNSt15iterator_traitsISK_E10value_typeET2_T3_PNSL_ISQ_E10value_typeET4_jRbjT5_SW_jjP12ihipStream_tbEUlT_E1_NS1_11comp_targetILNS1_3genE2ELNS1_11target_archE906ELNS1_3gpuE6ELNS1_3repE0EEENS1_59segmented_radix_sort_warp_sort_small_config_static_selectorELNS0_4arch9wavefront6targetE1EEEvSK_, .Lfunc_end108-_ZN7rocprim17ROCPRIM_400000_NS6detail17trampoline_kernelINS0_14default_configENS1_36segmented_radix_sort_config_selectorIhlEEZNS1_25segmented_radix_sort_implIS3_Lb1EPKhPhPKlPlN2at6native12_GLOBAL__N_18offset_tEEE10hipError_tPvRmT1_PNSt15iterator_traitsISK_E10value_typeET2_T3_PNSL_ISQ_E10value_typeET4_jRbjT5_SW_jjP12ihipStream_tbEUlT_E1_NS1_11comp_targetILNS1_3genE2ELNS1_11target_archE906ELNS1_3gpuE6ELNS1_3repE0EEENS1_59segmented_radix_sort_warp_sort_small_config_static_selectorELNS0_4arch9wavefront6targetE1EEEvSK_
                                        ; -- End function
	.set _ZN7rocprim17ROCPRIM_400000_NS6detail17trampoline_kernelINS0_14default_configENS1_36segmented_radix_sort_config_selectorIhlEEZNS1_25segmented_radix_sort_implIS3_Lb1EPKhPhPKlPlN2at6native12_GLOBAL__N_18offset_tEEE10hipError_tPvRmT1_PNSt15iterator_traitsISK_E10value_typeET2_T3_PNSL_ISQ_E10value_typeET4_jRbjT5_SW_jjP12ihipStream_tbEUlT_E1_NS1_11comp_targetILNS1_3genE2ELNS1_11target_archE906ELNS1_3gpuE6ELNS1_3repE0EEENS1_59segmented_radix_sort_warp_sort_small_config_static_selectorELNS0_4arch9wavefront6targetE1EEEvSK_.num_vgpr, max(45, .L_ZN7rocprim17ROCPRIM_400000_NS6detail26segmented_warp_sort_helperINS1_20WarpSortHelperConfigILj8ELj4ELj256EEEhlLi256ELb1EvE4sortIPKhPhPKlPlEEvT_T0_T1_T2_jjjjRNS5_12storage_typeE.num_vgpr)
	.set _ZN7rocprim17ROCPRIM_400000_NS6detail17trampoline_kernelINS0_14default_configENS1_36segmented_radix_sort_config_selectorIhlEEZNS1_25segmented_radix_sort_implIS3_Lb1EPKhPhPKlPlN2at6native12_GLOBAL__N_18offset_tEEE10hipError_tPvRmT1_PNSt15iterator_traitsISK_E10value_typeET2_T3_PNSL_ISQ_E10value_typeET4_jRbjT5_SW_jjP12ihipStream_tbEUlT_E1_NS1_11comp_targetILNS1_3genE2ELNS1_11target_archE906ELNS1_3gpuE6ELNS1_3repE0EEENS1_59segmented_radix_sort_warp_sort_small_config_static_selectorELNS0_4arch9wavefront6targetE1EEEvSK_.num_agpr, max(0, .L_ZN7rocprim17ROCPRIM_400000_NS6detail26segmented_warp_sort_helperINS1_20WarpSortHelperConfigILj8ELj4ELj256EEEhlLi256ELb1EvE4sortIPKhPhPKlPlEEvT_T0_T1_T2_jjjjRNS5_12storage_typeE.num_agpr)
	.set _ZN7rocprim17ROCPRIM_400000_NS6detail17trampoline_kernelINS0_14default_configENS1_36segmented_radix_sort_config_selectorIhlEEZNS1_25segmented_radix_sort_implIS3_Lb1EPKhPhPKlPlN2at6native12_GLOBAL__N_18offset_tEEE10hipError_tPvRmT1_PNSt15iterator_traitsISK_E10value_typeET2_T3_PNSL_ISQ_E10value_typeET4_jRbjT5_SW_jjP12ihipStream_tbEUlT_E1_NS1_11comp_targetILNS1_3genE2ELNS1_11target_archE906ELNS1_3gpuE6ELNS1_3repE0EEENS1_59segmented_radix_sort_warp_sort_small_config_static_selectorELNS0_4arch9wavefront6targetE1EEEvSK_.numbered_sgpr, max(48, .L_ZN7rocprim17ROCPRIM_400000_NS6detail26segmented_warp_sort_helperINS1_20WarpSortHelperConfigILj8ELj4ELj256EEEhlLi256ELb1EvE4sortIPKhPhPKlPlEEvT_T0_T1_T2_jjjjRNS5_12storage_typeE.numbered_sgpr)
	.set _ZN7rocprim17ROCPRIM_400000_NS6detail17trampoline_kernelINS0_14default_configENS1_36segmented_radix_sort_config_selectorIhlEEZNS1_25segmented_radix_sort_implIS3_Lb1EPKhPhPKlPlN2at6native12_GLOBAL__N_18offset_tEEE10hipError_tPvRmT1_PNSt15iterator_traitsISK_E10value_typeET2_T3_PNSL_ISQ_E10value_typeET4_jRbjT5_SW_jjP12ihipStream_tbEUlT_E1_NS1_11comp_targetILNS1_3genE2ELNS1_11target_archE906ELNS1_3gpuE6ELNS1_3repE0EEENS1_59segmented_radix_sort_warp_sort_small_config_static_selectorELNS0_4arch9wavefront6targetE1EEEvSK_.num_named_barrier, max(0, .L_ZN7rocprim17ROCPRIM_400000_NS6detail26segmented_warp_sort_helperINS1_20WarpSortHelperConfigILj8ELj4ELj256EEEhlLi256ELb1EvE4sortIPKhPhPKlPlEEvT_T0_T1_T2_jjjjRNS5_12storage_typeE.num_named_barrier)
	.set _ZN7rocprim17ROCPRIM_400000_NS6detail17trampoline_kernelINS0_14default_configENS1_36segmented_radix_sort_config_selectorIhlEEZNS1_25segmented_radix_sort_implIS3_Lb1EPKhPhPKlPlN2at6native12_GLOBAL__N_18offset_tEEE10hipError_tPvRmT1_PNSt15iterator_traitsISK_E10value_typeET2_T3_PNSL_ISQ_E10value_typeET4_jRbjT5_SW_jjP12ihipStream_tbEUlT_E1_NS1_11comp_targetILNS1_3genE2ELNS1_11target_archE906ELNS1_3gpuE6ELNS1_3repE0EEENS1_59segmented_radix_sort_warp_sort_small_config_static_selectorELNS0_4arch9wavefront6targetE1EEEvSK_.private_seg_size, 0+max(.L_ZN7rocprim17ROCPRIM_400000_NS6detail26segmented_warp_sort_helperINS1_20WarpSortHelperConfigILj8ELj4ELj256EEEhlLi256ELb1EvE4sortIPKhPhPKlPlEEvT_T0_T1_T2_jjjjRNS5_12storage_typeE.private_seg_size)
	.set _ZN7rocprim17ROCPRIM_400000_NS6detail17trampoline_kernelINS0_14default_configENS1_36segmented_radix_sort_config_selectorIhlEEZNS1_25segmented_radix_sort_implIS3_Lb1EPKhPhPKlPlN2at6native12_GLOBAL__N_18offset_tEEE10hipError_tPvRmT1_PNSt15iterator_traitsISK_E10value_typeET2_T3_PNSL_ISQ_E10value_typeET4_jRbjT5_SW_jjP12ihipStream_tbEUlT_E1_NS1_11comp_targetILNS1_3genE2ELNS1_11target_archE906ELNS1_3gpuE6ELNS1_3repE0EEENS1_59segmented_radix_sort_warp_sort_small_config_static_selectorELNS0_4arch9wavefront6targetE1EEEvSK_.uses_vcc, or(1, .L_ZN7rocprim17ROCPRIM_400000_NS6detail26segmented_warp_sort_helperINS1_20WarpSortHelperConfigILj8ELj4ELj256EEEhlLi256ELb1EvE4sortIPKhPhPKlPlEEvT_T0_T1_T2_jjjjRNS5_12storage_typeE.uses_vcc)
	.set _ZN7rocprim17ROCPRIM_400000_NS6detail17trampoline_kernelINS0_14default_configENS1_36segmented_radix_sort_config_selectorIhlEEZNS1_25segmented_radix_sort_implIS3_Lb1EPKhPhPKlPlN2at6native12_GLOBAL__N_18offset_tEEE10hipError_tPvRmT1_PNSt15iterator_traitsISK_E10value_typeET2_T3_PNSL_ISQ_E10value_typeET4_jRbjT5_SW_jjP12ihipStream_tbEUlT_E1_NS1_11comp_targetILNS1_3genE2ELNS1_11target_archE906ELNS1_3gpuE6ELNS1_3repE0EEENS1_59segmented_radix_sort_warp_sort_small_config_static_selectorELNS0_4arch9wavefront6targetE1EEEvSK_.uses_flat_scratch, or(0, .L_ZN7rocprim17ROCPRIM_400000_NS6detail26segmented_warp_sort_helperINS1_20WarpSortHelperConfigILj8ELj4ELj256EEEhlLi256ELb1EvE4sortIPKhPhPKlPlEEvT_T0_T1_T2_jjjjRNS5_12storage_typeE.uses_flat_scratch)
	.set _ZN7rocprim17ROCPRIM_400000_NS6detail17trampoline_kernelINS0_14default_configENS1_36segmented_radix_sort_config_selectorIhlEEZNS1_25segmented_radix_sort_implIS3_Lb1EPKhPhPKlPlN2at6native12_GLOBAL__N_18offset_tEEE10hipError_tPvRmT1_PNSt15iterator_traitsISK_E10value_typeET2_T3_PNSL_ISQ_E10value_typeET4_jRbjT5_SW_jjP12ihipStream_tbEUlT_E1_NS1_11comp_targetILNS1_3genE2ELNS1_11target_archE906ELNS1_3gpuE6ELNS1_3repE0EEENS1_59segmented_radix_sort_warp_sort_small_config_static_selectorELNS0_4arch9wavefront6targetE1EEEvSK_.has_dyn_sized_stack, or(0, .L_ZN7rocprim17ROCPRIM_400000_NS6detail26segmented_warp_sort_helperINS1_20WarpSortHelperConfigILj8ELj4ELj256EEEhlLi256ELb1EvE4sortIPKhPhPKlPlEEvT_T0_T1_T2_jjjjRNS5_12storage_typeE.has_dyn_sized_stack)
	.set _ZN7rocprim17ROCPRIM_400000_NS6detail17trampoline_kernelINS0_14default_configENS1_36segmented_radix_sort_config_selectorIhlEEZNS1_25segmented_radix_sort_implIS3_Lb1EPKhPhPKlPlN2at6native12_GLOBAL__N_18offset_tEEE10hipError_tPvRmT1_PNSt15iterator_traitsISK_E10value_typeET2_T3_PNSL_ISQ_E10value_typeET4_jRbjT5_SW_jjP12ihipStream_tbEUlT_E1_NS1_11comp_targetILNS1_3genE2ELNS1_11target_archE906ELNS1_3gpuE6ELNS1_3repE0EEENS1_59segmented_radix_sort_warp_sort_small_config_static_selectorELNS0_4arch9wavefront6targetE1EEEvSK_.has_recursion, or(0, .L_ZN7rocprim17ROCPRIM_400000_NS6detail26segmented_warp_sort_helperINS1_20WarpSortHelperConfigILj8ELj4ELj256EEEhlLi256ELb1EvE4sortIPKhPhPKlPlEEvT_T0_T1_T2_jjjjRNS5_12storage_typeE.has_recursion)
	.set _ZN7rocprim17ROCPRIM_400000_NS6detail17trampoline_kernelINS0_14default_configENS1_36segmented_radix_sort_config_selectorIhlEEZNS1_25segmented_radix_sort_implIS3_Lb1EPKhPhPKlPlN2at6native12_GLOBAL__N_18offset_tEEE10hipError_tPvRmT1_PNSt15iterator_traitsISK_E10value_typeET2_T3_PNSL_ISQ_E10value_typeET4_jRbjT5_SW_jjP12ihipStream_tbEUlT_E1_NS1_11comp_targetILNS1_3genE2ELNS1_11target_archE906ELNS1_3gpuE6ELNS1_3repE0EEENS1_59segmented_radix_sort_warp_sort_small_config_static_selectorELNS0_4arch9wavefront6targetE1EEEvSK_.has_indirect_call, or(0, .L_ZN7rocprim17ROCPRIM_400000_NS6detail26segmented_warp_sort_helperINS1_20WarpSortHelperConfigILj8ELj4ELj256EEEhlLi256ELb1EvE4sortIPKhPhPKlPlEEvT_T0_T1_T2_jjjjRNS5_12storage_typeE.has_indirect_call)
	.section	.AMDGPU.csdata,"",@progbits
; Kernel info:
; codeLenInByte = 508
; TotalNumSgprs: 52
; NumVgprs: 52
; ScratchSize: 0
; MemoryBound: 0
; FloatMode: 240
; IeeeMode: 1
; LDSByteSize: 9216 bytes/workgroup (compile time only)
; SGPRBlocks: 10
; VGPRBlocks: 12
; NumSGPRsForWavesPerEU: 81
; NumVGPRsForWavesPerEU: 52
; Occupancy: 4
; WaveLimiterHint : 0
; COMPUTE_PGM_RSRC2:SCRATCH_EN: 0
; COMPUTE_PGM_RSRC2:USER_SGPR: 6
; COMPUTE_PGM_RSRC2:TRAP_HANDLER: 0
; COMPUTE_PGM_RSRC2:TGID_X_EN: 1
; COMPUTE_PGM_RSRC2:TGID_Y_EN: 1
; COMPUTE_PGM_RSRC2:TGID_Z_EN: 0
; COMPUTE_PGM_RSRC2:TIDIG_COMP_CNT: 2
	.section	.text._ZN7rocprim17ROCPRIM_400000_NS6detail17trampoline_kernelINS0_14default_configENS1_36segmented_radix_sort_config_selectorIhlEEZNS1_25segmented_radix_sort_implIS3_Lb1EPKhPhPKlPlN2at6native12_GLOBAL__N_18offset_tEEE10hipError_tPvRmT1_PNSt15iterator_traitsISK_E10value_typeET2_T3_PNSL_ISQ_E10value_typeET4_jRbjT5_SW_jjP12ihipStream_tbEUlT_E1_NS1_11comp_targetILNS1_3genE10ELNS1_11target_archE1201ELNS1_3gpuE5ELNS1_3repE0EEENS1_59segmented_radix_sort_warp_sort_small_config_static_selectorELNS0_4arch9wavefront6targetE1EEEvSK_,"axG",@progbits,_ZN7rocprim17ROCPRIM_400000_NS6detail17trampoline_kernelINS0_14default_configENS1_36segmented_radix_sort_config_selectorIhlEEZNS1_25segmented_radix_sort_implIS3_Lb1EPKhPhPKlPlN2at6native12_GLOBAL__N_18offset_tEEE10hipError_tPvRmT1_PNSt15iterator_traitsISK_E10value_typeET2_T3_PNSL_ISQ_E10value_typeET4_jRbjT5_SW_jjP12ihipStream_tbEUlT_E1_NS1_11comp_targetILNS1_3genE10ELNS1_11target_archE1201ELNS1_3gpuE5ELNS1_3repE0EEENS1_59segmented_radix_sort_warp_sort_small_config_static_selectorELNS0_4arch9wavefront6targetE1EEEvSK_,comdat
	.globl	_ZN7rocprim17ROCPRIM_400000_NS6detail17trampoline_kernelINS0_14default_configENS1_36segmented_radix_sort_config_selectorIhlEEZNS1_25segmented_radix_sort_implIS3_Lb1EPKhPhPKlPlN2at6native12_GLOBAL__N_18offset_tEEE10hipError_tPvRmT1_PNSt15iterator_traitsISK_E10value_typeET2_T3_PNSL_ISQ_E10value_typeET4_jRbjT5_SW_jjP12ihipStream_tbEUlT_E1_NS1_11comp_targetILNS1_3genE10ELNS1_11target_archE1201ELNS1_3gpuE5ELNS1_3repE0EEENS1_59segmented_radix_sort_warp_sort_small_config_static_selectorELNS0_4arch9wavefront6targetE1EEEvSK_ ; -- Begin function _ZN7rocprim17ROCPRIM_400000_NS6detail17trampoline_kernelINS0_14default_configENS1_36segmented_radix_sort_config_selectorIhlEEZNS1_25segmented_radix_sort_implIS3_Lb1EPKhPhPKlPlN2at6native12_GLOBAL__N_18offset_tEEE10hipError_tPvRmT1_PNSt15iterator_traitsISK_E10value_typeET2_T3_PNSL_ISQ_E10value_typeET4_jRbjT5_SW_jjP12ihipStream_tbEUlT_E1_NS1_11comp_targetILNS1_3genE10ELNS1_11target_archE1201ELNS1_3gpuE5ELNS1_3repE0EEENS1_59segmented_radix_sort_warp_sort_small_config_static_selectorELNS0_4arch9wavefront6targetE1EEEvSK_
	.p2align	8
	.type	_ZN7rocprim17ROCPRIM_400000_NS6detail17trampoline_kernelINS0_14default_configENS1_36segmented_radix_sort_config_selectorIhlEEZNS1_25segmented_radix_sort_implIS3_Lb1EPKhPhPKlPlN2at6native12_GLOBAL__N_18offset_tEEE10hipError_tPvRmT1_PNSt15iterator_traitsISK_E10value_typeET2_T3_PNSL_ISQ_E10value_typeET4_jRbjT5_SW_jjP12ihipStream_tbEUlT_E1_NS1_11comp_targetILNS1_3genE10ELNS1_11target_archE1201ELNS1_3gpuE5ELNS1_3repE0EEENS1_59segmented_radix_sort_warp_sort_small_config_static_selectorELNS0_4arch9wavefront6targetE1EEEvSK_,@function
_ZN7rocprim17ROCPRIM_400000_NS6detail17trampoline_kernelINS0_14default_configENS1_36segmented_radix_sort_config_selectorIhlEEZNS1_25segmented_radix_sort_implIS3_Lb1EPKhPhPKlPlN2at6native12_GLOBAL__N_18offset_tEEE10hipError_tPvRmT1_PNSt15iterator_traitsISK_E10value_typeET2_T3_PNSL_ISQ_E10value_typeET4_jRbjT5_SW_jjP12ihipStream_tbEUlT_E1_NS1_11comp_targetILNS1_3genE10ELNS1_11target_archE1201ELNS1_3gpuE5ELNS1_3repE0EEENS1_59segmented_radix_sort_warp_sort_small_config_static_selectorELNS0_4arch9wavefront6targetE1EEEvSK_: ; @_ZN7rocprim17ROCPRIM_400000_NS6detail17trampoline_kernelINS0_14default_configENS1_36segmented_radix_sort_config_selectorIhlEEZNS1_25segmented_radix_sort_implIS3_Lb1EPKhPhPKlPlN2at6native12_GLOBAL__N_18offset_tEEE10hipError_tPvRmT1_PNSt15iterator_traitsISK_E10value_typeET2_T3_PNSL_ISQ_E10value_typeET4_jRbjT5_SW_jjP12ihipStream_tbEUlT_E1_NS1_11comp_targetILNS1_3genE10ELNS1_11target_archE1201ELNS1_3gpuE5ELNS1_3repE0EEENS1_59segmented_radix_sort_warp_sort_small_config_static_selectorELNS0_4arch9wavefront6targetE1EEEvSK_
; %bb.0:
	.section	.rodata,"a",@progbits
	.p2align	6, 0x0
	.amdhsa_kernel _ZN7rocprim17ROCPRIM_400000_NS6detail17trampoline_kernelINS0_14default_configENS1_36segmented_radix_sort_config_selectorIhlEEZNS1_25segmented_radix_sort_implIS3_Lb1EPKhPhPKlPlN2at6native12_GLOBAL__N_18offset_tEEE10hipError_tPvRmT1_PNSt15iterator_traitsISK_E10value_typeET2_T3_PNSL_ISQ_E10value_typeET4_jRbjT5_SW_jjP12ihipStream_tbEUlT_E1_NS1_11comp_targetILNS1_3genE10ELNS1_11target_archE1201ELNS1_3gpuE5ELNS1_3repE0EEENS1_59segmented_radix_sort_warp_sort_small_config_static_selectorELNS0_4arch9wavefront6targetE1EEEvSK_
		.amdhsa_group_segment_fixed_size 0
		.amdhsa_private_segment_fixed_size 0
		.amdhsa_kernarg_size 88
		.amdhsa_user_sgpr_count 6
		.amdhsa_user_sgpr_private_segment_buffer 1
		.amdhsa_user_sgpr_dispatch_ptr 0
		.amdhsa_user_sgpr_queue_ptr 0
		.amdhsa_user_sgpr_kernarg_segment_ptr 1
		.amdhsa_user_sgpr_dispatch_id 0
		.amdhsa_user_sgpr_flat_scratch_init 0
		.amdhsa_user_sgpr_private_segment_size 0
		.amdhsa_uses_dynamic_stack 0
		.amdhsa_system_sgpr_private_segment_wavefront_offset 0
		.amdhsa_system_sgpr_workgroup_id_x 1
		.amdhsa_system_sgpr_workgroup_id_y 0
		.amdhsa_system_sgpr_workgroup_id_z 0
		.amdhsa_system_sgpr_workgroup_info 0
		.amdhsa_system_vgpr_workitem_id 0
		.amdhsa_next_free_vgpr 1
		.amdhsa_next_free_sgpr 0
		.amdhsa_reserve_vcc 0
		.amdhsa_reserve_flat_scratch 0
		.amdhsa_float_round_mode_32 0
		.amdhsa_float_round_mode_16_64 0
		.amdhsa_float_denorm_mode_32 3
		.amdhsa_float_denorm_mode_16_64 3
		.amdhsa_dx10_clamp 1
		.amdhsa_ieee_mode 1
		.amdhsa_fp16_overflow 0
		.amdhsa_exception_fp_ieee_invalid_op 0
		.amdhsa_exception_fp_denorm_src 0
		.amdhsa_exception_fp_ieee_div_zero 0
		.amdhsa_exception_fp_ieee_overflow 0
		.amdhsa_exception_fp_ieee_underflow 0
		.amdhsa_exception_fp_ieee_inexact 0
		.amdhsa_exception_int_div_zero 0
	.end_amdhsa_kernel
	.section	.text._ZN7rocprim17ROCPRIM_400000_NS6detail17trampoline_kernelINS0_14default_configENS1_36segmented_radix_sort_config_selectorIhlEEZNS1_25segmented_radix_sort_implIS3_Lb1EPKhPhPKlPlN2at6native12_GLOBAL__N_18offset_tEEE10hipError_tPvRmT1_PNSt15iterator_traitsISK_E10value_typeET2_T3_PNSL_ISQ_E10value_typeET4_jRbjT5_SW_jjP12ihipStream_tbEUlT_E1_NS1_11comp_targetILNS1_3genE10ELNS1_11target_archE1201ELNS1_3gpuE5ELNS1_3repE0EEENS1_59segmented_radix_sort_warp_sort_small_config_static_selectorELNS0_4arch9wavefront6targetE1EEEvSK_,"axG",@progbits,_ZN7rocprim17ROCPRIM_400000_NS6detail17trampoline_kernelINS0_14default_configENS1_36segmented_radix_sort_config_selectorIhlEEZNS1_25segmented_radix_sort_implIS3_Lb1EPKhPhPKlPlN2at6native12_GLOBAL__N_18offset_tEEE10hipError_tPvRmT1_PNSt15iterator_traitsISK_E10value_typeET2_T3_PNSL_ISQ_E10value_typeET4_jRbjT5_SW_jjP12ihipStream_tbEUlT_E1_NS1_11comp_targetILNS1_3genE10ELNS1_11target_archE1201ELNS1_3gpuE5ELNS1_3repE0EEENS1_59segmented_radix_sort_warp_sort_small_config_static_selectorELNS0_4arch9wavefront6targetE1EEEvSK_,comdat
.Lfunc_end109:
	.size	_ZN7rocprim17ROCPRIM_400000_NS6detail17trampoline_kernelINS0_14default_configENS1_36segmented_radix_sort_config_selectorIhlEEZNS1_25segmented_radix_sort_implIS3_Lb1EPKhPhPKlPlN2at6native12_GLOBAL__N_18offset_tEEE10hipError_tPvRmT1_PNSt15iterator_traitsISK_E10value_typeET2_T3_PNSL_ISQ_E10value_typeET4_jRbjT5_SW_jjP12ihipStream_tbEUlT_E1_NS1_11comp_targetILNS1_3genE10ELNS1_11target_archE1201ELNS1_3gpuE5ELNS1_3repE0EEENS1_59segmented_radix_sort_warp_sort_small_config_static_selectorELNS0_4arch9wavefront6targetE1EEEvSK_, .Lfunc_end109-_ZN7rocprim17ROCPRIM_400000_NS6detail17trampoline_kernelINS0_14default_configENS1_36segmented_radix_sort_config_selectorIhlEEZNS1_25segmented_radix_sort_implIS3_Lb1EPKhPhPKlPlN2at6native12_GLOBAL__N_18offset_tEEE10hipError_tPvRmT1_PNSt15iterator_traitsISK_E10value_typeET2_T3_PNSL_ISQ_E10value_typeET4_jRbjT5_SW_jjP12ihipStream_tbEUlT_E1_NS1_11comp_targetILNS1_3genE10ELNS1_11target_archE1201ELNS1_3gpuE5ELNS1_3repE0EEENS1_59segmented_radix_sort_warp_sort_small_config_static_selectorELNS0_4arch9wavefront6targetE1EEEvSK_
                                        ; -- End function
	.set _ZN7rocprim17ROCPRIM_400000_NS6detail17trampoline_kernelINS0_14default_configENS1_36segmented_radix_sort_config_selectorIhlEEZNS1_25segmented_radix_sort_implIS3_Lb1EPKhPhPKlPlN2at6native12_GLOBAL__N_18offset_tEEE10hipError_tPvRmT1_PNSt15iterator_traitsISK_E10value_typeET2_T3_PNSL_ISQ_E10value_typeET4_jRbjT5_SW_jjP12ihipStream_tbEUlT_E1_NS1_11comp_targetILNS1_3genE10ELNS1_11target_archE1201ELNS1_3gpuE5ELNS1_3repE0EEENS1_59segmented_radix_sort_warp_sort_small_config_static_selectorELNS0_4arch9wavefront6targetE1EEEvSK_.num_vgpr, 0
	.set _ZN7rocprim17ROCPRIM_400000_NS6detail17trampoline_kernelINS0_14default_configENS1_36segmented_radix_sort_config_selectorIhlEEZNS1_25segmented_radix_sort_implIS3_Lb1EPKhPhPKlPlN2at6native12_GLOBAL__N_18offset_tEEE10hipError_tPvRmT1_PNSt15iterator_traitsISK_E10value_typeET2_T3_PNSL_ISQ_E10value_typeET4_jRbjT5_SW_jjP12ihipStream_tbEUlT_E1_NS1_11comp_targetILNS1_3genE10ELNS1_11target_archE1201ELNS1_3gpuE5ELNS1_3repE0EEENS1_59segmented_radix_sort_warp_sort_small_config_static_selectorELNS0_4arch9wavefront6targetE1EEEvSK_.num_agpr, 0
	.set _ZN7rocprim17ROCPRIM_400000_NS6detail17trampoline_kernelINS0_14default_configENS1_36segmented_radix_sort_config_selectorIhlEEZNS1_25segmented_radix_sort_implIS3_Lb1EPKhPhPKlPlN2at6native12_GLOBAL__N_18offset_tEEE10hipError_tPvRmT1_PNSt15iterator_traitsISK_E10value_typeET2_T3_PNSL_ISQ_E10value_typeET4_jRbjT5_SW_jjP12ihipStream_tbEUlT_E1_NS1_11comp_targetILNS1_3genE10ELNS1_11target_archE1201ELNS1_3gpuE5ELNS1_3repE0EEENS1_59segmented_radix_sort_warp_sort_small_config_static_selectorELNS0_4arch9wavefront6targetE1EEEvSK_.numbered_sgpr, 0
	.set _ZN7rocprim17ROCPRIM_400000_NS6detail17trampoline_kernelINS0_14default_configENS1_36segmented_radix_sort_config_selectorIhlEEZNS1_25segmented_radix_sort_implIS3_Lb1EPKhPhPKlPlN2at6native12_GLOBAL__N_18offset_tEEE10hipError_tPvRmT1_PNSt15iterator_traitsISK_E10value_typeET2_T3_PNSL_ISQ_E10value_typeET4_jRbjT5_SW_jjP12ihipStream_tbEUlT_E1_NS1_11comp_targetILNS1_3genE10ELNS1_11target_archE1201ELNS1_3gpuE5ELNS1_3repE0EEENS1_59segmented_radix_sort_warp_sort_small_config_static_selectorELNS0_4arch9wavefront6targetE1EEEvSK_.num_named_barrier, 0
	.set _ZN7rocprim17ROCPRIM_400000_NS6detail17trampoline_kernelINS0_14default_configENS1_36segmented_radix_sort_config_selectorIhlEEZNS1_25segmented_radix_sort_implIS3_Lb1EPKhPhPKlPlN2at6native12_GLOBAL__N_18offset_tEEE10hipError_tPvRmT1_PNSt15iterator_traitsISK_E10value_typeET2_T3_PNSL_ISQ_E10value_typeET4_jRbjT5_SW_jjP12ihipStream_tbEUlT_E1_NS1_11comp_targetILNS1_3genE10ELNS1_11target_archE1201ELNS1_3gpuE5ELNS1_3repE0EEENS1_59segmented_radix_sort_warp_sort_small_config_static_selectorELNS0_4arch9wavefront6targetE1EEEvSK_.private_seg_size, 0
	.set _ZN7rocprim17ROCPRIM_400000_NS6detail17trampoline_kernelINS0_14default_configENS1_36segmented_radix_sort_config_selectorIhlEEZNS1_25segmented_radix_sort_implIS3_Lb1EPKhPhPKlPlN2at6native12_GLOBAL__N_18offset_tEEE10hipError_tPvRmT1_PNSt15iterator_traitsISK_E10value_typeET2_T3_PNSL_ISQ_E10value_typeET4_jRbjT5_SW_jjP12ihipStream_tbEUlT_E1_NS1_11comp_targetILNS1_3genE10ELNS1_11target_archE1201ELNS1_3gpuE5ELNS1_3repE0EEENS1_59segmented_radix_sort_warp_sort_small_config_static_selectorELNS0_4arch9wavefront6targetE1EEEvSK_.uses_vcc, 0
	.set _ZN7rocprim17ROCPRIM_400000_NS6detail17trampoline_kernelINS0_14default_configENS1_36segmented_radix_sort_config_selectorIhlEEZNS1_25segmented_radix_sort_implIS3_Lb1EPKhPhPKlPlN2at6native12_GLOBAL__N_18offset_tEEE10hipError_tPvRmT1_PNSt15iterator_traitsISK_E10value_typeET2_T3_PNSL_ISQ_E10value_typeET4_jRbjT5_SW_jjP12ihipStream_tbEUlT_E1_NS1_11comp_targetILNS1_3genE10ELNS1_11target_archE1201ELNS1_3gpuE5ELNS1_3repE0EEENS1_59segmented_radix_sort_warp_sort_small_config_static_selectorELNS0_4arch9wavefront6targetE1EEEvSK_.uses_flat_scratch, 0
	.set _ZN7rocprim17ROCPRIM_400000_NS6detail17trampoline_kernelINS0_14default_configENS1_36segmented_radix_sort_config_selectorIhlEEZNS1_25segmented_radix_sort_implIS3_Lb1EPKhPhPKlPlN2at6native12_GLOBAL__N_18offset_tEEE10hipError_tPvRmT1_PNSt15iterator_traitsISK_E10value_typeET2_T3_PNSL_ISQ_E10value_typeET4_jRbjT5_SW_jjP12ihipStream_tbEUlT_E1_NS1_11comp_targetILNS1_3genE10ELNS1_11target_archE1201ELNS1_3gpuE5ELNS1_3repE0EEENS1_59segmented_radix_sort_warp_sort_small_config_static_selectorELNS0_4arch9wavefront6targetE1EEEvSK_.has_dyn_sized_stack, 0
	.set _ZN7rocprim17ROCPRIM_400000_NS6detail17trampoline_kernelINS0_14default_configENS1_36segmented_radix_sort_config_selectorIhlEEZNS1_25segmented_radix_sort_implIS3_Lb1EPKhPhPKlPlN2at6native12_GLOBAL__N_18offset_tEEE10hipError_tPvRmT1_PNSt15iterator_traitsISK_E10value_typeET2_T3_PNSL_ISQ_E10value_typeET4_jRbjT5_SW_jjP12ihipStream_tbEUlT_E1_NS1_11comp_targetILNS1_3genE10ELNS1_11target_archE1201ELNS1_3gpuE5ELNS1_3repE0EEENS1_59segmented_radix_sort_warp_sort_small_config_static_selectorELNS0_4arch9wavefront6targetE1EEEvSK_.has_recursion, 0
	.set _ZN7rocprim17ROCPRIM_400000_NS6detail17trampoline_kernelINS0_14default_configENS1_36segmented_radix_sort_config_selectorIhlEEZNS1_25segmented_radix_sort_implIS3_Lb1EPKhPhPKlPlN2at6native12_GLOBAL__N_18offset_tEEE10hipError_tPvRmT1_PNSt15iterator_traitsISK_E10value_typeET2_T3_PNSL_ISQ_E10value_typeET4_jRbjT5_SW_jjP12ihipStream_tbEUlT_E1_NS1_11comp_targetILNS1_3genE10ELNS1_11target_archE1201ELNS1_3gpuE5ELNS1_3repE0EEENS1_59segmented_radix_sort_warp_sort_small_config_static_selectorELNS0_4arch9wavefront6targetE1EEEvSK_.has_indirect_call, 0
	.section	.AMDGPU.csdata,"",@progbits
; Kernel info:
; codeLenInByte = 0
; TotalNumSgprs: 4
; NumVgprs: 0
; ScratchSize: 0
; MemoryBound: 0
; FloatMode: 240
; IeeeMode: 1
; LDSByteSize: 0 bytes/workgroup (compile time only)
; SGPRBlocks: 0
; VGPRBlocks: 0
; NumSGPRsForWavesPerEU: 4
; NumVGPRsForWavesPerEU: 1
; Occupancy: 10
; WaveLimiterHint : 0
; COMPUTE_PGM_RSRC2:SCRATCH_EN: 0
; COMPUTE_PGM_RSRC2:USER_SGPR: 6
; COMPUTE_PGM_RSRC2:TRAP_HANDLER: 0
; COMPUTE_PGM_RSRC2:TGID_X_EN: 1
; COMPUTE_PGM_RSRC2:TGID_Y_EN: 0
; COMPUTE_PGM_RSRC2:TGID_Z_EN: 0
; COMPUTE_PGM_RSRC2:TIDIG_COMP_CNT: 0
	.section	.text._ZN7rocprim17ROCPRIM_400000_NS6detail17trampoline_kernelINS0_14default_configENS1_36segmented_radix_sort_config_selectorIhlEEZNS1_25segmented_radix_sort_implIS3_Lb1EPKhPhPKlPlN2at6native12_GLOBAL__N_18offset_tEEE10hipError_tPvRmT1_PNSt15iterator_traitsISK_E10value_typeET2_T3_PNSL_ISQ_E10value_typeET4_jRbjT5_SW_jjP12ihipStream_tbEUlT_E1_NS1_11comp_targetILNS1_3genE10ELNS1_11target_archE1200ELNS1_3gpuE4ELNS1_3repE0EEENS1_59segmented_radix_sort_warp_sort_small_config_static_selectorELNS0_4arch9wavefront6targetE1EEEvSK_,"axG",@progbits,_ZN7rocprim17ROCPRIM_400000_NS6detail17trampoline_kernelINS0_14default_configENS1_36segmented_radix_sort_config_selectorIhlEEZNS1_25segmented_radix_sort_implIS3_Lb1EPKhPhPKlPlN2at6native12_GLOBAL__N_18offset_tEEE10hipError_tPvRmT1_PNSt15iterator_traitsISK_E10value_typeET2_T3_PNSL_ISQ_E10value_typeET4_jRbjT5_SW_jjP12ihipStream_tbEUlT_E1_NS1_11comp_targetILNS1_3genE10ELNS1_11target_archE1200ELNS1_3gpuE4ELNS1_3repE0EEENS1_59segmented_radix_sort_warp_sort_small_config_static_selectorELNS0_4arch9wavefront6targetE1EEEvSK_,comdat
	.globl	_ZN7rocprim17ROCPRIM_400000_NS6detail17trampoline_kernelINS0_14default_configENS1_36segmented_radix_sort_config_selectorIhlEEZNS1_25segmented_radix_sort_implIS3_Lb1EPKhPhPKlPlN2at6native12_GLOBAL__N_18offset_tEEE10hipError_tPvRmT1_PNSt15iterator_traitsISK_E10value_typeET2_T3_PNSL_ISQ_E10value_typeET4_jRbjT5_SW_jjP12ihipStream_tbEUlT_E1_NS1_11comp_targetILNS1_3genE10ELNS1_11target_archE1200ELNS1_3gpuE4ELNS1_3repE0EEENS1_59segmented_radix_sort_warp_sort_small_config_static_selectorELNS0_4arch9wavefront6targetE1EEEvSK_ ; -- Begin function _ZN7rocprim17ROCPRIM_400000_NS6detail17trampoline_kernelINS0_14default_configENS1_36segmented_radix_sort_config_selectorIhlEEZNS1_25segmented_radix_sort_implIS3_Lb1EPKhPhPKlPlN2at6native12_GLOBAL__N_18offset_tEEE10hipError_tPvRmT1_PNSt15iterator_traitsISK_E10value_typeET2_T3_PNSL_ISQ_E10value_typeET4_jRbjT5_SW_jjP12ihipStream_tbEUlT_E1_NS1_11comp_targetILNS1_3genE10ELNS1_11target_archE1200ELNS1_3gpuE4ELNS1_3repE0EEENS1_59segmented_radix_sort_warp_sort_small_config_static_selectorELNS0_4arch9wavefront6targetE1EEEvSK_
	.p2align	8
	.type	_ZN7rocprim17ROCPRIM_400000_NS6detail17trampoline_kernelINS0_14default_configENS1_36segmented_radix_sort_config_selectorIhlEEZNS1_25segmented_radix_sort_implIS3_Lb1EPKhPhPKlPlN2at6native12_GLOBAL__N_18offset_tEEE10hipError_tPvRmT1_PNSt15iterator_traitsISK_E10value_typeET2_T3_PNSL_ISQ_E10value_typeET4_jRbjT5_SW_jjP12ihipStream_tbEUlT_E1_NS1_11comp_targetILNS1_3genE10ELNS1_11target_archE1200ELNS1_3gpuE4ELNS1_3repE0EEENS1_59segmented_radix_sort_warp_sort_small_config_static_selectorELNS0_4arch9wavefront6targetE1EEEvSK_,@function
_ZN7rocprim17ROCPRIM_400000_NS6detail17trampoline_kernelINS0_14default_configENS1_36segmented_radix_sort_config_selectorIhlEEZNS1_25segmented_radix_sort_implIS3_Lb1EPKhPhPKlPlN2at6native12_GLOBAL__N_18offset_tEEE10hipError_tPvRmT1_PNSt15iterator_traitsISK_E10value_typeET2_T3_PNSL_ISQ_E10value_typeET4_jRbjT5_SW_jjP12ihipStream_tbEUlT_E1_NS1_11comp_targetILNS1_3genE10ELNS1_11target_archE1200ELNS1_3gpuE4ELNS1_3repE0EEENS1_59segmented_radix_sort_warp_sort_small_config_static_selectorELNS0_4arch9wavefront6targetE1EEEvSK_: ; @_ZN7rocprim17ROCPRIM_400000_NS6detail17trampoline_kernelINS0_14default_configENS1_36segmented_radix_sort_config_selectorIhlEEZNS1_25segmented_radix_sort_implIS3_Lb1EPKhPhPKlPlN2at6native12_GLOBAL__N_18offset_tEEE10hipError_tPvRmT1_PNSt15iterator_traitsISK_E10value_typeET2_T3_PNSL_ISQ_E10value_typeET4_jRbjT5_SW_jjP12ihipStream_tbEUlT_E1_NS1_11comp_targetILNS1_3genE10ELNS1_11target_archE1200ELNS1_3gpuE4ELNS1_3repE0EEENS1_59segmented_radix_sort_warp_sort_small_config_static_selectorELNS0_4arch9wavefront6targetE1EEEvSK_
; %bb.0:
	.section	.rodata,"a",@progbits
	.p2align	6, 0x0
	.amdhsa_kernel _ZN7rocprim17ROCPRIM_400000_NS6detail17trampoline_kernelINS0_14default_configENS1_36segmented_radix_sort_config_selectorIhlEEZNS1_25segmented_radix_sort_implIS3_Lb1EPKhPhPKlPlN2at6native12_GLOBAL__N_18offset_tEEE10hipError_tPvRmT1_PNSt15iterator_traitsISK_E10value_typeET2_T3_PNSL_ISQ_E10value_typeET4_jRbjT5_SW_jjP12ihipStream_tbEUlT_E1_NS1_11comp_targetILNS1_3genE10ELNS1_11target_archE1200ELNS1_3gpuE4ELNS1_3repE0EEENS1_59segmented_radix_sort_warp_sort_small_config_static_selectorELNS0_4arch9wavefront6targetE1EEEvSK_
		.amdhsa_group_segment_fixed_size 0
		.amdhsa_private_segment_fixed_size 0
		.amdhsa_kernarg_size 88
		.amdhsa_user_sgpr_count 6
		.amdhsa_user_sgpr_private_segment_buffer 1
		.amdhsa_user_sgpr_dispatch_ptr 0
		.amdhsa_user_sgpr_queue_ptr 0
		.amdhsa_user_sgpr_kernarg_segment_ptr 1
		.amdhsa_user_sgpr_dispatch_id 0
		.amdhsa_user_sgpr_flat_scratch_init 0
		.amdhsa_user_sgpr_private_segment_size 0
		.amdhsa_uses_dynamic_stack 0
		.amdhsa_system_sgpr_private_segment_wavefront_offset 0
		.amdhsa_system_sgpr_workgroup_id_x 1
		.amdhsa_system_sgpr_workgroup_id_y 0
		.amdhsa_system_sgpr_workgroup_id_z 0
		.amdhsa_system_sgpr_workgroup_info 0
		.amdhsa_system_vgpr_workitem_id 0
		.amdhsa_next_free_vgpr 1
		.amdhsa_next_free_sgpr 0
		.amdhsa_reserve_vcc 0
		.amdhsa_reserve_flat_scratch 0
		.amdhsa_float_round_mode_32 0
		.amdhsa_float_round_mode_16_64 0
		.amdhsa_float_denorm_mode_32 3
		.amdhsa_float_denorm_mode_16_64 3
		.amdhsa_dx10_clamp 1
		.amdhsa_ieee_mode 1
		.amdhsa_fp16_overflow 0
		.amdhsa_exception_fp_ieee_invalid_op 0
		.amdhsa_exception_fp_denorm_src 0
		.amdhsa_exception_fp_ieee_div_zero 0
		.amdhsa_exception_fp_ieee_overflow 0
		.amdhsa_exception_fp_ieee_underflow 0
		.amdhsa_exception_fp_ieee_inexact 0
		.amdhsa_exception_int_div_zero 0
	.end_amdhsa_kernel
	.section	.text._ZN7rocprim17ROCPRIM_400000_NS6detail17trampoline_kernelINS0_14default_configENS1_36segmented_radix_sort_config_selectorIhlEEZNS1_25segmented_radix_sort_implIS3_Lb1EPKhPhPKlPlN2at6native12_GLOBAL__N_18offset_tEEE10hipError_tPvRmT1_PNSt15iterator_traitsISK_E10value_typeET2_T3_PNSL_ISQ_E10value_typeET4_jRbjT5_SW_jjP12ihipStream_tbEUlT_E1_NS1_11comp_targetILNS1_3genE10ELNS1_11target_archE1200ELNS1_3gpuE4ELNS1_3repE0EEENS1_59segmented_radix_sort_warp_sort_small_config_static_selectorELNS0_4arch9wavefront6targetE1EEEvSK_,"axG",@progbits,_ZN7rocprim17ROCPRIM_400000_NS6detail17trampoline_kernelINS0_14default_configENS1_36segmented_radix_sort_config_selectorIhlEEZNS1_25segmented_radix_sort_implIS3_Lb1EPKhPhPKlPlN2at6native12_GLOBAL__N_18offset_tEEE10hipError_tPvRmT1_PNSt15iterator_traitsISK_E10value_typeET2_T3_PNSL_ISQ_E10value_typeET4_jRbjT5_SW_jjP12ihipStream_tbEUlT_E1_NS1_11comp_targetILNS1_3genE10ELNS1_11target_archE1200ELNS1_3gpuE4ELNS1_3repE0EEENS1_59segmented_radix_sort_warp_sort_small_config_static_selectorELNS0_4arch9wavefront6targetE1EEEvSK_,comdat
.Lfunc_end110:
	.size	_ZN7rocprim17ROCPRIM_400000_NS6detail17trampoline_kernelINS0_14default_configENS1_36segmented_radix_sort_config_selectorIhlEEZNS1_25segmented_radix_sort_implIS3_Lb1EPKhPhPKlPlN2at6native12_GLOBAL__N_18offset_tEEE10hipError_tPvRmT1_PNSt15iterator_traitsISK_E10value_typeET2_T3_PNSL_ISQ_E10value_typeET4_jRbjT5_SW_jjP12ihipStream_tbEUlT_E1_NS1_11comp_targetILNS1_3genE10ELNS1_11target_archE1200ELNS1_3gpuE4ELNS1_3repE0EEENS1_59segmented_radix_sort_warp_sort_small_config_static_selectorELNS0_4arch9wavefront6targetE1EEEvSK_, .Lfunc_end110-_ZN7rocprim17ROCPRIM_400000_NS6detail17trampoline_kernelINS0_14default_configENS1_36segmented_radix_sort_config_selectorIhlEEZNS1_25segmented_radix_sort_implIS3_Lb1EPKhPhPKlPlN2at6native12_GLOBAL__N_18offset_tEEE10hipError_tPvRmT1_PNSt15iterator_traitsISK_E10value_typeET2_T3_PNSL_ISQ_E10value_typeET4_jRbjT5_SW_jjP12ihipStream_tbEUlT_E1_NS1_11comp_targetILNS1_3genE10ELNS1_11target_archE1200ELNS1_3gpuE4ELNS1_3repE0EEENS1_59segmented_radix_sort_warp_sort_small_config_static_selectorELNS0_4arch9wavefront6targetE1EEEvSK_
                                        ; -- End function
	.set _ZN7rocprim17ROCPRIM_400000_NS6detail17trampoline_kernelINS0_14default_configENS1_36segmented_radix_sort_config_selectorIhlEEZNS1_25segmented_radix_sort_implIS3_Lb1EPKhPhPKlPlN2at6native12_GLOBAL__N_18offset_tEEE10hipError_tPvRmT1_PNSt15iterator_traitsISK_E10value_typeET2_T3_PNSL_ISQ_E10value_typeET4_jRbjT5_SW_jjP12ihipStream_tbEUlT_E1_NS1_11comp_targetILNS1_3genE10ELNS1_11target_archE1200ELNS1_3gpuE4ELNS1_3repE0EEENS1_59segmented_radix_sort_warp_sort_small_config_static_selectorELNS0_4arch9wavefront6targetE1EEEvSK_.num_vgpr, 0
	.set _ZN7rocprim17ROCPRIM_400000_NS6detail17trampoline_kernelINS0_14default_configENS1_36segmented_radix_sort_config_selectorIhlEEZNS1_25segmented_radix_sort_implIS3_Lb1EPKhPhPKlPlN2at6native12_GLOBAL__N_18offset_tEEE10hipError_tPvRmT1_PNSt15iterator_traitsISK_E10value_typeET2_T3_PNSL_ISQ_E10value_typeET4_jRbjT5_SW_jjP12ihipStream_tbEUlT_E1_NS1_11comp_targetILNS1_3genE10ELNS1_11target_archE1200ELNS1_3gpuE4ELNS1_3repE0EEENS1_59segmented_radix_sort_warp_sort_small_config_static_selectorELNS0_4arch9wavefront6targetE1EEEvSK_.num_agpr, 0
	.set _ZN7rocprim17ROCPRIM_400000_NS6detail17trampoline_kernelINS0_14default_configENS1_36segmented_radix_sort_config_selectorIhlEEZNS1_25segmented_radix_sort_implIS3_Lb1EPKhPhPKlPlN2at6native12_GLOBAL__N_18offset_tEEE10hipError_tPvRmT1_PNSt15iterator_traitsISK_E10value_typeET2_T3_PNSL_ISQ_E10value_typeET4_jRbjT5_SW_jjP12ihipStream_tbEUlT_E1_NS1_11comp_targetILNS1_3genE10ELNS1_11target_archE1200ELNS1_3gpuE4ELNS1_3repE0EEENS1_59segmented_radix_sort_warp_sort_small_config_static_selectorELNS0_4arch9wavefront6targetE1EEEvSK_.numbered_sgpr, 0
	.set _ZN7rocprim17ROCPRIM_400000_NS6detail17trampoline_kernelINS0_14default_configENS1_36segmented_radix_sort_config_selectorIhlEEZNS1_25segmented_radix_sort_implIS3_Lb1EPKhPhPKlPlN2at6native12_GLOBAL__N_18offset_tEEE10hipError_tPvRmT1_PNSt15iterator_traitsISK_E10value_typeET2_T3_PNSL_ISQ_E10value_typeET4_jRbjT5_SW_jjP12ihipStream_tbEUlT_E1_NS1_11comp_targetILNS1_3genE10ELNS1_11target_archE1200ELNS1_3gpuE4ELNS1_3repE0EEENS1_59segmented_radix_sort_warp_sort_small_config_static_selectorELNS0_4arch9wavefront6targetE1EEEvSK_.num_named_barrier, 0
	.set _ZN7rocprim17ROCPRIM_400000_NS6detail17trampoline_kernelINS0_14default_configENS1_36segmented_radix_sort_config_selectorIhlEEZNS1_25segmented_radix_sort_implIS3_Lb1EPKhPhPKlPlN2at6native12_GLOBAL__N_18offset_tEEE10hipError_tPvRmT1_PNSt15iterator_traitsISK_E10value_typeET2_T3_PNSL_ISQ_E10value_typeET4_jRbjT5_SW_jjP12ihipStream_tbEUlT_E1_NS1_11comp_targetILNS1_3genE10ELNS1_11target_archE1200ELNS1_3gpuE4ELNS1_3repE0EEENS1_59segmented_radix_sort_warp_sort_small_config_static_selectorELNS0_4arch9wavefront6targetE1EEEvSK_.private_seg_size, 0
	.set _ZN7rocprim17ROCPRIM_400000_NS6detail17trampoline_kernelINS0_14default_configENS1_36segmented_radix_sort_config_selectorIhlEEZNS1_25segmented_radix_sort_implIS3_Lb1EPKhPhPKlPlN2at6native12_GLOBAL__N_18offset_tEEE10hipError_tPvRmT1_PNSt15iterator_traitsISK_E10value_typeET2_T3_PNSL_ISQ_E10value_typeET4_jRbjT5_SW_jjP12ihipStream_tbEUlT_E1_NS1_11comp_targetILNS1_3genE10ELNS1_11target_archE1200ELNS1_3gpuE4ELNS1_3repE0EEENS1_59segmented_radix_sort_warp_sort_small_config_static_selectorELNS0_4arch9wavefront6targetE1EEEvSK_.uses_vcc, 0
	.set _ZN7rocprim17ROCPRIM_400000_NS6detail17trampoline_kernelINS0_14default_configENS1_36segmented_radix_sort_config_selectorIhlEEZNS1_25segmented_radix_sort_implIS3_Lb1EPKhPhPKlPlN2at6native12_GLOBAL__N_18offset_tEEE10hipError_tPvRmT1_PNSt15iterator_traitsISK_E10value_typeET2_T3_PNSL_ISQ_E10value_typeET4_jRbjT5_SW_jjP12ihipStream_tbEUlT_E1_NS1_11comp_targetILNS1_3genE10ELNS1_11target_archE1200ELNS1_3gpuE4ELNS1_3repE0EEENS1_59segmented_radix_sort_warp_sort_small_config_static_selectorELNS0_4arch9wavefront6targetE1EEEvSK_.uses_flat_scratch, 0
	.set _ZN7rocprim17ROCPRIM_400000_NS6detail17trampoline_kernelINS0_14default_configENS1_36segmented_radix_sort_config_selectorIhlEEZNS1_25segmented_radix_sort_implIS3_Lb1EPKhPhPKlPlN2at6native12_GLOBAL__N_18offset_tEEE10hipError_tPvRmT1_PNSt15iterator_traitsISK_E10value_typeET2_T3_PNSL_ISQ_E10value_typeET4_jRbjT5_SW_jjP12ihipStream_tbEUlT_E1_NS1_11comp_targetILNS1_3genE10ELNS1_11target_archE1200ELNS1_3gpuE4ELNS1_3repE0EEENS1_59segmented_radix_sort_warp_sort_small_config_static_selectorELNS0_4arch9wavefront6targetE1EEEvSK_.has_dyn_sized_stack, 0
	.set _ZN7rocprim17ROCPRIM_400000_NS6detail17trampoline_kernelINS0_14default_configENS1_36segmented_radix_sort_config_selectorIhlEEZNS1_25segmented_radix_sort_implIS3_Lb1EPKhPhPKlPlN2at6native12_GLOBAL__N_18offset_tEEE10hipError_tPvRmT1_PNSt15iterator_traitsISK_E10value_typeET2_T3_PNSL_ISQ_E10value_typeET4_jRbjT5_SW_jjP12ihipStream_tbEUlT_E1_NS1_11comp_targetILNS1_3genE10ELNS1_11target_archE1200ELNS1_3gpuE4ELNS1_3repE0EEENS1_59segmented_radix_sort_warp_sort_small_config_static_selectorELNS0_4arch9wavefront6targetE1EEEvSK_.has_recursion, 0
	.set _ZN7rocprim17ROCPRIM_400000_NS6detail17trampoline_kernelINS0_14default_configENS1_36segmented_radix_sort_config_selectorIhlEEZNS1_25segmented_radix_sort_implIS3_Lb1EPKhPhPKlPlN2at6native12_GLOBAL__N_18offset_tEEE10hipError_tPvRmT1_PNSt15iterator_traitsISK_E10value_typeET2_T3_PNSL_ISQ_E10value_typeET4_jRbjT5_SW_jjP12ihipStream_tbEUlT_E1_NS1_11comp_targetILNS1_3genE10ELNS1_11target_archE1200ELNS1_3gpuE4ELNS1_3repE0EEENS1_59segmented_radix_sort_warp_sort_small_config_static_selectorELNS0_4arch9wavefront6targetE1EEEvSK_.has_indirect_call, 0
	.section	.AMDGPU.csdata,"",@progbits
; Kernel info:
; codeLenInByte = 0
; TotalNumSgprs: 4
; NumVgprs: 0
; ScratchSize: 0
; MemoryBound: 0
; FloatMode: 240
; IeeeMode: 1
; LDSByteSize: 0 bytes/workgroup (compile time only)
; SGPRBlocks: 0
; VGPRBlocks: 0
; NumSGPRsForWavesPerEU: 4
; NumVGPRsForWavesPerEU: 1
; Occupancy: 10
; WaveLimiterHint : 0
; COMPUTE_PGM_RSRC2:SCRATCH_EN: 0
; COMPUTE_PGM_RSRC2:USER_SGPR: 6
; COMPUTE_PGM_RSRC2:TRAP_HANDLER: 0
; COMPUTE_PGM_RSRC2:TGID_X_EN: 1
; COMPUTE_PGM_RSRC2:TGID_Y_EN: 0
; COMPUTE_PGM_RSRC2:TGID_Z_EN: 0
; COMPUTE_PGM_RSRC2:TIDIG_COMP_CNT: 0
	.section	.text._ZN7rocprim17ROCPRIM_400000_NS6detail17trampoline_kernelINS0_14default_configENS1_36segmented_radix_sort_config_selectorIhlEEZNS1_25segmented_radix_sort_implIS3_Lb1EPKhPhPKlPlN2at6native12_GLOBAL__N_18offset_tEEE10hipError_tPvRmT1_PNSt15iterator_traitsISK_E10value_typeET2_T3_PNSL_ISQ_E10value_typeET4_jRbjT5_SW_jjP12ihipStream_tbEUlT_E1_NS1_11comp_targetILNS1_3genE9ELNS1_11target_archE1100ELNS1_3gpuE3ELNS1_3repE0EEENS1_59segmented_radix_sort_warp_sort_small_config_static_selectorELNS0_4arch9wavefront6targetE1EEEvSK_,"axG",@progbits,_ZN7rocprim17ROCPRIM_400000_NS6detail17trampoline_kernelINS0_14default_configENS1_36segmented_radix_sort_config_selectorIhlEEZNS1_25segmented_radix_sort_implIS3_Lb1EPKhPhPKlPlN2at6native12_GLOBAL__N_18offset_tEEE10hipError_tPvRmT1_PNSt15iterator_traitsISK_E10value_typeET2_T3_PNSL_ISQ_E10value_typeET4_jRbjT5_SW_jjP12ihipStream_tbEUlT_E1_NS1_11comp_targetILNS1_3genE9ELNS1_11target_archE1100ELNS1_3gpuE3ELNS1_3repE0EEENS1_59segmented_radix_sort_warp_sort_small_config_static_selectorELNS0_4arch9wavefront6targetE1EEEvSK_,comdat
	.globl	_ZN7rocprim17ROCPRIM_400000_NS6detail17trampoline_kernelINS0_14default_configENS1_36segmented_radix_sort_config_selectorIhlEEZNS1_25segmented_radix_sort_implIS3_Lb1EPKhPhPKlPlN2at6native12_GLOBAL__N_18offset_tEEE10hipError_tPvRmT1_PNSt15iterator_traitsISK_E10value_typeET2_T3_PNSL_ISQ_E10value_typeET4_jRbjT5_SW_jjP12ihipStream_tbEUlT_E1_NS1_11comp_targetILNS1_3genE9ELNS1_11target_archE1100ELNS1_3gpuE3ELNS1_3repE0EEENS1_59segmented_radix_sort_warp_sort_small_config_static_selectorELNS0_4arch9wavefront6targetE1EEEvSK_ ; -- Begin function _ZN7rocprim17ROCPRIM_400000_NS6detail17trampoline_kernelINS0_14default_configENS1_36segmented_radix_sort_config_selectorIhlEEZNS1_25segmented_radix_sort_implIS3_Lb1EPKhPhPKlPlN2at6native12_GLOBAL__N_18offset_tEEE10hipError_tPvRmT1_PNSt15iterator_traitsISK_E10value_typeET2_T3_PNSL_ISQ_E10value_typeET4_jRbjT5_SW_jjP12ihipStream_tbEUlT_E1_NS1_11comp_targetILNS1_3genE9ELNS1_11target_archE1100ELNS1_3gpuE3ELNS1_3repE0EEENS1_59segmented_radix_sort_warp_sort_small_config_static_selectorELNS0_4arch9wavefront6targetE1EEEvSK_
	.p2align	8
	.type	_ZN7rocprim17ROCPRIM_400000_NS6detail17trampoline_kernelINS0_14default_configENS1_36segmented_radix_sort_config_selectorIhlEEZNS1_25segmented_radix_sort_implIS3_Lb1EPKhPhPKlPlN2at6native12_GLOBAL__N_18offset_tEEE10hipError_tPvRmT1_PNSt15iterator_traitsISK_E10value_typeET2_T3_PNSL_ISQ_E10value_typeET4_jRbjT5_SW_jjP12ihipStream_tbEUlT_E1_NS1_11comp_targetILNS1_3genE9ELNS1_11target_archE1100ELNS1_3gpuE3ELNS1_3repE0EEENS1_59segmented_radix_sort_warp_sort_small_config_static_selectorELNS0_4arch9wavefront6targetE1EEEvSK_,@function
_ZN7rocprim17ROCPRIM_400000_NS6detail17trampoline_kernelINS0_14default_configENS1_36segmented_radix_sort_config_selectorIhlEEZNS1_25segmented_radix_sort_implIS3_Lb1EPKhPhPKlPlN2at6native12_GLOBAL__N_18offset_tEEE10hipError_tPvRmT1_PNSt15iterator_traitsISK_E10value_typeET2_T3_PNSL_ISQ_E10value_typeET4_jRbjT5_SW_jjP12ihipStream_tbEUlT_E1_NS1_11comp_targetILNS1_3genE9ELNS1_11target_archE1100ELNS1_3gpuE3ELNS1_3repE0EEENS1_59segmented_radix_sort_warp_sort_small_config_static_selectorELNS0_4arch9wavefront6targetE1EEEvSK_: ; @_ZN7rocprim17ROCPRIM_400000_NS6detail17trampoline_kernelINS0_14default_configENS1_36segmented_radix_sort_config_selectorIhlEEZNS1_25segmented_radix_sort_implIS3_Lb1EPKhPhPKlPlN2at6native12_GLOBAL__N_18offset_tEEE10hipError_tPvRmT1_PNSt15iterator_traitsISK_E10value_typeET2_T3_PNSL_ISQ_E10value_typeET4_jRbjT5_SW_jjP12ihipStream_tbEUlT_E1_NS1_11comp_targetILNS1_3genE9ELNS1_11target_archE1100ELNS1_3gpuE3ELNS1_3repE0EEENS1_59segmented_radix_sort_warp_sort_small_config_static_selectorELNS0_4arch9wavefront6targetE1EEEvSK_
; %bb.0:
	.section	.rodata,"a",@progbits
	.p2align	6, 0x0
	.amdhsa_kernel _ZN7rocprim17ROCPRIM_400000_NS6detail17trampoline_kernelINS0_14default_configENS1_36segmented_radix_sort_config_selectorIhlEEZNS1_25segmented_radix_sort_implIS3_Lb1EPKhPhPKlPlN2at6native12_GLOBAL__N_18offset_tEEE10hipError_tPvRmT1_PNSt15iterator_traitsISK_E10value_typeET2_T3_PNSL_ISQ_E10value_typeET4_jRbjT5_SW_jjP12ihipStream_tbEUlT_E1_NS1_11comp_targetILNS1_3genE9ELNS1_11target_archE1100ELNS1_3gpuE3ELNS1_3repE0EEENS1_59segmented_radix_sort_warp_sort_small_config_static_selectorELNS0_4arch9wavefront6targetE1EEEvSK_
		.amdhsa_group_segment_fixed_size 0
		.amdhsa_private_segment_fixed_size 0
		.amdhsa_kernarg_size 88
		.amdhsa_user_sgpr_count 6
		.amdhsa_user_sgpr_private_segment_buffer 1
		.amdhsa_user_sgpr_dispatch_ptr 0
		.amdhsa_user_sgpr_queue_ptr 0
		.amdhsa_user_sgpr_kernarg_segment_ptr 1
		.amdhsa_user_sgpr_dispatch_id 0
		.amdhsa_user_sgpr_flat_scratch_init 0
		.amdhsa_user_sgpr_private_segment_size 0
		.amdhsa_uses_dynamic_stack 0
		.amdhsa_system_sgpr_private_segment_wavefront_offset 0
		.amdhsa_system_sgpr_workgroup_id_x 1
		.amdhsa_system_sgpr_workgroup_id_y 0
		.amdhsa_system_sgpr_workgroup_id_z 0
		.amdhsa_system_sgpr_workgroup_info 0
		.amdhsa_system_vgpr_workitem_id 0
		.amdhsa_next_free_vgpr 1
		.amdhsa_next_free_sgpr 0
		.amdhsa_reserve_vcc 0
		.amdhsa_reserve_flat_scratch 0
		.amdhsa_float_round_mode_32 0
		.amdhsa_float_round_mode_16_64 0
		.amdhsa_float_denorm_mode_32 3
		.amdhsa_float_denorm_mode_16_64 3
		.amdhsa_dx10_clamp 1
		.amdhsa_ieee_mode 1
		.amdhsa_fp16_overflow 0
		.amdhsa_exception_fp_ieee_invalid_op 0
		.amdhsa_exception_fp_denorm_src 0
		.amdhsa_exception_fp_ieee_div_zero 0
		.amdhsa_exception_fp_ieee_overflow 0
		.amdhsa_exception_fp_ieee_underflow 0
		.amdhsa_exception_fp_ieee_inexact 0
		.amdhsa_exception_int_div_zero 0
	.end_amdhsa_kernel
	.section	.text._ZN7rocprim17ROCPRIM_400000_NS6detail17trampoline_kernelINS0_14default_configENS1_36segmented_radix_sort_config_selectorIhlEEZNS1_25segmented_radix_sort_implIS3_Lb1EPKhPhPKlPlN2at6native12_GLOBAL__N_18offset_tEEE10hipError_tPvRmT1_PNSt15iterator_traitsISK_E10value_typeET2_T3_PNSL_ISQ_E10value_typeET4_jRbjT5_SW_jjP12ihipStream_tbEUlT_E1_NS1_11comp_targetILNS1_3genE9ELNS1_11target_archE1100ELNS1_3gpuE3ELNS1_3repE0EEENS1_59segmented_radix_sort_warp_sort_small_config_static_selectorELNS0_4arch9wavefront6targetE1EEEvSK_,"axG",@progbits,_ZN7rocprim17ROCPRIM_400000_NS6detail17trampoline_kernelINS0_14default_configENS1_36segmented_radix_sort_config_selectorIhlEEZNS1_25segmented_radix_sort_implIS3_Lb1EPKhPhPKlPlN2at6native12_GLOBAL__N_18offset_tEEE10hipError_tPvRmT1_PNSt15iterator_traitsISK_E10value_typeET2_T3_PNSL_ISQ_E10value_typeET4_jRbjT5_SW_jjP12ihipStream_tbEUlT_E1_NS1_11comp_targetILNS1_3genE9ELNS1_11target_archE1100ELNS1_3gpuE3ELNS1_3repE0EEENS1_59segmented_radix_sort_warp_sort_small_config_static_selectorELNS0_4arch9wavefront6targetE1EEEvSK_,comdat
.Lfunc_end111:
	.size	_ZN7rocprim17ROCPRIM_400000_NS6detail17trampoline_kernelINS0_14default_configENS1_36segmented_radix_sort_config_selectorIhlEEZNS1_25segmented_radix_sort_implIS3_Lb1EPKhPhPKlPlN2at6native12_GLOBAL__N_18offset_tEEE10hipError_tPvRmT1_PNSt15iterator_traitsISK_E10value_typeET2_T3_PNSL_ISQ_E10value_typeET4_jRbjT5_SW_jjP12ihipStream_tbEUlT_E1_NS1_11comp_targetILNS1_3genE9ELNS1_11target_archE1100ELNS1_3gpuE3ELNS1_3repE0EEENS1_59segmented_radix_sort_warp_sort_small_config_static_selectorELNS0_4arch9wavefront6targetE1EEEvSK_, .Lfunc_end111-_ZN7rocprim17ROCPRIM_400000_NS6detail17trampoline_kernelINS0_14default_configENS1_36segmented_radix_sort_config_selectorIhlEEZNS1_25segmented_radix_sort_implIS3_Lb1EPKhPhPKlPlN2at6native12_GLOBAL__N_18offset_tEEE10hipError_tPvRmT1_PNSt15iterator_traitsISK_E10value_typeET2_T3_PNSL_ISQ_E10value_typeET4_jRbjT5_SW_jjP12ihipStream_tbEUlT_E1_NS1_11comp_targetILNS1_3genE9ELNS1_11target_archE1100ELNS1_3gpuE3ELNS1_3repE0EEENS1_59segmented_radix_sort_warp_sort_small_config_static_selectorELNS0_4arch9wavefront6targetE1EEEvSK_
                                        ; -- End function
	.set _ZN7rocprim17ROCPRIM_400000_NS6detail17trampoline_kernelINS0_14default_configENS1_36segmented_radix_sort_config_selectorIhlEEZNS1_25segmented_radix_sort_implIS3_Lb1EPKhPhPKlPlN2at6native12_GLOBAL__N_18offset_tEEE10hipError_tPvRmT1_PNSt15iterator_traitsISK_E10value_typeET2_T3_PNSL_ISQ_E10value_typeET4_jRbjT5_SW_jjP12ihipStream_tbEUlT_E1_NS1_11comp_targetILNS1_3genE9ELNS1_11target_archE1100ELNS1_3gpuE3ELNS1_3repE0EEENS1_59segmented_radix_sort_warp_sort_small_config_static_selectorELNS0_4arch9wavefront6targetE1EEEvSK_.num_vgpr, 0
	.set _ZN7rocprim17ROCPRIM_400000_NS6detail17trampoline_kernelINS0_14default_configENS1_36segmented_radix_sort_config_selectorIhlEEZNS1_25segmented_radix_sort_implIS3_Lb1EPKhPhPKlPlN2at6native12_GLOBAL__N_18offset_tEEE10hipError_tPvRmT1_PNSt15iterator_traitsISK_E10value_typeET2_T3_PNSL_ISQ_E10value_typeET4_jRbjT5_SW_jjP12ihipStream_tbEUlT_E1_NS1_11comp_targetILNS1_3genE9ELNS1_11target_archE1100ELNS1_3gpuE3ELNS1_3repE0EEENS1_59segmented_radix_sort_warp_sort_small_config_static_selectorELNS0_4arch9wavefront6targetE1EEEvSK_.num_agpr, 0
	.set _ZN7rocprim17ROCPRIM_400000_NS6detail17trampoline_kernelINS0_14default_configENS1_36segmented_radix_sort_config_selectorIhlEEZNS1_25segmented_radix_sort_implIS3_Lb1EPKhPhPKlPlN2at6native12_GLOBAL__N_18offset_tEEE10hipError_tPvRmT1_PNSt15iterator_traitsISK_E10value_typeET2_T3_PNSL_ISQ_E10value_typeET4_jRbjT5_SW_jjP12ihipStream_tbEUlT_E1_NS1_11comp_targetILNS1_3genE9ELNS1_11target_archE1100ELNS1_3gpuE3ELNS1_3repE0EEENS1_59segmented_radix_sort_warp_sort_small_config_static_selectorELNS0_4arch9wavefront6targetE1EEEvSK_.numbered_sgpr, 0
	.set _ZN7rocprim17ROCPRIM_400000_NS6detail17trampoline_kernelINS0_14default_configENS1_36segmented_radix_sort_config_selectorIhlEEZNS1_25segmented_radix_sort_implIS3_Lb1EPKhPhPKlPlN2at6native12_GLOBAL__N_18offset_tEEE10hipError_tPvRmT1_PNSt15iterator_traitsISK_E10value_typeET2_T3_PNSL_ISQ_E10value_typeET4_jRbjT5_SW_jjP12ihipStream_tbEUlT_E1_NS1_11comp_targetILNS1_3genE9ELNS1_11target_archE1100ELNS1_3gpuE3ELNS1_3repE0EEENS1_59segmented_radix_sort_warp_sort_small_config_static_selectorELNS0_4arch9wavefront6targetE1EEEvSK_.num_named_barrier, 0
	.set _ZN7rocprim17ROCPRIM_400000_NS6detail17trampoline_kernelINS0_14default_configENS1_36segmented_radix_sort_config_selectorIhlEEZNS1_25segmented_radix_sort_implIS3_Lb1EPKhPhPKlPlN2at6native12_GLOBAL__N_18offset_tEEE10hipError_tPvRmT1_PNSt15iterator_traitsISK_E10value_typeET2_T3_PNSL_ISQ_E10value_typeET4_jRbjT5_SW_jjP12ihipStream_tbEUlT_E1_NS1_11comp_targetILNS1_3genE9ELNS1_11target_archE1100ELNS1_3gpuE3ELNS1_3repE0EEENS1_59segmented_radix_sort_warp_sort_small_config_static_selectorELNS0_4arch9wavefront6targetE1EEEvSK_.private_seg_size, 0
	.set _ZN7rocprim17ROCPRIM_400000_NS6detail17trampoline_kernelINS0_14default_configENS1_36segmented_radix_sort_config_selectorIhlEEZNS1_25segmented_radix_sort_implIS3_Lb1EPKhPhPKlPlN2at6native12_GLOBAL__N_18offset_tEEE10hipError_tPvRmT1_PNSt15iterator_traitsISK_E10value_typeET2_T3_PNSL_ISQ_E10value_typeET4_jRbjT5_SW_jjP12ihipStream_tbEUlT_E1_NS1_11comp_targetILNS1_3genE9ELNS1_11target_archE1100ELNS1_3gpuE3ELNS1_3repE0EEENS1_59segmented_radix_sort_warp_sort_small_config_static_selectorELNS0_4arch9wavefront6targetE1EEEvSK_.uses_vcc, 0
	.set _ZN7rocprim17ROCPRIM_400000_NS6detail17trampoline_kernelINS0_14default_configENS1_36segmented_radix_sort_config_selectorIhlEEZNS1_25segmented_radix_sort_implIS3_Lb1EPKhPhPKlPlN2at6native12_GLOBAL__N_18offset_tEEE10hipError_tPvRmT1_PNSt15iterator_traitsISK_E10value_typeET2_T3_PNSL_ISQ_E10value_typeET4_jRbjT5_SW_jjP12ihipStream_tbEUlT_E1_NS1_11comp_targetILNS1_3genE9ELNS1_11target_archE1100ELNS1_3gpuE3ELNS1_3repE0EEENS1_59segmented_radix_sort_warp_sort_small_config_static_selectorELNS0_4arch9wavefront6targetE1EEEvSK_.uses_flat_scratch, 0
	.set _ZN7rocprim17ROCPRIM_400000_NS6detail17trampoline_kernelINS0_14default_configENS1_36segmented_radix_sort_config_selectorIhlEEZNS1_25segmented_radix_sort_implIS3_Lb1EPKhPhPKlPlN2at6native12_GLOBAL__N_18offset_tEEE10hipError_tPvRmT1_PNSt15iterator_traitsISK_E10value_typeET2_T3_PNSL_ISQ_E10value_typeET4_jRbjT5_SW_jjP12ihipStream_tbEUlT_E1_NS1_11comp_targetILNS1_3genE9ELNS1_11target_archE1100ELNS1_3gpuE3ELNS1_3repE0EEENS1_59segmented_radix_sort_warp_sort_small_config_static_selectorELNS0_4arch9wavefront6targetE1EEEvSK_.has_dyn_sized_stack, 0
	.set _ZN7rocprim17ROCPRIM_400000_NS6detail17trampoline_kernelINS0_14default_configENS1_36segmented_radix_sort_config_selectorIhlEEZNS1_25segmented_radix_sort_implIS3_Lb1EPKhPhPKlPlN2at6native12_GLOBAL__N_18offset_tEEE10hipError_tPvRmT1_PNSt15iterator_traitsISK_E10value_typeET2_T3_PNSL_ISQ_E10value_typeET4_jRbjT5_SW_jjP12ihipStream_tbEUlT_E1_NS1_11comp_targetILNS1_3genE9ELNS1_11target_archE1100ELNS1_3gpuE3ELNS1_3repE0EEENS1_59segmented_radix_sort_warp_sort_small_config_static_selectorELNS0_4arch9wavefront6targetE1EEEvSK_.has_recursion, 0
	.set _ZN7rocprim17ROCPRIM_400000_NS6detail17trampoline_kernelINS0_14default_configENS1_36segmented_radix_sort_config_selectorIhlEEZNS1_25segmented_radix_sort_implIS3_Lb1EPKhPhPKlPlN2at6native12_GLOBAL__N_18offset_tEEE10hipError_tPvRmT1_PNSt15iterator_traitsISK_E10value_typeET2_T3_PNSL_ISQ_E10value_typeET4_jRbjT5_SW_jjP12ihipStream_tbEUlT_E1_NS1_11comp_targetILNS1_3genE9ELNS1_11target_archE1100ELNS1_3gpuE3ELNS1_3repE0EEENS1_59segmented_radix_sort_warp_sort_small_config_static_selectorELNS0_4arch9wavefront6targetE1EEEvSK_.has_indirect_call, 0
	.section	.AMDGPU.csdata,"",@progbits
; Kernel info:
; codeLenInByte = 0
; TotalNumSgprs: 4
; NumVgprs: 0
; ScratchSize: 0
; MemoryBound: 0
; FloatMode: 240
; IeeeMode: 1
; LDSByteSize: 0 bytes/workgroup (compile time only)
; SGPRBlocks: 0
; VGPRBlocks: 0
; NumSGPRsForWavesPerEU: 4
; NumVGPRsForWavesPerEU: 1
; Occupancy: 10
; WaveLimiterHint : 0
; COMPUTE_PGM_RSRC2:SCRATCH_EN: 0
; COMPUTE_PGM_RSRC2:USER_SGPR: 6
; COMPUTE_PGM_RSRC2:TRAP_HANDLER: 0
; COMPUTE_PGM_RSRC2:TGID_X_EN: 1
; COMPUTE_PGM_RSRC2:TGID_Y_EN: 0
; COMPUTE_PGM_RSRC2:TGID_Z_EN: 0
; COMPUTE_PGM_RSRC2:TIDIG_COMP_CNT: 0
	.section	.text._ZN7rocprim17ROCPRIM_400000_NS6detail17trampoline_kernelINS0_14default_configENS1_36segmented_radix_sort_config_selectorIhlEEZNS1_25segmented_radix_sort_implIS3_Lb1EPKhPhPKlPlN2at6native12_GLOBAL__N_18offset_tEEE10hipError_tPvRmT1_PNSt15iterator_traitsISK_E10value_typeET2_T3_PNSL_ISQ_E10value_typeET4_jRbjT5_SW_jjP12ihipStream_tbEUlT_E1_NS1_11comp_targetILNS1_3genE8ELNS1_11target_archE1030ELNS1_3gpuE2ELNS1_3repE0EEENS1_59segmented_radix_sort_warp_sort_small_config_static_selectorELNS0_4arch9wavefront6targetE1EEEvSK_,"axG",@progbits,_ZN7rocprim17ROCPRIM_400000_NS6detail17trampoline_kernelINS0_14default_configENS1_36segmented_radix_sort_config_selectorIhlEEZNS1_25segmented_radix_sort_implIS3_Lb1EPKhPhPKlPlN2at6native12_GLOBAL__N_18offset_tEEE10hipError_tPvRmT1_PNSt15iterator_traitsISK_E10value_typeET2_T3_PNSL_ISQ_E10value_typeET4_jRbjT5_SW_jjP12ihipStream_tbEUlT_E1_NS1_11comp_targetILNS1_3genE8ELNS1_11target_archE1030ELNS1_3gpuE2ELNS1_3repE0EEENS1_59segmented_radix_sort_warp_sort_small_config_static_selectorELNS0_4arch9wavefront6targetE1EEEvSK_,comdat
	.globl	_ZN7rocprim17ROCPRIM_400000_NS6detail17trampoline_kernelINS0_14default_configENS1_36segmented_radix_sort_config_selectorIhlEEZNS1_25segmented_radix_sort_implIS3_Lb1EPKhPhPKlPlN2at6native12_GLOBAL__N_18offset_tEEE10hipError_tPvRmT1_PNSt15iterator_traitsISK_E10value_typeET2_T3_PNSL_ISQ_E10value_typeET4_jRbjT5_SW_jjP12ihipStream_tbEUlT_E1_NS1_11comp_targetILNS1_3genE8ELNS1_11target_archE1030ELNS1_3gpuE2ELNS1_3repE0EEENS1_59segmented_radix_sort_warp_sort_small_config_static_selectorELNS0_4arch9wavefront6targetE1EEEvSK_ ; -- Begin function _ZN7rocprim17ROCPRIM_400000_NS6detail17trampoline_kernelINS0_14default_configENS1_36segmented_radix_sort_config_selectorIhlEEZNS1_25segmented_radix_sort_implIS3_Lb1EPKhPhPKlPlN2at6native12_GLOBAL__N_18offset_tEEE10hipError_tPvRmT1_PNSt15iterator_traitsISK_E10value_typeET2_T3_PNSL_ISQ_E10value_typeET4_jRbjT5_SW_jjP12ihipStream_tbEUlT_E1_NS1_11comp_targetILNS1_3genE8ELNS1_11target_archE1030ELNS1_3gpuE2ELNS1_3repE0EEENS1_59segmented_radix_sort_warp_sort_small_config_static_selectorELNS0_4arch9wavefront6targetE1EEEvSK_
	.p2align	8
	.type	_ZN7rocprim17ROCPRIM_400000_NS6detail17trampoline_kernelINS0_14default_configENS1_36segmented_radix_sort_config_selectorIhlEEZNS1_25segmented_radix_sort_implIS3_Lb1EPKhPhPKlPlN2at6native12_GLOBAL__N_18offset_tEEE10hipError_tPvRmT1_PNSt15iterator_traitsISK_E10value_typeET2_T3_PNSL_ISQ_E10value_typeET4_jRbjT5_SW_jjP12ihipStream_tbEUlT_E1_NS1_11comp_targetILNS1_3genE8ELNS1_11target_archE1030ELNS1_3gpuE2ELNS1_3repE0EEENS1_59segmented_radix_sort_warp_sort_small_config_static_selectorELNS0_4arch9wavefront6targetE1EEEvSK_,@function
_ZN7rocprim17ROCPRIM_400000_NS6detail17trampoline_kernelINS0_14default_configENS1_36segmented_radix_sort_config_selectorIhlEEZNS1_25segmented_radix_sort_implIS3_Lb1EPKhPhPKlPlN2at6native12_GLOBAL__N_18offset_tEEE10hipError_tPvRmT1_PNSt15iterator_traitsISK_E10value_typeET2_T3_PNSL_ISQ_E10value_typeET4_jRbjT5_SW_jjP12ihipStream_tbEUlT_E1_NS1_11comp_targetILNS1_3genE8ELNS1_11target_archE1030ELNS1_3gpuE2ELNS1_3repE0EEENS1_59segmented_radix_sort_warp_sort_small_config_static_selectorELNS0_4arch9wavefront6targetE1EEEvSK_: ; @_ZN7rocprim17ROCPRIM_400000_NS6detail17trampoline_kernelINS0_14default_configENS1_36segmented_radix_sort_config_selectorIhlEEZNS1_25segmented_radix_sort_implIS3_Lb1EPKhPhPKlPlN2at6native12_GLOBAL__N_18offset_tEEE10hipError_tPvRmT1_PNSt15iterator_traitsISK_E10value_typeET2_T3_PNSL_ISQ_E10value_typeET4_jRbjT5_SW_jjP12ihipStream_tbEUlT_E1_NS1_11comp_targetILNS1_3genE8ELNS1_11target_archE1030ELNS1_3gpuE2ELNS1_3repE0EEENS1_59segmented_radix_sort_warp_sort_small_config_static_selectorELNS0_4arch9wavefront6targetE1EEEvSK_
; %bb.0:
	.section	.rodata,"a",@progbits
	.p2align	6, 0x0
	.amdhsa_kernel _ZN7rocprim17ROCPRIM_400000_NS6detail17trampoline_kernelINS0_14default_configENS1_36segmented_radix_sort_config_selectorIhlEEZNS1_25segmented_radix_sort_implIS3_Lb1EPKhPhPKlPlN2at6native12_GLOBAL__N_18offset_tEEE10hipError_tPvRmT1_PNSt15iterator_traitsISK_E10value_typeET2_T3_PNSL_ISQ_E10value_typeET4_jRbjT5_SW_jjP12ihipStream_tbEUlT_E1_NS1_11comp_targetILNS1_3genE8ELNS1_11target_archE1030ELNS1_3gpuE2ELNS1_3repE0EEENS1_59segmented_radix_sort_warp_sort_small_config_static_selectorELNS0_4arch9wavefront6targetE1EEEvSK_
		.amdhsa_group_segment_fixed_size 0
		.amdhsa_private_segment_fixed_size 0
		.amdhsa_kernarg_size 88
		.amdhsa_user_sgpr_count 6
		.amdhsa_user_sgpr_private_segment_buffer 1
		.amdhsa_user_sgpr_dispatch_ptr 0
		.amdhsa_user_sgpr_queue_ptr 0
		.amdhsa_user_sgpr_kernarg_segment_ptr 1
		.amdhsa_user_sgpr_dispatch_id 0
		.amdhsa_user_sgpr_flat_scratch_init 0
		.amdhsa_user_sgpr_private_segment_size 0
		.amdhsa_uses_dynamic_stack 0
		.amdhsa_system_sgpr_private_segment_wavefront_offset 0
		.amdhsa_system_sgpr_workgroup_id_x 1
		.amdhsa_system_sgpr_workgroup_id_y 0
		.amdhsa_system_sgpr_workgroup_id_z 0
		.amdhsa_system_sgpr_workgroup_info 0
		.amdhsa_system_vgpr_workitem_id 0
		.amdhsa_next_free_vgpr 1
		.amdhsa_next_free_sgpr 0
		.amdhsa_reserve_vcc 0
		.amdhsa_reserve_flat_scratch 0
		.amdhsa_float_round_mode_32 0
		.amdhsa_float_round_mode_16_64 0
		.amdhsa_float_denorm_mode_32 3
		.amdhsa_float_denorm_mode_16_64 3
		.amdhsa_dx10_clamp 1
		.amdhsa_ieee_mode 1
		.amdhsa_fp16_overflow 0
		.amdhsa_exception_fp_ieee_invalid_op 0
		.amdhsa_exception_fp_denorm_src 0
		.amdhsa_exception_fp_ieee_div_zero 0
		.amdhsa_exception_fp_ieee_overflow 0
		.amdhsa_exception_fp_ieee_underflow 0
		.amdhsa_exception_fp_ieee_inexact 0
		.amdhsa_exception_int_div_zero 0
	.end_amdhsa_kernel
	.section	.text._ZN7rocprim17ROCPRIM_400000_NS6detail17trampoline_kernelINS0_14default_configENS1_36segmented_radix_sort_config_selectorIhlEEZNS1_25segmented_radix_sort_implIS3_Lb1EPKhPhPKlPlN2at6native12_GLOBAL__N_18offset_tEEE10hipError_tPvRmT1_PNSt15iterator_traitsISK_E10value_typeET2_T3_PNSL_ISQ_E10value_typeET4_jRbjT5_SW_jjP12ihipStream_tbEUlT_E1_NS1_11comp_targetILNS1_3genE8ELNS1_11target_archE1030ELNS1_3gpuE2ELNS1_3repE0EEENS1_59segmented_radix_sort_warp_sort_small_config_static_selectorELNS0_4arch9wavefront6targetE1EEEvSK_,"axG",@progbits,_ZN7rocprim17ROCPRIM_400000_NS6detail17trampoline_kernelINS0_14default_configENS1_36segmented_radix_sort_config_selectorIhlEEZNS1_25segmented_radix_sort_implIS3_Lb1EPKhPhPKlPlN2at6native12_GLOBAL__N_18offset_tEEE10hipError_tPvRmT1_PNSt15iterator_traitsISK_E10value_typeET2_T3_PNSL_ISQ_E10value_typeET4_jRbjT5_SW_jjP12ihipStream_tbEUlT_E1_NS1_11comp_targetILNS1_3genE8ELNS1_11target_archE1030ELNS1_3gpuE2ELNS1_3repE0EEENS1_59segmented_radix_sort_warp_sort_small_config_static_selectorELNS0_4arch9wavefront6targetE1EEEvSK_,comdat
.Lfunc_end112:
	.size	_ZN7rocprim17ROCPRIM_400000_NS6detail17trampoline_kernelINS0_14default_configENS1_36segmented_radix_sort_config_selectorIhlEEZNS1_25segmented_radix_sort_implIS3_Lb1EPKhPhPKlPlN2at6native12_GLOBAL__N_18offset_tEEE10hipError_tPvRmT1_PNSt15iterator_traitsISK_E10value_typeET2_T3_PNSL_ISQ_E10value_typeET4_jRbjT5_SW_jjP12ihipStream_tbEUlT_E1_NS1_11comp_targetILNS1_3genE8ELNS1_11target_archE1030ELNS1_3gpuE2ELNS1_3repE0EEENS1_59segmented_radix_sort_warp_sort_small_config_static_selectorELNS0_4arch9wavefront6targetE1EEEvSK_, .Lfunc_end112-_ZN7rocprim17ROCPRIM_400000_NS6detail17trampoline_kernelINS0_14default_configENS1_36segmented_radix_sort_config_selectorIhlEEZNS1_25segmented_radix_sort_implIS3_Lb1EPKhPhPKlPlN2at6native12_GLOBAL__N_18offset_tEEE10hipError_tPvRmT1_PNSt15iterator_traitsISK_E10value_typeET2_T3_PNSL_ISQ_E10value_typeET4_jRbjT5_SW_jjP12ihipStream_tbEUlT_E1_NS1_11comp_targetILNS1_3genE8ELNS1_11target_archE1030ELNS1_3gpuE2ELNS1_3repE0EEENS1_59segmented_radix_sort_warp_sort_small_config_static_selectorELNS0_4arch9wavefront6targetE1EEEvSK_
                                        ; -- End function
	.set _ZN7rocprim17ROCPRIM_400000_NS6detail17trampoline_kernelINS0_14default_configENS1_36segmented_radix_sort_config_selectorIhlEEZNS1_25segmented_radix_sort_implIS3_Lb1EPKhPhPKlPlN2at6native12_GLOBAL__N_18offset_tEEE10hipError_tPvRmT1_PNSt15iterator_traitsISK_E10value_typeET2_T3_PNSL_ISQ_E10value_typeET4_jRbjT5_SW_jjP12ihipStream_tbEUlT_E1_NS1_11comp_targetILNS1_3genE8ELNS1_11target_archE1030ELNS1_3gpuE2ELNS1_3repE0EEENS1_59segmented_radix_sort_warp_sort_small_config_static_selectorELNS0_4arch9wavefront6targetE1EEEvSK_.num_vgpr, 0
	.set _ZN7rocprim17ROCPRIM_400000_NS6detail17trampoline_kernelINS0_14default_configENS1_36segmented_radix_sort_config_selectorIhlEEZNS1_25segmented_radix_sort_implIS3_Lb1EPKhPhPKlPlN2at6native12_GLOBAL__N_18offset_tEEE10hipError_tPvRmT1_PNSt15iterator_traitsISK_E10value_typeET2_T3_PNSL_ISQ_E10value_typeET4_jRbjT5_SW_jjP12ihipStream_tbEUlT_E1_NS1_11comp_targetILNS1_3genE8ELNS1_11target_archE1030ELNS1_3gpuE2ELNS1_3repE0EEENS1_59segmented_radix_sort_warp_sort_small_config_static_selectorELNS0_4arch9wavefront6targetE1EEEvSK_.num_agpr, 0
	.set _ZN7rocprim17ROCPRIM_400000_NS6detail17trampoline_kernelINS0_14default_configENS1_36segmented_radix_sort_config_selectorIhlEEZNS1_25segmented_radix_sort_implIS3_Lb1EPKhPhPKlPlN2at6native12_GLOBAL__N_18offset_tEEE10hipError_tPvRmT1_PNSt15iterator_traitsISK_E10value_typeET2_T3_PNSL_ISQ_E10value_typeET4_jRbjT5_SW_jjP12ihipStream_tbEUlT_E1_NS1_11comp_targetILNS1_3genE8ELNS1_11target_archE1030ELNS1_3gpuE2ELNS1_3repE0EEENS1_59segmented_radix_sort_warp_sort_small_config_static_selectorELNS0_4arch9wavefront6targetE1EEEvSK_.numbered_sgpr, 0
	.set _ZN7rocprim17ROCPRIM_400000_NS6detail17trampoline_kernelINS0_14default_configENS1_36segmented_radix_sort_config_selectorIhlEEZNS1_25segmented_radix_sort_implIS3_Lb1EPKhPhPKlPlN2at6native12_GLOBAL__N_18offset_tEEE10hipError_tPvRmT1_PNSt15iterator_traitsISK_E10value_typeET2_T3_PNSL_ISQ_E10value_typeET4_jRbjT5_SW_jjP12ihipStream_tbEUlT_E1_NS1_11comp_targetILNS1_3genE8ELNS1_11target_archE1030ELNS1_3gpuE2ELNS1_3repE0EEENS1_59segmented_radix_sort_warp_sort_small_config_static_selectorELNS0_4arch9wavefront6targetE1EEEvSK_.num_named_barrier, 0
	.set _ZN7rocprim17ROCPRIM_400000_NS6detail17trampoline_kernelINS0_14default_configENS1_36segmented_radix_sort_config_selectorIhlEEZNS1_25segmented_radix_sort_implIS3_Lb1EPKhPhPKlPlN2at6native12_GLOBAL__N_18offset_tEEE10hipError_tPvRmT1_PNSt15iterator_traitsISK_E10value_typeET2_T3_PNSL_ISQ_E10value_typeET4_jRbjT5_SW_jjP12ihipStream_tbEUlT_E1_NS1_11comp_targetILNS1_3genE8ELNS1_11target_archE1030ELNS1_3gpuE2ELNS1_3repE0EEENS1_59segmented_radix_sort_warp_sort_small_config_static_selectorELNS0_4arch9wavefront6targetE1EEEvSK_.private_seg_size, 0
	.set _ZN7rocprim17ROCPRIM_400000_NS6detail17trampoline_kernelINS0_14default_configENS1_36segmented_radix_sort_config_selectorIhlEEZNS1_25segmented_radix_sort_implIS3_Lb1EPKhPhPKlPlN2at6native12_GLOBAL__N_18offset_tEEE10hipError_tPvRmT1_PNSt15iterator_traitsISK_E10value_typeET2_T3_PNSL_ISQ_E10value_typeET4_jRbjT5_SW_jjP12ihipStream_tbEUlT_E1_NS1_11comp_targetILNS1_3genE8ELNS1_11target_archE1030ELNS1_3gpuE2ELNS1_3repE0EEENS1_59segmented_radix_sort_warp_sort_small_config_static_selectorELNS0_4arch9wavefront6targetE1EEEvSK_.uses_vcc, 0
	.set _ZN7rocprim17ROCPRIM_400000_NS6detail17trampoline_kernelINS0_14default_configENS1_36segmented_radix_sort_config_selectorIhlEEZNS1_25segmented_radix_sort_implIS3_Lb1EPKhPhPKlPlN2at6native12_GLOBAL__N_18offset_tEEE10hipError_tPvRmT1_PNSt15iterator_traitsISK_E10value_typeET2_T3_PNSL_ISQ_E10value_typeET4_jRbjT5_SW_jjP12ihipStream_tbEUlT_E1_NS1_11comp_targetILNS1_3genE8ELNS1_11target_archE1030ELNS1_3gpuE2ELNS1_3repE0EEENS1_59segmented_radix_sort_warp_sort_small_config_static_selectorELNS0_4arch9wavefront6targetE1EEEvSK_.uses_flat_scratch, 0
	.set _ZN7rocprim17ROCPRIM_400000_NS6detail17trampoline_kernelINS0_14default_configENS1_36segmented_radix_sort_config_selectorIhlEEZNS1_25segmented_radix_sort_implIS3_Lb1EPKhPhPKlPlN2at6native12_GLOBAL__N_18offset_tEEE10hipError_tPvRmT1_PNSt15iterator_traitsISK_E10value_typeET2_T3_PNSL_ISQ_E10value_typeET4_jRbjT5_SW_jjP12ihipStream_tbEUlT_E1_NS1_11comp_targetILNS1_3genE8ELNS1_11target_archE1030ELNS1_3gpuE2ELNS1_3repE0EEENS1_59segmented_radix_sort_warp_sort_small_config_static_selectorELNS0_4arch9wavefront6targetE1EEEvSK_.has_dyn_sized_stack, 0
	.set _ZN7rocprim17ROCPRIM_400000_NS6detail17trampoline_kernelINS0_14default_configENS1_36segmented_radix_sort_config_selectorIhlEEZNS1_25segmented_radix_sort_implIS3_Lb1EPKhPhPKlPlN2at6native12_GLOBAL__N_18offset_tEEE10hipError_tPvRmT1_PNSt15iterator_traitsISK_E10value_typeET2_T3_PNSL_ISQ_E10value_typeET4_jRbjT5_SW_jjP12ihipStream_tbEUlT_E1_NS1_11comp_targetILNS1_3genE8ELNS1_11target_archE1030ELNS1_3gpuE2ELNS1_3repE0EEENS1_59segmented_radix_sort_warp_sort_small_config_static_selectorELNS0_4arch9wavefront6targetE1EEEvSK_.has_recursion, 0
	.set _ZN7rocprim17ROCPRIM_400000_NS6detail17trampoline_kernelINS0_14default_configENS1_36segmented_radix_sort_config_selectorIhlEEZNS1_25segmented_radix_sort_implIS3_Lb1EPKhPhPKlPlN2at6native12_GLOBAL__N_18offset_tEEE10hipError_tPvRmT1_PNSt15iterator_traitsISK_E10value_typeET2_T3_PNSL_ISQ_E10value_typeET4_jRbjT5_SW_jjP12ihipStream_tbEUlT_E1_NS1_11comp_targetILNS1_3genE8ELNS1_11target_archE1030ELNS1_3gpuE2ELNS1_3repE0EEENS1_59segmented_radix_sort_warp_sort_small_config_static_selectorELNS0_4arch9wavefront6targetE1EEEvSK_.has_indirect_call, 0
	.section	.AMDGPU.csdata,"",@progbits
; Kernel info:
; codeLenInByte = 0
; TotalNumSgprs: 4
; NumVgprs: 0
; ScratchSize: 0
; MemoryBound: 0
; FloatMode: 240
; IeeeMode: 1
; LDSByteSize: 0 bytes/workgroup (compile time only)
; SGPRBlocks: 0
; VGPRBlocks: 0
; NumSGPRsForWavesPerEU: 4
; NumVGPRsForWavesPerEU: 1
; Occupancy: 10
; WaveLimiterHint : 0
; COMPUTE_PGM_RSRC2:SCRATCH_EN: 0
; COMPUTE_PGM_RSRC2:USER_SGPR: 6
; COMPUTE_PGM_RSRC2:TRAP_HANDLER: 0
; COMPUTE_PGM_RSRC2:TGID_X_EN: 1
; COMPUTE_PGM_RSRC2:TGID_Y_EN: 0
; COMPUTE_PGM_RSRC2:TGID_Z_EN: 0
; COMPUTE_PGM_RSRC2:TIDIG_COMP_CNT: 0
	.section	.text._ZN7rocprim17ROCPRIM_400000_NS6detail17trampoline_kernelINS0_14default_configENS1_36segmented_radix_sort_config_selectorIhlEEZNS1_25segmented_radix_sort_implIS3_Lb1EPKhPhPKlPlN2at6native12_GLOBAL__N_18offset_tEEE10hipError_tPvRmT1_PNSt15iterator_traitsISK_E10value_typeET2_T3_PNSL_ISQ_E10value_typeET4_jRbjT5_SW_jjP12ihipStream_tbEUlT_E2_NS1_11comp_targetILNS1_3genE0ELNS1_11target_archE4294967295ELNS1_3gpuE0ELNS1_3repE0EEENS1_30default_config_static_selectorELNS0_4arch9wavefront6targetE1EEEvSK_,"axG",@progbits,_ZN7rocprim17ROCPRIM_400000_NS6detail17trampoline_kernelINS0_14default_configENS1_36segmented_radix_sort_config_selectorIhlEEZNS1_25segmented_radix_sort_implIS3_Lb1EPKhPhPKlPlN2at6native12_GLOBAL__N_18offset_tEEE10hipError_tPvRmT1_PNSt15iterator_traitsISK_E10value_typeET2_T3_PNSL_ISQ_E10value_typeET4_jRbjT5_SW_jjP12ihipStream_tbEUlT_E2_NS1_11comp_targetILNS1_3genE0ELNS1_11target_archE4294967295ELNS1_3gpuE0ELNS1_3repE0EEENS1_30default_config_static_selectorELNS0_4arch9wavefront6targetE1EEEvSK_,comdat
	.globl	_ZN7rocprim17ROCPRIM_400000_NS6detail17trampoline_kernelINS0_14default_configENS1_36segmented_radix_sort_config_selectorIhlEEZNS1_25segmented_radix_sort_implIS3_Lb1EPKhPhPKlPlN2at6native12_GLOBAL__N_18offset_tEEE10hipError_tPvRmT1_PNSt15iterator_traitsISK_E10value_typeET2_T3_PNSL_ISQ_E10value_typeET4_jRbjT5_SW_jjP12ihipStream_tbEUlT_E2_NS1_11comp_targetILNS1_3genE0ELNS1_11target_archE4294967295ELNS1_3gpuE0ELNS1_3repE0EEENS1_30default_config_static_selectorELNS0_4arch9wavefront6targetE1EEEvSK_ ; -- Begin function _ZN7rocprim17ROCPRIM_400000_NS6detail17trampoline_kernelINS0_14default_configENS1_36segmented_radix_sort_config_selectorIhlEEZNS1_25segmented_radix_sort_implIS3_Lb1EPKhPhPKlPlN2at6native12_GLOBAL__N_18offset_tEEE10hipError_tPvRmT1_PNSt15iterator_traitsISK_E10value_typeET2_T3_PNSL_ISQ_E10value_typeET4_jRbjT5_SW_jjP12ihipStream_tbEUlT_E2_NS1_11comp_targetILNS1_3genE0ELNS1_11target_archE4294967295ELNS1_3gpuE0ELNS1_3repE0EEENS1_30default_config_static_selectorELNS0_4arch9wavefront6targetE1EEEvSK_
	.p2align	8
	.type	_ZN7rocprim17ROCPRIM_400000_NS6detail17trampoline_kernelINS0_14default_configENS1_36segmented_radix_sort_config_selectorIhlEEZNS1_25segmented_radix_sort_implIS3_Lb1EPKhPhPKlPlN2at6native12_GLOBAL__N_18offset_tEEE10hipError_tPvRmT1_PNSt15iterator_traitsISK_E10value_typeET2_T3_PNSL_ISQ_E10value_typeET4_jRbjT5_SW_jjP12ihipStream_tbEUlT_E2_NS1_11comp_targetILNS1_3genE0ELNS1_11target_archE4294967295ELNS1_3gpuE0ELNS1_3repE0EEENS1_30default_config_static_selectorELNS0_4arch9wavefront6targetE1EEEvSK_,@function
_ZN7rocprim17ROCPRIM_400000_NS6detail17trampoline_kernelINS0_14default_configENS1_36segmented_radix_sort_config_selectorIhlEEZNS1_25segmented_radix_sort_implIS3_Lb1EPKhPhPKlPlN2at6native12_GLOBAL__N_18offset_tEEE10hipError_tPvRmT1_PNSt15iterator_traitsISK_E10value_typeET2_T3_PNSL_ISQ_E10value_typeET4_jRbjT5_SW_jjP12ihipStream_tbEUlT_E2_NS1_11comp_targetILNS1_3genE0ELNS1_11target_archE4294967295ELNS1_3gpuE0ELNS1_3repE0EEENS1_30default_config_static_selectorELNS0_4arch9wavefront6targetE1EEEvSK_: ; @_ZN7rocprim17ROCPRIM_400000_NS6detail17trampoline_kernelINS0_14default_configENS1_36segmented_radix_sort_config_selectorIhlEEZNS1_25segmented_radix_sort_implIS3_Lb1EPKhPhPKlPlN2at6native12_GLOBAL__N_18offset_tEEE10hipError_tPvRmT1_PNSt15iterator_traitsISK_E10value_typeET2_T3_PNSL_ISQ_E10value_typeET4_jRbjT5_SW_jjP12ihipStream_tbEUlT_E2_NS1_11comp_targetILNS1_3genE0ELNS1_11target_archE4294967295ELNS1_3gpuE0ELNS1_3repE0EEENS1_30default_config_static_selectorELNS0_4arch9wavefront6targetE1EEEvSK_
; %bb.0:
	.section	.rodata,"a",@progbits
	.p2align	6, 0x0
	.amdhsa_kernel _ZN7rocprim17ROCPRIM_400000_NS6detail17trampoline_kernelINS0_14default_configENS1_36segmented_radix_sort_config_selectorIhlEEZNS1_25segmented_radix_sort_implIS3_Lb1EPKhPhPKlPlN2at6native12_GLOBAL__N_18offset_tEEE10hipError_tPvRmT1_PNSt15iterator_traitsISK_E10value_typeET2_T3_PNSL_ISQ_E10value_typeET4_jRbjT5_SW_jjP12ihipStream_tbEUlT_E2_NS1_11comp_targetILNS1_3genE0ELNS1_11target_archE4294967295ELNS1_3gpuE0ELNS1_3repE0EEENS1_30default_config_static_selectorELNS0_4arch9wavefront6targetE1EEEvSK_
		.amdhsa_group_segment_fixed_size 0
		.amdhsa_private_segment_fixed_size 0
		.amdhsa_kernarg_size 80
		.amdhsa_user_sgpr_count 6
		.amdhsa_user_sgpr_private_segment_buffer 1
		.amdhsa_user_sgpr_dispatch_ptr 0
		.amdhsa_user_sgpr_queue_ptr 0
		.amdhsa_user_sgpr_kernarg_segment_ptr 1
		.amdhsa_user_sgpr_dispatch_id 0
		.amdhsa_user_sgpr_flat_scratch_init 0
		.amdhsa_user_sgpr_private_segment_size 0
		.amdhsa_uses_dynamic_stack 0
		.amdhsa_system_sgpr_private_segment_wavefront_offset 0
		.amdhsa_system_sgpr_workgroup_id_x 1
		.amdhsa_system_sgpr_workgroup_id_y 0
		.amdhsa_system_sgpr_workgroup_id_z 0
		.amdhsa_system_sgpr_workgroup_info 0
		.amdhsa_system_vgpr_workitem_id 0
		.amdhsa_next_free_vgpr 1
		.amdhsa_next_free_sgpr 0
		.amdhsa_reserve_vcc 0
		.amdhsa_reserve_flat_scratch 0
		.amdhsa_float_round_mode_32 0
		.amdhsa_float_round_mode_16_64 0
		.amdhsa_float_denorm_mode_32 3
		.amdhsa_float_denorm_mode_16_64 3
		.amdhsa_dx10_clamp 1
		.amdhsa_ieee_mode 1
		.amdhsa_fp16_overflow 0
		.amdhsa_exception_fp_ieee_invalid_op 0
		.amdhsa_exception_fp_denorm_src 0
		.amdhsa_exception_fp_ieee_div_zero 0
		.amdhsa_exception_fp_ieee_overflow 0
		.amdhsa_exception_fp_ieee_underflow 0
		.amdhsa_exception_fp_ieee_inexact 0
		.amdhsa_exception_int_div_zero 0
	.end_amdhsa_kernel
	.section	.text._ZN7rocprim17ROCPRIM_400000_NS6detail17trampoline_kernelINS0_14default_configENS1_36segmented_radix_sort_config_selectorIhlEEZNS1_25segmented_radix_sort_implIS3_Lb1EPKhPhPKlPlN2at6native12_GLOBAL__N_18offset_tEEE10hipError_tPvRmT1_PNSt15iterator_traitsISK_E10value_typeET2_T3_PNSL_ISQ_E10value_typeET4_jRbjT5_SW_jjP12ihipStream_tbEUlT_E2_NS1_11comp_targetILNS1_3genE0ELNS1_11target_archE4294967295ELNS1_3gpuE0ELNS1_3repE0EEENS1_30default_config_static_selectorELNS0_4arch9wavefront6targetE1EEEvSK_,"axG",@progbits,_ZN7rocprim17ROCPRIM_400000_NS6detail17trampoline_kernelINS0_14default_configENS1_36segmented_radix_sort_config_selectorIhlEEZNS1_25segmented_radix_sort_implIS3_Lb1EPKhPhPKlPlN2at6native12_GLOBAL__N_18offset_tEEE10hipError_tPvRmT1_PNSt15iterator_traitsISK_E10value_typeET2_T3_PNSL_ISQ_E10value_typeET4_jRbjT5_SW_jjP12ihipStream_tbEUlT_E2_NS1_11comp_targetILNS1_3genE0ELNS1_11target_archE4294967295ELNS1_3gpuE0ELNS1_3repE0EEENS1_30default_config_static_selectorELNS0_4arch9wavefront6targetE1EEEvSK_,comdat
.Lfunc_end113:
	.size	_ZN7rocprim17ROCPRIM_400000_NS6detail17trampoline_kernelINS0_14default_configENS1_36segmented_radix_sort_config_selectorIhlEEZNS1_25segmented_radix_sort_implIS3_Lb1EPKhPhPKlPlN2at6native12_GLOBAL__N_18offset_tEEE10hipError_tPvRmT1_PNSt15iterator_traitsISK_E10value_typeET2_T3_PNSL_ISQ_E10value_typeET4_jRbjT5_SW_jjP12ihipStream_tbEUlT_E2_NS1_11comp_targetILNS1_3genE0ELNS1_11target_archE4294967295ELNS1_3gpuE0ELNS1_3repE0EEENS1_30default_config_static_selectorELNS0_4arch9wavefront6targetE1EEEvSK_, .Lfunc_end113-_ZN7rocprim17ROCPRIM_400000_NS6detail17trampoline_kernelINS0_14default_configENS1_36segmented_radix_sort_config_selectorIhlEEZNS1_25segmented_radix_sort_implIS3_Lb1EPKhPhPKlPlN2at6native12_GLOBAL__N_18offset_tEEE10hipError_tPvRmT1_PNSt15iterator_traitsISK_E10value_typeET2_T3_PNSL_ISQ_E10value_typeET4_jRbjT5_SW_jjP12ihipStream_tbEUlT_E2_NS1_11comp_targetILNS1_3genE0ELNS1_11target_archE4294967295ELNS1_3gpuE0ELNS1_3repE0EEENS1_30default_config_static_selectorELNS0_4arch9wavefront6targetE1EEEvSK_
                                        ; -- End function
	.set _ZN7rocprim17ROCPRIM_400000_NS6detail17trampoline_kernelINS0_14default_configENS1_36segmented_radix_sort_config_selectorIhlEEZNS1_25segmented_radix_sort_implIS3_Lb1EPKhPhPKlPlN2at6native12_GLOBAL__N_18offset_tEEE10hipError_tPvRmT1_PNSt15iterator_traitsISK_E10value_typeET2_T3_PNSL_ISQ_E10value_typeET4_jRbjT5_SW_jjP12ihipStream_tbEUlT_E2_NS1_11comp_targetILNS1_3genE0ELNS1_11target_archE4294967295ELNS1_3gpuE0ELNS1_3repE0EEENS1_30default_config_static_selectorELNS0_4arch9wavefront6targetE1EEEvSK_.num_vgpr, 0
	.set _ZN7rocprim17ROCPRIM_400000_NS6detail17trampoline_kernelINS0_14default_configENS1_36segmented_radix_sort_config_selectorIhlEEZNS1_25segmented_radix_sort_implIS3_Lb1EPKhPhPKlPlN2at6native12_GLOBAL__N_18offset_tEEE10hipError_tPvRmT1_PNSt15iterator_traitsISK_E10value_typeET2_T3_PNSL_ISQ_E10value_typeET4_jRbjT5_SW_jjP12ihipStream_tbEUlT_E2_NS1_11comp_targetILNS1_3genE0ELNS1_11target_archE4294967295ELNS1_3gpuE0ELNS1_3repE0EEENS1_30default_config_static_selectorELNS0_4arch9wavefront6targetE1EEEvSK_.num_agpr, 0
	.set _ZN7rocprim17ROCPRIM_400000_NS6detail17trampoline_kernelINS0_14default_configENS1_36segmented_radix_sort_config_selectorIhlEEZNS1_25segmented_radix_sort_implIS3_Lb1EPKhPhPKlPlN2at6native12_GLOBAL__N_18offset_tEEE10hipError_tPvRmT1_PNSt15iterator_traitsISK_E10value_typeET2_T3_PNSL_ISQ_E10value_typeET4_jRbjT5_SW_jjP12ihipStream_tbEUlT_E2_NS1_11comp_targetILNS1_3genE0ELNS1_11target_archE4294967295ELNS1_3gpuE0ELNS1_3repE0EEENS1_30default_config_static_selectorELNS0_4arch9wavefront6targetE1EEEvSK_.numbered_sgpr, 0
	.set _ZN7rocprim17ROCPRIM_400000_NS6detail17trampoline_kernelINS0_14default_configENS1_36segmented_radix_sort_config_selectorIhlEEZNS1_25segmented_radix_sort_implIS3_Lb1EPKhPhPKlPlN2at6native12_GLOBAL__N_18offset_tEEE10hipError_tPvRmT1_PNSt15iterator_traitsISK_E10value_typeET2_T3_PNSL_ISQ_E10value_typeET4_jRbjT5_SW_jjP12ihipStream_tbEUlT_E2_NS1_11comp_targetILNS1_3genE0ELNS1_11target_archE4294967295ELNS1_3gpuE0ELNS1_3repE0EEENS1_30default_config_static_selectorELNS0_4arch9wavefront6targetE1EEEvSK_.num_named_barrier, 0
	.set _ZN7rocprim17ROCPRIM_400000_NS6detail17trampoline_kernelINS0_14default_configENS1_36segmented_radix_sort_config_selectorIhlEEZNS1_25segmented_radix_sort_implIS3_Lb1EPKhPhPKlPlN2at6native12_GLOBAL__N_18offset_tEEE10hipError_tPvRmT1_PNSt15iterator_traitsISK_E10value_typeET2_T3_PNSL_ISQ_E10value_typeET4_jRbjT5_SW_jjP12ihipStream_tbEUlT_E2_NS1_11comp_targetILNS1_3genE0ELNS1_11target_archE4294967295ELNS1_3gpuE0ELNS1_3repE0EEENS1_30default_config_static_selectorELNS0_4arch9wavefront6targetE1EEEvSK_.private_seg_size, 0
	.set _ZN7rocprim17ROCPRIM_400000_NS6detail17trampoline_kernelINS0_14default_configENS1_36segmented_radix_sort_config_selectorIhlEEZNS1_25segmented_radix_sort_implIS3_Lb1EPKhPhPKlPlN2at6native12_GLOBAL__N_18offset_tEEE10hipError_tPvRmT1_PNSt15iterator_traitsISK_E10value_typeET2_T3_PNSL_ISQ_E10value_typeET4_jRbjT5_SW_jjP12ihipStream_tbEUlT_E2_NS1_11comp_targetILNS1_3genE0ELNS1_11target_archE4294967295ELNS1_3gpuE0ELNS1_3repE0EEENS1_30default_config_static_selectorELNS0_4arch9wavefront6targetE1EEEvSK_.uses_vcc, 0
	.set _ZN7rocprim17ROCPRIM_400000_NS6detail17trampoline_kernelINS0_14default_configENS1_36segmented_radix_sort_config_selectorIhlEEZNS1_25segmented_radix_sort_implIS3_Lb1EPKhPhPKlPlN2at6native12_GLOBAL__N_18offset_tEEE10hipError_tPvRmT1_PNSt15iterator_traitsISK_E10value_typeET2_T3_PNSL_ISQ_E10value_typeET4_jRbjT5_SW_jjP12ihipStream_tbEUlT_E2_NS1_11comp_targetILNS1_3genE0ELNS1_11target_archE4294967295ELNS1_3gpuE0ELNS1_3repE0EEENS1_30default_config_static_selectorELNS0_4arch9wavefront6targetE1EEEvSK_.uses_flat_scratch, 0
	.set _ZN7rocprim17ROCPRIM_400000_NS6detail17trampoline_kernelINS0_14default_configENS1_36segmented_radix_sort_config_selectorIhlEEZNS1_25segmented_radix_sort_implIS3_Lb1EPKhPhPKlPlN2at6native12_GLOBAL__N_18offset_tEEE10hipError_tPvRmT1_PNSt15iterator_traitsISK_E10value_typeET2_T3_PNSL_ISQ_E10value_typeET4_jRbjT5_SW_jjP12ihipStream_tbEUlT_E2_NS1_11comp_targetILNS1_3genE0ELNS1_11target_archE4294967295ELNS1_3gpuE0ELNS1_3repE0EEENS1_30default_config_static_selectorELNS0_4arch9wavefront6targetE1EEEvSK_.has_dyn_sized_stack, 0
	.set _ZN7rocprim17ROCPRIM_400000_NS6detail17trampoline_kernelINS0_14default_configENS1_36segmented_radix_sort_config_selectorIhlEEZNS1_25segmented_radix_sort_implIS3_Lb1EPKhPhPKlPlN2at6native12_GLOBAL__N_18offset_tEEE10hipError_tPvRmT1_PNSt15iterator_traitsISK_E10value_typeET2_T3_PNSL_ISQ_E10value_typeET4_jRbjT5_SW_jjP12ihipStream_tbEUlT_E2_NS1_11comp_targetILNS1_3genE0ELNS1_11target_archE4294967295ELNS1_3gpuE0ELNS1_3repE0EEENS1_30default_config_static_selectorELNS0_4arch9wavefront6targetE1EEEvSK_.has_recursion, 0
	.set _ZN7rocprim17ROCPRIM_400000_NS6detail17trampoline_kernelINS0_14default_configENS1_36segmented_radix_sort_config_selectorIhlEEZNS1_25segmented_radix_sort_implIS3_Lb1EPKhPhPKlPlN2at6native12_GLOBAL__N_18offset_tEEE10hipError_tPvRmT1_PNSt15iterator_traitsISK_E10value_typeET2_T3_PNSL_ISQ_E10value_typeET4_jRbjT5_SW_jjP12ihipStream_tbEUlT_E2_NS1_11comp_targetILNS1_3genE0ELNS1_11target_archE4294967295ELNS1_3gpuE0ELNS1_3repE0EEENS1_30default_config_static_selectorELNS0_4arch9wavefront6targetE1EEEvSK_.has_indirect_call, 0
	.section	.AMDGPU.csdata,"",@progbits
; Kernel info:
; codeLenInByte = 0
; TotalNumSgprs: 4
; NumVgprs: 0
; ScratchSize: 0
; MemoryBound: 0
; FloatMode: 240
; IeeeMode: 1
; LDSByteSize: 0 bytes/workgroup (compile time only)
; SGPRBlocks: 0
; VGPRBlocks: 0
; NumSGPRsForWavesPerEU: 4
; NumVGPRsForWavesPerEU: 1
; Occupancy: 10
; WaveLimiterHint : 0
; COMPUTE_PGM_RSRC2:SCRATCH_EN: 0
; COMPUTE_PGM_RSRC2:USER_SGPR: 6
; COMPUTE_PGM_RSRC2:TRAP_HANDLER: 0
; COMPUTE_PGM_RSRC2:TGID_X_EN: 1
; COMPUTE_PGM_RSRC2:TGID_Y_EN: 0
; COMPUTE_PGM_RSRC2:TGID_Z_EN: 0
; COMPUTE_PGM_RSRC2:TIDIG_COMP_CNT: 0
	.section	.text._ZN7rocprim17ROCPRIM_400000_NS6detail17trampoline_kernelINS0_14default_configENS1_36segmented_radix_sort_config_selectorIhlEEZNS1_25segmented_radix_sort_implIS3_Lb1EPKhPhPKlPlN2at6native12_GLOBAL__N_18offset_tEEE10hipError_tPvRmT1_PNSt15iterator_traitsISK_E10value_typeET2_T3_PNSL_ISQ_E10value_typeET4_jRbjT5_SW_jjP12ihipStream_tbEUlT_E2_NS1_11comp_targetILNS1_3genE5ELNS1_11target_archE942ELNS1_3gpuE9ELNS1_3repE0EEENS1_30default_config_static_selectorELNS0_4arch9wavefront6targetE1EEEvSK_,"axG",@progbits,_ZN7rocprim17ROCPRIM_400000_NS6detail17trampoline_kernelINS0_14default_configENS1_36segmented_radix_sort_config_selectorIhlEEZNS1_25segmented_radix_sort_implIS3_Lb1EPKhPhPKlPlN2at6native12_GLOBAL__N_18offset_tEEE10hipError_tPvRmT1_PNSt15iterator_traitsISK_E10value_typeET2_T3_PNSL_ISQ_E10value_typeET4_jRbjT5_SW_jjP12ihipStream_tbEUlT_E2_NS1_11comp_targetILNS1_3genE5ELNS1_11target_archE942ELNS1_3gpuE9ELNS1_3repE0EEENS1_30default_config_static_selectorELNS0_4arch9wavefront6targetE1EEEvSK_,comdat
	.globl	_ZN7rocprim17ROCPRIM_400000_NS6detail17trampoline_kernelINS0_14default_configENS1_36segmented_radix_sort_config_selectorIhlEEZNS1_25segmented_radix_sort_implIS3_Lb1EPKhPhPKlPlN2at6native12_GLOBAL__N_18offset_tEEE10hipError_tPvRmT1_PNSt15iterator_traitsISK_E10value_typeET2_T3_PNSL_ISQ_E10value_typeET4_jRbjT5_SW_jjP12ihipStream_tbEUlT_E2_NS1_11comp_targetILNS1_3genE5ELNS1_11target_archE942ELNS1_3gpuE9ELNS1_3repE0EEENS1_30default_config_static_selectorELNS0_4arch9wavefront6targetE1EEEvSK_ ; -- Begin function _ZN7rocprim17ROCPRIM_400000_NS6detail17trampoline_kernelINS0_14default_configENS1_36segmented_radix_sort_config_selectorIhlEEZNS1_25segmented_radix_sort_implIS3_Lb1EPKhPhPKlPlN2at6native12_GLOBAL__N_18offset_tEEE10hipError_tPvRmT1_PNSt15iterator_traitsISK_E10value_typeET2_T3_PNSL_ISQ_E10value_typeET4_jRbjT5_SW_jjP12ihipStream_tbEUlT_E2_NS1_11comp_targetILNS1_3genE5ELNS1_11target_archE942ELNS1_3gpuE9ELNS1_3repE0EEENS1_30default_config_static_selectorELNS0_4arch9wavefront6targetE1EEEvSK_
	.p2align	8
	.type	_ZN7rocprim17ROCPRIM_400000_NS6detail17trampoline_kernelINS0_14default_configENS1_36segmented_radix_sort_config_selectorIhlEEZNS1_25segmented_radix_sort_implIS3_Lb1EPKhPhPKlPlN2at6native12_GLOBAL__N_18offset_tEEE10hipError_tPvRmT1_PNSt15iterator_traitsISK_E10value_typeET2_T3_PNSL_ISQ_E10value_typeET4_jRbjT5_SW_jjP12ihipStream_tbEUlT_E2_NS1_11comp_targetILNS1_3genE5ELNS1_11target_archE942ELNS1_3gpuE9ELNS1_3repE0EEENS1_30default_config_static_selectorELNS0_4arch9wavefront6targetE1EEEvSK_,@function
_ZN7rocprim17ROCPRIM_400000_NS6detail17trampoline_kernelINS0_14default_configENS1_36segmented_radix_sort_config_selectorIhlEEZNS1_25segmented_radix_sort_implIS3_Lb1EPKhPhPKlPlN2at6native12_GLOBAL__N_18offset_tEEE10hipError_tPvRmT1_PNSt15iterator_traitsISK_E10value_typeET2_T3_PNSL_ISQ_E10value_typeET4_jRbjT5_SW_jjP12ihipStream_tbEUlT_E2_NS1_11comp_targetILNS1_3genE5ELNS1_11target_archE942ELNS1_3gpuE9ELNS1_3repE0EEENS1_30default_config_static_selectorELNS0_4arch9wavefront6targetE1EEEvSK_: ; @_ZN7rocprim17ROCPRIM_400000_NS6detail17trampoline_kernelINS0_14default_configENS1_36segmented_radix_sort_config_selectorIhlEEZNS1_25segmented_radix_sort_implIS3_Lb1EPKhPhPKlPlN2at6native12_GLOBAL__N_18offset_tEEE10hipError_tPvRmT1_PNSt15iterator_traitsISK_E10value_typeET2_T3_PNSL_ISQ_E10value_typeET4_jRbjT5_SW_jjP12ihipStream_tbEUlT_E2_NS1_11comp_targetILNS1_3genE5ELNS1_11target_archE942ELNS1_3gpuE9ELNS1_3repE0EEENS1_30default_config_static_selectorELNS0_4arch9wavefront6targetE1EEEvSK_
; %bb.0:
	.section	.rodata,"a",@progbits
	.p2align	6, 0x0
	.amdhsa_kernel _ZN7rocprim17ROCPRIM_400000_NS6detail17trampoline_kernelINS0_14default_configENS1_36segmented_radix_sort_config_selectorIhlEEZNS1_25segmented_radix_sort_implIS3_Lb1EPKhPhPKlPlN2at6native12_GLOBAL__N_18offset_tEEE10hipError_tPvRmT1_PNSt15iterator_traitsISK_E10value_typeET2_T3_PNSL_ISQ_E10value_typeET4_jRbjT5_SW_jjP12ihipStream_tbEUlT_E2_NS1_11comp_targetILNS1_3genE5ELNS1_11target_archE942ELNS1_3gpuE9ELNS1_3repE0EEENS1_30default_config_static_selectorELNS0_4arch9wavefront6targetE1EEEvSK_
		.amdhsa_group_segment_fixed_size 0
		.amdhsa_private_segment_fixed_size 0
		.amdhsa_kernarg_size 80
		.amdhsa_user_sgpr_count 6
		.amdhsa_user_sgpr_private_segment_buffer 1
		.amdhsa_user_sgpr_dispatch_ptr 0
		.amdhsa_user_sgpr_queue_ptr 0
		.amdhsa_user_sgpr_kernarg_segment_ptr 1
		.amdhsa_user_sgpr_dispatch_id 0
		.amdhsa_user_sgpr_flat_scratch_init 0
		.amdhsa_user_sgpr_private_segment_size 0
		.amdhsa_uses_dynamic_stack 0
		.amdhsa_system_sgpr_private_segment_wavefront_offset 0
		.amdhsa_system_sgpr_workgroup_id_x 1
		.amdhsa_system_sgpr_workgroup_id_y 0
		.amdhsa_system_sgpr_workgroup_id_z 0
		.amdhsa_system_sgpr_workgroup_info 0
		.amdhsa_system_vgpr_workitem_id 0
		.amdhsa_next_free_vgpr 1
		.amdhsa_next_free_sgpr 0
		.amdhsa_reserve_vcc 0
		.amdhsa_reserve_flat_scratch 0
		.amdhsa_float_round_mode_32 0
		.amdhsa_float_round_mode_16_64 0
		.amdhsa_float_denorm_mode_32 3
		.amdhsa_float_denorm_mode_16_64 3
		.amdhsa_dx10_clamp 1
		.amdhsa_ieee_mode 1
		.amdhsa_fp16_overflow 0
		.amdhsa_exception_fp_ieee_invalid_op 0
		.amdhsa_exception_fp_denorm_src 0
		.amdhsa_exception_fp_ieee_div_zero 0
		.amdhsa_exception_fp_ieee_overflow 0
		.amdhsa_exception_fp_ieee_underflow 0
		.amdhsa_exception_fp_ieee_inexact 0
		.amdhsa_exception_int_div_zero 0
	.end_amdhsa_kernel
	.section	.text._ZN7rocprim17ROCPRIM_400000_NS6detail17trampoline_kernelINS0_14default_configENS1_36segmented_radix_sort_config_selectorIhlEEZNS1_25segmented_radix_sort_implIS3_Lb1EPKhPhPKlPlN2at6native12_GLOBAL__N_18offset_tEEE10hipError_tPvRmT1_PNSt15iterator_traitsISK_E10value_typeET2_T3_PNSL_ISQ_E10value_typeET4_jRbjT5_SW_jjP12ihipStream_tbEUlT_E2_NS1_11comp_targetILNS1_3genE5ELNS1_11target_archE942ELNS1_3gpuE9ELNS1_3repE0EEENS1_30default_config_static_selectorELNS0_4arch9wavefront6targetE1EEEvSK_,"axG",@progbits,_ZN7rocprim17ROCPRIM_400000_NS6detail17trampoline_kernelINS0_14default_configENS1_36segmented_radix_sort_config_selectorIhlEEZNS1_25segmented_radix_sort_implIS3_Lb1EPKhPhPKlPlN2at6native12_GLOBAL__N_18offset_tEEE10hipError_tPvRmT1_PNSt15iterator_traitsISK_E10value_typeET2_T3_PNSL_ISQ_E10value_typeET4_jRbjT5_SW_jjP12ihipStream_tbEUlT_E2_NS1_11comp_targetILNS1_3genE5ELNS1_11target_archE942ELNS1_3gpuE9ELNS1_3repE0EEENS1_30default_config_static_selectorELNS0_4arch9wavefront6targetE1EEEvSK_,comdat
.Lfunc_end114:
	.size	_ZN7rocprim17ROCPRIM_400000_NS6detail17trampoline_kernelINS0_14default_configENS1_36segmented_radix_sort_config_selectorIhlEEZNS1_25segmented_radix_sort_implIS3_Lb1EPKhPhPKlPlN2at6native12_GLOBAL__N_18offset_tEEE10hipError_tPvRmT1_PNSt15iterator_traitsISK_E10value_typeET2_T3_PNSL_ISQ_E10value_typeET4_jRbjT5_SW_jjP12ihipStream_tbEUlT_E2_NS1_11comp_targetILNS1_3genE5ELNS1_11target_archE942ELNS1_3gpuE9ELNS1_3repE0EEENS1_30default_config_static_selectorELNS0_4arch9wavefront6targetE1EEEvSK_, .Lfunc_end114-_ZN7rocprim17ROCPRIM_400000_NS6detail17trampoline_kernelINS0_14default_configENS1_36segmented_radix_sort_config_selectorIhlEEZNS1_25segmented_radix_sort_implIS3_Lb1EPKhPhPKlPlN2at6native12_GLOBAL__N_18offset_tEEE10hipError_tPvRmT1_PNSt15iterator_traitsISK_E10value_typeET2_T3_PNSL_ISQ_E10value_typeET4_jRbjT5_SW_jjP12ihipStream_tbEUlT_E2_NS1_11comp_targetILNS1_3genE5ELNS1_11target_archE942ELNS1_3gpuE9ELNS1_3repE0EEENS1_30default_config_static_selectorELNS0_4arch9wavefront6targetE1EEEvSK_
                                        ; -- End function
	.set _ZN7rocprim17ROCPRIM_400000_NS6detail17trampoline_kernelINS0_14default_configENS1_36segmented_radix_sort_config_selectorIhlEEZNS1_25segmented_radix_sort_implIS3_Lb1EPKhPhPKlPlN2at6native12_GLOBAL__N_18offset_tEEE10hipError_tPvRmT1_PNSt15iterator_traitsISK_E10value_typeET2_T3_PNSL_ISQ_E10value_typeET4_jRbjT5_SW_jjP12ihipStream_tbEUlT_E2_NS1_11comp_targetILNS1_3genE5ELNS1_11target_archE942ELNS1_3gpuE9ELNS1_3repE0EEENS1_30default_config_static_selectorELNS0_4arch9wavefront6targetE1EEEvSK_.num_vgpr, 0
	.set _ZN7rocprim17ROCPRIM_400000_NS6detail17trampoline_kernelINS0_14default_configENS1_36segmented_radix_sort_config_selectorIhlEEZNS1_25segmented_radix_sort_implIS3_Lb1EPKhPhPKlPlN2at6native12_GLOBAL__N_18offset_tEEE10hipError_tPvRmT1_PNSt15iterator_traitsISK_E10value_typeET2_T3_PNSL_ISQ_E10value_typeET4_jRbjT5_SW_jjP12ihipStream_tbEUlT_E2_NS1_11comp_targetILNS1_3genE5ELNS1_11target_archE942ELNS1_3gpuE9ELNS1_3repE0EEENS1_30default_config_static_selectorELNS0_4arch9wavefront6targetE1EEEvSK_.num_agpr, 0
	.set _ZN7rocprim17ROCPRIM_400000_NS6detail17trampoline_kernelINS0_14default_configENS1_36segmented_radix_sort_config_selectorIhlEEZNS1_25segmented_radix_sort_implIS3_Lb1EPKhPhPKlPlN2at6native12_GLOBAL__N_18offset_tEEE10hipError_tPvRmT1_PNSt15iterator_traitsISK_E10value_typeET2_T3_PNSL_ISQ_E10value_typeET4_jRbjT5_SW_jjP12ihipStream_tbEUlT_E2_NS1_11comp_targetILNS1_3genE5ELNS1_11target_archE942ELNS1_3gpuE9ELNS1_3repE0EEENS1_30default_config_static_selectorELNS0_4arch9wavefront6targetE1EEEvSK_.numbered_sgpr, 0
	.set _ZN7rocprim17ROCPRIM_400000_NS6detail17trampoline_kernelINS0_14default_configENS1_36segmented_radix_sort_config_selectorIhlEEZNS1_25segmented_radix_sort_implIS3_Lb1EPKhPhPKlPlN2at6native12_GLOBAL__N_18offset_tEEE10hipError_tPvRmT1_PNSt15iterator_traitsISK_E10value_typeET2_T3_PNSL_ISQ_E10value_typeET4_jRbjT5_SW_jjP12ihipStream_tbEUlT_E2_NS1_11comp_targetILNS1_3genE5ELNS1_11target_archE942ELNS1_3gpuE9ELNS1_3repE0EEENS1_30default_config_static_selectorELNS0_4arch9wavefront6targetE1EEEvSK_.num_named_barrier, 0
	.set _ZN7rocprim17ROCPRIM_400000_NS6detail17trampoline_kernelINS0_14default_configENS1_36segmented_radix_sort_config_selectorIhlEEZNS1_25segmented_radix_sort_implIS3_Lb1EPKhPhPKlPlN2at6native12_GLOBAL__N_18offset_tEEE10hipError_tPvRmT1_PNSt15iterator_traitsISK_E10value_typeET2_T3_PNSL_ISQ_E10value_typeET4_jRbjT5_SW_jjP12ihipStream_tbEUlT_E2_NS1_11comp_targetILNS1_3genE5ELNS1_11target_archE942ELNS1_3gpuE9ELNS1_3repE0EEENS1_30default_config_static_selectorELNS0_4arch9wavefront6targetE1EEEvSK_.private_seg_size, 0
	.set _ZN7rocprim17ROCPRIM_400000_NS6detail17trampoline_kernelINS0_14default_configENS1_36segmented_radix_sort_config_selectorIhlEEZNS1_25segmented_radix_sort_implIS3_Lb1EPKhPhPKlPlN2at6native12_GLOBAL__N_18offset_tEEE10hipError_tPvRmT1_PNSt15iterator_traitsISK_E10value_typeET2_T3_PNSL_ISQ_E10value_typeET4_jRbjT5_SW_jjP12ihipStream_tbEUlT_E2_NS1_11comp_targetILNS1_3genE5ELNS1_11target_archE942ELNS1_3gpuE9ELNS1_3repE0EEENS1_30default_config_static_selectorELNS0_4arch9wavefront6targetE1EEEvSK_.uses_vcc, 0
	.set _ZN7rocprim17ROCPRIM_400000_NS6detail17trampoline_kernelINS0_14default_configENS1_36segmented_radix_sort_config_selectorIhlEEZNS1_25segmented_radix_sort_implIS3_Lb1EPKhPhPKlPlN2at6native12_GLOBAL__N_18offset_tEEE10hipError_tPvRmT1_PNSt15iterator_traitsISK_E10value_typeET2_T3_PNSL_ISQ_E10value_typeET4_jRbjT5_SW_jjP12ihipStream_tbEUlT_E2_NS1_11comp_targetILNS1_3genE5ELNS1_11target_archE942ELNS1_3gpuE9ELNS1_3repE0EEENS1_30default_config_static_selectorELNS0_4arch9wavefront6targetE1EEEvSK_.uses_flat_scratch, 0
	.set _ZN7rocprim17ROCPRIM_400000_NS6detail17trampoline_kernelINS0_14default_configENS1_36segmented_radix_sort_config_selectorIhlEEZNS1_25segmented_radix_sort_implIS3_Lb1EPKhPhPKlPlN2at6native12_GLOBAL__N_18offset_tEEE10hipError_tPvRmT1_PNSt15iterator_traitsISK_E10value_typeET2_T3_PNSL_ISQ_E10value_typeET4_jRbjT5_SW_jjP12ihipStream_tbEUlT_E2_NS1_11comp_targetILNS1_3genE5ELNS1_11target_archE942ELNS1_3gpuE9ELNS1_3repE0EEENS1_30default_config_static_selectorELNS0_4arch9wavefront6targetE1EEEvSK_.has_dyn_sized_stack, 0
	.set _ZN7rocprim17ROCPRIM_400000_NS6detail17trampoline_kernelINS0_14default_configENS1_36segmented_radix_sort_config_selectorIhlEEZNS1_25segmented_radix_sort_implIS3_Lb1EPKhPhPKlPlN2at6native12_GLOBAL__N_18offset_tEEE10hipError_tPvRmT1_PNSt15iterator_traitsISK_E10value_typeET2_T3_PNSL_ISQ_E10value_typeET4_jRbjT5_SW_jjP12ihipStream_tbEUlT_E2_NS1_11comp_targetILNS1_3genE5ELNS1_11target_archE942ELNS1_3gpuE9ELNS1_3repE0EEENS1_30default_config_static_selectorELNS0_4arch9wavefront6targetE1EEEvSK_.has_recursion, 0
	.set _ZN7rocprim17ROCPRIM_400000_NS6detail17trampoline_kernelINS0_14default_configENS1_36segmented_radix_sort_config_selectorIhlEEZNS1_25segmented_radix_sort_implIS3_Lb1EPKhPhPKlPlN2at6native12_GLOBAL__N_18offset_tEEE10hipError_tPvRmT1_PNSt15iterator_traitsISK_E10value_typeET2_T3_PNSL_ISQ_E10value_typeET4_jRbjT5_SW_jjP12ihipStream_tbEUlT_E2_NS1_11comp_targetILNS1_3genE5ELNS1_11target_archE942ELNS1_3gpuE9ELNS1_3repE0EEENS1_30default_config_static_selectorELNS0_4arch9wavefront6targetE1EEEvSK_.has_indirect_call, 0
	.section	.AMDGPU.csdata,"",@progbits
; Kernel info:
; codeLenInByte = 0
; TotalNumSgprs: 4
; NumVgprs: 0
; ScratchSize: 0
; MemoryBound: 0
; FloatMode: 240
; IeeeMode: 1
; LDSByteSize: 0 bytes/workgroup (compile time only)
; SGPRBlocks: 0
; VGPRBlocks: 0
; NumSGPRsForWavesPerEU: 4
; NumVGPRsForWavesPerEU: 1
; Occupancy: 10
; WaveLimiterHint : 0
; COMPUTE_PGM_RSRC2:SCRATCH_EN: 0
; COMPUTE_PGM_RSRC2:USER_SGPR: 6
; COMPUTE_PGM_RSRC2:TRAP_HANDLER: 0
; COMPUTE_PGM_RSRC2:TGID_X_EN: 1
; COMPUTE_PGM_RSRC2:TGID_Y_EN: 0
; COMPUTE_PGM_RSRC2:TGID_Z_EN: 0
; COMPUTE_PGM_RSRC2:TIDIG_COMP_CNT: 0
	.section	.text._ZN7rocprim17ROCPRIM_400000_NS6detail17trampoline_kernelINS0_14default_configENS1_36segmented_radix_sort_config_selectorIhlEEZNS1_25segmented_radix_sort_implIS3_Lb1EPKhPhPKlPlN2at6native12_GLOBAL__N_18offset_tEEE10hipError_tPvRmT1_PNSt15iterator_traitsISK_E10value_typeET2_T3_PNSL_ISQ_E10value_typeET4_jRbjT5_SW_jjP12ihipStream_tbEUlT_E2_NS1_11comp_targetILNS1_3genE4ELNS1_11target_archE910ELNS1_3gpuE8ELNS1_3repE0EEENS1_30default_config_static_selectorELNS0_4arch9wavefront6targetE1EEEvSK_,"axG",@progbits,_ZN7rocprim17ROCPRIM_400000_NS6detail17trampoline_kernelINS0_14default_configENS1_36segmented_radix_sort_config_selectorIhlEEZNS1_25segmented_radix_sort_implIS3_Lb1EPKhPhPKlPlN2at6native12_GLOBAL__N_18offset_tEEE10hipError_tPvRmT1_PNSt15iterator_traitsISK_E10value_typeET2_T3_PNSL_ISQ_E10value_typeET4_jRbjT5_SW_jjP12ihipStream_tbEUlT_E2_NS1_11comp_targetILNS1_3genE4ELNS1_11target_archE910ELNS1_3gpuE8ELNS1_3repE0EEENS1_30default_config_static_selectorELNS0_4arch9wavefront6targetE1EEEvSK_,comdat
	.globl	_ZN7rocprim17ROCPRIM_400000_NS6detail17trampoline_kernelINS0_14default_configENS1_36segmented_radix_sort_config_selectorIhlEEZNS1_25segmented_radix_sort_implIS3_Lb1EPKhPhPKlPlN2at6native12_GLOBAL__N_18offset_tEEE10hipError_tPvRmT1_PNSt15iterator_traitsISK_E10value_typeET2_T3_PNSL_ISQ_E10value_typeET4_jRbjT5_SW_jjP12ihipStream_tbEUlT_E2_NS1_11comp_targetILNS1_3genE4ELNS1_11target_archE910ELNS1_3gpuE8ELNS1_3repE0EEENS1_30default_config_static_selectorELNS0_4arch9wavefront6targetE1EEEvSK_ ; -- Begin function _ZN7rocprim17ROCPRIM_400000_NS6detail17trampoline_kernelINS0_14default_configENS1_36segmented_radix_sort_config_selectorIhlEEZNS1_25segmented_radix_sort_implIS3_Lb1EPKhPhPKlPlN2at6native12_GLOBAL__N_18offset_tEEE10hipError_tPvRmT1_PNSt15iterator_traitsISK_E10value_typeET2_T3_PNSL_ISQ_E10value_typeET4_jRbjT5_SW_jjP12ihipStream_tbEUlT_E2_NS1_11comp_targetILNS1_3genE4ELNS1_11target_archE910ELNS1_3gpuE8ELNS1_3repE0EEENS1_30default_config_static_selectorELNS0_4arch9wavefront6targetE1EEEvSK_
	.p2align	8
	.type	_ZN7rocprim17ROCPRIM_400000_NS6detail17trampoline_kernelINS0_14default_configENS1_36segmented_radix_sort_config_selectorIhlEEZNS1_25segmented_radix_sort_implIS3_Lb1EPKhPhPKlPlN2at6native12_GLOBAL__N_18offset_tEEE10hipError_tPvRmT1_PNSt15iterator_traitsISK_E10value_typeET2_T3_PNSL_ISQ_E10value_typeET4_jRbjT5_SW_jjP12ihipStream_tbEUlT_E2_NS1_11comp_targetILNS1_3genE4ELNS1_11target_archE910ELNS1_3gpuE8ELNS1_3repE0EEENS1_30default_config_static_selectorELNS0_4arch9wavefront6targetE1EEEvSK_,@function
_ZN7rocprim17ROCPRIM_400000_NS6detail17trampoline_kernelINS0_14default_configENS1_36segmented_radix_sort_config_selectorIhlEEZNS1_25segmented_radix_sort_implIS3_Lb1EPKhPhPKlPlN2at6native12_GLOBAL__N_18offset_tEEE10hipError_tPvRmT1_PNSt15iterator_traitsISK_E10value_typeET2_T3_PNSL_ISQ_E10value_typeET4_jRbjT5_SW_jjP12ihipStream_tbEUlT_E2_NS1_11comp_targetILNS1_3genE4ELNS1_11target_archE910ELNS1_3gpuE8ELNS1_3repE0EEENS1_30default_config_static_selectorELNS0_4arch9wavefront6targetE1EEEvSK_: ; @_ZN7rocprim17ROCPRIM_400000_NS6detail17trampoline_kernelINS0_14default_configENS1_36segmented_radix_sort_config_selectorIhlEEZNS1_25segmented_radix_sort_implIS3_Lb1EPKhPhPKlPlN2at6native12_GLOBAL__N_18offset_tEEE10hipError_tPvRmT1_PNSt15iterator_traitsISK_E10value_typeET2_T3_PNSL_ISQ_E10value_typeET4_jRbjT5_SW_jjP12ihipStream_tbEUlT_E2_NS1_11comp_targetILNS1_3genE4ELNS1_11target_archE910ELNS1_3gpuE8ELNS1_3repE0EEENS1_30default_config_static_selectorELNS0_4arch9wavefront6targetE1EEEvSK_
; %bb.0:
	.section	.rodata,"a",@progbits
	.p2align	6, 0x0
	.amdhsa_kernel _ZN7rocprim17ROCPRIM_400000_NS6detail17trampoline_kernelINS0_14default_configENS1_36segmented_radix_sort_config_selectorIhlEEZNS1_25segmented_radix_sort_implIS3_Lb1EPKhPhPKlPlN2at6native12_GLOBAL__N_18offset_tEEE10hipError_tPvRmT1_PNSt15iterator_traitsISK_E10value_typeET2_T3_PNSL_ISQ_E10value_typeET4_jRbjT5_SW_jjP12ihipStream_tbEUlT_E2_NS1_11comp_targetILNS1_3genE4ELNS1_11target_archE910ELNS1_3gpuE8ELNS1_3repE0EEENS1_30default_config_static_selectorELNS0_4arch9wavefront6targetE1EEEvSK_
		.amdhsa_group_segment_fixed_size 0
		.amdhsa_private_segment_fixed_size 0
		.amdhsa_kernarg_size 80
		.amdhsa_user_sgpr_count 6
		.amdhsa_user_sgpr_private_segment_buffer 1
		.amdhsa_user_sgpr_dispatch_ptr 0
		.amdhsa_user_sgpr_queue_ptr 0
		.amdhsa_user_sgpr_kernarg_segment_ptr 1
		.amdhsa_user_sgpr_dispatch_id 0
		.amdhsa_user_sgpr_flat_scratch_init 0
		.amdhsa_user_sgpr_private_segment_size 0
		.amdhsa_uses_dynamic_stack 0
		.amdhsa_system_sgpr_private_segment_wavefront_offset 0
		.amdhsa_system_sgpr_workgroup_id_x 1
		.amdhsa_system_sgpr_workgroup_id_y 0
		.amdhsa_system_sgpr_workgroup_id_z 0
		.amdhsa_system_sgpr_workgroup_info 0
		.amdhsa_system_vgpr_workitem_id 0
		.amdhsa_next_free_vgpr 1
		.amdhsa_next_free_sgpr 0
		.amdhsa_reserve_vcc 0
		.amdhsa_reserve_flat_scratch 0
		.amdhsa_float_round_mode_32 0
		.amdhsa_float_round_mode_16_64 0
		.amdhsa_float_denorm_mode_32 3
		.amdhsa_float_denorm_mode_16_64 3
		.amdhsa_dx10_clamp 1
		.amdhsa_ieee_mode 1
		.amdhsa_fp16_overflow 0
		.amdhsa_exception_fp_ieee_invalid_op 0
		.amdhsa_exception_fp_denorm_src 0
		.amdhsa_exception_fp_ieee_div_zero 0
		.amdhsa_exception_fp_ieee_overflow 0
		.amdhsa_exception_fp_ieee_underflow 0
		.amdhsa_exception_fp_ieee_inexact 0
		.amdhsa_exception_int_div_zero 0
	.end_amdhsa_kernel
	.section	.text._ZN7rocprim17ROCPRIM_400000_NS6detail17trampoline_kernelINS0_14default_configENS1_36segmented_radix_sort_config_selectorIhlEEZNS1_25segmented_radix_sort_implIS3_Lb1EPKhPhPKlPlN2at6native12_GLOBAL__N_18offset_tEEE10hipError_tPvRmT1_PNSt15iterator_traitsISK_E10value_typeET2_T3_PNSL_ISQ_E10value_typeET4_jRbjT5_SW_jjP12ihipStream_tbEUlT_E2_NS1_11comp_targetILNS1_3genE4ELNS1_11target_archE910ELNS1_3gpuE8ELNS1_3repE0EEENS1_30default_config_static_selectorELNS0_4arch9wavefront6targetE1EEEvSK_,"axG",@progbits,_ZN7rocprim17ROCPRIM_400000_NS6detail17trampoline_kernelINS0_14default_configENS1_36segmented_radix_sort_config_selectorIhlEEZNS1_25segmented_radix_sort_implIS3_Lb1EPKhPhPKlPlN2at6native12_GLOBAL__N_18offset_tEEE10hipError_tPvRmT1_PNSt15iterator_traitsISK_E10value_typeET2_T3_PNSL_ISQ_E10value_typeET4_jRbjT5_SW_jjP12ihipStream_tbEUlT_E2_NS1_11comp_targetILNS1_3genE4ELNS1_11target_archE910ELNS1_3gpuE8ELNS1_3repE0EEENS1_30default_config_static_selectorELNS0_4arch9wavefront6targetE1EEEvSK_,comdat
.Lfunc_end115:
	.size	_ZN7rocprim17ROCPRIM_400000_NS6detail17trampoline_kernelINS0_14default_configENS1_36segmented_radix_sort_config_selectorIhlEEZNS1_25segmented_radix_sort_implIS3_Lb1EPKhPhPKlPlN2at6native12_GLOBAL__N_18offset_tEEE10hipError_tPvRmT1_PNSt15iterator_traitsISK_E10value_typeET2_T3_PNSL_ISQ_E10value_typeET4_jRbjT5_SW_jjP12ihipStream_tbEUlT_E2_NS1_11comp_targetILNS1_3genE4ELNS1_11target_archE910ELNS1_3gpuE8ELNS1_3repE0EEENS1_30default_config_static_selectorELNS0_4arch9wavefront6targetE1EEEvSK_, .Lfunc_end115-_ZN7rocprim17ROCPRIM_400000_NS6detail17trampoline_kernelINS0_14default_configENS1_36segmented_radix_sort_config_selectorIhlEEZNS1_25segmented_radix_sort_implIS3_Lb1EPKhPhPKlPlN2at6native12_GLOBAL__N_18offset_tEEE10hipError_tPvRmT1_PNSt15iterator_traitsISK_E10value_typeET2_T3_PNSL_ISQ_E10value_typeET4_jRbjT5_SW_jjP12ihipStream_tbEUlT_E2_NS1_11comp_targetILNS1_3genE4ELNS1_11target_archE910ELNS1_3gpuE8ELNS1_3repE0EEENS1_30default_config_static_selectorELNS0_4arch9wavefront6targetE1EEEvSK_
                                        ; -- End function
	.set _ZN7rocprim17ROCPRIM_400000_NS6detail17trampoline_kernelINS0_14default_configENS1_36segmented_radix_sort_config_selectorIhlEEZNS1_25segmented_radix_sort_implIS3_Lb1EPKhPhPKlPlN2at6native12_GLOBAL__N_18offset_tEEE10hipError_tPvRmT1_PNSt15iterator_traitsISK_E10value_typeET2_T3_PNSL_ISQ_E10value_typeET4_jRbjT5_SW_jjP12ihipStream_tbEUlT_E2_NS1_11comp_targetILNS1_3genE4ELNS1_11target_archE910ELNS1_3gpuE8ELNS1_3repE0EEENS1_30default_config_static_selectorELNS0_4arch9wavefront6targetE1EEEvSK_.num_vgpr, 0
	.set _ZN7rocprim17ROCPRIM_400000_NS6detail17trampoline_kernelINS0_14default_configENS1_36segmented_radix_sort_config_selectorIhlEEZNS1_25segmented_radix_sort_implIS3_Lb1EPKhPhPKlPlN2at6native12_GLOBAL__N_18offset_tEEE10hipError_tPvRmT1_PNSt15iterator_traitsISK_E10value_typeET2_T3_PNSL_ISQ_E10value_typeET4_jRbjT5_SW_jjP12ihipStream_tbEUlT_E2_NS1_11comp_targetILNS1_3genE4ELNS1_11target_archE910ELNS1_3gpuE8ELNS1_3repE0EEENS1_30default_config_static_selectorELNS0_4arch9wavefront6targetE1EEEvSK_.num_agpr, 0
	.set _ZN7rocprim17ROCPRIM_400000_NS6detail17trampoline_kernelINS0_14default_configENS1_36segmented_radix_sort_config_selectorIhlEEZNS1_25segmented_radix_sort_implIS3_Lb1EPKhPhPKlPlN2at6native12_GLOBAL__N_18offset_tEEE10hipError_tPvRmT1_PNSt15iterator_traitsISK_E10value_typeET2_T3_PNSL_ISQ_E10value_typeET4_jRbjT5_SW_jjP12ihipStream_tbEUlT_E2_NS1_11comp_targetILNS1_3genE4ELNS1_11target_archE910ELNS1_3gpuE8ELNS1_3repE0EEENS1_30default_config_static_selectorELNS0_4arch9wavefront6targetE1EEEvSK_.numbered_sgpr, 0
	.set _ZN7rocprim17ROCPRIM_400000_NS6detail17trampoline_kernelINS0_14default_configENS1_36segmented_radix_sort_config_selectorIhlEEZNS1_25segmented_radix_sort_implIS3_Lb1EPKhPhPKlPlN2at6native12_GLOBAL__N_18offset_tEEE10hipError_tPvRmT1_PNSt15iterator_traitsISK_E10value_typeET2_T3_PNSL_ISQ_E10value_typeET4_jRbjT5_SW_jjP12ihipStream_tbEUlT_E2_NS1_11comp_targetILNS1_3genE4ELNS1_11target_archE910ELNS1_3gpuE8ELNS1_3repE0EEENS1_30default_config_static_selectorELNS0_4arch9wavefront6targetE1EEEvSK_.num_named_barrier, 0
	.set _ZN7rocprim17ROCPRIM_400000_NS6detail17trampoline_kernelINS0_14default_configENS1_36segmented_radix_sort_config_selectorIhlEEZNS1_25segmented_radix_sort_implIS3_Lb1EPKhPhPKlPlN2at6native12_GLOBAL__N_18offset_tEEE10hipError_tPvRmT1_PNSt15iterator_traitsISK_E10value_typeET2_T3_PNSL_ISQ_E10value_typeET4_jRbjT5_SW_jjP12ihipStream_tbEUlT_E2_NS1_11comp_targetILNS1_3genE4ELNS1_11target_archE910ELNS1_3gpuE8ELNS1_3repE0EEENS1_30default_config_static_selectorELNS0_4arch9wavefront6targetE1EEEvSK_.private_seg_size, 0
	.set _ZN7rocprim17ROCPRIM_400000_NS6detail17trampoline_kernelINS0_14default_configENS1_36segmented_radix_sort_config_selectorIhlEEZNS1_25segmented_radix_sort_implIS3_Lb1EPKhPhPKlPlN2at6native12_GLOBAL__N_18offset_tEEE10hipError_tPvRmT1_PNSt15iterator_traitsISK_E10value_typeET2_T3_PNSL_ISQ_E10value_typeET4_jRbjT5_SW_jjP12ihipStream_tbEUlT_E2_NS1_11comp_targetILNS1_3genE4ELNS1_11target_archE910ELNS1_3gpuE8ELNS1_3repE0EEENS1_30default_config_static_selectorELNS0_4arch9wavefront6targetE1EEEvSK_.uses_vcc, 0
	.set _ZN7rocprim17ROCPRIM_400000_NS6detail17trampoline_kernelINS0_14default_configENS1_36segmented_radix_sort_config_selectorIhlEEZNS1_25segmented_radix_sort_implIS3_Lb1EPKhPhPKlPlN2at6native12_GLOBAL__N_18offset_tEEE10hipError_tPvRmT1_PNSt15iterator_traitsISK_E10value_typeET2_T3_PNSL_ISQ_E10value_typeET4_jRbjT5_SW_jjP12ihipStream_tbEUlT_E2_NS1_11comp_targetILNS1_3genE4ELNS1_11target_archE910ELNS1_3gpuE8ELNS1_3repE0EEENS1_30default_config_static_selectorELNS0_4arch9wavefront6targetE1EEEvSK_.uses_flat_scratch, 0
	.set _ZN7rocprim17ROCPRIM_400000_NS6detail17trampoline_kernelINS0_14default_configENS1_36segmented_radix_sort_config_selectorIhlEEZNS1_25segmented_radix_sort_implIS3_Lb1EPKhPhPKlPlN2at6native12_GLOBAL__N_18offset_tEEE10hipError_tPvRmT1_PNSt15iterator_traitsISK_E10value_typeET2_T3_PNSL_ISQ_E10value_typeET4_jRbjT5_SW_jjP12ihipStream_tbEUlT_E2_NS1_11comp_targetILNS1_3genE4ELNS1_11target_archE910ELNS1_3gpuE8ELNS1_3repE0EEENS1_30default_config_static_selectorELNS0_4arch9wavefront6targetE1EEEvSK_.has_dyn_sized_stack, 0
	.set _ZN7rocprim17ROCPRIM_400000_NS6detail17trampoline_kernelINS0_14default_configENS1_36segmented_radix_sort_config_selectorIhlEEZNS1_25segmented_radix_sort_implIS3_Lb1EPKhPhPKlPlN2at6native12_GLOBAL__N_18offset_tEEE10hipError_tPvRmT1_PNSt15iterator_traitsISK_E10value_typeET2_T3_PNSL_ISQ_E10value_typeET4_jRbjT5_SW_jjP12ihipStream_tbEUlT_E2_NS1_11comp_targetILNS1_3genE4ELNS1_11target_archE910ELNS1_3gpuE8ELNS1_3repE0EEENS1_30default_config_static_selectorELNS0_4arch9wavefront6targetE1EEEvSK_.has_recursion, 0
	.set _ZN7rocprim17ROCPRIM_400000_NS6detail17trampoline_kernelINS0_14default_configENS1_36segmented_radix_sort_config_selectorIhlEEZNS1_25segmented_radix_sort_implIS3_Lb1EPKhPhPKlPlN2at6native12_GLOBAL__N_18offset_tEEE10hipError_tPvRmT1_PNSt15iterator_traitsISK_E10value_typeET2_T3_PNSL_ISQ_E10value_typeET4_jRbjT5_SW_jjP12ihipStream_tbEUlT_E2_NS1_11comp_targetILNS1_3genE4ELNS1_11target_archE910ELNS1_3gpuE8ELNS1_3repE0EEENS1_30default_config_static_selectorELNS0_4arch9wavefront6targetE1EEEvSK_.has_indirect_call, 0
	.section	.AMDGPU.csdata,"",@progbits
; Kernel info:
; codeLenInByte = 0
; TotalNumSgprs: 4
; NumVgprs: 0
; ScratchSize: 0
; MemoryBound: 0
; FloatMode: 240
; IeeeMode: 1
; LDSByteSize: 0 bytes/workgroup (compile time only)
; SGPRBlocks: 0
; VGPRBlocks: 0
; NumSGPRsForWavesPerEU: 4
; NumVGPRsForWavesPerEU: 1
; Occupancy: 10
; WaveLimiterHint : 0
; COMPUTE_PGM_RSRC2:SCRATCH_EN: 0
; COMPUTE_PGM_RSRC2:USER_SGPR: 6
; COMPUTE_PGM_RSRC2:TRAP_HANDLER: 0
; COMPUTE_PGM_RSRC2:TGID_X_EN: 1
; COMPUTE_PGM_RSRC2:TGID_Y_EN: 0
; COMPUTE_PGM_RSRC2:TGID_Z_EN: 0
; COMPUTE_PGM_RSRC2:TIDIG_COMP_CNT: 0
	.section	.text._ZN7rocprim17ROCPRIM_400000_NS6detail17trampoline_kernelINS0_14default_configENS1_36segmented_radix_sort_config_selectorIhlEEZNS1_25segmented_radix_sort_implIS3_Lb1EPKhPhPKlPlN2at6native12_GLOBAL__N_18offset_tEEE10hipError_tPvRmT1_PNSt15iterator_traitsISK_E10value_typeET2_T3_PNSL_ISQ_E10value_typeET4_jRbjT5_SW_jjP12ihipStream_tbEUlT_E2_NS1_11comp_targetILNS1_3genE3ELNS1_11target_archE908ELNS1_3gpuE7ELNS1_3repE0EEENS1_30default_config_static_selectorELNS0_4arch9wavefront6targetE1EEEvSK_,"axG",@progbits,_ZN7rocprim17ROCPRIM_400000_NS6detail17trampoline_kernelINS0_14default_configENS1_36segmented_radix_sort_config_selectorIhlEEZNS1_25segmented_radix_sort_implIS3_Lb1EPKhPhPKlPlN2at6native12_GLOBAL__N_18offset_tEEE10hipError_tPvRmT1_PNSt15iterator_traitsISK_E10value_typeET2_T3_PNSL_ISQ_E10value_typeET4_jRbjT5_SW_jjP12ihipStream_tbEUlT_E2_NS1_11comp_targetILNS1_3genE3ELNS1_11target_archE908ELNS1_3gpuE7ELNS1_3repE0EEENS1_30default_config_static_selectorELNS0_4arch9wavefront6targetE1EEEvSK_,comdat
	.globl	_ZN7rocprim17ROCPRIM_400000_NS6detail17trampoline_kernelINS0_14default_configENS1_36segmented_radix_sort_config_selectorIhlEEZNS1_25segmented_radix_sort_implIS3_Lb1EPKhPhPKlPlN2at6native12_GLOBAL__N_18offset_tEEE10hipError_tPvRmT1_PNSt15iterator_traitsISK_E10value_typeET2_T3_PNSL_ISQ_E10value_typeET4_jRbjT5_SW_jjP12ihipStream_tbEUlT_E2_NS1_11comp_targetILNS1_3genE3ELNS1_11target_archE908ELNS1_3gpuE7ELNS1_3repE0EEENS1_30default_config_static_selectorELNS0_4arch9wavefront6targetE1EEEvSK_ ; -- Begin function _ZN7rocprim17ROCPRIM_400000_NS6detail17trampoline_kernelINS0_14default_configENS1_36segmented_radix_sort_config_selectorIhlEEZNS1_25segmented_radix_sort_implIS3_Lb1EPKhPhPKlPlN2at6native12_GLOBAL__N_18offset_tEEE10hipError_tPvRmT1_PNSt15iterator_traitsISK_E10value_typeET2_T3_PNSL_ISQ_E10value_typeET4_jRbjT5_SW_jjP12ihipStream_tbEUlT_E2_NS1_11comp_targetILNS1_3genE3ELNS1_11target_archE908ELNS1_3gpuE7ELNS1_3repE0EEENS1_30default_config_static_selectorELNS0_4arch9wavefront6targetE1EEEvSK_
	.p2align	8
	.type	_ZN7rocprim17ROCPRIM_400000_NS6detail17trampoline_kernelINS0_14default_configENS1_36segmented_radix_sort_config_selectorIhlEEZNS1_25segmented_radix_sort_implIS3_Lb1EPKhPhPKlPlN2at6native12_GLOBAL__N_18offset_tEEE10hipError_tPvRmT1_PNSt15iterator_traitsISK_E10value_typeET2_T3_PNSL_ISQ_E10value_typeET4_jRbjT5_SW_jjP12ihipStream_tbEUlT_E2_NS1_11comp_targetILNS1_3genE3ELNS1_11target_archE908ELNS1_3gpuE7ELNS1_3repE0EEENS1_30default_config_static_selectorELNS0_4arch9wavefront6targetE1EEEvSK_,@function
_ZN7rocprim17ROCPRIM_400000_NS6detail17trampoline_kernelINS0_14default_configENS1_36segmented_radix_sort_config_selectorIhlEEZNS1_25segmented_radix_sort_implIS3_Lb1EPKhPhPKlPlN2at6native12_GLOBAL__N_18offset_tEEE10hipError_tPvRmT1_PNSt15iterator_traitsISK_E10value_typeET2_T3_PNSL_ISQ_E10value_typeET4_jRbjT5_SW_jjP12ihipStream_tbEUlT_E2_NS1_11comp_targetILNS1_3genE3ELNS1_11target_archE908ELNS1_3gpuE7ELNS1_3repE0EEENS1_30default_config_static_selectorELNS0_4arch9wavefront6targetE1EEEvSK_: ; @_ZN7rocprim17ROCPRIM_400000_NS6detail17trampoline_kernelINS0_14default_configENS1_36segmented_radix_sort_config_selectorIhlEEZNS1_25segmented_radix_sort_implIS3_Lb1EPKhPhPKlPlN2at6native12_GLOBAL__N_18offset_tEEE10hipError_tPvRmT1_PNSt15iterator_traitsISK_E10value_typeET2_T3_PNSL_ISQ_E10value_typeET4_jRbjT5_SW_jjP12ihipStream_tbEUlT_E2_NS1_11comp_targetILNS1_3genE3ELNS1_11target_archE908ELNS1_3gpuE7ELNS1_3repE0EEENS1_30default_config_static_selectorELNS0_4arch9wavefront6targetE1EEEvSK_
; %bb.0:
	.section	.rodata,"a",@progbits
	.p2align	6, 0x0
	.amdhsa_kernel _ZN7rocprim17ROCPRIM_400000_NS6detail17trampoline_kernelINS0_14default_configENS1_36segmented_radix_sort_config_selectorIhlEEZNS1_25segmented_radix_sort_implIS3_Lb1EPKhPhPKlPlN2at6native12_GLOBAL__N_18offset_tEEE10hipError_tPvRmT1_PNSt15iterator_traitsISK_E10value_typeET2_T3_PNSL_ISQ_E10value_typeET4_jRbjT5_SW_jjP12ihipStream_tbEUlT_E2_NS1_11comp_targetILNS1_3genE3ELNS1_11target_archE908ELNS1_3gpuE7ELNS1_3repE0EEENS1_30default_config_static_selectorELNS0_4arch9wavefront6targetE1EEEvSK_
		.amdhsa_group_segment_fixed_size 0
		.amdhsa_private_segment_fixed_size 0
		.amdhsa_kernarg_size 80
		.amdhsa_user_sgpr_count 6
		.amdhsa_user_sgpr_private_segment_buffer 1
		.amdhsa_user_sgpr_dispatch_ptr 0
		.amdhsa_user_sgpr_queue_ptr 0
		.amdhsa_user_sgpr_kernarg_segment_ptr 1
		.amdhsa_user_sgpr_dispatch_id 0
		.amdhsa_user_sgpr_flat_scratch_init 0
		.amdhsa_user_sgpr_private_segment_size 0
		.amdhsa_uses_dynamic_stack 0
		.amdhsa_system_sgpr_private_segment_wavefront_offset 0
		.amdhsa_system_sgpr_workgroup_id_x 1
		.amdhsa_system_sgpr_workgroup_id_y 0
		.amdhsa_system_sgpr_workgroup_id_z 0
		.amdhsa_system_sgpr_workgroup_info 0
		.amdhsa_system_vgpr_workitem_id 0
		.amdhsa_next_free_vgpr 1
		.amdhsa_next_free_sgpr 0
		.amdhsa_reserve_vcc 0
		.amdhsa_reserve_flat_scratch 0
		.amdhsa_float_round_mode_32 0
		.amdhsa_float_round_mode_16_64 0
		.amdhsa_float_denorm_mode_32 3
		.amdhsa_float_denorm_mode_16_64 3
		.amdhsa_dx10_clamp 1
		.amdhsa_ieee_mode 1
		.amdhsa_fp16_overflow 0
		.amdhsa_exception_fp_ieee_invalid_op 0
		.amdhsa_exception_fp_denorm_src 0
		.amdhsa_exception_fp_ieee_div_zero 0
		.amdhsa_exception_fp_ieee_overflow 0
		.amdhsa_exception_fp_ieee_underflow 0
		.amdhsa_exception_fp_ieee_inexact 0
		.amdhsa_exception_int_div_zero 0
	.end_amdhsa_kernel
	.section	.text._ZN7rocprim17ROCPRIM_400000_NS6detail17trampoline_kernelINS0_14default_configENS1_36segmented_radix_sort_config_selectorIhlEEZNS1_25segmented_radix_sort_implIS3_Lb1EPKhPhPKlPlN2at6native12_GLOBAL__N_18offset_tEEE10hipError_tPvRmT1_PNSt15iterator_traitsISK_E10value_typeET2_T3_PNSL_ISQ_E10value_typeET4_jRbjT5_SW_jjP12ihipStream_tbEUlT_E2_NS1_11comp_targetILNS1_3genE3ELNS1_11target_archE908ELNS1_3gpuE7ELNS1_3repE0EEENS1_30default_config_static_selectorELNS0_4arch9wavefront6targetE1EEEvSK_,"axG",@progbits,_ZN7rocprim17ROCPRIM_400000_NS6detail17trampoline_kernelINS0_14default_configENS1_36segmented_radix_sort_config_selectorIhlEEZNS1_25segmented_radix_sort_implIS3_Lb1EPKhPhPKlPlN2at6native12_GLOBAL__N_18offset_tEEE10hipError_tPvRmT1_PNSt15iterator_traitsISK_E10value_typeET2_T3_PNSL_ISQ_E10value_typeET4_jRbjT5_SW_jjP12ihipStream_tbEUlT_E2_NS1_11comp_targetILNS1_3genE3ELNS1_11target_archE908ELNS1_3gpuE7ELNS1_3repE0EEENS1_30default_config_static_selectorELNS0_4arch9wavefront6targetE1EEEvSK_,comdat
.Lfunc_end116:
	.size	_ZN7rocprim17ROCPRIM_400000_NS6detail17trampoline_kernelINS0_14default_configENS1_36segmented_radix_sort_config_selectorIhlEEZNS1_25segmented_radix_sort_implIS3_Lb1EPKhPhPKlPlN2at6native12_GLOBAL__N_18offset_tEEE10hipError_tPvRmT1_PNSt15iterator_traitsISK_E10value_typeET2_T3_PNSL_ISQ_E10value_typeET4_jRbjT5_SW_jjP12ihipStream_tbEUlT_E2_NS1_11comp_targetILNS1_3genE3ELNS1_11target_archE908ELNS1_3gpuE7ELNS1_3repE0EEENS1_30default_config_static_selectorELNS0_4arch9wavefront6targetE1EEEvSK_, .Lfunc_end116-_ZN7rocprim17ROCPRIM_400000_NS6detail17trampoline_kernelINS0_14default_configENS1_36segmented_radix_sort_config_selectorIhlEEZNS1_25segmented_radix_sort_implIS3_Lb1EPKhPhPKlPlN2at6native12_GLOBAL__N_18offset_tEEE10hipError_tPvRmT1_PNSt15iterator_traitsISK_E10value_typeET2_T3_PNSL_ISQ_E10value_typeET4_jRbjT5_SW_jjP12ihipStream_tbEUlT_E2_NS1_11comp_targetILNS1_3genE3ELNS1_11target_archE908ELNS1_3gpuE7ELNS1_3repE0EEENS1_30default_config_static_selectorELNS0_4arch9wavefront6targetE1EEEvSK_
                                        ; -- End function
	.set _ZN7rocprim17ROCPRIM_400000_NS6detail17trampoline_kernelINS0_14default_configENS1_36segmented_radix_sort_config_selectorIhlEEZNS1_25segmented_radix_sort_implIS3_Lb1EPKhPhPKlPlN2at6native12_GLOBAL__N_18offset_tEEE10hipError_tPvRmT1_PNSt15iterator_traitsISK_E10value_typeET2_T3_PNSL_ISQ_E10value_typeET4_jRbjT5_SW_jjP12ihipStream_tbEUlT_E2_NS1_11comp_targetILNS1_3genE3ELNS1_11target_archE908ELNS1_3gpuE7ELNS1_3repE0EEENS1_30default_config_static_selectorELNS0_4arch9wavefront6targetE1EEEvSK_.num_vgpr, 0
	.set _ZN7rocprim17ROCPRIM_400000_NS6detail17trampoline_kernelINS0_14default_configENS1_36segmented_radix_sort_config_selectorIhlEEZNS1_25segmented_radix_sort_implIS3_Lb1EPKhPhPKlPlN2at6native12_GLOBAL__N_18offset_tEEE10hipError_tPvRmT1_PNSt15iterator_traitsISK_E10value_typeET2_T3_PNSL_ISQ_E10value_typeET4_jRbjT5_SW_jjP12ihipStream_tbEUlT_E2_NS1_11comp_targetILNS1_3genE3ELNS1_11target_archE908ELNS1_3gpuE7ELNS1_3repE0EEENS1_30default_config_static_selectorELNS0_4arch9wavefront6targetE1EEEvSK_.num_agpr, 0
	.set _ZN7rocprim17ROCPRIM_400000_NS6detail17trampoline_kernelINS0_14default_configENS1_36segmented_radix_sort_config_selectorIhlEEZNS1_25segmented_radix_sort_implIS3_Lb1EPKhPhPKlPlN2at6native12_GLOBAL__N_18offset_tEEE10hipError_tPvRmT1_PNSt15iterator_traitsISK_E10value_typeET2_T3_PNSL_ISQ_E10value_typeET4_jRbjT5_SW_jjP12ihipStream_tbEUlT_E2_NS1_11comp_targetILNS1_3genE3ELNS1_11target_archE908ELNS1_3gpuE7ELNS1_3repE0EEENS1_30default_config_static_selectorELNS0_4arch9wavefront6targetE1EEEvSK_.numbered_sgpr, 0
	.set _ZN7rocprim17ROCPRIM_400000_NS6detail17trampoline_kernelINS0_14default_configENS1_36segmented_radix_sort_config_selectorIhlEEZNS1_25segmented_radix_sort_implIS3_Lb1EPKhPhPKlPlN2at6native12_GLOBAL__N_18offset_tEEE10hipError_tPvRmT1_PNSt15iterator_traitsISK_E10value_typeET2_T3_PNSL_ISQ_E10value_typeET4_jRbjT5_SW_jjP12ihipStream_tbEUlT_E2_NS1_11comp_targetILNS1_3genE3ELNS1_11target_archE908ELNS1_3gpuE7ELNS1_3repE0EEENS1_30default_config_static_selectorELNS0_4arch9wavefront6targetE1EEEvSK_.num_named_barrier, 0
	.set _ZN7rocprim17ROCPRIM_400000_NS6detail17trampoline_kernelINS0_14default_configENS1_36segmented_radix_sort_config_selectorIhlEEZNS1_25segmented_radix_sort_implIS3_Lb1EPKhPhPKlPlN2at6native12_GLOBAL__N_18offset_tEEE10hipError_tPvRmT1_PNSt15iterator_traitsISK_E10value_typeET2_T3_PNSL_ISQ_E10value_typeET4_jRbjT5_SW_jjP12ihipStream_tbEUlT_E2_NS1_11comp_targetILNS1_3genE3ELNS1_11target_archE908ELNS1_3gpuE7ELNS1_3repE0EEENS1_30default_config_static_selectorELNS0_4arch9wavefront6targetE1EEEvSK_.private_seg_size, 0
	.set _ZN7rocprim17ROCPRIM_400000_NS6detail17trampoline_kernelINS0_14default_configENS1_36segmented_radix_sort_config_selectorIhlEEZNS1_25segmented_radix_sort_implIS3_Lb1EPKhPhPKlPlN2at6native12_GLOBAL__N_18offset_tEEE10hipError_tPvRmT1_PNSt15iterator_traitsISK_E10value_typeET2_T3_PNSL_ISQ_E10value_typeET4_jRbjT5_SW_jjP12ihipStream_tbEUlT_E2_NS1_11comp_targetILNS1_3genE3ELNS1_11target_archE908ELNS1_3gpuE7ELNS1_3repE0EEENS1_30default_config_static_selectorELNS0_4arch9wavefront6targetE1EEEvSK_.uses_vcc, 0
	.set _ZN7rocprim17ROCPRIM_400000_NS6detail17trampoline_kernelINS0_14default_configENS1_36segmented_radix_sort_config_selectorIhlEEZNS1_25segmented_radix_sort_implIS3_Lb1EPKhPhPKlPlN2at6native12_GLOBAL__N_18offset_tEEE10hipError_tPvRmT1_PNSt15iterator_traitsISK_E10value_typeET2_T3_PNSL_ISQ_E10value_typeET4_jRbjT5_SW_jjP12ihipStream_tbEUlT_E2_NS1_11comp_targetILNS1_3genE3ELNS1_11target_archE908ELNS1_3gpuE7ELNS1_3repE0EEENS1_30default_config_static_selectorELNS0_4arch9wavefront6targetE1EEEvSK_.uses_flat_scratch, 0
	.set _ZN7rocprim17ROCPRIM_400000_NS6detail17trampoline_kernelINS0_14default_configENS1_36segmented_radix_sort_config_selectorIhlEEZNS1_25segmented_radix_sort_implIS3_Lb1EPKhPhPKlPlN2at6native12_GLOBAL__N_18offset_tEEE10hipError_tPvRmT1_PNSt15iterator_traitsISK_E10value_typeET2_T3_PNSL_ISQ_E10value_typeET4_jRbjT5_SW_jjP12ihipStream_tbEUlT_E2_NS1_11comp_targetILNS1_3genE3ELNS1_11target_archE908ELNS1_3gpuE7ELNS1_3repE0EEENS1_30default_config_static_selectorELNS0_4arch9wavefront6targetE1EEEvSK_.has_dyn_sized_stack, 0
	.set _ZN7rocprim17ROCPRIM_400000_NS6detail17trampoline_kernelINS0_14default_configENS1_36segmented_radix_sort_config_selectorIhlEEZNS1_25segmented_radix_sort_implIS3_Lb1EPKhPhPKlPlN2at6native12_GLOBAL__N_18offset_tEEE10hipError_tPvRmT1_PNSt15iterator_traitsISK_E10value_typeET2_T3_PNSL_ISQ_E10value_typeET4_jRbjT5_SW_jjP12ihipStream_tbEUlT_E2_NS1_11comp_targetILNS1_3genE3ELNS1_11target_archE908ELNS1_3gpuE7ELNS1_3repE0EEENS1_30default_config_static_selectorELNS0_4arch9wavefront6targetE1EEEvSK_.has_recursion, 0
	.set _ZN7rocprim17ROCPRIM_400000_NS6detail17trampoline_kernelINS0_14default_configENS1_36segmented_radix_sort_config_selectorIhlEEZNS1_25segmented_radix_sort_implIS3_Lb1EPKhPhPKlPlN2at6native12_GLOBAL__N_18offset_tEEE10hipError_tPvRmT1_PNSt15iterator_traitsISK_E10value_typeET2_T3_PNSL_ISQ_E10value_typeET4_jRbjT5_SW_jjP12ihipStream_tbEUlT_E2_NS1_11comp_targetILNS1_3genE3ELNS1_11target_archE908ELNS1_3gpuE7ELNS1_3repE0EEENS1_30default_config_static_selectorELNS0_4arch9wavefront6targetE1EEEvSK_.has_indirect_call, 0
	.section	.AMDGPU.csdata,"",@progbits
; Kernel info:
; codeLenInByte = 0
; TotalNumSgprs: 4
; NumVgprs: 0
; ScratchSize: 0
; MemoryBound: 0
; FloatMode: 240
; IeeeMode: 1
; LDSByteSize: 0 bytes/workgroup (compile time only)
; SGPRBlocks: 0
; VGPRBlocks: 0
; NumSGPRsForWavesPerEU: 4
; NumVGPRsForWavesPerEU: 1
; Occupancy: 10
; WaveLimiterHint : 0
; COMPUTE_PGM_RSRC2:SCRATCH_EN: 0
; COMPUTE_PGM_RSRC2:USER_SGPR: 6
; COMPUTE_PGM_RSRC2:TRAP_HANDLER: 0
; COMPUTE_PGM_RSRC2:TGID_X_EN: 1
; COMPUTE_PGM_RSRC2:TGID_Y_EN: 0
; COMPUTE_PGM_RSRC2:TGID_Z_EN: 0
; COMPUTE_PGM_RSRC2:TIDIG_COMP_CNT: 0
	.section	.text._ZN7rocprim17ROCPRIM_400000_NS6detail17trampoline_kernelINS0_14default_configENS1_36segmented_radix_sort_config_selectorIhlEEZNS1_25segmented_radix_sort_implIS3_Lb1EPKhPhPKlPlN2at6native12_GLOBAL__N_18offset_tEEE10hipError_tPvRmT1_PNSt15iterator_traitsISK_E10value_typeET2_T3_PNSL_ISQ_E10value_typeET4_jRbjT5_SW_jjP12ihipStream_tbEUlT_E2_NS1_11comp_targetILNS1_3genE2ELNS1_11target_archE906ELNS1_3gpuE6ELNS1_3repE0EEENS1_30default_config_static_selectorELNS0_4arch9wavefront6targetE1EEEvSK_,"axG",@progbits,_ZN7rocprim17ROCPRIM_400000_NS6detail17trampoline_kernelINS0_14default_configENS1_36segmented_radix_sort_config_selectorIhlEEZNS1_25segmented_radix_sort_implIS3_Lb1EPKhPhPKlPlN2at6native12_GLOBAL__N_18offset_tEEE10hipError_tPvRmT1_PNSt15iterator_traitsISK_E10value_typeET2_T3_PNSL_ISQ_E10value_typeET4_jRbjT5_SW_jjP12ihipStream_tbEUlT_E2_NS1_11comp_targetILNS1_3genE2ELNS1_11target_archE906ELNS1_3gpuE6ELNS1_3repE0EEENS1_30default_config_static_selectorELNS0_4arch9wavefront6targetE1EEEvSK_,comdat
	.globl	_ZN7rocprim17ROCPRIM_400000_NS6detail17trampoline_kernelINS0_14default_configENS1_36segmented_radix_sort_config_selectorIhlEEZNS1_25segmented_radix_sort_implIS3_Lb1EPKhPhPKlPlN2at6native12_GLOBAL__N_18offset_tEEE10hipError_tPvRmT1_PNSt15iterator_traitsISK_E10value_typeET2_T3_PNSL_ISQ_E10value_typeET4_jRbjT5_SW_jjP12ihipStream_tbEUlT_E2_NS1_11comp_targetILNS1_3genE2ELNS1_11target_archE906ELNS1_3gpuE6ELNS1_3repE0EEENS1_30default_config_static_selectorELNS0_4arch9wavefront6targetE1EEEvSK_ ; -- Begin function _ZN7rocprim17ROCPRIM_400000_NS6detail17trampoline_kernelINS0_14default_configENS1_36segmented_radix_sort_config_selectorIhlEEZNS1_25segmented_radix_sort_implIS3_Lb1EPKhPhPKlPlN2at6native12_GLOBAL__N_18offset_tEEE10hipError_tPvRmT1_PNSt15iterator_traitsISK_E10value_typeET2_T3_PNSL_ISQ_E10value_typeET4_jRbjT5_SW_jjP12ihipStream_tbEUlT_E2_NS1_11comp_targetILNS1_3genE2ELNS1_11target_archE906ELNS1_3gpuE6ELNS1_3repE0EEENS1_30default_config_static_selectorELNS0_4arch9wavefront6targetE1EEEvSK_
	.p2align	8
	.type	_ZN7rocprim17ROCPRIM_400000_NS6detail17trampoline_kernelINS0_14default_configENS1_36segmented_radix_sort_config_selectorIhlEEZNS1_25segmented_radix_sort_implIS3_Lb1EPKhPhPKlPlN2at6native12_GLOBAL__N_18offset_tEEE10hipError_tPvRmT1_PNSt15iterator_traitsISK_E10value_typeET2_T3_PNSL_ISQ_E10value_typeET4_jRbjT5_SW_jjP12ihipStream_tbEUlT_E2_NS1_11comp_targetILNS1_3genE2ELNS1_11target_archE906ELNS1_3gpuE6ELNS1_3repE0EEENS1_30default_config_static_selectorELNS0_4arch9wavefront6targetE1EEEvSK_,@function
_ZN7rocprim17ROCPRIM_400000_NS6detail17trampoline_kernelINS0_14default_configENS1_36segmented_radix_sort_config_selectorIhlEEZNS1_25segmented_radix_sort_implIS3_Lb1EPKhPhPKlPlN2at6native12_GLOBAL__N_18offset_tEEE10hipError_tPvRmT1_PNSt15iterator_traitsISK_E10value_typeET2_T3_PNSL_ISQ_E10value_typeET4_jRbjT5_SW_jjP12ihipStream_tbEUlT_E2_NS1_11comp_targetILNS1_3genE2ELNS1_11target_archE906ELNS1_3gpuE6ELNS1_3repE0EEENS1_30default_config_static_selectorELNS0_4arch9wavefront6targetE1EEEvSK_: ; @_ZN7rocprim17ROCPRIM_400000_NS6detail17trampoline_kernelINS0_14default_configENS1_36segmented_radix_sort_config_selectorIhlEEZNS1_25segmented_radix_sort_implIS3_Lb1EPKhPhPKlPlN2at6native12_GLOBAL__N_18offset_tEEE10hipError_tPvRmT1_PNSt15iterator_traitsISK_E10value_typeET2_T3_PNSL_ISQ_E10value_typeET4_jRbjT5_SW_jjP12ihipStream_tbEUlT_E2_NS1_11comp_targetILNS1_3genE2ELNS1_11target_archE906ELNS1_3gpuE6ELNS1_3repE0EEENS1_30default_config_static_selectorELNS0_4arch9wavefront6targetE1EEEvSK_
; %bb.0:
	s_add_u32 s0, s0, s8
	s_load_dwordx4 s[8:11], s[4:5], 0x34
	s_addc_u32 s1, s1, 0
	s_mov_b32 s32, 0
	s_waitcnt lgkmcnt(0)
	s_add_i32 s49, s9, s6
	s_add_i32 s76, s11, s6
	s_mul_i32 s49, s49, s8
	s_mul_i32 s76, s76, s10
	s_cmp_le_u32 s76, s49
	s_cbranch_scc1 .LBB117_422
; %bb.1:
	s_mov_b32 s48, s6
	s_load_dword s6, s[4:5], 0x30
	s_load_dwordx4 s[52:55], s[4:5], 0x20
	s_load_dwordx4 s[72:75], s[4:5], 0x44
	s_load_dwordx8 s[64:71], s[4:5], 0x0
	s_mov_b32 s33, s7
	s_waitcnt lgkmcnt(0)
	s_bitcmp1_b32 s6, 0
	s_cselect_b64 s[50:51], -1, 0
	s_sub_i32 s75, s76, s49
	s_cmpk_lt_u32 s75, 0x401
	s_mov_b64 s[6:7], -1
	s_cbranch_scc0 .LBB117_15
; %bb.2:
	s_cmp_lt_u32 s75, 33
	s_cbranch_scc0 .LBB117_9
; %bb.3:
	s_load_dword s6, s[4:5], 0x5c
	s_waitcnt lgkmcnt(0)
	s_lshr_b32 s7, s6, 16
	s_and_b32 s6, s6, 0xffff
	v_mad_u32_u24 v3, v2, s7, v1
	v_mad_u64_u32 v[3:4], s[6:7], v3, s6, v[0:1]
	v_cmp_gt_u32_e32 vcc, 8, v3
	s_and_saveexec_b64 s[26:27], vcc
	s_cbranch_execz .LBB117_8
; %bb.4:
	s_and_b32 s6, s72, 1
	v_cndmask_b32_e64 v3, 0, 1, s[50:51]
	v_cmp_ne_u32_e32 vcc, s6, v3
	s_mov_b64 s[6:7], -1
	s_cbranch_vccnz .LBB117_6
; %bb.5:
	s_add_u32 s8, s4, 0x50
	s_mov_b64 s[6:7], src_shared_base
	s_addc_u32 s9, s5, 0
	v_lshlrev_b32_e32 v3, 20, v2
	v_lshlrev_b32_e32 v4, 10, v1
	s_getpc_b64 s[10:11]
	s_add_u32 s10, s10, _ZN7rocprim17ROCPRIM_400000_NS6detail26segmented_warp_sort_helperINS1_20WarpSortHelperConfigILj8ELj4ELj256EEEhlLi256ELb1EvE4sortIPKhPhPKlPlEEvT_T0_T1_T2_jjjjRNS5_12storage_typeE@rel32@lo+4
	s_addc_u32 s11, s11, _ZN7rocprim17ROCPRIM_400000_NS6detail26segmented_warp_sort_helperINS1_20WarpSortHelperConfigILj8ELj4ELj256EEEhlLi256ELb1EvE4sortIPKhPhPKlPlEEvT_T0_T1_T2_jjjjRNS5_12storage_typeE@rel32@hi+12
	v_or3_b32 v31, v0, v4, v3
	s_mov_b32 s12, s48
	s_mov_b32 s13, s33
	v_mov_b32_e32 v40, v0
	v_mov_b32_e32 v0, s64
	;; [unrolled: 1-line block ×17, first 2 shown]
	s_mov_b64 s[28:29], s[4:5]
	s_swappc_b64 s[30:31], s[10:11]
	v_mov_b32_e32 v1, v41
	v_mov_b32_e32 v2, v42
	;; [unrolled: 1-line block ×3, first 2 shown]
	s_mov_b64 s[4:5], s[28:29]
	s_mov_b64 s[6:7], 0
.LBB117_6:
	s_andn2_b64 vcc, exec, s[6:7]
	s_cbranch_vccnz .LBB117_8
; %bb.7:
	s_add_u32 s8, s4, 0x50
	s_mov_b64 s[6:7], src_shared_base
	s_addc_u32 s9, s5, 0
	v_lshlrev_b32_e32 v3, 20, v2
	v_lshlrev_b32_e32 v4, 10, v1
	s_getpc_b64 s[10:11]
	s_add_u32 s10, s10, _ZN7rocprim17ROCPRIM_400000_NS6detail26segmented_warp_sort_helperINS1_20WarpSortHelperConfigILj8ELj4ELj256EEEhlLi256ELb1EvE4sortIPKhPhPKlPlEEvT_T0_T1_T2_jjjjRNS5_12storage_typeE@rel32@lo+4
	s_addc_u32 s11, s11, _ZN7rocprim17ROCPRIM_400000_NS6detail26segmented_warp_sort_helperINS1_20WarpSortHelperConfigILj8ELj4ELj256EEEhlLi256ELb1EvE4sortIPKhPhPKlPlEEvT_T0_T1_T2_jjjjRNS5_12storage_typeE@rel32@hi+12
	v_or3_b32 v31, v0, v4, v3
	s_mov_b32 s12, s48
	s_mov_b32 s13, s33
	v_mov_b32_e32 v40, v0
	v_mov_b32_e32 v0, s64
	;; [unrolled: 1-line block ×17, first 2 shown]
	s_mov_b64 s[28:29], s[4:5]
	s_swappc_b64 s[30:31], s[10:11]
	v_mov_b32_e32 v1, v41
	v_mov_b32_e32 v2, v42
	;; [unrolled: 1-line block ×3, first 2 shown]
	s_mov_b64 s[4:5], s[28:29]
.LBB117_8:
	s_or_b64 exec, exec, s[26:27]
	s_mov_b64 s[6:7], 0
.LBB117_9:
	s_andn2_b64 vcc, exec, s[6:7]
	s_cbranch_vccnz .LBB117_14
; %bb.10:
	s_and_b32 s6, s72, 1
	v_cndmask_b32_e64 v3, 0, 1, s[50:51]
	v_cmp_ne_u32_e32 vcc, s6, v3
	s_mov_b64 s[6:7], -1
	v_lshlrev_b32_e32 v41, 20, v2
	v_lshlrev_b32_e32 v42, 10, v1
	s_cbranch_vccnz .LBB117_12
; %bb.11:
	s_add_u32 s8, s4, 0x50
	s_mov_b64 s[6:7], src_shared_base
	s_addc_u32 s9, s5, 0
	s_getpc_b64 s[10:11]
	s_add_u32 s10, s10, _ZN7rocprim17ROCPRIM_400000_NS6detail40segmented_radix_sort_single_block_helperIhlLj256ELj4ELb1EE4sortIPKhPhPKlPlEEbT_T0_T1_T2_jjjjRNS3_12storage_typeE@rel32@lo+4
	s_addc_u32 s11, s11, _ZN7rocprim17ROCPRIM_400000_NS6detail40segmented_radix_sort_single_block_helperIhlLj256ELj4ELb1EE4sortIPKhPhPKlPlEEbT_T0_T1_T2_jjjjRNS3_12storage_typeE@rel32@hi+12
	v_or3_b32 v31, v0, v42, v41
	s_mov_b32 s12, s48
	s_mov_b32 s13, s33
	v_mov_b32_e32 v40, v0
	v_mov_b32_e32 v0, s64
	;; [unrolled: 1-line block ×17, first 2 shown]
	s_mov_b64 s[34:35], s[4:5]
	s_swappc_b64 s[30:31], s[10:11]
	v_mov_b32_e32 v1, v43
	v_mov_b32_e32 v2, v44
	v_mov_b32_e32 v0, v40
	s_mov_b64 s[4:5], s[34:35]
	s_mov_b64 s[6:7], 0
.LBB117_12:
	s_andn2_b64 vcc, exec, s[6:7]
	s_cbranch_vccnz .LBB117_14
; %bb.13:
	s_add_u32 s8, s4, 0x50
	s_mov_b64 s[6:7], src_shared_base
	s_addc_u32 s9, s5, 0
	s_getpc_b64 s[10:11]
	s_add_u32 s10, s10, _ZN7rocprim17ROCPRIM_400000_NS6detail40segmented_radix_sort_single_block_helperIhlLj256ELj4ELb1EE4sortIPKhPhPKlPlEEbT_T0_T1_T2_jjjjRNS3_12storage_typeE@rel32@lo+4
	s_addc_u32 s11, s11, _ZN7rocprim17ROCPRIM_400000_NS6detail40segmented_radix_sort_single_block_helperIhlLj256ELj4ELb1EE4sortIPKhPhPKlPlEEbT_T0_T1_T2_jjjjRNS3_12storage_typeE@rel32@hi+12
	v_or3_b32 v31, v0, v42, v41
	s_mov_b32 s12, s48
	s_mov_b32 s13, s33
	v_mov_b32_e32 v40, v0
	v_mov_b32_e32 v0, s64
	;; [unrolled: 1-line block ×17, first 2 shown]
	s_mov_b64 s[34:35], s[4:5]
	s_swappc_b64 s[30:31], s[10:11]
	v_mov_b32_e32 v1, v41
	v_mov_b32_e32 v2, v42
	;; [unrolled: 1-line block ×3, first 2 shown]
	s_mov_b64 s[4:5], s[34:35]
.LBB117_14:
	s_mov_b64 s[6:7], 0
.LBB117_15:
	s_andn2_b64 vcc, exec, s[6:7]
	s_cbranch_vccnz .LBB117_422
; %bb.16:
	s_cmp_ge_u32 s73, s74
	s_cbranch_scc1 .LBB117_422
; %bb.17:
	v_and_b32_e32 v3, 3, v0
	s_movk_i32 s6, 0x100
	v_lshlrev_b32_e32 v24, 2, v3
	v_or_b32_e32 v3, 63, v0
	v_lshlrev_b32_e32 v18, 2, v0
	v_mov_b32_e32 v4, s69
	v_add_co_u32_e32 v22, vcc, s68, v0
	s_mov_b64 s[12:13], s[4:5]
	v_cmp_gt_u32_e64 s[4:5], s6, v0
	v_cmp_eq_u32_e64 s[6:7], v0, v3
	v_lshrrev_b32_e32 v3, 4, v0
	v_addc_co_u32_e32 v23, vcc, 0, v4, vcc
	v_and_b32_e32 v26, 12, v3
	v_and_b32_e32 v3, 0x300, v18
	v_lshlrev_b32_e32 v4, 4, v0
	v_sub_u32_e32 v28, 0, v4
	v_lshlrev_b32_e32 v4, 3, v3
	v_mov_b32_e32 v5, s55
	v_add_co_u32_e32 v29, vcc, s54, v4
	v_addc_co_u32_e32 v30, vcc, 0, v5, vcc
	v_mov_b32_e32 v5, s69
	v_add_co_u32_e32 v31, vcc, s68, v3
	v_addc_co_u32_e32 v32, vcc, 0, v5, vcc
	;; [unrolled: 3-line block ×8, first 2 shown]
	v_mbcnt_lo_u32_b32 v4, -1, 0
	v_mbcnt_hi_u32_b32 v45, -1, v4
	v_mad_u32_u24 v25, v0, 12, v18
	v_and_b32_e32 v46, 63, v45
	s_add_u32 s44, s12, 0x50
	s_movk_i32 s14, 0xff
	v_or_b32_e32 v47, v46, v3
	v_add_u32_e32 v50, v25, v18
	v_or_b32_e32 v19, 0x100, v0
	v_or_b32_e32 v20, 0x200, v0
	v_or_b32_e32 v21, 0x300, v0
	v_or_b32_e32 v27, 0x2400, v26
	v_cmp_gt_u32_e64 s[8:9], 4, v0
	v_cmp_lt_u32_e64 s[10:11], 63, v0
	s_addc_u32 s45, s13, 0
	s_mov_b32 s47, 0
	v_cmp_eq_u32_e64 s[12:13], 0, v0
	v_cmp_ne_u32_e64 s[14:15], s14, v0
	s_mov_b32 s58, s73
	v_or_b32_e32 v48, 0x2400, v18
	v_add_u32_e32 v49, 0x23fc, v26
	v_mul_u32_u24_e32 v51, 7, v0
	v_mov_b32_e32 v52, 1
	v_add_u32_e32 v53, 0x410, v50
	v_add_u32_e32 v54, 0x418, v50
	v_and_b32_e32 v55, 15, v45
	v_bfe_i32 v56, v45, 4, 1
	v_and_b32_e32 v57, 16, v45
	v_and_b32_e32 v58, 3, v45
	v_and_b32_e32 v59, 64, v45
	v_lshlrev_b32_e32 v60, 3, v46
	v_or_b32_e32 v61, 64, v47
	v_or_b32_e32 v62, 0x80, v47
	;; [unrolled: 1-line block ×3, first 2 shown]
	v_mov_b32_e32 v3, 0
	s_branch .LBB117_20
.LBB117_18:                             ;   in Loop: Header=BB117_20 Depth=1
	s_waitcnt lgkmcnt(0)
	s_barrier
.LBB117_19:                             ;   in Loop: Header=BB117_20 Depth=1
	s_add_i32 s58, s58, 8
	s_cmp_ge_u32 s58, s74
	s_cbranch_scc1 .LBB117_422
.LBB117_20:                             ; =>This Loop Header: Depth=1
                                        ;     Child Loop BB117_24 Depth 2
                                        ;     Child Loop BB117_56 Depth 2
	;; [unrolled: 1-line block ×8, first 2 shown]
	s_sub_i32 s16, s74, s58
	s_min_u32 s16, s16, 8
	s_lshl_b32 s16, -1, s16
	s_xor_b64 s[50:51], s[50:51], -1
	s_not_b32 s59, s16
	s_cmp_lg_u32 s58, s73
	s_mov_b64 s[16:17], -1
	ds_write2st64_b32 v18, v3, v3 offset1:4
	ds_write2st64_b32 v18, v3, v3 offset0:8 offset1:12
	s_waitcnt lgkmcnt(0)
	s_cbranch_scc0 .LBB117_222
; %bb.21:                               ;   in Loop: Header=BB117_20 Depth=1
	s_and_b64 vcc, exec, s[50:51]
	s_cbranch_vccz .LBB117_121
; %bb.22:                               ;   in Loop: Header=BB117_20 Depth=1
	v_mov_b32_e32 v4, 0
	s_mov_b32 s18, s75
	s_mov_b32 s20, s49
	v_mov_b32_e32 v7, 0
	v_mov_b32_e32 v6, 0
	v_mov_b32_e32 v5, 0
	s_barrier
	s_branch .LBB117_24
.LBB117_23:                             ;   in Loop: Header=BB117_24 Depth=2
	s_or_b64 exec, exec, s[16:17]
	s_addk_i32 s18, 0xfc00
	s_cmp_ge_u32 s19, s76
	s_mov_b32 s20, s19
	s_cbranch_scc1 .LBB117_44
.LBB117_24:                             ;   Parent Loop BB117_20 Depth=1
                                        ; =>  This Inner Loop Header: Depth=2
	s_add_i32 s19, s20, 0x400
	s_cmp_gt_u32 s19, s76
	s_mov_b64 s[16:17], -1
                                        ; implicit-def: $vgpr8
                                        ; implicit-def: $vgpr9
                                        ; implicit-def: $vgpr10
                                        ; implicit-def: $vgpr11
	s_cbranch_scc1 .LBB117_26
; %bb.25:                               ;   in Loop: Header=BB117_24 Depth=2
	v_add_co_u32_e32 v12, vcc, s20, v22
	v_addc_co_u32_e32 v13, vcc, 0, v23, vcc
	global_load_ubyte v11, v[12:13], off offset:768
	global_load_ubyte v10, v[12:13], off offset:512
	;; [unrolled: 1-line block ×3, first 2 shown]
	global_load_ubyte v8, v[12:13], off
	s_mov_b64 s[16:17], 0
.LBB117_26:                             ;   in Loop: Header=BB117_24 Depth=2
	s_andn2_b64 vcc, exec, s[16:17]
	s_movk_i32 s21, 0x400
	s_cbranch_vccnz .LBB117_33
; %bb.27:                               ;   in Loop: Header=BB117_24 Depth=2
	s_add_u32 s20, s68, s20
	s_addc_u32 s21, s69, 0
	v_cmp_gt_u32_e32 vcc, s18, v0
	s_and_saveexec_b64 s[16:17], vcc
	s_cbranch_execnz .LBB117_41
; %bb.28:                               ;   in Loop: Header=BB117_24 Depth=2
	s_or_b64 exec, exec, s[16:17]
	v_cmp_gt_u32_e32 vcc, s18, v19
	s_and_saveexec_b64 s[16:17], vcc
	s_cbranch_execnz .LBB117_42
.LBB117_29:                             ;   in Loop: Header=BB117_24 Depth=2
	s_or_b64 exec, exec, s[16:17]
	v_cmp_gt_u32_e32 vcc, s18, v20
	s_and_saveexec_b64 s[16:17], vcc
	s_cbranch_execnz .LBB117_43
.LBB117_30:                             ;   in Loop: Header=BB117_24 Depth=2
	s_or_b64 exec, exec, s[16:17]
	v_cmp_gt_u32_e32 vcc, s18, v21
	s_and_saveexec_b64 s[16:17], vcc
	s_cbranch_execz .LBB117_32
.LBB117_31:                             ;   in Loop: Header=BB117_24 Depth=2
	v_mov_b32_e32 v5, s21
	s_waitcnt vmcnt(0)
	v_add_co_u32_e32 v8, vcc, s20, v0
	v_addc_co_u32_e32 v9, vcc, 0, v5, vcc
	global_load_ubyte v5, v[8:9], off offset:768
.LBB117_32:                             ;   in Loop: Header=BB117_24 Depth=2
	s_or_b64 exec, exec, s[16:17]
	s_mov_b32 s21, s18
	s_waitcnt vmcnt(0)
	v_mov_b32_e32 v8, v4
	v_mov_b32_e32 v9, v7
	;; [unrolled: 1-line block ×4, first 2 shown]
.LBB117_33:                             ;   in Loop: Header=BB117_24 Depth=2
	s_waitcnt vmcnt(3)
	v_mov_b32_e32 v5, v11
	s_waitcnt vmcnt(2)
	v_mov_b32_e32 v6, v10
	;; [unrolled: 2-line block ×4, first 2 shown]
	v_cmp_gt_u32_e32 vcc, s21, v0
	s_and_saveexec_b64 s[16:17], vcc
	s_cbranch_execnz .LBB117_37
; %bb.34:                               ;   in Loop: Header=BB117_24 Depth=2
	s_or_b64 exec, exec, s[16:17]
	v_cmp_gt_u32_e32 vcc, s21, v19
	s_and_saveexec_b64 s[16:17], vcc
	s_cbranch_execnz .LBB117_38
.LBB117_35:                             ;   in Loop: Header=BB117_24 Depth=2
	s_or_b64 exec, exec, s[16:17]
	v_cmp_gt_u32_e32 vcc, s21, v20
	s_and_saveexec_b64 s[16:17], vcc
	s_cbranch_execnz .LBB117_39
.LBB117_36:                             ;   in Loop: Header=BB117_24 Depth=2
	s_or_b64 exec, exec, s[16:17]
	v_cmp_gt_u32_e32 vcc, s21, v21
	s_and_saveexec_b64 s[16:17], vcc
	s_cbranch_execz .LBB117_23
	s_branch .LBB117_40
.LBB117_37:                             ;   in Loop: Header=BB117_24 Depth=2
	v_xor_b32_e32 v8, -1, v4
	v_lshrrev_b32_sdwa v8, s58, v8 dst_sel:DWORD dst_unused:UNUSED_PAD src0_sel:DWORD src1_sel:BYTE_0
	v_and_b32_e32 v8, s59, v8
	v_lshl_or_b32 v8, v8, 4, v24
	ds_add_u32 v8, v52
	s_or_b64 exec, exec, s[16:17]
	v_cmp_gt_u32_e32 vcc, s21, v19
	s_and_saveexec_b64 s[16:17], vcc
	s_cbranch_execz .LBB117_35
.LBB117_38:                             ;   in Loop: Header=BB117_24 Depth=2
	v_xor_b32_e32 v8, -1, v7
	v_lshrrev_b32_sdwa v8, s58, v8 dst_sel:DWORD dst_unused:UNUSED_PAD src0_sel:DWORD src1_sel:BYTE_0
	v_and_b32_e32 v8, s59, v8
	v_lshl_or_b32 v8, v8, 4, v24
	ds_add_u32 v8, v52
	s_or_b64 exec, exec, s[16:17]
	v_cmp_gt_u32_e32 vcc, s21, v20
	s_and_saveexec_b64 s[16:17], vcc
	s_cbranch_execz .LBB117_36
.LBB117_39:                             ;   in Loop: Header=BB117_24 Depth=2
	v_xor_b32_e32 v8, -1, v6
	v_lshrrev_b32_sdwa v8, s58, v8 dst_sel:DWORD dst_unused:UNUSED_PAD src0_sel:DWORD src1_sel:BYTE_0
	v_and_b32_e32 v8, s59, v8
	v_lshl_or_b32 v8, v8, 4, v24
	ds_add_u32 v8, v52
	s_or_b64 exec, exec, s[16:17]
	v_cmp_gt_u32_e32 vcc, s21, v21
	s_and_saveexec_b64 s[16:17], vcc
	s_cbranch_execz .LBB117_23
.LBB117_40:                             ;   in Loop: Header=BB117_24 Depth=2
	v_xor_b32_e32 v8, -1, v5
	v_lshrrev_b32_sdwa v8, s58, v8 dst_sel:DWORD dst_unused:UNUSED_PAD src0_sel:DWORD src1_sel:BYTE_0
	v_and_b32_e32 v8, s59, v8
	v_lshl_or_b32 v8, v8, 4, v24
	ds_add_u32 v8, v52
	s_branch .LBB117_23
.LBB117_41:                             ;   in Loop: Header=BB117_24 Depth=2
	v_mov_b32_e32 v4, s21
	s_waitcnt vmcnt(0)
	v_add_co_u32_e32 v8, vcc, s20, v0
	v_addc_co_u32_e32 v9, vcc, 0, v4, vcc
	global_load_ubyte v4, v[8:9], off
	s_or_b64 exec, exec, s[16:17]
	v_cmp_gt_u32_e32 vcc, s18, v19
	s_and_saveexec_b64 s[16:17], vcc
	s_cbranch_execz .LBB117_29
.LBB117_42:                             ;   in Loop: Header=BB117_24 Depth=2
	s_waitcnt vmcnt(0)
	v_mov_b32_e32 v8, s21
	v_add_co_u32_e32 v7, vcc, s20, v0
	v_addc_co_u32_e32 v8, vcc, 0, v8, vcc
	global_load_ubyte v7, v[7:8], off offset:256
	s_or_b64 exec, exec, s[16:17]
	v_cmp_gt_u32_e32 vcc, s18, v20
	s_and_saveexec_b64 s[16:17], vcc
	s_cbranch_execz .LBB117_30
.LBB117_43:                             ;   in Loop: Header=BB117_24 Depth=2
	v_mov_b32_e32 v6, s21
	s_waitcnt vmcnt(0)
	v_add_co_u32_e32 v8, vcc, s20, v0
	v_addc_co_u32_e32 v9, vcc, 0, v6, vcc
	global_load_ubyte v6, v[8:9], off offset:512
	s_or_b64 exec, exec, s[16:17]
	v_cmp_gt_u32_e32 vcc, s18, v21
	s_and_saveexec_b64 s[16:17], vcc
	s_cbranch_execnz .LBB117_31
	s_branch .LBB117_32
.LBB117_44:                             ;   in Loop: Header=BB117_20 Depth=1
	v_mov_b32_e32 v4, 0
	s_waitcnt lgkmcnt(0)
	s_barrier
	s_and_saveexec_b64 s[16:17], s[4:5]
	s_cbranch_execz .LBB117_46
; %bb.45:                               ;   in Loop: Header=BB117_20 Depth=1
	ds_read2_b64 v[4:7], v25 offset1:1
	s_waitcnt lgkmcnt(0)
	v_add_u32_e32 v4, v5, v4
	v_add3_u32 v4, v4, v6, v7
.LBB117_46:                             ;   in Loop: Header=BB117_20 Depth=1
	s_or_b64 exec, exec, s[16:17]
	s_nop 0
	v_mov_b32_dpp v5, v4 row_shr:1 row_mask:0xf bank_mask:0xf
	v_cmp_eq_u32_e64 s[16:17], 0, v55
	v_cndmask_b32_e64 v5, v5, 0, s[16:17]
	v_add_u32_e32 v4, v5, v4
	v_cmp_lt_u32_e64 s[18:19], 1, v55
	v_cmp_lt_u32_e64 s[20:21], 3, v55
	v_mov_b32_dpp v5, v4 row_shr:2 row_mask:0xf bank_mask:0xf
	v_cndmask_b32_e64 v5, 0, v5, s[18:19]
	v_add_u32_e32 v4, v4, v5
	v_cmp_lt_u32_e64 s[22:23], 7, v55
	v_cmp_lt_u32_e64 s[26:27], 31, v45
	v_mov_b32_dpp v5, v4 row_shr:4 row_mask:0xf bank_mask:0xf
	v_cndmask_b32_e64 v5, 0, v5, s[20:21]
	v_add_u32_e32 v4, v4, v5
	v_cmp_eq_u32_e64 s[24:25], 0, v57
	s_nop 0
	v_mov_b32_dpp v5, v4 row_shr:8 row_mask:0xf bank_mask:0xf
	v_cndmask_b32_e64 v5, 0, v5, s[22:23]
	v_add_u32_e32 v4, v4, v5
	s_nop 1
	v_mov_b32_dpp v5, v4 row_bcast:15 row_mask:0xf bank_mask:0xf
	v_and_b32_e32 v5, v56, v5
	v_add_u32_e32 v4, v4, v5
	s_nop 1
	v_mov_b32_dpp v5, v4 row_bcast:31 row_mask:0xf bank_mask:0xf
	v_cndmask_b32_e64 v5, 0, v5, s[26:27]
	v_add_u32_e32 v4, v4, v5
	s_and_saveexec_b64 s[28:29], s[6:7]
; %bb.47:                               ;   in Loop: Header=BB117_20 Depth=1
	ds_write_b32 v27, v4
; %bb.48:                               ;   in Loop: Header=BB117_20 Depth=1
	s_or_b64 exec, exec, s[28:29]
	s_waitcnt lgkmcnt(0)
	s_barrier
	s_and_saveexec_b64 s[28:29], s[8:9]
	s_cbranch_execz .LBB117_50
; %bb.49:                               ;   in Loop: Header=BB117_20 Depth=1
	ds_read_b32 v5, v48
	v_cmp_ne_u32_e32 vcc, 0, v58
	s_waitcnt lgkmcnt(0)
	v_mov_b32_dpp v6, v5 row_shr:1 row_mask:0xf bank_mask:0xf
	v_cndmask_b32_e32 v6, 0, v6, vcc
	v_add_u32_e32 v5, v6, v5
	v_cmp_lt_u32_e32 vcc, 1, v58
	s_nop 0
	v_mov_b32_dpp v6, v5 row_shr:2 row_mask:0xf bank_mask:0xf
	v_cndmask_b32_e32 v6, 0, v6, vcc
	v_add_u32_e32 v5, v5, v6
	ds_write_b32 v48, v5
.LBB117_50:                             ;   in Loop: Header=BB117_20 Depth=1
	s_or_b64 exec, exec, s[28:29]
	v_mov_b32_e32 v5, 0
	s_waitcnt lgkmcnt(0)
	s_barrier
	s_and_saveexec_b64 s[28:29], s[10:11]
; %bb.51:                               ;   in Loop: Header=BB117_20 Depth=1
	ds_read_b32 v5, v49
; %bb.52:                               ;   in Loop: Header=BB117_20 Depth=1
	s_or_b64 exec, exec, s[28:29]
	v_subrev_co_u32_e64 v6, s[28:29], 1, v45
	v_cmp_lt_i32_e32 vcc, v6, v59
	v_cndmask_b32_e32 v6, v6, v45, vcc
	s_waitcnt lgkmcnt(0)
	v_add_u32_e32 v4, v5, v4
	v_lshlrev_b32_e32 v64, 2, v6
	ds_bpermute_b32 v4, v64, v4
	s_waitcnt lgkmcnt(0)
	s_barrier
	s_and_saveexec_b64 s[30:31], s[4:5]
; %bb.53:                               ;   in Loop: Header=BB117_20 Depth=1
	v_cndmask_b32_e64 v4, v4, v5, s[28:29]
	v_add_u32_e32 v4, s49, v4
	ds_write_b32 v18, v4
; %bb.54:                               ;   in Loop: Header=BB117_20 Depth=1
	s_or_b64 exec, exec, s[30:31]
	s_load_dword s30, s[44:45], 0x4
	s_load_dword s36, s[44:45], 0xc
	v_add_co_u32_e32 v65, vcc, v29, v60
	v_addc_co_u32_e32 v66, vcc, 0, v30, vcc
	s_waitcnt lgkmcnt(0)
	s_cmp_lt_u32 s33, s30
	s_cselect_b32 s30, 14, 20
	s_add_u32 s30, s44, s30
	s_addc_u32 s31, s45, 0
	global_load_ushort v4, v3, s[30:31]
	s_and_b32 s36, s36, 0xffff
	v_add_co_u32_e32 v67, vcc, v31, v46
	v_cmp_eq_u32_e64 s[30:31], 0, v58
	v_cmp_lt_u32_e64 s[34:35], 1, v58
	v_addc_co_u32_e32 v68, vcc, 0, v32, vcc
	s_mov_b32 s60, s75
	s_mov_b32 s46, s49
                                        ; implicit-def: $vgpr7_vgpr8
                                        ; implicit-def: $vgpr9_vgpr10
                                        ; implicit-def: $vgpr11_vgpr12
                                        ; implicit-def: $vgpr69
                                        ; implicit-def: $vgpr70
                                        ; implicit-def: $vgpr72
                                        ; implicit-def: $vgpr73
	s_waitcnt vmcnt(0)
	v_mad_u32_u24 v4, v2, v4, v1
	v_mad_u64_u32 v[4:5], s[36:37], v4, s36, v[0:1]
                                        ; implicit-def: $vgpr5_vgpr6
	v_lshrrev_b32_e32 v4, 4, v4
	v_and_b32_e32 v71, 0xffffffc, v4
	s_branch .LBB117_56
.LBB117_55:                             ;   in Loop: Header=BB117_56 Depth=2
	s_or_b64 exec, exec, s[36:37]
	s_addk_i32 s60, 0xfc00
	s_cmp_lt_u32 s61, s76
	s_mov_b32 s46, s61
	s_cbranch_scc0 .LBB117_120
.LBB117_56:                             ;   Parent Loop BB117_20 Depth=1
                                        ; =>  This Inner Loop Header: Depth=2
	s_add_i32 s61, s46, 0x400
	s_cmp_gt_u32 s61, s76
	s_cbranch_scc1 .LBB117_58
; %bb.57:                               ;   in Loop: Header=BB117_56 Depth=2
	v_add_co_u32_e32 v13, vcc, s46, v67
	v_addc_co_u32_e32 v14, vcc, 0, v68, vcc
	global_load_ubyte v16, v[13:14], off offset:128
	global_load_ubyte v76, v[13:14], off offset:64
	global_load_ubyte v4, v[13:14], off
	s_mov_b64 s[36:37], -1
	s_movk_i32 s40, 0x400
                                        ; implicit-def: $vgpr15
	s_cbranch_execz .LBB117_59
	s_branch .LBB117_66
.LBB117_58:                             ;   in Loop: Header=BB117_56 Depth=2
	s_mov_b64 s[36:37], 0
                                        ; implicit-def: $vgpr4
                                        ; implicit-def: $vgpr76
                                        ; implicit-def: $vgpr16
	s_movk_i32 s40, 0x400
                                        ; implicit-def: $vgpr15
.LBB117_59:                             ;   in Loop: Header=BB117_56 Depth=2
	v_add_co_u32_e32 v13, vcc, s46, v67
	v_addc_co_u32_e32 v14, vcc, 0, v68, vcc
	v_cmp_gt_u32_e32 vcc, s60, v47
	s_waitcnt vmcnt(2)
	v_mov_b32_e32 v16, 0
	s_waitcnt vmcnt(0)
	v_mov_b32_e32 v4, 0
	v_mov_b32_e32 v15, 0
	s_and_saveexec_b64 s[36:37], vcc
	s_cbranch_execz .LBB117_61
; %bb.60:                               ;   in Loop: Header=BB117_56 Depth=2
	global_load_ubyte v4, v[13:14], off
	v_mov_b32_e32 v15, 0
.LBB117_61:                             ;   in Loop: Header=BB117_56 Depth=2
	s_or_b64 exec, exec, s[36:37]
	v_cmp_gt_u32_e32 vcc, s60, v61
	v_mov_b32_e32 v76, v16
	s_and_saveexec_b64 s[36:37], vcc
	s_cbranch_execz .LBB117_63
; %bb.62:                               ;   in Loop: Header=BB117_56 Depth=2
	global_load_ubyte v76, v[13:14], off offset:64
.LBB117_63:                             ;   in Loop: Header=BB117_56 Depth=2
	s_or_b64 exec, exec, s[36:37]
	v_cmp_gt_u32_e32 vcc, s60, v62
	s_and_saveexec_b64 s[36:37], vcc
	s_cbranch_execz .LBB117_65
; %bb.64:                               ;   in Loop: Header=BB117_56 Depth=2
	global_load_ubyte v16, v[13:14], off offset:128
.LBB117_65:                             ;   in Loop: Header=BB117_56 Depth=2
	s_or_b64 exec, exec, s[36:37]
	s_sub_i32 s40, s76, s46
	v_cmp_gt_u32_e64 s[36:37], s60, v63
.LBB117_66:                             ;   in Loop: Header=BB117_56 Depth=2
	v_mov_b32_e32 v74, s60
	s_and_saveexec_b64 s[38:39], s[36:37]
	s_cbranch_execz .LBB117_68
; %bb.67:                               ;   in Loop: Header=BB117_56 Depth=2
	v_mov_b32_e32 v14, s47
	v_add_co_u32_e32 v13, vcc, s46, v67
	v_addc_co_u32_e32 v14, vcc, v68, v14, vcc
	global_load_ubyte v15, v[13:14], off offset:192
	v_mov_b32_e32 v74, s40
.LBB117_68:                             ;   in Loop: Header=BB117_56 Depth=2
	s_or_b64 exec, exec, s[38:39]
	s_waitcnt vmcnt(0)
	v_xor_b32_e32 v17, -1, v4
	v_lshrrev_b32_sdwa v4, s58, v17 dst_sel:DWORD dst_unused:UNUSED_PAD src0_sel:DWORD src1_sel:BYTE_0
	v_and_b32_e32 v13, s59, v4
	v_and_b32_e32 v4, 1, v13
	v_add_co_u32_e32 v14, vcc, -1, v4
	v_addc_co_u32_e64 v75, s[36:37], 0, -1, vcc
	v_cmp_ne_u32_e32 vcc, 0, v4
	v_xor_b32_e32 v4, vcc_hi, v75
	v_and_b32_e32 v75, exec_hi, v4
	v_lshlrev_b32_e32 v4, 30, v13
	v_xor_b32_e32 v14, vcc_lo, v14
	v_cmp_gt_i64_e32 vcc, 0, v[3:4]
	v_not_b32_e32 v4, v4
	v_ashrrev_i32_e32 v4, 31, v4
	v_and_b32_e32 v14, exec_lo, v14
	v_xor_b32_e32 v78, vcc_hi, v4
	v_xor_b32_e32 v4, vcc_lo, v4
	v_and_b32_e32 v14, v14, v4
	v_lshlrev_b32_e32 v4, 29, v13
	v_cmp_gt_i64_e32 vcc, 0, v[3:4]
	v_not_b32_e32 v4, v4
	v_ashrrev_i32_e32 v4, 31, v4
	v_and_b32_e32 v75, v75, v78
	v_xor_b32_e32 v78, vcc_hi, v4
	v_xor_b32_e32 v4, vcc_lo, v4
	v_and_b32_e32 v14, v14, v4
	v_lshlrev_b32_e32 v4, 28, v13
	v_cmp_gt_i64_e32 vcc, 0, v[3:4]
	v_not_b32_e32 v4, v4
	v_ashrrev_i32_e32 v4, 31, v4
	v_and_b32_e32 v75, v75, v78
	;; [unrolled: 8-line block ×5, first 2 shown]
	v_xor_b32_e32 v78, vcc_hi, v4
	v_xor_b32_e32 v4, vcc_lo, v4
	v_and_b32_e32 v75, v75, v78
	v_and_b32_e32 v78, v14, v4
	v_lshlrev_b32_e32 v4, 24, v13
	v_cmp_gt_i64_e32 vcc, 0, v[3:4]
	v_not_b32_e32 v4, v4
	v_ashrrev_i32_e32 v4, 31, v4
	v_mul_u32_u24_e32 v77, 20, v13
	v_xor_b32_e32 v13, vcc_hi, v4
	v_xor_b32_e32 v4, vcc_lo, v4
	v_and_b32_e32 v14, v75, v13
	v_and_b32_e32 v13, v78, v4
	v_mbcnt_lo_u32_b32 v4, v13, 0
	v_mbcnt_hi_u32_b32 v75, v14, v4
	v_cmp_ne_u64_e32 vcc, 0, v[13:14]
	v_cmp_eq_u32_e64 s[36:37], 0, v75
	s_and_b64 s[38:39], vcc, s[36:37]
	v_add_u32_e32 v78, v71, v77
	ds_write2_b32 v53, v3, v3 offset1:1
	ds_write2_b32 v54, v3, v3 offset1:1
	ds_write_b32 v50, v3 offset:1056
	s_waitcnt lgkmcnt(0)
	s_barrier
	; wave barrier
	s_and_saveexec_b64 s[36:37], s[38:39]
; %bb.69:                               ;   in Loop: Header=BB117_56 Depth=2
	v_bcnt_u32_b32 v4, v13, 0
	v_bcnt_u32_b32 v4, v14, v4
	ds_write_b32 v78, v4 offset:1040
; %bb.70:                               ;   in Loop: Header=BB117_56 Depth=2
	s_or_b64 exec, exec, s[36:37]
	v_xor_b32_e32 v76, -1, v76
	v_lshrrev_b32_sdwa v4, s58, v76 dst_sel:DWORD dst_unused:UNUSED_PAD src0_sel:DWORD src1_sel:BYTE_0
	v_and_b32_e32 v13, s59, v4
	v_mad_u32_u24 v4, v13, 20, v71
	; wave barrier
	ds_read_b32 v77, v4 offset:1040
	v_and_b32_e32 v4, 1, v13
	v_add_co_u32_e32 v14, vcc, -1, v4
	v_addc_co_u32_e64 v79, s[36:37], 0, -1, vcc
	v_cmp_ne_u32_e32 vcc, 0, v4
	v_xor_b32_e32 v4, vcc_hi, v79
	v_and_b32_e32 v79, exec_hi, v4
	v_lshlrev_b32_e32 v4, 30, v13
	v_xor_b32_e32 v14, vcc_lo, v14
	v_cmp_gt_i64_e32 vcc, 0, v[3:4]
	v_not_b32_e32 v4, v4
	v_ashrrev_i32_e32 v4, 31, v4
	v_and_b32_e32 v14, exec_lo, v14
	v_xor_b32_e32 v81, vcc_hi, v4
	v_xor_b32_e32 v4, vcc_lo, v4
	v_and_b32_e32 v14, v14, v4
	v_lshlrev_b32_e32 v4, 29, v13
	v_cmp_gt_i64_e32 vcc, 0, v[3:4]
	v_not_b32_e32 v4, v4
	v_ashrrev_i32_e32 v4, 31, v4
	v_and_b32_e32 v79, v79, v81
	v_xor_b32_e32 v81, vcc_hi, v4
	v_xor_b32_e32 v4, vcc_lo, v4
	v_and_b32_e32 v14, v14, v4
	v_lshlrev_b32_e32 v4, 28, v13
	v_cmp_gt_i64_e32 vcc, 0, v[3:4]
	v_not_b32_e32 v4, v4
	v_ashrrev_i32_e32 v4, 31, v4
	v_and_b32_e32 v79, v79, v81
	;; [unrolled: 8-line block ×5, first 2 shown]
	v_xor_b32_e32 v81, vcc_hi, v4
	v_xor_b32_e32 v4, vcc_lo, v4
	v_and_b32_e32 v79, v79, v81
	v_and_b32_e32 v81, v14, v4
	v_lshlrev_b32_e32 v4, 24, v13
	v_cmp_gt_i64_e32 vcc, 0, v[3:4]
	v_not_b32_e32 v4, v4
	v_ashrrev_i32_e32 v4, 31, v4
	v_mul_u32_u24_e32 v80, 20, v13
	v_xor_b32_e32 v13, vcc_hi, v4
	v_xor_b32_e32 v4, vcc_lo, v4
	v_and_b32_e32 v14, v79, v13
	v_and_b32_e32 v13, v81, v4
	v_mbcnt_lo_u32_b32 v4, v13, 0
	v_mbcnt_hi_u32_b32 v79, v14, v4
	v_cmp_ne_u64_e32 vcc, 0, v[13:14]
	v_cmp_eq_u32_e64 s[36:37], 0, v79
	s_and_b64 s[38:39], vcc, s[36:37]
	v_add_u32_e32 v82, v71, v80
	; wave barrier
	s_and_saveexec_b64 s[36:37], s[38:39]
	s_cbranch_execz .LBB117_72
; %bb.71:                               ;   in Loop: Header=BB117_56 Depth=2
	v_bcnt_u32_b32 v4, v13, 0
	v_bcnt_u32_b32 v4, v14, v4
	s_waitcnt lgkmcnt(0)
	v_add_u32_e32 v4, v77, v4
	ds_write_b32 v82, v4 offset:1040
.LBB117_72:                             ;   in Loop: Header=BB117_56 Depth=2
	s_or_b64 exec, exec, s[36:37]
	v_xor_b32_e32 v80, -1, v16
	v_lshrrev_b32_sdwa v4, s58, v80 dst_sel:DWORD dst_unused:UNUSED_PAD src0_sel:DWORD src1_sel:BYTE_0
	v_and_b32_e32 v13, s59, v4
	v_mad_u32_u24 v4, v13, 20, v71
	; wave barrier
	ds_read_b32 v81, v4 offset:1040
	v_and_b32_e32 v4, 1, v13
	v_add_co_u32_e32 v14, vcc, -1, v4
	v_addc_co_u32_e64 v83, s[36:37], 0, -1, vcc
	v_cmp_ne_u32_e32 vcc, 0, v4
	v_xor_b32_e32 v4, vcc_hi, v83
	v_and_b32_e32 v83, exec_hi, v4
	v_lshlrev_b32_e32 v4, 30, v13
	v_xor_b32_e32 v14, vcc_lo, v14
	v_cmp_gt_i64_e32 vcc, 0, v[3:4]
	v_not_b32_e32 v4, v4
	v_ashrrev_i32_e32 v4, 31, v4
	v_and_b32_e32 v14, exec_lo, v14
	v_xor_b32_e32 v84, vcc_hi, v4
	v_xor_b32_e32 v4, vcc_lo, v4
	v_and_b32_e32 v14, v14, v4
	v_lshlrev_b32_e32 v4, 29, v13
	v_cmp_gt_i64_e32 vcc, 0, v[3:4]
	v_not_b32_e32 v4, v4
	v_ashrrev_i32_e32 v4, 31, v4
	v_and_b32_e32 v83, v83, v84
	v_xor_b32_e32 v84, vcc_hi, v4
	v_xor_b32_e32 v4, vcc_lo, v4
	v_and_b32_e32 v14, v14, v4
	v_lshlrev_b32_e32 v4, 28, v13
	v_cmp_gt_i64_e32 vcc, 0, v[3:4]
	v_not_b32_e32 v4, v4
	v_ashrrev_i32_e32 v4, 31, v4
	v_and_b32_e32 v83, v83, v84
	;; [unrolled: 8-line block ×5, first 2 shown]
	v_xor_b32_e32 v84, vcc_hi, v4
	v_xor_b32_e32 v4, vcc_lo, v4
	v_and_b32_e32 v83, v83, v84
	v_and_b32_e32 v84, v14, v4
	v_lshlrev_b32_e32 v4, 24, v13
	v_cmp_gt_i64_e32 vcc, 0, v[3:4]
	v_not_b32_e32 v4, v4
	v_ashrrev_i32_e32 v4, 31, v4
	v_mul_u32_u24_e32 v16, 20, v13
	v_xor_b32_e32 v13, vcc_hi, v4
	v_xor_b32_e32 v4, vcc_lo, v4
	v_and_b32_e32 v14, v83, v13
	v_and_b32_e32 v13, v84, v4
	v_mbcnt_lo_u32_b32 v4, v13, 0
	v_mbcnt_hi_u32_b32 v83, v14, v4
	v_cmp_ne_u64_e32 vcc, 0, v[13:14]
	v_cmp_eq_u32_e64 s[36:37], 0, v83
	s_and_b64 s[38:39], vcc, s[36:37]
	v_add_u32_e32 v86, v71, v16
	; wave barrier
	s_and_saveexec_b64 s[36:37], s[38:39]
	s_cbranch_execz .LBB117_74
; %bb.73:                               ;   in Loop: Header=BB117_56 Depth=2
	v_bcnt_u32_b32 v4, v13, 0
	v_bcnt_u32_b32 v4, v14, v4
	s_waitcnt lgkmcnt(0)
	v_add_u32_e32 v4, v81, v4
	ds_write_b32 v86, v4 offset:1040
.LBB117_74:                             ;   in Loop: Header=BB117_56 Depth=2
	s_or_b64 exec, exec, s[36:37]
	v_xor_b32_e32 v84, -1, v15
	v_lshrrev_b32_sdwa v4, s58, v84 dst_sel:DWORD dst_unused:UNUSED_PAD src0_sel:DWORD src1_sel:BYTE_0
	v_and_b32_e32 v13, s59, v4
	v_mad_u32_u24 v4, v13, 20, v71
	; wave barrier
	ds_read_b32 v85, v4 offset:1040
	v_and_b32_e32 v4, 1, v13
	v_add_co_u32_e32 v14, vcc, -1, v4
	v_addc_co_u32_e64 v16, s[36:37], 0, -1, vcc
	v_cmp_ne_u32_e32 vcc, 0, v4
	v_xor_b32_e32 v4, vcc_hi, v16
	v_and_b32_e32 v16, exec_hi, v4
	v_lshlrev_b32_e32 v4, 30, v13
	v_xor_b32_e32 v14, vcc_lo, v14
	v_cmp_gt_i64_e32 vcc, 0, v[3:4]
	v_not_b32_e32 v4, v4
	v_ashrrev_i32_e32 v4, 31, v4
	v_and_b32_e32 v14, exec_lo, v14
	v_xor_b32_e32 v87, vcc_hi, v4
	v_xor_b32_e32 v4, vcc_lo, v4
	v_and_b32_e32 v14, v14, v4
	v_lshlrev_b32_e32 v4, 29, v13
	v_cmp_gt_i64_e32 vcc, 0, v[3:4]
	v_not_b32_e32 v4, v4
	v_ashrrev_i32_e32 v4, 31, v4
	v_and_b32_e32 v16, v16, v87
	v_xor_b32_e32 v87, vcc_hi, v4
	v_xor_b32_e32 v4, vcc_lo, v4
	v_and_b32_e32 v14, v14, v4
	v_lshlrev_b32_e32 v4, 28, v13
	v_cmp_gt_i64_e32 vcc, 0, v[3:4]
	v_not_b32_e32 v4, v4
	v_ashrrev_i32_e32 v4, 31, v4
	v_and_b32_e32 v16, v16, v87
	v_xor_b32_e32 v87, vcc_hi, v4
	v_xor_b32_e32 v4, vcc_lo, v4
	v_and_b32_e32 v14, v14, v4
	v_lshlrev_b32_e32 v4, 27, v13
	v_cmp_gt_i64_e32 vcc, 0, v[3:4]
	v_not_b32_e32 v4, v4
	v_ashrrev_i32_e32 v4, 31, v4
	v_and_b32_e32 v16, v16, v87
	v_xor_b32_e32 v87, vcc_hi, v4
	v_xor_b32_e32 v4, vcc_lo, v4
	v_and_b32_e32 v14, v14, v4
	v_lshlrev_b32_e32 v4, 26, v13
	v_cmp_gt_i64_e32 vcc, 0, v[3:4]
	v_not_b32_e32 v4, v4
	v_ashrrev_i32_e32 v4, 31, v4
	v_and_b32_e32 v16, v16, v87
	v_xor_b32_e32 v87, vcc_hi, v4
	v_xor_b32_e32 v4, vcc_lo, v4
	v_and_b32_e32 v14, v14, v4
	v_lshlrev_b32_e32 v4, 25, v13
	v_cmp_gt_i64_e32 vcc, 0, v[3:4]
	v_not_b32_e32 v4, v4
	v_ashrrev_i32_e32 v4, 31, v4
	v_and_b32_e32 v16, v16, v87
	v_xor_b32_e32 v87, vcc_hi, v4
	v_xor_b32_e32 v4, vcc_lo, v4
	v_and_b32_e32 v16, v16, v87
	v_and_b32_e32 v87, v14, v4
	v_lshlrev_b32_e32 v4, 24, v13
	v_cmp_gt_i64_e32 vcc, 0, v[3:4]
	v_not_b32_e32 v4, v4
	v_ashrrev_i32_e32 v4, 31, v4
	v_mul_u32_u24_e32 v15, 20, v13
	v_xor_b32_e32 v13, vcc_hi, v4
	v_xor_b32_e32 v4, vcc_lo, v4
	v_and_b32_e32 v14, v16, v13
	v_and_b32_e32 v13, v87, v4
	v_mbcnt_lo_u32_b32 v4, v13, 0
	v_mbcnt_hi_u32_b32 v4, v14, v4
	v_cmp_ne_u64_e32 vcc, 0, v[13:14]
	v_cmp_eq_u32_e64 s[36:37], 0, v4
	s_and_b64 s[38:39], vcc, s[36:37]
	v_add_u32_e32 v87, v71, v15
	; wave barrier
	s_and_saveexec_b64 s[36:37], s[38:39]
	s_cbranch_execz .LBB117_76
; %bb.75:                               ;   in Loop: Header=BB117_56 Depth=2
	v_bcnt_u32_b32 v13, v13, 0
	v_bcnt_u32_b32 v13, v14, v13
	s_waitcnt lgkmcnt(0)
	v_add_u32_e32 v13, v85, v13
	ds_write_b32 v87, v13 offset:1040
.LBB117_76:                             ;   in Loop: Header=BB117_56 Depth=2
	s_or_b64 exec, exec, s[36:37]
	; wave barrier
	s_waitcnt lgkmcnt(0)
	s_barrier
	ds_read2_b32 v[15:16], v53 offset1:1
	ds_read2_b32 v[13:14], v54 offset1:1
	ds_read_b32 v88, v50 offset:1056
	s_waitcnt lgkmcnt(1)
	v_add3_u32 v89, v16, v15, v13
	s_waitcnt lgkmcnt(0)
	v_add3_u32 v88, v89, v14, v88
	s_nop 1
	v_mov_b32_dpp v89, v88 row_shr:1 row_mask:0xf bank_mask:0xf
	v_cndmask_b32_e64 v89, v89, 0, s[16:17]
	v_add_u32_e32 v88, v89, v88
	s_nop 1
	v_mov_b32_dpp v89, v88 row_shr:2 row_mask:0xf bank_mask:0xf
	v_cndmask_b32_e64 v89, 0, v89, s[18:19]
	v_add_u32_e32 v88, v88, v89
	;; [unrolled: 4-line block ×4, first 2 shown]
	s_nop 1
	v_mov_b32_dpp v89, v88 row_bcast:15 row_mask:0xf bank_mask:0xf
	v_cndmask_b32_e64 v89, v89, 0, s[24:25]
	v_add_u32_e32 v88, v88, v89
	s_nop 1
	v_mov_b32_dpp v89, v88 row_bcast:31 row_mask:0xf bank_mask:0xf
	v_cndmask_b32_e64 v89, 0, v89, s[26:27]
	v_add_u32_e32 v88, v88, v89
	s_and_saveexec_b64 s[36:37], s[6:7]
; %bb.77:                               ;   in Loop: Header=BB117_56 Depth=2
	ds_write_b32 v26, v88 offset:1024
; %bb.78:                               ;   in Loop: Header=BB117_56 Depth=2
	s_or_b64 exec, exec, s[36:37]
	s_waitcnt lgkmcnt(0)
	s_barrier
	s_and_saveexec_b64 s[36:37], s[8:9]
	s_cbranch_execz .LBB117_80
; %bb.79:                               ;   in Loop: Header=BB117_56 Depth=2
	v_add_u32_e32 v89, v50, v28
	ds_read_b32 v90, v89 offset:1024
	s_waitcnt lgkmcnt(0)
	s_nop 0
	v_mov_b32_dpp v91, v90 row_shr:1 row_mask:0xf bank_mask:0xf
	v_cndmask_b32_e64 v91, v91, 0, s[30:31]
	v_add_u32_e32 v90, v91, v90
	s_nop 1
	v_mov_b32_dpp v91, v90 row_shr:2 row_mask:0xf bank_mask:0xf
	v_cndmask_b32_e64 v91, 0, v91, s[34:35]
	v_add_u32_e32 v90, v90, v91
	ds_write_b32 v89, v90 offset:1024
.LBB117_80:                             ;   in Loop: Header=BB117_56 Depth=2
	s_or_b64 exec, exec, s[36:37]
	v_mov_b32_e32 v89, 0
	s_waitcnt lgkmcnt(0)
	s_barrier
	s_and_saveexec_b64 s[36:37], s[10:11]
; %bb.81:                               ;   in Loop: Header=BB117_56 Depth=2
	ds_read_b32 v89, v26 offset:1020
; %bb.82:                               ;   in Loop: Header=BB117_56 Depth=2
	s_or_b64 exec, exec, s[36:37]
	s_waitcnt lgkmcnt(0)
	v_add_u32_e32 v88, v89, v88
	ds_bpermute_b32 v88, v64, v88
	s_waitcnt lgkmcnt(0)
	v_cndmask_b32_e64 v88, v88, v89, s[28:29]
	v_cndmask_b32_e64 v88, v88, 0, s[12:13]
	v_add_u32_e32 v15, v88, v15
	v_add_u32_e32 v16, v15, v16
	;; [unrolled: 1-line block ×4, first 2 shown]
	ds_write2_b32 v53, v88, v15 offset1:1
	ds_write2_b32 v54, v16, v13 offset1:1
	ds_write_b32 v50, v14 offset:1056
	s_waitcnt lgkmcnt(0)
	s_barrier
	ds_read_b32 v13, v78 offset:1040
	ds_read_b32 v14, v82 offset:1040
	;; [unrolled: 1-line block ×5, first 2 shown]
	v_mov_b32_e32 v78, 0x400
	s_and_saveexec_b64 s[36:37], s[14:15]
; %bb.83:                               ;   in Loop: Header=BB117_56 Depth=2
	ds_read_b32 v78, v50 offset:1060
; %bb.84:                               ;   in Loop: Header=BB117_56 Depth=2
	s_or_b64 exec, exec, s[36:37]
	s_waitcnt lgkmcnt(0)
	s_barrier
	s_and_saveexec_b64 s[36:37], s[4:5]
	s_cbranch_execz .LBB117_86
; %bb.85:                               ;   in Loop: Header=BB117_56 Depth=2
	ds_read_b32 v86, v18
	s_waitcnt lgkmcnt(0)
	v_sub_u32_e32 v15, v86, v15
	ds_write_b32 v18, v15
.LBB117_86:                             ;   in Loop: Header=BB117_56 Depth=2
	s_or_b64 exec, exec, s[36:37]
	v_add_u32_e32 v15, v13, v75
	v_add3_u32 v14, v79, v77, v14
	v_add3_u32 v13, v83, v81, v16
	;; [unrolled: 1-line block ×3, first 2 shown]
	v_cmp_lt_u32_e64 s[40:41], v0, v74
	ds_write_b8 v15, v17 offset:1024
	ds_write_b8 v14, v76 offset:1024
	;; [unrolled: 1-line block ×4, first 2 shown]
	s_waitcnt lgkmcnt(0)
	s_barrier
	s_and_saveexec_b64 s[36:37], s[40:41]
	s_cbranch_execnz .LBB117_107
; %bb.87:                               ;   in Loop: Header=BB117_56 Depth=2
	s_or_b64 exec, exec, s[36:37]
	v_cmp_lt_u32_e64 s[38:39], v19, v74
	s_and_saveexec_b64 s[36:37], s[38:39]
	s_cbranch_execnz .LBB117_108
.LBB117_88:                             ;   in Loop: Header=BB117_56 Depth=2
	s_or_b64 exec, exec, s[36:37]
	v_cmp_lt_u32_e64 s[36:37], v20, v74
	s_and_saveexec_b64 s[42:43], s[36:37]
	s_cbranch_execnz .LBB117_109
.LBB117_89:                             ;   in Loop: Header=BB117_56 Depth=2
	s_or_b64 exec, exec, s[42:43]
	v_cmp_lt_u32_e32 vcc, v21, v74
	s_and_saveexec_b64 s[42:43], vcc
	s_cbranch_execz .LBB117_91
.LBB117_90:                             ;   in Loop: Header=BB117_56 Depth=2
	ds_read_u8 v16, v0 offset:1792
	s_waitcnt lgkmcnt(0)
	v_lshrrev_b32_sdwa v17, s58, v16 dst_sel:DWORD dst_unused:UNUSED_PAD src0_sel:DWORD src1_sel:BYTE_0
	v_and_b32_e32 v17, s59, v17
	v_lshlrev_b32_e32 v17, 2, v17
	ds_read_b32 v17, v17
	v_xor_b32_e32 v16, -1, v16
	s_waitcnt lgkmcnt(0)
	v_add_u32_e32 v17, v17, v21
	global_store_byte v17, v16, s[66:67]
.LBB117_91:                             ;   in Loop: Header=BB117_56 Depth=2
	s_or_b64 exec, exec, s[42:43]
	s_lshl_b64 s[42:43], s[46:47], 3
	v_mov_b32_e32 v17, s43
	v_add_co_u32_e64 v16, s[42:43], s42, v65
	v_addc_co_u32_e64 v17, s[42:43], v66, v17, s[42:43]
	v_cmp_lt_u32_e64 s[42:43], v47, v74
	s_and_saveexec_b64 s[56:57], s[42:43]
	s_xor_b64 s[42:43], exec, s[56:57]
	s_cbranch_execnz .LBB117_110
; %bb.92:                               ;   in Loop: Header=BB117_56 Depth=2
	s_or_b64 exec, exec, s[42:43]
	v_cmp_lt_u32_e64 s[42:43], v61, v74
	s_and_saveexec_b64 s[56:57], s[42:43]
	s_cbranch_execnz .LBB117_111
.LBB117_93:                             ;   in Loop: Header=BB117_56 Depth=2
	s_or_b64 exec, exec, s[56:57]
	v_cmp_lt_u32_e64 s[42:43], v62, v74
	s_and_saveexec_b64 s[56:57], s[42:43]
	s_cbranch_execnz .LBB117_112
.LBB117_94:                             ;   in Loop: Header=BB117_56 Depth=2
	s_or_b64 exec, exec, s[56:57]
	v_cmp_lt_u32_e64 s[42:43], v63, v74
	s_and_saveexec_b64 s[56:57], s[42:43]
	s_cbranch_execnz .LBB117_113
.LBB117_95:                             ;   in Loop: Header=BB117_56 Depth=2
	s_or_b64 exec, exec, s[56:57]
	s_and_saveexec_b64 s[42:43], s[40:41]
	s_cbranch_execnz .LBB117_114
.LBB117_96:                             ;   in Loop: Header=BB117_56 Depth=2
	s_or_b64 exec, exec, s[42:43]
	s_and_saveexec_b64 s[42:43], s[38:39]
	s_cbranch_execnz .LBB117_115
.LBB117_97:                             ;   in Loop: Header=BB117_56 Depth=2
	s_or_b64 exec, exec, s[42:43]
	s_and_saveexec_b64 s[42:43], s[36:37]
	s_cbranch_execnz .LBB117_116
.LBB117_98:                             ;   in Loop: Header=BB117_56 Depth=2
	s_or_b64 exec, exec, s[42:43]
	s_and_saveexec_b64 s[42:43], vcc
	s_cbranch_execz .LBB117_100
.LBB117_99:                             ;   in Loop: Header=BB117_56 Depth=2
	ds_read_u8 v16, v0 offset:1792
	s_waitcnt lgkmcnt(0)
	v_lshrrev_b32_e32 v16, s58, v16
	v_and_b32_e32 v69, s59, v16
.LBB117_100:                            ;   in Loop: Header=BB117_56 Depth=2
	s_or_b64 exec, exec, s[42:43]
	v_mad_u64_u32 v[15:16], s[42:43], v15, 7, v[15:16]
	s_waitcnt vmcnt(0)
	v_mad_u64_u32 v[74:75], s[42:43], v4, 7, v[4:5]
	v_mad_u64_u32 v[16:17], s[42:43], v14, 7, v[14:15]
	;; [unrolled: 1-line block ×3, first 2 shown]
	s_barrier
	ds_write_b64 v15, v[11:12] offset:1024
	ds_write_b64 v16, v[9:10] offset:1024
	;; [unrolled: 1-line block ×4, first 2 shown]
	s_waitcnt lgkmcnt(0)
	s_barrier
	s_and_saveexec_b64 s[42:43], s[40:41]
	s_cbranch_execnz .LBB117_117
; %bb.101:                              ;   in Loop: Header=BB117_56 Depth=2
	s_or_b64 exec, exec, s[42:43]
	s_and_saveexec_b64 s[40:41], s[38:39]
	s_cbranch_execnz .LBB117_118
.LBB117_102:                            ;   in Loop: Header=BB117_56 Depth=2
	s_or_b64 exec, exec, s[40:41]
	s_and_saveexec_b64 s[38:39], s[36:37]
	s_cbranch_execnz .LBB117_119
.LBB117_103:                            ;   in Loop: Header=BB117_56 Depth=2
	s_or_b64 exec, exec, s[38:39]
	s_and_saveexec_b64 s[36:37], vcc
	s_cbranch_execz .LBB117_105
.LBB117_104:                            ;   in Loop: Header=BB117_56 Depth=2
	v_lshlrev_b32_e32 v4, 2, v69
	ds_read_b32 v4, v4
	v_add_u32_e32 v13, v0, v51
	ds_read_b64 v[13:14], v13 offset:7168
	v_mov_b32_e32 v16, v3
	v_mov_b32_e32 v17, s53
	s_waitcnt lgkmcnt(1)
	v_add_u32_e32 v15, v4, v21
	v_lshlrev_b64 v[15:16], 3, v[15:16]
	v_add_co_u32_e32 v15, vcc, s52, v15
	v_addc_co_u32_e32 v16, vcc, v17, v16, vcc
	s_waitcnt lgkmcnt(0)
	global_store_dwordx2 v[15:16], v[13:14], off
.LBB117_105:                            ;   in Loop: Header=BB117_56 Depth=2
	s_or_b64 exec, exec, s[36:37]
	s_waitcnt vmcnt(0)
	s_barrier
	s_and_saveexec_b64 s[36:37], s[4:5]
	s_cbranch_execz .LBB117_55
; %bb.106:                              ;   in Loop: Header=BB117_56 Depth=2
	ds_read_b32 v4, v18
	s_waitcnt lgkmcnt(0)
	v_add_u32_e32 v4, v4, v78
	ds_write_b32 v18, v4
	s_branch .LBB117_55
.LBB117_107:                            ;   in Loop: Header=BB117_56 Depth=2
	ds_read_u8 v16, v0 offset:1024
	s_waitcnt lgkmcnt(0)
	v_lshrrev_b32_sdwa v17, s58, v16 dst_sel:DWORD dst_unused:UNUSED_PAD src0_sel:DWORD src1_sel:BYTE_0
	v_and_b32_e32 v17, s59, v17
	v_lshlrev_b32_e32 v17, 2, v17
	ds_read_b32 v17, v17
	v_xor_b32_e32 v16, -1, v16
	s_waitcnt lgkmcnt(0)
	v_add_u32_e32 v17, v17, v0
	global_store_byte v17, v16, s[66:67]
	s_or_b64 exec, exec, s[36:37]
	v_cmp_lt_u32_e64 s[38:39], v19, v74
	s_and_saveexec_b64 s[36:37], s[38:39]
	s_cbranch_execz .LBB117_88
.LBB117_108:                            ;   in Loop: Header=BB117_56 Depth=2
	ds_read_u8 v16, v0 offset:1280
	s_waitcnt lgkmcnt(0)
	v_lshrrev_b32_sdwa v17, s58, v16 dst_sel:DWORD dst_unused:UNUSED_PAD src0_sel:DWORD src1_sel:BYTE_0
	v_and_b32_e32 v17, s59, v17
	v_lshlrev_b32_e32 v17, 2, v17
	ds_read_b32 v17, v17
	v_xor_b32_e32 v16, -1, v16
	s_waitcnt lgkmcnt(0)
	v_add_u32_e32 v17, v17, v19
	global_store_byte v17, v16, s[66:67]
	s_or_b64 exec, exec, s[36:37]
	v_cmp_lt_u32_e64 s[36:37], v20, v74
	s_and_saveexec_b64 s[42:43], s[36:37]
	s_cbranch_execz .LBB117_89
.LBB117_109:                            ;   in Loop: Header=BB117_56 Depth=2
	ds_read_u8 v16, v0 offset:1536
	s_waitcnt lgkmcnt(0)
	v_lshrrev_b32_sdwa v17, s58, v16 dst_sel:DWORD dst_unused:UNUSED_PAD src0_sel:DWORD src1_sel:BYTE_0
	v_and_b32_e32 v17, s59, v17
	v_lshlrev_b32_e32 v17, 2, v17
	ds_read_b32 v17, v17
	v_xor_b32_e32 v16, -1, v16
	s_waitcnt lgkmcnt(0)
	v_add_u32_e32 v17, v17, v20
	global_store_byte v17, v16, s[66:67]
	s_or_b64 exec, exec, s[42:43]
	v_cmp_lt_u32_e32 vcc, v21, v74
	s_and_saveexec_b64 s[42:43], vcc
	s_cbranch_execnz .LBB117_90
	s_branch .LBB117_91
.LBB117_110:                            ;   in Loop: Header=BB117_56 Depth=2
	global_load_dwordx2 v[11:12], v[16:17], off
	s_or_b64 exec, exec, s[42:43]
	v_cmp_lt_u32_e64 s[42:43], v61, v74
	s_and_saveexec_b64 s[56:57], s[42:43]
	s_cbranch_execz .LBB117_93
.LBB117_111:                            ;   in Loop: Header=BB117_56 Depth=2
	global_load_dwordx2 v[9:10], v[16:17], off offset:512
	s_or_b64 exec, exec, s[56:57]
	v_cmp_lt_u32_e64 s[42:43], v62, v74
	s_and_saveexec_b64 s[56:57], s[42:43]
	s_cbranch_execz .LBB117_94
.LBB117_112:                            ;   in Loop: Header=BB117_56 Depth=2
	global_load_dwordx2 v[7:8], v[16:17], off offset:1024
	s_or_b64 exec, exec, s[56:57]
	v_cmp_lt_u32_e64 s[42:43], v63, v74
	s_and_saveexec_b64 s[56:57], s[42:43]
	s_cbranch_execz .LBB117_95
.LBB117_113:                            ;   in Loop: Header=BB117_56 Depth=2
	global_load_dwordx2 v[5:6], v[16:17], off offset:1536
	s_or_b64 exec, exec, s[56:57]
	s_and_saveexec_b64 s[42:43], s[40:41]
	s_cbranch_execz .LBB117_96
.LBB117_114:                            ;   in Loop: Header=BB117_56 Depth=2
	ds_read_u8 v16, v0 offset:1024
	s_waitcnt lgkmcnt(0)
	v_lshrrev_b32_e32 v16, s58, v16
	v_and_b32_e32 v73, s59, v16
	s_or_b64 exec, exec, s[42:43]
	s_and_saveexec_b64 s[42:43], s[38:39]
	s_cbranch_execz .LBB117_97
.LBB117_115:                            ;   in Loop: Header=BB117_56 Depth=2
	ds_read_u8 v16, v0 offset:1280
	s_waitcnt lgkmcnt(0)
	v_lshrrev_b32_e32 v16, s58, v16
	v_and_b32_e32 v72, s59, v16
	s_or_b64 exec, exec, s[42:43]
	s_and_saveexec_b64 s[42:43], s[36:37]
	s_cbranch_execz .LBB117_98
.LBB117_116:                            ;   in Loop: Header=BB117_56 Depth=2
	ds_read_u8 v16, v0 offset:1536
	s_waitcnt lgkmcnt(0)
	v_lshrrev_b32_e32 v16, s58, v16
	v_and_b32_e32 v70, s59, v16
	s_or_b64 exec, exec, s[42:43]
	s_and_saveexec_b64 s[42:43], vcc
	s_cbranch_execnz .LBB117_99
	s_branch .LBB117_100
.LBB117_117:                            ;   in Loop: Header=BB117_56 Depth=2
	v_lshlrev_b32_e32 v4, 2, v73
	ds_read_b32 v4, v4
	v_add_u32_e32 v13, v0, v51
	ds_read_b64 v[13:14], v13 offset:1024
	v_mov_b32_e32 v16, v3
	v_mov_b32_e32 v17, s53
	s_waitcnt lgkmcnt(1)
	v_add_u32_e32 v15, v4, v0
	v_lshlrev_b64 v[15:16], 3, v[15:16]
	v_add_co_u32_e64 v15, s[40:41], s52, v15
	v_addc_co_u32_e64 v16, s[40:41], v17, v16, s[40:41]
	s_waitcnt lgkmcnt(0)
	global_store_dwordx2 v[15:16], v[13:14], off
	s_or_b64 exec, exec, s[42:43]
	s_and_saveexec_b64 s[40:41], s[38:39]
	s_cbranch_execz .LBB117_102
.LBB117_118:                            ;   in Loop: Header=BB117_56 Depth=2
	v_lshlrev_b32_e32 v4, 2, v72
	ds_read_b32 v4, v4
	v_add_u32_e32 v13, v0, v51
	ds_read_b64 v[13:14], v13 offset:3072
	v_mov_b32_e32 v16, v3
	v_mov_b32_e32 v17, s53
	s_waitcnt lgkmcnt(1)
	v_add_u32_e32 v15, v4, v19
	v_lshlrev_b64 v[15:16], 3, v[15:16]
	v_add_co_u32_e64 v15, s[38:39], s52, v15
	v_addc_co_u32_e64 v16, s[38:39], v17, v16, s[38:39]
	s_waitcnt lgkmcnt(0)
	global_store_dwordx2 v[15:16], v[13:14], off
	s_or_b64 exec, exec, s[40:41]
	s_and_saveexec_b64 s[38:39], s[36:37]
	s_cbranch_execz .LBB117_103
.LBB117_119:                            ;   in Loop: Header=BB117_56 Depth=2
	v_lshlrev_b32_e32 v4, 2, v70
	ds_read_b32 v4, v4
	v_add_u32_e32 v13, v0, v51
	ds_read_b64 v[13:14], v13 offset:5120
	v_mov_b32_e32 v16, v3
	v_mov_b32_e32 v17, s53
	s_waitcnt lgkmcnt(1)
	v_add_u32_e32 v15, v4, v20
	v_lshlrev_b64 v[15:16], 3, v[15:16]
	v_add_co_u32_e64 v15, s[36:37], s52, v15
	v_addc_co_u32_e64 v16, s[36:37], v17, v16, s[36:37]
	s_waitcnt lgkmcnt(0)
	global_store_dwordx2 v[15:16], v[13:14], off
	s_or_b64 exec, exec, s[38:39]
	s_and_saveexec_b64 s[36:37], vcc
	s_cbranch_execnz .LBB117_104
	s_branch .LBB117_105
.LBB117_120:                            ;   in Loop: Header=BB117_20 Depth=1
	s_waitcnt lgkmcnt(0)
	s_barrier
	s_mov_b64 s[16:17], 0
.LBB117_121:                            ;   in Loop: Header=BB117_20 Depth=1
	s_and_b64 vcc, exec, s[16:17]
	s_cbranch_vccz .LBB117_221
; %bb.122:                              ;   in Loop: Header=BB117_20 Depth=1
	v_mov_b32_e32 v4, 0
	s_mov_b32 s18, s75
	s_mov_b32 s20, s49
	v_mov_b32_e32 v7, 0
	v_mov_b32_e32 v6, 0
	;; [unrolled: 1-line block ×3, first 2 shown]
	s_barrier
	s_branch .LBB117_124
.LBB117_123:                            ;   in Loop: Header=BB117_124 Depth=2
	s_or_b64 exec, exec, s[16:17]
	s_addk_i32 s18, 0xfc00
	s_cmp_ge_u32 s19, s76
	s_mov_b32 s20, s19
	s_cbranch_scc1 .LBB117_144
.LBB117_124:                            ;   Parent Loop BB117_20 Depth=1
                                        ; =>  This Inner Loop Header: Depth=2
	s_add_i32 s19, s20, 0x400
	s_cmp_gt_u32 s19, s76
	s_mov_b64 s[16:17], -1
                                        ; implicit-def: $vgpr8
                                        ; implicit-def: $vgpr9
                                        ; implicit-def: $vgpr10
                                        ; implicit-def: $vgpr11
	s_cbranch_scc1 .LBB117_126
; %bb.125:                              ;   in Loop: Header=BB117_124 Depth=2
	v_add_co_u32_e32 v12, vcc, s20, v33
	v_addc_co_u32_e32 v13, vcc, 0, v34, vcc
	global_load_ubyte v11, v[12:13], off offset:768
	global_load_ubyte v10, v[12:13], off offset:512
	;; [unrolled: 1-line block ×3, first 2 shown]
	global_load_ubyte v8, v[12:13], off
	s_mov_b64 s[16:17], 0
.LBB117_126:                            ;   in Loop: Header=BB117_124 Depth=2
	s_andn2_b64 vcc, exec, s[16:17]
	s_movk_i32 s21, 0x400
	s_cbranch_vccnz .LBB117_133
; %bb.127:                              ;   in Loop: Header=BB117_124 Depth=2
	s_add_u32 s20, s66, s20
	s_addc_u32 s21, s67, 0
	v_cmp_gt_u32_e32 vcc, s18, v0
	s_and_saveexec_b64 s[16:17], vcc
	s_cbranch_execnz .LBB117_141
; %bb.128:                              ;   in Loop: Header=BB117_124 Depth=2
	s_or_b64 exec, exec, s[16:17]
	v_cmp_gt_u32_e32 vcc, s18, v19
	s_and_saveexec_b64 s[16:17], vcc
	s_cbranch_execnz .LBB117_142
.LBB117_129:                            ;   in Loop: Header=BB117_124 Depth=2
	s_or_b64 exec, exec, s[16:17]
	v_cmp_gt_u32_e32 vcc, s18, v20
	s_and_saveexec_b64 s[16:17], vcc
	s_cbranch_execnz .LBB117_143
.LBB117_130:                            ;   in Loop: Header=BB117_124 Depth=2
	s_or_b64 exec, exec, s[16:17]
	v_cmp_gt_u32_e32 vcc, s18, v21
	s_and_saveexec_b64 s[16:17], vcc
	s_cbranch_execz .LBB117_132
.LBB117_131:                            ;   in Loop: Header=BB117_124 Depth=2
	v_mov_b32_e32 v5, s21
	s_waitcnt vmcnt(0)
	v_add_co_u32_e32 v8, vcc, s20, v0
	v_addc_co_u32_e32 v9, vcc, 0, v5, vcc
	global_load_ubyte v5, v[8:9], off offset:768
.LBB117_132:                            ;   in Loop: Header=BB117_124 Depth=2
	s_or_b64 exec, exec, s[16:17]
	s_mov_b32 s21, s18
	s_waitcnt vmcnt(0)
	v_mov_b32_e32 v8, v4
	v_mov_b32_e32 v9, v7
	;; [unrolled: 1-line block ×4, first 2 shown]
.LBB117_133:                            ;   in Loop: Header=BB117_124 Depth=2
	s_waitcnt vmcnt(3)
	v_mov_b32_e32 v5, v11
	s_waitcnt vmcnt(2)
	v_mov_b32_e32 v6, v10
	;; [unrolled: 2-line block ×4, first 2 shown]
	v_cmp_gt_u32_e32 vcc, s21, v0
	s_and_saveexec_b64 s[16:17], vcc
	s_cbranch_execnz .LBB117_137
; %bb.134:                              ;   in Loop: Header=BB117_124 Depth=2
	s_or_b64 exec, exec, s[16:17]
	v_cmp_gt_u32_e32 vcc, s21, v19
	s_and_saveexec_b64 s[16:17], vcc
	s_cbranch_execnz .LBB117_138
.LBB117_135:                            ;   in Loop: Header=BB117_124 Depth=2
	s_or_b64 exec, exec, s[16:17]
	v_cmp_gt_u32_e32 vcc, s21, v20
	s_and_saveexec_b64 s[16:17], vcc
	s_cbranch_execnz .LBB117_139
.LBB117_136:                            ;   in Loop: Header=BB117_124 Depth=2
	s_or_b64 exec, exec, s[16:17]
	v_cmp_gt_u32_e32 vcc, s21, v21
	s_and_saveexec_b64 s[16:17], vcc
	s_cbranch_execz .LBB117_123
	s_branch .LBB117_140
.LBB117_137:                            ;   in Loop: Header=BB117_124 Depth=2
	v_xor_b32_e32 v8, -1, v4
	v_lshrrev_b32_sdwa v8, s58, v8 dst_sel:DWORD dst_unused:UNUSED_PAD src0_sel:DWORD src1_sel:BYTE_0
	v_and_b32_e32 v8, s59, v8
	v_lshl_or_b32 v8, v8, 4, v24
	ds_add_u32 v8, v52
	s_or_b64 exec, exec, s[16:17]
	v_cmp_gt_u32_e32 vcc, s21, v19
	s_and_saveexec_b64 s[16:17], vcc
	s_cbranch_execz .LBB117_135
.LBB117_138:                            ;   in Loop: Header=BB117_124 Depth=2
	v_xor_b32_e32 v8, -1, v7
	v_lshrrev_b32_sdwa v8, s58, v8 dst_sel:DWORD dst_unused:UNUSED_PAD src0_sel:DWORD src1_sel:BYTE_0
	v_and_b32_e32 v8, s59, v8
	v_lshl_or_b32 v8, v8, 4, v24
	ds_add_u32 v8, v52
	s_or_b64 exec, exec, s[16:17]
	v_cmp_gt_u32_e32 vcc, s21, v20
	s_and_saveexec_b64 s[16:17], vcc
	s_cbranch_execz .LBB117_136
.LBB117_139:                            ;   in Loop: Header=BB117_124 Depth=2
	v_xor_b32_e32 v8, -1, v6
	v_lshrrev_b32_sdwa v8, s58, v8 dst_sel:DWORD dst_unused:UNUSED_PAD src0_sel:DWORD src1_sel:BYTE_0
	v_and_b32_e32 v8, s59, v8
	v_lshl_or_b32 v8, v8, 4, v24
	ds_add_u32 v8, v52
	s_or_b64 exec, exec, s[16:17]
	v_cmp_gt_u32_e32 vcc, s21, v21
	s_and_saveexec_b64 s[16:17], vcc
	s_cbranch_execz .LBB117_123
.LBB117_140:                            ;   in Loop: Header=BB117_124 Depth=2
	v_xor_b32_e32 v8, -1, v5
	v_lshrrev_b32_sdwa v8, s58, v8 dst_sel:DWORD dst_unused:UNUSED_PAD src0_sel:DWORD src1_sel:BYTE_0
	v_and_b32_e32 v8, s59, v8
	v_lshl_or_b32 v8, v8, 4, v24
	ds_add_u32 v8, v52
	s_branch .LBB117_123
.LBB117_141:                            ;   in Loop: Header=BB117_124 Depth=2
	v_mov_b32_e32 v4, s21
	s_waitcnt vmcnt(0)
	v_add_co_u32_e32 v8, vcc, s20, v0
	v_addc_co_u32_e32 v9, vcc, 0, v4, vcc
	global_load_ubyte v4, v[8:9], off
	s_or_b64 exec, exec, s[16:17]
	v_cmp_gt_u32_e32 vcc, s18, v19
	s_and_saveexec_b64 s[16:17], vcc
	s_cbranch_execz .LBB117_129
.LBB117_142:                            ;   in Loop: Header=BB117_124 Depth=2
	s_waitcnt vmcnt(0)
	v_mov_b32_e32 v8, s21
	v_add_co_u32_e32 v7, vcc, s20, v0
	v_addc_co_u32_e32 v8, vcc, 0, v8, vcc
	global_load_ubyte v7, v[7:8], off offset:256
	s_or_b64 exec, exec, s[16:17]
	v_cmp_gt_u32_e32 vcc, s18, v20
	s_and_saveexec_b64 s[16:17], vcc
	s_cbranch_execz .LBB117_130
.LBB117_143:                            ;   in Loop: Header=BB117_124 Depth=2
	v_mov_b32_e32 v6, s21
	s_waitcnt vmcnt(0)
	v_add_co_u32_e32 v8, vcc, s20, v0
	v_addc_co_u32_e32 v9, vcc, 0, v6, vcc
	global_load_ubyte v6, v[8:9], off offset:512
	s_or_b64 exec, exec, s[16:17]
	v_cmp_gt_u32_e32 vcc, s18, v21
	s_and_saveexec_b64 s[16:17], vcc
	s_cbranch_execnz .LBB117_131
	s_branch .LBB117_132
.LBB117_144:                            ;   in Loop: Header=BB117_20 Depth=1
	v_mov_b32_e32 v4, 0
	s_waitcnt lgkmcnt(0)
	s_barrier
	s_and_saveexec_b64 s[16:17], s[4:5]
	s_cbranch_execz .LBB117_146
; %bb.145:                              ;   in Loop: Header=BB117_20 Depth=1
	ds_read2_b64 v[4:7], v25 offset1:1
	s_waitcnt lgkmcnt(0)
	v_add_u32_e32 v4, v5, v4
	v_add3_u32 v4, v4, v6, v7
.LBB117_146:                            ;   in Loop: Header=BB117_20 Depth=1
	s_or_b64 exec, exec, s[16:17]
	s_nop 0
	v_mov_b32_dpp v5, v4 row_shr:1 row_mask:0xf bank_mask:0xf
	v_cmp_eq_u32_e64 s[16:17], 0, v55
	v_cndmask_b32_e64 v5, v5, 0, s[16:17]
	v_add_u32_e32 v4, v5, v4
	v_cmp_lt_u32_e64 s[18:19], 1, v55
	v_cmp_lt_u32_e64 s[20:21], 3, v55
	v_mov_b32_dpp v5, v4 row_shr:2 row_mask:0xf bank_mask:0xf
	v_cndmask_b32_e64 v5, 0, v5, s[18:19]
	v_add_u32_e32 v4, v4, v5
	v_cmp_lt_u32_e64 s[22:23], 7, v55
	v_cmp_lt_u32_e64 s[26:27], 31, v45
	v_mov_b32_dpp v5, v4 row_shr:4 row_mask:0xf bank_mask:0xf
	v_cndmask_b32_e64 v5, 0, v5, s[20:21]
	v_add_u32_e32 v4, v4, v5
	v_cmp_eq_u32_e64 s[24:25], 0, v57
	s_nop 0
	v_mov_b32_dpp v5, v4 row_shr:8 row_mask:0xf bank_mask:0xf
	v_cndmask_b32_e64 v5, 0, v5, s[22:23]
	v_add_u32_e32 v4, v4, v5
	s_nop 1
	v_mov_b32_dpp v5, v4 row_bcast:15 row_mask:0xf bank_mask:0xf
	v_and_b32_e32 v5, v56, v5
	v_add_u32_e32 v4, v4, v5
	s_nop 1
	v_mov_b32_dpp v5, v4 row_bcast:31 row_mask:0xf bank_mask:0xf
	v_cndmask_b32_e64 v5, 0, v5, s[26:27]
	v_add_u32_e32 v4, v4, v5
	s_and_saveexec_b64 s[28:29], s[6:7]
; %bb.147:                              ;   in Loop: Header=BB117_20 Depth=1
	ds_write_b32 v27, v4
; %bb.148:                              ;   in Loop: Header=BB117_20 Depth=1
	s_or_b64 exec, exec, s[28:29]
	s_waitcnt lgkmcnt(0)
	s_barrier
	s_and_saveexec_b64 s[28:29], s[8:9]
	s_cbranch_execz .LBB117_150
; %bb.149:                              ;   in Loop: Header=BB117_20 Depth=1
	ds_read_b32 v5, v48
	v_cmp_ne_u32_e32 vcc, 0, v58
	s_waitcnt lgkmcnt(0)
	v_mov_b32_dpp v6, v5 row_shr:1 row_mask:0xf bank_mask:0xf
	v_cndmask_b32_e32 v6, 0, v6, vcc
	v_add_u32_e32 v5, v6, v5
	v_cmp_lt_u32_e32 vcc, 1, v58
	s_nop 0
	v_mov_b32_dpp v6, v5 row_shr:2 row_mask:0xf bank_mask:0xf
	v_cndmask_b32_e32 v6, 0, v6, vcc
	v_add_u32_e32 v5, v5, v6
	ds_write_b32 v48, v5
.LBB117_150:                            ;   in Loop: Header=BB117_20 Depth=1
	s_or_b64 exec, exec, s[28:29]
	v_mov_b32_e32 v5, 0
	s_waitcnt lgkmcnt(0)
	s_barrier
	s_and_saveexec_b64 s[28:29], s[10:11]
; %bb.151:                              ;   in Loop: Header=BB117_20 Depth=1
	ds_read_b32 v5, v49
; %bb.152:                              ;   in Loop: Header=BB117_20 Depth=1
	s_or_b64 exec, exec, s[28:29]
	v_subrev_co_u32_e64 v6, s[28:29], 1, v45
	v_cmp_lt_i32_e32 vcc, v6, v59
	v_cndmask_b32_e32 v6, v6, v45, vcc
	s_waitcnt lgkmcnt(0)
	v_add_u32_e32 v4, v5, v4
	v_lshlrev_b32_e32 v64, 2, v6
	ds_bpermute_b32 v4, v64, v4
	s_waitcnt lgkmcnt(0)
	s_barrier
	s_and_saveexec_b64 s[30:31], s[4:5]
; %bb.153:                              ;   in Loop: Header=BB117_20 Depth=1
	v_cndmask_b32_e64 v4, v4, v5, s[28:29]
	v_add_u32_e32 v4, s49, v4
	ds_write_b32 v18, v4
; %bb.154:                              ;   in Loop: Header=BB117_20 Depth=1
	s_or_b64 exec, exec, s[30:31]
	s_load_dwordx2 s[30:31], s[44:45], 0x0
	v_add_co_u32_e32 v65, vcc, v35, v60
	v_addc_co_u32_e32 v66, vcc, 0, v36, vcc
	s_waitcnt lgkmcnt(0)
	s_cmp_lt_u32 s33, s31
	s_cselect_b32 s31, 14, 20
	s_add_u32 s34, s44, s31
	s_addc_u32 s35, s45, 0
	s_cmp_lt_u32 s48, s30
	s_cselect_b32 s30, 12, 18
	s_add_u32 s30, s44, s30
	global_load_ushort v4, v3, s[34:35]
	s_addc_u32 s31, s45, 0
	global_load_ushort v5, v3, s[30:31]
	v_add_co_u32_e32 v67, vcc, v37, v46
	v_cmp_eq_u32_e64 s[30:31], 0, v58
	v_cmp_lt_u32_e64 s[34:35], 1, v58
	v_addc_co_u32_e32 v68, vcc, 0, v38, vcc
	s_mov_b32 s60, s75
	s_mov_b32 s46, s49
                                        ; implicit-def: $vgpr7_vgpr8
                                        ; implicit-def: $vgpr9_vgpr10
                                        ; implicit-def: $vgpr11_vgpr12
                                        ; implicit-def: $vgpr69
                                        ; implicit-def: $vgpr70
                                        ; implicit-def: $vgpr72
                                        ; implicit-def: $vgpr73
	s_waitcnt vmcnt(1)
	v_mad_u32_u24 v4, v2, v4, v1
	s_waitcnt vmcnt(0)
	v_mad_u64_u32 v[4:5], s[36:37], v4, v5, v[0:1]
                                        ; implicit-def: $vgpr5_vgpr6
	v_lshrrev_b32_e32 v4, 4, v4
	v_and_b32_e32 v71, 0xffffffc, v4
	s_branch .LBB117_156
.LBB117_155:                            ;   in Loop: Header=BB117_156 Depth=2
	s_or_b64 exec, exec, s[36:37]
	s_addk_i32 s60, 0xfc00
	s_cmp_lt_u32 s61, s76
	s_mov_b32 s46, s61
	s_cbranch_scc0 .LBB117_220
.LBB117_156:                            ;   Parent Loop BB117_20 Depth=1
                                        ; =>  This Inner Loop Header: Depth=2
	s_add_i32 s61, s46, 0x400
	s_cmp_gt_u32 s61, s76
	s_cbranch_scc1 .LBB117_158
; %bb.157:                              ;   in Loop: Header=BB117_156 Depth=2
	v_add_co_u32_e32 v13, vcc, s46, v67
	v_addc_co_u32_e32 v14, vcc, 0, v68, vcc
	global_load_ubyte v16, v[13:14], off offset:128
	global_load_ubyte v76, v[13:14], off offset:64
	global_load_ubyte v4, v[13:14], off
	s_mov_b64 s[36:37], -1
	s_movk_i32 s40, 0x400
                                        ; implicit-def: $vgpr15
	s_cbranch_execz .LBB117_159
	s_branch .LBB117_166
.LBB117_158:                            ;   in Loop: Header=BB117_156 Depth=2
	s_mov_b64 s[36:37], 0
                                        ; implicit-def: $vgpr4
                                        ; implicit-def: $vgpr76
                                        ; implicit-def: $vgpr16
	s_movk_i32 s40, 0x400
                                        ; implicit-def: $vgpr15
.LBB117_159:                            ;   in Loop: Header=BB117_156 Depth=2
	v_add_co_u32_e32 v13, vcc, s46, v67
	v_addc_co_u32_e32 v14, vcc, 0, v68, vcc
	v_cmp_gt_u32_e32 vcc, s60, v47
	s_waitcnt vmcnt(2)
	v_mov_b32_e32 v16, 0
	s_waitcnt vmcnt(0)
	v_mov_b32_e32 v4, 0
	v_mov_b32_e32 v15, 0
	s_and_saveexec_b64 s[36:37], vcc
	s_cbranch_execz .LBB117_161
; %bb.160:                              ;   in Loop: Header=BB117_156 Depth=2
	global_load_ubyte v4, v[13:14], off
	v_mov_b32_e32 v15, 0
.LBB117_161:                            ;   in Loop: Header=BB117_156 Depth=2
	s_or_b64 exec, exec, s[36:37]
	v_cmp_gt_u32_e32 vcc, s60, v61
	v_mov_b32_e32 v76, v16
	s_and_saveexec_b64 s[36:37], vcc
	s_cbranch_execz .LBB117_163
; %bb.162:                              ;   in Loop: Header=BB117_156 Depth=2
	global_load_ubyte v76, v[13:14], off offset:64
.LBB117_163:                            ;   in Loop: Header=BB117_156 Depth=2
	s_or_b64 exec, exec, s[36:37]
	v_cmp_gt_u32_e32 vcc, s60, v62
	s_and_saveexec_b64 s[36:37], vcc
	s_cbranch_execz .LBB117_165
; %bb.164:                              ;   in Loop: Header=BB117_156 Depth=2
	global_load_ubyte v16, v[13:14], off offset:128
.LBB117_165:                            ;   in Loop: Header=BB117_156 Depth=2
	s_or_b64 exec, exec, s[36:37]
	s_sub_i32 s40, s76, s46
	v_cmp_gt_u32_e64 s[36:37], s60, v63
.LBB117_166:                            ;   in Loop: Header=BB117_156 Depth=2
	v_mov_b32_e32 v74, s60
	s_and_saveexec_b64 s[38:39], s[36:37]
	s_cbranch_execz .LBB117_168
; %bb.167:                              ;   in Loop: Header=BB117_156 Depth=2
	v_mov_b32_e32 v14, s47
	v_add_co_u32_e32 v13, vcc, s46, v67
	v_addc_co_u32_e32 v14, vcc, v68, v14, vcc
	global_load_ubyte v15, v[13:14], off offset:192
	v_mov_b32_e32 v74, s40
.LBB117_168:                            ;   in Loop: Header=BB117_156 Depth=2
	s_or_b64 exec, exec, s[38:39]
	s_waitcnt vmcnt(0)
	v_xor_b32_e32 v17, -1, v4
	v_lshrrev_b32_sdwa v4, s58, v17 dst_sel:DWORD dst_unused:UNUSED_PAD src0_sel:DWORD src1_sel:BYTE_0
	v_and_b32_e32 v13, s59, v4
	v_and_b32_e32 v4, 1, v13
	v_add_co_u32_e32 v14, vcc, -1, v4
	v_addc_co_u32_e64 v75, s[36:37], 0, -1, vcc
	v_cmp_ne_u32_e32 vcc, 0, v4
	v_xor_b32_e32 v4, vcc_hi, v75
	v_and_b32_e32 v75, exec_hi, v4
	v_lshlrev_b32_e32 v4, 30, v13
	v_xor_b32_e32 v14, vcc_lo, v14
	v_cmp_gt_i64_e32 vcc, 0, v[3:4]
	v_not_b32_e32 v4, v4
	v_ashrrev_i32_e32 v4, 31, v4
	v_and_b32_e32 v14, exec_lo, v14
	v_xor_b32_e32 v78, vcc_hi, v4
	v_xor_b32_e32 v4, vcc_lo, v4
	v_and_b32_e32 v14, v14, v4
	v_lshlrev_b32_e32 v4, 29, v13
	v_cmp_gt_i64_e32 vcc, 0, v[3:4]
	v_not_b32_e32 v4, v4
	v_ashrrev_i32_e32 v4, 31, v4
	v_and_b32_e32 v75, v75, v78
	v_xor_b32_e32 v78, vcc_hi, v4
	v_xor_b32_e32 v4, vcc_lo, v4
	v_and_b32_e32 v14, v14, v4
	v_lshlrev_b32_e32 v4, 28, v13
	v_cmp_gt_i64_e32 vcc, 0, v[3:4]
	v_not_b32_e32 v4, v4
	v_ashrrev_i32_e32 v4, 31, v4
	v_and_b32_e32 v75, v75, v78
	;; [unrolled: 8-line block ×5, first 2 shown]
	v_xor_b32_e32 v78, vcc_hi, v4
	v_xor_b32_e32 v4, vcc_lo, v4
	v_and_b32_e32 v75, v75, v78
	v_and_b32_e32 v78, v14, v4
	v_lshlrev_b32_e32 v4, 24, v13
	v_cmp_gt_i64_e32 vcc, 0, v[3:4]
	v_not_b32_e32 v4, v4
	v_ashrrev_i32_e32 v4, 31, v4
	v_mul_u32_u24_e32 v77, 20, v13
	v_xor_b32_e32 v13, vcc_hi, v4
	v_xor_b32_e32 v4, vcc_lo, v4
	v_and_b32_e32 v14, v75, v13
	v_and_b32_e32 v13, v78, v4
	v_mbcnt_lo_u32_b32 v4, v13, 0
	v_mbcnt_hi_u32_b32 v75, v14, v4
	v_cmp_ne_u64_e32 vcc, 0, v[13:14]
	v_cmp_eq_u32_e64 s[36:37], 0, v75
	s_and_b64 s[38:39], vcc, s[36:37]
	v_add_u32_e32 v78, v71, v77
	ds_write2_b32 v53, v3, v3 offset1:1
	ds_write2_b32 v54, v3, v3 offset1:1
	ds_write_b32 v50, v3 offset:1056
	s_waitcnt lgkmcnt(0)
	s_barrier
	; wave barrier
	s_and_saveexec_b64 s[36:37], s[38:39]
; %bb.169:                              ;   in Loop: Header=BB117_156 Depth=2
	v_bcnt_u32_b32 v4, v13, 0
	v_bcnt_u32_b32 v4, v14, v4
	ds_write_b32 v78, v4 offset:1040
; %bb.170:                              ;   in Loop: Header=BB117_156 Depth=2
	s_or_b64 exec, exec, s[36:37]
	v_xor_b32_e32 v76, -1, v76
	v_lshrrev_b32_sdwa v4, s58, v76 dst_sel:DWORD dst_unused:UNUSED_PAD src0_sel:DWORD src1_sel:BYTE_0
	v_and_b32_e32 v13, s59, v4
	v_mad_u32_u24 v4, v13, 20, v71
	; wave barrier
	ds_read_b32 v77, v4 offset:1040
	v_and_b32_e32 v4, 1, v13
	v_add_co_u32_e32 v14, vcc, -1, v4
	v_addc_co_u32_e64 v79, s[36:37], 0, -1, vcc
	v_cmp_ne_u32_e32 vcc, 0, v4
	v_xor_b32_e32 v4, vcc_hi, v79
	v_and_b32_e32 v79, exec_hi, v4
	v_lshlrev_b32_e32 v4, 30, v13
	v_xor_b32_e32 v14, vcc_lo, v14
	v_cmp_gt_i64_e32 vcc, 0, v[3:4]
	v_not_b32_e32 v4, v4
	v_ashrrev_i32_e32 v4, 31, v4
	v_and_b32_e32 v14, exec_lo, v14
	v_xor_b32_e32 v81, vcc_hi, v4
	v_xor_b32_e32 v4, vcc_lo, v4
	v_and_b32_e32 v14, v14, v4
	v_lshlrev_b32_e32 v4, 29, v13
	v_cmp_gt_i64_e32 vcc, 0, v[3:4]
	v_not_b32_e32 v4, v4
	v_ashrrev_i32_e32 v4, 31, v4
	v_and_b32_e32 v79, v79, v81
	v_xor_b32_e32 v81, vcc_hi, v4
	v_xor_b32_e32 v4, vcc_lo, v4
	v_and_b32_e32 v14, v14, v4
	v_lshlrev_b32_e32 v4, 28, v13
	v_cmp_gt_i64_e32 vcc, 0, v[3:4]
	v_not_b32_e32 v4, v4
	v_ashrrev_i32_e32 v4, 31, v4
	v_and_b32_e32 v79, v79, v81
	;; [unrolled: 8-line block ×5, first 2 shown]
	v_xor_b32_e32 v81, vcc_hi, v4
	v_xor_b32_e32 v4, vcc_lo, v4
	v_and_b32_e32 v79, v79, v81
	v_and_b32_e32 v81, v14, v4
	v_lshlrev_b32_e32 v4, 24, v13
	v_cmp_gt_i64_e32 vcc, 0, v[3:4]
	v_not_b32_e32 v4, v4
	v_ashrrev_i32_e32 v4, 31, v4
	v_mul_u32_u24_e32 v80, 20, v13
	v_xor_b32_e32 v13, vcc_hi, v4
	v_xor_b32_e32 v4, vcc_lo, v4
	v_and_b32_e32 v14, v79, v13
	v_and_b32_e32 v13, v81, v4
	v_mbcnt_lo_u32_b32 v4, v13, 0
	v_mbcnt_hi_u32_b32 v79, v14, v4
	v_cmp_ne_u64_e32 vcc, 0, v[13:14]
	v_cmp_eq_u32_e64 s[36:37], 0, v79
	s_and_b64 s[38:39], vcc, s[36:37]
	v_add_u32_e32 v82, v71, v80
	; wave barrier
	s_and_saveexec_b64 s[36:37], s[38:39]
	s_cbranch_execz .LBB117_172
; %bb.171:                              ;   in Loop: Header=BB117_156 Depth=2
	v_bcnt_u32_b32 v4, v13, 0
	v_bcnt_u32_b32 v4, v14, v4
	s_waitcnt lgkmcnt(0)
	v_add_u32_e32 v4, v77, v4
	ds_write_b32 v82, v4 offset:1040
.LBB117_172:                            ;   in Loop: Header=BB117_156 Depth=2
	s_or_b64 exec, exec, s[36:37]
	v_xor_b32_e32 v80, -1, v16
	v_lshrrev_b32_sdwa v4, s58, v80 dst_sel:DWORD dst_unused:UNUSED_PAD src0_sel:DWORD src1_sel:BYTE_0
	v_and_b32_e32 v13, s59, v4
	v_mad_u32_u24 v4, v13, 20, v71
	; wave barrier
	ds_read_b32 v81, v4 offset:1040
	v_and_b32_e32 v4, 1, v13
	v_add_co_u32_e32 v14, vcc, -1, v4
	v_addc_co_u32_e64 v83, s[36:37], 0, -1, vcc
	v_cmp_ne_u32_e32 vcc, 0, v4
	v_xor_b32_e32 v4, vcc_hi, v83
	v_and_b32_e32 v83, exec_hi, v4
	v_lshlrev_b32_e32 v4, 30, v13
	v_xor_b32_e32 v14, vcc_lo, v14
	v_cmp_gt_i64_e32 vcc, 0, v[3:4]
	v_not_b32_e32 v4, v4
	v_ashrrev_i32_e32 v4, 31, v4
	v_and_b32_e32 v14, exec_lo, v14
	v_xor_b32_e32 v84, vcc_hi, v4
	v_xor_b32_e32 v4, vcc_lo, v4
	v_and_b32_e32 v14, v14, v4
	v_lshlrev_b32_e32 v4, 29, v13
	v_cmp_gt_i64_e32 vcc, 0, v[3:4]
	v_not_b32_e32 v4, v4
	v_ashrrev_i32_e32 v4, 31, v4
	v_and_b32_e32 v83, v83, v84
	v_xor_b32_e32 v84, vcc_hi, v4
	v_xor_b32_e32 v4, vcc_lo, v4
	v_and_b32_e32 v14, v14, v4
	v_lshlrev_b32_e32 v4, 28, v13
	v_cmp_gt_i64_e32 vcc, 0, v[3:4]
	v_not_b32_e32 v4, v4
	v_ashrrev_i32_e32 v4, 31, v4
	v_and_b32_e32 v83, v83, v84
	v_xor_b32_e32 v84, vcc_hi, v4
	v_xor_b32_e32 v4, vcc_lo, v4
	v_and_b32_e32 v14, v14, v4
	v_lshlrev_b32_e32 v4, 27, v13
	v_cmp_gt_i64_e32 vcc, 0, v[3:4]
	v_not_b32_e32 v4, v4
	v_ashrrev_i32_e32 v4, 31, v4
	v_and_b32_e32 v83, v83, v84
	v_xor_b32_e32 v84, vcc_hi, v4
	v_xor_b32_e32 v4, vcc_lo, v4
	v_and_b32_e32 v14, v14, v4
	v_lshlrev_b32_e32 v4, 26, v13
	v_cmp_gt_i64_e32 vcc, 0, v[3:4]
	v_not_b32_e32 v4, v4
	v_ashrrev_i32_e32 v4, 31, v4
	v_and_b32_e32 v83, v83, v84
	v_xor_b32_e32 v84, vcc_hi, v4
	v_xor_b32_e32 v4, vcc_lo, v4
	v_and_b32_e32 v14, v14, v4
	v_lshlrev_b32_e32 v4, 25, v13
	v_cmp_gt_i64_e32 vcc, 0, v[3:4]
	v_not_b32_e32 v4, v4
	v_ashrrev_i32_e32 v4, 31, v4
	v_and_b32_e32 v83, v83, v84
	v_xor_b32_e32 v84, vcc_hi, v4
	v_xor_b32_e32 v4, vcc_lo, v4
	v_and_b32_e32 v83, v83, v84
	v_and_b32_e32 v84, v14, v4
	v_lshlrev_b32_e32 v4, 24, v13
	v_cmp_gt_i64_e32 vcc, 0, v[3:4]
	v_not_b32_e32 v4, v4
	v_ashrrev_i32_e32 v4, 31, v4
	v_mul_u32_u24_e32 v16, 20, v13
	v_xor_b32_e32 v13, vcc_hi, v4
	v_xor_b32_e32 v4, vcc_lo, v4
	v_and_b32_e32 v14, v83, v13
	v_and_b32_e32 v13, v84, v4
	v_mbcnt_lo_u32_b32 v4, v13, 0
	v_mbcnt_hi_u32_b32 v83, v14, v4
	v_cmp_ne_u64_e32 vcc, 0, v[13:14]
	v_cmp_eq_u32_e64 s[36:37], 0, v83
	s_and_b64 s[38:39], vcc, s[36:37]
	v_add_u32_e32 v86, v71, v16
	; wave barrier
	s_and_saveexec_b64 s[36:37], s[38:39]
	s_cbranch_execz .LBB117_174
; %bb.173:                              ;   in Loop: Header=BB117_156 Depth=2
	v_bcnt_u32_b32 v4, v13, 0
	v_bcnt_u32_b32 v4, v14, v4
	s_waitcnt lgkmcnt(0)
	v_add_u32_e32 v4, v81, v4
	ds_write_b32 v86, v4 offset:1040
.LBB117_174:                            ;   in Loop: Header=BB117_156 Depth=2
	s_or_b64 exec, exec, s[36:37]
	v_xor_b32_e32 v84, -1, v15
	v_lshrrev_b32_sdwa v4, s58, v84 dst_sel:DWORD dst_unused:UNUSED_PAD src0_sel:DWORD src1_sel:BYTE_0
	v_and_b32_e32 v13, s59, v4
	v_mad_u32_u24 v4, v13, 20, v71
	; wave barrier
	ds_read_b32 v85, v4 offset:1040
	v_and_b32_e32 v4, 1, v13
	v_add_co_u32_e32 v14, vcc, -1, v4
	v_addc_co_u32_e64 v16, s[36:37], 0, -1, vcc
	v_cmp_ne_u32_e32 vcc, 0, v4
	v_xor_b32_e32 v4, vcc_hi, v16
	v_and_b32_e32 v16, exec_hi, v4
	v_lshlrev_b32_e32 v4, 30, v13
	v_xor_b32_e32 v14, vcc_lo, v14
	v_cmp_gt_i64_e32 vcc, 0, v[3:4]
	v_not_b32_e32 v4, v4
	v_ashrrev_i32_e32 v4, 31, v4
	v_and_b32_e32 v14, exec_lo, v14
	v_xor_b32_e32 v87, vcc_hi, v4
	v_xor_b32_e32 v4, vcc_lo, v4
	v_and_b32_e32 v14, v14, v4
	v_lshlrev_b32_e32 v4, 29, v13
	v_cmp_gt_i64_e32 vcc, 0, v[3:4]
	v_not_b32_e32 v4, v4
	v_ashrrev_i32_e32 v4, 31, v4
	v_and_b32_e32 v16, v16, v87
	v_xor_b32_e32 v87, vcc_hi, v4
	v_xor_b32_e32 v4, vcc_lo, v4
	v_and_b32_e32 v14, v14, v4
	v_lshlrev_b32_e32 v4, 28, v13
	v_cmp_gt_i64_e32 vcc, 0, v[3:4]
	v_not_b32_e32 v4, v4
	v_ashrrev_i32_e32 v4, 31, v4
	v_and_b32_e32 v16, v16, v87
	;; [unrolled: 8-line block ×5, first 2 shown]
	v_xor_b32_e32 v87, vcc_hi, v4
	v_xor_b32_e32 v4, vcc_lo, v4
	v_and_b32_e32 v16, v16, v87
	v_and_b32_e32 v87, v14, v4
	v_lshlrev_b32_e32 v4, 24, v13
	v_cmp_gt_i64_e32 vcc, 0, v[3:4]
	v_not_b32_e32 v4, v4
	v_ashrrev_i32_e32 v4, 31, v4
	v_mul_u32_u24_e32 v15, 20, v13
	v_xor_b32_e32 v13, vcc_hi, v4
	v_xor_b32_e32 v4, vcc_lo, v4
	v_and_b32_e32 v14, v16, v13
	v_and_b32_e32 v13, v87, v4
	v_mbcnt_lo_u32_b32 v4, v13, 0
	v_mbcnt_hi_u32_b32 v4, v14, v4
	v_cmp_ne_u64_e32 vcc, 0, v[13:14]
	v_cmp_eq_u32_e64 s[36:37], 0, v4
	s_and_b64 s[38:39], vcc, s[36:37]
	v_add_u32_e32 v87, v71, v15
	; wave barrier
	s_and_saveexec_b64 s[36:37], s[38:39]
	s_cbranch_execz .LBB117_176
; %bb.175:                              ;   in Loop: Header=BB117_156 Depth=2
	v_bcnt_u32_b32 v13, v13, 0
	v_bcnt_u32_b32 v13, v14, v13
	s_waitcnt lgkmcnt(0)
	v_add_u32_e32 v13, v85, v13
	ds_write_b32 v87, v13 offset:1040
.LBB117_176:                            ;   in Loop: Header=BB117_156 Depth=2
	s_or_b64 exec, exec, s[36:37]
	; wave barrier
	s_waitcnt lgkmcnt(0)
	s_barrier
	ds_read2_b32 v[15:16], v53 offset1:1
	ds_read2_b32 v[13:14], v54 offset1:1
	ds_read_b32 v88, v50 offset:1056
	s_waitcnt lgkmcnt(1)
	v_add3_u32 v89, v16, v15, v13
	s_waitcnt lgkmcnt(0)
	v_add3_u32 v88, v89, v14, v88
	s_nop 1
	v_mov_b32_dpp v89, v88 row_shr:1 row_mask:0xf bank_mask:0xf
	v_cndmask_b32_e64 v89, v89, 0, s[16:17]
	v_add_u32_e32 v88, v89, v88
	s_nop 1
	v_mov_b32_dpp v89, v88 row_shr:2 row_mask:0xf bank_mask:0xf
	v_cndmask_b32_e64 v89, 0, v89, s[18:19]
	v_add_u32_e32 v88, v88, v89
	;; [unrolled: 4-line block ×4, first 2 shown]
	s_nop 1
	v_mov_b32_dpp v89, v88 row_bcast:15 row_mask:0xf bank_mask:0xf
	v_cndmask_b32_e64 v89, v89, 0, s[24:25]
	v_add_u32_e32 v88, v88, v89
	s_nop 1
	v_mov_b32_dpp v89, v88 row_bcast:31 row_mask:0xf bank_mask:0xf
	v_cndmask_b32_e64 v89, 0, v89, s[26:27]
	v_add_u32_e32 v88, v88, v89
	s_and_saveexec_b64 s[36:37], s[6:7]
; %bb.177:                              ;   in Loop: Header=BB117_156 Depth=2
	ds_write_b32 v26, v88 offset:1024
; %bb.178:                              ;   in Loop: Header=BB117_156 Depth=2
	s_or_b64 exec, exec, s[36:37]
	s_waitcnt lgkmcnt(0)
	s_barrier
	s_and_saveexec_b64 s[36:37], s[8:9]
	s_cbranch_execz .LBB117_180
; %bb.179:                              ;   in Loop: Header=BB117_156 Depth=2
	v_add_u32_e32 v89, v50, v28
	ds_read_b32 v90, v89 offset:1024
	s_waitcnt lgkmcnt(0)
	s_nop 0
	v_mov_b32_dpp v91, v90 row_shr:1 row_mask:0xf bank_mask:0xf
	v_cndmask_b32_e64 v91, v91, 0, s[30:31]
	v_add_u32_e32 v90, v91, v90
	s_nop 1
	v_mov_b32_dpp v91, v90 row_shr:2 row_mask:0xf bank_mask:0xf
	v_cndmask_b32_e64 v91, 0, v91, s[34:35]
	v_add_u32_e32 v90, v90, v91
	ds_write_b32 v89, v90 offset:1024
.LBB117_180:                            ;   in Loop: Header=BB117_156 Depth=2
	s_or_b64 exec, exec, s[36:37]
	v_mov_b32_e32 v89, 0
	s_waitcnt lgkmcnt(0)
	s_barrier
	s_and_saveexec_b64 s[36:37], s[10:11]
; %bb.181:                              ;   in Loop: Header=BB117_156 Depth=2
	ds_read_b32 v89, v26 offset:1020
; %bb.182:                              ;   in Loop: Header=BB117_156 Depth=2
	s_or_b64 exec, exec, s[36:37]
	s_waitcnt lgkmcnt(0)
	v_add_u32_e32 v88, v89, v88
	ds_bpermute_b32 v88, v64, v88
	s_waitcnt lgkmcnt(0)
	v_cndmask_b32_e64 v88, v88, v89, s[28:29]
	v_cndmask_b32_e64 v88, v88, 0, s[12:13]
	v_add_u32_e32 v15, v88, v15
	v_add_u32_e32 v16, v15, v16
	;; [unrolled: 1-line block ×4, first 2 shown]
	ds_write2_b32 v53, v88, v15 offset1:1
	ds_write2_b32 v54, v16, v13 offset1:1
	ds_write_b32 v50, v14 offset:1056
	s_waitcnt lgkmcnt(0)
	s_barrier
	ds_read_b32 v13, v78 offset:1040
	ds_read_b32 v14, v82 offset:1040
	;; [unrolled: 1-line block ×5, first 2 shown]
	v_mov_b32_e32 v78, 0x400
	s_and_saveexec_b64 s[36:37], s[14:15]
; %bb.183:                              ;   in Loop: Header=BB117_156 Depth=2
	ds_read_b32 v78, v50 offset:1060
; %bb.184:                              ;   in Loop: Header=BB117_156 Depth=2
	s_or_b64 exec, exec, s[36:37]
	s_waitcnt lgkmcnt(0)
	s_barrier
	s_and_saveexec_b64 s[36:37], s[4:5]
	s_cbranch_execz .LBB117_186
; %bb.185:                              ;   in Loop: Header=BB117_156 Depth=2
	ds_read_b32 v86, v18
	s_waitcnt lgkmcnt(0)
	v_sub_u32_e32 v15, v86, v15
	ds_write_b32 v18, v15
.LBB117_186:                            ;   in Loop: Header=BB117_156 Depth=2
	s_or_b64 exec, exec, s[36:37]
	v_add_u32_e32 v15, v13, v75
	v_add3_u32 v14, v79, v77, v14
	v_add3_u32 v13, v83, v81, v16
	;; [unrolled: 1-line block ×3, first 2 shown]
	v_cmp_lt_u32_e64 s[40:41], v0, v74
	ds_write_b8 v15, v17 offset:1024
	ds_write_b8 v14, v76 offset:1024
	;; [unrolled: 1-line block ×4, first 2 shown]
	s_waitcnt lgkmcnt(0)
	s_barrier
	s_and_saveexec_b64 s[36:37], s[40:41]
	s_cbranch_execnz .LBB117_207
; %bb.187:                              ;   in Loop: Header=BB117_156 Depth=2
	s_or_b64 exec, exec, s[36:37]
	v_cmp_lt_u32_e64 s[38:39], v19, v74
	s_and_saveexec_b64 s[36:37], s[38:39]
	s_cbranch_execnz .LBB117_208
.LBB117_188:                            ;   in Loop: Header=BB117_156 Depth=2
	s_or_b64 exec, exec, s[36:37]
	v_cmp_lt_u32_e64 s[36:37], v20, v74
	s_and_saveexec_b64 s[42:43], s[36:37]
	s_cbranch_execnz .LBB117_209
.LBB117_189:                            ;   in Loop: Header=BB117_156 Depth=2
	s_or_b64 exec, exec, s[42:43]
	v_cmp_lt_u32_e32 vcc, v21, v74
	s_and_saveexec_b64 s[42:43], vcc
	s_cbranch_execz .LBB117_191
.LBB117_190:                            ;   in Loop: Header=BB117_156 Depth=2
	ds_read_u8 v16, v0 offset:1792
	s_waitcnt lgkmcnt(0)
	v_lshrrev_b32_sdwa v17, s58, v16 dst_sel:DWORD dst_unused:UNUSED_PAD src0_sel:DWORD src1_sel:BYTE_0
	v_and_b32_e32 v17, s59, v17
	v_lshlrev_b32_e32 v17, 2, v17
	ds_read_b32 v17, v17
	v_xor_b32_e32 v16, -1, v16
	s_waitcnt lgkmcnt(0)
	v_add_u32_e32 v17, v17, v21
	global_store_byte v17, v16, s[68:69]
.LBB117_191:                            ;   in Loop: Header=BB117_156 Depth=2
	s_or_b64 exec, exec, s[42:43]
	s_lshl_b64 s[42:43], s[46:47], 3
	v_mov_b32_e32 v17, s43
	v_add_co_u32_e64 v16, s[42:43], s42, v65
	v_addc_co_u32_e64 v17, s[42:43], v66, v17, s[42:43]
	v_cmp_lt_u32_e64 s[42:43], v47, v74
	s_and_saveexec_b64 s[56:57], s[42:43]
	s_xor_b64 s[42:43], exec, s[56:57]
	s_cbranch_execnz .LBB117_210
; %bb.192:                              ;   in Loop: Header=BB117_156 Depth=2
	s_or_b64 exec, exec, s[42:43]
	v_cmp_lt_u32_e64 s[42:43], v61, v74
	s_and_saveexec_b64 s[56:57], s[42:43]
	s_cbranch_execnz .LBB117_211
.LBB117_193:                            ;   in Loop: Header=BB117_156 Depth=2
	s_or_b64 exec, exec, s[56:57]
	v_cmp_lt_u32_e64 s[42:43], v62, v74
	s_and_saveexec_b64 s[56:57], s[42:43]
	s_cbranch_execnz .LBB117_212
.LBB117_194:                            ;   in Loop: Header=BB117_156 Depth=2
	s_or_b64 exec, exec, s[56:57]
	v_cmp_lt_u32_e64 s[42:43], v63, v74
	s_and_saveexec_b64 s[56:57], s[42:43]
	s_cbranch_execnz .LBB117_213
.LBB117_195:                            ;   in Loop: Header=BB117_156 Depth=2
	s_or_b64 exec, exec, s[56:57]
	s_and_saveexec_b64 s[42:43], s[40:41]
	s_cbranch_execnz .LBB117_214
.LBB117_196:                            ;   in Loop: Header=BB117_156 Depth=2
	s_or_b64 exec, exec, s[42:43]
	s_and_saveexec_b64 s[42:43], s[38:39]
	s_cbranch_execnz .LBB117_215
.LBB117_197:                            ;   in Loop: Header=BB117_156 Depth=2
	s_or_b64 exec, exec, s[42:43]
	s_and_saveexec_b64 s[42:43], s[36:37]
	s_cbranch_execnz .LBB117_216
.LBB117_198:                            ;   in Loop: Header=BB117_156 Depth=2
	s_or_b64 exec, exec, s[42:43]
	s_and_saveexec_b64 s[42:43], vcc
	s_cbranch_execz .LBB117_200
.LBB117_199:                            ;   in Loop: Header=BB117_156 Depth=2
	ds_read_u8 v16, v0 offset:1792
	s_waitcnt lgkmcnt(0)
	v_lshrrev_b32_e32 v16, s58, v16
	v_and_b32_e32 v69, s59, v16
.LBB117_200:                            ;   in Loop: Header=BB117_156 Depth=2
	s_or_b64 exec, exec, s[42:43]
	v_mad_u64_u32 v[15:16], s[42:43], v15, 7, v[15:16]
	s_waitcnt vmcnt(0)
	v_mad_u64_u32 v[74:75], s[42:43], v4, 7, v[4:5]
	v_mad_u64_u32 v[16:17], s[42:43], v14, 7, v[14:15]
	;; [unrolled: 1-line block ×3, first 2 shown]
	s_barrier
	ds_write_b64 v15, v[11:12] offset:1024
	ds_write_b64 v16, v[9:10] offset:1024
	;; [unrolled: 1-line block ×4, first 2 shown]
	s_waitcnt lgkmcnt(0)
	s_barrier
	s_and_saveexec_b64 s[42:43], s[40:41]
	s_cbranch_execnz .LBB117_217
; %bb.201:                              ;   in Loop: Header=BB117_156 Depth=2
	s_or_b64 exec, exec, s[42:43]
	s_and_saveexec_b64 s[40:41], s[38:39]
	s_cbranch_execnz .LBB117_218
.LBB117_202:                            ;   in Loop: Header=BB117_156 Depth=2
	s_or_b64 exec, exec, s[40:41]
	s_and_saveexec_b64 s[38:39], s[36:37]
	s_cbranch_execnz .LBB117_219
.LBB117_203:                            ;   in Loop: Header=BB117_156 Depth=2
	s_or_b64 exec, exec, s[38:39]
	s_and_saveexec_b64 s[36:37], vcc
	s_cbranch_execz .LBB117_205
.LBB117_204:                            ;   in Loop: Header=BB117_156 Depth=2
	v_lshlrev_b32_e32 v4, 2, v69
	ds_read_b32 v4, v4
	v_add_u32_e32 v13, v0, v51
	ds_read_b64 v[13:14], v13 offset:7168
	v_mov_b32_e32 v16, v3
	v_mov_b32_e32 v17, s55
	s_waitcnt lgkmcnt(1)
	v_add_u32_e32 v15, v4, v21
	v_lshlrev_b64 v[15:16], 3, v[15:16]
	v_add_co_u32_e32 v15, vcc, s54, v15
	v_addc_co_u32_e32 v16, vcc, v17, v16, vcc
	s_waitcnt lgkmcnt(0)
	global_store_dwordx2 v[15:16], v[13:14], off
.LBB117_205:                            ;   in Loop: Header=BB117_156 Depth=2
	s_or_b64 exec, exec, s[36:37]
	s_waitcnt vmcnt(0)
	s_barrier
	s_and_saveexec_b64 s[36:37], s[4:5]
	s_cbranch_execz .LBB117_155
; %bb.206:                              ;   in Loop: Header=BB117_156 Depth=2
	ds_read_b32 v4, v18
	s_waitcnt lgkmcnt(0)
	v_add_u32_e32 v4, v4, v78
	ds_write_b32 v18, v4
	s_branch .LBB117_155
.LBB117_207:                            ;   in Loop: Header=BB117_156 Depth=2
	ds_read_u8 v16, v0 offset:1024
	s_waitcnt lgkmcnt(0)
	v_lshrrev_b32_sdwa v17, s58, v16 dst_sel:DWORD dst_unused:UNUSED_PAD src0_sel:DWORD src1_sel:BYTE_0
	v_and_b32_e32 v17, s59, v17
	v_lshlrev_b32_e32 v17, 2, v17
	ds_read_b32 v17, v17
	v_xor_b32_e32 v16, -1, v16
	s_waitcnt lgkmcnt(0)
	v_add_u32_e32 v17, v17, v0
	global_store_byte v17, v16, s[68:69]
	s_or_b64 exec, exec, s[36:37]
	v_cmp_lt_u32_e64 s[38:39], v19, v74
	s_and_saveexec_b64 s[36:37], s[38:39]
	s_cbranch_execz .LBB117_188
.LBB117_208:                            ;   in Loop: Header=BB117_156 Depth=2
	ds_read_u8 v16, v0 offset:1280
	s_waitcnt lgkmcnt(0)
	v_lshrrev_b32_sdwa v17, s58, v16 dst_sel:DWORD dst_unused:UNUSED_PAD src0_sel:DWORD src1_sel:BYTE_0
	v_and_b32_e32 v17, s59, v17
	v_lshlrev_b32_e32 v17, 2, v17
	ds_read_b32 v17, v17
	v_xor_b32_e32 v16, -1, v16
	s_waitcnt lgkmcnt(0)
	v_add_u32_e32 v17, v17, v19
	global_store_byte v17, v16, s[68:69]
	s_or_b64 exec, exec, s[36:37]
	v_cmp_lt_u32_e64 s[36:37], v20, v74
	s_and_saveexec_b64 s[42:43], s[36:37]
	s_cbranch_execz .LBB117_189
.LBB117_209:                            ;   in Loop: Header=BB117_156 Depth=2
	ds_read_u8 v16, v0 offset:1536
	s_waitcnt lgkmcnt(0)
	v_lshrrev_b32_sdwa v17, s58, v16 dst_sel:DWORD dst_unused:UNUSED_PAD src0_sel:DWORD src1_sel:BYTE_0
	v_and_b32_e32 v17, s59, v17
	v_lshlrev_b32_e32 v17, 2, v17
	ds_read_b32 v17, v17
	v_xor_b32_e32 v16, -1, v16
	s_waitcnt lgkmcnt(0)
	v_add_u32_e32 v17, v17, v20
	global_store_byte v17, v16, s[68:69]
	s_or_b64 exec, exec, s[42:43]
	v_cmp_lt_u32_e32 vcc, v21, v74
	s_and_saveexec_b64 s[42:43], vcc
	s_cbranch_execnz .LBB117_190
	s_branch .LBB117_191
.LBB117_210:                            ;   in Loop: Header=BB117_156 Depth=2
	global_load_dwordx2 v[11:12], v[16:17], off
	s_or_b64 exec, exec, s[42:43]
	v_cmp_lt_u32_e64 s[42:43], v61, v74
	s_and_saveexec_b64 s[56:57], s[42:43]
	s_cbranch_execz .LBB117_193
.LBB117_211:                            ;   in Loop: Header=BB117_156 Depth=2
	global_load_dwordx2 v[9:10], v[16:17], off offset:512
	s_or_b64 exec, exec, s[56:57]
	v_cmp_lt_u32_e64 s[42:43], v62, v74
	s_and_saveexec_b64 s[56:57], s[42:43]
	s_cbranch_execz .LBB117_194
.LBB117_212:                            ;   in Loop: Header=BB117_156 Depth=2
	global_load_dwordx2 v[7:8], v[16:17], off offset:1024
	s_or_b64 exec, exec, s[56:57]
	v_cmp_lt_u32_e64 s[42:43], v63, v74
	s_and_saveexec_b64 s[56:57], s[42:43]
	s_cbranch_execz .LBB117_195
.LBB117_213:                            ;   in Loop: Header=BB117_156 Depth=2
	global_load_dwordx2 v[5:6], v[16:17], off offset:1536
	s_or_b64 exec, exec, s[56:57]
	s_and_saveexec_b64 s[42:43], s[40:41]
	s_cbranch_execz .LBB117_196
.LBB117_214:                            ;   in Loop: Header=BB117_156 Depth=2
	ds_read_u8 v16, v0 offset:1024
	s_waitcnt lgkmcnt(0)
	v_lshrrev_b32_e32 v16, s58, v16
	v_and_b32_e32 v73, s59, v16
	s_or_b64 exec, exec, s[42:43]
	s_and_saveexec_b64 s[42:43], s[38:39]
	s_cbranch_execz .LBB117_197
.LBB117_215:                            ;   in Loop: Header=BB117_156 Depth=2
	ds_read_u8 v16, v0 offset:1280
	s_waitcnt lgkmcnt(0)
	v_lshrrev_b32_e32 v16, s58, v16
	v_and_b32_e32 v72, s59, v16
	s_or_b64 exec, exec, s[42:43]
	s_and_saveexec_b64 s[42:43], s[36:37]
	s_cbranch_execz .LBB117_198
.LBB117_216:                            ;   in Loop: Header=BB117_156 Depth=2
	ds_read_u8 v16, v0 offset:1536
	s_waitcnt lgkmcnt(0)
	v_lshrrev_b32_e32 v16, s58, v16
	v_and_b32_e32 v70, s59, v16
	s_or_b64 exec, exec, s[42:43]
	s_and_saveexec_b64 s[42:43], vcc
	s_cbranch_execnz .LBB117_199
	s_branch .LBB117_200
.LBB117_217:                            ;   in Loop: Header=BB117_156 Depth=2
	v_lshlrev_b32_e32 v4, 2, v73
	ds_read_b32 v4, v4
	v_add_u32_e32 v13, v0, v51
	ds_read_b64 v[13:14], v13 offset:1024
	v_mov_b32_e32 v16, v3
	v_mov_b32_e32 v17, s55
	s_waitcnt lgkmcnt(1)
	v_add_u32_e32 v15, v4, v0
	v_lshlrev_b64 v[15:16], 3, v[15:16]
	v_add_co_u32_e64 v15, s[40:41], s54, v15
	v_addc_co_u32_e64 v16, s[40:41], v17, v16, s[40:41]
	s_waitcnt lgkmcnt(0)
	global_store_dwordx2 v[15:16], v[13:14], off
	s_or_b64 exec, exec, s[42:43]
	s_and_saveexec_b64 s[40:41], s[38:39]
	s_cbranch_execz .LBB117_202
.LBB117_218:                            ;   in Loop: Header=BB117_156 Depth=2
	v_lshlrev_b32_e32 v4, 2, v72
	ds_read_b32 v4, v4
	v_add_u32_e32 v13, v0, v51
	ds_read_b64 v[13:14], v13 offset:3072
	v_mov_b32_e32 v16, v3
	v_mov_b32_e32 v17, s55
	s_waitcnt lgkmcnt(1)
	v_add_u32_e32 v15, v4, v19
	v_lshlrev_b64 v[15:16], 3, v[15:16]
	v_add_co_u32_e64 v15, s[38:39], s54, v15
	v_addc_co_u32_e64 v16, s[38:39], v17, v16, s[38:39]
	s_waitcnt lgkmcnt(0)
	global_store_dwordx2 v[15:16], v[13:14], off
	s_or_b64 exec, exec, s[40:41]
	s_and_saveexec_b64 s[38:39], s[36:37]
	s_cbranch_execz .LBB117_203
.LBB117_219:                            ;   in Loop: Header=BB117_156 Depth=2
	v_lshlrev_b32_e32 v4, 2, v70
	ds_read_b32 v4, v4
	v_add_u32_e32 v13, v0, v51
	ds_read_b64 v[13:14], v13 offset:5120
	v_mov_b32_e32 v16, v3
	v_mov_b32_e32 v17, s55
	s_waitcnt lgkmcnt(1)
	v_add_u32_e32 v15, v4, v20
	v_lshlrev_b64 v[15:16], 3, v[15:16]
	v_add_co_u32_e64 v15, s[36:37], s54, v15
	v_addc_co_u32_e64 v16, s[36:37], v17, v16, s[36:37]
	s_waitcnt lgkmcnt(0)
	global_store_dwordx2 v[15:16], v[13:14], off
	s_or_b64 exec, exec, s[38:39]
	s_and_saveexec_b64 s[36:37], vcc
	s_cbranch_execnz .LBB117_204
	s_branch .LBB117_205
.LBB117_220:                            ;   in Loop: Header=BB117_20 Depth=1
	s_waitcnt lgkmcnt(0)
	s_barrier
.LBB117_221:                            ;   in Loop: Header=BB117_20 Depth=1
	s_mov_b64 s[16:17], 0
.LBB117_222:                            ;   in Loop: Header=BB117_20 Depth=1
	s_andn2_b64 vcc, exec, s[16:17]
	s_cbranch_vccnz .LBB117_19
; %bb.223:                              ;   in Loop: Header=BB117_20 Depth=1
	s_mov_b64 s[16:17], -1
	s_and_b64 vcc, exec, s[50:51]
	s_cbranch_vccz .LBB117_323
; %bb.224:                              ;   in Loop: Header=BB117_20 Depth=1
	v_mov_b32_e32 v4, 0
	s_mov_b32 s18, s75
	s_mov_b32 s20, s49
	v_mov_b32_e32 v7, 0
	v_mov_b32_e32 v6, 0
	;; [unrolled: 1-line block ×3, first 2 shown]
	s_barrier
	s_branch .LBB117_226
.LBB117_225:                            ;   in Loop: Header=BB117_226 Depth=2
	s_or_b64 exec, exec, s[16:17]
	s_addk_i32 s18, 0xfc00
	s_cmp_ge_u32 s19, s76
	s_mov_b32 s20, s19
	s_cbranch_scc1 .LBB117_246
.LBB117_226:                            ;   Parent Loop BB117_20 Depth=1
                                        ; =>  This Inner Loop Header: Depth=2
	s_add_i32 s19, s20, 0x400
	s_cmp_gt_u32 s19, s76
	s_mov_b64 s[16:17], -1
                                        ; implicit-def: $vgpr8
                                        ; implicit-def: $vgpr9
                                        ; implicit-def: $vgpr10
                                        ; implicit-def: $vgpr11
	s_cbranch_scc1 .LBB117_228
; %bb.227:                              ;   in Loop: Header=BB117_226 Depth=2
	v_add_co_u32_e32 v12, vcc, s20, v39
	v_addc_co_u32_e32 v13, vcc, 0, v40, vcc
	global_load_ubyte v11, v[12:13], off offset:768
	global_load_ubyte v10, v[12:13], off offset:512
	;; [unrolled: 1-line block ×3, first 2 shown]
	global_load_ubyte v8, v[12:13], off
	s_mov_b64 s[16:17], 0
.LBB117_228:                            ;   in Loop: Header=BB117_226 Depth=2
	s_andn2_b64 vcc, exec, s[16:17]
	s_movk_i32 s21, 0x400
	s_cbranch_vccnz .LBB117_235
; %bb.229:                              ;   in Loop: Header=BB117_226 Depth=2
	s_add_u32 s20, s64, s20
	s_addc_u32 s21, s65, 0
	v_cmp_gt_u32_e32 vcc, s18, v0
	s_and_saveexec_b64 s[16:17], vcc
	s_cbranch_execnz .LBB117_243
; %bb.230:                              ;   in Loop: Header=BB117_226 Depth=2
	s_or_b64 exec, exec, s[16:17]
	v_cmp_gt_u32_e32 vcc, s18, v19
	s_and_saveexec_b64 s[16:17], vcc
	s_cbranch_execnz .LBB117_244
.LBB117_231:                            ;   in Loop: Header=BB117_226 Depth=2
	s_or_b64 exec, exec, s[16:17]
	v_cmp_gt_u32_e32 vcc, s18, v20
	s_and_saveexec_b64 s[16:17], vcc
	s_cbranch_execnz .LBB117_245
.LBB117_232:                            ;   in Loop: Header=BB117_226 Depth=2
	s_or_b64 exec, exec, s[16:17]
	v_cmp_gt_u32_e32 vcc, s18, v21
	s_and_saveexec_b64 s[16:17], vcc
	s_cbranch_execz .LBB117_234
.LBB117_233:                            ;   in Loop: Header=BB117_226 Depth=2
	v_mov_b32_e32 v5, s21
	s_waitcnt vmcnt(0)
	v_add_co_u32_e32 v8, vcc, s20, v0
	v_addc_co_u32_e32 v9, vcc, 0, v5, vcc
	global_load_ubyte v5, v[8:9], off offset:768
.LBB117_234:                            ;   in Loop: Header=BB117_226 Depth=2
	s_or_b64 exec, exec, s[16:17]
	s_mov_b32 s21, s18
	s_waitcnt vmcnt(0)
	v_mov_b32_e32 v8, v4
	v_mov_b32_e32 v9, v7
	;; [unrolled: 1-line block ×4, first 2 shown]
.LBB117_235:                            ;   in Loop: Header=BB117_226 Depth=2
	s_waitcnt vmcnt(3)
	v_mov_b32_e32 v5, v11
	s_waitcnt vmcnt(2)
	v_mov_b32_e32 v6, v10
	;; [unrolled: 2-line block ×4, first 2 shown]
	v_cmp_gt_u32_e32 vcc, s21, v0
	s_and_saveexec_b64 s[16:17], vcc
	s_cbranch_execnz .LBB117_239
; %bb.236:                              ;   in Loop: Header=BB117_226 Depth=2
	s_or_b64 exec, exec, s[16:17]
	v_cmp_gt_u32_e32 vcc, s21, v19
	s_and_saveexec_b64 s[16:17], vcc
	s_cbranch_execnz .LBB117_240
.LBB117_237:                            ;   in Loop: Header=BB117_226 Depth=2
	s_or_b64 exec, exec, s[16:17]
	v_cmp_gt_u32_e32 vcc, s21, v20
	s_and_saveexec_b64 s[16:17], vcc
	s_cbranch_execnz .LBB117_241
.LBB117_238:                            ;   in Loop: Header=BB117_226 Depth=2
	s_or_b64 exec, exec, s[16:17]
	v_cmp_gt_u32_e32 vcc, s21, v21
	s_and_saveexec_b64 s[16:17], vcc
	s_cbranch_execz .LBB117_225
	s_branch .LBB117_242
.LBB117_239:                            ;   in Loop: Header=BB117_226 Depth=2
	v_xor_b32_e32 v8, -1, v4
	v_lshrrev_b32_sdwa v8, s73, v8 dst_sel:DWORD dst_unused:UNUSED_PAD src0_sel:DWORD src1_sel:BYTE_0
	v_and_b32_e32 v8, s59, v8
	v_lshl_or_b32 v8, v8, 4, v24
	ds_add_u32 v8, v52
	s_or_b64 exec, exec, s[16:17]
	v_cmp_gt_u32_e32 vcc, s21, v19
	s_and_saveexec_b64 s[16:17], vcc
	s_cbranch_execz .LBB117_237
.LBB117_240:                            ;   in Loop: Header=BB117_226 Depth=2
	v_xor_b32_e32 v8, -1, v7
	v_lshrrev_b32_sdwa v8, s73, v8 dst_sel:DWORD dst_unused:UNUSED_PAD src0_sel:DWORD src1_sel:BYTE_0
	v_and_b32_e32 v8, s59, v8
	v_lshl_or_b32 v8, v8, 4, v24
	ds_add_u32 v8, v52
	s_or_b64 exec, exec, s[16:17]
	v_cmp_gt_u32_e32 vcc, s21, v20
	s_and_saveexec_b64 s[16:17], vcc
	s_cbranch_execz .LBB117_238
.LBB117_241:                            ;   in Loop: Header=BB117_226 Depth=2
	v_xor_b32_e32 v8, -1, v6
	v_lshrrev_b32_sdwa v8, s73, v8 dst_sel:DWORD dst_unused:UNUSED_PAD src0_sel:DWORD src1_sel:BYTE_0
	v_and_b32_e32 v8, s59, v8
	v_lshl_or_b32 v8, v8, 4, v24
	ds_add_u32 v8, v52
	s_or_b64 exec, exec, s[16:17]
	v_cmp_gt_u32_e32 vcc, s21, v21
	s_and_saveexec_b64 s[16:17], vcc
	s_cbranch_execz .LBB117_225
.LBB117_242:                            ;   in Loop: Header=BB117_226 Depth=2
	v_xor_b32_e32 v8, -1, v5
	v_lshrrev_b32_sdwa v8, s73, v8 dst_sel:DWORD dst_unused:UNUSED_PAD src0_sel:DWORD src1_sel:BYTE_0
	v_and_b32_e32 v8, s59, v8
	v_lshl_or_b32 v8, v8, 4, v24
	ds_add_u32 v8, v52
	s_branch .LBB117_225
.LBB117_243:                            ;   in Loop: Header=BB117_226 Depth=2
	v_mov_b32_e32 v4, s21
	s_waitcnt vmcnt(0)
	v_add_co_u32_e32 v8, vcc, s20, v0
	v_addc_co_u32_e32 v9, vcc, 0, v4, vcc
	global_load_ubyte v4, v[8:9], off
	s_or_b64 exec, exec, s[16:17]
	v_cmp_gt_u32_e32 vcc, s18, v19
	s_and_saveexec_b64 s[16:17], vcc
	s_cbranch_execz .LBB117_231
.LBB117_244:                            ;   in Loop: Header=BB117_226 Depth=2
	s_waitcnt vmcnt(0)
	v_mov_b32_e32 v8, s21
	v_add_co_u32_e32 v7, vcc, s20, v0
	v_addc_co_u32_e32 v8, vcc, 0, v8, vcc
	global_load_ubyte v7, v[7:8], off offset:256
	s_or_b64 exec, exec, s[16:17]
	v_cmp_gt_u32_e32 vcc, s18, v20
	s_and_saveexec_b64 s[16:17], vcc
	s_cbranch_execz .LBB117_232
.LBB117_245:                            ;   in Loop: Header=BB117_226 Depth=2
	v_mov_b32_e32 v6, s21
	s_waitcnt vmcnt(0)
	v_add_co_u32_e32 v8, vcc, s20, v0
	v_addc_co_u32_e32 v9, vcc, 0, v6, vcc
	global_load_ubyte v6, v[8:9], off offset:512
	s_or_b64 exec, exec, s[16:17]
	v_cmp_gt_u32_e32 vcc, s18, v21
	s_and_saveexec_b64 s[16:17], vcc
	s_cbranch_execnz .LBB117_233
	s_branch .LBB117_234
.LBB117_246:                            ;   in Loop: Header=BB117_20 Depth=1
	v_mov_b32_e32 v4, 0
	s_waitcnt lgkmcnt(0)
	s_barrier
	s_and_saveexec_b64 s[16:17], s[4:5]
	s_cbranch_execz .LBB117_248
; %bb.247:                              ;   in Loop: Header=BB117_20 Depth=1
	ds_read2_b64 v[4:7], v25 offset1:1
	s_waitcnt lgkmcnt(0)
	v_add_u32_e32 v4, v5, v4
	v_add3_u32 v4, v4, v6, v7
.LBB117_248:                            ;   in Loop: Header=BB117_20 Depth=1
	s_or_b64 exec, exec, s[16:17]
	s_nop 0
	v_mov_b32_dpp v5, v4 row_shr:1 row_mask:0xf bank_mask:0xf
	v_cmp_eq_u32_e64 s[16:17], 0, v55
	v_cndmask_b32_e64 v5, v5, 0, s[16:17]
	v_add_u32_e32 v4, v5, v4
	v_cmp_lt_u32_e64 s[18:19], 1, v55
	v_cmp_lt_u32_e64 s[20:21], 3, v55
	v_mov_b32_dpp v5, v4 row_shr:2 row_mask:0xf bank_mask:0xf
	v_cndmask_b32_e64 v5, 0, v5, s[18:19]
	v_add_u32_e32 v4, v4, v5
	v_cmp_lt_u32_e64 s[22:23], 7, v55
	v_cmp_lt_u32_e64 s[26:27], 31, v45
	v_mov_b32_dpp v5, v4 row_shr:4 row_mask:0xf bank_mask:0xf
	v_cndmask_b32_e64 v5, 0, v5, s[20:21]
	v_add_u32_e32 v4, v4, v5
	v_cmp_eq_u32_e64 s[24:25], 0, v57
	s_nop 0
	v_mov_b32_dpp v5, v4 row_shr:8 row_mask:0xf bank_mask:0xf
	v_cndmask_b32_e64 v5, 0, v5, s[22:23]
	v_add_u32_e32 v4, v4, v5
	s_nop 1
	v_mov_b32_dpp v5, v4 row_bcast:15 row_mask:0xf bank_mask:0xf
	v_and_b32_e32 v5, v56, v5
	v_add_u32_e32 v4, v4, v5
	s_nop 1
	v_mov_b32_dpp v5, v4 row_bcast:31 row_mask:0xf bank_mask:0xf
	v_cndmask_b32_e64 v5, 0, v5, s[26:27]
	v_add_u32_e32 v4, v4, v5
	s_and_saveexec_b64 s[28:29], s[6:7]
; %bb.249:                              ;   in Loop: Header=BB117_20 Depth=1
	ds_write_b32 v27, v4
; %bb.250:                              ;   in Loop: Header=BB117_20 Depth=1
	s_or_b64 exec, exec, s[28:29]
	s_waitcnt lgkmcnt(0)
	s_barrier
	s_and_saveexec_b64 s[28:29], s[8:9]
	s_cbranch_execz .LBB117_252
; %bb.251:                              ;   in Loop: Header=BB117_20 Depth=1
	ds_read_b32 v5, v48
	v_cmp_ne_u32_e32 vcc, 0, v58
	s_waitcnt lgkmcnt(0)
	v_mov_b32_dpp v6, v5 row_shr:1 row_mask:0xf bank_mask:0xf
	v_cndmask_b32_e32 v6, 0, v6, vcc
	v_add_u32_e32 v5, v6, v5
	v_cmp_lt_u32_e32 vcc, 1, v58
	s_nop 0
	v_mov_b32_dpp v6, v5 row_shr:2 row_mask:0xf bank_mask:0xf
	v_cndmask_b32_e32 v6, 0, v6, vcc
	v_add_u32_e32 v5, v5, v6
	ds_write_b32 v48, v5
.LBB117_252:                            ;   in Loop: Header=BB117_20 Depth=1
	s_or_b64 exec, exec, s[28:29]
	v_mov_b32_e32 v5, 0
	s_waitcnt lgkmcnt(0)
	s_barrier
	s_and_saveexec_b64 s[28:29], s[10:11]
; %bb.253:                              ;   in Loop: Header=BB117_20 Depth=1
	ds_read_b32 v5, v49
; %bb.254:                              ;   in Loop: Header=BB117_20 Depth=1
	s_or_b64 exec, exec, s[28:29]
	v_subrev_co_u32_e64 v6, s[28:29], 1, v45
	v_cmp_lt_i32_e32 vcc, v6, v59
	v_cndmask_b32_e32 v6, v6, v45, vcc
	s_waitcnt lgkmcnt(0)
	v_add_u32_e32 v4, v5, v4
	v_lshlrev_b32_e32 v64, 2, v6
	ds_bpermute_b32 v4, v64, v4
	s_waitcnt lgkmcnt(0)
	s_barrier
	s_and_saveexec_b64 s[30:31], s[4:5]
; %bb.255:                              ;   in Loop: Header=BB117_20 Depth=1
	v_cndmask_b32_e64 v4, v4, v5, s[28:29]
	v_add_u32_e32 v4, s49, v4
	ds_write_b32 v18, v4
; %bb.256:                              ;   in Loop: Header=BB117_20 Depth=1
	s_or_b64 exec, exec, s[30:31]
	s_load_dwordx2 s[30:31], s[44:45], 0x0
	v_add_co_u32_e32 v65, vcc, v41, v60
	v_addc_co_u32_e32 v66, vcc, 0, v42, vcc
	s_waitcnt lgkmcnt(0)
	s_cmp_lt_u32 s33, s31
	s_cselect_b32 s31, 14, 20
	s_add_u32 s34, s44, s31
	s_addc_u32 s35, s45, 0
	s_cmp_lt_u32 s48, s30
	s_cselect_b32 s30, 12, 18
	s_add_u32 s30, s44, s30
	global_load_ushort v4, v3, s[34:35]
	s_addc_u32 s31, s45, 0
	global_load_ushort v5, v3, s[30:31]
	v_add_co_u32_e32 v67, vcc, v43, v46
	v_cmp_eq_u32_e64 s[30:31], 0, v58
	v_cmp_lt_u32_e64 s[34:35], 1, v58
	v_addc_co_u32_e32 v68, vcc, 0, v44, vcc
	s_mov_b32 s60, s75
	s_mov_b32 s46, s49
                                        ; implicit-def: $vgpr7_vgpr8
                                        ; implicit-def: $vgpr9_vgpr10
                                        ; implicit-def: $vgpr11_vgpr12
                                        ; implicit-def: $vgpr69
                                        ; implicit-def: $vgpr70
                                        ; implicit-def: $vgpr72
                                        ; implicit-def: $vgpr73
	s_waitcnt vmcnt(1)
	v_mad_u32_u24 v4, v2, v4, v1
	s_waitcnt vmcnt(0)
	v_mad_u64_u32 v[4:5], s[36:37], v4, v5, v[0:1]
                                        ; implicit-def: $vgpr5_vgpr6
	v_lshrrev_b32_e32 v4, 4, v4
	v_and_b32_e32 v71, 0xffffffc, v4
	s_branch .LBB117_258
.LBB117_257:                            ;   in Loop: Header=BB117_258 Depth=2
	s_or_b64 exec, exec, s[36:37]
	s_addk_i32 s60, 0xfc00
	s_cmp_lt_u32 s61, s76
	s_mov_b32 s46, s61
	s_cbranch_scc0 .LBB117_322
.LBB117_258:                            ;   Parent Loop BB117_20 Depth=1
                                        ; =>  This Inner Loop Header: Depth=2
	s_add_i32 s61, s46, 0x400
	s_cmp_gt_u32 s61, s76
	s_cbranch_scc1 .LBB117_260
; %bb.259:                              ;   in Loop: Header=BB117_258 Depth=2
	v_add_co_u32_e32 v13, vcc, s46, v67
	v_addc_co_u32_e32 v14, vcc, 0, v68, vcc
	global_load_ubyte v16, v[13:14], off offset:128
	global_load_ubyte v76, v[13:14], off offset:64
	global_load_ubyte v4, v[13:14], off
	s_mov_b64 s[36:37], -1
	s_movk_i32 s40, 0x400
                                        ; implicit-def: $vgpr15
	s_cbranch_execz .LBB117_261
	s_branch .LBB117_268
.LBB117_260:                            ;   in Loop: Header=BB117_258 Depth=2
	s_mov_b64 s[36:37], 0
                                        ; implicit-def: $vgpr4
                                        ; implicit-def: $vgpr76
                                        ; implicit-def: $vgpr16
	s_movk_i32 s40, 0x400
                                        ; implicit-def: $vgpr15
.LBB117_261:                            ;   in Loop: Header=BB117_258 Depth=2
	v_add_co_u32_e32 v13, vcc, s46, v67
	v_addc_co_u32_e32 v14, vcc, 0, v68, vcc
	v_cmp_gt_u32_e32 vcc, s60, v47
	s_waitcnt vmcnt(2)
	v_mov_b32_e32 v16, 0
	s_waitcnt vmcnt(0)
	v_mov_b32_e32 v4, 0
	v_mov_b32_e32 v15, 0
	s_and_saveexec_b64 s[36:37], vcc
	s_cbranch_execz .LBB117_263
; %bb.262:                              ;   in Loop: Header=BB117_258 Depth=2
	global_load_ubyte v4, v[13:14], off
	v_mov_b32_e32 v15, 0
.LBB117_263:                            ;   in Loop: Header=BB117_258 Depth=2
	s_or_b64 exec, exec, s[36:37]
	v_cmp_gt_u32_e32 vcc, s60, v61
	v_mov_b32_e32 v76, v16
	s_and_saveexec_b64 s[36:37], vcc
	s_cbranch_execz .LBB117_265
; %bb.264:                              ;   in Loop: Header=BB117_258 Depth=2
	global_load_ubyte v76, v[13:14], off offset:64
.LBB117_265:                            ;   in Loop: Header=BB117_258 Depth=2
	s_or_b64 exec, exec, s[36:37]
	v_cmp_gt_u32_e32 vcc, s60, v62
	s_and_saveexec_b64 s[36:37], vcc
	s_cbranch_execz .LBB117_267
; %bb.266:                              ;   in Loop: Header=BB117_258 Depth=2
	global_load_ubyte v16, v[13:14], off offset:128
.LBB117_267:                            ;   in Loop: Header=BB117_258 Depth=2
	s_or_b64 exec, exec, s[36:37]
	s_sub_i32 s40, s76, s46
	v_cmp_gt_u32_e64 s[36:37], s60, v63
.LBB117_268:                            ;   in Loop: Header=BB117_258 Depth=2
	v_mov_b32_e32 v74, s60
	s_and_saveexec_b64 s[38:39], s[36:37]
	s_cbranch_execz .LBB117_270
; %bb.269:                              ;   in Loop: Header=BB117_258 Depth=2
	v_mov_b32_e32 v14, s47
	v_add_co_u32_e32 v13, vcc, s46, v67
	v_addc_co_u32_e32 v14, vcc, v68, v14, vcc
	global_load_ubyte v15, v[13:14], off offset:192
	v_mov_b32_e32 v74, s40
.LBB117_270:                            ;   in Loop: Header=BB117_258 Depth=2
	s_or_b64 exec, exec, s[38:39]
	s_waitcnt vmcnt(0)
	v_xor_b32_e32 v17, -1, v4
	v_lshrrev_b32_sdwa v4, s73, v17 dst_sel:DWORD dst_unused:UNUSED_PAD src0_sel:DWORD src1_sel:BYTE_0
	v_and_b32_e32 v13, s59, v4
	v_and_b32_e32 v4, 1, v13
	v_add_co_u32_e32 v14, vcc, -1, v4
	v_addc_co_u32_e64 v75, s[36:37], 0, -1, vcc
	v_cmp_ne_u32_e32 vcc, 0, v4
	v_xor_b32_e32 v4, vcc_hi, v75
	v_and_b32_e32 v75, exec_hi, v4
	v_lshlrev_b32_e32 v4, 30, v13
	v_xor_b32_e32 v14, vcc_lo, v14
	v_cmp_gt_i64_e32 vcc, 0, v[3:4]
	v_not_b32_e32 v4, v4
	v_ashrrev_i32_e32 v4, 31, v4
	v_and_b32_e32 v14, exec_lo, v14
	v_xor_b32_e32 v78, vcc_hi, v4
	v_xor_b32_e32 v4, vcc_lo, v4
	v_and_b32_e32 v14, v14, v4
	v_lshlrev_b32_e32 v4, 29, v13
	v_cmp_gt_i64_e32 vcc, 0, v[3:4]
	v_not_b32_e32 v4, v4
	v_ashrrev_i32_e32 v4, 31, v4
	v_and_b32_e32 v75, v75, v78
	v_xor_b32_e32 v78, vcc_hi, v4
	v_xor_b32_e32 v4, vcc_lo, v4
	v_and_b32_e32 v14, v14, v4
	v_lshlrev_b32_e32 v4, 28, v13
	v_cmp_gt_i64_e32 vcc, 0, v[3:4]
	v_not_b32_e32 v4, v4
	v_ashrrev_i32_e32 v4, 31, v4
	v_and_b32_e32 v75, v75, v78
	;; [unrolled: 8-line block ×5, first 2 shown]
	v_xor_b32_e32 v78, vcc_hi, v4
	v_xor_b32_e32 v4, vcc_lo, v4
	v_and_b32_e32 v75, v75, v78
	v_and_b32_e32 v78, v14, v4
	v_lshlrev_b32_e32 v4, 24, v13
	v_cmp_gt_i64_e32 vcc, 0, v[3:4]
	v_not_b32_e32 v4, v4
	v_ashrrev_i32_e32 v4, 31, v4
	v_mul_u32_u24_e32 v77, 20, v13
	v_xor_b32_e32 v13, vcc_hi, v4
	v_xor_b32_e32 v4, vcc_lo, v4
	v_and_b32_e32 v14, v75, v13
	v_and_b32_e32 v13, v78, v4
	v_mbcnt_lo_u32_b32 v4, v13, 0
	v_mbcnt_hi_u32_b32 v75, v14, v4
	v_cmp_ne_u64_e32 vcc, 0, v[13:14]
	v_cmp_eq_u32_e64 s[36:37], 0, v75
	s_and_b64 s[38:39], vcc, s[36:37]
	v_add_u32_e32 v78, v71, v77
	ds_write2_b32 v53, v3, v3 offset1:1
	ds_write2_b32 v54, v3, v3 offset1:1
	ds_write_b32 v50, v3 offset:1056
	s_waitcnt lgkmcnt(0)
	s_barrier
	; wave barrier
	s_and_saveexec_b64 s[36:37], s[38:39]
; %bb.271:                              ;   in Loop: Header=BB117_258 Depth=2
	v_bcnt_u32_b32 v4, v13, 0
	v_bcnt_u32_b32 v4, v14, v4
	ds_write_b32 v78, v4 offset:1040
; %bb.272:                              ;   in Loop: Header=BB117_258 Depth=2
	s_or_b64 exec, exec, s[36:37]
	v_xor_b32_e32 v76, -1, v76
	v_lshrrev_b32_sdwa v4, s73, v76 dst_sel:DWORD dst_unused:UNUSED_PAD src0_sel:DWORD src1_sel:BYTE_0
	v_and_b32_e32 v13, s59, v4
	v_mad_u32_u24 v4, v13, 20, v71
	; wave barrier
	ds_read_b32 v77, v4 offset:1040
	v_and_b32_e32 v4, 1, v13
	v_add_co_u32_e32 v14, vcc, -1, v4
	v_addc_co_u32_e64 v79, s[36:37], 0, -1, vcc
	v_cmp_ne_u32_e32 vcc, 0, v4
	v_xor_b32_e32 v4, vcc_hi, v79
	v_and_b32_e32 v79, exec_hi, v4
	v_lshlrev_b32_e32 v4, 30, v13
	v_xor_b32_e32 v14, vcc_lo, v14
	v_cmp_gt_i64_e32 vcc, 0, v[3:4]
	v_not_b32_e32 v4, v4
	v_ashrrev_i32_e32 v4, 31, v4
	v_and_b32_e32 v14, exec_lo, v14
	v_xor_b32_e32 v81, vcc_hi, v4
	v_xor_b32_e32 v4, vcc_lo, v4
	v_and_b32_e32 v14, v14, v4
	v_lshlrev_b32_e32 v4, 29, v13
	v_cmp_gt_i64_e32 vcc, 0, v[3:4]
	v_not_b32_e32 v4, v4
	v_ashrrev_i32_e32 v4, 31, v4
	v_and_b32_e32 v79, v79, v81
	v_xor_b32_e32 v81, vcc_hi, v4
	v_xor_b32_e32 v4, vcc_lo, v4
	v_and_b32_e32 v14, v14, v4
	v_lshlrev_b32_e32 v4, 28, v13
	v_cmp_gt_i64_e32 vcc, 0, v[3:4]
	v_not_b32_e32 v4, v4
	v_ashrrev_i32_e32 v4, 31, v4
	v_and_b32_e32 v79, v79, v81
	v_xor_b32_e32 v81, vcc_hi, v4
	v_xor_b32_e32 v4, vcc_lo, v4
	v_and_b32_e32 v14, v14, v4
	v_lshlrev_b32_e32 v4, 27, v13
	v_cmp_gt_i64_e32 vcc, 0, v[3:4]
	v_not_b32_e32 v4, v4
	v_ashrrev_i32_e32 v4, 31, v4
	v_and_b32_e32 v79, v79, v81
	v_xor_b32_e32 v81, vcc_hi, v4
	v_xor_b32_e32 v4, vcc_lo, v4
	v_and_b32_e32 v14, v14, v4
	v_lshlrev_b32_e32 v4, 26, v13
	v_cmp_gt_i64_e32 vcc, 0, v[3:4]
	v_not_b32_e32 v4, v4
	v_ashrrev_i32_e32 v4, 31, v4
	v_and_b32_e32 v79, v79, v81
	v_xor_b32_e32 v81, vcc_hi, v4
	v_xor_b32_e32 v4, vcc_lo, v4
	v_and_b32_e32 v14, v14, v4
	v_lshlrev_b32_e32 v4, 25, v13
	v_cmp_gt_i64_e32 vcc, 0, v[3:4]
	v_not_b32_e32 v4, v4
	v_ashrrev_i32_e32 v4, 31, v4
	v_and_b32_e32 v79, v79, v81
	v_xor_b32_e32 v81, vcc_hi, v4
	v_xor_b32_e32 v4, vcc_lo, v4
	v_and_b32_e32 v79, v79, v81
	v_and_b32_e32 v81, v14, v4
	v_lshlrev_b32_e32 v4, 24, v13
	v_cmp_gt_i64_e32 vcc, 0, v[3:4]
	v_not_b32_e32 v4, v4
	v_ashrrev_i32_e32 v4, 31, v4
	v_mul_u32_u24_e32 v80, 20, v13
	v_xor_b32_e32 v13, vcc_hi, v4
	v_xor_b32_e32 v4, vcc_lo, v4
	v_and_b32_e32 v14, v79, v13
	v_and_b32_e32 v13, v81, v4
	v_mbcnt_lo_u32_b32 v4, v13, 0
	v_mbcnt_hi_u32_b32 v79, v14, v4
	v_cmp_ne_u64_e32 vcc, 0, v[13:14]
	v_cmp_eq_u32_e64 s[36:37], 0, v79
	s_and_b64 s[38:39], vcc, s[36:37]
	v_add_u32_e32 v82, v71, v80
	; wave barrier
	s_and_saveexec_b64 s[36:37], s[38:39]
	s_cbranch_execz .LBB117_274
; %bb.273:                              ;   in Loop: Header=BB117_258 Depth=2
	v_bcnt_u32_b32 v4, v13, 0
	v_bcnt_u32_b32 v4, v14, v4
	s_waitcnt lgkmcnt(0)
	v_add_u32_e32 v4, v77, v4
	ds_write_b32 v82, v4 offset:1040
.LBB117_274:                            ;   in Loop: Header=BB117_258 Depth=2
	s_or_b64 exec, exec, s[36:37]
	v_xor_b32_e32 v80, -1, v16
	v_lshrrev_b32_sdwa v4, s73, v80 dst_sel:DWORD dst_unused:UNUSED_PAD src0_sel:DWORD src1_sel:BYTE_0
	v_and_b32_e32 v13, s59, v4
	v_mad_u32_u24 v4, v13, 20, v71
	; wave barrier
	ds_read_b32 v81, v4 offset:1040
	v_and_b32_e32 v4, 1, v13
	v_add_co_u32_e32 v14, vcc, -1, v4
	v_addc_co_u32_e64 v83, s[36:37], 0, -1, vcc
	v_cmp_ne_u32_e32 vcc, 0, v4
	v_xor_b32_e32 v4, vcc_hi, v83
	v_and_b32_e32 v83, exec_hi, v4
	v_lshlrev_b32_e32 v4, 30, v13
	v_xor_b32_e32 v14, vcc_lo, v14
	v_cmp_gt_i64_e32 vcc, 0, v[3:4]
	v_not_b32_e32 v4, v4
	v_ashrrev_i32_e32 v4, 31, v4
	v_and_b32_e32 v14, exec_lo, v14
	v_xor_b32_e32 v84, vcc_hi, v4
	v_xor_b32_e32 v4, vcc_lo, v4
	v_and_b32_e32 v14, v14, v4
	v_lshlrev_b32_e32 v4, 29, v13
	v_cmp_gt_i64_e32 vcc, 0, v[3:4]
	v_not_b32_e32 v4, v4
	v_ashrrev_i32_e32 v4, 31, v4
	v_and_b32_e32 v83, v83, v84
	v_xor_b32_e32 v84, vcc_hi, v4
	v_xor_b32_e32 v4, vcc_lo, v4
	v_and_b32_e32 v14, v14, v4
	v_lshlrev_b32_e32 v4, 28, v13
	v_cmp_gt_i64_e32 vcc, 0, v[3:4]
	v_not_b32_e32 v4, v4
	v_ashrrev_i32_e32 v4, 31, v4
	v_and_b32_e32 v83, v83, v84
	;; [unrolled: 8-line block ×5, first 2 shown]
	v_xor_b32_e32 v84, vcc_hi, v4
	v_xor_b32_e32 v4, vcc_lo, v4
	v_and_b32_e32 v83, v83, v84
	v_and_b32_e32 v84, v14, v4
	v_lshlrev_b32_e32 v4, 24, v13
	v_cmp_gt_i64_e32 vcc, 0, v[3:4]
	v_not_b32_e32 v4, v4
	v_ashrrev_i32_e32 v4, 31, v4
	v_mul_u32_u24_e32 v16, 20, v13
	v_xor_b32_e32 v13, vcc_hi, v4
	v_xor_b32_e32 v4, vcc_lo, v4
	v_and_b32_e32 v14, v83, v13
	v_and_b32_e32 v13, v84, v4
	v_mbcnt_lo_u32_b32 v4, v13, 0
	v_mbcnt_hi_u32_b32 v83, v14, v4
	v_cmp_ne_u64_e32 vcc, 0, v[13:14]
	v_cmp_eq_u32_e64 s[36:37], 0, v83
	s_and_b64 s[38:39], vcc, s[36:37]
	v_add_u32_e32 v86, v71, v16
	; wave barrier
	s_and_saveexec_b64 s[36:37], s[38:39]
	s_cbranch_execz .LBB117_276
; %bb.275:                              ;   in Loop: Header=BB117_258 Depth=2
	v_bcnt_u32_b32 v4, v13, 0
	v_bcnt_u32_b32 v4, v14, v4
	s_waitcnt lgkmcnt(0)
	v_add_u32_e32 v4, v81, v4
	ds_write_b32 v86, v4 offset:1040
.LBB117_276:                            ;   in Loop: Header=BB117_258 Depth=2
	s_or_b64 exec, exec, s[36:37]
	v_xor_b32_e32 v84, -1, v15
	v_lshrrev_b32_sdwa v4, s73, v84 dst_sel:DWORD dst_unused:UNUSED_PAD src0_sel:DWORD src1_sel:BYTE_0
	v_and_b32_e32 v13, s59, v4
	v_mad_u32_u24 v4, v13, 20, v71
	; wave barrier
	ds_read_b32 v85, v4 offset:1040
	v_and_b32_e32 v4, 1, v13
	v_add_co_u32_e32 v14, vcc, -1, v4
	v_addc_co_u32_e64 v16, s[36:37], 0, -1, vcc
	v_cmp_ne_u32_e32 vcc, 0, v4
	v_xor_b32_e32 v4, vcc_hi, v16
	v_and_b32_e32 v16, exec_hi, v4
	v_lshlrev_b32_e32 v4, 30, v13
	v_xor_b32_e32 v14, vcc_lo, v14
	v_cmp_gt_i64_e32 vcc, 0, v[3:4]
	v_not_b32_e32 v4, v4
	v_ashrrev_i32_e32 v4, 31, v4
	v_and_b32_e32 v14, exec_lo, v14
	v_xor_b32_e32 v87, vcc_hi, v4
	v_xor_b32_e32 v4, vcc_lo, v4
	v_and_b32_e32 v14, v14, v4
	v_lshlrev_b32_e32 v4, 29, v13
	v_cmp_gt_i64_e32 vcc, 0, v[3:4]
	v_not_b32_e32 v4, v4
	v_ashrrev_i32_e32 v4, 31, v4
	v_and_b32_e32 v16, v16, v87
	v_xor_b32_e32 v87, vcc_hi, v4
	v_xor_b32_e32 v4, vcc_lo, v4
	v_and_b32_e32 v14, v14, v4
	v_lshlrev_b32_e32 v4, 28, v13
	v_cmp_gt_i64_e32 vcc, 0, v[3:4]
	v_not_b32_e32 v4, v4
	v_ashrrev_i32_e32 v4, 31, v4
	v_and_b32_e32 v16, v16, v87
	;; [unrolled: 8-line block ×5, first 2 shown]
	v_xor_b32_e32 v87, vcc_hi, v4
	v_xor_b32_e32 v4, vcc_lo, v4
	v_and_b32_e32 v16, v16, v87
	v_and_b32_e32 v87, v14, v4
	v_lshlrev_b32_e32 v4, 24, v13
	v_cmp_gt_i64_e32 vcc, 0, v[3:4]
	v_not_b32_e32 v4, v4
	v_ashrrev_i32_e32 v4, 31, v4
	v_mul_u32_u24_e32 v15, 20, v13
	v_xor_b32_e32 v13, vcc_hi, v4
	v_xor_b32_e32 v4, vcc_lo, v4
	v_and_b32_e32 v14, v16, v13
	v_and_b32_e32 v13, v87, v4
	v_mbcnt_lo_u32_b32 v4, v13, 0
	v_mbcnt_hi_u32_b32 v4, v14, v4
	v_cmp_ne_u64_e32 vcc, 0, v[13:14]
	v_cmp_eq_u32_e64 s[36:37], 0, v4
	s_and_b64 s[38:39], vcc, s[36:37]
	v_add_u32_e32 v87, v71, v15
	; wave barrier
	s_and_saveexec_b64 s[36:37], s[38:39]
	s_cbranch_execz .LBB117_278
; %bb.277:                              ;   in Loop: Header=BB117_258 Depth=2
	v_bcnt_u32_b32 v13, v13, 0
	v_bcnt_u32_b32 v13, v14, v13
	s_waitcnt lgkmcnt(0)
	v_add_u32_e32 v13, v85, v13
	ds_write_b32 v87, v13 offset:1040
.LBB117_278:                            ;   in Loop: Header=BB117_258 Depth=2
	s_or_b64 exec, exec, s[36:37]
	; wave barrier
	s_waitcnt lgkmcnt(0)
	s_barrier
	ds_read2_b32 v[15:16], v53 offset1:1
	ds_read2_b32 v[13:14], v54 offset1:1
	ds_read_b32 v88, v50 offset:1056
	s_waitcnt lgkmcnt(1)
	v_add3_u32 v89, v16, v15, v13
	s_waitcnt lgkmcnt(0)
	v_add3_u32 v88, v89, v14, v88
	s_nop 1
	v_mov_b32_dpp v89, v88 row_shr:1 row_mask:0xf bank_mask:0xf
	v_cndmask_b32_e64 v89, v89, 0, s[16:17]
	v_add_u32_e32 v88, v89, v88
	s_nop 1
	v_mov_b32_dpp v89, v88 row_shr:2 row_mask:0xf bank_mask:0xf
	v_cndmask_b32_e64 v89, 0, v89, s[18:19]
	v_add_u32_e32 v88, v88, v89
	s_nop 1
	v_mov_b32_dpp v89, v88 row_shr:4 row_mask:0xf bank_mask:0xf
	v_cndmask_b32_e64 v89, 0, v89, s[20:21]
	v_add_u32_e32 v88, v88, v89
	s_nop 1
	v_mov_b32_dpp v89, v88 row_shr:8 row_mask:0xf bank_mask:0xf
	v_cndmask_b32_e64 v89, 0, v89, s[22:23]
	v_add_u32_e32 v88, v88, v89
	s_nop 1
	v_mov_b32_dpp v89, v88 row_bcast:15 row_mask:0xf bank_mask:0xf
	v_cndmask_b32_e64 v89, v89, 0, s[24:25]
	v_add_u32_e32 v88, v88, v89
	s_nop 1
	v_mov_b32_dpp v89, v88 row_bcast:31 row_mask:0xf bank_mask:0xf
	v_cndmask_b32_e64 v89, 0, v89, s[26:27]
	v_add_u32_e32 v88, v88, v89
	s_and_saveexec_b64 s[36:37], s[6:7]
; %bb.279:                              ;   in Loop: Header=BB117_258 Depth=2
	ds_write_b32 v26, v88 offset:1024
; %bb.280:                              ;   in Loop: Header=BB117_258 Depth=2
	s_or_b64 exec, exec, s[36:37]
	s_waitcnt lgkmcnt(0)
	s_barrier
	s_and_saveexec_b64 s[36:37], s[8:9]
	s_cbranch_execz .LBB117_282
; %bb.281:                              ;   in Loop: Header=BB117_258 Depth=2
	v_add_u32_e32 v89, v50, v28
	ds_read_b32 v90, v89 offset:1024
	s_waitcnt lgkmcnt(0)
	s_nop 0
	v_mov_b32_dpp v91, v90 row_shr:1 row_mask:0xf bank_mask:0xf
	v_cndmask_b32_e64 v91, v91, 0, s[30:31]
	v_add_u32_e32 v90, v91, v90
	s_nop 1
	v_mov_b32_dpp v91, v90 row_shr:2 row_mask:0xf bank_mask:0xf
	v_cndmask_b32_e64 v91, 0, v91, s[34:35]
	v_add_u32_e32 v90, v90, v91
	ds_write_b32 v89, v90 offset:1024
.LBB117_282:                            ;   in Loop: Header=BB117_258 Depth=2
	s_or_b64 exec, exec, s[36:37]
	v_mov_b32_e32 v89, 0
	s_waitcnt lgkmcnt(0)
	s_barrier
	s_and_saveexec_b64 s[36:37], s[10:11]
; %bb.283:                              ;   in Loop: Header=BB117_258 Depth=2
	ds_read_b32 v89, v26 offset:1020
; %bb.284:                              ;   in Loop: Header=BB117_258 Depth=2
	s_or_b64 exec, exec, s[36:37]
	s_waitcnt lgkmcnt(0)
	v_add_u32_e32 v88, v89, v88
	ds_bpermute_b32 v88, v64, v88
	s_waitcnt lgkmcnt(0)
	v_cndmask_b32_e64 v88, v88, v89, s[28:29]
	v_cndmask_b32_e64 v88, v88, 0, s[12:13]
	v_add_u32_e32 v15, v88, v15
	v_add_u32_e32 v16, v15, v16
	;; [unrolled: 1-line block ×4, first 2 shown]
	ds_write2_b32 v53, v88, v15 offset1:1
	ds_write2_b32 v54, v16, v13 offset1:1
	ds_write_b32 v50, v14 offset:1056
	s_waitcnt lgkmcnt(0)
	s_barrier
	ds_read_b32 v13, v78 offset:1040
	ds_read_b32 v14, v82 offset:1040
	;; [unrolled: 1-line block ×5, first 2 shown]
	v_mov_b32_e32 v78, 0x400
	s_and_saveexec_b64 s[36:37], s[14:15]
; %bb.285:                              ;   in Loop: Header=BB117_258 Depth=2
	ds_read_b32 v78, v50 offset:1060
; %bb.286:                              ;   in Loop: Header=BB117_258 Depth=2
	s_or_b64 exec, exec, s[36:37]
	s_waitcnt lgkmcnt(0)
	s_barrier
	s_and_saveexec_b64 s[36:37], s[4:5]
	s_cbranch_execz .LBB117_288
; %bb.287:                              ;   in Loop: Header=BB117_258 Depth=2
	ds_read_b32 v86, v18
	s_waitcnt lgkmcnt(0)
	v_sub_u32_e32 v15, v86, v15
	ds_write_b32 v18, v15
.LBB117_288:                            ;   in Loop: Header=BB117_258 Depth=2
	s_or_b64 exec, exec, s[36:37]
	v_add_u32_e32 v15, v13, v75
	v_add3_u32 v14, v79, v77, v14
	v_add3_u32 v13, v83, v81, v16
	;; [unrolled: 1-line block ×3, first 2 shown]
	v_cmp_lt_u32_e64 s[40:41], v0, v74
	ds_write_b8 v15, v17 offset:1024
	ds_write_b8 v14, v76 offset:1024
	;; [unrolled: 1-line block ×4, first 2 shown]
	s_waitcnt lgkmcnt(0)
	s_barrier
	s_and_saveexec_b64 s[36:37], s[40:41]
	s_cbranch_execnz .LBB117_309
; %bb.289:                              ;   in Loop: Header=BB117_258 Depth=2
	s_or_b64 exec, exec, s[36:37]
	v_cmp_lt_u32_e64 s[38:39], v19, v74
	s_and_saveexec_b64 s[36:37], s[38:39]
	s_cbranch_execnz .LBB117_310
.LBB117_290:                            ;   in Loop: Header=BB117_258 Depth=2
	s_or_b64 exec, exec, s[36:37]
	v_cmp_lt_u32_e64 s[36:37], v20, v74
	s_and_saveexec_b64 s[42:43], s[36:37]
	s_cbranch_execnz .LBB117_311
.LBB117_291:                            ;   in Loop: Header=BB117_258 Depth=2
	s_or_b64 exec, exec, s[42:43]
	v_cmp_lt_u32_e32 vcc, v21, v74
	s_and_saveexec_b64 s[42:43], vcc
	s_cbranch_execz .LBB117_293
.LBB117_292:                            ;   in Loop: Header=BB117_258 Depth=2
	ds_read_u8 v16, v0 offset:1792
	s_waitcnt lgkmcnt(0)
	v_lshrrev_b32_sdwa v17, s73, v16 dst_sel:DWORD dst_unused:UNUSED_PAD src0_sel:DWORD src1_sel:BYTE_0
	v_and_b32_e32 v17, s59, v17
	v_lshlrev_b32_e32 v17, 2, v17
	ds_read_b32 v17, v17
	v_xor_b32_e32 v16, -1, v16
	s_waitcnt lgkmcnt(0)
	v_add_u32_e32 v17, v17, v21
	global_store_byte v17, v16, s[66:67]
.LBB117_293:                            ;   in Loop: Header=BB117_258 Depth=2
	s_or_b64 exec, exec, s[42:43]
	s_lshl_b64 s[42:43], s[46:47], 3
	v_mov_b32_e32 v17, s43
	v_add_co_u32_e64 v16, s[42:43], s42, v65
	v_addc_co_u32_e64 v17, s[42:43], v66, v17, s[42:43]
	v_cmp_lt_u32_e64 s[42:43], v47, v74
	s_and_saveexec_b64 s[56:57], s[42:43]
	s_xor_b64 s[42:43], exec, s[56:57]
	s_cbranch_execnz .LBB117_312
; %bb.294:                              ;   in Loop: Header=BB117_258 Depth=2
	s_or_b64 exec, exec, s[42:43]
	v_cmp_lt_u32_e64 s[42:43], v61, v74
	s_and_saveexec_b64 s[56:57], s[42:43]
	s_cbranch_execnz .LBB117_313
.LBB117_295:                            ;   in Loop: Header=BB117_258 Depth=2
	s_or_b64 exec, exec, s[56:57]
	v_cmp_lt_u32_e64 s[42:43], v62, v74
	s_and_saveexec_b64 s[56:57], s[42:43]
	s_cbranch_execnz .LBB117_314
.LBB117_296:                            ;   in Loop: Header=BB117_258 Depth=2
	s_or_b64 exec, exec, s[56:57]
	v_cmp_lt_u32_e64 s[42:43], v63, v74
	s_and_saveexec_b64 s[56:57], s[42:43]
	s_cbranch_execnz .LBB117_315
.LBB117_297:                            ;   in Loop: Header=BB117_258 Depth=2
	s_or_b64 exec, exec, s[56:57]
	s_and_saveexec_b64 s[42:43], s[40:41]
	s_cbranch_execnz .LBB117_316
.LBB117_298:                            ;   in Loop: Header=BB117_258 Depth=2
	s_or_b64 exec, exec, s[42:43]
	s_and_saveexec_b64 s[42:43], s[38:39]
	s_cbranch_execnz .LBB117_317
.LBB117_299:                            ;   in Loop: Header=BB117_258 Depth=2
	s_or_b64 exec, exec, s[42:43]
	s_and_saveexec_b64 s[42:43], s[36:37]
	s_cbranch_execnz .LBB117_318
.LBB117_300:                            ;   in Loop: Header=BB117_258 Depth=2
	s_or_b64 exec, exec, s[42:43]
	s_and_saveexec_b64 s[42:43], vcc
	s_cbranch_execz .LBB117_302
.LBB117_301:                            ;   in Loop: Header=BB117_258 Depth=2
	ds_read_u8 v16, v0 offset:1792
	s_waitcnt lgkmcnt(0)
	v_lshrrev_b32_e32 v16, s73, v16
	v_and_b32_e32 v69, s59, v16
.LBB117_302:                            ;   in Loop: Header=BB117_258 Depth=2
	s_or_b64 exec, exec, s[42:43]
	v_mad_u64_u32 v[15:16], s[42:43], v15, 7, v[15:16]
	s_waitcnt vmcnt(0)
	v_mad_u64_u32 v[74:75], s[42:43], v4, 7, v[4:5]
	v_mad_u64_u32 v[16:17], s[42:43], v14, 7, v[14:15]
	;; [unrolled: 1-line block ×3, first 2 shown]
	s_barrier
	ds_write_b64 v15, v[11:12] offset:1024
	ds_write_b64 v16, v[9:10] offset:1024
	;; [unrolled: 1-line block ×4, first 2 shown]
	s_waitcnt lgkmcnt(0)
	s_barrier
	s_and_saveexec_b64 s[42:43], s[40:41]
	s_cbranch_execnz .LBB117_319
; %bb.303:                              ;   in Loop: Header=BB117_258 Depth=2
	s_or_b64 exec, exec, s[42:43]
	s_and_saveexec_b64 s[40:41], s[38:39]
	s_cbranch_execnz .LBB117_320
.LBB117_304:                            ;   in Loop: Header=BB117_258 Depth=2
	s_or_b64 exec, exec, s[40:41]
	s_and_saveexec_b64 s[38:39], s[36:37]
	s_cbranch_execnz .LBB117_321
.LBB117_305:                            ;   in Loop: Header=BB117_258 Depth=2
	s_or_b64 exec, exec, s[38:39]
	s_and_saveexec_b64 s[36:37], vcc
	s_cbranch_execz .LBB117_307
.LBB117_306:                            ;   in Loop: Header=BB117_258 Depth=2
	v_lshlrev_b32_e32 v4, 2, v69
	ds_read_b32 v4, v4
	v_add_u32_e32 v13, v0, v51
	ds_read_b64 v[13:14], v13 offset:7168
	v_mov_b32_e32 v16, v3
	v_mov_b32_e32 v17, s53
	s_waitcnt lgkmcnt(1)
	v_add_u32_e32 v15, v4, v21
	v_lshlrev_b64 v[15:16], 3, v[15:16]
	v_add_co_u32_e32 v15, vcc, s52, v15
	v_addc_co_u32_e32 v16, vcc, v17, v16, vcc
	s_waitcnt lgkmcnt(0)
	global_store_dwordx2 v[15:16], v[13:14], off
.LBB117_307:                            ;   in Loop: Header=BB117_258 Depth=2
	s_or_b64 exec, exec, s[36:37]
	s_waitcnt vmcnt(0)
	s_barrier
	s_and_saveexec_b64 s[36:37], s[4:5]
	s_cbranch_execz .LBB117_257
; %bb.308:                              ;   in Loop: Header=BB117_258 Depth=2
	ds_read_b32 v4, v18
	s_waitcnt lgkmcnt(0)
	v_add_u32_e32 v4, v4, v78
	ds_write_b32 v18, v4
	s_branch .LBB117_257
.LBB117_309:                            ;   in Loop: Header=BB117_258 Depth=2
	ds_read_u8 v16, v0 offset:1024
	s_waitcnt lgkmcnt(0)
	v_lshrrev_b32_sdwa v17, s73, v16 dst_sel:DWORD dst_unused:UNUSED_PAD src0_sel:DWORD src1_sel:BYTE_0
	v_and_b32_e32 v17, s59, v17
	v_lshlrev_b32_e32 v17, 2, v17
	ds_read_b32 v17, v17
	v_xor_b32_e32 v16, -1, v16
	s_waitcnt lgkmcnt(0)
	v_add_u32_e32 v17, v17, v0
	global_store_byte v17, v16, s[66:67]
	s_or_b64 exec, exec, s[36:37]
	v_cmp_lt_u32_e64 s[38:39], v19, v74
	s_and_saveexec_b64 s[36:37], s[38:39]
	s_cbranch_execz .LBB117_290
.LBB117_310:                            ;   in Loop: Header=BB117_258 Depth=2
	ds_read_u8 v16, v0 offset:1280
	s_waitcnt lgkmcnt(0)
	v_lshrrev_b32_sdwa v17, s73, v16 dst_sel:DWORD dst_unused:UNUSED_PAD src0_sel:DWORD src1_sel:BYTE_0
	v_and_b32_e32 v17, s59, v17
	v_lshlrev_b32_e32 v17, 2, v17
	ds_read_b32 v17, v17
	v_xor_b32_e32 v16, -1, v16
	s_waitcnt lgkmcnt(0)
	v_add_u32_e32 v17, v17, v19
	global_store_byte v17, v16, s[66:67]
	s_or_b64 exec, exec, s[36:37]
	v_cmp_lt_u32_e64 s[36:37], v20, v74
	s_and_saveexec_b64 s[42:43], s[36:37]
	s_cbranch_execz .LBB117_291
.LBB117_311:                            ;   in Loop: Header=BB117_258 Depth=2
	ds_read_u8 v16, v0 offset:1536
	s_waitcnt lgkmcnt(0)
	v_lshrrev_b32_sdwa v17, s73, v16 dst_sel:DWORD dst_unused:UNUSED_PAD src0_sel:DWORD src1_sel:BYTE_0
	v_and_b32_e32 v17, s59, v17
	v_lshlrev_b32_e32 v17, 2, v17
	ds_read_b32 v17, v17
	v_xor_b32_e32 v16, -1, v16
	s_waitcnt lgkmcnt(0)
	v_add_u32_e32 v17, v17, v20
	global_store_byte v17, v16, s[66:67]
	s_or_b64 exec, exec, s[42:43]
	v_cmp_lt_u32_e32 vcc, v21, v74
	s_and_saveexec_b64 s[42:43], vcc
	s_cbranch_execnz .LBB117_292
	s_branch .LBB117_293
.LBB117_312:                            ;   in Loop: Header=BB117_258 Depth=2
	global_load_dwordx2 v[11:12], v[16:17], off
	s_or_b64 exec, exec, s[42:43]
	v_cmp_lt_u32_e64 s[42:43], v61, v74
	s_and_saveexec_b64 s[56:57], s[42:43]
	s_cbranch_execz .LBB117_295
.LBB117_313:                            ;   in Loop: Header=BB117_258 Depth=2
	global_load_dwordx2 v[9:10], v[16:17], off offset:512
	s_or_b64 exec, exec, s[56:57]
	v_cmp_lt_u32_e64 s[42:43], v62, v74
	s_and_saveexec_b64 s[56:57], s[42:43]
	s_cbranch_execz .LBB117_296
.LBB117_314:                            ;   in Loop: Header=BB117_258 Depth=2
	global_load_dwordx2 v[7:8], v[16:17], off offset:1024
	s_or_b64 exec, exec, s[56:57]
	v_cmp_lt_u32_e64 s[42:43], v63, v74
	s_and_saveexec_b64 s[56:57], s[42:43]
	s_cbranch_execz .LBB117_297
.LBB117_315:                            ;   in Loop: Header=BB117_258 Depth=2
	global_load_dwordx2 v[5:6], v[16:17], off offset:1536
	s_or_b64 exec, exec, s[56:57]
	s_and_saveexec_b64 s[42:43], s[40:41]
	s_cbranch_execz .LBB117_298
.LBB117_316:                            ;   in Loop: Header=BB117_258 Depth=2
	ds_read_u8 v16, v0 offset:1024
	s_waitcnt lgkmcnt(0)
	v_lshrrev_b32_e32 v16, s73, v16
	v_and_b32_e32 v73, s59, v16
	s_or_b64 exec, exec, s[42:43]
	s_and_saveexec_b64 s[42:43], s[38:39]
	s_cbranch_execz .LBB117_299
.LBB117_317:                            ;   in Loop: Header=BB117_258 Depth=2
	ds_read_u8 v16, v0 offset:1280
	s_waitcnt lgkmcnt(0)
	v_lshrrev_b32_e32 v16, s73, v16
	v_and_b32_e32 v72, s59, v16
	s_or_b64 exec, exec, s[42:43]
	s_and_saveexec_b64 s[42:43], s[36:37]
	s_cbranch_execz .LBB117_300
.LBB117_318:                            ;   in Loop: Header=BB117_258 Depth=2
	ds_read_u8 v16, v0 offset:1536
	s_waitcnt lgkmcnt(0)
	v_lshrrev_b32_e32 v16, s73, v16
	v_and_b32_e32 v70, s59, v16
	s_or_b64 exec, exec, s[42:43]
	s_and_saveexec_b64 s[42:43], vcc
	s_cbranch_execnz .LBB117_301
	s_branch .LBB117_302
.LBB117_319:                            ;   in Loop: Header=BB117_258 Depth=2
	v_lshlrev_b32_e32 v4, 2, v73
	ds_read_b32 v4, v4
	v_add_u32_e32 v13, v0, v51
	ds_read_b64 v[13:14], v13 offset:1024
	v_mov_b32_e32 v16, v3
	v_mov_b32_e32 v17, s53
	s_waitcnt lgkmcnt(1)
	v_add_u32_e32 v15, v4, v0
	v_lshlrev_b64 v[15:16], 3, v[15:16]
	v_add_co_u32_e64 v15, s[40:41], s52, v15
	v_addc_co_u32_e64 v16, s[40:41], v17, v16, s[40:41]
	s_waitcnt lgkmcnt(0)
	global_store_dwordx2 v[15:16], v[13:14], off
	s_or_b64 exec, exec, s[42:43]
	s_and_saveexec_b64 s[40:41], s[38:39]
	s_cbranch_execz .LBB117_304
.LBB117_320:                            ;   in Loop: Header=BB117_258 Depth=2
	v_lshlrev_b32_e32 v4, 2, v72
	ds_read_b32 v4, v4
	v_add_u32_e32 v13, v0, v51
	ds_read_b64 v[13:14], v13 offset:3072
	v_mov_b32_e32 v16, v3
	v_mov_b32_e32 v17, s53
	s_waitcnt lgkmcnt(1)
	v_add_u32_e32 v15, v4, v19
	v_lshlrev_b64 v[15:16], 3, v[15:16]
	v_add_co_u32_e64 v15, s[38:39], s52, v15
	v_addc_co_u32_e64 v16, s[38:39], v17, v16, s[38:39]
	s_waitcnt lgkmcnt(0)
	global_store_dwordx2 v[15:16], v[13:14], off
	s_or_b64 exec, exec, s[40:41]
	s_and_saveexec_b64 s[38:39], s[36:37]
	s_cbranch_execz .LBB117_305
.LBB117_321:                            ;   in Loop: Header=BB117_258 Depth=2
	v_lshlrev_b32_e32 v4, 2, v70
	ds_read_b32 v4, v4
	v_add_u32_e32 v13, v0, v51
	ds_read_b64 v[13:14], v13 offset:5120
	v_mov_b32_e32 v16, v3
	v_mov_b32_e32 v17, s53
	s_waitcnt lgkmcnt(1)
	v_add_u32_e32 v15, v4, v20
	v_lshlrev_b64 v[15:16], 3, v[15:16]
	v_add_co_u32_e64 v15, s[36:37], s52, v15
	v_addc_co_u32_e64 v16, s[36:37], v17, v16, s[36:37]
	s_waitcnt lgkmcnt(0)
	global_store_dwordx2 v[15:16], v[13:14], off
	s_or_b64 exec, exec, s[38:39]
	s_and_saveexec_b64 s[36:37], vcc
	s_cbranch_execnz .LBB117_306
	s_branch .LBB117_307
.LBB117_322:                            ;   in Loop: Header=BB117_20 Depth=1
	s_waitcnt lgkmcnt(0)
	s_barrier
	s_mov_b64 s[16:17], 0
.LBB117_323:                            ;   in Loop: Header=BB117_20 Depth=1
	s_and_b64 vcc, exec, s[16:17]
	s_cbranch_vccz .LBB117_19
; %bb.324:                              ;   in Loop: Header=BB117_20 Depth=1
	v_mov_b32_e32 v4, 0
	s_mov_b32 s18, s75
	s_mov_b32 s20, s49
	v_mov_b32_e32 v7, 0
	v_mov_b32_e32 v6, 0
	;; [unrolled: 1-line block ×3, first 2 shown]
	s_barrier
	s_branch .LBB117_326
.LBB117_325:                            ;   in Loop: Header=BB117_326 Depth=2
	s_or_b64 exec, exec, s[16:17]
	s_addk_i32 s18, 0xfc00
	s_cmp_ge_u32 s19, s76
	s_mov_b32 s20, s19
	s_cbranch_scc1 .LBB117_346
.LBB117_326:                            ;   Parent Loop BB117_20 Depth=1
                                        ; =>  This Inner Loop Header: Depth=2
	s_add_i32 s19, s20, 0x400
	s_cmp_gt_u32 s19, s76
	s_mov_b64 s[16:17], -1
                                        ; implicit-def: $vgpr8
                                        ; implicit-def: $vgpr9
                                        ; implicit-def: $vgpr10
                                        ; implicit-def: $vgpr11
	s_cbranch_scc1 .LBB117_328
; %bb.327:                              ;   in Loop: Header=BB117_326 Depth=2
	v_add_co_u32_e32 v12, vcc, s20, v39
	v_addc_co_u32_e32 v13, vcc, 0, v40, vcc
	global_load_ubyte v11, v[12:13], off offset:768
	global_load_ubyte v10, v[12:13], off offset:512
	;; [unrolled: 1-line block ×3, first 2 shown]
	global_load_ubyte v8, v[12:13], off
	s_mov_b64 s[16:17], 0
.LBB117_328:                            ;   in Loop: Header=BB117_326 Depth=2
	s_andn2_b64 vcc, exec, s[16:17]
	s_movk_i32 s21, 0x400
	s_cbranch_vccnz .LBB117_335
; %bb.329:                              ;   in Loop: Header=BB117_326 Depth=2
	s_add_u32 s20, s64, s20
	s_addc_u32 s21, s65, 0
	v_cmp_gt_u32_e32 vcc, s18, v0
	s_and_saveexec_b64 s[16:17], vcc
	s_cbranch_execnz .LBB117_343
; %bb.330:                              ;   in Loop: Header=BB117_326 Depth=2
	s_or_b64 exec, exec, s[16:17]
	v_cmp_gt_u32_e32 vcc, s18, v19
	s_and_saveexec_b64 s[16:17], vcc
	s_cbranch_execnz .LBB117_344
.LBB117_331:                            ;   in Loop: Header=BB117_326 Depth=2
	s_or_b64 exec, exec, s[16:17]
	v_cmp_gt_u32_e32 vcc, s18, v20
	s_and_saveexec_b64 s[16:17], vcc
	s_cbranch_execnz .LBB117_345
.LBB117_332:                            ;   in Loop: Header=BB117_326 Depth=2
	s_or_b64 exec, exec, s[16:17]
	v_cmp_gt_u32_e32 vcc, s18, v21
	s_and_saveexec_b64 s[16:17], vcc
	s_cbranch_execz .LBB117_334
.LBB117_333:                            ;   in Loop: Header=BB117_326 Depth=2
	v_mov_b32_e32 v5, s21
	s_waitcnt vmcnt(0)
	v_add_co_u32_e32 v8, vcc, s20, v0
	v_addc_co_u32_e32 v9, vcc, 0, v5, vcc
	global_load_ubyte v5, v[8:9], off offset:768
.LBB117_334:                            ;   in Loop: Header=BB117_326 Depth=2
	s_or_b64 exec, exec, s[16:17]
	s_mov_b32 s21, s18
	s_waitcnt vmcnt(0)
	v_mov_b32_e32 v8, v4
	v_mov_b32_e32 v9, v7
	v_mov_b32_e32 v10, v6
	v_mov_b32_e32 v11, v5
.LBB117_335:                            ;   in Loop: Header=BB117_326 Depth=2
	s_waitcnt vmcnt(3)
	v_mov_b32_e32 v5, v11
	s_waitcnt vmcnt(2)
	v_mov_b32_e32 v6, v10
	;; [unrolled: 2-line block ×4, first 2 shown]
	v_cmp_gt_u32_e32 vcc, s21, v0
	s_and_saveexec_b64 s[16:17], vcc
	s_cbranch_execnz .LBB117_339
; %bb.336:                              ;   in Loop: Header=BB117_326 Depth=2
	s_or_b64 exec, exec, s[16:17]
	v_cmp_gt_u32_e32 vcc, s21, v19
	s_and_saveexec_b64 s[16:17], vcc
	s_cbranch_execnz .LBB117_340
.LBB117_337:                            ;   in Loop: Header=BB117_326 Depth=2
	s_or_b64 exec, exec, s[16:17]
	v_cmp_gt_u32_e32 vcc, s21, v20
	s_and_saveexec_b64 s[16:17], vcc
	s_cbranch_execnz .LBB117_341
.LBB117_338:                            ;   in Loop: Header=BB117_326 Depth=2
	s_or_b64 exec, exec, s[16:17]
	v_cmp_gt_u32_e32 vcc, s21, v21
	s_and_saveexec_b64 s[16:17], vcc
	s_cbranch_execz .LBB117_325
	s_branch .LBB117_342
.LBB117_339:                            ;   in Loop: Header=BB117_326 Depth=2
	v_xor_b32_e32 v8, -1, v4
	v_lshrrev_b32_sdwa v8, s73, v8 dst_sel:DWORD dst_unused:UNUSED_PAD src0_sel:DWORD src1_sel:BYTE_0
	v_and_b32_e32 v8, s59, v8
	v_lshl_or_b32 v8, v8, 4, v24
	ds_add_u32 v8, v52
	s_or_b64 exec, exec, s[16:17]
	v_cmp_gt_u32_e32 vcc, s21, v19
	s_and_saveexec_b64 s[16:17], vcc
	s_cbranch_execz .LBB117_337
.LBB117_340:                            ;   in Loop: Header=BB117_326 Depth=2
	v_xor_b32_e32 v8, -1, v7
	v_lshrrev_b32_sdwa v8, s73, v8 dst_sel:DWORD dst_unused:UNUSED_PAD src0_sel:DWORD src1_sel:BYTE_0
	v_and_b32_e32 v8, s59, v8
	v_lshl_or_b32 v8, v8, 4, v24
	ds_add_u32 v8, v52
	s_or_b64 exec, exec, s[16:17]
	v_cmp_gt_u32_e32 vcc, s21, v20
	s_and_saveexec_b64 s[16:17], vcc
	s_cbranch_execz .LBB117_338
.LBB117_341:                            ;   in Loop: Header=BB117_326 Depth=2
	v_xor_b32_e32 v8, -1, v6
	v_lshrrev_b32_sdwa v8, s73, v8 dst_sel:DWORD dst_unused:UNUSED_PAD src0_sel:DWORD src1_sel:BYTE_0
	v_and_b32_e32 v8, s59, v8
	v_lshl_or_b32 v8, v8, 4, v24
	ds_add_u32 v8, v52
	s_or_b64 exec, exec, s[16:17]
	v_cmp_gt_u32_e32 vcc, s21, v21
	s_and_saveexec_b64 s[16:17], vcc
	s_cbranch_execz .LBB117_325
.LBB117_342:                            ;   in Loop: Header=BB117_326 Depth=2
	v_xor_b32_e32 v8, -1, v5
	v_lshrrev_b32_sdwa v8, s73, v8 dst_sel:DWORD dst_unused:UNUSED_PAD src0_sel:DWORD src1_sel:BYTE_0
	v_and_b32_e32 v8, s59, v8
	v_lshl_or_b32 v8, v8, 4, v24
	ds_add_u32 v8, v52
	s_branch .LBB117_325
.LBB117_343:                            ;   in Loop: Header=BB117_326 Depth=2
	v_mov_b32_e32 v4, s21
	s_waitcnt vmcnt(0)
	v_add_co_u32_e32 v8, vcc, s20, v0
	v_addc_co_u32_e32 v9, vcc, 0, v4, vcc
	global_load_ubyte v4, v[8:9], off
	s_or_b64 exec, exec, s[16:17]
	v_cmp_gt_u32_e32 vcc, s18, v19
	s_and_saveexec_b64 s[16:17], vcc
	s_cbranch_execz .LBB117_331
.LBB117_344:                            ;   in Loop: Header=BB117_326 Depth=2
	s_waitcnt vmcnt(0)
	v_mov_b32_e32 v8, s21
	v_add_co_u32_e32 v7, vcc, s20, v0
	v_addc_co_u32_e32 v8, vcc, 0, v8, vcc
	global_load_ubyte v7, v[7:8], off offset:256
	s_or_b64 exec, exec, s[16:17]
	v_cmp_gt_u32_e32 vcc, s18, v20
	s_and_saveexec_b64 s[16:17], vcc
	s_cbranch_execz .LBB117_332
.LBB117_345:                            ;   in Loop: Header=BB117_326 Depth=2
	v_mov_b32_e32 v6, s21
	s_waitcnt vmcnt(0)
	v_add_co_u32_e32 v8, vcc, s20, v0
	v_addc_co_u32_e32 v9, vcc, 0, v6, vcc
	global_load_ubyte v6, v[8:9], off offset:512
	s_or_b64 exec, exec, s[16:17]
	v_cmp_gt_u32_e32 vcc, s18, v21
	s_and_saveexec_b64 s[16:17], vcc
	s_cbranch_execnz .LBB117_333
	s_branch .LBB117_334
.LBB117_346:                            ;   in Loop: Header=BB117_20 Depth=1
	v_mov_b32_e32 v4, 0
	s_waitcnt lgkmcnt(0)
	s_barrier
	s_and_saveexec_b64 s[16:17], s[4:5]
	s_cbranch_execz .LBB117_348
; %bb.347:                              ;   in Loop: Header=BB117_20 Depth=1
	ds_read2_b64 v[4:7], v25 offset1:1
	s_waitcnt lgkmcnt(0)
	v_add_u32_e32 v4, v5, v4
	v_add3_u32 v4, v4, v6, v7
.LBB117_348:                            ;   in Loop: Header=BB117_20 Depth=1
	s_or_b64 exec, exec, s[16:17]
	s_nop 0
	v_mov_b32_dpp v5, v4 row_shr:1 row_mask:0xf bank_mask:0xf
	v_cmp_eq_u32_e64 s[16:17], 0, v55
	v_cndmask_b32_e64 v5, v5, 0, s[16:17]
	v_add_u32_e32 v4, v5, v4
	v_cmp_lt_u32_e64 s[18:19], 1, v55
	v_cmp_lt_u32_e64 s[20:21], 3, v55
	v_mov_b32_dpp v5, v4 row_shr:2 row_mask:0xf bank_mask:0xf
	v_cndmask_b32_e64 v5, 0, v5, s[18:19]
	v_add_u32_e32 v4, v4, v5
	v_cmp_lt_u32_e64 s[22:23], 7, v55
	v_cmp_lt_u32_e64 s[26:27], 31, v45
	v_mov_b32_dpp v5, v4 row_shr:4 row_mask:0xf bank_mask:0xf
	v_cndmask_b32_e64 v5, 0, v5, s[20:21]
	v_add_u32_e32 v4, v4, v5
	v_cmp_eq_u32_e64 s[24:25], 0, v57
	s_nop 0
	v_mov_b32_dpp v5, v4 row_shr:8 row_mask:0xf bank_mask:0xf
	v_cndmask_b32_e64 v5, 0, v5, s[22:23]
	v_add_u32_e32 v4, v4, v5
	s_nop 1
	v_mov_b32_dpp v5, v4 row_bcast:15 row_mask:0xf bank_mask:0xf
	v_and_b32_e32 v5, v56, v5
	v_add_u32_e32 v4, v4, v5
	s_nop 1
	v_mov_b32_dpp v5, v4 row_bcast:31 row_mask:0xf bank_mask:0xf
	v_cndmask_b32_e64 v5, 0, v5, s[26:27]
	v_add_u32_e32 v4, v4, v5
	s_and_saveexec_b64 s[28:29], s[6:7]
; %bb.349:                              ;   in Loop: Header=BB117_20 Depth=1
	ds_write_b32 v27, v4
; %bb.350:                              ;   in Loop: Header=BB117_20 Depth=1
	s_or_b64 exec, exec, s[28:29]
	s_waitcnt lgkmcnt(0)
	s_barrier
	s_and_saveexec_b64 s[28:29], s[8:9]
	s_cbranch_execz .LBB117_352
; %bb.351:                              ;   in Loop: Header=BB117_20 Depth=1
	ds_read_b32 v5, v48
	v_cmp_ne_u32_e32 vcc, 0, v58
	s_waitcnt lgkmcnt(0)
	v_mov_b32_dpp v6, v5 row_shr:1 row_mask:0xf bank_mask:0xf
	v_cndmask_b32_e32 v6, 0, v6, vcc
	v_add_u32_e32 v5, v6, v5
	v_cmp_lt_u32_e32 vcc, 1, v58
	s_nop 0
	v_mov_b32_dpp v6, v5 row_shr:2 row_mask:0xf bank_mask:0xf
	v_cndmask_b32_e32 v6, 0, v6, vcc
	v_add_u32_e32 v5, v5, v6
	ds_write_b32 v48, v5
.LBB117_352:                            ;   in Loop: Header=BB117_20 Depth=1
	s_or_b64 exec, exec, s[28:29]
	v_mov_b32_e32 v5, 0
	s_waitcnt lgkmcnt(0)
	s_barrier
	s_and_saveexec_b64 s[28:29], s[10:11]
; %bb.353:                              ;   in Loop: Header=BB117_20 Depth=1
	ds_read_b32 v5, v49
; %bb.354:                              ;   in Loop: Header=BB117_20 Depth=1
	s_or_b64 exec, exec, s[28:29]
	v_subrev_co_u32_e64 v6, s[28:29], 1, v45
	v_cmp_lt_i32_e32 vcc, v6, v59
	v_cndmask_b32_e32 v6, v6, v45, vcc
	s_waitcnt lgkmcnt(0)
	v_add_u32_e32 v4, v5, v4
	v_lshlrev_b32_e32 v64, 2, v6
	ds_bpermute_b32 v4, v64, v4
	s_waitcnt lgkmcnt(0)
	s_barrier
	s_and_saveexec_b64 s[30:31], s[4:5]
; %bb.355:                              ;   in Loop: Header=BB117_20 Depth=1
	v_cndmask_b32_e64 v4, v4, v5, s[28:29]
	v_add_u32_e32 v4, s49, v4
	ds_write_b32 v18, v4
; %bb.356:                              ;   in Loop: Header=BB117_20 Depth=1
	s_or_b64 exec, exec, s[30:31]
	s_load_dwordx2 s[30:31], s[44:45], 0x0
	v_add_co_u32_e32 v65, vcc, v41, v60
	v_addc_co_u32_e32 v66, vcc, 0, v42, vcc
	s_waitcnt lgkmcnt(0)
	s_cmp_lt_u32 s33, s31
	s_cselect_b32 s31, 14, 20
	s_add_u32 s34, s44, s31
	s_addc_u32 s35, s45, 0
	s_cmp_lt_u32 s48, s30
	s_cselect_b32 s30, 12, 18
	s_add_u32 s30, s44, s30
	global_load_ushort v4, v3, s[34:35]
	s_addc_u32 s31, s45, 0
	global_load_ushort v5, v3, s[30:31]
	v_add_co_u32_e32 v67, vcc, v43, v46
	v_cmp_eq_u32_e64 s[30:31], 0, v58
	v_cmp_lt_u32_e64 s[34:35], 1, v58
	v_addc_co_u32_e32 v68, vcc, 0, v44, vcc
	s_mov_b32 s60, s75
	s_mov_b32 s46, s49
                                        ; implicit-def: $vgpr7_vgpr8
                                        ; implicit-def: $vgpr9_vgpr10
                                        ; implicit-def: $vgpr11_vgpr12
                                        ; implicit-def: $vgpr69
                                        ; implicit-def: $vgpr70
                                        ; implicit-def: $vgpr72
                                        ; implicit-def: $vgpr73
	s_waitcnt vmcnt(1)
	v_mad_u32_u24 v4, v2, v4, v1
	s_waitcnt vmcnt(0)
	v_mad_u64_u32 v[4:5], s[36:37], v4, v5, v[0:1]
                                        ; implicit-def: $vgpr5_vgpr6
	v_lshrrev_b32_e32 v4, 4, v4
	v_and_b32_e32 v71, 0xffffffc, v4
	s_branch .LBB117_358
.LBB117_357:                            ;   in Loop: Header=BB117_358 Depth=2
	s_or_b64 exec, exec, s[36:37]
	s_addk_i32 s60, 0xfc00
	s_cmp_lt_u32 s61, s76
	s_mov_b32 s46, s61
	s_cbranch_scc0 .LBB117_18
.LBB117_358:                            ;   Parent Loop BB117_20 Depth=1
                                        ; =>  This Inner Loop Header: Depth=2
	s_add_i32 s61, s46, 0x400
	s_cmp_gt_u32 s61, s76
	s_cbranch_scc1 .LBB117_360
; %bb.359:                              ;   in Loop: Header=BB117_358 Depth=2
	v_add_co_u32_e32 v13, vcc, s46, v67
	v_addc_co_u32_e32 v14, vcc, 0, v68, vcc
	global_load_ubyte v16, v[13:14], off offset:128
	global_load_ubyte v76, v[13:14], off offset:64
	global_load_ubyte v4, v[13:14], off
	s_mov_b64 s[36:37], -1
	s_movk_i32 s40, 0x400
                                        ; implicit-def: $vgpr15
	s_cbranch_execz .LBB117_361
	s_branch .LBB117_368
.LBB117_360:                            ;   in Loop: Header=BB117_358 Depth=2
	s_mov_b64 s[36:37], 0
                                        ; implicit-def: $vgpr4
                                        ; implicit-def: $vgpr76
                                        ; implicit-def: $vgpr16
	s_movk_i32 s40, 0x400
                                        ; implicit-def: $vgpr15
.LBB117_361:                            ;   in Loop: Header=BB117_358 Depth=2
	v_add_co_u32_e32 v13, vcc, s46, v67
	v_addc_co_u32_e32 v14, vcc, 0, v68, vcc
	v_cmp_gt_u32_e32 vcc, s60, v47
	s_waitcnt vmcnt(2)
	v_mov_b32_e32 v16, 0
	s_waitcnt vmcnt(0)
	v_mov_b32_e32 v4, 0
	v_mov_b32_e32 v15, 0
	s_and_saveexec_b64 s[36:37], vcc
	s_cbranch_execz .LBB117_363
; %bb.362:                              ;   in Loop: Header=BB117_358 Depth=2
	global_load_ubyte v4, v[13:14], off
	v_mov_b32_e32 v15, 0
.LBB117_363:                            ;   in Loop: Header=BB117_358 Depth=2
	s_or_b64 exec, exec, s[36:37]
	v_cmp_gt_u32_e32 vcc, s60, v61
	v_mov_b32_e32 v76, v16
	s_and_saveexec_b64 s[36:37], vcc
	s_cbranch_execz .LBB117_365
; %bb.364:                              ;   in Loop: Header=BB117_358 Depth=2
	global_load_ubyte v76, v[13:14], off offset:64
.LBB117_365:                            ;   in Loop: Header=BB117_358 Depth=2
	s_or_b64 exec, exec, s[36:37]
	v_cmp_gt_u32_e32 vcc, s60, v62
	s_and_saveexec_b64 s[36:37], vcc
	s_cbranch_execz .LBB117_367
; %bb.366:                              ;   in Loop: Header=BB117_358 Depth=2
	global_load_ubyte v16, v[13:14], off offset:128
.LBB117_367:                            ;   in Loop: Header=BB117_358 Depth=2
	s_or_b64 exec, exec, s[36:37]
	s_sub_i32 s40, s76, s46
	v_cmp_gt_u32_e64 s[36:37], s60, v63
.LBB117_368:                            ;   in Loop: Header=BB117_358 Depth=2
	v_mov_b32_e32 v74, s60
	s_and_saveexec_b64 s[38:39], s[36:37]
	s_cbranch_execz .LBB117_370
; %bb.369:                              ;   in Loop: Header=BB117_358 Depth=2
	v_mov_b32_e32 v14, s47
	v_add_co_u32_e32 v13, vcc, s46, v67
	v_addc_co_u32_e32 v14, vcc, v68, v14, vcc
	global_load_ubyte v15, v[13:14], off offset:192
	v_mov_b32_e32 v74, s40
.LBB117_370:                            ;   in Loop: Header=BB117_358 Depth=2
	s_or_b64 exec, exec, s[38:39]
	s_waitcnt vmcnt(0)
	v_xor_b32_e32 v17, -1, v4
	v_lshrrev_b32_sdwa v4, s73, v17 dst_sel:DWORD dst_unused:UNUSED_PAD src0_sel:DWORD src1_sel:BYTE_0
	v_and_b32_e32 v13, s59, v4
	v_and_b32_e32 v4, 1, v13
	v_add_co_u32_e32 v14, vcc, -1, v4
	v_addc_co_u32_e64 v75, s[36:37], 0, -1, vcc
	v_cmp_ne_u32_e32 vcc, 0, v4
	v_xor_b32_e32 v4, vcc_hi, v75
	v_and_b32_e32 v75, exec_hi, v4
	v_lshlrev_b32_e32 v4, 30, v13
	v_xor_b32_e32 v14, vcc_lo, v14
	v_cmp_gt_i64_e32 vcc, 0, v[3:4]
	v_not_b32_e32 v4, v4
	v_ashrrev_i32_e32 v4, 31, v4
	v_and_b32_e32 v14, exec_lo, v14
	v_xor_b32_e32 v78, vcc_hi, v4
	v_xor_b32_e32 v4, vcc_lo, v4
	v_and_b32_e32 v14, v14, v4
	v_lshlrev_b32_e32 v4, 29, v13
	v_cmp_gt_i64_e32 vcc, 0, v[3:4]
	v_not_b32_e32 v4, v4
	v_ashrrev_i32_e32 v4, 31, v4
	v_and_b32_e32 v75, v75, v78
	v_xor_b32_e32 v78, vcc_hi, v4
	v_xor_b32_e32 v4, vcc_lo, v4
	v_and_b32_e32 v14, v14, v4
	v_lshlrev_b32_e32 v4, 28, v13
	v_cmp_gt_i64_e32 vcc, 0, v[3:4]
	v_not_b32_e32 v4, v4
	v_ashrrev_i32_e32 v4, 31, v4
	v_and_b32_e32 v75, v75, v78
	;; [unrolled: 8-line block ×5, first 2 shown]
	v_xor_b32_e32 v78, vcc_hi, v4
	v_xor_b32_e32 v4, vcc_lo, v4
	v_and_b32_e32 v75, v75, v78
	v_and_b32_e32 v78, v14, v4
	v_lshlrev_b32_e32 v4, 24, v13
	v_cmp_gt_i64_e32 vcc, 0, v[3:4]
	v_not_b32_e32 v4, v4
	v_ashrrev_i32_e32 v4, 31, v4
	v_mul_u32_u24_e32 v77, 20, v13
	v_xor_b32_e32 v13, vcc_hi, v4
	v_xor_b32_e32 v4, vcc_lo, v4
	v_and_b32_e32 v14, v75, v13
	v_and_b32_e32 v13, v78, v4
	v_mbcnt_lo_u32_b32 v4, v13, 0
	v_mbcnt_hi_u32_b32 v75, v14, v4
	v_cmp_ne_u64_e32 vcc, 0, v[13:14]
	v_cmp_eq_u32_e64 s[36:37], 0, v75
	s_and_b64 s[38:39], vcc, s[36:37]
	v_add_u32_e32 v78, v71, v77
	ds_write2_b32 v53, v3, v3 offset1:1
	ds_write2_b32 v54, v3, v3 offset1:1
	ds_write_b32 v50, v3 offset:1056
	s_waitcnt lgkmcnt(0)
	s_barrier
	; wave barrier
	s_and_saveexec_b64 s[36:37], s[38:39]
; %bb.371:                              ;   in Loop: Header=BB117_358 Depth=2
	v_bcnt_u32_b32 v4, v13, 0
	v_bcnt_u32_b32 v4, v14, v4
	ds_write_b32 v78, v4 offset:1040
; %bb.372:                              ;   in Loop: Header=BB117_358 Depth=2
	s_or_b64 exec, exec, s[36:37]
	v_xor_b32_e32 v76, -1, v76
	v_lshrrev_b32_sdwa v4, s73, v76 dst_sel:DWORD dst_unused:UNUSED_PAD src0_sel:DWORD src1_sel:BYTE_0
	v_and_b32_e32 v13, s59, v4
	v_mad_u32_u24 v4, v13, 20, v71
	; wave barrier
	ds_read_b32 v77, v4 offset:1040
	v_and_b32_e32 v4, 1, v13
	v_add_co_u32_e32 v14, vcc, -1, v4
	v_addc_co_u32_e64 v79, s[36:37], 0, -1, vcc
	v_cmp_ne_u32_e32 vcc, 0, v4
	v_xor_b32_e32 v4, vcc_hi, v79
	v_and_b32_e32 v79, exec_hi, v4
	v_lshlrev_b32_e32 v4, 30, v13
	v_xor_b32_e32 v14, vcc_lo, v14
	v_cmp_gt_i64_e32 vcc, 0, v[3:4]
	v_not_b32_e32 v4, v4
	v_ashrrev_i32_e32 v4, 31, v4
	v_and_b32_e32 v14, exec_lo, v14
	v_xor_b32_e32 v81, vcc_hi, v4
	v_xor_b32_e32 v4, vcc_lo, v4
	v_and_b32_e32 v14, v14, v4
	v_lshlrev_b32_e32 v4, 29, v13
	v_cmp_gt_i64_e32 vcc, 0, v[3:4]
	v_not_b32_e32 v4, v4
	v_ashrrev_i32_e32 v4, 31, v4
	v_and_b32_e32 v79, v79, v81
	v_xor_b32_e32 v81, vcc_hi, v4
	v_xor_b32_e32 v4, vcc_lo, v4
	v_and_b32_e32 v14, v14, v4
	v_lshlrev_b32_e32 v4, 28, v13
	v_cmp_gt_i64_e32 vcc, 0, v[3:4]
	v_not_b32_e32 v4, v4
	v_ashrrev_i32_e32 v4, 31, v4
	v_and_b32_e32 v79, v79, v81
	;; [unrolled: 8-line block ×5, first 2 shown]
	v_xor_b32_e32 v81, vcc_hi, v4
	v_xor_b32_e32 v4, vcc_lo, v4
	v_and_b32_e32 v79, v79, v81
	v_and_b32_e32 v81, v14, v4
	v_lshlrev_b32_e32 v4, 24, v13
	v_cmp_gt_i64_e32 vcc, 0, v[3:4]
	v_not_b32_e32 v4, v4
	v_ashrrev_i32_e32 v4, 31, v4
	v_mul_u32_u24_e32 v80, 20, v13
	v_xor_b32_e32 v13, vcc_hi, v4
	v_xor_b32_e32 v4, vcc_lo, v4
	v_and_b32_e32 v14, v79, v13
	v_and_b32_e32 v13, v81, v4
	v_mbcnt_lo_u32_b32 v4, v13, 0
	v_mbcnt_hi_u32_b32 v79, v14, v4
	v_cmp_ne_u64_e32 vcc, 0, v[13:14]
	v_cmp_eq_u32_e64 s[36:37], 0, v79
	s_and_b64 s[38:39], vcc, s[36:37]
	v_add_u32_e32 v82, v71, v80
	; wave barrier
	s_and_saveexec_b64 s[36:37], s[38:39]
	s_cbranch_execz .LBB117_374
; %bb.373:                              ;   in Loop: Header=BB117_358 Depth=2
	v_bcnt_u32_b32 v4, v13, 0
	v_bcnt_u32_b32 v4, v14, v4
	s_waitcnt lgkmcnt(0)
	v_add_u32_e32 v4, v77, v4
	ds_write_b32 v82, v4 offset:1040
.LBB117_374:                            ;   in Loop: Header=BB117_358 Depth=2
	s_or_b64 exec, exec, s[36:37]
	v_xor_b32_e32 v80, -1, v16
	v_lshrrev_b32_sdwa v4, s73, v80 dst_sel:DWORD dst_unused:UNUSED_PAD src0_sel:DWORD src1_sel:BYTE_0
	v_and_b32_e32 v13, s59, v4
	v_mad_u32_u24 v4, v13, 20, v71
	; wave barrier
	ds_read_b32 v81, v4 offset:1040
	v_and_b32_e32 v4, 1, v13
	v_add_co_u32_e32 v14, vcc, -1, v4
	v_addc_co_u32_e64 v83, s[36:37], 0, -1, vcc
	v_cmp_ne_u32_e32 vcc, 0, v4
	v_xor_b32_e32 v4, vcc_hi, v83
	v_and_b32_e32 v83, exec_hi, v4
	v_lshlrev_b32_e32 v4, 30, v13
	v_xor_b32_e32 v14, vcc_lo, v14
	v_cmp_gt_i64_e32 vcc, 0, v[3:4]
	v_not_b32_e32 v4, v4
	v_ashrrev_i32_e32 v4, 31, v4
	v_and_b32_e32 v14, exec_lo, v14
	v_xor_b32_e32 v84, vcc_hi, v4
	v_xor_b32_e32 v4, vcc_lo, v4
	v_and_b32_e32 v14, v14, v4
	v_lshlrev_b32_e32 v4, 29, v13
	v_cmp_gt_i64_e32 vcc, 0, v[3:4]
	v_not_b32_e32 v4, v4
	v_ashrrev_i32_e32 v4, 31, v4
	v_and_b32_e32 v83, v83, v84
	v_xor_b32_e32 v84, vcc_hi, v4
	v_xor_b32_e32 v4, vcc_lo, v4
	v_and_b32_e32 v14, v14, v4
	v_lshlrev_b32_e32 v4, 28, v13
	v_cmp_gt_i64_e32 vcc, 0, v[3:4]
	v_not_b32_e32 v4, v4
	v_ashrrev_i32_e32 v4, 31, v4
	v_and_b32_e32 v83, v83, v84
	;; [unrolled: 8-line block ×5, first 2 shown]
	v_xor_b32_e32 v84, vcc_hi, v4
	v_xor_b32_e32 v4, vcc_lo, v4
	v_and_b32_e32 v83, v83, v84
	v_and_b32_e32 v84, v14, v4
	v_lshlrev_b32_e32 v4, 24, v13
	v_cmp_gt_i64_e32 vcc, 0, v[3:4]
	v_not_b32_e32 v4, v4
	v_ashrrev_i32_e32 v4, 31, v4
	v_mul_u32_u24_e32 v16, 20, v13
	v_xor_b32_e32 v13, vcc_hi, v4
	v_xor_b32_e32 v4, vcc_lo, v4
	v_and_b32_e32 v14, v83, v13
	v_and_b32_e32 v13, v84, v4
	v_mbcnt_lo_u32_b32 v4, v13, 0
	v_mbcnt_hi_u32_b32 v83, v14, v4
	v_cmp_ne_u64_e32 vcc, 0, v[13:14]
	v_cmp_eq_u32_e64 s[36:37], 0, v83
	s_and_b64 s[38:39], vcc, s[36:37]
	v_add_u32_e32 v86, v71, v16
	; wave barrier
	s_and_saveexec_b64 s[36:37], s[38:39]
	s_cbranch_execz .LBB117_376
; %bb.375:                              ;   in Loop: Header=BB117_358 Depth=2
	v_bcnt_u32_b32 v4, v13, 0
	v_bcnt_u32_b32 v4, v14, v4
	s_waitcnt lgkmcnt(0)
	v_add_u32_e32 v4, v81, v4
	ds_write_b32 v86, v4 offset:1040
.LBB117_376:                            ;   in Loop: Header=BB117_358 Depth=2
	s_or_b64 exec, exec, s[36:37]
	v_xor_b32_e32 v84, -1, v15
	v_lshrrev_b32_sdwa v4, s73, v84 dst_sel:DWORD dst_unused:UNUSED_PAD src0_sel:DWORD src1_sel:BYTE_0
	v_and_b32_e32 v13, s59, v4
	v_mad_u32_u24 v4, v13, 20, v71
	; wave barrier
	ds_read_b32 v85, v4 offset:1040
	v_and_b32_e32 v4, 1, v13
	v_add_co_u32_e32 v14, vcc, -1, v4
	v_addc_co_u32_e64 v16, s[36:37], 0, -1, vcc
	v_cmp_ne_u32_e32 vcc, 0, v4
	v_xor_b32_e32 v4, vcc_hi, v16
	v_and_b32_e32 v16, exec_hi, v4
	v_lshlrev_b32_e32 v4, 30, v13
	v_xor_b32_e32 v14, vcc_lo, v14
	v_cmp_gt_i64_e32 vcc, 0, v[3:4]
	v_not_b32_e32 v4, v4
	v_ashrrev_i32_e32 v4, 31, v4
	v_and_b32_e32 v14, exec_lo, v14
	v_xor_b32_e32 v87, vcc_hi, v4
	v_xor_b32_e32 v4, vcc_lo, v4
	v_and_b32_e32 v14, v14, v4
	v_lshlrev_b32_e32 v4, 29, v13
	v_cmp_gt_i64_e32 vcc, 0, v[3:4]
	v_not_b32_e32 v4, v4
	v_ashrrev_i32_e32 v4, 31, v4
	v_and_b32_e32 v16, v16, v87
	v_xor_b32_e32 v87, vcc_hi, v4
	v_xor_b32_e32 v4, vcc_lo, v4
	v_and_b32_e32 v14, v14, v4
	v_lshlrev_b32_e32 v4, 28, v13
	v_cmp_gt_i64_e32 vcc, 0, v[3:4]
	v_not_b32_e32 v4, v4
	v_ashrrev_i32_e32 v4, 31, v4
	v_and_b32_e32 v16, v16, v87
	;; [unrolled: 8-line block ×5, first 2 shown]
	v_xor_b32_e32 v87, vcc_hi, v4
	v_xor_b32_e32 v4, vcc_lo, v4
	v_and_b32_e32 v16, v16, v87
	v_and_b32_e32 v87, v14, v4
	v_lshlrev_b32_e32 v4, 24, v13
	v_cmp_gt_i64_e32 vcc, 0, v[3:4]
	v_not_b32_e32 v4, v4
	v_ashrrev_i32_e32 v4, 31, v4
	v_mul_u32_u24_e32 v15, 20, v13
	v_xor_b32_e32 v13, vcc_hi, v4
	v_xor_b32_e32 v4, vcc_lo, v4
	v_and_b32_e32 v14, v16, v13
	v_and_b32_e32 v13, v87, v4
	v_mbcnt_lo_u32_b32 v4, v13, 0
	v_mbcnt_hi_u32_b32 v4, v14, v4
	v_cmp_ne_u64_e32 vcc, 0, v[13:14]
	v_cmp_eq_u32_e64 s[36:37], 0, v4
	s_and_b64 s[38:39], vcc, s[36:37]
	v_add_u32_e32 v87, v71, v15
	; wave barrier
	s_and_saveexec_b64 s[36:37], s[38:39]
	s_cbranch_execz .LBB117_378
; %bb.377:                              ;   in Loop: Header=BB117_358 Depth=2
	v_bcnt_u32_b32 v13, v13, 0
	v_bcnt_u32_b32 v13, v14, v13
	s_waitcnt lgkmcnt(0)
	v_add_u32_e32 v13, v85, v13
	ds_write_b32 v87, v13 offset:1040
.LBB117_378:                            ;   in Loop: Header=BB117_358 Depth=2
	s_or_b64 exec, exec, s[36:37]
	; wave barrier
	s_waitcnt lgkmcnt(0)
	s_barrier
	ds_read2_b32 v[15:16], v53 offset1:1
	ds_read2_b32 v[13:14], v54 offset1:1
	ds_read_b32 v88, v50 offset:1056
	s_waitcnt lgkmcnt(1)
	v_add3_u32 v89, v16, v15, v13
	s_waitcnt lgkmcnt(0)
	v_add3_u32 v88, v89, v14, v88
	s_nop 1
	v_mov_b32_dpp v89, v88 row_shr:1 row_mask:0xf bank_mask:0xf
	v_cndmask_b32_e64 v89, v89, 0, s[16:17]
	v_add_u32_e32 v88, v89, v88
	s_nop 1
	v_mov_b32_dpp v89, v88 row_shr:2 row_mask:0xf bank_mask:0xf
	v_cndmask_b32_e64 v89, 0, v89, s[18:19]
	v_add_u32_e32 v88, v88, v89
	;; [unrolled: 4-line block ×4, first 2 shown]
	s_nop 1
	v_mov_b32_dpp v89, v88 row_bcast:15 row_mask:0xf bank_mask:0xf
	v_cndmask_b32_e64 v89, v89, 0, s[24:25]
	v_add_u32_e32 v88, v88, v89
	s_nop 1
	v_mov_b32_dpp v89, v88 row_bcast:31 row_mask:0xf bank_mask:0xf
	v_cndmask_b32_e64 v89, 0, v89, s[26:27]
	v_add_u32_e32 v88, v88, v89
	s_and_saveexec_b64 s[36:37], s[6:7]
; %bb.379:                              ;   in Loop: Header=BB117_358 Depth=2
	ds_write_b32 v26, v88 offset:1024
; %bb.380:                              ;   in Loop: Header=BB117_358 Depth=2
	s_or_b64 exec, exec, s[36:37]
	s_waitcnt lgkmcnt(0)
	s_barrier
	s_and_saveexec_b64 s[36:37], s[8:9]
	s_cbranch_execz .LBB117_382
; %bb.381:                              ;   in Loop: Header=BB117_358 Depth=2
	v_add_u32_e32 v89, v50, v28
	ds_read_b32 v90, v89 offset:1024
	s_waitcnt lgkmcnt(0)
	s_nop 0
	v_mov_b32_dpp v91, v90 row_shr:1 row_mask:0xf bank_mask:0xf
	v_cndmask_b32_e64 v91, v91, 0, s[30:31]
	v_add_u32_e32 v90, v91, v90
	s_nop 1
	v_mov_b32_dpp v91, v90 row_shr:2 row_mask:0xf bank_mask:0xf
	v_cndmask_b32_e64 v91, 0, v91, s[34:35]
	v_add_u32_e32 v90, v90, v91
	ds_write_b32 v89, v90 offset:1024
.LBB117_382:                            ;   in Loop: Header=BB117_358 Depth=2
	s_or_b64 exec, exec, s[36:37]
	v_mov_b32_e32 v89, 0
	s_waitcnt lgkmcnt(0)
	s_barrier
	s_and_saveexec_b64 s[36:37], s[10:11]
; %bb.383:                              ;   in Loop: Header=BB117_358 Depth=2
	ds_read_b32 v89, v26 offset:1020
; %bb.384:                              ;   in Loop: Header=BB117_358 Depth=2
	s_or_b64 exec, exec, s[36:37]
	s_waitcnt lgkmcnt(0)
	v_add_u32_e32 v88, v89, v88
	ds_bpermute_b32 v88, v64, v88
	s_waitcnt lgkmcnt(0)
	v_cndmask_b32_e64 v88, v88, v89, s[28:29]
	v_cndmask_b32_e64 v88, v88, 0, s[12:13]
	v_add_u32_e32 v15, v88, v15
	v_add_u32_e32 v16, v15, v16
	;; [unrolled: 1-line block ×4, first 2 shown]
	ds_write2_b32 v53, v88, v15 offset1:1
	ds_write2_b32 v54, v16, v13 offset1:1
	ds_write_b32 v50, v14 offset:1056
	s_waitcnt lgkmcnt(0)
	s_barrier
	ds_read_b32 v13, v78 offset:1040
	ds_read_b32 v14, v82 offset:1040
	;; [unrolled: 1-line block ×5, first 2 shown]
	v_mov_b32_e32 v78, 0x400
	s_and_saveexec_b64 s[36:37], s[14:15]
; %bb.385:                              ;   in Loop: Header=BB117_358 Depth=2
	ds_read_b32 v78, v50 offset:1060
; %bb.386:                              ;   in Loop: Header=BB117_358 Depth=2
	s_or_b64 exec, exec, s[36:37]
	s_waitcnt lgkmcnt(0)
	s_barrier
	s_and_saveexec_b64 s[36:37], s[4:5]
	s_cbranch_execz .LBB117_388
; %bb.387:                              ;   in Loop: Header=BB117_358 Depth=2
	ds_read_b32 v86, v18
	s_waitcnt lgkmcnt(0)
	v_sub_u32_e32 v15, v86, v15
	ds_write_b32 v18, v15
.LBB117_388:                            ;   in Loop: Header=BB117_358 Depth=2
	s_or_b64 exec, exec, s[36:37]
	v_add_u32_e32 v15, v13, v75
	v_add3_u32 v14, v79, v77, v14
	v_add3_u32 v13, v83, v81, v16
	;; [unrolled: 1-line block ×3, first 2 shown]
	v_cmp_lt_u32_e64 s[40:41], v0, v74
	ds_write_b8 v15, v17 offset:1024
	ds_write_b8 v14, v76 offset:1024
	;; [unrolled: 1-line block ×4, first 2 shown]
	s_waitcnt lgkmcnt(0)
	s_barrier
	s_and_saveexec_b64 s[36:37], s[40:41]
	s_cbranch_execnz .LBB117_409
; %bb.389:                              ;   in Loop: Header=BB117_358 Depth=2
	s_or_b64 exec, exec, s[36:37]
	v_cmp_lt_u32_e64 s[38:39], v19, v74
	s_and_saveexec_b64 s[36:37], s[38:39]
	s_cbranch_execnz .LBB117_410
.LBB117_390:                            ;   in Loop: Header=BB117_358 Depth=2
	s_or_b64 exec, exec, s[36:37]
	v_cmp_lt_u32_e64 s[36:37], v20, v74
	s_and_saveexec_b64 s[42:43], s[36:37]
	s_cbranch_execnz .LBB117_411
.LBB117_391:                            ;   in Loop: Header=BB117_358 Depth=2
	s_or_b64 exec, exec, s[42:43]
	v_cmp_lt_u32_e32 vcc, v21, v74
	s_and_saveexec_b64 s[42:43], vcc
	s_cbranch_execz .LBB117_393
.LBB117_392:                            ;   in Loop: Header=BB117_358 Depth=2
	ds_read_u8 v16, v0 offset:1792
	s_waitcnt lgkmcnt(0)
	v_lshrrev_b32_sdwa v17, s73, v16 dst_sel:DWORD dst_unused:UNUSED_PAD src0_sel:DWORD src1_sel:BYTE_0
	v_and_b32_e32 v17, s59, v17
	v_lshlrev_b32_e32 v17, 2, v17
	ds_read_b32 v17, v17
	v_xor_b32_e32 v16, -1, v16
	s_waitcnt lgkmcnt(0)
	v_add_u32_e32 v17, v17, v21
	global_store_byte v17, v16, s[68:69]
.LBB117_393:                            ;   in Loop: Header=BB117_358 Depth=2
	s_or_b64 exec, exec, s[42:43]
	s_lshl_b64 s[42:43], s[46:47], 3
	v_mov_b32_e32 v17, s43
	v_add_co_u32_e64 v16, s[42:43], s42, v65
	v_addc_co_u32_e64 v17, s[42:43], v66, v17, s[42:43]
	v_cmp_lt_u32_e64 s[42:43], v47, v74
	s_and_saveexec_b64 s[56:57], s[42:43]
	s_xor_b64 s[42:43], exec, s[56:57]
	s_cbranch_execnz .LBB117_412
; %bb.394:                              ;   in Loop: Header=BB117_358 Depth=2
	s_or_b64 exec, exec, s[42:43]
	v_cmp_lt_u32_e64 s[42:43], v61, v74
	s_and_saveexec_b64 s[56:57], s[42:43]
	s_cbranch_execnz .LBB117_413
.LBB117_395:                            ;   in Loop: Header=BB117_358 Depth=2
	s_or_b64 exec, exec, s[56:57]
	v_cmp_lt_u32_e64 s[42:43], v62, v74
	s_and_saveexec_b64 s[56:57], s[42:43]
	s_cbranch_execnz .LBB117_414
.LBB117_396:                            ;   in Loop: Header=BB117_358 Depth=2
	s_or_b64 exec, exec, s[56:57]
	v_cmp_lt_u32_e64 s[42:43], v63, v74
	s_and_saveexec_b64 s[56:57], s[42:43]
	s_cbranch_execnz .LBB117_415
.LBB117_397:                            ;   in Loop: Header=BB117_358 Depth=2
	s_or_b64 exec, exec, s[56:57]
	s_and_saveexec_b64 s[42:43], s[40:41]
	s_cbranch_execnz .LBB117_416
.LBB117_398:                            ;   in Loop: Header=BB117_358 Depth=2
	s_or_b64 exec, exec, s[42:43]
	s_and_saveexec_b64 s[42:43], s[38:39]
	s_cbranch_execnz .LBB117_417
.LBB117_399:                            ;   in Loop: Header=BB117_358 Depth=2
	s_or_b64 exec, exec, s[42:43]
	s_and_saveexec_b64 s[42:43], s[36:37]
	s_cbranch_execnz .LBB117_418
.LBB117_400:                            ;   in Loop: Header=BB117_358 Depth=2
	s_or_b64 exec, exec, s[42:43]
	s_and_saveexec_b64 s[42:43], vcc
	s_cbranch_execz .LBB117_402
.LBB117_401:                            ;   in Loop: Header=BB117_358 Depth=2
	ds_read_u8 v16, v0 offset:1792
	s_waitcnt lgkmcnt(0)
	v_lshrrev_b32_e32 v16, s73, v16
	v_and_b32_e32 v69, s59, v16
.LBB117_402:                            ;   in Loop: Header=BB117_358 Depth=2
	s_or_b64 exec, exec, s[42:43]
	v_mad_u64_u32 v[15:16], s[42:43], v15, 7, v[15:16]
	s_waitcnt vmcnt(0)
	v_mad_u64_u32 v[74:75], s[42:43], v4, 7, v[4:5]
	v_mad_u64_u32 v[16:17], s[42:43], v14, 7, v[14:15]
	;; [unrolled: 1-line block ×3, first 2 shown]
	v_add_u32_e32 v4, v0, v51
	s_barrier
	ds_write_b64 v15, v[11:12] offset:1024
	ds_write_b64 v16, v[9:10] offset:1024
	;; [unrolled: 1-line block ×4, first 2 shown]
	s_waitcnt lgkmcnt(0)
	s_barrier
	s_and_saveexec_b64 s[42:43], s[40:41]
	s_cbranch_execnz .LBB117_419
; %bb.403:                              ;   in Loop: Header=BB117_358 Depth=2
	s_or_b64 exec, exec, s[42:43]
	s_and_saveexec_b64 s[40:41], s[38:39]
	s_cbranch_execnz .LBB117_420
.LBB117_404:                            ;   in Loop: Header=BB117_358 Depth=2
	s_or_b64 exec, exec, s[40:41]
	s_and_saveexec_b64 s[38:39], s[36:37]
	s_cbranch_execnz .LBB117_421
.LBB117_405:                            ;   in Loop: Header=BB117_358 Depth=2
	s_or_b64 exec, exec, s[38:39]
	s_and_saveexec_b64 s[36:37], vcc
	s_cbranch_execz .LBB117_407
.LBB117_406:                            ;   in Loop: Header=BB117_358 Depth=2
	v_lshlrev_b32_e32 v13, 2, v69
	ds_read_b32 v15, v13
	ds_read_b64 v[13:14], v4 offset:7168
	v_mov_b32_e32 v16, v3
	v_mov_b32_e32 v4, s55
	s_waitcnt lgkmcnt(1)
	v_add_u32_e32 v15, v15, v21
	v_lshlrev_b64 v[15:16], 3, v[15:16]
	v_add_co_u32_e32 v15, vcc, s54, v15
	v_addc_co_u32_e32 v16, vcc, v4, v16, vcc
	s_waitcnt lgkmcnt(0)
	global_store_dwordx2 v[15:16], v[13:14], off
.LBB117_407:                            ;   in Loop: Header=BB117_358 Depth=2
	s_or_b64 exec, exec, s[36:37]
	s_waitcnt vmcnt(0)
	s_barrier
	s_and_saveexec_b64 s[36:37], s[4:5]
	s_cbranch_execz .LBB117_357
; %bb.408:                              ;   in Loop: Header=BB117_358 Depth=2
	ds_read_b32 v4, v18
	s_waitcnt lgkmcnt(0)
	v_add_u32_e32 v4, v4, v78
	ds_write_b32 v18, v4
	s_branch .LBB117_357
.LBB117_409:                            ;   in Loop: Header=BB117_358 Depth=2
	ds_read_u8 v16, v0 offset:1024
	s_waitcnt lgkmcnt(0)
	v_lshrrev_b32_sdwa v17, s73, v16 dst_sel:DWORD dst_unused:UNUSED_PAD src0_sel:DWORD src1_sel:BYTE_0
	v_and_b32_e32 v17, s59, v17
	v_lshlrev_b32_e32 v17, 2, v17
	ds_read_b32 v17, v17
	v_xor_b32_e32 v16, -1, v16
	s_waitcnt lgkmcnt(0)
	v_add_u32_e32 v17, v17, v0
	global_store_byte v17, v16, s[68:69]
	s_or_b64 exec, exec, s[36:37]
	v_cmp_lt_u32_e64 s[38:39], v19, v74
	s_and_saveexec_b64 s[36:37], s[38:39]
	s_cbranch_execz .LBB117_390
.LBB117_410:                            ;   in Loop: Header=BB117_358 Depth=2
	ds_read_u8 v16, v0 offset:1280
	s_waitcnt lgkmcnt(0)
	v_lshrrev_b32_sdwa v17, s73, v16 dst_sel:DWORD dst_unused:UNUSED_PAD src0_sel:DWORD src1_sel:BYTE_0
	v_and_b32_e32 v17, s59, v17
	v_lshlrev_b32_e32 v17, 2, v17
	ds_read_b32 v17, v17
	v_xor_b32_e32 v16, -1, v16
	s_waitcnt lgkmcnt(0)
	v_add_u32_e32 v17, v17, v19
	global_store_byte v17, v16, s[68:69]
	s_or_b64 exec, exec, s[36:37]
	v_cmp_lt_u32_e64 s[36:37], v20, v74
	s_and_saveexec_b64 s[42:43], s[36:37]
	s_cbranch_execz .LBB117_391
.LBB117_411:                            ;   in Loop: Header=BB117_358 Depth=2
	ds_read_u8 v16, v0 offset:1536
	s_waitcnt lgkmcnt(0)
	v_lshrrev_b32_sdwa v17, s73, v16 dst_sel:DWORD dst_unused:UNUSED_PAD src0_sel:DWORD src1_sel:BYTE_0
	v_and_b32_e32 v17, s59, v17
	v_lshlrev_b32_e32 v17, 2, v17
	ds_read_b32 v17, v17
	v_xor_b32_e32 v16, -1, v16
	s_waitcnt lgkmcnt(0)
	v_add_u32_e32 v17, v17, v20
	global_store_byte v17, v16, s[68:69]
	s_or_b64 exec, exec, s[42:43]
	v_cmp_lt_u32_e32 vcc, v21, v74
	s_and_saveexec_b64 s[42:43], vcc
	s_cbranch_execnz .LBB117_392
	s_branch .LBB117_393
.LBB117_412:                            ;   in Loop: Header=BB117_358 Depth=2
	global_load_dwordx2 v[11:12], v[16:17], off
	s_or_b64 exec, exec, s[42:43]
	v_cmp_lt_u32_e64 s[42:43], v61, v74
	s_and_saveexec_b64 s[56:57], s[42:43]
	s_cbranch_execz .LBB117_395
.LBB117_413:                            ;   in Loop: Header=BB117_358 Depth=2
	global_load_dwordx2 v[9:10], v[16:17], off offset:512
	s_or_b64 exec, exec, s[56:57]
	v_cmp_lt_u32_e64 s[42:43], v62, v74
	s_and_saveexec_b64 s[56:57], s[42:43]
	s_cbranch_execz .LBB117_396
.LBB117_414:                            ;   in Loop: Header=BB117_358 Depth=2
	global_load_dwordx2 v[7:8], v[16:17], off offset:1024
	s_or_b64 exec, exec, s[56:57]
	v_cmp_lt_u32_e64 s[42:43], v63, v74
	s_and_saveexec_b64 s[56:57], s[42:43]
	s_cbranch_execz .LBB117_397
.LBB117_415:                            ;   in Loop: Header=BB117_358 Depth=2
	global_load_dwordx2 v[5:6], v[16:17], off offset:1536
	s_or_b64 exec, exec, s[56:57]
	s_and_saveexec_b64 s[42:43], s[40:41]
	s_cbranch_execz .LBB117_398
.LBB117_416:                            ;   in Loop: Header=BB117_358 Depth=2
	ds_read_u8 v16, v0 offset:1024
	s_waitcnt lgkmcnt(0)
	v_lshrrev_b32_e32 v16, s73, v16
	v_and_b32_e32 v73, s59, v16
	s_or_b64 exec, exec, s[42:43]
	s_and_saveexec_b64 s[42:43], s[38:39]
	s_cbranch_execz .LBB117_399
.LBB117_417:                            ;   in Loop: Header=BB117_358 Depth=2
	ds_read_u8 v16, v0 offset:1280
	s_waitcnt lgkmcnt(0)
	v_lshrrev_b32_e32 v16, s73, v16
	v_and_b32_e32 v72, s59, v16
	s_or_b64 exec, exec, s[42:43]
	s_and_saveexec_b64 s[42:43], s[36:37]
	s_cbranch_execz .LBB117_400
.LBB117_418:                            ;   in Loop: Header=BB117_358 Depth=2
	ds_read_u8 v16, v0 offset:1536
	s_waitcnt lgkmcnt(0)
	v_lshrrev_b32_e32 v16, s73, v16
	v_and_b32_e32 v70, s59, v16
	s_or_b64 exec, exec, s[42:43]
	s_and_saveexec_b64 s[42:43], vcc
	s_cbranch_execnz .LBB117_401
	s_branch .LBB117_402
.LBB117_419:                            ;   in Loop: Header=BB117_358 Depth=2
	v_lshlrev_b32_e32 v13, 2, v73
	ds_read_b32 v15, v13
	ds_read_b64 v[13:14], v4 offset:1024
	v_mov_b32_e32 v16, v3
	v_mov_b32_e32 v17, s55
	s_waitcnt lgkmcnt(1)
	v_add_u32_e32 v15, v15, v0
	v_lshlrev_b64 v[15:16], 3, v[15:16]
	v_add_co_u32_e64 v15, s[40:41], s54, v15
	v_addc_co_u32_e64 v16, s[40:41], v17, v16, s[40:41]
	s_waitcnt lgkmcnt(0)
	global_store_dwordx2 v[15:16], v[13:14], off
	s_or_b64 exec, exec, s[42:43]
	s_and_saveexec_b64 s[40:41], s[38:39]
	s_cbranch_execz .LBB117_404
.LBB117_420:                            ;   in Loop: Header=BB117_358 Depth=2
	v_lshlrev_b32_e32 v13, 2, v72
	ds_read_b32 v15, v13
	ds_read_b64 v[13:14], v4 offset:3072
	v_mov_b32_e32 v16, v3
	v_mov_b32_e32 v17, s55
	s_waitcnt lgkmcnt(1)
	v_add_u32_e32 v15, v15, v19
	v_lshlrev_b64 v[15:16], 3, v[15:16]
	v_add_co_u32_e64 v15, s[38:39], s54, v15
	v_addc_co_u32_e64 v16, s[38:39], v17, v16, s[38:39]
	s_waitcnt lgkmcnt(0)
	global_store_dwordx2 v[15:16], v[13:14], off
	s_or_b64 exec, exec, s[40:41]
	s_and_saveexec_b64 s[38:39], s[36:37]
	s_cbranch_execz .LBB117_405
.LBB117_421:                            ;   in Loop: Header=BB117_358 Depth=2
	v_lshlrev_b32_e32 v13, 2, v70
	ds_read_b32 v15, v13
	ds_read_b64 v[13:14], v4 offset:5120
	v_mov_b32_e32 v16, v3
	v_mov_b32_e32 v17, s55
	s_waitcnt lgkmcnt(1)
	v_add_u32_e32 v15, v15, v20
	v_lshlrev_b64 v[15:16], 3, v[15:16]
	v_add_co_u32_e64 v15, s[36:37], s54, v15
	v_addc_co_u32_e64 v16, s[36:37], v17, v16, s[36:37]
	s_waitcnt lgkmcnt(0)
	global_store_dwordx2 v[15:16], v[13:14], off
	s_or_b64 exec, exec, s[38:39]
	s_and_saveexec_b64 s[36:37], vcc
	s_cbranch_execnz .LBB117_406
	s_branch .LBB117_407
.LBB117_422:
	s_endpgm
	.section	.rodata,"a",@progbits
	.p2align	6, 0x0
	.amdhsa_kernel _ZN7rocprim17ROCPRIM_400000_NS6detail17trampoline_kernelINS0_14default_configENS1_36segmented_radix_sort_config_selectorIhlEEZNS1_25segmented_radix_sort_implIS3_Lb1EPKhPhPKlPlN2at6native12_GLOBAL__N_18offset_tEEE10hipError_tPvRmT1_PNSt15iterator_traitsISK_E10value_typeET2_T3_PNSL_ISQ_E10value_typeET4_jRbjT5_SW_jjP12ihipStream_tbEUlT_E2_NS1_11comp_targetILNS1_3genE2ELNS1_11target_archE906ELNS1_3gpuE6ELNS1_3repE0EEENS1_30default_config_static_selectorELNS0_4arch9wavefront6targetE1EEEvSK_
		.amdhsa_group_segment_fixed_size 9232
		.amdhsa_private_segment_fixed_size 0
		.amdhsa_kernarg_size 336
		.amdhsa_user_sgpr_count 6
		.amdhsa_user_sgpr_private_segment_buffer 1
		.amdhsa_user_sgpr_dispatch_ptr 0
		.amdhsa_user_sgpr_queue_ptr 0
		.amdhsa_user_sgpr_kernarg_segment_ptr 1
		.amdhsa_user_sgpr_dispatch_id 0
		.amdhsa_user_sgpr_flat_scratch_init 0
		.amdhsa_user_sgpr_private_segment_size 0
		.amdhsa_uses_dynamic_stack 0
		.amdhsa_system_sgpr_private_segment_wavefront_offset 0
		.amdhsa_system_sgpr_workgroup_id_x 1
		.amdhsa_system_sgpr_workgroup_id_y 1
		.amdhsa_system_sgpr_workgroup_id_z 0
		.amdhsa_system_sgpr_workgroup_info 0
		.amdhsa_system_vgpr_workitem_id 2
		.amdhsa_next_free_vgpr 97
		.amdhsa_next_free_sgpr 77
		.amdhsa_reserve_vcc 1
		.amdhsa_reserve_flat_scratch 0
		.amdhsa_float_round_mode_32 0
		.amdhsa_float_round_mode_16_64 0
		.amdhsa_float_denorm_mode_32 3
		.amdhsa_float_denorm_mode_16_64 3
		.amdhsa_dx10_clamp 1
		.amdhsa_ieee_mode 1
		.amdhsa_fp16_overflow 0
		.amdhsa_exception_fp_ieee_invalid_op 0
		.amdhsa_exception_fp_denorm_src 0
		.amdhsa_exception_fp_ieee_div_zero 0
		.amdhsa_exception_fp_ieee_overflow 0
		.amdhsa_exception_fp_ieee_underflow 0
		.amdhsa_exception_fp_ieee_inexact 0
		.amdhsa_exception_int_div_zero 0
	.end_amdhsa_kernel
	.section	.text._ZN7rocprim17ROCPRIM_400000_NS6detail17trampoline_kernelINS0_14default_configENS1_36segmented_radix_sort_config_selectorIhlEEZNS1_25segmented_radix_sort_implIS3_Lb1EPKhPhPKlPlN2at6native12_GLOBAL__N_18offset_tEEE10hipError_tPvRmT1_PNSt15iterator_traitsISK_E10value_typeET2_T3_PNSL_ISQ_E10value_typeET4_jRbjT5_SW_jjP12ihipStream_tbEUlT_E2_NS1_11comp_targetILNS1_3genE2ELNS1_11target_archE906ELNS1_3gpuE6ELNS1_3repE0EEENS1_30default_config_static_selectorELNS0_4arch9wavefront6targetE1EEEvSK_,"axG",@progbits,_ZN7rocprim17ROCPRIM_400000_NS6detail17trampoline_kernelINS0_14default_configENS1_36segmented_radix_sort_config_selectorIhlEEZNS1_25segmented_radix_sort_implIS3_Lb1EPKhPhPKlPlN2at6native12_GLOBAL__N_18offset_tEEE10hipError_tPvRmT1_PNSt15iterator_traitsISK_E10value_typeET2_T3_PNSL_ISQ_E10value_typeET4_jRbjT5_SW_jjP12ihipStream_tbEUlT_E2_NS1_11comp_targetILNS1_3genE2ELNS1_11target_archE906ELNS1_3gpuE6ELNS1_3repE0EEENS1_30default_config_static_selectorELNS0_4arch9wavefront6targetE1EEEvSK_,comdat
.Lfunc_end117:
	.size	_ZN7rocprim17ROCPRIM_400000_NS6detail17trampoline_kernelINS0_14default_configENS1_36segmented_radix_sort_config_selectorIhlEEZNS1_25segmented_radix_sort_implIS3_Lb1EPKhPhPKlPlN2at6native12_GLOBAL__N_18offset_tEEE10hipError_tPvRmT1_PNSt15iterator_traitsISK_E10value_typeET2_T3_PNSL_ISQ_E10value_typeET4_jRbjT5_SW_jjP12ihipStream_tbEUlT_E2_NS1_11comp_targetILNS1_3genE2ELNS1_11target_archE906ELNS1_3gpuE6ELNS1_3repE0EEENS1_30default_config_static_selectorELNS0_4arch9wavefront6targetE1EEEvSK_, .Lfunc_end117-_ZN7rocprim17ROCPRIM_400000_NS6detail17trampoline_kernelINS0_14default_configENS1_36segmented_radix_sort_config_selectorIhlEEZNS1_25segmented_radix_sort_implIS3_Lb1EPKhPhPKlPlN2at6native12_GLOBAL__N_18offset_tEEE10hipError_tPvRmT1_PNSt15iterator_traitsISK_E10value_typeET2_T3_PNSL_ISQ_E10value_typeET4_jRbjT5_SW_jjP12ihipStream_tbEUlT_E2_NS1_11comp_targetILNS1_3genE2ELNS1_11target_archE906ELNS1_3gpuE6ELNS1_3repE0EEENS1_30default_config_static_selectorELNS0_4arch9wavefront6targetE1EEEvSK_
                                        ; -- End function
	.set _ZN7rocprim17ROCPRIM_400000_NS6detail17trampoline_kernelINS0_14default_configENS1_36segmented_radix_sort_config_selectorIhlEEZNS1_25segmented_radix_sort_implIS3_Lb1EPKhPhPKlPlN2at6native12_GLOBAL__N_18offset_tEEE10hipError_tPvRmT1_PNSt15iterator_traitsISK_E10value_typeET2_T3_PNSL_ISQ_E10value_typeET4_jRbjT5_SW_jjP12ihipStream_tbEUlT_E2_NS1_11comp_targetILNS1_3genE2ELNS1_11target_archE906ELNS1_3gpuE6ELNS1_3repE0EEENS1_30default_config_static_selectorELNS0_4arch9wavefront6targetE1EEEvSK_.num_vgpr, max(92, .L_ZN7rocprim17ROCPRIM_400000_NS6detail26segmented_warp_sort_helperINS1_20WarpSortHelperConfigILj8ELj4ELj256EEEhlLi256ELb1EvE4sortIPKhPhPKlPlEEvT_T0_T1_T2_jjjjRNS5_12storage_typeE.num_vgpr, .L_ZN7rocprim17ROCPRIM_400000_NS6detail40segmented_radix_sort_single_block_helperIhlLj256ELj4ELb1EE4sortIPKhPhPKlPlEEbT_T0_T1_T2_jjjjRNS3_12storage_typeE.num_vgpr)
	.set _ZN7rocprim17ROCPRIM_400000_NS6detail17trampoline_kernelINS0_14default_configENS1_36segmented_radix_sort_config_selectorIhlEEZNS1_25segmented_radix_sort_implIS3_Lb1EPKhPhPKlPlN2at6native12_GLOBAL__N_18offset_tEEE10hipError_tPvRmT1_PNSt15iterator_traitsISK_E10value_typeET2_T3_PNSL_ISQ_E10value_typeET4_jRbjT5_SW_jjP12ihipStream_tbEUlT_E2_NS1_11comp_targetILNS1_3genE2ELNS1_11target_archE906ELNS1_3gpuE6ELNS1_3repE0EEENS1_30default_config_static_selectorELNS0_4arch9wavefront6targetE1EEEvSK_.num_agpr, max(0, .L_ZN7rocprim17ROCPRIM_400000_NS6detail26segmented_warp_sort_helperINS1_20WarpSortHelperConfigILj8ELj4ELj256EEEhlLi256ELb1EvE4sortIPKhPhPKlPlEEvT_T0_T1_T2_jjjjRNS5_12storage_typeE.num_agpr, .L_ZN7rocprim17ROCPRIM_400000_NS6detail40segmented_radix_sort_single_block_helperIhlLj256ELj4ELb1EE4sortIPKhPhPKlPlEEbT_T0_T1_T2_jjjjRNS3_12storage_typeE.num_agpr)
	.set _ZN7rocprim17ROCPRIM_400000_NS6detail17trampoline_kernelINS0_14default_configENS1_36segmented_radix_sort_config_selectorIhlEEZNS1_25segmented_radix_sort_implIS3_Lb1EPKhPhPKlPlN2at6native12_GLOBAL__N_18offset_tEEE10hipError_tPvRmT1_PNSt15iterator_traitsISK_E10value_typeET2_T3_PNSL_ISQ_E10value_typeET4_jRbjT5_SW_jjP12ihipStream_tbEUlT_E2_NS1_11comp_targetILNS1_3genE2ELNS1_11target_archE906ELNS1_3gpuE6ELNS1_3repE0EEENS1_30default_config_static_selectorELNS0_4arch9wavefront6targetE1EEEvSK_.numbered_sgpr, max(77, .L_ZN7rocprim17ROCPRIM_400000_NS6detail26segmented_warp_sort_helperINS1_20WarpSortHelperConfigILj8ELj4ELj256EEEhlLi256ELb1EvE4sortIPKhPhPKlPlEEvT_T0_T1_T2_jjjjRNS5_12storage_typeE.numbered_sgpr, .L_ZN7rocprim17ROCPRIM_400000_NS6detail40segmented_radix_sort_single_block_helperIhlLj256ELj4ELb1EE4sortIPKhPhPKlPlEEbT_T0_T1_T2_jjjjRNS3_12storage_typeE.numbered_sgpr)
	.set _ZN7rocprim17ROCPRIM_400000_NS6detail17trampoline_kernelINS0_14default_configENS1_36segmented_radix_sort_config_selectorIhlEEZNS1_25segmented_radix_sort_implIS3_Lb1EPKhPhPKlPlN2at6native12_GLOBAL__N_18offset_tEEE10hipError_tPvRmT1_PNSt15iterator_traitsISK_E10value_typeET2_T3_PNSL_ISQ_E10value_typeET4_jRbjT5_SW_jjP12ihipStream_tbEUlT_E2_NS1_11comp_targetILNS1_3genE2ELNS1_11target_archE906ELNS1_3gpuE6ELNS1_3repE0EEENS1_30default_config_static_selectorELNS0_4arch9wavefront6targetE1EEEvSK_.num_named_barrier, max(0, .L_ZN7rocprim17ROCPRIM_400000_NS6detail26segmented_warp_sort_helperINS1_20WarpSortHelperConfigILj8ELj4ELj256EEEhlLi256ELb1EvE4sortIPKhPhPKlPlEEvT_T0_T1_T2_jjjjRNS5_12storage_typeE.num_named_barrier, .L_ZN7rocprim17ROCPRIM_400000_NS6detail40segmented_radix_sort_single_block_helperIhlLj256ELj4ELb1EE4sortIPKhPhPKlPlEEbT_T0_T1_T2_jjjjRNS3_12storage_typeE.num_named_barrier)
	.set _ZN7rocprim17ROCPRIM_400000_NS6detail17trampoline_kernelINS0_14default_configENS1_36segmented_radix_sort_config_selectorIhlEEZNS1_25segmented_radix_sort_implIS3_Lb1EPKhPhPKlPlN2at6native12_GLOBAL__N_18offset_tEEE10hipError_tPvRmT1_PNSt15iterator_traitsISK_E10value_typeET2_T3_PNSL_ISQ_E10value_typeET4_jRbjT5_SW_jjP12ihipStream_tbEUlT_E2_NS1_11comp_targetILNS1_3genE2ELNS1_11target_archE906ELNS1_3gpuE6ELNS1_3repE0EEENS1_30default_config_static_selectorELNS0_4arch9wavefront6targetE1EEEvSK_.private_seg_size, 0+max(.L_ZN7rocprim17ROCPRIM_400000_NS6detail26segmented_warp_sort_helperINS1_20WarpSortHelperConfigILj8ELj4ELj256EEEhlLi256ELb1EvE4sortIPKhPhPKlPlEEvT_T0_T1_T2_jjjjRNS5_12storage_typeE.private_seg_size, .L_ZN7rocprim17ROCPRIM_400000_NS6detail40segmented_radix_sort_single_block_helperIhlLj256ELj4ELb1EE4sortIPKhPhPKlPlEEbT_T0_T1_T2_jjjjRNS3_12storage_typeE.private_seg_size)
	.set _ZN7rocprim17ROCPRIM_400000_NS6detail17trampoline_kernelINS0_14default_configENS1_36segmented_radix_sort_config_selectorIhlEEZNS1_25segmented_radix_sort_implIS3_Lb1EPKhPhPKlPlN2at6native12_GLOBAL__N_18offset_tEEE10hipError_tPvRmT1_PNSt15iterator_traitsISK_E10value_typeET2_T3_PNSL_ISQ_E10value_typeET4_jRbjT5_SW_jjP12ihipStream_tbEUlT_E2_NS1_11comp_targetILNS1_3genE2ELNS1_11target_archE906ELNS1_3gpuE6ELNS1_3repE0EEENS1_30default_config_static_selectorELNS0_4arch9wavefront6targetE1EEEvSK_.uses_vcc, or(1, .L_ZN7rocprim17ROCPRIM_400000_NS6detail26segmented_warp_sort_helperINS1_20WarpSortHelperConfigILj8ELj4ELj256EEEhlLi256ELb1EvE4sortIPKhPhPKlPlEEvT_T0_T1_T2_jjjjRNS5_12storage_typeE.uses_vcc, .L_ZN7rocprim17ROCPRIM_400000_NS6detail40segmented_radix_sort_single_block_helperIhlLj256ELj4ELb1EE4sortIPKhPhPKlPlEEbT_T0_T1_T2_jjjjRNS3_12storage_typeE.uses_vcc)
	.set _ZN7rocprim17ROCPRIM_400000_NS6detail17trampoline_kernelINS0_14default_configENS1_36segmented_radix_sort_config_selectorIhlEEZNS1_25segmented_radix_sort_implIS3_Lb1EPKhPhPKlPlN2at6native12_GLOBAL__N_18offset_tEEE10hipError_tPvRmT1_PNSt15iterator_traitsISK_E10value_typeET2_T3_PNSL_ISQ_E10value_typeET4_jRbjT5_SW_jjP12ihipStream_tbEUlT_E2_NS1_11comp_targetILNS1_3genE2ELNS1_11target_archE906ELNS1_3gpuE6ELNS1_3repE0EEENS1_30default_config_static_selectorELNS0_4arch9wavefront6targetE1EEEvSK_.uses_flat_scratch, or(0, .L_ZN7rocprim17ROCPRIM_400000_NS6detail26segmented_warp_sort_helperINS1_20WarpSortHelperConfigILj8ELj4ELj256EEEhlLi256ELb1EvE4sortIPKhPhPKlPlEEvT_T0_T1_T2_jjjjRNS5_12storage_typeE.uses_flat_scratch, .L_ZN7rocprim17ROCPRIM_400000_NS6detail40segmented_radix_sort_single_block_helperIhlLj256ELj4ELb1EE4sortIPKhPhPKlPlEEbT_T0_T1_T2_jjjjRNS3_12storage_typeE.uses_flat_scratch)
	.set _ZN7rocprim17ROCPRIM_400000_NS6detail17trampoline_kernelINS0_14default_configENS1_36segmented_radix_sort_config_selectorIhlEEZNS1_25segmented_radix_sort_implIS3_Lb1EPKhPhPKlPlN2at6native12_GLOBAL__N_18offset_tEEE10hipError_tPvRmT1_PNSt15iterator_traitsISK_E10value_typeET2_T3_PNSL_ISQ_E10value_typeET4_jRbjT5_SW_jjP12ihipStream_tbEUlT_E2_NS1_11comp_targetILNS1_3genE2ELNS1_11target_archE906ELNS1_3gpuE6ELNS1_3repE0EEENS1_30default_config_static_selectorELNS0_4arch9wavefront6targetE1EEEvSK_.has_dyn_sized_stack, or(0, .L_ZN7rocprim17ROCPRIM_400000_NS6detail26segmented_warp_sort_helperINS1_20WarpSortHelperConfigILj8ELj4ELj256EEEhlLi256ELb1EvE4sortIPKhPhPKlPlEEvT_T0_T1_T2_jjjjRNS5_12storage_typeE.has_dyn_sized_stack, .L_ZN7rocprim17ROCPRIM_400000_NS6detail40segmented_radix_sort_single_block_helperIhlLj256ELj4ELb1EE4sortIPKhPhPKlPlEEbT_T0_T1_T2_jjjjRNS3_12storage_typeE.has_dyn_sized_stack)
	.set _ZN7rocprim17ROCPRIM_400000_NS6detail17trampoline_kernelINS0_14default_configENS1_36segmented_radix_sort_config_selectorIhlEEZNS1_25segmented_radix_sort_implIS3_Lb1EPKhPhPKlPlN2at6native12_GLOBAL__N_18offset_tEEE10hipError_tPvRmT1_PNSt15iterator_traitsISK_E10value_typeET2_T3_PNSL_ISQ_E10value_typeET4_jRbjT5_SW_jjP12ihipStream_tbEUlT_E2_NS1_11comp_targetILNS1_3genE2ELNS1_11target_archE906ELNS1_3gpuE6ELNS1_3repE0EEENS1_30default_config_static_selectorELNS0_4arch9wavefront6targetE1EEEvSK_.has_recursion, or(0, .L_ZN7rocprim17ROCPRIM_400000_NS6detail26segmented_warp_sort_helperINS1_20WarpSortHelperConfigILj8ELj4ELj256EEEhlLi256ELb1EvE4sortIPKhPhPKlPlEEvT_T0_T1_T2_jjjjRNS5_12storage_typeE.has_recursion, .L_ZN7rocprim17ROCPRIM_400000_NS6detail40segmented_radix_sort_single_block_helperIhlLj256ELj4ELb1EE4sortIPKhPhPKlPlEEbT_T0_T1_T2_jjjjRNS3_12storage_typeE.has_recursion)
	.set _ZN7rocprim17ROCPRIM_400000_NS6detail17trampoline_kernelINS0_14default_configENS1_36segmented_radix_sort_config_selectorIhlEEZNS1_25segmented_radix_sort_implIS3_Lb1EPKhPhPKlPlN2at6native12_GLOBAL__N_18offset_tEEE10hipError_tPvRmT1_PNSt15iterator_traitsISK_E10value_typeET2_T3_PNSL_ISQ_E10value_typeET4_jRbjT5_SW_jjP12ihipStream_tbEUlT_E2_NS1_11comp_targetILNS1_3genE2ELNS1_11target_archE906ELNS1_3gpuE6ELNS1_3repE0EEENS1_30default_config_static_selectorELNS0_4arch9wavefront6targetE1EEEvSK_.has_indirect_call, or(0, .L_ZN7rocprim17ROCPRIM_400000_NS6detail26segmented_warp_sort_helperINS1_20WarpSortHelperConfigILj8ELj4ELj256EEEhlLi256ELb1EvE4sortIPKhPhPKlPlEEvT_T0_T1_T2_jjjjRNS5_12storage_typeE.has_indirect_call, .L_ZN7rocprim17ROCPRIM_400000_NS6detail40segmented_radix_sort_single_block_helperIhlLj256ELj4ELb1EE4sortIPKhPhPKlPlEEbT_T0_T1_T2_jjjjRNS3_12storage_typeE.has_indirect_call)
	.section	.AMDGPU.csdata,"",@progbits
; Kernel info:
; codeLenInByte = 20708
; TotalNumSgprs: 81
; NumVgprs: 97
; ScratchSize: 0
; MemoryBound: 0
; FloatMode: 240
; IeeeMode: 1
; LDSByteSize: 9232 bytes/workgroup (compile time only)
; SGPRBlocks: 10
; VGPRBlocks: 24
; NumSGPRsForWavesPerEU: 81
; NumVGPRsForWavesPerEU: 97
; Occupancy: 2
; WaveLimiterHint : 1
; COMPUTE_PGM_RSRC2:SCRATCH_EN: 0
; COMPUTE_PGM_RSRC2:USER_SGPR: 6
; COMPUTE_PGM_RSRC2:TRAP_HANDLER: 0
; COMPUTE_PGM_RSRC2:TGID_X_EN: 1
; COMPUTE_PGM_RSRC2:TGID_Y_EN: 1
; COMPUTE_PGM_RSRC2:TGID_Z_EN: 0
; COMPUTE_PGM_RSRC2:TIDIG_COMP_CNT: 2
	.section	.text._ZN7rocprim17ROCPRIM_400000_NS6detail17trampoline_kernelINS0_14default_configENS1_36segmented_radix_sort_config_selectorIhlEEZNS1_25segmented_radix_sort_implIS3_Lb1EPKhPhPKlPlN2at6native12_GLOBAL__N_18offset_tEEE10hipError_tPvRmT1_PNSt15iterator_traitsISK_E10value_typeET2_T3_PNSL_ISQ_E10value_typeET4_jRbjT5_SW_jjP12ihipStream_tbEUlT_E2_NS1_11comp_targetILNS1_3genE10ELNS1_11target_archE1201ELNS1_3gpuE5ELNS1_3repE0EEENS1_30default_config_static_selectorELNS0_4arch9wavefront6targetE1EEEvSK_,"axG",@progbits,_ZN7rocprim17ROCPRIM_400000_NS6detail17trampoline_kernelINS0_14default_configENS1_36segmented_radix_sort_config_selectorIhlEEZNS1_25segmented_radix_sort_implIS3_Lb1EPKhPhPKlPlN2at6native12_GLOBAL__N_18offset_tEEE10hipError_tPvRmT1_PNSt15iterator_traitsISK_E10value_typeET2_T3_PNSL_ISQ_E10value_typeET4_jRbjT5_SW_jjP12ihipStream_tbEUlT_E2_NS1_11comp_targetILNS1_3genE10ELNS1_11target_archE1201ELNS1_3gpuE5ELNS1_3repE0EEENS1_30default_config_static_selectorELNS0_4arch9wavefront6targetE1EEEvSK_,comdat
	.globl	_ZN7rocprim17ROCPRIM_400000_NS6detail17trampoline_kernelINS0_14default_configENS1_36segmented_radix_sort_config_selectorIhlEEZNS1_25segmented_radix_sort_implIS3_Lb1EPKhPhPKlPlN2at6native12_GLOBAL__N_18offset_tEEE10hipError_tPvRmT1_PNSt15iterator_traitsISK_E10value_typeET2_T3_PNSL_ISQ_E10value_typeET4_jRbjT5_SW_jjP12ihipStream_tbEUlT_E2_NS1_11comp_targetILNS1_3genE10ELNS1_11target_archE1201ELNS1_3gpuE5ELNS1_3repE0EEENS1_30default_config_static_selectorELNS0_4arch9wavefront6targetE1EEEvSK_ ; -- Begin function _ZN7rocprim17ROCPRIM_400000_NS6detail17trampoline_kernelINS0_14default_configENS1_36segmented_radix_sort_config_selectorIhlEEZNS1_25segmented_radix_sort_implIS3_Lb1EPKhPhPKlPlN2at6native12_GLOBAL__N_18offset_tEEE10hipError_tPvRmT1_PNSt15iterator_traitsISK_E10value_typeET2_T3_PNSL_ISQ_E10value_typeET4_jRbjT5_SW_jjP12ihipStream_tbEUlT_E2_NS1_11comp_targetILNS1_3genE10ELNS1_11target_archE1201ELNS1_3gpuE5ELNS1_3repE0EEENS1_30default_config_static_selectorELNS0_4arch9wavefront6targetE1EEEvSK_
	.p2align	8
	.type	_ZN7rocprim17ROCPRIM_400000_NS6detail17trampoline_kernelINS0_14default_configENS1_36segmented_radix_sort_config_selectorIhlEEZNS1_25segmented_radix_sort_implIS3_Lb1EPKhPhPKlPlN2at6native12_GLOBAL__N_18offset_tEEE10hipError_tPvRmT1_PNSt15iterator_traitsISK_E10value_typeET2_T3_PNSL_ISQ_E10value_typeET4_jRbjT5_SW_jjP12ihipStream_tbEUlT_E2_NS1_11comp_targetILNS1_3genE10ELNS1_11target_archE1201ELNS1_3gpuE5ELNS1_3repE0EEENS1_30default_config_static_selectorELNS0_4arch9wavefront6targetE1EEEvSK_,@function
_ZN7rocprim17ROCPRIM_400000_NS6detail17trampoline_kernelINS0_14default_configENS1_36segmented_radix_sort_config_selectorIhlEEZNS1_25segmented_radix_sort_implIS3_Lb1EPKhPhPKlPlN2at6native12_GLOBAL__N_18offset_tEEE10hipError_tPvRmT1_PNSt15iterator_traitsISK_E10value_typeET2_T3_PNSL_ISQ_E10value_typeET4_jRbjT5_SW_jjP12ihipStream_tbEUlT_E2_NS1_11comp_targetILNS1_3genE10ELNS1_11target_archE1201ELNS1_3gpuE5ELNS1_3repE0EEENS1_30default_config_static_selectorELNS0_4arch9wavefront6targetE1EEEvSK_: ; @_ZN7rocprim17ROCPRIM_400000_NS6detail17trampoline_kernelINS0_14default_configENS1_36segmented_radix_sort_config_selectorIhlEEZNS1_25segmented_radix_sort_implIS3_Lb1EPKhPhPKlPlN2at6native12_GLOBAL__N_18offset_tEEE10hipError_tPvRmT1_PNSt15iterator_traitsISK_E10value_typeET2_T3_PNSL_ISQ_E10value_typeET4_jRbjT5_SW_jjP12ihipStream_tbEUlT_E2_NS1_11comp_targetILNS1_3genE10ELNS1_11target_archE1201ELNS1_3gpuE5ELNS1_3repE0EEENS1_30default_config_static_selectorELNS0_4arch9wavefront6targetE1EEEvSK_
; %bb.0:
	.section	.rodata,"a",@progbits
	.p2align	6, 0x0
	.amdhsa_kernel _ZN7rocprim17ROCPRIM_400000_NS6detail17trampoline_kernelINS0_14default_configENS1_36segmented_radix_sort_config_selectorIhlEEZNS1_25segmented_radix_sort_implIS3_Lb1EPKhPhPKlPlN2at6native12_GLOBAL__N_18offset_tEEE10hipError_tPvRmT1_PNSt15iterator_traitsISK_E10value_typeET2_T3_PNSL_ISQ_E10value_typeET4_jRbjT5_SW_jjP12ihipStream_tbEUlT_E2_NS1_11comp_targetILNS1_3genE10ELNS1_11target_archE1201ELNS1_3gpuE5ELNS1_3repE0EEENS1_30default_config_static_selectorELNS0_4arch9wavefront6targetE1EEEvSK_
		.amdhsa_group_segment_fixed_size 0
		.amdhsa_private_segment_fixed_size 0
		.amdhsa_kernarg_size 80
		.amdhsa_user_sgpr_count 6
		.amdhsa_user_sgpr_private_segment_buffer 1
		.amdhsa_user_sgpr_dispatch_ptr 0
		.amdhsa_user_sgpr_queue_ptr 0
		.amdhsa_user_sgpr_kernarg_segment_ptr 1
		.amdhsa_user_sgpr_dispatch_id 0
		.amdhsa_user_sgpr_flat_scratch_init 0
		.amdhsa_user_sgpr_private_segment_size 0
		.amdhsa_uses_dynamic_stack 0
		.amdhsa_system_sgpr_private_segment_wavefront_offset 0
		.amdhsa_system_sgpr_workgroup_id_x 1
		.amdhsa_system_sgpr_workgroup_id_y 0
		.amdhsa_system_sgpr_workgroup_id_z 0
		.amdhsa_system_sgpr_workgroup_info 0
		.amdhsa_system_vgpr_workitem_id 0
		.amdhsa_next_free_vgpr 1
		.amdhsa_next_free_sgpr 0
		.amdhsa_reserve_vcc 0
		.amdhsa_reserve_flat_scratch 0
		.amdhsa_float_round_mode_32 0
		.amdhsa_float_round_mode_16_64 0
		.amdhsa_float_denorm_mode_32 3
		.amdhsa_float_denorm_mode_16_64 3
		.amdhsa_dx10_clamp 1
		.amdhsa_ieee_mode 1
		.amdhsa_fp16_overflow 0
		.amdhsa_exception_fp_ieee_invalid_op 0
		.amdhsa_exception_fp_denorm_src 0
		.amdhsa_exception_fp_ieee_div_zero 0
		.amdhsa_exception_fp_ieee_overflow 0
		.amdhsa_exception_fp_ieee_underflow 0
		.amdhsa_exception_fp_ieee_inexact 0
		.amdhsa_exception_int_div_zero 0
	.end_amdhsa_kernel
	.section	.text._ZN7rocprim17ROCPRIM_400000_NS6detail17trampoline_kernelINS0_14default_configENS1_36segmented_radix_sort_config_selectorIhlEEZNS1_25segmented_radix_sort_implIS3_Lb1EPKhPhPKlPlN2at6native12_GLOBAL__N_18offset_tEEE10hipError_tPvRmT1_PNSt15iterator_traitsISK_E10value_typeET2_T3_PNSL_ISQ_E10value_typeET4_jRbjT5_SW_jjP12ihipStream_tbEUlT_E2_NS1_11comp_targetILNS1_3genE10ELNS1_11target_archE1201ELNS1_3gpuE5ELNS1_3repE0EEENS1_30default_config_static_selectorELNS0_4arch9wavefront6targetE1EEEvSK_,"axG",@progbits,_ZN7rocprim17ROCPRIM_400000_NS6detail17trampoline_kernelINS0_14default_configENS1_36segmented_radix_sort_config_selectorIhlEEZNS1_25segmented_radix_sort_implIS3_Lb1EPKhPhPKlPlN2at6native12_GLOBAL__N_18offset_tEEE10hipError_tPvRmT1_PNSt15iterator_traitsISK_E10value_typeET2_T3_PNSL_ISQ_E10value_typeET4_jRbjT5_SW_jjP12ihipStream_tbEUlT_E2_NS1_11comp_targetILNS1_3genE10ELNS1_11target_archE1201ELNS1_3gpuE5ELNS1_3repE0EEENS1_30default_config_static_selectorELNS0_4arch9wavefront6targetE1EEEvSK_,comdat
.Lfunc_end118:
	.size	_ZN7rocprim17ROCPRIM_400000_NS6detail17trampoline_kernelINS0_14default_configENS1_36segmented_radix_sort_config_selectorIhlEEZNS1_25segmented_radix_sort_implIS3_Lb1EPKhPhPKlPlN2at6native12_GLOBAL__N_18offset_tEEE10hipError_tPvRmT1_PNSt15iterator_traitsISK_E10value_typeET2_T3_PNSL_ISQ_E10value_typeET4_jRbjT5_SW_jjP12ihipStream_tbEUlT_E2_NS1_11comp_targetILNS1_3genE10ELNS1_11target_archE1201ELNS1_3gpuE5ELNS1_3repE0EEENS1_30default_config_static_selectorELNS0_4arch9wavefront6targetE1EEEvSK_, .Lfunc_end118-_ZN7rocprim17ROCPRIM_400000_NS6detail17trampoline_kernelINS0_14default_configENS1_36segmented_radix_sort_config_selectorIhlEEZNS1_25segmented_radix_sort_implIS3_Lb1EPKhPhPKlPlN2at6native12_GLOBAL__N_18offset_tEEE10hipError_tPvRmT1_PNSt15iterator_traitsISK_E10value_typeET2_T3_PNSL_ISQ_E10value_typeET4_jRbjT5_SW_jjP12ihipStream_tbEUlT_E2_NS1_11comp_targetILNS1_3genE10ELNS1_11target_archE1201ELNS1_3gpuE5ELNS1_3repE0EEENS1_30default_config_static_selectorELNS0_4arch9wavefront6targetE1EEEvSK_
                                        ; -- End function
	.set _ZN7rocprim17ROCPRIM_400000_NS6detail17trampoline_kernelINS0_14default_configENS1_36segmented_radix_sort_config_selectorIhlEEZNS1_25segmented_radix_sort_implIS3_Lb1EPKhPhPKlPlN2at6native12_GLOBAL__N_18offset_tEEE10hipError_tPvRmT1_PNSt15iterator_traitsISK_E10value_typeET2_T3_PNSL_ISQ_E10value_typeET4_jRbjT5_SW_jjP12ihipStream_tbEUlT_E2_NS1_11comp_targetILNS1_3genE10ELNS1_11target_archE1201ELNS1_3gpuE5ELNS1_3repE0EEENS1_30default_config_static_selectorELNS0_4arch9wavefront6targetE1EEEvSK_.num_vgpr, 0
	.set _ZN7rocprim17ROCPRIM_400000_NS6detail17trampoline_kernelINS0_14default_configENS1_36segmented_radix_sort_config_selectorIhlEEZNS1_25segmented_radix_sort_implIS3_Lb1EPKhPhPKlPlN2at6native12_GLOBAL__N_18offset_tEEE10hipError_tPvRmT1_PNSt15iterator_traitsISK_E10value_typeET2_T3_PNSL_ISQ_E10value_typeET4_jRbjT5_SW_jjP12ihipStream_tbEUlT_E2_NS1_11comp_targetILNS1_3genE10ELNS1_11target_archE1201ELNS1_3gpuE5ELNS1_3repE0EEENS1_30default_config_static_selectorELNS0_4arch9wavefront6targetE1EEEvSK_.num_agpr, 0
	.set _ZN7rocprim17ROCPRIM_400000_NS6detail17trampoline_kernelINS0_14default_configENS1_36segmented_radix_sort_config_selectorIhlEEZNS1_25segmented_radix_sort_implIS3_Lb1EPKhPhPKlPlN2at6native12_GLOBAL__N_18offset_tEEE10hipError_tPvRmT1_PNSt15iterator_traitsISK_E10value_typeET2_T3_PNSL_ISQ_E10value_typeET4_jRbjT5_SW_jjP12ihipStream_tbEUlT_E2_NS1_11comp_targetILNS1_3genE10ELNS1_11target_archE1201ELNS1_3gpuE5ELNS1_3repE0EEENS1_30default_config_static_selectorELNS0_4arch9wavefront6targetE1EEEvSK_.numbered_sgpr, 0
	.set _ZN7rocprim17ROCPRIM_400000_NS6detail17trampoline_kernelINS0_14default_configENS1_36segmented_radix_sort_config_selectorIhlEEZNS1_25segmented_radix_sort_implIS3_Lb1EPKhPhPKlPlN2at6native12_GLOBAL__N_18offset_tEEE10hipError_tPvRmT1_PNSt15iterator_traitsISK_E10value_typeET2_T3_PNSL_ISQ_E10value_typeET4_jRbjT5_SW_jjP12ihipStream_tbEUlT_E2_NS1_11comp_targetILNS1_3genE10ELNS1_11target_archE1201ELNS1_3gpuE5ELNS1_3repE0EEENS1_30default_config_static_selectorELNS0_4arch9wavefront6targetE1EEEvSK_.num_named_barrier, 0
	.set _ZN7rocprim17ROCPRIM_400000_NS6detail17trampoline_kernelINS0_14default_configENS1_36segmented_radix_sort_config_selectorIhlEEZNS1_25segmented_radix_sort_implIS3_Lb1EPKhPhPKlPlN2at6native12_GLOBAL__N_18offset_tEEE10hipError_tPvRmT1_PNSt15iterator_traitsISK_E10value_typeET2_T3_PNSL_ISQ_E10value_typeET4_jRbjT5_SW_jjP12ihipStream_tbEUlT_E2_NS1_11comp_targetILNS1_3genE10ELNS1_11target_archE1201ELNS1_3gpuE5ELNS1_3repE0EEENS1_30default_config_static_selectorELNS0_4arch9wavefront6targetE1EEEvSK_.private_seg_size, 0
	.set _ZN7rocprim17ROCPRIM_400000_NS6detail17trampoline_kernelINS0_14default_configENS1_36segmented_radix_sort_config_selectorIhlEEZNS1_25segmented_radix_sort_implIS3_Lb1EPKhPhPKlPlN2at6native12_GLOBAL__N_18offset_tEEE10hipError_tPvRmT1_PNSt15iterator_traitsISK_E10value_typeET2_T3_PNSL_ISQ_E10value_typeET4_jRbjT5_SW_jjP12ihipStream_tbEUlT_E2_NS1_11comp_targetILNS1_3genE10ELNS1_11target_archE1201ELNS1_3gpuE5ELNS1_3repE0EEENS1_30default_config_static_selectorELNS0_4arch9wavefront6targetE1EEEvSK_.uses_vcc, 0
	.set _ZN7rocprim17ROCPRIM_400000_NS6detail17trampoline_kernelINS0_14default_configENS1_36segmented_radix_sort_config_selectorIhlEEZNS1_25segmented_radix_sort_implIS3_Lb1EPKhPhPKlPlN2at6native12_GLOBAL__N_18offset_tEEE10hipError_tPvRmT1_PNSt15iterator_traitsISK_E10value_typeET2_T3_PNSL_ISQ_E10value_typeET4_jRbjT5_SW_jjP12ihipStream_tbEUlT_E2_NS1_11comp_targetILNS1_3genE10ELNS1_11target_archE1201ELNS1_3gpuE5ELNS1_3repE0EEENS1_30default_config_static_selectorELNS0_4arch9wavefront6targetE1EEEvSK_.uses_flat_scratch, 0
	.set _ZN7rocprim17ROCPRIM_400000_NS6detail17trampoline_kernelINS0_14default_configENS1_36segmented_radix_sort_config_selectorIhlEEZNS1_25segmented_radix_sort_implIS3_Lb1EPKhPhPKlPlN2at6native12_GLOBAL__N_18offset_tEEE10hipError_tPvRmT1_PNSt15iterator_traitsISK_E10value_typeET2_T3_PNSL_ISQ_E10value_typeET4_jRbjT5_SW_jjP12ihipStream_tbEUlT_E2_NS1_11comp_targetILNS1_3genE10ELNS1_11target_archE1201ELNS1_3gpuE5ELNS1_3repE0EEENS1_30default_config_static_selectorELNS0_4arch9wavefront6targetE1EEEvSK_.has_dyn_sized_stack, 0
	.set _ZN7rocprim17ROCPRIM_400000_NS6detail17trampoline_kernelINS0_14default_configENS1_36segmented_radix_sort_config_selectorIhlEEZNS1_25segmented_radix_sort_implIS3_Lb1EPKhPhPKlPlN2at6native12_GLOBAL__N_18offset_tEEE10hipError_tPvRmT1_PNSt15iterator_traitsISK_E10value_typeET2_T3_PNSL_ISQ_E10value_typeET4_jRbjT5_SW_jjP12ihipStream_tbEUlT_E2_NS1_11comp_targetILNS1_3genE10ELNS1_11target_archE1201ELNS1_3gpuE5ELNS1_3repE0EEENS1_30default_config_static_selectorELNS0_4arch9wavefront6targetE1EEEvSK_.has_recursion, 0
	.set _ZN7rocprim17ROCPRIM_400000_NS6detail17trampoline_kernelINS0_14default_configENS1_36segmented_radix_sort_config_selectorIhlEEZNS1_25segmented_radix_sort_implIS3_Lb1EPKhPhPKlPlN2at6native12_GLOBAL__N_18offset_tEEE10hipError_tPvRmT1_PNSt15iterator_traitsISK_E10value_typeET2_T3_PNSL_ISQ_E10value_typeET4_jRbjT5_SW_jjP12ihipStream_tbEUlT_E2_NS1_11comp_targetILNS1_3genE10ELNS1_11target_archE1201ELNS1_3gpuE5ELNS1_3repE0EEENS1_30default_config_static_selectorELNS0_4arch9wavefront6targetE1EEEvSK_.has_indirect_call, 0
	.section	.AMDGPU.csdata,"",@progbits
; Kernel info:
; codeLenInByte = 0
; TotalNumSgprs: 4
; NumVgprs: 0
; ScratchSize: 0
; MemoryBound: 0
; FloatMode: 240
; IeeeMode: 1
; LDSByteSize: 0 bytes/workgroup (compile time only)
; SGPRBlocks: 0
; VGPRBlocks: 0
; NumSGPRsForWavesPerEU: 4
; NumVGPRsForWavesPerEU: 1
; Occupancy: 10
; WaveLimiterHint : 0
; COMPUTE_PGM_RSRC2:SCRATCH_EN: 0
; COMPUTE_PGM_RSRC2:USER_SGPR: 6
; COMPUTE_PGM_RSRC2:TRAP_HANDLER: 0
; COMPUTE_PGM_RSRC2:TGID_X_EN: 1
; COMPUTE_PGM_RSRC2:TGID_Y_EN: 0
; COMPUTE_PGM_RSRC2:TGID_Z_EN: 0
; COMPUTE_PGM_RSRC2:TIDIG_COMP_CNT: 0
	.section	.text._ZN7rocprim17ROCPRIM_400000_NS6detail17trampoline_kernelINS0_14default_configENS1_36segmented_radix_sort_config_selectorIhlEEZNS1_25segmented_radix_sort_implIS3_Lb1EPKhPhPKlPlN2at6native12_GLOBAL__N_18offset_tEEE10hipError_tPvRmT1_PNSt15iterator_traitsISK_E10value_typeET2_T3_PNSL_ISQ_E10value_typeET4_jRbjT5_SW_jjP12ihipStream_tbEUlT_E2_NS1_11comp_targetILNS1_3genE10ELNS1_11target_archE1200ELNS1_3gpuE4ELNS1_3repE0EEENS1_30default_config_static_selectorELNS0_4arch9wavefront6targetE1EEEvSK_,"axG",@progbits,_ZN7rocprim17ROCPRIM_400000_NS6detail17trampoline_kernelINS0_14default_configENS1_36segmented_radix_sort_config_selectorIhlEEZNS1_25segmented_radix_sort_implIS3_Lb1EPKhPhPKlPlN2at6native12_GLOBAL__N_18offset_tEEE10hipError_tPvRmT1_PNSt15iterator_traitsISK_E10value_typeET2_T3_PNSL_ISQ_E10value_typeET4_jRbjT5_SW_jjP12ihipStream_tbEUlT_E2_NS1_11comp_targetILNS1_3genE10ELNS1_11target_archE1200ELNS1_3gpuE4ELNS1_3repE0EEENS1_30default_config_static_selectorELNS0_4arch9wavefront6targetE1EEEvSK_,comdat
	.globl	_ZN7rocprim17ROCPRIM_400000_NS6detail17trampoline_kernelINS0_14default_configENS1_36segmented_radix_sort_config_selectorIhlEEZNS1_25segmented_radix_sort_implIS3_Lb1EPKhPhPKlPlN2at6native12_GLOBAL__N_18offset_tEEE10hipError_tPvRmT1_PNSt15iterator_traitsISK_E10value_typeET2_T3_PNSL_ISQ_E10value_typeET4_jRbjT5_SW_jjP12ihipStream_tbEUlT_E2_NS1_11comp_targetILNS1_3genE10ELNS1_11target_archE1200ELNS1_3gpuE4ELNS1_3repE0EEENS1_30default_config_static_selectorELNS0_4arch9wavefront6targetE1EEEvSK_ ; -- Begin function _ZN7rocprim17ROCPRIM_400000_NS6detail17trampoline_kernelINS0_14default_configENS1_36segmented_radix_sort_config_selectorIhlEEZNS1_25segmented_radix_sort_implIS3_Lb1EPKhPhPKlPlN2at6native12_GLOBAL__N_18offset_tEEE10hipError_tPvRmT1_PNSt15iterator_traitsISK_E10value_typeET2_T3_PNSL_ISQ_E10value_typeET4_jRbjT5_SW_jjP12ihipStream_tbEUlT_E2_NS1_11comp_targetILNS1_3genE10ELNS1_11target_archE1200ELNS1_3gpuE4ELNS1_3repE0EEENS1_30default_config_static_selectorELNS0_4arch9wavefront6targetE1EEEvSK_
	.p2align	8
	.type	_ZN7rocprim17ROCPRIM_400000_NS6detail17trampoline_kernelINS0_14default_configENS1_36segmented_radix_sort_config_selectorIhlEEZNS1_25segmented_radix_sort_implIS3_Lb1EPKhPhPKlPlN2at6native12_GLOBAL__N_18offset_tEEE10hipError_tPvRmT1_PNSt15iterator_traitsISK_E10value_typeET2_T3_PNSL_ISQ_E10value_typeET4_jRbjT5_SW_jjP12ihipStream_tbEUlT_E2_NS1_11comp_targetILNS1_3genE10ELNS1_11target_archE1200ELNS1_3gpuE4ELNS1_3repE0EEENS1_30default_config_static_selectorELNS0_4arch9wavefront6targetE1EEEvSK_,@function
_ZN7rocprim17ROCPRIM_400000_NS6detail17trampoline_kernelINS0_14default_configENS1_36segmented_radix_sort_config_selectorIhlEEZNS1_25segmented_radix_sort_implIS3_Lb1EPKhPhPKlPlN2at6native12_GLOBAL__N_18offset_tEEE10hipError_tPvRmT1_PNSt15iterator_traitsISK_E10value_typeET2_T3_PNSL_ISQ_E10value_typeET4_jRbjT5_SW_jjP12ihipStream_tbEUlT_E2_NS1_11comp_targetILNS1_3genE10ELNS1_11target_archE1200ELNS1_3gpuE4ELNS1_3repE0EEENS1_30default_config_static_selectorELNS0_4arch9wavefront6targetE1EEEvSK_: ; @_ZN7rocprim17ROCPRIM_400000_NS6detail17trampoline_kernelINS0_14default_configENS1_36segmented_radix_sort_config_selectorIhlEEZNS1_25segmented_radix_sort_implIS3_Lb1EPKhPhPKlPlN2at6native12_GLOBAL__N_18offset_tEEE10hipError_tPvRmT1_PNSt15iterator_traitsISK_E10value_typeET2_T3_PNSL_ISQ_E10value_typeET4_jRbjT5_SW_jjP12ihipStream_tbEUlT_E2_NS1_11comp_targetILNS1_3genE10ELNS1_11target_archE1200ELNS1_3gpuE4ELNS1_3repE0EEENS1_30default_config_static_selectorELNS0_4arch9wavefront6targetE1EEEvSK_
; %bb.0:
	.section	.rodata,"a",@progbits
	.p2align	6, 0x0
	.amdhsa_kernel _ZN7rocprim17ROCPRIM_400000_NS6detail17trampoline_kernelINS0_14default_configENS1_36segmented_radix_sort_config_selectorIhlEEZNS1_25segmented_radix_sort_implIS3_Lb1EPKhPhPKlPlN2at6native12_GLOBAL__N_18offset_tEEE10hipError_tPvRmT1_PNSt15iterator_traitsISK_E10value_typeET2_T3_PNSL_ISQ_E10value_typeET4_jRbjT5_SW_jjP12ihipStream_tbEUlT_E2_NS1_11comp_targetILNS1_3genE10ELNS1_11target_archE1200ELNS1_3gpuE4ELNS1_3repE0EEENS1_30default_config_static_selectorELNS0_4arch9wavefront6targetE1EEEvSK_
		.amdhsa_group_segment_fixed_size 0
		.amdhsa_private_segment_fixed_size 0
		.amdhsa_kernarg_size 80
		.amdhsa_user_sgpr_count 6
		.amdhsa_user_sgpr_private_segment_buffer 1
		.amdhsa_user_sgpr_dispatch_ptr 0
		.amdhsa_user_sgpr_queue_ptr 0
		.amdhsa_user_sgpr_kernarg_segment_ptr 1
		.amdhsa_user_sgpr_dispatch_id 0
		.amdhsa_user_sgpr_flat_scratch_init 0
		.amdhsa_user_sgpr_private_segment_size 0
		.amdhsa_uses_dynamic_stack 0
		.amdhsa_system_sgpr_private_segment_wavefront_offset 0
		.amdhsa_system_sgpr_workgroup_id_x 1
		.amdhsa_system_sgpr_workgroup_id_y 0
		.amdhsa_system_sgpr_workgroup_id_z 0
		.amdhsa_system_sgpr_workgroup_info 0
		.amdhsa_system_vgpr_workitem_id 0
		.amdhsa_next_free_vgpr 1
		.amdhsa_next_free_sgpr 0
		.amdhsa_reserve_vcc 0
		.amdhsa_reserve_flat_scratch 0
		.amdhsa_float_round_mode_32 0
		.amdhsa_float_round_mode_16_64 0
		.amdhsa_float_denorm_mode_32 3
		.amdhsa_float_denorm_mode_16_64 3
		.amdhsa_dx10_clamp 1
		.amdhsa_ieee_mode 1
		.amdhsa_fp16_overflow 0
		.amdhsa_exception_fp_ieee_invalid_op 0
		.amdhsa_exception_fp_denorm_src 0
		.amdhsa_exception_fp_ieee_div_zero 0
		.amdhsa_exception_fp_ieee_overflow 0
		.amdhsa_exception_fp_ieee_underflow 0
		.amdhsa_exception_fp_ieee_inexact 0
		.amdhsa_exception_int_div_zero 0
	.end_amdhsa_kernel
	.section	.text._ZN7rocprim17ROCPRIM_400000_NS6detail17trampoline_kernelINS0_14default_configENS1_36segmented_radix_sort_config_selectorIhlEEZNS1_25segmented_radix_sort_implIS3_Lb1EPKhPhPKlPlN2at6native12_GLOBAL__N_18offset_tEEE10hipError_tPvRmT1_PNSt15iterator_traitsISK_E10value_typeET2_T3_PNSL_ISQ_E10value_typeET4_jRbjT5_SW_jjP12ihipStream_tbEUlT_E2_NS1_11comp_targetILNS1_3genE10ELNS1_11target_archE1200ELNS1_3gpuE4ELNS1_3repE0EEENS1_30default_config_static_selectorELNS0_4arch9wavefront6targetE1EEEvSK_,"axG",@progbits,_ZN7rocprim17ROCPRIM_400000_NS6detail17trampoline_kernelINS0_14default_configENS1_36segmented_radix_sort_config_selectorIhlEEZNS1_25segmented_radix_sort_implIS3_Lb1EPKhPhPKlPlN2at6native12_GLOBAL__N_18offset_tEEE10hipError_tPvRmT1_PNSt15iterator_traitsISK_E10value_typeET2_T3_PNSL_ISQ_E10value_typeET4_jRbjT5_SW_jjP12ihipStream_tbEUlT_E2_NS1_11comp_targetILNS1_3genE10ELNS1_11target_archE1200ELNS1_3gpuE4ELNS1_3repE0EEENS1_30default_config_static_selectorELNS0_4arch9wavefront6targetE1EEEvSK_,comdat
.Lfunc_end119:
	.size	_ZN7rocprim17ROCPRIM_400000_NS6detail17trampoline_kernelINS0_14default_configENS1_36segmented_radix_sort_config_selectorIhlEEZNS1_25segmented_radix_sort_implIS3_Lb1EPKhPhPKlPlN2at6native12_GLOBAL__N_18offset_tEEE10hipError_tPvRmT1_PNSt15iterator_traitsISK_E10value_typeET2_T3_PNSL_ISQ_E10value_typeET4_jRbjT5_SW_jjP12ihipStream_tbEUlT_E2_NS1_11comp_targetILNS1_3genE10ELNS1_11target_archE1200ELNS1_3gpuE4ELNS1_3repE0EEENS1_30default_config_static_selectorELNS0_4arch9wavefront6targetE1EEEvSK_, .Lfunc_end119-_ZN7rocprim17ROCPRIM_400000_NS6detail17trampoline_kernelINS0_14default_configENS1_36segmented_radix_sort_config_selectorIhlEEZNS1_25segmented_radix_sort_implIS3_Lb1EPKhPhPKlPlN2at6native12_GLOBAL__N_18offset_tEEE10hipError_tPvRmT1_PNSt15iterator_traitsISK_E10value_typeET2_T3_PNSL_ISQ_E10value_typeET4_jRbjT5_SW_jjP12ihipStream_tbEUlT_E2_NS1_11comp_targetILNS1_3genE10ELNS1_11target_archE1200ELNS1_3gpuE4ELNS1_3repE0EEENS1_30default_config_static_selectorELNS0_4arch9wavefront6targetE1EEEvSK_
                                        ; -- End function
	.set _ZN7rocprim17ROCPRIM_400000_NS6detail17trampoline_kernelINS0_14default_configENS1_36segmented_radix_sort_config_selectorIhlEEZNS1_25segmented_radix_sort_implIS3_Lb1EPKhPhPKlPlN2at6native12_GLOBAL__N_18offset_tEEE10hipError_tPvRmT1_PNSt15iterator_traitsISK_E10value_typeET2_T3_PNSL_ISQ_E10value_typeET4_jRbjT5_SW_jjP12ihipStream_tbEUlT_E2_NS1_11comp_targetILNS1_3genE10ELNS1_11target_archE1200ELNS1_3gpuE4ELNS1_3repE0EEENS1_30default_config_static_selectorELNS0_4arch9wavefront6targetE1EEEvSK_.num_vgpr, 0
	.set _ZN7rocprim17ROCPRIM_400000_NS6detail17trampoline_kernelINS0_14default_configENS1_36segmented_radix_sort_config_selectorIhlEEZNS1_25segmented_radix_sort_implIS3_Lb1EPKhPhPKlPlN2at6native12_GLOBAL__N_18offset_tEEE10hipError_tPvRmT1_PNSt15iterator_traitsISK_E10value_typeET2_T3_PNSL_ISQ_E10value_typeET4_jRbjT5_SW_jjP12ihipStream_tbEUlT_E2_NS1_11comp_targetILNS1_3genE10ELNS1_11target_archE1200ELNS1_3gpuE4ELNS1_3repE0EEENS1_30default_config_static_selectorELNS0_4arch9wavefront6targetE1EEEvSK_.num_agpr, 0
	.set _ZN7rocprim17ROCPRIM_400000_NS6detail17trampoline_kernelINS0_14default_configENS1_36segmented_radix_sort_config_selectorIhlEEZNS1_25segmented_radix_sort_implIS3_Lb1EPKhPhPKlPlN2at6native12_GLOBAL__N_18offset_tEEE10hipError_tPvRmT1_PNSt15iterator_traitsISK_E10value_typeET2_T3_PNSL_ISQ_E10value_typeET4_jRbjT5_SW_jjP12ihipStream_tbEUlT_E2_NS1_11comp_targetILNS1_3genE10ELNS1_11target_archE1200ELNS1_3gpuE4ELNS1_3repE0EEENS1_30default_config_static_selectorELNS0_4arch9wavefront6targetE1EEEvSK_.numbered_sgpr, 0
	.set _ZN7rocprim17ROCPRIM_400000_NS6detail17trampoline_kernelINS0_14default_configENS1_36segmented_radix_sort_config_selectorIhlEEZNS1_25segmented_radix_sort_implIS3_Lb1EPKhPhPKlPlN2at6native12_GLOBAL__N_18offset_tEEE10hipError_tPvRmT1_PNSt15iterator_traitsISK_E10value_typeET2_T3_PNSL_ISQ_E10value_typeET4_jRbjT5_SW_jjP12ihipStream_tbEUlT_E2_NS1_11comp_targetILNS1_3genE10ELNS1_11target_archE1200ELNS1_3gpuE4ELNS1_3repE0EEENS1_30default_config_static_selectorELNS0_4arch9wavefront6targetE1EEEvSK_.num_named_barrier, 0
	.set _ZN7rocprim17ROCPRIM_400000_NS6detail17trampoline_kernelINS0_14default_configENS1_36segmented_radix_sort_config_selectorIhlEEZNS1_25segmented_radix_sort_implIS3_Lb1EPKhPhPKlPlN2at6native12_GLOBAL__N_18offset_tEEE10hipError_tPvRmT1_PNSt15iterator_traitsISK_E10value_typeET2_T3_PNSL_ISQ_E10value_typeET4_jRbjT5_SW_jjP12ihipStream_tbEUlT_E2_NS1_11comp_targetILNS1_3genE10ELNS1_11target_archE1200ELNS1_3gpuE4ELNS1_3repE0EEENS1_30default_config_static_selectorELNS0_4arch9wavefront6targetE1EEEvSK_.private_seg_size, 0
	.set _ZN7rocprim17ROCPRIM_400000_NS6detail17trampoline_kernelINS0_14default_configENS1_36segmented_radix_sort_config_selectorIhlEEZNS1_25segmented_radix_sort_implIS3_Lb1EPKhPhPKlPlN2at6native12_GLOBAL__N_18offset_tEEE10hipError_tPvRmT1_PNSt15iterator_traitsISK_E10value_typeET2_T3_PNSL_ISQ_E10value_typeET4_jRbjT5_SW_jjP12ihipStream_tbEUlT_E2_NS1_11comp_targetILNS1_3genE10ELNS1_11target_archE1200ELNS1_3gpuE4ELNS1_3repE0EEENS1_30default_config_static_selectorELNS0_4arch9wavefront6targetE1EEEvSK_.uses_vcc, 0
	.set _ZN7rocprim17ROCPRIM_400000_NS6detail17trampoline_kernelINS0_14default_configENS1_36segmented_radix_sort_config_selectorIhlEEZNS1_25segmented_radix_sort_implIS3_Lb1EPKhPhPKlPlN2at6native12_GLOBAL__N_18offset_tEEE10hipError_tPvRmT1_PNSt15iterator_traitsISK_E10value_typeET2_T3_PNSL_ISQ_E10value_typeET4_jRbjT5_SW_jjP12ihipStream_tbEUlT_E2_NS1_11comp_targetILNS1_3genE10ELNS1_11target_archE1200ELNS1_3gpuE4ELNS1_3repE0EEENS1_30default_config_static_selectorELNS0_4arch9wavefront6targetE1EEEvSK_.uses_flat_scratch, 0
	.set _ZN7rocprim17ROCPRIM_400000_NS6detail17trampoline_kernelINS0_14default_configENS1_36segmented_radix_sort_config_selectorIhlEEZNS1_25segmented_radix_sort_implIS3_Lb1EPKhPhPKlPlN2at6native12_GLOBAL__N_18offset_tEEE10hipError_tPvRmT1_PNSt15iterator_traitsISK_E10value_typeET2_T3_PNSL_ISQ_E10value_typeET4_jRbjT5_SW_jjP12ihipStream_tbEUlT_E2_NS1_11comp_targetILNS1_3genE10ELNS1_11target_archE1200ELNS1_3gpuE4ELNS1_3repE0EEENS1_30default_config_static_selectorELNS0_4arch9wavefront6targetE1EEEvSK_.has_dyn_sized_stack, 0
	.set _ZN7rocprim17ROCPRIM_400000_NS6detail17trampoline_kernelINS0_14default_configENS1_36segmented_radix_sort_config_selectorIhlEEZNS1_25segmented_radix_sort_implIS3_Lb1EPKhPhPKlPlN2at6native12_GLOBAL__N_18offset_tEEE10hipError_tPvRmT1_PNSt15iterator_traitsISK_E10value_typeET2_T3_PNSL_ISQ_E10value_typeET4_jRbjT5_SW_jjP12ihipStream_tbEUlT_E2_NS1_11comp_targetILNS1_3genE10ELNS1_11target_archE1200ELNS1_3gpuE4ELNS1_3repE0EEENS1_30default_config_static_selectorELNS0_4arch9wavefront6targetE1EEEvSK_.has_recursion, 0
	.set _ZN7rocprim17ROCPRIM_400000_NS6detail17trampoline_kernelINS0_14default_configENS1_36segmented_radix_sort_config_selectorIhlEEZNS1_25segmented_radix_sort_implIS3_Lb1EPKhPhPKlPlN2at6native12_GLOBAL__N_18offset_tEEE10hipError_tPvRmT1_PNSt15iterator_traitsISK_E10value_typeET2_T3_PNSL_ISQ_E10value_typeET4_jRbjT5_SW_jjP12ihipStream_tbEUlT_E2_NS1_11comp_targetILNS1_3genE10ELNS1_11target_archE1200ELNS1_3gpuE4ELNS1_3repE0EEENS1_30default_config_static_selectorELNS0_4arch9wavefront6targetE1EEEvSK_.has_indirect_call, 0
	.section	.AMDGPU.csdata,"",@progbits
; Kernel info:
; codeLenInByte = 0
; TotalNumSgprs: 4
; NumVgprs: 0
; ScratchSize: 0
; MemoryBound: 0
; FloatMode: 240
; IeeeMode: 1
; LDSByteSize: 0 bytes/workgroup (compile time only)
; SGPRBlocks: 0
; VGPRBlocks: 0
; NumSGPRsForWavesPerEU: 4
; NumVGPRsForWavesPerEU: 1
; Occupancy: 10
; WaveLimiterHint : 0
; COMPUTE_PGM_RSRC2:SCRATCH_EN: 0
; COMPUTE_PGM_RSRC2:USER_SGPR: 6
; COMPUTE_PGM_RSRC2:TRAP_HANDLER: 0
; COMPUTE_PGM_RSRC2:TGID_X_EN: 1
; COMPUTE_PGM_RSRC2:TGID_Y_EN: 0
; COMPUTE_PGM_RSRC2:TGID_Z_EN: 0
; COMPUTE_PGM_RSRC2:TIDIG_COMP_CNT: 0
	.section	.text._ZN7rocprim17ROCPRIM_400000_NS6detail17trampoline_kernelINS0_14default_configENS1_36segmented_radix_sort_config_selectorIhlEEZNS1_25segmented_radix_sort_implIS3_Lb1EPKhPhPKlPlN2at6native12_GLOBAL__N_18offset_tEEE10hipError_tPvRmT1_PNSt15iterator_traitsISK_E10value_typeET2_T3_PNSL_ISQ_E10value_typeET4_jRbjT5_SW_jjP12ihipStream_tbEUlT_E2_NS1_11comp_targetILNS1_3genE9ELNS1_11target_archE1100ELNS1_3gpuE3ELNS1_3repE0EEENS1_30default_config_static_selectorELNS0_4arch9wavefront6targetE1EEEvSK_,"axG",@progbits,_ZN7rocprim17ROCPRIM_400000_NS6detail17trampoline_kernelINS0_14default_configENS1_36segmented_radix_sort_config_selectorIhlEEZNS1_25segmented_radix_sort_implIS3_Lb1EPKhPhPKlPlN2at6native12_GLOBAL__N_18offset_tEEE10hipError_tPvRmT1_PNSt15iterator_traitsISK_E10value_typeET2_T3_PNSL_ISQ_E10value_typeET4_jRbjT5_SW_jjP12ihipStream_tbEUlT_E2_NS1_11comp_targetILNS1_3genE9ELNS1_11target_archE1100ELNS1_3gpuE3ELNS1_3repE0EEENS1_30default_config_static_selectorELNS0_4arch9wavefront6targetE1EEEvSK_,comdat
	.globl	_ZN7rocprim17ROCPRIM_400000_NS6detail17trampoline_kernelINS0_14default_configENS1_36segmented_radix_sort_config_selectorIhlEEZNS1_25segmented_radix_sort_implIS3_Lb1EPKhPhPKlPlN2at6native12_GLOBAL__N_18offset_tEEE10hipError_tPvRmT1_PNSt15iterator_traitsISK_E10value_typeET2_T3_PNSL_ISQ_E10value_typeET4_jRbjT5_SW_jjP12ihipStream_tbEUlT_E2_NS1_11comp_targetILNS1_3genE9ELNS1_11target_archE1100ELNS1_3gpuE3ELNS1_3repE0EEENS1_30default_config_static_selectorELNS0_4arch9wavefront6targetE1EEEvSK_ ; -- Begin function _ZN7rocprim17ROCPRIM_400000_NS6detail17trampoline_kernelINS0_14default_configENS1_36segmented_radix_sort_config_selectorIhlEEZNS1_25segmented_radix_sort_implIS3_Lb1EPKhPhPKlPlN2at6native12_GLOBAL__N_18offset_tEEE10hipError_tPvRmT1_PNSt15iterator_traitsISK_E10value_typeET2_T3_PNSL_ISQ_E10value_typeET4_jRbjT5_SW_jjP12ihipStream_tbEUlT_E2_NS1_11comp_targetILNS1_3genE9ELNS1_11target_archE1100ELNS1_3gpuE3ELNS1_3repE0EEENS1_30default_config_static_selectorELNS0_4arch9wavefront6targetE1EEEvSK_
	.p2align	8
	.type	_ZN7rocprim17ROCPRIM_400000_NS6detail17trampoline_kernelINS0_14default_configENS1_36segmented_radix_sort_config_selectorIhlEEZNS1_25segmented_radix_sort_implIS3_Lb1EPKhPhPKlPlN2at6native12_GLOBAL__N_18offset_tEEE10hipError_tPvRmT1_PNSt15iterator_traitsISK_E10value_typeET2_T3_PNSL_ISQ_E10value_typeET4_jRbjT5_SW_jjP12ihipStream_tbEUlT_E2_NS1_11comp_targetILNS1_3genE9ELNS1_11target_archE1100ELNS1_3gpuE3ELNS1_3repE0EEENS1_30default_config_static_selectorELNS0_4arch9wavefront6targetE1EEEvSK_,@function
_ZN7rocprim17ROCPRIM_400000_NS6detail17trampoline_kernelINS0_14default_configENS1_36segmented_radix_sort_config_selectorIhlEEZNS1_25segmented_radix_sort_implIS3_Lb1EPKhPhPKlPlN2at6native12_GLOBAL__N_18offset_tEEE10hipError_tPvRmT1_PNSt15iterator_traitsISK_E10value_typeET2_T3_PNSL_ISQ_E10value_typeET4_jRbjT5_SW_jjP12ihipStream_tbEUlT_E2_NS1_11comp_targetILNS1_3genE9ELNS1_11target_archE1100ELNS1_3gpuE3ELNS1_3repE0EEENS1_30default_config_static_selectorELNS0_4arch9wavefront6targetE1EEEvSK_: ; @_ZN7rocprim17ROCPRIM_400000_NS6detail17trampoline_kernelINS0_14default_configENS1_36segmented_radix_sort_config_selectorIhlEEZNS1_25segmented_radix_sort_implIS3_Lb1EPKhPhPKlPlN2at6native12_GLOBAL__N_18offset_tEEE10hipError_tPvRmT1_PNSt15iterator_traitsISK_E10value_typeET2_T3_PNSL_ISQ_E10value_typeET4_jRbjT5_SW_jjP12ihipStream_tbEUlT_E2_NS1_11comp_targetILNS1_3genE9ELNS1_11target_archE1100ELNS1_3gpuE3ELNS1_3repE0EEENS1_30default_config_static_selectorELNS0_4arch9wavefront6targetE1EEEvSK_
; %bb.0:
	.section	.rodata,"a",@progbits
	.p2align	6, 0x0
	.amdhsa_kernel _ZN7rocprim17ROCPRIM_400000_NS6detail17trampoline_kernelINS0_14default_configENS1_36segmented_radix_sort_config_selectorIhlEEZNS1_25segmented_radix_sort_implIS3_Lb1EPKhPhPKlPlN2at6native12_GLOBAL__N_18offset_tEEE10hipError_tPvRmT1_PNSt15iterator_traitsISK_E10value_typeET2_T3_PNSL_ISQ_E10value_typeET4_jRbjT5_SW_jjP12ihipStream_tbEUlT_E2_NS1_11comp_targetILNS1_3genE9ELNS1_11target_archE1100ELNS1_3gpuE3ELNS1_3repE0EEENS1_30default_config_static_selectorELNS0_4arch9wavefront6targetE1EEEvSK_
		.amdhsa_group_segment_fixed_size 0
		.amdhsa_private_segment_fixed_size 0
		.amdhsa_kernarg_size 80
		.amdhsa_user_sgpr_count 6
		.amdhsa_user_sgpr_private_segment_buffer 1
		.amdhsa_user_sgpr_dispatch_ptr 0
		.amdhsa_user_sgpr_queue_ptr 0
		.amdhsa_user_sgpr_kernarg_segment_ptr 1
		.amdhsa_user_sgpr_dispatch_id 0
		.amdhsa_user_sgpr_flat_scratch_init 0
		.amdhsa_user_sgpr_private_segment_size 0
		.amdhsa_uses_dynamic_stack 0
		.amdhsa_system_sgpr_private_segment_wavefront_offset 0
		.amdhsa_system_sgpr_workgroup_id_x 1
		.amdhsa_system_sgpr_workgroup_id_y 0
		.amdhsa_system_sgpr_workgroup_id_z 0
		.amdhsa_system_sgpr_workgroup_info 0
		.amdhsa_system_vgpr_workitem_id 0
		.amdhsa_next_free_vgpr 1
		.amdhsa_next_free_sgpr 0
		.amdhsa_reserve_vcc 0
		.amdhsa_reserve_flat_scratch 0
		.amdhsa_float_round_mode_32 0
		.amdhsa_float_round_mode_16_64 0
		.amdhsa_float_denorm_mode_32 3
		.amdhsa_float_denorm_mode_16_64 3
		.amdhsa_dx10_clamp 1
		.amdhsa_ieee_mode 1
		.amdhsa_fp16_overflow 0
		.amdhsa_exception_fp_ieee_invalid_op 0
		.amdhsa_exception_fp_denorm_src 0
		.amdhsa_exception_fp_ieee_div_zero 0
		.amdhsa_exception_fp_ieee_overflow 0
		.amdhsa_exception_fp_ieee_underflow 0
		.amdhsa_exception_fp_ieee_inexact 0
		.amdhsa_exception_int_div_zero 0
	.end_amdhsa_kernel
	.section	.text._ZN7rocprim17ROCPRIM_400000_NS6detail17trampoline_kernelINS0_14default_configENS1_36segmented_radix_sort_config_selectorIhlEEZNS1_25segmented_radix_sort_implIS3_Lb1EPKhPhPKlPlN2at6native12_GLOBAL__N_18offset_tEEE10hipError_tPvRmT1_PNSt15iterator_traitsISK_E10value_typeET2_T3_PNSL_ISQ_E10value_typeET4_jRbjT5_SW_jjP12ihipStream_tbEUlT_E2_NS1_11comp_targetILNS1_3genE9ELNS1_11target_archE1100ELNS1_3gpuE3ELNS1_3repE0EEENS1_30default_config_static_selectorELNS0_4arch9wavefront6targetE1EEEvSK_,"axG",@progbits,_ZN7rocprim17ROCPRIM_400000_NS6detail17trampoline_kernelINS0_14default_configENS1_36segmented_radix_sort_config_selectorIhlEEZNS1_25segmented_radix_sort_implIS3_Lb1EPKhPhPKlPlN2at6native12_GLOBAL__N_18offset_tEEE10hipError_tPvRmT1_PNSt15iterator_traitsISK_E10value_typeET2_T3_PNSL_ISQ_E10value_typeET4_jRbjT5_SW_jjP12ihipStream_tbEUlT_E2_NS1_11comp_targetILNS1_3genE9ELNS1_11target_archE1100ELNS1_3gpuE3ELNS1_3repE0EEENS1_30default_config_static_selectorELNS0_4arch9wavefront6targetE1EEEvSK_,comdat
.Lfunc_end120:
	.size	_ZN7rocprim17ROCPRIM_400000_NS6detail17trampoline_kernelINS0_14default_configENS1_36segmented_radix_sort_config_selectorIhlEEZNS1_25segmented_radix_sort_implIS3_Lb1EPKhPhPKlPlN2at6native12_GLOBAL__N_18offset_tEEE10hipError_tPvRmT1_PNSt15iterator_traitsISK_E10value_typeET2_T3_PNSL_ISQ_E10value_typeET4_jRbjT5_SW_jjP12ihipStream_tbEUlT_E2_NS1_11comp_targetILNS1_3genE9ELNS1_11target_archE1100ELNS1_3gpuE3ELNS1_3repE0EEENS1_30default_config_static_selectorELNS0_4arch9wavefront6targetE1EEEvSK_, .Lfunc_end120-_ZN7rocprim17ROCPRIM_400000_NS6detail17trampoline_kernelINS0_14default_configENS1_36segmented_radix_sort_config_selectorIhlEEZNS1_25segmented_radix_sort_implIS3_Lb1EPKhPhPKlPlN2at6native12_GLOBAL__N_18offset_tEEE10hipError_tPvRmT1_PNSt15iterator_traitsISK_E10value_typeET2_T3_PNSL_ISQ_E10value_typeET4_jRbjT5_SW_jjP12ihipStream_tbEUlT_E2_NS1_11comp_targetILNS1_3genE9ELNS1_11target_archE1100ELNS1_3gpuE3ELNS1_3repE0EEENS1_30default_config_static_selectorELNS0_4arch9wavefront6targetE1EEEvSK_
                                        ; -- End function
	.set _ZN7rocprim17ROCPRIM_400000_NS6detail17trampoline_kernelINS0_14default_configENS1_36segmented_radix_sort_config_selectorIhlEEZNS1_25segmented_radix_sort_implIS3_Lb1EPKhPhPKlPlN2at6native12_GLOBAL__N_18offset_tEEE10hipError_tPvRmT1_PNSt15iterator_traitsISK_E10value_typeET2_T3_PNSL_ISQ_E10value_typeET4_jRbjT5_SW_jjP12ihipStream_tbEUlT_E2_NS1_11comp_targetILNS1_3genE9ELNS1_11target_archE1100ELNS1_3gpuE3ELNS1_3repE0EEENS1_30default_config_static_selectorELNS0_4arch9wavefront6targetE1EEEvSK_.num_vgpr, 0
	.set _ZN7rocprim17ROCPRIM_400000_NS6detail17trampoline_kernelINS0_14default_configENS1_36segmented_radix_sort_config_selectorIhlEEZNS1_25segmented_radix_sort_implIS3_Lb1EPKhPhPKlPlN2at6native12_GLOBAL__N_18offset_tEEE10hipError_tPvRmT1_PNSt15iterator_traitsISK_E10value_typeET2_T3_PNSL_ISQ_E10value_typeET4_jRbjT5_SW_jjP12ihipStream_tbEUlT_E2_NS1_11comp_targetILNS1_3genE9ELNS1_11target_archE1100ELNS1_3gpuE3ELNS1_3repE0EEENS1_30default_config_static_selectorELNS0_4arch9wavefront6targetE1EEEvSK_.num_agpr, 0
	.set _ZN7rocprim17ROCPRIM_400000_NS6detail17trampoline_kernelINS0_14default_configENS1_36segmented_radix_sort_config_selectorIhlEEZNS1_25segmented_radix_sort_implIS3_Lb1EPKhPhPKlPlN2at6native12_GLOBAL__N_18offset_tEEE10hipError_tPvRmT1_PNSt15iterator_traitsISK_E10value_typeET2_T3_PNSL_ISQ_E10value_typeET4_jRbjT5_SW_jjP12ihipStream_tbEUlT_E2_NS1_11comp_targetILNS1_3genE9ELNS1_11target_archE1100ELNS1_3gpuE3ELNS1_3repE0EEENS1_30default_config_static_selectorELNS0_4arch9wavefront6targetE1EEEvSK_.numbered_sgpr, 0
	.set _ZN7rocprim17ROCPRIM_400000_NS6detail17trampoline_kernelINS0_14default_configENS1_36segmented_radix_sort_config_selectorIhlEEZNS1_25segmented_radix_sort_implIS3_Lb1EPKhPhPKlPlN2at6native12_GLOBAL__N_18offset_tEEE10hipError_tPvRmT1_PNSt15iterator_traitsISK_E10value_typeET2_T3_PNSL_ISQ_E10value_typeET4_jRbjT5_SW_jjP12ihipStream_tbEUlT_E2_NS1_11comp_targetILNS1_3genE9ELNS1_11target_archE1100ELNS1_3gpuE3ELNS1_3repE0EEENS1_30default_config_static_selectorELNS0_4arch9wavefront6targetE1EEEvSK_.num_named_barrier, 0
	.set _ZN7rocprim17ROCPRIM_400000_NS6detail17trampoline_kernelINS0_14default_configENS1_36segmented_radix_sort_config_selectorIhlEEZNS1_25segmented_radix_sort_implIS3_Lb1EPKhPhPKlPlN2at6native12_GLOBAL__N_18offset_tEEE10hipError_tPvRmT1_PNSt15iterator_traitsISK_E10value_typeET2_T3_PNSL_ISQ_E10value_typeET4_jRbjT5_SW_jjP12ihipStream_tbEUlT_E2_NS1_11comp_targetILNS1_3genE9ELNS1_11target_archE1100ELNS1_3gpuE3ELNS1_3repE0EEENS1_30default_config_static_selectorELNS0_4arch9wavefront6targetE1EEEvSK_.private_seg_size, 0
	.set _ZN7rocprim17ROCPRIM_400000_NS6detail17trampoline_kernelINS0_14default_configENS1_36segmented_radix_sort_config_selectorIhlEEZNS1_25segmented_radix_sort_implIS3_Lb1EPKhPhPKlPlN2at6native12_GLOBAL__N_18offset_tEEE10hipError_tPvRmT1_PNSt15iterator_traitsISK_E10value_typeET2_T3_PNSL_ISQ_E10value_typeET4_jRbjT5_SW_jjP12ihipStream_tbEUlT_E2_NS1_11comp_targetILNS1_3genE9ELNS1_11target_archE1100ELNS1_3gpuE3ELNS1_3repE0EEENS1_30default_config_static_selectorELNS0_4arch9wavefront6targetE1EEEvSK_.uses_vcc, 0
	.set _ZN7rocprim17ROCPRIM_400000_NS6detail17trampoline_kernelINS0_14default_configENS1_36segmented_radix_sort_config_selectorIhlEEZNS1_25segmented_radix_sort_implIS3_Lb1EPKhPhPKlPlN2at6native12_GLOBAL__N_18offset_tEEE10hipError_tPvRmT1_PNSt15iterator_traitsISK_E10value_typeET2_T3_PNSL_ISQ_E10value_typeET4_jRbjT5_SW_jjP12ihipStream_tbEUlT_E2_NS1_11comp_targetILNS1_3genE9ELNS1_11target_archE1100ELNS1_3gpuE3ELNS1_3repE0EEENS1_30default_config_static_selectorELNS0_4arch9wavefront6targetE1EEEvSK_.uses_flat_scratch, 0
	.set _ZN7rocprim17ROCPRIM_400000_NS6detail17trampoline_kernelINS0_14default_configENS1_36segmented_radix_sort_config_selectorIhlEEZNS1_25segmented_radix_sort_implIS3_Lb1EPKhPhPKlPlN2at6native12_GLOBAL__N_18offset_tEEE10hipError_tPvRmT1_PNSt15iterator_traitsISK_E10value_typeET2_T3_PNSL_ISQ_E10value_typeET4_jRbjT5_SW_jjP12ihipStream_tbEUlT_E2_NS1_11comp_targetILNS1_3genE9ELNS1_11target_archE1100ELNS1_3gpuE3ELNS1_3repE0EEENS1_30default_config_static_selectorELNS0_4arch9wavefront6targetE1EEEvSK_.has_dyn_sized_stack, 0
	.set _ZN7rocprim17ROCPRIM_400000_NS6detail17trampoline_kernelINS0_14default_configENS1_36segmented_radix_sort_config_selectorIhlEEZNS1_25segmented_radix_sort_implIS3_Lb1EPKhPhPKlPlN2at6native12_GLOBAL__N_18offset_tEEE10hipError_tPvRmT1_PNSt15iterator_traitsISK_E10value_typeET2_T3_PNSL_ISQ_E10value_typeET4_jRbjT5_SW_jjP12ihipStream_tbEUlT_E2_NS1_11comp_targetILNS1_3genE9ELNS1_11target_archE1100ELNS1_3gpuE3ELNS1_3repE0EEENS1_30default_config_static_selectorELNS0_4arch9wavefront6targetE1EEEvSK_.has_recursion, 0
	.set _ZN7rocprim17ROCPRIM_400000_NS6detail17trampoline_kernelINS0_14default_configENS1_36segmented_radix_sort_config_selectorIhlEEZNS1_25segmented_radix_sort_implIS3_Lb1EPKhPhPKlPlN2at6native12_GLOBAL__N_18offset_tEEE10hipError_tPvRmT1_PNSt15iterator_traitsISK_E10value_typeET2_T3_PNSL_ISQ_E10value_typeET4_jRbjT5_SW_jjP12ihipStream_tbEUlT_E2_NS1_11comp_targetILNS1_3genE9ELNS1_11target_archE1100ELNS1_3gpuE3ELNS1_3repE0EEENS1_30default_config_static_selectorELNS0_4arch9wavefront6targetE1EEEvSK_.has_indirect_call, 0
	.section	.AMDGPU.csdata,"",@progbits
; Kernel info:
; codeLenInByte = 0
; TotalNumSgprs: 4
; NumVgprs: 0
; ScratchSize: 0
; MemoryBound: 0
; FloatMode: 240
; IeeeMode: 1
; LDSByteSize: 0 bytes/workgroup (compile time only)
; SGPRBlocks: 0
; VGPRBlocks: 0
; NumSGPRsForWavesPerEU: 4
; NumVGPRsForWavesPerEU: 1
; Occupancy: 10
; WaveLimiterHint : 0
; COMPUTE_PGM_RSRC2:SCRATCH_EN: 0
; COMPUTE_PGM_RSRC2:USER_SGPR: 6
; COMPUTE_PGM_RSRC2:TRAP_HANDLER: 0
; COMPUTE_PGM_RSRC2:TGID_X_EN: 1
; COMPUTE_PGM_RSRC2:TGID_Y_EN: 0
; COMPUTE_PGM_RSRC2:TGID_Z_EN: 0
; COMPUTE_PGM_RSRC2:TIDIG_COMP_CNT: 0
	.section	.text._ZN7rocprim17ROCPRIM_400000_NS6detail17trampoline_kernelINS0_14default_configENS1_36segmented_radix_sort_config_selectorIhlEEZNS1_25segmented_radix_sort_implIS3_Lb1EPKhPhPKlPlN2at6native12_GLOBAL__N_18offset_tEEE10hipError_tPvRmT1_PNSt15iterator_traitsISK_E10value_typeET2_T3_PNSL_ISQ_E10value_typeET4_jRbjT5_SW_jjP12ihipStream_tbEUlT_E2_NS1_11comp_targetILNS1_3genE8ELNS1_11target_archE1030ELNS1_3gpuE2ELNS1_3repE0EEENS1_30default_config_static_selectorELNS0_4arch9wavefront6targetE1EEEvSK_,"axG",@progbits,_ZN7rocprim17ROCPRIM_400000_NS6detail17trampoline_kernelINS0_14default_configENS1_36segmented_radix_sort_config_selectorIhlEEZNS1_25segmented_radix_sort_implIS3_Lb1EPKhPhPKlPlN2at6native12_GLOBAL__N_18offset_tEEE10hipError_tPvRmT1_PNSt15iterator_traitsISK_E10value_typeET2_T3_PNSL_ISQ_E10value_typeET4_jRbjT5_SW_jjP12ihipStream_tbEUlT_E2_NS1_11comp_targetILNS1_3genE8ELNS1_11target_archE1030ELNS1_3gpuE2ELNS1_3repE0EEENS1_30default_config_static_selectorELNS0_4arch9wavefront6targetE1EEEvSK_,comdat
	.globl	_ZN7rocprim17ROCPRIM_400000_NS6detail17trampoline_kernelINS0_14default_configENS1_36segmented_radix_sort_config_selectorIhlEEZNS1_25segmented_radix_sort_implIS3_Lb1EPKhPhPKlPlN2at6native12_GLOBAL__N_18offset_tEEE10hipError_tPvRmT1_PNSt15iterator_traitsISK_E10value_typeET2_T3_PNSL_ISQ_E10value_typeET4_jRbjT5_SW_jjP12ihipStream_tbEUlT_E2_NS1_11comp_targetILNS1_3genE8ELNS1_11target_archE1030ELNS1_3gpuE2ELNS1_3repE0EEENS1_30default_config_static_selectorELNS0_4arch9wavefront6targetE1EEEvSK_ ; -- Begin function _ZN7rocprim17ROCPRIM_400000_NS6detail17trampoline_kernelINS0_14default_configENS1_36segmented_radix_sort_config_selectorIhlEEZNS1_25segmented_radix_sort_implIS3_Lb1EPKhPhPKlPlN2at6native12_GLOBAL__N_18offset_tEEE10hipError_tPvRmT1_PNSt15iterator_traitsISK_E10value_typeET2_T3_PNSL_ISQ_E10value_typeET4_jRbjT5_SW_jjP12ihipStream_tbEUlT_E2_NS1_11comp_targetILNS1_3genE8ELNS1_11target_archE1030ELNS1_3gpuE2ELNS1_3repE0EEENS1_30default_config_static_selectorELNS0_4arch9wavefront6targetE1EEEvSK_
	.p2align	8
	.type	_ZN7rocprim17ROCPRIM_400000_NS6detail17trampoline_kernelINS0_14default_configENS1_36segmented_radix_sort_config_selectorIhlEEZNS1_25segmented_radix_sort_implIS3_Lb1EPKhPhPKlPlN2at6native12_GLOBAL__N_18offset_tEEE10hipError_tPvRmT1_PNSt15iterator_traitsISK_E10value_typeET2_T3_PNSL_ISQ_E10value_typeET4_jRbjT5_SW_jjP12ihipStream_tbEUlT_E2_NS1_11comp_targetILNS1_3genE8ELNS1_11target_archE1030ELNS1_3gpuE2ELNS1_3repE0EEENS1_30default_config_static_selectorELNS0_4arch9wavefront6targetE1EEEvSK_,@function
_ZN7rocprim17ROCPRIM_400000_NS6detail17trampoline_kernelINS0_14default_configENS1_36segmented_radix_sort_config_selectorIhlEEZNS1_25segmented_radix_sort_implIS3_Lb1EPKhPhPKlPlN2at6native12_GLOBAL__N_18offset_tEEE10hipError_tPvRmT1_PNSt15iterator_traitsISK_E10value_typeET2_T3_PNSL_ISQ_E10value_typeET4_jRbjT5_SW_jjP12ihipStream_tbEUlT_E2_NS1_11comp_targetILNS1_3genE8ELNS1_11target_archE1030ELNS1_3gpuE2ELNS1_3repE0EEENS1_30default_config_static_selectorELNS0_4arch9wavefront6targetE1EEEvSK_: ; @_ZN7rocprim17ROCPRIM_400000_NS6detail17trampoline_kernelINS0_14default_configENS1_36segmented_radix_sort_config_selectorIhlEEZNS1_25segmented_radix_sort_implIS3_Lb1EPKhPhPKlPlN2at6native12_GLOBAL__N_18offset_tEEE10hipError_tPvRmT1_PNSt15iterator_traitsISK_E10value_typeET2_T3_PNSL_ISQ_E10value_typeET4_jRbjT5_SW_jjP12ihipStream_tbEUlT_E2_NS1_11comp_targetILNS1_3genE8ELNS1_11target_archE1030ELNS1_3gpuE2ELNS1_3repE0EEENS1_30default_config_static_selectorELNS0_4arch9wavefront6targetE1EEEvSK_
; %bb.0:
	.section	.rodata,"a",@progbits
	.p2align	6, 0x0
	.amdhsa_kernel _ZN7rocprim17ROCPRIM_400000_NS6detail17trampoline_kernelINS0_14default_configENS1_36segmented_radix_sort_config_selectorIhlEEZNS1_25segmented_radix_sort_implIS3_Lb1EPKhPhPKlPlN2at6native12_GLOBAL__N_18offset_tEEE10hipError_tPvRmT1_PNSt15iterator_traitsISK_E10value_typeET2_T3_PNSL_ISQ_E10value_typeET4_jRbjT5_SW_jjP12ihipStream_tbEUlT_E2_NS1_11comp_targetILNS1_3genE8ELNS1_11target_archE1030ELNS1_3gpuE2ELNS1_3repE0EEENS1_30default_config_static_selectorELNS0_4arch9wavefront6targetE1EEEvSK_
		.amdhsa_group_segment_fixed_size 0
		.amdhsa_private_segment_fixed_size 0
		.amdhsa_kernarg_size 80
		.amdhsa_user_sgpr_count 6
		.amdhsa_user_sgpr_private_segment_buffer 1
		.amdhsa_user_sgpr_dispatch_ptr 0
		.amdhsa_user_sgpr_queue_ptr 0
		.amdhsa_user_sgpr_kernarg_segment_ptr 1
		.amdhsa_user_sgpr_dispatch_id 0
		.amdhsa_user_sgpr_flat_scratch_init 0
		.amdhsa_user_sgpr_private_segment_size 0
		.amdhsa_uses_dynamic_stack 0
		.amdhsa_system_sgpr_private_segment_wavefront_offset 0
		.amdhsa_system_sgpr_workgroup_id_x 1
		.amdhsa_system_sgpr_workgroup_id_y 0
		.amdhsa_system_sgpr_workgroup_id_z 0
		.amdhsa_system_sgpr_workgroup_info 0
		.amdhsa_system_vgpr_workitem_id 0
		.amdhsa_next_free_vgpr 1
		.amdhsa_next_free_sgpr 0
		.amdhsa_reserve_vcc 0
		.amdhsa_reserve_flat_scratch 0
		.amdhsa_float_round_mode_32 0
		.amdhsa_float_round_mode_16_64 0
		.amdhsa_float_denorm_mode_32 3
		.amdhsa_float_denorm_mode_16_64 3
		.amdhsa_dx10_clamp 1
		.amdhsa_ieee_mode 1
		.amdhsa_fp16_overflow 0
		.amdhsa_exception_fp_ieee_invalid_op 0
		.amdhsa_exception_fp_denorm_src 0
		.amdhsa_exception_fp_ieee_div_zero 0
		.amdhsa_exception_fp_ieee_overflow 0
		.amdhsa_exception_fp_ieee_underflow 0
		.amdhsa_exception_fp_ieee_inexact 0
		.amdhsa_exception_int_div_zero 0
	.end_amdhsa_kernel
	.section	.text._ZN7rocprim17ROCPRIM_400000_NS6detail17trampoline_kernelINS0_14default_configENS1_36segmented_radix_sort_config_selectorIhlEEZNS1_25segmented_radix_sort_implIS3_Lb1EPKhPhPKlPlN2at6native12_GLOBAL__N_18offset_tEEE10hipError_tPvRmT1_PNSt15iterator_traitsISK_E10value_typeET2_T3_PNSL_ISQ_E10value_typeET4_jRbjT5_SW_jjP12ihipStream_tbEUlT_E2_NS1_11comp_targetILNS1_3genE8ELNS1_11target_archE1030ELNS1_3gpuE2ELNS1_3repE0EEENS1_30default_config_static_selectorELNS0_4arch9wavefront6targetE1EEEvSK_,"axG",@progbits,_ZN7rocprim17ROCPRIM_400000_NS6detail17trampoline_kernelINS0_14default_configENS1_36segmented_radix_sort_config_selectorIhlEEZNS1_25segmented_radix_sort_implIS3_Lb1EPKhPhPKlPlN2at6native12_GLOBAL__N_18offset_tEEE10hipError_tPvRmT1_PNSt15iterator_traitsISK_E10value_typeET2_T3_PNSL_ISQ_E10value_typeET4_jRbjT5_SW_jjP12ihipStream_tbEUlT_E2_NS1_11comp_targetILNS1_3genE8ELNS1_11target_archE1030ELNS1_3gpuE2ELNS1_3repE0EEENS1_30default_config_static_selectorELNS0_4arch9wavefront6targetE1EEEvSK_,comdat
.Lfunc_end121:
	.size	_ZN7rocprim17ROCPRIM_400000_NS6detail17trampoline_kernelINS0_14default_configENS1_36segmented_radix_sort_config_selectorIhlEEZNS1_25segmented_radix_sort_implIS3_Lb1EPKhPhPKlPlN2at6native12_GLOBAL__N_18offset_tEEE10hipError_tPvRmT1_PNSt15iterator_traitsISK_E10value_typeET2_T3_PNSL_ISQ_E10value_typeET4_jRbjT5_SW_jjP12ihipStream_tbEUlT_E2_NS1_11comp_targetILNS1_3genE8ELNS1_11target_archE1030ELNS1_3gpuE2ELNS1_3repE0EEENS1_30default_config_static_selectorELNS0_4arch9wavefront6targetE1EEEvSK_, .Lfunc_end121-_ZN7rocprim17ROCPRIM_400000_NS6detail17trampoline_kernelINS0_14default_configENS1_36segmented_radix_sort_config_selectorIhlEEZNS1_25segmented_radix_sort_implIS3_Lb1EPKhPhPKlPlN2at6native12_GLOBAL__N_18offset_tEEE10hipError_tPvRmT1_PNSt15iterator_traitsISK_E10value_typeET2_T3_PNSL_ISQ_E10value_typeET4_jRbjT5_SW_jjP12ihipStream_tbEUlT_E2_NS1_11comp_targetILNS1_3genE8ELNS1_11target_archE1030ELNS1_3gpuE2ELNS1_3repE0EEENS1_30default_config_static_selectorELNS0_4arch9wavefront6targetE1EEEvSK_
                                        ; -- End function
	.set _ZN7rocprim17ROCPRIM_400000_NS6detail17trampoline_kernelINS0_14default_configENS1_36segmented_radix_sort_config_selectorIhlEEZNS1_25segmented_radix_sort_implIS3_Lb1EPKhPhPKlPlN2at6native12_GLOBAL__N_18offset_tEEE10hipError_tPvRmT1_PNSt15iterator_traitsISK_E10value_typeET2_T3_PNSL_ISQ_E10value_typeET4_jRbjT5_SW_jjP12ihipStream_tbEUlT_E2_NS1_11comp_targetILNS1_3genE8ELNS1_11target_archE1030ELNS1_3gpuE2ELNS1_3repE0EEENS1_30default_config_static_selectorELNS0_4arch9wavefront6targetE1EEEvSK_.num_vgpr, 0
	.set _ZN7rocprim17ROCPRIM_400000_NS6detail17trampoline_kernelINS0_14default_configENS1_36segmented_radix_sort_config_selectorIhlEEZNS1_25segmented_radix_sort_implIS3_Lb1EPKhPhPKlPlN2at6native12_GLOBAL__N_18offset_tEEE10hipError_tPvRmT1_PNSt15iterator_traitsISK_E10value_typeET2_T3_PNSL_ISQ_E10value_typeET4_jRbjT5_SW_jjP12ihipStream_tbEUlT_E2_NS1_11comp_targetILNS1_3genE8ELNS1_11target_archE1030ELNS1_3gpuE2ELNS1_3repE0EEENS1_30default_config_static_selectorELNS0_4arch9wavefront6targetE1EEEvSK_.num_agpr, 0
	.set _ZN7rocprim17ROCPRIM_400000_NS6detail17trampoline_kernelINS0_14default_configENS1_36segmented_radix_sort_config_selectorIhlEEZNS1_25segmented_radix_sort_implIS3_Lb1EPKhPhPKlPlN2at6native12_GLOBAL__N_18offset_tEEE10hipError_tPvRmT1_PNSt15iterator_traitsISK_E10value_typeET2_T3_PNSL_ISQ_E10value_typeET4_jRbjT5_SW_jjP12ihipStream_tbEUlT_E2_NS1_11comp_targetILNS1_3genE8ELNS1_11target_archE1030ELNS1_3gpuE2ELNS1_3repE0EEENS1_30default_config_static_selectorELNS0_4arch9wavefront6targetE1EEEvSK_.numbered_sgpr, 0
	.set _ZN7rocprim17ROCPRIM_400000_NS6detail17trampoline_kernelINS0_14default_configENS1_36segmented_radix_sort_config_selectorIhlEEZNS1_25segmented_radix_sort_implIS3_Lb1EPKhPhPKlPlN2at6native12_GLOBAL__N_18offset_tEEE10hipError_tPvRmT1_PNSt15iterator_traitsISK_E10value_typeET2_T3_PNSL_ISQ_E10value_typeET4_jRbjT5_SW_jjP12ihipStream_tbEUlT_E2_NS1_11comp_targetILNS1_3genE8ELNS1_11target_archE1030ELNS1_3gpuE2ELNS1_3repE0EEENS1_30default_config_static_selectorELNS0_4arch9wavefront6targetE1EEEvSK_.num_named_barrier, 0
	.set _ZN7rocprim17ROCPRIM_400000_NS6detail17trampoline_kernelINS0_14default_configENS1_36segmented_radix_sort_config_selectorIhlEEZNS1_25segmented_radix_sort_implIS3_Lb1EPKhPhPKlPlN2at6native12_GLOBAL__N_18offset_tEEE10hipError_tPvRmT1_PNSt15iterator_traitsISK_E10value_typeET2_T3_PNSL_ISQ_E10value_typeET4_jRbjT5_SW_jjP12ihipStream_tbEUlT_E2_NS1_11comp_targetILNS1_3genE8ELNS1_11target_archE1030ELNS1_3gpuE2ELNS1_3repE0EEENS1_30default_config_static_selectorELNS0_4arch9wavefront6targetE1EEEvSK_.private_seg_size, 0
	.set _ZN7rocprim17ROCPRIM_400000_NS6detail17trampoline_kernelINS0_14default_configENS1_36segmented_radix_sort_config_selectorIhlEEZNS1_25segmented_radix_sort_implIS3_Lb1EPKhPhPKlPlN2at6native12_GLOBAL__N_18offset_tEEE10hipError_tPvRmT1_PNSt15iterator_traitsISK_E10value_typeET2_T3_PNSL_ISQ_E10value_typeET4_jRbjT5_SW_jjP12ihipStream_tbEUlT_E2_NS1_11comp_targetILNS1_3genE8ELNS1_11target_archE1030ELNS1_3gpuE2ELNS1_3repE0EEENS1_30default_config_static_selectorELNS0_4arch9wavefront6targetE1EEEvSK_.uses_vcc, 0
	.set _ZN7rocprim17ROCPRIM_400000_NS6detail17trampoline_kernelINS0_14default_configENS1_36segmented_radix_sort_config_selectorIhlEEZNS1_25segmented_radix_sort_implIS3_Lb1EPKhPhPKlPlN2at6native12_GLOBAL__N_18offset_tEEE10hipError_tPvRmT1_PNSt15iterator_traitsISK_E10value_typeET2_T3_PNSL_ISQ_E10value_typeET4_jRbjT5_SW_jjP12ihipStream_tbEUlT_E2_NS1_11comp_targetILNS1_3genE8ELNS1_11target_archE1030ELNS1_3gpuE2ELNS1_3repE0EEENS1_30default_config_static_selectorELNS0_4arch9wavefront6targetE1EEEvSK_.uses_flat_scratch, 0
	.set _ZN7rocprim17ROCPRIM_400000_NS6detail17trampoline_kernelINS0_14default_configENS1_36segmented_radix_sort_config_selectorIhlEEZNS1_25segmented_radix_sort_implIS3_Lb1EPKhPhPKlPlN2at6native12_GLOBAL__N_18offset_tEEE10hipError_tPvRmT1_PNSt15iterator_traitsISK_E10value_typeET2_T3_PNSL_ISQ_E10value_typeET4_jRbjT5_SW_jjP12ihipStream_tbEUlT_E2_NS1_11comp_targetILNS1_3genE8ELNS1_11target_archE1030ELNS1_3gpuE2ELNS1_3repE0EEENS1_30default_config_static_selectorELNS0_4arch9wavefront6targetE1EEEvSK_.has_dyn_sized_stack, 0
	.set _ZN7rocprim17ROCPRIM_400000_NS6detail17trampoline_kernelINS0_14default_configENS1_36segmented_radix_sort_config_selectorIhlEEZNS1_25segmented_radix_sort_implIS3_Lb1EPKhPhPKlPlN2at6native12_GLOBAL__N_18offset_tEEE10hipError_tPvRmT1_PNSt15iterator_traitsISK_E10value_typeET2_T3_PNSL_ISQ_E10value_typeET4_jRbjT5_SW_jjP12ihipStream_tbEUlT_E2_NS1_11comp_targetILNS1_3genE8ELNS1_11target_archE1030ELNS1_3gpuE2ELNS1_3repE0EEENS1_30default_config_static_selectorELNS0_4arch9wavefront6targetE1EEEvSK_.has_recursion, 0
	.set _ZN7rocprim17ROCPRIM_400000_NS6detail17trampoline_kernelINS0_14default_configENS1_36segmented_radix_sort_config_selectorIhlEEZNS1_25segmented_radix_sort_implIS3_Lb1EPKhPhPKlPlN2at6native12_GLOBAL__N_18offset_tEEE10hipError_tPvRmT1_PNSt15iterator_traitsISK_E10value_typeET2_T3_PNSL_ISQ_E10value_typeET4_jRbjT5_SW_jjP12ihipStream_tbEUlT_E2_NS1_11comp_targetILNS1_3genE8ELNS1_11target_archE1030ELNS1_3gpuE2ELNS1_3repE0EEENS1_30default_config_static_selectorELNS0_4arch9wavefront6targetE1EEEvSK_.has_indirect_call, 0
	.section	.AMDGPU.csdata,"",@progbits
; Kernel info:
; codeLenInByte = 0
; TotalNumSgprs: 4
; NumVgprs: 0
; ScratchSize: 0
; MemoryBound: 0
; FloatMode: 240
; IeeeMode: 1
; LDSByteSize: 0 bytes/workgroup (compile time only)
; SGPRBlocks: 0
; VGPRBlocks: 0
; NumSGPRsForWavesPerEU: 4
; NumVGPRsForWavesPerEU: 1
; Occupancy: 10
; WaveLimiterHint : 0
; COMPUTE_PGM_RSRC2:SCRATCH_EN: 0
; COMPUTE_PGM_RSRC2:USER_SGPR: 6
; COMPUTE_PGM_RSRC2:TRAP_HANDLER: 0
; COMPUTE_PGM_RSRC2:TGID_X_EN: 1
; COMPUTE_PGM_RSRC2:TGID_Y_EN: 0
; COMPUTE_PGM_RSRC2:TGID_Z_EN: 0
; COMPUTE_PGM_RSRC2:TIDIG_COMP_CNT: 0
	.section	.text._ZN7rocprim17ROCPRIM_400000_NS6detail17trampoline_kernelINS0_13select_configILj256ELj13ELNS0_17block_load_methodE3ELS4_3ELS4_3ELNS0_20block_scan_algorithmE0ELj4294967295EEENS1_25partition_config_selectorILNS1_17partition_subalgoE4EjNS0_10empty_typeEbEEZZNS1_14partition_implILS8_4ELb0ES6_15HIP_vector_typeIjLj2EENS0_17counting_iteratorIjlEEPS9_SG_NS0_5tupleIJPjSI_NS0_16reverse_iteratorISI_EEEEENSH_IJSG_SG_SG_EEES9_SI_JZNS1_25segmented_radix_sort_implINS0_14default_configELb0EPKhPhPKlPlN2at6native12_GLOBAL__N_18offset_tEEE10hipError_tPvRmT1_PNSt15iterator_traitsIS12_E10value_typeET2_T3_PNS13_IS18_E10value_typeET4_jRbjT5_S1E_jjP12ihipStream_tbEUljE_ZNSN_ISO_Lb0ESQ_SR_ST_SU_SY_EESZ_S10_S11_S12_S16_S17_S18_S1B_S1C_jS1D_jS1E_S1E_jjS1G_bEUljE0_EEESZ_S10_S11_S18_S1C_S1E_T6_T7_T9_mT8_S1G_bDpT10_ENKUlT_T0_E_clISt17integral_constantIbLb0EES1U_EEDaS1P_S1Q_EUlS1P_E_NS1_11comp_targetILNS1_3genE0ELNS1_11target_archE4294967295ELNS1_3gpuE0ELNS1_3repE0EEENS1_30default_config_static_selectorELNS0_4arch9wavefront6targetE1EEEvS12_,"axG",@progbits,_ZN7rocprim17ROCPRIM_400000_NS6detail17trampoline_kernelINS0_13select_configILj256ELj13ELNS0_17block_load_methodE3ELS4_3ELS4_3ELNS0_20block_scan_algorithmE0ELj4294967295EEENS1_25partition_config_selectorILNS1_17partition_subalgoE4EjNS0_10empty_typeEbEEZZNS1_14partition_implILS8_4ELb0ES6_15HIP_vector_typeIjLj2EENS0_17counting_iteratorIjlEEPS9_SG_NS0_5tupleIJPjSI_NS0_16reverse_iteratorISI_EEEEENSH_IJSG_SG_SG_EEES9_SI_JZNS1_25segmented_radix_sort_implINS0_14default_configELb0EPKhPhPKlPlN2at6native12_GLOBAL__N_18offset_tEEE10hipError_tPvRmT1_PNSt15iterator_traitsIS12_E10value_typeET2_T3_PNS13_IS18_E10value_typeET4_jRbjT5_S1E_jjP12ihipStream_tbEUljE_ZNSN_ISO_Lb0ESQ_SR_ST_SU_SY_EESZ_S10_S11_S12_S16_S17_S18_S1B_S1C_jS1D_jS1E_S1E_jjS1G_bEUljE0_EEESZ_S10_S11_S18_S1C_S1E_T6_T7_T9_mT8_S1G_bDpT10_ENKUlT_T0_E_clISt17integral_constantIbLb0EES1U_EEDaS1P_S1Q_EUlS1P_E_NS1_11comp_targetILNS1_3genE0ELNS1_11target_archE4294967295ELNS1_3gpuE0ELNS1_3repE0EEENS1_30default_config_static_selectorELNS0_4arch9wavefront6targetE1EEEvS12_,comdat
	.globl	_ZN7rocprim17ROCPRIM_400000_NS6detail17trampoline_kernelINS0_13select_configILj256ELj13ELNS0_17block_load_methodE3ELS4_3ELS4_3ELNS0_20block_scan_algorithmE0ELj4294967295EEENS1_25partition_config_selectorILNS1_17partition_subalgoE4EjNS0_10empty_typeEbEEZZNS1_14partition_implILS8_4ELb0ES6_15HIP_vector_typeIjLj2EENS0_17counting_iteratorIjlEEPS9_SG_NS0_5tupleIJPjSI_NS0_16reverse_iteratorISI_EEEEENSH_IJSG_SG_SG_EEES9_SI_JZNS1_25segmented_radix_sort_implINS0_14default_configELb0EPKhPhPKlPlN2at6native12_GLOBAL__N_18offset_tEEE10hipError_tPvRmT1_PNSt15iterator_traitsIS12_E10value_typeET2_T3_PNS13_IS18_E10value_typeET4_jRbjT5_S1E_jjP12ihipStream_tbEUljE_ZNSN_ISO_Lb0ESQ_SR_ST_SU_SY_EESZ_S10_S11_S12_S16_S17_S18_S1B_S1C_jS1D_jS1E_S1E_jjS1G_bEUljE0_EEESZ_S10_S11_S18_S1C_S1E_T6_T7_T9_mT8_S1G_bDpT10_ENKUlT_T0_E_clISt17integral_constantIbLb0EES1U_EEDaS1P_S1Q_EUlS1P_E_NS1_11comp_targetILNS1_3genE0ELNS1_11target_archE4294967295ELNS1_3gpuE0ELNS1_3repE0EEENS1_30default_config_static_selectorELNS0_4arch9wavefront6targetE1EEEvS12_ ; -- Begin function _ZN7rocprim17ROCPRIM_400000_NS6detail17trampoline_kernelINS0_13select_configILj256ELj13ELNS0_17block_load_methodE3ELS4_3ELS4_3ELNS0_20block_scan_algorithmE0ELj4294967295EEENS1_25partition_config_selectorILNS1_17partition_subalgoE4EjNS0_10empty_typeEbEEZZNS1_14partition_implILS8_4ELb0ES6_15HIP_vector_typeIjLj2EENS0_17counting_iteratorIjlEEPS9_SG_NS0_5tupleIJPjSI_NS0_16reverse_iteratorISI_EEEEENSH_IJSG_SG_SG_EEES9_SI_JZNS1_25segmented_radix_sort_implINS0_14default_configELb0EPKhPhPKlPlN2at6native12_GLOBAL__N_18offset_tEEE10hipError_tPvRmT1_PNSt15iterator_traitsIS12_E10value_typeET2_T3_PNS13_IS18_E10value_typeET4_jRbjT5_S1E_jjP12ihipStream_tbEUljE_ZNSN_ISO_Lb0ESQ_SR_ST_SU_SY_EESZ_S10_S11_S12_S16_S17_S18_S1B_S1C_jS1D_jS1E_S1E_jjS1G_bEUljE0_EEESZ_S10_S11_S18_S1C_S1E_T6_T7_T9_mT8_S1G_bDpT10_ENKUlT_T0_E_clISt17integral_constantIbLb0EES1U_EEDaS1P_S1Q_EUlS1P_E_NS1_11comp_targetILNS1_3genE0ELNS1_11target_archE4294967295ELNS1_3gpuE0ELNS1_3repE0EEENS1_30default_config_static_selectorELNS0_4arch9wavefront6targetE1EEEvS12_
	.p2align	8
	.type	_ZN7rocprim17ROCPRIM_400000_NS6detail17trampoline_kernelINS0_13select_configILj256ELj13ELNS0_17block_load_methodE3ELS4_3ELS4_3ELNS0_20block_scan_algorithmE0ELj4294967295EEENS1_25partition_config_selectorILNS1_17partition_subalgoE4EjNS0_10empty_typeEbEEZZNS1_14partition_implILS8_4ELb0ES6_15HIP_vector_typeIjLj2EENS0_17counting_iteratorIjlEEPS9_SG_NS0_5tupleIJPjSI_NS0_16reverse_iteratorISI_EEEEENSH_IJSG_SG_SG_EEES9_SI_JZNS1_25segmented_radix_sort_implINS0_14default_configELb0EPKhPhPKlPlN2at6native12_GLOBAL__N_18offset_tEEE10hipError_tPvRmT1_PNSt15iterator_traitsIS12_E10value_typeET2_T3_PNS13_IS18_E10value_typeET4_jRbjT5_S1E_jjP12ihipStream_tbEUljE_ZNSN_ISO_Lb0ESQ_SR_ST_SU_SY_EESZ_S10_S11_S12_S16_S17_S18_S1B_S1C_jS1D_jS1E_S1E_jjS1G_bEUljE0_EEESZ_S10_S11_S18_S1C_S1E_T6_T7_T9_mT8_S1G_bDpT10_ENKUlT_T0_E_clISt17integral_constantIbLb0EES1U_EEDaS1P_S1Q_EUlS1P_E_NS1_11comp_targetILNS1_3genE0ELNS1_11target_archE4294967295ELNS1_3gpuE0ELNS1_3repE0EEENS1_30default_config_static_selectorELNS0_4arch9wavefront6targetE1EEEvS12_,@function
_ZN7rocprim17ROCPRIM_400000_NS6detail17trampoline_kernelINS0_13select_configILj256ELj13ELNS0_17block_load_methodE3ELS4_3ELS4_3ELNS0_20block_scan_algorithmE0ELj4294967295EEENS1_25partition_config_selectorILNS1_17partition_subalgoE4EjNS0_10empty_typeEbEEZZNS1_14partition_implILS8_4ELb0ES6_15HIP_vector_typeIjLj2EENS0_17counting_iteratorIjlEEPS9_SG_NS0_5tupleIJPjSI_NS0_16reverse_iteratorISI_EEEEENSH_IJSG_SG_SG_EEES9_SI_JZNS1_25segmented_radix_sort_implINS0_14default_configELb0EPKhPhPKlPlN2at6native12_GLOBAL__N_18offset_tEEE10hipError_tPvRmT1_PNSt15iterator_traitsIS12_E10value_typeET2_T3_PNS13_IS18_E10value_typeET4_jRbjT5_S1E_jjP12ihipStream_tbEUljE_ZNSN_ISO_Lb0ESQ_SR_ST_SU_SY_EESZ_S10_S11_S12_S16_S17_S18_S1B_S1C_jS1D_jS1E_S1E_jjS1G_bEUljE0_EEESZ_S10_S11_S18_S1C_S1E_T6_T7_T9_mT8_S1G_bDpT10_ENKUlT_T0_E_clISt17integral_constantIbLb0EES1U_EEDaS1P_S1Q_EUlS1P_E_NS1_11comp_targetILNS1_3genE0ELNS1_11target_archE4294967295ELNS1_3gpuE0ELNS1_3repE0EEENS1_30default_config_static_selectorELNS0_4arch9wavefront6targetE1EEEvS12_: ; @_ZN7rocprim17ROCPRIM_400000_NS6detail17trampoline_kernelINS0_13select_configILj256ELj13ELNS0_17block_load_methodE3ELS4_3ELS4_3ELNS0_20block_scan_algorithmE0ELj4294967295EEENS1_25partition_config_selectorILNS1_17partition_subalgoE4EjNS0_10empty_typeEbEEZZNS1_14partition_implILS8_4ELb0ES6_15HIP_vector_typeIjLj2EENS0_17counting_iteratorIjlEEPS9_SG_NS0_5tupleIJPjSI_NS0_16reverse_iteratorISI_EEEEENSH_IJSG_SG_SG_EEES9_SI_JZNS1_25segmented_radix_sort_implINS0_14default_configELb0EPKhPhPKlPlN2at6native12_GLOBAL__N_18offset_tEEE10hipError_tPvRmT1_PNSt15iterator_traitsIS12_E10value_typeET2_T3_PNS13_IS18_E10value_typeET4_jRbjT5_S1E_jjP12ihipStream_tbEUljE_ZNSN_ISO_Lb0ESQ_SR_ST_SU_SY_EESZ_S10_S11_S12_S16_S17_S18_S1B_S1C_jS1D_jS1E_S1E_jjS1G_bEUljE0_EEESZ_S10_S11_S18_S1C_S1E_T6_T7_T9_mT8_S1G_bDpT10_ENKUlT_T0_E_clISt17integral_constantIbLb0EES1U_EEDaS1P_S1Q_EUlS1P_E_NS1_11comp_targetILNS1_3genE0ELNS1_11target_archE4294967295ELNS1_3gpuE0ELNS1_3repE0EEENS1_30default_config_static_selectorELNS0_4arch9wavefront6targetE1EEEvS12_
; %bb.0:
	.section	.rodata,"a",@progbits
	.p2align	6, 0x0
	.amdhsa_kernel _ZN7rocprim17ROCPRIM_400000_NS6detail17trampoline_kernelINS0_13select_configILj256ELj13ELNS0_17block_load_methodE3ELS4_3ELS4_3ELNS0_20block_scan_algorithmE0ELj4294967295EEENS1_25partition_config_selectorILNS1_17partition_subalgoE4EjNS0_10empty_typeEbEEZZNS1_14partition_implILS8_4ELb0ES6_15HIP_vector_typeIjLj2EENS0_17counting_iteratorIjlEEPS9_SG_NS0_5tupleIJPjSI_NS0_16reverse_iteratorISI_EEEEENSH_IJSG_SG_SG_EEES9_SI_JZNS1_25segmented_radix_sort_implINS0_14default_configELb0EPKhPhPKlPlN2at6native12_GLOBAL__N_18offset_tEEE10hipError_tPvRmT1_PNSt15iterator_traitsIS12_E10value_typeET2_T3_PNS13_IS18_E10value_typeET4_jRbjT5_S1E_jjP12ihipStream_tbEUljE_ZNSN_ISO_Lb0ESQ_SR_ST_SU_SY_EESZ_S10_S11_S12_S16_S17_S18_S1B_S1C_jS1D_jS1E_S1E_jjS1G_bEUljE0_EEESZ_S10_S11_S18_S1C_S1E_T6_T7_T9_mT8_S1G_bDpT10_ENKUlT_T0_E_clISt17integral_constantIbLb0EES1U_EEDaS1P_S1Q_EUlS1P_E_NS1_11comp_targetILNS1_3genE0ELNS1_11target_archE4294967295ELNS1_3gpuE0ELNS1_3repE0EEENS1_30default_config_static_selectorELNS0_4arch9wavefront6targetE1EEEvS12_
		.amdhsa_group_segment_fixed_size 0
		.amdhsa_private_segment_fixed_size 0
		.amdhsa_kernarg_size 176
		.amdhsa_user_sgpr_count 6
		.amdhsa_user_sgpr_private_segment_buffer 1
		.amdhsa_user_sgpr_dispatch_ptr 0
		.amdhsa_user_sgpr_queue_ptr 0
		.amdhsa_user_sgpr_kernarg_segment_ptr 1
		.amdhsa_user_sgpr_dispatch_id 0
		.amdhsa_user_sgpr_flat_scratch_init 0
		.amdhsa_user_sgpr_private_segment_size 0
		.amdhsa_uses_dynamic_stack 0
		.amdhsa_system_sgpr_private_segment_wavefront_offset 0
		.amdhsa_system_sgpr_workgroup_id_x 1
		.amdhsa_system_sgpr_workgroup_id_y 0
		.amdhsa_system_sgpr_workgroup_id_z 0
		.amdhsa_system_sgpr_workgroup_info 0
		.amdhsa_system_vgpr_workitem_id 0
		.amdhsa_next_free_vgpr 1
		.amdhsa_next_free_sgpr 0
		.amdhsa_reserve_vcc 0
		.amdhsa_reserve_flat_scratch 0
		.amdhsa_float_round_mode_32 0
		.amdhsa_float_round_mode_16_64 0
		.amdhsa_float_denorm_mode_32 3
		.amdhsa_float_denorm_mode_16_64 3
		.amdhsa_dx10_clamp 1
		.amdhsa_ieee_mode 1
		.amdhsa_fp16_overflow 0
		.amdhsa_exception_fp_ieee_invalid_op 0
		.amdhsa_exception_fp_denorm_src 0
		.amdhsa_exception_fp_ieee_div_zero 0
		.amdhsa_exception_fp_ieee_overflow 0
		.amdhsa_exception_fp_ieee_underflow 0
		.amdhsa_exception_fp_ieee_inexact 0
		.amdhsa_exception_int_div_zero 0
	.end_amdhsa_kernel
	.section	.text._ZN7rocprim17ROCPRIM_400000_NS6detail17trampoline_kernelINS0_13select_configILj256ELj13ELNS0_17block_load_methodE3ELS4_3ELS4_3ELNS0_20block_scan_algorithmE0ELj4294967295EEENS1_25partition_config_selectorILNS1_17partition_subalgoE4EjNS0_10empty_typeEbEEZZNS1_14partition_implILS8_4ELb0ES6_15HIP_vector_typeIjLj2EENS0_17counting_iteratorIjlEEPS9_SG_NS0_5tupleIJPjSI_NS0_16reverse_iteratorISI_EEEEENSH_IJSG_SG_SG_EEES9_SI_JZNS1_25segmented_radix_sort_implINS0_14default_configELb0EPKhPhPKlPlN2at6native12_GLOBAL__N_18offset_tEEE10hipError_tPvRmT1_PNSt15iterator_traitsIS12_E10value_typeET2_T3_PNS13_IS18_E10value_typeET4_jRbjT5_S1E_jjP12ihipStream_tbEUljE_ZNSN_ISO_Lb0ESQ_SR_ST_SU_SY_EESZ_S10_S11_S12_S16_S17_S18_S1B_S1C_jS1D_jS1E_S1E_jjS1G_bEUljE0_EEESZ_S10_S11_S18_S1C_S1E_T6_T7_T9_mT8_S1G_bDpT10_ENKUlT_T0_E_clISt17integral_constantIbLb0EES1U_EEDaS1P_S1Q_EUlS1P_E_NS1_11comp_targetILNS1_3genE0ELNS1_11target_archE4294967295ELNS1_3gpuE0ELNS1_3repE0EEENS1_30default_config_static_selectorELNS0_4arch9wavefront6targetE1EEEvS12_,"axG",@progbits,_ZN7rocprim17ROCPRIM_400000_NS6detail17trampoline_kernelINS0_13select_configILj256ELj13ELNS0_17block_load_methodE3ELS4_3ELS4_3ELNS0_20block_scan_algorithmE0ELj4294967295EEENS1_25partition_config_selectorILNS1_17partition_subalgoE4EjNS0_10empty_typeEbEEZZNS1_14partition_implILS8_4ELb0ES6_15HIP_vector_typeIjLj2EENS0_17counting_iteratorIjlEEPS9_SG_NS0_5tupleIJPjSI_NS0_16reverse_iteratorISI_EEEEENSH_IJSG_SG_SG_EEES9_SI_JZNS1_25segmented_radix_sort_implINS0_14default_configELb0EPKhPhPKlPlN2at6native12_GLOBAL__N_18offset_tEEE10hipError_tPvRmT1_PNSt15iterator_traitsIS12_E10value_typeET2_T3_PNS13_IS18_E10value_typeET4_jRbjT5_S1E_jjP12ihipStream_tbEUljE_ZNSN_ISO_Lb0ESQ_SR_ST_SU_SY_EESZ_S10_S11_S12_S16_S17_S18_S1B_S1C_jS1D_jS1E_S1E_jjS1G_bEUljE0_EEESZ_S10_S11_S18_S1C_S1E_T6_T7_T9_mT8_S1G_bDpT10_ENKUlT_T0_E_clISt17integral_constantIbLb0EES1U_EEDaS1P_S1Q_EUlS1P_E_NS1_11comp_targetILNS1_3genE0ELNS1_11target_archE4294967295ELNS1_3gpuE0ELNS1_3repE0EEENS1_30default_config_static_selectorELNS0_4arch9wavefront6targetE1EEEvS12_,comdat
.Lfunc_end122:
	.size	_ZN7rocprim17ROCPRIM_400000_NS6detail17trampoline_kernelINS0_13select_configILj256ELj13ELNS0_17block_load_methodE3ELS4_3ELS4_3ELNS0_20block_scan_algorithmE0ELj4294967295EEENS1_25partition_config_selectorILNS1_17partition_subalgoE4EjNS0_10empty_typeEbEEZZNS1_14partition_implILS8_4ELb0ES6_15HIP_vector_typeIjLj2EENS0_17counting_iteratorIjlEEPS9_SG_NS0_5tupleIJPjSI_NS0_16reverse_iteratorISI_EEEEENSH_IJSG_SG_SG_EEES9_SI_JZNS1_25segmented_radix_sort_implINS0_14default_configELb0EPKhPhPKlPlN2at6native12_GLOBAL__N_18offset_tEEE10hipError_tPvRmT1_PNSt15iterator_traitsIS12_E10value_typeET2_T3_PNS13_IS18_E10value_typeET4_jRbjT5_S1E_jjP12ihipStream_tbEUljE_ZNSN_ISO_Lb0ESQ_SR_ST_SU_SY_EESZ_S10_S11_S12_S16_S17_S18_S1B_S1C_jS1D_jS1E_S1E_jjS1G_bEUljE0_EEESZ_S10_S11_S18_S1C_S1E_T6_T7_T9_mT8_S1G_bDpT10_ENKUlT_T0_E_clISt17integral_constantIbLb0EES1U_EEDaS1P_S1Q_EUlS1P_E_NS1_11comp_targetILNS1_3genE0ELNS1_11target_archE4294967295ELNS1_3gpuE0ELNS1_3repE0EEENS1_30default_config_static_selectorELNS0_4arch9wavefront6targetE1EEEvS12_, .Lfunc_end122-_ZN7rocprim17ROCPRIM_400000_NS6detail17trampoline_kernelINS0_13select_configILj256ELj13ELNS0_17block_load_methodE3ELS4_3ELS4_3ELNS0_20block_scan_algorithmE0ELj4294967295EEENS1_25partition_config_selectorILNS1_17partition_subalgoE4EjNS0_10empty_typeEbEEZZNS1_14partition_implILS8_4ELb0ES6_15HIP_vector_typeIjLj2EENS0_17counting_iteratorIjlEEPS9_SG_NS0_5tupleIJPjSI_NS0_16reverse_iteratorISI_EEEEENSH_IJSG_SG_SG_EEES9_SI_JZNS1_25segmented_radix_sort_implINS0_14default_configELb0EPKhPhPKlPlN2at6native12_GLOBAL__N_18offset_tEEE10hipError_tPvRmT1_PNSt15iterator_traitsIS12_E10value_typeET2_T3_PNS13_IS18_E10value_typeET4_jRbjT5_S1E_jjP12ihipStream_tbEUljE_ZNSN_ISO_Lb0ESQ_SR_ST_SU_SY_EESZ_S10_S11_S12_S16_S17_S18_S1B_S1C_jS1D_jS1E_S1E_jjS1G_bEUljE0_EEESZ_S10_S11_S18_S1C_S1E_T6_T7_T9_mT8_S1G_bDpT10_ENKUlT_T0_E_clISt17integral_constantIbLb0EES1U_EEDaS1P_S1Q_EUlS1P_E_NS1_11comp_targetILNS1_3genE0ELNS1_11target_archE4294967295ELNS1_3gpuE0ELNS1_3repE0EEENS1_30default_config_static_selectorELNS0_4arch9wavefront6targetE1EEEvS12_
                                        ; -- End function
	.set _ZN7rocprim17ROCPRIM_400000_NS6detail17trampoline_kernelINS0_13select_configILj256ELj13ELNS0_17block_load_methodE3ELS4_3ELS4_3ELNS0_20block_scan_algorithmE0ELj4294967295EEENS1_25partition_config_selectorILNS1_17partition_subalgoE4EjNS0_10empty_typeEbEEZZNS1_14partition_implILS8_4ELb0ES6_15HIP_vector_typeIjLj2EENS0_17counting_iteratorIjlEEPS9_SG_NS0_5tupleIJPjSI_NS0_16reverse_iteratorISI_EEEEENSH_IJSG_SG_SG_EEES9_SI_JZNS1_25segmented_radix_sort_implINS0_14default_configELb0EPKhPhPKlPlN2at6native12_GLOBAL__N_18offset_tEEE10hipError_tPvRmT1_PNSt15iterator_traitsIS12_E10value_typeET2_T3_PNS13_IS18_E10value_typeET4_jRbjT5_S1E_jjP12ihipStream_tbEUljE_ZNSN_ISO_Lb0ESQ_SR_ST_SU_SY_EESZ_S10_S11_S12_S16_S17_S18_S1B_S1C_jS1D_jS1E_S1E_jjS1G_bEUljE0_EEESZ_S10_S11_S18_S1C_S1E_T6_T7_T9_mT8_S1G_bDpT10_ENKUlT_T0_E_clISt17integral_constantIbLb0EES1U_EEDaS1P_S1Q_EUlS1P_E_NS1_11comp_targetILNS1_3genE0ELNS1_11target_archE4294967295ELNS1_3gpuE0ELNS1_3repE0EEENS1_30default_config_static_selectorELNS0_4arch9wavefront6targetE1EEEvS12_.num_vgpr, 0
	.set _ZN7rocprim17ROCPRIM_400000_NS6detail17trampoline_kernelINS0_13select_configILj256ELj13ELNS0_17block_load_methodE3ELS4_3ELS4_3ELNS0_20block_scan_algorithmE0ELj4294967295EEENS1_25partition_config_selectorILNS1_17partition_subalgoE4EjNS0_10empty_typeEbEEZZNS1_14partition_implILS8_4ELb0ES6_15HIP_vector_typeIjLj2EENS0_17counting_iteratorIjlEEPS9_SG_NS0_5tupleIJPjSI_NS0_16reverse_iteratorISI_EEEEENSH_IJSG_SG_SG_EEES9_SI_JZNS1_25segmented_radix_sort_implINS0_14default_configELb0EPKhPhPKlPlN2at6native12_GLOBAL__N_18offset_tEEE10hipError_tPvRmT1_PNSt15iterator_traitsIS12_E10value_typeET2_T3_PNS13_IS18_E10value_typeET4_jRbjT5_S1E_jjP12ihipStream_tbEUljE_ZNSN_ISO_Lb0ESQ_SR_ST_SU_SY_EESZ_S10_S11_S12_S16_S17_S18_S1B_S1C_jS1D_jS1E_S1E_jjS1G_bEUljE0_EEESZ_S10_S11_S18_S1C_S1E_T6_T7_T9_mT8_S1G_bDpT10_ENKUlT_T0_E_clISt17integral_constantIbLb0EES1U_EEDaS1P_S1Q_EUlS1P_E_NS1_11comp_targetILNS1_3genE0ELNS1_11target_archE4294967295ELNS1_3gpuE0ELNS1_3repE0EEENS1_30default_config_static_selectorELNS0_4arch9wavefront6targetE1EEEvS12_.num_agpr, 0
	.set _ZN7rocprim17ROCPRIM_400000_NS6detail17trampoline_kernelINS0_13select_configILj256ELj13ELNS0_17block_load_methodE3ELS4_3ELS4_3ELNS0_20block_scan_algorithmE0ELj4294967295EEENS1_25partition_config_selectorILNS1_17partition_subalgoE4EjNS0_10empty_typeEbEEZZNS1_14partition_implILS8_4ELb0ES6_15HIP_vector_typeIjLj2EENS0_17counting_iteratorIjlEEPS9_SG_NS0_5tupleIJPjSI_NS0_16reverse_iteratorISI_EEEEENSH_IJSG_SG_SG_EEES9_SI_JZNS1_25segmented_radix_sort_implINS0_14default_configELb0EPKhPhPKlPlN2at6native12_GLOBAL__N_18offset_tEEE10hipError_tPvRmT1_PNSt15iterator_traitsIS12_E10value_typeET2_T3_PNS13_IS18_E10value_typeET4_jRbjT5_S1E_jjP12ihipStream_tbEUljE_ZNSN_ISO_Lb0ESQ_SR_ST_SU_SY_EESZ_S10_S11_S12_S16_S17_S18_S1B_S1C_jS1D_jS1E_S1E_jjS1G_bEUljE0_EEESZ_S10_S11_S18_S1C_S1E_T6_T7_T9_mT8_S1G_bDpT10_ENKUlT_T0_E_clISt17integral_constantIbLb0EES1U_EEDaS1P_S1Q_EUlS1P_E_NS1_11comp_targetILNS1_3genE0ELNS1_11target_archE4294967295ELNS1_3gpuE0ELNS1_3repE0EEENS1_30default_config_static_selectorELNS0_4arch9wavefront6targetE1EEEvS12_.numbered_sgpr, 0
	.set _ZN7rocprim17ROCPRIM_400000_NS6detail17trampoline_kernelINS0_13select_configILj256ELj13ELNS0_17block_load_methodE3ELS4_3ELS4_3ELNS0_20block_scan_algorithmE0ELj4294967295EEENS1_25partition_config_selectorILNS1_17partition_subalgoE4EjNS0_10empty_typeEbEEZZNS1_14partition_implILS8_4ELb0ES6_15HIP_vector_typeIjLj2EENS0_17counting_iteratorIjlEEPS9_SG_NS0_5tupleIJPjSI_NS0_16reverse_iteratorISI_EEEEENSH_IJSG_SG_SG_EEES9_SI_JZNS1_25segmented_radix_sort_implINS0_14default_configELb0EPKhPhPKlPlN2at6native12_GLOBAL__N_18offset_tEEE10hipError_tPvRmT1_PNSt15iterator_traitsIS12_E10value_typeET2_T3_PNS13_IS18_E10value_typeET4_jRbjT5_S1E_jjP12ihipStream_tbEUljE_ZNSN_ISO_Lb0ESQ_SR_ST_SU_SY_EESZ_S10_S11_S12_S16_S17_S18_S1B_S1C_jS1D_jS1E_S1E_jjS1G_bEUljE0_EEESZ_S10_S11_S18_S1C_S1E_T6_T7_T9_mT8_S1G_bDpT10_ENKUlT_T0_E_clISt17integral_constantIbLb0EES1U_EEDaS1P_S1Q_EUlS1P_E_NS1_11comp_targetILNS1_3genE0ELNS1_11target_archE4294967295ELNS1_3gpuE0ELNS1_3repE0EEENS1_30default_config_static_selectorELNS0_4arch9wavefront6targetE1EEEvS12_.num_named_barrier, 0
	.set _ZN7rocprim17ROCPRIM_400000_NS6detail17trampoline_kernelINS0_13select_configILj256ELj13ELNS0_17block_load_methodE3ELS4_3ELS4_3ELNS0_20block_scan_algorithmE0ELj4294967295EEENS1_25partition_config_selectorILNS1_17partition_subalgoE4EjNS0_10empty_typeEbEEZZNS1_14partition_implILS8_4ELb0ES6_15HIP_vector_typeIjLj2EENS0_17counting_iteratorIjlEEPS9_SG_NS0_5tupleIJPjSI_NS0_16reverse_iteratorISI_EEEEENSH_IJSG_SG_SG_EEES9_SI_JZNS1_25segmented_radix_sort_implINS0_14default_configELb0EPKhPhPKlPlN2at6native12_GLOBAL__N_18offset_tEEE10hipError_tPvRmT1_PNSt15iterator_traitsIS12_E10value_typeET2_T3_PNS13_IS18_E10value_typeET4_jRbjT5_S1E_jjP12ihipStream_tbEUljE_ZNSN_ISO_Lb0ESQ_SR_ST_SU_SY_EESZ_S10_S11_S12_S16_S17_S18_S1B_S1C_jS1D_jS1E_S1E_jjS1G_bEUljE0_EEESZ_S10_S11_S18_S1C_S1E_T6_T7_T9_mT8_S1G_bDpT10_ENKUlT_T0_E_clISt17integral_constantIbLb0EES1U_EEDaS1P_S1Q_EUlS1P_E_NS1_11comp_targetILNS1_3genE0ELNS1_11target_archE4294967295ELNS1_3gpuE0ELNS1_3repE0EEENS1_30default_config_static_selectorELNS0_4arch9wavefront6targetE1EEEvS12_.private_seg_size, 0
	.set _ZN7rocprim17ROCPRIM_400000_NS6detail17trampoline_kernelINS0_13select_configILj256ELj13ELNS0_17block_load_methodE3ELS4_3ELS4_3ELNS0_20block_scan_algorithmE0ELj4294967295EEENS1_25partition_config_selectorILNS1_17partition_subalgoE4EjNS0_10empty_typeEbEEZZNS1_14partition_implILS8_4ELb0ES6_15HIP_vector_typeIjLj2EENS0_17counting_iteratorIjlEEPS9_SG_NS0_5tupleIJPjSI_NS0_16reverse_iteratorISI_EEEEENSH_IJSG_SG_SG_EEES9_SI_JZNS1_25segmented_radix_sort_implINS0_14default_configELb0EPKhPhPKlPlN2at6native12_GLOBAL__N_18offset_tEEE10hipError_tPvRmT1_PNSt15iterator_traitsIS12_E10value_typeET2_T3_PNS13_IS18_E10value_typeET4_jRbjT5_S1E_jjP12ihipStream_tbEUljE_ZNSN_ISO_Lb0ESQ_SR_ST_SU_SY_EESZ_S10_S11_S12_S16_S17_S18_S1B_S1C_jS1D_jS1E_S1E_jjS1G_bEUljE0_EEESZ_S10_S11_S18_S1C_S1E_T6_T7_T9_mT8_S1G_bDpT10_ENKUlT_T0_E_clISt17integral_constantIbLb0EES1U_EEDaS1P_S1Q_EUlS1P_E_NS1_11comp_targetILNS1_3genE0ELNS1_11target_archE4294967295ELNS1_3gpuE0ELNS1_3repE0EEENS1_30default_config_static_selectorELNS0_4arch9wavefront6targetE1EEEvS12_.uses_vcc, 0
	.set _ZN7rocprim17ROCPRIM_400000_NS6detail17trampoline_kernelINS0_13select_configILj256ELj13ELNS0_17block_load_methodE3ELS4_3ELS4_3ELNS0_20block_scan_algorithmE0ELj4294967295EEENS1_25partition_config_selectorILNS1_17partition_subalgoE4EjNS0_10empty_typeEbEEZZNS1_14partition_implILS8_4ELb0ES6_15HIP_vector_typeIjLj2EENS0_17counting_iteratorIjlEEPS9_SG_NS0_5tupleIJPjSI_NS0_16reverse_iteratorISI_EEEEENSH_IJSG_SG_SG_EEES9_SI_JZNS1_25segmented_radix_sort_implINS0_14default_configELb0EPKhPhPKlPlN2at6native12_GLOBAL__N_18offset_tEEE10hipError_tPvRmT1_PNSt15iterator_traitsIS12_E10value_typeET2_T3_PNS13_IS18_E10value_typeET4_jRbjT5_S1E_jjP12ihipStream_tbEUljE_ZNSN_ISO_Lb0ESQ_SR_ST_SU_SY_EESZ_S10_S11_S12_S16_S17_S18_S1B_S1C_jS1D_jS1E_S1E_jjS1G_bEUljE0_EEESZ_S10_S11_S18_S1C_S1E_T6_T7_T9_mT8_S1G_bDpT10_ENKUlT_T0_E_clISt17integral_constantIbLb0EES1U_EEDaS1P_S1Q_EUlS1P_E_NS1_11comp_targetILNS1_3genE0ELNS1_11target_archE4294967295ELNS1_3gpuE0ELNS1_3repE0EEENS1_30default_config_static_selectorELNS0_4arch9wavefront6targetE1EEEvS12_.uses_flat_scratch, 0
	.set _ZN7rocprim17ROCPRIM_400000_NS6detail17trampoline_kernelINS0_13select_configILj256ELj13ELNS0_17block_load_methodE3ELS4_3ELS4_3ELNS0_20block_scan_algorithmE0ELj4294967295EEENS1_25partition_config_selectorILNS1_17partition_subalgoE4EjNS0_10empty_typeEbEEZZNS1_14partition_implILS8_4ELb0ES6_15HIP_vector_typeIjLj2EENS0_17counting_iteratorIjlEEPS9_SG_NS0_5tupleIJPjSI_NS0_16reverse_iteratorISI_EEEEENSH_IJSG_SG_SG_EEES9_SI_JZNS1_25segmented_radix_sort_implINS0_14default_configELb0EPKhPhPKlPlN2at6native12_GLOBAL__N_18offset_tEEE10hipError_tPvRmT1_PNSt15iterator_traitsIS12_E10value_typeET2_T3_PNS13_IS18_E10value_typeET4_jRbjT5_S1E_jjP12ihipStream_tbEUljE_ZNSN_ISO_Lb0ESQ_SR_ST_SU_SY_EESZ_S10_S11_S12_S16_S17_S18_S1B_S1C_jS1D_jS1E_S1E_jjS1G_bEUljE0_EEESZ_S10_S11_S18_S1C_S1E_T6_T7_T9_mT8_S1G_bDpT10_ENKUlT_T0_E_clISt17integral_constantIbLb0EES1U_EEDaS1P_S1Q_EUlS1P_E_NS1_11comp_targetILNS1_3genE0ELNS1_11target_archE4294967295ELNS1_3gpuE0ELNS1_3repE0EEENS1_30default_config_static_selectorELNS0_4arch9wavefront6targetE1EEEvS12_.has_dyn_sized_stack, 0
	.set _ZN7rocprim17ROCPRIM_400000_NS6detail17trampoline_kernelINS0_13select_configILj256ELj13ELNS0_17block_load_methodE3ELS4_3ELS4_3ELNS0_20block_scan_algorithmE0ELj4294967295EEENS1_25partition_config_selectorILNS1_17partition_subalgoE4EjNS0_10empty_typeEbEEZZNS1_14partition_implILS8_4ELb0ES6_15HIP_vector_typeIjLj2EENS0_17counting_iteratorIjlEEPS9_SG_NS0_5tupleIJPjSI_NS0_16reverse_iteratorISI_EEEEENSH_IJSG_SG_SG_EEES9_SI_JZNS1_25segmented_radix_sort_implINS0_14default_configELb0EPKhPhPKlPlN2at6native12_GLOBAL__N_18offset_tEEE10hipError_tPvRmT1_PNSt15iterator_traitsIS12_E10value_typeET2_T3_PNS13_IS18_E10value_typeET4_jRbjT5_S1E_jjP12ihipStream_tbEUljE_ZNSN_ISO_Lb0ESQ_SR_ST_SU_SY_EESZ_S10_S11_S12_S16_S17_S18_S1B_S1C_jS1D_jS1E_S1E_jjS1G_bEUljE0_EEESZ_S10_S11_S18_S1C_S1E_T6_T7_T9_mT8_S1G_bDpT10_ENKUlT_T0_E_clISt17integral_constantIbLb0EES1U_EEDaS1P_S1Q_EUlS1P_E_NS1_11comp_targetILNS1_3genE0ELNS1_11target_archE4294967295ELNS1_3gpuE0ELNS1_3repE0EEENS1_30default_config_static_selectorELNS0_4arch9wavefront6targetE1EEEvS12_.has_recursion, 0
	.set _ZN7rocprim17ROCPRIM_400000_NS6detail17trampoline_kernelINS0_13select_configILj256ELj13ELNS0_17block_load_methodE3ELS4_3ELS4_3ELNS0_20block_scan_algorithmE0ELj4294967295EEENS1_25partition_config_selectorILNS1_17partition_subalgoE4EjNS0_10empty_typeEbEEZZNS1_14partition_implILS8_4ELb0ES6_15HIP_vector_typeIjLj2EENS0_17counting_iteratorIjlEEPS9_SG_NS0_5tupleIJPjSI_NS0_16reverse_iteratorISI_EEEEENSH_IJSG_SG_SG_EEES9_SI_JZNS1_25segmented_radix_sort_implINS0_14default_configELb0EPKhPhPKlPlN2at6native12_GLOBAL__N_18offset_tEEE10hipError_tPvRmT1_PNSt15iterator_traitsIS12_E10value_typeET2_T3_PNS13_IS18_E10value_typeET4_jRbjT5_S1E_jjP12ihipStream_tbEUljE_ZNSN_ISO_Lb0ESQ_SR_ST_SU_SY_EESZ_S10_S11_S12_S16_S17_S18_S1B_S1C_jS1D_jS1E_S1E_jjS1G_bEUljE0_EEESZ_S10_S11_S18_S1C_S1E_T6_T7_T9_mT8_S1G_bDpT10_ENKUlT_T0_E_clISt17integral_constantIbLb0EES1U_EEDaS1P_S1Q_EUlS1P_E_NS1_11comp_targetILNS1_3genE0ELNS1_11target_archE4294967295ELNS1_3gpuE0ELNS1_3repE0EEENS1_30default_config_static_selectorELNS0_4arch9wavefront6targetE1EEEvS12_.has_indirect_call, 0
	.section	.AMDGPU.csdata,"",@progbits
; Kernel info:
; codeLenInByte = 0
; TotalNumSgprs: 4
; NumVgprs: 0
; ScratchSize: 0
; MemoryBound: 0
; FloatMode: 240
; IeeeMode: 1
; LDSByteSize: 0 bytes/workgroup (compile time only)
; SGPRBlocks: 0
; VGPRBlocks: 0
; NumSGPRsForWavesPerEU: 4
; NumVGPRsForWavesPerEU: 1
; Occupancy: 10
; WaveLimiterHint : 0
; COMPUTE_PGM_RSRC2:SCRATCH_EN: 0
; COMPUTE_PGM_RSRC2:USER_SGPR: 6
; COMPUTE_PGM_RSRC2:TRAP_HANDLER: 0
; COMPUTE_PGM_RSRC2:TGID_X_EN: 1
; COMPUTE_PGM_RSRC2:TGID_Y_EN: 0
; COMPUTE_PGM_RSRC2:TGID_Z_EN: 0
; COMPUTE_PGM_RSRC2:TIDIG_COMP_CNT: 0
	.section	.text._ZN7rocprim17ROCPRIM_400000_NS6detail17trampoline_kernelINS0_13select_configILj256ELj13ELNS0_17block_load_methodE3ELS4_3ELS4_3ELNS0_20block_scan_algorithmE0ELj4294967295EEENS1_25partition_config_selectorILNS1_17partition_subalgoE4EjNS0_10empty_typeEbEEZZNS1_14partition_implILS8_4ELb0ES6_15HIP_vector_typeIjLj2EENS0_17counting_iteratorIjlEEPS9_SG_NS0_5tupleIJPjSI_NS0_16reverse_iteratorISI_EEEEENSH_IJSG_SG_SG_EEES9_SI_JZNS1_25segmented_radix_sort_implINS0_14default_configELb0EPKhPhPKlPlN2at6native12_GLOBAL__N_18offset_tEEE10hipError_tPvRmT1_PNSt15iterator_traitsIS12_E10value_typeET2_T3_PNS13_IS18_E10value_typeET4_jRbjT5_S1E_jjP12ihipStream_tbEUljE_ZNSN_ISO_Lb0ESQ_SR_ST_SU_SY_EESZ_S10_S11_S12_S16_S17_S18_S1B_S1C_jS1D_jS1E_S1E_jjS1G_bEUljE0_EEESZ_S10_S11_S18_S1C_S1E_T6_T7_T9_mT8_S1G_bDpT10_ENKUlT_T0_E_clISt17integral_constantIbLb0EES1U_EEDaS1P_S1Q_EUlS1P_E_NS1_11comp_targetILNS1_3genE5ELNS1_11target_archE942ELNS1_3gpuE9ELNS1_3repE0EEENS1_30default_config_static_selectorELNS0_4arch9wavefront6targetE1EEEvS12_,"axG",@progbits,_ZN7rocprim17ROCPRIM_400000_NS6detail17trampoline_kernelINS0_13select_configILj256ELj13ELNS0_17block_load_methodE3ELS4_3ELS4_3ELNS0_20block_scan_algorithmE0ELj4294967295EEENS1_25partition_config_selectorILNS1_17partition_subalgoE4EjNS0_10empty_typeEbEEZZNS1_14partition_implILS8_4ELb0ES6_15HIP_vector_typeIjLj2EENS0_17counting_iteratorIjlEEPS9_SG_NS0_5tupleIJPjSI_NS0_16reverse_iteratorISI_EEEEENSH_IJSG_SG_SG_EEES9_SI_JZNS1_25segmented_radix_sort_implINS0_14default_configELb0EPKhPhPKlPlN2at6native12_GLOBAL__N_18offset_tEEE10hipError_tPvRmT1_PNSt15iterator_traitsIS12_E10value_typeET2_T3_PNS13_IS18_E10value_typeET4_jRbjT5_S1E_jjP12ihipStream_tbEUljE_ZNSN_ISO_Lb0ESQ_SR_ST_SU_SY_EESZ_S10_S11_S12_S16_S17_S18_S1B_S1C_jS1D_jS1E_S1E_jjS1G_bEUljE0_EEESZ_S10_S11_S18_S1C_S1E_T6_T7_T9_mT8_S1G_bDpT10_ENKUlT_T0_E_clISt17integral_constantIbLb0EES1U_EEDaS1P_S1Q_EUlS1P_E_NS1_11comp_targetILNS1_3genE5ELNS1_11target_archE942ELNS1_3gpuE9ELNS1_3repE0EEENS1_30default_config_static_selectorELNS0_4arch9wavefront6targetE1EEEvS12_,comdat
	.globl	_ZN7rocprim17ROCPRIM_400000_NS6detail17trampoline_kernelINS0_13select_configILj256ELj13ELNS0_17block_load_methodE3ELS4_3ELS4_3ELNS0_20block_scan_algorithmE0ELj4294967295EEENS1_25partition_config_selectorILNS1_17partition_subalgoE4EjNS0_10empty_typeEbEEZZNS1_14partition_implILS8_4ELb0ES6_15HIP_vector_typeIjLj2EENS0_17counting_iteratorIjlEEPS9_SG_NS0_5tupleIJPjSI_NS0_16reverse_iteratorISI_EEEEENSH_IJSG_SG_SG_EEES9_SI_JZNS1_25segmented_radix_sort_implINS0_14default_configELb0EPKhPhPKlPlN2at6native12_GLOBAL__N_18offset_tEEE10hipError_tPvRmT1_PNSt15iterator_traitsIS12_E10value_typeET2_T3_PNS13_IS18_E10value_typeET4_jRbjT5_S1E_jjP12ihipStream_tbEUljE_ZNSN_ISO_Lb0ESQ_SR_ST_SU_SY_EESZ_S10_S11_S12_S16_S17_S18_S1B_S1C_jS1D_jS1E_S1E_jjS1G_bEUljE0_EEESZ_S10_S11_S18_S1C_S1E_T6_T7_T9_mT8_S1G_bDpT10_ENKUlT_T0_E_clISt17integral_constantIbLb0EES1U_EEDaS1P_S1Q_EUlS1P_E_NS1_11comp_targetILNS1_3genE5ELNS1_11target_archE942ELNS1_3gpuE9ELNS1_3repE0EEENS1_30default_config_static_selectorELNS0_4arch9wavefront6targetE1EEEvS12_ ; -- Begin function _ZN7rocprim17ROCPRIM_400000_NS6detail17trampoline_kernelINS0_13select_configILj256ELj13ELNS0_17block_load_methodE3ELS4_3ELS4_3ELNS0_20block_scan_algorithmE0ELj4294967295EEENS1_25partition_config_selectorILNS1_17partition_subalgoE4EjNS0_10empty_typeEbEEZZNS1_14partition_implILS8_4ELb0ES6_15HIP_vector_typeIjLj2EENS0_17counting_iteratorIjlEEPS9_SG_NS0_5tupleIJPjSI_NS0_16reverse_iteratorISI_EEEEENSH_IJSG_SG_SG_EEES9_SI_JZNS1_25segmented_radix_sort_implINS0_14default_configELb0EPKhPhPKlPlN2at6native12_GLOBAL__N_18offset_tEEE10hipError_tPvRmT1_PNSt15iterator_traitsIS12_E10value_typeET2_T3_PNS13_IS18_E10value_typeET4_jRbjT5_S1E_jjP12ihipStream_tbEUljE_ZNSN_ISO_Lb0ESQ_SR_ST_SU_SY_EESZ_S10_S11_S12_S16_S17_S18_S1B_S1C_jS1D_jS1E_S1E_jjS1G_bEUljE0_EEESZ_S10_S11_S18_S1C_S1E_T6_T7_T9_mT8_S1G_bDpT10_ENKUlT_T0_E_clISt17integral_constantIbLb0EES1U_EEDaS1P_S1Q_EUlS1P_E_NS1_11comp_targetILNS1_3genE5ELNS1_11target_archE942ELNS1_3gpuE9ELNS1_3repE0EEENS1_30default_config_static_selectorELNS0_4arch9wavefront6targetE1EEEvS12_
	.p2align	8
	.type	_ZN7rocprim17ROCPRIM_400000_NS6detail17trampoline_kernelINS0_13select_configILj256ELj13ELNS0_17block_load_methodE3ELS4_3ELS4_3ELNS0_20block_scan_algorithmE0ELj4294967295EEENS1_25partition_config_selectorILNS1_17partition_subalgoE4EjNS0_10empty_typeEbEEZZNS1_14partition_implILS8_4ELb0ES6_15HIP_vector_typeIjLj2EENS0_17counting_iteratorIjlEEPS9_SG_NS0_5tupleIJPjSI_NS0_16reverse_iteratorISI_EEEEENSH_IJSG_SG_SG_EEES9_SI_JZNS1_25segmented_radix_sort_implINS0_14default_configELb0EPKhPhPKlPlN2at6native12_GLOBAL__N_18offset_tEEE10hipError_tPvRmT1_PNSt15iterator_traitsIS12_E10value_typeET2_T3_PNS13_IS18_E10value_typeET4_jRbjT5_S1E_jjP12ihipStream_tbEUljE_ZNSN_ISO_Lb0ESQ_SR_ST_SU_SY_EESZ_S10_S11_S12_S16_S17_S18_S1B_S1C_jS1D_jS1E_S1E_jjS1G_bEUljE0_EEESZ_S10_S11_S18_S1C_S1E_T6_T7_T9_mT8_S1G_bDpT10_ENKUlT_T0_E_clISt17integral_constantIbLb0EES1U_EEDaS1P_S1Q_EUlS1P_E_NS1_11comp_targetILNS1_3genE5ELNS1_11target_archE942ELNS1_3gpuE9ELNS1_3repE0EEENS1_30default_config_static_selectorELNS0_4arch9wavefront6targetE1EEEvS12_,@function
_ZN7rocprim17ROCPRIM_400000_NS6detail17trampoline_kernelINS0_13select_configILj256ELj13ELNS0_17block_load_methodE3ELS4_3ELS4_3ELNS0_20block_scan_algorithmE0ELj4294967295EEENS1_25partition_config_selectorILNS1_17partition_subalgoE4EjNS0_10empty_typeEbEEZZNS1_14partition_implILS8_4ELb0ES6_15HIP_vector_typeIjLj2EENS0_17counting_iteratorIjlEEPS9_SG_NS0_5tupleIJPjSI_NS0_16reverse_iteratorISI_EEEEENSH_IJSG_SG_SG_EEES9_SI_JZNS1_25segmented_radix_sort_implINS0_14default_configELb0EPKhPhPKlPlN2at6native12_GLOBAL__N_18offset_tEEE10hipError_tPvRmT1_PNSt15iterator_traitsIS12_E10value_typeET2_T3_PNS13_IS18_E10value_typeET4_jRbjT5_S1E_jjP12ihipStream_tbEUljE_ZNSN_ISO_Lb0ESQ_SR_ST_SU_SY_EESZ_S10_S11_S12_S16_S17_S18_S1B_S1C_jS1D_jS1E_S1E_jjS1G_bEUljE0_EEESZ_S10_S11_S18_S1C_S1E_T6_T7_T9_mT8_S1G_bDpT10_ENKUlT_T0_E_clISt17integral_constantIbLb0EES1U_EEDaS1P_S1Q_EUlS1P_E_NS1_11comp_targetILNS1_3genE5ELNS1_11target_archE942ELNS1_3gpuE9ELNS1_3repE0EEENS1_30default_config_static_selectorELNS0_4arch9wavefront6targetE1EEEvS12_: ; @_ZN7rocprim17ROCPRIM_400000_NS6detail17trampoline_kernelINS0_13select_configILj256ELj13ELNS0_17block_load_methodE3ELS4_3ELS4_3ELNS0_20block_scan_algorithmE0ELj4294967295EEENS1_25partition_config_selectorILNS1_17partition_subalgoE4EjNS0_10empty_typeEbEEZZNS1_14partition_implILS8_4ELb0ES6_15HIP_vector_typeIjLj2EENS0_17counting_iteratorIjlEEPS9_SG_NS0_5tupleIJPjSI_NS0_16reverse_iteratorISI_EEEEENSH_IJSG_SG_SG_EEES9_SI_JZNS1_25segmented_radix_sort_implINS0_14default_configELb0EPKhPhPKlPlN2at6native12_GLOBAL__N_18offset_tEEE10hipError_tPvRmT1_PNSt15iterator_traitsIS12_E10value_typeET2_T3_PNS13_IS18_E10value_typeET4_jRbjT5_S1E_jjP12ihipStream_tbEUljE_ZNSN_ISO_Lb0ESQ_SR_ST_SU_SY_EESZ_S10_S11_S12_S16_S17_S18_S1B_S1C_jS1D_jS1E_S1E_jjS1G_bEUljE0_EEESZ_S10_S11_S18_S1C_S1E_T6_T7_T9_mT8_S1G_bDpT10_ENKUlT_T0_E_clISt17integral_constantIbLb0EES1U_EEDaS1P_S1Q_EUlS1P_E_NS1_11comp_targetILNS1_3genE5ELNS1_11target_archE942ELNS1_3gpuE9ELNS1_3repE0EEENS1_30default_config_static_selectorELNS0_4arch9wavefront6targetE1EEEvS12_
; %bb.0:
	.section	.rodata,"a",@progbits
	.p2align	6, 0x0
	.amdhsa_kernel _ZN7rocprim17ROCPRIM_400000_NS6detail17trampoline_kernelINS0_13select_configILj256ELj13ELNS0_17block_load_methodE3ELS4_3ELS4_3ELNS0_20block_scan_algorithmE0ELj4294967295EEENS1_25partition_config_selectorILNS1_17partition_subalgoE4EjNS0_10empty_typeEbEEZZNS1_14partition_implILS8_4ELb0ES6_15HIP_vector_typeIjLj2EENS0_17counting_iteratorIjlEEPS9_SG_NS0_5tupleIJPjSI_NS0_16reverse_iteratorISI_EEEEENSH_IJSG_SG_SG_EEES9_SI_JZNS1_25segmented_radix_sort_implINS0_14default_configELb0EPKhPhPKlPlN2at6native12_GLOBAL__N_18offset_tEEE10hipError_tPvRmT1_PNSt15iterator_traitsIS12_E10value_typeET2_T3_PNS13_IS18_E10value_typeET4_jRbjT5_S1E_jjP12ihipStream_tbEUljE_ZNSN_ISO_Lb0ESQ_SR_ST_SU_SY_EESZ_S10_S11_S12_S16_S17_S18_S1B_S1C_jS1D_jS1E_S1E_jjS1G_bEUljE0_EEESZ_S10_S11_S18_S1C_S1E_T6_T7_T9_mT8_S1G_bDpT10_ENKUlT_T0_E_clISt17integral_constantIbLb0EES1U_EEDaS1P_S1Q_EUlS1P_E_NS1_11comp_targetILNS1_3genE5ELNS1_11target_archE942ELNS1_3gpuE9ELNS1_3repE0EEENS1_30default_config_static_selectorELNS0_4arch9wavefront6targetE1EEEvS12_
		.amdhsa_group_segment_fixed_size 0
		.amdhsa_private_segment_fixed_size 0
		.amdhsa_kernarg_size 176
		.amdhsa_user_sgpr_count 6
		.amdhsa_user_sgpr_private_segment_buffer 1
		.amdhsa_user_sgpr_dispatch_ptr 0
		.amdhsa_user_sgpr_queue_ptr 0
		.amdhsa_user_sgpr_kernarg_segment_ptr 1
		.amdhsa_user_sgpr_dispatch_id 0
		.amdhsa_user_sgpr_flat_scratch_init 0
		.amdhsa_user_sgpr_private_segment_size 0
		.amdhsa_uses_dynamic_stack 0
		.amdhsa_system_sgpr_private_segment_wavefront_offset 0
		.amdhsa_system_sgpr_workgroup_id_x 1
		.amdhsa_system_sgpr_workgroup_id_y 0
		.amdhsa_system_sgpr_workgroup_id_z 0
		.amdhsa_system_sgpr_workgroup_info 0
		.amdhsa_system_vgpr_workitem_id 0
		.amdhsa_next_free_vgpr 1
		.amdhsa_next_free_sgpr 0
		.amdhsa_reserve_vcc 0
		.amdhsa_reserve_flat_scratch 0
		.amdhsa_float_round_mode_32 0
		.amdhsa_float_round_mode_16_64 0
		.amdhsa_float_denorm_mode_32 3
		.amdhsa_float_denorm_mode_16_64 3
		.amdhsa_dx10_clamp 1
		.amdhsa_ieee_mode 1
		.amdhsa_fp16_overflow 0
		.amdhsa_exception_fp_ieee_invalid_op 0
		.amdhsa_exception_fp_denorm_src 0
		.amdhsa_exception_fp_ieee_div_zero 0
		.amdhsa_exception_fp_ieee_overflow 0
		.amdhsa_exception_fp_ieee_underflow 0
		.amdhsa_exception_fp_ieee_inexact 0
		.amdhsa_exception_int_div_zero 0
	.end_amdhsa_kernel
	.section	.text._ZN7rocprim17ROCPRIM_400000_NS6detail17trampoline_kernelINS0_13select_configILj256ELj13ELNS0_17block_load_methodE3ELS4_3ELS4_3ELNS0_20block_scan_algorithmE0ELj4294967295EEENS1_25partition_config_selectorILNS1_17partition_subalgoE4EjNS0_10empty_typeEbEEZZNS1_14partition_implILS8_4ELb0ES6_15HIP_vector_typeIjLj2EENS0_17counting_iteratorIjlEEPS9_SG_NS0_5tupleIJPjSI_NS0_16reverse_iteratorISI_EEEEENSH_IJSG_SG_SG_EEES9_SI_JZNS1_25segmented_radix_sort_implINS0_14default_configELb0EPKhPhPKlPlN2at6native12_GLOBAL__N_18offset_tEEE10hipError_tPvRmT1_PNSt15iterator_traitsIS12_E10value_typeET2_T3_PNS13_IS18_E10value_typeET4_jRbjT5_S1E_jjP12ihipStream_tbEUljE_ZNSN_ISO_Lb0ESQ_SR_ST_SU_SY_EESZ_S10_S11_S12_S16_S17_S18_S1B_S1C_jS1D_jS1E_S1E_jjS1G_bEUljE0_EEESZ_S10_S11_S18_S1C_S1E_T6_T7_T9_mT8_S1G_bDpT10_ENKUlT_T0_E_clISt17integral_constantIbLb0EES1U_EEDaS1P_S1Q_EUlS1P_E_NS1_11comp_targetILNS1_3genE5ELNS1_11target_archE942ELNS1_3gpuE9ELNS1_3repE0EEENS1_30default_config_static_selectorELNS0_4arch9wavefront6targetE1EEEvS12_,"axG",@progbits,_ZN7rocprim17ROCPRIM_400000_NS6detail17trampoline_kernelINS0_13select_configILj256ELj13ELNS0_17block_load_methodE3ELS4_3ELS4_3ELNS0_20block_scan_algorithmE0ELj4294967295EEENS1_25partition_config_selectorILNS1_17partition_subalgoE4EjNS0_10empty_typeEbEEZZNS1_14partition_implILS8_4ELb0ES6_15HIP_vector_typeIjLj2EENS0_17counting_iteratorIjlEEPS9_SG_NS0_5tupleIJPjSI_NS0_16reverse_iteratorISI_EEEEENSH_IJSG_SG_SG_EEES9_SI_JZNS1_25segmented_radix_sort_implINS0_14default_configELb0EPKhPhPKlPlN2at6native12_GLOBAL__N_18offset_tEEE10hipError_tPvRmT1_PNSt15iterator_traitsIS12_E10value_typeET2_T3_PNS13_IS18_E10value_typeET4_jRbjT5_S1E_jjP12ihipStream_tbEUljE_ZNSN_ISO_Lb0ESQ_SR_ST_SU_SY_EESZ_S10_S11_S12_S16_S17_S18_S1B_S1C_jS1D_jS1E_S1E_jjS1G_bEUljE0_EEESZ_S10_S11_S18_S1C_S1E_T6_T7_T9_mT8_S1G_bDpT10_ENKUlT_T0_E_clISt17integral_constantIbLb0EES1U_EEDaS1P_S1Q_EUlS1P_E_NS1_11comp_targetILNS1_3genE5ELNS1_11target_archE942ELNS1_3gpuE9ELNS1_3repE0EEENS1_30default_config_static_selectorELNS0_4arch9wavefront6targetE1EEEvS12_,comdat
.Lfunc_end123:
	.size	_ZN7rocprim17ROCPRIM_400000_NS6detail17trampoline_kernelINS0_13select_configILj256ELj13ELNS0_17block_load_methodE3ELS4_3ELS4_3ELNS0_20block_scan_algorithmE0ELj4294967295EEENS1_25partition_config_selectorILNS1_17partition_subalgoE4EjNS0_10empty_typeEbEEZZNS1_14partition_implILS8_4ELb0ES6_15HIP_vector_typeIjLj2EENS0_17counting_iteratorIjlEEPS9_SG_NS0_5tupleIJPjSI_NS0_16reverse_iteratorISI_EEEEENSH_IJSG_SG_SG_EEES9_SI_JZNS1_25segmented_radix_sort_implINS0_14default_configELb0EPKhPhPKlPlN2at6native12_GLOBAL__N_18offset_tEEE10hipError_tPvRmT1_PNSt15iterator_traitsIS12_E10value_typeET2_T3_PNS13_IS18_E10value_typeET4_jRbjT5_S1E_jjP12ihipStream_tbEUljE_ZNSN_ISO_Lb0ESQ_SR_ST_SU_SY_EESZ_S10_S11_S12_S16_S17_S18_S1B_S1C_jS1D_jS1E_S1E_jjS1G_bEUljE0_EEESZ_S10_S11_S18_S1C_S1E_T6_T7_T9_mT8_S1G_bDpT10_ENKUlT_T0_E_clISt17integral_constantIbLb0EES1U_EEDaS1P_S1Q_EUlS1P_E_NS1_11comp_targetILNS1_3genE5ELNS1_11target_archE942ELNS1_3gpuE9ELNS1_3repE0EEENS1_30default_config_static_selectorELNS0_4arch9wavefront6targetE1EEEvS12_, .Lfunc_end123-_ZN7rocprim17ROCPRIM_400000_NS6detail17trampoline_kernelINS0_13select_configILj256ELj13ELNS0_17block_load_methodE3ELS4_3ELS4_3ELNS0_20block_scan_algorithmE0ELj4294967295EEENS1_25partition_config_selectorILNS1_17partition_subalgoE4EjNS0_10empty_typeEbEEZZNS1_14partition_implILS8_4ELb0ES6_15HIP_vector_typeIjLj2EENS0_17counting_iteratorIjlEEPS9_SG_NS0_5tupleIJPjSI_NS0_16reverse_iteratorISI_EEEEENSH_IJSG_SG_SG_EEES9_SI_JZNS1_25segmented_radix_sort_implINS0_14default_configELb0EPKhPhPKlPlN2at6native12_GLOBAL__N_18offset_tEEE10hipError_tPvRmT1_PNSt15iterator_traitsIS12_E10value_typeET2_T3_PNS13_IS18_E10value_typeET4_jRbjT5_S1E_jjP12ihipStream_tbEUljE_ZNSN_ISO_Lb0ESQ_SR_ST_SU_SY_EESZ_S10_S11_S12_S16_S17_S18_S1B_S1C_jS1D_jS1E_S1E_jjS1G_bEUljE0_EEESZ_S10_S11_S18_S1C_S1E_T6_T7_T9_mT8_S1G_bDpT10_ENKUlT_T0_E_clISt17integral_constantIbLb0EES1U_EEDaS1P_S1Q_EUlS1P_E_NS1_11comp_targetILNS1_3genE5ELNS1_11target_archE942ELNS1_3gpuE9ELNS1_3repE0EEENS1_30default_config_static_selectorELNS0_4arch9wavefront6targetE1EEEvS12_
                                        ; -- End function
	.set _ZN7rocprim17ROCPRIM_400000_NS6detail17trampoline_kernelINS0_13select_configILj256ELj13ELNS0_17block_load_methodE3ELS4_3ELS4_3ELNS0_20block_scan_algorithmE0ELj4294967295EEENS1_25partition_config_selectorILNS1_17partition_subalgoE4EjNS0_10empty_typeEbEEZZNS1_14partition_implILS8_4ELb0ES6_15HIP_vector_typeIjLj2EENS0_17counting_iteratorIjlEEPS9_SG_NS0_5tupleIJPjSI_NS0_16reverse_iteratorISI_EEEEENSH_IJSG_SG_SG_EEES9_SI_JZNS1_25segmented_radix_sort_implINS0_14default_configELb0EPKhPhPKlPlN2at6native12_GLOBAL__N_18offset_tEEE10hipError_tPvRmT1_PNSt15iterator_traitsIS12_E10value_typeET2_T3_PNS13_IS18_E10value_typeET4_jRbjT5_S1E_jjP12ihipStream_tbEUljE_ZNSN_ISO_Lb0ESQ_SR_ST_SU_SY_EESZ_S10_S11_S12_S16_S17_S18_S1B_S1C_jS1D_jS1E_S1E_jjS1G_bEUljE0_EEESZ_S10_S11_S18_S1C_S1E_T6_T7_T9_mT8_S1G_bDpT10_ENKUlT_T0_E_clISt17integral_constantIbLb0EES1U_EEDaS1P_S1Q_EUlS1P_E_NS1_11comp_targetILNS1_3genE5ELNS1_11target_archE942ELNS1_3gpuE9ELNS1_3repE0EEENS1_30default_config_static_selectorELNS0_4arch9wavefront6targetE1EEEvS12_.num_vgpr, 0
	.set _ZN7rocprim17ROCPRIM_400000_NS6detail17trampoline_kernelINS0_13select_configILj256ELj13ELNS0_17block_load_methodE3ELS4_3ELS4_3ELNS0_20block_scan_algorithmE0ELj4294967295EEENS1_25partition_config_selectorILNS1_17partition_subalgoE4EjNS0_10empty_typeEbEEZZNS1_14partition_implILS8_4ELb0ES6_15HIP_vector_typeIjLj2EENS0_17counting_iteratorIjlEEPS9_SG_NS0_5tupleIJPjSI_NS0_16reverse_iteratorISI_EEEEENSH_IJSG_SG_SG_EEES9_SI_JZNS1_25segmented_radix_sort_implINS0_14default_configELb0EPKhPhPKlPlN2at6native12_GLOBAL__N_18offset_tEEE10hipError_tPvRmT1_PNSt15iterator_traitsIS12_E10value_typeET2_T3_PNS13_IS18_E10value_typeET4_jRbjT5_S1E_jjP12ihipStream_tbEUljE_ZNSN_ISO_Lb0ESQ_SR_ST_SU_SY_EESZ_S10_S11_S12_S16_S17_S18_S1B_S1C_jS1D_jS1E_S1E_jjS1G_bEUljE0_EEESZ_S10_S11_S18_S1C_S1E_T6_T7_T9_mT8_S1G_bDpT10_ENKUlT_T0_E_clISt17integral_constantIbLb0EES1U_EEDaS1P_S1Q_EUlS1P_E_NS1_11comp_targetILNS1_3genE5ELNS1_11target_archE942ELNS1_3gpuE9ELNS1_3repE0EEENS1_30default_config_static_selectorELNS0_4arch9wavefront6targetE1EEEvS12_.num_agpr, 0
	.set _ZN7rocprim17ROCPRIM_400000_NS6detail17trampoline_kernelINS0_13select_configILj256ELj13ELNS0_17block_load_methodE3ELS4_3ELS4_3ELNS0_20block_scan_algorithmE0ELj4294967295EEENS1_25partition_config_selectorILNS1_17partition_subalgoE4EjNS0_10empty_typeEbEEZZNS1_14partition_implILS8_4ELb0ES6_15HIP_vector_typeIjLj2EENS0_17counting_iteratorIjlEEPS9_SG_NS0_5tupleIJPjSI_NS0_16reverse_iteratorISI_EEEEENSH_IJSG_SG_SG_EEES9_SI_JZNS1_25segmented_radix_sort_implINS0_14default_configELb0EPKhPhPKlPlN2at6native12_GLOBAL__N_18offset_tEEE10hipError_tPvRmT1_PNSt15iterator_traitsIS12_E10value_typeET2_T3_PNS13_IS18_E10value_typeET4_jRbjT5_S1E_jjP12ihipStream_tbEUljE_ZNSN_ISO_Lb0ESQ_SR_ST_SU_SY_EESZ_S10_S11_S12_S16_S17_S18_S1B_S1C_jS1D_jS1E_S1E_jjS1G_bEUljE0_EEESZ_S10_S11_S18_S1C_S1E_T6_T7_T9_mT8_S1G_bDpT10_ENKUlT_T0_E_clISt17integral_constantIbLb0EES1U_EEDaS1P_S1Q_EUlS1P_E_NS1_11comp_targetILNS1_3genE5ELNS1_11target_archE942ELNS1_3gpuE9ELNS1_3repE0EEENS1_30default_config_static_selectorELNS0_4arch9wavefront6targetE1EEEvS12_.numbered_sgpr, 0
	.set _ZN7rocprim17ROCPRIM_400000_NS6detail17trampoline_kernelINS0_13select_configILj256ELj13ELNS0_17block_load_methodE3ELS4_3ELS4_3ELNS0_20block_scan_algorithmE0ELj4294967295EEENS1_25partition_config_selectorILNS1_17partition_subalgoE4EjNS0_10empty_typeEbEEZZNS1_14partition_implILS8_4ELb0ES6_15HIP_vector_typeIjLj2EENS0_17counting_iteratorIjlEEPS9_SG_NS0_5tupleIJPjSI_NS0_16reverse_iteratorISI_EEEEENSH_IJSG_SG_SG_EEES9_SI_JZNS1_25segmented_radix_sort_implINS0_14default_configELb0EPKhPhPKlPlN2at6native12_GLOBAL__N_18offset_tEEE10hipError_tPvRmT1_PNSt15iterator_traitsIS12_E10value_typeET2_T3_PNS13_IS18_E10value_typeET4_jRbjT5_S1E_jjP12ihipStream_tbEUljE_ZNSN_ISO_Lb0ESQ_SR_ST_SU_SY_EESZ_S10_S11_S12_S16_S17_S18_S1B_S1C_jS1D_jS1E_S1E_jjS1G_bEUljE0_EEESZ_S10_S11_S18_S1C_S1E_T6_T7_T9_mT8_S1G_bDpT10_ENKUlT_T0_E_clISt17integral_constantIbLb0EES1U_EEDaS1P_S1Q_EUlS1P_E_NS1_11comp_targetILNS1_3genE5ELNS1_11target_archE942ELNS1_3gpuE9ELNS1_3repE0EEENS1_30default_config_static_selectorELNS0_4arch9wavefront6targetE1EEEvS12_.num_named_barrier, 0
	.set _ZN7rocprim17ROCPRIM_400000_NS6detail17trampoline_kernelINS0_13select_configILj256ELj13ELNS0_17block_load_methodE3ELS4_3ELS4_3ELNS0_20block_scan_algorithmE0ELj4294967295EEENS1_25partition_config_selectorILNS1_17partition_subalgoE4EjNS0_10empty_typeEbEEZZNS1_14partition_implILS8_4ELb0ES6_15HIP_vector_typeIjLj2EENS0_17counting_iteratorIjlEEPS9_SG_NS0_5tupleIJPjSI_NS0_16reverse_iteratorISI_EEEEENSH_IJSG_SG_SG_EEES9_SI_JZNS1_25segmented_radix_sort_implINS0_14default_configELb0EPKhPhPKlPlN2at6native12_GLOBAL__N_18offset_tEEE10hipError_tPvRmT1_PNSt15iterator_traitsIS12_E10value_typeET2_T3_PNS13_IS18_E10value_typeET4_jRbjT5_S1E_jjP12ihipStream_tbEUljE_ZNSN_ISO_Lb0ESQ_SR_ST_SU_SY_EESZ_S10_S11_S12_S16_S17_S18_S1B_S1C_jS1D_jS1E_S1E_jjS1G_bEUljE0_EEESZ_S10_S11_S18_S1C_S1E_T6_T7_T9_mT8_S1G_bDpT10_ENKUlT_T0_E_clISt17integral_constantIbLb0EES1U_EEDaS1P_S1Q_EUlS1P_E_NS1_11comp_targetILNS1_3genE5ELNS1_11target_archE942ELNS1_3gpuE9ELNS1_3repE0EEENS1_30default_config_static_selectorELNS0_4arch9wavefront6targetE1EEEvS12_.private_seg_size, 0
	.set _ZN7rocprim17ROCPRIM_400000_NS6detail17trampoline_kernelINS0_13select_configILj256ELj13ELNS0_17block_load_methodE3ELS4_3ELS4_3ELNS0_20block_scan_algorithmE0ELj4294967295EEENS1_25partition_config_selectorILNS1_17partition_subalgoE4EjNS0_10empty_typeEbEEZZNS1_14partition_implILS8_4ELb0ES6_15HIP_vector_typeIjLj2EENS0_17counting_iteratorIjlEEPS9_SG_NS0_5tupleIJPjSI_NS0_16reverse_iteratorISI_EEEEENSH_IJSG_SG_SG_EEES9_SI_JZNS1_25segmented_radix_sort_implINS0_14default_configELb0EPKhPhPKlPlN2at6native12_GLOBAL__N_18offset_tEEE10hipError_tPvRmT1_PNSt15iterator_traitsIS12_E10value_typeET2_T3_PNS13_IS18_E10value_typeET4_jRbjT5_S1E_jjP12ihipStream_tbEUljE_ZNSN_ISO_Lb0ESQ_SR_ST_SU_SY_EESZ_S10_S11_S12_S16_S17_S18_S1B_S1C_jS1D_jS1E_S1E_jjS1G_bEUljE0_EEESZ_S10_S11_S18_S1C_S1E_T6_T7_T9_mT8_S1G_bDpT10_ENKUlT_T0_E_clISt17integral_constantIbLb0EES1U_EEDaS1P_S1Q_EUlS1P_E_NS1_11comp_targetILNS1_3genE5ELNS1_11target_archE942ELNS1_3gpuE9ELNS1_3repE0EEENS1_30default_config_static_selectorELNS0_4arch9wavefront6targetE1EEEvS12_.uses_vcc, 0
	.set _ZN7rocprim17ROCPRIM_400000_NS6detail17trampoline_kernelINS0_13select_configILj256ELj13ELNS0_17block_load_methodE3ELS4_3ELS4_3ELNS0_20block_scan_algorithmE0ELj4294967295EEENS1_25partition_config_selectorILNS1_17partition_subalgoE4EjNS0_10empty_typeEbEEZZNS1_14partition_implILS8_4ELb0ES6_15HIP_vector_typeIjLj2EENS0_17counting_iteratorIjlEEPS9_SG_NS0_5tupleIJPjSI_NS0_16reverse_iteratorISI_EEEEENSH_IJSG_SG_SG_EEES9_SI_JZNS1_25segmented_radix_sort_implINS0_14default_configELb0EPKhPhPKlPlN2at6native12_GLOBAL__N_18offset_tEEE10hipError_tPvRmT1_PNSt15iterator_traitsIS12_E10value_typeET2_T3_PNS13_IS18_E10value_typeET4_jRbjT5_S1E_jjP12ihipStream_tbEUljE_ZNSN_ISO_Lb0ESQ_SR_ST_SU_SY_EESZ_S10_S11_S12_S16_S17_S18_S1B_S1C_jS1D_jS1E_S1E_jjS1G_bEUljE0_EEESZ_S10_S11_S18_S1C_S1E_T6_T7_T9_mT8_S1G_bDpT10_ENKUlT_T0_E_clISt17integral_constantIbLb0EES1U_EEDaS1P_S1Q_EUlS1P_E_NS1_11comp_targetILNS1_3genE5ELNS1_11target_archE942ELNS1_3gpuE9ELNS1_3repE0EEENS1_30default_config_static_selectorELNS0_4arch9wavefront6targetE1EEEvS12_.uses_flat_scratch, 0
	.set _ZN7rocprim17ROCPRIM_400000_NS6detail17trampoline_kernelINS0_13select_configILj256ELj13ELNS0_17block_load_methodE3ELS4_3ELS4_3ELNS0_20block_scan_algorithmE0ELj4294967295EEENS1_25partition_config_selectorILNS1_17partition_subalgoE4EjNS0_10empty_typeEbEEZZNS1_14partition_implILS8_4ELb0ES6_15HIP_vector_typeIjLj2EENS0_17counting_iteratorIjlEEPS9_SG_NS0_5tupleIJPjSI_NS0_16reverse_iteratorISI_EEEEENSH_IJSG_SG_SG_EEES9_SI_JZNS1_25segmented_radix_sort_implINS0_14default_configELb0EPKhPhPKlPlN2at6native12_GLOBAL__N_18offset_tEEE10hipError_tPvRmT1_PNSt15iterator_traitsIS12_E10value_typeET2_T3_PNS13_IS18_E10value_typeET4_jRbjT5_S1E_jjP12ihipStream_tbEUljE_ZNSN_ISO_Lb0ESQ_SR_ST_SU_SY_EESZ_S10_S11_S12_S16_S17_S18_S1B_S1C_jS1D_jS1E_S1E_jjS1G_bEUljE0_EEESZ_S10_S11_S18_S1C_S1E_T6_T7_T9_mT8_S1G_bDpT10_ENKUlT_T0_E_clISt17integral_constantIbLb0EES1U_EEDaS1P_S1Q_EUlS1P_E_NS1_11comp_targetILNS1_3genE5ELNS1_11target_archE942ELNS1_3gpuE9ELNS1_3repE0EEENS1_30default_config_static_selectorELNS0_4arch9wavefront6targetE1EEEvS12_.has_dyn_sized_stack, 0
	.set _ZN7rocprim17ROCPRIM_400000_NS6detail17trampoline_kernelINS0_13select_configILj256ELj13ELNS0_17block_load_methodE3ELS4_3ELS4_3ELNS0_20block_scan_algorithmE0ELj4294967295EEENS1_25partition_config_selectorILNS1_17partition_subalgoE4EjNS0_10empty_typeEbEEZZNS1_14partition_implILS8_4ELb0ES6_15HIP_vector_typeIjLj2EENS0_17counting_iteratorIjlEEPS9_SG_NS0_5tupleIJPjSI_NS0_16reverse_iteratorISI_EEEEENSH_IJSG_SG_SG_EEES9_SI_JZNS1_25segmented_radix_sort_implINS0_14default_configELb0EPKhPhPKlPlN2at6native12_GLOBAL__N_18offset_tEEE10hipError_tPvRmT1_PNSt15iterator_traitsIS12_E10value_typeET2_T3_PNS13_IS18_E10value_typeET4_jRbjT5_S1E_jjP12ihipStream_tbEUljE_ZNSN_ISO_Lb0ESQ_SR_ST_SU_SY_EESZ_S10_S11_S12_S16_S17_S18_S1B_S1C_jS1D_jS1E_S1E_jjS1G_bEUljE0_EEESZ_S10_S11_S18_S1C_S1E_T6_T7_T9_mT8_S1G_bDpT10_ENKUlT_T0_E_clISt17integral_constantIbLb0EES1U_EEDaS1P_S1Q_EUlS1P_E_NS1_11comp_targetILNS1_3genE5ELNS1_11target_archE942ELNS1_3gpuE9ELNS1_3repE0EEENS1_30default_config_static_selectorELNS0_4arch9wavefront6targetE1EEEvS12_.has_recursion, 0
	.set _ZN7rocprim17ROCPRIM_400000_NS6detail17trampoline_kernelINS0_13select_configILj256ELj13ELNS0_17block_load_methodE3ELS4_3ELS4_3ELNS0_20block_scan_algorithmE0ELj4294967295EEENS1_25partition_config_selectorILNS1_17partition_subalgoE4EjNS0_10empty_typeEbEEZZNS1_14partition_implILS8_4ELb0ES6_15HIP_vector_typeIjLj2EENS0_17counting_iteratorIjlEEPS9_SG_NS0_5tupleIJPjSI_NS0_16reverse_iteratorISI_EEEEENSH_IJSG_SG_SG_EEES9_SI_JZNS1_25segmented_radix_sort_implINS0_14default_configELb0EPKhPhPKlPlN2at6native12_GLOBAL__N_18offset_tEEE10hipError_tPvRmT1_PNSt15iterator_traitsIS12_E10value_typeET2_T3_PNS13_IS18_E10value_typeET4_jRbjT5_S1E_jjP12ihipStream_tbEUljE_ZNSN_ISO_Lb0ESQ_SR_ST_SU_SY_EESZ_S10_S11_S12_S16_S17_S18_S1B_S1C_jS1D_jS1E_S1E_jjS1G_bEUljE0_EEESZ_S10_S11_S18_S1C_S1E_T6_T7_T9_mT8_S1G_bDpT10_ENKUlT_T0_E_clISt17integral_constantIbLb0EES1U_EEDaS1P_S1Q_EUlS1P_E_NS1_11comp_targetILNS1_3genE5ELNS1_11target_archE942ELNS1_3gpuE9ELNS1_3repE0EEENS1_30default_config_static_selectorELNS0_4arch9wavefront6targetE1EEEvS12_.has_indirect_call, 0
	.section	.AMDGPU.csdata,"",@progbits
; Kernel info:
; codeLenInByte = 0
; TotalNumSgprs: 4
; NumVgprs: 0
; ScratchSize: 0
; MemoryBound: 0
; FloatMode: 240
; IeeeMode: 1
; LDSByteSize: 0 bytes/workgroup (compile time only)
; SGPRBlocks: 0
; VGPRBlocks: 0
; NumSGPRsForWavesPerEU: 4
; NumVGPRsForWavesPerEU: 1
; Occupancy: 10
; WaveLimiterHint : 0
; COMPUTE_PGM_RSRC2:SCRATCH_EN: 0
; COMPUTE_PGM_RSRC2:USER_SGPR: 6
; COMPUTE_PGM_RSRC2:TRAP_HANDLER: 0
; COMPUTE_PGM_RSRC2:TGID_X_EN: 1
; COMPUTE_PGM_RSRC2:TGID_Y_EN: 0
; COMPUTE_PGM_RSRC2:TGID_Z_EN: 0
; COMPUTE_PGM_RSRC2:TIDIG_COMP_CNT: 0
	.section	.text._ZN7rocprim17ROCPRIM_400000_NS6detail17trampoline_kernelINS0_13select_configILj256ELj13ELNS0_17block_load_methodE3ELS4_3ELS4_3ELNS0_20block_scan_algorithmE0ELj4294967295EEENS1_25partition_config_selectorILNS1_17partition_subalgoE4EjNS0_10empty_typeEbEEZZNS1_14partition_implILS8_4ELb0ES6_15HIP_vector_typeIjLj2EENS0_17counting_iteratorIjlEEPS9_SG_NS0_5tupleIJPjSI_NS0_16reverse_iteratorISI_EEEEENSH_IJSG_SG_SG_EEES9_SI_JZNS1_25segmented_radix_sort_implINS0_14default_configELb0EPKhPhPKlPlN2at6native12_GLOBAL__N_18offset_tEEE10hipError_tPvRmT1_PNSt15iterator_traitsIS12_E10value_typeET2_T3_PNS13_IS18_E10value_typeET4_jRbjT5_S1E_jjP12ihipStream_tbEUljE_ZNSN_ISO_Lb0ESQ_SR_ST_SU_SY_EESZ_S10_S11_S12_S16_S17_S18_S1B_S1C_jS1D_jS1E_S1E_jjS1G_bEUljE0_EEESZ_S10_S11_S18_S1C_S1E_T6_T7_T9_mT8_S1G_bDpT10_ENKUlT_T0_E_clISt17integral_constantIbLb0EES1U_EEDaS1P_S1Q_EUlS1P_E_NS1_11comp_targetILNS1_3genE4ELNS1_11target_archE910ELNS1_3gpuE8ELNS1_3repE0EEENS1_30default_config_static_selectorELNS0_4arch9wavefront6targetE1EEEvS12_,"axG",@progbits,_ZN7rocprim17ROCPRIM_400000_NS6detail17trampoline_kernelINS0_13select_configILj256ELj13ELNS0_17block_load_methodE3ELS4_3ELS4_3ELNS0_20block_scan_algorithmE0ELj4294967295EEENS1_25partition_config_selectorILNS1_17partition_subalgoE4EjNS0_10empty_typeEbEEZZNS1_14partition_implILS8_4ELb0ES6_15HIP_vector_typeIjLj2EENS0_17counting_iteratorIjlEEPS9_SG_NS0_5tupleIJPjSI_NS0_16reverse_iteratorISI_EEEEENSH_IJSG_SG_SG_EEES9_SI_JZNS1_25segmented_radix_sort_implINS0_14default_configELb0EPKhPhPKlPlN2at6native12_GLOBAL__N_18offset_tEEE10hipError_tPvRmT1_PNSt15iterator_traitsIS12_E10value_typeET2_T3_PNS13_IS18_E10value_typeET4_jRbjT5_S1E_jjP12ihipStream_tbEUljE_ZNSN_ISO_Lb0ESQ_SR_ST_SU_SY_EESZ_S10_S11_S12_S16_S17_S18_S1B_S1C_jS1D_jS1E_S1E_jjS1G_bEUljE0_EEESZ_S10_S11_S18_S1C_S1E_T6_T7_T9_mT8_S1G_bDpT10_ENKUlT_T0_E_clISt17integral_constantIbLb0EES1U_EEDaS1P_S1Q_EUlS1P_E_NS1_11comp_targetILNS1_3genE4ELNS1_11target_archE910ELNS1_3gpuE8ELNS1_3repE0EEENS1_30default_config_static_selectorELNS0_4arch9wavefront6targetE1EEEvS12_,comdat
	.globl	_ZN7rocprim17ROCPRIM_400000_NS6detail17trampoline_kernelINS0_13select_configILj256ELj13ELNS0_17block_load_methodE3ELS4_3ELS4_3ELNS0_20block_scan_algorithmE0ELj4294967295EEENS1_25partition_config_selectorILNS1_17partition_subalgoE4EjNS0_10empty_typeEbEEZZNS1_14partition_implILS8_4ELb0ES6_15HIP_vector_typeIjLj2EENS0_17counting_iteratorIjlEEPS9_SG_NS0_5tupleIJPjSI_NS0_16reverse_iteratorISI_EEEEENSH_IJSG_SG_SG_EEES9_SI_JZNS1_25segmented_radix_sort_implINS0_14default_configELb0EPKhPhPKlPlN2at6native12_GLOBAL__N_18offset_tEEE10hipError_tPvRmT1_PNSt15iterator_traitsIS12_E10value_typeET2_T3_PNS13_IS18_E10value_typeET4_jRbjT5_S1E_jjP12ihipStream_tbEUljE_ZNSN_ISO_Lb0ESQ_SR_ST_SU_SY_EESZ_S10_S11_S12_S16_S17_S18_S1B_S1C_jS1D_jS1E_S1E_jjS1G_bEUljE0_EEESZ_S10_S11_S18_S1C_S1E_T6_T7_T9_mT8_S1G_bDpT10_ENKUlT_T0_E_clISt17integral_constantIbLb0EES1U_EEDaS1P_S1Q_EUlS1P_E_NS1_11comp_targetILNS1_3genE4ELNS1_11target_archE910ELNS1_3gpuE8ELNS1_3repE0EEENS1_30default_config_static_selectorELNS0_4arch9wavefront6targetE1EEEvS12_ ; -- Begin function _ZN7rocprim17ROCPRIM_400000_NS6detail17trampoline_kernelINS0_13select_configILj256ELj13ELNS0_17block_load_methodE3ELS4_3ELS4_3ELNS0_20block_scan_algorithmE0ELj4294967295EEENS1_25partition_config_selectorILNS1_17partition_subalgoE4EjNS0_10empty_typeEbEEZZNS1_14partition_implILS8_4ELb0ES6_15HIP_vector_typeIjLj2EENS0_17counting_iteratorIjlEEPS9_SG_NS0_5tupleIJPjSI_NS0_16reverse_iteratorISI_EEEEENSH_IJSG_SG_SG_EEES9_SI_JZNS1_25segmented_radix_sort_implINS0_14default_configELb0EPKhPhPKlPlN2at6native12_GLOBAL__N_18offset_tEEE10hipError_tPvRmT1_PNSt15iterator_traitsIS12_E10value_typeET2_T3_PNS13_IS18_E10value_typeET4_jRbjT5_S1E_jjP12ihipStream_tbEUljE_ZNSN_ISO_Lb0ESQ_SR_ST_SU_SY_EESZ_S10_S11_S12_S16_S17_S18_S1B_S1C_jS1D_jS1E_S1E_jjS1G_bEUljE0_EEESZ_S10_S11_S18_S1C_S1E_T6_T7_T9_mT8_S1G_bDpT10_ENKUlT_T0_E_clISt17integral_constantIbLb0EES1U_EEDaS1P_S1Q_EUlS1P_E_NS1_11comp_targetILNS1_3genE4ELNS1_11target_archE910ELNS1_3gpuE8ELNS1_3repE0EEENS1_30default_config_static_selectorELNS0_4arch9wavefront6targetE1EEEvS12_
	.p2align	8
	.type	_ZN7rocprim17ROCPRIM_400000_NS6detail17trampoline_kernelINS0_13select_configILj256ELj13ELNS0_17block_load_methodE3ELS4_3ELS4_3ELNS0_20block_scan_algorithmE0ELj4294967295EEENS1_25partition_config_selectorILNS1_17partition_subalgoE4EjNS0_10empty_typeEbEEZZNS1_14partition_implILS8_4ELb0ES6_15HIP_vector_typeIjLj2EENS0_17counting_iteratorIjlEEPS9_SG_NS0_5tupleIJPjSI_NS0_16reverse_iteratorISI_EEEEENSH_IJSG_SG_SG_EEES9_SI_JZNS1_25segmented_radix_sort_implINS0_14default_configELb0EPKhPhPKlPlN2at6native12_GLOBAL__N_18offset_tEEE10hipError_tPvRmT1_PNSt15iterator_traitsIS12_E10value_typeET2_T3_PNS13_IS18_E10value_typeET4_jRbjT5_S1E_jjP12ihipStream_tbEUljE_ZNSN_ISO_Lb0ESQ_SR_ST_SU_SY_EESZ_S10_S11_S12_S16_S17_S18_S1B_S1C_jS1D_jS1E_S1E_jjS1G_bEUljE0_EEESZ_S10_S11_S18_S1C_S1E_T6_T7_T9_mT8_S1G_bDpT10_ENKUlT_T0_E_clISt17integral_constantIbLb0EES1U_EEDaS1P_S1Q_EUlS1P_E_NS1_11comp_targetILNS1_3genE4ELNS1_11target_archE910ELNS1_3gpuE8ELNS1_3repE0EEENS1_30default_config_static_selectorELNS0_4arch9wavefront6targetE1EEEvS12_,@function
_ZN7rocprim17ROCPRIM_400000_NS6detail17trampoline_kernelINS0_13select_configILj256ELj13ELNS0_17block_load_methodE3ELS4_3ELS4_3ELNS0_20block_scan_algorithmE0ELj4294967295EEENS1_25partition_config_selectorILNS1_17partition_subalgoE4EjNS0_10empty_typeEbEEZZNS1_14partition_implILS8_4ELb0ES6_15HIP_vector_typeIjLj2EENS0_17counting_iteratorIjlEEPS9_SG_NS0_5tupleIJPjSI_NS0_16reverse_iteratorISI_EEEEENSH_IJSG_SG_SG_EEES9_SI_JZNS1_25segmented_radix_sort_implINS0_14default_configELb0EPKhPhPKlPlN2at6native12_GLOBAL__N_18offset_tEEE10hipError_tPvRmT1_PNSt15iterator_traitsIS12_E10value_typeET2_T3_PNS13_IS18_E10value_typeET4_jRbjT5_S1E_jjP12ihipStream_tbEUljE_ZNSN_ISO_Lb0ESQ_SR_ST_SU_SY_EESZ_S10_S11_S12_S16_S17_S18_S1B_S1C_jS1D_jS1E_S1E_jjS1G_bEUljE0_EEESZ_S10_S11_S18_S1C_S1E_T6_T7_T9_mT8_S1G_bDpT10_ENKUlT_T0_E_clISt17integral_constantIbLb0EES1U_EEDaS1P_S1Q_EUlS1P_E_NS1_11comp_targetILNS1_3genE4ELNS1_11target_archE910ELNS1_3gpuE8ELNS1_3repE0EEENS1_30default_config_static_selectorELNS0_4arch9wavefront6targetE1EEEvS12_: ; @_ZN7rocprim17ROCPRIM_400000_NS6detail17trampoline_kernelINS0_13select_configILj256ELj13ELNS0_17block_load_methodE3ELS4_3ELS4_3ELNS0_20block_scan_algorithmE0ELj4294967295EEENS1_25partition_config_selectorILNS1_17partition_subalgoE4EjNS0_10empty_typeEbEEZZNS1_14partition_implILS8_4ELb0ES6_15HIP_vector_typeIjLj2EENS0_17counting_iteratorIjlEEPS9_SG_NS0_5tupleIJPjSI_NS0_16reverse_iteratorISI_EEEEENSH_IJSG_SG_SG_EEES9_SI_JZNS1_25segmented_radix_sort_implINS0_14default_configELb0EPKhPhPKlPlN2at6native12_GLOBAL__N_18offset_tEEE10hipError_tPvRmT1_PNSt15iterator_traitsIS12_E10value_typeET2_T3_PNS13_IS18_E10value_typeET4_jRbjT5_S1E_jjP12ihipStream_tbEUljE_ZNSN_ISO_Lb0ESQ_SR_ST_SU_SY_EESZ_S10_S11_S12_S16_S17_S18_S1B_S1C_jS1D_jS1E_S1E_jjS1G_bEUljE0_EEESZ_S10_S11_S18_S1C_S1E_T6_T7_T9_mT8_S1G_bDpT10_ENKUlT_T0_E_clISt17integral_constantIbLb0EES1U_EEDaS1P_S1Q_EUlS1P_E_NS1_11comp_targetILNS1_3genE4ELNS1_11target_archE910ELNS1_3gpuE8ELNS1_3repE0EEENS1_30default_config_static_selectorELNS0_4arch9wavefront6targetE1EEEvS12_
; %bb.0:
	.section	.rodata,"a",@progbits
	.p2align	6, 0x0
	.amdhsa_kernel _ZN7rocprim17ROCPRIM_400000_NS6detail17trampoline_kernelINS0_13select_configILj256ELj13ELNS0_17block_load_methodE3ELS4_3ELS4_3ELNS0_20block_scan_algorithmE0ELj4294967295EEENS1_25partition_config_selectorILNS1_17partition_subalgoE4EjNS0_10empty_typeEbEEZZNS1_14partition_implILS8_4ELb0ES6_15HIP_vector_typeIjLj2EENS0_17counting_iteratorIjlEEPS9_SG_NS0_5tupleIJPjSI_NS0_16reverse_iteratorISI_EEEEENSH_IJSG_SG_SG_EEES9_SI_JZNS1_25segmented_radix_sort_implINS0_14default_configELb0EPKhPhPKlPlN2at6native12_GLOBAL__N_18offset_tEEE10hipError_tPvRmT1_PNSt15iterator_traitsIS12_E10value_typeET2_T3_PNS13_IS18_E10value_typeET4_jRbjT5_S1E_jjP12ihipStream_tbEUljE_ZNSN_ISO_Lb0ESQ_SR_ST_SU_SY_EESZ_S10_S11_S12_S16_S17_S18_S1B_S1C_jS1D_jS1E_S1E_jjS1G_bEUljE0_EEESZ_S10_S11_S18_S1C_S1E_T6_T7_T9_mT8_S1G_bDpT10_ENKUlT_T0_E_clISt17integral_constantIbLb0EES1U_EEDaS1P_S1Q_EUlS1P_E_NS1_11comp_targetILNS1_3genE4ELNS1_11target_archE910ELNS1_3gpuE8ELNS1_3repE0EEENS1_30default_config_static_selectorELNS0_4arch9wavefront6targetE1EEEvS12_
		.amdhsa_group_segment_fixed_size 0
		.amdhsa_private_segment_fixed_size 0
		.amdhsa_kernarg_size 176
		.amdhsa_user_sgpr_count 6
		.amdhsa_user_sgpr_private_segment_buffer 1
		.amdhsa_user_sgpr_dispatch_ptr 0
		.amdhsa_user_sgpr_queue_ptr 0
		.amdhsa_user_sgpr_kernarg_segment_ptr 1
		.amdhsa_user_sgpr_dispatch_id 0
		.amdhsa_user_sgpr_flat_scratch_init 0
		.amdhsa_user_sgpr_private_segment_size 0
		.amdhsa_uses_dynamic_stack 0
		.amdhsa_system_sgpr_private_segment_wavefront_offset 0
		.amdhsa_system_sgpr_workgroup_id_x 1
		.amdhsa_system_sgpr_workgroup_id_y 0
		.amdhsa_system_sgpr_workgroup_id_z 0
		.amdhsa_system_sgpr_workgroup_info 0
		.amdhsa_system_vgpr_workitem_id 0
		.amdhsa_next_free_vgpr 1
		.amdhsa_next_free_sgpr 0
		.amdhsa_reserve_vcc 0
		.amdhsa_reserve_flat_scratch 0
		.amdhsa_float_round_mode_32 0
		.amdhsa_float_round_mode_16_64 0
		.amdhsa_float_denorm_mode_32 3
		.amdhsa_float_denorm_mode_16_64 3
		.amdhsa_dx10_clamp 1
		.amdhsa_ieee_mode 1
		.amdhsa_fp16_overflow 0
		.amdhsa_exception_fp_ieee_invalid_op 0
		.amdhsa_exception_fp_denorm_src 0
		.amdhsa_exception_fp_ieee_div_zero 0
		.amdhsa_exception_fp_ieee_overflow 0
		.amdhsa_exception_fp_ieee_underflow 0
		.amdhsa_exception_fp_ieee_inexact 0
		.amdhsa_exception_int_div_zero 0
	.end_amdhsa_kernel
	.section	.text._ZN7rocprim17ROCPRIM_400000_NS6detail17trampoline_kernelINS0_13select_configILj256ELj13ELNS0_17block_load_methodE3ELS4_3ELS4_3ELNS0_20block_scan_algorithmE0ELj4294967295EEENS1_25partition_config_selectorILNS1_17partition_subalgoE4EjNS0_10empty_typeEbEEZZNS1_14partition_implILS8_4ELb0ES6_15HIP_vector_typeIjLj2EENS0_17counting_iteratorIjlEEPS9_SG_NS0_5tupleIJPjSI_NS0_16reverse_iteratorISI_EEEEENSH_IJSG_SG_SG_EEES9_SI_JZNS1_25segmented_radix_sort_implINS0_14default_configELb0EPKhPhPKlPlN2at6native12_GLOBAL__N_18offset_tEEE10hipError_tPvRmT1_PNSt15iterator_traitsIS12_E10value_typeET2_T3_PNS13_IS18_E10value_typeET4_jRbjT5_S1E_jjP12ihipStream_tbEUljE_ZNSN_ISO_Lb0ESQ_SR_ST_SU_SY_EESZ_S10_S11_S12_S16_S17_S18_S1B_S1C_jS1D_jS1E_S1E_jjS1G_bEUljE0_EEESZ_S10_S11_S18_S1C_S1E_T6_T7_T9_mT8_S1G_bDpT10_ENKUlT_T0_E_clISt17integral_constantIbLb0EES1U_EEDaS1P_S1Q_EUlS1P_E_NS1_11comp_targetILNS1_3genE4ELNS1_11target_archE910ELNS1_3gpuE8ELNS1_3repE0EEENS1_30default_config_static_selectorELNS0_4arch9wavefront6targetE1EEEvS12_,"axG",@progbits,_ZN7rocprim17ROCPRIM_400000_NS6detail17trampoline_kernelINS0_13select_configILj256ELj13ELNS0_17block_load_methodE3ELS4_3ELS4_3ELNS0_20block_scan_algorithmE0ELj4294967295EEENS1_25partition_config_selectorILNS1_17partition_subalgoE4EjNS0_10empty_typeEbEEZZNS1_14partition_implILS8_4ELb0ES6_15HIP_vector_typeIjLj2EENS0_17counting_iteratorIjlEEPS9_SG_NS0_5tupleIJPjSI_NS0_16reverse_iteratorISI_EEEEENSH_IJSG_SG_SG_EEES9_SI_JZNS1_25segmented_radix_sort_implINS0_14default_configELb0EPKhPhPKlPlN2at6native12_GLOBAL__N_18offset_tEEE10hipError_tPvRmT1_PNSt15iterator_traitsIS12_E10value_typeET2_T3_PNS13_IS18_E10value_typeET4_jRbjT5_S1E_jjP12ihipStream_tbEUljE_ZNSN_ISO_Lb0ESQ_SR_ST_SU_SY_EESZ_S10_S11_S12_S16_S17_S18_S1B_S1C_jS1D_jS1E_S1E_jjS1G_bEUljE0_EEESZ_S10_S11_S18_S1C_S1E_T6_T7_T9_mT8_S1G_bDpT10_ENKUlT_T0_E_clISt17integral_constantIbLb0EES1U_EEDaS1P_S1Q_EUlS1P_E_NS1_11comp_targetILNS1_3genE4ELNS1_11target_archE910ELNS1_3gpuE8ELNS1_3repE0EEENS1_30default_config_static_selectorELNS0_4arch9wavefront6targetE1EEEvS12_,comdat
.Lfunc_end124:
	.size	_ZN7rocprim17ROCPRIM_400000_NS6detail17trampoline_kernelINS0_13select_configILj256ELj13ELNS0_17block_load_methodE3ELS4_3ELS4_3ELNS0_20block_scan_algorithmE0ELj4294967295EEENS1_25partition_config_selectorILNS1_17partition_subalgoE4EjNS0_10empty_typeEbEEZZNS1_14partition_implILS8_4ELb0ES6_15HIP_vector_typeIjLj2EENS0_17counting_iteratorIjlEEPS9_SG_NS0_5tupleIJPjSI_NS0_16reverse_iteratorISI_EEEEENSH_IJSG_SG_SG_EEES9_SI_JZNS1_25segmented_radix_sort_implINS0_14default_configELb0EPKhPhPKlPlN2at6native12_GLOBAL__N_18offset_tEEE10hipError_tPvRmT1_PNSt15iterator_traitsIS12_E10value_typeET2_T3_PNS13_IS18_E10value_typeET4_jRbjT5_S1E_jjP12ihipStream_tbEUljE_ZNSN_ISO_Lb0ESQ_SR_ST_SU_SY_EESZ_S10_S11_S12_S16_S17_S18_S1B_S1C_jS1D_jS1E_S1E_jjS1G_bEUljE0_EEESZ_S10_S11_S18_S1C_S1E_T6_T7_T9_mT8_S1G_bDpT10_ENKUlT_T0_E_clISt17integral_constantIbLb0EES1U_EEDaS1P_S1Q_EUlS1P_E_NS1_11comp_targetILNS1_3genE4ELNS1_11target_archE910ELNS1_3gpuE8ELNS1_3repE0EEENS1_30default_config_static_selectorELNS0_4arch9wavefront6targetE1EEEvS12_, .Lfunc_end124-_ZN7rocprim17ROCPRIM_400000_NS6detail17trampoline_kernelINS0_13select_configILj256ELj13ELNS0_17block_load_methodE3ELS4_3ELS4_3ELNS0_20block_scan_algorithmE0ELj4294967295EEENS1_25partition_config_selectorILNS1_17partition_subalgoE4EjNS0_10empty_typeEbEEZZNS1_14partition_implILS8_4ELb0ES6_15HIP_vector_typeIjLj2EENS0_17counting_iteratorIjlEEPS9_SG_NS0_5tupleIJPjSI_NS0_16reverse_iteratorISI_EEEEENSH_IJSG_SG_SG_EEES9_SI_JZNS1_25segmented_radix_sort_implINS0_14default_configELb0EPKhPhPKlPlN2at6native12_GLOBAL__N_18offset_tEEE10hipError_tPvRmT1_PNSt15iterator_traitsIS12_E10value_typeET2_T3_PNS13_IS18_E10value_typeET4_jRbjT5_S1E_jjP12ihipStream_tbEUljE_ZNSN_ISO_Lb0ESQ_SR_ST_SU_SY_EESZ_S10_S11_S12_S16_S17_S18_S1B_S1C_jS1D_jS1E_S1E_jjS1G_bEUljE0_EEESZ_S10_S11_S18_S1C_S1E_T6_T7_T9_mT8_S1G_bDpT10_ENKUlT_T0_E_clISt17integral_constantIbLb0EES1U_EEDaS1P_S1Q_EUlS1P_E_NS1_11comp_targetILNS1_3genE4ELNS1_11target_archE910ELNS1_3gpuE8ELNS1_3repE0EEENS1_30default_config_static_selectorELNS0_4arch9wavefront6targetE1EEEvS12_
                                        ; -- End function
	.set _ZN7rocprim17ROCPRIM_400000_NS6detail17trampoline_kernelINS0_13select_configILj256ELj13ELNS0_17block_load_methodE3ELS4_3ELS4_3ELNS0_20block_scan_algorithmE0ELj4294967295EEENS1_25partition_config_selectorILNS1_17partition_subalgoE4EjNS0_10empty_typeEbEEZZNS1_14partition_implILS8_4ELb0ES6_15HIP_vector_typeIjLj2EENS0_17counting_iteratorIjlEEPS9_SG_NS0_5tupleIJPjSI_NS0_16reverse_iteratorISI_EEEEENSH_IJSG_SG_SG_EEES9_SI_JZNS1_25segmented_radix_sort_implINS0_14default_configELb0EPKhPhPKlPlN2at6native12_GLOBAL__N_18offset_tEEE10hipError_tPvRmT1_PNSt15iterator_traitsIS12_E10value_typeET2_T3_PNS13_IS18_E10value_typeET4_jRbjT5_S1E_jjP12ihipStream_tbEUljE_ZNSN_ISO_Lb0ESQ_SR_ST_SU_SY_EESZ_S10_S11_S12_S16_S17_S18_S1B_S1C_jS1D_jS1E_S1E_jjS1G_bEUljE0_EEESZ_S10_S11_S18_S1C_S1E_T6_T7_T9_mT8_S1G_bDpT10_ENKUlT_T0_E_clISt17integral_constantIbLb0EES1U_EEDaS1P_S1Q_EUlS1P_E_NS1_11comp_targetILNS1_3genE4ELNS1_11target_archE910ELNS1_3gpuE8ELNS1_3repE0EEENS1_30default_config_static_selectorELNS0_4arch9wavefront6targetE1EEEvS12_.num_vgpr, 0
	.set _ZN7rocprim17ROCPRIM_400000_NS6detail17trampoline_kernelINS0_13select_configILj256ELj13ELNS0_17block_load_methodE3ELS4_3ELS4_3ELNS0_20block_scan_algorithmE0ELj4294967295EEENS1_25partition_config_selectorILNS1_17partition_subalgoE4EjNS0_10empty_typeEbEEZZNS1_14partition_implILS8_4ELb0ES6_15HIP_vector_typeIjLj2EENS0_17counting_iteratorIjlEEPS9_SG_NS0_5tupleIJPjSI_NS0_16reverse_iteratorISI_EEEEENSH_IJSG_SG_SG_EEES9_SI_JZNS1_25segmented_radix_sort_implINS0_14default_configELb0EPKhPhPKlPlN2at6native12_GLOBAL__N_18offset_tEEE10hipError_tPvRmT1_PNSt15iterator_traitsIS12_E10value_typeET2_T3_PNS13_IS18_E10value_typeET4_jRbjT5_S1E_jjP12ihipStream_tbEUljE_ZNSN_ISO_Lb0ESQ_SR_ST_SU_SY_EESZ_S10_S11_S12_S16_S17_S18_S1B_S1C_jS1D_jS1E_S1E_jjS1G_bEUljE0_EEESZ_S10_S11_S18_S1C_S1E_T6_T7_T9_mT8_S1G_bDpT10_ENKUlT_T0_E_clISt17integral_constantIbLb0EES1U_EEDaS1P_S1Q_EUlS1P_E_NS1_11comp_targetILNS1_3genE4ELNS1_11target_archE910ELNS1_3gpuE8ELNS1_3repE0EEENS1_30default_config_static_selectorELNS0_4arch9wavefront6targetE1EEEvS12_.num_agpr, 0
	.set _ZN7rocprim17ROCPRIM_400000_NS6detail17trampoline_kernelINS0_13select_configILj256ELj13ELNS0_17block_load_methodE3ELS4_3ELS4_3ELNS0_20block_scan_algorithmE0ELj4294967295EEENS1_25partition_config_selectorILNS1_17partition_subalgoE4EjNS0_10empty_typeEbEEZZNS1_14partition_implILS8_4ELb0ES6_15HIP_vector_typeIjLj2EENS0_17counting_iteratorIjlEEPS9_SG_NS0_5tupleIJPjSI_NS0_16reverse_iteratorISI_EEEEENSH_IJSG_SG_SG_EEES9_SI_JZNS1_25segmented_radix_sort_implINS0_14default_configELb0EPKhPhPKlPlN2at6native12_GLOBAL__N_18offset_tEEE10hipError_tPvRmT1_PNSt15iterator_traitsIS12_E10value_typeET2_T3_PNS13_IS18_E10value_typeET4_jRbjT5_S1E_jjP12ihipStream_tbEUljE_ZNSN_ISO_Lb0ESQ_SR_ST_SU_SY_EESZ_S10_S11_S12_S16_S17_S18_S1B_S1C_jS1D_jS1E_S1E_jjS1G_bEUljE0_EEESZ_S10_S11_S18_S1C_S1E_T6_T7_T9_mT8_S1G_bDpT10_ENKUlT_T0_E_clISt17integral_constantIbLb0EES1U_EEDaS1P_S1Q_EUlS1P_E_NS1_11comp_targetILNS1_3genE4ELNS1_11target_archE910ELNS1_3gpuE8ELNS1_3repE0EEENS1_30default_config_static_selectorELNS0_4arch9wavefront6targetE1EEEvS12_.numbered_sgpr, 0
	.set _ZN7rocprim17ROCPRIM_400000_NS6detail17trampoline_kernelINS0_13select_configILj256ELj13ELNS0_17block_load_methodE3ELS4_3ELS4_3ELNS0_20block_scan_algorithmE0ELj4294967295EEENS1_25partition_config_selectorILNS1_17partition_subalgoE4EjNS0_10empty_typeEbEEZZNS1_14partition_implILS8_4ELb0ES6_15HIP_vector_typeIjLj2EENS0_17counting_iteratorIjlEEPS9_SG_NS0_5tupleIJPjSI_NS0_16reverse_iteratorISI_EEEEENSH_IJSG_SG_SG_EEES9_SI_JZNS1_25segmented_radix_sort_implINS0_14default_configELb0EPKhPhPKlPlN2at6native12_GLOBAL__N_18offset_tEEE10hipError_tPvRmT1_PNSt15iterator_traitsIS12_E10value_typeET2_T3_PNS13_IS18_E10value_typeET4_jRbjT5_S1E_jjP12ihipStream_tbEUljE_ZNSN_ISO_Lb0ESQ_SR_ST_SU_SY_EESZ_S10_S11_S12_S16_S17_S18_S1B_S1C_jS1D_jS1E_S1E_jjS1G_bEUljE0_EEESZ_S10_S11_S18_S1C_S1E_T6_T7_T9_mT8_S1G_bDpT10_ENKUlT_T0_E_clISt17integral_constantIbLb0EES1U_EEDaS1P_S1Q_EUlS1P_E_NS1_11comp_targetILNS1_3genE4ELNS1_11target_archE910ELNS1_3gpuE8ELNS1_3repE0EEENS1_30default_config_static_selectorELNS0_4arch9wavefront6targetE1EEEvS12_.num_named_barrier, 0
	.set _ZN7rocprim17ROCPRIM_400000_NS6detail17trampoline_kernelINS0_13select_configILj256ELj13ELNS0_17block_load_methodE3ELS4_3ELS4_3ELNS0_20block_scan_algorithmE0ELj4294967295EEENS1_25partition_config_selectorILNS1_17partition_subalgoE4EjNS0_10empty_typeEbEEZZNS1_14partition_implILS8_4ELb0ES6_15HIP_vector_typeIjLj2EENS0_17counting_iteratorIjlEEPS9_SG_NS0_5tupleIJPjSI_NS0_16reverse_iteratorISI_EEEEENSH_IJSG_SG_SG_EEES9_SI_JZNS1_25segmented_radix_sort_implINS0_14default_configELb0EPKhPhPKlPlN2at6native12_GLOBAL__N_18offset_tEEE10hipError_tPvRmT1_PNSt15iterator_traitsIS12_E10value_typeET2_T3_PNS13_IS18_E10value_typeET4_jRbjT5_S1E_jjP12ihipStream_tbEUljE_ZNSN_ISO_Lb0ESQ_SR_ST_SU_SY_EESZ_S10_S11_S12_S16_S17_S18_S1B_S1C_jS1D_jS1E_S1E_jjS1G_bEUljE0_EEESZ_S10_S11_S18_S1C_S1E_T6_T7_T9_mT8_S1G_bDpT10_ENKUlT_T0_E_clISt17integral_constantIbLb0EES1U_EEDaS1P_S1Q_EUlS1P_E_NS1_11comp_targetILNS1_3genE4ELNS1_11target_archE910ELNS1_3gpuE8ELNS1_3repE0EEENS1_30default_config_static_selectorELNS0_4arch9wavefront6targetE1EEEvS12_.private_seg_size, 0
	.set _ZN7rocprim17ROCPRIM_400000_NS6detail17trampoline_kernelINS0_13select_configILj256ELj13ELNS0_17block_load_methodE3ELS4_3ELS4_3ELNS0_20block_scan_algorithmE0ELj4294967295EEENS1_25partition_config_selectorILNS1_17partition_subalgoE4EjNS0_10empty_typeEbEEZZNS1_14partition_implILS8_4ELb0ES6_15HIP_vector_typeIjLj2EENS0_17counting_iteratorIjlEEPS9_SG_NS0_5tupleIJPjSI_NS0_16reverse_iteratorISI_EEEEENSH_IJSG_SG_SG_EEES9_SI_JZNS1_25segmented_radix_sort_implINS0_14default_configELb0EPKhPhPKlPlN2at6native12_GLOBAL__N_18offset_tEEE10hipError_tPvRmT1_PNSt15iterator_traitsIS12_E10value_typeET2_T3_PNS13_IS18_E10value_typeET4_jRbjT5_S1E_jjP12ihipStream_tbEUljE_ZNSN_ISO_Lb0ESQ_SR_ST_SU_SY_EESZ_S10_S11_S12_S16_S17_S18_S1B_S1C_jS1D_jS1E_S1E_jjS1G_bEUljE0_EEESZ_S10_S11_S18_S1C_S1E_T6_T7_T9_mT8_S1G_bDpT10_ENKUlT_T0_E_clISt17integral_constantIbLb0EES1U_EEDaS1P_S1Q_EUlS1P_E_NS1_11comp_targetILNS1_3genE4ELNS1_11target_archE910ELNS1_3gpuE8ELNS1_3repE0EEENS1_30default_config_static_selectorELNS0_4arch9wavefront6targetE1EEEvS12_.uses_vcc, 0
	.set _ZN7rocprim17ROCPRIM_400000_NS6detail17trampoline_kernelINS0_13select_configILj256ELj13ELNS0_17block_load_methodE3ELS4_3ELS4_3ELNS0_20block_scan_algorithmE0ELj4294967295EEENS1_25partition_config_selectorILNS1_17partition_subalgoE4EjNS0_10empty_typeEbEEZZNS1_14partition_implILS8_4ELb0ES6_15HIP_vector_typeIjLj2EENS0_17counting_iteratorIjlEEPS9_SG_NS0_5tupleIJPjSI_NS0_16reverse_iteratorISI_EEEEENSH_IJSG_SG_SG_EEES9_SI_JZNS1_25segmented_radix_sort_implINS0_14default_configELb0EPKhPhPKlPlN2at6native12_GLOBAL__N_18offset_tEEE10hipError_tPvRmT1_PNSt15iterator_traitsIS12_E10value_typeET2_T3_PNS13_IS18_E10value_typeET4_jRbjT5_S1E_jjP12ihipStream_tbEUljE_ZNSN_ISO_Lb0ESQ_SR_ST_SU_SY_EESZ_S10_S11_S12_S16_S17_S18_S1B_S1C_jS1D_jS1E_S1E_jjS1G_bEUljE0_EEESZ_S10_S11_S18_S1C_S1E_T6_T7_T9_mT8_S1G_bDpT10_ENKUlT_T0_E_clISt17integral_constantIbLb0EES1U_EEDaS1P_S1Q_EUlS1P_E_NS1_11comp_targetILNS1_3genE4ELNS1_11target_archE910ELNS1_3gpuE8ELNS1_3repE0EEENS1_30default_config_static_selectorELNS0_4arch9wavefront6targetE1EEEvS12_.uses_flat_scratch, 0
	.set _ZN7rocprim17ROCPRIM_400000_NS6detail17trampoline_kernelINS0_13select_configILj256ELj13ELNS0_17block_load_methodE3ELS4_3ELS4_3ELNS0_20block_scan_algorithmE0ELj4294967295EEENS1_25partition_config_selectorILNS1_17partition_subalgoE4EjNS0_10empty_typeEbEEZZNS1_14partition_implILS8_4ELb0ES6_15HIP_vector_typeIjLj2EENS0_17counting_iteratorIjlEEPS9_SG_NS0_5tupleIJPjSI_NS0_16reverse_iteratorISI_EEEEENSH_IJSG_SG_SG_EEES9_SI_JZNS1_25segmented_radix_sort_implINS0_14default_configELb0EPKhPhPKlPlN2at6native12_GLOBAL__N_18offset_tEEE10hipError_tPvRmT1_PNSt15iterator_traitsIS12_E10value_typeET2_T3_PNS13_IS18_E10value_typeET4_jRbjT5_S1E_jjP12ihipStream_tbEUljE_ZNSN_ISO_Lb0ESQ_SR_ST_SU_SY_EESZ_S10_S11_S12_S16_S17_S18_S1B_S1C_jS1D_jS1E_S1E_jjS1G_bEUljE0_EEESZ_S10_S11_S18_S1C_S1E_T6_T7_T9_mT8_S1G_bDpT10_ENKUlT_T0_E_clISt17integral_constantIbLb0EES1U_EEDaS1P_S1Q_EUlS1P_E_NS1_11comp_targetILNS1_3genE4ELNS1_11target_archE910ELNS1_3gpuE8ELNS1_3repE0EEENS1_30default_config_static_selectorELNS0_4arch9wavefront6targetE1EEEvS12_.has_dyn_sized_stack, 0
	.set _ZN7rocprim17ROCPRIM_400000_NS6detail17trampoline_kernelINS0_13select_configILj256ELj13ELNS0_17block_load_methodE3ELS4_3ELS4_3ELNS0_20block_scan_algorithmE0ELj4294967295EEENS1_25partition_config_selectorILNS1_17partition_subalgoE4EjNS0_10empty_typeEbEEZZNS1_14partition_implILS8_4ELb0ES6_15HIP_vector_typeIjLj2EENS0_17counting_iteratorIjlEEPS9_SG_NS0_5tupleIJPjSI_NS0_16reverse_iteratorISI_EEEEENSH_IJSG_SG_SG_EEES9_SI_JZNS1_25segmented_radix_sort_implINS0_14default_configELb0EPKhPhPKlPlN2at6native12_GLOBAL__N_18offset_tEEE10hipError_tPvRmT1_PNSt15iterator_traitsIS12_E10value_typeET2_T3_PNS13_IS18_E10value_typeET4_jRbjT5_S1E_jjP12ihipStream_tbEUljE_ZNSN_ISO_Lb0ESQ_SR_ST_SU_SY_EESZ_S10_S11_S12_S16_S17_S18_S1B_S1C_jS1D_jS1E_S1E_jjS1G_bEUljE0_EEESZ_S10_S11_S18_S1C_S1E_T6_T7_T9_mT8_S1G_bDpT10_ENKUlT_T0_E_clISt17integral_constantIbLb0EES1U_EEDaS1P_S1Q_EUlS1P_E_NS1_11comp_targetILNS1_3genE4ELNS1_11target_archE910ELNS1_3gpuE8ELNS1_3repE0EEENS1_30default_config_static_selectorELNS0_4arch9wavefront6targetE1EEEvS12_.has_recursion, 0
	.set _ZN7rocprim17ROCPRIM_400000_NS6detail17trampoline_kernelINS0_13select_configILj256ELj13ELNS0_17block_load_methodE3ELS4_3ELS4_3ELNS0_20block_scan_algorithmE0ELj4294967295EEENS1_25partition_config_selectorILNS1_17partition_subalgoE4EjNS0_10empty_typeEbEEZZNS1_14partition_implILS8_4ELb0ES6_15HIP_vector_typeIjLj2EENS0_17counting_iteratorIjlEEPS9_SG_NS0_5tupleIJPjSI_NS0_16reverse_iteratorISI_EEEEENSH_IJSG_SG_SG_EEES9_SI_JZNS1_25segmented_radix_sort_implINS0_14default_configELb0EPKhPhPKlPlN2at6native12_GLOBAL__N_18offset_tEEE10hipError_tPvRmT1_PNSt15iterator_traitsIS12_E10value_typeET2_T3_PNS13_IS18_E10value_typeET4_jRbjT5_S1E_jjP12ihipStream_tbEUljE_ZNSN_ISO_Lb0ESQ_SR_ST_SU_SY_EESZ_S10_S11_S12_S16_S17_S18_S1B_S1C_jS1D_jS1E_S1E_jjS1G_bEUljE0_EEESZ_S10_S11_S18_S1C_S1E_T6_T7_T9_mT8_S1G_bDpT10_ENKUlT_T0_E_clISt17integral_constantIbLb0EES1U_EEDaS1P_S1Q_EUlS1P_E_NS1_11comp_targetILNS1_3genE4ELNS1_11target_archE910ELNS1_3gpuE8ELNS1_3repE0EEENS1_30default_config_static_selectorELNS0_4arch9wavefront6targetE1EEEvS12_.has_indirect_call, 0
	.section	.AMDGPU.csdata,"",@progbits
; Kernel info:
; codeLenInByte = 0
; TotalNumSgprs: 4
; NumVgprs: 0
; ScratchSize: 0
; MemoryBound: 0
; FloatMode: 240
; IeeeMode: 1
; LDSByteSize: 0 bytes/workgroup (compile time only)
; SGPRBlocks: 0
; VGPRBlocks: 0
; NumSGPRsForWavesPerEU: 4
; NumVGPRsForWavesPerEU: 1
; Occupancy: 10
; WaveLimiterHint : 0
; COMPUTE_PGM_RSRC2:SCRATCH_EN: 0
; COMPUTE_PGM_RSRC2:USER_SGPR: 6
; COMPUTE_PGM_RSRC2:TRAP_HANDLER: 0
; COMPUTE_PGM_RSRC2:TGID_X_EN: 1
; COMPUTE_PGM_RSRC2:TGID_Y_EN: 0
; COMPUTE_PGM_RSRC2:TGID_Z_EN: 0
; COMPUTE_PGM_RSRC2:TIDIG_COMP_CNT: 0
	.section	.text._ZN7rocprim17ROCPRIM_400000_NS6detail17trampoline_kernelINS0_13select_configILj256ELj13ELNS0_17block_load_methodE3ELS4_3ELS4_3ELNS0_20block_scan_algorithmE0ELj4294967295EEENS1_25partition_config_selectorILNS1_17partition_subalgoE4EjNS0_10empty_typeEbEEZZNS1_14partition_implILS8_4ELb0ES6_15HIP_vector_typeIjLj2EENS0_17counting_iteratorIjlEEPS9_SG_NS0_5tupleIJPjSI_NS0_16reverse_iteratorISI_EEEEENSH_IJSG_SG_SG_EEES9_SI_JZNS1_25segmented_radix_sort_implINS0_14default_configELb0EPKhPhPKlPlN2at6native12_GLOBAL__N_18offset_tEEE10hipError_tPvRmT1_PNSt15iterator_traitsIS12_E10value_typeET2_T3_PNS13_IS18_E10value_typeET4_jRbjT5_S1E_jjP12ihipStream_tbEUljE_ZNSN_ISO_Lb0ESQ_SR_ST_SU_SY_EESZ_S10_S11_S12_S16_S17_S18_S1B_S1C_jS1D_jS1E_S1E_jjS1G_bEUljE0_EEESZ_S10_S11_S18_S1C_S1E_T6_T7_T9_mT8_S1G_bDpT10_ENKUlT_T0_E_clISt17integral_constantIbLb0EES1U_EEDaS1P_S1Q_EUlS1P_E_NS1_11comp_targetILNS1_3genE3ELNS1_11target_archE908ELNS1_3gpuE7ELNS1_3repE0EEENS1_30default_config_static_selectorELNS0_4arch9wavefront6targetE1EEEvS12_,"axG",@progbits,_ZN7rocprim17ROCPRIM_400000_NS6detail17trampoline_kernelINS0_13select_configILj256ELj13ELNS0_17block_load_methodE3ELS4_3ELS4_3ELNS0_20block_scan_algorithmE0ELj4294967295EEENS1_25partition_config_selectorILNS1_17partition_subalgoE4EjNS0_10empty_typeEbEEZZNS1_14partition_implILS8_4ELb0ES6_15HIP_vector_typeIjLj2EENS0_17counting_iteratorIjlEEPS9_SG_NS0_5tupleIJPjSI_NS0_16reverse_iteratorISI_EEEEENSH_IJSG_SG_SG_EEES9_SI_JZNS1_25segmented_radix_sort_implINS0_14default_configELb0EPKhPhPKlPlN2at6native12_GLOBAL__N_18offset_tEEE10hipError_tPvRmT1_PNSt15iterator_traitsIS12_E10value_typeET2_T3_PNS13_IS18_E10value_typeET4_jRbjT5_S1E_jjP12ihipStream_tbEUljE_ZNSN_ISO_Lb0ESQ_SR_ST_SU_SY_EESZ_S10_S11_S12_S16_S17_S18_S1B_S1C_jS1D_jS1E_S1E_jjS1G_bEUljE0_EEESZ_S10_S11_S18_S1C_S1E_T6_T7_T9_mT8_S1G_bDpT10_ENKUlT_T0_E_clISt17integral_constantIbLb0EES1U_EEDaS1P_S1Q_EUlS1P_E_NS1_11comp_targetILNS1_3genE3ELNS1_11target_archE908ELNS1_3gpuE7ELNS1_3repE0EEENS1_30default_config_static_selectorELNS0_4arch9wavefront6targetE1EEEvS12_,comdat
	.globl	_ZN7rocprim17ROCPRIM_400000_NS6detail17trampoline_kernelINS0_13select_configILj256ELj13ELNS0_17block_load_methodE3ELS4_3ELS4_3ELNS0_20block_scan_algorithmE0ELj4294967295EEENS1_25partition_config_selectorILNS1_17partition_subalgoE4EjNS0_10empty_typeEbEEZZNS1_14partition_implILS8_4ELb0ES6_15HIP_vector_typeIjLj2EENS0_17counting_iteratorIjlEEPS9_SG_NS0_5tupleIJPjSI_NS0_16reverse_iteratorISI_EEEEENSH_IJSG_SG_SG_EEES9_SI_JZNS1_25segmented_radix_sort_implINS0_14default_configELb0EPKhPhPKlPlN2at6native12_GLOBAL__N_18offset_tEEE10hipError_tPvRmT1_PNSt15iterator_traitsIS12_E10value_typeET2_T3_PNS13_IS18_E10value_typeET4_jRbjT5_S1E_jjP12ihipStream_tbEUljE_ZNSN_ISO_Lb0ESQ_SR_ST_SU_SY_EESZ_S10_S11_S12_S16_S17_S18_S1B_S1C_jS1D_jS1E_S1E_jjS1G_bEUljE0_EEESZ_S10_S11_S18_S1C_S1E_T6_T7_T9_mT8_S1G_bDpT10_ENKUlT_T0_E_clISt17integral_constantIbLb0EES1U_EEDaS1P_S1Q_EUlS1P_E_NS1_11comp_targetILNS1_3genE3ELNS1_11target_archE908ELNS1_3gpuE7ELNS1_3repE0EEENS1_30default_config_static_selectorELNS0_4arch9wavefront6targetE1EEEvS12_ ; -- Begin function _ZN7rocprim17ROCPRIM_400000_NS6detail17trampoline_kernelINS0_13select_configILj256ELj13ELNS0_17block_load_methodE3ELS4_3ELS4_3ELNS0_20block_scan_algorithmE0ELj4294967295EEENS1_25partition_config_selectorILNS1_17partition_subalgoE4EjNS0_10empty_typeEbEEZZNS1_14partition_implILS8_4ELb0ES6_15HIP_vector_typeIjLj2EENS0_17counting_iteratorIjlEEPS9_SG_NS0_5tupleIJPjSI_NS0_16reverse_iteratorISI_EEEEENSH_IJSG_SG_SG_EEES9_SI_JZNS1_25segmented_radix_sort_implINS0_14default_configELb0EPKhPhPKlPlN2at6native12_GLOBAL__N_18offset_tEEE10hipError_tPvRmT1_PNSt15iterator_traitsIS12_E10value_typeET2_T3_PNS13_IS18_E10value_typeET4_jRbjT5_S1E_jjP12ihipStream_tbEUljE_ZNSN_ISO_Lb0ESQ_SR_ST_SU_SY_EESZ_S10_S11_S12_S16_S17_S18_S1B_S1C_jS1D_jS1E_S1E_jjS1G_bEUljE0_EEESZ_S10_S11_S18_S1C_S1E_T6_T7_T9_mT8_S1G_bDpT10_ENKUlT_T0_E_clISt17integral_constantIbLb0EES1U_EEDaS1P_S1Q_EUlS1P_E_NS1_11comp_targetILNS1_3genE3ELNS1_11target_archE908ELNS1_3gpuE7ELNS1_3repE0EEENS1_30default_config_static_selectorELNS0_4arch9wavefront6targetE1EEEvS12_
	.p2align	8
	.type	_ZN7rocprim17ROCPRIM_400000_NS6detail17trampoline_kernelINS0_13select_configILj256ELj13ELNS0_17block_load_methodE3ELS4_3ELS4_3ELNS0_20block_scan_algorithmE0ELj4294967295EEENS1_25partition_config_selectorILNS1_17partition_subalgoE4EjNS0_10empty_typeEbEEZZNS1_14partition_implILS8_4ELb0ES6_15HIP_vector_typeIjLj2EENS0_17counting_iteratorIjlEEPS9_SG_NS0_5tupleIJPjSI_NS0_16reverse_iteratorISI_EEEEENSH_IJSG_SG_SG_EEES9_SI_JZNS1_25segmented_radix_sort_implINS0_14default_configELb0EPKhPhPKlPlN2at6native12_GLOBAL__N_18offset_tEEE10hipError_tPvRmT1_PNSt15iterator_traitsIS12_E10value_typeET2_T3_PNS13_IS18_E10value_typeET4_jRbjT5_S1E_jjP12ihipStream_tbEUljE_ZNSN_ISO_Lb0ESQ_SR_ST_SU_SY_EESZ_S10_S11_S12_S16_S17_S18_S1B_S1C_jS1D_jS1E_S1E_jjS1G_bEUljE0_EEESZ_S10_S11_S18_S1C_S1E_T6_T7_T9_mT8_S1G_bDpT10_ENKUlT_T0_E_clISt17integral_constantIbLb0EES1U_EEDaS1P_S1Q_EUlS1P_E_NS1_11comp_targetILNS1_3genE3ELNS1_11target_archE908ELNS1_3gpuE7ELNS1_3repE0EEENS1_30default_config_static_selectorELNS0_4arch9wavefront6targetE1EEEvS12_,@function
_ZN7rocprim17ROCPRIM_400000_NS6detail17trampoline_kernelINS0_13select_configILj256ELj13ELNS0_17block_load_methodE3ELS4_3ELS4_3ELNS0_20block_scan_algorithmE0ELj4294967295EEENS1_25partition_config_selectorILNS1_17partition_subalgoE4EjNS0_10empty_typeEbEEZZNS1_14partition_implILS8_4ELb0ES6_15HIP_vector_typeIjLj2EENS0_17counting_iteratorIjlEEPS9_SG_NS0_5tupleIJPjSI_NS0_16reverse_iteratorISI_EEEEENSH_IJSG_SG_SG_EEES9_SI_JZNS1_25segmented_radix_sort_implINS0_14default_configELb0EPKhPhPKlPlN2at6native12_GLOBAL__N_18offset_tEEE10hipError_tPvRmT1_PNSt15iterator_traitsIS12_E10value_typeET2_T3_PNS13_IS18_E10value_typeET4_jRbjT5_S1E_jjP12ihipStream_tbEUljE_ZNSN_ISO_Lb0ESQ_SR_ST_SU_SY_EESZ_S10_S11_S12_S16_S17_S18_S1B_S1C_jS1D_jS1E_S1E_jjS1G_bEUljE0_EEESZ_S10_S11_S18_S1C_S1E_T6_T7_T9_mT8_S1G_bDpT10_ENKUlT_T0_E_clISt17integral_constantIbLb0EES1U_EEDaS1P_S1Q_EUlS1P_E_NS1_11comp_targetILNS1_3genE3ELNS1_11target_archE908ELNS1_3gpuE7ELNS1_3repE0EEENS1_30default_config_static_selectorELNS0_4arch9wavefront6targetE1EEEvS12_: ; @_ZN7rocprim17ROCPRIM_400000_NS6detail17trampoline_kernelINS0_13select_configILj256ELj13ELNS0_17block_load_methodE3ELS4_3ELS4_3ELNS0_20block_scan_algorithmE0ELj4294967295EEENS1_25partition_config_selectorILNS1_17partition_subalgoE4EjNS0_10empty_typeEbEEZZNS1_14partition_implILS8_4ELb0ES6_15HIP_vector_typeIjLj2EENS0_17counting_iteratorIjlEEPS9_SG_NS0_5tupleIJPjSI_NS0_16reverse_iteratorISI_EEEEENSH_IJSG_SG_SG_EEES9_SI_JZNS1_25segmented_radix_sort_implINS0_14default_configELb0EPKhPhPKlPlN2at6native12_GLOBAL__N_18offset_tEEE10hipError_tPvRmT1_PNSt15iterator_traitsIS12_E10value_typeET2_T3_PNS13_IS18_E10value_typeET4_jRbjT5_S1E_jjP12ihipStream_tbEUljE_ZNSN_ISO_Lb0ESQ_SR_ST_SU_SY_EESZ_S10_S11_S12_S16_S17_S18_S1B_S1C_jS1D_jS1E_S1E_jjS1G_bEUljE0_EEESZ_S10_S11_S18_S1C_S1E_T6_T7_T9_mT8_S1G_bDpT10_ENKUlT_T0_E_clISt17integral_constantIbLb0EES1U_EEDaS1P_S1Q_EUlS1P_E_NS1_11comp_targetILNS1_3genE3ELNS1_11target_archE908ELNS1_3gpuE7ELNS1_3repE0EEENS1_30default_config_static_selectorELNS0_4arch9wavefront6targetE1EEEvS12_
; %bb.0:
	.section	.rodata,"a",@progbits
	.p2align	6, 0x0
	.amdhsa_kernel _ZN7rocprim17ROCPRIM_400000_NS6detail17trampoline_kernelINS0_13select_configILj256ELj13ELNS0_17block_load_methodE3ELS4_3ELS4_3ELNS0_20block_scan_algorithmE0ELj4294967295EEENS1_25partition_config_selectorILNS1_17partition_subalgoE4EjNS0_10empty_typeEbEEZZNS1_14partition_implILS8_4ELb0ES6_15HIP_vector_typeIjLj2EENS0_17counting_iteratorIjlEEPS9_SG_NS0_5tupleIJPjSI_NS0_16reverse_iteratorISI_EEEEENSH_IJSG_SG_SG_EEES9_SI_JZNS1_25segmented_radix_sort_implINS0_14default_configELb0EPKhPhPKlPlN2at6native12_GLOBAL__N_18offset_tEEE10hipError_tPvRmT1_PNSt15iterator_traitsIS12_E10value_typeET2_T3_PNS13_IS18_E10value_typeET4_jRbjT5_S1E_jjP12ihipStream_tbEUljE_ZNSN_ISO_Lb0ESQ_SR_ST_SU_SY_EESZ_S10_S11_S12_S16_S17_S18_S1B_S1C_jS1D_jS1E_S1E_jjS1G_bEUljE0_EEESZ_S10_S11_S18_S1C_S1E_T6_T7_T9_mT8_S1G_bDpT10_ENKUlT_T0_E_clISt17integral_constantIbLb0EES1U_EEDaS1P_S1Q_EUlS1P_E_NS1_11comp_targetILNS1_3genE3ELNS1_11target_archE908ELNS1_3gpuE7ELNS1_3repE0EEENS1_30default_config_static_selectorELNS0_4arch9wavefront6targetE1EEEvS12_
		.amdhsa_group_segment_fixed_size 0
		.amdhsa_private_segment_fixed_size 0
		.amdhsa_kernarg_size 176
		.amdhsa_user_sgpr_count 6
		.amdhsa_user_sgpr_private_segment_buffer 1
		.amdhsa_user_sgpr_dispatch_ptr 0
		.amdhsa_user_sgpr_queue_ptr 0
		.amdhsa_user_sgpr_kernarg_segment_ptr 1
		.amdhsa_user_sgpr_dispatch_id 0
		.amdhsa_user_sgpr_flat_scratch_init 0
		.amdhsa_user_sgpr_private_segment_size 0
		.amdhsa_uses_dynamic_stack 0
		.amdhsa_system_sgpr_private_segment_wavefront_offset 0
		.amdhsa_system_sgpr_workgroup_id_x 1
		.amdhsa_system_sgpr_workgroup_id_y 0
		.amdhsa_system_sgpr_workgroup_id_z 0
		.amdhsa_system_sgpr_workgroup_info 0
		.amdhsa_system_vgpr_workitem_id 0
		.amdhsa_next_free_vgpr 1
		.amdhsa_next_free_sgpr 0
		.amdhsa_reserve_vcc 0
		.amdhsa_reserve_flat_scratch 0
		.amdhsa_float_round_mode_32 0
		.amdhsa_float_round_mode_16_64 0
		.amdhsa_float_denorm_mode_32 3
		.amdhsa_float_denorm_mode_16_64 3
		.amdhsa_dx10_clamp 1
		.amdhsa_ieee_mode 1
		.amdhsa_fp16_overflow 0
		.amdhsa_exception_fp_ieee_invalid_op 0
		.amdhsa_exception_fp_denorm_src 0
		.amdhsa_exception_fp_ieee_div_zero 0
		.amdhsa_exception_fp_ieee_overflow 0
		.amdhsa_exception_fp_ieee_underflow 0
		.amdhsa_exception_fp_ieee_inexact 0
		.amdhsa_exception_int_div_zero 0
	.end_amdhsa_kernel
	.section	.text._ZN7rocprim17ROCPRIM_400000_NS6detail17trampoline_kernelINS0_13select_configILj256ELj13ELNS0_17block_load_methodE3ELS4_3ELS4_3ELNS0_20block_scan_algorithmE0ELj4294967295EEENS1_25partition_config_selectorILNS1_17partition_subalgoE4EjNS0_10empty_typeEbEEZZNS1_14partition_implILS8_4ELb0ES6_15HIP_vector_typeIjLj2EENS0_17counting_iteratorIjlEEPS9_SG_NS0_5tupleIJPjSI_NS0_16reverse_iteratorISI_EEEEENSH_IJSG_SG_SG_EEES9_SI_JZNS1_25segmented_radix_sort_implINS0_14default_configELb0EPKhPhPKlPlN2at6native12_GLOBAL__N_18offset_tEEE10hipError_tPvRmT1_PNSt15iterator_traitsIS12_E10value_typeET2_T3_PNS13_IS18_E10value_typeET4_jRbjT5_S1E_jjP12ihipStream_tbEUljE_ZNSN_ISO_Lb0ESQ_SR_ST_SU_SY_EESZ_S10_S11_S12_S16_S17_S18_S1B_S1C_jS1D_jS1E_S1E_jjS1G_bEUljE0_EEESZ_S10_S11_S18_S1C_S1E_T6_T7_T9_mT8_S1G_bDpT10_ENKUlT_T0_E_clISt17integral_constantIbLb0EES1U_EEDaS1P_S1Q_EUlS1P_E_NS1_11comp_targetILNS1_3genE3ELNS1_11target_archE908ELNS1_3gpuE7ELNS1_3repE0EEENS1_30default_config_static_selectorELNS0_4arch9wavefront6targetE1EEEvS12_,"axG",@progbits,_ZN7rocprim17ROCPRIM_400000_NS6detail17trampoline_kernelINS0_13select_configILj256ELj13ELNS0_17block_load_methodE3ELS4_3ELS4_3ELNS0_20block_scan_algorithmE0ELj4294967295EEENS1_25partition_config_selectorILNS1_17partition_subalgoE4EjNS0_10empty_typeEbEEZZNS1_14partition_implILS8_4ELb0ES6_15HIP_vector_typeIjLj2EENS0_17counting_iteratorIjlEEPS9_SG_NS0_5tupleIJPjSI_NS0_16reverse_iteratorISI_EEEEENSH_IJSG_SG_SG_EEES9_SI_JZNS1_25segmented_radix_sort_implINS0_14default_configELb0EPKhPhPKlPlN2at6native12_GLOBAL__N_18offset_tEEE10hipError_tPvRmT1_PNSt15iterator_traitsIS12_E10value_typeET2_T3_PNS13_IS18_E10value_typeET4_jRbjT5_S1E_jjP12ihipStream_tbEUljE_ZNSN_ISO_Lb0ESQ_SR_ST_SU_SY_EESZ_S10_S11_S12_S16_S17_S18_S1B_S1C_jS1D_jS1E_S1E_jjS1G_bEUljE0_EEESZ_S10_S11_S18_S1C_S1E_T6_T7_T9_mT8_S1G_bDpT10_ENKUlT_T0_E_clISt17integral_constantIbLb0EES1U_EEDaS1P_S1Q_EUlS1P_E_NS1_11comp_targetILNS1_3genE3ELNS1_11target_archE908ELNS1_3gpuE7ELNS1_3repE0EEENS1_30default_config_static_selectorELNS0_4arch9wavefront6targetE1EEEvS12_,comdat
.Lfunc_end125:
	.size	_ZN7rocprim17ROCPRIM_400000_NS6detail17trampoline_kernelINS0_13select_configILj256ELj13ELNS0_17block_load_methodE3ELS4_3ELS4_3ELNS0_20block_scan_algorithmE0ELj4294967295EEENS1_25partition_config_selectorILNS1_17partition_subalgoE4EjNS0_10empty_typeEbEEZZNS1_14partition_implILS8_4ELb0ES6_15HIP_vector_typeIjLj2EENS0_17counting_iteratorIjlEEPS9_SG_NS0_5tupleIJPjSI_NS0_16reverse_iteratorISI_EEEEENSH_IJSG_SG_SG_EEES9_SI_JZNS1_25segmented_radix_sort_implINS0_14default_configELb0EPKhPhPKlPlN2at6native12_GLOBAL__N_18offset_tEEE10hipError_tPvRmT1_PNSt15iterator_traitsIS12_E10value_typeET2_T3_PNS13_IS18_E10value_typeET4_jRbjT5_S1E_jjP12ihipStream_tbEUljE_ZNSN_ISO_Lb0ESQ_SR_ST_SU_SY_EESZ_S10_S11_S12_S16_S17_S18_S1B_S1C_jS1D_jS1E_S1E_jjS1G_bEUljE0_EEESZ_S10_S11_S18_S1C_S1E_T6_T7_T9_mT8_S1G_bDpT10_ENKUlT_T0_E_clISt17integral_constantIbLb0EES1U_EEDaS1P_S1Q_EUlS1P_E_NS1_11comp_targetILNS1_3genE3ELNS1_11target_archE908ELNS1_3gpuE7ELNS1_3repE0EEENS1_30default_config_static_selectorELNS0_4arch9wavefront6targetE1EEEvS12_, .Lfunc_end125-_ZN7rocprim17ROCPRIM_400000_NS6detail17trampoline_kernelINS0_13select_configILj256ELj13ELNS0_17block_load_methodE3ELS4_3ELS4_3ELNS0_20block_scan_algorithmE0ELj4294967295EEENS1_25partition_config_selectorILNS1_17partition_subalgoE4EjNS0_10empty_typeEbEEZZNS1_14partition_implILS8_4ELb0ES6_15HIP_vector_typeIjLj2EENS0_17counting_iteratorIjlEEPS9_SG_NS0_5tupleIJPjSI_NS0_16reverse_iteratorISI_EEEEENSH_IJSG_SG_SG_EEES9_SI_JZNS1_25segmented_radix_sort_implINS0_14default_configELb0EPKhPhPKlPlN2at6native12_GLOBAL__N_18offset_tEEE10hipError_tPvRmT1_PNSt15iterator_traitsIS12_E10value_typeET2_T3_PNS13_IS18_E10value_typeET4_jRbjT5_S1E_jjP12ihipStream_tbEUljE_ZNSN_ISO_Lb0ESQ_SR_ST_SU_SY_EESZ_S10_S11_S12_S16_S17_S18_S1B_S1C_jS1D_jS1E_S1E_jjS1G_bEUljE0_EEESZ_S10_S11_S18_S1C_S1E_T6_T7_T9_mT8_S1G_bDpT10_ENKUlT_T0_E_clISt17integral_constantIbLb0EES1U_EEDaS1P_S1Q_EUlS1P_E_NS1_11comp_targetILNS1_3genE3ELNS1_11target_archE908ELNS1_3gpuE7ELNS1_3repE0EEENS1_30default_config_static_selectorELNS0_4arch9wavefront6targetE1EEEvS12_
                                        ; -- End function
	.set _ZN7rocprim17ROCPRIM_400000_NS6detail17trampoline_kernelINS0_13select_configILj256ELj13ELNS0_17block_load_methodE3ELS4_3ELS4_3ELNS0_20block_scan_algorithmE0ELj4294967295EEENS1_25partition_config_selectorILNS1_17partition_subalgoE4EjNS0_10empty_typeEbEEZZNS1_14partition_implILS8_4ELb0ES6_15HIP_vector_typeIjLj2EENS0_17counting_iteratorIjlEEPS9_SG_NS0_5tupleIJPjSI_NS0_16reverse_iteratorISI_EEEEENSH_IJSG_SG_SG_EEES9_SI_JZNS1_25segmented_radix_sort_implINS0_14default_configELb0EPKhPhPKlPlN2at6native12_GLOBAL__N_18offset_tEEE10hipError_tPvRmT1_PNSt15iterator_traitsIS12_E10value_typeET2_T3_PNS13_IS18_E10value_typeET4_jRbjT5_S1E_jjP12ihipStream_tbEUljE_ZNSN_ISO_Lb0ESQ_SR_ST_SU_SY_EESZ_S10_S11_S12_S16_S17_S18_S1B_S1C_jS1D_jS1E_S1E_jjS1G_bEUljE0_EEESZ_S10_S11_S18_S1C_S1E_T6_T7_T9_mT8_S1G_bDpT10_ENKUlT_T0_E_clISt17integral_constantIbLb0EES1U_EEDaS1P_S1Q_EUlS1P_E_NS1_11comp_targetILNS1_3genE3ELNS1_11target_archE908ELNS1_3gpuE7ELNS1_3repE0EEENS1_30default_config_static_selectorELNS0_4arch9wavefront6targetE1EEEvS12_.num_vgpr, 0
	.set _ZN7rocprim17ROCPRIM_400000_NS6detail17trampoline_kernelINS0_13select_configILj256ELj13ELNS0_17block_load_methodE3ELS4_3ELS4_3ELNS0_20block_scan_algorithmE0ELj4294967295EEENS1_25partition_config_selectorILNS1_17partition_subalgoE4EjNS0_10empty_typeEbEEZZNS1_14partition_implILS8_4ELb0ES6_15HIP_vector_typeIjLj2EENS0_17counting_iteratorIjlEEPS9_SG_NS0_5tupleIJPjSI_NS0_16reverse_iteratorISI_EEEEENSH_IJSG_SG_SG_EEES9_SI_JZNS1_25segmented_radix_sort_implINS0_14default_configELb0EPKhPhPKlPlN2at6native12_GLOBAL__N_18offset_tEEE10hipError_tPvRmT1_PNSt15iterator_traitsIS12_E10value_typeET2_T3_PNS13_IS18_E10value_typeET4_jRbjT5_S1E_jjP12ihipStream_tbEUljE_ZNSN_ISO_Lb0ESQ_SR_ST_SU_SY_EESZ_S10_S11_S12_S16_S17_S18_S1B_S1C_jS1D_jS1E_S1E_jjS1G_bEUljE0_EEESZ_S10_S11_S18_S1C_S1E_T6_T7_T9_mT8_S1G_bDpT10_ENKUlT_T0_E_clISt17integral_constantIbLb0EES1U_EEDaS1P_S1Q_EUlS1P_E_NS1_11comp_targetILNS1_3genE3ELNS1_11target_archE908ELNS1_3gpuE7ELNS1_3repE0EEENS1_30default_config_static_selectorELNS0_4arch9wavefront6targetE1EEEvS12_.num_agpr, 0
	.set _ZN7rocprim17ROCPRIM_400000_NS6detail17trampoline_kernelINS0_13select_configILj256ELj13ELNS0_17block_load_methodE3ELS4_3ELS4_3ELNS0_20block_scan_algorithmE0ELj4294967295EEENS1_25partition_config_selectorILNS1_17partition_subalgoE4EjNS0_10empty_typeEbEEZZNS1_14partition_implILS8_4ELb0ES6_15HIP_vector_typeIjLj2EENS0_17counting_iteratorIjlEEPS9_SG_NS0_5tupleIJPjSI_NS0_16reverse_iteratorISI_EEEEENSH_IJSG_SG_SG_EEES9_SI_JZNS1_25segmented_radix_sort_implINS0_14default_configELb0EPKhPhPKlPlN2at6native12_GLOBAL__N_18offset_tEEE10hipError_tPvRmT1_PNSt15iterator_traitsIS12_E10value_typeET2_T3_PNS13_IS18_E10value_typeET4_jRbjT5_S1E_jjP12ihipStream_tbEUljE_ZNSN_ISO_Lb0ESQ_SR_ST_SU_SY_EESZ_S10_S11_S12_S16_S17_S18_S1B_S1C_jS1D_jS1E_S1E_jjS1G_bEUljE0_EEESZ_S10_S11_S18_S1C_S1E_T6_T7_T9_mT8_S1G_bDpT10_ENKUlT_T0_E_clISt17integral_constantIbLb0EES1U_EEDaS1P_S1Q_EUlS1P_E_NS1_11comp_targetILNS1_3genE3ELNS1_11target_archE908ELNS1_3gpuE7ELNS1_3repE0EEENS1_30default_config_static_selectorELNS0_4arch9wavefront6targetE1EEEvS12_.numbered_sgpr, 0
	.set _ZN7rocprim17ROCPRIM_400000_NS6detail17trampoline_kernelINS0_13select_configILj256ELj13ELNS0_17block_load_methodE3ELS4_3ELS4_3ELNS0_20block_scan_algorithmE0ELj4294967295EEENS1_25partition_config_selectorILNS1_17partition_subalgoE4EjNS0_10empty_typeEbEEZZNS1_14partition_implILS8_4ELb0ES6_15HIP_vector_typeIjLj2EENS0_17counting_iteratorIjlEEPS9_SG_NS0_5tupleIJPjSI_NS0_16reverse_iteratorISI_EEEEENSH_IJSG_SG_SG_EEES9_SI_JZNS1_25segmented_radix_sort_implINS0_14default_configELb0EPKhPhPKlPlN2at6native12_GLOBAL__N_18offset_tEEE10hipError_tPvRmT1_PNSt15iterator_traitsIS12_E10value_typeET2_T3_PNS13_IS18_E10value_typeET4_jRbjT5_S1E_jjP12ihipStream_tbEUljE_ZNSN_ISO_Lb0ESQ_SR_ST_SU_SY_EESZ_S10_S11_S12_S16_S17_S18_S1B_S1C_jS1D_jS1E_S1E_jjS1G_bEUljE0_EEESZ_S10_S11_S18_S1C_S1E_T6_T7_T9_mT8_S1G_bDpT10_ENKUlT_T0_E_clISt17integral_constantIbLb0EES1U_EEDaS1P_S1Q_EUlS1P_E_NS1_11comp_targetILNS1_3genE3ELNS1_11target_archE908ELNS1_3gpuE7ELNS1_3repE0EEENS1_30default_config_static_selectorELNS0_4arch9wavefront6targetE1EEEvS12_.num_named_barrier, 0
	.set _ZN7rocprim17ROCPRIM_400000_NS6detail17trampoline_kernelINS0_13select_configILj256ELj13ELNS0_17block_load_methodE3ELS4_3ELS4_3ELNS0_20block_scan_algorithmE0ELj4294967295EEENS1_25partition_config_selectorILNS1_17partition_subalgoE4EjNS0_10empty_typeEbEEZZNS1_14partition_implILS8_4ELb0ES6_15HIP_vector_typeIjLj2EENS0_17counting_iteratorIjlEEPS9_SG_NS0_5tupleIJPjSI_NS0_16reverse_iteratorISI_EEEEENSH_IJSG_SG_SG_EEES9_SI_JZNS1_25segmented_radix_sort_implINS0_14default_configELb0EPKhPhPKlPlN2at6native12_GLOBAL__N_18offset_tEEE10hipError_tPvRmT1_PNSt15iterator_traitsIS12_E10value_typeET2_T3_PNS13_IS18_E10value_typeET4_jRbjT5_S1E_jjP12ihipStream_tbEUljE_ZNSN_ISO_Lb0ESQ_SR_ST_SU_SY_EESZ_S10_S11_S12_S16_S17_S18_S1B_S1C_jS1D_jS1E_S1E_jjS1G_bEUljE0_EEESZ_S10_S11_S18_S1C_S1E_T6_T7_T9_mT8_S1G_bDpT10_ENKUlT_T0_E_clISt17integral_constantIbLb0EES1U_EEDaS1P_S1Q_EUlS1P_E_NS1_11comp_targetILNS1_3genE3ELNS1_11target_archE908ELNS1_3gpuE7ELNS1_3repE0EEENS1_30default_config_static_selectorELNS0_4arch9wavefront6targetE1EEEvS12_.private_seg_size, 0
	.set _ZN7rocprim17ROCPRIM_400000_NS6detail17trampoline_kernelINS0_13select_configILj256ELj13ELNS0_17block_load_methodE3ELS4_3ELS4_3ELNS0_20block_scan_algorithmE0ELj4294967295EEENS1_25partition_config_selectorILNS1_17partition_subalgoE4EjNS0_10empty_typeEbEEZZNS1_14partition_implILS8_4ELb0ES6_15HIP_vector_typeIjLj2EENS0_17counting_iteratorIjlEEPS9_SG_NS0_5tupleIJPjSI_NS0_16reverse_iteratorISI_EEEEENSH_IJSG_SG_SG_EEES9_SI_JZNS1_25segmented_radix_sort_implINS0_14default_configELb0EPKhPhPKlPlN2at6native12_GLOBAL__N_18offset_tEEE10hipError_tPvRmT1_PNSt15iterator_traitsIS12_E10value_typeET2_T3_PNS13_IS18_E10value_typeET4_jRbjT5_S1E_jjP12ihipStream_tbEUljE_ZNSN_ISO_Lb0ESQ_SR_ST_SU_SY_EESZ_S10_S11_S12_S16_S17_S18_S1B_S1C_jS1D_jS1E_S1E_jjS1G_bEUljE0_EEESZ_S10_S11_S18_S1C_S1E_T6_T7_T9_mT8_S1G_bDpT10_ENKUlT_T0_E_clISt17integral_constantIbLb0EES1U_EEDaS1P_S1Q_EUlS1P_E_NS1_11comp_targetILNS1_3genE3ELNS1_11target_archE908ELNS1_3gpuE7ELNS1_3repE0EEENS1_30default_config_static_selectorELNS0_4arch9wavefront6targetE1EEEvS12_.uses_vcc, 0
	.set _ZN7rocprim17ROCPRIM_400000_NS6detail17trampoline_kernelINS0_13select_configILj256ELj13ELNS0_17block_load_methodE3ELS4_3ELS4_3ELNS0_20block_scan_algorithmE0ELj4294967295EEENS1_25partition_config_selectorILNS1_17partition_subalgoE4EjNS0_10empty_typeEbEEZZNS1_14partition_implILS8_4ELb0ES6_15HIP_vector_typeIjLj2EENS0_17counting_iteratorIjlEEPS9_SG_NS0_5tupleIJPjSI_NS0_16reverse_iteratorISI_EEEEENSH_IJSG_SG_SG_EEES9_SI_JZNS1_25segmented_radix_sort_implINS0_14default_configELb0EPKhPhPKlPlN2at6native12_GLOBAL__N_18offset_tEEE10hipError_tPvRmT1_PNSt15iterator_traitsIS12_E10value_typeET2_T3_PNS13_IS18_E10value_typeET4_jRbjT5_S1E_jjP12ihipStream_tbEUljE_ZNSN_ISO_Lb0ESQ_SR_ST_SU_SY_EESZ_S10_S11_S12_S16_S17_S18_S1B_S1C_jS1D_jS1E_S1E_jjS1G_bEUljE0_EEESZ_S10_S11_S18_S1C_S1E_T6_T7_T9_mT8_S1G_bDpT10_ENKUlT_T0_E_clISt17integral_constantIbLb0EES1U_EEDaS1P_S1Q_EUlS1P_E_NS1_11comp_targetILNS1_3genE3ELNS1_11target_archE908ELNS1_3gpuE7ELNS1_3repE0EEENS1_30default_config_static_selectorELNS0_4arch9wavefront6targetE1EEEvS12_.uses_flat_scratch, 0
	.set _ZN7rocprim17ROCPRIM_400000_NS6detail17trampoline_kernelINS0_13select_configILj256ELj13ELNS0_17block_load_methodE3ELS4_3ELS4_3ELNS0_20block_scan_algorithmE0ELj4294967295EEENS1_25partition_config_selectorILNS1_17partition_subalgoE4EjNS0_10empty_typeEbEEZZNS1_14partition_implILS8_4ELb0ES6_15HIP_vector_typeIjLj2EENS0_17counting_iteratorIjlEEPS9_SG_NS0_5tupleIJPjSI_NS0_16reverse_iteratorISI_EEEEENSH_IJSG_SG_SG_EEES9_SI_JZNS1_25segmented_radix_sort_implINS0_14default_configELb0EPKhPhPKlPlN2at6native12_GLOBAL__N_18offset_tEEE10hipError_tPvRmT1_PNSt15iterator_traitsIS12_E10value_typeET2_T3_PNS13_IS18_E10value_typeET4_jRbjT5_S1E_jjP12ihipStream_tbEUljE_ZNSN_ISO_Lb0ESQ_SR_ST_SU_SY_EESZ_S10_S11_S12_S16_S17_S18_S1B_S1C_jS1D_jS1E_S1E_jjS1G_bEUljE0_EEESZ_S10_S11_S18_S1C_S1E_T6_T7_T9_mT8_S1G_bDpT10_ENKUlT_T0_E_clISt17integral_constantIbLb0EES1U_EEDaS1P_S1Q_EUlS1P_E_NS1_11comp_targetILNS1_3genE3ELNS1_11target_archE908ELNS1_3gpuE7ELNS1_3repE0EEENS1_30default_config_static_selectorELNS0_4arch9wavefront6targetE1EEEvS12_.has_dyn_sized_stack, 0
	.set _ZN7rocprim17ROCPRIM_400000_NS6detail17trampoline_kernelINS0_13select_configILj256ELj13ELNS0_17block_load_methodE3ELS4_3ELS4_3ELNS0_20block_scan_algorithmE0ELj4294967295EEENS1_25partition_config_selectorILNS1_17partition_subalgoE4EjNS0_10empty_typeEbEEZZNS1_14partition_implILS8_4ELb0ES6_15HIP_vector_typeIjLj2EENS0_17counting_iteratorIjlEEPS9_SG_NS0_5tupleIJPjSI_NS0_16reverse_iteratorISI_EEEEENSH_IJSG_SG_SG_EEES9_SI_JZNS1_25segmented_radix_sort_implINS0_14default_configELb0EPKhPhPKlPlN2at6native12_GLOBAL__N_18offset_tEEE10hipError_tPvRmT1_PNSt15iterator_traitsIS12_E10value_typeET2_T3_PNS13_IS18_E10value_typeET4_jRbjT5_S1E_jjP12ihipStream_tbEUljE_ZNSN_ISO_Lb0ESQ_SR_ST_SU_SY_EESZ_S10_S11_S12_S16_S17_S18_S1B_S1C_jS1D_jS1E_S1E_jjS1G_bEUljE0_EEESZ_S10_S11_S18_S1C_S1E_T6_T7_T9_mT8_S1G_bDpT10_ENKUlT_T0_E_clISt17integral_constantIbLb0EES1U_EEDaS1P_S1Q_EUlS1P_E_NS1_11comp_targetILNS1_3genE3ELNS1_11target_archE908ELNS1_3gpuE7ELNS1_3repE0EEENS1_30default_config_static_selectorELNS0_4arch9wavefront6targetE1EEEvS12_.has_recursion, 0
	.set _ZN7rocprim17ROCPRIM_400000_NS6detail17trampoline_kernelINS0_13select_configILj256ELj13ELNS0_17block_load_methodE3ELS4_3ELS4_3ELNS0_20block_scan_algorithmE0ELj4294967295EEENS1_25partition_config_selectorILNS1_17partition_subalgoE4EjNS0_10empty_typeEbEEZZNS1_14partition_implILS8_4ELb0ES6_15HIP_vector_typeIjLj2EENS0_17counting_iteratorIjlEEPS9_SG_NS0_5tupleIJPjSI_NS0_16reverse_iteratorISI_EEEEENSH_IJSG_SG_SG_EEES9_SI_JZNS1_25segmented_radix_sort_implINS0_14default_configELb0EPKhPhPKlPlN2at6native12_GLOBAL__N_18offset_tEEE10hipError_tPvRmT1_PNSt15iterator_traitsIS12_E10value_typeET2_T3_PNS13_IS18_E10value_typeET4_jRbjT5_S1E_jjP12ihipStream_tbEUljE_ZNSN_ISO_Lb0ESQ_SR_ST_SU_SY_EESZ_S10_S11_S12_S16_S17_S18_S1B_S1C_jS1D_jS1E_S1E_jjS1G_bEUljE0_EEESZ_S10_S11_S18_S1C_S1E_T6_T7_T9_mT8_S1G_bDpT10_ENKUlT_T0_E_clISt17integral_constantIbLb0EES1U_EEDaS1P_S1Q_EUlS1P_E_NS1_11comp_targetILNS1_3genE3ELNS1_11target_archE908ELNS1_3gpuE7ELNS1_3repE0EEENS1_30default_config_static_selectorELNS0_4arch9wavefront6targetE1EEEvS12_.has_indirect_call, 0
	.section	.AMDGPU.csdata,"",@progbits
; Kernel info:
; codeLenInByte = 0
; TotalNumSgprs: 4
; NumVgprs: 0
; ScratchSize: 0
; MemoryBound: 0
; FloatMode: 240
; IeeeMode: 1
; LDSByteSize: 0 bytes/workgroup (compile time only)
; SGPRBlocks: 0
; VGPRBlocks: 0
; NumSGPRsForWavesPerEU: 4
; NumVGPRsForWavesPerEU: 1
; Occupancy: 10
; WaveLimiterHint : 0
; COMPUTE_PGM_RSRC2:SCRATCH_EN: 0
; COMPUTE_PGM_RSRC2:USER_SGPR: 6
; COMPUTE_PGM_RSRC2:TRAP_HANDLER: 0
; COMPUTE_PGM_RSRC2:TGID_X_EN: 1
; COMPUTE_PGM_RSRC2:TGID_Y_EN: 0
; COMPUTE_PGM_RSRC2:TGID_Z_EN: 0
; COMPUTE_PGM_RSRC2:TIDIG_COMP_CNT: 0
	.section	.text._ZN7rocprim17ROCPRIM_400000_NS6detail17trampoline_kernelINS0_13select_configILj256ELj13ELNS0_17block_load_methodE3ELS4_3ELS4_3ELNS0_20block_scan_algorithmE0ELj4294967295EEENS1_25partition_config_selectorILNS1_17partition_subalgoE4EjNS0_10empty_typeEbEEZZNS1_14partition_implILS8_4ELb0ES6_15HIP_vector_typeIjLj2EENS0_17counting_iteratorIjlEEPS9_SG_NS0_5tupleIJPjSI_NS0_16reverse_iteratorISI_EEEEENSH_IJSG_SG_SG_EEES9_SI_JZNS1_25segmented_radix_sort_implINS0_14default_configELb0EPKhPhPKlPlN2at6native12_GLOBAL__N_18offset_tEEE10hipError_tPvRmT1_PNSt15iterator_traitsIS12_E10value_typeET2_T3_PNS13_IS18_E10value_typeET4_jRbjT5_S1E_jjP12ihipStream_tbEUljE_ZNSN_ISO_Lb0ESQ_SR_ST_SU_SY_EESZ_S10_S11_S12_S16_S17_S18_S1B_S1C_jS1D_jS1E_S1E_jjS1G_bEUljE0_EEESZ_S10_S11_S18_S1C_S1E_T6_T7_T9_mT8_S1G_bDpT10_ENKUlT_T0_E_clISt17integral_constantIbLb0EES1U_EEDaS1P_S1Q_EUlS1P_E_NS1_11comp_targetILNS1_3genE2ELNS1_11target_archE906ELNS1_3gpuE6ELNS1_3repE0EEENS1_30default_config_static_selectorELNS0_4arch9wavefront6targetE1EEEvS12_,"axG",@progbits,_ZN7rocprim17ROCPRIM_400000_NS6detail17trampoline_kernelINS0_13select_configILj256ELj13ELNS0_17block_load_methodE3ELS4_3ELS4_3ELNS0_20block_scan_algorithmE0ELj4294967295EEENS1_25partition_config_selectorILNS1_17partition_subalgoE4EjNS0_10empty_typeEbEEZZNS1_14partition_implILS8_4ELb0ES6_15HIP_vector_typeIjLj2EENS0_17counting_iteratorIjlEEPS9_SG_NS0_5tupleIJPjSI_NS0_16reverse_iteratorISI_EEEEENSH_IJSG_SG_SG_EEES9_SI_JZNS1_25segmented_radix_sort_implINS0_14default_configELb0EPKhPhPKlPlN2at6native12_GLOBAL__N_18offset_tEEE10hipError_tPvRmT1_PNSt15iterator_traitsIS12_E10value_typeET2_T3_PNS13_IS18_E10value_typeET4_jRbjT5_S1E_jjP12ihipStream_tbEUljE_ZNSN_ISO_Lb0ESQ_SR_ST_SU_SY_EESZ_S10_S11_S12_S16_S17_S18_S1B_S1C_jS1D_jS1E_S1E_jjS1G_bEUljE0_EEESZ_S10_S11_S18_S1C_S1E_T6_T7_T9_mT8_S1G_bDpT10_ENKUlT_T0_E_clISt17integral_constantIbLb0EES1U_EEDaS1P_S1Q_EUlS1P_E_NS1_11comp_targetILNS1_3genE2ELNS1_11target_archE906ELNS1_3gpuE6ELNS1_3repE0EEENS1_30default_config_static_selectorELNS0_4arch9wavefront6targetE1EEEvS12_,comdat
	.globl	_ZN7rocprim17ROCPRIM_400000_NS6detail17trampoline_kernelINS0_13select_configILj256ELj13ELNS0_17block_load_methodE3ELS4_3ELS4_3ELNS0_20block_scan_algorithmE0ELj4294967295EEENS1_25partition_config_selectorILNS1_17partition_subalgoE4EjNS0_10empty_typeEbEEZZNS1_14partition_implILS8_4ELb0ES6_15HIP_vector_typeIjLj2EENS0_17counting_iteratorIjlEEPS9_SG_NS0_5tupleIJPjSI_NS0_16reverse_iteratorISI_EEEEENSH_IJSG_SG_SG_EEES9_SI_JZNS1_25segmented_radix_sort_implINS0_14default_configELb0EPKhPhPKlPlN2at6native12_GLOBAL__N_18offset_tEEE10hipError_tPvRmT1_PNSt15iterator_traitsIS12_E10value_typeET2_T3_PNS13_IS18_E10value_typeET4_jRbjT5_S1E_jjP12ihipStream_tbEUljE_ZNSN_ISO_Lb0ESQ_SR_ST_SU_SY_EESZ_S10_S11_S12_S16_S17_S18_S1B_S1C_jS1D_jS1E_S1E_jjS1G_bEUljE0_EEESZ_S10_S11_S18_S1C_S1E_T6_T7_T9_mT8_S1G_bDpT10_ENKUlT_T0_E_clISt17integral_constantIbLb0EES1U_EEDaS1P_S1Q_EUlS1P_E_NS1_11comp_targetILNS1_3genE2ELNS1_11target_archE906ELNS1_3gpuE6ELNS1_3repE0EEENS1_30default_config_static_selectorELNS0_4arch9wavefront6targetE1EEEvS12_ ; -- Begin function _ZN7rocprim17ROCPRIM_400000_NS6detail17trampoline_kernelINS0_13select_configILj256ELj13ELNS0_17block_load_methodE3ELS4_3ELS4_3ELNS0_20block_scan_algorithmE0ELj4294967295EEENS1_25partition_config_selectorILNS1_17partition_subalgoE4EjNS0_10empty_typeEbEEZZNS1_14partition_implILS8_4ELb0ES6_15HIP_vector_typeIjLj2EENS0_17counting_iteratorIjlEEPS9_SG_NS0_5tupleIJPjSI_NS0_16reverse_iteratorISI_EEEEENSH_IJSG_SG_SG_EEES9_SI_JZNS1_25segmented_radix_sort_implINS0_14default_configELb0EPKhPhPKlPlN2at6native12_GLOBAL__N_18offset_tEEE10hipError_tPvRmT1_PNSt15iterator_traitsIS12_E10value_typeET2_T3_PNS13_IS18_E10value_typeET4_jRbjT5_S1E_jjP12ihipStream_tbEUljE_ZNSN_ISO_Lb0ESQ_SR_ST_SU_SY_EESZ_S10_S11_S12_S16_S17_S18_S1B_S1C_jS1D_jS1E_S1E_jjS1G_bEUljE0_EEESZ_S10_S11_S18_S1C_S1E_T6_T7_T9_mT8_S1G_bDpT10_ENKUlT_T0_E_clISt17integral_constantIbLb0EES1U_EEDaS1P_S1Q_EUlS1P_E_NS1_11comp_targetILNS1_3genE2ELNS1_11target_archE906ELNS1_3gpuE6ELNS1_3repE0EEENS1_30default_config_static_selectorELNS0_4arch9wavefront6targetE1EEEvS12_
	.p2align	8
	.type	_ZN7rocprim17ROCPRIM_400000_NS6detail17trampoline_kernelINS0_13select_configILj256ELj13ELNS0_17block_load_methodE3ELS4_3ELS4_3ELNS0_20block_scan_algorithmE0ELj4294967295EEENS1_25partition_config_selectorILNS1_17partition_subalgoE4EjNS0_10empty_typeEbEEZZNS1_14partition_implILS8_4ELb0ES6_15HIP_vector_typeIjLj2EENS0_17counting_iteratorIjlEEPS9_SG_NS0_5tupleIJPjSI_NS0_16reverse_iteratorISI_EEEEENSH_IJSG_SG_SG_EEES9_SI_JZNS1_25segmented_radix_sort_implINS0_14default_configELb0EPKhPhPKlPlN2at6native12_GLOBAL__N_18offset_tEEE10hipError_tPvRmT1_PNSt15iterator_traitsIS12_E10value_typeET2_T3_PNS13_IS18_E10value_typeET4_jRbjT5_S1E_jjP12ihipStream_tbEUljE_ZNSN_ISO_Lb0ESQ_SR_ST_SU_SY_EESZ_S10_S11_S12_S16_S17_S18_S1B_S1C_jS1D_jS1E_S1E_jjS1G_bEUljE0_EEESZ_S10_S11_S18_S1C_S1E_T6_T7_T9_mT8_S1G_bDpT10_ENKUlT_T0_E_clISt17integral_constantIbLb0EES1U_EEDaS1P_S1Q_EUlS1P_E_NS1_11comp_targetILNS1_3genE2ELNS1_11target_archE906ELNS1_3gpuE6ELNS1_3repE0EEENS1_30default_config_static_selectorELNS0_4arch9wavefront6targetE1EEEvS12_,@function
_ZN7rocprim17ROCPRIM_400000_NS6detail17trampoline_kernelINS0_13select_configILj256ELj13ELNS0_17block_load_methodE3ELS4_3ELS4_3ELNS0_20block_scan_algorithmE0ELj4294967295EEENS1_25partition_config_selectorILNS1_17partition_subalgoE4EjNS0_10empty_typeEbEEZZNS1_14partition_implILS8_4ELb0ES6_15HIP_vector_typeIjLj2EENS0_17counting_iteratorIjlEEPS9_SG_NS0_5tupleIJPjSI_NS0_16reverse_iteratorISI_EEEEENSH_IJSG_SG_SG_EEES9_SI_JZNS1_25segmented_radix_sort_implINS0_14default_configELb0EPKhPhPKlPlN2at6native12_GLOBAL__N_18offset_tEEE10hipError_tPvRmT1_PNSt15iterator_traitsIS12_E10value_typeET2_T3_PNS13_IS18_E10value_typeET4_jRbjT5_S1E_jjP12ihipStream_tbEUljE_ZNSN_ISO_Lb0ESQ_SR_ST_SU_SY_EESZ_S10_S11_S12_S16_S17_S18_S1B_S1C_jS1D_jS1E_S1E_jjS1G_bEUljE0_EEESZ_S10_S11_S18_S1C_S1E_T6_T7_T9_mT8_S1G_bDpT10_ENKUlT_T0_E_clISt17integral_constantIbLb0EES1U_EEDaS1P_S1Q_EUlS1P_E_NS1_11comp_targetILNS1_3genE2ELNS1_11target_archE906ELNS1_3gpuE6ELNS1_3repE0EEENS1_30default_config_static_selectorELNS0_4arch9wavefront6targetE1EEEvS12_: ; @_ZN7rocprim17ROCPRIM_400000_NS6detail17trampoline_kernelINS0_13select_configILj256ELj13ELNS0_17block_load_methodE3ELS4_3ELS4_3ELNS0_20block_scan_algorithmE0ELj4294967295EEENS1_25partition_config_selectorILNS1_17partition_subalgoE4EjNS0_10empty_typeEbEEZZNS1_14partition_implILS8_4ELb0ES6_15HIP_vector_typeIjLj2EENS0_17counting_iteratorIjlEEPS9_SG_NS0_5tupleIJPjSI_NS0_16reverse_iteratorISI_EEEEENSH_IJSG_SG_SG_EEES9_SI_JZNS1_25segmented_radix_sort_implINS0_14default_configELb0EPKhPhPKlPlN2at6native12_GLOBAL__N_18offset_tEEE10hipError_tPvRmT1_PNSt15iterator_traitsIS12_E10value_typeET2_T3_PNS13_IS18_E10value_typeET4_jRbjT5_S1E_jjP12ihipStream_tbEUljE_ZNSN_ISO_Lb0ESQ_SR_ST_SU_SY_EESZ_S10_S11_S12_S16_S17_S18_S1B_S1C_jS1D_jS1E_S1E_jjS1G_bEUljE0_EEESZ_S10_S11_S18_S1C_S1E_T6_T7_T9_mT8_S1G_bDpT10_ENKUlT_T0_E_clISt17integral_constantIbLb0EES1U_EEDaS1P_S1Q_EUlS1P_E_NS1_11comp_targetILNS1_3genE2ELNS1_11target_archE906ELNS1_3gpuE6ELNS1_3repE0EEENS1_30default_config_static_selectorELNS0_4arch9wavefront6targetE1EEEvS12_
; %bb.0:
	s_load_dwordx2 s[0:1], s[4:5], 0x68
	s_load_dwordx4 s[44:47], s[4:5], 0x58
	s_load_dword s8, s[4:5], 0x8
	s_load_dwordx2 s[56:57], s[4:5], 0x10
	s_load_dword s7, s[4:5], 0x80
	s_load_dwordx2 s[58:59], s[4:5], 0xa8
	s_load_dwordx8 s[36:43], s[4:5], 0x88
	s_waitcnt lgkmcnt(0)
	s_load_dwordx4 s[48:51], s[46:47], 0x0
	s_mul_i32 s33, s6, 0xd00
	s_add_i32 s9, s7, -1
	s_mulk_i32 s7, 0xd00
	s_add_u32 s2, s56, s7
	s_addc_u32 s3, s57, 0
	v_mov_b32_e32 v1, s2
	v_mov_b32_e32 v2, s3
	s_cmp_eq_u32 s6, s9
	v_cmp_gt_u64_e32 vcc, s[0:1], v[1:2]
	s_cselect_b64 s[34:35], -1, 0
	s_cmp_lg_u32 s6, s9
	s_cselect_b64 s[2:3], -1, 0
	s_add_i32 s1, s8, s33
	s_or_b64 s[2:3], s[2:3], vcc
	s_add_i32 s1, s1, s56
	s_mov_b64 s[8:9], -1
	s_and_b64 vcc, exec, s[2:3]
	v_add_u32_e32 v1, s1, v0
	s_cbranch_vccz .LBB126_2
; %bb.1:
	v_add_u32_e32 v2, 0x100, v1
	v_lshlrev_b32_e32 v14, 2, v0
	v_add_u32_e32 v3, 0x200, v1
	v_add_u32_e32 v4, 0x300, v1
	;; [unrolled: 1-line block ×11, first 2 shown]
	ds_write2st64_b32 v14, v1, v2 offset1:4
	ds_write2st64_b32 v14, v3, v4 offset0:8 offset1:12
	ds_write2st64_b32 v14, v5, v6 offset0:16 offset1:20
	;; [unrolled: 1-line block ×5, first 2 shown]
	ds_write_b32 v14, v13 offset:12288
	s_waitcnt lgkmcnt(0)
	s_barrier
	s_mov_b64 s[8:9], 0
.LBB126_2:
	s_andn2_b64 vcc, exec, s[8:9]
	s_add_i32 s7, s7, s56
	s_cbranch_vccnz .LBB126_4
; %bb.3:
	v_add_u32_e32 v2, 0x100, v1
	v_lshlrev_b32_e32 v14, 2, v0
	v_add_u32_e32 v3, 0x200, v1
	v_add_u32_e32 v4, 0x300, v1
	;; [unrolled: 1-line block ×11, first 2 shown]
	ds_write2st64_b32 v14, v1, v2 offset1:4
	ds_write2st64_b32 v14, v3, v4 offset0:8 offset1:12
	ds_write2st64_b32 v14, v5, v6 offset0:16 offset1:20
	;; [unrolled: 1-line block ×5, first 2 shown]
	ds_write_b32 v14, v13 offset:12288
	s_waitcnt lgkmcnt(0)
	s_barrier
.LBB126_4:
	v_mul_u32_u24_e32 v30, 13, v0
	v_lshlrev_b32_e32 v1, 2, v30
	s_load_dwordx4 s[52:55], s[4:5], 0x28
	s_load_dwordx2 s[46:47], s[4:5], 0x38
	s_waitcnt lgkmcnt(0)
	ds_read_b32 v29, v1 offset:48
	ds_read2_b32 v[9:10], v1 offset0:10 offset1:11
	ds_read2_b32 v[11:12], v1 offset0:8 offset1:9
	ds_read2_b32 v[13:14], v1 offset0:6 offset1:7
	ds_read2_b32 v[15:16], v1 offset0:4 offset1:5
	ds_read2_b32 v[19:20], v1 offset1:1
	ds_read2_b32 v[17:18], v1 offset0:2 offset1:3
	v_cndmask_b32_e64 v1, 0, 1, s[2:3]
	s_sub_i32 s7, s0, s7
	v_cmp_ne_u32_e64 s[0:1], 1, v1
	s_andn2_b64 vcc, exec, s[2:3]
	s_waitcnt lgkmcnt(0)
	s_barrier
	s_cbranch_vccnz .LBB126_32
; %bb.5:
	v_add_u32_e32 v1, s37, v19
	v_add_u32_e32 v2, s39, v19
	v_mul_lo_u32 v1, v1, s36
	v_mul_lo_u32 v2, v2, s38
	s_mov_b64 s[62:63], 0
	s_mov_b64 s[60:61], 0
	v_sub_u32_e32 v1, v1, v2
	v_cmp_lt_u32_e32 vcc, s40, v1
	v_cmp_ge_u32_e64 s[2:3], s40, v1
	s_and_saveexec_b64 s[8:9], s[2:3]
	s_cbranch_execz .LBB126_7
; %bb.6:
	v_add_u32_e32 v1, s42, v19
	v_add_u32_e32 v2, s58, v19
	v_mul_lo_u32 v1, v1, s41
	v_mul_lo_u32 v2, v2, s43
	v_sub_u32_e32 v1, v1, v2
	v_cmp_lt_u32_e64 s[2:3], s59, v1
	s_and_b64 s[60:61], s[2:3], exec
.LBB126_7:
	s_or_b64 exec, exec, s[8:9]
	v_add_u32_e32 v1, s37, v20
	v_add_u32_e32 v2, s39, v20
	v_mul_lo_u32 v1, v1, s36
	v_mul_lo_u32 v2, v2, s38
	v_sub_u32_e32 v1, v1, v2
	v_cmp_lt_u32_e64 s[2:3], s40, v1
	v_cmp_ge_u32_e64 s[8:9], s40, v1
	s_and_saveexec_b64 s[10:11], s[8:9]
	s_cbranch_execz .LBB126_9
; %bb.8:
	v_add_u32_e32 v1, s42, v20
	v_add_u32_e32 v2, s58, v20
	v_mul_lo_u32 v1, v1, s41
	v_mul_lo_u32 v2, v2, s43
	v_sub_u32_e32 v1, v1, v2
	v_cmp_lt_u32_e64 s[8:9], s59, v1
	s_and_b64 s[62:63], s[8:9], exec
.LBB126_9:
	s_or_b64 exec, exec, s[10:11]
	v_add_u32_e32 v1, s37, v17
	v_add_u32_e32 v2, s39, v17
	v_mul_lo_u32 v1, v1, s36
	v_mul_lo_u32 v2, v2, s38
	s_mov_b64 s[66:67], 0
	s_mov_b64 s[64:65], 0
	v_sub_u32_e32 v1, v1, v2
	v_cmp_lt_u32_e64 s[28:29], s40, v1
	v_cmp_ge_u32_e64 s[8:9], s40, v1
	s_and_saveexec_b64 s[10:11], s[8:9]
	s_cbranch_execz .LBB126_11
; %bb.10:
	v_add_u32_e32 v1, s42, v17
	v_add_u32_e32 v2, s58, v17
	v_mul_lo_u32 v1, v1, s41
	v_mul_lo_u32 v2, v2, s43
	v_sub_u32_e32 v1, v1, v2
	v_cmp_lt_u32_e64 s[8:9], s59, v1
	s_and_b64 s[64:65], s[8:9], exec
.LBB126_11:
	s_or_b64 exec, exec, s[10:11]
	v_add_u32_e32 v1, s37, v18
	v_add_u32_e32 v2, s39, v18
	v_mul_lo_u32 v1, v1, s36
	v_mul_lo_u32 v2, v2, s38
	v_sub_u32_e32 v1, v1, v2
	v_cmp_lt_u32_e64 s[8:9], s40, v1
	v_cmp_ge_u32_e64 s[10:11], s40, v1
	s_and_saveexec_b64 s[12:13], s[10:11]
	s_cbranch_execz .LBB126_13
; %bb.12:
	v_add_u32_e32 v1, s42, v18
	v_add_u32_e32 v2, s58, v18
	v_mul_lo_u32 v1, v1, s41
	v_mul_lo_u32 v2, v2, s43
	v_sub_u32_e32 v1, v1, v2
	v_cmp_lt_u32_e64 s[10:11], s59, v1
	s_and_b64 s[66:67], s[10:11], exec
.LBB126_13:
	s_or_b64 exec, exec, s[12:13]
	v_add_u32_e32 v1, s37, v15
	v_add_u32_e32 v2, s39, v15
	v_mul_lo_u32 v1, v1, s36
	v_mul_lo_u32 v2, v2, s38
	s_mov_b64 s[70:71], 0
	s_mov_b64 s[68:69], 0
	v_sub_u32_e32 v1, v1, v2
	v_cmp_lt_u32_e64 s[10:11], s40, v1
	;; [unrolled: 40-line block ×6, first 2 shown]
	v_cmp_ge_u32_e64 s[30:31], s40, v1
	s_and_saveexec_b64 s[88:89], s[30:31]
	s_cbranch_execz .LBB126_31
; %bb.30:
	v_add_u32_e32 v1, s42, v29
	v_add_u32_e32 v2, s58, v29
	v_mul_lo_u32 v1, v1, s41
	v_mul_lo_u32 v2, v2, s43
	v_sub_u32_e32 v1, v1, v2
	v_cmp_lt_u32_e64 s[30:31], s59, v1
	s_and_b64 s[86:87], s[30:31], exec
.LBB126_31:
	s_or_b64 exec, exec, s[88:89]
	v_cndmask_b32_e64 v2, 0, 1, s[2:3]
	v_cndmask_b32_e64 v1, 0, 1, vcc
	v_cndmask_b32_e64 v4, 0, 1, s[8:9]
	v_lshlrev_b16_e32 v2, 8, v2
	v_cndmask_b32_e64 v3, 0, 1, s[28:29]
	v_or_b32_e32 v1, v1, v2
	v_lshlrev_b16_e32 v2, 8, v4
	v_cndmask_b32_e64 v6, 0, 1, s[12:13]
	v_cndmask_b32_e64 v8, 0, 1, s[16:17]
	v_or_b32_sdwa v2, v3, v2 dst_sel:WORD_1 dst_unused:UNUSED_PAD src0_sel:DWORD src1_sel:DWORD
	v_cndmask_b32_e64 v5, 0, 1, s[10:11]
	v_cndmask_b32_e64 v7, 0, 1, s[14:15]
	v_or_b32_sdwa v31, v1, v2 dst_sel:DWORD dst_unused:UNUSED_PAD src0_sel:WORD_0 src1_sel:DWORD
	v_lshlrev_b16_e32 v1, 8, v6
	v_lshlrev_b16_e32 v2, 8, v8
	v_cndmask_b32_e64 v22, 0, 1, s[20:21]
	v_cndmask_b32_e64 v25, 0, 1, s[24:25]
	v_or_b32_e32 v1, v5, v1
	v_or_b32_sdwa v2, v7, v2 dst_sel:WORD_1 dst_unused:UNUSED_PAD src0_sel:DWORD src1_sel:DWORD
	v_cndmask_b32_e64 v21, 0, 1, s[18:19]
	v_cndmask_b32_e64 v23, 0, 1, s[22:23]
	v_or_b32_sdwa v33, v1, v2 dst_sel:DWORD dst_unused:UNUSED_PAD src0_sel:WORD_0 src1_sel:DWORD
	v_lshlrev_b16_e32 v1, 8, v22
	v_lshlrev_b16_e32 v2, 8, v25
	v_cndmask_b32_e64 v37, 0, 1, s[64:65]
	v_cndmask_b32_e64 v42, 0, 1, s[60:61]
	v_or_b32_e32 v1, v21, v1
	;; [unrolled: 9-line block ×4, first 2 shown]
	v_or_b32_sdwa v2, v34, v2 dst_sel:WORD_1 dst_unused:UNUSED_PAD src0_sel:DWORD src1_sel:DWORD
	v_cndmask_b32_e64 v26, 0, 1, s[78:79]
	v_cndmask_b32_e64 v28, 0, 1, s[74:75]
	v_or_b32_sdwa v32, v1, v2 dst_sel:DWORD dst_unused:UNUSED_PAD src0_sel:WORD_0 src1_sel:DWORD
	v_lshlrev_b16_e32 v1, 8, v27
	v_lshlrev_b16_e32 v2, 8, v24
	v_or_b32_e32 v1, v28, v1
	v_or_b32_sdwa v2, v26, v2 dst_sel:WORD_1 dst_unused:UNUSED_PAD src0_sel:DWORD src1_sel:DWORD
	v_cndmask_b32_e64 v35, 0, 1, s[82:83]
	v_cndmask_b32_e64 v38, 0, 1, s[86:87]
	v_or_b32_sdwa v34, v1, v2 dst_sel:DWORD dst_unused:UNUSED_PAD src0_sel:WORD_0 src1_sel:DWORD
	s_load_dwordx2 s[12:13], s[4:5], 0x78
	s_add_i32 s18, s7, 0xd00
	s_and_b64 vcc, exec, s[80:81]
	s_cbranch_vccnz .LBB126_33
	s_branch .LBB126_110
.LBB126_32:
                                        ; implicit-def: $vgpr38
                                        ; implicit-def: $vgpr35
                                        ; implicit-def: $vgpr34
                                        ; implicit-def: $vgpr32
                                        ; implicit-def: $vgpr37
                                        ; implicit-def: $vgpr36
                                        ; implicit-def: $vgpr33
                                        ; implicit-def: $vgpr31
	s_load_dwordx2 s[12:13], s[4:5], 0x78
	s_add_i32 s18, s7, 0xd00
	s_cbranch_execz .LBB126_110
.LBB126_33:
	v_cmp_gt_u32_e32 vcc, s18, v30
	v_mov_b32_e32 v2, 0
	v_mov_b32_e32 v1, 0
	s_and_saveexec_b64 s[4:5], vcc
	s_cbranch_execz .LBB126_37
; %bb.34:
	v_add_u32_e32 v1, s37, v19
	v_add_u32_e32 v2, s39, v19
	v_mul_lo_u32 v1, v1, s36
	v_mul_lo_u32 v2, v2, s38
	s_mov_b64 s[10:11], 0
	v_sub_u32_e32 v1, v1, v2
	v_cmp_lt_u32_e32 vcc, s40, v1
	v_cmp_ge_u32_e64 s[2:3], s40, v1
	s_and_saveexec_b64 s[8:9], s[2:3]
	s_cbranch_execz .LBB126_36
; %bb.35:
	v_add_u32_e32 v1, s42, v19
	v_add_u32_e32 v2, s58, v19
	v_mul_lo_u32 v1, v1, s41
	v_mul_lo_u32 v2, v2, s43
	v_sub_u32_e32 v1, v1, v2
	v_cmp_lt_u32_e64 s[2:3], s59, v1
	s_and_b64 s[10:11], s[2:3], exec
.LBB126_36:
	s_or_b64 exec, exec, s[8:9]
	v_cndmask_b32_e64 v2, 0, 1, s[10:11]
	v_cndmask_b32_e64 v1, 0, 1, vcc
.LBB126_37:
	s_or_b64 exec, exec, s[4:5]
	v_lshlrev_b16_e32 v7, 8, v2
	v_add_u32_e32 v2, 1, v30
	v_cmp_le_u32_e32 vcc, s18, v2
	v_lshlrev_b16_e64 v4, 8, 0
                                        ; implicit-def: $vgpr3
                                        ; implicit-def: $vgpr5
                                        ; implicit-def: $vgpr6
                                        ; implicit-def: $vgpr2
                                        ; implicit-def: $vgpr8
	s_and_saveexec_b64 s[2:3], vcc
	s_xor_b64 s[2:3], exec, s[2:3]
; %bb.38:
	v_mov_b32_e32 v2, 8
	v_lshrrev_b32_sdwa v3, v2, v7 dst_sel:BYTE_1 dst_unused:UNUSED_PAD src0_sel:DWORD src1_sel:DWORD
	v_and_b32_e32 v8, 0xff, v1
	v_or_b32_sdwa v1, v7, v3 dst_sel:DWORD dst_unused:UNUSED_PAD src0_sel:BYTE_0 src1_sel:DWORD
	v_mov_b32_e32 v5, 0
	v_lshlrev_b16_e64 v4, 8, 0
	v_lshlrev_b16_e64 v2, 8, 0
	v_and_b32_e32 v6, 0xffff, v1
	v_lshlrev_b16_e64 v3, 8, 0
                                        ; implicit-def: $vgpr1
                                        ; implicit-def: $vgpr7
; %bb.39:
	s_andn2_saveexec_b64 s[4:5], s[2:3]
	s_cbranch_execz .LBB126_43
; %bb.40:
	v_add_u32_e32 v2, s37, v20
	v_add_u32_e32 v3, s39, v20
	v_mul_lo_u32 v2, v2, s36
	v_mul_lo_u32 v3, v3, s38
	s_mov_b64 s[8:9], 0
	v_sub_u32_e32 v2, v2, v3
	v_cmp_lt_u32_e32 vcc, s40, v2
	v_cmp_ge_u32_e64 s[2:3], s40, v2
	s_and_saveexec_b64 s[10:11], s[2:3]
	s_cbranch_execz .LBB126_42
; %bb.41:
	v_add_u32_e32 v2, s42, v20
	v_add_u32_e32 v3, s58, v20
	v_mul_lo_u32 v2, v2, s41
	v_mul_lo_u32 v3, v3, s43
	v_sub_u32_e32 v2, v2, v3
	v_cmp_lt_u32_e64 s[2:3], s59, v2
	s_and_b64 s[8:9], s[2:3], exec
.LBB126_42:
	s_or_b64 exec, exec, s[10:11]
	v_cndmask_b32_e64 v3, 0, 1, vcc
	v_lshlrev_b16_e32 v3, 8, v3
	v_or_b32_sdwa v1, v1, v3 dst_sel:DWORD dst_unused:UNUSED_PAD src0_sel:BYTE_0 src1_sel:DWORD
	v_and_b32_e32 v8, 0xffff, v1
	v_mov_b32_e32 v1, 8
	v_lshrrev_b32_sdwa v1, v1, v7 dst_sel:BYTE_1 dst_unused:UNUSED_PAD src0_sel:DWORD src1_sel:DWORD
	v_or_b32_sdwa v1, v7, v1 dst_sel:DWORD dst_unused:UNUSED_PAD src0_sel:BYTE_0 src1_sel:DWORD
	v_and_b32_e32 v1, 0xffff, v1
	v_cndmask_b32_e64 v3, 0, 1, s[8:9]
	v_mov_b32_e32 v2, 0
	v_mov_b32_e32 v5, 0
	v_lshl_or_b32 v6, v3, 16, v1
	v_lshlrev_b16_e64 v3, 8, 0
.LBB126_43:
	s_or_b64 exec, exec, s[4:5]
	v_add_u32_e32 v1, 2, v30
	v_cmp_le_u32_e32 vcc, s18, v1
	v_lshrrev_b32_e32 v21, 24, v8
                                        ; implicit-def: $vgpr1
                                        ; implicit-def: $vgpr7
	s_and_saveexec_b64 s[2:3], vcc
	s_xor_b64 s[2:3], exec, s[2:3]
	s_cbranch_execz .LBB126_45
; %bb.44:
	s_mov_b32 s4, 0x40c0100
	v_perm_b32 v7, v21, v8, s4
	v_mov_b32_e32 v8, 8
	v_lshrrev_b32_sdwa v8, v8, v7 dst_sel:BYTE_1 dst_unused:UNUSED_PAD src0_sel:DWORD src1_sel:DWORD
	v_or_b32_sdwa v8, v7, v8 dst_sel:DWORD dst_unused:UNUSED_PAD src0_sel:BYTE_0 src1_sel:DWORD
	v_and_b32_e32 v8, 0xffff, v8
	s_mov_b32 s4, 0xff000000
	v_and_or_b32 v7, v7, s4, v8
	s_mov_b32 s4, 0x3060504
	v_and_b32_e32 v1, 0xff0000, v6
	v_perm_b32 v4, v4, v4, s4
	s_mov_b32 s4, 0x3020504
	v_perm_b32 v1, v6, v1, s4
                                        ; implicit-def: $vgpr8
                                        ; implicit-def: $vgpr21
                                        ; implicit-def: $vgpr6
.LBB126_45:
	s_andn2_saveexec_b64 s[4:5], s[2:3]
	s_cbranch_execz .LBB126_49
; %bb.46:
	v_add_u32_e32 v1, s37, v17
	v_add_u32_e32 v7, s39, v17
	v_mul_lo_u32 v1, v1, s36
	v_mul_lo_u32 v7, v7, s38
	s_mov_b64 s[8:9], 0
	v_sub_u32_e32 v1, v1, v7
	v_cmp_lt_u32_e32 vcc, s40, v1
	v_cmp_ge_u32_e64 s[2:3], s40, v1
	s_and_saveexec_b64 s[10:11], s[2:3]
	s_cbranch_execz .LBB126_48
; %bb.47:
	v_add_u32_e32 v1, s42, v17
	v_add_u32_e32 v7, s58, v17
	v_mul_lo_u32 v1, v1, s41
	v_mul_lo_u32 v7, v7, s43
	v_sub_u32_e32 v1, v1, v7
	v_cmp_lt_u32_e64 s[2:3], s59, v1
	s_and_b64 s[8:9], s[2:3], exec
.LBB126_48:
	s_or_b64 exec, exec, s[10:11]
	v_mov_b32_e32 v23, 8
	v_lshrrev_b32_sdwa v7, v23, v8 dst_sel:BYTE_1 dst_unused:UNUSED_PAD src0_sel:DWORD src1_sel:DWORD
	v_cndmask_b32_e64 v1, 0, 1, vcc
	v_or_b32_sdwa v7, v8, v7 dst_sel:DWORD dst_unused:UNUSED_PAD src0_sel:BYTE_0 src1_sel:DWORD
	v_lshlrev_b16_e32 v8, 8, v21
	v_or_b32_sdwa v1, v1, v8 dst_sel:WORD_1 dst_unused:UNUSED_PAD src0_sel:DWORD src1_sel:DWORD
	v_cndmask_b32_e64 v22, 0, 1, s[8:9]
	s_movk_i32 s2, 0xff
	v_or_b32_sdwa v7, v7, v1 dst_sel:DWORD dst_unused:UNUSED_PAD src0_sel:WORD_0 src1_sel:DWORD
	v_lshrrev_b32_sdwa v1, v23, v6 dst_sel:BYTE_1 dst_unused:UNUSED_PAD src0_sel:DWORD src1_sel:DWORD
	v_or_b32_sdwa v1, v6, v1 dst_sel:DWORD dst_unused:UNUSED_PAD src0_sel:BYTE_0 src1_sel:DWORD
	v_lshlrev_b16_e32 v8, 8, v22
	v_and_b32_sdwa v6, v6, s2 dst_sel:DWORD dst_unused:UNUSED_PAD src0_sel:WORD_1 src1_sel:DWORD
	v_or_b32_sdwa v6, v6, v8 dst_sel:WORD_1 dst_unused:UNUSED_PAD src0_sel:DWORD src1_sel:DWORD
	v_or_b32_sdwa v1, v1, v6 dst_sel:DWORD dst_unused:UNUSED_PAD src0_sel:WORD_0 src1_sel:DWORD
.LBB126_49:
	s_or_b64 exec, exec, s[4:5]
	v_add_u32_e32 v6, 3, v30
	v_cmp_le_u32_e32 vcc, s18, v6
	v_lshrrev_b32_e32 v8, 24, v5
                                        ; implicit-def: $vgpr6
                                        ; implicit-def: $vgpr31
	s_and_saveexec_b64 s[2:3], vcc
	s_xor_b64 s[2:3], exec, s[2:3]
	s_cbranch_execz .LBB126_51
; %bb.50:
	v_and_b32_e32 v6, 0xff0000, v7
	s_mov_b32 s4, 0x3020504
	s_movk_i32 s5, 0xff
	v_perm_b32 v31, v7, v6, s4
	v_lshlrev_b16_e32 v6, 8, v8
	v_and_b32_sdwa v7, v5, s5 dst_sel:DWORD dst_unused:UNUSED_PAD src0_sel:WORD_1 src1_sel:DWORD
	s_mov_b32 s4, 0x3060504
	v_or_b32_sdwa v6, v7, v6 dst_sel:WORD_1 dst_unused:UNUSED_PAD src0_sel:DWORD src1_sel:DWORD
	v_mov_b32_e32 v7, 8
	v_perm_b32 v4, v4, v4, s4
	v_lshrrev_b32_sdwa v6, v7, v5 dst_sel:BYTE_1 dst_unused:UNUSED_PRESERVE src0_sel:DWORD src1_sel:DWORD
	v_perm_b32 v3, v3, v3, s4
                                        ; implicit-def: $vgpr7
                                        ; implicit-def: $vgpr8
                                        ; implicit-def: $vgpr5
.LBB126_51:
	s_andn2_saveexec_b64 s[4:5], s[2:3]
	s_cbranch_execz .LBB126_55
; %bb.52:
	v_add_u32_e32 v6, s37, v18
	v_add_u32_e32 v21, s39, v18
	v_mul_lo_u32 v6, v6, s36
	v_mul_lo_u32 v21, v21, s38
	s_mov_b64 s[8:9], 0
	v_sub_u32_e32 v6, v6, v21
	v_cmp_lt_u32_e32 vcc, s40, v6
	v_cmp_ge_u32_e64 s[2:3], s40, v6
	s_and_saveexec_b64 s[10:11], s[2:3]
	s_cbranch_execz .LBB126_54
; %bb.53:
	v_add_u32_e32 v6, s42, v18
	v_add_u32_e32 v21, s58, v18
	v_mul_lo_u32 v6, v6, s41
	v_mul_lo_u32 v21, v21, s43
	v_sub_u32_e32 v6, v6, v21
	v_cmp_lt_u32_e64 s[2:3], s59, v6
	s_and_b64 s[8:9], s[2:3], exec
.LBB126_54:
	s_or_b64 exec, exec, s[10:11]
	v_mov_b32_e32 v22, 8
	v_cndmask_b32_e64 v6, 0, 1, vcc
	s_movk_i32 s2, 0xff
	v_lshrrev_b32_sdwa v23, v22, v7 dst_sel:BYTE_1 dst_unused:UNUSED_PAD src0_sel:DWORD src1_sel:DWORD
	v_or_b32_sdwa v23, v7, v23 dst_sel:DWORD dst_unused:UNUSED_PAD src0_sel:BYTE_0 src1_sel:DWORD
	v_lshlrev_b16_e32 v6, 8, v6
	v_and_b32_sdwa v7, v7, s2 dst_sel:DWORD dst_unused:UNUSED_PAD src0_sel:WORD_1 src1_sel:DWORD
	v_or_b32_sdwa v6, v7, v6 dst_sel:WORD_1 dst_unused:UNUSED_PAD src0_sel:DWORD src1_sel:DWORD
	v_cndmask_b32_e64 v21, 0, 1, s[8:9]
	v_or_b32_sdwa v31, v23, v6 dst_sel:DWORD dst_unused:UNUSED_PAD src0_sel:WORD_0 src1_sel:DWORD
	v_lshlrev_b16_e32 v6, 8, v8
	v_and_b32_sdwa v7, v5, s2 dst_sel:DWORD dst_unused:UNUSED_PAD src0_sel:WORD_1 src1_sel:DWORD
	v_lshrrev_b32_sdwa v5, v22, v5 dst_sel:BYTE_1 dst_unused:UNUSED_PAD src0_sel:DWORD src1_sel:DWORD
	v_or_b32_sdwa v6, v7, v6 dst_sel:WORD_1 dst_unused:UNUSED_PAD src0_sel:DWORD src1_sel:DWORD
	v_or_b32_e32 v5, v21, v5
	v_or_b32_sdwa v6, v5, v6 dst_sel:DWORD dst_unused:UNUSED_PAD src0_sel:WORD_0 src1_sel:DWORD
.LBB126_55:
	s_or_b64 exec, exec, s[4:5]
	v_add_u32_e32 v5, 4, v30
	v_cmp_le_u32_e32 vcc, s18, v5
	v_lshrrev_b32_e32 v21, 24, v4
	v_lshrrev_b32_e32 v8, 24, v6
                                        ; implicit-def: $vgpr7
                                        ; implicit-def: $vgpr5
	s_and_saveexec_b64 s[2:3], vcc
	s_xor_b64 s[2:3], exec, s[2:3]
	s_cbranch_execz .LBB126_57
; %bb.56:
	s_movk_i32 s4, 0xff
	v_lshlrev_b16_e32 v5, 8, v21
	v_and_b32_sdwa v21, v4, s4 dst_sel:DWORD dst_unused:UNUSED_PAD src0_sel:WORD_1 src1_sel:DWORD
	v_mov_b32_e32 v7, 8
	v_or_b32_sdwa v5, v21, v5 dst_sel:WORD_1 dst_unused:UNUSED_PAD src0_sel:DWORD src1_sel:DWORD
	v_lshrrev_b32_sdwa v5, v7, v4 dst_sel:BYTE_1 dst_unused:UNUSED_PRESERVE src0_sel:DWORD src1_sel:DWORD
	v_lshlrev_b16_e32 v4, 8, v8
	v_and_b32_sdwa v7, v6, s4 dst_sel:DWORD dst_unused:UNUSED_PAD src0_sel:WORD_1 src1_sel:DWORD
	v_or_b32_e32 v4, v7, v4
	s_mov_b32 s4, 0x5040c00
	v_perm_b32 v7, v4, v6, s4
	s_mov_b32 s4, 0x3060504
	v_perm_b32 v3, v3, v3, s4
                                        ; implicit-def: $vgpr21
                                        ; implicit-def: $vgpr4
                                        ; implicit-def: $vgpr6
                                        ; implicit-def: $vgpr8
.LBB126_57:
	s_andn2_saveexec_b64 s[4:5], s[2:3]
	s_cbranch_execz .LBB126_61
; %bb.58:
	v_add_u32_e32 v5, s37, v15
	v_add_u32_e32 v7, s39, v15
	v_mul_lo_u32 v5, v5, s36
	v_mul_lo_u32 v7, v7, s38
	s_mov_b64 s[8:9], 0
	v_sub_u32_e32 v5, v5, v7
	v_cmp_lt_u32_e32 vcc, s40, v5
	v_cmp_ge_u32_e64 s[2:3], s40, v5
	s_and_saveexec_b64 s[10:11], s[2:3]
	s_cbranch_execz .LBB126_60
; %bb.59:
	v_add_u32_e32 v5, s42, v15
	v_add_u32_e32 v7, s58, v15
	v_mul_lo_u32 v5, v5, s41
	v_mul_lo_u32 v7, v7, s43
	v_sub_u32_e32 v5, v5, v7
	v_cmp_lt_u32_e64 s[2:3], s59, v5
	s_and_b64 s[8:9], s[2:3], exec
.LBB126_60:
	s_or_b64 exec, exec, s[10:11]
	s_movk_i32 s2, 0xff
	v_lshlrev_b16_e32 v21, 8, v21
	v_and_b32_sdwa v22, v4, s2 dst_sel:DWORD dst_unused:UNUSED_PAD src0_sel:WORD_1 src1_sel:DWORD
	v_or_b32_sdwa v21, v22, v21 dst_sel:WORD_1 dst_unused:UNUSED_PAD src0_sel:DWORD src1_sel:DWORD
	v_mov_b32_e32 v22, 8
	v_cndmask_b32_e64 v5, 0, 1, vcc
	v_lshrrev_b32_sdwa v4, v22, v4 dst_sel:BYTE_1 dst_unused:UNUSED_PAD src0_sel:DWORD src1_sel:DWORD
	v_cndmask_b32_e64 v7, 0, 1, s[8:9]
	v_or_b32_e32 v4, v5, v4
	v_or_b32_sdwa v5, v4, v21 dst_sel:DWORD dst_unused:UNUSED_PAD src0_sel:WORD_0 src1_sel:DWORD
	v_lshlrev_b16_e32 v4, 8, v7
	v_or_b32_sdwa v4, v6, v4 dst_sel:DWORD dst_unused:UNUSED_PAD src0_sel:BYTE_0 src1_sel:DWORD
	v_lshlrev_b16_e32 v7, 8, v8
	v_and_b32_sdwa v6, v6, s2 dst_sel:DWORD dst_unused:UNUSED_PAD src0_sel:WORD_1 src1_sel:DWORD
	v_or_b32_sdwa v6, v6, v7 dst_sel:WORD_1 dst_unused:UNUSED_PAD src0_sel:DWORD src1_sel:DWORD
	v_or_b32_sdwa v7, v4, v6 dst_sel:DWORD dst_unused:UNUSED_PAD src0_sel:WORD_0 src1_sel:DWORD
.LBB126_61:
	s_or_b64 exec, exec, s[4:5]
	v_add_u32_e32 v4, 5, v30
	v_cmp_le_u32_e32 vcc, s18, v4
	v_lshrrev_b32_e32 v8, 24, v7
	v_lshrrev_b32_e32 v21, 24, v5
                                        ; implicit-def: $vgpr4
                                        ; implicit-def: $vgpr6
	s_and_saveexec_b64 s[2:3], vcc
	s_xor_b64 s[2:3], exec, s[2:3]
	s_cbranch_execz .LBB126_63
; %bb.62:
	s_mov_b32 s4, 0x40c0100
	v_perm_b32 v4, v8, v7, s4
	s_movk_i32 s4, 0xff
	v_lshlrev_b16_e32 v6, 8, v21
	v_and_b32_sdwa v7, v5, s4 dst_sel:DWORD dst_unused:UNUSED_PAD src0_sel:WORD_1 src1_sel:DWORD
	v_or_b32_e32 v6, v7, v6
	s_mov_b32 s4, 0x5040c00
	v_perm_b32 v6, v6, v5, s4
	v_mov_b32_e32 v5, 8
	v_lshrrev_b32_sdwa v5, v5, v4 dst_sel:BYTE_1 dst_unused:UNUSED_PAD src0_sel:DWORD src1_sel:DWORD
	v_or_b32_sdwa v5, v4, v5 dst_sel:DWORD dst_unused:UNUSED_PAD src0_sel:BYTE_0 src1_sel:DWORD
	v_and_b32_e32 v5, 0xffff, v5
	s_mov_b32 s4, 0xff000000
	v_and_or_b32 v4, v4, s4, v5
	s_mov_b32 s4, 0x3060504
	v_perm_b32 v3, v3, v3, s4
                                        ; implicit-def: $vgpr5
                                        ; implicit-def: $vgpr21
                                        ; implicit-def: $vgpr7
                                        ; implicit-def: $vgpr8
.LBB126_63:
	s_andn2_saveexec_b64 s[4:5], s[2:3]
	s_cbranch_execz .LBB126_67
; %bb.64:
	v_add_u32_e32 v4, s37, v16
	v_add_u32_e32 v6, s39, v16
	v_mul_lo_u32 v4, v4, s36
	v_mul_lo_u32 v6, v6, s38
	s_mov_b64 s[8:9], 0
	v_sub_u32_e32 v4, v4, v6
	v_cmp_lt_u32_e32 vcc, s40, v4
	v_cmp_ge_u32_e64 s[2:3], s40, v4
	s_and_saveexec_b64 s[10:11], s[2:3]
	s_cbranch_execz .LBB126_66
; %bb.65:
	v_add_u32_e32 v4, s42, v16
	v_add_u32_e32 v6, s58, v16
	v_mul_lo_u32 v4, v4, s41
	v_mul_lo_u32 v6, v6, s43
	v_sub_u32_e32 v4, v4, v6
	v_cmp_lt_u32_e64 s[2:3], s59, v4
	s_and_b64 s[8:9], s[2:3], exec
.LBB126_66:
	s_or_b64 exec, exec, s[10:11]
	v_cndmask_b32_e64 v4, 0, 1, vcc
	v_lshlrev_b16_e32 v4, 8, v4
	s_movk_i32 s2, 0xff
	v_or_b32_sdwa v4, v5, v4 dst_sel:DWORD dst_unused:UNUSED_PAD src0_sel:BYTE_0 src1_sel:DWORD
	v_lshlrev_b16_e32 v6, 8, v21
	v_and_b32_sdwa v5, v5, s2 dst_sel:DWORD dst_unused:UNUSED_PAD src0_sel:WORD_1 src1_sel:DWORD
	v_or_b32_sdwa v5, v5, v6 dst_sel:WORD_1 dst_unused:UNUSED_PAD src0_sel:DWORD src1_sel:DWORD
	v_or_b32_sdwa v6, v4, v5 dst_sel:DWORD dst_unused:UNUSED_PAD src0_sel:WORD_0 src1_sel:DWORD
	v_mov_b32_e32 v4, 8
	v_cndmask_b32_e64 v22, 0, 1, s[8:9]
	v_lshrrev_b32_sdwa v4, v4, v7 dst_sel:BYTE_1 dst_unused:UNUSED_PAD src0_sel:DWORD src1_sel:DWORD
	v_lshlrev_b16_e32 v5, 8, v8
	v_or_b32_sdwa v4, v7, v4 dst_sel:DWORD dst_unused:UNUSED_PAD src0_sel:BYTE_0 src1_sel:DWORD
	v_or_b32_sdwa v5, v22, v5 dst_sel:WORD_1 dst_unused:UNUSED_PAD src0_sel:DWORD src1_sel:DWORD
	v_or_b32_sdwa v4, v4, v5 dst_sel:DWORD dst_unused:UNUSED_PAD src0_sel:WORD_0 src1_sel:DWORD
.LBB126_67:
	s_or_b64 exec, exec, s[4:5]
	v_add_u32_e32 v5, 6, v30
	v_cmp_le_u32_e32 vcc, s18, v5
	v_lshrrev_b32_e32 v7, 24, v6
                                        ; implicit-def: $vgpr32
                                        ; implicit-def: $vgpr5
	s_and_saveexec_b64 s[2:3], vcc
	s_xor_b64 s[2:3], exec, s[2:3]
	s_cbranch_execz .LBB126_69
; %bb.68:
	s_mov_b32 s4, 0x40c0100
	v_perm_b32 v5, v7, v6, s4
	v_mov_b32_e32 v6, 8
	v_lshrrev_b32_sdwa v6, v6, v5 dst_sel:BYTE_1 dst_unused:UNUSED_PAD src0_sel:DWORD src1_sel:DWORD
	v_or_b32_sdwa v6, v5, v6 dst_sel:DWORD dst_unused:UNUSED_PAD src0_sel:BYTE_0 src1_sel:DWORD
	v_and_b32_e32 v6, 0xffff, v6
	s_mov_b32 s4, 0xff000000
	v_and_b32_e32 v8, 0xff0000, v4
	v_and_or_b32 v5, v5, s4, v6
	s_mov_b32 s4, 0x3020504
	v_perm_b32 v32, v4, v8, s4
	s_mov_b32 s4, 0x3060504
	v_perm_b32 v3, v3, v3, s4
                                        ; implicit-def: $vgpr6
                                        ; implicit-def: $vgpr7
                                        ; implicit-def: $vgpr4
.LBB126_69:
	s_andn2_saveexec_b64 s[4:5], s[2:3]
	s_cbranch_execz .LBB126_73
; %bb.70:
	v_add_u32_e32 v5, s37, v13
	v_add_u32_e32 v8, s39, v13
	v_mul_lo_u32 v5, v5, s36
	v_mul_lo_u32 v8, v8, s38
	s_mov_b64 s[8:9], 0
	v_sub_u32_e32 v5, v5, v8
	v_cmp_lt_u32_e32 vcc, s40, v5
	v_cmp_ge_u32_e64 s[2:3], s40, v5
	s_and_saveexec_b64 s[10:11], s[2:3]
	s_cbranch_execz .LBB126_72
; %bb.71:
	v_add_u32_e32 v5, s42, v13
	v_add_u32_e32 v8, s58, v13
	v_mul_lo_u32 v5, v5, s41
	v_mul_lo_u32 v8, v8, s43
	v_sub_u32_e32 v5, v5, v8
	v_cmp_lt_u32_e64 s[2:3], s59, v5
	s_and_b64 s[8:9], s[2:3], exec
.LBB126_72:
	s_or_b64 exec, exec, s[10:11]
	v_mov_b32_e32 v21, 8
	v_cndmask_b32_e64 v5, 0, 1, vcc
	v_lshrrev_b32_sdwa v22, v21, v6 dst_sel:BYTE_1 dst_unused:UNUSED_PAD src0_sel:DWORD src1_sel:DWORD
	v_lshlrev_b16_e32 v7, 8, v7
	v_or_b32_sdwa v6, v6, v22 dst_sel:DWORD dst_unused:UNUSED_PAD src0_sel:BYTE_0 src1_sel:DWORD
	v_or_b32_sdwa v5, v5, v7 dst_sel:WORD_1 dst_unused:UNUSED_PAD src0_sel:DWORD src1_sel:DWORD
	v_cndmask_b32_e64 v8, 0, 1, s[8:9]
	s_movk_i32 s2, 0xff
	v_or_b32_sdwa v5, v6, v5 dst_sel:DWORD dst_unused:UNUSED_PAD src0_sel:WORD_0 src1_sel:DWORD
	v_lshrrev_b32_sdwa v6, v21, v4 dst_sel:BYTE_1 dst_unused:UNUSED_PAD src0_sel:DWORD src1_sel:DWORD
	v_or_b32_sdwa v6, v4, v6 dst_sel:DWORD dst_unused:UNUSED_PAD src0_sel:BYTE_0 src1_sel:DWORD
	v_lshlrev_b16_e32 v7, 8, v8
	v_and_b32_sdwa v4, v4, s2 dst_sel:DWORD dst_unused:UNUSED_PAD src0_sel:WORD_1 src1_sel:DWORD
	v_or_b32_sdwa v4, v4, v7 dst_sel:WORD_1 dst_unused:UNUSED_PAD src0_sel:DWORD src1_sel:DWORD
	v_or_b32_sdwa v32, v6, v4 dst_sel:DWORD dst_unused:UNUSED_PAD src0_sel:WORD_0 src1_sel:DWORD
.LBB126_73:
	s_or_b64 exec, exec, s[4:5]
	v_add_u32_e32 v4, 7, v30
	v_cmp_le_u32_e32 vcc, s18, v4
	v_lshrrev_b32_e32 v6, 24, v3
                                        ; implicit-def: $vgpr4
                                        ; implicit-def: $vgpr33
	s_and_saveexec_b64 s[2:3], vcc
	s_xor_b64 s[2:3], exec, s[2:3]
; %bb.74:
	v_and_b32_e32 v4, 0xff0000, v5
	s_mov_b32 s4, 0x3020504
	v_perm_b32 v33, v5, v4, s4
	s_movk_i32 s4, 0xff
	v_lshlrev_b16_e32 v4, 8, v6
	v_and_b32_sdwa v5, v3, s4 dst_sel:DWORD dst_unused:UNUSED_PAD src0_sel:WORD_1 src1_sel:DWORD
	v_mov_b32_e32 v7, 8
	v_or_b32_sdwa v4, v5, v4 dst_sel:WORD_1 dst_unused:UNUSED_PAD src0_sel:DWORD src1_sel:DWORD
	v_lshrrev_b32_sdwa v4, v7, v3 dst_sel:BYTE_1 dst_unused:UNUSED_PRESERVE src0_sel:DWORD src1_sel:DWORD
                                        ; implicit-def: $vgpr5
                                        ; implicit-def: $vgpr6
                                        ; implicit-def: $vgpr3
; %bb.75:
	s_andn2_saveexec_b64 s[4:5], s[2:3]
	s_cbranch_execz .LBB126_79
; %bb.76:
	v_add_u32_e32 v4, s37, v14
	v_add_u32_e32 v7, s39, v14
	v_mul_lo_u32 v4, v4, s36
	v_mul_lo_u32 v7, v7, s38
	s_mov_b64 s[8:9], 0
	v_sub_u32_e32 v4, v4, v7
	v_cmp_lt_u32_e32 vcc, s40, v4
	v_cmp_ge_u32_e64 s[2:3], s40, v4
	s_and_saveexec_b64 s[10:11], s[2:3]
	s_cbranch_execz .LBB126_78
; %bb.77:
	v_add_u32_e32 v4, s42, v14
	v_add_u32_e32 v7, s58, v14
	v_mul_lo_u32 v4, v4, s41
	v_mul_lo_u32 v7, v7, s43
	v_sub_u32_e32 v4, v4, v7
	v_cmp_lt_u32_e64 s[2:3], s59, v4
	s_and_b64 s[8:9], s[2:3], exec
.LBB126_78:
	s_or_b64 exec, exec, s[10:11]
	v_mov_b32_e32 v8, 8
	v_cndmask_b32_e64 v4, 0, 1, vcc
	s_movk_i32 s2, 0xff
	v_lshrrev_b32_sdwa v21, v8, v5 dst_sel:BYTE_1 dst_unused:UNUSED_PAD src0_sel:DWORD src1_sel:DWORD
	v_or_b32_sdwa v21, v5, v21 dst_sel:DWORD dst_unused:UNUSED_PAD src0_sel:BYTE_0 src1_sel:DWORD
	v_lshlrev_b16_e32 v4, 8, v4
	v_and_b32_sdwa v5, v5, s2 dst_sel:DWORD dst_unused:UNUSED_PAD src0_sel:WORD_1 src1_sel:DWORD
	v_or_b32_sdwa v4, v5, v4 dst_sel:WORD_1 dst_unused:UNUSED_PAD src0_sel:DWORD src1_sel:DWORD
	v_cndmask_b32_e64 v7, 0, 1, s[8:9]
	v_or_b32_sdwa v33, v21, v4 dst_sel:DWORD dst_unused:UNUSED_PAD src0_sel:WORD_0 src1_sel:DWORD
	v_lshlrev_b16_e32 v4, 8, v6
	v_and_b32_sdwa v5, v3, s2 dst_sel:DWORD dst_unused:UNUSED_PAD src0_sel:WORD_1 src1_sel:DWORD
	v_lshrrev_b32_sdwa v3, v8, v3 dst_sel:BYTE_1 dst_unused:UNUSED_PAD src0_sel:DWORD src1_sel:DWORD
	v_or_b32_sdwa v4, v5, v4 dst_sel:WORD_1 dst_unused:UNUSED_PAD src0_sel:DWORD src1_sel:DWORD
	v_or_b32_e32 v3, v7, v3
	v_or_b32_sdwa v4, v3, v4 dst_sel:DWORD dst_unused:UNUSED_PAD src0_sel:WORD_0 src1_sel:DWORD
.LBB126_79:
	s_or_b64 exec, exec, s[4:5]
	v_add_u32_e32 v3, 8, v30
	v_cmp_le_u32_e32 vcc, s18, v3
	v_lshrrev_b32_e32 v6, 24, v4
	v_lshrrev_b32_e32 v7, 24, v2
                                        ; implicit-def: $vgpr5
                                        ; implicit-def: $vgpr3
	s_and_saveexec_b64 s[2:3], vcc
	s_xor_b64 s[2:3], exec, s[2:3]
	s_cbranch_execz .LBB126_81
; %bb.80:
	s_movk_i32 s4, 0xff
	v_lshlrev_b16_e32 v3, 8, v7
	v_and_b32_sdwa v5, v2, s4 dst_sel:DWORD dst_unused:UNUSED_PAD src0_sel:WORD_1 src1_sel:DWORD
	v_or_b32_sdwa v3, v5, v3 dst_sel:WORD_1 dst_unused:UNUSED_PAD src0_sel:DWORD src1_sel:DWORD
	v_mov_b32_e32 v5, 8
	v_lshrrev_b32_sdwa v3, v5, v2 dst_sel:BYTE_1 dst_unused:UNUSED_PRESERVE src0_sel:DWORD src1_sel:DWORD
	v_lshlrev_b16_e32 v2, 8, v6
	v_and_b32_sdwa v5, v4, s4 dst_sel:DWORD dst_unused:UNUSED_PAD src0_sel:WORD_1 src1_sel:DWORD
	s_mov_b32 s5, 0x3060504
	v_or_b32_e32 v2, v5, v2
	s_mov_b32 s4, 0x5040c00
	v_perm_b32 v1, v1, v1, s5
	v_perm_b32 v5, v2, v4, s4
                                        ; implicit-def: $vgpr7
                                        ; implicit-def: $vgpr2
                                        ; implicit-def: $vgpr4
                                        ; implicit-def: $vgpr6
.LBB126_81:
	s_andn2_saveexec_b64 s[4:5], s[2:3]
	s_cbranch_execz .LBB126_85
; %bb.82:
	v_add_u32_e32 v3, s37, v11
	v_add_u32_e32 v5, s39, v11
	v_mul_lo_u32 v3, v3, s36
	v_mul_lo_u32 v5, v5, s38
	s_mov_b64 s[8:9], 0
	v_sub_u32_e32 v3, v3, v5
	v_cmp_lt_u32_e32 vcc, s40, v3
	v_cmp_ge_u32_e64 s[2:3], s40, v3
	s_and_saveexec_b64 s[10:11], s[2:3]
	s_cbranch_execz .LBB126_84
; %bb.83:
	v_add_u32_e32 v3, s42, v11
	v_add_u32_e32 v5, s58, v11
	v_mul_lo_u32 v3, v3, s41
	v_mul_lo_u32 v5, v5, s43
	v_sub_u32_e32 v3, v3, v5
	v_cmp_lt_u32_e64 s[2:3], s59, v3
	s_and_b64 s[8:9], s[2:3], exec
.LBB126_84:
	s_or_b64 exec, exec, s[10:11]
	s_movk_i32 s2, 0xff
	v_lshlrev_b16_e32 v7, 8, v7
	v_and_b32_sdwa v8, v2, s2 dst_sel:DWORD dst_unused:UNUSED_PAD src0_sel:WORD_1 src1_sel:DWORD
	v_or_b32_sdwa v7, v8, v7 dst_sel:WORD_1 dst_unused:UNUSED_PAD src0_sel:DWORD src1_sel:DWORD
	v_mov_b32_e32 v8, 8
	v_cndmask_b32_e64 v3, 0, 1, vcc
	v_lshrrev_b32_sdwa v2, v8, v2 dst_sel:BYTE_1 dst_unused:UNUSED_PAD src0_sel:DWORD src1_sel:DWORD
	v_cndmask_b32_e64 v5, 0, 1, s[8:9]
	v_or_b32_e32 v2, v3, v2
	v_or_b32_sdwa v3, v2, v7 dst_sel:DWORD dst_unused:UNUSED_PAD src0_sel:WORD_0 src1_sel:DWORD
	v_lshlrev_b16_e32 v2, 8, v5
	v_or_b32_sdwa v2, v4, v2 dst_sel:DWORD dst_unused:UNUSED_PAD src0_sel:BYTE_0 src1_sel:DWORD
	v_lshlrev_b16_e32 v5, 8, v6
	v_and_b32_sdwa v4, v4, s2 dst_sel:DWORD dst_unused:UNUSED_PAD src0_sel:WORD_1 src1_sel:DWORD
	v_or_b32_sdwa v4, v4, v5 dst_sel:WORD_1 dst_unused:UNUSED_PAD src0_sel:DWORD src1_sel:DWORD
	v_or_b32_sdwa v5, v2, v4 dst_sel:DWORD dst_unused:UNUSED_PAD src0_sel:WORD_0 src1_sel:DWORD
.LBB126_85:
	s_or_b64 exec, exec, s[4:5]
	v_add_u32_e32 v2, 9, v30
	v_cmp_le_u32_e32 vcc, s18, v2
	v_lshrrev_b32_e32 v6, 24, v5
	v_lshrrev_b32_e32 v7, 24, v3
                                        ; implicit-def: $vgpr2
                                        ; implicit-def: $vgpr4
	s_and_saveexec_b64 s[2:3], vcc
	s_xor_b64 s[2:3], exec, s[2:3]
	s_cbranch_execz .LBB126_87
; %bb.86:
	s_mov_b32 s4, 0x40c0100
	v_perm_b32 v2, v6, v5, s4
	v_mov_b32_e32 v4, 8
	s_movk_i32 s4, 0xff
	v_lshrrev_b32_sdwa v5, v4, v2 dst_sel:BYTE_1 dst_unused:UNUSED_PAD src0_sel:DWORD src1_sel:DWORD
	v_lshlrev_b16_e32 v4, 8, v7
	v_and_b32_sdwa v6, v3, s4 dst_sel:DWORD dst_unused:UNUSED_PAD src0_sel:WORD_1 src1_sel:DWORD
	v_or_b32_e32 v4, v6, v4
	s_mov_b32 s4, 0x5040c00
	v_perm_b32 v4, v4, v3, s4
	s_mov_b32 s4, 0x3060504
	v_or_b32_sdwa v3, v2, v5 dst_sel:DWORD dst_unused:UNUSED_PAD src0_sel:BYTE_0 src1_sel:DWORD
	v_perm_b32 v1, v1, v1, s4
	v_and_b32_e32 v3, 0xffff, v3
	s_mov_b32 s4, 0xff000000
	v_and_or_b32 v2, v2, s4, v3
                                        ; implicit-def: $vgpr3
                                        ; implicit-def: $vgpr7
                                        ; implicit-def: $vgpr5
                                        ; implicit-def: $vgpr6
.LBB126_87:
	s_andn2_saveexec_b64 s[4:5], s[2:3]
	s_cbranch_execz .LBB126_91
; %bb.88:
	v_add_u32_e32 v2, s37, v12
	v_add_u32_e32 v4, s39, v12
	v_mul_lo_u32 v2, v2, s36
	v_mul_lo_u32 v4, v4, s38
	s_mov_b64 s[8:9], 0
	v_sub_u32_e32 v2, v2, v4
	v_cmp_lt_u32_e32 vcc, s40, v2
	v_cmp_ge_u32_e64 s[2:3], s40, v2
	s_and_saveexec_b64 s[10:11], s[2:3]
	s_cbranch_execz .LBB126_90
; %bb.89:
	v_add_u32_e32 v2, s42, v12
	v_add_u32_e32 v4, s58, v12
	v_mul_lo_u32 v2, v2, s41
	v_mul_lo_u32 v4, v4, s43
	v_sub_u32_e32 v2, v2, v4
	v_cmp_lt_u32_e64 s[2:3], s59, v2
	s_and_b64 s[8:9], s[2:3], exec
.LBB126_90:
	s_or_b64 exec, exec, s[10:11]
	v_cndmask_b32_e64 v2, 0, 1, vcc
	v_lshlrev_b16_e32 v2, 8, v2
	s_movk_i32 s2, 0xff
	v_or_b32_sdwa v2, v3, v2 dst_sel:DWORD dst_unused:UNUSED_PAD src0_sel:BYTE_0 src1_sel:DWORD
	v_lshlrev_b16_e32 v4, 8, v7
	v_and_b32_sdwa v3, v3, s2 dst_sel:DWORD dst_unused:UNUSED_PAD src0_sel:WORD_1 src1_sel:DWORD
	v_or_b32_sdwa v3, v3, v4 dst_sel:WORD_1 dst_unused:UNUSED_PAD src0_sel:DWORD src1_sel:DWORD
	v_or_b32_sdwa v4, v2, v3 dst_sel:DWORD dst_unused:UNUSED_PAD src0_sel:WORD_0 src1_sel:DWORD
	v_mov_b32_e32 v2, 8
	v_cndmask_b32_e64 v8, 0, 1, s[8:9]
	v_lshrrev_b32_sdwa v2, v2, v5 dst_sel:BYTE_1 dst_unused:UNUSED_PAD src0_sel:DWORD src1_sel:DWORD
	v_lshlrev_b16_e32 v3, 8, v6
	v_or_b32_sdwa v2, v5, v2 dst_sel:DWORD dst_unused:UNUSED_PAD src0_sel:BYTE_0 src1_sel:DWORD
	v_or_b32_sdwa v3, v8, v3 dst_sel:WORD_1 dst_unused:UNUSED_PAD src0_sel:DWORD src1_sel:DWORD
	v_or_b32_sdwa v2, v2, v3 dst_sel:DWORD dst_unused:UNUSED_PAD src0_sel:WORD_0 src1_sel:DWORD
.LBB126_91:
	s_or_b64 exec, exec, s[4:5]
	v_add_u32_e32 v3, 10, v30
	v_cmp_le_u32_e32 vcc, s18, v3
	v_lshrrev_b32_e32 v5, 24, v4
                                        ; implicit-def: $vgpr34
                                        ; implicit-def: $vgpr3
	s_and_saveexec_b64 s[2:3], vcc
	s_xor_b64 s[2:3], exec, s[2:3]
	s_cbranch_execz .LBB126_93
; %bb.92:
	s_mov_b32 s4, 0x40c0100
	v_perm_b32 v3, v5, v4, s4
	v_mov_b32_e32 v4, 8
	v_lshrrev_b32_sdwa v4, v4, v3 dst_sel:BYTE_1 dst_unused:UNUSED_PAD src0_sel:DWORD src1_sel:DWORD
	v_or_b32_sdwa v4, v3, v4 dst_sel:DWORD dst_unused:UNUSED_PAD src0_sel:BYTE_0 src1_sel:DWORD
	v_and_b32_e32 v4, 0xffff, v4
	s_mov_b32 s4, 0xff000000
	v_and_or_b32 v3, v3, s4, v4
	s_mov_b32 s4, 0x3060504
	v_and_b32_e32 v6, 0xff0000, v2
	v_perm_b32 v1, v1, v1, s4
	s_mov_b32 s4, 0x3020504
	v_perm_b32 v34, v2, v6, s4
                                        ; implicit-def: $vgpr4
                                        ; implicit-def: $vgpr5
                                        ; implicit-def: $vgpr2
.LBB126_93:
	s_andn2_saveexec_b64 s[4:5], s[2:3]
	s_cbranch_execz .LBB126_97
; %bb.94:
	v_add_u32_e32 v3, s37, v9
	v_add_u32_e32 v6, s39, v9
	v_mul_lo_u32 v3, v3, s36
	v_mul_lo_u32 v6, v6, s38
	s_mov_b64 s[8:9], 0
	v_sub_u32_e32 v3, v3, v6
	v_cmp_lt_u32_e32 vcc, s40, v3
	v_cmp_ge_u32_e64 s[2:3], s40, v3
	s_and_saveexec_b64 s[10:11], s[2:3]
	s_cbranch_execz .LBB126_96
; %bb.95:
	v_add_u32_e32 v3, s42, v9
	v_add_u32_e32 v6, s58, v9
	v_mul_lo_u32 v3, v3, s41
	v_mul_lo_u32 v6, v6, s43
	v_sub_u32_e32 v3, v3, v6
	v_cmp_lt_u32_e64 s[2:3], s59, v3
	s_and_b64 s[8:9], s[2:3], exec
.LBB126_96:
	s_or_b64 exec, exec, s[10:11]
	v_mov_b32_e32 v7, 8
	v_cndmask_b32_e64 v3, 0, 1, vcc
	v_lshrrev_b32_sdwa v8, v7, v4 dst_sel:BYTE_1 dst_unused:UNUSED_PAD src0_sel:DWORD src1_sel:DWORD
	v_lshlrev_b16_e32 v5, 8, v5
	v_or_b32_sdwa v4, v4, v8 dst_sel:DWORD dst_unused:UNUSED_PAD src0_sel:BYTE_0 src1_sel:DWORD
	v_or_b32_sdwa v3, v3, v5 dst_sel:WORD_1 dst_unused:UNUSED_PAD src0_sel:DWORD src1_sel:DWORD
	v_cndmask_b32_e64 v6, 0, 1, s[8:9]
	s_movk_i32 s2, 0xff
	v_or_b32_sdwa v3, v4, v3 dst_sel:DWORD dst_unused:UNUSED_PAD src0_sel:WORD_0 src1_sel:DWORD
	v_lshrrev_b32_sdwa v4, v7, v2 dst_sel:BYTE_1 dst_unused:UNUSED_PAD src0_sel:DWORD src1_sel:DWORD
	v_or_b32_sdwa v4, v2, v4 dst_sel:DWORD dst_unused:UNUSED_PAD src0_sel:BYTE_0 src1_sel:DWORD
	v_lshlrev_b16_e32 v5, 8, v6
	v_and_b32_sdwa v2, v2, s2 dst_sel:DWORD dst_unused:UNUSED_PAD src0_sel:WORD_1 src1_sel:DWORD
	v_or_b32_sdwa v2, v2, v5 dst_sel:WORD_1 dst_unused:UNUSED_PAD src0_sel:DWORD src1_sel:DWORD
	v_or_b32_sdwa v34, v4, v2 dst_sel:DWORD dst_unused:UNUSED_PAD src0_sel:WORD_0 src1_sel:DWORD
.LBB126_97:
	s_or_b64 exec, exec, s[4:5]
	v_add_u32_e32 v2, 11, v30
	v_mov_b32_e32 v35, 0
	v_cmp_le_u32_e32 vcc, s18, v2
                                        ; implicit-def: $vgpr36
	s_and_saveexec_b64 s[2:3], vcc
	s_xor_b64 s[2:3], exec, s[2:3]
; %bb.98:
	v_and_b32_e32 v2, 0xff0000, v3
	s_mov_b32 s4, 0x3020504
	v_perm_b32 v36, v3, v2, s4
	s_mov_b32 s4, 0x3060504
	v_perm_b32 v1, v1, v1, s4
                                        ; implicit-def: $vgpr3
; %bb.99:
	s_andn2_saveexec_b64 s[4:5], s[2:3]
	s_cbranch_execz .LBB126_103
; %bb.100:
	v_add_u32_e32 v2, s37, v10
	v_add_u32_e32 v4, s39, v10
	v_mul_lo_u32 v2, v2, s36
	v_mul_lo_u32 v4, v4, s38
	s_mov_b64 s[8:9], 0
	v_sub_u32_e32 v2, v2, v4
	v_cmp_lt_u32_e32 vcc, s40, v2
	v_cmp_ge_u32_e64 s[2:3], s40, v2
	s_and_saveexec_b64 s[10:11], s[2:3]
	s_cbranch_execz .LBB126_102
; %bb.101:
	v_add_u32_e32 v2, s42, v10
	v_add_u32_e32 v4, s58, v10
	v_mul_lo_u32 v2, v2, s41
	v_mul_lo_u32 v4, v4, s43
	v_sub_u32_e32 v2, v2, v4
	v_cmp_lt_u32_e64 s[2:3], s59, v2
	s_and_b64 s[8:9], s[2:3], exec
.LBB126_102:
	s_or_b64 exec, exec, s[10:11]
	v_mov_b32_e32 v4, 8
	v_cndmask_b32_e64 v2, 0, 1, vcc
	s_movk_i32 s2, 0xff
	v_lshrrev_b32_sdwa v4, v4, v3 dst_sel:BYTE_1 dst_unused:UNUSED_PAD src0_sel:DWORD src1_sel:DWORD
	v_or_b32_sdwa v4, v3, v4 dst_sel:DWORD dst_unused:UNUSED_PAD src0_sel:BYTE_0 src1_sel:DWORD
	v_lshlrev_b16_e32 v2, 8, v2
	v_and_b32_sdwa v3, v3, s2 dst_sel:DWORD dst_unused:UNUSED_PAD src0_sel:WORD_1 src1_sel:DWORD
	v_or_b32_sdwa v2, v3, v2 dst_sel:WORD_1 dst_unused:UNUSED_PAD src0_sel:DWORD src1_sel:DWORD
	v_cndmask_b32_e64 v35, 0, 1, s[8:9]
	v_or_b32_sdwa v36, v4, v2 dst_sel:DWORD dst_unused:UNUSED_PAD src0_sel:WORD_0 src1_sel:DWORD
.LBB126_103:
	s_or_b64 exec, exec, s[4:5]
	v_add_u32_e32 v2, 12, v30
	v_cmp_le_u32_e32 vcc, s18, v2
	v_lshrrev_b32_e32 v2, 24, v1
                                        ; implicit-def: $vgpr37
	s_and_saveexec_b64 s[2:3], vcc
	s_xor_b64 s[2:3], exec, s[2:3]
; %bb.104:
	s_movk_i32 s4, 0xff
	v_lshlrev_b16_e32 v2, 8, v2
	v_and_b32_sdwa v4, v1, s4 dst_sel:DWORD dst_unused:UNUSED_PAD src0_sel:WORD_1 src1_sel:DWORD
	v_mov_b32_e32 v3, 8
	v_or_b32_sdwa v37, v4, v2 dst_sel:WORD_1 dst_unused:UNUSED_PAD src0_sel:DWORD src1_sel:DWORD
	v_lshrrev_b32_sdwa v37, v3, v1 dst_sel:BYTE_1 dst_unused:UNUSED_PRESERVE src0_sel:DWORD src1_sel:DWORD
                                        ; implicit-def: $vgpr2
                                        ; implicit-def: $vgpr1
; %bb.105:
	s_or_saveexec_b64 s[4:5], s[2:3]
	v_mov_b32_e32 v38, 0
	s_xor_b64 exec, exec, s[4:5]
	s_cbranch_execz .LBB126_109
; %bb.106:
	v_add_u32_e32 v3, s37, v29
	v_add_u32_e32 v4, s39, v29
	v_mul_lo_u32 v3, v3, s36
	v_mul_lo_u32 v4, v4, s38
	s_mov_b64 s[8:9], 0
	v_sub_u32_e32 v3, v3, v4
	v_cmp_lt_u32_e32 vcc, s40, v3
	v_cmp_ge_u32_e64 s[2:3], s40, v3
	s_and_saveexec_b64 s[10:11], s[2:3]
	s_cbranch_execz .LBB126_108
; %bb.107:
	v_add_u32_e32 v3, s42, v29
	v_add_u32_e32 v4, s58, v29
	v_mul_lo_u32 v3, v3, s41
	v_mul_lo_u32 v4, v4, s43
	v_sub_u32_e32 v3, v3, v4
	v_cmp_lt_u32_e64 s[2:3], s59, v3
	s_and_b64 s[8:9], s[2:3], exec
.LBB126_108:
	s_or_b64 exec, exec, s[10:11]
	s_movk_i32 s2, 0xff
	v_lshlrev_b16_e32 v2, 8, v2
	v_and_b32_sdwa v4, v1, s2 dst_sel:DWORD dst_unused:UNUSED_PAD src0_sel:WORD_1 src1_sel:DWORD
	v_or_b32_sdwa v2, v4, v2 dst_sel:WORD_1 dst_unused:UNUSED_PAD src0_sel:DWORD src1_sel:DWORD
	v_mov_b32_e32 v4, 8
	v_cndmask_b32_e64 v3, 0, 1, vcc
	v_lshrrev_b32_sdwa v1, v4, v1 dst_sel:BYTE_1 dst_unused:UNUSED_PAD src0_sel:DWORD src1_sel:DWORD
	v_or_b32_e32 v1, v3, v1
	v_cndmask_b32_e64 v38, 0, 1, s[8:9]
	v_or_b32_sdwa v37, v1, v2 dst_sel:DWORD dst_unused:UNUSED_PAD src0_sel:WORD_0 src1_sel:DWORD
.LBB126_109:
	s_or_b64 exec, exec, s[4:5]
.LBB126_110:
	v_and_b32_e32 v48, 0xff, v31
	v_bfe_u32 v45, v31, 8, 8
	v_bfe_u32 v50, v31, 16, 8
	v_lshrrev_b32_e32 v43, 24, v31
	v_and_b32_e32 v51, 0xff, v33
	v_add3_u32 v4, v45, v48, v50
	v_bfe_u32 v46, v33, 8, 8
	v_bfe_u32 v53, v33, 16, 8
	v_add3_u32 v4, v4, v43, v51
	v_bfe_u32 v49, v37, 8, 8
	v_bfe_u32 v57, v37, 16, 8
	v_lshrrev_b32_e32 v44, 24, v37
	v_lshrrev_b32_e32 v41, 24, v33
	v_and_b32_e32 v54, 0xff, v36
	v_add3_u32 v4, v4, v46, v53
	v_and_b32_e32 v58, 0xff, v32
	v_bfe_u32 v52, v32, 8, 8
	v_bfe_u32 v47, v36, 8, 8
	;; [unrolled: 1-line block ×3, first 2 shown]
	v_add3_u32 v3, v57, v49, v44
	v_add3_u32 v4, v4, v41, v54
	v_bfe_u32 v59, v32, 16, 8
	v_lshrrev_b32_e32 v42, 24, v32
	v_lshrrev_b32_e32 v39, 24, v36
	v_and_b32_e32 v1, 0xff, v37
	v_add3_u32 v3, v3, v58, v52
	v_add3_u32 v4, v4, v47, v56
	v_and_b32_e32 v60, 0xff, v34
	v_bfe_u32 v55, v34, 8, 8
	v_add3_u32 v3, v3, v59, v42
	v_add3_u32 v68, v4, v39, v1
	v_mbcnt_lo_u32_b32 v1, -1, 0
	v_bfe_u32 v61, v34, 16, 8
	v_lshrrev_b32_e32 v40, 24, v34
	v_add3_u32 v3, v3, v60, v55
	v_mbcnt_hi_u32_b32 v63, -1, v1
	v_and_b32_e32 v62, 0xff, v35
	v_and_b32_e32 v2, 0xff, v38
	v_add3_u32 v3, v3, v61, v40
	v_and_b32_e32 v67, 15, v63
	s_cmp_lg_u32 s6, 0
	v_add3_u32 v69, v3, v62, v2
	v_cmp_eq_u32_e64 s[4:5], 0, v67
	v_cmp_lt_u32_e64 s[2:3], 1, v67
	v_cmp_lt_u32_e64 s[8:9], 3, v67
	;; [unrolled: 1-line block ×3, first 2 shown]
	v_and_b32_e32 v66, 16, v63
	v_cmp_lt_u32_e32 vcc, 31, v63
	v_lshrrev_b32_e32 v64, 6, v0
	v_or_b32_e32 v65, 63, v0
	s_cbranch_scc0 .LBB126_132
; %bb.111:
	v_mov_b32_dpp v1, v68 row_shr:1 row_mask:0xf bank_mask:0xf
	v_mov_b32_dpp v2, v69 row_shr:1 row_mask:0xf bank_mask:0xf
	v_add_u32_e32 v1, v1, v68
	v_add_u32_e32 v2, v2, v69
	v_cndmask_b32_e64 v2, v2, v69, s[4:5]
	v_cndmask_b32_e64 v1, v1, v68, s[4:5]
	s_nop 0
	v_mov_b32_dpp v4, v2 row_shr:2 row_mask:0xf bank_mask:0xf
	v_mov_b32_dpp v3, v1 row_shr:2 row_mask:0xf bank_mask:0xf
	v_add_u32_e32 v3, v1, v3
	v_add_u32_e32 v4, v2, v4
	v_cndmask_b32_e64 v2, v2, v4, s[2:3]
	v_cndmask_b32_e64 v1, v1, v3, s[2:3]
	s_nop 0
	v_mov_b32_dpp v4, v2 row_shr:4 row_mask:0xf bank_mask:0xf
	v_mov_b32_dpp v3, v1 row_shr:4 row_mask:0xf bank_mask:0xf
	v_add_u32_e32 v3, v1, v3
	v_add_u32_e32 v4, v2, v4
	v_cndmask_b32_e64 v2, v2, v4, s[8:9]
	v_cndmask_b32_e64 v1, v1, v3, s[8:9]
	v_cmp_eq_u32_e64 s[8:9], 0, v66
	v_mov_b32_dpp v4, v2 row_shr:8 row_mask:0xf bank_mask:0xf
	v_mov_b32_dpp v3, v1 row_shr:8 row_mask:0xf bank_mask:0xf
	v_add_u32_e32 v3, v1, v3
	v_add_u32_e32 v4, v2, v4
	v_cndmask_b32_e64 v2, v2, v4, s[10:11]
	v_cndmask_b32_e64 v3, v1, v3, s[10:11]
	s_nop 0
	v_mov_b32_dpp v4, v2 row_bcast:15 row_mask:0xf bank_mask:0xf
	v_mov_b32_dpp v1, v3 row_bcast:15 row_mask:0xf bank_mask:0xf
	v_add_u32_e32 v5, v3, v1
	v_add_u32_e32 v1, v2, v4
	v_cndmask_b32_e64 v1, v1, v2, s[8:9]
	v_cndmask_b32_e64 v2, v5, v3, s[8:9]
	v_cmp_eq_u32_e64 s[8:9], v0, v65
	v_mov_b32_dpp v3, v1 row_bcast:31 row_mask:0xf bank_mask:0xf
	v_mov_b32_dpp v4, v2 row_bcast:31 row_mask:0xf bank_mask:0xf
	v_add_u32_e32 v3, v1, v3
	v_add_u32_e32 v4, v2, v4
	s_and_saveexec_b64 s[10:11], s[8:9]
; %bb.112:
	v_lshlrev_b32_e32 v7, 3, v64
	v_cndmask_b32_e32 v6, v1, v3, vcc
	v_cndmask_b32_e32 v5, v2, v4, vcc
	ds_write_b64 v7, v[5:6]
; %bb.113:
	s_or_b64 exec, exec, s[10:11]
	v_cmp_gt_u32_e64 s[8:9], 4, v0
	s_waitcnt lgkmcnt(0)
	s_barrier
	s_and_saveexec_b64 s[10:11], s[8:9]
	s_cbranch_execz .LBB126_115
; %bb.114:
	v_lshlrev_b32_e32 v7, 3, v0
	ds_read_b64 v[5:6], v7
	v_and_b32_e32 v8, 3, v63
	v_cmp_eq_u32_e64 s[8:9], 0, v8
	s_waitcnt lgkmcnt(0)
	v_mov_b32_dpp v21, v5 row_shr:1 row_mask:0xf bank_mask:0xf
	v_mov_b32_dpp v22, v6 row_shr:1 row_mask:0xf bank_mask:0xf
	v_add_u32_e32 v21, v21, v5
	v_add_u32_e32 v22, v22, v6
	v_cndmask_b32_e64 v6, v22, v6, s[8:9]
	v_cndmask_b32_e64 v5, v21, v5, s[8:9]
	v_cmp_lt_u32_e64 s[8:9], 1, v8
	v_mov_b32_dpp v22, v6 row_shr:2 row_mask:0xf bank_mask:0xf
	v_mov_b32_dpp v21, v5 row_shr:2 row_mask:0xf bank_mask:0xf
	v_cndmask_b32_e64 v8, 0, v21, s[8:9]
	v_cndmask_b32_e64 v21, 0, v22, s[8:9]
	v_add_u32_e32 v6, v21, v6
	v_add_u32_e32 v5, v8, v5
	ds_write_b64 v7, v[5:6]
.LBB126_115:
	s_or_b64 exec, exec, s[10:11]
	v_cndmask_b32_e32 v1, v1, v3, vcc
	v_cndmask_b32_e32 v2, v2, v4, vcc
	v_cmp_gt_u32_e32 vcc, 64, v0
	v_cmp_lt_u32_e64 s[8:9], 63, v0
	s_waitcnt lgkmcnt(0)
	s_barrier
                                        ; implicit-def: $vgpr21
	s_and_saveexec_b64 s[10:11], s[8:9]
	s_cbranch_execz .LBB126_117
; %bb.116:
	v_lshl_add_u32 v3, v64, 3, -8
	ds_read_b64 v[21:22], v3
	s_waitcnt lgkmcnt(0)
	v_add_u32_e32 v1, v22, v1
	v_add_u32_e32 v2, v21, v2
.LBB126_117:
	s_or_b64 exec, exec, s[10:11]
	v_subrev_co_u32_e64 v3, s[8:9], 1, v63
	v_and_b32_e32 v4, 64, v63
	v_cmp_lt_i32_e64 s[10:11], v3, v4
	v_cndmask_b32_e64 v3, v3, v63, s[10:11]
	v_lshlrev_b32_e32 v3, 2, v3
	ds_bpermute_b32 v70, v3, v2
	ds_bpermute_b32 v71, v3, v1
	s_and_saveexec_b64 s[10:11], vcc
	s_cbranch_execz .LBB126_137
; %bb.118:
	v_mov_b32_e32 v4, 0
	ds_read_b64 v[1:2], v4 offset:24
	s_and_saveexec_b64 s[14:15], s[8:9]
	s_cbranch_execz .LBB126_120
; %bb.119:
	s_add_i32 s16, s6, 64
	s_mov_b32 s17, 0
	s_lshl_b64 s[16:17], s[16:17], 4
	s_add_u32 s16, s12, s16
	s_addc_u32 s17, s13, s17
	v_mov_b32_e32 v5, s16
	v_mov_b32_e32 v3, 1
	;; [unrolled: 1-line block ×3, first 2 shown]
	s_waitcnt lgkmcnt(0)
	;;#ASMSTART
	global_store_dwordx4 v[5:6], v[1:4] off	
s_waitcnt vmcnt(0)
	;;#ASMEND
.LBB126_120:
	s_or_b64 exec, exec, s[14:15]
	v_xad_u32 v23, v63, -1, s6
	v_add_u32_e32 v3, 64, v23
	v_lshlrev_b64 v[5:6], 4, v[3:4]
	v_mov_b32_e32 v3, s13
	v_add_co_u32_e32 v24, vcc, s12, v5
	v_addc_co_u32_e32 v25, vcc, v3, v6, vcc
	;;#ASMSTART
	global_load_dwordx4 v[5:8], v[24:25] off glc	
s_waitcnt vmcnt(0)
	;;#ASMEND
	v_cmp_eq_u16_sdwa s[16:17], v7, v4 src0_sel:BYTE_0 src1_sel:DWORD
	s_and_saveexec_b64 s[14:15], s[16:17]
	s_cbranch_execz .LBB126_124
; %bb.121:
	s_mov_b64 s[16:17], 0
	v_mov_b32_e32 v3, 0
.LBB126_122:                            ; =>This Inner Loop Header: Depth=1
	;;#ASMSTART
	global_load_dwordx4 v[5:8], v[24:25] off glc	
s_waitcnt vmcnt(0)
	;;#ASMEND
	v_cmp_ne_u16_sdwa s[20:21], v7, v3 src0_sel:BYTE_0 src1_sel:DWORD
	s_or_b64 s[16:17], s[20:21], s[16:17]
	s_andn2_b64 exec, exec, s[16:17]
	s_cbranch_execnz .LBB126_122
; %bb.123:
	s_or_b64 exec, exec, s[16:17]
.LBB126_124:
	s_or_b64 exec, exec, s[14:15]
	v_and_b32_e32 v73, 63, v63
	v_cmp_ne_u32_e32 vcc, 63, v73
	v_mov_b32_e32 v72, 2
	v_lshlrev_b64 v[25:26], v63, -1
	v_addc_co_u32_e32 v8, vcc, 0, v63, vcc
	v_cmp_eq_u16_sdwa s[14:15], v7, v72 src0_sel:BYTE_0 src1_sel:DWORD
	v_lshlrev_b32_e32 v74, 2, v8
	v_and_b32_e32 v3, s15, v26
	ds_bpermute_b32 v8, v74, v5
	ds_bpermute_b32 v24, v74, v6
	v_or_b32_e32 v3, 0x80000000, v3
	v_and_b32_e32 v4, s14, v25
	v_ffbl_b32_e32 v3, v3
	v_add_u32_e32 v3, 32, v3
	v_ffbl_b32_e32 v4, v4
	v_min_u32_e32 v3, v4, v3
	s_waitcnt lgkmcnt(1)
	v_add_u32_e32 v4, v8, v5
	s_waitcnt lgkmcnt(0)
	v_add_u32_e32 v8, v24, v6
	v_cmp_lt_u32_e32 vcc, v73, v3
	v_cndmask_b32_e32 v6, v6, v8, vcc
	v_cndmask_b32_e32 v4, v5, v4, vcc
	v_cmp_gt_u32_e32 vcc, 62, v73
	v_cndmask_b32_e64 v5, 0, 2, vcc
	v_add_lshl_u32 v75, v5, v63, 2
	ds_bpermute_b32 v5, v75, v4
	ds_bpermute_b32 v8, v75, v6
	v_add_u32_e32 v76, 2, v73
	v_cmp_gt_u32_e32 vcc, v76, v3
	v_add_u32_e32 v78, 4, v73
	s_waitcnt lgkmcnt(1)
	v_add_u32_e32 v5, v4, v5
	s_waitcnt lgkmcnt(0)
	v_add_u32_e32 v8, v6, v8
	v_cndmask_b32_e32 v6, v8, v6, vcc
	v_cndmask_b32_e32 v4, v5, v4, vcc
	v_cmp_gt_u32_e32 vcc, 60, v73
	v_cndmask_b32_e64 v5, 0, 4, vcc
	v_add_lshl_u32 v77, v5, v63, 2
	ds_bpermute_b32 v5, v77, v4
	ds_bpermute_b32 v8, v77, v6
	v_cmp_gt_u32_e32 vcc, v78, v3
	v_add_u32_e32 v80, 8, v73
	v_add_u32_e32 v82, 16, v73
	s_waitcnt lgkmcnt(1)
	v_add_u32_e32 v5, v4, v5
	s_waitcnt lgkmcnt(0)
	v_add_u32_e32 v8, v6, v8
	v_cndmask_b32_e32 v6, v8, v6, vcc
	v_cndmask_b32_e32 v4, v5, v4, vcc
	v_cmp_gt_u32_e32 vcc, 56, v73
	v_cndmask_b32_e64 v5, 0, 8, vcc
	v_add_lshl_u32 v79, v5, v63, 2
	ds_bpermute_b32 v5, v79, v4
	ds_bpermute_b32 v8, v79, v6
	v_cmp_gt_u32_e32 vcc, v80, v3
	v_add_u32_e32 v84, 32, v73
	v_mov_b32_e32 v24, 0
	s_waitcnt lgkmcnt(1)
	v_add_u32_e32 v5, v4, v5
	s_waitcnt lgkmcnt(0)
	v_add_u32_e32 v8, v6, v8
	v_cndmask_b32_e32 v6, v8, v6, vcc
	v_cndmask_b32_e32 v4, v5, v4, vcc
	v_cmp_gt_u32_e32 vcc, 48, v73
	v_cndmask_b32_e64 v5, 0, 16, vcc
	v_add_lshl_u32 v81, v5, v63, 2
	ds_bpermute_b32 v5, v81, v4
	ds_bpermute_b32 v8, v81, v6
	v_cmp_gt_u32_e32 vcc, v82, v3
	s_waitcnt lgkmcnt(1)
	v_add_u32_e32 v5, v4, v5
	s_waitcnt lgkmcnt(0)
	v_add_u32_e32 v8, v6, v8
	v_cndmask_b32_e32 v4, v5, v4, vcc
	v_mov_b32_e32 v5, 0x80
	v_cndmask_b32_e32 v6, v8, v6, vcc
	v_lshl_or_b32 v83, v63, 2, v5
	ds_bpermute_b32 v5, v83, v4
	ds_bpermute_b32 v8, v83, v6
	v_cmp_le_u32_e32 vcc, v84, v3
	s_waitcnt lgkmcnt(1)
	v_cndmask_b32_e32 v3, 0, v5, vcc
	s_waitcnt lgkmcnt(0)
	v_cndmask_b32_e32 v5, 0, v8, vcc
	v_add_u32_e32 v6, v6, v5
	v_add_u32_e32 v5, v4, v3
	s_branch .LBB126_128
.LBB126_125:                            ;   in Loop: Header=BB126_128 Depth=1
	s_or_b64 exec, exec, s[16:17]
.LBB126_126:                            ;   in Loop: Header=BB126_128 Depth=1
	s_or_b64 exec, exec, s[14:15]
	v_cmp_eq_u16_sdwa s[14:15], v7, v72 src0_sel:BYTE_0 src1_sel:DWORD
	v_and_b32_e32 v8, s15, v26
	ds_bpermute_b32 v28, v74, v5
	ds_bpermute_b32 v85, v74, v6
	v_or_b32_e32 v8, 0x80000000, v8
	v_and_b32_e32 v27, s14, v25
	v_ffbl_b32_e32 v8, v8
	v_add_u32_e32 v8, 32, v8
	v_ffbl_b32_e32 v27, v27
	v_min_u32_e32 v8, v27, v8
	s_waitcnt lgkmcnt(1)
	v_add_u32_e32 v27, v28, v5
	s_waitcnt lgkmcnt(0)
	v_add_u32_e32 v28, v85, v6
	v_cmp_lt_u32_e32 vcc, v73, v8
	v_cndmask_b32_e32 v6, v6, v28, vcc
	v_cndmask_b32_e32 v5, v5, v27, vcc
	ds_bpermute_b32 v27, v75, v5
	ds_bpermute_b32 v28, v75, v6
	v_cmp_gt_u32_e32 vcc, v76, v8
	v_subrev_u32_e32 v23, 64, v23
	s_mov_b64 s[14:15], 0
	s_waitcnt lgkmcnt(1)
	v_add_u32_e32 v27, v5, v27
	s_waitcnt lgkmcnt(0)
	v_add_u32_e32 v28, v6, v28
	v_cndmask_b32_e32 v6, v28, v6, vcc
	v_cndmask_b32_e32 v5, v27, v5, vcc
	ds_bpermute_b32 v27, v77, v5
	ds_bpermute_b32 v28, v77, v6
	v_cmp_gt_u32_e32 vcc, v78, v8
	s_waitcnt lgkmcnt(1)
	v_add_u32_e32 v27, v5, v27
	s_waitcnt lgkmcnt(0)
	v_add_u32_e32 v28, v6, v28
	v_cndmask_b32_e32 v6, v28, v6, vcc
	v_cndmask_b32_e32 v5, v27, v5, vcc
	ds_bpermute_b32 v27, v79, v5
	ds_bpermute_b32 v28, v79, v6
	v_cmp_gt_u32_e32 vcc, v80, v8
	;; [unrolled: 9-line block ×3, first 2 shown]
	s_waitcnt lgkmcnt(1)
	v_add_u32_e32 v27, v5, v27
	s_waitcnt lgkmcnt(0)
	v_add_u32_e32 v28, v6, v28
	v_cndmask_b32_e32 v6, v28, v6, vcc
	v_cndmask_b32_e32 v5, v27, v5, vcc
	ds_bpermute_b32 v27, v83, v5
	ds_bpermute_b32 v28, v83, v6
	v_cmp_le_u32_e32 vcc, v84, v8
	s_waitcnt lgkmcnt(1)
	v_cndmask_b32_e32 v8, 0, v27, vcc
	s_waitcnt lgkmcnt(0)
	v_cndmask_b32_e32 v27, 0, v28, vcc
	v_add3_u32 v6, v27, v4, v6
	v_add3_u32 v5, v8, v3, v5
.LBB126_127:                            ;   in Loop: Header=BB126_128 Depth=1
	s_and_b64 vcc, exec, s[14:15]
	s_cbranch_vccnz .LBB126_133
.LBB126_128:                            ; =>This Loop Header: Depth=1
                                        ;     Child Loop BB126_131 Depth 2
	v_mov_b32_e32 v3, v5
	v_cmp_ne_u16_sdwa s[14:15], v7, v72 src0_sel:BYTE_0 src1_sel:DWORD
	v_mov_b32_e32 v4, v6
	s_cmp_lg_u64 s[14:15], exec
	s_mov_b64 s[14:15], -1
                                        ; implicit-def: $vgpr7
                                        ; implicit-def: $vgpr5_vgpr6
	s_cbranch_scc1 .LBB126_127
; %bb.129:                              ;   in Loop: Header=BB126_128 Depth=1
	v_lshlrev_b64 v[5:6], 4, v[23:24]
	v_mov_b32_e32 v7, s13
	v_add_co_u32_e32 v27, vcc, s12, v5
	v_addc_co_u32_e32 v28, vcc, v7, v6, vcc
	;;#ASMSTART
	global_load_dwordx4 v[5:8], v[27:28] off glc	
s_waitcnt vmcnt(0)
	;;#ASMEND
	v_cmp_eq_u16_sdwa s[16:17], v7, v24 src0_sel:BYTE_0 src1_sel:DWORD
	s_and_saveexec_b64 s[14:15], s[16:17]
	s_cbranch_execz .LBB126_126
; %bb.130:                              ;   in Loop: Header=BB126_128 Depth=1
	s_mov_b64 s[16:17], 0
.LBB126_131:                            ;   Parent Loop BB126_128 Depth=1
                                        ; =>  This Inner Loop Header: Depth=2
	;;#ASMSTART
	global_load_dwordx4 v[5:8], v[27:28] off glc	
s_waitcnt vmcnt(0)
	;;#ASMEND
	v_cmp_ne_u16_sdwa s[20:21], v7, v24 src0_sel:BYTE_0 src1_sel:DWORD
	s_or_b64 s[16:17], s[20:21], s[16:17]
	s_andn2_b64 exec, exec, s[16:17]
	s_cbranch_execnz .LBB126_131
	s_branch .LBB126_125
.LBB126_132:
                                        ; implicit-def: $vgpr22
                                        ; implicit-def: $vgpr3
                                        ; implicit-def: $vgpr23
	s_cbranch_execnz .LBB126_138
	s_branch .LBB126_147
.LBB126_133:
	s_and_saveexec_b64 s[14:15], s[8:9]
	s_cbranch_execnz .LBB126_375
; %bb.134:
	s_or_b64 exec, exec, s[14:15]
	s_and_saveexec_b64 s[6:7], s[8:9]
	s_cbranch_execnz .LBB126_376
.LBB126_135:
	s_or_b64 exec, exec, s[6:7]
	v_cmp_eq_u32_e32 vcc, 0, v0
	s_and_b64 exec, exec, vcc
.LBB126_136:
	v_mov_b32_e32 v1, 0
	ds_write_b64 v1, v[3:4] offset:24
.LBB126_137:
	s_or_b64 exec, exec, s[10:11]
	v_mov_b32_e32 v1, 0
	s_waitcnt lgkmcnt(0)
	s_barrier
	ds_read_b64 v[5:6], v1 offset:24
	v_cndmask_b32_e64 v2, v71, v22, s[8:9]
	v_cndmask_b32_e64 v3, v70, v21, s[8:9]
	s_waitcnt lgkmcnt(0)
	s_barrier
	v_add_u32_e32 v7, v5, v3
	v_add_u32_e32 v8, v6, v2
	ds_read_b128 v[1:4], v1 offset:13312
	v_cmp_eq_u32_e32 vcc, 0, v0
	v_cndmask_b32_e32 v22, v8, v6, vcc
	v_cndmask_b32_e32 v23, v7, v5, vcc
	s_branch .LBB126_147
.LBB126_138:
	s_waitcnt lgkmcnt(0)
	v_mov_b32_dpp v1, v68 row_shr:1 row_mask:0xf bank_mask:0xf
	v_mov_b32_dpp v2, v69 row_shr:1 row_mask:0xf bank_mask:0xf
	v_add_u32_e32 v1, v1, v68
	v_add_u32_e32 v2, v2, v69
	v_cndmask_b32_e64 v2, v2, v69, s[4:5]
	v_cndmask_b32_e64 v1, v1, v68, s[4:5]
	v_cmp_lt_u32_e32 vcc, 3, v67
	v_mov_b32_dpp v4, v2 row_shr:2 row_mask:0xf bank_mask:0xf
	v_mov_b32_dpp v3, v1 row_shr:2 row_mask:0xf bank_mask:0xf
	v_add_u32_e32 v3, v1, v3
	v_add_u32_e32 v4, v2, v4
	v_cndmask_b32_e64 v2, v2, v4, s[2:3]
	v_cndmask_b32_e64 v1, v1, v3, s[2:3]
	v_cmp_eq_u32_e64 s[2:3], v0, v65
	v_mov_b32_dpp v4, v2 row_shr:4 row_mask:0xf bank_mask:0xf
	v_mov_b32_dpp v3, v1 row_shr:4 row_mask:0xf bank_mask:0xf
	v_add_u32_e32 v3, v1, v3
	v_add_u32_e32 v4, v2, v4
	v_cndmask_b32_e32 v2, v2, v4, vcc
	v_cndmask_b32_e32 v1, v1, v3, vcc
	v_cmp_lt_u32_e32 vcc, 7, v67
	v_mov_b32_dpp v4, v2 row_shr:8 row_mask:0xf bank_mask:0xf
	v_mov_b32_dpp v3, v1 row_shr:8 row_mask:0xf bank_mask:0xf
	v_add_u32_e32 v3, v1, v3
	v_add_u32_e32 v4, v2, v4
	v_cndmask_b32_e32 v2, v2, v4, vcc
	v_cndmask_b32_e32 v3, v1, v3, vcc
	v_cmp_eq_u32_e32 vcc, 0, v66
	v_mov_b32_dpp v4, v2 row_bcast:15 row_mask:0xf bank_mask:0xf
	v_mov_b32_dpp v1, v3 row_bcast:15 row_mask:0xf bank_mask:0xf
	v_add_u32_e32 v5, v3, v1
	v_add_u32_e32 v1, v2, v4
	v_cndmask_b32_e32 v1, v1, v2, vcc
	v_cndmask_b32_e32 v2, v5, v3, vcc
	v_cmp_lt_u32_e32 vcc, 31, v63
	v_mov_b32_dpp v3, v1 row_bcast:31 row_mask:0xf bank_mask:0xf
	v_mov_b32_dpp v4, v2 row_bcast:31 row_mask:0xf bank_mask:0xf
	v_add_u32_e32 v3, v1, v3
	v_add_u32_e32 v4, v2, v4
	s_and_saveexec_b64 s[4:5], s[2:3]
; %bb.139:
	v_cndmask_b32_e32 v5, v2, v4, vcc
	v_cndmask_b32_e32 v6, v1, v3, vcc
	v_lshlrev_b32_e32 v7, 3, v64
	ds_write_b64 v7, v[5:6]
; %bb.140:
	s_or_b64 exec, exec, s[4:5]
	v_cmp_gt_u32_e64 s[2:3], 4, v0
	s_waitcnt lgkmcnt(0)
	s_barrier
	s_and_saveexec_b64 s[4:5], s[2:3]
	s_cbranch_execz .LBB126_142
; %bb.141:
	v_lshlrev_b32_e32 v7, 3, v0
	ds_read_b64 v[5:6], v7
	v_and_b32_e32 v8, 3, v63
	v_cmp_eq_u32_e64 s[2:3], 0, v8
	s_waitcnt lgkmcnt(0)
	v_mov_b32_dpp v21, v5 row_shr:1 row_mask:0xf bank_mask:0xf
	v_mov_b32_dpp v22, v6 row_shr:1 row_mask:0xf bank_mask:0xf
	v_add_u32_e32 v21, v21, v5
	v_add_u32_e32 v22, v22, v6
	v_cndmask_b32_e64 v6, v22, v6, s[2:3]
	v_cndmask_b32_e64 v5, v21, v5, s[2:3]
	v_cmp_lt_u32_e64 s[2:3], 1, v8
	v_mov_b32_dpp v22, v6 row_shr:2 row_mask:0xf bank_mask:0xf
	v_mov_b32_dpp v21, v5 row_shr:2 row_mask:0xf bank_mask:0xf
	v_cndmask_b32_e64 v8, 0, v21, s[2:3]
	v_cndmask_b32_e64 v21, 0, v22, s[2:3]
	v_add_u32_e32 v6, v21, v6
	v_add_u32_e32 v5, v8, v5
	ds_write_b64 v7, v[5:6]
.LBB126_142:
	s_or_b64 exec, exec, s[4:5]
	v_cmp_lt_u32_e64 s[2:3], 63, v0
	v_mov_b32_e32 v7, 0
	v_mov_b32_e32 v5, 0
	v_mov_b32_e32 v6, 0
	s_waitcnt lgkmcnt(0)
	s_barrier
	s_and_saveexec_b64 s[4:5], s[2:3]
; %bb.143:
	v_lshl_add_u32 v5, v64, 3, -8
	ds_read_b64 v[5:6], v5
; %bb.144:
	s_or_b64 exec, exec, s[4:5]
	v_cndmask_b32_e32 v2, v2, v4, vcc
	v_cndmask_b32_e32 v1, v1, v3, vcc
	v_subrev_co_u32_e32 v3, vcc, 1, v63
	v_and_b32_e32 v4, 64, v63
	v_cmp_lt_i32_e64 s[2:3], v3, v4
	v_cndmask_b32_e64 v3, v3, v63, s[2:3]
	s_waitcnt lgkmcnt(0)
	v_add_u32_e32 v1, v6, v1
	v_add_u32_e32 v2, v5, v2
	v_lshlrev_b32_e32 v3, 2, v3
	ds_bpermute_b32 v8, v3, v2
	ds_bpermute_b32 v21, v3, v1
	ds_read_b64 v[1:2], v7 offset:24
	v_cmp_eq_u32_e64 s[2:3], 0, v0
	s_and_saveexec_b64 s[4:5], s[2:3]
	s_cbranch_execz .LBB126_146
; %bb.145:
	s_add_u32 s6, s12, 0x400
	s_addc_u32 s7, s13, 0
	v_mov_b32_e32 v23, s7
	v_mov_b32_e32 v3, 2
	v_mov_b32_e32 v4, 0
	v_mov_b32_e32 v22, s6
	s_waitcnt lgkmcnt(0)
	;;#ASMSTART
	global_store_dwordx4 v[22:23], v[1:4] off	
s_waitcnt vmcnt(0)
	;;#ASMEND
.LBB126_146:
	s_or_b64 exec, exec, s[4:5]
	s_waitcnt lgkmcnt(2)
	v_cndmask_b32_e32 v3, v8, v5, vcc
	s_waitcnt lgkmcnt(1)
	v_cndmask_b32_e32 v4, v21, v6, vcc
	v_cndmask_b32_e64 v22, v4, 0, s[2:3]
	v_cndmask_b32_e64 v23, v3, 0, s[2:3]
	v_mov_b32_e32 v4, 0
	v_mov_b32_e32 v3, 0
	s_waitcnt lgkmcnt(0)
	s_barrier
.LBB126_147:
	v_mov_b32_e32 v6, s49
	s_waitcnt lgkmcnt(0)
	v_add_co_u32_e32 v5, vcc, s48, v3
	v_addc_co_u32_e32 v6, vcc, 0, v6, vcc
	v_mov_b32_e32 v27, s51
	v_sub_co_u32_e32 v28, vcc, s50, v1
	v_subbrev_co_u32_e32 v69, vcc, 0, v27, vcc
	v_add_co_u32_e32 v27, vcc, v28, v4
	v_add_u32_e32 v49, v22, v49
	v_addc_co_u32_e32 v28, vcc, 0, v69, vcc
	v_lshlrev_b32_e32 v69, 1, v1
	v_sub_u32_e32 v22, v22, v4
	v_lshrrev_b32_e32 v26, 8, v37
	v_add_u32_e32 v48, v23, v48
	v_add_u32_e32 v70, v69, v2
	v_sub_u32_e32 v23, v23, v3
	v_add_u32_e32 v22, v22, v1
	v_add_u32_e32 v30, v70, v30
	v_and_b32_e32 v26, 1, v26
	v_add_u32_e32 v71, v23, v22
	v_and_b32_e32 v70, 1, v31
	v_sub_u32_e32 v71, v30, v71
	v_cmp_eq_u32_e32 vcc, 1, v26
	v_cndmask_b32_e32 v22, v71, v22, vcc
	v_cmp_eq_u32_e32 vcc, 1, v70
	v_cndmask_b32_e32 v22, v22, v23, vcc
	v_lshlrev_b32_e32 v22, 2, v22
	v_sub_u32_e32 v23, v49, v4
	v_lshrrev_b32_e32 v25, 8, v31
	ds_write_b32 v22, v19
	v_sub_u32_e32 v19, v48, v3
	v_add_u32_e32 v23, v23, v1
	v_add_u32_e32 v45, v48, v45
	v_and_b32_e32 v22, 1, v25
	v_mov_b32_e32 v25, 1
	v_add_u32_e32 v48, v23, v19
	v_and_b32_sdwa v26, v25, v37 dst_sel:DWORD dst_unused:UNUSED_PAD src0_sel:DWORD src1_sel:WORD_1
	v_sub_u32_e32 v48, v30, v48
	v_add_u32_e32 v48, 1, v48
	v_cmp_eq_u32_e32 vcc, 1, v26
	v_cndmask_b32_e32 v23, v48, v23, vcc
	v_cmp_eq_u32_e32 vcc, 1, v22
	v_add_u32_e32 v57, v49, v57
	v_cndmask_b32_e32 v19, v23, v19, vcc
	v_lshlrev_b32_e32 v19, 2, v19
	v_sub_u32_e32 v22, v57, v4
	ds_write_b32 v19, v20
	v_sub_u32_e32 v19, v45, v3
	v_add_u32_e32 v22, v22, v1
	v_add_u32_e32 v26, v22, v19
	v_and_b32_e32 v23, 1, v44
	v_sub_u32_e32 v26, v30, v26
	v_and_b32_sdwa v20, v25, v31 dst_sel:DWORD dst_unused:UNUSED_PAD src0_sel:DWORD src1_sel:WORD_1
	v_add_u32_e32 v26, 2, v26
	v_cmp_eq_u32_e32 vcc, 1, v23
	v_cndmask_b32_e32 v22, v26, v22, vcc
	v_cmp_eq_u32_e32 vcc, 1, v20
	v_add_u32_e32 v63, v57, v44
	v_cndmask_b32_e32 v19, v22, v19, vcc
	v_add_u32_e32 v50, v45, v50
	v_lshlrev_b32_e32 v19, 2, v19
	v_sub_u32_e32 v20, v63, v4
	ds_write_b32 v19, v17
	v_sub_u32_e32 v17, v50, v3
	v_add_u32_e32 v20, v20, v1
	v_add_u32_e32 v23, v17, v20
	v_and_b32_e32 v22, 1, v32
	v_sub_u32_e32 v23, v30, v23
	v_and_b32_e32 v19, 1, v43
	v_add_u32_e32 v23, 3, v23
	v_cmp_eq_u32_e32 vcc, 1, v22
	v_cndmask_b32_e32 v20, v23, v20, vcc
	v_cmp_eq_u32_e32 vcc, 1, v19
	v_add_u32_e32 v58, v63, v58
	v_cndmask_b32_e32 v17, v20, v17, vcc
	v_add_u32_e32 v64, v50, v43
	v_lshlrev_b32_e32 v17, 2, v17
	v_sub_u32_e32 v19, v58, v4
	ds_write_b32 v17, v18
	v_sub_u32_e32 v17, v64, v3
	v_add_u32_e32 v19, v19, v1
	v_lshrrev_b32_e32 v24, 8, v32
	v_add_u32_e32 v22, v17, v19
	v_and_b32_e32 v20, 1, v24
	v_sub_u32_e32 v22, v30, v22
	v_and_b32_e32 v18, 1, v33
	v_add_u32_e32 v22, 4, v22
	v_cmp_eq_u32_e32 vcc, 1, v20
	v_cndmask_b32_e32 v19, v22, v19, vcc
	v_cmp_eq_u32_e32 vcc, 1, v18
	v_add_u32_e32 v52, v58, v52
	v_cndmask_b32_e32 v17, v19, v17, vcc
	v_add_u32_e32 v51, v64, v51
	v_lshlrev_b32_e32 v17, 2, v17
	v_sub_u32_e32 v18, v52, v4
	ds_write_b32 v17, v15
	v_sub_u32_e32 v15, v51, v3
	v_add_u32_e32 v18, v18, v1
	v_add_u32_e32 v20, v15, v18
	v_lshrrev_b32_e32 v21, 8, v33
	v_and_b32_sdwa v19, v25, v32 dst_sel:DWORD dst_unused:UNUSED_PAD src0_sel:DWORD src1_sel:WORD_1
	v_sub_u32_e32 v20, v30, v20
	v_and_b32_e32 v17, 1, v21
	v_add_u32_e32 v20, 5, v20
	v_cmp_eq_u32_e32 vcc, 1, v19
	v_cndmask_b32_e32 v18, v20, v18, vcc
	v_cmp_eq_u32_e32 vcc, 1, v17
	v_add_u32_e32 v59, v52, v59
	v_cndmask_b32_e32 v15, v18, v15, vcc
	v_add_u32_e32 v46, v51, v46
	v_lshlrev_b32_e32 v15, 2, v15
	v_sub_u32_e32 v17, v59, v4
	ds_write_b32 v15, v16
	v_sub_u32_e32 v15, v46, v3
	v_add_u32_e32 v17, v17, v1
	v_add_u32_e32 v19, v15, v17
	v_and_b32_e32 v18, 1, v42
	v_sub_u32_e32 v19, v30, v19
	v_and_b32_sdwa v16, v25, v33 dst_sel:DWORD dst_unused:UNUSED_PAD src0_sel:DWORD src1_sel:WORD_1
	v_add_u32_e32 v19, 6, v19
	v_cmp_eq_u32_e32 vcc, 1, v18
	v_cndmask_b32_e32 v17, v19, v17, vcc
	v_cmp_eq_u32_e32 vcc, 1, v16
	v_add_u32_e32 v65, v59, v42
	v_cndmask_b32_e32 v15, v17, v15, vcc
	v_add_u32_e32 v53, v46, v53
	v_lshlrev_b32_e32 v15, 2, v15
	v_sub_u32_e32 v16, v65, v4
	ds_write_b32 v15, v13
	v_sub_u32_e32 v13, v53, v3
	v_add_u32_e32 v16, v16, v1
	v_add_u32_e32 v18, v13, v16
	v_and_b32_e32 v17, 1, v34
	v_sub_u32_e32 v18, v30, v18
	v_and_b32_e32 v15, 1, v41
	v_add_u32_e32 v18, 7, v18
	v_cmp_eq_u32_e32 vcc, 1, v17
	v_cndmask_b32_e32 v16, v18, v16, vcc
	v_cmp_eq_u32_e32 vcc, 1, v15
	v_add_u32_e32 v60, v65, v60
	v_cndmask_b32_e32 v13, v16, v13, vcc
	v_add_u32_e32 v66, v53, v41
	v_lshlrev_b32_e32 v13, 2, v13
	v_sub_u32_e32 v15, v60, v4
	ds_write_b32 v13, v14
	v_sub_u32_e32 v13, v66, v3
	v_add_u32_e32 v15, v15, v1
	v_lshrrev_b32_e32 v8, 8, v34
	v_add_u32_e32 v16, v13, v15
	v_and_b32_e32 v8, 1, v8
	v_sub_u32_e32 v16, v30, v16
	v_and_b32_e32 v14, 1, v36
	v_add_u32_e32 v16, 8, v16
	v_cmp_eq_u32_e32 vcc, 1, v8
	v_cndmask_b32_e32 v8, v16, v15, vcc
	v_cmp_eq_u32_e32 vcc, 1, v14
	v_cndmask_b32_e32 v8, v8, v13, vcc
	v_add_u32_e32 v55, v60, v55
	v_lshlrev_b32_e32 v8, 2, v8
	v_add_u32_e32 v54, v66, v54
	ds_write_b32 v8, v11
	v_sub_u32_e32 v11, v55, v4
	v_sub_u32_e32 v8, v54, v3
	v_add_u32_e32 v11, v11, v1
	v_add_u32_e32 v14, v8, v11
	v_lshrrev_b32_e32 v7, 8, v36
	v_and_b32_sdwa v13, v25, v34 dst_sel:DWORD dst_unused:UNUSED_PAD src0_sel:DWORD src1_sel:WORD_1
	v_sub_u32_e32 v14, v30, v14
	v_and_b32_e32 v7, 1, v7
	v_add_u32_e32 v14, 9, v14
	v_cmp_eq_u32_e32 vcc, 1, v13
	v_cndmask_b32_e32 v11, v14, v11, vcc
	v_cmp_eq_u32_e32 vcc, 1, v7
	v_add_u32_e32 v61, v55, v61
	v_cndmask_b32_e32 v7, v11, v8, vcc
	v_add_u32_e32 v47, v54, v47
	v_lshlrev_b32_e32 v7, 2, v7
	v_sub_u32_e32 v11, v61, v4
	ds_write_b32 v7, v12
	v_sub_u32_e32 v7, v47, v3
	v_add_u32_e32 v11, v11, v1
	v_add_u32_e32 v13, v7, v11
	v_and_b32_e32 v12, 1, v40
	v_sub_u32_e32 v13, v30, v13
	v_and_b32_sdwa v8, v25, v36 dst_sel:DWORD dst_unused:UNUSED_PAD src0_sel:DWORD src1_sel:WORD_1
	v_add_u32_e32 v13, 10, v13
	v_cmp_eq_u32_e32 vcc, 1, v12
	v_cndmask_b32_e32 v11, v13, v11, vcc
	v_cmp_eq_u32_e32 vcc, 1, v8
	v_cndmask_b32_e32 v7, v11, v7, vcc
	v_add_u32_e32 v67, v61, v40
	v_lshlrev_b32_e32 v7, 2, v7
	v_add_u32_e32 v56, v47, v56
	ds_write_b32 v7, v9
	v_sub_u32_e32 v9, v67, v4
	v_sub_u32_e32 v7, v56, v3
	v_add_u32_e32 v9, v9, v1
	v_add_u32_e32 v12, v7, v9
	v_and_b32_e32 v11, 1, v35
	v_sub_u32_e32 v12, v30, v12
	v_and_b32_e32 v8, 1, v39
	v_add_u32_e32 v12, 11, v12
	v_cmp_eq_u32_e32 vcc, 1, v11
	v_add_u32_e32 v62, v67, v62
	v_cndmask_b32_e32 v9, v12, v9, vcc
	v_cmp_eq_u32_e32 vcc, 1, v8
	v_add_u32_e32 v68, v56, v39
	v_cndmask_b32_e32 v7, v9, v7, vcc
	v_sub_u32_e32 v8, v62, v4
	v_lshlrev_b32_e32 v7, 2, v7
	v_sub_u32_e32 v3, v68, v3
	v_add_u32_e32 v8, v8, v1
	ds_write_b32 v7, v10
	v_add_u32_e32 v10, v3, v8
	v_and_b32_e32 v9, 1, v38
	v_sub_u32_e32 v10, v30, v10
	v_and_b32_e32 v7, 1, v37
	v_add_u32_e32 v10, 12, v10
	v_cmp_eq_u32_e32 vcc, 1, v9
	v_cndmask_b32_e32 v8, v10, v8, vcc
	v_cmp_eq_u32_e32 vcc, 1, v7
	v_cndmask_b32_e32 v3, v8, v3, vcc
	v_lshlrev_b32_e32 v3, 2, v3
	ds_write_b32 v3, v29
	v_add_co_u32_e32 v3, vcc, v2, v69
	v_addc_co_u32_e64 v7, s[2:3], 0, 0, vcc
	v_add_co_u32_e32 v3, vcc, v3, v27
	v_addc_co_u32_e32 v7, vcc, v7, v28, vcc
	s_add_u32 s4, s56, s33
	v_add_co_u32_e32 v3, vcc, v3, v5
	s_addc_u32 s5, s57, 0
	v_addc_co_u32_e32 v7, vcc, v7, v6, vcc
	v_mov_b32_e32 v8, s5
	v_sub_co_u32_e32 v3, vcc, s4, v3
	v_subb_co_u32_e32 v11, vcc, v8, v7, vcc
	v_lshlrev_b64 v[7:8], 2, v[27:28]
	v_mov_b32_e32 v9, s55
	v_add_co_u32_e32 v7, vcc, s54, v7
	v_addc_co_u32_e32 v8, vcc, v9, v8, vcc
	v_lshlrev_b64 v[9:10], 2, v[5:6]
	v_mov_b32_e32 v13, s53
	v_add_co_u32_e32 v9, vcc, s52, v9
	v_addc_co_u32_e32 v10, vcc, v13, v10, vcc
	v_add_u32_e32 v12, v1, v2
	s_and_b64 vcc, exec, s[0:1]
	s_mov_b64 s[0:1], -1
	s_waitcnt lgkmcnt(0)
	s_barrier
	s_cbranch_vccz .LBB126_151
; %bb.148:
	s_and_b64 vcc, exec, s[0:1]
	s_cbranch_vccnz .LBB126_256
.LBB126_149:
	v_cmp_eq_u32_e32 vcc, 0, v0
	s_and_b64 s[0:1], vcc, s[34:35]
	s_and_saveexec_b64 s[2:3], s[0:1]
	s_cbranch_execnz .LBB126_374
.LBB126_150:
	s_endpgm
.LBB126_151:
	v_cmp_ge_u32_e32 vcc, v0, v1
	s_and_saveexec_b64 s[0:1], vcc
	s_xor_b64 s[0:1], exec, s[0:1]
	s_cbranch_execz .LBB126_157
; %bb.152:
	v_cmp_ge_u32_e32 vcc, v0, v12
	s_and_saveexec_b64 s[2:3], vcc
	s_xor_b64 s[2:3], exec, s[2:3]
	s_cbranch_execz .LBB126_154
; %bb.153:
	v_add_co_u32_e32 v13, vcc, v3, v0
	v_lshlrev_b32_e32 v15, 2, v0
	v_addc_co_u32_e32 v14, vcc, 0, v11, vcc
	ds_read_b32 v15, v15
	v_lshlrev_b64 v[13:14], 2, v[13:14]
	v_mov_b32_e32 v16, s47
	v_sub_co_u32_e32 v13, vcc, s46, v13
	v_subb_co_u32_e32 v14, vcc, v16, v14, vcc
	s_waitcnt lgkmcnt(0)
	global_store_dword v[13:14], v15, off offset:-4
.LBB126_154:
	s_andn2_saveexec_b64 s[2:3], s[2:3]
	s_cbranch_execz .LBB126_156
; %bb.155:
	v_lshlrev_b32_e32 v13, 2, v0
	ds_read_b32 v14, v13
	v_readfirstlane_b32 s4, v7
	v_readfirstlane_b32 s5, v8
	s_waitcnt lgkmcnt(0)
	s_nop 3
	global_store_dword v13, v14, s[4:5]
.LBB126_156:
	s_or_b64 exec, exec, s[2:3]
.LBB126_157:
	s_andn2_saveexec_b64 s[0:1], s[0:1]
	s_cbranch_execz .LBB126_159
; %bb.158:
	v_lshlrev_b32_e32 v13, 2, v0
	ds_read_b32 v14, v13
	v_readfirstlane_b32 s2, v9
	v_readfirstlane_b32 s3, v10
	s_waitcnt lgkmcnt(0)
	s_nop 3
	global_store_dword v13, v14, s[2:3]
.LBB126_159:
	s_or_b64 exec, exec, s[0:1]
	v_or_b32_e32 v13, 0x100, v0
	v_cmp_ge_u32_e32 vcc, v13, v1
	s_and_saveexec_b64 s[0:1], vcc
	s_xor_b64 s[0:1], exec, s[0:1]
	s_cbranch_execz .LBB126_165
; %bb.160:
	v_cmp_ge_u32_e32 vcc, v13, v12
	s_and_saveexec_b64 s[2:3], vcc
	s_xor_b64 s[2:3], exec, s[2:3]
	s_cbranch_execz .LBB126_162
; %bb.161:
	v_lshlrev_b32_e32 v13, 2, v0
	ds_read_b32 v15, v13 offset:1024
	v_add_co_u32_e32 v13, vcc, v3, v0
	v_addc_co_u32_e32 v14, vcc, 0, v11, vcc
	v_lshlrev_b64 v[13:14], 2, v[13:14]
	v_mov_b32_e32 v16, s47
	v_sub_co_u32_e32 v13, vcc, s46, v13
	v_subb_co_u32_e32 v14, vcc, v16, v14, vcc
	s_waitcnt lgkmcnt(0)
	global_store_dword v[13:14], v15, off offset:-1028
.LBB126_162:
	s_andn2_saveexec_b64 s[2:3], s[2:3]
	s_cbranch_execz .LBB126_164
; %bb.163:
	v_lshlrev_b32_e32 v13, 2, v0
	ds_read_b32 v14, v13 offset:1024
	v_readfirstlane_b32 s4, v7
	v_readfirstlane_b32 s5, v8
	s_waitcnt lgkmcnt(0)
	s_nop 3
	global_store_dword v13, v14, s[4:5] offset:1024
.LBB126_164:
	s_or_b64 exec, exec, s[2:3]
.LBB126_165:
	s_andn2_saveexec_b64 s[0:1], s[0:1]
	s_cbranch_execz .LBB126_167
; %bb.166:
	v_lshlrev_b32_e32 v13, 2, v0
	ds_read_b32 v14, v13 offset:1024
	v_readfirstlane_b32 s2, v9
	v_readfirstlane_b32 s3, v10
	s_waitcnt lgkmcnt(0)
	s_nop 3
	global_store_dword v13, v14, s[2:3] offset:1024
.LBB126_167:
	s_or_b64 exec, exec, s[0:1]
	v_or_b32_e32 v13, 0x200, v0
	v_cmp_ge_u32_e32 vcc, v13, v1
	s_and_saveexec_b64 s[0:1], vcc
	s_xor_b64 s[0:1], exec, s[0:1]
	s_cbranch_execz .LBB126_173
; %bb.168:
	v_cmp_ge_u32_e32 vcc, v13, v12
	s_and_saveexec_b64 s[2:3], vcc
	s_xor_b64 s[2:3], exec, s[2:3]
	s_cbranch_execz .LBB126_170
; %bb.169:
	v_lshlrev_b32_e32 v13, 2, v0
	ds_read_b32 v15, v13 offset:2048
	v_add_co_u32_e32 v13, vcc, v3, v0
	v_addc_co_u32_e32 v14, vcc, 0, v11, vcc
	v_lshlrev_b64 v[13:14], 2, v[13:14]
	v_mov_b32_e32 v16, s47
	v_sub_co_u32_e32 v13, vcc, s46, v13
	v_subb_co_u32_e32 v14, vcc, v16, v14, vcc
	s_waitcnt lgkmcnt(0)
	global_store_dword v[13:14], v15, off offset:-2052
.LBB126_170:
	s_andn2_saveexec_b64 s[2:3], s[2:3]
	s_cbranch_execz .LBB126_172
; %bb.171:
	v_lshlrev_b32_e32 v13, 2, v0
	ds_read_b32 v14, v13 offset:2048
	v_readfirstlane_b32 s4, v7
	v_readfirstlane_b32 s5, v8
	s_waitcnt lgkmcnt(0)
	s_nop 3
	global_store_dword v13, v14, s[4:5] offset:2048
.LBB126_172:
	s_or_b64 exec, exec, s[2:3]
.LBB126_173:
	s_andn2_saveexec_b64 s[0:1], s[0:1]
	s_cbranch_execz .LBB126_175
; %bb.174:
	v_lshlrev_b32_e32 v13, 2, v0
	ds_read_b32 v14, v13 offset:2048
	v_readfirstlane_b32 s2, v9
	v_readfirstlane_b32 s3, v10
	s_waitcnt lgkmcnt(0)
	s_nop 3
	global_store_dword v13, v14, s[2:3] offset:2048
.LBB126_175:
	;; [unrolled: 47-line block ×3, first 2 shown]
	s_or_b64 exec, exec, s[0:1]
	v_or_b32_e32 v13, 0x400, v0
	v_cmp_ge_u32_e32 vcc, v13, v1
	s_and_saveexec_b64 s[0:1], vcc
	s_xor_b64 s[0:1], exec, s[0:1]
	s_cbranch_execz .LBB126_189
; %bb.184:
	v_cmp_ge_u32_e32 vcc, v13, v12
	s_and_saveexec_b64 s[2:3], vcc
	s_xor_b64 s[2:3], exec, s[2:3]
	s_cbranch_execz .LBB126_186
; %bb.185:
	v_lshlrev_b32_e32 v13, 2, v0
	ds_read_b32 v15, v13 offset:4096
	v_add_co_u32_e32 v13, vcc, v3, v0
	v_addc_co_u32_e32 v14, vcc, 0, v11, vcc
	v_lshlrev_b64 v[13:14], 2, v[13:14]
	v_mov_b32_e32 v16, s47
	v_sub_co_u32_e32 v13, vcc, s46, v13
	v_subb_co_u32_e32 v14, vcc, v16, v14, vcc
	v_add_co_u32_e32 v13, vcc, 0xfffff000, v13
	v_addc_co_u32_e32 v14, vcc, -1, v14, vcc
	s_waitcnt lgkmcnt(0)
	global_store_dword v[13:14], v15, off offset:-4
                                        ; implicit-def: $vgpr13
.LBB126_186:
	s_andn2_saveexec_b64 s[2:3], s[2:3]
	s_cbranch_execz .LBB126_188
; %bb.187:
	v_lshlrev_b32_e32 v14, 2, v0
	ds_read_b32 v14, v14 offset:4096
	v_lshlrev_b32_e32 v13, 2, v13
	v_readfirstlane_b32 s4, v7
	v_readfirstlane_b32 s5, v8
	s_waitcnt lgkmcnt(0)
	s_nop 3
	global_store_dword v13, v14, s[4:5]
.LBB126_188:
	s_or_b64 exec, exec, s[2:3]
                                        ; implicit-def: $vgpr13
.LBB126_189:
	s_andn2_saveexec_b64 s[0:1], s[0:1]
	s_cbranch_execz .LBB126_191
; %bb.190:
	v_lshlrev_b32_e32 v14, 2, v0
	ds_read_b32 v14, v14 offset:4096
	v_lshlrev_b32_e32 v13, 2, v13
	v_readfirstlane_b32 s2, v9
	v_readfirstlane_b32 s3, v10
	s_waitcnt lgkmcnt(0)
	s_nop 3
	global_store_dword v13, v14, s[2:3]
.LBB126_191:
	s_or_b64 exec, exec, s[0:1]
	v_or_b32_e32 v13, 0x500, v0
	v_cmp_ge_u32_e32 vcc, v13, v1
	s_and_saveexec_b64 s[0:1], vcc
	s_xor_b64 s[0:1], exec, s[0:1]
	s_cbranch_execz .LBB126_197
; %bb.192:
	v_cmp_ge_u32_e32 vcc, v13, v12
	s_and_saveexec_b64 s[2:3], vcc
	s_xor_b64 s[2:3], exec, s[2:3]
	s_cbranch_execz .LBB126_194
; %bb.193:
	v_add_co_u32_e32 v13, vcc, v3, v13
	v_lshlrev_b32_e32 v15, 2, v0
	v_addc_co_u32_e32 v14, vcc, 0, v11, vcc
	ds_read_b32 v15, v15 offset:5120
	v_lshlrev_b64 v[13:14], 2, v[13:14]
	v_mov_b32_e32 v16, s47
	v_sub_co_u32_e32 v13, vcc, s46, v13
	v_subb_co_u32_e32 v14, vcc, v16, v14, vcc
	s_waitcnt lgkmcnt(0)
	global_store_dword v[13:14], v15, off offset:-4
                                        ; implicit-def: $vgpr13
.LBB126_194:
	s_andn2_saveexec_b64 s[2:3], s[2:3]
	s_cbranch_execz .LBB126_196
; %bb.195:
	v_lshlrev_b32_e32 v14, 2, v0
	ds_read_b32 v14, v14 offset:5120
	v_lshlrev_b32_e32 v13, 2, v13
	v_readfirstlane_b32 s4, v7
	v_readfirstlane_b32 s5, v8
	s_waitcnt lgkmcnt(0)
	s_nop 3
	global_store_dword v13, v14, s[4:5]
.LBB126_196:
	s_or_b64 exec, exec, s[2:3]
                                        ; implicit-def: $vgpr13
.LBB126_197:
	s_andn2_saveexec_b64 s[0:1], s[0:1]
	s_cbranch_execz .LBB126_199
; %bb.198:
	v_lshlrev_b32_e32 v14, 2, v0
	ds_read_b32 v14, v14 offset:5120
	v_lshlrev_b32_e32 v13, 2, v13
	v_readfirstlane_b32 s2, v9
	v_readfirstlane_b32 s3, v10
	s_waitcnt lgkmcnt(0)
	s_nop 3
	global_store_dword v13, v14, s[2:3]
.LBB126_199:
	s_or_b64 exec, exec, s[0:1]
	v_or_b32_e32 v13, 0x600, v0
	v_cmp_ge_u32_e32 vcc, v13, v1
	s_and_saveexec_b64 s[0:1], vcc
	s_xor_b64 s[0:1], exec, s[0:1]
	s_cbranch_execz .LBB126_205
; %bb.200:
	v_cmp_ge_u32_e32 vcc, v13, v12
	s_and_saveexec_b64 s[2:3], vcc
	s_xor_b64 s[2:3], exec, s[2:3]
	s_cbranch_execz .LBB126_202
; %bb.201:
	v_add_co_u32_e32 v13, vcc, v3, v13
	v_lshlrev_b32_e32 v15, 2, v0
	v_addc_co_u32_e32 v14, vcc, 0, v11, vcc
	ds_read_b32 v15, v15 offset:6144
	v_lshlrev_b64 v[13:14], 2, v[13:14]
	v_mov_b32_e32 v16, s47
	v_sub_co_u32_e32 v13, vcc, s46, v13
	v_subb_co_u32_e32 v14, vcc, v16, v14, vcc
	s_waitcnt lgkmcnt(0)
	global_store_dword v[13:14], v15, off offset:-4
                                        ; implicit-def: $vgpr13
.LBB126_202:
	s_andn2_saveexec_b64 s[2:3], s[2:3]
	s_cbranch_execz .LBB126_204
; %bb.203:
	v_lshlrev_b32_e32 v14, 2, v0
	ds_read_b32 v14, v14 offset:6144
	v_lshlrev_b32_e32 v13, 2, v13
	v_readfirstlane_b32 s4, v7
	v_readfirstlane_b32 s5, v8
	s_waitcnt lgkmcnt(0)
	s_nop 3
	global_store_dword v13, v14, s[4:5]
.LBB126_204:
	s_or_b64 exec, exec, s[2:3]
                                        ; implicit-def: $vgpr13
.LBB126_205:
	;; [unrolled: 51-line block ×8, first 2 shown]
	s_andn2_saveexec_b64 s[0:1], s[0:1]
	s_cbranch_execz .LBB126_255
; %bb.254:
	v_lshlrev_b32_e32 v14, 2, v0
	ds_read_b32 v14, v14 offset:12288
	v_lshlrev_b32_e32 v13, 2, v13
	v_readfirstlane_b32 s2, v9
	v_readfirstlane_b32 s3, v10
	s_waitcnt lgkmcnt(0)
	s_nop 3
	global_store_dword v13, v14, s[2:3]
.LBB126_255:
	s_or_b64 exec, exec, s[0:1]
	s_branch .LBB126_149
.LBB126_256:
	v_cmp_gt_u32_e32 vcc, s18, v0
	s_and_saveexec_b64 s[0:1], vcc
	s_cbranch_execz .LBB126_265
; %bb.257:
	v_cmp_ge_u32_e32 vcc, v0, v1
	s_and_saveexec_b64 s[2:3], vcc
	s_xor_b64 s[2:3], exec, s[2:3]
	s_cbranch_execz .LBB126_263
; %bb.258:
	v_cmp_ge_u32_e32 vcc, v0, v12
	s_and_saveexec_b64 s[4:5], vcc
	s_xor_b64 s[4:5], exec, s[4:5]
	s_cbranch_execz .LBB126_260
; %bb.259:
	v_add_co_u32_e32 v13, vcc, v3, v0
	v_lshlrev_b32_e32 v15, 2, v0
	v_addc_co_u32_e32 v14, vcc, 0, v11, vcc
	ds_read_b32 v15, v15
	v_lshlrev_b64 v[13:14], 2, v[13:14]
	v_mov_b32_e32 v16, s47
	v_sub_co_u32_e32 v13, vcc, s46, v13
	v_subb_co_u32_e32 v14, vcc, v16, v14, vcc
	s_waitcnt lgkmcnt(0)
	global_store_dword v[13:14], v15, off offset:-4
.LBB126_260:
	s_andn2_saveexec_b64 s[4:5], s[4:5]
	s_cbranch_execz .LBB126_262
; %bb.261:
	v_lshlrev_b32_e32 v13, 2, v0
	ds_read_b32 v14, v13
	v_readfirstlane_b32 s6, v7
	v_readfirstlane_b32 s7, v8
	s_waitcnt lgkmcnt(0)
	s_nop 3
	global_store_dword v13, v14, s[6:7]
.LBB126_262:
	s_or_b64 exec, exec, s[4:5]
.LBB126_263:
	s_andn2_saveexec_b64 s[2:3], s[2:3]
	s_cbranch_execz .LBB126_265
; %bb.264:
	v_lshlrev_b32_e32 v13, 2, v0
	ds_read_b32 v14, v13
	v_readfirstlane_b32 s2, v9
	v_readfirstlane_b32 s3, v10
	s_waitcnt lgkmcnt(0)
	s_nop 3
	global_store_dword v13, v14, s[2:3]
.LBB126_265:
	s_or_b64 exec, exec, s[0:1]
	v_or_b32_e32 v13, 0x100, v0
	v_cmp_gt_u32_e32 vcc, s18, v13
	s_and_saveexec_b64 s[0:1], vcc
	s_cbranch_execz .LBB126_274
; %bb.266:
	v_cmp_ge_u32_e32 vcc, v13, v1
	s_and_saveexec_b64 s[2:3], vcc
	s_xor_b64 s[2:3], exec, s[2:3]
	s_cbranch_execz .LBB126_272
; %bb.267:
	v_cmp_ge_u32_e32 vcc, v13, v12
	s_and_saveexec_b64 s[4:5], vcc
	s_xor_b64 s[4:5], exec, s[4:5]
	s_cbranch_execz .LBB126_269
; %bb.268:
	v_lshlrev_b32_e32 v13, 2, v0
	ds_read_b32 v15, v13 offset:1024
	v_add_co_u32_e32 v13, vcc, v3, v0
	v_addc_co_u32_e32 v14, vcc, 0, v11, vcc
	v_lshlrev_b64 v[13:14], 2, v[13:14]
	v_mov_b32_e32 v16, s47
	v_sub_co_u32_e32 v13, vcc, s46, v13
	v_subb_co_u32_e32 v14, vcc, v16, v14, vcc
	s_waitcnt lgkmcnt(0)
	global_store_dword v[13:14], v15, off offset:-1028
.LBB126_269:
	s_andn2_saveexec_b64 s[4:5], s[4:5]
	s_cbranch_execz .LBB126_271
; %bb.270:
	v_lshlrev_b32_e32 v13, 2, v0
	ds_read_b32 v14, v13 offset:1024
	v_readfirstlane_b32 s6, v7
	v_readfirstlane_b32 s7, v8
	s_waitcnt lgkmcnt(0)
	s_nop 3
	global_store_dword v13, v14, s[6:7] offset:1024
.LBB126_271:
	s_or_b64 exec, exec, s[4:5]
.LBB126_272:
	s_andn2_saveexec_b64 s[2:3], s[2:3]
	s_cbranch_execz .LBB126_274
; %bb.273:
	v_lshlrev_b32_e32 v13, 2, v0
	ds_read_b32 v14, v13 offset:1024
	v_readfirstlane_b32 s2, v9
	v_readfirstlane_b32 s3, v10
	s_waitcnt lgkmcnt(0)
	s_nop 3
	global_store_dword v13, v14, s[2:3] offset:1024
.LBB126_274:
	s_or_b64 exec, exec, s[0:1]
	v_or_b32_e32 v13, 0x200, v0
	v_cmp_gt_u32_e32 vcc, s18, v13
	s_and_saveexec_b64 s[0:1], vcc
	s_cbranch_execz .LBB126_283
; %bb.275:
	v_cmp_ge_u32_e32 vcc, v13, v1
	s_and_saveexec_b64 s[2:3], vcc
	s_xor_b64 s[2:3], exec, s[2:3]
	s_cbranch_execz .LBB126_281
; %bb.276:
	v_cmp_ge_u32_e32 vcc, v13, v12
	s_and_saveexec_b64 s[4:5], vcc
	s_xor_b64 s[4:5], exec, s[4:5]
	s_cbranch_execz .LBB126_278
; %bb.277:
	v_lshlrev_b32_e32 v13, 2, v0
	ds_read_b32 v15, v13 offset:2048
	v_add_co_u32_e32 v13, vcc, v3, v0
	v_addc_co_u32_e32 v14, vcc, 0, v11, vcc
	v_lshlrev_b64 v[13:14], 2, v[13:14]
	v_mov_b32_e32 v16, s47
	v_sub_co_u32_e32 v13, vcc, s46, v13
	v_subb_co_u32_e32 v14, vcc, v16, v14, vcc
	s_waitcnt lgkmcnt(0)
	global_store_dword v[13:14], v15, off offset:-2052
.LBB126_278:
	s_andn2_saveexec_b64 s[4:5], s[4:5]
	s_cbranch_execz .LBB126_280
; %bb.279:
	v_lshlrev_b32_e32 v13, 2, v0
	ds_read_b32 v14, v13 offset:2048
	v_readfirstlane_b32 s6, v7
	v_readfirstlane_b32 s7, v8
	s_waitcnt lgkmcnt(0)
	s_nop 3
	global_store_dword v13, v14, s[6:7] offset:2048
.LBB126_280:
	s_or_b64 exec, exec, s[4:5]
.LBB126_281:
	s_andn2_saveexec_b64 s[2:3], s[2:3]
	s_cbranch_execz .LBB126_283
; %bb.282:
	v_lshlrev_b32_e32 v13, 2, v0
	ds_read_b32 v14, v13 offset:2048
	v_readfirstlane_b32 s2, v9
	v_readfirstlane_b32 s3, v10
	s_waitcnt lgkmcnt(0)
	s_nop 3
	global_store_dword v13, v14, s[2:3] offset:2048
.LBB126_283:
	;; [unrolled: 51-line block ×3, first 2 shown]
	s_or_b64 exec, exec, s[0:1]
	v_or_b32_e32 v13, 0x400, v0
	v_cmp_gt_u32_e32 vcc, s18, v13
	s_and_saveexec_b64 s[0:1], vcc
	s_cbranch_execz .LBB126_301
; %bb.293:
	v_cmp_ge_u32_e32 vcc, v13, v1
	s_and_saveexec_b64 s[2:3], vcc
	s_xor_b64 s[2:3], exec, s[2:3]
	s_cbranch_execz .LBB126_299
; %bb.294:
	v_cmp_ge_u32_e32 vcc, v13, v12
	s_and_saveexec_b64 s[4:5], vcc
	s_xor_b64 s[4:5], exec, s[4:5]
	s_cbranch_execz .LBB126_296
; %bb.295:
	v_lshlrev_b32_e32 v13, 2, v0
	ds_read_b32 v15, v13 offset:4096
	v_add_co_u32_e32 v13, vcc, v3, v0
	v_addc_co_u32_e32 v14, vcc, 0, v11, vcc
	v_lshlrev_b64 v[13:14], 2, v[13:14]
	v_mov_b32_e32 v16, s47
	v_sub_co_u32_e32 v13, vcc, s46, v13
	v_subb_co_u32_e32 v14, vcc, v16, v14, vcc
	v_add_co_u32_e32 v13, vcc, 0xfffff000, v13
	v_addc_co_u32_e32 v14, vcc, -1, v14, vcc
	s_waitcnt lgkmcnt(0)
	global_store_dword v[13:14], v15, off offset:-4
                                        ; implicit-def: $vgpr13
.LBB126_296:
	s_andn2_saveexec_b64 s[4:5], s[4:5]
	s_cbranch_execz .LBB126_298
; %bb.297:
	v_lshlrev_b32_e32 v14, 2, v0
	ds_read_b32 v14, v14 offset:4096
	v_lshlrev_b32_e32 v13, 2, v13
	v_readfirstlane_b32 s6, v7
	v_readfirstlane_b32 s7, v8
	s_waitcnt lgkmcnt(0)
	s_nop 3
	global_store_dword v13, v14, s[6:7]
.LBB126_298:
	s_or_b64 exec, exec, s[4:5]
                                        ; implicit-def: $vgpr13
.LBB126_299:
	s_andn2_saveexec_b64 s[2:3], s[2:3]
	s_cbranch_execz .LBB126_301
; %bb.300:
	v_lshlrev_b32_e32 v14, 2, v0
	ds_read_b32 v14, v14 offset:4096
	v_lshlrev_b32_e32 v13, 2, v13
	v_readfirstlane_b32 s2, v9
	v_readfirstlane_b32 s3, v10
	s_waitcnt lgkmcnt(0)
	s_nop 3
	global_store_dword v13, v14, s[2:3]
.LBB126_301:
	s_or_b64 exec, exec, s[0:1]
	v_or_b32_e32 v13, 0x500, v0
	v_cmp_gt_u32_e32 vcc, s18, v13
	s_and_saveexec_b64 s[0:1], vcc
	s_cbranch_execz .LBB126_310
; %bb.302:
	v_cmp_ge_u32_e32 vcc, v13, v1
	s_and_saveexec_b64 s[2:3], vcc
	s_xor_b64 s[2:3], exec, s[2:3]
	s_cbranch_execz .LBB126_308
; %bb.303:
	v_cmp_ge_u32_e32 vcc, v13, v12
	s_and_saveexec_b64 s[4:5], vcc
	s_xor_b64 s[4:5], exec, s[4:5]
	s_cbranch_execz .LBB126_305
; %bb.304:
	v_add_co_u32_e32 v13, vcc, v3, v13
	v_lshlrev_b32_e32 v15, 2, v0
	v_addc_co_u32_e32 v14, vcc, 0, v11, vcc
	ds_read_b32 v15, v15 offset:5120
	v_lshlrev_b64 v[13:14], 2, v[13:14]
	v_mov_b32_e32 v16, s47
	v_sub_co_u32_e32 v13, vcc, s46, v13
	v_subb_co_u32_e32 v14, vcc, v16, v14, vcc
	s_waitcnt lgkmcnt(0)
	global_store_dword v[13:14], v15, off offset:-4
                                        ; implicit-def: $vgpr13
.LBB126_305:
	s_andn2_saveexec_b64 s[4:5], s[4:5]
	s_cbranch_execz .LBB126_307
; %bb.306:
	v_lshlrev_b32_e32 v14, 2, v0
	ds_read_b32 v14, v14 offset:5120
	v_lshlrev_b32_e32 v13, 2, v13
	v_readfirstlane_b32 s6, v7
	v_readfirstlane_b32 s7, v8
	s_waitcnt lgkmcnt(0)
	s_nop 3
	global_store_dword v13, v14, s[6:7]
.LBB126_307:
	s_or_b64 exec, exec, s[4:5]
                                        ; implicit-def: $vgpr13
.LBB126_308:
	s_andn2_saveexec_b64 s[2:3], s[2:3]
	s_cbranch_execz .LBB126_310
; %bb.309:
	v_lshlrev_b32_e32 v14, 2, v0
	ds_read_b32 v14, v14 offset:5120
	v_lshlrev_b32_e32 v13, 2, v13
	v_readfirstlane_b32 s2, v9
	v_readfirstlane_b32 s3, v10
	s_waitcnt lgkmcnt(0)
	s_nop 3
	global_store_dword v13, v14, s[2:3]
.LBB126_310:
	s_or_b64 exec, exec, s[0:1]
	v_or_b32_e32 v13, 0x600, v0
	v_cmp_gt_u32_e32 vcc, s18, v13
	s_and_saveexec_b64 s[0:1], vcc
	s_cbranch_execz .LBB126_319
; %bb.311:
	v_cmp_ge_u32_e32 vcc, v13, v1
	s_and_saveexec_b64 s[2:3], vcc
	s_xor_b64 s[2:3], exec, s[2:3]
	s_cbranch_execz .LBB126_317
; %bb.312:
	v_cmp_ge_u32_e32 vcc, v13, v12
	s_and_saveexec_b64 s[4:5], vcc
	s_xor_b64 s[4:5], exec, s[4:5]
	s_cbranch_execz .LBB126_314
; %bb.313:
	v_add_co_u32_e32 v13, vcc, v3, v13
	v_lshlrev_b32_e32 v15, 2, v0
	v_addc_co_u32_e32 v14, vcc, 0, v11, vcc
	ds_read_b32 v15, v15 offset:6144
	v_lshlrev_b64 v[13:14], 2, v[13:14]
	v_mov_b32_e32 v16, s47
	v_sub_co_u32_e32 v13, vcc, s46, v13
	v_subb_co_u32_e32 v14, vcc, v16, v14, vcc
	s_waitcnt lgkmcnt(0)
	global_store_dword v[13:14], v15, off offset:-4
                                        ; implicit-def: $vgpr13
.LBB126_314:
	s_andn2_saveexec_b64 s[4:5], s[4:5]
	s_cbranch_execz .LBB126_316
; %bb.315:
	v_lshlrev_b32_e32 v14, 2, v0
	ds_read_b32 v14, v14 offset:6144
	v_lshlrev_b32_e32 v13, 2, v13
	v_readfirstlane_b32 s6, v7
	v_readfirstlane_b32 s7, v8
	s_waitcnt lgkmcnt(0)
	s_nop 3
	global_store_dword v13, v14, s[6:7]
.LBB126_316:
	s_or_b64 exec, exec, s[4:5]
                                        ; implicit-def: $vgpr13
.LBB126_317:
	s_andn2_saveexec_b64 s[2:3], s[2:3]
	s_cbranch_execz .LBB126_319
; %bb.318:
	v_lshlrev_b32_e32 v14, 2, v0
	ds_read_b32 v14, v14 offset:6144
	v_lshlrev_b32_e32 v13, 2, v13
	v_readfirstlane_b32 s2, v9
	v_readfirstlane_b32 s3, v10
	s_waitcnt lgkmcnt(0)
	s_nop 3
	global_store_dword v13, v14, s[2:3]
.LBB126_319:
	;; [unrolled: 55-line block ×7, first 2 shown]
	s_or_b64 exec, exec, s[0:1]
	v_or_b32_e32 v13, 0xc00, v0
	v_cmp_gt_u32_e32 vcc, s18, v13
	s_and_saveexec_b64 s[0:1], vcc
	s_cbranch_execz .LBB126_373
; %bb.365:
	v_cmp_ge_u32_e32 vcc, v13, v1
	s_and_saveexec_b64 s[2:3], vcc
	s_xor_b64 s[2:3], exec, s[2:3]
	s_cbranch_execz .LBB126_371
; %bb.366:
	v_cmp_ge_u32_e32 vcc, v13, v12
	s_and_saveexec_b64 s[4:5], vcc
	s_xor_b64 s[4:5], exec, s[4:5]
	s_cbranch_execz .LBB126_368
; %bb.367:
	v_add_co_u32_e32 v7, vcc, v3, v13
	v_lshlrev_b32_e32 v3, 2, v0
	v_addc_co_u32_e32 v8, vcc, 0, v11, vcc
	ds_read_b32 v3, v3 offset:12288
	v_lshlrev_b64 v[7:8], 2, v[7:8]
	v_mov_b32_e32 v9, s47
	v_sub_co_u32_e32 v7, vcc, s46, v7
	v_subb_co_u32_e32 v8, vcc, v9, v8, vcc
	s_waitcnt lgkmcnt(0)
	global_store_dword v[7:8], v3, off offset:-4
                                        ; implicit-def: $vgpr13
                                        ; implicit-def: $vgpr7_vgpr8
.LBB126_368:
	s_andn2_saveexec_b64 s[4:5], s[4:5]
	s_cbranch_execz .LBB126_370
; %bb.369:
	v_lshlrev_b32_e32 v3, 2, v0
	ds_read_b32 v3, v3 offset:12288
	v_lshlrev_b32_e32 v9, 2, v13
	v_readfirstlane_b32 s6, v7
	v_readfirstlane_b32 s7, v8
	s_waitcnt lgkmcnt(0)
	s_nop 3
	global_store_dword v9, v3, s[6:7]
.LBB126_370:
	s_or_b64 exec, exec, s[4:5]
                                        ; implicit-def: $vgpr13
                                        ; implicit-def: $vgpr9_vgpr10
.LBB126_371:
	s_andn2_saveexec_b64 s[2:3], s[2:3]
	s_cbranch_execz .LBB126_373
; %bb.372:
	v_lshlrev_b32_e32 v3, 2, v0
	ds_read_b32 v3, v3 offset:12288
	v_lshlrev_b32_e32 v7, 2, v13
	v_readfirstlane_b32 s2, v9
	v_readfirstlane_b32 s3, v10
	s_waitcnt lgkmcnt(0)
	s_nop 3
	global_store_dword v7, v3, s[2:3]
.LBB126_373:
	s_or_b64 exec, exec, s[0:1]
	v_cmp_eq_u32_e32 vcc, 0, v0
	s_and_b64 s[0:1], vcc, s[34:35]
	s_and_saveexec_b64 s[2:3], s[0:1]
	s_cbranch_execz .LBB126_150
.LBB126_374:
	v_mov_b32_e32 v0, s51
	v_add_co_u32_e32 v2, vcc, s50, v2
	v_addc_co_u32_e32 v0, vcc, 0, v0, vcc
	v_add_co_u32_e32 v2, vcc, v2, v4
	v_addc_co_u32_e32 v3, vcc, 0, v0, vcc
	v_add_co_u32_e32 v0, vcc, v5, v1
	v_mov_b32_e32 v7, 0
	v_addc_co_u32_e32 v1, vcc, 0, v6, vcc
	global_store_dwordx4 v7, v[0:3], s[44:45]
	s_endpgm
.LBB126_375:
	s_add_i32 s6, s6, 64
	s_mov_b32 s7, 0
	s_lshl_b64 s[6:7], s[6:7], 4
	s_add_u32 s6, s12, s6
	s_addc_u32 s7, s13, s7
	v_mov_b32_e32 v24, s7
	v_add_u32_e32 v6, v4, v2
	v_add_u32_e32 v5, v3, v1
	v_mov_b32_e32 v7, 2
	v_mov_b32_e32 v8, 0
	v_mov_b32_e32 v23, s6
	;;#ASMSTART
	global_store_dwordx4 v[23:24], v[5:8] off	
s_waitcnt vmcnt(0)
	;;#ASMEND
	s_or_b64 exec, exec, s[14:15]
	s_and_saveexec_b64 s[6:7], s[8:9]
	s_cbranch_execz .LBB126_135
.LBB126_376:
	v_mov_b32_e32 v5, 0
	ds_write_b128 v5, v[1:4] offset:13312
	s_or_b64 exec, exec, s[6:7]
	v_cmp_eq_u32_e32 vcc, 0, v0
	s_and_b64 exec, exec, vcc
	s_cbranch_execnz .LBB126_136
	s_branch .LBB126_137
	.section	.rodata,"a",@progbits
	.p2align	6, 0x0
	.amdhsa_kernel _ZN7rocprim17ROCPRIM_400000_NS6detail17trampoline_kernelINS0_13select_configILj256ELj13ELNS0_17block_load_methodE3ELS4_3ELS4_3ELNS0_20block_scan_algorithmE0ELj4294967295EEENS1_25partition_config_selectorILNS1_17partition_subalgoE4EjNS0_10empty_typeEbEEZZNS1_14partition_implILS8_4ELb0ES6_15HIP_vector_typeIjLj2EENS0_17counting_iteratorIjlEEPS9_SG_NS0_5tupleIJPjSI_NS0_16reverse_iteratorISI_EEEEENSH_IJSG_SG_SG_EEES9_SI_JZNS1_25segmented_radix_sort_implINS0_14default_configELb0EPKhPhPKlPlN2at6native12_GLOBAL__N_18offset_tEEE10hipError_tPvRmT1_PNSt15iterator_traitsIS12_E10value_typeET2_T3_PNS13_IS18_E10value_typeET4_jRbjT5_S1E_jjP12ihipStream_tbEUljE_ZNSN_ISO_Lb0ESQ_SR_ST_SU_SY_EESZ_S10_S11_S12_S16_S17_S18_S1B_S1C_jS1D_jS1E_S1E_jjS1G_bEUljE0_EEESZ_S10_S11_S18_S1C_S1E_T6_T7_T9_mT8_S1G_bDpT10_ENKUlT_T0_E_clISt17integral_constantIbLb0EES1U_EEDaS1P_S1Q_EUlS1P_E_NS1_11comp_targetILNS1_3genE2ELNS1_11target_archE906ELNS1_3gpuE6ELNS1_3repE0EEENS1_30default_config_static_selectorELNS0_4arch9wavefront6targetE1EEEvS12_
		.amdhsa_group_segment_fixed_size 13328
		.amdhsa_private_segment_fixed_size 0
		.amdhsa_kernarg_size 176
		.amdhsa_user_sgpr_count 6
		.amdhsa_user_sgpr_private_segment_buffer 1
		.amdhsa_user_sgpr_dispatch_ptr 0
		.amdhsa_user_sgpr_queue_ptr 0
		.amdhsa_user_sgpr_kernarg_segment_ptr 1
		.amdhsa_user_sgpr_dispatch_id 0
		.amdhsa_user_sgpr_flat_scratch_init 0
		.amdhsa_user_sgpr_private_segment_size 0
		.amdhsa_uses_dynamic_stack 0
		.amdhsa_system_sgpr_private_segment_wavefront_offset 0
		.amdhsa_system_sgpr_workgroup_id_x 1
		.amdhsa_system_sgpr_workgroup_id_y 0
		.amdhsa_system_sgpr_workgroup_id_z 0
		.amdhsa_system_sgpr_workgroup_info 0
		.amdhsa_system_vgpr_workitem_id 0
		.amdhsa_next_free_vgpr 86
		.amdhsa_next_free_sgpr 98
		.amdhsa_reserve_vcc 1
		.amdhsa_reserve_flat_scratch 0
		.amdhsa_float_round_mode_32 0
		.amdhsa_float_round_mode_16_64 0
		.amdhsa_float_denorm_mode_32 3
		.amdhsa_float_denorm_mode_16_64 3
		.amdhsa_dx10_clamp 1
		.amdhsa_ieee_mode 1
		.amdhsa_fp16_overflow 0
		.amdhsa_exception_fp_ieee_invalid_op 0
		.amdhsa_exception_fp_denorm_src 0
		.amdhsa_exception_fp_ieee_div_zero 0
		.amdhsa_exception_fp_ieee_overflow 0
		.amdhsa_exception_fp_ieee_underflow 0
		.amdhsa_exception_fp_ieee_inexact 0
		.amdhsa_exception_int_div_zero 0
	.end_amdhsa_kernel
	.section	.text._ZN7rocprim17ROCPRIM_400000_NS6detail17trampoline_kernelINS0_13select_configILj256ELj13ELNS0_17block_load_methodE3ELS4_3ELS4_3ELNS0_20block_scan_algorithmE0ELj4294967295EEENS1_25partition_config_selectorILNS1_17partition_subalgoE4EjNS0_10empty_typeEbEEZZNS1_14partition_implILS8_4ELb0ES6_15HIP_vector_typeIjLj2EENS0_17counting_iteratorIjlEEPS9_SG_NS0_5tupleIJPjSI_NS0_16reverse_iteratorISI_EEEEENSH_IJSG_SG_SG_EEES9_SI_JZNS1_25segmented_radix_sort_implINS0_14default_configELb0EPKhPhPKlPlN2at6native12_GLOBAL__N_18offset_tEEE10hipError_tPvRmT1_PNSt15iterator_traitsIS12_E10value_typeET2_T3_PNS13_IS18_E10value_typeET4_jRbjT5_S1E_jjP12ihipStream_tbEUljE_ZNSN_ISO_Lb0ESQ_SR_ST_SU_SY_EESZ_S10_S11_S12_S16_S17_S18_S1B_S1C_jS1D_jS1E_S1E_jjS1G_bEUljE0_EEESZ_S10_S11_S18_S1C_S1E_T6_T7_T9_mT8_S1G_bDpT10_ENKUlT_T0_E_clISt17integral_constantIbLb0EES1U_EEDaS1P_S1Q_EUlS1P_E_NS1_11comp_targetILNS1_3genE2ELNS1_11target_archE906ELNS1_3gpuE6ELNS1_3repE0EEENS1_30default_config_static_selectorELNS0_4arch9wavefront6targetE1EEEvS12_,"axG",@progbits,_ZN7rocprim17ROCPRIM_400000_NS6detail17trampoline_kernelINS0_13select_configILj256ELj13ELNS0_17block_load_methodE3ELS4_3ELS4_3ELNS0_20block_scan_algorithmE0ELj4294967295EEENS1_25partition_config_selectorILNS1_17partition_subalgoE4EjNS0_10empty_typeEbEEZZNS1_14partition_implILS8_4ELb0ES6_15HIP_vector_typeIjLj2EENS0_17counting_iteratorIjlEEPS9_SG_NS0_5tupleIJPjSI_NS0_16reverse_iteratorISI_EEEEENSH_IJSG_SG_SG_EEES9_SI_JZNS1_25segmented_radix_sort_implINS0_14default_configELb0EPKhPhPKlPlN2at6native12_GLOBAL__N_18offset_tEEE10hipError_tPvRmT1_PNSt15iterator_traitsIS12_E10value_typeET2_T3_PNS13_IS18_E10value_typeET4_jRbjT5_S1E_jjP12ihipStream_tbEUljE_ZNSN_ISO_Lb0ESQ_SR_ST_SU_SY_EESZ_S10_S11_S12_S16_S17_S18_S1B_S1C_jS1D_jS1E_S1E_jjS1G_bEUljE0_EEESZ_S10_S11_S18_S1C_S1E_T6_T7_T9_mT8_S1G_bDpT10_ENKUlT_T0_E_clISt17integral_constantIbLb0EES1U_EEDaS1P_S1Q_EUlS1P_E_NS1_11comp_targetILNS1_3genE2ELNS1_11target_archE906ELNS1_3gpuE6ELNS1_3repE0EEENS1_30default_config_static_selectorELNS0_4arch9wavefront6targetE1EEEvS12_,comdat
.Lfunc_end126:
	.size	_ZN7rocprim17ROCPRIM_400000_NS6detail17trampoline_kernelINS0_13select_configILj256ELj13ELNS0_17block_load_methodE3ELS4_3ELS4_3ELNS0_20block_scan_algorithmE0ELj4294967295EEENS1_25partition_config_selectorILNS1_17partition_subalgoE4EjNS0_10empty_typeEbEEZZNS1_14partition_implILS8_4ELb0ES6_15HIP_vector_typeIjLj2EENS0_17counting_iteratorIjlEEPS9_SG_NS0_5tupleIJPjSI_NS0_16reverse_iteratorISI_EEEEENSH_IJSG_SG_SG_EEES9_SI_JZNS1_25segmented_radix_sort_implINS0_14default_configELb0EPKhPhPKlPlN2at6native12_GLOBAL__N_18offset_tEEE10hipError_tPvRmT1_PNSt15iterator_traitsIS12_E10value_typeET2_T3_PNS13_IS18_E10value_typeET4_jRbjT5_S1E_jjP12ihipStream_tbEUljE_ZNSN_ISO_Lb0ESQ_SR_ST_SU_SY_EESZ_S10_S11_S12_S16_S17_S18_S1B_S1C_jS1D_jS1E_S1E_jjS1G_bEUljE0_EEESZ_S10_S11_S18_S1C_S1E_T6_T7_T9_mT8_S1G_bDpT10_ENKUlT_T0_E_clISt17integral_constantIbLb0EES1U_EEDaS1P_S1Q_EUlS1P_E_NS1_11comp_targetILNS1_3genE2ELNS1_11target_archE906ELNS1_3gpuE6ELNS1_3repE0EEENS1_30default_config_static_selectorELNS0_4arch9wavefront6targetE1EEEvS12_, .Lfunc_end126-_ZN7rocprim17ROCPRIM_400000_NS6detail17trampoline_kernelINS0_13select_configILj256ELj13ELNS0_17block_load_methodE3ELS4_3ELS4_3ELNS0_20block_scan_algorithmE0ELj4294967295EEENS1_25partition_config_selectorILNS1_17partition_subalgoE4EjNS0_10empty_typeEbEEZZNS1_14partition_implILS8_4ELb0ES6_15HIP_vector_typeIjLj2EENS0_17counting_iteratorIjlEEPS9_SG_NS0_5tupleIJPjSI_NS0_16reverse_iteratorISI_EEEEENSH_IJSG_SG_SG_EEES9_SI_JZNS1_25segmented_radix_sort_implINS0_14default_configELb0EPKhPhPKlPlN2at6native12_GLOBAL__N_18offset_tEEE10hipError_tPvRmT1_PNSt15iterator_traitsIS12_E10value_typeET2_T3_PNS13_IS18_E10value_typeET4_jRbjT5_S1E_jjP12ihipStream_tbEUljE_ZNSN_ISO_Lb0ESQ_SR_ST_SU_SY_EESZ_S10_S11_S12_S16_S17_S18_S1B_S1C_jS1D_jS1E_S1E_jjS1G_bEUljE0_EEESZ_S10_S11_S18_S1C_S1E_T6_T7_T9_mT8_S1G_bDpT10_ENKUlT_T0_E_clISt17integral_constantIbLb0EES1U_EEDaS1P_S1Q_EUlS1P_E_NS1_11comp_targetILNS1_3genE2ELNS1_11target_archE906ELNS1_3gpuE6ELNS1_3repE0EEENS1_30default_config_static_selectorELNS0_4arch9wavefront6targetE1EEEvS12_
                                        ; -- End function
	.set _ZN7rocprim17ROCPRIM_400000_NS6detail17trampoline_kernelINS0_13select_configILj256ELj13ELNS0_17block_load_methodE3ELS4_3ELS4_3ELNS0_20block_scan_algorithmE0ELj4294967295EEENS1_25partition_config_selectorILNS1_17partition_subalgoE4EjNS0_10empty_typeEbEEZZNS1_14partition_implILS8_4ELb0ES6_15HIP_vector_typeIjLj2EENS0_17counting_iteratorIjlEEPS9_SG_NS0_5tupleIJPjSI_NS0_16reverse_iteratorISI_EEEEENSH_IJSG_SG_SG_EEES9_SI_JZNS1_25segmented_radix_sort_implINS0_14default_configELb0EPKhPhPKlPlN2at6native12_GLOBAL__N_18offset_tEEE10hipError_tPvRmT1_PNSt15iterator_traitsIS12_E10value_typeET2_T3_PNS13_IS18_E10value_typeET4_jRbjT5_S1E_jjP12ihipStream_tbEUljE_ZNSN_ISO_Lb0ESQ_SR_ST_SU_SY_EESZ_S10_S11_S12_S16_S17_S18_S1B_S1C_jS1D_jS1E_S1E_jjS1G_bEUljE0_EEESZ_S10_S11_S18_S1C_S1E_T6_T7_T9_mT8_S1G_bDpT10_ENKUlT_T0_E_clISt17integral_constantIbLb0EES1U_EEDaS1P_S1Q_EUlS1P_E_NS1_11comp_targetILNS1_3genE2ELNS1_11target_archE906ELNS1_3gpuE6ELNS1_3repE0EEENS1_30default_config_static_selectorELNS0_4arch9wavefront6targetE1EEEvS12_.num_vgpr, 86
	.set _ZN7rocprim17ROCPRIM_400000_NS6detail17trampoline_kernelINS0_13select_configILj256ELj13ELNS0_17block_load_methodE3ELS4_3ELS4_3ELNS0_20block_scan_algorithmE0ELj4294967295EEENS1_25partition_config_selectorILNS1_17partition_subalgoE4EjNS0_10empty_typeEbEEZZNS1_14partition_implILS8_4ELb0ES6_15HIP_vector_typeIjLj2EENS0_17counting_iteratorIjlEEPS9_SG_NS0_5tupleIJPjSI_NS0_16reverse_iteratorISI_EEEEENSH_IJSG_SG_SG_EEES9_SI_JZNS1_25segmented_radix_sort_implINS0_14default_configELb0EPKhPhPKlPlN2at6native12_GLOBAL__N_18offset_tEEE10hipError_tPvRmT1_PNSt15iterator_traitsIS12_E10value_typeET2_T3_PNS13_IS18_E10value_typeET4_jRbjT5_S1E_jjP12ihipStream_tbEUljE_ZNSN_ISO_Lb0ESQ_SR_ST_SU_SY_EESZ_S10_S11_S12_S16_S17_S18_S1B_S1C_jS1D_jS1E_S1E_jjS1G_bEUljE0_EEESZ_S10_S11_S18_S1C_S1E_T6_T7_T9_mT8_S1G_bDpT10_ENKUlT_T0_E_clISt17integral_constantIbLb0EES1U_EEDaS1P_S1Q_EUlS1P_E_NS1_11comp_targetILNS1_3genE2ELNS1_11target_archE906ELNS1_3gpuE6ELNS1_3repE0EEENS1_30default_config_static_selectorELNS0_4arch9wavefront6targetE1EEEvS12_.num_agpr, 0
	.set _ZN7rocprim17ROCPRIM_400000_NS6detail17trampoline_kernelINS0_13select_configILj256ELj13ELNS0_17block_load_methodE3ELS4_3ELS4_3ELNS0_20block_scan_algorithmE0ELj4294967295EEENS1_25partition_config_selectorILNS1_17partition_subalgoE4EjNS0_10empty_typeEbEEZZNS1_14partition_implILS8_4ELb0ES6_15HIP_vector_typeIjLj2EENS0_17counting_iteratorIjlEEPS9_SG_NS0_5tupleIJPjSI_NS0_16reverse_iteratorISI_EEEEENSH_IJSG_SG_SG_EEES9_SI_JZNS1_25segmented_radix_sort_implINS0_14default_configELb0EPKhPhPKlPlN2at6native12_GLOBAL__N_18offset_tEEE10hipError_tPvRmT1_PNSt15iterator_traitsIS12_E10value_typeET2_T3_PNS13_IS18_E10value_typeET4_jRbjT5_S1E_jjP12ihipStream_tbEUljE_ZNSN_ISO_Lb0ESQ_SR_ST_SU_SY_EESZ_S10_S11_S12_S16_S17_S18_S1B_S1C_jS1D_jS1E_S1E_jjS1G_bEUljE0_EEESZ_S10_S11_S18_S1C_S1E_T6_T7_T9_mT8_S1G_bDpT10_ENKUlT_T0_E_clISt17integral_constantIbLb0EES1U_EEDaS1P_S1Q_EUlS1P_E_NS1_11comp_targetILNS1_3genE2ELNS1_11target_archE906ELNS1_3gpuE6ELNS1_3repE0EEENS1_30default_config_static_selectorELNS0_4arch9wavefront6targetE1EEEvS12_.numbered_sgpr, 90
	.set _ZN7rocprim17ROCPRIM_400000_NS6detail17trampoline_kernelINS0_13select_configILj256ELj13ELNS0_17block_load_methodE3ELS4_3ELS4_3ELNS0_20block_scan_algorithmE0ELj4294967295EEENS1_25partition_config_selectorILNS1_17partition_subalgoE4EjNS0_10empty_typeEbEEZZNS1_14partition_implILS8_4ELb0ES6_15HIP_vector_typeIjLj2EENS0_17counting_iteratorIjlEEPS9_SG_NS0_5tupleIJPjSI_NS0_16reverse_iteratorISI_EEEEENSH_IJSG_SG_SG_EEES9_SI_JZNS1_25segmented_radix_sort_implINS0_14default_configELb0EPKhPhPKlPlN2at6native12_GLOBAL__N_18offset_tEEE10hipError_tPvRmT1_PNSt15iterator_traitsIS12_E10value_typeET2_T3_PNS13_IS18_E10value_typeET4_jRbjT5_S1E_jjP12ihipStream_tbEUljE_ZNSN_ISO_Lb0ESQ_SR_ST_SU_SY_EESZ_S10_S11_S12_S16_S17_S18_S1B_S1C_jS1D_jS1E_S1E_jjS1G_bEUljE0_EEESZ_S10_S11_S18_S1C_S1E_T6_T7_T9_mT8_S1G_bDpT10_ENKUlT_T0_E_clISt17integral_constantIbLb0EES1U_EEDaS1P_S1Q_EUlS1P_E_NS1_11comp_targetILNS1_3genE2ELNS1_11target_archE906ELNS1_3gpuE6ELNS1_3repE0EEENS1_30default_config_static_selectorELNS0_4arch9wavefront6targetE1EEEvS12_.num_named_barrier, 0
	.set _ZN7rocprim17ROCPRIM_400000_NS6detail17trampoline_kernelINS0_13select_configILj256ELj13ELNS0_17block_load_methodE3ELS4_3ELS4_3ELNS0_20block_scan_algorithmE0ELj4294967295EEENS1_25partition_config_selectorILNS1_17partition_subalgoE4EjNS0_10empty_typeEbEEZZNS1_14partition_implILS8_4ELb0ES6_15HIP_vector_typeIjLj2EENS0_17counting_iteratorIjlEEPS9_SG_NS0_5tupleIJPjSI_NS0_16reverse_iteratorISI_EEEEENSH_IJSG_SG_SG_EEES9_SI_JZNS1_25segmented_radix_sort_implINS0_14default_configELb0EPKhPhPKlPlN2at6native12_GLOBAL__N_18offset_tEEE10hipError_tPvRmT1_PNSt15iterator_traitsIS12_E10value_typeET2_T3_PNS13_IS18_E10value_typeET4_jRbjT5_S1E_jjP12ihipStream_tbEUljE_ZNSN_ISO_Lb0ESQ_SR_ST_SU_SY_EESZ_S10_S11_S12_S16_S17_S18_S1B_S1C_jS1D_jS1E_S1E_jjS1G_bEUljE0_EEESZ_S10_S11_S18_S1C_S1E_T6_T7_T9_mT8_S1G_bDpT10_ENKUlT_T0_E_clISt17integral_constantIbLb0EES1U_EEDaS1P_S1Q_EUlS1P_E_NS1_11comp_targetILNS1_3genE2ELNS1_11target_archE906ELNS1_3gpuE6ELNS1_3repE0EEENS1_30default_config_static_selectorELNS0_4arch9wavefront6targetE1EEEvS12_.private_seg_size, 0
	.set _ZN7rocprim17ROCPRIM_400000_NS6detail17trampoline_kernelINS0_13select_configILj256ELj13ELNS0_17block_load_methodE3ELS4_3ELS4_3ELNS0_20block_scan_algorithmE0ELj4294967295EEENS1_25partition_config_selectorILNS1_17partition_subalgoE4EjNS0_10empty_typeEbEEZZNS1_14partition_implILS8_4ELb0ES6_15HIP_vector_typeIjLj2EENS0_17counting_iteratorIjlEEPS9_SG_NS0_5tupleIJPjSI_NS0_16reverse_iteratorISI_EEEEENSH_IJSG_SG_SG_EEES9_SI_JZNS1_25segmented_radix_sort_implINS0_14default_configELb0EPKhPhPKlPlN2at6native12_GLOBAL__N_18offset_tEEE10hipError_tPvRmT1_PNSt15iterator_traitsIS12_E10value_typeET2_T3_PNS13_IS18_E10value_typeET4_jRbjT5_S1E_jjP12ihipStream_tbEUljE_ZNSN_ISO_Lb0ESQ_SR_ST_SU_SY_EESZ_S10_S11_S12_S16_S17_S18_S1B_S1C_jS1D_jS1E_S1E_jjS1G_bEUljE0_EEESZ_S10_S11_S18_S1C_S1E_T6_T7_T9_mT8_S1G_bDpT10_ENKUlT_T0_E_clISt17integral_constantIbLb0EES1U_EEDaS1P_S1Q_EUlS1P_E_NS1_11comp_targetILNS1_3genE2ELNS1_11target_archE906ELNS1_3gpuE6ELNS1_3repE0EEENS1_30default_config_static_selectorELNS0_4arch9wavefront6targetE1EEEvS12_.uses_vcc, 1
	.set _ZN7rocprim17ROCPRIM_400000_NS6detail17trampoline_kernelINS0_13select_configILj256ELj13ELNS0_17block_load_methodE3ELS4_3ELS4_3ELNS0_20block_scan_algorithmE0ELj4294967295EEENS1_25partition_config_selectorILNS1_17partition_subalgoE4EjNS0_10empty_typeEbEEZZNS1_14partition_implILS8_4ELb0ES6_15HIP_vector_typeIjLj2EENS0_17counting_iteratorIjlEEPS9_SG_NS0_5tupleIJPjSI_NS0_16reverse_iteratorISI_EEEEENSH_IJSG_SG_SG_EEES9_SI_JZNS1_25segmented_radix_sort_implINS0_14default_configELb0EPKhPhPKlPlN2at6native12_GLOBAL__N_18offset_tEEE10hipError_tPvRmT1_PNSt15iterator_traitsIS12_E10value_typeET2_T3_PNS13_IS18_E10value_typeET4_jRbjT5_S1E_jjP12ihipStream_tbEUljE_ZNSN_ISO_Lb0ESQ_SR_ST_SU_SY_EESZ_S10_S11_S12_S16_S17_S18_S1B_S1C_jS1D_jS1E_S1E_jjS1G_bEUljE0_EEESZ_S10_S11_S18_S1C_S1E_T6_T7_T9_mT8_S1G_bDpT10_ENKUlT_T0_E_clISt17integral_constantIbLb0EES1U_EEDaS1P_S1Q_EUlS1P_E_NS1_11comp_targetILNS1_3genE2ELNS1_11target_archE906ELNS1_3gpuE6ELNS1_3repE0EEENS1_30default_config_static_selectorELNS0_4arch9wavefront6targetE1EEEvS12_.uses_flat_scratch, 0
	.set _ZN7rocprim17ROCPRIM_400000_NS6detail17trampoline_kernelINS0_13select_configILj256ELj13ELNS0_17block_load_methodE3ELS4_3ELS4_3ELNS0_20block_scan_algorithmE0ELj4294967295EEENS1_25partition_config_selectorILNS1_17partition_subalgoE4EjNS0_10empty_typeEbEEZZNS1_14partition_implILS8_4ELb0ES6_15HIP_vector_typeIjLj2EENS0_17counting_iteratorIjlEEPS9_SG_NS0_5tupleIJPjSI_NS0_16reverse_iteratorISI_EEEEENSH_IJSG_SG_SG_EEES9_SI_JZNS1_25segmented_radix_sort_implINS0_14default_configELb0EPKhPhPKlPlN2at6native12_GLOBAL__N_18offset_tEEE10hipError_tPvRmT1_PNSt15iterator_traitsIS12_E10value_typeET2_T3_PNS13_IS18_E10value_typeET4_jRbjT5_S1E_jjP12ihipStream_tbEUljE_ZNSN_ISO_Lb0ESQ_SR_ST_SU_SY_EESZ_S10_S11_S12_S16_S17_S18_S1B_S1C_jS1D_jS1E_S1E_jjS1G_bEUljE0_EEESZ_S10_S11_S18_S1C_S1E_T6_T7_T9_mT8_S1G_bDpT10_ENKUlT_T0_E_clISt17integral_constantIbLb0EES1U_EEDaS1P_S1Q_EUlS1P_E_NS1_11comp_targetILNS1_3genE2ELNS1_11target_archE906ELNS1_3gpuE6ELNS1_3repE0EEENS1_30default_config_static_selectorELNS0_4arch9wavefront6targetE1EEEvS12_.has_dyn_sized_stack, 0
	.set _ZN7rocprim17ROCPRIM_400000_NS6detail17trampoline_kernelINS0_13select_configILj256ELj13ELNS0_17block_load_methodE3ELS4_3ELS4_3ELNS0_20block_scan_algorithmE0ELj4294967295EEENS1_25partition_config_selectorILNS1_17partition_subalgoE4EjNS0_10empty_typeEbEEZZNS1_14partition_implILS8_4ELb0ES6_15HIP_vector_typeIjLj2EENS0_17counting_iteratorIjlEEPS9_SG_NS0_5tupleIJPjSI_NS0_16reverse_iteratorISI_EEEEENSH_IJSG_SG_SG_EEES9_SI_JZNS1_25segmented_radix_sort_implINS0_14default_configELb0EPKhPhPKlPlN2at6native12_GLOBAL__N_18offset_tEEE10hipError_tPvRmT1_PNSt15iterator_traitsIS12_E10value_typeET2_T3_PNS13_IS18_E10value_typeET4_jRbjT5_S1E_jjP12ihipStream_tbEUljE_ZNSN_ISO_Lb0ESQ_SR_ST_SU_SY_EESZ_S10_S11_S12_S16_S17_S18_S1B_S1C_jS1D_jS1E_S1E_jjS1G_bEUljE0_EEESZ_S10_S11_S18_S1C_S1E_T6_T7_T9_mT8_S1G_bDpT10_ENKUlT_T0_E_clISt17integral_constantIbLb0EES1U_EEDaS1P_S1Q_EUlS1P_E_NS1_11comp_targetILNS1_3genE2ELNS1_11target_archE906ELNS1_3gpuE6ELNS1_3repE0EEENS1_30default_config_static_selectorELNS0_4arch9wavefront6targetE1EEEvS12_.has_recursion, 0
	.set _ZN7rocprim17ROCPRIM_400000_NS6detail17trampoline_kernelINS0_13select_configILj256ELj13ELNS0_17block_load_methodE3ELS4_3ELS4_3ELNS0_20block_scan_algorithmE0ELj4294967295EEENS1_25partition_config_selectorILNS1_17partition_subalgoE4EjNS0_10empty_typeEbEEZZNS1_14partition_implILS8_4ELb0ES6_15HIP_vector_typeIjLj2EENS0_17counting_iteratorIjlEEPS9_SG_NS0_5tupleIJPjSI_NS0_16reverse_iteratorISI_EEEEENSH_IJSG_SG_SG_EEES9_SI_JZNS1_25segmented_radix_sort_implINS0_14default_configELb0EPKhPhPKlPlN2at6native12_GLOBAL__N_18offset_tEEE10hipError_tPvRmT1_PNSt15iterator_traitsIS12_E10value_typeET2_T3_PNS13_IS18_E10value_typeET4_jRbjT5_S1E_jjP12ihipStream_tbEUljE_ZNSN_ISO_Lb0ESQ_SR_ST_SU_SY_EESZ_S10_S11_S12_S16_S17_S18_S1B_S1C_jS1D_jS1E_S1E_jjS1G_bEUljE0_EEESZ_S10_S11_S18_S1C_S1E_T6_T7_T9_mT8_S1G_bDpT10_ENKUlT_T0_E_clISt17integral_constantIbLb0EES1U_EEDaS1P_S1Q_EUlS1P_E_NS1_11comp_targetILNS1_3genE2ELNS1_11target_archE906ELNS1_3gpuE6ELNS1_3repE0EEENS1_30default_config_static_selectorELNS0_4arch9wavefront6targetE1EEEvS12_.has_indirect_call, 0
	.section	.AMDGPU.csdata,"",@progbits
; Kernel info:
; codeLenInByte = 15480
; TotalNumSgprs: 94
; NumVgprs: 86
; ScratchSize: 0
; MemoryBound: 0
; FloatMode: 240
; IeeeMode: 1
; LDSByteSize: 13328 bytes/workgroup (compile time only)
; SGPRBlocks: 12
; VGPRBlocks: 21
; NumSGPRsForWavesPerEU: 102
; NumVGPRsForWavesPerEU: 86
; Occupancy: 2
; WaveLimiterHint : 1
; COMPUTE_PGM_RSRC2:SCRATCH_EN: 0
; COMPUTE_PGM_RSRC2:USER_SGPR: 6
; COMPUTE_PGM_RSRC2:TRAP_HANDLER: 0
; COMPUTE_PGM_RSRC2:TGID_X_EN: 1
; COMPUTE_PGM_RSRC2:TGID_Y_EN: 0
; COMPUTE_PGM_RSRC2:TGID_Z_EN: 0
; COMPUTE_PGM_RSRC2:TIDIG_COMP_CNT: 0
	.section	.text._ZN7rocprim17ROCPRIM_400000_NS6detail17trampoline_kernelINS0_13select_configILj256ELj13ELNS0_17block_load_methodE3ELS4_3ELS4_3ELNS0_20block_scan_algorithmE0ELj4294967295EEENS1_25partition_config_selectorILNS1_17partition_subalgoE4EjNS0_10empty_typeEbEEZZNS1_14partition_implILS8_4ELb0ES6_15HIP_vector_typeIjLj2EENS0_17counting_iteratorIjlEEPS9_SG_NS0_5tupleIJPjSI_NS0_16reverse_iteratorISI_EEEEENSH_IJSG_SG_SG_EEES9_SI_JZNS1_25segmented_radix_sort_implINS0_14default_configELb0EPKhPhPKlPlN2at6native12_GLOBAL__N_18offset_tEEE10hipError_tPvRmT1_PNSt15iterator_traitsIS12_E10value_typeET2_T3_PNS13_IS18_E10value_typeET4_jRbjT5_S1E_jjP12ihipStream_tbEUljE_ZNSN_ISO_Lb0ESQ_SR_ST_SU_SY_EESZ_S10_S11_S12_S16_S17_S18_S1B_S1C_jS1D_jS1E_S1E_jjS1G_bEUljE0_EEESZ_S10_S11_S18_S1C_S1E_T6_T7_T9_mT8_S1G_bDpT10_ENKUlT_T0_E_clISt17integral_constantIbLb0EES1U_EEDaS1P_S1Q_EUlS1P_E_NS1_11comp_targetILNS1_3genE10ELNS1_11target_archE1200ELNS1_3gpuE4ELNS1_3repE0EEENS1_30default_config_static_selectorELNS0_4arch9wavefront6targetE1EEEvS12_,"axG",@progbits,_ZN7rocprim17ROCPRIM_400000_NS6detail17trampoline_kernelINS0_13select_configILj256ELj13ELNS0_17block_load_methodE3ELS4_3ELS4_3ELNS0_20block_scan_algorithmE0ELj4294967295EEENS1_25partition_config_selectorILNS1_17partition_subalgoE4EjNS0_10empty_typeEbEEZZNS1_14partition_implILS8_4ELb0ES6_15HIP_vector_typeIjLj2EENS0_17counting_iteratorIjlEEPS9_SG_NS0_5tupleIJPjSI_NS0_16reverse_iteratorISI_EEEEENSH_IJSG_SG_SG_EEES9_SI_JZNS1_25segmented_radix_sort_implINS0_14default_configELb0EPKhPhPKlPlN2at6native12_GLOBAL__N_18offset_tEEE10hipError_tPvRmT1_PNSt15iterator_traitsIS12_E10value_typeET2_T3_PNS13_IS18_E10value_typeET4_jRbjT5_S1E_jjP12ihipStream_tbEUljE_ZNSN_ISO_Lb0ESQ_SR_ST_SU_SY_EESZ_S10_S11_S12_S16_S17_S18_S1B_S1C_jS1D_jS1E_S1E_jjS1G_bEUljE0_EEESZ_S10_S11_S18_S1C_S1E_T6_T7_T9_mT8_S1G_bDpT10_ENKUlT_T0_E_clISt17integral_constantIbLb0EES1U_EEDaS1P_S1Q_EUlS1P_E_NS1_11comp_targetILNS1_3genE10ELNS1_11target_archE1200ELNS1_3gpuE4ELNS1_3repE0EEENS1_30default_config_static_selectorELNS0_4arch9wavefront6targetE1EEEvS12_,comdat
	.globl	_ZN7rocprim17ROCPRIM_400000_NS6detail17trampoline_kernelINS0_13select_configILj256ELj13ELNS0_17block_load_methodE3ELS4_3ELS4_3ELNS0_20block_scan_algorithmE0ELj4294967295EEENS1_25partition_config_selectorILNS1_17partition_subalgoE4EjNS0_10empty_typeEbEEZZNS1_14partition_implILS8_4ELb0ES6_15HIP_vector_typeIjLj2EENS0_17counting_iteratorIjlEEPS9_SG_NS0_5tupleIJPjSI_NS0_16reverse_iteratorISI_EEEEENSH_IJSG_SG_SG_EEES9_SI_JZNS1_25segmented_radix_sort_implINS0_14default_configELb0EPKhPhPKlPlN2at6native12_GLOBAL__N_18offset_tEEE10hipError_tPvRmT1_PNSt15iterator_traitsIS12_E10value_typeET2_T3_PNS13_IS18_E10value_typeET4_jRbjT5_S1E_jjP12ihipStream_tbEUljE_ZNSN_ISO_Lb0ESQ_SR_ST_SU_SY_EESZ_S10_S11_S12_S16_S17_S18_S1B_S1C_jS1D_jS1E_S1E_jjS1G_bEUljE0_EEESZ_S10_S11_S18_S1C_S1E_T6_T7_T9_mT8_S1G_bDpT10_ENKUlT_T0_E_clISt17integral_constantIbLb0EES1U_EEDaS1P_S1Q_EUlS1P_E_NS1_11comp_targetILNS1_3genE10ELNS1_11target_archE1200ELNS1_3gpuE4ELNS1_3repE0EEENS1_30default_config_static_selectorELNS0_4arch9wavefront6targetE1EEEvS12_ ; -- Begin function _ZN7rocprim17ROCPRIM_400000_NS6detail17trampoline_kernelINS0_13select_configILj256ELj13ELNS0_17block_load_methodE3ELS4_3ELS4_3ELNS0_20block_scan_algorithmE0ELj4294967295EEENS1_25partition_config_selectorILNS1_17partition_subalgoE4EjNS0_10empty_typeEbEEZZNS1_14partition_implILS8_4ELb0ES6_15HIP_vector_typeIjLj2EENS0_17counting_iteratorIjlEEPS9_SG_NS0_5tupleIJPjSI_NS0_16reverse_iteratorISI_EEEEENSH_IJSG_SG_SG_EEES9_SI_JZNS1_25segmented_radix_sort_implINS0_14default_configELb0EPKhPhPKlPlN2at6native12_GLOBAL__N_18offset_tEEE10hipError_tPvRmT1_PNSt15iterator_traitsIS12_E10value_typeET2_T3_PNS13_IS18_E10value_typeET4_jRbjT5_S1E_jjP12ihipStream_tbEUljE_ZNSN_ISO_Lb0ESQ_SR_ST_SU_SY_EESZ_S10_S11_S12_S16_S17_S18_S1B_S1C_jS1D_jS1E_S1E_jjS1G_bEUljE0_EEESZ_S10_S11_S18_S1C_S1E_T6_T7_T9_mT8_S1G_bDpT10_ENKUlT_T0_E_clISt17integral_constantIbLb0EES1U_EEDaS1P_S1Q_EUlS1P_E_NS1_11comp_targetILNS1_3genE10ELNS1_11target_archE1200ELNS1_3gpuE4ELNS1_3repE0EEENS1_30default_config_static_selectorELNS0_4arch9wavefront6targetE1EEEvS12_
	.p2align	8
	.type	_ZN7rocprim17ROCPRIM_400000_NS6detail17trampoline_kernelINS0_13select_configILj256ELj13ELNS0_17block_load_methodE3ELS4_3ELS4_3ELNS0_20block_scan_algorithmE0ELj4294967295EEENS1_25partition_config_selectorILNS1_17partition_subalgoE4EjNS0_10empty_typeEbEEZZNS1_14partition_implILS8_4ELb0ES6_15HIP_vector_typeIjLj2EENS0_17counting_iteratorIjlEEPS9_SG_NS0_5tupleIJPjSI_NS0_16reverse_iteratorISI_EEEEENSH_IJSG_SG_SG_EEES9_SI_JZNS1_25segmented_radix_sort_implINS0_14default_configELb0EPKhPhPKlPlN2at6native12_GLOBAL__N_18offset_tEEE10hipError_tPvRmT1_PNSt15iterator_traitsIS12_E10value_typeET2_T3_PNS13_IS18_E10value_typeET4_jRbjT5_S1E_jjP12ihipStream_tbEUljE_ZNSN_ISO_Lb0ESQ_SR_ST_SU_SY_EESZ_S10_S11_S12_S16_S17_S18_S1B_S1C_jS1D_jS1E_S1E_jjS1G_bEUljE0_EEESZ_S10_S11_S18_S1C_S1E_T6_T7_T9_mT8_S1G_bDpT10_ENKUlT_T0_E_clISt17integral_constantIbLb0EES1U_EEDaS1P_S1Q_EUlS1P_E_NS1_11comp_targetILNS1_3genE10ELNS1_11target_archE1200ELNS1_3gpuE4ELNS1_3repE0EEENS1_30default_config_static_selectorELNS0_4arch9wavefront6targetE1EEEvS12_,@function
_ZN7rocprim17ROCPRIM_400000_NS6detail17trampoline_kernelINS0_13select_configILj256ELj13ELNS0_17block_load_methodE3ELS4_3ELS4_3ELNS0_20block_scan_algorithmE0ELj4294967295EEENS1_25partition_config_selectorILNS1_17partition_subalgoE4EjNS0_10empty_typeEbEEZZNS1_14partition_implILS8_4ELb0ES6_15HIP_vector_typeIjLj2EENS0_17counting_iteratorIjlEEPS9_SG_NS0_5tupleIJPjSI_NS0_16reverse_iteratorISI_EEEEENSH_IJSG_SG_SG_EEES9_SI_JZNS1_25segmented_radix_sort_implINS0_14default_configELb0EPKhPhPKlPlN2at6native12_GLOBAL__N_18offset_tEEE10hipError_tPvRmT1_PNSt15iterator_traitsIS12_E10value_typeET2_T3_PNS13_IS18_E10value_typeET4_jRbjT5_S1E_jjP12ihipStream_tbEUljE_ZNSN_ISO_Lb0ESQ_SR_ST_SU_SY_EESZ_S10_S11_S12_S16_S17_S18_S1B_S1C_jS1D_jS1E_S1E_jjS1G_bEUljE0_EEESZ_S10_S11_S18_S1C_S1E_T6_T7_T9_mT8_S1G_bDpT10_ENKUlT_T0_E_clISt17integral_constantIbLb0EES1U_EEDaS1P_S1Q_EUlS1P_E_NS1_11comp_targetILNS1_3genE10ELNS1_11target_archE1200ELNS1_3gpuE4ELNS1_3repE0EEENS1_30default_config_static_selectorELNS0_4arch9wavefront6targetE1EEEvS12_: ; @_ZN7rocprim17ROCPRIM_400000_NS6detail17trampoline_kernelINS0_13select_configILj256ELj13ELNS0_17block_load_methodE3ELS4_3ELS4_3ELNS0_20block_scan_algorithmE0ELj4294967295EEENS1_25partition_config_selectorILNS1_17partition_subalgoE4EjNS0_10empty_typeEbEEZZNS1_14partition_implILS8_4ELb0ES6_15HIP_vector_typeIjLj2EENS0_17counting_iteratorIjlEEPS9_SG_NS0_5tupleIJPjSI_NS0_16reverse_iteratorISI_EEEEENSH_IJSG_SG_SG_EEES9_SI_JZNS1_25segmented_radix_sort_implINS0_14default_configELb0EPKhPhPKlPlN2at6native12_GLOBAL__N_18offset_tEEE10hipError_tPvRmT1_PNSt15iterator_traitsIS12_E10value_typeET2_T3_PNS13_IS18_E10value_typeET4_jRbjT5_S1E_jjP12ihipStream_tbEUljE_ZNSN_ISO_Lb0ESQ_SR_ST_SU_SY_EESZ_S10_S11_S12_S16_S17_S18_S1B_S1C_jS1D_jS1E_S1E_jjS1G_bEUljE0_EEESZ_S10_S11_S18_S1C_S1E_T6_T7_T9_mT8_S1G_bDpT10_ENKUlT_T0_E_clISt17integral_constantIbLb0EES1U_EEDaS1P_S1Q_EUlS1P_E_NS1_11comp_targetILNS1_3genE10ELNS1_11target_archE1200ELNS1_3gpuE4ELNS1_3repE0EEENS1_30default_config_static_selectorELNS0_4arch9wavefront6targetE1EEEvS12_
; %bb.0:
	.section	.rodata,"a",@progbits
	.p2align	6, 0x0
	.amdhsa_kernel _ZN7rocprim17ROCPRIM_400000_NS6detail17trampoline_kernelINS0_13select_configILj256ELj13ELNS0_17block_load_methodE3ELS4_3ELS4_3ELNS0_20block_scan_algorithmE0ELj4294967295EEENS1_25partition_config_selectorILNS1_17partition_subalgoE4EjNS0_10empty_typeEbEEZZNS1_14partition_implILS8_4ELb0ES6_15HIP_vector_typeIjLj2EENS0_17counting_iteratorIjlEEPS9_SG_NS0_5tupleIJPjSI_NS0_16reverse_iteratorISI_EEEEENSH_IJSG_SG_SG_EEES9_SI_JZNS1_25segmented_radix_sort_implINS0_14default_configELb0EPKhPhPKlPlN2at6native12_GLOBAL__N_18offset_tEEE10hipError_tPvRmT1_PNSt15iterator_traitsIS12_E10value_typeET2_T3_PNS13_IS18_E10value_typeET4_jRbjT5_S1E_jjP12ihipStream_tbEUljE_ZNSN_ISO_Lb0ESQ_SR_ST_SU_SY_EESZ_S10_S11_S12_S16_S17_S18_S1B_S1C_jS1D_jS1E_S1E_jjS1G_bEUljE0_EEESZ_S10_S11_S18_S1C_S1E_T6_T7_T9_mT8_S1G_bDpT10_ENKUlT_T0_E_clISt17integral_constantIbLb0EES1U_EEDaS1P_S1Q_EUlS1P_E_NS1_11comp_targetILNS1_3genE10ELNS1_11target_archE1200ELNS1_3gpuE4ELNS1_3repE0EEENS1_30default_config_static_selectorELNS0_4arch9wavefront6targetE1EEEvS12_
		.amdhsa_group_segment_fixed_size 0
		.amdhsa_private_segment_fixed_size 0
		.amdhsa_kernarg_size 176
		.amdhsa_user_sgpr_count 6
		.amdhsa_user_sgpr_private_segment_buffer 1
		.amdhsa_user_sgpr_dispatch_ptr 0
		.amdhsa_user_sgpr_queue_ptr 0
		.amdhsa_user_sgpr_kernarg_segment_ptr 1
		.amdhsa_user_sgpr_dispatch_id 0
		.amdhsa_user_sgpr_flat_scratch_init 0
		.amdhsa_user_sgpr_private_segment_size 0
		.amdhsa_uses_dynamic_stack 0
		.amdhsa_system_sgpr_private_segment_wavefront_offset 0
		.amdhsa_system_sgpr_workgroup_id_x 1
		.amdhsa_system_sgpr_workgroup_id_y 0
		.amdhsa_system_sgpr_workgroup_id_z 0
		.amdhsa_system_sgpr_workgroup_info 0
		.amdhsa_system_vgpr_workitem_id 0
		.amdhsa_next_free_vgpr 1
		.amdhsa_next_free_sgpr 0
		.amdhsa_reserve_vcc 0
		.amdhsa_reserve_flat_scratch 0
		.amdhsa_float_round_mode_32 0
		.amdhsa_float_round_mode_16_64 0
		.amdhsa_float_denorm_mode_32 3
		.amdhsa_float_denorm_mode_16_64 3
		.amdhsa_dx10_clamp 1
		.amdhsa_ieee_mode 1
		.amdhsa_fp16_overflow 0
		.amdhsa_exception_fp_ieee_invalid_op 0
		.amdhsa_exception_fp_denorm_src 0
		.amdhsa_exception_fp_ieee_div_zero 0
		.amdhsa_exception_fp_ieee_overflow 0
		.amdhsa_exception_fp_ieee_underflow 0
		.amdhsa_exception_fp_ieee_inexact 0
		.amdhsa_exception_int_div_zero 0
	.end_amdhsa_kernel
	.section	.text._ZN7rocprim17ROCPRIM_400000_NS6detail17trampoline_kernelINS0_13select_configILj256ELj13ELNS0_17block_load_methodE3ELS4_3ELS4_3ELNS0_20block_scan_algorithmE0ELj4294967295EEENS1_25partition_config_selectorILNS1_17partition_subalgoE4EjNS0_10empty_typeEbEEZZNS1_14partition_implILS8_4ELb0ES6_15HIP_vector_typeIjLj2EENS0_17counting_iteratorIjlEEPS9_SG_NS0_5tupleIJPjSI_NS0_16reverse_iteratorISI_EEEEENSH_IJSG_SG_SG_EEES9_SI_JZNS1_25segmented_radix_sort_implINS0_14default_configELb0EPKhPhPKlPlN2at6native12_GLOBAL__N_18offset_tEEE10hipError_tPvRmT1_PNSt15iterator_traitsIS12_E10value_typeET2_T3_PNS13_IS18_E10value_typeET4_jRbjT5_S1E_jjP12ihipStream_tbEUljE_ZNSN_ISO_Lb0ESQ_SR_ST_SU_SY_EESZ_S10_S11_S12_S16_S17_S18_S1B_S1C_jS1D_jS1E_S1E_jjS1G_bEUljE0_EEESZ_S10_S11_S18_S1C_S1E_T6_T7_T9_mT8_S1G_bDpT10_ENKUlT_T0_E_clISt17integral_constantIbLb0EES1U_EEDaS1P_S1Q_EUlS1P_E_NS1_11comp_targetILNS1_3genE10ELNS1_11target_archE1200ELNS1_3gpuE4ELNS1_3repE0EEENS1_30default_config_static_selectorELNS0_4arch9wavefront6targetE1EEEvS12_,"axG",@progbits,_ZN7rocprim17ROCPRIM_400000_NS6detail17trampoline_kernelINS0_13select_configILj256ELj13ELNS0_17block_load_methodE3ELS4_3ELS4_3ELNS0_20block_scan_algorithmE0ELj4294967295EEENS1_25partition_config_selectorILNS1_17partition_subalgoE4EjNS0_10empty_typeEbEEZZNS1_14partition_implILS8_4ELb0ES6_15HIP_vector_typeIjLj2EENS0_17counting_iteratorIjlEEPS9_SG_NS0_5tupleIJPjSI_NS0_16reverse_iteratorISI_EEEEENSH_IJSG_SG_SG_EEES9_SI_JZNS1_25segmented_radix_sort_implINS0_14default_configELb0EPKhPhPKlPlN2at6native12_GLOBAL__N_18offset_tEEE10hipError_tPvRmT1_PNSt15iterator_traitsIS12_E10value_typeET2_T3_PNS13_IS18_E10value_typeET4_jRbjT5_S1E_jjP12ihipStream_tbEUljE_ZNSN_ISO_Lb0ESQ_SR_ST_SU_SY_EESZ_S10_S11_S12_S16_S17_S18_S1B_S1C_jS1D_jS1E_S1E_jjS1G_bEUljE0_EEESZ_S10_S11_S18_S1C_S1E_T6_T7_T9_mT8_S1G_bDpT10_ENKUlT_T0_E_clISt17integral_constantIbLb0EES1U_EEDaS1P_S1Q_EUlS1P_E_NS1_11comp_targetILNS1_3genE10ELNS1_11target_archE1200ELNS1_3gpuE4ELNS1_3repE0EEENS1_30default_config_static_selectorELNS0_4arch9wavefront6targetE1EEEvS12_,comdat
.Lfunc_end127:
	.size	_ZN7rocprim17ROCPRIM_400000_NS6detail17trampoline_kernelINS0_13select_configILj256ELj13ELNS0_17block_load_methodE3ELS4_3ELS4_3ELNS0_20block_scan_algorithmE0ELj4294967295EEENS1_25partition_config_selectorILNS1_17partition_subalgoE4EjNS0_10empty_typeEbEEZZNS1_14partition_implILS8_4ELb0ES6_15HIP_vector_typeIjLj2EENS0_17counting_iteratorIjlEEPS9_SG_NS0_5tupleIJPjSI_NS0_16reverse_iteratorISI_EEEEENSH_IJSG_SG_SG_EEES9_SI_JZNS1_25segmented_radix_sort_implINS0_14default_configELb0EPKhPhPKlPlN2at6native12_GLOBAL__N_18offset_tEEE10hipError_tPvRmT1_PNSt15iterator_traitsIS12_E10value_typeET2_T3_PNS13_IS18_E10value_typeET4_jRbjT5_S1E_jjP12ihipStream_tbEUljE_ZNSN_ISO_Lb0ESQ_SR_ST_SU_SY_EESZ_S10_S11_S12_S16_S17_S18_S1B_S1C_jS1D_jS1E_S1E_jjS1G_bEUljE0_EEESZ_S10_S11_S18_S1C_S1E_T6_T7_T9_mT8_S1G_bDpT10_ENKUlT_T0_E_clISt17integral_constantIbLb0EES1U_EEDaS1P_S1Q_EUlS1P_E_NS1_11comp_targetILNS1_3genE10ELNS1_11target_archE1200ELNS1_3gpuE4ELNS1_3repE0EEENS1_30default_config_static_selectorELNS0_4arch9wavefront6targetE1EEEvS12_, .Lfunc_end127-_ZN7rocprim17ROCPRIM_400000_NS6detail17trampoline_kernelINS0_13select_configILj256ELj13ELNS0_17block_load_methodE3ELS4_3ELS4_3ELNS0_20block_scan_algorithmE0ELj4294967295EEENS1_25partition_config_selectorILNS1_17partition_subalgoE4EjNS0_10empty_typeEbEEZZNS1_14partition_implILS8_4ELb0ES6_15HIP_vector_typeIjLj2EENS0_17counting_iteratorIjlEEPS9_SG_NS0_5tupleIJPjSI_NS0_16reverse_iteratorISI_EEEEENSH_IJSG_SG_SG_EEES9_SI_JZNS1_25segmented_radix_sort_implINS0_14default_configELb0EPKhPhPKlPlN2at6native12_GLOBAL__N_18offset_tEEE10hipError_tPvRmT1_PNSt15iterator_traitsIS12_E10value_typeET2_T3_PNS13_IS18_E10value_typeET4_jRbjT5_S1E_jjP12ihipStream_tbEUljE_ZNSN_ISO_Lb0ESQ_SR_ST_SU_SY_EESZ_S10_S11_S12_S16_S17_S18_S1B_S1C_jS1D_jS1E_S1E_jjS1G_bEUljE0_EEESZ_S10_S11_S18_S1C_S1E_T6_T7_T9_mT8_S1G_bDpT10_ENKUlT_T0_E_clISt17integral_constantIbLb0EES1U_EEDaS1P_S1Q_EUlS1P_E_NS1_11comp_targetILNS1_3genE10ELNS1_11target_archE1200ELNS1_3gpuE4ELNS1_3repE0EEENS1_30default_config_static_selectorELNS0_4arch9wavefront6targetE1EEEvS12_
                                        ; -- End function
	.set _ZN7rocprim17ROCPRIM_400000_NS6detail17trampoline_kernelINS0_13select_configILj256ELj13ELNS0_17block_load_methodE3ELS4_3ELS4_3ELNS0_20block_scan_algorithmE0ELj4294967295EEENS1_25partition_config_selectorILNS1_17partition_subalgoE4EjNS0_10empty_typeEbEEZZNS1_14partition_implILS8_4ELb0ES6_15HIP_vector_typeIjLj2EENS0_17counting_iteratorIjlEEPS9_SG_NS0_5tupleIJPjSI_NS0_16reverse_iteratorISI_EEEEENSH_IJSG_SG_SG_EEES9_SI_JZNS1_25segmented_radix_sort_implINS0_14default_configELb0EPKhPhPKlPlN2at6native12_GLOBAL__N_18offset_tEEE10hipError_tPvRmT1_PNSt15iterator_traitsIS12_E10value_typeET2_T3_PNS13_IS18_E10value_typeET4_jRbjT5_S1E_jjP12ihipStream_tbEUljE_ZNSN_ISO_Lb0ESQ_SR_ST_SU_SY_EESZ_S10_S11_S12_S16_S17_S18_S1B_S1C_jS1D_jS1E_S1E_jjS1G_bEUljE0_EEESZ_S10_S11_S18_S1C_S1E_T6_T7_T9_mT8_S1G_bDpT10_ENKUlT_T0_E_clISt17integral_constantIbLb0EES1U_EEDaS1P_S1Q_EUlS1P_E_NS1_11comp_targetILNS1_3genE10ELNS1_11target_archE1200ELNS1_3gpuE4ELNS1_3repE0EEENS1_30default_config_static_selectorELNS0_4arch9wavefront6targetE1EEEvS12_.num_vgpr, 0
	.set _ZN7rocprim17ROCPRIM_400000_NS6detail17trampoline_kernelINS0_13select_configILj256ELj13ELNS0_17block_load_methodE3ELS4_3ELS4_3ELNS0_20block_scan_algorithmE0ELj4294967295EEENS1_25partition_config_selectorILNS1_17partition_subalgoE4EjNS0_10empty_typeEbEEZZNS1_14partition_implILS8_4ELb0ES6_15HIP_vector_typeIjLj2EENS0_17counting_iteratorIjlEEPS9_SG_NS0_5tupleIJPjSI_NS0_16reverse_iteratorISI_EEEEENSH_IJSG_SG_SG_EEES9_SI_JZNS1_25segmented_radix_sort_implINS0_14default_configELb0EPKhPhPKlPlN2at6native12_GLOBAL__N_18offset_tEEE10hipError_tPvRmT1_PNSt15iterator_traitsIS12_E10value_typeET2_T3_PNS13_IS18_E10value_typeET4_jRbjT5_S1E_jjP12ihipStream_tbEUljE_ZNSN_ISO_Lb0ESQ_SR_ST_SU_SY_EESZ_S10_S11_S12_S16_S17_S18_S1B_S1C_jS1D_jS1E_S1E_jjS1G_bEUljE0_EEESZ_S10_S11_S18_S1C_S1E_T6_T7_T9_mT8_S1G_bDpT10_ENKUlT_T0_E_clISt17integral_constantIbLb0EES1U_EEDaS1P_S1Q_EUlS1P_E_NS1_11comp_targetILNS1_3genE10ELNS1_11target_archE1200ELNS1_3gpuE4ELNS1_3repE0EEENS1_30default_config_static_selectorELNS0_4arch9wavefront6targetE1EEEvS12_.num_agpr, 0
	.set _ZN7rocprim17ROCPRIM_400000_NS6detail17trampoline_kernelINS0_13select_configILj256ELj13ELNS0_17block_load_methodE3ELS4_3ELS4_3ELNS0_20block_scan_algorithmE0ELj4294967295EEENS1_25partition_config_selectorILNS1_17partition_subalgoE4EjNS0_10empty_typeEbEEZZNS1_14partition_implILS8_4ELb0ES6_15HIP_vector_typeIjLj2EENS0_17counting_iteratorIjlEEPS9_SG_NS0_5tupleIJPjSI_NS0_16reverse_iteratorISI_EEEEENSH_IJSG_SG_SG_EEES9_SI_JZNS1_25segmented_radix_sort_implINS0_14default_configELb0EPKhPhPKlPlN2at6native12_GLOBAL__N_18offset_tEEE10hipError_tPvRmT1_PNSt15iterator_traitsIS12_E10value_typeET2_T3_PNS13_IS18_E10value_typeET4_jRbjT5_S1E_jjP12ihipStream_tbEUljE_ZNSN_ISO_Lb0ESQ_SR_ST_SU_SY_EESZ_S10_S11_S12_S16_S17_S18_S1B_S1C_jS1D_jS1E_S1E_jjS1G_bEUljE0_EEESZ_S10_S11_S18_S1C_S1E_T6_T7_T9_mT8_S1G_bDpT10_ENKUlT_T0_E_clISt17integral_constantIbLb0EES1U_EEDaS1P_S1Q_EUlS1P_E_NS1_11comp_targetILNS1_3genE10ELNS1_11target_archE1200ELNS1_3gpuE4ELNS1_3repE0EEENS1_30default_config_static_selectorELNS0_4arch9wavefront6targetE1EEEvS12_.numbered_sgpr, 0
	.set _ZN7rocprim17ROCPRIM_400000_NS6detail17trampoline_kernelINS0_13select_configILj256ELj13ELNS0_17block_load_methodE3ELS4_3ELS4_3ELNS0_20block_scan_algorithmE0ELj4294967295EEENS1_25partition_config_selectorILNS1_17partition_subalgoE4EjNS0_10empty_typeEbEEZZNS1_14partition_implILS8_4ELb0ES6_15HIP_vector_typeIjLj2EENS0_17counting_iteratorIjlEEPS9_SG_NS0_5tupleIJPjSI_NS0_16reverse_iteratorISI_EEEEENSH_IJSG_SG_SG_EEES9_SI_JZNS1_25segmented_radix_sort_implINS0_14default_configELb0EPKhPhPKlPlN2at6native12_GLOBAL__N_18offset_tEEE10hipError_tPvRmT1_PNSt15iterator_traitsIS12_E10value_typeET2_T3_PNS13_IS18_E10value_typeET4_jRbjT5_S1E_jjP12ihipStream_tbEUljE_ZNSN_ISO_Lb0ESQ_SR_ST_SU_SY_EESZ_S10_S11_S12_S16_S17_S18_S1B_S1C_jS1D_jS1E_S1E_jjS1G_bEUljE0_EEESZ_S10_S11_S18_S1C_S1E_T6_T7_T9_mT8_S1G_bDpT10_ENKUlT_T0_E_clISt17integral_constantIbLb0EES1U_EEDaS1P_S1Q_EUlS1P_E_NS1_11comp_targetILNS1_3genE10ELNS1_11target_archE1200ELNS1_3gpuE4ELNS1_3repE0EEENS1_30default_config_static_selectorELNS0_4arch9wavefront6targetE1EEEvS12_.num_named_barrier, 0
	.set _ZN7rocprim17ROCPRIM_400000_NS6detail17trampoline_kernelINS0_13select_configILj256ELj13ELNS0_17block_load_methodE3ELS4_3ELS4_3ELNS0_20block_scan_algorithmE0ELj4294967295EEENS1_25partition_config_selectorILNS1_17partition_subalgoE4EjNS0_10empty_typeEbEEZZNS1_14partition_implILS8_4ELb0ES6_15HIP_vector_typeIjLj2EENS0_17counting_iteratorIjlEEPS9_SG_NS0_5tupleIJPjSI_NS0_16reverse_iteratorISI_EEEEENSH_IJSG_SG_SG_EEES9_SI_JZNS1_25segmented_radix_sort_implINS0_14default_configELb0EPKhPhPKlPlN2at6native12_GLOBAL__N_18offset_tEEE10hipError_tPvRmT1_PNSt15iterator_traitsIS12_E10value_typeET2_T3_PNS13_IS18_E10value_typeET4_jRbjT5_S1E_jjP12ihipStream_tbEUljE_ZNSN_ISO_Lb0ESQ_SR_ST_SU_SY_EESZ_S10_S11_S12_S16_S17_S18_S1B_S1C_jS1D_jS1E_S1E_jjS1G_bEUljE0_EEESZ_S10_S11_S18_S1C_S1E_T6_T7_T9_mT8_S1G_bDpT10_ENKUlT_T0_E_clISt17integral_constantIbLb0EES1U_EEDaS1P_S1Q_EUlS1P_E_NS1_11comp_targetILNS1_3genE10ELNS1_11target_archE1200ELNS1_3gpuE4ELNS1_3repE0EEENS1_30default_config_static_selectorELNS0_4arch9wavefront6targetE1EEEvS12_.private_seg_size, 0
	.set _ZN7rocprim17ROCPRIM_400000_NS6detail17trampoline_kernelINS0_13select_configILj256ELj13ELNS0_17block_load_methodE3ELS4_3ELS4_3ELNS0_20block_scan_algorithmE0ELj4294967295EEENS1_25partition_config_selectorILNS1_17partition_subalgoE4EjNS0_10empty_typeEbEEZZNS1_14partition_implILS8_4ELb0ES6_15HIP_vector_typeIjLj2EENS0_17counting_iteratorIjlEEPS9_SG_NS0_5tupleIJPjSI_NS0_16reverse_iteratorISI_EEEEENSH_IJSG_SG_SG_EEES9_SI_JZNS1_25segmented_radix_sort_implINS0_14default_configELb0EPKhPhPKlPlN2at6native12_GLOBAL__N_18offset_tEEE10hipError_tPvRmT1_PNSt15iterator_traitsIS12_E10value_typeET2_T3_PNS13_IS18_E10value_typeET4_jRbjT5_S1E_jjP12ihipStream_tbEUljE_ZNSN_ISO_Lb0ESQ_SR_ST_SU_SY_EESZ_S10_S11_S12_S16_S17_S18_S1B_S1C_jS1D_jS1E_S1E_jjS1G_bEUljE0_EEESZ_S10_S11_S18_S1C_S1E_T6_T7_T9_mT8_S1G_bDpT10_ENKUlT_T0_E_clISt17integral_constantIbLb0EES1U_EEDaS1P_S1Q_EUlS1P_E_NS1_11comp_targetILNS1_3genE10ELNS1_11target_archE1200ELNS1_3gpuE4ELNS1_3repE0EEENS1_30default_config_static_selectorELNS0_4arch9wavefront6targetE1EEEvS12_.uses_vcc, 0
	.set _ZN7rocprim17ROCPRIM_400000_NS6detail17trampoline_kernelINS0_13select_configILj256ELj13ELNS0_17block_load_methodE3ELS4_3ELS4_3ELNS0_20block_scan_algorithmE0ELj4294967295EEENS1_25partition_config_selectorILNS1_17partition_subalgoE4EjNS0_10empty_typeEbEEZZNS1_14partition_implILS8_4ELb0ES6_15HIP_vector_typeIjLj2EENS0_17counting_iteratorIjlEEPS9_SG_NS0_5tupleIJPjSI_NS0_16reverse_iteratorISI_EEEEENSH_IJSG_SG_SG_EEES9_SI_JZNS1_25segmented_radix_sort_implINS0_14default_configELb0EPKhPhPKlPlN2at6native12_GLOBAL__N_18offset_tEEE10hipError_tPvRmT1_PNSt15iterator_traitsIS12_E10value_typeET2_T3_PNS13_IS18_E10value_typeET4_jRbjT5_S1E_jjP12ihipStream_tbEUljE_ZNSN_ISO_Lb0ESQ_SR_ST_SU_SY_EESZ_S10_S11_S12_S16_S17_S18_S1B_S1C_jS1D_jS1E_S1E_jjS1G_bEUljE0_EEESZ_S10_S11_S18_S1C_S1E_T6_T7_T9_mT8_S1G_bDpT10_ENKUlT_T0_E_clISt17integral_constantIbLb0EES1U_EEDaS1P_S1Q_EUlS1P_E_NS1_11comp_targetILNS1_3genE10ELNS1_11target_archE1200ELNS1_3gpuE4ELNS1_3repE0EEENS1_30default_config_static_selectorELNS0_4arch9wavefront6targetE1EEEvS12_.uses_flat_scratch, 0
	.set _ZN7rocprim17ROCPRIM_400000_NS6detail17trampoline_kernelINS0_13select_configILj256ELj13ELNS0_17block_load_methodE3ELS4_3ELS4_3ELNS0_20block_scan_algorithmE0ELj4294967295EEENS1_25partition_config_selectorILNS1_17partition_subalgoE4EjNS0_10empty_typeEbEEZZNS1_14partition_implILS8_4ELb0ES6_15HIP_vector_typeIjLj2EENS0_17counting_iteratorIjlEEPS9_SG_NS0_5tupleIJPjSI_NS0_16reverse_iteratorISI_EEEEENSH_IJSG_SG_SG_EEES9_SI_JZNS1_25segmented_radix_sort_implINS0_14default_configELb0EPKhPhPKlPlN2at6native12_GLOBAL__N_18offset_tEEE10hipError_tPvRmT1_PNSt15iterator_traitsIS12_E10value_typeET2_T3_PNS13_IS18_E10value_typeET4_jRbjT5_S1E_jjP12ihipStream_tbEUljE_ZNSN_ISO_Lb0ESQ_SR_ST_SU_SY_EESZ_S10_S11_S12_S16_S17_S18_S1B_S1C_jS1D_jS1E_S1E_jjS1G_bEUljE0_EEESZ_S10_S11_S18_S1C_S1E_T6_T7_T9_mT8_S1G_bDpT10_ENKUlT_T0_E_clISt17integral_constantIbLb0EES1U_EEDaS1P_S1Q_EUlS1P_E_NS1_11comp_targetILNS1_3genE10ELNS1_11target_archE1200ELNS1_3gpuE4ELNS1_3repE0EEENS1_30default_config_static_selectorELNS0_4arch9wavefront6targetE1EEEvS12_.has_dyn_sized_stack, 0
	.set _ZN7rocprim17ROCPRIM_400000_NS6detail17trampoline_kernelINS0_13select_configILj256ELj13ELNS0_17block_load_methodE3ELS4_3ELS4_3ELNS0_20block_scan_algorithmE0ELj4294967295EEENS1_25partition_config_selectorILNS1_17partition_subalgoE4EjNS0_10empty_typeEbEEZZNS1_14partition_implILS8_4ELb0ES6_15HIP_vector_typeIjLj2EENS0_17counting_iteratorIjlEEPS9_SG_NS0_5tupleIJPjSI_NS0_16reverse_iteratorISI_EEEEENSH_IJSG_SG_SG_EEES9_SI_JZNS1_25segmented_radix_sort_implINS0_14default_configELb0EPKhPhPKlPlN2at6native12_GLOBAL__N_18offset_tEEE10hipError_tPvRmT1_PNSt15iterator_traitsIS12_E10value_typeET2_T3_PNS13_IS18_E10value_typeET4_jRbjT5_S1E_jjP12ihipStream_tbEUljE_ZNSN_ISO_Lb0ESQ_SR_ST_SU_SY_EESZ_S10_S11_S12_S16_S17_S18_S1B_S1C_jS1D_jS1E_S1E_jjS1G_bEUljE0_EEESZ_S10_S11_S18_S1C_S1E_T6_T7_T9_mT8_S1G_bDpT10_ENKUlT_T0_E_clISt17integral_constantIbLb0EES1U_EEDaS1P_S1Q_EUlS1P_E_NS1_11comp_targetILNS1_3genE10ELNS1_11target_archE1200ELNS1_3gpuE4ELNS1_3repE0EEENS1_30default_config_static_selectorELNS0_4arch9wavefront6targetE1EEEvS12_.has_recursion, 0
	.set _ZN7rocprim17ROCPRIM_400000_NS6detail17trampoline_kernelINS0_13select_configILj256ELj13ELNS0_17block_load_methodE3ELS4_3ELS4_3ELNS0_20block_scan_algorithmE0ELj4294967295EEENS1_25partition_config_selectorILNS1_17partition_subalgoE4EjNS0_10empty_typeEbEEZZNS1_14partition_implILS8_4ELb0ES6_15HIP_vector_typeIjLj2EENS0_17counting_iteratorIjlEEPS9_SG_NS0_5tupleIJPjSI_NS0_16reverse_iteratorISI_EEEEENSH_IJSG_SG_SG_EEES9_SI_JZNS1_25segmented_radix_sort_implINS0_14default_configELb0EPKhPhPKlPlN2at6native12_GLOBAL__N_18offset_tEEE10hipError_tPvRmT1_PNSt15iterator_traitsIS12_E10value_typeET2_T3_PNS13_IS18_E10value_typeET4_jRbjT5_S1E_jjP12ihipStream_tbEUljE_ZNSN_ISO_Lb0ESQ_SR_ST_SU_SY_EESZ_S10_S11_S12_S16_S17_S18_S1B_S1C_jS1D_jS1E_S1E_jjS1G_bEUljE0_EEESZ_S10_S11_S18_S1C_S1E_T6_T7_T9_mT8_S1G_bDpT10_ENKUlT_T0_E_clISt17integral_constantIbLb0EES1U_EEDaS1P_S1Q_EUlS1P_E_NS1_11comp_targetILNS1_3genE10ELNS1_11target_archE1200ELNS1_3gpuE4ELNS1_3repE0EEENS1_30default_config_static_selectorELNS0_4arch9wavefront6targetE1EEEvS12_.has_indirect_call, 0
	.section	.AMDGPU.csdata,"",@progbits
; Kernel info:
; codeLenInByte = 0
; TotalNumSgprs: 4
; NumVgprs: 0
; ScratchSize: 0
; MemoryBound: 0
; FloatMode: 240
; IeeeMode: 1
; LDSByteSize: 0 bytes/workgroup (compile time only)
; SGPRBlocks: 0
; VGPRBlocks: 0
; NumSGPRsForWavesPerEU: 4
; NumVGPRsForWavesPerEU: 1
; Occupancy: 10
; WaveLimiterHint : 0
; COMPUTE_PGM_RSRC2:SCRATCH_EN: 0
; COMPUTE_PGM_RSRC2:USER_SGPR: 6
; COMPUTE_PGM_RSRC2:TRAP_HANDLER: 0
; COMPUTE_PGM_RSRC2:TGID_X_EN: 1
; COMPUTE_PGM_RSRC2:TGID_Y_EN: 0
; COMPUTE_PGM_RSRC2:TGID_Z_EN: 0
; COMPUTE_PGM_RSRC2:TIDIG_COMP_CNT: 0
	.section	.text._ZN7rocprim17ROCPRIM_400000_NS6detail17trampoline_kernelINS0_13select_configILj256ELj13ELNS0_17block_load_methodE3ELS4_3ELS4_3ELNS0_20block_scan_algorithmE0ELj4294967295EEENS1_25partition_config_selectorILNS1_17partition_subalgoE4EjNS0_10empty_typeEbEEZZNS1_14partition_implILS8_4ELb0ES6_15HIP_vector_typeIjLj2EENS0_17counting_iteratorIjlEEPS9_SG_NS0_5tupleIJPjSI_NS0_16reverse_iteratorISI_EEEEENSH_IJSG_SG_SG_EEES9_SI_JZNS1_25segmented_radix_sort_implINS0_14default_configELb0EPKhPhPKlPlN2at6native12_GLOBAL__N_18offset_tEEE10hipError_tPvRmT1_PNSt15iterator_traitsIS12_E10value_typeET2_T3_PNS13_IS18_E10value_typeET4_jRbjT5_S1E_jjP12ihipStream_tbEUljE_ZNSN_ISO_Lb0ESQ_SR_ST_SU_SY_EESZ_S10_S11_S12_S16_S17_S18_S1B_S1C_jS1D_jS1E_S1E_jjS1G_bEUljE0_EEESZ_S10_S11_S18_S1C_S1E_T6_T7_T9_mT8_S1G_bDpT10_ENKUlT_T0_E_clISt17integral_constantIbLb0EES1U_EEDaS1P_S1Q_EUlS1P_E_NS1_11comp_targetILNS1_3genE9ELNS1_11target_archE1100ELNS1_3gpuE3ELNS1_3repE0EEENS1_30default_config_static_selectorELNS0_4arch9wavefront6targetE1EEEvS12_,"axG",@progbits,_ZN7rocprim17ROCPRIM_400000_NS6detail17trampoline_kernelINS0_13select_configILj256ELj13ELNS0_17block_load_methodE3ELS4_3ELS4_3ELNS0_20block_scan_algorithmE0ELj4294967295EEENS1_25partition_config_selectorILNS1_17partition_subalgoE4EjNS0_10empty_typeEbEEZZNS1_14partition_implILS8_4ELb0ES6_15HIP_vector_typeIjLj2EENS0_17counting_iteratorIjlEEPS9_SG_NS0_5tupleIJPjSI_NS0_16reverse_iteratorISI_EEEEENSH_IJSG_SG_SG_EEES9_SI_JZNS1_25segmented_radix_sort_implINS0_14default_configELb0EPKhPhPKlPlN2at6native12_GLOBAL__N_18offset_tEEE10hipError_tPvRmT1_PNSt15iterator_traitsIS12_E10value_typeET2_T3_PNS13_IS18_E10value_typeET4_jRbjT5_S1E_jjP12ihipStream_tbEUljE_ZNSN_ISO_Lb0ESQ_SR_ST_SU_SY_EESZ_S10_S11_S12_S16_S17_S18_S1B_S1C_jS1D_jS1E_S1E_jjS1G_bEUljE0_EEESZ_S10_S11_S18_S1C_S1E_T6_T7_T9_mT8_S1G_bDpT10_ENKUlT_T0_E_clISt17integral_constantIbLb0EES1U_EEDaS1P_S1Q_EUlS1P_E_NS1_11comp_targetILNS1_3genE9ELNS1_11target_archE1100ELNS1_3gpuE3ELNS1_3repE0EEENS1_30default_config_static_selectorELNS0_4arch9wavefront6targetE1EEEvS12_,comdat
	.globl	_ZN7rocprim17ROCPRIM_400000_NS6detail17trampoline_kernelINS0_13select_configILj256ELj13ELNS0_17block_load_methodE3ELS4_3ELS4_3ELNS0_20block_scan_algorithmE0ELj4294967295EEENS1_25partition_config_selectorILNS1_17partition_subalgoE4EjNS0_10empty_typeEbEEZZNS1_14partition_implILS8_4ELb0ES6_15HIP_vector_typeIjLj2EENS0_17counting_iteratorIjlEEPS9_SG_NS0_5tupleIJPjSI_NS0_16reverse_iteratorISI_EEEEENSH_IJSG_SG_SG_EEES9_SI_JZNS1_25segmented_radix_sort_implINS0_14default_configELb0EPKhPhPKlPlN2at6native12_GLOBAL__N_18offset_tEEE10hipError_tPvRmT1_PNSt15iterator_traitsIS12_E10value_typeET2_T3_PNS13_IS18_E10value_typeET4_jRbjT5_S1E_jjP12ihipStream_tbEUljE_ZNSN_ISO_Lb0ESQ_SR_ST_SU_SY_EESZ_S10_S11_S12_S16_S17_S18_S1B_S1C_jS1D_jS1E_S1E_jjS1G_bEUljE0_EEESZ_S10_S11_S18_S1C_S1E_T6_T7_T9_mT8_S1G_bDpT10_ENKUlT_T0_E_clISt17integral_constantIbLb0EES1U_EEDaS1P_S1Q_EUlS1P_E_NS1_11comp_targetILNS1_3genE9ELNS1_11target_archE1100ELNS1_3gpuE3ELNS1_3repE0EEENS1_30default_config_static_selectorELNS0_4arch9wavefront6targetE1EEEvS12_ ; -- Begin function _ZN7rocprim17ROCPRIM_400000_NS6detail17trampoline_kernelINS0_13select_configILj256ELj13ELNS0_17block_load_methodE3ELS4_3ELS4_3ELNS0_20block_scan_algorithmE0ELj4294967295EEENS1_25partition_config_selectorILNS1_17partition_subalgoE4EjNS0_10empty_typeEbEEZZNS1_14partition_implILS8_4ELb0ES6_15HIP_vector_typeIjLj2EENS0_17counting_iteratorIjlEEPS9_SG_NS0_5tupleIJPjSI_NS0_16reverse_iteratorISI_EEEEENSH_IJSG_SG_SG_EEES9_SI_JZNS1_25segmented_radix_sort_implINS0_14default_configELb0EPKhPhPKlPlN2at6native12_GLOBAL__N_18offset_tEEE10hipError_tPvRmT1_PNSt15iterator_traitsIS12_E10value_typeET2_T3_PNS13_IS18_E10value_typeET4_jRbjT5_S1E_jjP12ihipStream_tbEUljE_ZNSN_ISO_Lb0ESQ_SR_ST_SU_SY_EESZ_S10_S11_S12_S16_S17_S18_S1B_S1C_jS1D_jS1E_S1E_jjS1G_bEUljE0_EEESZ_S10_S11_S18_S1C_S1E_T6_T7_T9_mT8_S1G_bDpT10_ENKUlT_T0_E_clISt17integral_constantIbLb0EES1U_EEDaS1P_S1Q_EUlS1P_E_NS1_11comp_targetILNS1_3genE9ELNS1_11target_archE1100ELNS1_3gpuE3ELNS1_3repE0EEENS1_30default_config_static_selectorELNS0_4arch9wavefront6targetE1EEEvS12_
	.p2align	8
	.type	_ZN7rocprim17ROCPRIM_400000_NS6detail17trampoline_kernelINS0_13select_configILj256ELj13ELNS0_17block_load_methodE3ELS4_3ELS4_3ELNS0_20block_scan_algorithmE0ELj4294967295EEENS1_25partition_config_selectorILNS1_17partition_subalgoE4EjNS0_10empty_typeEbEEZZNS1_14partition_implILS8_4ELb0ES6_15HIP_vector_typeIjLj2EENS0_17counting_iteratorIjlEEPS9_SG_NS0_5tupleIJPjSI_NS0_16reverse_iteratorISI_EEEEENSH_IJSG_SG_SG_EEES9_SI_JZNS1_25segmented_radix_sort_implINS0_14default_configELb0EPKhPhPKlPlN2at6native12_GLOBAL__N_18offset_tEEE10hipError_tPvRmT1_PNSt15iterator_traitsIS12_E10value_typeET2_T3_PNS13_IS18_E10value_typeET4_jRbjT5_S1E_jjP12ihipStream_tbEUljE_ZNSN_ISO_Lb0ESQ_SR_ST_SU_SY_EESZ_S10_S11_S12_S16_S17_S18_S1B_S1C_jS1D_jS1E_S1E_jjS1G_bEUljE0_EEESZ_S10_S11_S18_S1C_S1E_T6_T7_T9_mT8_S1G_bDpT10_ENKUlT_T0_E_clISt17integral_constantIbLb0EES1U_EEDaS1P_S1Q_EUlS1P_E_NS1_11comp_targetILNS1_3genE9ELNS1_11target_archE1100ELNS1_3gpuE3ELNS1_3repE0EEENS1_30default_config_static_selectorELNS0_4arch9wavefront6targetE1EEEvS12_,@function
_ZN7rocprim17ROCPRIM_400000_NS6detail17trampoline_kernelINS0_13select_configILj256ELj13ELNS0_17block_load_methodE3ELS4_3ELS4_3ELNS0_20block_scan_algorithmE0ELj4294967295EEENS1_25partition_config_selectorILNS1_17partition_subalgoE4EjNS0_10empty_typeEbEEZZNS1_14partition_implILS8_4ELb0ES6_15HIP_vector_typeIjLj2EENS0_17counting_iteratorIjlEEPS9_SG_NS0_5tupleIJPjSI_NS0_16reverse_iteratorISI_EEEEENSH_IJSG_SG_SG_EEES9_SI_JZNS1_25segmented_radix_sort_implINS0_14default_configELb0EPKhPhPKlPlN2at6native12_GLOBAL__N_18offset_tEEE10hipError_tPvRmT1_PNSt15iterator_traitsIS12_E10value_typeET2_T3_PNS13_IS18_E10value_typeET4_jRbjT5_S1E_jjP12ihipStream_tbEUljE_ZNSN_ISO_Lb0ESQ_SR_ST_SU_SY_EESZ_S10_S11_S12_S16_S17_S18_S1B_S1C_jS1D_jS1E_S1E_jjS1G_bEUljE0_EEESZ_S10_S11_S18_S1C_S1E_T6_T7_T9_mT8_S1G_bDpT10_ENKUlT_T0_E_clISt17integral_constantIbLb0EES1U_EEDaS1P_S1Q_EUlS1P_E_NS1_11comp_targetILNS1_3genE9ELNS1_11target_archE1100ELNS1_3gpuE3ELNS1_3repE0EEENS1_30default_config_static_selectorELNS0_4arch9wavefront6targetE1EEEvS12_: ; @_ZN7rocprim17ROCPRIM_400000_NS6detail17trampoline_kernelINS0_13select_configILj256ELj13ELNS0_17block_load_methodE3ELS4_3ELS4_3ELNS0_20block_scan_algorithmE0ELj4294967295EEENS1_25partition_config_selectorILNS1_17partition_subalgoE4EjNS0_10empty_typeEbEEZZNS1_14partition_implILS8_4ELb0ES6_15HIP_vector_typeIjLj2EENS0_17counting_iteratorIjlEEPS9_SG_NS0_5tupleIJPjSI_NS0_16reverse_iteratorISI_EEEEENSH_IJSG_SG_SG_EEES9_SI_JZNS1_25segmented_radix_sort_implINS0_14default_configELb0EPKhPhPKlPlN2at6native12_GLOBAL__N_18offset_tEEE10hipError_tPvRmT1_PNSt15iterator_traitsIS12_E10value_typeET2_T3_PNS13_IS18_E10value_typeET4_jRbjT5_S1E_jjP12ihipStream_tbEUljE_ZNSN_ISO_Lb0ESQ_SR_ST_SU_SY_EESZ_S10_S11_S12_S16_S17_S18_S1B_S1C_jS1D_jS1E_S1E_jjS1G_bEUljE0_EEESZ_S10_S11_S18_S1C_S1E_T6_T7_T9_mT8_S1G_bDpT10_ENKUlT_T0_E_clISt17integral_constantIbLb0EES1U_EEDaS1P_S1Q_EUlS1P_E_NS1_11comp_targetILNS1_3genE9ELNS1_11target_archE1100ELNS1_3gpuE3ELNS1_3repE0EEENS1_30default_config_static_selectorELNS0_4arch9wavefront6targetE1EEEvS12_
; %bb.0:
	.section	.rodata,"a",@progbits
	.p2align	6, 0x0
	.amdhsa_kernel _ZN7rocprim17ROCPRIM_400000_NS6detail17trampoline_kernelINS0_13select_configILj256ELj13ELNS0_17block_load_methodE3ELS4_3ELS4_3ELNS0_20block_scan_algorithmE0ELj4294967295EEENS1_25partition_config_selectorILNS1_17partition_subalgoE4EjNS0_10empty_typeEbEEZZNS1_14partition_implILS8_4ELb0ES6_15HIP_vector_typeIjLj2EENS0_17counting_iteratorIjlEEPS9_SG_NS0_5tupleIJPjSI_NS0_16reverse_iteratorISI_EEEEENSH_IJSG_SG_SG_EEES9_SI_JZNS1_25segmented_radix_sort_implINS0_14default_configELb0EPKhPhPKlPlN2at6native12_GLOBAL__N_18offset_tEEE10hipError_tPvRmT1_PNSt15iterator_traitsIS12_E10value_typeET2_T3_PNS13_IS18_E10value_typeET4_jRbjT5_S1E_jjP12ihipStream_tbEUljE_ZNSN_ISO_Lb0ESQ_SR_ST_SU_SY_EESZ_S10_S11_S12_S16_S17_S18_S1B_S1C_jS1D_jS1E_S1E_jjS1G_bEUljE0_EEESZ_S10_S11_S18_S1C_S1E_T6_T7_T9_mT8_S1G_bDpT10_ENKUlT_T0_E_clISt17integral_constantIbLb0EES1U_EEDaS1P_S1Q_EUlS1P_E_NS1_11comp_targetILNS1_3genE9ELNS1_11target_archE1100ELNS1_3gpuE3ELNS1_3repE0EEENS1_30default_config_static_selectorELNS0_4arch9wavefront6targetE1EEEvS12_
		.amdhsa_group_segment_fixed_size 0
		.amdhsa_private_segment_fixed_size 0
		.amdhsa_kernarg_size 176
		.amdhsa_user_sgpr_count 6
		.amdhsa_user_sgpr_private_segment_buffer 1
		.amdhsa_user_sgpr_dispatch_ptr 0
		.amdhsa_user_sgpr_queue_ptr 0
		.amdhsa_user_sgpr_kernarg_segment_ptr 1
		.amdhsa_user_sgpr_dispatch_id 0
		.amdhsa_user_sgpr_flat_scratch_init 0
		.amdhsa_user_sgpr_private_segment_size 0
		.amdhsa_uses_dynamic_stack 0
		.amdhsa_system_sgpr_private_segment_wavefront_offset 0
		.amdhsa_system_sgpr_workgroup_id_x 1
		.amdhsa_system_sgpr_workgroup_id_y 0
		.amdhsa_system_sgpr_workgroup_id_z 0
		.amdhsa_system_sgpr_workgroup_info 0
		.amdhsa_system_vgpr_workitem_id 0
		.amdhsa_next_free_vgpr 1
		.amdhsa_next_free_sgpr 0
		.amdhsa_reserve_vcc 0
		.amdhsa_reserve_flat_scratch 0
		.amdhsa_float_round_mode_32 0
		.amdhsa_float_round_mode_16_64 0
		.amdhsa_float_denorm_mode_32 3
		.amdhsa_float_denorm_mode_16_64 3
		.amdhsa_dx10_clamp 1
		.amdhsa_ieee_mode 1
		.amdhsa_fp16_overflow 0
		.amdhsa_exception_fp_ieee_invalid_op 0
		.amdhsa_exception_fp_denorm_src 0
		.amdhsa_exception_fp_ieee_div_zero 0
		.amdhsa_exception_fp_ieee_overflow 0
		.amdhsa_exception_fp_ieee_underflow 0
		.amdhsa_exception_fp_ieee_inexact 0
		.amdhsa_exception_int_div_zero 0
	.end_amdhsa_kernel
	.section	.text._ZN7rocprim17ROCPRIM_400000_NS6detail17trampoline_kernelINS0_13select_configILj256ELj13ELNS0_17block_load_methodE3ELS4_3ELS4_3ELNS0_20block_scan_algorithmE0ELj4294967295EEENS1_25partition_config_selectorILNS1_17partition_subalgoE4EjNS0_10empty_typeEbEEZZNS1_14partition_implILS8_4ELb0ES6_15HIP_vector_typeIjLj2EENS0_17counting_iteratorIjlEEPS9_SG_NS0_5tupleIJPjSI_NS0_16reverse_iteratorISI_EEEEENSH_IJSG_SG_SG_EEES9_SI_JZNS1_25segmented_radix_sort_implINS0_14default_configELb0EPKhPhPKlPlN2at6native12_GLOBAL__N_18offset_tEEE10hipError_tPvRmT1_PNSt15iterator_traitsIS12_E10value_typeET2_T3_PNS13_IS18_E10value_typeET4_jRbjT5_S1E_jjP12ihipStream_tbEUljE_ZNSN_ISO_Lb0ESQ_SR_ST_SU_SY_EESZ_S10_S11_S12_S16_S17_S18_S1B_S1C_jS1D_jS1E_S1E_jjS1G_bEUljE0_EEESZ_S10_S11_S18_S1C_S1E_T6_T7_T9_mT8_S1G_bDpT10_ENKUlT_T0_E_clISt17integral_constantIbLb0EES1U_EEDaS1P_S1Q_EUlS1P_E_NS1_11comp_targetILNS1_3genE9ELNS1_11target_archE1100ELNS1_3gpuE3ELNS1_3repE0EEENS1_30default_config_static_selectorELNS0_4arch9wavefront6targetE1EEEvS12_,"axG",@progbits,_ZN7rocprim17ROCPRIM_400000_NS6detail17trampoline_kernelINS0_13select_configILj256ELj13ELNS0_17block_load_methodE3ELS4_3ELS4_3ELNS0_20block_scan_algorithmE0ELj4294967295EEENS1_25partition_config_selectorILNS1_17partition_subalgoE4EjNS0_10empty_typeEbEEZZNS1_14partition_implILS8_4ELb0ES6_15HIP_vector_typeIjLj2EENS0_17counting_iteratorIjlEEPS9_SG_NS0_5tupleIJPjSI_NS0_16reverse_iteratorISI_EEEEENSH_IJSG_SG_SG_EEES9_SI_JZNS1_25segmented_radix_sort_implINS0_14default_configELb0EPKhPhPKlPlN2at6native12_GLOBAL__N_18offset_tEEE10hipError_tPvRmT1_PNSt15iterator_traitsIS12_E10value_typeET2_T3_PNS13_IS18_E10value_typeET4_jRbjT5_S1E_jjP12ihipStream_tbEUljE_ZNSN_ISO_Lb0ESQ_SR_ST_SU_SY_EESZ_S10_S11_S12_S16_S17_S18_S1B_S1C_jS1D_jS1E_S1E_jjS1G_bEUljE0_EEESZ_S10_S11_S18_S1C_S1E_T6_T7_T9_mT8_S1G_bDpT10_ENKUlT_T0_E_clISt17integral_constantIbLb0EES1U_EEDaS1P_S1Q_EUlS1P_E_NS1_11comp_targetILNS1_3genE9ELNS1_11target_archE1100ELNS1_3gpuE3ELNS1_3repE0EEENS1_30default_config_static_selectorELNS0_4arch9wavefront6targetE1EEEvS12_,comdat
.Lfunc_end128:
	.size	_ZN7rocprim17ROCPRIM_400000_NS6detail17trampoline_kernelINS0_13select_configILj256ELj13ELNS0_17block_load_methodE3ELS4_3ELS4_3ELNS0_20block_scan_algorithmE0ELj4294967295EEENS1_25partition_config_selectorILNS1_17partition_subalgoE4EjNS0_10empty_typeEbEEZZNS1_14partition_implILS8_4ELb0ES6_15HIP_vector_typeIjLj2EENS0_17counting_iteratorIjlEEPS9_SG_NS0_5tupleIJPjSI_NS0_16reverse_iteratorISI_EEEEENSH_IJSG_SG_SG_EEES9_SI_JZNS1_25segmented_radix_sort_implINS0_14default_configELb0EPKhPhPKlPlN2at6native12_GLOBAL__N_18offset_tEEE10hipError_tPvRmT1_PNSt15iterator_traitsIS12_E10value_typeET2_T3_PNS13_IS18_E10value_typeET4_jRbjT5_S1E_jjP12ihipStream_tbEUljE_ZNSN_ISO_Lb0ESQ_SR_ST_SU_SY_EESZ_S10_S11_S12_S16_S17_S18_S1B_S1C_jS1D_jS1E_S1E_jjS1G_bEUljE0_EEESZ_S10_S11_S18_S1C_S1E_T6_T7_T9_mT8_S1G_bDpT10_ENKUlT_T0_E_clISt17integral_constantIbLb0EES1U_EEDaS1P_S1Q_EUlS1P_E_NS1_11comp_targetILNS1_3genE9ELNS1_11target_archE1100ELNS1_3gpuE3ELNS1_3repE0EEENS1_30default_config_static_selectorELNS0_4arch9wavefront6targetE1EEEvS12_, .Lfunc_end128-_ZN7rocprim17ROCPRIM_400000_NS6detail17trampoline_kernelINS0_13select_configILj256ELj13ELNS0_17block_load_methodE3ELS4_3ELS4_3ELNS0_20block_scan_algorithmE0ELj4294967295EEENS1_25partition_config_selectorILNS1_17partition_subalgoE4EjNS0_10empty_typeEbEEZZNS1_14partition_implILS8_4ELb0ES6_15HIP_vector_typeIjLj2EENS0_17counting_iteratorIjlEEPS9_SG_NS0_5tupleIJPjSI_NS0_16reverse_iteratorISI_EEEEENSH_IJSG_SG_SG_EEES9_SI_JZNS1_25segmented_radix_sort_implINS0_14default_configELb0EPKhPhPKlPlN2at6native12_GLOBAL__N_18offset_tEEE10hipError_tPvRmT1_PNSt15iterator_traitsIS12_E10value_typeET2_T3_PNS13_IS18_E10value_typeET4_jRbjT5_S1E_jjP12ihipStream_tbEUljE_ZNSN_ISO_Lb0ESQ_SR_ST_SU_SY_EESZ_S10_S11_S12_S16_S17_S18_S1B_S1C_jS1D_jS1E_S1E_jjS1G_bEUljE0_EEESZ_S10_S11_S18_S1C_S1E_T6_T7_T9_mT8_S1G_bDpT10_ENKUlT_T0_E_clISt17integral_constantIbLb0EES1U_EEDaS1P_S1Q_EUlS1P_E_NS1_11comp_targetILNS1_3genE9ELNS1_11target_archE1100ELNS1_3gpuE3ELNS1_3repE0EEENS1_30default_config_static_selectorELNS0_4arch9wavefront6targetE1EEEvS12_
                                        ; -- End function
	.set _ZN7rocprim17ROCPRIM_400000_NS6detail17trampoline_kernelINS0_13select_configILj256ELj13ELNS0_17block_load_methodE3ELS4_3ELS4_3ELNS0_20block_scan_algorithmE0ELj4294967295EEENS1_25partition_config_selectorILNS1_17partition_subalgoE4EjNS0_10empty_typeEbEEZZNS1_14partition_implILS8_4ELb0ES6_15HIP_vector_typeIjLj2EENS0_17counting_iteratorIjlEEPS9_SG_NS0_5tupleIJPjSI_NS0_16reverse_iteratorISI_EEEEENSH_IJSG_SG_SG_EEES9_SI_JZNS1_25segmented_radix_sort_implINS0_14default_configELb0EPKhPhPKlPlN2at6native12_GLOBAL__N_18offset_tEEE10hipError_tPvRmT1_PNSt15iterator_traitsIS12_E10value_typeET2_T3_PNS13_IS18_E10value_typeET4_jRbjT5_S1E_jjP12ihipStream_tbEUljE_ZNSN_ISO_Lb0ESQ_SR_ST_SU_SY_EESZ_S10_S11_S12_S16_S17_S18_S1B_S1C_jS1D_jS1E_S1E_jjS1G_bEUljE0_EEESZ_S10_S11_S18_S1C_S1E_T6_T7_T9_mT8_S1G_bDpT10_ENKUlT_T0_E_clISt17integral_constantIbLb0EES1U_EEDaS1P_S1Q_EUlS1P_E_NS1_11comp_targetILNS1_3genE9ELNS1_11target_archE1100ELNS1_3gpuE3ELNS1_3repE0EEENS1_30default_config_static_selectorELNS0_4arch9wavefront6targetE1EEEvS12_.num_vgpr, 0
	.set _ZN7rocprim17ROCPRIM_400000_NS6detail17trampoline_kernelINS0_13select_configILj256ELj13ELNS0_17block_load_methodE3ELS4_3ELS4_3ELNS0_20block_scan_algorithmE0ELj4294967295EEENS1_25partition_config_selectorILNS1_17partition_subalgoE4EjNS0_10empty_typeEbEEZZNS1_14partition_implILS8_4ELb0ES6_15HIP_vector_typeIjLj2EENS0_17counting_iteratorIjlEEPS9_SG_NS0_5tupleIJPjSI_NS0_16reverse_iteratorISI_EEEEENSH_IJSG_SG_SG_EEES9_SI_JZNS1_25segmented_radix_sort_implINS0_14default_configELb0EPKhPhPKlPlN2at6native12_GLOBAL__N_18offset_tEEE10hipError_tPvRmT1_PNSt15iterator_traitsIS12_E10value_typeET2_T3_PNS13_IS18_E10value_typeET4_jRbjT5_S1E_jjP12ihipStream_tbEUljE_ZNSN_ISO_Lb0ESQ_SR_ST_SU_SY_EESZ_S10_S11_S12_S16_S17_S18_S1B_S1C_jS1D_jS1E_S1E_jjS1G_bEUljE0_EEESZ_S10_S11_S18_S1C_S1E_T6_T7_T9_mT8_S1G_bDpT10_ENKUlT_T0_E_clISt17integral_constantIbLb0EES1U_EEDaS1P_S1Q_EUlS1P_E_NS1_11comp_targetILNS1_3genE9ELNS1_11target_archE1100ELNS1_3gpuE3ELNS1_3repE0EEENS1_30default_config_static_selectorELNS0_4arch9wavefront6targetE1EEEvS12_.num_agpr, 0
	.set _ZN7rocprim17ROCPRIM_400000_NS6detail17trampoline_kernelINS0_13select_configILj256ELj13ELNS0_17block_load_methodE3ELS4_3ELS4_3ELNS0_20block_scan_algorithmE0ELj4294967295EEENS1_25partition_config_selectorILNS1_17partition_subalgoE4EjNS0_10empty_typeEbEEZZNS1_14partition_implILS8_4ELb0ES6_15HIP_vector_typeIjLj2EENS0_17counting_iteratorIjlEEPS9_SG_NS0_5tupleIJPjSI_NS0_16reverse_iteratorISI_EEEEENSH_IJSG_SG_SG_EEES9_SI_JZNS1_25segmented_radix_sort_implINS0_14default_configELb0EPKhPhPKlPlN2at6native12_GLOBAL__N_18offset_tEEE10hipError_tPvRmT1_PNSt15iterator_traitsIS12_E10value_typeET2_T3_PNS13_IS18_E10value_typeET4_jRbjT5_S1E_jjP12ihipStream_tbEUljE_ZNSN_ISO_Lb0ESQ_SR_ST_SU_SY_EESZ_S10_S11_S12_S16_S17_S18_S1B_S1C_jS1D_jS1E_S1E_jjS1G_bEUljE0_EEESZ_S10_S11_S18_S1C_S1E_T6_T7_T9_mT8_S1G_bDpT10_ENKUlT_T0_E_clISt17integral_constantIbLb0EES1U_EEDaS1P_S1Q_EUlS1P_E_NS1_11comp_targetILNS1_3genE9ELNS1_11target_archE1100ELNS1_3gpuE3ELNS1_3repE0EEENS1_30default_config_static_selectorELNS0_4arch9wavefront6targetE1EEEvS12_.numbered_sgpr, 0
	.set _ZN7rocprim17ROCPRIM_400000_NS6detail17trampoline_kernelINS0_13select_configILj256ELj13ELNS0_17block_load_methodE3ELS4_3ELS4_3ELNS0_20block_scan_algorithmE0ELj4294967295EEENS1_25partition_config_selectorILNS1_17partition_subalgoE4EjNS0_10empty_typeEbEEZZNS1_14partition_implILS8_4ELb0ES6_15HIP_vector_typeIjLj2EENS0_17counting_iteratorIjlEEPS9_SG_NS0_5tupleIJPjSI_NS0_16reverse_iteratorISI_EEEEENSH_IJSG_SG_SG_EEES9_SI_JZNS1_25segmented_radix_sort_implINS0_14default_configELb0EPKhPhPKlPlN2at6native12_GLOBAL__N_18offset_tEEE10hipError_tPvRmT1_PNSt15iterator_traitsIS12_E10value_typeET2_T3_PNS13_IS18_E10value_typeET4_jRbjT5_S1E_jjP12ihipStream_tbEUljE_ZNSN_ISO_Lb0ESQ_SR_ST_SU_SY_EESZ_S10_S11_S12_S16_S17_S18_S1B_S1C_jS1D_jS1E_S1E_jjS1G_bEUljE0_EEESZ_S10_S11_S18_S1C_S1E_T6_T7_T9_mT8_S1G_bDpT10_ENKUlT_T0_E_clISt17integral_constantIbLb0EES1U_EEDaS1P_S1Q_EUlS1P_E_NS1_11comp_targetILNS1_3genE9ELNS1_11target_archE1100ELNS1_3gpuE3ELNS1_3repE0EEENS1_30default_config_static_selectorELNS0_4arch9wavefront6targetE1EEEvS12_.num_named_barrier, 0
	.set _ZN7rocprim17ROCPRIM_400000_NS6detail17trampoline_kernelINS0_13select_configILj256ELj13ELNS0_17block_load_methodE3ELS4_3ELS4_3ELNS0_20block_scan_algorithmE0ELj4294967295EEENS1_25partition_config_selectorILNS1_17partition_subalgoE4EjNS0_10empty_typeEbEEZZNS1_14partition_implILS8_4ELb0ES6_15HIP_vector_typeIjLj2EENS0_17counting_iteratorIjlEEPS9_SG_NS0_5tupleIJPjSI_NS0_16reverse_iteratorISI_EEEEENSH_IJSG_SG_SG_EEES9_SI_JZNS1_25segmented_radix_sort_implINS0_14default_configELb0EPKhPhPKlPlN2at6native12_GLOBAL__N_18offset_tEEE10hipError_tPvRmT1_PNSt15iterator_traitsIS12_E10value_typeET2_T3_PNS13_IS18_E10value_typeET4_jRbjT5_S1E_jjP12ihipStream_tbEUljE_ZNSN_ISO_Lb0ESQ_SR_ST_SU_SY_EESZ_S10_S11_S12_S16_S17_S18_S1B_S1C_jS1D_jS1E_S1E_jjS1G_bEUljE0_EEESZ_S10_S11_S18_S1C_S1E_T6_T7_T9_mT8_S1G_bDpT10_ENKUlT_T0_E_clISt17integral_constantIbLb0EES1U_EEDaS1P_S1Q_EUlS1P_E_NS1_11comp_targetILNS1_3genE9ELNS1_11target_archE1100ELNS1_3gpuE3ELNS1_3repE0EEENS1_30default_config_static_selectorELNS0_4arch9wavefront6targetE1EEEvS12_.private_seg_size, 0
	.set _ZN7rocprim17ROCPRIM_400000_NS6detail17trampoline_kernelINS0_13select_configILj256ELj13ELNS0_17block_load_methodE3ELS4_3ELS4_3ELNS0_20block_scan_algorithmE0ELj4294967295EEENS1_25partition_config_selectorILNS1_17partition_subalgoE4EjNS0_10empty_typeEbEEZZNS1_14partition_implILS8_4ELb0ES6_15HIP_vector_typeIjLj2EENS0_17counting_iteratorIjlEEPS9_SG_NS0_5tupleIJPjSI_NS0_16reverse_iteratorISI_EEEEENSH_IJSG_SG_SG_EEES9_SI_JZNS1_25segmented_radix_sort_implINS0_14default_configELb0EPKhPhPKlPlN2at6native12_GLOBAL__N_18offset_tEEE10hipError_tPvRmT1_PNSt15iterator_traitsIS12_E10value_typeET2_T3_PNS13_IS18_E10value_typeET4_jRbjT5_S1E_jjP12ihipStream_tbEUljE_ZNSN_ISO_Lb0ESQ_SR_ST_SU_SY_EESZ_S10_S11_S12_S16_S17_S18_S1B_S1C_jS1D_jS1E_S1E_jjS1G_bEUljE0_EEESZ_S10_S11_S18_S1C_S1E_T6_T7_T9_mT8_S1G_bDpT10_ENKUlT_T0_E_clISt17integral_constantIbLb0EES1U_EEDaS1P_S1Q_EUlS1P_E_NS1_11comp_targetILNS1_3genE9ELNS1_11target_archE1100ELNS1_3gpuE3ELNS1_3repE0EEENS1_30default_config_static_selectorELNS0_4arch9wavefront6targetE1EEEvS12_.uses_vcc, 0
	.set _ZN7rocprim17ROCPRIM_400000_NS6detail17trampoline_kernelINS0_13select_configILj256ELj13ELNS0_17block_load_methodE3ELS4_3ELS4_3ELNS0_20block_scan_algorithmE0ELj4294967295EEENS1_25partition_config_selectorILNS1_17partition_subalgoE4EjNS0_10empty_typeEbEEZZNS1_14partition_implILS8_4ELb0ES6_15HIP_vector_typeIjLj2EENS0_17counting_iteratorIjlEEPS9_SG_NS0_5tupleIJPjSI_NS0_16reverse_iteratorISI_EEEEENSH_IJSG_SG_SG_EEES9_SI_JZNS1_25segmented_radix_sort_implINS0_14default_configELb0EPKhPhPKlPlN2at6native12_GLOBAL__N_18offset_tEEE10hipError_tPvRmT1_PNSt15iterator_traitsIS12_E10value_typeET2_T3_PNS13_IS18_E10value_typeET4_jRbjT5_S1E_jjP12ihipStream_tbEUljE_ZNSN_ISO_Lb0ESQ_SR_ST_SU_SY_EESZ_S10_S11_S12_S16_S17_S18_S1B_S1C_jS1D_jS1E_S1E_jjS1G_bEUljE0_EEESZ_S10_S11_S18_S1C_S1E_T6_T7_T9_mT8_S1G_bDpT10_ENKUlT_T0_E_clISt17integral_constantIbLb0EES1U_EEDaS1P_S1Q_EUlS1P_E_NS1_11comp_targetILNS1_3genE9ELNS1_11target_archE1100ELNS1_3gpuE3ELNS1_3repE0EEENS1_30default_config_static_selectorELNS0_4arch9wavefront6targetE1EEEvS12_.uses_flat_scratch, 0
	.set _ZN7rocprim17ROCPRIM_400000_NS6detail17trampoline_kernelINS0_13select_configILj256ELj13ELNS0_17block_load_methodE3ELS4_3ELS4_3ELNS0_20block_scan_algorithmE0ELj4294967295EEENS1_25partition_config_selectorILNS1_17partition_subalgoE4EjNS0_10empty_typeEbEEZZNS1_14partition_implILS8_4ELb0ES6_15HIP_vector_typeIjLj2EENS0_17counting_iteratorIjlEEPS9_SG_NS0_5tupleIJPjSI_NS0_16reverse_iteratorISI_EEEEENSH_IJSG_SG_SG_EEES9_SI_JZNS1_25segmented_radix_sort_implINS0_14default_configELb0EPKhPhPKlPlN2at6native12_GLOBAL__N_18offset_tEEE10hipError_tPvRmT1_PNSt15iterator_traitsIS12_E10value_typeET2_T3_PNS13_IS18_E10value_typeET4_jRbjT5_S1E_jjP12ihipStream_tbEUljE_ZNSN_ISO_Lb0ESQ_SR_ST_SU_SY_EESZ_S10_S11_S12_S16_S17_S18_S1B_S1C_jS1D_jS1E_S1E_jjS1G_bEUljE0_EEESZ_S10_S11_S18_S1C_S1E_T6_T7_T9_mT8_S1G_bDpT10_ENKUlT_T0_E_clISt17integral_constantIbLb0EES1U_EEDaS1P_S1Q_EUlS1P_E_NS1_11comp_targetILNS1_3genE9ELNS1_11target_archE1100ELNS1_3gpuE3ELNS1_3repE0EEENS1_30default_config_static_selectorELNS0_4arch9wavefront6targetE1EEEvS12_.has_dyn_sized_stack, 0
	.set _ZN7rocprim17ROCPRIM_400000_NS6detail17trampoline_kernelINS0_13select_configILj256ELj13ELNS0_17block_load_methodE3ELS4_3ELS4_3ELNS0_20block_scan_algorithmE0ELj4294967295EEENS1_25partition_config_selectorILNS1_17partition_subalgoE4EjNS0_10empty_typeEbEEZZNS1_14partition_implILS8_4ELb0ES6_15HIP_vector_typeIjLj2EENS0_17counting_iteratorIjlEEPS9_SG_NS0_5tupleIJPjSI_NS0_16reverse_iteratorISI_EEEEENSH_IJSG_SG_SG_EEES9_SI_JZNS1_25segmented_radix_sort_implINS0_14default_configELb0EPKhPhPKlPlN2at6native12_GLOBAL__N_18offset_tEEE10hipError_tPvRmT1_PNSt15iterator_traitsIS12_E10value_typeET2_T3_PNS13_IS18_E10value_typeET4_jRbjT5_S1E_jjP12ihipStream_tbEUljE_ZNSN_ISO_Lb0ESQ_SR_ST_SU_SY_EESZ_S10_S11_S12_S16_S17_S18_S1B_S1C_jS1D_jS1E_S1E_jjS1G_bEUljE0_EEESZ_S10_S11_S18_S1C_S1E_T6_T7_T9_mT8_S1G_bDpT10_ENKUlT_T0_E_clISt17integral_constantIbLb0EES1U_EEDaS1P_S1Q_EUlS1P_E_NS1_11comp_targetILNS1_3genE9ELNS1_11target_archE1100ELNS1_3gpuE3ELNS1_3repE0EEENS1_30default_config_static_selectorELNS0_4arch9wavefront6targetE1EEEvS12_.has_recursion, 0
	.set _ZN7rocprim17ROCPRIM_400000_NS6detail17trampoline_kernelINS0_13select_configILj256ELj13ELNS0_17block_load_methodE3ELS4_3ELS4_3ELNS0_20block_scan_algorithmE0ELj4294967295EEENS1_25partition_config_selectorILNS1_17partition_subalgoE4EjNS0_10empty_typeEbEEZZNS1_14partition_implILS8_4ELb0ES6_15HIP_vector_typeIjLj2EENS0_17counting_iteratorIjlEEPS9_SG_NS0_5tupleIJPjSI_NS0_16reverse_iteratorISI_EEEEENSH_IJSG_SG_SG_EEES9_SI_JZNS1_25segmented_radix_sort_implINS0_14default_configELb0EPKhPhPKlPlN2at6native12_GLOBAL__N_18offset_tEEE10hipError_tPvRmT1_PNSt15iterator_traitsIS12_E10value_typeET2_T3_PNS13_IS18_E10value_typeET4_jRbjT5_S1E_jjP12ihipStream_tbEUljE_ZNSN_ISO_Lb0ESQ_SR_ST_SU_SY_EESZ_S10_S11_S12_S16_S17_S18_S1B_S1C_jS1D_jS1E_S1E_jjS1G_bEUljE0_EEESZ_S10_S11_S18_S1C_S1E_T6_T7_T9_mT8_S1G_bDpT10_ENKUlT_T0_E_clISt17integral_constantIbLb0EES1U_EEDaS1P_S1Q_EUlS1P_E_NS1_11comp_targetILNS1_3genE9ELNS1_11target_archE1100ELNS1_3gpuE3ELNS1_3repE0EEENS1_30default_config_static_selectorELNS0_4arch9wavefront6targetE1EEEvS12_.has_indirect_call, 0
	.section	.AMDGPU.csdata,"",@progbits
; Kernel info:
; codeLenInByte = 0
; TotalNumSgprs: 4
; NumVgprs: 0
; ScratchSize: 0
; MemoryBound: 0
; FloatMode: 240
; IeeeMode: 1
; LDSByteSize: 0 bytes/workgroup (compile time only)
; SGPRBlocks: 0
; VGPRBlocks: 0
; NumSGPRsForWavesPerEU: 4
; NumVGPRsForWavesPerEU: 1
; Occupancy: 10
; WaveLimiterHint : 0
; COMPUTE_PGM_RSRC2:SCRATCH_EN: 0
; COMPUTE_PGM_RSRC2:USER_SGPR: 6
; COMPUTE_PGM_RSRC2:TRAP_HANDLER: 0
; COMPUTE_PGM_RSRC2:TGID_X_EN: 1
; COMPUTE_PGM_RSRC2:TGID_Y_EN: 0
; COMPUTE_PGM_RSRC2:TGID_Z_EN: 0
; COMPUTE_PGM_RSRC2:TIDIG_COMP_CNT: 0
	.section	.text._ZN7rocprim17ROCPRIM_400000_NS6detail17trampoline_kernelINS0_13select_configILj256ELj13ELNS0_17block_load_methodE3ELS4_3ELS4_3ELNS0_20block_scan_algorithmE0ELj4294967295EEENS1_25partition_config_selectorILNS1_17partition_subalgoE4EjNS0_10empty_typeEbEEZZNS1_14partition_implILS8_4ELb0ES6_15HIP_vector_typeIjLj2EENS0_17counting_iteratorIjlEEPS9_SG_NS0_5tupleIJPjSI_NS0_16reverse_iteratorISI_EEEEENSH_IJSG_SG_SG_EEES9_SI_JZNS1_25segmented_radix_sort_implINS0_14default_configELb0EPKhPhPKlPlN2at6native12_GLOBAL__N_18offset_tEEE10hipError_tPvRmT1_PNSt15iterator_traitsIS12_E10value_typeET2_T3_PNS13_IS18_E10value_typeET4_jRbjT5_S1E_jjP12ihipStream_tbEUljE_ZNSN_ISO_Lb0ESQ_SR_ST_SU_SY_EESZ_S10_S11_S12_S16_S17_S18_S1B_S1C_jS1D_jS1E_S1E_jjS1G_bEUljE0_EEESZ_S10_S11_S18_S1C_S1E_T6_T7_T9_mT8_S1G_bDpT10_ENKUlT_T0_E_clISt17integral_constantIbLb0EES1U_EEDaS1P_S1Q_EUlS1P_E_NS1_11comp_targetILNS1_3genE8ELNS1_11target_archE1030ELNS1_3gpuE2ELNS1_3repE0EEENS1_30default_config_static_selectorELNS0_4arch9wavefront6targetE1EEEvS12_,"axG",@progbits,_ZN7rocprim17ROCPRIM_400000_NS6detail17trampoline_kernelINS0_13select_configILj256ELj13ELNS0_17block_load_methodE3ELS4_3ELS4_3ELNS0_20block_scan_algorithmE0ELj4294967295EEENS1_25partition_config_selectorILNS1_17partition_subalgoE4EjNS0_10empty_typeEbEEZZNS1_14partition_implILS8_4ELb0ES6_15HIP_vector_typeIjLj2EENS0_17counting_iteratorIjlEEPS9_SG_NS0_5tupleIJPjSI_NS0_16reverse_iteratorISI_EEEEENSH_IJSG_SG_SG_EEES9_SI_JZNS1_25segmented_radix_sort_implINS0_14default_configELb0EPKhPhPKlPlN2at6native12_GLOBAL__N_18offset_tEEE10hipError_tPvRmT1_PNSt15iterator_traitsIS12_E10value_typeET2_T3_PNS13_IS18_E10value_typeET4_jRbjT5_S1E_jjP12ihipStream_tbEUljE_ZNSN_ISO_Lb0ESQ_SR_ST_SU_SY_EESZ_S10_S11_S12_S16_S17_S18_S1B_S1C_jS1D_jS1E_S1E_jjS1G_bEUljE0_EEESZ_S10_S11_S18_S1C_S1E_T6_T7_T9_mT8_S1G_bDpT10_ENKUlT_T0_E_clISt17integral_constantIbLb0EES1U_EEDaS1P_S1Q_EUlS1P_E_NS1_11comp_targetILNS1_3genE8ELNS1_11target_archE1030ELNS1_3gpuE2ELNS1_3repE0EEENS1_30default_config_static_selectorELNS0_4arch9wavefront6targetE1EEEvS12_,comdat
	.globl	_ZN7rocprim17ROCPRIM_400000_NS6detail17trampoline_kernelINS0_13select_configILj256ELj13ELNS0_17block_load_methodE3ELS4_3ELS4_3ELNS0_20block_scan_algorithmE0ELj4294967295EEENS1_25partition_config_selectorILNS1_17partition_subalgoE4EjNS0_10empty_typeEbEEZZNS1_14partition_implILS8_4ELb0ES6_15HIP_vector_typeIjLj2EENS0_17counting_iteratorIjlEEPS9_SG_NS0_5tupleIJPjSI_NS0_16reverse_iteratorISI_EEEEENSH_IJSG_SG_SG_EEES9_SI_JZNS1_25segmented_radix_sort_implINS0_14default_configELb0EPKhPhPKlPlN2at6native12_GLOBAL__N_18offset_tEEE10hipError_tPvRmT1_PNSt15iterator_traitsIS12_E10value_typeET2_T3_PNS13_IS18_E10value_typeET4_jRbjT5_S1E_jjP12ihipStream_tbEUljE_ZNSN_ISO_Lb0ESQ_SR_ST_SU_SY_EESZ_S10_S11_S12_S16_S17_S18_S1B_S1C_jS1D_jS1E_S1E_jjS1G_bEUljE0_EEESZ_S10_S11_S18_S1C_S1E_T6_T7_T9_mT8_S1G_bDpT10_ENKUlT_T0_E_clISt17integral_constantIbLb0EES1U_EEDaS1P_S1Q_EUlS1P_E_NS1_11comp_targetILNS1_3genE8ELNS1_11target_archE1030ELNS1_3gpuE2ELNS1_3repE0EEENS1_30default_config_static_selectorELNS0_4arch9wavefront6targetE1EEEvS12_ ; -- Begin function _ZN7rocprim17ROCPRIM_400000_NS6detail17trampoline_kernelINS0_13select_configILj256ELj13ELNS0_17block_load_methodE3ELS4_3ELS4_3ELNS0_20block_scan_algorithmE0ELj4294967295EEENS1_25partition_config_selectorILNS1_17partition_subalgoE4EjNS0_10empty_typeEbEEZZNS1_14partition_implILS8_4ELb0ES6_15HIP_vector_typeIjLj2EENS0_17counting_iteratorIjlEEPS9_SG_NS0_5tupleIJPjSI_NS0_16reverse_iteratorISI_EEEEENSH_IJSG_SG_SG_EEES9_SI_JZNS1_25segmented_radix_sort_implINS0_14default_configELb0EPKhPhPKlPlN2at6native12_GLOBAL__N_18offset_tEEE10hipError_tPvRmT1_PNSt15iterator_traitsIS12_E10value_typeET2_T3_PNS13_IS18_E10value_typeET4_jRbjT5_S1E_jjP12ihipStream_tbEUljE_ZNSN_ISO_Lb0ESQ_SR_ST_SU_SY_EESZ_S10_S11_S12_S16_S17_S18_S1B_S1C_jS1D_jS1E_S1E_jjS1G_bEUljE0_EEESZ_S10_S11_S18_S1C_S1E_T6_T7_T9_mT8_S1G_bDpT10_ENKUlT_T0_E_clISt17integral_constantIbLb0EES1U_EEDaS1P_S1Q_EUlS1P_E_NS1_11comp_targetILNS1_3genE8ELNS1_11target_archE1030ELNS1_3gpuE2ELNS1_3repE0EEENS1_30default_config_static_selectorELNS0_4arch9wavefront6targetE1EEEvS12_
	.p2align	8
	.type	_ZN7rocprim17ROCPRIM_400000_NS6detail17trampoline_kernelINS0_13select_configILj256ELj13ELNS0_17block_load_methodE3ELS4_3ELS4_3ELNS0_20block_scan_algorithmE0ELj4294967295EEENS1_25partition_config_selectorILNS1_17partition_subalgoE4EjNS0_10empty_typeEbEEZZNS1_14partition_implILS8_4ELb0ES6_15HIP_vector_typeIjLj2EENS0_17counting_iteratorIjlEEPS9_SG_NS0_5tupleIJPjSI_NS0_16reverse_iteratorISI_EEEEENSH_IJSG_SG_SG_EEES9_SI_JZNS1_25segmented_radix_sort_implINS0_14default_configELb0EPKhPhPKlPlN2at6native12_GLOBAL__N_18offset_tEEE10hipError_tPvRmT1_PNSt15iterator_traitsIS12_E10value_typeET2_T3_PNS13_IS18_E10value_typeET4_jRbjT5_S1E_jjP12ihipStream_tbEUljE_ZNSN_ISO_Lb0ESQ_SR_ST_SU_SY_EESZ_S10_S11_S12_S16_S17_S18_S1B_S1C_jS1D_jS1E_S1E_jjS1G_bEUljE0_EEESZ_S10_S11_S18_S1C_S1E_T6_T7_T9_mT8_S1G_bDpT10_ENKUlT_T0_E_clISt17integral_constantIbLb0EES1U_EEDaS1P_S1Q_EUlS1P_E_NS1_11comp_targetILNS1_3genE8ELNS1_11target_archE1030ELNS1_3gpuE2ELNS1_3repE0EEENS1_30default_config_static_selectorELNS0_4arch9wavefront6targetE1EEEvS12_,@function
_ZN7rocprim17ROCPRIM_400000_NS6detail17trampoline_kernelINS0_13select_configILj256ELj13ELNS0_17block_load_methodE3ELS4_3ELS4_3ELNS0_20block_scan_algorithmE0ELj4294967295EEENS1_25partition_config_selectorILNS1_17partition_subalgoE4EjNS0_10empty_typeEbEEZZNS1_14partition_implILS8_4ELb0ES6_15HIP_vector_typeIjLj2EENS0_17counting_iteratorIjlEEPS9_SG_NS0_5tupleIJPjSI_NS0_16reverse_iteratorISI_EEEEENSH_IJSG_SG_SG_EEES9_SI_JZNS1_25segmented_radix_sort_implINS0_14default_configELb0EPKhPhPKlPlN2at6native12_GLOBAL__N_18offset_tEEE10hipError_tPvRmT1_PNSt15iterator_traitsIS12_E10value_typeET2_T3_PNS13_IS18_E10value_typeET4_jRbjT5_S1E_jjP12ihipStream_tbEUljE_ZNSN_ISO_Lb0ESQ_SR_ST_SU_SY_EESZ_S10_S11_S12_S16_S17_S18_S1B_S1C_jS1D_jS1E_S1E_jjS1G_bEUljE0_EEESZ_S10_S11_S18_S1C_S1E_T6_T7_T9_mT8_S1G_bDpT10_ENKUlT_T0_E_clISt17integral_constantIbLb0EES1U_EEDaS1P_S1Q_EUlS1P_E_NS1_11comp_targetILNS1_3genE8ELNS1_11target_archE1030ELNS1_3gpuE2ELNS1_3repE0EEENS1_30default_config_static_selectorELNS0_4arch9wavefront6targetE1EEEvS12_: ; @_ZN7rocprim17ROCPRIM_400000_NS6detail17trampoline_kernelINS0_13select_configILj256ELj13ELNS0_17block_load_methodE3ELS4_3ELS4_3ELNS0_20block_scan_algorithmE0ELj4294967295EEENS1_25partition_config_selectorILNS1_17partition_subalgoE4EjNS0_10empty_typeEbEEZZNS1_14partition_implILS8_4ELb0ES6_15HIP_vector_typeIjLj2EENS0_17counting_iteratorIjlEEPS9_SG_NS0_5tupleIJPjSI_NS0_16reverse_iteratorISI_EEEEENSH_IJSG_SG_SG_EEES9_SI_JZNS1_25segmented_radix_sort_implINS0_14default_configELb0EPKhPhPKlPlN2at6native12_GLOBAL__N_18offset_tEEE10hipError_tPvRmT1_PNSt15iterator_traitsIS12_E10value_typeET2_T3_PNS13_IS18_E10value_typeET4_jRbjT5_S1E_jjP12ihipStream_tbEUljE_ZNSN_ISO_Lb0ESQ_SR_ST_SU_SY_EESZ_S10_S11_S12_S16_S17_S18_S1B_S1C_jS1D_jS1E_S1E_jjS1G_bEUljE0_EEESZ_S10_S11_S18_S1C_S1E_T6_T7_T9_mT8_S1G_bDpT10_ENKUlT_T0_E_clISt17integral_constantIbLb0EES1U_EEDaS1P_S1Q_EUlS1P_E_NS1_11comp_targetILNS1_3genE8ELNS1_11target_archE1030ELNS1_3gpuE2ELNS1_3repE0EEENS1_30default_config_static_selectorELNS0_4arch9wavefront6targetE1EEEvS12_
; %bb.0:
	.section	.rodata,"a",@progbits
	.p2align	6, 0x0
	.amdhsa_kernel _ZN7rocprim17ROCPRIM_400000_NS6detail17trampoline_kernelINS0_13select_configILj256ELj13ELNS0_17block_load_methodE3ELS4_3ELS4_3ELNS0_20block_scan_algorithmE0ELj4294967295EEENS1_25partition_config_selectorILNS1_17partition_subalgoE4EjNS0_10empty_typeEbEEZZNS1_14partition_implILS8_4ELb0ES6_15HIP_vector_typeIjLj2EENS0_17counting_iteratorIjlEEPS9_SG_NS0_5tupleIJPjSI_NS0_16reverse_iteratorISI_EEEEENSH_IJSG_SG_SG_EEES9_SI_JZNS1_25segmented_radix_sort_implINS0_14default_configELb0EPKhPhPKlPlN2at6native12_GLOBAL__N_18offset_tEEE10hipError_tPvRmT1_PNSt15iterator_traitsIS12_E10value_typeET2_T3_PNS13_IS18_E10value_typeET4_jRbjT5_S1E_jjP12ihipStream_tbEUljE_ZNSN_ISO_Lb0ESQ_SR_ST_SU_SY_EESZ_S10_S11_S12_S16_S17_S18_S1B_S1C_jS1D_jS1E_S1E_jjS1G_bEUljE0_EEESZ_S10_S11_S18_S1C_S1E_T6_T7_T9_mT8_S1G_bDpT10_ENKUlT_T0_E_clISt17integral_constantIbLb0EES1U_EEDaS1P_S1Q_EUlS1P_E_NS1_11comp_targetILNS1_3genE8ELNS1_11target_archE1030ELNS1_3gpuE2ELNS1_3repE0EEENS1_30default_config_static_selectorELNS0_4arch9wavefront6targetE1EEEvS12_
		.amdhsa_group_segment_fixed_size 0
		.amdhsa_private_segment_fixed_size 0
		.amdhsa_kernarg_size 176
		.amdhsa_user_sgpr_count 6
		.amdhsa_user_sgpr_private_segment_buffer 1
		.amdhsa_user_sgpr_dispatch_ptr 0
		.amdhsa_user_sgpr_queue_ptr 0
		.amdhsa_user_sgpr_kernarg_segment_ptr 1
		.amdhsa_user_sgpr_dispatch_id 0
		.amdhsa_user_sgpr_flat_scratch_init 0
		.amdhsa_user_sgpr_private_segment_size 0
		.amdhsa_uses_dynamic_stack 0
		.amdhsa_system_sgpr_private_segment_wavefront_offset 0
		.amdhsa_system_sgpr_workgroup_id_x 1
		.amdhsa_system_sgpr_workgroup_id_y 0
		.amdhsa_system_sgpr_workgroup_id_z 0
		.amdhsa_system_sgpr_workgroup_info 0
		.amdhsa_system_vgpr_workitem_id 0
		.amdhsa_next_free_vgpr 1
		.amdhsa_next_free_sgpr 0
		.amdhsa_reserve_vcc 0
		.amdhsa_reserve_flat_scratch 0
		.amdhsa_float_round_mode_32 0
		.amdhsa_float_round_mode_16_64 0
		.amdhsa_float_denorm_mode_32 3
		.amdhsa_float_denorm_mode_16_64 3
		.amdhsa_dx10_clamp 1
		.amdhsa_ieee_mode 1
		.amdhsa_fp16_overflow 0
		.amdhsa_exception_fp_ieee_invalid_op 0
		.amdhsa_exception_fp_denorm_src 0
		.amdhsa_exception_fp_ieee_div_zero 0
		.amdhsa_exception_fp_ieee_overflow 0
		.amdhsa_exception_fp_ieee_underflow 0
		.amdhsa_exception_fp_ieee_inexact 0
		.amdhsa_exception_int_div_zero 0
	.end_amdhsa_kernel
	.section	.text._ZN7rocprim17ROCPRIM_400000_NS6detail17trampoline_kernelINS0_13select_configILj256ELj13ELNS0_17block_load_methodE3ELS4_3ELS4_3ELNS0_20block_scan_algorithmE0ELj4294967295EEENS1_25partition_config_selectorILNS1_17partition_subalgoE4EjNS0_10empty_typeEbEEZZNS1_14partition_implILS8_4ELb0ES6_15HIP_vector_typeIjLj2EENS0_17counting_iteratorIjlEEPS9_SG_NS0_5tupleIJPjSI_NS0_16reverse_iteratorISI_EEEEENSH_IJSG_SG_SG_EEES9_SI_JZNS1_25segmented_radix_sort_implINS0_14default_configELb0EPKhPhPKlPlN2at6native12_GLOBAL__N_18offset_tEEE10hipError_tPvRmT1_PNSt15iterator_traitsIS12_E10value_typeET2_T3_PNS13_IS18_E10value_typeET4_jRbjT5_S1E_jjP12ihipStream_tbEUljE_ZNSN_ISO_Lb0ESQ_SR_ST_SU_SY_EESZ_S10_S11_S12_S16_S17_S18_S1B_S1C_jS1D_jS1E_S1E_jjS1G_bEUljE0_EEESZ_S10_S11_S18_S1C_S1E_T6_T7_T9_mT8_S1G_bDpT10_ENKUlT_T0_E_clISt17integral_constantIbLb0EES1U_EEDaS1P_S1Q_EUlS1P_E_NS1_11comp_targetILNS1_3genE8ELNS1_11target_archE1030ELNS1_3gpuE2ELNS1_3repE0EEENS1_30default_config_static_selectorELNS0_4arch9wavefront6targetE1EEEvS12_,"axG",@progbits,_ZN7rocprim17ROCPRIM_400000_NS6detail17trampoline_kernelINS0_13select_configILj256ELj13ELNS0_17block_load_methodE3ELS4_3ELS4_3ELNS0_20block_scan_algorithmE0ELj4294967295EEENS1_25partition_config_selectorILNS1_17partition_subalgoE4EjNS0_10empty_typeEbEEZZNS1_14partition_implILS8_4ELb0ES6_15HIP_vector_typeIjLj2EENS0_17counting_iteratorIjlEEPS9_SG_NS0_5tupleIJPjSI_NS0_16reverse_iteratorISI_EEEEENSH_IJSG_SG_SG_EEES9_SI_JZNS1_25segmented_radix_sort_implINS0_14default_configELb0EPKhPhPKlPlN2at6native12_GLOBAL__N_18offset_tEEE10hipError_tPvRmT1_PNSt15iterator_traitsIS12_E10value_typeET2_T3_PNS13_IS18_E10value_typeET4_jRbjT5_S1E_jjP12ihipStream_tbEUljE_ZNSN_ISO_Lb0ESQ_SR_ST_SU_SY_EESZ_S10_S11_S12_S16_S17_S18_S1B_S1C_jS1D_jS1E_S1E_jjS1G_bEUljE0_EEESZ_S10_S11_S18_S1C_S1E_T6_T7_T9_mT8_S1G_bDpT10_ENKUlT_T0_E_clISt17integral_constantIbLb0EES1U_EEDaS1P_S1Q_EUlS1P_E_NS1_11comp_targetILNS1_3genE8ELNS1_11target_archE1030ELNS1_3gpuE2ELNS1_3repE0EEENS1_30default_config_static_selectorELNS0_4arch9wavefront6targetE1EEEvS12_,comdat
.Lfunc_end129:
	.size	_ZN7rocprim17ROCPRIM_400000_NS6detail17trampoline_kernelINS0_13select_configILj256ELj13ELNS0_17block_load_methodE3ELS4_3ELS4_3ELNS0_20block_scan_algorithmE0ELj4294967295EEENS1_25partition_config_selectorILNS1_17partition_subalgoE4EjNS0_10empty_typeEbEEZZNS1_14partition_implILS8_4ELb0ES6_15HIP_vector_typeIjLj2EENS0_17counting_iteratorIjlEEPS9_SG_NS0_5tupleIJPjSI_NS0_16reverse_iteratorISI_EEEEENSH_IJSG_SG_SG_EEES9_SI_JZNS1_25segmented_radix_sort_implINS0_14default_configELb0EPKhPhPKlPlN2at6native12_GLOBAL__N_18offset_tEEE10hipError_tPvRmT1_PNSt15iterator_traitsIS12_E10value_typeET2_T3_PNS13_IS18_E10value_typeET4_jRbjT5_S1E_jjP12ihipStream_tbEUljE_ZNSN_ISO_Lb0ESQ_SR_ST_SU_SY_EESZ_S10_S11_S12_S16_S17_S18_S1B_S1C_jS1D_jS1E_S1E_jjS1G_bEUljE0_EEESZ_S10_S11_S18_S1C_S1E_T6_T7_T9_mT8_S1G_bDpT10_ENKUlT_T0_E_clISt17integral_constantIbLb0EES1U_EEDaS1P_S1Q_EUlS1P_E_NS1_11comp_targetILNS1_3genE8ELNS1_11target_archE1030ELNS1_3gpuE2ELNS1_3repE0EEENS1_30default_config_static_selectorELNS0_4arch9wavefront6targetE1EEEvS12_, .Lfunc_end129-_ZN7rocprim17ROCPRIM_400000_NS6detail17trampoline_kernelINS0_13select_configILj256ELj13ELNS0_17block_load_methodE3ELS4_3ELS4_3ELNS0_20block_scan_algorithmE0ELj4294967295EEENS1_25partition_config_selectorILNS1_17partition_subalgoE4EjNS0_10empty_typeEbEEZZNS1_14partition_implILS8_4ELb0ES6_15HIP_vector_typeIjLj2EENS0_17counting_iteratorIjlEEPS9_SG_NS0_5tupleIJPjSI_NS0_16reverse_iteratorISI_EEEEENSH_IJSG_SG_SG_EEES9_SI_JZNS1_25segmented_radix_sort_implINS0_14default_configELb0EPKhPhPKlPlN2at6native12_GLOBAL__N_18offset_tEEE10hipError_tPvRmT1_PNSt15iterator_traitsIS12_E10value_typeET2_T3_PNS13_IS18_E10value_typeET4_jRbjT5_S1E_jjP12ihipStream_tbEUljE_ZNSN_ISO_Lb0ESQ_SR_ST_SU_SY_EESZ_S10_S11_S12_S16_S17_S18_S1B_S1C_jS1D_jS1E_S1E_jjS1G_bEUljE0_EEESZ_S10_S11_S18_S1C_S1E_T6_T7_T9_mT8_S1G_bDpT10_ENKUlT_T0_E_clISt17integral_constantIbLb0EES1U_EEDaS1P_S1Q_EUlS1P_E_NS1_11comp_targetILNS1_3genE8ELNS1_11target_archE1030ELNS1_3gpuE2ELNS1_3repE0EEENS1_30default_config_static_selectorELNS0_4arch9wavefront6targetE1EEEvS12_
                                        ; -- End function
	.set _ZN7rocprim17ROCPRIM_400000_NS6detail17trampoline_kernelINS0_13select_configILj256ELj13ELNS0_17block_load_methodE3ELS4_3ELS4_3ELNS0_20block_scan_algorithmE0ELj4294967295EEENS1_25partition_config_selectorILNS1_17partition_subalgoE4EjNS0_10empty_typeEbEEZZNS1_14partition_implILS8_4ELb0ES6_15HIP_vector_typeIjLj2EENS0_17counting_iteratorIjlEEPS9_SG_NS0_5tupleIJPjSI_NS0_16reverse_iteratorISI_EEEEENSH_IJSG_SG_SG_EEES9_SI_JZNS1_25segmented_radix_sort_implINS0_14default_configELb0EPKhPhPKlPlN2at6native12_GLOBAL__N_18offset_tEEE10hipError_tPvRmT1_PNSt15iterator_traitsIS12_E10value_typeET2_T3_PNS13_IS18_E10value_typeET4_jRbjT5_S1E_jjP12ihipStream_tbEUljE_ZNSN_ISO_Lb0ESQ_SR_ST_SU_SY_EESZ_S10_S11_S12_S16_S17_S18_S1B_S1C_jS1D_jS1E_S1E_jjS1G_bEUljE0_EEESZ_S10_S11_S18_S1C_S1E_T6_T7_T9_mT8_S1G_bDpT10_ENKUlT_T0_E_clISt17integral_constantIbLb0EES1U_EEDaS1P_S1Q_EUlS1P_E_NS1_11comp_targetILNS1_3genE8ELNS1_11target_archE1030ELNS1_3gpuE2ELNS1_3repE0EEENS1_30default_config_static_selectorELNS0_4arch9wavefront6targetE1EEEvS12_.num_vgpr, 0
	.set _ZN7rocprim17ROCPRIM_400000_NS6detail17trampoline_kernelINS0_13select_configILj256ELj13ELNS0_17block_load_methodE3ELS4_3ELS4_3ELNS0_20block_scan_algorithmE0ELj4294967295EEENS1_25partition_config_selectorILNS1_17partition_subalgoE4EjNS0_10empty_typeEbEEZZNS1_14partition_implILS8_4ELb0ES6_15HIP_vector_typeIjLj2EENS0_17counting_iteratorIjlEEPS9_SG_NS0_5tupleIJPjSI_NS0_16reverse_iteratorISI_EEEEENSH_IJSG_SG_SG_EEES9_SI_JZNS1_25segmented_radix_sort_implINS0_14default_configELb0EPKhPhPKlPlN2at6native12_GLOBAL__N_18offset_tEEE10hipError_tPvRmT1_PNSt15iterator_traitsIS12_E10value_typeET2_T3_PNS13_IS18_E10value_typeET4_jRbjT5_S1E_jjP12ihipStream_tbEUljE_ZNSN_ISO_Lb0ESQ_SR_ST_SU_SY_EESZ_S10_S11_S12_S16_S17_S18_S1B_S1C_jS1D_jS1E_S1E_jjS1G_bEUljE0_EEESZ_S10_S11_S18_S1C_S1E_T6_T7_T9_mT8_S1G_bDpT10_ENKUlT_T0_E_clISt17integral_constantIbLb0EES1U_EEDaS1P_S1Q_EUlS1P_E_NS1_11comp_targetILNS1_3genE8ELNS1_11target_archE1030ELNS1_3gpuE2ELNS1_3repE0EEENS1_30default_config_static_selectorELNS0_4arch9wavefront6targetE1EEEvS12_.num_agpr, 0
	.set _ZN7rocprim17ROCPRIM_400000_NS6detail17trampoline_kernelINS0_13select_configILj256ELj13ELNS0_17block_load_methodE3ELS4_3ELS4_3ELNS0_20block_scan_algorithmE0ELj4294967295EEENS1_25partition_config_selectorILNS1_17partition_subalgoE4EjNS0_10empty_typeEbEEZZNS1_14partition_implILS8_4ELb0ES6_15HIP_vector_typeIjLj2EENS0_17counting_iteratorIjlEEPS9_SG_NS0_5tupleIJPjSI_NS0_16reverse_iteratorISI_EEEEENSH_IJSG_SG_SG_EEES9_SI_JZNS1_25segmented_radix_sort_implINS0_14default_configELb0EPKhPhPKlPlN2at6native12_GLOBAL__N_18offset_tEEE10hipError_tPvRmT1_PNSt15iterator_traitsIS12_E10value_typeET2_T3_PNS13_IS18_E10value_typeET4_jRbjT5_S1E_jjP12ihipStream_tbEUljE_ZNSN_ISO_Lb0ESQ_SR_ST_SU_SY_EESZ_S10_S11_S12_S16_S17_S18_S1B_S1C_jS1D_jS1E_S1E_jjS1G_bEUljE0_EEESZ_S10_S11_S18_S1C_S1E_T6_T7_T9_mT8_S1G_bDpT10_ENKUlT_T0_E_clISt17integral_constantIbLb0EES1U_EEDaS1P_S1Q_EUlS1P_E_NS1_11comp_targetILNS1_3genE8ELNS1_11target_archE1030ELNS1_3gpuE2ELNS1_3repE0EEENS1_30default_config_static_selectorELNS0_4arch9wavefront6targetE1EEEvS12_.numbered_sgpr, 0
	.set _ZN7rocprim17ROCPRIM_400000_NS6detail17trampoline_kernelINS0_13select_configILj256ELj13ELNS0_17block_load_methodE3ELS4_3ELS4_3ELNS0_20block_scan_algorithmE0ELj4294967295EEENS1_25partition_config_selectorILNS1_17partition_subalgoE4EjNS0_10empty_typeEbEEZZNS1_14partition_implILS8_4ELb0ES6_15HIP_vector_typeIjLj2EENS0_17counting_iteratorIjlEEPS9_SG_NS0_5tupleIJPjSI_NS0_16reverse_iteratorISI_EEEEENSH_IJSG_SG_SG_EEES9_SI_JZNS1_25segmented_radix_sort_implINS0_14default_configELb0EPKhPhPKlPlN2at6native12_GLOBAL__N_18offset_tEEE10hipError_tPvRmT1_PNSt15iterator_traitsIS12_E10value_typeET2_T3_PNS13_IS18_E10value_typeET4_jRbjT5_S1E_jjP12ihipStream_tbEUljE_ZNSN_ISO_Lb0ESQ_SR_ST_SU_SY_EESZ_S10_S11_S12_S16_S17_S18_S1B_S1C_jS1D_jS1E_S1E_jjS1G_bEUljE0_EEESZ_S10_S11_S18_S1C_S1E_T6_T7_T9_mT8_S1G_bDpT10_ENKUlT_T0_E_clISt17integral_constantIbLb0EES1U_EEDaS1P_S1Q_EUlS1P_E_NS1_11comp_targetILNS1_3genE8ELNS1_11target_archE1030ELNS1_3gpuE2ELNS1_3repE0EEENS1_30default_config_static_selectorELNS0_4arch9wavefront6targetE1EEEvS12_.num_named_barrier, 0
	.set _ZN7rocprim17ROCPRIM_400000_NS6detail17trampoline_kernelINS0_13select_configILj256ELj13ELNS0_17block_load_methodE3ELS4_3ELS4_3ELNS0_20block_scan_algorithmE0ELj4294967295EEENS1_25partition_config_selectorILNS1_17partition_subalgoE4EjNS0_10empty_typeEbEEZZNS1_14partition_implILS8_4ELb0ES6_15HIP_vector_typeIjLj2EENS0_17counting_iteratorIjlEEPS9_SG_NS0_5tupleIJPjSI_NS0_16reverse_iteratorISI_EEEEENSH_IJSG_SG_SG_EEES9_SI_JZNS1_25segmented_radix_sort_implINS0_14default_configELb0EPKhPhPKlPlN2at6native12_GLOBAL__N_18offset_tEEE10hipError_tPvRmT1_PNSt15iterator_traitsIS12_E10value_typeET2_T3_PNS13_IS18_E10value_typeET4_jRbjT5_S1E_jjP12ihipStream_tbEUljE_ZNSN_ISO_Lb0ESQ_SR_ST_SU_SY_EESZ_S10_S11_S12_S16_S17_S18_S1B_S1C_jS1D_jS1E_S1E_jjS1G_bEUljE0_EEESZ_S10_S11_S18_S1C_S1E_T6_T7_T9_mT8_S1G_bDpT10_ENKUlT_T0_E_clISt17integral_constantIbLb0EES1U_EEDaS1P_S1Q_EUlS1P_E_NS1_11comp_targetILNS1_3genE8ELNS1_11target_archE1030ELNS1_3gpuE2ELNS1_3repE0EEENS1_30default_config_static_selectorELNS0_4arch9wavefront6targetE1EEEvS12_.private_seg_size, 0
	.set _ZN7rocprim17ROCPRIM_400000_NS6detail17trampoline_kernelINS0_13select_configILj256ELj13ELNS0_17block_load_methodE3ELS4_3ELS4_3ELNS0_20block_scan_algorithmE0ELj4294967295EEENS1_25partition_config_selectorILNS1_17partition_subalgoE4EjNS0_10empty_typeEbEEZZNS1_14partition_implILS8_4ELb0ES6_15HIP_vector_typeIjLj2EENS0_17counting_iteratorIjlEEPS9_SG_NS0_5tupleIJPjSI_NS0_16reverse_iteratorISI_EEEEENSH_IJSG_SG_SG_EEES9_SI_JZNS1_25segmented_radix_sort_implINS0_14default_configELb0EPKhPhPKlPlN2at6native12_GLOBAL__N_18offset_tEEE10hipError_tPvRmT1_PNSt15iterator_traitsIS12_E10value_typeET2_T3_PNS13_IS18_E10value_typeET4_jRbjT5_S1E_jjP12ihipStream_tbEUljE_ZNSN_ISO_Lb0ESQ_SR_ST_SU_SY_EESZ_S10_S11_S12_S16_S17_S18_S1B_S1C_jS1D_jS1E_S1E_jjS1G_bEUljE0_EEESZ_S10_S11_S18_S1C_S1E_T6_T7_T9_mT8_S1G_bDpT10_ENKUlT_T0_E_clISt17integral_constantIbLb0EES1U_EEDaS1P_S1Q_EUlS1P_E_NS1_11comp_targetILNS1_3genE8ELNS1_11target_archE1030ELNS1_3gpuE2ELNS1_3repE0EEENS1_30default_config_static_selectorELNS0_4arch9wavefront6targetE1EEEvS12_.uses_vcc, 0
	.set _ZN7rocprim17ROCPRIM_400000_NS6detail17trampoline_kernelINS0_13select_configILj256ELj13ELNS0_17block_load_methodE3ELS4_3ELS4_3ELNS0_20block_scan_algorithmE0ELj4294967295EEENS1_25partition_config_selectorILNS1_17partition_subalgoE4EjNS0_10empty_typeEbEEZZNS1_14partition_implILS8_4ELb0ES6_15HIP_vector_typeIjLj2EENS0_17counting_iteratorIjlEEPS9_SG_NS0_5tupleIJPjSI_NS0_16reverse_iteratorISI_EEEEENSH_IJSG_SG_SG_EEES9_SI_JZNS1_25segmented_radix_sort_implINS0_14default_configELb0EPKhPhPKlPlN2at6native12_GLOBAL__N_18offset_tEEE10hipError_tPvRmT1_PNSt15iterator_traitsIS12_E10value_typeET2_T3_PNS13_IS18_E10value_typeET4_jRbjT5_S1E_jjP12ihipStream_tbEUljE_ZNSN_ISO_Lb0ESQ_SR_ST_SU_SY_EESZ_S10_S11_S12_S16_S17_S18_S1B_S1C_jS1D_jS1E_S1E_jjS1G_bEUljE0_EEESZ_S10_S11_S18_S1C_S1E_T6_T7_T9_mT8_S1G_bDpT10_ENKUlT_T0_E_clISt17integral_constantIbLb0EES1U_EEDaS1P_S1Q_EUlS1P_E_NS1_11comp_targetILNS1_3genE8ELNS1_11target_archE1030ELNS1_3gpuE2ELNS1_3repE0EEENS1_30default_config_static_selectorELNS0_4arch9wavefront6targetE1EEEvS12_.uses_flat_scratch, 0
	.set _ZN7rocprim17ROCPRIM_400000_NS6detail17trampoline_kernelINS0_13select_configILj256ELj13ELNS0_17block_load_methodE3ELS4_3ELS4_3ELNS0_20block_scan_algorithmE0ELj4294967295EEENS1_25partition_config_selectorILNS1_17partition_subalgoE4EjNS0_10empty_typeEbEEZZNS1_14partition_implILS8_4ELb0ES6_15HIP_vector_typeIjLj2EENS0_17counting_iteratorIjlEEPS9_SG_NS0_5tupleIJPjSI_NS0_16reverse_iteratorISI_EEEEENSH_IJSG_SG_SG_EEES9_SI_JZNS1_25segmented_radix_sort_implINS0_14default_configELb0EPKhPhPKlPlN2at6native12_GLOBAL__N_18offset_tEEE10hipError_tPvRmT1_PNSt15iterator_traitsIS12_E10value_typeET2_T3_PNS13_IS18_E10value_typeET4_jRbjT5_S1E_jjP12ihipStream_tbEUljE_ZNSN_ISO_Lb0ESQ_SR_ST_SU_SY_EESZ_S10_S11_S12_S16_S17_S18_S1B_S1C_jS1D_jS1E_S1E_jjS1G_bEUljE0_EEESZ_S10_S11_S18_S1C_S1E_T6_T7_T9_mT8_S1G_bDpT10_ENKUlT_T0_E_clISt17integral_constantIbLb0EES1U_EEDaS1P_S1Q_EUlS1P_E_NS1_11comp_targetILNS1_3genE8ELNS1_11target_archE1030ELNS1_3gpuE2ELNS1_3repE0EEENS1_30default_config_static_selectorELNS0_4arch9wavefront6targetE1EEEvS12_.has_dyn_sized_stack, 0
	.set _ZN7rocprim17ROCPRIM_400000_NS6detail17trampoline_kernelINS0_13select_configILj256ELj13ELNS0_17block_load_methodE3ELS4_3ELS4_3ELNS0_20block_scan_algorithmE0ELj4294967295EEENS1_25partition_config_selectorILNS1_17partition_subalgoE4EjNS0_10empty_typeEbEEZZNS1_14partition_implILS8_4ELb0ES6_15HIP_vector_typeIjLj2EENS0_17counting_iteratorIjlEEPS9_SG_NS0_5tupleIJPjSI_NS0_16reverse_iteratorISI_EEEEENSH_IJSG_SG_SG_EEES9_SI_JZNS1_25segmented_radix_sort_implINS0_14default_configELb0EPKhPhPKlPlN2at6native12_GLOBAL__N_18offset_tEEE10hipError_tPvRmT1_PNSt15iterator_traitsIS12_E10value_typeET2_T3_PNS13_IS18_E10value_typeET4_jRbjT5_S1E_jjP12ihipStream_tbEUljE_ZNSN_ISO_Lb0ESQ_SR_ST_SU_SY_EESZ_S10_S11_S12_S16_S17_S18_S1B_S1C_jS1D_jS1E_S1E_jjS1G_bEUljE0_EEESZ_S10_S11_S18_S1C_S1E_T6_T7_T9_mT8_S1G_bDpT10_ENKUlT_T0_E_clISt17integral_constantIbLb0EES1U_EEDaS1P_S1Q_EUlS1P_E_NS1_11comp_targetILNS1_3genE8ELNS1_11target_archE1030ELNS1_3gpuE2ELNS1_3repE0EEENS1_30default_config_static_selectorELNS0_4arch9wavefront6targetE1EEEvS12_.has_recursion, 0
	.set _ZN7rocprim17ROCPRIM_400000_NS6detail17trampoline_kernelINS0_13select_configILj256ELj13ELNS0_17block_load_methodE3ELS4_3ELS4_3ELNS0_20block_scan_algorithmE0ELj4294967295EEENS1_25partition_config_selectorILNS1_17partition_subalgoE4EjNS0_10empty_typeEbEEZZNS1_14partition_implILS8_4ELb0ES6_15HIP_vector_typeIjLj2EENS0_17counting_iteratorIjlEEPS9_SG_NS0_5tupleIJPjSI_NS0_16reverse_iteratorISI_EEEEENSH_IJSG_SG_SG_EEES9_SI_JZNS1_25segmented_radix_sort_implINS0_14default_configELb0EPKhPhPKlPlN2at6native12_GLOBAL__N_18offset_tEEE10hipError_tPvRmT1_PNSt15iterator_traitsIS12_E10value_typeET2_T3_PNS13_IS18_E10value_typeET4_jRbjT5_S1E_jjP12ihipStream_tbEUljE_ZNSN_ISO_Lb0ESQ_SR_ST_SU_SY_EESZ_S10_S11_S12_S16_S17_S18_S1B_S1C_jS1D_jS1E_S1E_jjS1G_bEUljE0_EEESZ_S10_S11_S18_S1C_S1E_T6_T7_T9_mT8_S1G_bDpT10_ENKUlT_T0_E_clISt17integral_constantIbLb0EES1U_EEDaS1P_S1Q_EUlS1P_E_NS1_11comp_targetILNS1_3genE8ELNS1_11target_archE1030ELNS1_3gpuE2ELNS1_3repE0EEENS1_30default_config_static_selectorELNS0_4arch9wavefront6targetE1EEEvS12_.has_indirect_call, 0
	.section	.AMDGPU.csdata,"",@progbits
; Kernel info:
; codeLenInByte = 0
; TotalNumSgprs: 4
; NumVgprs: 0
; ScratchSize: 0
; MemoryBound: 0
; FloatMode: 240
; IeeeMode: 1
; LDSByteSize: 0 bytes/workgroup (compile time only)
; SGPRBlocks: 0
; VGPRBlocks: 0
; NumSGPRsForWavesPerEU: 4
; NumVGPRsForWavesPerEU: 1
; Occupancy: 10
; WaveLimiterHint : 0
; COMPUTE_PGM_RSRC2:SCRATCH_EN: 0
; COMPUTE_PGM_RSRC2:USER_SGPR: 6
; COMPUTE_PGM_RSRC2:TRAP_HANDLER: 0
; COMPUTE_PGM_RSRC2:TGID_X_EN: 1
; COMPUTE_PGM_RSRC2:TGID_Y_EN: 0
; COMPUTE_PGM_RSRC2:TGID_Z_EN: 0
; COMPUTE_PGM_RSRC2:TIDIG_COMP_CNT: 0
	.section	.text._ZN7rocprim17ROCPRIM_400000_NS6detail17trampoline_kernelINS0_13select_configILj256ELj13ELNS0_17block_load_methodE3ELS4_3ELS4_3ELNS0_20block_scan_algorithmE0ELj4294967295EEENS1_25partition_config_selectorILNS1_17partition_subalgoE4EjNS0_10empty_typeEbEEZZNS1_14partition_implILS8_4ELb0ES6_15HIP_vector_typeIjLj2EENS0_17counting_iteratorIjlEEPS9_SG_NS0_5tupleIJPjSI_NS0_16reverse_iteratorISI_EEEEENSH_IJSG_SG_SG_EEES9_SI_JZNS1_25segmented_radix_sort_implINS0_14default_configELb0EPKhPhPKlPlN2at6native12_GLOBAL__N_18offset_tEEE10hipError_tPvRmT1_PNSt15iterator_traitsIS12_E10value_typeET2_T3_PNS13_IS18_E10value_typeET4_jRbjT5_S1E_jjP12ihipStream_tbEUljE_ZNSN_ISO_Lb0ESQ_SR_ST_SU_SY_EESZ_S10_S11_S12_S16_S17_S18_S1B_S1C_jS1D_jS1E_S1E_jjS1G_bEUljE0_EEESZ_S10_S11_S18_S1C_S1E_T6_T7_T9_mT8_S1G_bDpT10_ENKUlT_T0_E_clISt17integral_constantIbLb1EES1U_EEDaS1P_S1Q_EUlS1P_E_NS1_11comp_targetILNS1_3genE0ELNS1_11target_archE4294967295ELNS1_3gpuE0ELNS1_3repE0EEENS1_30default_config_static_selectorELNS0_4arch9wavefront6targetE1EEEvS12_,"axG",@progbits,_ZN7rocprim17ROCPRIM_400000_NS6detail17trampoline_kernelINS0_13select_configILj256ELj13ELNS0_17block_load_methodE3ELS4_3ELS4_3ELNS0_20block_scan_algorithmE0ELj4294967295EEENS1_25partition_config_selectorILNS1_17partition_subalgoE4EjNS0_10empty_typeEbEEZZNS1_14partition_implILS8_4ELb0ES6_15HIP_vector_typeIjLj2EENS0_17counting_iteratorIjlEEPS9_SG_NS0_5tupleIJPjSI_NS0_16reverse_iteratorISI_EEEEENSH_IJSG_SG_SG_EEES9_SI_JZNS1_25segmented_radix_sort_implINS0_14default_configELb0EPKhPhPKlPlN2at6native12_GLOBAL__N_18offset_tEEE10hipError_tPvRmT1_PNSt15iterator_traitsIS12_E10value_typeET2_T3_PNS13_IS18_E10value_typeET4_jRbjT5_S1E_jjP12ihipStream_tbEUljE_ZNSN_ISO_Lb0ESQ_SR_ST_SU_SY_EESZ_S10_S11_S12_S16_S17_S18_S1B_S1C_jS1D_jS1E_S1E_jjS1G_bEUljE0_EEESZ_S10_S11_S18_S1C_S1E_T6_T7_T9_mT8_S1G_bDpT10_ENKUlT_T0_E_clISt17integral_constantIbLb1EES1U_EEDaS1P_S1Q_EUlS1P_E_NS1_11comp_targetILNS1_3genE0ELNS1_11target_archE4294967295ELNS1_3gpuE0ELNS1_3repE0EEENS1_30default_config_static_selectorELNS0_4arch9wavefront6targetE1EEEvS12_,comdat
	.globl	_ZN7rocprim17ROCPRIM_400000_NS6detail17trampoline_kernelINS0_13select_configILj256ELj13ELNS0_17block_load_methodE3ELS4_3ELS4_3ELNS0_20block_scan_algorithmE0ELj4294967295EEENS1_25partition_config_selectorILNS1_17partition_subalgoE4EjNS0_10empty_typeEbEEZZNS1_14partition_implILS8_4ELb0ES6_15HIP_vector_typeIjLj2EENS0_17counting_iteratorIjlEEPS9_SG_NS0_5tupleIJPjSI_NS0_16reverse_iteratorISI_EEEEENSH_IJSG_SG_SG_EEES9_SI_JZNS1_25segmented_radix_sort_implINS0_14default_configELb0EPKhPhPKlPlN2at6native12_GLOBAL__N_18offset_tEEE10hipError_tPvRmT1_PNSt15iterator_traitsIS12_E10value_typeET2_T3_PNS13_IS18_E10value_typeET4_jRbjT5_S1E_jjP12ihipStream_tbEUljE_ZNSN_ISO_Lb0ESQ_SR_ST_SU_SY_EESZ_S10_S11_S12_S16_S17_S18_S1B_S1C_jS1D_jS1E_S1E_jjS1G_bEUljE0_EEESZ_S10_S11_S18_S1C_S1E_T6_T7_T9_mT8_S1G_bDpT10_ENKUlT_T0_E_clISt17integral_constantIbLb1EES1U_EEDaS1P_S1Q_EUlS1P_E_NS1_11comp_targetILNS1_3genE0ELNS1_11target_archE4294967295ELNS1_3gpuE0ELNS1_3repE0EEENS1_30default_config_static_selectorELNS0_4arch9wavefront6targetE1EEEvS12_ ; -- Begin function _ZN7rocprim17ROCPRIM_400000_NS6detail17trampoline_kernelINS0_13select_configILj256ELj13ELNS0_17block_load_methodE3ELS4_3ELS4_3ELNS0_20block_scan_algorithmE0ELj4294967295EEENS1_25partition_config_selectorILNS1_17partition_subalgoE4EjNS0_10empty_typeEbEEZZNS1_14partition_implILS8_4ELb0ES6_15HIP_vector_typeIjLj2EENS0_17counting_iteratorIjlEEPS9_SG_NS0_5tupleIJPjSI_NS0_16reverse_iteratorISI_EEEEENSH_IJSG_SG_SG_EEES9_SI_JZNS1_25segmented_radix_sort_implINS0_14default_configELb0EPKhPhPKlPlN2at6native12_GLOBAL__N_18offset_tEEE10hipError_tPvRmT1_PNSt15iterator_traitsIS12_E10value_typeET2_T3_PNS13_IS18_E10value_typeET4_jRbjT5_S1E_jjP12ihipStream_tbEUljE_ZNSN_ISO_Lb0ESQ_SR_ST_SU_SY_EESZ_S10_S11_S12_S16_S17_S18_S1B_S1C_jS1D_jS1E_S1E_jjS1G_bEUljE0_EEESZ_S10_S11_S18_S1C_S1E_T6_T7_T9_mT8_S1G_bDpT10_ENKUlT_T0_E_clISt17integral_constantIbLb1EES1U_EEDaS1P_S1Q_EUlS1P_E_NS1_11comp_targetILNS1_3genE0ELNS1_11target_archE4294967295ELNS1_3gpuE0ELNS1_3repE0EEENS1_30default_config_static_selectorELNS0_4arch9wavefront6targetE1EEEvS12_
	.p2align	8
	.type	_ZN7rocprim17ROCPRIM_400000_NS6detail17trampoline_kernelINS0_13select_configILj256ELj13ELNS0_17block_load_methodE3ELS4_3ELS4_3ELNS0_20block_scan_algorithmE0ELj4294967295EEENS1_25partition_config_selectorILNS1_17partition_subalgoE4EjNS0_10empty_typeEbEEZZNS1_14partition_implILS8_4ELb0ES6_15HIP_vector_typeIjLj2EENS0_17counting_iteratorIjlEEPS9_SG_NS0_5tupleIJPjSI_NS0_16reverse_iteratorISI_EEEEENSH_IJSG_SG_SG_EEES9_SI_JZNS1_25segmented_radix_sort_implINS0_14default_configELb0EPKhPhPKlPlN2at6native12_GLOBAL__N_18offset_tEEE10hipError_tPvRmT1_PNSt15iterator_traitsIS12_E10value_typeET2_T3_PNS13_IS18_E10value_typeET4_jRbjT5_S1E_jjP12ihipStream_tbEUljE_ZNSN_ISO_Lb0ESQ_SR_ST_SU_SY_EESZ_S10_S11_S12_S16_S17_S18_S1B_S1C_jS1D_jS1E_S1E_jjS1G_bEUljE0_EEESZ_S10_S11_S18_S1C_S1E_T6_T7_T9_mT8_S1G_bDpT10_ENKUlT_T0_E_clISt17integral_constantIbLb1EES1U_EEDaS1P_S1Q_EUlS1P_E_NS1_11comp_targetILNS1_3genE0ELNS1_11target_archE4294967295ELNS1_3gpuE0ELNS1_3repE0EEENS1_30default_config_static_selectorELNS0_4arch9wavefront6targetE1EEEvS12_,@function
_ZN7rocprim17ROCPRIM_400000_NS6detail17trampoline_kernelINS0_13select_configILj256ELj13ELNS0_17block_load_methodE3ELS4_3ELS4_3ELNS0_20block_scan_algorithmE0ELj4294967295EEENS1_25partition_config_selectorILNS1_17partition_subalgoE4EjNS0_10empty_typeEbEEZZNS1_14partition_implILS8_4ELb0ES6_15HIP_vector_typeIjLj2EENS0_17counting_iteratorIjlEEPS9_SG_NS0_5tupleIJPjSI_NS0_16reverse_iteratorISI_EEEEENSH_IJSG_SG_SG_EEES9_SI_JZNS1_25segmented_radix_sort_implINS0_14default_configELb0EPKhPhPKlPlN2at6native12_GLOBAL__N_18offset_tEEE10hipError_tPvRmT1_PNSt15iterator_traitsIS12_E10value_typeET2_T3_PNS13_IS18_E10value_typeET4_jRbjT5_S1E_jjP12ihipStream_tbEUljE_ZNSN_ISO_Lb0ESQ_SR_ST_SU_SY_EESZ_S10_S11_S12_S16_S17_S18_S1B_S1C_jS1D_jS1E_S1E_jjS1G_bEUljE0_EEESZ_S10_S11_S18_S1C_S1E_T6_T7_T9_mT8_S1G_bDpT10_ENKUlT_T0_E_clISt17integral_constantIbLb1EES1U_EEDaS1P_S1Q_EUlS1P_E_NS1_11comp_targetILNS1_3genE0ELNS1_11target_archE4294967295ELNS1_3gpuE0ELNS1_3repE0EEENS1_30default_config_static_selectorELNS0_4arch9wavefront6targetE1EEEvS12_: ; @_ZN7rocprim17ROCPRIM_400000_NS6detail17trampoline_kernelINS0_13select_configILj256ELj13ELNS0_17block_load_methodE3ELS4_3ELS4_3ELNS0_20block_scan_algorithmE0ELj4294967295EEENS1_25partition_config_selectorILNS1_17partition_subalgoE4EjNS0_10empty_typeEbEEZZNS1_14partition_implILS8_4ELb0ES6_15HIP_vector_typeIjLj2EENS0_17counting_iteratorIjlEEPS9_SG_NS0_5tupleIJPjSI_NS0_16reverse_iteratorISI_EEEEENSH_IJSG_SG_SG_EEES9_SI_JZNS1_25segmented_radix_sort_implINS0_14default_configELb0EPKhPhPKlPlN2at6native12_GLOBAL__N_18offset_tEEE10hipError_tPvRmT1_PNSt15iterator_traitsIS12_E10value_typeET2_T3_PNS13_IS18_E10value_typeET4_jRbjT5_S1E_jjP12ihipStream_tbEUljE_ZNSN_ISO_Lb0ESQ_SR_ST_SU_SY_EESZ_S10_S11_S12_S16_S17_S18_S1B_S1C_jS1D_jS1E_S1E_jjS1G_bEUljE0_EEESZ_S10_S11_S18_S1C_S1E_T6_T7_T9_mT8_S1G_bDpT10_ENKUlT_T0_E_clISt17integral_constantIbLb1EES1U_EEDaS1P_S1Q_EUlS1P_E_NS1_11comp_targetILNS1_3genE0ELNS1_11target_archE4294967295ELNS1_3gpuE0ELNS1_3repE0EEENS1_30default_config_static_selectorELNS0_4arch9wavefront6targetE1EEEvS12_
; %bb.0:
	.section	.rodata,"a",@progbits
	.p2align	6, 0x0
	.amdhsa_kernel _ZN7rocprim17ROCPRIM_400000_NS6detail17trampoline_kernelINS0_13select_configILj256ELj13ELNS0_17block_load_methodE3ELS4_3ELS4_3ELNS0_20block_scan_algorithmE0ELj4294967295EEENS1_25partition_config_selectorILNS1_17partition_subalgoE4EjNS0_10empty_typeEbEEZZNS1_14partition_implILS8_4ELb0ES6_15HIP_vector_typeIjLj2EENS0_17counting_iteratorIjlEEPS9_SG_NS0_5tupleIJPjSI_NS0_16reverse_iteratorISI_EEEEENSH_IJSG_SG_SG_EEES9_SI_JZNS1_25segmented_radix_sort_implINS0_14default_configELb0EPKhPhPKlPlN2at6native12_GLOBAL__N_18offset_tEEE10hipError_tPvRmT1_PNSt15iterator_traitsIS12_E10value_typeET2_T3_PNS13_IS18_E10value_typeET4_jRbjT5_S1E_jjP12ihipStream_tbEUljE_ZNSN_ISO_Lb0ESQ_SR_ST_SU_SY_EESZ_S10_S11_S12_S16_S17_S18_S1B_S1C_jS1D_jS1E_S1E_jjS1G_bEUljE0_EEESZ_S10_S11_S18_S1C_S1E_T6_T7_T9_mT8_S1G_bDpT10_ENKUlT_T0_E_clISt17integral_constantIbLb1EES1U_EEDaS1P_S1Q_EUlS1P_E_NS1_11comp_targetILNS1_3genE0ELNS1_11target_archE4294967295ELNS1_3gpuE0ELNS1_3repE0EEENS1_30default_config_static_selectorELNS0_4arch9wavefront6targetE1EEEvS12_
		.amdhsa_group_segment_fixed_size 0
		.amdhsa_private_segment_fixed_size 0
		.amdhsa_kernarg_size 184
		.amdhsa_user_sgpr_count 6
		.amdhsa_user_sgpr_private_segment_buffer 1
		.amdhsa_user_sgpr_dispatch_ptr 0
		.amdhsa_user_sgpr_queue_ptr 0
		.amdhsa_user_sgpr_kernarg_segment_ptr 1
		.amdhsa_user_sgpr_dispatch_id 0
		.amdhsa_user_sgpr_flat_scratch_init 0
		.amdhsa_user_sgpr_private_segment_size 0
		.amdhsa_uses_dynamic_stack 0
		.amdhsa_system_sgpr_private_segment_wavefront_offset 0
		.amdhsa_system_sgpr_workgroup_id_x 1
		.amdhsa_system_sgpr_workgroup_id_y 0
		.amdhsa_system_sgpr_workgroup_id_z 0
		.amdhsa_system_sgpr_workgroup_info 0
		.amdhsa_system_vgpr_workitem_id 0
		.amdhsa_next_free_vgpr 1
		.amdhsa_next_free_sgpr 0
		.amdhsa_reserve_vcc 0
		.amdhsa_reserve_flat_scratch 0
		.amdhsa_float_round_mode_32 0
		.amdhsa_float_round_mode_16_64 0
		.amdhsa_float_denorm_mode_32 3
		.amdhsa_float_denorm_mode_16_64 3
		.amdhsa_dx10_clamp 1
		.amdhsa_ieee_mode 1
		.amdhsa_fp16_overflow 0
		.amdhsa_exception_fp_ieee_invalid_op 0
		.amdhsa_exception_fp_denorm_src 0
		.amdhsa_exception_fp_ieee_div_zero 0
		.amdhsa_exception_fp_ieee_overflow 0
		.amdhsa_exception_fp_ieee_underflow 0
		.amdhsa_exception_fp_ieee_inexact 0
		.amdhsa_exception_int_div_zero 0
	.end_amdhsa_kernel
	.section	.text._ZN7rocprim17ROCPRIM_400000_NS6detail17trampoline_kernelINS0_13select_configILj256ELj13ELNS0_17block_load_methodE3ELS4_3ELS4_3ELNS0_20block_scan_algorithmE0ELj4294967295EEENS1_25partition_config_selectorILNS1_17partition_subalgoE4EjNS0_10empty_typeEbEEZZNS1_14partition_implILS8_4ELb0ES6_15HIP_vector_typeIjLj2EENS0_17counting_iteratorIjlEEPS9_SG_NS0_5tupleIJPjSI_NS0_16reverse_iteratorISI_EEEEENSH_IJSG_SG_SG_EEES9_SI_JZNS1_25segmented_radix_sort_implINS0_14default_configELb0EPKhPhPKlPlN2at6native12_GLOBAL__N_18offset_tEEE10hipError_tPvRmT1_PNSt15iterator_traitsIS12_E10value_typeET2_T3_PNS13_IS18_E10value_typeET4_jRbjT5_S1E_jjP12ihipStream_tbEUljE_ZNSN_ISO_Lb0ESQ_SR_ST_SU_SY_EESZ_S10_S11_S12_S16_S17_S18_S1B_S1C_jS1D_jS1E_S1E_jjS1G_bEUljE0_EEESZ_S10_S11_S18_S1C_S1E_T6_T7_T9_mT8_S1G_bDpT10_ENKUlT_T0_E_clISt17integral_constantIbLb1EES1U_EEDaS1P_S1Q_EUlS1P_E_NS1_11comp_targetILNS1_3genE0ELNS1_11target_archE4294967295ELNS1_3gpuE0ELNS1_3repE0EEENS1_30default_config_static_selectorELNS0_4arch9wavefront6targetE1EEEvS12_,"axG",@progbits,_ZN7rocprim17ROCPRIM_400000_NS6detail17trampoline_kernelINS0_13select_configILj256ELj13ELNS0_17block_load_methodE3ELS4_3ELS4_3ELNS0_20block_scan_algorithmE0ELj4294967295EEENS1_25partition_config_selectorILNS1_17partition_subalgoE4EjNS0_10empty_typeEbEEZZNS1_14partition_implILS8_4ELb0ES6_15HIP_vector_typeIjLj2EENS0_17counting_iteratorIjlEEPS9_SG_NS0_5tupleIJPjSI_NS0_16reverse_iteratorISI_EEEEENSH_IJSG_SG_SG_EEES9_SI_JZNS1_25segmented_radix_sort_implINS0_14default_configELb0EPKhPhPKlPlN2at6native12_GLOBAL__N_18offset_tEEE10hipError_tPvRmT1_PNSt15iterator_traitsIS12_E10value_typeET2_T3_PNS13_IS18_E10value_typeET4_jRbjT5_S1E_jjP12ihipStream_tbEUljE_ZNSN_ISO_Lb0ESQ_SR_ST_SU_SY_EESZ_S10_S11_S12_S16_S17_S18_S1B_S1C_jS1D_jS1E_S1E_jjS1G_bEUljE0_EEESZ_S10_S11_S18_S1C_S1E_T6_T7_T9_mT8_S1G_bDpT10_ENKUlT_T0_E_clISt17integral_constantIbLb1EES1U_EEDaS1P_S1Q_EUlS1P_E_NS1_11comp_targetILNS1_3genE0ELNS1_11target_archE4294967295ELNS1_3gpuE0ELNS1_3repE0EEENS1_30default_config_static_selectorELNS0_4arch9wavefront6targetE1EEEvS12_,comdat
.Lfunc_end130:
	.size	_ZN7rocprim17ROCPRIM_400000_NS6detail17trampoline_kernelINS0_13select_configILj256ELj13ELNS0_17block_load_methodE3ELS4_3ELS4_3ELNS0_20block_scan_algorithmE0ELj4294967295EEENS1_25partition_config_selectorILNS1_17partition_subalgoE4EjNS0_10empty_typeEbEEZZNS1_14partition_implILS8_4ELb0ES6_15HIP_vector_typeIjLj2EENS0_17counting_iteratorIjlEEPS9_SG_NS0_5tupleIJPjSI_NS0_16reverse_iteratorISI_EEEEENSH_IJSG_SG_SG_EEES9_SI_JZNS1_25segmented_radix_sort_implINS0_14default_configELb0EPKhPhPKlPlN2at6native12_GLOBAL__N_18offset_tEEE10hipError_tPvRmT1_PNSt15iterator_traitsIS12_E10value_typeET2_T3_PNS13_IS18_E10value_typeET4_jRbjT5_S1E_jjP12ihipStream_tbEUljE_ZNSN_ISO_Lb0ESQ_SR_ST_SU_SY_EESZ_S10_S11_S12_S16_S17_S18_S1B_S1C_jS1D_jS1E_S1E_jjS1G_bEUljE0_EEESZ_S10_S11_S18_S1C_S1E_T6_T7_T9_mT8_S1G_bDpT10_ENKUlT_T0_E_clISt17integral_constantIbLb1EES1U_EEDaS1P_S1Q_EUlS1P_E_NS1_11comp_targetILNS1_3genE0ELNS1_11target_archE4294967295ELNS1_3gpuE0ELNS1_3repE0EEENS1_30default_config_static_selectorELNS0_4arch9wavefront6targetE1EEEvS12_, .Lfunc_end130-_ZN7rocprim17ROCPRIM_400000_NS6detail17trampoline_kernelINS0_13select_configILj256ELj13ELNS0_17block_load_methodE3ELS4_3ELS4_3ELNS0_20block_scan_algorithmE0ELj4294967295EEENS1_25partition_config_selectorILNS1_17partition_subalgoE4EjNS0_10empty_typeEbEEZZNS1_14partition_implILS8_4ELb0ES6_15HIP_vector_typeIjLj2EENS0_17counting_iteratorIjlEEPS9_SG_NS0_5tupleIJPjSI_NS0_16reverse_iteratorISI_EEEEENSH_IJSG_SG_SG_EEES9_SI_JZNS1_25segmented_radix_sort_implINS0_14default_configELb0EPKhPhPKlPlN2at6native12_GLOBAL__N_18offset_tEEE10hipError_tPvRmT1_PNSt15iterator_traitsIS12_E10value_typeET2_T3_PNS13_IS18_E10value_typeET4_jRbjT5_S1E_jjP12ihipStream_tbEUljE_ZNSN_ISO_Lb0ESQ_SR_ST_SU_SY_EESZ_S10_S11_S12_S16_S17_S18_S1B_S1C_jS1D_jS1E_S1E_jjS1G_bEUljE0_EEESZ_S10_S11_S18_S1C_S1E_T6_T7_T9_mT8_S1G_bDpT10_ENKUlT_T0_E_clISt17integral_constantIbLb1EES1U_EEDaS1P_S1Q_EUlS1P_E_NS1_11comp_targetILNS1_3genE0ELNS1_11target_archE4294967295ELNS1_3gpuE0ELNS1_3repE0EEENS1_30default_config_static_selectorELNS0_4arch9wavefront6targetE1EEEvS12_
                                        ; -- End function
	.set _ZN7rocprim17ROCPRIM_400000_NS6detail17trampoline_kernelINS0_13select_configILj256ELj13ELNS0_17block_load_methodE3ELS4_3ELS4_3ELNS0_20block_scan_algorithmE0ELj4294967295EEENS1_25partition_config_selectorILNS1_17partition_subalgoE4EjNS0_10empty_typeEbEEZZNS1_14partition_implILS8_4ELb0ES6_15HIP_vector_typeIjLj2EENS0_17counting_iteratorIjlEEPS9_SG_NS0_5tupleIJPjSI_NS0_16reverse_iteratorISI_EEEEENSH_IJSG_SG_SG_EEES9_SI_JZNS1_25segmented_radix_sort_implINS0_14default_configELb0EPKhPhPKlPlN2at6native12_GLOBAL__N_18offset_tEEE10hipError_tPvRmT1_PNSt15iterator_traitsIS12_E10value_typeET2_T3_PNS13_IS18_E10value_typeET4_jRbjT5_S1E_jjP12ihipStream_tbEUljE_ZNSN_ISO_Lb0ESQ_SR_ST_SU_SY_EESZ_S10_S11_S12_S16_S17_S18_S1B_S1C_jS1D_jS1E_S1E_jjS1G_bEUljE0_EEESZ_S10_S11_S18_S1C_S1E_T6_T7_T9_mT8_S1G_bDpT10_ENKUlT_T0_E_clISt17integral_constantIbLb1EES1U_EEDaS1P_S1Q_EUlS1P_E_NS1_11comp_targetILNS1_3genE0ELNS1_11target_archE4294967295ELNS1_3gpuE0ELNS1_3repE0EEENS1_30default_config_static_selectorELNS0_4arch9wavefront6targetE1EEEvS12_.num_vgpr, 0
	.set _ZN7rocprim17ROCPRIM_400000_NS6detail17trampoline_kernelINS0_13select_configILj256ELj13ELNS0_17block_load_methodE3ELS4_3ELS4_3ELNS0_20block_scan_algorithmE0ELj4294967295EEENS1_25partition_config_selectorILNS1_17partition_subalgoE4EjNS0_10empty_typeEbEEZZNS1_14partition_implILS8_4ELb0ES6_15HIP_vector_typeIjLj2EENS0_17counting_iteratorIjlEEPS9_SG_NS0_5tupleIJPjSI_NS0_16reverse_iteratorISI_EEEEENSH_IJSG_SG_SG_EEES9_SI_JZNS1_25segmented_radix_sort_implINS0_14default_configELb0EPKhPhPKlPlN2at6native12_GLOBAL__N_18offset_tEEE10hipError_tPvRmT1_PNSt15iterator_traitsIS12_E10value_typeET2_T3_PNS13_IS18_E10value_typeET4_jRbjT5_S1E_jjP12ihipStream_tbEUljE_ZNSN_ISO_Lb0ESQ_SR_ST_SU_SY_EESZ_S10_S11_S12_S16_S17_S18_S1B_S1C_jS1D_jS1E_S1E_jjS1G_bEUljE0_EEESZ_S10_S11_S18_S1C_S1E_T6_T7_T9_mT8_S1G_bDpT10_ENKUlT_T0_E_clISt17integral_constantIbLb1EES1U_EEDaS1P_S1Q_EUlS1P_E_NS1_11comp_targetILNS1_3genE0ELNS1_11target_archE4294967295ELNS1_3gpuE0ELNS1_3repE0EEENS1_30default_config_static_selectorELNS0_4arch9wavefront6targetE1EEEvS12_.num_agpr, 0
	.set _ZN7rocprim17ROCPRIM_400000_NS6detail17trampoline_kernelINS0_13select_configILj256ELj13ELNS0_17block_load_methodE3ELS4_3ELS4_3ELNS0_20block_scan_algorithmE0ELj4294967295EEENS1_25partition_config_selectorILNS1_17partition_subalgoE4EjNS0_10empty_typeEbEEZZNS1_14partition_implILS8_4ELb0ES6_15HIP_vector_typeIjLj2EENS0_17counting_iteratorIjlEEPS9_SG_NS0_5tupleIJPjSI_NS0_16reverse_iteratorISI_EEEEENSH_IJSG_SG_SG_EEES9_SI_JZNS1_25segmented_radix_sort_implINS0_14default_configELb0EPKhPhPKlPlN2at6native12_GLOBAL__N_18offset_tEEE10hipError_tPvRmT1_PNSt15iterator_traitsIS12_E10value_typeET2_T3_PNS13_IS18_E10value_typeET4_jRbjT5_S1E_jjP12ihipStream_tbEUljE_ZNSN_ISO_Lb0ESQ_SR_ST_SU_SY_EESZ_S10_S11_S12_S16_S17_S18_S1B_S1C_jS1D_jS1E_S1E_jjS1G_bEUljE0_EEESZ_S10_S11_S18_S1C_S1E_T6_T7_T9_mT8_S1G_bDpT10_ENKUlT_T0_E_clISt17integral_constantIbLb1EES1U_EEDaS1P_S1Q_EUlS1P_E_NS1_11comp_targetILNS1_3genE0ELNS1_11target_archE4294967295ELNS1_3gpuE0ELNS1_3repE0EEENS1_30default_config_static_selectorELNS0_4arch9wavefront6targetE1EEEvS12_.numbered_sgpr, 0
	.set _ZN7rocprim17ROCPRIM_400000_NS6detail17trampoline_kernelINS0_13select_configILj256ELj13ELNS0_17block_load_methodE3ELS4_3ELS4_3ELNS0_20block_scan_algorithmE0ELj4294967295EEENS1_25partition_config_selectorILNS1_17partition_subalgoE4EjNS0_10empty_typeEbEEZZNS1_14partition_implILS8_4ELb0ES6_15HIP_vector_typeIjLj2EENS0_17counting_iteratorIjlEEPS9_SG_NS0_5tupleIJPjSI_NS0_16reverse_iteratorISI_EEEEENSH_IJSG_SG_SG_EEES9_SI_JZNS1_25segmented_radix_sort_implINS0_14default_configELb0EPKhPhPKlPlN2at6native12_GLOBAL__N_18offset_tEEE10hipError_tPvRmT1_PNSt15iterator_traitsIS12_E10value_typeET2_T3_PNS13_IS18_E10value_typeET4_jRbjT5_S1E_jjP12ihipStream_tbEUljE_ZNSN_ISO_Lb0ESQ_SR_ST_SU_SY_EESZ_S10_S11_S12_S16_S17_S18_S1B_S1C_jS1D_jS1E_S1E_jjS1G_bEUljE0_EEESZ_S10_S11_S18_S1C_S1E_T6_T7_T9_mT8_S1G_bDpT10_ENKUlT_T0_E_clISt17integral_constantIbLb1EES1U_EEDaS1P_S1Q_EUlS1P_E_NS1_11comp_targetILNS1_3genE0ELNS1_11target_archE4294967295ELNS1_3gpuE0ELNS1_3repE0EEENS1_30default_config_static_selectorELNS0_4arch9wavefront6targetE1EEEvS12_.num_named_barrier, 0
	.set _ZN7rocprim17ROCPRIM_400000_NS6detail17trampoline_kernelINS0_13select_configILj256ELj13ELNS0_17block_load_methodE3ELS4_3ELS4_3ELNS0_20block_scan_algorithmE0ELj4294967295EEENS1_25partition_config_selectorILNS1_17partition_subalgoE4EjNS0_10empty_typeEbEEZZNS1_14partition_implILS8_4ELb0ES6_15HIP_vector_typeIjLj2EENS0_17counting_iteratorIjlEEPS9_SG_NS0_5tupleIJPjSI_NS0_16reverse_iteratorISI_EEEEENSH_IJSG_SG_SG_EEES9_SI_JZNS1_25segmented_radix_sort_implINS0_14default_configELb0EPKhPhPKlPlN2at6native12_GLOBAL__N_18offset_tEEE10hipError_tPvRmT1_PNSt15iterator_traitsIS12_E10value_typeET2_T3_PNS13_IS18_E10value_typeET4_jRbjT5_S1E_jjP12ihipStream_tbEUljE_ZNSN_ISO_Lb0ESQ_SR_ST_SU_SY_EESZ_S10_S11_S12_S16_S17_S18_S1B_S1C_jS1D_jS1E_S1E_jjS1G_bEUljE0_EEESZ_S10_S11_S18_S1C_S1E_T6_T7_T9_mT8_S1G_bDpT10_ENKUlT_T0_E_clISt17integral_constantIbLb1EES1U_EEDaS1P_S1Q_EUlS1P_E_NS1_11comp_targetILNS1_3genE0ELNS1_11target_archE4294967295ELNS1_3gpuE0ELNS1_3repE0EEENS1_30default_config_static_selectorELNS0_4arch9wavefront6targetE1EEEvS12_.private_seg_size, 0
	.set _ZN7rocprim17ROCPRIM_400000_NS6detail17trampoline_kernelINS0_13select_configILj256ELj13ELNS0_17block_load_methodE3ELS4_3ELS4_3ELNS0_20block_scan_algorithmE0ELj4294967295EEENS1_25partition_config_selectorILNS1_17partition_subalgoE4EjNS0_10empty_typeEbEEZZNS1_14partition_implILS8_4ELb0ES6_15HIP_vector_typeIjLj2EENS0_17counting_iteratorIjlEEPS9_SG_NS0_5tupleIJPjSI_NS0_16reverse_iteratorISI_EEEEENSH_IJSG_SG_SG_EEES9_SI_JZNS1_25segmented_radix_sort_implINS0_14default_configELb0EPKhPhPKlPlN2at6native12_GLOBAL__N_18offset_tEEE10hipError_tPvRmT1_PNSt15iterator_traitsIS12_E10value_typeET2_T3_PNS13_IS18_E10value_typeET4_jRbjT5_S1E_jjP12ihipStream_tbEUljE_ZNSN_ISO_Lb0ESQ_SR_ST_SU_SY_EESZ_S10_S11_S12_S16_S17_S18_S1B_S1C_jS1D_jS1E_S1E_jjS1G_bEUljE0_EEESZ_S10_S11_S18_S1C_S1E_T6_T7_T9_mT8_S1G_bDpT10_ENKUlT_T0_E_clISt17integral_constantIbLb1EES1U_EEDaS1P_S1Q_EUlS1P_E_NS1_11comp_targetILNS1_3genE0ELNS1_11target_archE4294967295ELNS1_3gpuE0ELNS1_3repE0EEENS1_30default_config_static_selectorELNS0_4arch9wavefront6targetE1EEEvS12_.uses_vcc, 0
	.set _ZN7rocprim17ROCPRIM_400000_NS6detail17trampoline_kernelINS0_13select_configILj256ELj13ELNS0_17block_load_methodE3ELS4_3ELS4_3ELNS0_20block_scan_algorithmE0ELj4294967295EEENS1_25partition_config_selectorILNS1_17partition_subalgoE4EjNS0_10empty_typeEbEEZZNS1_14partition_implILS8_4ELb0ES6_15HIP_vector_typeIjLj2EENS0_17counting_iteratorIjlEEPS9_SG_NS0_5tupleIJPjSI_NS0_16reverse_iteratorISI_EEEEENSH_IJSG_SG_SG_EEES9_SI_JZNS1_25segmented_radix_sort_implINS0_14default_configELb0EPKhPhPKlPlN2at6native12_GLOBAL__N_18offset_tEEE10hipError_tPvRmT1_PNSt15iterator_traitsIS12_E10value_typeET2_T3_PNS13_IS18_E10value_typeET4_jRbjT5_S1E_jjP12ihipStream_tbEUljE_ZNSN_ISO_Lb0ESQ_SR_ST_SU_SY_EESZ_S10_S11_S12_S16_S17_S18_S1B_S1C_jS1D_jS1E_S1E_jjS1G_bEUljE0_EEESZ_S10_S11_S18_S1C_S1E_T6_T7_T9_mT8_S1G_bDpT10_ENKUlT_T0_E_clISt17integral_constantIbLb1EES1U_EEDaS1P_S1Q_EUlS1P_E_NS1_11comp_targetILNS1_3genE0ELNS1_11target_archE4294967295ELNS1_3gpuE0ELNS1_3repE0EEENS1_30default_config_static_selectorELNS0_4arch9wavefront6targetE1EEEvS12_.uses_flat_scratch, 0
	.set _ZN7rocprim17ROCPRIM_400000_NS6detail17trampoline_kernelINS0_13select_configILj256ELj13ELNS0_17block_load_methodE3ELS4_3ELS4_3ELNS0_20block_scan_algorithmE0ELj4294967295EEENS1_25partition_config_selectorILNS1_17partition_subalgoE4EjNS0_10empty_typeEbEEZZNS1_14partition_implILS8_4ELb0ES6_15HIP_vector_typeIjLj2EENS0_17counting_iteratorIjlEEPS9_SG_NS0_5tupleIJPjSI_NS0_16reverse_iteratorISI_EEEEENSH_IJSG_SG_SG_EEES9_SI_JZNS1_25segmented_radix_sort_implINS0_14default_configELb0EPKhPhPKlPlN2at6native12_GLOBAL__N_18offset_tEEE10hipError_tPvRmT1_PNSt15iterator_traitsIS12_E10value_typeET2_T3_PNS13_IS18_E10value_typeET4_jRbjT5_S1E_jjP12ihipStream_tbEUljE_ZNSN_ISO_Lb0ESQ_SR_ST_SU_SY_EESZ_S10_S11_S12_S16_S17_S18_S1B_S1C_jS1D_jS1E_S1E_jjS1G_bEUljE0_EEESZ_S10_S11_S18_S1C_S1E_T6_T7_T9_mT8_S1G_bDpT10_ENKUlT_T0_E_clISt17integral_constantIbLb1EES1U_EEDaS1P_S1Q_EUlS1P_E_NS1_11comp_targetILNS1_3genE0ELNS1_11target_archE4294967295ELNS1_3gpuE0ELNS1_3repE0EEENS1_30default_config_static_selectorELNS0_4arch9wavefront6targetE1EEEvS12_.has_dyn_sized_stack, 0
	.set _ZN7rocprim17ROCPRIM_400000_NS6detail17trampoline_kernelINS0_13select_configILj256ELj13ELNS0_17block_load_methodE3ELS4_3ELS4_3ELNS0_20block_scan_algorithmE0ELj4294967295EEENS1_25partition_config_selectorILNS1_17partition_subalgoE4EjNS0_10empty_typeEbEEZZNS1_14partition_implILS8_4ELb0ES6_15HIP_vector_typeIjLj2EENS0_17counting_iteratorIjlEEPS9_SG_NS0_5tupleIJPjSI_NS0_16reverse_iteratorISI_EEEEENSH_IJSG_SG_SG_EEES9_SI_JZNS1_25segmented_radix_sort_implINS0_14default_configELb0EPKhPhPKlPlN2at6native12_GLOBAL__N_18offset_tEEE10hipError_tPvRmT1_PNSt15iterator_traitsIS12_E10value_typeET2_T3_PNS13_IS18_E10value_typeET4_jRbjT5_S1E_jjP12ihipStream_tbEUljE_ZNSN_ISO_Lb0ESQ_SR_ST_SU_SY_EESZ_S10_S11_S12_S16_S17_S18_S1B_S1C_jS1D_jS1E_S1E_jjS1G_bEUljE0_EEESZ_S10_S11_S18_S1C_S1E_T6_T7_T9_mT8_S1G_bDpT10_ENKUlT_T0_E_clISt17integral_constantIbLb1EES1U_EEDaS1P_S1Q_EUlS1P_E_NS1_11comp_targetILNS1_3genE0ELNS1_11target_archE4294967295ELNS1_3gpuE0ELNS1_3repE0EEENS1_30default_config_static_selectorELNS0_4arch9wavefront6targetE1EEEvS12_.has_recursion, 0
	.set _ZN7rocprim17ROCPRIM_400000_NS6detail17trampoline_kernelINS0_13select_configILj256ELj13ELNS0_17block_load_methodE3ELS4_3ELS4_3ELNS0_20block_scan_algorithmE0ELj4294967295EEENS1_25partition_config_selectorILNS1_17partition_subalgoE4EjNS0_10empty_typeEbEEZZNS1_14partition_implILS8_4ELb0ES6_15HIP_vector_typeIjLj2EENS0_17counting_iteratorIjlEEPS9_SG_NS0_5tupleIJPjSI_NS0_16reverse_iteratorISI_EEEEENSH_IJSG_SG_SG_EEES9_SI_JZNS1_25segmented_radix_sort_implINS0_14default_configELb0EPKhPhPKlPlN2at6native12_GLOBAL__N_18offset_tEEE10hipError_tPvRmT1_PNSt15iterator_traitsIS12_E10value_typeET2_T3_PNS13_IS18_E10value_typeET4_jRbjT5_S1E_jjP12ihipStream_tbEUljE_ZNSN_ISO_Lb0ESQ_SR_ST_SU_SY_EESZ_S10_S11_S12_S16_S17_S18_S1B_S1C_jS1D_jS1E_S1E_jjS1G_bEUljE0_EEESZ_S10_S11_S18_S1C_S1E_T6_T7_T9_mT8_S1G_bDpT10_ENKUlT_T0_E_clISt17integral_constantIbLb1EES1U_EEDaS1P_S1Q_EUlS1P_E_NS1_11comp_targetILNS1_3genE0ELNS1_11target_archE4294967295ELNS1_3gpuE0ELNS1_3repE0EEENS1_30default_config_static_selectorELNS0_4arch9wavefront6targetE1EEEvS12_.has_indirect_call, 0
	.section	.AMDGPU.csdata,"",@progbits
; Kernel info:
; codeLenInByte = 0
; TotalNumSgprs: 4
; NumVgprs: 0
; ScratchSize: 0
; MemoryBound: 0
; FloatMode: 240
; IeeeMode: 1
; LDSByteSize: 0 bytes/workgroup (compile time only)
; SGPRBlocks: 0
; VGPRBlocks: 0
; NumSGPRsForWavesPerEU: 4
; NumVGPRsForWavesPerEU: 1
; Occupancy: 10
; WaveLimiterHint : 0
; COMPUTE_PGM_RSRC2:SCRATCH_EN: 0
; COMPUTE_PGM_RSRC2:USER_SGPR: 6
; COMPUTE_PGM_RSRC2:TRAP_HANDLER: 0
; COMPUTE_PGM_RSRC2:TGID_X_EN: 1
; COMPUTE_PGM_RSRC2:TGID_Y_EN: 0
; COMPUTE_PGM_RSRC2:TGID_Z_EN: 0
; COMPUTE_PGM_RSRC2:TIDIG_COMP_CNT: 0
	.section	.text._ZN7rocprim17ROCPRIM_400000_NS6detail17trampoline_kernelINS0_13select_configILj256ELj13ELNS0_17block_load_methodE3ELS4_3ELS4_3ELNS0_20block_scan_algorithmE0ELj4294967295EEENS1_25partition_config_selectorILNS1_17partition_subalgoE4EjNS0_10empty_typeEbEEZZNS1_14partition_implILS8_4ELb0ES6_15HIP_vector_typeIjLj2EENS0_17counting_iteratorIjlEEPS9_SG_NS0_5tupleIJPjSI_NS0_16reverse_iteratorISI_EEEEENSH_IJSG_SG_SG_EEES9_SI_JZNS1_25segmented_radix_sort_implINS0_14default_configELb0EPKhPhPKlPlN2at6native12_GLOBAL__N_18offset_tEEE10hipError_tPvRmT1_PNSt15iterator_traitsIS12_E10value_typeET2_T3_PNS13_IS18_E10value_typeET4_jRbjT5_S1E_jjP12ihipStream_tbEUljE_ZNSN_ISO_Lb0ESQ_SR_ST_SU_SY_EESZ_S10_S11_S12_S16_S17_S18_S1B_S1C_jS1D_jS1E_S1E_jjS1G_bEUljE0_EEESZ_S10_S11_S18_S1C_S1E_T6_T7_T9_mT8_S1G_bDpT10_ENKUlT_T0_E_clISt17integral_constantIbLb1EES1U_EEDaS1P_S1Q_EUlS1P_E_NS1_11comp_targetILNS1_3genE5ELNS1_11target_archE942ELNS1_3gpuE9ELNS1_3repE0EEENS1_30default_config_static_selectorELNS0_4arch9wavefront6targetE1EEEvS12_,"axG",@progbits,_ZN7rocprim17ROCPRIM_400000_NS6detail17trampoline_kernelINS0_13select_configILj256ELj13ELNS0_17block_load_methodE3ELS4_3ELS4_3ELNS0_20block_scan_algorithmE0ELj4294967295EEENS1_25partition_config_selectorILNS1_17partition_subalgoE4EjNS0_10empty_typeEbEEZZNS1_14partition_implILS8_4ELb0ES6_15HIP_vector_typeIjLj2EENS0_17counting_iteratorIjlEEPS9_SG_NS0_5tupleIJPjSI_NS0_16reverse_iteratorISI_EEEEENSH_IJSG_SG_SG_EEES9_SI_JZNS1_25segmented_radix_sort_implINS0_14default_configELb0EPKhPhPKlPlN2at6native12_GLOBAL__N_18offset_tEEE10hipError_tPvRmT1_PNSt15iterator_traitsIS12_E10value_typeET2_T3_PNS13_IS18_E10value_typeET4_jRbjT5_S1E_jjP12ihipStream_tbEUljE_ZNSN_ISO_Lb0ESQ_SR_ST_SU_SY_EESZ_S10_S11_S12_S16_S17_S18_S1B_S1C_jS1D_jS1E_S1E_jjS1G_bEUljE0_EEESZ_S10_S11_S18_S1C_S1E_T6_T7_T9_mT8_S1G_bDpT10_ENKUlT_T0_E_clISt17integral_constantIbLb1EES1U_EEDaS1P_S1Q_EUlS1P_E_NS1_11comp_targetILNS1_3genE5ELNS1_11target_archE942ELNS1_3gpuE9ELNS1_3repE0EEENS1_30default_config_static_selectorELNS0_4arch9wavefront6targetE1EEEvS12_,comdat
	.globl	_ZN7rocprim17ROCPRIM_400000_NS6detail17trampoline_kernelINS0_13select_configILj256ELj13ELNS0_17block_load_methodE3ELS4_3ELS4_3ELNS0_20block_scan_algorithmE0ELj4294967295EEENS1_25partition_config_selectorILNS1_17partition_subalgoE4EjNS0_10empty_typeEbEEZZNS1_14partition_implILS8_4ELb0ES6_15HIP_vector_typeIjLj2EENS0_17counting_iteratorIjlEEPS9_SG_NS0_5tupleIJPjSI_NS0_16reverse_iteratorISI_EEEEENSH_IJSG_SG_SG_EEES9_SI_JZNS1_25segmented_radix_sort_implINS0_14default_configELb0EPKhPhPKlPlN2at6native12_GLOBAL__N_18offset_tEEE10hipError_tPvRmT1_PNSt15iterator_traitsIS12_E10value_typeET2_T3_PNS13_IS18_E10value_typeET4_jRbjT5_S1E_jjP12ihipStream_tbEUljE_ZNSN_ISO_Lb0ESQ_SR_ST_SU_SY_EESZ_S10_S11_S12_S16_S17_S18_S1B_S1C_jS1D_jS1E_S1E_jjS1G_bEUljE0_EEESZ_S10_S11_S18_S1C_S1E_T6_T7_T9_mT8_S1G_bDpT10_ENKUlT_T0_E_clISt17integral_constantIbLb1EES1U_EEDaS1P_S1Q_EUlS1P_E_NS1_11comp_targetILNS1_3genE5ELNS1_11target_archE942ELNS1_3gpuE9ELNS1_3repE0EEENS1_30default_config_static_selectorELNS0_4arch9wavefront6targetE1EEEvS12_ ; -- Begin function _ZN7rocprim17ROCPRIM_400000_NS6detail17trampoline_kernelINS0_13select_configILj256ELj13ELNS0_17block_load_methodE3ELS4_3ELS4_3ELNS0_20block_scan_algorithmE0ELj4294967295EEENS1_25partition_config_selectorILNS1_17partition_subalgoE4EjNS0_10empty_typeEbEEZZNS1_14partition_implILS8_4ELb0ES6_15HIP_vector_typeIjLj2EENS0_17counting_iteratorIjlEEPS9_SG_NS0_5tupleIJPjSI_NS0_16reverse_iteratorISI_EEEEENSH_IJSG_SG_SG_EEES9_SI_JZNS1_25segmented_radix_sort_implINS0_14default_configELb0EPKhPhPKlPlN2at6native12_GLOBAL__N_18offset_tEEE10hipError_tPvRmT1_PNSt15iterator_traitsIS12_E10value_typeET2_T3_PNS13_IS18_E10value_typeET4_jRbjT5_S1E_jjP12ihipStream_tbEUljE_ZNSN_ISO_Lb0ESQ_SR_ST_SU_SY_EESZ_S10_S11_S12_S16_S17_S18_S1B_S1C_jS1D_jS1E_S1E_jjS1G_bEUljE0_EEESZ_S10_S11_S18_S1C_S1E_T6_T7_T9_mT8_S1G_bDpT10_ENKUlT_T0_E_clISt17integral_constantIbLb1EES1U_EEDaS1P_S1Q_EUlS1P_E_NS1_11comp_targetILNS1_3genE5ELNS1_11target_archE942ELNS1_3gpuE9ELNS1_3repE0EEENS1_30default_config_static_selectorELNS0_4arch9wavefront6targetE1EEEvS12_
	.p2align	8
	.type	_ZN7rocprim17ROCPRIM_400000_NS6detail17trampoline_kernelINS0_13select_configILj256ELj13ELNS0_17block_load_methodE3ELS4_3ELS4_3ELNS0_20block_scan_algorithmE0ELj4294967295EEENS1_25partition_config_selectorILNS1_17partition_subalgoE4EjNS0_10empty_typeEbEEZZNS1_14partition_implILS8_4ELb0ES6_15HIP_vector_typeIjLj2EENS0_17counting_iteratorIjlEEPS9_SG_NS0_5tupleIJPjSI_NS0_16reverse_iteratorISI_EEEEENSH_IJSG_SG_SG_EEES9_SI_JZNS1_25segmented_radix_sort_implINS0_14default_configELb0EPKhPhPKlPlN2at6native12_GLOBAL__N_18offset_tEEE10hipError_tPvRmT1_PNSt15iterator_traitsIS12_E10value_typeET2_T3_PNS13_IS18_E10value_typeET4_jRbjT5_S1E_jjP12ihipStream_tbEUljE_ZNSN_ISO_Lb0ESQ_SR_ST_SU_SY_EESZ_S10_S11_S12_S16_S17_S18_S1B_S1C_jS1D_jS1E_S1E_jjS1G_bEUljE0_EEESZ_S10_S11_S18_S1C_S1E_T6_T7_T9_mT8_S1G_bDpT10_ENKUlT_T0_E_clISt17integral_constantIbLb1EES1U_EEDaS1P_S1Q_EUlS1P_E_NS1_11comp_targetILNS1_3genE5ELNS1_11target_archE942ELNS1_3gpuE9ELNS1_3repE0EEENS1_30default_config_static_selectorELNS0_4arch9wavefront6targetE1EEEvS12_,@function
_ZN7rocprim17ROCPRIM_400000_NS6detail17trampoline_kernelINS0_13select_configILj256ELj13ELNS0_17block_load_methodE3ELS4_3ELS4_3ELNS0_20block_scan_algorithmE0ELj4294967295EEENS1_25partition_config_selectorILNS1_17partition_subalgoE4EjNS0_10empty_typeEbEEZZNS1_14partition_implILS8_4ELb0ES6_15HIP_vector_typeIjLj2EENS0_17counting_iteratorIjlEEPS9_SG_NS0_5tupleIJPjSI_NS0_16reverse_iteratorISI_EEEEENSH_IJSG_SG_SG_EEES9_SI_JZNS1_25segmented_radix_sort_implINS0_14default_configELb0EPKhPhPKlPlN2at6native12_GLOBAL__N_18offset_tEEE10hipError_tPvRmT1_PNSt15iterator_traitsIS12_E10value_typeET2_T3_PNS13_IS18_E10value_typeET4_jRbjT5_S1E_jjP12ihipStream_tbEUljE_ZNSN_ISO_Lb0ESQ_SR_ST_SU_SY_EESZ_S10_S11_S12_S16_S17_S18_S1B_S1C_jS1D_jS1E_S1E_jjS1G_bEUljE0_EEESZ_S10_S11_S18_S1C_S1E_T6_T7_T9_mT8_S1G_bDpT10_ENKUlT_T0_E_clISt17integral_constantIbLb1EES1U_EEDaS1P_S1Q_EUlS1P_E_NS1_11comp_targetILNS1_3genE5ELNS1_11target_archE942ELNS1_3gpuE9ELNS1_3repE0EEENS1_30default_config_static_selectorELNS0_4arch9wavefront6targetE1EEEvS12_: ; @_ZN7rocprim17ROCPRIM_400000_NS6detail17trampoline_kernelINS0_13select_configILj256ELj13ELNS0_17block_load_methodE3ELS4_3ELS4_3ELNS0_20block_scan_algorithmE0ELj4294967295EEENS1_25partition_config_selectorILNS1_17partition_subalgoE4EjNS0_10empty_typeEbEEZZNS1_14partition_implILS8_4ELb0ES6_15HIP_vector_typeIjLj2EENS0_17counting_iteratorIjlEEPS9_SG_NS0_5tupleIJPjSI_NS0_16reverse_iteratorISI_EEEEENSH_IJSG_SG_SG_EEES9_SI_JZNS1_25segmented_radix_sort_implINS0_14default_configELb0EPKhPhPKlPlN2at6native12_GLOBAL__N_18offset_tEEE10hipError_tPvRmT1_PNSt15iterator_traitsIS12_E10value_typeET2_T3_PNS13_IS18_E10value_typeET4_jRbjT5_S1E_jjP12ihipStream_tbEUljE_ZNSN_ISO_Lb0ESQ_SR_ST_SU_SY_EESZ_S10_S11_S12_S16_S17_S18_S1B_S1C_jS1D_jS1E_S1E_jjS1G_bEUljE0_EEESZ_S10_S11_S18_S1C_S1E_T6_T7_T9_mT8_S1G_bDpT10_ENKUlT_T0_E_clISt17integral_constantIbLb1EES1U_EEDaS1P_S1Q_EUlS1P_E_NS1_11comp_targetILNS1_3genE5ELNS1_11target_archE942ELNS1_3gpuE9ELNS1_3repE0EEENS1_30default_config_static_selectorELNS0_4arch9wavefront6targetE1EEEvS12_
; %bb.0:
	.section	.rodata,"a",@progbits
	.p2align	6, 0x0
	.amdhsa_kernel _ZN7rocprim17ROCPRIM_400000_NS6detail17trampoline_kernelINS0_13select_configILj256ELj13ELNS0_17block_load_methodE3ELS4_3ELS4_3ELNS0_20block_scan_algorithmE0ELj4294967295EEENS1_25partition_config_selectorILNS1_17partition_subalgoE4EjNS0_10empty_typeEbEEZZNS1_14partition_implILS8_4ELb0ES6_15HIP_vector_typeIjLj2EENS0_17counting_iteratorIjlEEPS9_SG_NS0_5tupleIJPjSI_NS0_16reverse_iteratorISI_EEEEENSH_IJSG_SG_SG_EEES9_SI_JZNS1_25segmented_radix_sort_implINS0_14default_configELb0EPKhPhPKlPlN2at6native12_GLOBAL__N_18offset_tEEE10hipError_tPvRmT1_PNSt15iterator_traitsIS12_E10value_typeET2_T3_PNS13_IS18_E10value_typeET4_jRbjT5_S1E_jjP12ihipStream_tbEUljE_ZNSN_ISO_Lb0ESQ_SR_ST_SU_SY_EESZ_S10_S11_S12_S16_S17_S18_S1B_S1C_jS1D_jS1E_S1E_jjS1G_bEUljE0_EEESZ_S10_S11_S18_S1C_S1E_T6_T7_T9_mT8_S1G_bDpT10_ENKUlT_T0_E_clISt17integral_constantIbLb1EES1U_EEDaS1P_S1Q_EUlS1P_E_NS1_11comp_targetILNS1_3genE5ELNS1_11target_archE942ELNS1_3gpuE9ELNS1_3repE0EEENS1_30default_config_static_selectorELNS0_4arch9wavefront6targetE1EEEvS12_
		.amdhsa_group_segment_fixed_size 0
		.amdhsa_private_segment_fixed_size 0
		.amdhsa_kernarg_size 184
		.amdhsa_user_sgpr_count 6
		.amdhsa_user_sgpr_private_segment_buffer 1
		.amdhsa_user_sgpr_dispatch_ptr 0
		.amdhsa_user_sgpr_queue_ptr 0
		.amdhsa_user_sgpr_kernarg_segment_ptr 1
		.amdhsa_user_sgpr_dispatch_id 0
		.amdhsa_user_sgpr_flat_scratch_init 0
		.amdhsa_user_sgpr_private_segment_size 0
		.amdhsa_uses_dynamic_stack 0
		.amdhsa_system_sgpr_private_segment_wavefront_offset 0
		.amdhsa_system_sgpr_workgroup_id_x 1
		.amdhsa_system_sgpr_workgroup_id_y 0
		.amdhsa_system_sgpr_workgroup_id_z 0
		.amdhsa_system_sgpr_workgroup_info 0
		.amdhsa_system_vgpr_workitem_id 0
		.amdhsa_next_free_vgpr 1
		.amdhsa_next_free_sgpr 0
		.amdhsa_reserve_vcc 0
		.amdhsa_reserve_flat_scratch 0
		.amdhsa_float_round_mode_32 0
		.amdhsa_float_round_mode_16_64 0
		.amdhsa_float_denorm_mode_32 3
		.amdhsa_float_denorm_mode_16_64 3
		.amdhsa_dx10_clamp 1
		.amdhsa_ieee_mode 1
		.amdhsa_fp16_overflow 0
		.amdhsa_exception_fp_ieee_invalid_op 0
		.amdhsa_exception_fp_denorm_src 0
		.amdhsa_exception_fp_ieee_div_zero 0
		.amdhsa_exception_fp_ieee_overflow 0
		.amdhsa_exception_fp_ieee_underflow 0
		.amdhsa_exception_fp_ieee_inexact 0
		.amdhsa_exception_int_div_zero 0
	.end_amdhsa_kernel
	.section	.text._ZN7rocprim17ROCPRIM_400000_NS6detail17trampoline_kernelINS0_13select_configILj256ELj13ELNS0_17block_load_methodE3ELS4_3ELS4_3ELNS0_20block_scan_algorithmE0ELj4294967295EEENS1_25partition_config_selectorILNS1_17partition_subalgoE4EjNS0_10empty_typeEbEEZZNS1_14partition_implILS8_4ELb0ES6_15HIP_vector_typeIjLj2EENS0_17counting_iteratorIjlEEPS9_SG_NS0_5tupleIJPjSI_NS0_16reverse_iteratorISI_EEEEENSH_IJSG_SG_SG_EEES9_SI_JZNS1_25segmented_radix_sort_implINS0_14default_configELb0EPKhPhPKlPlN2at6native12_GLOBAL__N_18offset_tEEE10hipError_tPvRmT1_PNSt15iterator_traitsIS12_E10value_typeET2_T3_PNS13_IS18_E10value_typeET4_jRbjT5_S1E_jjP12ihipStream_tbEUljE_ZNSN_ISO_Lb0ESQ_SR_ST_SU_SY_EESZ_S10_S11_S12_S16_S17_S18_S1B_S1C_jS1D_jS1E_S1E_jjS1G_bEUljE0_EEESZ_S10_S11_S18_S1C_S1E_T6_T7_T9_mT8_S1G_bDpT10_ENKUlT_T0_E_clISt17integral_constantIbLb1EES1U_EEDaS1P_S1Q_EUlS1P_E_NS1_11comp_targetILNS1_3genE5ELNS1_11target_archE942ELNS1_3gpuE9ELNS1_3repE0EEENS1_30default_config_static_selectorELNS0_4arch9wavefront6targetE1EEEvS12_,"axG",@progbits,_ZN7rocprim17ROCPRIM_400000_NS6detail17trampoline_kernelINS0_13select_configILj256ELj13ELNS0_17block_load_methodE3ELS4_3ELS4_3ELNS0_20block_scan_algorithmE0ELj4294967295EEENS1_25partition_config_selectorILNS1_17partition_subalgoE4EjNS0_10empty_typeEbEEZZNS1_14partition_implILS8_4ELb0ES6_15HIP_vector_typeIjLj2EENS0_17counting_iteratorIjlEEPS9_SG_NS0_5tupleIJPjSI_NS0_16reverse_iteratorISI_EEEEENSH_IJSG_SG_SG_EEES9_SI_JZNS1_25segmented_radix_sort_implINS0_14default_configELb0EPKhPhPKlPlN2at6native12_GLOBAL__N_18offset_tEEE10hipError_tPvRmT1_PNSt15iterator_traitsIS12_E10value_typeET2_T3_PNS13_IS18_E10value_typeET4_jRbjT5_S1E_jjP12ihipStream_tbEUljE_ZNSN_ISO_Lb0ESQ_SR_ST_SU_SY_EESZ_S10_S11_S12_S16_S17_S18_S1B_S1C_jS1D_jS1E_S1E_jjS1G_bEUljE0_EEESZ_S10_S11_S18_S1C_S1E_T6_T7_T9_mT8_S1G_bDpT10_ENKUlT_T0_E_clISt17integral_constantIbLb1EES1U_EEDaS1P_S1Q_EUlS1P_E_NS1_11comp_targetILNS1_3genE5ELNS1_11target_archE942ELNS1_3gpuE9ELNS1_3repE0EEENS1_30default_config_static_selectorELNS0_4arch9wavefront6targetE1EEEvS12_,comdat
.Lfunc_end131:
	.size	_ZN7rocprim17ROCPRIM_400000_NS6detail17trampoline_kernelINS0_13select_configILj256ELj13ELNS0_17block_load_methodE3ELS4_3ELS4_3ELNS0_20block_scan_algorithmE0ELj4294967295EEENS1_25partition_config_selectorILNS1_17partition_subalgoE4EjNS0_10empty_typeEbEEZZNS1_14partition_implILS8_4ELb0ES6_15HIP_vector_typeIjLj2EENS0_17counting_iteratorIjlEEPS9_SG_NS0_5tupleIJPjSI_NS0_16reverse_iteratorISI_EEEEENSH_IJSG_SG_SG_EEES9_SI_JZNS1_25segmented_radix_sort_implINS0_14default_configELb0EPKhPhPKlPlN2at6native12_GLOBAL__N_18offset_tEEE10hipError_tPvRmT1_PNSt15iterator_traitsIS12_E10value_typeET2_T3_PNS13_IS18_E10value_typeET4_jRbjT5_S1E_jjP12ihipStream_tbEUljE_ZNSN_ISO_Lb0ESQ_SR_ST_SU_SY_EESZ_S10_S11_S12_S16_S17_S18_S1B_S1C_jS1D_jS1E_S1E_jjS1G_bEUljE0_EEESZ_S10_S11_S18_S1C_S1E_T6_T7_T9_mT8_S1G_bDpT10_ENKUlT_T0_E_clISt17integral_constantIbLb1EES1U_EEDaS1P_S1Q_EUlS1P_E_NS1_11comp_targetILNS1_3genE5ELNS1_11target_archE942ELNS1_3gpuE9ELNS1_3repE0EEENS1_30default_config_static_selectorELNS0_4arch9wavefront6targetE1EEEvS12_, .Lfunc_end131-_ZN7rocprim17ROCPRIM_400000_NS6detail17trampoline_kernelINS0_13select_configILj256ELj13ELNS0_17block_load_methodE3ELS4_3ELS4_3ELNS0_20block_scan_algorithmE0ELj4294967295EEENS1_25partition_config_selectorILNS1_17partition_subalgoE4EjNS0_10empty_typeEbEEZZNS1_14partition_implILS8_4ELb0ES6_15HIP_vector_typeIjLj2EENS0_17counting_iteratorIjlEEPS9_SG_NS0_5tupleIJPjSI_NS0_16reverse_iteratorISI_EEEEENSH_IJSG_SG_SG_EEES9_SI_JZNS1_25segmented_radix_sort_implINS0_14default_configELb0EPKhPhPKlPlN2at6native12_GLOBAL__N_18offset_tEEE10hipError_tPvRmT1_PNSt15iterator_traitsIS12_E10value_typeET2_T3_PNS13_IS18_E10value_typeET4_jRbjT5_S1E_jjP12ihipStream_tbEUljE_ZNSN_ISO_Lb0ESQ_SR_ST_SU_SY_EESZ_S10_S11_S12_S16_S17_S18_S1B_S1C_jS1D_jS1E_S1E_jjS1G_bEUljE0_EEESZ_S10_S11_S18_S1C_S1E_T6_T7_T9_mT8_S1G_bDpT10_ENKUlT_T0_E_clISt17integral_constantIbLb1EES1U_EEDaS1P_S1Q_EUlS1P_E_NS1_11comp_targetILNS1_3genE5ELNS1_11target_archE942ELNS1_3gpuE9ELNS1_3repE0EEENS1_30default_config_static_selectorELNS0_4arch9wavefront6targetE1EEEvS12_
                                        ; -- End function
	.set _ZN7rocprim17ROCPRIM_400000_NS6detail17trampoline_kernelINS0_13select_configILj256ELj13ELNS0_17block_load_methodE3ELS4_3ELS4_3ELNS0_20block_scan_algorithmE0ELj4294967295EEENS1_25partition_config_selectorILNS1_17partition_subalgoE4EjNS0_10empty_typeEbEEZZNS1_14partition_implILS8_4ELb0ES6_15HIP_vector_typeIjLj2EENS0_17counting_iteratorIjlEEPS9_SG_NS0_5tupleIJPjSI_NS0_16reverse_iteratorISI_EEEEENSH_IJSG_SG_SG_EEES9_SI_JZNS1_25segmented_radix_sort_implINS0_14default_configELb0EPKhPhPKlPlN2at6native12_GLOBAL__N_18offset_tEEE10hipError_tPvRmT1_PNSt15iterator_traitsIS12_E10value_typeET2_T3_PNS13_IS18_E10value_typeET4_jRbjT5_S1E_jjP12ihipStream_tbEUljE_ZNSN_ISO_Lb0ESQ_SR_ST_SU_SY_EESZ_S10_S11_S12_S16_S17_S18_S1B_S1C_jS1D_jS1E_S1E_jjS1G_bEUljE0_EEESZ_S10_S11_S18_S1C_S1E_T6_T7_T9_mT8_S1G_bDpT10_ENKUlT_T0_E_clISt17integral_constantIbLb1EES1U_EEDaS1P_S1Q_EUlS1P_E_NS1_11comp_targetILNS1_3genE5ELNS1_11target_archE942ELNS1_3gpuE9ELNS1_3repE0EEENS1_30default_config_static_selectorELNS0_4arch9wavefront6targetE1EEEvS12_.num_vgpr, 0
	.set _ZN7rocprim17ROCPRIM_400000_NS6detail17trampoline_kernelINS0_13select_configILj256ELj13ELNS0_17block_load_methodE3ELS4_3ELS4_3ELNS0_20block_scan_algorithmE0ELj4294967295EEENS1_25partition_config_selectorILNS1_17partition_subalgoE4EjNS0_10empty_typeEbEEZZNS1_14partition_implILS8_4ELb0ES6_15HIP_vector_typeIjLj2EENS0_17counting_iteratorIjlEEPS9_SG_NS0_5tupleIJPjSI_NS0_16reverse_iteratorISI_EEEEENSH_IJSG_SG_SG_EEES9_SI_JZNS1_25segmented_radix_sort_implINS0_14default_configELb0EPKhPhPKlPlN2at6native12_GLOBAL__N_18offset_tEEE10hipError_tPvRmT1_PNSt15iterator_traitsIS12_E10value_typeET2_T3_PNS13_IS18_E10value_typeET4_jRbjT5_S1E_jjP12ihipStream_tbEUljE_ZNSN_ISO_Lb0ESQ_SR_ST_SU_SY_EESZ_S10_S11_S12_S16_S17_S18_S1B_S1C_jS1D_jS1E_S1E_jjS1G_bEUljE0_EEESZ_S10_S11_S18_S1C_S1E_T6_T7_T9_mT8_S1G_bDpT10_ENKUlT_T0_E_clISt17integral_constantIbLb1EES1U_EEDaS1P_S1Q_EUlS1P_E_NS1_11comp_targetILNS1_3genE5ELNS1_11target_archE942ELNS1_3gpuE9ELNS1_3repE0EEENS1_30default_config_static_selectorELNS0_4arch9wavefront6targetE1EEEvS12_.num_agpr, 0
	.set _ZN7rocprim17ROCPRIM_400000_NS6detail17trampoline_kernelINS0_13select_configILj256ELj13ELNS0_17block_load_methodE3ELS4_3ELS4_3ELNS0_20block_scan_algorithmE0ELj4294967295EEENS1_25partition_config_selectorILNS1_17partition_subalgoE4EjNS0_10empty_typeEbEEZZNS1_14partition_implILS8_4ELb0ES6_15HIP_vector_typeIjLj2EENS0_17counting_iteratorIjlEEPS9_SG_NS0_5tupleIJPjSI_NS0_16reverse_iteratorISI_EEEEENSH_IJSG_SG_SG_EEES9_SI_JZNS1_25segmented_radix_sort_implINS0_14default_configELb0EPKhPhPKlPlN2at6native12_GLOBAL__N_18offset_tEEE10hipError_tPvRmT1_PNSt15iterator_traitsIS12_E10value_typeET2_T3_PNS13_IS18_E10value_typeET4_jRbjT5_S1E_jjP12ihipStream_tbEUljE_ZNSN_ISO_Lb0ESQ_SR_ST_SU_SY_EESZ_S10_S11_S12_S16_S17_S18_S1B_S1C_jS1D_jS1E_S1E_jjS1G_bEUljE0_EEESZ_S10_S11_S18_S1C_S1E_T6_T7_T9_mT8_S1G_bDpT10_ENKUlT_T0_E_clISt17integral_constantIbLb1EES1U_EEDaS1P_S1Q_EUlS1P_E_NS1_11comp_targetILNS1_3genE5ELNS1_11target_archE942ELNS1_3gpuE9ELNS1_3repE0EEENS1_30default_config_static_selectorELNS0_4arch9wavefront6targetE1EEEvS12_.numbered_sgpr, 0
	.set _ZN7rocprim17ROCPRIM_400000_NS6detail17trampoline_kernelINS0_13select_configILj256ELj13ELNS0_17block_load_methodE3ELS4_3ELS4_3ELNS0_20block_scan_algorithmE0ELj4294967295EEENS1_25partition_config_selectorILNS1_17partition_subalgoE4EjNS0_10empty_typeEbEEZZNS1_14partition_implILS8_4ELb0ES6_15HIP_vector_typeIjLj2EENS0_17counting_iteratorIjlEEPS9_SG_NS0_5tupleIJPjSI_NS0_16reverse_iteratorISI_EEEEENSH_IJSG_SG_SG_EEES9_SI_JZNS1_25segmented_radix_sort_implINS0_14default_configELb0EPKhPhPKlPlN2at6native12_GLOBAL__N_18offset_tEEE10hipError_tPvRmT1_PNSt15iterator_traitsIS12_E10value_typeET2_T3_PNS13_IS18_E10value_typeET4_jRbjT5_S1E_jjP12ihipStream_tbEUljE_ZNSN_ISO_Lb0ESQ_SR_ST_SU_SY_EESZ_S10_S11_S12_S16_S17_S18_S1B_S1C_jS1D_jS1E_S1E_jjS1G_bEUljE0_EEESZ_S10_S11_S18_S1C_S1E_T6_T7_T9_mT8_S1G_bDpT10_ENKUlT_T0_E_clISt17integral_constantIbLb1EES1U_EEDaS1P_S1Q_EUlS1P_E_NS1_11comp_targetILNS1_3genE5ELNS1_11target_archE942ELNS1_3gpuE9ELNS1_3repE0EEENS1_30default_config_static_selectorELNS0_4arch9wavefront6targetE1EEEvS12_.num_named_barrier, 0
	.set _ZN7rocprim17ROCPRIM_400000_NS6detail17trampoline_kernelINS0_13select_configILj256ELj13ELNS0_17block_load_methodE3ELS4_3ELS4_3ELNS0_20block_scan_algorithmE0ELj4294967295EEENS1_25partition_config_selectorILNS1_17partition_subalgoE4EjNS0_10empty_typeEbEEZZNS1_14partition_implILS8_4ELb0ES6_15HIP_vector_typeIjLj2EENS0_17counting_iteratorIjlEEPS9_SG_NS0_5tupleIJPjSI_NS0_16reverse_iteratorISI_EEEEENSH_IJSG_SG_SG_EEES9_SI_JZNS1_25segmented_radix_sort_implINS0_14default_configELb0EPKhPhPKlPlN2at6native12_GLOBAL__N_18offset_tEEE10hipError_tPvRmT1_PNSt15iterator_traitsIS12_E10value_typeET2_T3_PNS13_IS18_E10value_typeET4_jRbjT5_S1E_jjP12ihipStream_tbEUljE_ZNSN_ISO_Lb0ESQ_SR_ST_SU_SY_EESZ_S10_S11_S12_S16_S17_S18_S1B_S1C_jS1D_jS1E_S1E_jjS1G_bEUljE0_EEESZ_S10_S11_S18_S1C_S1E_T6_T7_T9_mT8_S1G_bDpT10_ENKUlT_T0_E_clISt17integral_constantIbLb1EES1U_EEDaS1P_S1Q_EUlS1P_E_NS1_11comp_targetILNS1_3genE5ELNS1_11target_archE942ELNS1_3gpuE9ELNS1_3repE0EEENS1_30default_config_static_selectorELNS0_4arch9wavefront6targetE1EEEvS12_.private_seg_size, 0
	.set _ZN7rocprim17ROCPRIM_400000_NS6detail17trampoline_kernelINS0_13select_configILj256ELj13ELNS0_17block_load_methodE3ELS4_3ELS4_3ELNS0_20block_scan_algorithmE0ELj4294967295EEENS1_25partition_config_selectorILNS1_17partition_subalgoE4EjNS0_10empty_typeEbEEZZNS1_14partition_implILS8_4ELb0ES6_15HIP_vector_typeIjLj2EENS0_17counting_iteratorIjlEEPS9_SG_NS0_5tupleIJPjSI_NS0_16reverse_iteratorISI_EEEEENSH_IJSG_SG_SG_EEES9_SI_JZNS1_25segmented_radix_sort_implINS0_14default_configELb0EPKhPhPKlPlN2at6native12_GLOBAL__N_18offset_tEEE10hipError_tPvRmT1_PNSt15iterator_traitsIS12_E10value_typeET2_T3_PNS13_IS18_E10value_typeET4_jRbjT5_S1E_jjP12ihipStream_tbEUljE_ZNSN_ISO_Lb0ESQ_SR_ST_SU_SY_EESZ_S10_S11_S12_S16_S17_S18_S1B_S1C_jS1D_jS1E_S1E_jjS1G_bEUljE0_EEESZ_S10_S11_S18_S1C_S1E_T6_T7_T9_mT8_S1G_bDpT10_ENKUlT_T0_E_clISt17integral_constantIbLb1EES1U_EEDaS1P_S1Q_EUlS1P_E_NS1_11comp_targetILNS1_3genE5ELNS1_11target_archE942ELNS1_3gpuE9ELNS1_3repE0EEENS1_30default_config_static_selectorELNS0_4arch9wavefront6targetE1EEEvS12_.uses_vcc, 0
	.set _ZN7rocprim17ROCPRIM_400000_NS6detail17trampoline_kernelINS0_13select_configILj256ELj13ELNS0_17block_load_methodE3ELS4_3ELS4_3ELNS0_20block_scan_algorithmE0ELj4294967295EEENS1_25partition_config_selectorILNS1_17partition_subalgoE4EjNS0_10empty_typeEbEEZZNS1_14partition_implILS8_4ELb0ES6_15HIP_vector_typeIjLj2EENS0_17counting_iteratorIjlEEPS9_SG_NS0_5tupleIJPjSI_NS0_16reverse_iteratorISI_EEEEENSH_IJSG_SG_SG_EEES9_SI_JZNS1_25segmented_radix_sort_implINS0_14default_configELb0EPKhPhPKlPlN2at6native12_GLOBAL__N_18offset_tEEE10hipError_tPvRmT1_PNSt15iterator_traitsIS12_E10value_typeET2_T3_PNS13_IS18_E10value_typeET4_jRbjT5_S1E_jjP12ihipStream_tbEUljE_ZNSN_ISO_Lb0ESQ_SR_ST_SU_SY_EESZ_S10_S11_S12_S16_S17_S18_S1B_S1C_jS1D_jS1E_S1E_jjS1G_bEUljE0_EEESZ_S10_S11_S18_S1C_S1E_T6_T7_T9_mT8_S1G_bDpT10_ENKUlT_T0_E_clISt17integral_constantIbLb1EES1U_EEDaS1P_S1Q_EUlS1P_E_NS1_11comp_targetILNS1_3genE5ELNS1_11target_archE942ELNS1_3gpuE9ELNS1_3repE0EEENS1_30default_config_static_selectorELNS0_4arch9wavefront6targetE1EEEvS12_.uses_flat_scratch, 0
	.set _ZN7rocprim17ROCPRIM_400000_NS6detail17trampoline_kernelINS0_13select_configILj256ELj13ELNS0_17block_load_methodE3ELS4_3ELS4_3ELNS0_20block_scan_algorithmE0ELj4294967295EEENS1_25partition_config_selectorILNS1_17partition_subalgoE4EjNS0_10empty_typeEbEEZZNS1_14partition_implILS8_4ELb0ES6_15HIP_vector_typeIjLj2EENS0_17counting_iteratorIjlEEPS9_SG_NS0_5tupleIJPjSI_NS0_16reverse_iteratorISI_EEEEENSH_IJSG_SG_SG_EEES9_SI_JZNS1_25segmented_radix_sort_implINS0_14default_configELb0EPKhPhPKlPlN2at6native12_GLOBAL__N_18offset_tEEE10hipError_tPvRmT1_PNSt15iterator_traitsIS12_E10value_typeET2_T3_PNS13_IS18_E10value_typeET4_jRbjT5_S1E_jjP12ihipStream_tbEUljE_ZNSN_ISO_Lb0ESQ_SR_ST_SU_SY_EESZ_S10_S11_S12_S16_S17_S18_S1B_S1C_jS1D_jS1E_S1E_jjS1G_bEUljE0_EEESZ_S10_S11_S18_S1C_S1E_T6_T7_T9_mT8_S1G_bDpT10_ENKUlT_T0_E_clISt17integral_constantIbLb1EES1U_EEDaS1P_S1Q_EUlS1P_E_NS1_11comp_targetILNS1_3genE5ELNS1_11target_archE942ELNS1_3gpuE9ELNS1_3repE0EEENS1_30default_config_static_selectorELNS0_4arch9wavefront6targetE1EEEvS12_.has_dyn_sized_stack, 0
	.set _ZN7rocprim17ROCPRIM_400000_NS6detail17trampoline_kernelINS0_13select_configILj256ELj13ELNS0_17block_load_methodE3ELS4_3ELS4_3ELNS0_20block_scan_algorithmE0ELj4294967295EEENS1_25partition_config_selectorILNS1_17partition_subalgoE4EjNS0_10empty_typeEbEEZZNS1_14partition_implILS8_4ELb0ES6_15HIP_vector_typeIjLj2EENS0_17counting_iteratorIjlEEPS9_SG_NS0_5tupleIJPjSI_NS0_16reverse_iteratorISI_EEEEENSH_IJSG_SG_SG_EEES9_SI_JZNS1_25segmented_radix_sort_implINS0_14default_configELb0EPKhPhPKlPlN2at6native12_GLOBAL__N_18offset_tEEE10hipError_tPvRmT1_PNSt15iterator_traitsIS12_E10value_typeET2_T3_PNS13_IS18_E10value_typeET4_jRbjT5_S1E_jjP12ihipStream_tbEUljE_ZNSN_ISO_Lb0ESQ_SR_ST_SU_SY_EESZ_S10_S11_S12_S16_S17_S18_S1B_S1C_jS1D_jS1E_S1E_jjS1G_bEUljE0_EEESZ_S10_S11_S18_S1C_S1E_T6_T7_T9_mT8_S1G_bDpT10_ENKUlT_T0_E_clISt17integral_constantIbLb1EES1U_EEDaS1P_S1Q_EUlS1P_E_NS1_11comp_targetILNS1_3genE5ELNS1_11target_archE942ELNS1_3gpuE9ELNS1_3repE0EEENS1_30default_config_static_selectorELNS0_4arch9wavefront6targetE1EEEvS12_.has_recursion, 0
	.set _ZN7rocprim17ROCPRIM_400000_NS6detail17trampoline_kernelINS0_13select_configILj256ELj13ELNS0_17block_load_methodE3ELS4_3ELS4_3ELNS0_20block_scan_algorithmE0ELj4294967295EEENS1_25partition_config_selectorILNS1_17partition_subalgoE4EjNS0_10empty_typeEbEEZZNS1_14partition_implILS8_4ELb0ES6_15HIP_vector_typeIjLj2EENS0_17counting_iteratorIjlEEPS9_SG_NS0_5tupleIJPjSI_NS0_16reverse_iteratorISI_EEEEENSH_IJSG_SG_SG_EEES9_SI_JZNS1_25segmented_radix_sort_implINS0_14default_configELb0EPKhPhPKlPlN2at6native12_GLOBAL__N_18offset_tEEE10hipError_tPvRmT1_PNSt15iterator_traitsIS12_E10value_typeET2_T3_PNS13_IS18_E10value_typeET4_jRbjT5_S1E_jjP12ihipStream_tbEUljE_ZNSN_ISO_Lb0ESQ_SR_ST_SU_SY_EESZ_S10_S11_S12_S16_S17_S18_S1B_S1C_jS1D_jS1E_S1E_jjS1G_bEUljE0_EEESZ_S10_S11_S18_S1C_S1E_T6_T7_T9_mT8_S1G_bDpT10_ENKUlT_T0_E_clISt17integral_constantIbLb1EES1U_EEDaS1P_S1Q_EUlS1P_E_NS1_11comp_targetILNS1_3genE5ELNS1_11target_archE942ELNS1_3gpuE9ELNS1_3repE0EEENS1_30default_config_static_selectorELNS0_4arch9wavefront6targetE1EEEvS12_.has_indirect_call, 0
	.section	.AMDGPU.csdata,"",@progbits
; Kernel info:
; codeLenInByte = 0
; TotalNumSgprs: 4
; NumVgprs: 0
; ScratchSize: 0
; MemoryBound: 0
; FloatMode: 240
; IeeeMode: 1
; LDSByteSize: 0 bytes/workgroup (compile time only)
; SGPRBlocks: 0
; VGPRBlocks: 0
; NumSGPRsForWavesPerEU: 4
; NumVGPRsForWavesPerEU: 1
; Occupancy: 10
; WaveLimiterHint : 0
; COMPUTE_PGM_RSRC2:SCRATCH_EN: 0
; COMPUTE_PGM_RSRC2:USER_SGPR: 6
; COMPUTE_PGM_RSRC2:TRAP_HANDLER: 0
; COMPUTE_PGM_RSRC2:TGID_X_EN: 1
; COMPUTE_PGM_RSRC2:TGID_Y_EN: 0
; COMPUTE_PGM_RSRC2:TGID_Z_EN: 0
; COMPUTE_PGM_RSRC2:TIDIG_COMP_CNT: 0
	.section	.text._ZN7rocprim17ROCPRIM_400000_NS6detail17trampoline_kernelINS0_13select_configILj256ELj13ELNS0_17block_load_methodE3ELS4_3ELS4_3ELNS0_20block_scan_algorithmE0ELj4294967295EEENS1_25partition_config_selectorILNS1_17partition_subalgoE4EjNS0_10empty_typeEbEEZZNS1_14partition_implILS8_4ELb0ES6_15HIP_vector_typeIjLj2EENS0_17counting_iteratorIjlEEPS9_SG_NS0_5tupleIJPjSI_NS0_16reverse_iteratorISI_EEEEENSH_IJSG_SG_SG_EEES9_SI_JZNS1_25segmented_radix_sort_implINS0_14default_configELb0EPKhPhPKlPlN2at6native12_GLOBAL__N_18offset_tEEE10hipError_tPvRmT1_PNSt15iterator_traitsIS12_E10value_typeET2_T3_PNS13_IS18_E10value_typeET4_jRbjT5_S1E_jjP12ihipStream_tbEUljE_ZNSN_ISO_Lb0ESQ_SR_ST_SU_SY_EESZ_S10_S11_S12_S16_S17_S18_S1B_S1C_jS1D_jS1E_S1E_jjS1G_bEUljE0_EEESZ_S10_S11_S18_S1C_S1E_T6_T7_T9_mT8_S1G_bDpT10_ENKUlT_T0_E_clISt17integral_constantIbLb1EES1U_EEDaS1P_S1Q_EUlS1P_E_NS1_11comp_targetILNS1_3genE4ELNS1_11target_archE910ELNS1_3gpuE8ELNS1_3repE0EEENS1_30default_config_static_selectorELNS0_4arch9wavefront6targetE1EEEvS12_,"axG",@progbits,_ZN7rocprim17ROCPRIM_400000_NS6detail17trampoline_kernelINS0_13select_configILj256ELj13ELNS0_17block_load_methodE3ELS4_3ELS4_3ELNS0_20block_scan_algorithmE0ELj4294967295EEENS1_25partition_config_selectorILNS1_17partition_subalgoE4EjNS0_10empty_typeEbEEZZNS1_14partition_implILS8_4ELb0ES6_15HIP_vector_typeIjLj2EENS0_17counting_iteratorIjlEEPS9_SG_NS0_5tupleIJPjSI_NS0_16reverse_iteratorISI_EEEEENSH_IJSG_SG_SG_EEES9_SI_JZNS1_25segmented_radix_sort_implINS0_14default_configELb0EPKhPhPKlPlN2at6native12_GLOBAL__N_18offset_tEEE10hipError_tPvRmT1_PNSt15iterator_traitsIS12_E10value_typeET2_T3_PNS13_IS18_E10value_typeET4_jRbjT5_S1E_jjP12ihipStream_tbEUljE_ZNSN_ISO_Lb0ESQ_SR_ST_SU_SY_EESZ_S10_S11_S12_S16_S17_S18_S1B_S1C_jS1D_jS1E_S1E_jjS1G_bEUljE0_EEESZ_S10_S11_S18_S1C_S1E_T6_T7_T9_mT8_S1G_bDpT10_ENKUlT_T0_E_clISt17integral_constantIbLb1EES1U_EEDaS1P_S1Q_EUlS1P_E_NS1_11comp_targetILNS1_3genE4ELNS1_11target_archE910ELNS1_3gpuE8ELNS1_3repE0EEENS1_30default_config_static_selectorELNS0_4arch9wavefront6targetE1EEEvS12_,comdat
	.globl	_ZN7rocprim17ROCPRIM_400000_NS6detail17trampoline_kernelINS0_13select_configILj256ELj13ELNS0_17block_load_methodE3ELS4_3ELS4_3ELNS0_20block_scan_algorithmE0ELj4294967295EEENS1_25partition_config_selectorILNS1_17partition_subalgoE4EjNS0_10empty_typeEbEEZZNS1_14partition_implILS8_4ELb0ES6_15HIP_vector_typeIjLj2EENS0_17counting_iteratorIjlEEPS9_SG_NS0_5tupleIJPjSI_NS0_16reverse_iteratorISI_EEEEENSH_IJSG_SG_SG_EEES9_SI_JZNS1_25segmented_radix_sort_implINS0_14default_configELb0EPKhPhPKlPlN2at6native12_GLOBAL__N_18offset_tEEE10hipError_tPvRmT1_PNSt15iterator_traitsIS12_E10value_typeET2_T3_PNS13_IS18_E10value_typeET4_jRbjT5_S1E_jjP12ihipStream_tbEUljE_ZNSN_ISO_Lb0ESQ_SR_ST_SU_SY_EESZ_S10_S11_S12_S16_S17_S18_S1B_S1C_jS1D_jS1E_S1E_jjS1G_bEUljE0_EEESZ_S10_S11_S18_S1C_S1E_T6_T7_T9_mT8_S1G_bDpT10_ENKUlT_T0_E_clISt17integral_constantIbLb1EES1U_EEDaS1P_S1Q_EUlS1P_E_NS1_11comp_targetILNS1_3genE4ELNS1_11target_archE910ELNS1_3gpuE8ELNS1_3repE0EEENS1_30default_config_static_selectorELNS0_4arch9wavefront6targetE1EEEvS12_ ; -- Begin function _ZN7rocprim17ROCPRIM_400000_NS6detail17trampoline_kernelINS0_13select_configILj256ELj13ELNS0_17block_load_methodE3ELS4_3ELS4_3ELNS0_20block_scan_algorithmE0ELj4294967295EEENS1_25partition_config_selectorILNS1_17partition_subalgoE4EjNS0_10empty_typeEbEEZZNS1_14partition_implILS8_4ELb0ES6_15HIP_vector_typeIjLj2EENS0_17counting_iteratorIjlEEPS9_SG_NS0_5tupleIJPjSI_NS0_16reverse_iteratorISI_EEEEENSH_IJSG_SG_SG_EEES9_SI_JZNS1_25segmented_radix_sort_implINS0_14default_configELb0EPKhPhPKlPlN2at6native12_GLOBAL__N_18offset_tEEE10hipError_tPvRmT1_PNSt15iterator_traitsIS12_E10value_typeET2_T3_PNS13_IS18_E10value_typeET4_jRbjT5_S1E_jjP12ihipStream_tbEUljE_ZNSN_ISO_Lb0ESQ_SR_ST_SU_SY_EESZ_S10_S11_S12_S16_S17_S18_S1B_S1C_jS1D_jS1E_S1E_jjS1G_bEUljE0_EEESZ_S10_S11_S18_S1C_S1E_T6_T7_T9_mT8_S1G_bDpT10_ENKUlT_T0_E_clISt17integral_constantIbLb1EES1U_EEDaS1P_S1Q_EUlS1P_E_NS1_11comp_targetILNS1_3genE4ELNS1_11target_archE910ELNS1_3gpuE8ELNS1_3repE0EEENS1_30default_config_static_selectorELNS0_4arch9wavefront6targetE1EEEvS12_
	.p2align	8
	.type	_ZN7rocprim17ROCPRIM_400000_NS6detail17trampoline_kernelINS0_13select_configILj256ELj13ELNS0_17block_load_methodE3ELS4_3ELS4_3ELNS0_20block_scan_algorithmE0ELj4294967295EEENS1_25partition_config_selectorILNS1_17partition_subalgoE4EjNS0_10empty_typeEbEEZZNS1_14partition_implILS8_4ELb0ES6_15HIP_vector_typeIjLj2EENS0_17counting_iteratorIjlEEPS9_SG_NS0_5tupleIJPjSI_NS0_16reverse_iteratorISI_EEEEENSH_IJSG_SG_SG_EEES9_SI_JZNS1_25segmented_radix_sort_implINS0_14default_configELb0EPKhPhPKlPlN2at6native12_GLOBAL__N_18offset_tEEE10hipError_tPvRmT1_PNSt15iterator_traitsIS12_E10value_typeET2_T3_PNS13_IS18_E10value_typeET4_jRbjT5_S1E_jjP12ihipStream_tbEUljE_ZNSN_ISO_Lb0ESQ_SR_ST_SU_SY_EESZ_S10_S11_S12_S16_S17_S18_S1B_S1C_jS1D_jS1E_S1E_jjS1G_bEUljE0_EEESZ_S10_S11_S18_S1C_S1E_T6_T7_T9_mT8_S1G_bDpT10_ENKUlT_T0_E_clISt17integral_constantIbLb1EES1U_EEDaS1P_S1Q_EUlS1P_E_NS1_11comp_targetILNS1_3genE4ELNS1_11target_archE910ELNS1_3gpuE8ELNS1_3repE0EEENS1_30default_config_static_selectorELNS0_4arch9wavefront6targetE1EEEvS12_,@function
_ZN7rocprim17ROCPRIM_400000_NS6detail17trampoline_kernelINS0_13select_configILj256ELj13ELNS0_17block_load_methodE3ELS4_3ELS4_3ELNS0_20block_scan_algorithmE0ELj4294967295EEENS1_25partition_config_selectorILNS1_17partition_subalgoE4EjNS0_10empty_typeEbEEZZNS1_14partition_implILS8_4ELb0ES6_15HIP_vector_typeIjLj2EENS0_17counting_iteratorIjlEEPS9_SG_NS0_5tupleIJPjSI_NS0_16reverse_iteratorISI_EEEEENSH_IJSG_SG_SG_EEES9_SI_JZNS1_25segmented_radix_sort_implINS0_14default_configELb0EPKhPhPKlPlN2at6native12_GLOBAL__N_18offset_tEEE10hipError_tPvRmT1_PNSt15iterator_traitsIS12_E10value_typeET2_T3_PNS13_IS18_E10value_typeET4_jRbjT5_S1E_jjP12ihipStream_tbEUljE_ZNSN_ISO_Lb0ESQ_SR_ST_SU_SY_EESZ_S10_S11_S12_S16_S17_S18_S1B_S1C_jS1D_jS1E_S1E_jjS1G_bEUljE0_EEESZ_S10_S11_S18_S1C_S1E_T6_T7_T9_mT8_S1G_bDpT10_ENKUlT_T0_E_clISt17integral_constantIbLb1EES1U_EEDaS1P_S1Q_EUlS1P_E_NS1_11comp_targetILNS1_3genE4ELNS1_11target_archE910ELNS1_3gpuE8ELNS1_3repE0EEENS1_30default_config_static_selectorELNS0_4arch9wavefront6targetE1EEEvS12_: ; @_ZN7rocprim17ROCPRIM_400000_NS6detail17trampoline_kernelINS0_13select_configILj256ELj13ELNS0_17block_load_methodE3ELS4_3ELS4_3ELNS0_20block_scan_algorithmE0ELj4294967295EEENS1_25partition_config_selectorILNS1_17partition_subalgoE4EjNS0_10empty_typeEbEEZZNS1_14partition_implILS8_4ELb0ES6_15HIP_vector_typeIjLj2EENS0_17counting_iteratorIjlEEPS9_SG_NS0_5tupleIJPjSI_NS0_16reverse_iteratorISI_EEEEENSH_IJSG_SG_SG_EEES9_SI_JZNS1_25segmented_radix_sort_implINS0_14default_configELb0EPKhPhPKlPlN2at6native12_GLOBAL__N_18offset_tEEE10hipError_tPvRmT1_PNSt15iterator_traitsIS12_E10value_typeET2_T3_PNS13_IS18_E10value_typeET4_jRbjT5_S1E_jjP12ihipStream_tbEUljE_ZNSN_ISO_Lb0ESQ_SR_ST_SU_SY_EESZ_S10_S11_S12_S16_S17_S18_S1B_S1C_jS1D_jS1E_S1E_jjS1G_bEUljE0_EEESZ_S10_S11_S18_S1C_S1E_T6_T7_T9_mT8_S1G_bDpT10_ENKUlT_T0_E_clISt17integral_constantIbLb1EES1U_EEDaS1P_S1Q_EUlS1P_E_NS1_11comp_targetILNS1_3genE4ELNS1_11target_archE910ELNS1_3gpuE8ELNS1_3repE0EEENS1_30default_config_static_selectorELNS0_4arch9wavefront6targetE1EEEvS12_
; %bb.0:
	.section	.rodata,"a",@progbits
	.p2align	6, 0x0
	.amdhsa_kernel _ZN7rocprim17ROCPRIM_400000_NS6detail17trampoline_kernelINS0_13select_configILj256ELj13ELNS0_17block_load_methodE3ELS4_3ELS4_3ELNS0_20block_scan_algorithmE0ELj4294967295EEENS1_25partition_config_selectorILNS1_17partition_subalgoE4EjNS0_10empty_typeEbEEZZNS1_14partition_implILS8_4ELb0ES6_15HIP_vector_typeIjLj2EENS0_17counting_iteratorIjlEEPS9_SG_NS0_5tupleIJPjSI_NS0_16reverse_iteratorISI_EEEEENSH_IJSG_SG_SG_EEES9_SI_JZNS1_25segmented_radix_sort_implINS0_14default_configELb0EPKhPhPKlPlN2at6native12_GLOBAL__N_18offset_tEEE10hipError_tPvRmT1_PNSt15iterator_traitsIS12_E10value_typeET2_T3_PNS13_IS18_E10value_typeET4_jRbjT5_S1E_jjP12ihipStream_tbEUljE_ZNSN_ISO_Lb0ESQ_SR_ST_SU_SY_EESZ_S10_S11_S12_S16_S17_S18_S1B_S1C_jS1D_jS1E_S1E_jjS1G_bEUljE0_EEESZ_S10_S11_S18_S1C_S1E_T6_T7_T9_mT8_S1G_bDpT10_ENKUlT_T0_E_clISt17integral_constantIbLb1EES1U_EEDaS1P_S1Q_EUlS1P_E_NS1_11comp_targetILNS1_3genE4ELNS1_11target_archE910ELNS1_3gpuE8ELNS1_3repE0EEENS1_30default_config_static_selectorELNS0_4arch9wavefront6targetE1EEEvS12_
		.amdhsa_group_segment_fixed_size 0
		.amdhsa_private_segment_fixed_size 0
		.amdhsa_kernarg_size 184
		.amdhsa_user_sgpr_count 6
		.amdhsa_user_sgpr_private_segment_buffer 1
		.amdhsa_user_sgpr_dispatch_ptr 0
		.amdhsa_user_sgpr_queue_ptr 0
		.amdhsa_user_sgpr_kernarg_segment_ptr 1
		.amdhsa_user_sgpr_dispatch_id 0
		.amdhsa_user_sgpr_flat_scratch_init 0
		.amdhsa_user_sgpr_private_segment_size 0
		.amdhsa_uses_dynamic_stack 0
		.amdhsa_system_sgpr_private_segment_wavefront_offset 0
		.amdhsa_system_sgpr_workgroup_id_x 1
		.amdhsa_system_sgpr_workgroup_id_y 0
		.amdhsa_system_sgpr_workgroup_id_z 0
		.amdhsa_system_sgpr_workgroup_info 0
		.amdhsa_system_vgpr_workitem_id 0
		.amdhsa_next_free_vgpr 1
		.amdhsa_next_free_sgpr 0
		.amdhsa_reserve_vcc 0
		.amdhsa_reserve_flat_scratch 0
		.amdhsa_float_round_mode_32 0
		.amdhsa_float_round_mode_16_64 0
		.amdhsa_float_denorm_mode_32 3
		.amdhsa_float_denorm_mode_16_64 3
		.amdhsa_dx10_clamp 1
		.amdhsa_ieee_mode 1
		.amdhsa_fp16_overflow 0
		.amdhsa_exception_fp_ieee_invalid_op 0
		.amdhsa_exception_fp_denorm_src 0
		.amdhsa_exception_fp_ieee_div_zero 0
		.amdhsa_exception_fp_ieee_overflow 0
		.amdhsa_exception_fp_ieee_underflow 0
		.amdhsa_exception_fp_ieee_inexact 0
		.amdhsa_exception_int_div_zero 0
	.end_amdhsa_kernel
	.section	.text._ZN7rocprim17ROCPRIM_400000_NS6detail17trampoline_kernelINS0_13select_configILj256ELj13ELNS0_17block_load_methodE3ELS4_3ELS4_3ELNS0_20block_scan_algorithmE0ELj4294967295EEENS1_25partition_config_selectorILNS1_17partition_subalgoE4EjNS0_10empty_typeEbEEZZNS1_14partition_implILS8_4ELb0ES6_15HIP_vector_typeIjLj2EENS0_17counting_iteratorIjlEEPS9_SG_NS0_5tupleIJPjSI_NS0_16reverse_iteratorISI_EEEEENSH_IJSG_SG_SG_EEES9_SI_JZNS1_25segmented_radix_sort_implINS0_14default_configELb0EPKhPhPKlPlN2at6native12_GLOBAL__N_18offset_tEEE10hipError_tPvRmT1_PNSt15iterator_traitsIS12_E10value_typeET2_T3_PNS13_IS18_E10value_typeET4_jRbjT5_S1E_jjP12ihipStream_tbEUljE_ZNSN_ISO_Lb0ESQ_SR_ST_SU_SY_EESZ_S10_S11_S12_S16_S17_S18_S1B_S1C_jS1D_jS1E_S1E_jjS1G_bEUljE0_EEESZ_S10_S11_S18_S1C_S1E_T6_T7_T9_mT8_S1G_bDpT10_ENKUlT_T0_E_clISt17integral_constantIbLb1EES1U_EEDaS1P_S1Q_EUlS1P_E_NS1_11comp_targetILNS1_3genE4ELNS1_11target_archE910ELNS1_3gpuE8ELNS1_3repE0EEENS1_30default_config_static_selectorELNS0_4arch9wavefront6targetE1EEEvS12_,"axG",@progbits,_ZN7rocprim17ROCPRIM_400000_NS6detail17trampoline_kernelINS0_13select_configILj256ELj13ELNS0_17block_load_methodE3ELS4_3ELS4_3ELNS0_20block_scan_algorithmE0ELj4294967295EEENS1_25partition_config_selectorILNS1_17partition_subalgoE4EjNS0_10empty_typeEbEEZZNS1_14partition_implILS8_4ELb0ES6_15HIP_vector_typeIjLj2EENS0_17counting_iteratorIjlEEPS9_SG_NS0_5tupleIJPjSI_NS0_16reverse_iteratorISI_EEEEENSH_IJSG_SG_SG_EEES9_SI_JZNS1_25segmented_radix_sort_implINS0_14default_configELb0EPKhPhPKlPlN2at6native12_GLOBAL__N_18offset_tEEE10hipError_tPvRmT1_PNSt15iterator_traitsIS12_E10value_typeET2_T3_PNS13_IS18_E10value_typeET4_jRbjT5_S1E_jjP12ihipStream_tbEUljE_ZNSN_ISO_Lb0ESQ_SR_ST_SU_SY_EESZ_S10_S11_S12_S16_S17_S18_S1B_S1C_jS1D_jS1E_S1E_jjS1G_bEUljE0_EEESZ_S10_S11_S18_S1C_S1E_T6_T7_T9_mT8_S1G_bDpT10_ENKUlT_T0_E_clISt17integral_constantIbLb1EES1U_EEDaS1P_S1Q_EUlS1P_E_NS1_11comp_targetILNS1_3genE4ELNS1_11target_archE910ELNS1_3gpuE8ELNS1_3repE0EEENS1_30default_config_static_selectorELNS0_4arch9wavefront6targetE1EEEvS12_,comdat
.Lfunc_end132:
	.size	_ZN7rocprim17ROCPRIM_400000_NS6detail17trampoline_kernelINS0_13select_configILj256ELj13ELNS0_17block_load_methodE3ELS4_3ELS4_3ELNS0_20block_scan_algorithmE0ELj4294967295EEENS1_25partition_config_selectorILNS1_17partition_subalgoE4EjNS0_10empty_typeEbEEZZNS1_14partition_implILS8_4ELb0ES6_15HIP_vector_typeIjLj2EENS0_17counting_iteratorIjlEEPS9_SG_NS0_5tupleIJPjSI_NS0_16reverse_iteratorISI_EEEEENSH_IJSG_SG_SG_EEES9_SI_JZNS1_25segmented_radix_sort_implINS0_14default_configELb0EPKhPhPKlPlN2at6native12_GLOBAL__N_18offset_tEEE10hipError_tPvRmT1_PNSt15iterator_traitsIS12_E10value_typeET2_T3_PNS13_IS18_E10value_typeET4_jRbjT5_S1E_jjP12ihipStream_tbEUljE_ZNSN_ISO_Lb0ESQ_SR_ST_SU_SY_EESZ_S10_S11_S12_S16_S17_S18_S1B_S1C_jS1D_jS1E_S1E_jjS1G_bEUljE0_EEESZ_S10_S11_S18_S1C_S1E_T6_T7_T9_mT8_S1G_bDpT10_ENKUlT_T0_E_clISt17integral_constantIbLb1EES1U_EEDaS1P_S1Q_EUlS1P_E_NS1_11comp_targetILNS1_3genE4ELNS1_11target_archE910ELNS1_3gpuE8ELNS1_3repE0EEENS1_30default_config_static_selectorELNS0_4arch9wavefront6targetE1EEEvS12_, .Lfunc_end132-_ZN7rocprim17ROCPRIM_400000_NS6detail17trampoline_kernelINS0_13select_configILj256ELj13ELNS0_17block_load_methodE3ELS4_3ELS4_3ELNS0_20block_scan_algorithmE0ELj4294967295EEENS1_25partition_config_selectorILNS1_17partition_subalgoE4EjNS0_10empty_typeEbEEZZNS1_14partition_implILS8_4ELb0ES6_15HIP_vector_typeIjLj2EENS0_17counting_iteratorIjlEEPS9_SG_NS0_5tupleIJPjSI_NS0_16reverse_iteratorISI_EEEEENSH_IJSG_SG_SG_EEES9_SI_JZNS1_25segmented_radix_sort_implINS0_14default_configELb0EPKhPhPKlPlN2at6native12_GLOBAL__N_18offset_tEEE10hipError_tPvRmT1_PNSt15iterator_traitsIS12_E10value_typeET2_T3_PNS13_IS18_E10value_typeET4_jRbjT5_S1E_jjP12ihipStream_tbEUljE_ZNSN_ISO_Lb0ESQ_SR_ST_SU_SY_EESZ_S10_S11_S12_S16_S17_S18_S1B_S1C_jS1D_jS1E_S1E_jjS1G_bEUljE0_EEESZ_S10_S11_S18_S1C_S1E_T6_T7_T9_mT8_S1G_bDpT10_ENKUlT_T0_E_clISt17integral_constantIbLb1EES1U_EEDaS1P_S1Q_EUlS1P_E_NS1_11comp_targetILNS1_3genE4ELNS1_11target_archE910ELNS1_3gpuE8ELNS1_3repE0EEENS1_30default_config_static_selectorELNS0_4arch9wavefront6targetE1EEEvS12_
                                        ; -- End function
	.set _ZN7rocprim17ROCPRIM_400000_NS6detail17trampoline_kernelINS0_13select_configILj256ELj13ELNS0_17block_load_methodE3ELS4_3ELS4_3ELNS0_20block_scan_algorithmE0ELj4294967295EEENS1_25partition_config_selectorILNS1_17partition_subalgoE4EjNS0_10empty_typeEbEEZZNS1_14partition_implILS8_4ELb0ES6_15HIP_vector_typeIjLj2EENS0_17counting_iteratorIjlEEPS9_SG_NS0_5tupleIJPjSI_NS0_16reverse_iteratorISI_EEEEENSH_IJSG_SG_SG_EEES9_SI_JZNS1_25segmented_radix_sort_implINS0_14default_configELb0EPKhPhPKlPlN2at6native12_GLOBAL__N_18offset_tEEE10hipError_tPvRmT1_PNSt15iterator_traitsIS12_E10value_typeET2_T3_PNS13_IS18_E10value_typeET4_jRbjT5_S1E_jjP12ihipStream_tbEUljE_ZNSN_ISO_Lb0ESQ_SR_ST_SU_SY_EESZ_S10_S11_S12_S16_S17_S18_S1B_S1C_jS1D_jS1E_S1E_jjS1G_bEUljE0_EEESZ_S10_S11_S18_S1C_S1E_T6_T7_T9_mT8_S1G_bDpT10_ENKUlT_T0_E_clISt17integral_constantIbLb1EES1U_EEDaS1P_S1Q_EUlS1P_E_NS1_11comp_targetILNS1_3genE4ELNS1_11target_archE910ELNS1_3gpuE8ELNS1_3repE0EEENS1_30default_config_static_selectorELNS0_4arch9wavefront6targetE1EEEvS12_.num_vgpr, 0
	.set _ZN7rocprim17ROCPRIM_400000_NS6detail17trampoline_kernelINS0_13select_configILj256ELj13ELNS0_17block_load_methodE3ELS4_3ELS4_3ELNS0_20block_scan_algorithmE0ELj4294967295EEENS1_25partition_config_selectorILNS1_17partition_subalgoE4EjNS0_10empty_typeEbEEZZNS1_14partition_implILS8_4ELb0ES6_15HIP_vector_typeIjLj2EENS0_17counting_iteratorIjlEEPS9_SG_NS0_5tupleIJPjSI_NS0_16reverse_iteratorISI_EEEEENSH_IJSG_SG_SG_EEES9_SI_JZNS1_25segmented_radix_sort_implINS0_14default_configELb0EPKhPhPKlPlN2at6native12_GLOBAL__N_18offset_tEEE10hipError_tPvRmT1_PNSt15iterator_traitsIS12_E10value_typeET2_T3_PNS13_IS18_E10value_typeET4_jRbjT5_S1E_jjP12ihipStream_tbEUljE_ZNSN_ISO_Lb0ESQ_SR_ST_SU_SY_EESZ_S10_S11_S12_S16_S17_S18_S1B_S1C_jS1D_jS1E_S1E_jjS1G_bEUljE0_EEESZ_S10_S11_S18_S1C_S1E_T6_T7_T9_mT8_S1G_bDpT10_ENKUlT_T0_E_clISt17integral_constantIbLb1EES1U_EEDaS1P_S1Q_EUlS1P_E_NS1_11comp_targetILNS1_3genE4ELNS1_11target_archE910ELNS1_3gpuE8ELNS1_3repE0EEENS1_30default_config_static_selectorELNS0_4arch9wavefront6targetE1EEEvS12_.num_agpr, 0
	.set _ZN7rocprim17ROCPRIM_400000_NS6detail17trampoline_kernelINS0_13select_configILj256ELj13ELNS0_17block_load_methodE3ELS4_3ELS4_3ELNS0_20block_scan_algorithmE0ELj4294967295EEENS1_25partition_config_selectorILNS1_17partition_subalgoE4EjNS0_10empty_typeEbEEZZNS1_14partition_implILS8_4ELb0ES6_15HIP_vector_typeIjLj2EENS0_17counting_iteratorIjlEEPS9_SG_NS0_5tupleIJPjSI_NS0_16reverse_iteratorISI_EEEEENSH_IJSG_SG_SG_EEES9_SI_JZNS1_25segmented_radix_sort_implINS0_14default_configELb0EPKhPhPKlPlN2at6native12_GLOBAL__N_18offset_tEEE10hipError_tPvRmT1_PNSt15iterator_traitsIS12_E10value_typeET2_T3_PNS13_IS18_E10value_typeET4_jRbjT5_S1E_jjP12ihipStream_tbEUljE_ZNSN_ISO_Lb0ESQ_SR_ST_SU_SY_EESZ_S10_S11_S12_S16_S17_S18_S1B_S1C_jS1D_jS1E_S1E_jjS1G_bEUljE0_EEESZ_S10_S11_S18_S1C_S1E_T6_T7_T9_mT8_S1G_bDpT10_ENKUlT_T0_E_clISt17integral_constantIbLb1EES1U_EEDaS1P_S1Q_EUlS1P_E_NS1_11comp_targetILNS1_3genE4ELNS1_11target_archE910ELNS1_3gpuE8ELNS1_3repE0EEENS1_30default_config_static_selectorELNS0_4arch9wavefront6targetE1EEEvS12_.numbered_sgpr, 0
	.set _ZN7rocprim17ROCPRIM_400000_NS6detail17trampoline_kernelINS0_13select_configILj256ELj13ELNS0_17block_load_methodE3ELS4_3ELS4_3ELNS0_20block_scan_algorithmE0ELj4294967295EEENS1_25partition_config_selectorILNS1_17partition_subalgoE4EjNS0_10empty_typeEbEEZZNS1_14partition_implILS8_4ELb0ES6_15HIP_vector_typeIjLj2EENS0_17counting_iteratorIjlEEPS9_SG_NS0_5tupleIJPjSI_NS0_16reverse_iteratorISI_EEEEENSH_IJSG_SG_SG_EEES9_SI_JZNS1_25segmented_radix_sort_implINS0_14default_configELb0EPKhPhPKlPlN2at6native12_GLOBAL__N_18offset_tEEE10hipError_tPvRmT1_PNSt15iterator_traitsIS12_E10value_typeET2_T3_PNS13_IS18_E10value_typeET4_jRbjT5_S1E_jjP12ihipStream_tbEUljE_ZNSN_ISO_Lb0ESQ_SR_ST_SU_SY_EESZ_S10_S11_S12_S16_S17_S18_S1B_S1C_jS1D_jS1E_S1E_jjS1G_bEUljE0_EEESZ_S10_S11_S18_S1C_S1E_T6_T7_T9_mT8_S1G_bDpT10_ENKUlT_T0_E_clISt17integral_constantIbLb1EES1U_EEDaS1P_S1Q_EUlS1P_E_NS1_11comp_targetILNS1_3genE4ELNS1_11target_archE910ELNS1_3gpuE8ELNS1_3repE0EEENS1_30default_config_static_selectorELNS0_4arch9wavefront6targetE1EEEvS12_.num_named_barrier, 0
	.set _ZN7rocprim17ROCPRIM_400000_NS6detail17trampoline_kernelINS0_13select_configILj256ELj13ELNS0_17block_load_methodE3ELS4_3ELS4_3ELNS0_20block_scan_algorithmE0ELj4294967295EEENS1_25partition_config_selectorILNS1_17partition_subalgoE4EjNS0_10empty_typeEbEEZZNS1_14partition_implILS8_4ELb0ES6_15HIP_vector_typeIjLj2EENS0_17counting_iteratorIjlEEPS9_SG_NS0_5tupleIJPjSI_NS0_16reverse_iteratorISI_EEEEENSH_IJSG_SG_SG_EEES9_SI_JZNS1_25segmented_radix_sort_implINS0_14default_configELb0EPKhPhPKlPlN2at6native12_GLOBAL__N_18offset_tEEE10hipError_tPvRmT1_PNSt15iterator_traitsIS12_E10value_typeET2_T3_PNS13_IS18_E10value_typeET4_jRbjT5_S1E_jjP12ihipStream_tbEUljE_ZNSN_ISO_Lb0ESQ_SR_ST_SU_SY_EESZ_S10_S11_S12_S16_S17_S18_S1B_S1C_jS1D_jS1E_S1E_jjS1G_bEUljE0_EEESZ_S10_S11_S18_S1C_S1E_T6_T7_T9_mT8_S1G_bDpT10_ENKUlT_T0_E_clISt17integral_constantIbLb1EES1U_EEDaS1P_S1Q_EUlS1P_E_NS1_11comp_targetILNS1_3genE4ELNS1_11target_archE910ELNS1_3gpuE8ELNS1_3repE0EEENS1_30default_config_static_selectorELNS0_4arch9wavefront6targetE1EEEvS12_.private_seg_size, 0
	.set _ZN7rocprim17ROCPRIM_400000_NS6detail17trampoline_kernelINS0_13select_configILj256ELj13ELNS0_17block_load_methodE3ELS4_3ELS4_3ELNS0_20block_scan_algorithmE0ELj4294967295EEENS1_25partition_config_selectorILNS1_17partition_subalgoE4EjNS0_10empty_typeEbEEZZNS1_14partition_implILS8_4ELb0ES6_15HIP_vector_typeIjLj2EENS0_17counting_iteratorIjlEEPS9_SG_NS0_5tupleIJPjSI_NS0_16reverse_iteratorISI_EEEEENSH_IJSG_SG_SG_EEES9_SI_JZNS1_25segmented_radix_sort_implINS0_14default_configELb0EPKhPhPKlPlN2at6native12_GLOBAL__N_18offset_tEEE10hipError_tPvRmT1_PNSt15iterator_traitsIS12_E10value_typeET2_T3_PNS13_IS18_E10value_typeET4_jRbjT5_S1E_jjP12ihipStream_tbEUljE_ZNSN_ISO_Lb0ESQ_SR_ST_SU_SY_EESZ_S10_S11_S12_S16_S17_S18_S1B_S1C_jS1D_jS1E_S1E_jjS1G_bEUljE0_EEESZ_S10_S11_S18_S1C_S1E_T6_T7_T9_mT8_S1G_bDpT10_ENKUlT_T0_E_clISt17integral_constantIbLb1EES1U_EEDaS1P_S1Q_EUlS1P_E_NS1_11comp_targetILNS1_3genE4ELNS1_11target_archE910ELNS1_3gpuE8ELNS1_3repE0EEENS1_30default_config_static_selectorELNS0_4arch9wavefront6targetE1EEEvS12_.uses_vcc, 0
	.set _ZN7rocprim17ROCPRIM_400000_NS6detail17trampoline_kernelINS0_13select_configILj256ELj13ELNS0_17block_load_methodE3ELS4_3ELS4_3ELNS0_20block_scan_algorithmE0ELj4294967295EEENS1_25partition_config_selectorILNS1_17partition_subalgoE4EjNS0_10empty_typeEbEEZZNS1_14partition_implILS8_4ELb0ES6_15HIP_vector_typeIjLj2EENS0_17counting_iteratorIjlEEPS9_SG_NS0_5tupleIJPjSI_NS0_16reverse_iteratorISI_EEEEENSH_IJSG_SG_SG_EEES9_SI_JZNS1_25segmented_radix_sort_implINS0_14default_configELb0EPKhPhPKlPlN2at6native12_GLOBAL__N_18offset_tEEE10hipError_tPvRmT1_PNSt15iterator_traitsIS12_E10value_typeET2_T3_PNS13_IS18_E10value_typeET4_jRbjT5_S1E_jjP12ihipStream_tbEUljE_ZNSN_ISO_Lb0ESQ_SR_ST_SU_SY_EESZ_S10_S11_S12_S16_S17_S18_S1B_S1C_jS1D_jS1E_S1E_jjS1G_bEUljE0_EEESZ_S10_S11_S18_S1C_S1E_T6_T7_T9_mT8_S1G_bDpT10_ENKUlT_T0_E_clISt17integral_constantIbLb1EES1U_EEDaS1P_S1Q_EUlS1P_E_NS1_11comp_targetILNS1_3genE4ELNS1_11target_archE910ELNS1_3gpuE8ELNS1_3repE0EEENS1_30default_config_static_selectorELNS0_4arch9wavefront6targetE1EEEvS12_.uses_flat_scratch, 0
	.set _ZN7rocprim17ROCPRIM_400000_NS6detail17trampoline_kernelINS0_13select_configILj256ELj13ELNS0_17block_load_methodE3ELS4_3ELS4_3ELNS0_20block_scan_algorithmE0ELj4294967295EEENS1_25partition_config_selectorILNS1_17partition_subalgoE4EjNS0_10empty_typeEbEEZZNS1_14partition_implILS8_4ELb0ES6_15HIP_vector_typeIjLj2EENS0_17counting_iteratorIjlEEPS9_SG_NS0_5tupleIJPjSI_NS0_16reverse_iteratorISI_EEEEENSH_IJSG_SG_SG_EEES9_SI_JZNS1_25segmented_radix_sort_implINS0_14default_configELb0EPKhPhPKlPlN2at6native12_GLOBAL__N_18offset_tEEE10hipError_tPvRmT1_PNSt15iterator_traitsIS12_E10value_typeET2_T3_PNS13_IS18_E10value_typeET4_jRbjT5_S1E_jjP12ihipStream_tbEUljE_ZNSN_ISO_Lb0ESQ_SR_ST_SU_SY_EESZ_S10_S11_S12_S16_S17_S18_S1B_S1C_jS1D_jS1E_S1E_jjS1G_bEUljE0_EEESZ_S10_S11_S18_S1C_S1E_T6_T7_T9_mT8_S1G_bDpT10_ENKUlT_T0_E_clISt17integral_constantIbLb1EES1U_EEDaS1P_S1Q_EUlS1P_E_NS1_11comp_targetILNS1_3genE4ELNS1_11target_archE910ELNS1_3gpuE8ELNS1_3repE0EEENS1_30default_config_static_selectorELNS0_4arch9wavefront6targetE1EEEvS12_.has_dyn_sized_stack, 0
	.set _ZN7rocprim17ROCPRIM_400000_NS6detail17trampoline_kernelINS0_13select_configILj256ELj13ELNS0_17block_load_methodE3ELS4_3ELS4_3ELNS0_20block_scan_algorithmE0ELj4294967295EEENS1_25partition_config_selectorILNS1_17partition_subalgoE4EjNS0_10empty_typeEbEEZZNS1_14partition_implILS8_4ELb0ES6_15HIP_vector_typeIjLj2EENS0_17counting_iteratorIjlEEPS9_SG_NS0_5tupleIJPjSI_NS0_16reverse_iteratorISI_EEEEENSH_IJSG_SG_SG_EEES9_SI_JZNS1_25segmented_radix_sort_implINS0_14default_configELb0EPKhPhPKlPlN2at6native12_GLOBAL__N_18offset_tEEE10hipError_tPvRmT1_PNSt15iterator_traitsIS12_E10value_typeET2_T3_PNS13_IS18_E10value_typeET4_jRbjT5_S1E_jjP12ihipStream_tbEUljE_ZNSN_ISO_Lb0ESQ_SR_ST_SU_SY_EESZ_S10_S11_S12_S16_S17_S18_S1B_S1C_jS1D_jS1E_S1E_jjS1G_bEUljE0_EEESZ_S10_S11_S18_S1C_S1E_T6_T7_T9_mT8_S1G_bDpT10_ENKUlT_T0_E_clISt17integral_constantIbLb1EES1U_EEDaS1P_S1Q_EUlS1P_E_NS1_11comp_targetILNS1_3genE4ELNS1_11target_archE910ELNS1_3gpuE8ELNS1_3repE0EEENS1_30default_config_static_selectorELNS0_4arch9wavefront6targetE1EEEvS12_.has_recursion, 0
	.set _ZN7rocprim17ROCPRIM_400000_NS6detail17trampoline_kernelINS0_13select_configILj256ELj13ELNS0_17block_load_methodE3ELS4_3ELS4_3ELNS0_20block_scan_algorithmE0ELj4294967295EEENS1_25partition_config_selectorILNS1_17partition_subalgoE4EjNS0_10empty_typeEbEEZZNS1_14partition_implILS8_4ELb0ES6_15HIP_vector_typeIjLj2EENS0_17counting_iteratorIjlEEPS9_SG_NS0_5tupleIJPjSI_NS0_16reverse_iteratorISI_EEEEENSH_IJSG_SG_SG_EEES9_SI_JZNS1_25segmented_radix_sort_implINS0_14default_configELb0EPKhPhPKlPlN2at6native12_GLOBAL__N_18offset_tEEE10hipError_tPvRmT1_PNSt15iterator_traitsIS12_E10value_typeET2_T3_PNS13_IS18_E10value_typeET4_jRbjT5_S1E_jjP12ihipStream_tbEUljE_ZNSN_ISO_Lb0ESQ_SR_ST_SU_SY_EESZ_S10_S11_S12_S16_S17_S18_S1B_S1C_jS1D_jS1E_S1E_jjS1G_bEUljE0_EEESZ_S10_S11_S18_S1C_S1E_T6_T7_T9_mT8_S1G_bDpT10_ENKUlT_T0_E_clISt17integral_constantIbLb1EES1U_EEDaS1P_S1Q_EUlS1P_E_NS1_11comp_targetILNS1_3genE4ELNS1_11target_archE910ELNS1_3gpuE8ELNS1_3repE0EEENS1_30default_config_static_selectorELNS0_4arch9wavefront6targetE1EEEvS12_.has_indirect_call, 0
	.section	.AMDGPU.csdata,"",@progbits
; Kernel info:
; codeLenInByte = 0
; TotalNumSgprs: 4
; NumVgprs: 0
; ScratchSize: 0
; MemoryBound: 0
; FloatMode: 240
; IeeeMode: 1
; LDSByteSize: 0 bytes/workgroup (compile time only)
; SGPRBlocks: 0
; VGPRBlocks: 0
; NumSGPRsForWavesPerEU: 4
; NumVGPRsForWavesPerEU: 1
; Occupancy: 10
; WaveLimiterHint : 0
; COMPUTE_PGM_RSRC2:SCRATCH_EN: 0
; COMPUTE_PGM_RSRC2:USER_SGPR: 6
; COMPUTE_PGM_RSRC2:TRAP_HANDLER: 0
; COMPUTE_PGM_RSRC2:TGID_X_EN: 1
; COMPUTE_PGM_RSRC2:TGID_Y_EN: 0
; COMPUTE_PGM_RSRC2:TGID_Z_EN: 0
; COMPUTE_PGM_RSRC2:TIDIG_COMP_CNT: 0
	.section	.text._ZN7rocprim17ROCPRIM_400000_NS6detail17trampoline_kernelINS0_13select_configILj256ELj13ELNS0_17block_load_methodE3ELS4_3ELS4_3ELNS0_20block_scan_algorithmE0ELj4294967295EEENS1_25partition_config_selectorILNS1_17partition_subalgoE4EjNS0_10empty_typeEbEEZZNS1_14partition_implILS8_4ELb0ES6_15HIP_vector_typeIjLj2EENS0_17counting_iteratorIjlEEPS9_SG_NS0_5tupleIJPjSI_NS0_16reverse_iteratorISI_EEEEENSH_IJSG_SG_SG_EEES9_SI_JZNS1_25segmented_radix_sort_implINS0_14default_configELb0EPKhPhPKlPlN2at6native12_GLOBAL__N_18offset_tEEE10hipError_tPvRmT1_PNSt15iterator_traitsIS12_E10value_typeET2_T3_PNS13_IS18_E10value_typeET4_jRbjT5_S1E_jjP12ihipStream_tbEUljE_ZNSN_ISO_Lb0ESQ_SR_ST_SU_SY_EESZ_S10_S11_S12_S16_S17_S18_S1B_S1C_jS1D_jS1E_S1E_jjS1G_bEUljE0_EEESZ_S10_S11_S18_S1C_S1E_T6_T7_T9_mT8_S1G_bDpT10_ENKUlT_T0_E_clISt17integral_constantIbLb1EES1U_EEDaS1P_S1Q_EUlS1P_E_NS1_11comp_targetILNS1_3genE3ELNS1_11target_archE908ELNS1_3gpuE7ELNS1_3repE0EEENS1_30default_config_static_selectorELNS0_4arch9wavefront6targetE1EEEvS12_,"axG",@progbits,_ZN7rocprim17ROCPRIM_400000_NS6detail17trampoline_kernelINS0_13select_configILj256ELj13ELNS0_17block_load_methodE3ELS4_3ELS4_3ELNS0_20block_scan_algorithmE0ELj4294967295EEENS1_25partition_config_selectorILNS1_17partition_subalgoE4EjNS0_10empty_typeEbEEZZNS1_14partition_implILS8_4ELb0ES6_15HIP_vector_typeIjLj2EENS0_17counting_iteratorIjlEEPS9_SG_NS0_5tupleIJPjSI_NS0_16reverse_iteratorISI_EEEEENSH_IJSG_SG_SG_EEES9_SI_JZNS1_25segmented_radix_sort_implINS0_14default_configELb0EPKhPhPKlPlN2at6native12_GLOBAL__N_18offset_tEEE10hipError_tPvRmT1_PNSt15iterator_traitsIS12_E10value_typeET2_T3_PNS13_IS18_E10value_typeET4_jRbjT5_S1E_jjP12ihipStream_tbEUljE_ZNSN_ISO_Lb0ESQ_SR_ST_SU_SY_EESZ_S10_S11_S12_S16_S17_S18_S1B_S1C_jS1D_jS1E_S1E_jjS1G_bEUljE0_EEESZ_S10_S11_S18_S1C_S1E_T6_T7_T9_mT8_S1G_bDpT10_ENKUlT_T0_E_clISt17integral_constantIbLb1EES1U_EEDaS1P_S1Q_EUlS1P_E_NS1_11comp_targetILNS1_3genE3ELNS1_11target_archE908ELNS1_3gpuE7ELNS1_3repE0EEENS1_30default_config_static_selectorELNS0_4arch9wavefront6targetE1EEEvS12_,comdat
	.globl	_ZN7rocprim17ROCPRIM_400000_NS6detail17trampoline_kernelINS0_13select_configILj256ELj13ELNS0_17block_load_methodE3ELS4_3ELS4_3ELNS0_20block_scan_algorithmE0ELj4294967295EEENS1_25partition_config_selectorILNS1_17partition_subalgoE4EjNS0_10empty_typeEbEEZZNS1_14partition_implILS8_4ELb0ES6_15HIP_vector_typeIjLj2EENS0_17counting_iteratorIjlEEPS9_SG_NS0_5tupleIJPjSI_NS0_16reverse_iteratorISI_EEEEENSH_IJSG_SG_SG_EEES9_SI_JZNS1_25segmented_radix_sort_implINS0_14default_configELb0EPKhPhPKlPlN2at6native12_GLOBAL__N_18offset_tEEE10hipError_tPvRmT1_PNSt15iterator_traitsIS12_E10value_typeET2_T3_PNS13_IS18_E10value_typeET4_jRbjT5_S1E_jjP12ihipStream_tbEUljE_ZNSN_ISO_Lb0ESQ_SR_ST_SU_SY_EESZ_S10_S11_S12_S16_S17_S18_S1B_S1C_jS1D_jS1E_S1E_jjS1G_bEUljE0_EEESZ_S10_S11_S18_S1C_S1E_T6_T7_T9_mT8_S1G_bDpT10_ENKUlT_T0_E_clISt17integral_constantIbLb1EES1U_EEDaS1P_S1Q_EUlS1P_E_NS1_11comp_targetILNS1_3genE3ELNS1_11target_archE908ELNS1_3gpuE7ELNS1_3repE0EEENS1_30default_config_static_selectorELNS0_4arch9wavefront6targetE1EEEvS12_ ; -- Begin function _ZN7rocprim17ROCPRIM_400000_NS6detail17trampoline_kernelINS0_13select_configILj256ELj13ELNS0_17block_load_methodE3ELS4_3ELS4_3ELNS0_20block_scan_algorithmE0ELj4294967295EEENS1_25partition_config_selectorILNS1_17partition_subalgoE4EjNS0_10empty_typeEbEEZZNS1_14partition_implILS8_4ELb0ES6_15HIP_vector_typeIjLj2EENS0_17counting_iteratorIjlEEPS9_SG_NS0_5tupleIJPjSI_NS0_16reverse_iteratorISI_EEEEENSH_IJSG_SG_SG_EEES9_SI_JZNS1_25segmented_radix_sort_implINS0_14default_configELb0EPKhPhPKlPlN2at6native12_GLOBAL__N_18offset_tEEE10hipError_tPvRmT1_PNSt15iterator_traitsIS12_E10value_typeET2_T3_PNS13_IS18_E10value_typeET4_jRbjT5_S1E_jjP12ihipStream_tbEUljE_ZNSN_ISO_Lb0ESQ_SR_ST_SU_SY_EESZ_S10_S11_S12_S16_S17_S18_S1B_S1C_jS1D_jS1E_S1E_jjS1G_bEUljE0_EEESZ_S10_S11_S18_S1C_S1E_T6_T7_T9_mT8_S1G_bDpT10_ENKUlT_T0_E_clISt17integral_constantIbLb1EES1U_EEDaS1P_S1Q_EUlS1P_E_NS1_11comp_targetILNS1_3genE3ELNS1_11target_archE908ELNS1_3gpuE7ELNS1_3repE0EEENS1_30default_config_static_selectorELNS0_4arch9wavefront6targetE1EEEvS12_
	.p2align	8
	.type	_ZN7rocprim17ROCPRIM_400000_NS6detail17trampoline_kernelINS0_13select_configILj256ELj13ELNS0_17block_load_methodE3ELS4_3ELS4_3ELNS0_20block_scan_algorithmE0ELj4294967295EEENS1_25partition_config_selectorILNS1_17partition_subalgoE4EjNS0_10empty_typeEbEEZZNS1_14partition_implILS8_4ELb0ES6_15HIP_vector_typeIjLj2EENS0_17counting_iteratorIjlEEPS9_SG_NS0_5tupleIJPjSI_NS0_16reverse_iteratorISI_EEEEENSH_IJSG_SG_SG_EEES9_SI_JZNS1_25segmented_radix_sort_implINS0_14default_configELb0EPKhPhPKlPlN2at6native12_GLOBAL__N_18offset_tEEE10hipError_tPvRmT1_PNSt15iterator_traitsIS12_E10value_typeET2_T3_PNS13_IS18_E10value_typeET4_jRbjT5_S1E_jjP12ihipStream_tbEUljE_ZNSN_ISO_Lb0ESQ_SR_ST_SU_SY_EESZ_S10_S11_S12_S16_S17_S18_S1B_S1C_jS1D_jS1E_S1E_jjS1G_bEUljE0_EEESZ_S10_S11_S18_S1C_S1E_T6_T7_T9_mT8_S1G_bDpT10_ENKUlT_T0_E_clISt17integral_constantIbLb1EES1U_EEDaS1P_S1Q_EUlS1P_E_NS1_11comp_targetILNS1_3genE3ELNS1_11target_archE908ELNS1_3gpuE7ELNS1_3repE0EEENS1_30default_config_static_selectorELNS0_4arch9wavefront6targetE1EEEvS12_,@function
_ZN7rocprim17ROCPRIM_400000_NS6detail17trampoline_kernelINS0_13select_configILj256ELj13ELNS0_17block_load_methodE3ELS4_3ELS4_3ELNS0_20block_scan_algorithmE0ELj4294967295EEENS1_25partition_config_selectorILNS1_17partition_subalgoE4EjNS0_10empty_typeEbEEZZNS1_14partition_implILS8_4ELb0ES6_15HIP_vector_typeIjLj2EENS0_17counting_iteratorIjlEEPS9_SG_NS0_5tupleIJPjSI_NS0_16reverse_iteratorISI_EEEEENSH_IJSG_SG_SG_EEES9_SI_JZNS1_25segmented_radix_sort_implINS0_14default_configELb0EPKhPhPKlPlN2at6native12_GLOBAL__N_18offset_tEEE10hipError_tPvRmT1_PNSt15iterator_traitsIS12_E10value_typeET2_T3_PNS13_IS18_E10value_typeET4_jRbjT5_S1E_jjP12ihipStream_tbEUljE_ZNSN_ISO_Lb0ESQ_SR_ST_SU_SY_EESZ_S10_S11_S12_S16_S17_S18_S1B_S1C_jS1D_jS1E_S1E_jjS1G_bEUljE0_EEESZ_S10_S11_S18_S1C_S1E_T6_T7_T9_mT8_S1G_bDpT10_ENKUlT_T0_E_clISt17integral_constantIbLb1EES1U_EEDaS1P_S1Q_EUlS1P_E_NS1_11comp_targetILNS1_3genE3ELNS1_11target_archE908ELNS1_3gpuE7ELNS1_3repE0EEENS1_30default_config_static_selectorELNS0_4arch9wavefront6targetE1EEEvS12_: ; @_ZN7rocprim17ROCPRIM_400000_NS6detail17trampoline_kernelINS0_13select_configILj256ELj13ELNS0_17block_load_methodE3ELS4_3ELS4_3ELNS0_20block_scan_algorithmE0ELj4294967295EEENS1_25partition_config_selectorILNS1_17partition_subalgoE4EjNS0_10empty_typeEbEEZZNS1_14partition_implILS8_4ELb0ES6_15HIP_vector_typeIjLj2EENS0_17counting_iteratorIjlEEPS9_SG_NS0_5tupleIJPjSI_NS0_16reverse_iteratorISI_EEEEENSH_IJSG_SG_SG_EEES9_SI_JZNS1_25segmented_radix_sort_implINS0_14default_configELb0EPKhPhPKlPlN2at6native12_GLOBAL__N_18offset_tEEE10hipError_tPvRmT1_PNSt15iterator_traitsIS12_E10value_typeET2_T3_PNS13_IS18_E10value_typeET4_jRbjT5_S1E_jjP12ihipStream_tbEUljE_ZNSN_ISO_Lb0ESQ_SR_ST_SU_SY_EESZ_S10_S11_S12_S16_S17_S18_S1B_S1C_jS1D_jS1E_S1E_jjS1G_bEUljE0_EEESZ_S10_S11_S18_S1C_S1E_T6_T7_T9_mT8_S1G_bDpT10_ENKUlT_T0_E_clISt17integral_constantIbLb1EES1U_EEDaS1P_S1Q_EUlS1P_E_NS1_11comp_targetILNS1_3genE3ELNS1_11target_archE908ELNS1_3gpuE7ELNS1_3repE0EEENS1_30default_config_static_selectorELNS0_4arch9wavefront6targetE1EEEvS12_
; %bb.0:
	.section	.rodata,"a",@progbits
	.p2align	6, 0x0
	.amdhsa_kernel _ZN7rocprim17ROCPRIM_400000_NS6detail17trampoline_kernelINS0_13select_configILj256ELj13ELNS0_17block_load_methodE3ELS4_3ELS4_3ELNS0_20block_scan_algorithmE0ELj4294967295EEENS1_25partition_config_selectorILNS1_17partition_subalgoE4EjNS0_10empty_typeEbEEZZNS1_14partition_implILS8_4ELb0ES6_15HIP_vector_typeIjLj2EENS0_17counting_iteratorIjlEEPS9_SG_NS0_5tupleIJPjSI_NS0_16reverse_iteratorISI_EEEEENSH_IJSG_SG_SG_EEES9_SI_JZNS1_25segmented_radix_sort_implINS0_14default_configELb0EPKhPhPKlPlN2at6native12_GLOBAL__N_18offset_tEEE10hipError_tPvRmT1_PNSt15iterator_traitsIS12_E10value_typeET2_T3_PNS13_IS18_E10value_typeET4_jRbjT5_S1E_jjP12ihipStream_tbEUljE_ZNSN_ISO_Lb0ESQ_SR_ST_SU_SY_EESZ_S10_S11_S12_S16_S17_S18_S1B_S1C_jS1D_jS1E_S1E_jjS1G_bEUljE0_EEESZ_S10_S11_S18_S1C_S1E_T6_T7_T9_mT8_S1G_bDpT10_ENKUlT_T0_E_clISt17integral_constantIbLb1EES1U_EEDaS1P_S1Q_EUlS1P_E_NS1_11comp_targetILNS1_3genE3ELNS1_11target_archE908ELNS1_3gpuE7ELNS1_3repE0EEENS1_30default_config_static_selectorELNS0_4arch9wavefront6targetE1EEEvS12_
		.amdhsa_group_segment_fixed_size 0
		.amdhsa_private_segment_fixed_size 0
		.amdhsa_kernarg_size 184
		.amdhsa_user_sgpr_count 6
		.amdhsa_user_sgpr_private_segment_buffer 1
		.amdhsa_user_sgpr_dispatch_ptr 0
		.amdhsa_user_sgpr_queue_ptr 0
		.amdhsa_user_sgpr_kernarg_segment_ptr 1
		.amdhsa_user_sgpr_dispatch_id 0
		.amdhsa_user_sgpr_flat_scratch_init 0
		.amdhsa_user_sgpr_private_segment_size 0
		.amdhsa_uses_dynamic_stack 0
		.amdhsa_system_sgpr_private_segment_wavefront_offset 0
		.amdhsa_system_sgpr_workgroup_id_x 1
		.amdhsa_system_sgpr_workgroup_id_y 0
		.amdhsa_system_sgpr_workgroup_id_z 0
		.amdhsa_system_sgpr_workgroup_info 0
		.amdhsa_system_vgpr_workitem_id 0
		.amdhsa_next_free_vgpr 1
		.amdhsa_next_free_sgpr 0
		.amdhsa_reserve_vcc 0
		.amdhsa_reserve_flat_scratch 0
		.amdhsa_float_round_mode_32 0
		.amdhsa_float_round_mode_16_64 0
		.amdhsa_float_denorm_mode_32 3
		.amdhsa_float_denorm_mode_16_64 3
		.amdhsa_dx10_clamp 1
		.amdhsa_ieee_mode 1
		.amdhsa_fp16_overflow 0
		.amdhsa_exception_fp_ieee_invalid_op 0
		.amdhsa_exception_fp_denorm_src 0
		.amdhsa_exception_fp_ieee_div_zero 0
		.amdhsa_exception_fp_ieee_overflow 0
		.amdhsa_exception_fp_ieee_underflow 0
		.amdhsa_exception_fp_ieee_inexact 0
		.amdhsa_exception_int_div_zero 0
	.end_amdhsa_kernel
	.section	.text._ZN7rocprim17ROCPRIM_400000_NS6detail17trampoline_kernelINS0_13select_configILj256ELj13ELNS0_17block_load_methodE3ELS4_3ELS4_3ELNS0_20block_scan_algorithmE0ELj4294967295EEENS1_25partition_config_selectorILNS1_17partition_subalgoE4EjNS0_10empty_typeEbEEZZNS1_14partition_implILS8_4ELb0ES6_15HIP_vector_typeIjLj2EENS0_17counting_iteratorIjlEEPS9_SG_NS0_5tupleIJPjSI_NS0_16reverse_iteratorISI_EEEEENSH_IJSG_SG_SG_EEES9_SI_JZNS1_25segmented_radix_sort_implINS0_14default_configELb0EPKhPhPKlPlN2at6native12_GLOBAL__N_18offset_tEEE10hipError_tPvRmT1_PNSt15iterator_traitsIS12_E10value_typeET2_T3_PNS13_IS18_E10value_typeET4_jRbjT5_S1E_jjP12ihipStream_tbEUljE_ZNSN_ISO_Lb0ESQ_SR_ST_SU_SY_EESZ_S10_S11_S12_S16_S17_S18_S1B_S1C_jS1D_jS1E_S1E_jjS1G_bEUljE0_EEESZ_S10_S11_S18_S1C_S1E_T6_T7_T9_mT8_S1G_bDpT10_ENKUlT_T0_E_clISt17integral_constantIbLb1EES1U_EEDaS1P_S1Q_EUlS1P_E_NS1_11comp_targetILNS1_3genE3ELNS1_11target_archE908ELNS1_3gpuE7ELNS1_3repE0EEENS1_30default_config_static_selectorELNS0_4arch9wavefront6targetE1EEEvS12_,"axG",@progbits,_ZN7rocprim17ROCPRIM_400000_NS6detail17trampoline_kernelINS0_13select_configILj256ELj13ELNS0_17block_load_methodE3ELS4_3ELS4_3ELNS0_20block_scan_algorithmE0ELj4294967295EEENS1_25partition_config_selectorILNS1_17partition_subalgoE4EjNS0_10empty_typeEbEEZZNS1_14partition_implILS8_4ELb0ES6_15HIP_vector_typeIjLj2EENS0_17counting_iteratorIjlEEPS9_SG_NS0_5tupleIJPjSI_NS0_16reverse_iteratorISI_EEEEENSH_IJSG_SG_SG_EEES9_SI_JZNS1_25segmented_radix_sort_implINS0_14default_configELb0EPKhPhPKlPlN2at6native12_GLOBAL__N_18offset_tEEE10hipError_tPvRmT1_PNSt15iterator_traitsIS12_E10value_typeET2_T3_PNS13_IS18_E10value_typeET4_jRbjT5_S1E_jjP12ihipStream_tbEUljE_ZNSN_ISO_Lb0ESQ_SR_ST_SU_SY_EESZ_S10_S11_S12_S16_S17_S18_S1B_S1C_jS1D_jS1E_S1E_jjS1G_bEUljE0_EEESZ_S10_S11_S18_S1C_S1E_T6_T7_T9_mT8_S1G_bDpT10_ENKUlT_T0_E_clISt17integral_constantIbLb1EES1U_EEDaS1P_S1Q_EUlS1P_E_NS1_11comp_targetILNS1_3genE3ELNS1_11target_archE908ELNS1_3gpuE7ELNS1_3repE0EEENS1_30default_config_static_selectorELNS0_4arch9wavefront6targetE1EEEvS12_,comdat
.Lfunc_end133:
	.size	_ZN7rocprim17ROCPRIM_400000_NS6detail17trampoline_kernelINS0_13select_configILj256ELj13ELNS0_17block_load_methodE3ELS4_3ELS4_3ELNS0_20block_scan_algorithmE0ELj4294967295EEENS1_25partition_config_selectorILNS1_17partition_subalgoE4EjNS0_10empty_typeEbEEZZNS1_14partition_implILS8_4ELb0ES6_15HIP_vector_typeIjLj2EENS0_17counting_iteratorIjlEEPS9_SG_NS0_5tupleIJPjSI_NS0_16reverse_iteratorISI_EEEEENSH_IJSG_SG_SG_EEES9_SI_JZNS1_25segmented_radix_sort_implINS0_14default_configELb0EPKhPhPKlPlN2at6native12_GLOBAL__N_18offset_tEEE10hipError_tPvRmT1_PNSt15iterator_traitsIS12_E10value_typeET2_T3_PNS13_IS18_E10value_typeET4_jRbjT5_S1E_jjP12ihipStream_tbEUljE_ZNSN_ISO_Lb0ESQ_SR_ST_SU_SY_EESZ_S10_S11_S12_S16_S17_S18_S1B_S1C_jS1D_jS1E_S1E_jjS1G_bEUljE0_EEESZ_S10_S11_S18_S1C_S1E_T6_T7_T9_mT8_S1G_bDpT10_ENKUlT_T0_E_clISt17integral_constantIbLb1EES1U_EEDaS1P_S1Q_EUlS1P_E_NS1_11comp_targetILNS1_3genE3ELNS1_11target_archE908ELNS1_3gpuE7ELNS1_3repE0EEENS1_30default_config_static_selectorELNS0_4arch9wavefront6targetE1EEEvS12_, .Lfunc_end133-_ZN7rocprim17ROCPRIM_400000_NS6detail17trampoline_kernelINS0_13select_configILj256ELj13ELNS0_17block_load_methodE3ELS4_3ELS4_3ELNS0_20block_scan_algorithmE0ELj4294967295EEENS1_25partition_config_selectorILNS1_17partition_subalgoE4EjNS0_10empty_typeEbEEZZNS1_14partition_implILS8_4ELb0ES6_15HIP_vector_typeIjLj2EENS0_17counting_iteratorIjlEEPS9_SG_NS0_5tupleIJPjSI_NS0_16reverse_iteratorISI_EEEEENSH_IJSG_SG_SG_EEES9_SI_JZNS1_25segmented_radix_sort_implINS0_14default_configELb0EPKhPhPKlPlN2at6native12_GLOBAL__N_18offset_tEEE10hipError_tPvRmT1_PNSt15iterator_traitsIS12_E10value_typeET2_T3_PNS13_IS18_E10value_typeET4_jRbjT5_S1E_jjP12ihipStream_tbEUljE_ZNSN_ISO_Lb0ESQ_SR_ST_SU_SY_EESZ_S10_S11_S12_S16_S17_S18_S1B_S1C_jS1D_jS1E_S1E_jjS1G_bEUljE0_EEESZ_S10_S11_S18_S1C_S1E_T6_T7_T9_mT8_S1G_bDpT10_ENKUlT_T0_E_clISt17integral_constantIbLb1EES1U_EEDaS1P_S1Q_EUlS1P_E_NS1_11comp_targetILNS1_3genE3ELNS1_11target_archE908ELNS1_3gpuE7ELNS1_3repE0EEENS1_30default_config_static_selectorELNS0_4arch9wavefront6targetE1EEEvS12_
                                        ; -- End function
	.set _ZN7rocprim17ROCPRIM_400000_NS6detail17trampoline_kernelINS0_13select_configILj256ELj13ELNS0_17block_load_methodE3ELS4_3ELS4_3ELNS0_20block_scan_algorithmE0ELj4294967295EEENS1_25partition_config_selectorILNS1_17partition_subalgoE4EjNS0_10empty_typeEbEEZZNS1_14partition_implILS8_4ELb0ES6_15HIP_vector_typeIjLj2EENS0_17counting_iteratorIjlEEPS9_SG_NS0_5tupleIJPjSI_NS0_16reverse_iteratorISI_EEEEENSH_IJSG_SG_SG_EEES9_SI_JZNS1_25segmented_radix_sort_implINS0_14default_configELb0EPKhPhPKlPlN2at6native12_GLOBAL__N_18offset_tEEE10hipError_tPvRmT1_PNSt15iterator_traitsIS12_E10value_typeET2_T3_PNS13_IS18_E10value_typeET4_jRbjT5_S1E_jjP12ihipStream_tbEUljE_ZNSN_ISO_Lb0ESQ_SR_ST_SU_SY_EESZ_S10_S11_S12_S16_S17_S18_S1B_S1C_jS1D_jS1E_S1E_jjS1G_bEUljE0_EEESZ_S10_S11_S18_S1C_S1E_T6_T7_T9_mT8_S1G_bDpT10_ENKUlT_T0_E_clISt17integral_constantIbLb1EES1U_EEDaS1P_S1Q_EUlS1P_E_NS1_11comp_targetILNS1_3genE3ELNS1_11target_archE908ELNS1_3gpuE7ELNS1_3repE0EEENS1_30default_config_static_selectorELNS0_4arch9wavefront6targetE1EEEvS12_.num_vgpr, 0
	.set _ZN7rocprim17ROCPRIM_400000_NS6detail17trampoline_kernelINS0_13select_configILj256ELj13ELNS0_17block_load_methodE3ELS4_3ELS4_3ELNS0_20block_scan_algorithmE0ELj4294967295EEENS1_25partition_config_selectorILNS1_17partition_subalgoE4EjNS0_10empty_typeEbEEZZNS1_14partition_implILS8_4ELb0ES6_15HIP_vector_typeIjLj2EENS0_17counting_iteratorIjlEEPS9_SG_NS0_5tupleIJPjSI_NS0_16reverse_iteratorISI_EEEEENSH_IJSG_SG_SG_EEES9_SI_JZNS1_25segmented_radix_sort_implINS0_14default_configELb0EPKhPhPKlPlN2at6native12_GLOBAL__N_18offset_tEEE10hipError_tPvRmT1_PNSt15iterator_traitsIS12_E10value_typeET2_T3_PNS13_IS18_E10value_typeET4_jRbjT5_S1E_jjP12ihipStream_tbEUljE_ZNSN_ISO_Lb0ESQ_SR_ST_SU_SY_EESZ_S10_S11_S12_S16_S17_S18_S1B_S1C_jS1D_jS1E_S1E_jjS1G_bEUljE0_EEESZ_S10_S11_S18_S1C_S1E_T6_T7_T9_mT8_S1G_bDpT10_ENKUlT_T0_E_clISt17integral_constantIbLb1EES1U_EEDaS1P_S1Q_EUlS1P_E_NS1_11comp_targetILNS1_3genE3ELNS1_11target_archE908ELNS1_3gpuE7ELNS1_3repE0EEENS1_30default_config_static_selectorELNS0_4arch9wavefront6targetE1EEEvS12_.num_agpr, 0
	.set _ZN7rocprim17ROCPRIM_400000_NS6detail17trampoline_kernelINS0_13select_configILj256ELj13ELNS0_17block_load_methodE3ELS4_3ELS4_3ELNS0_20block_scan_algorithmE0ELj4294967295EEENS1_25partition_config_selectorILNS1_17partition_subalgoE4EjNS0_10empty_typeEbEEZZNS1_14partition_implILS8_4ELb0ES6_15HIP_vector_typeIjLj2EENS0_17counting_iteratorIjlEEPS9_SG_NS0_5tupleIJPjSI_NS0_16reverse_iteratorISI_EEEEENSH_IJSG_SG_SG_EEES9_SI_JZNS1_25segmented_radix_sort_implINS0_14default_configELb0EPKhPhPKlPlN2at6native12_GLOBAL__N_18offset_tEEE10hipError_tPvRmT1_PNSt15iterator_traitsIS12_E10value_typeET2_T3_PNS13_IS18_E10value_typeET4_jRbjT5_S1E_jjP12ihipStream_tbEUljE_ZNSN_ISO_Lb0ESQ_SR_ST_SU_SY_EESZ_S10_S11_S12_S16_S17_S18_S1B_S1C_jS1D_jS1E_S1E_jjS1G_bEUljE0_EEESZ_S10_S11_S18_S1C_S1E_T6_T7_T9_mT8_S1G_bDpT10_ENKUlT_T0_E_clISt17integral_constantIbLb1EES1U_EEDaS1P_S1Q_EUlS1P_E_NS1_11comp_targetILNS1_3genE3ELNS1_11target_archE908ELNS1_3gpuE7ELNS1_3repE0EEENS1_30default_config_static_selectorELNS0_4arch9wavefront6targetE1EEEvS12_.numbered_sgpr, 0
	.set _ZN7rocprim17ROCPRIM_400000_NS6detail17trampoline_kernelINS0_13select_configILj256ELj13ELNS0_17block_load_methodE3ELS4_3ELS4_3ELNS0_20block_scan_algorithmE0ELj4294967295EEENS1_25partition_config_selectorILNS1_17partition_subalgoE4EjNS0_10empty_typeEbEEZZNS1_14partition_implILS8_4ELb0ES6_15HIP_vector_typeIjLj2EENS0_17counting_iteratorIjlEEPS9_SG_NS0_5tupleIJPjSI_NS0_16reverse_iteratorISI_EEEEENSH_IJSG_SG_SG_EEES9_SI_JZNS1_25segmented_radix_sort_implINS0_14default_configELb0EPKhPhPKlPlN2at6native12_GLOBAL__N_18offset_tEEE10hipError_tPvRmT1_PNSt15iterator_traitsIS12_E10value_typeET2_T3_PNS13_IS18_E10value_typeET4_jRbjT5_S1E_jjP12ihipStream_tbEUljE_ZNSN_ISO_Lb0ESQ_SR_ST_SU_SY_EESZ_S10_S11_S12_S16_S17_S18_S1B_S1C_jS1D_jS1E_S1E_jjS1G_bEUljE0_EEESZ_S10_S11_S18_S1C_S1E_T6_T7_T9_mT8_S1G_bDpT10_ENKUlT_T0_E_clISt17integral_constantIbLb1EES1U_EEDaS1P_S1Q_EUlS1P_E_NS1_11comp_targetILNS1_3genE3ELNS1_11target_archE908ELNS1_3gpuE7ELNS1_3repE0EEENS1_30default_config_static_selectorELNS0_4arch9wavefront6targetE1EEEvS12_.num_named_barrier, 0
	.set _ZN7rocprim17ROCPRIM_400000_NS6detail17trampoline_kernelINS0_13select_configILj256ELj13ELNS0_17block_load_methodE3ELS4_3ELS4_3ELNS0_20block_scan_algorithmE0ELj4294967295EEENS1_25partition_config_selectorILNS1_17partition_subalgoE4EjNS0_10empty_typeEbEEZZNS1_14partition_implILS8_4ELb0ES6_15HIP_vector_typeIjLj2EENS0_17counting_iteratorIjlEEPS9_SG_NS0_5tupleIJPjSI_NS0_16reverse_iteratorISI_EEEEENSH_IJSG_SG_SG_EEES9_SI_JZNS1_25segmented_radix_sort_implINS0_14default_configELb0EPKhPhPKlPlN2at6native12_GLOBAL__N_18offset_tEEE10hipError_tPvRmT1_PNSt15iterator_traitsIS12_E10value_typeET2_T3_PNS13_IS18_E10value_typeET4_jRbjT5_S1E_jjP12ihipStream_tbEUljE_ZNSN_ISO_Lb0ESQ_SR_ST_SU_SY_EESZ_S10_S11_S12_S16_S17_S18_S1B_S1C_jS1D_jS1E_S1E_jjS1G_bEUljE0_EEESZ_S10_S11_S18_S1C_S1E_T6_T7_T9_mT8_S1G_bDpT10_ENKUlT_T0_E_clISt17integral_constantIbLb1EES1U_EEDaS1P_S1Q_EUlS1P_E_NS1_11comp_targetILNS1_3genE3ELNS1_11target_archE908ELNS1_3gpuE7ELNS1_3repE0EEENS1_30default_config_static_selectorELNS0_4arch9wavefront6targetE1EEEvS12_.private_seg_size, 0
	.set _ZN7rocprim17ROCPRIM_400000_NS6detail17trampoline_kernelINS0_13select_configILj256ELj13ELNS0_17block_load_methodE3ELS4_3ELS4_3ELNS0_20block_scan_algorithmE0ELj4294967295EEENS1_25partition_config_selectorILNS1_17partition_subalgoE4EjNS0_10empty_typeEbEEZZNS1_14partition_implILS8_4ELb0ES6_15HIP_vector_typeIjLj2EENS0_17counting_iteratorIjlEEPS9_SG_NS0_5tupleIJPjSI_NS0_16reverse_iteratorISI_EEEEENSH_IJSG_SG_SG_EEES9_SI_JZNS1_25segmented_radix_sort_implINS0_14default_configELb0EPKhPhPKlPlN2at6native12_GLOBAL__N_18offset_tEEE10hipError_tPvRmT1_PNSt15iterator_traitsIS12_E10value_typeET2_T3_PNS13_IS18_E10value_typeET4_jRbjT5_S1E_jjP12ihipStream_tbEUljE_ZNSN_ISO_Lb0ESQ_SR_ST_SU_SY_EESZ_S10_S11_S12_S16_S17_S18_S1B_S1C_jS1D_jS1E_S1E_jjS1G_bEUljE0_EEESZ_S10_S11_S18_S1C_S1E_T6_T7_T9_mT8_S1G_bDpT10_ENKUlT_T0_E_clISt17integral_constantIbLb1EES1U_EEDaS1P_S1Q_EUlS1P_E_NS1_11comp_targetILNS1_3genE3ELNS1_11target_archE908ELNS1_3gpuE7ELNS1_3repE0EEENS1_30default_config_static_selectorELNS0_4arch9wavefront6targetE1EEEvS12_.uses_vcc, 0
	.set _ZN7rocprim17ROCPRIM_400000_NS6detail17trampoline_kernelINS0_13select_configILj256ELj13ELNS0_17block_load_methodE3ELS4_3ELS4_3ELNS0_20block_scan_algorithmE0ELj4294967295EEENS1_25partition_config_selectorILNS1_17partition_subalgoE4EjNS0_10empty_typeEbEEZZNS1_14partition_implILS8_4ELb0ES6_15HIP_vector_typeIjLj2EENS0_17counting_iteratorIjlEEPS9_SG_NS0_5tupleIJPjSI_NS0_16reverse_iteratorISI_EEEEENSH_IJSG_SG_SG_EEES9_SI_JZNS1_25segmented_radix_sort_implINS0_14default_configELb0EPKhPhPKlPlN2at6native12_GLOBAL__N_18offset_tEEE10hipError_tPvRmT1_PNSt15iterator_traitsIS12_E10value_typeET2_T3_PNS13_IS18_E10value_typeET4_jRbjT5_S1E_jjP12ihipStream_tbEUljE_ZNSN_ISO_Lb0ESQ_SR_ST_SU_SY_EESZ_S10_S11_S12_S16_S17_S18_S1B_S1C_jS1D_jS1E_S1E_jjS1G_bEUljE0_EEESZ_S10_S11_S18_S1C_S1E_T6_T7_T9_mT8_S1G_bDpT10_ENKUlT_T0_E_clISt17integral_constantIbLb1EES1U_EEDaS1P_S1Q_EUlS1P_E_NS1_11comp_targetILNS1_3genE3ELNS1_11target_archE908ELNS1_3gpuE7ELNS1_3repE0EEENS1_30default_config_static_selectorELNS0_4arch9wavefront6targetE1EEEvS12_.uses_flat_scratch, 0
	.set _ZN7rocprim17ROCPRIM_400000_NS6detail17trampoline_kernelINS0_13select_configILj256ELj13ELNS0_17block_load_methodE3ELS4_3ELS4_3ELNS0_20block_scan_algorithmE0ELj4294967295EEENS1_25partition_config_selectorILNS1_17partition_subalgoE4EjNS0_10empty_typeEbEEZZNS1_14partition_implILS8_4ELb0ES6_15HIP_vector_typeIjLj2EENS0_17counting_iteratorIjlEEPS9_SG_NS0_5tupleIJPjSI_NS0_16reverse_iteratorISI_EEEEENSH_IJSG_SG_SG_EEES9_SI_JZNS1_25segmented_radix_sort_implINS0_14default_configELb0EPKhPhPKlPlN2at6native12_GLOBAL__N_18offset_tEEE10hipError_tPvRmT1_PNSt15iterator_traitsIS12_E10value_typeET2_T3_PNS13_IS18_E10value_typeET4_jRbjT5_S1E_jjP12ihipStream_tbEUljE_ZNSN_ISO_Lb0ESQ_SR_ST_SU_SY_EESZ_S10_S11_S12_S16_S17_S18_S1B_S1C_jS1D_jS1E_S1E_jjS1G_bEUljE0_EEESZ_S10_S11_S18_S1C_S1E_T6_T7_T9_mT8_S1G_bDpT10_ENKUlT_T0_E_clISt17integral_constantIbLb1EES1U_EEDaS1P_S1Q_EUlS1P_E_NS1_11comp_targetILNS1_3genE3ELNS1_11target_archE908ELNS1_3gpuE7ELNS1_3repE0EEENS1_30default_config_static_selectorELNS0_4arch9wavefront6targetE1EEEvS12_.has_dyn_sized_stack, 0
	.set _ZN7rocprim17ROCPRIM_400000_NS6detail17trampoline_kernelINS0_13select_configILj256ELj13ELNS0_17block_load_methodE3ELS4_3ELS4_3ELNS0_20block_scan_algorithmE0ELj4294967295EEENS1_25partition_config_selectorILNS1_17partition_subalgoE4EjNS0_10empty_typeEbEEZZNS1_14partition_implILS8_4ELb0ES6_15HIP_vector_typeIjLj2EENS0_17counting_iteratorIjlEEPS9_SG_NS0_5tupleIJPjSI_NS0_16reverse_iteratorISI_EEEEENSH_IJSG_SG_SG_EEES9_SI_JZNS1_25segmented_radix_sort_implINS0_14default_configELb0EPKhPhPKlPlN2at6native12_GLOBAL__N_18offset_tEEE10hipError_tPvRmT1_PNSt15iterator_traitsIS12_E10value_typeET2_T3_PNS13_IS18_E10value_typeET4_jRbjT5_S1E_jjP12ihipStream_tbEUljE_ZNSN_ISO_Lb0ESQ_SR_ST_SU_SY_EESZ_S10_S11_S12_S16_S17_S18_S1B_S1C_jS1D_jS1E_S1E_jjS1G_bEUljE0_EEESZ_S10_S11_S18_S1C_S1E_T6_T7_T9_mT8_S1G_bDpT10_ENKUlT_T0_E_clISt17integral_constantIbLb1EES1U_EEDaS1P_S1Q_EUlS1P_E_NS1_11comp_targetILNS1_3genE3ELNS1_11target_archE908ELNS1_3gpuE7ELNS1_3repE0EEENS1_30default_config_static_selectorELNS0_4arch9wavefront6targetE1EEEvS12_.has_recursion, 0
	.set _ZN7rocprim17ROCPRIM_400000_NS6detail17trampoline_kernelINS0_13select_configILj256ELj13ELNS0_17block_load_methodE3ELS4_3ELS4_3ELNS0_20block_scan_algorithmE0ELj4294967295EEENS1_25partition_config_selectorILNS1_17partition_subalgoE4EjNS0_10empty_typeEbEEZZNS1_14partition_implILS8_4ELb0ES6_15HIP_vector_typeIjLj2EENS0_17counting_iteratorIjlEEPS9_SG_NS0_5tupleIJPjSI_NS0_16reverse_iteratorISI_EEEEENSH_IJSG_SG_SG_EEES9_SI_JZNS1_25segmented_radix_sort_implINS0_14default_configELb0EPKhPhPKlPlN2at6native12_GLOBAL__N_18offset_tEEE10hipError_tPvRmT1_PNSt15iterator_traitsIS12_E10value_typeET2_T3_PNS13_IS18_E10value_typeET4_jRbjT5_S1E_jjP12ihipStream_tbEUljE_ZNSN_ISO_Lb0ESQ_SR_ST_SU_SY_EESZ_S10_S11_S12_S16_S17_S18_S1B_S1C_jS1D_jS1E_S1E_jjS1G_bEUljE0_EEESZ_S10_S11_S18_S1C_S1E_T6_T7_T9_mT8_S1G_bDpT10_ENKUlT_T0_E_clISt17integral_constantIbLb1EES1U_EEDaS1P_S1Q_EUlS1P_E_NS1_11comp_targetILNS1_3genE3ELNS1_11target_archE908ELNS1_3gpuE7ELNS1_3repE0EEENS1_30default_config_static_selectorELNS0_4arch9wavefront6targetE1EEEvS12_.has_indirect_call, 0
	.section	.AMDGPU.csdata,"",@progbits
; Kernel info:
; codeLenInByte = 0
; TotalNumSgprs: 4
; NumVgprs: 0
; ScratchSize: 0
; MemoryBound: 0
; FloatMode: 240
; IeeeMode: 1
; LDSByteSize: 0 bytes/workgroup (compile time only)
; SGPRBlocks: 0
; VGPRBlocks: 0
; NumSGPRsForWavesPerEU: 4
; NumVGPRsForWavesPerEU: 1
; Occupancy: 10
; WaveLimiterHint : 0
; COMPUTE_PGM_RSRC2:SCRATCH_EN: 0
; COMPUTE_PGM_RSRC2:USER_SGPR: 6
; COMPUTE_PGM_RSRC2:TRAP_HANDLER: 0
; COMPUTE_PGM_RSRC2:TGID_X_EN: 1
; COMPUTE_PGM_RSRC2:TGID_Y_EN: 0
; COMPUTE_PGM_RSRC2:TGID_Z_EN: 0
; COMPUTE_PGM_RSRC2:TIDIG_COMP_CNT: 0
	.section	.text._ZN7rocprim17ROCPRIM_400000_NS6detail17trampoline_kernelINS0_13select_configILj256ELj13ELNS0_17block_load_methodE3ELS4_3ELS4_3ELNS0_20block_scan_algorithmE0ELj4294967295EEENS1_25partition_config_selectorILNS1_17partition_subalgoE4EjNS0_10empty_typeEbEEZZNS1_14partition_implILS8_4ELb0ES6_15HIP_vector_typeIjLj2EENS0_17counting_iteratorIjlEEPS9_SG_NS0_5tupleIJPjSI_NS0_16reverse_iteratorISI_EEEEENSH_IJSG_SG_SG_EEES9_SI_JZNS1_25segmented_radix_sort_implINS0_14default_configELb0EPKhPhPKlPlN2at6native12_GLOBAL__N_18offset_tEEE10hipError_tPvRmT1_PNSt15iterator_traitsIS12_E10value_typeET2_T3_PNS13_IS18_E10value_typeET4_jRbjT5_S1E_jjP12ihipStream_tbEUljE_ZNSN_ISO_Lb0ESQ_SR_ST_SU_SY_EESZ_S10_S11_S12_S16_S17_S18_S1B_S1C_jS1D_jS1E_S1E_jjS1G_bEUljE0_EEESZ_S10_S11_S18_S1C_S1E_T6_T7_T9_mT8_S1G_bDpT10_ENKUlT_T0_E_clISt17integral_constantIbLb1EES1U_EEDaS1P_S1Q_EUlS1P_E_NS1_11comp_targetILNS1_3genE2ELNS1_11target_archE906ELNS1_3gpuE6ELNS1_3repE0EEENS1_30default_config_static_selectorELNS0_4arch9wavefront6targetE1EEEvS12_,"axG",@progbits,_ZN7rocprim17ROCPRIM_400000_NS6detail17trampoline_kernelINS0_13select_configILj256ELj13ELNS0_17block_load_methodE3ELS4_3ELS4_3ELNS0_20block_scan_algorithmE0ELj4294967295EEENS1_25partition_config_selectorILNS1_17partition_subalgoE4EjNS0_10empty_typeEbEEZZNS1_14partition_implILS8_4ELb0ES6_15HIP_vector_typeIjLj2EENS0_17counting_iteratorIjlEEPS9_SG_NS0_5tupleIJPjSI_NS0_16reverse_iteratorISI_EEEEENSH_IJSG_SG_SG_EEES9_SI_JZNS1_25segmented_radix_sort_implINS0_14default_configELb0EPKhPhPKlPlN2at6native12_GLOBAL__N_18offset_tEEE10hipError_tPvRmT1_PNSt15iterator_traitsIS12_E10value_typeET2_T3_PNS13_IS18_E10value_typeET4_jRbjT5_S1E_jjP12ihipStream_tbEUljE_ZNSN_ISO_Lb0ESQ_SR_ST_SU_SY_EESZ_S10_S11_S12_S16_S17_S18_S1B_S1C_jS1D_jS1E_S1E_jjS1G_bEUljE0_EEESZ_S10_S11_S18_S1C_S1E_T6_T7_T9_mT8_S1G_bDpT10_ENKUlT_T0_E_clISt17integral_constantIbLb1EES1U_EEDaS1P_S1Q_EUlS1P_E_NS1_11comp_targetILNS1_3genE2ELNS1_11target_archE906ELNS1_3gpuE6ELNS1_3repE0EEENS1_30default_config_static_selectorELNS0_4arch9wavefront6targetE1EEEvS12_,comdat
	.globl	_ZN7rocprim17ROCPRIM_400000_NS6detail17trampoline_kernelINS0_13select_configILj256ELj13ELNS0_17block_load_methodE3ELS4_3ELS4_3ELNS0_20block_scan_algorithmE0ELj4294967295EEENS1_25partition_config_selectorILNS1_17partition_subalgoE4EjNS0_10empty_typeEbEEZZNS1_14partition_implILS8_4ELb0ES6_15HIP_vector_typeIjLj2EENS0_17counting_iteratorIjlEEPS9_SG_NS0_5tupleIJPjSI_NS0_16reverse_iteratorISI_EEEEENSH_IJSG_SG_SG_EEES9_SI_JZNS1_25segmented_radix_sort_implINS0_14default_configELb0EPKhPhPKlPlN2at6native12_GLOBAL__N_18offset_tEEE10hipError_tPvRmT1_PNSt15iterator_traitsIS12_E10value_typeET2_T3_PNS13_IS18_E10value_typeET4_jRbjT5_S1E_jjP12ihipStream_tbEUljE_ZNSN_ISO_Lb0ESQ_SR_ST_SU_SY_EESZ_S10_S11_S12_S16_S17_S18_S1B_S1C_jS1D_jS1E_S1E_jjS1G_bEUljE0_EEESZ_S10_S11_S18_S1C_S1E_T6_T7_T9_mT8_S1G_bDpT10_ENKUlT_T0_E_clISt17integral_constantIbLb1EES1U_EEDaS1P_S1Q_EUlS1P_E_NS1_11comp_targetILNS1_3genE2ELNS1_11target_archE906ELNS1_3gpuE6ELNS1_3repE0EEENS1_30default_config_static_selectorELNS0_4arch9wavefront6targetE1EEEvS12_ ; -- Begin function _ZN7rocprim17ROCPRIM_400000_NS6detail17trampoline_kernelINS0_13select_configILj256ELj13ELNS0_17block_load_methodE3ELS4_3ELS4_3ELNS0_20block_scan_algorithmE0ELj4294967295EEENS1_25partition_config_selectorILNS1_17partition_subalgoE4EjNS0_10empty_typeEbEEZZNS1_14partition_implILS8_4ELb0ES6_15HIP_vector_typeIjLj2EENS0_17counting_iteratorIjlEEPS9_SG_NS0_5tupleIJPjSI_NS0_16reverse_iteratorISI_EEEEENSH_IJSG_SG_SG_EEES9_SI_JZNS1_25segmented_radix_sort_implINS0_14default_configELb0EPKhPhPKlPlN2at6native12_GLOBAL__N_18offset_tEEE10hipError_tPvRmT1_PNSt15iterator_traitsIS12_E10value_typeET2_T3_PNS13_IS18_E10value_typeET4_jRbjT5_S1E_jjP12ihipStream_tbEUljE_ZNSN_ISO_Lb0ESQ_SR_ST_SU_SY_EESZ_S10_S11_S12_S16_S17_S18_S1B_S1C_jS1D_jS1E_S1E_jjS1G_bEUljE0_EEESZ_S10_S11_S18_S1C_S1E_T6_T7_T9_mT8_S1G_bDpT10_ENKUlT_T0_E_clISt17integral_constantIbLb1EES1U_EEDaS1P_S1Q_EUlS1P_E_NS1_11comp_targetILNS1_3genE2ELNS1_11target_archE906ELNS1_3gpuE6ELNS1_3repE0EEENS1_30default_config_static_selectorELNS0_4arch9wavefront6targetE1EEEvS12_
	.p2align	8
	.type	_ZN7rocprim17ROCPRIM_400000_NS6detail17trampoline_kernelINS0_13select_configILj256ELj13ELNS0_17block_load_methodE3ELS4_3ELS4_3ELNS0_20block_scan_algorithmE0ELj4294967295EEENS1_25partition_config_selectorILNS1_17partition_subalgoE4EjNS0_10empty_typeEbEEZZNS1_14partition_implILS8_4ELb0ES6_15HIP_vector_typeIjLj2EENS0_17counting_iteratorIjlEEPS9_SG_NS0_5tupleIJPjSI_NS0_16reverse_iteratorISI_EEEEENSH_IJSG_SG_SG_EEES9_SI_JZNS1_25segmented_radix_sort_implINS0_14default_configELb0EPKhPhPKlPlN2at6native12_GLOBAL__N_18offset_tEEE10hipError_tPvRmT1_PNSt15iterator_traitsIS12_E10value_typeET2_T3_PNS13_IS18_E10value_typeET4_jRbjT5_S1E_jjP12ihipStream_tbEUljE_ZNSN_ISO_Lb0ESQ_SR_ST_SU_SY_EESZ_S10_S11_S12_S16_S17_S18_S1B_S1C_jS1D_jS1E_S1E_jjS1G_bEUljE0_EEESZ_S10_S11_S18_S1C_S1E_T6_T7_T9_mT8_S1G_bDpT10_ENKUlT_T0_E_clISt17integral_constantIbLb1EES1U_EEDaS1P_S1Q_EUlS1P_E_NS1_11comp_targetILNS1_3genE2ELNS1_11target_archE906ELNS1_3gpuE6ELNS1_3repE0EEENS1_30default_config_static_selectorELNS0_4arch9wavefront6targetE1EEEvS12_,@function
_ZN7rocprim17ROCPRIM_400000_NS6detail17trampoline_kernelINS0_13select_configILj256ELj13ELNS0_17block_load_methodE3ELS4_3ELS4_3ELNS0_20block_scan_algorithmE0ELj4294967295EEENS1_25partition_config_selectorILNS1_17partition_subalgoE4EjNS0_10empty_typeEbEEZZNS1_14partition_implILS8_4ELb0ES6_15HIP_vector_typeIjLj2EENS0_17counting_iteratorIjlEEPS9_SG_NS0_5tupleIJPjSI_NS0_16reverse_iteratorISI_EEEEENSH_IJSG_SG_SG_EEES9_SI_JZNS1_25segmented_radix_sort_implINS0_14default_configELb0EPKhPhPKlPlN2at6native12_GLOBAL__N_18offset_tEEE10hipError_tPvRmT1_PNSt15iterator_traitsIS12_E10value_typeET2_T3_PNS13_IS18_E10value_typeET4_jRbjT5_S1E_jjP12ihipStream_tbEUljE_ZNSN_ISO_Lb0ESQ_SR_ST_SU_SY_EESZ_S10_S11_S12_S16_S17_S18_S1B_S1C_jS1D_jS1E_S1E_jjS1G_bEUljE0_EEESZ_S10_S11_S18_S1C_S1E_T6_T7_T9_mT8_S1G_bDpT10_ENKUlT_T0_E_clISt17integral_constantIbLb1EES1U_EEDaS1P_S1Q_EUlS1P_E_NS1_11comp_targetILNS1_3genE2ELNS1_11target_archE906ELNS1_3gpuE6ELNS1_3repE0EEENS1_30default_config_static_selectorELNS0_4arch9wavefront6targetE1EEEvS12_: ; @_ZN7rocprim17ROCPRIM_400000_NS6detail17trampoline_kernelINS0_13select_configILj256ELj13ELNS0_17block_load_methodE3ELS4_3ELS4_3ELNS0_20block_scan_algorithmE0ELj4294967295EEENS1_25partition_config_selectorILNS1_17partition_subalgoE4EjNS0_10empty_typeEbEEZZNS1_14partition_implILS8_4ELb0ES6_15HIP_vector_typeIjLj2EENS0_17counting_iteratorIjlEEPS9_SG_NS0_5tupleIJPjSI_NS0_16reverse_iteratorISI_EEEEENSH_IJSG_SG_SG_EEES9_SI_JZNS1_25segmented_radix_sort_implINS0_14default_configELb0EPKhPhPKlPlN2at6native12_GLOBAL__N_18offset_tEEE10hipError_tPvRmT1_PNSt15iterator_traitsIS12_E10value_typeET2_T3_PNS13_IS18_E10value_typeET4_jRbjT5_S1E_jjP12ihipStream_tbEUljE_ZNSN_ISO_Lb0ESQ_SR_ST_SU_SY_EESZ_S10_S11_S12_S16_S17_S18_S1B_S1C_jS1D_jS1E_S1E_jjS1G_bEUljE0_EEESZ_S10_S11_S18_S1C_S1E_T6_T7_T9_mT8_S1G_bDpT10_ENKUlT_T0_E_clISt17integral_constantIbLb1EES1U_EEDaS1P_S1Q_EUlS1P_E_NS1_11comp_targetILNS1_3genE2ELNS1_11target_archE906ELNS1_3gpuE6ELNS1_3repE0EEENS1_30default_config_static_selectorELNS0_4arch9wavefront6targetE1EEEvS12_
; %bb.0:
	s_endpgm
	.section	.rodata,"a",@progbits
	.p2align	6, 0x0
	.amdhsa_kernel _ZN7rocprim17ROCPRIM_400000_NS6detail17trampoline_kernelINS0_13select_configILj256ELj13ELNS0_17block_load_methodE3ELS4_3ELS4_3ELNS0_20block_scan_algorithmE0ELj4294967295EEENS1_25partition_config_selectorILNS1_17partition_subalgoE4EjNS0_10empty_typeEbEEZZNS1_14partition_implILS8_4ELb0ES6_15HIP_vector_typeIjLj2EENS0_17counting_iteratorIjlEEPS9_SG_NS0_5tupleIJPjSI_NS0_16reverse_iteratorISI_EEEEENSH_IJSG_SG_SG_EEES9_SI_JZNS1_25segmented_radix_sort_implINS0_14default_configELb0EPKhPhPKlPlN2at6native12_GLOBAL__N_18offset_tEEE10hipError_tPvRmT1_PNSt15iterator_traitsIS12_E10value_typeET2_T3_PNS13_IS18_E10value_typeET4_jRbjT5_S1E_jjP12ihipStream_tbEUljE_ZNSN_ISO_Lb0ESQ_SR_ST_SU_SY_EESZ_S10_S11_S12_S16_S17_S18_S1B_S1C_jS1D_jS1E_S1E_jjS1G_bEUljE0_EEESZ_S10_S11_S18_S1C_S1E_T6_T7_T9_mT8_S1G_bDpT10_ENKUlT_T0_E_clISt17integral_constantIbLb1EES1U_EEDaS1P_S1Q_EUlS1P_E_NS1_11comp_targetILNS1_3genE2ELNS1_11target_archE906ELNS1_3gpuE6ELNS1_3repE0EEENS1_30default_config_static_selectorELNS0_4arch9wavefront6targetE1EEEvS12_
		.amdhsa_group_segment_fixed_size 0
		.amdhsa_private_segment_fixed_size 0
		.amdhsa_kernarg_size 184
		.amdhsa_user_sgpr_count 6
		.amdhsa_user_sgpr_private_segment_buffer 1
		.amdhsa_user_sgpr_dispatch_ptr 0
		.amdhsa_user_sgpr_queue_ptr 0
		.amdhsa_user_sgpr_kernarg_segment_ptr 1
		.amdhsa_user_sgpr_dispatch_id 0
		.amdhsa_user_sgpr_flat_scratch_init 0
		.amdhsa_user_sgpr_private_segment_size 0
		.amdhsa_uses_dynamic_stack 0
		.amdhsa_system_sgpr_private_segment_wavefront_offset 0
		.amdhsa_system_sgpr_workgroup_id_x 1
		.amdhsa_system_sgpr_workgroup_id_y 0
		.amdhsa_system_sgpr_workgroup_id_z 0
		.amdhsa_system_sgpr_workgroup_info 0
		.amdhsa_system_vgpr_workitem_id 0
		.amdhsa_next_free_vgpr 1
		.amdhsa_next_free_sgpr 0
		.amdhsa_reserve_vcc 0
		.amdhsa_reserve_flat_scratch 0
		.amdhsa_float_round_mode_32 0
		.amdhsa_float_round_mode_16_64 0
		.amdhsa_float_denorm_mode_32 3
		.amdhsa_float_denorm_mode_16_64 3
		.amdhsa_dx10_clamp 1
		.amdhsa_ieee_mode 1
		.amdhsa_fp16_overflow 0
		.amdhsa_exception_fp_ieee_invalid_op 0
		.amdhsa_exception_fp_denorm_src 0
		.amdhsa_exception_fp_ieee_div_zero 0
		.amdhsa_exception_fp_ieee_overflow 0
		.amdhsa_exception_fp_ieee_underflow 0
		.amdhsa_exception_fp_ieee_inexact 0
		.amdhsa_exception_int_div_zero 0
	.end_amdhsa_kernel
	.section	.text._ZN7rocprim17ROCPRIM_400000_NS6detail17trampoline_kernelINS0_13select_configILj256ELj13ELNS0_17block_load_methodE3ELS4_3ELS4_3ELNS0_20block_scan_algorithmE0ELj4294967295EEENS1_25partition_config_selectorILNS1_17partition_subalgoE4EjNS0_10empty_typeEbEEZZNS1_14partition_implILS8_4ELb0ES6_15HIP_vector_typeIjLj2EENS0_17counting_iteratorIjlEEPS9_SG_NS0_5tupleIJPjSI_NS0_16reverse_iteratorISI_EEEEENSH_IJSG_SG_SG_EEES9_SI_JZNS1_25segmented_radix_sort_implINS0_14default_configELb0EPKhPhPKlPlN2at6native12_GLOBAL__N_18offset_tEEE10hipError_tPvRmT1_PNSt15iterator_traitsIS12_E10value_typeET2_T3_PNS13_IS18_E10value_typeET4_jRbjT5_S1E_jjP12ihipStream_tbEUljE_ZNSN_ISO_Lb0ESQ_SR_ST_SU_SY_EESZ_S10_S11_S12_S16_S17_S18_S1B_S1C_jS1D_jS1E_S1E_jjS1G_bEUljE0_EEESZ_S10_S11_S18_S1C_S1E_T6_T7_T9_mT8_S1G_bDpT10_ENKUlT_T0_E_clISt17integral_constantIbLb1EES1U_EEDaS1P_S1Q_EUlS1P_E_NS1_11comp_targetILNS1_3genE2ELNS1_11target_archE906ELNS1_3gpuE6ELNS1_3repE0EEENS1_30default_config_static_selectorELNS0_4arch9wavefront6targetE1EEEvS12_,"axG",@progbits,_ZN7rocprim17ROCPRIM_400000_NS6detail17trampoline_kernelINS0_13select_configILj256ELj13ELNS0_17block_load_methodE3ELS4_3ELS4_3ELNS0_20block_scan_algorithmE0ELj4294967295EEENS1_25partition_config_selectorILNS1_17partition_subalgoE4EjNS0_10empty_typeEbEEZZNS1_14partition_implILS8_4ELb0ES6_15HIP_vector_typeIjLj2EENS0_17counting_iteratorIjlEEPS9_SG_NS0_5tupleIJPjSI_NS0_16reverse_iteratorISI_EEEEENSH_IJSG_SG_SG_EEES9_SI_JZNS1_25segmented_radix_sort_implINS0_14default_configELb0EPKhPhPKlPlN2at6native12_GLOBAL__N_18offset_tEEE10hipError_tPvRmT1_PNSt15iterator_traitsIS12_E10value_typeET2_T3_PNS13_IS18_E10value_typeET4_jRbjT5_S1E_jjP12ihipStream_tbEUljE_ZNSN_ISO_Lb0ESQ_SR_ST_SU_SY_EESZ_S10_S11_S12_S16_S17_S18_S1B_S1C_jS1D_jS1E_S1E_jjS1G_bEUljE0_EEESZ_S10_S11_S18_S1C_S1E_T6_T7_T9_mT8_S1G_bDpT10_ENKUlT_T0_E_clISt17integral_constantIbLb1EES1U_EEDaS1P_S1Q_EUlS1P_E_NS1_11comp_targetILNS1_3genE2ELNS1_11target_archE906ELNS1_3gpuE6ELNS1_3repE0EEENS1_30default_config_static_selectorELNS0_4arch9wavefront6targetE1EEEvS12_,comdat
.Lfunc_end134:
	.size	_ZN7rocprim17ROCPRIM_400000_NS6detail17trampoline_kernelINS0_13select_configILj256ELj13ELNS0_17block_load_methodE3ELS4_3ELS4_3ELNS0_20block_scan_algorithmE0ELj4294967295EEENS1_25partition_config_selectorILNS1_17partition_subalgoE4EjNS0_10empty_typeEbEEZZNS1_14partition_implILS8_4ELb0ES6_15HIP_vector_typeIjLj2EENS0_17counting_iteratorIjlEEPS9_SG_NS0_5tupleIJPjSI_NS0_16reverse_iteratorISI_EEEEENSH_IJSG_SG_SG_EEES9_SI_JZNS1_25segmented_radix_sort_implINS0_14default_configELb0EPKhPhPKlPlN2at6native12_GLOBAL__N_18offset_tEEE10hipError_tPvRmT1_PNSt15iterator_traitsIS12_E10value_typeET2_T3_PNS13_IS18_E10value_typeET4_jRbjT5_S1E_jjP12ihipStream_tbEUljE_ZNSN_ISO_Lb0ESQ_SR_ST_SU_SY_EESZ_S10_S11_S12_S16_S17_S18_S1B_S1C_jS1D_jS1E_S1E_jjS1G_bEUljE0_EEESZ_S10_S11_S18_S1C_S1E_T6_T7_T9_mT8_S1G_bDpT10_ENKUlT_T0_E_clISt17integral_constantIbLb1EES1U_EEDaS1P_S1Q_EUlS1P_E_NS1_11comp_targetILNS1_3genE2ELNS1_11target_archE906ELNS1_3gpuE6ELNS1_3repE0EEENS1_30default_config_static_selectorELNS0_4arch9wavefront6targetE1EEEvS12_, .Lfunc_end134-_ZN7rocprim17ROCPRIM_400000_NS6detail17trampoline_kernelINS0_13select_configILj256ELj13ELNS0_17block_load_methodE3ELS4_3ELS4_3ELNS0_20block_scan_algorithmE0ELj4294967295EEENS1_25partition_config_selectorILNS1_17partition_subalgoE4EjNS0_10empty_typeEbEEZZNS1_14partition_implILS8_4ELb0ES6_15HIP_vector_typeIjLj2EENS0_17counting_iteratorIjlEEPS9_SG_NS0_5tupleIJPjSI_NS0_16reverse_iteratorISI_EEEEENSH_IJSG_SG_SG_EEES9_SI_JZNS1_25segmented_radix_sort_implINS0_14default_configELb0EPKhPhPKlPlN2at6native12_GLOBAL__N_18offset_tEEE10hipError_tPvRmT1_PNSt15iterator_traitsIS12_E10value_typeET2_T3_PNS13_IS18_E10value_typeET4_jRbjT5_S1E_jjP12ihipStream_tbEUljE_ZNSN_ISO_Lb0ESQ_SR_ST_SU_SY_EESZ_S10_S11_S12_S16_S17_S18_S1B_S1C_jS1D_jS1E_S1E_jjS1G_bEUljE0_EEESZ_S10_S11_S18_S1C_S1E_T6_T7_T9_mT8_S1G_bDpT10_ENKUlT_T0_E_clISt17integral_constantIbLb1EES1U_EEDaS1P_S1Q_EUlS1P_E_NS1_11comp_targetILNS1_3genE2ELNS1_11target_archE906ELNS1_3gpuE6ELNS1_3repE0EEENS1_30default_config_static_selectorELNS0_4arch9wavefront6targetE1EEEvS12_
                                        ; -- End function
	.set _ZN7rocprim17ROCPRIM_400000_NS6detail17trampoline_kernelINS0_13select_configILj256ELj13ELNS0_17block_load_methodE3ELS4_3ELS4_3ELNS0_20block_scan_algorithmE0ELj4294967295EEENS1_25partition_config_selectorILNS1_17partition_subalgoE4EjNS0_10empty_typeEbEEZZNS1_14partition_implILS8_4ELb0ES6_15HIP_vector_typeIjLj2EENS0_17counting_iteratorIjlEEPS9_SG_NS0_5tupleIJPjSI_NS0_16reverse_iteratorISI_EEEEENSH_IJSG_SG_SG_EEES9_SI_JZNS1_25segmented_radix_sort_implINS0_14default_configELb0EPKhPhPKlPlN2at6native12_GLOBAL__N_18offset_tEEE10hipError_tPvRmT1_PNSt15iterator_traitsIS12_E10value_typeET2_T3_PNS13_IS18_E10value_typeET4_jRbjT5_S1E_jjP12ihipStream_tbEUljE_ZNSN_ISO_Lb0ESQ_SR_ST_SU_SY_EESZ_S10_S11_S12_S16_S17_S18_S1B_S1C_jS1D_jS1E_S1E_jjS1G_bEUljE0_EEESZ_S10_S11_S18_S1C_S1E_T6_T7_T9_mT8_S1G_bDpT10_ENKUlT_T0_E_clISt17integral_constantIbLb1EES1U_EEDaS1P_S1Q_EUlS1P_E_NS1_11comp_targetILNS1_3genE2ELNS1_11target_archE906ELNS1_3gpuE6ELNS1_3repE0EEENS1_30default_config_static_selectorELNS0_4arch9wavefront6targetE1EEEvS12_.num_vgpr, 0
	.set _ZN7rocprim17ROCPRIM_400000_NS6detail17trampoline_kernelINS0_13select_configILj256ELj13ELNS0_17block_load_methodE3ELS4_3ELS4_3ELNS0_20block_scan_algorithmE0ELj4294967295EEENS1_25partition_config_selectorILNS1_17partition_subalgoE4EjNS0_10empty_typeEbEEZZNS1_14partition_implILS8_4ELb0ES6_15HIP_vector_typeIjLj2EENS0_17counting_iteratorIjlEEPS9_SG_NS0_5tupleIJPjSI_NS0_16reverse_iteratorISI_EEEEENSH_IJSG_SG_SG_EEES9_SI_JZNS1_25segmented_radix_sort_implINS0_14default_configELb0EPKhPhPKlPlN2at6native12_GLOBAL__N_18offset_tEEE10hipError_tPvRmT1_PNSt15iterator_traitsIS12_E10value_typeET2_T3_PNS13_IS18_E10value_typeET4_jRbjT5_S1E_jjP12ihipStream_tbEUljE_ZNSN_ISO_Lb0ESQ_SR_ST_SU_SY_EESZ_S10_S11_S12_S16_S17_S18_S1B_S1C_jS1D_jS1E_S1E_jjS1G_bEUljE0_EEESZ_S10_S11_S18_S1C_S1E_T6_T7_T9_mT8_S1G_bDpT10_ENKUlT_T0_E_clISt17integral_constantIbLb1EES1U_EEDaS1P_S1Q_EUlS1P_E_NS1_11comp_targetILNS1_3genE2ELNS1_11target_archE906ELNS1_3gpuE6ELNS1_3repE0EEENS1_30default_config_static_selectorELNS0_4arch9wavefront6targetE1EEEvS12_.num_agpr, 0
	.set _ZN7rocprim17ROCPRIM_400000_NS6detail17trampoline_kernelINS0_13select_configILj256ELj13ELNS0_17block_load_methodE3ELS4_3ELS4_3ELNS0_20block_scan_algorithmE0ELj4294967295EEENS1_25partition_config_selectorILNS1_17partition_subalgoE4EjNS0_10empty_typeEbEEZZNS1_14partition_implILS8_4ELb0ES6_15HIP_vector_typeIjLj2EENS0_17counting_iteratorIjlEEPS9_SG_NS0_5tupleIJPjSI_NS0_16reverse_iteratorISI_EEEEENSH_IJSG_SG_SG_EEES9_SI_JZNS1_25segmented_radix_sort_implINS0_14default_configELb0EPKhPhPKlPlN2at6native12_GLOBAL__N_18offset_tEEE10hipError_tPvRmT1_PNSt15iterator_traitsIS12_E10value_typeET2_T3_PNS13_IS18_E10value_typeET4_jRbjT5_S1E_jjP12ihipStream_tbEUljE_ZNSN_ISO_Lb0ESQ_SR_ST_SU_SY_EESZ_S10_S11_S12_S16_S17_S18_S1B_S1C_jS1D_jS1E_S1E_jjS1G_bEUljE0_EEESZ_S10_S11_S18_S1C_S1E_T6_T7_T9_mT8_S1G_bDpT10_ENKUlT_T0_E_clISt17integral_constantIbLb1EES1U_EEDaS1P_S1Q_EUlS1P_E_NS1_11comp_targetILNS1_3genE2ELNS1_11target_archE906ELNS1_3gpuE6ELNS1_3repE0EEENS1_30default_config_static_selectorELNS0_4arch9wavefront6targetE1EEEvS12_.numbered_sgpr, 0
	.set _ZN7rocprim17ROCPRIM_400000_NS6detail17trampoline_kernelINS0_13select_configILj256ELj13ELNS0_17block_load_methodE3ELS4_3ELS4_3ELNS0_20block_scan_algorithmE0ELj4294967295EEENS1_25partition_config_selectorILNS1_17partition_subalgoE4EjNS0_10empty_typeEbEEZZNS1_14partition_implILS8_4ELb0ES6_15HIP_vector_typeIjLj2EENS0_17counting_iteratorIjlEEPS9_SG_NS0_5tupleIJPjSI_NS0_16reverse_iteratorISI_EEEEENSH_IJSG_SG_SG_EEES9_SI_JZNS1_25segmented_radix_sort_implINS0_14default_configELb0EPKhPhPKlPlN2at6native12_GLOBAL__N_18offset_tEEE10hipError_tPvRmT1_PNSt15iterator_traitsIS12_E10value_typeET2_T3_PNS13_IS18_E10value_typeET4_jRbjT5_S1E_jjP12ihipStream_tbEUljE_ZNSN_ISO_Lb0ESQ_SR_ST_SU_SY_EESZ_S10_S11_S12_S16_S17_S18_S1B_S1C_jS1D_jS1E_S1E_jjS1G_bEUljE0_EEESZ_S10_S11_S18_S1C_S1E_T6_T7_T9_mT8_S1G_bDpT10_ENKUlT_T0_E_clISt17integral_constantIbLb1EES1U_EEDaS1P_S1Q_EUlS1P_E_NS1_11comp_targetILNS1_3genE2ELNS1_11target_archE906ELNS1_3gpuE6ELNS1_3repE0EEENS1_30default_config_static_selectorELNS0_4arch9wavefront6targetE1EEEvS12_.num_named_barrier, 0
	.set _ZN7rocprim17ROCPRIM_400000_NS6detail17trampoline_kernelINS0_13select_configILj256ELj13ELNS0_17block_load_methodE3ELS4_3ELS4_3ELNS0_20block_scan_algorithmE0ELj4294967295EEENS1_25partition_config_selectorILNS1_17partition_subalgoE4EjNS0_10empty_typeEbEEZZNS1_14partition_implILS8_4ELb0ES6_15HIP_vector_typeIjLj2EENS0_17counting_iteratorIjlEEPS9_SG_NS0_5tupleIJPjSI_NS0_16reverse_iteratorISI_EEEEENSH_IJSG_SG_SG_EEES9_SI_JZNS1_25segmented_radix_sort_implINS0_14default_configELb0EPKhPhPKlPlN2at6native12_GLOBAL__N_18offset_tEEE10hipError_tPvRmT1_PNSt15iterator_traitsIS12_E10value_typeET2_T3_PNS13_IS18_E10value_typeET4_jRbjT5_S1E_jjP12ihipStream_tbEUljE_ZNSN_ISO_Lb0ESQ_SR_ST_SU_SY_EESZ_S10_S11_S12_S16_S17_S18_S1B_S1C_jS1D_jS1E_S1E_jjS1G_bEUljE0_EEESZ_S10_S11_S18_S1C_S1E_T6_T7_T9_mT8_S1G_bDpT10_ENKUlT_T0_E_clISt17integral_constantIbLb1EES1U_EEDaS1P_S1Q_EUlS1P_E_NS1_11comp_targetILNS1_3genE2ELNS1_11target_archE906ELNS1_3gpuE6ELNS1_3repE0EEENS1_30default_config_static_selectorELNS0_4arch9wavefront6targetE1EEEvS12_.private_seg_size, 0
	.set _ZN7rocprim17ROCPRIM_400000_NS6detail17trampoline_kernelINS0_13select_configILj256ELj13ELNS0_17block_load_methodE3ELS4_3ELS4_3ELNS0_20block_scan_algorithmE0ELj4294967295EEENS1_25partition_config_selectorILNS1_17partition_subalgoE4EjNS0_10empty_typeEbEEZZNS1_14partition_implILS8_4ELb0ES6_15HIP_vector_typeIjLj2EENS0_17counting_iteratorIjlEEPS9_SG_NS0_5tupleIJPjSI_NS0_16reverse_iteratorISI_EEEEENSH_IJSG_SG_SG_EEES9_SI_JZNS1_25segmented_radix_sort_implINS0_14default_configELb0EPKhPhPKlPlN2at6native12_GLOBAL__N_18offset_tEEE10hipError_tPvRmT1_PNSt15iterator_traitsIS12_E10value_typeET2_T3_PNS13_IS18_E10value_typeET4_jRbjT5_S1E_jjP12ihipStream_tbEUljE_ZNSN_ISO_Lb0ESQ_SR_ST_SU_SY_EESZ_S10_S11_S12_S16_S17_S18_S1B_S1C_jS1D_jS1E_S1E_jjS1G_bEUljE0_EEESZ_S10_S11_S18_S1C_S1E_T6_T7_T9_mT8_S1G_bDpT10_ENKUlT_T0_E_clISt17integral_constantIbLb1EES1U_EEDaS1P_S1Q_EUlS1P_E_NS1_11comp_targetILNS1_3genE2ELNS1_11target_archE906ELNS1_3gpuE6ELNS1_3repE0EEENS1_30default_config_static_selectorELNS0_4arch9wavefront6targetE1EEEvS12_.uses_vcc, 0
	.set _ZN7rocprim17ROCPRIM_400000_NS6detail17trampoline_kernelINS0_13select_configILj256ELj13ELNS0_17block_load_methodE3ELS4_3ELS4_3ELNS0_20block_scan_algorithmE0ELj4294967295EEENS1_25partition_config_selectorILNS1_17partition_subalgoE4EjNS0_10empty_typeEbEEZZNS1_14partition_implILS8_4ELb0ES6_15HIP_vector_typeIjLj2EENS0_17counting_iteratorIjlEEPS9_SG_NS0_5tupleIJPjSI_NS0_16reverse_iteratorISI_EEEEENSH_IJSG_SG_SG_EEES9_SI_JZNS1_25segmented_radix_sort_implINS0_14default_configELb0EPKhPhPKlPlN2at6native12_GLOBAL__N_18offset_tEEE10hipError_tPvRmT1_PNSt15iterator_traitsIS12_E10value_typeET2_T3_PNS13_IS18_E10value_typeET4_jRbjT5_S1E_jjP12ihipStream_tbEUljE_ZNSN_ISO_Lb0ESQ_SR_ST_SU_SY_EESZ_S10_S11_S12_S16_S17_S18_S1B_S1C_jS1D_jS1E_S1E_jjS1G_bEUljE0_EEESZ_S10_S11_S18_S1C_S1E_T6_T7_T9_mT8_S1G_bDpT10_ENKUlT_T0_E_clISt17integral_constantIbLb1EES1U_EEDaS1P_S1Q_EUlS1P_E_NS1_11comp_targetILNS1_3genE2ELNS1_11target_archE906ELNS1_3gpuE6ELNS1_3repE0EEENS1_30default_config_static_selectorELNS0_4arch9wavefront6targetE1EEEvS12_.uses_flat_scratch, 0
	.set _ZN7rocprim17ROCPRIM_400000_NS6detail17trampoline_kernelINS0_13select_configILj256ELj13ELNS0_17block_load_methodE3ELS4_3ELS4_3ELNS0_20block_scan_algorithmE0ELj4294967295EEENS1_25partition_config_selectorILNS1_17partition_subalgoE4EjNS0_10empty_typeEbEEZZNS1_14partition_implILS8_4ELb0ES6_15HIP_vector_typeIjLj2EENS0_17counting_iteratorIjlEEPS9_SG_NS0_5tupleIJPjSI_NS0_16reverse_iteratorISI_EEEEENSH_IJSG_SG_SG_EEES9_SI_JZNS1_25segmented_radix_sort_implINS0_14default_configELb0EPKhPhPKlPlN2at6native12_GLOBAL__N_18offset_tEEE10hipError_tPvRmT1_PNSt15iterator_traitsIS12_E10value_typeET2_T3_PNS13_IS18_E10value_typeET4_jRbjT5_S1E_jjP12ihipStream_tbEUljE_ZNSN_ISO_Lb0ESQ_SR_ST_SU_SY_EESZ_S10_S11_S12_S16_S17_S18_S1B_S1C_jS1D_jS1E_S1E_jjS1G_bEUljE0_EEESZ_S10_S11_S18_S1C_S1E_T6_T7_T9_mT8_S1G_bDpT10_ENKUlT_T0_E_clISt17integral_constantIbLb1EES1U_EEDaS1P_S1Q_EUlS1P_E_NS1_11comp_targetILNS1_3genE2ELNS1_11target_archE906ELNS1_3gpuE6ELNS1_3repE0EEENS1_30default_config_static_selectorELNS0_4arch9wavefront6targetE1EEEvS12_.has_dyn_sized_stack, 0
	.set _ZN7rocprim17ROCPRIM_400000_NS6detail17trampoline_kernelINS0_13select_configILj256ELj13ELNS0_17block_load_methodE3ELS4_3ELS4_3ELNS0_20block_scan_algorithmE0ELj4294967295EEENS1_25partition_config_selectorILNS1_17partition_subalgoE4EjNS0_10empty_typeEbEEZZNS1_14partition_implILS8_4ELb0ES6_15HIP_vector_typeIjLj2EENS0_17counting_iteratorIjlEEPS9_SG_NS0_5tupleIJPjSI_NS0_16reverse_iteratorISI_EEEEENSH_IJSG_SG_SG_EEES9_SI_JZNS1_25segmented_radix_sort_implINS0_14default_configELb0EPKhPhPKlPlN2at6native12_GLOBAL__N_18offset_tEEE10hipError_tPvRmT1_PNSt15iterator_traitsIS12_E10value_typeET2_T3_PNS13_IS18_E10value_typeET4_jRbjT5_S1E_jjP12ihipStream_tbEUljE_ZNSN_ISO_Lb0ESQ_SR_ST_SU_SY_EESZ_S10_S11_S12_S16_S17_S18_S1B_S1C_jS1D_jS1E_S1E_jjS1G_bEUljE0_EEESZ_S10_S11_S18_S1C_S1E_T6_T7_T9_mT8_S1G_bDpT10_ENKUlT_T0_E_clISt17integral_constantIbLb1EES1U_EEDaS1P_S1Q_EUlS1P_E_NS1_11comp_targetILNS1_3genE2ELNS1_11target_archE906ELNS1_3gpuE6ELNS1_3repE0EEENS1_30default_config_static_selectorELNS0_4arch9wavefront6targetE1EEEvS12_.has_recursion, 0
	.set _ZN7rocprim17ROCPRIM_400000_NS6detail17trampoline_kernelINS0_13select_configILj256ELj13ELNS0_17block_load_methodE3ELS4_3ELS4_3ELNS0_20block_scan_algorithmE0ELj4294967295EEENS1_25partition_config_selectorILNS1_17partition_subalgoE4EjNS0_10empty_typeEbEEZZNS1_14partition_implILS8_4ELb0ES6_15HIP_vector_typeIjLj2EENS0_17counting_iteratorIjlEEPS9_SG_NS0_5tupleIJPjSI_NS0_16reverse_iteratorISI_EEEEENSH_IJSG_SG_SG_EEES9_SI_JZNS1_25segmented_radix_sort_implINS0_14default_configELb0EPKhPhPKlPlN2at6native12_GLOBAL__N_18offset_tEEE10hipError_tPvRmT1_PNSt15iterator_traitsIS12_E10value_typeET2_T3_PNS13_IS18_E10value_typeET4_jRbjT5_S1E_jjP12ihipStream_tbEUljE_ZNSN_ISO_Lb0ESQ_SR_ST_SU_SY_EESZ_S10_S11_S12_S16_S17_S18_S1B_S1C_jS1D_jS1E_S1E_jjS1G_bEUljE0_EEESZ_S10_S11_S18_S1C_S1E_T6_T7_T9_mT8_S1G_bDpT10_ENKUlT_T0_E_clISt17integral_constantIbLb1EES1U_EEDaS1P_S1Q_EUlS1P_E_NS1_11comp_targetILNS1_3genE2ELNS1_11target_archE906ELNS1_3gpuE6ELNS1_3repE0EEENS1_30default_config_static_selectorELNS0_4arch9wavefront6targetE1EEEvS12_.has_indirect_call, 0
	.section	.AMDGPU.csdata,"",@progbits
; Kernel info:
; codeLenInByte = 4
; TotalNumSgprs: 4
; NumVgprs: 0
; ScratchSize: 0
; MemoryBound: 0
; FloatMode: 240
; IeeeMode: 1
; LDSByteSize: 0 bytes/workgroup (compile time only)
; SGPRBlocks: 0
; VGPRBlocks: 0
; NumSGPRsForWavesPerEU: 4
; NumVGPRsForWavesPerEU: 1
; Occupancy: 10
; WaveLimiterHint : 0
; COMPUTE_PGM_RSRC2:SCRATCH_EN: 0
; COMPUTE_PGM_RSRC2:USER_SGPR: 6
; COMPUTE_PGM_RSRC2:TRAP_HANDLER: 0
; COMPUTE_PGM_RSRC2:TGID_X_EN: 1
; COMPUTE_PGM_RSRC2:TGID_Y_EN: 0
; COMPUTE_PGM_RSRC2:TGID_Z_EN: 0
; COMPUTE_PGM_RSRC2:TIDIG_COMP_CNT: 0
	.section	.text._ZN7rocprim17ROCPRIM_400000_NS6detail17trampoline_kernelINS0_13select_configILj256ELj13ELNS0_17block_load_methodE3ELS4_3ELS4_3ELNS0_20block_scan_algorithmE0ELj4294967295EEENS1_25partition_config_selectorILNS1_17partition_subalgoE4EjNS0_10empty_typeEbEEZZNS1_14partition_implILS8_4ELb0ES6_15HIP_vector_typeIjLj2EENS0_17counting_iteratorIjlEEPS9_SG_NS0_5tupleIJPjSI_NS0_16reverse_iteratorISI_EEEEENSH_IJSG_SG_SG_EEES9_SI_JZNS1_25segmented_radix_sort_implINS0_14default_configELb0EPKhPhPKlPlN2at6native12_GLOBAL__N_18offset_tEEE10hipError_tPvRmT1_PNSt15iterator_traitsIS12_E10value_typeET2_T3_PNS13_IS18_E10value_typeET4_jRbjT5_S1E_jjP12ihipStream_tbEUljE_ZNSN_ISO_Lb0ESQ_SR_ST_SU_SY_EESZ_S10_S11_S12_S16_S17_S18_S1B_S1C_jS1D_jS1E_S1E_jjS1G_bEUljE0_EEESZ_S10_S11_S18_S1C_S1E_T6_T7_T9_mT8_S1G_bDpT10_ENKUlT_T0_E_clISt17integral_constantIbLb1EES1U_EEDaS1P_S1Q_EUlS1P_E_NS1_11comp_targetILNS1_3genE10ELNS1_11target_archE1200ELNS1_3gpuE4ELNS1_3repE0EEENS1_30default_config_static_selectorELNS0_4arch9wavefront6targetE1EEEvS12_,"axG",@progbits,_ZN7rocprim17ROCPRIM_400000_NS6detail17trampoline_kernelINS0_13select_configILj256ELj13ELNS0_17block_load_methodE3ELS4_3ELS4_3ELNS0_20block_scan_algorithmE0ELj4294967295EEENS1_25partition_config_selectorILNS1_17partition_subalgoE4EjNS0_10empty_typeEbEEZZNS1_14partition_implILS8_4ELb0ES6_15HIP_vector_typeIjLj2EENS0_17counting_iteratorIjlEEPS9_SG_NS0_5tupleIJPjSI_NS0_16reverse_iteratorISI_EEEEENSH_IJSG_SG_SG_EEES9_SI_JZNS1_25segmented_radix_sort_implINS0_14default_configELb0EPKhPhPKlPlN2at6native12_GLOBAL__N_18offset_tEEE10hipError_tPvRmT1_PNSt15iterator_traitsIS12_E10value_typeET2_T3_PNS13_IS18_E10value_typeET4_jRbjT5_S1E_jjP12ihipStream_tbEUljE_ZNSN_ISO_Lb0ESQ_SR_ST_SU_SY_EESZ_S10_S11_S12_S16_S17_S18_S1B_S1C_jS1D_jS1E_S1E_jjS1G_bEUljE0_EEESZ_S10_S11_S18_S1C_S1E_T6_T7_T9_mT8_S1G_bDpT10_ENKUlT_T0_E_clISt17integral_constantIbLb1EES1U_EEDaS1P_S1Q_EUlS1P_E_NS1_11comp_targetILNS1_3genE10ELNS1_11target_archE1200ELNS1_3gpuE4ELNS1_3repE0EEENS1_30default_config_static_selectorELNS0_4arch9wavefront6targetE1EEEvS12_,comdat
	.globl	_ZN7rocprim17ROCPRIM_400000_NS6detail17trampoline_kernelINS0_13select_configILj256ELj13ELNS0_17block_load_methodE3ELS4_3ELS4_3ELNS0_20block_scan_algorithmE0ELj4294967295EEENS1_25partition_config_selectorILNS1_17partition_subalgoE4EjNS0_10empty_typeEbEEZZNS1_14partition_implILS8_4ELb0ES6_15HIP_vector_typeIjLj2EENS0_17counting_iteratorIjlEEPS9_SG_NS0_5tupleIJPjSI_NS0_16reverse_iteratorISI_EEEEENSH_IJSG_SG_SG_EEES9_SI_JZNS1_25segmented_radix_sort_implINS0_14default_configELb0EPKhPhPKlPlN2at6native12_GLOBAL__N_18offset_tEEE10hipError_tPvRmT1_PNSt15iterator_traitsIS12_E10value_typeET2_T3_PNS13_IS18_E10value_typeET4_jRbjT5_S1E_jjP12ihipStream_tbEUljE_ZNSN_ISO_Lb0ESQ_SR_ST_SU_SY_EESZ_S10_S11_S12_S16_S17_S18_S1B_S1C_jS1D_jS1E_S1E_jjS1G_bEUljE0_EEESZ_S10_S11_S18_S1C_S1E_T6_T7_T9_mT8_S1G_bDpT10_ENKUlT_T0_E_clISt17integral_constantIbLb1EES1U_EEDaS1P_S1Q_EUlS1P_E_NS1_11comp_targetILNS1_3genE10ELNS1_11target_archE1200ELNS1_3gpuE4ELNS1_3repE0EEENS1_30default_config_static_selectorELNS0_4arch9wavefront6targetE1EEEvS12_ ; -- Begin function _ZN7rocprim17ROCPRIM_400000_NS6detail17trampoline_kernelINS0_13select_configILj256ELj13ELNS0_17block_load_methodE3ELS4_3ELS4_3ELNS0_20block_scan_algorithmE0ELj4294967295EEENS1_25partition_config_selectorILNS1_17partition_subalgoE4EjNS0_10empty_typeEbEEZZNS1_14partition_implILS8_4ELb0ES6_15HIP_vector_typeIjLj2EENS0_17counting_iteratorIjlEEPS9_SG_NS0_5tupleIJPjSI_NS0_16reverse_iteratorISI_EEEEENSH_IJSG_SG_SG_EEES9_SI_JZNS1_25segmented_radix_sort_implINS0_14default_configELb0EPKhPhPKlPlN2at6native12_GLOBAL__N_18offset_tEEE10hipError_tPvRmT1_PNSt15iterator_traitsIS12_E10value_typeET2_T3_PNS13_IS18_E10value_typeET4_jRbjT5_S1E_jjP12ihipStream_tbEUljE_ZNSN_ISO_Lb0ESQ_SR_ST_SU_SY_EESZ_S10_S11_S12_S16_S17_S18_S1B_S1C_jS1D_jS1E_S1E_jjS1G_bEUljE0_EEESZ_S10_S11_S18_S1C_S1E_T6_T7_T9_mT8_S1G_bDpT10_ENKUlT_T0_E_clISt17integral_constantIbLb1EES1U_EEDaS1P_S1Q_EUlS1P_E_NS1_11comp_targetILNS1_3genE10ELNS1_11target_archE1200ELNS1_3gpuE4ELNS1_3repE0EEENS1_30default_config_static_selectorELNS0_4arch9wavefront6targetE1EEEvS12_
	.p2align	8
	.type	_ZN7rocprim17ROCPRIM_400000_NS6detail17trampoline_kernelINS0_13select_configILj256ELj13ELNS0_17block_load_methodE3ELS4_3ELS4_3ELNS0_20block_scan_algorithmE0ELj4294967295EEENS1_25partition_config_selectorILNS1_17partition_subalgoE4EjNS0_10empty_typeEbEEZZNS1_14partition_implILS8_4ELb0ES6_15HIP_vector_typeIjLj2EENS0_17counting_iteratorIjlEEPS9_SG_NS0_5tupleIJPjSI_NS0_16reverse_iteratorISI_EEEEENSH_IJSG_SG_SG_EEES9_SI_JZNS1_25segmented_radix_sort_implINS0_14default_configELb0EPKhPhPKlPlN2at6native12_GLOBAL__N_18offset_tEEE10hipError_tPvRmT1_PNSt15iterator_traitsIS12_E10value_typeET2_T3_PNS13_IS18_E10value_typeET4_jRbjT5_S1E_jjP12ihipStream_tbEUljE_ZNSN_ISO_Lb0ESQ_SR_ST_SU_SY_EESZ_S10_S11_S12_S16_S17_S18_S1B_S1C_jS1D_jS1E_S1E_jjS1G_bEUljE0_EEESZ_S10_S11_S18_S1C_S1E_T6_T7_T9_mT8_S1G_bDpT10_ENKUlT_T0_E_clISt17integral_constantIbLb1EES1U_EEDaS1P_S1Q_EUlS1P_E_NS1_11comp_targetILNS1_3genE10ELNS1_11target_archE1200ELNS1_3gpuE4ELNS1_3repE0EEENS1_30default_config_static_selectorELNS0_4arch9wavefront6targetE1EEEvS12_,@function
_ZN7rocprim17ROCPRIM_400000_NS6detail17trampoline_kernelINS0_13select_configILj256ELj13ELNS0_17block_load_methodE3ELS4_3ELS4_3ELNS0_20block_scan_algorithmE0ELj4294967295EEENS1_25partition_config_selectorILNS1_17partition_subalgoE4EjNS0_10empty_typeEbEEZZNS1_14partition_implILS8_4ELb0ES6_15HIP_vector_typeIjLj2EENS0_17counting_iteratorIjlEEPS9_SG_NS0_5tupleIJPjSI_NS0_16reverse_iteratorISI_EEEEENSH_IJSG_SG_SG_EEES9_SI_JZNS1_25segmented_radix_sort_implINS0_14default_configELb0EPKhPhPKlPlN2at6native12_GLOBAL__N_18offset_tEEE10hipError_tPvRmT1_PNSt15iterator_traitsIS12_E10value_typeET2_T3_PNS13_IS18_E10value_typeET4_jRbjT5_S1E_jjP12ihipStream_tbEUljE_ZNSN_ISO_Lb0ESQ_SR_ST_SU_SY_EESZ_S10_S11_S12_S16_S17_S18_S1B_S1C_jS1D_jS1E_S1E_jjS1G_bEUljE0_EEESZ_S10_S11_S18_S1C_S1E_T6_T7_T9_mT8_S1G_bDpT10_ENKUlT_T0_E_clISt17integral_constantIbLb1EES1U_EEDaS1P_S1Q_EUlS1P_E_NS1_11comp_targetILNS1_3genE10ELNS1_11target_archE1200ELNS1_3gpuE4ELNS1_3repE0EEENS1_30default_config_static_selectorELNS0_4arch9wavefront6targetE1EEEvS12_: ; @_ZN7rocprim17ROCPRIM_400000_NS6detail17trampoline_kernelINS0_13select_configILj256ELj13ELNS0_17block_load_methodE3ELS4_3ELS4_3ELNS0_20block_scan_algorithmE0ELj4294967295EEENS1_25partition_config_selectorILNS1_17partition_subalgoE4EjNS0_10empty_typeEbEEZZNS1_14partition_implILS8_4ELb0ES6_15HIP_vector_typeIjLj2EENS0_17counting_iteratorIjlEEPS9_SG_NS0_5tupleIJPjSI_NS0_16reverse_iteratorISI_EEEEENSH_IJSG_SG_SG_EEES9_SI_JZNS1_25segmented_radix_sort_implINS0_14default_configELb0EPKhPhPKlPlN2at6native12_GLOBAL__N_18offset_tEEE10hipError_tPvRmT1_PNSt15iterator_traitsIS12_E10value_typeET2_T3_PNS13_IS18_E10value_typeET4_jRbjT5_S1E_jjP12ihipStream_tbEUljE_ZNSN_ISO_Lb0ESQ_SR_ST_SU_SY_EESZ_S10_S11_S12_S16_S17_S18_S1B_S1C_jS1D_jS1E_S1E_jjS1G_bEUljE0_EEESZ_S10_S11_S18_S1C_S1E_T6_T7_T9_mT8_S1G_bDpT10_ENKUlT_T0_E_clISt17integral_constantIbLb1EES1U_EEDaS1P_S1Q_EUlS1P_E_NS1_11comp_targetILNS1_3genE10ELNS1_11target_archE1200ELNS1_3gpuE4ELNS1_3repE0EEENS1_30default_config_static_selectorELNS0_4arch9wavefront6targetE1EEEvS12_
; %bb.0:
	.section	.rodata,"a",@progbits
	.p2align	6, 0x0
	.amdhsa_kernel _ZN7rocprim17ROCPRIM_400000_NS6detail17trampoline_kernelINS0_13select_configILj256ELj13ELNS0_17block_load_methodE3ELS4_3ELS4_3ELNS0_20block_scan_algorithmE0ELj4294967295EEENS1_25partition_config_selectorILNS1_17partition_subalgoE4EjNS0_10empty_typeEbEEZZNS1_14partition_implILS8_4ELb0ES6_15HIP_vector_typeIjLj2EENS0_17counting_iteratorIjlEEPS9_SG_NS0_5tupleIJPjSI_NS0_16reverse_iteratorISI_EEEEENSH_IJSG_SG_SG_EEES9_SI_JZNS1_25segmented_radix_sort_implINS0_14default_configELb0EPKhPhPKlPlN2at6native12_GLOBAL__N_18offset_tEEE10hipError_tPvRmT1_PNSt15iterator_traitsIS12_E10value_typeET2_T3_PNS13_IS18_E10value_typeET4_jRbjT5_S1E_jjP12ihipStream_tbEUljE_ZNSN_ISO_Lb0ESQ_SR_ST_SU_SY_EESZ_S10_S11_S12_S16_S17_S18_S1B_S1C_jS1D_jS1E_S1E_jjS1G_bEUljE0_EEESZ_S10_S11_S18_S1C_S1E_T6_T7_T9_mT8_S1G_bDpT10_ENKUlT_T0_E_clISt17integral_constantIbLb1EES1U_EEDaS1P_S1Q_EUlS1P_E_NS1_11comp_targetILNS1_3genE10ELNS1_11target_archE1200ELNS1_3gpuE4ELNS1_3repE0EEENS1_30default_config_static_selectorELNS0_4arch9wavefront6targetE1EEEvS12_
		.amdhsa_group_segment_fixed_size 0
		.amdhsa_private_segment_fixed_size 0
		.amdhsa_kernarg_size 184
		.amdhsa_user_sgpr_count 6
		.amdhsa_user_sgpr_private_segment_buffer 1
		.amdhsa_user_sgpr_dispatch_ptr 0
		.amdhsa_user_sgpr_queue_ptr 0
		.amdhsa_user_sgpr_kernarg_segment_ptr 1
		.amdhsa_user_sgpr_dispatch_id 0
		.amdhsa_user_sgpr_flat_scratch_init 0
		.amdhsa_user_sgpr_private_segment_size 0
		.amdhsa_uses_dynamic_stack 0
		.amdhsa_system_sgpr_private_segment_wavefront_offset 0
		.amdhsa_system_sgpr_workgroup_id_x 1
		.amdhsa_system_sgpr_workgroup_id_y 0
		.amdhsa_system_sgpr_workgroup_id_z 0
		.amdhsa_system_sgpr_workgroup_info 0
		.amdhsa_system_vgpr_workitem_id 0
		.amdhsa_next_free_vgpr 1
		.amdhsa_next_free_sgpr 0
		.amdhsa_reserve_vcc 0
		.amdhsa_reserve_flat_scratch 0
		.amdhsa_float_round_mode_32 0
		.amdhsa_float_round_mode_16_64 0
		.amdhsa_float_denorm_mode_32 3
		.amdhsa_float_denorm_mode_16_64 3
		.amdhsa_dx10_clamp 1
		.amdhsa_ieee_mode 1
		.amdhsa_fp16_overflow 0
		.amdhsa_exception_fp_ieee_invalid_op 0
		.amdhsa_exception_fp_denorm_src 0
		.amdhsa_exception_fp_ieee_div_zero 0
		.amdhsa_exception_fp_ieee_overflow 0
		.amdhsa_exception_fp_ieee_underflow 0
		.amdhsa_exception_fp_ieee_inexact 0
		.amdhsa_exception_int_div_zero 0
	.end_amdhsa_kernel
	.section	.text._ZN7rocprim17ROCPRIM_400000_NS6detail17trampoline_kernelINS0_13select_configILj256ELj13ELNS0_17block_load_methodE3ELS4_3ELS4_3ELNS0_20block_scan_algorithmE0ELj4294967295EEENS1_25partition_config_selectorILNS1_17partition_subalgoE4EjNS0_10empty_typeEbEEZZNS1_14partition_implILS8_4ELb0ES6_15HIP_vector_typeIjLj2EENS0_17counting_iteratorIjlEEPS9_SG_NS0_5tupleIJPjSI_NS0_16reverse_iteratorISI_EEEEENSH_IJSG_SG_SG_EEES9_SI_JZNS1_25segmented_radix_sort_implINS0_14default_configELb0EPKhPhPKlPlN2at6native12_GLOBAL__N_18offset_tEEE10hipError_tPvRmT1_PNSt15iterator_traitsIS12_E10value_typeET2_T3_PNS13_IS18_E10value_typeET4_jRbjT5_S1E_jjP12ihipStream_tbEUljE_ZNSN_ISO_Lb0ESQ_SR_ST_SU_SY_EESZ_S10_S11_S12_S16_S17_S18_S1B_S1C_jS1D_jS1E_S1E_jjS1G_bEUljE0_EEESZ_S10_S11_S18_S1C_S1E_T6_T7_T9_mT8_S1G_bDpT10_ENKUlT_T0_E_clISt17integral_constantIbLb1EES1U_EEDaS1P_S1Q_EUlS1P_E_NS1_11comp_targetILNS1_3genE10ELNS1_11target_archE1200ELNS1_3gpuE4ELNS1_3repE0EEENS1_30default_config_static_selectorELNS0_4arch9wavefront6targetE1EEEvS12_,"axG",@progbits,_ZN7rocprim17ROCPRIM_400000_NS6detail17trampoline_kernelINS0_13select_configILj256ELj13ELNS0_17block_load_methodE3ELS4_3ELS4_3ELNS0_20block_scan_algorithmE0ELj4294967295EEENS1_25partition_config_selectorILNS1_17partition_subalgoE4EjNS0_10empty_typeEbEEZZNS1_14partition_implILS8_4ELb0ES6_15HIP_vector_typeIjLj2EENS0_17counting_iteratorIjlEEPS9_SG_NS0_5tupleIJPjSI_NS0_16reverse_iteratorISI_EEEEENSH_IJSG_SG_SG_EEES9_SI_JZNS1_25segmented_radix_sort_implINS0_14default_configELb0EPKhPhPKlPlN2at6native12_GLOBAL__N_18offset_tEEE10hipError_tPvRmT1_PNSt15iterator_traitsIS12_E10value_typeET2_T3_PNS13_IS18_E10value_typeET4_jRbjT5_S1E_jjP12ihipStream_tbEUljE_ZNSN_ISO_Lb0ESQ_SR_ST_SU_SY_EESZ_S10_S11_S12_S16_S17_S18_S1B_S1C_jS1D_jS1E_S1E_jjS1G_bEUljE0_EEESZ_S10_S11_S18_S1C_S1E_T6_T7_T9_mT8_S1G_bDpT10_ENKUlT_T0_E_clISt17integral_constantIbLb1EES1U_EEDaS1P_S1Q_EUlS1P_E_NS1_11comp_targetILNS1_3genE10ELNS1_11target_archE1200ELNS1_3gpuE4ELNS1_3repE0EEENS1_30default_config_static_selectorELNS0_4arch9wavefront6targetE1EEEvS12_,comdat
.Lfunc_end135:
	.size	_ZN7rocprim17ROCPRIM_400000_NS6detail17trampoline_kernelINS0_13select_configILj256ELj13ELNS0_17block_load_methodE3ELS4_3ELS4_3ELNS0_20block_scan_algorithmE0ELj4294967295EEENS1_25partition_config_selectorILNS1_17partition_subalgoE4EjNS0_10empty_typeEbEEZZNS1_14partition_implILS8_4ELb0ES6_15HIP_vector_typeIjLj2EENS0_17counting_iteratorIjlEEPS9_SG_NS0_5tupleIJPjSI_NS0_16reverse_iteratorISI_EEEEENSH_IJSG_SG_SG_EEES9_SI_JZNS1_25segmented_radix_sort_implINS0_14default_configELb0EPKhPhPKlPlN2at6native12_GLOBAL__N_18offset_tEEE10hipError_tPvRmT1_PNSt15iterator_traitsIS12_E10value_typeET2_T3_PNS13_IS18_E10value_typeET4_jRbjT5_S1E_jjP12ihipStream_tbEUljE_ZNSN_ISO_Lb0ESQ_SR_ST_SU_SY_EESZ_S10_S11_S12_S16_S17_S18_S1B_S1C_jS1D_jS1E_S1E_jjS1G_bEUljE0_EEESZ_S10_S11_S18_S1C_S1E_T6_T7_T9_mT8_S1G_bDpT10_ENKUlT_T0_E_clISt17integral_constantIbLb1EES1U_EEDaS1P_S1Q_EUlS1P_E_NS1_11comp_targetILNS1_3genE10ELNS1_11target_archE1200ELNS1_3gpuE4ELNS1_3repE0EEENS1_30default_config_static_selectorELNS0_4arch9wavefront6targetE1EEEvS12_, .Lfunc_end135-_ZN7rocprim17ROCPRIM_400000_NS6detail17trampoline_kernelINS0_13select_configILj256ELj13ELNS0_17block_load_methodE3ELS4_3ELS4_3ELNS0_20block_scan_algorithmE0ELj4294967295EEENS1_25partition_config_selectorILNS1_17partition_subalgoE4EjNS0_10empty_typeEbEEZZNS1_14partition_implILS8_4ELb0ES6_15HIP_vector_typeIjLj2EENS0_17counting_iteratorIjlEEPS9_SG_NS0_5tupleIJPjSI_NS0_16reverse_iteratorISI_EEEEENSH_IJSG_SG_SG_EEES9_SI_JZNS1_25segmented_radix_sort_implINS0_14default_configELb0EPKhPhPKlPlN2at6native12_GLOBAL__N_18offset_tEEE10hipError_tPvRmT1_PNSt15iterator_traitsIS12_E10value_typeET2_T3_PNS13_IS18_E10value_typeET4_jRbjT5_S1E_jjP12ihipStream_tbEUljE_ZNSN_ISO_Lb0ESQ_SR_ST_SU_SY_EESZ_S10_S11_S12_S16_S17_S18_S1B_S1C_jS1D_jS1E_S1E_jjS1G_bEUljE0_EEESZ_S10_S11_S18_S1C_S1E_T6_T7_T9_mT8_S1G_bDpT10_ENKUlT_T0_E_clISt17integral_constantIbLb1EES1U_EEDaS1P_S1Q_EUlS1P_E_NS1_11comp_targetILNS1_3genE10ELNS1_11target_archE1200ELNS1_3gpuE4ELNS1_3repE0EEENS1_30default_config_static_selectorELNS0_4arch9wavefront6targetE1EEEvS12_
                                        ; -- End function
	.set _ZN7rocprim17ROCPRIM_400000_NS6detail17trampoline_kernelINS0_13select_configILj256ELj13ELNS0_17block_load_methodE3ELS4_3ELS4_3ELNS0_20block_scan_algorithmE0ELj4294967295EEENS1_25partition_config_selectorILNS1_17partition_subalgoE4EjNS0_10empty_typeEbEEZZNS1_14partition_implILS8_4ELb0ES6_15HIP_vector_typeIjLj2EENS0_17counting_iteratorIjlEEPS9_SG_NS0_5tupleIJPjSI_NS0_16reverse_iteratorISI_EEEEENSH_IJSG_SG_SG_EEES9_SI_JZNS1_25segmented_radix_sort_implINS0_14default_configELb0EPKhPhPKlPlN2at6native12_GLOBAL__N_18offset_tEEE10hipError_tPvRmT1_PNSt15iterator_traitsIS12_E10value_typeET2_T3_PNS13_IS18_E10value_typeET4_jRbjT5_S1E_jjP12ihipStream_tbEUljE_ZNSN_ISO_Lb0ESQ_SR_ST_SU_SY_EESZ_S10_S11_S12_S16_S17_S18_S1B_S1C_jS1D_jS1E_S1E_jjS1G_bEUljE0_EEESZ_S10_S11_S18_S1C_S1E_T6_T7_T9_mT8_S1G_bDpT10_ENKUlT_T0_E_clISt17integral_constantIbLb1EES1U_EEDaS1P_S1Q_EUlS1P_E_NS1_11comp_targetILNS1_3genE10ELNS1_11target_archE1200ELNS1_3gpuE4ELNS1_3repE0EEENS1_30default_config_static_selectorELNS0_4arch9wavefront6targetE1EEEvS12_.num_vgpr, 0
	.set _ZN7rocprim17ROCPRIM_400000_NS6detail17trampoline_kernelINS0_13select_configILj256ELj13ELNS0_17block_load_methodE3ELS4_3ELS4_3ELNS0_20block_scan_algorithmE0ELj4294967295EEENS1_25partition_config_selectorILNS1_17partition_subalgoE4EjNS0_10empty_typeEbEEZZNS1_14partition_implILS8_4ELb0ES6_15HIP_vector_typeIjLj2EENS0_17counting_iteratorIjlEEPS9_SG_NS0_5tupleIJPjSI_NS0_16reverse_iteratorISI_EEEEENSH_IJSG_SG_SG_EEES9_SI_JZNS1_25segmented_radix_sort_implINS0_14default_configELb0EPKhPhPKlPlN2at6native12_GLOBAL__N_18offset_tEEE10hipError_tPvRmT1_PNSt15iterator_traitsIS12_E10value_typeET2_T3_PNS13_IS18_E10value_typeET4_jRbjT5_S1E_jjP12ihipStream_tbEUljE_ZNSN_ISO_Lb0ESQ_SR_ST_SU_SY_EESZ_S10_S11_S12_S16_S17_S18_S1B_S1C_jS1D_jS1E_S1E_jjS1G_bEUljE0_EEESZ_S10_S11_S18_S1C_S1E_T6_T7_T9_mT8_S1G_bDpT10_ENKUlT_T0_E_clISt17integral_constantIbLb1EES1U_EEDaS1P_S1Q_EUlS1P_E_NS1_11comp_targetILNS1_3genE10ELNS1_11target_archE1200ELNS1_3gpuE4ELNS1_3repE0EEENS1_30default_config_static_selectorELNS0_4arch9wavefront6targetE1EEEvS12_.num_agpr, 0
	.set _ZN7rocprim17ROCPRIM_400000_NS6detail17trampoline_kernelINS0_13select_configILj256ELj13ELNS0_17block_load_methodE3ELS4_3ELS4_3ELNS0_20block_scan_algorithmE0ELj4294967295EEENS1_25partition_config_selectorILNS1_17partition_subalgoE4EjNS0_10empty_typeEbEEZZNS1_14partition_implILS8_4ELb0ES6_15HIP_vector_typeIjLj2EENS0_17counting_iteratorIjlEEPS9_SG_NS0_5tupleIJPjSI_NS0_16reverse_iteratorISI_EEEEENSH_IJSG_SG_SG_EEES9_SI_JZNS1_25segmented_radix_sort_implINS0_14default_configELb0EPKhPhPKlPlN2at6native12_GLOBAL__N_18offset_tEEE10hipError_tPvRmT1_PNSt15iterator_traitsIS12_E10value_typeET2_T3_PNS13_IS18_E10value_typeET4_jRbjT5_S1E_jjP12ihipStream_tbEUljE_ZNSN_ISO_Lb0ESQ_SR_ST_SU_SY_EESZ_S10_S11_S12_S16_S17_S18_S1B_S1C_jS1D_jS1E_S1E_jjS1G_bEUljE0_EEESZ_S10_S11_S18_S1C_S1E_T6_T7_T9_mT8_S1G_bDpT10_ENKUlT_T0_E_clISt17integral_constantIbLb1EES1U_EEDaS1P_S1Q_EUlS1P_E_NS1_11comp_targetILNS1_3genE10ELNS1_11target_archE1200ELNS1_3gpuE4ELNS1_3repE0EEENS1_30default_config_static_selectorELNS0_4arch9wavefront6targetE1EEEvS12_.numbered_sgpr, 0
	.set _ZN7rocprim17ROCPRIM_400000_NS6detail17trampoline_kernelINS0_13select_configILj256ELj13ELNS0_17block_load_methodE3ELS4_3ELS4_3ELNS0_20block_scan_algorithmE0ELj4294967295EEENS1_25partition_config_selectorILNS1_17partition_subalgoE4EjNS0_10empty_typeEbEEZZNS1_14partition_implILS8_4ELb0ES6_15HIP_vector_typeIjLj2EENS0_17counting_iteratorIjlEEPS9_SG_NS0_5tupleIJPjSI_NS0_16reverse_iteratorISI_EEEEENSH_IJSG_SG_SG_EEES9_SI_JZNS1_25segmented_radix_sort_implINS0_14default_configELb0EPKhPhPKlPlN2at6native12_GLOBAL__N_18offset_tEEE10hipError_tPvRmT1_PNSt15iterator_traitsIS12_E10value_typeET2_T3_PNS13_IS18_E10value_typeET4_jRbjT5_S1E_jjP12ihipStream_tbEUljE_ZNSN_ISO_Lb0ESQ_SR_ST_SU_SY_EESZ_S10_S11_S12_S16_S17_S18_S1B_S1C_jS1D_jS1E_S1E_jjS1G_bEUljE0_EEESZ_S10_S11_S18_S1C_S1E_T6_T7_T9_mT8_S1G_bDpT10_ENKUlT_T0_E_clISt17integral_constantIbLb1EES1U_EEDaS1P_S1Q_EUlS1P_E_NS1_11comp_targetILNS1_3genE10ELNS1_11target_archE1200ELNS1_3gpuE4ELNS1_3repE0EEENS1_30default_config_static_selectorELNS0_4arch9wavefront6targetE1EEEvS12_.num_named_barrier, 0
	.set _ZN7rocprim17ROCPRIM_400000_NS6detail17trampoline_kernelINS0_13select_configILj256ELj13ELNS0_17block_load_methodE3ELS4_3ELS4_3ELNS0_20block_scan_algorithmE0ELj4294967295EEENS1_25partition_config_selectorILNS1_17partition_subalgoE4EjNS0_10empty_typeEbEEZZNS1_14partition_implILS8_4ELb0ES6_15HIP_vector_typeIjLj2EENS0_17counting_iteratorIjlEEPS9_SG_NS0_5tupleIJPjSI_NS0_16reverse_iteratorISI_EEEEENSH_IJSG_SG_SG_EEES9_SI_JZNS1_25segmented_radix_sort_implINS0_14default_configELb0EPKhPhPKlPlN2at6native12_GLOBAL__N_18offset_tEEE10hipError_tPvRmT1_PNSt15iterator_traitsIS12_E10value_typeET2_T3_PNS13_IS18_E10value_typeET4_jRbjT5_S1E_jjP12ihipStream_tbEUljE_ZNSN_ISO_Lb0ESQ_SR_ST_SU_SY_EESZ_S10_S11_S12_S16_S17_S18_S1B_S1C_jS1D_jS1E_S1E_jjS1G_bEUljE0_EEESZ_S10_S11_S18_S1C_S1E_T6_T7_T9_mT8_S1G_bDpT10_ENKUlT_T0_E_clISt17integral_constantIbLb1EES1U_EEDaS1P_S1Q_EUlS1P_E_NS1_11comp_targetILNS1_3genE10ELNS1_11target_archE1200ELNS1_3gpuE4ELNS1_3repE0EEENS1_30default_config_static_selectorELNS0_4arch9wavefront6targetE1EEEvS12_.private_seg_size, 0
	.set _ZN7rocprim17ROCPRIM_400000_NS6detail17trampoline_kernelINS0_13select_configILj256ELj13ELNS0_17block_load_methodE3ELS4_3ELS4_3ELNS0_20block_scan_algorithmE0ELj4294967295EEENS1_25partition_config_selectorILNS1_17partition_subalgoE4EjNS0_10empty_typeEbEEZZNS1_14partition_implILS8_4ELb0ES6_15HIP_vector_typeIjLj2EENS0_17counting_iteratorIjlEEPS9_SG_NS0_5tupleIJPjSI_NS0_16reverse_iteratorISI_EEEEENSH_IJSG_SG_SG_EEES9_SI_JZNS1_25segmented_radix_sort_implINS0_14default_configELb0EPKhPhPKlPlN2at6native12_GLOBAL__N_18offset_tEEE10hipError_tPvRmT1_PNSt15iterator_traitsIS12_E10value_typeET2_T3_PNS13_IS18_E10value_typeET4_jRbjT5_S1E_jjP12ihipStream_tbEUljE_ZNSN_ISO_Lb0ESQ_SR_ST_SU_SY_EESZ_S10_S11_S12_S16_S17_S18_S1B_S1C_jS1D_jS1E_S1E_jjS1G_bEUljE0_EEESZ_S10_S11_S18_S1C_S1E_T6_T7_T9_mT8_S1G_bDpT10_ENKUlT_T0_E_clISt17integral_constantIbLb1EES1U_EEDaS1P_S1Q_EUlS1P_E_NS1_11comp_targetILNS1_3genE10ELNS1_11target_archE1200ELNS1_3gpuE4ELNS1_3repE0EEENS1_30default_config_static_selectorELNS0_4arch9wavefront6targetE1EEEvS12_.uses_vcc, 0
	.set _ZN7rocprim17ROCPRIM_400000_NS6detail17trampoline_kernelINS0_13select_configILj256ELj13ELNS0_17block_load_methodE3ELS4_3ELS4_3ELNS0_20block_scan_algorithmE0ELj4294967295EEENS1_25partition_config_selectorILNS1_17partition_subalgoE4EjNS0_10empty_typeEbEEZZNS1_14partition_implILS8_4ELb0ES6_15HIP_vector_typeIjLj2EENS0_17counting_iteratorIjlEEPS9_SG_NS0_5tupleIJPjSI_NS0_16reverse_iteratorISI_EEEEENSH_IJSG_SG_SG_EEES9_SI_JZNS1_25segmented_radix_sort_implINS0_14default_configELb0EPKhPhPKlPlN2at6native12_GLOBAL__N_18offset_tEEE10hipError_tPvRmT1_PNSt15iterator_traitsIS12_E10value_typeET2_T3_PNS13_IS18_E10value_typeET4_jRbjT5_S1E_jjP12ihipStream_tbEUljE_ZNSN_ISO_Lb0ESQ_SR_ST_SU_SY_EESZ_S10_S11_S12_S16_S17_S18_S1B_S1C_jS1D_jS1E_S1E_jjS1G_bEUljE0_EEESZ_S10_S11_S18_S1C_S1E_T6_T7_T9_mT8_S1G_bDpT10_ENKUlT_T0_E_clISt17integral_constantIbLb1EES1U_EEDaS1P_S1Q_EUlS1P_E_NS1_11comp_targetILNS1_3genE10ELNS1_11target_archE1200ELNS1_3gpuE4ELNS1_3repE0EEENS1_30default_config_static_selectorELNS0_4arch9wavefront6targetE1EEEvS12_.uses_flat_scratch, 0
	.set _ZN7rocprim17ROCPRIM_400000_NS6detail17trampoline_kernelINS0_13select_configILj256ELj13ELNS0_17block_load_methodE3ELS4_3ELS4_3ELNS0_20block_scan_algorithmE0ELj4294967295EEENS1_25partition_config_selectorILNS1_17partition_subalgoE4EjNS0_10empty_typeEbEEZZNS1_14partition_implILS8_4ELb0ES6_15HIP_vector_typeIjLj2EENS0_17counting_iteratorIjlEEPS9_SG_NS0_5tupleIJPjSI_NS0_16reverse_iteratorISI_EEEEENSH_IJSG_SG_SG_EEES9_SI_JZNS1_25segmented_radix_sort_implINS0_14default_configELb0EPKhPhPKlPlN2at6native12_GLOBAL__N_18offset_tEEE10hipError_tPvRmT1_PNSt15iterator_traitsIS12_E10value_typeET2_T3_PNS13_IS18_E10value_typeET4_jRbjT5_S1E_jjP12ihipStream_tbEUljE_ZNSN_ISO_Lb0ESQ_SR_ST_SU_SY_EESZ_S10_S11_S12_S16_S17_S18_S1B_S1C_jS1D_jS1E_S1E_jjS1G_bEUljE0_EEESZ_S10_S11_S18_S1C_S1E_T6_T7_T9_mT8_S1G_bDpT10_ENKUlT_T0_E_clISt17integral_constantIbLb1EES1U_EEDaS1P_S1Q_EUlS1P_E_NS1_11comp_targetILNS1_3genE10ELNS1_11target_archE1200ELNS1_3gpuE4ELNS1_3repE0EEENS1_30default_config_static_selectorELNS0_4arch9wavefront6targetE1EEEvS12_.has_dyn_sized_stack, 0
	.set _ZN7rocprim17ROCPRIM_400000_NS6detail17trampoline_kernelINS0_13select_configILj256ELj13ELNS0_17block_load_methodE3ELS4_3ELS4_3ELNS0_20block_scan_algorithmE0ELj4294967295EEENS1_25partition_config_selectorILNS1_17partition_subalgoE4EjNS0_10empty_typeEbEEZZNS1_14partition_implILS8_4ELb0ES6_15HIP_vector_typeIjLj2EENS0_17counting_iteratorIjlEEPS9_SG_NS0_5tupleIJPjSI_NS0_16reverse_iteratorISI_EEEEENSH_IJSG_SG_SG_EEES9_SI_JZNS1_25segmented_radix_sort_implINS0_14default_configELb0EPKhPhPKlPlN2at6native12_GLOBAL__N_18offset_tEEE10hipError_tPvRmT1_PNSt15iterator_traitsIS12_E10value_typeET2_T3_PNS13_IS18_E10value_typeET4_jRbjT5_S1E_jjP12ihipStream_tbEUljE_ZNSN_ISO_Lb0ESQ_SR_ST_SU_SY_EESZ_S10_S11_S12_S16_S17_S18_S1B_S1C_jS1D_jS1E_S1E_jjS1G_bEUljE0_EEESZ_S10_S11_S18_S1C_S1E_T6_T7_T9_mT8_S1G_bDpT10_ENKUlT_T0_E_clISt17integral_constantIbLb1EES1U_EEDaS1P_S1Q_EUlS1P_E_NS1_11comp_targetILNS1_3genE10ELNS1_11target_archE1200ELNS1_3gpuE4ELNS1_3repE0EEENS1_30default_config_static_selectorELNS0_4arch9wavefront6targetE1EEEvS12_.has_recursion, 0
	.set _ZN7rocprim17ROCPRIM_400000_NS6detail17trampoline_kernelINS0_13select_configILj256ELj13ELNS0_17block_load_methodE3ELS4_3ELS4_3ELNS0_20block_scan_algorithmE0ELj4294967295EEENS1_25partition_config_selectorILNS1_17partition_subalgoE4EjNS0_10empty_typeEbEEZZNS1_14partition_implILS8_4ELb0ES6_15HIP_vector_typeIjLj2EENS0_17counting_iteratorIjlEEPS9_SG_NS0_5tupleIJPjSI_NS0_16reverse_iteratorISI_EEEEENSH_IJSG_SG_SG_EEES9_SI_JZNS1_25segmented_radix_sort_implINS0_14default_configELb0EPKhPhPKlPlN2at6native12_GLOBAL__N_18offset_tEEE10hipError_tPvRmT1_PNSt15iterator_traitsIS12_E10value_typeET2_T3_PNS13_IS18_E10value_typeET4_jRbjT5_S1E_jjP12ihipStream_tbEUljE_ZNSN_ISO_Lb0ESQ_SR_ST_SU_SY_EESZ_S10_S11_S12_S16_S17_S18_S1B_S1C_jS1D_jS1E_S1E_jjS1G_bEUljE0_EEESZ_S10_S11_S18_S1C_S1E_T6_T7_T9_mT8_S1G_bDpT10_ENKUlT_T0_E_clISt17integral_constantIbLb1EES1U_EEDaS1P_S1Q_EUlS1P_E_NS1_11comp_targetILNS1_3genE10ELNS1_11target_archE1200ELNS1_3gpuE4ELNS1_3repE0EEENS1_30default_config_static_selectorELNS0_4arch9wavefront6targetE1EEEvS12_.has_indirect_call, 0
	.section	.AMDGPU.csdata,"",@progbits
; Kernel info:
; codeLenInByte = 0
; TotalNumSgprs: 4
; NumVgprs: 0
; ScratchSize: 0
; MemoryBound: 0
; FloatMode: 240
; IeeeMode: 1
; LDSByteSize: 0 bytes/workgroup (compile time only)
; SGPRBlocks: 0
; VGPRBlocks: 0
; NumSGPRsForWavesPerEU: 4
; NumVGPRsForWavesPerEU: 1
; Occupancy: 10
; WaveLimiterHint : 0
; COMPUTE_PGM_RSRC2:SCRATCH_EN: 0
; COMPUTE_PGM_RSRC2:USER_SGPR: 6
; COMPUTE_PGM_RSRC2:TRAP_HANDLER: 0
; COMPUTE_PGM_RSRC2:TGID_X_EN: 1
; COMPUTE_PGM_RSRC2:TGID_Y_EN: 0
; COMPUTE_PGM_RSRC2:TGID_Z_EN: 0
; COMPUTE_PGM_RSRC2:TIDIG_COMP_CNT: 0
	.section	.text._ZN7rocprim17ROCPRIM_400000_NS6detail17trampoline_kernelINS0_13select_configILj256ELj13ELNS0_17block_load_methodE3ELS4_3ELS4_3ELNS0_20block_scan_algorithmE0ELj4294967295EEENS1_25partition_config_selectorILNS1_17partition_subalgoE4EjNS0_10empty_typeEbEEZZNS1_14partition_implILS8_4ELb0ES6_15HIP_vector_typeIjLj2EENS0_17counting_iteratorIjlEEPS9_SG_NS0_5tupleIJPjSI_NS0_16reverse_iteratorISI_EEEEENSH_IJSG_SG_SG_EEES9_SI_JZNS1_25segmented_radix_sort_implINS0_14default_configELb0EPKhPhPKlPlN2at6native12_GLOBAL__N_18offset_tEEE10hipError_tPvRmT1_PNSt15iterator_traitsIS12_E10value_typeET2_T3_PNS13_IS18_E10value_typeET4_jRbjT5_S1E_jjP12ihipStream_tbEUljE_ZNSN_ISO_Lb0ESQ_SR_ST_SU_SY_EESZ_S10_S11_S12_S16_S17_S18_S1B_S1C_jS1D_jS1E_S1E_jjS1G_bEUljE0_EEESZ_S10_S11_S18_S1C_S1E_T6_T7_T9_mT8_S1G_bDpT10_ENKUlT_T0_E_clISt17integral_constantIbLb1EES1U_EEDaS1P_S1Q_EUlS1P_E_NS1_11comp_targetILNS1_3genE9ELNS1_11target_archE1100ELNS1_3gpuE3ELNS1_3repE0EEENS1_30default_config_static_selectorELNS0_4arch9wavefront6targetE1EEEvS12_,"axG",@progbits,_ZN7rocprim17ROCPRIM_400000_NS6detail17trampoline_kernelINS0_13select_configILj256ELj13ELNS0_17block_load_methodE3ELS4_3ELS4_3ELNS0_20block_scan_algorithmE0ELj4294967295EEENS1_25partition_config_selectorILNS1_17partition_subalgoE4EjNS0_10empty_typeEbEEZZNS1_14partition_implILS8_4ELb0ES6_15HIP_vector_typeIjLj2EENS0_17counting_iteratorIjlEEPS9_SG_NS0_5tupleIJPjSI_NS0_16reverse_iteratorISI_EEEEENSH_IJSG_SG_SG_EEES9_SI_JZNS1_25segmented_radix_sort_implINS0_14default_configELb0EPKhPhPKlPlN2at6native12_GLOBAL__N_18offset_tEEE10hipError_tPvRmT1_PNSt15iterator_traitsIS12_E10value_typeET2_T3_PNS13_IS18_E10value_typeET4_jRbjT5_S1E_jjP12ihipStream_tbEUljE_ZNSN_ISO_Lb0ESQ_SR_ST_SU_SY_EESZ_S10_S11_S12_S16_S17_S18_S1B_S1C_jS1D_jS1E_S1E_jjS1G_bEUljE0_EEESZ_S10_S11_S18_S1C_S1E_T6_T7_T9_mT8_S1G_bDpT10_ENKUlT_T0_E_clISt17integral_constantIbLb1EES1U_EEDaS1P_S1Q_EUlS1P_E_NS1_11comp_targetILNS1_3genE9ELNS1_11target_archE1100ELNS1_3gpuE3ELNS1_3repE0EEENS1_30default_config_static_selectorELNS0_4arch9wavefront6targetE1EEEvS12_,comdat
	.globl	_ZN7rocprim17ROCPRIM_400000_NS6detail17trampoline_kernelINS0_13select_configILj256ELj13ELNS0_17block_load_methodE3ELS4_3ELS4_3ELNS0_20block_scan_algorithmE0ELj4294967295EEENS1_25partition_config_selectorILNS1_17partition_subalgoE4EjNS0_10empty_typeEbEEZZNS1_14partition_implILS8_4ELb0ES6_15HIP_vector_typeIjLj2EENS0_17counting_iteratorIjlEEPS9_SG_NS0_5tupleIJPjSI_NS0_16reverse_iteratorISI_EEEEENSH_IJSG_SG_SG_EEES9_SI_JZNS1_25segmented_radix_sort_implINS0_14default_configELb0EPKhPhPKlPlN2at6native12_GLOBAL__N_18offset_tEEE10hipError_tPvRmT1_PNSt15iterator_traitsIS12_E10value_typeET2_T3_PNS13_IS18_E10value_typeET4_jRbjT5_S1E_jjP12ihipStream_tbEUljE_ZNSN_ISO_Lb0ESQ_SR_ST_SU_SY_EESZ_S10_S11_S12_S16_S17_S18_S1B_S1C_jS1D_jS1E_S1E_jjS1G_bEUljE0_EEESZ_S10_S11_S18_S1C_S1E_T6_T7_T9_mT8_S1G_bDpT10_ENKUlT_T0_E_clISt17integral_constantIbLb1EES1U_EEDaS1P_S1Q_EUlS1P_E_NS1_11comp_targetILNS1_3genE9ELNS1_11target_archE1100ELNS1_3gpuE3ELNS1_3repE0EEENS1_30default_config_static_selectorELNS0_4arch9wavefront6targetE1EEEvS12_ ; -- Begin function _ZN7rocprim17ROCPRIM_400000_NS6detail17trampoline_kernelINS0_13select_configILj256ELj13ELNS0_17block_load_methodE3ELS4_3ELS4_3ELNS0_20block_scan_algorithmE0ELj4294967295EEENS1_25partition_config_selectorILNS1_17partition_subalgoE4EjNS0_10empty_typeEbEEZZNS1_14partition_implILS8_4ELb0ES6_15HIP_vector_typeIjLj2EENS0_17counting_iteratorIjlEEPS9_SG_NS0_5tupleIJPjSI_NS0_16reverse_iteratorISI_EEEEENSH_IJSG_SG_SG_EEES9_SI_JZNS1_25segmented_radix_sort_implINS0_14default_configELb0EPKhPhPKlPlN2at6native12_GLOBAL__N_18offset_tEEE10hipError_tPvRmT1_PNSt15iterator_traitsIS12_E10value_typeET2_T3_PNS13_IS18_E10value_typeET4_jRbjT5_S1E_jjP12ihipStream_tbEUljE_ZNSN_ISO_Lb0ESQ_SR_ST_SU_SY_EESZ_S10_S11_S12_S16_S17_S18_S1B_S1C_jS1D_jS1E_S1E_jjS1G_bEUljE0_EEESZ_S10_S11_S18_S1C_S1E_T6_T7_T9_mT8_S1G_bDpT10_ENKUlT_T0_E_clISt17integral_constantIbLb1EES1U_EEDaS1P_S1Q_EUlS1P_E_NS1_11comp_targetILNS1_3genE9ELNS1_11target_archE1100ELNS1_3gpuE3ELNS1_3repE0EEENS1_30default_config_static_selectorELNS0_4arch9wavefront6targetE1EEEvS12_
	.p2align	8
	.type	_ZN7rocprim17ROCPRIM_400000_NS6detail17trampoline_kernelINS0_13select_configILj256ELj13ELNS0_17block_load_methodE3ELS4_3ELS4_3ELNS0_20block_scan_algorithmE0ELj4294967295EEENS1_25partition_config_selectorILNS1_17partition_subalgoE4EjNS0_10empty_typeEbEEZZNS1_14partition_implILS8_4ELb0ES6_15HIP_vector_typeIjLj2EENS0_17counting_iteratorIjlEEPS9_SG_NS0_5tupleIJPjSI_NS0_16reverse_iteratorISI_EEEEENSH_IJSG_SG_SG_EEES9_SI_JZNS1_25segmented_radix_sort_implINS0_14default_configELb0EPKhPhPKlPlN2at6native12_GLOBAL__N_18offset_tEEE10hipError_tPvRmT1_PNSt15iterator_traitsIS12_E10value_typeET2_T3_PNS13_IS18_E10value_typeET4_jRbjT5_S1E_jjP12ihipStream_tbEUljE_ZNSN_ISO_Lb0ESQ_SR_ST_SU_SY_EESZ_S10_S11_S12_S16_S17_S18_S1B_S1C_jS1D_jS1E_S1E_jjS1G_bEUljE0_EEESZ_S10_S11_S18_S1C_S1E_T6_T7_T9_mT8_S1G_bDpT10_ENKUlT_T0_E_clISt17integral_constantIbLb1EES1U_EEDaS1P_S1Q_EUlS1P_E_NS1_11comp_targetILNS1_3genE9ELNS1_11target_archE1100ELNS1_3gpuE3ELNS1_3repE0EEENS1_30default_config_static_selectorELNS0_4arch9wavefront6targetE1EEEvS12_,@function
_ZN7rocprim17ROCPRIM_400000_NS6detail17trampoline_kernelINS0_13select_configILj256ELj13ELNS0_17block_load_methodE3ELS4_3ELS4_3ELNS0_20block_scan_algorithmE0ELj4294967295EEENS1_25partition_config_selectorILNS1_17partition_subalgoE4EjNS0_10empty_typeEbEEZZNS1_14partition_implILS8_4ELb0ES6_15HIP_vector_typeIjLj2EENS0_17counting_iteratorIjlEEPS9_SG_NS0_5tupleIJPjSI_NS0_16reverse_iteratorISI_EEEEENSH_IJSG_SG_SG_EEES9_SI_JZNS1_25segmented_radix_sort_implINS0_14default_configELb0EPKhPhPKlPlN2at6native12_GLOBAL__N_18offset_tEEE10hipError_tPvRmT1_PNSt15iterator_traitsIS12_E10value_typeET2_T3_PNS13_IS18_E10value_typeET4_jRbjT5_S1E_jjP12ihipStream_tbEUljE_ZNSN_ISO_Lb0ESQ_SR_ST_SU_SY_EESZ_S10_S11_S12_S16_S17_S18_S1B_S1C_jS1D_jS1E_S1E_jjS1G_bEUljE0_EEESZ_S10_S11_S18_S1C_S1E_T6_T7_T9_mT8_S1G_bDpT10_ENKUlT_T0_E_clISt17integral_constantIbLb1EES1U_EEDaS1P_S1Q_EUlS1P_E_NS1_11comp_targetILNS1_3genE9ELNS1_11target_archE1100ELNS1_3gpuE3ELNS1_3repE0EEENS1_30default_config_static_selectorELNS0_4arch9wavefront6targetE1EEEvS12_: ; @_ZN7rocprim17ROCPRIM_400000_NS6detail17trampoline_kernelINS0_13select_configILj256ELj13ELNS0_17block_load_methodE3ELS4_3ELS4_3ELNS0_20block_scan_algorithmE0ELj4294967295EEENS1_25partition_config_selectorILNS1_17partition_subalgoE4EjNS0_10empty_typeEbEEZZNS1_14partition_implILS8_4ELb0ES6_15HIP_vector_typeIjLj2EENS0_17counting_iteratorIjlEEPS9_SG_NS0_5tupleIJPjSI_NS0_16reverse_iteratorISI_EEEEENSH_IJSG_SG_SG_EEES9_SI_JZNS1_25segmented_radix_sort_implINS0_14default_configELb0EPKhPhPKlPlN2at6native12_GLOBAL__N_18offset_tEEE10hipError_tPvRmT1_PNSt15iterator_traitsIS12_E10value_typeET2_T3_PNS13_IS18_E10value_typeET4_jRbjT5_S1E_jjP12ihipStream_tbEUljE_ZNSN_ISO_Lb0ESQ_SR_ST_SU_SY_EESZ_S10_S11_S12_S16_S17_S18_S1B_S1C_jS1D_jS1E_S1E_jjS1G_bEUljE0_EEESZ_S10_S11_S18_S1C_S1E_T6_T7_T9_mT8_S1G_bDpT10_ENKUlT_T0_E_clISt17integral_constantIbLb1EES1U_EEDaS1P_S1Q_EUlS1P_E_NS1_11comp_targetILNS1_3genE9ELNS1_11target_archE1100ELNS1_3gpuE3ELNS1_3repE0EEENS1_30default_config_static_selectorELNS0_4arch9wavefront6targetE1EEEvS12_
; %bb.0:
	.section	.rodata,"a",@progbits
	.p2align	6, 0x0
	.amdhsa_kernel _ZN7rocprim17ROCPRIM_400000_NS6detail17trampoline_kernelINS0_13select_configILj256ELj13ELNS0_17block_load_methodE3ELS4_3ELS4_3ELNS0_20block_scan_algorithmE0ELj4294967295EEENS1_25partition_config_selectorILNS1_17partition_subalgoE4EjNS0_10empty_typeEbEEZZNS1_14partition_implILS8_4ELb0ES6_15HIP_vector_typeIjLj2EENS0_17counting_iteratorIjlEEPS9_SG_NS0_5tupleIJPjSI_NS0_16reverse_iteratorISI_EEEEENSH_IJSG_SG_SG_EEES9_SI_JZNS1_25segmented_radix_sort_implINS0_14default_configELb0EPKhPhPKlPlN2at6native12_GLOBAL__N_18offset_tEEE10hipError_tPvRmT1_PNSt15iterator_traitsIS12_E10value_typeET2_T3_PNS13_IS18_E10value_typeET4_jRbjT5_S1E_jjP12ihipStream_tbEUljE_ZNSN_ISO_Lb0ESQ_SR_ST_SU_SY_EESZ_S10_S11_S12_S16_S17_S18_S1B_S1C_jS1D_jS1E_S1E_jjS1G_bEUljE0_EEESZ_S10_S11_S18_S1C_S1E_T6_T7_T9_mT8_S1G_bDpT10_ENKUlT_T0_E_clISt17integral_constantIbLb1EES1U_EEDaS1P_S1Q_EUlS1P_E_NS1_11comp_targetILNS1_3genE9ELNS1_11target_archE1100ELNS1_3gpuE3ELNS1_3repE0EEENS1_30default_config_static_selectorELNS0_4arch9wavefront6targetE1EEEvS12_
		.amdhsa_group_segment_fixed_size 0
		.amdhsa_private_segment_fixed_size 0
		.amdhsa_kernarg_size 184
		.amdhsa_user_sgpr_count 6
		.amdhsa_user_sgpr_private_segment_buffer 1
		.amdhsa_user_sgpr_dispatch_ptr 0
		.amdhsa_user_sgpr_queue_ptr 0
		.amdhsa_user_sgpr_kernarg_segment_ptr 1
		.amdhsa_user_sgpr_dispatch_id 0
		.amdhsa_user_sgpr_flat_scratch_init 0
		.amdhsa_user_sgpr_private_segment_size 0
		.amdhsa_uses_dynamic_stack 0
		.amdhsa_system_sgpr_private_segment_wavefront_offset 0
		.amdhsa_system_sgpr_workgroup_id_x 1
		.amdhsa_system_sgpr_workgroup_id_y 0
		.amdhsa_system_sgpr_workgroup_id_z 0
		.amdhsa_system_sgpr_workgroup_info 0
		.amdhsa_system_vgpr_workitem_id 0
		.amdhsa_next_free_vgpr 1
		.amdhsa_next_free_sgpr 0
		.amdhsa_reserve_vcc 0
		.amdhsa_reserve_flat_scratch 0
		.amdhsa_float_round_mode_32 0
		.amdhsa_float_round_mode_16_64 0
		.amdhsa_float_denorm_mode_32 3
		.amdhsa_float_denorm_mode_16_64 3
		.amdhsa_dx10_clamp 1
		.amdhsa_ieee_mode 1
		.amdhsa_fp16_overflow 0
		.amdhsa_exception_fp_ieee_invalid_op 0
		.amdhsa_exception_fp_denorm_src 0
		.amdhsa_exception_fp_ieee_div_zero 0
		.amdhsa_exception_fp_ieee_overflow 0
		.amdhsa_exception_fp_ieee_underflow 0
		.amdhsa_exception_fp_ieee_inexact 0
		.amdhsa_exception_int_div_zero 0
	.end_amdhsa_kernel
	.section	.text._ZN7rocprim17ROCPRIM_400000_NS6detail17trampoline_kernelINS0_13select_configILj256ELj13ELNS0_17block_load_methodE3ELS4_3ELS4_3ELNS0_20block_scan_algorithmE0ELj4294967295EEENS1_25partition_config_selectorILNS1_17partition_subalgoE4EjNS0_10empty_typeEbEEZZNS1_14partition_implILS8_4ELb0ES6_15HIP_vector_typeIjLj2EENS0_17counting_iteratorIjlEEPS9_SG_NS0_5tupleIJPjSI_NS0_16reverse_iteratorISI_EEEEENSH_IJSG_SG_SG_EEES9_SI_JZNS1_25segmented_radix_sort_implINS0_14default_configELb0EPKhPhPKlPlN2at6native12_GLOBAL__N_18offset_tEEE10hipError_tPvRmT1_PNSt15iterator_traitsIS12_E10value_typeET2_T3_PNS13_IS18_E10value_typeET4_jRbjT5_S1E_jjP12ihipStream_tbEUljE_ZNSN_ISO_Lb0ESQ_SR_ST_SU_SY_EESZ_S10_S11_S12_S16_S17_S18_S1B_S1C_jS1D_jS1E_S1E_jjS1G_bEUljE0_EEESZ_S10_S11_S18_S1C_S1E_T6_T7_T9_mT8_S1G_bDpT10_ENKUlT_T0_E_clISt17integral_constantIbLb1EES1U_EEDaS1P_S1Q_EUlS1P_E_NS1_11comp_targetILNS1_3genE9ELNS1_11target_archE1100ELNS1_3gpuE3ELNS1_3repE0EEENS1_30default_config_static_selectorELNS0_4arch9wavefront6targetE1EEEvS12_,"axG",@progbits,_ZN7rocprim17ROCPRIM_400000_NS6detail17trampoline_kernelINS0_13select_configILj256ELj13ELNS0_17block_load_methodE3ELS4_3ELS4_3ELNS0_20block_scan_algorithmE0ELj4294967295EEENS1_25partition_config_selectorILNS1_17partition_subalgoE4EjNS0_10empty_typeEbEEZZNS1_14partition_implILS8_4ELb0ES6_15HIP_vector_typeIjLj2EENS0_17counting_iteratorIjlEEPS9_SG_NS0_5tupleIJPjSI_NS0_16reverse_iteratorISI_EEEEENSH_IJSG_SG_SG_EEES9_SI_JZNS1_25segmented_radix_sort_implINS0_14default_configELb0EPKhPhPKlPlN2at6native12_GLOBAL__N_18offset_tEEE10hipError_tPvRmT1_PNSt15iterator_traitsIS12_E10value_typeET2_T3_PNS13_IS18_E10value_typeET4_jRbjT5_S1E_jjP12ihipStream_tbEUljE_ZNSN_ISO_Lb0ESQ_SR_ST_SU_SY_EESZ_S10_S11_S12_S16_S17_S18_S1B_S1C_jS1D_jS1E_S1E_jjS1G_bEUljE0_EEESZ_S10_S11_S18_S1C_S1E_T6_T7_T9_mT8_S1G_bDpT10_ENKUlT_T0_E_clISt17integral_constantIbLb1EES1U_EEDaS1P_S1Q_EUlS1P_E_NS1_11comp_targetILNS1_3genE9ELNS1_11target_archE1100ELNS1_3gpuE3ELNS1_3repE0EEENS1_30default_config_static_selectorELNS0_4arch9wavefront6targetE1EEEvS12_,comdat
.Lfunc_end136:
	.size	_ZN7rocprim17ROCPRIM_400000_NS6detail17trampoline_kernelINS0_13select_configILj256ELj13ELNS0_17block_load_methodE3ELS4_3ELS4_3ELNS0_20block_scan_algorithmE0ELj4294967295EEENS1_25partition_config_selectorILNS1_17partition_subalgoE4EjNS0_10empty_typeEbEEZZNS1_14partition_implILS8_4ELb0ES6_15HIP_vector_typeIjLj2EENS0_17counting_iteratorIjlEEPS9_SG_NS0_5tupleIJPjSI_NS0_16reverse_iteratorISI_EEEEENSH_IJSG_SG_SG_EEES9_SI_JZNS1_25segmented_radix_sort_implINS0_14default_configELb0EPKhPhPKlPlN2at6native12_GLOBAL__N_18offset_tEEE10hipError_tPvRmT1_PNSt15iterator_traitsIS12_E10value_typeET2_T3_PNS13_IS18_E10value_typeET4_jRbjT5_S1E_jjP12ihipStream_tbEUljE_ZNSN_ISO_Lb0ESQ_SR_ST_SU_SY_EESZ_S10_S11_S12_S16_S17_S18_S1B_S1C_jS1D_jS1E_S1E_jjS1G_bEUljE0_EEESZ_S10_S11_S18_S1C_S1E_T6_T7_T9_mT8_S1G_bDpT10_ENKUlT_T0_E_clISt17integral_constantIbLb1EES1U_EEDaS1P_S1Q_EUlS1P_E_NS1_11comp_targetILNS1_3genE9ELNS1_11target_archE1100ELNS1_3gpuE3ELNS1_3repE0EEENS1_30default_config_static_selectorELNS0_4arch9wavefront6targetE1EEEvS12_, .Lfunc_end136-_ZN7rocprim17ROCPRIM_400000_NS6detail17trampoline_kernelINS0_13select_configILj256ELj13ELNS0_17block_load_methodE3ELS4_3ELS4_3ELNS0_20block_scan_algorithmE0ELj4294967295EEENS1_25partition_config_selectorILNS1_17partition_subalgoE4EjNS0_10empty_typeEbEEZZNS1_14partition_implILS8_4ELb0ES6_15HIP_vector_typeIjLj2EENS0_17counting_iteratorIjlEEPS9_SG_NS0_5tupleIJPjSI_NS0_16reverse_iteratorISI_EEEEENSH_IJSG_SG_SG_EEES9_SI_JZNS1_25segmented_radix_sort_implINS0_14default_configELb0EPKhPhPKlPlN2at6native12_GLOBAL__N_18offset_tEEE10hipError_tPvRmT1_PNSt15iterator_traitsIS12_E10value_typeET2_T3_PNS13_IS18_E10value_typeET4_jRbjT5_S1E_jjP12ihipStream_tbEUljE_ZNSN_ISO_Lb0ESQ_SR_ST_SU_SY_EESZ_S10_S11_S12_S16_S17_S18_S1B_S1C_jS1D_jS1E_S1E_jjS1G_bEUljE0_EEESZ_S10_S11_S18_S1C_S1E_T6_T7_T9_mT8_S1G_bDpT10_ENKUlT_T0_E_clISt17integral_constantIbLb1EES1U_EEDaS1P_S1Q_EUlS1P_E_NS1_11comp_targetILNS1_3genE9ELNS1_11target_archE1100ELNS1_3gpuE3ELNS1_3repE0EEENS1_30default_config_static_selectorELNS0_4arch9wavefront6targetE1EEEvS12_
                                        ; -- End function
	.set _ZN7rocprim17ROCPRIM_400000_NS6detail17trampoline_kernelINS0_13select_configILj256ELj13ELNS0_17block_load_methodE3ELS4_3ELS4_3ELNS0_20block_scan_algorithmE0ELj4294967295EEENS1_25partition_config_selectorILNS1_17partition_subalgoE4EjNS0_10empty_typeEbEEZZNS1_14partition_implILS8_4ELb0ES6_15HIP_vector_typeIjLj2EENS0_17counting_iteratorIjlEEPS9_SG_NS0_5tupleIJPjSI_NS0_16reverse_iteratorISI_EEEEENSH_IJSG_SG_SG_EEES9_SI_JZNS1_25segmented_radix_sort_implINS0_14default_configELb0EPKhPhPKlPlN2at6native12_GLOBAL__N_18offset_tEEE10hipError_tPvRmT1_PNSt15iterator_traitsIS12_E10value_typeET2_T3_PNS13_IS18_E10value_typeET4_jRbjT5_S1E_jjP12ihipStream_tbEUljE_ZNSN_ISO_Lb0ESQ_SR_ST_SU_SY_EESZ_S10_S11_S12_S16_S17_S18_S1B_S1C_jS1D_jS1E_S1E_jjS1G_bEUljE0_EEESZ_S10_S11_S18_S1C_S1E_T6_T7_T9_mT8_S1G_bDpT10_ENKUlT_T0_E_clISt17integral_constantIbLb1EES1U_EEDaS1P_S1Q_EUlS1P_E_NS1_11comp_targetILNS1_3genE9ELNS1_11target_archE1100ELNS1_3gpuE3ELNS1_3repE0EEENS1_30default_config_static_selectorELNS0_4arch9wavefront6targetE1EEEvS12_.num_vgpr, 0
	.set _ZN7rocprim17ROCPRIM_400000_NS6detail17trampoline_kernelINS0_13select_configILj256ELj13ELNS0_17block_load_methodE3ELS4_3ELS4_3ELNS0_20block_scan_algorithmE0ELj4294967295EEENS1_25partition_config_selectorILNS1_17partition_subalgoE4EjNS0_10empty_typeEbEEZZNS1_14partition_implILS8_4ELb0ES6_15HIP_vector_typeIjLj2EENS0_17counting_iteratorIjlEEPS9_SG_NS0_5tupleIJPjSI_NS0_16reverse_iteratorISI_EEEEENSH_IJSG_SG_SG_EEES9_SI_JZNS1_25segmented_radix_sort_implINS0_14default_configELb0EPKhPhPKlPlN2at6native12_GLOBAL__N_18offset_tEEE10hipError_tPvRmT1_PNSt15iterator_traitsIS12_E10value_typeET2_T3_PNS13_IS18_E10value_typeET4_jRbjT5_S1E_jjP12ihipStream_tbEUljE_ZNSN_ISO_Lb0ESQ_SR_ST_SU_SY_EESZ_S10_S11_S12_S16_S17_S18_S1B_S1C_jS1D_jS1E_S1E_jjS1G_bEUljE0_EEESZ_S10_S11_S18_S1C_S1E_T6_T7_T9_mT8_S1G_bDpT10_ENKUlT_T0_E_clISt17integral_constantIbLb1EES1U_EEDaS1P_S1Q_EUlS1P_E_NS1_11comp_targetILNS1_3genE9ELNS1_11target_archE1100ELNS1_3gpuE3ELNS1_3repE0EEENS1_30default_config_static_selectorELNS0_4arch9wavefront6targetE1EEEvS12_.num_agpr, 0
	.set _ZN7rocprim17ROCPRIM_400000_NS6detail17trampoline_kernelINS0_13select_configILj256ELj13ELNS0_17block_load_methodE3ELS4_3ELS4_3ELNS0_20block_scan_algorithmE0ELj4294967295EEENS1_25partition_config_selectorILNS1_17partition_subalgoE4EjNS0_10empty_typeEbEEZZNS1_14partition_implILS8_4ELb0ES6_15HIP_vector_typeIjLj2EENS0_17counting_iteratorIjlEEPS9_SG_NS0_5tupleIJPjSI_NS0_16reverse_iteratorISI_EEEEENSH_IJSG_SG_SG_EEES9_SI_JZNS1_25segmented_radix_sort_implINS0_14default_configELb0EPKhPhPKlPlN2at6native12_GLOBAL__N_18offset_tEEE10hipError_tPvRmT1_PNSt15iterator_traitsIS12_E10value_typeET2_T3_PNS13_IS18_E10value_typeET4_jRbjT5_S1E_jjP12ihipStream_tbEUljE_ZNSN_ISO_Lb0ESQ_SR_ST_SU_SY_EESZ_S10_S11_S12_S16_S17_S18_S1B_S1C_jS1D_jS1E_S1E_jjS1G_bEUljE0_EEESZ_S10_S11_S18_S1C_S1E_T6_T7_T9_mT8_S1G_bDpT10_ENKUlT_T0_E_clISt17integral_constantIbLb1EES1U_EEDaS1P_S1Q_EUlS1P_E_NS1_11comp_targetILNS1_3genE9ELNS1_11target_archE1100ELNS1_3gpuE3ELNS1_3repE0EEENS1_30default_config_static_selectorELNS0_4arch9wavefront6targetE1EEEvS12_.numbered_sgpr, 0
	.set _ZN7rocprim17ROCPRIM_400000_NS6detail17trampoline_kernelINS0_13select_configILj256ELj13ELNS0_17block_load_methodE3ELS4_3ELS4_3ELNS0_20block_scan_algorithmE0ELj4294967295EEENS1_25partition_config_selectorILNS1_17partition_subalgoE4EjNS0_10empty_typeEbEEZZNS1_14partition_implILS8_4ELb0ES6_15HIP_vector_typeIjLj2EENS0_17counting_iteratorIjlEEPS9_SG_NS0_5tupleIJPjSI_NS0_16reverse_iteratorISI_EEEEENSH_IJSG_SG_SG_EEES9_SI_JZNS1_25segmented_radix_sort_implINS0_14default_configELb0EPKhPhPKlPlN2at6native12_GLOBAL__N_18offset_tEEE10hipError_tPvRmT1_PNSt15iterator_traitsIS12_E10value_typeET2_T3_PNS13_IS18_E10value_typeET4_jRbjT5_S1E_jjP12ihipStream_tbEUljE_ZNSN_ISO_Lb0ESQ_SR_ST_SU_SY_EESZ_S10_S11_S12_S16_S17_S18_S1B_S1C_jS1D_jS1E_S1E_jjS1G_bEUljE0_EEESZ_S10_S11_S18_S1C_S1E_T6_T7_T9_mT8_S1G_bDpT10_ENKUlT_T0_E_clISt17integral_constantIbLb1EES1U_EEDaS1P_S1Q_EUlS1P_E_NS1_11comp_targetILNS1_3genE9ELNS1_11target_archE1100ELNS1_3gpuE3ELNS1_3repE0EEENS1_30default_config_static_selectorELNS0_4arch9wavefront6targetE1EEEvS12_.num_named_barrier, 0
	.set _ZN7rocprim17ROCPRIM_400000_NS6detail17trampoline_kernelINS0_13select_configILj256ELj13ELNS0_17block_load_methodE3ELS4_3ELS4_3ELNS0_20block_scan_algorithmE0ELj4294967295EEENS1_25partition_config_selectorILNS1_17partition_subalgoE4EjNS0_10empty_typeEbEEZZNS1_14partition_implILS8_4ELb0ES6_15HIP_vector_typeIjLj2EENS0_17counting_iteratorIjlEEPS9_SG_NS0_5tupleIJPjSI_NS0_16reverse_iteratorISI_EEEEENSH_IJSG_SG_SG_EEES9_SI_JZNS1_25segmented_radix_sort_implINS0_14default_configELb0EPKhPhPKlPlN2at6native12_GLOBAL__N_18offset_tEEE10hipError_tPvRmT1_PNSt15iterator_traitsIS12_E10value_typeET2_T3_PNS13_IS18_E10value_typeET4_jRbjT5_S1E_jjP12ihipStream_tbEUljE_ZNSN_ISO_Lb0ESQ_SR_ST_SU_SY_EESZ_S10_S11_S12_S16_S17_S18_S1B_S1C_jS1D_jS1E_S1E_jjS1G_bEUljE0_EEESZ_S10_S11_S18_S1C_S1E_T6_T7_T9_mT8_S1G_bDpT10_ENKUlT_T0_E_clISt17integral_constantIbLb1EES1U_EEDaS1P_S1Q_EUlS1P_E_NS1_11comp_targetILNS1_3genE9ELNS1_11target_archE1100ELNS1_3gpuE3ELNS1_3repE0EEENS1_30default_config_static_selectorELNS0_4arch9wavefront6targetE1EEEvS12_.private_seg_size, 0
	.set _ZN7rocprim17ROCPRIM_400000_NS6detail17trampoline_kernelINS0_13select_configILj256ELj13ELNS0_17block_load_methodE3ELS4_3ELS4_3ELNS0_20block_scan_algorithmE0ELj4294967295EEENS1_25partition_config_selectorILNS1_17partition_subalgoE4EjNS0_10empty_typeEbEEZZNS1_14partition_implILS8_4ELb0ES6_15HIP_vector_typeIjLj2EENS0_17counting_iteratorIjlEEPS9_SG_NS0_5tupleIJPjSI_NS0_16reverse_iteratorISI_EEEEENSH_IJSG_SG_SG_EEES9_SI_JZNS1_25segmented_radix_sort_implINS0_14default_configELb0EPKhPhPKlPlN2at6native12_GLOBAL__N_18offset_tEEE10hipError_tPvRmT1_PNSt15iterator_traitsIS12_E10value_typeET2_T3_PNS13_IS18_E10value_typeET4_jRbjT5_S1E_jjP12ihipStream_tbEUljE_ZNSN_ISO_Lb0ESQ_SR_ST_SU_SY_EESZ_S10_S11_S12_S16_S17_S18_S1B_S1C_jS1D_jS1E_S1E_jjS1G_bEUljE0_EEESZ_S10_S11_S18_S1C_S1E_T6_T7_T9_mT8_S1G_bDpT10_ENKUlT_T0_E_clISt17integral_constantIbLb1EES1U_EEDaS1P_S1Q_EUlS1P_E_NS1_11comp_targetILNS1_3genE9ELNS1_11target_archE1100ELNS1_3gpuE3ELNS1_3repE0EEENS1_30default_config_static_selectorELNS0_4arch9wavefront6targetE1EEEvS12_.uses_vcc, 0
	.set _ZN7rocprim17ROCPRIM_400000_NS6detail17trampoline_kernelINS0_13select_configILj256ELj13ELNS0_17block_load_methodE3ELS4_3ELS4_3ELNS0_20block_scan_algorithmE0ELj4294967295EEENS1_25partition_config_selectorILNS1_17partition_subalgoE4EjNS0_10empty_typeEbEEZZNS1_14partition_implILS8_4ELb0ES6_15HIP_vector_typeIjLj2EENS0_17counting_iteratorIjlEEPS9_SG_NS0_5tupleIJPjSI_NS0_16reverse_iteratorISI_EEEEENSH_IJSG_SG_SG_EEES9_SI_JZNS1_25segmented_radix_sort_implINS0_14default_configELb0EPKhPhPKlPlN2at6native12_GLOBAL__N_18offset_tEEE10hipError_tPvRmT1_PNSt15iterator_traitsIS12_E10value_typeET2_T3_PNS13_IS18_E10value_typeET4_jRbjT5_S1E_jjP12ihipStream_tbEUljE_ZNSN_ISO_Lb0ESQ_SR_ST_SU_SY_EESZ_S10_S11_S12_S16_S17_S18_S1B_S1C_jS1D_jS1E_S1E_jjS1G_bEUljE0_EEESZ_S10_S11_S18_S1C_S1E_T6_T7_T9_mT8_S1G_bDpT10_ENKUlT_T0_E_clISt17integral_constantIbLb1EES1U_EEDaS1P_S1Q_EUlS1P_E_NS1_11comp_targetILNS1_3genE9ELNS1_11target_archE1100ELNS1_3gpuE3ELNS1_3repE0EEENS1_30default_config_static_selectorELNS0_4arch9wavefront6targetE1EEEvS12_.uses_flat_scratch, 0
	.set _ZN7rocprim17ROCPRIM_400000_NS6detail17trampoline_kernelINS0_13select_configILj256ELj13ELNS0_17block_load_methodE3ELS4_3ELS4_3ELNS0_20block_scan_algorithmE0ELj4294967295EEENS1_25partition_config_selectorILNS1_17partition_subalgoE4EjNS0_10empty_typeEbEEZZNS1_14partition_implILS8_4ELb0ES6_15HIP_vector_typeIjLj2EENS0_17counting_iteratorIjlEEPS9_SG_NS0_5tupleIJPjSI_NS0_16reverse_iteratorISI_EEEEENSH_IJSG_SG_SG_EEES9_SI_JZNS1_25segmented_radix_sort_implINS0_14default_configELb0EPKhPhPKlPlN2at6native12_GLOBAL__N_18offset_tEEE10hipError_tPvRmT1_PNSt15iterator_traitsIS12_E10value_typeET2_T3_PNS13_IS18_E10value_typeET4_jRbjT5_S1E_jjP12ihipStream_tbEUljE_ZNSN_ISO_Lb0ESQ_SR_ST_SU_SY_EESZ_S10_S11_S12_S16_S17_S18_S1B_S1C_jS1D_jS1E_S1E_jjS1G_bEUljE0_EEESZ_S10_S11_S18_S1C_S1E_T6_T7_T9_mT8_S1G_bDpT10_ENKUlT_T0_E_clISt17integral_constantIbLb1EES1U_EEDaS1P_S1Q_EUlS1P_E_NS1_11comp_targetILNS1_3genE9ELNS1_11target_archE1100ELNS1_3gpuE3ELNS1_3repE0EEENS1_30default_config_static_selectorELNS0_4arch9wavefront6targetE1EEEvS12_.has_dyn_sized_stack, 0
	.set _ZN7rocprim17ROCPRIM_400000_NS6detail17trampoline_kernelINS0_13select_configILj256ELj13ELNS0_17block_load_methodE3ELS4_3ELS4_3ELNS0_20block_scan_algorithmE0ELj4294967295EEENS1_25partition_config_selectorILNS1_17partition_subalgoE4EjNS0_10empty_typeEbEEZZNS1_14partition_implILS8_4ELb0ES6_15HIP_vector_typeIjLj2EENS0_17counting_iteratorIjlEEPS9_SG_NS0_5tupleIJPjSI_NS0_16reverse_iteratorISI_EEEEENSH_IJSG_SG_SG_EEES9_SI_JZNS1_25segmented_radix_sort_implINS0_14default_configELb0EPKhPhPKlPlN2at6native12_GLOBAL__N_18offset_tEEE10hipError_tPvRmT1_PNSt15iterator_traitsIS12_E10value_typeET2_T3_PNS13_IS18_E10value_typeET4_jRbjT5_S1E_jjP12ihipStream_tbEUljE_ZNSN_ISO_Lb0ESQ_SR_ST_SU_SY_EESZ_S10_S11_S12_S16_S17_S18_S1B_S1C_jS1D_jS1E_S1E_jjS1G_bEUljE0_EEESZ_S10_S11_S18_S1C_S1E_T6_T7_T9_mT8_S1G_bDpT10_ENKUlT_T0_E_clISt17integral_constantIbLb1EES1U_EEDaS1P_S1Q_EUlS1P_E_NS1_11comp_targetILNS1_3genE9ELNS1_11target_archE1100ELNS1_3gpuE3ELNS1_3repE0EEENS1_30default_config_static_selectorELNS0_4arch9wavefront6targetE1EEEvS12_.has_recursion, 0
	.set _ZN7rocprim17ROCPRIM_400000_NS6detail17trampoline_kernelINS0_13select_configILj256ELj13ELNS0_17block_load_methodE3ELS4_3ELS4_3ELNS0_20block_scan_algorithmE0ELj4294967295EEENS1_25partition_config_selectorILNS1_17partition_subalgoE4EjNS0_10empty_typeEbEEZZNS1_14partition_implILS8_4ELb0ES6_15HIP_vector_typeIjLj2EENS0_17counting_iteratorIjlEEPS9_SG_NS0_5tupleIJPjSI_NS0_16reverse_iteratorISI_EEEEENSH_IJSG_SG_SG_EEES9_SI_JZNS1_25segmented_radix_sort_implINS0_14default_configELb0EPKhPhPKlPlN2at6native12_GLOBAL__N_18offset_tEEE10hipError_tPvRmT1_PNSt15iterator_traitsIS12_E10value_typeET2_T3_PNS13_IS18_E10value_typeET4_jRbjT5_S1E_jjP12ihipStream_tbEUljE_ZNSN_ISO_Lb0ESQ_SR_ST_SU_SY_EESZ_S10_S11_S12_S16_S17_S18_S1B_S1C_jS1D_jS1E_S1E_jjS1G_bEUljE0_EEESZ_S10_S11_S18_S1C_S1E_T6_T7_T9_mT8_S1G_bDpT10_ENKUlT_T0_E_clISt17integral_constantIbLb1EES1U_EEDaS1P_S1Q_EUlS1P_E_NS1_11comp_targetILNS1_3genE9ELNS1_11target_archE1100ELNS1_3gpuE3ELNS1_3repE0EEENS1_30default_config_static_selectorELNS0_4arch9wavefront6targetE1EEEvS12_.has_indirect_call, 0
	.section	.AMDGPU.csdata,"",@progbits
; Kernel info:
; codeLenInByte = 0
; TotalNumSgprs: 4
; NumVgprs: 0
; ScratchSize: 0
; MemoryBound: 0
; FloatMode: 240
; IeeeMode: 1
; LDSByteSize: 0 bytes/workgroup (compile time only)
; SGPRBlocks: 0
; VGPRBlocks: 0
; NumSGPRsForWavesPerEU: 4
; NumVGPRsForWavesPerEU: 1
; Occupancy: 10
; WaveLimiterHint : 0
; COMPUTE_PGM_RSRC2:SCRATCH_EN: 0
; COMPUTE_PGM_RSRC2:USER_SGPR: 6
; COMPUTE_PGM_RSRC2:TRAP_HANDLER: 0
; COMPUTE_PGM_RSRC2:TGID_X_EN: 1
; COMPUTE_PGM_RSRC2:TGID_Y_EN: 0
; COMPUTE_PGM_RSRC2:TGID_Z_EN: 0
; COMPUTE_PGM_RSRC2:TIDIG_COMP_CNT: 0
	.section	.text._ZN7rocprim17ROCPRIM_400000_NS6detail17trampoline_kernelINS0_13select_configILj256ELj13ELNS0_17block_load_methodE3ELS4_3ELS4_3ELNS0_20block_scan_algorithmE0ELj4294967295EEENS1_25partition_config_selectorILNS1_17partition_subalgoE4EjNS0_10empty_typeEbEEZZNS1_14partition_implILS8_4ELb0ES6_15HIP_vector_typeIjLj2EENS0_17counting_iteratorIjlEEPS9_SG_NS0_5tupleIJPjSI_NS0_16reverse_iteratorISI_EEEEENSH_IJSG_SG_SG_EEES9_SI_JZNS1_25segmented_radix_sort_implINS0_14default_configELb0EPKhPhPKlPlN2at6native12_GLOBAL__N_18offset_tEEE10hipError_tPvRmT1_PNSt15iterator_traitsIS12_E10value_typeET2_T3_PNS13_IS18_E10value_typeET4_jRbjT5_S1E_jjP12ihipStream_tbEUljE_ZNSN_ISO_Lb0ESQ_SR_ST_SU_SY_EESZ_S10_S11_S12_S16_S17_S18_S1B_S1C_jS1D_jS1E_S1E_jjS1G_bEUljE0_EEESZ_S10_S11_S18_S1C_S1E_T6_T7_T9_mT8_S1G_bDpT10_ENKUlT_T0_E_clISt17integral_constantIbLb1EES1U_EEDaS1P_S1Q_EUlS1P_E_NS1_11comp_targetILNS1_3genE8ELNS1_11target_archE1030ELNS1_3gpuE2ELNS1_3repE0EEENS1_30default_config_static_selectorELNS0_4arch9wavefront6targetE1EEEvS12_,"axG",@progbits,_ZN7rocprim17ROCPRIM_400000_NS6detail17trampoline_kernelINS0_13select_configILj256ELj13ELNS0_17block_load_methodE3ELS4_3ELS4_3ELNS0_20block_scan_algorithmE0ELj4294967295EEENS1_25partition_config_selectorILNS1_17partition_subalgoE4EjNS0_10empty_typeEbEEZZNS1_14partition_implILS8_4ELb0ES6_15HIP_vector_typeIjLj2EENS0_17counting_iteratorIjlEEPS9_SG_NS0_5tupleIJPjSI_NS0_16reverse_iteratorISI_EEEEENSH_IJSG_SG_SG_EEES9_SI_JZNS1_25segmented_radix_sort_implINS0_14default_configELb0EPKhPhPKlPlN2at6native12_GLOBAL__N_18offset_tEEE10hipError_tPvRmT1_PNSt15iterator_traitsIS12_E10value_typeET2_T3_PNS13_IS18_E10value_typeET4_jRbjT5_S1E_jjP12ihipStream_tbEUljE_ZNSN_ISO_Lb0ESQ_SR_ST_SU_SY_EESZ_S10_S11_S12_S16_S17_S18_S1B_S1C_jS1D_jS1E_S1E_jjS1G_bEUljE0_EEESZ_S10_S11_S18_S1C_S1E_T6_T7_T9_mT8_S1G_bDpT10_ENKUlT_T0_E_clISt17integral_constantIbLb1EES1U_EEDaS1P_S1Q_EUlS1P_E_NS1_11comp_targetILNS1_3genE8ELNS1_11target_archE1030ELNS1_3gpuE2ELNS1_3repE0EEENS1_30default_config_static_selectorELNS0_4arch9wavefront6targetE1EEEvS12_,comdat
	.globl	_ZN7rocprim17ROCPRIM_400000_NS6detail17trampoline_kernelINS0_13select_configILj256ELj13ELNS0_17block_load_methodE3ELS4_3ELS4_3ELNS0_20block_scan_algorithmE0ELj4294967295EEENS1_25partition_config_selectorILNS1_17partition_subalgoE4EjNS0_10empty_typeEbEEZZNS1_14partition_implILS8_4ELb0ES6_15HIP_vector_typeIjLj2EENS0_17counting_iteratorIjlEEPS9_SG_NS0_5tupleIJPjSI_NS0_16reverse_iteratorISI_EEEEENSH_IJSG_SG_SG_EEES9_SI_JZNS1_25segmented_radix_sort_implINS0_14default_configELb0EPKhPhPKlPlN2at6native12_GLOBAL__N_18offset_tEEE10hipError_tPvRmT1_PNSt15iterator_traitsIS12_E10value_typeET2_T3_PNS13_IS18_E10value_typeET4_jRbjT5_S1E_jjP12ihipStream_tbEUljE_ZNSN_ISO_Lb0ESQ_SR_ST_SU_SY_EESZ_S10_S11_S12_S16_S17_S18_S1B_S1C_jS1D_jS1E_S1E_jjS1G_bEUljE0_EEESZ_S10_S11_S18_S1C_S1E_T6_T7_T9_mT8_S1G_bDpT10_ENKUlT_T0_E_clISt17integral_constantIbLb1EES1U_EEDaS1P_S1Q_EUlS1P_E_NS1_11comp_targetILNS1_3genE8ELNS1_11target_archE1030ELNS1_3gpuE2ELNS1_3repE0EEENS1_30default_config_static_selectorELNS0_4arch9wavefront6targetE1EEEvS12_ ; -- Begin function _ZN7rocprim17ROCPRIM_400000_NS6detail17trampoline_kernelINS0_13select_configILj256ELj13ELNS0_17block_load_methodE3ELS4_3ELS4_3ELNS0_20block_scan_algorithmE0ELj4294967295EEENS1_25partition_config_selectorILNS1_17partition_subalgoE4EjNS0_10empty_typeEbEEZZNS1_14partition_implILS8_4ELb0ES6_15HIP_vector_typeIjLj2EENS0_17counting_iteratorIjlEEPS9_SG_NS0_5tupleIJPjSI_NS0_16reverse_iteratorISI_EEEEENSH_IJSG_SG_SG_EEES9_SI_JZNS1_25segmented_radix_sort_implINS0_14default_configELb0EPKhPhPKlPlN2at6native12_GLOBAL__N_18offset_tEEE10hipError_tPvRmT1_PNSt15iterator_traitsIS12_E10value_typeET2_T3_PNS13_IS18_E10value_typeET4_jRbjT5_S1E_jjP12ihipStream_tbEUljE_ZNSN_ISO_Lb0ESQ_SR_ST_SU_SY_EESZ_S10_S11_S12_S16_S17_S18_S1B_S1C_jS1D_jS1E_S1E_jjS1G_bEUljE0_EEESZ_S10_S11_S18_S1C_S1E_T6_T7_T9_mT8_S1G_bDpT10_ENKUlT_T0_E_clISt17integral_constantIbLb1EES1U_EEDaS1P_S1Q_EUlS1P_E_NS1_11comp_targetILNS1_3genE8ELNS1_11target_archE1030ELNS1_3gpuE2ELNS1_3repE0EEENS1_30default_config_static_selectorELNS0_4arch9wavefront6targetE1EEEvS12_
	.p2align	8
	.type	_ZN7rocprim17ROCPRIM_400000_NS6detail17trampoline_kernelINS0_13select_configILj256ELj13ELNS0_17block_load_methodE3ELS4_3ELS4_3ELNS0_20block_scan_algorithmE0ELj4294967295EEENS1_25partition_config_selectorILNS1_17partition_subalgoE4EjNS0_10empty_typeEbEEZZNS1_14partition_implILS8_4ELb0ES6_15HIP_vector_typeIjLj2EENS0_17counting_iteratorIjlEEPS9_SG_NS0_5tupleIJPjSI_NS0_16reverse_iteratorISI_EEEEENSH_IJSG_SG_SG_EEES9_SI_JZNS1_25segmented_radix_sort_implINS0_14default_configELb0EPKhPhPKlPlN2at6native12_GLOBAL__N_18offset_tEEE10hipError_tPvRmT1_PNSt15iterator_traitsIS12_E10value_typeET2_T3_PNS13_IS18_E10value_typeET4_jRbjT5_S1E_jjP12ihipStream_tbEUljE_ZNSN_ISO_Lb0ESQ_SR_ST_SU_SY_EESZ_S10_S11_S12_S16_S17_S18_S1B_S1C_jS1D_jS1E_S1E_jjS1G_bEUljE0_EEESZ_S10_S11_S18_S1C_S1E_T6_T7_T9_mT8_S1G_bDpT10_ENKUlT_T0_E_clISt17integral_constantIbLb1EES1U_EEDaS1P_S1Q_EUlS1P_E_NS1_11comp_targetILNS1_3genE8ELNS1_11target_archE1030ELNS1_3gpuE2ELNS1_3repE0EEENS1_30default_config_static_selectorELNS0_4arch9wavefront6targetE1EEEvS12_,@function
_ZN7rocprim17ROCPRIM_400000_NS6detail17trampoline_kernelINS0_13select_configILj256ELj13ELNS0_17block_load_methodE3ELS4_3ELS4_3ELNS0_20block_scan_algorithmE0ELj4294967295EEENS1_25partition_config_selectorILNS1_17partition_subalgoE4EjNS0_10empty_typeEbEEZZNS1_14partition_implILS8_4ELb0ES6_15HIP_vector_typeIjLj2EENS0_17counting_iteratorIjlEEPS9_SG_NS0_5tupleIJPjSI_NS0_16reverse_iteratorISI_EEEEENSH_IJSG_SG_SG_EEES9_SI_JZNS1_25segmented_radix_sort_implINS0_14default_configELb0EPKhPhPKlPlN2at6native12_GLOBAL__N_18offset_tEEE10hipError_tPvRmT1_PNSt15iterator_traitsIS12_E10value_typeET2_T3_PNS13_IS18_E10value_typeET4_jRbjT5_S1E_jjP12ihipStream_tbEUljE_ZNSN_ISO_Lb0ESQ_SR_ST_SU_SY_EESZ_S10_S11_S12_S16_S17_S18_S1B_S1C_jS1D_jS1E_S1E_jjS1G_bEUljE0_EEESZ_S10_S11_S18_S1C_S1E_T6_T7_T9_mT8_S1G_bDpT10_ENKUlT_T0_E_clISt17integral_constantIbLb1EES1U_EEDaS1P_S1Q_EUlS1P_E_NS1_11comp_targetILNS1_3genE8ELNS1_11target_archE1030ELNS1_3gpuE2ELNS1_3repE0EEENS1_30default_config_static_selectorELNS0_4arch9wavefront6targetE1EEEvS12_: ; @_ZN7rocprim17ROCPRIM_400000_NS6detail17trampoline_kernelINS0_13select_configILj256ELj13ELNS0_17block_load_methodE3ELS4_3ELS4_3ELNS0_20block_scan_algorithmE0ELj4294967295EEENS1_25partition_config_selectorILNS1_17partition_subalgoE4EjNS0_10empty_typeEbEEZZNS1_14partition_implILS8_4ELb0ES6_15HIP_vector_typeIjLj2EENS0_17counting_iteratorIjlEEPS9_SG_NS0_5tupleIJPjSI_NS0_16reverse_iteratorISI_EEEEENSH_IJSG_SG_SG_EEES9_SI_JZNS1_25segmented_radix_sort_implINS0_14default_configELb0EPKhPhPKlPlN2at6native12_GLOBAL__N_18offset_tEEE10hipError_tPvRmT1_PNSt15iterator_traitsIS12_E10value_typeET2_T3_PNS13_IS18_E10value_typeET4_jRbjT5_S1E_jjP12ihipStream_tbEUljE_ZNSN_ISO_Lb0ESQ_SR_ST_SU_SY_EESZ_S10_S11_S12_S16_S17_S18_S1B_S1C_jS1D_jS1E_S1E_jjS1G_bEUljE0_EEESZ_S10_S11_S18_S1C_S1E_T6_T7_T9_mT8_S1G_bDpT10_ENKUlT_T0_E_clISt17integral_constantIbLb1EES1U_EEDaS1P_S1Q_EUlS1P_E_NS1_11comp_targetILNS1_3genE8ELNS1_11target_archE1030ELNS1_3gpuE2ELNS1_3repE0EEENS1_30default_config_static_selectorELNS0_4arch9wavefront6targetE1EEEvS12_
; %bb.0:
	.section	.rodata,"a",@progbits
	.p2align	6, 0x0
	.amdhsa_kernel _ZN7rocprim17ROCPRIM_400000_NS6detail17trampoline_kernelINS0_13select_configILj256ELj13ELNS0_17block_load_methodE3ELS4_3ELS4_3ELNS0_20block_scan_algorithmE0ELj4294967295EEENS1_25partition_config_selectorILNS1_17partition_subalgoE4EjNS0_10empty_typeEbEEZZNS1_14partition_implILS8_4ELb0ES6_15HIP_vector_typeIjLj2EENS0_17counting_iteratorIjlEEPS9_SG_NS0_5tupleIJPjSI_NS0_16reverse_iteratorISI_EEEEENSH_IJSG_SG_SG_EEES9_SI_JZNS1_25segmented_radix_sort_implINS0_14default_configELb0EPKhPhPKlPlN2at6native12_GLOBAL__N_18offset_tEEE10hipError_tPvRmT1_PNSt15iterator_traitsIS12_E10value_typeET2_T3_PNS13_IS18_E10value_typeET4_jRbjT5_S1E_jjP12ihipStream_tbEUljE_ZNSN_ISO_Lb0ESQ_SR_ST_SU_SY_EESZ_S10_S11_S12_S16_S17_S18_S1B_S1C_jS1D_jS1E_S1E_jjS1G_bEUljE0_EEESZ_S10_S11_S18_S1C_S1E_T6_T7_T9_mT8_S1G_bDpT10_ENKUlT_T0_E_clISt17integral_constantIbLb1EES1U_EEDaS1P_S1Q_EUlS1P_E_NS1_11comp_targetILNS1_3genE8ELNS1_11target_archE1030ELNS1_3gpuE2ELNS1_3repE0EEENS1_30default_config_static_selectorELNS0_4arch9wavefront6targetE1EEEvS12_
		.amdhsa_group_segment_fixed_size 0
		.amdhsa_private_segment_fixed_size 0
		.amdhsa_kernarg_size 184
		.amdhsa_user_sgpr_count 6
		.amdhsa_user_sgpr_private_segment_buffer 1
		.amdhsa_user_sgpr_dispatch_ptr 0
		.amdhsa_user_sgpr_queue_ptr 0
		.amdhsa_user_sgpr_kernarg_segment_ptr 1
		.amdhsa_user_sgpr_dispatch_id 0
		.amdhsa_user_sgpr_flat_scratch_init 0
		.amdhsa_user_sgpr_private_segment_size 0
		.amdhsa_uses_dynamic_stack 0
		.amdhsa_system_sgpr_private_segment_wavefront_offset 0
		.amdhsa_system_sgpr_workgroup_id_x 1
		.amdhsa_system_sgpr_workgroup_id_y 0
		.amdhsa_system_sgpr_workgroup_id_z 0
		.amdhsa_system_sgpr_workgroup_info 0
		.amdhsa_system_vgpr_workitem_id 0
		.amdhsa_next_free_vgpr 1
		.amdhsa_next_free_sgpr 0
		.amdhsa_reserve_vcc 0
		.amdhsa_reserve_flat_scratch 0
		.amdhsa_float_round_mode_32 0
		.amdhsa_float_round_mode_16_64 0
		.amdhsa_float_denorm_mode_32 3
		.amdhsa_float_denorm_mode_16_64 3
		.amdhsa_dx10_clamp 1
		.amdhsa_ieee_mode 1
		.amdhsa_fp16_overflow 0
		.amdhsa_exception_fp_ieee_invalid_op 0
		.amdhsa_exception_fp_denorm_src 0
		.amdhsa_exception_fp_ieee_div_zero 0
		.amdhsa_exception_fp_ieee_overflow 0
		.amdhsa_exception_fp_ieee_underflow 0
		.amdhsa_exception_fp_ieee_inexact 0
		.amdhsa_exception_int_div_zero 0
	.end_amdhsa_kernel
	.section	.text._ZN7rocprim17ROCPRIM_400000_NS6detail17trampoline_kernelINS0_13select_configILj256ELj13ELNS0_17block_load_methodE3ELS4_3ELS4_3ELNS0_20block_scan_algorithmE0ELj4294967295EEENS1_25partition_config_selectorILNS1_17partition_subalgoE4EjNS0_10empty_typeEbEEZZNS1_14partition_implILS8_4ELb0ES6_15HIP_vector_typeIjLj2EENS0_17counting_iteratorIjlEEPS9_SG_NS0_5tupleIJPjSI_NS0_16reverse_iteratorISI_EEEEENSH_IJSG_SG_SG_EEES9_SI_JZNS1_25segmented_radix_sort_implINS0_14default_configELb0EPKhPhPKlPlN2at6native12_GLOBAL__N_18offset_tEEE10hipError_tPvRmT1_PNSt15iterator_traitsIS12_E10value_typeET2_T3_PNS13_IS18_E10value_typeET4_jRbjT5_S1E_jjP12ihipStream_tbEUljE_ZNSN_ISO_Lb0ESQ_SR_ST_SU_SY_EESZ_S10_S11_S12_S16_S17_S18_S1B_S1C_jS1D_jS1E_S1E_jjS1G_bEUljE0_EEESZ_S10_S11_S18_S1C_S1E_T6_T7_T9_mT8_S1G_bDpT10_ENKUlT_T0_E_clISt17integral_constantIbLb1EES1U_EEDaS1P_S1Q_EUlS1P_E_NS1_11comp_targetILNS1_3genE8ELNS1_11target_archE1030ELNS1_3gpuE2ELNS1_3repE0EEENS1_30default_config_static_selectorELNS0_4arch9wavefront6targetE1EEEvS12_,"axG",@progbits,_ZN7rocprim17ROCPRIM_400000_NS6detail17trampoline_kernelINS0_13select_configILj256ELj13ELNS0_17block_load_methodE3ELS4_3ELS4_3ELNS0_20block_scan_algorithmE0ELj4294967295EEENS1_25partition_config_selectorILNS1_17partition_subalgoE4EjNS0_10empty_typeEbEEZZNS1_14partition_implILS8_4ELb0ES6_15HIP_vector_typeIjLj2EENS0_17counting_iteratorIjlEEPS9_SG_NS0_5tupleIJPjSI_NS0_16reverse_iteratorISI_EEEEENSH_IJSG_SG_SG_EEES9_SI_JZNS1_25segmented_radix_sort_implINS0_14default_configELb0EPKhPhPKlPlN2at6native12_GLOBAL__N_18offset_tEEE10hipError_tPvRmT1_PNSt15iterator_traitsIS12_E10value_typeET2_T3_PNS13_IS18_E10value_typeET4_jRbjT5_S1E_jjP12ihipStream_tbEUljE_ZNSN_ISO_Lb0ESQ_SR_ST_SU_SY_EESZ_S10_S11_S12_S16_S17_S18_S1B_S1C_jS1D_jS1E_S1E_jjS1G_bEUljE0_EEESZ_S10_S11_S18_S1C_S1E_T6_T7_T9_mT8_S1G_bDpT10_ENKUlT_T0_E_clISt17integral_constantIbLb1EES1U_EEDaS1P_S1Q_EUlS1P_E_NS1_11comp_targetILNS1_3genE8ELNS1_11target_archE1030ELNS1_3gpuE2ELNS1_3repE0EEENS1_30default_config_static_selectorELNS0_4arch9wavefront6targetE1EEEvS12_,comdat
.Lfunc_end137:
	.size	_ZN7rocprim17ROCPRIM_400000_NS6detail17trampoline_kernelINS0_13select_configILj256ELj13ELNS0_17block_load_methodE3ELS4_3ELS4_3ELNS0_20block_scan_algorithmE0ELj4294967295EEENS1_25partition_config_selectorILNS1_17partition_subalgoE4EjNS0_10empty_typeEbEEZZNS1_14partition_implILS8_4ELb0ES6_15HIP_vector_typeIjLj2EENS0_17counting_iteratorIjlEEPS9_SG_NS0_5tupleIJPjSI_NS0_16reverse_iteratorISI_EEEEENSH_IJSG_SG_SG_EEES9_SI_JZNS1_25segmented_radix_sort_implINS0_14default_configELb0EPKhPhPKlPlN2at6native12_GLOBAL__N_18offset_tEEE10hipError_tPvRmT1_PNSt15iterator_traitsIS12_E10value_typeET2_T3_PNS13_IS18_E10value_typeET4_jRbjT5_S1E_jjP12ihipStream_tbEUljE_ZNSN_ISO_Lb0ESQ_SR_ST_SU_SY_EESZ_S10_S11_S12_S16_S17_S18_S1B_S1C_jS1D_jS1E_S1E_jjS1G_bEUljE0_EEESZ_S10_S11_S18_S1C_S1E_T6_T7_T9_mT8_S1G_bDpT10_ENKUlT_T0_E_clISt17integral_constantIbLb1EES1U_EEDaS1P_S1Q_EUlS1P_E_NS1_11comp_targetILNS1_3genE8ELNS1_11target_archE1030ELNS1_3gpuE2ELNS1_3repE0EEENS1_30default_config_static_selectorELNS0_4arch9wavefront6targetE1EEEvS12_, .Lfunc_end137-_ZN7rocprim17ROCPRIM_400000_NS6detail17trampoline_kernelINS0_13select_configILj256ELj13ELNS0_17block_load_methodE3ELS4_3ELS4_3ELNS0_20block_scan_algorithmE0ELj4294967295EEENS1_25partition_config_selectorILNS1_17partition_subalgoE4EjNS0_10empty_typeEbEEZZNS1_14partition_implILS8_4ELb0ES6_15HIP_vector_typeIjLj2EENS0_17counting_iteratorIjlEEPS9_SG_NS0_5tupleIJPjSI_NS0_16reverse_iteratorISI_EEEEENSH_IJSG_SG_SG_EEES9_SI_JZNS1_25segmented_radix_sort_implINS0_14default_configELb0EPKhPhPKlPlN2at6native12_GLOBAL__N_18offset_tEEE10hipError_tPvRmT1_PNSt15iterator_traitsIS12_E10value_typeET2_T3_PNS13_IS18_E10value_typeET4_jRbjT5_S1E_jjP12ihipStream_tbEUljE_ZNSN_ISO_Lb0ESQ_SR_ST_SU_SY_EESZ_S10_S11_S12_S16_S17_S18_S1B_S1C_jS1D_jS1E_S1E_jjS1G_bEUljE0_EEESZ_S10_S11_S18_S1C_S1E_T6_T7_T9_mT8_S1G_bDpT10_ENKUlT_T0_E_clISt17integral_constantIbLb1EES1U_EEDaS1P_S1Q_EUlS1P_E_NS1_11comp_targetILNS1_3genE8ELNS1_11target_archE1030ELNS1_3gpuE2ELNS1_3repE0EEENS1_30default_config_static_selectorELNS0_4arch9wavefront6targetE1EEEvS12_
                                        ; -- End function
	.set _ZN7rocprim17ROCPRIM_400000_NS6detail17trampoline_kernelINS0_13select_configILj256ELj13ELNS0_17block_load_methodE3ELS4_3ELS4_3ELNS0_20block_scan_algorithmE0ELj4294967295EEENS1_25partition_config_selectorILNS1_17partition_subalgoE4EjNS0_10empty_typeEbEEZZNS1_14partition_implILS8_4ELb0ES6_15HIP_vector_typeIjLj2EENS0_17counting_iteratorIjlEEPS9_SG_NS0_5tupleIJPjSI_NS0_16reverse_iteratorISI_EEEEENSH_IJSG_SG_SG_EEES9_SI_JZNS1_25segmented_radix_sort_implINS0_14default_configELb0EPKhPhPKlPlN2at6native12_GLOBAL__N_18offset_tEEE10hipError_tPvRmT1_PNSt15iterator_traitsIS12_E10value_typeET2_T3_PNS13_IS18_E10value_typeET4_jRbjT5_S1E_jjP12ihipStream_tbEUljE_ZNSN_ISO_Lb0ESQ_SR_ST_SU_SY_EESZ_S10_S11_S12_S16_S17_S18_S1B_S1C_jS1D_jS1E_S1E_jjS1G_bEUljE0_EEESZ_S10_S11_S18_S1C_S1E_T6_T7_T9_mT8_S1G_bDpT10_ENKUlT_T0_E_clISt17integral_constantIbLb1EES1U_EEDaS1P_S1Q_EUlS1P_E_NS1_11comp_targetILNS1_3genE8ELNS1_11target_archE1030ELNS1_3gpuE2ELNS1_3repE0EEENS1_30default_config_static_selectorELNS0_4arch9wavefront6targetE1EEEvS12_.num_vgpr, 0
	.set _ZN7rocprim17ROCPRIM_400000_NS6detail17trampoline_kernelINS0_13select_configILj256ELj13ELNS0_17block_load_methodE3ELS4_3ELS4_3ELNS0_20block_scan_algorithmE0ELj4294967295EEENS1_25partition_config_selectorILNS1_17partition_subalgoE4EjNS0_10empty_typeEbEEZZNS1_14partition_implILS8_4ELb0ES6_15HIP_vector_typeIjLj2EENS0_17counting_iteratorIjlEEPS9_SG_NS0_5tupleIJPjSI_NS0_16reverse_iteratorISI_EEEEENSH_IJSG_SG_SG_EEES9_SI_JZNS1_25segmented_radix_sort_implINS0_14default_configELb0EPKhPhPKlPlN2at6native12_GLOBAL__N_18offset_tEEE10hipError_tPvRmT1_PNSt15iterator_traitsIS12_E10value_typeET2_T3_PNS13_IS18_E10value_typeET4_jRbjT5_S1E_jjP12ihipStream_tbEUljE_ZNSN_ISO_Lb0ESQ_SR_ST_SU_SY_EESZ_S10_S11_S12_S16_S17_S18_S1B_S1C_jS1D_jS1E_S1E_jjS1G_bEUljE0_EEESZ_S10_S11_S18_S1C_S1E_T6_T7_T9_mT8_S1G_bDpT10_ENKUlT_T0_E_clISt17integral_constantIbLb1EES1U_EEDaS1P_S1Q_EUlS1P_E_NS1_11comp_targetILNS1_3genE8ELNS1_11target_archE1030ELNS1_3gpuE2ELNS1_3repE0EEENS1_30default_config_static_selectorELNS0_4arch9wavefront6targetE1EEEvS12_.num_agpr, 0
	.set _ZN7rocprim17ROCPRIM_400000_NS6detail17trampoline_kernelINS0_13select_configILj256ELj13ELNS0_17block_load_methodE3ELS4_3ELS4_3ELNS0_20block_scan_algorithmE0ELj4294967295EEENS1_25partition_config_selectorILNS1_17partition_subalgoE4EjNS0_10empty_typeEbEEZZNS1_14partition_implILS8_4ELb0ES6_15HIP_vector_typeIjLj2EENS0_17counting_iteratorIjlEEPS9_SG_NS0_5tupleIJPjSI_NS0_16reverse_iteratorISI_EEEEENSH_IJSG_SG_SG_EEES9_SI_JZNS1_25segmented_radix_sort_implINS0_14default_configELb0EPKhPhPKlPlN2at6native12_GLOBAL__N_18offset_tEEE10hipError_tPvRmT1_PNSt15iterator_traitsIS12_E10value_typeET2_T3_PNS13_IS18_E10value_typeET4_jRbjT5_S1E_jjP12ihipStream_tbEUljE_ZNSN_ISO_Lb0ESQ_SR_ST_SU_SY_EESZ_S10_S11_S12_S16_S17_S18_S1B_S1C_jS1D_jS1E_S1E_jjS1G_bEUljE0_EEESZ_S10_S11_S18_S1C_S1E_T6_T7_T9_mT8_S1G_bDpT10_ENKUlT_T0_E_clISt17integral_constantIbLb1EES1U_EEDaS1P_S1Q_EUlS1P_E_NS1_11comp_targetILNS1_3genE8ELNS1_11target_archE1030ELNS1_3gpuE2ELNS1_3repE0EEENS1_30default_config_static_selectorELNS0_4arch9wavefront6targetE1EEEvS12_.numbered_sgpr, 0
	.set _ZN7rocprim17ROCPRIM_400000_NS6detail17trampoline_kernelINS0_13select_configILj256ELj13ELNS0_17block_load_methodE3ELS4_3ELS4_3ELNS0_20block_scan_algorithmE0ELj4294967295EEENS1_25partition_config_selectorILNS1_17partition_subalgoE4EjNS0_10empty_typeEbEEZZNS1_14partition_implILS8_4ELb0ES6_15HIP_vector_typeIjLj2EENS0_17counting_iteratorIjlEEPS9_SG_NS0_5tupleIJPjSI_NS0_16reverse_iteratorISI_EEEEENSH_IJSG_SG_SG_EEES9_SI_JZNS1_25segmented_radix_sort_implINS0_14default_configELb0EPKhPhPKlPlN2at6native12_GLOBAL__N_18offset_tEEE10hipError_tPvRmT1_PNSt15iterator_traitsIS12_E10value_typeET2_T3_PNS13_IS18_E10value_typeET4_jRbjT5_S1E_jjP12ihipStream_tbEUljE_ZNSN_ISO_Lb0ESQ_SR_ST_SU_SY_EESZ_S10_S11_S12_S16_S17_S18_S1B_S1C_jS1D_jS1E_S1E_jjS1G_bEUljE0_EEESZ_S10_S11_S18_S1C_S1E_T6_T7_T9_mT8_S1G_bDpT10_ENKUlT_T0_E_clISt17integral_constantIbLb1EES1U_EEDaS1P_S1Q_EUlS1P_E_NS1_11comp_targetILNS1_3genE8ELNS1_11target_archE1030ELNS1_3gpuE2ELNS1_3repE0EEENS1_30default_config_static_selectorELNS0_4arch9wavefront6targetE1EEEvS12_.num_named_barrier, 0
	.set _ZN7rocprim17ROCPRIM_400000_NS6detail17trampoline_kernelINS0_13select_configILj256ELj13ELNS0_17block_load_methodE3ELS4_3ELS4_3ELNS0_20block_scan_algorithmE0ELj4294967295EEENS1_25partition_config_selectorILNS1_17partition_subalgoE4EjNS0_10empty_typeEbEEZZNS1_14partition_implILS8_4ELb0ES6_15HIP_vector_typeIjLj2EENS0_17counting_iteratorIjlEEPS9_SG_NS0_5tupleIJPjSI_NS0_16reverse_iteratorISI_EEEEENSH_IJSG_SG_SG_EEES9_SI_JZNS1_25segmented_radix_sort_implINS0_14default_configELb0EPKhPhPKlPlN2at6native12_GLOBAL__N_18offset_tEEE10hipError_tPvRmT1_PNSt15iterator_traitsIS12_E10value_typeET2_T3_PNS13_IS18_E10value_typeET4_jRbjT5_S1E_jjP12ihipStream_tbEUljE_ZNSN_ISO_Lb0ESQ_SR_ST_SU_SY_EESZ_S10_S11_S12_S16_S17_S18_S1B_S1C_jS1D_jS1E_S1E_jjS1G_bEUljE0_EEESZ_S10_S11_S18_S1C_S1E_T6_T7_T9_mT8_S1G_bDpT10_ENKUlT_T0_E_clISt17integral_constantIbLb1EES1U_EEDaS1P_S1Q_EUlS1P_E_NS1_11comp_targetILNS1_3genE8ELNS1_11target_archE1030ELNS1_3gpuE2ELNS1_3repE0EEENS1_30default_config_static_selectorELNS0_4arch9wavefront6targetE1EEEvS12_.private_seg_size, 0
	.set _ZN7rocprim17ROCPRIM_400000_NS6detail17trampoline_kernelINS0_13select_configILj256ELj13ELNS0_17block_load_methodE3ELS4_3ELS4_3ELNS0_20block_scan_algorithmE0ELj4294967295EEENS1_25partition_config_selectorILNS1_17partition_subalgoE4EjNS0_10empty_typeEbEEZZNS1_14partition_implILS8_4ELb0ES6_15HIP_vector_typeIjLj2EENS0_17counting_iteratorIjlEEPS9_SG_NS0_5tupleIJPjSI_NS0_16reverse_iteratorISI_EEEEENSH_IJSG_SG_SG_EEES9_SI_JZNS1_25segmented_radix_sort_implINS0_14default_configELb0EPKhPhPKlPlN2at6native12_GLOBAL__N_18offset_tEEE10hipError_tPvRmT1_PNSt15iterator_traitsIS12_E10value_typeET2_T3_PNS13_IS18_E10value_typeET4_jRbjT5_S1E_jjP12ihipStream_tbEUljE_ZNSN_ISO_Lb0ESQ_SR_ST_SU_SY_EESZ_S10_S11_S12_S16_S17_S18_S1B_S1C_jS1D_jS1E_S1E_jjS1G_bEUljE0_EEESZ_S10_S11_S18_S1C_S1E_T6_T7_T9_mT8_S1G_bDpT10_ENKUlT_T0_E_clISt17integral_constantIbLb1EES1U_EEDaS1P_S1Q_EUlS1P_E_NS1_11comp_targetILNS1_3genE8ELNS1_11target_archE1030ELNS1_3gpuE2ELNS1_3repE0EEENS1_30default_config_static_selectorELNS0_4arch9wavefront6targetE1EEEvS12_.uses_vcc, 0
	.set _ZN7rocprim17ROCPRIM_400000_NS6detail17trampoline_kernelINS0_13select_configILj256ELj13ELNS0_17block_load_methodE3ELS4_3ELS4_3ELNS0_20block_scan_algorithmE0ELj4294967295EEENS1_25partition_config_selectorILNS1_17partition_subalgoE4EjNS0_10empty_typeEbEEZZNS1_14partition_implILS8_4ELb0ES6_15HIP_vector_typeIjLj2EENS0_17counting_iteratorIjlEEPS9_SG_NS0_5tupleIJPjSI_NS0_16reverse_iteratorISI_EEEEENSH_IJSG_SG_SG_EEES9_SI_JZNS1_25segmented_radix_sort_implINS0_14default_configELb0EPKhPhPKlPlN2at6native12_GLOBAL__N_18offset_tEEE10hipError_tPvRmT1_PNSt15iterator_traitsIS12_E10value_typeET2_T3_PNS13_IS18_E10value_typeET4_jRbjT5_S1E_jjP12ihipStream_tbEUljE_ZNSN_ISO_Lb0ESQ_SR_ST_SU_SY_EESZ_S10_S11_S12_S16_S17_S18_S1B_S1C_jS1D_jS1E_S1E_jjS1G_bEUljE0_EEESZ_S10_S11_S18_S1C_S1E_T6_T7_T9_mT8_S1G_bDpT10_ENKUlT_T0_E_clISt17integral_constantIbLb1EES1U_EEDaS1P_S1Q_EUlS1P_E_NS1_11comp_targetILNS1_3genE8ELNS1_11target_archE1030ELNS1_3gpuE2ELNS1_3repE0EEENS1_30default_config_static_selectorELNS0_4arch9wavefront6targetE1EEEvS12_.uses_flat_scratch, 0
	.set _ZN7rocprim17ROCPRIM_400000_NS6detail17trampoline_kernelINS0_13select_configILj256ELj13ELNS0_17block_load_methodE3ELS4_3ELS4_3ELNS0_20block_scan_algorithmE0ELj4294967295EEENS1_25partition_config_selectorILNS1_17partition_subalgoE4EjNS0_10empty_typeEbEEZZNS1_14partition_implILS8_4ELb0ES6_15HIP_vector_typeIjLj2EENS0_17counting_iteratorIjlEEPS9_SG_NS0_5tupleIJPjSI_NS0_16reverse_iteratorISI_EEEEENSH_IJSG_SG_SG_EEES9_SI_JZNS1_25segmented_radix_sort_implINS0_14default_configELb0EPKhPhPKlPlN2at6native12_GLOBAL__N_18offset_tEEE10hipError_tPvRmT1_PNSt15iterator_traitsIS12_E10value_typeET2_T3_PNS13_IS18_E10value_typeET4_jRbjT5_S1E_jjP12ihipStream_tbEUljE_ZNSN_ISO_Lb0ESQ_SR_ST_SU_SY_EESZ_S10_S11_S12_S16_S17_S18_S1B_S1C_jS1D_jS1E_S1E_jjS1G_bEUljE0_EEESZ_S10_S11_S18_S1C_S1E_T6_T7_T9_mT8_S1G_bDpT10_ENKUlT_T0_E_clISt17integral_constantIbLb1EES1U_EEDaS1P_S1Q_EUlS1P_E_NS1_11comp_targetILNS1_3genE8ELNS1_11target_archE1030ELNS1_3gpuE2ELNS1_3repE0EEENS1_30default_config_static_selectorELNS0_4arch9wavefront6targetE1EEEvS12_.has_dyn_sized_stack, 0
	.set _ZN7rocprim17ROCPRIM_400000_NS6detail17trampoline_kernelINS0_13select_configILj256ELj13ELNS0_17block_load_methodE3ELS4_3ELS4_3ELNS0_20block_scan_algorithmE0ELj4294967295EEENS1_25partition_config_selectorILNS1_17partition_subalgoE4EjNS0_10empty_typeEbEEZZNS1_14partition_implILS8_4ELb0ES6_15HIP_vector_typeIjLj2EENS0_17counting_iteratorIjlEEPS9_SG_NS0_5tupleIJPjSI_NS0_16reverse_iteratorISI_EEEEENSH_IJSG_SG_SG_EEES9_SI_JZNS1_25segmented_radix_sort_implINS0_14default_configELb0EPKhPhPKlPlN2at6native12_GLOBAL__N_18offset_tEEE10hipError_tPvRmT1_PNSt15iterator_traitsIS12_E10value_typeET2_T3_PNS13_IS18_E10value_typeET4_jRbjT5_S1E_jjP12ihipStream_tbEUljE_ZNSN_ISO_Lb0ESQ_SR_ST_SU_SY_EESZ_S10_S11_S12_S16_S17_S18_S1B_S1C_jS1D_jS1E_S1E_jjS1G_bEUljE0_EEESZ_S10_S11_S18_S1C_S1E_T6_T7_T9_mT8_S1G_bDpT10_ENKUlT_T0_E_clISt17integral_constantIbLb1EES1U_EEDaS1P_S1Q_EUlS1P_E_NS1_11comp_targetILNS1_3genE8ELNS1_11target_archE1030ELNS1_3gpuE2ELNS1_3repE0EEENS1_30default_config_static_selectorELNS0_4arch9wavefront6targetE1EEEvS12_.has_recursion, 0
	.set _ZN7rocprim17ROCPRIM_400000_NS6detail17trampoline_kernelINS0_13select_configILj256ELj13ELNS0_17block_load_methodE3ELS4_3ELS4_3ELNS0_20block_scan_algorithmE0ELj4294967295EEENS1_25partition_config_selectorILNS1_17partition_subalgoE4EjNS0_10empty_typeEbEEZZNS1_14partition_implILS8_4ELb0ES6_15HIP_vector_typeIjLj2EENS0_17counting_iteratorIjlEEPS9_SG_NS0_5tupleIJPjSI_NS0_16reverse_iteratorISI_EEEEENSH_IJSG_SG_SG_EEES9_SI_JZNS1_25segmented_radix_sort_implINS0_14default_configELb0EPKhPhPKlPlN2at6native12_GLOBAL__N_18offset_tEEE10hipError_tPvRmT1_PNSt15iterator_traitsIS12_E10value_typeET2_T3_PNS13_IS18_E10value_typeET4_jRbjT5_S1E_jjP12ihipStream_tbEUljE_ZNSN_ISO_Lb0ESQ_SR_ST_SU_SY_EESZ_S10_S11_S12_S16_S17_S18_S1B_S1C_jS1D_jS1E_S1E_jjS1G_bEUljE0_EEESZ_S10_S11_S18_S1C_S1E_T6_T7_T9_mT8_S1G_bDpT10_ENKUlT_T0_E_clISt17integral_constantIbLb1EES1U_EEDaS1P_S1Q_EUlS1P_E_NS1_11comp_targetILNS1_3genE8ELNS1_11target_archE1030ELNS1_3gpuE2ELNS1_3repE0EEENS1_30default_config_static_selectorELNS0_4arch9wavefront6targetE1EEEvS12_.has_indirect_call, 0
	.section	.AMDGPU.csdata,"",@progbits
; Kernel info:
; codeLenInByte = 0
; TotalNumSgprs: 4
; NumVgprs: 0
; ScratchSize: 0
; MemoryBound: 0
; FloatMode: 240
; IeeeMode: 1
; LDSByteSize: 0 bytes/workgroup (compile time only)
; SGPRBlocks: 0
; VGPRBlocks: 0
; NumSGPRsForWavesPerEU: 4
; NumVGPRsForWavesPerEU: 1
; Occupancy: 10
; WaveLimiterHint : 0
; COMPUTE_PGM_RSRC2:SCRATCH_EN: 0
; COMPUTE_PGM_RSRC2:USER_SGPR: 6
; COMPUTE_PGM_RSRC2:TRAP_HANDLER: 0
; COMPUTE_PGM_RSRC2:TGID_X_EN: 1
; COMPUTE_PGM_RSRC2:TGID_Y_EN: 0
; COMPUTE_PGM_RSRC2:TGID_Z_EN: 0
; COMPUTE_PGM_RSRC2:TIDIG_COMP_CNT: 0
	.section	.text._ZN7rocprim17ROCPRIM_400000_NS6detail17trampoline_kernelINS0_13select_configILj256ELj13ELNS0_17block_load_methodE3ELS4_3ELS4_3ELNS0_20block_scan_algorithmE0ELj4294967295EEENS1_25partition_config_selectorILNS1_17partition_subalgoE4EjNS0_10empty_typeEbEEZZNS1_14partition_implILS8_4ELb0ES6_15HIP_vector_typeIjLj2EENS0_17counting_iteratorIjlEEPS9_SG_NS0_5tupleIJPjSI_NS0_16reverse_iteratorISI_EEEEENSH_IJSG_SG_SG_EEES9_SI_JZNS1_25segmented_radix_sort_implINS0_14default_configELb0EPKhPhPKlPlN2at6native12_GLOBAL__N_18offset_tEEE10hipError_tPvRmT1_PNSt15iterator_traitsIS12_E10value_typeET2_T3_PNS13_IS18_E10value_typeET4_jRbjT5_S1E_jjP12ihipStream_tbEUljE_ZNSN_ISO_Lb0ESQ_SR_ST_SU_SY_EESZ_S10_S11_S12_S16_S17_S18_S1B_S1C_jS1D_jS1E_S1E_jjS1G_bEUljE0_EEESZ_S10_S11_S18_S1C_S1E_T6_T7_T9_mT8_S1G_bDpT10_ENKUlT_T0_E_clISt17integral_constantIbLb1EES1T_IbLb0EEEEDaS1P_S1Q_EUlS1P_E_NS1_11comp_targetILNS1_3genE0ELNS1_11target_archE4294967295ELNS1_3gpuE0ELNS1_3repE0EEENS1_30default_config_static_selectorELNS0_4arch9wavefront6targetE1EEEvS12_,"axG",@progbits,_ZN7rocprim17ROCPRIM_400000_NS6detail17trampoline_kernelINS0_13select_configILj256ELj13ELNS0_17block_load_methodE3ELS4_3ELS4_3ELNS0_20block_scan_algorithmE0ELj4294967295EEENS1_25partition_config_selectorILNS1_17partition_subalgoE4EjNS0_10empty_typeEbEEZZNS1_14partition_implILS8_4ELb0ES6_15HIP_vector_typeIjLj2EENS0_17counting_iteratorIjlEEPS9_SG_NS0_5tupleIJPjSI_NS0_16reverse_iteratorISI_EEEEENSH_IJSG_SG_SG_EEES9_SI_JZNS1_25segmented_radix_sort_implINS0_14default_configELb0EPKhPhPKlPlN2at6native12_GLOBAL__N_18offset_tEEE10hipError_tPvRmT1_PNSt15iterator_traitsIS12_E10value_typeET2_T3_PNS13_IS18_E10value_typeET4_jRbjT5_S1E_jjP12ihipStream_tbEUljE_ZNSN_ISO_Lb0ESQ_SR_ST_SU_SY_EESZ_S10_S11_S12_S16_S17_S18_S1B_S1C_jS1D_jS1E_S1E_jjS1G_bEUljE0_EEESZ_S10_S11_S18_S1C_S1E_T6_T7_T9_mT8_S1G_bDpT10_ENKUlT_T0_E_clISt17integral_constantIbLb1EES1T_IbLb0EEEEDaS1P_S1Q_EUlS1P_E_NS1_11comp_targetILNS1_3genE0ELNS1_11target_archE4294967295ELNS1_3gpuE0ELNS1_3repE0EEENS1_30default_config_static_selectorELNS0_4arch9wavefront6targetE1EEEvS12_,comdat
	.globl	_ZN7rocprim17ROCPRIM_400000_NS6detail17trampoline_kernelINS0_13select_configILj256ELj13ELNS0_17block_load_methodE3ELS4_3ELS4_3ELNS0_20block_scan_algorithmE0ELj4294967295EEENS1_25partition_config_selectorILNS1_17partition_subalgoE4EjNS0_10empty_typeEbEEZZNS1_14partition_implILS8_4ELb0ES6_15HIP_vector_typeIjLj2EENS0_17counting_iteratorIjlEEPS9_SG_NS0_5tupleIJPjSI_NS0_16reverse_iteratorISI_EEEEENSH_IJSG_SG_SG_EEES9_SI_JZNS1_25segmented_radix_sort_implINS0_14default_configELb0EPKhPhPKlPlN2at6native12_GLOBAL__N_18offset_tEEE10hipError_tPvRmT1_PNSt15iterator_traitsIS12_E10value_typeET2_T3_PNS13_IS18_E10value_typeET4_jRbjT5_S1E_jjP12ihipStream_tbEUljE_ZNSN_ISO_Lb0ESQ_SR_ST_SU_SY_EESZ_S10_S11_S12_S16_S17_S18_S1B_S1C_jS1D_jS1E_S1E_jjS1G_bEUljE0_EEESZ_S10_S11_S18_S1C_S1E_T6_T7_T9_mT8_S1G_bDpT10_ENKUlT_T0_E_clISt17integral_constantIbLb1EES1T_IbLb0EEEEDaS1P_S1Q_EUlS1P_E_NS1_11comp_targetILNS1_3genE0ELNS1_11target_archE4294967295ELNS1_3gpuE0ELNS1_3repE0EEENS1_30default_config_static_selectorELNS0_4arch9wavefront6targetE1EEEvS12_ ; -- Begin function _ZN7rocprim17ROCPRIM_400000_NS6detail17trampoline_kernelINS0_13select_configILj256ELj13ELNS0_17block_load_methodE3ELS4_3ELS4_3ELNS0_20block_scan_algorithmE0ELj4294967295EEENS1_25partition_config_selectorILNS1_17partition_subalgoE4EjNS0_10empty_typeEbEEZZNS1_14partition_implILS8_4ELb0ES6_15HIP_vector_typeIjLj2EENS0_17counting_iteratorIjlEEPS9_SG_NS0_5tupleIJPjSI_NS0_16reverse_iteratorISI_EEEEENSH_IJSG_SG_SG_EEES9_SI_JZNS1_25segmented_radix_sort_implINS0_14default_configELb0EPKhPhPKlPlN2at6native12_GLOBAL__N_18offset_tEEE10hipError_tPvRmT1_PNSt15iterator_traitsIS12_E10value_typeET2_T3_PNS13_IS18_E10value_typeET4_jRbjT5_S1E_jjP12ihipStream_tbEUljE_ZNSN_ISO_Lb0ESQ_SR_ST_SU_SY_EESZ_S10_S11_S12_S16_S17_S18_S1B_S1C_jS1D_jS1E_S1E_jjS1G_bEUljE0_EEESZ_S10_S11_S18_S1C_S1E_T6_T7_T9_mT8_S1G_bDpT10_ENKUlT_T0_E_clISt17integral_constantIbLb1EES1T_IbLb0EEEEDaS1P_S1Q_EUlS1P_E_NS1_11comp_targetILNS1_3genE0ELNS1_11target_archE4294967295ELNS1_3gpuE0ELNS1_3repE0EEENS1_30default_config_static_selectorELNS0_4arch9wavefront6targetE1EEEvS12_
	.p2align	8
	.type	_ZN7rocprim17ROCPRIM_400000_NS6detail17trampoline_kernelINS0_13select_configILj256ELj13ELNS0_17block_load_methodE3ELS4_3ELS4_3ELNS0_20block_scan_algorithmE0ELj4294967295EEENS1_25partition_config_selectorILNS1_17partition_subalgoE4EjNS0_10empty_typeEbEEZZNS1_14partition_implILS8_4ELb0ES6_15HIP_vector_typeIjLj2EENS0_17counting_iteratorIjlEEPS9_SG_NS0_5tupleIJPjSI_NS0_16reverse_iteratorISI_EEEEENSH_IJSG_SG_SG_EEES9_SI_JZNS1_25segmented_radix_sort_implINS0_14default_configELb0EPKhPhPKlPlN2at6native12_GLOBAL__N_18offset_tEEE10hipError_tPvRmT1_PNSt15iterator_traitsIS12_E10value_typeET2_T3_PNS13_IS18_E10value_typeET4_jRbjT5_S1E_jjP12ihipStream_tbEUljE_ZNSN_ISO_Lb0ESQ_SR_ST_SU_SY_EESZ_S10_S11_S12_S16_S17_S18_S1B_S1C_jS1D_jS1E_S1E_jjS1G_bEUljE0_EEESZ_S10_S11_S18_S1C_S1E_T6_T7_T9_mT8_S1G_bDpT10_ENKUlT_T0_E_clISt17integral_constantIbLb1EES1T_IbLb0EEEEDaS1P_S1Q_EUlS1P_E_NS1_11comp_targetILNS1_3genE0ELNS1_11target_archE4294967295ELNS1_3gpuE0ELNS1_3repE0EEENS1_30default_config_static_selectorELNS0_4arch9wavefront6targetE1EEEvS12_,@function
_ZN7rocprim17ROCPRIM_400000_NS6detail17trampoline_kernelINS0_13select_configILj256ELj13ELNS0_17block_load_methodE3ELS4_3ELS4_3ELNS0_20block_scan_algorithmE0ELj4294967295EEENS1_25partition_config_selectorILNS1_17partition_subalgoE4EjNS0_10empty_typeEbEEZZNS1_14partition_implILS8_4ELb0ES6_15HIP_vector_typeIjLj2EENS0_17counting_iteratorIjlEEPS9_SG_NS0_5tupleIJPjSI_NS0_16reverse_iteratorISI_EEEEENSH_IJSG_SG_SG_EEES9_SI_JZNS1_25segmented_radix_sort_implINS0_14default_configELb0EPKhPhPKlPlN2at6native12_GLOBAL__N_18offset_tEEE10hipError_tPvRmT1_PNSt15iterator_traitsIS12_E10value_typeET2_T3_PNS13_IS18_E10value_typeET4_jRbjT5_S1E_jjP12ihipStream_tbEUljE_ZNSN_ISO_Lb0ESQ_SR_ST_SU_SY_EESZ_S10_S11_S12_S16_S17_S18_S1B_S1C_jS1D_jS1E_S1E_jjS1G_bEUljE0_EEESZ_S10_S11_S18_S1C_S1E_T6_T7_T9_mT8_S1G_bDpT10_ENKUlT_T0_E_clISt17integral_constantIbLb1EES1T_IbLb0EEEEDaS1P_S1Q_EUlS1P_E_NS1_11comp_targetILNS1_3genE0ELNS1_11target_archE4294967295ELNS1_3gpuE0ELNS1_3repE0EEENS1_30default_config_static_selectorELNS0_4arch9wavefront6targetE1EEEvS12_: ; @_ZN7rocprim17ROCPRIM_400000_NS6detail17trampoline_kernelINS0_13select_configILj256ELj13ELNS0_17block_load_methodE3ELS4_3ELS4_3ELNS0_20block_scan_algorithmE0ELj4294967295EEENS1_25partition_config_selectorILNS1_17partition_subalgoE4EjNS0_10empty_typeEbEEZZNS1_14partition_implILS8_4ELb0ES6_15HIP_vector_typeIjLj2EENS0_17counting_iteratorIjlEEPS9_SG_NS0_5tupleIJPjSI_NS0_16reverse_iteratorISI_EEEEENSH_IJSG_SG_SG_EEES9_SI_JZNS1_25segmented_radix_sort_implINS0_14default_configELb0EPKhPhPKlPlN2at6native12_GLOBAL__N_18offset_tEEE10hipError_tPvRmT1_PNSt15iterator_traitsIS12_E10value_typeET2_T3_PNS13_IS18_E10value_typeET4_jRbjT5_S1E_jjP12ihipStream_tbEUljE_ZNSN_ISO_Lb0ESQ_SR_ST_SU_SY_EESZ_S10_S11_S12_S16_S17_S18_S1B_S1C_jS1D_jS1E_S1E_jjS1G_bEUljE0_EEESZ_S10_S11_S18_S1C_S1E_T6_T7_T9_mT8_S1G_bDpT10_ENKUlT_T0_E_clISt17integral_constantIbLb1EES1T_IbLb0EEEEDaS1P_S1Q_EUlS1P_E_NS1_11comp_targetILNS1_3genE0ELNS1_11target_archE4294967295ELNS1_3gpuE0ELNS1_3repE0EEENS1_30default_config_static_selectorELNS0_4arch9wavefront6targetE1EEEvS12_
; %bb.0:
	.section	.rodata,"a",@progbits
	.p2align	6, 0x0
	.amdhsa_kernel _ZN7rocprim17ROCPRIM_400000_NS6detail17trampoline_kernelINS0_13select_configILj256ELj13ELNS0_17block_load_methodE3ELS4_3ELS4_3ELNS0_20block_scan_algorithmE0ELj4294967295EEENS1_25partition_config_selectorILNS1_17partition_subalgoE4EjNS0_10empty_typeEbEEZZNS1_14partition_implILS8_4ELb0ES6_15HIP_vector_typeIjLj2EENS0_17counting_iteratorIjlEEPS9_SG_NS0_5tupleIJPjSI_NS0_16reverse_iteratorISI_EEEEENSH_IJSG_SG_SG_EEES9_SI_JZNS1_25segmented_radix_sort_implINS0_14default_configELb0EPKhPhPKlPlN2at6native12_GLOBAL__N_18offset_tEEE10hipError_tPvRmT1_PNSt15iterator_traitsIS12_E10value_typeET2_T3_PNS13_IS18_E10value_typeET4_jRbjT5_S1E_jjP12ihipStream_tbEUljE_ZNSN_ISO_Lb0ESQ_SR_ST_SU_SY_EESZ_S10_S11_S12_S16_S17_S18_S1B_S1C_jS1D_jS1E_S1E_jjS1G_bEUljE0_EEESZ_S10_S11_S18_S1C_S1E_T6_T7_T9_mT8_S1G_bDpT10_ENKUlT_T0_E_clISt17integral_constantIbLb1EES1T_IbLb0EEEEDaS1P_S1Q_EUlS1P_E_NS1_11comp_targetILNS1_3genE0ELNS1_11target_archE4294967295ELNS1_3gpuE0ELNS1_3repE0EEENS1_30default_config_static_selectorELNS0_4arch9wavefront6targetE1EEEvS12_
		.amdhsa_group_segment_fixed_size 0
		.amdhsa_private_segment_fixed_size 0
		.amdhsa_kernarg_size 176
		.amdhsa_user_sgpr_count 6
		.amdhsa_user_sgpr_private_segment_buffer 1
		.amdhsa_user_sgpr_dispatch_ptr 0
		.amdhsa_user_sgpr_queue_ptr 0
		.amdhsa_user_sgpr_kernarg_segment_ptr 1
		.amdhsa_user_sgpr_dispatch_id 0
		.amdhsa_user_sgpr_flat_scratch_init 0
		.amdhsa_user_sgpr_private_segment_size 0
		.amdhsa_uses_dynamic_stack 0
		.amdhsa_system_sgpr_private_segment_wavefront_offset 0
		.amdhsa_system_sgpr_workgroup_id_x 1
		.amdhsa_system_sgpr_workgroup_id_y 0
		.amdhsa_system_sgpr_workgroup_id_z 0
		.amdhsa_system_sgpr_workgroup_info 0
		.amdhsa_system_vgpr_workitem_id 0
		.amdhsa_next_free_vgpr 1
		.amdhsa_next_free_sgpr 0
		.amdhsa_reserve_vcc 0
		.amdhsa_reserve_flat_scratch 0
		.amdhsa_float_round_mode_32 0
		.amdhsa_float_round_mode_16_64 0
		.amdhsa_float_denorm_mode_32 3
		.amdhsa_float_denorm_mode_16_64 3
		.amdhsa_dx10_clamp 1
		.amdhsa_ieee_mode 1
		.amdhsa_fp16_overflow 0
		.amdhsa_exception_fp_ieee_invalid_op 0
		.amdhsa_exception_fp_denorm_src 0
		.amdhsa_exception_fp_ieee_div_zero 0
		.amdhsa_exception_fp_ieee_overflow 0
		.amdhsa_exception_fp_ieee_underflow 0
		.amdhsa_exception_fp_ieee_inexact 0
		.amdhsa_exception_int_div_zero 0
	.end_amdhsa_kernel
	.section	.text._ZN7rocprim17ROCPRIM_400000_NS6detail17trampoline_kernelINS0_13select_configILj256ELj13ELNS0_17block_load_methodE3ELS4_3ELS4_3ELNS0_20block_scan_algorithmE0ELj4294967295EEENS1_25partition_config_selectorILNS1_17partition_subalgoE4EjNS0_10empty_typeEbEEZZNS1_14partition_implILS8_4ELb0ES6_15HIP_vector_typeIjLj2EENS0_17counting_iteratorIjlEEPS9_SG_NS0_5tupleIJPjSI_NS0_16reverse_iteratorISI_EEEEENSH_IJSG_SG_SG_EEES9_SI_JZNS1_25segmented_radix_sort_implINS0_14default_configELb0EPKhPhPKlPlN2at6native12_GLOBAL__N_18offset_tEEE10hipError_tPvRmT1_PNSt15iterator_traitsIS12_E10value_typeET2_T3_PNS13_IS18_E10value_typeET4_jRbjT5_S1E_jjP12ihipStream_tbEUljE_ZNSN_ISO_Lb0ESQ_SR_ST_SU_SY_EESZ_S10_S11_S12_S16_S17_S18_S1B_S1C_jS1D_jS1E_S1E_jjS1G_bEUljE0_EEESZ_S10_S11_S18_S1C_S1E_T6_T7_T9_mT8_S1G_bDpT10_ENKUlT_T0_E_clISt17integral_constantIbLb1EES1T_IbLb0EEEEDaS1P_S1Q_EUlS1P_E_NS1_11comp_targetILNS1_3genE0ELNS1_11target_archE4294967295ELNS1_3gpuE0ELNS1_3repE0EEENS1_30default_config_static_selectorELNS0_4arch9wavefront6targetE1EEEvS12_,"axG",@progbits,_ZN7rocprim17ROCPRIM_400000_NS6detail17trampoline_kernelINS0_13select_configILj256ELj13ELNS0_17block_load_methodE3ELS4_3ELS4_3ELNS0_20block_scan_algorithmE0ELj4294967295EEENS1_25partition_config_selectorILNS1_17partition_subalgoE4EjNS0_10empty_typeEbEEZZNS1_14partition_implILS8_4ELb0ES6_15HIP_vector_typeIjLj2EENS0_17counting_iteratorIjlEEPS9_SG_NS0_5tupleIJPjSI_NS0_16reverse_iteratorISI_EEEEENSH_IJSG_SG_SG_EEES9_SI_JZNS1_25segmented_radix_sort_implINS0_14default_configELb0EPKhPhPKlPlN2at6native12_GLOBAL__N_18offset_tEEE10hipError_tPvRmT1_PNSt15iterator_traitsIS12_E10value_typeET2_T3_PNS13_IS18_E10value_typeET4_jRbjT5_S1E_jjP12ihipStream_tbEUljE_ZNSN_ISO_Lb0ESQ_SR_ST_SU_SY_EESZ_S10_S11_S12_S16_S17_S18_S1B_S1C_jS1D_jS1E_S1E_jjS1G_bEUljE0_EEESZ_S10_S11_S18_S1C_S1E_T6_T7_T9_mT8_S1G_bDpT10_ENKUlT_T0_E_clISt17integral_constantIbLb1EES1T_IbLb0EEEEDaS1P_S1Q_EUlS1P_E_NS1_11comp_targetILNS1_3genE0ELNS1_11target_archE4294967295ELNS1_3gpuE0ELNS1_3repE0EEENS1_30default_config_static_selectorELNS0_4arch9wavefront6targetE1EEEvS12_,comdat
.Lfunc_end138:
	.size	_ZN7rocprim17ROCPRIM_400000_NS6detail17trampoline_kernelINS0_13select_configILj256ELj13ELNS0_17block_load_methodE3ELS4_3ELS4_3ELNS0_20block_scan_algorithmE0ELj4294967295EEENS1_25partition_config_selectorILNS1_17partition_subalgoE4EjNS0_10empty_typeEbEEZZNS1_14partition_implILS8_4ELb0ES6_15HIP_vector_typeIjLj2EENS0_17counting_iteratorIjlEEPS9_SG_NS0_5tupleIJPjSI_NS0_16reverse_iteratorISI_EEEEENSH_IJSG_SG_SG_EEES9_SI_JZNS1_25segmented_radix_sort_implINS0_14default_configELb0EPKhPhPKlPlN2at6native12_GLOBAL__N_18offset_tEEE10hipError_tPvRmT1_PNSt15iterator_traitsIS12_E10value_typeET2_T3_PNS13_IS18_E10value_typeET4_jRbjT5_S1E_jjP12ihipStream_tbEUljE_ZNSN_ISO_Lb0ESQ_SR_ST_SU_SY_EESZ_S10_S11_S12_S16_S17_S18_S1B_S1C_jS1D_jS1E_S1E_jjS1G_bEUljE0_EEESZ_S10_S11_S18_S1C_S1E_T6_T7_T9_mT8_S1G_bDpT10_ENKUlT_T0_E_clISt17integral_constantIbLb1EES1T_IbLb0EEEEDaS1P_S1Q_EUlS1P_E_NS1_11comp_targetILNS1_3genE0ELNS1_11target_archE4294967295ELNS1_3gpuE0ELNS1_3repE0EEENS1_30default_config_static_selectorELNS0_4arch9wavefront6targetE1EEEvS12_, .Lfunc_end138-_ZN7rocprim17ROCPRIM_400000_NS6detail17trampoline_kernelINS0_13select_configILj256ELj13ELNS0_17block_load_methodE3ELS4_3ELS4_3ELNS0_20block_scan_algorithmE0ELj4294967295EEENS1_25partition_config_selectorILNS1_17partition_subalgoE4EjNS0_10empty_typeEbEEZZNS1_14partition_implILS8_4ELb0ES6_15HIP_vector_typeIjLj2EENS0_17counting_iteratorIjlEEPS9_SG_NS0_5tupleIJPjSI_NS0_16reverse_iteratorISI_EEEEENSH_IJSG_SG_SG_EEES9_SI_JZNS1_25segmented_radix_sort_implINS0_14default_configELb0EPKhPhPKlPlN2at6native12_GLOBAL__N_18offset_tEEE10hipError_tPvRmT1_PNSt15iterator_traitsIS12_E10value_typeET2_T3_PNS13_IS18_E10value_typeET4_jRbjT5_S1E_jjP12ihipStream_tbEUljE_ZNSN_ISO_Lb0ESQ_SR_ST_SU_SY_EESZ_S10_S11_S12_S16_S17_S18_S1B_S1C_jS1D_jS1E_S1E_jjS1G_bEUljE0_EEESZ_S10_S11_S18_S1C_S1E_T6_T7_T9_mT8_S1G_bDpT10_ENKUlT_T0_E_clISt17integral_constantIbLb1EES1T_IbLb0EEEEDaS1P_S1Q_EUlS1P_E_NS1_11comp_targetILNS1_3genE0ELNS1_11target_archE4294967295ELNS1_3gpuE0ELNS1_3repE0EEENS1_30default_config_static_selectorELNS0_4arch9wavefront6targetE1EEEvS12_
                                        ; -- End function
	.set _ZN7rocprim17ROCPRIM_400000_NS6detail17trampoline_kernelINS0_13select_configILj256ELj13ELNS0_17block_load_methodE3ELS4_3ELS4_3ELNS0_20block_scan_algorithmE0ELj4294967295EEENS1_25partition_config_selectorILNS1_17partition_subalgoE4EjNS0_10empty_typeEbEEZZNS1_14partition_implILS8_4ELb0ES6_15HIP_vector_typeIjLj2EENS0_17counting_iteratorIjlEEPS9_SG_NS0_5tupleIJPjSI_NS0_16reverse_iteratorISI_EEEEENSH_IJSG_SG_SG_EEES9_SI_JZNS1_25segmented_radix_sort_implINS0_14default_configELb0EPKhPhPKlPlN2at6native12_GLOBAL__N_18offset_tEEE10hipError_tPvRmT1_PNSt15iterator_traitsIS12_E10value_typeET2_T3_PNS13_IS18_E10value_typeET4_jRbjT5_S1E_jjP12ihipStream_tbEUljE_ZNSN_ISO_Lb0ESQ_SR_ST_SU_SY_EESZ_S10_S11_S12_S16_S17_S18_S1B_S1C_jS1D_jS1E_S1E_jjS1G_bEUljE0_EEESZ_S10_S11_S18_S1C_S1E_T6_T7_T9_mT8_S1G_bDpT10_ENKUlT_T0_E_clISt17integral_constantIbLb1EES1T_IbLb0EEEEDaS1P_S1Q_EUlS1P_E_NS1_11comp_targetILNS1_3genE0ELNS1_11target_archE4294967295ELNS1_3gpuE0ELNS1_3repE0EEENS1_30default_config_static_selectorELNS0_4arch9wavefront6targetE1EEEvS12_.num_vgpr, 0
	.set _ZN7rocprim17ROCPRIM_400000_NS6detail17trampoline_kernelINS0_13select_configILj256ELj13ELNS0_17block_load_methodE3ELS4_3ELS4_3ELNS0_20block_scan_algorithmE0ELj4294967295EEENS1_25partition_config_selectorILNS1_17partition_subalgoE4EjNS0_10empty_typeEbEEZZNS1_14partition_implILS8_4ELb0ES6_15HIP_vector_typeIjLj2EENS0_17counting_iteratorIjlEEPS9_SG_NS0_5tupleIJPjSI_NS0_16reverse_iteratorISI_EEEEENSH_IJSG_SG_SG_EEES9_SI_JZNS1_25segmented_radix_sort_implINS0_14default_configELb0EPKhPhPKlPlN2at6native12_GLOBAL__N_18offset_tEEE10hipError_tPvRmT1_PNSt15iterator_traitsIS12_E10value_typeET2_T3_PNS13_IS18_E10value_typeET4_jRbjT5_S1E_jjP12ihipStream_tbEUljE_ZNSN_ISO_Lb0ESQ_SR_ST_SU_SY_EESZ_S10_S11_S12_S16_S17_S18_S1B_S1C_jS1D_jS1E_S1E_jjS1G_bEUljE0_EEESZ_S10_S11_S18_S1C_S1E_T6_T7_T9_mT8_S1G_bDpT10_ENKUlT_T0_E_clISt17integral_constantIbLb1EES1T_IbLb0EEEEDaS1P_S1Q_EUlS1P_E_NS1_11comp_targetILNS1_3genE0ELNS1_11target_archE4294967295ELNS1_3gpuE0ELNS1_3repE0EEENS1_30default_config_static_selectorELNS0_4arch9wavefront6targetE1EEEvS12_.num_agpr, 0
	.set _ZN7rocprim17ROCPRIM_400000_NS6detail17trampoline_kernelINS0_13select_configILj256ELj13ELNS0_17block_load_methodE3ELS4_3ELS4_3ELNS0_20block_scan_algorithmE0ELj4294967295EEENS1_25partition_config_selectorILNS1_17partition_subalgoE4EjNS0_10empty_typeEbEEZZNS1_14partition_implILS8_4ELb0ES6_15HIP_vector_typeIjLj2EENS0_17counting_iteratorIjlEEPS9_SG_NS0_5tupleIJPjSI_NS0_16reverse_iteratorISI_EEEEENSH_IJSG_SG_SG_EEES9_SI_JZNS1_25segmented_radix_sort_implINS0_14default_configELb0EPKhPhPKlPlN2at6native12_GLOBAL__N_18offset_tEEE10hipError_tPvRmT1_PNSt15iterator_traitsIS12_E10value_typeET2_T3_PNS13_IS18_E10value_typeET4_jRbjT5_S1E_jjP12ihipStream_tbEUljE_ZNSN_ISO_Lb0ESQ_SR_ST_SU_SY_EESZ_S10_S11_S12_S16_S17_S18_S1B_S1C_jS1D_jS1E_S1E_jjS1G_bEUljE0_EEESZ_S10_S11_S18_S1C_S1E_T6_T7_T9_mT8_S1G_bDpT10_ENKUlT_T0_E_clISt17integral_constantIbLb1EES1T_IbLb0EEEEDaS1P_S1Q_EUlS1P_E_NS1_11comp_targetILNS1_3genE0ELNS1_11target_archE4294967295ELNS1_3gpuE0ELNS1_3repE0EEENS1_30default_config_static_selectorELNS0_4arch9wavefront6targetE1EEEvS12_.numbered_sgpr, 0
	.set _ZN7rocprim17ROCPRIM_400000_NS6detail17trampoline_kernelINS0_13select_configILj256ELj13ELNS0_17block_load_methodE3ELS4_3ELS4_3ELNS0_20block_scan_algorithmE0ELj4294967295EEENS1_25partition_config_selectorILNS1_17partition_subalgoE4EjNS0_10empty_typeEbEEZZNS1_14partition_implILS8_4ELb0ES6_15HIP_vector_typeIjLj2EENS0_17counting_iteratorIjlEEPS9_SG_NS0_5tupleIJPjSI_NS0_16reverse_iteratorISI_EEEEENSH_IJSG_SG_SG_EEES9_SI_JZNS1_25segmented_radix_sort_implINS0_14default_configELb0EPKhPhPKlPlN2at6native12_GLOBAL__N_18offset_tEEE10hipError_tPvRmT1_PNSt15iterator_traitsIS12_E10value_typeET2_T3_PNS13_IS18_E10value_typeET4_jRbjT5_S1E_jjP12ihipStream_tbEUljE_ZNSN_ISO_Lb0ESQ_SR_ST_SU_SY_EESZ_S10_S11_S12_S16_S17_S18_S1B_S1C_jS1D_jS1E_S1E_jjS1G_bEUljE0_EEESZ_S10_S11_S18_S1C_S1E_T6_T7_T9_mT8_S1G_bDpT10_ENKUlT_T0_E_clISt17integral_constantIbLb1EES1T_IbLb0EEEEDaS1P_S1Q_EUlS1P_E_NS1_11comp_targetILNS1_3genE0ELNS1_11target_archE4294967295ELNS1_3gpuE0ELNS1_3repE0EEENS1_30default_config_static_selectorELNS0_4arch9wavefront6targetE1EEEvS12_.num_named_barrier, 0
	.set _ZN7rocprim17ROCPRIM_400000_NS6detail17trampoline_kernelINS0_13select_configILj256ELj13ELNS0_17block_load_methodE3ELS4_3ELS4_3ELNS0_20block_scan_algorithmE0ELj4294967295EEENS1_25partition_config_selectorILNS1_17partition_subalgoE4EjNS0_10empty_typeEbEEZZNS1_14partition_implILS8_4ELb0ES6_15HIP_vector_typeIjLj2EENS0_17counting_iteratorIjlEEPS9_SG_NS0_5tupleIJPjSI_NS0_16reverse_iteratorISI_EEEEENSH_IJSG_SG_SG_EEES9_SI_JZNS1_25segmented_radix_sort_implINS0_14default_configELb0EPKhPhPKlPlN2at6native12_GLOBAL__N_18offset_tEEE10hipError_tPvRmT1_PNSt15iterator_traitsIS12_E10value_typeET2_T3_PNS13_IS18_E10value_typeET4_jRbjT5_S1E_jjP12ihipStream_tbEUljE_ZNSN_ISO_Lb0ESQ_SR_ST_SU_SY_EESZ_S10_S11_S12_S16_S17_S18_S1B_S1C_jS1D_jS1E_S1E_jjS1G_bEUljE0_EEESZ_S10_S11_S18_S1C_S1E_T6_T7_T9_mT8_S1G_bDpT10_ENKUlT_T0_E_clISt17integral_constantIbLb1EES1T_IbLb0EEEEDaS1P_S1Q_EUlS1P_E_NS1_11comp_targetILNS1_3genE0ELNS1_11target_archE4294967295ELNS1_3gpuE0ELNS1_3repE0EEENS1_30default_config_static_selectorELNS0_4arch9wavefront6targetE1EEEvS12_.private_seg_size, 0
	.set _ZN7rocprim17ROCPRIM_400000_NS6detail17trampoline_kernelINS0_13select_configILj256ELj13ELNS0_17block_load_methodE3ELS4_3ELS4_3ELNS0_20block_scan_algorithmE0ELj4294967295EEENS1_25partition_config_selectorILNS1_17partition_subalgoE4EjNS0_10empty_typeEbEEZZNS1_14partition_implILS8_4ELb0ES6_15HIP_vector_typeIjLj2EENS0_17counting_iteratorIjlEEPS9_SG_NS0_5tupleIJPjSI_NS0_16reverse_iteratorISI_EEEEENSH_IJSG_SG_SG_EEES9_SI_JZNS1_25segmented_radix_sort_implINS0_14default_configELb0EPKhPhPKlPlN2at6native12_GLOBAL__N_18offset_tEEE10hipError_tPvRmT1_PNSt15iterator_traitsIS12_E10value_typeET2_T3_PNS13_IS18_E10value_typeET4_jRbjT5_S1E_jjP12ihipStream_tbEUljE_ZNSN_ISO_Lb0ESQ_SR_ST_SU_SY_EESZ_S10_S11_S12_S16_S17_S18_S1B_S1C_jS1D_jS1E_S1E_jjS1G_bEUljE0_EEESZ_S10_S11_S18_S1C_S1E_T6_T7_T9_mT8_S1G_bDpT10_ENKUlT_T0_E_clISt17integral_constantIbLb1EES1T_IbLb0EEEEDaS1P_S1Q_EUlS1P_E_NS1_11comp_targetILNS1_3genE0ELNS1_11target_archE4294967295ELNS1_3gpuE0ELNS1_3repE0EEENS1_30default_config_static_selectorELNS0_4arch9wavefront6targetE1EEEvS12_.uses_vcc, 0
	.set _ZN7rocprim17ROCPRIM_400000_NS6detail17trampoline_kernelINS0_13select_configILj256ELj13ELNS0_17block_load_methodE3ELS4_3ELS4_3ELNS0_20block_scan_algorithmE0ELj4294967295EEENS1_25partition_config_selectorILNS1_17partition_subalgoE4EjNS0_10empty_typeEbEEZZNS1_14partition_implILS8_4ELb0ES6_15HIP_vector_typeIjLj2EENS0_17counting_iteratorIjlEEPS9_SG_NS0_5tupleIJPjSI_NS0_16reverse_iteratorISI_EEEEENSH_IJSG_SG_SG_EEES9_SI_JZNS1_25segmented_radix_sort_implINS0_14default_configELb0EPKhPhPKlPlN2at6native12_GLOBAL__N_18offset_tEEE10hipError_tPvRmT1_PNSt15iterator_traitsIS12_E10value_typeET2_T3_PNS13_IS18_E10value_typeET4_jRbjT5_S1E_jjP12ihipStream_tbEUljE_ZNSN_ISO_Lb0ESQ_SR_ST_SU_SY_EESZ_S10_S11_S12_S16_S17_S18_S1B_S1C_jS1D_jS1E_S1E_jjS1G_bEUljE0_EEESZ_S10_S11_S18_S1C_S1E_T6_T7_T9_mT8_S1G_bDpT10_ENKUlT_T0_E_clISt17integral_constantIbLb1EES1T_IbLb0EEEEDaS1P_S1Q_EUlS1P_E_NS1_11comp_targetILNS1_3genE0ELNS1_11target_archE4294967295ELNS1_3gpuE0ELNS1_3repE0EEENS1_30default_config_static_selectorELNS0_4arch9wavefront6targetE1EEEvS12_.uses_flat_scratch, 0
	.set _ZN7rocprim17ROCPRIM_400000_NS6detail17trampoline_kernelINS0_13select_configILj256ELj13ELNS0_17block_load_methodE3ELS4_3ELS4_3ELNS0_20block_scan_algorithmE0ELj4294967295EEENS1_25partition_config_selectorILNS1_17partition_subalgoE4EjNS0_10empty_typeEbEEZZNS1_14partition_implILS8_4ELb0ES6_15HIP_vector_typeIjLj2EENS0_17counting_iteratorIjlEEPS9_SG_NS0_5tupleIJPjSI_NS0_16reverse_iteratorISI_EEEEENSH_IJSG_SG_SG_EEES9_SI_JZNS1_25segmented_radix_sort_implINS0_14default_configELb0EPKhPhPKlPlN2at6native12_GLOBAL__N_18offset_tEEE10hipError_tPvRmT1_PNSt15iterator_traitsIS12_E10value_typeET2_T3_PNS13_IS18_E10value_typeET4_jRbjT5_S1E_jjP12ihipStream_tbEUljE_ZNSN_ISO_Lb0ESQ_SR_ST_SU_SY_EESZ_S10_S11_S12_S16_S17_S18_S1B_S1C_jS1D_jS1E_S1E_jjS1G_bEUljE0_EEESZ_S10_S11_S18_S1C_S1E_T6_T7_T9_mT8_S1G_bDpT10_ENKUlT_T0_E_clISt17integral_constantIbLb1EES1T_IbLb0EEEEDaS1P_S1Q_EUlS1P_E_NS1_11comp_targetILNS1_3genE0ELNS1_11target_archE4294967295ELNS1_3gpuE0ELNS1_3repE0EEENS1_30default_config_static_selectorELNS0_4arch9wavefront6targetE1EEEvS12_.has_dyn_sized_stack, 0
	.set _ZN7rocprim17ROCPRIM_400000_NS6detail17trampoline_kernelINS0_13select_configILj256ELj13ELNS0_17block_load_methodE3ELS4_3ELS4_3ELNS0_20block_scan_algorithmE0ELj4294967295EEENS1_25partition_config_selectorILNS1_17partition_subalgoE4EjNS0_10empty_typeEbEEZZNS1_14partition_implILS8_4ELb0ES6_15HIP_vector_typeIjLj2EENS0_17counting_iteratorIjlEEPS9_SG_NS0_5tupleIJPjSI_NS0_16reverse_iteratorISI_EEEEENSH_IJSG_SG_SG_EEES9_SI_JZNS1_25segmented_radix_sort_implINS0_14default_configELb0EPKhPhPKlPlN2at6native12_GLOBAL__N_18offset_tEEE10hipError_tPvRmT1_PNSt15iterator_traitsIS12_E10value_typeET2_T3_PNS13_IS18_E10value_typeET4_jRbjT5_S1E_jjP12ihipStream_tbEUljE_ZNSN_ISO_Lb0ESQ_SR_ST_SU_SY_EESZ_S10_S11_S12_S16_S17_S18_S1B_S1C_jS1D_jS1E_S1E_jjS1G_bEUljE0_EEESZ_S10_S11_S18_S1C_S1E_T6_T7_T9_mT8_S1G_bDpT10_ENKUlT_T0_E_clISt17integral_constantIbLb1EES1T_IbLb0EEEEDaS1P_S1Q_EUlS1P_E_NS1_11comp_targetILNS1_3genE0ELNS1_11target_archE4294967295ELNS1_3gpuE0ELNS1_3repE0EEENS1_30default_config_static_selectorELNS0_4arch9wavefront6targetE1EEEvS12_.has_recursion, 0
	.set _ZN7rocprim17ROCPRIM_400000_NS6detail17trampoline_kernelINS0_13select_configILj256ELj13ELNS0_17block_load_methodE3ELS4_3ELS4_3ELNS0_20block_scan_algorithmE0ELj4294967295EEENS1_25partition_config_selectorILNS1_17partition_subalgoE4EjNS0_10empty_typeEbEEZZNS1_14partition_implILS8_4ELb0ES6_15HIP_vector_typeIjLj2EENS0_17counting_iteratorIjlEEPS9_SG_NS0_5tupleIJPjSI_NS0_16reverse_iteratorISI_EEEEENSH_IJSG_SG_SG_EEES9_SI_JZNS1_25segmented_radix_sort_implINS0_14default_configELb0EPKhPhPKlPlN2at6native12_GLOBAL__N_18offset_tEEE10hipError_tPvRmT1_PNSt15iterator_traitsIS12_E10value_typeET2_T3_PNS13_IS18_E10value_typeET4_jRbjT5_S1E_jjP12ihipStream_tbEUljE_ZNSN_ISO_Lb0ESQ_SR_ST_SU_SY_EESZ_S10_S11_S12_S16_S17_S18_S1B_S1C_jS1D_jS1E_S1E_jjS1G_bEUljE0_EEESZ_S10_S11_S18_S1C_S1E_T6_T7_T9_mT8_S1G_bDpT10_ENKUlT_T0_E_clISt17integral_constantIbLb1EES1T_IbLb0EEEEDaS1P_S1Q_EUlS1P_E_NS1_11comp_targetILNS1_3genE0ELNS1_11target_archE4294967295ELNS1_3gpuE0ELNS1_3repE0EEENS1_30default_config_static_selectorELNS0_4arch9wavefront6targetE1EEEvS12_.has_indirect_call, 0
	.section	.AMDGPU.csdata,"",@progbits
; Kernel info:
; codeLenInByte = 0
; TotalNumSgprs: 4
; NumVgprs: 0
; ScratchSize: 0
; MemoryBound: 0
; FloatMode: 240
; IeeeMode: 1
; LDSByteSize: 0 bytes/workgroup (compile time only)
; SGPRBlocks: 0
; VGPRBlocks: 0
; NumSGPRsForWavesPerEU: 4
; NumVGPRsForWavesPerEU: 1
; Occupancy: 10
; WaveLimiterHint : 0
; COMPUTE_PGM_RSRC2:SCRATCH_EN: 0
; COMPUTE_PGM_RSRC2:USER_SGPR: 6
; COMPUTE_PGM_RSRC2:TRAP_HANDLER: 0
; COMPUTE_PGM_RSRC2:TGID_X_EN: 1
; COMPUTE_PGM_RSRC2:TGID_Y_EN: 0
; COMPUTE_PGM_RSRC2:TGID_Z_EN: 0
; COMPUTE_PGM_RSRC2:TIDIG_COMP_CNT: 0
	.section	.text._ZN7rocprim17ROCPRIM_400000_NS6detail17trampoline_kernelINS0_13select_configILj256ELj13ELNS0_17block_load_methodE3ELS4_3ELS4_3ELNS0_20block_scan_algorithmE0ELj4294967295EEENS1_25partition_config_selectorILNS1_17partition_subalgoE4EjNS0_10empty_typeEbEEZZNS1_14partition_implILS8_4ELb0ES6_15HIP_vector_typeIjLj2EENS0_17counting_iteratorIjlEEPS9_SG_NS0_5tupleIJPjSI_NS0_16reverse_iteratorISI_EEEEENSH_IJSG_SG_SG_EEES9_SI_JZNS1_25segmented_radix_sort_implINS0_14default_configELb0EPKhPhPKlPlN2at6native12_GLOBAL__N_18offset_tEEE10hipError_tPvRmT1_PNSt15iterator_traitsIS12_E10value_typeET2_T3_PNS13_IS18_E10value_typeET4_jRbjT5_S1E_jjP12ihipStream_tbEUljE_ZNSN_ISO_Lb0ESQ_SR_ST_SU_SY_EESZ_S10_S11_S12_S16_S17_S18_S1B_S1C_jS1D_jS1E_S1E_jjS1G_bEUljE0_EEESZ_S10_S11_S18_S1C_S1E_T6_T7_T9_mT8_S1G_bDpT10_ENKUlT_T0_E_clISt17integral_constantIbLb1EES1T_IbLb0EEEEDaS1P_S1Q_EUlS1P_E_NS1_11comp_targetILNS1_3genE5ELNS1_11target_archE942ELNS1_3gpuE9ELNS1_3repE0EEENS1_30default_config_static_selectorELNS0_4arch9wavefront6targetE1EEEvS12_,"axG",@progbits,_ZN7rocprim17ROCPRIM_400000_NS6detail17trampoline_kernelINS0_13select_configILj256ELj13ELNS0_17block_load_methodE3ELS4_3ELS4_3ELNS0_20block_scan_algorithmE0ELj4294967295EEENS1_25partition_config_selectorILNS1_17partition_subalgoE4EjNS0_10empty_typeEbEEZZNS1_14partition_implILS8_4ELb0ES6_15HIP_vector_typeIjLj2EENS0_17counting_iteratorIjlEEPS9_SG_NS0_5tupleIJPjSI_NS0_16reverse_iteratorISI_EEEEENSH_IJSG_SG_SG_EEES9_SI_JZNS1_25segmented_radix_sort_implINS0_14default_configELb0EPKhPhPKlPlN2at6native12_GLOBAL__N_18offset_tEEE10hipError_tPvRmT1_PNSt15iterator_traitsIS12_E10value_typeET2_T3_PNS13_IS18_E10value_typeET4_jRbjT5_S1E_jjP12ihipStream_tbEUljE_ZNSN_ISO_Lb0ESQ_SR_ST_SU_SY_EESZ_S10_S11_S12_S16_S17_S18_S1B_S1C_jS1D_jS1E_S1E_jjS1G_bEUljE0_EEESZ_S10_S11_S18_S1C_S1E_T6_T7_T9_mT8_S1G_bDpT10_ENKUlT_T0_E_clISt17integral_constantIbLb1EES1T_IbLb0EEEEDaS1P_S1Q_EUlS1P_E_NS1_11comp_targetILNS1_3genE5ELNS1_11target_archE942ELNS1_3gpuE9ELNS1_3repE0EEENS1_30default_config_static_selectorELNS0_4arch9wavefront6targetE1EEEvS12_,comdat
	.globl	_ZN7rocprim17ROCPRIM_400000_NS6detail17trampoline_kernelINS0_13select_configILj256ELj13ELNS0_17block_load_methodE3ELS4_3ELS4_3ELNS0_20block_scan_algorithmE0ELj4294967295EEENS1_25partition_config_selectorILNS1_17partition_subalgoE4EjNS0_10empty_typeEbEEZZNS1_14partition_implILS8_4ELb0ES6_15HIP_vector_typeIjLj2EENS0_17counting_iteratorIjlEEPS9_SG_NS0_5tupleIJPjSI_NS0_16reverse_iteratorISI_EEEEENSH_IJSG_SG_SG_EEES9_SI_JZNS1_25segmented_radix_sort_implINS0_14default_configELb0EPKhPhPKlPlN2at6native12_GLOBAL__N_18offset_tEEE10hipError_tPvRmT1_PNSt15iterator_traitsIS12_E10value_typeET2_T3_PNS13_IS18_E10value_typeET4_jRbjT5_S1E_jjP12ihipStream_tbEUljE_ZNSN_ISO_Lb0ESQ_SR_ST_SU_SY_EESZ_S10_S11_S12_S16_S17_S18_S1B_S1C_jS1D_jS1E_S1E_jjS1G_bEUljE0_EEESZ_S10_S11_S18_S1C_S1E_T6_T7_T9_mT8_S1G_bDpT10_ENKUlT_T0_E_clISt17integral_constantIbLb1EES1T_IbLb0EEEEDaS1P_S1Q_EUlS1P_E_NS1_11comp_targetILNS1_3genE5ELNS1_11target_archE942ELNS1_3gpuE9ELNS1_3repE0EEENS1_30default_config_static_selectorELNS0_4arch9wavefront6targetE1EEEvS12_ ; -- Begin function _ZN7rocprim17ROCPRIM_400000_NS6detail17trampoline_kernelINS0_13select_configILj256ELj13ELNS0_17block_load_methodE3ELS4_3ELS4_3ELNS0_20block_scan_algorithmE0ELj4294967295EEENS1_25partition_config_selectorILNS1_17partition_subalgoE4EjNS0_10empty_typeEbEEZZNS1_14partition_implILS8_4ELb0ES6_15HIP_vector_typeIjLj2EENS0_17counting_iteratorIjlEEPS9_SG_NS0_5tupleIJPjSI_NS0_16reverse_iteratorISI_EEEEENSH_IJSG_SG_SG_EEES9_SI_JZNS1_25segmented_radix_sort_implINS0_14default_configELb0EPKhPhPKlPlN2at6native12_GLOBAL__N_18offset_tEEE10hipError_tPvRmT1_PNSt15iterator_traitsIS12_E10value_typeET2_T3_PNS13_IS18_E10value_typeET4_jRbjT5_S1E_jjP12ihipStream_tbEUljE_ZNSN_ISO_Lb0ESQ_SR_ST_SU_SY_EESZ_S10_S11_S12_S16_S17_S18_S1B_S1C_jS1D_jS1E_S1E_jjS1G_bEUljE0_EEESZ_S10_S11_S18_S1C_S1E_T6_T7_T9_mT8_S1G_bDpT10_ENKUlT_T0_E_clISt17integral_constantIbLb1EES1T_IbLb0EEEEDaS1P_S1Q_EUlS1P_E_NS1_11comp_targetILNS1_3genE5ELNS1_11target_archE942ELNS1_3gpuE9ELNS1_3repE0EEENS1_30default_config_static_selectorELNS0_4arch9wavefront6targetE1EEEvS12_
	.p2align	8
	.type	_ZN7rocprim17ROCPRIM_400000_NS6detail17trampoline_kernelINS0_13select_configILj256ELj13ELNS0_17block_load_methodE3ELS4_3ELS4_3ELNS0_20block_scan_algorithmE0ELj4294967295EEENS1_25partition_config_selectorILNS1_17partition_subalgoE4EjNS0_10empty_typeEbEEZZNS1_14partition_implILS8_4ELb0ES6_15HIP_vector_typeIjLj2EENS0_17counting_iteratorIjlEEPS9_SG_NS0_5tupleIJPjSI_NS0_16reverse_iteratorISI_EEEEENSH_IJSG_SG_SG_EEES9_SI_JZNS1_25segmented_radix_sort_implINS0_14default_configELb0EPKhPhPKlPlN2at6native12_GLOBAL__N_18offset_tEEE10hipError_tPvRmT1_PNSt15iterator_traitsIS12_E10value_typeET2_T3_PNS13_IS18_E10value_typeET4_jRbjT5_S1E_jjP12ihipStream_tbEUljE_ZNSN_ISO_Lb0ESQ_SR_ST_SU_SY_EESZ_S10_S11_S12_S16_S17_S18_S1B_S1C_jS1D_jS1E_S1E_jjS1G_bEUljE0_EEESZ_S10_S11_S18_S1C_S1E_T6_T7_T9_mT8_S1G_bDpT10_ENKUlT_T0_E_clISt17integral_constantIbLb1EES1T_IbLb0EEEEDaS1P_S1Q_EUlS1P_E_NS1_11comp_targetILNS1_3genE5ELNS1_11target_archE942ELNS1_3gpuE9ELNS1_3repE0EEENS1_30default_config_static_selectorELNS0_4arch9wavefront6targetE1EEEvS12_,@function
_ZN7rocprim17ROCPRIM_400000_NS6detail17trampoline_kernelINS0_13select_configILj256ELj13ELNS0_17block_load_methodE3ELS4_3ELS4_3ELNS0_20block_scan_algorithmE0ELj4294967295EEENS1_25partition_config_selectorILNS1_17partition_subalgoE4EjNS0_10empty_typeEbEEZZNS1_14partition_implILS8_4ELb0ES6_15HIP_vector_typeIjLj2EENS0_17counting_iteratorIjlEEPS9_SG_NS0_5tupleIJPjSI_NS0_16reverse_iteratorISI_EEEEENSH_IJSG_SG_SG_EEES9_SI_JZNS1_25segmented_radix_sort_implINS0_14default_configELb0EPKhPhPKlPlN2at6native12_GLOBAL__N_18offset_tEEE10hipError_tPvRmT1_PNSt15iterator_traitsIS12_E10value_typeET2_T3_PNS13_IS18_E10value_typeET4_jRbjT5_S1E_jjP12ihipStream_tbEUljE_ZNSN_ISO_Lb0ESQ_SR_ST_SU_SY_EESZ_S10_S11_S12_S16_S17_S18_S1B_S1C_jS1D_jS1E_S1E_jjS1G_bEUljE0_EEESZ_S10_S11_S18_S1C_S1E_T6_T7_T9_mT8_S1G_bDpT10_ENKUlT_T0_E_clISt17integral_constantIbLb1EES1T_IbLb0EEEEDaS1P_S1Q_EUlS1P_E_NS1_11comp_targetILNS1_3genE5ELNS1_11target_archE942ELNS1_3gpuE9ELNS1_3repE0EEENS1_30default_config_static_selectorELNS0_4arch9wavefront6targetE1EEEvS12_: ; @_ZN7rocprim17ROCPRIM_400000_NS6detail17trampoline_kernelINS0_13select_configILj256ELj13ELNS0_17block_load_methodE3ELS4_3ELS4_3ELNS0_20block_scan_algorithmE0ELj4294967295EEENS1_25partition_config_selectorILNS1_17partition_subalgoE4EjNS0_10empty_typeEbEEZZNS1_14partition_implILS8_4ELb0ES6_15HIP_vector_typeIjLj2EENS0_17counting_iteratorIjlEEPS9_SG_NS0_5tupleIJPjSI_NS0_16reverse_iteratorISI_EEEEENSH_IJSG_SG_SG_EEES9_SI_JZNS1_25segmented_radix_sort_implINS0_14default_configELb0EPKhPhPKlPlN2at6native12_GLOBAL__N_18offset_tEEE10hipError_tPvRmT1_PNSt15iterator_traitsIS12_E10value_typeET2_T3_PNS13_IS18_E10value_typeET4_jRbjT5_S1E_jjP12ihipStream_tbEUljE_ZNSN_ISO_Lb0ESQ_SR_ST_SU_SY_EESZ_S10_S11_S12_S16_S17_S18_S1B_S1C_jS1D_jS1E_S1E_jjS1G_bEUljE0_EEESZ_S10_S11_S18_S1C_S1E_T6_T7_T9_mT8_S1G_bDpT10_ENKUlT_T0_E_clISt17integral_constantIbLb1EES1T_IbLb0EEEEDaS1P_S1Q_EUlS1P_E_NS1_11comp_targetILNS1_3genE5ELNS1_11target_archE942ELNS1_3gpuE9ELNS1_3repE0EEENS1_30default_config_static_selectorELNS0_4arch9wavefront6targetE1EEEvS12_
; %bb.0:
	.section	.rodata,"a",@progbits
	.p2align	6, 0x0
	.amdhsa_kernel _ZN7rocprim17ROCPRIM_400000_NS6detail17trampoline_kernelINS0_13select_configILj256ELj13ELNS0_17block_load_methodE3ELS4_3ELS4_3ELNS0_20block_scan_algorithmE0ELj4294967295EEENS1_25partition_config_selectorILNS1_17partition_subalgoE4EjNS0_10empty_typeEbEEZZNS1_14partition_implILS8_4ELb0ES6_15HIP_vector_typeIjLj2EENS0_17counting_iteratorIjlEEPS9_SG_NS0_5tupleIJPjSI_NS0_16reverse_iteratorISI_EEEEENSH_IJSG_SG_SG_EEES9_SI_JZNS1_25segmented_radix_sort_implINS0_14default_configELb0EPKhPhPKlPlN2at6native12_GLOBAL__N_18offset_tEEE10hipError_tPvRmT1_PNSt15iterator_traitsIS12_E10value_typeET2_T3_PNS13_IS18_E10value_typeET4_jRbjT5_S1E_jjP12ihipStream_tbEUljE_ZNSN_ISO_Lb0ESQ_SR_ST_SU_SY_EESZ_S10_S11_S12_S16_S17_S18_S1B_S1C_jS1D_jS1E_S1E_jjS1G_bEUljE0_EEESZ_S10_S11_S18_S1C_S1E_T6_T7_T9_mT8_S1G_bDpT10_ENKUlT_T0_E_clISt17integral_constantIbLb1EES1T_IbLb0EEEEDaS1P_S1Q_EUlS1P_E_NS1_11comp_targetILNS1_3genE5ELNS1_11target_archE942ELNS1_3gpuE9ELNS1_3repE0EEENS1_30default_config_static_selectorELNS0_4arch9wavefront6targetE1EEEvS12_
		.amdhsa_group_segment_fixed_size 0
		.amdhsa_private_segment_fixed_size 0
		.amdhsa_kernarg_size 176
		.amdhsa_user_sgpr_count 6
		.amdhsa_user_sgpr_private_segment_buffer 1
		.amdhsa_user_sgpr_dispatch_ptr 0
		.amdhsa_user_sgpr_queue_ptr 0
		.amdhsa_user_sgpr_kernarg_segment_ptr 1
		.amdhsa_user_sgpr_dispatch_id 0
		.amdhsa_user_sgpr_flat_scratch_init 0
		.amdhsa_user_sgpr_private_segment_size 0
		.amdhsa_uses_dynamic_stack 0
		.amdhsa_system_sgpr_private_segment_wavefront_offset 0
		.amdhsa_system_sgpr_workgroup_id_x 1
		.amdhsa_system_sgpr_workgroup_id_y 0
		.amdhsa_system_sgpr_workgroup_id_z 0
		.amdhsa_system_sgpr_workgroup_info 0
		.amdhsa_system_vgpr_workitem_id 0
		.amdhsa_next_free_vgpr 1
		.amdhsa_next_free_sgpr 0
		.amdhsa_reserve_vcc 0
		.amdhsa_reserve_flat_scratch 0
		.amdhsa_float_round_mode_32 0
		.amdhsa_float_round_mode_16_64 0
		.amdhsa_float_denorm_mode_32 3
		.amdhsa_float_denorm_mode_16_64 3
		.amdhsa_dx10_clamp 1
		.amdhsa_ieee_mode 1
		.amdhsa_fp16_overflow 0
		.amdhsa_exception_fp_ieee_invalid_op 0
		.amdhsa_exception_fp_denorm_src 0
		.amdhsa_exception_fp_ieee_div_zero 0
		.amdhsa_exception_fp_ieee_overflow 0
		.amdhsa_exception_fp_ieee_underflow 0
		.amdhsa_exception_fp_ieee_inexact 0
		.amdhsa_exception_int_div_zero 0
	.end_amdhsa_kernel
	.section	.text._ZN7rocprim17ROCPRIM_400000_NS6detail17trampoline_kernelINS0_13select_configILj256ELj13ELNS0_17block_load_methodE3ELS4_3ELS4_3ELNS0_20block_scan_algorithmE0ELj4294967295EEENS1_25partition_config_selectorILNS1_17partition_subalgoE4EjNS0_10empty_typeEbEEZZNS1_14partition_implILS8_4ELb0ES6_15HIP_vector_typeIjLj2EENS0_17counting_iteratorIjlEEPS9_SG_NS0_5tupleIJPjSI_NS0_16reverse_iteratorISI_EEEEENSH_IJSG_SG_SG_EEES9_SI_JZNS1_25segmented_radix_sort_implINS0_14default_configELb0EPKhPhPKlPlN2at6native12_GLOBAL__N_18offset_tEEE10hipError_tPvRmT1_PNSt15iterator_traitsIS12_E10value_typeET2_T3_PNS13_IS18_E10value_typeET4_jRbjT5_S1E_jjP12ihipStream_tbEUljE_ZNSN_ISO_Lb0ESQ_SR_ST_SU_SY_EESZ_S10_S11_S12_S16_S17_S18_S1B_S1C_jS1D_jS1E_S1E_jjS1G_bEUljE0_EEESZ_S10_S11_S18_S1C_S1E_T6_T7_T9_mT8_S1G_bDpT10_ENKUlT_T0_E_clISt17integral_constantIbLb1EES1T_IbLb0EEEEDaS1P_S1Q_EUlS1P_E_NS1_11comp_targetILNS1_3genE5ELNS1_11target_archE942ELNS1_3gpuE9ELNS1_3repE0EEENS1_30default_config_static_selectorELNS0_4arch9wavefront6targetE1EEEvS12_,"axG",@progbits,_ZN7rocprim17ROCPRIM_400000_NS6detail17trampoline_kernelINS0_13select_configILj256ELj13ELNS0_17block_load_methodE3ELS4_3ELS4_3ELNS0_20block_scan_algorithmE0ELj4294967295EEENS1_25partition_config_selectorILNS1_17partition_subalgoE4EjNS0_10empty_typeEbEEZZNS1_14partition_implILS8_4ELb0ES6_15HIP_vector_typeIjLj2EENS0_17counting_iteratorIjlEEPS9_SG_NS0_5tupleIJPjSI_NS0_16reverse_iteratorISI_EEEEENSH_IJSG_SG_SG_EEES9_SI_JZNS1_25segmented_radix_sort_implINS0_14default_configELb0EPKhPhPKlPlN2at6native12_GLOBAL__N_18offset_tEEE10hipError_tPvRmT1_PNSt15iterator_traitsIS12_E10value_typeET2_T3_PNS13_IS18_E10value_typeET4_jRbjT5_S1E_jjP12ihipStream_tbEUljE_ZNSN_ISO_Lb0ESQ_SR_ST_SU_SY_EESZ_S10_S11_S12_S16_S17_S18_S1B_S1C_jS1D_jS1E_S1E_jjS1G_bEUljE0_EEESZ_S10_S11_S18_S1C_S1E_T6_T7_T9_mT8_S1G_bDpT10_ENKUlT_T0_E_clISt17integral_constantIbLb1EES1T_IbLb0EEEEDaS1P_S1Q_EUlS1P_E_NS1_11comp_targetILNS1_3genE5ELNS1_11target_archE942ELNS1_3gpuE9ELNS1_3repE0EEENS1_30default_config_static_selectorELNS0_4arch9wavefront6targetE1EEEvS12_,comdat
.Lfunc_end139:
	.size	_ZN7rocprim17ROCPRIM_400000_NS6detail17trampoline_kernelINS0_13select_configILj256ELj13ELNS0_17block_load_methodE3ELS4_3ELS4_3ELNS0_20block_scan_algorithmE0ELj4294967295EEENS1_25partition_config_selectorILNS1_17partition_subalgoE4EjNS0_10empty_typeEbEEZZNS1_14partition_implILS8_4ELb0ES6_15HIP_vector_typeIjLj2EENS0_17counting_iteratorIjlEEPS9_SG_NS0_5tupleIJPjSI_NS0_16reverse_iteratorISI_EEEEENSH_IJSG_SG_SG_EEES9_SI_JZNS1_25segmented_radix_sort_implINS0_14default_configELb0EPKhPhPKlPlN2at6native12_GLOBAL__N_18offset_tEEE10hipError_tPvRmT1_PNSt15iterator_traitsIS12_E10value_typeET2_T3_PNS13_IS18_E10value_typeET4_jRbjT5_S1E_jjP12ihipStream_tbEUljE_ZNSN_ISO_Lb0ESQ_SR_ST_SU_SY_EESZ_S10_S11_S12_S16_S17_S18_S1B_S1C_jS1D_jS1E_S1E_jjS1G_bEUljE0_EEESZ_S10_S11_S18_S1C_S1E_T6_T7_T9_mT8_S1G_bDpT10_ENKUlT_T0_E_clISt17integral_constantIbLb1EES1T_IbLb0EEEEDaS1P_S1Q_EUlS1P_E_NS1_11comp_targetILNS1_3genE5ELNS1_11target_archE942ELNS1_3gpuE9ELNS1_3repE0EEENS1_30default_config_static_selectorELNS0_4arch9wavefront6targetE1EEEvS12_, .Lfunc_end139-_ZN7rocprim17ROCPRIM_400000_NS6detail17trampoline_kernelINS0_13select_configILj256ELj13ELNS0_17block_load_methodE3ELS4_3ELS4_3ELNS0_20block_scan_algorithmE0ELj4294967295EEENS1_25partition_config_selectorILNS1_17partition_subalgoE4EjNS0_10empty_typeEbEEZZNS1_14partition_implILS8_4ELb0ES6_15HIP_vector_typeIjLj2EENS0_17counting_iteratorIjlEEPS9_SG_NS0_5tupleIJPjSI_NS0_16reverse_iteratorISI_EEEEENSH_IJSG_SG_SG_EEES9_SI_JZNS1_25segmented_radix_sort_implINS0_14default_configELb0EPKhPhPKlPlN2at6native12_GLOBAL__N_18offset_tEEE10hipError_tPvRmT1_PNSt15iterator_traitsIS12_E10value_typeET2_T3_PNS13_IS18_E10value_typeET4_jRbjT5_S1E_jjP12ihipStream_tbEUljE_ZNSN_ISO_Lb0ESQ_SR_ST_SU_SY_EESZ_S10_S11_S12_S16_S17_S18_S1B_S1C_jS1D_jS1E_S1E_jjS1G_bEUljE0_EEESZ_S10_S11_S18_S1C_S1E_T6_T7_T9_mT8_S1G_bDpT10_ENKUlT_T0_E_clISt17integral_constantIbLb1EES1T_IbLb0EEEEDaS1P_S1Q_EUlS1P_E_NS1_11comp_targetILNS1_3genE5ELNS1_11target_archE942ELNS1_3gpuE9ELNS1_3repE0EEENS1_30default_config_static_selectorELNS0_4arch9wavefront6targetE1EEEvS12_
                                        ; -- End function
	.set _ZN7rocprim17ROCPRIM_400000_NS6detail17trampoline_kernelINS0_13select_configILj256ELj13ELNS0_17block_load_methodE3ELS4_3ELS4_3ELNS0_20block_scan_algorithmE0ELj4294967295EEENS1_25partition_config_selectorILNS1_17partition_subalgoE4EjNS0_10empty_typeEbEEZZNS1_14partition_implILS8_4ELb0ES6_15HIP_vector_typeIjLj2EENS0_17counting_iteratorIjlEEPS9_SG_NS0_5tupleIJPjSI_NS0_16reverse_iteratorISI_EEEEENSH_IJSG_SG_SG_EEES9_SI_JZNS1_25segmented_radix_sort_implINS0_14default_configELb0EPKhPhPKlPlN2at6native12_GLOBAL__N_18offset_tEEE10hipError_tPvRmT1_PNSt15iterator_traitsIS12_E10value_typeET2_T3_PNS13_IS18_E10value_typeET4_jRbjT5_S1E_jjP12ihipStream_tbEUljE_ZNSN_ISO_Lb0ESQ_SR_ST_SU_SY_EESZ_S10_S11_S12_S16_S17_S18_S1B_S1C_jS1D_jS1E_S1E_jjS1G_bEUljE0_EEESZ_S10_S11_S18_S1C_S1E_T6_T7_T9_mT8_S1G_bDpT10_ENKUlT_T0_E_clISt17integral_constantIbLb1EES1T_IbLb0EEEEDaS1P_S1Q_EUlS1P_E_NS1_11comp_targetILNS1_3genE5ELNS1_11target_archE942ELNS1_3gpuE9ELNS1_3repE0EEENS1_30default_config_static_selectorELNS0_4arch9wavefront6targetE1EEEvS12_.num_vgpr, 0
	.set _ZN7rocprim17ROCPRIM_400000_NS6detail17trampoline_kernelINS0_13select_configILj256ELj13ELNS0_17block_load_methodE3ELS4_3ELS4_3ELNS0_20block_scan_algorithmE0ELj4294967295EEENS1_25partition_config_selectorILNS1_17partition_subalgoE4EjNS0_10empty_typeEbEEZZNS1_14partition_implILS8_4ELb0ES6_15HIP_vector_typeIjLj2EENS0_17counting_iteratorIjlEEPS9_SG_NS0_5tupleIJPjSI_NS0_16reverse_iteratorISI_EEEEENSH_IJSG_SG_SG_EEES9_SI_JZNS1_25segmented_radix_sort_implINS0_14default_configELb0EPKhPhPKlPlN2at6native12_GLOBAL__N_18offset_tEEE10hipError_tPvRmT1_PNSt15iterator_traitsIS12_E10value_typeET2_T3_PNS13_IS18_E10value_typeET4_jRbjT5_S1E_jjP12ihipStream_tbEUljE_ZNSN_ISO_Lb0ESQ_SR_ST_SU_SY_EESZ_S10_S11_S12_S16_S17_S18_S1B_S1C_jS1D_jS1E_S1E_jjS1G_bEUljE0_EEESZ_S10_S11_S18_S1C_S1E_T6_T7_T9_mT8_S1G_bDpT10_ENKUlT_T0_E_clISt17integral_constantIbLb1EES1T_IbLb0EEEEDaS1P_S1Q_EUlS1P_E_NS1_11comp_targetILNS1_3genE5ELNS1_11target_archE942ELNS1_3gpuE9ELNS1_3repE0EEENS1_30default_config_static_selectorELNS0_4arch9wavefront6targetE1EEEvS12_.num_agpr, 0
	.set _ZN7rocprim17ROCPRIM_400000_NS6detail17trampoline_kernelINS0_13select_configILj256ELj13ELNS0_17block_load_methodE3ELS4_3ELS4_3ELNS0_20block_scan_algorithmE0ELj4294967295EEENS1_25partition_config_selectorILNS1_17partition_subalgoE4EjNS0_10empty_typeEbEEZZNS1_14partition_implILS8_4ELb0ES6_15HIP_vector_typeIjLj2EENS0_17counting_iteratorIjlEEPS9_SG_NS0_5tupleIJPjSI_NS0_16reverse_iteratorISI_EEEEENSH_IJSG_SG_SG_EEES9_SI_JZNS1_25segmented_radix_sort_implINS0_14default_configELb0EPKhPhPKlPlN2at6native12_GLOBAL__N_18offset_tEEE10hipError_tPvRmT1_PNSt15iterator_traitsIS12_E10value_typeET2_T3_PNS13_IS18_E10value_typeET4_jRbjT5_S1E_jjP12ihipStream_tbEUljE_ZNSN_ISO_Lb0ESQ_SR_ST_SU_SY_EESZ_S10_S11_S12_S16_S17_S18_S1B_S1C_jS1D_jS1E_S1E_jjS1G_bEUljE0_EEESZ_S10_S11_S18_S1C_S1E_T6_T7_T9_mT8_S1G_bDpT10_ENKUlT_T0_E_clISt17integral_constantIbLb1EES1T_IbLb0EEEEDaS1P_S1Q_EUlS1P_E_NS1_11comp_targetILNS1_3genE5ELNS1_11target_archE942ELNS1_3gpuE9ELNS1_3repE0EEENS1_30default_config_static_selectorELNS0_4arch9wavefront6targetE1EEEvS12_.numbered_sgpr, 0
	.set _ZN7rocprim17ROCPRIM_400000_NS6detail17trampoline_kernelINS0_13select_configILj256ELj13ELNS0_17block_load_methodE3ELS4_3ELS4_3ELNS0_20block_scan_algorithmE0ELj4294967295EEENS1_25partition_config_selectorILNS1_17partition_subalgoE4EjNS0_10empty_typeEbEEZZNS1_14partition_implILS8_4ELb0ES6_15HIP_vector_typeIjLj2EENS0_17counting_iteratorIjlEEPS9_SG_NS0_5tupleIJPjSI_NS0_16reverse_iteratorISI_EEEEENSH_IJSG_SG_SG_EEES9_SI_JZNS1_25segmented_radix_sort_implINS0_14default_configELb0EPKhPhPKlPlN2at6native12_GLOBAL__N_18offset_tEEE10hipError_tPvRmT1_PNSt15iterator_traitsIS12_E10value_typeET2_T3_PNS13_IS18_E10value_typeET4_jRbjT5_S1E_jjP12ihipStream_tbEUljE_ZNSN_ISO_Lb0ESQ_SR_ST_SU_SY_EESZ_S10_S11_S12_S16_S17_S18_S1B_S1C_jS1D_jS1E_S1E_jjS1G_bEUljE0_EEESZ_S10_S11_S18_S1C_S1E_T6_T7_T9_mT8_S1G_bDpT10_ENKUlT_T0_E_clISt17integral_constantIbLb1EES1T_IbLb0EEEEDaS1P_S1Q_EUlS1P_E_NS1_11comp_targetILNS1_3genE5ELNS1_11target_archE942ELNS1_3gpuE9ELNS1_3repE0EEENS1_30default_config_static_selectorELNS0_4arch9wavefront6targetE1EEEvS12_.num_named_barrier, 0
	.set _ZN7rocprim17ROCPRIM_400000_NS6detail17trampoline_kernelINS0_13select_configILj256ELj13ELNS0_17block_load_methodE3ELS4_3ELS4_3ELNS0_20block_scan_algorithmE0ELj4294967295EEENS1_25partition_config_selectorILNS1_17partition_subalgoE4EjNS0_10empty_typeEbEEZZNS1_14partition_implILS8_4ELb0ES6_15HIP_vector_typeIjLj2EENS0_17counting_iteratorIjlEEPS9_SG_NS0_5tupleIJPjSI_NS0_16reverse_iteratorISI_EEEEENSH_IJSG_SG_SG_EEES9_SI_JZNS1_25segmented_radix_sort_implINS0_14default_configELb0EPKhPhPKlPlN2at6native12_GLOBAL__N_18offset_tEEE10hipError_tPvRmT1_PNSt15iterator_traitsIS12_E10value_typeET2_T3_PNS13_IS18_E10value_typeET4_jRbjT5_S1E_jjP12ihipStream_tbEUljE_ZNSN_ISO_Lb0ESQ_SR_ST_SU_SY_EESZ_S10_S11_S12_S16_S17_S18_S1B_S1C_jS1D_jS1E_S1E_jjS1G_bEUljE0_EEESZ_S10_S11_S18_S1C_S1E_T6_T7_T9_mT8_S1G_bDpT10_ENKUlT_T0_E_clISt17integral_constantIbLb1EES1T_IbLb0EEEEDaS1P_S1Q_EUlS1P_E_NS1_11comp_targetILNS1_3genE5ELNS1_11target_archE942ELNS1_3gpuE9ELNS1_3repE0EEENS1_30default_config_static_selectorELNS0_4arch9wavefront6targetE1EEEvS12_.private_seg_size, 0
	.set _ZN7rocprim17ROCPRIM_400000_NS6detail17trampoline_kernelINS0_13select_configILj256ELj13ELNS0_17block_load_methodE3ELS4_3ELS4_3ELNS0_20block_scan_algorithmE0ELj4294967295EEENS1_25partition_config_selectorILNS1_17partition_subalgoE4EjNS0_10empty_typeEbEEZZNS1_14partition_implILS8_4ELb0ES6_15HIP_vector_typeIjLj2EENS0_17counting_iteratorIjlEEPS9_SG_NS0_5tupleIJPjSI_NS0_16reverse_iteratorISI_EEEEENSH_IJSG_SG_SG_EEES9_SI_JZNS1_25segmented_radix_sort_implINS0_14default_configELb0EPKhPhPKlPlN2at6native12_GLOBAL__N_18offset_tEEE10hipError_tPvRmT1_PNSt15iterator_traitsIS12_E10value_typeET2_T3_PNS13_IS18_E10value_typeET4_jRbjT5_S1E_jjP12ihipStream_tbEUljE_ZNSN_ISO_Lb0ESQ_SR_ST_SU_SY_EESZ_S10_S11_S12_S16_S17_S18_S1B_S1C_jS1D_jS1E_S1E_jjS1G_bEUljE0_EEESZ_S10_S11_S18_S1C_S1E_T6_T7_T9_mT8_S1G_bDpT10_ENKUlT_T0_E_clISt17integral_constantIbLb1EES1T_IbLb0EEEEDaS1P_S1Q_EUlS1P_E_NS1_11comp_targetILNS1_3genE5ELNS1_11target_archE942ELNS1_3gpuE9ELNS1_3repE0EEENS1_30default_config_static_selectorELNS0_4arch9wavefront6targetE1EEEvS12_.uses_vcc, 0
	.set _ZN7rocprim17ROCPRIM_400000_NS6detail17trampoline_kernelINS0_13select_configILj256ELj13ELNS0_17block_load_methodE3ELS4_3ELS4_3ELNS0_20block_scan_algorithmE0ELj4294967295EEENS1_25partition_config_selectorILNS1_17partition_subalgoE4EjNS0_10empty_typeEbEEZZNS1_14partition_implILS8_4ELb0ES6_15HIP_vector_typeIjLj2EENS0_17counting_iteratorIjlEEPS9_SG_NS0_5tupleIJPjSI_NS0_16reverse_iteratorISI_EEEEENSH_IJSG_SG_SG_EEES9_SI_JZNS1_25segmented_radix_sort_implINS0_14default_configELb0EPKhPhPKlPlN2at6native12_GLOBAL__N_18offset_tEEE10hipError_tPvRmT1_PNSt15iterator_traitsIS12_E10value_typeET2_T3_PNS13_IS18_E10value_typeET4_jRbjT5_S1E_jjP12ihipStream_tbEUljE_ZNSN_ISO_Lb0ESQ_SR_ST_SU_SY_EESZ_S10_S11_S12_S16_S17_S18_S1B_S1C_jS1D_jS1E_S1E_jjS1G_bEUljE0_EEESZ_S10_S11_S18_S1C_S1E_T6_T7_T9_mT8_S1G_bDpT10_ENKUlT_T0_E_clISt17integral_constantIbLb1EES1T_IbLb0EEEEDaS1P_S1Q_EUlS1P_E_NS1_11comp_targetILNS1_3genE5ELNS1_11target_archE942ELNS1_3gpuE9ELNS1_3repE0EEENS1_30default_config_static_selectorELNS0_4arch9wavefront6targetE1EEEvS12_.uses_flat_scratch, 0
	.set _ZN7rocprim17ROCPRIM_400000_NS6detail17trampoline_kernelINS0_13select_configILj256ELj13ELNS0_17block_load_methodE3ELS4_3ELS4_3ELNS0_20block_scan_algorithmE0ELj4294967295EEENS1_25partition_config_selectorILNS1_17partition_subalgoE4EjNS0_10empty_typeEbEEZZNS1_14partition_implILS8_4ELb0ES6_15HIP_vector_typeIjLj2EENS0_17counting_iteratorIjlEEPS9_SG_NS0_5tupleIJPjSI_NS0_16reverse_iteratorISI_EEEEENSH_IJSG_SG_SG_EEES9_SI_JZNS1_25segmented_radix_sort_implINS0_14default_configELb0EPKhPhPKlPlN2at6native12_GLOBAL__N_18offset_tEEE10hipError_tPvRmT1_PNSt15iterator_traitsIS12_E10value_typeET2_T3_PNS13_IS18_E10value_typeET4_jRbjT5_S1E_jjP12ihipStream_tbEUljE_ZNSN_ISO_Lb0ESQ_SR_ST_SU_SY_EESZ_S10_S11_S12_S16_S17_S18_S1B_S1C_jS1D_jS1E_S1E_jjS1G_bEUljE0_EEESZ_S10_S11_S18_S1C_S1E_T6_T7_T9_mT8_S1G_bDpT10_ENKUlT_T0_E_clISt17integral_constantIbLb1EES1T_IbLb0EEEEDaS1P_S1Q_EUlS1P_E_NS1_11comp_targetILNS1_3genE5ELNS1_11target_archE942ELNS1_3gpuE9ELNS1_3repE0EEENS1_30default_config_static_selectorELNS0_4arch9wavefront6targetE1EEEvS12_.has_dyn_sized_stack, 0
	.set _ZN7rocprim17ROCPRIM_400000_NS6detail17trampoline_kernelINS0_13select_configILj256ELj13ELNS0_17block_load_methodE3ELS4_3ELS4_3ELNS0_20block_scan_algorithmE0ELj4294967295EEENS1_25partition_config_selectorILNS1_17partition_subalgoE4EjNS0_10empty_typeEbEEZZNS1_14partition_implILS8_4ELb0ES6_15HIP_vector_typeIjLj2EENS0_17counting_iteratorIjlEEPS9_SG_NS0_5tupleIJPjSI_NS0_16reverse_iteratorISI_EEEEENSH_IJSG_SG_SG_EEES9_SI_JZNS1_25segmented_radix_sort_implINS0_14default_configELb0EPKhPhPKlPlN2at6native12_GLOBAL__N_18offset_tEEE10hipError_tPvRmT1_PNSt15iterator_traitsIS12_E10value_typeET2_T3_PNS13_IS18_E10value_typeET4_jRbjT5_S1E_jjP12ihipStream_tbEUljE_ZNSN_ISO_Lb0ESQ_SR_ST_SU_SY_EESZ_S10_S11_S12_S16_S17_S18_S1B_S1C_jS1D_jS1E_S1E_jjS1G_bEUljE0_EEESZ_S10_S11_S18_S1C_S1E_T6_T7_T9_mT8_S1G_bDpT10_ENKUlT_T0_E_clISt17integral_constantIbLb1EES1T_IbLb0EEEEDaS1P_S1Q_EUlS1P_E_NS1_11comp_targetILNS1_3genE5ELNS1_11target_archE942ELNS1_3gpuE9ELNS1_3repE0EEENS1_30default_config_static_selectorELNS0_4arch9wavefront6targetE1EEEvS12_.has_recursion, 0
	.set _ZN7rocprim17ROCPRIM_400000_NS6detail17trampoline_kernelINS0_13select_configILj256ELj13ELNS0_17block_load_methodE3ELS4_3ELS4_3ELNS0_20block_scan_algorithmE0ELj4294967295EEENS1_25partition_config_selectorILNS1_17partition_subalgoE4EjNS0_10empty_typeEbEEZZNS1_14partition_implILS8_4ELb0ES6_15HIP_vector_typeIjLj2EENS0_17counting_iteratorIjlEEPS9_SG_NS0_5tupleIJPjSI_NS0_16reverse_iteratorISI_EEEEENSH_IJSG_SG_SG_EEES9_SI_JZNS1_25segmented_radix_sort_implINS0_14default_configELb0EPKhPhPKlPlN2at6native12_GLOBAL__N_18offset_tEEE10hipError_tPvRmT1_PNSt15iterator_traitsIS12_E10value_typeET2_T3_PNS13_IS18_E10value_typeET4_jRbjT5_S1E_jjP12ihipStream_tbEUljE_ZNSN_ISO_Lb0ESQ_SR_ST_SU_SY_EESZ_S10_S11_S12_S16_S17_S18_S1B_S1C_jS1D_jS1E_S1E_jjS1G_bEUljE0_EEESZ_S10_S11_S18_S1C_S1E_T6_T7_T9_mT8_S1G_bDpT10_ENKUlT_T0_E_clISt17integral_constantIbLb1EES1T_IbLb0EEEEDaS1P_S1Q_EUlS1P_E_NS1_11comp_targetILNS1_3genE5ELNS1_11target_archE942ELNS1_3gpuE9ELNS1_3repE0EEENS1_30default_config_static_selectorELNS0_4arch9wavefront6targetE1EEEvS12_.has_indirect_call, 0
	.section	.AMDGPU.csdata,"",@progbits
; Kernel info:
; codeLenInByte = 0
; TotalNumSgprs: 4
; NumVgprs: 0
; ScratchSize: 0
; MemoryBound: 0
; FloatMode: 240
; IeeeMode: 1
; LDSByteSize: 0 bytes/workgroup (compile time only)
; SGPRBlocks: 0
; VGPRBlocks: 0
; NumSGPRsForWavesPerEU: 4
; NumVGPRsForWavesPerEU: 1
; Occupancy: 10
; WaveLimiterHint : 0
; COMPUTE_PGM_RSRC2:SCRATCH_EN: 0
; COMPUTE_PGM_RSRC2:USER_SGPR: 6
; COMPUTE_PGM_RSRC2:TRAP_HANDLER: 0
; COMPUTE_PGM_RSRC2:TGID_X_EN: 1
; COMPUTE_PGM_RSRC2:TGID_Y_EN: 0
; COMPUTE_PGM_RSRC2:TGID_Z_EN: 0
; COMPUTE_PGM_RSRC2:TIDIG_COMP_CNT: 0
	.section	.text._ZN7rocprim17ROCPRIM_400000_NS6detail17trampoline_kernelINS0_13select_configILj256ELj13ELNS0_17block_load_methodE3ELS4_3ELS4_3ELNS0_20block_scan_algorithmE0ELj4294967295EEENS1_25partition_config_selectorILNS1_17partition_subalgoE4EjNS0_10empty_typeEbEEZZNS1_14partition_implILS8_4ELb0ES6_15HIP_vector_typeIjLj2EENS0_17counting_iteratorIjlEEPS9_SG_NS0_5tupleIJPjSI_NS0_16reverse_iteratorISI_EEEEENSH_IJSG_SG_SG_EEES9_SI_JZNS1_25segmented_radix_sort_implINS0_14default_configELb0EPKhPhPKlPlN2at6native12_GLOBAL__N_18offset_tEEE10hipError_tPvRmT1_PNSt15iterator_traitsIS12_E10value_typeET2_T3_PNS13_IS18_E10value_typeET4_jRbjT5_S1E_jjP12ihipStream_tbEUljE_ZNSN_ISO_Lb0ESQ_SR_ST_SU_SY_EESZ_S10_S11_S12_S16_S17_S18_S1B_S1C_jS1D_jS1E_S1E_jjS1G_bEUljE0_EEESZ_S10_S11_S18_S1C_S1E_T6_T7_T9_mT8_S1G_bDpT10_ENKUlT_T0_E_clISt17integral_constantIbLb1EES1T_IbLb0EEEEDaS1P_S1Q_EUlS1P_E_NS1_11comp_targetILNS1_3genE4ELNS1_11target_archE910ELNS1_3gpuE8ELNS1_3repE0EEENS1_30default_config_static_selectorELNS0_4arch9wavefront6targetE1EEEvS12_,"axG",@progbits,_ZN7rocprim17ROCPRIM_400000_NS6detail17trampoline_kernelINS0_13select_configILj256ELj13ELNS0_17block_load_methodE3ELS4_3ELS4_3ELNS0_20block_scan_algorithmE0ELj4294967295EEENS1_25partition_config_selectorILNS1_17partition_subalgoE4EjNS0_10empty_typeEbEEZZNS1_14partition_implILS8_4ELb0ES6_15HIP_vector_typeIjLj2EENS0_17counting_iteratorIjlEEPS9_SG_NS0_5tupleIJPjSI_NS0_16reverse_iteratorISI_EEEEENSH_IJSG_SG_SG_EEES9_SI_JZNS1_25segmented_radix_sort_implINS0_14default_configELb0EPKhPhPKlPlN2at6native12_GLOBAL__N_18offset_tEEE10hipError_tPvRmT1_PNSt15iterator_traitsIS12_E10value_typeET2_T3_PNS13_IS18_E10value_typeET4_jRbjT5_S1E_jjP12ihipStream_tbEUljE_ZNSN_ISO_Lb0ESQ_SR_ST_SU_SY_EESZ_S10_S11_S12_S16_S17_S18_S1B_S1C_jS1D_jS1E_S1E_jjS1G_bEUljE0_EEESZ_S10_S11_S18_S1C_S1E_T6_T7_T9_mT8_S1G_bDpT10_ENKUlT_T0_E_clISt17integral_constantIbLb1EES1T_IbLb0EEEEDaS1P_S1Q_EUlS1P_E_NS1_11comp_targetILNS1_3genE4ELNS1_11target_archE910ELNS1_3gpuE8ELNS1_3repE0EEENS1_30default_config_static_selectorELNS0_4arch9wavefront6targetE1EEEvS12_,comdat
	.globl	_ZN7rocprim17ROCPRIM_400000_NS6detail17trampoline_kernelINS0_13select_configILj256ELj13ELNS0_17block_load_methodE3ELS4_3ELS4_3ELNS0_20block_scan_algorithmE0ELj4294967295EEENS1_25partition_config_selectorILNS1_17partition_subalgoE4EjNS0_10empty_typeEbEEZZNS1_14partition_implILS8_4ELb0ES6_15HIP_vector_typeIjLj2EENS0_17counting_iteratorIjlEEPS9_SG_NS0_5tupleIJPjSI_NS0_16reverse_iteratorISI_EEEEENSH_IJSG_SG_SG_EEES9_SI_JZNS1_25segmented_radix_sort_implINS0_14default_configELb0EPKhPhPKlPlN2at6native12_GLOBAL__N_18offset_tEEE10hipError_tPvRmT1_PNSt15iterator_traitsIS12_E10value_typeET2_T3_PNS13_IS18_E10value_typeET4_jRbjT5_S1E_jjP12ihipStream_tbEUljE_ZNSN_ISO_Lb0ESQ_SR_ST_SU_SY_EESZ_S10_S11_S12_S16_S17_S18_S1B_S1C_jS1D_jS1E_S1E_jjS1G_bEUljE0_EEESZ_S10_S11_S18_S1C_S1E_T6_T7_T9_mT8_S1G_bDpT10_ENKUlT_T0_E_clISt17integral_constantIbLb1EES1T_IbLb0EEEEDaS1P_S1Q_EUlS1P_E_NS1_11comp_targetILNS1_3genE4ELNS1_11target_archE910ELNS1_3gpuE8ELNS1_3repE0EEENS1_30default_config_static_selectorELNS0_4arch9wavefront6targetE1EEEvS12_ ; -- Begin function _ZN7rocprim17ROCPRIM_400000_NS6detail17trampoline_kernelINS0_13select_configILj256ELj13ELNS0_17block_load_methodE3ELS4_3ELS4_3ELNS0_20block_scan_algorithmE0ELj4294967295EEENS1_25partition_config_selectorILNS1_17partition_subalgoE4EjNS0_10empty_typeEbEEZZNS1_14partition_implILS8_4ELb0ES6_15HIP_vector_typeIjLj2EENS0_17counting_iteratorIjlEEPS9_SG_NS0_5tupleIJPjSI_NS0_16reverse_iteratorISI_EEEEENSH_IJSG_SG_SG_EEES9_SI_JZNS1_25segmented_radix_sort_implINS0_14default_configELb0EPKhPhPKlPlN2at6native12_GLOBAL__N_18offset_tEEE10hipError_tPvRmT1_PNSt15iterator_traitsIS12_E10value_typeET2_T3_PNS13_IS18_E10value_typeET4_jRbjT5_S1E_jjP12ihipStream_tbEUljE_ZNSN_ISO_Lb0ESQ_SR_ST_SU_SY_EESZ_S10_S11_S12_S16_S17_S18_S1B_S1C_jS1D_jS1E_S1E_jjS1G_bEUljE0_EEESZ_S10_S11_S18_S1C_S1E_T6_T7_T9_mT8_S1G_bDpT10_ENKUlT_T0_E_clISt17integral_constantIbLb1EES1T_IbLb0EEEEDaS1P_S1Q_EUlS1P_E_NS1_11comp_targetILNS1_3genE4ELNS1_11target_archE910ELNS1_3gpuE8ELNS1_3repE0EEENS1_30default_config_static_selectorELNS0_4arch9wavefront6targetE1EEEvS12_
	.p2align	8
	.type	_ZN7rocprim17ROCPRIM_400000_NS6detail17trampoline_kernelINS0_13select_configILj256ELj13ELNS0_17block_load_methodE3ELS4_3ELS4_3ELNS0_20block_scan_algorithmE0ELj4294967295EEENS1_25partition_config_selectorILNS1_17partition_subalgoE4EjNS0_10empty_typeEbEEZZNS1_14partition_implILS8_4ELb0ES6_15HIP_vector_typeIjLj2EENS0_17counting_iteratorIjlEEPS9_SG_NS0_5tupleIJPjSI_NS0_16reverse_iteratorISI_EEEEENSH_IJSG_SG_SG_EEES9_SI_JZNS1_25segmented_radix_sort_implINS0_14default_configELb0EPKhPhPKlPlN2at6native12_GLOBAL__N_18offset_tEEE10hipError_tPvRmT1_PNSt15iterator_traitsIS12_E10value_typeET2_T3_PNS13_IS18_E10value_typeET4_jRbjT5_S1E_jjP12ihipStream_tbEUljE_ZNSN_ISO_Lb0ESQ_SR_ST_SU_SY_EESZ_S10_S11_S12_S16_S17_S18_S1B_S1C_jS1D_jS1E_S1E_jjS1G_bEUljE0_EEESZ_S10_S11_S18_S1C_S1E_T6_T7_T9_mT8_S1G_bDpT10_ENKUlT_T0_E_clISt17integral_constantIbLb1EES1T_IbLb0EEEEDaS1P_S1Q_EUlS1P_E_NS1_11comp_targetILNS1_3genE4ELNS1_11target_archE910ELNS1_3gpuE8ELNS1_3repE0EEENS1_30default_config_static_selectorELNS0_4arch9wavefront6targetE1EEEvS12_,@function
_ZN7rocprim17ROCPRIM_400000_NS6detail17trampoline_kernelINS0_13select_configILj256ELj13ELNS0_17block_load_methodE3ELS4_3ELS4_3ELNS0_20block_scan_algorithmE0ELj4294967295EEENS1_25partition_config_selectorILNS1_17partition_subalgoE4EjNS0_10empty_typeEbEEZZNS1_14partition_implILS8_4ELb0ES6_15HIP_vector_typeIjLj2EENS0_17counting_iteratorIjlEEPS9_SG_NS0_5tupleIJPjSI_NS0_16reverse_iteratorISI_EEEEENSH_IJSG_SG_SG_EEES9_SI_JZNS1_25segmented_radix_sort_implINS0_14default_configELb0EPKhPhPKlPlN2at6native12_GLOBAL__N_18offset_tEEE10hipError_tPvRmT1_PNSt15iterator_traitsIS12_E10value_typeET2_T3_PNS13_IS18_E10value_typeET4_jRbjT5_S1E_jjP12ihipStream_tbEUljE_ZNSN_ISO_Lb0ESQ_SR_ST_SU_SY_EESZ_S10_S11_S12_S16_S17_S18_S1B_S1C_jS1D_jS1E_S1E_jjS1G_bEUljE0_EEESZ_S10_S11_S18_S1C_S1E_T6_T7_T9_mT8_S1G_bDpT10_ENKUlT_T0_E_clISt17integral_constantIbLb1EES1T_IbLb0EEEEDaS1P_S1Q_EUlS1P_E_NS1_11comp_targetILNS1_3genE4ELNS1_11target_archE910ELNS1_3gpuE8ELNS1_3repE0EEENS1_30default_config_static_selectorELNS0_4arch9wavefront6targetE1EEEvS12_: ; @_ZN7rocprim17ROCPRIM_400000_NS6detail17trampoline_kernelINS0_13select_configILj256ELj13ELNS0_17block_load_methodE3ELS4_3ELS4_3ELNS0_20block_scan_algorithmE0ELj4294967295EEENS1_25partition_config_selectorILNS1_17partition_subalgoE4EjNS0_10empty_typeEbEEZZNS1_14partition_implILS8_4ELb0ES6_15HIP_vector_typeIjLj2EENS0_17counting_iteratorIjlEEPS9_SG_NS0_5tupleIJPjSI_NS0_16reverse_iteratorISI_EEEEENSH_IJSG_SG_SG_EEES9_SI_JZNS1_25segmented_radix_sort_implINS0_14default_configELb0EPKhPhPKlPlN2at6native12_GLOBAL__N_18offset_tEEE10hipError_tPvRmT1_PNSt15iterator_traitsIS12_E10value_typeET2_T3_PNS13_IS18_E10value_typeET4_jRbjT5_S1E_jjP12ihipStream_tbEUljE_ZNSN_ISO_Lb0ESQ_SR_ST_SU_SY_EESZ_S10_S11_S12_S16_S17_S18_S1B_S1C_jS1D_jS1E_S1E_jjS1G_bEUljE0_EEESZ_S10_S11_S18_S1C_S1E_T6_T7_T9_mT8_S1G_bDpT10_ENKUlT_T0_E_clISt17integral_constantIbLb1EES1T_IbLb0EEEEDaS1P_S1Q_EUlS1P_E_NS1_11comp_targetILNS1_3genE4ELNS1_11target_archE910ELNS1_3gpuE8ELNS1_3repE0EEENS1_30default_config_static_selectorELNS0_4arch9wavefront6targetE1EEEvS12_
; %bb.0:
	.section	.rodata,"a",@progbits
	.p2align	6, 0x0
	.amdhsa_kernel _ZN7rocprim17ROCPRIM_400000_NS6detail17trampoline_kernelINS0_13select_configILj256ELj13ELNS0_17block_load_methodE3ELS4_3ELS4_3ELNS0_20block_scan_algorithmE0ELj4294967295EEENS1_25partition_config_selectorILNS1_17partition_subalgoE4EjNS0_10empty_typeEbEEZZNS1_14partition_implILS8_4ELb0ES6_15HIP_vector_typeIjLj2EENS0_17counting_iteratorIjlEEPS9_SG_NS0_5tupleIJPjSI_NS0_16reverse_iteratorISI_EEEEENSH_IJSG_SG_SG_EEES9_SI_JZNS1_25segmented_radix_sort_implINS0_14default_configELb0EPKhPhPKlPlN2at6native12_GLOBAL__N_18offset_tEEE10hipError_tPvRmT1_PNSt15iterator_traitsIS12_E10value_typeET2_T3_PNS13_IS18_E10value_typeET4_jRbjT5_S1E_jjP12ihipStream_tbEUljE_ZNSN_ISO_Lb0ESQ_SR_ST_SU_SY_EESZ_S10_S11_S12_S16_S17_S18_S1B_S1C_jS1D_jS1E_S1E_jjS1G_bEUljE0_EEESZ_S10_S11_S18_S1C_S1E_T6_T7_T9_mT8_S1G_bDpT10_ENKUlT_T0_E_clISt17integral_constantIbLb1EES1T_IbLb0EEEEDaS1P_S1Q_EUlS1P_E_NS1_11comp_targetILNS1_3genE4ELNS1_11target_archE910ELNS1_3gpuE8ELNS1_3repE0EEENS1_30default_config_static_selectorELNS0_4arch9wavefront6targetE1EEEvS12_
		.amdhsa_group_segment_fixed_size 0
		.amdhsa_private_segment_fixed_size 0
		.amdhsa_kernarg_size 176
		.amdhsa_user_sgpr_count 6
		.amdhsa_user_sgpr_private_segment_buffer 1
		.amdhsa_user_sgpr_dispatch_ptr 0
		.amdhsa_user_sgpr_queue_ptr 0
		.amdhsa_user_sgpr_kernarg_segment_ptr 1
		.amdhsa_user_sgpr_dispatch_id 0
		.amdhsa_user_sgpr_flat_scratch_init 0
		.amdhsa_user_sgpr_private_segment_size 0
		.amdhsa_uses_dynamic_stack 0
		.amdhsa_system_sgpr_private_segment_wavefront_offset 0
		.amdhsa_system_sgpr_workgroup_id_x 1
		.amdhsa_system_sgpr_workgroup_id_y 0
		.amdhsa_system_sgpr_workgroup_id_z 0
		.amdhsa_system_sgpr_workgroup_info 0
		.amdhsa_system_vgpr_workitem_id 0
		.amdhsa_next_free_vgpr 1
		.amdhsa_next_free_sgpr 0
		.amdhsa_reserve_vcc 0
		.amdhsa_reserve_flat_scratch 0
		.amdhsa_float_round_mode_32 0
		.amdhsa_float_round_mode_16_64 0
		.amdhsa_float_denorm_mode_32 3
		.amdhsa_float_denorm_mode_16_64 3
		.amdhsa_dx10_clamp 1
		.amdhsa_ieee_mode 1
		.amdhsa_fp16_overflow 0
		.amdhsa_exception_fp_ieee_invalid_op 0
		.amdhsa_exception_fp_denorm_src 0
		.amdhsa_exception_fp_ieee_div_zero 0
		.amdhsa_exception_fp_ieee_overflow 0
		.amdhsa_exception_fp_ieee_underflow 0
		.amdhsa_exception_fp_ieee_inexact 0
		.amdhsa_exception_int_div_zero 0
	.end_amdhsa_kernel
	.section	.text._ZN7rocprim17ROCPRIM_400000_NS6detail17trampoline_kernelINS0_13select_configILj256ELj13ELNS0_17block_load_methodE3ELS4_3ELS4_3ELNS0_20block_scan_algorithmE0ELj4294967295EEENS1_25partition_config_selectorILNS1_17partition_subalgoE4EjNS0_10empty_typeEbEEZZNS1_14partition_implILS8_4ELb0ES6_15HIP_vector_typeIjLj2EENS0_17counting_iteratorIjlEEPS9_SG_NS0_5tupleIJPjSI_NS0_16reverse_iteratorISI_EEEEENSH_IJSG_SG_SG_EEES9_SI_JZNS1_25segmented_radix_sort_implINS0_14default_configELb0EPKhPhPKlPlN2at6native12_GLOBAL__N_18offset_tEEE10hipError_tPvRmT1_PNSt15iterator_traitsIS12_E10value_typeET2_T3_PNS13_IS18_E10value_typeET4_jRbjT5_S1E_jjP12ihipStream_tbEUljE_ZNSN_ISO_Lb0ESQ_SR_ST_SU_SY_EESZ_S10_S11_S12_S16_S17_S18_S1B_S1C_jS1D_jS1E_S1E_jjS1G_bEUljE0_EEESZ_S10_S11_S18_S1C_S1E_T6_T7_T9_mT8_S1G_bDpT10_ENKUlT_T0_E_clISt17integral_constantIbLb1EES1T_IbLb0EEEEDaS1P_S1Q_EUlS1P_E_NS1_11comp_targetILNS1_3genE4ELNS1_11target_archE910ELNS1_3gpuE8ELNS1_3repE0EEENS1_30default_config_static_selectorELNS0_4arch9wavefront6targetE1EEEvS12_,"axG",@progbits,_ZN7rocprim17ROCPRIM_400000_NS6detail17trampoline_kernelINS0_13select_configILj256ELj13ELNS0_17block_load_methodE3ELS4_3ELS4_3ELNS0_20block_scan_algorithmE0ELj4294967295EEENS1_25partition_config_selectorILNS1_17partition_subalgoE4EjNS0_10empty_typeEbEEZZNS1_14partition_implILS8_4ELb0ES6_15HIP_vector_typeIjLj2EENS0_17counting_iteratorIjlEEPS9_SG_NS0_5tupleIJPjSI_NS0_16reverse_iteratorISI_EEEEENSH_IJSG_SG_SG_EEES9_SI_JZNS1_25segmented_radix_sort_implINS0_14default_configELb0EPKhPhPKlPlN2at6native12_GLOBAL__N_18offset_tEEE10hipError_tPvRmT1_PNSt15iterator_traitsIS12_E10value_typeET2_T3_PNS13_IS18_E10value_typeET4_jRbjT5_S1E_jjP12ihipStream_tbEUljE_ZNSN_ISO_Lb0ESQ_SR_ST_SU_SY_EESZ_S10_S11_S12_S16_S17_S18_S1B_S1C_jS1D_jS1E_S1E_jjS1G_bEUljE0_EEESZ_S10_S11_S18_S1C_S1E_T6_T7_T9_mT8_S1G_bDpT10_ENKUlT_T0_E_clISt17integral_constantIbLb1EES1T_IbLb0EEEEDaS1P_S1Q_EUlS1P_E_NS1_11comp_targetILNS1_3genE4ELNS1_11target_archE910ELNS1_3gpuE8ELNS1_3repE0EEENS1_30default_config_static_selectorELNS0_4arch9wavefront6targetE1EEEvS12_,comdat
.Lfunc_end140:
	.size	_ZN7rocprim17ROCPRIM_400000_NS6detail17trampoline_kernelINS0_13select_configILj256ELj13ELNS0_17block_load_methodE3ELS4_3ELS4_3ELNS0_20block_scan_algorithmE0ELj4294967295EEENS1_25partition_config_selectorILNS1_17partition_subalgoE4EjNS0_10empty_typeEbEEZZNS1_14partition_implILS8_4ELb0ES6_15HIP_vector_typeIjLj2EENS0_17counting_iteratorIjlEEPS9_SG_NS0_5tupleIJPjSI_NS0_16reverse_iteratorISI_EEEEENSH_IJSG_SG_SG_EEES9_SI_JZNS1_25segmented_radix_sort_implINS0_14default_configELb0EPKhPhPKlPlN2at6native12_GLOBAL__N_18offset_tEEE10hipError_tPvRmT1_PNSt15iterator_traitsIS12_E10value_typeET2_T3_PNS13_IS18_E10value_typeET4_jRbjT5_S1E_jjP12ihipStream_tbEUljE_ZNSN_ISO_Lb0ESQ_SR_ST_SU_SY_EESZ_S10_S11_S12_S16_S17_S18_S1B_S1C_jS1D_jS1E_S1E_jjS1G_bEUljE0_EEESZ_S10_S11_S18_S1C_S1E_T6_T7_T9_mT8_S1G_bDpT10_ENKUlT_T0_E_clISt17integral_constantIbLb1EES1T_IbLb0EEEEDaS1P_S1Q_EUlS1P_E_NS1_11comp_targetILNS1_3genE4ELNS1_11target_archE910ELNS1_3gpuE8ELNS1_3repE0EEENS1_30default_config_static_selectorELNS0_4arch9wavefront6targetE1EEEvS12_, .Lfunc_end140-_ZN7rocprim17ROCPRIM_400000_NS6detail17trampoline_kernelINS0_13select_configILj256ELj13ELNS0_17block_load_methodE3ELS4_3ELS4_3ELNS0_20block_scan_algorithmE0ELj4294967295EEENS1_25partition_config_selectorILNS1_17partition_subalgoE4EjNS0_10empty_typeEbEEZZNS1_14partition_implILS8_4ELb0ES6_15HIP_vector_typeIjLj2EENS0_17counting_iteratorIjlEEPS9_SG_NS0_5tupleIJPjSI_NS0_16reverse_iteratorISI_EEEEENSH_IJSG_SG_SG_EEES9_SI_JZNS1_25segmented_radix_sort_implINS0_14default_configELb0EPKhPhPKlPlN2at6native12_GLOBAL__N_18offset_tEEE10hipError_tPvRmT1_PNSt15iterator_traitsIS12_E10value_typeET2_T3_PNS13_IS18_E10value_typeET4_jRbjT5_S1E_jjP12ihipStream_tbEUljE_ZNSN_ISO_Lb0ESQ_SR_ST_SU_SY_EESZ_S10_S11_S12_S16_S17_S18_S1B_S1C_jS1D_jS1E_S1E_jjS1G_bEUljE0_EEESZ_S10_S11_S18_S1C_S1E_T6_T7_T9_mT8_S1G_bDpT10_ENKUlT_T0_E_clISt17integral_constantIbLb1EES1T_IbLb0EEEEDaS1P_S1Q_EUlS1P_E_NS1_11comp_targetILNS1_3genE4ELNS1_11target_archE910ELNS1_3gpuE8ELNS1_3repE0EEENS1_30default_config_static_selectorELNS0_4arch9wavefront6targetE1EEEvS12_
                                        ; -- End function
	.set _ZN7rocprim17ROCPRIM_400000_NS6detail17trampoline_kernelINS0_13select_configILj256ELj13ELNS0_17block_load_methodE3ELS4_3ELS4_3ELNS0_20block_scan_algorithmE0ELj4294967295EEENS1_25partition_config_selectorILNS1_17partition_subalgoE4EjNS0_10empty_typeEbEEZZNS1_14partition_implILS8_4ELb0ES6_15HIP_vector_typeIjLj2EENS0_17counting_iteratorIjlEEPS9_SG_NS0_5tupleIJPjSI_NS0_16reverse_iteratorISI_EEEEENSH_IJSG_SG_SG_EEES9_SI_JZNS1_25segmented_radix_sort_implINS0_14default_configELb0EPKhPhPKlPlN2at6native12_GLOBAL__N_18offset_tEEE10hipError_tPvRmT1_PNSt15iterator_traitsIS12_E10value_typeET2_T3_PNS13_IS18_E10value_typeET4_jRbjT5_S1E_jjP12ihipStream_tbEUljE_ZNSN_ISO_Lb0ESQ_SR_ST_SU_SY_EESZ_S10_S11_S12_S16_S17_S18_S1B_S1C_jS1D_jS1E_S1E_jjS1G_bEUljE0_EEESZ_S10_S11_S18_S1C_S1E_T6_T7_T9_mT8_S1G_bDpT10_ENKUlT_T0_E_clISt17integral_constantIbLb1EES1T_IbLb0EEEEDaS1P_S1Q_EUlS1P_E_NS1_11comp_targetILNS1_3genE4ELNS1_11target_archE910ELNS1_3gpuE8ELNS1_3repE0EEENS1_30default_config_static_selectorELNS0_4arch9wavefront6targetE1EEEvS12_.num_vgpr, 0
	.set _ZN7rocprim17ROCPRIM_400000_NS6detail17trampoline_kernelINS0_13select_configILj256ELj13ELNS0_17block_load_methodE3ELS4_3ELS4_3ELNS0_20block_scan_algorithmE0ELj4294967295EEENS1_25partition_config_selectorILNS1_17partition_subalgoE4EjNS0_10empty_typeEbEEZZNS1_14partition_implILS8_4ELb0ES6_15HIP_vector_typeIjLj2EENS0_17counting_iteratorIjlEEPS9_SG_NS0_5tupleIJPjSI_NS0_16reverse_iteratorISI_EEEEENSH_IJSG_SG_SG_EEES9_SI_JZNS1_25segmented_radix_sort_implINS0_14default_configELb0EPKhPhPKlPlN2at6native12_GLOBAL__N_18offset_tEEE10hipError_tPvRmT1_PNSt15iterator_traitsIS12_E10value_typeET2_T3_PNS13_IS18_E10value_typeET4_jRbjT5_S1E_jjP12ihipStream_tbEUljE_ZNSN_ISO_Lb0ESQ_SR_ST_SU_SY_EESZ_S10_S11_S12_S16_S17_S18_S1B_S1C_jS1D_jS1E_S1E_jjS1G_bEUljE0_EEESZ_S10_S11_S18_S1C_S1E_T6_T7_T9_mT8_S1G_bDpT10_ENKUlT_T0_E_clISt17integral_constantIbLb1EES1T_IbLb0EEEEDaS1P_S1Q_EUlS1P_E_NS1_11comp_targetILNS1_3genE4ELNS1_11target_archE910ELNS1_3gpuE8ELNS1_3repE0EEENS1_30default_config_static_selectorELNS0_4arch9wavefront6targetE1EEEvS12_.num_agpr, 0
	.set _ZN7rocprim17ROCPRIM_400000_NS6detail17trampoline_kernelINS0_13select_configILj256ELj13ELNS0_17block_load_methodE3ELS4_3ELS4_3ELNS0_20block_scan_algorithmE0ELj4294967295EEENS1_25partition_config_selectorILNS1_17partition_subalgoE4EjNS0_10empty_typeEbEEZZNS1_14partition_implILS8_4ELb0ES6_15HIP_vector_typeIjLj2EENS0_17counting_iteratorIjlEEPS9_SG_NS0_5tupleIJPjSI_NS0_16reverse_iteratorISI_EEEEENSH_IJSG_SG_SG_EEES9_SI_JZNS1_25segmented_radix_sort_implINS0_14default_configELb0EPKhPhPKlPlN2at6native12_GLOBAL__N_18offset_tEEE10hipError_tPvRmT1_PNSt15iterator_traitsIS12_E10value_typeET2_T3_PNS13_IS18_E10value_typeET4_jRbjT5_S1E_jjP12ihipStream_tbEUljE_ZNSN_ISO_Lb0ESQ_SR_ST_SU_SY_EESZ_S10_S11_S12_S16_S17_S18_S1B_S1C_jS1D_jS1E_S1E_jjS1G_bEUljE0_EEESZ_S10_S11_S18_S1C_S1E_T6_T7_T9_mT8_S1G_bDpT10_ENKUlT_T0_E_clISt17integral_constantIbLb1EES1T_IbLb0EEEEDaS1P_S1Q_EUlS1P_E_NS1_11comp_targetILNS1_3genE4ELNS1_11target_archE910ELNS1_3gpuE8ELNS1_3repE0EEENS1_30default_config_static_selectorELNS0_4arch9wavefront6targetE1EEEvS12_.numbered_sgpr, 0
	.set _ZN7rocprim17ROCPRIM_400000_NS6detail17trampoline_kernelINS0_13select_configILj256ELj13ELNS0_17block_load_methodE3ELS4_3ELS4_3ELNS0_20block_scan_algorithmE0ELj4294967295EEENS1_25partition_config_selectorILNS1_17partition_subalgoE4EjNS0_10empty_typeEbEEZZNS1_14partition_implILS8_4ELb0ES6_15HIP_vector_typeIjLj2EENS0_17counting_iteratorIjlEEPS9_SG_NS0_5tupleIJPjSI_NS0_16reverse_iteratorISI_EEEEENSH_IJSG_SG_SG_EEES9_SI_JZNS1_25segmented_radix_sort_implINS0_14default_configELb0EPKhPhPKlPlN2at6native12_GLOBAL__N_18offset_tEEE10hipError_tPvRmT1_PNSt15iterator_traitsIS12_E10value_typeET2_T3_PNS13_IS18_E10value_typeET4_jRbjT5_S1E_jjP12ihipStream_tbEUljE_ZNSN_ISO_Lb0ESQ_SR_ST_SU_SY_EESZ_S10_S11_S12_S16_S17_S18_S1B_S1C_jS1D_jS1E_S1E_jjS1G_bEUljE0_EEESZ_S10_S11_S18_S1C_S1E_T6_T7_T9_mT8_S1G_bDpT10_ENKUlT_T0_E_clISt17integral_constantIbLb1EES1T_IbLb0EEEEDaS1P_S1Q_EUlS1P_E_NS1_11comp_targetILNS1_3genE4ELNS1_11target_archE910ELNS1_3gpuE8ELNS1_3repE0EEENS1_30default_config_static_selectorELNS0_4arch9wavefront6targetE1EEEvS12_.num_named_barrier, 0
	.set _ZN7rocprim17ROCPRIM_400000_NS6detail17trampoline_kernelINS0_13select_configILj256ELj13ELNS0_17block_load_methodE3ELS4_3ELS4_3ELNS0_20block_scan_algorithmE0ELj4294967295EEENS1_25partition_config_selectorILNS1_17partition_subalgoE4EjNS0_10empty_typeEbEEZZNS1_14partition_implILS8_4ELb0ES6_15HIP_vector_typeIjLj2EENS0_17counting_iteratorIjlEEPS9_SG_NS0_5tupleIJPjSI_NS0_16reverse_iteratorISI_EEEEENSH_IJSG_SG_SG_EEES9_SI_JZNS1_25segmented_radix_sort_implINS0_14default_configELb0EPKhPhPKlPlN2at6native12_GLOBAL__N_18offset_tEEE10hipError_tPvRmT1_PNSt15iterator_traitsIS12_E10value_typeET2_T3_PNS13_IS18_E10value_typeET4_jRbjT5_S1E_jjP12ihipStream_tbEUljE_ZNSN_ISO_Lb0ESQ_SR_ST_SU_SY_EESZ_S10_S11_S12_S16_S17_S18_S1B_S1C_jS1D_jS1E_S1E_jjS1G_bEUljE0_EEESZ_S10_S11_S18_S1C_S1E_T6_T7_T9_mT8_S1G_bDpT10_ENKUlT_T0_E_clISt17integral_constantIbLb1EES1T_IbLb0EEEEDaS1P_S1Q_EUlS1P_E_NS1_11comp_targetILNS1_3genE4ELNS1_11target_archE910ELNS1_3gpuE8ELNS1_3repE0EEENS1_30default_config_static_selectorELNS0_4arch9wavefront6targetE1EEEvS12_.private_seg_size, 0
	.set _ZN7rocprim17ROCPRIM_400000_NS6detail17trampoline_kernelINS0_13select_configILj256ELj13ELNS0_17block_load_methodE3ELS4_3ELS4_3ELNS0_20block_scan_algorithmE0ELj4294967295EEENS1_25partition_config_selectorILNS1_17partition_subalgoE4EjNS0_10empty_typeEbEEZZNS1_14partition_implILS8_4ELb0ES6_15HIP_vector_typeIjLj2EENS0_17counting_iteratorIjlEEPS9_SG_NS0_5tupleIJPjSI_NS0_16reverse_iteratorISI_EEEEENSH_IJSG_SG_SG_EEES9_SI_JZNS1_25segmented_radix_sort_implINS0_14default_configELb0EPKhPhPKlPlN2at6native12_GLOBAL__N_18offset_tEEE10hipError_tPvRmT1_PNSt15iterator_traitsIS12_E10value_typeET2_T3_PNS13_IS18_E10value_typeET4_jRbjT5_S1E_jjP12ihipStream_tbEUljE_ZNSN_ISO_Lb0ESQ_SR_ST_SU_SY_EESZ_S10_S11_S12_S16_S17_S18_S1B_S1C_jS1D_jS1E_S1E_jjS1G_bEUljE0_EEESZ_S10_S11_S18_S1C_S1E_T6_T7_T9_mT8_S1G_bDpT10_ENKUlT_T0_E_clISt17integral_constantIbLb1EES1T_IbLb0EEEEDaS1P_S1Q_EUlS1P_E_NS1_11comp_targetILNS1_3genE4ELNS1_11target_archE910ELNS1_3gpuE8ELNS1_3repE0EEENS1_30default_config_static_selectorELNS0_4arch9wavefront6targetE1EEEvS12_.uses_vcc, 0
	.set _ZN7rocprim17ROCPRIM_400000_NS6detail17trampoline_kernelINS0_13select_configILj256ELj13ELNS0_17block_load_methodE3ELS4_3ELS4_3ELNS0_20block_scan_algorithmE0ELj4294967295EEENS1_25partition_config_selectorILNS1_17partition_subalgoE4EjNS0_10empty_typeEbEEZZNS1_14partition_implILS8_4ELb0ES6_15HIP_vector_typeIjLj2EENS0_17counting_iteratorIjlEEPS9_SG_NS0_5tupleIJPjSI_NS0_16reverse_iteratorISI_EEEEENSH_IJSG_SG_SG_EEES9_SI_JZNS1_25segmented_radix_sort_implINS0_14default_configELb0EPKhPhPKlPlN2at6native12_GLOBAL__N_18offset_tEEE10hipError_tPvRmT1_PNSt15iterator_traitsIS12_E10value_typeET2_T3_PNS13_IS18_E10value_typeET4_jRbjT5_S1E_jjP12ihipStream_tbEUljE_ZNSN_ISO_Lb0ESQ_SR_ST_SU_SY_EESZ_S10_S11_S12_S16_S17_S18_S1B_S1C_jS1D_jS1E_S1E_jjS1G_bEUljE0_EEESZ_S10_S11_S18_S1C_S1E_T6_T7_T9_mT8_S1G_bDpT10_ENKUlT_T0_E_clISt17integral_constantIbLb1EES1T_IbLb0EEEEDaS1P_S1Q_EUlS1P_E_NS1_11comp_targetILNS1_3genE4ELNS1_11target_archE910ELNS1_3gpuE8ELNS1_3repE0EEENS1_30default_config_static_selectorELNS0_4arch9wavefront6targetE1EEEvS12_.uses_flat_scratch, 0
	.set _ZN7rocprim17ROCPRIM_400000_NS6detail17trampoline_kernelINS0_13select_configILj256ELj13ELNS0_17block_load_methodE3ELS4_3ELS4_3ELNS0_20block_scan_algorithmE0ELj4294967295EEENS1_25partition_config_selectorILNS1_17partition_subalgoE4EjNS0_10empty_typeEbEEZZNS1_14partition_implILS8_4ELb0ES6_15HIP_vector_typeIjLj2EENS0_17counting_iteratorIjlEEPS9_SG_NS0_5tupleIJPjSI_NS0_16reverse_iteratorISI_EEEEENSH_IJSG_SG_SG_EEES9_SI_JZNS1_25segmented_radix_sort_implINS0_14default_configELb0EPKhPhPKlPlN2at6native12_GLOBAL__N_18offset_tEEE10hipError_tPvRmT1_PNSt15iterator_traitsIS12_E10value_typeET2_T3_PNS13_IS18_E10value_typeET4_jRbjT5_S1E_jjP12ihipStream_tbEUljE_ZNSN_ISO_Lb0ESQ_SR_ST_SU_SY_EESZ_S10_S11_S12_S16_S17_S18_S1B_S1C_jS1D_jS1E_S1E_jjS1G_bEUljE0_EEESZ_S10_S11_S18_S1C_S1E_T6_T7_T9_mT8_S1G_bDpT10_ENKUlT_T0_E_clISt17integral_constantIbLb1EES1T_IbLb0EEEEDaS1P_S1Q_EUlS1P_E_NS1_11comp_targetILNS1_3genE4ELNS1_11target_archE910ELNS1_3gpuE8ELNS1_3repE0EEENS1_30default_config_static_selectorELNS0_4arch9wavefront6targetE1EEEvS12_.has_dyn_sized_stack, 0
	.set _ZN7rocprim17ROCPRIM_400000_NS6detail17trampoline_kernelINS0_13select_configILj256ELj13ELNS0_17block_load_methodE3ELS4_3ELS4_3ELNS0_20block_scan_algorithmE0ELj4294967295EEENS1_25partition_config_selectorILNS1_17partition_subalgoE4EjNS0_10empty_typeEbEEZZNS1_14partition_implILS8_4ELb0ES6_15HIP_vector_typeIjLj2EENS0_17counting_iteratorIjlEEPS9_SG_NS0_5tupleIJPjSI_NS0_16reverse_iteratorISI_EEEEENSH_IJSG_SG_SG_EEES9_SI_JZNS1_25segmented_radix_sort_implINS0_14default_configELb0EPKhPhPKlPlN2at6native12_GLOBAL__N_18offset_tEEE10hipError_tPvRmT1_PNSt15iterator_traitsIS12_E10value_typeET2_T3_PNS13_IS18_E10value_typeET4_jRbjT5_S1E_jjP12ihipStream_tbEUljE_ZNSN_ISO_Lb0ESQ_SR_ST_SU_SY_EESZ_S10_S11_S12_S16_S17_S18_S1B_S1C_jS1D_jS1E_S1E_jjS1G_bEUljE0_EEESZ_S10_S11_S18_S1C_S1E_T6_T7_T9_mT8_S1G_bDpT10_ENKUlT_T0_E_clISt17integral_constantIbLb1EES1T_IbLb0EEEEDaS1P_S1Q_EUlS1P_E_NS1_11comp_targetILNS1_3genE4ELNS1_11target_archE910ELNS1_3gpuE8ELNS1_3repE0EEENS1_30default_config_static_selectorELNS0_4arch9wavefront6targetE1EEEvS12_.has_recursion, 0
	.set _ZN7rocprim17ROCPRIM_400000_NS6detail17trampoline_kernelINS0_13select_configILj256ELj13ELNS0_17block_load_methodE3ELS4_3ELS4_3ELNS0_20block_scan_algorithmE0ELj4294967295EEENS1_25partition_config_selectorILNS1_17partition_subalgoE4EjNS0_10empty_typeEbEEZZNS1_14partition_implILS8_4ELb0ES6_15HIP_vector_typeIjLj2EENS0_17counting_iteratorIjlEEPS9_SG_NS0_5tupleIJPjSI_NS0_16reverse_iteratorISI_EEEEENSH_IJSG_SG_SG_EEES9_SI_JZNS1_25segmented_radix_sort_implINS0_14default_configELb0EPKhPhPKlPlN2at6native12_GLOBAL__N_18offset_tEEE10hipError_tPvRmT1_PNSt15iterator_traitsIS12_E10value_typeET2_T3_PNS13_IS18_E10value_typeET4_jRbjT5_S1E_jjP12ihipStream_tbEUljE_ZNSN_ISO_Lb0ESQ_SR_ST_SU_SY_EESZ_S10_S11_S12_S16_S17_S18_S1B_S1C_jS1D_jS1E_S1E_jjS1G_bEUljE0_EEESZ_S10_S11_S18_S1C_S1E_T6_T7_T9_mT8_S1G_bDpT10_ENKUlT_T0_E_clISt17integral_constantIbLb1EES1T_IbLb0EEEEDaS1P_S1Q_EUlS1P_E_NS1_11comp_targetILNS1_3genE4ELNS1_11target_archE910ELNS1_3gpuE8ELNS1_3repE0EEENS1_30default_config_static_selectorELNS0_4arch9wavefront6targetE1EEEvS12_.has_indirect_call, 0
	.section	.AMDGPU.csdata,"",@progbits
; Kernel info:
; codeLenInByte = 0
; TotalNumSgprs: 4
; NumVgprs: 0
; ScratchSize: 0
; MemoryBound: 0
; FloatMode: 240
; IeeeMode: 1
; LDSByteSize: 0 bytes/workgroup (compile time only)
; SGPRBlocks: 0
; VGPRBlocks: 0
; NumSGPRsForWavesPerEU: 4
; NumVGPRsForWavesPerEU: 1
; Occupancy: 10
; WaveLimiterHint : 0
; COMPUTE_PGM_RSRC2:SCRATCH_EN: 0
; COMPUTE_PGM_RSRC2:USER_SGPR: 6
; COMPUTE_PGM_RSRC2:TRAP_HANDLER: 0
; COMPUTE_PGM_RSRC2:TGID_X_EN: 1
; COMPUTE_PGM_RSRC2:TGID_Y_EN: 0
; COMPUTE_PGM_RSRC2:TGID_Z_EN: 0
; COMPUTE_PGM_RSRC2:TIDIG_COMP_CNT: 0
	.section	.text._ZN7rocprim17ROCPRIM_400000_NS6detail17trampoline_kernelINS0_13select_configILj256ELj13ELNS0_17block_load_methodE3ELS4_3ELS4_3ELNS0_20block_scan_algorithmE0ELj4294967295EEENS1_25partition_config_selectorILNS1_17partition_subalgoE4EjNS0_10empty_typeEbEEZZNS1_14partition_implILS8_4ELb0ES6_15HIP_vector_typeIjLj2EENS0_17counting_iteratorIjlEEPS9_SG_NS0_5tupleIJPjSI_NS0_16reverse_iteratorISI_EEEEENSH_IJSG_SG_SG_EEES9_SI_JZNS1_25segmented_radix_sort_implINS0_14default_configELb0EPKhPhPKlPlN2at6native12_GLOBAL__N_18offset_tEEE10hipError_tPvRmT1_PNSt15iterator_traitsIS12_E10value_typeET2_T3_PNS13_IS18_E10value_typeET4_jRbjT5_S1E_jjP12ihipStream_tbEUljE_ZNSN_ISO_Lb0ESQ_SR_ST_SU_SY_EESZ_S10_S11_S12_S16_S17_S18_S1B_S1C_jS1D_jS1E_S1E_jjS1G_bEUljE0_EEESZ_S10_S11_S18_S1C_S1E_T6_T7_T9_mT8_S1G_bDpT10_ENKUlT_T0_E_clISt17integral_constantIbLb1EES1T_IbLb0EEEEDaS1P_S1Q_EUlS1P_E_NS1_11comp_targetILNS1_3genE3ELNS1_11target_archE908ELNS1_3gpuE7ELNS1_3repE0EEENS1_30default_config_static_selectorELNS0_4arch9wavefront6targetE1EEEvS12_,"axG",@progbits,_ZN7rocprim17ROCPRIM_400000_NS6detail17trampoline_kernelINS0_13select_configILj256ELj13ELNS0_17block_load_methodE3ELS4_3ELS4_3ELNS0_20block_scan_algorithmE0ELj4294967295EEENS1_25partition_config_selectorILNS1_17partition_subalgoE4EjNS0_10empty_typeEbEEZZNS1_14partition_implILS8_4ELb0ES6_15HIP_vector_typeIjLj2EENS0_17counting_iteratorIjlEEPS9_SG_NS0_5tupleIJPjSI_NS0_16reverse_iteratorISI_EEEEENSH_IJSG_SG_SG_EEES9_SI_JZNS1_25segmented_radix_sort_implINS0_14default_configELb0EPKhPhPKlPlN2at6native12_GLOBAL__N_18offset_tEEE10hipError_tPvRmT1_PNSt15iterator_traitsIS12_E10value_typeET2_T3_PNS13_IS18_E10value_typeET4_jRbjT5_S1E_jjP12ihipStream_tbEUljE_ZNSN_ISO_Lb0ESQ_SR_ST_SU_SY_EESZ_S10_S11_S12_S16_S17_S18_S1B_S1C_jS1D_jS1E_S1E_jjS1G_bEUljE0_EEESZ_S10_S11_S18_S1C_S1E_T6_T7_T9_mT8_S1G_bDpT10_ENKUlT_T0_E_clISt17integral_constantIbLb1EES1T_IbLb0EEEEDaS1P_S1Q_EUlS1P_E_NS1_11comp_targetILNS1_3genE3ELNS1_11target_archE908ELNS1_3gpuE7ELNS1_3repE0EEENS1_30default_config_static_selectorELNS0_4arch9wavefront6targetE1EEEvS12_,comdat
	.globl	_ZN7rocprim17ROCPRIM_400000_NS6detail17trampoline_kernelINS0_13select_configILj256ELj13ELNS0_17block_load_methodE3ELS4_3ELS4_3ELNS0_20block_scan_algorithmE0ELj4294967295EEENS1_25partition_config_selectorILNS1_17partition_subalgoE4EjNS0_10empty_typeEbEEZZNS1_14partition_implILS8_4ELb0ES6_15HIP_vector_typeIjLj2EENS0_17counting_iteratorIjlEEPS9_SG_NS0_5tupleIJPjSI_NS0_16reverse_iteratorISI_EEEEENSH_IJSG_SG_SG_EEES9_SI_JZNS1_25segmented_radix_sort_implINS0_14default_configELb0EPKhPhPKlPlN2at6native12_GLOBAL__N_18offset_tEEE10hipError_tPvRmT1_PNSt15iterator_traitsIS12_E10value_typeET2_T3_PNS13_IS18_E10value_typeET4_jRbjT5_S1E_jjP12ihipStream_tbEUljE_ZNSN_ISO_Lb0ESQ_SR_ST_SU_SY_EESZ_S10_S11_S12_S16_S17_S18_S1B_S1C_jS1D_jS1E_S1E_jjS1G_bEUljE0_EEESZ_S10_S11_S18_S1C_S1E_T6_T7_T9_mT8_S1G_bDpT10_ENKUlT_T0_E_clISt17integral_constantIbLb1EES1T_IbLb0EEEEDaS1P_S1Q_EUlS1P_E_NS1_11comp_targetILNS1_3genE3ELNS1_11target_archE908ELNS1_3gpuE7ELNS1_3repE0EEENS1_30default_config_static_selectorELNS0_4arch9wavefront6targetE1EEEvS12_ ; -- Begin function _ZN7rocprim17ROCPRIM_400000_NS6detail17trampoline_kernelINS0_13select_configILj256ELj13ELNS0_17block_load_methodE3ELS4_3ELS4_3ELNS0_20block_scan_algorithmE0ELj4294967295EEENS1_25partition_config_selectorILNS1_17partition_subalgoE4EjNS0_10empty_typeEbEEZZNS1_14partition_implILS8_4ELb0ES6_15HIP_vector_typeIjLj2EENS0_17counting_iteratorIjlEEPS9_SG_NS0_5tupleIJPjSI_NS0_16reverse_iteratorISI_EEEEENSH_IJSG_SG_SG_EEES9_SI_JZNS1_25segmented_radix_sort_implINS0_14default_configELb0EPKhPhPKlPlN2at6native12_GLOBAL__N_18offset_tEEE10hipError_tPvRmT1_PNSt15iterator_traitsIS12_E10value_typeET2_T3_PNS13_IS18_E10value_typeET4_jRbjT5_S1E_jjP12ihipStream_tbEUljE_ZNSN_ISO_Lb0ESQ_SR_ST_SU_SY_EESZ_S10_S11_S12_S16_S17_S18_S1B_S1C_jS1D_jS1E_S1E_jjS1G_bEUljE0_EEESZ_S10_S11_S18_S1C_S1E_T6_T7_T9_mT8_S1G_bDpT10_ENKUlT_T0_E_clISt17integral_constantIbLb1EES1T_IbLb0EEEEDaS1P_S1Q_EUlS1P_E_NS1_11comp_targetILNS1_3genE3ELNS1_11target_archE908ELNS1_3gpuE7ELNS1_3repE0EEENS1_30default_config_static_selectorELNS0_4arch9wavefront6targetE1EEEvS12_
	.p2align	8
	.type	_ZN7rocprim17ROCPRIM_400000_NS6detail17trampoline_kernelINS0_13select_configILj256ELj13ELNS0_17block_load_methodE3ELS4_3ELS4_3ELNS0_20block_scan_algorithmE0ELj4294967295EEENS1_25partition_config_selectorILNS1_17partition_subalgoE4EjNS0_10empty_typeEbEEZZNS1_14partition_implILS8_4ELb0ES6_15HIP_vector_typeIjLj2EENS0_17counting_iteratorIjlEEPS9_SG_NS0_5tupleIJPjSI_NS0_16reverse_iteratorISI_EEEEENSH_IJSG_SG_SG_EEES9_SI_JZNS1_25segmented_radix_sort_implINS0_14default_configELb0EPKhPhPKlPlN2at6native12_GLOBAL__N_18offset_tEEE10hipError_tPvRmT1_PNSt15iterator_traitsIS12_E10value_typeET2_T3_PNS13_IS18_E10value_typeET4_jRbjT5_S1E_jjP12ihipStream_tbEUljE_ZNSN_ISO_Lb0ESQ_SR_ST_SU_SY_EESZ_S10_S11_S12_S16_S17_S18_S1B_S1C_jS1D_jS1E_S1E_jjS1G_bEUljE0_EEESZ_S10_S11_S18_S1C_S1E_T6_T7_T9_mT8_S1G_bDpT10_ENKUlT_T0_E_clISt17integral_constantIbLb1EES1T_IbLb0EEEEDaS1P_S1Q_EUlS1P_E_NS1_11comp_targetILNS1_3genE3ELNS1_11target_archE908ELNS1_3gpuE7ELNS1_3repE0EEENS1_30default_config_static_selectorELNS0_4arch9wavefront6targetE1EEEvS12_,@function
_ZN7rocprim17ROCPRIM_400000_NS6detail17trampoline_kernelINS0_13select_configILj256ELj13ELNS0_17block_load_methodE3ELS4_3ELS4_3ELNS0_20block_scan_algorithmE0ELj4294967295EEENS1_25partition_config_selectorILNS1_17partition_subalgoE4EjNS0_10empty_typeEbEEZZNS1_14partition_implILS8_4ELb0ES6_15HIP_vector_typeIjLj2EENS0_17counting_iteratorIjlEEPS9_SG_NS0_5tupleIJPjSI_NS0_16reverse_iteratorISI_EEEEENSH_IJSG_SG_SG_EEES9_SI_JZNS1_25segmented_radix_sort_implINS0_14default_configELb0EPKhPhPKlPlN2at6native12_GLOBAL__N_18offset_tEEE10hipError_tPvRmT1_PNSt15iterator_traitsIS12_E10value_typeET2_T3_PNS13_IS18_E10value_typeET4_jRbjT5_S1E_jjP12ihipStream_tbEUljE_ZNSN_ISO_Lb0ESQ_SR_ST_SU_SY_EESZ_S10_S11_S12_S16_S17_S18_S1B_S1C_jS1D_jS1E_S1E_jjS1G_bEUljE0_EEESZ_S10_S11_S18_S1C_S1E_T6_T7_T9_mT8_S1G_bDpT10_ENKUlT_T0_E_clISt17integral_constantIbLb1EES1T_IbLb0EEEEDaS1P_S1Q_EUlS1P_E_NS1_11comp_targetILNS1_3genE3ELNS1_11target_archE908ELNS1_3gpuE7ELNS1_3repE0EEENS1_30default_config_static_selectorELNS0_4arch9wavefront6targetE1EEEvS12_: ; @_ZN7rocprim17ROCPRIM_400000_NS6detail17trampoline_kernelINS0_13select_configILj256ELj13ELNS0_17block_load_methodE3ELS4_3ELS4_3ELNS0_20block_scan_algorithmE0ELj4294967295EEENS1_25partition_config_selectorILNS1_17partition_subalgoE4EjNS0_10empty_typeEbEEZZNS1_14partition_implILS8_4ELb0ES6_15HIP_vector_typeIjLj2EENS0_17counting_iteratorIjlEEPS9_SG_NS0_5tupleIJPjSI_NS0_16reverse_iteratorISI_EEEEENSH_IJSG_SG_SG_EEES9_SI_JZNS1_25segmented_radix_sort_implINS0_14default_configELb0EPKhPhPKlPlN2at6native12_GLOBAL__N_18offset_tEEE10hipError_tPvRmT1_PNSt15iterator_traitsIS12_E10value_typeET2_T3_PNS13_IS18_E10value_typeET4_jRbjT5_S1E_jjP12ihipStream_tbEUljE_ZNSN_ISO_Lb0ESQ_SR_ST_SU_SY_EESZ_S10_S11_S12_S16_S17_S18_S1B_S1C_jS1D_jS1E_S1E_jjS1G_bEUljE0_EEESZ_S10_S11_S18_S1C_S1E_T6_T7_T9_mT8_S1G_bDpT10_ENKUlT_T0_E_clISt17integral_constantIbLb1EES1T_IbLb0EEEEDaS1P_S1Q_EUlS1P_E_NS1_11comp_targetILNS1_3genE3ELNS1_11target_archE908ELNS1_3gpuE7ELNS1_3repE0EEENS1_30default_config_static_selectorELNS0_4arch9wavefront6targetE1EEEvS12_
; %bb.0:
	.section	.rodata,"a",@progbits
	.p2align	6, 0x0
	.amdhsa_kernel _ZN7rocprim17ROCPRIM_400000_NS6detail17trampoline_kernelINS0_13select_configILj256ELj13ELNS0_17block_load_methodE3ELS4_3ELS4_3ELNS0_20block_scan_algorithmE0ELj4294967295EEENS1_25partition_config_selectorILNS1_17partition_subalgoE4EjNS0_10empty_typeEbEEZZNS1_14partition_implILS8_4ELb0ES6_15HIP_vector_typeIjLj2EENS0_17counting_iteratorIjlEEPS9_SG_NS0_5tupleIJPjSI_NS0_16reverse_iteratorISI_EEEEENSH_IJSG_SG_SG_EEES9_SI_JZNS1_25segmented_radix_sort_implINS0_14default_configELb0EPKhPhPKlPlN2at6native12_GLOBAL__N_18offset_tEEE10hipError_tPvRmT1_PNSt15iterator_traitsIS12_E10value_typeET2_T3_PNS13_IS18_E10value_typeET4_jRbjT5_S1E_jjP12ihipStream_tbEUljE_ZNSN_ISO_Lb0ESQ_SR_ST_SU_SY_EESZ_S10_S11_S12_S16_S17_S18_S1B_S1C_jS1D_jS1E_S1E_jjS1G_bEUljE0_EEESZ_S10_S11_S18_S1C_S1E_T6_T7_T9_mT8_S1G_bDpT10_ENKUlT_T0_E_clISt17integral_constantIbLb1EES1T_IbLb0EEEEDaS1P_S1Q_EUlS1P_E_NS1_11comp_targetILNS1_3genE3ELNS1_11target_archE908ELNS1_3gpuE7ELNS1_3repE0EEENS1_30default_config_static_selectorELNS0_4arch9wavefront6targetE1EEEvS12_
		.amdhsa_group_segment_fixed_size 0
		.amdhsa_private_segment_fixed_size 0
		.amdhsa_kernarg_size 176
		.amdhsa_user_sgpr_count 6
		.amdhsa_user_sgpr_private_segment_buffer 1
		.amdhsa_user_sgpr_dispatch_ptr 0
		.amdhsa_user_sgpr_queue_ptr 0
		.amdhsa_user_sgpr_kernarg_segment_ptr 1
		.amdhsa_user_sgpr_dispatch_id 0
		.amdhsa_user_sgpr_flat_scratch_init 0
		.amdhsa_user_sgpr_private_segment_size 0
		.amdhsa_uses_dynamic_stack 0
		.amdhsa_system_sgpr_private_segment_wavefront_offset 0
		.amdhsa_system_sgpr_workgroup_id_x 1
		.amdhsa_system_sgpr_workgroup_id_y 0
		.amdhsa_system_sgpr_workgroup_id_z 0
		.amdhsa_system_sgpr_workgroup_info 0
		.amdhsa_system_vgpr_workitem_id 0
		.amdhsa_next_free_vgpr 1
		.amdhsa_next_free_sgpr 0
		.amdhsa_reserve_vcc 0
		.amdhsa_reserve_flat_scratch 0
		.amdhsa_float_round_mode_32 0
		.amdhsa_float_round_mode_16_64 0
		.amdhsa_float_denorm_mode_32 3
		.amdhsa_float_denorm_mode_16_64 3
		.amdhsa_dx10_clamp 1
		.amdhsa_ieee_mode 1
		.amdhsa_fp16_overflow 0
		.amdhsa_exception_fp_ieee_invalid_op 0
		.amdhsa_exception_fp_denorm_src 0
		.amdhsa_exception_fp_ieee_div_zero 0
		.amdhsa_exception_fp_ieee_overflow 0
		.amdhsa_exception_fp_ieee_underflow 0
		.amdhsa_exception_fp_ieee_inexact 0
		.amdhsa_exception_int_div_zero 0
	.end_amdhsa_kernel
	.section	.text._ZN7rocprim17ROCPRIM_400000_NS6detail17trampoline_kernelINS0_13select_configILj256ELj13ELNS0_17block_load_methodE3ELS4_3ELS4_3ELNS0_20block_scan_algorithmE0ELj4294967295EEENS1_25partition_config_selectorILNS1_17partition_subalgoE4EjNS0_10empty_typeEbEEZZNS1_14partition_implILS8_4ELb0ES6_15HIP_vector_typeIjLj2EENS0_17counting_iteratorIjlEEPS9_SG_NS0_5tupleIJPjSI_NS0_16reverse_iteratorISI_EEEEENSH_IJSG_SG_SG_EEES9_SI_JZNS1_25segmented_radix_sort_implINS0_14default_configELb0EPKhPhPKlPlN2at6native12_GLOBAL__N_18offset_tEEE10hipError_tPvRmT1_PNSt15iterator_traitsIS12_E10value_typeET2_T3_PNS13_IS18_E10value_typeET4_jRbjT5_S1E_jjP12ihipStream_tbEUljE_ZNSN_ISO_Lb0ESQ_SR_ST_SU_SY_EESZ_S10_S11_S12_S16_S17_S18_S1B_S1C_jS1D_jS1E_S1E_jjS1G_bEUljE0_EEESZ_S10_S11_S18_S1C_S1E_T6_T7_T9_mT8_S1G_bDpT10_ENKUlT_T0_E_clISt17integral_constantIbLb1EES1T_IbLb0EEEEDaS1P_S1Q_EUlS1P_E_NS1_11comp_targetILNS1_3genE3ELNS1_11target_archE908ELNS1_3gpuE7ELNS1_3repE0EEENS1_30default_config_static_selectorELNS0_4arch9wavefront6targetE1EEEvS12_,"axG",@progbits,_ZN7rocprim17ROCPRIM_400000_NS6detail17trampoline_kernelINS0_13select_configILj256ELj13ELNS0_17block_load_methodE3ELS4_3ELS4_3ELNS0_20block_scan_algorithmE0ELj4294967295EEENS1_25partition_config_selectorILNS1_17partition_subalgoE4EjNS0_10empty_typeEbEEZZNS1_14partition_implILS8_4ELb0ES6_15HIP_vector_typeIjLj2EENS0_17counting_iteratorIjlEEPS9_SG_NS0_5tupleIJPjSI_NS0_16reverse_iteratorISI_EEEEENSH_IJSG_SG_SG_EEES9_SI_JZNS1_25segmented_radix_sort_implINS0_14default_configELb0EPKhPhPKlPlN2at6native12_GLOBAL__N_18offset_tEEE10hipError_tPvRmT1_PNSt15iterator_traitsIS12_E10value_typeET2_T3_PNS13_IS18_E10value_typeET4_jRbjT5_S1E_jjP12ihipStream_tbEUljE_ZNSN_ISO_Lb0ESQ_SR_ST_SU_SY_EESZ_S10_S11_S12_S16_S17_S18_S1B_S1C_jS1D_jS1E_S1E_jjS1G_bEUljE0_EEESZ_S10_S11_S18_S1C_S1E_T6_T7_T9_mT8_S1G_bDpT10_ENKUlT_T0_E_clISt17integral_constantIbLb1EES1T_IbLb0EEEEDaS1P_S1Q_EUlS1P_E_NS1_11comp_targetILNS1_3genE3ELNS1_11target_archE908ELNS1_3gpuE7ELNS1_3repE0EEENS1_30default_config_static_selectorELNS0_4arch9wavefront6targetE1EEEvS12_,comdat
.Lfunc_end141:
	.size	_ZN7rocprim17ROCPRIM_400000_NS6detail17trampoline_kernelINS0_13select_configILj256ELj13ELNS0_17block_load_methodE3ELS4_3ELS4_3ELNS0_20block_scan_algorithmE0ELj4294967295EEENS1_25partition_config_selectorILNS1_17partition_subalgoE4EjNS0_10empty_typeEbEEZZNS1_14partition_implILS8_4ELb0ES6_15HIP_vector_typeIjLj2EENS0_17counting_iteratorIjlEEPS9_SG_NS0_5tupleIJPjSI_NS0_16reverse_iteratorISI_EEEEENSH_IJSG_SG_SG_EEES9_SI_JZNS1_25segmented_radix_sort_implINS0_14default_configELb0EPKhPhPKlPlN2at6native12_GLOBAL__N_18offset_tEEE10hipError_tPvRmT1_PNSt15iterator_traitsIS12_E10value_typeET2_T3_PNS13_IS18_E10value_typeET4_jRbjT5_S1E_jjP12ihipStream_tbEUljE_ZNSN_ISO_Lb0ESQ_SR_ST_SU_SY_EESZ_S10_S11_S12_S16_S17_S18_S1B_S1C_jS1D_jS1E_S1E_jjS1G_bEUljE0_EEESZ_S10_S11_S18_S1C_S1E_T6_T7_T9_mT8_S1G_bDpT10_ENKUlT_T0_E_clISt17integral_constantIbLb1EES1T_IbLb0EEEEDaS1P_S1Q_EUlS1P_E_NS1_11comp_targetILNS1_3genE3ELNS1_11target_archE908ELNS1_3gpuE7ELNS1_3repE0EEENS1_30default_config_static_selectorELNS0_4arch9wavefront6targetE1EEEvS12_, .Lfunc_end141-_ZN7rocprim17ROCPRIM_400000_NS6detail17trampoline_kernelINS0_13select_configILj256ELj13ELNS0_17block_load_methodE3ELS4_3ELS4_3ELNS0_20block_scan_algorithmE0ELj4294967295EEENS1_25partition_config_selectorILNS1_17partition_subalgoE4EjNS0_10empty_typeEbEEZZNS1_14partition_implILS8_4ELb0ES6_15HIP_vector_typeIjLj2EENS0_17counting_iteratorIjlEEPS9_SG_NS0_5tupleIJPjSI_NS0_16reverse_iteratorISI_EEEEENSH_IJSG_SG_SG_EEES9_SI_JZNS1_25segmented_radix_sort_implINS0_14default_configELb0EPKhPhPKlPlN2at6native12_GLOBAL__N_18offset_tEEE10hipError_tPvRmT1_PNSt15iterator_traitsIS12_E10value_typeET2_T3_PNS13_IS18_E10value_typeET4_jRbjT5_S1E_jjP12ihipStream_tbEUljE_ZNSN_ISO_Lb0ESQ_SR_ST_SU_SY_EESZ_S10_S11_S12_S16_S17_S18_S1B_S1C_jS1D_jS1E_S1E_jjS1G_bEUljE0_EEESZ_S10_S11_S18_S1C_S1E_T6_T7_T9_mT8_S1G_bDpT10_ENKUlT_T0_E_clISt17integral_constantIbLb1EES1T_IbLb0EEEEDaS1P_S1Q_EUlS1P_E_NS1_11comp_targetILNS1_3genE3ELNS1_11target_archE908ELNS1_3gpuE7ELNS1_3repE0EEENS1_30default_config_static_selectorELNS0_4arch9wavefront6targetE1EEEvS12_
                                        ; -- End function
	.set _ZN7rocprim17ROCPRIM_400000_NS6detail17trampoline_kernelINS0_13select_configILj256ELj13ELNS0_17block_load_methodE3ELS4_3ELS4_3ELNS0_20block_scan_algorithmE0ELj4294967295EEENS1_25partition_config_selectorILNS1_17partition_subalgoE4EjNS0_10empty_typeEbEEZZNS1_14partition_implILS8_4ELb0ES6_15HIP_vector_typeIjLj2EENS0_17counting_iteratorIjlEEPS9_SG_NS0_5tupleIJPjSI_NS0_16reverse_iteratorISI_EEEEENSH_IJSG_SG_SG_EEES9_SI_JZNS1_25segmented_radix_sort_implINS0_14default_configELb0EPKhPhPKlPlN2at6native12_GLOBAL__N_18offset_tEEE10hipError_tPvRmT1_PNSt15iterator_traitsIS12_E10value_typeET2_T3_PNS13_IS18_E10value_typeET4_jRbjT5_S1E_jjP12ihipStream_tbEUljE_ZNSN_ISO_Lb0ESQ_SR_ST_SU_SY_EESZ_S10_S11_S12_S16_S17_S18_S1B_S1C_jS1D_jS1E_S1E_jjS1G_bEUljE0_EEESZ_S10_S11_S18_S1C_S1E_T6_T7_T9_mT8_S1G_bDpT10_ENKUlT_T0_E_clISt17integral_constantIbLb1EES1T_IbLb0EEEEDaS1P_S1Q_EUlS1P_E_NS1_11comp_targetILNS1_3genE3ELNS1_11target_archE908ELNS1_3gpuE7ELNS1_3repE0EEENS1_30default_config_static_selectorELNS0_4arch9wavefront6targetE1EEEvS12_.num_vgpr, 0
	.set _ZN7rocprim17ROCPRIM_400000_NS6detail17trampoline_kernelINS0_13select_configILj256ELj13ELNS0_17block_load_methodE3ELS4_3ELS4_3ELNS0_20block_scan_algorithmE0ELj4294967295EEENS1_25partition_config_selectorILNS1_17partition_subalgoE4EjNS0_10empty_typeEbEEZZNS1_14partition_implILS8_4ELb0ES6_15HIP_vector_typeIjLj2EENS0_17counting_iteratorIjlEEPS9_SG_NS0_5tupleIJPjSI_NS0_16reverse_iteratorISI_EEEEENSH_IJSG_SG_SG_EEES9_SI_JZNS1_25segmented_radix_sort_implINS0_14default_configELb0EPKhPhPKlPlN2at6native12_GLOBAL__N_18offset_tEEE10hipError_tPvRmT1_PNSt15iterator_traitsIS12_E10value_typeET2_T3_PNS13_IS18_E10value_typeET4_jRbjT5_S1E_jjP12ihipStream_tbEUljE_ZNSN_ISO_Lb0ESQ_SR_ST_SU_SY_EESZ_S10_S11_S12_S16_S17_S18_S1B_S1C_jS1D_jS1E_S1E_jjS1G_bEUljE0_EEESZ_S10_S11_S18_S1C_S1E_T6_T7_T9_mT8_S1G_bDpT10_ENKUlT_T0_E_clISt17integral_constantIbLb1EES1T_IbLb0EEEEDaS1P_S1Q_EUlS1P_E_NS1_11comp_targetILNS1_3genE3ELNS1_11target_archE908ELNS1_3gpuE7ELNS1_3repE0EEENS1_30default_config_static_selectorELNS0_4arch9wavefront6targetE1EEEvS12_.num_agpr, 0
	.set _ZN7rocprim17ROCPRIM_400000_NS6detail17trampoline_kernelINS0_13select_configILj256ELj13ELNS0_17block_load_methodE3ELS4_3ELS4_3ELNS0_20block_scan_algorithmE0ELj4294967295EEENS1_25partition_config_selectorILNS1_17partition_subalgoE4EjNS0_10empty_typeEbEEZZNS1_14partition_implILS8_4ELb0ES6_15HIP_vector_typeIjLj2EENS0_17counting_iteratorIjlEEPS9_SG_NS0_5tupleIJPjSI_NS0_16reverse_iteratorISI_EEEEENSH_IJSG_SG_SG_EEES9_SI_JZNS1_25segmented_radix_sort_implINS0_14default_configELb0EPKhPhPKlPlN2at6native12_GLOBAL__N_18offset_tEEE10hipError_tPvRmT1_PNSt15iterator_traitsIS12_E10value_typeET2_T3_PNS13_IS18_E10value_typeET4_jRbjT5_S1E_jjP12ihipStream_tbEUljE_ZNSN_ISO_Lb0ESQ_SR_ST_SU_SY_EESZ_S10_S11_S12_S16_S17_S18_S1B_S1C_jS1D_jS1E_S1E_jjS1G_bEUljE0_EEESZ_S10_S11_S18_S1C_S1E_T6_T7_T9_mT8_S1G_bDpT10_ENKUlT_T0_E_clISt17integral_constantIbLb1EES1T_IbLb0EEEEDaS1P_S1Q_EUlS1P_E_NS1_11comp_targetILNS1_3genE3ELNS1_11target_archE908ELNS1_3gpuE7ELNS1_3repE0EEENS1_30default_config_static_selectorELNS0_4arch9wavefront6targetE1EEEvS12_.numbered_sgpr, 0
	.set _ZN7rocprim17ROCPRIM_400000_NS6detail17trampoline_kernelINS0_13select_configILj256ELj13ELNS0_17block_load_methodE3ELS4_3ELS4_3ELNS0_20block_scan_algorithmE0ELj4294967295EEENS1_25partition_config_selectorILNS1_17partition_subalgoE4EjNS0_10empty_typeEbEEZZNS1_14partition_implILS8_4ELb0ES6_15HIP_vector_typeIjLj2EENS0_17counting_iteratorIjlEEPS9_SG_NS0_5tupleIJPjSI_NS0_16reverse_iteratorISI_EEEEENSH_IJSG_SG_SG_EEES9_SI_JZNS1_25segmented_radix_sort_implINS0_14default_configELb0EPKhPhPKlPlN2at6native12_GLOBAL__N_18offset_tEEE10hipError_tPvRmT1_PNSt15iterator_traitsIS12_E10value_typeET2_T3_PNS13_IS18_E10value_typeET4_jRbjT5_S1E_jjP12ihipStream_tbEUljE_ZNSN_ISO_Lb0ESQ_SR_ST_SU_SY_EESZ_S10_S11_S12_S16_S17_S18_S1B_S1C_jS1D_jS1E_S1E_jjS1G_bEUljE0_EEESZ_S10_S11_S18_S1C_S1E_T6_T7_T9_mT8_S1G_bDpT10_ENKUlT_T0_E_clISt17integral_constantIbLb1EES1T_IbLb0EEEEDaS1P_S1Q_EUlS1P_E_NS1_11comp_targetILNS1_3genE3ELNS1_11target_archE908ELNS1_3gpuE7ELNS1_3repE0EEENS1_30default_config_static_selectorELNS0_4arch9wavefront6targetE1EEEvS12_.num_named_barrier, 0
	.set _ZN7rocprim17ROCPRIM_400000_NS6detail17trampoline_kernelINS0_13select_configILj256ELj13ELNS0_17block_load_methodE3ELS4_3ELS4_3ELNS0_20block_scan_algorithmE0ELj4294967295EEENS1_25partition_config_selectorILNS1_17partition_subalgoE4EjNS0_10empty_typeEbEEZZNS1_14partition_implILS8_4ELb0ES6_15HIP_vector_typeIjLj2EENS0_17counting_iteratorIjlEEPS9_SG_NS0_5tupleIJPjSI_NS0_16reverse_iteratorISI_EEEEENSH_IJSG_SG_SG_EEES9_SI_JZNS1_25segmented_radix_sort_implINS0_14default_configELb0EPKhPhPKlPlN2at6native12_GLOBAL__N_18offset_tEEE10hipError_tPvRmT1_PNSt15iterator_traitsIS12_E10value_typeET2_T3_PNS13_IS18_E10value_typeET4_jRbjT5_S1E_jjP12ihipStream_tbEUljE_ZNSN_ISO_Lb0ESQ_SR_ST_SU_SY_EESZ_S10_S11_S12_S16_S17_S18_S1B_S1C_jS1D_jS1E_S1E_jjS1G_bEUljE0_EEESZ_S10_S11_S18_S1C_S1E_T6_T7_T9_mT8_S1G_bDpT10_ENKUlT_T0_E_clISt17integral_constantIbLb1EES1T_IbLb0EEEEDaS1P_S1Q_EUlS1P_E_NS1_11comp_targetILNS1_3genE3ELNS1_11target_archE908ELNS1_3gpuE7ELNS1_3repE0EEENS1_30default_config_static_selectorELNS0_4arch9wavefront6targetE1EEEvS12_.private_seg_size, 0
	.set _ZN7rocprim17ROCPRIM_400000_NS6detail17trampoline_kernelINS0_13select_configILj256ELj13ELNS0_17block_load_methodE3ELS4_3ELS4_3ELNS0_20block_scan_algorithmE0ELj4294967295EEENS1_25partition_config_selectorILNS1_17partition_subalgoE4EjNS0_10empty_typeEbEEZZNS1_14partition_implILS8_4ELb0ES6_15HIP_vector_typeIjLj2EENS0_17counting_iteratorIjlEEPS9_SG_NS0_5tupleIJPjSI_NS0_16reverse_iteratorISI_EEEEENSH_IJSG_SG_SG_EEES9_SI_JZNS1_25segmented_radix_sort_implINS0_14default_configELb0EPKhPhPKlPlN2at6native12_GLOBAL__N_18offset_tEEE10hipError_tPvRmT1_PNSt15iterator_traitsIS12_E10value_typeET2_T3_PNS13_IS18_E10value_typeET4_jRbjT5_S1E_jjP12ihipStream_tbEUljE_ZNSN_ISO_Lb0ESQ_SR_ST_SU_SY_EESZ_S10_S11_S12_S16_S17_S18_S1B_S1C_jS1D_jS1E_S1E_jjS1G_bEUljE0_EEESZ_S10_S11_S18_S1C_S1E_T6_T7_T9_mT8_S1G_bDpT10_ENKUlT_T0_E_clISt17integral_constantIbLb1EES1T_IbLb0EEEEDaS1P_S1Q_EUlS1P_E_NS1_11comp_targetILNS1_3genE3ELNS1_11target_archE908ELNS1_3gpuE7ELNS1_3repE0EEENS1_30default_config_static_selectorELNS0_4arch9wavefront6targetE1EEEvS12_.uses_vcc, 0
	.set _ZN7rocprim17ROCPRIM_400000_NS6detail17trampoline_kernelINS0_13select_configILj256ELj13ELNS0_17block_load_methodE3ELS4_3ELS4_3ELNS0_20block_scan_algorithmE0ELj4294967295EEENS1_25partition_config_selectorILNS1_17partition_subalgoE4EjNS0_10empty_typeEbEEZZNS1_14partition_implILS8_4ELb0ES6_15HIP_vector_typeIjLj2EENS0_17counting_iteratorIjlEEPS9_SG_NS0_5tupleIJPjSI_NS0_16reverse_iteratorISI_EEEEENSH_IJSG_SG_SG_EEES9_SI_JZNS1_25segmented_radix_sort_implINS0_14default_configELb0EPKhPhPKlPlN2at6native12_GLOBAL__N_18offset_tEEE10hipError_tPvRmT1_PNSt15iterator_traitsIS12_E10value_typeET2_T3_PNS13_IS18_E10value_typeET4_jRbjT5_S1E_jjP12ihipStream_tbEUljE_ZNSN_ISO_Lb0ESQ_SR_ST_SU_SY_EESZ_S10_S11_S12_S16_S17_S18_S1B_S1C_jS1D_jS1E_S1E_jjS1G_bEUljE0_EEESZ_S10_S11_S18_S1C_S1E_T6_T7_T9_mT8_S1G_bDpT10_ENKUlT_T0_E_clISt17integral_constantIbLb1EES1T_IbLb0EEEEDaS1P_S1Q_EUlS1P_E_NS1_11comp_targetILNS1_3genE3ELNS1_11target_archE908ELNS1_3gpuE7ELNS1_3repE0EEENS1_30default_config_static_selectorELNS0_4arch9wavefront6targetE1EEEvS12_.uses_flat_scratch, 0
	.set _ZN7rocprim17ROCPRIM_400000_NS6detail17trampoline_kernelINS0_13select_configILj256ELj13ELNS0_17block_load_methodE3ELS4_3ELS4_3ELNS0_20block_scan_algorithmE0ELj4294967295EEENS1_25partition_config_selectorILNS1_17partition_subalgoE4EjNS0_10empty_typeEbEEZZNS1_14partition_implILS8_4ELb0ES6_15HIP_vector_typeIjLj2EENS0_17counting_iteratorIjlEEPS9_SG_NS0_5tupleIJPjSI_NS0_16reverse_iteratorISI_EEEEENSH_IJSG_SG_SG_EEES9_SI_JZNS1_25segmented_radix_sort_implINS0_14default_configELb0EPKhPhPKlPlN2at6native12_GLOBAL__N_18offset_tEEE10hipError_tPvRmT1_PNSt15iterator_traitsIS12_E10value_typeET2_T3_PNS13_IS18_E10value_typeET4_jRbjT5_S1E_jjP12ihipStream_tbEUljE_ZNSN_ISO_Lb0ESQ_SR_ST_SU_SY_EESZ_S10_S11_S12_S16_S17_S18_S1B_S1C_jS1D_jS1E_S1E_jjS1G_bEUljE0_EEESZ_S10_S11_S18_S1C_S1E_T6_T7_T9_mT8_S1G_bDpT10_ENKUlT_T0_E_clISt17integral_constantIbLb1EES1T_IbLb0EEEEDaS1P_S1Q_EUlS1P_E_NS1_11comp_targetILNS1_3genE3ELNS1_11target_archE908ELNS1_3gpuE7ELNS1_3repE0EEENS1_30default_config_static_selectorELNS0_4arch9wavefront6targetE1EEEvS12_.has_dyn_sized_stack, 0
	.set _ZN7rocprim17ROCPRIM_400000_NS6detail17trampoline_kernelINS0_13select_configILj256ELj13ELNS0_17block_load_methodE3ELS4_3ELS4_3ELNS0_20block_scan_algorithmE0ELj4294967295EEENS1_25partition_config_selectorILNS1_17partition_subalgoE4EjNS0_10empty_typeEbEEZZNS1_14partition_implILS8_4ELb0ES6_15HIP_vector_typeIjLj2EENS0_17counting_iteratorIjlEEPS9_SG_NS0_5tupleIJPjSI_NS0_16reverse_iteratorISI_EEEEENSH_IJSG_SG_SG_EEES9_SI_JZNS1_25segmented_radix_sort_implINS0_14default_configELb0EPKhPhPKlPlN2at6native12_GLOBAL__N_18offset_tEEE10hipError_tPvRmT1_PNSt15iterator_traitsIS12_E10value_typeET2_T3_PNS13_IS18_E10value_typeET4_jRbjT5_S1E_jjP12ihipStream_tbEUljE_ZNSN_ISO_Lb0ESQ_SR_ST_SU_SY_EESZ_S10_S11_S12_S16_S17_S18_S1B_S1C_jS1D_jS1E_S1E_jjS1G_bEUljE0_EEESZ_S10_S11_S18_S1C_S1E_T6_T7_T9_mT8_S1G_bDpT10_ENKUlT_T0_E_clISt17integral_constantIbLb1EES1T_IbLb0EEEEDaS1P_S1Q_EUlS1P_E_NS1_11comp_targetILNS1_3genE3ELNS1_11target_archE908ELNS1_3gpuE7ELNS1_3repE0EEENS1_30default_config_static_selectorELNS0_4arch9wavefront6targetE1EEEvS12_.has_recursion, 0
	.set _ZN7rocprim17ROCPRIM_400000_NS6detail17trampoline_kernelINS0_13select_configILj256ELj13ELNS0_17block_load_methodE3ELS4_3ELS4_3ELNS0_20block_scan_algorithmE0ELj4294967295EEENS1_25partition_config_selectorILNS1_17partition_subalgoE4EjNS0_10empty_typeEbEEZZNS1_14partition_implILS8_4ELb0ES6_15HIP_vector_typeIjLj2EENS0_17counting_iteratorIjlEEPS9_SG_NS0_5tupleIJPjSI_NS0_16reverse_iteratorISI_EEEEENSH_IJSG_SG_SG_EEES9_SI_JZNS1_25segmented_radix_sort_implINS0_14default_configELb0EPKhPhPKlPlN2at6native12_GLOBAL__N_18offset_tEEE10hipError_tPvRmT1_PNSt15iterator_traitsIS12_E10value_typeET2_T3_PNS13_IS18_E10value_typeET4_jRbjT5_S1E_jjP12ihipStream_tbEUljE_ZNSN_ISO_Lb0ESQ_SR_ST_SU_SY_EESZ_S10_S11_S12_S16_S17_S18_S1B_S1C_jS1D_jS1E_S1E_jjS1G_bEUljE0_EEESZ_S10_S11_S18_S1C_S1E_T6_T7_T9_mT8_S1G_bDpT10_ENKUlT_T0_E_clISt17integral_constantIbLb1EES1T_IbLb0EEEEDaS1P_S1Q_EUlS1P_E_NS1_11comp_targetILNS1_3genE3ELNS1_11target_archE908ELNS1_3gpuE7ELNS1_3repE0EEENS1_30default_config_static_selectorELNS0_4arch9wavefront6targetE1EEEvS12_.has_indirect_call, 0
	.section	.AMDGPU.csdata,"",@progbits
; Kernel info:
; codeLenInByte = 0
; TotalNumSgprs: 4
; NumVgprs: 0
; ScratchSize: 0
; MemoryBound: 0
; FloatMode: 240
; IeeeMode: 1
; LDSByteSize: 0 bytes/workgroup (compile time only)
; SGPRBlocks: 0
; VGPRBlocks: 0
; NumSGPRsForWavesPerEU: 4
; NumVGPRsForWavesPerEU: 1
; Occupancy: 10
; WaveLimiterHint : 0
; COMPUTE_PGM_RSRC2:SCRATCH_EN: 0
; COMPUTE_PGM_RSRC2:USER_SGPR: 6
; COMPUTE_PGM_RSRC2:TRAP_HANDLER: 0
; COMPUTE_PGM_RSRC2:TGID_X_EN: 1
; COMPUTE_PGM_RSRC2:TGID_Y_EN: 0
; COMPUTE_PGM_RSRC2:TGID_Z_EN: 0
; COMPUTE_PGM_RSRC2:TIDIG_COMP_CNT: 0
	.section	.text._ZN7rocprim17ROCPRIM_400000_NS6detail17trampoline_kernelINS0_13select_configILj256ELj13ELNS0_17block_load_methodE3ELS4_3ELS4_3ELNS0_20block_scan_algorithmE0ELj4294967295EEENS1_25partition_config_selectorILNS1_17partition_subalgoE4EjNS0_10empty_typeEbEEZZNS1_14partition_implILS8_4ELb0ES6_15HIP_vector_typeIjLj2EENS0_17counting_iteratorIjlEEPS9_SG_NS0_5tupleIJPjSI_NS0_16reverse_iteratorISI_EEEEENSH_IJSG_SG_SG_EEES9_SI_JZNS1_25segmented_radix_sort_implINS0_14default_configELb0EPKhPhPKlPlN2at6native12_GLOBAL__N_18offset_tEEE10hipError_tPvRmT1_PNSt15iterator_traitsIS12_E10value_typeET2_T3_PNS13_IS18_E10value_typeET4_jRbjT5_S1E_jjP12ihipStream_tbEUljE_ZNSN_ISO_Lb0ESQ_SR_ST_SU_SY_EESZ_S10_S11_S12_S16_S17_S18_S1B_S1C_jS1D_jS1E_S1E_jjS1G_bEUljE0_EEESZ_S10_S11_S18_S1C_S1E_T6_T7_T9_mT8_S1G_bDpT10_ENKUlT_T0_E_clISt17integral_constantIbLb1EES1T_IbLb0EEEEDaS1P_S1Q_EUlS1P_E_NS1_11comp_targetILNS1_3genE2ELNS1_11target_archE906ELNS1_3gpuE6ELNS1_3repE0EEENS1_30default_config_static_selectorELNS0_4arch9wavefront6targetE1EEEvS12_,"axG",@progbits,_ZN7rocprim17ROCPRIM_400000_NS6detail17trampoline_kernelINS0_13select_configILj256ELj13ELNS0_17block_load_methodE3ELS4_3ELS4_3ELNS0_20block_scan_algorithmE0ELj4294967295EEENS1_25partition_config_selectorILNS1_17partition_subalgoE4EjNS0_10empty_typeEbEEZZNS1_14partition_implILS8_4ELb0ES6_15HIP_vector_typeIjLj2EENS0_17counting_iteratorIjlEEPS9_SG_NS0_5tupleIJPjSI_NS0_16reverse_iteratorISI_EEEEENSH_IJSG_SG_SG_EEES9_SI_JZNS1_25segmented_radix_sort_implINS0_14default_configELb0EPKhPhPKlPlN2at6native12_GLOBAL__N_18offset_tEEE10hipError_tPvRmT1_PNSt15iterator_traitsIS12_E10value_typeET2_T3_PNS13_IS18_E10value_typeET4_jRbjT5_S1E_jjP12ihipStream_tbEUljE_ZNSN_ISO_Lb0ESQ_SR_ST_SU_SY_EESZ_S10_S11_S12_S16_S17_S18_S1B_S1C_jS1D_jS1E_S1E_jjS1G_bEUljE0_EEESZ_S10_S11_S18_S1C_S1E_T6_T7_T9_mT8_S1G_bDpT10_ENKUlT_T0_E_clISt17integral_constantIbLb1EES1T_IbLb0EEEEDaS1P_S1Q_EUlS1P_E_NS1_11comp_targetILNS1_3genE2ELNS1_11target_archE906ELNS1_3gpuE6ELNS1_3repE0EEENS1_30default_config_static_selectorELNS0_4arch9wavefront6targetE1EEEvS12_,comdat
	.globl	_ZN7rocprim17ROCPRIM_400000_NS6detail17trampoline_kernelINS0_13select_configILj256ELj13ELNS0_17block_load_methodE3ELS4_3ELS4_3ELNS0_20block_scan_algorithmE0ELj4294967295EEENS1_25partition_config_selectorILNS1_17partition_subalgoE4EjNS0_10empty_typeEbEEZZNS1_14partition_implILS8_4ELb0ES6_15HIP_vector_typeIjLj2EENS0_17counting_iteratorIjlEEPS9_SG_NS0_5tupleIJPjSI_NS0_16reverse_iteratorISI_EEEEENSH_IJSG_SG_SG_EEES9_SI_JZNS1_25segmented_radix_sort_implINS0_14default_configELb0EPKhPhPKlPlN2at6native12_GLOBAL__N_18offset_tEEE10hipError_tPvRmT1_PNSt15iterator_traitsIS12_E10value_typeET2_T3_PNS13_IS18_E10value_typeET4_jRbjT5_S1E_jjP12ihipStream_tbEUljE_ZNSN_ISO_Lb0ESQ_SR_ST_SU_SY_EESZ_S10_S11_S12_S16_S17_S18_S1B_S1C_jS1D_jS1E_S1E_jjS1G_bEUljE0_EEESZ_S10_S11_S18_S1C_S1E_T6_T7_T9_mT8_S1G_bDpT10_ENKUlT_T0_E_clISt17integral_constantIbLb1EES1T_IbLb0EEEEDaS1P_S1Q_EUlS1P_E_NS1_11comp_targetILNS1_3genE2ELNS1_11target_archE906ELNS1_3gpuE6ELNS1_3repE0EEENS1_30default_config_static_selectorELNS0_4arch9wavefront6targetE1EEEvS12_ ; -- Begin function _ZN7rocprim17ROCPRIM_400000_NS6detail17trampoline_kernelINS0_13select_configILj256ELj13ELNS0_17block_load_methodE3ELS4_3ELS4_3ELNS0_20block_scan_algorithmE0ELj4294967295EEENS1_25partition_config_selectorILNS1_17partition_subalgoE4EjNS0_10empty_typeEbEEZZNS1_14partition_implILS8_4ELb0ES6_15HIP_vector_typeIjLj2EENS0_17counting_iteratorIjlEEPS9_SG_NS0_5tupleIJPjSI_NS0_16reverse_iteratorISI_EEEEENSH_IJSG_SG_SG_EEES9_SI_JZNS1_25segmented_radix_sort_implINS0_14default_configELb0EPKhPhPKlPlN2at6native12_GLOBAL__N_18offset_tEEE10hipError_tPvRmT1_PNSt15iterator_traitsIS12_E10value_typeET2_T3_PNS13_IS18_E10value_typeET4_jRbjT5_S1E_jjP12ihipStream_tbEUljE_ZNSN_ISO_Lb0ESQ_SR_ST_SU_SY_EESZ_S10_S11_S12_S16_S17_S18_S1B_S1C_jS1D_jS1E_S1E_jjS1G_bEUljE0_EEESZ_S10_S11_S18_S1C_S1E_T6_T7_T9_mT8_S1G_bDpT10_ENKUlT_T0_E_clISt17integral_constantIbLb1EES1T_IbLb0EEEEDaS1P_S1Q_EUlS1P_E_NS1_11comp_targetILNS1_3genE2ELNS1_11target_archE906ELNS1_3gpuE6ELNS1_3repE0EEENS1_30default_config_static_selectorELNS0_4arch9wavefront6targetE1EEEvS12_
	.p2align	8
	.type	_ZN7rocprim17ROCPRIM_400000_NS6detail17trampoline_kernelINS0_13select_configILj256ELj13ELNS0_17block_load_methodE3ELS4_3ELS4_3ELNS0_20block_scan_algorithmE0ELj4294967295EEENS1_25partition_config_selectorILNS1_17partition_subalgoE4EjNS0_10empty_typeEbEEZZNS1_14partition_implILS8_4ELb0ES6_15HIP_vector_typeIjLj2EENS0_17counting_iteratorIjlEEPS9_SG_NS0_5tupleIJPjSI_NS0_16reverse_iteratorISI_EEEEENSH_IJSG_SG_SG_EEES9_SI_JZNS1_25segmented_radix_sort_implINS0_14default_configELb0EPKhPhPKlPlN2at6native12_GLOBAL__N_18offset_tEEE10hipError_tPvRmT1_PNSt15iterator_traitsIS12_E10value_typeET2_T3_PNS13_IS18_E10value_typeET4_jRbjT5_S1E_jjP12ihipStream_tbEUljE_ZNSN_ISO_Lb0ESQ_SR_ST_SU_SY_EESZ_S10_S11_S12_S16_S17_S18_S1B_S1C_jS1D_jS1E_S1E_jjS1G_bEUljE0_EEESZ_S10_S11_S18_S1C_S1E_T6_T7_T9_mT8_S1G_bDpT10_ENKUlT_T0_E_clISt17integral_constantIbLb1EES1T_IbLb0EEEEDaS1P_S1Q_EUlS1P_E_NS1_11comp_targetILNS1_3genE2ELNS1_11target_archE906ELNS1_3gpuE6ELNS1_3repE0EEENS1_30default_config_static_selectorELNS0_4arch9wavefront6targetE1EEEvS12_,@function
_ZN7rocprim17ROCPRIM_400000_NS6detail17trampoline_kernelINS0_13select_configILj256ELj13ELNS0_17block_load_methodE3ELS4_3ELS4_3ELNS0_20block_scan_algorithmE0ELj4294967295EEENS1_25partition_config_selectorILNS1_17partition_subalgoE4EjNS0_10empty_typeEbEEZZNS1_14partition_implILS8_4ELb0ES6_15HIP_vector_typeIjLj2EENS0_17counting_iteratorIjlEEPS9_SG_NS0_5tupleIJPjSI_NS0_16reverse_iteratorISI_EEEEENSH_IJSG_SG_SG_EEES9_SI_JZNS1_25segmented_radix_sort_implINS0_14default_configELb0EPKhPhPKlPlN2at6native12_GLOBAL__N_18offset_tEEE10hipError_tPvRmT1_PNSt15iterator_traitsIS12_E10value_typeET2_T3_PNS13_IS18_E10value_typeET4_jRbjT5_S1E_jjP12ihipStream_tbEUljE_ZNSN_ISO_Lb0ESQ_SR_ST_SU_SY_EESZ_S10_S11_S12_S16_S17_S18_S1B_S1C_jS1D_jS1E_S1E_jjS1G_bEUljE0_EEESZ_S10_S11_S18_S1C_S1E_T6_T7_T9_mT8_S1G_bDpT10_ENKUlT_T0_E_clISt17integral_constantIbLb1EES1T_IbLb0EEEEDaS1P_S1Q_EUlS1P_E_NS1_11comp_targetILNS1_3genE2ELNS1_11target_archE906ELNS1_3gpuE6ELNS1_3repE0EEENS1_30default_config_static_selectorELNS0_4arch9wavefront6targetE1EEEvS12_: ; @_ZN7rocprim17ROCPRIM_400000_NS6detail17trampoline_kernelINS0_13select_configILj256ELj13ELNS0_17block_load_methodE3ELS4_3ELS4_3ELNS0_20block_scan_algorithmE0ELj4294967295EEENS1_25partition_config_selectorILNS1_17partition_subalgoE4EjNS0_10empty_typeEbEEZZNS1_14partition_implILS8_4ELb0ES6_15HIP_vector_typeIjLj2EENS0_17counting_iteratorIjlEEPS9_SG_NS0_5tupleIJPjSI_NS0_16reverse_iteratorISI_EEEEENSH_IJSG_SG_SG_EEES9_SI_JZNS1_25segmented_radix_sort_implINS0_14default_configELb0EPKhPhPKlPlN2at6native12_GLOBAL__N_18offset_tEEE10hipError_tPvRmT1_PNSt15iterator_traitsIS12_E10value_typeET2_T3_PNS13_IS18_E10value_typeET4_jRbjT5_S1E_jjP12ihipStream_tbEUljE_ZNSN_ISO_Lb0ESQ_SR_ST_SU_SY_EESZ_S10_S11_S12_S16_S17_S18_S1B_S1C_jS1D_jS1E_S1E_jjS1G_bEUljE0_EEESZ_S10_S11_S18_S1C_S1E_T6_T7_T9_mT8_S1G_bDpT10_ENKUlT_T0_E_clISt17integral_constantIbLb1EES1T_IbLb0EEEEDaS1P_S1Q_EUlS1P_E_NS1_11comp_targetILNS1_3genE2ELNS1_11target_archE906ELNS1_3gpuE6ELNS1_3repE0EEENS1_30default_config_static_selectorELNS0_4arch9wavefront6targetE1EEEvS12_
; %bb.0:
	s_endpgm
	.section	.rodata,"a",@progbits
	.p2align	6, 0x0
	.amdhsa_kernel _ZN7rocprim17ROCPRIM_400000_NS6detail17trampoline_kernelINS0_13select_configILj256ELj13ELNS0_17block_load_methodE3ELS4_3ELS4_3ELNS0_20block_scan_algorithmE0ELj4294967295EEENS1_25partition_config_selectorILNS1_17partition_subalgoE4EjNS0_10empty_typeEbEEZZNS1_14partition_implILS8_4ELb0ES6_15HIP_vector_typeIjLj2EENS0_17counting_iteratorIjlEEPS9_SG_NS0_5tupleIJPjSI_NS0_16reverse_iteratorISI_EEEEENSH_IJSG_SG_SG_EEES9_SI_JZNS1_25segmented_radix_sort_implINS0_14default_configELb0EPKhPhPKlPlN2at6native12_GLOBAL__N_18offset_tEEE10hipError_tPvRmT1_PNSt15iterator_traitsIS12_E10value_typeET2_T3_PNS13_IS18_E10value_typeET4_jRbjT5_S1E_jjP12ihipStream_tbEUljE_ZNSN_ISO_Lb0ESQ_SR_ST_SU_SY_EESZ_S10_S11_S12_S16_S17_S18_S1B_S1C_jS1D_jS1E_S1E_jjS1G_bEUljE0_EEESZ_S10_S11_S18_S1C_S1E_T6_T7_T9_mT8_S1G_bDpT10_ENKUlT_T0_E_clISt17integral_constantIbLb1EES1T_IbLb0EEEEDaS1P_S1Q_EUlS1P_E_NS1_11comp_targetILNS1_3genE2ELNS1_11target_archE906ELNS1_3gpuE6ELNS1_3repE0EEENS1_30default_config_static_selectorELNS0_4arch9wavefront6targetE1EEEvS12_
		.amdhsa_group_segment_fixed_size 0
		.amdhsa_private_segment_fixed_size 0
		.amdhsa_kernarg_size 176
		.amdhsa_user_sgpr_count 6
		.amdhsa_user_sgpr_private_segment_buffer 1
		.amdhsa_user_sgpr_dispatch_ptr 0
		.amdhsa_user_sgpr_queue_ptr 0
		.amdhsa_user_sgpr_kernarg_segment_ptr 1
		.amdhsa_user_sgpr_dispatch_id 0
		.amdhsa_user_sgpr_flat_scratch_init 0
		.amdhsa_user_sgpr_private_segment_size 0
		.amdhsa_uses_dynamic_stack 0
		.amdhsa_system_sgpr_private_segment_wavefront_offset 0
		.amdhsa_system_sgpr_workgroup_id_x 1
		.amdhsa_system_sgpr_workgroup_id_y 0
		.amdhsa_system_sgpr_workgroup_id_z 0
		.amdhsa_system_sgpr_workgroup_info 0
		.amdhsa_system_vgpr_workitem_id 0
		.amdhsa_next_free_vgpr 1
		.amdhsa_next_free_sgpr 0
		.amdhsa_reserve_vcc 0
		.amdhsa_reserve_flat_scratch 0
		.amdhsa_float_round_mode_32 0
		.amdhsa_float_round_mode_16_64 0
		.amdhsa_float_denorm_mode_32 3
		.amdhsa_float_denorm_mode_16_64 3
		.amdhsa_dx10_clamp 1
		.amdhsa_ieee_mode 1
		.amdhsa_fp16_overflow 0
		.amdhsa_exception_fp_ieee_invalid_op 0
		.amdhsa_exception_fp_denorm_src 0
		.amdhsa_exception_fp_ieee_div_zero 0
		.amdhsa_exception_fp_ieee_overflow 0
		.amdhsa_exception_fp_ieee_underflow 0
		.amdhsa_exception_fp_ieee_inexact 0
		.amdhsa_exception_int_div_zero 0
	.end_amdhsa_kernel
	.section	.text._ZN7rocprim17ROCPRIM_400000_NS6detail17trampoline_kernelINS0_13select_configILj256ELj13ELNS0_17block_load_methodE3ELS4_3ELS4_3ELNS0_20block_scan_algorithmE0ELj4294967295EEENS1_25partition_config_selectorILNS1_17partition_subalgoE4EjNS0_10empty_typeEbEEZZNS1_14partition_implILS8_4ELb0ES6_15HIP_vector_typeIjLj2EENS0_17counting_iteratorIjlEEPS9_SG_NS0_5tupleIJPjSI_NS0_16reverse_iteratorISI_EEEEENSH_IJSG_SG_SG_EEES9_SI_JZNS1_25segmented_radix_sort_implINS0_14default_configELb0EPKhPhPKlPlN2at6native12_GLOBAL__N_18offset_tEEE10hipError_tPvRmT1_PNSt15iterator_traitsIS12_E10value_typeET2_T3_PNS13_IS18_E10value_typeET4_jRbjT5_S1E_jjP12ihipStream_tbEUljE_ZNSN_ISO_Lb0ESQ_SR_ST_SU_SY_EESZ_S10_S11_S12_S16_S17_S18_S1B_S1C_jS1D_jS1E_S1E_jjS1G_bEUljE0_EEESZ_S10_S11_S18_S1C_S1E_T6_T7_T9_mT8_S1G_bDpT10_ENKUlT_T0_E_clISt17integral_constantIbLb1EES1T_IbLb0EEEEDaS1P_S1Q_EUlS1P_E_NS1_11comp_targetILNS1_3genE2ELNS1_11target_archE906ELNS1_3gpuE6ELNS1_3repE0EEENS1_30default_config_static_selectorELNS0_4arch9wavefront6targetE1EEEvS12_,"axG",@progbits,_ZN7rocprim17ROCPRIM_400000_NS6detail17trampoline_kernelINS0_13select_configILj256ELj13ELNS0_17block_load_methodE3ELS4_3ELS4_3ELNS0_20block_scan_algorithmE0ELj4294967295EEENS1_25partition_config_selectorILNS1_17partition_subalgoE4EjNS0_10empty_typeEbEEZZNS1_14partition_implILS8_4ELb0ES6_15HIP_vector_typeIjLj2EENS0_17counting_iteratorIjlEEPS9_SG_NS0_5tupleIJPjSI_NS0_16reverse_iteratorISI_EEEEENSH_IJSG_SG_SG_EEES9_SI_JZNS1_25segmented_radix_sort_implINS0_14default_configELb0EPKhPhPKlPlN2at6native12_GLOBAL__N_18offset_tEEE10hipError_tPvRmT1_PNSt15iterator_traitsIS12_E10value_typeET2_T3_PNS13_IS18_E10value_typeET4_jRbjT5_S1E_jjP12ihipStream_tbEUljE_ZNSN_ISO_Lb0ESQ_SR_ST_SU_SY_EESZ_S10_S11_S12_S16_S17_S18_S1B_S1C_jS1D_jS1E_S1E_jjS1G_bEUljE0_EEESZ_S10_S11_S18_S1C_S1E_T6_T7_T9_mT8_S1G_bDpT10_ENKUlT_T0_E_clISt17integral_constantIbLb1EES1T_IbLb0EEEEDaS1P_S1Q_EUlS1P_E_NS1_11comp_targetILNS1_3genE2ELNS1_11target_archE906ELNS1_3gpuE6ELNS1_3repE0EEENS1_30default_config_static_selectorELNS0_4arch9wavefront6targetE1EEEvS12_,comdat
.Lfunc_end142:
	.size	_ZN7rocprim17ROCPRIM_400000_NS6detail17trampoline_kernelINS0_13select_configILj256ELj13ELNS0_17block_load_methodE3ELS4_3ELS4_3ELNS0_20block_scan_algorithmE0ELj4294967295EEENS1_25partition_config_selectorILNS1_17partition_subalgoE4EjNS0_10empty_typeEbEEZZNS1_14partition_implILS8_4ELb0ES6_15HIP_vector_typeIjLj2EENS0_17counting_iteratorIjlEEPS9_SG_NS0_5tupleIJPjSI_NS0_16reverse_iteratorISI_EEEEENSH_IJSG_SG_SG_EEES9_SI_JZNS1_25segmented_radix_sort_implINS0_14default_configELb0EPKhPhPKlPlN2at6native12_GLOBAL__N_18offset_tEEE10hipError_tPvRmT1_PNSt15iterator_traitsIS12_E10value_typeET2_T3_PNS13_IS18_E10value_typeET4_jRbjT5_S1E_jjP12ihipStream_tbEUljE_ZNSN_ISO_Lb0ESQ_SR_ST_SU_SY_EESZ_S10_S11_S12_S16_S17_S18_S1B_S1C_jS1D_jS1E_S1E_jjS1G_bEUljE0_EEESZ_S10_S11_S18_S1C_S1E_T6_T7_T9_mT8_S1G_bDpT10_ENKUlT_T0_E_clISt17integral_constantIbLb1EES1T_IbLb0EEEEDaS1P_S1Q_EUlS1P_E_NS1_11comp_targetILNS1_3genE2ELNS1_11target_archE906ELNS1_3gpuE6ELNS1_3repE0EEENS1_30default_config_static_selectorELNS0_4arch9wavefront6targetE1EEEvS12_, .Lfunc_end142-_ZN7rocprim17ROCPRIM_400000_NS6detail17trampoline_kernelINS0_13select_configILj256ELj13ELNS0_17block_load_methodE3ELS4_3ELS4_3ELNS0_20block_scan_algorithmE0ELj4294967295EEENS1_25partition_config_selectorILNS1_17partition_subalgoE4EjNS0_10empty_typeEbEEZZNS1_14partition_implILS8_4ELb0ES6_15HIP_vector_typeIjLj2EENS0_17counting_iteratorIjlEEPS9_SG_NS0_5tupleIJPjSI_NS0_16reverse_iteratorISI_EEEEENSH_IJSG_SG_SG_EEES9_SI_JZNS1_25segmented_radix_sort_implINS0_14default_configELb0EPKhPhPKlPlN2at6native12_GLOBAL__N_18offset_tEEE10hipError_tPvRmT1_PNSt15iterator_traitsIS12_E10value_typeET2_T3_PNS13_IS18_E10value_typeET4_jRbjT5_S1E_jjP12ihipStream_tbEUljE_ZNSN_ISO_Lb0ESQ_SR_ST_SU_SY_EESZ_S10_S11_S12_S16_S17_S18_S1B_S1C_jS1D_jS1E_S1E_jjS1G_bEUljE0_EEESZ_S10_S11_S18_S1C_S1E_T6_T7_T9_mT8_S1G_bDpT10_ENKUlT_T0_E_clISt17integral_constantIbLb1EES1T_IbLb0EEEEDaS1P_S1Q_EUlS1P_E_NS1_11comp_targetILNS1_3genE2ELNS1_11target_archE906ELNS1_3gpuE6ELNS1_3repE0EEENS1_30default_config_static_selectorELNS0_4arch9wavefront6targetE1EEEvS12_
                                        ; -- End function
	.set _ZN7rocprim17ROCPRIM_400000_NS6detail17trampoline_kernelINS0_13select_configILj256ELj13ELNS0_17block_load_methodE3ELS4_3ELS4_3ELNS0_20block_scan_algorithmE0ELj4294967295EEENS1_25partition_config_selectorILNS1_17partition_subalgoE4EjNS0_10empty_typeEbEEZZNS1_14partition_implILS8_4ELb0ES6_15HIP_vector_typeIjLj2EENS0_17counting_iteratorIjlEEPS9_SG_NS0_5tupleIJPjSI_NS0_16reverse_iteratorISI_EEEEENSH_IJSG_SG_SG_EEES9_SI_JZNS1_25segmented_radix_sort_implINS0_14default_configELb0EPKhPhPKlPlN2at6native12_GLOBAL__N_18offset_tEEE10hipError_tPvRmT1_PNSt15iterator_traitsIS12_E10value_typeET2_T3_PNS13_IS18_E10value_typeET4_jRbjT5_S1E_jjP12ihipStream_tbEUljE_ZNSN_ISO_Lb0ESQ_SR_ST_SU_SY_EESZ_S10_S11_S12_S16_S17_S18_S1B_S1C_jS1D_jS1E_S1E_jjS1G_bEUljE0_EEESZ_S10_S11_S18_S1C_S1E_T6_T7_T9_mT8_S1G_bDpT10_ENKUlT_T0_E_clISt17integral_constantIbLb1EES1T_IbLb0EEEEDaS1P_S1Q_EUlS1P_E_NS1_11comp_targetILNS1_3genE2ELNS1_11target_archE906ELNS1_3gpuE6ELNS1_3repE0EEENS1_30default_config_static_selectorELNS0_4arch9wavefront6targetE1EEEvS12_.num_vgpr, 0
	.set _ZN7rocprim17ROCPRIM_400000_NS6detail17trampoline_kernelINS0_13select_configILj256ELj13ELNS0_17block_load_methodE3ELS4_3ELS4_3ELNS0_20block_scan_algorithmE0ELj4294967295EEENS1_25partition_config_selectorILNS1_17partition_subalgoE4EjNS0_10empty_typeEbEEZZNS1_14partition_implILS8_4ELb0ES6_15HIP_vector_typeIjLj2EENS0_17counting_iteratorIjlEEPS9_SG_NS0_5tupleIJPjSI_NS0_16reverse_iteratorISI_EEEEENSH_IJSG_SG_SG_EEES9_SI_JZNS1_25segmented_radix_sort_implINS0_14default_configELb0EPKhPhPKlPlN2at6native12_GLOBAL__N_18offset_tEEE10hipError_tPvRmT1_PNSt15iterator_traitsIS12_E10value_typeET2_T3_PNS13_IS18_E10value_typeET4_jRbjT5_S1E_jjP12ihipStream_tbEUljE_ZNSN_ISO_Lb0ESQ_SR_ST_SU_SY_EESZ_S10_S11_S12_S16_S17_S18_S1B_S1C_jS1D_jS1E_S1E_jjS1G_bEUljE0_EEESZ_S10_S11_S18_S1C_S1E_T6_T7_T9_mT8_S1G_bDpT10_ENKUlT_T0_E_clISt17integral_constantIbLb1EES1T_IbLb0EEEEDaS1P_S1Q_EUlS1P_E_NS1_11comp_targetILNS1_3genE2ELNS1_11target_archE906ELNS1_3gpuE6ELNS1_3repE0EEENS1_30default_config_static_selectorELNS0_4arch9wavefront6targetE1EEEvS12_.num_agpr, 0
	.set _ZN7rocprim17ROCPRIM_400000_NS6detail17trampoline_kernelINS0_13select_configILj256ELj13ELNS0_17block_load_methodE3ELS4_3ELS4_3ELNS0_20block_scan_algorithmE0ELj4294967295EEENS1_25partition_config_selectorILNS1_17partition_subalgoE4EjNS0_10empty_typeEbEEZZNS1_14partition_implILS8_4ELb0ES6_15HIP_vector_typeIjLj2EENS0_17counting_iteratorIjlEEPS9_SG_NS0_5tupleIJPjSI_NS0_16reverse_iteratorISI_EEEEENSH_IJSG_SG_SG_EEES9_SI_JZNS1_25segmented_radix_sort_implINS0_14default_configELb0EPKhPhPKlPlN2at6native12_GLOBAL__N_18offset_tEEE10hipError_tPvRmT1_PNSt15iterator_traitsIS12_E10value_typeET2_T3_PNS13_IS18_E10value_typeET4_jRbjT5_S1E_jjP12ihipStream_tbEUljE_ZNSN_ISO_Lb0ESQ_SR_ST_SU_SY_EESZ_S10_S11_S12_S16_S17_S18_S1B_S1C_jS1D_jS1E_S1E_jjS1G_bEUljE0_EEESZ_S10_S11_S18_S1C_S1E_T6_T7_T9_mT8_S1G_bDpT10_ENKUlT_T0_E_clISt17integral_constantIbLb1EES1T_IbLb0EEEEDaS1P_S1Q_EUlS1P_E_NS1_11comp_targetILNS1_3genE2ELNS1_11target_archE906ELNS1_3gpuE6ELNS1_3repE0EEENS1_30default_config_static_selectorELNS0_4arch9wavefront6targetE1EEEvS12_.numbered_sgpr, 0
	.set _ZN7rocprim17ROCPRIM_400000_NS6detail17trampoline_kernelINS0_13select_configILj256ELj13ELNS0_17block_load_methodE3ELS4_3ELS4_3ELNS0_20block_scan_algorithmE0ELj4294967295EEENS1_25partition_config_selectorILNS1_17partition_subalgoE4EjNS0_10empty_typeEbEEZZNS1_14partition_implILS8_4ELb0ES6_15HIP_vector_typeIjLj2EENS0_17counting_iteratorIjlEEPS9_SG_NS0_5tupleIJPjSI_NS0_16reverse_iteratorISI_EEEEENSH_IJSG_SG_SG_EEES9_SI_JZNS1_25segmented_radix_sort_implINS0_14default_configELb0EPKhPhPKlPlN2at6native12_GLOBAL__N_18offset_tEEE10hipError_tPvRmT1_PNSt15iterator_traitsIS12_E10value_typeET2_T3_PNS13_IS18_E10value_typeET4_jRbjT5_S1E_jjP12ihipStream_tbEUljE_ZNSN_ISO_Lb0ESQ_SR_ST_SU_SY_EESZ_S10_S11_S12_S16_S17_S18_S1B_S1C_jS1D_jS1E_S1E_jjS1G_bEUljE0_EEESZ_S10_S11_S18_S1C_S1E_T6_T7_T9_mT8_S1G_bDpT10_ENKUlT_T0_E_clISt17integral_constantIbLb1EES1T_IbLb0EEEEDaS1P_S1Q_EUlS1P_E_NS1_11comp_targetILNS1_3genE2ELNS1_11target_archE906ELNS1_3gpuE6ELNS1_3repE0EEENS1_30default_config_static_selectorELNS0_4arch9wavefront6targetE1EEEvS12_.num_named_barrier, 0
	.set _ZN7rocprim17ROCPRIM_400000_NS6detail17trampoline_kernelINS0_13select_configILj256ELj13ELNS0_17block_load_methodE3ELS4_3ELS4_3ELNS0_20block_scan_algorithmE0ELj4294967295EEENS1_25partition_config_selectorILNS1_17partition_subalgoE4EjNS0_10empty_typeEbEEZZNS1_14partition_implILS8_4ELb0ES6_15HIP_vector_typeIjLj2EENS0_17counting_iteratorIjlEEPS9_SG_NS0_5tupleIJPjSI_NS0_16reverse_iteratorISI_EEEEENSH_IJSG_SG_SG_EEES9_SI_JZNS1_25segmented_radix_sort_implINS0_14default_configELb0EPKhPhPKlPlN2at6native12_GLOBAL__N_18offset_tEEE10hipError_tPvRmT1_PNSt15iterator_traitsIS12_E10value_typeET2_T3_PNS13_IS18_E10value_typeET4_jRbjT5_S1E_jjP12ihipStream_tbEUljE_ZNSN_ISO_Lb0ESQ_SR_ST_SU_SY_EESZ_S10_S11_S12_S16_S17_S18_S1B_S1C_jS1D_jS1E_S1E_jjS1G_bEUljE0_EEESZ_S10_S11_S18_S1C_S1E_T6_T7_T9_mT8_S1G_bDpT10_ENKUlT_T0_E_clISt17integral_constantIbLb1EES1T_IbLb0EEEEDaS1P_S1Q_EUlS1P_E_NS1_11comp_targetILNS1_3genE2ELNS1_11target_archE906ELNS1_3gpuE6ELNS1_3repE0EEENS1_30default_config_static_selectorELNS0_4arch9wavefront6targetE1EEEvS12_.private_seg_size, 0
	.set _ZN7rocprim17ROCPRIM_400000_NS6detail17trampoline_kernelINS0_13select_configILj256ELj13ELNS0_17block_load_methodE3ELS4_3ELS4_3ELNS0_20block_scan_algorithmE0ELj4294967295EEENS1_25partition_config_selectorILNS1_17partition_subalgoE4EjNS0_10empty_typeEbEEZZNS1_14partition_implILS8_4ELb0ES6_15HIP_vector_typeIjLj2EENS0_17counting_iteratorIjlEEPS9_SG_NS0_5tupleIJPjSI_NS0_16reverse_iteratorISI_EEEEENSH_IJSG_SG_SG_EEES9_SI_JZNS1_25segmented_radix_sort_implINS0_14default_configELb0EPKhPhPKlPlN2at6native12_GLOBAL__N_18offset_tEEE10hipError_tPvRmT1_PNSt15iterator_traitsIS12_E10value_typeET2_T3_PNS13_IS18_E10value_typeET4_jRbjT5_S1E_jjP12ihipStream_tbEUljE_ZNSN_ISO_Lb0ESQ_SR_ST_SU_SY_EESZ_S10_S11_S12_S16_S17_S18_S1B_S1C_jS1D_jS1E_S1E_jjS1G_bEUljE0_EEESZ_S10_S11_S18_S1C_S1E_T6_T7_T9_mT8_S1G_bDpT10_ENKUlT_T0_E_clISt17integral_constantIbLb1EES1T_IbLb0EEEEDaS1P_S1Q_EUlS1P_E_NS1_11comp_targetILNS1_3genE2ELNS1_11target_archE906ELNS1_3gpuE6ELNS1_3repE0EEENS1_30default_config_static_selectorELNS0_4arch9wavefront6targetE1EEEvS12_.uses_vcc, 0
	.set _ZN7rocprim17ROCPRIM_400000_NS6detail17trampoline_kernelINS0_13select_configILj256ELj13ELNS0_17block_load_methodE3ELS4_3ELS4_3ELNS0_20block_scan_algorithmE0ELj4294967295EEENS1_25partition_config_selectorILNS1_17partition_subalgoE4EjNS0_10empty_typeEbEEZZNS1_14partition_implILS8_4ELb0ES6_15HIP_vector_typeIjLj2EENS0_17counting_iteratorIjlEEPS9_SG_NS0_5tupleIJPjSI_NS0_16reverse_iteratorISI_EEEEENSH_IJSG_SG_SG_EEES9_SI_JZNS1_25segmented_radix_sort_implINS0_14default_configELb0EPKhPhPKlPlN2at6native12_GLOBAL__N_18offset_tEEE10hipError_tPvRmT1_PNSt15iterator_traitsIS12_E10value_typeET2_T3_PNS13_IS18_E10value_typeET4_jRbjT5_S1E_jjP12ihipStream_tbEUljE_ZNSN_ISO_Lb0ESQ_SR_ST_SU_SY_EESZ_S10_S11_S12_S16_S17_S18_S1B_S1C_jS1D_jS1E_S1E_jjS1G_bEUljE0_EEESZ_S10_S11_S18_S1C_S1E_T6_T7_T9_mT8_S1G_bDpT10_ENKUlT_T0_E_clISt17integral_constantIbLb1EES1T_IbLb0EEEEDaS1P_S1Q_EUlS1P_E_NS1_11comp_targetILNS1_3genE2ELNS1_11target_archE906ELNS1_3gpuE6ELNS1_3repE0EEENS1_30default_config_static_selectorELNS0_4arch9wavefront6targetE1EEEvS12_.uses_flat_scratch, 0
	.set _ZN7rocprim17ROCPRIM_400000_NS6detail17trampoline_kernelINS0_13select_configILj256ELj13ELNS0_17block_load_methodE3ELS4_3ELS4_3ELNS0_20block_scan_algorithmE0ELj4294967295EEENS1_25partition_config_selectorILNS1_17partition_subalgoE4EjNS0_10empty_typeEbEEZZNS1_14partition_implILS8_4ELb0ES6_15HIP_vector_typeIjLj2EENS0_17counting_iteratorIjlEEPS9_SG_NS0_5tupleIJPjSI_NS0_16reverse_iteratorISI_EEEEENSH_IJSG_SG_SG_EEES9_SI_JZNS1_25segmented_radix_sort_implINS0_14default_configELb0EPKhPhPKlPlN2at6native12_GLOBAL__N_18offset_tEEE10hipError_tPvRmT1_PNSt15iterator_traitsIS12_E10value_typeET2_T3_PNS13_IS18_E10value_typeET4_jRbjT5_S1E_jjP12ihipStream_tbEUljE_ZNSN_ISO_Lb0ESQ_SR_ST_SU_SY_EESZ_S10_S11_S12_S16_S17_S18_S1B_S1C_jS1D_jS1E_S1E_jjS1G_bEUljE0_EEESZ_S10_S11_S18_S1C_S1E_T6_T7_T9_mT8_S1G_bDpT10_ENKUlT_T0_E_clISt17integral_constantIbLb1EES1T_IbLb0EEEEDaS1P_S1Q_EUlS1P_E_NS1_11comp_targetILNS1_3genE2ELNS1_11target_archE906ELNS1_3gpuE6ELNS1_3repE0EEENS1_30default_config_static_selectorELNS0_4arch9wavefront6targetE1EEEvS12_.has_dyn_sized_stack, 0
	.set _ZN7rocprim17ROCPRIM_400000_NS6detail17trampoline_kernelINS0_13select_configILj256ELj13ELNS0_17block_load_methodE3ELS4_3ELS4_3ELNS0_20block_scan_algorithmE0ELj4294967295EEENS1_25partition_config_selectorILNS1_17partition_subalgoE4EjNS0_10empty_typeEbEEZZNS1_14partition_implILS8_4ELb0ES6_15HIP_vector_typeIjLj2EENS0_17counting_iteratorIjlEEPS9_SG_NS0_5tupleIJPjSI_NS0_16reverse_iteratorISI_EEEEENSH_IJSG_SG_SG_EEES9_SI_JZNS1_25segmented_radix_sort_implINS0_14default_configELb0EPKhPhPKlPlN2at6native12_GLOBAL__N_18offset_tEEE10hipError_tPvRmT1_PNSt15iterator_traitsIS12_E10value_typeET2_T3_PNS13_IS18_E10value_typeET4_jRbjT5_S1E_jjP12ihipStream_tbEUljE_ZNSN_ISO_Lb0ESQ_SR_ST_SU_SY_EESZ_S10_S11_S12_S16_S17_S18_S1B_S1C_jS1D_jS1E_S1E_jjS1G_bEUljE0_EEESZ_S10_S11_S18_S1C_S1E_T6_T7_T9_mT8_S1G_bDpT10_ENKUlT_T0_E_clISt17integral_constantIbLb1EES1T_IbLb0EEEEDaS1P_S1Q_EUlS1P_E_NS1_11comp_targetILNS1_3genE2ELNS1_11target_archE906ELNS1_3gpuE6ELNS1_3repE0EEENS1_30default_config_static_selectorELNS0_4arch9wavefront6targetE1EEEvS12_.has_recursion, 0
	.set _ZN7rocprim17ROCPRIM_400000_NS6detail17trampoline_kernelINS0_13select_configILj256ELj13ELNS0_17block_load_methodE3ELS4_3ELS4_3ELNS0_20block_scan_algorithmE0ELj4294967295EEENS1_25partition_config_selectorILNS1_17partition_subalgoE4EjNS0_10empty_typeEbEEZZNS1_14partition_implILS8_4ELb0ES6_15HIP_vector_typeIjLj2EENS0_17counting_iteratorIjlEEPS9_SG_NS0_5tupleIJPjSI_NS0_16reverse_iteratorISI_EEEEENSH_IJSG_SG_SG_EEES9_SI_JZNS1_25segmented_radix_sort_implINS0_14default_configELb0EPKhPhPKlPlN2at6native12_GLOBAL__N_18offset_tEEE10hipError_tPvRmT1_PNSt15iterator_traitsIS12_E10value_typeET2_T3_PNS13_IS18_E10value_typeET4_jRbjT5_S1E_jjP12ihipStream_tbEUljE_ZNSN_ISO_Lb0ESQ_SR_ST_SU_SY_EESZ_S10_S11_S12_S16_S17_S18_S1B_S1C_jS1D_jS1E_S1E_jjS1G_bEUljE0_EEESZ_S10_S11_S18_S1C_S1E_T6_T7_T9_mT8_S1G_bDpT10_ENKUlT_T0_E_clISt17integral_constantIbLb1EES1T_IbLb0EEEEDaS1P_S1Q_EUlS1P_E_NS1_11comp_targetILNS1_3genE2ELNS1_11target_archE906ELNS1_3gpuE6ELNS1_3repE0EEENS1_30default_config_static_selectorELNS0_4arch9wavefront6targetE1EEEvS12_.has_indirect_call, 0
	.section	.AMDGPU.csdata,"",@progbits
; Kernel info:
; codeLenInByte = 4
; TotalNumSgprs: 4
; NumVgprs: 0
; ScratchSize: 0
; MemoryBound: 0
; FloatMode: 240
; IeeeMode: 1
; LDSByteSize: 0 bytes/workgroup (compile time only)
; SGPRBlocks: 0
; VGPRBlocks: 0
; NumSGPRsForWavesPerEU: 4
; NumVGPRsForWavesPerEU: 1
; Occupancy: 10
; WaveLimiterHint : 0
; COMPUTE_PGM_RSRC2:SCRATCH_EN: 0
; COMPUTE_PGM_RSRC2:USER_SGPR: 6
; COMPUTE_PGM_RSRC2:TRAP_HANDLER: 0
; COMPUTE_PGM_RSRC2:TGID_X_EN: 1
; COMPUTE_PGM_RSRC2:TGID_Y_EN: 0
; COMPUTE_PGM_RSRC2:TGID_Z_EN: 0
; COMPUTE_PGM_RSRC2:TIDIG_COMP_CNT: 0
	.section	.text._ZN7rocprim17ROCPRIM_400000_NS6detail17trampoline_kernelINS0_13select_configILj256ELj13ELNS0_17block_load_methodE3ELS4_3ELS4_3ELNS0_20block_scan_algorithmE0ELj4294967295EEENS1_25partition_config_selectorILNS1_17partition_subalgoE4EjNS0_10empty_typeEbEEZZNS1_14partition_implILS8_4ELb0ES6_15HIP_vector_typeIjLj2EENS0_17counting_iteratorIjlEEPS9_SG_NS0_5tupleIJPjSI_NS0_16reverse_iteratorISI_EEEEENSH_IJSG_SG_SG_EEES9_SI_JZNS1_25segmented_radix_sort_implINS0_14default_configELb0EPKhPhPKlPlN2at6native12_GLOBAL__N_18offset_tEEE10hipError_tPvRmT1_PNSt15iterator_traitsIS12_E10value_typeET2_T3_PNS13_IS18_E10value_typeET4_jRbjT5_S1E_jjP12ihipStream_tbEUljE_ZNSN_ISO_Lb0ESQ_SR_ST_SU_SY_EESZ_S10_S11_S12_S16_S17_S18_S1B_S1C_jS1D_jS1E_S1E_jjS1G_bEUljE0_EEESZ_S10_S11_S18_S1C_S1E_T6_T7_T9_mT8_S1G_bDpT10_ENKUlT_T0_E_clISt17integral_constantIbLb1EES1T_IbLb0EEEEDaS1P_S1Q_EUlS1P_E_NS1_11comp_targetILNS1_3genE10ELNS1_11target_archE1200ELNS1_3gpuE4ELNS1_3repE0EEENS1_30default_config_static_selectorELNS0_4arch9wavefront6targetE1EEEvS12_,"axG",@progbits,_ZN7rocprim17ROCPRIM_400000_NS6detail17trampoline_kernelINS0_13select_configILj256ELj13ELNS0_17block_load_methodE3ELS4_3ELS4_3ELNS0_20block_scan_algorithmE0ELj4294967295EEENS1_25partition_config_selectorILNS1_17partition_subalgoE4EjNS0_10empty_typeEbEEZZNS1_14partition_implILS8_4ELb0ES6_15HIP_vector_typeIjLj2EENS0_17counting_iteratorIjlEEPS9_SG_NS0_5tupleIJPjSI_NS0_16reverse_iteratorISI_EEEEENSH_IJSG_SG_SG_EEES9_SI_JZNS1_25segmented_radix_sort_implINS0_14default_configELb0EPKhPhPKlPlN2at6native12_GLOBAL__N_18offset_tEEE10hipError_tPvRmT1_PNSt15iterator_traitsIS12_E10value_typeET2_T3_PNS13_IS18_E10value_typeET4_jRbjT5_S1E_jjP12ihipStream_tbEUljE_ZNSN_ISO_Lb0ESQ_SR_ST_SU_SY_EESZ_S10_S11_S12_S16_S17_S18_S1B_S1C_jS1D_jS1E_S1E_jjS1G_bEUljE0_EEESZ_S10_S11_S18_S1C_S1E_T6_T7_T9_mT8_S1G_bDpT10_ENKUlT_T0_E_clISt17integral_constantIbLb1EES1T_IbLb0EEEEDaS1P_S1Q_EUlS1P_E_NS1_11comp_targetILNS1_3genE10ELNS1_11target_archE1200ELNS1_3gpuE4ELNS1_3repE0EEENS1_30default_config_static_selectorELNS0_4arch9wavefront6targetE1EEEvS12_,comdat
	.globl	_ZN7rocprim17ROCPRIM_400000_NS6detail17trampoline_kernelINS0_13select_configILj256ELj13ELNS0_17block_load_methodE3ELS4_3ELS4_3ELNS0_20block_scan_algorithmE0ELj4294967295EEENS1_25partition_config_selectorILNS1_17partition_subalgoE4EjNS0_10empty_typeEbEEZZNS1_14partition_implILS8_4ELb0ES6_15HIP_vector_typeIjLj2EENS0_17counting_iteratorIjlEEPS9_SG_NS0_5tupleIJPjSI_NS0_16reverse_iteratorISI_EEEEENSH_IJSG_SG_SG_EEES9_SI_JZNS1_25segmented_radix_sort_implINS0_14default_configELb0EPKhPhPKlPlN2at6native12_GLOBAL__N_18offset_tEEE10hipError_tPvRmT1_PNSt15iterator_traitsIS12_E10value_typeET2_T3_PNS13_IS18_E10value_typeET4_jRbjT5_S1E_jjP12ihipStream_tbEUljE_ZNSN_ISO_Lb0ESQ_SR_ST_SU_SY_EESZ_S10_S11_S12_S16_S17_S18_S1B_S1C_jS1D_jS1E_S1E_jjS1G_bEUljE0_EEESZ_S10_S11_S18_S1C_S1E_T6_T7_T9_mT8_S1G_bDpT10_ENKUlT_T0_E_clISt17integral_constantIbLb1EES1T_IbLb0EEEEDaS1P_S1Q_EUlS1P_E_NS1_11comp_targetILNS1_3genE10ELNS1_11target_archE1200ELNS1_3gpuE4ELNS1_3repE0EEENS1_30default_config_static_selectorELNS0_4arch9wavefront6targetE1EEEvS12_ ; -- Begin function _ZN7rocprim17ROCPRIM_400000_NS6detail17trampoline_kernelINS0_13select_configILj256ELj13ELNS0_17block_load_methodE3ELS4_3ELS4_3ELNS0_20block_scan_algorithmE0ELj4294967295EEENS1_25partition_config_selectorILNS1_17partition_subalgoE4EjNS0_10empty_typeEbEEZZNS1_14partition_implILS8_4ELb0ES6_15HIP_vector_typeIjLj2EENS0_17counting_iteratorIjlEEPS9_SG_NS0_5tupleIJPjSI_NS0_16reverse_iteratorISI_EEEEENSH_IJSG_SG_SG_EEES9_SI_JZNS1_25segmented_radix_sort_implINS0_14default_configELb0EPKhPhPKlPlN2at6native12_GLOBAL__N_18offset_tEEE10hipError_tPvRmT1_PNSt15iterator_traitsIS12_E10value_typeET2_T3_PNS13_IS18_E10value_typeET4_jRbjT5_S1E_jjP12ihipStream_tbEUljE_ZNSN_ISO_Lb0ESQ_SR_ST_SU_SY_EESZ_S10_S11_S12_S16_S17_S18_S1B_S1C_jS1D_jS1E_S1E_jjS1G_bEUljE0_EEESZ_S10_S11_S18_S1C_S1E_T6_T7_T9_mT8_S1G_bDpT10_ENKUlT_T0_E_clISt17integral_constantIbLb1EES1T_IbLb0EEEEDaS1P_S1Q_EUlS1P_E_NS1_11comp_targetILNS1_3genE10ELNS1_11target_archE1200ELNS1_3gpuE4ELNS1_3repE0EEENS1_30default_config_static_selectorELNS0_4arch9wavefront6targetE1EEEvS12_
	.p2align	8
	.type	_ZN7rocprim17ROCPRIM_400000_NS6detail17trampoline_kernelINS0_13select_configILj256ELj13ELNS0_17block_load_methodE3ELS4_3ELS4_3ELNS0_20block_scan_algorithmE0ELj4294967295EEENS1_25partition_config_selectorILNS1_17partition_subalgoE4EjNS0_10empty_typeEbEEZZNS1_14partition_implILS8_4ELb0ES6_15HIP_vector_typeIjLj2EENS0_17counting_iteratorIjlEEPS9_SG_NS0_5tupleIJPjSI_NS0_16reverse_iteratorISI_EEEEENSH_IJSG_SG_SG_EEES9_SI_JZNS1_25segmented_radix_sort_implINS0_14default_configELb0EPKhPhPKlPlN2at6native12_GLOBAL__N_18offset_tEEE10hipError_tPvRmT1_PNSt15iterator_traitsIS12_E10value_typeET2_T3_PNS13_IS18_E10value_typeET4_jRbjT5_S1E_jjP12ihipStream_tbEUljE_ZNSN_ISO_Lb0ESQ_SR_ST_SU_SY_EESZ_S10_S11_S12_S16_S17_S18_S1B_S1C_jS1D_jS1E_S1E_jjS1G_bEUljE0_EEESZ_S10_S11_S18_S1C_S1E_T6_T7_T9_mT8_S1G_bDpT10_ENKUlT_T0_E_clISt17integral_constantIbLb1EES1T_IbLb0EEEEDaS1P_S1Q_EUlS1P_E_NS1_11comp_targetILNS1_3genE10ELNS1_11target_archE1200ELNS1_3gpuE4ELNS1_3repE0EEENS1_30default_config_static_selectorELNS0_4arch9wavefront6targetE1EEEvS12_,@function
_ZN7rocprim17ROCPRIM_400000_NS6detail17trampoline_kernelINS0_13select_configILj256ELj13ELNS0_17block_load_methodE3ELS4_3ELS4_3ELNS0_20block_scan_algorithmE0ELj4294967295EEENS1_25partition_config_selectorILNS1_17partition_subalgoE4EjNS0_10empty_typeEbEEZZNS1_14partition_implILS8_4ELb0ES6_15HIP_vector_typeIjLj2EENS0_17counting_iteratorIjlEEPS9_SG_NS0_5tupleIJPjSI_NS0_16reverse_iteratorISI_EEEEENSH_IJSG_SG_SG_EEES9_SI_JZNS1_25segmented_radix_sort_implINS0_14default_configELb0EPKhPhPKlPlN2at6native12_GLOBAL__N_18offset_tEEE10hipError_tPvRmT1_PNSt15iterator_traitsIS12_E10value_typeET2_T3_PNS13_IS18_E10value_typeET4_jRbjT5_S1E_jjP12ihipStream_tbEUljE_ZNSN_ISO_Lb0ESQ_SR_ST_SU_SY_EESZ_S10_S11_S12_S16_S17_S18_S1B_S1C_jS1D_jS1E_S1E_jjS1G_bEUljE0_EEESZ_S10_S11_S18_S1C_S1E_T6_T7_T9_mT8_S1G_bDpT10_ENKUlT_T0_E_clISt17integral_constantIbLb1EES1T_IbLb0EEEEDaS1P_S1Q_EUlS1P_E_NS1_11comp_targetILNS1_3genE10ELNS1_11target_archE1200ELNS1_3gpuE4ELNS1_3repE0EEENS1_30default_config_static_selectorELNS0_4arch9wavefront6targetE1EEEvS12_: ; @_ZN7rocprim17ROCPRIM_400000_NS6detail17trampoline_kernelINS0_13select_configILj256ELj13ELNS0_17block_load_methodE3ELS4_3ELS4_3ELNS0_20block_scan_algorithmE0ELj4294967295EEENS1_25partition_config_selectorILNS1_17partition_subalgoE4EjNS0_10empty_typeEbEEZZNS1_14partition_implILS8_4ELb0ES6_15HIP_vector_typeIjLj2EENS0_17counting_iteratorIjlEEPS9_SG_NS0_5tupleIJPjSI_NS0_16reverse_iteratorISI_EEEEENSH_IJSG_SG_SG_EEES9_SI_JZNS1_25segmented_radix_sort_implINS0_14default_configELb0EPKhPhPKlPlN2at6native12_GLOBAL__N_18offset_tEEE10hipError_tPvRmT1_PNSt15iterator_traitsIS12_E10value_typeET2_T3_PNS13_IS18_E10value_typeET4_jRbjT5_S1E_jjP12ihipStream_tbEUljE_ZNSN_ISO_Lb0ESQ_SR_ST_SU_SY_EESZ_S10_S11_S12_S16_S17_S18_S1B_S1C_jS1D_jS1E_S1E_jjS1G_bEUljE0_EEESZ_S10_S11_S18_S1C_S1E_T6_T7_T9_mT8_S1G_bDpT10_ENKUlT_T0_E_clISt17integral_constantIbLb1EES1T_IbLb0EEEEDaS1P_S1Q_EUlS1P_E_NS1_11comp_targetILNS1_3genE10ELNS1_11target_archE1200ELNS1_3gpuE4ELNS1_3repE0EEENS1_30default_config_static_selectorELNS0_4arch9wavefront6targetE1EEEvS12_
; %bb.0:
	.section	.rodata,"a",@progbits
	.p2align	6, 0x0
	.amdhsa_kernel _ZN7rocprim17ROCPRIM_400000_NS6detail17trampoline_kernelINS0_13select_configILj256ELj13ELNS0_17block_load_methodE3ELS4_3ELS4_3ELNS0_20block_scan_algorithmE0ELj4294967295EEENS1_25partition_config_selectorILNS1_17partition_subalgoE4EjNS0_10empty_typeEbEEZZNS1_14partition_implILS8_4ELb0ES6_15HIP_vector_typeIjLj2EENS0_17counting_iteratorIjlEEPS9_SG_NS0_5tupleIJPjSI_NS0_16reverse_iteratorISI_EEEEENSH_IJSG_SG_SG_EEES9_SI_JZNS1_25segmented_radix_sort_implINS0_14default_configELb0EPKhPhPKlPlN2at6native12_GLOBAL__N_18offset_tEEE10hipError_tPvRmT1_PNSt15iterator_traitsIS12_E10value_typeET2_T3_PNS13_IS18_E10value_typeET4_jRbjT5_S1E_jjP12ihipStream_tbEUljE_ZNSN_ISO_Lb0ESQ_SR_ST_SU_SY_EESZ_S10_S11_S12_S16_S17_S18_S1B_S1C_jS1D_jS1E_S1E_jjS1G_bEUljE0_EEESZ_S10_S11_S18_S1C_S1E_T6_T7_T9_mT8_S1G_bDpT10_ENKUlT_T0_E_clISt17integral_constantIbLb1EES1T_IbLb0EEEEDaS1P_S1Q_EUlS1P_E_NS1_11comp_targetILNS1_3genE10ELNS1_11target_archE1200ELNS1_3gpuE4ELNS1_3repE0EEENS1_30default_config_static_selectorELNS0_4arch9wavefront6targetE1EEEvS12_
		.amdhsa_group_segment_fixed_size 0
		.amdhsa_private_segment_fixed_size 0
		.amdhsa_kernarg_size 176
		.amdhsa_user_sgpr_count 6
		.amdhsa_user_sgpr_private_segment_buffer 1
		.amdhsa_user_sgpr_dispatch_ptr 0
		.amdhsa_user_sgpr_queue_ptr 0
		.amdhsa_user_sgpr_kernarg_segment_ptr 1
		.amdhsa_user_sgpr_dispatch_id 0
		.amdhsa_user_sgpr_flat_scratch_init 0
		.amdhsa_user_sgpr_private_segment_size 0
		.amdhsa_uses_dynamic_stack 0
		.amdhsa_system_sgpr_private_segment_wavefront_offset 0
		.amdhsa_system_sgpr_workgroup_id_x 1
		.amdhsa_system_sgpr_workgroup_id_y 0
		.amdhsa_system_sgpr_workgroup_id_z 0
		.amdhsa_system_sgpr_workgroup_info 0
		.amdhsa_system_vgpr_workitem_id 0
		.amdhsa_next_free_vgpr 1
		.amdhsa_next_free_sgpr 0
		.amdhsa_reserve_vcc 0
		.amdhsa_reserve_flat_scratch 0
		.amdhsa_float_round_mode_32 0
		.amdhsa_float_round_mode_16_64 0
		.amdhsa_float_denorm_mode_32 3
		.amdhsa_float_denorm_mode_16_64 3
		.amdhsa_dx10_clamp 1
		.amdhsa_ieee_mode 1
		.amdhsa_fp16_overflow 0
		.amdhsa_exception_fp_ieee_invalid_op 0
		.amdhsa_exception_fp_denorm_src 0
		.amdhsa_exception_fp_ieee_div_zero 0
		.amdhsa_exception_fp_ieee_overflow 0
		.amdhsa_exception_fp_ieee_underflow 0
		.amdhsa_exception_fp_ieee_inexact 0
		.amdhsa_exception_int_div_zero 0
	.end_amdhsa_kernel
	.section	.text._ZN7rocprim17ROCPRIM_400000_NS6detail17trampoline_kernelINS0_13select_configILj256ELj13ELNS0_17block_load_methodE3ELS4_3ELS4_3ELNS0_20block_scan_algorithmE0ELj4294967295EEENS1_25partition_config_selectorILNS1_17partition_subalgoE4EjNS0_10empty_typeEbEEZZNS1_14partition_implILS8_4ELb0ES6_15HIP_vector_typeIjLj2EENS0_17counting_iteratorIjlEEPS9_SG_NS0_5tupleIJPjSI_NS0_16reverse_iteratorISI_EEEEENSH_IJSG_SG_SG_EEES9_SI_JZNS1_25segmented_radix_sort_implINS0_14default_configELb0EPKhPhPKlPlN2at6native12_GLOBAL__N_18offset_tEEE10hipError_tPvRmT1_PNSt15iterator_traitsIS12_E10value_typeET2_T3_PNS13_IS18_E10value_typeET4_jRbjT5_S1E_jjP12ihipStream_tbEUljE_ZNSN_ISO_Lb0ESQ_SR_ST_SU_SY_EESZ_S10_S11_S12_S16_S17_S18_S1B_S1C_jS1D_jS1E_S1E_jjS1G_bEUljE0_EEESZ_S10_S11_S18_S1C_S1E_T6_T7_T9_mT8_S1G_bDpT10_ENKUlT_T0_E_clISt17integral_constantIbLb1EES1T_IbLb0EEEEDaS1P_S1Q_EUlS1P_E_NS1_11comp_targetILNS1_3genE10ELNS1_11target_archE1200ELNS1_3gpuE4ELNS1_3repE0EEENS1_30default_config_static_selectorELNS0_4arch9wavefront6targetE1EEEvS12_,"axG",@progbits,_ZN7rocprim17ROCPRIM_400000_NS6detail17trampoline_kernelINS0_13select_configILj256ELj13ELNS0_17block_load_methodE3ELS4_3ELS4_3ELNS0_20block_scan_algorithmE0ELj4294967295EEENS1_25partition_config_selectorILNS1_17partition_subalgoE4EjNS0_10empty_typeEbEEZZNS1_14partition_implILS8_4ELb0ES6_15HIP_vector_typeIjLj2EENS0_17counting_iteratorIjlEEPS9_SG_NS0_5tupleIJPjSI_NS0_16reverse_iteratorISI_EEEEENSH_IJSG_SG_SG_EEES9_SI_JZNS1_25segmented_radix_sort_implINS0_14default_configELb0EPKhPhPKlPlN2at6native12_GLOBAL__N_18offset_tEEE10hipError_tPvRmT1_PNSt15iterator_traitsIS12_E10value_typeET2_T3_PNS13_IS18_E10value_typeET4_jRbjT5_S1E_jjP12ihipStream_tbEUljE_ZNSN_ISO_Lb0ESQ_SR_ST_SU_SY_EESZ_S10_S11_S12_S16_S17_S18_S1B_S1C_jS1D_jS1E_S1E_jjS1G_bEUljE0_EEESZ_S10_S11_S18_S1C_S1E_T6_T7_T9_mT8_S1G_bDpT10_ENKUlT_T0_E_clISt17integral_constantIbLb1EES1T_IbLb0EEEEDaS1P_S1Q_EUlS1P_E_NS1_11comp_targetILNS1_3genE10ELNS1_11target_archE1200ELNS1_3gpuE4ELNS1_3repE0EEENS1_30default_config_static_selectorELNS0_4arch9wavefront6targetE1EEEvS12_,comdat
.Lfunc_end143:
	.size	_ZN7rocprim17ROCPRIM_400000_NS6detail17trampoline_kernelINS0_13select_configILj256ELj13ELNS0_17block_load_methodE3ELS4_3ELS4_3ELNS0_20block_scan_algorithmE0ELj4294967295EEENS1_25partition_config_selectorILNS1_17partition_subalgoE4EjNS0_10empty_typeEbEEZZNS1_14partition_implILS8_4ELb0ES6_15HIP_vector_typeIjLj2EENS0_17counting_iteratorIjlEEPS9_SG_NS0_5tupleIJPjSI_NS0_16reverse_iteratorISI_EEEEENSH_IJSG_SG_SG_EEES9_SI_JZNS1_25segmented_radix_sort_implINS0_14default_configELb0EPKhPhPKlPlN2at6native12_GLOBAL__N_18offset_tEEE10hipError_tPvRmT1_PNSt15iterator_traitsIS12_E10value_typeET2_T3_PNS13_IS18_E10value_typeET4_jRbjT5_S1E_jjP12ihipStream_tbEUljE_ZNSN_ISO_Lb0ESQ_SR_ST_SU_SY_EESZ_S10_S11_S12_S16_S17_S18_S1B_S1C_jS1D_jS1E_S1E_jjS1G_bEUljE0_EEESZ_S10_S11_S18_S1C_S1E_T6_T7_T9_mT8_S1G_bDpT10_ENKUlT_T0_E_clISt17integral_constantIbLb1EES1T_IbLb0EEEEDaS1P_S1Q_EUlS1P_E_NS1_11comp_targetILNS1_3genE10ELNS1_11target_archE1200ELNS1_3gpuE4ELNS1_3repE0EEENS1_30default_config_static_selectorELNS0_4arch9wavefront6targetE1EEEvS12_, .Lfunc_end143-_ZN7rocprim17ROCPRIM_400000_NS6detail17trampoline_kernelINS0_13select_configILj256ELj13ELNS0_17block_load_methodE3ELS4_3ELS4_3ELNS0_20block_scan_algorithmE0ELj4294967295EEENS1_25partition_config_selectorILNS1_17partition_subalgoE4EjNS0_10empty_typeEbEEZZNS1_14partition_implILS8_4ELb0ES6_15HIP_vector_typeIjLj2EENS0_17counting_iteratorIjlEEPS9_SG_NS0_5tupleIJPjSI_NS0_16reverse_iteratorISI_EEEEENSH_IJSG_SG_SG_EEES9_SI_JZNS1_25segmented_radix_sort_implINS0_14default_configELb0EPKhPhPKlPlN2at6native12_GLOBAL__N_18offset_tEEE10hipError_tPvRmT1_PNSt15iterator_traitsIS12_E10value_typeET2_T3_PNS13_IS18_E10value_typeET4_jRbjT5_S1E_jjP12ihipStream_tbEUljE_ZNSN_ISO_Lb0ESQ_SR_ST_SU_SY_EESZ_S10_S11_S12_S16_S17_S18_S1B_S1C_jS1D_jS1E_S1E_jjS1G_bEUljE0_EEESZ_S10_S11_S18_S1C_S1E_T6_T7_T9_mT8_S1G_bDpT10_ENKUlT_T0_E_clISt17integral_constantIbLb1EES1T_IbLb0EEEEDaS1P_S1Q_EUlS1P_E_NS1_11comp_targetILNS1_3genE10ELNS1_11target_archE1200ELNS1_3gpuE4ELNS1_3repE0EEENS1_30default_config_static_selectorELNS0_4arch9wavefront6targetE1EEEvS12_
                                        ; -- End function
	.set _ZN7rocprim17ROCPRIM_400000_NS6detail17trampoline_kernelINS0_13select_configILj256ELj13ELNS0_17block_load_methodE3ELS4_3ELS4_3ELNS0_20block_scan_algorithmE0ELj4294967295EEENS1_25partition_config_selectorILNS1_17partition_subalgoE4EjNS0_10empty_typeEbEEZZNS1_14partition_implILS8_4ELb0ES6_15HIP_vector_typeIjLj2EENS0_17counting_iteratorIjlEEPS9_SG_NS0_5tupleIJPjSI_NS0_16reverse_iteratorISI_EEEEENSH_IJSG_SG_SG_EEES9_SI_JZNS1_25segmented_radix_sort_implINS0_14default_configELb0EPKhPhPKlPlN2at6native12_GLOBAL__N_18offset_tEEE10hipError_tPvRmT1_PNSt15iterator_traitsIS12_E10value_typeET2_T3_PNS13_IS18_E10value_typeET4_jRbjT5_S1E_jjP12ihipStream_tbEUljE_ZNSN_ISO_Lb0ESQ_SR_ST_SU_SY_EESZ_S10_S11_S12_S16_S17_S18_S1B_S1C_jS1D_jS1E_S1E_jjS1G_bEUljE0_EEESZ_S10_S11_S18_S1C_S1E_T6_T7_T9_mT8_S1G_bDpT10_ENKUlT_T0_E_clISt17integral_constantIbLb1EES1T_IbLb0EEEEDaS1P_S1Q_EUlS1P_E_NS1_11comp_targetILNS1_3genE10ELNS1_11target_archE1200ELNS1_3gpuE4ELNS1_3repE0EEENS1_30default_config_static_selectorELNS0_4arch9wavefront6targetE1EEEvS12_.num_vgpr, 0
	.set _ZN7rocprim17ROCPRIM_400000_NS6detail17trampoline_kernelINS0_13select_configILj256ELj13ELNS0_17block_load_methodE3ELS4_3ELS4_3ELNS0_20block_scan_algorithmE0ELj4294967295EEENS1_25partition_config_selectorILNS1_17partition_subalgoE4EjNS0_10empty_typeEbEEZZNS1_14partition_implILS8_4ELb0ES6_15HIP_vector_typeIjLj2EENS0_17counting_iteratorIjlEEPS9_SG_NS0_5tupleIJPjSI_NS0_16reverse_iteratorISI_EEEEENSH_IJSG_SG_SG_EEES9_SI_JZNS1_25segmented_radix_sort_implINS0_14default_configELb0EPKhPhPKlPlN2at6native12_GLOBAL__N_18offset_tEEE10hipError_tPvRmT1_PNSt15iterator_traitsIS12_E10value_typeET2_T3_PNS13_IS18_E10value_typeET4_jRbjT5_S1E_jjP12ihipStream_tbEUljE_ZNSN_ISO_Lb0ESQ_SR_ST_SU_SY_EESZ_S10_S11_S12_S16_S17_S18_S1B_S1C_jS1D_jS1E_S1E_jjS1G_bEUljE0_EEESZ_S10_S11_S18_S1C_S1E_T6_T7_T9_mT8_S1G_bDpT10_ENKUlT_T0_E_clISt17integral_constantIbLb1EES1T_IbLb0EEEEDaS1P_S1Q_EUlS1P_E_NS1_11comp_targetILNS1_3genE10ELNS1_11target_archE1200ELNS1_3gpuE4ELNS1_3repE0EEENS1_30default_config_static_selectorELNS0_4arch9wavefront6targetE1EEEvS12_.num_agpr, 0
	.set _ZN7rocprim17ROCPRIM_400000_NS6detail17trampoline_kernelINS0_13select_configILj256ELj13ELNS0_17block_load_methodE3ELS4_3ELS4_3ELNS0_20block_scan_algorithmE0ELj4294967295EEENS1_25partition_config_selectorILNS1_17partition_subalgoE4EjNS0_10empty_typeEbEEZZNS1_14partition_implILS8_4ELb0ES6_15HIP_vector_typeIjLj2EENS0_17counting_iteratorIjlEEPS9_SG_NS0_5tupleIJPjSI_NS0_16reverse_iteratorISI_EEEEENSH_IJSG_SG_SG_EEES9_SI_JZNS1_25segmented_radix_sort_implINS0_14default_configELb0EPKhPhPKlPlN2at6native12_GLOBAL__N_18offset_tEEE10hipError_tPvRmT1_PNSt15iterator_traitsIS12_E10value_typeET2_T3_PNS13_IS18_E10value_typeET4_jRbjT5_S1E_jjP12ihipStream_tbEUljE_ZNSN_ISO_Lb0ESQ_SR_ST_SU_SY_EESZ_S10_S11_S12_S16_S17_S18_S1B_S1C_jS1D_jS1E_S1E_jjS1G_bEUljE0_EEESZ_S10_S11_S18_S1C_S1E_T6_T7_T9_mT8_S1G_bDpT10_ENKUlT_T0_E_clISt17integral_constantIbLb1EES1T_IbLb0EEEEDaS1P_S1Q_EUlS1P_E_NS1_11comp_targetILNS1_3genE10ELNS1_11target_archE1200ELNS1_3gpuE4ELNS1_3repE0EEENS1_30default_config_static_selectorELNS0_4arch9wavefront6targetE1EEEvS12_.numbered_sgpr, 0
	.set _ZN7rocprim17ROCPRIM_400000_NS6detail17trampoline_kernelINS0_13select_configILj256ELj13ELNS0_17block_load_methodE3ELS4_3ELS4_3ELNS0_20block_scan_algorithmE0ELj4294967295EEENS1_25partition_config_selectorILNS1_17partition_subalgoE4EjNS0_10empty_typeEbEEZZNS1_14partition_implILS8_4ELb0ES6_15HIP_vector_typeIjLj2EENS0_17counting_iteratorIjlEEPS9_SG_NS0_5tupleIJPjSI_NS0_16reverse_iteratorISI_EEEEENSH_IJSG_SG_SG_EEES9_SI_JZNS1_25segmented_radix_sort_implINS0_14default_configELb0EPKhPhPKlPlN2at6native12_GLOBAL__N_18offset_tEEE10hipError_tPvRmT1_PNSt15iterator_traitsIS12_E10value_typeET2_T3_PNS13_IS18_E10value_typeET4_jRbjT5_S1E_jjP12ihipStream_tbEUljE_ZNSN_ISO_Lb0ESQ_SR_ST_SU_SY_EESZ_S10_S11_S12_S16_S17_S18_S1B_S1C_jS1D_jS1E_S1E_jjS1G_bEUljE0_EEESZ_S10_S11_S18_S1C_S1E_T6_T7_T9_mT8_S1G_bDpT10_ENKUlT_T0_E_clISt17integral_constantIbLb1EES1T_IbLb0EEEEDaS1P_S1Q_EUlS1P_E_NS1_11comp_targetILNS1_3genE10ELNS1_11target_archE1200ELNS1_3gpuE4ELNS1_3repE0EEENS1_30default_config_static_selectorELNS0_4arch9wavefront6targetE1EEEvS12_.num_named_barrier, 0
	.set _ZN7rocprim17ROCPRIM_400000_NS6detail17trampoline_kernelINS0_13select_configILj256ELj13ELNS0_17block_load_methodE3ELS4_3ELS4_3ELNS0_20block_scan_algorithmE0ELj4294967295EEENS1_25partition_config_selectorILNS1_17partition_subalgoE4EjNS0_10empty_typeEbEEZZNS1_14partition_implILS8_4ELb0ES6_15HIP_vector_typeIjLj2EENS0_17counting_iteratorIjlEEPS9_SG_NS0_5tupleIJPjSI_NS0_16reverse_iteratorISI_EEEEENSH_IJSG_SG_SG_EEES9_SI_JZNS1_25segmented_radix_sort_implINS0_14default_configELb0EPKhPhPKlPlN2at6native12_GLOBAL__N_18offset_tEEE10hipError_tPvRmT1_PNSt15iterator_traitsIS12_E10value_typeET2_T3_PNS13_IS18_E10value_typeET4_jRbjT5_S1E_jjP12ihipStream_tbEUljE_ZNSN_ISO_Lb0ESQ_SR_ST_SU_SY_EESZ_S10_S11_S12_S16_S17_S18_S1B_S1C_jS1D_jS1E_S1E_jjS1G_bEUljE0_EEESZ_S10_S11_S18_S1C_S1E_T6_T7_T9_mT8_S1G_bDpT10_ENKUlT_T0_E_clISt17integral_constantIbLb1EES1T_IbLb0EEEEDaS1P_S1Q_EUlS1P_E_NS1_11comp_targetILNS1_3genE10ELNS1_11target_archE1200ELNS1_3gpuE4ELNS1_3repE0EEENS1_30default_config_static_selectorELNS0_4arch9wavefront6targetE1EEEvS12_.private_seg_size, 0
	.set _ZN7rocprim17ROCPRIM_400000_NS6detail17trampoline_kernelINS0_13select_configILj256ELj13ELNS0_17block_load_methodE3ELS4_3ELS4_3ELNS0_20block_scan_algorithmE0ELj4294967295EEENS1_25partition_config_selectorILNS1_17partition_subalgoE4EjNS0_10empty_typeEbEEZZNS1_14partition_implILS8_4ELb0ES6_15HIP_vector_typeIjLj2EENS0_17counting_iteratorIjlEEPS9_SG_NS0_5tupleIJPjSI_NS0_16reverse_iteratorISI_EEEEENSH_IJSG_SG_SG_EEES9_SI_JZNS1_25segmented_radix_sort_implINS0_14default_configELb0EPKhPhPKlPlN2at6native12_GLOBAL__N_18offset_tEEE10hipError_tPvRmT1_PNSt15iterator_traitsIS12_E10value_typeET2_T3_PNS13_IS18_E10value_typeET4_jRbjT5_S1E_jjP12ihipStream_tbEUljE_ZNSN_ISO_Lb0ESQ_SR_ST_SU_SY_EESZ_S10_S11_S12_S16_S17_S18_S1B_S1C_jS1D_jS1E_S1E_jjS1G_bEUljE0_EEESZ_S10_S11_S18_S1C_S1E_T6_T7_T9_mT8_S1G_bDpT10_ENKUlT_T0_E_clISt17integral_constantIbLb1EES1T_IbLb0EEEEDaS1P_S1Q_EUlS1P_E_NS1_11comp_targetILNS1_3genE10ELNS1_11target_archE1200ELNS1_3gpuE4ELNS1_3repE0EEENS1_30default_config_static_selectorELNS0_4arch9wavefront6targetE1EEEvS12_.uses_vcc, 0
	.set _ZN7rocprim17ROCPRIM_400000_NS6detail17trampoline_kernelINS0_13select_configILj256ELj13ELNS0_17block_load_methodE3ELS4_3ELS4_3ELNS0_20block_scan_algorithmE0ELj4294967295EEENS1_25partition_config_selectorILNS1_17partition_subalgoE4EjNS0_10empty_typeEbEEZZNS1_14partition_implILS8_4ELb0ES6_15HIP_vector_typeIjLj2EENS0_17counting_iteratorIjlEEPS9_SG_NS0_5tupleIJPjSI_NS0_16reverse_iteratorISI_EEEEENSH_IJSG_SG_SG_EEES9_SI_JZNS1_25segmented_radix_sort_implINS0_14default_configELb0EPKhPhPKlPlN2at6native12_GLOBAL__N_18offset_tEEE10hipError_tPvRmT1_PNSt15iterator_traitsIS12_E10value_typeET2_T3_PNS13_IS18_E10value_typeET4_jRbjT5_S1E_jjP12ihipStream_tbEUljE_ZNSN_ISO_Lb0ESQ_SR_ST_SU_SY_EESZ_S10_S11_S12_S16_S17_S18_S1B_S1C_jS1D_jS1E_S1E_jjS1G_bEUljE0_EEESZ_S10_S11_S18_S1C_S1E_T6_T7_T9_mT8_S1G_bDpT10_ENKUlT_T0_E_clISt17integral_constantIbLb1EES1T_IbLb0EEEEDaS1P_S1Q_EUlS1P_E_NS1_11comp_targetILNS1_3genE10ELNS1_11target_archE1200ELNS1_3gpuE4ELNS1_3repE0EEENS1_30default_config_static_selectorELNS0_4arch9wavefront6targetE1EEEvS12_.uses_flat_scratch, 0
	.set _ZN7rocprim17ROCPRIM_400000_NS6detail17trampoline_kernelINS0_13select_configILj256ELj13ELNS0_17block_load_methodE3ELS4_3ELS4_3ELNS0_20block_scan_algorithmE0ELj4294967295EEENS1_25partition_config_selectorILNS1_17partition_subalgoE4EjNS0_10empty_typeEbEEZZNS1_14partition_implILS8_4ELb0ES6_15HIP_vector_typeIjLj2EENS0_17counting_iteratorIjlEEPS9_SG_NS0_5tupleIJPjSI_NS0_16reverse_iteratorISI_EEEEENSH_IJSG_SG_SG_EEES9_SI_JZNS1_25segmented_radix_sort_implINS0_14default_configELb0EPKhPhPKlPlN2at6native12_GLOBAL__N_18offset_tEEE10hipError_tPvRmT1_PNSt15iterator_traitsIS12_E10value_typeET2_T3_PNS13_IS18_E10value_typeET4_jRbjT5_S1E_jjP12ihipStream_tbEUljE_ZNSN_ISO_Lb0ESQ_SR_ST_SU_SY_EESZ_S10_S11_S12_S16_S17_S18_S1B_S1C_jS1D_jS1E_S1E_jjS1G_bEUljE0_EEESZ_S10_S11_S18_S1C_S1E_T6_T7_T9_mT8_S1G_bDpT10_ENKUlT_T0_E_clISt17integral_constantIbLb1EES1T_IbLb0EEEEDaS1P_S1Q_EUlS1P_E_NS1_11comp_targetILNS1_3genE10ELNS1_11target_archE1200ELNS1_3gpuE4ELNS1_3repE0EEENS1_30default_config_static_selectorELNS0_4arch9wavefront6targetE1EEEvS12_.has_dyn_sized_stack, 0
	.set _ZN7rocprim17ROCPRIM_400000_NS6detail17trampoline_kernelINS0_13select_configILj256ELj13ELNS0_17block_load_methodE3ELS4_3ELS4_3ELNS0_20block_scan_algorithmE0ELj4294967295EEENS1_25partition_config_selectorILNS1_17partition_subalgoE4EjNS0_10empty_typeEbEEZZNS1_14partition_implILS8_4ELb0ES6_15HIP_vector_typeIjLj2EENS0_17counting_iteratorIjlEEPS9_SG_NS0_5tupleIJPjSI_NS0_16reverse_iteratorISI_EEEEENSH_IJSG_SG_SG_EEES9_SI_JZNS1_25segmented_radix_sort_implINS0_14default_configELb0EPKhPhPKlPlN2at6native12_GLOBAL__N_18offset_tEEE10hipError_tPvRmT1_PNSt15iterator_traitsIS12_E10value_typeET2_T3_PNS13_IS18_E10value_typeET4_jRbjT5_S1E_jjP12ihipStream_tbEUljE_ZNSN_ISO_Lb0ESQ_SR_ST_SU_SY_EESZ_S10_S11_S12_S16_S17_S18_S1B_S1C_jS1D_jS1E_S1E_jjS1G_bEUljE0_EEESZ_S10_S11_S18_S1C_S1E_T6_T7_T9_mT8_S1G_bDpT10_ENKUlT_T0_E_clISt17integral_constantIbLb1EES1T_IbLb0EEEEDaS1P_S1Q_EUlS1P_E_NS1_11comp_targetILNS1_3genE10ELNS1_11target_archE1200ELNS1_3gpuE4ELNS1_3repE0EEENS1_30default_config_static_selectorELNS0_4arch9wavefront6targetE1EEEvS12_.has_recursion, 0
	.set _ZN7rocprim17ROCPRIM_400000_NS6detail17trampoline_kernelINS0_13select_configILj256ELj13ELNS0_17block_load_methodE3ELS4_3ELS4_3ELNS0_20block_scan_algorithmE0ELj4294967295EEENS1_25partition_config_selectorILNS1_17partition_subalgoE4EjNS0_10empty_typeEbEEZZNS1_14partition_implILS8_4ELb0ES6_15HIP_vector_typeIjLj2EENS0_17counting_iteratorIjlEEPS9_SG_NS0_5tupleIJPjSI_NS0_16reverse_iteratorISI_EEEEENSH_IJSG_SG_SG_EEES9_SI_JZNS1_25segmented_radix_sort_implINS0_14default_configELb0EPKhPhPKlPlN2at6native12_GLOBAL__N_18offset_tEEE10hipError_tPvRmT1_PNSt15iterator_traitsIS12_E10value_typeET2_T3_PNS13_IS18_E10value_typeET4_jRbjT5_S1E_jjP12ihipStream_tbEUljE_ZNSN_ISO_Lb0ESQ_SR_ST_SU_SY_EESZ_S10_S11_S12_S16_S17_S18_S1B_S1C_jS1D_jS1E_S1E_jjS1G_bEUljE0_EEESZ_S10_S11_S18_S1C_S1E_T6_T7_T9_mT8_S1G_bDpT10_ENKUlT_T0_E_clISt17integral_constantIbLb1EES1T_IbLb0EEEEDaS1P_S1Q_EUlS1P_E_NS1_11comp_targetILNS1_3genE10ELNS1_11target_archE1200ELNS1_3gpuE4ELNS1_3repE0EEENS1_30default_config_static_selectorELNS0_4arch9wavefront6targetE1EEEvS12_.has_indirect_call, 0
	.section	.AMDGPU.csdata,"",@progbits
; Kernel info:
; codeLenInByte = 0
; TotalNumSgprs: 4
; NumVgprs: 0
; ScratchSize: 0
; MemoryBound: 0
; FloatMode: 240
; IeeeMode: 1
; LDSByteSize: 0 bytes/workgroup (compile time only)
; SGPRBlocks: 0
; VGPRBlocks: 0
; NumSGPRsForWavesPerEU: 4
; NumVGPRsForWavesPerEU: 1
; Occupancy: 10
; WaveLimiterHint : 0
; COMPUTE_PGM_RSRC2:SCRATCH_EN: 0
; COMPUTE_PGM_RSRC2:USER_SGPR: 6
; COMPUTE_PGM_RSRC2:TRAP_HANDLER: 0
; COMPUTE_PGM_RSRC2:TGID_X_EN: 1
; COMPUTE_PGM_RSRC2:TGID_Y_EN: 0
; COMPUTE_PGM_RSRC2:TGID_Z_EN: 0
; COMPUTE_PGM_RSRC2:TIDIG_COMP_CNT: 0
	.section	.text._ZN7rocprim17ROCPRIM_400000_NS6detail17trampoline_kernelINS0_13select_configILj256ELj13ELNS0_17block_load_methodE3ELS4_3ELS4_3ELNS0_20block_scan_algorithmE0ELj4294967295EEENS1_25partition_config_selectorILNS1_17partition_subalgoE4EjNS0_10empty_typeEbEEZZNS1_14partition_implILS8_4ELb0ES6_15HIP_vector_typeIjLj2EENS0_17counting_iteratorIjlEEPS9_SG_NS0_5tupleIJPjSI_NS0_16reverse_iteratorISI_EEEEENSH_IJSG_SG_SG_EEES9_SI_JZNS1_25segmented_radix_sort_implINS0_14default_configELb0EPKhPhPKlPlN2at6native12_GLOBAL__N_18offset_tEEE10hipError_tPvRmT1_PNSt15iterator_traitsIS12_E10value_typeET2_T3_PNS13_IS18_E10value_typeET4_jRbjT5_S1E_jjP12ihipStream_tbEUljE_ZNSN_ISO_Lb0ESQ_SR_ST_SU_SY_EESZ_S10_S11_S12_S16_S17_S18_S1B_S1C_jS1D_jS1E_S1E_jjS1G_bEUljE0_EEESZ_S10_S11_S18_S1C_S1E_T6_T7_T9_mT8_S1G_bDpT10_ENKUlT_T0_E_clISt17integral_constantIbLb1EES1T_IbLb0EEEEDaS1P_S1Q_EUlS1P_E_NS1_11comp_targetILNS1_3genE9ELNS1_11target_archE1100ELNS1_3gpuE3ELNS1_3repE0EEENS1_30default_config_static_selectorELNS0_4arch9wavefront6targetE1EEEvS12_,"axG",@progbits,_ZN7rocprim17ROCPRIM_400000_NS6detail17trampoline_kernelINS0_13select_configILj256ELj13ELNS0_17block_load_methodE3ELS4_3ELS4_3ELNS0_20block_scan_algorithmE0ELj4294967295EEENS1_25partition_config_selectorILNS1_17partition_subalgoE4EjNS0_10empty_typeEbEEZZNS1_14partition_implILS8_4ELb0ES6_15HIP_vector_typeIjLj2EENS0_17counting_iteratorIjlEEPS9_SG_NS0_5tupleIJPjSI_NS0_16reverse_iteratorISI_EEEEENSH_IJSG_SG_SG_EEES9_SI_JZNS1_25segmented_radix_sort_implINS0_14default_configELb0EPKhPhPKlPlN2at6native12_GLOBAL__N_18offset_tEEE10hipError_tPvRmT1_PNSt15iterator_traitsIS12_E10value_typeET2_T3_PNS13_IS18_E10value_typeET4_jRbjT5_S1E_jjP12ihipStream_tbEUljE_ZNSN_ISO_Lb0ESQ_SR_ST_SU_SY_EESZ_S10_S11_S12_S16_S17_S18_S1B_S1C_jS1D_jS1E_S1E_jjS1G_bEUljE0_EEESZ_S10_S11_S18_S1C_S1E_T6_T7_T9_mT8_S1G_bDpT10_ENKUlT_T0_E_clISt17integral_constantIbLb1EES1T_IbLb0EEEEDaS1P_S1Q_EUlS1P_E_NS1_11comp_targetILNS1_3genE9ELNS1_11target_archE1100ELNS1_3gpuE3ELNS1_3repE0EEENS1_30default_config_static_selectorELNS0_4arch9wavefront6targetE1EEEvS12_,comdat
	.globl	_ZN7rocprim17ROCPRIM_400000_NS6detail17trampoline_kernelINS0_13select_configILj256ELj13ELNS0_17block_load_methodE3ELS4_3ELS4_3ELNS0_20block_scan_algorithmE0ELj4294967295EEENS1_25partition_config_selectorILNS1_17partition_subalgoE4EjNS0_10empty_typeEbEEZZNS1_14partition_implILS8_4ELb0ES6_15HIP_vector_typeIjLj2EENS0_17counting_iteratorIjlEEPS9_SG_NS0_5tupleIJPjSI_NS0_16reverse_iteratorISI_EEEEENSH_IJSG_SG_SG_EEES9_SI_JZNS1_25segmented_radix_sort_implINS0_14default_configELb0EPKhPhPKlPlN2at6native12_GLOBAL__N_18offset_tEEE10hipError_tPvRmT1_PNSt15iterator_traitsIS12_E10value_typeET2_T3_PNS13_IS18_E10value_typeET4_jRbjT5_S1E_jjP12ihipStream_tbEUljE_ZNSN_ISO_Lb0ESQ_SR_ST_SU_SY_EESZ_S10_S11_S12_S16_S17_S18_S1B_S1C_jS1D_jS1E_S1E_jjS1G_bEUljE0_EEESZ_S10_S11_S18_S1C_S1E_T6_T7_T9_mT8_S1G_bDpT10_ENKUlT_T0_E_clISt17integral_constantIbLb1EES1T_IbLb0EEEEDaS1P_S1Q_EUlS1P_E_NS1_11comp_targetILNS1_3genE9ELNS1_11target_archE1100ELNS1_3gpuE3ELNS1_3repE0EEENS1_30default_config_static_selectorELNS0_4arch9wavefront6targetE1EEEvS12_ ; -- Begin function _ZN7rocprim17ROCPRIM_400000_NS6detail17trampoline_kernelINS0_13select_configILj256ELj13ELNS0_17block_load_methodE3ELS4_3ELS4_3ELNS0_20block_scan_algorithmE0ELj4294967295EEENS1_25partition_config_selectorILNS1_17partition_subalgoE4EjNS0_10empty_typeEbEEZZNS1_14partition_implILS8_4ELb0ES6_15HIP_vector_typeIjLj2EENS0_17counting_iteratorIjlEEPS9_SG_NS0_5tupleIJPjSI_NS0_16reverse_iteratorISI_EEEEENSH_IJSG_SG_SG_EEES9_SI_JZNS1_25segmented_radix_sort_implINS0_14default_configELb0EPKhPhPKlPlN2at6native12_GLOBAL__N_18offset_tEEE10hipError_tPvRmT1_PNSt15iterator_traitsIS12_E10value_typeET2_T3_PNS13_IS18_E10value_typeET4_jRbjT5_S1E_jjP12ihipStream_tbEUljE_ZNSN_ISO_Lb0ESQ_SR_ST_SU_SY_EESZ_S10_S11_S12_S16_S17_S18_S1B_S1C_jS1D_jS1E_S1E_jjS1G_bEUljE0_EEESZ_S10_S11_S18_S1C_S1E_T6_T7_T9_mT8_S1G_bDpT10_ENKUlT_T0_E_clISt17integral_constantIbLb1EES1T_IbLb0EEEEDaS1P_S1Q_EUlS1P_E_NS1_11comp_targetILNS1_3genE9ELNS1_11target_archE1100ELNS1_3gpuE3ELNS1_3repE0EEENS1_30default_config_static_selectorELNS0_4arch9wavefront6targetE1EEEvS12_
	.p2align	8
	.type	_ZN7rocprim17ROCPRIM_400000_NS6detail17trampoline_kernelINS0_13select_configILj256ELj13ELNS0_17block_load_methodE3ELS4_3ELS4_3ELNS0_20block_scan_algorithmE0ELj4294967295EEENS1_25partition_config_selectorILNS1_17partition_subalgoE4EjNS0_10empty_typeEbEEZZNS1_14partition_implILS8_4ELb0ES6_15HIP_vector_typeIjLj2EENS0_17counting_iteratorIjlEEPS9_SG_NS0_5tupleIJPjSI_NS0_16reverse_iteratorISI_EEEEENSH_IJSG_SG_SG_EEES9_SI_JZNS1_25segmented_radix_sort_implINS0_14default_configELb0EPKhPhPKlPlN2at6native12_GLOBAL__N_18offset_tEEE10hipError_tPvRmT1_PNSt15iterator_traitsIS12_E10value_typeET2_T3_PNS13_IS18_E10value_typeET4_jRbjT5_S1E_jjP12ihipStream_tbEUljE_ZNSN_ISO_Lb0ESQ_SR_ST_SU_SY_EESZ_S10_S11_S12_S16_S17_S18_S1B_S1C_jS1D_jS1E_S1E_jjS1G_bEUljE0_EEESZ_S10_S11_S18_S1C_S1E_T6_T7_T9_mT8_S1G_bDpT10_ENKUlT_T0_E_clISt17integral_constantIbLb1EES1T_IbLb0EEEEDaS1P_S1Q_EUlS1P_E_NS1_11comp_targetILNS1_3genE9ELNS1_11target_archE1100ELNS1_3gpuE3ELNS1_3repE0EEENS1_30default_config_static_selectorELNS0_4arch9wavefront6targetE1EEEvS12_,@function
_ZN7rocprim17ROCPRIM_400000_NS6detail17trampoline_kernelINS0_13select_configILj256ELj13ELNS0_17block_load_methodE3ELS4_3ELS4_3ELNS0_20block_scan_algorithmE0ELj4294967295EEENS1_25partition_config_selectorILNS1_17partition_subalgoE4EjNS0_10empty_typeEbEEZZNS1_14partition_implILS8_4ELb0ES6_15HIP_vector_typeIjLj2EENS0_17counting_iteratorIjlEEPS9_SG_NS0_5tupleIJPjSI_NS0_16reverse_iteratorISI_EEEEENSH_IJSG_SG_SG_EEES9_SI_JZNS1_25segmented_radix_sort_implINS0_14default_configELb0EPKhPhPKlPlN2at6native12_GLOBAL__N_18offset_tEEE10hipError_tPvRmT1_PNSt15iterator_traitsIS12_E10value_typeET2_T3_PNS13_IS18_E10value_typeET4_jRbjT5_S1E_jjP12ihipStream_tbEUljE_ZNSN_ISO_Lb0ESQ_SR_ST_SU_SY_EESZ_S10_S11_S12_S16_S17_S18_S1B_S1C_jS1D_jS1E_S1E_jjS1G_bEUljE0_EEESZ_S10_S11_S18_S1C_S1E_T6_T7_T9_mT8_S1G_bDpT10_ENKUlT_T0_E_clISt17integral_constantIbLb1EES1T_IbLb0EEEEDaS1P_S1Q_EUlS1P_E_NS1_11comp_targetILNS1_3genE9ELNS1_11target_archE1100ELNS1_3gpuE3ELNS1_3repE0EEENS1_30default_config_static_selectorELNS0_4arch9wavefront6targetE1EEEvS12_: ; @_ZN7rocprim17ROCPRIM_400000_NS6detail17trampoline_kernelINS0_13select_configILj256ELj13ELNS0_17block_load_methodE3ELS4_3ELS4_3ELNS0_20block_scan_algorithmE0ELj4294967295EEENS1_25partition_config_selectorILNS1_17partition_subalgoE4EjNS0_10empty_typeEbEEZZNS1_14partition_implILS8_4ELb0ES6_15HIP_vector_typeIjLj2EENS0_17counting_iteratorIjlEEPS9_SG_NS0_5tupleIJPjSI_NS0_16reverse_iteratorISI_EEEEENSH_IJSG_SG_SG_EEES9_SI_JZNS1_25segmented_radix_sort_implINS0_14default_configELb0EPKhPhPKlPlN2at6native12_GLOBAL__N_18offset_tEEE10hipError_tPvRmT1_PNSt15iterator_traitsIS12_E10value_typeET2_T3_PNS13_IS18_E10value_typeET4_jRbjT5_S1E_jjP12ihipStream_tbEUljE_ZNSN_ISO_Lb0ESQ_SR_ST_SU_SY_EESZ_S10_S11_S12_S16_S17_S18_S1B_S1C_jS1D_jS1E_S1E_jjS1G_bEUljE0_EEESZ_S10_S11_S18_S1C_S1E_T6_T7_T9_mT8_S1G_bDpT10_ENKUlT_T0_E_clISt17integral_constantIbLb1EES1T_IbLb0EEEEDaS1P_S1Q_EUlS1P_E_NS1_11comp_targetILNS1_3genE9ELNS1_11target_archE1100ELNS1_3gpuE3ELNS1_3repE0EEENS1_30default_config_static_selectorELNS0_4arch9wavefront6targetE1EEEvS12_
; %bb.0:
	.section	.rodata,"a",@progbits
	.p2align	6, 0x0
	.amdhsa_kernel _ZN7rocprim17ROCPRIM_400000_NS6detail17trampoline_kernelINS0_13select_configILj256ELj13ELNS0_17block_load_methodE3ELS4_3ELS4_3ELNS0_20block_scan_algorithmE0ELj4294967295EEENS1_25partition_config_selectorILNS1_17partition_subalgoE4EjNS0_10empty_typeEbEEZZNS1_14partition_implILS8_4ELb0ES6_15HIP_vector_typeIjLj2EENS0_17counting_iteratorIjlEEPS9_SG_NS0_5tupleIJPjSI_NS0_16reverse_iteratorISI_EEEEENSH_IJSG_SG_SG_EEES9_SI_JZNS1_25segmented_radix_sort_implINS0_14default_configELb0EPKhPhPKlPlN2at6native12_GLOBAL__N_18offset_tEEE10hipError_tPvRmT1_PNSt15iterator_traitsIS12_E10value_typeET2_T3_PNS13_IS18_E10value_typeET4_jRbjT5_S1E_jjP12ihipStream_tbEUljE_ZNSN_ISO_Lb0ESQ_SR_ST_SU_SY_EESZ_S10_S11_S12_S16_S17_S18_S1B_S1C_jS1D_jS1E_S1E_jjS1G_bEUljE0_EEESZ_S10_S11_S18_S1C_S1E_T6_T7_T9_mT8_S1G_bDpT10_ENKUlT_T0_E_clISt17integral_constantIbLb1EES1T_IbLb0EEEEDaS1P_S1Q_EUlS1P_E_NS1_11comp_targetILNS1_3genE9ELNS1_11target_archE1100ELNS1_3gpuE3ELNS1_3repE0EEENS1_30default_config_static_selectorELNS0_4arch9wavefront6targetE1EEEvS12_
		.amdhsa_group_segment_fixed_size 0
		.amdhsa_private_segment_fixed_size 0
		.amdhsa_kernarg_size 176
		.amdhsa_user_sgpr_count 6
		.amdhsa_user_sgpr_private_segment_buffer 1
		.amdhsa_user_sgpr_dispatch_ptr 0
		.amdhsa_user_sgpr_queue_ptr 0
		.amdhsa_user_sgpr_kernarg_segment_ptr 1
		.amdhsa_user_sgpr_dispatch_id 0
		.amdhsa_user_sgpr_flat_scratch_init 0
		.amdhsa_user_sgpr_private_segment_size 0
		.amdhsa_uses_dynamic_stack 0
		.amdhsa_system_sgpr_private_segment_wavefront_offset 0
		.amdhsa_system_sgpr_workgroup_id_x 1
		.amdhsa_system_sgpr_workgroup_id_y 0
		.amdhsa_system_sgpr_workgroup_id_z 0
		.amdhsa_system_sgpr_workgroup_info 0
		.amdhsa_system_vgpr_workitem_id 0
		.amdhsa_next_free_vgpr 1
		.amdhsa_next_free_sgpr 0
		.amdhsa_reserve_vcc 0
		.amdhsa_reserve_flat_scratch 0
		.amdhsa_float_round_mode_32 0
		.amdhsa_float_round_mode_16_64 0
		.amdhsa_float_denorm_mode_32 3
		.amdhsa_float_denorm_mode_16_64 3
		.amdhsa_dx10_clamp 1
		.amdhsa_ieee_mode 1
		.amdhsa_fp16_overflow 0
		.amdhsa_exception_fp_ieee_invalid_op 0
		.amdhsa_exception_fp_denorm_src 0
		.amdhsa_exception_fp_ieee_div_zero 0
		.amdhsa_exception_fp_ieee_overflow 0
		.amdhsa_exception_fp_ieee_underflow 0
		.amdhsa_exception_fp_ieee_inexact 0
		.amdhsa_exception_int_div_zero 0
	.end_amdhsa_kernel
	.section	.text._ZN7rocprim17ROCPRIM_400000_NS6detail17trampoline_kernelINS0_13select_configILj256ELj13ELNS0_17block_load_methodE3ELS4_3ELS4_3ELNS0_20block_scan_algorithmE0ELj4294967295EEENS1_25partition_config_selectorILNS1_17partition_subalgoE4EjNS0_10empty_typeEbEEZZNS1_14partition_implILS8_4ELb0ES6_15HIP_vector_typeIjLj2EENS0_17counting_iteratorIjlEEPS9_SG_NS0_5tupleIJPjSI_NS0_16reverse_iteratorISI_EEEEENSH_IJSG_SG_SG_EEES9_SI_JZNS1_25segmented_radix_sort_implINS0_14default_configELb0EPKhPhPKlPlN2at6native12_GLOBAL__N_18offset_tEEE10hipError_tPvRmT1_PNSt15iterator_traitsIS12_E10value_typeET2_T3_PNS13_IS18_E10value_typeET4_jRbjT5_S1E_jjP12ihipStream_tbEUljE_ZNSN_ISO_Lb0ESQ_SR_ST_SU_SY_EESZ_S10_S11_S12_S16_S17_S18_S1B_S1C_jS1D_jS1E_S1E_jjS1G_bEUljE0_EEESZ_S10_S11_S18_S1C_S1E_T6_T7_T9_mT8_S1G_bDpT10_ENKUlT_T0_E_clISt17integral_constantIbLb1EES1T_IbLb0EEEEDaS1P_S1Q_EUlS1P_E_NS1_11comp_targetILNS1_3genE9ELNS1_11target_archE1100ELNS1_3gpuE3ELNS1_3repE0EEENS1_30default_config_static_selectorELNS0_4arch9wavefront6targetE1EEEvS12_,"axG",@progbits,_ZN7rocprim17ROCPRIM_400000_NS6detail17trampoline_kernelINS0_13select_configILj256ELj13ELNS0_17block_load_methodE3ELS4_3ELS4_3ELNS0_20block_scan_algorithmE0ELj4294967295EEENS1_25partition_config_selectorILNS1_17partition_subalgoE4EjNS0_10empty_typeEbEEZZNS1_14partition_implILS8_4ELb0ES6_15HIP_vector_typeIjLj2EENS0_17counting_iteratorIjlEEPS9_SG_NS0_5tupleIJPjSI_NS0_16reverse_iteratorISI_EEEEENSH_IJSG_SG_SG_EEES9_SI_JZNS1_25segmented_radix_sort_implINS0_14default_configELb0EPKhPhPKlPlN2at6native12_GLOBAL__N_18offset_tEEE10hipError_tPvRmT1_PNSt15iterator_traitsIS12_E10value_typeET2_T3_PNS13_IS18_E10value_typeET4_jRbjT5_S1E_jjP12ihipStream_tbEUljE_ZNSN_ISO_Lb0ESQ_SR_ST_SU_SY_EESZ_S10_S11_S12_S16_S17_S18_S1B_S1C_jS1D_jS1E_S1E_jjS1G_bEUljE0_EEESZ_S10_S11_S18_S1C_S1E_T6_T7_T9_mT8_S1G_bDpT10_ENKUlT_T0_E_clISt17integral_constantIbLb1EES1T_IbLb0EEEEDaS1P_S1Q_EUlS1P_E_NS1_11comp_targetILNS1_3genE9ELNS1_11target_archE1100ELNS1_3gpuE3ELNS1_3repE0EEENS1_30default_config_static_selectorELNS0_4arch9wavefront6targetE1EEEvS12_,comdat
.Lfunc_end144:
	.size	_ZN7rocprim17ROCPRIM_400000_NS6detail17trampoline_kernelINS0_13select_configILj256ELj13ELNS0_17block_load_methodE3ELS4_3ELS4_3ELNS0_20block_scan_algorithmE0ELj4294967295EEENS1_25partition_config_selectorILNS1_17partition_subalgoE4EjNS0_10empty_typeEbEEZZNS1_14partition_implILS8_4ELb0ES6_15HIP_vector_typeIjLj2EENS0_17counting_iteratorIjlEEPS9_SG_NS0_5tupleIJPjSI_NS0_16reverse_iteratorISI_EEEEENSH_IJSG_SG_SG_EEES9_SI_JZNS1_25segmented_radix_sort_implINS0_14default_configELb0EPKhPhPKlPlN2at6native12_GLOBAL__N_18offset_tEEE10hipError_tPvRmT1_PNSt15iterator_traitsIS12_E10value_typeET2_T3_PNS13_IS18_E10value_typeET4_jRbjT5_S1E_jjP12ihipStream_tbEUljE_ZNSN_ISO_Lb0ESQ_SR_ST_SU_SY_EESZ_S10_S11_S12_S16_S17_S18_S1B_S1C_jS1D_jS1E_S1E_jjS1G_bEUljE0_EEESZ_S10_S11_S18_S1C_S1E_T6_T7_T9_mT8_S1G_bDpT10_ENKUlT_T0_E_clISt17integral_constantIbLb1EES1T_IbLb0EEEEDaS1P_S1Q_EUlS1P_E_NS1_11comp_targetILNS1_3genE9ELNS1_11target_archE1100ELNS1_3gpuE3ELNS1_3repE0EEENS1_30default_config_static_selectorELNS0_4arch9wavefront6targetE1EEEvS12_, .Lfunc_end144-_ZN7rocprim17ROCPRIM_400000_NS6detail17trampoline_kernelINS0_13select_configILj256ELj13ELNS0_17block_load_methodE3ELS4_3ELS4_3ELNS0_20block_scan_algorithmE0ELj4294967295EEENS1_25partition_config_selectorILNS1_17partition_subalgoE4EjNS0_10empty_typeEbEEZZNS1_14partition_implILS8_4ELb0ES6_15HIP_vector_typeIjLj2EENS0_17counting_iteratorIjlEEPS9_SG_NS0_5tupleIJPjSI_NS0_16reverse_iteratorISI_EEEEENSH_IJSG_SG_SG_EEES9_SI_JZNS1_25segmented_radix_sort_implINS0_14default_configELb0EPKhPhPKlPlN2at6native12_GLOBAL__N_18offset_tEEE10hipError_tPvRmT1_PNSt15iterator_traitsIS12_E10value_typeET2_T3_PNS13_IS18_E10value_typeET4_jRbjT5_S1E_jjP12ihipStream_tbEUljE_ZNSN_ISO_Lb0ESQ_SR_ST_SU_SY_EESZ_S10_S11_S12_S16_S17_S18_S1B_S1C_jS1D_jS1E_S1E_jjS1G_bEUljE0_EEESZ_S10_S11_S18_S1C_S1E_T6_T7_T9_mT8_S1G_bDpT10_ENKUlT_T0_E_clISt17integral_constantIbLb1EES1T_IbLb0EEEEDaS1P_S1Q_EUlS1P_E_NS1_11comp_targetILNS1_3genE9ELNS1_11target_archE1100ELNS1_3gpuE3ELNS1_3repE0EEENS1_30default_config_static_selectorELNS0_4arch9wavefront6targetE1EEEvS12_
                                        ; -- End function
	.set _ZN7rocprim17ROCPRIM_400000_NS6detail17trampoline_kernelINS0_13select_configILj256ELj13ELNS0_17block_load_methodE3ELS4_3ELS4_3ELNS0_20block_scan_algorithmE0ELj4294967295EEENS1_25partition_config_selectorILNS1_17partition_subalgoE4EjNS0_10empty_typeEbEEZZNS1_14partition_implILS8_4ELb0ES6_15HIP_vector_typeIjLj2EENS0_17counting_iteratorIjlEEPS9_SG_NS0_5tupleIJPjSI_NS0_16reverse_iteratorISI_EEEEENSH_IJSG_SG_SG_EEES9_SI_JZNS1_25segmented_radix_sort_implINS0_14default_configELb0EPKhPhPKlPlN2at6native12_GLOBAL__N_18offset_tEEE10hipError_tPvRmT1_PNSt15iterator_traitsIS12_E10value_typeET2_T3_PNS13_IS18_E10value_typeET4_jRbjT5_S1E_jjP12ihipStream_tbEUljE_ZNSN_ISO_Lb0ESQ_SR_ST_SU_SY_EESZ_S10_S11_S12_S16_S17_S18_S1B_S1C_jS1D_jS1E_S1E_jjS1G_bEUljE0_EEESZ_S10_S11_S18_S1C_S1E_T6_T7_T9_mT8_S1G_bDpT10_ENKUlT_T0_E_clISt17integral_constantIbLb1EES1T_IbLb0EEEEDaS1P_S1Q_EUlS1P_E_NS1_11comp_targetILNS1_3genE9ELNS1_11target_archE1100ELNS1_3gpuE3ELNS1_3repE0EEENS1_30default_config_static_selectorELNS0_4arch9wavefront6targetE1EEEvS12_.num_vgpr, 0
	.set _ZN7rocprim17ROCPRIM_400000_NS6detail17trampoline_kernelINS0_13select_configILj256ELj13ELNS0_17block_load_methodE3ELS4_3ELS4_3ELNS0_20block_scan_algorithmE0ELj4294967295EEENS1_25partition_config_selectorILNS1_17partition_subalgoE4EjNS0_10empty_typeEbEEZZNS1_14partition_implILS8_4ELb0ES6_15HIP_vector_typeIjLj2EENS0_17counting_iteratorIjlEEPS9_SG_NS0_5tupleIJPjSI_NS0_16reverse_iteratorISI_EEEEENSH_IJSG_SG_SG_EEES9_SI_JZNS1_25segmented_radix_sort_implINS0_14default_configELb0EPKhPhPKlPlN2at6native12_GLOBAL__N_18offset_tEEE10hipError_tPvRmT1_PNSt15iterator_traitsIS12_E10value_typeET2_T3_PNS13_IS18_E10value_typeET4_jRbjT5_S1E_jjP12ihipStream_tbEUljE_ZNSN_ISO_Lb0ESQ_SR_ST_SU_SY_EESZ_S10_S11_S12_S16_S17_S18_S1B_S1C_jS1D_jS1E_S1E_jjS1G_bEUljE0_EEESZ_S10_S11_S18_S1C_S1E_T6_T7_T9_mT8_S1G_bDpT10_ENKUlT_T0_E_clISt17integral_constantIbLb1EES1T_IbLb0EEEEDaS1P_S1Q_EUlS1P_E_NS1_11comp_targetILNS1_3genE9ELNS1_11target_archE1100ELNS1_3gpuE3ELNS1_3repE0EEENS1_30default_config_static_selectorELNS0_4arch9wavefront6targetE1EEEvS12_.num_agpr, 0
	.set _ZN7rocprim17ROCPRIM_400000_NS6detail17trampoline_kernelINS0_13select_configILj256ELj13ELNS0_17block_load_methodE3ELS4_3ELS4_3ELNS0_20block_scan_algorithmE0ELj4294967295EEENS1_25partition_config_selectorILNS1_17partition_subalgoE4EjNS0_10empty_typeEbEEZZNS1_14partition_implILS8_4ELb0ES6_15HIP_vector_typeIjLj2EENS0_17counting_iteratorIjlEEPS9_SG_NS0_5tupleIJPjSI_NS0_16reverse_iteratorISI_EEEEENSH_IJSG_SG_SG_EEES9_SI_JZNS1_25segmented_radix_sort_implINS0_14default_configELb0EPKhPhPKlPlN2at6native12_GLOBAL__N_18offset_tEEE10hipError_tPvRmT1_PNSt15iterator_traitsIS12_E10value_typeET2_T3_PNS13_IS18_E10value_typeET4_jRbjT5_S1E_jjP12ihipStream_tbEUljE_ZNSN_ISO_Lb0ESQ_SR_ST_SU_SY_EESZ_S10_S11_S12_S16_S17_S18_S1B_S1C_jS1D_jS1E_S1E_jjS1G_bEUljE0_EEESZ_S10_S11_S18_S1C_S1E_T6_T7_T9_mT8_S1G_bDpT10_ENKUlT_T0_E_clISt17integral_constantIbLb1EES1T_IbLb0EEEEDaS1P_S1Q_EUlS1P_E_NS1_11comp_targetILNS1_3genE9ELNS1_11target_archE1100ELNS1_3gpuE3ELNS1_3repE0EEENS1_30default_config_static_selectorELNS0_4arch9wavefront6targetE1EEEvS12_.numbered_sgpr, 0
	.set _ZN7rocprim17ROCPRIM_400000_NS6detail17trampoline_kernelINS0_13select_configILj256ELj13ELNS0_17block_load_methodE3ELS4_3ELS4_3ELNS0_20block_scan_algorithmE0ELj4294967295EEENS1_25partition_config_selectorILNS1_17partition_subalgoE4EjNS0_10empty_typeEbEEZZNS1_14partition_implILS8_4ELb0ES6_15HIP_vector_typeIjLj2EENS0_17counting_iteratorIjlEEPS9_SG_NS0_5tupleIJPjSI_NS0_16reverse_iteratorISI_EEEEENSH_IJSG_SG_SG_EEES9_SI_JZNS1_25segmented_radix_sort_implINS0_14default_configELb0EPKhPhPKlPlN2at6native12_GLOBAL__N_18offset_tEEE10hipError_tPvRmT1_PNSt15iterator_traitsIS12_E10value_typeET2_T3_PNS13_IS18_E10value_typeET4_jRbjT5_S1E_jjP12ihipStream_tbEUljE_ZNSN_ISO_Lb0ESQ_SR_ST_SU_SY_EESZ_S10_S11_S12_S16_S17_S18_S1B_S1C_jS1D_jS1E_S1E_jjS1G_bEUljE0_EEESZ_S10_S11_S18_S1C_S1E_T6_T7_T9_mT8_S1G_bDpT10_ENKUlT_T0_E_clISt17integral_constantIbLb1EES1T_IbLb0EEEEDaS1P_S1Q_EUlS1P_E_NS1_11comp_targetILNS1_3genE9ELNS1_11target_archE1100ELNS1_3gpuE3ELNS1_3repE0EEENS1_30default_config_static_selectorELNS0_4arch9wavefront6targetE1EEEvS12_.num_named_barrier, 0
	.set _ZN7rocprim17ROCPRIM_400000_NS6detail17trampoline_kernelINS0_13select_configILj256ELj13ELNS0_17block_load_methodE3ELS4_3ELS4_3ELNS0_20block_scan_algorithmE0ELj4294967295EEENS1_25partition_config_selectorILNS1_17partition_subalgoE4EjNS0_10empty_typeEbEEZZNS1_14partition_implILS8_4ELb0ES6_15HIP_vector_typeIjLj2EENS0_17counting_iteratorIjlEEPS9_SG_NS0_5tupleIJPjSI_NS0_16reverse_iteratorISI_EEEEENSH_IJSG_SG_SG_EEES9_SI_JZNS1_25segmented_radix_sort_implINS0_14default_configELb0EPKhPhPKlPlN2at6native12_GLOBAL__N_18offset_tEEE10hipError_tPvRmT1_PNSt15iterator_traitsIS12_E10value_typeET2_T3_PNS13_IS18_E10value_typeET4_jRbjT5_S1E_jjP12ihipStream_tbEUljE_ZNSN_ISO_Lb0ESQ_SR_ST_SU_SY_EESZ_S10_S11_S12_S16_S17_S18_S1B_S1C_jS1D_jS1E_S1E_jjS1G_bEUljE0_EEESZ_S10_S11_S18_S1C_S1E_T6_T7_T9_mT8_S1G_bDpT10_ENKUlT_T0_E_clISt17integral_constantIbLb1EES1T_IbLb0EEEEDaS1P_S1Q_EUlS1P_E_NS1_11comp_targetILNS1_3genE9ELNS1_11target_archE1100ELNS1_3gpuE3ELNS1_3repE0EEENS1_30default_config_static_selectorELNS0_4arch9wavefront6targetE1EEEvS12_.private_seg_size, 0
	.set _ZN7rocprim17ROCPRIM_400000_NS6detail17trampoline_kernelINS0_13select_configILj256ELj13ELNS0_17block_load_methodE3ELS4_3ELS4_3ELNS0_20block_scan_algorithmE0ELj4294967295EEENS1_25partition_config_selectorILNS1_17partition_subalgoE4EjNS0_10empty_typeEbEEZZNS1_14partition_implILS8_4ELb0ES6_15HIP_vector_typeIjLj2EENS0_17counting_iteratorIjlEEPS9_SG_NS0_5tupleIJPjSI_NS0_16reverse_iteratorISI_EEEEENSH_IJSG_SG_SG_EEES9_SI_JZNS1_25segmented_radix_sort_implINS0_14default_configELb0EPKhPhPKlPlN2at6native12_GLOBAL__N_18offset_tEEE10hipError_tPvRmT1_PNSt15iterator_traitsIS12_E10value_typeET2_T3_PNS13_IS18_E10value_typeET4_jRbjT5_S1E_jjP12ihipStream_tbEUljE_ZNSN_ISO_Lb0ESQ_SR_ST_SU_SY_EESZ_S10_S11_S12_S16_S17_S18_S1B_S1C_jS1D_jS1E_S1E_jjS1G_bEUljE0_EEESZ_S10_S11_S18_S1C_S1E_T6_T7_T9_mT8_S1G_bDpT10_ENKUlT_T0_E_clISt17integral_constantIbLb1EES1T_IbLb0EEEEDaS1P_S1Q_EUlS1P_E_NS1_11comp_targetILNS1_3genE9ELNS1_11target_archE1100ELNS1_3gpuE3ELNS1_3repE0EEENS1_30default_config_static_selectorELNS0_4arch9wavefront6targetE1EEEvS12_.uses_vcc, 0
	.set _ZN7rocprim17ROCPRIM_400000_NS6detail17trampoline_kernelINS0_13select_configILj256ELj13ELNS0_17block_load_methodE3ELS4_3ELS4_3ELNS0_20block_scan_algorithmE0ELj4294967295EEENS1_25partition_config_selectorILNS1_17partition_subalgoE4EjNS0_10empty_typeEbEEZZNS1_14partition_implILS8_4ELb0ES6_15HIP_vector_typeIjLj2EENS0_17counting_iteratorIjlEEPS9_SG_NS0_5tupleIJPjSI_NS0_16reverse_iteratorISI_EEEEENSH_IJSG_SG_SG_EEES9_SI_JZNS1_25segmented_radix_sort_implINS0_14default_configELb0EPKhPhPKlPlN2at6native12_GLOBAL__N_18offset_tEEE10hipError_tPvRmT1_PNSt15iterator_traitsIS12_E10value_typeET2_T3_PNS13_IS18_E10value_typeET4_jRbjT5_S1E_jjP12ihipStream_tbEUljE_ZNSN_ISO_Lb0ESQ_SR_ST_SU_SY_EESZ_S10_S11_S12_S16_S17_S18_S1B_S1C_jS1D_jS1E_S1E_jjS1G_bEUljE0_EEESZ_S10_S11_S18_S1C_S1E_T6_T7_T9_mT8_S1G_bDpT10_ENKUlT_T0_E_clISt17integral_constantIbLb1EES1T_IbLb0EEEEDaS1P_S1Q_EUlS1P_E_NS1_11comp_targetILNS1_3genE9ELNS1_11target_archE1100ELNS1_3gpuE3ELNS1_3repE0EEENS1_30default_config_static_selectorELNS0_4arch9wavefront6targetE1EEEvS12_.uses_flat_scratch, 0
	.set _ZN7rocprim17ROCPRIM_400000_NS6detail17trampoline_kernelINS0_13select_configILj256ELj13ELNS0_17block_load_methodE3ELS4_3ELS4_3ELNS0_20block_scan_algorithmE0ELj4294967295EEENS1_25partition_config_selectorILNS1_17partition_subalgoE4EjNS0_10empty_typeEbEEZZNS1_14partition_implILS8_4ELb0ES6_15HIP_vector_typeIjLj2EENS0_17counting_iteratorIjlEEPS9_SG_NS0_5tupleIJPjSI_NS0_16reverse_iteratorISI_EEEEENSH_IJSG_SG_SG_EEES9_SI_JZNS1_25segmented_radix_sort_implINS0_14default_configELb0EPKhPhPKlPlN2at6native12_GLOBAL__N_18offset_tEEE10hipError_tPvRmT1_PNSt15iterator_traitsIS12_E10value_typeET2_T3_PNS13_IS18_E10value_typeET4_jRbjT5_S1E_jjP12ihipStream_tbEUljE_ZNSN_ISO_Lb0ESQ_SR_ST_SU_SY_EESZ_S10_S11_S12_S16_S17_S18_S1B_S1C_jS1D_jS1E_S1E_jjS1G_bEUljE0_EEESZ_S10_S11_S18_S1C_S1E_T6_T7_T9_mT8_S1G_bDpT10_ENKUlT_T0_E_clISt17integral_constantIbLb1EES1T_IbLb0EEEEDaS1P_S1Q_EUlS1P_E_NS1_11comp_targetILNS1_3genE9ELNS1_11target_archE1100ELNS1_3gpuE3ELNS1_3repE0EEENS1_30default_config_static_selectorELNS0_4arch9wavefront6targetE1EEEvS12_.has_dyn_sized_stack, 0
	.set _ZN7rocprim17ROCPRIM_400000_NS6detail17trampoline_kernelINS0_13select_configILj256ELj13ELNS0_17block_load_methodE3ELS4_3ELS4_3ELNS0_20block_scan_algorithmE0ELj4294967295EEENS1_25partition_config_selectorILNS1_17partition_subalgoE4EjNS0_10empty_typeEbEEZZNS1_14partition_implILS8_4ELb0ES6_15HIP_vector_typeIjLj2EENS0_17counting_iteratorIjlEEPS9_SG_NS0_5tupleIJPjSI_NS0_16reverse_iteratorISI_EEEEENSH_IJSG_SG_SG_EEES9_SI_JZNS1_25segmented_radix_sort_implINS0_14default_configELb0EPKhPhPKlPlN2at6native12_GLOBAL__N_18offset_tEEE10hipError_tPvRmT1_PNSt15iterator_traitsIS12_E10value_typeET2_T3_PNS13_IS18_E10value_typeET4_jRbjT5_S1E_jjP12ihipStream_tbEUljE_ZNSN_ISO_Lb0ESQ_SR_ST_SU_SY_EESZ_S10_S11_S12_S16_S17_S18_S1B_S1C_jS1D_jS1E_S1E_jjS1G_bEUljE0_EEESZ_S10_S11_S18_S1C_S1E_T6_T7_T9_mT8_S1G_bDpT10_ENKUlT_T0_E_clISt17integral_constantIbLb1EES1T_IbLb0EEEEDaS1P_S1Q_EUlS1P_E_NS1_11comp_targetILNS1_3genE9ELNS1_11target_archE1100ELNS1_3gpuE3ELNS1_3repE0EEENS1_30default_config_static_selectorELNS0_4arch9wavefront6targetE1EEEvS12_.has_recursion, 0
	.set _ZN7rocprim17ROCPRIM_400000_NS6detail17trampoline_kernelINS0_13select_configILj256ELj13ELNS0_17block_load_methodE3ELS4_3ELS4_3ELNS0_20block_scan_algorithmE0ELj4294967295EEENS1_25partition_config_selectorILNS1_17partition_subalgoE4EjNS0_10empty_typeEbEEZZNS1_14partition_implILS8_4ELb0ES6_15HIP_vector_typeIjLj2EENS0_17counting_iteratorIjlEEPS9_SG_NS0_5tupleIJPjSI_NS0_16reverse_iteratorISI_EEEEENSH_IJSG_SG_SG_EEES9_SI_JZNS1_25segmented_radix_sort_implINS0_14default_configELb0EPKhPhPKlPlN2at6native12_GLOBAL__N_18offset_tEEE10hipError_tPvRmT1_PNSt15iterator_traitsIS12_E10value_typeET2_T3_PNS13_IS18_E10value_typeET4_jRbjT5_S1E_jjP12ihipStream_tbEUljE_ZNSN_ISO_Lb0ESQ_SR_ST_SU_SY_EESZ_S10_S11_S12_S16_S17_S18_S1B_S1C_jS1D_jS1E_S1E_jjS1G_bEUljE0_EEESZ_S10_S11_S18_S1C_S1E_T6_T7_T9_mT8_S1G_bDpT10_ENKUlT_T0_E_clISt17integral_constantIbLb1EES1T_IbLb0EEEEDaS1P_S1Q_EUlS1P_E_NS1_11comp_targetILNS1_3genE9ELNS1_11target_archE1100ELNS1_3gpuE3ELNS1_3repE0EEENS1_30default_config_static_selectorELNS0_4arch9wavefront6targetE1EEEvS12_.has_indirect_call, 0
	.section	.AMDGPU.csdata,"",@progbits
; Kernel info:
; codeLenInByte = 0
; TotalNumSgprs: 4
; NumVgprs: 0
; ScratchSize: 0
; MemoryBound: 0
; FloatMode: 240
; IeeeMode: 1
; LDSByteSize: 0 bytes/workgroup (compile time only)
; SGPRBlocks: 0
; VGPRBlocks: 0
; NumSGPRsForWavesPerEU: 4
; NumVGPRsForWavesPerEU: 1
; Occupancy: 10
; WaveLimiterHint : 0
; COMPUTE_PGM_RSRC2:SCRATCH_EN: 0
; COMPUTE_PGM_RSRC2:USER_SGPR: 6
; COMPUTE_PGM_RSRC2:TRAP_HANDLER: 0
; COMPUTE_PGM_RSRC2:TGID_X_EN: 1
; COMPUTE_PGM_RSRC2:TGID_Y_EN: 0
; COMPUTE_PGM_RSRC2:TGID_Z_EN: 0
; COMPUTE_PGM_RSRC2:TIDIG_COMP_CNT: 0
	.section	.text._ZN7rocprim17ROCPRIM_400000_NS6detail17trampoline_kernelINS0_13select_configILj256ELj13ELNS0_17block_load_methodE3ELS4_3ELS4_3ELNS0_20block_scan_algorithmE0ELj4294967295EEENS1_25partition_config_selectorILNS1_17partition_subalgoE4EjNS0_10empty_typeEbEEZZNS1_14partition_implILS8_4ELb0ES6_15HIP_vector_typeIjLj2EENS0_17counting_iteratorIjlEEPS9_SG_NS0_5tupleIJPjSI_NS0_16reverse_iteratorISI_EEEEENSH_IJSG_SG_SG_EEES9_SI_JZNS1_25segmented_radix_sort_implINS0_14default_configELb0EPKhPhPKlPlN2at6native12_GLOBAL__N_18offset_tEEE10hipError_tPvRmT1_PNSt15iterator_traitsIS12_E10value_typeET2_T3_PNS13_IS18_E10value_typeET4_jRbjT5_S1E_jjP12ihipStream_tbEUljE_ZNSN_ISO_Lb0ESQ_SR_ST_SU_SY_EESZ_S10_S11_S12_S16_S17_S18_S1B_S1C_jS1D_jS1E_S1E_jjS1G_bEUljE0_EEESZ_S10_S11_S18_S1C_S1E_T6_T7_T9_mT8_S1G_bDpT10_ENKUlT_T0_E_clISt17integral_constantIbLb1EES1T_IbLb0EEEEDaS1P_S1Q_EUlS1P_E_NS1_11comp_targetILNS1_3genE8ELNS1_11target_archE1030ELNS1_3gpuE2ELNS1_3repE0EEENS1_30default_config_static_selectorELNS0_4arch9wavefront6targetE1EEEvS12_,"axG",@progbits,_ZN7rocprim17ROCPRIM_400000_NS6detail17trampoline_kernelINS0_13select_configILj256ELj13ELNS0_17block_load_methodE3ELS4_3ELS4_3ELNS0_20block_scan_algorithmE0ELj4294967295EEENS1_25partition_config_selectorILNS1_17partition_subalgoE4EjNS0_10empty_typeEbEEZZNS1_14partition_implILS8_4ELb0ES6_15HIP_vector_typeIjLj2EENS0_17counting_iteratorIjlEEPS9_SG_NS0_5tupleIJPjSI_NS0_16reverse_iteratorISI_EEEEENSH_IJSG_SG_SG_EEES9_SI_JZNS1_25segmented_radix_sort_implINS0_14default_configELb0EPKhPhPKlPlN2at6native12_GLOBAL__N_18offset_tEEE10hipError_tPvRmT1_PNSt15iterator_traitsIS12_E10value_typeET2_T3_PNS13_IS18_E10value_typeET4_jRbjT5_S1E_jjP12ihipStream_tbEUljE_ZNSN_ISO_Lb0ESQ_SR_ST_SU_SY_EESZ_S10_S11_S12_S16_S17_S18_S1B_S1C_jS1D_jS1E_S1E_jjS1G_bEUljE0_EEESZ_S10_S11_S18_S1C_S1E_T6_T7_T9_mT8_S1G_bDpT10_ENKUlT_T0_E_clISt17integral_constantIbLb1EES1T_IbLb0EEEEDaS1P_S1Q_EUlS1P_E_NS1_11comp_targetILNS1_3genE8ELNS1_11target_archE1030ELNS1_3gpuE2ELNS1_3repE0EEENS1_30default_config_static_selectorELNS0_4arch9wavefront6targetE1EEEvS12_,comdat
	.globl	_ZN7rocprim17ROCPRIM_400000_NS6detail17trampoline_kernelINS0_13select_configILj256ELj13ELNS0_17block_load_methodE3ELS4_3ELS4_3ELNS0_20block_scan_algorithmE0ELj4294967295EEENS1_25partition_config_selectorILNS1_17partition_subalgoE4EjNS0_10empty_typeEbEEZZNS1_14partition_implILS8_4ELb0ES6_15HIP_vector_typeIjLj2EENS0_17counting_iteratorIjlEEPS9_SG_NS0_5tupleIJPjSI_NS0_16reverse_iteratorISI_EEEEENSH_IJSG_SG_SG_EEES9_SI_JZNS1_25segmented_radix_sort_implINS0_14default_configELb0EPKhPhPKlPlN2at6native12_GLOBAL__N_18offset_tEEE10hipError_tPvRmT1_PNSt15iterator_traitsIS12_E10value_typeET2_T3_PNS13_IS18_E10value_typeET4_jRbjT5_S1E_jjP12ihipStream_tbEUljE_ZNSN_ISO_Lb0ESQ_SR_ST_SU_SY_EESZ_S10_S11_S12_S16_S17_S18_S1B_S1C_jS1D_jS1E_S1E_jjS1G_bEUljE0_EEESZ_S10_S11_S18_S1C_S1E_T6_T7_T9_mT8_S1G_bDpT10_ENKUlT_T0_E_clISt17integral_constantIbLb1EES1T_IbLb0EEEEDaS1P_S1Q_EUlS1P_E_NS1_11comp_targetILNS1_3genE8ELNS1_11target_archE1030ELNS1_3gpuE2ELNS1_3repE0EEENS1_30default_config_static_selectorELNS0_4arch9wavefront6targetE1EEEvS12_ ; -- Begin function _ZN7rocprim17ROCPRIM_400000_NS6detail17trampoline_kernelINS0_13select_configILj256ELj13ELNS0_17block_load_methodE3ELS4_3ELS4_3ELNS0_20block_scan_algorithmE0ELj4294967295EEENS1_25partition_config_selectorILNS1_17partition_subalgoE4EjNS0_10empty_typeEbEEZZNS1_14partition_implILS8_4ELb0ES6_15HIP_vector_typeIjLj2EENS0_17counting_iteratorIjlEEPS9_SG_NS0_5tupleIJPjSI_NS0_16reverse_iteratorISI_EEEEENSH_IJSG_SG_SG_EEES9_SI_JZNS1_25segmented_radix_sort_implINS0_14default_configELb0EPKhPhPKlPlN2at6native12_GLOBAL__N_18offset_tEEE10hipError_tPvRmT1_PNSt15iterator_traitsIS12_E10value_typeET2_T3_PNS13_IS18_E10value_typeET4_jRbjT5_S1E_jjP12ihipStream_tbEUljE_ZNSN_ISO_Lb0ESQ_SR_ST_SU_SY_EESZ_S10_S11_S12_S16_S17_S18_S1B_S1C_jS1D_jS1E_S1E_jjS1G_bEUljE0_EEESZ_S10_S11_S18_S1C_S1E_T6_T7_T9_mT8_S1G_bDpT10_ENKUlT_T0_E_clISt17integral_constantIbLb1EES1T_IbLb0EEEEDaS1P_S1Q_EUlS1P_E_NS1_11comp_targetILNS1_3genE8ELNS1_11target_archE1030ELNS1_3gpuE2ELNS1_3repE0EEENS1_30default_config_static_selectorELNS0_4arch9wavefront6targetE1EEEvS12_
	.p2align	8
	.type	_ZN7rocprim17ROCPRIM_400000_NS6detail17trampoline_kernelINS0_13select_configILj256ELj13ELNS0_17block_load_methodE3ELS4_3ELS4_3ELNS0_20block_scan_algorithmE0ELj4294967295EEENS1_25partition_config_selectorILNS1_17partition_subalgoE4EjNS0_10empty_typeEbEEZZNS1_14partition_implILS8_4ELb0ES6_15HIP_vector_typeIjLj2EENS0_17counting_iteratorIjlEEPS9_SG_NS0_5tupleIJPjSI_NS0_16reverse_iteratorISI_EEEEENSH_IJSG_SG_SG_EEES9_SI_JZNS1_25segmented_radix_sort_implINS0_14default_configELb0EPKhPhPKlPlN2at6native12_GLOBAL__N_18offset_tEEE10hipError_tPvRmT1_PNSt15iterator_traitsIS12_E10value_typeET2_T3_PNS13_IS18_E10value_typeET4_jRbjT5_S1E_jjP12ihipStream_tbEUljE_ZNSN_ISO_Lb0ESQ_SR_ST_SU_SY_EESZ_S10_S11_S12_S16_S17_S18_S1B_S1C_jS1D_jS1E_S1E_jjS1G_bEUljE0_EEESZ_S10_S11_S18_S1C_S1E_T6_T7_T9_mT8_S1G_bDpT10_ENKUlT_T0_E_clISt17integral_constantIbLb1EES1T_IbLb0EEEEDaS1P_S1Q_EUlS1P_E_NS1_11comp_targetILNS1_3genE8ELNS1_11target_archE1030ELNS1_3gpuE2ELNS1_3repE0EEENS1_30default_config_static_selectorELNS0_4arch9wavefront6targetE1EEEvS12_,@function
_ZN7rocprim17ROCPRIM_400000_NS6detail17trampoline_kernelINS0_13select_configILj256ELj13ELNS0_17block_load_methodE3ELS4_3ELS4_3ELNS0_20block_scan_algorithmE0ELj4294967295EEENS1_25partition_config_selectorILNS1_17partition_subalgoE4EjNS0_10empty_typeEbEEZZNS1_14partition_implILS8_4ELb0ES6_15HIP_vector_typeIjLj2EENS0_17counting_iteratorIjlEEPS9_SG_NS0_5tupleIJPjSI_NS0_16reverse_iteratorISI_EEEEENSH_IJSG_SG_SG_EEES9_SI_JZNS1_25segmented_radix_sort_implINS0_14default_configELb0EPKhPhPKlPlN2at6native12_GLOBAL__N_18offset_tEEE10hipError_tPvRmT1_PNSt15iterator_traitsIS12_E10value_typeET2_T3_PNS13_IS18_E10value_typeET4_jRbjT5_S1E_jjP12ihipStream_tbEUljE_ZNSN_ISO_Lb0ESQ_SR_ST_SU_SY_EESZ_S10_S11_S12_S16_S17_S18_S1B_S1C_jS1D_jS1E_S1E_jjS1G_bEUljE0_EEESZ_S10_S11_S18_S1C_S1E_T6_T7_T9_mT8_S1G_bDpT10_ENKUlT_T0_E_clISt17integral_constantIbLb1EES1T_IbLb0EEEEDaS1P_S1Q_EUlS1P_E_NS1_11comp_targetILNS1_3genE8ELNS1_11target_archE1030ELNS1_3gpuE2ELNS1_3repE0EEENS1_30default_config_static_selectorELNS0_4arch9wavefront6targetE1EEEvS12_: ; @_ZN7rocprim17ROCPRIM_400000_NS6detail17trampoline_kernelINS0_13select_configILj256ELj13ELNS0_17block_load_methodE3ELS4_3ELS4_3ELNS0_20block_scan_algorithmE0ELj4294967295EEENS1_25partition_config_selectorILNS1_17partition_subalgoE4EjNS0_10empty_typeEbEEZZNS1_14partition_implILS8_4ELb0ES6_15HIP_vector_typeIjLj2EENS0_17counting_iteratorIjlEEPS9_SG_NS0_5tupleIJPjSI_NS0_16reverse_iteratorISI_EEEEENSH_IJSG_SG_SG_EEES9_SI_JZNS1_25segmented_radix_sort_implINS0_14default_configELb0EPKhPhPKlPlN2at6native12_GLOBAL__N_18offset_tEEE10hipError_tPvRmT1_PNSt15iterator_traitsIS12_E10value_typeET2_T3_PNS13_IS18_E10value_typeET4_jRbjT5_S1E_jjP12ihipStream_tbEUljE_ZNSN_ISO_Lb0ESQ_SR_ST_SU_SY_EESZ_S10_S11_S12_S16_S17_S18_S1B_S1C_jS1D_jS1E_S1E_jjS1G_bEUljE0_EEESZ_S10_S11_S18_S1C_S1E_T6_T7_T9_mT8_S1G_bDpT10_ENKUlT_T0_E_clISt17integral_constantIbLb1EES1T_IbLb0EEEEDaS1P_S1Q_EUlS1P_E_NS1_11comp_targetILNS1_3genE8ELNS1_11target_archE1030ELNS1_3gpuE2ELNS1_3repE0EEENS1_30default_config_static_selectorELNS0_4arch9wavefront6targetE1EEEvS12_
; %bb.0:
	.section	.rodata,"a",@progbits
	.p2align	6, 0x0
	.amdhsa_kernel _ZN7rocprim17ROCPRIM_400000_NS6detail17trampoline_kernelINS0_13select_configILj256ELj13ELNS0_17block_load_methodE3ELS4_3ELS4_3ELNS0_20block_scan_algorithmE0ELj4294967295EEENS1_25partition_config_selectorILNS1_17partition_subalgoE4EjNS0_10empty_typeEbEEZZNS1_14partition_implILS8_4ELb0ES6_15HIP_vector_typeIjLj2EENS0_17counting_iteratorIjlEEPS9_SG_NS0_5tupleIJPjSI_NS0_16reverse_iteratorISI_EEEEENSH_IJSG_SG_SG_EEES9_SI_JZNS1_25segmented_radix_sort_implINS0_14default_configELb0EPKhPhPKlPlN2at6native12_GLOBAL__N_18offset_tEEE10hipError_tPvRmT1_PNSt15iterator_traitsIS12_E10value_typeET2_T3_PNS13_IS18_E10value_typeET4_jRbjT5_S1E_jjP12ihipStream_tbEUljE_ZNSN_ISO_Lb0ESQ_SR_ST_SU_SY_EESZ_S10_S11_S12_S16_S17_S18_S1B_S1C_jS1D_jS1E_S1E_jjS1G_bEUljE0_EEESZ_S10_S11_S18_S1C_S1E_T6_T7_T9_mT8_S1G_bDpT10_ENKUlT_T0_E_clISt17integral_constantIbLb1EES1T_IbLb0EEEEDaS1P_S1Q_EUlS1P_E_NS1_11comp_targetILNS1_3genE8ELNS1_11target_archE1030ELNS1_3gpuE2ELNS1_3repE0EEENS1_30default_config_static_selectorELNS0_4arch9wavefront6targetE1EEEvS12_
		.amdhsa_group_segment_fixed_size 0
		.amdhsa_private_segment_fixed_size 0
		.amdhsa_kernarg_size 176
		.amdhsa_user_sgpr_count 6
		.amdhsa_user_sgpr_private_segment_buffer 1
		.amdhsa_user_sgpr_dispatch_ptr 0
		.amdhsa_user_sgpr_queue_ptr 0
		.amdhsa_user_sgpr_kernarg_segment_ptr 1
		.amdhsa_user_sgpr_dispatch_id 0
		.amdhsa_user_sgpr_flat_scratch_init 0
		.amdhsa_user_sgpr_private_segment_size 0
		.amdhsa_uses_dynamic_stack 0
		.amdhsa_system_sgpr_private_segment_wavefront_offset 0
		.amdhsa_system_sgpr_workgroup_id_x 1
		.amdhsa_system_sgpr_workgroup_id_y 0
		.amdhsa_system_sgpr_workgroup_id_z 0
		.amdhsa_system_sgpr_workgroup_info 0
		.amdhsa_system_vgpr_workitem_id 0
		.amdhsa_next_free_vgpr 1
		.amdhsa_next_free_sgpr 0
		.amdhsa_reserve_vcc 0
		.amdhsa_reserve_flat_scratch 0
		.amdhsa_float_round_mode_32 0
		.amdhsa_float_round_mode_16_64 0
		.amdhsa_float_denorm_mode_32 3
		.amdhsa_float_denorm_mode_16_64 3
		.amdhsa_dx10_clamp 1
		.amdhsa_ieee_mode 1
		.amdhsa_fp16_overflow 0
		.amdhsa_exception_fp_ieee_invalid_op 0
		.amdhsa_exception_fp_denorm_src 0
		.amdhsa_exception_fp_ieee_div_zero 0
		.amdhsa_exception_fp_ieee_overflow 0
		.amdhsa_exception_fp_ieee_underflow 0
		.amdhsa_exception_fp_ieee_inexact 0
		.amdhsa_exception_int_div_zero 0
	.end_amdhsa_kernel
	.section	.text._ZN7rocprim17ROCPRIM_400000_NS6detail17trampoline_kernelINS0_13select_configILj256ELj13ELNS0_17block_load_methodE3ELS4_3ELS4_3ELNS0_20block_scan_algorithmE0ELj4294967295EEENS1_25partition_config_selectorILNS1_17partition_subalgoE4EjNS0_10empty_typeEbEEZZNS1_14partition_implILS8_4ELb0ES6_15HIP_vector_typeIjLj2EENS0_17counting_iteratorIjlEEPS9_SG_NS0_5tupleIJPjSI_NS0_16reverse_iteratorISI_EEEEENSH_IJSG_SG_SG_EEES9_SI_JZNS1_25segmented_radix_sort_implINS0_14default_configELb0EPKhPhPKlPlN2at6native12_GLOBAL__N_18offset_tEEE10hipError_tPvRmT1_PNSt15iterator_traitsIS12_E10value_typeET2_T3_PNS13_IS18_E10value_typeET4_jRbjT5_S1E_jjP12ihipStream_tbEUljE_ZNSN_ISO_Lb0ESQ_SR_ST_SU_SY_EESZ_S10_S11_S12_S16_S17_S18_S1B_S1C_jS1D_jS1E_S1E_jjS1G_bEUljE0_EEESZ_S10_S11_S18_S1C_S1E_T6_T7_T9_mT8_S1G_bDpT10_ENKUlT_T0_E_clISt17integral_constantIbLb1EES1T_IbLb0EEEEDaS1P_S1Q_EUlS1P_E_NS1_11comp_targetILNS1_3genE8ELNS1_11target_archE1030ELNS1_3gpuE2ELNS1_3repE0EEENS1_30default_config_static_selectorELNS0_4arch9wavefront6targetE1EEEvS12_,"axG",@progbits,_ZN7rocprim17ROCPRIM_400000_NS6detail17trampoline_kernelINS0_13select_configILj256ELj13ELNS0_17block_load_methodE3ELS4_3ELS4_3ELNS0_20block_scan_algorithmE0ELj4294967295EEENS1_25partition_config_selectorILNS1_17partition_subalgoE4EjNS0_10empty_typeEbEEZZNS1_14partition_implILS8_4ELb0ES6_15HIP_vector_typeIjLj2EENS0_17counting_iteratorIjlEEPS9_SG_NS0_5tupleIJPjSI_NS0_16reverse_iteratorISI_EEEEENSH_IJSG_SG_SG_EEES9_SI_JZNS1_25segmented_radix_sort_implINS0_14default_configELb0EPKhPhPKlPlN2at6native12_GLOBAL__N_18offset_tEEE10hipError_tPvRmT1_PNSt15iterator_traitsIS12_E10value_typeET2_T3_PNS13_IS18_E10value_typeET4_jRbjT5_S1E_jjP12ihipStream_tbEUljE_ZNSN_ISO_Lb0ESQ_SR_ST_SU_SY_EESZ_S10_S11_S12_S16_S17_S18_S1B_S1C_jS1D_jS1E_S1E_jjS1G_bEUljE0_EEESZ_S10_S11_S18_S1C_S1E_T6_T7_T9_mT8_S1G_bDpT10_ENKUlT_T0_E_clISt17integral_constantIbLb1EES1T_IbLb0EEEEDaS1P_S1Q_EUlS1P_E_NS1_11comp_targetILNS1_3genE8ELNS1_11target_archE1030ELNS1_3gpuE2ELNS1_3repE0EEENS1_30default_config_static_selectorELNS0_4arch9wavefront6targetE1EEEvS12_,comdat
.Lfunc_end145:
	.size	_ZN7rocprim17ROCPRIM_400000_NS6detail17trampoline_kernelINS0_13select_configILj256ELj13ELNS0_17block_load_methodE3ELS4_3ELS4_3ELNS0_20block_scan_algorithmE0ELj4294967295EEENS1_25partition_config_selectorILNS1_17partition_subalgoE4EjNS0_10empty_typeEbEEZZNS1_14partition_implILS8_4ELb0ES6_15HIP_vector_typeIjLj2EENS0_17counting_iteratorIjlEEPS9_SG_NS0_5tupleIJPjSI_NS0_16reverse_iteratorISI_EEEEENSH_IJSG_SG_SG_EEES9_SI_JZNS1_25segmented_radix_sort_implINS0_14default_configELb0EPKhPhPKlPlN2at6native12_GLOBAL__N_18offset_tEEE10hipError_tPvRmT1_PNSt15iterator_traitsIS12_E10value_typeET2_T3_PNS13_IS18_E10value_typeET4_jRbjT5_S1E_jjP12ihipStream_tbEUljE_ZNSN_ISO_Lb0ESQ_SR_ST_SU_SY_EESZ_S10_S11_S12_S16_S17_S18_S1B_S1C_jS1D_jS1E_S1E_jjS1G_bEUljE0_EEESZ_S10_S11_S18_S1C_S1E_T6_T7_T9_mT8_S1G_bDpT10_ENKUlT_T0_E_clISt17integral_constantIbLb1EES1T_IbLb0EEEEDaS1P_S1Q_EUlS1P_E_NS1_11comp_targetILNS1_3genE8ELNS1_11target_archE1030ELNS1_3gpuE2ELNS1_3repE0EEENS1_30default_config_static_selectorELNS0_4arch9wavefront6targetE1EEEvS12_, .Lfunc_end145-_ZN7rocprim17ROCPRIM_400000_NS6detail17trampoline_kernelINS0_13select_configILj256ELj13ELNS0_17block_load_methodE3ELS4_3ELS4_3ELNS0_20block_scan_algorithmE0ELj4294967295EEENS1_25partition_config_selectorILNS1_17partition_subalgoE4EjNS0_10empty_typeEbEEZZNS1_14partition_implILS8_4ELb0ES6_15HIP_vector_typeIjLj2EENS0_17counting_iteratorIjlEEPS9_SG_NS0_5tupleIJPjSI_NS0_16reverse_iteratorISI_EEEEENSH_IJSG_SG_SG_EEES9_SI_JZNS1_25segmented_radix_sort_implINS0_14default_configELb0EPKhPhPKlPlN2at6native12_GLOBAL__N_18offset_tEEE10hipError_tPvRmT1_PNSt15iterator_traitsIS12_E10value_typeET2_T3_PNS13_IS18_E10value_typeET4_jRbjT5_S1E_jjP12ihipStream_tbEUljE_ZNSN_ISO_Lb0ESQ_SR_ST_SU_SY_EESZ_S10_S11_S12_S16_S17_S18_S1B_S1C_jS1D_jS1E_S1E_jjS1G_bEUljE0_EEESZ_S10_S11_S18_S1C_S1E_T6_T7_T9_mT8_S1G_bDpT10_ENKUlT_T0_E_clISt17integral_constantIbLb1EES1T_IbLb0EEEEDaS1P_S1Q_EUlS1P_E_NS1_11comp_targetILNS1_3genE8ELNS1_11target_archE1030ELNS1_3gpuE2ELNS1_3repE0EEENS1_30default_config_static_selectorELNS0_4arch9wavefront6targetE1EEEvS12_
                                        ; -- End function
	.set _ZN7rocprim17ROCPRIM_400000_NS6detail17trampoline_kernelINS0_13select_configILj256ELj13ELNS0_17block_load_methodE3ELS4_3ELS4_3ELNS0_20block_scan_algorithmE0ELj4294967295EEENS1_25partition_config_selectorILNS1_17partition_subalgoE4EjNS0_10empty_typeEbEEZZNS1_14partition_implILS8_4ELb0ES6_15HIP_vector_typeIjLj2EENS0_17counting_iteratorIjlEEPS9_SG_NS0_5tupleIJPjSI_NS0_16reverse_iteratorISI_EEEEENSH_IJSG_SG_SG_EEES9_SI_JZNS1_25segmented_radix_sort_implINS0_14default_configELb0EPKhPhPKlPlN2at6native12_GLOBAL__N_18offset_tEEE10hipError_tPvRmT1_PNSt15iterator_traitsIS12_E10value_typeET2_T3_PNS13_IS18_E10value_typeET4_jRbjT5_S1E_jjP12ihipStream_tbEUljE_ZNSN_ISO_Lb0ESQ_SR_ST_SU_SY_EESZ_S10_S11_S12_S16_S17_S18_S1B_S1C_jS1D_jS1E_S1E_jjS1G_bEUljE0_EEESZ_S10_S11_S18_S1C_S1E_T6_T7_T9_mT8_S1G_bDpT10_ENKUlT_T0_E_clISt17integral_constantIbLb1EES1T_IbLb0EEEEDaS1P_S1Q_EUlS1P_E_NS1_11comp_targetILNS1_3genE8ELNS1_11target_archE1030ELNS1_3gpuE2ELNS1_3repE0EEENS1_30default_config_static_selectorELNS0_4arch9wavefront6targetE1EEEvS12_.num_vgpr, 0
	.set _ZN7rocprim17ROCPRIM_400000_NS6detail17trampoline_kernelINS0_13select_configILj256ELj13ELNS0_17block_load_methodE3ELS4_3ELS4_3ELNS0_20block_scan_algorithmE0ELj4294967295EEENS1_25partition_config_selectorILNS1_17partition_subalgoE4EjNS0_10empty_typeEbEEZZNS1_14partition_implILS8_4ELb0ES6_15HIP_vector_typeIjLj2EENS0_17counting_iteratorIjlEEPS9_SG_NS0_5tupleIJPjSI_NS0_16reverse_iteratorISI_EEEEENSH_IJSG_SG_SG_EEES9_SI_JZNS1_25segmented_radix_sort_implINS0_14default_configELb0EPKhPhPKlPlN2at6native12_GLOBAL__N_18offset_tEEE10hipError_tPvRmT1_PNSt15iterator_traitsIS12_E10value_typeET2_T3_PNS13_IS18_E10value_typeET4_jRbjT5_S1E_jjP12ihipStream_tbEUljE_ZNSN_ISO_Lb0ESQ_SR_ST_SU_SY_EESZ_S10_S11_S12_S16_S17_S18_S1B_S1C_jS1D_jS1E_S1E_jjS1G_bEUljE0_EEESZ_S10_S11_S18_S1C_S1E_T6_T7_T9_mT8_S1G_bDpT10_ENKUlT_T0_E_clISt17integral_constantIbLb1EES1T_IbLb0EEEEDaS1P_S1Q_EUlS1P_E_NS1_11comp_targetILNS1_3genE8ELNS1_11target_archE1030ELNS1_3gpuE2ELNS1_3repE0EEENS1_30default_config_static_selectorELNS0_4arch9wavefront6targetE1EEEvS12_.num_agpr, 0
	.set _ZN7rocprim17ROCPRIM_400000_NS6detail17trampoline_kernelINS0_13select_configILj256ELj13ELNS0_17block_load_methodE3ELS4_3ELS4_3ELNS0_20block_scan_algorithmE0ELj4294967295EEENS1_25partition_config_selectorILNS1_17partition_subalgoE4EjNS0_10empty_typeEbEEZZNS1_14partition_implILS8_4ELb0ES6_15HIP_vector_typeIjLj2EENS0_17counting_iteratorIjlEEPS9_SG_NS0_5tupleIJPjSI_NS0_16reverse_iteratorISI_EEEEENSH_IJSG_SG_SG_EEES9_SI_JZNS1_25segmented_radix_sort_implINS0_14default_configELb0EPKhPhPKlPlN2at6native12_GLOBAL__N_18offset_tEEE10hipError_tPvRmT1_PNSt15iterator_traitsIS12_E10value_typeET2_T3_PNS13_IS18_E10value_typeET4_jRbjT5_S1E_jjP12ihipStream_tbEUljE_ZNSN_ISO_Lb0ESQ_SR_ST_SU_SY_EESZ_S10_S11_S12_S16_S17_S18_S1B_S1C_jS1D_jS1E_S1E_jjS1G_bEUljE0_EEESZ_S10_S11_S18_S1C_S1E_T6_T7_T9_mT8_S1G_bDpT10_ENKUlT_T0_E_clISt17integral_constantIbLb1EES1T_IbLb0EEEEDaS1P_S1Q_EUlS1P_E_NS1_11comp_targetILNS1_3genE8ELNS1_11target_archE1030ELNS1_3gpuE2ELNS1_3repE0EEENS1_30default_config_static_selectorELNS0_4arch9wavefront6targetE1EEEvS12_.numbered_sgpr, 0
	.set _ZN7rocprim17ROCPRIM_400000_NS6detail17trampoline_kernelINS0_13select_configILj256ELj13ELNS0_17block_load_methodE3ELS4_3ELS4_3ELNS0_20block_scan_algorithmE0ELj4294967295EEENS1_25partition_config_selectorILNS1_17partition_subalgoE4EjNS0_10empty_typeEbEEZZNS1_14partition_implILS8_4ELb0ES6_15HIP_vector_typeIjLj2EENS0_17counting_iteratorIjlEEPS9_SG_NS0_5tupleIJPjSI_NS0_16reverse_iteratorISI_EEEEENSH_IJSG_SG_SG_EEES9_SI_JZNS1_25segmented_radix_sort_implINS0_14default_configELb0EPKhPhPKlPlN2at6native12_GLOBAL__N_18offset_tEEE10hipError_tPvRmT1_PNSt15iterator_traitsIS12_E10value_typeET2_T3_PNS13_IS18_E10value_typeET4_jRbjT5_S1E_jjP12ihipStream_tbEUljE_ZNSN_ISO_Lb0ESQ_SR_ST_SU_SY_EESZ_S10_S11_S12_S16_S17_S18_S1B_S1C_jS1D_jS1E_S1E_jjS1G_bEUljE0_EEESZ_S10_S11_S18_S1C_S1E_T6_T7_T9_mT8_S1G_bDpT10_ENKUlT_T0_E_clISt17integral_constantIbLb1EES1T_IbLb0EEEEDaS1P_S1Q_EUlS1P_E_NS1_11comp_targetILNS1_3genE8ELNS1_11target_archE1030ELNS1_3gpuE2ELNS1_3repE0EEENS1_30default_config_static_selectorELNS0_4arch9wavefront6targetE1EEEvS12_.num_named_barrier, 0
	.set _ZN7rocprim17ROCPRIM_400000_NS6detail17trampoline_kernelINS0_13select_configILj256ELj13ELNS0_17block_load_methodE3ELS4_3ELS4_3ELNS0_20block_scan_algorithmE0ELj4294967295EEENS1_25partition_config_selectorILNS1_17partition_subalgoE4EjNS0_10empty_typeEbEEZZNS1_14partition_implILS8_4ELb0ES6_15HIP_vector_typeIjLj2EENS0_17counting_iteratorIjlEEPS9_SG_NS0_5tupleIJPjSI_NS0_16reverse_iteratorISI_EEEEENSH_IJSG_SG_SG_EEES9_SI_JZNS1_25segmented_radix_sort_implINS0_14default_configELb0EPKhPhPKlPlN2at6native12_GLOBAL__N_18offset_tEEE10hipError_tPvRmT1_PNSt15iterator_traitsIS12_E10value_typeET2_T3_PNS13_IS18_E10value_typeET4_jRbjT5_S1E_jjP12ihipStream_tbEUljE_ZNSN_ISO_Lb0ESQ_SR_ST_SU_SY_EESZ_S10_S11_S12_S16_S17_S18_S1B_S1C_jS1D_jS1E_S1E_jjS1G_bEUljE0_EEESZ_S10_S11_S18_S1C_S1E_T6_T7_T9_mT8_S1G_bDpT10_ENKUlT_T0_E_clISt17integral_constantIbLb1EES1T_IbLb0EEEEDaS1P_S1Q_EUlS1P_E_NS1_11comp_targetILNS1_3genE8ELNS1_11target_archE1030ELNS1_3gpuE2ELNS1_3repE0EEENS1_30default_config_static_selectorELNS0_4arch9wavefront6targetE1EEEvS12_.private_seg_size, 0
	.set _ZN7rocprim17ROCPRIM_400000_NS6detail17trampoline_kernelINS0_13select_configILj256ELj13ELNS0_17block_load_methodE3ELS4_3ELS4_3ELNS0_20block_scan_algorithmE0ELj4294967295EEENS1_25partition_config_selectorILNS1_17partition_subalgoE4EjNS0_10empty_typeEbEEZZNS1_14partition_implILS8_4ELb0ES6_15HIP_vector_typeIjLj2EENS0_17counting_iteratorIjlEEPS9_SG_NS0_5tupleIJPjSI_NS0_16reverse_iteratorISI_EEEEENSH_IJSG_SG_SG_EEES9_SI_JZNS1_25segmented_radix_sort_implINS0_14default_configELb0EPKhPhPKlPlN2at6native12_GLOBAL__N_18offset_tEEE10hipError_tPvRmT1_PNSt15iterator_traitsIS12_E10value_typeET2_T3_PNS13_IS18_E10value_typeET4_jRbjT5_S1E_jjP12ihipStream_tbEUljE_ZNSN_ISO_Lb0ESQ_SR_ST_SU_SY_EESZ_S10_S11_S12_S16_S17_S18_S1B_S1C_jS1D_jS1E_S1E_jjS1G_bEUljE0_EEESZ_S10_S11_S18_S1C_S1E_T6_T7_T9_mT8_S1G_bDpT10_ENKUlT_T0_E_clISt17integral_constantIbLb1EES1T_IbLb0EEEEDaS1P_S1Q_EUlS1P_E_NS1_11comp_targetILNS1_3genE8ELNS1_11target_archE1030ELNS1_3gpuE2ELNS1_3repE0EEENS1_30default_config_static_selectorELNS0_4arch9wavefront6targetE1EEEvS12_.uses_vcc, 0
	.set _ZN7rocprim17ROCPRIM_400000_NS6detail17trampoline_kernelINS0_13select_configILj256ELj13ELNS0_17block_load_methodE3ELS4_3ELS4_3ELNS0_20block_scan_algorithmE0ELj4294967295EEENS1_25partition_config_selectorILNS1_17partition_subalgoE4EjNS0_10empty_typeEbEEZZNS1_14partition_implILS8_4ELb0ES6_15HIP_vector_typeIjLj2EENS0_17counting_iteratorIjlEEPS9_SG_NS0_5tupleIJPjSI_NS0_16reverse_iteratorISI_EEEEENSH_IJSG_SG_SG_EEES9_SI_JZNS1_25segmented_radix_sort_implINS0_14default_configELb0EPKhPhPKlPlN2at6native12_GLOBAL__N_18offset_tEEE10hipError_tPvRmT1_PNSt15iterator_traitsIS12_E10value_typeET2_T3_PNS13_IS18_E10value_typeET4_jRbjT5_S1E_jjP12ihipStream_tbEUljE_ZNSN_ISO_Lb0ESQ_SR_ST_SU_SY_EESZ_S10_S11_S12_S16_S17_S18_S1B_S1C_jS1D_jS1E_S1E_jjS1G_bEUljE0_EEESZ_S10_S11_S18_S1C_S1E_T6_T7_T9_mT8_S1G_bDpT10_ENKUlT_T0_E_clISt17integral_constantIbLb1EES1T_IbLb0EEEEDaS1P_S1Q_EUlS1P_E_NS1_11comp_targetILNS1_3genE8ELNS1_11target_archE1030ELNS1_3gpuE2ELNS1_3repE0EEENS1_30default_config_static_selectorELNS0_4arch9wavefront6targetE1EEEvS12_.uses_flat_scratch, 0
	.set _ZN7rocprim17ROCPRIM_400000_NS6detail17trampoline_kernelINS0_13select_configILj256ELj13ELNS0_17block_load_methodE3ELS4_3ELS4_3ELNS0_20block_scan_algorithmE0ELj4294967295EEENS1_25partition_config_selectorILNS1_17partition_subalgoE4EjNS0_10empty_typeEbEEZZNS1_14partition_implILS8_4ELb0ES6_15HIP_vector_typeIjLj2EENS0_17counting_iteratorIjlEEPS9_SG_NS0_5tupleIJPjSI_NS0_16reverse_iteratorISI_EEEEENSH_IJSG_SG_SG_EEES9_SI_JZNS1_25segmented_radix_sort_implINS0_14default_configELb0EPKhPhPKlPlN2at6native12_GLOBAL__N_18offset_tEEE10hipError_tPvRmT1_PNSt15iterator_traitsIS12_E10value_typeET2_T3_PNS13_IS18_E10value_typeET4_jRbjT5_S1E_jjP12ihipStream_tbEUljE_ZNSN_ISO_Lb0ESQ_SR_ST_SU_SY_EESZ_S10_S11_S12_S16_S17_S18_S1B_S1C_jS1D_jS1E_S1E_jjS1G_bEUljE0_EEESZ_S10_S11_S18_S1C_S1E_T6_T7_T9_mT8_S1G_bDpT10_ENKUlT_T0_E_clISt17integral_constantIbLb1EES1T_IbLb0EEEEDaS1P_S1Q_EUlS1P_E_NS1_11comp_targetILNS1_3genE8ELNS1_11target_archE1030ELNS1_3gpuE2ELNS1_3repE0EEENS1_30default_config_static_selectorELNS0_4arch9wavefront6targetE1EEEvS12_.has_dyn_sized_stack, 0
	.set _ZN7rocprim17ROCPRIM_400000_NS6detail17trampoline_kernelINS0_13select_configILj256ELj13ELNS0_17block_load_methodE3ELS4_3ELS4_3ELNS0_20block_scan_algorithmE0ELj4294967295EEENS1_25partition_config_selectorILNS1_17partition_subalgoE4EjNS0_10empty_typeEbEEZZNS1_14partition_implILS8_4ELb0ES6_15HIP_vector_typeIjLj2EENS0_17counting_iteratorIjlEEPS9_SG_NS0_5tupleIJPjSI_NS0_16reverse_iteratorISI_EEEEENSH_IJSG_SG_SG_EEES9_SI_JZNS1_25segmented_radix_sort_implINS0_14default_configELb0EPKhPhPKlPlN2at6native12_GLOBAL__N_18offset_tEEE10hipError_tPvRmT1_PNSt15iterator_traitsIS12_E10value_typeET2_T3_PNS13_IS18_E10value_typeET4_jRbjT5_S1E_jjP12ihipStream_tbEUljE_ZNSN_ISO_Lb0ESQ_SR_ST_SU_SY_EESZ_S10_S11_S12_S16_S17_S18_S1B_S1C_jS1D_jS1E_S1E_jjS1G_bEUljE0_EEESZ_S10_S11_S18_S1C_S1E_T6_T7_T9_mT8_S1G_bDpT10_ENKUlT_T0_E_clISt17integral_constantIbLb1EES1T_IbLb0EEEEDaS1P_S1Q_EUlS1P_E_NS1_11comp_targetILNS1_3genE8ELNS1_11target_archE1030ELNS1_3gpuE2ELNS1_3repE0EEENS1_30default_config_static_selectorELNS0_4arch9wavefront6targetE1EEEvS12_.has_recursion, 0
	.set _ZN7rocprim17ROCPRIM_400000_NS6detail17trampoline_kernelINS0_13select_configILj256ELj13ELNS0_17block_load_methodE3ELS4_3ELS4_3ELNS0_20block_scan_algorithmE0ELj4294967295EEENS1_25partition_config_selectorILNS1_17partition_subalgoE4EjNS0_10empty_typeEbEEZZNS1_14partition_implILS8_4ELb0ES6_15HIP_vector_typeIjLj2EENS0_17counting_iteratorIjlEEPS9_SG_NS0_5tupleIJPjSI_NS0_16reverse_iteratorISI_EEEEENSH_IJSG_SG_SG_EEES9_SI_JZNS1_25segmented_radix_sort_implINS0_14default_configELb0EPKhPhPKlPlN2at6native12_GLOBAL__N_18offset_tEEE10hipError_tPvRmT1_PNSt15iterator_traitsIS12_E10value_typeET2_T3_PNS13_IS18_E10value_typeET4_jRbjT5_S1E_jjP12ihipStream_tbEUljE_ZNSN_ISO_Lb0ESQ_SR_ST_SU_SY_EESZ_S10_S11_S12_S16_S17_S18_S1B_S1C_jS1D_jS1E_S1E_jjS1G_bEUljE0_EEESZ_S10_S11_S18_S1C_S1E_T6_T7_T9_mT8_S1G_bDpT10_ENKUlT_T0_E_clISt17integral_constantIbLb1EES1T_IbLb0EEEEDaS1P_S1Q_EUlS1P_E_NS1_11comp_targetILNS1_3genE8ELNS1_11target_archE1030ELNS1_3gpuE2ELNS1_3repE0EEENS1_30default_config_static_selectorELNS0_4arch9wavefront6targetE1EEEvS12_.has_indirect_call, 0
	.section	.AMDGPU.csdata,"",@progbits
; Kernel info:
; codeLenInByte = 0
; TotalNumSgprs: 4
; NumVgprs: 0
; ScratchSize: 0
; MemoryBound: 0
; FloatMode: 240
; IeeeMode: 1
; LDSByteSize: 0 bytes/workgroup (compile time only)
; SGPRBlocks: 0
; VGPRBlocks: 0
; NumSGPRsForWavesPerEU: 4
; NumVGPRsForWavesPerEU: 1
; Occupancy: 10
; WaveLimiterHint : 0
; COMPUTE_PGM_RSRC2:SCRATCH_EN: 0
; COMPUTE_PGM_RSRC2:USER_SGPR: 6
; COMPUTE_PGM_RSRC2:TRAP_HANDLER: 0
; COMPUTE_PGM_RSRC2:TGID_X_EN: 1
; COMPUTE_PGM_RSRC2:TGID_Y_EN: 0
; COMPUTE_PGM_RSRC2:TGID_Z_EN: 0
; COMPUTE_PGM_RSRC2:TIDIG_COMP_CNT: 0
	.section	.text._ZN7rocprim17ROCPRIM_400000_NS6detail17trampoline_kernelINS0_13select_configILj256ELj13ELNS0_17block_load_methodE3ELS4_3ELS4_3ELNS0_20block_scan_algorithmE0ELj4294967295EEENS1_25partition_config_selectorILNS1_17partition_subalgoE4EjNS0_10empty_typeEbEEZZNS1_14partition_implILS8_4ELb0ES6_15HIP_vector_typeIjLj2EENS0_17counting_iteratorIjlEEPS9_SG_NS0_5tupleIJPjSI_NS0_16reverse_iteratorISI_EEEEENSH_IJSG_SG_SG_EEES9_SI_JZNS1_25segmented_radix_sort_implINS0_14default_configELb0EPKhPhPKlPlN2at6native12_GLOBAL__N_18offset_tEEE10hipError_tPvRmT1_PNSt15iterator_traitsIS12_E10value_typeET2_T3_PNS13_IS18_E10value_typeET4_jRbjT5_S1E_jjP12ihipStream_tbEUljE_ZNSN_ISO_Lb0ESQ_SR_ST_SU_SY_EESZ_S10_S11_S12_S16_S17_S18_S1B_S1C_jS1D_jS1E_S1E_jjS1G_bEUljE0_EEESZ_S10_S11_S18_S1C_S1E_T6_T7_T9_mT8_S1G_bDpT10_ENKUlT_T0_E_clISt17integral_constantIbLb0EES1T_IbLb1EEEEDaS1P_S1Q_EUlS1P_E_NS1_11comp_targetILNS1_3genE0ELNS1_11target_archE4294967295ELNS1_3gpuE0ELNS1_3repE0EEENS1_30default_config_static_selectorELNS0_4arch9wavefront6targetE1EEEvS12_,"axG",@progbits,_ZN7rocprim17ROCPRIM_400000_NS6detail17trampoline_kernelINS0_13select_configILj256ELj13ELNS0_17block_load_methodE3ELS4_3ELS4_3ELNS0_20block_scan_algorithmE0ELj4294967295EEENS1_25partition_config_selectorILNS1_17partition_subalgoE4EjNS0_10empty_typeEbEEZZNS1_14partition_implILS8_4ELb0ES6_15HIP_vector_typeIjLj2EENS0_17counting_iteratorIjlEEPS9_SG_NS0_5tupleIJPjSI_NS0_16reverse_iteratorISI_EEEEENSH_IJSG_SG_SG_EEES9_SI_JZNS1_25segmented_radix_sort_implINS0_14default_configELb0EPKhPhPKlPlN2at6native12_GLOBAL__N_18offset_tEEE10hipError_tPvRmT1_PNSt15iterator_traitsIS12_E10value_typeET2_T3_PNS13_IS18_E10value_typeET4_jRbjT5_S1E_jjP12ihipStream_tbEUljE_ZNSN_ISO_Lb0ESQ_SR_ST_SU_SY_EESZ_S10_S11_S12_S16_S17_S18_S1B_S1C_jS1D_jS1E_S1E_jjS1G_bEUljE0_EEESZ_S10_S11_S18_S1C_S1E_T6_T7_T9_mT8_S1G_bDpT10_ENKUlT_T0_E_clISt17integral_constantIbLb0EES1T_IbLb1EEEEDaS1P_S1Q_EUlS1P_E_NS1_11comp_targetILNS1_3genE0ELNS1_11target_archE4294967295ELNS1_3gpuE0ELNS1_3repE0EEENS1_30default_config_static_selectorELNS0_4arch9wavefront6targetE1EEEvS12_,comdat
	.globl	_ZN7rocprim17ROCPRIM_400000_NS6detail17trampoline_kernelINS0_13select_configILj256ELj13ELNS0_17block_load_methodE3ELS4_3ELS4_3ELNS0_20block_scan_algorithmE0ELj4294967295EEENS1_25partition_config_selectorILNS1_17partition_subalgoE4EjNS0_10empty_typeEbEEZZNS1_14partition_implILS8_4ELb0ES6_15HIP_vector_typeIjLj2EENS0_17counting_iteratorIjlEEPS9_SG_NS0_5tupleIJPjSI_NS0_16reverse_iteratorISI_EEEEENSH_IJSG_SG_SG_EEES9_SI_JZNS1_25segmented_radix_sort_implINS0_14default_configELb0EPKhPhPKlPlN2at6native12_GLOBAL__N_18offset_tEEE10hipError_tPvRmT1_PNSt15iterator_traitsIS12_E10value_typeET2_T3_PNS13_IS18_E10value_typeET4_jRbjT5_S1E_jjP12ihipStream_tbEUljE_ZNSN_ISO_Lb0ESQ_SR_ST_SU_SY_EESZ_S10_S11_S12_S16_S17_S18_S1B_S1C_jS1D_jS1E_S1E_jjS1G_bEUljE0_EEESZ_S10_S11_S18_S1C_S1E_T6_T7_T9_mT8_S1G_bDpT10_ENKUlT_T0_E_clISt17integral_constantIbLb0EES1T_IbLb1EEEEDaS1P_S1Q_EUlS1P_E_NS1_11comp_targetILNS1_3genE0ELNS1_11target_archE4294967295ELNS1_3gpuE0ELNS1_3repE0EEENS1_30default_config_static_selectorELNS0_4arch9wavefront6targetE1EEEvS12_ ; -- Begin function _ZN7rocprim17ROCPRIM_400000_NS6detail17trampoline_kernelINS0_13select_configILj256ELj13ELNS0_17block_load_methodE3ELS4_3ELS4_3ELNS0_20block_scan_algorithmE0ELj4294967295EEENS1_25partition_config_selectorILNS1_17partition_subalgoE4EjNS0_10empty_typeEbEEZZNS1_14partition_implILS8_4ELb0ES6_15HIP_vector_typeIjLj2EENS0_17counting_iteratorIjlEEPS9_SG_NS0_5tupleIJPjSI_NS0_16reverse_iteratorISI_EEEEENSH_IJSG_SG_SG_EEES9_SI_JZNS1_25segmented_radix_sort_implINS0_14default_configELb0EPKhPhPKlPlN2at6native12_GLOBAL__N_18offset_tEEE10hipError_tPvRmT1_PNSt15iterator_traitsIS12_E10value_typeET2_T3_PNS13_IS18_E10value_typeET4_jRbjT5_S1E_jjP12ihipStream_tbEUljE_ZNSN_ISO_Lb0ESQ_SR_ST_SU_SY_EESZ_S10_S11_S12_S16_S17_S18_S1B_S1C_jS1D_jS1E_S1E_jjS1G_bEUljE0_EEESZ_S10_S11_S18_S1C_S1E_T6_T7_T9_mT8_S1G_bDpT10_ENKUlT_T0_E_clISt17integral_constantIbLb0EES1T_IbLb1EEEEDaS1P_S1Q_EUlS1P_E_NS1_11comp_targetILNS1_3genE0ELNS1_11target_archE4294967295ELNS1_3gpuE0ELNS1_3repE0EEENS1_30default_config_static_selectorELNS0_4arch9wavefront6targetE1EEEvS12_
	.p2align	8
	.type	_ZN7rocprim17ROCPRIM_400000_NS6detail17trampoline_kernelINS0_13select_configILj256ELj13ELNS0_17block_load_methodE3ELS4_3ELS4_3ELNS0_20block_scan_algorithmE0ELj4294967295EEENS1_25partition_config_selectorILNS1_17partition_subalgoE4EjNS0_10empty_typeEbEEZZNS1_14partition_implILS8_4ELb0ES6_15HIP_vector_typeIjLj2EENS0_17counting_iteratorIjlEEPS9_SG_NS0_5tupleIJPjSI_NS0_16reverse_iteratorISI_EEEEENSH_IJSG_SG_SG_EEES9_SI_JZNS1_25segmented_radix_sort_implINS0_14default_configELb0EPKhPhPKlPlN2at6native12_GLOBAL__N_18offset_tEEE10hipError_tPvRmT1_PNSt15iterator_traitsIS12_E10value_typeET2_T3_PNS13_IS18_E10value_typeET4_jRbjT5_S1E_jjP12ihipStream_tbEUljE_ZNSN_ISO_Lb0ESQ_SR_ST_SU_SY_EESZ_S10_S11_S12_S16_S17_S18_S1B_S1C_jS1D_jS1E_S1E_jjS1G_bEUljE0_EEESZ_S10_S11_S18_S1C_S1E_T6_T7_T9_mT8_S1G_bDpT10_ENKUlT_T0_E_clISt17integral_constantIbLb0EES1T_IbLb1EEEEDaS1P_S1Q_EUlS1P_E_NS1_11comp_targetILNS1_3genE0ELNS1_11target_archE4294967295ELNS1_3gpuE0ELNS1_3repE0EEENS1_30default_config_static_selectorELNS0_4arch9wavefront6targetE1EEEvS12_,@function
_ZN7rocprim17ROCPRIM_400000_NS6detail17trampoline_kernelINS0_13select_configILj256ELj13ELNS0_17block_load_methodE3ELS4_3ELS4_3ELNS0_20block_scan_algorithmE0ELj4294967295EEENS1_25partition_config_selectorILNS1_17partition_subalgoE4EjNS0_10empty_typeEbEEZZNS1_14partition_implILS8_4ELb0ES6_15HIP_vector_typeIjLj2EENS0_17counting_iteratorIjlEEPS9_SG_NS0_5tupleIJPjSI_NS0_16reverse_iteratorISI_EEEEENSH_IJSG_SG_SG_EEES9_SI_JZNS1_25segmented_radix_sort_implINS0_14default_configELb0EPKhPhPKlPlN2at6native12_GLOBAL__N_18offset_tEEE10hipError_tPvRmT1_PNSt15iterator_traitsIS12_E10value_typeET2_T3_PNS13_IS18_E10value_typeET4_jRbjT5_S1E_jjP12ihipStream_tbEUljE_ZNSN_ISO_Lb0ESQ_SR_ST_SU_SY_EESZ_S10_S11_S12_S16_S17_S18_S1B_S1C_jS1D_jS1E_S1E_jjS1G_bEUljE0_EEESZ_S10_S11_S18_S1C_S1E_T6_T7_T9_mT8_S1G_bDpT10_ENKUlT_T0_E_clISt17integral_constantIbLb0EES1T_IbLb1EEEEDaS1P_S1Q_EUlS1P_E_NS1_11comp_targetILNS1_3genE0ELNS1_11target_archE4294967295ELNS1_3gpuE0ELNS1_3repE0EEENS1_30default_config_static_selectorELNS0_4arch9wavefront6targetE1EEEvS12_: ; @_ZN7rocprim17ROCPRIM_400000_NS6detail17trampoline_kernelINS0_13select_configILj256ELj13ELNS0_17block_load_methodE3ELS4_3ELS4_3ELNS0_20block_scan_algorithmE0ELj4294967295EEENS1_25partition_config_selectorILNS1_17partition_subalgoE4EjNS0_10empty_typeEbEEZZNS1_14partition_implILS8_4ELb0ES6_15HIP_vector_typeIjLj2EENS0_17counting_iteratorIjlEEPS9_SG_NS0_5tupleIJPjSI_NS0_16reverse_iteratorISI_EEEEENSH_IJSG_SG_SG_EEES9_SI_JZNS1_25segmented_radix_sort_implINS0_14default_configELb0EPKhPhPKlPlN2at6native12_GLOBAL__N_18offset_tEEE10hipError_tPvRmT1_PNSt15iterator_traitsIS12_E10value_typeET2_T3_PNS13_IS18_E10value_typeET4_jRbjT5_S1E_jjP12ihipStream_tbEUljE_ZNSN_ISO_Lb0ESQ_SR_ST_SU_SY_EESZ_S10_S11_S12_S16_S17_S18_S1B_S1C_jS1D_jS1E_S1E_jjS1G_bEUljE0_EEESZ_S10_S11_S18_S1C_S1E_T6_T7_T9_mT8_S1G_bDpT10_ENKUlT_T0_E_clISt17integral_constantIbLb0EES1T_IbLb1EEEEDaS1P_S1Q_EUlS1P_E_NS1_11comp_targetILNS1_3genE0ELNS1_11target_archE4294967295ELNS1_3gpuE0ELNS1_3repE0EEENS1_30default_config_static_selectorELNS0_4arch9wavefront6targetE1EEEvS12_
; %bb.0:
	.section	.rodata,"a",@progbits
	.p2align	6, 0x0
	.amdhsa_kernel _ZN7rocprim17ROCPRIM_400000_NS6detail17trampoline_kernelINS0_13select_configILj256ELj13ELNS0_17block_load_methodE3ELS4_3ELS4_3ELNS0_20block_scan_algorithmE0ELj4294967295EEENS1_25partition_config_selectorILNS1_17partition_subalgoE4EjNS0_10empty_typeEbEEZZNS1_14partition_implILS8_4ELb0ES6_15HIP_vector_typeIjLj2EENS0_17counting_iteratorIjlEEPS9_SG_NS0_5tupleIJPjSI_NS0_16reverse_iteratorISI_EEEEENSH_IJSG_SG_SG_EEES9_SI_JZNS1_25segmented_radix_sort_implINS0_14default_configELb0EPKhPhPKlPlN2at6native12_GLOBAL__N_18offset_tEEE10hipError_tPvRmT1_PNSt15iterator_traitsIS12_E10value_typeET2_T3_PNS13_IS18_E10value_typeET4_jRbjT5_S1E_jjP12ihipStream_tbEUljE_ZNSN_ISO_Lb0ESQ_SR_ST_SU_SY_EESZ_S10_S11_S12_S16_S17_S18_S1B_S1C_jS1D_jS1E_S1E_jjS1G_bEUljE0_EEESZ_S10_S11_S18_S1C_S1E_T6_T7_T9_mT8_S1G_bDpT10_ENKUlT_T0_E_clISt17integral_constantIbLb0EES1T_IbLb1EEEEDaS1P_S1Q_EUlS1P_E_NS1_11comp_targetILNS1_3genE0ELNS1_11target_archE4294967295ELNS1_3gpuE0ELNS1_3repE0EEENS1_30default_config_static_selectorELNS0_4arch9wavefront6targetE1EEEvS12_
		.amdhsa_group_segment_fixed_size 0
		.amdhsa_private_segment_fixed_size 0
		.amdhsa_kernarg_size 184
		.amdhsa_user_sgpr_count 6
		.amdhsa_user_sgpr_private_segment_buffer 1
		.amdhsa_user_sgpr_dispatch_ptr 0
		.amdhsa_user_sgpr_queue_ptr 0
		.amdhsa_user_sgpr_kernarg_segment_ptr 1
		.amdhsa_user_sgpr_dispatch_id 0
		.amdhsa_user_sgpr_flat_scratch_init 0
		.amdhsa_user_sgpr_private_segment_size 0
		.amdhsa_uses_dynamic_stack 0
		.amdhsa_system_sgpr_private_segment_wavefront_offset 0
		.amdhsa_system_sgpr_workgroup_id_x 1
		.amdhsa_system_sgpr_workgroup_id_y 0
		.amdhsa_system_sgpr_workgroup_id_z 0
		.amdhsa_system_sgpr_workgroup_info 0
		.amdhsa_system_vgpr_workitem_id 0
		.amdhsa_next_free_vgpr 1
		.amdhsa_next_free_sgpr 0
		.amdhsa_reserve_vcc 0
		.amdhsa_reserve_flat_scratch 0
		.amdhsa_float_round_mode_32 0
		.amdhsa_float_round_mode_16_64 0
		.amdhsa_float_denorm_mode_32 3
		.amdhsa_float_denorm_mode_16_64 3
		.amdhsa_dx10_clamp 1
		.amdhsa_ieee_mode 1
		.amdhsa_fp16_overflow 0
		.amdhsa_exception_fp_ieee_invalid_op 0
		.amdhsa_exception_fp_denorm_src 0
		.amdhsa_exception_fp_ieee_div_zero 0
		.amdhsa_exception_fp_ieee_overflow 0
		.amdhsa_exception_fp_ieee_underflow 0
		.amdhsa_exception_fp_ieee_inexact 0
		.amdhsa_exception_int_div_zero 0
	.end_amdhsa_kernel
	.section	.text._ZN7rocprim17ROCPRIM_400000_NS6detail17trampoline_kernelINS0_13select_configILj256ELj13ELNS0_17block_load_methodE3ELS4_3ELS4_3ELNS0_20block_scan_algorithmE0ELj4294967295EEENS1_25partition_config_selectorILNS1_17partition_subalgoE4EjNS0_10empty_typeEbEEZZNS1_14partition_implILS8_4ELb0ES6_15HIP_vector_typeIjLj2EENS0_17counting_iteratorIjlEEPS9_SG_NS0_5tupleIJPjSI_NS0_16reverse_iteratorISI_EEEEENSH_IJSG_SG_SG_EEES9_SI_JZNS1_25segmented_radix_sort_implINS0_14default_configELb0EPKhPhPKlPlN2at6native12_GLOBAL__N_18offset_tEEE10hipError_tPvRmT1_PNSt15iterator_traitsIS12_E10value_typeET2_T3_PNS13_IS18_E10value_typeET4_jRbjT5_S1E_jjP12ihipStream_tbEUljE_ZNSN_ISO_Lb0ESQ_SR_ST_SU_SY_EESZ_S10_S11_S12_S16_S17_S18_S1B_S1C_jS1D_jS1E_S1E_jjS1G_bEUljE0_EEESZ_S10_S11_S18_S1C_S1E_T6_T7_T9_mT8_S1G_bDpT10_ENKUlT_T0_E_clISt17integral_constantIbLb0EES1T_IbLb1EEEEDaS1P_S1Q_EUlS1P_E_NS1_11comp_targetILNS1_3genE0ELNS1_11target_archE4294967295ELNS1_3gpuE0ELNS1_3repE0EEENS1_30default_config_static_selectorELNS0_4arch9wavefront6targetE1EEEvS12_,"axG",@progbits,_ZN7rocprim17ROCPRIM_400000_NS6detail17trampoline_kernelINS0_13select_configILj256ELj13ELNS0_17block_load_methodE3ELS4_3ELS4_3ELNS0_20block_scan_algorithmE0ELj4294967295EEENS1_25partition_config_selectorILNS1_17partition_subalgoE4EjNS0_10empty_typeEbEEZZNS1_14partition_implILS8_4ELb0ES6_15HIP_vector_typeIjLj2EENS0_17counting_iteratorIjlEEPS9_SG_NS0_5tupleIJPjSI_NS0_16reverse_iteratorISI_EEEEENSH_IJSG_SG_SG_EEES9_SI_JZNS1_25segmented_radix_sort_implINS0_14default_configELb0EPKhPhPKlPlN2at6native12_GLOBAL__N_18offset_tEEE10hipError_tPvRmT1_PNSt15iterator_traitsIS12_E10value_typeET2_T3_PNS13_IS18_E10value_typeET4_jRbjT5_S1E_jjP12ihipStream_tbEUljE_ZNSN_ISO_Lb0ESQ_SR_ST_SU_SY_EESZ_S10_S11_S12_S16_S17_S18_S1B_S1C_jS1D_jS1E_S1E_jjS1G_bEUljE0_EEESZ_S10_S11_S18_S1C_S1E_T6_T7_T9_mT8_S1G_bDpT10_ENKUlT_T0_E_clISt17integral_constantIbLb0EES1T_IbLb1EEEEDaS1P_S1Q_EUlS1P_E_NS1_11comp_targetILNS1_3genE0ELNS1_11target_archE4294967295ELNS1_3gpuE0ELNS1_3repE0EEENS1_30default_config_static_selectorELNS0_4arch9wavefront6targetE1EEEvS12_,comdat
.Lfunc_end146:
	.size	_ZN7rocprim17ROCPRIM_400000_NS6detail17trampoline_kernelINS0_13select_configILj256ELj13ELNS0_17block_load_methodE3ELS4_3ELS4_3ELNS0_20block_scan_algorithmE0ELj4294967295EEENS1_25partition_config_selectorILNS1_17partition_subalgoE4EjNS0_10empty_typeEbEEZZNS1_14partition_implILS8_4ELb0ES6_15HIP_vector_typeIjLj2EENS0_17counting_iteratorIjlEEPS9_SG_NS0_5tupleIJPjSI_NS0_16reverse_iteratorISI_EEEEENSH_IJSG_SG_SG_EEES9_SI_JZNS1_25segmented_radix_sort_implINS0_14default_configELb0EPKhPhPKlPlN2at6native12_GLOBAL__N_18offset_tEEE10hipError_tPvRmT1_PNSt15iterator_traitsIS12_E10value_typeET2_T3_PNS13_IS18_E10value_typeET4_jRbjT5_S1E_jjP12ihipStream_tbEUljE_ZNSN_ISO_Lb0ESQ_SR_ST_SU_SY_EESZ_S10_S11_S12_S16_S17_S18_S1B_S1C_jS1D_jS1E_S1E_jjS1G_bEUljE0_EEESZ_S10_S11_S18_S1C_S1E_T6_T7_T9_mT8_S1G_bDpT10_ENKUlT_T0_E_clISt17integral_constantIbLb0EES1T_IbLb1EEEEDaS1P_S1Q_EUlS1P_E_NS1_11comp_targetILNS1_3genE0ELNS1_11target_archE4294967295ELNS1_3gpuE0ELNS1_3repE0EEENS1_30default_config_static_selectorELNS0_4arch9wavefront6targetE1EEEvS12_, .Lfunc_end146-_ZN7rocprim17ROCPRIM_400000_NS6detail17trampoline_kernelINS0_13select_configILj256ELj13ELNS0_17block_load_methodE3ELS4_3ELS4_3ELNS0_20block_scan_algorithmE0ELj4294967295EEENS1_25partition_config_selectorILNS1_17partition_subalgoE4EjNS0_10empty_typeEbEEZZNS1_14partition_implILS8_4ELb0ES6_15HIP_vector_typeIjLj2EENS0_17counting_iteratorIjlEEPS9_SG_NS0_5tupleIJPjSI_NS0_16reverse_iteratorISI_EEEEENSH_IJSG_SG_SG_EEES9_SI_JZNS1_25segmented_radix_sort_implINS0_14default_configELb0EPKhPhPKlPlN2at6native12_GLOBAL__N_18offset_tEEE10hipError_tPvRmT1_PNSt15iterator_traitsIS12_E10value_typeET2_T3_PNS13_IS18_E10value_typeET4_jRbjT5_S1E_jjP12ihipStream_tbEUljE_ZNSN_ISO_Lb0ESQ_SR_ST_SU_SY_EESZ_S10_S11_S12_S16_S17_S18_S1B_S1C_jS1D_jS1E_S1E_jjS1G_bEUljE0_EEESZ_S10_S11_S18_S1C_S1E_T6_T7_T9_mT8_S1G_bDpT10_ENKUlT_T0_E_clISt17integral_constantIbLb0EES1T_IbLb1EEEEDaS1P_S1Q_EUlS1P_E_NS1_11comp_targetILNS1_3genE0ELNS1_11target_archE4294967295ELNS1_3gpuE0ELNS1_3repE0EEENS1_30default_config_static_selectorELNS0_4arch9wavefront6targetE1EEEvS12_
                                        ; -- End function
	.set _ZN7rocprim17ROCPRIM_400000_NS6detail17trampoline_kernelINS0_13select_configILj256ELj13ELNS0_17block_load_methodE3ELS4_3ELS4_3ELNS0_20block_scan_algorithmE0ELj4294967295EEENS1_25partition_config_selectorILNS1_17partition_subalgoE4EjNS0_10empty_typeEbEEZZNS1_14partition_implILS8_4ELb0ES6_15HIP_vector_typeIjLj2EENS0_17counting_iteratorIjlEEPS9_SG_NS0_5tupleIJPjSI_NS0_16reverse_iteratorISI_EEEEENSH_IJSG_SG_SG_EEES9_SI_JZNS1_25segmented_radix_sort_implINS0_14default_configELb0EPKhPhPKlPlN2at6native12_GLOBAL__N_18offset_tEEE10hipError_tPvRmT1_PNSt15iterator_traitsIS12_E10value_typeET2_T3_PNS13_IS18_E10value_typeET4_jRbjT5_S1E_jjP12ihipStream_tbEUljE_ZNSN_ISO_Lb0ESQ_SR_ST_SU_SY_EESZ_S10_S11_S12_S16_S17_S18_S1B_S1C_jS1D_jS1E_S1E_jjS1G_bEUljE0_EEESZ_S10_S11_S18_S1C_S1E_T6_T7_T9_mT8_S1G_bDpT10_ENKUlT_T0_E_clISt17integral_constantIbLb0EES1T_IbLb1EEEEDaS1P_S1Q_EUlS1P_E_NS1_11comp_targetILNS1_3genE0ELNS1_11target_archE4294967295ELNS1_3gpuE0ELNS1_3repE0EEENS1_30default_config_static_selectorELNS0_4arch9wavefront6targetE1EEEvS12_.num_vgpr, 0
	.set _ZN7rocprim17ROCPRIM_400000_NS6detail17trampoline_kernelINS0_13select_configILj256ELj13ELNS0_17block_load_methodE3ELS4_3ELS4_3ELNS0_20block_scan_algorithmE0ELj4294967295EEENS1_25partition_config_selectorILNS1_17partition_subalgoE4EjNS0_10empty_typeEbEEZZNS1_14partition_implILS8_4ELb0ES6_15HIP_vector_typeIjLj2EENS0_17counting_iteratorIjlEEPS9_SG_NS0_5tupleIJPjSI_NS0_16reverse_iteratorISI_EEEEENSH_IJSG_SG_SG_EEES9_SI_JZNS1_25segmented_radix_sort_implINS0_14default_configELb0EPKhPhPKlPlN2at6native12_GLOBAL__N_18offset_tEEE10hipError_tPvRmT1_PNSt15iterator_traitsIS12_E10value_typeET2_T3_PNS13_IS18_E10value_typeET4_jRbjT5_S1E_jjP12ihipStream_tbEUljE_ZNSN_ISO_Lb0ESQ_SR_ST_SU_SY_EESZ_S10_S11_S12_S16_S17_S18_S1B_S1C_jS1D_jS1E_S1E_jjS1G_bEUljE0_EEESZ_S10_S11_S18_S1C_S1E_T6_T7_T9_mT8_S1G_bDpT10_ENKUlT_T0_E_clISt17integral_constantIbLb0EES1T_IbLb1EEEEDaS1P_S1Q_EUlS1P_E_NS1_11comp_targetILNS1_3genE0ELNS1_11target_archE4294967295ELNS1_3gpuE0ELNS1_3repE0EEENS1_30default_config_static_selectorELNS0_4arch9wavefront6targetE1EEEvS12_.num_agpr, 0
	.set _ZN7rocprim17ROCPRIM_400000_NS6detail17trampoline_kernelINS0_13select_configILj256ELj13ELNS0_17block_load_methodE3ELS4_3ELS4_3ELNS0_20block_scan_algorithmE0ELj4294967295EEENS1_25partition_config_selectorILNS1_17partition_subalgoE4EjNS0_10empty_typeEbEEZZNS1_14partition_implILS8_4ELb0ES6_15HIP_vector_typeIjLj2EENS0_17counting_iteratorIjlEEPS9_SG_NS0_5tupleIJPjSI_NS0_16reverse_iteratorISI_EEEEENSH_IJSG_SG_SG_EEES9_SI_JZNS1_25segmented_radix_sort_implINS0_14default_configELb0EPKhPhPKlPlN2at6native12_GLOBAL__N_18offset_tEEE10hipError_tPvRmT1_PNSt15iterator_traitsIS12_E10value_typeET2_T3_PNS13_IS18_E10value_typeET4_jRbjT5_S1E_jjP12ihipStream_tbEUljE_ZNSN_ISO_Lb0ESQ_SR_ST_SU_SY_EESZ_S10_S11_S12_S16_S17_S18_S1B_S1C_jS1D_jS1E_S1E_jjS1G_bEUljE0_EEESZ_S10_S11_S18_S1C_S1E_T6_T7_T9_mT8_S1G_bDpT10_ENKUlT_T0_E_clISt17integral_constantIbLb0EES1T_IbLb1EEEEDaS1P_S1Q_EUlS1P_E_NS1_11comp_targetILNS1_3genE0ELNS1_11target_archE4294967295ELNS1_3gpuE0ELNS1_3repE0EEENS1_30default_config_static_selectorELNS0_4arch9wavefront6targetE1EEEvS12_.numbered_sgpr, 0
	.set _ZN7rocprim17ROCPRIM_400000_NS6detail17trampoline_kernelINS0_13select_configILj256ELj13ELNS0_17block_load_methodE3ELS4_3ELS4_3ELNS0_20block_scan_algorithmE0ELj4294967295EEENS1_25partition_config_selectorILNS1_17partition_subalgoE4EjNS0_10empty_typeEbEEZZNS1_14partition_implILS8_4ELb0ES6_15HIP_vector_typeIjLj2EENS0_17counting_iteratorIjlEEPS9_SG_NS0_5tupleIJPjSI_NS0_16reverse_iteratorISI_EEEEENSH_IJSG_SG_SG_EEES9_SI_JZNS1_25segmented_radix_sort_implINS0_14default_configELb0EPKhPhPKlPlN2at6native12_GLOBAL__N_18offset_tEEE10hipError_tPvRmT1_PNSt15iterator_traitsIS12_E10value_typeET2_T3_PNS13_IS18_E10value_typeET4_jRbjT5_S1E_jjP12ihipStream_tbEUljE_ZNSN_ISO_Lb0ESQ_SR_ST_SU_SY_EESZ_S10_S11_S12_S16_S17_S18_S1B_S1C_jS1D_jS1E_S1E_jjS1G_bEUljE0_EEESZ_S10_S11_S18_S1C_S1E_T6_T7_T9_mT8_S1G_bDpT10_ENKUlT_T0_E_clISt17integral_constantIbLb0EES1T_IbLb1EEEEDaS1P_S1Q_EUlS1P_E_NS1_11comp_targetILNS1_3genE0ELNS1_11target_archE4294967295ELNS1_3gpuE0ELNS1_3repE0EEENS1_30default_config_static_selectorELNS0_4arch9wavefront6targetE1EEEvS12_.num_named_barrier, 0
	.set _ZN7rocprim17ROCPRIM_400000_NS6detail17trampoline_kernelINS0_13select_configILj256ELj13ELNS0_17block_load_methodE3ELS4_3ELS4_3ELNS0_20block_scan_algorithmE0ELj4294967295EEENS1_25partition_config_selectorILNS1_17partition_subalgoE4EjNS0_10empty_typeEbEEZZNS1_14partition_implILS8_4ELb0ES6_15HIP_vector_typeIjLj2EENS0_17counting_iteratorIjlEEPS9_SG_NS0_5tupleIJPjSI_NS0_16reverse_iteratorISI_EEEEENSH_IJSG_SG_SG_EEES9_SI_JZNS1_25segmented_radix_sort_implINS0_14default_configELb0EPKhPhPKlPlN2at6native12_GLOBAL__N_18offset_tEEE10hipError_tPvRmT1_PNSt15iterator_traitsIS12_E10value_typeET2_T3_PNS13_IS18_E10value_typeET4_jRbjT5_S1E_jjP12ihipStream_tbEUljE_ZNSN_ISO_Lb0ESQ_SR_ST_SU_SY_EESZ_S10_S11_S12_S16_S17_S18_S1B_S1C_jS1D_jS1E_S1E_jjS1G_bEUljE0_EEESZ_S10_S11_S18_S1C_S1E_T6_T7_T9_mT8_S1G_bDpT10_ENKUlT_T0_E_clISt17integral_constantIbLb0EES1T_IbLb1EEEEDaS1P_S1Q_EUlS1P_E_NS1_11comp_targetILNS1_3genE0ELNS1_11target_archE4294967295ELNS1_3gpuE0ELNS1_3repE0EEENS1_30default_config_static_selectorELNS0_4arch9wavefront6targetE1EEEvS12_.private_seg_size, 0
	.set _ZN7rocprim17ROCPRIM_400000_NS6detail17trampoline_kernelINS0_13select_configILj256ELj13ELNS0_17block_load_methodE3ELS4_3ELS4_3ELNS0_20block_scan_algorithmE0ELj4294967295EEENS1_25partition_config_selectorILNS1_17partition_subalgoE4EjNS0_10empty_typeEbEEZZNS1_14partition_implILS8_4ELb0ES6_15HIP_vector_typeIjLj2EENS0_17counting_iteratorIjlEEPS9_SG_NS0_5tupleIJPjSI_NS0_16reverse_iteratorISI_EEEEENSH_IJSG_SG_SG_EEES9_SI_JZNS1_25segmented_radix_sort_implINS0_14default_configELb0EPKhPhPKlPlN2at6native12_GLOBAL__N_18offset_tEEE10hipError_tPvRmT1_PNSt15iterator_traitsIS12_E10value_typeET2_T3_PNS13_IS18_E10value_typeET4_jRbjT5_S1E_jjP12ihipStream_tbEUljE_ZNSN_ISO_Lb0ESQ_SR_ST_SU_SY_EESZ_S10_S11_S12_S16_S17_S18_S1B_S1C_jS1D_jS1E_S1E_jjS1G_bEUljE0_EEESZ_S10_S11_S18_S1C_S1E_T6_T7_T9_mT8_S1G_bDpT10_ENKUlT_T0_E_clISt17integral_constantIbLb0EES1T_IbLb1EEEEDaS1P_S1Q_EUlS1P_E_NS1_11comp_targetILNS1_3genE0ELNS1_11target_archE4294967295ELNS1_3gpuE0ELNS1_3repE0EEENS1_30default_config_static_selectorELNS0_4arch9wavefront6targetE1EEEvS12_.uses_vcc, 0
	.set _ZN7rocprim17ROCPRIM_400000_NS6detail17trampoline_kernelINS0_13select_configILj256ELj13ELNS0_17block_load_methodE3ELS4_3ELS4_3ELNS0_20block_scan_algorithmE0ELj4294967295EEENS1_25partition_config_selectorILNS1_17partition_subalgoE4EjNS0_10empty_typeEbEEZZNS1_14partition_implILS8_4ELb0ES6_15HIP_vector_typeIjLj2EENS0_17counting_iteratorIjlEEPS9_SG_NS0_5tupleIJPjSI_NS0_16reverse_iteratorISI_EEEEENSH_IJSG_SG_SG_EEES9_SI_JZNS1_25segmented_radix_sort_implINS0_14default_configELb0EPKhPhPKlPlN2at6native12_GLOBAL__N_18offset_tEEE10hipError_tPvRmT1_PNSt15iterator_traitsIS12_E10value_typeET2_T3_PNS13_IS18_E10value_typeET4_jRbjT5_S1E_jjP12ihipStream_tbEUljE_ZNSN_ISO_Lb0ESQ_SR_ST_SU_SY_EESZ_S10_S11_S12_S16_S17_S18_S1B_S1C_jS1D_jS1E_S1E_jjS1G_bEUljE0_EEESZ_S10_S11_S18_S1C_S1E_T6_T7_T9_mT8_S1G_bDpT10_ENKUlT_T0_E_clISt17integral_constantIbLb0EES1T_IbLb1EEEEDaS1P_S1Q_EUlS1P_E_NS1_11comp_targetILNS1_3genE0ELNS1_11target_archE4294967295ELNS1_3gpuE0ELNS1_3repE0EEENS1_30default_config_static_selectorELNS0_4arch9wavefront6targetE1EEEvS12_.uses_flat_scratch, 0
	.set _ZN7rocprim17ROCPRIM_400000_NS6detail17trampoline_kernelINS0_13select_configILj256ELj13ELNS0_17block_load_methodE3ELS4_3ELS4_3ELNS0_20block_scan_algorithmE0ELj4294967295EEENS1_25partition_config_selectorILNS1_17partition_subalgoE4EjNS0_10empty_typeEbEEZZNS1_14partition_implILS8_4ELb0ES6_15HIP_vector_typeIjLj2EENS0_17counting_iteratorIjlEEPS9_SG_NS0_5tupleIJPjSI_NS0_16reverse_iteratorISI_EEEEENSH_IJSG_SG_SG_EEES9_SI_JZNS1_25segmented_radix_sort_implINS0_14default_configELb0EPKhPhPKlPlN2at6native12_GLOBAL__N_18offset_tEEE10hipError_tPvRmT1_PNSt15iterator_traitsIS12_E10value_typeET2_T3_PNS13_IS18_E10value_typeET4_jRbjT5_S1E_jjP12ihipStream_tbEUljE_ZNSN_ISO_Lb0ESQ_SR_ST_SU_SY_EESZ_S10_S11_S12_S16_S17_S18_S1B_S1C_jS1D_jS1E_S1E_jjS1G_bEUljE0_EEESZ_S10_S11_S18_S1C_S1E_T6_T7_T9_mT8_S1G_bDpT10_ENKUlT_T0_E_clISt17integral_constantIbLb0EES1T_IbLb1EEEEDaS1P_S1Q_EUlS1P_E_NS1_11comp_targetILNS1_3genE0ELNS1_11target_archE4294967295ELNS1_3gpuE0ELNS1_3repE0EEENS1_30default_config_static_selectorELNS0_4arch9wavefront6targetE1EEEvS12_.has_dyn_sized_stack, 0
	.set _ZN7rocprim17ROCPRIM_400000_NS6detail17trampoline_kernelINS0_13select_configILj256ELj13ELNS0_17block_load_methodE3ELS4_3ELS4_3ELNS0_20block_scan_algorithmE0ELj4294967295EEENS1_25partition_config_selectorILNS1_17partition_subalgoE4EjNS0_10empty_typeEbEEZZNS1_14partition_implILS8_4ELb0ES6_15HIP_vector_typeIjLj2EENS0_17counting_iteratorIjlEEPS9_SG_NS0_5tupleIJPjSI_NS0_16reverse_iteratorISI_EEEEENSH_IJSG_SG_SG_EEES9_SI_JZNS1_25segmented_radix_sort_implINS0_14default_configELb0EPKhPhPKlPlN2at6native12_GLOBAL__N_18offset_tEEE10hipError_tPvRmT1_PNSt15iterator_traitsIS12_E10value_typeET2_T3_PNS13_IS18_E10value_typeET4_jRbjT5_S1E_jjP12ihipStream_tbEUljE_ZNSN_ISO_Lb0ESQ_SR_ST_SU_SY_EESZ_S10_S11_S12_S16_S17_S18_S1B_S1C_jS1D_jS1E_S1E_jjS1G_bEUljE0_EEESZ_S10_S11_S18_S1C_S1E_T6_T7_T9_mT8_S1G_bDpT10_ENKUlT_T0_E_clISt17integral_constantIbLb0EES1T_IbLb1EEEEDaS1P_S1Q_EUlS1P_E_NS1_11comp_targetILNS1_3genE0ELNS1_11target_archE4294967295ELNS1_3gpuE0ELNS1_3repE0EEENS1_30default_config_static_selectorELNS0_4arch9wavefront6targetE1EEEvS12_.has_recursion, 0
	.set _ZN7rocprim17ROCPRIM_400000_NS6detail17trampoline_kernelINS0_13select_configILj256ELj13ELNS0_17block_load_methodE3ELS4_3ELS4_3ELNS0_20block_scan_algorithmE0ELj4294967295EEENS1_25partition_config_selectorILNS1_17partition_subalgoE4EjNS0_10empty_typeEbEEZZNS1_14partition_implILS8_4ELb0ES6_15HIP_vector_typeIjLj2EENS0_17counting_iteratorIjlEEPS9_SG_NS0_5tupleIJPjSI_NS0_16reverse_iteratorISI_EEEEENSH_IJSG_SG_SG_EEES9_SI_JZNS1_25segmented_radix_sort_implINS0_14default_configELb0EPKhPhPKlPlN2at6native12_GLOBAL__N_18offset_tEEE10hipError_tPvRmT1_PNSt15iterator_traitsIS12_E10value_typeET2_T3_PNS13_IS18_E10value_typeET4_jRbjT5_S1E_jjP12ihipStream_tbEUljE_ZNSN_ISO_Lb0ESQ_SR_ST_SU_SY_EESZ_S10_S11_S12_S16_S17_S18_S1B_S1C_jS1D_jS1E_S1E_jjS1G_bEUljE0_EEESZ_S10_S11_S18_S1C_S1E_T6_T7_T9_mT8_S1G_bDpT10_ENKUlT_T0_E_clISt17integral_constantIbLb0EES1T_IbLb1EEEEDaS1P_S1Q_EUlS1P_E_NS1_11comp_targetILNS1_3genE0ELNS1_11target_archE4294967295ELNS1_3gpuE0ELNS1_3repE0EEENS1_30default_config_static_selectorELNS0_4arch9wavefront6targetE1EEEvS12_.has_indirect_call, 0
	.section	.AMDGPU.csdata,"",@progbits
; Kernel info:
; codeLenInByte = 0
; TotalNumSgprs: 4
; NumVgprs: 0
; ScratchSize: 0
; MemoryBound: 0
; FloatMode: 240
; IeeeMode: 1
; LDSByteSize: 0 bytes/workgroup (compile time only)
; SGPRBlocks: 0
; VGPRBlocks: 0
; NumSGPRsForWavesPerEU: 4
; NumVGPRsForWavesPerEU: 1
; Occupancy: 10
; WaveLimiterHint : 0
; COMPUTE_PGM_RSRC2:SCRATCH_EN: 0
; COMPUTE_PGM_RSRC2:USER_SGPR: 6
; COMPUTE_PGM_RSRC2:TRAP_HANDLER: 0
; COMPUTE_PGM_RSRC2:TGID_X_EN: 1
; COMPUTE_PGM_RSRC2:TGID_Y_EN: 0
; COMPUTE_PGM_RSRC2:TGID_Z_EN: 0
; COMPUTE_PGM_RSRC2:TIDIG_COMP_CNT: 0
	.section	.text._ZN7rocprim17ROCPRIM_400000_NS6detail17trampoline_kernelINS0_13select_configILj256ELj13ELNS0_17block_load_methodE3ELS4_3ELS4_3ELNS0_20block_scan_algorithmE0ELj4294967295EEENS1_25partition_config_selectorILNS1_17partition_subalgoE4EjNS0_10empty_typeEbEEZZNS1_14partition_implILS8_4ELb0ES6_15HIP_vector_typeIjLj2EENS0_17counting_iteratorIjlEEPS9_SG_NS0_5tupleIJPjSI_NS0_16reverse_iteratorISI_EEEEENSH_IJSG_SG_SG_EEES9_SI_JZNS1_25segmented_radix_sort_implINS0_14default_configELb0EPKhPhPKlPlN2at6native12_GLOBAL__N_18offset_tEEE10hipError_tPvRmT1_PNSt15iterator_traitsIS12_E10value_typeET2_T3_PNS13_IS18_E10value_typeET4_jRbjT5_S1E_jjP12ihipStream_tbEUljE_ZNSN_ISO_Lb0ESQ_SR_ST_SU_SY_EESZ_S10_S11_S12_S16_S17_S18_S1B_S1C_jS1D_jS1E_S1E_jjS1G_bEUljE0_EEESZ_S10_S11_S18_S1C_S1E_T6_T7_T9_mT8_S1G_bDpT10_ENKUlT_T0_E_clISt17integral_constantIbLb0EES1T_IbLb1EEEEDaS1P_S1Q_EUlS1P_E_NS1_11comp_targetILNS1_3genE5ELNS1_11target_archE942ELNS1_3gpuE9ELNS1_3repE0EEENS1_30default_config_static_selectorELNS0_4arch9wavefront6targetE1EEEvS12_,"axG",@progbits,_ZN7rocprim17ROCPRIM_400000_NS6detail17trampoline_kernelINS0_13select_configILj256ELj13ELNS0_17block_load_methodE3ELS4_3ELS4_3ELNS0_20block_scan_algorithmE0ELj4294967295EEENS1_25partition_config_selectorILNS1_17partition_subalgoE4EjNS0_10empty_typeEbEEZZNS1_14partition_implILS8_4ELb0ES6_15HIP_vector_typeIjLj2EENS0_17counting_iteratorIjlEEPS9_SG_NS0_5tupleIJPjSI_NS0_16reverse_iteratorISI_EEEEENSH_IJSG_SG_SG_EEES9_SI_JZNS1_25segmented_radix_sort_implINS0_14default_configELb0EPKhPhPKlPlN2at6native12_GLOBAL__N_18offset_tEEE10hipError_tPvRmT1_PNSt15iterator_traitsIS12_E10value_typeET2_T3_PNS13_IS18_E10value_typeET4_jRbjT5_S1E_jjP12ihipStream_tbEUljE_ZNSN_ISO_Lb0ESQ_SR_ST_SU_SY_EESZ_S10_S11_S12_S16_S17_S18_S1B_S1C_jS1D_jS1E_S1E_jjS1G_bEUljE0_EEESZ_S10_S11_S18_S1C_S1E_T6_T7_T9_mT8_S1G_bDpT10_ENKUlT_T0_E_clISt17integral_constantIbLb0EES1T_IbLb1EEEEDaS1P_S1Q_EUlS1P_E_NS1_11comp_targetILNS1_3genE5ELNS1_11target_archE942ELNS1_3gpuE9ELNS1_3repE0EEENS1_30default_config_static_selectorELNS0_4arch9wavefront6targetE1EEEvS12_,comdat
	.globl	_ZN7rocprim17ROCPRIM_400000_NS6detail17trampoline_kernelINS0_13select_configILj256ELj13ELNS0_17block_load_methodE3ELS4_3ELS4_3ELNS0_20block_scan_algorithmE0ELj4294967295EEENS1_25partition_config_selectorILNS1_17partition_subalgoE4EjNS0_10empty_typeEbEEZZNS1_14partition_implILS8_4ELb0ES6_15HIP_vector_typeIjLj2EENS0_17counting_iteratorIjlEEPS9_SG_NS0_5tupleIJPjSI_NS0_16reverse_iteratorISI_EEEEENSH_IJSG_SG_SG_EEES9_SI_JZNS1_25segmented_radix_sort_implINS0_14default_configELb0EPKhPhPKlPlN2at6native12_GLOBAL__N_18offset_tEEE10hipError_tPvRmT1_PNSt15iterator_traitsIS12_E10value_typeET2_T3_PNS13_IS18_E10value_typeET4_jRbjT5_S1E_jjP12ihipStream_tbEUljE_ZNSN_ISO_Lb0ESQ_SR_ST_SU_SY_EESZ_S10_S11_S12_S16_S17_S18_S1B_S1C_jS1D_jS1E_S1E_jjS1G_bEUljE0_EEESZ_S10_S11_S18_S1C_S1E_T6_T7_T9_mT8_S1G_bDpT10_ENKUlT_T0_E_clISt17integral_constantIbLb0EES1T_IbLb1EEEEDaS1P_S1Q_EUlS1P_E_NS1_11comp_targetILNS1_3genE5ELNS1_11target_archE942ELNS1_3gpuE9ELNS1_3repE0EEENS1_30default_config_static_selectorELNS0_4arch9wavefront6targetE1EEEvS12_ ; -- Begin function _ZN7rocprim17ROCPRIM_400000_NS6detail17trampoline_kernelINS0_13select_configILj256ELj13ELNS0_17block_load_methodE3ELS4_3ELS4_3ELNS0_20block_scan_algorithmE0ELj4294967295EEENS1_25partition_config_selectorILNS1_17partition_subalgoE4EjNS0_10empty_typeEbEEZZNS1_14partition_implILS8_4ELb0ES6_15HIP_vector_typeIjLj2EENS0_17counting_iteratorIjlEEPS9_SG_NS0_5tupleIJPjSI_NS0_16reverse_iteratorISI_EEEEENSH_IJSG_SG_SG_EEES9_SI_JZNS1_25segmented_radix_sort_implINS0_14default_configELb0EPKhPhPKlPlN2at6native12_GLOBAL__N_18offset_tEEE10hipError_tPvRmT1_PNSt15iterator_traitsIS12_E10value_typeET2_T3_PNS13_IS18_E10value_typeET4_jRbjT5_S1E_jjP12ihipStream_tbEUljE_ZNSN_ISO_Lb0ESQ_SR_ST_SU_SY_EESZ_S10_S11_S12_S16_S17_S18_S1B_S1C_jS1D_jS1E_S1E_jjS1G_bEUljE0_EEESZ_S10_S11_S18_S1C_S1E_T6_T7_T9_mT8_S1G_bDpT10_ENKUlT_T0_E_clISt17integral_constantIbLb0EES1T_IbLb1EEEEDaS1P_S1Q_EUlS1P_E_NS1_11comp_targetILNS1_3genE5ELNS1_11target_archE942ELNS1_3gpuE9ELNS1_3repE0EEENS1_30default_config_static_selectorELNS0_4arch9wavefront6targetE1EEEvS12_
	.p2align	8
	.type	_ZN7rocprim17ROCPRIM_400000_NS6detail17trampoline_kernelINS0_13select_configILj256ELj13ELNS0_17block_load_methodE3ELS4_3ELS4_3ELNS0_20block_scan_algorithmE0ELj4294967295EEENS1_25partition_config_selectorILNS1_17partition_subalgoE4EjNS0_10empty_typeEbEEZZNS1_14partition_implILS8_4ELb0ES6_15HIP_vector_typeIjLj2EENS0_17counting_iteratorIjlEEPS9_SG_NS0_5tupleIJPjSI_NS0_16reverse_iteratorISI_EEEEENSH_IJSG_SG_SG_EEES9_SI_JZNS1_25segmented_radix_sort_implINS0_14default_configELb0EPKhPhPKlPlN2at6native12_GLOBAL__N_18offset_tEEE10hipError_tPvRmT1_PNSt15iterator_traitsIS12_E10value_typeET2_T3_PNS13_IS18_E10value_typeET4_jRbjT5_S1E_jjP12ihipStream_tbEUljE_ZNSN_ISO_Lb0ESQ_SR_ST_SU_SY_EESZ_S10_S11_S12_S16_S17_S18_S1B_S1C_jS1D_jS1E_S1E_jjS1G_bEUljE0_EEESZ_S10_S11_S18_S1C_S1E_T6_T7_T9_mT8_S1G_bDpT10_ENKUlT_T0_E_clISt17integral_constantIbLb0EES1T_IbLb1EEEEDaS1P_S1Q_EUlS1P_E_NS1_11comp_targetILNS1_3genE5ELNS1_11target_archE942ELNS1_3gpuE9ELNS1_3repE0EEENS1_30default_config_static_selectorELNS0_4arch9wavefront6targetE1EEEvS12_,@function
_ZN7rocprim17ROCPRIM_400000_NS6detail17trampoline_kernelINS0_13select_configILj256ELj13ELNS0_17block_load_methodE3ELS4_3ELS4_3ELNS0_20block_scan_algorithmE0ELj4294967295EEENS1_25partition_config_selectorILNS1_17partition_subalgoE4EjNS0_10empty_typeEbEEZZNS1_14partition_implILS8_4ELb0ES6_15HIP_vector_typeIjLj2EENS0_17counting_iteratorIjlEEPS9_SG_NS0_5tupleIJPjSI_NS0_16reverse_iteratorISI_EEEEENSH_IJSG_SG_SG_EEES9_SI_JZNS1_25segmented_radix_sort_implINS0_14default_configELb0EPKhPhPKlPlN2at6native12_GLOBAL__N_18offset_tEEE10hipError_tPvRmT1_PNSt15iterator_traitsIS12_E10value_typeET2_T3_PNS13_IS18_E10value_typeET4_jRbjT5_S1E_jjP12ihipStream_tbEUljE_ZNSN_ISO_Lb0ESQ_SR_ST_SU_SY_EESZ_S10_S11_S12_S16_S17_S18_S1B_S1C_jS1D_jS1E_S1E_jjS1G_bEUljE0_EEESZ_S10_S11_S18_S1C_S1E_T6_T7_T9_mT8_S1G_bDpT10_ENKUlT_T0_E_clISt17integral_constantIbLb0EES1T_IbLb1EEEEDaS1P_S1Q_EUlS1P_E_NS1_11comp_targetILNS1_3genE5ELNS1_11target_archE942ELNS1_3gpuE9ELNS1_3repE0EEENS1_30default_config_static_selectorELNS0_4arch9wavefront6targetE1EEEvS12_: ; @_ZN7rocprim17ROCPRIM_400000_NS6detail17trampoline_kernelINS0_13select_configILj256ELj13ELNS0_17block_load_methodE3ELS4_3ELS4_3ELNS0_20block_scan_algorithmE0ELj4294967295EEENS1_25partition_config_selectorILNS1_17partition_subalgoE4EjNS0_10empty_typeEbEEZZNS1_14partition_implILS8_4ELb0ES6_15HIP_vector_typeIjLj2EENS0_17counting_iteratorIjlEEPS9_SG_NS0_5tupleIJPjSI_NS0_16reverse_iteratorISI_EEEEENSH_IJSG_SG_SG_EEES9_SI_JZNS1_25segmented_radix_sort_implINS0_14default_configELb0EPKhPhPKlPlN2at6native12_GLOBAL__N_18offset_tEEE10hipError_tPvRmT1_PNSt15iterator_traitsIS12_E10value_typeET2_T3_PNS13_IS18_E10value_typeET4_jRbjT5_S1E_jjP12ihipStream_tbEUljE_ZNSN_ISO_Lb0ESQ_SR_ST_SU_SY_EESZ_S10_S11_S12_S16_S17_S18_S1B_S1C_jS1D_jS1E_S1E_jjS1G_bEUljE0_EEESZ_S10_S11_S18_S1C_S1E_T6_T7_T9_mT8_S1G_bDpT10_ENKUlT_T0_E_clISt17integral_constantIbLb0EES1T_IbLb1EEEEDaS1P_S1Q_EUlS1P_E_NS1_11comp_targetILNS1_3genE5ELNS1_11target_archE942ELNS1_3gpuE9ELNS1_3repE0EEENS1_30default_config_static_selectorELNS0_4arch9wavefront6targetE1EEEvS12_
; %bb.0:
	.section	.rodata,"a",@progbits
	.p2align	6, 0x0
	.amdhsa_kernel _ZN7rocprim17ROCPRIM_400000_NS6detail17trampoline_kernelINS0_13select_configILj256ELj13ELNS0_17block_load_methodE3ELS4_3ELS4_3ELNS0_20block_scan_algorithmE0ELj4294967295EEENS1_25partition_config_selectorILNS1_17partition_subalgoE4EjNS0_10empty_typeEbEEZZNS1_14partition_implILS8_4ELb0ES6_15HIP_vector_typeIjLj2EENS0_17counting_iteratorIjlEEPS9_SG_NS0_5tupleIJPjSI_NS0_16reverse_iteratorISI_EEEEENSH_IJSG_SG_SG_EEES9_SI_JZNS1_25segmented_radix_sort_implINS0_14default_configELb0EPKhPhPKlPlN2at6native12_GLOBAL__N_18offset_tEEE10hipError_tPvRmT1_PNSt15iterator_traitsIS12_E10value_typeET2_T3_PNS13_IS18_E10value_typeET4_jRbjT5_S1E_jjP12ihipStream_tbEUljE_ZNSN_ISO_Lb0ESQ_SR_ST_SU_SY_EESZ_S10_S11_S12_S16_S17_S18_S1B_S1C_jS1D_jS1E_S1E_jjS1G_bEUljE0_EEESZ_S10_S11_S18_S1C_S1E_T6_T7_T9_mT8_S1G_bDpT10_ENKUlT_T0_E_clISt17integral_constantIbLb0EES1T_IbLb1EEEEDaS1P_S1Q_EUlS1P_E_NS1_11comp_targetILNS1_3genE5ELNS1_11target_archE942ELNS1_3gpuE9ELNS1_3repE0EEENS1_30default_config_static_selectorELNS0_4arch9wavefront6targetE1EEEvS12_
		.amdhsa_group_segment_fixed_size 0
		.amdhsa_private_segment_fixed_size 0
		.amdhsa_kernarg_size 184
		.amdhsa_user_sgpr_count 6
		.amdhsa_user_sgpr_private_segment_buffer 1
		.amdhsa_user_sgpr_dispatch_ptr 0
		.amdhsa_user_sgpr_queue_ptr 0
		.amdhsa_user_sgpr_kernarg_segment_ptr 1
		.amdhsa_user_sgpr_dispatch_id 0
		.amdhsa_user_sgpr_flat_scratch_init 0
		.amdhsa_user_sgpr_private_segment_size 0
		.amdhsa_uses_dynamic_stack 0
		.amdhsa_system_sgpr_private_segment_wavefront_offset 0
		.amdhsa_system_sgpr_workgroup_id_x 1
		.amdhsa_system_sgpr_workgroup_id_y 0
		.amdhsa_system_sgpr_workgroup_id_z 0
		.amdhsa_system_sgpr_workgroup_info 0
		.amdhsa_system_vgpr_workitem_id 0
		.amdhsa_next_free_vgpr 1
		.amdhsa_next_free_sgpr 0
		.amdhsa_reserve_vcc 0
		.amdhsa_reserve_flat_scratch 0
		.amdhsa_float_round_mode_32 0
		.amdhsa_float_round_mode_16_64 0
		.amdhsa_float_denorm_mode_32 3
		.amdhsa_float_denorm_mode_16_64 3
		.amdhsa_dx10_clamp 1
		.amdhsa_ieee_mode 1
		.amdhsa_fp16_overflow 0
		.amdhsa_exception_fp_ieee_invalid_op 0
		.amdhsa_exception_fp_denorm_src 0
		.amdhsa_exception_fp_ieee_div_zero 0
		.amdhsa_exception_fp_ieee_overflow 0
		.amdhsa_exception_fp_ieee_underflow 0
		.amdhsa_exception_fp_ieee_inexact 0
		.amdhsa_exception_int_div_zero 0
	.end_amdhsa_kernel
	.section	.text._ZN7rocprim17ROCPRIM_400000_NS6detail17trampoline_kernelINS0_13select_configILj256ELj13ELNS0_17block_load_methodE3ELS4_3ELS4_3ELNS0_20block_scan_algorithmE0ELj4294967295EEENS1_25partition_config_selectorILNS1_17partition_subalgoE4EjNS0_10empty_typeEbEEZZNS1_14partition_implILS8_4ELb0ES6_15HIP_vector_typeIjLj2EENS0_17counting_iteratorIjlEEPS9_SG_NS0_5tupleIJPjSI_NS0_16reverse_iteratorISI_EEEEENSH_IJSG_SG_SG_EEES9_SI_JZNS1_25segmented_radix_sort_implINS0_14default_configELb0EPKhPhPKlPlN2at6native12_GLOBAL__N_18offset_tEEE10hipError_tPvRmT1_PNSt15iterator_traitsIS12_E10value_typeET2_T3_PNS13_IS18_E10value_typeET4_jRbjT5_S1E_jjP12ihipStream_tbEUljE_ZNSN_ISO_Lb0ESQ_SR_ST_SU_SY_EESZ_S10_S11_S12_S16_S17_S18_S1B_S1C_jS1D_jS1E_S1E_jjS1G_bEUljE0_EEESZ_S10_S11_S18_S1C_S1E_T6_T7_T9_mT8_S1G_bDpT10_ENKUlT_T0_E_clISt17integral_constantIbLb0EES1T_IbLb1EEEEDaS1P_S1Q_EUlS1P_E_NS1_11comp_targetILNS1_3genE5ELNS1_11target_archE942ELNS1_3gpuE9ELNS1_3repE0EEENS1_30default_config_static_selectorELNS0_4arch9wavefront6targetE1EEEvS12_,"axG",@progbits,_ZN7rocprim17ROCPRIM_400000_NS6detail17trampoline_kernelINS0_13select_configILj256ELj13ELNS0_17block_load_methodE3ELS4_3ELS4_3ELNS0_20block_scan_algorithmE0ELj4294967295EEENS1_25partition_config_selectorILNS1_17partition_subalgoE4EjNS0_10empty_typeEbEEZZNS1_14partition_implILS8_4ELb0ES6_15HIP_vector_typeIjLj2EENS0_17counting_iteratorIjlEEPS9_SG_NS0_5tupleIJPjSI_NS0_16reverse_iteratorISI_EEEEENSH_IJSG_SG_SG_EEES9_SI_JZNS1_25segmented_radix_sort_implINS0_14default_configELb0EPKhPhPKlPlN2at6native12_GLOBAL__N_18offset_tEEE10hipError_tPvRmT1_PNSt15iterator_traitsIS12_E10value_typeET2_T3_PNS13_IS18_E10value_typeET4_jRbjT5_S1E_jjP12ihipStream_tbEUljE_ZNSN_ISO_Lb0ESQ_SR_ST_SU_SY_EESZ_S10_S11_S12_S16_S17_S18_S1B_S1C_jS1D_jS1E_S1E_jjS1G_bEUljE0_EEESZ_S10_S11_S18_S1C_S1E_T6_T7_T9_mT8_S1G_bDpT10_ENKUlT_T0_E_clISt17integral_constantIbLb0EES1T_IbLb1EEEEDaS1P_S1Q_EUlS1P_E_NS1_11comp_targetILNS1_3genE5ELNS1_11target_archE942ELNS1_3gpuE9ELNS1_3repE0EEENS1_30default_config_static_selectorELNS0_4arch9wavefront6targetE1EEEvS12_,comdat
.Lfunc_end147:
	.size	_ZN7rocprim17ROCPRIM_400000_NS6detail17trampoline_kernelINS0_13select_configILj256ELj13ELNS0_17block_load_methodE3ELS4_3ELS4_3ELNS0_20block_scan_algorithmE0ELj4294967295EEENS1_25partition_config_selectorILNS1_17partition_subalgoE4EjNS0_10empty_typeEbEEZZNS1_14partition_implILS8_4ELb0ES6_15HIP_vector_typeIjLj2EENS0_17counting_iteratorIjlEEPS9_SG_NS0_5tupleIJPjSI_NS0_16reverse_iteratorISI_EEEEENSH_IJSG_SG_SG_EEES9_SI_JZNS1_25segmented_radix_sort_implINS0_14default_configELb0EPKhPhPKlPlN2at6native12_GLOBAL__N_18offset_tEEE10hipError_tPvRmT1_PNSt15iterator_traitsIS12_E10value_typeET2_T3_PNS13_IS18_E10value_typeET4_jRbjT5_S1E_jjP12ihipStream_tbEUljE_ZNSN_ISO_Lb0ESQ_SR_ST_SU_SY_EESZ_S10_S11_S12_S16_S17_S18_S1B_S1C_jS1D_jS1E_S1E_jjS1G_bEUljE0_EEESZ_S10_S11_S18_S1C_S1E_T6_T7_T9_mT8_S1G_bDpT10_ENKUlT_T0_E_clISt17integral_constantIbLb0EES1T_IbLb1EEEEDaS1P_S1Q_EUlS1P_E_NS1_11comp_targetILNS1_3genE5ELNS1_11target_archE942ELNS1_3gpuE9ELNS1_3repE0EEENS1_30default_config_static_selectorELNS0_4arch9wavefront6targetE1EEEvS12_, .Lfunc_end147-_ZN7rocprim17ROCPRIM_400000_NS6detail17trampoline_kernelINS0_13select_configILj256ELj13ELNS0_17block_load_methodE3ELS4_3ELS4_3ELNS0_20block_scan_algorithmE0ELj4294967295EEENS1_25partition_config_selectorILNS1_17partition_subalgoE4EjNS0_10empty_typeEbEEZZNS1_14partition_implILS8_4ELb0ES6_15HIP_vector_typeIjLj2EENS0_17counting_iteratorIjlEEPS9_SG_NS0_5tupleIJPjSI_NS0_16reverse_iteratorISI_EEEEENSH_IJSG_SG_SG_EEES9_SI_JZNS1_25segmented_radix_sort_implINS0_14default_configELb0EPKhPhPKlPlN2at6native12_GLOBAL__N_18offset_tEEE10hipError_tPvRmT1_PNSt15iterator_traitsIS12_E10value_typeET2_T3_PNS13_IS18_E10value_typeET4_jRbjT5_S1E_jjP12ihipStream_tbEUljE_ZNSN_ISO_Lb0ESQ_SR_ST_SU_SY_EESZ_S10_S11_S12_S16_S17_S18_S1B_S1C_jS1D_jS1E_S1E_jjS1G_bEUljE0_EEESZ_S10_S11_S18_S1C_S1E_T6_T7_T9_mT8_S1G_bDpT10_ENKUlT_T0_E_clISt17integral_constantIbLb0EES1T_IbLb1EEEEDaS1P_S1Q_EUlS1P_E_NS1_11comp_targetILNS1_3genE5ELNS1_11target_archE942ELNS1_3gpuE9ELNS1_3repE0EEENS1_30default_config_static_selectorELNS0_4arch9wavefront6targetE1EEEvS12_
                                        ; -- End function
	.set _ZN7rocprim17ROCPRIM_400000_NS6detail17trampoline_kernelINS0_13select_configILj256ELj13ELNS0_17block_load_methodE3ELS4_3ELS4_3ELNS0_20block_scan_algorithmE0ELj4294967295EEENS1_25partition_config_selectorILNS1_17partition_subalgoE4EjNS0_10empty_typeEbEEZZNS1_14partition_implILS8_4ELb0ES6_15HIP_vector_typeIjLj2EENS0_17counting_iteratorIjlEEPS9_SG_NS0_5tupleIJPjSI_NS0_16reverse_iteratorISI_EEEEENSH_IJSG_SG_SG_EEES9_SI_JZNS1_25segmented_radix_sort_implINS0_14default_configELb0EPKhPhPKlPlN2at6native12_GLOBAL__N_18offset_tEEE10hipError_tPvRmT1_PNSt15iterator_traitsIS12_E10value_typeET2_T3_PNS13_IS18_E10value_typeET4_jRbjT5_S1E_jjP12ihipStream_tbEUljE_ZNSN_ISO_Lb0ESQ_SR_ST_SU_SY_EESZ_S10_S11_S12_S16_S17_S18_S1B_S1C_jS1D_jS1E_S1E_jjS1G_bEUljE0_EEESZ_S10_S11_S18_S1C_S1E_T6_T7_T9_mT8_S1G_bDpT10_ENKUlT_T0_E_clISt17integral_constantIbLb0EES1T_IbLb1EEEEDaS1P_S1Q_EUlS1P_E_NS1_11comp_targetILNS1_3genE5ELNS1_11target_archE942ELNS1_3gpuE9ELNS1_3repE0EEENS1_30default_config_static_selectorELNS0_4arch9wavefront6targetE1EEEvS12_.num_vgpr, 0
	.set _ZN7rocprim17ROCPRIM_400000_NS6detail17trampoline_kernelINS0_13select_configILj256ELj13ELNS0_17block_load_methodE3ELS4_3ELS4_3ELNS0_20block_scan_algorithmE0ELj4294967295EEENS1_25partition_config_selectorILNS1_17partition_subalgoE4EjNS0_10empty_typeEbEEZZNS1_14partition_implILS8_4ELb0ES6_15HIP_vector_typeIjLj2EENS0_17counting_iteratorIjlEEPS9_SG_NS0_5tupleIJPjSI_NS0_16reverse_iteratorISI_EEEEENSH_IJSG_SG_SG_EEES9_SI_JZNS1_25segmented_radix_sort_implINS0_14default_configELb0EPKhPhPKlPlN2at6native12_GLOBAL__N_18offset_tEEE10hipError_tPvRmT1_PNSt15iterator_traitsIS12_E10value_typeET2_T3_PNS13_IS18_E10value_typeET4_jRbjT5_S1E_jjP12ihipStream_tbEUljE_ZNSN_ISO_Lb0ESQ_SR_ST_SU_SY_EESZ_S10_S11_S12_S16_S17_S18_S1B_S1C_jS1D_jS1E_S1E_jjS1G_bEUljE0_EEESZ_S10_S11_S18_S1C_S1E_T6_T7_T9_mT8_S1G_bDpT10_ENKUlT_T0_E_clISt17integral_constantIbLb0EES1T_IbLb1EEEEDaS1P_S1Q_EUlS1P_E_NS1_11comp_targetILNS1_3genE5ELNS1_11target_archE942ELNS1_3gpuE9ELNS1_3repE0EEENS1_30default_config_static_selectorELNS0_4arch9wavefront6targetE1EEEvS12_.num_agpr, 0
	.set _ZN7rocprim17ROCPRIM_400000_NS6detail17trampoline_kernelINS0_13select_configILj256ELj13ELNS0_17block_load_methodE3ELS4_3ELS4_3ELNS0_20block_scan_algorithmE0ELj4294967295EEENS1_25partition_config_selectorILNS1_17partition_subalgoE4EjNS0_10empty_typeEbEEZZNS1_14partition_implILS8_4ELb0ES6_15HIP_vector_typeIjLj2EENS0_17counting_iteratorIjlEEPS9_SG_NS0_5tupleIJPjSI_NS0_16reverse_iteratorISI_EEEEENSH_IJSG_SG_SG_EEES9_SI_JZNS1_25segmented_radix_sort_implINS0_14default_configELb0EPKhPhPKlPlN2at6native12_GLOBAL__N_18offset_tEEE10hipError_tPvRmT1_PNSt15iterator_traitsIS12_E10value_typeET2_T3_PNS13_IS18_E10value_typeET4_jRbjT5_S1E_jjP12ihipStream_tbEUljE_ZNSN_ISO_Lb0ESQ_SR_ST_SU_SY_EESZ_S10_S11_S12_S16_S17_S18_S1B_S1C_jS1D_jS1E_S1E_jjS1G_bEUljE0_EEESZ_S10_S11_S18_S1C_S1E_T6_T7_T9_mT8_S1G_bDpT10_ENKUlT_T0_E_clISt17integral_constantIbLb0EES1T_IbLb1EEEEDaS1P_S1Q_EUlS1P_E_NS1_11comp_targetILNS1_3genE5ELNS1_11target_archE942ELNS1_3gpuE9ELNS1_3repE0EEENS1_30default_config_static_selectorELNS0_4arch9wavefront6targetE1EEEvS12_.numbered_sgpr, 0
	.set _ZN7rocprim17ROCPRIM_400000_NS6detail17trampoline_kernelINS0_13select_configILj256ELj13ELNS0_17block_load_methodE3ELS4_3ELS4_3ELNS0_20block_scan_algorithmE0ELj4294967295EEENS1_25partition_config_selectorILNS1_17partition_subalgoE4EjNS0_10empty_typeEbEEZZNS1_14partition_implILS8_4ELb0ES6_15HIP_vector_typeIjLj2EENS0_17counting_iteratorIjlEEPS9_SG_NS0_5tupleIJPjSI_NS0_16reverse_iteratorISI_EEEEENSH_IJSG_SG_SG_EEES9_SI_JZNS1_25segmented_radix_sort_implINS0_14default_configELb0EPKhPhPKlPlN2at6native12_GLOBAL__N_18offset_tEEE10hipError_tPvRmT1_PNSt15iterator_traitsIS12_E10value_typeET2_T3_PNS13_IS18_E10value_typeET4_jRbjT5_S1E_jjP12ihipStream_tbEUljE_ZNSN_ISO_Lb0ESQ_SR_ST_SU_SY_EESZ_S10_S11_S12_S16_S17_S18_S1B_S1C_jS1D_jS1E_S1E_jjS1G_bEUljE0_EEESZ_S10_S11_S18_S1C_S1E_T6_T7_T9_mT8_S1G_bDpT10_ENKUlT_T0_E_clISt17integral_constantIbLb0EES1T_IbLb1EEEEDaS1P_S1Q_EUlS1P_E_NS1_11comp_targetILNS1_3genE5ELNS1_11target_archE942ELNS1_3gpuE9ELNS1_3repE0EEENS1_30default_config_static_selectorELNS0_4arch9wavefront6targetE1EEEvS12_.num_named_barrier, 0
	.set _ZN7rocprim17ROCPRIM_400000_NS6detail17trampoline_kernelINS0_13select_configILj256ELj13ELNS0_17block_load_methodE3ELS4_3ELS4_3ELNS0_20block_scan_algorithmE0ELj4294967295EEENS1_25partition_config_selectorILNS1_17partition_subalgoE4EjNS0_10empty_typeEbEEZZNS1_14partition_implILS8_4ELb0ES6_15HIP_vector_typeIjLj2EENS0_17counting_iteratorIjlEEPS9_SG_NS0_5tupleIJPjSI_NS0_16reverse_iteratorISI_EEEEENSH_IJSG_SG_SG_EEES9_SI_JZNS1_25segmented_radix_sort_implINS0_14default_configELb0EPKhPhPKlPlN2at6native12_GLOBAL__N_18offset_tEEE10hipError_tPvRmT1_PNSt15iterator_traitsIS12_E10value_typeET2_T3_PNS13_IS18_E10value_typeET4_jRbjT5_S1E_jjP12ihipStream_tbEUljE_ZNSN_ISO_Lb0ESQ_SR_ST_SU_SY_EESZ_S10_S11_S12_S16_S17_S18_S1B_S1C_jS1D_jS1E_S1E_jjS1G_bEUljE0_EEESZ_S10_S11_S18_S1C_S1E_T6_T7_T9_mT8_S1G_bDpT10_ENKUlT_T0_E_clISt17integral_constantIbLb0EES1T_IbLb1EEEEDaS1P_S1Q_EUlS1P_E_NS1_11comp_targetILNS1_3genE5ELNS1_11target_archE942ELNS1_3gpuE9ELNS1_3repE0EEENS1_30default_config_static_selectorELNS0_4arch9wavefront6targetE1EEEvS12_.private_seg_size, 0
	.set _ZN7rocprim17ROCPRIM_400000_NS6detail17trampoline_kernelINS0_13select_configILj256ELj13ELNS0_17block_load_methodE3ELS4_3ELS4_3ELNS0_20block_scan_algorithmE0ELj4294967295EEENS1_25partition_config_selectorILNS1_17partition_subalgoE4EjNS0_10empty_typeEbEEZZNS1_14partition_implILS8_4ELb0ES6_15HIP_vector_typeIjLj2EENS0_17counting_iteratorIjlEEPS9_SG_NS0_5tupleIJPjSI_NS0_16reverse_iteratorISI_EEEEENSH_IJSG_SG_SG_EEES9_SI_JZNS1_25segmented_radix_sort_implINS0_14default_configELb0EPKhPhPKlPlN2at6native12_GLOBAL__N_18offset_tEEE10hipError_tPvRmT1_PNSt15iterator_traitsIS12_E10value_typeET2_T3_PNS13_IS18_E10value_typeET4_jRbjT5_S1E_jjP12ihipStream_tbEUljE_ZNSN_ISO_Lb0ESQ_SR_ST_SU_SY_EESZ_S10_S11_S12_S16_S17_S18_S1B_S1C_jS1D_jS1E_S1E_jjS1G_bEUljE0_EEESZ_S10_S11_S18_S1C_S1E_T6_T7_T9_mT8_S1G_bDpT10_ENKUlT_T0_E_clISt17integral_constantIbLb0EES1T_IbLb1EEEEDaS1P_S1Q_EUlS1P_E_NS1_11comp_targetILNS1_3genE5ELNS1_11target_archE942ELNS1_3gpuE9ELNS1_3repE0EEENS1_30default_config_static_selectorELNS0_4arch9wavefront6targetE1EEEvS12_.uses_vcc, 0
	.set _ZN7rocprim17ROCPRIM_400000_NS6detail17trampoline_kernelINS0_13select_configILj256ELj13ELNS0_17block_load_methodE3ELS4_3ELS4_3ELNS0_20block_scan_algorithmE0ELj4294967295EEENS1_25partition_config_selectorILNS1_17partition_subalgoE4EjNS0_10empty_typeEbEEZZNS1_14partition_implILS8_4ELb0ES6_15HIP_vector_typeIjLj2EENS0_17counting_iteratorIjlEEPS9_SG_NS0_5tupleIJPjSI_NS0_16reverse_iteratorISI_EEEEENSH_IJSG_SG_SG_EEES9_SI_JZNS1_25segmented_radix_sort_implINS0_14default_configELb0EPKhPhPKlPlN2at6native12_GLOBAL__N_18offset_tEEE10hipError_tPvRmT1_PNSt15iterator_traitsIS12_E10value_typeET2_T3_PNS13_IS18_E10value_typeET4_jRbjT5_S1E_jjP12ihipStream_tbEUljE_ZNSN_ISO_Lb0ESQ_SR_ST_SU_SY_EESZ_S10_S11_S12_S16_S17_S18_S1B_S1C_jS1D_jS1E_S1E_jjS1G_bEUljE0_EEESZ_S10_S11_S18_S1C_S1E_T6_T7_T9_mT8_S1G_bDpT10_ENKUlT_T0_E_clISt17integral_constantIbLb0EES1T_IbLb1EEEEDaS1P_S1Q_EUlS1P_E_NS1_11comp_targetILNS1_3genE5ELNS1_11target_archE942ELNS1_3gpuE9ELNS1_3repE0EEENS1_30default_config_static_selectorELNS0_4arch9wavefront6targetE1EEEvS12_.uses_flat_scratch, 0
	.set _ZN7rocprim17ROCPRIM_400000_NS6detail17trampoline_kernelINS0_13select_configILj256ELj13ELNS0_17block_load_methodE3ELS4_3ELS4_3ELNS0_20block_scan_algorithmE0ELj4294967295EEENS1_25partition_config_selectorILNS1_17partition_subalgoE4EjNS0_10empty_typeEbEEZZNS1_14partition_implILS8_4ELb0ES6_15HIP_vector_typeIjLj2EENS0_17counting_iteratorIjlEEPS9_SG_NS0_5tupleIJPjSI_NS0_16reverse_iteratorISI_EEEEENSH_IJSG_SG_SG_EEES9_SI_JZNS1_25segmented_radix_sort_implINS0_14default_configELb0EPKhPhPKlPlN2at6native12_GLOBAL__N_18offset_tEEE10hipError_tPvRmT1_PNSt15iterator_traitsIS12_E10value_typeET2_T3_PNS13_IS18_E10value_typeET4_jRbjT5_S1E_jjP12ihipStream_tbEUljE_ZNSN_ISO_Lb0ESQ_SR_ST_SU_SY_EESZ_S10_S11_S12_S16_S17_S18_S1B_S1C_jS1D_jS1E_S1E_jjS1G_bEUljE0_EEESZ_S10_S11_S18_S1C_S1E_T6_T7_T9_mT8_S1G_bDpT10_ENKUlT_T0_E_clISt17integral_constantIbLb0EES1T_IbLb1EEEEDaS1P_S1Q_EUlS1P_E_NS1_11comp_targetILNS1_3genE5ELNS1_11target_archE942ELNS1_3gpuE9ELNS1_3repE0EEENS1_30default_config_static_selectorELNS0_4arch9wavefront6targetE1EEEvS12_.has_dyn_sized_stack, 0
	.set _ZN7rocprim17ROCPRIM_400000_NS6detail17trampoline_kernelINS0_13select_configILj256ELj13ELNS0_17block_load_methodE3ELS4_3ELS4_3ELNS0_20block_scan_algorithmE0ELj4294967295EEENS1_25partition_config_selectorILNS1_17partition_subalgoE4EjNS0_10empty_typeEbEEZZNS1_14partition_implILS8_4ELb0ES6_15HIP_vector_typeIjLj2EENS0_17counting_iteratorIjlEEPS9_SG_NS0_5tupleIJPjSI_NS0_16reverse_iteratorISI_EEEEENSH_IJSG_SG_SG_EEES9_SI_JZNS1_25segmented_radix_sort_implINS0_14default_configELb0EPKhPhPKlPlN2at6native12_GLOBAL__N_18offset_tEEE10hipError_tPvRmT1_PNSt15iterator_traitsIS12_E10value_typeET2_T3_PNS13_IS18_E10value_typeET4_jRbjT5_S1E_jjP12ihipStream_tbEUljE_ZNSN_ISO_Lb0ESQ_SR_ST_SU_SY_EESZ_S10_S11_S12_S16_S17_S18_S1B_S1C_jS1D_jS1E_S1E_jjS1G_bEUljE0_EEESZ_S10_S11_S18_S1C_S1E_T6_T7_T9_mT8_S1G_bDpT10_ENKUlT_T0_E_clISt17integral_constantIbLb0EES1T_IbLb1EEEEDaS1P_S1Q_EUlS1P_E_NS1_11comp_targetILNS1_3genE5ELNS1_11target_archE942ELNS1_3gpuE9ELNS1_3repE0EEENS1_30default_config_static_selectorELNS0_4arch9wavefront6targetE1EEEvS12_.has_recursion, 0
	.set _ZN7rocprim17ROCPRIM_400000_NS6detail17trampoline_kernelINS0_13select_configILj256ELj13ELNS0_17block_load_methodE3ELS4_3ELS4_3ELNS0_20block_scan_algorithmE0ELj4294967295EEENS1_25partition_config_selectorILNS1_17partition_subalgoE4EjNS0_10empty_typeEbEEZZNS1_14partition_implILS8_4ELb0ES6_15HIP_vector_typeIjLj2EENS0_17counting_iteratorIjlEEPS9_SG_NS0_5tupleIJPjSI_NS0_16reverse_iteratorISI_EEEEENSH_IJSG_SG_SG_EEES9_SI_JZNS1_25segmented_radix_sort_implINS0_14default_configELb0EPKhPhPKlPlN2at6native12_GLOBAL__N_18offset_tEEE10hipError_tPvRmT1_PNSt15iterator_traitsIS12_E10value_typeET2_T3_PNS13_IS18_E10value_typeET4_jRbjT5_S1E_jjP12ihipStream_tbEUljE_ZNSN_ISO_Lb0ESQ_SR_ST_SU_SY_EESZ_S10_S11_S12_S16_S17_S18_S1B_S1C_jS1D_jS1E_S1E_jjS1G_bEUljE0_EEESZ_S10_S11_S18_S1C_S1E_T6_T7_T9_mT8_S1G_bDpT10_ENKUlT_T0_E_clISt17integral_constantIbLb0EES1T_IbLb1EEEEDaS1P_S1Q_EUlS1P_E_NS1_11comp_targetILNS1_3genE5ELNS1_11target_archE942ELNS1_3gpuE9ELNS1_3repE0EEENS1_30default_config_static_selectorELNS0_4arch9wavefront6targetE1EEEvS12_.has_indirect_call, 0
	.section	.AMDGPU.csdata,"",@progbits
; Kernel info:
; codeLenInByte = 0
; TotalNumSgprs: 4
; NumVgprs: 0
; ScratchSize: 0
; MemoryBound: 0
; FloatMode: 240
; IeeeMode: 1
; LDSByteSize: 0 bytes/workgroup (compile time only)
; SGPRBlocks: 0
; VGPRBlocks: 0
; NumSGPRsForWavesPerEU: 4
; NumVGPRsForWavesPerEU: 1
; Occupancy: 10
; WaveLimiterHint : 0
; COMPUTE_PGM_RSRC2:SCRATCH_EN: 0
; COMPUTE_PGM_RSRC2:USER_SGPR: 6
; COMPUTE_PGM_RSRC2:TRAP_HANDLER: 0
; COMPUTE_PGM_RSRC2:TGID_X_EN: 1
; COMPUTE_PGM_RSRC2:TGID_Y_EN: 0
; COMPUTE_PGM_RSRC2:TGID_Z_EN: 0
; COMPUTE_PGM_RSRC2:TIDIG_COMP_CNT: 0
	.section	.text._ZN7rocprim17ROCPRIM_400000_NS6detail17trampoline_kernelINS0_13select_configILj256ELj13ELNS0_17block_load_methodE3ELS4_3ELS4_3ELNS0_20block_scan_algorithmE0ELj4294967295EEENS1_25partition_config_selectorILNS1_17partition_subalgoE4EjNS0_10empty_typeEbEEZZNS1_14partition_implILS8_4ELb0ES6_15HIP_vector_typeIjLj2EENS0_17counting_iteratorIjlEEPS9_SG_NS0_5tupleIJPjSI_NS0_16reverse_iteratorISI_EEEEENSH_IJSG_SG_SG_EEES9_SI_JZNS1_25segmented_radix_sort_implINS0_14default_configELb0EPKhPhPKlPlN2at6native12_GLOBAL__N_18offset_tEEE10hipError_tPvRmT1_PNSt15iterator_traitsIS12_E10value_typeET2_T3_PNS13_IS18_E10value_typeET4_jRbjT5_S1E_jjP12ihipStream_tbEUljE_ZNSN_ISO_Lb0ESQ_SR_ST_SU_SY_EESZ_S10_S11_S12_S16_S17_S18_S1B_S1C_jS1D_jS1E_S1E_jjS1G_bEUljE0_EEESZ_S10_S11_S18_S1C_S1E_T6_T7_T9_mT8_S1G_bDpT10_ENKUlT_T0_E_clISt17integral_constantIbLb0EES1T_IbLb1EEEEDaS1P_S1Q_EUlS1P_E_NS1_11comp_targetILNS1_3genE4ELNS1_11target_archE910ELNS1_3gpuE8ELNS1_3repE0EEENS1_30default_config_static_selectorELNS0_4arch9wavefront6targetE1EEEvS12_,"axG",@progbits,_ZN7rocprim17ROCPRIM_400000_NS6detail17trampoline_kernelINS0_13select_configILj256ELj13ELNS0_17block_load_methodE3ELS4_3ELS4_3ELNS0_20block_scan_algorithmE0ELj4294967295EEENS1_25partition_config_selectorILNS1_17partition_subalgoE4EjNS0_10empty_typeEbEEZZNS1_14partition_implILS8_4ELb0ES6_15HIP_vector_typeIjLj2EENS0_17counting_iteratorIjlEEPS9_SG_NS0_5tupleIJPjSI_NS0_16reverse_iteratorISI_EEEEENSH_IJSG_SG_SG_EEES9_SI_JZNS1_25segmented_radix_sort_implINS0_14default_configELb0EPKhPhPKlPlN2at6native12_GLOBAL__N_18offset_tEEE10hipError_tPvRmT1_PNSt15iterator_traitsIS12_E10value_typeET2_T3_PNS13_IS18_E10value_typeET4_jRbjT5_S1E_jjP12ihipStream_tbEUljE_ZNSN_ISO_Lb0ESQ_SR_ST_SU_SY_EESZ_S10_S11_S12_S16_S17_S18_S1B_S1C_jS1D_jS1E_S1E_jjS1G_bEUljE0_EEESZ_S10_S11_S18_S1C_S1E_T6_T7_T9_mT8_S1G_bDpT10_ENKUlT_T0_E_clISt17integral_constantIbLb0EES1T_IbLb1EEEEDaS1P_S1Q_EUlS1P_E_NS1_11comp_targetILNS1_3genE4ELNS1_11target_archE910ELNS1_3gpuE8ELNS1_3repE0EEENS1_30default_config_static_selectorELNS0_4arch9wavefront6targetE1EEEvS12_,comdat
	.globl	_ZN7rocprim17ROCPRIM_400000_NS6detail17trampoline_kernelINS0_13select_configILj256ELj13ELNS0_17block_load_methodE3ELS4_3ELS4_3ELNS0_20block_scan_algorithmE0ELj4294967295EEENS1_25partition_config_selectorILNS1_17partition_subalgoE4EjNS0_10empty_typeEbEEZZNS1_14partition_implILS8_4ELb0ES6_15HIP_vector_typeIjLj2EENS0_17counting_iteratorIjlEEPS9_SG_NS0_5tupleIJPjSI_NS0_16reverse_iteratorISI_EEEEENSH_IJSG_SG_SG_EEES9_SI_JZNS1_25segmented_radix_sort_implINS0_14default_configELb0EPKhPhPKlPlN2at6native12_GLOBAL__N_18offset_tEEE10hipError_tPvRmT1_PNSt15iterator_traitsIS12_E10value_typeET2_T3_PNS13_IS18_E10value_typeET4_jRbjT5_S1E_jjP12ihipStream_tbEUljE_ZNSN_ISO_Lb0ESQ_SR_ST_SU_SY_EESZ_S10_S11_S12_S16_S17_S18_S1B_S1C_jS1D_jS1E_S1E_jjS1G_bEUljE0_EEESZ_S10_S11_S18_S1C_S1E_T6_T7_T9_mT8_S1G_bDpT10_ENKUlT_T0_E_clISt17integral_constantIbLb0EES1T_IbLb1EEEEDaS1P_S1Q_EUlS1P_E_NS1_11comp_targetILNS1_3genE4ELNS1_11target_archE910ELNS1_3gpuE8ELNS1_3repE0EEENS1_30default_config_static_selectorELNS0_4arch9wavefront6targetE1EEEvS12_ ; -- Begin function _ZN7rocprim17ROCPRIM_400000_NS6detail17trampoline_kernelINS0_13select_configILj256ELj13ELNS0_17block_load_methodE3ELS4_3ELS4_3ELNS0_20block_scan_algorithmE0ELj4294967295EEENS1_25partition_config_selectorILNS1_17partition_subalgoE4EjNS0_10empty_typeEbEEZZNS1_14partition_implILS8_4ELb0ES6_15HIP_vector_typeIjLj2EENS0_17counting_iteratorIjlEEPS9_SG_NS0_5tupleIJPjSI_NS0_16reverse_iteratorISI_EEEEENSH_IJSG_SG_SG_EEES9_SI_JZNS1_25segmented_radix_sort_implINS0_14default_configELb0EPKhPhPKlPlN2at6native12_GLOBAL__N_18offset_tEEE10hipError_tPvRmT1_PNSt15iterator_traitsIS12_E10value_typeET2_T3_PNS13_IS18_E10value_typeET4_jRbjT5_S1E_jjP12ihipStream_tbEUljE_ZNSN_ISO_Lb0ESQ_SR_ST_SU_SY_EESZ_S10_S11_S12_S16_S17_S18_S1B_S1C_jS1D_jS1E_S1E_jjS1G_bEUljE0_EEESZ_S10_S11_S18_S1C_S1E_T6_T7_T9_mT8_S1G_bDpT10_ENKUlT_T0_E_clISt17integral_constantIbLb0EES1T_IbLb1EEEEDaS1P_S1Q_EUlS1P_E_NS1_11comp_targetILNS1_3genE4ELNS1_11target_archE910ELNS1_3gpuE8ELNS1_3repE0EEENS1_30default_config_static_selectorELNS0_4arch9wavefront6targetE1EEEvS12_
	.p2align	8
	.type	_ZN7rocprim17ROCPRIM_400000_NS6detail17trampoline_kernelINS0_13select_configILj256ELj13ELNS0_17block_load_methodE3ELS4_3ELS4_3ELNS0_20block_scan_algorithmE0ELj4294967295EEENS1_25partition_config_selectorILNS1_17partition_subalgoE4EjNS0_10empty_typeEbEEZZNS1_14partition_implILS8_4ELb0ES6_15HIP_vector_typeIjLj2EENS0_17counting_iteratorIjlEEPS9_SG_NS0_5tupleIJPjSI_NS0_16reverse_iteratorISI_EEEEENSH_IJSG_SG_SG_EEES9_SI_JZNS1_25segmented_radix_sort_implINS0_14default_configELb0EPKhPhPKlPlN2at6native12_GLOBAL__N_18offset_tEEE10hipError_tPvRmT1_PNSt15iterator_traitsIS12_E10value_typeET2_T3_PNS13_IS18_E10value_typeET4_jRbjT5_S1E_jjP12ihipStream_tbEUljE_ZNSN_ISO_Lb0ESQ_SR_ST_SU_SY_EESZ_S10_S11_S12_S16_S17_S18_S1B_S1C_jS1D_jS1E_S1E_jjS1G_bEUljE0_EEESZ_S10_S11_S18_S1C_S1E_T6_T7_T9_mT8_S1G_bDpT10_ENKUlT_T0_E_clISt17integral_constantIbLb0EES1T_IbLb1EEEEDaS1P_S1Q_EUlS1P_E_NS1_11comp_targetILNS1_3genE4ELNS1_11target_archE910ELNS1_3gpuE8ELNS1_3repE0EEENS1_30default_config_static_selectorELNS0_4arch9wavefront6targetE1EEEvS12_,@function
_ZN7rocprim17ROCPRIM_400000_NS6detail17trampoline_kernelINS0_13select_configILj256ELj13ELNS0_17block_load_methodE3ELS4_3ELS4_3ELNS0_20block_scan_algorithmE0ELj4294967295EEENS1_25partition_config_selectorILNS1_17partition_subalgoE4EjNS0_10empty_typeEbEEZZNS1_14partition_implILS8_4ELb0ES6_15HIP_vector_typeIjLj2EENS0_17counting_iteratorIjlEEPS9_SG_NS0_5tupleIJPjSI_NS0_16reverse_iteratorISI_EEEEENSH_IJSG_SG_SG_EEES9_SI_JZNS1_25segmented_radix_sort_implINS0_14default_configELb0EPKhPhPKlPlN2at6native12_GLOBAL__N_18offset_tEEE10hipError_tPvRmT1_PNSt15iterator_traitsIS12_E10value_typeET2_T3_PNS13_IS18_E10value_typeET4_jRbjT5_S1E_jjP12ihipStream_tbEUljE_ZNSN_ISO_Lb0ESQ_SR_ST_SU_SY_EESZ_S10_S11_S12_S16_S17_S18_S1B_S1C_jS1D_jS1E_S1E_jjS1G_bEUljE0_EEESZ_S10_S11_S18_S1C_S1E_T6_T7_T9_mT8_S1G_bDpT10_ENKUlT_T0_E_clISt17integral_constantIbLb0EES1T_IbLb1EEEEDaS1P_S1Q_EUlS1P_E_NS1_11comp_targetILNS1_3genE4ELNS1_11target_archE910ELNS1_3gpuE8ELNS1_3repE0EEENS1_30default_config_static_selectorELNS0_4arch9wavefront6targetE1EEEvS12_: ; @_ZN7rocprim17ROCPRIM_400000_NS6detail17trampoline_kernelINS0_13select_configILj256ELj13ELNS0_17block_load_methodE3ELS4_3ELS4_3ELNS0_20block_scan_algorithmE0ELj4294967295EEENS1_25partition_config_selectorILNS1_17partition_subalgoE4EjNS0_10empty_typeEbEEZZNS1_14partition_implILS8_4ELb0ES6_15HIP_vector_typeIjLj2EENS0_17counting_iteratorIjlEEPS9_SG_NS0_5tupleIJPjSI_NS0_16reverse_iteratorISI_EEEEENSH_IJSG_SG_SG_EEES9_SI_JZNS1_25segmented_radix_sort_implINS0_14default_configELb0EPKhPhPKlPlN2at6native12_GLOBAL__N_18offset_tEEE10hipError_tPvRmT1_PNSt15iterator_traitsIS12_E10value_typeET2_T3_PNS13_IS18_E10value_typeET4_jRbjT5_S1E_jjP12ihipStream_tbEUljE_ZNSN_ISO_Lb0ESQ_SR_ST_SU_SY_EESZ_S10_S11_S12_S16_S17_S18_S1B_S1C_jS1D_jS1E_S1E_jjS1G_bEUljE0_EEESZ_S10_S11_S18_S1C_S1E_T6_T7_T9_mT8_S1G_bDpT10_ENKUlT_T0_E_clISt17integral_constantIbLb0EES1T_IbLb1EEEEDaS1P_S1Q_EUlS1P_E_NS1_11comp_targetILNS1_3genE4ELNS1_11target_archE910ELNS1_3gpuE8ELNS1_3repE0EEENS1_30default_config_static_selectorELNS0_4arch9wavefront6targetE1EEEvS12_
; %bb.0:
	.section	.rodata,"a",@progbits
	.p2align	6, 0x0
	.amdhsa_kernel _ZN7rocprim17ROCPRIM_400000_NS6detail17trampoline_kernelINS0_13select_configILj256ELj13ELNS0_17block_load_methodE3ELS4_3ELS4_3ELNS0_20block_scan_algorithmE0ELj4294967295EEENS1_25partition_config_selectorILNS1_17partition_subalgoE4EjNS0_10empty_typeEbEEZZNS1_14partition_implILS8_4ELb0ES6_15HIP_vector_typeIjLj2EENS0_17counting_iteratorIjlEEPS9_SG_NS0_5tupleIJPjSI_NS0_16reverse_iteratorISI_EEEEENSH_IJSG_SG_SG_EEES9_SI_JZNS1_25segmented_radix_sort_implINS0_14default_configELb0EPKhPhPKlPlN2at6native12_GLOBAL__N_18offset_tEEE10hipError_tPvRmT1_PNSt15iterator_traitsIS12_E10value_typeET2_T3_PNS13_IS18_E10value_typeET4_jRbjT5_S1E_jjP12ihipStream_tbEUljE_ZNSN_ISO_Lb0ESQ_SR_ST_SU_SY_EESZ_S10_S11_S12_S16_S17_S18_S1B_S1C_jS1D_jS1E_S1E_jjS1G_bEUljE0_EEESZ_S10_S11_S18_S1C_S1E_T6_T7_T9_mT8_S1G_bDpT10_ENKUlT_T0_E_clISt17integral_constantIbLb0EES1T_IbLb1EEEEDaS1P_S1Q_EUlS1P_E_NS1_11comp_targetILNS1_3genE4ELNS1_11target_archE910ELNS1_3gpuE8ELNS1_3repE0EEENS1_30default_config_static_selectorELNS0_4arch9wavefront6targetE1EEEvS12_
		.amdhsa_group_segment_fixed_size 0
		.amdhsa_private_segment_fixed_size 0
		.amdhsa_kernarg_size 184
		.amdhsa_user_sgpr_count 6
		.amdhsa_user_sgpr_private_segment_buffer 1
		.amdhsa_user_sgpr_dispatch_ptr 0
		.amdhsa_user_sgpr_queue_ptr 0
		.amdhsa_user_sgpr_kernarg_segment_ptr 1
		.amdhsa_user_sgpr_dispatch_id 0
		.amdhsa_user_sgpr_flat_scratch_init 0
		.amdhsa_user_sgpr_private_segment_size 0
		.amdhsa_uses_dynamic_stack 0
		.amdhsa_system_sgpr_private_segment_wavefront_offset 0
		.amdhsa_system_sgpr_workgroup_id_x 1
		.amdhsa_system_sgpr_workgroup_id_y 0
		.amdhsa_system_sgpr_workgroup_id_z 0
		.amdhsa_system_sgpr_workgroup_info 0
		.amdhsa_system_vgpr_workitem_id 0
		.amdhsa_next_free_vgpr 1
		.amdhsa_next_free_sgpr 0
		.amdhsa_reserve_vcc 0
		.amdhsa_reserve_flat_scratch 0
		.amdhsa_float_round_mode_32 0
		.amdhsa_float_round_mode_16_64 0
		.amdhsa_float_denorm_mode_32 3
		.amdhsa_float_denorm_mode_16_64 3
		.amdhsa_dx10_clamp 1
		.amdhsa_ieee_mode 1
		.amdhsa_fp16_overflow 0
		.amdhsa_exception_fp_ieee_invalid_op 0
		.amdhsa_exception_fp_denorm_src 0
		.amdhsa_exception_fp_ieee_div_zero 0
		.amdhsa_exception_fp_ieee_overflow 0
		.amdhsa_exception_fp_ieee_underflow 0
		.amdhsa_exception_fp_ieee_inexact 0
		.amdhsa_exception_int_div_zero 0
	.end_amdhsa_kernel
	.section	.text._ZN7rocprim17ROCPRIM_400000_NS6detail17trampoline_kernelINS0_13select_configILj256ELj13ELNS0_17block_load_methodE3ELS4_3ELS4_3ELNS0_20block_scan_algorithmE0ELj4294967295EEENS1_25partition_config_selectorILNS1_17partition_subalgoE4EjNS0_10empty_typeEbEEZZNS1_14partition_implILS8_4ELb0ES6_15HIP_vector_typeIjLj2EENS0_17counting_iteratorIjlEEPS9_SG_NS0_5tupleIJPjSI_NS0_16reverse_iteratorISI_EEEEENSH_IJSG_SG_SG_EEES9_SI_JZNS1_25segmented_radix_sort_implINS0_14default_configELb0EPKhPhPKlPlN2at6native12_GLOBAL__N_18offset_tEEE10hipError_tPvRmT1_PNSt15iterator_traitsIS12_E10value_typeET2_T3_PNS13_IS18_E10value_typeET4_jRbjT5_S1E_jjP12ihipStream_tbEUljE_ZNSN_ISO_Lb0ESQ_SR_ST_SU_SY_EESZ_S10_S11_S12_S16_S17_S18_S1B_S1C_jS1D_jS1E_S1E_jjS1G_bEUljE0_EEESZ_S10_S11_S18_S1C_S1E_T6_T7_T9_mT8_S1G_bDpT10_ENKUlT_T0_E_clISt17integral_constantIbLb0EES1T_IbLb1EEEEDaS1P_S1Q_EUlS1P_E_NS1_11comp_targetILNS1_3genE4ELNS1_11target_archE910ELNS1_3gpuE8ELNS1_3repE0EEENS1_30default_config_static_selectorELNS0_4arch9wavefront6targetE1EEEvS12_,"axG",@progbits,_ZN7rocprim17ROCPRIM_400000_NS6detail17trampoline_kernelINS0_13select_configILj256ELj13ELNS0_17block_load_methodE3ELS4_3ELS4_3ELNS0_20block_scan_algorithmE0ELj4294967295EEENS1_25partition_config_selectorILNS1_17partition_subalgoE4EjNS0_10empty_typeEbEEZZNS1_14partition_implILS8_4ELb0ES6_15HIP_vector_typeIjLj2EENS0_17counting_iteratorIjlEEPS9_SG_NS0_5tupleIJPjSI_NS0_16reverse_iteratorISI_EEEEENSH_IJSG_SG_SG_EEES9_SI_JZNS1_25segmented_radix_sort_implINS0_14default_configELb0EPKhPhPKlPlN2at6native12_GLOBAL__N_18offset_tEEE10hipError_tPvRmT1_PNSt15iterator_traitsIS12_E10value_typeET2_T3_PNS13_IS18_E10value_typeET4_jRbjT5_S1E_jjP12ihipStream_tbEUljE_ZNSN_ISO_Lb0ESQ_SR_ST_SU_SY_EESZ_S10_S11_S12_S16_S17_S18_S1B_S1C_jS1D_jS1E_S1E_jjS1G_bEUljE0_EEESZ_S10_S11_S18_S1C_S1E_T6_T7_T9_mT8_S1G_bDpT10_ENKUlT_T0_E_clISt17integral_constantIbLb0EES1T_IbLb1EEEEDaS1P_S1Q_EUlS1P_E_NS1_11comp_targetILNS1_3genE4ELNS1_11target_archE910ELNS1_3gpuE8ELNS1_3repE0EEENS1_30default_config_static_selectorELNS0_4arch9wavefront6targetE1EEEvS12_,comdat
.Lfunc_end148:
	.size	_ZN7rocprim17ROCPRIM_400000_NS6detail17trampoline_kernelINS0_13select_configILj256ELj13ELNS0_17block_load_methodE3ELS4_3ELS4_3ELNS0_20block_scan_algorithmE0ELj4294967295EEENS1_25partition_config_selectorILNS1_17partition_subalgoE4EjNS0_10empty_typeEbEEZZNS1_14partition_implILS8_4ELb0ES6_15HIP_vector_typeIjLj2EENS0_17counting_iteratorIjlEEPS9_SG_NS0_5tupleIJPjSI_NS0_16reverse_iteratorISI_EEEEENSH_IJSG_SG_SG_EEES9_SI_JZNS1_25segmented_radix_sort_implINS0_14default_configELb0EPKhPhPKlPlN2at6native12_GLOBAL__N_18offset_tEEE10hipError_tPvRmT1_PNSt15iterator_traitsIS12_E10value_typeET2_T3_PNS13_IS18_E10value_typeET4_jRbjT5_S1E_jjP12ihipStream_tbEUljE_ZNSN_ISO_Lb0ESQ_SR_ST_SU_SY_EESZ_S10_S11_S12_S16_S17_S18_S1B_S1C_jS1D_jS1E_S1E_jjS1G_bEUljE0_EEESZ_S10_S11_S18_S1C_S1E_T6_T7_T9_mT8_S1G_bDpT10_ENKUlT_T0_E_clISt17integral_constantIbLb0EES1T_IbLb1EEEEDaS1P_S1Q_EUlS1P_E_NS1_11comp_targetILNS1_3genE4ELNS1_11target_archE910ELNS1_3gpuE8ELNS1_3repE0EEENS1_30default_config_static_selectorELNS0_4arch9wavefront6targetE1EEEvS12_, .Lfunc_end148-_ZN7rocprim17ROCPRIM_400000_NS6detail17trampoline_kernelINS0_13select_configILj256ELj13ELNS0_17block_load_methodE3ELS4_3ELS4_3ELNS0_20block_scan_algorithmE0ELj4294967295EEENS1_25partition_config_selectorILNS1_17partition_subalgoE4EjNS0_10empty_typeEbEEZZNS1_14partition_implILS8_4ELb0ES6_15HIP_vector_typeIjLj2EENS0_17counting_iteratorIjlEEPS9_SG_NS0_5tupleIJPjSI_NS0_16reverse_iteratorISI_EEEEENSH_IJSG_SG_SG_EEES9_SI_JZNS1_25segmented_radix_sort_implINS0_14default_configELb0EPKhPhPKlPlN2at6native12_GLOBAL__N_18offset_tEEE10hipError_tPvRmT1_PNSt15iterator_traitsIS12_E10value_typeET2_T3_PNS13_IS18_E10value_typeET4_jRbjT5_S1E_jjP12ihipStream_tbEUljE_ZNSN_ISO_Lb0ESQ_SR_ST_SU_SY_EESZ_S10_S11_S12_S16_S17_S18_S1B_S1C_jS1D_jS1E_S1E_jjS1G_bEUljE0_EEESZ_S10_S11_S18_S1C_S1E_T6_T7_T9_mT8_S1G_bDpT10_ENKUlT_T0_E_clISt17integral_constantIbLb0EES1T_IbLb1EEEEDaS1P_S1Q_EUlS1P_E_NS1_11comp_targetILNS1_3genE4ELNS1_11target_archE910ELNS1_3gpuE8ELNS1_3repE0EEENS1_30default_config_static_selectorELNS0_4arch9wavefront6targetE1EEEvS12_
                                        ; -- End function
	.set _ZN7rocprim17ROCPRIM_400000_NS6detail17trampoline_kernelINS0_13select_configILj256ELj13ELNS0_17block_load_methodE3ELS4_3ELS4_3ELNS0_20block_scan_algorithmE0ELj4294967295EEENS1_25partition_config_selectorILNS1_17partition_subalgoE4EjNS0_10empty_typeEbEEZZNS1_14partition_implILS8_4ELb0ES6_15HIP_vector_typeIjLj2EENS0_17counting_iteratorIjlEEPS9_SG_NS0_5tupleIJPjSI_NS0_16reverse_iteratorISI_EEEEENSH_IJSG_SG_SG_EEES9_SI_JZNS1_25segmented_radix_sort_implINS0_14default_configELb0EPKhPhPKlPlN2at6native12_GLOBAL__N_18offset_tEEE10hipError_tPvRmT1_PNSt15iterator_traitsIS12_E10value_typeET2_T3_PNS13_IS18_E10value_typeET4_jRbjT5_S1E_jjP12ihipStream_tbEUljE_ZNSN_ISO_Lb0ESQ_SR_ST_SU_SY_EESZ_S10_S11_S12_S16_S17_S18_S1B_S1C_jS1D_jS1E_S1E_jjS1G_bEUljE0_EEESZ_S10_S11_S18_S1C_S1E_T6_T7_T9_mT8_S1G_bDpT10_ENKUlT_T0_E_clISt17integral_constantIbLb0EES1T_IbLb1EEEEDaS1P_S1Q_EUlS1P_E_NS1_11comp_targetILNS1_3genE4ELNS1_11target_archE910ELNS1_3gpuE8ELNS1_3repE0EEENS1_30default_config_static_selectorELNS0_4arch9wavefront6targetE1EEEvS12_.num_vgpr, 0
	.set _ZN7rocprim17ROCPRIM_400000_NS6detail17trampoline_kernelINS0_13select_configILj256ELj13ELNS0_17block_load_methodE3ELS4_3ELS4_3ELNS0_20block_scan_algorithmE0ELj4294967295EEENS1_25partition_config_selectorILNS1_17partition_subalgoE4EjNS0_10empty_typeEbEEZZNS1_14partition_implILS8_4ELb0ES6_15HIP_vector_typeIjLj2EENS0_17counting_iteratorIjlEEPS9_SG_NS0_5tupleIJPjSI_NS0_16reverse_iteratorISI_EEEEENSH_IJSG_SG_SG_EEES9_SI_JZNS1_25segmented_radix_sort_implINS0_14default_configELb0EPKhPhPKlPlN2at6native12_GLOBAL__N_18offset_tEEE10hipError_tPvRmT1_PNSt15iterator_traitsIS12_E10value_typeET2_T3_PNS13_IS18_E10value_typeET4_jRbjT5_S1E_jjP12ihipStream_tbEUljE_ZNSN_ISO_Lb0ESQ_SR_ST_SU_SY_EESZ_S10_S11_S12_S16_S17_S18_S1B_S1C_jS1D_jS1E_S1E_jjS1G_bEUljE0_EEESZ_S10_S11_S18_S1C_S1E_T6_T7_T9_mT8_S1G_bDpT10_ENKUlT_T0_E_clISt17integral_constantIbLb0EES1T_IbLb1EEEEDaS1P_S1Q_EUlS1P_E_NS1_11comp_targetILNS1_3genE4ELNS1_11target_archE910ELNS1_3gpuE8ELNS1_3repE0EEENS1_30default_config_static_selectorELNS0_4arch9wavefront6targetE1EEEvS12_.num_agpr, 0
	.set _ZN7rocprim17ROCPRIM_400000_NS6detail17trampoline_kernelINS0_13select_configILj256ELj13ELNS0_17block_load_methodE3ELS4_3ELS4_3ELNS0_20block_scan_algorithmE0ELj4294967295EEENS1_25partition_config_selectorILNS1_17partition_subalgoE4EjNS0_10empty_typeEbEEZZNS1_14partition_implILS8_4ELb0ES6_15HIP_vector_typeIjLj2EENS0_17counting_iteratorIjlEEPS9_SG_NS0_5tupleIJPjSI_NS0_16reverse_iteratorISI_EEEEENSH_IJSG_SG_SG_EEES9_SI_JZNS1_25segmented_radix_sort_implINS0_14default_configELb0EPKhPhPKlPlN2at6native12_GLOBAL__N_18offset_tEEE10hipError_tPvRmT1_PNSt15iterator_traitsIS12_E10value_typeET2_T3_PNS13_IS18_E10value_typeET4_jRbjT5_S1E_jjP12ihipStream_tbEUljE_ZNSN_ISO_Lb0ESQ_SR_ST_SU_SY_EESZ_S10_S11_S12_S16_S17_S18_S1B_S1C_jS1D_jS1E_S1E_jjS1G_bEUljE0_EEESZ_S10_S11_S18_S1C_S1E_T6_T7_T9_mT8_S1G_bDpT10_ENKUlT_T0_E_clISt17integral_constantIbLb0EES1T_IbLb1EEEEDaS1P_S1Q_EUlS1P_E_NS1_11comp_targetILNS1_3genE4ELNS1_11target_archE910ELNS1_3gpuE8ELNS1_3repE0EEENS1_30default_config_static_selectorELNS0_4arch9wavefront6targetE1EEEvS12_.numbered_sgpr, 0
	.set _ZN7rocprim17ROCPRIM_400000_NS6detail17trampoline_kernelINS0_13select_configILj256ELj13ELNS0_17block_load_methodE3ELS4_3ELS4_3ELNS0_20block_scan_algorithmE0ELj4294967295EEENS1_25partition_config_selectorILNS1_17partition_subalgoE4EjNS0_10empty_typeEbEEZZNS1_14partition_implILS8_4ELb0ES6_15HIP_vector_typeIjLj2EENS0_17counting_iteratorIjlEEPS9_SG_NS0_5tupleIJPjSI_NS0_16reverse_iteratorISI_EEEEENSH_IJSG_SG_SG_EEES9_SI_JZNS1_25segmented_radix_sort_implINS0_14default_configELb0EPKhPhPKlPlN2at6native12_GLOBAL__N_18offset_tEEE10hipError_tPvRmT1_PNSt15iterator_traitsIS12_E10value_typeET2_T3_PNS13_IS18_E10value_typeET4_jRbjT5_S1E_jjP12ihipStream_tbEUljE_ZNSN_ISO_Lb0ESQ_SR_ST_SU_SY_EESZ_S10_S11_S12_S16_S17_S18_S1B_S1C_jS1D_jS1E_S1E_jjS1G_bEUljE0_EEESZ_S10_S11_S18_S1C_S1E_T6_T7_T9_mT8_S1G_bDpT10_ENKUlT_T0_E_clISt17integral_constantIbLb0EES1T_IbLb1EEEEDaS1P_S1Q_EUlS1P_E_NS1_11comp_targetILNS1_3genE4ELNS1_11target_archE910ELNS1_3gpuE8ELNS1_3repE0EEENS1_30default_config_static_selectorELNS0_4arch9wavefront6targetE1EEEvS12_.num_named_barrier, 0
	.set _ZN7rocprim17ROCPRIM_400000_NS6detail17trampoline_kernelINS0_13select_configILj256ELj13ELNS0_17block_load_methodE3ELS4_3ELS4_3ELNS0_20block_scan_algorithmE0ELj4294967295EEENS1_25partition_config_selectorILNS1_17partition_subalgoE4EjNS0_10empty_typeEbEEZZNS1_14partition_implILS8_4ELb0ES6_15HIP_vector_typeIjLj2EENS0_17counting_iteratorIjlEEPS9_SG_NS0_5tupleIJPjSI_NS0_16reverse_iteratorISI_EEEEENSH_IJSG_SG_SG_EEES9_SI_JZNS1_25segmented_radix_sort_implINS0_14default_configELb0EPKhPhPKlPlN2at6native12_GLOBAL__N_18offset_tEEE10hipError_tPvRmT1_PNSt15iterator_traitsIS12_E10value_typeET2_T3_PNS13_IS18_E10value_typeET4_jRbjT5_S1E_jjP12ihipStream_tbEUljE_ZNSN_ISO_Lb0ESQ_SR_ST_SU_SY_EESZ_S10_S11_S12_S16_S17_S18_S1B_S1C_jS1D_jS1E_S1E_jjS1G_bEUljE0_EEESZ_S10_S11_S18_S1C_S1E_T6_T7_T9_mT8_S1G_bDpT10_ENKUlT_T0_E_clISt17integral_constantIbLb0EES1T_IbLb1EEEEDaS1P_S1Q_EUlS1P_E_NS1_11comp_targetILNS1_3genE4ELNS1_11target_archE910ELNS1_3gpuE8ELNS1_3repE0EEENS1_30default_config_static_selectorELNS0_4arch9wavefront6targetE1EEEvS12_.private_seg_size, 0
	.set _ZN7rocprim17ROCPRIM_400000_NS6detail17trampoline_kernelINS0_13select_configILj256ELj13ELNS0_17block_load_methodE3ELS4_3ELS4_3ELNS0_20block_scan_algorithmE0ELj4294967295EEENS1_25partition_config_selectorILNS1_17partition_subalgoE4EjNS0_10empty_typeEbEEZZNS1_14partition_implILS8_4ELb0ES6_15HIP_vector_typeIjLj2EENS0_17counting_iteratorIjlEEPS9_SG_NS0_5tupleIJPjSI_NS0_16reverse_iteratorISI_EEEEENSH_IJSG_SG_SG_EEES9_SI_JZNS1_25segmented_radix_sort_implINS0_14default_configELb0EPKhPhPKlPlN2at6native12_GLOBAL__N_18offset_tEEE10hipError_tPvRmT1_PNSt15iterator_traitsIS12_E10value_typeET2_T3_PNS13_IS18_E10value_typeET4_jRbjT5_S1E_jjP12ihipStream_tbEUljE_ZNSN_ISO_Lb0ESQ_SR_ST_SU_SY_EESZ_S10_S11_S12_S16_S17_S18_S1B_S1C_jS1D_jS1E_S1E_jjS1G_bEUljE0_EEESZ_S10_S11_S18_S1C_S1E_T6_T7_T9_mT8_S1G_bDpT10_ENKUlT_T0_E_clISt17integral_constantIbLb0EES1T_IbLb1EEEEDaS1P_S1Q_EUlS1P_E_NS1_11comp_targetILNS1_3genE4ELNS1_11target_archE910ELNS1_3gpuE8ELNS1_3repE0EEENS1_30default_config_static_selectorELNS0_4arch9wavefront6targetE1EEEvS12_.uses_vcc, 0
	.set _ZN7rocprim17ROCPRIM_400000_NS6detail17trampoline_kernelINS0_13select_configILj256ELj13ELNS0_17block_load_methodE3ELS4_3ELS4_3ELNS0_20block_scan_algorithmE0ELj4294967295EEENS1_25partition_config_selectorILNS1_17partition_subalgoE4EjNS0_10empty_typeEbEEZZNS1_14partition_implILS8_4ELb0ES6_15HIP_vector_typeIjLj2EENS0_17counting_iteratorIjlEEPS9_SG_NS0_5tupleIJPjSI_NS0_16reverse_iteratorISI_EEEEENSH_IJSG_SG_SG_EEES9_SI_JZNS1_25segmented_radix_sort_implINS0_14default_configELb0EPKhPhPKlPlN2at6native12_GLOBAL__N_18offset_tEEE10hipError_tPvRmT1_PNSt15iterator_traitsIS12_E10value_typeET2_T3_PNS13_IS18_E10value_typeET4_jRbjT5_S1E_jjP12ihipStream_tbEUljE_ZNSN_ISO_Lb0ESQ_SR_ST_SU_SY_EESZ_S10_S11_S12_S16_S17_S18_S1B_S1C_jS1D_jS1E_S1E_jjS1G_bEUljE0_EEESZ_S10_S11_S18_S1C_S1E_T6_T7_T9_mT8_S1G_bDpT10_ENKUlT_T0_E_clISt17integral_constantIbLb0EES1T_IbLb1EEEEDaS1P_S1Q_EUlS1P_E_NS1_11comp_targetILNS1_3genE4ELNS1_11target_archE910ELNS1_3gpuE8ELNS1_3repE0EEENS1_30default_config_static_selectorELNS0_4arch9wavefront6targetE1EEEvS12_.uses_flat_scratch, 0
	.set _ZN7rocprim17ROCPRIM_400000_NS6detail17trampoline_kernelINS0_13select_configILj256ELj13ELNS0_17block_load_methodE3ELS4_3ELS4_3ELNS0_20block_scan_algorithmE0ELj4294967295EEENS1_25partition_config_selectorILNS1_17partition_subalgoE4EjNS0_10empty_typeEbEEZZNS1_14partition_implILS8_4ELb0ES6_15HIP_vector_typeIjLj2EENS0_17counting_iteratorIjlEEPS9_SG_NS0_5tupleIJPjSI_NS0_16reverse_iteratorISI_EEEEENSH_IJSG_SG_SG_EEES9_SI_JZNS1_25segmented_radix_sort_implINS0_14default_configELb0EPKhPhPKlPlN2at6native12_GLOBAL__N_18offset_tEEE10hipError_tPvRmT1_PNSt15iterator_traitsIS12_E10value_typeET2_T3_PNS13_IS18_E10value_typeET4_jRbjT5_S1E_jjP12ihipStream_tbEUljE_ZNSN_ISO_Lb0ESQ_SR_ST_SU_SY_EESZ_S10_S11_S12_S16_S17_S18_S1B_S1C_jS1D_jS1E_S1E_jjS1G_bEUljE0_EEESZ_S10_S11_S18_S1C_S1E_T6_T7_T9_mT8_S1G_bDpT10_ENKUlT_T0_E_clISt17integral_constantIbLb0EES1T_IbLb1EEEEDaS1P_S1Q_EUlS1P_E_NS1_11comp_targetILNS1_3genE4ELNS1_11target_archE910ELNS1_3gpuE8ELNS1_3repE0EEENS1_30default_config_static_selectorELNS0_4arch9wavefront6targetE1EEEvS12_.has_dyn_sized_stack, 0
	.set _ZN7rocprim17ROCPRIM_400000_NS6detail17trampoline_kernelINS0_13select_configILj256ELj13ELNS0_17block_load_methodE3ELS4_3ELS4_3ELNS0_20block_scan_algorithmE0ELj4294967295EEENS1_25partition_config_selectorILNS1_17partition_subalgoE4EjNS0_10empty_typeEbEEZZNS1_14partition_implILS8_4ELb0ES6_15HIP_vector_typeIjLj2EENS0_17counting_iteratorIjlEEPS9_SG_NS0_5tupleIJPjSI_NS0_16reverse_iteratorISI_EEEEENSH_IJSG_SG_SG_EEES9_SI_JZNS1_25segmented_radix_sort_implINS0_14default_configELb0EPKhPhPKlPlN2at6native12_GLOBAL__N_18offset_tEEE10hipError_tPvRmT1_PNSt15iterator_traitsIS12_E10value_typeET2_T3_PNS13_IS18_E10value_typeET4_jRbjT5_S1E_jjP12ihipStream_tbEUljE_ZNSN_ISO_Lb0ESQ_SR_ST_SU_SY_EESZ_S10_S11_S12_S16_S17_S18_S1B_S1C_jS1D_jS1E_S1E_jjS1G_bEUljE0_EEESZ_S10_S11_S18_S1C_S1E_T6_T7_T9_mT8_S1G_bDpT10_ENKUlT_T0_E_clISt17integral_constantIbLb0EES1T_IbLb1EEEEDaS1P_S1Q_EUlS1P_E_NS1_11comp_targetILNS1_3genE4ELNS1_11target_archE910ELNS1_3gpuE8ELNS1_3repE0EEENS1_30default_config_static_selectorELNS0_4arch9wavefront6targetE1EEEvS12_.has_recursion, 0
	.set _ZN7rocprim17ROCPRIM_400000_NS6detail17trampoline_kernelINS0_13select_configILj256ELj13ELNS0_17block_load_methodE3ELS4_3ELS4_3ELNS0_20block_scan_algorithmE0ELj4294967295EEENS1_25partition_config_selectorILNS1_17partition_subalgoE4EjNS0_10empty_typeEbEEZZNS1_14partition_implILS8_4ELb0ES6_15HIP_vector_typeIjLj2EENS0_17counting_iteratorIjlEEPS9_SG_NS0_5tupleIJPjSI_NS0_16reverse_iteratorISI_EEEEENSH_IJSG_SG_SG_EEES9_SI_JZNS1_25segmented_radix_sort_implINS0_14default_configELb0EPKhPhPKlPlN2at6native12_GLOBAL__N_18offset_tEEE10hipError_tPvRmT1_PNSt15iterator_traitsIS12_E10value_typeET2_T3_PNS13_IS18_E10value_typeET4_jRbjT5_S1E_jjP12ihipStream_tbEUljE_ZNSN_ISO_Lb0ESQ_SR_ST_SU_SY_EESZ_S10_S11_S12_S16_S17_S18_S1B_S1C_jS1D_jS1E_S1E_jjS1G_bEUljE0_EEESZ_S10_S11_S18_S1C_S1E_T6_T7_T9_mT8_S1G_bDpT10_ENKUlT_T0_E_clISt17integral_constantIbLb0EES1T_IbLb1EEEEDaS1P_S1Q_EUlS1P_E_NS1_11comp_targetILNS1_3genE4ELNS1_11target_archE910ELNS1_3gpuE8ELNS1_3repE0EEENS1_30default_config_static_selectorELNS0_4arch9wavefront6targetE1EEEvS12_.has_indirect_call, 0
	.section	.AMDGPU.csdata,"",@progbits
; Kernel info:
; codeLenInByte = 0
; TotalNumSgprs: 4
; NumVgprs: 0
; ScratchSize: 0
; MemoryBound: 0
; FloatMode: 240
; IeeeMode: 1
; LDSByteSize: 0 bytes/workgroup (compile time only)
; SGPRBlocks: 0
; VGPRBlocks: 0
; NumSGPRsForWavesPerEU: 4
; NumVGPRsForWavesPerEU: 1
; Occupancy: 10
; WaveLimiterHint : 0
; COMPUTE_PGM_RSRC2:SCRATCH_EN: 0
; COMPUTE_PGM_RSRC2:USER_SGPR: 6
; COMPUTE_PGM_RSRC2:TRAP_HANDLER: 0
; COMPUTE_PGM_RSRC2:TGID_X_EN: 1
; COMPUTE_PGM_RSRC2:TGID_Y_EN: 0
; COMPUTE_PGM_RSRC2:TGID_Z_EN: 0
; COMPUTE_PGM_RSRC2:TIDIG_COMP_CNT: 0
	.section	.text._ZN7rocprim17ROCPRIM_400000_NS6detail17trampoline_kernelINS0_13select_configILj256ELj13ELNS0_17block_load_methodE3ELS4_3ELS4_3ELNS0_20block_scan_algorithmE0ELj4294967295EEENS1_25partition_config_selectorILNS1_17partition_subalgoE4EjNS0_10empty_typeEbEEZZNS1_14partition_implILS8_4ELb0ES6_15HIP_vector_typeIjLj2EENS0_17counting_iteratorIjlEEPS9_SG_NS0_5tupleIJPjSI_NS0_16reverse_iteratorISI_EEEEENSH_IJSG_SG_SG_EEES9_SI_JZNS1_25segmented_radix_sort_implINS0_14default_configELb0EPKhPhPKlPlN2at6native12_GLOBAL__N_18offset_tEEE10hipError_tPvRmT1_PNSt15iterator_traitsIS12_E10value_typeET2_T3_PNS13_IS18_E10value_typeET4_jRbjT5_S1E_jjP12ihipStream_tbEUljE_ZNSN_ISO_Lb0ESQ_SR_ST_SU_SY_EESZ_S10_S11_S12_S16_S17_S18_S1B_S1C_jS1D_jS1E_S1E_jjS1G_bEUljE0_EEESZ_S10_S11_S18_S1C_S1E_T6_T7_T9_mT8_S1G_bDpT10_ENKUlT_T0_E_clISt17integral_constantIbLb0EES1T_IbLb1EEEEDaS1P_S1Q_EUlS1P_E_NS1_11comp_targetILNS1_3genE3ELNS1_11target_archE908ELNS1_3gpuE7ELNS1_3repE0EEENS1_30default_config_static_selectorELNS0_4arch9wavefront6targetE1EEEvS12_,"axG",@progbits,_ZN7rocprim17ROCPRIM_400000_NS6detail17trampoline_kernelINS0_13select_configILj256ELj13ELNS0_17block_load_methodE3ELS4_3ELS4_3ELNS0_20block_scan_algorithmE0ELj4294967295EEENS1_25partition_config_selectorILNS1_17partition_subalgoE4EjNS0_10empty_typeEbEEZZNS1_14partition_implILS8_4ELb0ES6_15HIP_vector_typeIjLj2EENS0_17counting_iteratorIjlEEPS9_SG_NS0_5tupleIJPjSI_NS0_16reverse_iteratorISI_EEEEENSH_IJSG_SG_SG_EEES9_SI_JZNS1_25segmented_radix_sort_implINS0_14default_configELb0EPKhPhPKlPlN2at6native12_GLOBAL__N_18offset_tEEE10hipError_tPvRmT1_PNSt15iterator_traitsIS12_E10value_typeET2_T3_PNS13_IS18_E10value_typeET4_jRbjT5_S1E_jjP12ihipStream_tbEUljE_ZNSN_ISO_Lb0ESQ_SR_ST_SU_SY_EESZ_S10_S11_S12_S16_S17_S18_S1B_S1C_jS1D_jS1E_S1E_jjS1G_bEUljE0_EEESZ_S10_S11_S18_S1C_S1E_T6_T7_T9_mT8_S1G_bDpT10_ENKUlT_T0_E_clISt17integral_constantIbLb0EES1T_IbLb1EEEEDaS1P_S1Q_EUlS1P_E_NS1_11comp_targetILNS1_3genE3ELNS1_11target_archE908ELNS1_3gpuE7ELNS1_3repE0EEENS1_30default_config_static_selectorELNS0_4arch9wavefront6targetE1EEEvS12_,comdat
	.globl	_ZN7rocprim17ROCPRIM_400000_NS6detail17trampoline_kernelINS0_13select_configILj256ELj13ELNS0_17block_load_methodE3ELS4_3ELS4_3ELNS0_20block_scan_algorithmE0ELj4294967295EEENS1_25partition_config_selectorILNS1_17partition_subalgoE4EjNS0_10empty_typeEbEEZZNS1_14partition_implILS8_4ELb0ES6_15HIP_vector_typeIjLj2EENS0_17counting_iteratorIjlEEPS9_SG_NS0_5tupleIJPjSI_NS0_16reverse_iteratorISI_EEEEENSH_IJSG_SG_SG_EEES9_SI_JZNS1_25segmented_radix_sort_implINS0_14default_configELb0EPKhPhPKlPlN2at6native12_GLOBAL__N_18offset_tEEE10hipError_tPvRmT1_PNSt15iterator_traitsIS12_E10value_typeET2_T3_PNS13_IS18_E10value_typeET4_jRbjT5_S1E_jjP12ihipStream_tbEUljE_ZNSN_ISO_Lb0ESQ_SR_ST_SU_SY_EESZ_S10_S11_S12_S16_S17_S18_S1B_S1C_jS1D_jS1E_S1E_jjS1G_bEUljE0_EEESZ_S10_S11_S18_S1C_S1E_T6_T7_T9_mT8_S1G_bDpT10_ENKUlT_T0_E_clISt17integral_constantIbLb0EES1T_IbLb1EEEEDaS1P_S1Q_EUlS1P_E_NS1_11comp_targetILNS1_3genE3ELNS1_11target_archE908ELNS1_3gpuE7ELNS1_3repE0EEENS1_30default_config_static_selectorELNS0_4arch9wavefront6targetE1EEEvS12_ ; -- Begin function _ZN7rocprim17ROCPRIM_400000_NS6detail17trampoline_kernelINS0_13select_configILj256ELj13ELNS0_17block_load_methodE3ELS4_3ELS4_3ELNS0_20block_scan_algorithmE0ELj4294967295EEENS1_25partition_config_selectorILNS1_17partition_subalgoE4EjNS0_10empty_typeEbEEZZNS1_14partition_implILS8_4ELb0ES6_15HIP_vector_typeIjLj2EENS0_17counting_iteratorIjlEEPS9_SG_NS0_5tupleIJPjSI_NS0_16reverse_iteratorISI_EEEEENSH_IJSG_SG_SG_EEES9_SI_JZNS1_25segmented_radix_sort_implINS0_14default_configELb0EPKhPhPKlPlN2at6native12_GLOBAL__N_18offset_tEEE10hipError_tPvRmT1_PNSt15iterator_traitsIS12_E10value_typeET2_T3_PNS13_IS18_E10value_typeET4_jRbjT5_S1E_jjP12ihipStream_tbEUljE_ZNSN_ISO_Lb0ESQ_SR_ST_SU_SY_EESZ_S10_S11_S12_S16_S17_S18_S1B_S1C_jS1D_jS1E_S1E_jjS1G_bEUljE0_EEESZ_S10_S11_S18_S1C_S1E_T6_T7_T9_mT8_S1G_bDpT10_ENKUlT_T0_E_clISt17integral_constantIbLb0EES1T_IbLb1EEEEDaS1P_S1Q_EUlS1P_E_NS1_11comp_targetILNS1_3genE3ELNS1_11target_archE908ELNS1_3gpuE7ELNS1_3repE0EEENS1_30default_config_static_selectorELNS0_4arch9wavefront6targetE1EEEvS12_
	.p2align	8
	.type	_ZN7rocprim17ROCPRIM_400000_NS6detail17trampoline_kernelINS0_13select_configILj256ELj13ELNS0_17block_load_methodE3ELS4_3ELS4_3ELNS0_20block_scan_algorithmE0ELj4294967295EEENS1_25partition_config_selectorILNS1_17partition_subalgoE4EjNS0_10empty_typeEbEEZZNS1_14partition_implILS8_4ELb0ES6_15HIP_vector_typeIjLj2EENS0_17counting_iteratorIjlEEPS9_SG_NS0_5tupleIJPjSI_NS0_16reverse_iteratorISI_EEEEENSH_IJSG_SG_SG_EEES9_SI_JZNS1_25segmented_radix_sort_implINS0_14default_configELb0EPKhPhPKlPlN2at6native12_GLOBAL__N_18offset_tEEE10hipError_tPvRmT1_PNSt15iterator_traitsIS12_E10value_typeET2_T3_PNS13_IS18_E10value_typeET4_jRbjT5_S1E_jjP12ihipStream_tbEUljE_ZNSN_ISO_Lb0ESQ_SR_ST_SU_SY_EESZ_S10_S11_S12_S16_S17_S18_S1B_S1C_jS1D_jS1E_S1E_jjS1G_bEUljE0_EEESZ_S10_S11_S18_S1C_S1E_T6_T7_T9_mT8_S1G_bDpT10_ENKUlT_T0_E_clISt17integral_constantIbLb0EES1T_IbLb1EEEEDaS1P_S1Q_EUlS1P_E_NS1_11comp_targetILNS1_3genE3ELNS1_11target_archE908ELNS1_3gpuE7ELNS1_3repE0EEENS1_30default_config_static_selectorELNS0_4arch9wavefront6targetE1EEEvS12_,@function
_ZN7rocprim17ROCPRIM_400000_NS6detail17trampoline_kernelINS0_13select_configILj256ELj13ELNS0_17block_load_methodE3ELS4_3ELS4_3ELNS0_20block_scan_algorithmE0ELj4294967295EEENS1_25partition_config_selectorILNS1_17partition_subalgoE4EjNS0_10empty_typeEbEEZZNS1_14partition_implILS8_4ELb0ES6_15HIP_vector_typeIjLj2EENS0_17counting_iteratorIjlEEPS9_SG_NS0_5tupleIJPjSI_NS0_16reverse_iteratorISI_EEEEENSH_IJSG_SG_SG_EEES9_SI_JZNS1_25segmented_radix_sort_implINS0_14default_configELb0EPKhPhPKlPlN2at6native12_GLOBAL__N_18offset_tEEE10hipError_tPvRmT1_PNSt15iterator_traitsIS12_E10value_typeET2_T3_PNS13_IS18_E10value_typeET4_jRbjT5_S1E_jjP12ihipStream_tbEUljE_ZNSN_ISO_Lb0ESQ_SR_ST_SU_SY_EESZ_S10_S11_S12_S16_S17_S18_S1B_S1C_jS1D_jS1E_S1E_jjS1G_bEUljE0_EEESZ_S10_S11_S18_S1C_S1E_T6_T7_T9_mT8_S1G_bDpT10_ENKUlT_T0_E_clISt17integral_constantIbLb0EES1T_IbLb1EEEEDaS1P_S1Q_EUlS1P_E_NS1_11comp_targetILNS1_3genE3ELNS1_11target_archE908ELNS1_3gpuE7ELNS1_3repE0EEENS1_30default_config_static_selectorELNS0_4arch9wavefront6targetE1EEEvS12_: ; @_ZN7rocprim17ROCPRIM_400000_NS6detail17trampoline_kernelINS0_13select_configILj256ELj13ELNS0_17block_load_methodE3ELS4_3ELS4_3ELNS0_20block_scan_algorithmE0ELj4294967295EEENS1_25partition_config_selectorILNS1_17partition_subalgoE4EjNS0_10empty_typeEbEEZZNS1_14partition_implILS8_4ELb0ES6_15HIP_vector_typeIjLj2EENS0_17counting_iteratorIjlEEPS9_SG_NS0_5tupleIJPjSI_NS0_16reverse_iteratorISI_EEEEENSH_IJSG_SG_SG_EEES9_SI_JZNS1_25segmented_radix_sort_implINS0_14default_configELb0EPKhPhPKlPlN2at6native12_GLOBAL__N_18offset_tEEE10hipError_tPvRmT1_PNSt15iterator_traitsIS12_E10value_typeET2_T3_PNS13_IS18_E10value_typeET4_jRbjT5_S1E_jjP12ihipStream_tbEUljE_ZNSN_ISO_Lb0ESQ_SR_ST_SU_SY_EESZ_S10_S11_S12_S16_S17_S18_S1B_S1C_jS1D_jS1E_S1E_jjS1G_bEUljE0_EEESZ_S10_S11_S18_S1C_S1E_T6_T7_T9_mT8_S1G_bDpT10_ENKUlT_T0_E_clISt17integral_constantIbLb0EES1T_IbLb1EEEEDaS1P_S1Q_EUlS1P_E_NS1_11comp_targetILNS1_3genE3ELNS1_11target_archE908ELNS1_3gpuE7ELNS1_3repE0EEENS1_30default_config_static_selectorELNS0_4arch9wavefront6targetE1EEEvS12_
; %bb.0:
	.section	.rodata,"a",@progbits
	.p2align	6, 0x0
	.amdhsa_kernel _ZN7rocprim17ROCPRIM_400000_NS6detail17trampoline_kernelINS0_13select_configILj256ELj13ELNS0_17block_load_methodE3ELS4_3ELS4_3ELNS0_20block_scan_algorithmE0ELj4294967295EEENS1_25partition_config_selectorILNS1_17partition_subalgoE4EjNS0_10empty_typeEbEEZZNS1_14partition_implILS8_4ELb0ES6_15HIP_vector_typeIjLj2EENS0_17counting_iteratorIjlEEPS9_SG_NS0_5tupleIJPjSI_NS0_16reverse_iteratorISI_EEEEENSH_IJSG_SG_SG_EEES9_SI_JZNS1_25segmented_radix_sort_implINS0_14default_configELb0EPKhPhPKlPlN2at6native12_GLOBAL__N_18offset_tEEE10hipError_tPvRmT1_PNSt15iterator_traitsIS12_E10value_typeET2_T3_PNS13_IS18_E10value_typeET4_jRbjT5_S1E_jjP12ihipStream_tbEUljE_ZNSN_ISO_Lb0ESQ_SR_ST_SU_SY_EESZ_S10_S11_S12_S16_S17_S18_S1B_S1C_jS1D_jS1E_S1E_jjS1G_bEUljE0_EEESZ_S10_S11_S18_S1C_S1E_T6_T7_T9_mT8_S1G_bDpT10_ENKUlT_T0_E_clISt17integral_constantIbLb0EES1T_IbLb1EEEEDaS1P_S1Q_EUlS1P_E_NS1_11comp_targetILNS1_3genE3ELNS1_11target_archE908ELNS1_3gpuE7ELNS1_3repE0EEENS1_30default_config_static_selectorELNS0_4arch9wavefront6targetE1EEEvS12_
		.amdhsa_group_segment_fixed_size 0
		.amdhsa_private_segment_fixed_size 0
		.amdhsa_kernarg_size 184
		.amdhsa_user_sgpr_count 6
		.amdhsa_user_sgpr_private_segment_buffer 1
		.amdhsa_user_sgpr_dispatch_ptr 0
		.amdhsa_user_sgpr_queue_ptr 0
		.amdhsa_user_sgpr_kernarg_segment_ptr 1
		.amdhsa_user_sgpr_dispatch_id 0
		.amdhsa_user_sgpr_flat_scratch_init 0
		.amdhsa_user_sgpr_private_segment_size 0
		.amdhsa_uses_dynamic_stack 0
		.amdhsa_system_sgpr_private_segment_wavefront_offset 0
		.amdhsa_system_sgpr_workgroup_id_x 1
		.amdhsa_system_sgpr_workgroup_id_y 0
		.amdhsa_system_sgpr_workgroup_id_z 0
		.amdhsa_system_sgpr_workgroup_info 0
		.amdhsa_system_vgpr_workitem_id 0
		.amdhsa_next_free_vgpr 1
		.amdhsa_next_free_sgpr 0
		.amdhsa_reserve_vcc 0
		.amdhsa_reserve_flat_scratch 0
		.amdhsa_float_round_mode_32 0
		.amdhsa_float_round_mode_16_64 0
		.amdhsa_float_denorm_mode_32 3
		.amdhsa_float_denorm_mode_16_64 3
		.amdhsa_dx10_clamp 1
		.amdhsa_ieee_mode 1
		.amdhsa_fp16_overflow 0
		.amdhsa_exception_fp_ieee_invalid_op 0
		.amdhsa_exception_fp_denorm_src 0
		.amdhsa_exception_fp_ieee_div_zero 0
		.amdhsa_exception_fp_ieee_overflow 0
		.amdhsa_exception_fp_ieee_underflow 0
		.amdhsa_exception_fp_ieee_inexact 0
		.amdhsa_exception_int_div_zero 0
	.end_amdhsa_kernel
	.section	.text._ZN7rocprim17ROCPRIM_400000_NS6detail17trampoline_kernelINS0_13select_configILj256ELj13ELNS0_17block_load_methodE3ELS4_3ELS4_3ELNS0_20block_scan_algorithmE0ELj4294967295EEENS1_25partition_config_selectorILNS1_17partition_subalgoE4EjNS0_10empty_typeEbEEZZNS1_14partition_implILS8_4ELb0ES6_15HIP_vector_typeIjLj2EENS0_17counting_iteratorIjlEEPS9_SG_NS0_5tupleIJPjSI_NS0_16reverse_iteratorISI_EEEEENSH_IJSG_SG_SG_EEES9_SI_JZNS1_25segmented_radix_sort_implINS0_14default_configELb0EPKhPhPKlPlN2at6native12_GLOBAL__N_18offset_tEEE10hipError_tPvRmT1_PNSt15iterator_traitsIS12_E10value_typeET2_T3_PNS13_IS18_E10value_typeET4_jRbjT5_S1E_jjP12ihipStream_tbEUljE_ZNSN_ISO_Lb0ESQ_SR_ST_SU_SY_EESZ_S10_S11_S12_S16_S17_S18_S1B_S1C_jS1D_jS1E_S1E_jjS1G_bEUljE0_EEESZ_S10_S11_S18_S1C_S1E_T6_T7_T9_mT8_S1G_bDpT10_ENKUlT_T0_E_clISt17integral_constantIbLb0EES1T_IbLb1EEEEDaS1P_S1Q_EUlS1P_E_NS1_11comp_targetILNS1_3genE3ELNS1_11target_archE908ELNS1_3gpuE7ELNS1_3repE0EEENS1_30default_config_static_selectorELNS0_4arch9wavefront6targetE1EEEvS12_,"axG",@progbits,_ZN7rocprim17ROCPRIM_400000_NS6detail17trampoline_kernelINS0_13select_configILj256ELj13ELNS0_17block_load_methodE3ELS4_3ELS4_3ELNS0_20block_scan_algorithmE0ELj4294967295EEENS1_25partition_config_selectorILNS1_17partition_subalgoE4EjNS0_10empty_typeEbEEZZNS1_14partition_implILS8_4ELb0ES6_15HIP_vector_typeIjLj2EENS0_17counting_iteratorIjlEEPS9_SG_NS0_5tupleIJPjSI_NS0_16reverse_iteratorISI_EEEEENSH_IJSG_SG_SG_EEES9_SI_JZNS1_25segmented_radix_sort_implINS0_14default_configELb0EPKhPhPKlPlN2at6native12_GLOBAL__N_18offset_tEEE10hipError_tPvRmT1_PNSt15iterator_traitsIS12_E10value_typeET2_T3_PNS13_IS18_E10value_typeET4_jRbjT5_S1E_jjP12ihipStream_tbEUljE_ZNSN_ISO_Lb0ESQ_SR_ST_SU_SY_EESZ_S10_S11_S12_S16_S17_S18_S1B_S1C_jS1D_jS1E_S1E_jjS1G_bEUljE0_EEESZ_S10_S11_S18_S1C_S1E_T6_T7_T9_mT8_S1G_bDpT10_ENKUlT_T0_E_clISt17integral_constantIbLb0EES1T_IbLb1EEEEDaS1P_S1Q_EUlS1P_E_NS1_11comp_targetILNS1_3genE3ELNS1_11target_archE908ELNS1_3gpuE7ELNS1_3repE0EEENS1_30default_config_static_selectorELNS0_4arch9wavefront6targetE1EEEvS12_,comdat
.Lfunc_end149:
	.size	_ZN7rocprim17ROCPRIM_400000_NS6detail17trampoline_kernelINS0_13select_configILj256ELj13ELNS0_17block_load_methodE3ELS4_3ELS4_3ELNS0_20block_scan_algorithmE0ELj4294967295EEENS1_25partition_config_selectorILNS1_17partition_subalgoE4EjNS0_10empty_typeEbEEZZNS1_14partition_implILS8_4ELb0ES6_15HIP_vector_typeIjLj2EENS0_17counting_iteratorIjlEEPS9_SG_NS0_5tupleIJPjSI_NS0_16reverse_iteratorISI_EEEEENSH_IJSG_SG_SG_EEES9_SI_JZNS1_25segmented_radix_sort_implINS0_14default_configELb0EPKhPhPKlPlN2at6native12_GLOBAL__N_18offset_tEEE10hipError_tPvRmT1_PNSt15iterator_traitsIS12_E10value_typeET2_T3_PNS13_IS18_E10value_typeET4_jRbjT5_S1E_jjP12ihipStream_tbEUljE_ZNSN_ISO_Lb0ESQ_SR_ST_SU_SY_EESZ_S10_S11_S12_S16_S17_S18_S1B_S1C_jS1D_jS1E_S1E_jjS1G_bEUljE0_EEESZ_S10_S11_S18_S1C_S1E_T6_T7_T9_mT8_S1G_bDpT10_ENKUlT_T0_E_clISt17integral_constantIbLb0EES1T_IbLb1EEEEDaS1P_S1Q_EUlS1P_E_NS1_11comp_targetILNS1_3genE3ELNS1_11target_archE908ELNS1_3gpuE7ELNS1_3repE0EEENS1_30default_config_static_selectorELNS0_4arch9wavefront6targetE1EEEvS12_, .Lfunc_end149-_ZN7rocprim17ROCPRIM_400000_NS6detail17trampoline_kernelINS0_13select_configILj256ELj13ELNS0_17block_load_methodE3ELS4_3ELS4_3ELNS0_20block_scan_algorithmE0ELj4294967295EEENS1_25partition_config_selectorILNS1_17partition_subalgoE4EjNS0_10empty_typeEbEEZZNS1_14partition_implILS8_4ELb0ES6_15HIP_vector_typeIjLj2EENS0_17counting_iteratorIjlEEPS9_SG_NS0_5tupleIJPjSI_NS0_16reverse_iteratorISI_EEEEENSH_IJSG_SG_SG_EEES9_SI_JZNS1_25segmented_radix_sort_implINS0_14default_configELb0EPKhPhPKlPlN2at6native12_GLOBAL__N_18offset_tEEE10hipError_tPvRmT1_PNSt15iterator_traitsIS12_E10value_typeET2_T3_PNS13_IS18_E10value_typeET4_jRbjT5_S1E_jjP12ihipStream_tbEUljE_ZNSN_ISO_Lb0ESQ_SR_ST_SU_SY_EESZ_S10_S11_S12_S16_S17_S18_S1B_S1C_jS1D_jS1E_S1E_jjS1G_bEUljE0_EEESZ_S10_S11_S18_S1C_S1E_T6_T7_T9_mT8_S1G_bDpT10_ENKUlT_T0_E_clISt17integral_constantIbLb0EES1T_IbLb1EEEEDaS1P_S1Q_EUlS1P_E_NS1_11comp_targetILNS1_3genE3ELNS1_11target_archE908ELNS1_3gpuE7ELNS1_3repE0EEENS1_30default_config_static_selectorELNS0_4arch9wavefront6targetE1EEEvS12_
                                        ; -- End function
	.set _ZN7rocprim17ROCPRIM_400000_NS6detail17trampoline_kernelINS0_13select_configILj256ELj13ELNS0_17block_load_methodE3ELS4_3ELS4_3ELNS0_20block_scan_algorithmE0ELj4294967295EEENS1_25partition_config_selectorILNS1_17partition_subalgoE4EjNS0_10empty_typeEbEEZZNS1_14partition_implILS8_4ELb0ES6_15HIP_vector_typeIjLj2EENS0_17counting_iteratorIjlEEPS9_SG_NS0_5tupleIJPjSI_NS0_16reverse_iteratorISI_EEEEENSH_IJSG_SG_SG_EEES9_SI_JZNS1_25segmented_radix_sort_implINS0_14default_configELb0EPKhPhPKlPlN2at6native12_GLOBAL__N_18offset_tEEE10hipError_tPvRmT1_PNSt15iterator_traitsIS12_E10value_typeET2_T3_PNS13_IS18_E10value_typeET4_jRbjT5_S1E_jjP12ihipStream_tbEUljE_ZNSN_ISO_Lb0ESQ_SR_ST_SU_SY_EESZ_S10_S11_S12_S16_S17_S18_S1B_S1C_jS1D_jS1E_S1E_jjS1G_bEUljE0_EEESZ_S10_S11_S18_S1C_S1E_T6_T7_T9_mT8_S1G_bDpT10_ENKUlT_T0_E_clISt17integral_constantIbLb0EES1T_IbLb1EEEEDaS1P_S1Q_EUlS1P_E_NS1_11comp_targetILNS1_3genE3ELNS1_11target_archE908ELNS1_3gpuE7ELNS1_3repE0EEENS1_30default_config_static_selectorELNS0_4arch9wavefront6targetE1EEEvS12_.num_vgpr, 0
	.set _ZN7rocprim17ROCPRIM_400000_NS6detail17trampoline_kernelINS0_13select_configILj256ELj13ELNS0_17block_load_methodE3ELS4_3ELS4_3ELNS0_20block_scan_algorithmE0ELj4294967295EEENS1_25partition_config_selectorILNS1_17partition_subalgoE4EjNS0_10empty_typeEbEEZZNS1_14partition_implILS8_4ELb0ES6_15HIP_vector_typeIjLj2EENS0_17counting_iteratorIjlEEPS9_SG_NS0_5tupleIJPjSI_NS0_16reverse_iteratorISI_EEEEENSH_IJSG_SG_SG_EEES9_SI_JZNS1_25segmented_radix_sort_implINS0_14default_configELb0EPKhPhPKlPlN2at6native12_GLOBAL__N_18offset_tEEE10hipError_tPvRmT1_PNSt15iterator_traitsIS12_E10value_typeET2_T3_PNS13_IS18_E10value_typeET4_jRbjT5_S1E_jjP12ihipStream_tbEUljE_ZNSN_ISO_Lb0ESQ_SR_ST_SU_SY_EESZ_S10_S11_S12_S16_S17_S18_S1B_S1C_jS1D_jS1E_S1E_jjS1G_bEUljE0_EEESZ_S10_S11_S18_S1C_S1E_T6_T7_T9_mT8_S1G_bDpT10_ENKUlT_T0_E_clISt17integral_constantIbLb0EES1T_IbLb1EEEEDaS1P_S1Q_EUlS1P_E_NS1_11comp_targetILNS1_3genE3ELNS1_11target_archE908ELNS1_3gpuE7ELNS1_3repE0EEENS1_30default_config_static_selectorELNS0_4arch9wavefront6targetE1EEEvS12_.num_agpr, 0
	.set _ZN7rocprim17ROCPRIM_400000_NS6detail17trampoline_kernelINS0_13select_configILj256ELj13ELNS0_17block_load_methodE3ELS4_3ELS4_3ELNS0_20block_scan_algorithmE0ELj4294967295EEENS1_25partition_config_selectorILNS1_17partition_subalgoE4EjNS0_10empty_typeEbEEZZNS1_14partition_implILS8_4ELb0ES6_15HIP_vector_typeIjLj2EENS0_17counting_iteratorIjlEEPS9_SG_NS0_5tupleIJPjSI_NS0_16reverse_iteratorISI_EEEEENSH_IJSG_SG_SG_EEES9_SI_JZNS1_25segmented_radix_sort_implINS0_14default_configELb0EPKhPhPKlPlN2at6native12_GLOBAL__N_18offset_tEEE10hipError_tPvRmT1_PNSt15iterator_traitsIS12_E10value_typeET2_T3_PNS13_IS18_E10value_typeET4_jRbjT5_S1E_jjP12ihipStream_tbEUljE_ZNSN_ISO_Lb0ESQ_SR_ST_SU_SY_EESZ_S10_S11_S12_S16_S17_S18_S1B_S1C_jS1D_jS1E_S1E_jjS1G_bEUljE0_EEESZ_S10_S11_S18_S1C_S1E_T6_T7_T9_mT8_S1G_bDpT10_ENKUlT_T0_E_clISt17integral_constantIbLb0EES1T_IbLb1EEEEDaS1P_S1Q_EUlS1P_E_NS1_11comp_targetILNS1_3genE3ELNS1_11target_archE908ELNS1_3gpuE7ELNS1_3repE0EEENS1_30default_config_static_selectorELNS0_4arch9wavefront6targetE1EEEvS12_.numbered_sgpr, 0
	.set _ZN7rocprim17ROCPRIM_400000_NS6detail17trampoline_kernelINS0_13select_configILj256ELj13ELNS0_17block_load_methodE3ELS4_3ELS4_3ELNS0_20block_scan_algorithmE0ELj4294967295EEENS1_25partition_config_selectorILNS1_17partition_subalgoE4EjNS0_10empty_typeEbEEZZNS1_14partition_implILS8_4ELb0ES6_15HIP_vector_typeIjLj2EENS0_17counting_iteratorIjlEEPS9_SG_NS0_5tupleIJPjSI_NS0_16reverse_iteratorISI_EEEEENSH_IJSG_SG_SG_EEES9_SI_JZNS1_25segmented_radix_sort_implINS0_14default_configELb0EPKhPhPKlPlN2at6native12_GLOBAL__N_18offset_tEEE10hipError_tPvRmT1_PNSt15iterator_traitsIS12_E10value_typeET2_T3_PNS13_IS18_E10value_typeET4_jRbjT5_S1E_jjP12ihipStream_tbEUljE_ZNSN_ISO_Lb0ESQ_SR_ST_SU_SY_EESZ_S10_S11_S12_S16_S17_S18_S1B_S1C_jS1D_jS1E_S1E_jjS1G_bEUljE0_EEESZ_S10_S11_S18_S1C_S1E_T6_T7_T9_mT8_S1G_bDpT10_ENKUlT_T0_E_clISt17integral_constantIbLb0EES1T_IbLb1EEEEDaS1P_S1Q_EUlS1P_E_NS1_11comp_targetILNS1_3genE3ELNS1_11target_archE908ELNS1_3gpuE7ELNS1_3repE0EEENS1_30default_config_static_selectorELNS0_4arch9wavefront6targetE1EEEvS12_.num_named_barrier, 0
	.set _ZN7rocprim17ROCPRIM_400000_NS6detail17trampoline_kernelINS0_13select_configILj256ELj13ELNS0_17block_load_methodE3ELS4_3ELS4_3ELNS0_20block_scan_algorithmE0ELj4294967295EEENS1_25partition_config_selectorILNS1_17partition_subalgoE4EjNS0_10empty_typeEbEEZZNS1_14partition_implILS8_4ELb0ES6_15HIP_vector_typeIjLj2EENS0_17counting_iteratorIjlEEPS9_SG_NS0_5tupleIJPjSI_NS0_16reverse_iteratorISI_EEEEENSH_IJSG_SG_SG_EEES9_SI_JZNS1_25segmented_radix_sort_implINS0_14default_configELb0EPKhPhPKlPlN2at6native12_GLOBAL__N_18offset_tEEE10hipError_tPvRmT1_PNSt15iterator_traitsIS12_E10value_typeET2_T3_PNS13_IS18_E10value_typeET4_jRbjT5_S1E_jjP12ihipStream_tbEUljE_ZNSN_ISO_Lb0ESQ_SR_ST_SU_SY_EESZ_S10_S11_S12_S16_S17_S18_S1B_S1C_jS1D_jS1E_S1E_jjS1G_bEUljE0_EEESZ_S10_S11_S18_S1C_S1E_T6_T7_T9_mT8_S1G_bDpT10_ENKUlT_T0_E_clISt17integral_constantIbLb0EES1T_IbLb1EEEEDaS1P_S1Q_EUlS1P_E_NS1_11comp_targetILNS1_3genE3ELNS1_11target_archE908ELNS1_3gpuE7ELNS1_3repE0EEENS1_30default_config_static_selectorELNS0_4arch9wavefront6targetE1EEEvS12_.private_seg_size, 0
	.set _ZN7rocprim17ROCPRIM_400000_NS6detail17trampoline_kernelINS0_13select_configILj256ELj13ELNS0_17block_load_methodE3ELS4_3ELS4_3ELNS0_20block_scan_algorithmE0ELj4294967295EEENS1_25partition_config_selectorILNS1_17partition_subalgoE4EjNS0_10empty_typeEbEEZZNS1_14partition_implILS8_4ELb0ES6_15HIP_vector_typeIjLj2EENS0_17counting_iteratorIjlEEPS9_SG_NS0_5tupleIJPjSI_NS0_16reverse_iteratorISI_EEEEENSH_IJSG_SG_SG_EEES9_SI_JZNS1_25segmented_radix_sort_implINS0_14default_configELb0EPKhPhPKlPlN2at6native12_GLOBAL__N_18offset_tEEE10hipError_tPvRmT1_PNSt15iterator_traitsIS12_E10value_typeET2_T3_PNS13_IS18_E10value_typeET4_jRbjT5_S1E_jjP12ihipStream_tbEUljE_ZNSN_ISO_Lb0ESQ_SR_ST_SU_SY_EESZ_S10_S11_S12_S16_S17_S18_S1B_S1C_jS1D_jS1E_S1E_jjS1G_bEUljE0_EEESZ_S10_S11_S18_S1C_S1E_T6_T7_T9_mT8_S1G_bDpT10_ENKUlT_T0_E_clISt17integral_constantIbLb0EES1T_IbLb1EEEEDaS1P_S1Q_EUlS1P_E_NS1_11comp_targetILNS1_3genE3ELNS1_11target_archE908ELNS1_3gpuE7ELNS1_3repE0EEENS1_30default_config_static_selectorELNS0_4arch9wavefront6targetE1EEEvS12_.uses_vcc, 0
	.set _ZN7rocprim17ROCPRIM_400000_NS6detail17trampoline_kernelINS0_13select_configILj256ELj13ELNS0_17block_load_methodE3ELS4_3ELS4_3ELNS0_20block_scan_algorithmE0ELj4294967295EEENS1_25partition_config_selectorILNS1_17partition_subalgoE4EjNS0_10empty_typeEbEEZZNS1_14partition_implILS8_4ELb0ES6_15HIP_vector_typeIjLj2EENS0_17counting_iteratorIjlEEPS9_SG_NS0_5tupleIJPjSI_NS0_16reverse_iteratorISI_EEEEENSH_IJSG_SG_SG_EEES9_SI_JZNS1_25segmented_radix_sort_implINS0_14default_configELb0EPKhPhPKlPlN2at6native12_GLOBAL__N_18offset_tEEE10hipError_tPvRmT1_PNSt15iterator_traitsIS12_E10value_typeET2_T3_PNS13_IS18_E10value_typeET4_jRbjT5_S1E_jjP12ihipStream_tbEUljE_ZNSN_ISO_Lb0ESQ_SR_ST_SU_SY_EESZ_S10_S11_S12_S16_S17_S18_S1B_S1C_jS1D_jS1E_S1E_jjS1G_bEUljE0_EEESZ_S10_S11_S18_S1C_S1E_T6_T7_T9_mT8_S1G_bDpT10_ENKUlT_T0_E_clISt17integral_constantIbLb0EES1T_IbLb1EEEEDaS1P_S1Q_EUlS1P_E_NS1_11comp_targetILNS1_3genE3ELNS1_11target_archE908ELNS1_3gpuE7ELNS1_3repE0EEENS1_30default_config_static_selectorELNS0_4arch9wavefront6targetE1EEEvS12_.uses_flat_scratch, 0
	.set _ZN7rocprim17ROCPRIM_400000_NS6detail17trampoline_kernelINS0_13select_configILj256ELj13ELNS0_17block_load_methodE3ELS4_3ELS4_3ELNS0_20block_scan_algorithmE0ELj4294967295EEENS1_25partition_config_selectorILNS1_17partition_subalgoE4EjNS0_10empty_typeEbEEZZNS1_14partition_implILS8_4ELb0ES6_15HIP_vector_typeIjLj2EENS0_17counting_iteratorIjlEEPS9_SG_NS0_5tupleIJPjSI_NS0_16reverse_iteratorISI_EEEEENSH_IJSG_SG_SG_EEES9_SI_JZNS1_25segmented_radix_sort_implINS0_14default_configELb0EPKhPhPKlPlN2at6native12_GLOBAL__N_18offset_tEEE10hipError_tPvRmT1_PNSt15iterator_traitsIS12_E10value_typeET2_T3_PNS13_IS18_E10value_typeET4_jRbjT5_S1E_jjP12ihipStream_tbEUljE_ZNSN_ISO_Lb0ESQ_SR_ST_SU_SY_EESZ_S10_S11_S12_S16_S17_S18_S1B_S1C_jS1D_jS1E_S1E_jjS1G_bEUljE0_EEESZ_S10_S11_S18_S1C_S1E_T6_T7_T9_mT8_S1G_bDpT10_ENKUlT_T0_E_clISt17integral_constantIbLb0EES1T_IbLb1EEEEDaS1P_S1Q_EUlS1P_E_NS1_11comp_targetILNS1_3genE3ELNS1_11target_archE908ELNS1_3gpuE7ELNS1_3repE0EEENS1_30default_config_static_selectorELNS0_4arch9wavefront6targetE1EEEvS12_.has_dyn_sized_stack, 0
	.set _ZN7rocprim17ROCPRIM_400000_NS6detail17trampoline_kernelINS0_13select_configILj256ELj13ELNS0_17block_load_methodE3ELS4_3ELS4_3ELNS0_20block_scan_algorithmE0ELj4294967295EEENS1_25partition_config_selectorILNS1_17partition_subalgoE4EjNS0_10empty_typeEbEEZZNS1_14partition_implILS8_4ELb0ES6_15HIP_vector_typeIjLj2EENS0_17counting_iteratorIjlEEPS9_SG_NS0_5tupleIJPjSI_NS0_16reverse_iteratorISI_EEEEENSH_IJSG_SG_SG_EEES9_SI_JZNS1_25segmented_radix_sort_implINS0_14default_configELb0EPKhPhPKlPlN2at6native12_GLOBAL__N_18offset_tEEE10hipError_tPvRmT1_PNSt15iterator_traitsIS12_E10value_typeET2_T3_PNS13_IS18_E10value_typeET4_jRbjT5_S1E_jjP12ihipStream_tbEUljE_ZNSN_ISO_Lb0ESQ_SR_ST_SU_SY_EESZ_S10_S11_S12_S16_S17_S18_S1B_S1C_jS1D_jS1E_S1E_jjS1G_bEUljE0_EEESZ_S10_S11_S18_S1C_S1E_T6_T7_T9_mT8_S1G_bDpT10_ENKUlT_T0_E_clISt17integral_constantIbLb0EES1T_IbLb1EEEEDaS1P_S1Q_EUlS1P_E_NS1_11comp_targetILNS1_3genE3ELNS1_11target_archE908ELNS1_3gpuE7ELNS1_3repE0EEENS1_30default_config_static_selectorELNS0_4arch9wavefront6targetE1EEEvS12_.has_recursion, 0
	.set _ZN7rocprim17ROCPRIM_400000_NS6detail17trampoline_kernelINS0_13select_configILj256ELj13ELNS0_17block_load_methodE3ELS4_3ELS4_3ELNS0_20block_scan_algorithmE0ELj4294967295EEENS1_25partition_config_selectorILNS1_17partition_subalgoE4EjNS0_10empty_typeEbEEZZNS1_14partition_implILS8_4ELb0ES6_15HIP_vector_typeIjLj2EENS0_17counting_iteratorIjlEEPS9_SG_NS0_5tupleIJPjSI_NS0_16reverse_iteratorISI_EEEEENSH_IJSG_SG_SG_EEES9_SI_JZNS1_25segmented_radix_sort_implINS0_14default_configELb0EPKhPhPKlPlN2at6native12_GLOBAL__N_18offset_tEEE10hipError_tPvRmT1_PNSt15iterator_traitsIS12_E10value_typeET2_T3_PNS13_IS18_E10value_typeET4_jRbjT5_S1E_jjP12ihipStream_tbEUljE_ZNSN_ISO_Lb0ESQ_SR_ST_SU_SY_EESZ_S10_S11_S12_S16_S17_S18_S1B_S1C_jS1D_jS1E_S1E_jjS1G_bEUljE0_EEESZ_S10_S11_S18_S1C_S1E_T6_T7_T9_mT8_S1G_bDpT10_ENKUlT_T0_E_clISt17integral_constantIbLb0EES1T_IbLb1EEEEDaS1P_S1Q_EUlS1P_E_NS1_11comp_targetILNS1_3genE3ELNS1_11target_archE908ELNS1_3gpuE7ELNS1_3repE0EEENS1_30default_config_static_selectorELNS0_4arch9wavefront6targetE1EEEvS12_.has_indirect_call, 0
	.section	.AMDGPU.csdata,"",@progbits
; Kernel info:
; codeLenInByte = 0
; TotalNumSgprs: 4
; NumVgprs: 0
; ScratchSize: 0
; MemoryBound: 0
; FloatMode: 240
; IeeeMode: 1
; LDSByteSize: 0 bytes/workgroup (compile time only)
; SGPRBlocks: 0
; VGPRBlocks: 0
; NumSGPRsForWavesPerEU: 4
; NumVGPRsForWavesPerEU: 1
; Occupancy: 10
; WaveLimiterHint : 0
; COMPUTE_PGM_RSRC2:SCRATCH_EN: 0
; COMPUTE_PGM_RSRC2:USER_SGPR: 6
; COMPUTE_PGM_RSRC2:TRAP_HANDLER: 0
; COMPUTE_PGM_RSRC2:TGID_X_EN: 1
; COMPUTE_PGM_RSRC2:TGID_Y_EN: 0
; COMPUTE_PGM_RSRC2:TGID_Z_EN: 0
; COMPUTE_PGM_RSRC2:TIDIG_COMP_CNT: 0
	.section	.text._ZN7rocprim17ROCPRIM_400000_NS6detail17trampoline_kernelINS0_13select_configILj256ELj13ELNS0_17block_load_methodE3ELS4_3ELS4_3ELNS0_20block_scan_algorithmE0ELj4294967295EEENS1_25partition_config_selectorILNS1_17partition_subalgoE4EjNS0_10empty_typeEbEEZZNS1_14partition_implILS8_4ELb0ES6_15HIP_vector_typeIjLj2EENS0_17counting_iteratorIjlEEPS9_SG_NS0_5tupleIJPjSI_NS0_16reverse_iteratorISI_EEEEENSH_IJSG_SG_SG_EEES9_SI_JZNS1_25segmented_radix_sort_implINS0_14default_configELb0EPKhPhPKlPlN2at6native12_GLOBAL__N_18offset_tEEE10hipError_tPvRmT1_PNSt15iterator_traitsIS12_E10value_typeET2_T3_PNS13_IS18_E10value_typeET4_jRbjT5_S1E_jjP12ihipStream_tbEUljE_ZNSN_ISO_Lb0ESQ_SR_ST_SU_SY_EESZ_S10_S11_S12_S16_S17_S18_S1B_S1C_jS1D_jS1E_S1E_jjS1G_bEUljE0_EEESZ_S10_S11_S18_S1C_S1E_T6_T7_T9_mT8_S1G_bDpT10_ENKUlT_T0_E_clISt17integral_constantIbLb0EES1T_IbLb1EEEEDaS1P_S1Q_EUlS1P_E_NS1_11comp_targetILNS1_3genE2ELNS1_11target_archE906ELNS1_3gpuE6ELNS1_3repE0EEENS1_30default_config_static_selectorELNS0_4arch9wavefront6targetE1EEEvS12_,"axG",@progbits,_ZN7rocprim17ROCPRIM_400000_NS6detail17trampoline_kernelINS0_13select_configILj256ELj13ELNS0_17block_load_methodE3ELS4_3ELS4_3ELNS0_20block_scan_algorithmE0ELj4294967295EEENS1_25partition_config_selectorILNS1_17partition_subalgoE4EjNS0_10empty_typeEbEEZZNS1_14partition_implILS8_4ELb0ES6_15HIP_vector_typeIjLj2EENS0_17counting_iteratorIjlEEPS9_SG_NS0_5tupleIJPjSI_NS0_16reverse_iteratorISI_EEEEENSH_IJSG_SG_SG_EEES9_SI_JZNS1_25segmented_radix_sort_implINS0_14default_configELb0EPKhPhPKlPlN2at6native12_GLOBAL__N_18offset_tEEE10hipError_tPvRmT1_PNSt15iterator_traitsIS12_E10value_typeET2_T3_PNS13_IS18_E10value_typeET4_jRbjT5_S1E_jjP12ihipStream_tbEUljE_ZNSN_ISO_Lb0ESQ_SR_ST_SU_SY_EESZ_S10_S11_S12_S16_S17_S18_S1B_S1C_jS1D_jS1E_S1E_jjS1G_bEUljE0_EEESZ_S10_S11_S18_S1C_S1E_T6_T7_T9_mT8_S1G_bDpT10_ENKUlT_T0_E_clISt17integral_constantIbLb0EES1T_IbLb1EEEEDaS1P_S1Q_EUlS1P_E_NS1_11comp_targetILNS1_3genE2ELNS1_11target_archE906ELNS1_3gpuE6ELNS1_3repE0EEENS1_30default_config_static_selectorELNS0_4arch9wavefront6targetE1EEEvS12_,comdat
	.globl	_ZN7rocprim17ROCPRIM_400000_NS6detail17trampoline_kernelINS0_13select_configILj256ELj13ELNS0_17block_load_methodE3ELS4_3ELS4_3ELNS0_20block_scan_algorithmE0ELj4294967295EEENS1_25partition_config_selectorILNS1_17partition_subalgoE4EjNS0_10empty_typeEbEEZZNS1_14partition_implILS8_4ELb0ES6_15HIP_vector_typeIjLj2EENS0_17counting_iteratorIjlEEPS9_SG_NS0_5tupleIJPjSI_NS0_16reverse_iteratorISI_EEEEENSH_IJSG_SG_SG_EEES9_SI_JZNS1_25segmented_radix_sort_implINS0_14default_configELb0EPKhPhPKlPlN2at6native12_GLOBAL__N_18offset_tEEE10hipError_tPvRmT1_PNSt15iterator_traitsIS12_E10value_typeET2_T3_PNS13_IS18_E10value_typeET4_jRbjT5_S1E_jjP12ihipStream_tbEUljE_ZNSN_ISO_Lb0ESQ_SR_ST_SU_SY_EESZ_S10_S11_S12_S16_S17_S18_S1B_S1C_jS1D_jS1E_S1E_jjS1G_bEUljE0_EEESZ_S10_S11_S18_S1C_S1E_T6_T7_T9_mT8_S1G_bDpT10_ENKUlT_T0_E_clISt17integral_constantIbLb0EES1T_IbLb1EEEEDaS1P_S1Q_EUlS1P_E_NS1_11comp_targetILNS1_3genE2ELNS1_11target_archE906ELNS1_3gpuE6ELNS1_3repE0EEENS1_30default_config_static_selectorELNS0_4arch9wavefront6targetE1EEEvS12_ ; -- Begin function _ZN7rocprim17ROCPRIM_400000_NS6detail17trampoline_kernelINS0_13select_configILj256ELj13ELNS0_17block_load_methodE3ELS4_3ELS4_3ELNS0_20block_scan_algorithmE0ELj4294967295EEENS1_25partition_config_selectorILNS1_17partition_subalgoE4EjNS0_10empty_typeEbEEZZNS1_14partition_implILS8_4ELb0ES6_15HIP_vector_typeIjLj2EENS0_17counting_iteratorIjlEEPS9_SG_NS0_5tupleIJPjSI_NS0_16reverse_iteratorISI_EEEEENSH_IJSG_SG_SG_EEES9_SI_JZNS1_25segmented_radix_sort_implINS0_14default_configELb0EPKhPhPKlPlN2at6native12_GLOBAL__N_18offset_tEEE10hipError_tPvRmT1_PNSt15iterator_traitsIS12_E10value_typeET2_T3_PNS13_IS18_E10value_typeET4_jRbjT5_S1E_jjP12ihipStream_tbEUljE_ZNSN_ISO_Lb0ESQ_SR_ST_SU_SY_EESZ_S10_S11_S12_S16_S17_S18_S1B_S1C_jS1D_jS1E_S1E_jjS1G_bEUljE0_EEESZ_S10_S11_S18_S1C_S1E_T6_T7_T9_mT8_S1G_bDpT10_ENKUlT_T0_E_clISt17integral_constantIbLb0EES1T_IbLb1EEEEDaS1P_S1Q_EUlS1P_E_NS1_11comp_targetILNS1_3genE2ELNS1_11target_archE906ELNS1_3gpuE6ELNS1_3repE0EEENS1_30default_config_static_selectorELNS0_4arch9wavefront6targetE1EEEvS12_
	.p2align	8
	.type	_ZN7rocprim17ROCPRIM_400000_NS6detail17trampoline_kernelINS0_13select_configILj256ELj13ELNS0_17block_load_methodE3ELS4_3ELS4_3ELNS0_20block_scan_algorithmE0ELj4294967295EEENS1_25partition_config_selectorILNS1_17partition_subalgoE4EjNS0_10empty_typeEbEEZZNS1_14partition_implILS8_4ELb0ES6_15HIP_vector_typeIjLj2EENS0_17counting_iteratorIjlEEPS9_SG_NS0_5tupleIJPjSI_NS0_16reverse_iteratorISI_EEEEENSH_IJSG_SG_SG_EEES9_SI_JZNS1_25segmented_radix_sort_implINS0_14default_configELb0EPKhPhPKlPlN2at6native12_GLOBAL__N_18offset_tEEE10hipError_tPvRmT1_PNSt15iterator_traitsIS12_E10value_typeET2_T3_PNS13_IS18_E10value_typeET4_jRbjT5_S1E_jjP12ihipStream_tbEUljE_ZNSN_ISO_Lb0ESQ_SR_ST_SU_SY_EESZ_S10_S11_S12_S16_S17_S18_S1B_S1C_jS1D_jS1E_S1E_jjS1G_bEUljE0_EEESZ_S10_S11_S18_S1C_S1E_T6_T7_T9_mT8_S1G_bDpT10_ENKUlT_T0_E_clISt17integral_constantIbLb0EES1T_IbLb1EEEEDaS1P_S1Q_EUlS1P_E_NS1_11comp_targetILNS1_3genE2ELNS1_11target_archE906ELNS1_3gpuE6ELNS1_3repE0EEENS1_30default_config_static_selectorELNS0_4arch9wavefront6targetE1EEEvS12_,@function
_ZN7rocprim17ROCPRIM_400000_NS6detail17trampoline_kernelINS0_13select_configILj256ELj13ELNS0_17block_load_methodE3ELS4_3ELS4_3ELNS0_20block_scan_algorithmE0ELj4294967295EEENS1_25partition_config_selectorILNS1_17partition_subalgoE4EjNS0_10empty_typeEbEEZZNS1_14partition_implILS8_4ELb0ES6_15HIP_vector_typeIjLj2EENS0_17counting_iteratorIjlEEPS9_SG_NS0_5tupleIJPjSI_NS0_16reverse_iteratorISI_EEEEENSH_IJSG_SG_SG_EEES9_SI_JZNS1_25segmented_radix_sort_implINS0_14default_configELb0EPKhPhPKlPlN2at6native12_GLOBAL__N_18offset_tEEE10hipError_tPvRmT1_PNSt15iterator_traitsIS12_E10value_typeET2_T3_PNS13_IS18_E10value_typeET4_jRbjT5_S1E_jjP12ihipStream_tbEUljE_ZNSN_ISO_Lb0ESQ_SR_ST_SU_SY_EESZ_S10_S11_S12_S16_S17_S18_S1B_S1C_jS1D_jS1E_S1E_jjS1G_bEUljE0_EEESZ_S10_S11_S18_S1C_S1E_T6_T7_T9_mT8_S1G_bDpT10_ENKUlT_T0_E_clISt17integral_constantIbLb0EES1T_IbLb1EEEEDaS1P_S1Q_EUlS1P_E_NS1_11comp_targetILNS1_3genE2ELNS1_11target_archE906ELNS1_3gpuE6ELNS1_3repE0EEENS1_30default_config_static_selectorELNS0_4arch9wavefront6targetE1EEEvS12_: ; @_ZN7rocprim17ROCPRIM_400000_NS6detail17trampoline_kernelINS0_13select_configILj256ELj13ELNS0_17block_load_methodE3ELS4_3ELS4_3ELNS0_20block_scan_algorithmE0ELj4294967295EEENS1_25partition_config_selectorILNS1_17partition_subalgoE4EjNS0_10empty_typeEbEEZZNS1_14partition_implILS8_4ELb0ES6_15HIP_vector_typeIjLj2EENS0_17counting_iteratorIjlEEPS9_SG_NS0_5tupleIJPjSI_NS0_16reverse_iteratorISI_EEEEENSH_IJSG_SG_SG_EEES9_SI_JZNS1_25segmented_radix_sort_implINS0_14default_configELb0EPKhPhPKlPlN2at6native12_GLOBAL__N_18offset_tEEE10hipError_tPvRmT1_PNSt15iterator_traitsIS12_E10value_typeET2_T3_PNS13_IS18_E10value_typeET4_jRbjT5_S1E_jjP12ihipStream_tbEUljE_ZNSN_ISO_Lb0ESQ_SR_ST_SU_SY_EESZ_S10_S11_S12_S16_S17_S18_S1B_S1C_jS1D_jS1E_S1E_jjS1G_bEUljE0_EEESZ_S10_S11_S18_S1C_S1E_T6_T7_T9_mT8_S1G_bDpT10_ENKUlT_T0_E_clISt17integral_constantIbLb0EES1T_IbLb1EEEEDaS1P_S1Q_EUlS1P_E_NS1_11comp_targetILNS1_3genE2ELNS1_11target_archE906ELNS1_3gpuE6ELNS1_3repE0EEENS1_30default_config_static_selectorELNS0_4arch9wavefront6targetE1EEEvS12_
; %bb.0:
	s_load_dwordx2 s[52:53], s[4:5], 0x10
	s_load_dwordx4 s[48:51], s[4:5], 0x28
	s_load_dwordx2 s[30:31], s[4:5], 0x38
	s_load_dwordx4 s[44:47], s[4:5], 0x58
	s_load_dwordx2 s[6:7], s[4:5], 0x68
	s_load_dwordx2 s[54:55], s[4:5], 0x78
	;; [unrolled: 1-line block ×3, first 2 shown]
	s_load_dwordx8 s[36:43], s[4:5], 0x90
	v_cmp_eq_u32_e64 s[0:1], 0, v0
	s_and_saveexec_b64 s[2:3], s[0:1]
	s_cbranch_execz .LBB150_4
; %bb.1:
	s_mov_b64 s[10:11], exec
	v_mbcnt_lo_u32_b32 v1, s10, 0
	v_mbcnt_hi_u32_b32 v1, s11, v1
	v_cmp_eq_u32_e32 vcc, 0, v1
                                        ; implicit-def: $vgpr2
	s_and_saveexec_b64 s[8:9], vcc
	s_cbranch_execz .LBB150_3
; %bb.2:
	s_load_dwordx2 s[12:13], s[4:5], 0x88
	s_bcnt1_i32_b64 s10, s[10:11]
	v_mov_b32_e32 v2, 0
	v_mov_b32_e32 v3, s10
	s_waitcnt lgkmcnt(0)
	global_atomic_add v2, v2, v3, s[12:13] glc
.LBB150_3:
	s_or_b64 exec, exec, s[8:9]
	s_waitcnt vmcnt(0)
	v_readfirstlane_b32 s8, v2
	v_add_u32_e32 v1, s8, v1
	v_mov_b32_e32 v2, 0
	ds_write_b32 v2, v1
.LBB150_4:
	s_or_b64 exec, exec, s[2:3]
	v_mov_b32_e32 v1, 0
	s_load_dword s2, s[4:5], 0x8
	s_load_dword s8, s[4:5], 0x80
	s_waitcnt lgkmcnt(0)
	s_barrier
	ds_read_b32 v7, v1
	s_waitcnt lgkmcnt(0)
	s_barrier
	global_load_dwordx4 v[1:4], v1, s[46:47]
	s_add_i32 s9, s2, s52
	s_movk_i32 s2, 0xd00
	s_add_i32 s4, s8, -1
	s_mulk_i32 s8, 0xd00
	v_mul_lo_u32 v33, v7, s2
	s_add_u32 s2, s52, s8
	s_addc_u32 s3, s53, 0
	v_mov_b32_e32 v6, s3
	v_mov_b32_e32 v5, s2
	v_readfirstlane_b32 s33, v7
	v_cmp_gt_u64_e32 vcc, s[6:7], v[5:6]
	s_cmp_eq_u32 s33, s4
	v_cmp_ne_u32_e64 s[2:3], s4, v7
	s_cselect_b64 s[34:35], -1, 0
	s_or_b64 s[4:5], vcc, s[2:3]
	v_add_u32_e32 v5, s9, v33
	s_mov_b64 s[2:3], -1
	s_and_b64 vcc, exec, s[4:5]
	v_add_u32_e32 v5, v5, v0
	s_cbranch_vccz .LBB150_6
; %bb.5:
	v_add_u32_e32 v6, 0x100, v5
	v_lshlrev_b32_e32 v18, 2, v0
	v_add_u32_e32 v7, 0x200, v5
	v_add_u32_e32 v8, 0x300, v5
	;; [unrolled: 1-line block ×11, first 2 shown]
	ds_write2st64_b32 v18, v5, v6 offset1:4
	ds_write2st64_b32 v18, v7, v8 offset0:8 offset1:12
	ds_write2st64_b32 v18, v9, v10 offset0:16 offset1:20
	;; [unrolled: 1-line block ×5, first 2 shown]
	ds_write_b32 v18, v17 offset:12288
	s_waitcnt vmcnt(0) lgkmcnt(0)
	s_barrier
	s_mov_b64 s[2:3], 0
.LBB150_6:
	s_andn2_b64 vcc, exec, s[2:3]
	s_add_i32 s8, s8, s52
	s_cbranch_vccnz .LBB150_8
; %bb.7:
	v_add_u32_e32 v6, 0x100, v5
	v_lshlrev_b32_e32 v18, 2, v0
	v_add_u32_e32 v7, 0x200, v5
	v_add_u32_e32 v8, 0x300, v5
	v_add_u32_e32 v9, 0x400, v5
	v_add_u32_e32 v10, 0x500, v5
	v_add_u32_e32 v11, 0x600, v5
	v_add_u32_e32 v12, 0x700, v5
	v_add_u32_e32 v13, 0x800, v5
	v_add_u32_e32 v14, 0x900, v5
	v_add_u32_e32 v15, 0xa00, v5
	v_add_u32_e32 v16, 0xb00, v5
	v_add_u32_e32 v17, 0xc00, v5
	ds_write2st64_b32 v18, v5, v6 offset1:4
	ds_write2st64_b32 v18, v7, v8 offset0:8 offset1:12
	ds_write2st64_b32 v18, v9, v10 offset0:16 offset1:20
	;; [unrolled: 1-line block ×5, first 2 shown]
	ds_write_b32 v18, v17 offset:12288
	s_waitcnt vmcnt(0) lgkmcnt(0)
	s_barrier
.LBB150_8:
	v_mul_u32_u24_e32 v35, 13, v0
	v_lshlrev_b32_e32 v5, 2, v35
	ds_read_b32 v34, v5 offset:48
	ds_read2_b32 v[13:14], v5 offset0:10 offset1:11
	ds_read2_b32 v[15:16], v5 offset0:8 offset1:9
	;; [unrolled: 1-line block ×4, first 2 shown]
	ds_read2_b32 v[23:24], v5 offset1:1
	ds_read2_b32 v[21:22], v5 offset0:2 offset1:3
	v_cndmask_b32_e64 v5, 0, 1, s[4:5]
	s_sub_i32 s86, s6, s8
	v_cmp_ne_u32_e64 s[2:3], 1, v5
	s_andn2_b64 vcc, exec, s[4:5]
	s_waitcnt vmcnt(0) lgkmcnt(0)
	s_barrier
	s_cbranch_vccnz .LBB150_36
; %bb.9:
	v_add_u32_e32 v5, s37, v23
	v_add_u32_e32 v6, s39, v23
	v_mul_lo_u32 v5, v5, s36
	v_mul_lo_u32 v6, v6, s38
	s_mov_b64 s[58:59], 0
	s_mov_b64 s[46:47], 0
	v_sub_u32_e32 v5, v5, v6
	v_cmp_lt_u32_e32 vcc, s40, v5
	v_cmp_ge_u32_e64 s[4:5], s40, v5
	s_and_saveexec_b64 s[6:7], s[4:5]
	s_cbranch_execz .LBB150_11
; %bb.10:
	v_add_u32_e32 v5, s42, v23
	v_add_u32_e32 v6, s56, v23
	v_mul_lo_u32 v5, v5, s41
	v_mul_lo_u32 v6, v6, s43
	v_sub_u32_e32 v5, v5, v6
	v_cmp_lt_u32_e64 s[4:5], s57, v5
	s_and_b64 s[46:47], s[4:5], exec
.LBB150_11:
	s_or_b64 exec, exec, s[6:7]
	v_add_u32_e32 v5, s37, v24
	v_add_u32_e32 v6, s39, v24
	v_mul_lo_u32 v5, v5, s36
	v_mul_lo_u32 v6, v6, s38
	v_sub_u32_e32 v5, v5, v6
	v_cmp_lt_u32_e64 s[4:5], s40, v5
	v_cmp_ge_u32_e64 s[6:7], s40, v5
	s_and_saveexec_b64 s[8:9], s[6:7]
	s_cbranch_execz .LBB150_13
; %bb.12:
	v_add_u32_e32 v5, s42, v24
	v_add_u32_e32 v6, s56, v24
	v_mul_lo_u32 v5, v5, s41
	v_mul_lo_u32 v6, v6, s43
	v_sub_u32_e32 v5, v5, v6
	v_cmp_lt_u32_e64 s[6:7], s57, v5
	s_and_b64 s[58:59], s[6:7], exec
.LBB150_13:
	s_or_b64 exec, exec, s[8:9]
	v_add_u32_e32 v5, s37, v21
	v_add_u32_e32 v6, s39, v21
	v_mul_lo_u32 v5, v5, s36
	v_mul_lo_u32 v6, v6, s38
	s_mov_b64 s[62:63], 0
	s_mov_b64 s[60:61], 0
	v_sub_u32_e32 v5, v5, v6
	v_cmp_lt_u32_e64 s[6:7], s40, v5
	v_cmp_ge_u32_e64 s[8:9], s40, v5
	s_and_saveexec_b64 s[10:11], s[8:9]
	s_cbranch_execz .LBB150_15
; %bb.14:
	v_add_u32_e32 v5, s42, v21
	v_add_u32_e32 v6, s56, v21
	v_mul_lo_u32 v5, v5, s41
	v_mul_lo_u32 v6, v6, s43
	v_sub_u32_e32 v5, v5, v6
	v_cmp_lt_u32_e64 s[8:9], s57, v5
	s_and_b64 s[60:61], s[8:9], exec
.LBB150_15:
	s_or_b64 exec, exec, s[10:11]
	v_add_u32_e32 v5, s37, v22
	v_add_u32_e32 v6, s39, v22
	v_mul_lo_u32 v5, v5, s36
	v_mul_lo_u32 v6, v6, s38
	v_sub_u32_e32 v5, v5, v6
	v_cmp_lt_u32_e64 s[8:9], s40, v5
	v_cmp_ge_u32_e64 s[10:11], s40, v5
	s_and_saveexec_b64 s[12:13], s[10:11]
	s_cbranch_execz .LBB150_17
; %bb.16:
	v_add_u32_e32 v5, s42, v22
	v_add_u32_e32 v6, s56, v22
	v_mul_lo_u32 v5, v5, s41
	v_mul_lo_u32 v6, v6, s43
	v_sub_u32_e32 v5, v5, v6
	v_cmp_lt_u32_e64 s[10:11], s57, v5
	s_and_b64 s[62:63], s[10:11], exec
.LBB150_17:
	s_or_b64 exec, exec, s[12:13]
	v_add_u32_e32 v5, s37, v19
	v_add_u32_e32 v6, s39, v19
	v_mul_lo_u32 v5, v5, s36
	v_mul_lo_u32 v6, v6, s38
	s_mov_b64 s[66:67], 0
	s_mov_b64 s[64:65], 0
	v_sub_u32_e32 v5, v5, v6
	v_cmp_lt_u32_e64 s[10:11], s40, v5
	;; [unrolled: 40-line block ×6, first 2 shown]
	v_cmp_ge_u32_e64 s[28:29], s40, v5
	s_and_saveexec_b64 s[84:85], s[28:29]
	s_cbranch_execz .LBB150_35
; %bb.34:
	v_add_u32_e32 v5, s42, v34
	v_add_u32_e32 v6, s56, v34
	v_mul_lo_u32 v5, v5, s41
	v_mul_lo_u32 v6, v6, s43
	v_sub_u32_e32 v5, v5, v6
	v_cmp_lt_u32_e64 s[28:29], s57, v5
	s_and_b64 s[82:83], s[28:29], exec
.LBB150_35:
	s_or_b64 exec, exec, s[84:85]
	v_cndmask_b32_e64 v6, 0, 1, s[4:5]
	v_cndmask_b32_e64 v5, 0, 1, vcc
	v_cndmask_b32_e64 v8, 0, 1, s[8:9]
	v_lshlrev_b16_e32 v6, 8, v6
	v_cndmask_b32_e64 v7, 0, 1, s[6:7]
	v_or_b32_e32 v5, v5, v6
	v_lshlrev_b16_e32 v6, 8, v8
	v_cndmask_b32_e64 v10, 0, 1, s[12:13]
	v_cndmask_b32_e64 v12, 0, 1, s[16:17]
	v_or_b32_sdwa v6, v7, v6 dst_sel:WORD_1 dst_unused:UNUSED_PAD src0_sel:DWORD src1_sel:DWORD
	v_cndmask_b32_e64 v9, 0, 1, s[10:11]
	v_cndmask_b32_e64 v11, 0, 1, s[14:15]
	v_or_b32_sdwa v36, v5, v6 dst_sel:DWORD dst_unused:UNUSED_PAD src0_sel:WORD_0 src1_sel:DWORD
	v_lshlrev_b16_e32 v5, 8, v10
	v_lshlrev_b16_e32 v6, 8, v12
	v_cndmask_b32_e64 v26, 0, 1, s[20:21]
	v_cndmask_b32_e64 v29, 0, 1, s[24:25]
	v_or_b32_e32 v5, v9, v5
	v_or_b32_sdwa v6, v11, v6 dst_sel:WORD_1 dst_unused:UNUSED_PAD src0_sel:DWORD src1_sel:DWORD
	v_cndmask_b32_e64 v25, 0, 1, s[18:19]
	v_cndmask_b32_e64 v27, 0, 1, s[22:23]
	v_or_b32_sdwa v38, v5, v6 dst_sel:DWORD dst_unused:UNUSED_PAD src0_sel:WORD_0 src1_sel:DWORD
	v_lshlrev_b16_e32 v5, 8, v26
	v_lshlrev_b16_e32 v6, 8, v29
	v_cndmask_b32_e64 v42, 0, 1, s[60:61]
	v_cndmask_b32_e64 v47, 0, 1, s[46:47]
	v_or_b32_e32 v5, v25, v5
	;; [unrolled: 9-line block ×4, first 2 shown]
	v_or_b32_sdwa v6, v39, v6 dst_sel:WORD_1 dst_unused:UNUSED_PAD src0_sel:DWORD src1_sel:DWORD
	v_cndmask_b32_e64 v30, 0, 1, s[74:75]
	v_cndmask_b32_e64 v32, 0, 1, s[70:71]
	v_or_b32_sdwa v37, v5, v6 dst_sel:DWORD dst_unused:UNUSED_PAD src0_sel:WORD_0 src1_sel:DWORD
	v_lshlrev_b16_e32 v5, 8, v31
	v_lshlrev_b16_e32 v6, 8, v28
	v_or_b32_e32 v5, v32, v5
	v_or_b32_sdwa v6, v30, v6 dst_sel:WORD_1 dst_unused:UNUSED_PAD src0_sel:DWORD src1_sel:DWORD
	v_cndmask_b32_e64 v40, 0, 1, s[78:79]
	v_cndmask_b32_e64 v43, 0, 1, s[82:83]
	v_or_b32_sdwa v39, v5, v6 dst_sel:DWORD dst_unused:UNUSED_PAD src0_sel:WORD_0 src1_sel:DWORD
	s_add_i32 s16, s86, 0xd00
	s_and_b64 vcc, exec, s[76:77]
	s_cbranch_vccnz .LBB150_37
	s_branch .LBB150_114
.LBB150_36:
                                        ; implicit-def: $vgpr43
                                        ; implicit-def: $vgpr40
                                        ; implicit-def: $vgpr39
                                        ; implicit-def: $vgpr37
                                        ; implicit-def: $vgpr42
                                        ; implicit-def: $vgpr41
                                        ; implicit-def: $vgpr38
                                        ; implicit-def: $vgpr36
	s_add_i32 s16, s86, 0xd00
	s_cbranch_execz .LBB150_114
.LBB150_37:
	v_cmp_gt_u32_e32 vcc, s16, v35
	v_mov_b32_e32 v6, 0
	v_mov_b32_e32 v5, 0
	s_and_saveexec_b64 s[6:7], vcc
	s_cbranch_execz .LBB150_41
; %bb.38:
	v_add_u32_e32 v5, s37, v23
	v_add_u32_e32 v6, s39, v23
	v_mul_lo_u32 v5, v5, s36
	v_mul_lo_u32 v6, v6, s38
	s_mov_b64 s[10:11], 0
	v_sub_u32_e32 v5, v5, v6
	v_cmp_lt_u32_e32 vcc, s40, v5
	v_cmp_ge_u32_e64 s[4:5], s40, v5
	s_and_saveexec_b64 s[8:9], s[4:5]
	s_cbranch_execz .LBB150_40
; %bb.39:
	v_add_u32_e32 v5, s42, v23
	v_add_u32_e32 v6, s56, v23
	v_mul_lo_u32 v5, v5, s41
	v_mul_lo_u32 v6, v6, s43
	v_sub_u32_e32 v5, v5, v6
	v_cmp_lt_u32_e64 s[4:5], s57, v5
	s_and_b64 s[10:11], s[4:5], exec
.LBB150_40:
	s_or_b64 exec, exec, s[8:9]
	v_cndmask_b32_e64 v6, 0, 1, s[10:11]
	v_cndmask_b32_e64 v5, 0, 1, vcc
.LBB150_41:
	s_or_b64 exec, exec, s[6:7]
	v_lshlrev_b16_e32 v11, 8, v6
	v_add_u32_e32 v6, 1, v35
	v_cmp_le_u32_e32 vcc, s16, v6
	v_lshlrev_b16_e64 v8, 8, 0
                                        ; implicit-def: $vgpr7
                                        ; implicit-def: $vgpr9
                                        ; implicit-def: $vgpr10
                                        ; implicit-def: $vgpr6
                                        ; implicit-def: $vgpr12
	s_and_saveexec_b64 s[4:5], vcc
	s_xor_b64 s[4:5], exec, s[4:5]
; %bb.42:
	v_mov_b32_e32 v6, 8
	v_lshrrev_b32_sdwa v7, v6, v11 dst_sel:BYTE_1 dst_unused:UNUSED_PAD src0_sel:DWORD src1_sel:DWORD
	v_and_b32_e32 v12, 0xff, v5
	v_or_b32_sdwa v5, v11, v7 dst_sel:DWORD dst_unused:UNUSED_PAD src0_sel:BYTE_0 src1_sel:DWORD
	v_mov_b32_e32 v9, 0
	v_lshlrev_b16_e64 v8, 8, 0
	v_lshlrev_b16_e64 v6, 8, 0
	v_and_b32_e32 v10, 0xffff, v5
	v_lshlrev_b16_e64 v7, 8, 0
                                        ; implicit-def: $vgpr5
                                        ; implicit-def: $vgpr11
; %bb.43:
	s_andn2_saveexec_b64 s[6:7], s[4:5]
	s_cbranch_execz .LBB150_47
; %bb.44:
	v_add_u32_e32 v6, s37, v24
	v_add_u32_e32 v7, s39, v24
	v_mul_lo_u32 v6, v6, s36
	v_mul_lo_u32 v7, v7, s38
	s_mov_b64 s[8:9], 0
	v_sub_u32_e32 v6, v6, v7
	v_cmp_lt_u32_e32 vcc, s40, v6
	v_cmp_ge_u32_e64 s[4:5], s40, v6
	s_and_saveexec_b64 s[10:11], s[4:5]
	s_cbranch_execz .LBB150_46
; %bb.45:
	v_add_u32_e32 v6, s42, v24
	v_add_u32_e32 v7, s56, v24
	v_mul_lo_u32 v6, v6, s41
	v_mul_lo_u32 v7, v7, s43
	v_sub_u32_e32 v6, v6, v7
	v_cmp_lt_u32_e64 s[4:5], s57, v6
	s_and_b64 s[8:9], s[4:5], exec
.LBB150_46:
	s_or_b64 exec, exec, s[10:11]
	v_cndmask_b32_e64 v7, 0, 1, vcc
	v_lshlrev_b16_e32 v7, 8, v7
	v_or_b32_sdwa v5, v5, v7 dst_sel:DWORD dst_unused:UNUSED_PAD src0_sel:BYTE_0 src1_sel:DWORD
	v_and_b32_e32 v12, 0xffff, v5
	v_mov_b32_e32 v5, 8
	v_lshrrev_b32_sdwa v5, v5, v11 dst_sel:BYTE_1 dst_unused:UNUSED_PAD src0_sel:DWORD src1_sel:DWORD
	v_or_b32_sdwa v5, v11, v5 dst_sel:DWORD dst_unused:UNUSED_PAD src0_sel:BYTE_0 src1_sel:DWORD
	v_and_b32_e32 v5, 0xffff, v5
	v_cndmask_b32_e64 v7, 0, 1, s[8:9]
	v_mov_b32_e32 v6, 0
	v_mov_b32_e32 v9, 0
	v_lshl_or_b32 v10, v7, 16, v5
	v_lshlrev_b16_e64 v7, 8, 0
.LBB150_47:
	s_or_b64 exec, exec, s[6:7]
	v_add_u32_e32 v5, 2, v35
	v_cmp_le_u32_e32 vcc, s16, v5
	v_lshrrev_b32_e32 v25, 24, v12
                                        ; implicit-def: $vgpr5
                                        ; implicit-def: $vgpr11
	s_and_saveexec_b64 s[4:5], vcc
	s_xor_b64 s[4:5], exec, s[4:5]
	s_cbranch_execz .LBB150_49
; %bb.48:
	s_mov_b32 s6, 0x40c0100
	v_perm_b32 v11, v25, v12, s6
	v_mov_b32_e32 v12, 8
	v_lshrrev_b32_sdwa v12, v12, v11 dst_sel:BYTE_1 dst_unused:UNUSED_PAD src0_sel:DWORD src1_sel:DWORD
	v_or_b32_sdwa v12, v11, v12 dst_sel:DWORD dst_unused:UNUSED_PAD src0_sel:BYTE_0 src1_sel:DWORD
	v_and_b32_e32 v12, 0xffff, v12
	s_mov_b32 s6, 0xff000000
	v_and_or_b32 v11, v11, s6, v12
	s_mov_b32 s6, 0x3060504
	v_and_b32_e32 v5, 0xff0000, v10
	v_perm_b32 v8, v8, v8, s6
	s_mov_b32 s6, 0x3020504
	v_perm_b32 v5, v10, v5, s6
                                        ; implicit-def: $vgpr12
                                        ; implicit-def: $vgpr25
                                        ; implicit-def: $vgpr10
.LBB150_49:
	s_andn2_saveexec_b64 s[6:7], s[4:5]
	s_cbranch_execz .LBB150_53
; %bb.50:
	v_add_u32_e32 v5, s37, v21
	v_add_u32_e32 v11, s39, v21
	v_mul_lo_u32 v5, v5, s36
	v_mul_lo_u32 v11, v11, s38
	s_mov_b64 s[8:9], 0
	v_sub_u32_e32 v5, v5, v11
	v_cmp_lt_u32_e32 vcc, s40, v5
	v_cmp_ge_u32_e64 s[4:5], s40, v5
	s_and_saveexec_b64 s[10:11], s[4:5]
	s_cbranch_execz .LBB150_52
; %bb.51:
	v_add_u32_e32 v5, s42, v21
	v_add_u32_e32 v11, s56, v21
	v_mul_lo_u32 v5, v5, s41
	v_mul_lo_u32 v11, v11, s43
	v_sub_u32_e32 v5, v5, v11
	v_cmp_lt_u32_e64 s[4:5], s57, v5
	s_and_b64 s[8:9], s[4:5], exec
.LBB150_52:
	s_or_b64 exec, exec, s[10:11]
	v_mov_b32_e32 v27, 8
	v_lshrrev_b32_sdwa v11, v27, v12 dst_sel:BYTE_1 dst_unused:UNUSED_PAD src0_sel:DWORD src1_sel:DWORD
	v_cndmask_b32_e64 v5, 0, 1, vcc
	v_or_b32_sdwa v11, v12, v11 dst_sel:DWORD dst_unused:UNUSED_PAD src0_sel:BYTE_0 src1_sel:DWORD
	v_lshlrev_b16_e32 v12, 8, v25
	v_or_b32_sdwa v5, v5, v12 dst_sel:WORD_1 dst_unused:UNUSED_PAD src0_sel:DWORD src1_sel:DWORD
	v_cndmask_b32_e64 v26, 0, 1, s[8:9]
	s_movk_i32 s4, 0xff
	v_or_b32_sdwa v11, v11, v5 dst_sel:DWORD dst_unused:UNUSED_PAD src0_sel:WORD_0 src1_sel:DWORD
	v_lshrrev_b32_sdwa v5, v27, v10 dst_sel:BYTE_1 dst_unused:UNUSED_PAD src0_sel:DWORD src1_sel:DWORD
	v_or_b32_sdwa v5, v10, v5 dst_sel:DWORD dst_unused:UNUSED_PAD src0_sel:BYTE_0 src1_sel:DWORD
	v_lshlrev_b16_e32 v12, 8, v26
	v_and_b32_sdwa v10, v10, s4 dst_sel:DWORD dst_unused:UNUSED_PAD src0_sel:WORD_1 src1_sel:DWORD
	v_or_b32_sdwa v10, v10, v12 dst_sel:WORD_1 dst_unused:UNUSED_PAD src0_sel:DWORD src1_sel:DWORD
	v_or_b32_sdwa v5, v5, v10 dst_sel:DWORD dst_unused:UNUSED_PAD src0_sel:WORD_0 src1_sel:DWORD
.LBB150_53:
	s_or_b64 exec, exec, s[6:7]
	v_add_u32_e32 v10, 3, v35
	v_cmp_le_u32_e32 vcc, s16, v10
	v_lshrrev_b32_e32 v12, 24, v9
                                        ; implicit-def: $vgpr10
                                        ; implicit-def: $vgpr36
	s_and_saveexec_b64 s[4:5], vcc
	s_xor_b64 s[4:5], exec, s[4:5]
	s_cbranch_execz .LBB150_55
; %bb.54:
	v_and_b32_e32 v10, 0xff0000, v11
	s_mov_b32 s6, 0x3020504
	s_movk_i32 s7, 0xff
	v_perm_b32 v36, v11, v10, s6
	v_lshlrev_b16_e32 v10, 8, v12
	v_and_b32_sdwa v11, v9, s7 dst_sel:DWORD dst_unused:UNUSED_PAD src0_sel:WORD_1 src1_sel:DWORD
	s_mov_b32 s6, 0x3060504
	v_or_b32_sdwa v10, v11, v10 dst_sel:WORD_1 dst_unused:UNUSED_PAD src0_sel:DWORD src1_sel:DWORD
	v_mov_b32_e32 v11, 8
	v_perm_b32 v8, v8, v8, s6
	v_lshrrev_b32_sdwa v10, v11, v9 dst_sel:BYTE_1 dst_unused:UNUSED_PRESERVE src0_sel:DWORD src1_sel:DWORD
	v_perm_b32 v7, v7, v7, s6
                                        ; implicit-def: $vgpr11
                                        ; implicit-def: $vgpr12
                                        ; implicit-def: $vgpr9
.LBB150_55:
	s_andn2_saveexec_b64 s[6:7], s[4:5]
	s_cbranch_execz .LBB150_59
; %bb.56:
	v_add_u32_e32 v10, s37, v22
	v_add_u32_e32 v25, s39, v22
	v_mul_lo_u32 v10, v10, s36
	v_mul_lo_u32 v25, v25, s38
	s_mov_b64 s[8:9], 0
	v_sub_u32_e32 v10, v10, v25
	v_cmp_lt_u32_e32 vcc, s40, v10
	v_cmp_ge_u32_e64 s[4:5], s40, v10
	s_and_saveexec_b64 s[10:11], s[4:5]
	s_cbranch_execz .LBB150_58
; %bb.57:
	v_add_u32_e32 v10, s42, v22
	v_add_u32_e32 v25, s56, v22
	v_mul_lo_u32 v10, v10, s41
	v_mul_lo_u32 v25, v25, s43
	v_sub_u32_e32 v10, v10, v25
	v_cmp_lt_u32_e64 s[4:5], s57, v10
	s_and_b64 s[8:9], s[4:5], exec
.LBB150_58:
	s_or_b64 exec, exec, s[10:11]
	v_mov_b32_e32 v26, 8
	v_cndmask_b32_e64 v10, 0, 1, vcc
	s_movk_i32 s4, 0xff
	v_lshrrev_b32_sdwa v27, v26, v11 dst_sel:BYTE_1 dst_unused:UNUSED_PAD src0_sel:DWORD src1_sel:DWORD
	v_or_b32_sdwa v27, v11, v27 dst_sel:DWORD dst_unused:UNUSED_PAD src0_sel:BYTE_0 src1_sel:DWORD
	v_lshlrev_b16_e32 v10, 8, v10
	v_and_b32_sdwa v11, v11, s4 dst_sel:DWORD dst_unused:UNUSED_PAD src0_sel:WORD_1 src1_sel:DWORD
	v_or_b32_sdwa v10, v11, v10 dst_sel:WORD_1 dst_unused:UNUSED_PAD src0_sel:DWORD src1_sel:DWORD
	v_cndmask_b32_e64 v25, 0, 1, s[8:9]
	v_or_b32_sdwa v36, v27, v10 dst_sel:DWORD dst_unused:UNUSED_PAD src0_sel:WORD_0 src1_sel:DWORD
	v_lshlrev_b16_e32 v10, 8, v12
	v_and_b32_sdwa v11, v9, s4 dst_sel:DWORD dst_unused:UNUSED_PAD src0_sel:WORD_1 src1_sel:DWORD
	v_lshrrev_b32_sdwa v9, v26, v9 dst_sel:BYTE_1 dst_unused:UNUSED_PAD src0_sel:DWORD src1_sel:DWORD
	v_or_b32_sdwa v10, v11, v10 dst_sel:WORD_1 dst_unused:UNUSED_PAD src0_sel:DWORD src1_sel:DWORD
	v_or_b32_e32 v9, v25, v9
	v_or_b32_sdwa v10, v9, v10 dst_sel:DWORD dst_unused:UNUSED_PAD src0_sel:WORD_0 src1_sel:DWORD
.LBB150_59:
	s_or_b64 exec, exec, s[6:7]
	v_add_u32_e32 v9, 4, v35
	v_cmp_le_u32_e32 vcc, s16, v9
	v_lshrrev_b32_e32 v25, 24, v8
	v_lshrrev_b32_e32 v12, 24, v10
                                        ; implicit-def: $vgpr11
                                        ; implicit-def: $vgpr9
	s_and_saveexec_b64 s[4:5], vcc
	s_xor_b64 s[4:5], exec, s[4:5]
	s_cbranch_execz .LBB150_61
; %bb.60:
	s_movk_i32 s6, 0xff
	v_lshlrev_b16_e32 v9, 8, v25
	v_and_b32_sdwa v25, v8, s6 dst_sel:DWORD dst_unused:UNUSED_PAD src0_sel:WORD_1 src1_sel:DWORD
	v_mov_b32_e32 v11, 8
	v_or_b32_sdwa v9, v25, v9 dst_sel:WORD_1 dst_unused:UNUSED_PAD src0_sel:DWORD src1_sel:DWORD
	v_lshrrev_b32_sdwa v9, v11, v8 dst_sel:BYTE_1 dst_unused:UNUSED_PRESERVE src0_sel:DWORD src1_sel:DWORD
	v_lshlrev_b16_e32 v8, 8, v12
	v_and_b32_sdwa v11, v10, s6 dst_sel:DWORD dst_unused:UNUSED_PAD src0_sel:WORD_1 src1_sel:DWORD
	v_or_b32_e32 v8, v11, v8
	s_mov_b32 s6, 0x5040c00
	v_perm_b32 v11, v8, v10, s6
	s_mov_b32 s6, 0x3060504
	v_perm_b32 v7, v7, v7, s6
                                        ; implicit-def: $vgpr25
                                        ; implicit-def: $vgpr8
                                        ; implicit-def: $vgpr10
                                        ; implicit-def: $vgpr12
.LBB150_61:
	s_andn2_saveexec_b64 s[6:7], s[4:5]
	s_cbranch_execz .LBB150_65
; %bb.62:
	v_add_u32_e32 v9, s37, v19
	v_add_u32_e32 v11, s39, v19
	v_mul_lo_u32 v9, v9, s36
	v_mul_lo_u32 v11, v11, s38
	s_mov_b64 s[8:9], 0
	v_sub_u32_e32 v9, v9, v11
	v_cmp_lt_u32_e32 vcc, s40, v9
	v_cmp_ge_u32_e64 s[4:5], s40, v9
	s_and_saveexec_b64 s[10:11], s[4:5]
	s_cbranch_execz .LBB150_64
; %bb.63:
	v_add_u32_e32 v9, s42, v19
	v_add_u32_e32 v11, s56, v19
	v_mul_lo_u32 v9, v9, s41
	v_mul_lo_u32 v11, v11, s43
	v_sub_u32_e32 v9, v9, v11
	v_cmp_lt_u32_e64 s[4:5], s57, v9
	s_and_b64 s[8:9], s[4:5], exec
.LBB150_64:
	s_or_b64 exec, exec, s[10:11]
	s_movk_i32 s4, 0xff
	v_lshlrev_b16_e32 v25, 8, v25
	v_and_b32_sdwa v26, v8, s4 dst_sel:DWORD dst_unused:UNUSED_PAD src0_sel:WORD_1 src1_sel:DWORD
	v_or_b32_sdwa v25, v26, v25 dst_sel:WORD_1 dst_unused:UNUSED_PAD src0_sel:DWORD src1_sel:DWORD
	v_mov_b32_e32 v26, 8
	v_cndmask_b32_e64 v9, 0, 1, vcc
	v_lshrrev_b32_sdwa v8, v26, v8 dst_sel:BYTE_1 dst_unused:UNUSED_PAD src0_sel:DWORD src1_sel:DWORD
	v_cndmask_b32_e64 v11, 0, 1, s[8:9]
	v_or_b32_e32 v8, v9, v8
	v_or_b32_sdwa v9, v8, v25 dst_sel:DWORD dst_unused:UNUSED_PAD src0_sel:WORD_0 src1_sel:DWORD
	v_lshlrev_b16_e32 v8, 8, v11
	v_or_b32_sdwa v8, v10, v8 dst_sel:DWORD dst_unused:UNUSED_PAD src0_sel:BYTE_0 src1_sel:DWORD
	v_lshlrev_b16_e32 v11, 8, v12
	v_and_b32_sdwa v10, v10, s4 dst_sel:DWORD dst_unused:UNUSED_PAD src0_sel:WORD_1 src1_sel:DWORD
	v_or_b32_sdwa v10, v10, v11 dst_sel:WORD_1 dst_unused:UNUSED_PAD src0_sel:DWORD src1_sel:DWORD
	v_or_b32_sdwa v11, v8, v10 dst_sel:DWORD dst_unused:UNUSED_PAD src0_sel:WORD_0 src1_sel:DWORD
.LBB150_65:
	s_or_b64 exec, exec, s[6:7]
	v_add_u32_e32 v8, 5, v35
	v_cmp_le_u32_e32 vcc, s16, v8
	v_lshrrev_b32_e32 v12, 24, v11
	v_lshrrev_b32_e32 v25, 24, v9
                                        ; implicit-def: $vgpr8
                                        ; implicit-def: $vgpr10
	s_and_saveexec_b64 s[4:5], vcc
	s_xor_b64 s[4:5], exec, s[4:5]
	s_cbranch_execz .LBB150_67
; %bb.66:
	s_mov_b32 s6, 0x40c0100
	v_perm_b32 v8, v12, v11, s6
	s_movk_i32 s6, 0xff
	v_lshlrev_b16_e32 v10, 8, v25
	v_and_b32_sdwa v11, v9, s6 dst_sel:DWORD dst_unused:UNUSED_PAD src0_sel:WORD_1 src1_sel:DWORD
	v_or_b32_e32 v10, v11, v10
	s_mov_b32 s6, 0x5040c00
	v_perm_b32 v10, v10, v9, s6
	v_mov_b32_e32 v9, 8
	v_lshrrev_b32_sdwa v9, v9, v8 dst_sel:BYTE_1 dst_unused:UNUSED_PAD src0_sel:DWORD src1_sel:DWORD
	v_or_b32_sdwa v9, v8, v9 dst_sel:DWORD dst_unused:UNUSED_PAD src0_sel:BYTE_0 src1_sel:DWORD
	v_and_b32_e32 v9, 0xffff, v9
	s_mov_b32 s6, 0xff000000
	v_and_or_b32 v8, v8, s6, v9
	s_mov_b32 s6, 0x3060504
	v_perm_b32 v7, v7, v7, s6
                                        ; implicit-def: $vgpr9
                                        ; implicit-def: $vgpr25
                                        ; implicit-def: $vgpr11
                                        ; implicit-def: $vgpr12
.LBB150_67:
	s_andn2_saveexec_b64 s[6:7], s[4:5]
	s_cbranch_execz .LBB150_71
; %bb.68:
	v_add_u32_e32 v8, s37, v20
	v_add_u32_e32 v10, s39, v20
	v_mul_lo_u32 v8, v8, s36
	v_mul_lo_u32 v10, v10, s38
	s_mov_b64 s[8:9], 0
	v_sub_u32_e32 v8, v8, v10
	v_cmp_lt_u32_e32 vcc, s40, v8
	v_cmp_ge_u32_e64 s[4:5], s40, v8
	s_and_saveexec_b64 s[10:11], s[4:5]
	s_cbranch_execz .LBB150_70
; %bb.69:
	v_add_u32_e32 v8, s42, v20
	v_add_u32_e32 v10, s56, v20
	v_mul_lo_u32 v8, v8, s41
	v_mul_lo_u32 v10, v10, s43
	v_sub_u32_e32 v8, v8, v10
	v_cmp_lt_u32_e64 s[4:5], s57, v8
	s_and_b64 s[8:9], s[4:5], exec
.LBB150_70:
	s_or_b64 exec, exec, s[10:11]
	v_cndmask_b32_e64 v8, 0, 1, vcc
	v_lshlrev_b16_e32 v8, 8, v8
	s_movk_i32 s4, 0xff
	v_or_b32_sdwa v8, v9, v8 dst_sel:DWORD dst_unused:UNUSED_PAD src0_sel:BYTE_0 src1_sel:DWORD
	v_lshlrev_b16_e32 v10, 8, v25
	v_and_b32_sdwa v9, v9, s4 dst_sel:DWORD dst_unused:UNUSED_PAD src0_sel:WORD_1 src1_sel:DWORD
	v_or_b32_sdwa v9, v9, v10 dst_sel:WORD_1 dst_unused:UNUSED_PAD src0_sel:DWORD src1_sel:DWORD
	v_or_b32_sdwa v10, v8, v9 dst_sel:DWORD dst_unused:UNUSED_PAD src0_sel:WORD_0 src1_sel:DWORD
	v_mov_b32_e32 v8, 8
	v_cndmask_b32_e64 v26, 0, 1, s[8:9]
	v_lshrrev_b32_sdwa v8, v8, v11 dst_sel:BYTE_1 dst_unused:UNUSED_PAD src0_sel:DWORD src1_sel:DWORD
	v_lshlrev_b16_e32 v9, 8, v12
	v_or_b32_sdwa v8, v11, v8 dst_sel:DWORD dst_unused:UNUSED_PAD src0_sel:BYTE_0 src1_sel:DWORD
	v_or_b32_sdwa v9, v26, v9 dst_sel:WORD_1 dst_unused:UNUSED_PAD src0_sel:DWORD src1_sel:DWORD
	v_or_b32_sdwa v8, v8, v9 dst_sel:DWORD dst_unused:UNUSED_PAD src0_sel:WORD_0 src1_sel:DWORD
.LBB150_71:
	s_or_b64 exec, exec, s[6:7]
	v_add_u32_e32 v9, 6, v35
	v_cmp_le_u32_e32 vcc, s16, v9
	v_lshrrev_b32_e32 v11, 24, v10
                                        ; implicit-def: $vgpr37
                                        ; implicit-def: $vgpr9
	s_and_saveexec_b64 s[4:5], vcc
	s_xor_b64 s[4:5], exec, s[4:5]
	s_cbranch_execz .LBB150_73
; %bb.72:
	s_mov_b32 s6, 0x40c0100
	v_perm_b32 v9, v11, v10, s6
	v_mov_b32_e32 v10, 8
	v_lshrrev_b32_sdwa v10, v10, v9 dst_sel:BYTE_1 dst_unused:UNUSED_PAD src0_sel:DWORD src1_sel:DWORD
	v_or_b32_sdwa v10, v9, v10 dst_sel:DWORD dst_unused:UNUSED_PAD src0_sel:BYTE_0 src1_sel:DWORD
	v_and_b32_e32 v10, 0xffff, v10
	s_mov_b32 s6, 0xff000000
	v_and_b32_e32 v12, 0xff0000, v8
	v_and_or_b32 v9, v9, s6, v10
	s_mov_b32 s6, 0x3020504
	v_perm_b32 v37, v8, v12, s6
	s_mov_b32 s6, 0x3060504
	v_perm_b32 v7, v7, v7, s6
                                        ; implicit-def: $vgpr10
                                        ; implicit-def: $vgpr11
                                        ; implicit-def: $vgpr8
.LBB150_73:
	s_andn2_saveexec_b64 s[6:7], s[4:5]
	s_cbranch_execz .LBB150_77
; %bb.74:
	v_add_u32_e32 v9, s37, v17
	v_add_u32_e32 v12, s39, v17
	v_mul_lo_u32 v9, v9, s36
	v_mul_lo_u32 v12, v12, s38
	s_mov_b64 s[8:9], 0
	v_sub_u32_e32 v9, v9, v12
	v_cmp_lt_u32_e32 vcc, s40, v9
	v_cmp_ge_u32_e64 s[4:5], s40, v9
	s_and_saveexec_b64 s[10:11], s[4:5]
	s_cbranch_execz .LBB150_76
; %bb.75:
	v_add_u32_e32 v9, s42, v17
	v_add_u32_e32 v12, s56, v17
	v_mul_lo_u32 v9, v9, s41
	v_mul_lo_u32 v12, v12, s43
	v_sub_u32_e32 v9, v9, v12
	v_cmp_lt_u32_e64 s[4:5], s57, v9
	s_and_b64 s[8:9], s[4:5], exec
.LBB150_76:
	s_or_b64 exec, exec, s[10:11]
	v_mov_b32_e32 v25, 8
	v_cndmask_b32_e64 v9, 0, 1, vcc
	v_lshrrev_b32_sdwa v26, v25, v10 dst_sel:BYTE_1 dst_unused:UNUSED_PAD src0_sel:DWORD src1_sel:DWORD
	v_lshlrev_b16_e32 v11, 8, v11
	v_or_b32_sdwa v10, v10, v26 dst_sel:DWORD dst_unused:UNUSED_PAD src0_sel:BYTE_0 src1_sel:DWORD
	v_or_b32_sdwa v9, v9, v11 dst_sel:WORD_1 dst_unused:UNUSED_PAD src0_sel:DWORD src1_sel:DWORD
	v_cndmask_b32_e64 v12, 0, 1, s[8:9]
	s_movk_i32 s4, 0xff
	v_or_b32_sdwa v9, v10, v9 dst_sel:DWORD dst_unused:UNUSED_PAD src0_sel:WORD_0 src1_sel:DWORD
	v_lshrrev_b32_sdwa v10, v25, v8 dst_sel:BYTE_1 dst_unused:UNUSED_PAD src0_sel:DWORD src1_sel:DWORD
	v_or_b32_sdwa v10, v8, v10 dst_sel:DWORD dst_unused:UNUSED_PAD src0_sel:BYTE_0 src1_sel:DWORD
	v_lshlrev_b16_e32 v11, 8, v12
	v_and_b32_sdwa v8, v8, s4 dst_sel:DWORD dst_unused:UNUSED_PAD src0_sel:WORD_1 src1_sel:DWORD
	v_or_b32_sdwa v8, v8, v11 dst_sel:WORD_1 dst_unused:UNUSED_PAD src0_sel:DWORD src1_sel:DWORD
	v_or_b32_sdwa v37, v10, v8 dst_sel:DWORD dst_unused:UNUSED_PAD src0_sel:WORD_0 src1_sel:DWORD
.LBB150_77:
	s_or_b64 exec, exec, s[6:7]
	v_add_u32_e32 v8, 7, v35
	v_cmp_le_u32_e32 vcc, s16, v8
	v_lshrrev_b32_e32 v10, 24, v7
                                        ; implicit-def: $vgpr8
                                        ; implicit-def: $vgpr38
	s_and_saveexec_b64 s[4:5], vcc
	s_xor_b64 s[4:5], exec, s[4:5]
; %bb.78:
	v_and_b32_e32 v8, 0xff0000, v9
	s_mov_b32 s6, 0x3020504
	v_perm_b32 v38, v9, v8, s6
	s_movk_i32 s6, 0xff
	v_lshlrev_b16_e32 v8, 8, v10
	v_and_b32_sdwa v9, v7, s6 dst_sel:DWORD dst_unused:UNUSED_PAD src0_sel:WORD_1 src1_sel:DWORD
	v_mov_b32_e32 v11, 8
	v_or_b32_sdwa v8, v9, v8 dst_sel:WORD_1 dst_unused:UNUSED_PAD src0_sel:DWORD src1_sel:DWORD
	v_lshrrev_b32_sdwa v8, v11, v7 dst_sel:BYTE_1 dst_unused:UNUSED_PRESERVE src0_sel:DWORD src1_sel:DWORD
                                        ; implicit-def: $vgpr9
                                        ; implicit-def: $vgpr10
                                        ; implicit-def: $vgpr7
; %bb.79:
	s_andn2_saveexec_b64 s[6:7], s[4:5]
	s_cbranch_execz .LBB150_83
; %bb.80:
	v_add_u32_e32 v8, s37, v18
	v_add_u32_e32 v11, s39, v18
	v_mul_lo_u32 v8, v8, s36
	v_mul_lo_u32 v11, v11, s38
	s_mov_b64 s[8:9], 0
	v_sub_u32_e32 v8, v8, v11
	v_cmp_lt_u32_e32 vcc, s40, v8
	v_cmp_ge_u32_e64 s[4:5], s40, v8
	s_and_saveexec_b64 s[10:11], s[4:5]
	s_cbranch_execz .LBB150_82
; %bb.81:
	v_add_u32_e32 v8, s42, v18
	v_add_u32_e32 v11, s56, v18
	v_mul_lo_u32 v8, v8, s41
	v_mul_lo_u32 v11, v11, s43
	v_sub_u32_e32 v8, v8, v11
	v_cmp_lt_u32_e64 s[4:5], s57, v8
	s_and_b64 s[8:9], s[4:5], exec
.LBB150_82:
	s_or_b64 exec, exec, s[10:11]
	v_mov_b32_e32 v12, 8
	v_cndmask_b32_e64 v8, 0, 1, vcc
	s_movk_i32 s4, 0xff
	v_lshrrev_b32_sdwa v25, v12, v9 dst_sel:BYTE_1 dst_unused:UNUSED_PAD src0_sel:DWORD src1_sel:DWORD
	v_or_b32_sdwa v25, v9, v25 dst_sel:DWORD dst_unused:UNUSED_PAD src0_sel:BYTE_0 src1_sel:DWORD
	v_lshlrev_b16_e32 v8, 8, v8
	v_and_b32_sdwa v9, v9, s4 dst_sel:DWORD dst_unused:UNUSED_PAD src0_sel:WORD_1 src1_sel:DWORD
	v_or_b32_sdwa v8, v9, v8 dst_sel:WORD_1 dst_unused:UNUSED_PAD src0_sel:DWORD src1_sel:DWORD
	v_cndmask_b32_e64 v11, 0, 1, s[8:9]
	v_or_b32_sdwa v38, v25, v8 dst_sel:DWORD dst_unused:UNUSED_PAD src0_sel:WORD_0 src1_sel:DWORD
	v_lshlrev_b16_e32 v8, 8, v10
	v_and_b32_sdwa v9, v7, s4 dst_sel:DWORD dst_unused:UNUSED_PAD src0_sel:WORD_1 src1_sel:DWORD
	v_lshrrev_b32_sdwa v7, v12, v7 dst_sel:BYTE_1 dst_unused:UNUSED_PAD src0_sel:DWORD src1_sel:DWORD
	v_or_b32_sdwa v8, v9, v8 dst_sel:WORD_1 dst_unused:UNUSED_PAD src0_sel:DWORD src1_sel:DWORD
	v_or_b32_e32 v7, v11, v7
	v_or_b32_sdwa v8, v7, v8 dst_sel:DWORD dst_unused:UNUSED_PAD src0_sel:WORD_0 src1_sel:DWORD
.LBB150_83:
	s_or_b64 exec, exec, s[6:7]
	v_add_u32_e32 v7, 8, v35
	v_cmp_le_u32_e32 vcc, s16, v7
	v_lshrrev_b32_e32 v10, 24, v8
	v_lshrrev_b32_e32 v11, 24, v6
                                        ; implicit-def: $vgpr9
                                        ; implicit-def: $vgpr7
	s_and_saveexec_b64 s[4:5], vcc
	s_xor_b64 s[4:5], exec, s[4:5]
	s_cbranch_execz .LBB150_85
; %bb.84:
	s_movk_i32 s6, 0xff
	v_lshlrev_b16_e32 v7, 8, v11
	v_and_b32_sdwa v9, v6, s6 dst_sel:DWORD dst_unused:UNUSED_PAD src0_sel:WORD_1 src1_sel:DWORD
	v_or_b32_sdwa v7, v9, v7 dst_sel:WORD_1 dst_unused:UNUSED_PAD src0_sel:DWORD src1_sel:DWORD
	v_mov_b32_e32 v9, 8
	v_lshrrev_b32_sdwa v7, v9, v6 dst_sel:BYTE_1 dst_unused:UNUSED_PRESERVE src0_sel:DWORD src1_sel:DWORD
	v_lshlrev_b16_e32 v6, 8, v10
	v_and_b32_sdwa v9, v8, s6 dst_sel:DWORD dst_unused:UNUSED_PAD src0_sel:WORD_1 src1_sel:DWORD
	s_mov_b32 s7, 0x3060504
	v_or_b32_e32 v6, v9, v6
	s_mov_b32 s6, 0x5040c00
	v_perm_b32 v5, v5, v5, s7
	v_perm_b32 v9, v6, v8, s6
                                        ; implicit-def: $vgpr11
                                        ; implicit-def: $vgpr6
                                        ; implicit-def: $vgpr8
                                        ; implicit-def: $vgpr10
.LBB150_85:
	s_andn2_saveexec_b64 s[6:7], s[4:5]
	s_cbranch_execz .LBB150_89
; %bb.86:
	v_add_u32_e32 v7, s37, v15
	v_add_u32_e32 v9, s39, v15
	v_mul_lo_u32 v7, v7, s36
	v_mul_lo_u32 v9, v9, s38
	s_mov_b64 s[8:9], 0
	v_sub_u32_e32 v7, v7, v9
	v_cmp_lt_u32_e32 vcc, s40, v7
	v_cmp_ge_u32_e64 s[4:5], s40, v7
	s_and_saveexec_b64 s[10:11], s[4:5]
	s_cbranch_execz .LBB150_88
; %bb.87:
	v_add_u32_e32 v7, s42, v15
	v_add_u32_e32 v9, s56, v15
	v_mul_lo_u32 v7, v7, s41
	v_mul_lo_u32 v9, v9, s43
	v_sub_u32_e32 v7, v7, v9
	v_cmp_lt_u32_e64 s[4:5], s57, v7
	s_and_b64 s[8:9], s[4:5], exec
.LBB150_88:
	s_or_b64 exec, exec, s[10:11]
	s_movk_i32 s4, 0xff
	v_lshlrev_b16_e32 v11, 8, v11
	v_and_b32_sdwa v12, v6, s4 dst_sel:DWORD dst_unused:UNUSED_PAD src0_sel:WORD_1 src1_sel:DWORD
	v_or_b32_sdwa v11, v12, v11 dst_sel:WORD_1 dst_unused:UNUSED_PAD src0_sel:DWORD src1_sel:DWORD
	v_mov_b32_e32 v12, 8
	v_cndmask_b32_e64 v7, 0, 1, vcc
	v_lshrrev_b32_sdwa v6, v12, v6 dst_sel:BYTE_1 dst_unused:UNUSED_PAD src0_sel:DWORD src1_sel:DWORD
	v_cndmask_b32_e64 v9, 0, 1, s[8:9]
	v_or_b32_e32 v6, v7, v6
	v_or_b32_sdwa v7, v6, v11 dst_sel:DWORD dst_unused:UNUSED_PAD src0_sel:WORD_0 src1_sel:DWORD
	v_lshlrev_b16_e32 v6, 8, v9
	v_or_b32_sdwa v6, v8, v6 dst_sel:DWORD dst_unused:UNUSED_PAD src0_sel:BYTE_0 src1_sel:DWORD
	v_lshlrev_b16_e32 v9, 8, v10
	v_and_b32_sdwa v8, v8, s4 dst_sel:DWORD dst_unused:UNUSED_PAD src0_sel:WORD_1 src1_sel:DWORD
	v_or_b32_sdwa v8, v8, v9 dst_sel:WORD_1 dst_unused:UNUSED_PAD src0_sel:DWORD src1_sel:DWORD
	v_or_b32_sdwa v9, v6, v8 dst_sel:DWORD dst_unused:UNUSED_PAD src0_sel:WORD_0 src1_sel:DWORD
.LBB150_89:
	s_or_b64 exec, exec, s[6:7]
	v_add_u32_e32 v6, 9, v35
	v_cmp_le_u32_e32 vcc, s16, v6
	v_lshrrev_b32_e32 v10, 24, v9
	v_lshrrev_b32_e32 v11, 24, v7
                                        ; implicit-def: $vgpr6
                                        ; implicit-def: $vgpr8
	s_and_saveexec_b64 s[4:5], vcc
	s_xor_b64 s[4:5], exec, s[4:5]
	s_cbranch_execz .LBB150_91
; %bb.90:
	s_mov_b32 s6, 0x40c0100
	v_perm_b32 v6, v10, v9, s6
	v_mov_b32_e32 v8, 8
	s_movk_i32 s6, 0xff
	v_lshrrev_b32_sdwa v9, v8, v6 dst_sel:BYTE_1 dst_unused:UNUSED_PAD src0_sel:DWORD src1_sel:DWORD
	v_lshlrev_b16_e32 v8, 8, v11
	v_and_b32_sdwa v10, v7, s6 dst_sel:DWORD dst_unused:UNUSED_PAD src0_sel:WORD_1 src1_sel:DWORD
	v_or_b32_e32 v8, v10, v8
	s_mov_b32 s6, 0x5040c00
	v_perm_b32 v8, v8, v7, s6
	s_mov_b32 s6, 0x3060504
	v_or_b32_sdwa v7, v6, v9 dst_sel:DWORD dst_unused:UNUSED_PAD src0_sel:BYTE_0 src1_sel:DWORD
	v_perm_b32 v5, v5, v5, s6
	v_and_b32_e32 v7, 0xffff, v7
	s_mov_b32 s6, 0xff000000
	v_and_or_b32 v6, v6, s6, v7
                                        ; implicit-def: $vgpr7
                                        ; implicit-def: $vgpr11
                                        ; implicit-def: $vgpr9
                                        ; implicit-def: $vgpr10
.LBB150_91:
	s_andn2_saveexec_b64 s[6:7], s[4:5]
	s_cbranch_execz .LBB150_95
; %bb.92:
	v_add_u32_e32 v6, s37, v16
	v_add_u32_e32 v8, s39, v16
	v_mul_lo_u32 v6, v6, s36
	v_mul_lo_u32 v8, v8, s38
	s_mov_b64 s[8:9], 0
	v_sub_u32_e32 v6, v6, v8
	v_cmp_lt_u32_e32 vcc, s40, v6
	v_cmp_ge_u32_e64 s[4:5], s40, v6
	s_and_saveexec_b64 s[10:11], s[4:5]
	s_cbranch_execz .LBB150_94
; %bb.93:
	v_add_u32_e32 v6, s42, v16
	v_add_u32_e32 v8, s56, v16
	v_mul_lo_u32 v6, v6, s41
	v_mul_lo_u32 v8, v8, s43
	v_sub_u32_e32 v6, v6, v8
	v_cmp_lt_u32_e64 s[4:5], s57, v6
	s_and_b64 s[8:9], s[4:5], exec
.LBB150_94:
	s_or_b64 exec, exec, s[10:11]
	v_cndmask_b32_e64 v6, 0, 1, vcc
	v_lshlrev_b16_e32 v6, 8, v6
	s_movk_i32 s4, 0xff
	v_or_b32_sdwa v6, v7, v6 dst_sel:DWORD dst_unused:UNUSED_PAD src0_sel:BYTE_0 src1_sel:DWORD
	v_lshlrev_b16_e32 v8, 8, v11
	v_and_b32_sdwa v7, v7, s4 dst_sel:DWORD dst_unused:UNUSED_PAD src0_sel:WORD_1 src1_sel:DWORD
	v_or_b32_sdwa v7, v7, v8 dst_sel:WORD_1 dst_unused:UNUSED_PAD src0_sel:DWORD src1_sel:DWORD
	v_or_b32_sdwa v8, v6, v7 dst_sel:DWORD dst_unused:UNUSED_PAD src0_sel:WORD_0 src1_sel:DWORD
	v_mov_b32_e32 v6, 8
	v_cndmask_b32_e64 v12, 0, 1, s[8:9]
	v_lshrrev_b32_sdwa v6, v6, v9 dst_sel:BYTE_1 dst_unused:UNUSED_PAD src0_sel:DWORD src1_sel:DWORD
	v_lshlrev_b16_e32 v7, 8, v10
	v_or_b32_sdwa v6, v9, v6 dst_sel:DWORD dst_unused:UNUSED_PAD src0_sel:BYTE_0 src1_sel:DWORD
	v_or_b32_sdwa v7, v12, v7 dst_sel:WORD_1 dst_unused:UNUSED_PAD src0_sel:DWORD src1_sel:DWORD
	v_or_b32_sdwa v6, v6, v7 dst_sel:DWORD dst_unused:UNUSED_PAD src0_sel:WORD_0 src1_sel:DWORD
.LBB150_95:
	s_or_b64 exec, exec, s[6:7]
	v_add_u32_e32 v7, 10, v35
	v_cmp_le_u32_e32 vcc, s16, v7
	v_lshrrev_b32_e32 v9, 24, v8
                                        ; implicit-def: $vgpr39
                                        ; implicit-def: $vgpr7
	s_and_saveexec_b64 s[4:5], vcc
	s_xor_b64 s[4:5], exec, s[4:5]
	s_cbranch_execz .LBB150_97
; %bb.96:
	s_mov_b32 s6, 0x40c0100
	v_perm_b32 v7, v9, v8, s6
	v_mov_b32_e32 v8, 8
	v_lshrrev_b32_sdwa v8, v8, v7 dst_sel:BYTE_1 dst_unused:UNUSED_PAD src0_sel:DWORD src1_sel:DWORD
	v_or_b32_sdwa v8, v7, v8 dst_sel:DWORD dst_unused:UNUSED_PAD src0_sel:BYTE_0 src1_sel:DWORD
	v_and_b32_e32 v8, 0xffff, v8
	s_mov_b32 s6, 0xff000000
	v_and_or_b32 v7, v7, s6, v8
	s_mov_b32 s6, 0x3060504
	v_and_b32_e32 v10, 0xff0000, v6
	v_perm_b32 v5, v5, v5, s6
	s_mov_b32 s6, 0x3020504
	v_perm_b32 v39, v6, v10, s6
                                        ; implicit-def: $vgpr8
                                        ; implicit-def: $vgpr9
                                        ; implicit-def: $vgpr6
.LBB150_97:
	s_andn2_saveexec_b64 s[6:7], s[4:5]
	s_cbranch_execz .LBB150_101
; %bb.98:
	v_add_u32_e32 v7, s37, v13
	v_add_u32_e32 v10, s39, v13
	v_mul_lo_u32 v7, v7, s36
	v_mul_lo_u32 v10, v10, s38
	s_mov_b64 s[8:9], 0
	v_sub_u32_e32 v7, v7, v10
	v_cmp_lt_u32_e32 vcc, s40, v7
	v_cmp_ge_u32_e64 s[4:5], s40, v7
	s_and_saveexec_b64 s[10:11], s[4:5]
	s_cbranch_execz .LBB150_100
; %bb.99:
	v_add_u32_e32 v7, s42, v13
	v_add_u32_e32 v10, s56, v13
	v_mul_lo_u32 v7, v7, s41
	v_mul_lo_u32 v10, v10, s43
	v_sub_u32_e32 v7, v7, v10
	v_cmp_lt_u32_e64 s[4:5], s57, v7
	s_and_b64 s[8:9], s[4:5], exec
.LBB150_100:
	s_or_b64 exec, exec, s[10:11]
	v_mov_b32_e32 v11, 8
	v_cndmask_b32_e64 v7, 0, 1, vcc
	v_lshrrev_b32_sdwa v12, v11, v8 dst_sel:BYTE_1 dst_unused:UNUSED_PAD src0_sel:DWORD src1_sel:DWORD
	v_lshlrev_b16_e32 v9, 8, v9
	v_or_b32_sdwa v8, v8, v12 dst_sel:DWORD dst_unused:UNUSED_PAD src0_sel:BYTE_0 src1_sel:DWORD
	v_or_b32_sdwa v7, v7, v9 dst_sel:WORD_1 dst_unused:UNUSED_PAD src0_sel:DWORD src1_sel:DWORD
	v_cndmask_b32_e64 v10, 0, 1, s[8:9]
	s_movk_i32 s4, 0xff
	v_or_b32_sdwa v7, v8, v7 dst_sel:DWORD dst_unused:UNUSED_PAD src0_sel:WORD_0 src1_sel:DWORD
	v_lshrrev_b32_sdwa v8, v11, v6 dst_sel:BYTE_1 dst_unused:UNUSED_PAD src0_sel:DWORD src1_sel:DWORD
	v_or_b32_sdwa v8, v6, v8 dst_sel:DWORD dst_unused:UNUSED_PAD src0_sel:BYTE_0 src1_sel:DWORD
	v_lshlrev_b16_e32 v9, 8, v10
	v_and_b32_sdwa v6, v6, s4 dst_sel:DWORD dst_unused:UNUSED_PAD src0_sel:WORD_1 src1_sel:DWORD
	v_or_b32_sdwa v6, v6, v9 dst_sel:WORD_1 dst_unused:UNUSED_PAD src0_sel:DWORD src1_sel:DWORD
	v_or_b32_sdwa v39, v8, v6 dst_sel:DWORD dst_unused:UNUSED_PAD src0_sel:WORD_0 src1_sel:DWORD
.LBB150_101:
	s_or_b64 exec, exec, s[6:7]
	v_add_u32_e32 v6, 11, v35
	v_mov_b32_e32 v40, 0
	v_cmp_le_u32_e32 vcc, s16, v6
                                        ; implicit-def: $vgpr41
	s_and_saveexec_b64 s[4:5], vcc
	s_xor_b64 s[4:5], exec, s[4:5]
; %bb.102:
	v_and_b32_e32 v6, 0xff0000, v7
	s_mov_b32 s6, 0x3020504
	v_perm_b32 v41, v7, v6, s6
	s_mov_b32 s6, 0x3060504
	v_perm_b32 v5, v5, v5, s6
                                        ; implicit-def: $vgpr7
; %bb.103:
	s_andn2_saveexec_b64 s[6:7], s[4:5]
	s_cbranch_execz .LBB150_107
; %bb.104:
	v_add_u32_e32 v6, s37, v14
	v_add_u32_e32 v8, s39, v14
	v_mul_lo_u32 v6, v6, s36
	v_mul_lo_u32 v8, v8, s38
	s_mov_b64 s[8:9], 0
	v_sub_u32_e32 v6, v6, v8
	v_cmp_lt_u32_e32 vcc, s40, v6
	v_cmp_ge_u32_e64 s[4:5], s40, v6
	s_and_saveexec_b64 s[10:11], s[4:5]
	s_cbranch_execz .LBB150_106
; %bb.105:
	v_add_u32_e32 v6, s42, v14
	v_add_u32_e32 v8, s56, v14
	v_mul_lo_u32 v6, v6, s41
	v_mul_lo_u32 v8, v8, s43
	v_sub_u32_e32 v6, v6, v8
	v_cmp_lt_u32_e64 s[4:5], s57, v6
	s_and_b64 s[8:9], s[4:5], exec
.LBB150_106:
	s_or_b64 exec, exec, s[10:11]
	v_mov_b32_e32 v8, 8
	v_cndmask_b32_e64 v6, 0, 1, vcc
	s_movk_i32 s4, 0xff
	v_lshrrev_b32_sdwa v8, v8, v7 dst_sel:BYTE_1 dst_unused:UNUSED_PAD src0_sel:DWORD src1_sel:DWORD
	v_or_b32_sdwa v8, v7, v8 dst_sel:DWORD dst_unused:UNUSED_PAD src0_sel:BYTE_0 src1_sel:DWORD
	v_lshlrev_b16_e32 v6, 8, v6
	v_and_b32_sdwa v7, v7, s4 dst_sel:DWORD dst_unused:UNUSED_PAD src0_sel:WORD_1 src1_sel:DWORD
	v_or_b32_sdwa v6, v7, v6 dst_sel:WORD_1 dst_unused:UNUSED_PAD src0_sel:DWORD src1_sel:DWORD
	v_cndmask_b32_e64 v40, 0, 1, s[8:9]
	v_or_b32_sdwa v41, v8, v6 dst_sel:DWORD dst_unused:UNUSED_PAD src0_sel:WORD_0 src1_sel:DWORD
.LBB150_107:
	s_or_b64 exec, exec, s[6:7]
	v_add_u32_e32 v6, 12, v35
	v_cmp_le_u32_e32 vcc, s16, v6
	v_lshrrev_b32_e32 v6, 24, v5
                                        ; implicit-def: $vgpr42
	s_and_saveexec_b64 s[4:5], vcc
	s_xor_b64 s[4:5], exec, s[4:5]
; %bb.108:
	s_movk_i32 s6, 0xff
	v_lshlrev_b16_e32 v6, 8, v6
	v_and_b32_sdwa v8, v5, s6 dst_sel:DWORD dst_unused:UNUSED_PAD src0_sel:WORD_1 src1_sel:DWORD
	v_mov_b32_e32 v7, 8
	v_or_b32_sdwa v42, v8, v6 dst_sel:WORD_1 dst_unused:UNUSED_PAD src0_sel:DWORD src1_sel:DWORD
	v_lshrrev_b32_sdwa v42, v7, v5 dst_sel:BYTE_1 dst_unused:UNUSED_PRESERVE src0_sel:DWORD src1_sel:DWORD
                                        ; implicit-def: $vgpr6
                                        ; implicit-def: $vgpr5
; %bb.109:
	s_or_saveexec_b64 s[6:7], s[4:5]
	v_mov_b32_e32 v43, 0
	s_xor_b64 exec, exec, s[6:7]
	s_cbranch_execz .LBB150_113
; %bb.110:
	v_add_u32_e32 v7, s37, v34
	v_add_u32_e32 v8, s39, v34
	v_mul_lo_u32 v7, v7, s36
	v_mul_lo_u32 v8, v8, s38
	s_mov_b64 s[8:9], 0
	v_sub_u32_e32 v7, v7, v8
	v_cmp_lt_u32_e32 vcc, s40, v7
	v_cmp_ge_u32_e64 s[4:5], s40, v7
	s_and_saveexec_b64 s[10:11], s[4:5]
	s_cbranch_execz .LBB150_112
; %bb.111:
	v_add_u32_e32 v7, s42, v34
	v_add_u32_e32 v8, s56, v34
	v_mul_lo_u32 v7, v7, s41
	v_mul_lo_u32 v8, v8, s43
	v_sub_u32_e32 v7, v7, v8
	v_cmp_lt_u32_e64 s[4:5], s57, v7
	s_and_b64 s[8:9], s[4:5], exec
.LBB150_112:
	s_or_b64 exec, exec, s[10:11]
	s_movk_i32 s4, 0xff
	v_lshlrev_b16_e32 v6, 8, v6
	v_and_b32_sdwa v8, v5, s4 dst_sel:DWORD dst_unused:UNUSED_PAD src0_sel:WORD_1 src1_sel:DWORD
	v_or_b32_sdwa v6, v8, v6 dst_sel:WORD_1 dst_unused:UNUSED_PAD src0_sel:DWORD src1_sel:DWORD
	v_mov_b32_e32 v8, 8
	v_cndmask_b32_e64 v7, 0, 1, vcc
	v_lshrrev_b32_sdwa v5, v8, v5 dst_sel:BYTE_1 dst_unused:UNUSED_PAD src0_sel:DWORD src1_sel:DWORD
	v_or_b32_e32 v5, v7, v5
	v_cndmask_b32_e64 v43, 0, 1, s[8:9]
	v_or_b32_sdwa v42, v5, v6 dst_sel:DWORD dst_unused:UNUSED_PAD src0_sel:WORD_0 src1_sel:DWORD
.LBB150_113:
	s_or_b64 exec, exec, s[6:7]
.LBB150_114:
	v_and_b32_e32 v53, 0xff, v36
	v_bfe_u32 v50, v36, 8, 8
	v_bfe_u32 v55, v36, 16, 8
	v_lshrrev_b32_e32 v48, 24, v36
	v_and_b32_e32 v56, 0xff, v38
	v_add3_u32 v8, v50, v53, v55
	v_bfe_u32 v51, v38, 8, 8
	v_bfe_u32 v58, v38, 16, 8
	v_add3_u32 v8, v8, v48, v56
	v_bfe_u32 v54, v42, 8, 8
	v_bfe_u32 v62, v42, 16, 8
	v_lshrrev_b32_e32 v49, 24, v42
	v_lshrrev_b32_e32 v46, 24, v38
	v_and_b32_e32 v59, 0xff, v41
	v_add3_u32 v8, v8, v51, v58
	v_and_b32_e32 v63, 0xff, v37
	v_bfe_u32 v57, v37, 8, 8
	v_bfe_u32 v52, v41, 8, 8
	;; [unrolled: 1-line block ×3, first 2 shown]
	v_add3_u32 v7, v62, v54, v49
	v_add3_u32 v8, v8, v46, v59
	v_bfe_u32 v64, v37, 16, 8
	v_lshrrev_b32_e32 v47, 24, v37
	v_lshrrev_b32_e32 v44, 24, v41
	v_and_b32_e32 v5, 0xff, v42
	v_add3_u32 v7, v7, v63, v57
	v_add3_u32 v8, v8, v52, v61
	v_and_b32_e32 v65, 0xff, v39
	v_bfe_u32 v60, v39, 8, 8
	v_add3_u32 v7, v7, v64, v47
	v_add3_u32 v73, v8, v44, v5
	v_mbcnt_lo_u32_b32 v5, -1, 0
	v_bfe_u32 v66, v39, 16, 8
	v_lshrrev_b32_e32 v45, 24, v39
	v_add3_u32 v7, v7, v65, v60
	v_mbcnt_hi_u32_b32 v68, -1, v5
	v_and_b32_e32 v67, 0xff, v40
	v_and_b32_e32 v6, 0xff, v43
	v_add3_u32 v7, v7, v66, v45
	v_and_b32_e32 v72, 15, v68
	s_cmp_lg_u32 s33, 0
	v_add3_u32 v74, v7, v67, v6
	v_cmp_eq_u32_e64 s[6:7], 0, v72
	v_cmp_lt_u32_e64 s[4:5], 1, v72
	v_cmp_lt_u32_e64 s[10:11], 3, v72
	;; [unrolled: 1-line block ×3, first 2 shown]
	v_and_b32_e32 v71, 16, v68
	v_cmp_lt_u32_e32 vcc, 31, v68
	v_lshrrev_b32_e32 v69, 6, v0
	v_or_b32_e32 v70, 63, v0
	s_cbranch_scc0 .LBB150_136
; %bb.115:
	v_mov_b32_dpp v5, v73 row_shr:1 row_mask:0xf bank_mask:0xf
	v_mov_b32_dpp v6, v74 row_shr:1 row_mask:0xf bank_mask:0xf
	v_add_u32_e32 v5, v5, v73
	v_add_u32_e32 v6, v6, v74
	v_cndmask_b32_e64 v6, v6, v74, s[6:7]
	v_cndmask_b32_e64 v5, v5, v73, s[6:7]
	s_nop 0
	v_mov_b32_dpp v8, v6 row_shr:2 row_mask:0xf bank_mask:0xf
	v_mov_b32_dpp v7, v5 row_shr:2 row_mask:0xf bank_mask:0xf
	v_add_u32_e32 v7, v5, v7
	v_add_u32_e32 v8, v6, v8
	v_cndmask_b32_e64 v6, v6, v8, s[4:5]
	v_cndmask_b32_e64 v5, v5, v7, s[4:5]
	s_nop 0
	;; [unrolled: 7-line block ×3, first 2 shown]
	v_mov_b32_dpp v8, v6 row_shr:8 row_mask:0xf bank_mask:0xf
	v_mov_b32_dpp v7, v5 row_shr:8 row_mask:0xf bank_mask:0xf
	v_add_u32_e32 v7, v5, v7
	v_add_u32_e32 v8, v6, v8
	v_cndmask_b32_e64 v6, v6, v8, s[8:9]
	v_cndmask_b32_e64 v7, v5, v7, s[8:9]
	v_cmp_eq_u32_e64 s[8:9], 0, v71
	v_mov_b32_dpp v8, v6 row_bcast:15 row_mask:0xf bank_mask:0xf
	v_mov_b32_dpp v5, v7 row_bcast:15 row_mask:0xf bank_mask:0xf
	v_add_u32_e32 v9, v7, v5
	v_add_u32_e32 v5, v6, v8
	v_cndmask_b32_e64 v5, v5, v6, s[8:9]
	v_cndmask_b32_e64 v6, v9, v7, s[8:9]
	v_cmp_eq_u32_e64 s[8:9], v0, v70
	v_mov_b32_dpp v7, v5 row_bcast:31 row_mask:0xf bank_mask:0xf
	v_mov_b32_dpp v8, v6 row_bcast:31 row_mask:0xf bank_mask:0xf
	v_add_u32_e32 v7, v5, v7
	v_add_u32_e32 v8, v6, v8
	s_and_saveexec_b64 s[10:11], s[8:9]
; %bb.116:
	v_lshlrev_b32_e32 v11, 3, v69
	v_cndmask_b32_e32 v10, v5, v7, vcc
	v_cndmask_b32_e32 v9, v6, v8, vcc
	ds_write_b64 v11, v[9:10]
; %bb.117:
	s_or_b64 exec, exec, s[10:11]
	v_cmp_gt_u32_e64 s[8:9], 4, v0
	s_waitcnt lgkmcnt(0)
	s_barrier
	s_and_saveexec_b64 s[10:11], s[8:9]
	s_cbranch_execz .LBB150_119
; %bb.118:
	v_lshlrev_b32_e32 v11, 3, v0
	ds_read_b64 v[9:10], v11
	v_and_b32_e32 v12, 3, v68
	v_cmp_eq_u32_e64 s[8:9], 0, v12
	s_waitcnt lgkmcnt(0)
	v_mov_b32_dpp v25, v9 row_shr:1 row_mask:0xf bank_mask:0xf
	v_mov_b32_dpp v26, v10 row_shr:1 row_mask:0xf bank_mask:0xf
	v_add_u32_e32 v25, v25, v9
	v_add_u32_e32 v26, v26, v10
	v_cndmask_b32_e64 v10, v26, v10, s[8:9]
	v_cndmask_b32_e64 v9, v25, v9, s[8:9]
	v_cmp_lt_u32_e64 s[8:9], 1, v12
	v_mov_b32_dpp v26, v10 row_shr:2 row_mask:0xf bank_mask:0xf
	v_mov_b32_dpp v25, v9 row_shr:2 row_mask:0xf bank_mask:0xf
	v_cndmask_b32_e64 v12, 0, v25, s[8:9]
	v_cndmask_b32_e64 v25, 0, v26, s[8:9]
	v_add_u32_e32 v10, v25, v10
	v_add_u32_e32 v9, v12, v9
	ds_write_b64 v11, v[9:10]
.LBB150_119:
	s_or_b64 exec, exec, s[10:11]
	v_cndmask_b32_e32 v5, v5, v7, vcc
	v_cndmask_b32_e32 v6, v6, v8, vcc
	v_cmp_gt_u32_e32 vcc, 64, v0
	v_cmp_lt_u32_e64 s[8:9], 63, v0
	s_waitcnt lgkmcnt(0)
	s_barrier
                                        ; implicit-def: $vgpr25
	s_and_saveexec_b64 s[10:11], s[8:9]
	s_cbranch_execz .LBB150_121
; %bb.120:
	v_lshl_add_u32 v7, v69, 3, -8
	ds_read_b64 v[25:26], v7
	s_waitcnt lgkmcnt(0)
	v_add_u32_e32 v5, v26, v5
	v_add_u32_e32 v6, v25, v6
.LBB150_121:
	s_or_b64 exec, exec, s[10:11]
	v_subrev_co_u32_e64 v7, s[8:9], 1, v68
	v_and_b32_e32 v8, 64, v68
	v_cmp_lt_i32_e64 s[10:11], v7, v8
	v_cndmask_b32_e64 v7, v7, v68, s[10:11]
	v_lshlrev_b32_e32 v7, 2, v7
	ds_bpermute_b32 v75, v7, v6
	ds_bpermute_b32 v76, v7, v5
	s_and_saveexec_b64 s[10:11], vcc
	s_cbranch_execz .LBB150_141
; %bb.122:
	v_mov_b32_e32 v8, 0
	ds_read_b64 v[5:6], v8 offset:24
	s_and_saveexec_b64 s[12:13], s[8:9]
	s_cbranch_execz .LBB150_124
; %bb.123:
	s_add_i32 s14, s33, 64
	s_mov_b32 s15, 0
	s_lshl_b64 s[14:15], s[14:15], 4
	s_add_u32 s14, s54, s14
	s_addc_u32 s15, s55, s15
	v_mov_b32_e32 v9, s14
	v_mov_b32_e32 v7, 1
	v_mov_b32_e32 v10, s15
	s_waitcnt lgkmcnt(0)
	;;#ASMSTART
	global_store_dwordx4 v[9:10], v[5:8] off	
s_waitcnt vmcnt(0)
	;;#ASMEND
.LBB150_124:
	s_or_b64 exec, exec, s[12:13]
	v_xad_u32 v27, v68, -1, s33
	v_add_u32_e32 v7, 64, v27
	v_lshlrev_b64 v[9:10], 4, v[7:8]
	v_mov_b32_e32 v7, s55
	v_add_co_u32_e32 v28, vcc, s54, v9
	v_addc_co_u32_e32 v29, vcc, v7, v10, vcc
	;;#ASMSTART
	global_load_dwordx4 v[9:12], v[28:29] off glc	
s_waitcnt vmcnt(0)
	;;#ASMEND
	v_cmp_eq_u16_sdwa s[14:15], v11, v8 src0_sel:BYTE_0 src1_sel:DWORD
	s_and_saveexec_b64 s[12:13], s[14:15]
	s_cbranch_execz .LBB150_128
; %bb.125:
	s_mov_b64 s[14:15], 0
	v_mov_b32_e32 v7, 0
.LBB150_126:                            ; =>This Inner Loop Header: Depth=1
	;;#ASMSTART
	global_load_dwordx4 v[9:12], v[28:29] off glc	
s_waitcnt vmcnt(0)
	;;#ASMEND
	v_cmp_ne_u16_sdwa s[18:19], v11, v7 src0_sel:BYTE_0 src1_sel:DWORD
	s_or_b64 s[14:15], s[18:19], s[14:15]
	s_andn2_b64 exec, exec, s[14:15]
	s_cbranch_execnz .LBB150_126
; %bb.127:
	s_or_b64 exec, exec, s[14:15]
.LBB150_128:
	s_or_b64 exec, exec, s[12:13]
	v_and_b32_e32 v78, 63, v68
	v_cmp_ne_u32_e32 vcc, 63, v78
	v_mov_b32_e32 v77, 2
	v_lshlrev_b64 v[29:30], v68, -1
	v_addc_co_u32_e32 v12, vcc, 0, v68, vcc
	v_cmp_eq_u16_sdwa s[12:13], v11, v77 src0_sel:BYTE_0 src1_sel:DWORD
	v_lshlrev_b32_e32 v79, 2, v12
	v_and_b32_e32 v7, s13, v30
	ds_bpermute_b32 v12, v79, v9
	ds_bpermute_b32 v28, v79, v10
	v_or_b32_e32 v7, 0x80000000, v7
	v_and_b32_e32 v8, s12, v29
	v_ffbl_b32_e32 v7, v7
	v_add_u32_e32 v7, 32, v7
	v_ffbl_b32_e32 v8, v8
	v_min_u32_e32 v7, v8, v7
	s_waitcnt lgkmcnt(1)
	v_add_u32_e32 v8, v12, v9
	s_waitcnt lgkmcnt(0)
	v_add_u32_e32 v12, v28, v10
	v_cmp_lt_u32_e32 vcc, v78, v7
	v_cndmask_b32_e32 v10, v10, v12, vcc
	v_cndmask_b32_e32 v8, v9, v8, vcc
	v_cmp_gt_u32_e32 vcc, 62, v78
	v_cndmask_b32_e64 v9, 0, 2, vcc
	v_add_lshl_u32 v80, v9, v68, 2
	ds_bpermute_b32 v9, v80, v8
	ds_bpermute_b32 v12, v80, v10
	v_add_u32_e32 v81, 2, v78
	v_cmp_gt_u32_e32 vcc, v81, v7
	v_add_u32_e32 v83, 4, v78
	s_waitcnt lgkmcnt(1)
	v_add_u32_e32 v9, v8, v9
	s_waitcnt lgkmcnt(0)
	v_add_u32_e32 v12, v10, v12
	v_cndmask_b32_e32 v10, v12, v10, vcc
	v_cndmask_b32_e32 v8, v9, v8, vcc
	v_cmp_gt_u32_e32 vcc, 60, v78
	v_cndmask_b32_e64 v9, 0, 4, vcc
	v_add_lshl_u32 v82, v9, v68, 2
	ds_bpermute_b32 v9, v82, v8
	ds_bpermute_b32 v12, v82, v10
	v_cmp_gt_u32_e32 vcc, v83, v7
	v_add_u32_e32 v85, 8, v78
	v_add_u32_e32 v87, 16, v78
	s_waitcnt lgkmcnt(1)
	v_add_u32_e32 v9, v8, v9
	s_waitcnt lgkmcnt(0)
	v_add_u32_e32 v12, v10, v12
	v_cndmask_b32_e32 v10, v12, v10, vcc
	v_cndmask_b32_e32 v8, v9, v8, vcc
	v_cmp_gt_u32_e32 vcc, 56, v78
	v_cndmask_b32_e64 v9, 0, 8, vcc
	v_add_lshl_u32 v84, v9, v68, 2
	ds_bpermute_b32 v9, v84, v8
	ds_bpermute_b32 v12, v84, v10
	v_cmp_gt_u32_e32 vcc, v85, v7
	v_add_u32_e32 v89, 32, v78
	v_mov_b32_e32 v28, 0
	s_waitcnt lgkmcnt(1)
	v_add_u32_e32 v9, v8, v9
	s_waitcnt lgkmcnt(0)
	v_add_u32_e32 v12, v10, v12
	v_cndmask_b32_e32 v10, v12, v10, vcc
	v_cndmask_b32_e32 v8, v9, v8, vcc
	v_cmp_gt_u32_e32 vcc, 48, v78
	v_cndmask_b32_e64 v9, 0, 16, vcc
	v_add_lshl_u32 v86, v9, v68, 2
	ds_bpermute_b32 v9, v86, v8
	ds_bpermute_b32 v12, v86, v10
	v_cmp_gt_u32_e32 vcc, v87, v7
	s_waitcnt lgkmcnt(1)
	v_add_u32_e32 v9, v8, v9
	s_waitcnt lgkmcnt(0)
	v_add_u32_e32 v12, v10, v12
	v_cndmask_b32_e32 v8, v9, v8, vcc
	v_mov_b32_e32 v9, 0x80
	v_cndmask_b32_e32 v10, v12, v10, vcc
	v_lshl_or_b32 v88, v68, 2, v9
	ds_bpermute_b32 v9, v88, v8
	ds_bpermute_b32 v12, v88, v10
	v_cmp_le_u32_e32 vcc, v89, v7
	s_waitcnt lgkmcnt(1)
	v_cndmask_b32_e32 v7, 0, v9, vcc
	s_waitcnt lgkmcnt(0)
	v_cndmask_b32_e32 v9, 0, v12, vcc
	v_add_u32_e32 v10, v10, v9
	v_add_u32_e32 v9, v8, v7
	s_branch .LBB150_132
.LBB150_129:                            ;   in Loop: Header=BB150_132 Depth=1
	s_or_b64 exec, exec, s[14:15]
.LBB150_130:                            ;   in Loop: Header=BB150_132 Depth=1
	s_or_b64 exec, exec, s[12:13]
	v_cmp_eq_u16_sdwa s[12:13], v11, v77 src0_sel:BYTE_0 src1_sel:DWORD
	v_and_b32_e32 v12, s13, v30
	ds_bpermute_b32 v32, v79, v9
	ds_bpermute_b32 v90, v79, v10
	v_or_b32_e32 v12, 0x80000000, v12
	v_and_b32_e32 v31, s12, v29
	v_ffbl_b32_e32 v12, v12
	v_add_u32_e32 v12, 32, v12
	v_ffbl_b32_e32 v31, v31
	v_min_u32_e32 v12, v31, v12
	s_waitcnt lgkmcnt(1)
	v_add_u32_e32 v31, v32, v9
	s_waitcnt lgkmcnt(0)
	v_add_u32_e32 v32, v90, v10
	v_cmp_lt_u32_e32 vcc, v78, v12
	v_cndmask_b32_e32 v10, v10, v32, vcc
	v_cndmask_b32_e32 v9, v9, v31, vcc
	ds_bpermute_b32 v31, v80, v9
	ds_bpermute_b32 v32, v80, v10
	v_cmp_gt_u32_e32 vcc, v81, v12
	v_subrev_u32_e32 v27, 64, v27
	s_mov_b64 s[12:13], 0
	s_waitcnt lgkmcnt(1)
	v_add_u32_e32 v31, v9, v31
	s_waitcnt lgkmcnt(0)
	v_add_u32_e32 v32, v10, v32
	v_cndmask_b32_e32 v10, v32, v10, vcc
	v_cndmask_b32_e32 v9, v31, v9, vcc
	ds_bpermute_b32 v31, v82, v9
	ds_bpermute_b32 v32, v82, v10
	v_cmp_gt_u32_e32 vcc, v83, v12
	s_waitcnt lgkmcnt(1)
	v_add_u32_e32 v31, v9, v31
	s_waitcnt lgkmcnt(0)
	v_add_u32_e32 v32, v10, v32
	v_cndmask_b32_e32 v10, v32, v10, vcc
	v_cndmask_b32_e32 v9, v31, v9, vcc
	ds_bpermute_b32 v31, v84, v9
	ds_bpermute_b32 v32, v84, v10
	v_cmp_gt_u32_e32 vcc, v85, v12
	;; [unrolled: 9-line block ×3, first 2 shown]
	s_waitcnt lgkmcnt(1)
	v_add_u32_e32 v31, v9, v31
	s_waitcnt lgkmcnt(0)
	v_add_u32_e32 v32, v10, v32
	v_cndmask_b32_e32 v10, v32, v10, vcc
	v_cndmask_b32_e32 v9, v31, v9, vcc
	ds_bpermute_b32 v31, v88, v9
	ds_bpermute_b32 v32, v88, v10
	v_cmp_le_u32_e32 vcc, v89, v12
	s_waitcnt lgkmcnt(1)
	v_cndmask_b32_e32 v12, 0, v31, vcc
	s_waitcnt lgkmcnt(0)
	v_cndmask_b32_e32 v31, 0, v32, vcc
	v_add3_u32 v10, v31, v8, v10
	v_add3_u32 v9, v12, v7, v9
.LBB150_131:                            ;   in Loop: Header=BB150_132 Depth=1
	s_and_b64 vcc, exec, s[12:13]
	s_cbranch_vccnz .LBB150_137
.LBB150_132:                            ; =>This Loop Header: Depth=1
                                        ;     Child Loop BB150_135 Depth 2
	v_mov_b32_e32 v7, v9
	v_cmp_ne_u16_sdwa s[12:13], v11, v77 src0_sel:BYTE_0 src1_sel:DWORD
	v_mov_b32_e32 v8, v10
	s_cmp_lg_u64 s[12:13], exec
	s_mov_b64 s[12:13], -1
                                        ; implicit-def: $vgpr11
                                        ; implicit-def: $vgpr9_vgpr10
	s_cbranch_scc1 .LBB150_131
; %bb.133:                              ;   in Loop: Header=BB150_132 Depth=1
	v_lshlrev_b64 v[9:10], 4, v[27:28]
	v_mov_b32_e32 v11, s55
	v_add_co_u32_e32 v31, vcc, s54, v9
	v_addc_co_u32_e32 v32, vcc, v11, v10, vcc
	;;#ASMSTART
	global_load_dwordx4 v[9:12], v[31:32] off glc	
s_waitcnt vmcnt(0)
	;;#ASMEND
	v_cmp_eq_u16_sdwa s[14:15], v11, v28 src0_sel:BYTE_0 src1_sel:DWORD
	s_and_saveexec_b64 s[12:13], s[14:15]
	s_cbranch_execz .LBB150_130
; %bb.134:                              ;   in Loop: Header=BB150_132 Depth=1
	s_mov_b64 s[14:15], 0
.LBB150_135:                            ;   Parent Loop BB150_132 Depth=1
                                        ; =>  This Inner Loop Header: Depth=2
	;;#ASMSTART
	global_load_dwordx4 v[9:12], v[31:32] off glc	
s_waitcnt vmcnt(0)
	;;#ASMEND
	v_cmp_ne_u16_sdwa s[18:19], v11, v28 src0_sel:BYTE_0 src1_sel:DWORD
	s_or_b64 s[14:15], s[18:19], s[14:15]
	s_andn2_b64 exec, exec, s[14:15]
	s_cbranch_execnz .LBB150_135
	s_branch .LBB150_129
.LBB150_136:
                                        ; implicit-def: $vgpr12
                                        ; implicit-def: $vgpr7
                                        ; implicit-def: $vgpr25
	s_cbranch_execnz .LBB150_142
	s_branch .LBB150_151
.LBB150_137:
	s_and_saveexec_b64 s[12:13], s[8:9]
	s_cbranch_execnz .LBB150_379
; %bb.138:
	s_or_b64 exec, exec, s[12:13]
	s_and_saveexec_b64 s[12:13], s[8:9]
	s_cbranch_execnz .LBB150_380
.LBB150_139:
	s_or_b64 exec, exec, s[12:13]
	s_and_b64 exec, exec, s[0:1]
.LBB150_140:
	v_mov_b32_e32 v5, 0
	ds_write_b64 v5, v[7:8] offset:24
.LBB150_141:
	s_or_b64 exec, exec, s[10:11]
	v_mov_b32_e32 v5, 0
	s_waitcnt lgkmcnt(0)
	s_barrier
	ds_read_b64 v[9:10], v5 offset:24
	v_cndmask_b32_e64 v6, v75, v25, s[8:9]
	s_waitcnt lgkmcnt(0)
	s_barrier
	v_add_u32_e32 v25, v9, v6
	ds_read_b128 v[5:8], v5 offset:13312
	v_cndmask_b32_e64 v11, v76, v26, s[8:9]
	v_add_u32_e32 v11, v10, v11
	v_cndmask_b32_e64 v12, v11, v10, s[0:1]
	v_cndmask_b32_e64 v25, v25, v9, s[0:1]
	s_branch .LBB150_151
.LBB150_142:
	s_waitcnt lgkmcnt(0)
	v_mov_b32_dpp v5, v73 row_shr:1 row_mask:0xf bank_mask:0xf
	v_mov_b32_dpp v6, v74 row_shr:1 row_mask:0xf bank_mask:0xf
	v_add_u32_e32 v5, v5, v73
	v_add_u32_e32 v6, v6, v74
	v_cndmask_b32_e64 v6, v6, v74, s[6:7]
	v_cndmask_b32_e64 v5, v5, v73, s[6:7]
	v_cmp_lt_u32_e32 vcc, 3, v72
	v_mov_b32_dpp v8, v6 row_shr:2 row_mask:0xf bank_mask:0xf
	v_mov_b32_dpp v7, v5 row_shr:2 row_mask:0xf bank_mask:0xf
	v_add_u32_e32 v7, v5, v7
	v_add_u32_e32 v8, v6, v8
	v_cndmask_b32_e64 v6, v6, v8, s[4:5]
	v_cndmask_b32_e64 v5, v5, v7, s[4:5]
	v_cmp_eq_u32_e64 s[4:5], v0, v70
	v_mov_b32_dpp v8, v6 row_shr:4 row_mask:0xf bank_mask:0xf
	v_mov_b32_dpp v7, v5 row_shr:4 row_mask:0xf bank_mask:0xf
	v_add_u32_e32 v7, v5, v7
	v_add_u32_e32 v8, v6, v8
	v_cndmask_b32_e32 v6, v6, v8, vcc
	v_cndmask_b32_e32 v5, v5, v7, vcc
	v_cmp_lt_u32_e32 vcc, 7, v72
	v_mov_b32_dpp v8, v6 row_shr:8 row_mask:0xf bank_mask:0xf
	v_mov_b32_dpp v7, v5 row_shr:8 row_mask:0xf bank_mask:0xf
	v_add_u32_e32 v7, v5, v7
	v_add_u32_e32 v8, v6, v8
	v_cndmask_b32_e32 v6, v6, v8, vcc
	v_cndmask_b32_e32 v7, v5, v7, vcc
	v_cmp_eq_u32_e32 vcc, 0, v71
	v_mov_b32_dpp v8, v6 row_bcast:15 row_mask:0xf bank_mask:0xf
	v_mov_b32_dpp v5, v7 row_bcast:15 row_mask:0xf bank_mask:0xf
	v_add_u32_e32 v9, v7, v5
	v_add_u32_e32 v5, v6, v8
	v_cndmask_b32_e32 v5, v5, v6, vcc
	v_cndmask_b32_e32 v6, v9, v7, vcc
	v_cmp_lt_u32_e32 vcc, 31, v68
	v_mov_b32_dpp v7, v5 row_bcast:31 row_mask:0xf bank_mask:0xf
	v_mov_b32_dpp v8, v6 row_bcast:31 row_mask:0xf bank_mask:0xf
	v_add_u32_e32 v7, v5, v7
	v_add_u32_e32 v8, v6, v8
	s_and_saveexec_b64 s[6:7], s[4:5]
; %bb.143:
	v_cndmask_b32_e32 v9, v6, v8, vcc
	v_cndmask_b32_e32 v10, v5, v7, vcc
	v_lshlrev_b32_e32 v11, 3, v69
	ds_write_b64 v11, v[9:10]
; %bb.144:
	s_or_b64 exec, exec, s[6:7]
	v_cmp_gt_u32_e64 s[4:5], 4, v0
	s_waitcnt lgkmcnt(0)
	s_barrier
	s_and_saveexec_b64 s[6:7], s[4:5]
	s_cbranch_execz .LBB150_146
; %bb.145:
	v_lshlrev_b32_e32 v11, 3, v0
	ds_read_b64 v[9:10], v11
	v_and_b32_e32 v12, 3, v68
	v_cmp_eq_u32_e64 s[4:5], 0, v12
	s_waitcnt lgkmcnt(0)
	v_mov_b32_dpp v25, v9 row_shr:1 row_mask:0xf bank_mask:0xf
	v_mov_b32_dpp v26, v10 row_shr:1 row_mask:0xf bank_mask:0xf
	v_add_u32_e32 v25, v25, v9
	v_add_u32_e32 v26, v26, v10
	v_cndmask_b32_e64 v10, v26, v10, s[4:5]
	v_cndmask_b32_e64 v9, v25, v9, s[4:5]
	v_cmp_lt_u32_e64 s[4:5], 1, v12
	v_mov_b32_dpp v26, v10 row_shr:2 row_mask:0xf bank_mask:0xf
	v_mov_b32_dpp v25, v9 row_shr:2 row_mask:0xf bank_mask:0xf
	v_cndmask_b32_e64 v12, 0, v25, s[4:5]
	v_cndmask_b32_e64 v25, 0, v26, s[4:5]
	v_add_u32_e32 v10, v25, v10
	v_add_u32_e32 v9, v12, v9
	ds_write_b64 v11, v[9:10]
.LBB150_146:
	s_or_b64 exec, exec, s[6:7]
	v_cmp_lt_u32_e64 s[4:5], 63, v0
	v_mov_b32_e32 v11, 0
	v_mov_b32_e32 v9, 0
	;; [unrolled: 1-line block ×3, first 2 shown]
	s_waitcnt lgkmcnt(0)
	s_barrier
	s_and_saveexec_b64 s[6:7], s[4:5]
; %bb.147:
	v_lshl_add_u32 v9, v69, 3, -8
	ds_read_b64 v[9:10], v9
; %bb.148:
	s_or_b64 exec, exec, s[6:7]
	v_cndmask_b32_e32 v6, v6, v8, vcc
	v_cndmask_b32_e32 v5, v5, v7, vcc
	v_subrev_co_u32_e32 v7, vcc, 1, v68
	v_and_b32_e32 v8, 64, v68
	v_cmp_lt_i32_e64 s[4:5], v7, v8
	v_cndmask_b32_e64 v7, v7, v68, s[4:5]
	s_waitcnt lgkmcnt(0)
	v_add_u32_e32 v5, v10, v5
	v_add_u32_e32 v6, v9, v6
	v_lshlrev_b32_e32 v7, 2, v7
	ds_bpermute_b32 v12, v7, v6
	ds_bpermute_b32 v25, v7, v5
	ds_read_b64 v[5:6], v11 offset:24
	s_and_saveexec_b64 s[4:5], s[0:1]
	s_cbranch_execz .LBB150_150
; %bb.149:
	s_add_u32 s6, s54, 0x400
	s_addc_u32 s7, s55, 0
	v_mov_b32_e32 v27, s7
	v_mov_b32_e32 v7, 2
	;; [unrolled: 1-line block ×4, first 2 shown]
	s_waitcnt lgkmcnt(0)
	;;#ASMSTART
	global_store_dwordx4 v[26:27], v[5:8] off	
s_waitcnt vmcnt(0)
	;;#ASMEND
.LBB150_150:
	s_or_b64 exec, exec, s[4:5]
	s_waitcnt lgkmcnt(2)
	v_cndmask_b32_e32 v7, v12, v9, vcc
	s_waitcnt lgkmcnt(1)
	v_cndmask_b32_e32 v8, v25, v10, vcc
	v_cndmask_b32_e64 v12, v8, 0, s[0:1]
	v_cndmask_b32_e64 v25, v7, 0, s[0:1]
	v_mov_b32_e32 v8, 0
	v_mov_b32_e32 v7, 0
	s_waitcnt lgkmcnt(0)
	s_barrier
.LBB150_151:
	s_waitcnt lgkmcnt(0)
	v_add_co_u32_e32 v1, vcc, v1, v7
	v_addc_co_u32_e32 v2, vcc, 0, v2, vcc
	v_sub_co_u32_e32 v29, vcc, v3, v5
	v_add_u32_e32 v32, v12, v54
	v_subbrev_co_u32_e32 v30, vcc, 0, v4, vcc
	v_lshlrev_b32_e32 v72, 1, v5
	v_sub_u32_e32 v12, v12, v8
	v_lshrrev_b32_e32 v28, 8, v42
	v_add_u32_e32 v31, v25, v53
	v_add_co_u32_e32 v29, vcc, v29, v8
	v_add_u32_e32 v73, v72, v6
	v_sub_u32_e32 v25, v25, v7
	v_add_u32_e32 v12, v12, v5
	v_addc_co_u32_e32 v30, vcc, 0, v30, vcc
	v_add_u32_e32 v35, v73, v35
	v_and_b32_e32 v28, 1, v28
	v_add_u32_e32 v74, v25, v12
	v_and_b32_e32 v73, 1, v36
	v_sub_u32_e32 v74, v35, v74
	v_cmp_eq_u32_e32 vcc, 1, v28
	v_cndmask_b32_e32 v12, v74, v12, vcc
	v_cmp_eq_u32_e32 vcc, 1, v73
	v_cndmask_b32_e32 v12, v12, v25, vcc
	v_lshlrev_b32_e32 v12, 2, v12
	v_sub_u32_e32 v25, v32, v8
	v_lshrrev_b32_e32 v27, 8, v36
	ds_write_b32 v12, v23
	v_sub_u32_e32 v12, v31, v7
	v_add_u32_e32 v25, v25, v5
	v_add_u32_e32 v50, v31, v50
	v_and_b32_e32 v23, 1, v27
	v_mov_b32_e32 v27, 1
	v_add_u32_e32 v31, v25, v12
	v_and_b32_sdwa v28, v27, v42 dst_sel:DWORD dst_unused:UNUSED_PAD src0_sel:DWORD src1_sel:WORD_1
	v_sub_u32_e32 v31, v35, v31
	v_add_u32_e32 v31, 1, v31
	v_cmp_eq_u32_e32 vcc, 1, v28
	v_cndmask_b32_e32 v25, v31, v25, vcc
	v_cmp_eq_u32_e32 vcc, 1, v23
	v_cndmask_b32_e32 v12, v25, v12, vcc
	v_add_u32_e32 v53, v32, v62
	v_lshlrev_b32_e32 v12, 2, v12
	ds_write_b32 v12, v24
	v_sub_u32_e32 v24, v53, v8
	v_sub_u32_e32 v12, v50, v7
	v_add_u32_e32 v24, v24, v5
	v_add_u32_e32 v28, v24, v12
	v_and_b32_e32 v25, 1, v49
	v_sub_u32_e32 v28, v35, v28
	v_and_b32_sdwa v23, v27, v36 dst_sel:DWORD dst_unused:UNUSED_PAD src0_sel:DWORD src1_sel:WORD_1
	v_add_u32_e32 v28, 2, v28
	v_cmp_eq_u32_e32 vcc, 1, v25
	v_cndmask_b32_e32 v24, v28, v24, vcc
	v_cmp_eq_u32_e32 vcc, 1, v23
	v_add_u32_e32 v54, v50, v55
	v_add_u32_e32 v55, v53, v49
	v_cndmask_b32_e32 v12, v24, v12, vcc
	v_lshlrev_b32_e32 v12, 2, v12
	v_sub_u32_e32 v23, v55, v8
	ds_write_b32 v12, v21
	v_sub_u32_e32 v12, v54, v7
	v_add_u32_e32 v23, v23, v5
	v_add_u32_e32 v25, v12, v23
	v_and_b32_e32 v24, 1, v37
	v_sub_u32_e32 v25, v35, v25
	v_and_b32_e32 v21, 1, v48
	v_add_u32_e32 v25, 3, v25
	v_cmp_eq_u32_e32 vcc, 1, v24
	v_cndmask_b32_e32 v23, v25, v23, vcc
	v_cmp_eq_u32_e32 vcc, 1, v21
	v_cndmask_b32_e32 v12, v23, v12, vcc
	v_add_u32_e32 v62, v55, v63
	v_lshlrev_b32_e32 v12, 2, v12
	v_add_u32_e32 v63, v54, v48
	ds_write_b32 v12, v22
	v_sub_u32_e32 v22, v62, v8
	v_sub_u32_e32 v12, v63, v7
	v_add_u32_e32 v22, v22, v5
	v_lshrrev_b32_e32 v26, 8, v37
	v_add_u32_e32 v24, v12, v22
	v_and_b32_e32 v23, 1, v26
	v_sub_u32_e32 v24, v35, v24
	v_and_b32_e32 v21, 1, v38
	v_add_u32_e32 v24, 4, v24
	v_cmp_eq_u32_e32 vcc, 1, v23
	v_cndmask_b32_e32 v22, v24, v22, vcc
	v_cmp_eq_u32_e32 vcc, 1, v21
	v_cndmask_b32_e32 v12, v22, v12, vcc
	v_add_u32_e32 v57, v62, v57
	v_lshlrev_b32_e32 v12, 2, v12
	v_add_u32_e32 v56, v63, v56
	ds_write_b32 v12, v19
	v_sub_u32_e32 v19, v57, v8
	v_sub_u32_e32 v12, v56, v7
	v_add_u32_e32 v19, v19, v5
	v_add_u32_e32 v22, v12, v19
	v_lshrrev_b32_e32 v11, 8, v38
	v_and_b32_sdwa v21, v27, v37 dst_sel:DWORD dst_unused:UNUSED_PAD src0_sel:DWORD src1_sel:WORD_1
	v_sub_u32_e32 v22, v35, v22
	v_and_b32_e32 v11, 1, v11
	v_add_u32_e32 v22, 5, v22
	v_cmp_eq_u32_e32 vcc, 1, v21
	v_cndmask_b32_e32 v19, v22, v19, vcc
	v_cmp_eq_u32_e32 vcc, 1, v11
	v_add_u32_e32 v64, v57, v64
	v_cndmask_b32_e32 v11, v19, v12, vcc
	v_add_u32_e32 v51, v56, v51
	v_lshlrev_b32_e32 v11, 2, v11
	v_sub_u32_e32 v19, v64, v8
	ds_write_b32 v11, v20
	v_sub_u32_e32 v11, v51, v7
	v_add_u32_e32 v19, v19, v5
	v_add_u32_e32 v21, v11, v19
	v_and_b32_e32 v20, 1, v47
	v_sub_u32_e32 v21, v35, v21
	v_and_b32_sdwa v12, v27, v38 dst_sel:DWORD dst_unused:UNUSED_PAD src0_sel:DWORD src1_sel:WORD_1
	v_add_u32_e32 v21, 6, v21
	v_cmp_eq_u32_e32 vcc, 1, v20
	v_cndmask_b32_e32 v19, v21, v19, vcc
	v_cmp_eq_u32_e32 vcc, 1, v12
	v_cndmask_b32_e32 v11, v19, v11, vcc
	v_add_u32_e32 v68, v64, v47
	v_lshlrev_b32_e32 v11, 2, v11
	v_add_u32_e32 v58, v51, v58
	ds_write_b32 v11, v17
	v_sub_u32_e32 v17, v68, v8
	v_sub_u32_e32 v11, v58, v7
	v_add_u32_e32 v17, v17, v5
	v_add_u32_e32 v20, v11, v17
	v_and_b32_e32 v19, 1, v39
	v_sub_u32_e32 v20, v35, v20
	v_and_b32_e32 v12, 1, v46
	v_add_u32_e32 v20, 7, v20
	v_cmp_eq_u32_e32 vcc, 1, v19
	v_cndmask_b32_e32 v17, v20, v17, vcc
	v_cmp_eq_u32_e32 vcc, 1, v12
	v_add_u32_e32 v65, v68, v65
	v_cndmask_b32_e32 v11, v17, v11, vcc
	v_add_u32_e32 v69, v58, v46
	v_lshlrev_b32_e32 v11, 2, v11
	v_sub_u32_e32 v17, v65, v8
	ds_write_b32 v11, v18
	v_sub_u32_e32 v11, v69, v7
	v_add_u32_e32 v17, v17, v5
	v_lshrrev_b32_e32 v10, 8, v39
	v_add_u32_e32 v18, v11, v17
	v_and_b32_e32 v10, 1, v10
	v_sub_u32_e32 v18, v35, v18
	v_and_b32_e32 v12, 1, v41
	v_add_u32_e32 v18, 8, v18
	v_cmp_eq_u32_e32 vcc, 1, v10
	v_cndmask_b32_e32 v10, v18, v17, vcc
	v_cmp_eq_u32_e32 vcc, 1, v12
	v_add_u32_e32 v60, v65, v60
	v_cndmask_b32_e32 v10, v10, v11, vcc
	v_add_u32_e32 v59, v69, v59
	v_lshlrev_b32_e32 v10, 2, v10
	v_sub_u32_e32 v11, v60, v8
	ds_write_b32 v10, v15
	v_sub_u32_e32 v10, v59, v7
	v_add_u32_e32 v11, v11, v5
	v_add_u32_e32 v15, v10, v11
	v_lshrrev_b32_e32 v9, 8, v41
	v_and_b32_sdwa v12, v27, v39 dst_sel:DWORD dst_unused:UNUSED_PAD src0_sel:DWORD src1_sel:WORD_1
	v_sub_u32_e32 v15, v35, v15
	v_and_b32_e32 v9, 1, v9
	v_add_u32_e32 v15, 9, v15
	v_cmp_eq_u32_e32 vcc, 1, v12
	v_cndmask_b32_e32 v11, v15, v11, vcc
	v_cmp_eq_u32_e32 vcc, 1, v9
	v_add_u32_e32 v66, v60, v66
	v_cndmask_b32_e32 v9, v11, v10, vcc
	v_add_u32_e32 v52, v59, v52
	v_lshlrev_b32_e32 v9, 2, v9
	v_sub_u32_e32 v11, v66, v8
	ds_write_b32 v9, v16
	v_sub_u32_e32 v9, v52, v7
	v_add_u32_e32 v11, v11, v5
	v_add_u32_e32 v15, v9, v11
	v_and_b32_e32 v12, 1, v45
	v_sub_u32_e32 v15, v35, v15
	v_and_b32_sdwa v10, v27, v41 dst_sel:DWORD dst_unused:UNUSED_PAD src0_sel:DWORD src1_sel:WORD_1
	v_add_u32_e32 v15, 10, v15
	v_cmp_eq_u32_e32 vcc, 1, v12
	v_cndmask_b32_e32 v11, v15, v11, vcc
	v_cmp_eq_u32_e32 vcc, 1, v10
	v_add_u32_e32 v70, v66, v45
	v_cndmask_b32_e32 v9, v11, v9, vcc
	v_add_u32_e32 v61, v52, v61
	v_lshlrev_b32_e32 v9, 2, v9
	v_sub_u32_e32 v11, v70, v8
	ds_write_b32 v9, v13
	v_sub_u32_e32 v9, v61, v7
	v_add_u32_e32 v11, v11, v5
	v_add_u32_e32 v13, v9, v11
	v_and_b32_e32 v12, 1, v40
	v_sub_u32_e32 v13, v35, v13
	v_add_u32_e32 v67, v70, v67
	v_and_b32_e32 v10, 1, v44
	v_add_u32_e32 v13, 11, v13
	v_cmp_eq_u32_e32 vcc, 1, v12
	v_add_u32_e32 v71, v61, v44
	v_cndmask_b32_e32 v11, v13, v11, vcc
	v_cmp_eq_u32_e32 vcc, 1, v10
	v_sub_u32_e32 v10, v67, v8
	v_sub_u32_e32 v7, v71, v7
	v_add_u32_e32 v10, v10, v5
	v_cndmask_b32_e32 v9, v11, v9, vcc
	v_add_u32_e32 v12, v7, v10
	v_lshlrev_b32_e32 v9, 2, v9
	v_and_b32_e32 v11, 1, v43
	v_sub_u32_e32 v12, v35, v12
	ds_write_b32 v9, v14
	v_and_b32_e32 v9, 1, v42
	v_add_u32_e32 v12, 12, v12
	v_cmp_eq_u32_e32 vcc, 1, v11
	v_cndmask_b32_e32 v10, v12, v10, vcc
	v_cmp_eq_u32_e32 vcc, 1, v9
	v_cndmask_b32_e32 v7, v10, v7, vcc
	v_lshlrev_b32_e32 v7, 2, v7
	ds_write_b32 v7, v34
	v_mov_b32_e32 v7, s53
	v_add_co_u32_e32 v9, vcc, s52, v33
	v_addc_co_u32_e32 v10, vcc, 0, v7, vcc
	v_add_co_u32_e32 v7, vcc, v6, v72
	v_addc_co_u32_e64 v11, s[4:5], 0, 0, vcc
	v_add_co_u32_e32 v7, vcc, v7, v29
	v_addc_co_u32_e32 v11, vcc, v11, v30, vcc
	v_add_co_u32_e32 v7, vcc, v7, v1
	v_addc_co_u32_e32 v11, vcc, v11, v2, vcc
	v_sub_co_u32_e32 v7, vcc, v9, v7
	v_subb_co_u32_e32 v13, vcc, v10, v11, vcc
	v_lshlrev_b64 v[9:10], 2, v[29:30]
	v_mov_b32_e32 v11, s51
	v_add_co_u32_e32 v9, vcc, s50, v9
	v_addc_co_u32_e32 v10, vcc, v11, v10, vcc
	v_lshlrev_b64 v[11:12], 2, v[1:2]
	v_mov_b32_e32 v15, s49
	v_add_co_u32_e32 v11, vcc, s48, v11
	v_addc_co_u32_e32 v12, vcc, v15, v12, vcc
	v_add_u32_e32 v14, v5, v6
	s_and_b64 vcc, exec, s[2:3]
	s_mov_b64 s[2:3], -1
	s_waitcnt lgkmcnt(0)
	s_barrier
	s_cbranch_vccz .LBB150_155
; %bb.152:
	s_and_b64 vcc, exec, s[2:3]
	s_cbranch_vccnz .LBB150_260
.LBB150_153:
	s_and_b64 s[0:1], s[0:1], s[34:35]
	s_and_saveexec_b64 s[2:3], s[0:1]
	s_cbranch_execnz .LBB150_378
.LBB150_154:
	s_endpgm
.LBB150_155:
	v_cmp_ge_u32_e32 vcc, v0, v5
	s_and_saveexec_b64 s[2:3], vcc
	s_xor_b64 s[2:3], exec, s[2:3]
	s_cbranch_execz .LBB150_161
; %bb.156:
	v_cmp_ge_u32_e32 vcc, v0, v14
	s_and_saveexec_b64 s[4:5], vcc
	s_xor_b64 s[4:5], exec, s[4:5]
	s_cbranch_execz .LBB150_158
; %bb.157:
	v_add_co_u32_e32 v15, vcc, v7, v0
	v_lshlrev_b32_e32 v17, 2, v0
	v_addc_co_u32_e32 v16, vcc, 0, v13, vcc
	ds_read_b32 v17, v17
	v_lshlrev_b64 v[15:16], 2, v[15:16]
	v_mov_b32_e32 v18, s31
	v_sub_co_u32_e32 v15, vcc, s30, v15
	v_subb_co_u32_e32 v16, vcc, v18, v16, vcc
	s_waitcnt lgkmcnt(0)
	global_store_dword v[15:16], v17, off offset:-4
.LBB150_158:
	s_andn2_saveexec_b64 s[4:5], s[4:5]
	s_cbranch_execz .LBB150_160
; %bb.159:
	v_lshlrev_b32_e32 v15, 2, v0
	ds_read_b32 v16, v15
	v_readfirstlane_b32 s6, v9
	v_readfirstlane_b32 s7, v10
	s_waitcnt lgkmcnt(0)
	s_nop 3
	global_store_dword v15, v16, s[6:7]
.LBB150_160:
	s_or_b64 exec, exec, s[4:5]
.LBB150_161:
	s_andn2_saveexec_b64 s[2:3], s[2:3]
	s_cbranch_execz .LBB150_163
; %bb.162:
	v_lshlrev_b32_e32 v15, 2, v0
	ds_read_b32 v16, v15
	v_readfirstlane_b32 s4, v11
	v_readfirstlane_b32 s5, v12
	s_waitcnt lgkmcnt(0)
	s_nop 3
	global_store_dword v15, v16, s[4:5]
.LBB150_163:
	s_or_b64 exec, exec, s[2:3]
	v_or_b32_e32 v15, 0x100, v0
	v_cmp_ge_u32_e32 vcc, v15, v5
	s_and_saveexec_b64 s[2:3], vcc
	s_xor_b64 s[2:3], exec, s[2:3]
	s_cbranch_execz .LBB150_169
; %bb.164:
	v_cmp_ge_u32_e32 vcc, v15, v14
	s_and_saveexec_b64 s[4:5], vcc
	s_xor_b64 s[4:5], exec, s[4:5]
	s_cbranch_execz .LBB150_166
; %bb.165:
	v_lshlrev_b32_e32 v15, 2, v0
	ds_read_b32 v17, v15 offset:1024
	v_add_co_u32_e32 v15, vcc, v7, v0
	v_addc_co_u32_e32 v16, vcc, 0, v13, vcc
	v_lshlrev_b64 v[15:16], 2, v[15:16]
	v_mov_b32_e32 v18, s31
	v_sub_co_u32_e32 v15, vcc, s30, v15
	v_subb_co_u32_e32 v16, vcc, v18, v16, vcc
	s_waitcnt lgkmcnt(0)
	global_store_dword v[15:16], v17, off offset:-1028
.LBB150_166:
	s_andn2_saveexec_b64 s[4:5], s[4:5]
	s_cbranch_execz .LBB150_168
; %bb.167:
	v_lshlrev_b32_e32 v15, 2, v0
	ds_read_b32 v16, v15 offset:1024
	v_readfirstlane_b32 s6, v9
	v_readfirstlane_b32 s7, v10
	s_waitcnt lgkmcnt(0)
	s_nop 3
	global_store_dword v15, v16, s[6:7] offset:1024
.LBB150_168:
	s_or_b64 exec, exec, s[4:5]
.LBB150_169:
	s_andn2_saveexec_b64 s[2:3], s[2:3]
	s_cbranch_execz .LBB150_171
; %bb.170:
	v_lshlrev_b32_e32 v15, 2, v0
	ds_read_b32 v16, v15 offset:1024
	v_readfirstlane_b32 s4, v11
	v_readfirstlane_b32 s5, v12
	s_waitcnt lgkmcnt(0)
	s_nop 3
	global_store_dword v15, v16, s[4:5] offset:1024
.LBB150_171:
	s_or_b64 exec, exec, s[2:3]
	v_or_b32_e32 v15, 0x200, v0
	v_cmp_ge_u32_e32 vcc, v15, v5
	s_and_saveexec_b64 s[2:3], vcc
	s_xor_b64 s[2:3], exec, s[2:3]
	s_cbranch_execz .LBB150_177
; %bb.172:
	v_cmp_ge_u32_e32 vcc, v15, v14
	s_and_saveexec_b64 s[4:5], vcc
	s_xor_b64 s[4:5], exec, s[4:5]
	s_cbranch_execz .LBB150_174
; %bb.173:
	v_lshlrev_b32_e32 v15, 2, v0
	ds_read_b32 v17, v15 offset:2048
	v_add_co_u32_e32 v15, vcc, v7, v0
	v_addc_co_u32_e32 v16, vcc, 0, v13, vcc
	v_lshlrev_b64 v[15:16], 2, v[15:16]
	v_mov_b32_e32 v18, s31
	v_sub_co_u32_e32 v15, vcc, s30, v15
	v_subb_co_u32_e32 v16, vcc, v18, v16, vcc
	s_waitcnt lgkmcnt(0)
	global_store_dword v[15:16], v17, off offset:-2052
.LBB150_174:
	s_andn2_saveexec_b64 s[4:5], s[4:5]
	s_cbranch_execz .LBB150_176
; %bb.175:
	v_lshlrev_b32_e32 v15, 2, v0
	ds_read_b32 v16, v15 offset:2048
	v_readfirstlane_b32 s6, v9
	v_readfirstlane_b32 s7, v10
	s_waitcnt lgkmcnt(0)
	s_nop 3
	global_store_dword v15, v16, s[6:7] offset:2048
.LBB150_176:
	s_or_b64 exec, exec, s[4:5]
.LBB150_177:
	s_andn2_saveexec_b64 s[2:3], s[2:3]
	s_cbranch_execz .LBB150_179
; %bb.178:
	v_lshlrev_b32_e32 v15, 2, v0
	ds_read_b32 v16, v15 offset:2048
	v_readfirstlane_b32 s4, v11
	v_readfirstlane_b32 s5, v12
	s_waitcnt lgkmcnt(0)
	s_nop 3
	global_store_dword v15, v16, s[4:5] offset:2048
.LBB150_179:
	;; [unrolled: 47-line block ×3, first 2 shown]
	s_or_b64 exec, exec, s[2:3]
	v_or_b32_e32 v15, 0x400, v0
	v_cmp_ge_u32_e32 vcc, v15, v5
	s_and_saveexec_b64 s[2:3], vcc
	s_xor_b64 s[2:3], exec, s[2:3]
	s_cbranch_execz .LBB150_193
; %bb.188:
	v_cmp_ge_u32_e32 vcc, v15, v14
	s_and_saveexec_b64 s[4:5], vcc
	s_xor_b64 s[4:5], exec, s[4:5]
	s_cbranch_execz .LBB150_190
; %bb.189:
	v_lshlrev_b32_e32 v15, 2, v0
	ds_read_b32 v17, v15 offset:4096
	v_add_co_u32_e32 v15, vcc, v7, v0
	v_addc_co_u32_e32 v16, vcc, 0, v13, vcc
	v_lshlrev_b64 v[15:16], 2, v[15:16]
	v_mov_b32_e32 v18, s31
	v_sub_co_u32_e32 v15, vcc, s30, v15
	v_subb_co_u32_e32 v16, vcc, v18, v16, vcc
	v_add_co_u32_e32 v15, vcc, 0xfffff000, v15
	v_addc_co_u32_e32 v16, vcc, -1, v16, vcc
	s_waitcnt lgkmcnt(0)
	global_store_dword v[15:16], v17, off offset:-4
                                        ; implicit-def: $vgpr15
.LBB150_190:
	s_andn2_saveexec_b64 s[4:5], s[4:5]
	s_cbranch_execz .LBB150_192
; %bb.191:
	v_lshlrev_b32_e32 v16, 2, v0
	ds_read_b32 v16, v16 offset:4096
	v_lshlrev_b32_e32 v15, 2, v15
	v_readfirstlane_b32 s6, v9
	v_readfirstlane_b32 s7, v10
	s_waitcnt lgkmcnt(0)
	s_nop 3
	global_store_dword v15, v16, s[6:7]
.LBB150_192:
	s_or_b64 exec, exec, s[4:5]
                                        ; implicit-def: $vgpr15
.LBB150_193:
	s_andn2_saveexec_b64 s[2:3], s[2:3]
	s_cbranch_execz .LBB150_195
; %bb.194:
	v_lshlrev_b32_e32 v16, 2, v0
	ds_read_b32 v16, v16 offset:4096
	v_lshlrev_b32_e32 v15, 2, v15
	v_readfirstlane_b32 s4, v11
	v_readfirstlane_b32 s5, v12
	s_waitcnt lgkmcnt(0)
	s_nop 3
	global_store_dword v15, v16, s[4:5]
.LBB150_195:
	s_or_b64 exec, exec, s[2:3]
	v_or_b32_e32 v15, 0x500, v0
	v_cmp_ge_u32_e32 vcc, v15, v5
	s_and_saveexec_b64 s[2:3], vcc
	s_xor_b64 s[2:3], exec, s[2:3]
	s_cbranch_execz .LBB150_201
; %bb.196:
	v_cmp_ge_u32_e32 vcc, v15, v14
	s_and_saveexec_b64 s[4:5], vcc
	s_xor_b64 s[4:5], exec, s[4:5]
	s_cbranch_execz .LBB150_198
; %bb.197:
	v_add_co_u32_e32 v15, vcc, v7, v15
	v_lshlrev_b32_e32 v17, 2, v0
	v_addc_co_u32_e32 v16, vcc, 0, v13, vcc
	ds_read_b32 v17, v17 offset:5120
	v_lshlrev_b64 v[15:16], 2, v[15:16]
	v_mov_b32_e32 v18, s31
	v_sub_co_u32_e32 v15, vcc, s30, v15
	v_subb_co_u32_e32 v16, vcc, v18, v16, vcc
	s_waitcnt lgkmcnt(0)
	global_store_dword v[15:16], v17, off offset:-4
                                        ; implicit-def: $vgpr15
.LBB150_198:
	s_andn2_saveexec_b64 s[4:5], s[4:5]
	s_cbranch_execz .LBB150_200
; %bb.199:
	v_lshlrev_b32_e32 v16, 2, v0
	ds_read_b32 v16, v16 offset:5120
	v_lshlrev_b32_e32 v15, 2, v15
	v_readfirstlane_b32 s6, v9
	v_readfirstlane_b32 s7, v10
	s_waitcnt lgkmcnt(0)
	s_nop 3
	global_store_dword v15, v16, s[6:7]
.LBB150_200:
	s_or_b64 exec, exec, s[4:5]
                                        ; implicit-def: $vgpr15
.LBB150_201:
	s_andn2_saveexec_b64 s[2:3], s[2:3]
	s_cbranch_execz .LBB150_203
; %bb.202:
	v_lshlrev_b32_e32 v16, 2, v0
	ds_read_b32 v16, v16 offset:5120
	v_lshlrev_b32_e32 v15, 2, v15
	v_readfirstlane_b32 s4, v11
	v_readfirstlane_b32 s5, v12
	s_waitcnt lgkmcnt(0)
	s_nop 3
	global_store_dword v15, v16, s[4:5]
.LBB150_203:
	s_or_b64 exec, exec, s[2:3]
	v_or_b32_e32 v15, 0x600, v0
	v_cmp_ge_u32_e32 vcc, v15, v5
	s_and_saveexec_b64 s[2:3], vcc
	s_xor_b64 s[2:3], exec, s[2:3]
	s_cbranch_execz .LBB150_209
; %bb.204:
	v_cmp_ge_u32_e32 vcc, v15, v14
	s_and_saveexec_b64 s[4:5], vcc
	s_xor_b64 s[4:5], exec, s[4:5]
	s_cbranch_execz .LBB150_206
; %bb.205:
	v_add_co_u32_e32 v15, vcc, v7, v15
	v_lshlrev_b32_e32 v17, 2, v0
	v_addc_co_u32_e32 v16, vcc, 0, v13, vcc
	ds_read_b32 v17, v17 offset:6144
	v_lshlrev_b64 v[15:16], 2, v[15:16]
	v_mov_b32_e32 v18, s31
	v_sub_co_u32_e32 v15, vcc, s30, v15
	v_subb_co_u32_e32 v16, vcc, v18, v16, vcc
	s_waitcnt lgkmcnt(0)
	global_store_dword v[15:16], v17, off offset:-4
                                        ; implicit-def: $vgpr15
.LBB150_206:
	s_andn2_saveexec_b64 s[4:5], s[4:5]
	s_cbranch_execz .LBB150_208
; %bb.207:
	v_lshlrev_b32_e32 v16, 2, v0
	ds_read_b32 v16, v16 offset:6144
	v_lshlrev_b32_e32 v15, 2, v15
	v_readfirstlane_b32 s6, v9
	v_readfirstlane_b32 s7, v10
	s_waitcnt lgkmcnt(0)
	s_nop 3
	global_store_dword v15, v16, s[6:7]
.LBB150_208:
	s_or_b64 exec, exec, s[4:5]
                                        ; implicit-def: $vgpr15
.LBB150_209:
	;; [unrolled: 51-line block ×8, first 2 shown]
	s_andn2_saveexec_b64 s[2:3], s[2:3]
	s_cbranch_execz .LBB150_259
; %bb.258:
	v_lshlrev_b32_e32 v16, 2, v0
	ds_read_b32 v16, v16 offset:12288
	v_lshlrev_b32_e32 v15, 2, v15
	v_readfirstlane_b32 s4, v11
	v_readfirstlane_b32 s5, v12
	s_waitcnt lgkmcnt(0)
	s_nop 3
	global_store_dword v15, v16, s[4:5]
.LBB150_259:
	s_or_b64 exec, exec, s[2:3]
	s_branch .LBB150_153
.LBB150_260:
	v_cmp_gt_u32_e32 vcc, s16, v0
	s_and_saveexec_b64 s[2:3], vcc
	s_cbranch_execz .LBB150_269
; %bb.261:
	v_cmp_ge_u32_e32 vcc, v0, v5
	s_and_saveexec_b64 s[4:5], vcc
	s_xor_b64 s[4:5], exec, s[4:5]
	s_cbranch_execz .LBB150_267
; %bb.262:
	v_cmp_ge_u32_e32 vcc, v0, v14
	s_and_saveexec_b64 s[6:7], vcc
	s_xor_b64 s[6:7], exec, s[6:7]
	s_cbranch_execz .LBB150_264
; %bb.263:
	v_add_co_u32_e32 v15, vcc, v7, v0
	v_lshlrev_b32_e32 v17, 2, v0
	v_addc_co_u32_e32 v16, vcc, 0, v13, vcc
	ds_read_b32 v17, v17
	v_lshlrev_b64 v[15:16], 2, v[15:16]
	v_mov_b32_e32 v18, s31
	v_sub_co_u32_e32 v15, vcc, s30, v15
	v_subb_co_u32_e32 v16, vcc, v18, v16, vcc
	s_waitcnt lgkmcnt(0)
	global_store_dword v[15:16], v17, off offset:-4
.LBB150_264:
	s_andn2_saveexec_b64 s[6:7], s[6:7]
	s_cbranch_execz .LBB150_266
; %bb.265:
	v_lshlrev_b32_e32 v15, 2, v0
	ds_read_b32 v16, v15
	v_readfirstlane_b32 s8, v9
	v_readfirstlane_b32 s9, v10
	s_waitcnt lgkmcnt(0)
	s_nop 3
	global_store_dword v15, v16, s[8:9]
.LBB150_266:
	s_or_b64 exec, exec, s[6:7]
.LBB150_267:
	s_andn2_saveexec_b64 s[4:5], s[4:5]
	s_cbranch_execz .LBB150_269
; %bb.268:
	v_lshlrev_b32_e32 v15, 2, v0
	ds_read_b32 v16, v15
	v_readfirstlane_b32 s4, v11
	v_readfirstlane_b32 s5, v12
	s_waitcnt lgkmcnt(0)
	s_nop 3
	global_store_dword v15, v16, s[4:5]
.LBB150_269:
	s_or_b64 exec, exec, s[2:3]
	v_or_b32_e32 v15, 0x100, v0
	v_cmp_gt_u32_e32 vcc, s16, v15
	s_and_saveexec_b64 s[2:3], vcc
	s_cbranch_execz .LBB150_278
; %bb.270:
	v_cmp_ge_u32_e32 vcc, v15, v5
	s_and_saveexec_b64 s[4:5], vcc
	s_xor_b64 s[4:5], exec, s[4:5]
	s_cbranch_execz .LBB150_276
; %bb.271:
	v_cmp_ge_u32_e32 vcc, v15, v14
	s_and_saveexec_b64 s[6:7], vcc
	s_xor_b64 s[6:7], exec, s[6:7]
	s_cbranch_execz .LBB150_273
; %bb.272:
	v_lshlrev_b32_e32 v15, 2, v0
	ds_read_b32 v17, v15 offset:1024
	v_add_co_u32_e32 v15, vcc, v7, v0
	v_addc_co_u32_e32 v16, vcc, 0, v13, vcc
	v_lshlrev_b64 v[15:16], 2, v[15:16]
	v_mov_b32_e32 v18, s31
	v_sub_co_u32_e32 v15, vcc, s30, v15
	v_subb_co_u32_e32 v16, vcc, v18, v16, vcc
	s_waitcnt lgkmcnt(0)
	global_store_dword v[15:16], v17, off offset:-1028
.LBB150_273:
	s_andn2_saveexec_b64 s[6:7], s[6:7]
	s_cbranch_execz .LBB150_275
; %bb.274:
	v_lshlrev_b32_e32 v15, 2, v0
	ds_read_b32 v16, v15 offset:1024
	v_readfirstlane_b32 s8, v9
	v_readfirstlane_b32 s9, v10
	s_waitcnt lgkmcnt(0)
	s_nop 3
	global_store_dword v15, v16, s[8:9] offset:1024
.LBB150_275:
	s_or_b64 exec, exec, s[6:7]
.LBB150_276:
	s_andn2_saveexec_b64 s[4:5], s[4:5]
	s_cbranch_execz .LBB150_278
; %bb.277:
	v_lshlrev_b32_e32 v15, 2, v0
	ds_read_b32 v16, v15 offset:1024
	v_readfirstlane_b32 s4, v11
	v_readfirstlane_b32 s5, v12
	s_waitcnt lgkmcnt(0)
	s_nop 3
	global_store_dword v15, v16, s[4:5] offset:1024
.LBB150_278:
	s_or_b64 exec, exec, s[2:3]
	v_or_b32_e32 v15, 0x200, v0
	v_cmp_gt_u32_e32 vcc, s16, v15
	s_and_saveexec_b64 s[2:3], vcc
	s_cbranch_execz .LBB150_287
; %bb.279:
	v_cmp_ge_u32_e32 vcc, v15, v5
	s_and_saveexec_b64 s[4:5], vcc
	s_xor_b64 s[4:5], exec, s[4:5]
	s_cbranch_execz .LBB150_285
; %bb.280:
	v_cmp_ge_u32_e32 vcc, v15, v14
	s_and_saveexec_b64 s[6:7], vcc
	s_xor_b64 s[6:7], exec, s[6:7]
	s_cbranch_execz .LBB150_282
; %bb.281:
	v_lshlrev_b32_e32 v15, 2, v0
	ds_read_b32 v17, v15 offset:2048
	v_add_co_u32_e32 v15, vcc, v7, v0
	v_addc_co_u32_e32 v16, vcc, 0, v13, vcc
	v_lshlrev_b64 v[15:16], 2, v[15:16]
	v_mov_b32_e32 v18, s31
	v_sub_co_u32_e32 v15, vcc, s30, v15
	v_subb_co_u32_e32 v16, vcc, v18, v16, vcc
	s_waitcnt lgkmcnt(0)
	global_store_dword v[15:16], v17, off offset:-2052
.LBB150_282:
	s_andn2_saveexec_b64 s[6:7], s[6:7]
	s_cbranch_execz .LBB150_284
; %bb.283:
	v_lshlrev_b32_e32 v15, 2, v0
	ds_read_b32 v16, v15 offset:2048
	v_readfirstlane_b32 s8, v9
	v_readfirstlane_b32 s9, v10
	s_waitcnt lgkmcnt(0)
	s_nop 3
	global_store_dword v15, v16, s[8:9] offset:2048
.LBB150_284:
	s_or_b64 exec, exec, s[6:7]
.LBB150_285:
	s_andn2_saveexec_b64 s[4:5], s[4:5]
	s_cbranch_execz .LBB150_287
; %bb.286:
	v_lshlrev_b32_e32 v15, 2, v0
	ds_read_b32 v16, v15 offset:2048
	v_readfirstlane_b32 s4, v11
	v_readfirstlane_b32 s5, v12
	s_waitcnt lgkmcnt(0)
	s_nop 3
	global_store_dword v15, v16, s[4:5] offset:2048
.LBB150_287:
	;; [unrolled: 51-line block ×3, first 2 shown]
	s_or_b64 exec, exec, s[2:3]
	v_or_b32_e32 v15, 0x400, v0
	v_cmp_gt_u32_e32 vcc, s16, v15
	s_and_saveexec_b64 s[2:3], vcc
	s_cbranch_execz .LBB150_305
; %bb.297:
	v_cmp_ge_u32_e32 vcc, v15, v5
	s_and_saveexec_b64 s[4:5], vcc
	s_xor_b64 s[4:5], exec, s[4:5]
	s_cbranch_execz .LBB150_303
; %bb.298:
	v_cmp_ge_u32_e32 vcc, v15, v14
	s_and_saveexec_b64 s[6:7], vcc
	s_xor_b64 s[6:7], exec, s[6:7]
	s_cbranch_execz .LBB150_300
; %bb.299:
	v_lshlrev_b32_e32 v15, 2, v0
	ds_read_b32 v17, v15 offset:4096
	v_add_co_u32_e32 v15, vcc, v7, v0
	v_addc_co_u32_e32 v16, vcc, 0, v13, vcc
	v_lshlrev_b64 v[15:16], 2, v[15:16]
	v_mov_b32_e32 v18, s31
	v_sub_co_u32_e32 v15, vcc, s30, v15
	v_subb_co_u32_e32 v16, vcc, v18, v16, vcc
	v_add_co_u32_e32 v15, vcc, 0xfffff000, v15
	v_addc_co_u32_e32 v16, vcc, -1, v16, vcc
	s_waitcnt lgkmcnt(0)
	global_store_dword v[15:16], v17, off offset:-4
                                        ; implicit-def: $vgpr15
.LBB150_300:
	s_andn2_saveexec_b64 s[6:7], s[6:7]
	s_cbranch_execz .LBB150_302
; %bb.301:
	v_lshlrev_b32_e32 v16, 2, v0
	ds_read_b32 v16, v16 offset:4096
	v_lshlrev_b32_e32 v15, 2, v15
	v_readfirstlane_b32 s8, v9
	v_readfirstlane_b32 s9, v10
	s_waitcnt lgkmcnt(0)
	s_nop 3
	global_store_dword v15, v16, s[8:9]
.LBB150_302:
	s_or_b64 exec, exec, s[6:7]
                                        ; implicit-def: $vgpr15
.LBB150_303:
	s_andn2_saveexec_b64 s[4:5], s[4:5]
	s_cbranch_execz .LBB150_305
; %bb.304:
	v_lshlrev_b32_e32 v16, 2, v0
	ds_read_b32 v16, v16 offset:4096
	v_lshlrev_b32_e32 v15, 2, v15
	v_readfirstlane_b32 s4, v11
	v_readfirstlane_b32 s5, v12
	s_waitcnt lgkmcnt(0)
	s_nop 3
	global_store_dword v15, v16, s[4:5]
.LBB150_305:
	s_or_b64 exec, exec, s[2:3]
	v_or_b32_e32 v15, 0x500, v0
	v_cmp_gt_u32_e32 vcc, s16, v15
	s_and_saveexec_b64 s[2:3], vcc
	s_cbranch_execz .LBB150_314
; %bb.306:
	v_cmp_ge_u32_e32 vcc, v15, v5
	s_and_saveexec_b64 s[4:5], vcc
	s_xor_b64 s[4:5], exec, s[4:5]
	s_cbranch_execz .LBB150_312
; %bb.307:
	v_cmp_ge_u32_e32 vcc, v15, v14
	s_and_saveexec_b64 s[6:7], vcc
	s_xor_b64 s[6:7], exec, s[6:7]
	s_cbranch_execz .LBB150_309
; %bb.308:
	v_add_co_u32_e32 v15, vcc, v7, v15
	v_lshlrev_b32_e32 v17, 2, v0
	v_addc_co_u32_e32 v16, vcc, 0, v13, vcc
	ds_read_b32 v17, v17 offset:5120
	v_lshlrev_b64 v[15:16], 2, v[15:16]
	v_mov_b32_e32 v18, s31
	v_sub_co_u32_e32 v15, vcc, s30, v15
	v_subb_co_u32_e32 v16, vcc, v18, v16, vcc
	s_waitcnt lgkmcnt(0)
	global_store_dword v[15:16], v17, off offset:-4
                                        ; implicit-def: $vgpr15
.LBB150_309:
	s_andn2_saveexec_b64 s[6:7], s[6:7]
	s_cbranch_execz .LBB150_311
; %bb.310:
	v_lshlrev_b32_e32 v16, 2, v0
	ds_read_b32 v16, v16 offset:5120
	v_lshlrev_b32_e32 v15, 2, v15
	v_readfirstlane_b32 s8, v9
	v_readfirstlane_b32 s9, v10
	s_waitcnt lgkmcnt(0)
	s_nop 3
	global_store_dword v15, v16, s[8:9]
.LBB150_311:
	s_or_b64 exec, exec, s[6:7]
                                        ; implicit-def: $vgpr15
.LBB150_312:
	s_andn2_saveexec_b64 s[4:5], s[4:5]
	s_cbranch_execz .LBB150_314
; %bb.313:
	v_lshlrev_b32_e32 v16, 2, v0
	ds_read_b32 v16, v16 offset:5120
	v_lshlrev_b32_e32 v15, 2, v15
	v_readfirstlane_b32 s4, v11
	v_readfirstlane_b32 s5, v12
	s_waitcnt lgkmcnt(0)
	s_nop 3
	global_store_dword v15, v16, s[4:5]
.LBB150_314:
	s_or_b64 exec, exec, s[2:3]
	v_or_b32_e32 v15, 0x600, v0
	v_cmp_gt_u32_e32 vcc, s16, v15
	s_and_saveexec_b64 s[2:3], vcc
	s_cbranch_execz .LBB150_323
; %bb.315:
	v_cmp_ge_u32_e32 vcc, v15, v5
	s_and_saveexec_b64 s[4:5], vcc
	s_xor_b64 s[4:5], exec, s[4:5]
	s_cbranch_execz .LBB150_321
; %bb.316:
	v_cmp_ge_u32_e32 vcc, v15, v14
	s_and_saveexec_b64 s[6:7], vcc
	s_xor_b64 s[6:7], exec, s[6:7]
	s_cbranch_execz .LBB150_318
; %bb.317:
	v_add_co_u32_e32 v15, vcc, v7, v15
	v_lshlrev_b32_e32 v17, 2, v0
	v_addc_co_u32_e32 v16, vcc, 0, v13, vcc
	ds_read_b32 v17, v17 offset:6144
	v_lshlrev_b64 v[15:16], 2, v[15:16]
	v_mov_b32_e32 v18, s31
	v_sub_co_u32_e32 v15, vcc, s30, v15
	v_subb_co_u32_e32 v16, vcc, v18, v16, vcc
	s_waitcnt lgkmcnt(0)
	global_store_dword v[15:16], v17, off offset:-4
                                        ; implicit-def: $vgpr15
.LBB150_318:
	s_andn2_saveexec_b64 s[6:7], s[6:7]
	s_cbranch_execz .LBB150_320
; %bb.319:
	v_lshlrev_b32_e32 v16, 2, v0
	ds_read_b32 v16, v16 offset:6144
	v_lshlrev_b32_e32 v15, 2, v15
	v_readfirstlane_b32 s8, v9
	v_readfirstlane_b32 s9, v10
	s_waitcnt lgkmcnt(0)
	s_nop 3
	global_store_dword v15, v16, s[8:9]
.LBB150_320:
	s_or_b64 exec, exec, s[6:7]
                                        ; implicit-def: $vgpr15
.LBB150_321:
	s_andn2_saveexec_b64 s[4:5], s[4:5]
	s_cbranch_execz .LBB150_323
; %bb.322:
	v_lshlrev_b32_e32 v16, 2, v0
	ds_read_b32 v16, v16 offset:6144
	v_lshlrev_b32_e32 v15, 2, v15
	v_readfirstlane_b32 s4, v11
	v_readfirstlane_b32 s5, v12
	s_waitcnt lgkmcnt(0)
	s_nop 3
	global_store_dword v15, v16, s[4:5]
.LBB150_323:
	;; [unrolled: 55-line block ×7, first 2 shown]
	s_or_b64 exec, exec, s[2:3]
	v_or_b32_e32 v15, 0xc00, v0
	v_cmp_gt_u32_e32 vcc, s16, v15
	s_and_saveexec_b64 s[2:3], vcc
	s_cbranch_execz .LBB150_377
; %bb.369:
	v_cmp_ge_u32_e32 vcc, v15, v5
	s_and_saveexec_b64 s[4:5], vcc
	s_xor_b64 s[4:5], exec, s[4:5]
	s_cbranch_execz .LBB150_375
; %bb.370:
	v_cmp_ge_u32_e32 vcc, v15, v14
	s_and_saveexec_b64 s[6:7], vcc
	s_xor_b64 s[6:7], exec, s[6:7]
	s_cbranch_execz .LBB150_372
; %bb.371:
	v_add_co_u32_e32 v9, vcc, v7, v15
	v_lshlrev_b32_e32 v0, 2, v0
	v_addc_co_u32_e32 v10, vcc, 0, v13, vcc
	ds_read_b32 v0, v0 offset:12288
	v_lshlrev_b64 v[9:10], 2, v[9:10]
	v_mov_b32_e32 v7, s31
	v_sub_co_u32_e32 v9, vcc, s30, v9
	v_subb_co_u32_e32 v10, vcc, v7, v10, vcc
	s_waitcnt lgkmcnt(0)
	global_store_dword v[9:10], v0, off offset:-4
                                        ; implicit-def: $vgpr0
                                        ; implicit-def: $vgpr15
                                        ; implicit-def: $vgpr9_vgpr10
.LBB150_372:
	s_andn2_saveexec_b64 s[6:7], s[6:7]
	s_cbranch_execz .LBB150_374
; %bb.373:
	v_lshlrev_b32_e32 v0, 2, v0
	ds_read_b32 v0, v0 offset:12288
	v_lshlrev_b32_e32 v7, 2, v15
	v_readfirstlane_b32 s8, v9
	v_readfirstlane_b32 s9, v10
	s_waitcnt lgkmcnt(0)
	s_nop 3
	global_store_dword v7, v0, s[8:9]
.LBB150_374:
	s_or_b64 exec, exec, s[6:7]
                                        ; implicit-def: $vgpr0
                                        ; implicit-def: $vgpr15
                                        ; implicit-def: $vgpr11_vgpr12
.LBB150_375:
	s_andn2_saveexec_b64 s[4:5], s[4:5]
	s_cbranch_execz .LBB150_377
; %bb.376:
	v_lshlrev_b32_e32 v0, 2, v0
	ds_read_b32 v0, v0 offset:12288
	v_lshlrev_b32_e32 v7, 2, v15
	v_readfirstlane_b32 s4, v11
	v_readfirstlane_b32 s5, v12
	s_waitcnt lgkmcnt(0)
	s_nop 3
	global_store_dword v7, v0, s[4:5]
.LBB150_377:
	s_or_b64 exec, exec, s[2:3]
	s_and_b64 s[0:1], s[0:1], s[34:35]
	s_and_saveexec_b64 s[2:3], s[0:1]
	s_cbranch_execz .LBB150_154
.LBB150_378:
	v_add_co_u32_e32 v3, vcc, v3, v6
	v_addc_co_u32_e32 v4, vcc, 0, v4, vcc
	v_add_co_u32_e32 v3, vcc, v3, v8
	v_addc_co_u32_e32 v4, vcc, 0, v4, vcc
	v_add_co_u32_e32 v1, vcc, v1, v5
	v_mov_b32_e32 v0, 0
	v_addc_co_u32_e32 v2, vcc, 0, v2, vcc
	global_store_dwordx4 v0, v[1:4], s[44:45]
	s_endpgm
.LBB150_379:
	s_add_i32 s14, s33, 64
	s_mov_b32 s15, 0
	s_lshl_b64 s[14:15], s[14:15], 4
	s_add_u32 s14, s54, s14
	s_addc_u32 s15, s55, s15
	v_mov_b32_e32 v28, s15
	v_add_u32_e32 v10, v8, v6
	v_add_u32_e32 v9, v7, v5
	v_mov_b32_e32 v11, 2
	v_mov_b32_e32 v12, 0
	;; [unrolled: 1-line block ×3, first 2 shown]
	;;#ASMSTART
	global_store_dwordx4 v[27:28], v[9:12] off	
s_waitcnt vmcnt(0)
	;;#ASMEND
	s_or_b64 exec, exec, s[12:13]
	s_and_saveexec_b64 s[12:13], s[8:9]
	s_cbranch_execz .LBB150_139
.LBB150_380:
	v_mov_b32_e32 v9, 0
	ds_write_b128 v9, v[5:8] offset:13312
	s_or_b64 exec, exec, s[12:13]
	s_and_b64 exec, exec, s[0:1]
	s_cbranch_execnz .LBB150_140
	s_branch .LBB150_141
	.section	.rodata,"a",@progbits
	.p2align	6, 0x0
	.amdhsa_kernel _ZN7rocprim17ROCPRIM_400000_NS6detail17trampoline_kernelINS0_13select_configILj256ELj13ELNS0_17block_load_methodE3ELS4_3ELS4_3ELNS0_20block_scan_algorithmE0ELj4294967295EEENS1_25partition_config_selectorILNS1_17partition_subalgoE4EjNS0_10empty_typeEbEEZZNS1_14partition_implILS8_4ELb0ES6_15HIP_vector_typeIjLj2EENS0_17counting_iteratorIjlEEPS9_SG_NS0_5tupleIJPjSI_NS0_16reverse_iteratorISI_EEEEENSH_IJSG_SG_SG_EEES9_SI_JZNS1_25segmented_radix_sort_implINS0_14default_configELb0EPKhPhPKlPlN2at6native12_GLOBAL__N_18offset_tEEE10hipError_tPvRmT1_PNSt15iterator_traitsIS12_E10value_typeET2_T3_PNS13_IS18_E10value_typeET4_jRbjT5_S1E_jjP12ihipStream_tbEUljE_ZNSN_ISO_Lb0ESQ_SR_ST_SU_SY_EESZ_S10_S11_S12_S16_S17_S18_S1B_S1C_jS1D_jS1E_S1E_jjS1G_bEUljE0_EEESZ_S10_S11_S18_S1C_S1E_T6_T7_T9_mT8_S1G_bDpT10_ENKUlT_T0_E_clISt17integral_constantIbLb0EES1T_IbLb1EEEEDaS1P_S1Q_EUlS1P_E_NS1_11comp_targetILNS1_3genE2ELNS1_11target_archE906ELNS1_3gpuE6ELNS1_3repE0EEENS1_30default_config_static_selectorELNS0_4arch9wavefront6targetE1EEEvS12_
		.amdhsa_group_segment_fixed_size 13328
		.amdhsa_private_segment_fixed_size 0
		.amdhsa_kernarg_size 184
		.amdhsa_user_sgpr_count 6
		.amdhsa_user_sgpr_private_segment_buffer 1
		.amdhsa_user_sgpr_dispatch_ptr 0
		.amdhsa_user_sgpr_queue_ptr 0
		.amdhsa_user_sgpr_kernarg_segment_ptr 1
		.amdhsa_user_sgpr_dispatch_id 0
		.amdhsa_user_sgpr_flat_scratch_init 0
		.amdhsa_user_sgpr_private_segment_size 0
		.amdhsa_uses_dynamic_stack 0
		.amdhsa_system_sgpr_private_segment_wavefront_offset 0
		.amdhsa_system_sgpr_workgroup_id_x 1
		.amdhsa_system_sgpr_workgroup_id_y 0
		.amdhsa_system_sgpr_workgroup_id_z 0
		.amdhsa_system_sgpr_workgroup_info 0
		.amdhsa_system_vgpr_workitem_id 0
		.amdhsa_next_free_vgpr 91
		.amdhsa_next_free_sgpr 98
		.amdhsa_reserve_vcc 1
		.amdhsa_reserve_flat_scratch 0
		.amdhsa_float_round_mode_32 0
		.amdhsa_float_round_mode_16_64 0
		.amdhsa_float_denorm_mode_32 3
		.amdhsa_float_denorm_mode_16_64 3
		.amdhsa_dx10_clamp 1
		.amdhsa_ieee_mode 1
		.amdhsa_fp16_overflow 0
		.amdhsa_exception_fp_ieee_invalid_op 0
		.amdhsa_exception_fp_denorm_src 0
		.amdhsa_exception_fp_ieee_div_zero 0
		.amdhsa_exception_fp_ieee_overflow 0
		.amdhsa_exception_fp_ieee_underflow 0
		.amdhsa_exception_fp_ieee_inexact 0
		.amdhsa_exception_int_div_zero 0
	.end_amdhsa_kernel
	.section	.text._ZN7rocprim17ROCPRIM_400000_NS6detail17trampoline_kernelINS0_13select_configILj256ELj13ELNS0_17block_load_methodE3ELS4_3ELS4_3ELNS0_20block_scan_algorithmE0ELj4294967295EEENS1_25partition_config_selectorILNS1_17partition_subalgoE4EjNS0_10empty_typeEbEEZZNS1_14partition_implILS8_4ELb0ES6_15HIP_vector_typeIjLj2EENS0_17counting_iteratorIjlEEPS9_SG_NS0_5tupleIJPjSI_NS0_16reverse_iteratorISI_EEEEENSH_IJSG_SG_SG_EEES9_SI_JZNS1_25segmented_radix_sort_implINS0_14default_configELb0EPKhPhPKlPlN2at6native12_GLOBAL__N_18offset_tEEE10hipError_tPvRmT1_PNSt15iterator_traitsIS12_E10value_typeET2_T3_PNS13_IS18_E10value_typeET4_jRbjT5_S1E_jjP12ihipStream_tbEUljE_ZNSN_ISO_Lb0ESQ_SR_ST_SU_SY_EESZ_S10_S11_S12_S16_S17_S18_S1B_S1C_jS1D_jS1E_S1E_jjS1G_bEUljE0_EEESZ_S10_S11_S18_S1C_S1E_T6_T7_T9_mT8_S1G_bDpT10_ENKUlT_T0_E_clISt17integral_constantIbLb0EES1T_IbLb1EEEEDaS1P_S1Q_EUlS1P_E_NS1_11comp_targetILNS1_3genE2ELNS1_11target_archE906ELNS1_3gpuE6ELNS1_3repE0EEENS1_30default_config_static_selectorELNS0_4arch9wavefront6targetE1EEEvS12_,"axG",@progbits,_ZN7rocprim17ROCPRIM_400000_NS6detail17trampoline_kernelINS0_13select_configILj256ELj13ELNS0_17block_load_methodE3ELS4_3ELS4_3ELNS0_20block_scan_algorithmE0ELj4294967295EEENS1_25partition_config_selectorILNS1_17partition_subalgoE4EjNS0_10empty_typeEbEEZZNS1_14partition_implILS8_4ELb0ES6_15HIP_vector_typeIjLj2EENS0_17counting_iteratorIjlEEPS9_SG_NS0_5tupleIJPjSI_NS0_16reverse_iteratorISI_EEEEENSH_IJSG_SG_SG_EEES9_SI_JZNS1_25segmented_radix_sort_implINS0_14default_configELb0EPKhPhPKlPlN2at6native12_GLOBAL__N_18offset_tEEE10hipError_tPvRmT1_PNSt15iterator_traitsIS12_E10value_typeET2_T3_PNS13_IS18_E10value_typeET4_jRbjT5_S1E_jjP12ihipStream_tbEUljE_ZNSN_ISO_Lb0ESQ_SR_ST_SU_SY_EESZ_S10_S11_S12_S16_S17_S18_S1B_S1C_jS1D_jS1E_S1E_jjS1G_bEUljE0_EEESZ_S10_S11_S18_S1C_S1E_T6_T7_T9_mT8_S1G_bDpT10_ENKUlT_T0_E_clISt17integral_constantIbLb0EES1T_IbLb1EEEEDaS1P_S1Q_EUlS1P_E_NS1_11comp_targetILNS1_3genE2ELNS1_11target_archE906ELNS1_3gpuE6ELNS1_3repE0EEENS1_30default_config_static_selectorELNS0_4arch9wavefront6targetE1EEEvS12_,comdat
.Lfunc_end150:
	.size	_ZN7rocprim17ROCPRIM_400000_NS6detail17trampoline_kernelINS0_13select_configILj256ELj13ELNS0_17block_load_methodE3ELS4_3ELS4_3ELNS0_20block_scan_algorithmE0ELj4294967295EEENS1_25partition_config_selectorILNS1_17partition_subalgoE4EjNS0_10empty_typeEbEEZZNS1_14partition_implILS8_4ELb0ES6_15HIP_vector_typeIjLj2EENS0_17counting_iteratorIjlEEPS9_SG_NS0_5tupleIJPjSI_NS0_16reverse_iteratorISI_EEEEENSH_IJSG_SG_SG_EEES9_SI_JZNS1_25segmented_radix_sort_implINS0_14default_configELb0EPKhPhPKlPlN2at6native12_GLOBAL__N_18offset_tEEE10hipError_tPvRmT1_PNSt15iterator_traitsIS12_E10value_typeET2_T3_PNS13_IS18_E10value_typeET4_jRbjT5_S1E_jjP12ihipStream_tbEUljE_ZNSN_ISO_Lb0ESQ_SR_ST_SU_SY_EESZ_S10_S11_S12_S16_S17_S18_S1B_S1C_jS1D_jS1E_S1E_jjS1G_bEUljE0_EEESZ_S10_S11_S18_S1C_S1E_T6_T7_T9_mT8_S1G_bDpT10_ENKUlT_T0_E_clISt17integral_constantIbLb0EES1T_IbLb1EEEEDaS1P_S1Q_EUlS1P_E_NS1_11comp_targetILNS1_3genE2ELNS1_11target_archE906ELNS1_3gpuE6ELNS1_3repE0EEENS1_30default_config_static_selectorELNS0_4arch9wavefront6targetE1EEEvS12_, .Lfunc_end150-_ZN7rocprim17ROCPRIM_400000_NS6detail17trampoline_kernelINS0_13select_configILj256ELj13ELNS0_17block_load_methodE3ELS4_3ELS4_3ELNS0_20block_scan_algorithmE0ELj4294967295EEENS1_25partition_config_selectorILNS1_17partition_subalgoE4EjNS0_10empty_typeEbEEZZNS1_14partition_implILS8_4ELb0ES6_15HIP_vector_typeIjLj2EENS0_17counting_iteratorIjlEEPS9_SG_NS0_5tupleIJPjSI_NS0_16reverse_iteratorISI_EEEEENSH_IJSG_SG_SG_EEES9_SI_JZNS1_25segmented_radix_sort_implINS0_14default_configELb0EPKhPhPKlPlN2at6native12_GLOBAL__N_18offset_tEEE10hipError_tPvRmT1_PNSt15iterator_traitsIS12_E10value_typeET2_T3_PNS13_IS18_E10value_typeET4_jRbjT5_S1E_jjP12ihipStream_tbEUljE_ZNSN_ISO_Lb0ESQ_SR_ST_SU_SY_EESZ_S10_S11_S12_S16_S17_S18_S1B_S1C_jS1D_jS1E_S1E_jjS1G_bEUljE0_EEESZ_S10_S11_S18_S1C_S1E_T6_T7_T9_mT8_S1G_bDpT10_ENKUlT_T0_E_clISt17integral_constantIbLb0EES1T_IbLb1EEEEDaS1P_S1Q_EUlS1P_E_NS1_11comp_targetILNS1_3genE2ELNS1_11target_archE906ELNS1_3gpuE6ELNS1_3repE0EEENS1_30default_config_static_selectorELNS0_4arch9wavefront6targetE1EEEvS12_
                                        ; -- End function
	.set _ZN7rocprim17ROCPRIM_400000_NS6detail17trampoline_kernelINS0_13select_configILj256ELj13ELNS0_17block_load_methodE3ELS4_3ELS4_3ELNS0_20block_scan_algorithmE0ELj4294967295EEENS1_25partition_config_selectorILNS1_17partition_subalgoE4EjNS0_10empty_typeEbEEZZNS1_14partition_implILS8_4ELb0ES6_15HIP_vector_typeIjLj2EENS0_17counting_iteratorIjlEEPS9_SG_NS0_5tupleIJPjSI_NS0_16reverse_iteratorISI_EEEEENSH_IJSG_SG_SG_EEES9_SI_JZNS1_25segmented_radix_sort_implINS0_14default_configELb0EPKhPhPKlPlN2at6native12_GLOBAL__N_18offset_tEEE10hipError_tPvRmT1_PNSt15iterator_traitsIS12_E10value_typeET2_T3_PNS13_IS18_E10value_typeET4_jRbjT5_S1E_jjP12ihipStream_tbEUljE_ZNSN_ISO_Lb0ESQ_SR_ST_SU_SY_EESZ_S10_S11_S12_S16_S17_S18_S1B_S1C_jS1D_jS1E_S1E_jjS1G_bEUljE0_EEESZ_S10_S11_S18_S1C_S1E_T6_T7_T9_mT8_S1G_bDpT10_ENKUlT_T0_E_clISt17integral_constantIbLb0EES1T_IbLb1EEEEDaS1P_S1Q_EUlS1P_E_NS1_11comp_targetILNS1_3genE2ELNS1_11target_archE906ELNS1_3gpuE6ELNS1_3repE0EEENS1_30default_config_static_selectorELNS0_4arch9wavefront6targetE1EEEvS12_.num_vgpr, 91
	.set _ZN7rocprim17ROCPRIM_400000_NS6detail17trampoline_kernelINS0_13select_configILj256ELj13ELNS0_17block_load_methodE3ELS4_3ELS4_3ELNS0_20block_scan_algorithmE0ELj4294967295EEENS1_25partition_config_selectorILNS1_17partition_subalgoE4EjNS0_10empty_typeEbEEZZNS1_14partition_implILS8_4ELb0ES6_15HIP_vector_typeIjLj2EENS0_17counting_iteratorIjlEEPS9_SG_NS0_5tupleIJPjSI_NS0_16reverse_iteratorISI_EEEEENSH_IJSG_SG_SG_EEES9_SI_JZNS1_25segmented_radix_sort_implINS0_14default_configELb0EPKhPhPKlPlN2at6native12_GLOBAL__N_18offset_tEEE10hipError_tPvRmT1_PNSt15iterator_traitsIS12_E10value_typeET2_T3_PNS13_IS18_E10value_typeET4_jRbjT5_S1E_jjP12ihipStream_tbEUljE_ZNSN_ISO_Lb0ESQ_SR_ST_SU_SY_EESZ_S10_S11_S12_S16_S17_S18_S1B_S1C_jS1D_jS1E_S1E_jjS1G_bEUljE0_EEESZ_S10_S11_S18_S1C_S1E_T6_T7_T9_mT8_S1G_bDpT10_ENKUlT_T0_E_clISt17integral_constantIbLb0EES1T_IbLb1EEEEDaS1P_S1Q_EUlS1P_E_NS1_11comp_targetILNS1_3genE2ELNS1_11target_archE906ELNS1_3gpuE6ELNS1_3repE0EEENS1_30default_config_static_selectorELNS0_4arch9wavefront6targetE1EEEvS12_.num_agpr, 0
	.set _ZN7rocprim17ROCPRIM_400000_NS6detail17trampoline_kernelINS0_13select_configILj256ELj13ELNS0_17block_load_methodE3ELS4_3ELS4_3ELNS0_20block_scan_algorithmE0ELj4294967295EEENS1_25partition_config_selectorILNS1_17partition_subalgoE4EjNS0_10empty_typeEbEEZZNS1_14partition_implILS8_4ELb0ES6_15HIP_vector_typeIjLj2EENS0_17counting_iteratorIjlEEPS9_SG_NS0_5tupleIJPjSI_NS0_16reverse_iteratorISI_EEEEENSH_IJSG_SG_SG_EEES9_SI_JZNS1_25segmented_radix_sort_implINS0_14default_configELb0EPKhPhPKlPlN2at6native12_GLOBAL__N_18offset_tEEE10hipError_tPvRmT1_PNSt15iterator_traitsIS12_E10value_typeET2_T3_PNS13_IS18_E10value_typeET4_jRbjT5_S1E_jjP12ihipStream_tbEUljE_ZNSN_ISO_Lb0ESQ_SR_ST_SU_SY_EESZ_S10_S11_S12_S16_S17_S18_S1B_S1C_jS1D_jS1E_S1E_jjS1G_bEUljE0_EEESZ_S10_S11_S18_S1C_S1E_T6_T7_T9_mT8_S1G_bDpT10_ENKUlT_T0_E_clISt17integral_constantIbLb0EES1T_IbLb1EEEEDaS1P_S1Q_EUlS1P_E_NS1_11comp_targetILNS1_3genE2ELNS1_11target_archE906ELNS1_3gpuE6ELNS1_3repE0EEENS1_30default_config_static_selectorELNS0_4arch9wavefront6targetE1EEEvS12_.numbered_sgpr, 87
	.set _ZN7rocprim17ROCPRIM_400000_NS6detail17trampoline_kernelINS0_13select_configILj256ELj13ELNS0_17block_load_methodE3ELS4_3ELS4_3ELNS0_20block_scan_algorithmE0ELj4294967295EEENS1_25partition_config_selectorILNS1_17partition_subalgoE4EjNS0_10empty_typeEbEEZZNS1_14partition_implILS8_4ELb0ES6_15HIP_vector_typeIjLj2EENS0_17counting_iteratorIjlEEPS9_SG_NS0_5tupleIJPjSI_NS0_16reverse_iteratorISI_EEEEENSH_IJSG_SG_SG_EEES9_SI_JZNS1_25segmented_radix_sort_implINS0_14default_configELb0EPKhPhPKlPlN2at6native12_GLOBAL__N_18offset_tEEE10hipError_tPvRmT1_PNSt15iterator_traitsIS12_E10value_typeET2_T3_PNS13_IS18_E10value_typeET4_jRbjT5_S1E_jjP12ihipStream_tbEUljE_ZNSN_ISO_Lb0ESQ_SR_ST_SU_SY_EESZ_S10_S11_S12_S16_S17_S18_S1B_S1C_jS1D_jS1E_S1E_jjS1G_bEUljE0_EEESZ_S10_S11_S18_S1C_S1E_T6_T7_T9_mT8_S1G_bDpT10_ENKUlT_T0_E_clISt17integral_constantIbLb0EES1T_IbLb1EEEEDaS1P_S1Q_EUlS1P_E_NS1_11comp_targetILNS1_3genE2ELNS1_11target_archE906ELNS1_3gpuE6ELNS1_3repE0EEENS1_30default_config_static_selectorELNS0_4arch9wavefront6targetE1EEEvS12_.num_named_barrier, 0
	.set _ZN7rocprim17ROCPRIM_400000_NS6detail17trampoline_kernelINS0_13select_configILj256ELj13ELNS0_17block_load_methodE3ELS4_3ELS4_3ELNS0_20block_scan_algorithmE0ELj4294967295EEENS1_25partition_config_selectorILNS1_17partition_subalgoE4EjNS0_10empty_typeEbEEZZNS1_14partition_implILS8_4ELb0ES6_15HIP_vector_typeIjLj2EENS0_17counting_iteratorIjlEEPS9_SG_NS0_5tupleIJPjSI_NS0_16reverse_iteratorISI_EEEEENSH_IJSG_SG_SG_EEES9_SI_JZNS1_25segmented_radix_sort_implINS0_14default_configELb0EPKhPhPKlPlN2at6native12_GLOBAL__N_18offset_tEEE10hipError_tPvRmT1_PNSt15iterator_traitsIS12_E10value_typeET2_T3_PNS13_IS18_E10value_typeET4_jRbjT5_S1E_jjP12ihipStream_tbEUljE_ZNSN_ISO_Lb0ESQ_SR_ST_SU_SY_EESZ_S10_S11_S12_S16_S17_S18_S1B_S1C_jS1D_jS1E_S1E_jjS1G_bEUljE0_EEESZ_S10_S11_S18_S1C_S1E_T6_T7_T9_mT8_S1G_bDpT10_ENKUlT_T0_E_clISt17integral_constantIbLb0EES1T_IbLb1EEEEDaS1P_S1Q_EUlS1P_E_NS1_11comp_targetILNS1_3genE2ELNS1_11target_archE906ELNS1_3gpuE6ELNS1_3repE0EEENS1_30default_config_static_selectorELNS0_4arch9wavefront6targetE1EEEvS12_.private_seg_size, 0
	.set _ZN7rocprim17ROCPRIM_400000_NS6detail17trampoline_kernelINS0_13select_configILj256ELj13ELNS0_17block_load_methodE3ELS4_3ELS4_3ELNS0_20block_scan_algorithmE0ELj4294967295EEENS1_25partition_config_selectorILNS1_17partition_subalgoE4EjNS0_10empty_typeEbEEZZNS1_14partition_implILS8_4ELb0ES6_15HIP_vector_typeIjLj2EENS0_17counting_iteratorIjlEEPS9_SG_NS0_5tupleIJPjSI_NS0_16reverse_iteratorISI_EEEEENSH_IJSG_SG_SG_EEES9_SI_JZNS1_25segmented_radix_sort_implINS0_14default_configELb0EPKhPhPKlPlN2at6native12_GLOBAL__N_18offset_tEEE10hipError_tPvRmT1_PNSt15iterator_traitsIS12_E10value_typeET2_T3_PNS13_IS18_E10value_typeET4_jRbjT5_S1E_jjP12ihipStream_tbEUljE_ZNSN_ISO_Lb0ESQ_SR_ST_SU_SY_EESZ_S10_S11_S12_S16_S17_S18_S1B_S1C_jS1D_jS1E_S1E_jjS1G_bEUljE0_EEESZ_S10_S11_S18_S1C_S1E_T6_T7_T9_mT8_S1G_bDpT10_ENKUlT_T0_E_clISt17integral_constantIbLb0EES1T_IbLb1EEEEDaS1P_S1Q_EUlS1P_E_NS1_11comp_targetILNS1_3genE2ELNS1_11target_archE906ELNS1_3gpuE6ELNS1_3repE0EEENS1_30default_config_static_selectorELNS0_4arch9wavefront6targetE1EEEvS12_.uses_vcc, 1
	.set _ZN7rocprim17ROCPRIM_400000_NS6detail17trampoline_kernelINS0_13select_configILj256ELj13ELNS0_17block_load_methodE3ELS4_3ELS4_3ELNS0_20block_scan_algorithmE0ELj4294967295EEENS1_25partition_config_selectorILNS1_17partition_subalgoE4EjNS0_10empty_typeEbEEZZNS1_14partition_implILS8_4ELb0ES6_15HIP_vector_typeIjLj2EENS0_17counting_iteratorIjlEEPS9_SG_NS0_5tupleIJPjSI_NS0_16reverse_iteratorISI_EEEEENSH_IJSG_SG_SG_EEES9_SI_JZNS1_25segmented_radix_sort_implINS0_14default_configELb0EPKhPhPKlPlN2at6native12_GLOBAL__N_18offset_tEEE10hipError_tPvRmT1_PNSt15iterator_traitsIS12_E10value_typeET2_T3_PNS13_IS18_E10value_typeET4_jRbjT5_S1E_jjP12ihipStream_tbEUljE_ZNSN_ISO_Lb0ESQ_SR_ST_SU_SY_EESZ_S10_S11_S12_S16_S17_S18_S1B_S1C_jS1D_jS1E_S1E_jjS1G_bEUljE0_EEESZ_S10_S11_S18_S1C_S1E_T6_T7_T9_mT8_S1G_bDpT10_ENKUlT_T0_E_clISt17integral_constantIbLb0EES1T_IbLb1EEEEDaS1P_S1Q_EUlS1P_E_NS1_11comp_targetILNS1_3genE2ELNS1_11target_archE906ELNS1_3gpuE6ELNS1_3repE0EEENS1_30default_config_static_selectorELNS0_4arch9wavefront6targetE1EEEvS12_.uses_flat_scratch, 0
	.set _ZN7rocprim17ROCPRIM_400000_NS6detail17trampoline_kernelINS0_13select_configILj256ELj13ELNS0_17block_load_methodE3ELS4_3ELS4_3ELNS0_20block_scan_algorithmE0ELj4294967295EEENS1_25partition_config_selectorILNS1_17partition_subalgoE4EjNS0_10empty_typeEbEEZZNS1_14partition_implILS8_4ELb0ES6_15HIP_vector_typeIjLj2EENS0_17counting_iteratorIjlEEPS9_SG_NS0_5tupleIJPjSI_NS0_16reverse_iteratorISI_EEEEENSH_IJSG_SG_SG_EEES9_SI_JZNS1_25segmented_radix_sort_implINS0_14default_configELb0EPKhPhPKlPlN2at6native12_GLOBAL__N_18offset_tEEE10hipError_tPvRmT1_PNSt15iterator_traitsIS12_E10value_typeET2_T3_PNS13_IS18_E10value_typeET4_jRbjT5_S1E_jjP12ihipStream_tbEUljE_ZNSN_ISO_Lb0ESQ_SR_ST_SU_SY_EESZ_S10_S11_S12_S16_S17_S18_S1B_S1C_jS1D_jS1E_S1E_jjS1G_bEUljE0_EEESZ_S10_S11_S18_S1C_S1E_T6_T7_T9_mT8_S1G_bDpT10_ENKUlT_T0_E_clISt17integral_constantIbLb0EES1T_IbLb1EEEEDaS1P_S1Q_EUlS1P_E_NS1_11comp_targetILNS1_3genE2ELNS1_11target_archE906ELNS1_3gpuE6ELNS1_3repE0EEENS1_30default_config_static_selectorELNS0_4arch9wavefront6targetE1EEEvS12_.has_dyn_sized_stack, 0
	.set _ZN7rocprim17ROCPRIM_400000_NS6detail17trampoline_kernelINS0_13select_configILj256ELj13ELNS0_17block_load_methodE3ELS4_3ELS4_3ELNS0_20block_scan_algorithmE0ELj4294967295EEENS1_25partition_config_selectorILNS1_17partition_subalgoE4EjNS0_10empty_typeEbEEZZNS1_14partition_implILS8_4ELb0ES6_15HIP_vector_typeIjLj2EENS0_17counting_iteratorIjlEEPS9_SG_NS0_5tupleIJPjSI_NS0_16reverse_iteratorISI_EEEEENSH_IJSG_SG_SG_EEES9_SI_JZNS1_25segmented_radix_sort_implINS0_14default_configELb0EPKhPhPKlPlN2at6native12_GLOBAL__N_18offset_tEEE10hipError_tPvRmT1_PNSt15iterator_traitsIS12_E10value_typeET2_T3_PNS13_IS18_E10value_typeET4_jRbjT5_S1E_jjP12ihipStream_tbEUljE_ZNSN_ISO_Lb0ESQ_SR_ST_SU_SY_EESZ_S10_S11_S12_S16_S17_S18_S1B_S1C_jS1D_jS1E_S1E_jjS1G_bEUljE0_EEESZ_S10_S11_S18_S1C_S1E_T6_T7_T9_mT8_S1G_bDpT10_ENKUlT_T0_E_clISt17integral_constantIbLb0EES1T_IbLb1EEEEDaS1P_S1Q_EUlS1P_E_NS1_11comp_targetILNS1_3genE2ELNS1_11target_archE906ELNS1_3gpuE6ELNS1_3repE0EEENS1_30default_config_static_selectorELNS0_4arch9wavefront6targetE1EEEvS12_.has_recursion, 0
	.set _ZN7rocprim17ROCPRIM_400000_NS6detail17trampoline_kernelINS0_13select_configILj256ELj13ELNS0_17block_load_methodE3ELS4_3ELS4_3ELNS0_20block_scan_algorithmE0ELj4294967295EEENS1_25partition_config_selectorILNS1_17partition_subalgoE4EjNS0_10empty_typeEbEEZZNS1_14partition_implILS8_4ELb0ES6_15HIP_vector_typeIjLj2EENS0_17counting_iteratorIjlEEPS9_SG_NS0_5tupleIJPjSI_NS0_16reverse_iteratorISI_EEEEENSH_IJSG_SG_SG_EEES9_SI_JZNS1_25segmented_radix_sort_implINS0_14default_configELb0EPKhPhPKlPlN2at6native12_GLOBAL__N_18offset_tEEE10hipError_tPvRmT1_PNSt15iterator_traitsIS12_E10value_typeET2_T3_PNS13_IS18_E10value_typeET4_jRbjT5_S1E_jjP12ihipStream_tbEUljE_ZNSN_ISO_Lb0ESQ_SR_ST_SU_SY_EESZ_S10_S11_S12_S16_S17_S18_S1B_S1C_jS1D_jS1E_S1E_jjS1G_bEUljE0_EEESZ_S10_S11_S18_S1C_S1E_T6_T7_T9_mT8_S1G_bDpT10_ENKUlT_T0_E_clISt17integral_constantIbLb0EES1T_IbLb1EEEEDaS1P_S1Q_EUlS1P_E_NS1_11comp_targetILNS1_3genE2ELNS1_11target_archE906ELNS1_3gpuE6ELNS1_3repE0EEENS1_30default_config_static_selectorELNS0_4arch9wavefront6targetE1EEEvS12_.has_indirect_call, 0
	.section	.AMDGPU.csdata,"",@progbits
; Kernel info:
; codeLenInByte = 15580
; TotalNumSgprs: 91
; NumVgprs: 91
; ScratchSize: 0
; MemoryBound: 0
; FloatMode: 240
; IeeeMode: 1
; LDSByteSize: 13328 bytes/workgroup (compile time only)
; SGPRBlocks: 12
; VGPRBlocks: 22
; NumSGPRsForWavesPerEU: 102
; NumVGPRsForWavesPerEU: 91
; Occupancy: 2
; WaveLimiterHint : 1
; COMPUTE_PGM_RSRC2:SCRATCH_EN: 0
; COMPUTE_PGM_RSRC2:USER_SGPR: 6
; COMPUTE_PGM_RSRC2:TRAP_HANDLER: 0
; COMPUTE_PGM_RSRC2:TGID_X_EN: 1
; COMPUTE_PGM_RSRC2:TGID_Y_EN: 0
; COMPUTE_PGM_RSRC2:TGID_Z_EN: 0
; COMPUTE_PGM_RSRC2:TIDIG_COMP_CNT: 0
	.section	.text._ZN7rocprim17ROCPRIM_400000_NS6detail17trampoline_kernelINS0_13select_configILj256ELj13ELNS0_17block_load_methodE3ELS4_3ELS4_3ELNS0_20block_scan_algorithmE0ELj4294967295EEENS1_25partition_config_selectorILNS1_17partition_subalgoE4EjNS0_10empty_typeEbEEZZNS1_14partition_implILS8_4ELb0ES6_15HIP_vector_typeIjLj2EENS0_17counting_iteratorIjlEEPS9_SG_NS0_5tupleIJPjSI_NS0_16reverse_iteratorISI_EEEEENSH_IJSG_SG_SG_EEES9_SI_JZNS1_25segmented_radix_sort_implINS0_14default_configELb0EPKhPhPKlPlN2at6native12_GLOBAL__N_18offset_tEEE10hipError_tPvRmT1_PNSt15iterator_traitsIS12_E10value_typeET2_T3_PNS13_IS18_E10value_typeET4_jRbjT5_S1E_jjP12ihipStream_tbEUljE_ZNSN_ISO_Lb0ESQ_SR_ST_SU_SY_EESZ_S10_S11_S12_S16_S17_S18_S1B_S1C_jS1D_jS1E_S1E_jjS1G_bEUljE0_EEESZ_S10_S11_S18_S1C_S1E_T6_T7_T9_mT8_S1G_bDpT10_ENKUlT_T0_E_clISt17integral_constantIbLb0EES1T_IbLb1EEEEDaS1P_S1Q_EUlS1P_E_NS1_11comp_targetILNS1_3genE10ELNS1_11target_archE1200ELNS1_3gpuE4ELNS1_3repE0EEENS1_30default_config_static_selectorELNS0_4arch9wavefront6targetE1EEEvS12_,"axG",@progbits,_ZN7rocprim17ROCPRIM_400000_NS6detail17trampoline_kernelINS0_13select_configILj256ELj13ELNS0_17block_load_methodE3ELS4_3ELS4_3ELNS0_20block_scan_algorithmE0ELj4294967295EEENS1_25partition_config_selectorILNS1_17partition_subalgoE4EjNS0_10empty_typeEbEEZZNS1_14partition_implILS8_4ELb0ES6_15HIP_vector_typeIjLj2EENS0_17counting_iteratorIjlEEPS9_SG_NS0_5tupleIJPjSI_NS0_16reverse_iteratorISI_EEEEENSH_IJSG_SG_SG_EEES9_SI_JZNS1_25segmented_radix_sort_implINS0_14default_configELb0EPKhPhPKlPlN2at6native12_GLOBAL__N_18offset_tEEE10hipError_tPvRmT1_PNSt15iterator_traitsIS12_E10value_typeET2_T3_PNS13_IS18_E10value_typeET4_jRbjT5_S1E_jjP12ihipStream_tbEUljE_ZNSN_ISO_Lb0ESQ_SR_ST_SU_SY_EESZ_S10_S11_S12_S16_S17_S18_S1B_S1C_jS1D_jS1E_S1E_jjS1G_bEUljE0_EEESZ_S10_S11_S18_S1C_S1E_T6_T7_T9_mT8_S1G_bDpT10_ENKUlT_T0_E_clISt17integral_constantIbLb0EES1T_IbLb1EEEEDaS1P_S1Q_EUlS1P_E_NS1_11comp_targetILNS1_3genE10ELNS1_11target_archE1200ELNS1_3gpuE4ELNS1_3repE0EEENS1_30default_config_static_selectorELNS0_4arch9wavefront6targetE1EEEvS12_,comdat
	.globl	_ZN7rocprim17ROCPRIM_400000_NS6detail17trampoline_kernelINS0_13select_configILj256ELj13ELNS0_17block_load_methodE3ELS4_3ELS4_3ELNS0_20block_scan_algorithmE0ELj4294967295EEENS1_25partition_config_selectorILNS1_17partition_subalgoE4EjNS0_10empty_typeEbEEZZNS1_14partition_implILS8_4ELb0ES6_15HIP_vector_typeIjLj2EENS0_17counting_iteratorIjlEEPS9_SG_NS0_5tupleIJPjSI_NS0_16reverse_iteratorISI_EEEEENSH_IJSG_SG_SG_EEES9_SI_JZNS1_25segmented_radix_sort_implINS0_14default_configELb0EPKhPhPKlPlN2at6native12_GLOBAL__N_18offset_tEEE10hipError_tPvRmT1_PNSt15iterator_traitsIS12_E10value_typeET2_T3_PNS13_IS18_E10value_typeET4_jRbjT5_S1E_jjP12ihipStream_tbEUljE_ZNSN_ISO_Lb0ESQ_SR_ST_SU_SY_EESZ_S10_S11_S12_S16_S17_S18_S1B_S1C_jS1D_jS1E_S1E_jjS1G_bEUljE0_EEESZ_S10_S11_S18_S1C_S1E_T6_T7_T9_mT8_S1G_bDpT10_ENKUlT_T0_E_clISt17integral_constantIbLb0EES1T_IbLb1EEEEDaS1P_S1Q_EUlS1P_E_NS1_11comp_targetILNS1_3genE10ELNS1_11target_archE1200ELNS1_3gpuE4ELNS1_3repE0EEENS1_30default_config_static_selectorELNS0_4arch9wavefront6targetE1EEEvS12_ ; -- Begin function _ZN7rocprim17ROCPRIM_400000_NS6detail17trampoline_kernelINS0_13select_configILj256ELj13ELNS0_17block_load_methodE3ELS4_3ELS4_3ELNS0_20block_scan_algorithmE0ELj4294967295EEENS1_25partition_config_selectorILNS1_17partition_subalgoE4EjNS0_10empty_typeEbEEZZNS1_14partition_implILS8_4ELb0ES6_15HIP_vector_typeIjLj2EENS0_17counting_iteratorIjlEEPS9_SG_NS0_5tupleIJPjSI_NS0_16reverse_iteratorISI_EEEEENSH_IJSG_SG_SG_EEES9_SI_JZNS1_25segmented_radix_sort_implINS0_14default_configELb0EPKhPhPKlPlN2at6native12_GLOBAL__N_18offset_tEEE10hipError_tPvRmT1_PNSt15iterator_traitsIS12_E10value_typeET2_T3_PNS13_IS18_E10value_typeET4_jRbjT5_S1E_jjP12ihipStream_tbEUljE_ZNSN_ISO_Lb0ESQ_SR_ST_SU_SY_EESZ_S10_S11_S12_S16_S17_S18_S1B_S1C_jS1D_jS1E_S1E_jjS1G_bEUljE0_EEESZ_S10_S11_S18_S1C_S1E_T6_T7_T9_mT8_S1G_bDpT10_ENKUlT_T0_E_clISt17integral_constantIbLb0EES1T_IbLb1EEEEDaS1P_S1Q_EUlS1P_E_NS1_11comp_targetILNS1_3genE10ELNS1_11target_archE1200ELNS1_3gpuE4ELNS1_3repE0EEENS1_30default_config_static_selectorELNS0_4arch9wavefront6targetE1EEEvS12_
	.p2align	8
	.type	_ZN7rocprim17ROCPRIM_400000_NS6detail17trampoline_kernelINS0_13select_configILj256ELj13ELNS0_17block_load_methodE3ELS4_3ELS4_3ELNS0_20block_scan_algorithmE0ELj4294967295EEENS1_25partition_config_selectorILNS1_17partition_subalgoE4EjNS0_10empty_typeEbEEZZNS1_14partition_implILS8_4ELb0ES6_15HIP_vector_typeIjLj2EENS0_17counting_iteratorIjlEEPS9_SG_NS0_5tupleIJPjSI_NS0_16reverse_iteratorISI_EEEEENSH_IJSG_SG_SG_EEES9_SI_JZNS1_25segmented_radix_sort_implINS0_14default_configELb0EPKhPhPKlPlN2at6native12_GLOBAL__N_18offset_tEEE10hipError_tPvRmT1_PNSt15iterator_traitsIS12_E10value_typeET2_T3_PNS13_IS18_E10value_typeET4_jRbjT5_S1E_jjP12ihipStream_tbEUljE_ZNSN_ISO_Lb0ESQ_SR_ST_SU_SY_EESZ_S10_S11_S12_S16_S17_S18_S1B_S1C_jS1D_jS1E_S1E_jjS1G_bEUljE0_EEESZ_S10_S11_S18_S1C_S1E_T6_T7_T9_mT8_S1G_bDpT10_ENKUlT_T0_E_clISt17integral_constantIbLb0EES1T_IbLb1EEEEDaS1P_S1Q_EUlS1P_E_NS1_11comp_targetILNS1_3genE10ELNS1_11target_archE1200ELNS1_3gpuE4ELNS1_3repE0EEENS1_30default_config_static_selectorELNS0_4arch9wavefront6targetE1EEEvS12_,@function
_ZN7rocprim17ROCPRIM_400000_NS6detail17trampoline_kernelINS0_13select_configILj256ELj13ELNS0_17block_load_methodE3ELS4_3ELS4_3ELNS0_20block_scan_algorithmE0ELj4294967295EEENS1_25partition_config_selectorILNS1_17partition_subalgoE4EjNS0_10empty_typeEbEEZZNS1_14partition_implILS8_4ELb0ES6_15HIP_vector_typeIjLj2EENS0_17counting_iteratorIjlEEPS9_SG_NS0_5tupleIJPjSI_NS0_16reverse_iteratorISI_EEEEENSH_IJSG_SG_SG_EEES9_SI_JZNS1_25segmented_radix_sort_implINS0_14default_configELb0EPKhPhPKlPlN2at6native12_GLOBAL__N_18offset_tEEE10hipError_tPvRmT1_PNSt15iterator_traitsIS12_E10value_typeET2_T3_PNS13_IS18_E10value_typeET4_jRbjT5_S1E_jjP12ihipStream_tbEUljE_ZNSN_ISO_Lb0ESQ_SR_ST_SU_SY_EESZ_S10_S11_S12_S16_S17_S18_S1B_S1C_jS1D_jS1E_S1E_jjS1G_bEUljE0_EEESZ_S10_S11_S18_S1C_S1E_T6_T7_T9_mT8_S1G_bDpT10_ENKUlT_T0_E_clISt17integral_constantIbLb0EES1T_IbLb1EEEEDaS1P_S1Q_EUlS1P_E_NS1_11comp_targetILNS1_3genE10ELNS1_11target_archE1200ELNS1_3gpuE4ELNS1_3repE0EEENS1_30default_config_static_selectorELNS0_4arch9wavefront6targetE1EEEvS12_: ; @_ZN7rocprim17ROCPRIM_400000_NS6detail17trampoline_kernelINS0_13select_configILj256ELj13ELNS0_17block_load_methodE3ELS4_3ELS4_3ELNS0_20block_scan_algorithmE0ELj4294967295EEENS1_25partition_config_selectorILNS1_17partition_subalgoE4EjNS0_10empty_typeEbEEZZNS1_14partition_implILS8_4ELb0ES6_15HIP_vector_typeIjLj2EENS0_17counting_iteratorIjlEEPS9_SG_NS0_5tupleIJPjSI_NS0_16reverse_iteratorISI_EEEEENSH_IJSG_SG_SG_EEES9_SI_JZNS1_25segmented_radix_sort_implINS0_14default_configELb0EPKhPhPKlPlN2at6native12_GLOBAL__N_18offset_tEEE10hipError_tPvRmT1_PNSt15iterator_traitsIS12_E10value_typeET2_T3_PNS13_IS18_E10value_typeET4_jRbjT5_S1E_jjP12ihipStream_tbEUljE_ZNSN_ISO_Lb0ESQ_SR_ST_SU_SY_EESZ_S10_S11_S12_S16_S17_S18_S1B_S1C_jS1D_jS1E_S1E_jjS1G_bEUljE0_EEESZ_S10_S11_S18_S1C_S1E_T6_T7_T9_mT8_S1G_bDpT10_ENKUlT_T0_E_clISt17integral_constantIbLb0EES1T_IbLb1EEEEDaS1P_S1Q_EUlS1P_E_NS1_11comp_targetILNS1_3genE10ELNS1_11target_archE1200ELNS1_3gpuE4ELNS1_3repE0EEENS1_30default_config_static_selectorELNS0_4arch9wavefront6targetE1EEEvS12_
; %bb.0:
	.section	.rodata,"a",@progbits
	.p2align	6, 0x0
	.amdhsa_kernel _ZN7rocprim17ROCPRIM_400000_NS6detail17trampoline_kernelINS0_13select_configILj256ELj13ELNS0_17block_load_methodE3ELS4_3ELS4_3ELNS0_20block_scan_algorithmE0ELj4294967295EEENS1_25partition_config_selectorILNS1_17partition_subalgoE4EjNS0_10empty_typeEbEEZZNS1_14partition_implILS8_4ELb0ES6_15HIP_vector_typeIjLj2EENS0_17counting_iteratorIjlEEPS9_SG_NS0_5tupleIJPjSI_NS0_16reverse_iteratorISI_EEEEENSH_IJSG_SG_SG_EEES9_SI_JZNS1_25segmented_radix_sort_implINS0_14default_configELb0EPKhPhPKlPlN2at6native12_GLOBAL__N_18offset_tEEE10hipError_tPvRmT1_PNSt15iterator_traitsIS12_E10value_typeET2_T3_PNS13_IS18_E10value_typeET4_jRbjT5_S1E_jjP12ihipStream_tbEUljE_ZNSN_ISO_Lb0ESQ_SR_ST_SU_SY_EESZ_S10_S11_S12_S16_S17_S18_S1B_S1C_jS1D_jS1E_S1E_jjS1G_bEUljE0_EEESZ_S10_S11_S18_S1C_S1E_T6_T7_T9_mT8_S1G_bDpT10_ENKUlT_T0_E_clISt17integral_constantIbLb0EES1T_IbLb1EEEEDaS1P_S1Q_EUlS1P_E_NS1_11comp_targetILNS1_3genE10ELNS1_11target_archE1200ELNS1_3gpuE4ELNS1_3repE0EEENS1_30default_config_static_selectorELNS0_4arch9wavefront6targetE1EEEvS12_
		.amdhsa_group_segment_fixed_size 0
		.amdhsa_private_segment_fixed_size 0
		.amdhsa_kernarg_size 184
		.amdhsa_user_sgpr_count 6
		.amdhsa_user_sgpr_private_segment_buffer 1
		.amdhsa_user_sgpr_dispatch_ptr 0
		.amdhsa_user_sgpr_queue_ptr 0
		.amdhsa_user_sgpr_kernarg_segment_ptr 1
		.amdhsa_user_sgpr_dispatch_id 0
		.amdhsa_user_sgpr_flat_scratch_init 0
		.amdhsa_user_sgpr_private_segment_size 0
		.amdhsa_uses_dynamic_stack 0
		.amdhsa_system_sgpr_private_segment_wavefront_offset 0
		.amdhsa_system_sgpr_workgroup_id_x 1
		.amdhsa_system_sgpr_workgroup_id_y 0
		.amdhsa_system_sgpr_workgroup_id_z 0
		.amdhsa_system_sgpr_workgroup_info 0
		.amdhsa_system_vgpr_workitem_id 0
		.amdhsa_next_free_vgpr 1
		.amdhsa_next_free_sgpr 0
		.amdhsa_reserve_vcc 0
		.amdhsa_reserve_flat_scratch 0
		.amdhsa_float_round_mode_32 0
		.amdhsa_float_round_mode_16_64 0
		.amdhsa_float_denorm_mode_32 3
		.amdhsa_float_denorm_mode_16_64 3
		.amdhsa_dx10_clamp 1
		.amdhsa_ieee_mode 1
		.amdhsa_fp16_overflow 0
		.amdhsa_exception_fp_ieee_invalid_op 0
		.amdhsa_exception_fp_denorm_src 0
		.amdhsa_exception_fp_ieee_div_zero 0
		.amdhsa_exception_fp_ieee_overflow 0
		.amdhsa_exception_fp_ieee_underflow 0
		.amdhsa_exception_fp_ieee_inexact 0
		.amdhsa_exception_int_div_zero 0
	.end_amdhsa_kernel
	.section	.text._ZN7rocprim17ROCPRIM_400000_NS6detail17trampoline_kernelINS0_13select_configILj256ELj13ELNS0_17block_load_methodE3ELS4_3ELS4_3ELNS0_20block_scan_algorithmE0ELj4294967295EEENS1_25partition_config_selectorILNS1_17partition_subalgoE4EjNS0_10empty_typeEbEEZZNS1_14partition_implILS8_4ELb0ES6_15HIP_vector_typeIjLj2EENS0_17counting_iteratorIjlEEPS9_SG_NS0_5tupleIJPjSI_NS0_16reverse_iteratorISI_EEEEENSH_IJSG_SG_SG_EEES9_SI_JZNS1_25segmented_radix_sort_implINS0_14default_configELb0EPKhPhPKlPlN2at6native12_GLOBAL__N_18offset_tEEE10hipError_tPvRmT1_PNSt15iterator_traitsIS12_E10value_typeET2_T3_PNS13_IS18_E10value_typeET4_jRbjT5_S1E_jjP12ihipStream_tbEUljE_ZNSN_ISO_Lb0ESQ_SR_ST_SU_SY_EESZ_S10_S11_S12_S16_S17_S18_S1B_S1C_jS1D_jS1E_S1E_jjS1G_bEUljE0_EEESZ_S10_S11_S18_S1C_S1E_T6_T7_T9_mT8_S1G_bDpT10_ENKUlT_T0_E_clISt17integral_constantIbLb0EES1T_IbLb1EEEEDaS1P_S1Q_EUlS1P_E_NS1_11comp_targetILNS1_3genE10ELNS1_11target_archE1200ELNS1_3gpuE4ELNS1_3repE0EEENS1_30default_config_static_selectorELNS0_4arch9wavefront6targetE1EEEvS12_,"axG",@progbits,_ZN7rocprim17ROCPRIM_400000_NS6detail17trampoline_kernelINS0_13select_configILj256ELj13ELNS0_17block_load_methodE3ELS4_3ELS4_3ELNS0_20block_scan_algorithmE0ELj4294967295EEENS1_25partition_config_selectorILNS1_17partition_subalgoE4EjNS0_10empty_typeEbEEZZNS1_14partition_implILS8_4ELb0ES6_15HIP_vector_typeIjLj2EENS0_17counting_iteratorIjlEEPS9_SG_NS0_5tupleIJPjSI_NS0_16reverse_iteratorISI_EEEEENSH_IJSG_SG_SG_EEES9_SI_JZNS1_25segmented_radix_sort_implINS0_14default_configELb0EPKhPhPKlPlN2at6native12_GLOBAL__N_18offset_tEEE10hipError_tPvRmT1_PNSt15iterator_traitsIS12_E10value_typeET2_T3_PNS13_IS18_E10value_typeET4_jRbjT5_S1E_jjP12ihipStream_tbEUljE_ZNSN_ISO_Lb0ESQ_SR_ST_SU_SY_EESZ_S10_S11_S12_S16_S17_S18_S1B_S1C_jS1D_jS1E_S1E_jjS1G_bEUljE0_EEESZ_S10_S11_S18_S1C_S1E_T6_T7_T9_mT8_S1G_bDpT10_ENKUlT_T0_E_clISt17integral_constantIbLb0EES1T_IbLb1EEEEDaS1P_S1Q_EUlS1P_E_NS1_11comp_targetILNS1_3genE10ELNS1_11target_archE1200ELNS1_3gpuE4ELNS1_3repE0EEENS1_30default_config_static_selectorELNS0_4arch9wavefront6targetE1EEEvS12_,comdat
.Lfunc_end151:
	.size	_ZN7rocprim17ROCPRIM_400000_NS6detail17trampoline_kernelINS0_13select_configILj256ELj13ELNS0_17block_load_methodE3ELS4_3ELS4_3ELNS0_20block_scan_algorithmE0ELj4294967295EEENS1_25partition_config_selectorILNS1_17partition_subalgoE4EjNS0_10empty_typeEbEEZZNS1_14partition_implILS8_4ELb0ES6_15HIP_vector_typeIjLj2EENS0_17counting_iteratorIjlEEPS9_SG_NS0_5tupleIJPjSI_NS0_16reverse_iteratorISI_EEEEENSH_IJSG_SG_SG_EEES9_SI_JZNS1_25segmented_radix_sort_implINS0_14default_configELb0EPKhPhPKlPlN2at6native12_GLOBAL__N_18offset_tEEE10hipError_tPvRmT1_PNSt15iterator_traitsIS12_E10value_typeET2_T3_PNS13_IS18_E10value_typeET4_jRbjT5_S1E_jjP12ihipStream_tbEUljE_ZNSN_ISO_Lb0ESQ_SR_ST_SU_SY_EESZ_S10_S11_S12_S16_S17_S18_S1B_S1C_jS1D_jS1E_S1E_jjS1G_bEUljE0_EEESZ_S10_S11_S18_S1C_S1E_T6_T7_T9_mT8_S1G_bDpT10_ENKUlT_T0_E_clISt17integral_constantIbLb0EES1T_IbLb1EEEEDaS1P_S1Q_EUlS1P_E_NS1_11comp_targetILNS1_3genE10ELNS1_11target_archE1200ELNS1_3gpuE4ELNS1_3repE0EEENS1_30default_config_static_selectorELNS0_4arch9wavefront6targetE1EEEvS12_, .Lfunc_end151-_ZN7rocprim17ROCPRIM_400000_NS6detail17trampoline_kernelINS0_13select_configILj256ELj13ELNS0_17block_load_methodE3ELS4_3ELS4_3ELNS0_20block_scan_algorithmE0ELj4294967295EEENS1_25partition_config_selectorILNS1_17partition_subalgoE4EjNS0_10empty_typeEbEEZZNS1_14partition_implILS8_4ELb0ES6_15HIP_vector_typeIjLj2EENS0_17counting_iteratorIjlEEPS9_SG_NS0_5tupleIJPjSI_NS0_16reverse_iteratorISI_EEEEENSH_IJSG_SG_SG_EEES9_SI_JZNS1_25segmented_radix_sort_implINS0_14default_configELb0EPKhPhPKlPlN2at6native12_GLOBAL__N_18offset_tEEE10hipError_tPvRmT1_PNSt15iterator_traitsIS12_E10value_typeET2_T3_PNS13_IS18_E10value_typeET4_jRbjT5_S1E_jjP12ihipStream_tbEUljE_ZNSN_ISO_Lb0ESQ_SR_ST_SU_SY_EESZ_S10_S11_S12_S16_S17_S18_S1B_S1C_jS1D_jS1E_S1E_jjS1G_bEUljE0_EEESZ_S10_S11_S18_S1C_S1E_T6_T7_T9_mT8_S1G_bDpT10_ENKUlT_T0_E_clISt17integral_constantIbLb0EES1T_IbLb1EEEEDaS1P_S1Q_EUlS1P_E_NS1_11comp_targetILNS1_3genE10ELNS1_11target_archE1200ELNS1_3gpuE4ELNS1_3repE0EEENS1_30default_config_static_selectorELNS0_4arch9wavefront6targetE1EEEvS12_
                                        ; -- End function
	.set _ZN7rocprim17ROCPRIM_400000_NS6detail17trampoline_kernelINS0_13select_configILj256ELj13ELNS0_17block_load_methodE3ELS4_3ELS4_3ELNS0_20block_scan_algorithmE0ELj4294967295EEENS1_25partition_config_selectorILNS1_17partition_subalgoE4EjNS0_10empty_typeEbEEZZNS1_14partition_implILS8_4ELb0ES6_15HIP_vector_typeIjLj2EENS0_17counting_iteratorIjlEEPS9_SG_NS0_5tupleIJPjSI_NS0_16reverse_iteratorISI_EEEEENSH_IJSG_SG_SG_EEES9_SI_JZNS1_25segmented_radix_sort_implINS0_14default_configELb0EPKhPhPKlPlN2at6native12_GLOBAL__N_18offset_tEEE10hipError_tPvRmT1_PNSt15iterator_traitsIS12_E10value_typeET2_T3_PNS13_IS18_E10value_typeET4_jRbjT5_S1E_jjP12ihipStream_tbEUljE_ZNSN_ISO_Lb0ESQ_SR_ST_SU_SY_EESZ_S10_S11_S12_S16_S17_S18_S1B_S1C_jS1D_jS1E_S1E_jjS1G_bEUljE0_EEESZ_S10_S11_S18_S1C_S1E_T6_T7_T9_mT8_S1G_bDpT10_ENKUlT_T0_E_clISt17integral_constantIbLb0EES1T_IbLb1EEEEDaS1P_S1Q_EUlS1P_E_NS1_11comp_targetILNS1_3genE10ELNS1_11target_archE1200ELNS1_3gpuE4ELNS1_3repE0EEENS1_30default_config_static_selectorELNS0_4arch9wavefront6targetE1EEEvS12_.num_vgpr, 0
	.set _ZN7rocprim17ROCPRIM_400000_NS6detail17trampoline_kernelINS0_13select_configILj256ELj13ELNS0_17block_load_methodE3ELS4_3ELS4_3ELNS0_20block_scan_algorithmE0ELj4294967295EEENS1_25partition_config_selectorILNS1_17partition_subalgoE4EjNS0_10empty_typeEbEEZZNS1_14partition_implILS8_4ELb0ES6_15HIP_vector_typeIjLj2EENS0_17counting_iteratorIjlEEPS9_SG_NS0_5tupleIJPjSI_NS0_16reverse_iteratorISI_EEEEENSH_IJSG_SG_SG_EEES9_SI_JZNS1_25segmented_radix_sort_implINS0_14default_configELb0EPKhPhPKlPlN2at6native12_GLOBAL__N_18offset_tEEE10hipError_tPvRmT1_PNSt15iterator_traitsIS12_E10value_typeET2_T3_PNS13_IS18_E10value_typeET4_jRbjT5_S1E_jjP12ihipStream_tbEUljE_ZNSN_ISO_Lb0ESQ_SR_ST_SU_SY_EESZ_S10_S11_S12_S16_S17_S18_S1B_S1C_jS1D_jS1E_S1E_jjS1G_bEUljE0_EEESZ_S10_S11_S18_S1C_S1E_T6_T7_T9_mT8_S1G_bDpT10_ENKUlT_T0_E_clISt17integral_constantIbLb0EES1T_IbLb1EEEEDaS1P_S1Q_EUlS1P_E_NS1_11comp_targetILNS1_3genE10ELNS1_11target_archE1200ELNS1_3gpuE4ELNS1_3repE0EEENS1_30default_config_static_selectorELNS0_4arch9wavefront6targetE1EEEvS12_.num_agpr, 0
	.set _ZN7rocprim17ROCPRIM_400000_NS6detail17trampoline_kernelINS0_13select_configILj256ELj13ELNS0_17block_load_methodE3ELS4_3ELS4_3ELNS0_20block_scan_algorithmE0ELj4294967295EEENS1_25partition_config_selectorILNS1_17partition_subalgoE4EjNS0_10empty_typeEbEEZZNS1_14partition_implILS8_4ELb0ES6_15HIP_vector_typeIjLj2EENS0_17counting_iteratorIjlEEPS9_SG_NS0_5tupleIJPjSI_NS0_16reverse_iteratorISI_EEEEENSH_IJSG_SG_SG_EEES9_SI_JZNS1_25segmented_radix_sort_implINS0_14default_configELb0EPKhPhPKlPlN2at6native12_GLOBAL__N_18offset_tEEE10hipError_tPvRmT1_PNSt15iterator_traitsIS12_E10value_typeET2_T3_PNS13_IS18_E10value_typeET4_jRbjT5_S1E_jjP12ihipStream_tbEUljE_ZNSN_ISO_Lb0ESQ_SR_ST_SU_SY_EESZ_S10_S11_S12_S16_S17_S18_S1B_S1C_jS1D_jS1E_S1E_jjS1G_bEUljE0_EEESZ_S10_S11_S18_S1C_S1E_T6_T7_T9_mT8_S1G_bDpT10_ENKUlT_T0_E_clISt17integral_constantIbLb0EES1T_IbLb1EEEEDaS1P_S1Q_EUlS1P_E_NS1_11comp_targetILNS1_3genE10ELNS1_11target_archE1200ELNS1_3gpuE4ELNS1_3repE0EEENS1_30default_config_static_selectorELNS0_4arch9wavefront6targetE1EEEvS12_.numbered_sgpr, 0
	.set _ZN7rocprim17ROCPRIM_400000_NS6detail17trampoline_kernelINS0_13select_configILj256ELj13ELNS0_17block_load_methodE3ELS4_3ELS4_3ELNS0_20block_scan_algorithmE0ELj4294967295EEENS1_25partition_config_selectorILNS1_17partition_subalgoE4EjNS0_10empty_typeEbEEZZNS1_14partition_implILS8_4ELb0ES6_15HIP_vector_typeIjLj2EENS0_17counting_iteratorIjlEEPS9_SG_NS0_5tupleIJPjSI_NS0_16reverse_iteratorISI_EEEEENSH_IJSG_SG_SG_EEES9_SI_JZNS1_25segmented_radix_sort_implINS0_14default_configELb0EPKhPhPKlPlN2at6native12_GLOBAL__N_18offset_tEEE10hipError_tPvRmT1_PNSt15iterator_traitsIS12_E10value_typeET2_T3_PNS13_IS18_E10value_typeET4_jRbjT5_S1E_jjP12ihipStream_tbEUljE_ZNSN_ISO_Lb0ESQ_SR_ST_SU_SY_EESZ_S10_S11_S12_S16_S17_S18_S1B_S1C_jS1D_jS1E_S1E_jjS1G_bEUljE0_EEESZ_S10_S11_S18_S1C_S1E_T6_T7_T9_mT8_S1G_bDpT10_ENKUlT_T0_E_clISt17integral_constantIbLb0EES1T_IbLb1EEEEDaS1P_S1Q_EUlS1P_E_NS1_11comp_targetILNS1_3genE10ELNS1_11target_archE1200ELNS1_3gpuE4ELNS1_3repE0EEENS1_30default_config_static_selectorELNS0_4arch9wavefront6targetE1EEEvS12_.num_named_barrier, 0
	.set _ZN7rocprim17ROCPRIM_400000_NS6detail17trampoline_kernelINS0_13select_configILj256ELj13ELNS0_17block_load_methodE3ELS4_3ELS4_3ELNS0_20block_scan_algorithmE0ELj4294967295EEENS1_25partition_config_selectorILNS1_17partition_subalgoE4EjNS0_10empty_typeEbEEZZNS1_14partition_implILS8_4ELb0ES6_15HIP_vector_typeIjLj2EENS0_17counting_iteratorIjlEEPS9_SG_NS0_5tupleIJPjSI_NS0_16reverse_iteratorISI_EEEEENSH_IJSG_SG_SG_EEES9_SI_JZNS1_25segmented_radix_sort_implINS0_14default_configELb0EPKhPhPKlPlN2at6native12_GLOBAL__N_18offset_tEEE10hipError_tPvRmT1_PNSt15iterator_traitsIS12_E10value_typeET2_T3_PNS13_IS18_E10value_typeET4_jRbjT5_S1E_jjP12ihipStream_tbEUljE_ZNSN_ISO_Lb0ESQ_SR_ST_SU_SY_EESZ_S10_S11_S12_S16_S17_S18_S1B_S1C_jS1D_jS1E_S1E_jjS1G_bEUljE0_EEESZ_S10_S11_S18_S1C_S1E_T6_T7_T9_mT8_S1G_bDpT10_ENKUlT_T0_E_clISt17integral_constantIbLb0EES1T_IbLb1EEEEDaS1P_S1Q_EUlS1P_E_NS1_11comp_targetILNS1_3genE10ELNS1_11target_archE1200ELNS1_3gpuE4ELNS1_3repE0EEENS1_30default_config_static_selectorELNS0_4arch9wavefront6targetE1EEEvS12_.private_seg_size, 0
	.set _ZN7rocprim17ROCPRIM_400000_NS6detail17trampoline_kernelINS0_13select_configILj256ELj13ELNS0_17block_load_methodE3ELS4_3ELS4_3ELNS0_20block_scan_algorithmE0ELj4294967295EEENS1_25partition_config_selectorILNS1_17partition_subalgoE4EjNS0_10empty_typeEbEEZZNS1_14partition_implILS8_4ELb0ES6_15HIP_vector_typeIjLj2EENS0_17counting_iteratorIjlEEPS9_SG_NS0_5tupleIJPjSI_NS0_16reverse_iteratorISI_EEEEENSH_IJSG_SG_SG_EEES9_SI_JZNS1_25segmented_radix_sort_implINS0_14default_configELb0EPKhPhPKlPlN2at6native12_GLOBAL__N_18offset_tEEE10hipError_tPvRmT1_PNSt15iterator_traitsIS12_E10value_typeET2_T3_PNS13_IS18_E10value_typeET4_jRbjT5_S1E_jjP12ihipStream_tbEUljE_ZNSN_ISO_Lb0ESQ_SR_ST_SU_SY_EESZ_S10_S11_S12_S16_S17_S18_S1B_S1C_jS1D_jS1E_S1E_jjS1G_bEUljE0_EEESZ_S10_S11_S18_S1C_S1E_T6_T7_T9_mT8_S1G_bDpT10_ENKUlT_T0_E_clISt17integral_constantIbLb0EES1T_IbLb1EEEEDaS1P_S1Q_EUlS1P_E_NS1_11comp_targetILNS1_3genE10ELNS1_11target_archE1200ELNS1_3gpuE4ELNS1_3repE0EEENS1_30default_config_static_selectorELNS0_4arch9wavefront6targetE1EEEvS12_.uses_vcc, 0
	.set _ZN7rocprim17ROCPRIM_400000_NS6detail17trampoline_kernelINS0_13select_configILj256ELj13ELNS0_17block_load_methodE3ELS4_3ELS4_3ELNS0_20block_scan_algorithmE0ELj4294967295EEENS1_25partition_config_selectorILNS1_17partition_subalgoE4EjNS0_10empty_typeEbEEZZNS1_14partition_implILS8_4ELb0ES6_15HIP_vector_typeIjLj2EENS0_17counting_iteratorIjlEEPS9_SG_NS0_5tupleIJPjSI_NS0_16reverse_iteratorISI_EEEEENSH_IJSG_SG_SG_EEES9_SI_JZNS1_25segmented_radix_sort_implINS0_14default_configELb0EPKhPhPKlPlN2at6native12_GLOBAL__N_18offset_tEEE10hipError_tPvRmT1_PNSt15iterator_traitsIS12_E10value_typeET2_T3_PNS13_IS18_E10value_typeET4_jRbjT5_S1E_jjP12ihipStream_tbEUljE_ZNSN_ISO_Lb0ESQ_SR_ST_SU_SY_EESZ_S10_S11_S12_S16_S17_S18_S1B_S1C_jS1D_jS1E_S1E_jjS1G_bEUljE0_EEESZ_S10_S11_S18_S1C_S1E_T6_T7_T9_mT8_S1G_bDpT10_ENKUlT_T0_E_clISt17integral_constantIbLb0EES1T_IbLb1EEEEDaS1P_S1Q_EUlS1P_E_NS1_11comp_targetILNS1_3genE10ELNS1_11target_archE1200ELNS1_3gpuE4ELNS1_3repE0EEENS1_30default_config_static_selectorELNS0_4arch9wavefront6targetE1EEEvS12_.uses_flat_scratch, 0
	.set _ZN7rocprim17ROCPRIM_400000_NS6detail17trampoline_kernelINS0_13select_configILj256ELj13ELNS0_17block_load_methodE3ELS4_3ELS4_3ELNS0_20block_scan_algorithmE0ELj4294967295EEENS1_25partition_config_selectorILNS1_17partition_subalgoE4EjNS0_10empty_typeEbEEZZNS1_14partition_implILS8_4ELb0ES6_15HIP_vector_typeIjLj2EENS0_17counting_iteratorIjlEEPS9_SG_NS0_5tupleIJPjSI_NS0_16reverse_iteratorISI_EEEEENSH_IJSG_SG_SG_EEES9_SI_JZNS1_25segmented_radix_sort_implINS0_14default_configELb0EPKhPhPKlPlN2at6native12_GLOBAL__N_18offset_tEEE10hipError_tPvRmT1_PNSt15iterator_traitsIS12_E10value_typeET2_T3_PNS13_IS18_E10value_typeET4_jRbjT5_S1E_jjP12ihipStream_tbEUljE_ZNSN_ISO_Lb0ESQ_SR_ST_SU_SY_EESZ_S10_S11_S12_S16_S17_S18_S1B_S1C_jS1D_jS1E_S1E_jjS1G_bEUljE0_EEESZ_S10_S11_S18_S1C_S1E_T6_T7_T9_mT8_S1G_bDpT10_ENKUlT_T0_E_clISt17integral_constantIbLb0EES1T_IbLb1EEEEDaS1P_S1Q_EUlS1P_E_NS1_11comp_targetILNS1_3genE10ELNS1_11target_archE1200ELNS1_3gpuE4ELNS1_3repE0EEENS1_30default_config_static_selectorELNS0_4arch9wavefront6targetE1EEEvS12_.has_dyn_sized_stack, 0
	.set _ZN7rocprim17ROCPRIM_400000_NS6detail17trampoline_kernelINS0_13select_configILj256ELj13ELNS0_17block_load_methodE3ELS4_3ELS4_3ELNS0_20block_scan_algorithmE0ELj4294967295EEENS1_25partition_config_selectorILNS1_17partition_subalgoE4EjNS0_10empty_typeEbEEZZNS1_14partition_implILS8_4ELb0ES6_15HIP_vector_typeIjLj2EENS0_17counting_iteratorIjlEEPS9_SG_NS0_5tupleIJPjSI_NS0_16reverse_iteratorISI_EEEEENSH_IJSG_SG_SG_EEES9_SI_JZNS1_25segmented_radix_sort_implINS0_14default_configELb0EPKhPhPKlPlN2at6native12_GLOBAL__N_18offset_tEEE10hipError_tPvRmT1_PNSt15iterator_traitsIS12_E10value_typeET2_T3_PNS13_IS18_E10value_typeET4_jRbjT5_S1E_jjP12ihipStream_tbEUljE_ZNSN_ISO_Lb0ESQ_SR_ST_SU_SY_EESZ_S10_S11_S12_S16_S17_S18_S1B_S1C_jS1D_jS1E_S1E_jjS1G_bEUljE0_EEESZ_S10_S11_S18_S1C_S1E_T6_T7_T9_mT8_S1G_bDpT10_ENKUlT_T0_E_clISt17integral_constantIbLb0EES1T_IbLb1EEEEDaS1P_S1Q_EUlS1P_E_NS1_11comp_targetILNS1_3genE10ELNS1_11target_archE1200ELNS1_3gpuE4ELNS1_3repE0EEENS1_30default_config_static_selectorELNS0_4arch9wavefront6targetE1EEEvS12_.has_recursion, 0
	.set _ZN7rocprim17ROCPRIM_400000_NS6detail17trampoline_kernelINS0_13select_configILj256ELj13ELNS0_17block_load_methodE3ELS4_3ELS4_3ELNS0_20block_scan_algorithmE0ELj4294967295EEENS1_25partition_config_selectorILNS1_17partition_subalgoE4EjNS0_10empty_typeEbEEZZNS1_14partition_implILS8_4ELb0ES6_15HIP_vector_typeIjLj2EENS0_17counting_iteratorIjlEEPS9_SG_NS0_5tupleIJPjSI_NS0_16reverse_iteratorISI_EEEEENSH_IJSG_SG_SG_EEES9_SI_JZNS1_25segmented_radix_sort_implINS0_14default_configELb0EPKhPhPKlPlN2at6native12_GLOBAL__N_18offset_tEEE10hipError_tPvRmT1_PNSt15iterator_traitsIS12_E10value_typeET2_T3_PNS13_IS18_E10value_typeET4_jRbjT5_S1E_jjP12ihipStream_tbEUljE_ZNSN_ISO_Lb0ESQ_SR_ST_SU_SY_EESZ_S10_S11_S12_S16_S17_S18_S1B_S1C_jS1D_jS1E_S1E_jjS1G_bEUljE0_EEESZ_S10_S11_S18_S1C_S1E_T6_T7_T9_mT8_S1G_bDpT10_ENKUlT_T0_E_clISt17integral_constantIbLb0EES1T_IbLb1EEEEDaS1P_S1Q_EUlS1P_E_NS1_11comp_targetILNS1_3genE10ELNS1_11target_archE1200ELNS1_3gpuE4ELNS1_3repE0EEENS1_30default_config_static_selectorELNS0_4arch9wavefront6targetE1EEEvS12_.has_indirect_call, 0
	.section	.AMDGPU.csdata,"",@progbits
; Kernel info:
; codeLenInByte = 0
; TotalNumSgprs: 4
; NumVgprs: 0
; ScratchSize: 0
; MemoryBound: 0
; FloatMode: 240
; IeeeMode: 1
; LDSByteSize: 0 bytes/workgroup (compile time only)
; SGPRBlocks: 0
; VGPRBlocks: 0
; NumSGPRsForWavesPerEU: 4
; NumVGPRsForWavesPerEU: 1
; Occupancy: 10
; WaveLimiterHint : 0
; COMPUTE_PGM_RSRC2:SCRATCH_EN: 0
; COMPUTE_PGM_RSRC2:USER_SGPR: 6
; COMPUTE_PGM_RSRC2:TRAP_HANDLER: 0
; COMPUTE_PGM_RSRC2:TGID_X_EN: 1
; COMPUTE_PGM_RSRC2:TGID_Y_EN: 0
; COMPUTE_PGM_RSRC2:TGID_Z_EN: 0
; COMPUTE_PGM_RSRC2:TIDIG_COMP_CNT: 0
	.section	.text._ZN7rocprim17ROCPRIM_400000_NS6detail17trampoline_kernelINS0_13select_configILj256ELj13ELNS0_17block_load_methodE3ELS4_3ELS4_3ELNS0_20block_scan_algorithmE0ELj4294967295EEENS1_25partition_config_selectorILNS1_17partition_subalgoE4EjNS0_10empty_typeEbEEZZNS1_14partition_implILS8_4ELb0ES6_15HIP_vector_typeIjLj2EENS0_17counting_iteratorIjlEEPS9_SG_NS0_5tupleIJPjSI_NS0_16reverse_iteratorISI_EEEEENSH_IJSG_SG_SG_EEES9_SI_JZNS1_25segmented_radix_sort_implINS0_14default_configELb0EPKhPhPKlPlN2at6native12_GLOBAL__N_18offset_tEEE10hipError_tPvRmT1_PNSt15iterator_traitsIS12_E10value_typeET2_T3_PNS13_IS18_E10value_typeET4_jRbjT5_S1E_jjP12ihipStream_tbEUljE_ZNSN_ISO_Lb0ESQ_SR_ST_SU_SY_EESZ_S10_S11_S12_S16_S17_S18_S1B_S1C_jS1D_jS1E_S1E_jjS1G_bEUljE0_EEESZ_S10_S11_S18_S1C_S1E_T6_T7_T9_mT8_S1G_bDpT10_ENKUlT_T0_E_clISt17integral_constantIbLb0EES1T_IbLb1EEEEDaS1P_S1Q_EUlS1P_E_NS1_11comp_targetILNS1_3genE9ELNS1_11target_archE1100ELNS1_3gpuE3ELNS1_3repE0EEENS1_30default_config_static_selectorELNS0_4arch9wavefront6targetE1EEEvS12_,"axG",@progbits,_ZN7rocprim17ROCPRIM_400000_NS6detail17trampoline_kernelINS0_13select_configILj256ELj13ELNS0_17block_load_methodE3ELS4_3ELS4_3ELNS0_20block_scan_algorithmE0ELj4294967295EEENS1_25partition_config_selectorILNS1_17partition_subalgoE4EjNS0_10empty_typeEbEEZZNS1_14partition_implILS8_4ELb0ES6_15HIP_vector_typeIjLj2EENS0_17counting_iteratorIjlEEPS9_SG_NS0_5tupleIJPjSI_NS0_16reverse_iteratorISI_EEEEENSH_IJSG_SG_SG_EEES9_SI_JZNS1_25segmented_radix_sort_implINS0_14default_configELb0EPKhPhPKlPlN2at6native12_GLOBAL__N_18offset_tEEE10hipError_tPvRmT1_PNSt15iterator_traitsIS12_E10value_typeET2_T3_PNS13_IS18_E10value_typeET4_jRbjT5_S1E_jjP12ihipStream_tbEUljE_ZNSN_ISO_Lb0ESQ_SR_ST_SU_SY_EESZ_S10_S11_S12_S16_S17_S18_S1B_S1C_jS1D_jS1E_S1E_jjS1G_bEUljE0_EEESZ_S10_S11_S18_S1C_S1E_T6_T7_T9_mT8_S1G_bDpT10_ENKUlT_T0_E_clISt17integral_constantIbLb0EES1T_IbLb1EEEEDaS1P_S1Q_EUlS1P_E_NS1_11comp_targetILNS1_3genE9ELNS1_11target_archE1100ELNS1_3gpuE3ELNS1_3repE0EEENS1_30default_config_static_selectorELNS0_4arch9wavefront6targetE1EEEvS12_,comdat
	.globl	_ZN7rocprim17ROCPRIM_400000_NS6detail17trampoline_kernelINS0_13select_configILj256ELj13ELNS0_17block_load_methodE3ELS4_3ELS4_3ELNS0_20block_scan_algorithmE0ELj4294967295EEENS1_25partition_config_selectorILNS1_17partition_subalgoE4EjNS0_10empty_typeEbEEZZNS1_14partition_implILS8_4ELb0ES6_15HIP_vector_typeIjLj2EENS0_17counting_iteratorIjlEEPS9_SG_NS0_5tupleIJPjSI_NS0_16reverse_iteratorISI_EEEEENSH_IJSG_SG_SG_EEES9_SI_JZNS1_25segmented_radix_sort_implINS0_14default_configELb0EPKhPhPKlPlN2at6native12_GLOBAL__N_18offset_tEEE10hipError_tPvRmT1_PNSt15iterator_traitsIS12_E10value_typeET2_T3_PNS13_IS18_E10value_typeET4_jRbjT5_S1E_jjP12ihipStream_tbEUljE_ZNSN_ISO_Lb0ESQ_SR_ST_SU_SY_EESZ_S10_S11_S12_S16_S17_S18_S1B_S1C_jS1D_jS1E_S1E_jjS1G_bEUljE0_EEESZ_S10_S11_S18_S1C_S1E_T6_T7_T9_mT8_S1G_bDpT10_ENKUlT_T0_E_clISt17integral_constantIbLb0EES1T_IbLb1EEEEDaS1P_S1Q_EUlS1P_E_NS1_11comp_targetILNS1_3genE9ELNS1_11target_archE1100ELNS1_3gpuE3ELNS1_3repE0EEENS1_30default_config_static_selectorELNS0_4arch9wavefront6targetE1EEEvS12_ ; -- Begin function _ZN7rocprim17ROCPRIM_400000_NS6detail17trampoline_kernelINS0_13select_configILj256ELj13ELNS0_17block_load_methodE3ELS4_3ELS4_3ELNS0_20block_scan_algorithmE0ELj4294967295EEENS1_25partition_config_selectorILNS1_17partition_subalgoE4EjNS0_10empty_typeEbEEZZNS1_14partition_implILS8_4ELb0ES6_15HIP_vector_typeIjLj2EENS0_17counting_iteratorIjlEEPS9_SG_NS0_5tupleIJPjSI_NS0_16reverse_iteratorISI_EEEEENSH_IJSG_SG_SG_EEES9_SI_JZNS1_25segmented_radix_sort_implINS0_14default_configELb0EPKhPhPKlPlN2at6native12_GLOBAL__N_18offset_tEEE10hipError_tPvRmT1_PNSt15iterator_traitsIS12_E10value_typeET2_T3_PNS13_IS18_E10value_typeET4_jRbjT5_S1E_jjP12ihipStream_tbEUljE_ZNSN_ISO_Lb0ESQ_SR_ST_SU_SY_EESZ_S10_S11_S12_S16_S17_S18_S1B_S1C_jS1D_jS1E_S1E_jjS1G_bEUljE0_EEESZ_S10_S11_S18_S1C_S1E_T6_T7_T9_mT8_S1G_bDpT10_ENKUlT_T0_E_clISt17integral_constantIbLb0EES1T_IbLb1EEEEDaS1P_S1Q_EUlS1P_E_NS1_11comp_targetILNS1_3genE9ELNS1_11target_archE1100ELNS1_3gpuE3ELNS1_3repE0EEENS1_30default_config_static_selectorELNS0_4arch9wavefront6targetE1EEEvS12_
	.p2align	8
	.type	_ZN7rocprim17ROCPRIM_400000_NS6detail17trampoline_kernelINS0_13select_configILj256ELj13ELNS0_17block_load_methodE3ELS4_3ELS4_3ELNS0_20block_scan_algorithmE0ELj4294967295EEENS1_25partition_config_selectorILNS1_17partition_subalgoE4EjNS0_10empty_typeEbEEZZNS1_14partition_implILS8_4ELb0ES6_15HIP_vector_typeIjLj2EENS0_17counting_iteratorIjlEEPS9_SG_NS0_5tupleIJPjSI_NS0_16reverse_iteratorISI_EEEEENSH_IJSG_SG_SG_EEES9_SI_JZNS1_25segmented_radix_sort_implINS0_14default_configELb0EPKhPhPKlPlN2at6native12_GLOBAL__N_18offset_tEEE10hipError_tPvRmT1_PNSt15iterator_traitsIS12_E10value_typeET2_T3_PNS13_IS18_E10value_typeET4_jRbjT5_S1E_jjP12ihipStream_tbEUljE_ZNSN_ISO_Lb0ESQ_SR_ST_SU_SY_EESZ_S10_S11_S12_S16_S17_S18_S1B_S1C_jS1D_jS1E_S1E_jjS1G_bEUljE0_EEESZ_S10_S11_S18_S1C_S1E_T6_T7_T9_mT8_S1G_bDpT10_ENKUlT_T0_E_clISt17integral_constantIbLb0EES1T_IbLb1EEEEDaS1P_S1Q_EUlS1P_E_NS1_11comp_targetILNS1_3genE9ELNS1_11target_archE1100ELNS1_3gpuE3ELNS1_3repE0EEENS1_30default_config_static_selectorELNS0_4arch9wavefront6targetE1EEEvS12_,@function
_ZN7rocprim17ROCPRIM_400000_NS6detail17trampoline_kernelINS0_13select_configILj256ELj13ELNS0_17block_load_methodE3ELS4_3ELS4_3ELNS0_20block_scan_algorithmE0ELj4294967295EEENS1_25partition_config_selectorILNS1_17partition_subalgoE4EjNS0_10empty_typeEbEEZZNS1_14partition_implILS8_4ELb0ES6_15HIP_vector_typeIjLj2EENS0_17counting_iteratorIjlEEPS9_SG_NS0_5tupleIJPjSI_NS0_16reverse_iteratorISI_EEEEENSH_IJSG_SG_SG_EEES9_SI_JZNS1_25segmented_radix_sort_implINS0_14default_configELb0EPKhPhPKlPlN2at6native12_GLOBAL__N_18offset_tEEE10hipError_tPvRmT1_PNSt15iterator_traitsIS12_E10value_typeET2_T3_PNS13_IS18_E10value_typeET4_jRbjT5_S1E_jjP12ihipStream_tbEUljE_ZNSN_ISO_Lb0ESQ_SR_ST_SU_SY_EESZ_S10_S11_S12_S16_S17_S18_S1B_S1C_jS1D_jS1E_S1E_jjS1G_bEUljE0_EEESZ_S10_S11_S18_S1C_S1E_T6_T7_T9_mT8_S1G_bDpT10_ENKUlT_T0_E_clISt17integral_constantIbLb0EES1T_IbLb1EEEEDaS1P_S1Q_EUlS1P_E_NS1_11comp_targetILNS1_3genE9ELNS1_11target_archE1100ELNS1_3gpuE3ELNS1_3repE0EEENS1_30default_config_static_selectorELNS0_4arch9wavefront6targetE1EEEvS12_: ; @_ZN7rocprim17ROCPRIM_400000_NS6detail17trampoline_kernelINS0_13select_configILj256ELj13ELNS0_17block_load_methodE3ELS4_3ELS4_3ELNS0_20block_scan_algorithmE0ELj4294967295EEENS1_25partition_config_selectorILNS1_17partition_subalgoE4EjNS0_10empty_typeEbEEZZNS1_14partition_implILS8_4ELb0ES6_15HIP_vector_typeIjLj2EENS0_17counting_iteratorIjlEEPS9_SG_NS0_5tupleIJPjSI_NS0_16reverse_iteratorISI_EEEEENSH_IJSG_SG_SG_EEES9_SI_JZNS1_25segmented_radix_sort_implINS0_14default_configELb0EPKhPhPKlPlN2at6native12_GLOBAL__N_18offset_tEEE10hipError_tPvRmT1_PNSt15iterator_traitsIS12_E10value_typeET2_T3_PNS13_IS18_E10value_typeET4_jRbjT5_S1E_jjP12ihipStream_tbEUljE_ZNSN_ISO_Lb0ESQ_SR_ST_SU_SY_EESZ_S10_S11_S12_S16_S17_S18_S1B_S1C_jS1D_jS1E_S1E_jjS1G_bEUljE0_EEESZ_S10_S11_S18_S1C_S1E_T6_T7_T9_mT8_S1G_bDpT10_ENKUlT_T0_E_clISt17integral_constantIbLb0EES1T_IbLb1EEEEDaS1P_S1Q_EUlS1P_E_NS1_11comp_targetILNS1_3genE9ELNS1_11target_archE1100ELNS1_3gpuE3ELNS1_3repE0EEENS1_30default_config_static_selectorELNS0_4arch9wavefront6targetE1EEEvS12_
; %bb.0:
	.section	.rodata,"a",@progbits
	.p2align	6, 0x0
	.amdhsa_kernel _ZN7rocprim17ROCPRIM_400000_NS6detail17trampoline_kernelINS0_13select_configILj256ELj13ELNS0_17block_load_methodE3ELS4_3ELS4_3ELNS0_20block_scan_algorithmE0ELj4294967295EEENS1_25partition_config_selectorILNS1_17partition_subalgoE4EjNS0_10empty_typeEbEEZZNS1_14partition_implILS8_4ELb0ES6_15HIP_vector_typeIjLj2EENS0_17counting_iteratorIjlEEPS9_SG_NS0_5tupleIJPjSI_NS0_16reverse_iteratorISI_EEEEENSH_IJSG_SG_SG_EEES9_SI_JZNS1_25segmented_radix_sort_implINS0_14default_configELb0EPKhPhPKlPlN2at6native12_GLOBAL__N_18offset_tEEE10hipError_tPvRmT1_PNSt15iterator_traitsIS12_E10value_typeET2_T3_PNS13_IS18_E10value_typeET4_jRbjT5_S1E_jjP12ihipStream_tbEUljE_ZNSN_ISO_Lb0ESQ_SR_ST_SU_SY_EESZ_S10_S11_S12_S16_S17_S18_S1B_S1C_jS1D_jS1E_S1E_jjS1G_bEUljE0_EEESZ_S10_S11_S18_S1C_S1E_T6_T7_T9_mT8_S1G_bDpT10_ENKUlT_T0_E_clISt17integral_constantIbLb0EES1T_IbLb1EEEEDaS1P_S1Q_EUlS1P_E_NS1_11comp_targetILNS1_3genE9ELNS1_11target_archE1100ELNS1_3gpuE3ELNS1_3repE0EEENS1_30default_config_static_selectorELNS0_4arch9wavefront6targetE1EEEvS12_
		.amdhsa_group_segment_fixed_size 0
		.amdhsa_private_segment_fixed_size 0
		.amdhsa_kernarg_size 184
		.amdhsa_user_sgpr_count 6
		.amdhsa_user_sgpr_private_segment_buffer 1
		.amdhsa_user_sgpr_dispatch_ptr 0
		.amdhsa_user_sgpr_queue_ptr 0
		.amdhsa_user_sgpr_kernarg_segment_ptr 1
		.amdhsa_user_sgpr_dispatch_id 0
		.amdhsa_user_sgpr_flat_scratch_init 0
		.amdhsa_user_sgpr_private_segment_size 0
		.amdhsa_uses_dynamic_stack 0
		.amdhsa_system_sgpr_private_segment_wavefront_offset 0
		.amdhsa_system_sgpr_workgroup_id_x 1
		.amdhsa_system_sgpr_workgroup_id_y 0
		.amdhsa_system_sgpr_workgroup_id_z 0
		.amdhsa_system_sgpr_workgroup_info 0
		.amdhsa_system_vgpr_workitem_id 0
		.amdhsa_next_free_vgpr 1
		.amdhsa_next_free_sgpr 0
		.amdhsa_reserve_vcc 0
		.amdhsa_reserve_flat_scratch 0
		.amdhsa_float_round_mode_32 0
		.amdhsa_float_round_mode_16_64 0
		.amdhsa_float_denorm_mode_32 3
		.amdhsa_float_denorm_mode_16_64 3
		.amdhsa_dx10_clamp 1
		.amdhsa_ieee_mode 1
		.amdhsa_fp16_overflow 0
		.amdhsa_exception_fp_ieee_invalid_op 0
		.amdhsa_exception_fp_denorm_src 0
		.amdhsa_exception_fp_ieee_div_zero 0
		.amdhsa_exception_fp_ieee_overflow 0
		.amdhsa_exception_fp_ieee_underflow 0
		.amdhsa_exception_fp_ieee_inexact 0
		.amdhsa_exception_int_div_zero 0
	.end_amdhsa_kernel
	.section	.text._ZN7rocprim17ROCPRIM_400000_NS6detail17trampoline_kernelINS0_13select_configILj256ELj13ELNS0_17block_load_methodE3ELS4_3ELS4_3ELNS0_20block_scan_algorithmE0ELj4294967295EEENS1_25partition_config_selectorILNS1_17partition_subalgoE4EjNS0_10empty_typeEbEEZZNS1_14partition_implILS8_4ELb0ES6_15HIP_vector_typeIjLj2EENS0_17counting_iteratorIjlEEPS9_SG_NS0_5tupleIJPjSI_NS0_16reverse_iteratorISI_EEEEENSH_IJSG_SG_SG_EEES9_SI_JZNS1_25segmented_radix_sort_implINS0_14default_configELb0EPKhPhPKlPlN2at6native12_GLOBAL__N_18offset_tEEE10hipError_tPvRmT1_PNSt15iterator_traitsIS12_E10value_typeET2_T3_PNS13_IS18_E10value_typeET4_jRbjT5_S1E_jjP12ihipStream_tbEUljE_ZNSN_ISO_Lb0ESQ_SR_ST_SU_SY_EESZ_S10_S11_S12_S16_S17_S18_S1B_S1C_jS1D_jS1E_S1E_jjS1G_bEUljE0_EEESZ_S10_S11_S18_S1C_S1E_T6_T7_T9_mT8_S1G_bDpT10_ENKUlT_T0_E_clISt17integral_constantIbLb0EES1T_IbLb1EEEEDaS1P_S1Q_EUlS1P_E_NS1_11comp_targetILNS1_3genE9ELNS1_11target_archE1100ELNS1_3gpuE3ELNS1_3repE0EEENS1_30default_config_static_selectorELNS0_4arch9wavefront6targetE1EEEvS12_,"axG",@progbits,_ZN7rocprim17ROCPRIM_400000_NS6detail17trampoline_kernelINS0_13select_configILj256ELj13ELNS0_17block_load_methodE3ELS4_3ELS4_3ELNS0_20block_scan_algorithmE0ELj4294967295EEENS1_25partition_config_selectorILNS1_17partition_subalgoE4EjNS0_10empty_typeEbEEZZNS1_14partition_implILS8_4ELb0ES6_15HIP_vector_typeIjLj2EENS0_17counting_iteratorIjlEEPS9_SG_NS0_5tupleIJPjSI_NS0_16reverse_iteratorISI_EEEEENSH_IJSG_SG_SG_EEES9_SI_JZNS1_25segmented_radix_sort_implINS0_14default_configELb0EPKhPhPKlPlN2at6native12_GLOBAL__N_18offset_tEEE10hipError_tPvRmT1_PNSt15iterator_traitsIS12_E10value_typeET2_T3_PNS13_IS18_E10value_typeET4_jRbjT5_S1E_jjP12ihipStream_tbEUljE_ZNSN_ISO_Lb0ESQ_SR_ST_SU_SY_EESZ_S10_S11_S12_S16_S17_S18_S1B_S1C_jS1D_jS1E_S1E_jjS1G_bEUljE0_EEESZ_S10_S11_S18_S1C_S1E_T6_T7_T9_mT8_S1G_bDpT10_ENKUlT_T0_E_clISt17integral_constantIbLb0EES1T_IbLb1EEEEDaS1P_S1Q_EUlS1P_E_NS1_11comp_targetILNS1_3genE9ELNS1_11target_archE1100ELNS1_3gpuE3ELNS1_3repE0EEENS1_30default_config_static_selectorELNS0_4arch9wavefront6targetE1EEEvS12_,comdat
.Lfunc_end152:
	.size	_ZN7rocprim17ROCPRIM_400000_NS6detail17trampoline_kernelINS0_13select_configILj256ELj13ELNS0_17block_load_methodE3ELS4_3ELS4_3ELNS0_20block_scan_algorithmE0ELj4294967295EEENS1_25partition_config_selectorILNS1_17partition_subalgoE4EjNS0_10empty_typeEbEEZZNS1_14partition_implILS8_4ELb0ES6_15HIP_vector_typeIjLj2EENS0_17counting_iteratorIjlEEPS9_SG_NS0_5tupleIJPjSI_NS0_16reverse_iteratorISI_EEEEENSH_IJSG_SG_SG_EEES9_SI_JZNS1_25segmented_radix_sort_implINS0_14default_configELb0EPKhPhPKlPlN2at6native12_GLOBAL__N_18offset_tEEE10hipError_tPvRmT1_PNSt15iterator_traitsIS12_E10value_typeET2_T3_PNS13_IS18_E10value_typeET4_jRbjT5_S1E_jjP12ihipStream_tbEUljE_ZNSN_ISO_Lb0ESQ_SR_ST_SU_SY_EESZ_S10_S11_S12_S16_S17_S18_S1B_S1C_jS1D_jS1E_S1E_jjS1G_bEUljE0_EEESZ_S10_S11_S18_S1C_S1E_T6_T7_T9_mT8_S1G_bDpT10_ENKUlT_T0_E_clISt17integral_constantIbLb0EES1T_IbLb1EEEEDaS1P_S1Q_EUlS1P_E_NS1_11comp_targetILNS1_3genE9ELNS1_11target_archE1100ELNS1_3gpuE3ELNS1_3repE0EEENS1_30default_config_static_selectorELNS0_4arch9wavefront6targetE1EEEvS12_, .Lfunc_end152-_ZN7rocprim17ROCPRIM_400000_NS6detail17trampoline_kernelINS0_13select_configILj256ELj13ELNS0_17block_load_methodE3ELS4_3ELS4_3ELNS0_20block_scan_algorithmE0ELj4294967295EEENS1_25partition_config_selectorILNS1_17partition_subalgoE4EjNS0_10empty_typeEbEEZZNS1_14partition_implILS8_4ELb0ES6_15HIP_vector_typeIjLj2EENS0_17counting_iteratorIjlEEPS9_SG_NS0_5tupleIJPjSI_NS0_16reverse_iteratorISI_EEEEENSH_IJSG_SG_SG_EEES9_SI_JZNS1_25segmented_radix_sort_implINS0_14default_configELb0EPKhPhPKlPlN2at6native12_GLOBAL__N_18offset_tEEE10hipError_tPvRmT1_PNSt15iterator_traitsIS12_E10value_typeET2_T3_PNS13_IS18_E10value_typeET4_jRbjT5_S1E_jjP12ihipStream_tbEUljE_ZNSN_ISO_Lb0ESQ_SR_ST_SU_SY_EESZ_S10_S11_S12_S16_S17_S18_S1B_S1C_jS1D_jS1E_S1E_jjS1G_bEUljE0_EEESZ_S10_S11_S18_S1C_S1E_T6_T7_T9_mT8_S1G_bDpT10_ENKUlT_T0_E_clISt17integral_constantIbLb0EES1T_IbLb1EEEEDaS1P_S1Q_EUlS1P_E_NS1_11comp_targetILNS1_3genE9ELNS1_11target_archE1100ELNS1_3gpuE3ELNS1_3repE0EEENS1_30default_config_static_selectorELNS0_4arch9wavefront6targetE1EEEvS12_
                                        ; -- End function
	.set _ZN7rocprim17ROCPRIM_400000_NS6detail17trampoline_kernelINS0_13select_configILj256ELj13ELNS0_17block_load_methodE3ELS4_3ELS4_3ELNS0_20block_scan_algorithmE0ELj4294967295EEENS1_25partition_config_selectorILNS1_17partition_subalgoE4EjNS0_10empty_typeEbEEZZNS1_14partition_implILS8_4ELb0ES6_15HIP_vector_typeIjLj2EENS0_17counting_iteratorIjlEEPS9_SG_NS0_5tupleIJPjSI_NS0_16reverse_iteratorISI_EEEEENSH_IJSG_SG_SG_EEES9_SI_JZNS1_25segmented_radix_sort_implINS0_14default_configELb0EPKhPhPKlPlN2at6native12_GLOBAL__N_18offset_tEEE10hipError_tPvRmT1_PNSt15iterator_traitsIS12_E10value_typeET2_T3_PNS13_IS18_E10value_typeET4_jRbjT5_S1E_jjP12ihipStream_tbEUljE_ZNSN_ISO_Lb0ESQ_SR_ST_SU_SY_EESZ_S10_S11_S12_S16_S17_S18_S1B_S1C_jS1D_jS1E_S1E_jjS1G_bEUljE0_EEESZ_S10_S11_S18_S1C_S1E_T6_T7_T9_mT8_S1G_bDpT10_ENKUlT_T0_E_clISt17integral_constantIbLb0EES1T_IbLb1EEEEDaS1P_S1Q_EUlS1P_E_NS1_11comp_targetILNS1_3genE9ELNS1_11target_archE1100ELNS1_3gpuE3ELNS1_3repE0EEENS1_30default_config_static_selectorELNS0_4arch9wavefront6targetE1EEEvS12_.num_vgpr, 0
	.set _ZN7rocprim17ROCPRIM_400000_NS6detail17trampoline_kernelINS0_13select_configILj256ELj13ELNS0_17block_load_methodE3ELS4_3ELS4_3ELNS0_20block_scan_algorithmE0ELj4294967295EEENS1_25partition_config_selectorILNS1_17partition_subalgoE4EjNS0_10empty_typeEbEEZZNS1_14partition_implILS8_4ELb0ES6_15HIP_vector_typeIjLj2EENS0_17counting_iteratorIjlEEPS9_SG_NS0_5tupleIJPjSI_NS0_16reverse_iteratorISI_EEEEENSH_IJSG_SG_SG_EEES9_SI_JZNS1_25segmented_radix_sort_implINS0_14default_configELb0EPKhPhPKlPlN2at6native12_GLOBAL__N_18offset_tEEE10hipError_tPvRmT1_PNSt15iterator_traitsIS12_E10value_typeET2_T3_PNS13_IS18_E10value_typeET4_jRbjT5_S1E_jjP12ihipStream_tbEUljE_ZNSN_ISO_Lb0ESQ_SR_ST_SU_SY_EESZ_S10_S11_S12_S16_S17_S18_S1B_S1C_jS1D_jS1E_S1E_jjS1G_bEUljE0_EEESZ_S10_S11_S18_S1C_S1E_T6_T7_T9_mT8_S1G_bDpT10_ENKUlT_T0_E_clISt17integral_constantIbLb0EES1T_IbLb1EEEEDaS1P_S1Q_EUlS1P_E_NS1_11comp_targetILNS1_3genE9ELNS1_11target_archE1100ELNS1_3gpuE3ELNS1_3repE0EEENS1_30default_config_static_selectorELNS0_4arch9wavefront6targetE1EEEvS12_.num_agpr, 0
	.set _ZN7rocprim17ROCPRIM_400000_NS6detail17trampoline_kernelINS0_13select_configILj256ELj13ELNS0_17block_load_methodE3ELS4_3ELS4_3ELNS0_20block_scan_algorithmE0ELj4294967295EEENS1_25partition_config_selectorILNS1_17partition_subalgoE4EjNS0_10empty_typeEbEEZZNS1_14partition_implILS8_4ELb0ES6_15HIP_vector_typeIjLj2EENS0_17counting_iteratorIjlEEPS9_SG_NS0_5tupleIJPjSI_NS0_16reverse_iteratorISI_EEEEENSH_IJSG_SG_SG_EEES9_SI_JZNS1_25segmented_radix_sort_implINS0_14default_configELb0EPKhPhPKlPlN2at6native12_GLOBAL__N_18offset_tEEE10hipError_tPvRmT1_PNSt15iterator_traitsIS12_E10value_typeET2_T3_PNS13_IS18_E10value_typeET4_jRbjT5_S1E_jjP12ihipStream_tbEUljE_ZNSN_ISO_Lb0ESQ_SR_ST_SU_SY_EESZ_S10_S11_S12_S16_S17_S18_S1B_S1C_jS1D_jS1E_S1E_jjS1G_bEUljE0_EEESZ_S10_S11_S18_S1C_S1E_T6_T7_T9_mT8_S1G_bDpT10_ENKUlT_T0_E_clISt17integral_constantIbLb0EES1T_IbLb1EEEEDaS1P_S1Q_EUlS1P_E_NS1_11comp_targetILNS1_3genE9ELNS1_11target_archE1100ELNS1_3gpuE3ELNS1_3repE0EEENS1_30default_config_static_selectorELNS0_4arch9wavefront6targetE1EEEvS12_.numbered_sgpr, 0
	.set _ZN7rocprim17ROCPRIM_400000_NS6detail17trampoline_kernelINS0_13select_configILj256ELj13ELNS0_17block_load_methodE3ELS4_3ELS4_3ELNS0_20block_scan_algorithmE0ELj4294967295EEENS1_25partition_config_selectorILNS1_17partition_subalgoE4EjNS0_10empty_typeEbEEZZNS1_14partition_implILS8_4ELb0ES6_15HIP_vector_typeIjLj2EENS0_17counting_iteratorIjlEEPS9_SG_NS0_5tupleIJPjSI_NS0_16reverse_iteratorISI_EEEEENSH_IJSG_SG_SG_EEES9_SI_JZNS1_25segmented_radix_sort_implINS0_14default_configELb0EPKhPhPKlPlN2at6native12_GLOBAL__N_18offset_tEEE10hipError_tPvRmT1_PNSt15iterator_traitsIS12_E10value_typeET2_T3_PNS13_IS18_E10value_typeET4_jRbjT5_S1E_jjP12ihipStream_tbEUljE_ZNSN_ISO_Lb0ESQ_SR_ST_SU_SY_EESZ_S10_S11_S12_S16_S17_S18_S1B_S1C_jS1D_jS1E_S1E_jjS1G_bEUljE0_EEESZ_S10_S11_S18_S1C_S1E_T6_T7_T9_mT8_S1G_bDpT10_ENKUlT_T0_E_clISt17integral_constantIbLb0EES1T_IbLb1EEEEDaS1P_S1Q_EUlS1P_E_NS1_11comp_targetILNS1_3genE9ELNS1_11target_archE1100ELNS1_3gpuE3ELNS1_3repE0EEENS1_30default_config_static_selectorELNS0_4arch9wavefront6targetE1EEEvS12_.num_named_barrier, 0
	.set _ZN7rocprim17ROCPRIM_400000_NS6detail17trampoline_kernelINS0_13select_configILj256ELj13ELNS0_17block_load_methodE3ELS4_3ELS4_3ELNS0_20block_scan_algorithmE0ELj4294967295EEENS1_25partition_config_selectorILNS1_17partition_subalgoE4EjNS0_10empty_typeEbEEZZNS1_14partition_implILS8_4ELb0ES6_15HIP_vector_typeIjLj2EENS0_17counting_iteratorIjlEEPS9_SG_NS0_5tupleIJPjSI_NS0_16reverse_iteratorISI_EEEEENSH_IJSG_SG_SG_EEES9_SI_JZNS1_25segmented_radix_sort_implINS0_14default_configELb0EPKhPhPKlPlN2at6native12_GLOBAL__N_18offset_tEEE10hipError_tPvRmT1_PNSt15iterator_traitsIS12_E10value_typeET2_T3_PNS13_IS18_E10value_typeET4_jRbjT5_S1E_jjP12ihipStream_tbEUljE_ZNSN_ISO_Lb0ESQ_SR_ST_SU_SY_EESZ_S10_S11_S12_S16_S17_S18_S1B_S1C_jS1D_jS1E_S1E_jjS1G_bEUljE0_EEESZ_S10_S11_S18_S1C_S1E_T6_T7_T9_mT8_S1G_bDpT10_ENKUlT_T0_E_clISt17integral_constantIbLb0EES1T_IbLb1EEEEDaS1P_S1Q_EUlS1P_E_NS1_11comp_targetILNS1_3genE9ELNS1_11target_archE1100ELNS1_3gpuE3ELNS1_3repE0EEENS1_30default_config_static_selectorELNS0_4arch9wavefront6targetE1EEEvS12_.private_seg_size, 0
	.set _ZN7rocprim17ROCPRIM_400000_NS6detail17trampoline_kernelINS0_13select_configILj256ELj13ELNS0_17block_load_methodE3ELS4_3ELS4_3ELNS0_20block_scan_algorithmE0ELj4294967295EEENS1_25partition_config_selectorILNS1_17partition_subalgoE4EjNS0_10empty_typeEbEEZZNS1_14partition_implILS8_4ELb0ES6_15HIP_vector_typeIjLj2EENS0_17counting_iteratorIjlEEPS9_SG_NS0_5tupleIJPjSI_NS0_16reverse_iteratorISI_EEEEENSH_IJSG_SG_SG_EEES9_SI_JZNS1_25segmented_radix_sort_implINS0_14default_configELb0EPKhPhPKlPlN2at6native12_GLOBAL__N_18offset_tEEE10hipError_tPvRmT1_PNSt15iterator_traitsIS12_E10value_typeET2_T3_PNS13_IS18_E10value_typeET4_jRbjT5_S1E_jjP12ihipStream_tbEUljE_ZNSN_ISO_Lb0ESQ_SR_ST_SU_SY_EESZ_S10_S11_S12_S16_S17_S18_S1B_S1C_jS1D_jS1E_S1E_jjS1G_bEUljE0_EEESZ_S10_S11_S18_S1C_S1E_T6_T7_T9_mT8_S1G_bDpT10_ENKUlT_T0_E_clISt17integral_constantIbLb0EES1T_IbLb1EEEEDaS1P_S1Q_EUlS1P_E_NS1_11comp_targetILNS1_3genE9ELNS1_11target_archE1100ELNS1_3gpuE3ELNS1_3repE0EEENS1_30default_config_static_selectorELNS0_4arch9wavefront6targetE1EEEvS12_.uses_vcc, 0
	.set _ZN7rocprim17ROCPRIM_400000_NS6detail17trampoline_kernelINS0_13select_configILj256ELj13ELNS0_17block_load_methodE3ELS4_3ELS4_3ELNS0_20block_scan_algorithmE0ELj4294967295EEENS1_25partition_config_selectorILNS1_17partition_subalgoE4EjNS0_10empty_typeEbEEZZNS1_14partition_implILS8_4ELb0ES6_15HIP_vector_typeIjLj2EENS0_17counting_iteratorIjlEEPS9_SG_NS0_5tupleIJPjSI_NS0_16reverse_iteratorISI_EEEEENSH_IJSG_SG_SG_EEES9_SI_JZNS1_25segmented_radix_sort_implINS0_14default_configELb0EPKhPhPKlPlN2at6native12_GLOBAL__N_18offset_tEEE10hipError_tPvRmT1_PNSt15iterator_traitsIS12_E10value_typeET2_T3_PNS13_IS18_E10value_typeET4_jRbjT5_S1E_jjP12ihipStream_tbEUljE_ZNSN_ISO_Lb0ESQ_SR_ST_SU_SY_EESZ_S10_S11_S12_S16_S17_S18_S1B_S1C_jS1D_jS1E_S1E_jjS1G_bEUljE0_EEESZ_S10_S11_S18_S1C_S1E_T6_T7_T9_mT8_S1G_bDpT10_ENKUlT_T0_E_clISt17integral_constantIbLb0EES1T_IbLb1EEEEDaS1P_S1Q_EUlS1P_E_NS1_11comp_targetILNS1_3genE9ELNS1_11target_archE1100ELNS1_3gpuE3ELNS1_3repE0EEENS1_30default_config_static_selectorELNS0_4arch9wavefront6targetE1EEEvS12_.uses_flat_scratch, 0
	.set _ZN7rocprim17ROCPRIM_400000_NS6detail17trampoline_kernelINS0_13select_configILj256ELj13ELNS0_17block_load_methodE3ELS4_3ELS4_3ELNS0_20block_scan_algorithmE0ELj4294967295EEENS1_25partition_config_selectorILNS1_17partition_subalgoE4EjNS0_10empty_typeEbEEZZNS1_14partition_implILS8_4ELb0ES6_15HIP_vector_typeIjLj2EENS0_17counting_iteratorIjlEEPS9_SG_NS0_5tupleIJPjSI_NS0_16reverse_iteratorISI_EEEEENSH_IJSG_SG_SG_EEES9_SI_JZNS1_25segmented_radix_sort_implINS0_14default_configELb0EPKhPhPKlPlN2at6native12_GLOBAL__N_18offset_tEEE10hipError_tPvRmT1_PNSt15iterator_traitsIS12_E10value_typeET2_T3_PNS13_IS18_E10value_typeET4_jRbjT5_S1E_jjP12ihipStream_tbEUljE_ZNSN_ISO_Lb0ESQ_SR_ST_SU_SY_EESZ_S10_S11_S12_S16_S17_S18_S1B_S1C_jS1D_jS1E_S1E_jjS1G_bEUljE0_EEESZ_S10_S11_S18_S1C_S1E_T6_T7_T9_mT8_S1G_bDpT10_ENKUlT_T0_E_clISt17integral_constantIbLb0EES1T_IbLb1EEEEDaS1P_S1Q_EUlS1P_E_NS1_11comp_targetILNS1_3genE9ELNS1_11target_archE1100ELNS1_3gpuE3ELNS1_3repE0EEENS1_30default_config_static_selectorELNS0_4arch9wavefront6targetE1EEEvS12_.has_dyn_sized_stack, 0
	.set _ZN7rocprim17ROCPRIM_400000_NS6detail17trampoline_kernelINS0_13select_configILj256ELj13ELNS0_17block_load_methodE3ELS4_3ELS4_3ELNS0_20block_scan_algorithmE0ELj4294967295EEENS1_25partition_config_selectorILNS1_17partition_subalgoE4EjNS0_10empty_typeEbEEZZNS1_14partition_implILS8_4ELb0ES6_15HIP_vector_typeIjLj2EENS0_17counting_iteratorIjlEEPS9_SG_NS0_5tupleIJPjSI_NS0_16reverse_iteratorISI_EEEEENSH_IJSG_SG_SG_EEES9_SI_JZNS1_25segmented_radix_sort_implINS0_14default_configELb0EPKhPhPKlPlN2at6native12_GLOBAL__N_18offset_tEEE10hipError_tPvRmT1_PNSt15iterator_traitsIS12_E10value_typeET2_T3_PNS13_IS18_E10value_typeET4_jRbjT5_S1E_jjP12ihipStream_tbEUljE_ZNSN_ISO_Lb0ESQ_SR_ST_SU_SY_EESZ_S10_S11_S12_S16_S17_S18_S1B_S1C_jS1D_jS1E_S1E_jjS1G_bEUljE0_EEESZ_S10_S11_S18_S1C_S1E_T6_T7_T9_mT8_S1G_bDpT10_ENKUlT_T0_E_clISt17integral_constantIbLb0EES1T_IbLb1EEEEDaS1P_S1Q_EUlS1P_E_NS1_11comp_targetILNS1_3genE9ELNS1_11target_archE1100ELNS1_3gpuE3ELNS1_3repE0EEENS1_30default_config_static_selectorELNS0_4arch9wavefront6targetE1EEEvS12_.has_recursion, 0
	.set _ZN7rocprim17ROCPRIM_400000_NS6detail17trampoline_kernelINS0_13select_configILj256ELj13ELNS0_17block_load_methodE3ELS4_3ELS4_3ELNS0_20block_scan_algorithmE0ELj4294967295EEENS1_25partition_config_selectorILNS1_17partition_subalgoE4EjNS0_10empty_typeEbEEZZNS1_14partition_implILS8_4ELb0ES6_15HIP_vector_typeIjLj2EENS0_17counting_iteratorIjlEEPS9_SG_NS0_5tupleIJPjSI_NS0_16reverse_iteratorISI_EEEEENSH_IJSG_SG_SG_EEES9_SI_JZNS1_25segmented_radix_sort_implINS0_14default_configELb0EPKhPhPKlPlN2at6native12_GLOBAL__N_18offset_tEEE10hipError_tPvRmT1_PNSt15iterator_traitsIS12_E10value_typeET2_T3_PNS13_IS18_E10value_typeET4_jRbjT5_S1E_jjP12ihipStream_tbEUljE_ZNSN_ISO_Lb0ESQ_SR_ST_SU_SY_EESZ_S10_S11_S12_S16_S17_S18_S1B_S1C_jS1D_jS1E_S1E_jjS1G_bEUljE0_EEESZ_S10_S11_S18_S1C_S1E_T6_T7_T9_mT8_S1G_bDpT10_ENKUlT_T0_E_clISt17integral_constantIbLb0EES1T_IbLb1EEEEDaS1P_S1Q_EUlS1P_E_NS1_11comp_targetILNS1_3genE9ELNS1_11target_archE1100ELNS1_3gpuE3ELNS1_3repE0EEENS1_30default_config_static_selectorELNS0_4arch9wavefront6targetE1EEEvS12_.has_indirect_call, 0
	.section	.AMDGPU.csdata,"",@progbits
; Kernel info:
; codeLenInByte = 0
; TotalNumSgprs: 4
; NumVgprs: 0
; ScratchSize: 0
; MemoryBound: 0
; FloatMode: 240
; IeeeMode: 1
; LDSByteSize: 0 bytes/workgroup (compile time only)
; SGPRBlocks: 0
; VGPRBlocks: 0
; NumSGPRsForWavesPerEU: 4
; NumVGPRsForWavesPerEU: 1
; Occupancy: 10
; WaveLimiterHint : 0
; COMPUTE_PGM_RSRC2:SCRATCH_EN: 0
; COMPUTE_PGM_RSRC2:USER_SGPR: 6
; COMPUTE_PGM_RSRC2:TRAP_HANDLER: 0
; COMPUTE_PGM_RSRC2:TGID_X_EN: 1
; COMPUTE_PGM_RSRC2:TGID_Y_EN: 0
; COMPUTE_PGM_RSRC2:TGID_Z_EN: 0
; COMPUTE_PGM_RSRC2:TIDIG_COMP_CNT: 0
	.section	.text._ZN7rocprim17ROCPRIM_400000_NS6detail17trampoline_kernelINS0_13select_configILj256ELj13ELNS0_17block_load_methodE3ELS4_3ELS4_3ELNS0_20block_scan_algorithmE0ELj4294967295EEENS1_25partition_config_selectorILNS1_17partition_subalgoE4EjNS0_10empty_typeEbEEZZNS1_14partition_implILS8_4ELb0ES6_15HIP_vector_typeIjLj2EENS0_17counting_iteratorIjlEEPS9_SG_NS0_5tupleIJPjSI_NS0_16reverse_iteratorISI_EEEEENSH_IJSG_SG_SG_EEES9_SI_JZNS1_25segmented_radix_sort_implINS0_14default_configELb0EPKhPhPKlPlN2at6native12_GLOBAL__N_18offset_tEEE10hipError_tPvRmT1_PNSt15iterator_traitsIS12_E10value_typeET2_T3_PNS13_IS18_E10value_typeET4_jRbjT5_S1E_jjP12ihipStream_tbEUljE_ZNSN_ISO_Lb0ESQ_SR_ST_SU_SY_EESZ_S10_S11_S12_S16_S17_S18_S1B_S1C_jS1D_jS1E_S1E_jjS1G_bEUljE0_EEESZ_S10_S11_S18_S1C_S1E_T6_T7_T9_mT8_S1G_bDpT10_ENKUlT_T0_E_clISt17integral_constantIbLb0EES1T_IbLb1EEEEDaS1P_S1Q_EUlS1P_E_NS1_11comp_targetILNS1_3genE8ELNS1_11target_archE1030ELNS1_3gpuE2ELNS1_3repE0EEENS1_30default_config_static_selectorELNS0_4arch9wavefront6targetE1EEEvS12_,"axG",@progbits,_ZN7rocprim17ROCPRIM_400000_NS6detail17trampoline_kernelINS0_13select_configILj256ELj13ELNS0_17block_load_methodE3ELS4_3ELS4_3ELNS0_20block_scan_algorithmE0ELj4294967295EEENS1_25partition_config_selectorILNS1_17partition_subalgoE4EjNS0_10empty_typeEbEEZZNS1_14partition_implILS8_4ELb0ES6_15HIP_vector_typeIjLj2EENS0_17counting_iteratorIjlEEPS9_SG_NS0_5tupleIJPjSI_NS0_16reverse_iteratorISI_EEEEENSH_IJSG_SG_SG_EEES9_SI_JZNS1_25segmented_radix_sort_implINS0_14default_configELb0EPKhPhPKlPlN2at6native12_GLOBAL__N_18offset_tEEE10hipError_tPvRmT1_PNSt15iterator_traitsIS12_E10value_typeET2_T3_PNS13_IS18_E10value_typeET4_jRbjT5_S1E_jjP12ihipStream_tbEUljE_ZNSN_ISO_Lb0ESQ_SR_ST_SU_SY_EESZ_S10_S11_S12_S16_S17_S18_S1B_S1C_jS1D_jS1E_S1E_jjS1G_bEUljE0_EEESZ_S10_S11_S18_S1C_S1E_T6_T7_T9_mT8_S1G_bDpT10_ENKUlT_T0_E_clISt17integral_constantIbLb0EES1T_IbLb1EEEEDaS1P_S1Q_EUlS1P_E_NS1_11comp_targetILNS1_3genE8ELNS1_11target_archE1030ELNS1_3gpuE2ELNS1_3repE0EEENS1_30default_config_static_selectorELNS0_4arch9wavefront6targetE1EEEvS12_,comdat
	.globl	_ZN7rocprim17ROCPRIM_400000_NS6detail17trampoline_kernelINS0_13select_configILj256ELj13ELNS0_17block_load_methodE3ELS4_3ELS4_3ELNS0_20block_scan_algorithmE0ELj4294967295EEENS1_25partition_config_selectorILNS1_17partition_subalgoE4EjNS0_10empty_typeEbEEZZNS1_14partition_implILS8_4ELb0ES6_15HIP_vector_typeIjLj2EENS0_17counting_iteratorIjlEEPS9_SG_NS0_5tupleIJPjSI_NS0_16reverse_iteratorISI_EEEEENSH_IJSG_SG_SG_EEES9_SI_JZNS1_25segmented_radix_sort_implINS0_14default_configELb0EPKhPhPKlPlN2at6native12_GLOBAL__N_18offset_tEEE10hipError_tPvRmT1_PNSt15iterator_traitsIS12_E10value_typeET2_T3_PNS13_IS18_E10value_typeET4_jRbjT5_S1E_jjP12ihipStream_tbEUljE_ZNSN_ISO_Lb0ESQ_SR_ST_SU_SY_EESZ_S10_S11_S12_S16_S17_S18_S1B_S1C_jS1D_jS1E_S1E_jjS1G_bEUljE0_EEESZ_S10_S11_S18_S1C_S1E_T6_T7_T9_mT8_S1G_bDpT10_ENKUlT_T0_E_clISt17integral_constantIbLb0EES1T_IbLb1EEEEDaS1P_S1Q_EUlS1P_E_NS1_11comp_targetILNS1_3genE8ELNS1_11target_archE1030ELNS1_3gpuE2ELNS1_3repE0EEENS1_30default_config_static_selectorELNS0_4arch9wavefront6targetE1EEEvS12_ ; -- Begin function _ZN7rocprim17ROCPRIM_400000_NS6detail17trampoline_kernelINS0_13select_configILj256ELj13ELNS0_17block_load_methodE3ELS4_3ELS4_3ELNS0_20block_scan_algorithmE0ELj4294967295EEENS1_25partition_config_selectorILNS1_17partition_subalgoE4EjNS0_10empty_typeEbEEZZNS1_14partition_implILS8_4ELb0ES6_15HIP_vector_typeIjLj2EENS0_17counting_iteratorIjlEEPS9_SG_NS0_5tupleIJPjSI_NS0_16reverse_iteratorISI_EEEEENSH_IJSG_SG_SG_EEES9_SI_JZNS1_25segmented_radix_sort_implINS0_14default_configELb0EPKhPhPKlPlN2at6native12_GLOBAL__N_18offset_tEEE10hipError_tPvRmT1_PNSt15iterator_traitsIS12_E10value_typeET2_T3_PNS13_IS18_E10value_typeET4_jRbjT5_S1E_jjP12ihipStream_tbEUljE_ZNSN_ISO_Lb0ESQ_SR_ST_SU_SY_EESZ_S10_S11_S12_S16_S17_S18_S1B_S1C_jS1D_jS1E_S1E_jjS1G_bEUljE0_EEESZ_S10_S11_S18_S1C_S1E_T6_T7_T9_mT8_S1G_bDpT10_ENKUlT_T0_E_clISt17integral_constantIbLb0EES1T_IbLb1EEEEDaS1P_S1Q_EUlS1P_E_NS1_11comp_targetILNS1_3genE8ELNS1_11target_archE1030ELNS1_3gpuE2ELNS1_3repE0EEENS1_30default_config_static_selectorELNS0_4arch9wavefront6targetE1EEEvS12_
	.p2align	8
	.type	_ZN7rocprim17ROCPRIM_400000_NS6detail17trampoline_kernelINS0_13select_configILj256ELj13ELNS0_17block_load_methodE3ELS4_3ELS4_3ELNS0_20block_scan_algorithmE0ELj4294967295EEENS1_25partition_config_selectorILNS1_17partition_subalgoE4EjNS0_10empty_typeEbEEZZNS1_14partition_implILS8_4ELb0ES6_15HIP_vector_typeIjLj2EENS0_17counting_iteratorIjlEEPS9_SG_NS0_5tupleIJPjSI_NS0_16reverse_iteratorISI_EEEEENSH_IJSG_SG_SG_EEES9_SI_JZNS1_25segmented_radix_sort_implINS0_14default_configELb0EPKhPhPKlPlN2at6native12_GLOBAL__N_18offset_tEEE10hipError_tPvRmT1_PNSt15iterator_traitsIS12_E10value_typeET2_T3_PNS13_IS18_E10value_typeET4_jRbjT5_S1E_jjP12ihipStream_tbEUljE_ZNSN_ISO_Lb0ESQ_SR_ST_SU_SY_EESZ_S10_S11_S12_S16_S17_S18_S1B_S1C_jS1D_jS1E_S1E_jjS1G_bEUljE0_EEESZ_S10_S11_S18_S1C_S1E_T6_T7_T9_mT8_S1G_bDpT10_ENKUlT_T0_E_clISt17integral_constantIbLb0EES1T_IbLb1EEEEDaS1P_S1Q_EUlS1P_E_NS1_11comp_targetILNS1_3genE8ELNS1_11target_archE1030ELNS1_3gpuE2ELNS1_3repE0EEENS1_30default_config_static_selectorELNS0_4arch9wavefront6targetE1EEEvS12_,@function
_ZN7rocprim17ROCPRIM_400000_NS6detail17trampoline_kernelINS0_13select_configILj256ELj13ELNS0_17block_load_methodE3ELS4_3ELS4_3ELNS0_20block_scan_algorithmE0ELj4294967295EEENS1_25partition_config_selectorILNS1_17partition_subalgoE4EjNS0_10empty_typeEbEEZZNS1_14partition_implILS8_4ELb0ES6_15HIP_vector_typeIjLj2EENS0_17counting_iteratorIjlEEPS9_SG_NS0_5tupleIJPjSI_NS0_16reverse_iteratorISI_EEEEENSH_IJSG_SG_SG_EEES9_SI_JZNS1_25segmented_radix_sort_implINS0_14default_configELb0EPKhPhPKlPlN2at6native12_GLOBAL__N_18offset_tEEE10hipError_tPvRmT1_PNSt15iterator_traitsIS12_E10value_typeET2_T3_PNS13_IS18_E10value_typeET4_jRbjT5_S1E_jjP12ihipStream_tbEUljE_ZNSN_ISO_Lb0ESQ_SR_ST_SU_SY_EESZ_S10_S11_S12_S16_S17_S18_S1B_S1C_jS1D_jS1E_S1E_jjS1G_bEUljE0_EEESZ_S10_S11_S18_S1C_S1E_T6_T7_T9_mT8_S1G_bDpT10_ENKUlT_T0_E_clISt17integral_constantIbLb0EES1T_IbLb1EEEEDaS1P_S1Q_EUlS1P_E_NS1_11comp_targetILNS1_3genE8ELNS1_11target_archE1030ELNS1_3gpuE2ELNS1_3repE0EEENS1_30default_config_static_selectorELNS0_4arch9wavefront6targetE1EEEvS12_: ; @_ZN7rocprim17ROCPRIM_400000_NS6detail17trampoline_kernelINS0_13select_configILj256ELj13ELNS0_17block_load_methodE3ELS4_3ELS4_3ELNS0_20block_scan_algorithmE0ELj4294967295EEENS1_25partition_config_selectorILNS1_17partition_subalgoE4EjNS0_10empty_typeEbEEZZNS1_14partition_implILS8_4ELb0ES6_15HIP_vector_typeIjLj2EENS0_17counting_iteratorIjlEEPS9_SG_NS0_5tupleIJPjSI_NS0_16reverse_iteratorISI_EEEEENSH_IJSG_SG_SG_EEES9_SI_JZNS1_25segmented_radix_sort_implINS0_14default_configELb0EPKhPhPKlPlN2at6native12_GLOBAL__N_18offset_tEEE10hipError_tPvRmT1_PNSt15iterator_traitsIS12_E10value_typeET2_T3_PNS13_IS18_E10value_typeET4_jRbjT5_S1E_jjP12ihipStream_tbEUljE_ZNSN_ISO_Lb0ESQ_SR_ST_SU_SY_EESZ_S10_S11_S12_S16_S17_S18_S1B_S1C_jS1D_jS1E_S1E_jjS1G_bEUljE0_EEESZ_S10_S11_S18_S1C_S1E_T6_T7_T9_mT8_S1G_bDpT10_ENKUlT_T0_E_clISt17integral_constantIbLb0EES1T_IbLb1EEEEDaS1P_S1Q_EUlS1P_E_NS1_11comp_targetILNS1_3genE8ELNS1_11target_archE1030ELNS1_3gpuE2ELNS1_3repE0EEENS1_30default_config_static_selectorELNS0_4arch9wavefront6targetE1EEEvS12_
; %bb.0:
	.section	.rodata,"a",@progbits
	.p2align	6, 0x0
	.amdhsa_kernel _ZN7rocprim17ROCPRIM_400000_NS6detail17trampoline_kernelINS0_13select_configILj256ELj13ELNS0_17block_load_methodE3ELS4_3ELS4_3ELNS0_20block_scan_algorithmE0ELj4294967295EEENS1_25partition_config_selectorILNS1_17partition_subalgoE4EjNS0_10empty_typeEbEEZZNS1_14partition_implILS8_4ELb0ES6_15HIP_vector_typeIjLj2EENS0_17counting_iteratorIjlEEPS9_SG_NS0_5tupleIJPjSI_NS0_16reverse_iteratorISI_EEEEENSH_IJSG_SG_SG_EEES9_SI_JZNS1_25segmented_radix_sort_implINS0_14default_configELb0EPKhPhPKlPlN2at6native12_GLOBAL__N_18offset_tEEE10hipError_tPvRmT1_PNSt15iterator_traitsIS12_E10value_typeET2_T3_PNS13_IS18_E10value_typeET4_jRbjT5_S1E_jjP12ihipStream_tbEUljE_ZNSN_ISO_Lb0ESQ_SR_ST_SU_SY_EESZ_S10_S11_S12_S16_S17_S18_S1B_S1C_jS1D_jS1E_S1E_jjS1G_bEUljE0_EEESZ_S10_S11_S18_S1C_S1E_T6_T7_T9_mT8_S1G_bDpT10_ENKUlT_T0_E_clISt17integral_constantIbLb0EES1T_IbLb1EEEEDaS1P_S1Q_EUlS1P_E_NS1_11comp_targetILNS1_3genE8ELNS1_11target_archE1030ELNS1_3gpuE2ELNS1_3repE0EEENS1_30default_config_static_selectorELNS0_4arch9wavefront6targetE1EEEvS12_
		.amdhsa_group_segment_fixed_size 0
		.amdhsa_private_segment_fixed_size 0
		.amdhsa_kernarg_size 184
		.amdhsa_user_sgpr_count 6
		.amdhsa_user_sgpr_private_segment_buffer 1
		.amdhsa_user_sgpr_dispatch_ptr 0
		.amdhsa_user_sgpr_queue_ptr 0
		.amdhsa_user_sgpr_kernarg_segment_ptr 1
		.amdhsa_user_sgpr_dispatch_id 0
		.amdhsa_user_sgpr_flat_scratch_init 0
		.amdhsa_user_sgpr_private_segment_size 0
		.amdhsa_uses_dynamic_stack 0
		.amdhsa_system_sgpr_private_segment_wavefront_offset 0
		.amdhsa_system_sgpr_workgroup_id_x 1
		.amdhsa_system_sgpr_workgroup_id_y 0
		.amdhsa_system_sgpr_workgroup_id_z 0
		.amdhsa_system_sgpr_workgroup_info 0
		.amdhsa_system_vgpr_workitem_id 0
		.amdhsa_next_free_vgpr 1
		.amdhsa_next_free_sgpr 0
		.amdhsa_reserve_vcc 0
		.amdhsa_reserve_flat_scratch 0
		.amdhsa_float_round_mode_32 0
		.amdhsa_float_round_mode_16_64 0
		.amdhsa_float_denorm_mode_32 3
		.amdhsa_float_denorm_mode_16_64 3
		.amdhsa_dx10_clamp 1
		.amdhsa_ieee_mode 1
		.amdhsa_fp16_overflow 0
		.amdhsa_exception_fp_ieee_invalid_op 0
		.amdhsa_exception_fp_denorm_src 0
		.amdhsa_exception_fp_ieee_div_zero 0
		.amdhsa_exception_fp_ieee_overflow 0
		.amdhsa_exception_fp_ieee_underflow 0
		.amdhsa_exception_fp_ieee_inexact 0
		.amdhsa_exception_int_div_zero 0
	.end_amdhsa_kernel
	.section	.text._ZN7rocprim17ROCPRIM_400000_NS6detail17trampoline_kernelINS0_13select_configILj256ELj13ELNS0_17block_load_methodE3ELS4_3ELS4_3ELNS0_20block_scan_algorithmE0ELj4294967295EEENS1_25partition_config_selectorILNS1_17partition_subalgoE4EjNS0_10empty_typeEbEEZZNS1_14partition_implILS8_4ELb0ES6_15HIP_vector_typeIjLj2EENS0_17counting_iteratorIjlEEPS9_SG_NS0_5tupleIJPjSI_NS0_16reverse_iteratorISI_EEEEENSH_IJSG_SG_SG_EEES9_SI_JZNS1_25segmented_radix_sort_implINS0_14default_configELb0EPKhPhPKlPlN2at6native12_GLOBAL__N_18offset_tEEE10hipError_tPvRmT1_PNSt15iterator_traitsIS12_E10value_typeET2_T3_PNS13_IS18_E10value_typeET4_jRbjT5_S1E_jjP12ihipStream_tbEUljE_ZNSN_ISO_Lb0ESQ_SR_ST_SU_SY_EESZ_S10_S11_S12_S16_S17_S18_S1B_S1C_jS1D_jS1E_S1E_jjS1G_bEUljE0_EEESZ_S10_S11_S18_S1C_S1E_T6_T7_T9_mT8_S1G_bDpT10_ENKUlT_T0_E_clISt17integral_constantIbLb0EES1T_IbLb1EEEEDaS1P_S1Q_EUlS1P_E_NS1_11comp_targetILNS1_3genE8ELNS1_11target_archE1030ELNS1_3gpuE2ELNS1_3repE0EEENS1_30default_config_static_selectorELNS0_4arch9wavefront6targetE1EEEvS12_,"axG",@progbits,_ZN7rocprim17ROCPRIM_400000_NS6detail17trampoline_kernelINS0_13select_configILj256ELj13ELNS0_17block_load_methodE3ELS4_3ELS4_3ELNS0_20block_scan_algorithmE0ELj4294967295EEENS1_25partition_config_selectorILNS1_17partition_subalgoE4EjNS0_10empty_typeEbEEZZNS1_14partition_implILS8_4ELb0ES6_15HIP_vector_typeIjLj2EENS0_17counting_iteratorIjlEEPS9_SG_NS0_5tupleIJPjSI_NS0_16reverse_iteratorISI_EEEEENSH_IJSG_SG_SG_EEES9_SI_JZNS1_25segmented_radix_sort_implINS0_14default_configELb0EPKhPhPKlPlN2at6native12_GLOBAL__N_18offset_tEEE10hipError_tPvRmT1_PNSt15iterator_traitsIS12_E10value_typeET2_T3_PNS13_IS18_E10value_typeET4_jRbjT5_S1E_jjP12ihipStream_tbEUljE_ZNSN_ISO_Lb0ESQ_SR_ST_SU_SY_EESZ_S10_S11_S12_S16_S17_S18_S1B_S1C_jS1D_jS1E_S1E_jjS1G_bEUljE0_EEESZ_S10_S11_S18_S1C_S1E_T6_T7_T9_mT8_S1G_bDpT10_ENKUlT_T0_E_clISt17integral_constantIbLb0EES1T_IbLb1EEEEDaS1P_S1Q_EUlS1P_E_NS1_11comp_targetILNS1_3genE8ELNS1_11target_archE1030ELNS1_3gpuE2ELNS1_3repE0EEENS1_30default_config_static_selectorELNS0_4arch9wavefront6targetE1EEEvS12_,comdat
.Lfunc_end153:
	.size	_ZN7rocprim17ROCPRIM_400000_NS6detail17trampoline_kernelINS0_13select_configILj256ELj13ELNS0_17block_load_methodE3ELS4_3ELS4_3ELNS0_20block_scan_algorithmE0ELj4294967295EEENS1_25partition_config_selectorILNS1_17partition_subalgoE4EjNS0_10empty_typeEbEEZZNS1_14partition_implILS8_4ELb0ES6_15HIP_vector_typeIjLj2EENS0_17counting_iteratorIjlEEPS9_SG_NS0_5tupleIJPjSI_NS0_16reverse_iteratorISI_EEEEENSH_IJSG_SG_SG_EEES9_SI_JZNS1_25segmented_radix_sort_implINS0_14default_configELb0EPKhPhPKlPlN2at6native12_GLOBAL__N_18offset_tEEE10hipError_tPvRmT1_PNSt15iterator_traitsIS12_E10value_typeET2_T3_PNS13_IS18_E10value_typeET4_jRbjT5_S1E_jjP12ihipStream_tbEUljE_ZNSN_ISO_Lb0ESQ_SR_ST_SU_SY_EESZ_S10_S11_S12_S16_S17_S18_S1B_S1C_jS1D_jS1E_S1E_jjS1G_bEUljE0_EEESZ_S10_S11_S18_S1C_S1E_T6_T7_T9_mT8_S1G_bDpT10_ENKUlT_T0_E_clISt17integral_constantIbLb0EES1T_IbLb1EEEEDaS1P_S1Q_EUlS1P_E_NS1_11comp_targetILNS1_3genE8ELNS1_11target_archE1030ELNS1_3gpuE2ELNS1_3repE0EEENS1_30default_config_static_selectorELNS0_4arch9wavefront6targetE1EEEvS12_, .Lfunc_end153-_ZN7rocprim17ROCPRIM_400000_NS6detail17trampoline_kernelINS0_13select_configILj256ELj13ELNS0_17block_load_methodE3ELS4_3ELS4_3ELNS0_20block_scan_algorithmE0ELj4294967295EEENS1_25partition_config_selectorILNS1_17partition_subalgoE4EjNS0_10empty_typeEbEEZZNS1_14partition_implILS8_4ELb0ES6_15HIP_vector_typeIjLj2EENS0_17counting_iteratorIjlEEPS9_SG_NS0_5tupleIJPjSI_NS0_16reverse_iteratorISI_EEEEENSH_IJSG_SG_SG_EEES9_SI_JZNS1_25segmented_radix_sort_implINS0_14default_configELb0EPKhPhPKlPlN2at6native12_GLOBAL__N_18offset_tEEE10hipError_tPvRmT1_PNSt15iterator_traitsIS12_E10value_typeET2_T3_PNS13_IS18_E10value_typeET4_jRbjT5_S1E_jjP12ihipStream_tbEUljE_ZNSN_ISO_Lb0ESQ_SR_ST_SU_SY_EESZ_S10_S11_S12_S16_S17_S18_S1B_S1C_jS1D_jS1E_S1E_jjS1G_bEUljE0_EEESZ_S10_S11_S18_S1C_S1E_T6_T7_T9_mT8_S1G_bDpT10_ENKUlT_T0_E_clISt17integral_constantIbLb0EES1T_IbLb1EEEEDaS1P_S1Q_EUlS1P_E_NS1_11comp_targetILNS1_3genE8ELNS1_11target_archE1030ELNS1_3gpuE2ELNS1_3repE0EEENS1_30default_config_static_selectorELNS0_4arch9wavefront6targetE1EEEvS12_
                                        ; -- End function
	.set _ZN7rocprim17ROCPRIM_400000_NS6detail17trampoline_kernelINS0_13select_configILj256ELj13ELNS0_17block_load_methodE3ELS4_3ELS4_3ELNS0_20block_scan_algorithmE0ELj4294967295EEENS1_25partition_config_selectorILNS1_17partition_subalgoE4EjNS0_10empty_typeEbEEZZNS1_14partition_implILS8_4ELb0ES6_15HIP_vector_typeIjLj2EENS0_17counting_iteratorIjlEEPS9_SG_NS0_5tupleIJPjSI_NS0_16reverse_iteratorISI_EEEEENSH_IJSG_SG_SG_EEES9_SI_JZNS1_25segmented_radix_sort_implINS0_14default_configELb0EPKhPhPKlPlN2at6native12_GLOBAL__N_18offset_tEEE10hipError_tPvRmT1_PNSt15iterator_traitsIS12_E10value_typeET2_T3_PNS13_IS18_E10value_typeET4_jRbjT5_S1E_jjP12ihipStream_tbEUljE_ZNSN_ISO_Lb0ESQ_SR_ST_SU_SY_EESZ_S10_S11_S12_S16_S17_S18_S1B_S1C_jS1D_jS1E_S1E_jjS1G_bEUljE0_EEESZ_S10_S11_S18_S1C_S1E_T6_T7_T9_mT8_S1G_bDpT10_ENKUlT_T0_E_clISt17integral_constantIbLb0EES1T_IbLb1EEEEDaS1P_S1Q_EUlS1P_E_NS1_11comp_targetILNS1_3genE8ELNS1_11target_archE1030ELNS1_3gpuE2ELNS1_3repE0EEENS1_30default_config_static_selectorELNS0_4arch9wavefront6targetE1EEEvS12_.num_vgpr, 0
	.set _ZN7rocprim17ROCPRIM_400000_NS6detail17trampoline_kernelINS0_13select_configILj256ELj13ELNS0_17block_load_methodE3ELS4_3ELS4_3ELNS0_20block_scan_algorithmE0ELj4294967295EEENS1_25partition_config_selectorILNS1_17partition_subalgoE4EjNS0_10empty_typeEbEEZZNS1_14partition_implILS8_4ELb0ES6_15HIP_vector_typeIjLj2EENS0_17counting_iteratorIjlEEPS9_SG_NS0_5tupleIJPjSI_NS0_16reverse_iteratorISI_EEEEENSH_IJSG_SG_SG_EEES9_SI_JZNS1_25segmented_radix_sort_implINS0_14default_configELb0EPKhPhPKlPlN2at6native12_GLOBAL__N_18offset_tEEE10hipError_tPvRmT1_PNSt15iterator_traitsIS12_E10value_typeET2_T3_PNS13_IS18_E10value_typeET4_jRbjT5_S1E_jjP12ihipStream_tbEUljE_ZNSN_ISO_Lb0ESQ_SR_ST_SU_SY_EESZ_S10_S11_S12_S16_S17_S18_S1B_S1C_jS1D_jS1E_S1E_jjS1G_bEUljE0_EEESZ_S10_S11_S18_S1C_S1E_T6_T7_T9_mT8_S1G_bDpT10_ENKUlT_T0_E_clISt17integral_constantIbLb0EES1T_IbLb1EEEEDaS1P_S1Q_EUlS1P_E_NS1_11comp_targetILNS1_3genE8ELNS1_11target_archE1030ELNS1_3gpuE2ELNS1_3repE0EEENS1_30default_config_static_selectorELNS0_4arch9wavefront6targetE1EEEvS12_.num_agpr, 0
	.set _ZN7rocprim17ROCPRIM_400000_NS6detail17trampoline_kernelINS0_13select_configILj256ELj13ELNS0_17block_load_methodE3ELS4_3ELS4_3ELNS0_20block_scan_algorithmE0ELj4294967295EEENS1_25partition_config_selectorILNS1_17partition_subalgoE4EjNS0_10empty_typeEbEEZZNS1_14partition_implILS8_4ELb0ES6_15HIP_vector_typeIjLj2EENS0_17counting_iteratorIjlEEPS9_SG_NS0_5tupleIJPjSI_NS0_16reverse_iteratorISI_EEEEENSH_IJSG_SG_SG_EEES9_SI_JZNS1_25segmented_radix_sort_implINS0_14default_configELb0EPKhPhPKlPlN2at6native12_GLOBAL__N_18offset_tEEE10hipError_tPvRmT1_PNSt15iterator_traitsIS12_E10value_typeET2_T3_PNS13_IS18_E10value_typeET4_jRbjT5_S1E_jjP12ihipStream_tbEUljE_ZNSN_ISO_Lb0ESQ_SR_ST_SU_SY_EESZ_S10_S11_S12_S16_S17_S18_S1B_S1C_jS1D_jS1E_S1E_jjS1G_bEUljE0_EEESZ_S10_S11_S18_S1C_S1E_T6_T7_T9_mT8_S1G_bDpT10_ENKUlT_T0_E_clISt17integral_constantIbLb0EES1T_IbLb1EEEEDaS1P_S1Q_EUlS1P_E_NS1_11comp_targetILNS1_3genE8ELNS1_11target_archE1030ELNS1_3gpuE2ELNS1_3repE0EEENS1_30default_config_static_selectorELNS0_4arch9wavefront6targetE1EEEvS12_.numbered_sgpr, 0
	.set _ZN7rocprim17ROCPRIM_400000_NS6detail17trampoline_kernelINS0_13select_configILj256ELj13ELNS0_17block_load_methodE3ELS4_3ELS4_3ELNS0_20block_scan_algorithmE0ELj4294967295EEENS1_25partition_config_selectorILNS1_17partition_subalgoE4EjNS0_10empty_typeEbEEZZNS1_14partition_implILS8_4ELb0ES6_15HIP_vector_typeIjLj2EENS0_17counting_iteratorIjlEEPS9_SG_NS0_5tupleIJPjSI_NS0_16reverse_iteratorISI_EEEEENSH_IJSG_SG_SG_EEES9_SI_JZNS1_25segmented_radix_sort_implINS0_14default_configELb0EPKhPhPKlPlN2at6native12_GLOBAL__N_18offset_tEEE10hipError_tPvRmT1_PNSt15iterator_traitsIS12_E10value_typeET2_T3_PNS13_IS18_E10value_typeET4_jRbjT5_S1E_jjP12ihipStream_tbEUljE_ZNSN_ISO_Lb0ESQ_SR_ST_SU_SY_EESZ_S10_S11_S12_S16_S17_S18_S1B_S1C_jS1D_jS1E_S1E_jjS1G_bEUljE0_EEESZ_S10_S11_S18_S1C_S1E_T6_T7_T9_mT8_S1G_bDpT10_ENKUlT_T0_E_clISt17integral_constantIbLb0EES1T_IbLb1EEEEDaS1P_S1Q_EUlS1P_E_NS1_11comp_targetILNS1_3genE8ELNS1_11target_archE1030ELNS1_3gpuE2ELNS1_3repE0EEENS1_30default_config_static_selectorELNS0_4arch9wavefront6targetE1EEEvS12_.num_named_barrier, 0
	.set _ZN7rocprim17ROCPRIM_400000_NS6detail17trampoline_kernelINS0_13select_configILj256ELj13ELNS0_17block_load_methodE3ELS4_3ELS4_3ELNS0_20block_scan_algorithmE0ELj4294967295EEENS1_25partition_config_selectorILNS1_17partition_subalgoE4EjNS0_10empty_typeEbEEZZNS1_14partition_implILS8_4ELb0ES6_15HIP_vector_typeIjLj2EENS0_17counting_iteratorIjlEEPS9_SG_NS0_5tupleIJPjSI_NS0_16reverse_iteratorISI_EEEEENSH_IJSG_SG_SG_EEES9_SI_JZNS1_25segmented_radix_sort_implINS0_14default_configELb0EPKhPhPKlPlN2at6native12_GLOBAL__N_18offset_tEEE10hipError_tPvRmT1_PNSt15iterator_traitsIS12_E10value_typeET2_T3_PNS13_IS18_E10value_typeET4_jRbjT5_S1E_jjP12ihipStream_tbEUljE_ZNSN_ISO_Lb0ESQ_SR_ST_SU_SY_EESZ_S10_S11_S12_S16_S17_S18_S1B_S1C_jS1D_jS1E_S1E_jjS1G_bEUljE0_EEESZ_S10_S11_S18_S1C_S1E_T6_T7_T9_mT8_S1G_bDpT10_ENKUlT_T0_E_clISt17integral_constantIbLb0EES1T_IbLb1EEEEDaS1P_S1Q_EUlS1P_E_NS1_11comp_targetILNS1_3genE8ELNS1_11target_archE1030ELNS1_3gpuE2ELNS1_3repE0EEENS1_30default_config_static_selectorELNS0_4arch9wavefront6targetE1EEEvS12_.private_seg_size, 0
	.set _ZN7rocprim17ROCPRIM_400000_NS6detail17trampoline_kernelINS0_13select_configILj256ELj13ELNS0_17block_load_methodE3ELS4_3ELS4_3ELNS0_20block_scan_algorithmE0ELj4294967295EEENS1_25partition_config_selectorILNS1_17partition_subalgoE4EjNS0_10empty_typeEbEEZZNS1_14partition_implILS8_4ELb0ES6_15HIP_vector_typeIjLj2EENS0_17counting_iteratorIjlEEPS9_SG_NS0_5tupleIJPjSI_NS0_16reverse_iteratorISI_EEEEENSH_IJSG_SG_SG_EEES9_SI_JZNS1_25segmented_radix_sort_implINS0_14default_configELb0EPKhPhPKlPlN2at6native12_GLOBAL__N_18offset_tEEE10hipError_tPvRmT1_PNSt15iterator_traitsIS12_E10value_typeET2_T3_PNS13_IS18_E10value_typeET4_jRbjT5_S1E_jjP12ihipStream_tbEUljE_ZNSN_ISO_Lb0ESQ_SR_ST_SU_SY_EESZ_S10_S11_S12_S16_S17_S18_S1B_S1C_jS1D_jS1E_S1E_jjS1G_bEUljE0_EEESZ_S10_S11_S18_S1C_S1E_T6_T7_T9_mT8_S1G_bDpT10_ENKUlT_T0_E_clISt17integral_constantIbLb0EES1T_IbLb1EEEEDaS1P_S1Q_EUlS1P_E_NS1_11comp_targetILNS1_3genE8ELNS1_11target_archE1030ELNS1_3gpuE2ELNS1_3repE0EEENS1_30default_config_static_selectorELNS0_4arch9wavefront6targetE1EEEvS12_.uses_vcc, 0
	.set _ZN7rocprim17ROCPRIM_400000_NS6detail17trampoline_kernelINS0_13select_configILj256ELj13ELNS0_17block_load_methodE3ELS4_3ELS4_3ELNS0_20block_scan_algorithmE0ELj4294967295EEENS1_25partition_config_selectorILNS1_17partition_subalgoE4EjNS0_10empty_typeEbEEZZNS1_14partition_implILS8_4ELb0ES6_15HIP_vector_typeIjLj2EENS0_17counting_iteratorIjlEEPS9_SG_NS0_5tupleIJPjSI_NS0_16reverse_iteratorISI_EEEEENSH_IJSG_SG_SG_EEES9_SI_JZNS1_25segmented_radix_sort_implINS0_14default_configELb0EPKhPhPKlPlN2at6native12_GLOBAL__N_18offset_tEEE10hipError_tPvRmT1_PNSt15iterator_traitsIS12_E10value_typeET2_T3_PNS13_IS18_E10value_typeET4_jRbjT5_S1E_jjP12ihipStream_tbEUljE_ZNSN_ISO_Lb0ESQ_SR_ST_SU_SY_EESZ_S10_S11_S12_S16_S17_S18_S1B_S1C_jS1D_jS1E_S1E_jjS1G_bEUljE0_EEESZ_S10_S11_S18_S1C_S1E_T6_T7_T9_mT8_S1G_bDpT10_ENKUlT_T0_E_clISt17integral_constantIbLb0EES1T_IbLb1EEEEDaS1P_S1Q_EUlS1P_E_NS1_11comp_targetILNS1_3genE8ELNS1_11target_archE1030ELNS1_3gpuE2ELNS1_3repE0EEENS1_30default_config_static_selectorELNS0_4arch9wavefront6targetE1EEEvS12_.uses_flat_scratch, 0
	.set _ZN7rocprim17ROCPRIM_400000_NS6detail17trampoline_kernelINS0_13select_configILj256ELj13ELNS0_17block_load_methodE3ELS4_3ELS4_3ELNS0_20block_scan_algorithmE0ELj4294967295EEENS1_25partition_config_selectorILNS1_17partition_subalgoE4EjNS0_10empty_typeEbEEZZNS1_14partition_implILS8_4ELb0ES6_15HIP_vector_typeIjLj2EENS0_17counting_iteratorIjlEEPS9_SG_NS0_5tupleIJPjSI_NS0_16reverse_iteratorISI_EEEEENSH_IJSG_SG_SG_EEES9_SI_JZNS1_25segmented_radix_sort_implINS0_14default_configELb0EPKhPhPKlPlN2at6native12_GLOBAL__N_18offset_tEEE10hipError_tPvRmT1_PNSt15iterator_traitsIS12_E10value_typeET2_T3_PNS13_IS18_E10value_typeET4_jRbjT5_S1E_jjP12ihipStream_tbEUljE_ZNSN_ISO_Lb0ESQ_SR_ST_SU_SY_EESZ_S10_S11_S12_S16_S17_S18_S1B_S1C_jS1D_jS1E_S1E_jjS1G_bEUljE0_EEESZ_S10_S11_S18_S1C_S1E_T6_T7_T9_mT8_S1G_bDpT10_ENKUlT_T0_E_clISt17integral_constantIbLb0EES1T_IbLb1EEEEDaS1P_S1Q_EUlS1P_E_NS1_11comp_targetILNS1_3genE8ELNS1_11target_archE1030ELNS1_3gpuE2ELNS1_3repE0EEENS1_30default_config_static_selectorELNS0_4arch9wavefront6targetE1EEEvS12_.has_dyn_sized_stack, 0
	.set _ZN7rocprim17ROCPRIM_400000_NS6detail17trampoline_kernelINS0_13select_configILj256ELj13ELNS0_17block_load_methodE3ELS4_3ELS4_3ELNS0_20block_scan_algorithmE0ELj4294967295EEENS1_25partition_config_selectorILNS1_17partition_subalgoE4EjNS0_10empty_typeEbEEZZNS1_14partition_implILS8_4ELb0ES6_15HIP_vector_typeIjLj2EENS0_17counting_iteratorIjlEEPS9_SG_NS0_5tupleIJPjSI_NS0_16reverse_iteratorISI_EEEEENSH_IJSG_SG_SG_EEES9_SI_JZNS1_25segmented_radix_sort_implINS0_14default_configELb0EPKhPhPKlPlN2at6native12_GLOBAL__N_18offset_tEEE10hipError_tPvRmT1_PNSt15iterator_traitsIS12_E10value_typeET2_T3_PNS13_IS18_E10value_typeET4_jRbjT5_S1E_jjP12ihipStream_tbEUljE_ZNSN_ISO_Lb0ESQ_SR_ST_SU_SY_EESZ_S10_S11_S12_S16_S17_S18_S1B_S1C_jS1D_jS1E_S1E_jjS1G_bEUljE0_EEESZ_S10_S11_S18_S1C_S1E_T6_T7_T9_mT8_S1G_bDpT10_ENKUlT_T0_E_clISt17integral_constantIbLb0EES1T_IbLb1EEEEDaS1P_S1Q_EUlS1P_E_NS1_11comp_targetILNS1_3genE8ELNS1_11target_archE1030ELNS1_3gpuE2ELNS1_3repE0EEENS1_30default_config_static_selectorELNS0_4arch9wavefront6targetE1EEEvS12_.has_recursion, 0
	.set _ZN7rocprim17ROCPRIM_400000_NS6detail17trampoline_kernelINS0_13select_configILj256ELj13ELNS0_17block_load_methodE3ELS4_3ELS4_3ELNS0_20block_scan_algorithmE0ELj4294967295EEENS1_25partition_config_selectorILNS1_17partition_subalgoE4EjNS0_10empty_typeEbEEZZNS1_14partition_implILS8_4ELb0ES6_15HIP_vector_typeIjLj2EENS0_17counting_iteratorIjlEEPS9_SG_NS0_5tupleIJPjSI_NS0_16reverse_iteratorISI_EEEEENSH_IJSG_SG_SG_EEES9_SI_JZNS1_25segmented_radix_sort_implINS0_14default_configELb0EPKhPhPKlPlN2at6native12_GLOBAL__N_18offset_tEEE10hipError_tPvRmT1_PNSt15iterator_traitsIS12_E10value_typeET2_T3_PNS13_IS18_E10value_typeET4_jRbjT5_S1E_jjP12ihipStream_tbEUljE_ZNSN_ISO_Lb0ESQ_SR_ST_SU_SY_EESZ_S10_S11_S12_S16_S17_S18_S1B_S1C_jS1D_jS1E_S1E_jjS1G_bEUljE0_EEESZ_S10_S11_S18_S1C_S1E_T6_T7_T9_mT8_S1G_bDpT10_ENKUlT_T0_E_clISt17integral_constantIbLb0EES1T_IbLb1EEEEDaS1P_S1Q_EUlS1P_E_NS1_11comp_targetILNS1_3genE8ELNS1_11target_archE1030ELNS1_3gpuE2ELNS1_3repE0EEENS1_30default_config_static_selectorELNS0_4arch9wavefront6targetE1EEEvS12_.has_indirect_call, 0
	.section	.AMDGPU.csdata,"",@progbits
; Kernel info:
; codeLenInByte = 0
; TotalNumSgprs: 4
; NumVgprs: 0
; ScratchSize: 0
; MemoryBound: 0
; FloatMode: 240
; IeeeMode: 1
; LDSByteSize: 0 bytes/workgroup (compile time only)
; SGPRBlocks: 0
; VGPRBlocks: 0
; NumSGPRsForWavesPerEU: 4
; NumVGPRsForWavesPerEU: 1
; Occupancy: 10
; WaveLimiterHint : 0
; COMPUTE_PGM_RSRC2:SCRATCH_EN: 0
; COMPUTE_PGM_RSRC2:USER_SGPR: 6
; COMPUTE_PGM_RSRC2:TRAP_HANDLER: 0
; COMPUTE_PGM_RSRC2:TGID_X_EN: 1
; COMPUTE_PGM_RSRC2:TGID_Y_EN: 0
; COMPUTE_PGM_RSRC2:TGID_Z_EN: 0
; COMPUTE_PGM_RSRC2:TIDIG_COMP_CNT: 0
	.section	.text._ZN7rocprim17ROCPRIM_400000_NS6detail17trampoline_kernelINS0_13select_configILj256ELj13ELNS0_17block_load_methodE3ELS4_3ELS4_3ELNS0_20block_scan_algorithmE0ELj4294967295EEENS1_25partition_config_selectorILNS1_17partition_subalgoE3EjNS0_10empty_typeEbEEZZNS1_14partition_implILS8_3ELb0ES6_jNS0_17counting_iteratorIjlEEPS9_SE_NS0_5tupleIJPjSE_EEENSF_IJSE_SE_EEES9_SG_JZNS1_25segmented_radix_sort_implINS0_14default_configELb0EPKhPhPKlPlN2at6native12_GLOBAL__N_18offset_tEEE10hipError_tPvRmT1_PNSt15iterator_traitsISY_E10value_typeET2_T3_PNSZ_IS14_E10value_typeET4_jRbjT5_S1A_jjP12ihipStream_tbEUljE_EEESV_SW_SX_S14_S18_S1A_T6_T7_T9_mT8_S1C_bDpT10_ENKUlT_T0_E_clISt17integral_constantIbLb0EES1P_EEDaS1K_S1L_EUlS1K_E_NS1_11comp_targetILNS1_3genE0ELNS1_11target_archE4294967295ELNS1_3gpuE0ELNS1_3repE0EEENS1_30default_config_static_selectorELNS0_4arch9wavefront6targetE1EEEvSY_,"axG",@progbits,_ZN7rocprim17ROCPRIM_400000_NS6detail17trampoline_kernelINS0_13select_configILj256ELj13ELNS0_17block_load_methodE3ELS4_3ELS4_3ELNS0_20block_scan_algorithmE0ELj4294967295EEENS1_25partition_config_selectorILNS1_17partition_subalgoE3EjNS0_10empty_typeEbEEZZNS1_14partition_implILS8_3ELb0ES6_jNS0_17counting_iteratorIjlEEPS9_SE_NS0_5tupleIJPjSE_EEENSF_IJSE_SE_EEES9_SG_JZNS1_25segmented_radix_sort_implINS0_14default_configELb0EPKhPhPKlPlN2at6native12_GLOBAL__N_18offset_tEEE10hipError_tPvRmT1_PNSt15iterator_traitsISY_E10value_typeET2_T3_PNSZ_IS14_E10value_typeET4_jRbjT5_S1A_jjP12ihipStream_tbEUljE_EEESV_SW_SX_S14_S18_S1A_T6_T7_T9_mT8_S1C_bDpT10_ENKUlT_T0_E_clISt17integral_constantIbLb0EES1P_EEDaS1K_S1L_EUlS1K_E_NS1_11comp_targetILNS1_3genE0ELNS1_11target_archE4294967295ELNS1_3gpuE0ELNS1_3repE0EEENS1_30default_config_static_selectorELNS0_4arch9wavefront6targetE1EEEvSY_,comdat
	.globl	_ZN7rocprim17ROCPRIM_400000_NS6detail17trampoline_kernelINS0_13select_configILj256ELj13ELNS0_17block_load_methodE3ELS4_3ELS4_3ELNS0_20block_scan_algorithmE0ELj4294967295EEENS1_25partition_config_selectorILNS1_17partition_subalgoE3EjNS0_10empty_typeEbEEZZNS1_14partition_implILS8_3ELb0ES6_jNS0_17counting_iteratorIjlEEPS9_SE_NS0_5tupleIJPjSE_EEENSF_IJSE_SE_EEES9_SG_JZNS1_25segmented_radix_sort_implINS0_14default_configELb0EPKhPhPKlPlN2at6native12_GLOBAL__N_18offset_tEEE10hipError_tPvRmT1_PNSt15iterator_traitsISY_E10value_typeET2_T3_PNSZ_IS14_E10value_typeET4_jRbjT5_S1A_jjP12ihipStream_tbEUljE_EEESV_SW_SX_S14_S18_S1A_T6_T7_T9_mT8_S1C_bDpT10_ENKUlT_T0_E_clISt17integral_constantIbLb0EES1P_EEDaS1K_S1L_EUlS1K_E_NS1_11comp_targetILNS1_3genE0ELNS1_11target_archE4294967295ELNS1_3gpuE0ELNS1_3repE0EEENS1_30default_config_static_selectorELNS0_4arch9wavefront6targetE1EEEvSY_ ; -- Begin function _ZN7rocprim17ROCPRIM_400000_NS6detail17trampoline_kernelINS0_13select_configILj256ELj13ELNS0_17block_load_methodE3ELS4_3ELS4_3ELNS0_20block_scan_algorithmE0ELj4294967295EEENS1_25partition_config_selectorILNS1_17partition_subalgoE3EjNS0_10empty_typeEbEEZZNS1_14partition_implILS8_3ELb0ES6_jNS0_17counting_iteratorIjlEEPS9_SE_NS0_5tupleIJPjSE_EEENSF_IJSE_SE_EEES9_SG_JZNS1_25segmented_radix_sort_implINS0_14default_configELb0EPKhPhPKlPlN2at6native12_GLOBAL__N_18offset_tEEE10hipError_tPvRmT1_PNSt15iterator_traitsISY_E10value_typeET2_T3_PNSZ_IS14_E10value_typeET4_jRbjT5_S1A_jjP12ihipStream_tbEUljE_EEESV_SW_SX_S14_S18_S1A_T6_T7_T9_mT8_S1C_bDpT10_ENKUlT_T0_E_clISt17integral_constantIbLb0EES1P_EEDaS1K_S1L_EUlS1K_E_NS1_11comp_targetILNS1_3genE0ELNS1_11target_archE4294967295ELNS1_3gpuE0ELNS1_3repE0EEENS1_30default_config_static_selectorELNS0_4arch9wavefront6targetE1EEEvSY_
	.p2align	8
	.type	_ZN7rocprim17ROCPRIM_400000_NS6detail17trampoline_kernelINS0_13select_configILj256ELj13ELNS0_17block_load_methodE3ELS4_3ELS4_3ELNS0_20block_scan_algorithmE0ELj4294967295EEENS1_25partition_config_selectorILNS1_17partition_subalgoE3EjNS0_10empty_typeEbEEZZNS1_14partition_implILS8_3ELb0ES6_jNS0_17counting_iteratorIjlEEPS9_SE_NS0_5tupleIJPjSE_EEENSF_IJSE_SE_EEES9_SG_JZNS1_25segmented_radix_sort_implINS0_14default_configELb0EPKhPhPKlPlN2at6native12_GLOBAL__N_18offset_tEEE10hipError_tPvRmT1_PNSt15iterator_traitsISY_E10value_typeET2_T3_PNSZ_IS14_E10value_typeET4_jRbjT5_S1A_jjP12ihipStream_tbEUljE_EEESV_SW_SX_S14_S18_S1A_T6_T7_T9_mT8_S1C_bDpT10_ENKUlT_T0_E_clISt17integral_constantIbLb0EES1P_EEDaS1K_S1L_EUlS1K_E_NS1_11comp_targetILNS1_3genE0ELNS1_11target_archE4294967295ELNS1_3gpuE0ELNS1_3repE0EEENS1_30default_config_static_selectorELNS0_4arch9wavefront6targetE1EEEvSY_,@function
_ZN7rocprim17ROCPRIM_400000_NS6detail17trampoline_kernelINS0_13select_configILj256ELj13ELNS0_17block_load_methodE3ELS4_3ELS4_3ELNS0_20block_scan_algorithmE0ELj4294967295EEENS1_25partition_config_selectorILNS1_17partition_subalgoE3EjNS0_10empty_typeEbEEZZNS1_14partition_implILS8_3ELb0ES6_jNS0_17counting_iteratorIjlEEPS9_SE_NS0_5tupleIJPjSE_EEENSF_IJSE_SE_EEES9_SG_JZNS1_25segmented_radix_sort_implINS0_14default_configELb0EPKhPhPKlPlN2at6native12_GLOBAL__N_18offset_tEEE10hipError_tPvRmT1_PNSt15iterator_traitsISY_E10value_typeET2_T3_PNSZ_IS14_E10value_typeET4_jRbjT5_S1A_jjP12ihipStream_tbEUljE_EEESV_SW_SX_S14_S18_S1A_T6_T7_T9_mT8_S1C_bDpT10_ENKUlT_T0_E_clISt17integral_constantIbLb0EES1P_EEDaS1K_S1L_EUlS1K_E_NS1_11comp_targetILNS1_3genE0ELNS1_11target_archE4294967295ELNS1_3gpuE0ELNS1_3repE0EEENS1_30default_config_static_selectorELNS0_4arch9wavefront6targetE1EEEvSY_: ; @_ZN7rocprim17ROCPRIM_400000_NS6detail17trampoline_kernelINS0_13select_configILj256ELj13ELNS0_17block_load_methodE3ELS4_3ELS4_3ELNS0_20block_scan_algorithmE0ELj4294967295EEENS1_25partition_config_selectorILNS1_17partition_subalgoE3EjNS0_10empty_typeEbEEZZNS1_14partition_implILS8_3ELb0ES6_jNS0_17counting_iteratorIjlEEPS9_SE_NS0_5tupleIJPjSE_EEENSF_IJSE_SE_EEES9_SG_JZNS1_25segmented_radix_sort_implINS0_14default_configELb0EPKhPhPKlPlN2at6native12_GLOBAL__N_18offset_tEEE10hipError_tPvRmT1_PNSt15iterator_traitsISY_E10value_typeET2_T3_PNSZ_IS14_E10value_typeET4_jRbjT5_S1A_jjP12ihipStream_tbEUljE_EEESV_SW_SX_S14_S18_S1A_T6_T7_T9_mT8_S1C_bDpT10_ENKUlT_T0_E_clISt17integral_constantIbLb0EES1P_EEDaS1K_S1L_EUlS1K_E_NS1_11comp_targetILNS1_3genE0ELNS1_11target_archE4294967295ELNS1_3gpuE0ELNS1_3repE0EEENS1_30default_config_static_selectorELNS0_4arch9wavefront6targetE1EEEvSY_
; %bb.0:
	.section	.rodata,"a",@progbits
	.p2align	6, 0x0
	.amdhsa_kernel _ZN7rocprim17ROCPRIM_400000_NS6detail17trampoline_kernelINS0_13select_configILj256ELj13ELNS0_17block_load_methodE3ELS4_3ELS4_3ELNS0_20block_scan_algorithmE0ELj4294967295EEENS1_25partition_config_selectorILNS1_17partition_subalgoE3EjNS0_10empty_typeEbEEZZNS1_14partition_implILS8_3ELb0ES6_jNS0_17counting_iteratorIjlEEPS9_SE_NS0_5tupleIJPjSE_EEENSF_IJSE_SE_EEES9_SG_JZNS1_25segmented_radix_sort_implINS0_14default_configELb0EPKhPhPKlPlN2at6native12_GLOBAL__N_18offset_tEEE10hipError_tPvRmT1_PNSt15iterator_traitsISY_E10value_typeET2_T3_PNSZ_IS14_E10value_typeET4_jRbjT5_S1A_jjP12ihipStream_tbEUljE_EEESV_SW_SX_S14_S18_S1A_T6_T7_T9_mT8_S1C_bDpT10_ENKUlT_T0_E_clISt17integral_constantIbLb0EES1P_EEDaS1K_S1L_EUlS1K_E_NS1_11comp_targetILNS1_3genE0ELNS1_11target_archE4294967295ELNS1_3gpuE0ELNS1_3repE0EEENS1_30default_config_static_selectorELNS0_4arch9wavefront6targetE1EEEvSY_
		.amdhsa_group_segment_fixed_size 0
		.amdhsa_private_segment_fixed_size 0
		.amdhsa_kernarg_size 144
		.amdhsa_user_sgpr_count 6
		.amdhsa_user_sgpr_private_segment_buffer 1
		.amdhsa_user_sgpr_dispatch_ptr 0
		.amdhsa_user_sgpr_queue_ptr 0
		.amdhsa_user_sgpr_kernarg_segment_ptr 1
		.amdhsa_user_sgpr_dispatch_id 0
		.amdhsa_user_sgpr_flat_scratch_init 0
		.amdhsa_user_sgpr_private_segment_size 0
		.amdhsa_uses_dynamic_stack 0
		.amdhsa_system_sgpr_private_segment_wavefront_offset 0
		.amdhsa_system_sgpr_workgroup_id_x 1
		.amdhsa_system_sgpr_workgroup_id_y 0
		.amdhsa_system_sgpr_workgroup_id_z 0
		.amdhsa_system_sgpr_workgroup_info 0
		.amdhsa_system_vgpr_workitem_id 0
		.amdhsa_next_free_vgpr 1
		.amdhsa_next_free_sgpr 0
		.amdhsa_reserve_vcc 0
		.amdhsa_reserve_flat_scratch 0
		.amdhsa_float_round_mode_32 0
		.amdhsa_float_round_mode_16_64 0
		.amdhsa_float_denorm_mode_32 3
		.amdhsa_float_denorm_mode_16_64 3
		.amdhsa_dx10_clamp 1
		.amdhsa_ieee_mode 1
		.amdhsa_fp16_overflow 0
		.amdhsa_exception_fp_ieee_invalid_op 0
		.amdhsa_exception_fp_denorm_src 0
		.amdhsa_exception_fp_ieee_div_zero 0
		.amdhsa_exception_fp_ieee_overflow 0
		.amdhsa_exception_fp_ieee_underflow 0
		.amdhsa_exception_fp_ieee_inexact 0
		.amdhsa_exception_int_div_zero 0
	.end_amdhsa_kernel
	.section	.text._ZN7rocprim17ROCPRIM_400000_NS6detail17trampoline_kernelINS0_13select_configILj256ELj13ELNS0_17block_load_methodE3ELS4_3ELS4_3ELNS0_20block_scan_algorithmE0ELj4294967295EEENS1_25partition_config_selectorILNS1_17partition_subalgoE3EjNS0_10empty_typeEbEEZZNS1_14partition_implILS8_3ELb0ES6_jNS0_17counting_iteratorIjlEEPS9_SE_NS0_5tupleIJPjSE_EEENSF_IJSE_SE_EEES9_SG_JZNS1_25segmented_radix_sort_implINS0_14default_configELb0EPKhPhPKlPlN2at6native12_GLOBAL__N_18offset_tEEE10hipError_tPvRmT1_PNSt15iterator_traitsISY_E10value_typeET2_T3_PNSZ_IS14_E10value_typeET4_jRbjT5_S1A_jjP12ihipStream_tbEUljE_EEESV_SW_SX_S14_S18_S1A_T6_T7_T9_mT8_S1C_bDpT10_ENKUlT_T0_E_clISt17integral_constantIbLb0EES1P_EEDaS1K_S1L_EUlS1K_E_NS1_11comp_targetILNS1_3genE0ELNS1_11target_archE4294967295ELNS1_3gpuE0ELNS1_3repE0EEENS1_30default_config_static_selectorELNS0_4arch9wavefront6targetE1EEEvSY_,"axG",@progbits,_ZN7rocprim17ROCPRIM_400000_NS6detail17trampoline_kernelINS0_13select_configILj256ELj13ELNS0_17block_load_methodE3ELS4_3ELS4_3ELNS0_20block_scan_algorithmE0ELj4294967295EEENS1_25partition_config_selectorILNS1_17partition_subalgoE3EjNS0_10empty_typeEbEEZZNS1_14partition_implILS8_3ELb0ES6_jNS0_17counting_iteratorIjlEEPS9_SE_NS0_5tupleIJPjSE_EEENSF_IJSE_SE_EEES9_SG_JZNS1_25segmented_radix_sort_implINS0_14default_configELb0EPKhPhPKlPlN2at6native12_GLOBAL__N_18offset_tEEE10hipError_tPvRmT1_PNSt15iterator_traitsISY_E10value_typeET2_T3_PNSZ_IS14_E10value_typeET4_jRbjT5_S1A_jjP12ihipStream_tbEUljE_EEESV_SW_SX_S14_S18_S1A_T6_T7_T9_mT8_S1C_bDpT10_ENKUlT_T0_E_clISt17integral_constantIbLb0EES1P_EEDaS1K_S1L_EUlS1K_E_NS1_11comp_targetILNS1_3genE0ELNS1_11target_archE4294967295ELNS1_3gpuE0ELNS1_3repE0EEENS1_30default_config_static_selectorELNS0_4arch9wavefront6targetE1EEEvSY_,comdat
.Lfunc_end154:
	.size	_ZN7rocprim17ROCPRIM_400000_NS6detail17trampoline_kernelINS0_13select_configILj256ELj13ELNS0_17block_load_methodE3ELS4_3ELS4_3ELNS0_20block_scan_algorithmE0ELj4294967295EEENS1_25partition_config_selectorILNS1_17partition_subalgoE3EjNS0_10empty_typeEbEEZZNS1_14partition_implILS8_3ELb0ES6_jNS0_17counting_iteratorIjlEEPS9_SE_NS0_5tupleIJPjSE_EEENSF_IJSE_SE_EEES9_SG_JZNS1_25segmented_radix_sort_implINS0_14default_configELb0EPKhPhPKlPlN2at6native12_GLOBAL__N_18offset_tEEE10hipError_tPvRmT1_PNSt15iterator_traitsISY_E10value_typeET2_T3_PNSZ_IS14_E10value_typeET4_jRbjT5_S1A_jjP12ihipStream_tbEUljE_EEESV_SW_SX_S14_S18_S1A_T6_T7_T9_mT8_S1C_bDpT10_ENKUlT_T0_E_clISt17integral_constantIbLb0EES1P_EEDaS1K_S1L_EUlS1K_E_NS1_11comp_targetILNS1_3genE0ELNS1_11target_archE4294967295ELNS1_3gpuE0ELNS1_3repE0EEENS1_30default_config_static_selectorELNS0_4arch9wavefront6targetE1EEEvSY_, .Lfunc_end154-_ZN7rocprim17ROCPRIM_400000_NS6detail17trampoline_kernelINS0_13select_configILj256ELj13ELNS0_17block_load_methodE3ELS4_3ELS4_3ELNS0_20block_scan_algorithmE0ELj4294967295EEENS1_25partition_config_selectorILNS1_17partition_subalgoE3EjNS0_10empty_typeEbEEZZNS1_14partition_implILS8_3ELb0ES6_jNS0_17counting_iteratorIjlEEPS9_SE_NS0_5tupleIJPjSE_EEENSF_IJSE_SE_EEES9_SG_JZNS1_25segmented_radix_sort_implINS0_14default_configELb0EPKhPhPKlPlN2at6native12_GLOBAL__N_18offset_tEEE10hipError_tPvRmT1_PNSt15iterator_traitsISY_E10value_typeET2_T3_PNSZ_IS14_E10value_typeET4_jRbjT5_S1A_jjP12ihipStream_tbEUljE_EEESV_SW_SX_S14_S18_S1A_T6_T7_T9_mT8_S1C_bDpT10_ENKUlT_T0_E_clISt17integral_constantIbLb0EES1P_EEDaS1K_S1L_EUlS1K_E_NS1_11comp_targetILNS1_3genE0ELNS1_11target_archE4294967295ELNS1_3gpuE0ELNS1_3repE0EEENS1_30default_config_static_selectorELNS0_4arch9wavefront6targetE1EEEvSY_
                                        ; -- End function
	.set _ZN7rocprim17ROCPRIM_400000_NS6detail17trampoline_kernelINS0_13select_configILj256ELj13ELNS0_17block_load_methodE3ELS4_3ELS4_3ELNS0_20block_scan_algorithmE0ELj4294967295EEENS1_25partition_config_selectorILNS1_17partition_subalgoE3EjNS0_10empty_typeEbEEZZNS1_14partition_implILS8_3ELb0ES6_jNS0_17counting_iteratorIjlEEPS9_SE_NS0_5tupleIJPjSE_EEENSF_IJSE_SE_EEES9_SG_JZNS1_25segmented_radix_sort_implINS0_14default_configELb0EPKhPhPKlPlN2at6native12_GLOBAL__N_18offset_tEEE10hipError_tPvRmT1_PNSt15iterator_traitsISY_E10value_typeET2_T3_PNSZ_IS14_E10value_typeET4_jRbjT5_S1A_jjP12ihipStream_tbEUljE_EEESV_SW_SX_S14_S18_S1A_T6_T7_T9_mT8_S1C_bDpT10_ENKUlT_T0_E_clISt17integral_constantIbLb0EES1P_EEDaS1K_S1L_EUlS1K_E_NS1_11comp_targetILNS1_3genE0ELNS1_11target_archE4294967295ELNS1_3gpuE0ELNS1_3repE0EEENS1_30default_config_static_selectorELNS0_4arch9wavefront6targetE1EEEvSY_.num_vgpr, 0
	.set _ZN7rocprim17ROCPRIM_400000_NS6detail17trampoline_kernelINS0_13select_configILj256ELj13ELNS0_17block_load_methodE3ELS4_3ELS4_3ELNS0_20block_scan_algorithmE0ELj4294967295EEENS1_25partition_config_selectorILNS1_17partition_subalgoE3EjNS0_10empty_typeEbEEZZNS1_14partition_implILS8_3ELb0ES6_jNS0_17counting_iteratorIjlEEPS9_SE_NS0_5tupleIJPjSE_EEENSF_IJSE_SE_EEES9_SG_JZNS1_25segmented_radix_sort_implINS0_14default_configELb0EPKhPhPKlPlN2at6native12_GLOBAL__N_18offset_tEEE10hipError_tPvRmT1_PNSt15iterator_traitsISY_E10value_typeET2_T3_PNSZ_IS14_E10value_typeET4_jRbjT5_S1A_jjP12ihipStream_tbEUljE_EEESV_SW_SX_S14_S18_S1A_T6_T7_T9_mT8_S1C_bDpT10_ENKUlT_T0_E_clISt17integral_constantIbLb0EES1P_EEDaS1K_S1L_EUlS1K_E_NS1_11comp_targetILNS1_3genE0ELNS1_11target_archE4294967295ELNS1_3gpuE0ELNS1_3repE0EEENS1_30default_config_static_selectorELNS0_4arch9wavefront6targetE1EEEvSY_.num_agpr, 0
	.set _ZN7rocprim17ROCPRIM_400000_NS6detail17trampoline_kernelINS0_13select_configILj256ELj13ELNS0_17block_load_methodE3ELS4_3ELS4_3ELNS0_20block_scan_algorithmE0ELj4294967295EEENS1_25partition_config_selectorILNS1_17partition_subalgoE3EjNS0_10empty_typeEbEEZZNS1_14partition_implILS8_3ELb0ES6_jNS0_17counting_iteratorIjlEEPS9_SE_NS0_5tupleIJPjSE_EEENSF_IJSE_SE_EEES9_SG_JZNS1_25segmented_radix_sort_implINS0_14default_configELb0EPKhPhPKlPlN2at6native12_GLOBAL__N_18offset_tEEE10hipError_tPvRmT1_PNSt15iterator_traitsISY_E10value_typeET2_T3_PNSZ_IS14_E10value_typeET4_jRbjT5_S1A_jjP12ihipStream_tbEUljE_EEESV_SW_SX_S14_S18_S1A_T6_T7_T9_mT8_S1C_bDpT10_ENKUlT_T0_E_clISt17integral_constantIbLb0EES1P_EEDaS1K_S1L_EUlS1K_E_NS1_11comp_targetILNS1_3genE0ELNS1_11target_archE4294967295ELNS1_3gpuE0ELNS1_3repE0EEENS1_30default_config_static_selectorELNS0_4arch9wavefront6targetE1EEEvSY_.numbered_sgpr, 0
	.set _ZN7rocprim17ROCPRIM_400000_NS6detail17trampoline_kernelINS0_13select_configILj256ELj13ELNS0_17block_load_methodE3ELS4_3ELS4_3ELNS0_20block_scan_algorithmE0ELj4294967295EEENS1_25partition_config_selectorILNS1_17partition_subalgoE3EjNS0_10empty_typeEbEEZZNS1_14partition_implILS8_3ELb0ES6_jNS0_17counting_iteratorIjlEEPS9_SE_NS0_5tupleIJPjSE_EEENSF_IJSE_SE_EEES9_SG_JZNS1_25segmented_radix_sort_implINS0_14default_configELb0EPKhPhPKlPlN2at6native12_GLOBAL__N_18offset_tEEE10hipError_tPvRmT1_PNSt15iterator_traitsISY_E10value_typeET2_T3_PNSZ_IS14_E10value_typeET4_jRbjT5_S1A_jjP12ihipStream_tbEUljE_EEESV_SW_SX_S14_S18_S1A_T6_T7_T9_mT8_S1C_bDpT10_ENKUlT_T0_E_clISt17integral_constantIbLb0EES1P_EEDaS1K_S1L_EUlS1K_E_NS1_11comp_targetILNS1_3genE0ELNS1_11target_archE4294967295ELNS1_3gpuE0ELNS1_3repE0EEENS1_30default_config_static_selectorELNS0_4arch9wavefront6targetE1EEEvSY_.num_named_barrier, 0
	.set _ZN7rocprim17ROCPRIM_400000_NS6detail17trampoline_kernelINS0_13select_configILj256ELj13ELNS0_17block_load_methodE3ELS4_3ELS4_3ELNS0_20block_scan_algorithmE0ELj4294967295EEENS1_25partition_config_selectorILNS1_17partition_subalgoE3EjNS0_10empty_typeEbEEZZNS1_14partition_implILS8_3ELb0ES6_jNS0_17counting_iteratorIjlEEPS9_SE_NS0_5tupleIJPjSE_EEENSF_IJSE_SE_EEES9_SG_JZNS1_25segmented_radix_sort_implINS0_14default_configELb0EPKhPhPKlPlN2at6native12_GLOBAL__N_18offset_tEEE10hipError_tPvRmT1_PNSt15iterator_traitsISY_E10value_typeET2_T3_PNSZ_IS14_E10value_typeET4_jRbjT5_S1A_jjP12ihipStream_tbEUljE_EEESV_SW_SX_S14_S18_S1A_T6_T7_T9_mT8_S1C_bDpT10_ENKUlT_T0_E_clISt17integral_constantIbLb0EES1P_EEDaS1K_S1L_EUlS1K_E_NS1_11comp_targetILNS1_3genE0ELNS1_11target_archE4294967295ELNS1_3gpuE0ELNS1_3repE0EEENS1_30default_config_static_selectorELNS0_4arch9wavefront6targetE1EEEvSY_.private_seg_size, 0
	.set _ZN7rocprim17ROCPRIM_400000_NS6detail17trampoline_kernelINS0_13select_configILj256ELj13ELNS0_17block_load_methodE3ELS4_3ELS4_3ELNS0_20block_scan_algorithmE0ELj4294967295EEENS1_25partition_config_selectorILNS1_17partition_subalgoE3EjNS0_10empty_typeEbEEZZNS1_14partition_implILS8_3ELb0ES6_jNS0_17counting_iteratorIjlEEPS9_SE_NS0_5tupleIJPjSE_EEENSF_IJSE_SE_EEES9_SG_JZNS1_25segmented_radix_sort_implINS0_14default_configELb0EPKhPhPKlPlN2at6native12_GLOBAL__N_18offset_tEEE10hipError_tPvRmT1_PNSt15iterator_traitsISY_E10value_typeET2_T3_PNSZ_IS14_E10value_typeET4_jRbjT5_S1A_jjP12ihipStream_tbEUljE_EEESV_SW_SX_S14_S18_S1A_T6_T7_T9_mT8_S1C_bDpT10_ENKUlT_T0_E_clISt17integral_constantIbLb0EES1P_EEDaS1K_S1L_EUlS1K_E_NS1_11comp_targetILNS1_3genE0ELNS1_11target_archE4294967295ELNS1_3gpuE0ELNS1_3repE0EEENS1_30default_config_static_selectorELNS0_4arch9wavefront6targetE1EEEvSY_.uses_vcc, 0
	.set _ZN7rocprim17ROCPRIM_400000_NS6detail17trampoline_kernelINS0_13select_configILj256ELj13ELNS0_17block_load_methodE3ELS4_3ELS4_3ELNS0_20block_scan_algorithmE0ELj4294967295EEENS1_25partition_config_selectorILNS1_17partition_subalgoE3EjNS0_10empty_typeEbEEZZNS1_14partition_implILS8_3ELb0ES6_jNS0_17counting_iteratorIjlEEPS9_SE_NS0_5tupleIJPjSE_EEENSF_IJSE_SE_EEES9_SG_JZNS1_25segmented_radix_sort_implINS0_14default_configELb0EPKhPhPKlPlN2at6native12_GLOBAL__N_18offset_tEEE10hipError_tPvRmT1_PNSt15iterator_traitsISY_E10value_typeET2_T3_PNSZ_IS14_E10value_typeET4_jRbjT5_S1A_jjP12ihipStream_tbEUljE_EEESV_SW_SX_S14_S18_S1A_T6_T7_T9_mT8_S1C_bDpT10_ENKUlT_T0_E_clISt17integral_constantIbLb0EES1P_EEDaS1K_S1L_EUlS1K_E_NS1_11comp_targetILNS1_3genE0ELNS1_11target_archE4294967295ELNS1_3gpuE0ELNS1_3repE0EEENS1_30default_config_static_selectorELNS0_4arch9wavefront6targetE1EEEvSY_.uses_flat_scratch, 0
	.set _ZN7rocprim17ROCPRIM_400000_NS6detail17trampoline_kernelINS0_13select_configILj256ELj13ELNS0_17block_load_methodE3ELS4_3ELS4_3ELNS0_20block_scan_algorithmE0ELj4294967295EEENS1_25partition_config_selectorILNS1_17partition_subalgoE3EjNS0_10empty_typeEbEEZZNS1_14partition_implILS8_3ELb0ES6_jNS0_17counting_iteratorIjlEEPS9_SE_NS0_5tupleIJPjSE_EEENSF_IJSE_SE_EEES9_SG_JZNS1_25segmented_radix_sort_implINS0_14default_configELb0EPKhPhPKlPlN2at6native12_GLOBAL__N_18offset_tEEE10hipError_tPvRmT1_PNSt15iterator_traitsISY_E10value_typeET2_T3_PNSZ_IS14_E10value_typeET4_jRbjT5_S1A_jjP12ihipStream_tbEUljE_EEESV_SW_SX_S14_S18_S1A_T6_T7_T9_mT8_S1C_bDpT10_ENKUlT_T0_E_clISt17integral_constantIbLb0EES1P_EEDaS1K_S1L_EUlS1K_E_NS1_11comp_targetILNS1_3genE0ELNS1_11target_archE4294967295ELNS1_3gpuE0ELNS1_3repE0EEENS1_30default_config_static_selectorELNS0_4arch9wavefront6targetE1EEEvSY_.has_dyn_sized_stack, 0
	.set _ZN7rocprim17ROCPRIM_400000_NS6detail17trampoline_kernelINS0_13select_configILj256ELj13ELNS0_17block_load_methodE3ELS4_3ELS4_3ELNS0_20block_scan_algorithmE0ELj4294967295EEENS1_25partition_config_selectorILNS1_17partition_subalgoE3EjNS0_10empty_typeEbEEZZNS1_14partition_implILS8_3ELb0ES6_jNS0_17counting_iteratorIjlEEPS9_SE_NS0_5tupleIJPjSE_EEENSF_IJSE_SE_EEES9_SG_JZNS1_25segmented_radix_sort_implINS0_14default_configELb0EPKhPhPKlPlN2at6native12_GLOBAL__N_18offset_tEEE10hipError_tPvRmT1_PNSt15iterator_traitsISY_E10value_typeET2_T3_PNSZ_IS14_E10value_typeET4_jRbjT5_S1A_jjP12ihipStream_tbEUljE_EEESV_SW_SX_S14_S18_S1A_T6_T7_T9_mT8_S1C_bDpT10_ENKUlT_T0_E_clISt17integral_constantIbLb0EES1P_EEDaS1K_S1L_EUlS1K_E_NS1_11comp_targetILNS1_3genE0ELNS1_11target_archE4294967295ELNS1_3gpuE0ELNS1_3repE0EEENS1_30default_config_static_selectorELNS0_4arch9wavefront6targetE1EEEvSY_.has_recursion, 0
	.set _ZN7rocprim17ROCPRIM_400000_NS6detail17trampoline_kernelINS0_13select_configILj256ELj13ELNS0_17block_load_methodE3ELS4_3ELS4_3ELNS0_20block_scan_algorithmE0ELj4294967295EEENS1_25partition_config_selectorILNS1_17partition_subalgoE3EjNS0_10empty_typeEbEEZZNS1_14partition_implILS8_3ELb0ES6_jNS0_17counting_iteratorIjlEEPS9_SE_NS0_5tupleIJPjSE_EEENSF_IJSE_SE_EEES9_SG_JZNS1_25segmented_radix_sort_implINS0_14default_configELb0EPKhPhPKlPlN2at6native12_GLOBAL__N_18offset_tEEE10hipError_tPvRmT1_PNSt15iterator_traitsISY_E10value_typeET2_T3_PNSZ_IS14_E10value_typeET4_jRbjT5_S1A_jjP12ihipStream_tbEUljE_EEESV_SW_SX_S14_S18_S1A_T6_T7_T9_mT8_S1C_bDpT10_ENKUlT_T0_E_clISt17integral_constantIbLb0EES1P_EEDaS1K_S1L_EUlS1K_E_NS1_11comp_targetILNS1_3genE0ELNS1_11target_archE4294967295ELNS1_3gpuE0ELNS1_3repE0EEENS1_30default_config_static_selectorELNS0_4arch9wavefront6targetE1EEEvSY_.has_indirect_call, 0
	.section	.AMDGPU.csdata,"",@progbits
; Kernel info:
; codeLenInByte = 0
; TotalNumSgprs: 4
; NumVgprs: 0
; ScratchSize: 0
; MemoryBound: 0
; FloatMode: 240
; IeeeMode: 1
; LDSByteSize: 0 bytes/workgroup (compile time only)
; SGPRBlocks: 0
; VGPRBlocks: 0
; NumSGPRsForWavesPerEU: 4
; NumVGPRsForWavesPerEU: 1
; Occupancy: 10
; WaveLimiterHint : 0
; COMPUTE_PGM_RSRC2:SCRATCH_EN: 0
; COMPUTE_PGM_RSRC2:USER_SGPR: 6
; COMPUTE_PGM_RSRC2:TRAP_HANDLER: 0
; COMPUTE_PGM_RSRC2:TGID_X_EN: 1
; COMPUTE_PGM_RSRC2:TGID_Y_EN: 0
; COMPUTE_PGM_RSRC2:TGID_Z_EN: 0
; COMPUTE_PGM_RSRC2:TIDIG_COMP_CNT: 0
	.section	.text._ZN7rocprim17ROCPRIM_400000_NS6detail17trampoline_kernelINS0_13select_configILj256ELj13ELNS0_17block_load_methodE3ELS4_3ELS4_3ELNS0_20block_scan_algorithmE0ELj4294967295EEENS1_25partition_config_selectorILNS1_17partition_subalgoE3EjNS0_10empty_typeEbEEZZNS1_14partition_implILS8_3ELb0ES6_jNS0_17counting_iteratorIjlEEPS9_SE_NS0_5tupleIJPjSE_EEENSF_IJSE_SE_EEES9_SG_JZNS1_25segmented_radix_sort_implINS0_14default_configELb0EPKhPhPKlPlN2at6native12_GLOBAL__N_18offset_tEEE10hipError_tPvRmT1_PNSt15iterator_traitsISY_E10value_typeET2_T3_PNSZ_IS14_E10value_typeET4_jRbjT5_S1A_jjP12ihipStream_tbEUljE_EEESV_SW_SX_S14_S18_S1A_T6_T7_T9_mT8_S1C_bDpT10_ENKUlT_T0_E_clISt17integral_constantIbLb0EES1P_EEDaS1K_S1L_EUlS1K_E_NS1_11comp_targetILNS1_3genE5ELNS1_11target_archE942ELNS1_3gpuE9ELNS1_3repE0EEENS1_30default_config_static_selectorELNS0_4arch9wavefront6targetE1EEEvSY_,"axG",@progbits,_ZN7rocprim17ROCPRIM_400000_NS6detail17trampoline_kernelINS0_13select_configILj256ELj13ELNS0_17block_load_methodE3ELS4_3ELS4_3ELNS0_20block_scan_algorithmE0ELj4294967295EEENS1_25partition_config_selectorILNS1_17partition_subalgoE3EjNS0_10empty_typeEbEEZZNS1_14partition_implILS8_3ELb0ES6_jNS0_17counting_iteratorIjlEEPS9_SE_NS0_5tupleIJPjSE_EEENSF_IJSE_SE_EEES9_SG_JZNS1_25segmented_radix_sort_implINS0_14default_configELb0EPKhPhPKlPlN2at6native12_GLOBAL__N_18offset_tEEE10hipError_tPvRmT1_PNSt15iterator_traitsISY_E10value_typeET2_T3_PNSZ_IS14_E10value_typeET4_jRbjT5_S1A_jjP12ihipStream_tbEUljE_EEESV_SW_SX_S14_S18_S1A_T6_T7_T9_mT8_S1C_bDpT10_ENKUlT_T0_E_clISt17integral_constantIbLb0EES1P_EEDaS1K_S1L_EUlS1K_E_NS1_11comp_targetILNS1_3genE5ELNS1_11target_archE942ELNS1_3gpuE9ELNS1_3repE0EEENS1_30default_config_static_selectorELNS0_4arch9wavefront6targetE1EEEvSY_,comdat
	.globl	_ZN7rocprim17ROCPRIM_400000_NS6detail17trampoline_kernelINS0_13select_configILj256ELj13ELNS0_17block_load_methodE3ELS4_3ELS4_3ELNS0_20block_scan_algorithmE0ELj4294967295EEENS1_25partition_config_selectorILNS1_17partition_subalgoE3EjNS0_10empty_typeEbEEZZNS1_14partition_implILS8_3ELb0ES6_jNS0_17counting_iteratorIjlEEPS9_SE_NS0_5tupleIJPjSE_EEENSF_IJSE_SE_EEES9_SG_JZNS1_25segmented_radix_sort_implINS0_14default_configELb0EPKhPhPKlPlN2at6native12_GLOBAL__N_18offset_tEEE10hipError_tPvRmT1_PNSt15iterator_traitsISY_E10value_typeET2_T3_PNSZ_IS14_E10value_typeET4_jRbjT5_S1A_jjP12ihipStream_tbEUljE_EEESV_SW_SX_S14_S18_S1A_T6_T7_T9_mT8_S1C_bDpT10_ENKUlT_T0_E_clISt17integral_constantIbLb0EES1P_EEDaS1K_S1L_EUlS1K_E_NS1_11comp_targetILNS1_3genE5ELNS1_11target_archE942ELNS1_3gpuE9ELNS1_3repE0EEENS1_30default_config_static_selectorELNS0_4arch9wavefront6targetE1EEEvSY_ ; -- Begin function _ZN7rocprim17ROCPRIM_400000_NS6detail17trampoline_kernelINS0_13select_configILj256ELj13ELNS0_17block_load_methodE3ELS4_3ELS4_3ELNS0_20block_scan_algorithmE0ELj4294967295EEENS1_25partition_config_selectorILNS1_17partition_subalgoE3EjNS0_10empty_typeEbEEZZNS1_14partition_implILS8_3ELb0ES6_jNS0_17counting_iteratorIjlEEPS9_SE_NS0_5tupleIJPjSE_EEENSF_IJSE_SE_EEES9_SG_JZNS1_25segmented_radix_sort_implINS0_14default_configELb0EPKhPhPKlPlN2at6native12_GLOBAL__N_18offset_tEEE10hipError_tPvRmT1_PNSt15iterator_traitsISY_E10value_typeET2_T3_PNSZ_IS14_E10value_typeET4_jRbjT5_S1A_jjP12ihipStream_tbEUljE_EEESV_SW_SX_S14_S18_S1A_T6_T7_T9_mT8_S1C_bDpT10_ENKUlT_T0_E_clISt17integral_constantIbLb0EES1P_EEDaS1K_S1L_EUlS1K_E_NS1_11comp_targetILNS1_3genE5ELNS1_11target_archE942ELNS1_3gpuE9ELNS1_3repE0EEENS1_30default_config_static_selectorELNS0_4arch9wavefront6targetE1EEEvSY_
	.p2align	8
	.type	_ZN7rocprim17ROCPRIM_400000_NS6detail17trampoline_kernelINS0_13select_configILj256ELj13ELNS0_17block_load_methodE3ELS4_3ELS4_3ELNS0_20block_scan_algorithmE0ELj4294967295EEENS1_25partition_config_selectorILNS1_17partition_subalgoE3EjNS0_10empty_typeEbEEZZNS1_14partition_implILS8_3ELb0ES6_jNS0_17counting_iteratorIjlEEPS9_SE_NS0_5tupleIJPjSE_EEENSF_IJSE_SE_EEES9_SG_JZNS1_25segmented_radix_sort_implINS0_14default_configELb0EPKhPhPKlPlN2at6native12_GLOBAL__N_18offset_tEEE10hipError_tPvRmT1_PNSt15iterator_traitsISY_E10value_typeET2_T3_PNSZ_IS14_E10value_typeET4_jRbjT5_S1A_jjP12ihipStream_tbEUljE_EEESV_SW_SX_S14_S18_S1A_T6_T7_T9_mT8_S1C_bDpT10_ENKUlT_T0_E_clISt17integral_constantIbLb0EES1P_EEDaS1K_S1L_EUlS1K_E_NS1_11comp_targetILNS1_3genE5ELNS1_11target_archE942ELNS1_3gpuE9ELNS1_3repE0EEENS1_30default_config_static_selectorELNS0_4arch9wavefront6targetE1EEEvSY_,@function
_ZN7rocprim17ROCPRIM_400000_NS6detail17trampoline_kernelINS0_13select_configILj256ELj13ELNS0_17block_load_methodE3ELS4_3ELS4_3ELNS0_20block_scan_algorithmE0ELj4294967295EEENS1_25partition_config_selectorILNS1_17partition_subalgoE3EjNS0_10empty_typeEbEEZZNS1_14partition_implILS8_3ELb0ES6_jNS0_17counting_iteratorIjlEEPS9_SE_NS0_5tupleIJPjSE_EEENSF_IJSE_SE_EEES9_SG_JZNS1_25segmented_radix_sort_implINS0_14default_configELb0EPKhPhPKlPlN2at6native12_GLOBAL__N_18offset_tEEE10hipError_tPvRmT1_PNSt15iterator_traitsISY_E10value_typeET2_T3_PNSZ_IS14_E10value_typeET4_jRbjT5_S1A_jjP12ihipStream_tbEUljE_EEESV_SW_SX_S14_S18_S1A_T6_T7_T9_mT8_S1C_bDpT10_ENKUlT_T0_E_clISt17integral_constantIbLb0EES1P_EEDaS1K_S1L_EUlS1K_E_NS1_11comp_targetILNS1_3genE5ELNS1_11target_archE942ELNS1_3gpuE9ELNS1_3repE0EEENS1_30default_config_static_selectorELNS0_4arch9wavefront6targetE1EEEvSY_: ; @_ZN7rocprim17ROCPRIM_400000_NS6detail17trampoline_kernelINS0_13select_configILj256ELj13ELNS0_17block_load_methodE3ELS4_3ELS4_3ELNS0_20block_scan_algorithmE0ELj4294967295EEENS1_25partition_config_selectorILNS1_17partition_subalgoE3EjNS0_10empty_typeEbEEZZNS1_14partition_implILS8_3ELb0ES6_jNS0_17counting_iteratorIjlEEPS9_SE_NS0_5tupleIJPjSE_EEENSF_IJSE_SE_EEES9_SG_JZNS1_25segmented_radix_sort_implINS0_14default_configELb0EPKhPhPKlPlN2at6native12_GLOBAL__N_18offset_tEEE10hipError_tPvRmT1_PNSt15iterator_traitsISY_E10value_typeET2_T3_PNSZ_IS14_E10value_typeET4_jRbjT5_S1A_jjP12ihipStream_tbEUljE_EEESV_SW_SX_S14_S18_S1A_T6_T7_T9_mT8_S1C_bDpT10_ENKUlT_T0_E_clISt17integral_constantIbLb0EES1P_EEDaS1K_S1L_EUlS1K_E_NS1_11comp_targetILNS1_3genE5ELNS1_11target_archE942ELNS1_3gpuE9ELNS1_3repE0EEENS1_30default_config_static_selectorELNS0_4arch9wavefront6targetE1EEEvSY_
; %bb.0:
	.section	.rodata,"a",@progbits
	.p2align	6, 0x0
	.amdhsa_kernel _ZN7rocprim17ROCPRIM_400000_NS6detail17trampoline_kernelINS0_13select_configILj256ELj13ELNS0_17block_load_methodE3ELS4_3ELS4_3ELNS0_20block_scan_algorithmE0ELj4294967295EEENS1_25partition_config_selectorILNS1_17partition_subalgoE3EjNS0_10empty_typeEbEEZZNS1_14partition_implILS8_3ELb0ES6_jNS0_17counting_iteratorIjlEEPS9_SE_NS0_5tupleIJPjSE_EEENSF_IJSE_SE_EEES9_SG_JZNS1_25segmented_radix_sort_implINS0_14default_configELb0EPKhPhPKlPlN2at6native12_GLOBAL__N_18offset_tEEE10hipError_tPvRmT1_PNSt15iterator_traitsISY_E10value_typeET2_T3_PNSZ_IS14_E10value_typeET4_jRbjT5_S1A_jjP12ihipStream_tbEUljE_EEESV_SW_SX_S14_S18_S1A_T6_T7_T9_mT8_S1C_bDpT10_ENKUlT_T0_E_clISt17integral_constantIbLb0EES1P_EEDaS1K_S1L_EUlS1K_E_NS1_11comp_targetILNS1_3genE5ELNS1_11target_archE942ELNS1_3gpuE9ELNS1_3repE0EEENS1_30default_config_static_selectorELNS0_4arch9wavefront6targetE1EEEvSY_
		.amdhsa_group_segment_fixed_size 0
		.amdhsa_private_segment_fixed_size 0
		.amdhsa_kernarg_size 144
		.amdhsa_user_sgpr_count 6
		.amdhsa_user_sgpr_private_segment_buffer 1
		.amdhsa_user_sgpr_dispatch_ptr 0
		.amdhsa_user_sgpr_queue_ptr 0
		.amdhsa_user_sgpr_kernarg_segment_ptr 1
		.amdhsa_user_sgpr_dispatch_id 0
		.amdhsa_user_sgpr_flat_scratch_init 0
		.amdhsa_user_sgpr_private_segment_size 0
		.amdhsa_uses_dynamic_stack 0
		.amdhsa_system_sgpr_private_segment_wavefront_offset 0
		.amdhsa_system_sgpr_workgroup_id_x 1
		.amdhsa_system_sgpr_workgroup_id_y 0
		.amdhsa_system_sgpr_workgroup_id_z 0
		.amdhsa_system_sgpr_workgroup_info 0
		.amdhsa_system_vgpr_workitem_id 0
		.amdhsa_next_free_vgpr 1
		.amdhsa_next_free_sgpr 0
		.amdhsa_reserve_vcc 0
		.amdhsa_reserve_flat_scratch 0
		.amdhsa_float_round_mode_32 0
		.amdhsa_float_round_mode_16_64 0
		.amdhsa_float_denorm_mode_32 3
		.amdhsa_float_denorm_mode_16_64 3
		.amdhsa_dx10_clamp 1
		.amdhsa_ieee_mode 1
		.amdhsa_fp16_overflow 0
		.amdhsa_exception_fp_ieee_invalid_op 0
		.amdhsa_exception_fp_denorm_src 0
		.amdhsa_exception_fp_ieee_div_zero 0
		.amdhsa_exception_fp_ieee_overflow 0
		.amdhsa_exception_fp_ieee_underflow 0
		.amdhsa_exception_fp_ieee_inexact 0
		.amdhsa_exception_int_div_zero 0
	.end_amdhsa_kernel
	.section	.text._ZN7rocprim17ROCPRIM_400000_NS6detail17trampoline_kernelINS0_13select_configILj256ELj13ELNS0_17block_load_methodE3ELS4_3ELS4_3ELNS0_20block_scan_algorithmE0ELj4294967295EEENS1_25partition_config_selectorILNS1_17partition_subalgoE3EjNS0_10empty_typeEbEEZZNS1_14partition_implILS8_3ELb0ES6_jNS0_17counting_iteratorIjlEEPS9_SE_NS0_5tupleIJPjSE_EEENSF_IJSE_SE_EEES9_SG_JZNS1_25segmented_radix_sort_implINS0_14default_configELb0EPKhPhPKlPlN2at6native12_GLOBAL__N_18offset_tEEE10hipError_tPvRmT1_PNSt15iterator_traitsISY_E10value_typeET2_T3_PNSZ_IS14_E10value_typeET4_jRbjT5_S1A_jjP12ihipStream_tbEUljE_EEESV_SW_SX_S14_S18_S1A_T6_T7_T9_mT8_S1C_bDpT10_ENKUlT_T0_E_clISt17integral_constantIbLb0EES1P_EEDaS1K_S1L_EUlS1K_E_NS1_11comp_targetILNS1_3genE5ELNS1_11target_archE942ELNS1_3gpuE9ELNS1_3repE0EEENS1_30default_config_static_selectorELNS0_4arch9wavefront6targetE1EEEvSY_,"axG",@progbits,_ZN7rocprim17ROCPRIM_400000_NS6detail17trampoline_kernelINS0_13select_configILj256ELj13ELNS0_17block_load_methodE3ELS4_3ELS4_3ELNS0_20block_scan_algorithmE0ELj4294967295EEENS1_25partition_config_selectorILNS1_17partition_subalgoE3EjNS0_10empty_typeEbEEZZNS1_14partition_implILS8_3ELb0ES6_jNS0_17counting_iteratorIjlEEPS9_SE_NS0_5tupleIJPjSE_EEENSF_IJSE_SE_EEES9_SG_JZNS1_25segmented_radix_sort_implINS0_14default_configELb0EPKhPhPKlPlN2at6native12_GLOBAL__N_18offset_tEEE10hipError_tPvRmT1_PNSt15iterator_traitsISY_E10value_typeET2_T3_PNSZ_IS14_E10value_typeET4_jRbjT5_S1A_jjP12ihipStream_tbEUljE_EEESV_SW_SX_S14_S18_S1A_T6_T7_T9_mT8_S1C_bDpT10_ENKUlT_T0_E_clISt17integral_constantIbLb0EES1P_EEDaS1K_S1L_EUlS1K_E_NS1_11comp_targetILNS1_3genE5ELNS1_11target_archE942ELNS1_3gpuE9ELNS1_3repE0EEENS1_30default_config_static_selectorELNS0_4arch9wavefront6targetE1EEEvSY_,comdat
.Lfunc_end155:
	.size	_ZN7rocprim17ROCPRIM_400000_NS6detail17trampoline_kernelINS0_13select_configILj256ELj13ELNS0_17block_load_methodE3ELS4_3ELS4_3ELNS0_20block_scan_algorithmE0ELj4294967295EEENS1_25partition_config_selectorILNS1_17partition_subalgoE3EjNS0_10empty_typeEbEEZZNS1_14partition_implILS8_3ELb0ES6_jNS0_17counting_iteratorIjlEEPS9_SE_NS0_5tupleIJPjSE_EEENSF_IJSE_SE_EEES9_SG_JZNS1_25segmented_radix_sort_implINS0_14default_configELb0EPKhPhPKlPlN2at6native12_GLOBAL__N_18offset_tEEE10hipError_tPvRmT1_PNSt15iterator_traitsISY_E10value_typeET2_T3_PNSZ_IS14_E10value_typeET4_jRbjT5_S1A_jjP12ihipStream_tbEUljE_EEESV_SW_SX_S14_S18_S1A_T6_T7_T9_mT8_S1C_bDpT10_ENKUlT_T0_E_clISt17integral_constantIbLb0EES1P_EEDaS1K_S1L_EUlS1K_E_NS1_11comp_targetILNS1_3genE5ELNS1_11target_archE942ELNS1_3gpuE9ELNS1_3repE0EEENS1_30default_config_static_selectorELNS0_4arch9wavefront6targetE1EEEvSY_, .Lfunc_end155-_ZN7rocprim17ROCPRIM_400000_NS6detail17trampoline_kernelINS0_13select_configILj256ELj13ELNS0_17block_load_methodE3ELS4_3ELS4_3ELNS0_20block_scan_algorithmE0ELj4294967295EEENS1_25partition_config_selectorILNS1_17partition_subalgoE3EjNS0_10empty_typeEbEEZZNS1_14partition_implILS8_3ELb0ES6_jNS0_17counting_iteratorIjlEEPS9_SE_NS0_5tupleIJPjSE_EEENSF_IJSE_SE_EEES9_SG_JZNS1_25segmented_radix_sort_implINS0_14default_configELb0EPKhPhPKlPlN2at6native12_GLOBAL__N_18offset_tEEE10hipError_tPvRmT1_PNSt15iterator_traitsISY_E10value_typeET2_T3_PNSZ_IS14_E10value_typeET4_jRbjT5_S1A_jjP12ihipStream_tbEUljE_EEESV_SW_SX_S14_S18_S1A_T6_T7_T9_mT8_S1C_bDpT10_ENKUlT_T0_E_clISt17integral_constantIbLb0EES1P_EEDaS1K_S1L_EUlS1K_E_NS1_11comp_targetILNS1_3genE5ELNS1_11target_archE942ELNS1_3gpuE9ELNS1_3repE0EEENS1_30default_config_static_selectorELNS0_4arch9wavefront6targetE1EEEvSY_
                                        ; -- End function
	.set _ZN7rocprim17ROCPRIM_400000_NS6detail17trampoline_kernelINS0_13select_configILj256ELj13ELNS0_17block_load_methodE3ELS4_3ELS4_3ELNS0_20block_scan_algorithmE0ELj4294967295EEENS1_25partition_config_selectorILNS1_17partition_subalgoE3EjNS0_10empty_typeEbEEZZNS1_14partition_implILS8_3ELb0ES6_jNS0_17counting_iteratorIjlEEPS9_SE_NS0_5tupleIJPjSE_EEENSF_IJSE_SE_EEES9_SG_JZNS1_25segmented_radix_sort_implINS0_14default_configELb0EPKhPhPKlPlN2at6native12_GLOBAL__N_18offset_tEEE10hipError_tPvRmT1_PNSt15iterator_traitsISY_E10value_typeET2_T3_PNSZ_IS14_E10value_typeET4_jRbjT5_S1A_jjP12ihipStream_tbEUljE_EEESV_SW_SX_S14_S18_S1A_T6_T7_T9_mT8_S1C_bDpT10_ENKUlT_T0_E_clISt17integral_constantIbLb0EES1P_EEDaS1K_S1L_EUlS1K_E_NS1_11comp_targetILNS1_3genE5ELNS1_11target_archE942ELNS1_3gpuE9ELNS1_3repE0EEENS1_30default_config_static_selectorELNS0_4arch9wavefront6targetE1EEEvSY_.num_vgpr, 0
	.set _ZN7rocprim17ROCPRIM_400000_NS6detail17trampoline_kernelINS0_13select_configILj256ELj13ELNS0_17block_load_methodE3ELS4_3ELS4_3ELNS0_20block_scan_algorithmE0ELj4294967295EEENS1_25partition_config_selectorILNS1_17partition_subalgoE3EjNS0_10empty_typeEbEEZZNS1_14partition_implILS8_3ELb0ES6_jNS0_17counting_iteratorIjlEEPS9_SE_NS0_5tupleIJPjSE_EEENSF_IJSE_SE_EEES9_SG_JZNS1_25segmented_radix_sort_implINS0_14default_configELb0EPKhPhPKlPlN2at6native12_GLOBAL__N_18offset_tEEE10hipError_tPvRmT1_PNSt15iterator_traitsISY_E10value_typeET2_T3_PNSZ_IS14_E10value_typeET4_jRbjT5_S1A_jjP12ihipStream_tbEUljE_EEESV_SW_SX_S14_S18_S1A_T6_T7_T9_mT8_S1C_bDpT10_ENKUlT_T0_E_clISt17integral_constantIbLb0EES1P_EEDaS1K_S1L_EUlS1K_E_NS1_11comp_targetILNS1_3genE5ELNS1_11target_archE942ELNS1_3gpuE9ELNS1_3repE0EEENS1_30default_config_static_selectorELNS0_4arch9wavefront6targetE1EEEvSY_.num_agpr, 0
	.set _ZN7rocprim17ROCPRIM_400000_NS6detail17trampoline_kernelINS0_13select_configILj256ELj13ELNS0_17block_load_methodE3ELS4_3ELS4_3ELNS0_20block_scan_algorithmE0ELj4294967295EEENS1_25partition_config_selectorILNS1_17partition_subalgoE3EjNS0_10empty_typeEbEEZZNS1_14partition_implILS8_3ELb0ES6_jNS0_17counting_iteratorIjlEEPS9_SE_NS0_5tupleIJPjSE_EEENSF_IJSE_SE_EEES9_SG_JZNS1_25segmented_radix_sort_implINS0_14default_configELb0EPKhPhPKlPlN2at6native12_GLOBAL__N_18offset_tEEE10hipError_tPvRmT1_PNSt15iterator_traitsISY_E10value_typeET2_T3_PNSZ_IS14_E10value_typeET4_jRbjT5_S1A_jjP12ihipStream_tbEUljE_EEESV_SW_SX_S14_S18_S1A_T6_T7_T9_mT8_S1C_bDpT10_ENKUlT_T0_E_clISt17integral_constantIbLb0EES1P_EEDaS1K_S1L_EUlS1K_E_NS1_11comp_targetILNS1_3genE5ELNS1_11target_archE942ELNS1_3gpuE9ELNS1_3repE0EEENS1_30default_config_static_selectorELNS0_4arch9wavefront6targetE1EEEvSY_.numbered_sgpr, 0
	.set _ZN7rocprim17ROCPRIM_400000_NS6detail17trampoline_kernelINS0_13select_configILj256ELj13ELNS0_17block_load_methodE3ELS4_3ELS4_3ELNS0_20block_scan_algorithmE0ELj4294967295EEENS1_25partition_config_selectorILNS1_17partition_subalgoE3EjNS0_10empty_typeEbEEZZNS1_14partition_implILS8_3ELb0ES6_jNS0_17counting_iteratorIjlEEPS9_SE_NS0_5tupleIJPjSE_EEENSF_IJSE_SE_EEES9_SG_JZNS1_25segmented_radix_sort_implINS0_14default_configELb0EPKhPhPKlPlN2at6native12_GLOBAL__N_18offset_tEEE10hipError_tPvRmT1_PNSt15iterator_traitsISY_E10value_typeET2_T3_PNSZ_IS14_E10value_typeET4_jRbjT5_S1A_jjP12ihipStream_tbEUljE_EEESV_SW_SX_S14_S18_S1A_T6_T7_T9_mT8_S1C_bDpT10_ENKUlT_T0_E_clISt17integral_constantIbLb0EES1P_EEDaS1K_S1L_EUlS1K_E_NS1_11comp_targetILNS1_3genE5ELNS1_11target_archE942ELNS1_3gpuE9ELNS1_3repE0EEENS1_30default_config_static_selectorELNS0_4arch9wavefront6targetE1EEEvSY_.num_named_barrier, 0
	.set _ZN7rocprim17ROCPRIM_400000_NS6detail17trampoline_kernelINS0_13select_configILj256ELj13ELNS0_17block_load_methodE3ELS4_3ELS4_3ELNS0_20block_scan_algorithmE0ELj4294967295EEENS1_25partition_config_selectorILNS1_17partition_subalgoE3EjNS0_10empty_typeEbEEZZNS1_14partition_implILS8_3ELb0ES6_jNS0_17counting_iteratorIjlEEPS9_SE_NS0_5tupleIJPjSE_EEENSF_IJSE_SE_EEES9_SG_JZNS1_25segmented_radix_sort_implINS0_14default_configELb0EPKhPhPKlPlN2at6native12_GLOBAL__N_18offset_tEEE10hipError_tPvRmT1_PNSt15iterator_traitsISY_E10value_typeET2_T3_PNSZ_IS14_E10value_typeET4_jRbjT5_S1A_jjP12ihipStream_tbEUljE_EEESV_SW_SX_S14_S18_S1A_T6_T7_T9_mT8_S1C_bDpT10_ENKUlT_T0_E_clISt17integral_constantIbLb0EES1P_EEDaS1K_S1L_EUlS1K_E_NS1_11comp_targetILNS1_3genE5ELNS1_11target_archE942ELNS1_3gpuE9ELNS1_3repE0EEENS1_30default_config_static_selectorELNS0_4arch9wavefront6targetE1EEEvSY_.private_seg_size, 0
	.set _ZN7rocprim17ROCPRIM_400000_NS6detail17trampoline_kernelINS0_13select_configILj256ELj13ELNS0_17block_load_methodE3ELS4_3ELS4_3ELNS0_20block_scan_algorithmE0ELj4294967295EEENS1_25partition_config_selectorILNS1_17partition_subalgoE3EjNS0_10empty_typeEbEEZZNS1_14partition_implILS8_3ELb0ES6_jNS0_17counting_iteratorIjlEEPS9_SE_NS0_5tupleIJPjSE_EEENSF_IJSE_SE_EEES9_SG_JZNS1_25segmented_radix_sort_implINS0_14default_configELb0EPKhPhPKlPlN2at6native12_GLOBAL__N_18offset_tEEE10hipError_tPvRmT1_PNSt15iterator_traitsISY_E10value_typeET2_T3_PNSZ_IS14_E10value_typeET4_jRbjT5_S1A_jjP12ihipStream_tbEUljE_EEESV_SW_SX_S14_S18_S1A_T6_T7_T9_mT8_S1C_bDpT10_ENKUlT_T0_E_clISt17integral_constantIbLb0EES1P_EEDaS1K_S1L_EUlS1K_E_NS1_11comp_targetILNS1_3genE5ELNS1_11target_archE942ELNS1_3gpuE9ELNS1_3repE0EEENS1_30default_config_static_selectorELNS0_4arch9wavefront6targetE1EEEvSY_.uses_vcc, 0
	.set _ZN7rocprim17ROCPRIM_400000_NS6detail17trampoline_kernelINS0_13select_configILj256ELj13ELNS0_17block_load_methodE3ELS4_3ELS4_3ELNS0_20block_scan_algorithmE0ELj4294967295EEENS1_25partition_config_selectorILNS1_17partition_subalgoE3EjNS0_10empty_typeEbEEZZNS1_14partition_implILS8_3ELb0ES6_jNS0_17counting_iteratorIjlEEPS9_SE_NS0_5tupleIJPjSE_EEENSF_IJSE_SE_EEES9_SG_JZNS1_25segmented_radix_sort_implINS0_14default_configELb0EPKhPhPKlPlN2at6native12_GLOBAL__N_18offset_tEEE10hipError_tPvRmT1_PNSt15iterator_traitsISY_E10value_typeET2_T3_PNSZ_IS14_E10value_typeET4_jRbjT5_S1A_jjP12ihipStream_tbEUljE_EEESV_SW_SX_S14_S18_S1A_T6_T7_T9_mT8_S1C_bDpT10_ENKUlT_T0_E_clISt17integral_constantIbLb0EES1P_EEDaS1K_S1L_EUlS1K_E_NS1_11comp_targetILNS1_3genE5ELNS1_11target_archE942ELNS1_3gpuE9ELNS1_3repE0EEENS1_30default_config_static_selectorELNS0_4arch9wavefront6targetE1EEEvSY_.uses_flat_scratch, 0
	.set _ZN7rocprim17ROCPRIM_400000_NS6detail17trampoline_kernelINS0_13select_configILj256ELj13ELNS0_17block_load_methodE3ELS4_3ELS4_3ELNS0_20block_scan_algorithmE0ELj4294967295EEENS1_25partition_config_selectorILNS1_17partition_subalgoE3EjNS0_10empty_typeEbEEZZNS1_14partition_implILS8_3ELb0ES6_jNS0_17counting_iteratorIjlEEPS9_SE_NS0_5tupleIJPjSE_EEENSF_IJSE_SE_EEES9_SG_JZNS1_25segmented_radix_sort_implINS0_14default_configELb0EPKhPhPKlPlN2at6native12_GLOBAL__N_18offset_tEEE10hipError_tPvRmT1_PNSt15iterator_traitsISY_E10value_typeET2_T3_PNSZ_IS14_E10value_typeET4_jRbjT5_S1A_jjP12ihipStream_tbEUljE_EEESV_SW_SX_S14_S18_S1A_T6_T7_T9_mT8_S1C_bDpT10_ENKUlT_T0_E_clISt17integral_constantIbLb0EES1P_EEDaS1K_S1L_EUlS1K_E_NS1_11comp_targetILNS1_3genE5ELNS1_11target_archE942ELNS1_3gpuE9ELNS1_3repE0EEENS1_30default_config_static_selectorELNS0_4arch9wavefront6targetE1EEEvSY_.has_dyn_sized_stack, 0
	.set _ZN7rocprim17ROCPRIM_400000_NS6detail17trampoline_kernelINS0_13select_configILj256ELj13ELNS0_17block_load_methodE3ELS4_3ELS4_3ELNS0_20block_scan_algorithmE0ELj4294967295EEENS1_25partition_config_selectorILNS1_17partition_subalgoE3EjNS0_10empty_typeEbEEZZNS1_14partition_implILS8_3ELb0ES6_jNS0_17counting_iteratorIjlEEPS9_SE_NS0_5tupleIJPjSE_EEENSF_IJSE_SE_EEES9_SG_JZNS1_25segmented_radix_sort_implINS0_14default_configELb0EPKhPhPKlPlN2at6native12_GLOBAL__N_18offset_tEEE10hipError_tPvRmT1_PNSt15iterator_traitsISY_E10value_typeET2_T3_PNSZ_IS14_E10value_typeET4_jRbjT5_S1A_jjP12ihipStream_tbEUljE_EEESV_SW_SX_S14_S18_S1A_T6_T7_T9_mT8_S1C_bDpT10_ENKUlT_T0_E_clISt17integral_constantIbLb0EES1P_EEDaS1K_S1L_EUlS1K_E_NS1_11comp_targetILNS1_3genE5ELNS1_11target_archE942ELNS1_3gpuE9ELNS1_3repE0EEENS1_30default_config_static_selectorELNS0_4arch9wavefront6targetE1EEEvSY_.has_recursion, 0
	.set _ZN7rocprim17ROCPRIM_400000_NS6detail17trampoline_kernelINS0_13select_configILj256ELj13ELNS0_17block_load_methodE3ELS4_3ELS4_3ELNS0_20block_scan_algorithmE0ELj4294967295EEENS1_25partition_config_selectorILNS1_17partition_subalgoE3EjNS0_10empty_typeEbEEZZNS1_14partition_implILS8_3ELb0ES6_jNS0_17counting_iteratorIjlEEPS9_SE_NS0_5tupleIJPjSE_EEENSF_IJSE_SE_EEES9_SG_JZNS1_25segmented_radix_sort_implINS0_14default_configELb0EPKhPhPKlPlN2at6native12_GLOBAL__N_18offset_tEEE10hipError_tPvRmT1_PNSt15iterator_traitsISY_E10value_typeET2_T3_PNSZ_IS14_E10value_typeET4_jRbjT5_S1A_jjP12ihipStream_tbEUljE_EEESV_SW_SX_S14_S18_S1A_T6_T7_T9_mT8_S1C_bDpT10_ENKUlT_T0_E_clISt17integral_constantIbLb0EES1P_EEDaS1K_S1L_EUlS1K_E_NS1_11comp_targetILNS1_3genE5ELNS1_11target_archE942ELNS1_3gpuE9ELNS1_3repE0EEENS1_30default_config_static_selectorELNS0_4arch9wavefront6targetE1EEEvSY_.has_indirect_call, 0
	.section	.AMDGPU.csdata,"",@progbits
; Kernel info:
; codeLenInByte = 0
; TotalNumSgprs: 4
; NumVgprs: 0
; ScratchSize: 0
; MemoryBound: 0
; FloatMode: 240
; IeeeMode: 1
; LDSByteSize: 0 bytes/workgroup (compile time only)
; SGPRBlocks: 0
; VGPRBlocks: 0
; NumSGPRsForWavesPerEU: 4
; NumVGPRsForWavesPerEU: 1
; Occupancy: 10
; WaveLimiterHint : 0
; COMPUTE_PGM_RSRC2:SCRATCH_EN: 0
; COMPUTE_PGM_RSRC2:USER_SGPR: 6
; COMPUTE_PGM_RSRC2:TRAP_HANDLER: 0
; COMPUTE_PGM_RSRC2:TGID_X_EN: 1
; COMPUTE_PGM_RSRC2:TGID_Y_EN: 0
; COMPUTE_PGM_RSRC2:TGID_Z_EN: 0
; COMPUTE_PGM_RSRC2:TIDIG_COMP_CNT: 0
	.section	.text._ZN7rocprim17ROCPRIM_400000_NS6detail17trampoline_kernelINS0_13select_configILj256ELj13ELNS0_17block_load_methodE3ELS4_3ELS4_3ELNS0_20block_scan_algorithmE0ELj4294967295EEENS1_25partition_config_selectorILNS1_17partition_subalgoE3EjNS0_10empty_typeEbEEZZNS1_14partition_implILS8_3ELb0ES6_jNS0_17counting_iteratorIjlEEPS9_SE_NS0_5tupleIJPjSE_EEENSF_IJSE_SE_EEES9_SG_JZNS1_25segmented_radix_sort_implINS0_14default_configELb0EPKhPhPKlPlN2at6native12_GLOBAL__N_18offset_tEEE10hipError_tPvRmT1_PNSt15iterator_traitsISY_E10value_typeET2_T3_PNSZ_IS14_E10value_typeET4_jRbjT5_S1A_jjP12ihipStream_tbEUljE_EEESV_SW_SX_S14_S18_S1A_T6_T7_T9_mT8_S1C_bDpT10_ENKUlT_T0_E_clISt17integral_constantIbLb0EES1P_EEDaS1K_S1L_EUlS1K_E_NS1_11comp_targetILNS1_3genE4ELNS1_11target_archE910ELNS1_3gpuE8ELNS1_3repE0EEENS1_30default_config_static_selectorELNS0_4arch9wavefront6targetE1EEEvSY_,"axG",@progbits,_ZN7rocprim17ROCPRIM_400000_NS6detail17trampoline_kernelINS0_13select_configILj256ELj13ELNS0_17block_load_methodE3ELS4_3ELS4_3ELNS0_20block_scan_algorithmE0ELj4294967295EEENS1_25partition_config_selectorILNS1_17partition_subalgoE3EjNS0_10empty_typeEbEEZZNS1_14partition_implILS8_3ELb0ES6_jNS0_17counting_iteratorIjlEEPS9_SE_NS0_5tupleIJPjSE_EEENSF_IJSE_SE_EEES9_SG_JZNS1_25segmented_radix_sort_implINS0_14default_configELb0EPKhPhPKlPlN2at6native12_GLOBAL__N_18offset_tEEE10hipError_tPvRmT1_PNSt15iterator_traitsISY_E10value_typeET2_T3_PNSZ_IS14_E10value_typeET4_jRbjT5_S1A_jjP12ihipStream_tbEUljE_EEESV_SW_SX_S14_S18_S1A_T6_T7_T9_mT8_S1C_bDpT10_ENKUlT_T0_E_clISt17integral_constantIbLb0EES1P_EEDaS1K_S1L_EUlS1K_E_NS1_11comp_targetILNS1_3genE4ELNS1_11target_archE910ELNS1_3gpuE8ELNS1_3repE0EEENS1_30default_config_static_selectorELNS0_4arch9wavefront6targetE1EEEvSY_,comdat
	.globl	_ZN7rocprim17ROCPRIM_400000_NS6detail17trampoline_kernelINS0_13select_configILj256ELj13ELNS0_17block_load_methodE3ELS4_3ELS4_3ELNS0_20block_scan_algorithmE0ELj4294967295EEENS1_25partition_config_selectorILNS1_17partition_subalgoE3EjNS0_10empty_typeEbEEZZNS1_14partition_implILS8_3ELb0ES6_jNS0_17counting_iteratorIjlEEPS9_SE_NS0_5tupleIJPjSE_EEENSF_IJSE_SE_EEES9_SG_JZNS1_25segmented_radix_sort_implINS0_14default_configELb0EPKhPhPKlPlN2at6native12_GLOBAL__N_18offset_tEEE10hipError_tPvRmT1_PNSt15iterator_traitsISY_E10value_typeET2_T3_PNSZ_IS14_E10value_typeET4_jRbjT5_S1A_jjP12ihipStream_tbEUljE_EEESV_SW_SX_S14_S18_S1A_T6_T7_T9_mT8_S1C_bDpT10_ENKUlT_T0_E_clISt17integral_constantIbLb0EES1P_EEDaS1K_S1L_EUlS1K_E_NS1_11comp_targetILNS1_3genE4ELNS1_11target_archE910ELNS1_3gpuE8ELNS1_3repE0EEENS1_30default_config_static_selectorELNS0_4arch9wavefront6targetE1EEEvSY_ ; -- Begin function _ZN7rocprim17ROCPRIM_400000_NS6detail17trampoline_kernelINS0_13select_configILj256ELj13ELNS0_17block_load_methodE3ELS4_3ELS4_3ELNS0_20block_scan_algorithmE0ELj4294967295EEENS1_25partition_config_selectorILNS1_17partition_subalgoE3EjNS0_10empty_typeEbEEZZNS1_14partition_implILS8_3ELb0ES6_jNS0_17counting_iteratorIjlEEPS9_SE_NS0_5tupleIJPjSE_EEENSF_IJSE_SE_EEES9_SG_JZNS1_25segmented_radix_sort_implINS0_14default_configELb0EPKhPhPKlPlN2at6native12_GLOBAL__N_18offset_tEEE10hipError_tPvRmT1_PNSt15iterator_traitsISY_E10value_typeET2_T3_PNSZ_IS14_E10value_typeET4_jRbjT5_S1A_jjP12ihipStream_tbEUljE_EEESV_SW_SX_S14_S18_S1A_T6_T7_T9_mT8_S1C_bDpT10_ENKUlT_T0_E_clISt17integral_constantIbLb0EES1P_EEDaS1K_S1L_EUlS1K_E_NS1_11comp_targetILNS1_3genE4ELNS1_11target_archE910ELNS1_3gpuE8ELNS1_3repE0EEENS1_30default_config_static_selectorELNS0_4arch9wavefront6targetE1EEEvSY_
	.p2align	8
	.type	_ZN7rocprim17ROCPRIM_400000_NS6detail17trampoline_kernelINS0_13select_configILj256ELj13ELNS0_17block_load_methodE3ELS4_3ELS4_3ELNS0_20block_scan_algorithmE0ELj4294967295EEENS1_25partition_config_selectorILNS1_17partition_subalgoE3EjNS0_10empty_typeEbEEZZNS1_14partition_implILS8_3ELb0ES6_jNS0_17counting_iteratorIjlEEPS9_SE_NS0_5tupleIJPjSE_EEENSF_IJSE_SE_EEES9_SG_JZNS1_25segmented_radix_sort_implINS0_14default_configELb0EPKhPhPKlPlN2at6native12_GLOBAL__N_18offset_tEEE10hipError_tPvRmT1_PNSt15iterator_traitsISY_E10value_typeET2_T3_PNSZ_IS14_E10value_typeET4_jRbjT5_S1A_jjP12ihipStream_tbEUljE_EEESV_SW_SX_S14_S18_S1A_T6_T7_T9_mT8_S1C_bDpT10_ENKUlT_T0_E_clISt17integral_constantIbLb0EES1P_EEDaS1K_S1L_EUlS1K_E_NS1_11comp_targetILNS1_3genE4ELNS1_11target_archE910ELNS1_3gpuE8ELNS1_3repE0EEENS1_30default_config_static_selectorELNS0_4arch9wavefront6targetE1EEEvSY_,@function
_ZN7rocprim17ROCPRIM_400000_NS6detail17trampoline_kernelINS0_13select_configILj256ELj13ELNS0_17block_load_methodE3ELS4_3ELS4_3ELNS0_20block_scan_algorithmE0ELj4294967295EEENS1_25partition_config_selectorILNS1_17partition_subalgoE3EjNS0_10empty_typeEbEEZZNS1_14partition_implILS8_3ELb0ES6_jNS0_17counting_iteratorIjlEEPS9_SE_NS0_5tupleIJPjSE_EEENSF_IJSE_SE_EEES9_SG_JZNS1_25segmented_radix_sort_implINS0_14default_configELb0EPKhPhPKlPlN2at6native12_GLOBAL__N_18offset_tEEE10hipError_tPvRmT1_PNSt15iterator_traitsISY_E10value_typeET2_T3_PNSZ_IS14_E10value_typeET4_jRbjT5_S1A_jjP12ihipStream_tbEUljE_EEESV_SW_SX_S14_S18_S1A_T6_T7_T9_mT8_S1C_bDpT10_ENKUlT_T0_E_clISt17integral_constantIbLb0EES1P_EEDaS1K_S1L_EUlS1K_E_NS1_11comp_targetILNS1_3genE4ELNS1_11target_archE910ELNS1_3gpuE8ELNS1_3repE0EEENS1_30default_config_static_selectorELNS0_4arch9wavefront6targetE1EEEvSY_: ; @_ZN7rocprim17ROCPRIM_400000_NS6detail17trampoline_kernelINS0_13select_configILj256ELj13ELNS0_17block_load_methodE3ELS4_3ELS4_3ELNS0_20block_scan_algorithmE0ELj4294967295EEENS1_25partition_config_selectorILNS1_17partition_subalgoE3EjNS0_10empty_typeEbEEZZNS1_14partition_implILS8_3ELb0ES6_jNS0_17counting_iteratorIjlEEPS9_SE_NS0_5tupleIJPjSE_EEENSF_IJSE_SE_EEES9_SG_JZNS1_25segmented_radix_sort_implINS0_14default_configELb0EPKhPhPKlPlN2at6native12_GLOBAL__N_18offset_tEEE10hipError_tPvRmT1_PNSt15iterator_traitsISY_E10value_typeET2_T3_PNSZ_IS14_E10value_typeET4_jRbjT5_S1A_jjP12ihipStream_tbEUljE_EEESV_SW_SX_S14_S18_S1A_T6_T7_T9_mT8_S1C_bDpT10_ENKUlT_T0_E_clISt17integral_constantIbLb0EES1P_EEDaS1K_S1L_EUlS1K_E_NS1_11comp_targetILNS1_3genE4ELNS1_11target_archE910ELNS1_3gpuE8ELNS1_3repE0EEENS1_30default_config_static_selectorELNS0_4arch9wavefront6targetE1EEEvSY_
; %bb.0:
	.section	.rodata,"a",@progbits
	.p2align	6, 0x0
	.amdhsa_kernel _ZN7rocprim17ROCPRIM_400000_NS6detail17trampoline_kernelINS0_13select_configILj256ELj13ELNS0_17block_load_methodE3ELS4_3ELS4_3ELNS0_20block_scan_algorithmE0ELj4294967295EEENS1_25partition_config_selectorILNS1_17partition_subalgoE3EjNS0_10empty_typeEbEEZZNS1_14partition_implILS8_3ELb0ES6_jNS0_17counting_iteratorIjlEEPS9_SE_NS0_5tupleIJPjSE_EEENSF_IJSE_SE_EEES9_SG_JZNS1_25segmented_radix_sort_implINS0_14default_configELb0EPKhPhPKlPlN2at6native12_GLOBAL__N_18offset_tEEE10hipError_tPvRmT1_PNSt15iterator_traitsISY_E10value_typeET2_T3_PNSZ_IS14_E10value_typeET4_jRbjT5_S1A_jjP12ihipStream_tbEUljE_EEESV_SW_SX_S14_S18_S1A_T6_T7_T9_mT8_S1C_bDpT10_ENKUlT_T0_E_clISt17integral_constantIbLb0EES1P_EEDaS1K_S1L_EUlS1K_E_NS1_11comp_targetILNS1_3genE4ELNS1_11target_archE910ELNS1_3gpuE8ELNS1_3repE0EEENS1_30default_config_static_selectorELNS0_4arch9wavefront6targetE1EEEvSY_
		.amdhsa_group_segment_fixed_size 0
		.amdhsa_private_segment_fixed_size 0
		.amdhsa_kernarg_size 144
		.amdhsa_user_sgpr_count 6
		.amdhsa_user_sgpr_private_segment_buffer 1
		.amdhsa_user_sgpr_dispatch_ptr 0
		.amdhsa_user_sgpr_queue_ptr 0
		.amdhsa_user_sgpr_kernarg_segment_ptr 1
		.amdhsa_user_sgpr_dispatch_id 0
		.amdhsa_user_sgpr_flat_scratch_init 0
		.amdhsa_user_sgpr_private_segment_size 0
		.amdhsa_uses_dynamic_stack 0
		.amdhsa_system_sgpr_private_segment_wavefront_offset 0
		.amdhsa_system_sgpr_workgroup_id_x 1
		.amdhsa_system_sgpr_workgroup_id_y 0
		.amdhsa_system_sgpr_workgroup_id_z 0
		.amdhsa_system_sgpr_workgroup_info 0
		.amdhsa_system_vgpr_workitem_id 0
		.amdhsa_next_free_vgpr 1
		.amdhsa_next_free_sgpr 0
		.amdhsa_reserve_vcc 0
		.amdhsa_reserve_flat_scratch 0
		.amdhsa_float_round_mode_32 0
		.amdhsa_float_round_mode_16_64 0
		.amdhsa_float_denorm_mode_32 3
		.amdhsa_float_denorm_mode_16_64 3
		.amdhsa_dx10_clamp 1
		.amdhsa_ieee_mode 1
		.amdhsa_fp16_overflow 0
		.amdhsa_exception_fp_ieee_invalid_op 0
		.amdhsa_exception_fp_denorm_src 0
		.amdhsa_exception_fp_ieee_div_zero 0
		.amdhsa_exception_fp_ieee_overflow 0
		.amdhsa_exception_fp_ieee_underflow 0
		.amdhsa_exception_fp_ieee_inexact 0
		.amdhsa_exception_int_div_zero 0
	.end_amdhsa_kernel
	.section	.text._ZN7rocprim17ROCPRIM_400000_NS6detail17trampoline_kernelINS0_13select_configILj256ELj13ELNS0_17block_load_methodE3ELS4_3ELS4_3ELNS0_20block_scan_algorithmE0ELj4294967295EEENS1_25partition_config_selectorILNS1_17partition_subalgoE3EjNS0_10empty_typeEbEEZZNS1_14partition_implILS8_3ELb0ES6_jNS0_17counting_iteratorIjlEEPS9_SE_NS0_5tupleIJPjSE_EEENSF_IJSE_SE_EEES9_SG_JZNS1_25segmented_radix_sort_implINS0_14default_configELb0EPKhPhPKlPlN2at6native12_GLOBAL__N_18offset_tEEE10hipError_tPvRmT1_PNSt15iterator_traitsISY_E10value_typeET2_T3_PNSZ_IS14_E10value_typeET4_jRbjT5_S1A_jjP12ihipStream_tbEUljE_EEESV_SW_SX_S14_S18_S1A_T6_T7_T9_mT8_S1C_bDpT10_ENKUlT_T0_E_clISt17integral_constantIbLb0EES1P_EEDaS1K_S1L_EUlS1K_E_NS1_11comp_targetILNS1_3genE4ELNS1_11target_archE910ELNS1_3gpuE8ELNS1_3repE0EEENS1_30default_config_static_selectorELNS0_4arch9wavefront6targetE1EEEvSY_,"axG",@progbits,_ZN7rocprim17ROCPRIM_400000_NS6detail17trampoline_kernelINS0_13select_configILj256ELj13ELNS0_17block_load_methodE3ELS4_3ELS4_3ELNS0_20block_scan_algorithmE0ELj4294967295EEENS1_25partition_config_selectorILNS1_17partition_subalgoE3EjNS0_10empty_typeEbEEZZNS1_14partition_implILS8_3ELb0ES6_jNS0_17counting_iteratorIjlEEPS9_SE_NS0_5tupleIJPjSE_EEENSF_IJSE_SE_EEES9_SG_JZNS1_25segmented_radix_sort_implINS0_14default_configELb0EPKhPhPKlPlN2at6native12_GLOBAL__N_18offset_tEEE10hipError_tPvRmT1_PNSt15iterator_traitsISY_E10value_typeET2_T3_PNSZ_IS14_E10value_typeET4_jRbjT5_S1A_jjP12ihipStream_tbEUljE_EEESV_SW_SX_S14_S18_S1A_T6_T7_T9_mT8_S1C_bDpT10_ENKUlT_T0_E_clISt17integral_constantIbLb0EES1P_EEDaS1K_S1L_EUlS1K_E_NS1_11comp_targetILNS1_3genE4ELNS1_11target_archE910ELNS1_3gpuE8ELNS1_3repE0EEENS1_30default_config_static_selectorELNS0_4arch9wavefront6targetE1EEEvSY_,comdat
.Lfunc_end156:
	.size	_ZN7rocprim17ROCPRIM_400000_NS6detail17trampoline_kernelINS0_13select_configILj256ELj13ELNS0_17block_load_methodE3ELS4_3ELS4_3ELNS0_20block_scan_algorithmE0ELj4294967295EEENS1_25partition_config_selectorILNS1_17partition_subalgoE3EjNS0_10empty_typeEbEEZZNS1_14partition_implILS8_3ELb0ES6_jNS0_17counting_iteratorIjlEEPS9_SE_NS0_5tupleIJPjSE_EEENSF_IJSE_SE_EEES9_SG_JZNS1_25segmented_radix_sort_implINS0_14default_configELb0EPKhPhPKlPlN2at6native12_GLOBAL__N_18offset_tEEE10hipError_tPvRmT1_PNSt15iterator_traitsISY_E10value_typeET2_T3_PNSZ_IS14_E10value_typeET4_jRbjT5_S1A_jjP12ihipStream_tbEUljE_EEESV_SW_SX_S14_S18_S1A_T6_T7_T9_mT8_S1C_bDpT10_ENKUlT_T0_E_clISt17integral_constantIbLb0EES1P_EEDaS1K_S1L_EUlS1K_E_NS1_11comp_targetILNS1_3genE4ELNS1_11target_archE910ELNS1_3gpuE8ELNS1_3repE0EEENS1_30default_config_static_selectorELNS0_4arch9wavefront6targetE1EEEvSY_, .Lfunc_end156-_ZN7rocprim17ROCPRIM_400000_NS6detail17trampoline_kernelINS0_13select_configILj256ELj13ELNS0_17block_load_methodE3ELS4_3ELS4_3ELNS0_20block_scan_algorithmE0ELj4294967295EEENS1_25partition_config_selectorILNS1_17partition_subalgoE3EjNS0_10empty_typeEbEEZZNS1_14partition_implILS8_3ELb0ES6_jNS0_17counting_iteratorIjlEEPS9_SE_NS0_5tupleIJPjSE_EEENSF_IJSE_SE_EEES9_SG_JZNS1_25segmented_radix_sort_implINS0_14default_configELb0EPKhPhPKlPlN2at6native12_GLOBAL__N_18offset_tEEE10hipError_tPvRmT1_PNSt15iterator_traitsISY_E10value_typeET2_T3_PNSZ_IS14_E10value_typeET4_jRbjT5_S1A_jjP12ihipStream_tbEUljE_EEESV_SW_SX_S14_S18_S1A_T6_T7_T9_mT8_S1C_bDpT10_ENKUlT_T0_E_clISt17integral_constantIbLb0EES1P_EEDaS1K_S1L_EUlS1K_E_NS1_11comp_targetILNS1_3genE4ELNS1_11target_archE910ELNS1_3gpuE8ELNS1_3repE0EEENS1_30default_config_static_selectorELNS0_4arch9wavefront6targetE1EEEvSY_
                                        ; -- End function
	.set _ZN7rocprim17ROCPRIM_400000_NS6detail17trampoline_kernelINS0_13select_configILj256ELj13ELNS0_17block_load_methodE3ELS4_3ELS4_3ELNS0_20block_scan_algorithmE0ELj4294967295EEENS1_25partition_config_selectorILNS1_17partition_subalgoE3EjNS0_10empty_typeEbEEZZNS1_14partition_implILS8_3ELb0ES6_jNS0_17counting_iteratorIjlEEPS9_SE_NS0_5tupleIJPjSE_EEENSF_IJSE_SE_EEES9_SG_JZNS1_25segmented_radix_sort_implINS0_14default_configELb0EPKhPhPKlPlN2at6native12_GLOBAL__N_18offset_tEEE10hipError_tPvRmT1_PNSt15iterator_traitsISY_E10value_typeET2_T3_PNSZ_IS14_E10value_typeET4_jRbjT5_S1A_jjP12ihipStream_tbEUljE_EEESV_SW_SX_S14_S18_S1A_T6_T7_T9_mT8_S1C_bDpT10_ENKUlT_T0_E_clISt17integral_constantIbLb0EES1P_EEDaS1K_S1L_EUlS1K_E_NS1_11comp_targetILNS1_3genE4ELNS1_11target_archE910ELNS1_3gpuE8ELNS1_3repE0EEENS1_30default_config_static_selectorELNS0_4arch9wavefront6targetE1EEEvSY_.num_vgpr, 0
	.set _ZN7rocprim17ROCPRIM_400000_NS6detail17trampoline_kernelINS0_13select_configILj256ELj13ELNS0_17block_load_methodE3ELS4_3ELS4_3ELNS0_20block_scan_algorithmE0ELj4294967295EEENS1_25partition_config_selectorILNS1_17partition_subalgoE3EjNS0_10empty_typeEbEEZZNS1_14partition_implILS8_3ELb0ES6_jNS0_17counting_iteratorIjlEEPS9_SE_NS0_5tupleIJPjSE_EEENSF_IJSE_SE_EEES9_SG_JZNS1_25segmented_radix_sort_implINS0_14default_configELb0EPKhPhPKlPlN2at6native12_GLOBAL__N_18offset_tEEE10hipError_tPvRmT1_PNSt15iterator_traitsISY_E10value_typeET2_T3_PNSZ_IS14_E10value_typeET4_jRbjT5_S1A_jjP12ihipStream_tbEUljE_EEESV_SW_SX_S14_S18_S1A_T6_T7_T9_mT8_S1C_bDpT10_ENKUlT_T0_E_clISt17integral_constantIbLb0EES1P_EEDaS1K_S1L_EUlS1K_E_NS1_11comp_targetILNS1_3genE4ELNS1_11target_archE910ELNS1_3gpuE8ELNS1_3repE0EEENS1_30default_config_static_selectorELNS0_4arch9wavefront6targetE1EEEvSY_.num_agpr, 0
	.set _ZN7rocprim17ROCPRIM_400000_NS6detail17trampoline_kernelINS0_13select_configILj256ELj13ELNS0_17block_load_methodE3ELS4_3ELS4_3ELNS0_20block_scan_algorithmE0ELj4294967295EEENS1_25partition_config_selectorILNS1_17partition_subalgoE3EjNS0_10empty_typeEbEEZZNS1_14partition_implILS8_3ELb0ES6_jNS0_17counting_iteratorIjlEEPS9_SE_NS0_5tupleIJPjSE_EEENSF_IJSE_SE_EEES9_SG_JZNS1_25segmented_radix_sort_implINS0_14default_configELb0EPKhPhPKlPlN2at6native12_GLOBAL__N_18offset_tEEE10hipError_tPvRmT1_PNSt15iterator_traitsISY_E10value_typeET2_T3_PNSZ_IS14_E10value_typeET4_jRbjT5_S1A_jjP12ihipStream_tbEUljE_EEESV_SW_SX_S14_S18_S1A_T6_T7_T9_mT8_S1C_bDpT10_ENKUlT_T0_E_clISt17integral_constantIbLb0EES1P_EEDaS1K_S1L_EUlS1K_E_NS1_11comp_targetILNS1_3genE4ELNS1_11target_archE910ELNS1_3gpuE8ELNS1_3repE0EEENS1_30default_config_static_selectorELNS0_4arch9wavefront6targetE1EEEvSY_.numbered_sgpr, 0
	.set _ZN7rocprim17ROCPRIM_400000_NS6detail17trampoline_kernelINS0_13select_configILj256ELj13ELNS0_17block_load_methodE3ELS4_3ELS4_3ELNS0_20block_scan_algorithmE0ELj4294967295EEENS1_25partition_config_selectorILNS1_17partition_subalgoE3EjNS0_10empty_typeEbEEZZNS1_14partition_implILS8_3ELb0ES6_jNS0_17counting_iteratorIjlEEPS9_SE_NS0_5tupleIJPjSE_EEENSF_IJSE_SE_EEES9_SG_JZNS1_25segmented_radix_sort_implINS0_14default_configELb0EPKhPhPKlPlN2at6native12_GLOBAL__N_18offset_tEEE10hipError_tPvRmT1_PNSt15iterator_traitsISY_E10value_typeET2_T3_PNSZ_IS14_E10value_typeET4_jRbjT5_S1A_jjP12ihipStream_tbEUljE_EEESV_SW_SX_S14_S18_S1A_T6_T7_T9_mT8_S1C_bDpT10_ENKUlT_T0_E_clISt17integral_constantIbLb0EES1P_EEDaS1K_S1L_EUlS1K_E_NS1_11comp_targetILNS1_3genE4ELNS1_11target_archE910ELNS1_3gpuE8ELNS1_3repE0EEENS1_30default_config_static_selectorELNS0_4arch9wavefront6targetE1EEEvSY_.num_named_barrier, 0
	.set _ZN7rocprim17ROCPRIM_400000_NS6detail17trampoline_kernelINS0_13select_configILj256ELj13ELNS0_17block_load_methodE3ELS4_3ELS4_3ELNS0_20block_scan_algorithmE0ELj4294967295EEENS1_25partition_config_selectorILNS1_17partition_subalgoE3EjNS0_10empty_typeEbEEZZNS1_14partition_implILS8_3ELb0ES6_jNS0_17counting_iteratorIjlEEPS9_SE_NS0_5tupleIJPjSE_EEENSF_IJSE_SE_EEES9_SG_JZNS1_25segmented_radix_sort_implINS0_14default_configELb0EPKhPhPKlPlN2at6native12_GLOBAL__N_18offset_tEEE10hipError_tPvRmT1_PNSt15iterator_traitsISY_E10value_typeET2_T3_PNSZ_IS14_E10value_typeET4_jRbjT5_S1A_jjP12ihipStream_tbEUljE_EEESV_SW_SX_S14_S18_S1A_T6_T7_T9_mT8_S1C_bDpT10_ENKUlT_T0_E_clISt17integral_constantIbLb0EES1P_EEDaS1K_S1L_EUlS1K_E_NS1_11comp_targetILNS1_3genE4ELNS1_11target_archE910ELNS1_3gpuE8ELNS1_3repE0EEENS1_30default_config_static_selectorELNS0_4arch9wavefront6targetE1EEEvSY_.private_seg_size, 0
	.set _ZN7rocprim17ROCPRIM_400000_NS6detail17trampoline_kernelINS0_13select_configILj256ELj13ELNS0_17block_load_methodE3ELS4_3ELS4_3ELNS0_20block_scan_algorithmE0ELj4294967295EEENS1_25partition_config_selectorILNS1_17partition_subalgoE3EjNS0_10empty_typeEbEEZZNS1_14partition_implILS8_3ELb0ES6_jNS0_17counting_iteratorIjlEEPS9_SE_NS0_5tupleIJPjSE_EEENSF_IJSE_SE_EEES9_SG_JZNS1_25segmented_radix_sort_implINS0_14default_configELb0EPKhPhPKlPlN2at6native12_GLOBAL__N_18offset_tEEE10hipError_tPvRmT1_PNSt15iterator_traitsISY_E10value_typeET2_T3_PNSZ_IS14_E10value_typeET4_jRbjT5_S1A_jjP12ihipStream_tbEUljE_EEESV_SW_SX_S14_S18_S1A_T6_T7_T9_mT8_S1C_bDpT10_ENKUlT_T0_E_clISt17integral_constantIbLb0EES1P_EEDaS1K_S1L_EUlS1K_E_NS1_11comp_targetILNS1_3genE4ELNS1_11target_archE910ELNS1_3gpuE8ELNS1_3repE0EEENS1_30default_config_static_selectorELNS0_4arch9wavefront6targetE1EEEvSY_.uses_vcc, 0
	.set _ZN7rocprim17ROCPRIM_400000_NS6detail17trampoline_kernelINS0_13select_configILj256ELj13ELNS0_17block_load_methodE3ELS4_3ELS4_3ELNS0_20block_scan_algorithmE0ELj4294967295EEENS1_25partition_config_selectorILNS1_17partition_subalgoE3EjNS0_10empty_typeEbEEZZNS1_14partition_implILS8_3ELb0ES6_jNS0_17counting_iteratorIjlEEPS9_SE_NS0_5tupleIJPjSE_EEENSF_IJSE_SE_EEES9_SG_JZNS1_25segmented_radix_sort_implINS0_14default_configELb0EPKhPhPKlPlN2at6native12_GLOBAL__N_18offset_tEEE10hipError_tPvRmT1_PNSt15iterator_traitsISY_E10value_typeET2_T3_PNSZ_IS14_E10value_typeET4_jRbjT5_S1A_jjP12ihipStream_tbEUljE_EEESV_SW_SX_S14_S18_S1A_T6_T7_T9_mT8_S1C_bDpT10_ENKUlT_T0_E_clISt17integral_constantIbLb0EES1P_EEDaS1K_S1L_EUlS1K_E_NS1_11comp_targetILNS1_3genE4ELNS1_11target_archE910ELNS1_3gpuE8ELNS1_3repE0EEENS1_30default_config_static_selectorELNS0_4arch9wavefront6targetE1EEEvSY_.uses_flat_scratch, 0
	.set _ZN7rocprim17ROCPRIM_400000_NS6detail17trampoline_kernelINS0_13select_configILj256ELj13ELNS0_17block_load_methodE3ELS4_3ELS4_3ELNS0_20block_scan_algorithmE0ELj4294967295EEENS1_25partition_config_selectorILNS1_17partition_subalgoE3EjNS0_10empty_typeEbEEZZNS1_14partition_implILS8_3ELb0ES6_jNS0_17counting_iteratorIjlEEPS9_SE_NS0_5tupleIJPjSE_EEENSF_IJSE_SE_EEES9_SG_JZNS1_25segmented_radix_sort_implINS0_14default_configELb0EPKhPhPKlPlN2at6native12_GLOBAL__N_18offset_tEEE10hipError_tPvRmT1_PNSt15iterator_traitsISY_E10value_typeET2_T3_PNSZ_IS14_E10value_typeET4_jRbjT5_S1A_jjP12ihipStream_tbEUljE_EEESV_SW_SX_S14_S18_S1A_T6_T7_T9_mT8_S1C_bDpT10_ENKUlT_T0_E_clISt17integral_constantIbLb0EES1P_EEDaS1K_S1L_EUlS1K_E_NS1_11comp_targetILNS1_3genE4ELNS1_11target_archE910ELNS1_3gpuE8ELNS1_3repE0EEENS1_30default_config_static_selectorELNS0_4arch9wavefront6targetE1EEEvSY_.has_dyn_sized_stack, 0
	.set _ZN7rocprim17ROCPRIM_400000_NS6detail17trampoline_kernelINS0_13select_configILj256ELj13ELNS0_17block_load_methodE3ELS4_3ELS4_3ELNS0_20block_scan_algorithmE0ELj4294967295EEENS1_25partition_config_selectorILNS1_17partition_subalgoE3EjNS0_10empty_typeEbEEZZNS1_14partition_implILS8_3ELb0ES6_jNS0_17counting_iteratorIjlEEPS9_SE_NS0_5tupleIJPjSE_EEENSF_IJSE_SE_EEES9_SG_JZNS1_25segmented_radix_sort_implINS0_14default_configELb0EPKhPhPKlPlN2at6native12_GLOBAL__N_18offset_tEEE10hipError_tPvRmT1_PNSt15iterator_traitsISY_E10value_typeET2_T3_PNSZ_IS14_E10value_typeET4_jRbjT5_S1A_jjP12ihipStream_tbEUljE_EEESV_SW_SX_S14_S18_S1A_T6_T7_T9_mT8_S1C_bDpT10_ENKUlT_T0_E_clISt17integral_constantIbLb0EES1P_EEDaS1K_S1L_EUlS1K_E_NS1_11comp_targetILNS1_3genE4ELNS1_11target_archE910ELNS1_3gpuE8ELNS1_3repE0EEENS1_30default_config_static_selectorELNS0_4arch9wavefront6targetE1EEEvSY_.has_recursion, 0
	.set _ZN7rocprim17ROCPRIM_400000_NS6detail17trampoline_kernelINS0_13select_configILj256ELj13ELNS0_17block_load_methodE3ELS4_3ELS4_3ELNS0_20block_scan_algorithmE0ELj4294967295EEENS1_25partition_config_selectorILNS1_17partition_subalgoE3EjNS0_10empty_typeEbEEZZNS1_14partition_implILS8_3ELb0ES6_jNS0_17counting_iteratorIjlEEPS9_SE_NS0_5tupleIJPjSE_EEENSF_IJSE_SE_EEES9_SG_JZNS1_25segmented_radix_sort_implINS0_14default_configELb0EPKhPhPKlPlN2at6native12_GLOBAL__N_18offset_tEEE10hipError_tPvRmT1_PNSt15iterator_traitsISY_E10value_typeET2_T3_PNSZ_IS14_E10value_typeET4_jRbjT5_S1A_jjP12ihipStream_tbEUljE_EEESV_SW_SX_S14_S18_S1A_T6_T7_T9_mT8_S1C_bDpT10_ENKUlT_T0_E_clISt17integral_constantIbLb0EES1P_EEDaS1K_S1L_EUlS1K_E_NS1_11comp_targetILNS1_3genE4ELNS1_11target_archE910ELNS1_3gpuE8ELNS1_3repE0EEENS1_30default_config_static_selectorELNS0_4arch9wavefront6targetE1EEEvSY_.has_indirect_call, 0
	.section	.AMDGPU.csdata,"",@progbits
; Kernel info:
; codeLenInByte = 0
; TotalNumSgprs: 4
; NumVgprs: 0
; ScratchSize: 0
; MemoryBound: 0
; FloatMode: 240
; IeeeMode: 1
; LDSByteSize: 0 bytes/workgroup (compile time only)
; SGPRBlocks: 0
; VGPRBlocks: 0
; NumSGPRsForWavesPerEU: 4
; NumVGPRsForWavesPerEU: 1
; Occupancy: 10
; WaveLimiterHint : 0
; COMPUTE_PGM_RSRC2:SCRATCH_EN: 0
; COMPUTE_PGM_RSRC2:USER_SGPR: 6
; COMPUTE_PGM_RSRC2:TRAP_HANDLER: 0
; COMPUTE_PGM_RSRC2:TGID_X_EN: 1
; COMPUTE_PGM_RSRC2:TGID_Y_EN: 0
; COMPUTE_PGM_RSRC2:TGID_Z_EN: 0
; COMPUTE_PGM_RSRC2:TIDIG_COMP_CNT: 0
	.section	.text._ZN7rocprim17ROCPRIM_400000_NS6detail17trampoline_kernelINS0_13select_configILj256ELj13ELNS0_17block_load_methodE3ELS4_3ELS4_3ELNS0_20block_scan_algorithmE0ELj4294967295EEENS1_25partition_config_selectorILNS1_17partition_subalgoE3EjNS0_10empty_typeEbEEZZNS1_14partition_implILS8_3ELb0ES6_jNS0_17counting_iteratorIjlEEPS9_SE_NS0_5tupleIJPjSE_EEENSF_IJSE_SE_EEES9_SG_JZNS1_25segmented_radix_sort_implINS0_14default_configELb0EPKhPhPKlPlN2at6native12_GLOBAL__N_18offset_tEEE10hipError_tPvRmT1_PNSt15iterator_traitsISY_E10value_typeET2_T3_PNSZ_IS14_E10value_typeET4_jRbjT5_S1A_jjP12ihipStream_tbEUljE_EEESV_SW_SX_S14_S18_S1A_T6_T7_T9_mT8_S1C_bDpT10_ENKUlT_T0_E_clISt17integral_constantIbLb0EES1P_EEDaS1K_S1L_EUlS1K_E_NS1_11comp_targetILNS1_3genE3ELNS1_11target_archE908ELNS1_3gpuE7ELNS1_3repE0EEENS1_30default_config_static_selectorELNS0_4arch9wavefront6targetE1EEEvSY_,"axG",@progbits,_ZN7rocprim17ROCPRIM_400000_NS6detail17trampoline_kernelINS0_13select_configILj256ELj13ELNS0_17block_load_methodE3ELS4_3ELS4_3ELNS0_20block_scan_algorithmE0ELj4294967295EEENS1_25partition_config_selectorILNS1_17partition_subalgoE3EjNS0_10empty_typeEbEEZZNS1_14partition_implILS8_3ELb0ES6_jNS0_17counting_iteratorIjlEEPS9_SE_NS0_5tupleIJPjSE_EEENSF_IJSE_SE_EEES9_SG_JZNS1_25segmented_radix_sort_implINS0_14default_configELb0EPKhPhPKlPlN2at6native12_GLOBAL__N_18offset_tEEE10hipError_tPvRmT1_PNSt15iterator_traitsISY_E10value_typeET2_T3_PNSZ_IS14_E10value_typeET4_jRbjT5_S1A_jjP12ihipStream_tbEUljE_EEESV_SW_SX_S14_S18_S1A_T6_T7_T9_mT8_S1C_bDpT10_ENKUlT_T0_E_clISt17integral_constantIbLb0EES1P_EEDaS1K_S1L_EUlS1K_E_NS1_11comp_targetILNS1_3genE3ELNS1_11target_archE908ELNS1_3gpuE7ELNS1_3repE0EEENS1_30default_config_static_selectorELNS0_4arch9wavefront6targetE1EEEvSY_,comdat
	.globl	_ZN7rocprim17ROCPRIM_400000_NS6detail17trampoline_kernelINS0_13select_configILj256ELj13ELNS0_17block_load_methodE3ELS4_3ELS4_3ELNS0_20block_scan_algorithmE0ELj4294967295EEENS1_25partition_config_selectorILNS1_17partition_subalgoE3EjNS0_10empty_typeEbEEZZNS1_14partition_implILS8_3ELb0ES6_jNS0_17counting_iteratorIjlEEPS9_SE_NS0_5tupleIJPjSE_EEENSF_IJSE_SE_EEES9_SG_JZNS1_25segmented_radix_sort_implINS0_14default_configELb0EPKhPhPKlPlN2at6native12_GLOBAL__N_18offset_tEEE10hipError_tPvRmT1_PNSt15iterator_traitsISY_E10value_typeET2_T3_PNSZ_IS14_E10value_typeET4_jRbjT5_S1A_jjP12ihipStream_tbEUljE_EEESV_SW_SX_S14_S18_S1A_T6_T7_T9_mT8_S1C_bDpT10_ENKUlT_T0_E_clISt17integral_constantIbLb0EES1P_EEDaS1K_S1L_EUlS1K_E_NS1_11comp_targetILNS1_3genE3ELNS1_11target_archE908ELNS1_3gpuE7ELNS1_3repE0EEENS1_30default_config_static_selectorELNS0_4arch9wavefront6targetE1EEEvSY_ ; -- Begin function _ZN7rocprim17ROCPRIM_400000_NS6detail17trampoline_kernelINS0_13select_configILj256ELj13ELNS0_17block_load_methodE3ELS4_3ELS4_3ELNS0_20block_scan_algorithmE0ELj4294967295EEENS1_25partition_config_selectorILNS1_17partition_subalgoE3EjNS0_10empty_typeEbEEZZNS1_14partition_implILS8_3ELb0ES6_jNS0_17counting_iteratorIjlEEPS9_SE_NS0_5tupleIJPjSE_EEENSF_IJSE_SE_EEES9_SG_JZNS1_25segmented_radix_sort_implINS0_14default_configELb0EPKhPhPKlPlN2at6native12_GLOBAL__N_18offset_tEEE10hipError_tPvRmT1_PNSt15iterator_traitsISY_E10value_typeET2_T3_PNSZ_IS14_E10value_typeET4_jRbjT5_S1A_jjP12ihipStream_tbEUljE_EEESV_SW_SX_S14_S18_S1A_T6_T7_T9_mT8_S1C_bDpT10_ENKUlT_T0_E_clISt17integral_constantIbLb0EES1P_EEDaS1K_S1L_EUlS1K_E_NS1_11comp_targetILNS1_3genE3ELNS1_11target_archE908ELNS1_3gpuE7ELNS1_3repE0EEENS1_30default_config_static_selectorELNS0_4arch9wavefront6targetE1EEEvSY_
	.p2align	8
	.type	_ZN7rocprim17ROCPRIM_400000_NS6detail17trampoline_kernelINS0_13select_configILj256ELj13ELNS0_17block_load_methodE3ELS4_3ELS4_3ELNS0_20block_scan_algorithmE0ELj4294967295EEENS1_25partition_config_selectorILNS1_17partition_subalgoE3EjNS0_10empty_typeEbEEZZNS1_14partition_implILS8_3ELb0ES6_jNS0_17counting_iteratorIjlEEPS9_SE_NS0_5tupleIJPjSE_EEENSF_IJSE_SE_EEES9_SG_JZNS1_25segmented_radix_sort_implINS0_14default_configELb0EPKhPhPKlPlN2at6native12_GLOBAL__N_18offset_tEEE10hipError_tPvRmT1_PNSt15iterator_traitsISY_E10value_typeET2_T3_PNSZ_IS14_E10value_typeET4_jRbjT5_S1A_jjP12ihipStream_tbEUljE_EEESV_SW_SX_S14_S18_S1A_T6_T7_T9_mT8_S1C_bDpT10_ENKUlT_T0_E_clISt17integral_constantIbLb0EES1P_EEDaS1K_S1L_EUlS1K_E_NS1_11comp_targetILNS1_3genE3ELNS1_11target_archE908ELNS1_3gpuE7ELNS1_3repE0EEENS1_30default_config_static_selectorELNS0_4arch9wavefront6targetE1EEEvSY_,@function
_ZN7rocprim17ROCPRIM_400000_NS6detail17trampoline_kernelINS0_13select_configILj256ELj13ELNS0_17block_load_methodE3ELS4_3ELS4_3ELNS0_20block_scan_algorithmE0ELj4294967295EEENS1_25partition_config_selectorILNS1_17partition_subalgoE3EjNS0_10empty_typeEbEEZZNS1_14partition_implILS8_3ELb0ES6_jNS0_17counting_iteratorIjlEEPS9_SE_NS0_5tupleIJPjSE_EEENSF_IJSE_SE_EEES9_SG_JZNS1_25segmented_radix_sort_implINS0_14default_configELb0EPKhPhPKlPlN2at6native12_GLOBAL__N_18offset_tEEE10hipError_tPvRmT1_PNSt15iterator_traitsISY_E10value_typeET2_T3_PNSZ_IS14_E10value_typeET4_jRbjT5_S1A_jjP12ihipStream_tbEUljE_EEESV_SW_SX_S14_S18_S1A_T6_T7_T9_mT8_S1C_bDpT10_ENKUlT_T0_E_clISt17integral_constantIbLb0EES1P_EEDaS1K_S1L_EUlS1K_E_NS1_11comp_targetILNS1_3genE3ELNS1_11target_archE908ELNS1_3gpuE7ELNS1_3repE0EEENS1_30default_config_static_selectorELNS0_4arch9wavefront6targetE1EEEvSY_: ; @_ZN7rocprim17ROCPRIM_400000_NS6detail17trampoline_kernelINS0_13select_configILj256ELj13ELNS0_17block_load_methodE3ELS4_3ELS4_3ELNS0_20block_scan_algorithmE0ELj4294967295EEENS1_25partition_config_selectorILNS1_17partition_subalgoE3EjNS0_10empty_typeEbEEZZNS1_14partition_implILS8_3ELb0ES6_jNS0_17counting_iteratorIjlEEPS9_SE_NS0_5tupleIJPjSE_EEENSF_IJSE_SE_EEES9_SG_JZNS1_25segmented_radix_sort_implINS0_14default_configELb0EPKhPhPKlPlN2at6native12_GLOBAL__N_18offset_tEEE10hipError_tPvRmT1_PNSt15iterator_traitsISY_E10value_typeET2_T3_PNSZ_IS14_E10value_typeET4_jRbjT5_S1A_jjP12ihipStream_tbEUljE_EEESV_SW_SX_S14_S18_S1A_T6_T7_T9_mT8_S1C_bDpT10_ENKUlT_T0_E_clISt17integral_constantIbLb0EES1P_EEDaS1K_S1L_EUlS1K_E_NS1_11comp_targetILNS1_3genE3ELNS1_11target_archE908ELNS1_3gpuE7ELNS1_3repE0EEENS1_30default_config_static_selectorELNS0_4arch9wavefront6targetE1EEEvSY_
; %bb.0:
	.section	.rodata,"a",@progbits
	.p2align	6, 0x0
	.amdhsa_kernel _ZN7rocprim17ROCPRIM_400000_NS6detail17trampoline_kernelINS0_13select_configILj256ELj13ELNS0_17block_load_methodE3ELS4_3ELS4_3ELNS0_20block_scan_algorithmE0ELj4294967295EEENS1_25partition_config_selectorILNS1_17partition_subalgoE3EjNS0_10empty_typeEbEEZZNS1_14partition_implILS8_3ELb0ES6_jNS0_17counting_iteratorIjlEEPS9_SE_NS0_5tupleIJPjSE_EEENSF_IJSE_SE_EEES9_SG_JZNS1_25segmented_radix_sort_implINS0_14default_configELb0EPKhPhPKlPlN2at6native12_GLOBAL__N_18offset_tEEE10hipError_tPvRmT1_PNSt15iterator_traitsISY_E10value_typeET2_T3_PNSZ_IS14_E10value_typeET4_jRbjT5_S1A_jjP12ihipStream_tbEUljE_EEESV_SW_SX_S14_S18_S1A_T6_T7_T9_mT8_S1C_bDpT10_ENKUlT_T0_E_clISt17integral_constantIbLb0EES1P_EEDaS1K_S1L_EUlS1K_E_NS1_11comp_targetILNS1_3genE3ELNS1_11target_archE908ELNS1_3gpuE7ELNS1_3repE0EEENS1_30default_config_static_selectorELNS0_4arch9wavefront6targetE1EEEvSY_
		.amdhsa_group_segment_fixed_size 0
		.amdhsa_private_segment_fixed_size 0
		.amdhsa_kernarg_size 144
		.amdhsa_user_sgpr_count 6
		.amdhsa_user_sgpr_private_segment_buffer 1
		.amdhsa_user_sgpr_dispatch_ptr 0
		.amdhsa_user_sgpr_queue_ptr 0
		.amdhsa_user_sgpr_kernarg_segment_ptr 1
		.amdhsa_user_sgpr_dispatch_id 0
		.amdhsa_user_sgpr_flat_scratch_init 0
		.amdhsa_user_sgpr_private_segment_size 0
		.amdhsa_uses_dynamic_stack 0
		.amdhsa_system_sgpr_private_segment_wavefront_offset 0
		.amdhsa_system_sgpr_workgroup_id_x 1
		.amdhsa_system_sgpr_workgroup_id_y 0
		.amdhsa_system_sgpr_workgroup_id_z 0
		.amdhsa_system_sgpr_workgroup_info 0
		.amdhsa_system_vgpr_workitem_id 0
		.amdhsa_next_free_vgpr 1
		.amdhsa_next_free_sgpr 0
		.amdhsa_reserve_vcc 0
		.amdhsa_reserve_flat_scratch 0
		.amdhsa_float_round_mode_32 0
		.amdhsa_float_round_mode_16_64 0
		.amdhsa_float_denorm_mode_32 3
		.amdhsa_float_denorm_mode_16_64 3
		.amdhsa_dx10_clamp 1
		.amdhsa_ieee_mode 1
		.amdhsa_fp16_overflow 0
		.amdhsa_exception_fp_ieee_invalid_op 0
		.amdhsa_exception_fp_denorm_src 0
		.amdhsa_exception_fp_ieee_div_zero 0
		.amdhsa_exception_fp_ieee_overflow 0
		.amdhsa_exception_fp_ieee_underflow 0
		.amdhsa_exception_fp_ieee_inexact 0
		.amdhsa_exception_int_div_zero 0
	.end_amdhsa_kernel
	.section	.text._ZN7rocprim17ROCPRIM_400000_NS6detail17trampoline_kernelINS0_13select_configILj256ELj13ELNS0_17block_load_methodE3ELS4_3ELS4_3ELNS0_20block_scan_algorithmE0ELj4294967295EEENS1_25partition_config_selectorILNS1_17partition_subalgoE3EjNS0_10empty_typeEbEEZZNS1_14partition_implILS8_3ELb0ES6_jNS0_17counting_iteratorIjlEEPS9_SE_NS0_5tupleIJPjSE_EEENSF_IJSE_SE_EEES9_SG_JZNS1_25segmented_radix_sort_implINS0_14default_configELb0EPKhPhPKlPlN2at6native12_GLOBAL__N_18offset_tEEE10hipError_tPvRmT1_PNSt15iterator_traitsISY_E10value_typeET2_T3_PNSZ_IS14_E10value_typeET4_jRbjT5_S1A_jjP12ihipStream_tbEUljE_EEESV_SW_SX_S14_S18_S1A_T6_T7_T9_mT8_S1C_bDpT10_ENKUlT_T0_E_clISt17integral_constantIbLb0EES1P_EEDaS1K_S1L_EUlS1K_E_NS1_11comp_targetILNS1_3genE3ELNS1_11target_archE908ELNS1_3gpuE7ELNS1_3repE0EEENS1_30default_config_static_selectorELNS0_4arch9wavefront6targetE1EEEvSY_,"axG",@progbits,_ZN7rocprim17ROCPRIM_400000_NS6detail17trampoline_kernelINS0_13select_configILj256ELj13ELNS0_17block_load_methodE3ELS4_3ELS4_3ELNS0_20block_scan_algorithmE0ELj4294967295EEENS1_25partition_config_selectorILNS1_17partition_subalgoE3EjNS0_10empty_typeEbEEZZNS1_14partition_implILS8_3ELb0ES6_jNS0_17counting_iteratorIjlEEPS9_SE_NS0_5tupleIJPjSE_EEENSF_IJSE_SE_EEES9_SG_JZNS1_25segmented_radix_sort_implINS0_14default_configELb0EPKhPhPKlPlN2at6native12_GLOBAL__N_18offset_tEEE10hipError_tPvRmT1_PNSt15iterator_traitsISY_E10value_typeET2_T3_PNSZ_IS14_E10value_typeET4_jRbjT5_S1A_jjP12ihipStream_tbEUljE_EEESV_SW_SX_S14_S18_S1A_T6_T7_T9_mT8_S1C_bDpT10_ENKUlT_T0_E_clISt17integral_constantIbLb0EES1P_EEDaS1K_S1L_EUlS1K_E_NS1_11comp_targetILNS1_3genE3ELNS1_11target_archE908ELNS1_3gpuE7ELNS1_3repE0EEENS1_30default_config_static_selectorELNS0_4arch9wavefront6targetE1EEEvSY_,comdat
.Lfunc_end157:
	.size	_ZN7rocprim17ROCPRIM_400000_NS6detail17trampoline_kernelINS0_13select_configILj256ELj13ELNS0_17block_load_methodE3ELS4_3ELS4_3ELNS0_20block_scan_algorithmE0ELj4294967295EEENS1_25partition_config_selectorILNS1_17partition_subalgoE3EjNS0_10empty_typeEbEEZZNS1_14partition_implILS8_3ELb0ES6_jNS0_17counting_iteratorIjlEEPS9_SE_NS0_5tupleIJPjSE_EEENSF_IJSE_SE_EEES9_SG_JZNS1_25segmented_radix_sort_implINS0_14default_configELb0EPKhPhPKlPlN2at6native12_GLOBAL__N_18offset_tEEE10hipError_tPvRmT1_PNSt15iterator_traitsISY_E10value_typeET2_T3_PNSZ_IS14_E10value_typeET4_jRbjT5_S1A_jjP12ihipStream_tbEUljE_EEESV_SW_SX_S14_S18_S1A_T6_T7_T9_mT8_S1C_bDpT10_ENKUlT_T0_E_clISt17integral_constantIbLb0EES1P_EEDaS1K_S1L_EUlS1K_E_NS1_11comp_targetILNS1_3genE3ELNS1_11target_archE908ELNS1_3gpuE7ELNS1_3repE0EEENS1_30default_config_static_selectorELNS0_4arch9wavefront6targetE1EEEvSY_, .Lfunc_end157-_ZN7rocprim17ROCPRIM_400000_NS6detail17trampoline_kernelINS0_13select_configILj256ELj13ELNS0_17block_load_methodE3ELS4_3ELS4_3ELNS0_20block_scan_algorithmE0ELj4294967295EEENS1_25partition_config_selectorILNS1_17partition_subalgoE3EjNS0_10empty_typeEbEEZZNS1_14partition_implILS8_3ELb0ES6_jNS0_17counting_iteratorIjlEEPS9_SE_NS0_5tupleIJPjSE_EEENSF_IJSE_SE_EEES9_SG_JZNS1_25segmented_radix_sort_implINS0_14default_configELb0EPKhPhPKlPlN2at6native12_GLOBAL__N_18offset_tEEE10hipError_tPvRmT1_PNSt15iterator_traitsISY_E10value_typeET2_T3_PNSZ_IS14_E10value_typeET4_jRbjT5_S1A_jjP12ihipStream_tbEUljE_EEESV_SW_SX_S14_S18_S1A_T6_T7_T9_mT8_S1C_bDpT10_ENKUlT_T0_E_clISt17integral_constantIbLb0EES1P_EEDaS1K_S1L_EUlS1K_E_NS1_11comp_targetILNS1_3genE3ELNS1_11target_archE908ELNS1_3gpuE7ELNS1_3repE0EEENS1_30default_config_static_selectorELNS0_4arch9wavefront6targetE1EEEvSY_
                                        ; -- End function
	.set _ZN7rocprim17ROCPRIM_400000_NS6detail17trampoline_kernelINS0_13select_configILj256ELj13ELNS0_17block_load_methodE3ELS4_3ELS4_3ELNS0_20block_scan_algorithmE0ELj4294967295EEENS1_25partition_config_selectorILNS1_17partition_subalgoE3EjNS0_10empty_typeEbEEZZNS1_14partition_implILS8_3ELb0ES6_jNS0_17counting_iteratorIjlEEPS9_SE_NS0_5tupleIJPjSE_EEENSF_IJSE_SE_EEES9_SG_JZNS1_25segmented_radix_sort_implINS0_14default_configELb0EPKhPhPKlPlN2at6native12_GLOBAL__N_18offset_tEEE10hipError_tPvRmT1_PNSt15iterator_traitsISY_E10value_typeET2_T3_PNSZ_IS14_E10value_typeET4_jRbjT5_S1A_jjP12ihipStream_tbEUljE_EEESV_SW_SX_S14_S18_S1A_T6_T7_T9_mT8_S1C_bDpT10_ENKUlT_T0_E_clISt17integral_constantIbLb0EES1P_EEDaS1K_S1L_EUlS1K_E_NS1_11comp_targetILNS1_3genE3ELNS1_11target_archE908ELNS1_3gpuE7ELNS1_3repE0EEENS1_30default_config_static_selectorELNS0_4arch9wavefront6targetE1EEEvSY_.num_vgpr, 0
	.set _ZN7rocprim17ROCPRIM_400000_NS6detail17trampoline_kernelINS0_13select_configILj256ELj13ELNS0_17block_load_methodE3ELS4_3ELS4_3ELNS0_20block_scan_algorithmE0ELj4294967295EEENS1_25partition_config_selectorILNS1_17partition_subalgoE3EjNS0_10empty_typeEbEEZZNS1_14partition_implILS8_3ELb0ES6_jNS0_17counting_iteratorIjlEEPS9_SE_NS0_5tupleIJPjSE_EEENSF_IJSE_SE_EEES9_SG_JZNS1_25segmented_radix_sort_implINS0_14default_configELb0EPKhPhPKlPlN2at6native12_GLOBAL__N_18offset_tEEE10hipError_tPvRmT1_PNSt15iterator_traitsISY_E10value_typeET2_T3_PNSZ_IS14_E10value_typeET4_jRbjT5_S1A_jjP12ihipStream_tbEUljE_EEESV_SW_SX_S14_S18_S1A_T6_T7_T9_mT8_S1C_bDpT10_ENKUlT_T0_E_clISt17integral_constantIbLb0EES1P_EEDaS1K_S1L_EUlS1K_E_NS1_11comp_targetILNS1_3genE3ELNS1_11target_archE908ELNS1_3gpuE7ELNS1_3repE0EEENS1_30default_config_static_selectorELNS0_4arch9wavefront6targetE1EEEvSY_.num_agpr, 0
	.set _ZN7rocprim17ROCPRIM_400000_NS6detail17trampoline_kernelINS0_13select_configILj256ELj13ELNS0_17block_load_methodE3ELS4_3ELS4_3ELNS0_20block_scan_algorithmE0ELj4294967295EEENS1_25partition_config_selectorILNS1_17partition_subalgoE3EjNS0_10empty_typeEbEEZZNS1_14partition_implILS8_3ELb0ES6_jNS0_17counting_iteratorIjlEEPS9_SE_NS0_5tupleIJPjSE_EEENSF_IJSE_SE_EEES9_SG_JZNS1_25segmented_radix_sort_implINS0_14default_configELb0EPKhPhPKlPlN2at6native12_GLOBAL__N_18offset_tEEE10hipError_tPvRmT1_PNSt15iterator_traitsISY_E10value_typeET2_T3_PNSZ_IS14_E10value_typeET4_jRbjT5_S1A_jjP12ihipStream_tbEUljE_EEESV_SW_SX_S14_S18_S1A_T6_T7_T9_mT8_S1C_bDpT10_ENKUlT_T0_E_clISt17integral_constantIbLb0EES1P_EEDaS1K_S1L_EUlS1K_E_NS1_11comp_targetILNS1_3genE3ELNS1_11target_archE908ELNS1_3gpuE7ELNS1_3repE0EEENS1_30default_config_static_selectorELNS0_4arch9wavefront6targetE1EEEvSY_.numbered_sgpr, 0
	.set _ZN7rocprim17ROCPRIM_400000_NS6detail17trampoline_kernelINS0_13select_configILj256ELj13ELNS0_17block_load_methodE3ELS4_3ELS4_3ELNS0_20block_scan_algorithmE0ELj4294967295EEENS1_25partition_config_selectorILNS1_17partition_subalgoE3EjNS0_10empty_typeEbEEZZNS1_14partition_implILS8_3ELb0ES6_jNS0_17counting_iteratorIjlEEPS9_SE_NS0_5tupleIJPjSE_EEENSF_IJSE_SE_EEES9_SG_JZNS1_25segmented_radix_sort_implINS0_14default_configELb0EPKhPhPKlPlN2at6native12_GLOBAL__N_18offset_tEEE10hipError_tPvRmT1_PNSt15iterator_traitsISY_E10value_typeET2_T3_PNSZ_IS14_E10value_typeET4_jRbjT5_S1A_jjP12ihipStream_tbEUljE_EEESV_SW_SX_S14_S18_S1A_T6_T7_T9_mT8_S1C_bDpT10_ENKUlT_T0_E_clISt17integral_constantIbLb0EES1P_EEDaS1K_S1L_EUlS1K_E_NS1_11comp_targetILNS1_3genE3ELNS1_11target_archE908ELNS1_3gpuE7ELNS1_3repE0EEENS1_30default_config_static_selectorELNS0_4arch9wavefront6targetE1EEEvSY_.num_named_barrier, 0
	.set _ZN7rocprim17ROCPRIM_400000_NS6detail17trampoline_kernelINS0_13select_configILj256ELj13ELNS0_17block_load_methodE3ELS4_3ELS4_3ELNS0_20block_scan_algorithmE0ELj4294967295EEENS1_25partition_config_selectorILNS1_17partition_subalgoE3EjNS0_10empty_typeEbEEZZNS1_14partition_implILS8_3ELb0ES6_jNS0_17counting_iteratorIjlEEPS9_SE_NS0_5tupleIJPjSE_EEENSF_IJSE_SE_EEES9_SG_JZNS1_25segmented_radix_sort_implINS0_14default_configELb0EPKhPhPKlPlN2at6native12_GLOBAL__N_18offset_tEEE10hipError_tPvRmT1_PNSt15iterator_traitsISY_E10value_typeET2_T3_PNSZ_IS14_E10value_typeET4_jRbjT5_S1A_jjP12ihipStream_tbEUljE_EEESV_SW_SX_S14_S18_S1A_T6_T7_T9_mT8_S1C_bDpT10_ENKUlT_T0_E_clISt17integral_constantIbLb0EES1P_EEDaS1K_S1L_EUlS1K_E_NS1_11comp_targetILNS1_3genE3ELNS1_11target_archE908ELNS1_3gpuE7ELNS1_3repE0EEENS1_30default_config_static_selectorELNS0_4arch9wavefront6targetE1EEEvSY_.private_seg_size, 0
	.set _ZN7rocprim17ROCPRIM_400000_NS6detail17trampoline_kernelINS0_13select_configILj256ELj13ELNS0_17block_load_methodE3ELS4_3ELS4_3ELNS0_20block_scan_algorithmE0ELj4294967295EEENS1_25partition_config_selectorILNS1_17partition_subalgoE3EjNS0_10empty_typeEbEEZZNS1_14partition_implILS8_3ELb0ES6_jNS0_17counting_iteratorIjlEEPS9_SE_NS0_5tupleIJPjSE_EEENSF_IJSE_SE_EEES9_SG_JZNS1_25segmented_radix_sort_implINS0_14default_configELb0EPKhPhPKlPlN2at6native12_GLOBAL__N_18offset_tEEE10hipError_tPvRmT1_PNSt15iterator_traitsISY_E10value_typeET2_T3_PNSZ_IS14_E10value_typeET4_jRbjT5_S1A_jjP12ihipStream_tbEUljE_EEESV_SW_SX_S14_S18_S1A_T6_T7_T9_mT8_S1C_bDpT10_ENKUlT_T0_E_clISt17integral_constantIbLb0EES1P_EEDaS1K_S1L_EUlS1K_E_NS1_11comp_targetILNS1_3genE3ELNS1_11target_archE908ELNS1_3gpuE7ELNS1_3repE0EEENS1_30default_config_static_selectorELNS0_4arch9wavefront6targetE1EEEvSY_.uses_vcc, 0
	.set _ZN7rocprim17ROCPRIM_400000_NS6detail17trampoline_kernelINS0_13select_configILj256ELj13ELNS0_17block_load_methodE3ELS4_3ELS4_3ELNS0_20block_scan_algorithmE0ELj4294967295EEENS1_25partition_config_selectorILNS1_17partition_subalgoE3EjNS0_10empty_typeEbEEZZNS1_14partition_implILS8_3ELb0ES6_jNS0_17counting_iteratorIjlEEPS9_SE_NS0_5tupleIJPjSE_EEENSF_IJSE_SE_EEES9_SG_JZNS1_25segmented_radix_sort_implINS0_14default_configELb0EPKhPhPKlPlN2at6native12_GLOBAL__N_18offset_tEEE10hipError_tPvRmT1_PNSt15iterator_traitsISY_E10value_typeET2_T3_PNSZ_IS14_E10value_typeET4_jRbjT5_S1A_jjP12ihipStream_tbEUljE_EEESV_SW_SX_S14_S18_S1A_T6_T7_T9_mT8_S1C_bDpT10_ENKUlT_T0_E_clISt17integral_constantIbLb0EES1P_EEDaS1K_S1L_EUlS1K_E_NS1_11comp_targetILNS1_3genE3ELNS1_11target_archE908ELNS1_3gpuE7ELNS1_3repE0EEENS1_30default_config_static_selectorELNS0_4arch9wavefront6targetE1EEEvSY_.uses_flat_scratch, 0
	.set _ZN7rocprim17ROCPRIM_400000_NS6detail17trampoline_kernelINS0_13select_configILj256ELj13ELNS0_17block_load_methodE3ELS4_3ELS4_3ELNS0_20block_scan_algorithmE0ELj4294967295EEENS1_25partition_config_selectorILNS1_17partition_subalgoE3EjNS0_10empty_typeEbEEZZNS1_14partition_implILS8_3ELb0ES6_jNS0_17counting_iteratorIjlEEPS9_SE_NS0_5tupleIJPjSE_EEENSF_IJSE_SE_EEES9_SG_JZNS1_25segmented_radix_sort_implINS0_14default_configELb0EPKhPhPKlPlN2at6native12_GLOBAL__N_18offset_tEEE10hipError_tPvRmT1_PNSt15iterator_traitsISY_E10value_typeET2_T3_PNSZ_IS14_E10value_typeET4_jRbjT5_S1A_jjP12ihipStream_tbEUljE_EEESV_SW_SX_S14_S18_S1A_T6_T7_T9_mT8_S1C_bDpT10_ENKUlT_T0_E_clISt17integral_constantIbLb0EES1P_EEDaS1K_S1L_EUlS1K_E_NS1_11comp_targetILNS1_3genE3ELNS1_11target_archE908ELNS1_3gpuE7ELNS1_3repE0EEENS1_30default_config_static_selectorELNS0_4arch9wavefront6targetE1EEEvSY_.has_dyn_sized_stack, 0
	.set _ZN7rocprim17ROCPRIM_400000_NS6detail17trampoline_kernelINS0_13select_configILj256ELj13ELNS0_17block_load_methodE3ELS4_3ELS4_3ELNS0_20block_scan_algorithmE0ELj4294967295EEENS1_25partition_config_selectorILNS1_17partition_subalgoE3EjNS0_10empty_typeEbEEZZNS1_14partition_implILS8_3ELb0ES6_jNS0_17counting_iteratorIjlEEPS9_SE_NS0_5tupleIJPjSE_EEENSF_IJSE_SE_EEES9_SG_JZNS1_25segmented_radix_sort_implINS0_14default_configELb0EPKhPhPKlPlN2at6native12_GLOBAL__N_18offset_tEEE10hipError_tPvRmT1_PNSt15iterator_traitsISY_E10value_typeET2_T3_PNSZ_IS14_E10value_typeET4_jRbjT5_S1A_jjP12ihipStream_tbEUljE_EEESV_SW_SX_S14_S18_S1A_T6_T7_T9_mT8_S1C_bDpT10_ENKUlT_T0_E_clISt17integral_constantIbLb0EES1P_EEDaS1K_S1L_EUlS1K_E_NS1_11comp_targetILNS1_3genE3ELNS1_11target_archE908ELNS1_3gpuE7ELNS1_3repE0EEENS1_30default_config_static_selectorELNS0_4arch9wavefront6targetE1EEEvSY_.has_recursion, 0
	.set _ZN7rocprim17ROCPRIM_400000_NS6detail17trampoline_kernelINS0_13select_configILj256ELj13ELNS0_17block_load_methodE3ELS4_3ELS4_3ELNS0_20block_scan_algorithmE0ELj4294967295EEENS1_25partition_config_selectorILNS1_17partition_subalgoE3EjNS0_10empty_typeEbEEZZNS1_14partition_implILS8_3ELb0ES6_jNS0_17counting_iteratorIjlEEPS9_SE_NS0_5tupleIJPjSE_EEENSF_IJSE_SE_EEES9_SG_JZNS1_25segmented_radix_sort_implINS0_14default_configELb0EPKhPhPKlPlN2at6native12_GLOBAL__N_18offset_tEEE10hipError_tPvRmT1_PNSt15iterator_traitsISY_E10value_typeET2_T3_PNSZ_IS14_E10value_typeET4_jRbjT5_S1A_jjP12ihipStream_tbEUljE_EEESV_SW_SX_S14_S18_S1A_T6_T7_T9_mT8_S1C_bDpT10_ENKUlT_T0_E_clISt17integral_constantIbLb0EES1P_EEDaS1K_S1L_EUlS1K_E_NS1_11comp_targetILNS1_3genE3ELNS1_11target_archE908ELNS1_3gpuE7ELNS1_3repE0EEENS1_30default_config_static_selectorELNS0_4arch9wavefront6targetE1EEEvSY_.has_indirect_call, 0
	.section	.AMDGPU.csdata,"",@progbits
; Kernel info:
; codeLenInByte = 0
; TotalNumSgprs: 4
; NumVgprs: 0
; ScratchSize: 0
; MemoryBound: 0
; FloatMode: 240
; IeeeMode: 1
; LDSByteSize: 0 bytes/workgroup (compile time only)
; SGPRBlocks: 0
; VGPRBlocks: 0
; NumSGPRsForWavesPerEU: 4
; NumVGPRsForWavesPerEU: 1
; Occupancy: 10
; WaveLimiterHint : 0
; COMPUTE_PGM_RSRC2:SCRATCH_EN: 0
; COMPUTE_PGM_RSRC2:USER_SGPR: 6
; COMPUTE_PGM_RSRC2:TRAP_HANDLER: 0
; COMPUTE_PGM_RSRC2:TGID_X_EN: 1
; COMPUTE_PGM_RSRC2:TGID_Y_EN: 0
; COMPUTE_PGM_RSRC2:TGID_Z_EN: 0
; COMPUTE_PGM_RSRC2:TIDIG_COMP_CNT: 0
	.section	.text._ZN7rocprim17ROCPRIM_400000_NS6detail17trampoline_kernelINS0_13select_configILj256ELj13ELNS0_17block_load_methodE3ELS4_3ELS4_3ELNS0_20block_scan_algorithmE0ELj4294967295EEENS1_25partition_config_selectorILNS1_17partition_subalgoE3EjNS0_10empty_typeEbEEZZNS1_14partition_implILS8_3ELb0ES6_jNS0_17counting_iteratorIjlEEPS9_SE_NS0_5tupleIJPjSE_EEENSF_IJSE_SE_EEES9_SG_JZNS1_25segmented_radix_sort_implINS0_14default_configELb0EPKhPhPKlPlN2at6native12_GLOBAL__N_18offset_tEEE10hipError_tPvRmT1_PNSt15iterator_traitsISY_E10value_typeET2_T3_PNSZ_IS14_E10value_typeET4_jRbjT5_S1A_jjP12ihipStream_tbEUljE_EEESV_SW_SX_S14_S18_S1A_T6_T7_T9_mT8_S1C_bDpT10_ENKUlT_T0_E_clISt17integral_constantIbLb0EES1P_EEDaS1K_S1L_EUlS1K_E_NS1_11comp_targetILNS1_3genE2ELNS1_11target_archE906ELNS1_3gpuE6ELNS1_3repE0EEENS1_30default_config_static_selectorELNS0_4arch9wavefront6targetE1EEEvSY_,"axG",@progbits,_ZN7rocprim17ROCPRIM_400000_NS6detail17trampoline_kernelINS0_13select_configILj256ELj13ELNS0_17block_load_methodE3ELS4_3ELS4_3ELNS0_20block_scan_algorithmE0ELj4294967295EEENS1_25partition_config_selectorILNS1_17partition_subalgoE3EjNS0_10empty_typeEbEEZZNS1_14partition_implILS8_3ELb0ES6_jNS0_17counting_iteratorIjlEEPS9_SE_NS0_5tupleIJPjSE_EEENSF_IJSE_SE_EEES9_SG_JZNS1_25segmented_radix_sort_implINS0_14default_configELb0EPKhPhPKlPlN2at6native12_GLOBAL__N_18offset_tEEE10hipError_tPvRmT1_PNSt15iterator_traitsISY_E10value_typeET2_T3_PNSZ_IS14_E10value_typeET4_jRbjT5_S1A_jjP12ihipStream_tbEUljE_EEESV_SW_SX_S14_S18_S1A_T6_T7_T9_mT8_S1C_bDpT10_ENKUlT_T0_E_clISt17integral_constantIbLb0EES1P_EEDaS1K_S1L_EUlS1K_E_NS1_11comp_targetILNS1_3genE2ELNS1_11target_archE906ELNS1_3gpuE6ELNS1_3repE0EEENS1_30default_config_static_selectorELNS0_4arch9wavefront6targetE1EEEvSY_,comdat
	.globl	_ZN7rocprim17ROCPRIM_400000_NS6detail17trampoline_kernelINS0_13select_configILj256ELj13ELNS0_17block_load_methodE3ELS4_3ELS4_3ELNS0_20block_scan_algorithmE0ELj4294967295EEENS1_25partition_config_selectorILNS1_17partition_subalgoE3EjNS0_10empty_typeEbEEZZNS1_14partition_implILS8_3ELb0ES6_jNS0_17counting_iteratorIjlEEPS9_SE_NS0_5tupleIJPjSE_EEENSF_IJSE_SE_EEES9_SG_JZNS1_25segmented_radix_sort_implINS0_14default_configELb0EPKhPhPKlPlN2at6native12_GLOBAL__N_18offset_tEEE10hipError_tPvRmT1_PNSt15iterator_traitsISY_E10value_typeET2_T3_PNSZ_IS14_E10value_typeET4_jRbjT5_S1A_jjP12ihipStream_tbEUljE_EEESV_SW_SX_S14_S18_S1A_T6_T7_T9_mT8_S1C_bDpT10_ENKUlT_T0_E_clISt17integral_constantIbLb0EES1P_EEDaS1K_S1L_EUlS1K_E_NS1_11comp_targetILNS1_3genE2ELNS1_11target_archE906ELNS1_3gpuE6ELNS1_3repE0EEENS1_30default_config_static_selectorELNS0_4arch9wavefront6targetE1EEEvSY_ ; -- Begin function _ZN7rocprim17ROCPRIM_400000_NS6detail17trampoline_kernelINS0_13select_configILj256ELj13ELNS0_17block_load_methodE3ELS4_3ELS4_3ELNS0_20block_scan_algorithmE0ELj4294967295EEENS1_25partition_config_selectorILNS1_17partition_subalgoE3EjNS0_10empty_typeEbEEZZNS1_14partition_implILS8_3ELb0ES6_jNS0_17counting_iteratorIjlEEPS9_SE_NS0_5tupleIJPjSE_EEENSF_IJSE_SE_EEES9_SG_JZNS1_25segmented_radix_sort_implINS0_14default_configELb0EPKhPhPKlPlN2at6native12_GLOBAL__N_18offset_tEEE10hipError_tPvRmT1_PNSt15iterator_traitsISY_E10value_typeET2_T3_PNSZ_IS14_E10value_typeET4_jRbjT5_S1A_jjP12ihipStream_tbEUljE_EEESV_SW_SX_S14_S18_S1A_T6_T7_T9_mT8_S1C_bDpT10_ENKUlT_T0_E_clISt17integral_constantIbLb0EES1P_EEDaS1K_S1L_EUlS1K_E_NS1_11comp_targetILNS1_3genE2ELNS1_11target_archE906ELNS1_3gpuE6ELNS1_3repE0EEENS1_30default_config_static_selectorELNS0_4arch9wavefront6targetE1EEEvSY_
	.p2align	8
	.type	_ZN7rocprim17ROCPRIM_400000_NS6detail17trampoline_kernelINS0_13select_configILj256ELj13ELNS0_17block_load_methodE3ELS4_3ELS4_3ELNS0_20block_scan_algorithmE0ELj4294967295EEENS1_25partition_config_selectorILNS1_17partition_subalgoE3EjNS0_10empty_typeEbEEZZNS1_14partition_implILS8_3ELb0ES6_jNS0_17counting_iteratorIjlEEPS9_SE_NS0_5tupleIJPjSE_EEENSF_IJSE_SE_EEES9_SG_JZNS1_25segmented_radix_sort_implINS0_14default_configELb0EPKhPhPKlPlN2at6native12_GLOBAL__N_18offset_tEEE10hipError_tPvRmT1_PNSt15iterator_traitsISY_E10value_typeET2_T3_PNSZ_IS14_E10value_typeET4_jRbjT5_S1A_jjP12ihipStream_tbEUljE_EEESV_SW_SX_S14_S18_S1A_T6_T7_T9_mT8_S1C_bDpT10_ENKUlT_T0_E_clISt17integral_constantIbLb0EES1P_EEDaS1K_S1L_EUlS1K_E_NS1_11comp_targetILNS1_3genE2ELNS1_11target_archE906ELNS1_3gpuE6ELNS1_3repE0EEENS1_30default_config_static_selectorELNS0_4arch9wavefront6targetE1EEEvSY_,@function
_ZN7rocprim17ROCPRIM_400000_NS6detail17trampoline_kernelINS0_13select_configILj256ELj13ELNS0_17block_load_methodE3ELS4_3ELS4_3ELNS0_20block_scan_algorithmE0ELj4294967295EEENS1_25partition_config_selectorILNS1_17partition_subalgoE3EjNS0_10empty_typeEbEEZZNS1_14partition_implILS8_3ELb0ES6_jNS0_17counting_iteratorIjlEEPS9_SE_NS0_5tupleIJPjSE_EEENSF_IJSE_SE_EEES9_SG_JZNS1_25segmented_radix_sort_implINS0_14default_configELb0EPKhPhPKlPlN2at6native12_GLOBAL__N_18offset_tEEE10hipError_tPvRmT1_PNSt15iterator_traitsISY_E10value_typeET2_T3_PNSZ_IS14_E10value_typeET4_jRbjT5_S1A_jjP12ihipStream_tbEUljE_EEESV_SW_SX_S14_S18_S1A_T6_T7_T9_mT8_S1C_bDpT10_ENKUlT_T0_E_clISt17integral_constantIbLb0EES1P_EEDaS1K_S1L_EUlS1K_E_NS1_11comp_targetILNS1_3genE2ELNS1_11target_archE906ELNS1_3gpuE6ELNS1_3repE0EEENS1_30default_config_static_selectorELNS0_4arch9wavefront6targetE1EEEvSY_: ; @_ZN7rocprim17ROCPRIM_400000_NS6detail17trampoline_kernelINS0_13select_configILj256ELj13ELNS0_17block_load_methodE3ELS4_3ELS4_3ELNS0_20block_scan_algorithmE0ELj4294967295EEENS1_25partition_config_selectorILNS1_17partition_subalgoE3EjNS0_10empty_typeEbEEZZNS1_14partition_implILS8_3ELb0ES6_jNS0_17counting_iteratorIjlEEPS9_SE_NS0_5tupleIJPjSE_EEENSF_IJSE_SE_EEES9_SG_JZNS1_25segmented_radix_sort_implINS0_14default_configELb0EPKhPhPKlPlN2at6native12_GLOBAL__N_18offset_tEEE10hipError_tPvRmT1_PNSt15iterator_traitsISY_E10value_typeET2_T3_PNSZ_IS14_E10value_typeET4_jRbjT5_S1A_jjP12ihipStream_tbEUljE_EEESV_SW_SX_S14_S18_S1A_T6_T7_T9_mT8_S1C_bDpT10_ENKUlT_T0_E_clISt17integral_constantIbLb0EES1P_EEDaS1K_S1L_EUlS1K_E_NS1_11comp_targetILNS1_3genE2ELNS1_11target_archE906ELNS1_3gpuE6ELNS1_3repE0EEENS1_30default_config_static_selectorELNS0_4arch9wavefront6targetE1EEEvSY_
; %bb.0:
	s_load_dwordx2 s[28:29], s[4:5], 0x58
	s_load_dwordx4 s[24:27], s[4:5], 0x48
	s_load_dword s12, s[4:5], 0x8
	s_load_dwordx2 s[30:31], s[4:5], 0x10
	s_load_dword s0, s[4:5], 0x70
	s_load_dword s7, s[4:5], 0x88
	s_load_dwordx4 s[8:11], s[4:5], 0x78
	s_waitcnt lgkmcnt(0)
	s_load_dwordx2 s[34:35], s[26:27], 0x0
	s_mul_i32 s44, s6, 0xd00
	s_add_i32 s2, s0, -1
	s_mulk_i32 s0, 0xd00
	s_add_i32 s1, s0, s30
	s_sub_i32 s33, s28, s1
	s_addk_i32 s33, 0xd00
	s_add_u32 s0, s30, s0
	s_addc_u32 s1, s31, 0
	v_mov_b32_e32 v2, s1
	v_mov_b32_e32 v1, s0
	s_cmp_eq_u32 s6, s2
	v_cmp_gt_u64_e32 vcc, s[28:29], v[1:2]
	s_cselect_b64 s[22:23], -1, 0
	s_cmp_lg_u32 s6, s2
	s_cselect_b64 s[0:1], -1, 0
	s_add_i32 s12, s12, s44
	s_or_b64 s[2:3], s[0:1], vcc
	s_add_i32 s12, s12, s30
	s_mov_b64 s[0:1], -1
	s_and_b64 vcc, exec, s[2:3]
	v_add_u32_e32 v1, s12, v0
	v_lshlrev_b32_e32 v23, 2, v0
	s_cbranch_vccz .LBB158_2
; %bb.1:
	v_add_u32_e32 v2, 0x100, v1
	v_add_u32_e32 v3, 0x200, v1
	;; [unrolled: 1-line block ×12, first 2 shown]
	ds_write2st64_b32 v23, v1, v2 offset1:4
	ds_write2st64_b32 v23, v3, v4 offset0:8 offset1:12
	ds_write2st64_b32 v23, v5, v6 offset0:16 offset1:20
	;; [unrolled: 1-line block ×5, first 2 shown]
	ds_write_b32 v23, v13 offset:12288
	s_waitcnt lgkmcnt(0)
	s_barrier
	s_mov_b64 s[0:1], 0
.LBB158_2:
	s_andn2_b64 vcc, exec, s[0:1]
	v_cmp_gt_u32_e64 s[0:1], s33, v0
	s_cbranch_vccnz .LBB158_4
; %bb.3:
	v_or_b32_e32 v2, 0x100, v0
	v_add_u32_e32 v3, s12, v2
	v_cmp_gt_u32_e32 vcc, s33, v2
	v_cndmask_b32_e32 v2, 0, v3, vcc
	v_or_b32_e32 v3, 0x200, v0
	v_add_u32_e32 v4, s12, v3
	v_cmp_gt_u32_e32 vcc, s33, v3
	v_cndmask_b32_e32 v3, 0, v4, vcc
	;; [unrolled: 4-line block ×11, first 2 shown]
	v_or_b32_e32 v13, 0xc00, v0
	v_cndmask_b32_e64 v1, 0, v1, s[0:1]
	v_add_u32_e32 v14, s12, v13
	v_cmp_gt_u32_e32 vcc, s33, v13
	v_cndmask_b32_e32 v13, 0, v14, vcc
	ds_write2st64_b32 v23, v1, v2 offset1:4
	ds_write2st64_b32 v23, v3, v4 offset0:8 offset1:12
	ds_write2st64_b32 v23, v5, v6 offset0:16 offset1:20
	;; [unrolled: 1-line block ×5, first 2 shown]
	ds_write_b32 v23, v13 offset:12288
	s_waitcnt lgkmcnt(0)
	s_barrier
.LBB158_4:
	v_mul_u32_u24_e32 v25, 13, v0
	v_lshlrev_b32_e32 v1, 2, v25
	s_waitcnt lgkmcnt(0)
	ds_read2_b32 v[13:14], v1 offset1:1
	ds_read2_b32 v[11:12], v1 offset0:2 offset1:3
	ds_read2_b32 v[9:10], v1 offset0:4 offset1:5
	ds_read2_b32 v[7:8], v1 offset0:6 offset1:7
	ds_read2_b32 v[5:6], v1 offset0:8 offset1:9
	ds_read2_b32 v[3:4], v1 offset0:10 offset1:11
	ds_read_b32 v24, v1 offset:48
	v_cndmask_b32_e64 v1, 0, 1, s[2:3]
	v_cmp_ne_u32_e64 s[0:1], 1, v1
	s_andn2_b64 vcc, exec, s[2:3]
	s_waitcnt lgkmcnt(0)
	s_barrier
	s_cbranch_vccnz .LBB158_6
; %bb.5:
	v_add_u32_e32 v1, s9, v13
	v_add_u32_e32 v2, s11, v13
	v_mul_lo_u32 v1, v1, s8
	v_mul_lo_u32 v2, v2, s10
	v_add_u32_e32 v15, s9, v11
	v_add_u32_e32 v16, s11, v11
	v_mul_lo_u32 v15, v15, s8
	v_sub_u32_e32 v1, v1, v2
	v_cmp_lt_u32_e32 vcc, s7, v1
	v_add_u32_e32 v1, s9, v14
	v_add_u32_e32 v2, s11, v14
	v_mul_lo_u32 v1, v1, s8
	v_mul_lo_u32 v2, v2, s10
	;; [unrolled: 1-line block ×3, first 2 shown]
	v_cndmask_b32_e64 v26, 0, 1, vcc
	v_sub_u32_e32 v1, v1, v2
	v_cmp_lt_u32_e32 vcc, s7, v1
	v_sub_u32_e32 v1, v15, v16
	v_cndmask_b32_e64 v27, 0, 1, vcc
	v_cmp_lt_u32_e32 vcc, s7, v1
	v_add_u32_e32 v1, s9, v12
	v_add_u32_e32 v2, s11, v12
	v_mul_lo_u32 v1, v1, s8
	v_mul_lo_u32 v2, v2, s10
	v_add_u32_e32 v15, s9, v9
	v_add_u32_e32 v16, s11, v9
	v_mul_lo_u32 v15, v15, s8
	v_mul_lo_u32 v16, v16, s10
	v_sub_u32_e32 v1, v1, v2
	v_cndmask_b32_e64 v28, 0, 1, vcc
	v_cmp_lt_u32_e32 vcc, s7, v1
	v_sub_u32_e32 v1, v15, v16
	v_cndmask_b32_e64 v29, 0, 1, vcc
	v_cmp_lt_u32_e32 vcc, s7, v1
	v_add_u32_e32 v1, s9, v10
	v_add_u32_e32 v2, s11, v10
	v_mul_lo_u32 v1, v1, s8
	v_mul_lo_u32 v2, v2, s10
	v_add_u32_e32 v15, s9, v7
	v_add_u32_e32 v16, s11, v7
	v_mul_lo_u32 v15, v15, s8
	v_mul_lo_u32 v16, v16, s10
	v_sub_u32_e32 v1, v1, v2
	v_cndmask_b32_e64 v30, 0, 1, vcc
	;; [unrolled: 14-line block ×5, first 2 shown]
	v_cmp_lt_u32_e32 vcc, s7, v1
	v_sub_u32_e32 v1, v15, v16
	v_cndmask_b32_e64 v37, 0, 1, vcc
	v_cmp_lt_u32_e64 s[38:39], s7, v1
	s_load_dwordx2 s[26:27], s[4:5], 0x28
	s_load_dwordx2 s[36:37], s[4:5], 0x68
	s_cbranch_execz .LBB158_7
	s_branch .LBB158_34
.LBB158_6:
                                        ; implicit-def: $sgpr38_sgpr39
                                        ; implicit-def: $vgpr37
                                        ; implicit-def: $vgpr36
                                        ; implicit-def: $vgpr35
                                        ; implicit-def: $vgpr34
                                        ; implicit-def: $vgpr33
                                        ; implicit-def: $vgpr32
                                        ; implicit-def: $vgpr31
                                        ; implicit-def: $vgpr30
                                        ; implicit-def: $vgpr26
                                        ; implicit-def: $vgpr27
                                        ; implicit-def: $vgpr28
                                        ; implicit-def: $vgpr29
	s_load_dwordx2 s[26:27], s[4:5], 0x28
	s_load_dwordx2 s[36:37], s[4:5], 0x68
.LBB158_7:
	v_cmp_gt_u32_e32 vcc, s33, v25
	v_mov_b32_e32 v27, 0
	v_mov_b32_e32 v26, 0
	s_and_saveexec_b64 s[2:3], vcc
	s_cbranch_execz .LBB158_9
; %bb.8:
	v_add_u32_e32 v1, s9, v13
	v_add_u32_e32 v2, s11, v13
	v_mul_lo_u32 v1, v1, s8
	v_mul_lo_u32 v2, v2, s10
	v_sub_u32_e32 v1, v1, v2
	v_cmp_lt_u32_e32 vcc, s7, v1
	v_cndmask_b32_e64 v26, 0, 1, vcc
.LBB158_9:
	s_or_b64 exec, exec, s[2:3]
	v_add_u32_e32 v1, 1, v25
	v_cmp_gt_u32_e32 vcc, s33, v1
	s_and_saveexec_b64 s[2:3], vcc
	s_cbranch_execz .LBB158_11
; %bb.10:
	v_add_u32_e32 v1, s9, v14
	v_add_u32_e32 v2, s11, v14
	v_mul_lo_u32 v1, v1, s8
	v_mul_lo_u32 v2, v2, s10
	v_sub_u32_e32 v1, v1, v2
	v_cmp_lt_u32_e32 vcc, s7, v1
	v_cndmask_b32_e64 v27, 0, 1, vcc
.LBB158_11:
	s_or_b64 exec, exec, s[2:3]
	v_add_u32_e32 v1, 2, v25
	v_cmp_gt_u32_e32 vcc, s33, v1
	v_mov_b32_e32 v29, 0
	v_mov_b32_e32 v28, 0
	s_and_saveexec_b64 s[2:3], vcc
	s_cbranch_execz .LBB158_13
; %bb.12:
	v_add_u32_e32 v1, s9, v11
	v_add_u32_e32 v2, s11, v11
	v_mul_lo_u32 v1, v1, s8
	v_mul_lo_u32 v2, v2, s10
	v_sub_u32_e32 v1, v1, v2
	v_cmp_lt_u32_e32 vcc, s7, v1
	v_cndmask_b32_e64 v28, 0, 1, vcc
.LBB158_13:
	s_or_b64 exec, exec, s[2:3]
	v_add_u32_e32 v1, 3, v25
	v_cmp_gt_u32_e32 vcc, s33, v1
	s_and_saveexec_b64 s[2:3], vcc
	s_cbranch_execz .LBB158_15
; %bb.14:
	v_add_u32_e32 v1, s9, v12
	v_add_u32_e32 v2, s11, v12
	v_mul_lo_u32 v1, v1, s8
	v_mul_lo_u32 v2, v2, s10
	v_sub_u32_e32 v1, v1, v2
	v_cmp_lt_u32_e32 vcc, s7, v1
	v_cndmask_b32_e64 v29, 0, 1, vcc
.LBB158_15:
	s_or_b64 exec, exec, s[2:3]
	v_add_u32_e32 v1, 4, v25
	;; [unrolled: 30-line block ×6, first 2 shown]
	v_cmp_gt_u32_e32 vcc, s33, v1
	s_mov_b64 s[38:39], 0
	s_and_saveexec_b64 s[2:3], vcc
	s_cbranch_execz .LBB158_33
; %bb.32:
	v_add_u32_e32 v1, s9, v24
	v_add_u32_e32 v2, s11, v24
	v_mul_lo_u32 v1, v1, s8
	v_mul_lo_u32 v2, v2, s10
	v_sub_u32_e32 v1, v1, v2
	v_cmp_lt_u32_e32 vcc, s7, v1
	s_and_b64 s[38:39], vcc, exec
.LBB158_33:
	s_or_b64 exec, exec, s[2:3]
.LBB158_34:
	v_and_b32_e32 v40, 0xff, v27
	v_and_b32_e32 v41, 0xff, v28
	;; [unrolled: 1-line block ×5, first 2 shown]
	v_add3_u32 v2, v41, v42, v40
	v_and_b32_e32 v44, 0xff, v31
	v_and_b32_e32 v45, 0xff, v32
	v_add3_u32 v2, v2, v39, v43
	v_and_b32_e32 v46, 0xff, v33
	v_and_b32_e32 v47, 0xff, v34
	;; [unrolled: 3-line block ×3, first 2 shown]
	v_add3_u32 v2, v2, v46, v47
	v_and_b32_e32 v38, 0xff, v37
	v_cndmask_b32_e64 v1, 0, 1, s[38:39]
	v_add3_u32 v2, v2, v48, v49
	v_add3_u32 v52, v2, v38, v1
	v_mbcnt_lo_u32_b32 v1, -1, 0
	v_mbcnt_hi_u32_b32 v50, -1, v1
	v_and_b32_e32 v1, 15, v50
	v_cmp_eq_u32_e64 s[14:15], 0, v1
	v_cmp_lt_u32_e64 s[12:13], 1, v1
	v_cmp_lt_u32_e64 s[10:11], 3, v1
	;; [unrolled: 1-line block ×3, first 2 shown]
	v_and_b32_e32 v1, 16, v50
	v_cmp_eq_u32_e64 s[18:19], 0, v1
	v_or_b32_e32 v1, 63, v0
	s_cmp_lg_u32 s6, 0
	v_cmp_lt_u32_e64 s[2:3], 31, v50
	v_lshrrev_b32_e32 v51, 6, v0
	v_cmp_eq_u32_e64 s[4:5], v0, v1
	s_cbranch_scc0 .LBB158_56
; %bb.35:
	v_mov_b32_dpp v1, v52 row_shr:1 row_mask:0xf bank_mask:0xf
	v_cndmask_b32_e64 v1, v1, 0, s[14:15]
	v_add_u32_e32 v1, v1, v52
	s_nop 1
	v_mov_b32_dpp v2, v1 row_shr:2 row_mask:0xf bank_mask:0xf
	v_cndmask_b32_e64 v2, 0, v2, s[12:13]
	v_add_u32_e32 v1, v1, v2
	s_nop 1
	;; [unrolled: 4-line block ×4, first 2 shown]
	v_mov_b32_dpp v2, v1 row_bcast:15 row_mask:0xf bank_mask:0xf
	v_cndmask_b32_e64 v2, v2, 0, s[18:19]
	v_add_u32_e32 v1, v1, v2
	s_nop 1
	v_mov_b32_dpp v2, v1 row_bcast:31 row_mask:0xf bank_mask:0xf
	v_cndmask_b32_e64 v2, 0, v2, s[2:3]
	v_add_u32_e32 v1, v1, v2
	s_and_saveexec_b64 s[16:17], s[4:5]
; %bb.36:
	v_lshlrev_b32_e32 v2, 2, v51
	ds_write_b32 v2, v1
; %bb.37:
	s_or_b64 exec, exec, s[16:17]
	v_cmp_gt_u32_e32 vcc, 4, v0
	s_waitcnt lgkmcnt(0)
	s_barrier
	s_and_saveexec_b64 s[16:17], vcc
	s_cbranch_execz .LBB158_39
; %bb.38:
	ds_read_b32 v2, v23
	v_and_b32_e32 v15, 3, v50
	v_cmp_ne_u32_e32 vcc, 0, v15
	s_waitcnt lgkmcnt(0)
	v_mov_b32_dpp v16, v2 row_shr:1 row_mask:0xf bank_mask:0xf
	v_cndmask_b32_e32 v16, 0, v16, vcc
	v_add_u32_e32 v2, v16, v2
	v_cmp_lt_u32_e32 vcc, 1, v15
	s_nop 0
	v_mov_b32_dpp v16, v2 row_shr:2 row_mask:0xf bank_mask:0xf
	v_cndmask_b32_e32 v15, 0, v16, vcc
	v_add_u32_e32 v2, v2, v15
	ds_write_b32 v23, v2
.LBB158_39:
	s_or_b64 exec, exec, s[16:17]
	v_cmp_gt_u32_e32 vcc, 64, v0
	v_cmp_lt_u32_e64 s[16:17], 63, v0
	s_waitcnt lgkmcnt(0)
	s_barrier
                                        ; implicit-def: $vgpr53
	s_and_saveexec_b64 s[20:21], s[16:17]
	s_cbranch_execz .LBB158_41
; %bb.40:
	v_lshl_add_u32 v2, v51, 2, -4
	ds_read_b32 v53, v2
	s_waitcnt lgkmcnt(0)
	v_add_u32_e32 v1, v53, v1
.LBB158_41:
	s_or_b64 exec, exec, s[20:21]
	v_subrev_co_u32_e64 v2, s[16:17], 1, v50
	v_and_b32_e32 v15, 64, v50
	v_cmp_lt_i32_e64 s[20:21], v2, v15
	v_cndmask_b32_e64 v2, v2, v50, s[20:21]
	v_lshlrev_b32_e32 v2, 2, v2
	ds_bpermute_b32 v54, v2, v1
	s_and_saveexec_b64 s[20:21], vcc
	s_cbranch_execz .LBB158_61
; %bb.42:
	v_mov_b32_e32 v19, 0
	ds_read_b32 v1, v19 offset:12
	s_and_saveexec_b64 s[40:41], s[16:17]
	s_cbranch_execz .LBB158_44
; %bb.43:
	s_add_i32 s42, s6, 64
	s_mov_b32 s43, 0
	s_lshl_b64 s[42:43], s[42:43], 3
	s_add_u32 s42, s36, s42
	v_mov_b32_e32 v2, 1
	s_addc_u32 s43, s37, s43
	s_waitcnt lgkmcnt(0)
	global_store_dwordx2 v19, v[1:2], s[42:43]
.LBB158_44:
	s_or_b64 exec, exec, s[40:41]
	v_xad_u32 v15, v50, -1, s6
	v_add_u32_e32 v18, 64, v15
	v_lshlrev_b64 v[16:17], 3, v[18:19]
	v_mov_b32_e32 v2, s37
	v_add_co_u32_e32 v20, vcc, s36, v16
	v_addc_co_u32_e32 v21, vcc, v2, v17, vcc
	global_load_dwordx2 v[17:18], v[20:21], off glc
	s_waitcnt vmcnt(0)
	v_cmp_eq_u16_sdwa s[42:43], v18, v19 src0_sel:BYTE_0 src1_sel:DWORD
	s_and_saveexec_b64 s[40:41], s[42:43]
	s_cbranch_execz .LBB158_48
; %bb.45:
	s_mov_b64 s[42:43], 0
	v_mov_b32_e32 v2, 0
.LBB158_46:                             ; =>This Inner Loop Header: Depth=1
	global_load_dwordx2 v[17:18], v[20:21], off glc
	s_waitcnt vmcnt(0)
	v_cmp_ne_u16_sdwa s[46:47], v18, v2 src0_sel:BYTE_0 src1_sel:DWORD
	s_or_b64 s[42:43], s[46:47], s[42:43]
	s_andn2_b64 exec, exec, s[42:43]
	s_cbranch_execnz .LBB158_46
; %bb.47:
	s_or_b64 exec, exec, s[42:43]
.LBB158_48:
	s_or_b64 exec, exec, s[40:41]
	v_and_b32_e32 v56, 63, v50
	v_mov_b32_e32 v55, 2
	v_lshlrev_b64 v[19:20], v50, -1
	v_cmp_ne_u32_e32 vcc, 63, v56
	v_cmp_eq_u16_sdwa s[40:41], v18, v55 src0_sel:BYTE_0 src1_sel:DWORD
	v_addc_co_u32_e32 v21, vcc, 0, v50, vcc
	v_and_b32_e32 v2, s41, v20
	v_lshlrev_b32_e32 v57, 2, v21
	v_or_b32_e32 v2, 0x80000000, v2
	ds_bpermute_b32 v21, v57, v17
	v_and_b32_e32 v16, s40, v19
	v_ffbl_b32_e32 v2, v2
	v_add_u32_e32 v2, 32, v2
	v_ffbl_b32_e32 v16, v16
	v_min_u32_e32 v2, v16, v2
	v_cmp_lt_u32_e32 vcc, v56, v2
	s_waitcnt lgkmcnt(0)
	v_cndmask_b32_e32 v16, 0, v21, vcc
	v_cmp_gt_u32_e32 vcc, 62, v56
	v_add_u32_e32 v16, v16, v17
	v_cndmask_b32_e64 v17, 0, 2, vcc
	v_add_lshl_u32 v58, v17, v50, 2
	ds_bpermute_b32 v17, v58, v16
	v_add_u32_e32 v59, 2, v56
	v_cmp_le_u32_e32 vcc, v59, v2
	v_add_u32_e32 v61, 4, v56
	v_add_u32_e32 v63, 8, v56
	s_waitcnt lgkmcnt(0)
	v_cndmask_b32_e32 v17, 0, v17, vcc
	v_cmp_gt_u32_e32 vcc, 60, v56
	v_add_u32_e32 v16, v16, v17
	v_cndmask_b32_e64 v17, 0, 4, vcc
	v_add_lshl_u32 v60, v17, v50, 2
	ds_bpermute_b32 v17, v60, v16
	v_cmp_le_u32_e32 vcc, v61, v2
	v_add_u32_e32 v65, 16, v56
	v_add_u32_e32 v67, 32, v56
	s_waitcnt lgkmcnt(0)
	v_cndmask_b32_e32 v17, 0, v17, vcc
	v_cmp_gt_u32_e32 vcc, 56, v56
	v_add_u32_e32 v16, v16, v17
	v_cndmask_b32_e64 v17, 0, 8, vcc
	v_add_lshl_u32 v62, v17, v50, 2
	ds_bpermute_b32 v17, v62, v16
	v_cmp_le_u32_e32 vcc, v63, v2
	s_waitcnt lgkmcnt(0)
	v_cndmask_b32_e32 v17, 0, v17, vcc
	v_cmp_gt_u32_e32 vcc, 48, v56
	v_add_u32_e32 v16, v16, v17
	v_cndmask_b32_e64 v17, 0, 16, vcc
	v_add_lshl_u32 v64, v17, v50, 2
	ds_bpermute_b32 v17, v64, v16
	v_cmp_le_u32_e32 vcc, v65, v2
	s_waitcnt lgkmcnt(0)
	v_cndmask_b32_e32 v17, 0, v17, vcc
	v_add_u32_e32 v16, v16, v17
	v_mov_b32_e32 v17, 0x80
	v_lshl_or_b32 v66, v50, 2, v17
	ds_bpermute_b32 v17, v66, v16
	v_cmp_le_u32_e32 vcc, v67, v2
	s_waitcnt lgkmcnt(0)
	v_cndmask_b32_e32 v2, 0, v17, vcc
	v_add_u32_e32 v17, v16, v2
	v_mov_b32_e32 v16, 0
	s_branch .LBB158_52
.LBB158_49:                             ;   in Loop: Header=BB158_52 Depth=1
	s_or_b64 exec, exec, s[42:43]
.LBB158_50:                             ;   in Loop: Header=BB158_52 Depth=1
	s_or_b64 exec, exec, s[40:41]
	v_cmp_eq_u16_sdwa s[40:41], v18, v55 src0_sel:BYTE_0 src1_sel:DWORD
	v_and_b32_e32 v21, s41, v20
	v_or_b32_e32 v21, 0x80000000, v21
	ds_bpermute_b32 v68, v57, v17
	v_and_b32_e32 v22, s40, v19
	v_ffbl_b32_e32 v21, v21
	v_add_u32_e32 v21, 32, v21
	v_ffbl_b32_e32 v22, v22
	v_min_u32_e32 v21, v22, v21
	v_cmp_lt_u32_e32 vcc, v56, v21
	s_waitcnt lgkmcnt(0)
	v_cndmask_b32_e32 v22, 0, v68, vcc
	v_add_u32_e32 v17, v22, v17
	ds_bpermute_b32 v22, v58, v17
	v_cmp_le_u32_e32 vcc, v59, v21
	v_subrev_u32_e32 v15, 64, v15
	s_mov_b64 s[40:41], 0
	s_waitcnt lgkmcnt(0)
	v_cndmask_b32_e32 v22, 0, v22, vcc
	v_add_u32_e32 v17, v17, v22
	ds_bpermute_b32 v22, v60, v17
	v_cmp_le_u32_e32 vcc, v61, v21
	s_waitcnt lgkmcnt(0)
	v_cndmask_b32_e32 v22, 0, v22, vcc
	v_add_u32_e32 v17, v17, v22
	ds_bpermute_b32 v22, v62, v17
	v_cmp_le_u32_e32 vcc, v63, v21
	;; [unrolled: 5-line block ×4, first 2 shown]
	s_waitcnt lgkmcnt(0)
	v_cndmask_b32_e32 v21, 0, v22, vcc
	v_add3_u32 v17, v21, v2, v17
.LBB158_51:                             ;   in Loop: Header=BB158_52 Depth=1
	s_and_b64 vcc, exec, s[40:41]
	s_cbranch_vccnz .LBB158_57
.LBB158_52:                             ; =>This Loop Header: Depth=1
                                        ;     Child Loop BB158_55 Depth 2
	v_cmp_ne_u16_sdwa s[40:41], v18, v55 src0_sel:BYTE_0 src1_sel:DWORD
	v_mov_b32_e32 v2, v17
	s_cmp_lg_u64 s[40:41], exec
	s_mov_b64 s[40:41], -1
                                        ; implicit-def: $vgpr17
                                        ; implicit-def: $vgpr18
	s_cbranch_scc1 .LBB158_51
; %bb.53:                               ;   in Loop: Header=BB158_52 Depth=1
	v_lshlrev_b64 v[17:18], 3, v[15:16]
	v_mov_b32_e32 v22, s37
	v_add_co_u32_e32 v21, vcc, s36, v17
	v_addc_co_u32_e32 v22, vcc, v22, v18, vcc
	global_load_dwordx2 v[17:18], v[21:22], off glc
	s_waitcnt vmcnt(0)
	v_cmp_eq_u16_sdwa s[42:43], v18, v16 src0_sel:BYTE_0 src1_sel:DWORD
	s_and_saveexec_b64 s[40:41], s[42:43]
	s_cbranch_execz .LBB158_50
; %bb.54:                               ;   in Loop: Header=BB158_52 Depth=1
	s_mov_b64 s[42:43], 0
.LBB158_55:                             ;   Parent Loop BB158_52 Depth=1
                                        ; =>  This Inner Loop Header: Depth=2
	global_load_dwordx2 v[17:18], v[21:22], off glc
	s_waitcnt vmcnt(0)
	v_cmp_ne_u16_sdwa s[46:47], v18, v16 src0_sel:BYTE_0 src1_sel:DWORD
	s_or_b64 s[42:43], s[46:47], s[42:43]
	s_andn2_b64 exec, exec, s[42:43]
	s_cbranch_execnz .LBB158_55
	s_branch .LBB158_49
.LBB158_56:
                                        ; implicit-def: $vgpr2
                                        ; implicit-def: $vgpr15
	s_cbranch_execnz .LBB158_62
	s_branch .LBB158_71
.LBB158_57:
	s_and_saveexec_b64 s[40:41], s[16:17]
	s_cbranch_execz .LBB158_59
; %bb.58:
	s_add_i32 s6, s6, 64
	s_mov_b32 s7, 0
	s_lshl_b64 s[6:7], s[6:7], 3
	s_add_u32 s6, s36, s6
	v_add_u32_e32 v15, v2, v1
	v_mov_b32_e32 v16, 2
	s_addc_u32 s7, s37, s7
	v_mov_b32_e32 v17, 0
	global_store_dwordx2 v17, v[15:16], s[6:7]
	ds_write_b64 v17, v[1:2] offset:13312
.LBB158_59:
	s_or_b64 exec, exec, s[40:41]
	v_cmp_eq_u32_e32 vcc, 0, v0
	s_and_b64 exec, exec, vcc
; %bb.60:
	v_mov_b32_e32 v1, 0
	ds_write_b32 v1, v2 offset:12
.LBB158_61:
	s_or_b64 exec, exec, s[20:21]
	v_mov_b32_e32 v1, 0
	s_waitcnt vmcnt(0) lgkmcnt(0)
	s_barrier
	ds_read_b32 v16, v1 offset:12
	s_waitcnt lgkmcnt(0)
	s_barrier
	ds_read_b64 v[1:2], v1 offset:13312
	v_cndmask_b32_e64 v15, v54, v53, s[16:17]
	v_cmp_ne_u32_e32 vcc, 0, v0
	v_cndmask_b32_e32 v15, 0, v15, vcc
	v_add_u32_e32 v15, v16, v15
	s_branch .LBB158_71
.LBB158_62:
	s_waitcnt lgkmcnt(0)
	v_mov_b32_dpp v1, v52 row_shr:1 row_mask:0xf bank_mask:0xf
	v_cndmask_b32_e64 v1, v1, 0, s[14:15]
	v_add_u32_e32 v1, v1, v52
	s_nop 1
	v_mov_b32_dpp v2, v1 row_shr:2 row_mask:0xf bank_mask:0xf
	v_cndmask_b32_e64 v2, 0, v2, s[12:13]
	v_add_u32_e32 v1, v1, v2
	s_nop 1
	;; [unrolled: 4-line block ×4, first 2 shown]
	v_mov_b32_dpp v2, v1 row_bcast:15 row_mask:0xf bank_mask:0xf
	v_cndmask_b32_e64 v2, v2, 0, s[18:19]
	v_add_u32_e32 v1, v1, v2
	s_nop 1
	v_mov_b32_dpp v2, v1 row_bcast:31 row_mask:0xf bank_mask:0xf
	v_cndmask_b32_e64 v2, 0, v2, s[2:3]
	v_add_u32_e32 v1, v1, v2
	s_and_saveexec_b64 s[2:3], s[4:5]
; %bb.63:
	v_lshlrev_b32_e32 v2, 2, v51
	ds_write_b32 v2, v1
; %bb.64:
	s_or_b64 exec, exec, s[2:3]
	v_cmp_gt_u32_e32 vcc, 4, v0
	s_waitcnt lgkmcnt(0)
	s_barrier
	s_and_saveexec_b64 s[2:3], vcc
	s_cbranch_execz .LBB158_66
; %bb.65:
	ds_read_b32 v2, v23
	v_and_b32_e32 v15, 3, v50
	v_cmp_ne_u32_e32 vcc, 0, v15
	s_waitcnt lgkmcnt(0)
	v_mov_b32_dpp v16, v2 row_shr:1 row_mask:0xf bank_mask:0xf
	v_cndmask_b32_e32 v16, 0, v16, vcc
	v_add_u32_e32 v2, v16, v2
	v_cmp_lt_u32_e32 vcc, 1, v15
	s_nop 0
	v_mov_b32_dpp v16, v2 row_shr:2 row_mask:0xf bank_mask:0xf
	v_cndmask_b32_e32 v15, 0, v16, vcc
	v_add_u32_e32 v2, v2, v15
	ds_write_b32 v23, v2
.LBB158_66:
	s_or_b64 exec, exec, s[2:3]
	v_cmp_lt_u32_e32 vcc, 63, v0
	v_mov_b32_e32 v2, 0
	v_mov_b32_e32 v15, 0
	s_waitcnt lgkmcnt(0)
	s_barrier
	s_and_saveexec_b64 s[2:3], vcc
; %bb.67:
	v_lshl_add_u32 v15, v51, 2, -4
	ds_read_b32 v15, v15
; %bb.68:
	s_or_b64 exec, exec, s[2:3]
	v_subrev_co_u32_e32 v16, vcc, 1, v50
	v_and_b32_e32 v17, 64, v50
	v_cmp_lt_i32_e64 s[2:3], v16, v17
	v_cndmask_b32_e64 v16, v16, v50, s[2:3]
	s_waitcnt lgkmcnt(0)
	v_add_u32_e32 v1, v15, v1
	v_lshlrev_b32_e32 v16, 2, v16
	ds_bpermute_b32 v16, v16, v1
	ds_read_b32 v1, v2 offset:12
	v_cmp_eq_u32_e64 s[2:3], 0, v0
	s_and_saveexec_b64 s[4:5], s[2:3]
	s_cbranch_execz .LBB158_70
; %bb.69:
	v_mov_b32_e32 v17, 0
	v_mov_b32_e32 v2, 2
	s_waitcnt lgkmcnt(0)
	global_store_dwordx2 v17, v[1:2], s[36:37] offset:512
.LBB158_70:
	s_or_b64 exec, exec, s[4:5]
	s_waitcnt lgkmcnt(1)
	v_cndmask_b32_e32 v2, v16, v15, vcc
	v_cndmask_b32_e64 v15, v2, 0, s[2:3]
	s_waitcnt vmcnt(0) lgkmcnt(0)
	s_barrier
	v_mov_b32_e32 v2, 0
.LBB158_71:
	v_add_u32_e32 v16, v15, v39
	v_add_u32_e32 v17, v16, v40
	v_add_u32_e32 v18, v17, v41
	v_add_u32_e32 v19, v18, v42
	s_waitcnt lgkmcnt(0)
	v_add_u32_e32 v25, v1, v25
	v_sub_u32_e32 v15, v15, v2
	v_and_b32_e32 v26, 1, v26
	v_add_u32_e32 v20, v19, v43
	v_sub_u32_e32 v43, v25, v15
	v_cmp_eq_u32_e32 vcc, 1, v26
	v_cndmask_b32_e32 v15, v43, v15, vcc
	v_lshlrev_b32_e32 v15, 2, v15
	ds_write_b32 v15, v13
	v_sub_u32_e32 v13, v16, v2
	v_sub_u32_e32 v15, v25, v13
	v_and_b32_e32 v16, 1, v27
	v_add_u32_e32 v15, 1, v15
	v_cmp_eq_u32_e32 vcc, 1, v16
	v_cndmask_b32_e32 v13, v15, v13, vcc
	v_lshlrev_b32_e32 v13, 2, v13
	ds_write_b32 v13, v14
	v_sub_u32_e32 v13, v17, v2
	v_sub_u32_e32 v14, v25, v13
	v_and_b32_e32 v15, 1, v28
	v_add_u32_e32 v14, 2, v14
	;; [unrolled: 8-line block ×5, first 2 shown]
	v_cmp_eq_u32_e32 vcc, 1, v12
	v_cndmask_b32_e32 v9, v11, v9, vcc
	v_add_u32_e32 v21, v20, v44
	v_lshlrev_b32_e32 v9, 2, v9
	ds_write_b32 v9, v10
	v_sub_u32_e32 v9, v21, v2
	v_sub_u32_e32 v10, v25, v9
	v_and_b32_e32 v11, 1, v32
	v_add_u32_e32 v10, 6, v10
	v_cmp_eq_u32_e32 vcc, 1, v11
	v_cndmask_b32_e32 v9, v10, v9, vcc
	v_add_u32_e32 v22, v21, v45
	v_lshlrev_b32_e32 v9, 2, v9
	ds_write_b32 v9, v7
	v_sub_u32_e32 v7, v22, v2
	v_sub_u32_e32 v9, v25, v7
	v_and_b32_e32 v10, 1, v33
	v_add_u32_e32 v9, 7, v9
	;; [unrolled: 9-line block ×6, first 2 shown]
	v_cmp_eq_u32_e32 vcc, 1, v6
	v_cndmask_b32_e32 v3, v5, v3, vcc
	v_lshlrev_b32_e32 v3, 2, v3
	ds_write_b32 v3, v4
	v_sub_u32_e32 v3, v38, v2
	v_add_u32_e32 v3, v42, v3
	v_sub_u32_e32 v4, v25, v3
	v_add_u32_e32 v4, 12, v4
	v_cndmask_b32_e64 v3, v4, v3, s[38:39]
	v_lshlrev_b32_e32 v3, 2, v3
	ds_write_b32 v3, v24
	s_waitcnt lgkmcnt(0)
	s_barrier
	ds_read2st64_b32 v[13:14], v23 offset1:4
	ds_read2st64_b32 v[11:12], v23 offset0:8 offset1:12
	ds_read2st64_b32 v[9:10], v23 offset0:16 offset1:20
	;; [unrolled: 1-line block ×5, first 2 shown]
	ds_read_b32 v19, v23 offset:12288
	v_mov_b32_e32 v15, s35
	s_and_b64 vcc, exec, s[0:1]
	v_add_co_u32_e64 v17, s[0:1], s34, v2
	v_or_b32_e32 v33, 0x100, v0
	v_or_b32_e32 v31, 0x200, v0
	;; [unrolled: 1-line block ×12, first 2 shown]
	v_addc_co_u32_e64 v18, s[0:1], 0, v15, s[0:1]
	s_cbranch_vccnz .LBB158_125
; %bb.72:
	v_mov_b32_e32 v2, s31
	v_subrev_co_u32_e32 v15, vcc, s30, v17
	s_sub_u32 s0, s28, s44
	v_subb_co_u32_e32 v16, vcc, v18, v2, vcc
	s_subb_u32 s1, s29, 0
	v_mov_b32_e32 v2, s1
	v_add_co_u32_e32 v23, vcc, s0, v1
	v_addc_co_u32_e32 v32, vcc, 0, v2, vcc
	v_add_co_u32_e32 v2, vcc, v23, v15
	v_addc_co_u32_e32 v23, vcc, v32, v16, vcc
	v_cmp_ge_u32_e32 vcc, v0, v1
                                        ; implicit-def: $vgpr15_vgpr16
	s_and_saveexec_b64 s[0:1], vcc
	s_xor_b64 s[0:1], exec, s[0:1]
; %bb.73:
	v_not_b32_e32 v15, v0
	v_ashrrev_i32_e32 v16, 31, v15
	v_add_co_u32_e32 v15, vcc, v2, v15
	v_addc_co_u32_e32 v16, vcc, v23, v16, vcc
; %bb.74:
	s_andn2_saveexec_b64 s[0:1], s[0:1]
; %bb.75:
	v_add_co_u32_e32 v15, vcc, v17, v0
	v_addc_co_u32_e32 v16, vcc, 0, v18, vcc
; %bb.76:
	s_or_b64 exec, exec, s[0:1]
	v_lshlrev_b64 v[15:16], 2, v[15:16]
	v_mov_b32_e32 v32, s27
	v_add_co_u32_e32 v15, vcc, s26, v15
	v_addc_co_u32_e32 v16, vcc, v32, v16, vcc
	v_cmp_ge_u32_e32 vcc, v33, v1
	s_waitcnt lgkmcnt(6)
	global_store_dword v[15:16], v13, off
                                        ; implicit-def: $vgpr15_vgpr16
	s_and_saveexec_b64 s[0:1], vcc
	s_xor_b64 s[0:1], exec, s[0:1]
; %bb.77:
	v_xor_b32_e32 v15, 0xfffffeff, v0
	v_ashrrev_i32_e32 v16, 31, v15
	v_add_co_u32_e32 v15, vcc, v2, v15
	v_addc_co_u32_e32 v16, vcc, v23, v16, vcc
; %bb.78:
	s_andn2_saveexec_b64 s[0:1], s[0:1]
; %bb.79:
	v_add_co_u32_e32 v15, vcc, v17, v33
	v_addc_co_u32_e32 v16, vcc, 0, v18, vcc
; %bb.80:
	s_or_b64 exec, exec, s[0:1]
	v_lshlrev_b64 v[15:16], 2, v[15:16]
	v_mov_b32_e32 v32, s27
	v_add_co_u32_e32 v15, vcc, s26, v15
	v_addc_co_u32_e32 v16, vcc, v32, v16, vcc
	v_cmp_ge_u32_e32 vcc, v31, v1
	global_store_dword v[15:16], v14, off
                                        ; implicit-def: $vgpr15_vgpr16
	s_and_saveexec_b64 s[0:1], vcc
	s_xor_b64 s[0:1], exec, s[0:1]
; %bb.81:
	v_xor_b32_e32 v15, 0xfffffdff, v0
	v_ashrrev_i32_e32 v16, 31, v15
	v_add_co_u32_e32 v15, vcc, v2, v15
	v_addc_co_u32_e32 v16, vcc, v23, v16, vcc
; %bb.82:
	s_andn2_saveexec_b64 s[0:1], s[0:1]
; %bb.83:
	v_add_co_u32_e32 v15, vcc, v17, v31
	v_addc_co_u32_e32 v16, vcc, 0, v18, vcc
; %bb.84:
	s_or_b64 exec, exec, s[0:1]
	v_lshlrev_b64 v[15:16], 2, v[15:16]
	v_mov_b32_e32 v32, s27
	v_add_co_u32_e32 v15, vcc, s26, v15
	v_addc_co_u32_e32 v16, vcc, v32, v16, vcc
	v_cmp_ge_u32_e32 vcc, v30, v1
	s_waitcnt lgkmcnt(5)
	global_store_dword v[15:16], v11, off
                                        ; implicit-def: $vgpr15_vgpr16
	s_and_saveexec_b64 s[0:1], vcc
	s_xor_b64 s[0:1], exec, s[0:1]
; %bb.85:
	v_xor_b32_e32 v15, 0xfffffcff, v0
	v_ashrrev_i32_e32 v16, 31, v15
	v_add_co_u32_e32 v15, vcc, v2, v15
	v_addc_co_u32_e32 v16, vcc, v23, v16, vcc
; %bb.86:
	s_andn2_saveexec_b64 s[0:1], s[0:1]
; %bb.87:
	v_add_co_u32_e32 v15, vcc, v17, v30
	v_addc_co_u32_e32 v16, vcc, 0, v18, vcc
; %bb.88:
	s_or_b64 exec, exec, s[0:1]
	v_lshlrev_b64 v[15:16], 2, v[15:16]
	v_mov_b32_e32 v32, s27
	v_add_co_u32_e32 v15, vcc, s26, v15
	v_addc_co_u32_e32 v16, vcc, v32, v16, vcc
	v_cmp_ge_u32_e32 vcc, v29, v1
	global_store_dword v[15:16], v12, off
                                        ; implicit-def: $vgpr15_vgpr16
	s_and_saveexec_b64 s[0:1], vcc
	s_xor_b64 s[0:1], exec, s[0:1]
; %bb.89:
	v_xor_b32_e32 v15, 0xfffffbff, v0
	;; [unrolled: 43-line block ×6, first 2 shown]
	v_ashrrev_i32_e32 v16, 31, v15
	v_add_co_u32_e32 v15, vcc, v2, v15
	v_addc_co_u32_e32 v16, vcc, v23, v16, vcc
; %bb.122:
	s_andn2_saveexec_b64 s[0:1], s[0:1]
; %bb.123:
	v_add_co_u32_e32 v15, vcc, v17, v20
	v_addc_co_u32_e32 v16, vcc, 0, v18, vcc
; %bb.124:
	s_or_b64 exec, exec, s[0:1]
	s_mov_b64 s[0:1], -1
	s_branch .LBB158_205
.LBB158_125:
	s_mov_b64 s[0:1], 0
                                        ; implicit-def: $vgpr15_vgpr16
	s_cbranch_execz .LBB158_205
; %bb.126:
	s_add_u32 s2, s30, s44
	s_addc_u32 s3, s31, 0
	s_sub_u32 s2, s28, s2
	s_subb_u32 s3, s29, s3
	v_mov_b32_e32 v2, s3
	v_add_co_u32_e32 v15, vcc, s2, v1
	v_addc_co_u32_e32 v2, vcc, 0, v2, vcc
	v_add_co_u32_e32 v23, vcc, v15, v17
	v_addc_co_u32_e32 v32, vcc, v2, v18, vcc
	v_cmp_gt_u32_e32 vcc, s33, v0
	s_and_saveexec_b64 s[2:3], vcc
	s_cbranch_execz .LBB158_162
; %bb.127:
	v_cmp_ge_u32_e32 vcc, v0, v1
                                        ; implicit-def: $vgpr15_vgpr16
	s_and_saveexec_b64 s[4:5], vcc
	s_xor_b64 s[4:5], exec, s[4:5]
; %bb.128:
	v_not_b32_e32 v2, v0
	v_ashrrev_i32_e32 v16, 31, v2
	v_add_co_u32_e32 v15, vcc, v23, v2
	v_addc_co_u32_e32 v16, vcc, v32, v16, vcc
; %bb.129:
	s_andn2_saveexec_b64 s[4:5], s[4:5]
; %bb.130:
	v_add_co_u32_e32 v15, vcc, v17, v0
	v_addc_co_u32_e32 v16, vcc, 0, v18, vcc
; %bb.131:
	s_or_b64 exec, exec, s[4:5]
	v_lshlrev_b64 v[15:16], 2, v[15:16]
	v_mov_b32_e32 v2, s27
	v_add_co_u32_e32 v15, vcc, s26, v15
	v_addc_co_u32_e32 v16, vcc, v2, v16, vcc
	s_waitcnt lgkmcnt(6)
	global_store_dword v[15:16], v13, off
	s_or_b64 exec, exec, s[2:3]
	v_cmp_gt_u32_e32 vcc, s33, v33
	s_and_saveexec_b64 s[2:3], vcc
	s_cbranch_execnz .LBB158_163
.LBB158_132:
	s_or_b64 exec, exec, s[2:3]
	v_cmp_gt_u32_e32 vcc, s33, v31
	s_and_saveexec_b64 s[2:3], vcc
	s_cbranch_execz .LBB158_168
.LBB158_133:
	v_cmp_ge_u32_e32 vcc, v31, v1
                                        ; implicit-def: $vgpr13_vgpr14
	s_and_saveexec_b64 s[4:5], vcc
	s_xor_b64 s[4:5], exec, s[4:5]
	s_cbranch_execz .LBB158_135
; %bb.134:
	v_xor_b32_e32 v2, 0xfffffdff, v0
	s_waitcnt lgkmcnt(6)
	v_ashrrev_i32_e32 v14, 31, v2
	v_add_co_u32_e32 v13, vcc, v23, v2
	v_addc_co_u32_e32 v14, vcc, v32, v14, vcc
                                        ; implicit-def: $vgpr31
.LBB158_135:
	s_andn2_saveexec_b64 s[4:5], s[4:5]
	s_cbranch_execz .LBB158_137
; %bb.136:
	s_waitcnt lgkmcnt(6)
	v_add_co_u32_e32 v13, vcc, v17, v31
	v_addc_co_u32_e32 v14, vcc, 0, v18, vcc
.LBB158_137:
	s_or_b64 exec, exec, s[4:5]
	s_waitcnt lgkmcnt(6)
	v_lshlrev_b64 v[13:14], 2, v[13:14]
	v_mov_b32_e32 v2, s27
	v_add_co_u32_e32 v13, vcc, s26, v13
	v_addc_co_u32_e32 v14, vcc, v2, v14, vcc
	s_waitcnt lgkmcnt(5)
	global_store_dword v[13:14], v11, off
	s_or_b64 exec, exec, s[2:3]
	v_cmp_gt_u32_e32 vcc, s33, v30
	s_and_saveexec_b64 s[2:3], vcc
	s_cbranch_execnz .LBB158_169
.LBB158_138:
	s_or_b64 exec, exec, s[2:3]
	v_cmp_gt_u32_e32 vcc, s33, v29
	s_and_saveexec_b64 s[2:3], vcc
	s_cbranch_execz .LBB158_174
.LBB158_139:
	v_cmp_ge_u32_e32 vcc, v29, v1
                                        ; implicit-def: $vgpr11_vgpr12
	s_and_saveexec_b64 s[4:5], vcc
	s_xor_b64 s[4:5], exec, s[4:5]
	s_cbranch_execz .LBB158_141
; %bb.140:
	v_xor_b32_e32 v2, 0xfffffbff, v0
	s_waitcnt lgkmcnt(5)
	v_ashrrev_i32_e32 v12, 31, v2
	v_add_co_u32_e32 v11, vcc, v23, v2
	v_addc_co_u32_e32 v12, vcc, v32, v12, vcc
                                        ; implicit-def: $vgpr29
.LBB158_141:
	s_andn2_saveexec_b64 s[4:5], s[4:5]
	s_cbranch_execz .LBB158_143
; %bb.142:
	s_waitcnt lgkmcnt(5)
	v_add_co_u32_e32 v11, vcc, v17, v29
	v_addc_co_u32_e32 v12, vcc, 0, v18, vcc
.LBB158_143:
	s_or_b64 exec, exec, s[4:5]
	s_waitcnt lgkmcnt(5)
	v_lshlrev_b64 v[11:12], 2, v[11:12]
	v_mov_b32_e32 v2, s27
	v_add_co_u32_e32 v11, vcc, s26, v11
	v_addc_co_u32_e32 v12, vcc, v2, v12, vcc
	s_waitcnt lgkmcnt(4)
	global_store_dword v[11:12], v9, off
	s_or_b64 exec, exec, s[2:3]
	v_cmp_gt_u32_e32 vcc, s33, v28
	s_and_saveexec_b64 s[2:3], vcc
	s_cbranch_execnz .LBB158_175
.LBB158_144:
	s_or_b64 exec, exec, s[2:3]
	v_cmp_gt_u32_e32 vcc, s33, v27
	s_and_saveexec_b64 s[2:3], vcc
	s_cbranch_execz .LBB158_180
.LBB158_145:
	v_cmp_ge_u32_e32 vcc, v27, v1
                                        ; implicit-def: $vgpr9_vgpr10
	s_and_saveexec_b64 s[4:5], vcc
	s_xor_b64 s[4:5], exec, s[4:5]
	s_cbranch_execz .LBB158_147
; %bb.146:
	v_xor_b32_e32 v2, 0xfffff9ff, v0
	s_waitcnt lgkmcnt(4)
	v_ashrrev_i32_e32 v10, 31, v2
	v_add_co_u32_e32 v9, vcc, v23, v2
	v_addc_co_u32_e32 v10, vcc, v32, v10, vcc
                                        ; implicit-def: $vgpr27
.LBB158_147:
	s_andn2_saveexec_b64 s[4:5], s[4:5]
	s_cbranch_execz .LBB158_149
; %bb.148:
	s_waitcnt lgkmcnt(4)
	v_add_co_u32_e32 v9, vcc, v17, v27
	v_addc_co_u32_e32 v10, vcc, 0, v18, vcc
.LBB158_149:
	s_or_b64 exec, exec, s[4:5]
	s_waitcnt lgkmcnt(4)
	v_lshlrev_b64 v[9:10], 2, v[9:10]
	v_mov_b32_e32 v2, s27
	v_add_co_u32_e32 v9, vcc, s26, v9
	v_addc_co_u32_e32 v10, vcc, v2, v10, vcc
	s_waitcnt lgkmcnt(3)
	global_store_dword v[9:10], v7, off
	s_or_b64 exec, exec, s[2:3]
	v_cmp_gt_u32_e32 vcc, s33, v26
	s_and_saveexec_b64 s[2:3], vcc
	s_cbranch_execnz .LBB158_181
.LBB158_150:
	s_or_b64 exec, exec, s[2:3]
	v_cmp_gt_u32_e32 vcc, s33, v25
	s_and_saveexec_b64 s[2:3], vcc
	s_cbranch_execz .LBB158_186
.LBB158_151:
	v_cmp_ge_u32_e32 vcc, v25, v1
                                        ; implicit-def: $vgpr7_vgpr8
	s_and_saveexec_b64 s[4:5], vcc
	s_xor_b64 s[4:5], exec, s[4:5]
	s_cbranch_execz .LBB158_153
; %bb.152:
	v_xor_b32_e32 v2, 0xfffff7ff, v0
	s_waitcnt lgkmcnt(3)
	v_ashrrev_i32_e32 v8, 31, v2
	v_add_co_u32_e32 v7, vcc, v23, v2
	v_addc_co_u32_e32 v8, vcc, v32, v8, vcc
                                        ; implicit-def: $vgpr25
.LBB158_153:
	s_andn2_saveexec_b64 s[4:5], s[4:5]
	s_cbranch_execz .LBB158_155
; %bb.154:
	s_waitcnt lgkmcnt(3)
	v_add_co_u32_e32 v7, vcc, v17, v25
	v_addc_co_u32_e32 v8, vcc, 0, v18, vcc
.LBB158_155:
	s_or_b64 exec, exec, s[4:5]
	s_waitcnt lgkmcnt(3)
	v_lshlrev_b64 v[7:8], 2, v[7:8]
	v_mov_b32_e32 v2, s27
	v_add_co_u32_e32 v7, vcc, s26, v7
	v_addc_co_u32_e32 v8, vcc, v2, v8, vcc
	s_waitcnt lgkmcnt(2)
	global_store_dword v[7:8], v5, off
	s_or_b64 exec, exec, s[2:3]
	v_cmp_gt_u32_e32 vcc, s33, v24
	s_and_saveexec_b64 s[2:3], vcc
	s_cbranch_execnz .LBB158_187
.LBB158_156:
	s_or_b64 exec, exec, s[2:3]
	v_cmp_gt_u32_e32 vcc, s33, v22
	s_and_saveexec_b64 s[2:3], vcc
	s_cbranch_execz .LBB158_192
.LBB158_157:
	v_cmp_ge_u32_e32 vcc, v22, v1
                                        ; implicit-def: $vgpr5_vgpr6
	s_and_saveexec_b64 s[4:5], vcc
	s_xor_b64 s[4:5], exec, s[4:5]
	s_cbranch_execz .LBB158_159
; %bb.158:
	v_xor_b32_e32 v2, 0xfffff5ff, v0
	s_waitcnt lgkmcnt(2)
	v_ashrrev_i32_e32 v6, 31, v2
	v_add_co_u32_e32 v5, vcc, v23, v2
	v_addc_co_u32_e32 v6, vcc, v32, v6, vcc
                                        ; implicit-def: $vgpr22
.LBB158_159:
	s_andn2_saveexec_b64 s[4:5], s[4:5]
	s_cbranch_execz .LBB158_161
; %bb.160:
	s_waitcnt lgkmcnt(2)
	v_add_co_u32_e32 v5, vcc, v17, v22
	v_addc_co_u32_e32 v6, vcc, 0, v18, vcc
.LBB158_161:
	s_or_b64 exec, exec, s[4:5]
	s_waitcnt lgkmcnt(2)
	v_lshlrev_b64 v[5:6], 2, v[5:6]
	v_mov_b32_e32 v2, s27
	v_add_co_u32_e32 v5, vcc, s26, v5
	v_addc_co_u32_e32 v6, vcc, v2, v6, vcc
	s_waitcnt lgkmcnt(1)
	global_store_dword v[5:6], v3, off
	s_or_b64 exec, exec, s[2:3]
	v_cmp_gt_u32_e32 vcc, s33, v21
	s_and_saveexec_b64 s[2:3], vcc
	s_cbranch_execz .LBB158_198
	s_branch .LBB158_193
.LBB158_162:
	s_or_b64 exec, exec, s[2:3]
	v_cmp_gt_u32_e32 vcc, s33, v33
	s_and_saveexec_b64 s[2:3], vcc
	s_cbranch_execz .LBB158_132
.LBB158_163:
	v_cmp_ge_u32_e32 vcc, v33, v1
                                        ; implicit-def: $vgpr15_vgpr16
	s_and_saveexec_b64 s[4:5], vcc
	s_xor_b64 s[4:5], exec, s[4:5]
	s_cbranch_execz .LBB158_165
; %bb.164:
	v_xor_b32_e32 v2, 0xfffffeff, v0
	s_waitcnt lgkmcnt(6)
	v_ashrrev_i32_e32 v13, 31, v2
	v_add_co_u32_e32 v15, vcc, v23, v2
	v_addc_co_u32_e32 v16, vcc, v32, v13, vcc
                                        ; implicit-def: $vgpr33
.LBB158_165:
	s_andn2_saveexec_b64 s[4:5], s[4:5]
; %bb.166:
	v_add_co_u32_e32 v15, vcc, v17, v33
	v_addc_co_u32_e32 v16, vcc, 0, v18, vcc
; %bb.167:
	s_or_b64 exec, exec, s[4:5]
	v_lshlrev_b64 v[15:16], 2, v[15:16]
	v_mov_b32_e32 v2, s27
	v_add_co_u32_e32 v15, vcc, s26, v15
	v_addc_co_u32_e32 v16, vcc, v2, v16, vcc
	s_waitcnt lgkmcnt(6)
	global_store_dword v[15:16], v14, off
	s_or_b64 exec, exec, s[2:3]
	v_cmp_gt_u32_e32 vcc, s33, v31
	s_and_saveexec_b64 s[2:3], vcc
	s_cbranch_execnz .LBB158_133
.LBB158_168:
	s_or_b64 exec, exec, s[2:3]
	v_cmp_gt_u32_e32 vcc, s33, v30
	s_and_saveexec_b64 s[2:3], vcc
	s_cbranch_execz .LBB158_138
.LBB158_169:
	v_cmp_ge_u32_e32 vcc, v30, v1
                                        ; implicit-def: $vgpr13_vgpr14
	s_and_saveexec_b64 s[4:5], vcc
	s_xor_b64 s[4:5], exec, s[4:5]
	s_cbranch_execz .LBB158_171
; %bb.170:
	v_xor_b32_e32 v2, 0xfffffcff, v0
	s_waitcnt lgkmcnt(5)
	v_ashrrev_i32_e32 v11, 31, v2
	v_add_co_u32_e32 v13, vcc, v23, v2
	v_addc_co_u32_e32 v14, vcc, v32, v11, vcc
                                        ; implicit-def: $vgpr30
.LBB158_171:
	s_andn2_saveexec_b64 s[4:5], s[4:5]
	s_cbranch_execz .LBB158_173
; %bb.172:
	s_waitcnt lgkmcnt(6)
	v_add_co_u32_e32 v13, vcc, v17, v30
	v_addc_co_u32_e32 v14, vcc, 0, v18, vcc
.LBB158_173:
	s_or_b64 exec, exec, s[4:5]
	s_waitcnt lgkmcnt(6)
	v_lshlrev_b64 v[13:14], 2, v[13:14]
	v_mov_b32_e32 v2, s27
	v_add_co_u32_e32 v13, vcc, s26, v13
	v_addc_co_u32_e32 v14, vcc, v2, v14, vcc
	s_waitcnt lgkmcnt(5)
	global_store_dword v[13:14], v12, off
	s_or_b64 exec, exec, s[2:3]
	v_cmp_gt_u32_e32 vcc, s33, v29
	s_and_saveexec_b64 s[2:3], vcc
	s_cbranch_execnz .LBB158_139
.LBB158_174:
	s_or_b64 exec, exec, s[2:3]
	v_cmp_gt_u32_e32 vcc, s33, v28
	s_and_saveexec_b64 s[2:3], vcc
	s_cbranch_execz .LBB158_144
.LBB158_175:
	v_cmp_ge_u32_e32 vcc, v28, v1
                                        ; implicit-def: $vgpr11_vgpr12
	s_and_saveexec_b64 s[4:5], vcc
	s_xor_b64 s[4:5], exec, s[4:5]
	s_cbranch_execz .LBB158_177
; %bb.176:
	v_xor_b32_e32 v2, 0xfffffaff, v0
	s_waitcnt lgkmcnt(4)
	v_ashrrev_i32_e32 v9, 31, v2
	v_add_co_u32_e32 v11, vcc, v23, v2
	v_addc_co_u32_e32 v12, vcc, v32, v9, vcc
                                        ; implicit-def: $vgpr28
.LBB158_177:
	s_andn2_saveexec_b64 s[4:5], s[4:5]
	s_cbranch_execz .LBB158_179
; %bb.178:
	s_waitcnt lgkmcnt(5)
	v_add_co_u32_e32 v11, vcc, v17, v28
	v_addc_co_u32_e32 v12, vcc, 0, v18, vcc
.LBB158_179:
	s_or_b64 exec, exec, s[4:5]
	s_waitcnt lgkmcnt(5)
	v_lshlrev_b64 v[11:12], 2, v[11:12]
	v_mov_b32_e32 v2, s27
	v_add_co_u32_e32 v11, vcc, s26, v11
	v_addc_co_u32_e32 v12, vcc, v2, v12, vcc
	s_waitcnt lgkmcnt(4)
	global_store_dword v[11:12], v10, off
	s_or_b64 exec, exec, s[2:3]
	v_cmp_gt_u32_e32 vcc, s33, v27
	s_and_saveexec_b64 s[2:3], vcc
	s_cbranch_execnz .LBB158_145
.LBB158_180:
	s_or_b64 exec, exec, s[2:3]
	v_cmp_gt_u32_e32 vcc, s33, v26
	s_and_saveexec_b64 s[2:3], vcc
	s_cbranch_execz .LBB158_150
.LBB158_181:
	v_cmp_ge_u32_e32 vcc, v26, v1
                                        ; implicit-def: $vgpr9_vgpr10
	s_and_saveexec_b64 s[4:5], vcc
	s_xor_b64 s[4:5], exec, s[4:5]
	s_cbranch_execz .LBB158_183
; %bb.182:
	v_xor_b32_e32 v2, 0xfffff8ff, v0
	s_waitcnt lgkmcnt(3)
	v_ashrrev_i32_e32 v7, 31, v2
	v_add_co_u32_e32 v9, vcc, v23, v2
	v_addc_co_u32_e32 v10, vcc, v32, v7, vcc
                                        ; implicit-def: $vgpr26
.LBB158_183:
	s_andn2_saveexec_b64 s[4:5], s[4:5]
	s_cbranch_execz .LBB158_185
; %bb.184:
	s_waitcnt lgkmcnt(4)
	v_add_co_u32_e32 v9, vcc, v17, v26
	v_addc_co_u32_e32 v10, vcc, 0, v18, vcc
.LBB158_185:
	s_or_b64 exec, exec, s[4:5]
	s_waitcnt lgkmcnt(4)
	v_lshlrev_b64 v[9:10], 2, v[9:10]
	v_mov_b32_e32 v2, s27
	v_add_co_u32_e32 v9, vcc, s26, v9
	v_addc_co_u32_e32 v10, vcc, v2, v10, vcc
	s_waitcnt lgkmcnt(3)
	global_store_dword v[9:10], v8, off
	s_or_b64 exec, exec, s[2:3]
	v_cmp_gt_u32_e32 vcc, s33, v25
	s_and_saveexec_b64 s[2:3], vcc
	s_cbranch_execnz .LBB158_151
.LBB158_186:
	s_or_b64 exec, exec, s[2:3]
	v_cmp_gt_u32_e32 vcc, s33, v24
	s_and_saveexec_b64 s[2:3], vcc
	s_cbranch_execz .LBB158_156
.LBB158_187:
	v_cmp_ge_u32_e32 vcc, v24, v1
                                        ; implicit-def: $vgpr7_vgpr8
	s_and_saveexec_b64 s[4:5], vcc
	s_xor_b64 s[4:5], exec, s[4:5]
	s_cbranch_execz .LBB158_189
; %bb.188:
	v_xor_b32_e32 v2, 0xfffff6ff, v0
	s_waitcnt lgkmcnt(2)
	v_ashrrev_i32_e32 v5, 31, v2
	v_add_co_u32_e32 v7, vcc, v23, v2
	v_addc_co_u32_e32 v8, vcc, v32, v5, vcc
                                        ; implicit-def: $vgpr24
.LBB158_189:
	s_andn2_saveexec_b64 s[4:5], s[4:5]
	s_cbranch_execz .LBB158_191
; %bb.190:
	s_waitcnt lgkmcnt(3)
	v_add_co_u32_e32 v7, vcc, v17, v24
	v_addc_co_u32_e32 v8, vcc, 0, v18, vcc
.LBB158_191:
	s_or_b64 exec, exec, s[4:5]
	s_waitcnt lgkmcnt(3)
	v_lshlrev_b64 v[7:8], 2, v[7:8]
	v_mov_b32_e32 v2, s27
	v_add_co_u32_e32 v7, vcc, s26, v7
	v_addc_co_u32_e32 v8, vcc, v2, v8, vcc
	s_waitcnt lgkmcnt(2)
	global_store_dword v[7:8], v6, off
	s_or_b64 exec, exec, s[2:3]
	v_cmp_gt_u32_e32 vcc, s33, v22
	s_and_saveexec_b64 s[2:3], vcc
	s_cbranch_execnz .LBB158_157
.LBB158_192:
	s_or_b64 exec, exec, s[2:3]
	v_cmp_gt_u32_e32 vcc, s33, v21
	s_and_saveexec_b64 s[2:3], vcc
	s_cbranch_execz .LBB158_198
.LBB158_193:
	v_cmp_ge_u32_e32 vcc, v21, v1
                                        ; implicit-def: $vgpr2_vgpr3
	s_and_saveexec_b64 s[4:5], vcc
	s_xor_b64 s[4:5], exec, s[4:5]
	s_cbranch_execz .LBB158_195
; %bb.194:
	v_xor_b32_e32 v2, 0xfffff4ff, v0
	s_waitcnt lgkmcnt(1)
	v_ashrrev_i32_e32 v3, 31, v2
	v_add_co_u32_e32 v2, vcc, v23, v2
	v_addc_co_u32_e32 v3, vcc, v32, v3, vcc
                                        ; implicit-def: $vgpr21
.LBB158_195:
	s_andn2_saveexec_b64 s[4:5], s[4:5]
	s_cbranch_execz .LBB158_197
; %bb.196:
	v_add_co_u32_e32 v2, vcc, v17, v21
	s_waitcnt lgkmcnt(1)
	v_addc_co_u32_e32 v3, vcc, 0, v18, vcc
.LBB158_197:
	s_or_b64 exec, exec, s[4:5]
	s_waitcnt lgkmcnt(1)
	v_lshlrev_b64 v[2:3], 2, v[2:3]
	v_mov_b32_e32 v5, s27
	v_add_co_u32_e32 v2, vcc, s26, v2
	v_addc_co_u32_e32 v3, vcc, v5, v3, vcc
	global_store_dword v[2:3], v4, off
.LBB158_198:
	s_or_b64 exec, exec, s[2:3]
	v_cmp_gt_u32_e32 vcc, s33, v20
                                        ; implicit-def: $vgpr15_vgpr16
	s_and_saveexec_b64 s[2:3], vcc
	s_cbranch_execz .LBB158_204
; %bb.199:
	v_cmp_ge_u32_e32 vcc, v20, v1
                                        ; implicit-def: $vgpr15_vgpr16
	s_and_saveexec_b64 s[4:5], vcc
	s_xor_b64 s[4:5], exec, s[4:5]
	s_cbranch_execz .LBB158_201
; %bb.200:
	v_xor_b32_e32 v2, 0xfffff3ff, v0
	s_waitcnt lgkmcnt(1)
	v_ashrrev_i32_e32 v3, 31, v2
	v_add_co_u32_e32 v15, vcc, v23, v2
	v_addc_co_u32_e32 v16, vcc, v32, v3, vcc
                                        ; implicit-def: $vgpr20
.LBB158_201:
	s_andn2_saveexec_b64 s[4:5], s[4:5]
; %bb.202:
	v_add_co_u32_e32 v15, vcc, v17, v20
	v_addc_co_u32_e32 v16, vcc, 0, v18, vcc
; %bb.203:
	s_or_b64 exec, exec, s[4:5]
	s_or_b64 s[0:1], s[0:1], exec
.LBB158_204:
	s_or_b64 exec, exec, s[2:3]
.LBB158_205:
	s_and_saveexec_b64 s[2:3], s[0:1]
	s_cbranch_execz .LBB158_207
; %bb.206:
	s_waitcnt lgkmcnt(1)
	v_lshlrev_b64 v[2:3], 2, v[15:16]
	v_mov_b32_e32 v4, s27
	v_add_co_u32_e32 v2, vcc, s26, v2
	v_addc_co_u32_e32 v3, vcc, v4, v3, vcc
	s_waitcnt lgkmcnt(0)
	global_store_dword v[2:3], v19, off
.LBB158_207:
	s_or_b64 exec, exec, s[2:3]
	v_cmp_eq_u32_e32 vcc, 0, v0
	s_and_b64 s[0:1], vcc, s[22:23]
	s_and_saveexec_b64 s[2:3], s[0:1]
	s_cbranch_execz .LBB158_209
; %bb.208:
	v_add_co_u32_e32 v0, vcc, v17, v1
	v_mov_b32_e32 v2, 0
	v_addc_co_u32_e32 v1, vcc, 0, v18, vcc
	global_store_dwordx2 v2, v[0:1], s[24:25]
.LBB158_209:
	s_endpgm
	.section	.rodata,"a",@progbits
	.p2align	6, 0x0
	.amdhsa_kernel _ZN7rocprim17ROCPRIM_400000_NS6detail17trampoline_kernelINS0_13select_configILj256ELj13ELNS0_17block_load_methodE3ELS4_3ELS4_3ELNS0_20block_scan_algorithmE0ELj4294967295EEENS1_25partition_config_selectorILNS1_17partition_subalgoE3EjNS0_10empty_typeEbEEZZNS1_14partition_implILS8_3ELb0ES6_jNS0_17counting_iteratorIjlEEPS9_SE_NS0_5tupleIJPjSE_EEENSF_IJSE_SE_EEES9_SG_JZNS1_25segmented_radix_sort_implINS0_14default_configELb0EPKhPhPKlPlN2at6native12_GLOBAL__N_18offset_tEEE10hipError_tPvRmT1_PNSt15iterator_traitsISY_E10value_typeET2_T3_PNSZ_IS14_E10value_typeET4_jRbjT5_S1A_jjP12ihipStream_tbEUljE_EEESV_SW_SX_S14_S18_S1A_T6_T7_T9_mT8_S1C_bDpT10_ENKUlT_T0_E_clISt17integral_constantIbLb0EES1P_EEDaS1K_S1L_EUlS1K_E_NS1_11comp_targetILNS1_3genE2ELNS1_11target_archE906ELNS1_3gpuE6ELNS1_3repE0EEENS1_30default_config_static_selectorELNS0_4arch9wavefront6targetE1EEEvSY_
		.amdhsa_group_segment_fixed_size 13320
		.amdhsa_private_segment_fixed_size 0
		.amdhsa_kernarg_size 144
		.amdhsa_user_sgpr_count 6
		.amdhsa_user_sgpr_private_segment_buffer 1
		.amdhsa_user_sgpr_dispatch_ptr 0
		.amdhsa_user_sgpr_queue_ptr 0
		.amdhsa_user_sgpr_kernarg_segment_ptr 1
		.amdhsa_user_sgpr_dispatch_id 0
		.amdhsa_user_sgpr_flat_scratch_init 0
		.amdhsa_user_sgpr_private_segment_size 0
		.amdhsa_uses_dynamic_stack 0
		.amdhsa_system_sgpr_private_segment_wavefront_offset 0
		.amdhsa_system_sgpr_workgroup_id_x 1
		.amdhsa_system_sgpr_workgroup_id_y 0
		.amdhsa_system_sgpr_workgroup_id_z 0
		.amdhsa_system_sgpr_workgroup_info 0
		.amdhsa_system_vgpr_workitem_id 0
		.amdhsa_next_free_vgpr 69
		.amdhsa_next_free_sgpr 98
		.amdhsa_reserve_vcc 1
		.amdhsa_reserve_flat_scratch 0
		.amdhsa_float_round_mode_32 0
		.amdhsa_float_round_mode_16_64 0
		.amdhsa_float_denorm_mode_32 3
		.amdhsa_float_denorm_mode_16_64 3
		.amdhsa_dx10_clamp 1
		.amdhsa_ieee_mode 1
		.amdhsa_fp16_overflow 0
		.amdhsa_exception_fp_ieee_invalid_op 0
		.amdhsa_exception_fp_denorm_src 0
		.amdhsa_exception_fp_ieee_div_zero 0
		.amdhsa_exception_fp_ieee_overflow 0
		.amdhsa_exception_fp_ieee_underflow 0
		.amdhsa_exception_fp_ieee_inexact 0
		.amdhsa_exception_int_div_zero 0
	.end_amdhsa_kernel
	.section	.text._ZN7rocprim17ROCPRIM_400000_NS6detail17trampoline_kernelINS0_13select_configILj256ELj13ELNS0_17block_load_methodE3ELS4_3ELS4_3ELNS0_20block_scan_algorithmE0ELj4294967295EEENS1_25partition_config_selectorILNS1_17partition_subalgoE3EjNS0_10empty_typeEbEEZZNS1_14partition_implILS8_3ELb0ES6_jNS0_17counting_iteratorIjlEEPS9_SE_NS0_5tupleIJPjSE_EEENSF_IJSE_SE_EEES9_SG_JZNS1_25segmented_radix_sort_implINS0_14default_configELb0EPKhPhPKlPlN2at6native12_GLOBAL__N_18offset_tEEE10hipError_tPvRmT1_PNSt15iterator_traitsISY_E10value_typeET2_T3_PNSZ_IS14_E10value_typeET4_jRbjT5_S1A_jjP12ihipStream_tbEUljE_EEESV_SW_SX_S14_S18_S1A_T6_T7_T9_mT8_S1C_bDpT10_ENKUlT_T0_E_clISt17integral_constantIbLb0EES1P_EEDaS1K_S1L_EUlS1K_E_NS1_11comp_targetILNS1_3genE2ELNS1_11target_archE906ELNS1_3gpuE6ELNS1_3repE0EEENS1_30default_config_static_selectorELNS0_4arch9wavefront6targetE1EEEvSY_,"axG",@progbits,_ZN7rocprim17ROCPRIM_400000_NS6detail17trampoline_kernelINS0_13select_configILj256ELj13ELNS0_17block_load_methodE3ELS4_3ELS4_3ELNS0_20block_scan_algorithmE0ELj4294967295EEENS1_25partition_config_selectorILNS1_17partition_subalgoE3EjNS0_10empty_typeEbEEZZNS1_14partition_implILS8_3ELb0ES6_jNS0_17counting_iteratorIjlEEPS9_SE_NS0_5tupleIJPjSE_EEENSF_IJSE_SE_EEES9_SG_JZNS1_25segmented_radix_sort_implINS0_14default_configELb0EPKhPhPKlPlN2at6native12_GLOBAL__N_18offset_tEEE10hipError_tPvRmT1_PNSt15iterator_traitsISY_E10value_typeET2_T3_PNSZ_IS14_E10value_typeET4_jRbjT5_S1A_jjP12ihipStream_tbEUljE_EEESV_SW_SX_S14_S18_S1A_T6_T7_T9_mT8_S1C_bDpT10_ENKUlT_T0_E_clISt17integral_constantIbLb0EES1P_EEDaS1K_S1L_EUlS1K_E_NS1_11comp_targetILNS1_3genE2ELNS1_11target_archE906ELNS1_3gpuE6ELNS1_3repE0EEENS1_30default_config_static_selectorELNS0_4arch9wavefront6targetE1EEEvSY_,comdat
.Lfunc_end158:
	.size	_ZN7rocprim17ROCPRIM_400000_NS6detail17trampoline_kernelINS0_13select_configILj256ELj13ELNS0_17block_load_methodE3ELS4_3ELS4_3ELNS0_20block_scan_algorithmE0ELj4294967295EEENS1_25partition_config_selectorILNS1_17partition_subalgoE3EjNS0_10empty_typeEbEEZZNS1_14partition_implILS8_3ELb0ES6_jNS0_17counting_iteratorIjlEEPS9_SE_NS0_5tupleIJPjSE_EEENSF_IJSE_SE_EEES9_SG_JZNS1_25segmented_radix_sort_implINS0_14default_configELb0EPKhPhPKlPlN2at6native12_GLOBAL__N_18offset_tEEE10hipError_tPvRmT1_PNSt15iterator_traitsISY_E10value_typeET2_T3_PNSZ_IS14_E10value_typeET4_jRbjT5_S1A_jjP12ihipStream_tbEUljE_EEESV_SW_SX_S14_S18_S1A_T6_T7_T9_mT8_S1C_bDpT10_ENKUlT_T0_E_clISt17integral_constantIbLb0EES1P_EEDaS1K_S1L_EUlS1K_E_NS1_11comp_targetILNS1_3genE2ELNS1_11target_archE906ELNS1_3gpuE6ELNS1_3repE0EEENS1_30default_config_static_selectorELNS0_4arch9wavefront6targetE1EEEvSY_, .Lfunc_end158-_ZN7rocprim17ROCPRIM_400000_NS6detail17trampoline_kernelINS0_13select_configILj256ELj13ELNS0_17block_load_methodE3ELS4_3ELS4_3ELNS0_20block_scan_algorithmE0ELj4294967295EEENS1_25partition_config_selectorILNS1_17partition_subalgoE3EjNS0_10empty_typeEbEEZZNS1_14partition_implILS8_3ELb0ES6_jNS0_17counting_iteratorIjlEEPS9_SE_NS0_5tupleIJPjSE_EEENSF_IJSE_SE_EEES9_SG_JZNS1_25segmented_radix_sort_implINS0_14default_configELb0EPKhPhPKlPlN2at6native12_GLOBAL__N_18offset_tEEE10hipError_tPvRmT1_PNSt15iterator_traitsISY_E10value_typeET2_T3_PNSZ_IS14_E10value_typeET4_jRbjT5_S1A_jjP12ihipStream_tbEUljE_EEESV_SW_SX_S14_S18_S1A_T6_T7_T9_mT8_S1C_bDpT10_ENKUlT_T0_E_clISt17integral_constantIbLb0EES1P_EEDaS1K_S1L_EUlS1K_E_NS1_11comp_targetILNS1_3genE2ELNS1_11target_archE906ELNS1_3gpuE6ELNS1_3repE0EEENS1_30default_config_static_selectorELNS0_4arch9wavefront6targetE1EEEvSY_
                                        ; -- End function
	.set _ZN7rocprim17ROCPRIM_400000_NS6detail17trampoline_kernelINS0_13select_configILj256ELj13ELNS0_17block_load_methodE3ELS4_3ELS4_3ELNS0_20block_scan_algorithmE0ELj4294967295EEENS1_25partition_config_selectorILNS1_17partition_subalgoE3EjNS0_10empty_typeEbEEZZNS1_14partition_implILS8_3ELb0ES6_jNS0_17counting_iteratorIjlEEPS9_SE_NS0_5tupleIJPjSE_EEENSF_IJSE_SE_EEES9_SG_JZNS1_25segmented_radix_sort_implINS0_14default_configELb0EPKhPhPKlPlN2at6native12_GLOBAL__N_18offset_tEEE10hipError_tPvRmT1_PNSt15iterator_traitsISY_E10value_typeET2_T3_PNSZ_IS14_E10value_typeET4_jRbjT5_S1A_jjP12ihipStream_tbEUljE_EEESV_SW_SX_S14_S18_S1A_T6_T7_T9_mT8_S1C_bDpT10_ENKUlT_T0_E_clISt17integral_constantIbLb0EES1P_EEDaS1K_S1L_EUlS1K_E_NS1_11comp_targetILNS1_3genE2ELNS1_11target_archE906ELNS1_3gpuE6ELNS1_3repE0EEENS1_30default_config_static_selectorELNS0_4arch9wavefront6targetE1EEEvSY_.num_vgpr, 69
	.set _ZN7rocprim17ROCPRIM_400000_NS6detail17trampoline_kernelINS0_13select_configILj256ELj13ELNS0_17block_load_methodE3ELS4_3ELS4_3ELNS0_20block_scan_algorithmE0ELj4294967295EEENS1_25partition_config_selectorILNS1_17partition_subalgoE3EjNS0_10empty_typeEbEEZZNS1_14partition_implILS8_3ELb0ES6_jNS0_17counting_iteratorIjlEEPS9_SE_NS0_5tupleIJPjSE_EEENSF_IJSE_SE_EEES9_SG_JZNS1_25segmented_radix_sort_implINS0_14default_configELb0EPKhPhPKlPlN2at6native12_GLOBAL__N_18offset_tEEE10hipError_tPvRmT1_PNSt15iterator_traitsISY_E10value_typeET2_T3_PNSZ_IS14_E10value_typeET4_jRbjT5_S1A_jjP12ihipStream_tbEUljE_EEESV_SW_SX_S14_S18_S1A_T6_T7_T9_mT8_S1C_bDpT10_ENKUlT_T0_E_clISt17integral_constantIbLb0EES1P_EEDaS1K_S1L_EUlS1K_E_NS1_11comp_targetILNS1_3genE2ELNS1_11target_archE906ELNS1_3gpuE6ELNS1_3repE0EEENS1_30default_config_static_selectorELNS0_4arch9wavefront6targetE1EEEvSY_.num_agpr, 0
	.set _ZN7rocprim17ROCPRIM_400000_NS6detail17trampoline_kernelINS0_13select_configILj256ELj13ELNS0_17block_load_methodE3ELS4_3ELS4_3ELNS0_20block_scan_algorithmE0ELj4294967295EEENS1_25partition_config_selectorILNS1_17partition_subalgoE3EjNS0_10empty_typeEbEEZZNS1_14partition_implILS8_3ELb0ES6_jNS0_17counting_iteratorIjlEEPS9_SE_NS0_5tupleIJPjSE_EEENSF_IJSE_SE_EEES9_SG_JZNS1_25segmented_radix_sort_implINS0_14default_configELb0EPKhPhPKlPlN2at6native12_GLOBAL__N_18offset_tEEE10hipError_tPvRmT1_PNSt15iterator_traitsISY_E10value_typeET2_T3_PNSZ_IS14_E10value_typeET4_jRbjT5_S1A_jjP12ihipStream_tbEUljE_EEESV_SW_SX_S14_S18_S1A_T6_T7_T9_mT8_S1C_bDpT10_ENKUlT_T0_E_clISt17integral_constantIbLb0EES1P_EEDaS1K_S1L_EUlS1K_E_NS1_11comp_targetILNS1_3genE2ELNS1_11target_archE906ELNS1_3gpuE6ELNS1_3repE0EEENS1_30default_config_static_selectorELNS0_4arch9wavefront6targetE1EEEvSY_.numbered_sgpr, 48
	.set _ZN7rocprim17ROCPRIM_400000_NS6detail17trampoline_kernelINS0_13select_configILj256ELj13ELNS0_17block_load_methodE3ELS4_3ELS4_3ELNS0_20block_scan_algorithmE0ELj4294967295EEENS1_25partition_config_selectorILNS1_17partition_subalgoE3EjNS0_10empty_typeEbEEZZNS1_14partition_implILS8_3ELb0ES6_jNS0_17counting_iteratorIjlEEPS9_SE_NS0_5tupleIJPjSE_EEENSF_IJSE_SE_EEES9_SG_JZNS1_25segmented_radix_sort_implINS0_14default_configELb0EPKhPhPKlPlN2at6native12_GLOBAL__N_18offset_tEEE10hipError_tPvRmT1_PNSt15iterator_traitsISY_E10value_typeET2_T3_PNSZ_IS14_E10value_typeET4_jRbjT5_S1A_jjP12ihipStream_tbEUljE_EEESV_SW_SX_S14_S18_S1A_T6_T7_T9_mT8_S1C_bDpT10_ENKUlT_T0_E_clISt17integral_constantIbLb0EES1P_EEDaS1K_S1L_EUlS1K_E_NS1_11comp_targetILNS1_3genE2ELNS1_11target_archE906ELNS1_3gpuE6ELNS1_3repE0EEENS1_30default_config_static_selectorELNS0_4arch9wavefront6targetE1EEEvSY_.num_named_barrier, 0
	.set _ZN7rocprim17ROCPRIM_400000_NS6detail17trampoline_kernelINS0_13select_configILj256ELj13ELNS0_17block_load_methodE3ELS4_3ELS4_3ELNS0_20block_scan_algorithmE0ELj4294967295EEENS1_25partition_config_selectorILNS1_17partition_subalgoE3EjNS0_10empty_typeEbEEZZNS1_14partition_implILS8_3ELb0ES6_jNS0_17counting_iteratorIjlEEPS9_SE_NS0_5tupleIJPjSE_EEENSF_IJSE_SE_EEES9_SG_JZNS1_25segmented_radix_sort_implINS0_14default_configELb0EPKhPhPKlPlN2at6native12_GLOBAL__N_18offset_tEEE10hipError_tPvRmT1_PNSt15iterator_traitsISY_E10value_typeET2_T3_PNSZ_IS14_E10value_typeET4_jRbjT5_S1A_jjP12ihipStream_tbEUljE_EEESV_SW_SX_S14_S18_S1A_T6_T7_T9_mT8_S1C_bDpT10_ENKUlT_T0_E_clISt17integral_constantIbLb0EES1P_EEDaS1K_S1L_EUlS1K_E_NS1_11comp_targetILNS1_3genE2ELNS1_11target_archE906ELNS1_3gpuE6ELNS1_3repE0EEENS1_30default_config_static_selectorELNS0_4arch9wavefront6targetE1EEEvSY_.private_seg_size, 0
	.set _ZN7rocprim17ROCPRIM_400000_NS6detail17trampoline_kernelINS0_13select_configILj256ELj13ELNS0_17block_load_methodE3ELS4_3ELS4_3ELNS0_20block_scan_algorithmE0ELj4294967295EEENS1_25partition_config_selectorILNS1_17partition_subalgoE3EjNS0_10empty_typeEbEEZZNS1_14partition_implILS8_3ELb0ES6_jNS0_17counting_iteratorIjlEEPS9_SE_NS0_5tupleIJPjSE_EEENSF_IJSE_SE_EEES9_SG_JZNS1_25segmented_radix_sort_implINS0_14default_configELb0EPKhPhPKlPlN2at6native12_GLOBAL__N_18offset_tEEE10hipError_tPvRmT1_PNSt15iterator_traitsISY_E10value_typeET2_T3_PNSZ_IS14_E10value_typeET4_jRbjT5_S1A_jjP12ihipStream_tbEUljE_EEESV_SW_SX_S14_S18_S1A_T6_T7_T9_mT8_S1C_bDpT10_ENKUlT_T0_E_clISt17integral_constantIbLb0EES1P_EEDaS1K_S1L_EUlS1K_E_NS1_11comp_targetILNS1_3genE2ELNS1_11target_archE906ELNS1_3gpuE6ELNS1_3repE0EEENS1_30default_config_static_selectorELNS0_4arch9wavefront6targetE1EEEvSY_.uses_vcc, 1
	.set _ZN7rocprim17ROCPRIM_400000_NS6detail17trampoline_kernelINS0_13select_configILj256ELj13ELNS0_17block_load_methodE3ELS4_3ELS4_3ELNS0_20block_scan_algorithmE0ELj4294967295EEENS1_25partition_config_selectorILNS1_17partition_subalgoE3EjNS0_10empty_typeEbEEZZNS1_14partition_implILS8_3ELb0ES6_jNS0_17counting_iteratorIjlEEPS9_SE_NS0_5tupleIJPjSE_EEENSF_IJSE_SE_EEES9_SG_JZNS1_25segmented_radix_sort_implINS0_14default_configELb0EPKhPhPKlPlN2at6native12_GLOBAL__N_18offset_tEEE10hipError_tPvRmT1_PNSt15iterator_traitsISY_E10value_typeET2_T3_PNSZ_IS14_E10value_typeET4_jRbjT5_S1A_jjP12ihipStream_tbEUljE_EEESV_SW_SX_S14_S18_S1A_T6_T7_T9_mT8_S1C_bDpT10_ENKUlT_T0_E_clISt17integral_constantIbLb0EES1P_EEDaS1K_S1L_EUlS1K_E_NS1_11comp_targetILNS1_3genE2ELNS1_11target_archE906ELNS1_3gpuE6ELNS1_3repE0EEENS1_30default_config_static_selectorELNS0_4arch9wavefront6targetE1EEEvSY_.uses_flat_scratch, 0
	.set _ZN7rocprim17ROCPRIM_400000_NS6detail17trampoline_kernelINS0_13select_configILj256ELj13ELNS0_17block_load_methodE3ELS4_3ELS4_3ELNS0_20block_scan_algorithmE0ELj4294967295EEENS1_25partition_config_selectorILNS1_17partition_subalgoE3EjNS0_10empty_typeEbEEZZNS1_14partition_implILS8_3ELb0ES6_jNS0_17counting_iteratorIjlEEPS9_SE_NS0_5tupleIJPjSE_EEENSF_IJSE_SE_EEES9_SG_JZNS1_25segmented_radix_sort_implINS0_14default_configELb0EPKhPhPKlPlN2at6native12_GLOBAL__N_18offset_tEEE10hipError_tPvRmT1_PNSt15iterator_traitsISY_E10value_typeET2_T3_PNSZ_IS14_E10value_typeET4_jRbjT5_S1A_jjP12ihipStream_tbEUljE_EEESV_SW_SX_S14_S18_S1A_T6_T7_T9_mT8_S1C_bDpT10_ENKUlT_T0_E_clISt17integral_constantIbLb0EES1P_EEDaS1K_S1L_EUlS1K_E_NS1_11comp_targetILNS1_3genE2ELNS1_11target_archE906ELNS1_3gpuE6ELNS1_3repE0EEENS1_30default_config_static_selectorELNS0_4arch9wavefront6targetE1EEEvSY_.has_dyn_sized_stack, 0
	.set _ZN7rocprim17ROCPRIM_400000_NS6detail17trampoline_kernelINS0_13select_configILj256ELj13ELNS0_17block_load_methodE3ELS4_3ELS4_3ELNS0_20block_scan_algorithmE0ELj4294967295EEENS1_25partition_config_selectorILNS1_17partition_subalgoE3EjNS0_10empty_typeEbEEZZNS1_14partition_implILS8_3ELb0ES6_jNS0_17counting_iteratorIjlEEPS9_SE_NS0_5tupleIJPjSE_EEENSF_IJSE_SE_EEES9_SG_JZNS1_25segmented_radix_sort_implINS0_14default_configELb0EPKhPhPKlPlN2at6native12_GLOBAL__N_18offset_tEEE10hipError_tPvRmT1_PNSt15iterator_traitsISY_E10value_typeET2_T3_PNSZ_IS14_E10value_typeET4_jRbjT5_S1A_jjP12ihipStream_tbEUljE_EEESV_SW_SX_S14_S18_S1A_T6_T7_T9_mT8_S1C_bDpT10_ENKUlT_T0_E_clISt17integral_constantIbLb0EES1P_EEDaS1K_S1L_EUlS1K_E_NS1_11comp_targetILNS1_3genE2ELNS1_11target_archE906ELNS1_3gpuE6ELNS1_3repE0EEENS1_30default_config_static_selectorELNS0_4arch9wavefront6targetE1EEEvSY_.has_recursion, 0
	.set _ZN7rocprim17ROCPRIM_400000_NS6detail17trampoline_kernelINS0_13select_configILj256ELj13ELNS0_17block_load_methodE3ELS4_3ELS4_3ELNS0_20block_scan_algorithmE0ELj4294967295EEENS1_25partition_config_selectorILNS1_17partition_subalgoE3EjNS0_10empty_typeEbEEZZNS1_14partition_implILS8_3ELb0ES6_jNS0_17counting_iteratorIjlEEPS9_SE_NS0_5tupleIJPjSE_EEENSF_IJSE_SE_EEES9_SG_JZNS1_25segmented_radix_sort_implINS0_14default_configELb0EPKhPhPKlPlN2at6native12_GLOBAL__N_18offset_tEEE10hipError_tPvRmT1_PNSt15iterator_traitsISY_E10value_typeET2_T3_PNSZ_IS14_E10value_typeET4_jRbjT5_S1A_jjP12ihipStream_tbEUljE_EEESV_SW_SX_S14_S18_S1A_T6_T7_T9_mT8_S1C_bDpT10_ENKUlT_T0_E_clISt17integral_constantIbLb0EES1P_EEDaS1K_S1L_EUlS1K_E_NS1_11comp_targetILNS1_3genE2ELNS1_11target_archE906ELNS1_3gpuE6ELNS1_3repE0EEENS1_30default_config_static_selectorELNS0_4arch9wavefront6targetE1EEEvSY_.has_indirect_call, 0
	.section	.AMDGPU.csdata,"",@progbits
; Kernel info:
; codeLenInByte = 7612
; TotalNumSgprs: 52
; NumVgprs: 69
; ScratchSize: 0
; MemoryBound: 0
; FloatMode: 240
; IeeeMode: 1
; LDSByteSize: 13320 bytes/workgroup (compile time only)
; SGPRBlocks: 12
; VGPRBlocks: 17
; NumSGPRsForWavesPerEU: 102
; NumVGPRsForWavesPerEU: 69
; Occupancy: 3
; WaveLimiterHint : 0
; COMPUTE_PGM_RSRC2:SCRATCH_EN: 0
; COMPUTE_PGM_RSRC2:USER_SGPR: 6
; COMPUTE_PGM_RSRC2:TRAP_HANDLER: 0
; COMPUTE_PGM_RSRC2:TGID_X_EN: 1
; COMPUTE_PGM_RSRC2:TGID_Y_EN: 0
; COMPUTE_PGM_RSRC2:TGID_Z_EN: 0
; COMPUTE_PGM_RSRC2:TIDIG_COMP_CNT: 0
	.section	.text._ZN7rocprim17ROCPRIM_400000_NS6detail17trampoline_kernelINS0_13select_configILj256ELj13ELNS0_17block_load_methodE3ELS4_3ELS4_3ELNS0_20block_scan_algorithmE0ELj4294967295EEENS1_25partition_config_selectorILNS1_17partition_subalgoE3EjNS0_10empty_typeEbEEZZNS1_14partition_implILS8_3ELb0ES6_jNS0_17counting_iteratorIjlEEPS9_SE_NS0_5tupleIJPjSE_EEENSF_IJSE_SE_EEES9_SG_JZNS1_25segmented_radix_sort_implINS0_14default_configELb0EPKhPhPKlPlN2at6native12_GLOBAL__N_18offset_tEEE10hipError_tPvRmT1_PNSt15iterator_traitsISY_E10value_typeET2_T3_PNSZ_IS14_E10value_typeET4_jRbjT5_S1A_jjP12ihipStream_tbEUljE_EEESV_SW_SX_S14_S18_S1A_T6_T7_T9_mT8_S1C_bDpT10_ENKUlT_T0_E_clISt17integral_constantIbLb0EES1P_EEDaS1K_S1L_EUlS1K_E_NS1_11comp_targetILNS1_3genE10ELNS1_11target_archE1200ELNS1_3gpuE4ELNS1_3repE0EEENS1_30default_config_static_selectorELNS0_4arch9wavefront6targetE1EEEvSY_,"axG",@progbits,_ZN7rocprim17ROCPRIM_400000_NS6detail17trampoline_kernelINS0_13select_configILj256ELj13ELNS0_17block_load_methodE3ELS4_3ELS4_3ELNS0_20block_scan_algorithmE0ELj4294967295EEENS1_25partition_config_selectorILNS1_17partition_subalgoE3EjNS0_10empty_typeEbEEZZNS1_14partition_implILS8_3ELb0ES6_jNS0_17counting_iteratorIjlEEPS9_SE_NS0_5tupleIJPjSE_EEENSF_IJSE_SE_EEES9_SG_JZNS1_25segmented_radix_sort_implINS0_14default_configELb0EPKhPhPKlPlN2at6native12_GLOBAL__N_18offset_tEEE10hipError_tPvRmT1_PNSt15iterator_traitsISY_E10value_typeET2_T3_PNSZ_IS14_E10value_typeET4_jRbjT5_S1A_jjP12ihipStream_tbEUljE_EEESV_SW_SX_S14_S18_S1A_T6_T7_T9_mT8_S1C_bDpT10_ENKUlT_T0_E_clISt17integral_constantIbLb0EES1P_EEDaS1K_S1L_EUlS1K_E_NS1_11comp_targetILNS1_3genE10ELNS1_11target_archE1200ELNS1_3gpuE4ELNS1_3repE0EEENS1_30default_config_static_selectorELNS0_4arch9wavefront6targetE1EEEvSY_,comdat
	.globl	_ZN7rocprim17ROCPRIM_400000_NS6detail17trampoline_kernelINS0_13select_configILj256ELj13ELNS0_17block_load_methodE3ELS4_3ELS4_3ELNS0_20block_scan_algorithmE0ELj4294967295EEENS1_25partition_config_selectorILNS1_17partition_subalgoE3EjNS0_10empty_typeEbEEZZNS1_14partition_implILS8_3ELb0ES6_jNS0_17counting_iteratorIjlEEPS9_SE_NS0_5tupleIJPjSE_EEENSF_IJSE_SE_EEES9_SG_JZNS1_25segmented_radix_sort_implINS0_14default_configELb0EPKhPhPKlPlN2at6native12_GLOBAL__N_18offset_tEEE10hipError_tPvRmT1_PNSt15iterator_traitsISY_E10value_typeET2_T3_PNSZ_IS14_E10value_typeET4_jRbjT5_S1A_jjP12ihipStream_tbEUljE_EEESV_SW_SX_S14_S18_S1A_T6_T7_T9_mT8_S1C_bDpT10_ENKUlT_T0_E_clISt17integral_constantIbLb0EES1P_EEDaS1K_S1L_EUlS1K_E_NS1_11comp_targetILNS1_3genE10ELNS1_11target_archE1200ELNS1_3gpuE4ELNS1_3repE0EEENS1_30default_config_static_selectorELNS0_4arch9wavefront6targetE1EEEvSY_ ; -- Begin function _ZN7rocprim17ROCPRIM_400000_NS6detail17trampoline_kernelINS0_13select_configILj256ELj13ELNS0_17block_load_methodE3ELS4_3ELS4_3ELNS0_20block_scan_algorithmE0ELj4294967295EEENS1_25partition_config_selectorILNS1_17partition_subalgoE3EjNS0_10empty_typeEbEEZZNS1_14partition_implILS8_3ELb0ES6_jNS0_17counting_iteratorIjlEEPS9_SE_NS0_5tupleIJPjSE_EEENSF_IJSE_SE_EEES9_SG_JZNS1_25segmented_radix_sort_implINS0_14default_configELb0EPKhPhPKlPlN2at6native12_GLOBAL__N_18offset_tEEE10hipError_tPvRmT1_PNSt15iterator_traitsISY_E10value_typeET2_T3_PNSZ_IS14_E10value_typeET4_jRbjT5_S1A_jjP12ihipStream_tbEUljE_EEESV_SW_SX_S14_S18_S1A_T6_T7_T9_mT8_S1C_bDpT10_ENKUlT_T0_E_clISt17integral_constantIbLb0EES1P_EEDaS1K_S1L_EUlS1K_E_NS1_11comp_targetILNS1_3genE10ELNS1_11target_archE1200ELNS1_3gpuE4ELNS1_3repE0EEENS1_30default_config_static_selectorELNS0_4arch9wavefront6targetE1EEEvSY_
	.p2align	8
	.type	_ZN7rocprim17ROCPRIM_400000_NS6detail17trampoline_kernelINS0_13select_configILj256ELj13ELNS0_17block_load_methodE3ELS4_3ELS4_3ELNS0_20block_scan_algorithmE0ELj4294967295EEENS1_25partition_config_selectorILNS1_17partition_subalgoE3EjNS0_10empty_typeEbEEZZNS1_14partition_implILS8_3ELb0ES6_jNS0_17counting_iteratorIjlEEPS9_SE_NS0_5tupleIJPjSE_EEENSF_IJSE_SE_EEES9_SG_JZNS1_25segmented_radix_sort_implINS0_14default_configELb0EPKhPhPKlPlN2at6native12_GLOBAL__N_18offset_tEEE10hipError_tPvRmT1_PNSt15iterator_traitsISY_E10value_typeET2_T3_PNSZ_IS14_E10value_typeET4_jRbjT5_S1A_jjP12ihipStream_tbEUljE_EEESV_SW_SX_S14_S18_S1A_T6_T7_T9_mT8_S1C_bDpT10_ENKUlT_T0_E_clISt17integral_constantIbLb0EES1P_EEDaS1K_S1L_EUlS1K_E_NS1_11comp_targetILNS1_3genE10ELNS1_11target_archE1200ELNS1_3gpuE4ELNS1_3repE0EEENS1_30default_config_static_selectorELNS0_4arch9wavefront6targetE1EEEvSY_,@function
_ZN7rocprim17ROCPRIM_400000_NS6detail17trampoline_kernelINS0_13select_configILj256ELj13ELNS0_17block_load_methodE3ELS4_3ELS4_3ELNS0_20block_scan_algorithmE0ELj4294967295EEENS1_25partition_config_selectorILNS1_17partition_subalgoE3EjNS0_10empty_typeEbEEZZNS1_14partition_implILS8_3ELb0ES6_jNS0_17counting_iteratorIjlEEPS9_SE_NS0_5tupleIJPjSE_EEENSF_IJSE_SE_EEES9_SG_JZNS1_25segmented_radix_sort_implINS0_14default_configELb0EPKhPhPKlPlN2at6native12_GLOBAL__N_18offset_tEEE10hipError_tPvRmT1_PNSt15iterator_traitsISY_E10value_typeET2_T3_PNSZ_IS14_E10value_typeET4_jRbjT5_S1A_jjP12ihipStream_tbEUljE_EEESV_SW_SX_S14_S18_S1A_T6_T7_T9_mT8_S1C_bDpT10_ENKUlT_T0_E_clISt17integral_constantIbLb0EES1P_EEDaS1K_S1L_EUlS1K_E_NS1_11comp_targetILNS1_3genE10ELNS1_11target_archE1200ELNS1_3gpuE4ELNS1_3repE0EEENS1_30default_config_static_selectorELNS0_4arch9wavefront6targetE1EEEvSY_: ; @_ZN7rocprim17ROCPRIM_400000_NS6detail17trampoline_kernelINS0_13select_configILj256ELj13ELNS0_17block_load_methodE3ELS4_3ELS4_3ELNS0_20block_scan_algorithmE0ELj4294967295EEENS1_25partition_config_selectorILNS1_17partition_subalgoE3EjNS0_10empty_typeEbEEZZNS1_14partition_implILS8_3ELb0ES6_jNS0_17counting_iteratorIjlEEPS9_SE_NS0_5tupleIJPjSE_EEENSF_IJSE_SE_EEES9_SG_JZNS1_25segmented_radix_sort_implINS0_14default_configELb0EPKhPhPKlPlN2at6native12_GLOBAL__N_18offset_tEEE10hipError_tPvRmT1_PNSt15iterator_traitsISY_E10value_typeET2_T3_PNSZ_IS14_E10value_typeET4_jRbjT5_S1A_jjP12ihipStream_tbEUljE_EEESV_SW_SX_S14_S18_S1A_T6_T7_T9_mT8_S1C_bDpT10_ENKUlT_T0_E_clISt17integral_constantIbLb0EES1P_EEDaS1K_S1L_EUlS1K_E_NS1_11comp_targetILNS1_3genE10ELNS1_11target_archE1200ELNS1_3gpuE4ELNS1_3repE0EEENS1_30default_config_static_selectorELNS0_4arch9wavefront6targetE1EEEvSY_
; %bb.0:
	.section	.rodata,"a",@progbits
	.p2align	6, 0x0
	.amdhsa_kernel _ZN7rocprim17ROCPRIM_400000_NS6detail17trampoline_kernelINS0_13select_configILj256ELj13ELNS0_17block_load_methodE3ELS4_3ELS4_3ELNS0_20block_scan_algorithmE0ELj4294967295EEENS1_25partition_config_selectorILNS1_17partition_subalgoE3EjNS0_10empty_typeEbEEZZNS1_14partition_implILS8_3ELb0ES6_jNS0_17counting_iteratorIjlEEPS9_SE_NS0_5tupleIJPjSE_EEENSF_IJSE_SE_EEES9_SG_JZNS1_25segmented_radix_sort_implINS0_14default_configELb0EPKhPhPKlPlN2at6native12_GLOBAL__N_18offset_tEEE10hipError_tPvRmT1_PNSt15iterator_traitsISY_E10value_typeET2_T3_PNSZ_IS14_E10value_typeET4_jRbjT5_S1A_jjP12ihipStream_tbEUljE_EEESV_SW_SX_S14_S18_S1A_T6_T7_T9_mT8_S1C_bDpT10_ENKUlT_T0_E_clISt17integral_constantIbLb0EES1P_EEDaS1K_S1L_EUlS1K_E_NS1_11comp_targetILNS1_3genE10ELNS1_11target_archE1200ELNS1_3gpuE4ELNS1_3repE0EEENS1_30default_config_static_selectorELNS0_4arch9wavefront6targetE1EEEvSY_
		.amdhsa_group_segment_fixed_size 0
		.amdhsa_private_segment_fixed_size 0
		.amdhsa_kernarg_size 144
		.amdhsa_user_sgpr_count 6
		.amdhsa_user_sgpr_private_segment_buffer 1
		.amdhsa_user_sgpr_dispatch_ptr 0
		.amdhsa_user_sgpr_queue_ptr 0
		.amdhsa_user_sgpr_kernarg_segment_ptr 1
		.amdhsa_user_sgpr_dispatch_id 0
		.amdhsa_user_sgpr_flat_scratch_init 0
		.amdhsa_user_sgpr_private_segment_size 0
		.amdhsa_uses_dynamic_stack 0
		.amdhsa_system_sgpr_private_segment_wavefront_offset 0
		.amdhsa_system_sgpr_workgroup_id_x 1
		.amdhsa_system_sgpr_workgroup_id_y 0
		.amdhsa_system_sgpr_workgroup_id_z 0
		.amdhsa_system_sgpr_workgroup_info 0
		.amdhsa_system_vgpr_workitem_id 0
		.amdhsa_next_free_vgpr 1
		.amdhsa_next_free_sgpr 0
		.amdhsa_reserve_vcc 0
		.amdhsa_reserve_flat_scratch 0
		.amdhsa_float_round_mode_32 0
		.amdhsa_float_round_mode_16_64 0
		.amdhsa_float_denorm_mode_32 3
		.amdhsa_float_denorm_mode_16_64 3
		.amdhsa_dx10_clamp 1
		.amdhsa_ieee_mode 1
		.amdhsa_fp16_overflow 0
		.amdhsa_exception_fp_ieee_invalid_op 0
		.amdhsa_exception_fp_denorm_src 0
		.amdhsa_exception_fp_ieee_div_zero 0
		.amdhsa_exception_fp_ieee_overflow 0
		.amdhsa_exception_fp_ieee_underflow 0
		.amdhsa_exception_fp_ieee_inexact 0
		.amdhsa_exception_int_div_zero 0
	.end_amdhsa_kernel
	.section	.text._ZN7rocprim17ROCPRIM_400000_NS6detail17trampoline_kernelINS0_13select_configILj256ELj13ELNS0_17block_load_methodE3ELS4_3ELS4_3ELNS0_20block_scan_algorithmE0ELj4294967295EEENS1_25partition_config_selectorILNS1_17partition_subalgoE3EjNS0_10empty_typeEbEEZZNS1_14partition_implILS8_3ELb0ES6_jNS0_17counting_iteratorIjlEEPS9_SE_NS0_5tupleIJPjSE_EEENSF_IJSE_SE_EEES9_SG_JZNS1_25segmented_radix_sort_implINS0_14default_configELb0EPKhPhPKlPlN2at6native12_GLOBAL__N_18offset_tEEE10hipError_tPvRmT1_PNSt15iterator_traitsISY_E10value_typeET2_T3_PNSZ_IS14_E10value_typeET4_jRbjT5_S1A_jjP12ihipStream_tbEUljE_EEESV_SW_SX_S14_S18_S1A_T6_T7_T9_mT8_S1C_bDpT10_ENKUlT_T0_E_clISt17integral_constantIbLb0EES1P_EEDaS1K_S1L_EUlS1K_E_NS1_11comp_targetILNS1_3genE10ELNS1_11target_archE1200ELNS1_3gpuE4ELNS1_3repE0EEENS1_30default_config_static_selectorELNS0_4arch9wavefront6targetE1EEEvSY_,"axG",@progbits,_ZN7rocprim17ROCPRIM_400000_NS6detail17trampoline_kernelINS0_13select_configILj256ELj13ELNS0_17block_load_methodE3ELS4_3ELS4_3ELNS0_20block_scan_algorithmE0ELj4294967295EEENS1_25partition_config_selectorILNS1_17partition_subalgoE3EjNS0_10empty_typeEbEEZZNS1_14partition_implILS8_3ELb0ES6_jNS0_17counting_iteratorIjlEEPS9_SE_NS0_5tupleIJPjSE_EEENSF_IJSE_SE_EEES9_SG_JZNS1_25segmented_radix_sort_implINS0_14default_configELb0EPKhPhPKlPlN2at6native12_GLOBAL__N_18offset_tEEE10hipError_tPvRmT1_PNSt15iterator_traitsISY_E10value_typeET2_T3_PNSZ_IS14_E10value_typeET4_jRbjT5_S1A_jjP12ihipStream_tbEUljE_EEESV_SW_SX_S14_S18_S1A_T6_T7_T9_mT8_S1C_bDpT10_ENKUlT_T0_E_clISt17integral_constantIbLb0EES1P_EEDaS1K_S1L_EUlS1K_E_NS1_11comp_targetILNS1_3genE10ELNS1_11target_archE1200ELNS1_3gpuE4ELNS1_3repE0EEENS1_30default_config_static_selectorELNS0_4arch9wavefront6targetE1EEEvSY_,comdat
.Lfunc_end159:
	.size	_ZN7rocprim17ROCPRIM_400000_NS6detail17trampoline_kernelINS0_13select_configILj256ELj13ELNS0_17block_load_methodE3ELS4_3ELS4_3ELNS0_20block_scan_algorithmE0ELj4294967295EEENS1_25partition_config_selectorILNS1_17partition_subalgoE3EjNS0_10empty_typeEbEEZZNS1_14partition_implILS8_3ELb0ES6_jNS0_17counting_iteratorIjlEEPS9_SE_NS0_5tupleIJPjSE_EEENSF_IJSE_SE_EEES9_SG_JZNS1_25segmented_radix_sort_implINS0_14default_configELb0EPKhPhPKlPlN2at6native12_GLOBAL__N_18offset_tEEE10hipError_tPvRmT1_PNSt15iterator_traitsISY_E10value_typeET2_T3_PNSZ_IS14_E10value_typeET4_jRbjT5_S1A_jjP12ihipStream_tbEUljE_EEESV_SW_SX_S14_S18_S1A_T6_T7_T9_mT8_S1C_bDpT10_ENKUlT_T0_E_clISt17integral_constantIbLb0EES1P_EEDaS1K_S1L_EUlS1K_E_NS1_11comp_targetILNS1_3genE10ELNS1_11target_archE1200ELNS1_3gpuE4ELNS1_3repE0EEENS1_30default_config_static_selectorELNS0_4arch9wavefront6targetE1EEEvSY_, .Lfunc_end159-_ZN7rocprim17ROCPRIM_400000_NS6detail17trampoline_kernelINS0_13select_configILj256ELj13ELNS0_17block_load_methodE3ELS4_3ELS4_3ELNS0_20block_scan_algorithmE0ELj4294967295EEENS1_25partition_config_selectorILNS1_17partition_subalgoE3EjNS0_10empty_typeEbEEZZNS1_14partition_implILS8_3ELb0ES6_jNS0_17counting_iteratorIjlEEPS9_SE_NS0_5tupleIJPjSE_EEENSF_IJSE_SE_EEES9_SG_JZNS1_25segmented_radix_sort_implINS0_14default_configELb0EPKhPhPKlPlN2at6native12_GLOBAL__N_18offset_tEEE10hipError_tPvRmT1_PNSt15iterator_traitsISY_E10value_typeET2_T3_PNSZ_IS14_E10value_typeET4_jRbjT5_S1A_jjP12ihipStream_tbEUljE_EEESV_SW_SX_S14_S18_S1A_T6_T7_T9_mT8_S1C_bDpT10_ENKUlT_T0_E_clISt17integral_constantIbLb0EES1P_EEDaS1K_S1L_EUlS1K_E_NS1_11comp_targetILNS1_3genE10ELNS1_11target_archE1200ELNS1_3gpuE4ELNS1_3repE0EEENS1_30default_config_static_selectorELNS0_4arch9wavefront6targetE1EEEvSY_
                                        ; -- End function
	.set _ZN7rocprim17ROCPRIM_400000_NS6detail17trampoline_kernelINS0_13select_configILj256ELj13ELNS0_17block_load_methodE3ELS4_3ELS4_3ELNS0_20block_scan_algorithmE0ELj4294967295EEENS1_25partition_config_selectorILNS1_17partition_subalgoE3EjNS0_10empty_typeEbEEZZNS1_14partition_implILS8_3ELb0ES6_jNS0_17counting_iteratorIjlEEPS9_SE_NS0_5tupleIJPjSE_EEENSF_IJSE_SE_EEES9_SG_JZNS1_25segmented_radix_sort_implINS0_14default_configELb0EPKhPhPKlPlN2at6native12_GLOBAL__N_18offset_tEEE10hipError_tPvRmT1_PNSt15iterator_traitsISY_E10value_typeET2_T3_PNSZ_IS14_E10value_typeET4_jRbjT5_S1A_jjP12ihipStream_tbEUljE_EEESV_SW_SX_S14_S18_S1A_T6_T7_T9_mT8_S1C_bDpT10_ENKUlT_T0_E_clISt17integral_constantIbLb0EES1P_EEDaS1K_S1L_EUlS1K_E_NS1_11comp_targetILNS1_3genE10ELNS1_11target_archE1200ELNS1_3gpuE4ELNS1_3repE0EEENS1_30default_config_static_selectorELNS0_4arch9wavefront6targetE1EEEvSY_.num_vgpr, 0
	.set _ZN7rocprim17ROCPRIM_400000_NS6detail17trampoline_kernelINS0_13select_configILj256ELj13ELNS0_17block_load_methodE3ELS4_3ELS4_3ELNS0_20block_scan_algorithmE0ELj4294967295EEENS1_25partition_config_selectorILNS1_17partition_subalgoE3EjNS0_10empty_typeEbEEZZNS1_14partition_implILS8_3ELb0ES6_jNS0_17counting_iteratorIjlEEPS9_SE_NS0_5tupleIJPjSE_EEENSF_IJSE_SE_EEES9_SG_JZNS1_25segmented_radix_sort_implINS0_14default_configELb0EPKhPhPKlPlN2at6native12_GLOBAL__N_18offset_tEEE10hipError_tPvRmT1_PNSt15iterator_traitsISY_E10value_typeET2_T3_PNSZ_IS14_E10value_typeET4_jRbjT5_S1A_jjP12ihipStream_tbEUljE_EEESV_SW_SX_S14_S18_S1A_T6_T7_T9_mT8_S1C_bDpT10_ENKUlT_T0_E_clISt17integral_constantIbLb0EES1P_EEDaS1K_S1L_EUlS1K_E_NS1_11comp_targetILNS1_3genE10ELNS1_11target_archE1200ELNS1_3gpuE4ELNS1_3repE0EEENS1_30default_config_static_selectorELNS0_4arch9wavefront6targetE1EEEvSY_.num_agpr, 0
	.set _ZN7rocprim17ROCPRIM_400000_NS6detail17trampoline_kernelINS0_13select_configILj256ELj13ELNS0_17block_load_methodE3ELS4_3ELS4_3ELNS0_20block_scan_algorithmE0ELj4294967295EEENS1_25partition_config_selectorILNS1_17partition_subalgoE3EjNS0_10empty_typeEbEEZZNS1_14partition_implILS8_3ELb0ES6_jNS0_17counting_iteratorIjlEEPS9_SE_NS0_5tupleIJPjSE_EEENSF_IJSE_SE_EEES9_SG_JZNS1_25segmented_radix_sort_implINS0_14default_configELb0EPKhPhPKlPlN2at6native12_GLOBAL__N_18offset_tEEE10hipError_tPvRmT1_PNSt15iterator_traitsISY_E10value_typeET2_T3_PNSZ_IS14_E10value_typeET4_jRbjT5_S1A_jjP12ihipStream_tbEUljE_EEESV_SW_SX_S14_S18_S1A_T6_T7_T9_mT8_S1C_bDpT10_ENKUlT_T0_E_clISt17integral_constantIbLb0EES1P_EEDaS1K_S1L_EUlS1K_E_NS1_11comp_targetILNS1_3genE10ELNS1_11target_archE1200ELNS1_3gpuE4ELNS1_3repE0EEENS1_30default_config_static_selectorELNS0_4arch9wavefront6targetE1EEEvSY_.numbered_sgpr, 0
	.set _ZN7rocprim17ROCPRIM_400000_NS6detail17trampoline_kernelINS0_13select_configILj256ELj13ELNS0_17block_load_methodE3ELS4_3ELS4_3ELNS0_20block_scan_algorithmE0ELj4294967295EEENS1_25partition_config_selectorILNS1_17partition_subalgoE3EjNS0_10empty_typeEbEEZZNS1_14partition_implILS8_3ELb0ES6_jNS0_17counting_iteratorIjlEEPS9_SE_NS0_5tupleIJPjSE_EEENSF_IJSE_SE_EEES9_SG_JZNS1_25segmented_radix_sort_implINS0_14default_configELb0EPKhPhPKlPlN2at6native12_GLOBAL__N_18offset_tEEE10hipError_tPvRmT1_PNSt15iterator_traitsISY_E10value_typeET2_T3_PNSZ_IS14_E10value_typeET4_jRbjT5_S1A_jjP12ihipStream_tbEUljE_EEESV_SW_SX_S14_S18_S1A_T6_T7_T9_mT8_S1C_bDpT10_ENKUlT_T0_E_clISt17integral_constantIbLb0EES1P_EEDaS1K_S1L_EUlS1K_E_NS1_11comp_targetILNS1_3genE10ELNS1_11target_archE1200ELNS1_3gpuE4ELNS1_3repE0EEENS1_30default_config_static_selectorELNS0_4arch9wavefront6targetE1EEEvSY_.num_named_barrier, 0
	.set _ZN7rocprim17ROCPRIM_400000_NS6detail17trampoline_kernelINS0_13select_configILj256ELj13ELNS0_17block_load_methodE3ELS4_3ELS4_3ELNS0_20block_scan_algorithmE0ELj4294967295EEENS1_25partition_config_selectorILNS1_17partition_subalgoE3EjNS0_10empty_typeEbEEZZNS1_14partition_implILS8_3ELb0ES6_jNS0_17counting_iteratorIjlEEPS9_SE_NS0_5tupleIJPjSE_EEENSF_IJSE_SE_EEES9_SG_JZNS1_25segmented_radix_sort_implINS0_14default_configELb0EPKhPhPKlPlN2at6native12_GLOBAL__N_18offset_tEEE10hipError_tPvRmT1_PNSt15iterator_traitsISY_E10value_typeET2_T3_PNSZ_IS14_E10value_typeET4_jRbjT5_S1A_jjP12ihipStream_tbEUljE_EEESV_SW_SX_S14_S18_S1A_T6_T7_T9_mT8_S1C_bDpT10_ENKUlT_T0_E_clISt17integral_constantIbLb0EES1P_EEDaS1K_S1L_EUlS1K_E_NS1_11comp_targetILNS1_3genE10ELNS1_11target_archE1200ELNS1_3gpuE4ELNS1_3repE0EEENS1_30default_config_static_selectorELNS0_4arch9wavefront6targetE1EEEvSY_.private_seg_size, 0
	.set _ZN7rocprim17ROCPRIM_400000_NS6detail17trampoline_kernelINS0_13select_configILj256ELj13ELNS0_17block_load_methodE3ELS4_3ELS4_3ELNS0_20block_scan_algorithmE0ELj4294967295EEENS1_25partition_config_selectorILNS1_17partition_subalgoE3EjNS0_10empty_typeEbEEZZNS1_14partition_implILS8_3ELb0ES6_jNS0_17counting_iteratorIjlEEPS9_SE_NS0_5tupleIJPjSE_EEENSF_IJSE_SE_EEES9_SG_JZNS1_25segmented_radix_sort_implINS0_14default_configELb0EPKhPhPKlPlN2at6native12_GLOBAL__N_18offset_tEEE10hipError_tPvRmT1_PNSt15iterator_traitsISY_E10value_typeET2_T3_PNSZ_IS14_E10value_typeET4_jRbjT5_S1A_jjP12ihipStream_tbEUljE_EEESV_SW_SX_S14_S18_S1A_T6_T7_T9_mT8_S1C_bDpT10_ENKUlT_T0_E_clISt17integral_constantIbLb0EES1P_EEDaS1K_S1L_EUlS1K_E_NS1_11comp_targetILNS1_3genE10ELNS1_11target_archE1200ELNS1_3gpuE4ELNS1_3repE0EEENS1_30default_config_static_selectorELNS0_4arch9wavefront6targetE1EEEvSY_.uses_vcc, 0
	.set _ZN7rocprim17ROCPRIM_400000_NS6detail17trampoline_kernelINS0_13select_configILj256ELj13ELNS0_17block_load_methodE3ELS4_3ELS4_3ELNS0_20block_scan_algorithmE0ELj4294967295EEENS1_25partition_config_selectorILNS1_17partition_subalgoE3EjNS0_10empty_typeEbEEZZNS1_14partition_implILS8_3ELb0ES6_jNS0_17counting_iteratorIjlEEPS9_SE_NS0_5tupleIJPjSE_EEENSF_IJSE_SE_EEES9_SG_JZNS1_25segmented_radix_sort_implINS0_14default_configELb0EPKhPhPKlPlN2at6native12_GLOBAL__N_18offset_tEEE10hipError_tPvRmT1_PNSt15iterator_traitsISY_E10value_typeET2_T3_PNSZ_IS14_E10value_typeET4_jRbjT5_S1A_jjP12ihipStream_tbEUljE_EEESV_SW_SX_S14_S18_S1A_T6_T7_T9_mT8_S1C_bDpT10_ENKUlT_T0_E_clISt17integral_constantIbLb0EES1P_EEDaS1K_S1L_EUlS1K_E_NS1_11comp_targetILNS1_3genE10ELNS1_11target_archE1200ELNS1_3gpuE4ELNS1_3repE0EEENS1_30default_config_static_selectorELNS0_4arch9wavefront6targetE1EEEvSY_.uses_flat_scratch, 0
	.set _ZN7rocprim17ROCPRIM_400000_NS6detail17trampoline_kernelINS0_13select_configILj256ELj13ELNS0_17block_load_methodE3ELS4_3ELS4_3ELNS0_20block_scan_algorithmE0ELj4294967295EEENS1_25partition_config_selectorILNS1_17partition_subalgoE3EjNS0_10empty_typeEbEEZZNS1_14partition_implILS8_3ELb0ES6_jNS0_17counting_iteratorIjlEEPS9_SE_NS0_5tupleIJPjSE_EEENSF_IJSE_SE_EEES9_SG_JZNS1_25segmented_radix_sort_implINS0_14default_configELb0EPKhPhPKlPlN2at6native12_GLOBAL__N_18offset_tEEE10hipError_tPvRmT1_PNSt15iterator_traitsISY_E10value_typeET2_T3_PNSZ_IS14_E10value_typeET4_jRbjT5_S1A_jjP12ihipStream_tbEUljE_EEESV_SW_SX_S14_S18_S1A_T6_T7_T9_mT8_S1C_bDpT10_ENKUlT_T0_E_clISt17integral_constantIbLb0EES1P_EEDaS1K_S1L_EUlS1K_E_NS1_11comp_targetILNS1_3genE10ELNS1_11target_archE1200ELNS1_3gpuE4ELNS1_3repE0EEENS1_30default_config_static_selectorELNS0_4arch9wavefront6targetE1EEEvSY_.has_dyn_sized_stack, 0
	.set _ZN7rocprim17ROCPRIM_400000_NS6detail17trampoline_kernelINS0_13select_configILj256ELj13ELNS0_17block_load_methodE3ELS4_3ELS4_3ELNS0_20block_scan_algorithmE0ELj4294967295EEENS1_25partition_config_selectorILNS1_17partition_subalgoE3EjNS0_10empty_typeEbEEZZNS1_14partition_implILS8_3ELb0ES6_jNS0_17counting_iteratorIjlEEPS9_SE_NS0_5tupleIJPjSE_EEENSF_IJSE_SE_EEES9_SG_JZNS1_25segmented_radix_sort_implINS0_14default_configELb0EPKhPhPKlPlN2at6native12_GLOBAL__N_18offset_tEEE10hipError_tPvRmT1_PNSt15iterator_traitsISY_E10value_typeET2_T3_PNSZ_IS14_E10value_typeET4_jRbjT5_S1A_jjP12ihipStream_tbEUljE_EEESV_SW_SX_S14_S18_S1A_T6_T7_T9_mT8_S1C_bDpT10_ENKUlT_T0_E_clISt17integral_constantIbLb0EES1P_EEDaS1K_S1L_EUlS1K_E_NS1_11comp_targetILNS1_3genE10ELNS1_11target_archE1200ELNS1_3gpuE4ELNS1_3repE0EEENS1_30default_config_static_selectorELNS0_4arch9wavefront6targetE1EEEvSY_.has_recursion, 0
	.set _ZN7rocprim17ROCPRIM_400000_NS6detail17trampoline_kernelINS0_13select_configILj256ELj13ELNS0_17block_load_methodE3ELS4_3ELS4_3ELNS0_20block_scan_algorithmE0ELj4294967295EEENS1_25partition_config_selectorILNS1_17partition_subalgoE3EjNS0_10empty_typeEbEEZZNS1_14partition_implILS8_3ELb0ES6_jNS0_17counting_iteratorIjlEEPS9_SE_NS0_5tupleIJPjSE_EEENSF_IJSE_SE_EEES9_SG_JZNS1_25segmented_radix_sort_implINS0_14default_configELb0EPKhPhPKlPlN2at6native12_GLOBAL__N_18offset_tEEE10hipError_tPvRmT1_PNSt15iterator_traitsISY_E10value_typeET2_T3_PNSZ_IS14_E10value_typeET4_jRbjT5_S1A_jjP12ihipStream_tbEUljE_EEESV_SW_SX_S14_S18_S1A_T6_T7_T9_mT8_S1C_bDpT10_ENKUlT_T0_E_clISt17integral_constantIbLb0EES1P_EEDaS1K_S1L_EUlS1K_E_NS1_11comp_targetILNS1_3genE10ELNS1_11target_archE1200ELNS1_3gpuE4ELNS1_3repE0EEENS1_30default_config_static_selectorELNS0_4arch9wavefront6targetE1EEEvSY_.has_indirect_call, 0
	.section	.AMDGPU.csdata,"",@progbits
; Kernel info:
; codeLenInByte = 0
; TotalNumSgprs: 4
; NumVgprs: 0
; ScratchSize: 0
; MemoryBound: 0
; FloatMode: 240
; IeeeMode: 1
; LDSByteSize: 0 bytes/workgroup (compile time only)
; SGPRBlocks: 0
; VGPRBlocks: 0
; NumSGPRsForWavesPerEU: 4
; NumVGPRsForWavesPerEU: 1
; Occupancy: 10
; WaveLimiterHint : 0
; COMPUTE_PGM_RSRC2:SCRATCH_EN: 0
; COMPUTE_PGM_RSRC2:USER_SGPR: 6
; COMPUTE_PGM_RSRC2:TRAP_HANDLER: 0
; COMPUTE_PGM_RSRC2:TGID_X_EN: 1
; COMPUTE_PGM_RSRC2:TGID_Y_EN: 0
; COMPUTE_PGM_RSRC2:TGID_Z_EN: 0
; COMPUTE_PGM_RSRC2:TIDIG_COMP_CNT: 0
	.section	.text._ZN7rocprim17ROCPRIM_400000_NS6detail17trampoline_kernelINS0_13select_configILj256ELj13ELNS0_17block_load_methodE3ELS4_3ELS4_3ELNS0_20block_scan_algorithmE0ELj4294967295EEENS1_25partition_config_selectorILNS1_17partition_subalgoE3EjNS0_10empty_typeEbEEZZNS1_14partition_implILS8_3ELb0ES6_jNS0_17counting_iteratorIjlEEPS9_SE_NS0_5tupleIJPjSE_EEENSF_IJSE_SE_EEES9_SG_JZNS1_25segmented_radix_sort_implINS0_14default_configELb0EPKhPhPKlPlN2at6native12_GLOBAL__N_18offset_tEEE10hipError_tPvRmT1_PNSt15iterator_traitsISY_E10value_typeET2_T3_PNSZ_IS14_E10value_typeET4_jRbjT5_S1A_jjP12ihipStream_tbEUljE_EEESV_SW_SX_S14_S18_S1A_T6_T7_T9_mT8_S1C_bDpT10_ENKUlT_T0_E_clISt17integral_constantIbLb0EES1P_EEDaS1K_S1L_EUlS1K_E_NS1_11comp_targetILNS1_3genE9ELNS1_11target_archE1100ELNS1_3gpuE3ELNS1_3repE0EEENS1_30default_config_static_selectorELNS0_4arch9wavefront6targetE1EEEvSY_,"axG",@progbits,_ZN7rocprim17ROCPRIM_400000_NS6detail17trampoline_kernelINS0_13select_configILj256ELj13ELNS0_17block_load_methodE3ELS4_3ELS4_3ELNS0_20block_scan_algorithmE0ELj4294967295EEENS1_25partition_config_selectorILNS1_17partition_subalgoE3EjNS0_10empty_typeEbEEZZNS1_14partition_implILS8_3ELb0ES6_jNS0_17counting_iteratorIjlEEPS9_SE_NS0_5tupleIJPjSE_EEENSF_IJSE_SE_EEES9_SG_JZNS1_25segmented_radix_sort_implINS0_14default_configELb0EPKhPhPKlPlN2at6native12_GLOBAL__N_18offset_tEEE10hipError_tPvRmT1_PNSt15iterator_traitsISY_E10value_typeET2_T3_PNSZ_IS14_E10value_typeET4_jRbjT5_S1A_jjP12ihipStream_tbEUljE_EEESV_SW_SX_S14_S18_S1A_T6_T7_T9_mT8_S1C_bDpT10_ENKUlT_T0_E_clISt17integral_constantIbLb0EES1P_EEDaS1K_S1L_EUlS1K_E_NS1_11comp_targetILNS1_3genE9ELNS1_11target_archE1100ELNS1_3gpuE3ELNS1_3repE0EEENS1_30default_config_static_selectorELNS0_4arch9wavefront6targetE1EEEvSY_,comdat
	.globl	_ZN7rocprim17ROCPRIM_400000_NS6detail17trampoline_kernelINS0_13select_configILj256ELj13ELNS0_17block_load_methodE3ELS4_3ELS4_3ELNS0_20block_scan_algorithmE0ELj4294967295EEENS1_25partition_config_selectorILNS1_17partition_subalgoE3EjNS0_10empty_typeEbEEZZNS1_14partition_implILS8_3ELb0ES6_jNS0_17counting_iteratorIjlEEPS9_SE_NS0_5tupleIJPjSE_EEENSF_IJSE_SE_EEES9_SG_JZNS1_25segmented_radix_sort_implINS0_14default_configELb0EPKhPhPKlPlN2at6native12_GLOBAL__N_18offset_tEEE10hipError_tPvRmT1_PNSt15iterator_traitsISY_E10value_typeET2_T3_PNSZ_IS14_E10value_typeET4_jRbjT5_S1A_jjP12ihipStream_tbEUljE_EEESV_SW_SX_S14_S18_S1A_T6_T7_T9_mT8_S1C_bDpT10_ENKUlT_T0_E_clISt17integral_constantIbLb0EES1P_EEDaS1K_S1L_EUlS1K_E_NS1_11comp_targetILNS1_3genE9ELNS1_11target_archE1100ELNS1_3gpuE3ELNS1_3repE0EEENS1_30default_config_static_selectorELNS0_4arch9wavefront6targetE1EEEvSY_ ; -- Begin function _ZN7rocprim17ROCPRIM_400000_NS6detail17trampoline_kernelINS0_13select_configILj256ELj13ELNS0_17block_load_methodE3ELS4_3ELS4_3ELNS0_20block_scan_algorithmE0ELj4294967295EEENS1_25partition_config_selectorILNS1_17partition_subalgoE3EjNS0_10empty_typeEbEEZZNS1_14partition_implILS8_3ELb0ES6_jNS0_17counting_iteratorIjlEEPS9_SE_NS0_5tupleIJPjSE_EEENSF_IJSE_SE_EEES9_SG_JZNS1_25segmented_radix_sort_implINS0_14default_configELb0EPKhPhPKlPlN2at6native12_GLOBAL__N_18offset_tEEE10hipError_tPvRmT1_PNSt15iterator_traitsISY_E10value_typeET2_T3_PNSZ_IS14_E10value_typeET4_jRbjT5_S1A_jjP12ihipStream_tbEUljE_EEESV_SW_SX_S14_S18_S1A_T6_T7_T9_mT8_S1C_bDpT10_ENKUlT_T0_E_clISt17integral_constantIbLb0EES1P_EEDaS1K_S1L_EUlS1K_E_NS1_11comp_targetILNS1_3genE9ELNS1_11target_archE1100ELNS1_3gpuE3ELNS1_3repE0EEENS1_30default_config_static_selectorELNS0_4arch9wavefront6targetE1EEEvSY_
	.p2align	8
	.type	_ZN7rocprim17ROCPRIM_400000_NS6detail17trampoline_kernelINS0_13select_configILj256ELj13ELNS0_17block_load_methodE3ELS4_3ELS4_3ELNS0_20block_scan_algorithmE0ELj4294967295EEENS1_25partition_config_selectorILNS1_17partition_subalgoE3EjNS0_10empty_typeEbEEZZNS1_14partition_implILS8_3ELb0ES6_jNS0_17counting_iteratorIjlEEPS9_SE_NS0_5tupleIJPjSE_EEENSF_IJSE_SE_EEES9_SG_JZNS1_25segmented_radix_sort_implINS0_14default_configELb0EPKhPhPKlPlN2at6native12_GLOBAL__N_18offset_tEEE10hipError_tPvRmT1_PNSt15iterator_traitsISY_E10value_typeET2_T3_PNSZ_IS14_E10value_typeET4_jRbjT5_S1A_jjP12ihipStream_tbEUljE_EEESV_SW_SX_S14_S18_S1A_T6_T7_T9_mT8_S1C_bDpT10_ENKUlT_T0_E_clISt17integral_constantIbLb0EES1P_EEDaS1K_S1L_EUlS1K_E_NS1_11comp_targetILNS1_3genE9ELNS1_11target_archE1100ELNS1_3gpuE3ELNS1_3repE0EEENS1_30default_config_static_selectorELNS0_4arch9wavefront6targetE1EEEvSY_,@function
_ZN7rocprim17ROCPRIM_400000_NS6detail17trampoline_kernelINS0_13select_configILj256ELj13ELNS0_17block_load_methodE3ELS4_3ELS4_3ELNS0_20block_scan_algorithmE0ELj4294967295EEENS1_25partition_config_selectorILNS1_17partition_subalgoE3EjNS0_10empty_typeEbEEZZNS1_14partition_implILS8_3ELb0ES6_jNS0_17counting_iteratorIjlEEPS9_SE_NS0_5tupleIJPjSE_EEENSF_IJSE_SE_EEES9_SG_JZNS1_25segmented_radix_sort_implINS0_14default_configELb0EPKhPhPKlPlN2at6native12_GLOBAL__N_18offset_tEEE10hipError_tPvRmT1_PNSt15iterator_traitsISY_E10value_typeET2_T3_PNSZ_IS14_E10value_typeET4_jRbjT5_S1A_jjP12ihipStream_tbEUljE_EEESV_SW_SX_S14_S18_S1A_T6_T7_T9_mT8_S1C_bDpT10_ENKUlT_T0_E_clISt17integral_constantIbLb0EES1P_EEDaS1K_S1L_EUlS1K_E_NS1_11comp_targetILNS1_3genE9ELNS1_11target_archE1100ELNS1_3gpuE3ELNS1_3repE0EEENS1_30default_config_static_selectorELNS0_4arch9wavefront6targetE1EEEvSY_: ; @_ZN7rocprim17ROCPRIM_400000_NS6detail17trampoline_kernelINS0_13select_configILj256ELj13ELNS0_17block_load_methodE3ELS4_3ELS4_3ELNS0_20block_scan_algorithmE0ELj4294967295EEENS1_25partition_config_selectorILNS1_17partition_subalgoE3EjNS0_10empty_typeEbEEZZNS1_14partition_implILS8_3ELb0ES6_jNS0_17counting_iteratorIjlEEPS9_SE_NS0_5tupleIJPjSE_EEENSF_IJSE_SE_EEES9_SG_JZNS1_25segmented_radix_sort_implINS0_14default_configELb0EPKhPhPKlPlN2at6native12_GLOBAL__N_18offset_tEEE10hipError_tPvRmT1_PNSt15iterator_traitsISY_E10value_typeET2_T3_PNSZ_IS14_E10value_typeET4_jRbjT5_S1A_jjP12ihipStream_tbEUljE_EEESV_SW_SX_S14_S18_S1A_T6_T7_T9_mT8_S1C_bDpT10_ENKUlT_T0_E_clISt17integral_constantIbLb0EES1P_EEDaS1K_S1L_EUlS1K_E_NS1_11comp_targetILNS1_3genE9ELNS1_11target_archE1100ELNS1_3gpuE3ELNS1_3repE0EEENS1_30default_config_static_selectorELNS0_4arch9wavefront6targetE1EEEvSY_
; %bb.0:
	.section	.rodata,"a",@progbits
	.p2align	6, 0x0
	.amdhsa_kernel _ZN7rocprim17ROCPRIM_400000_NS6detail17trampoline_kernelINS0_13select_configILj256ELj13ELNS0_17block_load_methodE3ELS4_3ELS4_3ELNS0_20block_scan_algorithmE0ELj4294967295EEENS1_25partition_config_selectorILNS1_17partition_subalgoE3EjNS0_10empty_typeEbEEZZNS1_14partition_implILS8_3ELb0ES6_jNS0_17counting_iteratorIjlEEPS9_SE_NS0_5tupleIJPjSE_EEENSF_IJSE_SE_EEES9_SG_JZNS1_25segmented_radix_sort_implINS0_14default_configELb0EPKhPhPKlPlN2at6native12_GLOBAL__N_18offset_tEEE10hipError_tPvRmT1_PNSt15iterator_traitsISY_E10value_typeET2_T3_PNSZ_IS14_E10value_typeET4_jRbjT5_S1A_jjP12ihipStream_tbEUljE_EEESV_SW_SX_S14_S18_S1A_T6_T7_T9_mT8_S1C_bDpT10_ENKUlT_T0_E_clISt17integral_constantIbLb0EES1P_EEDaS1K_S1L_EUlS1K_E_NS1_11comp_targetILNS1_3genE9ELNS1_11target_archE1100ELNS1_3gpuE3ELNS1_3repE0EEENS1_30default_config_static_selectorELNS0_4arch9wavefront6targetE1EEEvSY_
		.amdhsa_group_segment_fixed_size 0
		.amdhsa_private_segment_fixed_size 0
		.amdhsa_kernarg_size 144
		.amdhsa_user_sgpr_count 6
		.amdhsa_user_sgpr_private_segment_buffer 1
		.amdhsa_user_sgpr_dispatch_ptr 0
		.amdhsa_user_sgpr_queue_ptr 0
		.amdhsa_user_sgpr_kernarg_segment_ptr 1
		.amdhsa_user_sgpr_dispatch_id 0
		.amdhsa_user_sgpr_flat_scratch_init 0
		.amdhsa_user_sgpr_private_segment_size 0
		.amdhsa_uses_dynamic_stack 0
		.amdhsa_system_sgpr_private_segment_wavefront_offset 0
		.amdhsa_system_sgpr_workgroup_id_x 1
		.amdhsa_system_sgpr_workgroup_id_y 0
		.amdhsa_system_sgpr_workgroup_id_z 0
		.amdhsa_system_sgpr_workgroup_info 0
		.amdhsa_system_vgpr_workitem_id 0
		.amdhsa_next_free_vgpr 1
		.amdhsa_next_free_sgpr 0
		.amdhsa_reserve_vcc 0
		.amdhsa_reserve_flat_scratch 0
		.amdhsa_float_round_mode_32 0
		.amdhsa_float_round_mode_16_64 0
		.amdhsa_float_denorm_mode_32 3
		.amdhsa_float_denorm_mode_16_64 3
		.amdhsa_dx10_clamp 1
		.amdhsa_ieee_mode 1
		.amdhsa_fp16_overflow 0
		.amdhsa_exception_fp_ieee_invalid_op 0
		.amdhsa_exception_fp_denorm_src 0
		.amdhsa_exception_fp_ieee_div_zero 0
		.amdhsa_exception_fp_ieee_overflow 0
		.amdhsa_exception_fp_ieee_underflow 0
		.amdhsa_exception_fp_ieee_inexact 0
		.amdhsa_exception_int_div_zero 0
	.end_amdhsa_kernel
	.section	.text._ZN7rocprim17ROCPRIM_400000_NS6detail17trampoline_kernelINS0_13select_configILj256ELj13ELNS0_17block_load_methodE3ELS4_3ELS4_3ELNS0_20block_scan_algorithmE0ELj4294967295EEENS1_25partition_config_selectorILNS1_17partition_subalgoE3EjNS0_10empty_typeEbEEZZNS1_14partition_implILS8_3ELb0ES6_jNS0_17counting_iteratorIjlEEPS9_SE_NS0_5tupleIJPjSE_EEENSF_IJSE_SE_EEES9_SG_JZNS1_25segmented_radix_sort_implINS0_14default_configELb0EPKhPhPKlPlN2at6native12_GLOBAL__N_18offset_tEEE10hipError_tPvRmT1_PNSt15iterator_traitsISY_E10value_typeET2_T3_PNSZ_IS14_E10value_typeET4_jRbjT5_S1A_jjP12ihipStream_tbEUljE_EEESV_SW_SX_S14_S18_S1A_T6_T7_T9_mT8_S1C_bDpT10_ENKUlT_T0_E_clISt17integral_constantIbLb0EES1P_EEDaS1K_S1L_EUlS1K_E_NS1_11comp_targetILNS1_3genE9ELNS1_11target_archE1100ELNS1_3gpuE3ELNS1_3repE0EEENS1_30default_config_static_selectorELNS0_4arch9wavefront6targetE1EEEvSY_,"axG",@progbits,_ZN7rocprim17ROCPRIM_400000_NS6detail17trampoline_kernelINS0_13select_configILj256ELj13ELNS0_17block_load_methodE3ELS4_3ELS4_3ELNS0_20block_scan_algorithmE0ELj4294967295EEENS1_25partition_config_selectorILNS1_17partition_subalgoE3EjNS0_10empty_typeEbEEZZNS1_14partition_implILS8_3ELb0ES6_jNS0_17counting_iteratorIjlEEPS9_SE_NS0_5tupleIJPjSE_EEENSF_IJSE_SE_EEES9_SG_JZNS1_25segmented_radix_sort_implINS0_14default_configELb0EPKhPhPKlPlN2at6native12_GLOBAL__N_18offset_tEEE10hipError_tPvRmT1_PNSt15iterator_traitsISY_E10value_typeET2_T3_PNSZ_IS14_E10value_typeET4_jRbjT5_S1A_jjP12ihipStream_tbEUljE_EEESV_SW_SX_S14_S18_S1A_T6_T7_T9_mT8_S1C_bDpT10_ENKUlT_T0_E_clISt17integral_constantIbLb0EES1P_EEDaS1K_S1L_EUlS1K_E_NS1_11comp_targetILNS1_3genE9ELNS1_11target_archE1100ELNS1_3gpuE3ELNS1_3repE0EEENS1_30default_config_static_selectorELNS0_4arch9wavefront6targetE1EEEvSY_,comdat
.Lfunc_end160:
	.size	_ZN7rocprim17ROCPRIM_400000_NS6detail17trampoline_kernelINS0_13select_configILj256ELj13ELNS0_17block_load_methodE3ELS4_3ELS4_3ELNS0_20block_scan_algorithmE0ELj4294967295EEENS1_25partition_config_selectorILNS1_17partition_subalgoE3EjNS0_10empty_typeEbEEZZNS1_14partition_implILS8_3ELb0ES6_jNS0_17counting_iteratorIjlEEPS9_SE_NS0_5tupleIJPjSE_EEENSF_IJSE_SE_EEES9_SG_JZNS1_25segmented_radix_sort_implINS0_14default_configELb0EPKhPhPKlPlN2at6native12_GLOBAL__N_18offset_tEEE10hipError_tPvRmT1_PNSt15iterator_traitsISY_E10value_typeET2_T3_PNSZ_IS14_E10value_typeET4_jRbjT5_S1A_jjP12ihipStream_tbEUljE_EEESV_SW_SX_S14_S18_S1A_T6_T7_T9_mT8_S1C_bDpT10_ENKUlT_T0_E_clISt17integral_constantIbLb0EES1P_EEDaS1K_S1L_EUlS1K_E_NS1_11comp_targetILNS1_3genE9ELNS1_11target_archE1100ELNS1_3gpuE3ELNS1_3repE0EEENS1_30default_config_static_selectorELNS0_4arch9wavefront6targetE1EEEvSY_, .Lfunc_end160-_ZN7rocprim17ROCPRIM_400000_NS6detail17trampoline_kernelINS0_13select_configILj256ELj13ELNS0_17block_load_methodE3ELS4_3ELS4_3ELNS0_20block_scan_algorithmE0ELj4294967295EEENS1_25partition_config_selectorILNS1_17partition_subalgoE3EjNS0_10empty_typeEbEEZZNS1_14partition_implILS8_3ELb0ES6_jNS0_17counting_iteratorIjlEEPS9_SE_NS0_5tupleIJPjSE_EEENSF_IJSE_SE_EEES9_SG_JZNS1_25segmented_radix_sort_implINS0_14default_configELb0EPKhPhPKlPlN2at6native12_GLOBAL__N_18offset_tEEE10hipError_tPvRmT1_PNSt15iterator_traitsISY_E10value_typeET2_T3_PNSZ_IS14_E10value_typeET4_jRbjT5_S1A_jjP12ihipStream_tbEUljE_EEESV_SW_SX_S14_S18_S1A_T6_T7_T9_mT8_S1C_bDpT10_ENKUlT_T0_E_clISt17integral_constantIbLb0EES1P_EEDaS1K_S1L_EUlS1K_E_NS1_11comp_targetILNS1_3genE9ELNS1_11target_archE1100ELNS1_3gpuE3ELNS1_3repE0EEENS1_30default_config_static_selectorELNS0_4arch9wavefront6targetE1EEEvSY_
                                        ; -- End function
	.set _ZN7rocprim17ROCPRIM_400000_NS6detail17trampoline_kernelINS0_13select_configILj256ELj13ELNS0_17block_load_methodE3ELS4_3ELS4_3ELNS0_20block_scan_algorithmE0ELj4294967295EEENS1_25partition_config_selectorILNS1_17partition_subalgoE3EjNS0_10empty_typeEbEEZZNS1_14partition_implILS8_3ELb0ES6_jNS0_17counting_iteratorIjlEEPS9_SE_NS0_5tupleIJPjSE_EEENSF_IJSE_SE_EEES9_SG_JZNS1_25segmented_radix_sort_implINS0_14default_configELb0EPKhPhPKlPlN2at6native12_GLOBAL__N_18offset_tEEE10hipError_tPvRmT1_PNSt15iterator_traitsISY_E10value_typeET2_T3_PNSZ_IS14_E10value_typeET4_jRbjT5_S1A_jjP12ihipStream_tbEUljE_EEESV_SW_SX_S14_S18_S1A_T6_T7_T9_mT8_S1C_bDpT10_ENKUlT_T0_E_clISt17integral_constantIbLb0EES1P_EEDaS1K_S1L_EUlS1K_E_NS1_11comp_targetILNS1_3genE9ELNS1_11target_archE1100ELNS1_3gpuE3ELNS1_3repE0EEENS1_30default_config_static_selectorELNS0_4arch9wavefront6targetE1EEEvSY_.num_vgpr, 0
	.set _ZN7rocprim17ROCPRIM_400000_NS6detail17trampoline_kernelINS0_13select_configILj256ELj13ELNS0_17block_load_methodE3ELS4_3ELS4_3ELNS0_20block_scan_algorithmE0ELj4294967295EEENS1_25partition_config_selectorILNS1_17partition_subalgoE3EjNS0_10empty_typeEbEEZZNS1_14partition_implILS8_3ELb0ES6_jNS0_17counting_iteratorIjlEEPS9_SE_NS0_5tupleIJPjSE_EEENSF_IJSE_SE_EEES9_SG_JZNS1_25segmented_radix_sort_implINS0_14default_configELb0EPKhPhPKlPlN2at6native12_GLOBAL__N_18offset_tEEE10hipError_tPvRmT1_PNSt15iterator_traitsISY_E10value_typeET2_T3_PNSZ_IS14_E10value_typeET4_jRbjT5_S1A_jjP12ihipStream_tbEUljE_EEESV_SW_SX_S14_S18_S1A_T6_T7_T9_mT8_S1C_bDpT10_ENKUlT_T0_E_clISt17integral_constantIbLb0EES1P_EEDaS1K_S1L_EUlS1K_E_NS1_11comp_targetILNS1_3genE9ELNS1_11target_archE1100ELNS1_3gpuE3ELNS1_3repE0EEENS1_30default_config_static_selectorELNS0_4arch9wavefront6targetE1EEEvSY_.num_agpr, 0
	.set _ZN7rocprim17ROCPRIM_400000_NS6detail17trampoline_kernelINS0_13select_configILj256ELj13ELNS0_17block_load_methodE3ELS4_3ELS4_3ELNS0_20block_scan_algorithmE0ELj4294967295EEENS1_25partition_config_selectorILNS1_17partition_subalgoE3EjNS0_10empty_typeEbEEZZNS1_14partition_implILS8_3ELb0ES6_jNS0_17counting_iteratorIjlEEPS9_SE_NS0_5tupleIJPjSE_EEENSF_IJSE_SE_EEES9_SG_JZNS1_25segmented_radix_sort_implINS0_14default_configELb0EPKhPhPKlPlN2at6native12_GLOBAL__N_18offset_tEEE10hipError_tPvRmT1_PNSt15iterator_traitsISY_E10value_typeET2_T3_PNSZ_IS14_E10value_typeET4_jRbjT5_S1A_jjP12ihipStream_tbEUljE_EEESV_SW_SX_S14_S18_S1A_T6_T7_T9_mT8_S1C_bDpT10_ENKUlT_T0_E_clISt17integral_constantIbLb0EES1P_EEDaS1K_S1L_EUlS1K_E_NS1_11comp_targetILNS1_3genE9ELNS1_11target_archE1100ELNS1_3gpuE3ELNS1_3repE0EEENS1_30default_config_static_selectorELNS0_4arch9wavefront6targetE1EEEvSY_.numbered_sgpr, 0
	.set _ZN7rocprim17ROCPRIM_400000_NS6detail17trampoline_kernelINS0_13select_configILj256ELj13ELNS0_17block_load_methodE3ELS4_3ELS4_3ELNS0_20block_scan_algorithmE0ELj4294967295EEENS1_25partition_config_selectorILNS1_17partition_subalgoE3EjNS0_10empty_typeEbEEZZNS1_14partition_implILS8_3ELb0ES6_jNS0_17counting_iteratorIjlEEPS9_SE_NS0_5tupleIJPjSE_EEENSF_IJSE_SE_EEES9_SG_JZNS1_25segmented_radix_sort_implINS0_14default_configELb0EPKhPhPKlPlN2at6native12_GLOBAL__N_18offset_tEEE10hipError_tPvRmT1_PNSt15iterator_traitsISY_E10value_typeET2_T3_PNSZ_IS14_E10value_typeET4_jRbjT5_S1A_jjP12ihipStream_tbEUljE_EEESV_SW_SX_S14_S18_S1A_T6_T7_T9_mT8_S1C_bDpT10_ENKUlT_T0_E_clISt17integral_constantIbLb0EES1P_EEDaS1K_S1L_EUlS1K_E_NS1_11comp_targetILNS1_3genE9ELNS1_11target_archE1100ELNS1_3gpuE3ELNS1_3repE0EEENS1_30default_config_static_selectorELNS0_4arch9wavefront6targetE1EEEvSY_.num_named_barrier, 0
	.set _ZN7rocprim17ROCPRIM_400000_NS6detail17trampoline_kernelINS0_13select_configILj256ELj13ELNS0_17block_load_methodE3ELS4_3ELS4_3ELNS0_20block_scan_algorithmE0ELj4294967295EEENS1_25partition_config_selectorILNS1_17partition_subalgoE3EjNS0_10empty_typeEbEEZZNS1_14partition_implILS8_3ELb0ES6_jNS0_17counting_iteratorIjlEEPS9_SE_NS0_5tupleIJPjSE_EEENSF_IJSE_SE_EEES9_SG_JZNS1_25segmented_radix_sort_implINS0_14default_configELb0EPKhPhPKlPlN2at6native12_GLOBAL__N_18offset_tEEE10hipError_tPvRmT1_PNSt15iterator_traitsISY_E10value_typeET2_T3_PNSZ_IS14_E10value_typeET4_jRbjT5_S1A_jjP12ihipStream_tbEUljE_EEESV_SW_SX_S14_S18_S1A_T6_T7_T9_mT8_S1C_bDpT10_ENKUlT_T0_E_clISt17integral_constantIbLb0EES1P_EEDaS1K_S1L_EUlS1K_E_NS1_11comp_targetILNS1_3genE9ELNS1_11target_archE1100ELNS1_3gpuE3ELNS1_3repE0EEENS1_30default_config_static_selectorELNS0_4arch9wavefront6targetE1EEEvSY_.private_seg_size, 0
	.set _ZN7rocprim17ROCPRIM_400000_NS6detail17trampoline_kernelINS0_13select_configILj256ELj13ELNS0_17block_load_methodE3ELS4_3ELS4_3ELNS0_20block_scan_algorithmE0ELj4294967295EEENS1_25partition_config_selectorILNS1_17partition_subalgoE3EjNS0_10empty_typeEbEEZZNS1_14partition_implILS8_3ELb0ES6_jNS0_17counting_iteratorIjlEEPS9_SE_NS0_5tupleIJPjSE_EEENSF_IJSE_SE_EEES9_SG_JZNS1_25segmented_radix_sort_implINS0_14default_configELb0EPKhPhPKlPlN2at6native12_GLOBAL__N_18offset_tEEE10hipError_tPvRmT1_PNSt15iterator_traitsISY_E10value_typeET2_T3_PNSZ_IS14_E10value_typeET4_jRbjT5_S1A_jjP12ihipStream_tbEUljE_EEESV_SW_SX_S14_S18_S1A_T6_T7_T9_mT8_S1C_bDpT10_ENKUlT_T0_E_clISt17integral_constantIbLb0EES1P_EEDaS1K_S1L_EUlS1K_E_NS1_11comp_targetILNS1_3genE9ELNS1_11target_archE1100ELNS1_3gpuE3ELNS1_3repE0EEENS1_30default_config_static_selectorELNS0_4arch9wavefront6targetE1EEEvSY_.uses_vcc, 0
	.set _ZN7rocprim17ROCPRIM_400000_NS6detail17trampoline_kernelINS0_13select_configILj256ELj13ELNS0_17block_load_methodE3ELS4_3ELS4_3ELNS0_20block_scan_algorithmE0ELj4294967295EEENS1_25partition_config_selectorILNS1_17partition_subalgoE3EjNS0_10empty_typeEbEEZZNS1_14partition_implILS8_3ELb0ES6_jNS0_17counting_iteratorIjlEEPS9_SE_NS0_5tupleIJPjSE_EEENSF_IJSE_SE_EEES9_SG_JZNS1_25segmented_radix_sort_implINS0_14default_configELb0EPKhPhPKlPlN2at6native12_GLOBAL__N_18offset_tEEE10hipError_tPvRmT1_PNSt15iterator_traitsISY_E10value_typeET2_T3_PNSZ_IS14_E10value_typeET4_jRbjT5_S1A_jjP12ihipStream_tbEUljE_EEESV_SW_SX_S14_S18_S1A_T6_T7_T9_mT8_S1C_bDpT10_ENKUlT_T0_E_clISt17integral_constantIbLb0EES1P_EEDaS1K_S1L_EUlS1K_E_NS1_11comp_targetILNS1_3genE9ELNS1_11target_archE1100ELNS1_3gpuE3ELNS1_3repE0EEENS1_30default_config_static_selectorELNS0_4arch9wavefront6targetE1EEEvSY_.uses_flat_scratch, 0
	.set _ZN7rocprim17ROCPRIM_400000_NS6detail17trampoline_kernelINS0_13select_configILj256ELj13ELNS0_17block_load_methodE3ELS4_3ELS4_3ELNS0_20block_scan_algorithmE0ELj4294967295EEENS1_25partition_config_selectorILNS1_17partition_subalgoE3EjNS0_10empty_typeEbEEZZNS1_14partition_implILS8_3ELb0ES6_jNS0_17counting_iteratorIjlEEPS9_SE_NS0_5tupleIJPjSE_EEENSF_IJSE_SE_EEES9_SG_JZNS1_25segmented_radix_sort_implINS0_14default_configELb0EPKhPhPKlPlN2at6native12_GLOBAL__N_18offset_tEEE10hipError_tPvRmT1_PNSt15iterator_traitsISY_E10value_typeET2_T3_PNSZ_IS14_E10value_typeET4_jRbjT5_S1A_jjP12ihipStream_tbEUljE_EEESV_SW_SX_S14_S18_S1A_T6_T7_T9_mT8_S1C_bDpT10_ENKUlT_T0_E_clISt17integral_constantIbLb0EES1P_EEDaS1K_S1L_EUlS1K_E_NS1_11comp_targetILNS1_3genE9ELNS1_11target_archE1100ELNS1_3gpuE3ELNS1_3repE0EEENS1_30default_config_static_selectorELNS0_4arch9wavefront6targetE1EEEvSY_.has_dyn_sized_stack, 0
	.set _ZN7rocprim17ROCPRIM_400000_NS6detail17trampoline_kernelINS0_13select_configILj256ELj13ELNS0_17block_load_methodE3ELS4_3ELS4_3ELNS0_20block_scan_algorithmE0ELj4294967295EEENS1_25partition_config_selectorILNS1_17partition_subalgoE3EjNS0_10empty_typeEbEEZZNS1_14partition_implILS8_3ELb0ES6_jNS0_17counting_iteratorIjlEEPS9_SE_NS0_5tupleIJPjSE_EEENSF_IJSE_SE_EEES9_SG_JZNS1_25segmented_radix_sort_implINS0_14default_configELb0EPKhPhPKlPlN2at6native12_GLOBAL__N_18offset_tEEE10hipError_tPvRmT1_PNSt15iterator_traitsISY_E10value_typeET2_T3_PNSZ_IS14_E10value_typeET4_jRbjT5_S1A_jjP12ihipStream_tbEUljE_EEESV_SW_SX_S14_S18_S1A_T6_T7_T9_mT8_S1C_bDpT10_ENKUlT_T0_E_clISt17integral_constantIbLb0EES1P_EEDaS1K_S1L_EUlS1K_E_NS1_11comp_targetILNS1_3genE9ELNS1_11target_archE1100ELNS1_3gpuE3ELNS1_3repE0EEENS1_30default_config_static_selectorELNS0_4arch9wavefront6targetE1EEEvSY_.has_recursion, 0
	.set _ZN7rocprim17ROCPRIM_400000_NS6detail17trampoline_kernelINS0_13select_configILj256ELj13ELNS0_17block_load_methodE3ELS4_3ELS4_3ELNS0_20block_scan_algorithmE0ELj4294967295EEENS1_25partition_config_selectorILNS1_17partition_subalgoE3EjNS0_10empty_typeEbEEZZNS1_14partition_implILS8_3ELb0ES6_jNS0_17counting_iteratorIjlEEPS9_SE_NS0_5tupleIJPjSE_EEENSF_IJSE_SE_EEES9_SG_JZNS1_25segmented_radix_sort_implINS0_14default_configELb0EPKhPhPKlPlN2at6native12_GLOBAL__N_18offset_tEEE10hipError_tPvRmT1_PNSt15iterator_traitsISY_E10value_typeET2_T3_PNSZ_IS14_E10value_typeET4_jRbjT5_S1A_jjP12ihipStream_tbEUljE_EEESV_SW_SX_S14_S18_S1A_T6_T7_T9_mT8_S1C_bDpT10_ENKUlT_T0_E_clISt17integral_constantIbLb0EES1P_EEDaS1K_S1L_EUlS1K_E_NS1_11comp_targetILNS1_3genE9ELNS1_11target_archE1100ELNS1_3gpuE3ELNS1_3repE0EEENS1_30default_config_static_selectorELNS0_4arch9wavefront6targetE1EEEvSY_.has_indirect_call, 0
	.section	.AMDGPU.csdata,"",@progbits
; Kernel info:
; codeLenInByte = 0
; TotalNumSgprs: 4
; NumVgprs: 0
; ScratchSize: 0
; MemoryBound: 0
; FloatMode: 240
; IeeeMode: 1
; LDSByteSize: 0 bytes/workgroup (compile time only)
; SGPRBlocks: 0
; VGPRBlocks: 0
; NumSGPRsForWavesPerEU: 4
; NumVGPRsForWavesPerEU: 1
; Occupancy: 10
; WaveLimiterHint : 0
; COMPUTE_PGM_RSRC2:SCRATCH_EN: 0
; COMPUTE_PGM_RSRC2:USER_SGPR: 6
; COMPUTE_PGM_RSRC2:TRAP_HANDLER: 0
; COMPUTE_PGM_RSRC2:TGID_X_EN: 1
; COMPUTE_PGM_RSRC2:TGID_Y_EN: 0
; COMPUTE_PGM_RSRC2:TGID_Z_EN: 0
; COMPUTE_PGM_RSRC2:TIDIG_COMP_CNT: 0
	.section	.text._ZN7rocprim17ROCPRIM_400000_NS6detail17trampoline_kernelINS0_13select_configILj256ELj13ELNS0_17block_load_methodE3ELS4_3ELS4_3ELNS0_20block_scan_algorithmE0ELj4294967295EEENS1_25partition_config_selectorILNS1_17partition_subalgoE3EjNS0_10empty_typeEbEEZZNS1_14partition_implILS8_3ELb0ES6_jNS0_17counting_iteratorIjlEEPS9_SE_NS0_5tupleIJPjSE_EEENSF_IJSE_SE_EEES9_SG_JZNS1_25segmented_radix_sort_implINS0_14default_configELb0EPKhPhPKlPlN2at6native12_GLOBAL__N_18offset_tEEE10hipError_tPvRmT1_PNSt15iterator_traitsISY_E10value_typeET2_T3_PNSZ_IS14_E10value_typeET4_jRbjT5_S1A_jjP12ihipStream_tbEUljE_EEESV_SW_SX_S14_S18_S1A_T6_T7_T9_mT8_S1C_bDpT10_ENKUlT_T0_E_clISt17integral_constantIbLb0EES1P_EEDaS1K_S1L_EUlS1K_E_NS1_11comp_targetILNS1_3genE8ELNS1_11target_archE1030ELNS1_3gpuE2ELNS1_3repE0EEENS1_30default_config_static_selectorELNS0_4arch9wavefront6targetE1EEEvSY_,"axG",@progbits,_ZN7rocprim17ROCPRIM_400000_NS6detail17trampoline_kernelINS0_13select_configILj256ELj13ELNS0_17block_load_methodE3ELS4_3ELS4_3ELNS0_20block_scan_algorithmE0ELj4294967295EEENS1_25partition_config_selectorILNS1_17partition_subalgoE3EjNS0_10empty_typeEbEEZZNS1_14partition_implILS8_3ELb0ES6_jNS0_17counting_iteratorIjlEEPS9_SE_NS0_5tupleIJPjSE_EEENSF_IJSE_SE_EEES9_SG_JZNS1_25segmented_radix_sort_implINS0_14default_configELb0EPKhPhPKlPlN2at6native12_GLOBAL__N_18offset_tEEE10hipError_tPvRmT1_PNSt15iterator_traitsISY_E10value_typeET2_T3_PNSZ_IS14_E10value_typeET4_jRbjT5_S1A_jjP12ihipStream_tbEUljE_EEESV_SW_SX_S14_S18_S1A_T6_T7_T9_mT8_S1C_bDpT10_ENKUlT_T0_E_clISt17integral_constantIbLb0EES1P_EEDaS1K_S1L_EUlS1K_E_NS1_11comp_targetILNS1_3genE8ELNS1_11target_archE1030ELNS1_3gpuE2ELNS1_3repE0EEENS1_30default_config_static_selectorELNS0_4arch9wavefront6targetE1EEEvSY_,comdat
	.globl	_ZN7rocprim17ROCPRIM_400000_NS6detail17trampoline_kernelINS0_13select_configILj256ELj13ELNS0_17block_load_methodE3ELS4_3ELS4_3ELNS0_20block_scan_algorithmE0ELj4294967295EEENS1_25partition_config_selectorILNS1_17partition_subalgoE3EjNS0_10empty_typeEbEEZZNS1_14partition_implILS8_3ELb0ES6_jNS0_17counting_iteratorIjlEEPS9_SE_NS0_5tupleIJPjSE_EEENSF_IJSE_SE_EEES9_SG_JZNS1_25segmented_radix_sort_implINS0_14default_configELb0EPKhPhPKlPlN2at6native12_GLOBAL__N_18offset_tEEE10hipError_tPvRmT1_PNSt15iterator_traitsISY_E10value_typeET2_T3_PNSZ_IS14_E10value_typeET4_jRbjT5_S1A_jjP12ihipStream_tbEUljE_EEESV_SW_SX_S14_S18_S1A_T6_T7_T9_mT8_S1C_bDpT10_ENKUlT_T0_E_clISt17integral_constantIbLb0EES1P_EEDaS1K_S1L_EUlS1K_E_NS1_11comp_targetILNS1_3genE8ELNS1_11target_archE1030ELNS1_3gpuE2ELNS1_3repE0EEENS1_30default_config_static_selectorELNS0_4arch9wavefront6targetE1EEEvSY_ ; -- Begin function _ZN7rocprim17ROCPRIM_400000_NS6detail17trampoline_kernelINS0_13select_configILj256ELj13ELNS0_17block_load_methodE3ELS4_3ELS4_3ELNS0_20block_scan_algorithmE0ELj4294967295EEENS1_25partition_config_selectorILNS1_17partition_subalgoE3EjNS0_10empty_typeEbEEZZNS1_14partition_implILS8_3ELb0ES6_jNS0_17counting_iteratorIjlEEPS9_SE_NS0_5tupleIJPjSE_EEENSF_IJSE_SE_EEES9_SG_JZNS1_25segmented_radix_sort_implINS0_14default_configELb0EPKhPhPKlPlN2at6native12_GLOBAL__N_18offset_tEEE10hipError_tPvRmT1_PNSt15iterator_traitsISY_E10value_typeET2_T3_PNSZ_IS14_E10value_typeET4_jRbjT5_S1A_jjP12ihipStream_tbEUljE_EEESV_SW_SX_S14_S18_S1A_T6_T7_T9_mT8_S1C_bDpT10_ENKUlT_T0_E_clISt17integral_constantIbLb0EES1P_EEDaS1K_S1L_EUlS1K_E_NS1_11comp_targetILNS1_3genE8ELNS1_11target_archE1030ELNS1_3gpuE2ELNS1_3repE0EEENS1_30default_config_static_selectorELNS0_4arch9wavefront6targetE1EEEvSY_
	.p2align	8
	.type	_ZN7rocprim17ROCPRIM_400000_NS6detail17trampoline_kernelINS0_13select_configILj256ELj13ELNS0_17block_load_methodE3ELS4_3ELS4_3ELNS0_20block_scan_algorithmE0ELj4294967295EEENS1_25partition_config_selectorILNS1_17partition_subalgoE3EjNS0_10empty_typeEbEEZZNS1_14partition_implILS8_3ELb0ES6_jNS0_17counting_iteratorIjlEEPS9_SE_NS0_5tupleIJPjSE_EEENSF_IJSE_SE_EEES9_SG_JZNS1_25segmented_radix_sort_implINS0_14default_configELb0EPKhPhPKlPlN2at6native12_GLOBAL__N_18offset_tEEE10hipError_tPvRmT1_PNSt15iterator_traitsISY_E10value_typeET2_T3_PNSZ_IS14_E10value_typeET4_jRbjT5_S1A_jjP12ihipStream_tbEUljE_EEESV_SW_SX_S14_S18_S1A_T6_T7_T9_mT8_S1C_bDpT10_ENKUlT_T0_E_clISt17integral_constantIbLb0EES1P_EEDaS1K_S1L_EUlS1K_E_NS1_11comp_targetILNS1_3genE8ELNS1_11target_archE1030ELNS1_3gpuE2ELNS1_3repE0EEENS1_30default_config_static_selectorELNS0_4arch9wavefront6targetE1EEEvSY_,@function
_ZN7rocprim17ROCPRIM_400000_NS6detail17trampoline_kernelINS0_13select_configILj256ELj13ELNS0_17block_load_methodE3ELS4_3ELS4_3ELNS0_20block_scan_algorithmE0ELj4294967295EEENS1_25partition_config_selectorILNS1_17partition_subalgoE3EjNS0_10empty_typeEbEEZZNS1_14partition_implILS8_3ELb0ES6_jNS0_17counting_iteratorIjlEEPS9_SE_NS0_5tupleIJPjSE_EEENSF_IJSE_SE_EEES9_SG_JZNS1_25segmented_radix_sort_implINS0_14default_configELb0EPKhPhPKlPlN2at6native12_GLOBAL__N_18offset_tEEE10hipError_tPvRmT1_PNSt15iterator_traitsISY_E10value_typeET2_T3_PNSZ_IS14_E10value_typeET4_jRbjT5_S1A_jjP12ihipStream_tbEUljE_EEESV_SW_SX_S14_S18_S1A_T6_T7_T9_mT8_S1C_bDpT10_ENKUlT_T0_E_clISt17integral_constantIbLb0EES1P_EEDaS1K_S1L_EUlS1K_E_NS1_11comp_targetILNS1_3genE8ELNS1_11target_archE1030ELNS1_3gpuE2ELNS1_3repE0EEENS1_30default_config_static_selectorELNS0_4arch9wavefront6targetE1EEEvSY_: ; @_ZN7rocprim17ROCPRIM_400000_NS6detail17trampoline_kernelINS0_13select_configILj256ELj13ELNS0_17block_load_methodE3ELS4_3ELS4_3ELNS0_20block_scan_algorithmE0ELj4294967295EEENS1_25partition_config_selectorILNS1_17partition_subalgoE3EjNS0_10empty_typeEbEEZZNS1_14partition_implILS8_3ELb0ES6_jNS0_17counting_iteratorIjlEEPS9_SE_NS0_5tupleIJPjSE_EEENSF_IJSE_SE_EEES9_SG_JZNS1_25segmented_radix_sort_implINS0_14default_configELb0EPKhPhPKlPlN2at6native12_GLOBAL__N_18offset_tEEE10hipError_tPvRmT1_PNSt15iterator_traitsISY_E10value_typeET2_T3_PNSZ_IS14_E10value_typeET4_jRbjT5_S1A_jjP12ihipStream_tbEUljE_EEESV_SW_SX_S14_S18_S1A_T6_T7_T9_mT8_S1C_bDpT10_ENKUlT_T0_E_clISt17integral_constantIbLb0EES1P_EEDaS1K_S1L_EUlS1K_E_NS1_11comp_targetILNS1_3genE8ELNS1_11target_archE1030ELNS1_3gpuE2ELNS1_3repE0EEENS1_30default_config_static_selectorELNS0_4arch9wavefront6targetE1EEEvSY_
; %bb.0:
	.section	.rodata,"a",@progbits
	.p2align	6, 0x0
	.amdhsa_kernel _ZN7rocprim17ROCPRIM_400000_NS6detail17trampoline_kernelINS0_13select_configILj256ELj13ELNS0_17block_load_methodE3ELS4_3ELS4_3ELNS0_20block_scan_algorithmE0ELj4294967295EEENS1_25partition_config_selectorILNS1_17partition_subalgoE3EjNS0_10empty_typeEbEEZZNS1_14partition_implILS8_3ELb0ES6_jNS0_17counting_iteratorIjlEEPS9_SE_NS0_5tupleIJPjSE_EEENSF_IJSE_SE_EEES9_SG_JZNS1_25segmented_radix_sort_implINS0_14default_configELb0EPKhPhPKlPlN2at6native12_GLOBAL__N_18offset_tEEE10hipError_tPvRmT1_PNSt15iterator_traitsISY_E10value_typeET2_T3_PNSZ_IS14_E10value_typeET4_jRbjT5_S1A_jjP12ihipStream_tbEUljE_EEESV_SW_SX_S14_S18_S1A_T6_T7_T9_mT8_S1C_bDpT10_ENKUlT_T0_E_clISt17integral_constantIbLb0EES1P_EEDaS1K_S1L_EUlS1K_E_NS1_11comp_targetILNS1_3genE8ELNS1_11target_archE1030ELNS1_3gpuE2ELNS1_3repE0EEENS1_30default_config_static_selectorELNS0_4arch9wavefront6targetE1EEEvSY_
		.amdhsa_group_segment_fixed_size 0
		.amdhsa_private_segment_fixed_size 0
		.amdhsa_kernarg_size 144
		.amdhsa_user_sgpr_count 6
		.amdhsa_user_sgpr_private_segment_buffer 1
		.amdhsa_user_sgpr_dispatch_ptr 0
		.amdhsa_user_sgpr_queue_ptr 0
		.amdhsa_user_sgpr_kernarg_segment_ptr 1
		.amdhsa_user_sgpr_dispatch_id 0
		.amdhsa_user_sgpr_flat_scratch_init 0
		.amdhsa_user_sgpr_private_segment_size 0
		.amdhsa_uses_dynamic_stack 0
		.amdhsa_system_sgpr_private_segment_wavefront_offset 0
		.amdhsa_system_sgpr_workgroup_id_x 1
		.amdhsa_system_sgpr_workgroup_id_y 0
		.amdhsa_system_sgpr_workgroup_id_z 0
		.amdhsa_system_sgpr_workgroup_info 0
		.amdhsa_system_vgpr_workitem_id 0
		.amdhsa_next_free_vgpr 1
		.amdhsa_next_free_sgpr 0
		.amdhsa_reserve_vcc 0
		.amdhsa_reserve_flat_scratch 0
		.amdhsa_float_round_mode_32 0
		.amdhsa_float_round_mode_16_64 0
		.amdhsa_float_denorm_mode_32 3
		.amdhsa_float_denorm_mode_16_64 3
		.amdhsa_dx10_clamp 1
		.amdhsa_ieee_mode 1
		.amdhsa_fp16_overflow 0
		.amdhsa_exception_fp_ieee_invalid_op 0
		.amdhsa_exception_fp_denorm_src 0
		.amdhsa_exception_fp_ieee_div_zero 0
		.amdhsa_exception_fp_ieee_overflow 0
		.amdhsa_exception_fp_ieee_underflow 0
		.amdhsa_exception_fp_ieee_inexact 0
		.amdhsa_exception_int_div_zero 0
	.end_amdhsa_kernel
	.section	.text._ZN7rocprim17ROCPRIM_400000_NS6detail17trampoline_kernelINS0_13select_configILj256ELj13ELNS0_17block_load_methodE3ELS4_3ELS4_3ELNS0_20block_scan_algorithmE0ELj4294967295EEENS1_25partition_config_selectorILNS1_17partition_subalgoE3EjNS0_10empty_typeEbEEZZNS1_14partition_implILS8_3ELb0ES6_jNS0_17counting_iteratorIjlEEPS9_SE_NS0_5tupleIJPjSE_EEENSF_IJSE_SE_EEES9_SG_JZNS1_25segmented_radix_sort_implINS0_14default_configELb0EPKhPhPKlPlN2at6native12_GLOBAL__N_18offset_tEEE10hipError_tPvRmT1_PNSt15iterator_traitsISY_E10value_typeET2_T3_PNSZ_IS14_E10value_typeET4_jRbjT5_S1A_jjP12ihipStream_tbEUljE_EEESV_SW_SX_S14_S18_S1A_T6_T7_T9_mT8_S1C_bDpT10_ENKUlT_T0_E_clISt17integral_constantIbLb0EES1P_EEDaS1K_S1L_EUlS1K_E_NS1_11comp_targetILNS1_3genE8ELNS1_11target_archE1030ELNS1_3gpuE2ELNS1_3repE0EEENS1_30default_config_static_selectorELNS0_4arch9wavefront6targetE1EEEvSY_,"axG",@progbits,_ZN7rocprim17ROCPRIM_400000_NS6detail17trampoline_kernelINS0_13select_configILj256ELj13ELNS0_17block_load_methodE3ELS4_3ELS4_3ELNS0_20block_scan_algorithmE0ELj4294967295EEENS1_25partition_config_selectorILNS1_17partition_subalgoE3EjNS0_10empty_typeEbEEZZNS1_14partition_implILS8_3ELb0ES6_jNS0_17counting_iteratorIjlEEPS9_SE_NS0_5tupleIJPjSE_EEENSF_IJSE_SE_EEES9_SG_JZNS1_25segmented_radix_sort_implINS0_14default_configELb0EPKhPhPKlPlN2at6native12_GLOBAL__N_18offset_tEEE10hipError_tPvRmT1_PNSt15iterator_traitsISY_E10value_typeET2_T3_PNSZ_IS14_E10value_typeET4_jRbjT5_S1A_jjP12ihipStream_tbEUljE_EEESV_SW_SX_S14_S18_S1A_T6_T7_T9_mT8_S1C_bDpT10_ENKUlT_T0_E_clISt17integral_constantIbLb0EES1P_EEDaS1K_S1L_EUlS1K_E_NS1_11comp_targetILNS1_3genE8ELNS1_11target_archE1030ELNS1_3gpuE2ELNS1_3repE0EEENS1_30default_config_static_selectorELNS0_4arch9wavefront6targetE1EEEvSY_,comdat
.Lfunc_end161:
	.size	_ZN7rocprim17ROCPRIM_400000_NS6detail17trampoline_kernelINS0_13select_configILj256ELj13ELNS0_17block_load_methodE3ELS4_3ELS4_3ELNS0_20block_scan_algorithmE0ELj4294967295EEENS1_25partition_config_selectorILNS1_17partition_subalgoE3EjNS0_10empty_typeEbEEZZNS1_14partition_implILS8_3ELb0ES6_jNS0_17counting_iteratorIjlEEPS9_SE_NS0_5tupleIJPjSE_EEENSF_IJSE_SE_EEES9_SG_JZNS1_25segmented_radix_sort_implINS0_14default_configELb0EPKhPhPKlPlN2at6native12_GLOBAL__N_18offset_tEEE10hipError_tPvRmT1_PNSt15iterator_traitsISY_E10value_typeET2_T3_PNSZ_IS14_E10value_typeET4_jRbjT5_S1A_jjP12ihipStream_tbEUljE_EEESV_SW_SX_S14_S18_S1A_T6_T7_T9_mT8_S1C_bDpT10_ENKUlT_T0_E_clISt17integral_constantIbLb0EES1P_EEDaS1K_S1L_EUlS1K_E_NS1_11comp_targetILNS1_3genE8ELNS1_11target_archE1030ELNS1_3gpuE2ELNS1_3repE0EEENS1_30default_config_static_selectorELNS0_4arch9wavefront6targetE1EEEvSY_, .Lfunc_end161-_ZN7rocprim17ROCPRIM_400000_NS6detail17trampoline_kernelINS0_13select_configILj256ELj13ELNS0_17block_load_methodE3ELS4_3ELS4_3ELNS0_20block_scan_algorithmE0ELj4294967295EEENS1_25partition_config_selectorILNS1_17partition_subalgoE3EjNS0_10empty_typeEbEEZZNS1_14partition_implILS8_3ELb0ES6_jNS0_17counting_iteratorIjlEEPS9_SE_NS0_5tupleIJPjSE_EEENSF_IJSE_SE_EEES9_SG_JZNS1_25segmented_radix_sort_implINS0_14default_configELb0EPKhPhPKlPlN2at6native12_GLOBAL__N_18offset_tEEE10hipError_tPvRmT1_PNSt15iterator_traitsISY_E10value_typeET2_T3_PNSZ_IS14_E10value_typeET4_jRbjT5_S1A_jjP12ihipStream_tbEUljE_EEESV_SW_SX_S14_S18_S1A_T6_T7_T9_mT8_S1C_bDpT10_ENKUlT_T0_E_clISt17integral_constantIbLb0EES1P_EEDaS1K_S1L_EUlS1K_E_NS1_11comp_targetILNS1_3genE8ELNS1_11target_archE1030ELNS1_3gpuE2ELNS1_3repE0EEENS1_30default_config_static_selectorELNS0_4arch9wavefront6targetE1EEEvSY_
                                        ; -- End function
	.set _ZN7rocprim17ROCPRIM_400000_NS6detail17trampoline_kernelINS0_13select_configILj256ELj13ELNS0_17block_load_methodE3ELS4_3ELS4_3ELNS0_20block_scan_algorithmE0ELj4294967295EEENS1_25partition_config_selectorILNS1_17partition_subalgoE3EjNS0_10empty_typeEbEEZZNS1_14partition_implILS8_3ELb0ES6_jNS0_17counting_iteratorIjlEEPS9_SE_NS0_5tupleIJPjSE_EEENSF_IJSE_SE_EEES9_SG_JZNS1_25segmented_radix_sort_implINS0_14default_configELb0EPKhPhPKlPlN2at6native12_GLOBAL__N_18offset_tEEE10hipError_tPvRmT1_PNSt15iterator_traitsISY_E10value_typeET2_T3_PNSZ_IS14_E10value_typeET4_jRbjT5_S1A_jjP12ihipStream_tbEUljE_EEESV_SW_SX_S14_S18_S1A_T6_T7_T9_mT8_S1C_bDpT10_ENKUlT_T0_E_clISt17integral_constantIbLb0EES1P_EEDaS1K_S1L_EUlS1K_E_NS1_11comp_targetILNS1_3genE8ELNS1_11target_archE1030ELNS1_3gpuE2ELNS1_3repE0EEENS1_30default_config_static_selectorELNS0_4arch9wavefront6targetE1EEEvSY_.num_vgpr, 0
	.set _ZN7rocprim17ROCPRIM_400000_NS6detail17trampoline_kernelINS0_13select_configILj256ELj13ELNS0_17block_load_methodE3ELS4_3ELS4_3ELNS0_20block_scan_algorithmE0ELj4294967295EEENS1_25partition_config_selectorILNS1_17partition_subalgoE3EjNS0_10empty_typeEbEEZZNS1_14partition_implILS8_3ELb0ES6_jNS0_17counting_iteratorIjlEEPS9_SE_NS0_5tupleIJPjSE_EEENSF_IJSE_SE_EEES9_SG_JZNS1_25segmented_radix_sort_implINS0_14default_configELb0EPKhPhPKlPlN2at6native12_GLOBAL__N_18offset_tEEE10hipError_tPvRmT1_PNSt15iterator_traitsISY_E10value_typeET2_T3_PNSZ_IS14_E10value_typeET4_jRbjT5_S1A_jjP12ihipStream_tbEUljE_EEESV_SW_SX_S14_S18_S1A_T6_T7_T9_mT8_S1C_bDpT10_ENKUlT_T0_E_clISt17integral_constantIbLb0EES1P_EEDaS1K_S1L_EUlS1K_E_NS1_11comp_targetILNS1_3genE8ELNS1_11target_archE1030ELNS1_3gpuE2ELNS1_3repE0EEENS1_30default_config_static_selectorELNS0_4arch9wavefront6targetE1EEEvSY_.num_agpr, 0
	.set _ZN7rocprim17ROCPRIM_400000_NS6detail17trampoline_kernelINS0_13select_configILj256ELj13ELNS0_17block_load_methodE3ELS4_3ELS4_3ELNS0_20block_scan_algorithmE0ELj4294967295EEENS1_25partition_config_selectorILNS1_17partition_subalgoE3EjNS0_10empty_typeEbEEZZNS1_14partition_implILS8_3ELb0ES6_jNS0_17counting_iteratorIjlEEPS9_SE_NS0_5tupleIJPjSE_EEENSF_IJSE_SE_EEES9_SG_JZNS1_25segmented_radix_sort_implINS0_14default_configELb0EPKhPhPKlPlN2at6native12_GLOBAL__N_18offset_tEEE10hipError_tPvRmT1_PNSt15iterator_traitsISY_E10value_typeET2_T3_PNSZ_IS14_E10value_typeET4_jRbjT5_S1A_jjP12ihipStream_tbEUljE_EEESV_SW_SX_S14_S18_S1A_T6_T7_T9_mT8_S1C_bDpT10_ENKUlT_T0_E_clISt17integral_constantIbLb0EES1P_EEDaS1K_S1L_EUlS1K_E_NS1_11comp_targetILNS1_3genE8ELNS1_11target_archE1030ELNS1_3gpuE2ELNS1_3repE0EEENS1_30default_config_static_selectorELNS0_4arch9wavefront6targetE1EEEvSY_.numbered_sgpr, 0
	.set _ZN7rocprim17ROCPRIM_400000_NS6detail17trampoline_kernelINS0_13select_configILj256ELj13ELNS0_17block_load_methodE3ELS4_3ELS4_3ELNS0_20block_scan_algorithmE0ELj4294967295EEENS1_25partition_config_selectorILNS1_17partition_subalgoE3EjNS0_10empty_typeEbEEZZNS1_14partition_implILS8_3ELb0ES6_jNS0_17counting_iteratorIjlEEPS9_SE_NS0_5tupleIJPjSE_EEENSF_IJSE_SE_EEES9_SG_JZNS1_25segmented_radix_sort_implINS0_14default_configELb0EPKhPhPKlPlN2at6native12_GLOBAL__N_18offset_tEEE10hipError_tPvRmT1_PNSt15iterator_traitsISY_E10value_typeET2_T3_PNSZ_IS14_E10value_typeET4_jRbjT5_S1A_jjP12ihipStream_tbEUljE_EEESV_SW_SX_S14_S18_S1A_T6_T7_T9_mT8_S1C_bDpT10_ENKUlT_T0_E_clISt17integral_constantIbLb0EES1P_EEDaS1K_S1L_EUlS1K_E_NS1_11comp_targetILNS1_3genE8ELNS1_11target_archE1030ELNS1_3gpuE2ELNS1_3repE0EEENS1_30default_config_static_selectorELNS0_4arch9wavefront6targetE1EEEvSY_.num_named_barrier, 0
	.set _ZN7rocprim17ROCPRIM_400000_NS6detail17trampoline_kernelINS0_13select_configILj256ELj13ELNS0_17block_load_methodE3ELS4_3ELS4_3ELNS0_20block_scan_algorithmE0ELj4294967295EEENS1_25partition_config_selectorILNS1_17partition_subalgoE3EjNS0_10empty_typeEbEEZZNS1_14partition_implILS8_3ELb0ES6_jNS0_17counting_iteratorIjlEEPS9_SE_NS0_5tupleIJPjSE_EEENSF_IJSE_SE_EEES9_SG_JZNS1_25segmented_radix_sort_implINS0_14default_configELb0EPKhPhPKlPlN2at6native12_GLOBAL__N_18offset_tEEE10hipError_tPvRmT1_PNSt15iterator_traitsISY_E10value_typeET2_T3_PNSZ_IS14_E10value_typeET4_jRbjT5_S1A_jjP12ihipStream_tbEUljE_EEESV_SW_SX_S14_S18_S1A_T6_T7_T9_mT8_S1C_bDpT10_ENKUlT_T0_E_clISt17integral_constantIbLb0EES1P_EEDaS1K_S1L_EUlS1K_E_NS1_11comp_targetILNS1_3genE8ELNS1_11target_archE1030ELNS1_3gpuE2ELNS1_3repE0EEENS1_30default_config_static_selectorELNS0_4arch9wavefront6targetE1EEEvSY_.private_seg_size, 0
	.set _ZN7rocprim17ROCPRIM_400000_NS6detail17trampoline_kernelINS0_13select_configILj256ELj13ELNS0_17block_load_methodE3ELS4_3ELS4_3ELNS0_20block_scan_algorithmE0ELj4294967295EEENS1_25partition_config_selectorILNS1_17partition_subalgoE3EjNS0_10empty_typeEbEEZZNS1_14partition_implILS8_3ELb0ES6_jNS0_17counting_iteratorIjlEEPS9_SE_NS0_5tupleIJPjSE_EEENSF_IJSE_SE_EEES9_SG_JZNS1_25segmented_radix_sort_implINS0_14default_configELb0EPKhPhPKlPlN2at6native12_GLOBAL__N_18offset_tEEE10hipError_tPvRmT1_PNSt15iterator_traitsISY_E10value_typeET2_T3_PNSZ_IS14_E10value_typeET4_jRbjT5_S1A_jjP12ihipStream_tbEUljE_EEESV_SW_SX_S14_S18_S1A_T6_T7_T9_mT8_S1C_bDpT10_ENKUlT_T0_E_clISt17integral_constantIbLb0EES1P_EEDaS1K_S1L_EUlS1K_E_NS1_11comp_targetILNS1_3genE8ELNS1_11target_archE1030ELNS1_3gpuE2ELNS1_3repE0EEENS1_30default_config_static_selectorELNS0_4arch9wavefront6targetE1EEEvSY_.uses_vcc, 0
	.set _ZN7rocprim17ROCPRIM_400000_NS6detail17trampoline_kernelINS0_13select_configILj256ELj13ELNS0_17block_load_methodE3ELS4_3ELS4_3ELNS0_20block_scan_algorithmE0ELj4294967295EEENS1_25partition_config_selectorILNS1_17partition_subalgoE3EjNS0_10empty_typeEbEEZZNS1_14partition_implILS8_3ELb0ES6_jNS0_17counting_iteratorIjlEEPS9_SE_NS0_5tupleIJPjSE_EEENSF_IJSE_SE_EEES9_SG_JZNS1_25segmented_radix_sort_implINS0_14default_configELb0EPKhPhPKlPlN2at6native12_GLOBAL__N_18offset_tEEE10hipError_tPvRmT1_PNSt15iterator_traitsISY_E10value_typeET2_T3_PNSZ_IS14_E10value_typeET4_jRbjT5_S1A_jjP12ihipStream_tbEUljE_EEESV_SW_SX_S14_S18_S1A_T6_T7_T9_mT8_S1C_bDpT10_ENKUlT_T0_E_clISt17integral_constantIbLb0EES1P_EEDaS1K_S1L_EUlS1K_E_NS1_11comp_targetILNS1_3genE8ELNS1_11target_archE1030ELNS1_3gpuE2ELNS1_3repE0EEENS1_30default_config_static_selectorELNS0_4arch9wavefront6targetE1EEEvSY_.uses_flat_scratch, 0
	.set _ZN7rocprim17ROCPRIM_400000_NS6detail17trampoline_kernelINS0_13select_configILj256ELj13ELNS0_17block_load_methodE3ELS4_3ELS4_3ELNS0_20block_scan_algorithmE0ELj4294967295EEENS1_25partition_config_selectorILNS1_17partition_subalgoE3EjNS0_10empty_typeEbEEZZNS1_14partition_implILS8_3ELb0ES6_jNS0_17counting_iteratorIjlEEPS9_SE_NS0_5tupleIJPjSE_EEENSF_IJSE_SE_EEES9_SG_JZNS1_25segmented_radix_sort_implINS0_14default_configELb0EPKhPhPKlPlN2at6native12_GLOBAL__N_18offset_tEEE10hipError_tPvRmT1_PNSt15iterator_traitsISY_E10value_typeET2_T3_PNSZ_IS14_E10value_typeET4_jRbjT5_S1A_jjP12ihipStream_tbEUljE_EEESV_SW_SX_S14_S18_S1A_T6_T7_T9_mT8_S1C_bDpT10_ENKUlT_T0_E_clISt17integral_constantIbLb0EES1P_EEDaS1K_S1L_EUlS1K_E_NS1_11comp_targetILNS1_3genE8ELNS1_11target_archE1030ELNS1_3gpuE2ELNS1_3repE0EEENS1_30default_config_static_selectorELNS0_4arch9wavefront6targetE1EEEvSY_.has_dyn_sized_stack, 0
	.set _ZN7rocprim17ROCPRIM_400000_NS6detail17trampoline_kernelINS0_13select_configILj256ELj13ELNS0_17block_load_methodE3ELS4_3ELS4_3ELNS0_20block_scan_algorithmE0ELj4294967295EEENS1_25partition_config_selectorILNS1_17partition_subalgoE3EjNS0_10empty_typeEbEEZZNS1_14partition_implILS8_3ELb0ES6_jNS0_17counting_iteratorIjlEEPS9_SE_NS0_5tupleIJPjSE_EEENSF_IJSE_SE_EEES9_SG_JZNS1_25segmented_radix_sort_implINS0_14default_configELb0EPKhPhPKlPlN2at6native12_GLOBAL__N_18offset_tEEE10hipError_tPvRmT1_PNSt15iterator_traitsISY_E10value_typeET2_T3_PNSZ_IS14_E10value_typeET4_jRbjT5_S1A_jjP12ihipStream_tbEUljE_EEESV_SW_SX_S14_S18_S1A_T6_T7_T9_mT8_S1C_bDpT10_ENKUlT_T0_E_clISt17integral_constantIbLb0EES1P_EEDaS1K_S1L_EUlS1K_E_NS1_11comp_targetILNS1_3genE8ELNS1_11target_archE1030ELNS1_3gpuE2ELNS1_3repE0EEENS1_30default_config_static_selectorELNS0_4arch9wavefront6targetE1EEEvSY_.has_recursion, 0
	.set _ZN7rocprim17ROCPRIM_400000_NS6detail17trampoline_kernelINS0_13select_configILj256ELj13ELNS0_17block_load_methodE3ELS4_3ELS4_3ELNS0_20block_scan_algorithmE0ELj4294967295EEENS1_25partition_config_selectorILNS1_17partition_subalgoE3EjNS0_10empty_typeEbEEZZNS1_14partition_implILS8_3ELb0ES6_jNS0_17counting_iteratorIjlEEPS9_SE_NS0_5tupleIJPjSE_EEENSF_IJSE_SE_EEES9_SG_JZNS1_25segmented_radix_sort_implINS0_14default_configELb0EPKhPhPKlPlN2at6native12_GLOBAL__N_18offset_tEEE10hipError_tPvRmT1_PNSt15iterator_traitsISY_E10value_typeET2_T3_PNSZ_IS14_E10value_typeET4_jRbjT5_S1A_jjP12ihipStream_tbEUljE_EEESV_SW_SX_S14_S18_S1A_T6_T7_T9_mT8_S1C_bDpT10_ENKUlT_T0_E_clISt17integral_constantIbLb0EES1P_EEDaS1K_S1L_EUlS1K_E_NS1_11comp_targetILNS1_3genE8ELNS1_11target_archE1030ELNS1_3gpuE2ELNS1_3repE0EEENS1_30default_config_static_selectorELNS0_4arch9wavefront6targetE1EEEvSY_.has_indirect_call, 0
	.section	.AMDGPU.csdata,"",@progbits
; Kernel info:
; codeLenInByte = 0
; TotalNumSgprs: 4
; NumVgprs: 0
; ScratchSize: 0
; MemoryBound: 0
; FloatMode: 240
; IeeeMode: 1
; LDSByteSize: 0 bytes/workgroup (compile time only)
; SGPRBlocks: 0
; VGPRBlocks: 0
; NumSGPRsForWavesPerEU: 4
; NumVGPRsForWavesPerEU: 1
; Occupancy: 10
; WaveLimiterHint : 0
; COMPUTE_PGM_RSRC2:SCRATCH_EN: 0
; COMPUTE_PGM_RSRC2:USER_SGPR: 6
; COMPUTE_PGM_RSRC2:TRAP_HANDLER: 0
; COMPUTE_PGM_RSRC2:TGID_X_EN: 1
; COMPUTE_PGM_RSRC2:TGID_Y_EN: 0
; COMPUTE_PGM_RSRC2:TGID_Z_EN: 0
; COMPUTE_PGM_RSRC2:TIDIG_COMP_CNT: 0
	.section	.text._ZN7rocprim17ROCPRIM_400000_NS6detail17trampoline_kernelINS0_13select_configILj256ELj13ELNS0_17block_load_methodE3ELS4_3ELS4_3ELNS0_20block_scan_algorithmE0ELj4294967295EEENS1_25partition_config_selectorILNS1_17partition_subalgoE3EjNS0_10empty_typeEbEEZZNS1_14partition_implILS8_3ELb0ES6_jNS0_17counting_iteratorIjlEEPS9_SE_NS0_5tupleIJPjSE_EEENSF_IJSE_SE_EEES9_SG_JZNS1_25segmented_radix_sort_implINS0_14default_configELb0EPKhPhPKlPlN2at6native12_GLOBAL__N_18offset_tEEE10hipError_tPvRmT1_PNSt15iterator_traitsISY_E10value_typeET2_T3_PNSZ_IS14_E10value_typeET4_jRbjT5_S1A_jjP12ihipStream_tbEUljE_EEESV_SW_SX_S14_S18_S1A_T6_T7_T9_mT8_S1C_bDpT10_ENKUlT_T0_E_clISt17integral_constantIbLb1EES1P_EEDaS1K_S1L_EUlS1K_E_NS1_11comp_targetILNS1_3genE0ELNS1_11target_archE4294967295ELNS1_3gpuE0ELNS1_3repE0EEENS1_30default_config_static_selectorELNS0_4arch9wavefront6targetE1EEEvSY_,"axG",@progbits,_ZN7rocprim17ROCPRIM_400000_NS6detail17trampoline_kernelINS0_13select_configILj256ELj13ELNS0_17block_load_methodE3ELS4_3ELS4_3ELNS0_20block_scan_algorithmE0ELj4294967295EEENS1_25partition_config_selectorILNS1_17partition_subalgoE3EjNS0_10empty_typeEbEEZZNS1_14partition_implILS8_3ELb0ES6_jNS0_17counting_iteratorIjlEEPS9_SE_NS0_5tupleIJPjSE_EEENSF_IJSE_SE_EEES9_SG_JZNS1_25segmented_radix_sort_implINS0_14default_configELb0EPKhPhPKlPlN2at6native12_GLOBAL__N_18offset_tEEE10hipError_tPvRmT1_PNSt15iterator_traitsISY_E10value_typeET2_T3_PNSZ_IS14_E10value_typeET4_jRbjT5_S1A_jjP12ihipStream_tbEUljE_EEESV_SW_SX_S14_S18_S1A_T6_T7_T9_mT8_S1C_bDpT10_ENKUlT_T0_E_clISt17integral_constantIbLb1EES1P_EEDaS1K_S1L_EUlS1K_E_NS1_11comp_targetILNS1_3genE0ELNS1_11target_archE4294967295ELNS1_3gpuE0ELNS1_3repE0EEENS1_30default_config_static_selectorELNS0_4arch9wavefront6targetE1EEEvSY_,comdat
	.globl	_ZN7rocprim17ROCPRIM_400000_NS6detail17trampoline_kernelINS0_13select_configILj256ELj13ELNS0_17block_load_methodE3ELS4_3ELS4_3ELNS0_20block_scan_algorithmE0ELj4294967295EEENS1_25partition_config_selectorILNS1_17partition_subalgoE3EjNS0_10empty_typeEbEEZZNS1_14partition_implILS8_3ELb0ES6_jNS0_17counting_iteratorIjlEEPS9_SE_NS0_5tupleIJPjSE_EEENSF_IJSE_SE_EEES9_SG_JZNS1_25segmented_radix_sort_implINS0_14default_configELb0EPKhPhPKlPlN2at6native12_GLOBAL__N_18offset_tEEE10hipError_tPvRmT1_PNSt15iterator_traitsISY_E10value_typeET2_T3_PNSZ_IS14_E10value_typeET4_jRbjT5_S1A_jjP12ihipStream_tbEUljE_EEESV_SW_SX_S14_S18_S1A_T6_T7_T9_mT8_S1C_bDpT10_ENKUlT_T0_E_clISt17integral_constantIbLb1EES1P_EEDaS1K_S1L_EUlS1K_E_NS1_11comp_targetILNS1_3genE0ELNS1_11target_archE4294967295ELNS1_3gpuE0ELNS1_3repE0EEENS1_30default_config_static_selectorELNS0_4arch9wavefront6targetE1EEEvSY_ ; -- Begin function _ZN7rocprim17ROCPRIM_400000_NS6detail17trampoline_kernelINS0_13select_configILj256ELj13ELNS0_17block_load_methodE3ELS4_3ELS4_3ELNS0_20block_scan_algorithmE0ELj4294967295EEENS1_25partition_config_selectorILNS1_17partition_subalgoE3EjNS0_10empty_typeEbEEZZNS1_14partition_implILS8_3ELb0ES6_jNS0_17counting_iteratorIjlEEPS9_SE_NS0_5tupleIJPjSE_EEENSF_IJSE_SE_EEES9_SG_JZNS1_25segmented_radix_sort_implINS0_14default_configELb0EPKhPhPKlPlN2at6native12_GLOBAL__N_18offset_tEEE10hipError_tPvRmT1_PNSt15iterator_traitsISY_E10value_typeET2_T3_PNSZ_IS14_E10value_typeET4_jRbjT5_S1A_jjP12ihipStream_tbEUljE_EEESV_SW_SX_S14_S18_S1A_T6_T7_T9_mT8_S1C_bDpT10_ENKUlT_T0_E_clISt17integral_constantIbLb1EES1P_EEDaS1K_S1L_EUlS1K_E_NS1_11comp_targetILNS1_3genE0ELNS1_11target_archE4294967295ELNS1_3gpuE0ELNS1_3repE0EEENS1_30default_config_static_selectorELNS0_4arch9wavefront6targetE1EEEvSY_
	.p2align	8
	.type	_ZN7rocprim17ROCPRIM_400000_NS6detail17trampoline_kernelINS0_13select_configILj256ELj13ELNS0_17block_load_methodE3ELS4_3ELS4_3ELNS0_20block_scan_algorithmE0ELj4294967295EEENS1_25partition_config_selectorILNS1_17partition_subalgoE3EjNS0_10empty_typeEbEEZZNS1_14partition_implILS8_3ELb0ES6_jNS0_17counting_iteratorIjlEEPS9_SE_NS0_5tupleIJPjSE_EEENSF_IJSE_SE_EEES9_SG_JZNS1_25segmented_radix_sort_implINS0_14default_configELb0EPKhPhPKlPlN2at6native12_GLOBAL__N_18offset_tEEE10hipError_tPvRmT1_PNSt15iterator_traitsISY_E10value_typeET2_T3_PNSZ_IS14_E10value_typeET4_jRbjT5_S1A_jjP12ihipStream_tbEUljE_EEESV_SW_SX_S14_S18_S1A_T6_T7_T9_mT8_S1C_bDpT10_ENKUlT_T0_E_clISt17integral_constantIbLb1EES1P_EEDaS1K_S1L_EUlS1K_E_NS1_11comp_targetILNS1_3genE0ELNS1_11target_archE4294967295ELNS1_3gpuE0ELNS1_3repE0EEENS1_30default_config_static_selectorELNS0_4arch9wavefront6targetE1EEEvSY_,@function
_ZN7rocprim17ROCPRIM_400000_NS6detail17trampoline_kernelINS0_13select_configILj256ELj13ELNS0_17block_load_methodE3ELS4_3ELS4_3ELNS0_20block_scan_algorithmE0ELj4294967295EEENS1_25partition_config_selectorILNS1_17partition_subalgoE3EjNS0_10empty_typeEbEEZZNS1_14partition_implILS8_3ELb0ES6_jNS0_17counting_iteratorIjlEEPS9_SE_NS0_5tupleIJPjSE_EEENSF_IJSE_SE_EEES9_SG_JZNS1_25segmented_radix_sort_implINS0_14default_configELb0EPKhPhPKlPlN2at6native12_GLOBAL__N_18offset_tEEE10hipError_tPvRmT1_PNSt15iterator_traitsISY_E10value_typeET2_T3_PNSZ_IS14_E10value_typeET4_jRbjT5_S1A_jjP12ihipStream_tbEUljE_EEESV_SW_SX_S14_S18_S1A_T6_T7_T9_mT8_S1C_bDpT10_ENKUlT_T0_E_clISt17integral_constantIbLb1EES1P_EEDaS1K_S1L_EUlS1K_E_NS1_11comp_targetILNS1_3genE0ELNS1_11target_archE4294967295ELNS1_3gpuE0ELNS1_3repE0EEENS1_30default_config_static_selectorELNS0_4arch9wavefront6targetE1EEEvSY_: ; @_ZN7rocprim17ROCPRIM_400000_NS6detail17trampoline_kernelINS0_13select_configILj256ELj13ELNS0_17block_load_methodE3ELS4_3ELS4_3ELNS0_20block_scan_algorithmE0ELj4294967295EEENS1_25partition_config_selectorILNS1_17partition_subalgoE3EjNS0_10empty_typeEbEEZZNS1_14partition_implILS8_3ELb0ES6_jNS0_17counting_iteratorIjlEEPS9_SE_NS0_5tupleIJPjSE_EEENSF_IJSE_SE_EEES9_SG_JZNS1_25segmented_radix_sort_implINS0_14default_configELb0EPKhPhPKlPlN2at6native12_GLOBAL__N_18offset_tEEE10hipError_tPvRmT1_PNSt15iterator_traitsISY_E10value_typeET2_T3_PNSZ_IS14_E10value_typeET4_jRbjT5_S1A_jjP12ihipStream_tbEUljE_EEESV_SW_SX_S14_S18_S1A_T6_T7_T9_mT8_S1C_bDpT10_ENKUlT_T0_E_clISt17integral_constantIbLb1EES1P_EEDaS1K_S1L_EUlS1K_E_NS1_11comp_targetILNS1_3genE0ELNS1_11target_archE4294967295ELNS1_3gpuE0ELNS1_3repE0EEENS1_30default_config_static_selectorELNS0_4arch9wavefront6targetE1EEEvSY_
; %bb.0:
	.section	.rodata,"a",@progbits
	.p2align	6, 0x0
	.amdhsa_kernel _ZN7rocprim17ROCPRIM_400000_NS6detail17trampoline_kernelINS0_13select_configILj256ELj13ELNS0_17block_load_methodE3ELS4_3ELS4_3ELNS0_20block_scan_algorithmE0ELj4294967295EEENS1_25partition_config_selectorILNS1_17partition_subalgoE3EjNS0_10empty_typeEbEEZZNS1_14partition_implILS8_3ELb0ES6_jNS0_17counting_iteratorIjlEEPS9_SE_NS0_5tupleIJPjSE_EEENSF_IJSE_SE_EEES9_SG_JZNS1_25segmented_radix_sort_implINS0_14default_configELb0EPKhPhPKlPlN2at6native12_GLOBAL__N_18offset_tEEE10hipError_tPvRmT1_PNSt15iterator_traitsISY_E10value_typeET2_T3_PNSZ_IS14_E10value_typeET4_jRbjT5_S1A_jjP12ihipStream_tbEUljE_EEESV_SW_SX_S14_S18_S1A_T6_T7_T9_mT8_S1C_bDpT10_ENKUlT_T0_E_clISt17integral_constantIbLb1EES1P_EEDaS1K_S1L_EUlS1K_E_NS1_11comp_targetILNS1_3genE0ELNS1_11target_archE4294967295ELNS1_3gpuE0ELNS1_3repE0EEENS1_30default_config_static_selectorELNS0_4arch9wavefront6targetE1EEEvSY_
		.amdhsa_group_segment_fixed_size 0
		.amdhsa_private_segment_fixed_size 0
		.amdhsa_kernarg_size 152
		.amdhsa_user_sgpr_count 6
		.amdhsa_user_sgpr_private_segment_buffer 1
		.amdhsa_user_sgpr_dispatch_ptr 0
		.amdhsa_user_sgpr_queue_ptr 0
		.amdhsa_user_sgpr_kernarg_segment_ptr 1
		.amdhsa_user_sgpr_dispatch_id 0
		.amdhsa_user_sgpr_flat_scratch_init 0
		.amdhsa_user_sgpr_private_segment_size 0
		.amdhsa_uses_dynamic_stack 0
		.amdhsa_system_sgpr_private_segment_wavefront_offset 0
		.amdhsa_system_sgpr_workgroup_id_x 1
		.amdhsa_system_sgpr_workgroup_id_y 0
		.amdhsa_system_sgpr_workgroup_id_z 0
		.amdhsa_system_sgpr_workgroup_info 0
		.amdhsa_system_vgpr_workitem_id 0
		.amdhsa_next_free_vgpr 1
		.amdhsa_next_free_sgpr 0
		.amdhsa_reserve_vcc 0
		.amdhsa_reserve_flat_scratch 0
		.amdhsa_float_round_mode_32 0
		.amdhsa_float_round_mode_16_64 0
		.amdhsa_float_denorm_mode_32 3
		.amdhsa_float_denorm_mode_16_64 3
		.amdhsa_dx10_clamp 1
		.amdhsa_ieee_mode 1
		.amdhsa_fp16_overflow 0
		.amdhsa_exception_fp_ieee_invalid_op 0
		.amdhsa_exception_fp_denorm_src 0
		.amdhsa_exception_fp_ieee_div_zero 0
		.amdhsa_exception_fp_ieee_overflow 0
		.amdhsa_exception_fp_ieee_underflow 0
		.amdhsa_exception_fp_ieee_inexact 0
		.amdhsa_exception_int_div_zero 0
	.end_amdhsa_kernel
	.section	.text._ZN7rocprim17ROCPRIM_400000_NS6detail17trampoline_kernelINS0_13select_configILj256ELj13ELNS0_17block_load_methodE3ELS4_3ELS4_3ELNS0_20block_scan_algorithmE0ELj4294967295EEENS1_25partition_config_selectorILNS1_17partition_subalgoE3EjNS0_10empty_typeEbEEZZNS1_14partition_implILS8_3ELb0ES6_jNS0_17counting_iteratorIjlEEPS9_SE_NS0_5tupleIJPjSE_EEENSF_IJSE_SE_EEES9_SG_JZNS1_25segmented_radix_sort_implINS0_14default_configELb0EPKhPhPKlPlN2at6native12_GLOBAL__N_18offset_tEEE10hipError_tPvRmT1_PNSt15iterator_traitsISY_E10value_typeET2_T3_PNSZ_IS14_E10value_typeET4_jRbjT5_S1A_jjP12ihipStream_tbEUljE_EEESV_SW_SX_S14_S18_S1A_T6_T7_T9_mT8_S1C_bDpT10_ENKUlT_T0_E_clISt17integral_constantIbLb1EES1P_EEDaS1K_S1L_EUlS1K_E_NS1_11comp_targetILNS1_3genE0ELNS1_11target_archE4294967295ELNS1_3gpuE0ELNS1_3repE0EEENS1_30default_config_static_selectorELNS0_4arch9wavefront6targetE1EEEvSY_,"axG",@progbits,_ZN7rocprim17ROCPRIM_400000_NS6detail17trampoline_kernelINS0_13select_configILj256ELj13ELNS0_17block_load_methodE3ELS4_3ELS4_3ELNS0_20block_scan_algorithmE0ELj4294967295EEENS1_25partition_config_selectorILNS1_17partition_subalgoE3EjNS0_10empty_typeEbEEZZNS1_14partition_implILS8_3ELb0ES6_jNS0_17counting_iteratorIjlEEPS9_SE_NS0_5tupleIJPjSE_EEENSF_IJSE_SE_EEES9_SG_JZNS1_25segmented_radix_sort_implINS0_14default_configELb0EPKhPhPKlPlN2at6native12_GLOBAL__N_18offset_tEEE10hipError_tPvRmT1_PNSt15iterator_traitsISY_E10value_typeET2_T3_PNSZ_IS14_E10value_typeET4_jRbjT5_S1A_jjP12ihipStream_tbEUljE_EEESV_SW_SX_S14_S18_S1A_T6_T7_T9_mT8_S1C_bDpT10_ENKUlT_T0_E_clISt17integral_constantIbLb1EES1P_EEDaS1K_S1L_EUlS1K_E_NS1_11comp_targetILNS1_3genE0ELNS1_11target_archE4294967295ELNS1_3gpuE0ELNS1_3repE0EEENS1_30default_config_static_selectorELNS0_4arch9wavefront6targetE1EEEvSY_,comdat
.Lfunc_end162:
	.size	_ZN7rocprim17ROCPRIM_400000_NS6detail17trampoline_kernelINS0_13select_configILj256ELj13ELNS0_17block_load_methodE3ELS4_3ELS4_3ELNS0_20block_scan_algorithmE0ELj4294967295EEENS1_25partition_config_selectorILNS1_17partition_subalgoE3EjNS0_10empty_typeEbEEZZNS1_14partition_implILS8_3ELb0ES6_jNS0_17counting_iteratorIjlEEPS9_SE_NS0_5tupleIJPjSE_EEENSF_IJSE_SE_EEES9_SG_JZNS1_25segmented_radix_sort_implINS0_14default_configELb0EPKhPhPKlPlN2at6native12_GLOBAL__N_18offset_tEEE10hipError_tPvRmT1_PNSt15iterator_traitsISY_E10value_typeET2_T3_PNSZ_IS14_E10value_typeET4_jRbjT5_S1A_jjP12ihipStream_tbEUljE_EEESV_SW_SX_S14_S18_S1A_T6_T7_T9_mT8_S1C_bDpT10_ENKUlT_T0_E_clISt17integral_constantIbLb1EES1P_EEDaS1K_S1L_EUlS1K_E_NS1_11comp_targetILNS1_3genE0ELNS1_11target_archE4294967295ELNS1_3gpuE0ELNS1_3repE0EEENS1_30default_config_static_selectorELNS0_4arch9wavefront6targetE1EEEvSY_, .Lfunc_end162-_ZN7rocprim17ROCPRIM_400000_NS6detail17trampoline_kernelINS0_13select_configILj256ELj13ELNS0_17block_load_methodE3ELS4_3ELS4_3ELNS0_20block_scan_algorithmE0ELj4294967295EEENS1_25partition_config_selectorILNS1_17partition_subalgoE3EjNS0_10empty_typeEbEEZZNS1_14partition_implILS8_3ELb0ES6_jNS0_17counting_iteratorIjlEEPS9_SE_NS0_5tupleIJPjSE_EEENSF_IJSE_SE_EEES9_SG_JZNS1_25segmented_radix_sort_implINS0_14default_configELb0EPKhPhPKlPlN2at6native12_GLOBAL__N_18offset_tEEE10hipError_tPvRmT1_PNSt15iterator_traitsISY_E10value_typeET2_T3_PNSZ_IS14_E10value_typeET4_jRbjT5_S1A_jjP12ihipStream_tbEUljE_EEESV_SW_SX_S14_S18_S1A_T6_T7_T9_mT8_S1C_bDpT10_ENKUlT_T0_E_clISt17integral_constantIbLb1EES1P_EEDaS1K_S1L_EUlS1K_E_NS1_11comp_targetILNS1_3genE0ELNS1_11target_archE4294967295ELNS1_3gpuE0ELNS1_3repE0EEENS1_30default_config_static_selectorELNS0_4arch9wavefront6targetE1EEEvSY_
                                        ; -- End function
	.set _ZN7rocprim17ROCPRIM_400000_NS6detail17trampoline_kernelINS0_13select_configILj256ELj13ELNS0_17block_load_methodE3ELS4_3ELS4_3ELNS0_20block_scan_algorithmE0ELj4294967295EEENS1_25partition_config_selectorILNS1_17partition_subalgoE3EjNS0_10empty_typeEbEEZZNS1_14partition_implILS8_3ELb0ES6_jNS0_17counting_iteratorIjlEEPS9_SE_NS0_5tupleIJPjSE_EEENSF_IJSE_SE_EEES9_SG_JZNS1_25segmented_radix_sort_implINS0_14default_configELb0EPKhPhPKlPlN2at6native12_GLOBAL__N_18offset_tEEE10hipError_tPvRmT1_PNSt15iterator_traitsISY_E10value_typeET2_T3_PNSZ_IS14_E10value_typeET4_jRbjT5_S1A_jjP12ihipStream_tbEUljE_EEESV_SW_SX_S14_S18_S1A_T6_T7_T9_mT8_S1C_bDpT10_ENKUlT_T0_E_clISt17integral_constantIbLb1EES1P_EEDaS1K_S1L_EUlS1K_E_NS1_11comp_targetILNS1_3genE0ELNS1_11target_archE4294967295ELNS1_3gpuE0ELNS1_3repE0EEENS1_30default_config_static_selectorELNS0_4arch9wavefront6targetE1EEEvSY_.num_vgpr, 0
	.set _ZN7rocprim17ROCPRIM_400000_NS6detail17trampoline_kernelINS0_13select_configILj256ELj13ELNS0_17block_load_methodE3ELS4_3ELS4_3ELNS0_20block_scan_algorithmE0ELj4294967295EEENS1_25partition_config_selectorILNS1_17partition_subalgoE3EjNS0_10empty_typeEbEEZZNS1_14partition_implILS8_3ELb0ES6_jNS0_17counting_iteratorIjlEEPS9_SE_NS0_5tupleIJPjSE_EEENSF_IJSE_SE_EEES9_SG_JZNS1_25segmented_radix_sort_implINS0_14default_configELb0EPKhPhPKlPlN2at6native12_GLOBAL__N_18offset_tEEE10hipError_tPvRmT1_PNSt15iterator_traitsISY_E10value_typeET2_T3_PNSZ_IS14_E10value_typeET4_jRbjT5_S1A_jjP12ihipStream_tbEUljE_EEESV_SW_SX_S14_S18_S1A_T6_T7_T9_mT8_S1C_bDpT10_ENKUlT_T0_E_clISt17integral_constantIbLb1EES1P_EEDaS1K_S1L_EUlS1K_E_NS1_11comp_targetILNS1_3genE0ELNS1_11target_archE4294967295ELNS1_3gpuE0ELNS1_3repE0EEENS1_30default_config_static_selectorELNS0_4arch9wavefront6targetE1EEEvSY_.num_agpr, 0
	.set _ZN7rocprim17ROCPRIM_400000_NS6detail17trampoline_kernelINS0_13select_configILj256ELj13ELNS0_17block_load_methodE3ELS4_3ELS4_3ELNS0_20block_scan_algorithmE0ELj4294967295EEENS1_25partition_config_selectorILNS1_17partition_subalgoE3EjNS0_10empty_typeEbEEZZNS1_14partition_implILS8_3ELb0ES6_jNS0_17counting_iteratorIjlEEPS9_SE_NS0_5tupleIJPjSE_EEENSF_IJSE_SE_EEES9_SG_JZNS1_25segmented_radix_sort_implINS0_14default_configELb0EPKhPhPKlPlN2at6native12_GLOBAL__N_18offset_tEEE10hipError_tPvRmT1_PNSt15iterator_traitsISY_E10value_typeET2_T3_PNSZ_IS14_E10value_typeET4_jRbjT5_S1A_jjP12ihipStream_tbEUljE_EEESV_SW_SX_S14_S18_S1A_T6_T7_T9_mT8_S1C_bDpT10_ENKUlT_T0_E_clISt17integral_constantIbLb1EES1P_EEDaS1K_S1L_EUlS1K_E_NS1_11comp_targetILNS1_3genE0ELNS1_11target_archE4294967295ELNS1_3gpuE0ELNS1_3repE0EEENS1_30default_config_static_selectorELNS0_4arch9wavefront6targetE1EEEvSY_.numbered_sgpr, 0
	.set _ZN7rocprim17ROCPRIM_400000_NS6detail17trampoline_kernelINS0_13select_configILj256ELj13ELNS0_17block_load_methodE3ELS4_3ELS4_3ELNS0_20block_scan_algorithmE0ELj4294967295EEENS1_25partition_config_selectorILNS1_17partition_subalgoE3EjNS0_10empty_typeEbEEZZNS1_14partition_implILS8_3ELb0ES6_jNS0_17counting_iteratorIjlEEPS9_SE_NS0_5tupleIJPjSE_EEENSF_IJSE_SE_EEES9_SG_JZNS1_25segmented_radix_sort_implINS0_14default_configELb0EPKhPhPKlPlN2at6native12_GLOBAL__N_18offset_tEEE10hipError_tPvRmT1_PNSt15iterator_traitsISY_E10value_typeET2_T3_PNSZ_IS14_E10value_typeET4_jRbjT5_S1A_jjP12ihipStream_tbEUljE_EEESV_SW_SX_S14_S18_S1A_T6_T7_T9_mT8_S1C_bDpT10_ENKUlT_T0_E_clISt17integral_constantIbLb1EES1P_EEDaS1K_S1L_EUlS1K_E_NS1_11comp_targetILNS1_3genE0ELNS1_11target_archE4294967295ELNS1_3gpuE0ELNS1_3repE0EEENS1_30default_config_static_selectorELNS0_4arch9wavefront6targetE1EEEvSY_.num_named_barrier, 0
	.set _ZN7rocprim17ROCPRIM_400000_NS6detail17trampoline_kernelINS0_13select_configILj256ELj13ELNS0_17block_load_methodE3ELS4_3ELS4_3ELNS0_20block_scan_algorithmE0ELj4294967295EEENS1_25partition_config_selectorILNS1_17partition_subalgoE3EjNS0_10empty_typeEbEEZZNS1_14partition_implILS8_3ELb0ES6_jNS0_17counting_iteratorIjlEEPS9_SE_NS0_5tupleIJPjSE_EEENSF_IJSE_SE_EEES9_SG_JZNS1_25segmented_radix_sort_implINS0_14default_configELb0EPKhPhPKlPlN2at6native12_GLOBAL__N_18offset_tEEE10hipError_tPvRmT1_PNSt15iterator_traitsISY_E10value_typeET2_T3_PNSZ_IS14_E10value_typeET4_jRbjT5_S1A_jjP12ihipStream_tbEUljE_EEESV_SW_SX_S14_S18_S1A_T6_T7_T9_mT8_S1C_bDpT10_ENKUlT_T0_E_clISt17integral_constantIbLb1EES1P_EEDaS1K_S1L_EUlS1K_E_NS1_11comp_targetILNS1_3genE0ELNS1_11target_archE4294967295ELNS1_3gpuE0ELNS1_3repE0EEENS1_30default_config_static_selectorELNS0_4arch9wavefront6targetE1EEEvSY_.private_seg_size, 0
	.set _ZN7rocprim17ROCPRIM_400000_NS6detail17trampoline_kernelINS0_13select_configILj256ELj13ELNS0_17block_load_methodE3ELS4_3ELS4_3ELNS0_20block_scan_algorithmE0ELj4294967295EEENS1_25partition_config_selectorILNS1_17partition_subalgoE3EjNS0_10empty_typeEbEEZZNS1_14partition_implILS8_3ELb0ES6_jNS0_17counting_iteratorIjlEEPS9_SE_NS0_5tupleIJPjSE_EEENSF_IJSE_SE_EEES9_SG_JZNS1_25segmented_radix_sort_implINS0_14default_configELb0EPKhPhPKlPlN2at6native12_GLOBAL__N_18offset_tEEE10hipError_tPvRmT1_PNSt15iterator_traitsISY_E10value_typeET2_T3_PNSZ_IS14_E10value_typeET4_jRbjT5_S1A_jjP12ihipStream_tbEUljE_EEESV_SW_SX_S14_S18_S1A_T6_T7_T9_mT8_S1C_bDpT10_ENKUlT_T0_E_clISt17integral_constantIbLb1EES1P_EEDaS1K_S1L_EUlS1K_E_NS1_11comp_targetILNS1_3genE0ELNS1_11target_archE4294967295ELNS1_3gpuE0ELNS1_3repE0EEENS1_30default_config_static_selectorELNS0_4arch9wavefront6targetE1EEEvSY_.uses_vcc, 0
	.set _ZN7rocprim17ROCPRIM_400000_NS6detail17trampoline_kernelINS0_13select_configILj256ELj13ELNS0_17block_load_methodE3ELS4_3ELS4_3ELNS0_20block_scan_algorithmE0ELj4294967295EEENS1_25partition_config_selectorILNS1_17partition_subalgoE3EjNS0_10empty_typeEbEEZZNS1_14partition_implILS8_3ELb0ES6_jNS0_17counting_iteratorIjlEEPS9_SE_NS0_5tupleIJPjSE_EEENSF_IJSE_SE_EEES9_SG_JZNS1_25segmented_radix_sort_implINS0_14default_configELb0EPKhPhPKlPlN2at6native12_GLOBAL__N_18offset_tEEE10hipError_tPvRmT1_PNSt15iterator_traitsISY_E10value_typeET2_T3_PNSZ_IS14_E10value_typeET4_jRbjT5_S1A_jjP12ihipStream_tbEUljE_EEESV_SW_SX_S14_S18_S1A_T6_T7_T9_mT8_S1C_bDpT10_ENKUlT_T0_E_clISt17integral_constantIbLb1EES1P_EEDaS1K_S1L_EUlS1K_E_NS1_11comp_targetILNS1_3genE0ELNS1_11target_archE4294967295ELNS1_3gpuE0ELNS1_3repE0EEENS1_30default_config_static_selectorELNS0_4arch9wavefront6targetE1EEEvSY_.uses_flat_scratch, 0
	.set _ZN7rocprim17ROCPRIM_400000_NS6detail17trampoline_kernelINS0_13select_configILj256ELj13ELNS0_17block_load_methodE3ELS4_3ELS4_3ELNS0_20block_scan_algorithmE0ELj4294967295EEENS1_25partition_config_selectorILNS1_17partition_subalgoE3EjNS0_10empty_typeEbEEZZNS1_14partition_implILS8_3ELb0ES6_jNS0_17counting_iteratorIjlEEPS9_SE_NS0_5tupleIJPjSE_EEENSF_IJSE_SE_EEES9_SG_JZNS1_25segmented_radix_sort_implINS0_14default_configELb0EPKhPhPKlPlN2at6native12_GLOBAL__N_18offset_tEEE10hipError_tPvRmT1_PNSt15iterator_traitsISY_E10value_typeET2_T3_PNSZ_IS14_E10value_typeET4_jRbjT5_S1A_jjP12ihipStream_tbEUljE_EEESV_SW_SX_S14_S18_S1A_T6_T7_T9_mT8_S1C_bDpT10_ENKUlT_T0_E_clISt17integral_constantIbLb1EES1P_EEDaS1K_S1L_EUlS1K_E_NS1_11comp_targetILNS1_3genE0ELNS1_11target_archE4294967295ELNS1_3gpuE0ELNS1_3repE0EEENS1_30default_config_static_selectorELNS0_4arch9wavefront6targetE1EEEvSY_.has_dyn_sized_stack, 0
	.set _ZN7rocprim17ROCPRIM_400000_NS6detail17trampoline_kernelINS0_13select_configILj256ELj13ELNS0_17block_load_methodE3ELS4_3ELS4_3ELNS0_20block_scan_algorithmE0ELj4294967295EEENS1_25partition_config_selectorILNS1_17partition_subalgoE3EjNS0_10empty_typeEbEEZZNS1_14partition_implILS8_3ELb0ES6_jNS0_17counting_iteratorIjlEEPS9_SE_NS0_5tupleIJPjSE_EEENSF_IJSE_SE_EEES9_SG_JZNS1_25segmented_radix_sort_implINS0_14default_configELb0EPKhPhPKlPlN2at6native12_GLOBAL__N_18offset_tEEE10hipError_tPvRmT1_PNSt15iterator_traitsISY_E10value_typeET2_T3_PNSZ_IS14_E10value_typeET4_jRbjT5_S1A_jjP12ihipStream_tbEUljE_EEESV_SW_SX_S14_S18_S1A_T6_T7_T9_mT8_S1C_bDpT10_ENKUlT_T0_E_clISt17integral_constantIbLb1EES1P_EEDaS1K_S1L_EUlS1K_E_NS1_11comp_targetILNS1_3genE0ELNS1_11target_archE4294967295ELNS1_3gpuE0ELNS1_3repE0EEENS1_30default_config_static_selectorELNS0_4arch9wavefront6targetE1EEEvSY_.has_recursion, 0
	.set _ZN7rocprim17ROCPRIM_400000_NS6detail17trampoline_kernelINS0_13select_configILj256ELj13ELNS0_17block_load_methodE3ELS4_3ELS4_3ELNS0_20block_scan_algorithmE0ELj4294967295EEENS1_25partition_config_selectorILNS1_17partition_subalgoE3EjNS0_10empty_typeEbEEZZNS1_14partition_implILS8_3ELb0ES6_jNS0_17counting_iteratorIjlEEPS9_SE_NS0_5tupleIJPjSE_EEENSF_IJSE_SE_EEES9_SG_JZNS1_25segmented_radix_sort_implINS0_14default_configELb0EPKhPhPKlPlN2at6native12_GLOBAL__N_18offset_tEEE10hipError_tPvRmT1_PNSt15iterator_traitsISY_E10value_typeET2_T3_PNSZ_IS14_E10value_typeET4_jRbjT5_S1A_jjP12ihipStream_tbEUljE_EEESV_SW_SX_S14_S18_S1A_T6_T7_T9_mT8_S1C_bDpT10_ENKUlT_T0_E_clISt17integral_constantIbLb1EES1P_EEDaS1K_S1L_EUlS1K_E_NS1_11comp_targetILNS1_3genE0ELNS1_11target_archE4294967295ELNS1_3gpuE0ELNS1_3repE0EEENS1_30default_config_static_selectorELNS0_4arch9wavefront6targetE1EEEvSY_.has_indirect_call, 0
	.section	.AMDGPU.csdata,"",@progbits
; Kernel info:
; codeLenInByte = 0
; TotalNumSgprs: 4
; NumVgprs: 0
; ScratchSize: 0
; MemoryBound: 0
; FloatMode: 240
; IeeeMode: 1
; LDSByteSize: 0 bytes/workgroup (compile time only)
; SGPRBlocks: 0
; VGPRBlocks: 0
; NumSGPRsForWavesPerEU: 4
; NumVGPRsForWavesPerEU: 1
; Occupancy: 10
; WaveLimiterHint : 0
; COMPUTE_PGM_RSRC2:SCRATCH_EN: 0
; COMPUTE_PGM_RSRC2:USER_SGPR: 6
; COMPUTE_PGM_RSRC2:TRAP_HANDLER: 0
; COMPUTE_PGM_RSRC2:TGID_X_EN: 1
; COMPUTE_PGM_RSRC2:TGID_Y_EN: 0
; COMPUTE_PGM_RSRC2:TGID_Z_EN: 0
; COMPUTE_PGM_RSRC2:TIDIG_COMP_CNT: 0
	.section	.text._ZN7rocprim17ROCPRIM_400000_NS6detail17trampoline_kernelINS0_13select_configILj256ELj13ELNS0_17block_load_methodE3ELS4_3ELS4_3ELNS0_20block_scan_algorithmE0ELj4294967295EEENS1_25partition_config_selectorILNS1_17partition_subalgoE3EjNS0_10empty_typeEbEEZZNS1_14partition_implILS8_3ELb0ES6_jNS0_17counting_iteratorIjlEEPS9_SE_NS0_5tupleIJPjSE_EEENSF_IJSE_SE_EEES9_SG_JZNS1_25segmented_radix_sort_implINS0_14default_configELb0EPKhPhPKlPlN2at6native12_GLOBAL__N_18offset_tEEE10hipError_tPvRmT1_PNSt15iterator_traitsISY_E10value_typeET2_T3_PNSZ_IS14_E10value_typeET4_jRbjT5_S1A_jjP12ihipStream_tbEUljE_EEESV_SW_SX_S14_S18_S1A_T6_T7_T9_mT8_S1C_bDpT10_ENKUlT_T0_E_clISt17integral_constantIbLb1EES1P_EEDaS1K_S1L_EUlS1K_E_NS1_11comp_targetILNS1_3genE5ELNS1_11target_archE942ELNS1_3gpuE9ELNS1_3repE0EEENS1_30default_config_static_selectorELNS0_4arch9wavefront6targetE1EEEvSY_,"axG",@progbits,_ZN7rocprim17ROCPRIM_400000_NS6detail17trampoline_kernelINS0_13select_configILj256ELj13ELNS0_17block_load_methodE3ELS4_3ELS4_3ELNS0_20block_scan_algorithmE0ELj4294967295EEENS1_25partition_config_selectorILNS1_17partition_subalgoE3EjNS0_10empty_typeEbEEZZNS1_14partition_implILS8_3ELb0ES6_jNS0_17counting_iteratorIjlEEPS9_SE_NS0_5tupleIJPjSE_EEENSF_IJSE_SE_EEES9_SG_JZNS1_25segmented_radix_sort_implINS0_14default_configELb0EPKhPhPKlPlN2at6native12_GLOBAL__N_18offset_tEEE10hipError_tPvRmT1_PNSt15iterator_traitsISY_E10value_typeET2_T3_PNSZ_IS14_E10value_typeET4_jRbjT5_S1A_jjP12ihipStream_tbEUljE_EEESV_SW_SX_S14_S18_S1A_T6_T7_T9_mT8_S1C_bDpT10_ENKUlT_T0_E_clISt17integral_constantIbLb1EES1P_EEDaS1K_S1L_EUlS1K_E_NS1_11comp_targetILNS1_3genE5ELNS1_11target_archE942ELNS1_3gpuE9ELNS1_3repE0EEENS1_30default_config_static_selectorELNS0_4arch9wavefront6targetE1EEEvSY_,comdat
	.globl	_ZN7rocprim17ROCPRIM_400000_NS6detail17trampoline_kernelINS0_13select_configILj256ELj13ELNS0_17block_load_methodE3ELS4_3ELS4_3ELNS0_20block_scan_algorithmE0ELj4294967295EEENS1_25partition_config_selectorILNS1_17partition_subalgoE3EjNS0_10empty_typeEbEEZZNS1_14partition_implILS8_3ELb0ES6_jNS0_17counting_iteratorIjlEEPS9_SE_NS0_5tupleIJPjSE_EEENSF_IJSE_SE_EEES9_SG_JZNS1_25segmented_radix_sort_implINS0_14default_configELb0EPKhPhPKlPlN2at6native12_GLOBAL__N_18offset_tEEE10hipError_tPvRmT1_PNSt15iterator_traitsISY_E10value_typeET2_T3_PNSZ_IS14_E10value_typeET4_jRbjT5_S1A_jjP12ihipStream_tbEUljE_EEESV_SW_SX_S14_S18_S1A_T6_T7_T9_mT8_S1C_bDpT10_ENKUlT_T0_E_clISt17integral_constantIbLb1EES1P_EEDaS1K_S1L_EUlS1K_E_NS1_11comp_targetILNS1_3genE5ELNS1_11target_archE942ELNS1_3gpuE9ELNS1_3repE0EEENS1_30default_config_static_selectorELNS0_4arch9wavefront6targetE1EEEvSY_ ; -- Begin function _ZN7rocprim17ROCPRIM_400000_NS6detail17trampoline_kernelINS0_13select_configILj256ELj13ELNS0_17block_load_methodE3ELS4_3ELS4_3ELNS0_20block_scan_algorithmE0ELj4294967295EEENS1_25partition_config_selectorILNS1_17partition_subalgoE3EjNS0_10empty_typeEbEEZZNS1_14partition_implILS8_3ELb0ES6_jNS0_17counting_iteratorIjlEEPS9_SE_NS0_5tupleIJPjSE_EEENSF_IJSE_SE_EEES9_SG_JZNS1_25segmented_radix_sort_implINS0_14default_configELb0EPKhPhPKlPlN2at6native12_GLOBAL__N_18offset_tEEE10hipError_tPvRmT1_PNSt15iterator_traitsISY_E10value_typeET2_T3_PNSZ_IS14_E10value_typeET4_jRbjT5_S1A_jjP12ihipStream_tbEUljE_EEESV_SW_SX_S14_S18_S1A_T6_T7_T9_mT8_S1C_bDpT10_ENKUlT_T0_E_clISt17integral_constantIbLb1EES1P_EEDaS1K_S1L_EUlS1K_E_NS1_11comp_targetILNS1_3genE5ELNS1_11target_archE942ELNS1_3gpuE9ELNS1_3repE0EEENS1_30default_config_static_selectorELNS0_4arch9wavefront6targetE1EEEvSY_
	.p2align	8
	.type	_ZN7rocprim17ROCPRIM_400000_NS6detail17trampoline_kernelINS0_13select_configILj256ELj13ELNS0_17block_load_methodE3ELS4_3ELS4_3ELNS0_20block_scan_algorithmE0ELj4294967295EEENS1_25partition_config_selectorILNS1_17partition_subalgoE3EjNS0_10empty_typeEbEEZZNS1_14partition_implILS8_3ELb0ES6_jNS0_17counting_iteratorIjlEEPS9_SE_NS0_5tupleIJPjSE_EEENSF_IJSE_SE_EEES9_SG_JZNS1_25segmented_radix_sort_implINS0_14default_configELb0EPKhPhPKlPlN2at6native12_GLOBAL__N_18offset_tEEE10hipError_tPvRmT1_PNSt15iterator_traitsISY_E10value_typeET2_T3_PNSZ_IS14_E10value_typeET4_jRbjT5_S1A_jjP12ihipStream_tbEUljE_EEESV_SW_SX_S14_S18_S1A_T6_T7_T9_mT8_S1C_bDpT10_ENKUlT_T0_E_clISt17integral_constantIbLb1EES1P_EEDaS1K_S1L_EUlS1K_E_NS1_11comp_targetILNS1_3genE5ELNS1_11target_archE942ELNS1_3gpuE9ELNS1_3repE0EEENS1_30default_config_static_selectorELNS0_4arch9wavefront6targetE1EEEvSY_,@function
_ZN7rocprim17ROCPRIM_400000_NS6detail17trampoline_kernelINS0_13select_configILj256ELj13ELNS0_17block_load_methodE3ELS4_3ELS4_3ELNS0_20block_scan_algorithmE0ELj4294967295EEENS1_25partition_config_selectorILNS1_17partition_subalgoE3EjNS0_10empty_typeEbEEZZNS1_14partition_implILS8_3ELb0ES6_jNS0_17counting_iteratorIjlEEPS9_SE_NS0_5tupleIJPjSE_EEENSF_IJSE_SE_EEES9_SG_JZNS1_25segmented_radix_sort_implINS0_14default_configELb0EPKhPhPKlPlN2at6native12_GLOBAL__N_18offset_tEEE10hipError_tPvRmT1_PNSt15iterator_traitsISY_E10value_typeET2_T3_PNSZ_IS14_E10value_typeET4_jRbjT5_S1A_jjP12ihipStream_tbEUljE_EEESV_SW_SX_S14_S18_S1A_T6_T7_T9_mT8_S1C_bDpT10_ENKUlT_T0_E_clISt17integral_constantIbLb1EES1P_EEDaS1K_S1L_EUlS1K_E_NS1_11comp_targetILNS1_3genE5ELNS1_11target_archE942ELNS1_3gpuE9ELNS1_3repE0EEENS1_30default_config_static_selectorELNS0_4arch9wavefront6targetE1EEEvSY_: ; @_ZN7rocprim17ROCPRIM_400000_NS6detail17trampoline_kernelINS0_13select_configILj256ELj13ELNS0_17block_load_methodE3ELS4_3ELS4_3ELNS0_20block_scan_algorithmE0ELj4294967295EEENS1_25partition_config_selectorILNS1_17partition_subalgoE3EjNS0_10empty_typeEbEEZZNS1_14partition_implILS8_3ELb0ES6_jNS0_17counting_iteratorIjlEEPS9_SE_NS0_5tupleIJPjSE_EEENSF_IJSE_SE_EEES9_SG_JZNS1_25segmented_radix_sort_implINS0_14default_configELb0EPKhPhPKlPlN2at6native12_GLOBAL__N_18offset_tEEE10hipError_tPvRmT1_PNSt15iterator_traitsISY_E10value_typeET2_T3_PNSZ_IS14_E10value_typeET4_jRbjT5_S1A_jjP12ihipStream_tbEUljE_EEESV_SW_SX_S14_S18_S1A_T6_T7_T9_mT8_S1C_bDpT10_ENKUlT_T0_E_clISt17integral_constantIbLb1EES1P_EEDaS1K_S1L_EUlS1K_E_NS1_11comp_targetILNS1_3genE5ELNS1_11target_archE942ELNS1_3gpuE9ELNS1_3repE0EEENS1_30default_config_static_selectorELNS0_4arch9wavefront6targetE1EEEvSY_
; %bb.0:
	.section	.rodata,"a",@progbits
	.p2align	6, 0x0
	.amdhsa_kernel _ZN7rocprim17ROCPRIM_400000_NS6detail17trampoline_kernelINS0_13select_configILj256ELj13ELNS0_17block_load_methodE3ELS4_3ELS4_3ELNS0_20block_scan_algorithmE0ELj4294967295EEENS1_25partition_config_selectorILNS1_17partition_subalgoE3EjNS0_10empty_typeEbEEZZNS1_14partition_implILS8_3ELb0ES6_jNS0_17counting_iteratorIjlEEPS9_SE_NS0_5tupleIJPjSE_EEENSF_IJSE_SE_EEES9_SG_JZNS1_25segmented_radix_sort_implINS0_14default_configELb0EPKhPhPKlPlN2at6native12_GLOBAL__N_18offset_tEEE10hipError_tPvRmT1_PNSt15iterator_traitsISY_E10value_typeET2_T3_PNSZ_IS14_E10value_typeET4_jRbjT5_S1A_jjP12ihipStream_tbEUljE_EEESV_SW_SX_S14_S18_S1A_T6_T7_T9_mT8_S1C_bDpT10_ENKUlT_T0_E_clISt17integral_constantIbLb1EES1P_EEDaS1K_S1L_EUlS1K_E_NS1_11comp_targetILNS1_3genE5ELNS1_11target_archE942ELNS1_3gpuE9ELNS1_3repE0EEENS1_30default_config_static_selectorELNS0_4arch9wavefront6targetE1EEEvSY_
		.amdhsa_group_segment_fixed_size 0
		.amdhsa_private_segment_fixed_size 0
		.amdhsa_kernarg_size 152
		.amdhsa_user_sgpr_count 6
		.amdhsa_user_sgpr_private_segment_buffer 1
		.amdhsa_user_sgpr_dispatch_ptr 0
		.amdhsa_user_sgpr_queue_ptr 0
		.amdhsa_user_sgpr_kernarg_segment_ptr 1
		.amdhsa_user_sgpr_dispatch_id 0
		.amdhsa_user_sgpr_flat_scratch_init 0
		.amdhsa_user_sgpr_private_segment_size 0
		.amdhsa_uses_dynamic_stack 0
		.amdhsa_system_sgpr_private_segment_wavefront_offset 0
		.amdhsa_system_sgpr_workgroup_id_x 1
		.amdhsa_system_sgpr_workgroup_id_y 0
		.amdhsa_system_sgpr_workgroup_id_z 0
		.amdhsa_system_sgpr_workgroup_info 0
		.amdhsa_system_vgpr_workitem_id 0
		.amdhsa_next_free_vgpr 1
		.amdhsa_next_free_sgpr 0
		.amdhsa_reserve_vcc 0
		.amdhsa_reserve_flat_scratch 0
		.amdhsa_float_round_mode_32 0
		.amdhsa_float_round_mode_16_64 0
		.amdhsa_float_denorm_mode_32 3
		.amdhsa_float_denorm_mode_16_64 3
		.amdhsa_dx10_clamp 1
		.amdhsa_ieee_mode 1
		.amdhsa_fp16_overflow 0
		.amdhsa_exception_fp_ieee_invalid_op 0
		.amdhsa_exception_fp_denorm_src 0
		.amdhsa_exception_fp_ieee_div_zero 0
		.amdhsa_exception_fp_ieee_overflow 0
		.amdhsa_exception_fp_ieee_underflow 0
		.amdhsa_exception_fp_ieee_inexact 0
		.amdhsa_exception_int_div_zero 0
	.end_amdhsa_kernel
	.section	.text._ZN7rocprim17ROCPRIM_400000_NS6detail17trampoline_kernelINS0_13select_configILj256ELj13ELNS0_17block_load_methodE3ELS4_3ELS4_3ELNS0_20block_scan_algorithmE0ELj4294967295EEENS1_25partition_config_selectorILNS1_17partition_subalgoE3EjNS0_10empty_typeEbEEZZNS1_14partition_implILS8_3ELb0ES6_jNS0_17counting_iteratorIjlEEPS9_SE_NS0_5tupleIJPjSE_EEENSF_IJSE_SE_EEES9_SG_JZNS1_25segmented_radix_sort_implINS0_14default_configELb0EPKhPhPKlPlN2at6native12_GLOBAL__N_18offset_tEEE10hipError_tPvRmT1_PNSt15iterator_traitsISY_E10value_typeET2_T3_PNSZ_IS14_E10value_typeET4_jRbjT5_S1A_jjP12ihipStream_tbEUljE_EEESV_SW_SX_S14_S18_S1A_T6_T7_T9_mT8_S1C_bDpT10_ENKUlT_T0_E_clISt17integral_constantIbLb1EES1P_EEDaS1K_S1L_EUlS1K_E_NS1_11comp_targetILNS1_3genE5ELNS1_11target_archE942ELNS1_3gpuE9ELNS1_3repE0EEENS1_30default_config_static_selectorELNS0_4arch9wavefront6targetE1EEEvSY_,"axG",@progbits,_ZN7rocprim17ROCPRIM_400000_NS6detail17trampoline_kernelINS0_13select_configILj256ELj13ELNS0_17block_load_methodE3ELS4_3ELS4_3ELNS0_20block_scan_algorithmE0ELj4294967295EEENS1_25partition_config_selectorILNS1_17partition_subalgoE3EjNS0_10empty_typeEbEEZZNS1_14partition_implILS8_3ELb0ES6_jNS0_17counting_iteratorIjlEEPS9_SE_NS0_5tupleIJPjSE_EEENSF_IJSE_SE_EEES9_SG_JZNS1_25segmented_radix_sort_implINS0_14default_configELb0EPKhPhPKlPlN2at6native12_GLOBAL__N_18offset_tEEE10hipError_tPvRmT1_PNSt15iterator_traitsISY_E10value_typeET2_T3_PNSZ_IS14_E10value_typeET4_jRbjT5_S1A_jjP12ihipStream_tbEUljE_EEESV_SW_SX_S14_S18_S1A_T6_T7_T9_mT8_S1C_bDpT10_ENKUlT_T0_E_clISt17integral_constantIbLb1EES1P_EEDaS1K_S1L_EUlS1K_E_NS1_11comp_targetILNS1_3genE5ELNS1_11target_archE942ELNS1_3gpuE9ELNS1_3repE0EEENS1_30default_config_static_selectorELNS0_4arch9wavefront6targetE1EEEvSY_,comdat
.Lfunc_end163:
	.size	_ZN7rocprim17ROCPRIM_400000_NS6detail17trampoline_kernelINS0_13select_configILj256ELj13ELNS0_17block_load_methodE3ELS4_3ELS4_3ELNS0_20block_scan_algorithmE0ELj4294967295EEENS1_25partition_config_selectorILNS1_17partition_subalgoE3EjNS0_10empty_typeEbEEZZNS1_14partition_implILS8_3ELb0ES6_jNS0_17counting_iteratorIjlEEPS9_SE_NS0_5tupleIJPjSE_EEENSF_IJSE_SE_EEES9_SG_JZNS1_25segmented_radix_sort_implINS0_14default_configELb0EPKhPhPKlPlN2at6native12_GLOBAL__N_18offset_tEEE10hipError_tPvRmT1_PNSt15iterator_traitsISY_E10value_typeET2_T3_PNSZ_IS14_E10value_typeET4_jRbjT5_S1A_jjP12ihipStream_tbEUljE_EEESV_SW_SX_S14_S18_S1A_T6_T7_T9_mT8_S1C_bDpT10_ENKUlT_T0_E_clISt17integral_constantIbLb1EES1P_EEDaS1K_S1L_EUlS1K_E_NS1_11comp_targetILNS1_3genE5ELNS1_11target_archE942ELNS1_3gpuE9ELNS1_3repE0EEENS1_30default_config_static_selectorELNS0_4arch9wavefront6targetE1EEEvSY_, .Lfunc_end163-_ZN7rocprim17ROCPRIM_400000_NS6detail17trampoline_kernelINS0_13select_configILj256ELj13ELNS0_17block_load_methodE3ELS4_3ELS4_3ELNS0_20block_scan_algorithmE0ELj4294967295EEENS1_25partition_config_selectorILNS1_17partition_subalgoE3EjNS0_10empty_typeEbEEZZNS1_14partition_implILS8_3ELb0ES6_jNS0_17counting_iteratorIjlEEPS9_SE_NS0_5tupleIJPjSE_EEENSF_IJSE_SE_EEES9_SG_JZNS1_25segmented_radix_sort_implINS0_14default_configELb0EPKhPhPKlPlN2at6native12_GLOBAL__N_18offset_tEEE10hipError_tPvRmT1_PNSt15iterator_traitsISY_E10value_typeET2_T3_PNSZ_IS14_E10value_typeET4_jRbjT5_S1A_jjP12ihipStream_tbEUljE_EEESV_SW_SX_S14_S18_S1A_T6_T7_T9_mT8_S1C_bDpT10_ENKUlT_T0_E_clISt17integral_constantIbLb1EES1P_EEDaS1K_S1L_EUlS1K_E_NS1_11comp_targetILNS1_3genE5ELNS1_11target_archE942ELNS1_3gpuE9ELNS1_3repE0EEENS1_30default_config_static_selectorELNS0_4arch9wavefront6targetE1EEEvSY_
                                        ; -- End function
	.set _ZN7rocprim17ROCPRIM_400000_NS6detail17trampoline_kernelINS0_13select_configILj256ELj13ELNS0_17block_load_methodE3ELS4_3ELS4_3ELNS0_20block_scan_algorithmE0ELj4294967295EEENS1_25partition_config_selectorILNS1_17partition_subalgoE3EjNS0_10empty_typeEbEEZZNS1_14partition_implILS8_3ELb0ES6_jNS0_17counting_iteratorIjlEEPS9_SE_NS0_5tupleIJPjSE_EEENSF_IJSE_SE_EEES9_SG_JZNS1_25segmented_radix_sort_implINS0_14default_configELb0EPKhPhPKlPlN2at6native12_GLOBAL__N_18offset_tEEE10hipError_tPvRmT1_PNSt15iterator_traitsISY_E10value_typeET2_T3_PNSZ_IS14_E10value_typeET4_jRbjT5_S1A_jjP12ihipStream_tbEUljE_EEESV_SW_SX_S14_S18_S1A_T6_T7_T9_mT8_S1C_bDpT10_ENKUlT_T0_E_clISt17integral_constantIbLb1EES1P_EEDaS1K_S1L_EUlS1K_E_NS1_11comp_targetILNS1_3genE5ELNS1_11target_archE942ELNS1_3gpuE9ELNS1_3repE0EEENS1_30default_config_static_selectorELNS0_4arch9wavefront6targetE1EEEvSY_.num_vgpr, 0
	.set _ZN7rocprim17ROCPRIM_400000_NS6detail17trampoline_kernelINS0_13select_configILj256ELj13ELNS0_17block_load_methodE3ELS4_3ELS4_3ELNS0_20block_scan_algorithmE0ELj4294967295EEENS1_25partition_config_selectorILNS1_17partition_subalgoE3EjNS0_10empty_typeEbEEZZNS1_14partition_implILS8_3ELb0ES6_jNS0_17counting_iteratorIjlEEPS9_SE_NS0_5tupleIJPjSE_EEENSF_IJSE_SE_EEES9_SG_JZNS1_25segmented_radix_sort_implINS0_14default_configELb0EPKhPhPKlPlN2at6native12_GLOBAL__N_18offset_tEEE10hipError_tPvRmT1_PNSt15iterator_traitsISY_E10value_typeET2_T3_PNSZ_IS14_E10value_typeET4_jRbjT5_S1A_jjP12ihipStream_tbEUljE_EEESV_SW_SX_S14_S18_S1A_T6_T7_T9_mT8_S1C_bDpT10_ENKUlT_T0_E_clISt17integral_constantIbLb1EES1P_EEDaS1K_S1L_EUlS1K_E_NS1_11comp_targetILNS1_3genE5ELNS1_11target_archE942ELNS1_3gpuE9ELNS1_3repE0EEENS1_30default_config_static_selectorELNS0_4arch9wavefront6targetE1EEEvSY_.num_agpr, 0
	.set _ZN7rocprim17ROCPRIM_400000_NS6detail17trampoline_kernelINS0_13select_configILj256ELj13ELNS0_17block_load_methodE3ELS4_3ELS4_3ELNS0_20block_scan_algorithmE0ELj4294967295EEENS1_25partition_config_selectorILNS1_17partition_subalgoE3EjNS0_10empty_typeEbEEZZNS1_14partition_implILS8_3ELb0ES6_jNS0_17counting_iteratorIjlEEPS9_SE_NS0_5tupleIJPjSE_EEENSF_IJSE_SE_EEES9_SG_JZNS1_25segmented_radix_sort_implINS0_14default_configELb0EPKhPhPKlPlN2at6native12_GLOBAL__N_18offset_tEEE10hipError_tPvRmT1_PNSt15iterator_traitsISY_E10value_typeET2_T3_PNSZ_IS14_E10value_typeET4_jRbjT5_S1A_jjP12ihipStream_tbEUljE_EEESV_SW_SX_S14_S18_S1A_T6_T7_T9_mT8_S1C_bDpT10_ENKUlT_T0_E_clISt17integral_constantIbLb1EES1P_EEDaS1K_S1L_EUlS1K_E_NS1_11comp_targetILNS1_3genE5ELNS1_11target_archE942ELNS1_3gpuE9ELNS1_3repE0EEENS1_30default_config_static_selectorELNS0_4arch9wavefront6targetE1EEEvSY_.numbered_sgpr, 0
	.set _ZN7rocprim17ROCPRIM_400000_NS6detail17trampoline_kernelINS0_13select_configILj256ELj13ELNS0_17block_load_methodE3ELS4_3ELS4_3ELNS0_20block_scan_algorithmE0ELj4294967295EEENS1_25partition_config_selectorILNS1_17partition_subalgoE3EjNS0_10empty_typeEbEEZZNS1_14partition_implILS8_3ELb0ES6_jNS0_17counting_iteratorIjlEEPS9_SE_NS0_5tupleIJPjSE_EEENSF_IJSE_SE_EEES9_SG_JZNS1_25segmented_radix_sort_implINS0_14default_configELb0EPKhPhPKlPlN2at6native12_GLOBAL__N_18offset_tEEE10hipError_tPvRmT1_PNSt15iterator_traitsISY_E10value_typeET2_T3_PNSZ_IS14_E10value_typeET4_jRbjT5_S1A_jjP12ihipStream_tbEUljE_EEESV_SW_SX_S14_S18_S1A_T6_T7_T9_mT8_S1C_bDpT10_ENKUlT_T0_E_clISt17integral_constantIbLb1EES1P_EEDaS1K_S1L_EUlS1K_E_NS1_11comp_targetILNS1_3genE5ELNS1_11target_archE942ELNS1_3gpuE9ELNS1_3repE0EEENS1_30default_config_static_selectorELNS0_4arch9wavefront6targetE1EEEvSY_.num_named_barrier, 0
	.set _ZN7rocprim17ROCPRIM_400000_NS6detail17trampoline_kernelINS0_13select_configILj256ELj13ELNS0_17block_load_methodE3ELS4_3ELS4_3ELNS0_20block_scan_algorithmE0ELj4294967295EEENS1_25partition_config_selectorILNS1_17partition_subalgoE3EjNS0_10empty_typeEbEEZZNS1_14partition_implILS8_3ELb0ES6_jNS0_17counting_iteratorIjlEEPS9_SE_NS0_5tupleIJPjSE_EEENSF_IJSE_SE_EEES9_SG_JZNS1_25segmented_radix_sort_implINS0_14default_configELb0EPKhPhPKlPlN2at6native12_GLOBAL__N_18offset_tEEE10hipError_tPvRmT1_PNSt15iterator_traitsISY_E10value_typeET2_T3_PNSZ_IS14_E10value_typeET4_jRbjT5_S1A_jjP12ihipStream_tbEUljE_EEESV_SW_SX_S14_S18_S1A_T6_T7_T9_mT8_S1C_bDpT10_ENKUlT_T0_E_clISt17integral_constantIbLb1EES1P_EEDaS1K_S1L_EUlS1K_E_NS1_11comp_targetILNS1_3genE5ELNS1_11target_archE942ELNS1_3gpuE9ELNS1_3repE0EEENS1_30default_config_static_selectorELNS0_4arch9wavefront6targetE1EEEvSY_.private_seg_size, 0
	.set _ZN7rocprim17ROCPRIM_400000_NS6detail17trampoline_kernelINS0_13select_configILj256ELj13ELNS0_17block_load_methodE3ELS4_3ELS4_3ELNS0_20block_scan_algorithmE0ELj4294967295EEENS1_25partition_config_selectorILNS1_17partition_subalgoE3EjNS0_10empty_typeEbEEZZNS1_14partition_implILS8_3ELb0ES6_jNS0_17counting_iteratorIjlEEPS9_SE_NS0_5tupleIJPjSE_EEENSF_IJSE_SE_EEES9_SG_JZNS1_25segmented_radix_sort_implINS0_14default_configELb0EPKhPhPKlPlN2at6native12_GLOBAL__N_18offset_tEEE10hipError_tPvRmT1_PNSt15iterator_traitsISY_E10value_typeET2_T3_PNSZ_IS14_E10value_typeET4_jRbjT5_S1A_jjP12ihipStream_tbEUljE_EEESV_SW_SX_S14_S18_S1A_T6_T7_T9_mT8_S1C_bDpT10_ENKUlT_T0_E_clISt17integral_constantIbLb1EES1P_EEDaS1K_S1L_EUlS1K_E_NS1_11comp_targetILNS1_3genE5ELNS1_11target_archE942ELNS1_3gpuE9ELNS1_3repE0EEENS1_30default_config_static_selectorELNS0_4arch9wavefront6targetE1EEEvSY_.uses_vcc, 0
	.set _ZN7rocprim17ROCPRIM_400000_NS6detail17trampoline_kernelINS0_13select_configILj256ELj13ELNS0_17block_load_methodE3ELS4_3ELS4_3ELNS0_20block_scan_algorithmE0ELj4294967295EEENS1_25partition_config_selectorILNS1_17partition_subalgoE3EjNS0_10empty_typeEbEEZZNS1_14partition_implILS8_3ELb0ES6_jNS0_17counting_iteratorIjlEEPS9_SE_NS0_5tupleIJPjSE_EEENSF_IJSE_SE_EEES9_SG_JZNS1_25segmented_radix_sort_implINS0_14default_configELb0EPKhPhPKlPlN2at6native12_GLOBAL__N_18offset_tEEE10hipError_tPvRmT1_PNSt15iterator_traitsISY_E10value_typeET2_T3_PNSZ_IS14_E10value_typeET4_jRbjT5_S1A_jjP12ihipStream_tbEUljE_EEESV_SW_SX_S14_S18_S1A_T6_T7_T9_mT8_S1C_bDpT10_ENKUlT_T0_E_clISt17integral_constantIbLb1EES1P_EEDaS1K_S1L_EUlS1K_E_NS1_11comp_targetILNS1_3genE5ELNS1_11target_archE942ELNS1_3gpuE9ELNS1_3repE0EEENS1_30default_config_static_selectorELNS0_4arch9wavefront6targetE1EEEvSY_.uses_flat_scratch, 0
	.set _ZN7rocprim17ROCPRIM_400000_NS6detail17trampoline_kernelINS0_13select_configILj256ELj13ELNS0_17block_load_methodE3ELS4_3ELS4_3ELNS0_20block_scan_algorithmE0ELj4294967295EEENS1_25partition_config_selectorILNS1_17partition_subalgoE3EjNS0_10empty_typeEbEEZZNS1_14partition_implILS8_3ELb0ES6_jNS0_17counting_iteratorIjlEEPS9_SE_NS0_5tupleIJPjSE_EEENSF_IJSE_SE_EEES9_SG_JZNS1_25segmented_radix_sort_implINS0_14default_configELb0EPKhPhPKlPlN2at6native12_GLOBAL__N_18offset_tEEE10hipError_tPvRmT1_PNSt15iterator_traitsISY_E10value_typeET2_T3_PNSZ_IS14_E10value_typeET4_jRbjT5_S1A_jjP12ihipStream_tbEUljE_EEESV_SW_SX_S14_S18_S1A_T6_T7_T9_mT8_S1C_bDpT10_ENKUlT_T0_E_clISt17integral_constantIbLb1EES1P_EEDaS1K_S1L_EUlS1K_E_NS1_11comp_targetILNS1_3genE5ELNS1_11target_archE942ELNS1_3gpuE9ELNS1_3repE0EEENS1_30default_config_static_selectorELNS0_4arch9wavefront6targetE1EEEvSY_.has_dyn_sized_stack, 0
	.set _ZN7rocprim17ROCPRIM_400000_NS6detail17trampoline_kernelINS0_13select_configILj256ELj13ELNS0_17block_load_methodE3ELS4_3ELS4_3ELNS0_20block_scan_algorithmE0ELj4294967295EEENS1_25partition_config_selectorILNS1_17partition_subalgoE3EjNS0_10empty_typeEbEEZZNS1_14partition_implILS8_3ELb0ES6_jNS0_17counting_iteratorIjlEEPS9_SE_NS0_5tupleIJPjSE_EEENSF_IJSE_SE_EEES9_SG_JZNS1_25segmented_radix_sort_implINS0_14default_configELb0EPKhPhPKlPlN2at6native12_GLOBAL__N_18offset_tEEE10hipError_tPvRmT1_PNSt15iterator_traitsISY_E10value_typeET2_T3_PNSZ_IS14_E10value_typeET4_jRbjT5_S1A_jjP12ihipStream_tbEUljE_EEESV_SW_SX_S14_S18_S1A_T6_T7_T9_mT8_S1C_bDpT10_ENKUlT_T0_E_clISt17integral_constantIbLb1EES1P_EEDaS1K_S1L_EUlS1K_E_NS1_11comp_targetILNS1_3genE5ELNS1_11target_archE942ELNS1_3gpuE9ELNS1_3repE0EEENS1_30default_config_static_selectorELNS0_4arch9wavefront6targetE1EEEvSY_.has_recursion, 0
	.set _ZN7rocprim17ROCPRIM_400000_NS6detail17trampoline_kernelINS0_13select_configILj256ELj13ELNS0_17block_load_methodE3ELS4_3ELS4_3ELNS0_20block_scan_algorithmE0ELj4294967295EEENS1_25partition_config_selectorILNS1_17partition_subalgoE3EjNS0_10empty_typeEbEEZZNS1_14partition_implILS8_3ELb0ES6_jNS0_17counting_iteratorIjlEEPS9_SE_NS0_5tupleIJPjSE_EEENSF_IJSE_SE_EEES9_SG_JZNS1_25segmented_radix_sort_implINS0_14default_configELb0EPKhPhPKlPlN2at6native12_GLOBAL__N_18offset_tEEE10hipError_tPvRmT1_PNSt15iterator_traitsISY_E10value_typeET2_T3_PNSZ_IS14_E10value_typeET4_jRbjT5_S1A_jjP12ihipStream_tbEUljE_EEESV_SW_SX_S14_S18_S1A_T6_T7_T9_mT8_S1C_bDpT10_ENKUlT_T0_E_clISt17integral_constantIbLb1EES1P_EEDaS1K_S1L_EUlS1K_E_NS1_11comp_targetILNS1_3genE5ELNS1_11target_archE942ELNS1_3gpuE9ELNS1_3repE0EEENS1_30default_config_static_selectorELNS0_4arch9wavefront6targetE1EEEvSY_.has_indirect_call, 0
	.section	.AMDGPU.csdata,"",@progbits
; Kernel info:
; codeLenInByte = 0
; TotalNumSgprs: 4
; NumVgprs: 0
; ScratchSize: 0
; MemoryBound: 0
; FloatMode: 240
; IeeeMode: 1
; LDSByteSize: 0 bytes/workgroup (compile time only)
; SGPRBlocks: 0
; VGPRBlocks: 0
; NumSGPRsForWavesPerEU: 4
; NumVGPRsForWavesPerEU: 1
; Occupancy: 10
; WaveLimiterHint : 0
; COMPUTE_PGM_RSRC2:SCRATCH_EN: 0
; COMPUTE_PGM_RSRC2:USER_SGPR: 6
; COMPUTE_PGM_RSRC2:TRAP_HANDLER: 0
; COMPUTE_PGM_RSRC2:TGID_X_EN: 1
; COMPUTE_PGM_RSRC2:TGID_Y_EN: 0
; COMPUTE_PGM_RSRC2:TGID_Z_EN: 0
; COMPUTE_PGM_RSRC2:TIDIG_COMP_CNT: 0
	.section	.text._ZN7rocprim17ROCPRIM_400000_NS6detail17trampoline_kernelINS0_13select_configILj256ELj13ELNS0_17block_load_methodE3ELS4_3ELS4_3ELNS0_20block_scan_algorithmE0ELj4294967295EEENS1_25partition_config_selectorILNS1_17partition_subalgoE3EjNS0_10empty_typeEbEEZZNS1_14partition_implILS8_3ELb0ES6_jNS0_17counting_iteratorIjlEEPS9_SE_NS0_5tupleIJPjSE_EEENSF_IJSE_SE_EEES9_SG_JZNS1_25segmented_radix_sort_implINS0_14default_configELb0EPKhPhPKlPlN2at6native12_GLOBAL__N_18offset_tEEE10hipError_tPvRmT1_PNSt15iterator_traitsISY_E10value_typeET2_T3_PNSZ_IS14_E10value_typeET4_jRbjT5_S1A_jjP12ihipStream_tbEUljE_EEESV_SW_SX_S14_S18_S1A_T6_T7_T9_mT8_S1C_bDpT10_ENKUlT_T0_E_clISt17integral_constantIbLb1EES1P_EEDaS1K_S1L_EUlS1K_E_NS1_11comp_targetILNS1_3genE4ELNS1_11target_archE910ELNS1_3gpuE8ELNS1_3repE0EEENS1_30default_config_static_selectorELNS0_4arch9wavefront6targetE1EEEvSY_,"axG",@progbits,_ZN7rocprim17ROCPRIM_400000_NS6detail17trampoline_kernelINS0_13select_configILj256ELj13ELNS0_17block_load_methodE3ELS4_3ELS4_3ELNS0_20block_scan_algorithmE0ELj4294967295EEENS1_25partition_config_selectorILNS1_17partition_subalgoE3EjNS0_10empty_typeEbEEZZNS1_14partition_implILS8_3ELb0ES6_jNS0_17counting_iteratorIjlEEPS9_SE_NS0_5tupleIJPjSE_EEENSF_IJSE_SE_EEES9_SG_JZNS1_25segmented_radix_sort_implINS0_14default_configELb0EPKhPhPKlPlN2at6native12_GLOBAL__N_18offset_tEEE10hipError_tPvRmT1_PNSt15iterator_traitsISY_E10value_typeET2_T3_PNSZ_IS14_E10value_typeET4_jRbjT5_S1A_jjP12ihipStream_tbEUljE_EEESV_SW_SX_S14_S18_S1A_T6_T7_T9_mT8_S1C_bDpT10_ENKUlT_T0_E_clISt17integral_constantIbLb1EES1P_EEDaS1K_S1L_EUlS1K_E_NS1_11comp_targetILNS1_3genE4ELNS1_11target_archE910ELNS1_3gpuE8ELNS1_3repE0EEENS1_30default_config_static_selectorELNS0_4arch9wavefront6targetE1EEEvSY_,comdat
	.globl	_ZN7rocprim17ROCPRIM_400000_NS6detail17trampoline_kernelINS0_13select_configILj256ELj13ELNS0_17block_load_methodE3ELS4_3ELS4_3ELNS0_20block_scan_algorithmE0ELj4294967295EEENS1_25partition_config_selectorILNS1_17partition_subalgoE3EjNS0_10empty_typeEbEEZZNS1_14partition_implILS8_3ELb0ES6_jNS0_17counting_iteratorIjlEEPS9_SE_NS0_5tupleIJPjSE_EEENSF_IJSE_SE_EEES9_SG_JZNS1_25segmented_radix_sort_implINS0_14default_configELb0EPKhPhPKlPlN2at6native12_GLOBAL__N_18offset_tEEE10hipError_tPvRmT1_PNSt15iterator_traitsISY_E10value_typeET2_T3_PNSZ_IS14_E10value_typeET4_jRbjT5_S1A_jjP12ihipStream_tbEUljE_EEESV_SW_SX_S14_S18_S1A_T6_T7_T9_mT8_S1C_bDpT10_ENKUlT_T0_E_clISt17integral_constantIbLb1EES1P_EEDaS1K_S1L_EUlS1K_E_NS1_11comp_targetILNS1_3genE4ELNS1_11target_archE910ELNS1_3gpuE8ELNS1_3repE0EEENS1_30default_config_static_selectorELNS0_4arch9wavefront6targetE1EEEvSY_ ; -- Begin function _ZN7rocprim17ROCPRIM_400000_NS6detail17trampoline_kernelINS0_13select_configILj256ELj13ELNS0_17block_load_methodE3ELS4_3ELS4_3ELNS0_20block_scan_algorithmE0ELj4294967295EEENS1_25partition_config_selectorILNS1_17partition_subalgoE3EjNS0_10empty_typeEbEEZZNS1_14partition_implILS8_3ELb0ES6_jNS0_17counting_iteratorIjlEEPS9_SE_NS0_5tupleIJPjSE_EEENSF_IJSE_SE_EEES9_SG_JZNS1_25segmented_radix_sort_implINS0_14default_configELb0EPKhPhPKlPlN2at6native12_GLOBAL__N_18offset_tEEE10hipError_tPvRmT1_PNSt15iterator_traitsISY_E10value_typeET2_T3_PNSZ_IS14_E10value_typeET4_jRbjT5_S1A_jjP12ihipStream_tbEUljE_EEESV_SW_SX_S14_S18_S1A_T6_T7_T9_mT8_S1C_bDpT10_ENKUlT_T0_E_clISt17integral_constantIbLb1EES1P_EEDaS1K_S1L_EUlS1K_E_NS1_11comp_targetILNS1_3genE4ELNS1_11target_archE910ELNS1_3gpuE8ELNS1_3repE0EEENS1_30default_config_static_selectorELNS0_4arch9wavefront6targetE1EEEvSY_
	.p2align	8
	.type	_ZN7rocprim17ROCPRIM_400000_NS6detail17trampoline_kernelINS0_13select_configILj256ELj13ELNS0_17block_load_methodE3ELS4_3ELS4_3ELNS0_20block_scan_algorithmE0ELj4294967295EEENS1_25partition_config_selectorILNS1_17partition_subalgoE3EjNS0_10empty_typeEbEEZZNS1_14partition_implILS8_3ELb0ES6_jNS0_17counting_iteratorIjlEEPS9_SE_NS0_5tupleIJPjSE_EEENSF_IJSE_SE_EEES9_SG_JZNS1_25segmented_radix_sort_implINS0_14default_configELb0EPKhPhPKlPlN2at6native12_GLOBAL__N_18offset_tEEE10hipError_tPvRmT1_PNSt15iterator_traitsISY_E10value_typeET2_T3_PNSZ_IS14_E10value_typeET4_jRbjT5_S1A_jjP12ihipStream_tbEUljE_EEESV_SW_SX_S14_S18_S1A_T6_T7_T9_mT8_S1C_bDpT10_ENKUlT_T0_E_clISt17integral_constantIbLb1EES1P_EEDaS1K_S1L_EUlS1K_E_NS1_11comp_targetILNS1_3genE4ELNS1_11target_archE910ELNS1_3gpuE8ELNS1_3repE0EEENS1_30default_config_static_selectorELNS0_4arch9wavefront6targetE1EEEvSY_,@function
_ZN7rocprim17ROCPRIM_400000_NS6detail17trampoline_kernelINS0_13select_configILj256ELj13ELNS0_17block_load_methodE3ELS4_3ELS4_3ELNS0_20block_scan_algorithmE0ELj4294967295EEENS1_25partition_config_selectorILNS1_17partition_subalgoE3EjNS0_10empty_typeEbEEZZNS1_14partition_implILS8_3ELb0ES6_jNS0_17counting_iteratorIjlEEPS9_SE_NS0_5tupleIJPjSE_EEENSF_IJSE_SE_EEES9_SG_JZNS1_25segmented_radix_sort_implINS0_14default_configELb0EPKhPhPKlPlN2at6native12_GLOBAL__N_18offset_tEEE10hipError_tPvRmT1_PNSt15iterator_traitsISY_E10value_typeET2_T3_PNSZ_IS14_E10value_typeET4_jRbjT5_S1A_jjP12ihipStream_tbEUljE_EEESV_SW_SX_S14_S18_S1A_T6_T7_T9_mT8_S1C_bDpT10_ENKUlT_T0_E_clISt17integral_constantIbLb1EES1P_EEDaS1K_S1L_EUlS1K_E_NS1_11comp_targetILNS1_3genE4ELNS1_11target_archE910ELNS1_3gpuE8ELNS1_3repE0EEENS1_30default_config_static_selectorELNS0_4arch9wavefront6targetE1EEEvSY_: ; @_ZN7rocprim17ROCPRIM_400000_NS6detail17trampoline_kernelINS0_13select_configILj256ELj13ELNS0_17block_load_methodE3ELS4_3ELS4_3ELNS0_20block_scan_algorithmE0ELj4294967295EEENS1_25partition_config_selectorILNS1_17partition_subalgoE3EjNS0_10empty_typeEbEEZZNS1_14partition_implILS8_3ELb0ES6_jNS0_17counting_iteratorIjlEEPS9_SE_NS0_5tupleIJPjSE_EEENSF_IJSE_SE_EEES9_SG_JZNS1_25segmented_radix_sort_implINS0_14default_configELb0EPKhPhPKlPlN2at6native12_GLOBAL__N_18offset_tEEE10hipError_tPvRmT1_PNSt15iterator_traitsISY_E10value_typeET2_T3_PNSZ_IS14_E10value_typeET4_jRbjT5_S1A_jjP12ihipStream_tbEUljE_EEESV_SW_SX_S14_S18_S1A_T6_T7_T9_mT8_S1C_bDpT10_ENKUlT_T0_E_clISt17integral_constantIbLb1EES1P_EEDaS1K_S1L_EUlS1K_E_NS1_11comp_targetILNS1_3genE4ELNS1_11target_archE910ELNS1_3gpuE8ELNS1_3repE0EEENS1_30default_config_static_selectorELNS0_4arch9wavefront6targetE1EEEvSY_
; %bb.0:
	.section	.rodata,"a",@progbits
	.p2align	6, 0x0
	.amdhsa_kernel _ZN7rocprim17ROCPRIM_400000_NS6detail17trampoline_kernelINS0_13select_configILj256ELj13ELNS0_17block_load_methodE3ELS4_3ELS4_3ELNS0_20block_scan_algorithmE0ELj4294967295EEENS1_25partition_config_selectorILNS1_17partition_subalgoE3EjNS0_10empty_typeEbEEZZNS1_14partition_implILS8_3ELb0ES6_jNS0_17counting_iteratorIjlEEPS9_SE_NS0_5tupleIJPjSE_EEENSF_IJSE_SE_EEES9_SG_JZNS1_25segmented_radix_sort_implINS0_14default_configELb0EPKhPhPKlPlN2at6native12_GLOBAL__N_18offset_tEEE10hipError_tPvRmT1_PNSt15iterator_traitsISY_E10value_typeET2_T3_PNSZ_IS14_E10value_typeET4_jRbjT5_S1A_jjP12ihipStream_tbEUljE_EEESV_SW_SX_S14_S18_S1A_T6_T7_T9_mT8_S1C_bDpT10_ENKUlT_T0_E_clISt17integral_constantIbLb1EES1P_EEDaS1K_S1L_EUlS1K_E_NS1_11comp_targetILNS1_3genE4ELNS1_11target_archE910ELNS1_3gpuE8ELNS1_3repE0EEENS1_30default_config_static_selectorELNS0_4arch9wavefront6targetE1EEEvSY_
		.amdhsa_group_segment_fixed_size 0
		.amdhsa_private_segment_fixed_size 0
		.amdhsa_kernarg_size 152
		.amdhsa_user_sgpr_count 6
		.amdhsa_user_sgpr_private_segment_buffer 1
		.amdhsa_user_sgpr_dispatch_ptr 0
		.amdhsa_user_sgpr_queue_ptr 0
		.amdhsa_user_sgpr_kernarg_segment_ptr 1
		.amdhsa_user_sgpr_dispatch_id 0
		.amdhsa_user_sgpr_flat_scratch_init 0
		.amdhsa_user_sgpr_private_segment_size 0
		.amdhsa_uses_dynamic_stack 0
		.amdhsa_system_sgpr_private_segment_wavefront_offset 0
		.amdhsa_system_sgpr_workgroup_id_x 1
		.amdhsa_system_sgpr_workgroup_id_y 0
		.amdhsa_system_sgpr_workgroup_id_z 0
		.amdhsa_system_sgpr_workgroup_info 0
		.amdhsa_system_vgpr_workitem_id 0
		.amdhsa_next_free_vgpr 1
		.amdhsa_next_free_sgpr 0
		.amdhsa_reserve_vcc 0
		.amdhsa_reserve_flat_scratch 0
		.amdhsa_float_round_mode_32 0
		.amdhsa_float_round_mode_16_64 0
		.amdhsa_float_denorm_mode_32 3
		.amdhsa_float_denorm_mode_16_64 3
		.amdhsa_dx10_clamp 1
		.amdhsa_ieee_mode 1
		.amdhsa_fp16_overflow 0
		.amdhsa_exception_fp_ieee_invalid_op 0
		.amdhsa_exception_fp_denorm_src 0
		.amdhsa_exception_fp_ieee_div_zero 0
		.amdhsa_exception_fp_ieee_overflow 0
		.amdhsa_exception_fp_ieee_underflow 0
		.amdhsa_exception_fp_ieee_inexact 0
		.amdhsa_exception_int_div_zero 0
	.end_amdhsa_kernel
	.section	.text._ZN7rocprim17ROCPRIM_400000_NS6detail17trampoline_kernelINS0_13select_configILj256ELj13ELNS0_17block_load_methodE3ELS4_3ELS4_3ELNS0_20block_scan_algorithmE0ELj4294967295EEENS1_25partition_config_selectorILNS1_17partition_subalgoE3EjNS0_10empty_typeEbEEZZNS1_14partition_implILS8_3ELb0ES6_jNS0_17counting_iteratorIjlEEPS9_SE_NS0_5tupleIJPjSE_EEENSF_IJSE_SE_EEES9_SG_JZNS1_25segmented_radix_sort_implINS0_14default_configELb0EPKhPhPKlPlN2at6native12_GLOBAL__N_18offset_tEEE10hipError_tPvRmT1_PNSt15iterator_traitsISY_E10value_typeET2_T3_PNSZ_IS14_E10value_typeET4_jRbjT5_S1A_jjP12ihipStream_tbEUljE_EEESV_SW_SX_S14_S18_S1A_T6_T7_T9_mT8_S1C_bDpT10_ENKUlT_T0_E_clISt17integral_constantIbLb1EES1P_EEDaS1K_S1L_EUlS1K_E_NS1_11comp_targetILNS1_3genE4ELNS1_11target_archE910ELNS1_3gpuE8ELNS1_3repE0EEENS1_30default_config_static_selectorELNS0_4arch9wavefront6targetE1EEEvSY_,"axG",@progbits,_ZN7rocprim17ROCPRIM_400000_NS6detail17trampoline_kernelINS0_13select_configILj256ELj13ELNS0_17block_load_methodE3ELS4_3ELS4_3ELNS0_20block_scan_algorithmE0ELj4294967295EEENS1_25partition_config_selectorILNS1_17partition_subalgoE3EjNS0_10empty_typeEbEEZZNS1_14partition_implILS8_3ELb0ES6_jNS0_17counting_iteratorIjlEEPS9_SE_NS0_5tupleIJPjSE_EEENSF_IJSE_SE_EEES9_SG_JZNS1_25segmented_radix_sort_implINS0_14default_configELb0EPKhPhPKlPlN2at6native12_GLOBAL__N_18offset_tEEE10hipError_tPvRmT1_PNSt15iterator_traitsISY_E10value_typeET2_T3_PNSZ_IS14_E10value_typeET4_jRbjT5_S1A_jjP12ihipStream_tbEUljE_EEESV_SW_SX_S14_S18_S1A_T6_T7_T9_mT8_S1C_bDpT10_ENKUlT_T0_E_clISt17integral_constantIbLb1EES1P_EEDaS1K_S1L_EUlS1K_E_NS1_11comp_targetILNS1_3genE4ELNS1_11target_archE910ELNS1_3gpuE8ELNS1_3repE0EEENS1_30default_config_static_selectorELNS0_4arch9wavefront6targetE1EEEvSY_,comdat
.Lfunc_end164:
	.size	_ZN7rocprim17ROCPRIM_400000_NS6detail17trampoline_kernelINS0_13select_configILj256ELj13ELNS0_17block_load_methodE3ELS4_3ELS4_3ELNS0_20block_scan_algorithmE0ELj4294967295EEENS1_25partition_config_selectorILNS1_17partition_subalgoE3EjNS0_10empty_typeEbEEZZNS1_14partition_implILS8_3ELb0ES6_jNS0_17counting_iteratorIjlEEPS9_SE_NS0_5tupleIJPjSE_EEENSF_IJSE_SE_EEES9_SG_JZNS1_25segmented_radix_sort_implINS0_14default_configELb0EPKhPhPKlPlN2at6native12_GLOBAL__N_18offset_tEEE10hipError_tPvRmT1_PNSt15iterator_traitsISY_E10value_typeET2_T3_PNSZ_IS14_E10value_typeET4_jRbjT5_S1A_jjP12ihipStream_tbEUljE_EEESV_SW_SX_S14_S18_S1A_T6_T7_T9_mT8_S1C_bDpT10_ENKUlT_T0_E_clISt17integral_constantIbLb1EES1P_EEDaS1K_S1L_EUlS1K_E_NS1_11comp_targetILNS1_3genE4ELNS1_11target_archE910ELNS1_3gpuE8ELNS1_3repE0EEENS1_30default_config_static_selectorELNS0_4arch9wavefront6targetE1EEEvSY_, .Lfunc_end164-_ZN7rocprim17ROCPRIM_400000_NS6detail17trampoline_kernelINS0_13select_configILj256ELj13ELNS0_17block_load_methodE3ELS4_3ELS4_3ELNS0_20block_scan_algorithmE0ELj4294967295EEENS1_25partition_config_selectorILNS1_17partition_subalgoE3EjNS0_10empty_typeEbEEZZNS1_14partition_implILS8_3ELb0ES6_jNS0_17counting_iteratorIjlEEPS9_SE_NS0_5tupleIJPjSE_EEENSF_IJSE_SE_EEES9_SG_JZNS1_25segmented_radix_sort_implINS0_14default_configELb0EPKhPhPKlPlN2at6native12_GLOBAL__N_18offset_tEEE10hipError_tPvRmT1_PNSt15iterator_traitsISY_E10value_typeET2_T3_PNSZ_IS14_E10value_typeET4_jRbjT5_S1A_jjP12ihipStream_tbEUljE_EEESV_SW_SX_S14_S18_S1A_T6_T7_T9_mT8_S1C_bDpT10_ENKUlT_T0_E_clISt17integral_constantIbLb1EES1P_EEDaS1K_S1L_EUlS1K_E_NS1_11comp_targetILNS1_3genE4ELNS1_11target_archE910ELNS1_3gpuE8ELNS1_3repE0EEENS1_30default_config_static_selectorELNS0_4arch9wavefront6targetE1EEEvSY_
                                        ; -- End function
	.set _ZN7rocprim17ROCPRIM_400000_NS6detail17trampoline_kernelINS0_13select_configILj256ELj13ELNS0_17block_load_methodE3ELS4_3ELS4_3ELNS0_20block_scan_algorithmE0ELj4294967295EEENS1_25partition_config_selectorILNS1_17partition_subalgoE3EjNS0_10empty_typeEbEEZZNS1_14partition_implILS8_3ELb0ES6_jNS0_17counting_iteratorIjlEEPS9_SE_NS0_5tupleIJPjSE_EEENSF_IJSE_SE_EEES9_SG_JZNS1_25segmented_radix_sort_implINS0_14default_configELb0EPKhPhPKlPlN2at6native12_GLOBAL__N_18offset_tEEE10hipError_tPvRmT1_PNSt15iterator_traitsISY_E10value_typeET2_T3_PNSZ_IS14_E10value_typeET4_jRbjT5_S1A_jjP12ihipStream_tbEUljE_EEESV_SW_SX_S14_S18_S1A_T6_T7_T9_mT8_S1C_bDpT10_ENKUlT_T0_E_clISt17integral_constantIbLb1EES1P_EEDaS1K_S1L_EUlS1K_E_NS1_11comp_targetILNS1_3genE4ELNS1_11target_archE910ELNS1_3gpuE8ELNS1_3repE0EEENS1_30default_config_static_selectorELNS0_4arch9wavefront6targetE1EEEvSY_.num_vgpr, 0
	.set _ZN7rocprim17ROCPRIM_400000_NS6detail17trampoline_kernelINS0_13select_configILj256ELj13ELNS0_17block_load_methodE3ELS4_3ELS4_3ELNS0_20block_scan_algorithmE0ELj4294967295EEENS1_25partition_config_selectorILNS1_17partition_subalgoE3EjNS0_10empty_typeEbEEZZNS1_14partition_implILS8_3ELb0ES6_jNS0_17counting_iteratorIjlEEPS9_SE_NS0_5tupleIJPjSE_EEENSF_IJSE_SE_EEES9_SG_JZNS1_25segmented_radix_sort_implINS0_14default_configELb0EPKhPhPKlPlN2at6native12_GLOBAL__N_18offset_tEEE10hipError_tPvRmT1_PNSt15iterator_traitsISY_E10value_typeET2_T3_PNSZ_IS14_E10value_typeET4_jRbjT5_S1A_jjP12ihipStream_tbEUljE_EEESV_SW_SX_S14_S18_S1A_T6_T7_T9_mT8_S1C_bDpT10_ENKUlT_T0_E_clISt17integral_constantIbLb1EES1P_EEDaS1K_S1L_EUlS1K_E_NS1_11comp_targetILNS1_3genE4ELNS1_11target_archE910ELNS1_3gpuE8ELNS1_3repE0EEENS1_30default_config_static_selectorELNS0_4arch9wavefront6targetE1EEEvSY_.num_agpr, 0
	.set _ZN7rocprim17ROCPRIM_400000_NS6detail17trampoline_kernelINS0_13select_configILj256ELj13ELNS0_17block_load_methodE3ELS4_3ELS4_3ELNS0_20block_scan_algorithmE0ELj4294967295EEENS1_25partition_config_selectorILNS1_17partition_subalgoE3EjNS0_10empty_typeEbEEZZNS1_14partition_implILS8_3ELb0ES6_jNS0_17counting_iteratorIjlEEPS9_SE_NS0_5tupleIJPjSE_EEENSF_IJSE_SE_EEES9_SG_JZNS1_25segmented_radix_sort_implINS0_14default_configELb0EPKhPhPKlPlN2at6native12_GLOBAL__N_18offset_tEEE10hipError_tPvRmT1_PNSt15iterator_traitsISY_E10value_typeET2_T3_PNSZ_IS14_E10value_typeET4_jRbjT5_S1A_jjP12ihipStream_tbEUljE_EEESV_SW_SX_S14_S18_S1A_T6_T7_T9_mT8_S1C_bDpT10_ENKUlT_T0_E_clISt17integral_constantIbLb1EES1P_EEDaS1K_S1L_EUlS1K_E_NS1_11comp_targetILNS1_3genE4ELNS1_11target_archE910ELNS1_3gpuE8ELNS1_3repE0EEENS1_30default_config_static_selectorELNS0_4arch9wavefront6targetE1EEEvSY_.numbered_sgpr, 0
	.set _ZN7rocprim17ROCPRIM_400000_NS6detail17trampoline_kernelINS0_13select_configILj256ELj13ELNS0_17block_load_methodE3ELS4_3ELS4_3ELNS0_20block_scan_algorithmE0ELj4294967295EEENS1_25partition_config_selectorILNS1_17partition_subalgoE3EjNS0_10empty_typeEbEEZZNS1_14partition_implILS8_3ELb0ES6_jNS0_17counting_iteratorIjlEEPS9_SE_NS0_5tupleIJPjSE_EEENSF_IJSE_SE_EEES9_SG_JZNS1_25segmented_radix_sort_implINS0_14default_configELb0EPKhPhPKlPlN2at6native12_GLOBAL__N_18offset_tEEE10hipError_tPvRmT1_PNSt15iterator_traitsISY_E10value_typeET2_T3_PNSZ_IS14_E10value_typeET4_jRbjT5_S1A_jjP12ihipStream_tbEUljE_EEESV_SW_SX_S14_S18_S1A_T6_T7_T9_mT8_S1C_bDpT10_ENKUlT_T0_E_clISt17integral_constantIbLb1EES1P_EEDaS1K_S1L_EUlS1K_E_NS1_11comp_targetILNS1_3genE4ELNS1_11target_archE910ELNS1_3gpuE8ELNS1_3repE0EEENS1_30default_config_static_selectorELNS0_4arch9wavefront6targetE1EEEvSY_.num_named_barrier, 0
	.set _ZN7rocprim17ROCPRIM_400000_NS6detail17trampoline_kernelINS0_13select_configILj256ELj13ELNS0_17block_load_methodE3ELS4_3ELS4_3ELNS0_20block_scan_algorithmE0ELj4294967295EEENS1_25partition_config_selectorILNS1_17partition_subalgoE3EjNS0_10empty_typeEbEEZZNS1_14partition_implILS8_3ELb0ES6_jNS0_17counting_iteratorIjlEEPS9_SE_NS0_5tupleIJPjSE_EEENSF_IJSE_SE_EEES9_SG_JZNS1_25segmented_radix_sort_implINS0_14default_configELb0EPKhPhPKlPlN2at6native12_GLOBAL__N_18offset_tEEE10hipError_tPvRmT1_PNSt15iterator_traitsISY_E10value_typeET2_T3_PNSZ_IS14_E10value_typeET4_jRbjT5_S1A_jjP12ihipStream_tbEUljE_EEESV_SW_SX_S14_S18_S1A_T6_T7_T9_mT8_S1C_bDpT10_ENKUlT_T0_E_clISt17integral_constantIbLb1EES1P_EEDaS1K_S1L_EUlS1K_E_NS1_11comp_targetILNS1_3genE4ELNS1_11target_archE910ELNS1_3gpuE8ELNS1_3repE0EEENS1_30default_config_static_selectorELNS0_4arch9wavefront6targetE1EEEvSY_.private_seg_size, 0
	.set _ZN7rocprim17ROCPRIM_400000_NS6detail17trampoline_kernelINS0_13select_configILj256ELj13ELNS0_17block_load_methodE3ELS4_3ELS4_3ELNS0_20block_scan_algorithmE0ELj4294967295EEENS1_25partition_config_selectorILNS1_17partition_subalgoE3EjNS0_10empty_typeEbEEZZNS1_14partition_implILS8_3ELb0ES6_jNS0_17counting_iteratorIjlEEPS9_SE_NS0_5tupleIJPjSE_EEENSF_IJSE_SE_EEES9_SG_JZNS1_25segmented_radix_sort_implINS0_14default_configELb0EPKhPhPKlPlN2at6native12_GLOBAL__N_18offset_tEEE10hipError_tPvRmT1_PNSt15iterator_traitsISY_E10value_typeET2_T3_PNSZ_IS14_E10value_typeET4_jRbjT5_S1A_jjP12ihipStream_tbEUljE_EEESV_SW_SX_S14_S18_S1A_T6_T7_T9_mT8_S1C_bDpT10_ENKUlT_T0_E_clISt17integral_constantIbLb1EES1P_EEDaS1K_S1L_EUlS1K_E_NS1_11comp_targetILNS1_3genE4ELNS1_11target_archE910ELNS1_3gpuE8ELNS1_3repE0EEENS1_30default_config_static_selectorELNS0_4arch9wavefront6targetE1EEEvSY_.uses_vcc, 0
	.set _ZN7rocprim17ROCPRIM_400000_NS6detail17trampoline_kernelINS0_13select_configILj256ELj13ELNS0_17block_load_methodE3ELS4_3ELS4_3ELNS0_20block_scan_algorithmE0ELj4294967295EEENS1_25partition_config_selectorILNS1_17partition_subalgoE3EjNS0_10empty_typeEbEEZZNS1_14partition_implILS8_3ELb0ES6_jNS0_17counting_iteratorIjlEEPS9_SE_NS0_5tupleIJPjSE_EEENSF_IJSE_SE_EEES9_SG_JZNS1_25segmented_radix_sort_implINS0_14default_configELb0EPKhPhPKlPlN2at6native12_GLOBAL__N_18offset_tEEE10hipError_tPvRmT1_PNSt15iterator_traitsISY_E10value_typeET2_T3_PNSZ_IS14_E10value_typeET4_jRbjT5_S1A_jjP12ihipStream_tbEUljE_EEESV_SW_SX_S14_S18_S1A_T6_T7_T9_mT8_S1C_bDpT10_ENKUlT_T0_E_clISt17integral_constantIbLb1EES1P_EEDaS1K_S1L_EUlS1K_E_NS1_11comp_targetILNS1_3genE4ELNS1_11target_archE910ELNS1_3gpuE8ELNS1_3repE0EEENS1_30default_config_static_selectorELNS0_4arch9wavefront6targetE1EEEvSY_.uses_flat_scratch, 0
	.set _ZN7rocprim17ROCPRIM_400000_NS6detail17trampoline_kernelINS0_13select_configILj256ELj13ELNS0_17block_load_methodE3ELS4_3ELS4_3ELNS0_20block_scan_algorithmE0ELj4294967295EEENS1_25partition_config_selectorILNS1_17partition_subalgoE3EjNS0_10empty_typeEbEEZZNS1_14partition_implILS8_3ELb0ES6_jNS0_17counting_iteratorIjlEEPS9_SE_NS0_5tupleIJPjSE_EEENSF_IJSE_SE_EEES9_SG_JZNS1_25segmented_radix_sort_implINS0_14default_configELb0EPKhPhPKlPlN2at6native12_GLOBAL__N_18offset_tEEE10hipError_tPvRmT1_PNSt15iterator_traitsISY_E10value_typeET2_T3_PNSZ_IS14_E10value_typeET4_jRbjT5_S1A_jjP12ihipStream_tbEUljE_EEESV_SW_SX_S14_S18_S1A_T6_T7_T9_mT8_S1C_bDpT10_ENKUlT_T0_E_clISt17integral_constantIbLb1EES1P_EEDaS1K_S1L_EUlS1K_E_NS1_11comp_targetILNS1_3genE4ELNS1_11target_archE910ELNS1_3gpuE8ELNS1_3repE0EEENS1_30default_config_static_selectorELNS0_4arch9wavefront6targetE1EEEvSY_.has_dyn_sized_stack, 0
	.set _ZN7rocprim17ROCPRIM_400000_NS6detail17trampoline_kernelINS0_13select_configILj256ELj13ELNS0_17block_load_methodE3ELS4_3ELS4_3ELNS0_20block_scan_algorithmE0ELj4294967295EEENS1_25partition_config_selectorILNS1_17partition_subalgoE3EjNS0_10empty_typeEbEEZZNS1_14partition_implILS8_3ELb0ES6_jNS0_17counting_iteratorIjlEEPS9_SE_NS0_5tupleIJPjSE_EEENSF_IJSE_SE_EEES9_SG_JZNS1_25segmented_radix_sort_implINS0_14default_configELb0EPKhPhPKlPlN2at6native12_GLOBAL__N_18offset_tEEE10hipError_tPvRmT1_PNSt15iterator_traitsISY_E10value_typeET2_T3_PNSZ_IS14_E10value_typeET4_jRbjT5_S1A_jjP12ihipStream_tbEUljE_EEESV_SW_SX_S14_S18_S1A_T6_T7_T9_mT8_S1C_bDpT10_ENKUlT_T0_E_clISt17integral_constantIbLb1EES1P_EEDaS1K_S1L_EUlS1K_E_NS1_11comp_targetILNS1_3genE4ELNS1_11target_archE910ELNS1_3gpuE8ELNS1_3repE0EEENS1_30default_config_static_selectorELNS0_4arch9wavefront6targetE1EEEvSY_.has_recursion, 0
	.set _ZN7rocprim17ROCPRIM_400000_NS6detail17trampoline_kernelINS0_13select_configILj256ELj13ELNS0_17block_load_methodE3ELS4_3ELS4_3ELNS0_20block_scan_algorithmE0ELj4294967295EEENS1_25partition_config_selectorILNS1_17partition_subalgoE3EjNS0_10empty_typeEbEEZZNS1_14partition_implILS8_3ELb0ES6_jNS0_17counting_iteratorIjlEEPS9_SE_NS0_5tupleIJPjSE_EEENSF_IJSE_SE_EEES9_SG_JZNS1_25segmented_radix_sort_implINS0_14default_configELb0EPKhPhPKlPlN2at6native12_GLOBAL__N_18offset_tEEE10hipError_tPvRmT1_PNSt15iterator_traitsISY_E10value_typeET2_T3_PNSZ_IS14_E10value_typeET4_jRbjT5_S1A_jjP12ihipStream_tbEUljE_EEESV_SW_SX_S14_S18_S1A_T6_T7_T9_mT8_S1C_bDpT10_ENKUlT_T0_E_clISt17integral_constantIbLb1EES1P_EEDaS1K_S1L_EUlS1K_E_NS1_11comp_targetILNS1_3genE4ELNS1_11target_archE910ELNS1_3gpuE8ELNS1_3repE0EEENS1_30default_config_static_selectorELNS0_4arch9wavefront6targetE1EEEvSY_.has_indirect_call, 0
	.section	.AMDGPU.csdata,"",@progbits
; Kernel info:
; codeLenInByte = 0
; TotalNumSgprs: 4
; NumVgprs: 0
; ScratchSize: 0
; MemoryBound: 0
; FloatMode: 240
; IeeeMode: 1
; LDSByteSize: 0 bytes/workgroup (compile time only)
; SGPRBlocks: 0
; VGPRBlocks: 0
; NumSGPRsForWavesPerEU: 4
; NumVGPRsForWavesPerEU: 1
; Occupancy: 10
; WaveLimiterHint : 0
; COMPUTE_PGM_RSRC2:SCRATCH_EN: 0
; COMPUTE_PGM_RSRC2:USER_SGPR: 6
; COMPUTE_PGM_RSRC2:TRAP_HANDLER: 0
; COMPUTE_PGM_RSRC2:TGID_X_EN: 1
; COMPUTE_PGM_RSRC2:TGID_Y_EN: 0
; COMPUTE_PGM_RSRC2:TGID_Z_EN: 0
; COMPUTE_PGM_RSRC2:TIDIG_COMP_CNT: 0
	.section	.text._ZN7rocprim17ROCPRIM_400000_NS6detail17trampoline_kernelINS0_13select_configILj256ELj13ELNS0_17block_load_methodE3ELS4_3ELS4_3ELNS0_20block_scan_algorithmE0ELj4294967295EEENS1_25partition_config_selectorILNS1_17partition_subalgoE3EjNS0_10empty_typeEbEEZZNS1_14partition_implILS8_3ELb0ES6_jNS0_17counting_iteratorIjlEEPS9_SE_NS0_5tupleIJPjSE_EEENSF_IJSE_SE_EEES9_SG_JZNS1_25segmented_radix_sort_implINS0_14default_configELb0EPKhPhPKlPlN2at6native12_GLOBAL__N_18offset_tEEE10hipError_tPvRmT1_PNSt15iterator_traitsISY_E10value_typeET2_T3_PNSZ_IS14_E10value_typeET4_jRbjT5_S1A_jjP12ihipStream_tbEUljE_EEESV_SW_SX_S14_S18_S1A_T6_T7_T9_mT8_S1C_bDpT10_ENKUlT_T0_E_clISt17integral_constantIbLb1EES1P_EEDaS1K_S1L_EUlS1K_E_NS1_11comp_targetILNS1_3genE3ELNS1_11target_archE908ELNS1_3gpuE7ELNS1_3repE0EEENS1_30default_config_static_selectorELNS0_4arch9wavefront6targetE1EEEvSY_,"axG",@progbits,_ZN7rocprim17ROCPRIM_400000_NS6detail17trampoline_kernelINS0_13select_configILj256ELj13ELNS0_17block_load_methodE3ELS4_3ELS4_3ELNS0_20block_scan_algorithmE0ELj4294967295EEENS1_25partition_config_selectorILNS1_17partition_subalgoE3EjNS0_10empty_typeEbEEZZNS1_14partition_implILS8_3ELb0ES6_jNS0_17counting_iteratorIjlEEPS9_SE_NS0_5tupleIJPjSE_EEENSF_IJSE_SE_EEES9_SG_JZNS1_25segmented_radix_sort_implINS0_14default_configELb0EPKhPhPKlPlN2at6native12_GLOBAL__N_18offset_tEEE10hipError_tPvRmT1_PNSt15iterator_traitsISY_E10value_typeET2_T3_PNSZ_IS14_E10value_typeET4_jRbjT5_S1A_jjP12ihipStream_tbEUljE_EEESV_SW_SX_S14_S18_S1A_T6_T7_T9_mT8_S1C_bDpT10_ENKUlT_T0_E_clISt17integral_constantIbLb1EES1P_EEDaS1K_S1L_EUlS1K_E_NS1_11comp_targetILNS1_3genE3ELNS1_11target_archE908ELNS1_3gpuE7ELNS1_3repE0EEENS1_30default_config_static_selectorELNS0_4arch9wavefront6targetE1EEEvSY_,comdat
	.globl	_ZN7rocprim17ROCPRIM_400000_NS6detail17trampoline_kernelINS0_13select_configILj256ELj13ELNS0_17block_load_methodE3ELS4_3ELS4_3ELNS0_20block_scan_algorithmE0ELj4294967295EEENS1_25partition_config_selectorILNS1_17partition_subalgoE3EjNS0_10empty_typeEbEEZZNS1_14partition_implILS8_3ELb0ES6_jNS0_17counting_iteratorIjlEEPS9_SE_NS0_5tupleIJPjSE_EEENSF_IJSE_SE_EEES9_SG_JZNS1_25segmented_radix_sort_implINS0_14default_configELb0EPKhPhPKlPlN2at6native12_GLOBAL__N_18offset_tEEE10hipError_tPvRmT1_PNSt15iterator_traitsISY_E10value_typeET2_T3_PNSZ_IS14_E10value_typeET4_jRbjT5_S1A_jjP12ihipStream_tbEUljE_EEESV_SW_SX_S14_S18_S1A_T6_T7_T9_mT8_S1C_bDpT10_ENKUlT_T0_E_clISt17integral_constantIbLb1EES1P_EEDaS1K_S1L_EUlS1K_E_NS1_11comp_targetILNS1_3genE3ELNS1_11target_archE908ELNS1_3gpuE7ELNS1_3repE0EEENS1_30default_config_static_selectorELNS0_4arch9wavefront6targetE1EEEvSY_ ; -- Begin function _ZN7rocprim17ROCPRIM_400000_NS6detail17trampoline_kernelINS0_13select_configILj256ELj13ELNS0_17block_load_methodE3ELS4_3ELS4_3ELNS0_20block_scan_algorithmE0ELj4294967295EEENS1_25partition_config_selectorILNS1_17partition_subalgoE3EjNS0_10empty_typeEbEEZZNS1_14partition_implILS8_3ELb0ES6_jNS0_17counting_iteratorIjlEEPS9_SE_NS0_5tupleIJPjSE_EEENSF_IJSE_SE_EEES9_SG_JZNS1_25segmented_radix_sort_implINS0_14default_configELb0EPKhPhPKlPlN2at6native12_GLOBAL__N_18offset_tEEE10hipError_tPvRmT1_PNSt15iterator_traitsISY_E10value_typeET2_T3_PNSZ_IS14_E10value_typeET4_jRbjT5_S1A_jjP12ihipStream_tbEUljE_EEESV_SW_SX_S14_S18_S1A_T6_T7_T9_mT8_S1C_bDpT10_ENKUlT_T0_E_clISt17integral_constantIbLb1EES1P_EEDaS1K_S1L_EUlS1K_E_NS1_11comp_targetILNS1_3genE3ELNS1_11target_archE908ELNS1_3gpuE7ELNS1_3repE0EEENS1_30default_config_static_selectorELNS0_4arch9wavefront6targetE1EEEvSY_
	.p2align	8
	.type	_ZN7rocprim17ROCPRIM_400000_NS6detail17trampoline_kernelINS0_13select_configILj256ELj13ELNS0_17block_load_methodE3ELS4_3ELS4_3ELNS0_20block_scan_algorithmE0ELj4294967295EEENS1_25partition_config_selectorILNS1_17partition_subalgoE3EjNS0_10empty_typeEbEEZZNS1_14partition_implILS8_3ELb0ES6_jNS0_17counting_iteratorIjlEEPS9_SE_NS0_5tupleIJPjSE_EEENSF_IJSE_SE_EEES9_SG_JZNS1_25segmented_radix_sort_implINS0_14default_configELb0EPKhPhPKlPlN2at6native12_GLOBAL__N_18offset_tEEE10hipError_tPvRmT1_PNSt15iterator_traitsISY_E10value_typeET2_T3_PNSZ_IS14_E10value_typeET4_jRbjT5_S1A_jjP12ihipStream_tbEUljE_EEESV_SW_SX_S14_S18_S1A_T6_T7_T9_mT8_S1C_bDpT10_ENKUlT_T0_E_clISt17integral_constantIbLb1EES1P_EEDaS1K_S1L_EUlS1K_E_NS1_11comp_targetILNS1_3genE3ELNS1_11target_archE908ELNS1_3gpuE7ELNS1_3repE0EEENS1_30default_config_static_selectorELNS0_4arch9wavefront6targetE1EEEvSY_,@function
_ZN7rocprim17ROCPRIM_400000_NS6detail17trampoline_kernelINS0_13select_configILj256ELj13ELNS0_17block_load_methodE3ELS4_3ELS4_3ELNS0_20block_scan_algorithmE0ELj4294967295EEENS1_25partition_config_selectorILNS1_17partition_subalgoE3EjNS0_10empty_typeEbEEZZNS1_14partition_implILS8_3ELb0ES6_jNS0_17counting_iteratorIjlEEPS9_SE_NS0_5tupleIJPjSE_EEENSF_IJSE_SE_EEES9_SG_JZNS1_25segmented_radix_sort_implINS0_14default_configELb0EPKhPhPKlPlN2at6native12_GLOBAL__N_18offset_tEEE10hipError_tPvRmT1_PNSt15iterator_traitsISY_E10value_typeET2_T3_PNSZ_IS14_E10value_typeET4_jRbjT5_S1A_jjP12ihipStream_tbEUljE_EEESV_SW_SX_S14_S18_S1A_T6_T7_T9_mT8_S1C_bDpT10_ENKUlT_T0_E_clISt17integral_constantIbLb1EES1P_EEDaS1K_S1L_EUlS1K_E_NS1_11comp_targetILNS1_3genE3ELNS1_11target_archE908ELNS1_3gpuE7ELNS1_3repE0EEENS1_30default_config_static_selectorELNS0_4arch9wavefront6targetE1EEEvSY_: ; @_ZN7rocprim17ROCPRIM_400000_NS6detail17trampoline_kernelINS0_13select_configILj256ELj13ELNS0_17block_load_methodE3ELS4_3ELS4_3ELNS0_20block_scan_algorithmE0ELj4294967295EEENS1_25partition_config_selectorILNS1_17partition_subalgoE3EjNS0_10empty_typeEbEEZZNS1_14partition_implILS8_3ELb0ES6_jNS0_17counting_iteratorIjlEEPS9_SE_NS0_5tupleIJPjSE_EEENSF_IJSE_SE_EEES9_SG_JZNS1_25segmented_radix_sort_implINS0_14default_configELb0EPKhPhPKlPlN2at6native12_GLOBAL__N_18offset_tEEE10hipError_tPvRmT1_PNSt15iterator_traitsISY_E10value_typeET2_T3_PNSZ_IS14_E10value_typeET4_jRbjT5_S1A_jjP12ihipStream_tbEUljE_EEESV_SW_SX_S14_S18_S1A_T6_T7_T9_mT8_S1C_bDpT10_ENKUlT_T0_E_clISt17integral_constantIbLb1EES1P_EEDaS1K_S1L_EUlS1K_E_NS1_11comp_targetILNS1_3genE3ELNS1_11target_archE908ELNS1_3gpuE7ELNS1_3repE0EEENS1_30default_config_static_selectorELNS0_4arch9wavefront6targetE1EEEvSY_
; %bb.0:
	.section	.rodata,"a",@progbits
	.p2align	6, 0x0
	.amdhsa_kernel _ZN7rocprim17ROCPRIM_400000_NS6detail17trampoline_kernelINS0_13select_configILj256ELj13ELNS0_17block_load_methodE3ELS4_3ELS4_3ELNS0_20block_scan_algorithmE0ELj4294967295EEENS1_25partition_config_selectorILNS1_17partition_subalgoE3EjNS0_10empty_typeEbEEZZNS1_14partition_implILS8_3ELb0ES6_jNS0_17counting_iteratorIjlEEPS9_SE_NS0_5tupleIJPjSE_EEENSF_IJSE_SE_EEES9_SG_JZNS1_25segmented_radix_sort_implINS0_14default_configELb0EPKhPhPKlPlN2at6native12_GLOBAL__N_18offset_tEEE10hipError_tPvRmT1_PNSt15iterator_traitsISY_E10value_typeET2_T3_PNSZ_IS14_E10value_typeET4_jRbjT5_S1A_jjP12ihipStream_tbEUljE_EEESV_SW_SX_S14_S18_S1A_T6_T7_T9_mT8_S1C_bDpT10_ENKUlT_T0_E_clISt17integral_constantIbLb1EES1P_EEDaS1K_S1L_EUlS1K_E_NS1_11comp_targetILNS1_3genE3ELNS1_11target_archE908ELNS1_3gpuE7ELNS1_3repE0EEENS1_30default_config_static_selectorELNS0_4arch9wavefront6targetE1EEEvSY_
		.amdhsa_group_segment_fixed_size 0
		.amdhsa_private_segment_fixed_size 0
		.amdhsa_kernarg_size 152
		.amdhsa_user_sgpr_count 6
		.amdhsa_user_sgpr_private_segment_buffer 1
		.amdhsa_user_sgpr_dispatch_ptr 0
		.amdhsa_user_sgpr_queue_ptr 0
		.amdhsa_user_sgpr_kernarg_segment_ptr 1
		.amdhsa_user_sgpr_dispatch_id 0
		.amdhsa_user_sgpr_flat_scratch_init 0
		.amdhsa_user_sgpr_private_segment_size 0
		.amdhsa_uses_dynamic_stack 0
		.amdhsa_system_sgpr_private_segment_wavefront_offset 0
		.amdhsa_system_sgpr_workgroup_id_x 1
		.amdhsa_system_sgpr_workgroup_id_y 0
		.amdhsa_system_sgpr_workgroup_id_z 0
		.amdhsa_system_sgpr_workgroup_info 0
		.amdhsa_system_vgpr_workitem_id 0
		.amdhsa_next_free_vgpr 1
		.amdhsa_next_free_sgpr 0
		.amdhsa_reserve_vcc 0
		.amdhsa_reserve_flat_scratch 0
		.amdhsa_float_round_mode_32 0
		.amdhsa_float_round_mode_16_64 0
		.amdhsa_float_denorm_mode_32 3
		.amdhsa_float_denorm_mode_16_64 3
		.amdhsa_dx10_clamp 1
		.amdhsa_ieee_mode 1
		.amdhsa_fp16_overflow 0
		.amdhsa_exception_fp_ieee_invalid_op 0
		.amdhsa_exception_fp_denorm_src 0
		.amdhsa_exception_fp_ieee_div_zero 0
		.amdhsa_exception_fp_ieee_overflow 0
		.amdhsa_exception_fp_ieee_underflow 0
		.amdhsa_exception_fp_ieee_inexact 0
		.amdhsa_exception_int_div_zero 0
	.end_amdhsa_kernel
	.section	.text._ZN7rocprim17ROCPRIM_400000_NS6detail17trampoline_kernelINS0_13select_configILj256ELj13ELNS0_17block_load_methodE3ELS4_3ELS4_3ELNS0_20block_scan_algorithmE0ELj4294967295EEENS1_25partition_config_selectorILNS1_17partition_subalgoE3EjNS0_10empty_typeEbEEZZNS1_14partition_implILS8_3ELb0ES6_jNS0_17counting_iteratorIjlEEPS9_SE_NS0_5tupleIJPjSE_EEENSF_IJSE_SE_EEES9_SG_JZNS1_25segmented_radix_sort_implINS0_14default_configELb0EPKhPhPKlPlN2at6native12_GLOBAL__N_18offset_tEEE10hipError_tPvRmT1_PNSt15iterator_traitsISY_E10value_typeET2_T3_PNSZ_IS14_E10value_typeET4_jRbjT5_S1A_jjP12ihipStream_tbEUljE_EEESV_SW_SX_S14_S18_S1A_T6_T7_T9_mT8_S1C_bDpT10_ENKUlT_T0_E_clISt17integral_constantIbLb1EES1P_EEDaS1K_S1L_EUlS1K_E_NS1_11comp_targetILNS1_3genE3ELNS1_11target_archE908ELNS1_3gpuE7ELNS1_3repE0EEENS1_30default_config_static_selectorELNS0_4arch9wavefront6targetE1EEEvSY_,"axG",@progbits,_ZN7rocprim17ROCPRIM_400000_NS6detail17trampoline_kernelINS0_13select_configILj256ELj13ELNS0_17block_load_methodE3ELS4_3ELS4_3ELNS0_20block_scan_algorithmE0ELj4294967295EEENS1_25partition_config_selectorILNS1_17partition_subalgoE3EjNS0_10empty_typeEbEEZZNS1_14partition_implILS8_3ELb0ES6_jNS0_17counting_iteratorIjlEEPS9_SE_NS0_5tupleIJPjSE_EEENSF_IJSE_SE_EEES9_SG_JZNS1_25segmented_radix_sort_implINS0_14default_configELb0EPKhPhPKlPlN2at6native12_GLOBAL__N_18offset_tEEE10hipError_tPvRmT1_PNSt15iterator_traitsISY_E10value_typeET2_T3_PNSZ_IS14_E10value_typeET4_jRbjT5_S1A_jjP12ihipStream_tbEUljE_EEESV_SW_SX_S14_S18_S1A_T6_T7_T9_mT8_S1C_bDpT10_ENKUlT_T0_E_clISt17integral_constantIbLb1EES1P_EEDaS1K_S1L_EUlS1K_E_NS1_11comp_targetILNS1_3genE3ELNS1_11target_archE908ELNS1_3gpuE7ELNS1_3repE0EEENS1_30default_config_static_selectorELNS0_4arch9wavefront6targetE1EEEvSY_,comdat
.Lfunc_end165:
	.size	_ZN7rocprim17ROCPRIM_400000_NS6detail17trampoline_kernelINS0_13select_configILj256ELj13ELNS0_17block_load_methodE3ELS4_3ELS4_3ELNS0_20block_scan_algorithmE0ELj4294967295EEENS1_25partition_config_selectorILNS1_17partition_subalgoE3EjNS0_10empty_typeEbEEZZNS1_14partition_implILS8_3ELb0ES6_jNS0_17counting_iteratorIjlEEPS9_SE_NS0_5tupleIJPjSE_EEENSF_IJSE_SE_EEES9_SG_JZNS1_25segmented_radix_sort_implINS0_14default_configELb0EPKhPhPKlPlN2at6native12_GLOBAL__N_18offset_tEEE10hipError_tPvRmT1_PNSt15iterator_traitsISY_E10value_typeET2_T3_PNSZ_IS14_E10value_typeET4_jRbjT5_S1A_jjP12ihipStream_tbEUljE_EEESV_SW_SX_S14_S18_S1A_T6_T7_T9_mT8_S1C_bDpT10_ENKUlT_T0_E_clISt17integral_constantIbLb1EES1P_EEDaS1K_S1L_EUlS1K_E_NS1_11comp_targetILNS1_3genE3ELNS1_11target_archE908ELNS1_3gpuE7ELNS1_3repE0EEENS1_30default_config_static_selectorELNS0_4arch9wavefront6targetE1EEEvSY_, .Lfunc_end165-_ZN7rocprim17ROCPRIM_400000_NS6detail17trampoline_kernelINS0_13select_configILj256ELj13ELNS0_17block_load_methodE3ELS4_3ELS4_3ELNS0_20block_scan_algorithmE0ELj4294967295EEENS1_25partition_config_selectorILNS1_17partition_subalgoE3EjNS0_10empty_typeEbEEZZNS1_14partition_implILS8_3ELb0ES6_jNS0_17counting_iteratorIjlEEPS9_SE_NS0_5tupleIJPjSE_EEENSF_IJSE_SE_EEES9_SG_JZNS1_25segmented_radix_sort_implINS0_14default_configELb0EPKhPhPKlPlN2at6native12_GLOBAL__N_18offset_tEEE10hipError_tPvRmT1_PNSt15iterator_traitsISY_E10value_typeET2_T3_PNSZ_IS14_E10value_typeET4_jRbjT5_S1A_jjP12ihipStream_tbEUljE_EEESV_SW_SX_S14_S18_S1A_T6_T7_T9_mT8_S1C_bDpT10_ENKUlT_T0_E_clISt17integral_constantIbLb1EES1P_EEDaS1K_S1L_EUlS1K_E_NS1_11comp_targetILNS1_3genE3ELNS1_11target_archE908ELNS1_3gpuE7ELNS1_3repE0EEENS1_30default_config_static_selectorELNS0_4arch9wavefront6targetE1EEEvSY_
                                        ; -- End function
	.set _ZN7rocprim17ROCPRIM_400000_NS6detail17trampoline_kernelINS0_13select_configILj256ELj13ELNS0_17block_load_methodE3ELS4_3ELS4_3ELNS0_20block_scan_algorithmE0ELj4294967295EEENS1_25partition_config_selectorILNS1_17partition_subalgoE3EjNS0_10empty_typeEbEEZZNS1_14partition_implILS8_3ELb0ES6_jNS0_17counting_iteratorIjlEEPS9_SE_NS0_5tupleIJPjSE_EEENSF_IJSE_SE_EEES9_SG_JZNS1_25segmented_radix_sort_implINS0_14default_configELb0EPKhPhPKlPlN2at6native12_GLOBAL__N_18offset_tEEE10hipError_tPvRmT1_PNSt15iterator_traitsISY_E10value_typeET2_T3_PNSZ_IS14_E10value_typeET4_jRbjT5_S1A_jjP12ihipStream_tbEUljE_EEESV_SW_SX_S14_S18_S1A_T6_T7_T9_mT8_S1C_bDpT10_ENKUlT_T0_E_clISt17integral_constantIbLb1EES1P_EEDaS1K_S1L_EUlS1K_E_NS1_11comp_targetILNS1_3genE3ELNS1_11target_archE908ELNS1_3gpuE7ELNS1_3repE0EEENS1_30default_config_static_selectorELNS0_4arch9wavefront6targetE1EEEvSY_.num_vgpr, 0
	.set _ZN7rocprim17ROCPRIM_400000_NS6detail17trampoline_kernelINS0_13select_configILj256ELj13ELNS0_17block_load_methodE3ELS4_3ELS4_3ELNS0_20block_scan_algorithmE0ELj4294967295EEENS1_25partition_config_selectorILNS1_17partition_subalgoE3EjNS0_10empty_typeEbEEZZNS1_14partition_implILS8_3ELb0ES6_jNS0_17counting_iteratorIjlEEPS9_SE_NS0_5tupleIJPjSE_EEENSF_IJSE_SE_EEES9_SG_JZNS1_25segmented_radix_sort_implINS0_14default_configELb0EPKhPhPKlPlN2at6native12_GLOBAL__N_18offset_tEEE10hipError_tPvRmT1_PNSt15iterator_traitsISY_E10value_typeET2_T3_PNSZ_IS14_E10value_typeET4_jRbjT5_S1A_jjP12ihipStream_tbEUljE_EEESV_SW_SX_S14_S18_S1A_T6_T7_T9_mT8_S1C_bDpT10_ENKUlT_T0_E_clISt17integral_constantIbLb1EES1P_EEDaS1K_S1L_EUlS1K_E_NS1_11comp_targetILNS1_3genE3ELNS1_11target_archE908ELNS1_3gpuE7ELNS1_3repE0EEENS1_30default_config_static_selectorELNS0_4arch9wavefront6targetE1EEEvSY_.num_agpr, 0
	.set _ZN7rocprim17ROCPRIM_400000_NS6detail17trampoline_kernelINS0_13select_configILj256ELj13ELNS0_17block_load_methodE3ELS4_3ELS4_3ELNS0_20block_scan_algorithmE0ELj4294967295EEENS1_25partition_config_selectorILNS1_17partition_subalgoE3EjNS0_10empty_typeEbEEZZNS1_14partition_implILS8_3ELb0ES6_jNS0_17counting_iteratorIjlEEPS9_SE_NS0_5tupleIJPjSE_EEENSF_IJSE_SE_EEES9_SG_JZNS1_25segmented_radix_sort_implINS0_14default_configELb0EPKhPhPKlPlN2at6native12_GLOBAL__N_18offset_tEEE10hipError_tPvRmT1_PNSt15iterator_traitsISY_E10value_typeET2_T3_PNSZ_IS14_E10value_typeET4_jRbjT5_S1A_jjP12ihipStream_tbEUljE_EEESV_SW_SX_S14_S18_S1A_T6_T7_T9_mT8_S1C_bDpT10_ENKUlT_T0_E_clISt17integral_constantIbLb1EES1P_EEDaS1K_S1L_EUlS1K_E_NS1_11comp_targetILNS1_3genE3ELNS1_11target_archE908ELNS1_3gpuE7ELNS1_3repE0EEENS1_30default_config_static_selectorELNS0_4arch9wavefront6targetE1EEEvSY_.numbered_sgpr, 0
	.set _ZN7rocprim17ROCPRIM_400000_NS6detail17trampoline_kernelINS0_13select_configILj256ELj13ELNS0_17block_load_methodE3ELS4_3ELS4_3ELNS0_20block_scan_algorithmE0ELj4294967295EEENS1_25partition_config_selectorILNS1_17partition_subalgoE3EjNS0_10empty_typeEbEEZZNS1_14partition_implILS8_3ELb0ES6_jNS0_17counting_iteratorIjlEEPS9_SE_NS0_5tupleIJPjSE_EEENSF_IJSE_SE_EEES9_SG_JZNS1_25segmented_radix_sort_implINS0_14default_configELb0EPKhPhPKlPlN2at6native12_GLOBAL__N_18offset_tEEE10hipError_tPvRmT1_PNSt15iterator_traitsISY_E10value_typeET2_T3_PNSZ_IS14_E10value_typeET4_jRbjT5_S1A_jjP12ihipStream_tbEUljE_EEESV_SW_SX_S14_S18_S1A_T6_T7_T9_mT8_S1C_bDpT10_ENKUlT_T0_E_clISt17integral_constantIbLb1EES1P_EEDaS1K_S1L_EUlS1K_E_NS1_11comp_targetILNS1_3genE3ELNS1_11target_archE908ELNS1_3gpuE7ELNS1_3repE0EEENS1_30default_config_static_selectorELNS0_4arch9wavefront6targetE1EEEvSY_.num_named_barrier, 0
	.set _ZN7rocprim17ROCPRIM_400000_NS6detail17trampoline_kernelINS0_13select_configILj256ELj13ELNS0_17block_load_methodE3ELS4_3ELS4_3ELNS0_20block_scan_algorithmE0ELj4294967295EEENS1_25partition_config_selectorILNS1_17partition_subalgoE3EjNS0_10empty_typeEbEEZZNS1_14partition_implILS8_3ELb0ES6_jNS0_17counting_iteratorIjlEEPS9_SE_NS0_5tupleIJPjSE_EEENSF_IJSE_SE_EEES9_SG_JZNS1_25segmented_radix_sort_implINS0_14default_configELb0EPKhPhPKlPlN2at6native12_GLOBAL__N_18offset_tEEE10hipError_tPvRmT1_PNSt15iterator_traitsISY_E10value_typeET2_T3_PNSZ_IS14_E10value_typeET4_jRbjT5_S1A_jjP12ihipStream_tbEUljE_EEESV_SW_SX_S14_S18_S1A_T6_T7_T9_mT8_S1C_bDpT10_ENKUlT_T0_E_clISt17integral_constantIbLb1EES1P_EEDaS1K_S1L_EUlS1K_E_NS1_11comp_targetILNS1_3genE3ELNS1_11target_archE908ELNS1_3gpuE7ELNS1_3repE0EEENS1_30default_config_static_selectorELNS0_4arch9wavefront6targetE1EEEvSY_.private_seg_size, 0
	.set _ZN7rocprim17ROCPRIM_400000_NS6detail17trampoline_kernelINS0_13select_configILj256ELj13ELNS0_17block_load_methodE3ELS4_3ELS4_3ELNS0_20block_scan_algorithmE0ELj4294967295EEENS1_25partition_config_selectorILNS1_17partition_subalgoE3EjNS0_10empty_typeEbEEZZNS1_14partition_implILS8_3ELb0ES6_jNS0_17counting_iteratorIjlEEPS9_SE_NS0_5tupleIJPjSE_EEENSF_IJSE_SE_EEES9_SG_JZNS1_25segmented_radix_sort_implINS0_14default_configELb0EPKhPhPKlPlN2at6native12_GLOBAL__N_18offset_tEEE10hipError_tPvRmT1_PNSt15iterator_traitsISY_E10value_typeET2_T3_PNSZ_IS14_E10value_typeET4_jRbjT5_S1A_jjP12ihipStream_tbEUljE_EEESV_SW_SX_S14_S18_S1A_T6_T7_T9_mT8_S1C_bDpT10_ENKUlT_T0_E_clISt17integral_constantIbLb1EES1P_EEDaS1K_S1L_EUlS1K_E_NS1_11comp_targetILNS1_3genE3ELNS1_11target_archE908ELNS1_3gpuE7ELNS1_3repE0EEENS1_30default_config_static_selectorELNS0_4arch9wavefront6targetE1EEEvSY_.uses_vcc, 0
	.set _ZN7rocprim17ROCPRIM_400000_NS6detail17trampoline_kernelINS0_13select_configILj256ELj13ELNS0_17block_load_methodE3ELS4_3ELS4_3ELNS0_20block_scan_algorithmE0ELj4294967295EEENS1_25partition_config_selectorILNS1_17partition_subalgoE3EjNS0_10empty_typeEbEEZZNS1_14partition_implILS8_3ELb0ES6_jNS0_17counting_iteratorIjlEEPS9_SE_NS0_5tupleIJPjSE_EEENSF_IJSE_SE_EEES9_SG_JZNS1_25segmented_radix_sort_implINS0_14default_configELb0EPKhPhPKlPlN2at6native12_GLOBAL__N_18offset_tEEE10hipError_tPvRmT1_PNSt15iterator_traitsISY_E10value_typeET2_T3_PNSZ_IS14_E10value_typeET4_jRbjT5_S1A_jjP12ihipStream_tbEUljE_EEESV_SW_SX_S14_S18_S1A_T6_T7_T9_mT8_S1C_bDpT10_ENKUlT_T0_E_clISt17integral_constantIbLb1EES1P_EEDaS1K_S1L_EUlS1K_E_NS1_11comp_targetILNS1_3genE3ELNS1_11target_archE908ELNS1_3gpuE7ELNS1_3repE0EEENS1_30default_config_static_selectorELNS0_4arch9wavefront6targetE1EEEvSY_.uses_flat_scratch, 0
	.set _ZN7rocprim17ROCPRIM_400000_NS6detail17trampoline_kernelINS0_13select_configILj256ELj13ELNS0_17block_load_methodE3ELS4_3ELS4_3ELNS0_20block_scan_algorithmE0ELj4294967295EEENS1_25partition_config_selectorILNS1_17partition_subalgoE3EjNS0_10empty_typeEbEEZZNS1_14partition_implILS8_3ELb0ES6_jNS0_17counting_iteratorIjlEEPS9_SE_NS0_5tupleIJPjSE_EEENSF_IJSE_SE_EEES9_SG_JZNS1_25segmented_radix_sort_implINS0_14default_configELb0EPKhPhPKlPlN2at6native12_GLOBAL__N_18offset_tEEE10hipError_tPvRmT1_PNSt15iterator_traitsISY_E10value_typeET2_T3_PNSZ_IS14_E10value_typeET4_jRbjT5_S1A_jjP12ihipStream_tbEUljE_EEESV_SW_SX_S14_S18_S1A_T6_T7_T9_mT8_S1C_bDpT10_ENKUlT_T0_E_clISt17integral_constantIbLb1EES1P_EEDaS1K_S1L_EUlS1K_E_NS1_11comp_targetILNS1_3genE3ELNS1_11target_archE908ELNS1_3gpuE7ELNS1_3repE0EEENS1_30default_config_static_selectorELNS0_4arch9wavefront6targetE1EEEvSY_.has_dyn_sized_stack, 0
	.set _ZN7rocprim17ROCPRIM_400000_NS6detail17trampoline_kernelINS0_13select_configILj256ELj13ELNS0_17block_load_methodE3ELS4_3ELS4_3ELNS0_20block_scan_algorithmE0ELj4294967295EEENS1_25partition_config_selectorILNS1_17partition_subalgoE3EjNS0_10empty_typeEbEEZZNS1_14partition_implILS8_3ELb0ES6_jNS0_17counting_iteratorIjlEEPS9_SE_NS0_5tupleIJPjSE_EEENSF_IJSE_SE_EEES9_SG_JZNS1_25segmented_radix_sort_implINS0_14default_configELb0EPKhPhPKlPlN2at6native12_GLOBAL__N_18offset_tEEE10hipError_tPvRmT1_PNSt15iterator_traitsISY_E10value_typeET2_T3_PNSZ_IS14_E10value_typeET4_jRbjT5_S1A_jjP12ihipStream_tbEUljE_EEESV_SW_SX_S14_S18_S1A_T6_T7_T9_mT8_S1C_bDpT10_ENKUlT_T0_E_clISt17integral_constantIbLb1EES1P_EEDaS1K_S1L_EUlS1K_E_NS1_11comp_targetILNS1_3genE3ELNS1_11target_archE908ELNS1_3gpuE7ELNS1_3repE0EEENS1_30default_config_static_selectorELNS0_4arch9wavefront6targetE1EEEvSY_.has_recursion, 0
	.set _ZN7rocprim17ROCPRIM_400000_NS6detail17trampoline_kernelINS0_13select_configILj256ELj13ELNS0_17block_load_methodE3ELS4_3ELS4_3ELNS0_20block_scan_algorithmE0ELj4294967295EEENS1_25partition_config_selectorILNS1_17partition_subalgoE3EjNS0_10empty_typeEbEEZZNS1_14partition_implILS8_3ELb0ES6_jNS0_17counting_iteratorIjlEEPS9_SE_NS0_5tupleIJPjSE_EEENSF_IJSE_SE_EEES9_SG_JZNS1_25segmented_radix_sort_implINS0_14default_configELb0EPKhPhPKlPlN2at6native12_GLOBAL__N_18offset_tEEE10hipError_tPvRmT1_PNSt15iterator_traitsISY_E10value_typeET2_T3_PNSZ_IS14_E10value_typeET4_jRbjT5_S1A_jjP12ihipStream_tbEUljE_EEESV_SW_SX_S14_S18_S1A_T6_T7_T9_mT8_S1C_bDpT10_ENKUlT_T0_E_clISt17integral_constantIbLb1EES1P_EEDaS1K_S1L_EUlS1K_E_NS1_11comp_targetILNS1_3genE3ELNS1_11target_archE908ELNS1_3gpuE7ELNS1_3repE0EEENS1_30default_config_static_selectorELNS0_4arch9wavefront6targetE1EEEvSY_.has_indirect_call, 0
	.section	.AMDGPU.csdata,"",@progbits
; Kernel info:
; codeLenInByte = 0
; TotalNumSgprs: 4
; NumVgprs: 0
; ScratchSize: 0
; MemoryBound: 0
; FloatMode: 240
; IeeeMode: 1
; LDSByteSize: 0 bytes/workgroup (compile time only)
; SGPRBlocks: 0
; VGPRBlocks: 0
; NumSGPRsForWavesPerEU: 4
; NumVGPRsForWavesPerEU: 1
; Occupancy: 10
; WaveLimiterHint : 0
; COMPUTE_PGM_RSRC2:SCRATCH_EN: 0
; COMPUTE_PGM_RSRC2:USER_SGPR: 6
; COMPUTE_PGM_RSRC2:TRAP_HANDLER: 0
; COMPUTE_PGM_RSRC2:TGID_X_EN: 1
; COMPUTE_PGM_RSRC2:TGID_Y_EN: 0
; COMPUTE_PGM_RSRC2:TGID_Z_EN: 0
; COMPUTE_PGM_RSRC2:TIDIG_COMP_CNT: 0
	.section	.text._ZN7rocprim17ROCPRIM_400000_NS6detail17trampoline_kernelINS0_13select_configILj256ELj13ELNS0_17block_load_methodE3ELS4_3ELS4_3ELNS0_20block_scan_algorithmE0ELj4294967295EEENS1_25partition_config_selectorILNS1_17partition_subalgoE3EjNS0_10empty_typeEbEEZZNS1_14partition_implILS8_3ELb0ES6_jNS0_17counting_iteratorIjlEEPS9_SE_NS0_5tupleIJPjSE_EEENSF_IJSE_SE_EEES9_SG_JZNS1_25segmented_radix_sort_implINS0_14default_configELb0EPKhPhPKlPlN2at6native12_GLOBAL__N_18offset_tEEE10hipError_tPvRmT1_PNSt15iterator_traitsISY_E10value_typeET2_T3_PNSZ_IS14_E10value_typeET4_jRbjT5_S1A_jjP12ihipStream_tbEUljE_EEESV_SW_SX_S14_S18_S1A_T6_T7_T9_mT8_S1C_bDpT10_ENKUlT_T0_E_clISt17integral_constantIbLb1EES1P_EEDaS1K_S1L_EUlS1K_E_NS1_11comp_targetILNS1_3genE2ELNS1_11target_archE906ELNS1_3gpuE6ELNS1_3repE0EEENS1_30default_config_static_selectorELNS0_4arch9wavefront6targetE1EEEvSY_,"axG",@progbits,_ZN7rocprim17ROCPRIM_400000_NS6detail17trampoline_kernelINS0_13select_configILj256ELj13ELNS0_17block_load_methodE3ELS4_3ELS4_3ELNS0_20block_scan_algorithmE0ELj4294967295EEENS1_25partition_config_selectorILNS1_17partition_subalgoE3EjNS0_10empty_typeEbEEZZNS1_14partition_implILS8_3ELb0ES6_jNS0_17counting_iteratorIjlEEPS9_SE_NS0_5tupleIJPjSE_EEENSF_IJSE_SE_EEES9_SG_JZNS1_25segmented_radix_sort_implINS0_14default_configELb0EPKhPhPKlPlN2at6native12_GLOBAL__N_18offset_tEEE10hipError_tPvRmT1_PNSt15iterator_traitsISY_E10value_typeET2_T3_PNSZ_IS14_E10value_typeET4_jRbjT5_S1A_jjP12ihipStream_tbEUljE_EEESV_SW_SX_S14_S18_S1A_T6_T7_T9_mT8_S1C_bDpT10_ENKUlT_T0_E_clISt17integral_constantIbLb1EES1P_EEDaS1K_S1L_EUlS1K_E_NS1_11comp_targetILNS1_3genE2ELNS1_11target_archE906ELNS1_3gpuE6ELNS1_3repE0EEENS1_30default_config_static_selectorELNS0_4arch9wavefront6targetE1EEEvSY_,comdat
	.globl	_ZN7rocprim17ROCPRIM_400000_NS6detail17trampoline_kernelINS0_13select_configILj256ELj13ELNS0_17block_load_methodE3ELS4_3ELS4_3ELNS0_20block_scan_algorithmE0ELj4294967295EEENS1_25partition_config_selectorILNS1_17partition_subalgoE3EjNS0_10empty_typeEbEEZZNS1_14partition_implILS8_3ELb0ES6_jNS0_17counting_iteratorIjlEEPS9_SE_NS0_5tupleIJPjSE_EEENSF_IJSE_SE_EEES9_SG_JZNS1_25segmented_radix_sort_implINS0_14default_configELb0EPKhPhPKlPlN2at6native12_GLOBAL__N_18offset_tEEE10hipError_tPvRmT1_PNSt15iterator_traitsISY_E10value_typeET2_T3_PNSZ_IS14_E10value_typeET4_jRbjT5_S1A_jjP12ihipStream_tbEUljE_EEESV_SW_SX_S14_S18_S1A_T6_T7_T9_mT8_S1C_bDpT10_ENKUlT_T0_E_clISt17integral_constantIbLb1EES1P_EEDaS1K_S1L_EUlS1K_E_NS1_11comp_targetILNS1_3genE2ELNS1_11target_archE906ELNS1_3gpuE6ELNS1_3repE0EEENS1_30default_config_static_selectorELNS0_4arch9wavefront6targetE1EEEvSY_ ; -- Begin function _ZN7rocprim17ROCPRIM_400000_NS6detail17trampoline_kernelINS0_13select_configILj256ELj13ELNS0_17block_load_methodE3ELS4_3ELS4_3ELNS0_20block_scan_algorithmE0ELj4294967295EEENS1_25partition_config_selectorILNS1_17partition_subalgoE3EjNS0_10empty_typeEbEEZZNS1_14partition_implILS8_3ELb0ES6_jNS0_17counting_iteratorIjlEEPS9_SE_NS0_5tupleIJPjSE_EEENSF_IJSE_SE_EEES9_SG_JZNS1_25segmented_radix_sort_implINS0_14default_configELb0EPKhPhPKlPlN2at6native12_GLOBAL__N_18offset_tEEE10hipError_tPvRmT1_PNSt15iterator_traitsISY_E10value_typeET2_T3_PNSZ_IS14_E10value_typeET4_jRbjT5_S1A_jjP12ihipStream_tbEUljE_EEESV_SW_SX_S14_S18_S1A_T6_T7_T9_mT8_S1C_bDpT10_ENKUlT_T0_E_clISt17integral_constantIbLb1EES1P_EEDaS1K_S1L_EUlS1K_E_NS1_11comp_targetILNS1_3genE2ELNS1_11target_archE906ELNS1_3gpuE6ELNS1_3repE0EEENS1_30default_config_static_selectorELNS0_4arch9wavefront6targetE1EEEvSY_
	.p2align	8
	.type	_ZN7rocprim17ROCPRIM_400000_NS6detail17trampoline_kernelINS0_13select_configILj256ELj13ELNS0_17block_load_methodE3ELS4_3ELS4_3ELNS0_20block_scan_algorithmE0ELj4294967295EEENS1_25partition_config_selectorILNS1_17partition_subalgoE3EjNS0_10empty_typeEbEEZZNS1_14partition_implILS8_3ELb0ES6_jNS0_17counting_iteratorIjlEEPS9_SE_NS0_5tupleIJPjSE_EEENSF_IJSE_SE_EEES9_SG_JZNS1_25segmented_radix_sort_implINS0_14default_configELb0EPKhPhPKlPlN2at6native12_GLOBAL__N_18offset_tEEE10hipError_tPvRmT1_PNSt15iterator_traitsISY_E10value_typeET2_T3_PNSZ_IS14_E10value_typeET4_jRbjT5_S1A_jjP12ihipStream_tbEUljE_EEESV_SW_SX_S14_S18_S1A_T6_T7_T9_mT8_S1C_bDpT10_ENKUlT_T0_E_clISt17integral_constantIbLb1EES1P_EEDaS1K_S1L_EUlS1K_E_NS1_11comp_targetILNS1_3genE2ELNS1_11target_archE906ELNS1_3gpuE6ELNS1_3repE0EEENS1_30default_config_static_selectorELNS0_4arch9wavefront6targetE1EEEvSY_,@function
_ZN7rocprim17ROCPRIM_400000_NS6detail17trampoline_kernelINS0_13select_configILj256ELj13ELNS0_17block_load_methodE3ELS4_3ELS4_3ELNS0_20block_scan_algorithmE0ELj4294967295EEENS1_25partition_config_selectorILNS1_17partition_subalgoE3EjNS0_10empty_typeEbEEZZNS1_14partition_implILS8_3ELb0ES6_jNS0_17counting_iteratorIjlEEPS9_SE_NS0_5tupleIJPjSE_EEENSF_IJSE_SE_EEES9_SG_JZNS1_25segmented_radix_sort_implINS0_14default_configELb0EPKhPhPKlPlN2at6native12_GLOBAL__N_18offset_tEEE10hipError_tPvRmT1_PNSt15iterator_traitsISY_E10value_typeET2_T3_PNSZ_IS14_E10value_typeET4_jRbjT5_S1A_jjP12ihipStream_tbEUljE_EEESV_SW_SX_S14_S18_S1A_T6_T7_T9_mT8_S1C_bDpT10_ENKUlT_T0_E_clISt17integral_constantIbLb1EES1P_EEDaS1K_S1L_EUlS1K_E_NS1_11comp_targetILNS1_3genE2ELNS1_11target_archE906ELNS1_3gpuE6ELNS1_3repE0EEENS1_30default_config_static_selectorELNS0_4arch9wavefront6targetE1EEEvSY_: ; @_ZN7rocprim17ROCPRIM_400000_NS6detail17trampoline_kernelINS0_13select_configILj256ELj13ELNS0_17block_load_methodE3ELS4_3ELS4_3ELNS0_20block_scan_algorithmE0ELj4294967295EEENS1_25partition_config_selectorILNS1_17partition_subalgoE3EjNS0_10empty_typeEbEEZZNS1_14partition_implILS8_3ELb0ES6_jNS0_17counting_iteratorIjlEEPS9_SE_NS0_5tupleIJPjSE_EEENSF_IJSE_SE_EEES9_SG_JZNS1_25segmented_radix_sort_implINS0_14default_configELb0EPKhPhPKlPlN2at6native12_GLOBAL__N_18offset_tEEE10hipError_tPvRmT1_PNSt15iterator_traitsISY_E10value_typeET2_T3_PNSZ_IS14_E10value_typeET4_jRbjT5_S1A_jjP12ihipStream_tbEUljE_EEESV_SW_SX_S14_S18_S1A_T6_T7_T9_mT8_S1C_bDpT10_ENKUlT_T0_E_clISt17integral_constantIbLb1EES1P_EEDaS1K_S1L_EUlS1K_E_NS1_11comp_targetILNS1_3genE2ELNS1_11target_archE906ELNS1_3gpuE6ELNS1_3repE0EEENS1_30default_config_static_selectorELNS0_4arch9wavefront6targetE1EEEvSY_
; %bb.0:
	s_endpgm
	.section	.rodata,"a",@progbits
	.p2align	6, 0x0
	.amdhsa_kernel _ZN7rocprim17ROCPRIM_400000_NS6detail17trampoline_kernelINS0_13select_configILj256ELj13ELNS0_17block_load_methodE3ELS4_3ELS4_3ELNS0_20block_scan_algorithmE0ELj4294967295EEENS1_25partition_config_selectorILNS1_17partition_subalgoE3EjNS0_10empty_typeEbEEZZNS1_14partition_implILS8_3ELb0ES6_jNS0_17counting_iteratorIjlEEPS9_SE_NS0_5tupleIJPjSE_EEENSF_IJSE_SE_EEES9_SG_JZNS1_25segmented_radix_sort_implINS0_14default_configELb0EPKhPhPKlPlN2at6native12_GLOBAL__N_18offset_tEEE10hipError_tPvRmT1_PNSt15iterator_traitsISY_E10value_typeET2_T3_PNSZ_IS14_E10value_typeET4_jRbjT5_S1A_jjP12ihipStream_tbEUljE_EEESV_SW_SX_S14_S18_S1A_T6_T7_T9_mT8_S1C_bDpT10_ENKUlT_T0_E_clISt17integral_constantIbLb1EES1P_EEDaS1K_S1L_EUlS1K_E_NS1_11comp_targetILNS1_3genE2ELNS1_11target_archE906ELNS1_3gpuE6ELNS1_3repE0EEENS1_30default_config_static_selectorELNS0_4arch9wavefront6targetE1EEEvSY_
		.amdhsa_group_segment_fixed_size 0
		.amdhsa_private_segment_fixed_size 0
		.amdhsa_kernarg_size 152
		.amdhsa_user_sgpr_count 6
		.amdhsa_user_sgpr_private_segment_buffer 1
		.amdhsa_user_sgpr_dispatch_ptr 0
		.amdhsa_user_sgpr_queue_ptr 0
		.amdhsa_user_sgpr_kernarg_segment_ptr 1
		.amdhsa_user_sgpr_dispatch_id 0
		.amdhsa_user_sgpr_flat_scratch_init 0
		.amdhsa_user_sgpr_private_segment_size 0
		.amdhsa_uses_dynamic_stack 0
		.amdhsa_system_sgpr_private_segment_wavefront_offset 0
		.amdhsa_system_sgpr_workgroup_id_x 1
		.amdhsa_system_sgpr_workgroup_id_y 0
		.amdhsa_system_sgpr_workgroup_id_z 0
		.amdhsa_system_sgpr_workgroup_info 0
		.amdhsa_system_vgpr_workitem_id 0
		.amdhsa_next_free_vgpr 1
		.amdhsa_next_free_sgpr 0
		.amdhsa_reserve_vcc 0
		.amdhsa_reserve_flat_scratch 0
		.amdhsa_float_round_mode_32 0
		.amdhsa_float_round_mode_16_64 0
		.amdhsa_float_denorm_mode_32 3
		.amdhsa_float_denorm_mode_16_64 3
		.amdhsa_dx10_clamp 1
		.amdhsa_ieee_mode 1
		.amdhsa_fp16_overflow 0
		.amdhsa_exception_fp_ieee_invalid_op 0
		.amdhsa_exception_fp_denorm_src 0
		.amdhsa_exception_fp_ieee_div_zero 0
		.amdhsa_exception_fp_ieee_overflow 0
		.amdhsa_exception_fp_ieee_underflow 0
		.amdhsa_exception_fp_ieee_inexact 0
		.amdhsa_exception_int_div_zero 0
	.end_amdhsa_kernel
	.section	.text._ZN7rocprim17ROCPRIM_400000_NS6detail17trampoline_kernelINS0_13select_configILj256ELj13ELNS0_17block_load_methodE3ELS4_3ELS4_3ELNS0_20block_scan_algorithmE0ELj4294967295EEENS1_25partition_config_selectorILNS1_17partition_subalgoE3EjNS0_10empty_typeEbEEZZNS1_14partition_implILS8_3ELb0ES6_jNS0_17counting_iteratorIjlEEPS9_SE_NS0_5tupleIJPjSE_EEENSF_IJSE_SE_EEES9_SG_JZNS1_25segmented_radix_sort_implINS0_14default_configELb0EPKhPhPKlPlN2at6native12_GLOBAL__N_18offset_tEEE10hipError_tPvRmT1_PNSt15iterator_traitsISY_E10value_typeET2_T3_PNSZ_IS14_E10value_typeET4_jRbjT5_S1A_jjP12ihipStream_tbEUljE_EEESV_SW_SX_S14_S18_S1A_T6_T7_T9_mT8_S1C_bDpT10_ENKUlT_T0_E_clISt17integral_constantIbLb1EES1P_EEDaS1K_S1L_EUlS1K_E_NS1_11comp_targetILNS1_3genE2ELNS1_11target_archE906ELNS1_3gpuE6ELNS1_3repE0EEENS1_30default_config_static_selectorELNS0_4arch9wavefront6targetE1EEEvSY_,"axG",@progbits,_ZN7rocprim17ROCPRIM_400000_NS6detail17trampoline_kernelINS0_13select_configILj256ELj13ELNS0_17block_load_methodE3ELS4_3ELS4_3ELNS0_20block_scan_algorithmE0ELj4294967295EEENS1_25partition_config_selectorILNS1_17partition_subalgoE3EjNS0_10empty_typeEbEEZZNS1_14partition_implILS8_3ELb0ES6_jNS0_17counting_iteratorIjlEEPS9_SE_NS0_5tupleIJPjSE_EEENSF_IJSE_SE_EEES9_SG_JZNS1_25segmented_radix_sort_implINS0_14default_configELb0EPKhPhPKlPlN2at6native12_GLOBAL__N_18offset_tEEE10hipError_tPvRmT1_PNSt15iterator_traitsISY_E10value_typeET2_T3_PNSZ_IS14_E10value_typeET4_jRbjT5_S1A_jjP12ihipStream_tbEUljE_EEESV_SW_SX_S14_S18_S1A_T6_T7_T9_mT8_S1C_bDpT10_ENKUlT_T0_E_clISt17integral_constantIbLb1EES1P_EEDaS1K_S1L_EUlS1K_E_NS1_11comp_targetILNS1_3genE2ELNS1_11target_archE906ELNS1_3gpuE6ELNS1_3repE0EEENS1_30default_config_static_selectorELNS0_4arch9wavefront6targetE1EEEvSY_,comdat
.Lfunc_end166:
	.size	_ZN7rocprim17ROCPRIM_400000_NS6detail17trampoline_kernelINS0_13select_configILj256ELj13ELNS0_17block_load_methodE3ELS4_3ELS4_3ELNS0_20block_scan_algorithmE0ELj4294967295EEENS1_25partition_config_selectorILNS1_17partition_subalgoE3EjNS0_10empty_typeEbEEZZNS1_14partition_implILS8_3ELb0ES6_jNS0_17counting_iteratorIjlEEPS9_SE_NS0_5tupleIJPjSE_EEENSF_IJSE_SE_EEES9_SG_JZNS1_25segmented_radix_sort_implINS0_14default_configELb0EPKhPhPKlPlN2at6native12_GLOBAL__N_18offset_tEEE10hipError_tPvRmT1_PNSt15iterator_traitsISY_E10value_typeET2_T3_PNSZ_IS14_E10value_typeET4_jRbjT5_S1A_jjP12ihipStream_tbEUljE_EEESV_SW_SX_S14_S18_S1A_T6_T7_T9_mT8_S1C_bDpT10_ENKUlT_T0_E_clISt17integral_constantIbLb1EES1P_EEDaS1K_S1L_EUlS1K_E_NS1_11comp_targetILNS1_3genE2ELNS1_11target_archE906ELNS1_3gpuE6ELNS1_3repE0EEENS1_30default_config_static_selectorELNS0_4arch9wavefront6targetE1EEEvSY_, .Lfunc_end166-_ZN7rocprim17ROCPRIM_400000_NS6detail17trampoline_kernelINS0_13select_configILj256ELj13ELNS0_17block_load_methodE3ELS4_3ELS4_3ELNS0_20block_scan_algorithmE0ELj4294967295EEENS1_25partition_config_selectorILNS1_17partition_subalgoE3EjNS0_10empty_typeEbEEZZNS1_14partition_implILS8_3ELb0ES6_jNS0_17counting_iteratorIjlEEPS9_SE_NS0_5tupleIJPjSE_EEENSF_IJSE_SE_EEES9_SG_JZNS1_25segmented_radix_sort_implINS0_14default_configELb0EPKhPhPKlPlN2at6native12_GLOBAL__N_18offset_tEEE10hipError_tPvRmT1_PNSt15iterator_traitsISY_E10value_typeET2_T3_PNSZ_IS14_E10value_typeET4_jRbjT5_S1A_jjP12ihipStream_tbEUljE_EEESV_SW_SX_S14_S18_S1A_T6_T7_T9_mT8_S1C_bDpT10_ENKUlT_T0_E_clISt17integral_constantIbLb1EES1P_EEDaS1K_S1L_EUlS1K_E_NS1_11comp_targetILNS1_3genE2ELNS1_11target_archE906ELNS1_3gpuE6ELNS1_3repE0EEENS1_30default_config_static_selectorELNS0_4arch9wavefront6targetE1EEEvSY_
                                        ; -- End function
	.set _ZN7rocprim17ROCPRIM_400000_NS6detail17trampoline_kernelINS0_13select_configILj256ELj13ELNS0_17block_load_methodE3ELS4_3ELS4_3ELNS0_20block_scan_algorithmE0ELj4294967295EEENS1_25partition_config_selectorILNS1_17partition_subalgoE3EjNS0_10empty_typeEbEEZZNS1_14partition_implILS8_3ELb0ES6_jNS0_17counting_iteratorIjlEEPS9_SE_NS0_5tupleIJPjSE_EEENSF_IJSE_SE_EEES9_SG_JZNS1_25segmented_radix_sort_implINS0_14default_configELb0EPKhPhPKlPlN2at6native12_GLOBAL__N_18offset_tEEE10hipError_tPvRmT1_PNSt15iterator_traitsISY_E10value_typeET2_T3_PNSZ_IS14_E10value_typeET4_jRbjT5_S1A_jjP12ihipStream_tbEUljE_EEESV_SW_SX_S14_S18_S1A_T6_T7_T9_mT8_S1C_bDpT10_ENKUlT_T0_E_clISt17integral_constantIbLb1EES1P_EEDaS1K_S1L_EUlS1K_E_NS1_11comp_targetILNS1_3genE2ELNS1_11target_archE906ELNS1_3gpuE6ELNS1_3repE0EEENS1_30default_config_static_selectorELNS0_4arch9wavefront6targetE1EEEvSY_.num_vgpr, 0
	.set _ZN7rocprim17ROCPRIM_400000_NS6detail17trampoline_kernelINS0_13select_configILj256ELj13ELNS0_17block_load_methodE3ELS4_3ELS4_3ELNS0_20block_scan_algorithmE0ELj4294967295EEENS1_25partition_config_selectorILNS1_17partition_subalgoE3EjNS0_10empty_typeEbEEZZNS1_14partition_implILS8_3ELb0ES6_jNS0_17counting_iteratorIjlEEPS9_SE_NS0_5tupleIJPjSE_EEENSF_IJSE_SE_EEES9_SG_JZNS1_25segmented_radix_sort_implINS0_14default_configELb0EPKhPhPKlPlN2at6native12_GLOBAL__N_18offset_tEEE10hipError_tPvRmT1_PNSt15iterator_traitsISY_E10value_typeET2_T3_PNSZ_IS14_E10value_typeET4_jRbjT5_S1A_jjP12ihipStream_tbEUljE_EEESV_SW_SX_S14_S18_S1A_T6_T7_T9_mT8_S1C_bDpT10_ENKUlT_T0_E_clISt17integral_constantIbLb1EES1P_EEDaS1K_S1L_EUlS1K_E_NS1_11comp_targetILNS1_3genE2ELNS1_11target_archE906ELNS1_3gpuE6ELNS1_3repE0EEENS1_30default_config_static_selectorELNS0_4arch9wavefront6targetE1EEEvSY_.num_agpr, 0
	.set _ZN7rocprim17ROCPRIM_400000_NS6detail17trampoline_kernelINS0_13select_configILj256ELj13ELNS0_17block_load_methodE3ELS4_3ELS4_3ELNS0_20block_scan_algorithmE0ELj4294967295EEENS1_25partition_config_selectorILNS1_17partition_subalgoE3EjNS0_10empty_typeEbEEZZNS1_14partition_implILS8_3ELb0ES6_jNS0_17counting_iteratorIjlEEPS9_SE_NS0_5tupleIJPjSE_EEENSF_IJSE_SE_EEES9_SG_JZNS1_25segmented_radix_sort_implINS0_14default_configELb0EPKhPhPKlPlN2at6native12_GLOBAL__N_18offset_tEEE10hipError_tPvRmT1_PNSt15iterator_traitsISY_E10value_typeET2_T3_PNSZ_IS14_E10value_typeET4_jRbjT5_S1A_jjP12ihipStream_tbEUljE_EEESV_SW_SX_S14_S18_S1A_T6_T7_T9_mT8_S1C_bDpT10_ENKUlT_T0_E_clISt17integral_constantIbLb1EES1P_EEDaS1K_S1L_EUlS1K_E_NS1_11comp_targetILNS1_3genE2ELNS1_11target_archE906ELNS1_3gpuE6ELNS1_3repE0EEENS1_30default_config_static_selectorELNS0_4arch9wavefront6targetE1EEEvSY_.numbered_sgpr, 0
	.set _ZN7rocprim17ROCPRIM_400000_NS6detail17trampoline_kernelINS0_13select_configILj256ELj13ELNS0_17block_load_methodE3ELS4_3ELS4_3ELNS0_20block_scan_algorithmE0ELj4294967295EEENS1_25partition_config_selectorILNS1_17partition_subalgoE3EjNS0_10empty_typeEbEEZZNS1_14partition_implILS8_3ELb0ES6_jNS0_17counting_iteratorIjlEEPS9_SE_NS0_5tupleIJPjSE_EEENSF_IJSE_SE_EEES9_SG_JZNS1_25segmented_radix_sort_implINS0_14default_configELb0EPKhPhPKlPlN2at6native12_GLOBAL__N_18offset_tEEE10hipError_tPvRmT1_PNSt15iterator_traitsISY_E10value_typeET2_T3_PNSZ_IS14_E10value_typeET4_jRbjT5_S1A_jjP12ihipStream_tbEUljE_EEESV_SW_SX_S14_S18_S1A_T6_T7_T9_mT8_S1C_bDpT10_ENKUlT_T0_E_clISt17integral_constantIbLb1EES1P_EEDaS1K_S1L_EUlS1K_E_NS1_11comp_targetILNS1_3genE2ELNS1_11target_archE906ELNS1_3gpuE6ELNS1_3repE0EEENS1_30default_config_static_selectorELNS0_4arch9wavefront6targetE1EEEvSY_.num_named_barrier, 0
	.set _ZN7rocprim17ROCPRIM_400000_NS6detail17trampoline_kernelINS0_13select_configILj256ELj13ELNS0_17block_load_methodE3ELS4_3ELS4_3ELNS0_20block_scan_algorithmE0ELj4294967295EEENS1_25partition_config_selectorILNS1_17partition_subalgoE3EjNS0_10empty_typeEbEEZZNS1_14partition_implILS8_3ELb0ES6_jNS0_17counting_iteratorIjlEEPS9_SE_NS0_5tupleIJPjSE_EEENSF_IJSE_SE_EEES9_SG_JZNS1_25segmented_radix_sort_implINS0_14default_configELb0EPKhPhPKlPlN2at6native12_GLOBAL__N_18offset_tEEE10hipError_tPvRmT1_PNSt15iterator_traitsISY_E10value_typeET2_T3_PNSZ_IS14_E10value_typeET4_jRbjT5_S1A_jjP12ihipStream_tbEUljE_EEESV_SW_SX_S14_S18_S1A_T6_T7_T9_mT8_S1C_bDpT10_ENKUlT_T0_E_clISt17integral_constantIbLb1EES1P_EEDaS1K_S1L_EUlS1K_E_NS1_11comp_targetILNS1_3genE2ELNS1_11target_archE906ELNS1_3gpuE6ELNS1_3repE0EEENS1_30default_config_static_selectorELNS0_4arch9wavefront6targetE1EEEvSY_.private_seg_size, 0
	.set _ZN7rocprim17ROCPRIM_400000_NS6detail17trampoline_kernelINS0_13select_configILj256ELj13ELNS0_17block_load_methodE3ELS4_3ELS4_3ELNS0_20block_scan_algorithmE0ELj4294967295EEENS1_25partition_config_selectorILNS1_17partition_subalgoE3EjNS0_10empty_typeEbEEZZNS1_14partition_implILS8_3ELb0ES6_jNS0_17counting_iteratorIjlEEPS9_SE_NS0_5tupleIJPjSE_EEENSF_IJSE_SE_EEES9_SG_JZNS1_25segmented_radix_sort_implINS0_14default_configELb0EPKhPhPKlPlN2at6native12_GLOBAL__N_18offset_tEEE10hipError_tPvRmT1_PNSt15iterator_traitsISY_E10value_typeET2_T3_PNSZ_IS14_E10value_typeET4_jRbjT5_S1A_jjP12ihipStream_tbEUljE_EEESV_SW_SX_S14_S18_S1A_T6_T7_T9_mT8_S1C_bDpT10_ENKUlT_T0_E_clISt17integral_constantIbLb1EES1P_EEDaS1K_S1L_EUlS1K_E_NS1_11comp_targetILNS1_3genE2ELNS1_11target_archE906ELNS1_3gpuE6ELNS1_3repE0EEENS1_30default_config_static_selectorELNS0_4arch9wavefront6targetE1EEEvSY_.uses_vcc, 0
	.set _ZN7rocprim17ROCPRIM_400000_NS6detail17trampoline_kernelINS0_13select_configILj256ELj13ELNS0_17block_load_methodE3ELS4_3ELS4_3ELNS0_20block_scan_algorithmE0ELj4294967295EEENS1_25partition_config_selectorILNS1_17partition_subalgoE3EjNS0_10empty_typeEbEEZZNS1_14partition_implILS8_3ELb0ES6_jNS0_17counting_iteratorIjlEEPS9_SE_NS0_5tupleIJPjSE_EEENSF_IJSE_SE_EEES9_SG_JZNS1_25segmented_radix_sort_implINS0_14default_configELb0EPKhPhPKlPlN2at6native12_GLOBAL__N_18offset_tEEE10hipError_tPvRmT1_PNSt15iterator_traitsISY_E10value_typeET2_T3_PNSZ_IS14_E10value_typeET4_jRbjT5_S1A_jjP12ihipStream_tbEUljE_EEESV_SW_SX_S14_S18_S1A_T6_T7_T9_mT8_S1C_bDpT10_ENKUlT_T0_E_clISt17integral_constantIbLb1EES1P_EEDaS1K_S1L_EUlS1K_E_NS1_11comp_targetILNS1_3genE2ELNS1_11target_archE906ELNS1_3gpuE6ELNS1_3repE0EEENS1_30default_config_static_selectorELNS0_4arch9wavefront6targetE1EEEvSY_.uses_flat_scratch, 0
	.set _ZN7rocprim17ROCPRIM_400000_NS6detail17trampoline_kernelINS0_13select_configILj256ELj13ELNS0_17block_load_methodE3ELS4_3ELS4_3ELNS0_20block_scan_algorithmE0ELj4294967295EEENS1_25partition_config_selectorILNS1_17partition_subalgoE3EjNS0_10empty_typeEbEEZZNS1_14partition_implILS8_3ELb0ES6_jNS0_17counting_iteratorIjlEEPS9_SE_NS0_5tupleIJPjSE_EEENSF_IJSE_SE_EEES9_SG_JZNS1_25segmented_radix_sort_implINS0_14default_configELb0EPKhPhPKlPlN2at6native12_GLOBAL__N_18offset_tEEE10hipError_tPvRmT1_PNSt15iterator_traitsISY_E10value_typeET2_T3_PNSZ_IS14_E10value_typeET4_jRbjT5_S1A_jjP12ihipStream_tbEUljE_EEESV_SW_SX_S14_S18_S1A_T6_T7_T9_mT8_S1C_bDpT10_ENKUlT_T0_E_clISt17integral_constantIbLb1EES1P_EEDaS1K_S1L_EUlS1K_E_NS1_11comp_targetILNS1_3genE2ELNS1_11target_archE906ELNS1_3gpuE6ELNS1_3repE0EEENS1_30default_config_static_selectorELNS0_4arch9wavefront6targetE1EEEvSY_.has_dyn_sized_stack, 0
	.set _ZN7rocprim17ROCPRIM_400000_NS6detail17trampoline_kernelINS0_13select_configILj256ELj13ELNS0_17block_load_methodE3ELS4_3ELS4_3ELNS0_20block_scan_algorithmE0ELj4294967295EEENS1_25partition_config_selectorILNS1_17partition_subalgoE3EjNS0_10empty_typeEbEEZZNS1_14partition_implILS8_3ELb0ES6_jNS0_17counting_iteratorIjlEEPS9_SE_NS0_5tupleIJPjSE_EEENSF_IJSE_SE_EEES9_SG_JZNS1_25segmented_radix_sort_implINS0_14default_configELb0EPKhPhPKlPlN2at6native12_GLOBAL__N_18offset_tEEE10hipError_tPvRmT1_PNSt15iterator_traitsISY_E10value_typeET2_T3_PNSZ_IS14_E10value_typeET4_jRbjT5_S1A_jjP12ihipStream_tbEUljE_EEESV_SW_SX_S14_S18_S1A_T6_T7_T9_mT8_S1C_bDpT10_ENKUlT_T0_E_clISt17integral_constantIbLb1EES1P_EEDaS1K_S1L_EUlS1K_E_NS1_11comp_targetILNS1_3genE2ELNS1_11target_archE906ELNS1_3gpuE6ELNS1_3repE0EEENS1_30default_config_static_selectorELNS0_4arch9wavefront6targetE1EEEvSY_.has_recursion, 0
	.set _ZN7rocprim17ROCPRIM_400000_NS6detail17trampoline_kernelINS0_13select_configILj256ELj13ELNS0_17block_load_methodE3ELS4_3ELS4_3ELNS0_20block_scan_algorithmE0ELj4294967295EEENS1_25partition_config_selectorILNS1_17partition_subalgoE3EjNS0_10empty_typeEbEEZZNS1_14partition_implILS8_3ELb0ES6_jNS0_17counting_iteratorIjlEEPS9_SE_NS0_5tupleIJPjSE_EEENSF_IJSE_SE_EEES9_SG_JZNS1_25segmented_radix_sort_implINS0_14default_configELb0EPKhPhPKlPlN2at6native12_GLOBAL__N_18offset_tEEE10hipError_tPvRmT1_PNSt15iterator_traitsISY_E10value_typeET2_T3_PNSZ_IS14_E10value_typeET4_jRbjT5_S1A_jjP12ihipStream_tbEUljE_EEESV_SW_SX_S14_S18_S1A_T6_T7_T9_mT8_S1C_bDpT10_ENKUlT_T0_E_clISt17integral_constantIbLb1EES1P_EEDaS1K_S1L_EUlS1K_E_NS1_11comp_targetILNS1_3genE2ELNS1_11target_archE906ELNS1_3gpuE6ELNS1_3repE0EEENS1_30default_config_static_selectorELNS0_4arch9wavefront6targetE1EEEvSY_.has_indirect_call, 0
	.section	.AMDGPU.csdata,"",@progbits
; Kernel info:
; codeLenInByte = 4
; TotalNumSgprs: 4
; NumVgprs: 0
; ScratchSize: 0
; MemoryBound: 0
; FloatMode: 240
; IeeeMode: 1
; LDSByteSize: 0 bytes/workgroup (compile time only)
; SGPRBlocks: 0
; VGPRBlocks: 0
; NumSGPRsForWavesPerEU: 4
; NumVGPRsForWavesPerEU: 1
; Occupancy: 10
; WaveLimiterHint : 0
; COMPUTE_PGM_RSRC2:SCRATCH_EN: 0
; COMPUTE_PGM_RSRC2:USER_SGPR: 6
; COMPUTE_PGM_RSRC2:TRAP_HANDLER: 0
; COMPUTE_PGM_RSRC2:TGID_X_EN: 1
; COMPUTE_PGM_RSRC2:TGID_Y_EN: 0
; COMPUTE_PGM_RSRC2:TGID_Z_EN: 0
; COMPUTE_PGM_RSRC2:TIDIG_COMP_CNT: 0
	.section	.text._ZN7rocprim17ROCPRIM_400000_NS6detail17trampoline_kernelINS0_13select_configILj256ELj13ELNS0_17block_load_methodE3ELS4_3ELS4_3ELNS0_20block_scan_algorithmE0ELj4294967295EEENS1_25partition_config_selectorILNS1_17partition_subalgoE3EjNS0_10empty_typeEbEEZZNS1_14partition_implILS8_3ELb0ES6_jNS0_17counting_iteratorIjlEEPS9_SE_NS0_5tupleIJPjSE_EEENSF_IJSE_SE_EEES9_SG_JZNS1_25segmented_radix_sort_implINS0_14default_configELb0EPKhPhPKlPlN2at6native12_GLOBAL__N_18offset_tEEE10hipError_tPvRmT1_PNSt15iterator_traitsISY_E10value_typeET2_T3_PNSZ_IS14_E10value_typeET4_jRbjT5_S1A_jjP12ihipStream_tbEUljE_EEESV_SW_SX_S14_S18_S1A_T6_T7_T9_mT8_S1C_bDpT10_ENKUlT_T0_E_clISt17integral_constantIbLb1EES1P_EEDaS1K_S1L_EUlS1K_E_NS1_11comp_targetILNS1_3genE10ELNS1_11target_archE1200ELNS1_3gpuE4ELNS1_3repE0EEENS1_30default_config_static_selectorELNS0_4arch9wavefront6targetE1EEEvSY_,"axG",@progbits,_ZN7rocprim17ROCPRIM_400000_NS6detail17trampoline_kernelINS0_13select_configILj256ELj13ELNS0_17block_load_methodE3ELS4_3ELS4_3ELNS0_20block_scan_algorithmE0ELj4294967295EEENS1_25partition_config_selectorILNS1_17partition_subalgoE3EjNS0_10empty_typeEbEEZZNS1_14partition_implILS8_3ELb0ES6_jNS0_17counting_iteratorIjlEEPS9_SE_NS0_5tupleIJPjSE_EEENSF_IJSE_SE_EEES9_SG_JZNS1_25segmented_radix_sort_implINS0_14default_configELb0EPKhPhPKlPlN2at6native12_GLOBAL__N_18offset_tEEE10hipError_tPvRmT1_PNSt15iterator_traitsISY_E10value_typeET2_T3_PNSZ_IS14_E10value_typeET4_jRbjT5_S1A_jjP12ihipStream_tbEUljE_EEESV_SW_SX_S14_S18_S1A_T6_T7_T9_mT8_S1C_bDpT10_ENKUlT_T0_E_clISt17integral_constantIbLb1EES1P_EEDaS1K_S1L_EUlS1K_E_NS1_11comp_targetILNS1_3genE10ELNS1_11target_archE1200ELNS1_3gpuE4ELNS1_3repE0EEENS1_30default_config_static_selectorELNS0_4arch9wavefront6targetE1EEEvSY_,comdat
	.globl	_ZN7rocprim17ROCPRIM_400000_NS6detail17trampoline_kernelINS0_13select_configILj256ELj13ELNS0_17block_load_methodE3ELS4_3ELS4_3ELNS0_20block_scan_algorithmE0ELj4294967295EEENS1_25partition_config_selectorILNS1_17partition_subalgoE3EjNS0_10empty_typeEbEEZZNS1_14partition_implILS8_3ELb0ES6_jNS0_17counting_iteratorIjlEEPS9_SE_NS0_5tupleIJPjSE_EEENSF_IJSE_SE_EEES9_SG_JZNS1_25segmented_radix_sort_implINS0_14default_configELb0EPKhPhPKlPlN2at6native12_GLOBAL__N_18offset_tEEE10hipError_tPvRmT1_PNSt15iterator_traitsISY_E10value_typeET2_T3_PNSZ_IS14_E10value_typeET4_jRbjT5_S1A_jjP12ihipStream_tbEUljE_EEESV_SW_SX_S14_S18_S1A_T6_T7_T9_mT8_S1C_bDpT10_ENKUlT_T0_E_clISt17integral_constantIbLb1EES1P_EEDaS1K_S1L_EUlS1K_E_NS1_11comp_targetILNS1_3genE10ELNS1_11target_archE1200ELNS1_3gpuE4ELNS1_3repE0EEENS1_30default_config_static_selectorELNS0_4arch9wavefront6targetE1EEEvSY_ ; -- Begin function _ZN7rocprim17ROCPRIM_400000_NS6detail17trampoline_kernelINS0_13select_configILj256ELj13ELNS0_17block_load_methodE3ELS4_3ELS4_3ELNS0_20block_scan_algorithmE0ELj4294967295EEENS1_25partition_config_selectorILNS1_17partition_subalgoE3EjNS0_10empty_typeEbEEZZNS1_14partition_implILS8_3ELb0ES6_jNS0_17counting_iteratorIjlEEPS9_SE_NS0_5tupleIJPjSE_EEENSF_IJSE_SE_EEES9_SG_JZNS1_25segmented_radix_sort_implINS0_14default_configELb0EPKhPhPKlPlN2at6native12_GLOBAL__N_18offset_tEEE10hipError_tPvRmT1_PNSt15iterator_traitsISY_E10value_typeET2_T3_PNSZ_IS14_E10value_typeET4_jRbjT5_S1A_jjP12ihipStream_tbEUljE_EEESV_SW_SX_S14_S18_S1A_T6_T7_T9_mT8_S1C_bDpT10_ENKUlT_T0_E_clISt17integral_constantIbLb1EES1P_EEDaS1K_S1L_EUlS1K_E_NS1_11comp_targetILNS1_3genE10ELNS1_11target_archE1200ELNS1_3gpuE4ELNS1_3repE0EEENS1_30default_config_static_selectorELNS0_4arch9wavefront6targetE1EEEvSY_
	.p2align	8
	.type	_ZN7rocprim17ROCPRIM_400000_NS6detail17trampoline_kernelINS0_13select_configILj256ELj13ELNS0_17block_load_methodE3ELS4_3ELS4_3ELNS0_20block_scan_algorithmE0ELj4294967295EEENS1_25partition_config_selectorILNS1_17partition_subalgoE3EjNS0_10empty_typeEbEEZZNS1_14partition_implILS8_3ELb0ES6_jNS0_17counting_iteratorIjlEEPS9_SE_NS0_5tupleIJPjSE_EEENSF_IJSE_SE_EEES9_SG_JZNS1_25segmented_radix_sort_implINS0_14default_configELb0EPKhPhPKlPlN2at6native12_GLOBAL__N_18offset_tEEE10hipError_tPvRmT1_PNSt15iterator_traitsISY_E10value_typeET2_T3_PNSZ_IS14_E10value_typeET4_jRbjT5_S1A_jjP12ihipStream_tbEUljE_EEESV_SW_SX_S14_S18_S1A_T6_T7_T9_mT8_S1C_bDpT10_ENKUlT_T0_E_clISt17integral_constantIbLb1EES1P_EEDaS1K_S1L_EUlS1K_E_NS1_11comp_targetILNS1_3genE10ELNS1_11target_archE1200ELNS1_3gpuE4ELNS1_3repE0EEENS1_30default_config_static_selectorELNS0_4arch9wavefront6targetE1EEEvSY_,@function
_ZN7rocprim17ROCPRIM_400000_NS6detail17trampoline_kernelINS0_13select_configILj256ELj13ELNS0_17block_load_methodE3ELS4_3ELS4_3ELNS0_20block_scan_algorithmE0ELj4294967295EEENS1_25partition_config_selectorILNS1_17partition_subalgoE3EjNS0_10empty_typeEbEEZZNS1_14partition_implILS8_3ELb0ES6_jNS0_17counting_iteratorIjlEEPS9_SE_NS0_5tupleIJPjSE_EEENSF_IJSE_SE_EEES9_SG_JZNS1_25segmented_radix_sort_implINS0_14default_configELb0EPKhPhPKlPlN2at6native12_GLOBAL__N_18offset_tEEE10hipError_tPvRmT1_PNSt15iterator_traitsISY_E10value_typeET2_T3_PNSZ_IS14_E10value_typeET4_jRbjT5_S1A_jjP12ihipStream_tbEUljE_EEESV_SW_SX_S14_S18_S1A_T6_T7_T9_mT8_S1C_bDpT10_ENKUlT_T0_E_clISt17integral_constantIbLb1EES1P_EEDaS1K_S1L_EUlS1K_E_NS1_11comp_targetILNS1_3genE10ELNS1_11target_archE1200ELNS1_3gpuE4ELNS1_3repE0EEENS1_30default_config_static_selectorELNS0_4arch9wavefront6targetE1EEEvSY_: ; @_ZN7rocprim17ROCPRIM_400000_NS6detail17trampoline_kernelINS0_13select_configILj256ELj13ELNS0_17block_load_methodE3ELS4_3ELS4_3ELNS0_20block_scan_algorithmE0ELj4294967295EEENS1_25partition_config_selectorILNS1_17partition_subalgoE3EjNS0_10empty_typeEbEEZZNS1_14partition_implILS8_3ELb0ES6_jNS0_17counting_iteratorIjlEEPS9_SE_NS0_5tupleIJPjSE_EEENSF_IJSE_SE_EEES9_SG_JZNS1_25segmented_radix_sort_implINS0_14default_configELb0EPKhPhPKlPlN2at6native12_GLOBAL__N_18offset_tEEE10hipError_tPvRmT1_PNSt15iterator_traitsISY_E10value_typeET2_T3_PNSZ_IS14_E10value_typeET4_jRbjT5_S1A_jjP12ihipStream_tbEUljE_EEESV_SW_SX_S14_S18_S1A_T6_T7_T9_mT8_S1C_bDpT10_ENKUlT_T0_E_clISt17integral_constantIbLb1EES1P_EEDaS1K_S1L_EUlS1K_E_NS1_11comp_targetILNS1_3genE10ELNS1_11target_archE1200ELNS1_3gpuE4ELNS1_3repE0EEENS1_30default_config_static_selectorELNS0_4arch9wavefront6targetE1EEEvSY_
; %bb.0:
	.section	.rodata,"a",@progbits
	.p2align	6, 0x0
	.amdhsa_kernel _ZN7rocprim17ROCPRIM_400000_NS6detail17trampoline_kernelINS0_13select_configILj256ELj13ELNS0_17block_load_methodE3ELS4_3ELS4_3ELNS0_20block_scan_algorithmE0ELj4294967295EEENS1_25partition_config_selectorILNS1_17partition_subalgoE3EjNS0_10empty_typeEbEEZZNS1_14partition_implILS8_3ELb0ES6_jNS0_17counting_iteratorIjlEEPS9_SE_NS0_5tupleIJPjSE_EEENSF_IJSE_SE_EEES9_SG_JZNS1_25segmented_radix_sort_implINS0_14default_configELb0EPKhPhPKlPlN2at6native12_GLOBAL__N_18offset_tEEE10hipError_tPvRmT1_PNSt15iterator_traitsISY_E10value_typeET2_T3_PNSZ_IS14_E10value_typeET4_jRbjT5_S1A_jjP12ihipStream_tbEUljE_EEESV_SW_SX_S14_S18_S1A_T6_T7_T9_mT8_S1C_bDpT10_ENKUlT_T0_E_clISt17integral_constantIbLb1EES1P_EEDaS1K_S1L_EUlS1K_E_NS1_11comp_targetILNS1_3genE10ELNS1_11target_archE1200ELNS1_3gpuE4ELNS1_3repE0EEENS1_30default_config_static_selectorELNS0_4arch9wavefront6targetE1EEEvSY_
		.amdhsa_group_segment_fixed_size 0
		.amdhsa_private_segment_fixed_size 0
		.amdhsa_kernarg_size 152
		.amdhsa_user_sgpr_count 6
		.amdhsa_user_sgpr_private_segment_buffer 1
		.amdhsa_user_sgpr_dispatch_ptr 0
		.amdhsa_user_sgpr_queue_ptr 0
		.amdhsa_user_sgpr_kernarg_segment_ptr 1
		.amdhsa_user_sgpr_dispatch_id 0
		.amdhsa_user_sgpr_flat_scratch_init 0
		.amdhsa_user_sgpr_private_segment_size 0
		.amdhsa_uses_dynamic_stack 0
		.amdhsa_system_sgpr_private_segment_wavefront_offset 0
		.amdhsa_system_sgpr_workgroup_id_x 1
		.amdhsa_system_sgpr_workgroup_id_y 0
		.amdhsa_system_sgpr_workgroup_id_z 0
		.amdhsa_system_sgpr_workgroup_info 0
		.amdhsa_system_vgpr_workitem_id 0
		.amdhsa_next_free_vgpr 1
		.amdhsa_next_free_sgpr 0
		.amdhsa_reserve_vcc 0
		.amdhsa_reserve_flat_scratch 0
		.amdhsa_float_round_mode_32 0
		.amdhsa_float_round_mode_16_64 0
		.amdhsa_float_denorm_mode_32 3
		.amdhsa_float_denorm_mode_16_64 3
		.amdhsa_dx10_clamp 1
		.amdhsa_ieee_mode 1
		.amdhsa_fp16_overflow 0
		.amdhsa_exception_fp_ieee_invalid_op 0
		.amdhsa_exception_fp_denorm_src 0
		.amdhsa_exception_fp_ieee_div_zero 0
		.amdhsa_exception_fp_ieee_overflow 0
		.amdhsa_exception_fp_ieee_underflow 0
		.amdhsa_exception_fp_ieee_inexact 0
		.amdhsa_exception_int_div_zero 0
	.end_amdhsa_kernel
	.section	.text._ZN7rocprim17ROCPRIM_400000_NS6detail17trampoline_kernelINS0_13select_configILj256ELj13ELNS0_17block_load_methodE3ELS4_3ELS4_3ELNS0_20block_scan_algorithmE0ELj4294967295EEENS1_25partition_config_selectorILNS1_17partition_subalgoE3EjNS0_10empty_typeEbEEZZNS1_14partition_implILS8_3ELb0ES6_jNS0_17counting_iteratorIjlEEPS9_SE_NS0_5tupleIJPjSE_EEENSF_IJSE_SE_EEES9_SG_JZNS1_25segmented_radix_sort_implINS0_14default_configELb0EPKhPhPKlPlN2at6native12_GLOBAL__N_18offset_tEEE10hipError_tPvRmT1_PNSt15iterator_traitsISY_E10value_typeET2_T3_PNSZ_IS14_E10value_typeET4_jRbjT5_S1A_jjP12ihipStream_tbEUljE_EEESV_SW_SX_S14_S18_S1A_T6_T7_T9_mT8_S1C_bDpT10_ENKUlT_T0_E_clISt17integral_constantIbLb1EES1P_EEDaS1K_S1L_EUlS1K_E_NS1_11comp_targetILNS1_3genE10ELNS1_11target_archE1200ELNS1_3gpuE4ELNS1_3repE0EEENS1_30default_config_static_selectorELNS0_4arch9wavefront6targetE1EEEvSY_,"axG",@progbits,_ZN7rocprim17ROCPRIM_400000_NS6detail17trampoline_kernelINS0_13select_configILj256ELj13ELNS0_17block_load_methodE3ELS4_3ELS4_3ELNS0_20block_scan_algorithmE0ELj4294967295EEENS1_25partition_config_selectorILNS1_17partition_subalgoE3EjNS0_10empty_typeEbEEZZNS1_14partition_implILS8_3ELb0ES6_jNS0_17counting_iteratorIjlEEPS9_SE_NS0_5tupleIJPjSE_EEENSF_IJSE_SE_EEES9_SG_JZNS1_25segmented_radix_sort_implINS0_14default_configELb0EPKhPhPKlPlN2at6native12_GLOBAL__N_18offset_tEEE10hipError_tPvRmT1_PNSt15iterator_traitsISY_E10value_typeET2_T3_PNSZ_IS14_E10value_typeET4_jRbjT5_S1A_jjP12ihipStream_tbEUljE_EEESV_SW_SX_S14_S18_S1A_T6_T7_T9_mT8_S1C_bDpT10_ENKUlT_T0_E_clISt17integral_constantIbLb1EES1P_EEDaS1K_S1L_EUlS1K_E_NS1_11comp_targetILNS1_3genE10ELNS1_11target_archE1200ELNS1_3gpuE4ELNS1_3repE0EEENS1_30default_config_static_selectorELNS0_4arch9wavefront6targetE1EEEvSY_,comdat
.Lfunc_end167:
	.size	_ZN7rocprim17ROCPRIM_400000_NS6detail17trampoline_kernelINS0_13select_configILj256ELj13ELNS0_17block_load_methodE3ELS4_3ELS4_3ELNS0_20block_scan_algorithmE0ELj4294967295EEENS1_25partition_config_selectorILNS1_17partition_subalgoE3EjNS0_10empty_typeEbEEZZNS1_14partition_implILS8_3ELb0ES6_jNS0_17counting_iteratorIjlEEPS9_SE_NS0_5tupleIJPjSE_EEENSF_IJSE_SE_EEES9_SG_JZNS1_25segmented_radix_sort_implINS0_14default_configELb0EPKhPhPKlPlN2at6native12_GLOBAL__N_18offset_tEEE10hipError_tPvRmT1_PNSt15iterator_traitsISY_E10value_typeET2_T3_PNSZ_IS14_E10value_typeET4_jRbjT5_S1A_jjP12ihipStream_tbEUljE_EEESV_SW_SX_S14_S18_S1A_T6_T7_T9_mT8_S1C_bDpT10_ENKUlT_T0_E_clISt17integral_constantIbLb1EES1P_EEDaS1K_S1L_EUlS1K_E_NS1_11comp_targetILNS1_3genE10ELNS1_11target_archE1200ELNS1_3gpuE4ELNS1_3repE0EEENS1_30default_config_static_selectorELNS0_4arch9wavefront6targetE1EEEvSY_, .Lfunc_end167-_ZN7rocprim17ROCPRIM_400000_NS6detail17trampoline_kernelINS0_13select_configILj256ELj13ELNS0_17block_load_methodE3ELS4_3ELS4_3ELNS0_20block_scan_algorithmE0ELj4294967295EEENS1_25partition_config_selectorILNS1_17partition_subalgoE3EjNS0_10empty_typeEbEEZZNS1_14partition_implILS8_3ELb0ES6_jNS0_17counting_iteratorIjlEEPS9_SE_NS0_5tupleIJPjSE_EEENSF_IJSE_SE_EEES9_SG_JZNS1_25segmented_radix_sort_implINS0_14default_configELb0EPKhPhPKlPlN2at6native12_GLOBAL__N_18offset_tEEE10hipError_tPvRmT1_PNSt15iterator_traitsISY_E10value_typeET2_T3_PNSZ_IS14_E10value_typeET4_jRbjT5_S1A_jjP12ihipStream_tbEUljE_EEESV_SW_SX_S14_S18_S1A_T6_T7_T9_mT8_S1C_bDpT10_ENKUlT_T0_E_clISt17integral_constantIbLb1EES1P_EEDaS1K_S1L_EUlS1K_E_NS1_11comp_targetILNS1_3genE10ELNS1_11target_archE1200ELNS1_3gpuE4ELNS1_3repE0EEENS1_30default_config_static_selectorELNS0_4arch9wavefront6targetE1EEEvSY_
                                        ; -- End function
	.set _ZN7rocprim17ROCPRIM_400000_NS6detail17trampoline_kernelINS0_13select_configILj256ELj13ELNS0_17block_load_methodE3ELS4_3ELS4_3ELNS0_20block_scan_algorithmE0ELj4294967295EEENS1_25partition_config_selectorILNS1_17partition_subalgoE3EjNS0_10empty_typeEbEEZZNS1_14partition_implILS8_3ELb0ES6_jNS0_17counting_iteratorIjlEEPS9_SE_NS0_5tupleIJPjSE_EEENSF_IJSE_SE_EEES9_SG_JZNS1_25segmented_radix_sort_implINS0_14default_configELb0EPKhPhPKlPlN2at6native12_GLOBAL__N_18offset_tEEE10hipError_tPvRmT1_PNSt15iterator_traitsISY_E10value_typeET2_T3_PNSZ_IS14_E10value_typeET4_jRbjT5_S1A_jjP12ihipStream_tbEUljE_EEESV_SW_SX_S14_S18_S1A_T6_T7_T9_mT8_S1C_bDpT10_ENKUlT_T0_E_clISt17integral_constantIbLb1EES1P_EEDaS1K_S1L_EUlS1K_E_NS1_11comp_targetILNS1_3genE10ELNS1_11target_archE1200ELNS1_3gpuE4ELNS1_3repE0EEENS1_30default_config_static_selectorELNS0_4arch9wavefront6targetE1EEEvSY_.num_vgpr, 0
	.set _ZN7rocprim17ROCPRIM_400000_NS6detail17trampoline_kernelINS0_13select_configILj256ELj13ELNS0_17block_load_methodE3ELS4_3ELS4_3ELNS0_20block_scan_algorithmE0ELj4294967295EEENS1_25partition_config_selectorILNS1_17partition_subalgoE3EjNS0_10empty_typeEbEEZZNS1_14partition_implILS8_3ELb0ES6_jNS0_17counting_iteratorIjlEEPS9_SE_NS0_5tupleIJPjSE_EEENSF_IJSE_SE_EEES9_SG_JZNS1_25segmented_radix_sort_implINS0_14default_configELb0EPKhPhPKlPlN2at6native12_GLOBAL__N_18offset_tEEE10hipError_tPvRmT1_PNSt15iterator_traitsISY_E10value_typeET2_T3_PNSZ_IS14_E10value_typeET4_jRbjT5_S1A_jjP12ihipStream_tbEUljE_EEESV_SW_SX_S14_S18_S1A_T6_T7_T9_mT8_S1C_bDpT10_ENKUlT_T0_E_clISt17integral_constantIbLb1EES1P_EEDaS1K_S1L_EUlS1K_E_NS1_11comp_targetILNS1_3genE10ELNS1_11target_archE1200ELNS1_3gpuE4ELNS1_3repE0EEENS1_30default_config_static_selectorELNS0_4arch9wavefront6targetE1EEEvSY_.num_agpr, 0
	.set _ZN7rocprim17ROCPRIM_400000_NS6detail17trampoline_kernelINS0_13select_configILj256ELj13ELNS0_17block_load_methodE3ELS4_3ELS4_3ELNS0_20block_scan_algorithmE0ELj4294967295EEENS1_25partition_config_selectorILNS1_17partition_subalgoE3EjNS0_10empty_typeEbEEZZNS1_14partition_implILS8_3ELb0ES6_jNS0_17counting_iteratorIjlEEPS9_SE_NS0_5tupleIJPjSE_EEENSF_IJSE_SE_EEES9_SG_JZNS1_25segmented_radix_sort_implINS0_14default_configELb0EPKhPhPKlPlN2at6native12_GLOBAL__N_18offset_tEEE10hipError_tPvRmT1_PNSt15iterator_traitsISY_E10value_typeET2_T3_PNSZ_IS14_E10value_typeET4_jRbjT5_S1A_jjP12ihipStream_tbEUljE_EEESV_SW_SX_S14_S18_S1A_T6_T7_T9_mT8_S1C_bDpT10_ENKUlT_T0_E_clISt17integral_constantIbLb1EES1P_EEDaS1K_S1L_EUlS1K_E_NS1_11comp_targetILNS1_3genE10ELNS1_11target_archE1200ELNS1_3gpuE4ELNS1_3repE0EEENS1_30default_config_static_selectorELNS0_4arch9wavefront6targetE1EEEvSY_.numbered_sgpr, 0
	.set _ZN7rocprim17ROCPRIM_400000_NS6detail17trampoline_kernelINS0_13select_configILj256ELj13ELNS0_17block_load_methodE3ELS4_3ELS4_3ELNS0_20block_scan_algorithmE0ELj4294967295EEENS1_25partition_config_selectorILNS1_17partition_subalgoE3EjNS0_10empty_typeEbEEZZNS1_14partition_implILS8_3ELb0ES6_jNS0_17counting_iteratorIjlEEPS9_SE_NS0_5tupleIJPjSE_EEENSF_IJSE_SE_EEES9_SG_JZNS1_25segmented_radix_sort_implINS0_14default_configELb0EPKhPhPKlPlN2at6native12_GLOBAL__N_18offset_tEEE10hipError_tPvRmT1_PNSt15iterator_traitsISY_E10value_typeET2_T3_PNSZ_IS14_E10value_typeET4_jRbjT5_S1A_jjP12ihipStream_tbEUljE_EEESV_SW_SX_S14_S18_S1A_T6_T7_T9_mT8_S1C_bDpT10_ENKUlT_T0_E_clISt17integral_constantIbLb1EES1P_EEDaS1K_S1L_EUlS1K_E_NS1_11comp_targetILNS1_3genE10ELNS1_11target_archE1200ELNS1_3gpuE4ELNS1_3repE0EEENS1_30default_config_static_selectorELNS0_4arch9wavefront6targetE1EEEvSY_.num_named_barrier, 0
	.set _ZN7rocprim17ROCPRIM_400000_NS6detail17trampoline_kernelINS0_13select_configILj256ELj13ELNS0_17block_load_methodE3ELS4_3ELS4_3ELNS0_20block_scan_algorithmE0ELj4294967295EEENS1_25partition_config_selectorILNS1_17partition_subalgoE3EjNS0_10empty_typeEbEEZZNS1_14partition_implILS8_3ELb0ES6_jNS0_17counting_iteratorIjlEEPS9_SE_NS0_5tupleIJPjSE_EEENSF_IJSE_SE_EEES9_SG_JZNS1_25segmented_radix_sort_implINS0_14default_configELb0EPKhPhPKlPlN2at6native12_GLOBAL__N_18offset_tEEE10hipError_tPvRmT1_PNSt15iterator_traitsISY_E10value_typeET2_T3_PNSZ_IS14_E10value_typeET4_jRbjT5_S1A_jjP12ihipStream_tbEUljE_EEESV_SW_SX_S14_S18_S1A_T6_T7_T9_mT8_S1C_bDpT10_ENKUlT_T0_E_clISt17integral_constantIbLb1EES1P_EEDaS1K_S1L_EUlS1K_E_NS1_11comp_targetILNS1_3genE10ELNS1_11target_archE1200ELNS1_3gpuE4ELNS1_3repE0EEENS1_30default_config_static_selectorELNS0_4arch9wavefront6targetE1EEEvSY_.private_seg_size, 0
	.set _ZN7rocprim17ROCPRIM_400000_NS6detail17trampoline_kernelINS0_13select_configILj256ELj13ELNS0_17block_load_methodE3ELS4_3ELS4_3ELNS0_20block_scan_algorithmE0ELj4294967295EEENS1_25partition_config_selectorILNS1_17partition_subalgoE3EjNS0_10empty_typeEbEEZZNS1_14partition_implILS8_3ELb0ES6_jNS0_17counting_iteratorIjlEEPS9_SE_NS0_5tupleIJPjSE_EEENSF_IJSE_SE_EEES9_SG_JZNS1_25segmented_radix_sort_implINS0_14default_configELb0EPKhPhPKlPlN2at6native12_GLOBAL__N_18offset_tEEE10hipError_tPvRmT1_PNSt15iterator_traitsISY_E10value_typeET2_T3_PNSZ_IS14_E10value_typeET4_jRbjT5_S1A_jjP12ihipStream_tbEUljE_EEESV_SW_SX_S14_S18_S1A_T6_T7_T9_mT8_S1C_bDpT10_ENKUlT_T0_E_clISt17integral_constantIbLb1EES1P_EEDaS1K_S1L_EUlS1K_E_NS1_11comp_targetILNS1_3genE10ELNS1_11target_archE1200ELNS1_3gpuE4ELNS1_3repE0EEENS1_30default_config_static_selectorELNS0_4arch9wavefront6targetE1EEEvSY_.uses_vcc, 0
	.set _ZN7rocprim17ROCPRIM_400000_NS6detail17trampoline_kernelINS0_13select_configILj256ELj13ELNS0_17block_load_methodE3ELS4_3ELS4_3ELNS0_20block_scan_algorithmE0ELj4294967295EEENS1_25partition_config_selectorILNS1_17partition_subalgoE3EjNS0_10empty_typeEbEEZZNS1_14partition_implILS8_3ELb0ES6_jNS0_17counting_iteratorIjlEEPS9_SE_NS0_5tupleIJPjSE_EEENSF_IJSE_SE_EEES9_SG_JZNS1_25segmented_radix_sort_implINS0_14default_configELb0EPKhPhPKlPlN2at6native12_GLOBAL__N_18offset_tEEE10hipError_tPvRmT1_PNSt15iterator_traitsISY_E10value_typeET2_T3_PNSZ_IS14_E10value_typeET4_jRbjT5_S1A_jjP12ihipStream_tbEUljE_EEESV_SW_SX_S14_S18_S1A_T6_T7_T9_mT8_S1C_bDpT10_ENKUlT_T0_E_clISt17integral_constantIbLb1EES1P_EEDaS1K_S1L_EUlS1K_E_NS1_11comp_targetILNS1_3genE10ELNS1_11target_archE1200ELNS1_3gpuE4ELNS1_3repE0EEENS1_30default_config_static_selectorELNS0_4arch9wavefront6targetE1EEEvSY_.uses_flat_scratch, 0
	.set _ZN7rocprim17ROCPRIM_400000_NS6detail17trampoline_kernelINS0_13select_configILj256ELj13ELNS0_17block_load_methodE3ELS4_3ELS4_3ELNS0_20block_scan_algorithmE0ELj4294967295EEENS1_25partition_config_selectorILNS1_17partition_subalgoE3EjNS0_10empty_typeEbEEZZNS1_14partition_implILS8_3ELb0ES6_jNS0_17counting_iteratorIjlEEPS9_SE_NS0_5tupleIJPjSE_EEENSF_IJSE_SE_EEES9_SG_JZNS1_25segmented_radix_sort_implINS0_14default_configELb0EPKhPhPKlPlN2at6native12_GLOBAL__N_18offset_tEEE10hipError_tPvRmT1_PNSt15iterator_traitsISY_E10value_typeET2_T3_PNSZ_IS14_E10value_typeET4_jRbjT5_S1A_jjP12ihipStream_tbEUljE_EEESV_SW_SX_S14_S18_S1A_T6_T7_T9_mT8_S1C_bDpT10_ENKUlT_T0_E_clISt17integral_constantIbLb1EES1P_EEDaS1K_S1L_EUlS1K_E_NS1_11comp_targetILNS1_3genE10ELNS1_11target_archE1200ELNS1_3gpuE4ELNS1_3repE0EEENS1_30default_config_static_selectorELNS0_4arch9wavefront6targetE1EEEvSY_.has_dyn_sized_stack, 0
	.set _ZN7rocprim17ROCPRIM_400000_NS6detail17trampoline_kernelINS0_13select_configILj256ELj13ELNS0_17block_load_methodE3ELS4_3ELS4_3ELNS0_20block_scan_algorithmE0ELj4294967295EEENS1_25partition_config_selectorILNS1_17partition_subalgoE3EjNS0_10empty_typeEbEEZZNS1_14partition_implILS8_3ELb0ES6_jNS0_17counting_iteratorIjlEEPS9_SE_NS0_5tupleIJPjSE_EEENSF_IJSE_SE_EEES9_SG_JZNS1_25segmented_radix_sort_implINS0_14default_configELb0EPKhPhPKlPlN2at6native12_GLOBAL__N_18offset_tEEE10hipError_tPvRmT1_PNSt15iterator_traitsISY_E10value_typeET2_T3_PNSZ_IS14_E10value_typeET4_jRbjT5_S1A_jjP12ihipStream_tbEUljE_EEESV_SW_SX_S14_S18_S1A_T6_T7_T9_mT8_S1C_bDpT10_ENKUlT_T0_E_clISt17integral_constantIbLb1EES1P_EEDaS1K_S1L_EUlS1K_E_NS1_11comp_targetILNS1_3genE10ELNS1_11target_archE1200ELNS1_3gpuE4ELNS1_3repE0EEENS1_30default_config_static_selectorELNS0_4arch9wavefront6targetE1EEEvSY_.has_recursion, 0
	.set _ZN7rocprim17ROCPRIM_400000_NS6detail17trampoline_kernelINS0_13select_configILj256ELj13ELNS0_17block_load_methodE3ELS4_3ELS4_3ELNS0_20block_scan_algorithmE0ELj4294967295EEENS1_25partition_config_selectorILNS1_17partition_subalgoE3EjNS0_10empty_typeEbEEZZNS1_14partition_implILS8_3ELb0ES6_jNS0_17counting_iteratorIjlEEPS9_SE_NS0_5tupleIJPjSE_EEENSF_IJSE_SE_EEES9_SG_JZNS1_25segmented_radix_sort_implINS0_14default_configELb0EPKhPhPKlPlN2at6native12_GLOBAL__N_18offset_tEEE10hipError_tPvRmT1_PNSt15iterator_traitsISY_E10value_typeET2_T3_PNSZ_IS14_E10value_typeET4_jRbjT5_S1A_jjP12ihipStream_tbEUljE_EEESV_SW_SX_S14_S18_S1A_T6_T7_T9_mT8_S1C_bDpT10_ENKUlT_T0_E_clISt17integral_constantIbLb1EES1P_EEDaS1K_S1L_EUlS1K_E_NS1_11comp_targetILNS1_3genE10ELNS1_11target_archE1200ELNS1_3gpuE4ELNS1_3repE0EEENS1_30default_config_static_selectorELNS0_4arch9wavefront6targetE1EEEvSY_.has_indirect_call, 0
	.section	.AMDGPU.csdata,"",@progbits
; Kernel info:
; codeLenInByte = 0
; TotalNumSgprs: 4
; NumVgprs: 0
; ScratchSize: 0
; MemoryBound: 0
; FloatMode: 240
; IeeeMode: 1
; LDSByteSize: 0 bytes/workgroup (compile time only)
; SGPRBlocks: 0
; VGPRBlocks: 0
; NumSGPRsForWavesPerEU: 4
; NumVGPRsForWavesPerEU: 1
; Occupancy: 10
; WaveLimiterHint : 0
; COMPUTE_PGM_RSRC2:SCRATCH_EN: 0
; COMPUTE_PGM_RSRC2:USER_SGPR: 6
; COMPUTE_PGM_RSRC2:TRAP_HANDLER: 0
; COMPUTE_PGM_RSRC2:TGID_X_EN: 1
; COMPUTE_PGM_RSRC2:TGID_Y_EN: 0
; COMPUTE_PGM_RSRC2:TGID_Z_EN: 0
; COMPUTE_PGM_RSRC2:TIDIG_COMP_CNT: 0
	.section	.text._ZN7rocprim17ROCPRIM_400000_NS6detail17trampoline_kernelINS0_13select_configILj256ELj13ELNS0_17block_load_methodE3ELS4_3ELS4_3ELNS0_20block_scan_algorithmE0ELj4294967295EEENS1_25partition_config_selectorILNS1_17partition_subalgoE3EjNS0_10empty_typeEbEEZZNS1_14partition_implILS8_3ELb0ES6_jNS0_17counting_iteratorIjlEEPS9_SE_NS0_5tupleIJPjSE_EEENSF_IJSE_SE_EEES9_SG_JZNS1_25segmented_radix_sort_implINS0_14default_configELb0EPKhPhPKlPlN2at6native12_GLOBAL__N_18offset_tEEE10hipError_tPvRmT1_PNSt15iterator_traitsISY_E10value_typeET2_T3_PNSZ_IS14_E10value_typeET4_jRbjT5_S1A_jjP12ihipStream_tbEUljE_EEESV_SW_SX_S14_S18_S1A_T6_T7_T9_mT8_S1C_bDpT10_ENKUlT_T0_E_clISt17integral_constantIbLb1EES1P_EEDaS1K_S1L_EUlS1K_E_NS1_11comp_targetILNS1_3genE9ELNS1_11target_archE1100ELNS1_3gpuE3ELNS1_3repE0EEENS1_30default_config_static_selectorELNS0_4arch9wavefront6targetE1EEEvSY_,"axG",@progbits,_ZN7rocprim17ROCPRIM_400000_NS6detail17trampoline_kernelINS0_13select_configILj256ELj13ELNS0_17block_load_methodE3ELS4_3ELS4_3ELNS0_20block_scan_algorithmE0ELj4294967295EEENS1_25partition_config_selectorILNS1_17partition_subalgoE3EjNS0_10empty_typeEbEEZZNS1_14partition_implILS8_3ELb0ES6_jNS0_17counting_iteratorIjlEEPS9_SE_NS0_5tupleIJPjSE_EEENSF_IJSE_SE_EEES9_SG_JZNS1_25segmented_radix_sort_implINS0_14default_configELb0EPKhPhPKlPlN2at6native12_GLOBAL__N_18offset_tEEE10hipError_tPvRmT1_PNSt15iterator_traitsISY_E10value_typeET2_T3_PNSZ_IS14_E10value_typeET4_jRbjT5_S1A_jjP12ihipStream_tbEUljE_EEESV_SW_SX_S14_S18_S1A_T6_T7_T9_mT8_S1C_bDpT10_ENKUlT_T0_E_clISt17integral_constantIbLb1EES1P_EEDaS1K_S1L_EUlS1K_E_NS1_11comp_targetILNS1_3genE9ELNS1_11target_archE1100ELNS1_3gpuE3ELNS1_3repE0EEENS1_30default_config_static_selectorELNS0_4arch9wavefront6targetE1EEEvSY_,comdat
	.globl	_ZN7rocprim17ROCPRIM_400000_NS6detail17trampoline_kernelINS0_13select_configILj256ELj13ELNS0_17block_load_methodE3ELS4_3ELS4_3ELNS0_20block_scan_algorithmE0ELj4294967295EEENS1_25partition_config_selectorILNS1_17partition_subalgoE3EjNS0_10empty_typeEbEEZZNS1_14partition_implILS8_3ELb0ES6_jNS0_17counting_iteratorIjlEEPS9_SE_NS0_5tupleIJPjSE_EEENSF_IJSE_SE_EEES9_SG_JZNS1_25segmented_radix_sort_implINS0_14default_configELb0EPKhPhPKlPlN2at6native12_GLOBAL__N_18offset_tEEE10hipError_tPvRmT1_PNSt15iterator_traitsISY_E10value_typeET2_T3_PNSZ_IS14_E10value_typeET4_jRbjT5_S1A_jjP12ihipStream_tbEUljE_EEESV_SW_SX_S14_S18_S1A_T6_T7_T9_mT8_S1C_bDpT10_ENKUlT_T0_E_clISt17integral_constantIbLb1EES1P_EEDaS1K_S1L_EUlS1K_E_NS1_11comp_targetILNS1_3genE9ELNS1_11target_archE1100ELNS1_3gpuE3ELNS1_3repE0EEENS1_30default_config_static_selectorELNS0_4arch9wavefront6targetE1EEEvSY_ ; -- Begin function _ZN7rocprim17ROCPRIM_400000_NS6detail17trampoline_kernelINS0_13select_configILj256ELj13ELNS0_17block_load_methodE3ELS4_3ELS4_3ELNS0_20block_scan_algorithmE0ELj4294967295EEENS1_25partition_config_selectorILNS1_17partition_subalgoE3EjNS0_10empty_typeEbEEZZNS1_14partition_implILS8_3ELb0ES6_jNS0_17counting_iteratorIjlEEPS9_SE_NS0_5tupleIJPjSE_EEENSF_IJSE_SE_EEES9_SG_JZNS1_25segmented_radix_sort_implINS0_14default_configELb0EPKhPhPKlPlN2at6native12_GLOBAL__N_18offset_tEEE10hipError_tPvRmT1_PNSt15iterator_traitsISY_E10value_typeET2_T3_PNSZ_IS14_E10value_typeET4_jRbjT5_S1A_jjP12ihipStream_tbEUljE_EEESV_SW_SX_S14_S18_S1A_T6_T7_T9_mT8_S1C_bDpT10_ENKUlT_T0_E_clISt17integral_constantIbLb1EES1P_EEDaS1K_S1L_EUlS1K_E_NS1_11comp_targetILNS1_3genE9ELNS1_11target_archE1100ELNS1_3gpuE3ELNS1_3repE0EEENS1_30default_config_static_selectorELNS0_4arch9wavefront6targetE1EEEvSY_
	.p2align	8
	.type	_ZN7rocprim17ROCPRIM_400000_NS6detail17trampoline_kernelINS0_13select_configILj256ELj13ELNS0_17block_load_methodE3ELS4_3ELS4_3ELNS0_20block_scan_algorithmE0ELj4294967295EEENS1_25partition_config_selectorILNS1_17partition_subalgoE3EjNS0_10empty_typeEbEEZZNS1_14partition_implILS8_3ELb0ES6_jNS0_17counting_iteratorIjlEEPS9_SE_NS0_5tupleIJPjSE_EEENSF_IJSE_SE_EEES9_SG_JZNS1_25segmented_radix_sort_implINS0_14default_configELb0EPKhPhPKlPlN2at6native12_GLOBAL__N_18offset_tEEE10hipError_tPvRmT1_PNSt15iterator_traitsISY_E10value_typeET2_T3_PNSZ_IS14_E10value_typeET4_jRbjT5_S1A_jjP12ihipStream_tbEUljE_EEESV_SW_SX_S14_S18_S1A_T6_T7_T9_mT8_S1C_bDpT10_ENKUlT_T0_E_clISt17integral_constantIbLb1EES1P_EEDaS1K_S1L_EUlS1K_E_NS1_11comp_targetILNS1_3genE9ELNS1_11target_archE1100ELNS1_3gpuE3ELNS1_3repE0EEENS1_30default_config_static_selectorELNS0_4arch9wavefront6targetE1EEEvSY_,@function
_ZN7rocprim17ROCPRIM_400000_NS6detail17trampoline_kernelINS0_13select_configILj256ELj13ELNS0_17block_load_methodE3ELS4_3ELS4_3ELNS0_20block_scan_algorithmE0ELj4294967295EEENS1_25partition_config_selectorILNS1_17partition_subalgoE3EjNS0_10empty_typeEbEEZZNS1_14partition_implILS8_3ELb0ES6_jNS0_17counting_iteratorIjlEEPS9_SE_NS0_5tupleIJPjSE_EEENSF_IJSE_SE_EEES9_SG_JZNS1_25segmented_radix_sort_implINS0_14default_configELb0EPKhPhPKlPlN2at6native12_GLOBAL__N_18offset_tEEE10hipError_tPvRmT1_PNSt15iterator_traitsISY_E10value_typeET2_T3_PNSZ_IS14_E10value_typeET4_jRbjT5_S1A_jjP12ihipStream_tbEUljE_EEESV_SW_SX_S14_S18_S1A_T6_T7_T9_mT8_S1C_bDpT10_ENKUlT_T0_E_clISt17integral_constantIbLb1EES1P_EEDaS1K_S1L_EUlS1K_E_NS1_11comp_targetILNS1_3genE9ELNS1_11target_archE1100ELNS1_3gpuE3ELNS1_3repE0EEENS1_30default_config_static_selectorELNS0_4arch9wavefront6targetE1EEEvSY_: ; @_ZN7rocprim17ROCPRIM_400000_NS6detail17trampoline_kernelINS0_13select_configILj256ELj13ELNS0_17block_load_methodE3ELS4_3ELS4_3ELNS0_20block_scan_algorithmE0ELj4294967295EEENS1_25partition_config_selectorILNS1_17partition_subalgoE3EjNS0_10empty_typeEbEEZZNS1_14partition_implILS8_3ELb0ES6_jNS0_17counting_iteratorIjlEEPS9_SE_NS0_5tupleIJPjSE_EEENSF_IJSE_SE_EEES9_SG_JZNS1_25segmented_radix_sort_implINS0_14default_configELb0EPKhPhPKlPlN2at6native12_GLOBAL__N_18offset_tEEE10hipError_tPvRmT1_PNSt15iterator_traitsISY_E10value_typeET2_T3_PNSZ_IS14_E10value_typeET4_jRbjT5_S1A_jjP12ihipStream_tbEUljE_EEESV_SW_SX_S14_S18_S1A_T6_T7_T9_mT8_S1C_bDpT10_ENKUlT_T0_E_clISt17integral_constantIbLb1EES1P_EEDaS1K_S1L_EUlS1K_E_NS1_11comp_targetILNS1_3genE9ELNS1_11target_archE1100ELNS1_3gpuE3ELNS1_3repE0EEENS1_30default_config_static_selectorELNS0_4arch9wavefront6targetE1EEEvSY_
; %bb.0:
	.section	.rodata,"a",@progbits
	.p2align	6, 0x0
	.amdhsa_kernel _ZN7rocprim17ROCPRIM_400000_NS6detail17trampoline_kernelINS0_13select_configILj256ELj13ELNS0_17block_load_methodE3ELS4_3ELS4_3ELNS0_20block_scan_algorithmE0ELj4294967295EEENS1_25partition_config_selectorILNS1_17partition_subalgoE3EjNS0_10empty_typeEbEEZZNS1_14partition_implILS8_3ELb0ES6_jNS0_17counting_iteratorIjlEEPS9_SE_NS0_5tupleIJPjSE_EEENSF_IJSE_SE_EEES9_SG_JZNS1_25segmented_radix_sort_implINS0_14default_configELb0EPKhPhPKlPlN2at6native12_GLOBAL__N_18offset_tEEE10hipError_tPvRmT1_PNSt15iterator_traitsISY_E10value_typeET2_T3_PNSZ_IS14_E10value_typeET4_jRbjT5_S1A_jjP12ihipStream_tbEUljE_EEESV_SW_SX_S14_S18_S1A_T6_T7_T9_mT8_S1C_bDpT10_ENKUlT_T0_E_clISt17integral_constantIbLb1EES1P_EEDaS1K_S1L_EUlS1K_E_NS1_11comp_targetILNS1_3genE9ELNS1_11target_archE1100ELNS1_3gpuE3ELNS1_3repE0EEENS1_30default_config_static_selectorELNS0_4arch9wavefront6targetE1EEEvSY_
		.amdhsa_group_segment_fixed_size 0
		.amdhsa_private_segment_fixed_size 0
		.amdhsa_kernarg_size 152
		.amdhsa_user_sgpr_count 6
		.amdhsa_user_sgpr_private_segment_buffer 1
		.amdhsa_user_sgpr_dispatch_ptr 0
		.amdhsa_user_sgpr_queue_ptr 0
		.amdhsa_user_sgpr_kernarg_segment_ptr 1
		.amdhsa_user_sgpr_dispatch_id 0
		.amdhsa_user_sgpr_flat_scratch_init 0
		.amdhsa_user_sgpr_private_segment_size 0
		.amdhsa_uses_dynamic_stack 0
		.amdhsa_system_sgpr_private_segment_wavefront_offset 0
		.amdhsa_system_sgpr_workgroup_id_x 1
		.amdhsa_system_sgpr_workgroup_id_y 0
		.amdhsa_system_sgpr_workgroup_id_z 0
		.amdhsa_system_sgpr_workgroup_info 0
		.amdhsa_system_vgpr_workitem_id 0
		.amdhsa_next_free_vgpr 1
		.amdhsa_next_free_sgpr 0
		.amdhsa_reserve_vcc 0
		.amdhsa_reserve_flat_scratch 0
		.amdhsa_float_round_mode_32 0
		.amdhsa_float_round_mode_16_64 0
		.amdhsa_float_denorm_mode_32 3
		.amdhsa_float_denorm_mode_16_64 3
		.amdhsa_dx10_clamp 1
		.amdhsa_ieee_mode 1
		.amdhsa_fp16_overflow 0
		.amdhsa_exception_fp_ieee_invalid_op 0
		.amdhsa_exception_fp_denorm_src 0
		.amdhsa_exception_fp_ieee_div_zero 0
		.amdhsa_exception_fp_ieee_overflow 0
		.amdhsa_exception_fp_ieee_underflow 0
		.amdhsa_exception_fp_ieee_inexact 0
		.amdhsa_exception_int_div_zero 0
	.end_amdhsa_kernel
	.section	.text._ZN7rocprim17ROCPRIM_400000_NS6detail17trampoline_kernelINS0_13select_configILj256ELj13ELNS0_17block_load_methodE3ELS4_3ELS4_3ELNS0_20block_scan_algorithmE0ELj4294967295EEENS1_25partition_config_selectorILNS1_17partition_subalgoE3EjNS0_10empty_typeEbEEZZNS1_14partition_implILS8_3ELb0ES6_jNS0_17counting_iteratorIjlEEPS9_SE_NS0_5tupleIJPjSE_EEENSF_IJSE_SE_EEES9_SG_JZNS1_25segmented_radix_sort_implINS0_14default_configELb0EPKhPhPKlPlN2at6native12_GLOBAL__N_18offset_tEEE10hipError_tPvRmT1_PNSt15iterator_traitsISY_E10value_typeET2_T3_PNSZ_IS14_E10value_typeET4_jRbjT5_S1A_jjP12ihipStream_tbEUljE_EEESV_SW_SX_S14_S18_S1A_T6_T7_T9_mT8_S1C_bDpT10_ENKUlT_T0_E_clISt17integral_constantIbLb1EES1P_EEDaS1K_S1L_EUlS1K_E_NS1_11comp_targetILNS1_3genE9ELNS1_11target_archE1100ELNS1_3gpuE3ELNS1_3repE0EEENS1_30default_config_static_selectorELNS0_4arch9wavefront6targetE1EEEvSY_,"axG",@progbits,_ZN7rocprim17ROCPRIM_400000_NS6detail17trampoline_kernelINS0_13select_configILj256ELj13ELNS0_17block_load_methodE3ELS4_3ELS4_3ELNS0_20block_scan_algorithmE0ELj4294967295EEENS1_25partition_config_selectorILNS1_17partition_subalgoE3EjNS0_10empty_typeEbEEZZNS1_14partition_implILS8_3ELb0ES6_jNS0_17counting_iteratorIjlEEPS9_SE_NS0_5tupleIJPjSE_EEENSF_IJSE_SE_EEES9_SG_JZNS1_25segmented_radix_sort_implINS0_14default_configELb0EPKhPhPKlPlN2at6native12_GLOBAL__N_18offset_tEEE10hipError_tPvRmT1_PNSt15iterator_traitsISY_E10value_typeET2_T3_PNSZ_IS14_E10value_typeET4_jRbjT5_S1A_jjP12ihipStream_tbEUljE_EEESV_SW_SX_S14_S18_S1A_T6_T7_T9_mT8_S1C_bDpT10_ENKUlT_T0_E_clISt17integral_constantIbLb1EES1P_EEDaS1K_S1L_EUlS1K_E_NS1_11comp_targetILNS1_3genE9ELNS1_11target_archE1100ELNS1_3gpuE3ELNS1_3repE0EEENS1_30default_config_static_selectorELNS0_4arch9wavefront6targetE1EEEvSY_,comdat
.Lfunc_end168:
	.size	_ZN7rocprim17ROCPRIM_400000_NS6detail17trampoline_kernelINS0_13select_configILj256ELj13ELNS0_17block_load_methodE3ELS4_3ELS4_3ELNS0_20block_scan_algorithmE0ELj4294967295EEENS1_25partition_config_selectorILNS1_17partition_subalgoE3EjNS0_10empty_typeEbEEZZNS1_14partition_implILS8_3ELb0ES6_jNS0_17counting_iteratorIjlEEPS9_SE_NS0_5tupleIJPjSE_EEENSF_IJSE_SE_EEES9_SG_JZNS1_25segmented_radix_sort_implINS0_14default_configELb0EPKhPhPKlPlN2at6native12_GLOBAL__N_18offset_tEEE10hipError_tPvRmT1_PNSt15iterator_traitsISY_E10value_typeET2_T3_PNSZ_IS14_E10value_typeET4_jRbjT5_S1A_jjP12ihipStream_tbEUljE_EEESV_SW_SX_S14_S18_S1A_T6_T7_T9_mT8_S1C_bDpT10_ENKUlT_T0_E_clISt17integral_constantIbLb1EES1P_EEDaS1K_S1L_EUlS1K_E_NS1_11comp_targetILNS1_3genE9ELNS1_11target_archE1100ELNS1_3gpuE3ELNS1_3repE0EEENS1_30default_config_static_selectorELNS0_4arch9wavefront6targetE1EEEvSY_, .Lfunc_end168-_ZN7rocprim17ROCPRIM_400000_NS6detail17trampoline_kernelINS0_13select_configILj256ELj13ELNS0_17block_load_methodE3ELS4_3ELS4_3ELNS0_20block_scan_algorithmE0ELj4294967295EEENS1_25partition_config_selectorILNS1_17partition_subalgoE3EjNS0_10empty_typeEbEEZZNS1_14partition_implILS8_3ELb0ES6_jNS0_17counting_iteratorIjlEEPS9_SE_NS0_5tupleIJPjSE_EEENSF_IJSE_SE_EEES9_SG_JZNS1_25segmented_radix_sort_implINS0_14default_configELb0EPKhPhPKlPlN2at6native12_GLOBAL__N_18offset_tEEE10hipError_tPvRmT1_PNSt15iterator_traitsISY_E10value_typeET2_T3_PNSZ_IS14_E10value_typeET4_jRbjT5_S1A_jjP12ihipStream_tbEUljE_EEESV_SW_SX_S14_S18_S1A_T6_T7_T9_mT8_S1C_bDpT10_ENKUlT_T0_E_clISt17integral_constantIbLb1EES1P_EEDaS1K_S1L_EUlS1K_E_NS1_11comp_targetILNS1_3genE9ELNS1_11target_archE1100ELNS1_3gpuE3ELNS1_3repE0EEENS1_30default_config_static_selectorELNS0_4arch9wavefront6targetE1EEEvSY_
                                        ; -- End function
	.set _ZN7rocprim17ROCPRIM_400000_NS6detail17trampoline_kernelINS0_13select_configILj256ELj13ELNS0_17block_load_methodE3ELS4_3ELS4_3ELNS0_20block_scan_algorithmE0ELj4294967295EEENS1_25partition_config_selectorILNS1_17partition_subalgoE3EjNS0_10empty_typeEbEEZZNS1_14partition_implILS8_3ELb0ES6_jNS0_17counting_iteratorIjlEEPS9_SE_NS0_5tupleIJPjSE_EEENSF_IJSE_SE_EEES9_SG_JZNS1_25segmented_radix_sort_implINS0_14default_configELb0EPKhPhPKlPlN2at6native12_GLOBAL__N_18offset_tEEE10hipError_tPvRmT1_PNSt15iterator_traitsISY_E10value_typeET2_T3_PNSZ_IS14_E10value_typeET4_jRbjT5_S1A_jjP12ihipStream_tbEUljE_EEESV_SW_SX_S14_S18_S1A_T6_T7_T9_mT8_S1C_bDpT10_ENKUlT_T0_E_clISt17integral_constantIbLb1EES1P_EEDaS1K_S1L_EUlS1K_E_NS1_11comp_targetILNS1_3genE9ELNS1_11target_archE1100ELNS1_3gpuE3ELNS1_3repE0EEENS1_30default_config_static_selectorELNS0_4arch9wavefront6targetE1EEEvSY_.num_vgpr, 0
	.set _ZN7rocprim17ROCPRIM_400000_NS6detail17trampoline_kernelINS0_13select_configILj256ELj13ELNS0_17block_load_methodE3ELS4_3ELS4_3ELNS0_20block_scan_algorithmE0ELj4294967295EEENS1_25partition_config_selectorILNS1_17partition_subalgoE3EjNS0_10empty_typeEbEEZZNS1_14partition_implILS8_3ELb0ES6_jNS0_17counting_iteratorIjlEEPS9_SE_NS0_5tupleIJPjSE_EEENSF_IJSE_SE_EEES9_SG_JZNS1_25segmented_radix_sort_implINS0_14default_configELb0EPKhPhPKlPlN2at6native12_GLOBAL__N_18offset_tEEE10hipError_tPvRmT1_PNSt15iterator_traitsISY_E10value_typeET2_T3_PNSZ_IS14_E10value_typeET4_jRbjT5_S1A_jjP12ihipStream_tbEUljE_EEESV_SW_SX_S14_S18_S1A_T6_T7_T9_mT8_S1C_bDpT10_ENKUlT_T0_E_clISt17integral_constantIbLb1EES1P_EEDaS1K_S1L_EUlS1K_E_NS1_11comp_targetILNS1_3genE9ELNS1_11target_archE1100ELNS1_3gpuE3ELNS1_3repE0EEENS1_30default_config_static_selectorELNS0_4arch9wavefront6targetE1EEEvSY_.num_agpr, 0
	.set _ZN7rocprim17ROCPRIM_400000_NS6detail17trampoline_kernelINS0_13select_configILj256ELj13ELNS0_17block_load_methodE3ELS4_3ELS4_3ELNS0_20block_scan_algorithmE0ELj4294967295EEENS1_25partition_config_selectorILNS1_17partition_subalgoE3EjNS0_10empty_typeEbEEZZNS1_14partition_implILS8_3ELb0ES6_jNS0_17counting_iteratorIjlEEPS9_SE_NS0_5tupleIJPjSE_EEENSF_IJSE_SE_EEES9_SG_JZNS1_25segmented_radix_sort_implINS0_14default_configELb0EPKhPhPKlPlN2at6native12_GLOBAL__N_18offset_tEEE10hipError_tPvRmT1_PNSt15iterator_traitsISY_E10value_typeET2_T3_PNSZ_IS14_E10value_typeET4_jRbjT5_S1A_jjP12ihipStream_tbEUljE_EEESV_SW_SX_S14_S18_S1A_T6_T7_T9_mT8_S1C_bDpT10_ENKUlT_T0_E_clISt17integral_constantIbLb1EES1P_EEDaS1K_S1L_EUlS1K_E_NS1_11comp_targetILNS1_3genE9ELNS1_11target_archE1100ELNS1_3gpuE3ELNS1_3repE0EEENS1_30default_config_static_selectorELNS0_4arch9wavefront6targetE1EEEvSY_.numbered_sgpr, 0
	.set _ZN7rocprim17ROCPRIM_400000_NS6detail17trampoline_kernelINS0_13select_configILj256ELj13ELNS0_17block_load_methodE3ELS4_3ELS4_3ELNS0_20block_scan_algorithmE0ELj4294967295EEENS1_25partition_config_selectorILNS1_17partition_subalgoE3EjNS0_10empty_typeEbEEZZNS1_14partition_implILS8_3ELb0ES6_jNS0_17counting_iteratorIjlEEPS9_SE_NS0_5tupleIJPjSE_EEENSF_IJSE_SE_EEES9_SG_JZNS1_25segmented_radix_sort_implINS0_14default_configELb0EPKhPhPKlPlN2at6native12_GLOBAL__N_18offset_tEEE10hipError_tPvRmT1_PNSt15iterator_traitsISY_E10value_typeET2_T3_PNSZ_IS14_E10value_typeET4_jRbjT5_S1A_jjP12ihipStream_tbEUljE_EEESV_SW_SX_S14_S18_S1A_T6_T7_T9_mT8_S1C_bDpT10_ENKUlT_T0_E_clISt17integral_constantIbLb1EES1P_EEDaS1K_S1L_EUlS1K_E_NS1_11comp_targetILNS1_3genE9ELNS1_11target_archE1100ELNS1_3gpuE3ELNS1_3repE0EEENS1_30default_config_static_selectorELNS0_4arch9wavefront6targetE1EEEvSY_.num_named_barrier, 0
	.set _ZN7rocprim17ROCPRIM_400000_NS6detail17trampoline_kernelINS0_13select_configILj256ELj13ELNS0_17block_load_methodE3ELS4_3ELS4_3ELNS0_20block_scan_algorithmE0ELj4294967295EEENS1_25partition_config_selectorILNS1_17partition_subalgoE3EjNS0_10empty_typeEbEEZZNS1_14partition_implILS8_3ELb0ES6_jNS0_17counting_iteratorIjlEEPS9_SE_NS0_5tupleIJPjSE_EEENSF_IJSE_SE_EEES9_SG_JZNS1_25segmented_radix_sort_implINS0_14default_configELb0EPKhPhPKlPlN2at6native12_GLOBAL__N_18offset_tEEE10hipError_tPvRmT1_PNSt15iterator_traitsISY_E10value_typeET2_T3_PNSZ_IS14_E10value_typeET4_jRbjT5_S1A_jjP12ihipStream_tbEUljE_EEESV_SW_SX_S14_S18_S1A_T6_T7_T9_mT8_S1C_bDpT10_ENKUlT_T0_E_clISt17integral_constantIbLb1EES1P_EEDaS1K_S1L_EUlS1K_E_NS1_11comp_targetILNS1_3genE9ELNS1_11target_archE1100ELNS1_3gpuE3ELNS1_3repE0EEENS1_30default_config_static_selectorELNS0_4arch9wavefront6targetE1EEEvSY_.private_seg_size, 0
	.set _ZN7rocprim17ROCPRIM_400000_NS6detail17trampoline_kernelINS0_13select_configILj256ELj13ELNS0_17block_load_methodE3ELS4_3ELS4_3ELNS0_20block_scan_algorithmE0ELj4294967295EEENS1_25partition_config_selectorILNS1_17partition_subalgoE3EjNS0_10empty_typeEbEEZZNS1_14partition_implILS8_3ELb0ES6_jNS0_17counting_iteratorIjlEEPS9_SE_NS0_5tupleIJPjSE_EEENSF_IJSE_SE_EEES9_SG_JZNS1_25segmented_radix_sort_implINS0_14default_configELb0EPKhPhPKlPlN2at6native12_GLOBAL__N_18offset_tEEE10hipError_tPvRmT1_PNSt15iterator_traitsISY_E10value_typeET2_T3_PNSZ_IS14_E10value_typeET4_jRbjT5_S1A_jjP12ihipStream_tbEUljE_EEESV_SW_SX_S14_S18_S1A_T6_T7_T9_mT8_S1C_bDpT10_ENKUlT_T0_E_clISt17integral_constantIbLb1EES1P_EEDaS1K_S1L_EUlS1K_E_NS1_11comp_targetILNS1_3genE9ELNS1_11target_archE1100ELNS1_3gpuE3ELNS1_3repE0EEENS1_30default_config_static_selectorELNS0_4arch9wavefront6targetE1EEEvSY_.uses_vcc, 0
	.set _ZN7rocprim17ROCPRIM_400000_NS6detail17trampoline_kernelINS0_13select_configILj256ELj13ELNS0_17block_load_methodE3ELS4_3ELS4_3ELNS0_20block_scan_algorithmE0ELj4294967295EEENS1_25partition_config_selectorILNS1_17partition_subalgoE3EjNS0_10empty_typeEbEEZZNS1_14partition_implILS8_3ELb0ES6_jNS0_17counting_iteratorIjlEEPS9_SE_NS0_5tupleIJPjSE_EEENSF_IJSE_SE_EEES9_SG_JZNS1_25segmented_radix_sort_implINS0_14default_configELb0EPKhPhPKlPlN2at6native12_GLOBAL__N_18offset_tEEE10hipError_tPvRmT1_PNSt15iterator_traitsISY_E10value_typeET2_T3_PNSZ_IS14_E10value_typeET4_jRbjT5_S1A_jjP12ihipStream_tbEUljE_EEESV_SW_SX_S14_S18_S1A_T6_T7_T9_mT8_S1C_bDpT10_ENKUlT_T0_E_clISt17integral_constantIbLb1EES1P_EEDaS1K_S1L_EUlS1K_E_NS1_11comp_targetILNS1_3genE9ELNS1_11target_archE1100ELNS1_3gpuE3ELNS1_3repE0EEENS1_30default_config_static_selectorELNS0_4arch9wavefront6targetE1EEEvSY_.uses_flat_scratch, 0
	.set _ZN7rocprim17ROCPRIM_400000_NS6detail17trampoline_kernelINS0_13select_configILj256ELj13ELNS0_17block_load_methodE3ELS4_3ELS4_3ELNS0_20block_scan_algorithmE0ELj4294967295EEENS1_25partition_config_selectorILNS1_17partition_subalgoE3EjNS0_10empty_typeEbEEZZNS1_14partition_implILS8_3ELb0ES6_jNS0_17counting_iteratorIjlEEPS9_SE_NS0_5tupleIJPjSE_EEENSF_IJSE_SE_EEES9_SG_JZNS1_25segmented_radix_sort_implINS0_14default_configELb0EPKhPhPKlPlN2at6native12_GLOBAL__N_18offset_tEEE10hipError_tPvRmT1_PNSt15iterator_traitsISY_E10value_typeET2_T3_PNSZ_IS14_E10value_typeET4_jRbjT5_S1A_jjP12ihipStream_tbEUljE_EEESV_SW_SX_S14_S18_S1A_T6_T7_T9_mT8_S1C_bDpT10_ENKUlT_T0_E_clISt17integral_constantIbLb1EES1P_EEDaS1K_S1L_EUlS1K_E_NS1_11comp_targetILNS1_3genE9ELNS1_11target_archE1100ELNS1_3gpuE3ELNS1_3repE0EEENS1_30default_config_static_selectorELNS0_4arch9wavefront6targetE1EEEvSY_.has_dyn_sized_stack, 0
	.set _ZN7rocprim17ROCPRIM_400000_NS6detail17trampoline_kernelINS0_13select_configILj256ELj13ELNS0_17block_load_methodE3ELS4_3ELS4_3ELNS0_20block_scan_algorithmE0ELj4294967295EEENS1_25partition_config_selectorILNS1_17partition_subalgoE3EjNS0_10empty_typeEbEEZZNS1_14partition_implILS8_3ELb0ES6_jNS0_17counting_iteratorIjlEEPS9_SE_NS0_5tupleIJPjSE_EEENSF_IJSE_SE_EEES9_SG_JZNS1_25segmented_radix_sort_implINS0_14default_configELb0EPKhPhPKlPlN2at6native12_GLOBAL__N_18offset_tEEE10hipError_tPvRmT1_PNSt15iterator_traitsISY_E10value_typeET2_T3_PNSZ_IS14_E10value_typeET4_jRbjT5_S1A_jjP12ihipStream_tbEUljE_EEESV_SW_SX_S14_S18_S1A_T6_T7_T9_mT8_S1C_bDpT10_ENKUlT_T0_E_clISt17integral_constantIbLb1EES1P_EEDaS1K_S1L_EUlS1K_E_NS1_11comp_targetILNS1_3genE9ELNS1_11target_archE1100ELNS1_3gpuE3ELNS1_3repE0EEENS1_30default_config_static_selectorELNS0_4arch9wavefront6targetE1EEEvSY_.has_recursion, 0
	.set _ZN7rocprim17ROCPRIM_400000_NS6detail17trampoline_kernelINS0_13select_configILj256ELj13ELNS0_17block_load_methodE3ELS4_3ELS4_3ELNS0_20block_scan_algorithmE0ELj4294967295EEENS1_25partition_config_selectorILNS1_17partition_subalgoE3EjNS0_10empty_typeEbEEZZNS1_14partition_implILS8_3ELb0ES6_jNS0_17counting_iteratorIjlEEPS9_SE_NS0_5tupleIJPjSE_EEENSF_IJSE_SE_EEES9_SG_JZNS1_25segmented_radix_sort_implINS0_14default_configELb0EPKhPhPKlPlN2at6native12_GLOBAL__N_18offset_tEEE10hipError_tPvRmT1_PNSt15iterator_traitsISY_E10value_typeET2_T3_PNSZ_IS14_E10value_typeET4_jRbjT5_S1A_jjP12ihipStream_tbEUljE_EEESV_SW_SX_S14_S18_S1A_T6_T7_T9_mT8_S1C_bDpT10_ENKUlT_T0_E_clISt17integral_constantIbLb1EES1P_EEDaS1K_S1L_EUlS1K_E_NS1_11comp_targetILNS1_3genE9ELNS1_11target_archE1100ELNS1_3gpuE3ELNS1_3repE0EEENS1_30default_config_static_selectorELNS0_4arch9wavefront6targetE1EEEvSY_.has_indirect_call, 0
	.section	.AMDGPU.csdata,"",@progbits
; Kernel info:
; codeLenInByte = 0
; TotalNumSgprs: 4
; NumVgprs: 0
; ScratchSize: 0
; MemoryBound: 0
; FloatMode: 240
; IeeeMode: 1
; LDSByteSize: 0 bytes/workgroup (compile time only)
; SGPRBlocks: 0
; VGPRBlocks: 0
; NumSGPRsForWavesPerEU: 4
; NumVGPRsForWavesPerEU: 1
; Occupancy: 10
; WaveLimiterHint : 0
; COMPUTE_PGM_RSRC2:SCRATCH_EN: 0
; COMPUTE_PGM_RSRC2:USER_SGPR: 6
; COMPUTE_PGM_RSRC2:TRAP_HANDLER: 0
; COMPUTE_PGM_RSRC2:TGID_X_EN: 1
; COMPUTE_PGM_RSRC2:TGID_Y_EN: 0
; COMPUTE_PGM_RSRC2:TGID_Z_EN: 0
; COMPUTE_PGM_RSRC2:TIDIG_COMP_CNT: 0
	.section	.text._ZN7rocprim17ROCPRIM_400000_NS6detail17trampoline_kernelINS0_13select_configILj256ELj13ELNS0_17block_load_methodE3ELS4_3ELS4_3ELNS0_20block_scan_algorithmE0ELj4294967295EEENS1_25partition_config_selectorILNS1_17partition_subalgoE3EjNS0_10empty_typeEbEEZZNS1_14partition_implILS8_3ELb0ES6_jNS0_17counting_iteratorIjlEEPS9_SE_NS0_5tupleIJPjSE_EEENSF_IJSE_SE_EEES9_SG_JZNS1_25segmented_radix_sort_implINS0_14default_configELb0EPKhPhPKlPlN2at6native12_GLOBAL__N_18offset_tEEE10hipError_tPvRmT1_PNSt15iterator_traitsISY_E10value_typeET2_T3_PNSZ_IS14_E10value_typeET4_jRbjT5_S1A_jjP12ihipStream_tbEUljE_EEESV_SW_SX_S14_S18_S1A_T6_T7_T9_mT8_S1C_bDpT10_ENKUlT_T0_E_clISt17integral_constantIbLb1EES1P_EEDaS1K_S1L_EUlS1K_E_NS1_11comp_targetILNS1_3genE8ELNS1_11target_archE1030ELNS1_3gpuE2ELNS1_3repE0EEENS1_30default_config_static_selectorELNS0_4arch9wavefront6targetE1EEEvSY_,"axG",@progbits,_ZN7rocprim17ROCPRIM_400000_NS6detail17trampoline_kernelINS0_13select_configILj256ELj13ELNS0_17block_load_methodE3ELS4_3ELS4_3ELNS0_20block_scan_algorithmE0ELj4294967295EEENS1_25partition_config_selectorILNS1_17partition_subalgoE3EjNS0_10empty_typeEbEEZZNS1_14partition_implILS8_3ELb0ES6_jNS0_17counting_iteratorIjlEEPS9_SE_NS0_5tupleIJPjSE_EEENSF_IJSE_SE_EEES9_SG_JZNS1_25segmented_radix_sort_implINS0_14default_configELb0EPKhPhPKlPlN2at6native12_GLOBAL__N_18offset_tEEE10hipError_tPvRmT1_PNSt15iterator_traitsISY_E10value_typeET2_T3_PNSZ_IS14_E10value_typeET4_jRbjT5_S1A_jjP12ihipStream_tbEUljE_EEESV_SW_SX_S14_S18_S1A_T6_T7_T9_mT8_S1C_bDpT10_ENKUlT_T0_E_clISt17integral_constantIbLb1EES1P_EEDaS1K_S1L_EUlS1K_E_NS1_11comp_targetILNS1_3genE8ELNS1_11target_archE1030ELNS1_3gpuE2ELNS1_3repE0EEENS1_30default_config_static_selectorELNS0_4arch9wavefront6targetE1EEEvSY_,comdat
	.globl	_ZN7rocprim17ROCPRIM_400000_NS6detail17trampoline_kernelINS0_13select_configILj256ELj13ELNS0_17block_load_methodE3ELS4_3ELS4_3ELNS0_20block_scan_algorithmE0ELj4294967295EEENS1_25partition_config_selectorILNS1_17partition_subalgoE3EjNS0_10empty_typeEbEEZZNS1_14partition_implILS8_3ELb0ES6_jNS0_17counting_iteratorIjlEEPS9_SE_NS0_5tupleIJPjSE_EEENSF_IJSE_SE_EEES9_SG_JZNS1_25segmented_radix_sort_implINS0_14default_configELb0EPKhPhPKlPlN2at6native12_GLOBAL__N_18offset_tEEE10hipError_tPvRmT1_PNSt15iterator_traitsISY_E10value_typeET2_T3_PNSZ_IS14_E10value_typeET4_jRbjT5_S1A_jjP12ihipStream_tbEUljE_EEESV_SW_SX_S14_S18_S1A_T6_T7_T9_mT8_S1C_bDpT10_ENKUlT_T0_E_clISt17integral_constantIbLb1EES1P_EEDaS1K_S1L_EUlS1K_E_NS1_11comp_targetILNS1_3genE8ELNS1_11target_archE1030ELNS1_3gpuE2ELNS1_3repE0EEENS1_30default_config_static_selectorELNS0_4arch9wavefront6targetE1EEEvSY_ ; -- Begin function _ZN7rocprim17ROCPRIM_400000_NS6detail17trampoline_kernelINS0_13select_configILj256ELj13ELNS0_17block_load_methodE3ELS4_3ELS4_3ELNS0_20block_scan_algorithmE0ELj4294967295EEENS1_25partition_config_selectorILNS1_17partition_subalgoE3EjNS0_10empty_typeEbEEZZNS1_14partition_implILS8_3ELb0ES6_jNS0_17counting_iteratorIjlEEPS9_SE_NS0_5tupleIJPjSE_EEENSF_IJSE_SE_EEES9_SG_JZNS1_25segmented_radix_sort_implINS0_14default_configELb0EPKhPhPKlPlN2at6native12_GLOBAL__N_18offset_tEEE10hipError_tPvRmT1_PNSt15iterator_traitsISY_E10value_typeET2_T3_PNSZ_IS14_E10value_typeET4_jRbjT5_S1A_jjP12ihipStream_tbEUljE_EEESV_SW_SX_S14_S18_S1A_T6_T7_T9_mT8_S1C_bDpT10_ENKUlT_T0_E_clISt17integral_constantIbLb1EES1P_EEDaS1K_S1L_EUlS1K_E_NS1_11comp_targetILNS1_3genE8ELNS1_11target_archE1030ELNS1_3gpuE2ELNS1_3repE0EEENS1_30default_config_static_selectorELNS0_4arch9wavefront6targetE1EEEvSY_
	.p2align	8
	.type	_ZN7rocprim17ROCPRIM_400000_NS6detail17trampoline_kernelINS0_13select_configILj256ELj13ELNS0_17block_load_methodE3ELS4_3ELS4_3ELNS0_20block_scan_algorithmE0ELj4294967295EEENS1_25partition_config_selectorILNS1_17partition_subalgoE3EjNS0_10empty_typeEbEEZZNS1_14partition_implILS8_3ELb0ES6_jNS0_17counting_iteratorIjlEEPS9_SE_NS0_5tupleIJPjSE_EEENSF_IJSE_SE_EEES9_SG_JZNS1_25segmented_radix_sort_implINS0_14default_configELb0EPKhPhPKlPlN2at6native12_GLOBAL__N_18offset_tEEE10hipError_tPvRmT1_PNSt15iterator_traitsISY_E10value_typeET2_T3_PNSZ_IS14_E10value_typeET4_jRbjT5_S1A_jjP12ihipStream_tbEUljE_EEESV_SW_SX_S14_S18_S1A_T6_T7_T9_mT8_S1C_bDpT10_ENKUlT_T0_E_clISt17integral_constantIbLb1EES1P_EEDaS1K_S1L_EUlS1K_E_NS1_11comp_targetILNS1_3genE8ELNS1_11target_archE1030ELNS1_3gpuE2ELNS1_3repE0EEENS1_30default_config_static_selectorELNS0_4arch9wavefront6targetE1EEEvSY_,@function
_ZN7rocprim17ROCPRIM_400000_NS6detail17trampoline_kernelINS0_13select_configILj256ELj13ELNS0_17block_load_methodE3ELS4_3ELS4_3ELNS0_20block_scan_algorithmE0ELj4294967295EEENS1_25partition_config_selectorILNS1_17partition_subalgoE3EjNS0_10empty_typeEbEEZZNS1_14partition_implILS8_3ELb0ES6_jNS0_17counting_iteratorIjlEEPS9_SE_NS0_5tupleIJPjSE_EEENSF_IJSE_SE_EEES9_SG_JZNS1_25segmented_radix_sort_implINS0_14default_configELb0EPKhPhPKlPlN2at6native12_GLOBAL__N_18offset_tEEE10hipError_tPvRmT1_PNSt15iterator_traitsISY_E10value_typeET2_T3_PNSZ_IS14_E10value_typeET4_jRbjT5_S1A_jjP12ihipStream_tbEUljE_EEESV_SW_SX_S14_S18_S1A_T6_T7_T9_mT8_S1C_bDpT10_ENKUlT_T0_E_clISt17integral_constantIbLb1EES1P_EEDaS1K_S1L_EUlS1K_E_NS1_11comp_targetILNS1_3genE8ELNS1_11target_archE1030ELNS1_3gpuE2ELNS1_3repE0EEENS1_30default_config_static_selectorELNS0_4arch9wavefront6targetE1EEEvSY_: ; @_ZN7rocprim17ROCPRIM_400000_NS6detail17trampoline_kernelINS0_13select_configILj256ELj13ELNS0_17block_load_methodE3ELS4_3ELS4_3ELNS0_20block_scan_algorithmE0ELj4294967295EEENS1_25partition_config_selectorILNS1_17partition_subalgoE3EjNS0_10empty_typeEbEEZZNS1_14partition_implILS8_3ELb0ES6_jNS0_17counting_iteratorIjlEEPS9_SE_NS0_5tupleIJPjSE_EEENSF_IJSE_SE_EEES9_SG_JZNS1_25segmented_radix_sort_implINS0_14default_configELb0EPKhPhPKlPlN2at6native12_GLOBAL__N_18offset_tEEE10hipError_tPvRmT1_PNSt15iterator_traitsISY_E10value_typeET2_T3_PNSZ_IS14_E10value_typeET4_jRbjT5_S1A_jjP12ihipStream_tbEUljE_EEESV_SW_SX_S14_S18_S1A_T6_T7_T9_mT8_S1C_bDpT10_ENKUlT_T0_E_clISt17integral_constantIbLb1EES1P_EEDaS1K_S1L_EUlS1K_E_NS1_11comp_targetILNS1_3genE8ELNS1_11target_archE1030ELNS1_3gpuE2ELNS1_3repE0EEENS1_30default_config_static_selectorELNS0_4arch9wavefront6targetE1EEEvSY_
; %bb.0:
	.section	.rodata,"a",@progbits
	.p2align	6, 0x0
	.amdhsa_kernel _ZN7rocprim17ROCPRIM_400000_NS6detail17trampoline_kernelINS0_13select_configILj256ELj13ELNS0_17block_load_methodE3ELS4_3ELS4_3ELNS0_20block_scan_algorithmE0ELj4294967295EEENS1_25partition_config_selectorILNS1_17partition_subalgoE3EjNS0_10empty_typeEbEEZZNS1_14partition_implILS8_3ELb0ES6_jNS0_17counting_iteratorIjlEEPS9_SE_NS0_5tupleIJPjSE_EEENSF_IJSE_SE_EEES9_SG_JZNS1_25segmented_radix_sort_implINS0_14default_configELb0EPKhPhPKlPlN2at6native12_GLOBAL__N_18offset_tEEE10hipError_tPvRmT1_PNSt15iterator_traitsISY_E10value_typeET2_T3_PNSZ_IS14_E10value_typeET4_jRbjT5_S1A_jjP12ihipStream_tbEUljE_EEESV_SW_SX_S14_S18_S1A_T6_T7_T9_mT8_S1C_bDpT10_ENKUlT_T0_E_clISt17integral_constantIbLb1EES1P_EEDaS1K_S1L_EUlS1K_E_NS1_11comp_targetILNS1_3genE8ELNS1_11target_archE1030ELNS1_3gpuE2ELNS1_3repE0EEENS1_30default_config_static_selectorELNS0_4arch9wavefront6targetE1EEEvSY_
		.amdhsa_group_segment_fixed_size 0
		.amdhsa_private_segment_fixed_size 0
		.amdhsa_kernarg_size 152
		.amdhsa_user_sgpr_count 6
		.amdhsa_user_sgpr_private_segment_buffer 1
		.amdhsa_user_sgpr_dispatch_ptr 0
		.amdhsa_user_sgpr_queue_ptr 0
		.amdhsa_user_sgpr_kernarg_segment_ptr 1
		.amdhsa_user_sgpr_dispatch_id 0
		.amdhsa_user_sgpr_flat_scratch_init 0
		.amdhsa_user_sgpr_private_segment_size 0
		.amdhsa_uses_dynamic_stack 0
		.amdhsa_system_sgpr_private_segment_wavefront_offset 0
		.amdhsa_system_sgpr_workgroup_id_x 1
		.amdhsa_system_sgpr_workgroup_id_y 0
		.amdhsa_system_sgpr_workgroup_id_z 0
		.amdhsa_system_sgpr_workgroup_info 0
		.amdhsa_system_vgpr_workitem_id 0
		.amdhsa_next_free_vgpr 1
		.amdhsa_next_free_sgpr 0
		.amdhsa_reserve_vcc 0
		.amdhsa_reserve_flat_scratch 0
		.amdhsa_float_round_mode_32 0
		.amdhsa_float_round_mode_16_64 0
		.amdhsa_float_denorm_mode_32 3
		.amdhsa_float_denorm_mode_16_64 3
		.amdhsa_dx10_clamp 1
		.amdhsa_ieee_mode 1
		.amdhsa_fp16_overflow 0
		.amdhsa_exception_fp_ieee_invalid_op 0
		.amdhsa_exception_fp_denorm_src 0
		.amdhsa_exception_fp_ieee_div_zero 0
		.amdhsa_exception_fp_ieee_overflow 0
		.amdhsa_exception_fp_ieee_underflow 0
		.amdhsa_exception_fp_ieee_inexact 0
		.amdhsa_exception_int_div_zero 0
	.end_amdhsa_kernel
	.section	.text._ZN7rocprim17ROCPRIM_400000_NS6detail17trampoline_kernelINS0_13select_configILj256ELj13ELNS0_17block_load_methodE3ELS4_3ELS4_3ELNS0_20block_scan_algorithmE0ELj4294967295EEENS1_25partition_config_selectorILNS1_17partition_subalgoE3EjNS0_10empty_typeEbEEZZNS1_14partition_implILS8_3ELb0ES6_jNS0_17counting_iteratorIjlEEPS9_SE_NS0_5tupleIJPjSE_EEENSF_IJSE_SE_EEES9_SG_JZNS1_25segmented_radix_sort_implINS0_14default_configELb0EPKhPhPKlPlN2at6native12_GLOBAL__N_18offset_tEEE10hipError_tPvRmT1_PNSt15iterator_traitsISY_E10value_typeET2_T3_PNSZ_IS14_E10value_typeET4_jRbjT5_S1A_jjP12ihipStream_tbEUljE_EEESV_SW_SX_S14_S18_S1A_T6_T7_T9_mT8_S1C_bDpT10_ENKUlT_T0_E_clISt17integral_constantIbLb1EES1P_EEDaS1K_S1L_EUlS1K_E_NS1_11comp_targetILNS1_3genE8ELNS1_11target_archE1030ELNS1_3gpuE2ELNS1_3repE0EEENS1_30default_config_static_selectorELNS0_4arch9wavefront6targetE1EEEvSY_,"axG",@progbits,_ZN7rocprim17ROCPRIM_400000_NS6detail17trampoline_kernelINS0_13select_configILj256ELj13ELNS0_17block_load_methodE3ELS4_3ELS4_3ELNS0_20block_scan_algorithmE0ELj4294967295EEENS1_25partition_config_selectorILNS1_17partition_subalgoE3EjNS0_10empty_typeEbEEZZNS1_14partition_implILS8_3ELb0ES6_jNS0_17counting_iteratorIjlEEPS9_SE_NS0_5tupleIJPjSE_EEENSF_IJSE_SE_EEES9_SG_JZNS1_25segmented_radix_sort_implINS0_14default_configELb0EPKhPhPKlPlN2at6native12_GLOBAL__N_18offset_tEEE10hipError_tPvRmT1_PNSt15iterator_traitsISY_E10value_typeET2_T3_PNSZ_IS14_E10value_typeET4_jRbjT5_S1A_jjP12ihipStream_tbEUljE_EEESV_SW_SX_S14_S18_S1A_T6_T7_T9_mT8_S1C_bDpT10_ENKUlT_T0_E_clISt17integral_constantIbLb1EES1P_EEDaS1K_S1L_EUlS1K_E_NS1_11comp_targetILNS1_3genE8ELNS1_11target_archE1030ELNS1_3gpuE2ELNS1_3repE0EEENS1_30default_config_static_selectorELNS0_4arch9wavefront6targetE1EEEvSY_,comdat
.Lfunc_end169:
	.size	_ZN7rocprim17ROCPRIM_400000_NS6detail17trampoline_kernelINS0_13select_configILj256ELj13ELNS0_17block_load_methodE3ELS4_3ELS4_3ELNS0_20block_scan_algorithmE0ELj4294967295EEENS1_25partition_config_selectorILNS1_17partition_subalgoE3EjNS0_10empty_typeEbEEZZNS1_14partition_implILS8_3ELb0ES6_jNS0_17counting_iteratorIjlEEPS9_SE_NS0_5tupleIJPjSE_EEENSF_IJSE_SE_EEES9_SG_JZNS1_25segmented_radix_sort_implINS0_14default_configELb0EPKhPhPKlPlN2at6native12_GLOBAL__N_18offset_tEEE10hipError_tPvRmT1_PNSt15iterator_traitsISY_E10value_typeET2_T3_PNSZ_IS14_E10value_typeET4_jRbjT5_S1A_jjP12ihipStream_tbEUljE_EEESV_SW_SX_S14_S18_S1A_T6_T7_T9_mT8_S1C_bDpT10_ENKUlT_T0_E_clISt17integral_constantIbLb1EES1P_EEDaS1K_S1L_EUlS1K_E_NS1_11comp_targetILNS1_3genE8ELNS1_11target_archE1030ELNS1_3gpuE2ELNS1_3repE0EEENS1_30default_config_static_selectorELNS0_4arch9wavefront6targetE1EEEvSY_, .Lfunc_end169-_ZN7rocprim17ROCPRIM_400000_NS6detail17trampoline_kernelINS0_13select_configILj256ELj13ELNS0_17block_load_methodE3ELS4_3ELS4_3ELNS0_20block_scan_algorithmE0ELj4294967295EEENS1_25partition_config_selectorILNS1_17partition_subalgoE3EjNS0_10empty_typeEbEEZZNS1_14partition_implILS8_3ELb0ES6_jNS0_17counting_iteratorIjlEEPS9_SE_NS0_5tupleIJPjSE_EEENSF_IJSE_SE_EEES9_SG_JZNS1_25segmented_radix_sort_implINS0_14default_configELb0EPKhPhPKlPlN2at6native12_GLOBAL__N_18offset_tEEE10hipError_tPvRmT1_PNSt15iterator_traitsISY_E10value_typeET2_T3_PNSZ_IS14_E10value_typeET4_jRbjT5_S1A_jjP12ihipStream_tbEUljE_EEESV_SW_SX_S14_S18_S1A_T6_T7_T9_mT8_S1C_bDpT10_ENKUlT_T0_E_clISt17integral_constantIbLb1EES1P_EEDaS1K_S1L_EUlS1K_E_NS1_11comp_targetILNS1_3genE8ELNS1_11target_archE1030ELNS1_3gpuE2ELNS1_3repE0EEENS1_30default_config_static_selectorELNS0_4arch9wavefront6targetE1EEEvSY_
                                        ; -- End function
	.set _ZN7rocprim17ROCPRIM_400000_NS6detail17trampoline_kernelINS0_13select_configILj256ELj13ELNS0_17block_load_methodE3ELS4_3ELS4_3ELNS0_20block_scan_algorithmE0ELj4294967295EEENS1_25partition_config_selectorILNS1_17partition_subalgoE3EjNS0_10empty_typeEbEEZZNS1_14partition_implILS8_3ELb0ES6_jNS0_17counting_iteratorIjlEEPS9_SE_NS0_5tupleIJPjSE_EEENSF_IJSE_SE_EEES9_SG_JZNS1_25segmented_radix_sort_implINS0_14default_configELb0EPKhPhPKlPlN2at6native12_GLOBAL__N_18offset_tEEE10hipError_tPvRmT1_PNSt15iterator_traitsISY_E10value_typeET2_T3_PNSZ_IS14_E10value_typeET4_jRbjT5_S1A_jjP12ihipStream_tbEUljE_EEESV_SW_SX_S14_S18_S1A_T6_T7_T9_mT8_S1C_bDpT10_ENKUlT_T0_E_clISt17integral_constantIbLb1EES1P_EEDaS1K_S1L_EUlS1K_E_NS1_11comp_targetILNS1_3genE8ELNS1_11target_archE1030ELNS1_3gpuE2ELNS1_3repE0EEENS1_30default_config_static_selectorELNS0_4arch9wavefront6targetE1EEEvSY_.num_vgpr, 0
	.set _ZN7rocprim17ROCPRIM_400000_NS6detail17trampoline_kernelINS0_13select_configILj256ELj13ELNS0_17block_load_methodE3ELS4_3ELS4_3ELNS0_20block_scan_algorithmE0ELj4294967295EEENS1_25partition_config_selectorILNS1_17partition_subalgoE3EjNS0_10empty_typeEbEEZZNS1_14partition_implILS8_3ELb0ES6_jNS0_17counting_iteratorIjlEEPS9_SE_NS0_5tupleIJPjSE_EEENSF_IJSE_SE_EEES9_SG_JZNS1_25segmented_radix_sort_implINS0_14default_configELb0EPKhPhPKlPlN2at6native12_GLOBAL__N_18offset_tEEE10hipError_tPvRmT1_PNSt15iterator_traitsISY_E10value_typeET2_T3_PNSZ_IS14_E10value_typeET4_jRbjT5_S1A_jjP12ihipStream_tbEUljE_EEESV_SW_SX_S14_S18_S1A_T6_T7_T9_mT8_S1C_bDpT10_ENKUlT_T0_E_clISt17integral_constantIbLb1EES1P_EEDaS1K_S1L_EUlS1K_E_NS1_11comp_targetILNS1_3genE8ELNS1_11target_archE1030ELNS1_3gpuE2ELNS1_3repE0EEENS1_30default_config_static_selectorELNS0_4arch9wavefront6targetE1EEEvSY_.num_agpr, 0
	.set _ZN7rocprim17ROCPRIM_400000_NS6detail17trampoline_kernelINS0_13select_configILj256ELj13ELNS0_17block_load_methodE3ELS4_3ELS4_3ELNS0_20block_scan_algorithmE0ELj4294967295EEENS1_25partition_config_selectorILNS1_17partition_subalgoE3EjNS0_10empty_typeEbEEZZNS1_14partition_implILS8_3ELb0ES6_jNS0_17counting_iteratorIjlEEPS9_SE_NS0_5tupleIJPjSE_EEENSF_IJSE_SE_EEES9_SG_JZNS1_25segmented_radix_sort_implINS0_14default_configELb0EPKhPhPKlPlN2at6native12_GLOBAL__N_18offset_tEEE10hipError_tPvRmT1_PNSt15iterator_traitsISY_E10value_typeET2_T3_PNSZ_IS14_E10value_typeET4_jRbjT5_S1A_jjP12ihipStream_tbEUljE_EEESV_SW_SX_S14_S18_S1A_T6_T7_T9_mT8_S1C_bDpT10_ENKUlT_T0_E_clISt17integral_constantIbLb1EES1P_EEDaS1K_S1L_EUlS1K_E_NS1_11comp_targetILNS1_3genE8ELNS1_11target_archE1030ELNS1_3gpuE2ELNS1_3repE0EEENS1_30default_config_static_selectorELNS0_4arch9wavefront6targetE1EEEvSY_.numbered_sgpr, 0
	.set _ZN7rocprim17ROCPRIM_400000_NS6detail17trampoline_kernelINS0_13select_configILj256ELj13ELNS0_17block_load_methodE3ELS4_3ELS4_3ELNS0_20block_scan_algorithmE0ELj4294967295EEENS1_25partition_config_selectorILNS1_17partition_subalgoE3EjNS0_10empty_typeEbEEZZNS1_14partition_implILS8_3ELb0ES6_jNS0_17counting_iteratorIjlEEPS9_SE_NS0_5tupleIJPjSE_EEENSF_IJSE_SE_EEES9_SG_JZNS1_25segmented_radix_sort_implINS0_14default_configELb0EPKhPhPKlPlN2at6native12_GLOBAL__N_18offset_tEEE10hipError_tPvRmT1_PNSt15iterator_traitsISY_E10value_typeET2_T3_PNSZ_IS14_E10value_typeET4_jRbjT5_S1A_jjP12ihipStream_tbEUljE_EEESV_SW_SX_S14_S18_S1A_T6_T7_T9_mT8_S1C_bDpT10_ENKUlT_T0_E_clISt17integral_constantIbLb1EES1P_EEDaS1K_S1L_EUlS1K_E_NS1_11comp_targetILNS1_3genE8ELNS1_11target_archE1030ELNS1_3gpuE2ELNS1_3repE0EEENS1_30default_config_static_selectorELNS0_4arch9wavefront6targetE1EEEvSY_.num_named_barrier, 0
	.set _ZN7rocprim17ROCPRIM_400000_NS6detail17trampoline_kernelINS0_13select_configILj256ELj13ELNS0_17block_load_methodE3ELS4_3ELS4_3ELNS0_20block_scan_algorithmE0ELj4294967295EEENS1_25partition_config_selectorILNS1_17partition_subalgoE3EjNS0_10empty_typeEbEEZZNS1_14partition_implILS8_3ELb0ES6_jNS0_17counting_iteratorIjlEEPS9_SE_NS0_5tupleIJPjSE_EEENSF_IJSE_SE_EEES9_SG_JZNS1_25segmented_radix_sort_implINS0_14default_configELb0EPKhPhPKlPlN2at6native12_GLOBAL__N_18offset_tEEE10hipError_tPvRmT1_PNSt15iterator_traitsISY_E10value_typeET2_T3_PNSZ_IS14_E10value_typeET4_jRbjT5_S1A_jjP12ihipStream_tbEUljE_EEESV_SW_SX_S14_S18_S1A_T6_T7_T9_mT8_S1C_bDpT10_ENKUlT_T0_E_clISt17integral_constantIbLb1EES1P_EEDaS1K_S1L_EUlS1K_E_NS1_11comp_targetILNS1_3genE8ELNS1_11target_archE1030ELNS1_3gpuE2ELNS1_3repE0EEENS1_30default_config_static_selectorELNS0_4arch9wavefront6targetE1EEEvSY_.private_seg_size, 0
	.set _ZN7rocprim17ROCPRIM_400000_NS6detail17trampoline_kernelINS0_13select_configILj256ELj13ELNS0_17block_load_methodE3ELS4_3ELS4_3ELNS0_20block_scan_algorithmE0ELj4294967295EEENS1_25partition_config_selectorILNS1_17partition_subalgoE3EjNS0_10empty_typeEbEEZZNS1_14partition_implILS8_3ELb0ES6_jNS0_17counting_iteratorIjlEEPS9_SE_NS0_5tupleIJPjSE_EEENSF_IJSE_SE_EEES9_SG_JZNS1_25segmented_radix_sort_implINS0_14default_configELb0EPKhPhPKlPlN2at6native12_GLOBAL__N_18offset_tEEE10hipError_tPvRmT1_PNSt15iterator_traitsISY_E10value_typeET2_T3_PNSZ_IS14_E10value_typeET4_jRbjT5_S1A_jjP12ihipStream_tbEUljE_EEESV_SW_SX_S14_S18_S1A_T6_T7_T9_mT8_S1C_bDpT10_ENKUlT_T0_E_clISt17integral_constantIbLb1EES1P_EEDaS1K_S1L_EUlS1K_E_NS1_11comp_targetILNS1_3genE8ELNS1_11target_archE1030ELNS1_3gpuE2ELNS1_3repE0EEENS1_30default_config_static_selectorELNS0_4arch9wavefront6targetE1EEEvSY_.uses_vcc, 0
	.set _ZN7rocprim17ROCPRIM_400000_NS6detail17trampoline_kernelINS0_13select_configILj256ELj13ELNS0_17block_load_methodE3ELS4_3ELS4_3ELNS0_20block_scan_algorithmE0ELj4294967295EEENS1_25partition_config_selectorILNS1_17partition_subalgoE3EjNS0_10empty_typeEbEEZZNS1_14partition_implILS8_3ELb0ES6_jNS0_17counting_iteratorIjlEEPS9_SE_NS0_5tupleIJPjSE_EEENSF_IJSE_SE_EEES9_SG_JZNS1_25segmented_radix_sort_implINS0_14default_configELb0EPKhPhPKlPlN2at6native12_GLOBAL__N_18offset_tEEE10hipError_tPvRmT1_PNSt15iterator_traitsISY_E10value_typeET2_T3_PNSZ_IS14_E10value_typeET4_jRbjT5_S1A_jjP12ihipStream_tbEUljE_EEESV_SW_SX_S14_S18_S1A_T6_T7_T9_mT8_S1C_bDpT10_ENKUlT_T0_E_clISt17integral_constantIbLb1EES1P_EEDaS1K_S1L_EUlS1K_E_NS1_11comp_targetILNS1_3genE8ELNS1_11target_archE1030ELNS1_3gpuE2ELNS1_3repE0EEENS1_30default_config_static_selectorELNS0_4arch9wavefront6targetE1EEEvSY_.uses_flat_scratch, 0
	.set _ZN7rocprim17ROCPRIM_400000_NS6detail17trampoline_kernelINS0_13select_configILj256ELj13ELNS0_17block_load_methodE3ELS4_3ELS4_3ELNS0_20block_scan_algorithmE0ELj4294967295EEENS1_25partition_config_selectorILNS1_17partition_subalgoE3EjNS0_10empty_typeEbEEZZNS1_14partition_implILS8_3ELb0ES6_jNS0_17counting_iteratorIjlEEPS9_SE_NS0_5tupleIJPjSE_EEENSF_IJSE_SE_EEES9_SG_JZNS1_25segmented_radix_sort_implINS0_14default_configELb0EPKhPhPKlPlN2at6native12_GLOBAL__N_18offset_tEEE10hipError_tPvRmT1_PNSt15iterator_traitsISY_E10value_typeET2_T3_PNSZ_IS14_E10value_typeET4_jRbjT5_S1A_jjP12ihipStream_tbEUljE_EEESV_SW_SX_S14_S18_S1A_T6_T7_T9_mT8_S1C_bDpT10_ENKUlT_T0_E_clISt17integral_constantIbLb1EES1P_EEDaS1K_S1L_EUlS1K_E_NS1_11comp_targetILNS1_3genE8ELNS1_11target_archE1030ELNS1_3gpuE2ELNS1_3repE0EEENS1_30default_config_static_selectorELNS0_4arch9wavefront6targetE1EEEvSY_.has_dyn_sized_stack, 0
	.set _ZN7rocprim17ROCPRIM_400000_NS6detail17trampoline_kernelINS0_13select_configILj256ELj13ELNS0_17block_load_methodE3ELS4_3ELS4_3ELNS0_20block_scan_algorithmE0ELj4294967295EEENS1_25partition_config_selectorILNS1_17partition_subalgoE3EjNS0_10empty_typeEbEEZZNS1_14partition_implILS8_3ELb0ES6_jNS0_17counting_iteratorIjlEEPS9_SE_NS0_5tupleIJPjSE_EEENSF_IJSE_SE_EEES9_SG_JZNS1_25segmented_radix_sort_implINS0_14default_configELb0EPKhPhPKlPlN2at6native12_GLOBAL__N_18offset_tEEE10hipError_tPvRmT1_PNSt15iterator_traitsISY_E10value_typeET2_T3_PNSZ_IS14_E10value_typeET4_jRbjT5_S1A_jjP12ihipStream_tbEUljE_EEESV_SW_SX_S14_S18_S1A_T6_T7_T9_mT8_S1C_bDpT10_ENKUlT_T0_E_clISt17integral_constantIbLb1EES1P_EEDaS1K_S1L_EUlS1K_E_NS1_11comp_targetILNS1_3genE8ELNS1_11target_archE1030ELNS1_3gpuE2ELNS1_3repE0EEENS1_30default_config_static_selectorELNS0_4arch9wavefront6targetE1EEEvSY_.has_recursion, 0
	.set _ZN7rocprim17ROCPRIM_400000_NS6detail17trampoline_kernelINS0_13select_configILj256ELj13ELNS0_17block_load_methodE3ELS4_3ELS4_3ELNS0_20block_scan_algorithmE0ELj4294967295EEENS1_25partition_config_selectorILNS1_17partition_subalgoE3EjNS0_10empty_typeEbEEZZNS1_14partition_implILS8_3ELb0ES6_jNS0_17counting_iteratorIjlEEPS9_SE_NS0_5tupleIJPjSE_EEENSF_IJSE_SE_EEES9_SG_JZNS1_25segmented_radix_sort_implINS0_14default_configELb0EPKhPhPKlPlN2at6native12_GLOBAL__N_18offset_tEEE10hipError_tPvRmT1_PNSt15iterator_traitsISY_E10value_typeET2_T3_PNSZ_IS14_E10value_typeET4_jRbjT5_S1A_jjP12ihipStream_tbEUljE_EEESV_SW_SX_S14_S18_S1A_T6_T7_T9_mT8_S1C_bDpT10_ENKUlT_T0_E_clISt17integral_constantIbLb1EES1P_EEDaS1K_S1L_EUlS1K_E_NS1_11comp_targetILNS1_3genE8ELNS1_11target_archE1030ELNS1_3gpuE2ELNS1_3repE0EEENS1_30default_config_static_selectorELNS0_4arch9wavefront6targetE1EEEvSY_.has_indirect_call, 0
	.section	.AMDGPU.csdata,"",@progbits
; Kernel info:
; codeLenInByte = 0
; TotalNumSgprs: 4
; NumVgprs: 0
; ScratchSize: 0
; MemoryBound: 0
; FloatMode: 240
; IeeeMode: 1
; LDSByteSize: 0 bytes/workgroup (compile time only)
; SGPRBlocks: 0
; VGPRBlocks: 0
; NumSGPRsForWavesPerEU: 4
; NumVGPRsForWavesPerEU: 1
; Occupancy: 10
; WaveLimiterHint : 0
; COMPUTE_PGM_RSRC2:SCRATCH_EN: 0
; COMPUTE_PGM_RSRC2:USER_SGPR: 6
; COMPUTE_PGM_RSRC2:TRAP_HANDLER: 0
; COMPUTE_PGM_RSRC2:TGID_X_EN: 1
; COMPUTE_PGM_RSRC2:TGID_Y_EN: 0
; COMPUTE_PGM_RSRC2:TGID_Z_EN: 0
; COMPUTE_PGM_RSRC2:TIDIG_COMP_CNT: 0
	.section	.text._ZN7rocprim17ROCPRIM_400000_NS6detail17trampoline_kernelINS0_13select_configILj256ELj13ELNS0_17block_load_methodE3ELS4_3ELS4_3ELNS0_20block_scan_algorithmE0ELj4294967295EEENS1_25partition_config_selectorILNS1_17partition_subalgoE3EjNS0_10empty_typeEbEEZZNS1_14partition_implILS8_3ELb0ES6_jNS0_17counting_iteratorIjlEEPS9_SE_NS0_5tupleIJPjSE_EEENSF_IJSE_SE_EEES9_SG_JZNS1_25segmented_radix_sort_implINS0_14default_configELb0EPKhPhPKlPlN2at6native12_GLOBAL__N_18offset_tEEE10hipError_tPvRmT1_PNSt15iterator_traitsISY_E10value_typeET2_T3_PNSZ_IS14_E10value_typeET4_jRbjT5_S1A_jjP12ihipStream_tbEUljE_EEESV_SW_SX_S14_S18_S1A_T6_T7_T9_mT8_S1C_bDpT10_ENKUlT_T0_E_clISt17integral_constantIbLb1EES1O_IbLb0EEEEDaS1K_S1L_EUlS1K_E_NS1_11comp_targetILNS1_3genE0ELNS1_11target_archE4294967295ELNS1_3gpuE0ELNS1_3repE0EEENS1_30default_config_static_selectorELNS0_4arch9wavefront6targetE1EEEvSY_,"axG",@progbits,_ZN7rocprim17ROCPRIM_400000_NS6detail17trampoline_kernelINS0_13select_configILj256ELj13ELNS0_17block_load_methodE3ELS4_3ELS4_3ELNS0_20block_scan_algorithmE0ELj4294967295EEENS1_25partition_config_selectorILNS1_17partition_subalgoE3EjNS0_10empty_typeEbEEZZNS1_14partition_implILS8_3ELb0ES6_jNS0_17counting_iteratorIjlEEPS9_SE_NS0_5tupleIJPjSE_EEENSF_IJSE_SE_EEES9_SG_JZNS1_25segmented_radix_sort_implINS0_14default_configELb0EPKhPhPKlPlN2at6native12_GLOBAL__N_18offset_tEEE10hipError_tPvRmT1_PNSt15iterator_traitsISY_E10value_typeET2_T3_PNSZ_IS14_E10value_typeET4_jRbjT5_S1A_jjP12ihipStream_tbEUljE_EEESV_SW_SX_S14_S18_S1A_T6_T7_T9_mT8_S1C_bDpT10_ENKUlT_T0_E_clISt17integral_constantIbLb1EES1O_IbLb0EEEEDaS1K_S1L_EUlS1K_E_NS1_11comp_targetILNS1_3genE0ELNS1_11target_archE4294967295ELNS1_3gpuE0ELNS1_3repE0EEENS1_30default_config_static_selectorELNS0_4arch9wavefront6targetE1EEEvSY_,comdat
	.globl	_ZN7rocprim17ROCPRIM_400000_NS6detail17trampoline_kernelINS0_13select_configILj256ELj13ELNS0_17block_load_methodE3ELS4_3ELS4_3ELNS0_20block_scan_algorithmE0ELj4294967295EEENS1_25partition_config_selectorILNS1_17partition_subalgoE3EjNS0_10empty_typeEbEEZZNS1_14partition_implILS8_3ELb0ES6_jNS0_17counting_iteratorIjlEEPS9_SE_NS0_5tupleIJPjSE_EEENSF_IJSE_SE_EEES9_SG_JZNS1_25segmented_radix_sort_implINS0_14default_configELb0EPKhPhPKlPlN2at6native12_GLOBAL__N_18offset_tEEE10hipError_tPvRmT1_PNSt15iterator_traitsISY_E10value_typeET2_T3_PNSZ_IS14_E10value_typeET4_jRbjT5_S1A_jjP12ihipStream_tbEUljE_EEESV_SW_SX_S14_S18_S1A_T6_T7_T9_mT8_S1C_bDpT10_ENKUlT_T0_E_clISt17integral_constantIbLb1EES1O_IbLb0EEEEDaS1K_S1L_EUlS1K_E_NS1_11comp_targetILNS1_3genE0ELNS1_11target_archE4294967295ELNS1_3gpuE0ELNS1_3repE0EEENS1_30default_config_static_selectorELNS0_4arch9wavefront6targetE1EEEvSY_ ; -- Begin function _ZN7rocprim17ROCPRIM_400000_NS6detail17trampoline_kernelINS0_13select_configILj256ELj13ELNS0_17block_load_methodE3ELS4_3ELS4_3ELNS0_20block_scan_algorithmE0ELj4294967295EEENS1_25partition_config_selectorILNS1_17partition_subalgoE3EjNS0_10empty_typeEbEEZZNS1_14partition_implILS8_3ELb0ES6_jNS0_17counting_iteratorIjlEEPS9_SE_NS0_5tupleIJPjSE_EEENSF_IJSE_SE_EEES9_SG_JZNS1_25segmented_radix_sort_implINS0_14default_configELb0EPKhPhPKlPlN2at6native12_GLOBAL__N_18offset_tEEE10hipError_tPvRmT1_PNSt15iterator_traitsISY_E10value_typeET2_T3_PNSZ_IS14_E10value_typeET4_jRbjT5_S1A_jjP12ihipStream_tbEUljE_EEESV_SW_SX_S14_S18_S1A_T6_T7_T9_mT8_S1C_bDpT10_ENKUlT_T0_E_clISt17integral_constantIbLb1EES1O_IbLb0EEEEDaS1K_S1L_EUlS1K_E_NS1_11comp_targetILNS1_3genE0ELNS1_11target_archE4294967295ELNS1_3gpuE0ELNS1_3repE0EEENS1_30default_config_static_selectorELNS0_4arch9wavefront6targetE1EEEvSY_
	.p2align	8
	.type	_ZN7rocprim17ROCPRIM_400000_NS6detail17trampoline_kernelINS0_13select_configILj256ELj13ELNS0_17block_load_methodE3ELS4_3ELS4_3ELNS0_20block_scan_algorithmE0ELj4294967295EEENS1_25partition_config_selectorILNS1_17partition_subalgoE3EjNS0_10empty_typeEbEEZZNS1_14partition_implILS8_3ELb0ES6_jNS0_17counting_iteratorIjlEEPS9_SE_NS0_5tupleIJPjSE_EEENSF_IJSE_SE_EEES9_SG_JZNS1_25segmented_radix_sort_implINS0_14default_configELb0EPKhPhPKlPlN2at6native12_GLOBAL__N_18offset_tEEE10hipError_tPvRmT1_PNSt15iterator_traitsISY_E10value_typeET2_T3_PNSZ_IS14_E10value_typeET4_jRbjT5_S1A_jjP12ihipStream_tbEUljE_EEESV_SW_SX_S14_S18_S1A_T6_T7_T9_mT8_S1C_bDpT10_ENKUlT_T0_E_clISt17integral_constantIbLb1EES1O_IbLb0EEEEDaS1K_S1L_EUlS1K_E_NS1_11comp_targetILNS1_3genE0ELNS1_11target_archE4294967295ELNS1_3gpuE0ELNS1_3repE0EEENS1_30default_config_static_selectorELNS0_4arch9wavefront6targetE1EEEvSY_,@function
_ZN7rocprim17ROCPRIM_400000_NS6detail17trampoline_kernelINS0_13select_configILj256ELj13ELNS0_17block_load_methodE3ELS4_3ELS4_3ELNS0_20block_scan_algorithmE0ELj4294967295EEENS1_25partition_config_selectorILNS1_17partition_subalgoE3EjNS0_10empty_typeEbEEZZNS1_14partition_implILS8_3ELb0ES6_jNS0_17counting_iteratorIjlEEPS9_SE_NS0_5tupleIJPjSE_EEENSF_IJSE_SE_EEES9_SG_JZNS1_25segmented_radix_sort_implINS0_14default_configELb0EPKhPhPKlPlN2at6native12_GLOBAL__N_18offset_tEEE10hipError_tPvRmT1_PNSt15iterator_traitsISY_E10value_typeET2_T3_PNSZ_IS14_E10value_typeET4_jRbjT5_S1A_jjP12ihipStream_tbEUljE_EEESV_SW_SX_S14_S18_S1A_T6_T7_T9_mT8_S1C_bDpT10_ENKUlT_T0_E_clISt17integral_constantIbLb1EES1O_IbLb0EEEEDaS1K_S1L_EUlS1K_E_NS1_11comp_targetILNS1_3genE0ELNS1_11target_archE4294967295ELNS1_3gpuE0ELNS1_3repE0EEENS1_30default_config_static_selectorELNS0_4arch9wavefront6targetE1EEEvSY_: ; @_ZN7rocprim17ROCPRIM_400000_NS6detail17trampoline_kernelINS0_13select_configILj256ELj13ELNS0_17block_load_methodE3ELS4_3ELS4_3ELNS0_20block_scan_algorithmE0ELj4294967295EEENS1_25partition_config_selectorILNS1_17partition_subalgoE3EjNS0_10empty_typeEbEEZZNS1_14partition_implILS8_3ELb0ES6_jNS0_17counting_iteratorIjlEEPS9_SE_NS0_5tupleIJPjSE_EEENSF_IJSE_SE_EEES9_SG_JZNS1_25segmented_radix_sort_implINS0_14default_configELb0EPKhPhPKlPlN2at6native12_GLOBAL__N_18offset_tEEE10hipError_tPvRmT1_PNSt15iterator_traitsISY_E10value_typeET2_T3_PNSZ_IS14_E10value_typeET4_jRbjT5_S1A_jjP12ihipStream_tbEUljE_EEESV_SW_SX_S14_S18_S1A_T6_T7_T9_mT8_S1C_bDpT10_ENKUlT_T0_E_clISt17integral_constantIbLb1EES1O_IbLb0EEEEDaS1K_S1L_EUlS1K_E_NS1_11comp_targetILNS1_3genE0ELNS1_11target_archE4294967295ELNS1_3gpuE0ELNS1_3repE0EEENS1_30default_config_static_selectorELNS0_4arch9wavefront6targetE1EEEvSY_
; %bb.0:
	.section	.rodata,"a",@progbits
	.p2align	6, 0x0
	.amdhsa_kernel _ZN7rocprim17ROCPRIM_400000_NS6detail17trampoline_kernelINS0_13select_configILj256ELj13ELNS0_17block_load_methodE3ELS4_3ELS4_3ELNS0_20block_scan_algorithmE0ELj4294967295EEENS1_25partition_config_selectorILNS1_17partition_subalgoE3EjNS0_10empty_typeEbEEZZNS1_14partition_implILS8_3ELb0ES6_jNS0_17counting_iteratorIjlEEPS9_SE_NS0_5tupleIJPjSE_EEENSF_IJSE_SE_EEES9_SG_JZNS1_25segmented_radix_sort_implINS0_14default_configELb0EPKhPhPKlPlN2at6native12_GLOBAL__N_18offset_tEEE10hipError_tPvRmT1_PNSt15iterator_traitsISY_E10value_typeET2_T3_PNSZ_IS14_E10value_typeET4_jRbjT5_S1A_jjP12ihipStream_tbEUljE_EEESV_SW_SX_S14_S18_S1A_T6_T7_T9_mT8_S1C_bDpT10_ENKUlT_T0_E_clISt17integral_constantIbLb1EES1O_IbLb0EEEEDaS1K_S1L_EUlS1K_E_NS1_11comp_targetILNS1_3genE0ELNS1_11target_archE4294967295ELNS1_3gpuE0ELNS1_3repE0EEENS1_30default_config_static_selectorELNS0_4arch9wavefront6targetE1EEEvSY_
		.amdhsa_group_segment_fixed_size 0
		.amdhsa_private_segment_fixed_size 0
		.amdhsa_kernarg_size 144
		.amdhsa_user_sgpr_count 6
		.amdhsa_user_sgpr_private_segment_buffer 1
		.amdhsa_user_sgpr_dispatch_ptr 0
		.amdhsa_user_sgpr_queue_ptr 0
		.amdhsa_user_sgpr_kernarg_segment_ptr 1
		.amdhsa_user_sgpr_dispatch_id 0
		.amdhsa_user_sgpr_flat_scratch_init 0
		.amdhsa_user_sgpr_private_segment_size 0
		.amdhsa_uses_dynamic_stack 0
		.amdhsa_system_sgpr_private_segment_wavefront_offset 0
		.amdhsa_system_sgpr_workgroup_id_x 1
		.amdhsa_system_sgpr_workgroup_id_y 0
		.amdhsa_system_sgpr_workgroup_id_z 0
		.amdhsa_system_sgpr_workgroup_info 0
		.amdhsa_system_vgpr_workitem_id 0
		.amdhsa_next_free_vgpr 1
		.amdhsa_next_free_sgpr 0
		.amdhsa_reserve_vcc 0
		.amdhsa_reserve_flat_scratch 0
		.amdhsa_float_round_mode_32 0
		.amdhsa_float_round_mode_16_64 0
		.amdhsa_float_denorm_mode_32 3
		.amdhsa_float_denorm_mode_16_64 3
		.amdhsa_dx10_clamp 1
		.amdhsa_ieee_mode 1
		.amdhsa_fp16_overflow 0
		.amdhsa_exception_fp_ieee_invalid_op 0
		.amdhsa_exception_fp_denorm_src 0
		.amdhsa_exception_fp_ieee_div_zero 0
		.amdhsa_exception_fp_ieee_overflow 0
		.amdhsa_exception_fp_ieee_underflow 0
		.amdhsa_exception_fp_ieee_inexact 0
		.amdhsa_exception_int_div_zero 0
	.end_amdhsa_kernel
	.section	.text._ZN7rocprim17ROCPRIM_400000_NS6detail17trampoline_kernelINS0_13select_configILj256ELj13ELNS0_17block_load_methodE3ELS4_3ELS4_3ELNS0_20block_scan_algorithmE0ELj4294967295EEENS1_25partition_config_selectorILNS1_17partition_subalgoE3EjNS0_10empty_typeEbEEZZNS1_14partition_implILS8_3ELb0ES6_jNS0_17counting_iteratorIjlEEPS9_SE_NS0_5tupleIJPjSE_EEENSF_IJSE_SE_EEES9_SG_JZNS1_25segmented_radix_sort_implINS0_14default_configELb0EPKhPhPKlPlN2at6native12_GLOBAL__N_18offset_tEEE10hipError_tPvRmT1_PNSt15iterator_traitsISY_E10value_typeET2_T3_PNSZ_IS14_E10value_typeET4_jRbjT5_S1A_jjP12ihipStream_tbEUljE_EEESV_SW_SX_S14_S18_S1A_T6_T7_T9_mT8_S1C_bDpT10_ENKUlT_T0_E_clISt17integral_constantIbLb1EES1O_IbLb0EEEEDaS1K_S1L_EUlS1K_E_NS1_11comp_targetILNS1_3genE0ELNS1_11target_archE4294967295ELNS1_3gpuE0ELNS1_3repE0EEENS1_30default_config_static_selectorELNS0_4arch9wavefront6targetE1EEEvSY_,"axG",@progbits,_ZN7rocprim17ROCPRIM_400000_NS6detail17trampoline_kernelINS0_13select_configILj256ELj13ELNS0_17block_load_methodE3ELS4_3ELS4_3ELNS0_20block_scan_algorithmE0ELj4294967295EEENS1_25partition_config_selectorILNS1_17partition_subalgoE3EjNS0_10empty_typeEbEEZZNS1_14partition_implILS8_3ELb0ES6_jNS0_17counting_iteratorIjlEEPS9_SE_NS0_5tupleIJPjSE_EEENSF_IJSE_SE_EEES9_SG_JZNS1_25segmented_radix_sort_implINS0_14default_configELb0EPKhPhPKlPlN2at6native12_GLOBAL__N_18offset_tEEE10hipError_tPvRmT1_PNSt15iterator_traitsISY_E10value_typeET2_T3_PNSZ_IS14_E10value_typeET4_jRbjT5_S1A_jjP12ihipStream_tbEUljE_EEESV_SW_SX_S14_S18_S1A_T6_T7_T9_mT8_S1C_bDpT10_ENKUlT_T0_E_clISt17integral_constantIbLb1EES1O_IbLb0EEEEDaS1K_S1L_EUlS1K_E_NS1_11comp_targetILNS1_3genE0ELNS1_11target_archE4294967295ELNS1_3gpuE0ELNS1_3repE0EEENS1_30default_config_static_selectorELNS0_4arch9wavefront6targetE1EEEvSY_,comdat
.Lfunc_end170:
	.size	_ZN7rocprim17ROCPRIM_400000_NS6detail17trampoline_kernelINS0_13select_configILj256ELj13ELNS0_17block_load_methodE3ELS4_3ELS4_3ELNS0_20block_scan_algorithmE0ELj4294967295EEENS1_25partition_config_selectorILNS1_17partition_subalgoE3EjNS0_10empty_typeEbEEZZNS1_14partition_implILS8_3ELb0ES6_jNS0_17counting_iteratorIjlEEPS9_SE_NS0_5tupleIJPjSE_EEENSF_IJSE_SE_EEES9_SG_JZNS1_25segmented_radix_sort_implINS0_14default_configELb0EPKhPhPKlPlN2at6native12_GLOBAL__N_18offset_tEEE10hipError_tPvRmT1_PNSt15iterator_traitsISY_E10value_typeET2_T3_PNSZ_IS14_E10value_typeET4_jRbjT5_S1A_jjP12ihipStream_tbEUljE_EEESV_SW_SX_S14_S18_S1A_T6_T7_T9_mT8_S1C_bDpT10_ENKUlT_T0_E_clISt17integral_constantIbLb1EES1O_IbLb0EEEEDaS1K_S1L_EUlS1K_E_NS1_11comp_targetILNS1_3genE0ELNS1_11target_archE4294967295ELNS1_3gpuE0ELNS1_3repE0EEENS1_30default_config_static_selectorELNS0_4arch9wavefront6targetE1EEEvSY_, .Lfunc_end170-_ZN7rocprim17ROCPRIM_400000_NS6detail17trampoline_kernelINS0_13select_configILj256ELj13ELNS0_17block_load_methodE3ELS4_3ELS4_3ELNS0_20block_scan_algorithmE0ELj4294967295EEENS1_25partition_config_selectorILNS1_17partition_subalgoE3EjNS0_10empty_typeEbEEZZNS1_14partition_implILS8_3ELb0ES6_jNS0_17counting_iteratorIjlEEPS9_SE_NS0_5tupleIJPjSE_EEENSF_IJSE_SE_EEES9_SG_JZNS1_25segmented_radix_sort_implINS0_14default_configELb0EPKhPhPKlPlN2at6native12_GLOBAL__N_18offset_tEEE10hipError_tPvRmT1_PNSt15iterator_traitsISY_E10value_typeET2_T3_PNSZ_IS14_E10value_typeET4_jRbjT5_S1A_jjP12ihipStream_tbEUljE_EEESV_SW_SX_S14_S18_S1A_T6_T7_T9_mT8_S1C_bDpT10_ENKUlT_T0_E_clISt17integral_constantIbLb1EES1O_IbLb0EEEEDaS1K_S1L_EUlS1K_E_NS1_11comp_targetILNS1_3genE0ELNS1_11target_archE4294967295ELNS1_3gpuE0ELNS1_3repE0EEENS1_30default_config_static_selectorELNS0_4arch9wavefront6targetE1EEEvSY_
                                        ; -- End function
	.set _ZN7rocprim17ROCPRIM_400000_NS6detail17trampoline_kernelINS0_13select_configILj256ELj13ELNS0_17block_load_methodE3ELS4_3ELS4_3ELNS0_20block_scan_algorithmE0ELj4294967295EEENS1_25partition_config_selectorILNS1_17partition_subalgoE3EjNS0_10empty_typeEbEEZZNS1_14partition_implILS8_3ELb0ES6_jNS0_17counting_iteratorIjlEEPS9_SE_NS0_5tupleIJPjSE_EEENSF_IJSE_SE_EEES9_SG_JZNS1_25segmented_radix_sort_implINS0_14default_configELb0EPKhPhPKlPlN2at6native12_GLOBAL__N_18offset_tEEE10hipError_tPvRmT1_PNSt15iterator_traitsISY_E10value_typeET2_T3_PNSZ_IS14_E10value_typeET4_jRbjT5_S1A_jjP12ihipStream_tbEUljE_EEESV_SW_SX_S14_S18_S1A_T6_T7_T9_mT8_S1C_bDpT10_ENKUlT_T0_E_clISt17integral_constantIbLb1EES1O_IbLb0EEEEDaS1K_S1L_EUlS1K_E_NS1_11comp_targetILNS1_3genE0ELNS1_11target_archE4294967295ELNS1_3gpuE0ELNS1_3repE0EEENS1_30default_config_static_selectorELNS0_4arch9wavefront6targetE1EEEvSY_.num_vgpr, 0
	.set _ZN7rocprim17ROCPRIM_400000_NS6detail17trampoline_kernelINS0_13select_configILj256ELj13ELNS0_17block_load_methodE3ELS4_3ELS4_3ELNS0_20block_scan_algorithmE0ELj4294967295EEENS1_25partition_config_selectorILNS1_17partition_subalgoE3EjNS0_10empty_typeEbEEZZNS1_14partition_implILS8_3ELb0ES6_jNS0_17counting_iteratorIjlEEPS9_SE_NS0_5tupleIJPjSE_EEENSF_IJSE_SE_EEES9_SG_JZNS1_25segmented_radix_sort_implINS0_14default_configELb0EPKhPhPKlPlN2at6native12_GLOBAL__N_18offset_tEEE10hipError_tPvRmT1_PNSt15iterator_traitsISY_E10value_typeET2_T3_PNSZ_IS14_E10value_typeET4_jRbjT5_S1A_jjP12ihipStream_tbEUljE_EEESV_SW_SX_S14_S18_S1A_T6_T7_T9_mT8_S1C_bDpT10_ENKUlT_T0_E_clISt17integral_constantIbLb1EES1O_IbLb0EEEEDaS1K_S1L_EUlS1K_E_NS1_11comp_targetILNS1_3genE0ELNS1_11target_archE4294967295ELNS1_3gpuE0ELNS1_3repE0EEENS1_30default_config_static_selectorELNS0_4arch9wavefront6targetE1EEEvSY_.num_agpr, 0
	.set _ZN7rocprim17ROCPRIM_400000_NS6detail17trampoline_kernelINS0_13select_configILj256ELj13ELNS0_17block_load_methodE3ELS4_3ELS4_3ELNS0_20block_scan_algorithmE0ELj4294967295EEENS1_25partition_config_selectorILNS1_17partition_subalgoE3EjNS0_10empty_typeEbEEZZNS1_14partition_implILS8_3ELb0ES6_jNS0_17counting_iteratorIjlEEPS9_SE_NS0_5tupleIJPjSE_EEENSF_IJSE_SE_EEES9_SG_JZNS1_25segmented_radix_sort_implINS0_14default_configELb0EPKhPhPKlPlN2at6native12_GLOBAL__N_18offset_tEEE10hipError_tPvRmT1_PNSt15iterator_traitsISY_E10value_typeET2_T3_PNSZ_IS14_E10value_typeET4_jRbjT5_S1A_jjP12ihipStream_tbEUljE_EEESV_SW_SX_S14_S18_S1A_T6_T7_T9_mT8_S1C_bDpT10_ENKUlT_T0_E_clISt17integral_constantIbLb1EES1O_IbLb0EEEEDaS1K_S1L_EUlS1K_E_NS1_11comp_targetILNS1_3genE0ELNS1_11target_archE4294967295ELNS1_3gpuE0ELNS1_3repE0EEENS1_30default_config_static_selectorELNS0_4arch9wavefront6targetE1EEEvSY_.numbered_sgpr, 0
	.set _ZN7rocprim17ROCPRIM_400000_NS6detail17trampoline_kernelINS0_13select_configILj256ELj13ELNS0_17block_load_methodE3ELS4_3ELS4_3ELNS0_20block_scan_algorithmE0ELj4294967295EEENS1_25partition_config_selectorILNS1_17partition_subalgoE3EjNS0_10empty_typeEbEEZZNS1_14partition_implILS8_3ELb0ES6_jNS0_17counting_iteratorIjlEEPS9_SE_NS0_5tupleIJPjSE_EEENSF_IJSE_SE_EEES9_SG_JZNS1_25segmented_radix_sort_implINS0_14default_configELb0EPKhPhPKlPlN2at6native12_GLOBAL__N_18offset_tEEE10hipError_tPvRmT1_PNSt15iterator_traitsISY_E10value_typeET2_T3_PNSZ_IS14_E10value_typeET4_jRbjT5_S1A_jjP12ihipStream_tbEUljE_EEESV_SW_SX_S14_S18_S1A_T6_T7_T9_mT8_S1C_bDpT10_ENKUlT_T0_E_clISt17integral_constantIbLb1EES1O_IbLb0EEEEDaS1K_S1L_EUlS1K_E_NS1_11comp_targetILNS1_3genE0ELNS1_11target_archE4294967295ELNS1_3gpuE0ELNS1_3repE0EEENS1_30default_config_static_selectorELNS0_4arch9wavefront6targetE1EEEvSY_.num_named_barrier, 0
	.set _ZN7rocprim17ROCPRIM_400000_NS6detail17trampoline_kernelINS0_13select_configILj256ELj13ELNS0_17block_load_methodE3ELS4_3ELS4_3ELNS0_20block_scan_algorithmE0ELj4294967295EEENS1_25partition_config_selectorILNS1_17partition_subalgoE3EjNS0_10empty_typeEbEEZZNS1_14partition_implILS8_3ELb0ES6_jNS0_17counting_iteratorIjlEEPS9_SE_NS0_5tupleIJPjSE_EEENSF_IJSE_SE_EEES9_SG_JZNS1_25segmented_radix_sort_implINS0_14default_configELb0EPKhPhPKlPlN2at6native12_GLOBAL__N_18offset_tEEE10hipError_tPvRmT1_PNSt15iterator_traitsISY_E10value_typeET2_T3_PNSZ_IS14_E10value_typeET4_jRbjT5_S1A_jjP12ihipStream_tbEUljE_EEESV_SW_SX_S14_S18_S1A_T6_T7_T9_mT8_S1C_bDpT10_ENKUlT_T0_E_clISt17integral_constantIbLb1EES1O_IbLb0EEEEDaS1K_S1L_EUlS1K_E_NS1_11comp_targetILNS1_3genE0ELNS1_11target_archE4294967295ELNS1_3gpuE0ELNS1_3repE0EEENS1_30default_config_static_selectorELNS0_4arch9wavefront6targetE1EEEvSY_.private_seg_size, 0
	.set _ZN7rocprim17ROCPRIM_400000_NS6detail17trampoline_kernelINS0_13select_configILj256ELj13ELNS0_17block_load_methodE3ELS4_3ELS4_3ELNS0_20block_scan_algorithmE0ELj4294967295EEENS1_25partition_config_selectorILNS1_17partition_subalgoE3EjNS0_10empty_typeEbEEZZNS1_14partition_implILS8_3ELb0ES6_jNS0_17counting_iteratorIjlEEPS9_SE_NS0_5tupleIJPjSE_EEENSF_IJSE_SE_EEES9_SG_JZNS1_25segmented_radix_sort_implINS0_14default_configELb0EPKhPhPKlPlN2at6native12_GLOBAL__N_18offset_tEEE10hipError_tPvRmT1_PNSt15iterator_traitsISY_E10value_typeET2_T3_PNSZ_IS14_E10value_typeET4_jRbjT5_S1A_jjP12ihipStream_tbEUljE_EEESV_SW_SX_S14_S18_S1A_T6_T7_T9_mT8_S1C_bDpT10_ENKUlT_T0_E_clISt17integral_constantIbLb1EES1O_IbLb0EEEEDaS1K_S1L_EUlS1K_E_NS1_11comp_targetILNS1_3genE0ELNS1_11target_archE4294967295ELNS1_3gpuE0ELNS1_3repE0EEENS1_30default_config_static_selectorELNS0_4arch9wavefront6targetE1EEEvSY_.uses_vcc, 0
	.set _ZN7rocprim17ROCPRIM_400000_NS6detail17trampoline_kernelINS0_13select_configILj256ELj13ELNS0_17block_load_methodE3ELS4_3ELS4_3ELNS0_20block_scan_algorithmE0ELj4294967295EEENS1_25partition_config_selectorILNS1_17partition_subalgoE3EjNS0_10empty_typeEbEEZZNS1_14partition_implILS8_3ELb0ES6_jNS0_17counting_iteratorIjlEEPS9_SE_NS0_5tupleIJPjSE_EEENSF_IJSE_SE_EEES9_SG_JZNS1_25segmented_radix_sort_implINS0_14default_configELb0EPKhPhPKlPlN2at6native12_GLOBAL__N_18offset_tEEE10hipError_tPvRmT1_PNSt15iterator_traitsISY_E10value_typeET2_T3_PNSZ_IS14_E10value_typeET4_jRbjT5_S1A_jjP12ihipStream_tbEUljE_EEESV_SW_SX_S14_S18_S1A_T6_T7_T9_mT8_S1C_bDpT10_ENKUlT_T0_E_clISt17integral_constantIbLb1EES1O_IbLb0EEEEDaS1K_S1L_EUlS1K_E_NS1_11comp_targetILNS1_3genE0ELNS1_11target_archE4294967295ELNS1_3gpuE0ELNS1_3repE0EEENS1_30default_config_static_selectorELNS0_4arch9wavefront6targetE1EEEvSY_.uses_flat_scratch, 0
	.set _ZN7rocprim17ROCPRIM_400000_NS6detail17trampoline_kernelINS0_13select_configILj256ELj13ELNS0_17block_load_methodE3ELS4_3ELS4_3ELNS0_20block_scan_algorithmE0ELj4294967295EEENS1_25partition_config_selectorILNS1_17partition_subalgoE3EjNS0_10empty_typeEbEEZZNS1_14partition_implILS8_3ELb0ES6_jNS0_17counting_iteratorIjlEEPS9_SE_NS0_5tupleIJPjSE_EEENSF_IJSE_SE_EEES9_SG_JZNS1_25segmented_radix_sort_implINS0_14default_configELb0EPKhPhPKlPlN2at6native12_GLOBAL__N_18offset_tEEE10hipError_tPvRmT1_PNSt15iterator_traitsISY_E10value_typeET2_T3_PNSZ_IS14_E10value_typeET4_jRbjT5_S1A_jjP12ihipStream_tbEUljE_EEESV_SW_SX_S14_S18_S1A_T6_T7_T9_mT8_S1C_bDpT10_ENKUlT_T0_E_clISt17integral_constantIbLb1EES1O_IbLb0EEEEDaS1K_S1L_EUlS1K_E_NS1_11comp_targetILNS1_3genE0ELNS1_11target_archE4294967295ELNS1_3gpuE0ELNS1_3repE0EEENS1_30default_config_static_selectorELNS0_4arch9wavefront6targetE1EEEvSY_.has_dyn_sized_stack, 0
	.set _ZN7rocprim17ROCPRIM_400000_NS6detail17trampoline_kernelINS0_13select_configILj256ELj13ELNS0_17block_load_methodE3ELS4_3ELS4_3ELNS0_20block_scan_algorithmE0ELj4294967295EEENS1_25partition_config_selectorILNS1_17partition_subalgoE3EjNS0_10empty_typeEbEEZZNS1_14partition_implILS8_3ELb0ES6_jNS0_17counting_iteratorIjlEEPS9_SE_NS0_5tupleIJPjSE_EEENSF_IJSE_SE_EEES9_SG_JZNS1_25segmented_radix_sort_implINS0_14default_configELb0EPKhPhPKlPlN2at6native12_GLOBAL__N_18offset_tEEE10hipError_tPvRmT1_PNSt15iterator_traitsISY_E10value_typeET2_T3_PNSZ_IS14_E10value_typeET4_jRbjT5_S1A_jjP12ihipStream_tbEUljE_EEESV_SW_SX_S14_S18_S1A_T6_T7_T9_mT8_S1C_bDpT10_ENKUlT_T0_E_clISt17integral_constantIbLb1EES1O_IbLb0EEEEDaS1K_S1L_EUlS1K_E_NS1_11comp_targetILNS1_3genE0ELNS1_11target_archE4294967295ELNS1_3gpuE0ELNS1_3repE0EEENS1_30default_config_static_selectorELNS0_4arch9wavefront6targetE1EEEvSY_.has_recursion, 0
	.set _ZN7rocprim17ROCPRIM_400000_NS6detail17trampoline_kernelINS0_13select_configILj256ELj13ELNS0_17block_load_methodE3ELS4_3ELS4_3ELNS0_20block_scan_algorithmE0ELj4294967295EEENS1_25partition_config_selectorILNS1_17partition_subalgoE3EjNS0_10empty_typeEbEEZZNS1_14partition_implILS8_3ELb0ES6_jNS0_17counting_iteratorIjlEEPS9_SE_NS0_5tupleIJPjSE_EEENSF_IJSE_SE_EEES9_SG_JZNS1_25segmented_radix_sort_implINS0_14default_configELb0EPKhPhPKlPlN2at6native12_GLOBAL__N_18offset_tEEE10hipError_tPvRmT1_PNSt15iterator_traitsISY_E10value_typeET2_T3_PNSZ_IS14_E10value_typeET4_jRbjT5_S1A_jjP12ihipStream_tbEUljE_EEESV_SW_SX_S14_S18_S1A_T6_T7_T9_mT8_S1C_bDpT10_ENKUlT_T0_E_clISt17integral_constantIbLb1EES1O_IbLb0EEEEDaS1K_S1L_EUlS1K_E_NS1_11comp_targetILNS1_3genE0ELNS1_11target_archE4294967295ELNS1_3gpuE0ELNS1_3repE0EEENS1_30default_config_static_selectorELNS0_4arch9wavefront6targetE1EEEvSY_.has_indirect_call, 0
	.section	.AMDGPU.csdata,"",@progbits
; Kernel info:
; codeLenInByte = 0
; TotalNumSgprs: 4
; NumVgprs: 0
; ScratchSize: 0
; MemoryBound: 0
; FloatMode: 240
; IeeeMode: 1
; LDSByteSize: 0 bytes/workgroup (compile time only)
; SGPRBlocks: 0
; VGPRBlocks: 0
; NumSGPRsForWavesPerEU: 4
; NumVGPRsForWavesPerEU: 1
; Occupancy: 10
; WaveLimiterHint : 0
; COMPUTE_PGM_RSRC2:SCRATCH_EN: 0
; COMPUTE_PGM_RSRC2:USER_SGPR: 6
; COMPUTE_PGM_RSRC2:TRAP_HANDLER: 0
; COMPUTE_PGM_RSRC2:TGID_X_EN: 1
; COMPUTE_PGM_RSRC2:TGID_Y_EN: 0
; COMPUTE_PGM_RSRC2:TGID_Z_EN: 0
; COMPUTE_PGM_RSRC2:TIDIG_COMP_CNT: 0
	.section	.text._ZN7rocprim17ROCPRIM_400000_NS6detail17trampoline_kernelINS0_13select_configILj256ELj13ELNS0_17block_load_methodE3ELS4_3ELS4_3ELNS0_20block_scan_algorithmE0ELj4294967295EEENS1_25partition_config_selectorILNS1_17partition_subalgoE3EjNS0_10empty_typeEbEEZZNS1_14partition_implILS8_3ELb0ES6_jNS0_17counting_iteratorIjlEEPS9_SE_NS0_5tupleIJPjSE_EEENSF_IJSE_SE_EEES9_SG_JZNS1_25segmented_radix_sort_implINS0_14default_configELb0EPKhPhPKlPlN2at6native12_GLOBAL__N_18offset_tEEE10hipError_tPvRmT1_PNSt15iterator_traitsISY_E10value_typeET2_T3_PNSZ_IS14_E10value_typeET4_jRbjT5_S1A_jjP12ihipStream_tbEUljE_EEESV_SW_SX_S14_S18_S1A_T6_T7_T9_mT8_S1C_bDpT10_ENKUlT_T0_E_clISt17integral_constantIbLb1EES1O_IbLb0EEEEDaS1K_S1L_EUlS1K_E_NS1_11comp_targetILNS1_3genE5ELNS1_11target_archE942ELNS1_3gpuE9ELNS1_3repE0EEENS1_30default_config_static_selectorELNS0_4arch9wavefront6targetE1EEEvSY_,"axG",@progbits,_ZN7rocprim17ROCPRIM_400000_NS6detail17trampoline_kernelINS0_13select_configILj256ELj13ELNS0_17block_load_methodE3ELS4_3ELS4_3ELNS0_20block_scan_algorithmE0ELj4294967295EEENS1_25partition_config_selectorILNS1_17partition_subalgoE3EjNS0_10empty_typeEbEEZZNS1_14partition_implILS8_3ELb0ES6_jNS0_17counting_iteratorIjlEEPS9_SE_NS0_5tupleIJPjSE_EEENSF_IJSE_SE_EEES9_SG_JZNS1_25segmented_radix_sort_implINS0_14default_configELb0EPKhPhPKlPlN2at6native12_GLOBAL__N_18offset_tEEE10hipError_tPvRmT1_PNSt15iterator_traitsISY_E10value_typeET2_T3_PNSZ_IS14_E10value_typeET4_jRbjT5_S1A_jjP12ihipStream_tbEUljE_EEESV_SW_SX_S14_S18_S1A_T6_T7_T9_mT8_S1C_bDpT10_ENKUlT_T0_E_clISt17integral_constantIbLb1EES1O_IbLb0EEEEDaS1K_S1L_EUlS1K_E_NS1_11comp_targetILNS1_3genE5ELNS1_11target_archE942ELNS1_3gpuE9ELNS1_3repE0EEENS1_30default_config_static_selectorELNS0_4arch9wavefront6targetE1EEEvSY_,comdat
	.globl	_ZN7rocprim17ROCPRIM_400000_NS6detail17trampoline_kernelINS0_13select_configILj256ELj13ELNS0_17block_load_methodE3ELS4_3ELS4_3ELNS0_20block_scan_algorithmE0ELj4294967295EEENS1_25partition_config_selectorILNS1_17partition_subalgoE3EjNS0_10empty_typeEbEEZZNS1_14partition_implILS8_3ELb0ES6_jNS0_17counting_iteratorIjlEEPS9_SE_NS0_5tupleIJPjSE_EEENSF_IJSE_SE_EEES9_SG_JZNS1_25segmented_radix_sort_implINS0_14default_configELb0EPKhPhPKlPlN2at6native12_GLOBAL__N_18offset_tEEE10hipError_tPvRmT1_PNSt15iterator_traitsISY_E10value_typeET2_T3_PNSZ_IS14_E10value_typeET4_jRbjT5_S1A_jjP12ihipStream_tbEUljE_EEESV_SW_SX_S14_S18_S1A_T6_T7_T9_mT8_S1C_bDpT10_ENKUlT_T0_E_clISt17integral_constantIbLb1EES1O_IbLb0EEEEDaS1K_S1L_EUlS1K_E_NS1_11comp_targetILNS1_3genE5ELNS1_11target_archE942ELNS1_3gpuE9ELNS1_3repE0EEENS1_30default_config_static_selectorELNS0_4arch9wavefront6targetE1EEEvSY_ ; -- Begin function _ZN7rocprim17ROCPRIM_400000_NS6detail17trampoline_kernelINS0_13select_configILj256ELj13ELNS0_17block_load_methodE3ELS4_3ELS4_3ELNS0_20block_scan_algorithmE0ELj4294967295EEENS1_25partition_config_selectorILNS1_17partition_subalgoE3EjNS0_10empty_typeEbEEZZNS1_14partition_implILS8_3ELb0ES6_jNS0_17counting_iteratorIjlEEPS9_SE_NS0_5tupleIJPjSE_EEENSF_IJSE_SE_EEES9_SG_JZNS1_25segmented_radix_sort_implINS0_14default_configELb0EPKhPhPKlPlN2at6native12_GLOBAL__N_18offset_tEEE10hipError_tPvRmT1_PNSt15iterator_traitsISY_E10value_typeET2_T3_PNSZ_IS14_E10value_typeET4_jRbjT5_S1A_jjP12ihipStream_tbEUljE_EEESV_SW_SX_S14_S18_S1A_T6_T7_T9_mT8_S1C_bDpT10_ENKUlT_T0_E_clISt17integral_constantIbLb1EES1O_IbLb0EEEEDaS1K_S1L_EUlS1K_E_NS1_11comp_targetILNS1_3genE5ELNS1_11target_archE942ELNS1_3gpuE9ELNS1_3repE0EEENS1_30default_config_static_selectorELNS0_4arch9wavefront6targetE1EEEvSY_
	.p2align	8
	.type	_ZN7rocprim17ROCPRIM_400000_NS6detail17trampoline_kernelINS0_13select_configILj256ELj13ELNS0_17block_load_methodE3ELS4_3ELS4_3ELNS0_20block_scan_algorithmE0ELj4294967295EEENS1_25partition_config_selectorILNS1_17partition_subalgoE3EjNS0_10empty_typeEbEEZZNS1_14partition_implILS8_3ELb0ES6_jNS0_17counting_iteratorIjlEEPS9_SE_NS0_5tupleIJPjSE_EEENSF_IJSE_SE_EEES9_SG_JZNS1_25segmented_radix_sort_implINS0_14default_configELb0EPKhPhPKlPlN2at6native12_GLOBAL__N_18offset_tEEE10hipError_tPvRmT1_PNSt15iterator_traitsISY_E10value_typeET2_T3_PNSZ_IS14_E10value_typeET4_jRbjT5_S1A_jjP12ihipStream_tbEUljE_EEESV_SW_SX_S14_S18_S1A_T6_T7_T9_mT8_S1C_bDpT10_ENKUlT_T0_E_clISt17integral_constantIbLb1EES1O_IbLb0EEEEDaS1K_S1L_EUlS1K_E_NS1_11comp_targetILNS1_3genE5ELNS1_11target_archE942ELNS1_3gpuE9ELNS1_3repE0EEENS1_30default_config_static_selectorELNS0_4arch9wavefront6targetE1EEEvSY_,@function
_ZN7rocprim17ROCPRIM_400000_NS6detail17trampoline_kernelINS0_13select_configILj256ELj13ELNS0_17block_load_methodE3ELS4_3ELS4_3ELNS0_20block_scan_algorithmE0ELj4294967295EEENS1_25partition_config_selectorILNS1_17partition_subalgoE3EjNS0_10empty_typeEbEEZZNS1_14partition_implILS8_3ELb0ES6_jNS0_17counting_iteratorIjlEEPS9_SE_NS0_5tupleIJPjSE_EEENSF_IJSE_SE_EEES9_SG_JZNS1_25segmented_radix_sort_implINS0_14default_configELb0EPKhPhPKlPlN2at6native12_GLOBAL__N_18offset_tEEE10hipError_tPvRmT1_PNSt15iterator_traitsISY_E10value_typeET2_T3_PNSZ_IS14_E10value_typeET4_jRbjT5_S1A_jjP12ihipStream_tbEUljE_EEESV_SW_SX_S14_S18_S1A_T6_T7_T9_mT8_S1C_bDpT10_ENKUlT_T0_E_clISt17integral_constantIbLb1EES1O_IbLb0EEEEDaS1K_S1L_EUlS1K_E_NS1_11comp_targetILNS1_3genE5ELNS1_11target_archE942ELNS1_3gpuE9ELNS1_3repE0EEENS1_30default_config_static_selectorELNS0_4arch9wavefront6targetE1EEEvSY_: ; @_ZN7rocprim17ROCPRIM_400000_NS6detail17trampoline_kernelINS0_13select_configILj256ELj13ELNS0_17block_load_methodE3ELS4_3ELS4_3ELNS0_20block_scan_algorithmE0ELj4294967295EEENS1_25partition_config_selectorILNS1_17partition_subalgoE3EjNS0_10empty_typeEbEEZZNS1_14partition_implILS8_3ELb0ES6_jNS0_17counting_iteratorIjlEEPS9_SE_NS0_5tupleIJPjSE_EEENSF_IJSE_SE_EEES9_SG_JZNS1_25segmented_radix_sort_implINS0_14default_configELb0EPKhPhPKlPlN2at6native12_GLOBAL__N_18offset_tEEE10hipError_tPvRmT1_PNSt15iterator_traitsISY_E10value_typeET2_T3_PNSZ_IS14_E10value_typeET4_jRbjT5_S1A_jjP12ihipStream_tbEUljE_EEESV_SW_SX_S14_S18_S1A_T6_T7_T9_mT8_S1C_bDpT10_ENKUlT_T0_E_clISt17integral_constantIbLb1EES1O_IbLb0EEEEDaS1K_S1L_EUlS1K_E_NS1_11comp_targetILNS1_3genE5ELNS1_11target_archE942ELNS1_3gpuE9ELNS1_3repE0EEENS1_30default_config_static_selectorELNS0_4arch9wavefront6targetE1EEEvSY_
; %bb.0:
	.section	.rodata,"a",@progbits
	.p2align	6, 0x0
	.amdhsa_kernel _ZN7rocprim17ROCPRIM_400000_NS6detail17trampoline_kernelINS0_13select_configILj256ELj13ELNS0_17block_load_methodE3ELS4_3ELS4_3ELNS0_20block_scan_algorithmE0ELj4294967295EEENS1_25partition_config_selectorILNS1_17partition_subalgoE3EjNS0_10empty_typeEbEEZZNS1_14partition_implILS8_3ELb0ES6_jNS0_17counting_iteratorIjlEEPS9_SE_NS0_5tupleIJPjSE_EEENSF_IJSE_SE_EEES9_SG_JZNS1_25segmented_radix_sort_implINS0_14default_configELb0EPKhPhPKlPlN2at6native12_GLOBAL__N_18offset_tEEE10hipError_tPvRmT1_PNSt15iterator_traitsISY_E10value_typeET2_T3_PNSZ_IS14_E10value_typeET4_jRbjT5_S1A_jjP12ihipStream_tbEUljE_EEESV_SW_SX_S14_S18_S1A_T6_T7_T9_mT8_S1C_bDpT10_ENKUlT_T0_E_clISt17integral_constantIbLb1EES1O_IbLb0EEEEDaS1K_S1L_EUlS1K_E_NS1_11comp_targetILNS1_3genE5ELNS1_11target_archE942ELNS1_3gpuE9ELNS1_3repE0EEENS1_30default_config_static_selectorELNS0_4arch9wavefront6targetE1EEEvSY_
		.amdhsa_group_segment_fixed_size 0
		.amdhsa_private_segment_fixed_size 0
		.amdhsa_kernarg_size 144
		.amdhsa_user_sgpr_count 6
		.amdhsa_user_sgpr_private_segment_buffer 1
		.amdhsa_user_sgpr_dispatch_ptr 0
		.amdhsa_user_sgpr_queue_ptr 0
		.amdhsa_user_sgpr_kernarg_segment_ptr 1
		.amdhsa_user_sgpr_dispatch_id 0
		.amdhsa_user_sgpr_flat_scratch_init 0
		.amdhsa_user_sgpr_private_segment_size 0
		.amdhsa_uses_dynamic_stack 0
		.amdhsa_system_sgpr_private_segment_wavefront_offset 0
		.amdhsa_system_sgpr_workgroup_id_x 1
		.amdhsa_system_sgpr_workgroup_id_y 0
		.amdhsa_system_sgpr_workgroup_id_z 0
		.amdhsa_system_sgpr_workgroup_info 0
		.amdhsa_system_vgpr_workitem_id 0
		.amdhsa_next_free_vgpr 1
		.amdhsa_next_free_sgpr 0
		.amdhsa_reserve_vcc 0
		.amdhsa_reserve_flat_scratch 0
		.amdhsa_float_round_mode_32 0
		.amdhsa_float_round_mode_16_64 0
		.amdhsa_float_denorm_mode_32 3
		.amdhsa_float_denorm_mode_16_64 3
		.amdhsa_dx10_clamp 1
		.amdhsa_ieee_mode 1
		.amdhsa_fp16_overflow 0
		.amdhsa_exception_fp_ieee_invalid_op 0
		.amdhsa_exception_fp_denorm_src 0
		.amdhsa_exception_fp_ieee_div_zero 0
		.amdhsa_exception_fp_ieee_overflow 0
		.amdhsa_exception_fp_ieee_underflow 0
		.amdhsa_exception_fp_ieee_inexact 0
		.amdhsa_exception_int_div_zero 0
	.end_amdhsa_kernel
	.section	.text._ZN7rocprim17ROCPRIM_400000_NS6detail17trampoline_kernelINS0_13select_configILj256ELj13ELNS0_17block_load_methodE3ELS4_3ELS4_3ELNS0_20block_scan_algorithmE0ELj4294967295EEENS1_25partition_config_selectorILNS1_17partition_subalgoE3EjNS0_10empty_typeEbEEZZNS1_14partition_implILS8_3ELb0ES6_jNS0_17counting_iteratorIjlEEPS9_SE_NS0_5tupleIJPjSE_EEENSF_IJSE_SE_EEES9_SG_JZNS1_25segmented_radix_sort_implINS0_14default_configELb0EPKhPhPKlPlN2at6native12_GLOBAL__N_18offset_tEEE10hipError_tPvRmT1_PNSt15iterator_traitsISY_E10value_typeET2_T3_PNSZ_IS14_E10value_typeET4_jRbjT5_S1A_jjP12ihipStream_tbEUljE_EEESV_SW_SX_S14_S18_S1A_T6_T7_T9_mT8_S1C_bDpT10_ENKUlT_T0_E_clISt17integral_constantIbLb1EES1O_IbLb0EEEEDaS1K_S1L_EUlS1K_E_NS1_11comp_targetILNS1_3genE5ELNS1_11target_archE942ELNS1_3gpuE9ELNS1_3repE0EEENS1_30default_config_static_selectorELNS0_4arch9wavefront6targetE1EEEvSY_,"axG",@progbits,_ZN7rocprim17ROCPRIM_400000_NS6detail17trampoline_kernelINS0_13select_configILj256ELj13ELNS0_17block_load_methodE3ELS4_3ELS4_3ELNS0_20block_scan_algorithmE0ELj4294967295EEENS1_25partition_config_selectorILNS1_17partition_subalgoE3EjNS0_10empty_typeEbEEZZNS1_14partition_implILS8_3ELb0ES6_jNS0_17counting_iteratorIjlEEPS9_SE_NS0_5tupleIJPjSE_EEENSF_IJSE_SE_EEES9_SG_JZNS1_25segmented_radix_sort_implINS0_14default_configELb0EPKhPhPKlPlN2at6native12_GLOBAL__N_18offset_tEEE10hipError_tPvRmT1_PNSt15iterator_traitsISY_E10value_typeET2_T3_PNSZ_IS14_E10value_typeET4_jRbjT5_S1A_jjP12ihipStream_tbEUljE_EEESV_SW_SX_S14_S18_S1A_T6_T7_T9_mT8_S1C_bDpT10_ENKUlT_T0_E_clISt17integral_constantIbLb1EES1O_IbLb0EEEEDaS1K_S1L_EUlS1K_E_NS1_11comp_targetILNS1_3genE5ELNS1_11target_archE942ELNS1_3gpuE9ELNS1_3repE0EEENS1_30default_config_static_selectorELNS0_4arch9wavefront6targetE1EEEvSY_,comdat
.Lfunc_end171:
	.size	_ZN7rocprim17ROCPRIM_400000_NS6detail17trampoline_kernelINS0_13select_configILj256ELj13ELNS0_17block_load_methodE3ELS4_3ELS4_3ELNS0_20block_scan_algorithmE0ELj4294967295EEENS1_25partition_config_selectorILNS1_17partition_subalgoE3EjNS0_10empty_typeEbEEZZNS1_14partition_implILS8_3ELb0ES6_jNS0_17counting_iteratorIjlEEPS9_SE_NS0_5tupleIJPjSE_EEENSF_IJSE_SE_EEES9_SG_JZNS1_25segmented_radix_sort_implINS0_14default_configELb0EPKhPhPKlPlN2at6native12_GLOBAL__N_18offset_tEEE10hipError_tPvRmT1_PNSt15iterator_traitsISY_E10value_typeET2_T3_PNSZ_IS14_E10value_typeET4_jRbjT5_S1A_jjP12ihipStream_tbEUljE_EEESV_SW_SX_S14_S18_S1A_T6_T7_T9_mT8_S1C_bDpT10_ENKUlT_T0_E_clISt17integral_constantIbLb1EES1O_IbLb0EEEEDaS1K_S1L_EUlS1K_E_NS1_11comp_targetILNS1_3genE5ELNS1_11target_archE942ELNS1_3gpuE9ELNS1_3repE0EEENS1_30default_config_static_selectorELNS0_4arch9wavefront6targetE1EEEvSY_, .Lfunc_end171-_ZN7rocprim17ROCPRIM_400000_NS6detail17trampoline_kernelINS0_13select_configILj256ELj13ELNS0_17block_load_methodE3ELS4_3ELS4_3ELNS0_20block_scan_algorithmE0ELj4294967295EEENS1_25partition_config_selectorILNS1_17partition_subalgoE3EjNS0_10empty_typeEbEEZZNS1_14partition_implILS8_3ELb0ES6_jNS0_17counting_iteratorIjlEEPS9_SE_NS0_5tupleIJPjSE_EEENSF_IJSE_SE_EEES9_SG_JZNS1_25segmented_radix_sort_implINS0_14default_configELb0EPKhPhPKlPlN2at6native12_GLOBAL__N_18offset_tEEE10hipError_tPvRmT1_PNSt15iterator_traitsISY_E10value_typeET2_T3_PNSZ_IS14_E10value_typeET4_jRbjT5_S1A_jjP12ihipStream_tbEUljE_EEESV_SW_SX_S14_S18_S1A_T6_T7_T9_mT8_S1C_bDpT10_ENKUlT_T0_E_clISt17integral_constantIbLb1EES1O_IbLb0EEEEDaS1K_S1L_EUlS1K_E_NS1_11comp_targetILNS1_3genE5ELNS1_11target_archE942ELNS1_3gpuE9ELNS1_3repE0EEENS1_30default_config_static_selectorELNS0_4arch9wavefront6targetE1EEEvSY_
                                        ; -- End function
	.set _ZN7rocprim17ROCPRIM_400000_NS6detail17trampoline_kernelINS0_13select_configILj256ELj13ELNS0_17block_load_methodE3ELS4_3ELS4_3ELNS0_20block_scan_algorithmE0ELj4294967295EEENS1_25partition_config_selectorILNS1_17partition_subalgoE3EjNS0_10empty_typeEbEEZZNS1_14partition_implILS8_3ELb0ES6_jNS0_17counting_iteratorIjlEEPS9_SE_NS0_5tupleIJPjSE_EEENSF_IJSE_SE_EEES9_SG_JZNS1_25segmented_radix_sort_implINS0_14default_configELb0EPKhPhPKlPlN2at6native12_GLOBAL__N_18offset_tEEE10hipError_tPvRmT1_PNSt15iterator_traitsISY_E10value_typeET2_T3_PNSZ_IS14_E10value_typeET4_jRbjT5_S1A_jjP12ihipStream_tbEUljE_EEESV_SW_SX_S14_S18_S1A_T6_T7_T9_mT8_S1C_bDpT10_ENKUlT_T0_E_clISt17integral_constantIbLb1EES1O_IbLb0EEEEDaS1K_S1L_EUlS1K_E_NS1_11comp_targetILNS1_3genE5ELNS1_11target_archE942ELNS1_3gpuE9ELNS1_3repE0EEENS1_30default_config_static_selectorELNS0_4arch9wavefront6targetE1EEEvSY_.num_vgpr, 0
	.set _ZN7rocprim17ROCPRIM_400000_NS6detail17trampoline_kernelINS0_13select_configILj256ELj13ELNS0_17block_load_methodE3ELS4_3ELS4_3ELNS0_20block_scan_algorithmE0ELj4294967295EEENS1_25partition_config_selectorILNS1_17partition_subalgoE3EjNS0_10empty_typeEbEEZZNS1_14partition_implILS8_3ELb0ES6_jNS0_17counting_iteratorIjlEEPS9_SE_NS0_5tupleIJPjSE_EEENSF_IJSE_SE_EEES9_SG_JZNS1_25segmented_radix_sort_implINS0_14default_configELb0EPKhPhPKlPlN2at6native12_GLOBAL__N_18offset_tEEE10hipError_tPvRmT1_PNSt15iterator_traitsISY_E10value_typeET2_T3_PNSZ_IS14_E10value_typeET4_jRbjT5_S1A_jjP12ihipStream_tbEUljE_EEESV_SW_SX_S14_S18_S1A_T6_T7_T9_mT8_S1C_bDpT10_ENKUlT_T0_E_clISt17integral_constantIbLb1EES1O_IbLb0EEEEDaS1K_S1L_EUlS1K_E_NS1_11comp_targetILNS1_3genE5ELNS1_11target_archE942ELNS1_3gpuE9ELNS1_3repE0EEENS1_30default_config_static_selectorELNS0_4arch9wavefront6targetE1EEEvSY_.num_agpr, 0
	.set _ZN7rocprim17ROCPRIM_400000_NS6detail17trampoline_kernelINS0_13select_configILj256ELj13ELNS0_17block_load_methodE3ELS4_3ELS4_3ELNS0_20block_scan_algorithmE0ELj4294967295EEENS1_25partition_config_selectorILNS1_17partition_subalgoE3EjNS0_10empty_typeEbEEZZNS1_14partition_implILS8_3ELb0ES6_jNS0_17counting_iteratorIjlEEPS9_SE_NS0_5tupleIJPjSE_EEENSF_IJSE_SE_EEES9_SG_JZNS1_25segmented_radix_sort_implINS0_14default_configELb0EPKhPhPKlPlN2at6native12_GLOBAL__N_18offset_tEEE10hipError_tPvRmT1_PNSt15iterator_traitsISY_E10value_typeET2_T3_PNSZ_IS14_E10value_typeET4_jRbjT5_S1A_jjP12ihipStream_tbEUljE_EEESV_SW_SX_S14_S18_S1A_T6_T7_T9_mT8_S1C_bDpT10_ENKUlT_T0_E_clISt17integral_constantIbLb1EES1O_IbLb0EEEEDaS1K_S1L_EUlS1K_E_NS1_11comp_targetILNS1_3genE5ELNS1_11target_archE942ELNS1_3gpuE9ELNS1_3repE0EEENS1_30default_config_static_selectorELNS0_4arch9wavefront6targetE1EEEvSY_.numbered_sgpr, 0
	.set _ZN7rocprim17ROCPRIM_400000_NS6detail17trampoline_kernelINS0_13select_configILj256ELj13ELNS0_17block_load_methodE3ELS4_3ELS4_3ELNS0_20block_scan_algorithmE0ELj4294967295EEENS1_25partition_config_selectorILNS1_17partition_subalgoE3EjNS0_10empty_typeEbEEZZNS1_14partition_implILS8_3ELb0ES6_jNS0_17counting_iteratorIjlEEPS9_SE_NS0_5tupleIJPjSE_EEENSF_IJSE_SE_EEES9_SG_JZNS1_25segmented_radix_sort_implINS0_14default_configELb0EPKhPhPKlPlN2at6native12_GLOBAL__N_18offset_tEEE10hipError_tPvRmT1_PNSt15iterator_traitsISY_E10value_typeET2_T3_PNSZ_IS14_E10value_typeET4_jRbjT5_S1A_jjP12ihipStream_tbEUljE_EEESV_SW_SX_S14_S18_S1A_T6_T7_T9_mT8_S1C_bDpT10_ENKUlT_T0_E_clISt17integral_constantIbLb1EES1O_IbLb0EEEEDaS1K_S1L_EUlS1K_E_NS1_11comp_targetILNS1_3genE5ELNS1_11target_archE942ELNS1_3gpuE9ELNS1_3repE0EEENS1_30default_config_static_selectorELNS0_4arch9wavefront6targetE1EEEvSY_.num_named_barrier, 0
	.set _ZN7rocprim17ROCPRIM_400000_NS6detail17trampoline_kernelINS0_13select_configILj256ELj13ELNS0_17block_load_methodE3ELS4_3ELS4_3ELNS0_20block_scan_algorithmE0ELj4294967295EEENS1_25partition_config_selectorILNS1_17partition_subalgoE3EjNS0_10empty_typeEbEEZZNS1_14partition_implILS8_3ELb0ES6_jNS0_17counting_iteratorIjlEEPS9_SE_NS0_5tupleIJPjSE_EEENSF_IJSE_SE_EEES9_SG_JZNS1_25segmented_radix_sort_implINS0_14default_configELb0EPKhPhPKlPlN2at6native12_GLOBAL__N_18offset_tEEE10hipError_tPvRmT1_PNSt15iterator_traitsISY_E10value_typeET2_T3_PNSZ_IS14_E10value_typeET4_jRbjT5_S1A_jjP12ihipStream_tbEUljE_EEESV_SW_SX_S14_S18_S1A_T6_T7_T9_mT8_S1C_bDpT10_ENKUlT_T0_E_clISt17integral_constantIbLb1EES1O_IbLb0EEEEDaS1K_S1L_EUlS1K_E_NS1_11comp_targetILNS1_3genE5ELNS1_11target_archE942ELNS1_3gpuE9ELNS1_3repE0EEENS1_30default_config_static_selectorELNS0_4arch9wavefront6targetE1EEEvSY_.private_seg_size, 0
	.set _ZN7rocprim17ROCPRIM_400000_NS6detail17trampoline_kernelINS0_13select_configILj256ELj13ELNS0_17block_load_methodE3ELS4_3ELS4_3ELNS0_20block_scan_algorithmE0ELj4294967295EEENS1_25partition_config_selectorILNS1_17partition_subalgoE3EjNS0_10empty_typeEbEEZZNS1_14partition_implILS8_3ELb0ES6_jNS0_17counting_iteratorIjlEEPS9_SE_NS0_5tupleIJPjSE_EEENSF_IJSE_SE_EEES9_SG_JZNS1_25segmented_radix_sort_implINS0_14default_configELb0EPKhPhPKlPlN2at6native12_GLOBAL__N_18offset_tEEE10hipError_tPvRmT1_PNSt15iterator_traitsISY_E10value_typeET2_T3_PNSZ_IS14_E10value_typeET4_jRbjT5_S1A_jjP12ihipStream_tbEUljE_EEESV_SW_SX_S14_S18_S1A_T6_T7_T9_mT8_S1C_bDpT10_ENKUlT_T0_E_clISt17integral_constantIbLb1EES1O_IbLb0EEEEDaS1K_S1L_EUlS1K_E_NS1_11comp_targetILNS1_3genE5ELNS1_11target_archE942ELNS1_3gpuE9ELNS1_3repE0EEENS1_30default_config_static_selectorELNS0_4arch9wavefront6targetE1EEEvSY_.uses_vcc, 0
	.set _ZN7rocprim17ROCPRIM_400000_NS6detail17trampoline_kernelINS0_13select_configILj256ELj13ELNS0_17block_load_methodE3ELS4_3ELS4_3ELNS0_20block_scan_algorithmE0ELj4294967295EEENS1_25partition_config_selectorILNS1_17partition_subalgoE3EjNS0_10empty_typeEbEEZZNS1_14partition_implILS8_3ELb0ES6_jNS0_17counting_iteratorIjlEEPS9_SE_NS0_5tupleIJPjSE_EEENSF_IJSE_SE_EEES9_SG_JZNS1_25segmented_radix_sort_implINS0_14default_configELb0EPKhPhPKlPlN2at6native12_GLOBAL__N_18offset_tEEE10hipError_tPvRmT1_PNSt15iterator_traitsISY_E10value_typeET2_T3_PNSZ_IS14_E10value_typeET4_jRbjT5_S1A_jjP12ihipStream_tbEUljE_EEESV_SW_SX_S14_S18_S1A_T6_T7_T9_mT8_S1C_bDpT10_ENKUlT_T0_E_clISt17integral_constantIbLb1EES1O_IbLb0EEEEDaS1K_S1L_EUlS1K_E_NS1_11comp_targetILNS1_3genE5ELNS1_11target_archE942ELNS1_3gpuE9ELNS1_3repE0EEENS1_30default_config_static_selectorELNS0_4arch9wavefront6targetE1EEEvSY_.uses_flat_scratch, 0
	.set _ZN7rocprim17ROCPRIM_400000_NS6detail17trampoline_kernelINS0_13select_configILj256ELj13ELNS0_17block_load_methodE3ELS4_3ELS4_3ELNS0_20block_scan_algorithmE0ELj4294967295EEENS1_25partition_config_selectorILNS1_17partition_subalgoE3EjNS0_10empty_typeEbEEZZNS1_14partition_implILS8_3ELb0ES6_jNS0_17counting_iteratorIjlEEPS9_SE_NS0_5tupleIJPjSE_EEENSF_IJSE_SE_EEES9_SG_JZNS1_25segmented_radix_sort_implINS0_14default_configELb0EPKhPhPKlPlN2at6native12_GLOBAL__N_18offset_tEEE10hipError_tPvRmT1_PNSt15iterator_traitsISY_E10value_typeET2_T3_PNSZ_IS14_E10value_typeET4_jRbjT5_S1A_jjP12ihipStream_tbEUljE_EEESV_SW_SX_S14_S18_S1A_T6_T7_T9_mT8_S1C_bDpT10_ENKUlT_T0_E_clISt17integral_constantIbLb1EES1O_IbLb0EEEEDaS1K_S1L_EUlS1K_E_NS1_11comp_targetILNS1_3genE5ELNS1_11target_archE942ELNS1_3gpuE9ELNS1_3repE0EEENS1_30default_config_static_selectorELNS0_4arch9wavefront6targetE1EEEvSY_.has_dyn_sized_stack, 0
	.set _ZN7rocprim17ROCPRIM_400000_NS6detail17trampoline_kernelINS0_13select_configILj256ELj13ELNS0_17block_load_methodE3ELS4_3ELS4_3ELNS0_20block_scan_algorithmE0ELj4294967295EEENS1_25partition_config_selectorILNS1_17partition_subalgoE3EjNS0_10empty_typeEbEEZZNS1_14partition_implILS8_3ELb0ES6_jNS0_17counting_iteratorIjlEEPS9_SE_NS0_5tupleIJPjSE_EEENSF_IJSE_SE_EEES9_SG_JZNS1_25segmented_radix_sort_implINS0_14default_configELb0EPKhPhPKlPlN2at6native12_GLOBAL__N_18offset_tEEE10hipError_tPvRmT1_PNSt15iterator_traitsISY_E10value_typeET2_T3_PNSZ_IS14_E10value_typeET4_jRbjT5_S1A_jjP12ihipStream_tbEUljE_EEESV_SW_SX_S14_S18_S1A_T6_T7_T9_mT8_S1C_bDpT10_ENKUlT_T0_E_clISt17integral_constantIbLb1EES1O_IbLb0EEEEDaS1K_S1L_EUlS1K_E_NS1_11comp_targetILNS1_3genE5ELNS1_11target_archE942ELNS1_3gpuE9ELNS1_3repE0EEENS1_30default_config_static_selectorELNS0_4arch9wavefront6targetE1EEEvSY_.has_recursion, 0
	.set _ZN7rocprim17ROCPRIM_400000_NS6detail17trampoline_kernelINS0_13select_configILj256ELj13ELNS0_17block_load_methodE3ELS4_3ELS4_3ELNS0_20block_scan_algorithmE0ELj4294967295EEENS1_25partition_config_selectorILNS1_17partition_subalgoE3EjNS0_10empty_typeEbEEZZNS1_14partition_implILS8_3ELb0ES6_jNS0_17counting_iteratorIjlEEPS9_SE_NS0_5tupleIJPjSE_EEENSF_IJSE_SE_EEES9_SG_JZNS1_25segmented_radix_sort_implINS0_14default_configELb0EPKhPhPKlPlN2at6native12_GLOBAL__N_18offset_tEEE10hipError_tPvRmT1_PNSt15iterator_traitsISY_E10value_typeET2_T3_PNSZ_IS14_E10value_typeET4_jRbjT5_S1A_jjP12ihipStream_tbEUljE_EEESV_SW_SX_S14_S18_S1A_T6_T7_T9_mT8_S1C_bDpT10_ENKUlT_T0_E_clISt17integral_constantIbLb1EES1O_IbLb0EEEEDaS1K_S1L_EUlS1K_E_NS1_11comp_targetILNS1_3genE5ELNS1_11target_archE942ELNS1_3gpuE9ELNS1_3repE0EEENS1_30default_config_static_selectorELNS0_4arch9wavefront6targetE1EEEvSY_.has_indirect_call, 0
	.section	.AMDGPU.csdata,"",@progbits
; Kernel info:
; codeLenInByte = 0
; TotalNumSgprs: 4
; NumVgprs: 0
; ScratchSize: 0
; MemoryBound: 0
; FloatMode: 240
; IeeeMode: 1
; LDSByteSize: 0 bytes/workgroup (compile time only)
; SGPRBlocks: 0
; VGPRBlocks: 0
; NumSGPRsForWavesPerEU: 4
; NumVGPRsForWavesPerEU: 1
; Occupancy: 10
; WaveLimiterHint : 0
; COMPUTE_PGM_RSRC2:SCRATCH_EN: 0
; COMPUTE_PGM_RSRC2:USER_SGPR: 6
; COMPUTE_PGM_RSRC2:TRAP_HANDLER: 0
; COMPUTE_PGM_RSRC2:TGID_X_EN: 1
; COMPUTE_PGM_RSRC2:TGID_Y_EN: 0
; COMPUTE_PGM_RSRC2:TGID_Z_EN: 0
; COMPUTE_PGM_RSRC2:TIDIG_COMP_CNT: 0
	.section	.text._ZN7rocprim17ROCPRIM_400000_NS6detail17trampoline_kernelINS0_13select_configILj256ELj13ELNS0_17block_load_methodE3ELS4_3ELS4_3ELNS0_20block_scan_algorithmE0ELj4294967295EEENS1_25partition_config_selectorILNS1_17partition_subalgoE3EjNS0_10empty_typeEbEEZZNS1_14partition_implILS8_3ELb0ES6_jNS0_17counting_iteratorIjlEEPS9_SE_NS0_5tupleIJPjSE_EEENSF_IJSE_SE_EEES9_SG_JZNS1_25segmented_radix_sort_implINS0_14default_configELb0EPKhPhPKlPlN2at6native12_GLOBAL__N_18offset_tEEE10hipError_tPvRmT1_PNSt15iterator_traitsISY_E10value_typeET2_T3_PNSZ_IS14_E10value_typeET4_jRbjT5_S1A_jjP12ihipStream_tbEUljE_EEESV_SW_SX_S14_S18_S1A_T6_T7_T9_mT8_S1C_bDpT10_ENKUlT_T0_E_clISt17integral_constantIbLb1EES1O_IbLb0EEEEDaS1K_S1L_EUlS1K_E_NS1_11comp_targetILNS1_3genE4ELNS1_11target_archE910ELNS1_3gpuE8ELNS1_3repE0EEENS1_30default_config_static_selectorELNS0_4arch9wavefront6targetE1EEEvSY_,"axG",@progbits,_ZN7rocprim17ROCPRIM_400000_NS6detail17trampoline_kernelINS0_13select_configILj256ELj13ELNS0_17block_load_methodE3ELS4_3ELS4_3ELNS0_20block_scan_algorithmE0ELj4294967295EEENS1_25partition_config_selectorILNS1_17partition_subalgoE3EjNS0_10empty_typeEbEEZZNS1_14partition_implILS8_3ELb0ES6_jNS0_17counting_iteratorIjlEEPS9_SE_NS0_5tupleIJPjSE_EEENSF_IJSE_SE_EEES9_SG_JZNS1_25segmented_radix_sort_implINS0_14default_configELb0EPKhPhPKlPlN2at6native12_GLOBAL__N_18offset_tEEE10hipError_tPvRmT1_PNSt15iterator_traitsISY_E10value_typeET2_T3_PNSZ_IS14_E10value_typeET4_jRbjT5_S1A_jjP12ihipStream_tbEUljE_EEESV_SW_SX_S14_S18_S1A_T6_T7_T9_mT8_S1C_bDpT10_ENKUlT_T0_E_clISt17integral_constantIbLb1EES1O_IbLb0EEEEDaS1K_S1L_EUlS1K_E_NS1_11comp_targetILNS1_3genE4ELNS1_11target_archE910ELNS1_3gpuE8ELNS1_3repE0EEENS1_30default_config_static_selectorELNS0_4arch9wavefront6targetE1EEEvSY_,comdat
	.globl	_ZN7rocprim17ROCPRIM_400000_NS6detail17trampoline_kernelINS0_13select_configILj256ELj13ELNS0_17block_load_methodE3ELS4_3ELS4_3ELNS0_20block_scan_algorithmE0ELj4294967295EEENS1_25partition_config_selectorILNS1_17partition_subalgoE3EjNS0_10empty_typeEbEEZZNS1_14partition_implILS8_3ELb0ES6_jNS0_17counting_iteratorIjlEEPS9_SE_NS0_5tupleIJPjSE_EEENSF_IJSE_SE_EEES9_SG_JZNS1_25segmented_radix_sort_implINS0_14default_configELb0EPKhPhPKlPlN2at6native12_GLOBAL__N_18offset_tEEE10hipError_tPvRmT1_PNSt15iterator_traitsISY_E10value_typeET2_T3_PNSZ_IS14_E10value_typeET4_jRbjT5_S1A_jjP12ihipStream_tbEUljE_EEESV_SW_SX_S14_S18_S1A_T6_T7_T9_mT8_S1C_bDpT10_ENKUlT_T0_E_clISt17integral_constantIbLb1EES1O_IbLb0EEEEDaS1K_S1L_EUlS1K_E_NS1_11comp_targetILNS1_3genE4ELNS1_11target_archE910ELNS1_3gpuE8ELNS1_3repE0EEENS1_30default_config_static_selectorELNS0_4arch9wavefront6targetE1EEEvSY_ ; -- Begin function _ZN7rocprim17ROCPRIM_400000_NS6detail17trampoline_kernelINS0_13select_configILj256ELj13ELNS0_17block_load_methodE3ELS4_3ELS4_3ELNS0_20block_scan_algorithmE0ELj4294967295EEENS1_25partition_config_selectorILNS1_17partition_subalgoE3EjNS0_10empty_typeEbEEZZNS1_14partition_implILS8_3ELb0ES6_jNS0_17counting_iteratorIjlEEPS9_SE_NS0_5tupleIJPjSE_EEENSF_IJSE_SE_EEES9_SG_JZNS1_25segmented_radix_sort_implINS0_14default_configELb0EPKhPhPKlPlN2at6native12_GLOBAL__N_18offset_tEEE10hipError_tPvRmT1_PNSt15iterator_traitsISY_E10value_typeET2_T3_PNSZ_IS14_E10value_typeET4_jRbjT5_S1A_jjP12ihipStream_tbEUljE_EEESV_SW_SX_S14_S18_S1A_T6_T7_T9_mT8_S1C_bDpT10_ENKUlT_T0_E_clISt17integral_constantIbLb1EES1O_IbLb0EEEEDaS1K_S1L_EUlS1K_E_NS1_11comp_targetILNS1_3genE4ELNS1_11target_archE910ELNS1_3gpuE8ELNS1_3repE0EEENS1_30default_config_static_selectorELNS0_4arch9wavefront6targetE1EEEvSY_
	.p2align	8
	.type	_ZN7rocprim17ROCPRIM_400000_NS6detail17trampoline_kernelINS0_13select_configILj256ELj13ELNS0_17block_load_methodE3ELS4_3ELS4_3ELNS0_20block_scan_algorithmE0ELj4294967295EEENS1_25partition_config_selectorILNS1_17partition_subalgoE3EjNS0_10empty_typeEbEEZZNS1_14partition_implILS8_3ELb0ES6_jNS0_17counting_iteratorIjlEEPS9_SE_NS0_5tupleIJPjSE_EEENSF_IJSE_SE_EEES9_SG_JZNS1_25segmented_radix_sort_implINS0_14default_configELb0EPKhPhPKlPlN2at6native12_GLOBAL__N_18offset_tEEE10hipError_tPvRmT1_PNSt15iterator_traitsISY_E10value_typeET2_T3_PNSZ_IS14_E10value_typeET4_jRbjT5_S1A_jjP12ihipStream_tbEUljE_EEESV_SW_SX_S14_S18_S1A_T6_T7_T9_mT8_S1C_bDpT10_ENKUlT_T0_E_clISt17integral_constantIbLb1EES1O_IbLb0EEEEDaS1K_S1L_EUlS1K_E_NS1_11comp_targetILNS1_3genE4ELNS1_11target_archE910ELNS1_3gpuE8ELNS1_3repE0EEENS1_30default_config_static_selectorELNS0_4arch9wavefront6targetE1EEEvSY_,@function
_ZN7rocprim17ROCPRIM_400000_NS6detail17trampoline_kernelINS0_13select_configILj256ELj13ELNS0_17block_load_methodE3ELS4_3ELS4_3ELNS0_20block_scan_algorithmE0ELj4294967295EEENS1_25partition_config_selectorILNS1_17partition_subalgoE3EjNS0_10empty_typeEbEEZZNS1_14partition_implILS8_3ELb0ES6_jNS0_17counting_iteratorIjlEEPS9_SE_NS0_5tupleIJPjSE_EEENSF_IJSE_SE_EEES9_SG_JZNS1_25segmented_radix_sort_implINS0_14default_configELb0EPKhPhPKlPlN2at6native12_GLOBAL__N_18offset_tEEE10hipError_tPvRmT1_PNSt15iterator_traitsISY_E10value_typeET2_T3_PNSZ_IS14_E10value_typeET4_jRbjT5_S1A_jjP12ihipStream_tbEUljE_EEESV_SW_SX_S14_S18_S1A_T6_T7_T9_mT8_S1C_bDpT10_ENKUlT_T0_E_clISt17integral_constantIbLb1EES1O_IbLb0EEEEDaS1K_S1L_EUlS1K_E_NS1_11comp_targetILNS1_3genE4ELNS1_11target_archE910ELNS1_3gpuE8ELNS1_3repE0EEENS1_30default_config_static_selectorELNS0_4arch9wavefront6targetE1EEEvSY_: ; @_ZN7rocprim17ROCPRIM_400000_NS6detail17trampoline_kernelINS0_13select_configILj256ELj13ELNS0_17block_load_methodE3ELS4_3ELS4_3ELNS0_20block_scan_algorithmE0ELj4294967295EEENS1_25partition_config_selectorILNS1_17partition_subalgoE3EjNS0_10empty_typeEbEEZZNS1_14partition_implILS8_3ELb0ES6_jNS0_17counting_iteratorIjlEEPS9_SE_NS0_5tupleIJPjSE_EEENSF_IJSE_SE_EEES9_SG_JZNS1_25segmented_radix_sort_implINS0_14default_configELb0EPKhPhPKlPlN2at6native12_GLOBAL__N_18offset_tEEE10hipError_tPvRmT1_PNSt15iterator_traitsISY_E10value_typeET2_T3_PNSZ_IS14_E10value_typeET4_jRbjT5_S1A_jjP12ihipStream_tbEUljE_EEESV_SW_SX_S14_S18_S1A_T6_T7_T9_mT8_S1C_bDpT10_ENKUlT_T0_E_clISt17integral_constantIbLb1EES1O_IbLb0EEEEDaS1K_S1L_EUlS1K_E_NS1_11comp_targetILNS1_3genE4ELNS1_11target_archE910ELNS1_3gpuE8ELNS1_3repE0EEENS1_30default_config_static_selectorELNS0_4arch9wavefront6targetE1EEEvSY_
; %bb.0:
	.section	.rodata,"a",@progbits
	.p2align	6, 0x0
	.amdhsa_kernel _ZN7rocprim17ROCPRIM_400000_NS6detail17trampoline_kernelINS0_13select_configILj256ELj13ELNS0_17block_load_methodE3ELS4_3ELS4_3ELNS0_20block_scan_algorithmE0ELj4294967295EEENS1_25partition_config_selectorILNS1_17partition_subalgoE3EjNS0_10empty_typeEbEEZZNS1_14partition_implILS8_3ELb0ES6_jNS0_17counting_iteratorIjlEEPS9_SE_NS0_5tupleIJPjSE_EEENSF_IJSE_SE_EEES9_SG_JZNS1_25segmented_radix_sort_implINS0_14default_configELb0EPKhPhPKlPlN2at6native12_GLOBAL__N_18offset_tEEE10hipError_tPvRmT1_PNSt15iterator_traitsISY_E10value_typeET2_T3_PNSZ_IS14_E10value_typeET4_jRbjT5_S1A_jjP12ihipStream_tbEUljE_EEESV_SW_SX_S14_S18_S1A_T6_T7_T9_mT8_S1C_bDpT10_ENKUlT_T0_E_clISt17integral_constantIbLb1EES1O_IbLb0EEEEDaS1K_S1L_EUlS1K_E_NS1_11comp_targetILNS1_3genE4ELNS1_11target_archE910ELNS1_3gpuE8ELNS1_3repE0EEENS1_30default_config_static_selectorELNS0_4arch9wavefront6targetE1EEEvSY_
		.amdhsa_group_segment_fixed_size 0
		.amdhsa_private_segment_fixed_size 0
		.amdhsa_kernarg_size 144
		.amdhsa_user_sgpr_count 6
		.amdhsa_user_sgpr_private_segment_buffer 1
		.amdhsa_user_sgpr_dispatch_ptr 0
		.amdhsa_user_sgpr_queue_ptr 0
		.amdhsa_user_sgpr_kernarg_segment_ptr 1
		.amdhsa_user_sgpr_dispatch_id 0
		.amdhsa_user_sgpr_flat_scratch_init 0
		.amdhsa_user_sgpr_private_segment_size 0
		.amdhsa_uses_dynamic_stack 0
		.amdhsa_system_sgpr_private_segment_wavefront_offset 0
		.amdhsa_system_sgpr_workgroup_id_x 1
		.amdhsa_system_sgpr_workgroup_id_y 0
		.amdhsa_system_sgpr_workgroup_id_z 0
		.amdhsa_system_sgpr_workgroup_info 0
		.amdhsa_system_vgpr_workitem_id 0
		.amdhsa_next_free_vgpr 1
		.amdhsa_next_free_sgpr 0
		.amdhsa_reserve_vcc 0
		.amdhsa_reserve_flat_scratch 0
		.amdhsa_float_round_mode_32 0
		.amdhsa_float_round_mode_16_64 0
		.amdhsa_float_denorm_mode_32 3
		.amdhsa_float_denorm_mode_16_64 3
		.amdhsa_dx10_clamp 1
		.amdhsa_ieee_mode 1
		.amdhsa_fp16_overflow 0
		.amdhsa_exception_fp_ieee_invalid_op 0
		.amdhsa_exception_fp_denorm_src 0
		.amdhsa_exception_fp_ieee_div_zero 0
		.amdhsa_exception_fp_ieee_overflow 0
		.amdhsa_exception_fp_ieee_underflow 0
		.amdhsa_exception_fp_ieee_inexact 0
		.amdhsa_exception_int_div_zero 0
	.end_amdhsa_kernel
	.section	.text._ZN7rocprim17ROCPRIM_400000_NS6detail17trampoline_kernelINS0_13select_configILj256ELj13ELNS0_17block_load_methodE3ELS4_3ELS4_3ELNS0_20block_scan_algorithmE0ELj4294967295EEENS1_25partition_config_selectorILNS1_17partition_subalgoE3EjNS0_10empty_typeEbEEZZNS1_14partition_implILS8_3ELb0ES6_jNS0_17counting_iteratorIjlEEPS9_SE_NS0_5tupleIJPjSE_EEENSF_IJSE_SE_EEES9_SG_JZNS1_25segmented_radix_sort_implINS0_14default_configELb0EPKhPhPKlPlN2at6native12_GLOBAL__N_18offset_tEEE10hipError_tPvRmT1_PNSt15iterator_traitsISY_E10value_typeET2_T3_PNSZ_IS14_E10value_typeET4_jRbjT5_S1A_jjP12ihipStream_tbEUljE_EEESV_SW_SX_S14_S18_S1A_T6_T7_T9_mT8_S1C_bDpT10_ENKUlT_T0_E_clISt17integral_constantIbLb1EES1O_IbLb0EEEEDaS1K_S1L_EUlS1K_E_NS1_11comp_targetILNS1_3genE4ELNS1_11target_archE910ELNS1_3gpuE8ELNS1_3repE0EEENS1_30default_config_static_selectorELNS0_4arch9wavefront6targetE1EEEvSY_,"axG",@progbits,_ZN7rocprim17ROCPRIM_400000_NS6detail17trampoline_kernelINS0_13select_configILj256ELj13ELNS0_17block_load_methodE3ELS4_3ELS4_3ELNS0_20block_scan_algorithmE0ELj4294967295EEENS1_25partition_config_selectorILNS1_17partition_subalgoE3EjNS0_10empty_typeEbEEZZNS1_14partition_implILS8_3ELb0ES6_jNS0_17counting_iteratorIjlEEPS9_SE_NS0_5tupleIJPjSE_EEENSF_IJSE_SE_EEES9_SG_JZNS1_25segmented_radix_sort_implINS0_14default_configELb0EPKhPhPKlPlN2at6native12_GLOBAL__N_18offset_tEEE10hipError_tPvRmT1_PNSt15iterator_traitsISY_E10value_typeET2_T3_PNSZ_IS14_E10value_typeET4_jRbjT5_S1A_jjP12ihipStream_tbEUljE_EEESV_SW_SX_S14_S18_S1A_T6_T7_T9_mT8_S1C_bDpT10_ENKUlT_T0_E_clISt17integral_constantIbLb1EES1O_IbLb0EEEEDaS1K_S1L_EUlS1K_E_NS1_11comp_targetILNS1_3genE4ELNS1_11target_archE910ELNS1_3gpuE8ELNS1_3repE0EEENS1_30default_config_static_selectorELNS0_4arch9wavefront6targetE1EEEvSY_,comdat
.Lfunc_end172:
	.size	_ZN7rocprim17ROCPRIM_400000_NS6detail17trampoline_kernelINS0_13select_configILj256ELj13ELNS0_17block_load_methodE3ELS4_3ELS4_3ELNS0_20block_scan_algorithmE0ELj4294967295EEENS1_25partition_config_selectorILNS1_17partition_subalgoE3EjNS0_10empty_typeEbEEZZNS1_14partition_implILS8_3ELb0ES6_jNS0_17counting_iteratorIjlEEPS9_SE_NS0_5tupleIJPjSE_EEENSF_IJSE_SE_EEES9_SG_JZNS1_25segmented_radix_sort_implINS0_14default_configELb0EPKhPhPKlPlN2at6native12_GLOBAL__N_18offset_tEEE10hipError_tPvRmT1_PNSt15iterator_traitsISY_E10value_typeET2_T3_PNSZ_IS14_E10value_typeET4_jRbjT5_S1A_jjP12ihipStream_tbEUljE_EEESV_SW_SX_S14_S18_S1A_T6_T7_T9_mT8_S1C_bDpT10_ENKUlT_T0_E_clISt17integral_constantIbLb1EES1O_IbLb0EEEEDaS1K_S1L_EUlS1K_E_NS1_11comp_targetILNS1_3genE4ELNS1_11target_archE910ELNS1_3gpuE8ELNS1_3repE0EEENS1_30default_config_static_selectorELNS0_4arch9wavefront6targetE1EEEvSY_, .Lfunc_end172-_ZN7rocprim17ROCPRIM_400000_NS6detail17trampoline_kernelINS0_13select_configILj256ELj13ELNS0_17block_load_methodE3ELS4_3ELS4_3ELNS0_20block_scan_algorithmE0ELj4294967295EEENS1_25partition_config_selectorILNS1_17partition_subalgoE3EjNS0_10empty_typeEbEEZZNS1_14partition_implILS8_3ELb0ES6_jNS0_17counting_iteratorIjlEEPS9_SE_NS0_5tupleIJPjSE_EEENSF_IJSE_SE_EEES9_SG_JZNS1_25segmented_radix_sort_implINS0_14default_configELb0EPKhPhPKlPlN2at6native12_GLOBAL__N_18offset_tEEE10hipError_tPvRmT1_PNSt15iterator_traitsISY_E10value_typeET2_T3_PNSZ_IS14_E10value_typeET4_jRbjT5_S1A_jjP12ihipStream_tbEUljE_EEESV_SW_SX_S14_S18_S1A_T6_T7_T9_mT8_S1C_bDpT10_ENKUlT_T0_E_clISt17integral_constantIbLb1EES1O_IbLb0EEEEDaS1K_S1L_EUlS1K_E_NS1_11comp_targetILNS1_3genE4ELNS1_11target_archE910ELNS1_3gpuE8ELNS1_3repE0EEENS1_30default_config_static_selectorELNS0_4arch9wavefront6targetE1EEEvSY_
                                        ; -- End function
	.set _ZN7rocprim17ROCPRIM_400000_NS6detail17trampoline_kernelINS0_13select_configILj256ELj13ELNS0_17block_load_methodE3ELS4_3ELS4_3ELNS0_20block_scan_algorithmE0ELj4294967295EEENS1_25partition_config_selectorILNS1_17partition_subalgoE3EjNS0_10empty_typeEbEEZZNS1_14partition_implILS8_3ELb0ES6_jNS0_17counting_iteratorIjlEEPS9_SE_NS0_5tupleIJPjSE_EEENSF_IJSE_SE_EEES9_SG_JZNS1_25segmented_radix_sort_implINS0_14default_configELb0EPKhPhPKlPlN2at6native12_GLOBAL__N_18offset_tEEE10hipError_tPvRmT1_PNSt15iterator_traitsISY_E10value_typeET2_T3_PNSZ_IS14_E10value_typeET4_jRbjT5_S1A_jjP12ihipStream_tbEUljE_EEESV_SW_SX_S14_S18_S1A_T6_T7_T9_mT8_S1C_bDpT10_ENKUlT_T0_E_clISt17integral_constantIbLb1EES1O_IbLb0EEEEDaS1K_S1L_EUlS1K_E_NS1_11comp_targetILNS1_3genE4ELNS1_11target_archE910ELNS1_3gpuE8ELNS1_3repE0EEENS1_30default_config_static_selectorELNS0_4arch9wavefront6targetE1EEEvSY_.num_vgpr, 0
	.set _ZN7rocprim17ROCPRIM_400000_NS6detail17trampoline_kernelINS0_13select_configILj256ELj13ELNS0_17block_load_methodE3ELS4_3ELS4_3ELNS0_20block_scan_algorithmE0ELj4294967295EEENS1_25partition_config_selectorILNS1_17partition_subalgoE3EjNS0_10empty_typeEbEEZZNS1_14partition_implILS8_3ELb0ES6_jNS0_17counting_iteratorIjlEEPS9_SE_NS0_5tupleIJPjSE_EEENSF_IJSE_SE_EEES9_SG_JZNS1_25segmented_radix_sort_implINS0_14default_configELb0EPKhPhPKlPlN2at6native12_GLOBAL__N_18offset_tEEE10hipError_tPvRmT1_PNSt15iterator_traitsISY_E10value_typeET2_T3_PNSZ_IS14_E10value_typeET4_jRbjT5_S1A_jjP12ihipStream_tbEUljE_EEESV_SW_SX_S14_S18_S1A_T6_T7_T9_mT8_S1C_bDpT10_ENKUlT_T0_E_clISt17integral_constantIbLb1EES1O_IbLb0EEEEDaS1K_S1L_EUlS1K_E_NS1_11comp_targetILNS1_3genE4ELNS1_11target_archE910ELNS1_3gpuE8ELNS1_3repE0EEENS1_30default_config_static_selectorELNS0_4arch9wavefront6targetE1EEEvSY_.num_agpr, 0
	.set _ZN7rocprim17ROCPRIM_400000_NS6detail17trampoline_kernelINS0_13select_configILj256ELj13ELNS0_17block_load_methodE3ELS4_3ELS4_3ELNS0_20block_scan_algorithmE0ELj4294967295EEENS1_25partition_config_selectorILNS1_17partition_subalgoE3EjNS0_10empty_typeEbEEZZNS1_14partition_implILS8_3ELb0ES6_jNS0_17counting_iteratorIjlEEPS9_SE_NS0_5tupleIJPjSE_EEENSF_IJSE_SE_EEES9_SG_JZNS1_25segmented_radix_sort_implINS0_14default_configELb0EPKhPhPKlPlN2at6native12_GLOBAL__N_18offset_tEEE10hipError_tPvRmT1_PNSt15iterator_traitsISY_E10value_typeET2_T3_PNSZ_IS14_E10value_typeET4_jRbjT5_S1A_jjP12ihipStream_tbEUljE_EEESV_SW_SX_S14_S18_S1A_T6_T7_T9_mT8_S1C_bDpT10_ENKUlT_T0_E_clISt17integral_constantIbLb1EES1O_IbLb0EEEEDaS1K_S1L_EUlS1K_E_NS1_11comp_targetILNS1_3genE4ELNS1_11target_archE910ELNS1_3gpuE8ELNS1_3repE0EEENS1_30default_config_static_selectorELNS0_4arch9wavefront6targetE1EEEvSY_.numbered_sgpr, 0
	.set _ZN7rocprim17ROCPRIM_400000_NS6detail17trampoline_kernelINS0_13select_configILj256ELj13ELNS0_17block_load_methodE3ELS4_3ELS4_3ELNS0_20block_scan_algorithmE0ELj4294967295EEENS1_25partition_config_selectorILNS1_17partition_subalgoE3EjNS0_10empty_typeEbEEZZNS1_14partition_implILS8_3ELb0ES6_jNS0_17counting_iteratorIjlEEPS9_SE_NS0_5tupleIJPjSE_EEENSF_IJSE_SE_EEES9_SG_JZNS1_25segmented_radix_sort_implINS0_14default_configELb0EPKhPhPKlPlN2at6native12_GLOBAL__N_18offset_tEEE10hipError_tPvRmT1_PNSt15iterator_traitsISY_E10value_typeET2_T3_PNSZ_IS14_E10value_typeET4_jRbjT5_S1A_jjP12ihipStream_tbEUljE_EEESV_SW_SX_S14_S18_S1A_T6_T7_T9_mT8_S1C_bDpT10_ENKUlT_T0_E_clISt17integral_constantIbLb1EES1O_IbLb0EEEEDaS1K_S1L_EUlS1K_E_NS1_11comp_targetILNS1_3genE4ELNS1_11target_archE910ELNS1_3gpuE8ELNS1_3repE0EEENS1_30default_config_static_selectorELNS0_4arch9wavefront6targetE1EEEvSY_.num_named_barrier, 0
	.set _ZN7rocprim17ROCPRIM_400000_NS6detail17trampoline_kernelINS0_13select_configILj256ELj13ELNS0_17block_load_methodE3ELS4_3ELS4_3ELNS0_20block_scan_algorithmE0ELj4294967295EEENS1_25partition_config_selectorILNS1_17partition_subalgoE3EjNS0_10empty_typeEbEEZZNS1_14partition_implILS8_3ELb0ES6_jNS0_17counting_iteratorIjlEEPS9_SE_NS0_5tupleIJPjSE_EEENSF_IJSE_SE_EEES9_SG_JZNS1_25segmented_radix_sort_implINS0_14default_configELb0EPKhPhPKlPlN2at6native12_GLOBAL__N_18offset_tEEE10hipError_tPvRmT1_PNSt15iterator_traitsISY_E10value_typeET2_T3_PNSZ_IS14_E10value_typeET4_jRbjT5_S1A_jjP12ihipStream_tbEUljE_EEESV_SW_SX_S14_S18_S1A_T6_T7_T9_mT8_S1C_bDpT10_ENKUlT_T0_E_clISt17integral_constantIbLb1EES1O_IbLb0EEEEDaS1K_S1L_EUlS1K_E_NS1_11comp_targetILNS1_3genE4ELNS1_11target_archE910ELNS1_3gpuE8ELNS1_3repE0EEENS1_30default_config_static_selectorELNS0_4arch9wavefront6targetE1EEEvSY_.private_seg_size, 0
	.set _ZN7rocprim17ROCPRIM_400000_NS6detail17trampoline_kernelINS0_13select_configILj256ELj13ELNS0_17block_load_methodE3ELS4_3ELS4_3ELNS0_20block_scan_algorithmE0ELj4294967295EEENS1_25partition_config_selectorILNS1_17partition_subalgoE3EjNS0_10empty_typeEbEEZZNS1_14partition_implILS8_3ELb0ES6_jNS0_17counting_iteratorIjlEEPS9_SE_NS0_5tupleIJPjSE_EEENSF_IJSE_SE_EEES9_SG_JZNS1_25segmented_radix_sort_implINS0_14default_configELb0EPKhPhPKlPlN2at6native12_GLOBAL__N_18offset_tEEE10hipError_tPvRmT1_PNSt15iterator_traitsISY_E10value_typeET2_T3_PNSZ_IS14_E10value_typeET4_jRbjT5_S1A_jjP12ihipStream_tbEUljE_EEESV_SW_SX_S14_S18_S1A_T6_T7_T9_mT8_S1C_bDpT10_ENKUlT_T0_E_clISt17integral_constantIbLb1EES1O_IbLb0EEEEDaS1K_S1L_EUlS1K_E_NS1_11comp_targetILNS1_3genE4ELNS1_11target_archE910ELNS1_3gpuE8ELNS1_3repE0EEENS1_30default_config_static_selectorELNS0_4arch9wavefront6targetE1EEEvSY_.uses_vcc, 0
	.set _ZN7rocprim17ROCPRIM_400000_NS6detail17trampoline_kernelINS0_13select_configILj256ELj13ELNS0_17block_load_methodE3ELS4_3ELS4_3ELNS0_20block_scan_algorithmE0ELj4294967295EEENS1_25partition_config_selectorILNS1_17partition_subalgoE3EjNS0_10empty_typeEbEEZZNS1_14partition_implILS8_3ELb0ES6_jNS0_17counting_iteratorIjlEEPS9_SE_NS0_5tupleIJPjSE_EEENSF_IJSE_SE_EEES9_SG_JZNS1_25segmented_radix_sort_implINS0_14default_configELb0EPKhPhPKlPlN2at6native12_GLOBAL__N_18offset_tEEE10hipError_tPvRmT1_PNSt15iterator_traitsISY_E10value_typeET2_T3_PNSZ_IS14_E10value_typeET4_jRbjT5_S1A_jjP12ihipStream_tbEUljE_EEESV_SW_SX_S14_S18_S1A_T6_T7_T9_mT8_S1C_bDpT10_ENKUlT_T0_E_clISt17integral_constantIbLb1EES1O_IbLb0EEEEDaS1K_S1L_EUlS1K_E_NS1_11comp_targetILNS1_3genE4ELNS1_11target_archE910ELNS1_3gpuE8ELNS1_3repE0EEENS1_30default_config_static_selectorELNS0_4arch9wavefront6targetE1EEEvSY_.uses_flat_scratch, 0
	.set _ZN7rocprim17ROCPRIM_400000_NS6detail17trampoline_kernelINS0_13select_configILj256ELj13ELNS0_17block_load_methodE3ELS4_3ELS4_3ELNS0_20block_scan_algorithmE0ELj4294967295EEENS1_25partition_config_selectorILNS1_17partition_subalgoE3EjNS0_10empty_typeEbEEZZNS1_14partition_implILS8_3ELb0ES6_jNS0_17counting_iteratorIjlEEPS9_SE_NS0_5tupleIJPjSE_EEENSF_IJSE_SE_EEES9_SG_JZNS1_25segmented_radix_sort_implINS0_14default_configELb0EPKhPhPKlPlN2at6native12_GLOBAL__N_18offset_tEEE10hipError_tPvRmT1_PNSt15iterator_traitsISY_E10value_typeET2_T3_PNSZ_IS14_E10value_typeET4_jRbjT5_S1A_jjP12ihipStream_tbEUljE_EEESV_SW_SX_S14_S18_S1A_T6_T7_T9_mT8_S1C_bDpT10_ENKUlT_T0_E_clISt17integral_constantIbLb1EES1O_IbLb0EEEEDaS1K_S1L_EUlS1K_E_NS1_11comp_targetILNS1_3genE4ELNS1_11target_archE910ELNS1_3gpuE8ELNS1_3repE0EEENS1_30default_config_static_selectorELNS0_4arch9wavefront6targetE1EEEvSY_.has_dyn_sized_stack, 0
	.set _ZN7rocprim17ROCPRIM_400000_NS6detail17trampoline_kernelINS0_13select_configILj256ELj13ELNS0_17block_load_methodE3ELS4_3ELS4_3ELNS0_20block_scan_algorithmE0ELj4294967295EEENS1_25partition_config_selectorILNS1_17partition_subalgoE3EjNS0_10empty_typeEbEEZZNS1_14partition_implILS8_3ELb0ES6_jNS0_17counting_iteratorIjlEEPS9_SE_NS0_5tupleIJPjSE_EEENSF_IJSE_SE_EEES9_SG_JZNS1_25segmented_radix_sort_implINS0_14default_configELb0EPKhPhPKlPlN2at6native12_GLOBAL__N_18offset_tEEE10hipError_tPvRmT1_PNSt15iterator_traitsISY_E10value_typeET2_T3_PNSZ_IS14_E10value_typeET4_jRbjT5_S1A_jjP12ihipStream_tbEUljE_EEESV_SW_SX_S14_S18_S1A_T6_T7_T9_mT8_S1C_bDpT10_ENKUlT_T0_E_clISt17integral_constantIbLb1EES1O_IbLb0EEEEDaS1K_S1L_EUlS1K_E_NS1_11comp_targetILNS1_3genE4ELNS1_11target_archE910ELNS1_3gpuE8ELNS1_3repE0EEENS1_30default_config_static_selectorELNS0_4arch9wavefront6targetE1EEEvSY_.has_recursion, 0
	.set _ZN7rocprim17ROCPRIM_400000_NS6detail17trampoline_kernelINS0_13select_configILj256ELj13ELNS0_17block_load_methodE3ELS4_3ELS4_3ELNS0_20block_scan_algorithmE0ELj4294967295EEENS1_25partition_config_selectorILNS1_17partition_subalgoE3EjNS0_10empty_typeEbEEZZNS1_14partition_implILS8_3ELb0ES6_jNS0_17counting_iteratorIjlEEPS9_SE_NS0_5tupleIJPjSE_EEENSF_IJSE_SE_EEES9_SG_JZNS1_25segmented_radix_sort_implINS0_14default_configELb0EPKhPhPKlPlN2at6native12_GLOBAL__N_18offset_tEEE10hipError_tPvRmT1_PNSt15iterator_traitsISY_E10value_typeET2_T3_PNSZ_IS14_E10value_typeET4_jRbjT5_S1A_jjP12ihipStream_tbEUljE_EEESV_SW_SX_S14_S18_S1A_T6_T7_T9_mT8_S1C_bDpT10_ENKUlT_T0_E_clISt17integral_constantIbLb1EES1O_IbLb0EEEEDaS1K_S1L_EUlS1K_E_NS1_11comp_targetILNS1_3genE4ELNS1_11target_archE910ELNS1_3gpuE8ELNS1_3repE0EEENS1_30default_config_static_selectorELNS0_4arch9wavefront6targetE1EEEvSY_.has_indirect_call, 0
	.section	.AMDGPU.csdata,"",@progbits
; Kernel info:
; codeLenInByte = 0
; TotalNumSgprs: 4
; NumVgprs: 0
; ScratchSize: 0
; MemoryBound: 0
; FloatMode: 240
; IeeeMode: 1
; LDSByteSize: 0 bytes/workgroup (compile time only)
; SGPRBlocks: 0
; VGPRBlocks: 0
; NumSGPRsForWavesPerEU: 4
; NumVGPRsForWavesPerEU: 1
; Occupancy: 10
; WaveLimiterHint : 0
; COMPUTE_PGM_RSRC2:SCRATCH_EN: 0
; COMPUTE_PGM_RSRC2:USER_SGPR: 6
; COMPUTE_PGM_RSRC2:TRAP_HANDLER: 0
; COMPUTE_PGM_RSRC2:TGID_X_EN: 1
; COMPUTE_PGM_RSRC2:TGID_Y_EN: 0
; COMPUTE_PGM_RSRC2:TGID_Z_EN: 0
; COMPUTE_PGM_RSRC2:TIDIG_COMP_CNT: 0
	.section	.text._ZN7rocprim17ROCPRIM_400000_NS6detail17trampoline_kernelINS0_13select_configILj256ELj13ELNS0_17block_load_methodE3ELS4_3ELS4_3ELNS0_20block_scan_algorithmE0ELj4294967295EEENS1_25partition_config_selectorILNS1_17partition_subalgoE3EjNS0_10empty_typeEbEEZZNS1_14partition_implILS8_3ELb0ES6_jNS0_17counting_iteratorIjlEEPS9_SE_NS0_5tupleIJPjSE_EEENSF_IJSE_SE_EEES9_SG_JZNS1_25segmented_radix_sort_implINS0_14default_configELb0EPKhPhPKlPlN2at6native12_GLOBAL__N_18offset_tEEE10hipError_tPvRmT1_PNSt15iterator_traitsISY_E10value_typeET2_T3_PNSZ_IS14_E10value_typeET4_jRbjT5_S1A_jjP12ihipStream_tbEUljE_EEESV_SW_SX_S14_S18_S1A_T6_T7_T9_mT8_S1C_bDpT10_ENKUlT_T0_E_clISt17integral_constantIbLb1EES1O_IbLb0EEEEDaS1K_S1L_EUlS1K_E_NS1_11comp_targetILNS1_3genE3ELNS1_11target_archE908ELNS1_3gpuE7ELNS1_3repE0EEENS1_30default_config_static_selectorELNS0_4arch9wavefront6targetE1EEEvSY_,"axG",@progbits,_ZN7rocprim17ROCPRIM_400000_NS6detail17trampoline_kernelINS0_13select_configILj256ELj13ELNS0_17block_load_methodE3ELS4_3ELS4_3ELNS0_20block_scan_algorithmE0ELj4294967295EEENS1_25partition_config_selectorILNS1_17partition_subalgoE3EjNS0_10empty_typeEbEEZZNS1_14partition_implILS8_3ELb0ES6_jNS0_17counting_iteratorIjlEEPS9_SE_NS0_5tupleIJPjSE_EEENSF_IJSE_SE_EEES9_SG_JZNS1_25segmented_radix_sort_implINS0_14default_configELb0EPKhPhPKlPlN2at6native12_GLOBAL__N_18offset_tEEE10hipError_tPvRmT1_PNSt15iterator_traitsISY_E10value_typeET2_T3_PNSZ_IS14_E10value_typeET4_jRbjT5_S1A_jjP12ihipStream_tbEUljE_EEESV_SW_SX_S14_S18_S1A_T6_T7_T9_mT8_S1C_bDpT10_ENKUlT_T0_E_clISt17integral_constantIbLb1EES1O_IbLb0EEEEDaS1K_S1L_EUlS1K_E_NS1_11comp_targetILNS1_3genE3ELNS1_11target_archE908ELNS1_3gpuE7ELNS1_3repE0EEENS1_30default_config_static_selectorELNS0_4arch9wavefront6targetE1EEEvSY_,comdat
	.globl	_ZN7rocprim17ROCPRIM_400000_NS6detail17trampoline_kernelINS0_13select_configILj256ELj13ELNS0_17block_load_methodE3ELS4_3ELS4_3ELNS0_20block_scan_algorithmE0ELj4294967295EEENS1_25partition_config_selectorILNS1_17partition_subalgoE3EjNS0_10empty_typeEbEEZZNS1_14partition_implILS8_3ELb0ES6_jNS0_17counting_iteratorIjlEEPS9_SE_NS0_5tupleIJPjSE_EEENSF_IJSE_SE_EEES9_SG_JZNS1_25segmented_radix_sort_implINS0_14default_configELb0EPKhPhPKlPlN2at6native12_GLOBAL__N_18offset_tEEE10hipError_tPvRmT1_PNSt15iterator_traitsISY_E10value_typeET2_T3_PNSZ_IS14_E10value_typeET4_jRbjT5_S1A_jjP12ihipStream_tbEUljE_EEESV_SW_SX_S14_S18_S1A_T6_T7_T9_mT8_S1C_bDpT10_ENKUlT_T0_E_clISt17integral_constantIbLb1EES1O_IbLb0EEEEDaS1K_S1L_EUlS1K_E_NS1_11comp_targetILNS1_3genE3ELNS1_11target_archE908ELNS1_3gpuE7ELNS1_3repE0EEENS1_30default_config_static_selectorELNS0_4arch9wavefront6targetE1EEEvSY_ ; -- Begin function _ZN7rocprim17ROCPRIM_400000_NS6detail17trampoline_kernelINS0_13select_configILj256ELj13ELNS0_17block_load_methodE3ELS4_3ELS4_3ELNS0_20block_scan_algorithmE0ELj4294967295EEENS1_25partition_config_selectorILNS1_17partition_subalgoE3EjNS0_10empty_typeEbEEZZNS1_14partition_implILS8_3ELb0ES6_jNS0_17counting_iteratorIjlEEPS9_SE_NS0_5tupleIJPjSE_EEENSF_IJSE_SE_EEES9_SG_JZNS1_25segmented_radix_sort_implINS0_14default_configELb0EPKhPhPKlPlN2at6native12_GLOBAL__N_18offset_tEEE10hipError_tPvRmT1_PNSt15iterator_traitsISY_E10value_typeET2_T3_PNSZ_IS14_E10value_typeET4_jRbjT5_S1A_jjP12ihipStream_tbEUljE_EEESV_SW_SX_S14_S18_S1A_T6_T7_T9_mT8_S1C_bDpT10_ENKUlT_T0_E_clISt17integral_constantIbLb1EES1O_IbLb0EEEEDaS1K_S1L_EUlS1K_E_NS1_11comp_targetILNS1_3genE3ELNS1_11target_archE908ELNS1_3gpuE7ELNS1_3repE0EEENS1_30default_config_static_selectorELNS0_4arch9wavefront6targetE1EEEvSY_
	.p2align	8
	.type	_ZN7rocprim17ROCPRIM_400000_NS6detail17trampoline_kernelINS0_13select_configILj256ELj13ELNS0_17block_load_methodE3ELS4_3ELS4_3ELNS0_20block_scan_algorithmE0ELj4294967295EEENS1_25partition_config_selectorILNS1_17partition_subalgoE3EjNS0_10empty_typeEbEEZZNS1_14partition_implILS8_3ELb0ES6_jNS0_17counting_iteratorIjlEEPS9_SE_NS0_5tupleIJPjSE_EEENSF_IJSE_SE_EEES9_SG_JZNS1_25segmented_radix_sort_implINS0_14default_configELb0EPKhPhPKlPlN2at6native12_GLOBAL__N_18offset_tEEE10hipError_tPvRmT1_PNSt15iterator_traitsISY_E10value_typeET2_T3_PNSZ_IS14_E10value_typeET4_jRbjT5_S1A_jjP12ihipStream_tbEUljE_EEESV_SW_SX_S14_S18_S1A_T6_T7_T9_mT8_S1C_bDpT10_ENKUlT_T0_E_clISt17integral_constantIbLb1EES1O_IbLb0EEEEDaS1K_S1L_EUlS1K_E_NS1_11comp_targetILNS1_3genE3ELNS1_11target_archE908ELNS1_3gpuE7ELNS1_3repE0EEENS1_30default_config_static_selectorELNS0_4arch9wavefront6targetE1EEEvSY_,@function
_ZN7rocprim17ROCPRIM_400000_NS6detail17trampoline_kernelINS0_13select_configILj256ELj13ELNS0_17block_load_methodE3ELS4_3ELS4_3ELNS0_20block_scan_algorithmE0ELj4294967295EEENS1_25partition_config_selectorILNS1_17partition_subalgoE3EjNS0_10empty_typeEbEEZZNS1_14partition_implILS8_3ELb0ES6_jNS0_17counting_iteratorIjlEEPS9_SE_NS0_5tupleIJPjSE_EEENSF_IJSE_SE_EEES9_SG_JZNS1_25segmented_radix_sort_implINS0_14default_configELb0EPKhPhPKlPlN2at6native12_GLOBAL__N_18offset_tEEE10hipError_tPvRmT1_PNSt15iterator_traitsISY_E10value_typeET2_T3_PNSZ_IS14_E10value_typeET4_jRbjT5_S1A_jjP12ihipStream_tbEUljE_EEESV_SW_SX_S14_S18_S1A_T6_T7_T9_mT8_S1C_bDpT10_ENKUlT_T0_E_clISt17integral_constantIbLb1EES1O_IbLb0EEEEDaS1K_S1L_EUlS1K_E_NS1_11comp_targetILNS1_3genE3ELNS1_11target_archE908ELNS1_3gpuE7ELNS1_3repE0EEENS1_30default_config_static_selectorELNS0_4arch9wavefront6targetE1EEEvSY_: ; @_ZN7rocprim17ROCPRIM_400000_NS6detail17trampoline_kernelINS0_13select_configILj256ELj13ELNS0_17block_load_methodE3ELS4_3ELS4_3ELNS0_20block_scan_algorithmE0ELj4294967295EEENS1_25partition_config_selectorILNS1_17partition_subalgoE3EjNS0_10empty_typeEbEEZZNS1_14partition_implILS8_3ELb0ES6_jNS0_17counting_iteratorIjlEEPS9_SE_NS0_5tupleIJPjSE_EEENSF_IJSE_SE_EEES9_SG_JZNS1_25segmented_radix_sort_implINS0_14default_configELb0EPKhPhPKlPlN2at6native12_GLOBAL__N_18offset_tEEE10hipError_tPvRmT1_PNSt15iterator_traitsISY_E10value_typeET2_T3_PNSZ_IS14_E10value_typeET4_jRbjT5_S1A_jjP12ihipStream_tbEUljE_EEESV_SW_SX_S14_S18_S1A_T6_T7_T9_mT8_S1C_bDpT10_ENKUlT_T0_E_clISt17integral_constantIbLb1EES1O_IbLb0EEEEDaS1K_S1L_EUlS1K_E_NS1_11comp_targetILNS1_3genE3ELNS1_11target_archE908ELNS1_3gpuE7ELNS1_3repE0EEENS1_30default_config_static_selectorELNS0_4arch9wavefront6targetE1EEEvSY_
; %bb.0:
	.section	.rodata,"a",@progbits
	.p2align	6, 0x0
	.amdhsa_kernel _ZN7rocprim17ROCPRIM_400000_NS6detail17trampoline_kernelINS0_13select_configILj256ELj13ELNS0_17block_load_methodE3ELS4_3ELS4_3ELNS0_20block_scan_algorithmE0ELj4294967295EEENS1_25partition_config_selectorILNS1_17partition_subalgoE3EjNS0_10empty_typeEbEEZZNS1_14partition_implILS8_3ELb0ES6_jNS0_17counting_iteratorIjlEEPS9_SE_NS0_5tupleIJPjSE_EEENSF_IJSE_SE_EEES9_SG_JZNS1_25segmented_radix_sort_implINS0_14default_configELb0EPKhPhPKlPlN2at6native12_GLOBAL__N_18offset_tEEE10hipError_tPvRmT1_PNSt15iterator_traitsISY_E10value_typeET2_T3_PNSZ_IS14_E10value_typeET4_jRbjT5_S1A_jjP12ihipStream_tbEUljE_EEESV_SW_SX_S14_S18_S1A_T6_T7_T9_mT8_S1C_bDpT10_ENKUlT_T0_E_clISt17integral_constantIbLb1EES1O_IbLb0EEEEDaS1K_S1L_EUlS1K_E_NS1_11comp_targetILNS1_3genE3ELNS1_11target_archE908ELNS1_3gpuE7ELNS1_3repE0EEENS1_30default_config_static_selectorELNS0_4arch9wavefront6targetE1EEEvSY_
		.amdhsa_group_segment_fixed_size 0
		.amdhsa_private_segment_fixed_size 0
		.amdhsa_kernarg_size 144
		.amdhsa_user_sgpr_count 6
		.amdhsa_user_sgpr_private_segment_buffer 1
		.amdhsa_user_sgpr_dispatch_ptr 0
		.amdhsa_user_sgpr_queue_ptr 0
		.amdhsa_user_sgpr_kernarg_segment_ptr 1
		.amdhsa_user_sgpr_dispatch_id 0
		.amdhsa_user_sgpr_flat_scratch_init 0
		.amdhsa_user_sgpr_private_segment_size 0
		.amdhsa_uses_dynamic_stack 0
		.amdhsa_system_sgpr_private_segment_wavefront_offset 0
		.amdhsa_system_sgpr_workgroup_id_x 1
		.amdhsa_system_sgpr_workgroup_id_y 0
		.amdhsa_system_sgpr_workgroup_id_z 0
		.amdhsa_system_sgpr_workgroup_info 0
		.amdhsa_system_vgpr_workitem_id 0
		.amdhsa_next_free_vgpr 1
		.amdhsa_next_free_sgpr 0
		.amdhsa_reserve_vcc 0
		.amdhsa_reserve_flat_scratch 0
		.amdhsa_float_round_mode_32 0
		.amdhsa_float_round_mode_16_64 0
		.amdhsa_float_denorm_mode_32 3
		.amdhsa_float_denorm_mode_16_64 3
		.amdhsa_dx10_clamp 1
		.amdhsa_ieee_mode 1
		.amdhsa_fp16_overflow 0
		.amdhsa_exception_fp_ieee_invalid_op 0
		.amdhsa_exception_fp_denorm_src 0
		.amdhsa_exception_fp_ieee_div_zero 0
		.amdhsa_exception_fp_ieee_overflow 0
		.amdhsa_exception_fp_ieee_underflow 0
		.amdhsa_exception_fp_ieee_inexact 0
		.amdhsa_exception_int_div_zero 0
	.end_amdhsa_kernel
	.section	.text._ZN7rocprim17ROCPRIM_400000_NS6detail17trampoline_kernelINS0_13select_configILj256ELj13ELNS0_17block_load_methodE3ELS4_3ELS4_3ELNS0_20block_scan_algorithmE0ELj4294967295EEENS1_25partition_config_selectorILNS1_17partition_subalgoE3EjNS0_10empty_typeEbEEZZNS1_14partition_implILS8_3ELb0ES6_jNS0_17counting_iteratorIjlEEPS9_SE_NS0_5tupleIJPjSE_EEENSF_IJSE_SE_EEES9_SG_JZNS1_25segmented_radix_sort_implINS0_14default_configELb0EPKhPhPKlPlN2at6native12_GLOBAL__N_18offset_tEEE10hipError_tPvRmT1_PNSt15iterator_traitsISY_E10value_typeET2_T3_PNSZ_IS14_E10value_typeET4_jRbjT5_S1A_jjP12ihipStream_tbEUljE_EEESV_SW_SX_S14_S18_S1A_T6_T7_T9_mT8_S1C_bDpT10_ENKUlT_T0_E_clISt17integral_constantIbLb1EES1O_IbLb0EEEEDaS1K_S1L_EUlS1K_E_NS1_11comp_targetILNS1_3genE3ELNS1_11target_archE908ELNS1_3gpuE7ELNS1_3repE0EEENS1_30default_config_static_selectorELNS0_4arch9wavefront6targetE1EEEvSY_,"axG",@progbits,_ZN7rocprim17ROCPRIM_400000_NS6detail17trampoline_kernelINS0_13select_configILj256ELj13ELNS0_17block_load_methodE3ELS4_3ELS4_3ELNS0_20block_scan_algorithmE0ELj4294967295EEENS1_25partition_config_selectorILNS1_17partition_subalgoE3EjNS0_10empty_typeEbEEZZNS1_14partition_implILS8_3ELb0ES6_jNS0_17counting_iteratorIjlEEPS9_SE_NS0_5tupleIJPjSE_EEENSF_IJSE_SE_EEES9_SG_JZNS1_25segmented_radix_sort_implINS0_14default_configELb0EPKhPhPKlPlN2at6native12_GLOBAL__N_18offset_tEEE10hipError_tPvRmT1_PNSt15iterator_traitsISY_E10value_typeET2_T3_PNSZ_IS14_E10value_typeET4_jRbjT5_S1A_jjP12ihipStream_tbEUljE_EEESV_SW_SX_S14_S18_S1A_T6_T7_T9_mT8_S1C_bDpT10_ENKUlT_T0_E_clISt17integral_constantIbLb1EES1O_IbLb0EEEEDaS1K_S1L_EUlS1K_E_NS1_11comp_targetILNS1_3genE3ELNS1_11target_archE908ELNS1_3gpuE7ELNS1_3repE0EEENS1_30default_config_static_selectorELNS0_4arch9wavefront6targetE1EEEvSY_,comdat
.Lfunc_end173:
	.size	_ZN7rocprim17ROCPRIM_400000_NS6detail17trampoline_kernelINS0_13select_configILj256ELj13ELNS0_17block_load_methodE3ELS4_3ELS4_3ELNS0_20block_scan_algorithmE0ELj4294967295EEENS1_25partition_config_selectorILNS1_17partition_subalgoE3EjNS0_10empty_typeEbEEZZNS1_14partition_implILS8_3ELb0ES6_jNS0_17counting_iteratorIjlEEPS9_SE_NS0_5tupleIJPjSE_EEENSF_IJSE_SE_EEES9_SG_JZNS1_25segmented_radix_sort_implINS0_14default_configELb0EPKhPhPKlPlN2at6native12_GLOBAL__N_18offset_tEEE10hipError_tPvRmT1_PNSt15iterator_traitsISY_E10value_typeET2_T3_PNSZ_IS14_E10value_typeET4_jRbjT5_S1A_jjP12ihipStream_tbEUljE_EEESV_SW_SX_S14_S18_S1A_T6_T7_T9_mT8_S1C_bDpT10_ENKUlT_T0_E_clISt17integral_constantIbLb1EES1O_IbLb0EEEEDaS1K_S1L_EUlS1K_E_NS1_11comp_targetILNS1_3genE3ELNS1_11target_archE908ELNS1_3gpuE7ELNS1_3repE0EEENS1_30default_config_static_selectorELNS0_4arch9wavefront6targetE1EEEvSY_, .Lfunc_end173-_ZN7rocprim17ROCPRIM_400000_NS6detail17trampoline_kernelINS0_13select_configILj256ELj13ELNS0_17block_load_methodE3ELS4_3ELS4_3ELNS0_20block_scan_algorithmE0ELj4294967295EEENS1_25partition_config_selectorILNS1_17partition_subalgoE3EjNS0_10empty_typeEbEEZZNS1_14partition_implILS8_3ELb0ES6_jNS0_17counting_iteratorIjlEEPS9_SE_NS0_5tupleIJPjSE_EEENSF_IJSE_SE_EEES9_SG_JZNS1_25segmented_radix_sort_implINS0_14default_configELb0EPKhPhPKlPlN2at6native12_GLOBAL__N_18offset_tEEE10hipError_tPvRmT1_PNSt15iterator_traitsISY_E10value_typeET2_T3_PNSZ_IS14_E10value_typeET4_jRbjT5_S1A_jjP12ihipStream_tbEUljE_EEESV_SW_SX_S14_S18_S1A_T6_T7_T9_mT8_S1C_bDpT10_ENKUlT_T0_E_clISt17integral_constantIbLb1EES1O_IbLb0EEEEDaS1K_S1L_EUlS1K_E_NS1_11comp_targetILNS1_3genE3ELNS1_11target_archE908ELNS1_3gpuE7ELNS1_3repE0EEENS1_30default_config_static_selectorELNS0_4arch9wavefront6targetE1EEEvSY_
                                        ; -- End function
	.set _ZN7rocprim17ROCPRIM_400000_NS6detail17trampoline_kernelINS0_13select_configILj256ELj13ELNS0_17block_load_methodE3ELS4_3ELS4_3ELNS0_20block_scan_algorithmE0ELj4294967295EEENS1_25partition_config_selectorILNS1_17partition_subalgoE3EjNS0_10empty_typeEbEEZZNS1_14partition_implILS8_3ELb0ES6_jNS0_17counting_iteratorIjlEEPS9_SE_NS0_5tupleIJPjSE_EEENSF_IJSE_SE_EEES9_SG_JZNS1_25segmented_radix_sort_implINS0_14default_configELb0EPKhPhPKlPlN2at6native12_GLOBAL__N_18offset_tEEE10hipError_tPvRmT1_PNSt15iterator_traitsISY_E10value_typeET2_T3_PNSZ_IS14_E10value_typeET4_jRbjT5_S1A_jjP12ihipStream_tbEUljE_EEESV_SW_SX_S14_S18_S1A_T6_T7_T9_mT8_S1C_bDpT10_ENKUlT_T0_E_clISt17integral_constantIbLb1EES1O_IbLb0EEEEDaS1K_S1L_EUlS1K_E_NS1_11comp_targetILNS1_3genE3ELNS1_11target_archE908ELNS1_3gpuE7ELNS1_3repE0EEENS1_30default_config_static_selectorELNS0_4arch9wavefront6targetE1EEEvSY_.num_vgpr, 0
	.set _ZN7rocprim17ROCPRIM_400000_NS6detail17trampoline_kernelINS0_13select_configILj256ELj13ELNS0_17block_load_methodE3ELS4_3ELS4_3ELNS0_20block_scan_algorithmE0ELj4294967295EEENS1_25partition_config_selectorILNS1_17partition_subalgoE3EjNS0_10empty_typeEbEEZZNS1_14partition_implILS8_3ELb0ES6_jNS0_17counting_iteratorIjlEEPS9_SE_NS0_5tupleIJPjSE_EEENSF_IJSE_SE_EEES9_SG_JZNS1_25segmented_radix_sort_implINS0_14default_configELb0EPKhPhPKlPlN2at6native12_GLOBAL__N_18offset_tEEE10hipError_tPvRmT1_PNSt15iterator_traitsISY_E10value_typeET2_T3_PNSZ_IS14_E10value_typeET4_jRbjT5_S1A_jjP12ihipStream_tbEUljE_EEESV_SW_SX_S14_S18_S1A_T6_T7_T9_mT8_S1C_bDpT10_ENKUlT_T0_E_clISt17integral_constantIbLb1EES1O_IbLb0EEEEDaS1K_S1L_EUlS1K_E_NS1_11comp_targetILNS1_3genE3ELNS1_11target_archE908ELNS1_3gpuE7ELNS1_3repE0EEENS1_30default_config_static_selectorELNS0_4arch9wavefront6targetE1EEEvSY_.num_agpr, 0
	.set _ZN7rocprim17ROCPRIM_400000_NS6detail17trampoline_kernelINS0_13select_configILj256ELj13ELNS0_17block_load_methodE3ELS4_3ELS4_3ELNS0_20block_scan_algorithmE0ELj4294967295EEENS1_25partition_config_selectorILNS1_17partition_subalgoE3EjNS0_10empty_typeEbEEZZNS1_14partition_implILS8_3ELb0ES6_jNS0_17counting_iteratorIjlEEPS9_SE_NS0_5tupleIJPjSE_EEENSF_IJSE_SE_EEES9_SG_JZNS1_25segmented_radix_sort_implINS0_14default_configELb0EPKhPhPKlPlN2at6native12_GLOBAL__N_18offset_tEEE10hipError_tPvRmT1_PNSt15iterator_traitsISY_E10value_typeET2_T3_PNSZ_IS14_E10value_typeET4_jRbjT5_S1A_jjP12ihipStream_tbEUljE_EEESV_SW_SX_S14_S18_S1A_T6_T7_T9_mT8_S1C_bDpT10_ENKUlT_T0_E_clISt17integral_constantIbLb1EES1O_IbLb0EEEEDaS1K_S1L_EUlS1K_E_NS1_11comp_targetILNS1_3genE3ELNS1_11target_archE908ELNS1_3gpuE7ELNS1_3repE0EEENS1_30default_config_static_selectorELNS0_4arch9wavefront6targetE1EEEvSY_.numbered_sgpr, 0
	.set _ZN7rocprim17ROCPRIM_400000_NS6detail17trampoline_kernelINS0_13select_configILj256ELj13ELNS0_17block_load_methodE3ELS4_3ELS4_3ELNS0_20block_scan_algorithmE0ELj4294967295EEENS1_25partition_config_selectorILNS1_17partition_subalgoE3EjNS0_10empty_typeEbEEZZNS1_14partition_implILS8_3ELb0ES6_jNS0_17counting_iteratorIjlEEPS9_SE_NS0_5tupleIJPjSE_EEENSF_IJSE_SE_EEES9_SG_JZNS1_25segmented_radix_sort_implINS0_14default_configELb0EPKhPhPKlPlN2at6native12_GLOBAL__N_18offset_tEEE10hipError_tPvRmT1_PNSt15iterator_traitsISY_E10value_typeET2_T3_PNSZ_IS14_E10value_typeET4_jRbjT5_S1A_jjP12ihipStream_tbEUljE_EEESV_SW_SX_S14_S18_S1A_T6_T7_T9_mT8_S1C_bDpT10_ENKUlT_T0_E_clISt17integral_constantIbLb1EES1O_IbLb0EEEEDaS1K_S1L_EUlS1K_E_NS1_11comp_targetILNS1_3genE3ELNS1_11target_archE908ELNS1_3gpuE7ELNS1_3repE0EEENS1_30default_config_static_selectorELNS0_4arch9wavefront6targetE1EEEvSY_.num_named_barrier, 0
	.set _ZN7rocprim17ROCPRIM_400000_NS6detail17trampoline_kernelINS0_13select_configILj256ELj13ELNS0_17block_load_methodE3ELS4_3ELS4_3ELNS0_20block_scan_algorithmE0ELj4294967295EEENS1_25partition_config_selectorILNS1_17partition_subalgoE3EjNS0_10empty_typeEbEEZZNS1_14partition_implILS8_3ELb0ES6_jNS0_17counting_iteratorIjlEEPS9_SE_NS0_5tupleIJPjSE_EEENSF_IJSE_SE_EEES9_SG_JZNS1_25segmented_radix_sort_implINS0_14default_configELb0EPKhPhPKlPlN2at6native12_GLOBAL__N_18offset_tEEE10hipError_tPvRmT1_PNSt15iterator_traitsISY_E10value_typeET2_T3_PNSZ_IS14_E10value_typeET4_jRbjT5_S1A_jjP12ihipStream_tbEUljE_EEESV_SW_SX_S14_S18_S1A_T6_T7_T9_mT8_S1C_bDpT10_ENKUlT_T0_E_clISt17integral_constantIbLb1EES1O_IbLb0EEEEDaS1K_S1L_EUlS1K_E_NS1_11comp_targetILNS1_3genE3ELNS1_11target_archE908ELNS1_3gpuE7ELNS1_3repE0EEENS1_30default_config_static_selectorELNS0_4arch9wavefront6targetE1EEEvSY_.private_seg_size, 0
	.set _ZN7rocprim17ROCPRIM_400000_NS6detail17trampoline_kernelINS0_13select_configILj256ELj13ELNS0_17block_load_methodE3ELS4_3ELS4_3ELNS0_20block_scan_algorithmE0ELj4294967295EEENS1_25partition_config_selectorILNS1_17partition_subalgoE3EjNS0_10empty_typeEbEEZZNS1_14partition_implILS8_3ELb0ES6_jNS0_17counting_iteratorIjlEEPS9_SE_NS0_5tupleIJPjSE_EEENSF_IJSE_SE_EEES9_SG_JZNS1_25segmented_radix_sort_implINS0_14default_configELb0EPKhPhPKlPlN2at6native12_GLOBAL__N_18offset_tEEE10hipError_tPvRmT1_PNSt15iterator_traitsISY_E10value_typeET2_T3_PNSZ_IS14_E10value_typeET4_jRbjT5_S1A_jjP12ihipStream_tbEUljE_EEESV_SW_SX_S14_S18_S1A_T6_T7_T9_mT8_S1C_bDpT10_ENKUlT_T0_E_clISt17integral_constantIbLb1EES1O_IbLb0EEEEDaS1K_S1L_EUlS1K_E_NS1_11comp_targetILNS1_3genE3ELNS1_11target_archE908ELNS1_3gpuE7ELNS1_3repE0EEENS1_30default_config_static_selectorELNS0_4arch9wavefront6targetE1EEEvSY_.uses_vcc, 0
	.set _ZN7rocprim17ROCPRIM_400000_NS6detail17trampoline_kernelINS0_13select_configILj256ELj13ELNS0_17block_load_methodE3ELS4_3ELS4_3ELNS0_20block_scan_algorithmE0ELj4294967295EEENS1_25partition_config_selectorILNS1_17partition_subalgoE3EjNS0_10empty_typeEbEEZZNS1_14partition_implILS8_3ELb0ES6_jNS0_17counting_iteratorIjlEEPS9_SE_NS0_5tupleIJPjSE_EEENSF_IJSE_SE_EEES9_SG_JZNS1_25segmented_radix_sort_implINS0_14default_configELb0EPKhPhPKlPlN2at6native12_GLOBAL__N_18offset_tEEE10hipError_tPvRmT1_PNSt15iterator_traitsISY_E10value_typeET2_T3_PNSZ_IS14_E10value_typeET4_jRbjT5_S1A_jjP12ihipStream_tbEUljE_EEESV_SW_SX_S14_S18_S1A_T6_T7_T9_mT8_S1C_bDpT10_ENKUlT_T0_E_clISt17integral_constantIbLb1EES1O_IbLb0EEEEDaS1K_S1L_EUlS1K_E_NS1_11comp_targetILNS1_3genE3ELNS1_11target_archE908ELNS1_3gpuE7ELNS1_3repE0EEENS1_30default_config_static_selectorELNS0_4arch9wavefront6targetE1EEEvSY_.uses_flat_scratch, 0
	.set _ZN7rocprim17ROCPRIM_400000_NS6detail17trampoline_kernelINS0_13select_configILj256ELj13ELNS0_17block_load_methodE3ELS4_3ELS4_3ELNS0_20block_scan_algorithmE0ELj4294967295EEENS1_25partition_config_selectorILNS1_17partition_subalgoE3EjNS0_10empty_typeEbEEZZNS1_14partition_implILS8_3ELb0ES6_jNS0_17counting_iteratorIjlEEPS9_SE_NS0_5tupleIJPjSE_EEENSF_IJSE_SE_EEES9_SG_JZNS1_25segmented_radix_sort_implINS0_14default_configELb0EPKhPhPKlPlN2at6native12_GLOBAL__N_18offset_tEEE10hipError_tPvRmT1_PNSt15iterator_traitsISY_E10value_typeET2_T3_PNSZ_IS14_E10value_typeET4_jRbjT5_S1A_jjP12ihipStream_tbEUljE_EEESV_SW_SX_S14_S18_S1A_T6_T7_T9_mT8_S1C_bDpT10_ENKUlT_T0_E_clISt17integral_constantIbLb1EES1O_IbLb0EEEEDaS1K_S1L_EUlS1K_E_NS1_11comp_targetILNS1_3genE3ELNS1_11target_archE908ELNS1_3gpuE7ELNS1_3repE0EEENS1_30default_config_static_selectorELNS0_4arch9wavefront6targetE1EEEvSY_.has_dyn_sized_stack, 0
	.set _ZN7rocprim17ROCPRIM_400000_NS6detail17trampoline_kernelINS0_13select_configILj256ELj13ELNS0_17block_load_methodE3ELS4_3ELS4_3ELNS0_20block_scan_algorithmE0ELj4294967295EEENS1_25partition_config_selectorILNS1_17partition_subalgoE3EjNS0_10empty_typeEbEEZZNS1_14partition_implILS8_3ELb0ES6_jNS0_17counting_iteratorIjlEEPS9_SE_NS0_5tupleIJPjSE_EEENSF_IJSE_SE_EEES9_SG_JZNS1_25segmented_radix_sort_implINS0_14default_configELb0EPKhPhPKlPlN2at6native12_GLOBAL__N_18offset_tEEE10hipError_tPvRmT1_PNSt15iterator_traitsISY_E10value_typeET2_T3_PNSZ_IS14_E10value_typeET4_jRbjT5_S1A_jjP12ihipStream_tbEUljE_EEESV_SW_SX_S14_S18_S1A_T6_T7_T9_mT8_S1C_bDpT10_ENKUlT_T0_E_clISt17integral_constantIbLb1EES1O_IbLb0EEEEDaS1K_S1L_EUlS1K_E_NS1_11comp_targetILNS1_3genE3ELNS1_11target_archE908ELNS1_3gpuE7ELNS1_3repE0EEENS1_30default_config_static_selectorELNS0_4arch9wavefront6targetE1EEEvSY_.has_recursion, 0
	.set _ZN7rocprim17ROCPRIM_400000_NS6detail17trampoline_kernelINS0_13select_configILj256ELj13ELNS0_17block_load_methodE3ELS4_3ELS4_3ELNS0_20block_scan_algorithmE0ELj4294967295EEENS1_25partition_config_selectorILNS1_17partition_subalgoE3EjNS0_10empty_typeEbEEZZNS1_14partition_implILS8_3ELb0ES6_jNS0_17counting_iteratorIjlEEPS9_SE_NS0_5tupleIJPjSE_EEENSF_IJSE_SE_EEES9_SG_JZNS1_25segmented_radix_sort_implINS0_14default_configELb0EPKhPhPKlPlN2at6native12_GLOBAL__N_18offset_tEEE10hipError_tPvRmT1_PNSt15iterator_traitsISY_E10value_typeET2_T3_PNSZ_IS14_E10value_typeET4_jRbjT5_S1A_jjP12ihipStream_tbEUljE_EEESV_SW_SX_S14_S18_S1A_T6_T7_T9_mT8_S1C_bDpT10_ENKUlT_T0_E_clISt17integral_constantIbLb1EES1O_IbLb0EEEEDaS1K_S1L_EUlS1K_E_NS1_11comp_targetILNS1_3genE3ELNS1_11target_archE908ELNS1_3gpuE7ELNS1_3repE0EEENS1_30default_config_static_selectorELNS0_4arch9wavefront6targetE1EEEvSY_.has_indirect_call, 0
	.section	.AMDGPU.csdata,"",@progbits
; Kernel info:
; codeLenInByte = 0
; TotalNumSgprs: 4
; NumVgprs: 0
; ScratchSize: 0
; MemoryBound: 0
; FloatMode: 240
; IeeeMode: 1
; LDSByteSize: 0 bytes/workgroup (compile time only)
; SGPRBlocks: 0
; VGPRBlocks: 0
; NumSGPRsForWavesPerEU: 4
; NumVGPRsForWavesPerEU: 1
; Occupancy: 10
; WaveLimiterHint : 0
; COMPUTE_PGM_RSRC2:SCRATCH_EN: 0
; COMPUTE_PGM_RSRC2:USER_SGPR: 6
; COMPUTE_PGM_RSRC2:TRAP_HANDLER: 0
; COMPUTE_PGM_RSRC2:TGID_X_EN: 1
; COMPUTE_PGM_RSRC2:TGID_Y_EN: 0
; COMPUTE_PGM_RSRC2:TGID_Z_EN: 0
; COMPUTE_PGM_RSRC2:TIDIG_COMP_CNT: 0
	.section	.text._ZN7rocprim17ROCPRIM_400000_NS6detail17trampoline_kernelINS0_13select_configILj256ELj13ELNS0_17block_load_methodE3ELS4_3ELS4_3ELNS0_20block_scan_algorithmE0ELj4294967295EEENS1_25partition_config_selectorILNS1_17partition_subalgoE3EjNS0_10empty_typeEbEEZZNS1_14partition_implILS8_3ELb0ES6_jNS0_17counting_iteratorIjlEEPS9_SE_NS0_5tupleIJPjSE_EEENSF_IJSE_SE_EEES9_SG_JZNS1_25segmented_radix_sort_implINS0_14default_configELb0EPKhPhPKlPlN2at6native12_GLOBAL__N_18offset_tEEE10hipError_tPvRmT1_PNSt15iterator_traitsISY_E10value_typeET2_T3_PNSZ_IS14_E10value_typeET4_jRbjT5_S1A_jjP12ihipStream_tbEUljE_EEESV_SW_SX_S14_S18_S1A_T6_T7_T9_mT8_S1C_bDpT10_ENKUlT_T0_E_clISt17integral_constantIbLb1EES1O_IbLb0EEEEDaS1K_S1L_EUlS1K_E_NS1_11comp_targetILNS1_3genE2ELNS1_11target_archE906ELNS1_3gpuE6ELNS1_3repE0EEENS1_30default_config_static_selectorELNS0_4arch9wavefront6targetE1EEEvSY_,"axG",@progbits,_ZN7rocprim17ROCPRIM_400000_NS6detail17trampoline_kernelINS0_13select_configILj256ELj13ELNS0_17block_load_methodE3ELS4_3ELS4_3ELNS0_20block_scan_algorithmE0ELj4294967295EEENS1_25partition_config_selectorILNS1_17partition_subalgoE3EjNS0_10empty_typeEbEEZZNS1_14partition_implILS8_3ELb0ES6_jNS0_17counting_iteratorIjlEEPS9_SE_NS0_5tupleIJPjSE_EEENSF_IJSE_SE_EEES9_SG_JZNS1_25segmented_radix_sort_implINS0_14default_configELb0EPKhPhPKlPlN2at6native12_GLOBAL__N_18offset_tEEE10hipError_tPvRmT1_PNSt15iterator_traitsISY_E10value_typeET2_T3_PNSZ_IS14_E10value_typeET4_jRbjT5_S1A_jjP12ihipStream_tbEUljE_EEESV_SW_SX_S14_S18_S1A_T6_T7_T9_mT8_S1C_bDpT10_ENKUlT_T0_E_clISt17integral_constantIbLb1EES1O_IbLb0EEEEDaS1K_S1L_EUlS1K_E_NS1_11comp_targetILNS1_3genE2ELNS1_11target_archE906ELNS1_3gpuE6ELNS1_3repE0EEENS1_30default_config_static_selectorELNS0_4arch9wavefront6targetE1EEEvSY_,comdat
	.globl	_ZN7rocprim17ROCPRIM_400000_NS6detail17trampoline_kernelINS0_13select_configILj256ELj13ELNS0_17block_load_methodE3ELS4_3ELS4_3ELNS0_20block_scan_algorithmE0ELj4294967295EEENS1_25partition_config_selectorILNS1_17partition_subalgoE3EjNS0_10empty_typeEbEEZZNS1_14partition_implILS8_3ELb0ES6_jNS0_17counting_iteratorIjlEEPS9_SE_NS0_5tupleIJPjSE_EEENSF_IJSE_SE_EEES9_SG_JZNS1_25segmented_radix_sort_implINS0_14default_configELb0EPKhPhPKlPlN2at6native12_GLOBAL__N_18offset_tEEE10hipError_tPvRmT1_PNSt15iterator_traitsISY_E10value_typeET2_T3_PNSZ_IS14_E10value_typeET4_jRbjT5_S1A_jjP12ihipStream_tbEUljE_EEESV_SW_SX_S14_S18_S1A_T6_T7_T9_mT8_S1C_bDpT10_ENKUlT_T0_E_clISt17integral_constantIbLb1EES1O_IbLb0EEEEDaS1K_S1L_EUlS1K_E_NS1_11comp_targetILNS1_3genE2ELNS1_11target_archE906ELNS1_3gpuE6ELNS1_3repE0EEENS1_30default_config_static_selectorELNS0_4arch9wavefront6targetE1EEEvSY_ ; -- Begin function _ZN7rocprim17ROCPRIM_400000_NS6detail17trampoline_kernelINS0_13select_configILj256ELj13ELNS0_17block_load_methodE3ELS4_3ELS4_3ELNS0_20block_scan_algorithmE0ELj4294967295EEENS1_25partition_config_selectorILNS1_17partition_subalgoE3EjNS0_10empty_typeEbEEZZNS1_14partition_implILS8_3ELb0ES6_jNS0_17counting_iteratorIjlEEPS9_SE_NS0_5tupleIJPjSE_EEENSF_IJSE_SE_EEES9_SG_JZNS1_25segmented_radix_sort_implINS0_14default_configELb0EPKhPhPKlPlN2at6native12_GLOBAL__N_18offset_tEEE10hipError_tPvRmT1_PNSt15iterator_traitsISY_E10value_typeET2_T3_PNSZ_IS14_E10value_typeET4_jRbjT5_S1A_jjP12ihipStream_tbEUljE_EEESV_SW_SX_S14_S18_S1A_T6_T7_T9_mT8_S1C_bDpT10_ENKUlT_T0_E_clISt17integral_constantIbLb1EES1O_IbLb0EEEEDaS1K_S1L_EUlS1K_E_NS1_11comp_targetILNS1_3genE2ELNS1_11target_archE906ELNS1_3gpuE6ELNS1_3repE0EEENS1_30default_config_static_selectorELNS0_4arch9wavefront6targetE1EEEvSY_
	.p2align	8
	.type	_ZN7rocprim17ROCPRIM_400000_NS6detail17trampoline_kernelINS0_13select_configILj256ELj13ELNS0_17block_load_methodE3ELS4_3ELS4_3ELNS0_20block_scan_algorithmE0ELj4294967295EEENS1_25partition_config_selectorILNS1_17partition_subalgoE3EjNS0_10empty_typeEbEEZZNS1_14partition_implILS8_3ELb0ES6_jNS0_17counting_iteratorIjlEEPS9_SE_NS0_5tupleIJPjSE_EEENSF_IJSE_SE_EEES9_SG_JZNS1_25segmented_radix_sort_implINS0_14default_configELb0EPKhPhPKlPlN2at6native12_GLOBAL__N_18offset_tEEE10hipError_tPvRmT1_PNSt15iterator_traitsISY_E10value_typeET2_T3_PNSZ_IS14_E10value_typeET4_jRbjT5_S1A_jjP12ihipStream_tbEUljE_EEESV_SW_SX_S14_S18_S1A_T6_T7_T9_mT8_S1C_bDpT10_ENKUlT_T0_E_clISt17integral_constantIbLb1EES1O_IbLb0EEEEDaS1K_S1L_EUlS1K_E_NS1_11comp_targetILNS1_3genE2ELNS1_11target_archE906ELNS1_3gpuE6ELNS1_3repE0EEENS1_30default_config_static_selectorELNS0_4arch9wavefront6targetE1EEEvSY_,@function
_ZN7rocprim17ROCPRIM_400000_NS6detail17trampoline_kernelINS0_13select_configILj256ELj13ELNS0_17block_load_methodE3ELS4_3ELS4_3ELNS0_20block_scan_algorithmE0ELj4294967295EEENS1_25partition_config_selectorILNS1_17partition_subalgoE3EjNS0_10empty_typeEbEEZZNS1_14partition_implILS8_3ELb0ES6_jNS0_17counting_iteratorIjlEEPS9_SE_NS0_5tupleIJPjSE_EEENSF_IJSE_SE_EEES9_SG_JZNS1_25segmented_radix_sort_implINS0_14default_configELb0EPKhPhPKlPlN2at6native12_GLOBAL__N_18offset_tEEE10hipError_tPvRmT1_PNSt15iterator_traitsISY_E10value_typeET2_T3_PNSZ_IS14_E10value_typeET4_jRbjT5_S1A_jjP12ihipStream_tbEUljE_EEESV_SW_SX_S14_S18_S1A_T6_T7_T9_mT8_S1C_bDpT10_ENKUlT_T0_E_clISt17integral_constantIbLb1EES1O_IbLb0EEEEDaS1K_S1L_EUlS1K_E_NS1_11comp_targetILNS1_3genE2ELNS1_11target_archE906ELNS1_3gpuE6ELNS1_3repE0EEENS1_30default_config_static_selectorELNS0_4arch9wavefront6targetE1EEEvSY_: ; @_ZN7rocprim17ROCPRIM_400000_NS6detail17trampoline_kernelINS0_13select_configILj256ELj13ELNS0_17block_load_methodE3ELS4_3ELS4_3ELNS0_20block_scan_algorithmE0ELj4294967295EEENS1_25partition_config_selectorILNS1_17partition_subalgoE3EjNS0_10empty_typeEbEEZZNS1_14partition_implILS8_3ELb0ES6_jNS0_17counting_iteratorIjlEEPS9_SE_NS0_5tupleIJPjSE_EEENSF_IJSE_SE_EEES9_SG_JZNS1_25segmented_radix_sort_implINS0_14default_configELb0EPKhPhPKlPlN2at6native12_GLOBAL__N_18offset_tEEE10hipError_tPvRmT1_PNSt15iterator_traitsISY_E10value_typeET2_T3_PNSZ_IS14_E10value_typeET4_jRbjT5_S1A_jjP12ihipStream_tbEUljE_EEESV_SW_SX_S14_S18_S1A_T6_T7_T9_mT8_S1C_bDpT10_ENKUlT_T0_E_clISt17integral_constantIbLb1EES1O_IbLb0EEEEDaS1K_S1L_EUlS1K_E_NS1_11comp_targetILNS1_3genE2ELNS1_11target_archE906ELNS1_3gpuE6ELNS1_3repE0EEENS1_30default_config_static_selectorELNS0_4arch9wavefront6targetE1EEEvSY_
; %bb.0:
	s_endpgm
	.section	.rodata,"a",@progbits
	.p2align	6, 0x0
	.amdhsa_kernel _ZN7rocprim17ROCPRIM_400000_NS6detail17trampoline_kernelINS0_13select_configILj256ELj13ELNS0_17block_load_methodE3ELS4_3ELS4_3ELNS0_20block_scan_algorithmE0ELj4294967295EEENS1_25partition_config_selectorILNS1_17partition_subalgoE3EjNS0_10empty_typeEbEEZZNS1_14partition_implILS8_3ELb0ES6_jNS0_17counting_iteratorIjlEEPS9_SE_NS0_5tupleIJPjSE_EEENSF_IJSE_SE_EEES9_SG_JZNS1_25segmented_radix_sort_implINS0_14default_configELb0EPKhPhPKlPlN2at6native12_GLOBAL__N_18offset_tEEE10hipError_tPvRmT1_PNSt15iterator_traitsISY_E10value_typeET2_T3_PNSZ_IS14_E10value_typeET4_jRbjT5_S1A_jjP12ihipStream_tbEUljE_EEESV_SW_SX_S14_S18_S1A_T6_T7_T9_mT8_S1C_bDpT10_ENKUlT_T0_E_clISt17integral_constantIbLb1EES1O_IbLb0EEEEDaS1K_S1L_EUlS1K_E_NS1_11comp_targetILNS1_3genE2ELNS1_11target_archE906ELNS1_3gpuE6ELNS1_3repE0EEENS1_30default_config_static_selectorELNS0_4arch9wavefront6targetE1EEEvSY_
		.amdhsa_group_segment_fixed_size 0
		.amdhsa_private_segment_fixed_size 0
		.amdhsa_kernarg_size 144
		.amdhsa_user_sgpr_count 6
		.amdhsa_user_sgpr_private_segment_buffer 1
		.amdhsa_user_sgpr_dispatch_ptr 0
		.amdhsa_user_sgpr_queue_ptr 0
		.amdhsa_user_sgpr_kernarg_segment_ptr 1
		.amdhsa_user_sgpr_dispatch_id 0
		.amdhsa_user_sgpr_flat_scratch_init 0
		.amdhsa_user_sgpr_private_segment_size 0
		.amdhsa_uses_dynamic_stack 0
		.amdhsa_system_sgpr_private_segment_wavefront_offset 0
		.amdhsa_system_sgpr_workgroup_id_x 1
		.amdhsa_system_sgpr_workgroup_id_y 0
		.amdhsa_system_sgpr_workgroup_id_z 0
		.amdhsa_system_sgpr_workgroup_info 0
		.amdhsa_system_vgpr_workitem_id 0
		.amdhsa_next_free_vgpr 1
		.amdhsa_next_free_sgpr 0
		.amdhsa_reserve_vcc 0
		.amdhsa_reserve_flat_scratch 0
		.amdhsa_float_round_mode_32 0
		.amdhsa_float_round_mode_16_64 0
		.amdhsa_float_denorm_mode_32 3
		.amdhsa_float_denorm_mode_16_64 3
		.amdhsa_dx10_clamp 1
		.amdhsa_ieee_mode 1
		.amdhsa_fp16_overflow 0
		.amdhsa_exception_fp_ieee_invalid_op 0
		.amdhsa_exception_fp_denorm_src 0
		.amdhsa_exception_fp_ieee_div_zero 0
		.amdhsa_exception_fp_ieee_overflow 0
		.amdhsa_exception_fp_ieee_underflow 0
		.amdhsa_exception_fp_ieee_inexact 0
		.amdhsa_exception_int_div_zero 0
	.end_amdhsa_kernel
	.section	.text._ZN7rocprim17ROCPRIM_400000_NS6detail17trampoline_kernelINS0_13select_configILj256ELj13ELNS0_17block_load_methodE3ELS4_3ELS4_3ELNS0_20block_scan_algorithmE0ELj4294967295EEENS1_25partition_config_selectorILNS1_17partition_subalgoE3EjNS0_10empty_typeEbEEZZNS1_14partition_implILS8_3ELb0ES6_jNS0_17counting_iteratorIjlEEPS9_SE_NS0_5tupleIJPjSE_EEENSF_IJSE_SE_EEES9_SG_JZNS1_25segmented_radix_sort_implINS0_14default_configELb0EPKhPhPKlPlN2at6native12_GLOBAL__N_18offset_tEEE10hipError_tPvRmT1_PNSt15iterator_traitsISY_E10value_typeET2_T3_PNSZ_IS14_E10value_typeET4_jRbjT5_S1A_jjP12ihipStream_tbEUljE_EEESV_SW_SX_S14_S18_S1A_T6_T7_T9_mT8_S1C_bDpT10_ENKUlT_T0_E_clISt17integral_constantIbLb1EES1O_IbLb0EEEEDaS1K_S1L_EUlS1K_E_NS1_11comp_targetILNS1_3genE2ELNS1_11target_archE906ELNS1_3gpuE6ELNS1_3repE0EEENS1_30default_config_static_selectorELNS0_4arch9wavefront6targetE1EEEvSY_,"axG",@progbits,_ZN7rocprim17ROCPRIM_400000_NS6detail17trampoline_kernelINS0_13select_configILj256ELj13ELNS0_17block_load_methodE3ELS4_3ELS4_3ELNS0_20block_scan_algorithmE0ELj4294967295EEENS1_25partition_config_selectorILNS1_17partition_subalgoE3EjNS0_10empty_typeEbEEZZNS1_14partition_implILS8_3ELb0ES6_jNS0_17counting_iteratorIjlEEPS9_SE_NS0_5tupleIJPjSE_EEENSF_IJSE_SE_EEES9_SG_JZNS1_25segmented_radix_sort_implINS0_14default_configELb0EPKhPhPKlPlN2at6native12_GLOBAL__N_18offset_tEEE10hipError_tPvRmT1_PNSt15iterator_traitsISY_E10value_typeET2_T3_PNSZ_IS14_E10value_typeET4_jRbjT5_S1A_jjP12ihipStream_tbEUljE_EEESV_SW_SX_S14_S18_S1A_T6_T7_T9_mT8_S1C_bDpT10_ENKUlT_T0_E_clISt17integral_constantIbLb1EES1O_IbLb0EEEEDaS1K_S1L_EUlS1K_E_NS1_11comp_targetILNS1_3genE2ELNS1_11target_archE906ELNS1_3gpuE6ELNS1_3repE0EEENS1_30default_config_static_selectorELNS0_4arch9wavefront6targetE1EEEvSY_,comdat
.Lfunc_end174:
	.size	_ZN7rocprim17ROCPRIM_400000_NS6detail17trampoline_kernelINS0_13select_configILj256ELj13ELNS0_17block_load_methodE3ELS4_3ELS4_3ELNS0_20block_scan_algorithmE0ELj4294967295EEENS1_25partition_config_selectorILNS1_17partition_subalgoE3EjNS0_10empty_typeEbEEZZNS1_14partition_implILS8_3ELb0ES6_jNS0_17counting_iteratorIjlEEPS9_SE_NS0_5tupleIJPjSE_EEENSF_IJSE_SE_EEES9_SG_JZNS1_25segmented_radix_sort_implINS0_14default_configELb0EPKhPhPKlPlN2at6native12_GLOBAL__N_18offset_tEEE10hipError_tPvRmT1_PNSt15iterator_traitsISY_E10value_typeET2_T3_PNSZ_IS14_E10value_typeET4_jRbjT5_S1A_jjP12ihipStream_tbEUljE_EEESV_SW_SX_S14_S18_S1A_T6_T7_T9_mT8_S1C_bDpT10_ENKUlT_T0_E_clISt17integral_constantIbLb1EES1O_IbLb0EEEEDaS1K_S1L_EUlS1K_E_NS1_11comp_targetILNS1_3genE2ELNS1_11target_archE906ELNS1_3gpuE6ELNS1_3repE0EEENS1_30default_config_static_selectorELNS0_4arch9wavefront6targetE1EEEvSY_, .Lfunc_end174-_ZN7rocprim17ROCPRIM_400000_NS6detail17trampoline_kernelINS0_13select_configILj256ELj13ELNS0_17block_load_methodE3ELS4_3ELS4_3ELNS0_20block_scan_algorithmE0ELj4294967295EEENS1_25partition_config_selectorILNS1_17partition_subalgoE3EjNS0_10empty_typeEbEEZZNS1_14partition_implILS8_3ELb0ES6_jNS0_17counting_iteratorIjlEEPS9_SE_NS0_5tupleIJPjSE_EEENSF_IJSE_SE_EEES9_SG_JZNS1_25segmented_radix_sort_implINS0_14default_configELb0EPKhPhPKlPlN2at6native12_GLOBAL__N_18offset_tEEE10hipError_tPvRmT1_PNSt15iterator_traitsISY_E10value_typeET2_T3_PNSZ_IS14_E10value_typeET4_jRbjT5_S1A_jjP12ihipStream_tbEUljE_EEESV_SW_SX_S14_S18_S1A_T6_T7_T9_mT8_S1C_bDpT10_ENKUlT_T0_E_clISt17integral_constantIbLb1EES1O_IbLb0EEEEDaS1K_S1L_EUlS1K_E_NS1_11comp_targetILNS1_3genE2ELNS1_11target_archE906ELNS1_3gpuE6ELNS1_3repE0EEENS1_30default_config_static_selectorELNS0_4arch9wavefront6targetE1EEEvSY_
                                        ; -- End function
	.set _ZN7rocprim17ROCPRIM_400000_NS6detail17trampoline_kernelINS0_13select_configILj256ELj13ELNS0_17block_load_methodE3ELS4_3ELS4_3ELNS0_20block_scan_algorithmE0ELj4294967295EEENS1_25partition_config_selectorILNS1_17partition_subalgoE3EjNS0_10empty_typeEbEEZZNS1_14partition_implILS8_3ELb0ES6_jNS0_17counting_iteratorIjlEEPS9_SE_NS0_5tupleIJPjSE_EEENSF_IJSE_SE_EEES9_SG_JZNS1_25segmented_radix_sort_implINS0_14default_configELb0EPKhPhPKlPlN2at6native12_GLOBAL__N_18offset_tEEE10hipError_tPvRmT1_PNSt15iterator_traitsISY_E10value_typeET2_T3_PNSZ_IS14_E10value_typeET4_jRbjT5_S1A_jjP12ihipStream_tbEUljE_EEESV_SW_SX_S14_S18_S1A_T6_T7_T9_mT8_S1C_bDpT10_ENKUlT_T0_E_clISt17integral_constantIbLb1EES1O_IbLb0EEEEDaS1K_S1L_EUlS1K_E_NS1_11comp_targetILNS1_3genE2ELNS1_11target_archE906ELNS1_3gpuE6ELNS1_3repE0EEENS1_30default_config_static_selectorELNS0_4arch9wavefront6targetE1EEEvSY_.num_vgpr, 0
	.set _ZN7rocprim17ROCPRIM_400000_NS6detail17trampoline_kernelINS0_13select_configILj256ELj13ELNS0_17block_load_methodE3ELS4_3ELS4_3ELNS0_20block_scan_algorithmE0ELj4294967295EEENS1_25partition_config_selectorILNS1_17partition_subalgoE3EjNS0_10empty_typeEbEEZZNS1_14partition_implILS8_3ELb0ES6_jNS0_17counting_iteratorIjlEEPS9_SE_NS0_5tupleIJPjSE_EEENSF_IJSE_SE_EEES9_SG_JZNS1_25segmented_radix_sort_implINS0_14default_configELb0EPKhPhPKlPlN2at6native12_GLOBAL__N_18offset_tEEE10hipError_tPvRmT1_PNSt15iterator_traitsISY_E10value_typeET2_T3_PNSZ_IS14_E10value_typeET4_jRbjT5_S1A_jjP12ihipStream_tbEUljE_EEESV_SW_SX_S14_S18_S1A_T6_T7_T9_mT8_S1C_bDpT10_ENKUlT_T0_E_clISt17integral_constantIbLb1EES1O_IbLb0EEEEDaS1K_S1L_EUlS1K_E_NS1_11comp_targetILNS1_3genE2ELNS1_11target_archE906ELNS1_3gpuE6ELNS1_3repE0EEENS1_30default_config_static_selectorELNS0_4arch9wavefront6targetE1EEEvSY_.num_agpr, 0
	.set _ZN7rocprim17ROCPRIM_400000_NS6detail17trampoline_kernelINS0_13select_configILj256ELj13ELNS0_17block_load_methodE3ELS4_3ELS4_3ELNS0_20block_scan_algorithmE0ELj4294967295EEENS1_25partition_config_selectorILNS1_17partition_subalgoE3EjNS0_10empty_typeEbEEZZNS1_14partition_implILS8_3ELb0ES6_jNS0_17counting_iteratorIjlEEPS9_SE_NS0_5tupleIJPjSE_EEENSF_IJSE_SE_EEES9_SG_JZNS1_25segmented_radix_sort_implINS0_14default_configELb0EPKhPhPKlPlN2at6native12_GLOBAL__N_18offset_tEEE10hipError_tPvRmT1_PNSt15iterator_traitsISY_E10value_typeET2_T3_PNSZ_IS14_E10value_typeET4_jRbjT5_S1A_jjP12ihipStream_tbEUljE_EEESV_SW_SX_S14_S18_S1A_T6_T7_T9_mT8_S1C_bDpT10_ENKUlT_T0_E_clISt17integral_constantIbLb1EES1O_IbLb0EEEEDaS1K_S1L_EUlS1K_E_NS1_11comp_targetILNS1_3genE2ELNS1_11target_archE906ELNS1_3gpuE6ELNS1_3repE0EEENS1_30default_config_static_selectorELNS0_4arch9wavefront6targetE1EEEvSY_.numbered_sgpr, 0
	.set _ZN7rocprim17ROCPRIM_400000_NS6detail17trampoline_kernelINS0_13select_configILj256ELj13ELNS0_17block_load_methodE3ELS4_3ELS4_3ELNS0_20block_scan_algorithmE0ELj4294967295EEENS1_25partition_config_selectorILNS1_17partition_subalgoE3EjNS0_10empty_typeEbEEZZNS1_14partition_implILS8_3ELb0ES6_jNS0_17counting_iteratorIjlEEPS9_SE_NS0_5tupleIJPjSE_EEENSF_IJSE_SE_EEES9_SG_JZNS1_25segmented_radix_sort_implINS0_14default_configELb0EPKhPhPKlPlN2at6native12_GLOBAL__N_18offset_tEEE10hipError_tPvRmT1_PNSt15iterator_traitsISY_E10value_typeET2_T3_PNSZ_IS14_E10value_typeET4_jRbjT5_S1A_jjP12ihipStream_tbEUljE_EEESV_SW_SX_S14_S18_S1A_T6_T7_T9_mT8_S1C_bDpT10_ENKUlT_T0_E_clISt17integral_constantIbLb1EES1O_IbLb0EEEEDaS1K_S1L_EUlS1K_E_NS1_11comp_targetILNS1_3genE2ELNS1_11target_archE906ELNS1_3gpuE6ELNS1_3repE0EEENS1_30default_config_static_selectorELNS0_4arch9wavefront6targetE1EEEvSY_.num_named_barrier, 0
	.set _ZN7rocprim17ROCPRIM_400000_NS6detail17trampoline_kernelINS0_13select_configILj256ELj13ELNS0_17block_load_methodE3ELS4_3ELS4_3ELNS0_20block_scan_algorithmE0ELj4294967295EEENS1_25partition_config_selectorILNS1_17partition_subalgoE3EjNS0_10empty_typeEbEEZZNS1_14partition_implILS8_3ELb0ES6_jNS0_17counting_iteratorIjlEEPS9_SE_NS0_5tupleIJPjSE_EEENSF_IJSE_SE_EEES9_SG_JZNS1_25segmented_radix_sort_implINS0_14default_configELb0EPKhPhPKlPlN2at6native12_GLOBAL__N_18offset_tEEE10hipError_tPvRmT1_PNSt15iterator_traitsISY_E10value_typeET2_T3_PNSZ_IS14_E10value_typeET4_jRbjT5_S1A_jjP12ihipStream_tbEUljE_EEESV_SW_SX_S14_S18_S1A_T6_T7_T9_mT8_S1C_bDpT10_ENKUlT_T0_E_clISt17integral_constantIbLb1EES1O_IbLb0EEEEDaS1K_S1L_EUlS1K_E_NS1_11comp_targetILNS1_3genE2ELNS1_11target_archE906ELNS1_3gpuE6ELNS1_3repE0EEENS1_30default_config_static_selectorELNS0_4arch9wavefront6targetE1EEEvSY_.private_seg_size, 0
	.set _ZN7rocprim17ROCPRIM_400000_NS6detail17trampoline_kernelINS0_13select_configILj256ELj13ELNS0_17block_load_methodE3ELS4_3ELS4_3ELNS0_20block_scan_algorithmE0ELj4294967295EEENS1_25partition_config_selectorILNS1_17partition_subalgoE3EjNS0_10empty_typeEbEEZZNS1_14partition_implILS8_3ELb0ES6_jNS0_17counting_iteratorIjlEEPS9_SE_NS0_5tupleIJPjSE_EEENSF_IJSE_SE_EEES9_SG_JZNS1_25segmented_radix_sort_implINS0_14default_configELb0EPKhPhPKlPlN2at6native12_GLOBAL__N_18offset_tEEE10hipError_tPvRmT1_PNSt15iterator_traitsISY_E10value_typeET2_T3_PNSZ_IS14_E10value_typeET4_jRbjT5_S1A_jjP12ihipStream_tbEUljE_EEESV_SW_SX_S14_S18_S1A_T6_T7_T9_mT8_S1C_bDpT10_ENKUlT_T0_E_clISt17integral_constantIbLb1EES1O_IbLb0EEEEDaS1K_S1L_EUlS1K_E_NS1_11comp_targetILNS1_3genE2ELNS1_11target_archE906ELNS1_3gpuE6ELNS1_3repE0EEENS1_30default_config_static_selectorELNS0_4arch9wavefront6targetE1EEEvSY_.uses_vcc, 0
	.set _ZN7rocprim17ROCPRIM_400000_NS6detail17trampoline_kernelINS0_13select_configILj256ELj13ELNS0_17block_load_methodE3ELS4_3ELS4_3ELNS0_20block_scan_algorithmE0ELj4294967295EEENS1_25partition_config_selectorILNS1_17partition_subalgoE3EjNS0_10empty_typeEbEEZZNS1_14partition_implILS8_3ELb0ES6_jNS0_17counting_iteratorIjlEEPS9_SE_NS0_5tupleIJPjSE_EEENSF_IJSE_SE_EEES9_SG_JZNS1_25segmented_radix_sort_implINS0_14default_configELb0EPKhPhPKlPlN2at6native12_GLOBAL__N_18offset_tEEE10hipError_tPvRmT1_PNSt15iterator_traitsISY_E10value_typeET2_T3_PNSZ_IS14_E10value_typeET4_jRbjT5_S1A_jjP12ihipStream_tbEUljE_EEESV_SW_SX_S14_S18_S1A_T6_T7_T9_mT8_S1C_bDpT10_ENKUlT_T0_E_clISt17integral_constantIbLb1EES1O_IbLb0EEEEDaS1K_S1L_EUlS1K_E_NS1_11comp_targetILNS1_3genE2ELNS1_11target_archE906ELNS1_3gpuE6ELNS1_3repE0EEENS1_30default_config_static_selectorELNS0_4arch9wavefront6targetE1EEEvSY_.uses_flat_scratch, 0
	.set _ZN7rocprim17ROCPRIM_400000_NS6detail17trampoline_kernelINS0_13select_configILj256ELj13ELNS0_17block_load_methodE3ELS4_3ELS4_3ELNS0_20block_scan_algorithmE0ELj4294967295EEENS1_25partition_config_selectorILNS1_17partition_subalgoE3EjNS0_10empty_typeEbEEZZNS1_14partition_implILS8_3ELb0ES6_jNS0_17counting_iteratorIjlEEPS9_SE_NS0_5tupleIJPjSE_EEENSF_IJSE_SE_EEES9_SG_JZNS1_25segmented_radix_sort_implINS0_14default_configELb0EPKhPhPKlPlN2at6native12_GLOBAL__N_18offset_tEEE10hipError_tPvRmT1_PNSt15iterator_traitsISY_E10value_typeET2_T3_PNSZ_IS14_E10value_typeET4_jRbjT5_S1A_jjP12ihipStream_tbEUljE_EEESV_SW_SX_S14_S18_S1A_T6_T7_T9_mT8_S1C_bDpT10_ENKUlT_T0_E_clISt17integral_constantIbLb1EES1O_IbLb0EEEEDaS1K_S1L_EUlS1K_E_NS1_11comp_targetILNS1_3genE2ELNS1_11target_archE906ELNS1_3gpuE6ELNS1_3repE0EEENS1_30default_config_static_selectorELNS0_4arch9wavefront6targetE1EEEvSY_.has_dyn_sized_stack, 0
	.set _ZN7rocprim17ROCPRIM_400000_NS6detail17trampoline_kernelINS0_13select_configILj256ELj13ELNS0_17block_load_methodE3ELS4_3ELS4_3ELNS0_20block_scan_algorithmE0ELj4294967295EEENS1_25partition_config_selectorILNS1_17partition_subalgoE3EjNS0_10empty_typeEbEEZZNS1_14partition_implILS8_3ELb0ES6_jNS0_17counting_iteratorIjlEEPS9_SE_NS0_5tupleIJPjSE_EEENSF_IJSE_SE_EEES9_SG_JZNS1_25segmented_radix_sort_implINS0_14default_configELb0EPKhPhPKlPlN2at6native12_GLOBAL__N_18offset_tEEE10hipError_tPvRmT1_PNSt15iterator_traitsISY_E10value_typeET2_T3_PNSZ_IS14_E10value_typeET4_jRbjT5_S1A_jjP12ihipStream_tbEUljE_EEESV_SW_SX_S14_S18_S1A_T6_T7_T9_mT8_S1C_bDpT10_ENKUlT_T0_E_clISt17integral_constantIbLb1EES1O_IbLb0EEEEDaS1K_S1L_EUlS1K_E_NS1_11comp_targetILNS1_3genE2ELNS1_11target_archE906ELNS1_3gpuE6ELNS1_3repE0EEENS1_30default_config_static_selectorELNS0_4arch9wavefront6targetE1EEEvSY_.has_recursion, 0
	.set _ZN7rocprim17ROCPRIM_400000_NS6detail17trampoline_kernelINS0_13select_configILj256ELj13ELNS0_17block_load_methodE3ELS4_3ELS4_3ELNS0_20block_scan_algorithmE0ELj4294967295EEENS1_25partition_config_selectorILNS1_17partition_subalgoE3EjNS0_10empty_typeEbEEZZNS1_14partition_implILS8_3ELb0ES6_jNS0_17counting_iteratorIjlEEPS9_SE_NS0_5tupleIJPjSE_EEENSF_IJSE_SE_EEES9_SG_JZNS1_25segmented_radix_sort_implINS0_14default_configELb0EPKhPhPKlPlN2at6native12_GLOBAL__N_18offset_tEEE10hipError_tPvRmT1_PNSt15iterator_traitsISY_E10value_typeET2_T3_PNSZ_IS14_E10value_typeET4_jRbjT5_S1A_jjP12ihipStream_tbEUljE_EEESV_SW_SX_S14_S18_S1A_T6_T7_T9_mT8_S1C_bDpT10_ENKUlT_T0_E_clISt17integral_constantIbLb1EES1O_IbLb0EEEEDaS1K_S1L_EUlS1K_E_NS1_11comp_targetILNS1_3genE2ELNS1_11target_archE906ELNS1_3gpuE6ELNS1_3repE0EEENS1_30default_config_static_selectorELNS0_4arch9wavefront6targetE1EEEvSY_.has_indirect_call, 0
	.section	.AMDGPU.csdata,"",@progbits
; Kernel info:
; codeLenInByte = 4
; TotalNumSgprs: 4
; NumVgprs: 0
; ScratchSize: 0
; MemoryBound: 0
; FloatMode: 240
; IeeeMode: 1
; LDSByteSize: 0 bytes/workgroup (compile time only)
; SGPRBlocks: 0
; VGPRBlocks: 0
; NumSGPRsForWavesPerEU: 4
; NumVGPRsForWavesPerEU: 1
; Occupancy: 10
; WaveLimiterHint : 0
; COMPUTE_PGM_RSRC2:SCRATCH_EN: 0
; COMPUTE_PGM_RSRC2:USER_SGPR: 6
; COMPUTE_PGM_RSRC2:TRAP_HANDLER: 0
; COMPUTE_PGM_RSRC2:TGID_X_EN: 1
; COMPUTE_PGM_RSRC2:TGID_Y_EN: 0
; COMPUTE_PGM_RSRC2:TGID_Z_EN: 0
; COMPUTE_PGM_RSRC2:TIDIG_COMP_CNT: 0
	.section	.text._ZN7rocprim17ROCPRIM_400000_NS6detail17trampoline_kernelINS0_13select_configILj256ELj13ELNS0_17block_load_methodE3ELS4_3ELS4_3ELNS0_20block_scan_algorithmE0ELj4294967295EEENS1_25partition_config_selectorILNS1_17partition_subalgoE3EjNS0_10empty_typeEbEEZZNS1_14partition_implILS8_3ELb0ES6_jNS0_17counting_iteratorIjlEEPS9_SE_NS0_5tupleIJPjSE_EEENSF_IJSE_SE_EEES9_SG_JZNS1_25segmented_radix_sort_implINS0_14default_configELb0EPKhPhPKlPlN2at6native12_GLOBAL__N_18offset_tEEE10hipError_tPvRmT1_PNSt15iterator_traitsISY_E10value_typeET2_T3_PNSZ_IS14_E10value_typeET4_jRbjT5_S1A_jjP12ihipStream_tbEUljE_EEESV_SW_SX_S14_S18_S1A_T6_T7_T9_mT8_S1C_bDpT10_ENKUlT_T0_E_clISt17integral_constantIbLb1EES1O_IbLb0EEEEDaS1K_S1L_EUlS1K_E_NS1_11comp_targetILNS1_3genE10ELNS1_11target_archE1200ELNS1_3gpuE4ELNS1_3repE0EEENS1_30default_config_static_selectorELNS0_4arch9wavefront6targetE1EEEvSY_,"axG",@progbits,_ZN7rocprim17ROCPRIM_400000_NS6detail17trampoline_kernelINS0_13select_configILj256ELj13ELNS0_17block_load_methodE3ELS4_3ELS4_3ELNS0_20block_scan_algorithmE0ELj4294967295EEENS1_25partition_config_selectorILNS1_17partition_subalgoE3EjNS0_10empty_typeEbEEZZNS1_14partition_implILS8_3ELb0ES6_jNS0_17counting_iteratorIjlEEPS9_SE_NS0_5tupleIJPjSE_EEENSF_IJSE_SE_EEES9_SG_JZNS1_25segmented_radix_sort_implINS0_14default_configELb0EPKhPhPKlPlN2at6native12_GLOBAL__N_18offset_tEEE10hipError_tPvRmT1_PNSt15iterator_traitsISY_E10value_typeET2_T3_PNSZ_IS14_E10value_typeET4_jRbjT5_S1A_jjP12ihipStream_tbEUljE_EEESV_SW_SX_S14_S18_S1A_T6_T7_T9_mT8_S1C_bDpT10_ENKUlT_T0_E_clISt17integral_constantIbLb1EES1O_IbLb0EEEEDaS1K_S1L_EUlS1K_E_NS1_11comp_targetILNS1_3genE10ELNS1_11target_archE1200ELNS1_3gpuE4ELNS1_3repE0EEENS1_30default_config_static_selectorELNS0_4arch9wavefront6targetE1EEEvSY_,comdat
	.globl	_ZN7rocprim17ROCPRIM_400000_NS6detail17trampoline_kernelINS0_13select_configILj256ELj13ELNS0_17block_load_methodE3ELS4_3ELS4_3ELNS0_20block_scan_algorithmE0ELj4294967295EEENS1_25partition_config_selectorILNS1_17partition_subalgoE3EjNS0_10empty_typeEbEEZZNS1_14partition_implILS8_3ELb0ES6_jNS0_17counting_iteratorIjlEEPS9_SE_NS0_5tupleIJPjSE_EEENSF_IJSE_SE_EEES9_SG_JZNS1_25segmented_radix_sort_implINS0_14default_configELb0EPKhPhPKlPlN2at6native12_GLOBAL__N_18offset_tEEE10hipError_tPvRmT1_PNSt15iterator_traitsISY_E10value_typeET2_T3_PNSZ_IS14_E10value_typeET4_jRbjT5_S1A_jjP12ihipStream_tbEUljE_EEESV_SW_SX_S14_S18_S1A_T6_T7_T9_mT8_S1C_bDpT10_ENKUlT_T0_E_clISt17integral_constantIbLb1EES1O_IbLb0EEEEDaS1K_S1L_EUlS1K_E_NS1_11comp_targetILNS1_3genE10ELNS1_11target_archE1200ELNS1_3gpuE4ELNS1_3repE0EEENS1_30default_config_static_selectorELNS0_4arch9wavefront6targetE1EEEvSY_ ; -- Begin function _ZN7rocprim17ROCPRIM_400000_NS6detail17trampoline_kernelINS0_13select_configILj256ELj13ELNS0_17block_load_methodE3ELS4_3ELS4_3ELNS0_20block_scan_algorithmE0ELj4294967295EEENS1_25partition_config_selectorILNS1_17partition_subalgoE3EjNS0_10empty_typeEbEEZZNS1_14partition_implILS8_3ELb0ES6_jNS0_17counting_iteratorIjlEEPS9_SE_NS0_5tupleIJPjSE_EEENSF_IJSE_SE_EEES9_SG_JZNS1_25segmented_radix_sort_implINS0_14default_configELb0EPKhPhPKlPlN2at6native12_GLOBAL__N_18offset_tEEE10hipError_tPvRmT1_PNSt15iterator_traitsISY_E10value_typeET2_T3_PNSZ_IS14_E10value_typeET4_jRbjT5_S1A_jjP12ihipStream_tbEUljE_EEESV_SW_SX_S14_S18_S1A_T6_T7_T9_mT8_S1C_bDpT10_ENKUlT_T0_E_clISt17integral_constantIbLb1EES1O_IbLb0EEEEDaS1K_S1L_EUlS1K_E_NS1_11comp_targetILNS1_3genE10ELNS1_11target_archE1200ELNS1_3gpuE4ELNS1_3repE0EEENS1_30default_config_static_selectorELNS0_4arch9wavefront6targetE1EEEvSY_
	.p2align	8
	.type	_ZN7rocprim17ROCPRIM_400000_NS6detail17trampoline_kernelINS0_13select_configILj256ELj13ELNS0_17block_load_methodE3ELS4_3ELS4_3ELNS0_20block_scan_algorithmE0ELj4294967295EEENS1_25partition_config_selectorILNS1_17partition_subalgoE3EjNS0_10empty_typeEbEEZZNS1_14partition_implILS8_3ELb0ES6_jNS0_17counting_iteratorIjlEEPS9_SE_NS0_5tupleIJPjSE_EEENSF_IJSE_SE_EEES9_SG_JZNS1_25segmented_radix_sort_implINS0_14default_configELb0EPKhPhPKlPlN2at6native12_GLOBAL__N_18offset_tEEE10hipError_tPvRmT1_PNSt15iterator_traitsISY_E10value_typeET2_T3_PNSZ_IS14_E10value_typeET4_jRbjT5_S1A_jjP12ihipStream_tbEUljE_EEESV_SW_SX_S14_S18_S1A_T6_T7_T9_mT8_S1C_bDpT10_ENKUlT_T0_E_clISt17integral_constantIbLb1EES1O_IbLb0EEEEDaS1K_S1L_EUlS1K_E_NS1_11comp_targetILNS1_3genE10ELNS1_11target_archE1200ELNS1_3gpuE4ELNS1_3repE0EEENS1_30default_config_static_selectorELNS0_4arch9wavefront6targetE1EEEvSY_,@function
_ZN7rocprim17ROCPRIM_400000_NS6detail17trampoline_kernelINS0_13select_configILj256ELj13ELNS0_17block_load_methodE3ELS4_3ELS4_3ELNS0_20block_scan_algorithmE0ELj4294967295EEENS1_25partition_config_selectorILNS1_17partition_subalgoE3EjNS0_10empty_typeEbEEZZNS1_14partition_implILS8_3ELb0ES6_jNS0_17counting_iteratorIjlEEPS9_SE_NS0_5tupleIJPjSE_EEENSF_IJSE_SE_EEES9_SG_JZNS1_25segmented_radix_sort_implINS0_14default_configELb0EPKhPhPKlPlN2at6native12_GLOBAL__N_18offset_tEEE10hipError_tPvRmT1_PNSt15iterator_traitsISY_E10value_typeET2_T3_PNSZ_IS14_E10value_typeET4_jRbjT5_S1A_jjP12ihipStream_tbEUljE_EEESV_SW_SX_S14_S18_S1A_T6_T7_T9_mT8_S1C_bDpT10_ENKUlT_T0_E_clISt17integral_constantIbLb1EES1O_IbLb0EEEEDaS1K_S1L_EUlS1K_E_NS1_11comp_targetILNS1_3genE10ELNS1_11target_archE1200ELNS1_3gpuE4ELNS1_3repE0EEENS1_30default_config_static_selectorELNS0_4arch9wavefront6targetE1EEEvSY_: ; @_ZN7rocprim17ROCPRIM_400000_NS6detail17trampoline_kernelINS0_13select_configILj256ELj13ELNS0_17block_load_methodE3ELS4_3ELS4_3ELNS0_20block_scan_algorithmE0ELj4294967295EEENS1_25partition_config_selectorILNS1_17partition_subalgoE3EjNS0_10empty_typeEbEEZZNS1_14partition_implILS8_3ELb0ES6_jNS0_17counting_iteratorIjlEEPS9_SE_NS0_5tupleIJPjSE_EEENSF_IJSE_SE_EEES9_SG_JZNS1_25segmented_radix_sort_implINS0_14default_configELb0EPKhPhPKlPlN2at6native12_GLOBAL__N_18offset_tEEE10hipError_tPvRmT1_PNSt15iterator_traitsISY_E10value_typeET2_T3_PNSZ_IS14_E10value_typeET4_jRbjT5_S1A_jjP12ihipStream_tbEUljE_EEESV_SW_SX_S14_S18_S1A_T6_T7_T9_mT8_S1C_bDpT10_ENKUlT_T0_E_clISt17integral_constantIbLb1EES1O_IbLb0EEEEDaS1K_S1L_EUlS1K_E_NS1_11comp_targetILNS1_3genE10ELNS1_11target_archE1200ELNS1_3gpuE4ELNS1_3repE0EEENS1_30default_config_static_selectorELNS0_4arch9wavefront6targetE1EEEvSY_
; %bb.0:
	.section	.rodata,"a",@progbits
	.p2align	6, 0x0
	.amdhsa_kernel _ZN7rocprim17ROCPRIM_400000_NS6detail17trampoline_kernelINS0_13select_configILj256ELj13ELNS0_17block_load_methodE3ELS4_3ELS4_3ELNS0_20block_scan_algorithmE0ELj4294967295EEENS1_25partition_config_selectorILNS1_17partition_subalgoE3EjNS0_10empty_typeEbEEZZNS1_14partition_implILS8_3ELb0ES6_jNS0_17counting_iteratorIjlEEPS9_SE_NS0_5tupleIJPjSE_EEENSF_IJSE_SE_EEES9_SG_JZNS1_25segmented_radix_sort_implINS0_14default_configELb0EPKhPhPKlPlN2at6native12_GLOBAL__N_18offset_tEEE10hipError_tPvRmT1_PNSt15iterator_traitsISY_E10value_typeET2_T3_PNSZ_IS14_E10value_typeET4_jRbjT5_S1A_jjP12ihipStream_tbEUljE_EEESV_SW_SX_S14_S18_S1A_T6_T7_T9_mT8_S1C_bDpT10_ENKUlT_T0_E_clISt17integral_constantIbLb1EES1O_IbLb0EEEEDaS1K_S1L_EUlS1K_E_NS1_11comp_targetILNS1_3genE10ELNS1_11target_archE1200ELNS1_3gpuE4ELNS1_3repE0EEENS1_30default_config_static_selectorELNS0_4arch9wavefront6targetE1EEEvSY_
		.amdhsa_group_segment_fixed_size 0
		.amdhsa_private_segment_fixed_size 0
		.amdhsa_kernarg_size 144
		.amdhsa_user_sgpr_count 6
		.amdhsa_user_sgpr_private_segment_buffer 1
		.amdhsa_user_sgpr_dispatch_ptr 0
		.amdhsa_user_sgpr_queue_ptr 0
		.amdhsa_user_sgpr_kernarg_segment_ptr 1
		.amdhsa_user_sgpr_dispatch_id 0
		.amdhsa_user_sgpr_flat_scratch_init 0
		.amdhsa_user_sgpr_private_segment_size 0
		.amdhsa_uses_dynamic_stack 0
		.amdhsa_system_sgpr_private_segment_wavefront_offset 0
		.amdhsa_system_sgpr_workgroup_id_x 1
		.amdhsa_system_sgpr_workgroup_id_y 0
		.amdhsa_system_sgpr_workgroup_id_z 0
		.amdhsa_system_sgpr_workgroup_info 0
		.amdhsa_system_vgpr_workitem_id 0
		.amdhsa_next_free_vgpr 1
		.amdhsa_next_free_sgpr 0
		.amdhsa_reserve_vcc 0
		.amdhsa_reserve_flat_scratch 0
		.amdhsa_float_round_mode_32 0
		.amdhsa_float_round_mode_16_64 0
		.amdhsa_float_denorm_mode_32 3
		.amdhsa_float_denorm_mode_16_64 3
		.amdhsa_dx10_clamp 1
		.amdhsa_ieee_mode 1
		.amdhsa_fp16_overflow 0
		.amdhsa_exception_fp_ieee_invalid_op 0
		.amdhsa_exception_fp_denorm_src 0
		.amdhsa_exception_fp_ieee_div_zero 0
		.amdhsa_exception_fp_ieee_overflow 0
		.amdhsa_exception_fp_ieee_underflow 0
		.amdhsa_exception_fp_ieee_inexact 0
		.amdhsa_exception_int_div_zero 0
	.end_amdhsa_kernel
	.section	.text._ZN7rocprim17ROCPRIM_400000_NS6detail17trampoline_kernelINS0_13select_configILj256ELj13ELNS0_17block_load_methodE3ELS4_3ELS4_3ELNS0_20block_scan_algorithmE0ELj4294967295EEENS1_25partition_config_selectorILNS1_17partition_subalgoE3EjNS0_10empty_typeEbEEZZNS1_14partition_implILS8_3ELb0ES6_jNS0_17counting_iteratorIjlEEPS9_SE_NS0_5tupleIJPjSE_EEENSF_IJSE_SE_EEES9_SG_JZNS1_25segmented_radix_sort_implINS0_14default_configELb0EPKhPhPKlPlN2at6native12_GLOBAL__N_18offset_tEEE10hipError_tPvRmT1_PNSt15iterator_traitsISY_E10value_typeET2_T3_PNSZ_IS14_E10value_typeET4_jRbjT5_S1A_jjP12ihipStream_tbEUljE_EEESV_SW_SX_S14_S18_S1A_T6_T7_T9_mT8_S1C_bDpT10_ENKUlT_T0_E_clISt17integral_constantIbLb1EES1O_IbLb0EEEEDaS1K_S1L_EUlS1K_E_NS1_11comp_targetILNS1_3genE10ELNS1_11target_archE1200ELNS1_3gpuE4ELNS1_3repE0EEENS1_30default_config_static_selectorELNS0_4arch9wavefront6targetE1EEEvSY_,"axG",@progbits,_ZN7rocprim17ROCPRIM_400000_NS6detail17trampoline_kernelINS0_13select_configILj256ELj13ELNS0_17block_load_methodE3ELS4_3ELS4_3ELNS0_20block_scan_algorithmE0ELj4294967295EEENS1_25partition_config_selectorILNS1_17partition_subalgoE3EjNS0_10empty_typeEbEEZZNS1_14partition_implILS8_3ELb0ES6_jNS0_17counting_iteratorIjlEEPS9_SE_NS0_5tupleIJPjSE_EEENSF_IJSE_SE_EEES9_SG_JZNS1_25segmented_radix_sort_implINS0_14default_configELb0EPKhPhPKlPlN2at6native12_GLOBAL__N_18offset_tEEE10hipError_tPvRmT1_PNSt15iterator_traitsISY_E10value_typeET2_T3_PNSZ_IS14_E10value_typeET4_jRbjT5_S1A_jjP12ihipStream_tbEUljE_EEESV_SW_SX_S14_S18_S1A_T6_T7_T9_mT8_S1C_bDpT10_ENKUlT_T0_E_clISt17integral_constantIbLb1EES1O_IbLb0EEEEDaS1K_S1L_EUlS1K_E_NS1_11comp_targetILNS1_3genE10ELNS1_11target_archE1200ELNS1_3gpuE4ELNS1_3repE0EEENS1_30default_config_static_selectorELNS0_4arch9wavefront6targetE1EEEvSY_,comdat
.Lfunc_end175:
	.size	_ZN7rocprim17ROCPRIM_400000_NS6detail17trampoline_kernelINS0_13select_configILj256ELj13ELNS0_17block_load_methodE3ELS4_3ELS4_3ELNS0_20block_scan_algorithmE0ELj4294967295EEENS1_25partition_config_selectorILNS1_17partition_subalgoE3EjNS0_10empty_typeEbEEZZNS1_14partition_implILS8_3ELb0ES6_jNS0_17counting_iteratorIjlEEPS9_SE_NS0_5tupleIJPjSE_EEENSF_IJSE_SE_EEES9_SG_JZNS1_25segmented_radix_sort_implINS0_14default_configELb0EPKhPhPKlPlN2at6native12_GLOBAL__N_18offset_tEEE10hipError_tPvRmT1_PNSt15iterator_traitsISY_E10value_typeET2_T3_PNSZ_IS14_E10value_typeET4_jRbjT5_S1A_jjP12ihipStream_tbEUljE_EEESV_SW_SX_S14_S18_S1A_T6_T7_T9_mT8_S1C_bDpT10_ENKUlT_T0_E_clISt17integral_constantIbLb1EES1O_IbLb0EEEEDaS1K_S1L_EUlS1K_E_NS1_11comp_targetILNS1_3genE10ELNS1_11target_archE1200ELNS1_3gpuE4ELNS1_3repE0EEENS1_30default_config_static_selectorELNS0_4arch9wavefront6targetE1EEEvSY_, .Lfunc_end175-_ZN7rocprim17ROCPRIM_400000_NS6detail17trampoline_kernelINS0_13select_configILj256ELj13ELNS0_17block_load_methodE3ELS4_3ELS4_3ELNS0_20block_scan_algorithmE0ELj4294967295EEENS1_25partition_config_selectorILNS1_17partition_subalgoE3EjNS0_10empty_typeEbEEZZNS1_14partition_implILS8_3ELb0ES6_jNS0_17counting_iteratorIjlEEPS9_SE_NS0_5tupleIJPjSE_EEENSF_IJSE_SE_EEES9_SG_JZNS1_25segmented_radix_sort_implINS0_14default_configELb0EPKhPhPKlPlN2at6native12_GLOBAL__N_18offset_tEEE10hipError_tPvRmT1_PNSt15iterator_traitsISY_E10value_typeET2_T3_PNSZ_IS14_E10value_typeET4_jRbjT5_S1A_jjP12ihipStream_tbEUljE_EEESV_SW_SX_S14_S18_S1A_T6_T7_T9_mT8_S1C_bDpT10_ENKUlT_T0_E_clISt17integral_constantIbLb1EES1O_IbLb0EEEEDaS1K_S1L_EUlS1K_E_NS1_11comp_targetILNS1_3genE10ELNS1_11target_archE1200ELNS1_3gpuE4ELNS1_3repE0EEENS1_30default_config_static_selectorELNS0_4arch9wavefront6targetE1EEEvSY_
                                        ; -- End function
	.set _ZN7rocprim17ROCPRIM_400000_NS6detail17trampoline_kernelINS0_13select_configILj256ELj13ELNS0_17block_load_methodE3ELS4_3ELS4_3ELNS0_20block_scan_algorithmE0ELj4294967295EEENS1_25partition_config_selectorILNS1_17partition_subalgoE3EjNS0_10empty_typeEbEEZZNS1_14partition_implILS8_3ELb0ES6_jNS0_17counting_iteratorIjlEEPS9_SE_NS0_5tupleIJPjSE_EEENSF_IJSE_SE_EEES9_SG_JZNS1_25segmented_radix_sort_implINS0_14default_configELb0EPKhPhPKlPlN2at6native12_GLOBAL__N_18offset_tEEE10hipError_tPvRmT1_PNSt15iterator_traitsISY_E10value_typeET2_T3_PNSZ_IS14_E10value_typeET4_jRbjT5_S1A_jjP12ihipStream_tbEUljE_EEESV_SW_SX_S14_S18_S1A_T6_T7_T9_mT8_S1C_bDpT10_ENKUlT_T0_E_clISt17integral_constantIbLb1EES1O_IbLb0EEEEDaS1K_S1L_EUlS1K_E_NS1_11comp_targetILNS1_3genE10ELNS1_11target_archE1200ELNS1_3gpuE4ELNS1_3repE0EEENS1_30default_config_static_selectorELNS0_4arch9wavefront6targetE1EEEvSY_.num_vgpr, 0
	.set _ZN7rocprim17ROCPRIM_400000_NS6detail17trampoline_kernelINS0_13select_configILj256ELj13ELNS0_17block_load_methodE3ELS4_3ELS4_3ELNS0_20block_scan_algorithmE0ELj4294967295EEENS1_25partition_config_selectorILNS1_17partition_subalgoE3EjNS0_10empty_typeEbEEZZNS1_14partition_implILS8_3ELb0ES6_jNS0_17counting_iteratorIjlEEPS9_SE_NS0_5tupleIJPjSE_EEENSF_IJSE_SE_EEES9_SG_JZNS1_25segmented_radix_sort_implINS0_14default_configELb0EPKhPhPKlPlN2at6native12_GLOBAL__N_18offset_tEEE10hipError_tPvRmT1_PNSt15iterator_traitsISY_E10value_typeET2_T3_PNSZ_IS14_E10value_typeET4_jRbjT5_S1A_jjP12ihipStream_tbEUljE_EEESV_SW_SX_S14_S18_S1A_T6_T7_T9_mT8_S1C_bDpT10_ENKUlT_T0_E_clISt17integral_constantIbLb1EES1O_IbLb0EEEEDaS1K_S1L_EUlS1K_E_NS1_11comp_targetILNS1_3genE10ELNS1_11target_archE1200ELNS1_3gpuE4ELNS1_3repE0EEENS1_30default_config_static_selectorELNS0_4arch9wavefront6targetE1EEEvSY_.num_agpr, 0
	.set _ZN7rocprim17ROCPRIM_400000_NS6detail17trampoline_kernelINS0_13select_configILj256ELj13ELNS0_17block_load_methodE3ELS4_3ELS4_3ELNS0_20block_scan_algorithmE0ELj4294967295EEENS1_25partition_config_selectorILNS1_17partition_subalgoE3EjNS0_10empty_typeEbEEZZNS1_14partition_implILS8_3ELb0ES6_jNS0_17counting_iteratorIjlEEPS9_SE_NS0_5tupleIJPjSE_EEENSF_IJSE_SE_EEES9_SG_JZNS1_25segmented_radix_sort_implINS0_14default_configELb0EPKhPhPKlPlN2at6native12_GLOBAL__N_18offset_tEEE10hipError_tPvRmT1_PNSt15iterator_traitsISY_E10value_typeET2_T3_PNSZ_IS14_E10value_typeET4_jRbjT5_S1A_jjP12ihipStream_tbEUljE_EEESV_SW_SX_S14_S18_S1A_T6_T7_T9_mT8_S1C_bDpT10_ENKUlT_T0_E_clISt17integral_constantIbLb1EES1O_IbLb0EEEEDaS1K_S1L_EUlS1K_E_NS1_11comp_targetILNS1_3genE10ELNS1_11target_archE1200ELNS1_3gpuE4ELNS1_3repE0EEENS1_30default_config_static_selectorELNS0_4arch9wavefront6targetE1EEEvSY_.numbered_sgpr, 0
	.set _ZN7rocprim17ROCPRIM_400000_NS6detail17trampoline_kernelINS0_13select_configILj256ELj13ELNS0_17block_load_methodE3ELS4_3ELS4_3ELNS0_20block_scan_algorithmE0ELj4294967295EEENS1_25partition_config_selectorILNS1_17partition_subalgoE3EjNS0_10empty_typeEbEEZZNS1_14partition_implILS8_3ELb0ES6_jNS0_17counting_iteratorIjlEEPS9_SE_NS0_5tupleIJPjSE_EEENSF_IJSE_SE_EEES9_SG_JZNS1_25segmented_radix_sort_implINS0_14default_configELb0EPKhPhPKlPlN2at6native12_GLOBAL__N_18offset_tEEE10hipError_tPvRmT1_PNSt15iterator_traitsISY_E10value_typeET2_T3_PNSZ_IS14_E10value_typeET4_jRbjT5_S1A_jjP12ihipStream_tbEUljE_EEESV_SW_SX_S14_S18_S1A_T6_T7_T9_mT8_S1C_bDpT10_ENKUlT_T0_E_clISt17integral_constantIbLb1EES1O_IbLb0EEEEDaS1K_S1L_EUlS1K_E_NS1_11comp_targetILNS1_3genE10ELNS1_11target_archE1200ELNS1_3gpuE4ELNS1_3repE0EEENS1_30default_config_static_selectorELNS0_4arch9wavefront6targetE1EEEvSY_.num_named_barrier, 0
	.set _ZN7rocprim17ROCPRIM_400000_NS6detail17trampoline_kernelINS0_13select_configILj256ELj13ELNS0_17block_load_methodE3ELS4_3ELS4_3ELNS0_20block_scan_algorithmE0ELj4294967295EEENS1_25partition_config_selectorILNS1_17partition_subalgoE3EjNS0_10empty_typeEbEEZZNS1_14partition_implILS8_3ELb0ES6_jNS0_17counting_iteratorIjlEEPS9_SE_NS0_5tupleIJPjSE_EEENSF_IJSE_SE_EEES9_SG_JZNS1_25segmented_radix_sort_implINS0_14default_configELb0EPKhPhPKlPlN2at6native12_GLOBAL__N_18offset_tEEE10hipError_tPvRmT1_PNSt15iterator_traitsISY_E10value_typeET2_T3_PNSZ_IS14_E10value_typeET4_jRbjT5_S1A_jjP12ihipStream_tbEUljE_EEESV_SW_SX_S14_S18_S1A_T6_T7_T9_mT8_S1C_bDpT10_ENKUlT_T0_E_clISt17integral_constantIbLb1EES1O_IbLb0EEEEDaS1K_S1L_EUlS1K_E_NS1_11comp_targetILNS1_3genE10ELNS1_11target_archE1200ELNS1_3gpuE4ELNS1_3repE0EEENS1_30default_config_static_selectorELNS0_4arch9wavefront6targetE1EEEvSY_.private_seg_size, 0
	.set _ZN7rocprim17ROCPRIM_400000_NS6detail17trampoline_kernelINS0_13select_configILj256ELj13ELNS0_17block_load_methodE3ELS4_3ELS4_3ELNS0_20block_scan_algorithmE0ELj4294967295EEENS1_25partition_config_selectorILNS1_17partition_subalgoE3EjNS0_10empty_typeEbEEZZNS1_14partition_implILS8_3ELb0ES6_jNS0_17counting_iteratorIjlEEPS9_SE_NS0_5tupleIJPjSE_EEENSF_IJSE_SE_EEES9_SG_JZNS1_25segmented_radix_sort_implINS0_14default_configELb0EPKhPhPKlPlN2at6native12_GLOBAL__N_18offset_tEEE10hipError_tPvRmT1_PNSt15iterator_traitsISY_E10value_typeET2_T3_PNSZ_IS14_E10value_typeET4_jRbjT5_S1A_jjP12ihipStream_tbEUljE_EEESV_SW_SX_S14_S18_S1A_T6_T7_T9_mT8_S1C_bDpT10_ENKUlT_T0_E_clISt17integral_constantIbLb1EES1O_IbLb0EEEEDaS1K_S1L_EUlS1K_E_NS1_11comp_targetILNS1_3genE10ELNS1_11target_archE1200ELNS1_3gpuE4ELNS1_3repE0EEENS1_30default_config_static_selectorELNS0_4arch9wavefront6targetE1EEEvSY_.uses_vcc, 0
	.set _ZN7rocprim17ROCPRIM_400000_NS6detail17trampoline_kernelINS0_13select_configILj256ELj13ELNS0_17block_load_methodE3ELS4_3ELS4_3ELNS0_20block_scan_algorithmE0ELj4294967295EEENS1_25partition_config_selectorILNS1_17partition_subalgoE3EjNS0_10empty_typeEbEEZZNS1_14partition_implILS8_3ELb0ES6_jNS0_17counting_iteratorIjlEEPS9_SE_NS0_5tupleIJPjSE_EEENSF_IJSE_SE_EEES9_SG_JZNS1_25segmented_radix_sort_implINS0_14default_configELb0EPKhPhPKlPlN2at6native12_GLOBAL__N_18offset_tEEE10hipError_tPvRmT1_PNSt15iterator_traitsISY_E10value_typeET2_T3_PNSZ_IS14_E10value_typeET4_jRbjT5_S1A_jjP12ihipStream_tbEUljE_EEESV_SW_SX_S14_S18_S1A_T6_T7_T9_mT8_S1C_bDpT10_ENKUlT_T0_E_clISt17integral_constantIbLb1EES1O_IbLb0EEEEDaS1K_S1L_EUlS1K_E_NS1_11comp_targetILNS1_3genE10ELNS1_11target_archE1200ELNS1_3gpuE4ELNS1_3repE0EEENS1_30default_config_static_selectorELNS0_4arch9wavefront6targetE1EEEvSY_.uses_flat_scratch, 0
	.set _ZN7rocprim17ROCPRIM_400000_NS6detail17trampoline_kernelINS0_13select_configILj256ELj13ELNS0_17block_load_methodE3ELS4_3ELS4_3ELNS0_20block_scan_algorithmE0ELj4294967295EEENS1_25partition_config_selectorILNS1_17partition_subalgoE3EjNS0_10empty_typeEbEEZZNS1_14partition_implILS8_3ELb0ES6_jNS0_17counting_iteratorIjlEEPS9_SE_NS0_5tupleIJPjSE_EEENSF_IJSE_SE_EEES9_SG_JZNS1_25segmented_radix_sort_implINS0_14default_configELb0EPKhPhPKlPlN2at6native12_GLOBAL__N_18offset_tEEE10hipError_tPvRmT1_PNSt15iterator_traitsISY_E10value_typeET2_T3_PNSZ_IS14_E10value_typeET4_jRbjT5_S1A_jjP12ihipStream_tbEUljE_EEESV_SW_SX_S14_S18_S1A_T6_T7_T9_mT8_S1C_bDpT10_ENKUlT_T0_E_clISt17integral_constantIbLb1EES1O_IbLb0EEEEDaS1K_S1L_EUlS1K_E_NS1_11comp_targetILNS1_3genE10ELNS1_11target_archE1200ELNS1_3gpuE4ELNS1_3repE0EEENS1_30default_config_static_selectorELNS0_4arch9wavefront6targetE1EEEvSY_.has_dyn_sized_stack, 0
	.set _ZN7rocprim17ROCPRIM_400000_NS6detail17trampoline_kernelINS0_13select_configILj256ELj13ELNS0_17block_load_methodE3ELS4_3ELS4_3ELNS0_20block_scan_algorithmE0ELj4294967295EEENS1_25partition_config_selectorILNS1_17partition_subalgoE3EjNS0_10empty_typeEbEEZZNS1_14partition_implILS8_3ELb0ES6_jNS0_17counting_iteratorIjlEEPS9_SE_NS0_5tupleIJPjSE_EEENSF_IJSE_SE_EEES9_SG_JZNS1_25segmented_radix_sort_implINS0_14default_configELb0EPKhPhPKlPlN2at6native12_GLOBAL__N_18offset_tEEE10hipError_tPvRmT1_PNSt15iterator_traitsISY_E10value_typeET2_T3_PNSZ_IS14_E10value_typeET4_jRbjT5_S1A_jjP12ihipStream_tbEUljE_EEESV_SW_SX_S14_S18_S1A_T6_T7_T9_mT8_S1C_bDpT10_ENKUlT_T0_E_clISt17integral_constantIbLb1EES1O_IbLb0EEEEDaS1K_S1L_EUlS1K_E_NS1_11comp_targetILNS1_3genE10ELNS1_11target_archE1200ELNS1_3gpuE4ELNS1_3repE0EEENS1_30default_config_static_selectorELNS0_4arch9wavefront6targetE1EEEvSY_.has_recursion, 0
	.set _ZN7rocprim17ROCPRIM_400000_NS6detail17trampoline_kernelINS0_13select_configILj256ELj13ELNS0_17block_load_methodE3ELS4_3ELS4_3ELNS0_20block_scan_algorithmE0ELj4294967295EEENS1_25partition_config_selectorILNS1_17partition_subalgoE3EjNS0_10empty_typeEbEEZZNS1_14partition_implILS8_3ELb0ES6_jNS0_17counting_iteratorIjlEEPS9_SE_NS0_5tupleIJPjSE_EEENSF_IJSE_SE_EEES9_SG_JZNS1_25segmented_radix_sort_implINS0_14default_configELb0EPKhPhPKlPlN2at6native12_GLOBAL__N_18offset_tEEE10hipError_tPvRmT1_PNSt15iterator_traitsISY_E10value_typeET2_T3_PNSZ_IS14_E10value_typeET4_jRbjT5_S1A_jjP12ihipStream_tbEUljE_EEESV_SW_SX_S14_S18_S1A_T6_T7_T9_mT8_S1C_bDpT10_ENKUlT_T0_E_clISt17integral_constantIbLb1EES1O_IbLb0EEEEDaS1K_S1L_EUlS1K_E_NS1_11comp_targetILNS1_3genE10ELNS1_11target_archE1200ELNS1_3gpuE4ELNS1_3repE0EEENS1_30default_config_static_selectorELNS0_4arch9wavefront6targetE1EEEvSY_.has_indirect_call, 0
	.section	.AMDGPU.csdata,"",@progbits
; Kernel info:
; codeLenInByte = 0
; TotalNumSgprs: 4
; NumVgprs: 0
; ScratchSize: 0
; MemoryBound: 0
; FloatMode: 240
; IeeeMode: 1
; LDSByteSize: 0 bytes/workgroup (compile time only)
; SGPRBlocks: 0
; VGPRBlocks: 0
; NumSGPRsForWavesPerEU: 4
; NumVGPRsForWavesPerEU: 1
; Occupancy: 10
; WaveLimiterHint : 0
; COMPUTE_PGM_RSRC2:SCRATCH_EN: 0
; COMPUTE_PGM_RSRC2:USER_SGPR: 6
; COMPUTE_PGM_RSRC2:TRAP_HANDLER: 0
; COMPUTE_PGM_RSRC2:TGID_X_EN: 1
; COMPUTE_PGM_RSRC2:TGID_Y_EN: 0
; COMPUTE_PGM_RSRC2:TGID_Z_EN: 0
; COMPUTE_PGM_RSRC2:TIDIG_COMP_CNT: 0
	.section	.text._ZN7rocprim17ROCPRIM_400000_NS6detail17trampoline_kernelINS0_13select_configILj256ELj13ELNS0_17block_load_methodE3ELS4_3ELS4_3ELNS0_20block_scan_algorithmE0ELj4294967295EEENS1_25partition_config_selectorILNS1_17partition_subalgoE3EjNS0_10empty_typeEbEEZZNS1_14partition_implILS8_3ELb0ES6_jNS0_17counting_iteratorIjlEEPS9_SE_NS0_5tupleIJPjSE_EEENSF_IJSE_SE_EEES9_SG_JZNS1_25segmented_radix_sort_implINS0_14default_configELb0EPKhPhPKlPlN2at6native12_GLOBAL__N_18offset_tEEE10hipError_tPvRmT1_PNSt15iterator_traitsISY_E10value_typeET2_T3_PNSZ_IS14_E10value_typeET4_jRbjT5_S1A_jjP12ihipStream_tbEUljE_EEESV_SW_SX_S14_S18_S1A_T6_T7_T9_mT8_S1C_bDpT10_ENKUlT_T0_E_clISt17integral_constantIbLb1EES1O_IbLb0EEEEDaS1K_S1L_EUlS1K_E_NS1_11comp_targetILNS1_3genE9ELNS1_11target_archE1100ELNS1_3gpuE3ELNS1_3repE0EEENS1_30default_config_static_selectorELNS0_4arch9wavefront6targetE1EEEvSY_,"axG",@progbits,_ZN7rocprim17ROCPRIM_400000_NS6detail17trampoline_kernelINS0_13select_configILj256ELj13ELNS0_17block_load_methodE3ELS4_3ELS4_3ELNS0_20block_scan_algorithmE0ELj4294967295EEENS1_25partition_config_selectorILNS1_17partition_subalgoE3EjNS0_10empty_typeEbEEZZNS1_14partition_implILS8_3ELb0ES6_jNS0_17counting_iteratorIjlEEPS9_SE_NS0_5tupleIJPjSE_EEENSF_IJSE_SE_EEES9_SG_JZNS1_25segmented_radix_sort_implINS0_14default_configELb0EPKhPhPKlPlN2at6native12_GLOBAL__N_18offset_tEEE10hipError_tPvRmT1_PNSt15iterator_traitsISY_E10value_typeET2_T3_PNSZ_IS14_E10value_typeET4_jRbjT5_S1A_jjP12ihipStream_tbEUljE_EEESV_SW_SX_S14_S18_S1A_T6_T7_T9_mT8_S1C_bDpT10_ENKUlT_T0_E_clISt17integral_constantIbLb1EES1O_IbLb0EEEEDaS1K_S1L_EUlS1K_E_NS1_11comp_targetILNS1_3genE9ELNS1_11target_archE1100ELNS1_3gpuE3ELNS1_3repE0EEENS1_30default_config_static_selectorELNS0_4arch9wavefront6targetE1EEEvSY_,comdat
	.globl	_ZN7rocprim17ROCPRIM_400000_NS6detail17trampoline_kernelINS0_13select_configILj256ELj13ELNS0_17block_load_methodE3ELS4_3ELS4_3ELNS0_20block_scan_algorithmE0ELj4294967295EEENS1_25partition_config_selectorILNS1_17partition_subalgoE3EjNS0_10empty_typeEbEEZZNS1_14partition_implILS8_3ELb0ES6_jNS0_17counting_iteratorIjlEEPS9_SE_NS0_5tupleIJPjSE_EEENSF_IJSE_SE_EEES9_SG_JZNS1_25segmented_radix_sort_implINS0_14default_configELb0EPKhPhPKlPlN2at6native12_GLOBAL__N_18offset_tEEE10hipError_tPvRmT1_PNSt15iterator_traitsISY_E10value_typeET2_T3_PNSZ_IS14_E10value_typeET4_jRbjT5_S1A_jjP12ihipStream_tbEUljE_EEESV_SW_SX_S14_S18_S1A_T6_T7_T9_mT8_S1C_bDpT10_ENKUlT_T0_E_clISt17integral_constantIbLb1EES1O_IbLb0EEEEDaS1K_S1L_EUlS1K_E_NS1_11comp_targetILNS1_3genE9ELNS1_11target_archE1100ELNS1_3gpuE3ELNS1_3repE0EEENS1_30default_config_static_selectorELNS0_4arch9wavefront6targetE1EEEvSY_ ; -- Begin function _ZN7rocprim17ROCPRIM_400000_NS6detail17trampoline_kernelINS0_13select_configILj256ELj13ELNS0_17block_load_methodE3ELS4_3ELS4_3ELNS0_20block_scan_algorithmE0ELj4294967295EEENS1_25partition_config_selectorILNS1_17partition_subalgoE3EjNS0_10empty_typeEbEEZZNS1_14partition_implILS8_3ELb0ES6_jNS0_17counting_iteratorIjlEEPS9_SE_NS0_5tupleIJPjSE_EEENSF_IJSE_SE_EEES9_SG_JZNS1_25segmented_radix_sort_implINS0_14default_configELb0EPKhPhPKlPlN2at6native12_GLOBAL__N_18offset_tEEE10hipError_tPvRmT1_PNSt15iterator_traitsISY_E10value_typeET2_T3_PNSZ_IS14_E10value_typeET4_jRbjT5_S1A_jjP12ihipStream_tbEUljE_EEESV_SW_SX_S14_S18_S1A_T6_T7_T9_mT8_S1C_bDpT10_ENKUlT_T0_E_clISt17integral_constantIbLb1EES1O_IbLb0EEEEDaS1K_S1L_EUlS1K_E_NS1_11comp_targetILNS1_3genE9ELNS1_11target_archE1100ELNS1_3gpuE3ELNS1_3repE0EEENS1_30default_config_static_selectorELNS0_4arch9wavefront6targetE1EEEvSY_
	.p2align	8
	.type	_ZN7rocprim17ROCPRIM_400000_NS6detail17trampoline_kernelINS0_13select_configILj256ELj13ELNS0_17block_load_methodE3ELS4_3ELS4_3ELNS0_20block_scan_algorithmE0ELj4294967295EEENS1_25partition_config_selectorILNS1_17partition_subalgoE3EjNS0_10empty_typeEbEEZZNS1_14partition_implILS8_3ELb0ES6_jNS0_17counting_iteratorIjlEEPS9_SE_NS0_5tupleIJPjSE_EEENSF_IJSE_SE_EEES9_SG_JZNS1_25segmented_radix_sort_implINS0_14default_configELb0EPKhPhPKlPlN2at6native12_GLOBAL__N_18offset_tEEE10hipError_tPvRmT1_PNSt15iterator_traitsISY_E10value_typeET2_T3_PNSZ_IS14_E10value_typeET4_jRbjT5_S1A_jjP12ihipStream_tbEUljE_EEESV_SW_SX_S14_S18_S1A_T6_T7_T9_mT8_S1C_bDpT10_ENKUlT_T0_E_clISt17integral_constantIbLb1EES1O_IbLb0EEEEDaS1K_S1L_EUlS1K_E_NS1_11comp_targetILNS1_3genE9ELNS1_11target_archE1100ELNS1_3gpuE3ELNS1_3repE0EEENS1_30default_config_static_selectorELNS0_4arch9wavefront6targetE1EEEvSY_,@function
_ZN7rocprim17ROCPRIM_400000_NS6detail17trampoline_kernelINS0_13select_configILj256ELj13ELNS0_17block_load_methodE3ELS4_3ELS4_3ELNS0_20block_scan_algorithmE0ELj4294967295EEENS1_25partition_config_selectorILNS1_17partition_subalgoE3EjNS0_10empty_typeEbEEZZNS1_14partition_implILS8_3ELb0ES6_jNS0_17counting_iteratorIjlEEPS9_SE_NS0_5tupleIJPjSE_EEENSF_IJSE_SE_EEES9_SG_JZNS1_25segmented_radix_sort_implINS0_14default_configELb0EPKhPhPKlPlN2at6native12_GLOBAL__N_18offset_tEEE10hipError_tPvRmT1_PNSt15iterator_traitsISY_E10value_typeET2_T3_PNSZ_IS14_E10value_typeET4_jRbjT5_S1A_jjP12ihipStream_tbEUljE_EEESV_SW_SX_S14_S18_S1A_T6_T7_T9_mT8_S1C_bDpT10_ENKUlT_T0_E_clISt17integral_constantIbLb1EES1O_IbLb0EEEEDaS1K_S1L_EUlS1K_E_NS1_11comp_targetILNS1_3genE9ELNS1_11target_archE1100ELNS1_3gpuE3ELNS1_3repE0EEENS1_30default_config_static_selectorELNS0_4arch9wavefront6targetE1EEEvSY_: ; @_ZN7rocprim17ROCPRIM_400000_NS6detail17trampoline_kernelINS0_13select_configILj256ELj13ELNS0_17block_load_methodE3ELS4_3ELS4_3ELNS0_20block_scan_algorithmE0ELj4294967295EEENS1_25partition_config_selectorILNS1_17partition_subalgoE3EjNS0_10empty_typeEbEEZZNS1_14partition_implILS8_3ELb0ES6_jNS0_17counting_iteratorIjlEEPS9_SE_NS0_5tupleIJPjSE_EEENSF_IJSE_SE_EEES9_SG_JZNS1_25segmented_radix_sort_implINS0_14default_configELb0EPKhPhPKlPlN2at6native12_GLOBAL__N_18offset_tEEE10hipError_tPvRmT1_PNSt15iterator_traitsISY_E10value_typeET2_T3_PNSZ_IS14_E10value_typeET4_jRbjT5_S1A_jjP12ihipStream_tbEUljE_EEESV_SW_SX_S14_S18_S1A_T6_T7_T9_mT8_S1C_bDpT10_ENKUlT_T0_E_clISt17integral_constantIbLb1EES1O_IbLb0EEEEDaS1K_S1L_EUlS1K_E_NS1_11comp_targetILNS1_3genE9ELNS1_11target_archE1100ELNS1_3gpuE3ELNS1_3repE0EEENS1_30default_config_static_selectorELNS0_4arch9wavefront6targetE1EEEvSY_
; %bb.0:
	.section	.rodata,"a",@progbits
	.p2align	6, 0x0
	.amdhsa_kernel _ZN7rocprim17ROCPRIM_400000_NS6detail17trampoline_kernelINS0_13select_configILj256ELj13ELNS0_17block_load_methodE3ELS4_3ELS4_3ELNS0_20block_scan_algorithmE0ELj4294967295EEENS1_25partition_config_selectorILNS1_17partition_subalgoE3EjNS0_10empty_typeEbEEZZNS1_14partition_implILS8_3ELb0ES6_jNS0_17counting_iteratorIjlEEPS9_SE_NS0_5tupleIJPjSE_EEENSF_IJSE_SE_EEES9_SG_JZNS1_25segmented_radix_sort_implINS0_14default_configELb0EPKhPhPKlPlN2at6native12_GLOBAL__N_18offset_tEEE10hipError_tPvRmT1_PNSt15iterator_traitsISY_E10value_typeET2_T3_PNSZ_IS14_E10value_typeET4_jRbjT5_S1A_jjP12ihipStream_tbEUljE_EEESV_SW_SX_S14_S18_S1A_T6_T7_T9_mT8_S1C_bDpT10_ENKUlT_T0_E_clISt17integral_constantIbLb1EES1O_IbLb0EEEEDaS1K_S1L_EUlS1K_E_NS1_11comp_targetILNS1_3genE9ELNS1_11target_archE1100ELNS1_3gpuE3ELNS1_3repE0EEENS1_30default_config_static_selectorELNS0_4arch9wavefront6targetE1EEEvSY_
		.amdhsa_group_segment_fixed_size 0
		.amdhsa_private_segment_fixed_size 0
		.amdhsa_kernarg_size 144
		.amdhsa_user_sgpr_count 6
		.amdhsa_user_sgpr_private_segment_buffer 1
		.amdhsa_user_sgpr_dispatch_ptr 0
		.amdhsa_user_sgpr_queue_ptr 0
		.amdhsa_user_sgpr_kernarg_segment_ptr 1
		.amdhsa_user_sgpr_dispatch_id 0
		.amdhsa_user_sgpr_flat_scratch_init 0
		.amdhsa_user_sgpr_private_segment_size 0
		.amdhsa_uses_dynamic_stack 0
		.amdhsa_system_sgpr_private_segment_wavefront_offset 0
		.amdhsa_system_sgpr_workgroup_id_x 1
		.amdhsa_system_sgpr_workgroup_id_y 0
		.amdhsa_system_sgpr_workgroup_id_z 0
		.amdhsa_system_sgpr_workgroup_info 0
		.amdhsa_system_vgpr_workitem_id 0
		.amdhsa_next_free_vgpr 1
		.amdhsa_next_free_sgpr 0
		.amdhsa_reserve_vcc 0
		.amdhsa_reserve_flat_scratch 0
		.amdhsa_float_round_mode_32 0
		.amdhsa_float_round_mode_16_64 0
		.amdhsa_float_denorm_mode_32 3
		.amdhsa_float_denorm_mode_16_64 3
		.amdhsa_dx10_clamp 1
		.amdhsa_ieee_mode 1
		.amdhsa_fp16_overflow 0
		.amdhsa_exception_fp_ieee_invalid_op 0
		.amdhsa_exception_fp_denorm_src 0
		.amdhsa_exception_fp_ieee_div_zero 0
		.amdhsa_exception_fp_ieee_overflow 0
		.amdhsa_exception_fp_ieee_underflow 0
		.amdhsa_exception_fp_ieee_inexact 0
		.amdhsa_exception_int_div_zero 0
	.end_amdhsa_kernel
	.section	.text._ZN7rocprim17ROCPRIM_400000_NS6detail17trampoline_kernelINS0_13select_configILj256ELj13ELNS0_17block_load_methodE3ELS4_3ELS4_3ELNS0_20block_scan_algorithmE0ELj4294967295EEENS1_25partition_config_selectorILNS1_17partition_subalgoE3EjNS0_10empty_typeEbEEZZNS1_14partition_implILS8_3ELb0ES6_jNS0_17counting_iteratorIjlEEPS9_SE_NS0_5tupleIJPjSE_EEENSF_IJSE_SE_EEES9_SG_JZNS1_25segmented_radix_sort_implINS0_14default_configELb0EPKhPhPKlPlN2at6native12_GLOBAL__N_18offset_tEEE10hipError_tPvRmT1_PNSt15iterator_traitsISY_E10value_typeET2_T3_PNSZ_IS14_E10value_typeET4_jRbjT5_S1A_jjP12ihipStream_tbEUljE_EEESV_SW_SX_S14_S18_S1A_T6_T7_T9_mT8_S1C_bDpT10_ENKUlT_T0_E_clISt17integral_constantIbLb1EES1O_IbLb0EEEEDaS1K_S1L_EUlS1K_E_NS1_11comp_targetILNS1_3genE9ELNS1_11target_archE1100ELNS1_3gpuE3ELNS1_3repE0EEENS1_30default_config_static_selectorELNS0_4arch9wavefront6targetE1EEEvSY_,"axG",@progbits,_ZN7rocprim17ROCPRIM_400000_NS6detail17trampoline_kernelINS0_13select_configILj256ELj13ELNS0_17block_load_methodE3ELS4_3ELS4_3ELNS0_20block_scan_algorithmE0ELj4294967295EEENS1_25partition_config_selectorILNS1_17partition_subalgoE3EjNS0_10empty_typeEbEEZZNS1_14partition_implILS8_3ELb0ES6_jNS0_17counting_iteratorIjlEEPS9_SE_NS0_5tupleIJPjSE_EEENSF_IJSE_SE_EEES9_SG_JZNS1_25segmented_radix_sort_implINS0_14default_configELb0EPKhPhPKlPlN2at6native12_GLOBAL__N_18offset_tEEE10hipError_tPvRmT1_PNSt15iterator_traitsISY_E10value_typeET2_T3_PNSZ_IS14_E10value_typeET4_jRbjT5_S1A_jjP12ihipStream_tbEUljE_EEESV_SW_SX_S14_S18_S1A_T6_T7_T9_mT8_S1C_bDpT10_ENKUlT_T0_E_clISt17integral_constantIbLb1EES1O_IbLb0EEEEDaS1K_S1L_EUlS1K_E_NS1_11comp_targetILNS1_3genE9ELNS1_11target_archE1100ELNS1_3gpuE3ELNS1_3repE0EEENS1_30default_config_static_selectorELNS0_4arch9wavefront6targetE1EEEvSY_,comdat
.Lfunc_end176:
	.size	_ZN7rocprim17ROCPRIM_400000_NS6detail17trampoline_kernelINS0_13select_configILj256ELj13ELNS0_17block_load_methodE3ELS4_3ELS4_3ELNS0_20block_scan_algorithmE0ELj4294967295EEENS1_25partition_config_selectorILNS1_17partition_subalgoE3EjNS0_10empty_typeEbEEZZNS1_14partition_implILS8_3ELb0ES6_jNS0_17counting_iteratorIjlEEPS9_SE_NS0_5tupleIJPjSE_EEENSF_IJSE_SE_EEES9_SG_JZNS1_25segmented_radix_sort_implINS0_14default_configELb0EPKhPhPKlPlN2at6native12_GLOBAL__N_18offset_tEEE10hipError_tPvRmT1_PNSt15iterator_traitsISY_E10value_typeET2_T3_PNSZ_IS14_E10value_typeET4_jRbjT5_S1A_jjP12ihipStream_tbEUljE_EEESV_SW_SX_S14_S18_S1A_T6_T7_T9_mT8_S1C_bDpT10_ENKUlT_T0_E_clISt17integral_constantIbLb1EES1O_IbLb0EEEEDaS1K_S1L_EUlS1K_E_NS1_11comp_targetILNS1_3genE9ELNS1_11target_archE1100ELNS1_3gpuE3ELNS1_3repE0EEENS1_30default_config_static_selectorELNS0_4arch9wavefront6targetE1EEEvSY_, .Lfunc_end176-_ZN7rocprim17ROCPRIM_400000_NS6detail17trampoline_kernelINS0_13select_configILj256ELj13ELNS0_17block_load_methodE3ELS4_3ELS4_3ELNS0_20block_scan_algorithmE0ELj4294967295EEENS1_25partition_config_selectorILNS1_17partition_subalgoE3EjNS0_10empty_typeEbEEZZNS1_14partition_implILS8_3ELb0ES6_jNS0_17counting_iteratorIjlEEPS9_SE_NS0_5tupleIJPjSE_EEENSF_IJSE_SE_EEES9_SG_JZNS1_25segmented_radix_sort_implINS0_14default_configELb0EPKhPhPKlPlN2at6native12_GLOBAL__N_18offset_tEEE10hipError_tPvRmT1_PNSt15iterator_traitsISY_E10value_typeET2_T3_PNSZ_IS14_E10value_typeET4_jRbjT5_S1A_jjP12ihipStream_tbEUljE_EEESV_SW_SX_S14_S18_S1A_T6_T7_T9_mT8_S1C_bDpT10_ENKUlT_T0_E_clISt17integral_constantIbLb1EES1O_IbLb0EEEEDaS1K_S1L_EUlS1K_E_NS1_11comp_targetILNS1_3genE9ELNS1_11target_archE1100ELNS1_3gpuE3ELNS1_3repE0EEENS1_30default_config_static_selectorELNS0_4arch9wavefront6targetE1EEEvSY_
                                        ; -- End function
	.set _ZN7rocprim17ROCPRIM_400000_NS6detail17trampoline_kernelINS0_13select_configILj256ELj13ELNS0_17block_load_methodE3ELS4_3ELS4_3ELNS0_20block_scan_algorithmE0ELj4294967295EEENS1_25partition_config_selectorILNS1_17partition_subalgoE3EjNS0_10empty_typeEbEEZZNS1_14partition_implILS8_3ELb0ES6_jNS0_17counting_iteratorIjlEEPS9_SE_NS0_5tupleIJPjSE_EEENSF_IJSE_SE_EEES9_SG_JZNS1_25segmented_radix_sort_implINS0_14default_configELb0EPKhPhPKlPlN2at6native12_GLOBAL__N_18offset_tEEE10hipError_tPvRmT1_PNSt15iterator_traitsISY_E10value_typeET2_T3_PNSZ_IS14_E10value_typeET4_jRbjT5_S1A_jjP12ihipStream_tbEUljE_EEESV_SW_SX_S14_S18_S1A_T6_T7_T9_mT8_S1C_bDpT10_ENKUlT_T0_E_clISt17integral_constantIbLb1EES1O_IbLb0EEEEDaS1K_S1L_EUlS1K_E_NS1_11comp_targetILNS1_3genE9ELNS1_11target_archE1100ELNS1_3gpuE3ELNS1_3repE0EEENS1_30default_config_static_selectorELNS0_4arch9wavefront6targetE1EEEvSY_.num_vgpr, 0
	.set _ZN7rocprim17ROCPRIM_400000_NS6detail17trampoline_kernelINS0_13select_configILj256ELj13ELNS0_17block_load_methodE3ELS4_3ELS4_3ELNS0_20block_scan_algorithmE0ELj4294967295EEENS1_25partition_config_selectorILNS1_17partition_subalgoE3EjNS0_10empty_typeEbEEZZNS1_14partition_implILS8_3ELb0ES6_jNS0_17counting_iteratorIjlEEPS9_SE_NS0_5tupleIJPjSE_EEENSF_IJSE_SE_EEES9_SG_JZNS1_25segmented_radix_sort_implINS0_14default_configELb0EPKhPhPKlPlN2at6native12_GLOBAL__N_18offset_tEEE10hipError_tPvRmT1_PNSt15iterator_traitsISY_E10value_typeET2_T3_PNSZ_IS14_E10value_typeET4_jRbjT5_S1A_jjP12ihipStream_tbEUljE_EEESV_SW_SX_S14_S18_S1A_T6_T7_T9_mT8_S1C_bDpT10_ENKUlT_T0_E_clISt17integral_constantIbLb1EES1O_IbLb0EEEEDaS1K_S1L_EUlS1K_E_NS1_11comp_targetILNS1_3genE9ELNS1_11target_archE1100ELNS1_3gpuE3ELNS1_3repE0EEENS1_30default_config_static_selectorELNS0_4arch9wavefront6targetE1EEEvSY_.num_agpr, 0
	.set _ZN7rocprim17ROCPRIM_400000_NS6detail17trampoline_kernelINS0_13select_configILj256ELj13ELNS0_17block_load_methodE3ELS4_3ELS4_3ELNS0_20block_scan_algorithmE0ELj4294967295EEENS1_25partition_config_selectorILNS1_17partition_subalgoE3EjNS0_10empty_typeEbEEZZNS1_14partition_implILS8_3ELb0ES6_jNS0_17counting_iteratorIjlEEPS9_SE_NS0_5tupleIJPjSE_EEENSF_IJSE_SE_EEES9_SG_JZNS1_25segmented_radix_sort_implINS0_14default_configELb0EPKhPhPKlPlN2at6native12_GLOBAL__N_18offset_tEEE10hipError_tPvRmT1_PNSt15iterator_traitsISY_E10value_typeET2_T3_PNSZ_IS14_E10value_typeET4_jRbjT5_S1A_jjP12ihipStream_tbEUljE_EEESV_SW_SX_S14_S18_S1A_T6_T7_T9_mT8_S1C_bDpT10_ENKUlT_T0_E_clISt17integral_constantIbLb1EES1O_IbLb0EEEEDaS1K_S1L_EUlS1K_E_NS1_11comp_targetILNS1_3genE9ELNS1_11target_archE1100ELNS1_3gpuE3ELNS1_3repE0EEENS1_30default_config_static_selectorELNS0_4arch9wavefront6targetE1EEEvSY_.numbered_sgpr, 0
	.set _ZN7rocprim17ROCPRIM_400000_NS6detail17trampoline_kernelINS0_13select_configILj256ELj13ELNS0_17block_load_methodE3ELS4_3ELS4_3ELNS0_20block_scan_algorithmE0ELj4294967295EEENS1_25partition_config_selectorILNS1_17partition_subalgoE3EjNS0_10empty_typeEbEEZZNS1_14partition_implILS8_3ELb0ES6_jNS0_17counting_iteratorIjlEEPS9_SE_NS0_5tupleIJPjSE_EEENSF_IJSE_SE_EEES9_SG_JZNS1_25segmented_radix_sort_implINS0_14default_configELb0EPKhPhPKlPlN2at6native12_GLOBAL__N_18offset_tEEE10hipError_tPvRmT1_PNSt15iterator_traitsISY_E10value_typeET2_T3_PNSZ_IS14_E10value_typeET4_jRbjT5_S1A_jjP12ihipStream_tbEUljE_EEESV_SW_SX_S14_S18_S1A_T6_T7_T9_mT8_S1C_bDpT10_ENKUlT_T0_E_clISt17integral_constantIbLb1EES1O_IbLb0EEEEDaS1K_S1L_EUlS1K_E_NS1_11comp_targetILNS1_3genE9ELNS1_11target_archE1100ELNS1_3gpuE3ELNS1_3repE0EEENS1_30default_config_static_selectorELNS0_4arch9wavefront6targetE1EEEvSY_.num_named_barrier, 0
	.set _ZN7rocprim17ROCPRIM_400000_NS6detail17trampoline_kernelINS0_13select_configILj256ELj13ELNS0_17block_load_methodE3ELS4_3ELS4_3ELNS0_20block_scan_algorithmE0ELj4294967295EEENS1_25partition_config_selectorILNS1_17partition_subalgoE3EjNS0_10empty_typeEbEEZZNS1_14partition_implILS8_3ELb0ES6_jNS0_17counting_iteratorIjlEEPS9_SE_NS0_5tupleIJPjSE_EEENSF_IJSE_SE_EEES9_SG_JZNS1_25segmented_radix_sort_implINS0_14default_configELb0EPKhPhPKlPlN2at6native12_GLOBAL__N_18offset_tEEE10hipError_tPvRmT1_PNSt15iterator_traitsISY_E10value_typeET2_T3_PNSZ_IS14_E10value_typeET4_jRbjT5_S1A_jjP12ihipStream_tbEUljE_EEESV_SW_SX_S14_S18_S1A_T6_T7_T9_mT8_S1C_bDpT10_ENKUlT_T0_E_clISt17integral_constantIbLb1EES1O_IbLb0EEEEDaS1K_S1L_EUlS1K_E_NS1_11comp_targetILNS1_3genE9ELNS1_11target_archE1100ELNS1_3gpuE3ELNS1_3repE0EEENS1_30default_config_static_selectorELNS0_4arch9wavefront6targetE1EEEvSY_.private_seg_size, 0
	.set _ZN7rocprim17ROCPRIM_400000_NS6detail17trampoline_kernelINS0_13select_configILj256ELj13ELNS0_17block_load_methodE3ELS4_3ELS4_3ELNS0_20block_scan_algorithmE0ELj4294967295EEENS1_25partition_config_selectorILNS1_17partition_subalgoE3EjNS0_10empty_typeEbEEZZNS1_14partition_implILS8_3ELb0ES6_jNS0_17counting_iteratorIjlEEPS9_SE_NS0_5tupleIJPjSE_EEENSF_IJSE_SE_EEES9_SG_JZNS1_25segmented_radix_sort_implINS0_14default_configELb0EPKhPhPKlPlN2at6native12_GLOBAL__N_18offset_tEEE10hipError_tPvRmT1_PNSt15iterator_traitsISY_E10value_typeET2_T3_PNSZ_IS14_E10value_typeET4_jRbjT5_S1A_jjP12ihipStream_tbEUljE_EEESV_SW_SX_S14_S18_S1A_T6_T7_T9_mT8_S1C_bDpT10_ENKUlT_T0_E_clISt17integral_constantIbLb1EES1O_IbLb0EEEEDaS1K_S1L_EUlS1K_E_NS1_11comp_targetILNS1_3genE9ELNS1_11target_archE1100ELNS1_3gpuE3ELNS1_3repE0EEENS1_30default_config_static_selectorELNS0_4arch9wavefront6targetE1EEEvSY_.uses_vcc, 0
	.set _ZN7rocprim17ROCPRIM_400000_NS6detail17trampoline_kernelINS0_13select_configILj256ELj13ELNS0_17block_load_methodE3ELS4_3ELS4_3ELNS0_20block_scan_algorithmE0ELj4294967295EEENS1_25partition_config_selectorILNS1_17partition_subalgoE3EjNS0_10empty_typeEbEEZZNS1_14partition_implILS8_3ELb0ES6_jNS0_17counting_iteratorIjlEEPS9_SE_NS0_5tupleIJPjSE_EEENSF_IJSE_SE_EEES9_SG_JZNS1_25segmented_radix_sort_implINS0_14default_configELb0EPKhPhPKlPlN2at6native12_GLOBAL__N_18offset_tEEE10hipError_tPvRmT1_PNSt15iterator_traitsISY_E10value_typeET2_T3_PNSZ_IS14_E10value_typeET4_jRbjT5_S1A_jjP12ihipStream_tbEUljE_EEESV_SW_SX_S14_S18_S1A_T6_T7_T9_mT8_S1C_bDpT10_ENKUlT_T0_E_clISt17integral_constantIbLb1EES1O_IbLb0EEEEDaS1K_S1L_EUlS1K_E_NS1_11comp_targetILNS1_3genE9ELNS1_11target_archE1100ELNS1_3gpuE3ELNS1_3repE0EEENS1_30default_config_static_selectorELNS0_4arch9wavefront6targetE1EEEvSY_.uses_flat_scratch, 0
	.set _ZN7rocprim17ROCPRIM_400000_NS6detail17trampoline_kernelINS0_13select_configILj256ELj13ELNS0_17block_load_methodE3ELS4_3ELS4_3ELNS0_20block_scan_algorithmE0ELj4294967295EEENS1_25partition_config_selectorILNS1_17partition_subalgoE3EjNS0_10empty_typeEbEEZZNS1_14partition_implILS8_3ELb0ES6_jNS0_17counting_iteratorIjlEEPS9_SE_NS0_5tupleIJPjSE_EEENSF_IJSE_SE_EEES9_SG_JZNS1_25segmented_radix_sort_implINS0_14default_configELb0EPKhPhPKlPlN2at6native12_GLOBAL__N_18offset_tEEE10hipError_tPvRmT1_PNSt15iterator_traitsISY_E10value_typeET2_T3_PNSZ_IS14_E10value_typeET4_jRbjT5_S1A_jjP12ihipStream_tbEUljE_EEESV_SW_SX_S14_S18_S1A_T6_T7_T9_mT8_S1C_bDpT10_ENKUlT_T0_E_clISt17integral_constantIbLb1EES1O_IbLb0EEEEDaS1K_S1L_EUlS1K_E_NS1_11comp_targetILNS1_3genE9ELNS1_11target_archE1100ELNS1_3gpuE3ELNS1_3repE0EEENS1_30default_config_static_selectorELNS0_4arch9wavefront6targetE1EEEvSY_.has_dyn_sized_stack, 0
	.set _ZN7rocprim17ROCPRIM_400000_NS6detail17trampoline_kernelINS0_13select_configILj256ELj13ELNS0_17block_load_methodE3ELS4_3ELS4_3ELNS0_20block_scan_algorithmE0ELj4294967295EEENS1_25partition_config_selectorILNS1_17partition_subalgoE3EjNS0_10empty_typeEbEEZZNS1_14partition_implILS8_3ELb0ES6_jNS0_17counting_iteratorIjlEEPS9_SE_NS0_5tupleIJPjSE_EEENSF_IJSE_SE_EEES9_SG_JZNS1_25segmented_radix_sort_implINS0_14default_configELb0EPKhPhPKlPlN2at6native12_GLOBAL__N_18offset_tEEE10hipError_tPvRmT1_PNSt15iterator_traitsISY_E10value_typeET2_T3_PNSZ_IS14_E10value_typeET4_jRbjT5_S1A_jjP12ihipStream_tbEUljE_EEESV_SW_SX_S14_S18_S1A_T6_T7_T9_mT8_S1C_bDpT10_ENKUlT_T0_E_clISt17integral_constantIbLb1EES1O_IbLb0EEEEDaS1K_S1L_EUlS1K_E_NS1_11comp_targetILNS1_3genE9ELNS1_11target_archE1100ELNS1_3gpuE3ELNS1_3repE0EEENS1_30default_config_static_selectorELNS0_4arch9wavefront6targetE1EEEvSY_.has_recursion, 0
	.set _ZN7rocprim17ROCPRIM_400000_NS6detail17trampoline_kernelINS0_13select_configILj256ELj13ELNS0_17block_load_methodE3ELS4_3ELS4_3ELNS0_20block_scan_algorithmE0ELj4294967295EEENS1_25partition_config_selectorILNS1_17partition_subalgoE3EjNS0_10empty_typeEbEEZZNS1_14partition_implILS8_3ELb0ES6_jNS0_17counting_iteratorIjlEEPS9_SE_NS0_5tupleIJPjSE_EEENSF_IJSE_SE_EEES9_SG_JZNS1_25segmented_radix_sort_implINS0_14default_configELb0EPKhPhPKlPlN2at6native12_GLOBAL__N_18offset_tEEE10hipError_tPvRmT1_PNSt15iterator_traitsISY_E10value_typeET2_T3_PNSZ_IS14_E10value_typeET4_jRbjT5_S1A_jjP12ihipStream_tbEUljE_EEESV_SW_SX_S14_S18_S1A_T6_T7_T9_mT8_S1C_bDpT10_ENKUlT_T0_E_clISt17integral_constantIbLb1EES1O_IbLb0EEEEDaS1K_S1L_EUlS1K_E_NS1_11comp_targetILNS1_3genE9ELNS1_11target_archE1100ELNS1_3gpuE3ELNS1_3repE0EEENS1_30default_config_static_selectorELNS0_4arch9wavefront6targetE1EEEvSY_.has_indirect_call, 0
	.section	.AMDGPU.csdata,"",@progbits
; Kernel info:
; codeLenInByte = 0
; TotalNumSgprs: 4
; NumVgprs: 0
; ScratchSize: 0
; MemoryBound: 0
; FloatMode: 240
; IeeeMode: 1
; LDSByteSize: 0 bytes/workgroup (compile time only)
; SGPRBlocks: 0
; VGPRBlocks: 0
; NumSGPRsForWavesPerEU: 4
; NumVGPRsForWavesPerEU: 1
; Occupancy: 10
; WaveLimiterHint : 0
; COMPUTE_PGM_RSRC2:SCRATCH_EN: 0
; COMPUTE_PGM_RSRC2:USER_SGPR: 6
; COMPUTE_PGM_RSRC2:TRAP_HANDLER: 0
; COMPUTE_PGM_RSRC2:TGID_X_EN: 1
; COMPUTE_PGM_RSRC2:TGID_Y_EN: 0
; COMPUTE_PGM_RSRC2:TGID_Z_EN: 0
; COMPUTE_PGM_RSRC2:TIDIG_COMP_CNT: 0
	.section	.text._ZN7rocprim17ROCPRIM_400000_NS6detail17trampoline_kernelINS0_13select_configILj256ELj13ELNS0_17block_load_methodE3ELS4_3ELS4_3ELNS0_20block_scan_algorithmE0ELj4294967295EEENS1_25partition_config_selectorILNS1_17partition_subalgoE3EjNS0_10empty_typeEbEEZZNS1_14partition_implILS8_3ELb0ES6_jNS0_17counting_iteratorIjlEEPS9_SE_NS0_5tupleIJPjSE_EEENSF_IJSE_SE_EEES9_SG_JZNS1_25segmented_radix_sort_implINS0_14default_configELb0EPKhPhPKlPlN2at6native12_GLOBAL__N_18offset_tEEE10hipError_tPvRmT1_PNSt15iterator_traitsISY_E10value_typeET2_T3_PNSZ_IS14_E10value_typeET4_jRbjT5_S1A_jjP12ihipStream_tbEUljE_EEESV_SW_SX_S14_S18_S1A_T6_T7_T9_mT8_S1C_bDpT10_ENKUlT_T0_E_clISt17integral_constantIbLb1EES1O_IbLb0EEEEDaS1K_S1L_EUlS1K_E_NS1_11comp_targetILNS1_3genE8ELNS1_11target_archE1030ELNS1_3gpuE2ELNS1_3repE0EEENS1_30default_config_static_selectorELNS0_4arch9wavefront6targetE1EEEvSY_,"axG",@progbits,_ZN7rocprim17ROCPRIM_400000_NS6detail17trampoline_kernelINS0_13select_configILj256ELj13ELNS0_17block_load_methodE3ELS4_3ELS4_3ELNS0_20block_scan_algorithmE0ELj4294967295EEENS1_25partition_config_selectorILNS1_17partition_subalgoE3EjNS0_10empty_typeEbEEZZNS1_14partition_implILS8_3ELb0ES6_jNS0_17counting_iteratorIjlEEPS9_SE_NS0_5tupleIJPjSE_EEENSF_IJSE_SE_EEES9_SG_JZNS1_25segmented_radix_sort_implINS0_14default_configELb0EPKhPhPKlPlN2at6native12_GLOBAL__N_18offset_tEEE10hipError_tPvRmT1_PNSt15iterator_traitsISY_E10value_typeET2_T3_PNSZ_IS14_E10value_typeET4_jRbjT5_S1A_jjP12ihipStream_tbEUljE_EEESV_SW_SX_S14_S18_S1A_T6_T7_T9_mT8_S1C_bDpT10_ENKUlT_T0_E_clISt17integral_constantIbLb1EES1O_IbLb0EEEEDaS1K_S1L_EUlS1K_E_NS1_11comp_targetILNS1_3genE8ELNS1_11target_archE1030ELNS1_3gpuE2ELNS1_3repE0EEENS1_30default_config_static_selectorELNS0_4arch9wavefront6targetE1EEEvSY_,comdat
	.globl	_ZN7rocprim17ROCPRIM_400000_NS6detail17trampoline_kernelINS0_13select_configILj256ELj13ELNS0_17block_load_methodE3ELS4_3ELS4_3ELNS0_20block_scan_algorithmE0ELj4294967295EEENS1_25partition_config_selectorILNS1_17partition_subalgoE3EjNS0_10empty_typeEbEEZZNS1_14partition_implILS8_3ELb0ES6_jNS0_17counting_iteratorIjlEEPS9_SE_NS0_5tupleIJPjSE_EEENSF_IJSE_SE_EEES9_SG_JZNS1_25segmented_radix_sort_implINS0_14default_configELb0EPKhPhPKlPlN2at6native12_GLOBAL__N_18offset_tEEE10hipError_tPvRmT1_PNSt15iterator_traitsISY_E10value_typeET2_T3_PNSZ_IS14_E10value_typeET4_jRbjT5_S1A_jjP12ihipStream_tbEUljE_EEESV_SW_SX_S14_S18_S1A_T6_T7_T9_mT8_S1C_bDpT10_ENKUlT_T0_E_clISt17integral_constantIbLb1EES1O_IbLb0EEEEDaS1K_S1L_EUlS1K_E_NS1_11comp_targetILNS1_3genE8ELNS1_11target_archE1030ELNS1_3gpuE2ELNS1_3repE0EEENS1_30default_config_static_selectorELNS0_4arch9wavefront6targetE1EEEvSY_ ; -- Begin function _ZN7rocprim17ROCPRIM_400000_NS6detail17trampoline_kernelINS0_13select_configILj256ELj13ELNS0_17block_load_methodE3ELS4_3ELS4_3ELNS0_20block_scan_algorithmE0ELj4294967295EEENS1_25partition_config_selectorILNS1_17partition_subalgoE3EjNS0_10empty_typeEbEEZZNS1_14partition_implILS8_3ELb0ES6_jNS0_17counting_iteratorIjlEEPS9_SE_NS0_5tupleIJPjSE_EEENSF_IJSE_SE_EEES9_SG_JZNS1_25segmented_radix_sort_implINS0_14default_configELb0EPKhPhPKlPlN2at6native12_GLOBAL__N_18offset_tEEE10hipError_tPvRmT1_PNSt15iterator_traitsISY_E10value_typeET2_T3_PNSZ_IS14_E10value_typeET4_jRbjT5_S1A_jjP12ihipStream_tbEUljE_EEESV_SW_SX_S14_S18_S1A_T6_T7_T9_mT8_S1C_bDpT10_ENKUlT_T0_E_clISt17integral_constantIbLb1EES1O_IbLb0EEEEDaS1K_S1L_EUlS1K_E_NS1_11comp_targetILNS1_3genE8ELNS1_11target_archE1030ELNS1_3gpuE2ELNS1_3repE0EEENS1_30default_config_static_selectorELNS0_4arch9wavefront6targetE1EEEvSY_
	.p2align	8
	.type	_ZN7rocprim17ROCPRIM_400000_NS6detail17trampoline_kernelINS0_13select_configILj256ELj13ELNS0_17block_load_methodE3ELS4_3ELS4_3ELNS0_20block_scan_algorithmE0ELj4294967295EEENS1_25partition_config_selectorILNS1_17partition_subalgoE3EjNS0_10empty_typeEbEEZZNS1_14partition_implILS8_3ELb0ES6_jNS0_17counting_iteratorIjlEEPS9_SE_NS0_5tupleIJPjSE_EEENSF_IJSE_SE_EEES9_SG_JZNS1_25segmented_radix_sort_implINS0_14default_configELb0EPKhPhPKlPlN2at6native12_GLOBAL__N_18offset_tEEE10hipError_tPvRmT1_PNSt15iterator_traitsISY_E10value_typeET2_T3_PNSZ_IS14_E10value_typeET4_jRbjT5_S1A_jjP12ihipStream_tbEUljE_EEESV_SW_SX_S14_S18_S1A_T6_T7_T9_mT8_S1C_bDpT10_ENKUlT_T0_E_clISt17integral_constantIbLb1EES1O_IbLb0EEEEDaS1K_S1L_EUlS1K_E_NS1_11comp_targetILNS1_3genE8ELNS1_11target_archE1030ELNS1_3gpuE2ELNS1_3repE0EEENS1_30default_config_static_selectorELNS0_4arch9wavefront6targetE1EEEvSY_,@function
_ZN7rocprim17ROCPRIM_400000_NS6detail17trampoline_kernelINS0_13select_configILj256ELj13ELNS0_17block_load_methodE3ELS4_3ELS4_3ELNS0_20block_scan_algorithmE0ELj4294967295EEENS1_25partition_config_selectorILNS1_17partition_subalgoE3EjNS0_10empty_typeEbEEZZNS1_14partition_implILS8_3ELb0ES6_jNS0_17counting_iteratorIjlEEPS9_SE_NS0_5tupleIJPjSE_EEENSF_IJSE_SE_EEES9_SG_JZNS1_25segmented_radix_sort_implINS0_14default_configELb0EPKhPhPKlPlN2at6native12_GLOBAL__N_18offset_tEEE10hipError_tPvRmT1_PNSt15iterator_traitsISY_E10value_typeET2_T3_PNSZ_IS14_E10value_typeET4_jRbjT5_S1A_jjP12ihipStream_tbEUljE_EEESV_SW_SX_S14_S18_S1A_T6_T7_T9_mT8_S1C_bDpT10_ENKUlT_T0_E_clISt17integral_constantIbLb1EES1O_IbLb0EEEEDaS1K_S1L_EUlS1K_E_NS1_11comp_targetILNS1_3genE8ELNS1_11target_archE1030ELNS1_3gpuE2ELNS1_3repE0EEENS1_30default_config_static_selectorELNS0_4arch9wavefront6targetE1EEEvSY_: ; @_ZN7rocprim17ROCPRIM_400000_NS6detail17trampoline_kernelINS0_13select_configILj256ELj13ELNS0_17block_load_methodE3ELS4_3ELS4_3ELNS0_20block_scan_algorithmE0ELj4294967295EEENS1_25partition_config_selectorILNS1_17partition_subalgoE3EjNS0_10empty_typeEbEEZZNS1_14partition_implILS8_3ELb0ES6_jNS0_17counting_iteratorIjlEEPS9_SE_NS0_5tupleIJPjSE_EEENSF_IJSE_SE_EEES9_SG_JZNS1_25segmented_radix_sort_implINS0_14default_configELb0EPKhPhPKlPlN2at6native12_GLOBAL__N_18offset_tEEE10hipError_tPvRmT1_PNSt15iterator_traitsISY_E10value_typeET2_T3_PNSZ_IS14_E10value_typeET4_jRbjT5_S1A_jjP12ihipStream_tbEUljE_EEESV_SW_SX_S14_S18_S1A_T6_T7_T9_mT8_S1C_bDpT10_ENKUlT_T0_E_clISt17integral_constantIbLb1EES1O_IbLb0EEEEDaS1K_S1L_EUlS1K_E_NS1_11comp_targetILNS1_3genE8ELNS1_11target_archE1030ELNS1_3gpuE2ELNS1_3repE0EEENS1_30default_config_static_selectorELNS0_4arch9wavefront6targetE1EEEvSY_
; %bb.0:
	.section	.rodata,"a",@progbits
	.p2align	6, 0x0
	.amdhsa_kernel _ZN7rocprim17ROCPRIM_400000_NS6detail17trampoline_kernelINS0_13select_configILj256ELj13ELNS0_17block_load_methodE3ELS4_3ELS4_3ELNS0_20block_scan_algorithmE0ELj4294967295EEENS1_25partition_config_selectorILNS1_17partition_subalgoE3EjNS0_10empty_typeEbEEZZNS1_14partition_implILS8_3ELb0ES6_jNS0_17counting_iteratorIjlEEPS9_SE_NS0_5tupleIJPjSE_EEENSF_IJSE_SE_EEES9_SG_JZNS1_25segmented_radix_sort_implINS0_14default_configELb0EPKhPhPKlPlN2at6native12_GLOBAL__N_18offset_tEEE10hipError_tPvRmT1_PNSt15iterator_traitsISY_E10value_typeET2_T3_PNSZ_IS14_E10value_typeET4_jRbjT5_S1A_jjP12ihipStream_tbEUljE_EEESV_SW_SX_S14_S18_S1A_T6_T7_T9_mT8_S1C_bDpT10_ENKUlT_T0_E_clISt17integral_constantIbLb1EES1O_IbLb0EEEEDaS1K_S1L_EUlS1K_E_NS1_11comp_targetILNS1_3genE8ELNS1_11target_archE1030ELNS1_3gpuE2ELNS1_3repE0EEENS1_30default_config_static_selectorELNS0_4arch9wavefront6targetE1EEEvSY_
		.amdhsa_group_segment_fixed_size 0
		.amdhsa_private_segment_fixed_size 0
		.amdhsa_kernarg_size 144
		.amdhsa_user_sgpr_count 6
		.amdhsa_user_sgpr_private_segment_buffer 1
		.amdhsa_user_sgpr_dispatch_ptr 0
		.amdhsa_user_sgpr_queue_ptr 0
		.amdhsa_user_sgpr_kernarg_segment_ptr 1
		.amdhsa_user_sgpr_dispatch_id 0
		.amdhsa_user_sgpr_flat_scratch_init 0
		.amdhsa_user_sgpr_private_segment_size 0
		.amdhsa_uses_dynamic_stack 0
		.amdhsa_system_sgpr_private_segment_wavefront_offset 0
		.amdhsa_system_sgpr_workgroup_id_x 1
		.amdhsa_system_sgpr_workgroup_id_y 0
		.amdhsa_system_sgpr_workgroup_id_z 0
		.amdhsa_system_sgpr_workgroup_info 0
		.amdhsa_system_vgpr_workitem_id 0
		.amdhsa_next_free_vgpr 1
		.amdhsa_next_free_sgpr 0
		.amdhsa_reserve_vcc 0
		.amdhsa_reserve_flat_scratch 0
		.amdhsa_float_round_mode_32 0
		.amdhsa_float_round_mode_16_64 0
		.amdhsa_float_denorm_mode_32 3
		.amdhsa_float_denorm_mode_16_64 3
		.amdhsa_dx10_clamp 1
		.amdhsa_ieee_mode 1
		.amdhsa_fp16_overflow 0
		.amdhsa_exception_fp_ieee_invalid_op 0
		.amdhsa_exception_fp_denorm_src 0
		.amdhsa_exception_fp_ieee_div_zero 0
		.amdhsa_exception_fp_ieee_overflow 0
		.amdhsa_exception_fp_ieee_underflow 0
		.amdhsa_exception_fp_ieee_inexact 0
		.amdhsa_exception_int_div_zero 0
	.end_amdhsa_kernel
	.section	.text._ZN7rocprim17ROCPRIM_400000_NS6detail17trampoline_kernelINS0_13select_configILj256ELj13ELNS0_17block_load_methodE3ELS4_3ELS4_3ELNS0_20block_scan_algorithmE0ELj4294967295EEENS1_25partition_config_selectorILNS1_17partition_subalgoE3EjNS0_10empty_typeEbEEZZNS1_14partition_implILS8_3ELb0ES6_jNS0_17counting_iteratorIjlEEPS9_SE_NS0_5tupleIJPjSE_EEENSF_IJSE_SE_EEES9_SG_JZNS1_25segmented_radix_sort_implINS0_14default_configELb0EPKhPhPKlPlN2at6native12_GLOBAL__N_18offset_tEEE10hipError_tPvRmT1_PNSt15iterator_traitsISY_E10value_typeET2_T3_PNSZ_IS14_E10value_typeET4_jRbjT5_S1A_jjP12ihipStream_tbEUljE_EEESV_SW_SX_S14_S18_S1A_T6_T7_T9_mT8_S1C_bDpT10_ENKUlT_T0_E_clISt17integral_constantIbLb1EES1O_IbLb0EEEEDaS1K_S1L_EUlS1K_E_NS1_11comp_targetILNS1_3genE8ELNS1_11target_archE1030ELNS1_3gpuE2ELNS1_3repE0EEENS1_30default_config_static_selectorELNS0_4arch9wavefront6targetE1EEEvSY_,"axG",@progbits,_ZN7rocprim17ROCPRIM_400000_NS6detail17trampoline_kernelINS0_13select_configILj256ELj13ELNS0_17block_load_methodE3ELS4_3ELS4_3ELNS0_20block_scan_algorithmE0ELj4294967295EEENS1_25partition_config_selectorILNS1_17partition_subalgoE3EjNS0_10empty_typeEbEEZZNS1_14partition_implILS8_3ELb0ES6_jNS0_17counting_iteratorIjlEEPS9_SE_NS0_5tupleIJPjSE_EEENSF_IJSE_SE_EEES9_SG_JZNS1_25segmented_radix_sort_implINS0_14default_configELb0EPKhPhPKlPlN2at6native12_GLOBAL__N_18offset_tEEE10hipError_tPvRmT1_PNSt15iterator_traitsISY_E10value_typeET2_T3_PNSZ_IS14_E10value_typeET4_jRbjT5_S1A_jjP12ihipStream_tbEUljE_EEESV_SW_SX_S14_S18_S1A_T6_T7_T9_mT8_S1C_bDpT10_ENKUlT_T0_E_clISt17integral_constantIbLb1EES1O_IbLb0EEEEDaS1K_S1L_EUlS1K_E_NS1_11comp_targetILNS1_3genE8ELNS1_11target_archE1030ELNS1_3gpuE2ELNS1_3repE0EEENS1_30default_config_static_selectorELNS0_4arch9wavefront6targetE1EEEvSY_,comdat
.Lfunc_end177:
	.size	_ZN7rocprim17ROCPRIM_400000_NS6detail17trampoline_kernelINS0_13select_configILj256ELj13ELNS0_17block_load_methodE3ELS4_3ELS4_3ELNS0_20block_scan_algorithmE0ELj4294967295EEENS1_25partition_config_selectorILNS1_17partition_subalgoE3EjNS0_10empty_typeEbEEZZNS1_14partition_implILS8_3ELb0ES6_jNS0_17counting_iteratorIjlEEPS9_SE_NS0_5tupleIJPjSE_EEENSF_IJSE_SE_EEES9_SG_JZNS1_25segmented_radix_sort_implINS0_14default_configELb0EPKhPhPKlPlN2at6native12_GLOBAL__N_18offset_tEEE10hipError_tPvRmT1_PNSt15iterator_traitsISY_E10value_typeET2_T3_PNSZ_IS14_E10value_typeET4_jRbjT5_S1A_jjP12ihipStream_tbEUljE_EEESV_SW_SX_S14_S18_S1A_T6_T7_T9_mT8_S1C_bDpT10_ENKUlT_T0_E_clISt17integral_constantIbLb1EES1O_IbLb0EEEEDaS1K_S1L_EUlS1K_E_NS1_11comp_targetILNS1_3genE8ELNS1_11target_archE1030ELNS1_3gpuE2ELNS1_3repE0EEENS1_30default_config_static_selectorELNS0_4arch9wavefront6targetE1EEEvSY_, .Lfunc_end177-_ZN7rocprim17ROCPRIM_400000_NS6detail17trampoline_kernelINS0_13select_configILj256ELj13ELNS0_17block_load_methodE3ELS4_3ELS4_3ELNS0_20block_scan_algorithmE0ELj4294967295EEENS1_25partition_config_selectorILNS1_17partition_subalgoE3EjNS0_10empty_typeEbEEZZNS1_14partition_implILS8_3ELb0ES6_jNS0_17counting_iteratorIjlEEPS9_SE_NS0_5tupleIJPjSE_EEENSF_IJSE_SE_EEES9_SG_JZNS1_25segmented_radix_sort_implINS0_14default_configELb0EPKhPhPKlPlN2at6native12_GLOBAL__N_18offset_tEEE10hipError_tPvRmT1_PNSt15iterator_traitsISY_E10value_typeET2_T3_PNSZ_IS14_E10value_typeET4_jRbjT5_S1A_jjP12ihipStream_tbEUljE_EEESV_SW_SX_S14_S18_S1A_T6_T7_T9_mT8_S1C_bDpT10_ENKUlT_T0_E_clISt17integral_constantIbLb1EES1O_IbLb0EEEEDaS1K_S1L_EUlS1K_E_NS1_11comp_targetILNS1_3genE8ELNS1_11target_archE1030ELNS1_3gpuE2ELNS1_3repE0EEENS1_30default_config_static_selectorELNS0_4arch9wavefront6targetE1EEEvSY_
                                        ; -- End function
	.set _ZN7rocprim17ROCPRIM_400000_NS6detail17trampoline_kernelINS0_13select_configILj256ELj13ELNS0_17block_load_methodE3ELS4_3ELS4_3ELNS0_20block_scan_algorithmE0ELj4294967295EEENS1_25partition_config_selectorILNS1_17partition_subalgoE3EjNS0_10empty_typeEbEEZZNS1_14partition_implILS8_3ELb0ES6_jNS0_17counting_iteratorIjlEEPS9_SE_NS0_5tupleIJPjSE_EEENSF_IJSE_SE_EEES9_SG_JZNS1_25segmented_radix_sort_implINS0_14default_configELb0EPKhPhPKlPlN2at6native12_GLOBAL__N_18offset_tEEE10hipError_tPvRmT1_PNSt15iterator_traitsISY_E10value_typeET2_T3_PNSZ_IS14_E10value_typeET4_jRbjT5_S1A_jjP12ihipStream_tbEUljE_EEESV_SW_SX_S14_S18_S1A_T6_T7_T9_mT8_S1C_bDpT10_ENKUlT_T0_E_clISt17integral_constantIbLb1EES1O_IbLb0EEEEDaS1K_S1L_EUlS1K_E_NS1_11comp_targetILNS1_3genE8ELNS1_11target_archE1030ELNS1_3gpuE2ELNS1_3repE0EEENS1_30default_config_static_selectorELNS0_4arch9wavefront6targetE1EEEvSY_.num_vgpr, 0
	.set _ZN7rocprim17ROCPRIM_400000_NS6detail17trampoline_kernelINS0_13select_configILj256ELj13ELNS0_17block_load_methodE3ELS4_3ELS4_3ELNS0_20block_scan_algorithmE0ELj4294967295EEENS1_25partition_config_selectorILNS1_17partition_subalgoE3EjNS0_10empty_typeEbEEZZNS1_14partition_implILS8_3ELb0ES6_jNS0_17counting_iteratorIjlEEPS9_SE_NS0_5tupleIJPjSE_EEENSF_IJSE_SE_EEES9_SG_JZNS1_25segmented_radix_sort_implINS0_14default_configELb0EPKhPhPKlPlN2at6native12_GLOBAL__N_18offset_tEEE10hipError_tPvRmT1_PNSt15iterator_traitsISY_E10value_typeET2_T3_PNSZ_IS14_E10value_typeET4_jRbjT5_S1A_jjP12ihipStream_tbEUljE_EEESV_SW_SX_S14_S18_S1A_T6_T7_T9_mT8_S1C_bDpT10_ENKUlT_T0_E_clISt17integral_constantIbLb1EES1O_IbLb0EEEEDaS1K_S1L_EUlS1K_E_NS1_11comp_targetILNS1_3genE8ELNS1_11target_archE1030ELNS1_3gpuE2ELNS1_3repE0EEENS1_30default_config_static_selectorELNS0_4arch9wavefront6targetE1EEEvSY_.num_agpr, 0
	.set _ZN7rocprim17ROCPRIM_400000_NS6detail17trampoline_kernelINS0_13select_configILj256ELj13ELNS0_17block_load_methodE3ELS4_3ELS4_3ELNS0_20block_scan_algorithmE0ELj4294967295EEENS1_25partition_config_selectorILNS1_17partition_subalgoE3EjNS0_10empty_typeEbEEZZNS1_14partition_implILS8_3ELb0ES6_jNS0_17counting_iteratorIjlEEPS9_SE_NS0_5tupleIJPjSE_EEENSF_IJSE_SE_EEES9_SG_JZNS1_25segmented_radix_sort_implINS0_14default_configELb0EPKhPhPKlPlN2at6native12_GLOBAL__N_18offset_tEEE10hipError_tPvRmT1_PNSt15iterator_traitsISY_E10value_typeET2_T3_PNSZ_IS14_E10value_typeET4_jRbjT5_S1A_jjP12ihipStream_tbEUljE_EEESV_SW_SX_S14_S18_S1A_T6_T7_T9_mT8_S1C_bDpT10_ENKUlT_T0_E_clISt17integral_constantIbLb1EES1O_IbLb0EEEEDaS1K_S1L_EUlS1K_E_NS1_11comp_targetILNS1_3genE8ELNS1_11target_archE1030ELNS1_3gpuE2ELNS1_3repE0EEENS1_30default_config_static_selectorELNS0_4arch9wavefront6targetE1EEEvSY_.numbered_sgpr, 0
	.set _ZN7rocprim17ROCPRIM_400000_NS6detail17trampoline_kernelINS0_13select_configILj256ELj13ELNS0_17block_load_methodE3ELS4_3ELS4_3ELNS0_20block_scan_algorithmE0ELj4294967295EEENS1_25partition_config_selectorILNS1_17partition_subalgoE3EjNS0_10empty_typeEbEEZZNS1_14partition_implILS8_3ELb0ES6_jNS0_17counting_iteratorIjlEEPS9_SE_NS0_5tupleIJPjSE_EEENSF_IJSE_SE_EEES9_SG_JZNS1_25segmented_radix_sort_implINS0_14default_configELb0EPKhPhPKlPlN2at6native12_GLOBAL__N_18offset_tEEE10hipError_tPvRmT1_PNSt15iterator_traitsISY_E10value_typeET2_T3_PNSZ_IS14_E10value_typeET4_jRbjT5_S1A_jjP12ihipStream_tbEUljE_EEESV_SW_SX_S14_S18_S1A_T6_T7_T9_mT8_S1C_bDpT10_ENKUlT_T0_E_clISt17integral_constantIbLb1EES1O_IbLb0EEEEDaS1K_S1L_EUlS1K_E_NS1_11comp_targetILNS1_3genE8ELNS1_11target_archE1030ELNS1_3gpuE2ELNS1_3repE0EEENS1_30default_config_static_selectorELNS0_4arch9wavefront6targetE1EEEvSY_.num_named_barrier, 0
	.set _ZN7rocprim17ROCPRIM_400000_NS6detail17trampoline_kernelINS0_13select_configILj256ELj13ELNS0_17block_load_methodE3ELS4_3ELS4_3ELNS0_20block_scan_algorithmE0ELj4294967295EEENS1_25partition_config_selectorILNS1_17partition_subalgoE3EjNS0_10empty_typeEbEEZZNS1_14partition_implILS8_3ELb0ES6_jNS0_17counting_iteratorIjlEEPS9_SE_NS0_5tupleIJPjSE_EEENSF_IJSE_SE_EEES9_SG_JZNS1_25segmented_radix_sort_implINS0_14default_configELb0EPKhPhPKlPlN2at6native12_GLOBAL__N_18offset_tEEE10hipError_tPvRmT1_PNSt15iterator_traitsISY_E10value_typeET2_T3_PNSZ_IS14_E10value_typeET4_jRbjT5_S1A_jjP12ihipStream_tbEUljE_EEESV_SW_SX_S14_S18_S1A_T6_T7_T9_mT8_S1C_bDpT10_ENKUlT_T0_E_clISt17integral_constantIbLb1EES1O_IbLb0EEEEDaS1K_S1L_EUlS1K_E_NS1_11comp_targetILNS1_3genE8ELNS1_11target_archE1030ELNS1_3gpuE2ELNS1_3repE0EEENS1_30default_config_static_selectorELNS0_4arch9wavefront6targetE1EEEvSY_.private_seg_size, 0
	.set _ZN7rocprim17ROCPRIM_400000_NS6detail17trampoline_kernelINS0_13select_configILj256ELj13ELNS0_17block_load_methodE3ELS4_3ELS4_3ELNS0_20block_scan_algorithmE0ELj4294967295EEENS1_25partition_config_selectorILNS1_17partition_subalgoE3EjNS0_10empty_typeEbEEZZNS1_14partition_implILS8_3ELb0ES6_jNS0_17counting_iteratorIjlEEPS9_SE_NS0_5tupleIJPjSE_EEENSF_IJSE_SE_EEES9_SG_JZNS1_25segmented_radix_sort_implINS0_14default_configELb0EPKhPhPKlPlN2at6native12_GLOBAL__N_18offset_tEEE10hipError_tPvRmT1_PNSt15iterator_traitsISY_E10value_typeET2_T3_PNSZ_IS14_E10value_typeET4_jRbjT5_S1A_jjP12ihipStream_tbEUljE_EEESV_SW_SX_S14_S18_S1A_T6_T7_T9_mT8_S1C_bDpT10_ENKUlT_T0_E_clISt17integral_constantIbLb1EES1O_IbLb0EEEEDaS1K_S1L_EUlS1K_E_NS1_11comp_targetILNS1_3genE8ELNS1_11target_archE1030ELNS1_3gpuE2ELNS1_3repE0EEENS1_30default_config_static_selectorELNS0_4arch9wavefront6targetE1EEEvSY_.uses_vcc, 0
	.set _ZN7rocprim17ROCPRIM_400000_NS6detail17trampoline_kernelINS0_13select_configILj256ELj13ELNS0_17block_load_methodE3ELS4_3ELS4_3ELNS0_20block_scan_algorithmE0ELj4294967295EEENS1_25partition_config_selectorILNS1_17partition_subalgoE3EjNS0_10empty_typeEbEEZZNS1_14partition_implILS8_3ELb0ES6_jNS0_17counting_iteratorIjlEEPS9_SE_NS0_5tupleIJPjSE_EEENSF_IJSE_SE_EEES9_SG_JZNS1_25segmented_radix_sort_implINS0_14default_configELb0EPKhPhPKlPlN2at6native12_GLOBAL__N_18offset_tEEE10hipError_tPvRmT1_PNSt15iterator_traitsISY_E10value_typeET2_T3_PNSZ_IS14_E10value_typeET4_jRbjT5_S1A_jjP12ihipStream_tbEUljE_EEESV_SW_SX_S14_S18_S1A_T6_T7_T9_mT8_S1C_bDpT10_ENKUlT_T0_E_clISt17integral_constantIbLb1EES1O_IbLb0EEEEDaS1K_S1L_EUlS1K_E_NS1_11comp_targetILNS1_3genE8ELNS1_11target_archE1030ELNS1_3gpuE2ELNS1_3repE0EEENS1_30default_config_static_selectorELNS0_4arch9wavefront6targetE1EEEvSY_.uses_flat_scratch, 0
	.set _ZN7rocprim17ROCPRIM_400000_NS6detail17trampoline_kernelINS0_13select_configILj256ELj13ELNS0_17block_load_methodE3ELS4_3ELS4_3ELNS0_20block_scan_algorithmE0ELj4294967295EEENS1_25partition_config_selectorILNS1_17partition_subalgoE3EjNS0_10empty_typeEbEEZZNS1_14partition_implILS8_3ELb0ES6_jNS0_17counting_iteratorIjlEEPS9_SE_NS0_5tupleIJPjSE_EEENSF_IJSE_SE_EEES9_SG_JZNS1_25segmented_radix_sort_implINS0_14default_configELb0EPKhPhPKlPlN2at6native12_GLOBAL__N_18offset_tEEE10hipError_tPvRmT1_PNSt15iterator_traitsISY_E10value_typeET2_T3_PNSZ_IS14_E10value_typeET4_jRbjT5_S1A_jjP12ihipStream_tbEUljE_EEESV_SW_SX_S14_S18_S1A_T6_T7_T9_mT8_S1C_bDpT10_ENKUlT_T0_E_clISt17integral_constantIbLb1EES1O_IbLb0EEEEDaS1K_S1L_EUlS1K_E_NS1_11comp_targetILNS1_3genE8ELNS1_11target_archE1030ELNS1_3gpuE2ELNS1_3repE0EEENS1_30default_config_static_selectorELNS0_4arch9wavefront6targetE1EEEvSY_.has_dyn_sized_stack, 0
	.set _ZN7rocprim17ROCPRIM_400000_NS6detail17trampoline_kernelINS0_13select_configILj256ELj13ELNS0_17block_load_methodE3ELS4_3ELS4_3ELNS0_20block_scan_algorithmE0ELj4294967295EEENS1_25partition_config_selectorILNS1_17partition_subalgoE3EjNS0_10empty_typeEbEEZZNS1_14partition_implILS8_3ELb0ES6_jNS0_17counting_iteratorIjlEEPS9_SE_NS0_5tupleIJPjSE_EEENSF_IJSE_SE_EEES9_SG_JZNS1_25segmented_radix_sort_implINS0_14default_configELb0EPKhPhPKlPlN2at6native12_GLOBAL__N_18offset_tEEE10hipError_tPvRmT1_PNSt15iterator_traitsISY_E10value_typeET2_T3_PNSZ_IS14_E10value_typeET4_jRbjT5_S1A_jjP12ihipStream_tbEUljE_EEESV_SW_SX_S14_S18_S1A_T6_T7_T9_mT8_S1C_bDpT10_ENKUlT_T0_E_clISt17integral_constantIbLb1EES1O_IbLb0EEEEDaS1K_S1L_EUlS1K_E_NS1_11comp_targetILNS1_3genE8ELNS1_11target_archE1030ELNS1_3gpuE2ELNS1_3repE0EEENS1_30default_config_static_selectorELNS0_4arch9wavefront6targetE1EEEvSY_.has_recursion, 0
	.set _ZN7rocprim17ROCPRIM_400000_NS6detail17trampoline_kernelINS0_13select_configILj256ELj13ELNS0_17block_load_methodE3ELS4_3ELS4_3ELNS0_20block_scan_algorithmE0ELj4294967295EEENS1_25partition_config_selectorILNS1_17partition_subalgoE3EjNS0_10empty_typeEbEEZZNS1_14partition_implILS8_3ELb0ES6_jNS0_17counting_iteratorIjlEEPS9_SE_NS0_5tupleIJPjSE_EEENSF_IJSE_SE_EEES9_SG_JZNS1_25segmented_radix_sort_implINS0_14default_configELb0EPKhPhPKlPlN2at6native12_GLOBAL__N_18offset_tEEE10hipError_tPvRmT1_PNSt15iterator_traitsISY_E10value_typeET2_T3_PNSZ_IS14_E10value_typeET4_jRbjT5_S1A_jjP12ihipStream_tbEUljE_EEESV_SW_SX_S14_S18_S1A_T6_T7_T9_mT8_S1C_bDpT10_ENKUlT_T0_E_clISt17integral_constantIbLb1EES1O_IbLb0EEEEDaS1K_S1L_EUlS1K_E_NS1_11comp_targetILNS1_3genE8ELNS1_11target_archE1030ELNS1_3gpuE2ELNS1_3repE0EEENS1_30default_config_static_selectorELNS0_4arch9wavefront6targetE1EEEvSY_.has_indirect_call, 0
	.section	.AMDGPU.csdata,"",@progbits
; Kernel info:
; codeLenInByte = 0
; TotalNumSgprs: 4
; NumVgprs: 0
; ScratchSize: 0
; MemoryBound: 0
; FloatMode: 240
; IeeeMode: 1
; LDSByteSize: 0 bytes/workgroup (compile time only)
; SGPRBlocks: 0
; VGPRBlocks: 0
; NumSGPRsForWavesPerEU: 4
; NumVGPRsForWavesPerEU: 1
; Occupancy: 10
; WaveLimiterHint : 0
; COMPUTE_PGM_RSRC2:SCRATCH_EN: 0
; COMPUTE_PGM_RSRC2:USER_SGPR: 6
; COMPUTE_PGM_RSRC2:TRAP_HANDLER: 0
; COMPUTE_PGM_RSRC2:TGID_X_EN: 1
; COMPUTE_PGM_RSRC2:TGID_Y_EN: 0
; COMPUTE_PGM_RSRC2:TGID_Z_EN: 0
; COMPUTE_PGM_RSRC2:TIDIG_COMP_CNT: 0
	.section	.text._ZN7rocprim17ROCPRIM_400000_NS6detail17trampoline_kernelINS0_13select_configILj256ELj13ELNS0_17block_load_methodE3ELS4_3ELS4_3ELNS0_20block_scan_algorithmE0ELj4294967295EEENS1_25partition_config_selectorILNS1_17partition_subalgoE3EjNS0_10empty_typeEbEEZZNS1_14partition_implILS8_3ELb0ES6_jNS0_17counting_iteratorIjlEEPS9_SE_NS0_5tupleIJPjSE_EEENSF_IJSE_SE_EEES9_SG_JZNS1_25segmented_radix_sort_implINS0_14default_configELb0EPKhPhPKlPlN2at6native12_GLOBAL__N_18offset_tEEE10hipError_tPvRmT1_PNSt15iterator_traitsISY_E10value_typeET2_T3_PNSZ_IS14_E10value_typeET4_jRbjT5_S1A_jjP12ihipStream_tbEUljE_EEESV_SW_SX_S14_S18_S1A_T6_T7_T9_mT8_S1C_bDpT10_ENKUlT_T0_E_clISt17integral_constantIbLb0EES1O_IbLb1EEEEDaS1K_S1L_EUlS1K_E_NS1_11comp_targetILNS1_3genE0ELNS1_11target_archE4294967295ELNS1_3gpuE0ELNS1_3repE0EEENS1_30default_config_static_selectorELNS0_4arch9wavefront6targetE1EEEvSY_,"axG",@progbits,_ZN7rocprim17ROCPRIM_400000_NS6detail17trampoline_kernelINS0_13select_configILj256ELj13ELNS0_17block_load_methodE3ELS4_3ELS4_3ELNS0_20block_scan_algorithmE0ELj4294967295EEENS1_25partition_config_selectorILNS1_17partition_subalgoE3EjNS0_10empty_typeEbEEZZNS1_14partition_implILS8_3ELb0ES6_jNS0_17counting_iteratorIjlEEPS9_SE_NS0_5tupleIJPjSE_EEENSF_IJSE_SE_EEES9_SG_JZNS1_25segmented_radix_sort_implINS0_14default_configELb0EPKhPhPKlPlN2at6native12_GLOBAL__N_18offset_tEEE10hipError_tPvRmT1_PNSt15iterator_traitsISY_E10value_typeET2_T3_PNSZ_IS14_E10value_typeET4_jRbjT5_S1A_jjP12ihipStream_tbEUljE_EEESV_SW_SX_S14_S18_S1A_T6_T7_T9_mT8_S1C_bDpT10_ENKUlT_T0_E_clISt17integral_constantIbLb0EES1O_IbLb1EEEEDaS1K_S1L_EUlS1K_E_NS1_11comp_targetILNS1_3genE0ELNS1_11target_archE4294967295ELNS1_3gpuE0ELNS1_3repE0EEENS1_30default_config_static_selectorELNS0_4arch9wavefront6targetE1EEEvSY_,comdat
	.globl	_ZN7rocprim17ROCPRIM_400000_NS6detail17trampoline_kernelINS0_13select_configILj256ELj13ELNS0_17block_load_methodE3ELS4_3ELS4_3ELNS0_20block_scan_algorithmE0ELj4294967295EEENS1_25partition_config_selectorILNS1_17partition_subalgoE3EjNS0_10empty_typeEbEEZZNS1_14partition_implILS8_3ELb0ES6_jNS0_17counting_iteratorIjlEEPS9_SE_NS0_5tupleIJPjSE_EEENSF_IJSE_SE_EEES9_SG_JZNS1_25segmented_radix_sort_implINS0_14default_configELb0EPKhPhPKlPlN2at6native12_GLOBAL__N_18offset_tEEE10hipError_tPvRmT1_PNSt15iterator_traitsISY_E10value_typeET2_T3_PNSZ_IS14_E10value_typeET4_jRbjT5_S1A_jjP12ihipStream_tbEUljE_EEESV_SW_SX_S14_S18_S1A_T6_T7_T9_mT8_S1C_bDpT10_ENKUlT_T0_E_clISt17integral_constantIbLb0EES1O_IbLb1EEEEDaS1K_S1L_EUlS1K_E_NS1_11comp_targetILNS1_3genE0ELNS1_11target_archE4294967295ELNS1_3gpuE0ELNS1_3repE0EEENS1_30default_config_static_selectorELNS0_4arch9wavefront6targetE1EEEvSY_ ; -- Begin function _ZN7rocprim17ROCPRIM_400000_NS6detail17trampoline_kernelINS0_13select_configILj256ELj13ELNS0_17block_load_methodE3ELS4_3ELS4_3ELNS0_20block_scan_algorithmE0ELj4294967295EEENS1_25partition_config_selectorILNS1_17partition_subalgoE3EjNS0_10empty_typeEbEEZZNS1_14partition_implILS8_3ELb0ES6_jNS0_17counting_iteratorIjlEEPS9_SE_NS0_5tupleIJPjSE_EEENSF_IJSE_SE_EEES9_SG_JZNS1_25segmented_radix_sort_implINS0_14default_configELb0EPKhPhPKlPlN2at6native12_GLOBAL__N_18offset_tEEE10hipError_tPvRmT1_PNSt15iterator_traitsISY_E10value_typeET2_T3_PNSZ_IS14_E10value_typeET4_jRbjT5_S1A_jjP12ihipStream_tbEUljE_EEESV_SW_SX_S14_S18_S1A_T6_T7_T9_mT8_S1C_bDpT10_ENKUlT_T0_E_clISt17integral_constantIbLb0EES1O_IbLb1EEEEDaS1K_S1L_EUlS1K_E_NS1_11comp_targetILNS1_3genE0ELNS1_11target_archE4294967295ELNS1_3gpuE0ELNS1_3repE0EEENS1_30default_config_static_selectorELNS0_4arch9wavefront6targetE1EEEvSY_
	.p2align	8
	.type	_ZN7rocprim17ROCPRIM_400000_NS6detail17trampoline_kernelINS0_13select_configILj256ELj13ELNS0_17block_load_methodE3ELS4_3ELS4_3ELNS0_20block_scan_algorithmE0ELj4294967295EEENS1_25partition_config_selectorILNS1_17partition_subalgoE3EjNS0_10empty_typeEbEEZZNS1_14partition_implILS8_3ELb0ES6_jNS0_17counting_iteratorIjlEEPS9_SE_NS0_5tupleIJPjSE_EEENSF_IJSE_SE_EEES9_SG_JZNS1_25segmented_radix_sort_implINS0_14default_configELb0EPKhPhPKlPlN2at6native12_GLOBAL__N_18offset_tEEE10hipError_tPvRmT1_PNSt15iterator_traitsISY_E10value_typeET2_T3_PNSZ_IS14_E10value_typeET4_jRbjT5_S1A_jjP12ihipStream_tbEUljE_EEESV_SW_SX_S14_S18_S1A_T6_T7_T9_mT8_S1C_bDpT10_ENKUlT_T0_E_clISt17integral_constantIbLb0EES1O_IbLb1EEEEDaS1K_S1L_EUlS1K_E_NS1_11comp_targetILNS1_3genE0ELNS1_11target_archE4294967295ELNS1_3gpuE0ELNS1_3repE0EEENS1_30default_config_static_selectorELNS0_4arch9wavefront6targetE1EEEvSY_,@function
_ZN7rocprim17ROCPRIM_400000_NS6detail17trampoline_kernelINS0_13select_configILj256ELj13ELNS0_17block_load_methodE3ELS4_3ELS4_3ELNS0_20block_scan_algorithmE0ELj4294967295EEENS1_25partition_config_selectorILNS1_17partition_subalgoE3EjNS0_10empty_typeEbEEZZNS1_14partition_implILS8_3ELb0ES6_jNS0_17counting_iteratorIjlEEPS9_SE_NS0_5tupleIJPjSE_EEENSF_IJSE_SE_EEES9_SG_JZNS1_25segmented_radix_sort_implINS0_14default_configELb0EPKhPhPKlPlN2at6native12_GLOBAL__N_18offset_tEEE10hipError_tPvRmT1_PNSt15iterator_traitsISY_E10value_typeET2_T3_PNSZ_IS14_E10value_typeET4_jRbjT5_S1A_jjP12ihipStream_tbEUljE_EEESV_SW_SX_S14_S18_S1A_T6_T7_T9_mT8_S1C_bDpT10_ENKUlT_T0_E_clISt17integral_constantIbLb0EES1O_IbLb1EEEEDaS1K_S1L_EUlS1K_E_NS1_11comp_targetILNS1_3genE0ELNS1_11target_archE4294967295ELNS1_3gpuE0ELNS1_3repE0EEENS1_30default_config_static_selectorELNS0_4arch9wavefront6targetE1EEEvSY_: ; @_ZN7rocprim17ROCPRIM_400000_NS6detail17trampoline_kernelINS0_13select_configILj256ELj13ELNS0_17block_load_methodE3ELS4_3ELS4_3ELNS0_20block_scan_algorithmE0ELj4294967295EEENS1_25partition_config_selectorILNS1_17partition_subalgoE3EjNS0_10empty_typeEbEEZZNS1_14partition_implILS8_3ELb0ES6_jNS0_17counting_iteratorIjlEEPS9_SE_NS0_5tupleIJPjSE_EEENSF_IJSE_SE_EEES9_SG_JZNS1_25segmented_radix_sort_implINS0_14default_configELb0EPKhPhPKlPlN2at6native12_GLOBAL__N_18offset_tEEE10hipError_tPvRmT1_PNSt15iterator_traitsISY_E10value_typeET2_T3_PNSZ_IS14_E10value_typeET4_jRbjT5_S1A_jjP12ihipStream_tbEUljE_EEESV_SW_SX_S14_S18_S1A_T6_T7_T9_mT8_S1C_bDpT10_ENKUlT_T0_E_clISt17integral_constantIbLb0EES1O_IbLb1EEEEDaS1K_S1L_EUlS1K_E_NS1_11comp_targetILNS1_3genE0ELNS1_11target_archE4294967295ELNS1_3gpuE0ELNS1_3repE0EEENS1_30default_config_static_selectorELNS0_4arch9wavefront6targetE1EEEvSY_
; %bb.0:
	.section	.rodata,"a",@progbits
	.p2align	6, 0x0
	.amdhsa_kernel _ZN7rocprim17ROCPRIM_400000_NS6detail17trampoline_kernelINS0_13select_configILj256ELj13ELNS0_17block_load_methodE3ELS4_3ELS4_3ELNS0_20block_scan_algorithmE0ELj4294967295EEENS1_25partition_config_selectorILNS1_17partition_subalgoE3EjNS0_10empty_typeEbEEZZNS1_14partition_implILS8_3ELb0ES6_jNS0_17counting_iteratorIjlEEPS9_SE_NS0_5tupleIJPjSE_EEENSF_IJSE_SE_EEES9_SG_JZNS1_25segmented_radix_sort_implINS0_14default_configELb0EPKhPhPKlPlN2at6native12_GLOBAL__N_18offset_tEEE10hipError_tPvRmT1_PNSt15iterator_traitsISY_E10value_typeET2_T3_PNSZ_IS14_E10value_typeET4_jRbjT5_S1A_jjP12ihipStream_tbEUljE_EEESV_SW_SX_S14_S18_S1A_T6_T7_T9_mT8_S1C_bDpT10_ENKUlT_T0_E_clISt17integral_constantIbLb0EES1O_IbLb1EEEEDaS1K_S1L_EUlS1K_E_NS1_11comp_targetILNS1_3genE0ELNS1_11target_archE4294967295ELNS1_3gpuE0ELNS1_3repE0EEENS1_30default_config_static_selectorELNS0_4arch9wavefront6targetE1EEEvSY_
		.amdhsa_group_segment_fixed_size 0
		.amdhsa_private_segment_fixed_size 0
		.amdhsa_kernarg_size 152
		.amdhsa_user_sgpr_count 6
		.amdhsa_user_sgpr_private_segment_buffer 1
		.amdhsa_user_sgpr_dispatch_ptr 0
		.amdhsa_user_sgpr_queue_ptr 0
		.amdhsa_user_sgpr_kernarg_segment_ptr 1
		.amdhsa_user_sgpr_dispatch_id 0
		.amdhsa_user_sgpr_flat_scratch_init 0
		.amdhsa_user_sgpr_private_segment_size 0
		.amdhsa_uses_dynamic_stack 0
		.amdhsa_system_sgpr_private_segment_wavefront_offset 0
		.amdhsa_system_sgpr_workgroup_id_x 1
		.amdhsa_system_sgpr_workgroup_id_y 0
		.amdhsa_system_sgpr_workgroup_id_z 0
		.amdhsa_system_sgpr_workgroup_info 0
		.amdhsa_system_vgpr_workitem_id 0
		.amdhsa_next_free_vgpr 1
		.amdhsa_next_free_sgpr 0
		.amdhsa_reserve_vcc 0
		.amdhsa_reserve_flat_scratch 0
		.amdhsa_float_round_mode_32 0
		.amdhsa_float_round_mode_16_64 0
		.amdhsa_float_denorm_mode_32 3
		.amdhsa_float_denorm_mode_16_64 3
		.amdhsa_dx10_clamp 1
		.amdhsa_ieee_mode 1
		.amdhsa_fp16_overflow 0
		.amdhsa_exception_fp_ieee_invalid_op 0
		.amdhsa_exception_fp_denorm_src 0
		.amdhsa_exception_fp_ieee_div_zero 0
		.amdhsa_exception_fp_ieee_overflow 0
		.amdhsa_exception_fp_ieee_underflow 0
		.amdhsa_exception_fp_ieee_inexact 0
		.amdhsa_exception_int_div_zero 0
	.end_amdhsa_kernel
	.section	.text._ZN7rocprim17ROCPRIM_400000_NS6detail17trampoline_kernelINS0_13select_configILj256ELj13ELNS0_17block_load_methodE3ELS4_3ELS4_3ELNS0_20block_scan_algorithmE0ELj4294967295EEENS1_25partition_config_selectorILNS1_17partition_subalgoE3EjNS0_10empty_typeEbEEZZNS1_14partition_implILS8_3ELb0ES6_jNS0_17counting_iteratorIjlEEPS9_SE_NS0_5tupleIJPjSE_EEENSF_IJSE_SE_EEES9_SG_JZNS1_25segmented_radix_sort_implINS0_14default_configELb0EPKhPhPKlPlN2at6native12_GLOBAL__N_18offset_tEEE10hipError_tPvRmT1_PNSt15iterator_traitsISY_E10value_typeET2_T3_PNSZ_IS14_E10value_typeET4_jRbjT5_S1A_jjP12ihipStream_tbEUljE_EEESV_SW_SX_S14_S18_S1A_T6_T7_T9_mT8_S1C_bDpT10_ENKUlT_T0_E_clISt17integral_constantIbLb0EES1O_IbLb1EEEEDaS1K_S1L_EUlS1K_E_NS1_11comp_targetILNS1_3genE0ELNS1_11target_archE4294967295ELNS1_3gpuE0ELNS1_3repE0EEENS1_30default_config_static_selectorELNS0_4arch9wavefront6targetE1EEEvSY_,"axG",@progbits,_ZN7rocprim17ROCPRIM_400000_NS6detail17trampoline_kernelINS0_13select_configILj256ELj13ELNS0_17block_load_methodE3ELS4_3ELS4_3ELNS0_20block_scan_algorithmE0ELj4294967295EEENS1_25partition_config_selectorILNS1_17partition_subalgoE3EjNS0_10empty_typeEbEEZZNS1_14partition_implILS8_3ELb0ES6_jNS0_17counting_iteratorIjlEEPS9_SE_NS0_5tupleIJPjSE_EEENSF_IJSE_SE_EEES9_SG_JZNS1_25segmented_radix_sort_implINS0_14default_configELb0EPKhPhPKlPlN2at6native12_GLOBAL__N_18offset_tEEE10hipError_tPvRmT1_PNSt15iterator_traitsISY_E10value_typeET2_T3_PNSZ_IS14_E10value_typeET4_jRbjT5_S1A_jjP12ihipStream_tbEUljE_EEESV_SW_SX_S14_S18_S1A_T6_T7_T9_mT8_S1C_bDpT10_ENKUlT_T0_E_clISt17integral_constantIbLb0EES1O_IbLb1EEEEDaS1K_S1L_EUlS1K_E_NS1_11comp_targetILNS1_3genE0ELNS1_11target_archE4294967295ELNS1_3gpuE0ELNS1_3repE0EEENS1_30default_config_static_selectorELNS0_4arch9wavefront6targetE1EEEvSY_,comdat
.Lfunc_end178:
	.size	_ZN7rocprim17ROCPRIM_400000_NS6detail17trampoline_kernelINS0_13select_configILj256ELj13ELNS0_17block_load_methodE3ELS4_3ELS4_3ELNS0_20block_scan_algorithmE0ELj4294967295EEENS1_25partition_config_selectorILNS1_17partition_subalgoE3EjNS0_10empty_typeEbEEZZNS1_14partition_implILS8_3ELb0ES6_jNS0_17counting_iteratorIjlEEPS9_SE_NS0_5tupleIJPjSE_EEENSF_IJSE_SE_EEES9_SG_JZNS1_25segmented_radix_sort_implINS0_14default_configELb0EPKhPhPKlPlN2at6native12_GLOBAL__N_18offset_tEEE10hipError_tPvRmT1_PNSt15iterator_traitsISY_E10value_typeET2_T3_PNSZ_IS14_E10value_typeET4_jRbjT5_S1A_jjP12ihipStream_tbEUljE_EEESV_SW_SX_S14_S18_S1A_T6_T7_T9_mT8_S1C_bDpT10_ENKUlT_T0_E_clISt17integral_constantIbLb0EES1O_IbLb1EEEEDaS1K_S1L_EUlS1K_E_NS1_11comp_targetILNS1_3genE0ELNS1_11target_archE4294967295ELNS1_3gpuE0ELNS1_3repE0EEENS1_30default_config_static_selectorELNS0_4arch9wavefront6targetE1EEEvSY_, .Lfunc_end178-_ZN7rocprim17ROCPRIM_400000_NS6detail17trampoline_kernelINS0_13select_configILj256ELj13ELNS0_17block_load_methodE3ELS4_3ELS4_3ELNS0_20block_scan_algorithmE0ELj4294967295EEENS1_25partition_config_selectorILNS1_17partition_subalgoE3EjNS0_10empty_typeEbEEZZNS1_14partition_implILS8_3ELb0ES6_jNS0_17counting_iteratorIjlEEPS9_SE_NS0_5tupleIJPjSE_EEENSF_IJSE_SE_EEES9_SG_JZNS1_25segmented_radix_sort_implINS0_14default_configELb0EPKhPhPKlPlN2at6native12_GLOBAL__N_18offset_tEEE10hipError_tPvRmT1_PNSt15iterator_traitsISY_E10value_typeET2_T3_PNSZ_IS14_E10value_typeET4_jRbjT5_S1A_jjP12ihipStream_tbEUljE_EEESV_SW_SX_S14_S18_S1A_T6_T7_T9_mT8_S1C_bDpT10_ENKUlT_T0_E_clISt17integral_constantIbLb0EES1O_IbLb1EEEEDaS1K_S1L_EUlS1K_E_NS1_11comp_targetILNS1_3genE0ELNS1_11target_archE4294967295ELNS1_3gpuE0ELNS1_3repE0EEENS1_30default_config_static_selectorELNS0_4arch9wavefront6targetE1EEEvSY_
                                        ; -- End function
	.set _ZN7rocprim17ROCPRIM_400000_NS6detail17trampoline_kernelINS0_13select_configILj256ELj13ELNS0_17block_load_methodE3ELS4_3ELS4_3ELNS0_20block_scan_algorithmE0ELj4294967295EEENS1_25partition_config_selectorILNS1_17partition_subalgoE3EjNS0_10empty_typeEbEEZZNS1_14partition_implILS8_3ELb0ES6_jNS0_17counting_iteratorIjlEEPS9_SE_NS0_5tupleIJPjSE_EEENSF_IJSE_SE_EEES9_SG_JZNS1_25segmented_radix_sort_implINS0_14default_configELb0EPKhPhPKlPlN2at6native12_GLOBAL__N_18offset_tEEE10hipError_tPvRmT1_PNSt15iterator_traitsISY_E10value_typeET2_T3_PNSZ_IS14_E10value_typeET4_jRbjT5_S1A_jjP12ihipStream_tbEUljE_EEESV_SW_SX_S14_S18_S1A_T6_T7_T9_mT8_S1C_bDpT10_ENKUlT_T0_E_clISt17integral_constantIbLb0EES1O_IbLb1EEEEDaS1K_S1L_EUlS1K_E_NS1_11comp_targetILNS1_3genE0ELNS1_11target_archE4294967295ELNS1_3gpuE0ELNS1_3repE0EEENS1_30default_config_static_selectorELNS0_4arch9wavefront6targetE1EEEvSY_.num_vgpr, 0
	.set _ZN7rocprim17ROCPRIM_400000_NS6detail17trampoline_kernelINS0_13select_configILj256ELj13ELNS0_17block_load_methodE3ELS4_3ELS4_3ELNS0_20block_scan_algorithmE0ELj4294967295EEENS1_25partition_config_selectorILNS1_17partition_subalgoE3EjNS0_10empty_typeEbEEZZNS1_14partition_implILS8_3ELb0ES6_jNS0_17counting_iteratorIjlEEPS9_SE_NS0_5tupleIJPjSE_EEENSF_IJSE_SE_EEES9_SG_JZNS1_25segmented_radix_sort_implINS0_14default_configELb0EPKhPhPKlPlN2at6native12_GLOBAL__N_18offset_tEEE10hipError_tPvRmT1_PNSt15iterator_traitsISY_E10value_typeET2_T3_PNSZ_IS14_E10value_typeET4_jRbjT5_S1A_jjP12ihipStream_tbEUljE_EEESV_SW_SX_S14_S18_S1A_T6_T7_T9_mT8_S1C_bDpT10_ENKUlT_T0_E_clISt17integral_constantIbLb0EES1O_IbLb1EEEEDaS1K_S1L_EUlS1K_E_NS1_11comp_targetILNS1_3genE0ELNS1_11target_archE4294967295ELNS1_3gpuE0ELNS1_3repE0EEENS1_30default_config_static_selectorELNS0_4arch9wavefront6targetE1EEEvSY_.num_agpr, 0
	.set _ZN7rocprim17ROCPRIM_400000_NS6detail17trampoline_kernelINS0_13select_configILj256ELj13ELNS0_17block_load_methodE3ELS4_3ELS4_3ELNS0_20block_scan_algorithmE0ELj4294967295EEENS1_25partition_config_selectorILNS1_17partition_subalgoE3EjNS0_10empty_typeEbEEZZNS1_14partition_implILS8_3ELb0ES6_jNS0_17counting_iteratorIjlEEPS9_SE_NS0_5tupleIJPjSE_EEENSF_IJSE_SE_EEES9_SG_JZNS1_25segmented_radix_sort_implINS0_14default_configELb0EPKhPhPKlPlN2at6native12_GLOBAL__N_18offset_tEEE10hipError_tPvRmT1_PNSt15iterator_traitsISY_E10value_typeET2_T3_PNSZ_IS14_E10value_typeET4_jRbjT5_S1A_jjP12ihipStream_tbEUljE_EEESV_SW_SX_S14_S18_S1A_T6_T7_T9_mT8_S1C_bDpT10_ENKUlT_T0_E_clISt17integral_constantIbLb0EES1O_IbLb1EEEEDaS1K_S1L_EUlS1K_E_NS1_11comp_targetILNS1_3genE0ELNS1_11target_archE4294967295ELNS1_3gpuE0ELNS1_3repE0EEENS1_30default_config_static_selectorELNS0_4arch9wavefront6targetE1EEEvSY_.numbered_sgpr, 0
	.set _ZN7rocprim17ROCPRIM_400000_NS6detail17trampoline_kernelINS0_13select_configILj256ELj13ELNS0_17block_load_methodE3ELS4_3ELS4_3ELNS0_20block_scan_algorithmE0ELj4294967295EEENS1_25partition_config_selectorILNS1_17partition_subalgoE3EjNS0_10empty_typeEbEEZZNS1_14partition_implILS8_3ELb0ES6_jNS0_17counting_iteratorIjlEEPS9_SE_NS0_5tupleIJPjSE_EEENSF_IJSE_SE_EEES9_SG_JZNS1_25segmented_radix_sort_implINS0_14default_configELb0EPKhPhPKlPlN2at6native12_GLOBAL__N_18offset_tEEE10hipError_tPvRmT1_PNSt15iterator_traitsISY_E10value_typeET2_T3_PNSZ_IS14_E10value_typeET4_jRbjT5_S1A_jjP12ihipStream_tbEUljE_EEESV_SW_SX_S14_S18_S1A_T6_T7_T9_mT8_S1C_bDpT10_ENKUlT_T0_E_clISt17integral_constantIbLb0EES1O_IbLb1EEEEDaS1K_S1L_EUlS1K_E_NS1_11comp_targetILNS1_3genE0ELNS1_11target_archE4294967295ELNS1_3gpuE0ELNS1_3repE0EEENS1_30default_config_static_selectorELNS0_4arch9wavefront6targetE1EEEvSY_.num_named_barrier, 0
	.set _ZN7rocprim17ROCPRIM_400000_NS6detail17trampoline_kernelINS0_13select_configILj256ELj13ELNS0_17block_load_methodE3ELS4_3ELS4_3ELNS0_20block_scan_algorithmE0ELj4294967295EEENS1_25partition_config_selectorILNS1_17partition_subalgoE3EjNS0_10empty_typeEbEEZZNS1_14partition_implILS8_3ELb0ES6_jNS0_17counting_iteratorIjlEEPS9_SE_NS0_5tupleIJPjSE_EEENSF_IJSE_SE_EEES9_SG_JZNS1_25segmented_radix_sort_implINS0_14default_configELb0EPKhPhPKlPlN2at6native12_GLOBAL__N_18offset_tEEE10hipError_tPvRmT1_PNSt15iterator_traitsISY_E10value_typeET2_T3_PNSZ_IS14_E10value_typeET4_jRbjT5_S1A_jjP12ihipStream_tbEUljE_EEESV_SW_SX_S14_S18_S1A_T6_T7_T9_mT8_S1C_bDpT10_ENKUlT_T0_E_clISt17integral_constantIbLb0EES1O_IbLb1EEEEDaS1K_S1L_EUlS1K_E_NS1_11comp_targetILNS1_3genE0ELNS1_11target_archE4294967295ELNS1_3gpuE0ELNS1_3repE0EEENS1_30default_config_static_selectorELNS0_4arch9wavefront6targetE1EEEvSY_.private_seg_size, 0
	.set _ZN7rocprim17ROCPRIM_400000_NS6detail17trampoline_kernelINS0_13select_configILj256ELj13ELNS0_17block_load_methodE3ELS4_3ELS4_3ELNS0_20block_scan_algorithmE0ELj4294967295EEENS1_25partition_config_selectorILNS1_17partition_subalgoE3EjNS0_10empty_typeEbEEZZNS1_14partition_implILS8_3ELb0ES6_jNS0_17counting_iteratorIjlEEPS9_SE_NS0_5tupleIJPjSE_EEENSF_IJSE_SE_EEES9_SG_JZNS1_25segmented_radix_sort_implINS0_14default_configELb0EPKhPhPKlPlN2at6native12_GLOBAL__N_18offset_tEEE10hipError_tPvRmT1_PNSt15iterator_traitsISY_E10value_typeET2_T3_PNSZ_IS14_E10value_typeET4_jRbjT5_S1A_jjP12ihipStream_tbEUljE_EEESV_SW_SX_S14_S18_S1A_T6_T7_T9_mT8_S1C_bDpT10_ENKUlT_T0_E_clISt17integral_constantIbLb0EES1O_IbLb1EEEEDaS1K_S1L_EUlS1K_E_NS1_11comp_targetILNS1_3genE0ELNS1_11target_archE4294967295ELNS1_3gpuE0ELNS1_3repE0EEENS1_30default_config_static_selectorELNS0_4arch9wavefront6targetE1EEEvSY_.uses_vcc, 0
	.set _ZN7rocprim17ROCPRIM_400000_NS6detail17trampoline_kernelINS0_13select_configILj256ELj13ELNS0_17block_load_methodE3ELS4_3ELS4_3ELNS0_20block_scan_algorithmE0ELj4294967295EEENS1_25partition_config_selectorILNS1_17partition_subalgoE3EjNS0_10empty_typeEbEEZZNS1_14partition_implILS8_3ELb0ES6_jNS0_17counting_iteratorIjlEEPS9_SE_NS0_5tupleIJPjSE_EEENSF_IJSE_SE_EEES9_SG_JZNS1_25segmented_radix_sort_implINS0_14default_configELb0EPKhPhPKlPlN2at6native12_GLOBAL__N_18offset_tEEE10hipError_tPvRmT1_PNSt15iterator_traitsISY_E10value_typeET2_T3_PNSZ_IS14_E10value_typeET4_jRbjT5_S1A_jjP12ihipStream_tbEUljE_EEESV_SW_SX_S14_S18_S1A_T6_T7_T9_mT8_S1C_bDpT10_ENKUlT_T0_E_clISt17integral_constantIbLb0EES1O_IbLb1EEEEDaS1K_S1L_EUlS1K_E_NS1_11comp_targetILNS1_3genE0ELNS1_11target_archE4294967295ELNS1_3gpuE0ELNS1_3repE0EEENS1_30default_config_static_selectorELNS0_4arch9wavefront6targetE1EEEvSY_.uses_flat_scratch, 0
	.set _ZN7rocprim17ROCPRIM_400000_NS6detail17trampoline_kernelINS0_13select_configILj256ELj13ELNS0_17block_load_methodE3ELS4_3ELS4_3ELNS0_20block_scan_algorithmE0ELj4294967295EEENS1_25partition_config_selectorILNS1_17partition_subalgoE3EjNS0_10empty_typeEbEEZZNS1_14partition_implILS8_3ELb0ES6_jNS0_17counting_iteratorIjlEEPS9_SE_NS0_5tupleIJPjSE_EEENSF_IJSE_SE_EEES9_SG_JZNS1_25segmented_radix_sort_implINS0_14default_configELb0EPKhPhPKlPlN2at6native12_GLOBAL__N_18offset_tEEE10hipError_tPvRmT1_PNSt15iterator_traitsISY_E10value_typeET2_T3_PNSZ_IS14_E10value_typeET4_jRbjT5_S1A_jjP12ihipStream_tbEUljE_EEESV_SW_SX_S14_S18_S1A_T6_T7_T9_mT8_S1C_bDpT10_ENKUlT_T0_E_clISt17integral_constantIbLb0EES1O_IbLb1EEEEDaS1K_S1L_EUlS1K_E_NS1_11comp_targetILNS1_3genE0ELNS1_11target_archE4294967295ELNS1_3gpuE0ELNS1_3repE0EEENS1_30default_config_static_selectorELNS0_4arch9wavefront6targetE1EEEvSY_.has_dyn_sized_stack, 0
	.set _ZN7rocprim17ROCPRIM_400000_NS6detail17trampoline_kernelINS0_13select_configILj256ELj13ELNS0_17block_load_methodE3ELS4_3ELS4_3ELNS0_20block_scan_algorithmE0ELj4294967295EEENS1_25partition_config_selectorILNS1_17partition_subalgoE3EjNS0_10empty_typeEbEEZZNS1_14partition_implILS8_3ELb0ES6_jNS0_17counting_iteratorIjlEEPS9_SE_NS0_5tupleIJPjSE_EEENSF_IJSE_SE_EEES9_SG_JZNS1_25segmented_radix_sort_implINS0_14default_configELb0EPKhPhPKlPlN2at6native12_GLOBAL__N_18offset_tEEE10hipError_tPvRmT1_PNSt15iterator_traitsISY_E10value_typeET2_T3_PNSZ_IS14_E10value_typeET4_jRbjT5_S1A_jjP12ihipStream_tbEUljE_EEESV_SW_SX_S14_S18_S1A_T6_T7_T9_mT8_S1C_bDpT10_ENKUlT_T0_E_clISt17integral_constantIbLb0EES1O_IbLb1EEEEDaS1K_S1L_EUlS1K_E_NS1_11comp_targetILNS1_3genE0ELNS1_11target_archE4294967295ELNS1_3gpuE0ELNS1_3repE0EEENS1_30default_config_static_selectorELNS0_4arch9wavefront6targetE1EEEvSY_.has_recursion, 0
	.set _ZN7rocprim17ROCPRIM_400000_NS6detail17trampoline_kernelINS0_13select_configILj256ELj13ELNS0_17block_load_methodE3ELS4_3ELS4_3ELNS0_20block_scan_algorithmE0ELj4294967295EEENS1_25partition_config_selectorILNS1_17partition_subalgoE3EjNS0_10empty_typeEbEEZZNS1_14partition_implILS8_3ELb0ES6_jNS0_17counting_iteratorIjlEEPS9_SE_NS0_5tupleIJPjSE_EEENSF_IJSE_SE_EEES9_SG_JZNS1_25segmented_radix_sort_implINS0_14default_configELb0EPKhPhPKlPlN2at6native12_GLOBAL__N_18offset_tEEE10hipError_tPvRmT1_PNSt15iterator_traitsISY_E10value_typeET2_T3_PNSZ_IS14_E10value_typeET4_jRbjT5_S1A_jjP12ihipStream_tbEUljE_EEESV_SW_SX_S14_S18_S1A_T6_T7_T9_mT8_S1C_bDpT10_ENKUlT_T0_E_clISt17integral_constantIbLb0EES1O_IbLb1EEEEDaS1K_S1L_EUlS1K_E_NS1_11comp_targetILNS1_3genE0ELNS1_11target_archE4294967295ELNS1_3gpuE0ELNS1_3repE0EEENS1_30default_config_static_selectorELNS0_4arch9wavefront6targetE1EEEvSY_.has_indirect_call, 0
	.section	.AMDGPU.csdata,"",@progbits
; Kernel info:
; codeLenInByte = 0
; TotalNumSgprs: 4
; NumVgprs: 0
; ScratchSize: 0
; MemoryBound: 0
; FloatMode: 240
; IeeeMode: 1
; LDSByteSize: 0 bytes/workgroup (compile time only)
; SGPRBlocks: 0
; VGPRBlocks: 0
; NumSGPRsForWavesPerEU: 4
; NumVGPRsForWavesPerEU: 1
; Occupancy: 10
; WaveLimiterHint : 0
; COMPUTE_PGM_RSRC2:SCRATCH_EN: 0
; COMPUTE_PGM_RSRC2:USER_SGPR: 6
; COMPUTE_PGM_RSRC2:TRAP_HANDLER: 0
; COMPUTE_PGM_RSRC2:TGID_X_EN: 1
; COMPUTE_PGM_RSRC2:TGID_Y_EN: 0
; COMPUTE_PGM_RSRC2:TGID_Z_EN: 0
; COMPUTE_PGM_RSRC2:TIDIG_COMP_CNT: 0
	.section	.text._ZN7rocprim17ROCPRIM_400000_NS6detail17trampoline_kernelINS0_13select_configILj256ELj13ELNS0_17block_load_methodE3ELS4_3ELS4_3ELNS0_20block_scan_algorithmE0ELj4294967295EEENS1_25partition_config_selectorILNS1_17partition_subalgoE3EjNS0_10empty_typeEbEEZZNS1_14partition_implILS8_3ELb0ES6_jNS0_17counting_iteratorIjlEEPS9_SE_NS0_5tupleIJPjSE_EEENSF_IJSE_SE_EEES9_SG_JZNS1_25segmented_radix_sort_implINS0_14default_configELb0EPKhPhPKlPlN2at6native12_GLOBAL__N_18offset_tEEE10hipError_tPvRmT1_PNSt15iterator_traitsISY_E10value_typeET2_T3_PNSZ_IS14_E10value_typeET4_jRbjT5_S1A_jjP12ihipStream_tbEUljE_EEESV_SW_SX_S14_S18_S1A_T6_T7_T9_mT8_S1C_bDpT10_ENKUlT_T0_E_clISt17integral_constantIbLb0EES1O_IbLb1EEEEDaS1K_S1L_EUlS1K_E_NS1_11comp_targetILNS1_3genE5ELNS1_11target_archE942ELNS1_3gpuE9ELNS1_3repE0EEENS1_30default_config_static_selectorELNS0_4arch9wavefront6targetE1EEEvSY_,"axG",@progbits,_ZN7rocprim17ROCPRIM_400000_NS6detail17trampoline_kernelINS0_13select_configILj256ELj13ELNS0_17block_load_methodE3ELS4_3ELS4_3ELNS0_20block_scan_algorithmE0ELj4294967295EEENS1_25partition_config_selectorILNS1_17partition_subalgoE3EjNS0_10empty_typeEbEEZZNS1_14partition_implILS8_3ELb0ES6_jNS0_17counting_iteratorIjlEEPS9_SE_NS0_5tupleIJPjSE_EEENSF_IJSE_SE_EEES9_SG_JZNS1_25segmented_radix_sort_implINS0_14default_configELb0EPKhPhPKlPlN2at6native12_GLOBAL__N_18offset_tEEE10hipError_tPvRmT1_PNSt15iterator_traitsISY_E10value_typeET2_T3_PNSZ_IS14_E10value_typeET4_jRbjT5_S1A_jjP12ihipStream_tbEUljE_EEESV_SW_SX_S14_S18_S1A_T6_T7_T9_mT8_S1C_bDpT10_ENKUlT_T0_E_clISt17integral_constantIbLb0EES1O_IbLb1EEEEDaS1K_S1L_EUlS1K_E_NS1_11comp_targetILNS1_3genE5ELNS1_11target_archE942ELNS1_3gpuE9ELNS1_3repE0EEENS1_30default_config_static_selectorELNS0_4arch9wavefront6targetE1EEEvSY_,comdat
	.globl	_ZN7rocprim17ROCPRIM_400000_NS6detail17trampoline_kernelINS0_13select_configILj256ELj13ELNS0_17block_load_methodE3ELS4_3ELS4_3ELNS0_20block_scan_algorithmE0ELj4294967295EEENS1_25partition_config_selectorILNS1_17partition_subalgoE3EjNS0_10empty_typeEbEEZZNS1_14partition_implILS8_3ELb0ES6_jNS0_17counting_iteratorIjlEEPS9_SE_NS0_5tupleIJPjSE_EEENSF_IJSE_SE_EEES9_SG_JZNS1_25segmented_radix_sort_implINS0_14default_configELb0EPKhPhPKlPlN2at6native12_GLOBAL__N_18offset_tEEE10hipError_tPvRmT1_PNSt15iterator_traitsISY_E10value_typeET2_T3_PNSZ_IS14_E10value_typeET4_jRbjT5_S1A_jjP12ihipStream_tbEUljE_EEESV_SW_SX_S14_S18_S1A_T6_T7_T9_mT8_S1C_bDpT10_ENKUlT_T0_E_clISt17integral_constantIbLb0EES1O_IbLb1EEEEDaS1K_S1L_EUlS1K_E_NS1_11comp_targetILNS1_3genE5ELNS1_11target_archE942ELNS1_3gpuE9ELNS1_3repE0EEENS1_30default_config_static_selectorELNS0_4arch9wavefront6targetE1EEEvSY_ ; -- Begin function _ZN7rocprim17ROCPRIM_400000_NS6detail17trampoline_kernelINS0_13select_configILj256ELj13ELNS0_17block_load_methodE3ELS4_3ELS4_3ELNS0_20block_scan_algorithmE0ELj4294967295EEENS1_25partition_config_selectorILNS1_17partition_subalgoE3EjNS0_10empty_typeEbEEZZNS1_14partition_implILS8_3ELb0ES6_jNS0_17counting_iteratorIjlEEPS9_SE_NS0_5tupleIJPjSE_EEENSF_IJSE_SE_EEES9_SG_JZNS1_25segmented_radix_sort_implINS0_14default_configELb0EPKhPhPKlPlN2at6native12_GLOBAL__N_18offset_tEEE10hipError_tPvRmT1_PNSt15iterator_traitsISY_E10value_typeET2_T3_PNSZ_IS14_E10value_typeET4_jRbjT5_S1A_jjP12ihipStream_tbEUljE_EEESV_SW_SX_S14_S18_S1A_T6_T7_T9_mT8_S1C_bDpT10_ENKUlT_T0_E_clISt17integral_constantIbLb0EES1O_IbLb1EEEEDaS1K_S1L_EUlS1K_E_NS1_11comp_targetILNS1_3genE5ELNS1_11target_archE942ELNS1_3gpuE9ELNS1_3repE0EEENS1_30default_config_static_selectorELNS0_4arch9wavefront6targetE1EEEvSY_
	.p2align	8
	.type	_ZN7rocprim17ROCPRIM_400000_NS6detail17trampoline_kernelINS0_13select_configILj256ELj13ELNS0_17block_load_methodE3ELS4_3ELS4_3ELNS0_20block_scan_algorithmE0ELj4294967295EEENS1_25partition_config_selectorILNS1_17partition_subalgoE3EjNS0_10empty_typeEbEEZZNS1_14partition_implILS8_3ELb0ES6_jNS0_17counting_iteratorIjlEEPS9_SE_NS0_5tupleIJPjSE_EEENSF_IJSE_SE_EEES9_SG_JZNS1_25segmented_radix_sort_implINS0_14default_configELb0EPKhPhPKlPlN2at6native12_GLOBAL__N_18offset_tEEE10hipError_tPvRmT1_PNSt15iterator_traitsISY_E10value_typeET2_T3_PNSZ_IS14_E10value_typeET4_jRbjT5_S1A_jjP12ihipStream_tbEUljE_EEESV_SW_SX_S14_S18_S1A_T6_T7_T9_mT8_S1C_bDpT10_ENKUlT_T0_E_clISt17integral_constantIbLb0EES1O_IbLb1EEEEDaS1K_S1L_EUlS1K_E_NS1_11comp_targetILNS1_3genE5ELNS1_11target_archE942ELNS1_3gpuE9ELNS1_3repE0EEENS1_30default_config_static_selectorELNS0_4arch9wavefront6targetE1EEEvSY_,@function
_ZN7rocprim17ROCPRIM_400000_NS6detail17trampoline_kernelINS0_13select_configILj256ELj13ELNS0_17block_load_methodE3ELS4_3ELS4_3ELNS0_20block_scan_algorithmE0ELj4294967295EEENS1_25partition_config_selectorILNS1_17partition_subalgoE3EjNS0_10empty_typeEbEEZZNS1_14partition_implILS8_3ELb0ES6_jNS0_17counting_iteratorIjlEEPS9_SE_NS0_5tupleIJPjSE_EEENSF_IJSE_SE_EEES9_SG_JZNS1_25segmented_radix_sort_implINS0_14default_configELb0EPKhPhPKlPlN2at6native12_GLOBAL__N_18offset_tEEE10hipError_tPvRmT1_PNSt15iterator_traitsISY_E10value_typeET2_T3_PNSZ_IS14_E10value_typeET4_jRbjT5_S1A_jjP12ihipStream_tbEUljE_EEESV_SW_SX_S14_S18_S1A_T6_T7_T9_mT8_S1C_bDpT10_ENKUlT_T0_E_clISt17integral_constantIbLb0EES1O_IbLb1EEEEDaS1K_S1L_EUlS1K_E_NS1_11comp_targetILNS1_3genE5ELNS1_11target_archE942ELNS1_3gpuE9ELNS1_3repE0EEENS1_30default_config_static_selectorELNS0_4arch9wavefront6targetE1EEEvSY_: ; @_ZN7rocprim17ROCPRIM_400000_NS6detail17trampoline_kernelINS0_13select_configILj256ELj13ELNS0_17block_load_methodE3ELS4_3ELS4_3ELNS0_20block_scan_algorithmE0ELj4294967295EEENS1_25partition_config_selectorILNS1_17partition_subalgoE3EjNS0_10empty_typeEbEEZZNS1_14partition_implILS8_3ELb0ES6_jNS0_17counting_iteratorIjlEEPS9_SE_NS0_5tupleIJPjSE_EEENSF_IJSE_SE_EEES9_SG_JZNS1_25segmented_radix_sort_implINS0_14default_configELb0EPKhPhPKlPlN2at6native12_GLOBAL__N_18offset_tEEE10hipError_tPvRmT1_PNSt15iterator_traitsISY_E10value_typeET2_T3_PNSZ_IS14_E10value_typeET4_jRbjT5_S1A_jjP12ihipStream_tbEUljE_EEESV_SW_SX_S14_S18_S1A_T6_T7_T9_mT8_S1C_bDpT10_ENKUlT_T0_E_clISt17integral_constantIbLb0EES1O_IbLb1EEEEDaS1K_S1L_EUlS1K_E_NS1_11comp_targetILNS1_3genE5ELNS1_11target_archE942ELNS1_3gpuE9ELNS1_3repE0EEENS1_30default_config_static_selectorELNS0_4arch9wavefront6targetE1EEEvSY_
; %bb.0:
	.section	.rodata,"a",@progbits
	.p2align	6, 0x0
	.amdhsa_kernel _ZN7rocprim17ROCPRIM_400000_NS6detail17trampoline_kernelINS0_13select_configILj256ELj13ELNS0_17block_load_methodE3ELS4_3ELS4_3ELNS0_20block_scan_algorithmE0ELj4294967295EEENS1_25partition_config_selectorILNS1_17partition_subalgoE3EjNS0_10empty_typeEbEEZZNS1_14partition_implILS8_3ELb0ES6_jNS0_17counting_iteratorIjlEEPS9_SE_NS0_5tupleIJPjSE_EEENSF_IJSE_SE_EEES9_SG_JZNS1_25segmented_radix_sort_implINS0_14default_configELb0EPKhPhPKlPlN2at6native12_GLOBAL__N_18offset_tEEE10hipError_tPvRmT1_PNSt15iterator_traitsISY_E10value_typeET2_T3_PNSZ_IS14_E10value_typeET4_jRbjT5_S1A_jjP12ihipStream_tbEUljE_EEESV_SW_SX_S14_S18_S1A_T6_T7_T9_mT8_S1C_bDpT10_ENKUlT_T0_E_clISt17integral_constantIbLb0EES1O_IbLb1EEEEDaS1K_S1L_EUlS1K_E_NS1_11comp_targetILNS1_3genE5ELNS1_11target_archE942ELNS1_3gpuE9ELNS1_3repE0EEENS1_30default_config_static_selectorELNS0_4arch9wavefront6targetE1EEEvSY_
		.amdhsa_group_segment_fixed_size 0
		.amdhsa_private_segment_fixed_size 0
		.amdhsa_kernarg_size 152
		.amdhsa_user_sgpr_count 6
		.amdhsa_user_sgpr_private_segment_buffer 1
		.amdhsa_user_sgpr_dispatch_ptr 0
		.amdhsa_user_sgpr_queue_ptr 0
		.amdhsa_user_sgpr_kernarg_segment_ptr 1
		.amdhsa_user_sgpr_dispatch_id 0
		.amdhsa_user_sgpr_flat_scratch_init 0
		.amdhsa_user_sgpr_private_segment_size 0
		.amdhsa_uses_dynamic_stack 0
		.amdhsa_system_sgpr_private_segment_wavefront_offset 0
		.amdhsa_system_sgpr_workgroup_id_x 1
		.amdhsa_system_sgpr_workgroup_id_y 0
		.amdhsa_system_sgpr_workgroup_id_z 0
		.amdhsa_system_sgpr_workgroup_info 0
		.amdhsa_system_vgpr_workitem_id 0
		.amdhsa_next_free_vgpr 1
		.amdhsa_next_free_sgpr 0
		.amdhsa_reserve_vcc 0
		.amdhsa_reserve_flat_scratch 0
		.amdhsa_float_round_mode_32 0
		.amdhsa_float_round_mode_16_64 0
		.amdhsa_float_denorm_mode_32 3
		.amdhsa_float_denorm_mode_16_64 3
		.amdhsa_dx10_clamp 1
		.amdhsa_ieee_mode 1
		.amdhsa_fp16_overflow 0
		.amdhsa_exception_fp_ieee_invalid_op 0
		.amdhsa_exception_fp_denorm_src 0
		.amdhsa_exception_fp_ieee_div_zero 0
		.amdhsa_exception_fp_ieee_overflow 0
		.amdhsa_exception_fp_ieee_underflow 0
		.amdhsa_exception_fp_ieee_inexact 0
		.amdhsa_exception_int_div_zero 0
	.end_amdhsa_kernel
	.section	.text._ZN7rocprim17ROCPRIM_400000_NS6detail17trampoline_kernelINS0_13select_configILj256ELj13ELNS0_17block_load_methodE3ELS4_3ELS4_3ELNS0_20block_scan_algorithmE0ELj4294967295EEENS1_25partition_config_selectorILNS1_17partition_subalgoE3EjNS0_10empty_typeEbEEZZNS1_14partition_implILS8_3ELb0ES6_jNS0_17counting_iteratorIjlEEPS9_SE_NS0_5tupleIJPjSE_EEENSF_IJSE_SE_EEES9_SG_JZNS1_25segmented_radix_sort_implINS0_14default_configELb0EPKhPhPKlPlN2at6native12_GLOBAL__N_18offset_tEEE10hipError_tPvRmT1_PNSt15iterator_traitsISY_E10value_typeET2_T3_PNSZ_IS14_E10value_typeET4_jRbjT5_S1A_jjP12ihipStream_tbEUljE_EEESV_SW_SX_S14_S18_S1A_T6_T7_T9_mT8_S1C_bDpT10_ENKUlT_T0_E_clISt17integral_constantIbLb0EES1O_IbLb1EEEEDaS1K_S1L_EUlS1K_E_NS1_11comp_targetILNS1_3genE5ELNS1_11target_archE942ELNS1_3gpuE9ELNS1_3repE0EEENS1_30default_config_static_selectorELNS0_4arch9wavefront6targetE1EEEvSY_,"axG",@progbits,_ZN7rocprim17ROCPRIM_400000_NS6detail17trampoline_kernelINS0_13select_configILj256ELj13ELNS0_17block_load_methodE3ELS4_3ELS4_3ELNS0_20block_scan_algorithmE0ELj4294967295EEENS1_25partition_config_selectorILNS1_17partition_subalgoE3EjNS0_10empty_typeEbEEZZNS1_14partition_implILS8_3ELb0ES6_jNS0_17counting_iteratorIjlEEPS9_SE_NS0_5tupleIJPjSE_EEENSF_IJSE_SE_EEES9_SG_JZNS1_25segmented_radix_sort_implINS0_14default_configELb0EPKhPhPKlPlN2at6native12_GLOBAL__N_18offset_tEEE10hipError_tPvRmT1_PNSt15iterator_traitsISY_E10value_typeET2_T3_PNSZ_IS14_E10value_typeET4_jRbjT5_S1A_jjP12ihipStream_tbEUljE_EEESV_SW_SX_S14_S18_S1A_T6_T7_T9_mT8_S1C_bDpT10_ENKUlT_T0_E_clISt17integral_constantIbLb0EES1O_IbLb1EEEEDaS1K_S1L_EUlS1K_E_NS1_11comp_targetILNS1_3genE5ELNS1_11target_archE942ELNS1_3gpuE9ELNS1_3repE0EEENS1_30default_config_static_selectorELNS0_4arch9wavefront6targetE1EEEvSY_,comdat
.Lfunc_end179:
	.size	_ZN7rocprim17ROCPRIM_400000_NS6detail17trampoline_kernelINS0_13select_configILj256ELj13ELNS0_17block_load_methodE3ELS4_3ELS4_3ELNS0_20block_scan_algorithmE0ELj4294967295EEENS1_25partition_config_selectorILNS1_17partition_subalgoE3EjNS0_10empty_typeEbEEZZNS1_14partition_implILS8_3ELb0ES6_jNS0_17counting_iteratorIjlEEPS9_SE_NS0_5tupleIJPjSE_EEENSF_IJSE_SE_EEES9_SG_JZNS1_25segmented_radix_sort_implINS0_14default_configELb0EPKhPhPKlPlN2at6native12_GLOBAL__N_18offset_tEEE10hipError_tPvRmT1_PNSt15iterator_traitsISY_E10value_typeET2_T3_PNSZ_IS14_E10value_typeET4_jRbjT5_S1A_jjP12ihipStream_tbEUljE_EEESV_SW_SX_S14_S18_S1A_T6_T7_T9_mT8_S1C_bDpT10_ENKUlT_T0_E_clISt17integral_constantIbLb0EES1O_IbLb1EEEEDaS1K_S1L_EUlS1K_E_NS1_11comp_targetILNS1_3genE5ELNS1_11target_archE942ELNS1_3gpuE9ELNS1_3repE0EEENS1_30default_config_static_selectorELNS0_4arch9wavefront6targetE1EEEvSY_, .Lfunc_end179-_ZN7rocprim17ROCPRIM_400000_NS6detail17trampoline_kernelINS0_13select_configILj256ELj13ELNS0_17block_load_methodE3ELS4_3ELS4_3ELNS0_20block_scan_algorithmE0ELj4294967295EEENS1_25partition_config_selectorILNS1_17partition_subalgoE3EjNS0_10empty_typeEbEEZZNS1_14partition_implILS8_3ELb0ES6_jNS0_17counting_iteratorIjlEEPS9_SE_NS0_5tupleIJPjSE_EEENSF_IJSE_SE_EEES9_SG_JZNS1_25segmented_radix_sort_implINS0_14default_configELb0EPKhPhPKlPlN2at6native12_GLOBAL__N_18offset_tEEE10hipError_tPvRmT1_PNSt15iterator_traitsISY_E10value_typeET2_T3_PNSZ_IS14_E10value_typeET4_jRbjT5_S1A_jjP12ihipStream_tbEUljE_EEESV_SW_SX_S14_S18_S1A_T6_T7_T9_mT8_S1C_bDpT10_ENKUlT_T0_E_clISt17integral_constantIbLb0EES1O_IbLb1EEEEDaS1K_S1L_EUlS1K_E_NS1_11comp_targetILNS1_3genE5ELNS1_11target_archE942ELNS1_3gpuE9ELNS1_3repE0EEENS1_30default_config_static_selectorELNS0_4arch9wavefront6targetE1EEEvSY_
                                        ; -- End function
	.set _ZN7rocprim17ROCPRIM_400000_NS6detail17trampoline_kernelINS0_13select_configILj256ELj13ELNS0_17block_load_methodE3ELS4_3ELS4_3ELNS0_20block_scan_algorithmE0ELj4294967295EEENS1_25partition_config_selectorILNS1_17partition_subalgoE3EjNS0_10empty_typeEbEEZZNS1_14partition_implILS8_3ELb0ES6_jNS0_17counting_iteratorIjlEEPS9_SE_NS0_5tupleIJPjSE_EEENSF_IJSE_SE_EEES9_SG_JZNS1_25segmented_radix_sort_implINS0_14default_configELb0EPKhPhPKlPlN2at6native12_GLOBAL__N_18offset_tEEE10hipError_tPvRmT1_PNSt15iterator_traitsISY_E10value_typeET2_T3_PNSZ_IS14_E10value_typeET4_jRbjT5_S1A_jjP12ihipStream_tbEUljE_EEESV_SW_SX_S14_S18_S1A_T6_T7_T9_mT8_S1C_bDpT10_ENKUlT_T0_E_clISt17integral_constantIbLb0EES1O_IbLb1EEEEDaS1K_S1L_EUlS1K_E_NS1_11comp_targetILNS1_3genE5ELNS1_11target_archE942ELNS1_3gpuE9ELNS1_3repE0EEENS1_30default_config_static_selectorELNS0_4arch9wavefront6targetE1EEEvSY_.num_vgpr, 0
	.set _ZN7rocprim17ROCPRIM_400000_NS6detail17trampoline_kernelINS0_13select_configILj256ELj13ELNS0_17block_load_methodE3ELS4_3ELS4_3ELNS0_20block_scan_algorithmE0ELj4294967295EEENS1_25partition_config_selectorILNS1_17partition_subalgoE3EjNS0_10empty_typeEbEEZZNS1_14partition_implILS8_3ELb0ES6_jNS0_17counting_iteratorIjlEEPS9_SE_NS0_5tupleIJPjSE_EEENSF_IJSE_SE_EEES9_SG_JZNS1_25segmented_radix_sort_implINS0_14default_configELb0EPKhPhPKlPlN2at6native12_GLOBAL__N_18offset_tEEE10hipError_tPvRmT1_PNSt15iterator_traitsISY_E10value_typeET2_T3_PNSZ_IS14_E10value_typeET4_jRbjT5_S1A_jjP12ihipStream_tbEUljE_EEESV_SW_SX_S14_S18_S1A_T6_T7_T9_mT8_S1C_bDpT10_ENKUlT_T0_E_clISt17integral_constantIbLb0EES1O_IbLb1EEEEDaS1K_S1L_EUlS1K_E_NS1_11comp_targetILNS1_3genE5ELNS1_11target_archE942ELNS1_3gpuE9ELNS1_3repE0EEENS1_30default_config_static_selectorELNS0_4arch9wavefront6targetE1EEEvSY_.num_agpr, 0
	.set _ZN7rocprim17ROCPRIM_400000_NS6detail17trampoline_kernelINS0_13select_configILj256ELj13ELNS0_17block_load_methodE3ELS4_3ELS4_3ELNS0_20block_scan_algorithmE0ELj4294967295EEENS1_25partition_config_selectorILNS1_17partition_subalgoE3EjNS0_10empty_typeEbEEZZNS1_14partition_implILS8_3ELb0ES6_jNS0_17counting_iteratorIjlEEPS9_SE_NS0_5tupleIJPjSE_EEENSF_IJSE_SE_EEES9_SG_JZNS1_25segmented_radix_sort_implINS0_14default_configELb0EPKhPhPKlPlN2at6native12_GLOBAL__N_18offset_tEEE10hipError_tPvRmT1_PNSt15iterator_traitsISY_E10value_typeET2_T3_PNSZ_IS14_E10value_typeET4_jRbjT5_S1A_jjP12ihipStream_tbEUljE_EEESV_SW_SX_S14_S18_S1A_T6_T7_T9_mT8_S1C_bDpT10_ENKUlT_T0_E_clISt17integral_constantIbLb0EES1O_IbLb1EEEEDaS1K_S1L_EUlS1K_E_NS1_11comp_targetILNS1_3genE5ELNS1_11target_archE942ELNS1_3gpuE9ELNS1_3repE0EEENS1_30default_config_static_selectorELNS0_4arch9wavefront6targetE1EEEvSY_.numbered_sgpr, 0
	.set _ZN7rocprim17ROCPRIM_400000_NS6detail17trampoline_kernelINS0_13select_configILj256ELj13ELNS0_17block_load_methodE3ELS4_3ELS4_3ELNS0_20block_scan_algorithmE0ELj4294967295EEENS1_25partition_config_selectorILNS1_17partition_subalgoE3EjNS0_10empty_typeEbEEZZNS1_14partition_implILS8_3ELb0ES6_jNS0_17counting_iteratorIjlEEPS9_SE_NS0_5tupleIJPjSE_EEENSF_IJSE_SE_EEES9_SG_JZNS1_25segmented_radix_sort_implINS0_14default_configELb0EPKhPhPKlPlN2at6native12_GLOBAL__N_18offset_tEEE10hipError_tPvRmT1_PNSt15iterator_traitsISY_E10value_typeET2_T3_PNSZ_IS14_E10value_typeET4_jRbjT5_S1A_jjP12ihipStream_tbEUljE_EEESV_SW_SX_S14_S18_S1A_T6_T7_T9_mT8_S1C_bDpT10_ENKUlT_T0_E_clISt17integral_constantIbLb0EES1O_IbLb1EEEEDaS1K_S1L_EUlS1K_E_NS1_11comp_targetILNS1_3genE5ELNS1_11target_archE942ELNS1_3gpuE9ELNS1_3repE0EEENS1_30default_config_static_selectorELNS0_4arch9wavefront6targetE1EEEvSY_.num_named_barrier, 0
	.set _ZN7rocprim17ROCPRIM_400000_NS6detail17trampoline_kernelINS0_13select_configILj256ELj13ELNS0_17block_load_methodE3ELS4_3ELS4_3ELNS0_20block_scan_algorithmE0ELj4294967295EEENS1_25partition_config_selectorILNS1_17partition_subalgoE3EjNS0_10empty_typeEbEEZZNS1_14partition_implILS8_3ELb0ES6_jNS0_17counting_iteratorIjlEEPS9_SE_NS0_5tupleIJPjSE_EEENSF_IJSE_SE_EEES9_SG_JZNS1_25segmented_radix_sort_implINS0_14default_configELb0EPKhPhPKlPlN2at6native12_GLOBAL__N_18offset_tEEE10hipError_tPvRmT1_PNSt15iterator_traitsISY_E10value_typeET2_T3_PNSZ_IS14_E10value_typeET4_jRbjT5_S1A_jjP12ihipStream_tbEUljE_EEESV_SW_SX_S14_S18_S1A_T6_T7_T9_mT8_S1C_bDpT10_ENKUlT_T0_E_clISt17integral_constantIbLb0EES1O_IbLb1EEEEDaS1K_S1L_EUlS1K_E_NS1_11comp_targetILNS1_3genE5ELNS1_11target_archE942ELNS1_3gpuE9ELNS1_3repE0EEENS1_30default_config_static_selectorELNS0_4arch9wavefront6targetE1EEEvSY_.private_seg_size, 0
	.set _ZN7rocprim17ROCPRIM_400000_NS6detail17trampoline_kernelINS0_13select_configILj256ELj13ELNS0_17block_load_methodE3ELS4_3ELS4_3ELNS0_20block_scan_algorithmE0ELj4294967295EEENS1_25partition_config_selectorILNS1_17partition_subalgoE3EjNS0_10empty_typeEbEEZZNS1_14partition_implILS8_3ELb0ES6_jNS0_17counting_iteratorIjlEEPS9_SE_NS0_5tupleIJPjSE_EEENSF_IJSE_SE_EEES9_SG_JZNS1_25segmented_radix_sort_implINS0_14default_configELb0EPKhPhPKlPlN2at6native12_GLOBAL__N_18offset_tEEE10hipError_tPvRmT1_PNSt15iterator_traitsISY_E10value_typeET2_T3_PNSZ_IS14_E10value_typeET4_jRbjT5_S1A_jjP12ihipStream_tbEUljE_EEESV_SW_SX_S14_S18_S1A_T6_T7_T9_mT8_S1C_bDpT10_ENKUlT_T0_E_clISt17integral_constantIbLb0EES1O_IbLb1EEEEDaS1K_S1L_EUlS1K_E_NS1_11comp_targetILNS1_3genE5ELNS1_11target_archE942ELNS1_3gpuE9ELNS1_3repE0EEENS1_30default_config_static_selectorELNS0_4arch9wavefront6targetE1EEEvSY_.uses_vcc, 0
	.set _ZN7rocprim17ROCPRIM_400000_NS6detail17trampoline_kernelINS0_13select_configILj256ELj13ELNS0_17block_load_methodE3ELS4_3ELS4_3ELNS0_20block_scan_algorithmE0ELj4294967295EEENS1_25partition_config_selectorILNS1_17partition_subalgoE3EjNS0_10empty_typeEbEEZZNS1_14partition_implILS8_3ELb0ES6_jNS0_17counting_iteratorIjlEEPS9_SE_NS0_5tupleIJPjSE_EEENSF_IJSE_SE_EEES9_SG_JZNS1_25segmented_radix_sort_implINS0_14default_configELb0EPKhPhPKlPlN2at6native12_GLOBAL__N_18offset_tEEE10hipError_tPvRmT1_PNSt15iterator_traitsISY_E10value_typeET2_T3_PNSZ_IS14_E10value_typeET4_jRbjT5_S1A_jjP12ihipStream_tbEUljE_EEESV_SW_SX_S14_S18_S1A_T6_T7_T9_mT8_S1C_bDpT10_ENKUlT_T0_E_clISt17integral_constantIbLb0EES1O_IbLb1EEEEDaS1K_S1L_EUlS1K_E_NS1_11comp_targetILNS1_3genE5ELNS1_11target_archE942ELNS1_3gpuE9ELNS1_3repE0EEENS1_30default_config_static_selectorELNS0_4arch9wavefront6targetE1EEEvSY_.uses_flat_scratch, 0
	.set _ZN7rocprim17ROCPRIM_400000_NS6detail17trampoline_kernelINS0_13select_configILj256ELj13ELNS0_17block_load_methodE3ELS4_3ELS4_3ELNS0_20block_scan_algorithmE0ELj4294967295EEENS1_25partition_config_selectorILNS1_17partition_subalgoE3EjNS0_10empty_typeEbEEZZNS1_14partition_implILS8_3ELb0ES6_jNS0_17counting_iteratorIjlEEPS9_SE_NS0_5tupleIJPjSE_EEENSF_IJSE_SE_EEES9_SG_JZNS1_25segmented_radix_sort_implINS0_14default_configELb0EPKhPhPKlPlN2at6native12_GLOBAL__N_18offset_tEEE10hipError_tPvRmT1_PNSt15iterator_traitsISY_E10value_typeET2_T3_PNSZ_IS14_E10value_typeET4_jRbjT5_S1A_jjP12ihipStream_tbEUljE_EEESV_SW_SX_S14_S18_S1A_T6_T7_T9_mT8_S1C_bDpT10_ENKUlT_T0_E_clISt17integral_constantIbLb0EES1O_IbLb1EEEEDaS1K_S1L_EUlS1K_E_NS1_11comp_targetILNS1_3genE5ELNS1_11target_archE942ELNS1_3gpuE9ELNS1_3repE0EEENS1_30default_config_static_selectorELNS0_4arch9wavefront6targetE1EEEvSY_.has_dyn_sized_stack, 0
	.set _ZN7rocprim17ROCPRIM_400000_NS6detail17trampoline_kernelINS0_13select_configILj256ELj13ELNS0_17block_load_methodE3ELS4_3ELS4_3ELNS0_20block_scan_algorithmE0ELj4294967295EEENS1_25partition_config_selectorILNS1_17partition_subalgoE3EjNS0_10empty_typeEbEEZZNS1_14partition_implILS8_3ELb0ES6_jNS0_17counting_iteratorIjlEEPS9_SE_NS0_5tupleIJPjSE_EEENSF_IJSE_SE_EEES9_SG_JZNS1_25segmented_radix_sort_implINS0_14default_configELb0EPKhPhPKlPlN2at6native12_GLOBAL__N_18offset_tEEE10hipError_tPvRmT1_PNSt15iterator_traitsISY_E10value_typeET2_T3_PNSZ_IS14_E10value_typeET4_jRbjT5_S1A_jjP12ihipStream_tbEUljE_EEESV_SW_SX_S14_S18_S1A_T6_T7_T9_mT8_S1C_bDpT10_ENKUlT_T0_E_clISt17integral_constantIbLb0EES1O_IbLb1EEEEDaS1K_S1L_EUlS1K_E_NS1_11comp_targetILNS1_3genE5ELNS1_11target_archE942ELNS1_3gpuE9ELNS1_3repE0EEENS1_30default_config_static_selectorELNS0_4arch9wavefront6targetE1EEEvSY_.has_recursion, 0
	.set _ZN7rocprim17ROCPRIM_400000_NS6detail17trampoline_kernelINS0_13select_configILj256ELj13ELNS0_17block_load_methodE3ELS4_3ELS4_3ELNS0_20block_scan_algorithmE0ELj4294967295EEENS1_25partition_config_selectorILNS1_17partition_subalgoE3EjNS0_10empty_typeEbEEZZNS1_14partition_implILS8_3ELb0ES6_jNS0_17counting_iteratorIjlEEPS9_SE_NS0_5tupleIJPjSE_EEENSF_IJSE_SE_EEES9_SG_JZNS1_25segmented_radix_sort_implINS0_14default_configELb0EPKhPhPKlPlN2at6native12_GLOBAL__N_18offset_tEEE10hipError_tPvRmT1_PNSt15iterator_traitsISY_E10value_typeET2_T3_PNSZ_IS14_E10value_typeET4_jRbjT5_S1A_jjP12ihipStream_tbEUljE_EEESV_SW_SX_S14_S18_S1A_T6_T7_T9_mT8_S1C_bDpT10_ENKUlT_T0_E_clISt17integral_constantIbLb0EES1O_IbLb1EEEEDaS1K_S1L_EUlS1K_E_NS1_11comp_targetILNS1_3genE5ELNS1_11target_archE942ELNS1_3gpuE9ELNS1_3repE0EEENS1_30default_config_static_selectorELNS0_4arch9wavefront6targetE1EEEvSY_.has_indirect_call, 0
	.section	.AMDGPU.csdata,"",@progbits
; Kernel info:
; codeLenInByte = 0
; TotalNumSgprs: 4
; NumVgprs: 0
; ScratchSize: 0
; MemoryBound: 0
; FloatMode: 240
; IeeeMode: 1
; LDSByteSize: 0 bytes/workgroup (compile time only)
; SGPRBlocks: 0
; VGPRBlocks: 0
; NumSGPRsForWavesPerEU: 4
; NumVGPRsForWavesPerEU: 1
; Occupancy: 10
; WaveLimiterHint : 0
; COMPUTE_PGM_RSRC2:SCRATCH_EN: 0
; COMPUTE_PGM_RSRC2:USER_SGPR: 6
; COMPUTE_PGM_RSRC2:TRAP_HANDLER: 0
; COMPUTE_PGM_RSRC2:TGID_X_EN: 1
; COMPUTE_PGM_RSRC2:TGID_Y_EN: 0
; COMPUTE_PGM_RSRC2:TGID_Z_EN: 0
; COMPUTE_PGM_RSRC2:TIDIG_COMP_CNT: 0
	.section	.text._ZN7rocprim17ROCPRIM_400000_NS6detail17trampoline_kernelINS0_13select_configILj256ELj13ELNS0_17block_load_methodE3ELS4_3ELS4_3ELNS0_20block_scan_algorithmE0ELj4294967295EEENS1_25partition_config_selectorILNS1_17partition_subalgoE3EjNS0_10empty_typeEbEEZZNS1_14partition_implILS8_3ELb0ES6_jNS0_17counting_iteratorIjlEEPS9_SE_NS0_5tupleIJPjSE_EEENSF_IJSE_SE_EEES9_SG_JZNS1_25segmented_radix_sort_implINS0_14default_configELb0EPKhPhPKlPlN2at6native12_GLOBAL__N_18offset_tEEE10hipError_tPvRmT1_PNSt15iterator_traitsISY_E10value_typeET2_T3_PNSZ_IS14_E10value_typeET4_jRbjT5_S1A_jjP12ihipStream_tbEUljE_EEESV_SW_SX_S14_S18_S1A_T6_T7_T9_mT8_S1C_bDpT10_ENKUlT_T0_E_clISt17integral_constantIbLb0EES1O_IbLb1EEEEDaS1K_S1L_EUlS1K_E_NS1_11comp_targetILNS1_3genE4ELNS1_11target_archE910ELNS1_3gpuE8ELNS1_3repE0EEENS1_30default_config_static_selectorELNS0_4arch9wavefront6targetE1EEEvSY_,"axG",@progbits,_ZN7rocprim17ROCPRIM_400000_NS6detail17trampoline_kernelINS0_13select_configILj256ELj13ELNS0_17block_load_methodE3ELS4_3ELS4_3ELNS0_20block_scan_algorithmE0ELj4294967295EEENS1_25partition_config_selectorILNS1_17partition_subalgoE3EjNS0_10empty_typeEbEEZZNS1_14partition_implILS8_3ELb0ES6_jNS0_17counting_iteratorIjlEEPS9_SE_NS0_5tupleIJPjSE_EEENSF_IJSE_SE_EEES9_SG_JZNS1_25segmented_radix_sort_implINS0_14default_configELb0EPKhPhPKlPlN2at6native12_GLOBAL__N_18offset_tEEE10hipError_tPvRmT1_PNSt15iterator_traitsISY_E10value_typeET2_T3_PNSZ_IS14_E10value_typeET4_jRbjT5_S1A_jjP12ihipStream_tbEUljE_EEESV_SW_SX_S14_S18_S1A_T6_T7_T9_mT8_S1C_bDpT10_ENKUlT_T0_E_clISt17integral_constantIbLb0EES1O_IbLb1EEEEDaS1K_S1L_EUlS1K_E_NS1_11comp_targetILNS1_3genE4ELNS1_11target_archE910ELNS1_3gpuE8ELNS1_3repE0EEENS1_30default_config_static_selectorELNS0_4arch9wavefront6targetE1EEEvSY_,comdat
	.globl	_ZN7rocprim17ROCPRIM_400000_NS6detail17trampoline_kernelINS0_13select_configILj256ELj13ELNS0_17block_load_methodE3ELS4_3ELS4_3ELNS0_20block_scan_algorithmE0ELj4294967295EEENS1_25partition_config_selectorILNS1_17partition_subalgoE3EjNS0_10empty_typeEbEEZZNS1_14partition_implILS8_3ELb0ES6_jNS0_17counting_iteratorIjlEEPS9_SE_NS0_5tupleIJPjSE_EEENSF_IJSE_SE_EEES9_SG_JZNS1_25segmented_radix_sort_implINS0_14default_configELb0EPKhPhPKlPlN2at6native12_GLOBAL__N_18offset_tEEE10hipError_tPvRmT1_PNSt15iterator_traitsISY_E10value_typeET2_T3_PNSZ_IS14_E10value_typeET4_jRbjT5_S1A_jjP12ihipStream_tbEUljE_EEESV_SW_SX_S14_S18_S1A_T6_T7_T9_mT8_S1C_bDpT10_ENKUlT_T0_E_clISt17integral_constantIbLb0EES1O_IbLb1EEEEDaS1K_S1L_EUlS1K_E_NS1_11comp_targetILNS1_3genE4ELNS1_11target_archE910ELNS1_3gpuE8ELNS1_3repE0EEENS1_30default_config_static_selectorELNS0_4arch9wavefront6targetE1EEEvSY_ ; -- Begin function _ZN7rocprim17ROCPRIM_400000_NS6detail17trampoline_kernelINS0_13select_configILj256ELj13ELNS0_17block_load_methodE3ELS4_3ELS4_3ELNS0_20block_scan_algorithmE0ELj4294967295EEENS1_25partition_config_selectorILNS1_17partition_subalgoE3EjNS0_10empty_typeEbEEZZNS1_14partition_implILS8_3ELb0ES6_jNS0_17counting_iteratorIjlEEPS9_SE_NS0_5tupleIJPjSE_EEENSF_IJSE_SE_EEES9_SG_JZNS1_25segmented_radix_sort_implINS0_14default_configELb0EPKhPhPKlPlN2at6native12_GLOBAL__N_18offset_tEEE10hipError_tPvRmT1_PNSt15iterator_traitsISY_E10value_typeET2_T3_PNSZ_IS14_E10value_typeET4_jRbjT5_S1A_jjP12ihipStream_tbEUljE_EEESV_SW_SX_S14_S18_S1A_T6_T7_T9_mT8_S1C_bDpT10_ENKUlT_T0_E_clISt17integral_constantIbLb0EES1O_IbLb1EEEEDaS1K_S1L_EUlS1K_E_NS1_11comp_targetILNS1_3genE4ELNS1_11target_archE910ELNS1_3gpuE8ELNS1_3repE0EEENS1_30default_config_static_selectorELNS0_4arch9wavefront6targetE1EEEvSY_
	.p2align	8
	.type	_ZN7rocprim17ROCPRIM_400000_NS6detail17trampoline_kernelINS0_13select_configILj256ELj13ELNS0_17block_load_methodE3ELS4_3ELS4_3ELNS0_20block_scan_algorithmE0ELj4294967295EEENS1_25partition_config_selectorILNS1_17partition_subalgoE3EjNS0_10empty_typeEbEEZZNS1_14partition_implILS8_3ELb0ES6_jNS0_17counting_iteratorIjlEEPS9_SE_NS0_5tupleIJPjSE_EEENSF_IJSE_SE_EEES9_SG_JZNS1_25segmented_radix_sort_implINS0_14default_configELb0EPKhPhPKlPlN2at6native12_GLOBAL__N_18offset_tEEE10hipError_tPvRmT1_PNSt15iterator_traitsISY_E10value_typeET2_T3_PNSZ_IS14_E10value_typeET4_jRbjT5_S1A_jjP12ihipStream_tbEUljE_EEESV_SW_SX_S14_S18_S1A_T6_T7_T9_mT8_S1C_bDpT10_ENKUlT_T0_E_clISt17integral_constantIbLb0EES1O_IbLb1EEEEDaS1K_S1L_EUlS1K_E_NS1_11comp_targetILNS1_3genE4ELNS1_11target_archE910ELNS1_3gpuE8ELNS1_3repE0EEENS1_30default_config_static_selectorELNS0_4arch9wavefront6targetE1EEEvSY_,@function
_ZN7rocprim17ROCPRIM_400000_NS6detail17trampoline_kernelINS0_13select_configILj256ELj13ELNS0_17block_load_methodE3ELS4_3ELS4_3ELNS0_20block_scan_algorithmE0ELj4294967295EEENS1_25partition_config_selectorILNS1_17partition_subalgoE3EjNS0_10empty_typeEbEEZZNS1_14partition_implILS8_3ELb0ES6_jNS0_17counting_iteratorIjlEEPS9_SE_NS0_5tupleIJPjSE_EEENSF_IJSE_SE_EEES9_SG_JZNS1_25segmented_radix_sort_implINS0_14default_configELb0EPKhPhPKlPlN2at6native12_GLOBAL__N_18offset_tEEE10hipError_tPvRmT1_PNSt15iterator_traitsISY_E10value_typeET2_T3_PNSZ_IS14_E10value_typeET4_jRbjT5_S1A_jjP12ihipStream_tbEUljE_EEESV_SW_SX_S14_S18_S1A_T6_T7_T9_mT8_S1C_bDpT10_ENKUlT_T0_E_clISt17integral_constantIbLb0EES1O_IbLb1EEEEDaS1K_S1L_EUlS1K_E_NS1_11comp_targetILNS1_3genE4ELNS1_11target_archE910ELNS1_3gpuE8ELNS1_3repE0EEENS1_30default_config_static_selectorELNS0_4arch9wavefront6targetE1EEEvSY_: ; @_ZN7rocprim17ROCPRIM_400000_NS6detail17trampoline_kernelINS0_13select_configILj256ELj13ELNS0_17block_load_methodE3ELS4_3ELS4_3ELNS0_20block_scan_algorithmE0ELj4294967295EEENS1_25partition_config_selectorILNS1_17partition_subalgoE3EjNS0_10empty_typeEbEEZZNS1_14partition_implILS8_3ELb0ES6_jNS0_17counting_iteratorIjlEEPS9_SE_NS0_5tupleIJPjSE_EEENSF_IJSE_SE_EEES9_SG_JZNS1_25segmented_radix_sort_implINS0_14default_configELb0EPKhPhPKlPlN2at6native12_GLOBAL__N_18offset_tEEE10hipError_tPvRmT1_PNSt15iterator_traitsISY_E10value_typeET2_T3_PNSZ_IS14_E10value_typeET4_jRbjT5_S1A_jjP12ihipStream_tbEUljE_EEESV_SW_SX_S14_S18_S1A_T6_T7_T9_mT8_S1C_bDpT10_ENKUlT_T0_E_clISt17integral_constantIbLb0EES1O_IbLb1EEEEDaS1K_S1L_EUlS1K_E_NS1_11comp_targetILNS1_3genE4ELNS1_11target_archE910ELNS1_3gpuE8ELNS1_3repE0EEENS1_30default_config_static_selectorELNS0_4arch9wavefront6targetE1EEEvSY_
; %bb.0:
	.section	.rodata,"a",@progbits
	.p2align	6, 0x0
	.amdhsa_kernel _ZN7rocprim17ROCPRIM_400000_NS6detail17trampoline_kernelINS0_13select_configILj256ELj13ELNS0_17block_load_methodE3ELS4_3ELS4_3ELNS0_20block_scan_algorithmE0ELj4294967295EEENS1_25partition_config_selectorILNS1_17partition_subalgoE3EjNS0_10empty_typeEbEEZZNS1_14partition_implILS8_3ELb0ES6_jNS0_17counting_iteratorIjlEEPS9_SE_NS0_5tupleIJPjSE_EEENSF_IJSE_SE_EEES9_SG_JZNS1_25segmented_radix_sort_implINS0_14default_configELb0EPKhPhPKlPlN2at6native12_GLOBAL__N_18offset_tEEE10hipError_tPvRmT1_PNSt15iterator_traitsISY_E10value_typeET2_T3_PNSZ_IS14_E10value_typeET4_jRbjT5_S1A_jjP12ihipStream_tbEUljE_EEESV_SW_SX_S14_S18_S1A_T6_T7_T9_mT8_S1C_bDpT10_ENKUlT_T0_E_clISt17integral_constantIbLb0EES1O_IbLb1EEEEDaS1K_S1L_EUlS1K_E_NS1_11comp_targetILNS1_3genE4ELNS1_11target_archE910ELNS1_3gpuE8ELNS1_3repE0EEENS1_30default_config_static_selectorELNS0_4arch9wavefront6targetE1EEEvSY_
		.amdhsa_group_segment_fixed_size 0
		.amdhsa_private_segment_fixed_size 0
		.amdhsa_kernarg_size 152
		.amdhsa_user_sgpr_count 6
		.amdhsa_user_sgpr_private_segment_buffer 1
		.amdhsa_user_sgpr_dispatch_ptr 0
		.amdhsa_user_sgpr_queue_ptr 0
		.amdhsa_user_sgpr_kernarg_segment_ptr 1
		.amdhsa_user_sgpr_dispatch_id 0
		.amdhsa_user_sgpr_flat_scratch_init 0
		.amdhsa_user_sgpr_private_segment_size 0
		.amdhsa_uses_dynamic_stack 0
		.amdhsa_system_sgpr_private_segment_wavefront_offset 0
		.amdhsa_system_sgpr_workgroup_id_x 1
		.amdhsa_system_sgpr_workgroup_id_y 0
		.amdhsa_system_sgpr_workgroup_id_z 0
		.amdhsa_system_sgpr_workgroup_info 0
		.amdhsa_system_vgpr_workitem_id 0
		.amdhsa_next_free_vgpr 1
		.amdhsa_next_free_sgpr 0
		.amdhsa_reserve_vcc 0
		.amdhsa_reserve_flat_scratch 0
		.amdhsa_float_round_mode_32 0
		.amdhsa_float_round_mode_16_64 0
		.amdhsa_float_denorm_mode_32 3
		.amdhsa_float_denorm_mode_16_64 3
		.amdhsa_dx10_clamp 1
		.amdhsa_ieee_mode 1
		.amdhsa_fp16_overflow 0
		.amdhsa_exception_fp_ieee_invalid_op 0
		.amdhsa_exception_fp_denorm_src 0
		.amdhsa_exception_fp_ieee_div_zero 0
		.amdhsa_exception_fp_ieee_overflow 0
		.amdhsa_exception_fp_ieee_underflow 0
		.amdhsa_exception_fp_ieee_inexact 0
		.amdhsa_exception_int_div_zero 0
	.end_amdhsa_kernel
	.section	.text._ZN7rocprim17ROCPRIM_400000_NS6detail17trampoline_kernelINS0_13select_configILj256ELj13ELNS0_17block_load_methodE3ELS4_3ELS4_3ELNS0_20block_scan_algorithmE0ELj4294967295EEENS1_25partition_config_selectorILNS1_17partition_subalgoE3EjNS0_10empty_typeEbEEZZNS1_14partition_implILS8_3ELb0ES6_jNS0_17counting_iteratorIjlEEPS9_SE_NS0_5tupleIJPjSE_EEENSF_IJSE_SE_EEES9_SG_JZNS1_25segmented_radix_sort_implINS0_14default_configELb0EPKhPhPKlPlN2at6native12_GLOBAL__N_18offset_tEEE10hipError_tPvRmT1_PNSt15iterator_traitsISY_E10value_typeET2_T3_PNSZ_IS14_E10value_typeET4_jRbjT5_S1A_jjP12ihipStream_tbEUljE_EEESV_SW_SX_S14_S18_S1A_T6_T7_T9_mT8_S1C_bDpT10_ENKUlT_T0_E_clISt17integral_constantIbLb0EES1O_IbLb1EEEEDaS1K_S1L_EUlS1K_E_NS1_11comp_targetILNS1_3genE4ELNS1_11target_archE910ELNS1_3gpuE8ELNS1_3repE0EEENS1_30default_config_static_selectorELNS0_4arch9wavefront6targetE1EEEvSY_,"axG",@progbits,_ZN7rocprim17ROCPRIM_400000_NS6detail17trampoline_kernelINS0_13select_configILj256ELj13ELNS0_17block_load_methodE3ELS4_3ELS4_3ELNS0_20block_scan_algorithmE0ELj4294967295EEENS1_25partition_config_selectorILNS1_17partition_subalgoE3EjNS0_10empty_typeEbEEZZNS1_14partition_implILS8_3ELb0ES6_jNS0_17counting_iteratorIjlEEPS9_SE_NS0_5tupleIJPjSE_EEENSF_IJSE_SE_EEES9_SG_JZNS1_25segmented_radix_sort_implINS0_14default_configELb0EPKhPhPKlPlN2at6native12_GLOBAL__N_18offset_tEEE10hipError_tPvRmT1_PNSt15iterator_traitsISY_E10value_typeET2_T3_PNSZ_IS14_E10value_typeET4_jRbjT5_S1A_jjP12ihipStream_tbEUljE_EEESV_SW_SX_S14_S18_S1A_T6_T7_T9_mT8_S1C_bDpT10_ENKUlT_T0_E_clISt17integral_constantIbLb0EES1O_IbLb1EEEEDaS1K_S1L_EUlS1K_E_NS1_11comp_targetILNS1_3genE4ELNS1_11target_archE910ELNS1_3gpuE8ELNS1_3repE0EEENS1_30default_config_static_selectorELNS0_4arch9wavefront6targetE1EEEvSY_,comdat
.Lfunc_end180:
	.size	_ZN7rocprim17ROCPRIM_400000_NS6detail17trampoline_kernelINS0_13select_configILj256ELj13ELNS0_17block_load_methodE3ELS4_3ELS4_3ELNS0_20block_scan_algorithmE0ELj4294967295EEENS1_25partition_config_selectorILNS1_17partition_subalgoE3EjNS0_10empty_typeEbEEZZNS1_14partition_implILS8_3ELb0ES6_jNS0_17counting_iteratorIjlEEPS9_SE_NS0_5tupleIJPjSE_EEENSF_IJSE_SE_EEES9_SG_JZNS1_25segmented_radix_sort_implINS0_14default_configELb0EPKhPhPKlPlN2at6native12_GLOBAL__N_18offset_tEEE10hipError_tPvRmT1_PNSt15iterator_traitsISY_E10value_typeET2_T3_PNSZ_IS14_E10value_typeET4_jRbjT5_S1A_jjP12ihipStream_tbEUljE_EEESV_SW_SX_S14_S18_S1A_T6_T7_T9_mT8_S1C_bDpT10_ENKUlT_T0_E_clISt17integral_constantIbLb0EES1O_IbLb1EEEEDaS1K_S1L_EUlS1K_E_NS1_11comp_targetILNS1_3genE4ELNS1_11target_archE910ELNS1_3gpuE8ELNS1_3repE0EEENS1_30default_config_static_selectorELNS0_4arch9wavefront6targetE1EEEvSY_, .Lfunc_end180-_ZN7rocprim17ROCPRIM_400000_NS6detail17trampoline_kernelINS0_13select_configILj256ELj13ELNS0_17block_load_methodE3ELS4_3ELS4_3ELNS0_20block_scan_algorithmE0ELj4294967295EEENS1_25partition_config_selectorILNS1_17partition_subalgoE3EjNS0_10empty_typeEbEEZZNS1_14partition_implILS8_3ELb0ES6_jNS0_17counting_iteratorIjlEEPS9_SE_NS0_5tupleIJPjSE_EEENSF_IJSE_SE_EEES9_SG_JZNS1_25segmented_radix_sort_implINS0_14default_configELb0EPKhPhPKlPlN2at6native12_GLOBAL__N_18offset_tEEE10hipError_tPvRmT1_PNSt15iterator_traitsISY_E10value_typeET2_T3_PNSZ_IS14_E10value_typeET4_jRbjT5_S1A_jjP12ihipStream_tbEUljE_EEESV_SW_SX_S14_S18_S1A_T6_T7_T9_mT8_S1C_bDpT10_ENKUlT_T0_E_clISt17integral_constantIbLb0EES1O_IbLb1EEEEDaS1K_S1L_EUlS1K_E_NS1_11comp_targetILNS1_3genE4ELNS1_11target_archE910ELNS1_3gpuE8ELNS1_3repE0EEENS1_30default_config_static_selectorELNS0_4arch9wavefront6targetE1EEEvSY_
                                        ; -- End function
	.set _ZN7rocprim17ROCPRIM_400000_NS6detail17trampoline_kernelINS0_13select_configILj256ELj13ELNS0_17block_load_methodE3ELS4_3ELS4_3ELNS0_20block_scan_algorithmE0ELj4294967295EEENS1_25partition_config_selectorILNS1_17partition_subalgoE3EjNS0_10empty_typeEbEEZZNS1_14partition_implILS8_3ELb0ES6_jNS0_17counting_iteratorIjlEEPS9_SE_NS0_5tupleIJPjSE_EEENSF_IJSE_SE_EEES9_SG_JZNS1_25segmented_radix_sort_implINS0_14default_configELb0EPKhPhPKlPlN2at6native12_GLOBAL__N_18offset_tEEE10hipError_tPvRmT1_PNSt15iterator_traitsISY_E10value_typeET2_T3_PNSZ_IS14_E10value_typeET4_jRbjT5_S1A_jjP12ihipStream_tbEUljE_EEESV_SW_SX_S14_S18_S1A_T6_T7_T9_mT8_S1C_bDpT10_ENKUlT_T0_E_clISt17integral_constantIbLb0EES1O_IbLb1EEEEDaS1K_S1L_EUlS1K_E_NS1_11comp_targetILNS1_3genE4ELNS1_11target_archE910ELNS1_3gpuE8ELNS1_3repE0EEENS1_30default_config_static_selectorELNS0_4arch9wavefront6targetE1EEEvSY_.num_vgpr, 0
	.set _ZN7rocprim17ROCPRIM_400000_NS6detail17trampoline_kernelINS0_13select_configILj256ELj13ELNS0_17block_load_methodE3ELS4_3ELS4_3ELNS0_20block_scan_algorithmE0ELj4294967295EEENS1_25partition_config_selectorILNS1_17partition_subalgoE3EjNS0_10empty_typeEbEEZZNS1_14partition_implILS8_3ELb0ES6_jNS0_17counting_iteratorIjlEEPS9_SE_NS0_5tupleIJPjSE_EEENSF_IJSE_SE_EEES9_SG_JZNS1_25segmented_radix_sort_implINS0_14default_configELb0EPKhPhPKlPlN2at6native12_GLOBAL__N_18offset_tEEE10hipError_tPvRmT1_PNSt15iterator_traitsISY_E10value_typeET2_T3_PNSZ_IS14_E10value_typeET4_jRbjT5_S1A_jjP12ihipStream_tbEUljE_EEESV_SW_SX_S14_S18_S1A_T6_T7_T9_mT8_S1C_bDpT10_ENKUlT_T0_E_clISt17integral_constantIbLb0EES1O_IbLb1EEEEDaS1K_S1L_EUlS1K_E_NS1_11comp_targetILNS1_3genE4ELNS1_11target_archE910ELNS1_3gpuE8ELNS1_3repE0EEENS1_30default_config_static_selectorELNS0_4arch9wavefront6targetE1EEEvSY_.num_agpr, 0
	.set _ZN7rocprim17ROCPRIM_400000_NS6detail17trampoline_kernelINS0_13select_configILj256ELj13ELNS0_17block_load_methodE3ELS4_3ELS4_3ELNS0_20block_scan_algorithmE0ELj4294967295EEENS1_25partition_config_selectorILNS1_17partition_subalgoE3EjNS0_10empty_typeEbEEZZNS1_14partition_implILS8_3ELb0ES6_jNS0_17counting_iteratorIjlEEPS9_SE_NS0_5tupleIJPjSE_EEENSF_IJSE_SE_EEES9_SG_JZNS1_25segmented_radix_sort_implINS0_14default_configELb0EPKhPhPKlPlN2at6native12_GLOBAL__N_18offset_tEEE10hipError_tPvRmT1_PNSt15iterator_traitsISY_E10value_typeET2_T3_PNSZ_IS14_E10value_typeET4_jRbjT5_S1A_jjP12ihipStream_tbEUljE_EEESV_SW_SX_S14_S18_S1A_T6_T7_T9_mT8_S1C_bDpT10_ENKUlT_T0_E_clISt17integral_constantIbLb0EES1O_IbLb1EEEEDaS1K_S1L_EUlS1K_E_NS1_11comp_targetILNS1_3genE4ELNS1_11target_archE910ELNS1_3gpuE8ELNS1_3repE0EEENS1_30default_config_static_selectorELNS0_4arch9wavefront6targetE1EEEvSY_.numbered_sgpr, 0
	.set _ZN7rocprim17ROCPRIM_400000_NS6detail17trampoline_kernelINS0_13select_configILj256ELj13ELNS0_17block_load_methodE3ELS4_3ELS4_3ELNS0_20block_scan_algorithmE0ELj4294967295EEENS1_25partition_config_selectorILNS1_17partition_subalgoE3EjNS0_10empty_typeEbEEZZNS1_14partition_implILS8_3ELb0ES6_jNS0_17counting_iteratorIjlEEPS9_SE_NS0_5tupleIJPjSE_EEENSF_IJSE_SE_EEES9_SG_JZNS1_25segmented_radix_sort_implINS0_14default_configELb0EPKhPhPKlPlN2at6native12_GLOBAL__N_18offset_tEEE10hipError_tPvRmT1_PNSt15iterator_traitsISY_E10value_typeET2_T3_PNSZ_IS14_E10value_typeET4_jRbjT5_S1A_jjP12ihipStream_tbEUljE_EEESV_SW_SX_S14_S18_S1A_T6_T7_T9_mT8_S1C_bDpT10_ENKUlT_T0_E_clISt17integral_constantIbLb0EES1O_IbLb1EEEEDaS1K_S1L_EUlS1K_E_NS1_11comp_targetILNS1_3genE4ELNS1_11target_archE910ELNS1_3gpuE8ELNS1_3repE0EEENS1_30default_config_static_selectorELNS0_4arch9wavefront6targetE1EEEvSY_.num_named_barrier, 0
	.set _ZN7rocprim17ROCPRIM_400000_NS6detail17trampoline_kernelINS0_13select_configILj256ELj13ELNS0_17block_load_methodE3ELS4_3ELS4_3ELNS0_20block_scan_algorithmE0ELj4294967295EEENS1_25partition_config_selectorILNS1_17partition_subalgoE3EjNS0_10empty_typeEbEEZZNS1_14partition_implILS8_3ELb0ES6_jNS0_17counting_iteratorIjlEEPS9_SE_NS0_5tupleIJPjSE_EEENSF_IJSE_SE_EEES9_SG_JZNS1_25segmented_radix_sort_implINS0_14default_configELb0EPKhPhPKlPlN2at6native12_GLOBAL__N_18offset_tEEE10hipError_tPvRmT1_PNSt15iterator_traitsISY_E10value_typeET2_T3_PNSZ_IS14_E10value_typeET4_jRbjT5_S1A_jjP12ihipStream_tbEUljE_EEESV_SW_SX_S14_S18_S1A_T6_T7_T9_mT8_S1C_bDpT10_ENKUlT_T0_E_clISt17integral_constantIbLb0EES1O_IbLb1EEEEDaS1K_S1L_EUlS1K_E_NS1_11comp_targetILNS1_3genE4ELNS1_11target_archE910ELNS1_3gpuE8ELNS1_3repE0EEENS1_30default_config_static_selectorELNS0_4arch9wavefront6targetE1EEEvSY_.private_seg_size, 0
	.set _ZN7rocprim17ROCPRIM_400000_NS6detail17trampoline_kernelINS0_13select_configILj256ELj13ELNS0_17block_load_methodE3ELS4_3ELS4_3ELNS0_20block_scan_algorithmE0ELj4294967295EEENS1_25partition_config_selectorILNS1_17partition_subalgoE3EjNS0_10empty_typeEbEEZZNS1_14partition_implILS8_3ELb0ES6_jNS0_17counting_iteratorIjlEEPS9_SE_NS0_5tupleIJPjSE_EEENSF_IJSE_SE_EEES9_SG_JZNS1_25segmented_radix_sort_implINS0_14default_configELb0EPKhPhPKlPlN2at6native12_GLOBAL__N_18offset_tEEE10hipError_tPvRmT1_PNSt15iterator_traitsISY_E10value_typeET2_T3_PNSZ_IS14_E10value_typeET4_jRbjT5_S1A_jjP12ihipStream_tbEUljE_EEESV_SW_SX_S14_S18_S1A_T6_T7_T9_mT8_S1C_bDpT10_ENKUlT_T0_E_clISt17integral_constantIbLb0EES1O_IbLb1EEEEDaS1K_S1L_EUlS1K_E_NS1_11comp_targetILNS1_3genE4ELNS1_11target_archE910ELNS1_3gpuE8ELNS1_3repE0EEENS1_30default_config_static_selectorELNS0_4arch9wavefront6targetE1EEEvSY_.uses_vcc, 0
	.set _ZN7rocprim17ROCPRIM_400000_NS6detail17trampoline_kernelINS0_13select_configILj256ELj13ELNS0_17block_load_methodE3ELS4_3ELS4_3ELNS0_20block_scan_algorithmE0ELj4294967295EEENS1_25partition_config_selectorILNS1_17partition_subalgoE3EjNS0_10empty_typeEbEEZZNS1_14partition_implILS8_3ELb0ES6_jNS0_17counting_iteratorIjlEEPS9_SE_NS0_5tupleIJPjSE_EEENSF_IJSE_SE_EEES9_SG_JZNS1_25segmented_radix_sort_implINS0_14default_configELb0EPKhPhPKlPlN2at6native12_GLOBAL__N_18offset_tEEE10hipError_tPvRmT1_PNSt15iterator_traitsISY_E10value_typeET2_T3_PNSZ_IS14_E10value_typeET4_jRbjT5_S1A_jjP12ihipStream_tbEUljE_EEESV_SW_SX_S14_S18_S1A_T6_T7_T9_mT8_S1C_bDpT10_ENKUlT_T0_E_clISt17integral_constantIbLb0EES1O_IbLb1EEEEDaS1K_S1L_EUlS1K_E_NS1_11comp_targetILNS1_3genE4ELNS1_11target_archE910ELNS1_3gpuE8ELNS1_3repE0EEENS1_30default_config_static_selectorELNS0_4arch9wavefront6targetE1EEEvSY_.uses_flat_scratch, 0
	.set _ZN7rocprim17ROCPRIM_400000_NS6detail17trampoline_kernelINS0_13select_configILj256ELj13ELNS0_17block_load_methodE3ELS4_3ELS4_3ELNS0_20block_scan_algorithmE0ELj4294967295EEENS1_25partition_config_selectorILNS1_17partition_subalgoE3EjNS0_10empty_typeEbEEZZNS1_14partition_implILS8_3ELb0ES6_jNS0_17counting_iteratorIjlEEPS9_SE_NS0_5tupleIJPjSE_EEENSF_IJSE_SE_EEES9_SG_JZNS1_25segmented_radix_sort_implINS0_14default_configELb0EPKhPhPKlPlN2at6native12_GLOBAL__N_18offset_tEEE10hipError_tPvRmT1_PNSt15iterator_traitsISY_E10value_typeET2_T3_PNSZ_IS14_E10value_typeET4_jRbjT5_S1A_jjP12ihipStream_tbEUljE_EEESV_SW_SX_S14_S18_S1A_T6_T7_T9_mT8_S1C_bDpT10_ENKUlT_T0_E_clISt17integral_constantIbLb0EES1O_IbLb1EEEEDaS1K_S1L_EUlS1K_E_NS1_11comp_targetILNS1_3genE4ELNS1_11target_archE910ELNS1_3gpuE8ELNS1_3repE0EEENS1_30default_config_static_selectorELNS0_4arch9wavefront6targetE1EEEvSY_.has_dyn_sized_stack, 0
	.set _ZN7rocprim17ROCPRIM_400000_NS6detail17trampoline_kernelINS0_13select_configILj256ELj13ELNS0_17block_load_methodE3ELS4_3ELS4_3ELNS0_20block_scan_algorithmE0ELj4294967295EEENS1_25partition_config_selectorILNS1_17partition_subalgoE3EjNS0_10empty_typeEbEEZZNS1_14partition_implILS8_3ELb0ES6_jNS0_17counting_iteratorIjlEEPS9_SE_NS0_5tupleIJPjSE_EEENSF_IJSE_SE_EEES9_SG_JZNS1_25segmented_radix_sort_implINS0_14default_configELb0EPKhPhPKlPlN2at6native12_GLOBAL__N_18offset_tEEE10hipError_tPvRmT1_PNSt15iterator_traitsISY_E10value_typeET2_T3_PNSZ_IS14_E10value_typeET4_jRbjT5_S1A_jjP12ihipStream_tbEUljE_EEESV_SW_SX_S14_S18_S1A_T6_T7_T9_mT8_S1C_bDpT10_ENKUlT_T0_E_clISt17integral_constantIbLb0EES1O_IbLb1EEEEDaS1K_S1L_EUlS1K_E_NS1_11comp_targetILNS1_3genE4ELNS1_11target_archE910ELNS1_3gpuE8ELNS1_3repE0EEENS1_30default_config_static_selectorELNS0_4arch9wavefront6targetE1EEEvSY_.has_recursion, 0
	.set _ZN7rocprim17ROCPRIM_400000_NS6detail17trampoline_kernelINS0_13select_configILj256ELj13ELNS0_17block_load_methodE3ELS4_3ELS4_3ELNS0_20block_scan_algorithmE0ELj4294967295EEENS1_25partition_config_selectorILNS1_17partition_subalgoE3EjNS0_10empty_typeEbEEZZNS1_14partition_implILS8_3ELb0ES6_jNS0_17counting_iteratorIjlEEPS9_SE_NS0_5tupleIJPjSE_EEENSF_IJSE_SE_EEES9_SG_JZNS1_25segmented_radix_sort_implINS0_14default_configELb0EPKhPhPKlPlN2at6native12_GLOBAL__N_18offset_tEEE10hipError_tPvRmT1_PNSt15iterator_traitsISY_E10value_typeET2_T3_PNSZ_IS14_E10value_typeET4_jRbjT5_S1A_jjP12ihipStream_tbEUljE_EEESV_SW_SX_S14_S18_S1A_T6_T7_T9_mT8_S1C_bDpT10_ENKUlT_T0_E_clISt17integral_constantIbLb0EES1O_IbLb1EEEEDaS1K_S1L_EUlS1K_E_NS1_11comp_targetILNS1_3genE4ELNS1_11target_archE910ELNS1_3gpuE8ELNS1_3repE0EEENS1_30default_config_static_selectorELNS0_4arch9wavefront6targetE1EEEvSY_.has_indirect_call, 0
	.section	.AMDGPU.csdata,"",@progbits
; Kernel info:
; codeLenInByte = 0
; TotalNumSgprs: 4
; NumVgprs: 0
; ScratchSize: 0
; MemoryBound: 0
; FloatMode: 240
; IeeeMode: 1
; LDSByteSize: 0 bytes/workgroup (compile time only)
; SGPRBlocks: 0
; VGPRBlocks: 0
; NumSGPRsForWavesPerEU: 4
; NumVGPRsForWavesPerEU: 1
; Occupancy: 10
; WaveLimiterHint : 0
; COMPUTE_PGM_RSRC2:SCRATCH_EN: 0
; COMPUTE_PGM_RSRC2:USER_SGPR: 6
; COMPUTE_PGM_RSRC2:TRAP_HANDLER: 0
; COMPUTE_PGM_RSRC2:TGID_X_EN: 1
; COMPUTE_PGM_RSRC2:TGID_Y_EN: 0
; COMPUTE_PGM_RSRC2:TGID_Z_EN: 0
; COMPUTE_PGM_RSRC2:TIDIG_COMP_CNT: 0
	.section	.text._ZN7rocprim17ROCPRIM_400000_NS6detail17trampoline_kernelINS0_13select_configILj256ELj13ELNS0_17block_load_methodE3ELS4_3ELS4_3ELNS0_20block_scan_algorithmE0ELj4294967295EEENS1_25partition_config_selectorILNS1_17partition_subalgoE3EjNS0_10empty_typeEbEEZZNS1_14partition_implILS8_3ELb0ES6_jNS0_17counting_iteratorIjlEEPS9_SE_NS0_5tupleIJPjSE_EEENSF_IJSE_SE_EEES9_SG_JZNS1_25segmented_radix_sort_implINS0_14default_configELb0EPKhPhPKlPlN2at6native12_GLOBAL__N_18offset_tEEE10hipError_tPvRmT1_PNSt15iterator_traitsISY_E10value_typeET2_T3_PNSZ_IS14_E10value_typeET4_jRbjT5_S1A_jjP12ihipStream_tbEUljE_EEESV_SW_SX_S14_S18_S1A_T6_T7_T9_mT8_S1C_bDpT10_ENKUlT_T0_E_clISt17integral_constantIbLb0EES1O_IbLb1EEEEDaS1K_S1L_EUlS1K_E_NS1_11comp_targetILNS1_3genE3ELNS1_11target_archE908ELNS1_3gpuE7ELNS1_3repE0EEENS1_30default_config_static_selectorELNS0_4arch9wavefront6targetE1EEEvSY_,"axG",@progbits,_ZN7rocprim17ROCPRIM_400000_NS6detail17trampoline_kernelINS0_13select_configILj256ELj13ELNS0_17block_load_methodE3ELS4_3ELS4_3ELNS0_20block_scan_algorithmE0ELj4294967295EEENS1_25partition_config_selectorILNS1_17partition_subalgoE3EjNS0_10empty_typeEbEEZZNS1_14partition_implILS8_3ELb0ES6_jNS0_17counting_iteratorIjlEEPS9_SE_NS0_5tupleIJPjSE_EEENSF_IJSE_SE_EEES9_SG_JZNS1_25segmented_radix_sort_implINS0_14default_configELb0EPKhPhPKlPlN2at6native12_GLOBAL__N_18offset_tEEE10hipError_tPvRmT1_PNSt15iterator_traitsISY_E10value_typeET2_T3_PNSZ_IS14_E10value_typeET4_jRbjT5_S1A_jjP12ihipStream_tbEUljE_EEESV_SW_SX_S14_S18_S1A_T6_T7_T9_mT8_S1C_bDpT10_ENKUlT_T0_E_clISt17integral_constantIbLb0EES1O_IbLb1EEEEDaS1K_S1L_EUlS1K_E_NS1_11comp_targetILNS1_3genE3ELNS1_11target_archE908ELNS1_3gpuE7ELNS1_3repE0EEENS1_30default_config_static_selectorELNS0_4arch9wavefront6targetE1EEEvSY_,comdat
	.globl	_ZN7rocprim17ROCPRIM_400000_NS6detail17trampoline_kernelINS0_13select_configILj256ELj13ELNS0_17block_load_methodE3ELS4_3ELS4_3ELNS0_20block_scan_algorithmE0ELj4294967295EEENS1_25partition_config_selectorILNS1_17partition_subalgoE3EjNS0_10empty_typeEbEEZZNS1_14partition_implILS8_3ELb0ES6_jNS0_17counting_iteratorIjlEEPS9_SE_NS0_5tupleIJPjSE_EEENSF_IJSE_SE_EEES9_SG_JZNS1_25segmented_radix_sort_implINS0_14default_configELb0EPKhPhPKlPlN2at6native12_GLOBAL__N_18offset_tEEE10hipError_tPvRmT1_PNSt15iterator_traitsISY_E10value_typeET2_T3_PNSZ_IS14_E10value_typeET4_jRbjT5_S1A_jjP12ihipStream_tbEUljE_EEESV_SW_SX_S14_S18_S1A_T6_T7_T9_mT8_S1C_bDpT10_ENKUlT_T0_E_clISt17integral_constantIbLb0EES1O_IbLb1EEEEDaS1K_S1L_EUlS1K_E_NS1_11comp_targetILNS1_3genE3ELNS1_11target_archE908ELNS1_3gpuE7ELNS1_3repE0EEENS1_30default_config_static_selectorELNS0_4arch9wavefront6targetE1EEEvSY_ ; -- Begin function _ZN7rocprim17ROCPRIM_400000_NS6detail17trampoline_kernelINS0_13select_configILj256ELj13ELNS0_17block_load_methodE3ELS4_3ELS4_3ELNS0_20block_scan_algorithmE0ELj4294967295EEENS1_25partition_config_selectorILNS1_17partition_subalgoE3EjNS0_10empty_typeEbEEZZNS1_14partition_implILS8_3ELb0ES6_jNS0_17counting_iteratorIjlEEPS9_SE_NS0_5tupleIJPjSE_EEENSF_IJSE_SE_EEES9_SG_JZNS1_25segmented_radix_sort_implINS0_14default_configELb0EPKhPhPKlPlN2at6native12_GLOBAL__N_18offset_tEEE10hipError_tPvRmT1_PNSt15iterator_traitsISY_E10value_typeET2_T3_PNSZ_IS14_E10value_typeET4_jRbjT5_S1A_jjP12ihipStream_tbEUljE_EEESV_SW_SX_S14_S18_S1A_T6_T7_T9_mT8_S1C_bDpT10_ENKUlT_T0_E_clISt17integral_constantIbLb0EES1O_IbLb1EEEEDaS1K_S1L_EUlS1K_E_NS1_11comp_targetILNS1_3genE3ELNS1_11target_archE908ELNS1_3gpuE7ELNS1_3repE0EEENS1_30default_config_static_selectorELNS0_4arch9wavefront6targetE1EEEvSY_
	.p2align	8
	.type	_ZN7rocprim17ROCPRIM_400000_NS6detail17trampoline_kernelINS0_13select_configILj256ELj13ELNS0_17block_load_methodE3ELS4_3ELS4_3ELNS0_20block_scan_algorithmE0ELj4294967295EEENS1_25partition_config_selectorILNS1_17partition_subalgoE3EjNS0_10empty_typeEbEEZZNS1_14partition_implILS8_3ELb0ES6_jNS0_17counting_iteratorIjlEEPS9_SE_NS0_5tupleIJPjSE_EEENSF_IJSE_SE_EEES9_SG_JZNS1_25segmented_radix_sort_implINS0_14default_configELb0EPKhPhPKlPlN2at6native12_GLOBAL__N_18offset_tEEE10hipError_tPvRmT1_PNSt15iterator_traitsISY_E10value_typeET2_T3_PNSZ_IS14_E10value_typeET4_jRbjT5_S1A_jjP12ihipStream_tbEUljE_EEESV_SW_SX_S14_S18_S1A_T6_T7_T9_mT8_S1C_bDpT10_ENKUlT_T0_E_clISt17integral_constantIbLb0EES1O_IbLb1EEEEDaS1K_S1L_EUlS1K_E_NS1_11comp_targetILNS1_3genE3ELNS1_11target_archE908ELNS1_3gpuE7ELNS1_3repE0EEENS1_30default_config_static_selectorELNS0_4arch9wavefront6targetE1EEEvSY_,@function
_ZN7rocprim17ROCPRIM_400000_NS6detail17trampoline_kernelINS0_13select_configILj256ELj13ELNS0_17block_load_methodE3ELS4_3ELS4_3ELNS0_20block_scan_algorithmE0ELj4294967295EEENS1_25partition_config_selectorILNS1_17partition_subalgoE3EjNS0_10empty_typeEbEEZZNS1_14partition_implILS8_3ELb0ES6_jNS0_17counting_iteratorIjlEEPS9_SE_NS0_5tupleIJPjSE_EEENSF_IJSE_SE_EEES9_SG_JZNS1_25segmented_radix_sort_implINS0_14default_configELb0EPKhPhPKlPlN2at6native12_GLOBAL__N_18offset_tEEE10hipError_tPvRmT1_PNSt15iterator_traitsISY_E10value_typeET2_T3_PNSZ_IS14_E10value_typeET4_jRbjT5_S1A_jjP12ihipStream_tbEUljE_EEESV_SW_SX_S14_S18_S1A_T6_T7_T9_mT8_S1C_bDpT10_ENKUlT_T0_E_clISt17integral_constantIbLb0EES1O_IbLb1EEEEDaS1K_S1L_EUlS1K_E_NS1_11comp_targetILNS1_3genE3ELNS1_11target_archE908ELNS1_3gpuE7ELNS1_3repE0EEENS1_30default_config_static_selectorELNS0_4arch9wavefront6targetE1EEEvSY_: ; @_ZN7rocprim17ROCPRIM_400000_NS6detail17trampoline_kernelINS0_13select_configILj256ELj13ELNS0_17block_load_methodE3ELS4_3ELS4_3ELNS0_20block_scan_algorithmE0ELj4294967295EEENS1_25partition_config_selectorILNS1_17partition_subalgoE3EjNS0_10empty_typeEbEEZZNS1_14partition_implILS8_3ELb0ES6_jNS0_17counting_iteratorIjlEEPS9_SE_NS0_5tupleIJPjSE_EEENSF_IJSE_SE_EEES9_SG_JZNS1_25segmented_radix_sort_implINS0_14default_configELb0EPKhPhPKlPlN2at6native12_GLOBAL__N_18offset_tEEE10hipError_tPvRmT1_PNSt15iterator_traitsISY_E10value_typeET2_T3_PNSZ_IS14_E10value_typeET4_jRbjT5_S1A_jjP12ihipStream_tbEUljE_EEESV_SW_SX_S14_S18_S1A_T6_T7_T9_mT8_S1C_bDpT10_ENKUlT_T0_E_clISt17integral_constantIbLb0EES1O_IbLb1EEEEDaS1K_S1L_EUlS1K_E_NS1_11comp_targetILNS1_3genE3ELNS1_11target_archE908ELNS1_3gpuE7ELNS1_3repE0EEENS1_30default_config_static_selectorELNS0_4arch9wavefront6targetE1EEEvSY_
; %bb.0:
	.section	.rodata,"a",@progbits
	.p2align	6, 0x0
	.amdhsa_kernel _ZN7rocprim17ROCPRIM_400000_NS6detail17trampoline_kernelINS0_13select_configILj256ELj13ELNS0_17block_load_methodE3ELS4_3ELS4_3ELNS0_20block_scan_algorithmE0ELj4294967295EEENS1_25partition_config_selectorILNS1_17partition_subalgoE3EjNS0_10empty_typeEbEEZZNS1_14partition_implILS8_3ELb0ES6_jNS0_17counting_iteratorIjlEEPS9_SE_NS0_5tupleIJPjSE_EEENSF_IJSE_SE_EEES9_SG_JZNS1_25segmented_radix_sort_implINS0_14default_configELb0EPKhPhPKlPlN2at6native12_GLOBAL__N_18offset_tEEE10hipError_tPvRmT1_PNSt15iterator_traitsISY_E10value_typeET2_T3_PNSZ_IS14_E10value_typeET4_jRbjT5_S1A_jjP12ihipStream_tbEUljE_EEESV_SW_SX_S14_S18_S1A_T6_T7_T9_mT8_S1C_bDpT10_ENKUlT_T0_E_clISt17integral_constantIbLb0EES1O_IbLb1EEEEDaS1K_S1L_EUlS1K_E_NS1_11comp_targetILNS1_3genE3ELNS1_11target_archE908ELNS1_3gpuE7ELNS1_3repE0EEENS1_30default_config_static_selectorELNS0_4arch9wavefront6targetE1EEEvSY_
		.amdhsa_group_segment_fixed_size 0
		.amdhsa_private_segment_fixed_size 0
		.amdhsa_kernarg_size 152
		.amdhsa_user_sgpr_count 6
		.amdhsa_user_sgpr_private_segment_buffer 1
		.amdhsa_user_sgpr_dispatch_ptr 0
		.amdhsa_user_sgpr_queue_ptr 0
		.amdhsa_user_sgpr_kernarg_segment_ptr 1
		.amdhsa_user_sgpr_dispatch_id 0
		.amdhsa_user_sgpr_flat_scratch_init 0
		.amdhsa_user_sgpr_private_segment_size 0
		.amdhsa_uses_dynamic_stack 0
		.amdhsa_system_sgpr_private_segment_wavefront_offset 0
		.amdhsa_system_sgpr_workgroup_id_x 1
		.amdhsa_system_sgpr_workgroup_id_y 0
		.amdhsa_system_sgpr_workgroup_id_z 0
		.amdhsa_system_sgpr_workgroup_info 0
		.amdhsa_system_vgpr_workitem_id 0
		.amdhsa_next_free_vgpr 1
		.amdhsa_next_free_sgpr 0
		.amdhsa_reserve_vcc 0
		.amdhsa_reserve_flat_scratch 0
		.amdhsa_float_round_mode_32 0
		.amdhsa_float_round_mode_16_64 0
		.amdhsa_float_denorm_mode_32 3
		.amdhsa_float_denorm_mode_16_64 3
		.amdhsa_dx10_clamp 1
		.amdhsa_ieee_mode 1
		.amdhsa_fp16_overflow 0
		.amdhsa_exception_fp_ieee_invalid_op 0
		.amdhsa_exception_fp_denorm_src 0
		.amdhsa_exception_fp_ieee_div_zero 0
		.amdhsa_exception_fp_ieee_overflow 0
		.amdhsa_exception_fp_ieee_underflow 0
		.amdhsa_exception_fp_ieee_inexact 0
		.amdhsa_exception_int_div_zero 0
	.end_amdhsa_kernel
	.section	.text._ZN7rocprim17ROCPRIM_400000_NS6detail17trampoline_kernelINS0_13select_configILj256ELj13ELNS0_17block_load_methodE3ELS4_3ELS4_3ELNS0_20block_scan_algorithmE0ELj4294967295EEENS1_25partition_config_selectorILNS1_17partition_subalgoE3EjNS0_10empty_typeEbEEZZNS1_14partition_implILS8_3ELb0ES6_jNS0_17counting_iteratorIjlEEPS9_SE_NS0_5tupleIJPjSE_EEENSF_IJSE_SE_EEES9_SG_JZNS1_25segmented_radix_sort_implINS0_14default_configELb0EPKhPhPKlPlN2at6native12_GLOBAL__N_18offset_tEEE10hipError_tPvRmT1_PNSt15iterator_traitsISY_E10value_typeET2_T3_PNSZ_IS14_E10value_typeET4_jRbjT5_S1A_jjP12ihipStream_tbEUljE_EEESV_SW_SX_S14_S18_S1A_T6_T7_T9_mT8_S1C_bDpT10_ENKUlT_T0_E_clISt17integral_constantIbLb0EES1O_IbLb1EEEEDaS1K_S1L_EUlS1K_E_NS1_11comp_targetILNS1_3genE3ELNS1_11target_archE908ELNS1_3gpuE7ELNS1_3repE0EEENS1_30default_config_static_selectorELNS0_4arch9wavefront6targetE1EEEvSY_,"axG",@progbits,_ZN7rocprim17ROCPRIM_400000_NS6detail17trampoline_kernelINS0_13select_configILj256ELj13ELNS0_17block_load_methodE3ELS4_3ELS4_3ELNS0_20block_scan_algorithmE0ELj4294967295EEENS1_25partition_config_selectorILNS1_17partition_subalgoE3EjNS0_10empty_typeEbEEZZNS1_14partition_implILS8_3ELb0ES6_jNS0_17counting_iteratorIjlEEPS9_SE_NS0_5tupleIJPjSE_EEENSF_IJSE_SE_EEES9_SG_JZNS1_25segmented_radix_sort_implINS0_14default_configELb0EPKhPhPKlPlN2at6native12_GLOBAL__N_18offset_tEEE10hipError_tPvRmT1_PNSt15iterator_traitsISY_E10value_typeET2_T3_PNSZ_IS14_E10value_typeET4_jRbjT5_S1A_jjP12ihipStream_tbEUljE_EEESV_SW_SX_S14_S18_S1A_T6_T7_T9_mT8_S1C_bDpT10_ENKUlT_T0_E_clISt17integral_constantIbLb0EES1O_IbLb1EEEEDaS1K_S1L_EUlS1K_E_NS1_11comp_targetILNS1_3genE3ELNS1_11target_archE908ELNS1_3gpuE7ELNS1_3repE0EEENS1_30default_config_static_selectorELNS0_4arch9wavefront6targetE1EEEvSY_,comdat
.Lfunc_end181:
	.size	_ZN7rocprim17ROCPRIM_400000_NS6detail17trampoline_kernelINS0_13select_configILj256ELj13ELNS0_17block_load_methodE3ELS4_3ELS4_3ELNS0_20block_scan_algorithmE0ELj4294967295EEENS1_25partition_config_selectorILNS1_17partition_subalgoE3EjNS0_10empty_typeEbEEZZNS1_14partition_implILS8_3ELb0ES6_jNS0_17counting_iteratorIjlEEPS9_SE_NS0_5tupleIJPjSE_EEENSF_IJSE_SE_EEES9_SG_JZNS1_25segmented_radix_sort_implINS0_14default_configELb0EPKhPhPKlPlN2at6native12_GLOBAL__N_18offset_tEEE10hipError_tPvRmT1_PNSt15iterator_traitsISY_E10value_typeET2_T3_PNSZ_IS14_E10value_typeET4_jRbjT5_S1A_jjP12ihipStream_tbEUljE_EEESV_SW_SX_S14_S18_S1A_T6_T7_T9_mT8_S1C_bDpT10_ENKUlT_T0_E_clISt17integral_constantIbLb0EES1O_IbLb1EEEEDaS1K_S1L_EUlS1K_E_NS1_11comp_targetILNS1_3genE3ELNS1_11target_archE908ELNS1_3gpuE7ELNS1_3repE0EEENS1_30default_config_static_selectorELNS0_4arch9wavefront6targetE1EEEvSY_, .Lfunc_end181-_ZN7rocprim17ROCPRIM_400000_NS6detail17trampoline_kernelINS0_13select_configILj256ELj13ELNS0_17block_load_methodE3ELS4_3ELS4_3ELNS0_20block_scan_algorithmE0ELj4294967295EEENS1_25partition_config_selectorILNS1_17partition_subalgoE3EjNS0_10empty_typeEbEEZZNS1_14partition_implILS8_3ELb0ES6_jNS0_17counting_iteratorIjlEEPS9_SE_NS0_5tupleIJPjSE_EEENSF_IJSE_SE_EEES9_SG_JZNS1_25segmented_radix_sort_implINS0_14default_configELb0EPKhPhPKlPlN2at6native12_GLOBAL__N_18offset_tEEE10hipError_tPvRmT1_PNSt15iterator_traitsISY_E10value_typeET2_T3_PNSZ_IS14_E10value_typeET4_jRbjT5_S1A_jjP12ihipStream_tbEUljE_EEESV_SW_SX_S14_S18_S1A_T6_T7_T9_mT8_S1C_bDpT10_ENKUlT_T0_E_clISt17integral_constantIbLb0EES1O_IbLb1EEEEDaS1K_S1L_EUlS1K_E_NS1_11comp_targetILNS1_3genE3ELNS1_11target_archE908ELNS1_3gpuE7ELNS1_3repE0EEENS1_30default_config_static_selectorELNS0_4arch9wavefront6targetE1EEEvSY_
                                        ; -- End function
	.set _ZN7rocprim17ROCPRIM_400000_NS6detail17trampoline_kernelINS0_13select_configILj256ELj13ELNS0_17block_load_methodE3ELS4_3ELS4_3ELNS0_20block_scan_algorithmE0ELj4294967295EEENS1_25partition_config_selectorILNS1_17partition_subalgoE3EjNS0_10empty_typeEbEEZZNS1_14partition_implILS8_3ELb0ES6_jNS0_17counting_iteratorIjlEEPS9_SE_NS0_5tupleIJPjSE_EEENSF_IJSE_SE_EEES9_SG_JZNS1_25segmented_radix_sort_implINS0_14default_configELb0EPKhPhPKlPlN2at6native12_GLOBAL__N_18offset_tEEE10hipError_tPvRmT1_PNSt15iterator_traitsISY_E10value_typeET2_T3_PNSZ_IS14_E10value_typeET4_jRbjT5_S1A_jjP12ihipStream_tbEUljE_EEESV_SW_SX_S14_S18_S1A_T6_T7_T9_mT8_S1C_bDpT10_ENKUlT_T0_E_clISt17integral_constantIbLb0EES1O_IbLb1EEEEDaS1K_S1L_EUlS1K_E_NS1_11comp_targetILNS1_3genE3ELNS1_11target_archE908ELNS1_3gpuE7ELNS1_3repE0EEENS1_30default_config_static_selectorELNS0_4arch9wavefront6targetE1EEEvSY_.num_vgpr, 0
	.set _ZN7rocprim17ROCPRIM_400000_NS6detail17trampoline_kernelINS0_13select_configILj256ELj13ELNS0_17block_load_methodE3ELS4_3ELS4_3ELNS0_20block_scan_algorithmE0ELj4294967295EEENS1_25partition_config_selectorILNS1_17partition_subalgoE3EjNS0_10empty_typeEbEEZZNS1_14partition_implILS8_3ELb0ES6_jNS0_17counting_iteratorIjlEEPS9_SE_NS0_5tupleIJPjSE_EEENSF_IJSE_SE_EEES9_SG_JZNS1_25segmented_radix_sort_implINS0_14default_configELb0EPKhPhPKlPlN2at6native12_GLOBAL__N_18offset_tEEE10hipError_tPvRmT1_PNSt15iterator_traitsISY_E10value_typeET2_T3_PNSZ_IS14_E10value_typeET4_jRbjT5_S1A_jjP12ihipStream_tbEUljE_EEESV_SW_SX_S14_S18_S1A_T6_T7_T9_mT8_S1C_bDpT10_ENKUlT_T0_E_clISt17integral_constantIbLb0EES1O_IbLb1EEEEDaS1K_S1L_EUlS1K_E_NS1_11comp_targetILNS1_3genE3ELNS1_11target_archE908ELNS1_3gpuE7ELNS1_3repE0EEENS1_30default_config_static_selectorELNS0_4arch9wavefront6targetE1EEEvSY_.num_agpr, 0
	.set _ZN7rocprim17ROCPRIM_400000_NS6detail17trampoline_kernelINS0_13select_configILj256ELj13ELNS0_17block_load_methodE3ELS4_3ELS4_3ELNS0_20block_scan_algorithmE0ELj4294967295EEENS1_25partition_config_selectorILNS1_17partition_subalgoE3EjNS0_10empty_typeEbEEZZNS1_14partition_implILS8_3ELb0ES6_jNS0_17counting_iteratorIjlEEPS9_SE_NS0_5tupleIJPjSE_EEENSF_IJSE_SE_EEES9_SG_JZNS1_25segmented_radix_sort_implINS0_14default_configELb0EPKhPhPKlPlN2at6native12_GLOBAL__N_18offset_tEEE10hipError_tPvRmT1_PNSt15iterator_traitsISY_E10value_typeET2_T3_PNSZ_IS14_E10value_typeET4_jRbjT5_S1A_jjP12ihipStream_tbEUljE_EEESV_SW_SX_S14_S18_S1A_T6_T7_T9_mT8_S1C_bDpT10_ENKUlT_T0_E_clISt17integral_constantIbLb0EES1O_IbLb1EEEEDaS1K_S1L_EUlS1K_E_NS1_11comp_targetILNS1_3genE3ELNS1_11target_archE908ELNS1_3gpuE7ELNS1_3repE0EEENS1_30default_config_static_selectorELNS0_4arch9wavefront6targetE1EEEvSY_.numbered_sgpr, 0
	.set _ZN7rocprim17ROCPRIM_400000_NS6detail17trampoline_kernelINS0_13select_configILj256ELj13ELNS0_17block_load_methodE3ELS4_3ELS4_3ELNS0_20block_scan_algorithmE0ELj4294967295EEENS1_25partition_config_selectorILNS1_17partition_subalgoE3EjNS0_10empty_typeEbEEZZNS1_14partition_implILS8_3ELb0ES6_jNS0_17counting_iteratorIjlEEPS9_SE_NS0_5tupleIJPjSE_EEENSF_IJSE_SE_EEES9_SG_JZNS1_25segmented_radix_sort_implINS0_14default_configELb0EPKhPhPKlPlN2at6native12_GLOBAL__N_18offset_tEEE10hipError_tPvRmT1_PNSt15iterator_traitsISY_E10value_typeET2_T3_PNSZ_IS14_E10value_typeET4_jRbjT5_S1A_jjP12ihipStream_tbEUljE_EEESV_SW_SX_S14_S18_S1A_T6_T7_T9_mT8_S1C_bDpT10_ENKUlT_T0_E_clISt17integral_constantIbLb0EES1O_IbLb1EEEEDaS1K_S1L_EUlS1K_E_NS1_11comp_targetILNS1_3genE3ELNS1_11target_archE908ELNS1_3gpuE7ELNS1_3repE0EEENS1_30default_config_static_selectorELNS0_4arch9wavefront6targetE1EEEvSY_.num_named_barrier, 0
	.set _ZN7rocprim17ROCPRIM_400000_NS6detail17trampoline_kernelINS0_13select_configILj256ELj13ELNS0_17block_load_methodE3ELS4_3ELS4_3ELNS0_20block_scan_algorithmE0ELj4294967295EEENS1_25partition_config_selectorILNS1_17partition_subalgoE3EjNS0_10empty_typeEbEEZZNS1_14partition_implILS8_3ELb0ES6_jNS0_17counting_iteratorIjlEEPS9_SE_NS0_5tupleIJPjSE_EEENSF_IJSE_SE_EEES9_SG_JZNS1_25segmented_radix_sort_implINS0_14default_configELb0EPKhPhPKlPlN2at6native12_GLOBAL__N_18offset_tEEE10hipError_tPvRmT1_PNSt15iterator_traitsISY_E10value_typeET2_T3_PNSZ_IS14_E10value_typeET4_jRbjT5_S1A_jjP12ihipStream_tbEUljE_EEESV_SW_SX_S14_S18_S1A_T6_T7_T9_mT8_S1C_bDpT10_ENKUlT_T0_E_clISt17integral_constantIbLb0EES1O_IbLb1EEEEDaS1K_S1L_EUlS1K_E_NS1_11comp_targetILNS1_3genE3ELNS1_11target_archE908ELNS1_3gpuE7ELNS1_3repE0EEENS1_30default_config_static_selectorELNS0_4arch9wavefront6targetE1EEEvSY_.private_seg_size, 0
	.set _ZN7rocprim17ROCPRIM_400000_NS6detail17trampoline_kernelINS0_13select_configILj256ELj13ELNS0_17block_load_methodE3ELS4_3ELS4_3ELNS0_20block_scan_algorithmE0ELj4294967295EEENS1_25partition_config_selectorILNS1_17partition_subalgoE3EjNS0_10empty_typeEbEEZZNS1_14partition_implILS8_3ELb0ES6_jNS0_17counting_iteratorIjlEEPS9_SE_NS0_5tupleIJPjSE_EEENSF_IJSE_SE_EEES9_SG_JZNS1_25segmented_radix_sort_implINS0_14default_configELb0EPKhPhPKlPlN2at6native12_GLOBAL__N_18offset_tEEE10hipError_tPvRmT1_PNSt15iterator_traitsISY_E10value_typeET2_T3_PNSZ_IS14_E10value_typeET4_jRbjT5_S1A_jjP12ihipStream_tbEUljE_EEESV_SW_SX_S14_S18_S1A_T6_T7_T9_mT8_S1C_bDpT10_ENKUlT_T0_E_clISt17integral_constantIbLb0EES1O_IbLb1EEEEDaS1K_S1L_EUlS1K_E_NS1_11comp_targetILNS1_3genE3ELNS1_11target_archE908ELNS1_3gpuE7ELNS1_3repE0EEENS1_30default_config_static_selectorELNS0_4arch9wavefront6targetE1EEEvSY_.uses_vcc, 0
	.set _ZN7rocprim17ROCPRIM_400000_NS6detail17trampoline_kernelINS0_13select_configILj256ELj13ELNS0_17block_load_methodE3ELS4_3ELS4_3ELNS0_20block_scan_algorithmE0ELj4294967295EEENS1_25partition_config_selectorILNS1_17partition_subalgoE3EjNS0_10empty_typeEbEEZZNS1_14partition_implILS8_3ELb0ES6_jNS0_17counting_iteratorIjlEEPS9_SE_NS0_5tupleIJPjSE_EEENSF_IJSE_SE_EEES9_SG_JZNS1_25segmented_radix_sort_implINS0_14default_configELb0EPKhPhPKlPlN2at6native12_GLOBAL__N_18offset_tEEE10hipError_tPvRmT1_PNSt15iterator_traitsISY_E10value_typeET2_T3_PNSZ_IS14_E10value_typeET4_jRbjT5_S1A_jjP12ihipStream_tbEUljE_EEESV_SW_SX_S14_S18_S1A_T6_T7_T9_mT8_S1C_bDpT10_ENKUlT_T0_E_clISt17integral_constantIbLb0EES1O_IbLb1EEEEDaS1K_S1L_EUlS1K_E_NS1_11comp_targetILNS1_3genE3ELNS1_11target_archE908ELNS1_3gpuE7ELNS1_3repE0EEENS1_30default_config_static_selectorELNS0_4arch9wavefront6targetE1EEEvSY_.uses_flat_scratch, 0
	.set _ZN7rocprim17ROCPRIM_400000_NS6detail17trampoline_kernelINS0_13select_configILj256ELj13ELNS0_17block_load_methodE3ELS4_3ELS4_3ELNS0_20block_scan_algorithmE0ELj4294967295EEENS1_25partition_config_selectorILNS1_17partition_subalgoE3EjNS0_10empty_typeEbEEZZNS1_14partition_implILS8_3ELb0ES6_jNS0_17counting_iteratorIjlEEPS9_SE_NS0_5tupleIJPjSE_EEENSF_IJSE_SE_EEES9_SG_JZNS1_25segmented_radix_sort_implINS0_14default_configELb0EPKhPhPKlPlN2at6native12_GLOBAL__N_18offset_tEEE10hipError_tPvRmT1_PNSt15iterator_traitsISY_E10value_typeET2_T3_PNSZ_IS14_E10value_typeET4_jRbjT5_S1A_jjP12ihipStream_tbEUljE_EEESV_SW_SX_S14_S18_S1A_T6_T7_T9_mT8_S1C_bDpT10_ENKUlT_T0_E_clISt17integral_constantIbLb0EES1O_IbLb1EEEEDaS1K_S1L_EUlS1K_E_NS1_11comp_targetILNS1_3genE3ELNS1_11target_archE908ELNS1_3gpuE7ELNS1_3repE0EEENS1_30default_config_static_selectorELNS0_4arch9wavefront6targetE1EEEvSY_.has_dyn_sized_stack, 0
	.set _ZN7rocprim17ROCPRIM_400000_NS6detail17trampoline_kernelINS0_13select_configILj256ELj13ELNS0_17block_load_methodE3ELS4_3ELS4_3ELNS0_20block_scan_algorithmE0ELj4294967295EEENS1_25partition_config_selectorILNS1_17partition_subalgoE3EjNS0_10empty_typeEbEEZZNS1_14partition_implILS8_3ELb0ES6_jNS0_17counting_iteratorIjlEEPS9_SE_NS0_5tupleIJPjSE_EEENSF_IJSE_SE_EEES9_SG_JZNS1_25segmented_radix_sort_implINS0_14default_configELb0EPKhPhPKlPlN2at6native12_GLOBAL__N_18offset_tEEE10hipError_tPvRmT1_PNSt15iterator_traitsISY_E10value_typeET2_T3_PNSZ_IS14_E10value_typeET4_jRbjT5_S1A_jjP12ihipStream_tbEUljE_EEESV_SW_SX_S14_S18_S1A_T6_T7_T9_mT8_S1C_bDpT10_ENKUlT_T0_E_clISt17integral_constantIbLb0EES1O_IbLb1EEEEDaS1K_S1L_EUlS1K_E_NS1_11comp_targetILNS1_3genE3ELNS1_11target_archE908ELNS1_3gpuE7ELNS1_3repE0EEENS1_30default_config_static_selectorELNS0_4arch9wavefront6targetE1EEEvSY_.has_recursion, 0
	.set _ZN7rocprim17ROCPRIM_400000_NS6detail17trampoline_kernelINS0_13select_configILj256ELj13ELNS0_17block_load_methodE3ELS4_3ELS4_3ELNS0_20block_scan_algorithmE0ELj4294967295EEENS1_25partition_config_selectorILNS1_17partition_subalgoE3EjNS0_10empty_typeEbEEZZNS1_14partition_implILS8_3ELb0ES6_jNS0_17counting_iteratorIjlEEPS9_SE_NS0_5tupleIJPjSE_EEENSF_IJSE_SE_EEES9_SG_JZNS1_25segmented_radix_sort_implINS0_14default_configELb0EPKhPhPKlPlN2at6native12_GLOBAL__N_18offset_tEEE10hipError_tPvRmT1_PNSt15iterator_traitsISY_E10value_typeET2_T3_PNSZ_IS14_E10value_typeET4_jRbjT5_S1A_jjP12ihipStream_tbEUljE_EEESV_SW_SX_S14_S18_S1A_T6_T7_T9_mT8_S1C_bDpT10_ENKUlT_T0_E_clISt17integral_constantIbLb0EES1O_IbLb1EEEEDaS1K_S1L_EUlS1K_E_NS1_11comp_targetILNS1_3genE3ELNS1_11target_archE908ELNS1_3gpuE7ELNS1_3repE0EEENS1_30default_config_static_selectorELNS0_4arch9wavefront6targetE1EEEvSY_.has_indirect_call, 0
	.section	.AMDGPU.csdata,"",@progbits
; Kernel info:
; codeLenInByte = 0
; TotalNumSgprs: 4
; NumVgprs: 0
; ScratchSize: 0
; MemoryBound: 0
; FloatMode: 240
; IeeeMode: 1
; LDSByteSize: 0 bytes/workgroup (compile time only)
; SGPRBlocks: 0
; VGPRBlocks: 0
; NumSGPRsForWavesPerEU: 4
; NumVGPRsForWavesPerEU: 1
; Occupancy: 10
; WaveLimiterHint : 0
; COMPUTE_PGM_RSRC2:SCRATCH_EN: 0
; COMPUTE_PGM_RSRC2:USER_SGPR: 6
; COMPUTE_PGM_RSRC2:TRAP_HANDLER: 0
; COMPUTE_PGM_RSRC2:TGID_X_EN: 1
; COMPUTE_PGM_RSRC2:TGID_Y_EN: 0
; COMPUTE_PGM_RSRC2:TGID_Z_EN: 0
; COMPUTE_PGM_RSRC2:TIDIG_COMP_CNT: 0
	.section	.text._ZN7rocprim17ROCPRIM_400000_NS6detail17trampoline_kernelINS0_13select_configILj256ELj13ELNS0_17block_load_methodE3ELS4_3ELS4_3ELNS0_20block_scan_algorithmE0ELj4294967295EEENS1_25partition_config_selectorILNS1_17partition_subalgoE3EjNS0_10empty_typeEbEEZZNS1_14partition_implILS8_3ELb0ES6_jNS0_17counting_iteratorIjlEEPS9_SE_NS0_5tupleIJPjSE_EEENSF_IJSE_SE_EEES9_SG_JZNS1_25segmented_radix_sort_implINS0_14default_configELb0EPKhPhPKlPlN2at6native12_GLOBAL__N_18offset_tEEE10hipError_tPvRmT1_PNSt15iterator_traitsISY_E10value_typeET2_T3_PNSZ_IS14_E10value_typeET4_jRbjT5_S1A_jjP12ihipStream_tbEUljE_EEESV_SW_SX_S14_S18_S1A_T6_T7_T9_mT8_S1C_bDpT10_ENKUlT_T0_E_clISt17integral_constantIbLb0EES1O_IbLb1EEEEDaS1K_S1L_EUlS1K_E_NS1_11comp_targetILNS1_3genE2ELNS1_11target_archE906ELNS1_3gpuE6ELNS1_3repE0EEENS1_30default_config_static_selectorELNS0_4arch9wavefront6targetE1EEEvSY_,"axG",@progbits,_ZN7rocprim17ROCPRIM_400000_NS6detail17trampoline_kernelINS0_13select_configILj256ELj13ELNS0_17block_load_methodE3ELS4_3ELS4_3ELNS0_20block_scan_algorithmE0ELj4294967295EEENS1_25partition_config_selectorILNS1_17partition_subalgoE3EjNS0_10empty_typeEbEEZZNS1_14partition_implILS8_3ELb0ES6_jNS0_17counting_iteratorIjlEEPS9_SE_NS0_5tupleIJPjSE_EEENSF_IJSE_SE_EEES9_SG_JZNS1_25segmented_radix_sort_implINS0_14default_configELb0EPKhPhPKlPlN2at6native12_GLOBAL__N_18offset_tEEE10hipError_tPvRmT1_PNSt15iterator_traitsISY_E10value_typeET2_T3_PNSZ_IS14_E10value_typeET4_jRbjT5_S1A_jjP12ihipStream_tbEUljE_EEESV_SW_SX_S14_S18_S1A_T6_T7_T9_mT8_S1C_bDpT10_ENKUlT_T0_E_clISt17integral_constantIbLb0EES1O_IbLb1EEEEDaS1K_S1L_EUlS1K_E_NS1_11comp_targetILNS1_3genE2ELNS1_11target_archE906ELNS1_3gpuE6ELNS1_3repE0EEENS1_30default_config_static_selectorELNS0_4arch9wavefront6targetE1EEEvSY_,comdat
	.globl	_ZN7rocprim17ROCPRIM_400000_NS6detail17trampoline_kernelINS0_13select_configILj256ELj13ELNS0_17block_load_methodE3ELS4_3ELS4_3ELNS0_20block_scan_algorithmE0ELj4294967295EEENS1_25partition_config_selectorILNS1_17partition_subalgoE3EjNS0_10empty_typeEbEEZZNS1_14partition_implILS8_3ELb0ES6_jNS0_17counting_iteratorIjlEEPS9_SE_NS0_5tupleIJPjSE_EEENSF_IJSE_SE_EEES9_SG_JZNS1_25segmented_radix_sort_implINS0_14default_configELb0EPKhPhPKlPlN2at6native12_GLOBAL__N_18offset_tEEE10hipError_tPvRmT1_PNSt15iterator_traitsISY_E10value_typeET2_T3_PNSZ_IS14_E10value_typeET4_jRbjT5_S1A_jjP12ihipStream_tbEUljE_EEESV_SW_SX_S14_S18_S1A_T6_T7_T9_mT8_S1C_bDpT10_ENKUlT_T0_E_clISt17integral_constantIbLb0EES1O_IbLb1EEEEDaS1K_S1L_EUlS1K_E_NS1_11comp_targetILNS1_3genE2ELNS1_11target_archE906ELNS1_3gpuE6ELNS1_3repE0EEENS1_30default_config_static_selectorELNS0_4arch9wavefront6targetE1EEEvSY_ ; -- Begin function _ZN7rocprim17ROCPRIM_400000_NS6detail17trampoline_kernelINS0_13select_configILj256ELj13ELNS0_17block_load_methodE3ELS4_3ELS4_3ELNS0_20block_scan_algorithmE0ELj4294967295EEENS1_25partition_config_selectorILNS1_17partition_subalgoE3EjNS0_10empty_typeEbEEZZNS1_14partition_implILS8_3ELb0ES6_jNS0_17counting_iteratorIjlEEPS9_SE_NS0_5tupleIJPjSE_EEENSF_IJSE_SE_EEES9_SG_JZNS1_25segmented_radix_sort_implINS0_14default_configELb0EPKhPhPKlPlN2at6native12_GLOBAL__N_18offset_tEEE10hipError_tPvRmT1_PNSt15iterator_traitsISY_E10value_typeET2_T3_PNSZ_IS14_E10value_typeET4_jRbjT5_S1A_jjP12ihipStream_tbEUljE_EEESV_SW_SX_S14_S18_S1A_T6_T7_T9_mT8_S1C_bDpT10_ENKUlT_T0_E_clISt17integral_constantIbLb0EES1O_IbLb1EEEEDaS1K_S1L_EUlS1K_E_NS1_11comp_targetILNS1_3genE2ELNS1_11target_archE906ELNS1_3gpuE6ELNS1_3repE0EEENS1_30default_config_static_selectorELNS0_4arch9wavefront6targetE1EEEvSY_
	.p2align	8
	.type	_ZN7rocprim17ROCPRIM_400000_NS6detail17trampoline_kernelINS0_13select_configILj256ELj13ELNS0_17block_load_methodE3ELS4_3ELS4_3ELNS0_20block_scan_algorithmE0ELj4294967295EEENS1_25partition_config_selectorILNS1_17partition_subalgoE3EjNS0_10empty_typeEbEEZZNS1_14partition_implILS8_3ELb0ES6_jNS0_17counting_iteratorIjlEEPS9_SE_NS0_5tupleIJPjSE_EEENSF_IJSE_SE_EEES9_SG_JZNS1_25segmented_radix_sort_implINS0_14default_configELb0EPKhPhPKlPlN2at6native12_GLOBAL__N_18offset_tEEE10hipError_tPvRmT1_PNSt15iterator_traitsISY_E10value_typeET2_T3_PNSZ_IS14_E10value_typeET4_jRbjT5_S1A_jjP12ihipStream_tbEUljE_EEESV_SW_SX_S14_S18_S1A_T6_T7_T9_mT8_S1C_bDpT10_ENKUlT_T0_E_clISt17integral_constantIbLb0EES1O_IbLb1EEEEDaS1K_S1L_EUlS1K_E_NS1_11comp_targetILNS1_3genE2ELNS1_11target_archE906ELNS1_3gpuE6ELNS1_3repE0EEENS1_30default_config_static_selectorELNS0_4arch9wavefront6targetE1EEEvSY_,@function
_ZN7rocprim17ROCPRIM_400000_NS6detail17trampoline_kernelINS0_13select_configILj256ELj13ELNS0_17block_load_methodE3ELS4_3ELS4_3ELNS0_20block_scan_algorithmE0ELj4294967295EEENS1_25partition_config_selectorILNS1_17partition_subalgoE3EjNS0_10empty_typeEbEEZZNS1_14partition_implILS8_3ELb0ES6_jNS0_17counting_iteratorIjlEEPS9_SE_NS0_5tupleIJPjSE_EEENSF_IJSE_SE_EEES9_SG_JZNS1_25segmented_radix_sort_implINS0_14default_configELb0EPKhPhPKlPlN2at6native12_GLOBAL__N_18offset_tEEE10hipError_tPvRmT1_PNSt15iterator_traitsISY_E10value_typeET2_T3_PNSZ_IS14_E10value_typeET4_jRbjT5_S1A_jjP12ihipStream_tbEUljE_EEESV_SW_SX_S14_S18_S1A_T6_T7_T9_mT8_S1C_bDpT10_ENKUlT_T0_E_clISt17integral_constantIbLb0EES1O_IbLb1EEEEDaS1K_S1L_EUlS1K_E_NS1_11comp_targetILNS1_3genE2ELNS1_11target_archE906ELNS1_3gpuE6ELNS1_3repE0EEENS1_30default_config_static_selectorELNS0_4arch9wavefront6targetE1EEEvSY_: ; @_ZN7rocprim17ROCPRIM_400000_NS6detail17trampoline_kernelINS0_13select_configILj256ELj13ELNS0_17block_load_methodE3ELS4_3ELS4_3ELNS0_20block_scan_algorithmE0ELj4294967295EEENS1_25partition_config_selectorILNS1_17partition_subalgoE3EjNS0_10empty_typeEbEEZZNS1_14partition_implILS8_3ELb0ES6_jNS0_17counting_iteratorIjlEEPS9_SE_NS0_5tupleIJPjSE_EEENSF_IJSE_SE_EEES9_SG_JZNS1_25segmented_radix_sort_implINS0_14default_configELb0EPKhPhPKlPlN2at6native12_GLOBAL__N_18offset_tEEE10hipError_tPvRmT1_PNSt15iterator_traitsISY_E10value_typeET2_T3_PNSZ_IS14_E10value_typeET4_jRbjT5_S1A_jjP12ihipStream_tbEUljE_EEESV_SW_SX_S14_S18_S1A_T6_T7_T9_mT8_S1C_bDpT10_ENKUlT_T0_E_clISt17integral_constantIbLb0EES1O_IbLb1EEEEDaS1K_S1L_EUlS1K_E_NS1_11comp_targetILNS1_3genE2ELNS1_11target_archE906ELNS1_3gpuE6ELNS1_3repE0EEENS1_30default_config_static_selectorELNS0_4arch9wavefront6targetE1EEEvSY_
; %bb.0:
	s_load_dwordx2 s[28:29], s[4:5], 0x10
	s_load_dwordx2 s[22:23], s[4:5], 0x28
	;; [unrolled: 1-line block ×3, first 2 shown]
	s_load_dwordx4 s[24:27], s[4:5], 0x48
	s_load_dword s14, s[4:5], 0x90
	s_load_dwordx2 s[34:35], s[4:5], 0x68
	s_load_dwordx4 s[8:11], s[4:5], 0x80
	v_cmp_eq_u32_e64 s[0:1], 0, v0
	s_and_saveexec_b64 s[2:3], s[0:1]
	s_cbranch_execz .LBB182_4
; %bb.1:
	s_mov_b64 s[12:13], exec
	v_mbcnt_lo_u32_b32 v1, s12, 0
	v_mbcnt_hi_u32_b32 v1, s13, v1
	v_cmp_eq_u32_e32 vcc, 0, v1
                                        ; implicit-def: $vgpr2
	s_and_saveexec_b64 s[6:7], vcc
	s_cbranch_execz .LBB182_3
; %bb.2:
	s_load_dwordx2 s[16:17], s[4:5], 0x78
	s_bcnt1_i32_b64 s12, s[12:13]
	v_mov_b32_e32 v2, 0
	v_mov_b32_e32 v3, s12
	s_waitcnt lgkmcnt(0)
	global_atomic_add v2, v2, v3, s[16:17] glc
.LBB182_3:
	s_or_b64 exec, exec, s[6:7]
	s_waitcnt vmcnt(0)
	v_readfirstlane_b32 s6, v2
	v_add_u32_e32 v1, s6, v1
	v_mov_b32_e32 v2, 0
	ds_write_b32 v2, v1
.LBB182_4:
	s_or_b64 exec, exec, s[2:3]
	v_mov_b32_e32 v1, 0
	s_load_dword s6, s[4:5], 0x8
	s_load_dword s2, s[4:5], 0x70
	s_waitcnt lgkmcnt(0)
	s_barrier
	ds_read_b32 v5, v1
	s_waitcnt lgkmcnt(0)
	s_barrier
	global_load_dwordx2 v[3:4], v1, s[26:27]
	s_add_i32 s4, s2, -1
	s_mulk_i32 s2, 0xd00
	s_add_i32 s3, s2, s28
	s_sub_i32 s33, s30, s3
	s_add_i32 s6, s6, s28
	s_addk_i32 s33, 0xd00
	s_add_u32 s2, s28, s2
	s_addc_u32 s3, s29, 0
	v_mov_b32_e32 v1, s2
	v_mov_b32_e32 v2, s3
	v_readfirstlane_b32 s43, v5
	v_cmp_gt_u64_e32 vcc, s[30:31], v[1:2]
	s_cmp_eq_u32 s43, s4
	v_cmp_ne_u32_e64 s[2:3], s4, v5
	s_cselect_b64 s[26:27], -1, 0
	s_or_b64 s[4:5], vcc, s[2:3]
	s_mul_i32 s42, s43, 0xd00
	s_mov_b64 s[2:3], -1
	s_and_b64 vcc, exec, s[4:5]
	v_lshlrev_b32_e32 v25, 2, v0
	s_cbranch_vccz .LBB182_6
; %bb.5:
	s_add_i32 s2, s42, s6
	v_add_u32_e32 v1, s2, v0
	v_add_u32_e32 v2, 0x100, v1
	;; [unrolled: 1-line block ×13, first 2 shown]
	ds_write2st64_b32 v25, v1, v2 offset1:4
	ds_write2st64_b32 v25, v5, v6 offset0:8 offset1:12
	ds_write2st64_b32 v25, v7, v8 offset0:16 offset1:20
	;; [unrolled: 1-line block ×5, first 2 shown]
	ds_write_b32 v25, v15 offset:12288
	s_waitcnt vmcnt(0) lgkmcnt(0)
	s_barrier
	s_mov_b64 s[2:3], 0
.LBB182_6:
	s_andn2_b64 vcc, exec, s[2:3]
	v_cmp_gt_u32_e64 s[2:3], s33, v0
	s_cbranch_vccnz .LBB182_8
; %bb.7:
	s_add_i32 s6, s42, s6
	v_or_b32_e32 v2, 0x100, v0
	v_add_u32_e32 v5, s6, v2
	v_cmp_gt_u32_e32 vcc, s33, v2
	v_cndmask_b32_e32 v2, 0, v5, vcc
	v_or_b32_e32 v5, 0x200, v0
	v_add_u32_e32 v6, s6, v5
	v_cmp_gt_u32_e32 vcc, s33, v5
	v_cndmask_b32_e32 v5, 0, v6, vcc
	;; [unrolled: 4-line block ×10, first 2 shown]
	v_or_b32_e32 v14, 0xb00, v0
	v_add_u32_e32 v15, s6, v14
	v_cmp_gt_u32_e32 vcc, s33, v14
	v_add_u32_e32 v1, s6, v0
	v_cndmask_b32_e32 v14, 0, v15, vcc
	v_or_b32_e32 v15, 0xc00, v0
	v_cndmask_b32_e64 v1, 0, v1, s[2:3]
	v_add_u32_e32 v16, s6, v15
	v_cmp_gt_u32_e32 vcc, s33, v15
	v_cndmask_b32_e32 v15, 0, v16, vcc
	ds_write2st64_b32 v25, v1, v2 offset1:4
	ds_write2st64_b32 v25, v5, v6 offset0:8 offset1:12
	ds_write2st64_b32 v25, v7, v8 offset0:16 offset1:20
	;; [unrolled: 1-line block ×5, first 2 shown]
	ds_write_b32 v25, v15 offset:12288
	s_waitcnt vmcnt(0) lgkmcnt(0)
	s_barrier
.LBB182_8:
	v_mul_u32_u24_e32 v27, 13, v0
	v_lshlrev_b32_e32 v1, 2, v27
	ds_read2_b32 v[15:16], v1 offset1:1
	ds_read2_b32 v[13:14], v1 offset0:2 offset1:3
	ds_read2_b32 v[11:12], v1 offset0:4 offset1:5
	ds_read2_b32 v[9:10], v1 offset0:6 offset1:7
	ds_read2_b32 v[7:8], v1 offset0:8 offset1:9
	ds_read2_b32 v[5:6], v1 offset0:10 offset1:11
	ds_read_b32 v26, v1 offset:48
	v_cndmask_b32_e64 v1, 0, 1, s[4:5]
	v_cmp_ne_u32_e64 s[2:3], 1, v1
	s_andn2_b64 vcc, exec, s[4:5]
	s_waitcnt vmcnt(0) lgkmcnt(0)
	s_barrier
	s_cbranch_vccnz .LBB182_10
; %bb.9:
	v_add_u32_e32 v1, s9, v15
	v_add_u32_e32 v2, s11, v15
	v_mul_lo_u32 v1, v1, s8
	v_mul_lo_u32 v2, v2, s10
	v_add_u32_e32 v17, s9, v13
	v_add_u32_e32 v18, s11, v13
	v_mul_lo_u32 v17, v17, s8
	v_sub_u32_e32 v1, v1, v2
	v_cmp_lt_u32_e32 vcc, s14, v1
	v_add_u32_e32 v1, s9, v16
	v_add_u32_e32 v2, s11, v16
	v_mul_lo_u32 v1, v1, s8
	v_mul_lo_u32 v2, v2, s10
	;; [unrolled: 1-line block ×3, first 2 shown]
	v_cndmask_b32_e64 v28, 0, 1, vcc
	v_sub_u32_e32 v1, v1, v2
	v_cmp_lt_u32_e32 vcc, s14, v1
	v_sub_u32_e32 v1, v17, v18
	v_cndmask_b32_e64 v29, 0, 1, vcc
	v_cmp_lt_u32_e32 vcc, s14, v1
	v_add_u32_e32 v1, s9, v14
	v_add_u32_e32 v2, s11, v14
	v_mul_lo_u32 v1, v1, s8
	v_mul_lo_u32 v2, v2, s10
	v_add_u32_e32 v17, s9, v11
	v_add_u32_e32 v18, s11, v11
	v_mul_lo_u32 v17, v17, s8
	v_mul_lo_u32 v18, v18, s10
	v_sub_u32_e32 v1, v1, v2
	v_cndmask_b32_e64 v30, 0, 1, vcc
	v_cmp_lt_u32_e32 vcc, s14, v1
	v_sub_u32_e32 v1, v17, v18
	v_cndmask_b32_e64 v31, 0, 1, vcc
	v_cmp_lt_u32_e32 vcc, s14, v1
	v_add_u32_e32 v1, s9, v12
	v_add_u32_e32 v2, s11, v12
	v_mul_lo_u32 v1, v1, s8
	v_mul_lo_u32 v2, v2, s10
	v_add_u32_e32 v17, s9, v9
	v_add_u32_e32 v18, s11, v9
	v_mul_lo_u32 v17, v17, s8
	v_mul_lo_u32 v18, v18, s10
	v_sub_u32_e32 v1, v1, v2
	v_cndmask_b32_e64 v32, 0, 1, vcc
	;; [unrolled: 14-line block ×5, first 2 shown]
	v_cmp_lt_u32_e32 vcc, s14, v1
	v_sub_u32_e32 v1, v17, v18
	v_cndmask_b32_e64 v39, 0, 1, vcc
	v_cmp_lt_u32_e64 s[36:37], s14, v1
	s_cbranch_execz .LBB182_11
	s_branch .LBB182_38
.LBB182_10:
                                        ; implicit-def: $sgpr36_sgpr37
                                        ; implicit-def: $vgpr39
                                        ; implicit-def: $vgpr38
                                        ; implicit-def: $vgpr37
                                        ; implicit-def: $vgpr36
                                        ; implicit-def: $vgpr35
                                        ; implicit-def: $vgpr34
                                        ; implicit-def: $vgpr33
                                        ; implicit-def: $vgpr32
                                        ; implicit-def: $vgpr28
                                        ; implicit-def: $vgpr29
                                        ; implicit-def: $vgpr30
                                        ; implicit-def: $vgpr31
.LBB182_11:
	v_cmp_gt_u32_e32 vcc, s33, v27
	v_mov_b32_e32 v29, 0
	v_mov_b32_e32 v28, 0
	s_and_saveexec_b64 s[4:5], vcc
	s_cbranch_execz .LBB182_13
; %bb.12:
	v_add_u32_e32 v1, s9, v15
	v_add_u32_e32 v2, s11, v15
	v_mul_lo_u32 v1, v1, s8
	v_mul_lo_u32 v2, v2, s10
	v_sub_u32_e32 v1, v1, v2
	v_cmp_lt_u32_e32 vcc, s14, v1
	v_cndmask_b32_e64 v28, 0, 1, vcc
.LBB182_13:
	s_or_b64 exec, exec, s[4:5]
	v_add_u32_e32 v1, 1, v27
	v_cmp_gt_u32_e32 vcc, s33, v1
	s_and_saveexec_b64 s[4:5], vcc
	s_cbranch_execz .LBB182_15
; %bb.14:
	v_add_u32_e32 v1, s9, v16
	v_add_u32_e32 v2, s11, v16
	v_mul_lo_u32 v1, v1, s8
	v_mul_lo_u32 v2, v2, s10
	v_sub_u32_e32 v1, v1, v2
	v_cmp_lt_u32_e32 vcc, s14, v1
	v_cndmask_b32_e64 v29, 0, 1, vcc
.LBB182_15:
	s_or_b64 exec, exec, s[4:5]
	v_add_u32_e32 v1, 2, v27
	v_cmp_gt_u32_e32 vcc, s33, v1
	v_mov_b32_e32 v31, 0
	v_mov_b32_e32 v30, 0
	s_and_saveexec_b64 s[4:5], vcc
	s_cbranch_execz .LBB182_17
; %bb.16:
	v_add_u32_e32 v1, s9, v13
	v_add_u32_e32 v2, s11, v13
	v_mul_lo_u32 v1, v1, s8
	v_mul_lo_u32 v2, v2, s10
	v_sub_u32_e32 v1, v1, v2
	v_cmp_lt_u32_e32 vcc, s14, v1
	v_cndmask_b32_e64 v30, 0, 1, vcc
.LBB182_17:
	s_or_b64 exec, exec, s[4:5]
	v_add_u32_e32 v1, 3, v27
	v_cmp_gt_u32_e32 vcc, s33, v1
	s_and_saveexec_b64 s[4:5], vcc
	s_cbranch_execz .LBB182_19
; %bb.18:
	v_add_u32_e32 v1, s9, v14
	v_add_u32_e32 v2, s11, v14
	v_mul_lo_u32 v1, v1, s8
	v_mul_lo_u32 v2, v2, s10
	v_sub_u32_e32 v1, v1, v2
	v_cmp_lt_u32_e32 vcc, s14, v1
	v_cndmask_b32_e64 v31, 0, 1, vcc
.LBB182_19:
	s_or_b64 exec, exec, s[4:5]
	v_add_u32_e32 v1, 4, v27
	;; [unrolled: 30-line block ×6, first 2 shown]
	v_cmp_gt_u32_e32 vcc, s33, v1
	s_mov_b64 s[36:37], 0
	s_and_saveexec_b64 s[4:5], vcc
	s_cbranch_execz .LBB182_37
; %bb.36:
	v_add_u32_e32 v1, s9, v26
	v_add_u32_e32 v2, s11, v26
	v_mul_lo_u32 v1, v1, s8
	v_mul_lo_u32 v2, v2, s10
	v_sub_u32_e32 v1, v1, v2
	v_cmp_lt_u32_e32 vcc, s14, v1
	s_and_b64 s[36:37], vcc, exec
.LBB182_37:
	s_or_b64 exec, exec, s[4:5]
.LBB182_38:
	v_and_b32_e32 v42, 0xff, v29
	v_and_b32_e32 v43, 0xff, v30
	;; [unrolled: 1-line block ×5, first 2 shown]
	v_add3_u32 v2, v43, v44, v42
	v_and_b32_e32 v46, 0xff, v33
	v_and_b32_e32 v47, 0xff, v34
	v_add3_u32 v2, v2, v41, v45
	v_and_b32_e32 v48, 0xff, v35
	v_and_b32_e32 v49, 0xff, v36
	;; [unrolled: 3-line block ×3, first 2 shown]
	v_add3_u32 v2, v2, v48, v49
	v_and_b32_e32 v40, 0xff, v39
	v_cndmask_b32_e64 v1, 0, 1, s[36:37]
	v_add3_u32 v2, v2, v50, v51
	v_add3_u32 v54, v2, v40, v1
	v_mbcnt_lo_u32_b32 v1, -1, 0
	v_mbcnt_hi_u32_b32 v52, -1, v1
	v_and_b32_e32 v1, 15, v52
	v_cmp_eq_u32_e64 s[16:17], 0, v1
	v_cmp_lt_u32_e64 s[14:15], 1, v1
	v_cmp_lt_u32_e64 s[12:13], 3, v1
	v_cmp_lt_u32_e64 s[10:11], 7, v1
	v_and_b32_e32 v1, 16, v52
	v_cmp_eq_u32_e64 s[8:9], 0, v1
	v_or_b32_e32 v1, 63, v0
	s_cmp_lg_u32 s43, 0
	v_cmp_lt_u32_e64 s[4:5], 31, v52
	v_lshrrev_b32_e32 v53, 6, v0
	v_cmp_eq_u32_e64 s[6:7], v0, v1
	s_cbranch_scc0 .LBB182_60
; %bb.39:
	v_mov_b32_dpp v1, v54 row_shr:1 row_mask:0xf bank_mask:0xf
	v_cndmask_b32_e64 v1, v1, 0, s[16:17]
	v_add_u32_e32 v1, v1, v54
	s_nop 1
	v_mov_b32_dpp v2, v1 row_shr:2 row_mask:0xf bank_mask:0xf
	v_cndmask_b32_e64 v2, 0, v2, s[14:15]
	v_add_u32_e32 v1, v1, v2
	s_nop 1
	;; [unrolled: 4-line block ×4, first 2 shown]
	v_mov_b32_dpp v2, v1 row_bcast:15 row_mask:0xf bank_mask:0xf
	v_cndmask_b32_e64 v2, v2, 0, s[8:9]
	v_add_u32_e32 v1, v1, v2
	s_nop 1
	v_mov_b32_dpp v2, v1 row_bcast:31 row_mask:0xf bank_mask:0xf
	v_cndmask_b32_e64 v2, 0, v2, s[4:5]
	v_add_u32_e32 v1, v1, v2
	s_and_saveexec_b64 s[18:19], s[6:7]
; %bb.40:
	v_lshlrev_b32_e32 v2, 2, v53
	ds_write_b32 v2, v1
; %bb.41:
	s_or_b64 exec, exec, s[18:19]
	v_cmp_gt_u32_e32 vcc, 4, v0
	s_waitcnt lgkmcnt(0)
	s_barrier
	s_and_saveexec_b64 s[18:19], vcc
	s_cbranch_execz .LBB182_43
; %bb.42:
	ds_read_b32 v2, v25
	v_and_b32_e32 v17, 3, v52
	v_cmp_ne_u32_e32 vcc, 0, v17
	s_waitcnt lgkmcnt(0)
	v_mov_b32_dpp v18, v2 row_shr:1 row_mask:0xf bank_mask:0xf
	v_cndmask_b32_e32 v18, 0, v18, vcc
	v_add_u32_e32 v2, v18, v2
	v_cmp_lt_u32_e32 vcc, 1, v17
	s_nop 0
	v_mov_b32_dpp v18, v2 row_shr:2 row_mask:0xf bank_mask:0xf
	v_cndmask_b32_e32 v17, 0, v18, vcc
	v_add_u32_e32 v2, v2, v17
	ds_write_b32 v25, v2
.LBB182_43:
	s_or_b64 exec, exec, s[18:19]
	v_cmp_gt_u32_e32 vcc, 64, v0
	v_cmp_lt_u32_e64 s[18:19], 63, v0
	s_waitcnt lgkmcnt(0)
	s_barrier
                                        ; implicit-def: $vgpr55
	s_and_saveexec_b64 s[20:21], s[18:19]
	s_cbranch_execz .LBB182_45
; %bb.44:
	v_lshl_add_u32 v2, v53, 2, -4
	ds_read_b32 v55, v2
	s_waitcnt lgkmcnt(0)
	v_add_u32_e32 v1, v55, v1
.LBB182_45:
	s_or_b64 exec, exec, s[20:21]
	v_subrev_co_u32_e64 v2, s[18:19], 1, v52
	v_and_b32_e32 v17, 64, v52
	v_cmp_lt_i32_e64 s[20:21], v2, v17
	v_cndmask_b32_e64 v2, v2, v52, s[20:21]
	v_lshlrev_b32_e32 v2, 2, v2
	ds_bpermute_b32 v56, v2, v1
	s_and_saveexec_b64 s[20:21], vcc
	s_cbranch_execz .LBB182_65
; %bb.46:
	v_mov_b32_e32 v21, 0
	ds_read_b32 v1, v21 offset:12
	s_and_saveexec_b64 s[38:39], s[18:19]
	s_cbranch_execz .LBB182_48
; %bb.47:
	s_add_i32 s40, s43, 64
	s_mov_b32 s41, 0
	s_lshl_b64 s[40:41], s[40:41], 3
	s_add_u32 s40, s34, s40
	v_mov_b32_e32 v2, 1
	s_addc_u32 s41, s35, s41
	s_waitcnt lgkmcnt(0)
	global_store_dwordx2 v21, v[1:2], s[40:41]
.LBB182_48:
	s_or_b64 exec, exec, s[38:39]
	v_xad_u32 v17, v52, -1, s43
	v_add_u32_e32 v20, 64, v17
	v_lshlrev_b64 v[18:19], 3, v[20:21]
	v_mov_b32_e32 v2, s35
	v_add_co_u32_e32 v22, vcc, s34, v18
	v_addc_co_u32_e32 v23, vcc, v2, v19, vcc
	global_load_dwordx2 v[19:20], v[22:23], off glc
	s_waitcnt vmcnt(0)
	v_cmp_eq_u16_sdwa s[40:41], v20, v21 src0_sel:BYTE_0 src1_sel:DWORD
	s_and_saveexec_b64 s[38:39], s[40:41]
	s_cbranch_execz .LBB182_52
; %bb.49:
	s_mov_b64 s[40:41], 0
	v_mov_b32_e32 v2, 0
.LBB182_50:                             ; =>This Inner Loop Header: Depth=1
	global_load_dwordx2 v[19:20], v[22:23], off glc
	s_waitcnt vmcnt(0)
	v_cmp_ne_u16_sdwa s[44:45], v20, v2 src0_sel:BYTE_0 src1_sel:DWORD
	s_or_b64 s[40:41], s[44:45], s[40:41]
	s_andn2_b64 exec, exec, s[40:41]
	s_cbranch_execnz .LBB182_50
; %bb.51:
	s_or_b64 exec, exec, s[40:41]
.LBB182_52:
	s_or_b64 exec, exec, s[38:39]
	v_and_b32_e32 v58, 63, v52
	v_mov_b32_e32 v57, 2
	v_lshlrev_b64 v[21:22], v52, -1
	v_cmp_ne_u32_e32 vcc, 63, v58
	v_cmp_eq_u16_sdwa s[38:39], v20, v57 src0_sel:BYTE_0 src1_sel:DWORD
	v_addc_co_u32_e32 v23, vcc, 0, v52, vcc
	v_and_b32_e32 v2, s39, v22
	v_lshlrev_b32_e32 v59, 2, v23
	v_or_b32_e32 v2, 0x80000000, v2
	ds_bpermute_b32 v23, v59, v19
	v_and_b32_e32 v18, s38, v21
	v_ffbl_b32_e32 v2, v2
	v_add_u32_e32 v2, 32, v2
	v_ffbl_b32_e32 v18, v18
	v_min_u32_e32 v2, v18, v2
	v_cmp_lt_u32_e32 vcc, v58, v2
	s_waitcnt lgkmcnt(0)
	v_cndmask_b32_e32 v18, 0, v23, vcc
	v_cmp_gt_u32_e32 vcc, 62, v58
	v_add_u32_e32 v18, v18, v19
	v_cndmask_b32_e64 v19, 0, 2, vcc
	v_add_lshl_u32 v60, v19, v52, 2
	ds_bpermute_b32 v19, v60, v18
	v_add_u32_e32 v61, 2, v58
	v_cmp_le_u32_e32 vcc, v61, v2
	v_add_u32_e32 v63, 4, v58
	v_add_u32_e32 v65, 8, v58
	s_waitcnt lgkmcnt(0)
	v_cndmask_b32_e32 v19, 0, v19, vcc
	v_cmp_gt_u32_e32 vcc, 60, v58
	v_add_u32_e32 v18, v18, v19
	v_cndmask_b32_e64 v19, 0, 4, vcc
	v_add_lshl_u32 v62, v19, v52, 2
	ds_bpermute_b32 v19, v62, v18
	v_cmp_le_u32_e32 vcc, v63, v2
	v_add_u32_e32 v67, 16, v58
	v_add_u32_e32 v69, 32, v58
	s_waitcnt lgkmcnt(0)
	v_cndmask_b32_e32 v19, 0, v19, vcc
	v_cmp_gt_u32_e32 vcc, 56, v58
	v_add_u32_e32 v18, v18, v19
	v_cndmask_b32_e64 v19, 0, 8, vcc
	v_add_lshl_u32 v64, v19, v52, 2
	ds_bpermute_b32 v19, v64, v18
	v_cmp_le_u32_e32 vcc, v65, v2
	s_waitcnt lgkmcnt(0)
	v_cndmask_b32_e32 v19, 0, v19, vcc
	v_cmp_gt_u32_e32 vcc, 48, v58
	v_add_u32_e32 v18, v18, v19
	v_cndmask_b32_e64 v19, 0, 16, vcc
	v_add_lshl_u32 v66, v19, v52, 2
	ds_bpermute_b32 v19, v66, v18
	v_cmp_le_u32_e32 vcc, v67, v2
	s_waitcnt lgkmcnt(0)
	v_cndmask_b32_e32 v19, 0, v19, vcc
	v_add_u32_e32 v18, v18, v19
	v_mov_b32_e32 v19, 0x80
	v_lshl_or_b32 v68, v52, 2, v19
	ds_bpermute_b32 v19, v68, v18
	v_cmp_le_u32_e32 vcc, v69, v2
	s_waitcnt lgkmcnt(0)
	v_cndmask_b32_e32 v2, 0, v19, vcc
	v_add_u32_e32 v19, v18, v2
	v_mov_b32_e32 v18, 0
	s_branch .LBB182_56
.LBB182_53:                             ;   in Loop: Header=BB182_56 Depth=1
	s_or_b64 exec, exec, s[40:41]
.LBB182_54:                             ;   in Loop: Header=BB182_56 Depth=1
	s_or_b64 exec, exec, s[38:39]
	v_cmp_eq_u16_sdwa s[38:39], v20, v57 src0_sel:BYTE_0 src1_sel:DWORD
	v_and_b32_e32 v23, s39, v22
	v_or_b32_e32 v23, 0x80000000, v23
	ds_bpermute_b32 v70, v59, v19
	v_and_b32_e32 v24, s38, v21
	v_ffbl_b32_e32 v23, v23
	v_add_u32_e32 v23, 32, v23
	v_ffbl_b32_e32 v24, v24
	v_min_u32_e32 v23, v24, v23
	v_cmp_lt_u32_e32 vcc, v58, v23
	s_waitcnt lgkmcnt(0)
	v_cndmask_b32_e32 v24, 0, v70, vcc
	v_add_u32_e32 v19, v24, v19
	ds_bpermute_b32 v24, v60, v19
	v_cmp_le_u32_e32 vcc, v61, v23
	v_subrev_u32_e32 v17, 64, v17
	s_mov_b64 s[38:39], 0
	s_waitcnt lgkmcnt(0)
	v_cndmask_b32_e32 v24, 0, v24, vcc
	v_add_u32_e32 v19, v19, v24
	ds_bpermute_b32 v24, v62, v19
	v_cmp_le_u32_e32 vcc, v63, v23
	s_waitcnt lgkmcnt(0)
	v_cndmask_b32_e32 v24, 0, v24, vcc
	v_add_u32_e32 v19, v19, v24
	ds_bpermute_b32 v24, v64, v19
	v_cmp_le_u32_e32 vcc, v65, v23
	;; [unrolled: 5-line block ×4, first 2 shown]
	s_waitcnt lgkmcnt(0)
	v_cndmask_b32_e32 v23, 0, v24, vcc
	v_add3_u32 v19, v23, v2, v19
.LBB182_55:                             ;   in Loop: Header=BB182_56 Depth=1
	s_and_b64 vcc, exec, s[38:39]
	s_cbranch_vccnz .LBB182_61
.LBB182_56:                             ; =>This Loop Header: Depth=1
                                        ;     Child Loop BB182_59 Depth 2
	v_cmp_ne_u16_sdwa s[38:39], v20, v57 src0_sel:BYTE_0 src1_sel:DWORD
	v_mov_b32_e32 v2, v19
	s_cmp_lg_u64 s[38:39], exec
	s_mov_b64 s[38:39], -1
                                        ; implicit-def: $vgpr19
                                        ; implicit-def: $vgpr20
	s_cbranch_scc1 .LBB182_55
; %bb.57:                               ;   in Loop: Header=BB182_56 Depth=1
	v_lshlrev_b64 v[19:20], 3, v[17:18]
	v_mov_b32_e32 v24, s35
	v_add_co_u32_e32 v23, vcc, s34, v19
	v_addc_co_u32_e32 v24, vcc, v24, v20, vcc
	global_load_dwordx2 v[19:20], v[23:24], off glc
	s_waitcnt vmcnt(0)
	v_cmp_eq_u16_sdwa s[40:41], v20, v18 src0_sel:BYTE_0 src1_sel:DWORD
	s_and_saveexec_b64 s[38:39], s[40:41]
	s_cbranch_execz .LBB182_54
; %bb.58:                               ;   in Loop: Header=BB182_56 Depth=1
	s_mov_b64 s[40:41], 0
.LBB182_59:                             ;   Parent Loop BB182_56 Depth=1
                                        ; =>  This Inner Loop Header: Depth=2
	global_load_dwordx2 v[19:20], v[23:24], off glc
	s_waitcnt vmcnt(0)
	v_cmp_ne_u16_sdwa s[44:45], v20, v18 src0_sel:BYTE_0 src1_sel:DWORD
	s_or_b64 s[40:41], s[44:45], s[40:41]
	s_andn2_b64 exec, exec, s[40:41]
	s_cbranch_execnz .LBB182_59
	s_branch .LBB182_53
.LBB182_60:
                                        ; implicit-def: $vgpr2
                                        ; implicit-def: $vgpr17
	s_cbranch_execnz .LBB182_66
	s_branch .LBB182_75
.LBB182_61:
	s_and_saveexec_b64 s[38:39], s[18:19]
	s_cbranch_execz .LBB182_63
; %bb.62:
	s_add_i32 s40, s43, 64
	s_mov_b32 s41, 0
	s_lshl_b64 s[40:41], s[40:41], 3
	s_add_u32 s40, s34, s40
	v_add_u32_e32 v17, v2, v1
	v_mov_b32_e32 v18, 2
	s_addc_u32 s41, s35, s41
	v_mov_b32_e32 v19, 0
	global_store_dwordx2 v19, v[17:18], s[40:41]
	ds_write_b64 v19, v[1:2] offset:13312
.LBB182_63:
	s_or_b64 exec, exec, s[38:39]
	s_and_b64 exec, exec, s[0:1]
; %bb.64:
	v_mov_b32_e32 v1, 0
	ds_write_b32 v1, v2 offset:12
.LBB182_65:
	s_or_b64 exec, exec, s[20:21]
	v_mov_b32_e32 v1, 0
	s_waitcnt vmcnt(0) lgkmcnt(0)
	s_barrier
	ds_read_b32 v17, v1 offset:12
	s_waitcnt lgkmcnt(0)
	s_barrier
	ds_read_b64 v[1:2], v1 offset:13312
	v_cndmask_b32_e64 v18, v56, v55, s[18:19]
	v_cndmask_b32_e64 v18, v18, 0, s[0:1]
	v_add_u32_e32 v17, v17, v18
	s_branch .LBB182_75
.LBB182_66:
	s_waitcnt lgkmcnt(0)
	v_mov_b32_dpp v1, v54 row_shr:1 row_mask:0xf bank_mask:0xf
	v_cndmask_b32_e64 v1, v1, 0, s[16:17]
	v_add_u32_e32 v1, v1, v54
	s_nop 1
	v_mov_b32_dpp v2, v1 row_shr:2 row_mask:0xf bank_mask:0xf
	v_cndmask_b32_e64 v2, 0, v2, s[14:15]
	v_add_u32_e32 v1, v1, v2
	s_nop 1
	;; [unrolled: 4-line block ×4, first 2 shown]
	v_mov_b32_dpp v2, v1 row_bcast:15 row_mask:0xf bank_mask:0xf
	v_cndmask_b32_e64 v2, v2, 0, s[8:9]
	v_add_u32_e32 v1, v1, v2
	s_nop 1
	v_mov_b32_dpp v2, v1 row_bcast:31 row_mask:0xf bank_mask:0xf
	v_cndmask_b32_e64 v2, 0, v2, s[4:5]
	v_add_u32_e32 v1, v1, v2
	s_and_saveexec_b64 s[4:5], s[6:7]
; %bb.67:
	v_lshlrev_b32_e32 v2, 2, v53
	ds_write_b32 v2, v1
; %bb.68:
	s_or_b64 exec, exec, s[4:5]
	v_cmp_gt_u32_e32 vcc, 4, v0
	s_waitcnt lgkmcnt(0)
	s_barrier
	s_and_saveexec_b64 s[4:5], vcc
	s_cbranch_execz .LBB182_70
; %bb.69:
	ds_read_b32 v2, v25
	v_and_b32_e32 v17, 3, v52
	v_cmp_ne_u32_e32 vcc, 0, v17
	s_waitcnt lgkmcnt(0)
	v_mov_b32_dpp v18, v2 row_shr:1 row_mask:0xf bank_mask:0xf
	v_cndmask_b32_e32 v18, 0, v18, vcc
	v_add_u32_e32 v2, v18, v2
	v_cmp_lt_u32_e32 vcc, 1, v17
	s_nop 0
	v_mov_b32_dpp v18, v2 row_shr:2 row_mask:0xf bank_mask:0xf
	v_cndmask_b32_e32 v17, 0, v18, vcc
	v_add_u32_e32 v2, v2, v17
	ds_write_b32 v25, v2
.LBB182_70:
	s_or_b64 exec, exec, s[4:5]
	v_cmp_lt_u32_e32 vcc, 63, v0
	v_mov_b32_e32 v2, 0
	v_mov_b32_e32 v17, 0
	s_waitcnt lgkmcnt(0)
	s_barrier
	s_and_saveexec_b64 s[4:5], vcc
; %bb.71:
	v_lshl_add_u32 v17, v53, 2, -4
	ds_read_b32 v17, v17
; %bb.72:
	s_or_b64 exec, exec, s[4:5]
	v_subrev_co_u32_e32 v18, vcc, 1, v52
	v_and_b32_e32 v19, 64, v52
	v_cmp_lt_i32_e64 s[4:5], v18, v19
	v_cndmask_b32_e64 v18, v18, v52, s[4:5]
	s_waitcnt lgkmcnt(0)
	v_add_u32_e32 v1, v17, v1
	v_lshlrev_b32_e32 v18, 2, v18
	ds_bpermute_b32 v18, v18, v1
	ds_read_b32 v1, v2 offset:12
	s_and_saveexec_b64 s[4:5], s[0:1]
	s_cbranch_execz .LBB182_74
; %bb.73:
	v_mov_b32_e32 v19, 0
	v_mov_b32_e32 v2, 2
	s_waitcnt lgkmcnt(0)
	global_store_dwordx2 v19, v[1:2], s[34:35] offset:512
.LBB182_74:
	s_or_b64 exec, exec, s[4:5]
	s_waitcnt lgkmcnt(1)
	v_cndmask_b32_e32 v2, v18, v17, vcc
	v_cndmask_b32_e64 v17, v2, 0, s[0:1]
	s_waitcnt vmcnt(0) lgkmcnt(0)
	s_barrier
	v_mov_b32_e32 v2, 0
.LBB182_75:
	v_add_u32_e32 v18, v17, v41
	v_add_u32_e32 v19, v18, v42
	;; [unrolled: 1-line block ×4, first 2 shown]
	s_waitcnt lgkmcnt(0)
	v_add_u32_e32 v27, v1, v27
	v_sub_u32_e32 v17, v17, v2
	v_and_b32_e32 v28, 1, v28
	v_add_u32_e32 v22, v21, v45
	v_sub_u32_e32 v45, v27, v17
	v_cmp_eq_u32_e32 vcc, 1, v28
	v_cndmask_b32_e32 v17, v45, v17, vcc
	v_lshlrev_b32_e32 v17, 2, v17
	ds_write_b32 v17, v15
	v_sub_u32_e32 v15, v18, v2
	v_sub_u32_e32 v17, v27, v15
	v_and_b32_e32 v18, 1, v29
	v_add_u32_e32 v17, 1, v17
	v_cmp_eq_u32_e32 vcc, 1, v18
	v_cndmask_b32_e32 v15, v17, v15, vcc
	v_lshlrev_b32_e32 v15, 2, v15
	ds_write_b32 v15, v16
	v_sub_u32_e32 v15, v19, v2
	v_sub_u32_e32 v16, v27, v15
	v_and_b32_e32 v17, 1, v30
	v_add_u32_e32 v16, 2, v16
	;; [unrolled: 8-line block ×5, first 2 shown]
	v_cmp_eq_u32_e32 vcc, 1, v14
	v_cndmask_b32_e32 v11, v13, v11, vcc
	v_add_u32_e32 v23, v22, v46
	v_lshlrev_b32_e32 v11, 2, v11
	ds_write_b32 v11, v12
	v_sub_u32_e32 v11, v23, v2
	v_sub_u32_e32 v12, v27, v11
	v_and_b32_e32 v13, 1, v34
	v_add_u32_e32 v12, 6, v12
	v_cmp_eq_u32_e32 vcc, 1, v13
	v_cndmask_b32_e32 v11, v12, v11, vcc
	v_add_u32_e32 v24, v23, v47
	v_lshlrev_b32_e32 v11, 2, v11
	ds_write_b32 v11, v9
	v_sub_u32_e32 v9, v24, v2
	v_sub_u32_e32 v11, v27, v9
	v_and_b32_e32 v12, 1, v35
	v_add_u32_e32 v11, 7, v11
	;; [unrolled: 9-line block ×6, first 2 shown]
	v_cmp_eq_u32_e32 vcc, 1, v8
	v_cndmask_b32_e32 v5, v7, v5, vcc
	v_lshlrev_b32_e32 v5, 2, v5
	ds_write_b32 v5, v6
	v_sub_u32_e32 v5, v40, v2
	v_add_u32_e32 v5, v44, v5
	v_sub_u32_e32 v6, v27, v5
	v_add_u32_e32 v6, 12, v6
	v_cndmask_b32_e64 v5, v6, v5, s[36:37]
	v_lshlrev_b32_e32 v5, 2, v5
	ds_write_b32 v5, v26
	s_waitcnt lgkmcnt(0)
	s_barrier
	ds_read2st64_b32 v[15:16], v25 offset1:4
	ds_read2st64_b32 v[13:14], v25 offset0:8 offset1:12
	ds_read2st64_b32 v[11:12], v25 offset0:16 offset1:20
	;; [unrolled: 1-line block ×5, first 2 shown]
	ds_read_b32 v18, v25 offset:12288
	s_and_b64 vcc, exec, s[2:3]
	v_add_co_u32_e64 v17, s[2:3], v3, v2
	v_or_b32_e32 v32, 0x100, v0
	v_or_b32_e32 v30, 0x200, v0
	v_or_b32_e32 v29, 0x300, v0
	v_or_b32_e32 v28, 0x400, v0
	v_or_b32_e32 v27, 0x500, v0
	v_or_b32_e32 v26, 0x600, v0
	v_or_b32_e32 v24, 0x700, v0
	v_or_b32_e32 v23, 0x800, v0
	v_or_b32_e32 v22, 0x900, v0
	v_or_b32_e32 v21, 0xa00, v0
	v_or_b32_e32 v20, 0xb00, v0
	v_or_b32_e32 v19, 0xc00, v0
	v_addc_co_u32_e64 v4, s[2:3], 0, v4, s[2:3]
	s_cbranch_vccnz .LBB182_132
; %bb.76:
	v_mov_b32_e32 v2, s29
	v_subrev_co_u32_e32 v3, vcc, s28, v17
	s_sub_u32 s2, s30, s42
	v_subb_co_u32_e32 v2, vcc, v4, v2, vcc
	s_subb_u32 s3, s31, 0
	v_mov_b32_e32 v25, s3
	v_add_co_u32_e32 v31, vcc, s2, v1
	v_addc_co_u32_e32 v33, vcc, 0, v25, vcc
	v_add_co_u32_e32 v25, vcc, v31, v3
	v_addc_co_u32_e32 v31, vcc, v33, v2, vcc
	v_cmp_ge_u32_e32 vcc, v0, v1
                                        ; implicit-def: $vgpr2_vgpr3
	s_and_saveexec_b64 s[2:3], vcc
	s_xor_b64 s[2:3], exec, s[2:3]
; %bb.77:
	v_not_b32_e32 v2, v0
	v_ashrrev_i32_e32 v3, 31, v2
	v_add_co_u32_e32 v2, vcc, v25, v2
	v_addc_co_u32_e32 v3, vcc, v31, v3, vcc
; %bb.78:
	s_andn2_saveexec_b64 s[2:3], s[2:3]
; %bb.79:
	v_add_co_u32_e32 v2, vcc, v17, v0
	v_addc_co_u32_e32 v3, vcc, 0, v4, vcc
; %bb.80:
	s_or_b64 exec, exec, s[2:3]
	v_lshlrev_b64 v[2:3], 2, v[2:3]
	v_mov_b32_e32 v33, s23
	v_add_co_u32_e32 v2, vcc, s22, v2
	v_addc_co_u32_e32 v3, vcc, v33, v3, vcc
	v_cmp_ge_u32_e32 vcc, v32, v1
	s_waitcnt lgkmcnt(6)
	global_store_dword v[2:3], v15, off
                                        ; implicit-def: $vgpr2_vgpr3
	s_and_saveexec_b64 s[2:3], vcc
	s_xor_b64 s[2:3], exec, s[2:3]
; %bb.81:
	v_xor_b32_e32 v2, 0xfffffeff, v0
	v_ashrrev_i32_e32 v3, 31, v2
	v_add_co_u32_e32 v2, vcc, v25, v2
	v_addc_co_u32_e32 v3, vcc, v31, v3, vcc
; %bb.82:
	s_andn2_saveexec_b64 s[2:3], s[2:3]
; %bb.83:
	v_add_co_u32_e32 v2, vcc, v17, v32
	v_addc_co_u32_e32 v3, vcc, 0, v4, vcc
; %bb.84:
	s_or_b64 exec, exec, s[2:3]
	v_lshlrev_b64 v[2:3], 2, v[2:3]
	v_mov_b32_e32 v33, s23
	v_add_co_u32_e32 v2, vcc, s22, v2
	v_addc_co_u32_e32 v3, vcc, v33, v3, vcc
	v_cmp_ge_u32_e32 vcc, v30, v1
	global_store_dword v[2:3], v16, off
                                        ; implicit-def: $vgpr2_vgpr3
	s_and_saveexec_b64 s[2:3], vcc
	s_xor_b64 s[2:3], exec, s[2:3]
; %bb.85:
	v_xor_b32_e32 v2, 0xfffffdff, v0
	v_ashrrev_i32_e32 v3, 31, v2
	v_add_co_u32_e32 v2, vcc, v25, v2
	v_addc_co_u32_e32 v3, vcc, v31, v3, vcc
; %bb.86:
	s_andn2_saveexec_b64 s[2:3], s[2:3]
; %bb.87:
	v_add_co_u32_e32 v2, vcc, v17, v30
	v_addc_co_u32_e32 v3, vcc, 0, v4, vcc
; %bb.88:
	s_or_b64 exec, exec, s[2:3]
	v_lshlrev_b64 v[2:3], 2, v[2:3]
	v_mov_b32_e32 v33, s23
	v_add_co_u32_e32 v2, vcc, s22, v2
	v_addc_co_u32_e32 v3, vcc, v33, v3, vcc
	v_cmp_ge_u32_e32 vcc, v29, v1
	s_waitcnt lgkmcnt(5)
	global_store_dword v[2:3], v13, off
                                        ; implicit-def: $vgpr2_vgpr3
	s_and_saveexec_b64 s[2:3], vcc
	s_xor_b64 s[2:3], exec, s[2:3]
; %bb.89:
	v_xor_b32_e32 v2, 0xfffffcff, v0
	v_ashrrev_i32_e32 v3, 31, v2
	v_add_co_u32_e32 v2, vcc, v25, v2
	v_addc_co_u32_e32 v3, vcc, v31, v3, vcc
; %bb.90:
	s_andn2_saveexec_b64 s[2:3], s[2:3]
; %bb.91:
	v_add_co_u32_e32 v2, vcc, v17, v29
	v_addc_co_u32_e32 v3, vcc, 0, v4, vcc
; %bb.92:
	s_or_b64 exec, exec, s[2:3]
	v_lshlrev_b64 v[2:3], 2, v[2:3]
	v_mov_b32_e32 v33, s23
	v_add_co_u32_e32 v2, vcc, s22, v2
	v_addc_co_u32_e32 v3, vcc, v33, v3, vcc
	v_cmp_ge_u32_e32 vcc, v28, v1
	global_store_dword v[2:3], v14, off
                                        ; implicit-def: $vgpr2_vgpr3
	s_and_saveexec_b64 s[2:3], vcc
	s_xor_b64 s[2:3], exec, s[2:3]
; %bb.93:
	v_xor_b32_e32 v2, 0xfffffbff, v0
	;; [unrolled: 43-line block ×6, first 2 shown]
	v_ashrrev_i32_e32 v3, 31, v2
	v_add_co_u32_e32 v2, vcc, v25, v2
	v_addc_co_u32_e32 v3, vcc, v31, v3, vcc
; %bb.126:
	s_andn2_saveexec_b64 s[2:3], s[2:3]
; %bb.127:
	v_add_co_u32_e32 v2, vcc, v17, v19
	v_addc_co_u32_e32 v3, vcc, 0, v4, vcc
; %bb.128:
	s_or_b64 exec, exec, s[2:3]
	s_mov_b64 s[2:3], -1
.LBB182_129:
	s_and_saveexec_b64 s[4:5], s[2:3]
	s_cbranch_execz .LBB182_212
.LBB182_130:
	v_lshlrev_b64 v[2:3], 2, v[2:3]
	v_mov_b32_e32 v0, s23
	v_add_co_u32_e32 v2, vcc, s22, v2
	v_addc_co_u32_e32 v3, vcc, v0, v3, vcc
	s_waitcnt lgkmcnt(0)
	global_store_dword v[2:3], v18, off
	s_or_b64 exec, exec, s[4:5]
	s_and_b64 s[0:1], s[0:1], s[26:27]
	s_and_saveexec_b64 s[2:3], s[0:1]
	s_cbranch_execnz .LBB182_213
.LBB182_131:
	s_endpgm
.LBB182_132:
	s_mov_b64 s[2:3], 0
                                        ; implicit-def: $vgpr2_vgpr3
	s_cbranch_execz .LBB182_129
; %bb.133:
	s_add_u32 s4, s28, s42
	s_addc_u32 s5, s29, 0
	s_sub_u32 s4, s30, s4
	s_subb_u32 s5, s31, s5
	v_mov_b32_e32 v2, s5
	v_add_co_u32_e32 v3, vcc, s4, v1
	v_addc_co_u32_e32 v2, vcc, 0, v2, vcc
	v_add_co_u32_e32 v25, vcc, v3, v17
	v_addc_co_u32_e32 v31, vcc, v2, v4, vcc
	v_cmp_gt_u32_e32 vcc, s33, v0
	s_and_saveexec_b64 s[4:5], vcc
	s_cbranch_execz .LBB182_169
; %bb.134:
	v_cmp_ge_u32_e32 vcc, v0, v1
                                        ; implicit-def: $vgpr2_vgpr3
	s_and_saveexec_b64 s[6:7], vcc
	s_xor_b64 s[6:7], exec, s[6:7]
; %bb.135:
	v_not_b32_e32 v2, v0
	v_ashrrev_i32_e32 v3, 31, v2
	v_add_co_u32_e32 v2, vcc, v25, v2
	v_addc_co_u32_e32 v3, vcc, v31, v3, vcc
; %bb.136:
	s_andn2_saveexec_b64 s[6:7], s[6:7]
; %bb.137:
	v_add_co_u32_e32 v2, vcc, v17, v0
	v_addc_co_u32_e32 v3, vcc, 0, v4, vcc
; %bb.138:
	s_or_b64 exec, exec, s[6:7]
	v_lshlrev_b64 v[2:3], 2, v[2:3]
	v_mov_b32_e32 v33, s23
	v_add_co_u32_e32 v2, vcc, s22, v2
	v_addc_co_u32_e32 v3, vcc, v33, v3, vcc
	s_waitcnt lgkmcnt(6)
	global_store_dword v[2:3], v15, off
	s_or_b64 exec, exec, s[4:5]
	v_cmp_gt_u32_e32 vcc, s33, v32
	s_and_saveexec_b64 s[4:5], vcc
	s_cbranch_execnz .LBB182_170
.LBB182_139:
	s_or_b64 exec, exec, s[4:5]
	v_cmp_gt_u32_e32 vcc, s33, v30
	s_and_saveexec_b64 s[4:5], vcc
	s_cbranch_execz .LBB182_175
.LBB182_140:
	v_cmp_ge_u32_e32 vcc, v30, v1
                                        ; implicit-def: $vgpr2_vgpr3
	s_and_saveexec_b64 s[6:7], vcc
	s_xor_b64 s[6:7], exec, s[6:7]
; %bb.141:
	v_xor_b32_e32 v2, 0xfffffdff, v0
	v_ashrrev_i32_e32 v3, 31, v2
	v_add_co_u32_e32 v2, vcc, v25, v2
	v_addc_co_u32_e32 v3, vcc, v31, v3, vcc
                                        ; implicit-def: $vgpr30
; %bb.142:
	s_andn2_saveexec_b64 s[6:7], s[6:7]
; %bb.143:
	v_add_co_u32_e32 v2, vcc, v17, v30
	v_addc_co_u32_e32 v3, vcc, 0, v4, vcc
; %bb.144:
	s_or_b64 exec, exec, s[6:7]
	v_lshlrev_b64 v[2:3], 2, v[2:3]
	s_waitcnt lgkmcnt(6)
	v_mov_b32_e32 v15, s23
	v_add_co_u32_e32 v2, vcc, s22, v2
	v_addc_co_u32_e32 v3, vcc, v15, v3, vcc
	s_waitcnt lgkmcnt(5)
	global_store_dword v[2:3], v13, off
	s_or_b64 exec, exec, s[4:5]
	v_cmp_gt_u32_e32 vcc, s33, v29
	s_and_saveexec_b64 s[4:5], vcc
	s_cbranch_execnz .LBB182_176
.LBB182_145:
	s_or_b64 exec, exec, s[4:5]
	v_cmp_gt_u32_e32 vcc, s33, v28
	s_and_saveexec_b64 s[4:5], vcc
	s_cbranch_execz .LBB182_181
.LBB182_146:
	v_cmp_ge_u32_e32 vcc, v28, v1
                                        ; implicit-def: $vgpr2_vgpr3
	s_and_saveexec_b64 s[6:7], vcc
	s_xor_b64 s[6:7], exec, s[6:7]
; %bb.147:
	v_xor_b32_e32 v2, 0xfffffbff, v0
	v_ashrrev_i32_e32 v3, 31, v2
	v_add_co_u32_e32 v2, vcc, v25, v2
	v_addc_co_u32_e32 v3, vcc, v31, v3, vcc
                                        ; implicit-def: $vgpr28
; %bb.148:
	s_andn2_saveexec_b64 s[6:7], s[6:7]
; %bb.149:
	v_add_co_u32_e32 v2, vcc, v17, v28
	v_addc_co_u32_e32 v3, vcc, 0, v4, vcc
; %bb.150:
	s_or_b64 exec, exec, s[6:7]
	v_lshlrev_b64 v[2:3], 2, v[2:3]
	s_waitcnt lgkmcnt(5)
	v_mov_b32_e32 v13, s23
	v_add_co_u32_e32 v2, vcc, s22, v2
	v_addc_co_u32_e32 v3, vcc, v13, v3, vcc
	s_waitcnt lgkmcnt(4)
	global_store_dword v[2:3], v11, off
	s_or_b64 exec, exec, s[4:5]
	v_cmp_gt_u32_e32 vcc, s33, v27
	s_and_saveexec_b64 s[4:5], vcc
	s_cbranch_execnz .LBB182_182
.LBB182_151:
	s_or_b64 exec, exec, s[4:5]
	v_cmp_gt_u32_e32 vcc, s33, v26
	s_and_saveexec_b64 s[4:5], vcc
	s_cbranch_execz .LBB182_187
.LBB182_152:
	v_cmp_ge_u32_e32 vcc, v26, v1
                                        ; implicit-def: $vgpr2_vgpr3
	s_and_saveexec_b64 s[6:7], vcc
	s_xor_b64 s[6:7], exec, s[6:7]
; %bb.153:
	v_xor_b32_e32 v2, 0xfffff9ff, v0
	v_ashrrev_i32_e32 v3, 31, v2
	v_add_co_u32_e32 v2, vcc, v25, v2
	v_addc_co_u32_e32 v3, vcc, v31, v3, vcc
                                        ; implicit-def: $vgpr26
; %bb.154:
	s_andn2_saveexec_b64 s[6:7], s[6:7]
; %bb.155:
	v_add_co_u32_e32 v2, vcc, v17, v26
	v_addc_co_u32_e32 v3, vcc, 0, v4, vcc
; %bb.156:
	s_or_b64 exec, exec, s[6:7]
	v_lshlrev_b64 v[2:3], 2, v[2:3]
	s_waitcnt lgkmcnt(4)
	v_mov_b32_e32 v11, s23
	v_add_co_u32_e32 v2, vcc, s22, v2
	v_addc_co_u32_e32 v3, vcc, v11, v3, vcc
	s_waitcnt lgkmcnt(3)
	global_store_dword v[2:3], v9, off
	s_or_b64 exec, exec, s[4:5]
	v_cmp_gt_u32_e32 vcc, s33, v24
	s_and_saveexec_b64 s[4:5], vcc
	s_cbranch_execnz .LBB182_188
.LBB182_157:
	s_or_b64 exec, exec, s[4:5]
	v_cmp_gt_u32_e32 vcc, s33, v23
	s_and_saveexec_b64 s[4:5], vcc
	s_cbranch_execz .LBB182_193
.LBB182_158:
	v_cmp_ge_u32_e32 vcc, v23, v1
                                        ; implicit-def: $vgpr2_vgpr3
	s_and_saveexec_b64 s[6:7], vcc
	s_xor_b64 s[6:7], exec, s[6:7]
; %bb.159:
	v_xor_b32_e32 v2, 0xfffff7ff, v0
	v_ashrrev_i32_e32 v3, 31, v2
	v_add_co_u32_e32 v2, vcc, v25, v2
	v_addc_co_u32_e32 v3, vcc, v31, v3, vcc
                                        ; implicit-def: $vgpr23
; %bb.160:
	s_andn2_saveexec_b64 s[6:7], s[6:7]
; %bb.161:
	v_add_co_u32_e32 v2, vcc, v17, v23
	v_addc_co_u32_e32 v3, vcc, 0, v4, vcc
; %bb.162:
	s_or_b64 exec, exec, s[6:7]
	v_lshlrev_b64 v[2:3], 2, v[2:3]
	s_waitcnt lgkmcnt(3)
	v_mov_b32_e32 v9, s23
	v_add_co_u32_e32 v2, vcc, s22, v2
	v_addc_co_u32_e32 v3, vcc, v9, v3, vcc
	s_waitcnt lgkmcnt(2)
	global_store_dword v[2:3], v7, off
	s_or_b64 exec, exec, s[4:5]
	v_cmp_gt_u32_e32 vcc, s33, v22
	s_and_saveexec_b64 s[4:5], vcc
	s_cbranch_execnz .LBB182_194
.LBB182_163:
	s_or_b64 exec, exec, s[4:5]
	v_cmp_gt_u32_e32 vcc, s33, v21
	s_and_saveexec_b64 s[4:5], vcc
	s_cbranch_execz .LBB182_199
.LBB182_164:
	v_cmp_ge_u32_e32 vcc, v21, v1
                                        ; implicit-def: $vgpr2_vgpr3
	s_and_saveexec_b64 s[6:7], vcc
	s_xor_b64 s[6:7], exec, s[6:7]
; %bb.165:
	v_xor_b32_e32 v2, 0xfffff5ff, v0
	v_ashrrev_i32_e32 v3, 31, v2
	v_add_co_u32_e32 v2, vcc, v25, v2
	v_addc_co_u32_e32 v3, vcc, v31, v3, vcc
                                        ; implicit-def: $vgpr21
; %bb.166:
	s_andn2_saveexec_b64 s[6:7], s[6:7]
; %bb.167:
	v_add_co_u32_e32 v2, vcc, v17, v21
	v_addc_co_u32_e32 v3, vcc, 0, v4, vcc
; %bb.168:
	s_or_b64 exec, exec, s[6:7]
	v_lshlrev_b64 v[2:3], 2, v[2:3]
	s_waitcnt lgkmcnt(2)
	v_mov_b32_e32 v7, s23
	v_add_co_u32_e32 v2, vcc, s22, v2
	v_addc_co_u32_e32 v3, vcc, v7, v3, vcc
	s_waitcnt lgkmcnt(1)
	global_store_dword v[2:3], v5, off
	s_or_b64 exec, exec, s[4:5]
	v_cmp_gt_u32_e32 vcc, s33, v20
	s_and_saveexec_b64 s[4:5], vcc
	s_cbranch_execz .LBB182_205
	s_branch .LBB182_200
.LBB182_169:
	s_or_b64 exec, exec, s[4:5]
	v_cmp_gt_u32_e32 vcc, s33, v32
	s_and_saveexec_b64 s[4:5], vcc
	s_cbranch_execz .LBB182_139
.LBB182_170:
	v_cmp_ge_u32_e32 vcc, v32, v1
                                        ; implicit-def: $vgpr2_vgpr3
	s_and_saveexec_b64 s[6:7], vcc
	s_xor_b64 s[6:7], exec, s[6:7]
; %bb.171:
	v_xor_b32_e32 v2, 0xfffffeff, v0
	v_ashrrev_i32_e32 v3, 31, v2
	v_add_co_u32_e32 v2, vcc, v25, v2
	v_addc_co_u32_e32 v3, vcc, v31, v3, vcc
                                        ; implicit-def: $vgpr32
; %bb.172:
	s_andn2_saveexec_b64 s[6:7], s[6:7]
; %bb.173:
	v_add_co_u32_e32 v2, vcc, v17, v32
	v_addc_co_u32_e32 v3, vcc, 0, v4, vcc
; %bb.174:
	s_or_b64 exec, exec, s[6:7]
	v_lshlrev_b64 v[2:3], 2, v[2:3]
	s_waitcnt lgkmcnt(6)
	v_mov_b32_e32 v15, s23
	v_add_co_u32_e32 v2, vcc, s22, v2
	v_addc_co_u32_e32 v3, vcc, v15, v3, vcc
	global_store_dword v[2:3], v16, off
	s_or_b64 exec, exec, s[4:5]
	v_cmp_gt_u32_e32 vcc, s33, v30
	s_and_saveexec_b64 s[4:5], vcc
	s_cbranch_execnz .LBB182_140
.LBB182_175:
	s_or_b64 exec, exec, s[4:5]
	v_cmp_gt_u32_e32 vcc, s33, v29
	s_and_saveexec_b64 s[4:5], vcc
	s_cbranch_execz .LBB182_145
.LBB182_176:
	v_cmp_ge_u32_e32 vcc, v29, v1
                                        ; implicit-def: $vgpr2_vgpr3
	s_and_saveexec_b64 s[6:7], vcc
	s_xor_b64 s[6:7], exec, s[6:7]
; %bb.177:
	v_xor_b32_e32 v2, 0xfffffcff, v0
	v_ashrrev_i32_e32 v3, 31, v2
	v_add_co_u32_e32 v2, vcc, v25, v2
	v_addc_co_u32_e32 v3, vcc, v31, v3, vcc
                                        ; implicit-def: $vgpr29
; %bb.178:
	s_andn2_saveexec_b64 s[6:7], s[6:7]
; %bb.179:
	v_add_co_u32_e32 v2, vcc, v17, v29
	v_addc_co_u32_e32 v3, vcc, 0, v4, vcc
; %bb.180:
	s_or_b64 exec, exec, s[6:7]
	v_lshlrev_b64 v[2:3], 2, v[2:3]
	s_waitcnt lgkmcnt(5)
	v_mov_b32_e32 v13, s23
	v_add_co_u32_e32 v2, vcc, s22, v2
	v_addc_co_u32_e32 v3, vcc, v13, v3, vcc
	global_store_dword v[2:3], v14, off
	s_or_b64 exec, exec, s[4:5]
	v_cmp_gt_u32_e32 vcc, s33, v28
	s_and_saveexec_b64 s[4:5], vcc
	s_cbranch_execnz .LBB182_146
.LBB182_181:
	s_or_b64 exec, exec, s[4:5]
	v_cmp_gt_u32_e32 vcc, s33, v27
	s_and_saveexec_b64 s[4:5], vcc
	s_cbranch_execz .LBB182_151
.LBB182_182:
	v_cmp_ge_u32_e32 vcc, v27, v1
                                        ; implicit-def: $vgpr2_vgpr3
	s_and_saveexec_b64 s[6:7], vcc
	s_xor_b64 s[6:7], exec, s[6:7]
; %bb.183:
	v_xor_b32_e32 v2, 0xfffffaff, v0
	v_ashrrev_i32_e32 v3, 31, v2
	v_add_co_u32_e32 v2, vcc, v25, v2
	v_addc_co_u32_e32 v3, vcc, v31, v3, vcc
                                        ; implicit-def: $vgpr27
; %bb.184:
	s_andn2_saveexec_b64 s[6:7], s[6:7]
; %bb.185:
	v_add_co_u32_e32 v2, vcc, v17, v27
	v_addc_co_u32_e32 v3, vcc, 0, v4, vcc
; %bb.186:
	s_or_b64 exec, exec, s[6:7]
	v_lshlrev_b64 v[2:3], 2, v[2:3]
	s_waitcnt lgkmcnt(4)
	v_mov_b32_e32 v11, s23
	v_add_co_u32_e32 v2, vcc, s22, v2
	v_addc_co_u32_e32 v3, vcc, v11, v3, vcc
	global_store_dword v[2:3], v12, off
	s_or_b64 exec, exec, s[4:5]
	v_cmp_gt_u32_e32 vcc, s33, v26
	s_and_saveexec_b64 s[4:5], vcc
	s_cbranch_execnz .LBB182_152
.LBB182_187:
	s_or_b64 exec, exec, s[4:5]
	v_cmp_gt_u32_e32 vcc, s33, v24
	s_and_saveexec_b64 s[4:5], vcc
	s_cbranch_execz .LBB182_157
.LBB182_188:
	v_cmp_ge_u32_e32 vcc, v24, v1
                                        ; implicit-def: $vgpr2_vgpr3
	s_and_saveexec_b64 s[6:7], vcc
	s_xor_b64 s[6:7], exec, s[6:7]
; %bb.189:
	v_xor_b32_e32 v2, 0xfffff8ff, v0
	v_ashrrev_i32_e32 v3, 31, v2
	v_add_co_u32_e32 v2, vcc, v25, v2
	v_addc_co_u32_e32 v3, vcc, v31, v3, vcc
                                        ; implicit-def: $vgpr24
; %bb.190:
	s_andn2_saveexec_b64 s[6:7], s[6:7]
; %bb.191:
	v_add_co_u32_e32 v2, vcc, v17, v24
	v_addc_co_u32_e32 v3, vcc, 0, v4, vcc
; %bb.192:
	s_or_b64 exec, exec, s[6:7]
	v_lshlrev_b64 v[2:3], 2, v[2:3]
	s_waitcnt lgkmcnt(3)
	v_mov_b32_e32 v9, s23
	v_add_co_u32_e32 v2, vcc, s22, v2
	v_addc_co_u32_e32 v3, vcc, v9, v3, vcc
	global_store_dword v[2:3], v10, off
	s_or_b64 exec, exec, s[4:5]
	v_cmp_gt_u32_e32 vcc, s33, v23
	s_and_saveexec_b64 s[4:5], vcc
	s_cbranch_execnz .LBB182_158
.LBB182_193:
	s_or_b64 exec, exec, s[4:5]
	v_cmp_gt_u32_e32 vcc, s33, v22
	s_and_saveexec_b64 s[4:5], vcc
	s_cbranch_execz .LBB182_163
.LBB182_194:
	v_cmp_ge_u32_e32 vcc, v22, v1
                                        ; implicit-def: $vgpr2_vgpr3
	s_and_saveexec_b64 s[6:7], vcc
	s_xor_b64 s[6:7], exec, s[6:7]
; %bb.195:
	v_xor_b32_e32 v2, 0xfffff6ff, v0
	v_ashrrev_i32_e32 v3, 31, v2
	v_add_co_u32_e32 v2, vcc, v25, v2
	v_addc_co_u32_e32 v3, vcc, v31, v3, vcc
                                        ; implicit-def: $vgpr22
; %bb.196:
	s_andn2_saveexec_b64 s[6:7], s[6:7]
; %bb.197:
	v_add_co_u32_e32 v2, vcc, v17, v22
	v_addc_co_u32_e32 v3, vcc, 0, v4, vcc
; %bb.198:
	s_or_b64 exec, exec, s[6:7]
	v_lshlrev_b64 v[2:3], 2, v[2:3]
	s_waitcnt lgkmcnt(2)
	v_mov_b32_e32 v7, s23
	v_add_co_u32_e32 v2, vcc, s22, v2
	v_addc_co_u32_e32 v3, vcc, v7, v3, vcc
	global_store_dword v[2:3], v8, off
	s_or_b64 exec, exec, s[4:5]
	v_cmp_gt_u32_e32 vcc, s33, v21
	s_and_saveexec_b64 s[4:5], vcc
	s_cbranch_execnz .LBB182_164
.LBB182_199:
	s_or_b64 exec, exec, s[4:5]
	v_cmp_gt_u32_e32 vcc, s33, v20
	s_and_saveexec_b64 s[4:5], vcc
	s_cbranch_execz .LBB182_205
.LBB182_200:
	v_cmp_ge_u32_e32 vcc, v20, v1
                                        ; implicit-def: $vgpr2_vgpr3
	s_and_saveexec_b64 s[6:7], vcc
	s_xor_b64 s[6:7], exec, s[6:7]
; %bb.201:
	v_xor_b32_e32 v2, 0xfffff4ff, v0
	v_ashrrev_i32_e32 v3, 31, v2
	v_add_co_u32_e32 v2, vcc, v25, v2
	v_addc_co_u32_e32 v3, vcc, v31, v3, vcc
                                        ; implicit-def: $vgpr20
; %bb.202:
	s_andn2_saveexec_b64 s[6:7], s[6:7]
; %bb.203:
	v_add_co_u32_e32 v2, vcc, v17, v20
	v_addc_co_u32_e32 v3, vcc, 0, v4, vcc
; %bb.204:
	s_or_b64 exec, exec, s[6:7]
	v_lshlrev_b64 v[2:3], 2, v[2:3]
	s_waitcnt lgkmcnt(1)
	v_mov_b32_e32 v5, s23
	v_add_co_u32_e32 v2, vcc, s22, v2
	v_addc_co_u32_e32 v3, vcc, v5, v3, vcc
	global_store_dword v[2:3], v6, off
.LBB182_205:
	s_or_b64 exec, exec, s[4:5]
	v_cmp_gt_u32_e32 vcc, s33, v19
                                        ; implicit-def: $vgpr2_vgpr3
	s_and_saveexec_b64 s[4:5], vcc
	s_cbranch_execz .LBB182_211
; %bb.206:
	v_cmp_ge_u32_e32 vcc, v19, v1
                                        ; implicit-def: $vgpr2_vgpr3
	s_and_saveexec_b64 s[6:7], vcc
	s_xor_b64 s[6:7], exec, s[6:7]
; %bb.207:
	v_xor_b32_e32 v0, 0xfffff3ff, v0
	v_ashrrev_i32_e32 v3, 31, v0
	v_add_co_u32_e32 v2, vcc, v25, v0
	v_addc_co_u32_e32 v3, vcc, v31, v3, vcc
                                        ; implicit-def: $vgpr19
; %bb.208:
	s_andn2_saveexec_b64 s[6:7], s[6:7]
; %bb.209:
	v_add_co_u32_e32 v2, vcc, v17, v19
	v_addc_co_u32_e32 v3, vcc, 0, v4, vcc
; %bb.210:
	s_or_b64 exec, exec, s[6:7]
	s_or_b64 s[2:3], s[2:3], exec
.LBB182_211:
	s_or_b64 exec, exec, s[4:5]
	s_and_saveexec_b64 s[4:5], s[2:3]
	s_cbranch_execnz .LBB182_130
.LBB182_212:
	s_or_b64 exec, exec, s[4:5]
	s_and_b64 s[0:1], s[0:1], s[26:27]
	s_and_saveexec_b64 s[2:3], s[0:1]
	s_cbranch_execz .LBB182_131
.LBB182_213:
	v_add_co_u32_e32 v0, vcc, v17, v1
	v_mov_b32_e32 v2, 0
	v_addc_co_u32_e32 v1, vcc, 0, v4, vcc
	global_store_dwordx2 v2, v[0:1], s[24:25]
	s_endpgm
	.section	.rodata,"a",@progbits
	.p2align	6, 0x0
	.amdhsa_kernel _ZN7rocprim17ROCPRIM_400000_NS6detail17trampoline_kernelINS0_13select_configILj256ELj13ELNS0_17block_load_methodE3ELS4_3ELS4_3ELNS0_20block_scan_algorithmE0ELj4294967295EEENS1_25partition_config_selectorILNS1_17partition_subalgoE3EjNS0_10empty_typeEbEEZZNS1_14partition_implILS8_3ELb0ES6_jNS0_17counting_iteratorIjlEEPS9_SE_NS0_5tupleIJPjSE_EEENSF_IJSE_SE_EEES9_SG_JZNS1_25segmented_radix_sort_implINS0_14default_configELb0EPKhPhPKlPlN2at6native12_GLOBAL__N_18offset_tEEE10hipError_tPvRmT1_PNSt15iterator_traitsISY_E10value_typeET2_T3_PNSZ_IS14_E10value_typeET4_jRbjT5_S1A_jjP12ihipStream_tbEUljE_EEESV_SW_SX_S14_S18_S1A_T6_T7_T9_mT8_S1C_bDpT10_ENKUlT_T0_E_clISt17integral_constantIbLb0EES1O_IbLb1EEEEDaS1K_S1L_EUlS1K_E_NS1_11comp_targetILNS1_3genE2ELNS1_11target_archE906ELNS1_3gpuE6ELNS1_3repE0EEENS1_30default_config_static_selectorELNS0_4arch9wavefront6targetE1EEEvSY_
		.amdhsa_group_segment_fixed_size 13320
		.amdhsa_private_segment_fixed_size 0
		.amdhsa_kernarg_size 152
		.amdhsa_user_sgpr_count 6
		.amdhsa_user_sgpr_private_segment_buffer 1
		.amdhsa_user_sgpr_dispatch_ptr 0
		.amdhsa_user_sgpr_queue_ptr 0
		.amdhsa_user_sgpr_kernarg_segment_ptr 1
		.amdhsa_user_sgpr_dispatch_id 0
		.amdhsa_user_sgpr_flat_scratch_init 0
		.amdhsa_user_sgpr_private_segment_size 0
		.amdhsa_uses_dynamic_stack 0
		.amdhsa_system_sgpr_private_segment_wavefront_offset 0
		.amdhsa_system_sgpr_workgroup_id_x 1
		.amdhsa_system_sgpr_workgroup_id_y 0
		.amdhsa_system_sgpr_workgroup_id_z 0
		.amdhsa_system_sgpr_workgroup_info 0
		.amdhsa_system_vgpr_workitem_id 0
		.amdhsa_next_free_vgpr 71
		.amdhsa_next_free_sgpr 98
		.amdhsa_reserve_vcc 1
		.amdhsa_reserve_flat_scratch 0
		.amdhsa_float_round_mode_32 0
		.amdhsa_float_round_mode_16_64 0
		.amdhsa_float_denorm_mode_32 3
		.amdhsa_float_denorm_mode_16_64 3
		.amdhsa_dx10_clamp 1
		.amdhsa_ieee_mode 1
		.amdhsa_fp16_overflow 0
		.amdhsa_exception_fp_ieee_invalid_op 0
		.amdhsa_exception_fp_denorm_src 0
		.amdhsa_exception_fp_ieee_div_zero 0
		.amdhsa_exception_fp_ieee_overflow 0
		.amdhsa_exception_fp_ieee_underflow 0
		.amdhsa_exception_fp_ieee_inexact 0
		.amdhsa_exception_int_div_zero 0
	.end_amdhsa_kernel
	.section	.text._ZN7rocprim17ROCPRIM_400000_NS6detail17trampoline_kernelINS0_13select_configILj256ELj13ELNS0_17block_load_methodE3ELS4_3ELS4_3ELNS0_20block_scan_algorithmE0ELj4294967295EEENS1_25partition_config_selectorILNS1_17partition_subalgoE3EjNS0_10empty_typeEbEEZZNS1_14partition_implILS8_3ELb0ES6_jNS0_17counting_iteratorIjlEEPS9_SE_NS0_5tupleIJPjSE_EEENSF_IJSE_SE_EEES9_SG_JZNS1_25segmented_radix_sort_implINS0_14default_configELb0EPKhPhPKlPlN2at6native12_GLOBAL__N_18offset_tEEE10hipError_tPvRmT1_PNSt15iterator_traitsISY_E10value_typeET2_T3_PNSZ_IS14_E10value_typeET4_jRbjT5_S1A_jjP12ihipStream_tbEUljE_EEESV_SW_SX_S14_S18_S1A_T6_T7_T9_mT8_S1C_bDpT10_ENKUlT_T0_E_clISt17integral_constantIbLb0EES1O_IbLb1EEEEDaS1K_S1L_EUlS1K_E_NS1_11comp_targetILNS1_3genE2ELNS1_11target_archE906ELNS1_3gpuE6ELNS1_3repE0EEENS1_30default_config_static_selectorELNS0_4arch9wavefront6targetE1EEEvSY_,"axG",@progbits,_ZN7rocprim17ROCPRIM_400000_NS6detail17trampoline_kernelINS0_13select_configILj256ELj13ELNS0_17block_load_methodE3ELS4_3ELS4_3ELNS0_20block_scan_algorithmE0ELj4294967295EEENS1_25partition_config_selectorILNS1_17partition_subalgoE3EjNS0_10empty_typeEbEEZZNS1_14partition_implILS8_3ELb0ES6_jNS0_17counting_iteratorIjlEEPS9_SE_NS0_5tupleIJPjSE_EEENSF_IJSE_SE_EEES9_SG_JZNS1_25segmented_radix_sort_implINS0_14default_configELb0EPKhPhPKlPlN2at6native12_GLOBAL__N_18offset_tEEE10hipError_tPvRmT1_PNSt15iterator_traitsISY_E10value_typeET2_T3_PNSZ_IS14_E10value_typeET4_jRbjT5_S1A_jjP12ihipStream_tbEUljE_EEESV_SW_SX_S14_S18_S1A_T6_T7_T9_mT8_S1C_bDpT10_ENKUlT_T0_E_clISt17integral_constantIbLb0EES1O_IbLb1EEEEDaS1K_S1L_EUlS1K_E_NS1_11comp_targetILNS1_3genE2ELNS1_11target_archE906ELNS1_3gpuE6ELNS1_3repE0EEENS1_30default_config_static_selectorELNS0_4arch9wavefront6targetE1EEEvSY_,comdat
.Lfunc_end182:
	.size	_ZN7rocprim17ROCPRIM_400000_NS6detail17trampoline_kernelINS0_13select_configILj256ELj13ELNS0_17block_load_methodE3ELS4_3ELS4_3ELNS0_20block_scan_algorithmE0ELj4294967295EEENS1_25partition_config_selectorILNS1_17partition_subalgoE3EjNS0_10empty_typeEbEEZZNS1_14partition_implILS8_3ELb0ES6_jNS0_17counting_iteratorIjlEEPS9_SE_NS0_5tupleIJPjSE_EEENSF_IJSE_SE_EEES9_SG_JZNS1_25segmented_radix_sort_implINS0_14default_configELb0EPKhPhPKlPlN2at6native12_GLOBAL__N_18offset_tEEE10hipError_tPvRmT1_PNSt15iterator_traitsISY_E10value_typeET2_T3_PNSZ_IS14_E10value_typeET4_jRbjT5_S1A_jjP12ihipStream_tbEUljE_EEESV_SW_SX_S14_S18_S1A_T6_T7_T9_mT8_S1C_bDpT10_ENKUlT_T0_E_clISt17integral_constantIbLb0EES1O_IbLb1EEEEDaS1K_S1L_EUlS1K_E_NS1_11comp_targetILNS1_3genE2ELNS1_11target_archE906ELNS1_3gpuE6ELNS1_3repE0EEENS1_30default_config_static_selectorELNS0_4arch9wavefront6targetE1EEEvSY_, .Lfunc_end182-_ZN7rocprim17ROCPRIM_400000_NS6detail17trampoline_kernelINS0_13select_configILj256ELj13ELNS0_17block_load_methodE3ELS4_3ELS4_3ELNS0_20block_scan_algorithmE0ELj4294967295EEENS1_25partition_config_selectorILNS1_17partition_subalgoE3EjNS0_10empty_typeEbEEZZNS1_14partition_implILS8_3ELb0ES6_jNS0_17counting_iteratorIjlEEPS9_SE_NS0_5tupleIJPjSE_EEENSF_IJSE_SE_EEES9_SG_JZNS1_25segmented_radix_sort_implINS0_14default_configELb0EPKhPhPKlPlN2at6native12_GLOBAL__N_18offset_tEEE10hipError_tPvRmT1_PNSt15iterator_traitsISY_E10value_typeET2_T3_PNSZ_IS14_E10value_typeET4_jRbjT5_S1A_jjP12ihipStream_tbEUljE_EEESV_SW_SX_S14_S18_S1A_T6_T7_T9_mT8_S1C_bDpT10_ENKUlT_T0_E_clISt17integral_constantIbLb0EES1O_IbLb1EEEEDaS1K_S1L_EUlS1K_E_NS1_11comp_targetILNS1_3genE2ELNS1_11target_archE906ELNS1_3gpuE6ELNS1_3repE0EEENS1_30default_config_static_selectorELNS0_4arch9wavefront6targetE1EEEvSY_
                                        ; -- End function
	.set _ZN7rocprim17ROCPRIM_400000_NS6detail17trampoline_kernelINS0_13select_configILj256ELj13ELNS0_17block_load_methodE3ELS4_3ELS4_3ELNS0_20block_scan_algorithmE0ELj4294967295EEENS1_25partition_config_selectorILNS1_17partition_subalgoE3EjNS0_10empty_typeEbEEZZNS1_14partition_implILS8_3ELb0ES6_jNS0_17counting_iteratorIjlEEPS9_SE_NS0_5tupleIJPjSE_EEENSF_IJSE_SE_EEES9_SG_JZNS1_25segmented_radix_sort_implINS0_14default_configELb0EPKhPhPKlPlN2at6native12_GLOBAL__N_18offset_tEEE10hipError_tPvRmT1_PNSt15iterator_traitsISY_E10value_typeET2_T3_PNSZ_IS14_E10value_typeET4_jRbjT5_S1A_jjP12ihipStream_tbEUljE_EEESV_SW_SX_S14_S18_S1A_T6_T7_T9_mT8_S1C_bDpT10_ENKUlT_T0_E_clISt17integral_constantIbLb0EES1O_IbLb1EEEEDaS1K_S1L_EUlS1K_E_NS1_11comp_targetILNS1_3genE2ELNS1_11target_archE906ELNS1_3gpuE6ELNS1_3repE0EEENS1_30default_config_static_selectorELNS0_4arch9wavefront6targetE1EEEvSY_.num_vgpr, 71
	.set _ZN7rocprim17ROCPRIM_400000_NS6detail17trampoline_kernelINS0_13select_configILj256ELj13ELNS0_17block_load_methodE3ELS4_3ELS4_3ELNS0_20block_scan_algorithmE0ELj4294967295EEENS1_25partition_config_selectorILNS1_17partition_subalgoE3EjNS0_10empty_typeEbEEZZNS1_14partition_implILS8_3ELb0ES6_jNS0_17counting_iteratorIjlEEPS9_SE_NS0_5tupleIJPjSE_EEENSF_IJSE_SE_EEES9_SG_JZNS1_25segmented_radix_sort_implINS0_14default_configELb0EPKhPhPKlPlN2at6native12_GLOBAL__N_18offset_tEEE10hipError_tPvRmT1_PNSt15iterator_traitsISY_E10value_typeET2_T3_PNSZ_IS14_E10value_typeET4_jRbjT5_S1A_jjP12ihipStream_tbEUljE_EEESV_SW_SX_S14_S18_S1A_T6_T7_T9_mT8_S1C_bDpT10_ENKUlT_T0_E_clISt17integral_constantIbLb0EES1O_IbLb1EEEEDaS1K_S1L_EUlS1K_E_NS1_11comp_targetILNS1_3genE2ELNS1_11target_archE906ELNS1_3gpuE6ELNS1_3repE0EEENS1_30default_config_static_selectorELNS0_4arch9wavefront6targetE1EEEvSY_.num_agpr, 0
	.set _ZN7rocprim17ROCPRIM_400000_NS6detail17trampoline_kernelINS0_13select_configILj256ELj13ELNS0_17block_load_methodE3ELS4_3ELS4_3ELNS0_20block_scan_algorithmE0ELj4294967295EEENS1_25partition_config_selectorILNS1_17partition_subalgoE3EjNS0_10empty_typeEbEEZZNS1_14partition_implILS8_3ELb0ES6_jNS0_17counting_iteratorIjlEEPS9_SE_NS0_5tupleIJPjSE_EEENSF_IJSE_SE_EEES9_SG_JZNS1_25segmented_radix_sort_implINS0_14default_configELb0EPKhPhPKlPlN2at6native12_GLOBAL__N_18offset_tEEE10hipError_tPvRmT1_PNSt15iterator_traitsISY_E10value_typeET2_T3_PNSZ_IS14_E10value_typeET4_jRbjT5_S1A_jjP12ihipStream_tbEUljE_EEESV_SW_SX_S14_S18_S1A_T6_T7_T9_mT8_S1C_bDpT10_ENKUlT_T0_E_clISt17integral_constantIbLb0EES1O_IbLb1EEEEDaS1K_S1L_EUlS1K_E_NS1_11comp_targetILNS1_3genE2ELNS1_11target_archE906ELNS1_3gpuE6ELNS1_3repE0EEENS1_30default_config_static_selectorELNS0_4arch9wavefront6targetE1EEEvSY_.numbered_sgpr, 46
	.set _ZN7rocprim17ROCPRIM_400000_NS6detail17trampoline_kernelINS0_13select_configILj256ELj13ELNS0_17block_load_methodE3ELS4_3ELS4_3ELNS0_20block_scan_algorithmE0ELj4294967295EEENS1_25partition_config_selectorILNS1_17partition_subalgoE3EjNS0_10empty_typeEbEEZZNS1_14partition_implILS8_3ELb0ES6_jNS0_17counting_iteratorIjlEEPS9_SE_NS0_5tupleIJPjSE_EEENSF_IJSE_SE_EEES9_SG_JZNS1_25segmented_radix_sort_implINS0_14default_configELb0EPKhPhPKlPlN2at6native12_GLOBAL__N_18offset_tEEE10hipError_tPvRmT1_PNSt15iterator_traitsISY_E10value_typeET2_T3_PNSZ_IS14_E10value_typeET4_jRbjT5_S1A_jjP12ihipStream_tbEUljE_EEESV_SW_SX_S14_S18_S1A_T6_T7_T9_mT8_S1C_bDpT10_ENKUlT_T0_E_clISt17integral_constantIbLb0EES1O_IbLb1EEEEDaS1K_S1L_EUlS1K_E_NS1_11comp_targetILNS1_3genE2ELNS1_11target_archE906ELNS1_3gpuE6ELNS1_3repE0EEENS1_30default_config_static_selectorELNS0_4arch9wavefront6targetE1EEEvSY_.num_named_barrier, 0
	.set _ZN7rocprim17ROCPRIM_400000_NS6detail17trampoline_kernelINS0_13select_configILj256ELj13ELNS0_17block_load_methodE3ELS4_3ELS4_3ELNS0_20block_scan_algorithmE0ELj4294967295EEENS1_25partition_config_selectorILNS1_17partition_subalgoE3EjNS0_10empty_typeEbEEZZNS1_14partition_implILS8_3ELb0ES6_jNS0_17counting_iteratorIjlEEPS9_SE_NS0_5tupleIJPjSE_EEENSF_IJSE_SE_EEES9_SG_JZNS1_25segmented_radix_sort_implINS0_14default_configELb0EPKhPhPKlPlN2at6native12_GLOBAL__N_18offset_tEEE10hipError_tPvRmT1_PNSt15iterator_traitsISY_E10value_typeET2_T3_PNSZ_IS14_E10value_typeET4_jRbjT5_S1A_jjP12ihipStream_tbEUljE_EEESV_SW_SX_S14_S18_S1A_T6_T7_T9_mT8_S1C_bDpT10_ENKUlT_T0_E_clISt17integral_constantIbLb0EES1O_IbLb1EEEEDaS1K_S1L_EUlS1K_E_NS1_11comp_targetILNS1_3genE2ELNS1_11target_archE906ELNS1_3gpuE6ELNS1_3repE0EEENS1_30default_config_static_selectorELNS0_4arch9wavefront6targetE1EEEvSY_.private_seg_size, 0
	.set _ZN7rocprim17ROCPRIM_400000_NS6detail17trampoline_kernelINS0_13select_configILj256ELj13ELNS0_17block_load_methodE3ELS4_3ELS4_3ELNS0_20block_scan_algorithmE0ELj4294967295EEENS1_25partition_config_selectorILNS1_17partition_subalgoE3EjNS0_10empty_typeEbEEZZNS1_14partition_implILS8_3ELb0ES6_jNS0_17counting_iteratorIjlEEPS9_SE_NS0_5tupleIJPjSE_EEENSF_IJSE_SE_EEES9_SG_JZNS1_25segmented_radix_sort_implINS0_14default_configELb0EPKhPhPKlPlN2at6native12_GLOBAL__N_18offset_tEEE10hipError_tPvRmT1_PNSt15iterator_traitsISY_E10value_typeET2_T3_PNSZ_IS14_E10value_typeET4_jRbjT5_S1A_jjP12ihipStream_tbEUljE_EEESV_SW_SX_S14_S18_S1A_T6_T7_T9_mT8_S1C_bDpT10_ENKUlT_T0_E_clISt17integral_constantIbLb0EES1O_IbLb1EEEEDaS1K_S1L_EUlS1K_E_NS1_11comp_targetILNS1_3genE2ELNS1_11target_archE906ELNS1_3gpuE6ELNS1_3repE0EEENS1_30default_config_static_selectorELNS0_4arch9wavefront6targetE1EEEvSY_.uses_vcc, 1
	.set _ZN7rocprim17ROCPRIM_400000_NS6detail17trampoline_kernelINS0_13select_configILj256ELj13ELNS0_17block_load_methodE3ELS4_3ELS4_3ELNS0_20block_scan_algorithmE0ELj4294967295EEENS1_25partition_config_selectorILNS1_17partition_subalgoE3EjNS0_10empty_typeEbEEZZNS1_14partition_implILS8_3ELb0ES6_jNS0_17counting_iteratorIjlEEPS9_SE_NS0_5tupleIJPjSE_EEENSF_IJSE_SE_EEES9_SG_JZNS1_25segmented_radix_sort_implINS0_14default_configELb0EPKhPhPKlPlN2at6native12_GLOBAL__N_18offset_tEEE10hipError_tPvRmT1_PNSt15iterator_traitsISY_E10value_typeET2_T3_PNSZ_IS14_E10value_typeET4_jRbjT5_S1A_jjP12ihipStream_tbEUljE_EEESV_SW_SX_S14_S18_S1A_T6_T7_T9_mT8_S1C_bDpT10_ENKUlT_T0_E_clISt17integral_constantIbLb0EES1O_IbLb1EEEEDaS1K_S1L_EUlS1K_E_NS1_11comp_targetILNS1_3genE2ELNS1_11target_archE906ELNS1_3gpuE6ELNS1_3repE0EEENS1_30default_config_static_selectorELNS0_4arch9wavefront6targetE1EEEvSY_.uses_flat_scratch, 0
	.set _ZN7rocprim17ROCPRIM_400000_NS6detail17trampoline_kernelINS0_13select_configILj256ELj13ELNS0_17block_load_methodE3ELS4_3ELS4_3ELNS0_20block_scan_algorithmE0ELj4294967295EEENS1_25partition_config_selectorILNS1_17partition_subalgoE3EjNS0_10empty_typeEbEEZZNS1_14partition_implILS8_3ELb0ES6_jNS0_17counting_iteratorIjlEEPS9_SE_NS0_5tupleIJPjSE_EEENSF_IJSE_SE_EEES9_SG_JZNS1_25segmented_radix_sort_implINS0_14default_configELb0EPKhPhPKlPlN2at6native12_GLOBAL__N_18offset_tEEE10hipError_tPvRmT1_PNSt15iterator_traitsISY_E10value_typeET2_T3_PNSZ_IS14_E10value_typeET4_jRbjT5_S1A_jjP12ihipStream_tbEUljE_EEESV_SW_SX_S14_S18_S1A_T6_T7_T9_mT8_S1C_bDpT10_ENKUlT_T0_E_clISt17integral_constantIbLb0EES1O_IbLb1EEEEDaS1K_S1L_EUlS1K_E_NS1_11comp_targetILNS1_3genE2ELNS1_11target_archE906ELNS1_3gpuE6ELNS1_3repE0EEENS1_30default_config_static_selectorELNS0_4arch9wavefront6targetE1EEEvSY_.has_dyn_sized_stack, 0
	.set _ZN7rocprim17ROCPRIM_400000_NS6detail17trampoline_kernelINS0_13select_configILj256ELj13ELNS0_17block_load_methodE3ELS4_3ELS4_3ELNS0_20block_scan_algorithmE0ELj4294967295EEENS1_25partition_config_selectorILNS1_17partition_subalgoE3EjNS0_10empty_typeEbEEZZNS1_14partition_implILS8_3ELb0ES6_jNS0_17counting_iteratorIjlEEPS9_SE_NS0_5tupleIJPjSE_EEENSF_IJSE_SE_EEES9_SG_JZNS1_25segmented_radix_sort_implINS0_14default_configELb0EPKhPhPKlPlN2at6native12_GLOBAL__N_18offset_tEEE10hipError_tPvRmT1_PNSt15iterator_traitsISY_E10value_typeET2_T3_PNSZ_IS14_E10value_typeET4_jRbjT5_S1A_jjP12ihipStream_tbEUljE_EEESV_SW_SX_S14_S18_S1A_T6_T7_T9_mT8_S1C_bDpT10_ENKUlT_T0_E_clISt17integral_constantIbLb0EES1O_IbLb1EEEEDaS1K_S1L_EUlS1K_E_NS1_11comp_targetILNS1_3genE2ELNS1_11target_archE906ELNS1_3gpuE6ELNS1_3repE0EEENS1_30default_config_static_selectorELNS0_4arch9wavefront6targetE1EEEvSY_.has_recursion, 0
	.set _ZN7rocprim17ROCPRIM_400000_NS6detail17trampoline_kernelINS0_13select_configILj256ELj13ELNS0_17block_load_methodE3ELS4_3ELS4_3ELNS0_20block_scan_algorithmE0ELj4294967295EEENS1_25partition_config_selectorILNS1_17partition_subalgoE3EjNS0_10empty_typeEbEEZZNS1_14partition_implILS8_3ELb0ES6_jNS0_17counting_iteratorIjlEEPS9_SE_NS0_5tupleIJPjSE_EEENSF_IJSE_SE_EEES9_SG_JZNS1_25segmented_radix_sort_implINS0_14default_configELb0EPKhPhPKlPlN2at6native12_GLOBAL__N_18offset_tEEE10hipError_tPvRmT1_PNSt15iterator_traitsISY_E10value_typeET2_T3_PNSZ_IS14_E10value_typeET4_jRbjT5_S1A_jjP12ihipStream_tbEUljE_EEESV_SW_SX_S14_S18_S1A_T6_T7_T9_mT8_S1C_bDpT10_ENKUlT_T0_E_clISt17integral_constantIbLb0EES1O_IbLb1EEEEDaS1K_S1L_EUlS1K_E_NS1_11comp_targetILNS1_3genE2ELNS1_11target_archE906ELNS1_3gpuE6ELNS1_3repE0EEENS1_30default_config_static_selectorELNS0_4arch9wavefront6targetE1EEEvSY_.has_indirect_call, 0
	.section	.AMDGPU.csdata,"",@progbits
; Kernel info:
; codeLenInByte = 7548
; TotalNumSgprs: 50
; NumVgprs: 71
; ScratchSize: 0
; MemoryBound: 0
; FloatMode: 240
; IeeeMode: 1
; LDSByteSize: 13320 bytes/workgroup (compile time only)
; SGPRBlocks: 12
; VGPRBlocks: 17
; NumSGPRsForWavesPerEU: 102
; NumVGPRsForWavesPerEU: 71
; Occupancy: 3
; WaveLimiterHint : 0
; COMPUTE_PGM_RSRC2:SCRATCH_EN: 0
; COMPUTE_PGM_RSRC2:USER_SGPR: 6
; COMPUTE_PGM_RSRC2:TRAP_HANDLER: 0
; COMPUTE_PGM_RSRC2:TGID_X_EN: 1
; COMPUTE_PGM_RSRC2:TGID_Y_EN: 0
; COMPUTE_PGM_RSRC2:TGID_Z_EN: 0
; COMPUTE_PGM_RSRC2:TIDIG_COMP_CNT: 0
	.section	.text._ZN7rocprim17ROCPRIM_400000_NS6detail17trampoline_kernelINS0_13select_configILj256ELj13ELNS0_17block_load_methodE3ELS4_3ELS4_3ELNS0_20block_scan_algorithmE0ELj4294967295EEENS1_25partition_config_selectorILNS1_17partition_subalgoE3EjNS0_10empty_typeEbEEZZNS1_14partition_implILS8_3ELb0ES6_jNS0_17counting_iteratorIjlEEPS9_SE_NS0_5tupleIJPjSE_EEENSF_IJSE_SE_EEES9_SG_JZNS1_25segmented_radix_sort_implINS0_14default_configELb0EPKhPhPKlPlN2at6native12_GLOBAL__N_18offset_tEEE10hipError_tPvRmT1_PNSt15iterator_traitsISY_E10value_typeET2_T3_PNSZ_IS14_E10value_typeET4_jRbjT5_S1A_jjP12ihipStream_tbEUljE_EEESV_SW_SX_S14_S18_S1A_T6_T7_T9_mT8_S1C_bDpT10_ENKUlT_T0_E_clISt17integral_constantIbLb0EES1O_IbLb1EEEEDaS1K_S1L_EUlS1K_E_NS1_11comp_targetILNS1_3genE10ELNS1_11target_archE1200ELNS1_3gpuE4ELNS1_3repE0EEENS1_30default_config_static_selectorELNS0_4arch9wavefront6targetE1EEEvSY_,"axG",@progbits,_ZN7rocprim17ROCPRIM_400000_NS6detail17trampoline_kernelINS0_13select_configILj256ELj13ELNS0_17block_load_methodE3ELS4_3ELS4_3ELNS0_20block_scan_algorithmE0ELj4294967295EEENS1_25partition_config_selectorILNS1_17partition_subalgoE3EjNS0_10empty_typeEbEEZZNS1_14partition_implILS8_3ELb0ES6_jNS0_17counting_iteratorIjlEEPS9_SE_NS0_5tupleIJPjSE_EEENSF_IJSE_SE_EEES9_SG_JZNS1_25segmented_radix_sort_implINS0_14default_configELb0EPKhPhPKlPlN2at6native12_GLOBAL__N_18offset_tEEE10hipError_tPvRmT1_PNSt15iterator_traitsISY_E10value_typeET2_T3_PNSZ_IS14_E10value_typeET4_jRbjT5_S1A_jjP12ihipStream_tbEUljE_EEESV_SW_SX_S14_S18_S1A_T6_T7_T9_mT8_S1C_bDpT10_ENKUlT_T0_E_clISt17integral_constantIbLb0EES1O_IbLb1EEEEDaS1K_S1L_EUlS1K_E_NS1_11comp_targetILNS1_3genE10ELNS1_11target_archE1200ELNS1_3gpuE4ELNS1_3repE0EEENS1_30default_config_static_selectorELNS0_4arch9wavefront6targetE1EEEvSY_,comdat
	.globl	_ZN7rocprim17ROCPRIM_400000_NS6detail17trampoline_kernelINS0_13select_configILj256ELj13ELNS0_17block_load_methodE3ELS4_3ELS4_3ELNS0_20block_scan_algorithmE0ELj4294967295EEENS1_25partition_config_selectorILNS1_17partition_subalgoE3EjNS0_10empty_typeEbEEZZNS1_14partition_implILS8_3ELb0ES6_jNS0_17counting_iteratorIjlEEPS9_SE_NS0_5tupleIJPjSE_EEENSF_IJSE_SE_EEES9_SG_JZNS1_25segmented_radix_sort_implINS0_14default_configELb0EPKhPhPKlPlN2at6native12_GLOBAL__N_18offset_tEEE10hipError_tPvRmT1_PNSt15iterator_traitsISY_E10value_typeET2_T3_PNSZ_IS14_E10value_typeET4_jRbjT5_S1A_jjP12ihipStream_tbEUljE_EEESV_SW_SX_S14_S18_S1A_T6_T7_T9_mT8_S1C_bDpT10_ENKUlT_T0_E_clISt17integral_constantIbLb0EES1O_IbLb1EEEEDaS1K_S1L_EUlS1K_E_NS1_11comp_targetILNS1_3genE10ELNS1_11target_archE1200ELNS1_3gpuE4ELNS1_3repE0EEENS1_30default_config_static_selectorELNS0_4arch9wavefront6targetE1EEEvSY_ ; -- Begin function _ZN7rocprim17ROCPRIM_400000_NS6detail17trampoline_kernelINS0_13select_configILj256ELj13ELNS0_17block_load_methodE3ELS4_3ELS4_3ELNS0_20block_scan_algorithmE0ELj4294967295EEENS1_25partition_config_selectorILNS1_17partition_subalgoE3EjNS0_10empty_typeEbEEZZNS1_14partition_implILS8_3ELb0ES6_jNS0_17counting_iteratorIjlEEPS9_SE_NS0_5tupleIJPjSE_EEENSF_IJSE_SE_EEES9_SG_JZNS1_25segmented_radix_sort_implINS0_14default_configELb0EPKhPhPKlPlN2at6native12_GLOBAL__N_18offset_tEEE10hipError_tPvRmT1_PNSt15iterator_traitsISY_E10value_typeET2_T3_PNSZ_IS14_E10value_typeET4_jRbjT5_S1A_jjP12ihipStream_tbEUljE_EEESV_SW_SX_S14_S18_S1A_T6_T7_T9_mT8_S1C_bDpT10_ENKUlT_T0_E_clISt17integral_constantIbLb0EES1O_IbLb1EEEEDaS1K_S1L_EUlS1K_E_NS1_11comp_targetILNS1_3genE10ELNS1_11target_archE1200ELNS1_3gpuE4ELNS1_3repE0EEENS1_30default_config_static_selectorELNS0_4arch9wavefront6targetE1EEEvSY_
	.p2align	8
	.type	_ZN7rocprim17ROCPRIM_400000_NS6detail17trampoline_kernelINS0_13select_configILj256ELj13ELNS0_17block_load_methodE3ELS4_3ELS4_3ELNS0_20block_scan_algorithmE0ELj4294967295EEENS1_25partition_config_selectorILNS1_17partition_subalgoE3EjNS0_10empty_typeEbEEZZNS1_14partition_implILS8_3ELb0ES6_jNS0_17counting_iteratorIjlEEPS9_SE_NS0_5tupleIJPjSE_EEENSF_IJSE_SE_EEES9_SG_JZNS1_25segmented_radix_sort_implINS0_14default_configELb0EPKhPhPKlPlN2at6native12_GLOBAL__N_18offset_tEEE10hipError_tPvRmT1_PNSt15iterator_traitsISY_E10value_typeET2_T3_PNSZ_IS14_E10value_typeET4_jRbjT5_S1A_jjP12ihipStream_tbEUljE_EEESV_SW_SX_S14_S18_S1A_T6_T7_T9_mT8_S1C_bDpT10_ENKUlT_T0_E_clISt17integral_constantIbLb0EES1O_IbLb1EEEEDaS1K_S1L_EUlS1K_E_NS1_11comp_targetILNS1_3genE10ELNS1_11target_archE1200ELNS1_3gpuE4ELNS1_3repE0EEENS1_30default_config_static_selectorELNS0_4arch9wavefront6targetE1EEEvSY_,@function
_ZN7rocprim17ROCPRIM_400000_NS6detail17trampoline_kernelINS0_13select_configILj256ELj13ELNS0_17block_load_methodE3ELS4_3ELS4_3ELNS0_20block_scan_algorithmE0ELj4294967295EEENS1_25partition_config_selectorILNS1_17partition_subalgoE3EjNS0_10empty_typeEbEEZZNS1_14partition_implILS8_3ELb0ES6_jNS0_17counting_iteratorIjlEEPS9_SE_NS0_5tupleIJPjSE_EEENSF_IJSE_SE_EEES9_SG_JZNS1_25segmented_radix_sort_implINS0_14default_configELb0EPKhPhPKlPlN2at6native12_GLOBAL__N_18offset_tEEE10hipError_tPvRmT1_PNSt15iterator_traitsISY_E10value_typeET2_T3_PNSZ_IS14_E10value_typeET4_jRbjT5_S1A_jjP12ihipStream_tbEUljE_EEESV_SW_SX_S14_S18_S1A_T6_T7_T9_mT8_S1C_bDpT10_ENKUlT_T0_E_clISt17integral_constantIbLb0EES1O_IbLb1EEEEDaS1K_S1L_EUlS1K_E_NS1_11comp_targetILNS1_3genE10ELNS1_11target_archE1200ELNS1_3gpuE4ELNS1_3repE0EEENS1_30default_config_static_selectorELNS0_4arch9wavefront6targetE1EEEvSY_: ; @_ZN7rocprim17ROCPRIM_400000_NS6detail17trampoline_kernelINS0_13select_configILj256ELj13ELNS0_17block_load_methodE3ELS4_3ELS4_3ELNS0_20block_scan_algorithmE0ELj4294967295EEENS1_25partition_config_selectorILNS1_17partition_subalgoE3EjNS0_10empty_typeEbEEZZNS1_14partition_implILS8_3ELb0ES6_jNS0_17counting_iteratorIjlEEPS9_SE_NS0_5tupleIJPjSE_EEENSF_IJSE_SE_EEES9_SG_JZNS1_25segmented_radix_sort_implINS0_14default_configELb0EPKhPhPKlPlN2at6native12_GLOBAL__N_18offset_tEEE10hipError_tPvRmT1_PNSt15iterator_traitsISY_E10value_typeET2_T3_PNSZ_IS14_E10value_typeET4_jRbjT5_S1A_jjP12ihipStream_tbEUljE_EEESV_SW_SX_S14_S18_S1A_T6_T7_T9_mT8_S1C_bDpT10_ENKUlT_T0_E_clISt17integral_constantIbLb0EES1O_IbLb1EEEEDaS1K_S1L_EUlS1K_E_NS1_11comp_targetILNS1_3genE10ELNS1_11target_archE1200ELNS1_3gpuE4ELNS1_3repE0EEENS1_30default_config_static_selectorELNS0_4arch9wavefront6targetE1EEEvSY_
; %bb.0:
	.section	.rodata,"a",@progbits
	.p2align	6, 0x0
	.amdhsa_kernel _ZN7rocprim17ROCPRIM_400000_NS6detail17trampoline_kernelINS0_13select_configILj256ELj13ELNS0_17block_load_methodE3ELS4_3ELS4_3ELNS0_20block_scan_algorithmE0ELj4294967295EEENS1_25partition_config_selectorILNS1_17partition_subalgoE3EjNS0_10empty_typeEbEEZZNS1_14partition_implILS8_3ELb0ES6_jNS0_17counting_iteratorIjlEEPS9_SE_NS0_5tupleIJPjSE_EEENSF_IJSE_SE_EEES9_SG_JZNS1_25segmented_radix_sort_implINS0_14default_configELb0EPKhPhPKlPlN2at6native12_GLOBAL__N_18offset_tEEE10hipError_tPvRmT1_PNSt15iterator_traitsISY_E10value_typeET2_T3_PNSZ_IS14_E10value_typeET4_jRbjT5_S1A_jjP12ihipStream_tbEUljE_EEESV_SW_SX_S14_S18_S1A_T6_T7_T9_mT8_S1C_bDpT10_ENKUlT_T0_E_clISt17integral_constantIbLb0EES1O_IbLb1EEEEDaS1K_S1L_EUlS1K_E_NS1_11comp_targetILNS1_3genE10ELNS1_11target_archE1200ELNS1_3gpuE4ELNS1_3repE0EEENS1_30default_config_static_selectorELNS0_4arch9wavefront6targetE1EEEvSY_
		.amdhsa_group_segment_fixed_size 0
		.amdhsa_private_segment_fixed_size 0
		.amdhsa_kernarg_size 152
		.amdhsa_user_sgpr_count 6
		.amdhsa_user_sgpr_private_segment_buffer 1
		.amdhsa_user_sgpr_dispatch_ptr 0
		.amdhsa_user_sgpr_queue_ptr 0
		.amdhsa_user_sgpr_kernarg_segment_ptr 1
		.amdhsa_user_sgpr_dispatch_id 0
		.amdhsa_user_sgpr_flat_scratch_init 0
		.amdhsa_user_sgpr_private_segment_size 0
		.amdhsa_uses_dynamic_stack 0
		.amdhsa_system_sgpr_private_segment_wavefront_offset 0
		.amdhsa_system_sgpr_workgroup_id_x 1
		.amdhsa_system_sgpr_workgroup_id_y 0
		.amdhsa_system_sgpr_workgroup_id_z 0
		.amdhsa_system_sgpr_workgroup_info 0
		.amdhsa_system_vgpr_workitem_id 0
		.amdhsa_next_free_vgpr 1
		.amdhsa_next_free_sgpr 0
		.amdhsa_reserve_vcc 0
		.amdhsa_reserve_flat_scratch 0
		.amdhsa_float_round_mode_32 0
		.amdhsa_float_round_mode_16_64 0
		.amdhsa_float_denorm_mode_32 3
		.amdhsa_float_denorm_mode_16_64 3
		.amdhsa_dx10_clamp 1
		.amdhsa_ieee_mode 1
		.amdhsa_fp16_overflow 0
		.amdhsa_exception_fp_ieee_invalid_op 0
		.amdhsa_exception_fp_denorm_src 0
		.amdhsa_exception_fp_ieee_div_zero 0
		.amdhsa_exception_fp_ieee_overflow 0
		.amdhsa_exception_fp_ieee_underflow 0
		.amdhsa_exception_fp_ieee_inexact 0
		.amdhsa_exception_int_div_zero 0
	.end_amdhsa_kernel
	.section	.text._ZN7rocprim17ROCPRIM_400000_NS6detail17trampoline_kernelINS0_13select_configILj256ELj13ELNS0_17block_load_methodE3ELS4_3ELS4_3ELNS0_20block_scan_algorithmE0ELj4294967295EEENS1_25partition_config_selectorILNS1_17partition_subalgoE3EjNS0_10empty_typeEbEEZZNS1_14partition_implILS8_3ELb0ES6_jNS0_17counting_iteratorIjlEEPS9_SE_NS0_5tupleIJPjSE_EEENSF_IJSE_SE_EEES9_SG_JZNS1_25segmented_radix_sort_implINS0_14default_configELb0EPKhPhPKlPlN2at6native12_GLOBAL__N_18offset_tEEE10hipError_tPvRmT1_PNSt15iterator_traitsISY_E10value_typeET2_T3_PNSZ_IS14_E10value_typeET4_jRbjT5_S1A_jjP12ihipStream_tbEUljE_EEESV_SW_SX_S14_S18_S1A_T6_T7_T9_mT8_S1C_bDpT10_ENKUlT_T0_E_clISt17integral_constantIbLb0EES1O_IbLb1EEEEDaS1K_S1L_EUlS1K_E_NS1_11comp_targetILNS1_3genE10ELNS1_11target_archE1200ELNS1_3gpuE4ELNS1_3repE0EEENS1_30default_config_static_selectorELNS0_4arch9wavefront6targetE1EEEvSY_,"axG",@progbits,_ZN7rocprim17ROCPRIM_400000_NS6detail17trampoline_kernelINS0_13select_configILj256ELj13ELNS0_17block_load_methodE3ELS4_3ELS4_3ELNS0_20block_scan_algorithmE0ELj4294967295EEENS1_25partition_config_selectorILNS1_17partition_subalgoE3EjNS0_10empty_typeEbEEZZNS1_14partition_implILS8_3ELb0ES6_jNS0_17counting_iteratorIjlEEPS9_SE_NS0_5tupleIJPjSE_EEENSF_IJSE_SE_EEES9_SG_JZNS1_25segmented_radix_sort_implINS0_14default_configELb0EPKhPhPKlPlN2at6native12_GLOBAL__N_18offset_tEEE10hipError_tPvRmT1_PNSt15iterator_traitsISY_E10value_typeET2_T3_PNSZ_IS14_E10value_typeET4_jRbjT5_S1A_jjP12ihipStream_tbEUljE_EEESV_SW_SX_S14_S18_S1A_T6_T7_T9_mT8_S1C_bDpT10_ENKUlT_T0_E_clISt17integral_constantIbLb0EES1O_IbLb1EEEEDaS1K_S1L_EUlS1K_E_NS1_11comp_targetILNS1_3genE10ELNS1_11target_archE1200ELNS1_3gpuE4ELNS1_3repE0EEENS1_30default_config_static_selectorELNS0_4arch9wavefront6targetE1EEEvSY_,comdat
.Lfunc_end183:
	.size	_ZN7rocprim17ROCPRIM_400000_NS6detail17trampoline_kernelINS0_13select_configILj256ELj13ELNS0_17block_load_methodE3ELS4_3ELS4_3ELNS0_20block_scan_algorithmE0ELj4294967295EEENS1_25partition_config_selectorILNS1_17partition_subalgoE3EjNS0_10empty_typeEbEEZZNS1_14partition_implILS8_3ELb0ES6_jNS0_17counting_iteratorIjlEEPS9_SE_NS0_5tupleIJPjSE_EEENSF_IJSE_SE_EEES9_SG_JZNS1_25segmented_radix_sort_implINS0_14default_configELb0EPKhPhPKlPlN2at6native12_GLOBAL__N_18offset_tEEE10hipError_tPvRmT1_PNSt15iterator_traitsISY_E10value_typeET2_T3_PNSZ_IS14_E10value_typeET4_jRbjT5_S1A_jjP12ihipStream_tbEUljE_EEESV_SW_SX_S14_S18_S1A_T6_T7_T9_mT8_S1C_bDpT10_ENKUlT_T0_E_clISt17integral_constantIbLb0EES1O_IbLb1EEEEDaS1K_S1L_EUlS1K_E_NS1_11comp_targetILNS1_3genE10ELNS1_11target_archE1200ELNS1_3gpuE4ELNS1_3repE0EEENS1_30default_config_static_selectorELNS0_4arch9wavefront6targetE1EEEvSY_, .Lfunc_end183-_ZN7rocprim17ROCPRIM_400000_NS6detail17trampoline_kernelINS0_13select_configILj256ELj13ELNS0_17block_load_methodE3ELS4_3ELS4_3ELNS0_20block_scan_algorithmE0ELj4294967295EEENS1_25partition_config_selectorILNS1_17partition_subalgoE3EjNS0_10empty_typeEbEEZZNS1_14partition_implILS8_3ELb0ES6_jNS0_17counting_iteratorIjlEEPS9_SE_NS0_5tupleIJPjSE_EEENSF_IJSE_SE_EEES9_SG_JZNS1_25segmented_radix_sort_implINS0_14default_configELb0EPKhPhPKlPlN2at6native12_GLOBAL__N_18offset_tEEE10hipError_tPvRmT1_PNSt15iterator_traitsISY_E10value_typeET2_T3_PNSZ_IS14_E10value_typeET4_jRbjT5_S1A_jjP12ihipStream_tbEUljE_EEESV_SW_SX_S14_S18_S1A_T6_T7_T9_mT8_S1C_bDpT10_ENKUlT_T0_E_clISt17integral_constantIbLb0EES1O_IbLb1EEEEDaS1K_S1L_EUlS1K_E_NS1_11comp_targetILNS1_3genE10ELNS1_11target_archE1200ELNS1_3gpuE4ELNS1_3repE0EEENS1_30default_config_static_selectorELNS0_4arch9wavefront6targetE1EEEvSY_
                                        ; -- End function
	.set _ZN7rocprim17ROCPRIM_400000_NS6detail17trampoline_kernelINS0_13select_configILj256ELj13ELNS0_17block_load_methodE3ELS4_3ELS4_3ELNS0_20block_scan_algorithmE0ELj4294967295EEENS1_25partition_config_selectorILNS1_17partition_subalgoE3EjNS0_10empty_typeEbEEZZNS1_14partition_implILS8_3ELb0ES6_jNS0_17counting_iteratorIjlEEPS9_SE_NS0_5tupleIJPjSE_EEENSF_IJSE_SE_EEES9_SG_JZNS1_25segmented_radix_sort_implINS0_14default_configELb0EPKhPhPKlPlN2at6native12_GLOBAL__N_18offset_tEEE10hipError_tPvRmT1_PNSt15iterator_traitsISY_E10value_typeET2_T3_PNSZ_IS14_E10value_typeET4_jRbjT5_S1A_jjP12ihipStream_tbEUljE_EEESV_SW_SX_S14_S18_S1A_T6_T7_T9_mT8_S1C_bDpT10_ENKUlT_T0_E_clISt17integral_constantIbLb0EES1O_IbLb1EEEEDaS1K_S1L_EUlS1K_E_NS1_11comp_targetILNS1_3genE10ELNS1_11target_archE1200ELNS1_3gpuE4ELNS1_3repE0EEENS1_30default_config_static_selectorELNS0_4arch9wavefront6targetE1EEEvSY_.num_vgpr, 0
	.set _ZN7rocprim17ROCPRIM_400000_NS6detail17trampoline_kernelINS0_13select_configILj256ELj13ELNS0_17block_load_methodE3ELS4_3ELS4_3ELNS0_20block_scan_algorithmE0ELj4294967295EEENS1_25partition_config_selectorILNS1_17partition_subalgoE3EjNS0_10empty_typeEbEEZZNS1_14partition_implILS8_3ELb0ES6_jNS0_17counting_iteratorIjlEEPS9_SE_NS0_5tupleIJPjSE_EEENSF_IJSE_SE_EEES9_SG_JZNS1_25segmented_radix_sort_implINS0_14default_configELb0EPKhPhPKlPlN2at6native12_GLOBAL__N_18offset_tEEE10hipError_tPvRmT1_PNSt15iterator_traitsISY_E10value_typeET2_T3_PNSZ_IS14_E10value_typeET4_jRbjT5_S1A_jjP12ihipStream_tbEUljE_EEESV_SW_SX_S14_S18_S1A_T6_T7_T9_mT8_S1C_bDpT10_ENKUlT_T0_E_clISt17integral_constantIbLb0EES1O_IbLb1EEEEDaS1K_S1L_EUlS1K_E_NS1_11comp_targetILNS1_3genE10ELNS1_11target_archE1200ELNS1_3gpuE4ELNS1_3repE0EEENS1_30default_config_static_selectorELNS0_4arch9wavefront6targetE1EEEvSY_.num_agpr, 0
	.set _ZN7rocprim17ROCPRIM_400000_NS6detail17trampoline_kernelINS0_13select_configILj256ELj13ELNS0_17block_load_methodE3ELS4_3ELS4_3ELNS0_20block_scan_algorithmE0ELj4294967295EEENS1_25partition_config_selectorILNS1_17partition_subalgoE3EjNS0_10empty_typeEbEEZZNS1_14partition_implILS8_3ELb0ES6_jNS0_17counting_iteratorIjlEEPS9_SE_NS0_5tupleIJPjSE_EEENSF_IJSE_SE_EEES9_SG_JZNS1_25segmented_radix_sort_implINS0_14default_configELb0EPKhPhPKlPlN2at6native12_GLOBAL__N_18offset_tEEE10hipError_tPvRmT1_PNSt15iterator_traitsISY_E10value_typeET2_T3_PNSZ_IS14_E10value_typeET4_jRbjT5_S1A_jjP12ihipStream_tbEUljE_EEESV_SW_SX_S14_S18_S1A_T6_T7_T9_mT8_S1C_bDpT10_ENKUlT_T0_E_clISt17integral_constantIbLb0EES1O_IbLb1EEEEDaS1K_S1L_EUlS1K_E_NS1_11comp_targetILNS1_3genE10ELNS1_11target_archE1200ELNS1_3gpuE4ELNS1_3repE0EEENS1_30default_config_static_selectorELNS0_4arch9wavefront6targetE1EEEvSY_.numbered_sgpr, 0
	.set _ZN7rocprim17ROCPRIM_400000_NS6detail17trampoline_kernelINS0_13select_configILj256ELj13ELNS0_17block_load_methodE3ELS4_3ELS4_3ELNS0_20block_scan_algorithmE0ELj4294967295EEENS1_25partition_config_selectorILNS1_17partition_subalgoE3EjNS0_10empty_typeEbEEZZNS1_14partition_implILS8_3ELb0ES6_jNS0_17counting_iteratorIjlEEPS9_SE_NS0_5tupleIJPjSE_EEENSF_IJSE_SE_EEES9_SG_JZNS1_25segmented_radix_sort_implINS0_14default_configELb0EPKhPhPKlPlN2at6native12_GLOBAL__N_18offset_tEEE10hipError_tPvRmT1_PNSt15iterator_traitsISY_E10value_typeET2_T3_PNSZ_IS14_E10value_typeET4_jRbjT5_S1A_jjP12ihipStream_tbEUljE_EEESV_SW_SX_S14_S18_S1A_T6_T7_T9_mT8_S1C_bDpT10_ENKUlT_T0_E_clISt17integral_constantIbLb0EES1O_IbLb1EEEEDaS1K_S1L_EUlS1K_E_NS1_11comp_targetILNS1_3genE10ELNS1_11target_archE1200ELNS1_3gpuE4ELNS1_3repE0EEENS1_30default_config_static_selectorELNS0_4arch9wavefront6targetE1EEEvSY_.num_named_barrier, 0
	.set _ZN7rocprim17ROCPRIM_400000_NS6detail17trampoline_kernelINS0_13select_configILj256ELj13ELNS0_17block_load_methodE3ELS4_3ELS4_3ELNS0_20block_scan_algorithmE0ELj4294967295EEENS1_25partition_config_selectorILNS1_17partition_subalgoE3EjNS0_10empty_typeEbEEZZNS1_14partition_implILS8_3ELb0ES6_jNS0_17counting_iteratorIjlEEPS9_SE_NS0_5tupleIJPjSE_EEENSF_IJSE_SE_EEES9_SG_JZNS1_25segmented_radix_sort_implINS0_14default_configELb0EPKhPhPKlPlN2at6native12_GLOBAL__N_18offset_tEEE10hipError_tPvRmT1_PNSt15iterator_traitsISY_E10value_typeET2_T3_PNSZ_IS14_E10value_typeET4_jRbjT5_S1A_jjP12ihipStream_tbEUljE_EEESV_SW_SX_S14_S18_S1A_T6_T7_T9_mT8_S1C_bDpT10_ENKUlT_T0_E_clISt17integral_constantIbLb0EES1O_IbLb1EEEEDaS1K_S1L_EUlS1K_E_NS1_11comp_targetILNS1_3genE10ELNS1_11target_archE1200ELNS1_3gpuE4ELNS1_3repE0EEENS1_30default_config_static_selectorELNS0_4arch9wavefront6targetE1EEEvSY_.private_seg_size, 0
	.set _ZN7rocprim17ROCPRIM_400000_NS6detail17trampoline_kernelINS0_13select_configILj256ELj13ELNS0_17block_load_methodE3ELS4_3ELS4_3ELNS0_20block_scan_algorithmE0ELj4294967295EEENS1_25partition_config_selectorILNS1_17partition_subalgoE3EjNS0_10empty_typeEbEEZZNS1_14partition_implILS8_3ELb0ES6_jNS0_17counting_iteratorIjlEEPS9_SE_NS0_5tupleIJPjSE_EEENSF_IJSE_SE_EEES9_SG_JZNS1_25segmented_radix_sort_implINS0_14default_configELb0EPKhPhPKlPlN2at6native12_GLOBAL__N_18offset_tEEE10hipError_tPvRmT1_PNSt15iterator_traitsISY_E10value_typeET2_T3_PNSZ_IS14_E10value_typeET4_jRbjT5_S1A_jjP12ihipStream_tbEUljE_EEESV_SW_SX_S14_S18_S1A_T6_T7_T9_mT8_S1C_bDpT10_ENKUlT_T0_E_clISt17integral_constantIbLb0EES1O_IbLb1EEEEDaS1K_S1L_EUlS1K_E_NS1_11comp_targetILNS1_3genE10ELNS1_11target_archE1200ELNS1_3gpuE4ELNS1_3repE0EEENS1_30default_config_static_selectorELNS0_4arch9wavefront6targetE1EEEvSY_.uses_vcc, 0
	.set _ZN7rocprim17ROCPRIM_400000_NS6detail17trampoline_kernelINS0_13select_configILj256ELj13ELNS0_17block_load_methodE3ELS4_3ELS4_3ELNS0_20block_scan_algorithmE0ELj4294967295EEENS1_25partition_config_selectorILNS1_17partition_subalgoE3EjNS0_10empty_typeEbEEZZNS1_14partition_implILS8_3ELb0ES6_jNS0_17counting_iteratorIjlEEPS9_SE_NS0_5tupleIJPjSE_EEENSF_IJSE_SE_EEES9_SG_JZNS1_25segmented_radix_sort_implINS0_14default_configELb0EPKhPhPKlPlN2at6native12_GLOBAL__N_18offset_tEEE10hipError_tPvRmT1_PNSt15iterator_traitsISY_E10value_typeET2_T3_PNSZ_IS14_E10value_typeET4_jRbjT5_S1A_jjP12ihipStream_tbEUljE_EEESV_SW_SX_S14_S18_S1A_T6_T7_T9_mT8_S1C_bDpT10_ENKUlT_T0_E_clISt17integral_constantIbLb0EES1O_IbLb1EEEEDaS1K_S1L_EUlS1K_E_NS1_11comp_targetILNS1_3genE10ELNS1_11target_archE1200ELNS1_3gpuE4ELNS1_3repE0EEENS1_30default_config_static_selectorELNS0_4arch9wavefront6targetE1EEEvSY_.uses_flat_scratch, 0
	.set _ZN7rocprim17ROCPRIM_400000_NS6detail17trampoline_kernelINS0_13select_configILj256ELj13ELNS0_17block_load_methodE3ELS4_3ELS4_3ELNS0_20block_scan_algorithmE0ELj4294967295EEENS1_25partition_config_selectorILNS1_17partition_subalgoE3EjNS0_10empty_typeEbEEZZNS1_14partition_implILS8_3ELb0ES6_jNS0_17counting_iteratorIjlEEPS9_SE_NS0_5tupleIJPjSE_EEENSF_IJSE_SE_EEES9_SG_JZNS1_25segmented_radix_sort_implINS0_14default_configELb0EPKhPhPKlPlN2at6native12_GLOBAL__N_18offset_tEEE10hipError_tPvRmT1_PNSt15iterator_traitsISY_E10value_typeET2_T3_PNSZ_IS14_E10value_typeET4_jRbjT5_S1A_jjP12ihipStream_tbEUljE_EEESV_SW_SX_S14_S18_S1A_T6_T7_T9_mT8_S1C_bDpT10_ENKUlT_T0_E_clISt17integral_constantIbLb0EES1O_IbLb1EEEEDaS1K_S1L_EUlS1K_E_NS1_11comp_targetILNS1_3genE10ELNS1_11target_archE1200ELNS1_3gpuE4ELNS1_3repE0EEENS1_30default_config_static_selectorELNS0_4arch9wavefront6targetE1EEEvSY_.has_dyn_sized_stack, 0
	.set _ZN7rocprim17ROCPRIM_400000_NS6detail17trampoline_kernelINS0_13select_configILj256ELj13ELNS0_17block_load_methodE3ELS4_3ELS4_3ELNS0_20block_scan_algorithmE0ELj4294967295EEENS1_25partition_config_selectorILNS1_17partition_subalgoE3EjNS0_10empty_typeEbEEZZNS1_14partition_implILS8_3ELb0ES6_jNS0_17counting_iteratorIjlEEPS9_SE_NS0_5tupleIJPjSE_EEENSF_IJSE_SE_EEES9_SG_JZNS1_25segmented_radix_sort_implINS0_14default_configELb0EPKhPhPKlPlN2at6native12_GLOBAL__N_18offset_tEEE10hipError_tPvRmT1_PNSt15iterator_traitsISY_E10value_typeET2_T3_PNSZ_IS14_E10value_typeET4_jRbjT5_S1A_jjP12ihipStream_tbEUljE_EEESV_SW_SX_S14_S18_S1A_T6_T7_T9_mT8_S1C_bDpT10_ENKUlT_T0_E_clISt17integral_constantIbLb0EES1O_IbLb1EEEEDaS1K_S1L_EUlS1K_E_NS1_11comp_targetILNS1_3genE10ELNS1_11target_archE1200ELNS1_3gpuE4ELNS1_3repE0EEENS1_30default_config_static_selectorELNS0_4arch9wavefront6targetE1EEEvSY_.has_recursion, 0
	.set _ZN7rocprim17ROCPRIM_400000_NS6detail17trampoline_kernelINS0_13select_configILj256ELj13ELNS0_17block_load_methodE3ELS4_3ELS4_3ELNS0_20block_scan_algorithmE0ELj4294967295EEENS1_25partition_config_selectorILNS1_17partition_subalgoE3EjNS0_10empty_typeEbEEZZNS1_14partition_implILS8_3ELb0ES6_jNS0_17counting_iteratorIjlEEPS9_SE_NS0_5tupleIJPjSE_EEENSF_IJSE_SE_EEES9_SG_JZNS1_25segmented_radix_sort_implINS0_14default_configELb0EPKhPhPKlPlN2at6native12_GLOBAL__N_18offset_tEEE10hipError_tPvRmT1_PNSt15iterator_traitsISY_E10value_typeET2_T3_PNSZ_IS14_E10value_typeET4_jRbjT5_S1A_jjP12ihipStream_tbEUljE_EEESV_SW_SX_S14_S18_S1A_T6_T7_T9_mT8_S1C_bDpT10_ENKUlT_T0_E_clISt17integral_constantIbLb0EES1O_IbLb1EEEEDaS1K_S1L_EUlS1K_E_NS1_11comp_targetILNS1_3genE10ELNS1_11target_archE1200ELNS1_3gpuE4ELNS1_3repE0EEENS1_30default_config_static_selectorELNS0_4arch9wavefront6targetE1EEEvSY_.has_indirect_call, 0
	.section	.AMDGPU.csdata,"",@progbits
; Kernel info:
; codeLenInByte = 0
; TotalNumSgprs: 4
; NumVgprs: 0
; ScratchSize: 0
; MemoryBound: 0
; FloatMode: 240
; IeeeMode: 1
; LDSByteSize: 0 bytes/workgroup (compile time only)
; SGPRBlocks: 0
; VGPRBlocks: 0
; NumSGPRsForWavesPerEU: 4
; NumVGPRsForWavesPerEU: 1
; Occupancy: 10
; WaveLimiterHint : 0
; COMPUTE_PGM_RSRC2:SCRATCH_EN: 0
; COMPUTE_PGM_RSRC2:USER_SGPR: 6
; COMPUTE_PGM_RSRC2:TRAP_HANDLER: 0
; COMPUTE_PGM_RSRC2:TGID_X_EN: 1
; COMPUTE_PGM_RSRC2:TGID_Y_EN: 0
; COMPUTE_PGM_RSRC2:TGID_Z_EN: 0
; COMPUTE_PGM_RSRC2:TIDIG_COMP_CNT: 0
	.section	.text._ZN7rocprim17ROCPRIM_400000_NS6detail17trampoline_kernelINS0_13select_configILj256ELj13ELNS0_17block_load_methodE3ELS4_3ELS4_3ELNS0_20block_scan_algorithmE0ELj4294967295EEENS1_25partition_config_selectorILNS1_17partition_subalgoE3EjNS0_10empty_typeEbEEZZNS1_14partition_implILS8_3ELb0ES6_jNS0_17counting_iteratorIjlEEPS9_SE_NS0_5tupleIJPjSE_EEENSF_IJSE_SE_EEES9_SG_JZNS1_25segmented_radix_sort_implINS0_14default_configELb0EPKhPhPKlPlN2at6native12_GLOBAL__N_18offset_tEEE10hipError_tPvRmT1_PNSt15iterator_traitsISY_E10value_typeET2_T3_PNSZ_IS14_E10value_typeET4_jRbjT5_S1A_jjP12ihipStream_tbEUljE_EEESV_SW_SX_S14_S18_S1A_T6_T7_T9_mT8_S1C_bDpT10_ENKUlT_T0_E_clISt17integral_constantIbLb0EES1O_IbLb1EEEEDaS1K_S1L_EUlS1K_E_NS1_11comp_targetILNS1_3genE9ELNS1_11target_archE1100ELNS1_3gpuE3ELNS1_3repE0EEENS1_30default_config_static_selectorELNS0_4arch9wavefront6targetE1EEEvSY_,"axG",@progbits,_ZN7rocprim17ROCPRIM_400000_NS6detail17trampoline_kernelINS0_13select_configILj256ELj13ELNS0_17block_load_methodE3ELS4_3ELS4_3ELNS0_20block_scan_algorithmE0ELj4294967295EEENS1_25partition_config_selectorILNS1_17partition_subalgoE3EjNS0_10empty_typeEbEEZZNS1_14partition_implILS8_3ELb0ES6_jNS0_17counting_iteratorIjlEEPS9_SE_NS0_5tupleIJPjSE_EEENSF_IJSE_SE_EEES9_SG_JZNS1_25segmented_radix_sort_implINS0_14default_configELb0EPKhPhPKlPlN2at6native12_GLOBAL__N_18offset_tEEE10hipError_tPvRmT1_PNSt15iterator_traitsISY_E10value_typeET2_T3_PNSZ_IS14_E10value_typeET4_jRbjT5_S1A_jjP12ihipStream_tbEUljE_EEESV_SW_SX_S14_S18_S1A_T6_T7_T9_mT8_S1C_bDpT10_ENKUlT_T0_E_clISt17integral_constantIbLb0EES1O_IbLb1EEEEDaS1K_S1L_EUlS1K_E_NS1_11comp_targetILNS1_3genE9ELNS1_11target_archE1100ELNS1_3gpuE3ELNS1_3repE0EEENS1_30default_config_static_selectorELNS0_4arch9wavefront6targetE1EEEvSY_,comdat
	.globl	_ZN7rocprim17ROCPRIM_400000_NS6detail17trampoline_kernelINS0_13select_configILj256ELj13ELNS0_17block_load_methodE3ELS4_3ELS4_3ELNS0_20block_scan_algorithmE0ELj4294967295EEENS1_25partition_config_selectorILNS1_17partition_subalgoE3EjNS0_10empty_typeEbEEZZNS1_14partition_implILS8_3ELb0ES6_jNS0_17counting_iteratorIjlEEPS9_SE_NS0_5tupleIJPjSE_EEENSF_IJSE_SE_EEES9_SG_JZNS1_25segmented_radix_sort_implINS0_14default_configELb0EPKhPhPKlPlN2at6native12_GLOBAL__N_18offset_tEEE10hipError_tPvRmT1_PNSt15iterator_traitsISY_E10value_typeET2_T3_PNSZ_IS14_E10value_typeET4_jRbjT5_S1A_jjP12ihipStream_tbEUljE_EEESV_SW_SX_S14_S18_S1A_T6_T7_T9_mT8_S1C_bDpT10_ENKUlT_T0_E_clISt17integral_constantIbLb0EES1O_IbLb1EEEEDaS1K_S1L_EUlS1K_E_NS1_11comp_targetILNS1_3genE9ELNS1_11target_archE1100ELNS1_3gpuE3ELNS1_3repE0EEENS1_30default_config_static_selectorELNS0_4arch9wavefront6targetE1EEEvSY_ ; -- Begin function _ZN7rocprim17ROCPRIM_400000_NS6detail17trampoline_kernelINS0_13select_configILj256ELj13ELNS0_17block_load_methodE3ELS4_3ELS4_3ELNS0_20block_scan_algorithmE0ELj4294967295EEENS1_25partition_config_selectorILNS1_17partition_subalgoE3EjNS0_10empty_typeEbEEZZNS1_14partition_implILS8_3ELb0ES6_jNS0_17counting_iteratorIjlEEPS9_SE_NS0_5tupleIJPjSE_EEENSF_IJSE_SE_EEES9_SG_JZNS1_25segmented_radix_sort_implINS0_14default_configELb0EPKhPhPKlPlN2at6native12_GLOBAL__N_18offset_tEEE10hipError_tPvRmT1_PNSt15iterator_traitsISY_E10value_typeET2_T3_PNSZ_IS14_E10value_typeET4_jRbjT5_S1A_jjP12ihipStream_tbEUljE_EEESV_SW_SX_S14_S18_S1A_T6_T7_T9_mT8_S1C_bDpT10_ENKUlT_T0_E_clISt17integral_constantIbLb0EES1O_IbLb1EEEEDaS1K_S1L_EUlS1K_E_NS1_11comp_targetILNS1_3genE9ELNS1_11target_archE1100ELNS1_3gpuE3ELNS1_3repE0EEENS1_30default_config_static_selectorELNS0_4arch9wavefront6targetE1EEEvSY_
	.p2align	8
	.type	_ZN7rocprim17ROCPRIM_400000_NS6detail17trampoline_kernelINS0_13select_configILj256ELj13ELNS0_17block_load_methodE3ELS4_3ELS4_3ELNS0_20block_scan_algorithmE0ELj4294967295EEENS1_25partition_config_selectorILNS1_17partition_subalgoE3EjNS0_10empty_typeEbEEZZNS1_14partition_implILS8_3ELb0ES6_jNS0_17counting_iteratorIjlEEPS9_SE_NS0_5tupleIJPjSE_EEENSF_IJSE_SE_EEES9_SG_JZNS1_25segmented_radix_sort_implINS0_14default_configELb0EPKhPhPKlPlN2at6native12_GLOBAL__N_18offset_tEEE10hipError_tPvRmT1_PNSt15iterator_traitsISY_E10value_typeET2_T3_PNSZ_IS14_E10value_typeET4_jRbjT5_S1A_jjP12ihipStream_tbEUljE_EEESV_SW_SX_S14_S18_S1A_T6_T7_T9_mT8_S1C_bDpT10_ENKUlT_T0_E_clISt17integral_constantIbLb0EES1O_IbLb1EEEEDaS1K_S1L_EUlS1K_E_NS1_11comp_targetILNS1_3genE9ELNS1_11target_archE1100ELNS1_3gpuE3ELNS1_3repE0EEENS1_30default_config_static_selectorELNS0_4arch9wavefront6targetE1EEEvSY_,@function
_ZN7rocprim17ROCPRIM_400000_NS6detail17trampoline_kernelINS0_13select_configILj256ELj13ELNS0_17block_load_methodE3ELS4_3ELS4_3ELNS0_20block_scan_algorithmE0ELj4294967295EEENS1_25partition_config_selectorILNS1_17partition_subalgoE3EjNS0_10empty_typeEbEEZZNS1_14partition_implILS8_3ELb0ES6_jNS0_17counting_iteratorIjlEEPS9_SE_NS0_5tupleIJPjSE_EEENSF_IJSE_SE_EEES9_SG_JZNS1_25segmented_radix_sort_implINS0_14default_configELb0EPKhPhPKlPlN2at6native12_GLOBAL__N_18offset_tEEE10hipError_tPvRmT1_PNSt15iterator_traitsISY_E10value_typeET2_T3_PNSZ_IS14_E10value_typeET4_jRbjT5_S1A_jjP12ihipStream_tbEUljE_EEESV_SW_SX_S14_S18_S1A_T6_T7_T9_mT8_S1C_bDpT10_ENKUlT_T0_E_clISt17integral_constantIbLb0EES1O_IbLb1EEEEDaS1K_S1L_EUlS1K_E_NS1_11comp_targetILNS1_3genE9ELNS1_11target_archE1100ELNS1_3gpuE3ELNS1_3repE0EEENS1_30default_config_static_selectorELNS0_4arch9wavefront6targetE1EEEvSY_: ; @_ZN7rocprim17ROCPRIM_400000_NS6detail17trampoline_kernelINS0_13select_configILj256ELj13ELNS0_17block_load_methodE3ELS4_3ELS4_3ELNS0_20block_scan_algorithmE0ELj4294967295EEENS1_25partition_config_selectorILNS1_17partition_subalgoE3EjNS0_10empty_typeEbEEZZNS1_14partition_implILS8_3ELb0ES6_jNS0_17counting_iteratorIjlEEPS9_SE_NS0_5tupleIJPjSE_EEENSF_IJSE_SE_EEES9_SG_JZNS1_25segmented_radix_sort_implINS0_14default_configELb0EPKhPhPKlPlN2at6native12_GLOBAL__N_18offset_tEEE10hipError_tPvRmT1_PNSt15iterator_traitsISY_E10value_typeET2_T3_PNSZ_IS14_E10value_typeET4_jRbjT5_S1A_jjP12ihipStream_tbEUljE_EEESV_SW_SX_S14_S18_S1A_T6_T7_T9_mT8_S1C_bDpT10_ENKUlT_T0_E_clISt17integral_constantIbLb0EES1O_IbLb1EEEEDaS1K_S1L_EUlS1K_E_NS1_11comp_targetILNS1_3genE9ELNS1_11target_archE1100ELNS1_3gpuE3ELNS1_3repE0EEENS1_30default_config_static_selectorELNS0_4arch9wavefront6targetE1EEEvSY_
; %bb.0:
	.section	.rodata,"a",@progbits
	.p2align	6, 0x0
	.amdhsa_kernel _ZN7rocprim17ROCPRIM_400000_NS6detail17trampoline_kernelINS0_13select_configILj256ELj13ELNS0_17block_load_methodE3ELS4_3ELS4_3ELNS0_20block_scan_algorithmE0ELj4294967295EEENS1_25partition_config_selectorILNS1_17partition_subalgoE3EjNS0_10empty_typeEbEEZZNS1_14partition_implILS8_3ELb0ES6_jNS0_17counting_iteratorIjlEEPS9_SE_NS0_5tupleIJPjSE_EEENSF_IJSE_SE_EEES9_SG_JZNS1_25segmented_radix_sort_implINS0_14default_configELb0EPKhPhPKlPlN2at6native12_GLOBAL__N_18offset_tEEE10hipError_tPvRmT1_PNSt15iterator_traitsISY_E10value_typeET2_T3_PNSZ_IS14_E10value_typeET4_jRbjT5_S1A_jjP12ihipStream_tbEUljE_EEESV_SW_SX_S14_S18_S1A_T6_T7_T9_mT8_S1C_bDpT10_ENKUlT_T0_E_clISt17integral_constantIbLb0EES1O_IbLb1EEEEDaS1K_S1L_EUlS1K_E_NS1_11comp_targetILNS1_3genE9ELNS1_11target_archE1100ELNS1_3gpuE3ELNS1_3repE0EEENS1_30default_config_static_selectorELNS0_4arch9wavefront6targetE1EEEvSY_
		.amdhsa_group_segment_fixed_size 0
		.amdhsa_private_segment_fixed_size 0
		.amdhsa_kernarg_size 152
		.amdhsa_user_sgpr_count 6
		.amdhsa_user_sgpr_private_segment_buffer 1
		.amdhsa_user_sgpr_dispatch_ptr 0
		.amdhsa_user_sgpr_queue_ptr 0
		.amdhsa_user_sgpr_kernarg_segment_ptr 1
		.amdhsa_user_sgpr_dispatch_id 0
		.amdhsa_user_sgpr_flat_scratch_init 0
		.amdhsa_user_sgpr_private_segment_size 0
		.amdhsa_uses_dynamic_stack 0
		.amdhsa_system_sgpr_private_segment_wavefront_offset 0
		.amdhsa_system_sgpr_workgroup_id_x 1
		.amdhsa_system_sgpr_workgroup_id_y 0
		.amdhsa_system_sgpr_workgroup_id_z 0
		.amdhsa_system_sgpr_workgroup_info 0
		.amdhsa_system_vgpr_workitem_id 0
		.amdhsa_next_free_vgpr 1
		.amdhsa_next_free_sgpr 0
		.amdhsa_reserve_vcc 0
		.amdhsa_reserve_flat_scratch 0
		.amdhsa_float_round_mode_32 0
		.amdhsa_float_round_mode_16_64 0
		.amdhsa_float_denorm_mode_32 3
		.amdhsa_float_denorm_mode_16_64 3
		.amdhsa_dx10_clamp 1
		.amdhsa_ieee_mode 1
		.amdhsa_fp16_overflow 0
		.amdhsa_exception_fp_ieee_invalid_op 0
		.amdhsa_exception_fp_denorm_src 0
		.amdhsa_exception_fp_ieee_div_zero 0
		.amdhsa_exception_fp_ieee_overflow 0
		.amdhsa_exception_fp_ieee_underflow 0
		.amdhsa_exception_fp_ieee_inexact 0
		.amdhsa_exception_int_div_zero 0
	.end_amdhsa_kernel
	.section	.text._ZN7rocprim17ROCPRIM_400000_NS6detail17trampoline_kernelINS0_13select_configILj256ELj13ELNS0_17block_load_methodE3ELS4_3ELS4_3ELNS0_20block_scan_algorithmE0ELj4294967295EEENS1_25partition_config_selectorILNS1_17partition_subalgoE3EjNS0_10empty_typeEbEEZZNS1_14partition_implILS8_3ELb0ES6_jNS0_17counting_iteratorIjlEEPS9_SE_NS0_5tupleIJPjSE_EEENSF_IJSE_SE_EEES9_SG_JZNS1_25segmented_radix_sort_implINS0_14default_configELb0EPKhPhPKlPlN2at6native12_GLOBAL__N_18offset_tEEE10hipError_tPvRmT1_PNSt15iterator_traitsISY_E10value_typeET2_T3_PNSZ_IS14_E10value_typeET4_jRbjT5_S1A_jjP12ihipStream_tbEUljE_EEESV_SW_SX_S14_S18_S1A_T6_T7_T9_mT8_S1C_bDpT10_ENKUlT_T0_E_clISt17integral_constantIbLb0EES1O_IbLb1EEEEDaS1K_S1L_EUlS1K_E_NS1_11comp_targetILNS1_3genE9ELNS1_11target_archE1100ELNS1_3gpuE3ELNS1_3repE0EEENS1_30default_config_static_selectorELNS0_4arch9wavefront6targetE1EEEvSY_,"axG",@progbits,_ZN7rocprim17ROCPRIM_400000_NS6detail17trampoline_kernelINS0_13select_configILj256ELj13ELNS0_17block_load_methodE3ELS4_3ELS4_3ELNS0_20block_scan_algorithmE0ELj4294967295EEENS1_25partition_config_selectorILNS1_17partition_subalgoE3EjNS0_10empty_typeEbEEZZNS1_14partition_implILS8_3ELb0ES6_jNS0_17counting_iteratorIjlEEPS9_SE_NS0_5tupleIJPjSE_EEENSF_IJSE_SE_EEES9_SG_JZNS1_25segmented_radix_sort_implINS0_14default_configELb0EPKhPhPKlPlN2at6native12_GLOBAL__N_18offset_tEEE10hipError_tPvRmT1_PNSt15iterator_traitsISY_E10value_typeET2_T3_PNSZ_IS14_E10value_typeET4_jRbjT5_S1A_jjP12ihipStream_tbEUljE_EEESV_SW_SX_S14_S18_S1A_T6_T7_T9_mT8_S1C_bDpT10_ENKUlT_T0_E_clISt17integral_constantIbLb0EES1O_IbLb1EEEEDaS1K_S1L_EUlS1K_E_NS1_11comp_targetILNS1_3genE9ELNS1_11target_archE1100ELNS1_3gpuE3ELNS1_3repE0EEENS1_30default_config_static_selectorELNS0_4arch9wavefront6targetE1EEEvSY_,comdat
.Lfunc_end184:
	.size	_ZN7rocprim17ROCPRIM_400000_NS6detail17trampoline_kernelINS0_13select_configILj256ELj13ELNS0_17block_load_methodE3ELS4_3ELS4_3ELNS0_20block_scan_algorithmE0ELj4294967295EEENS1_25partition_config_selectorILNS1_17partition_subalgoE3EjNS0_10empty_typeEbEEZZNS1_14partition_implILS8_3ELb0ES6_jNS0_17counting_iteratorIjlEEPS9_SE_NS0_5tupleIJPjSE_EEENSF_IJSE_SE_EEES9_SG_JZNS1_25segmented_radix_sort_implINS0_14default_configELb0EPKhPhPKlPlN2at6native12_GLOBAL__N_18offset_tEEE10hipError_tPvRmT1_PNSt15iterator_traitsISY_E10value_typeET2_T3_PNSZ_IS14_E10value_typeET4_jRbjT5_S1A_jjP12ihipStream_tbEUljE_EEESV_SW_SX_S14_S18_S1A_T6_T7_T9_mT8_S1C_bDpT10_ENKUlT_T0_E_clISt17integral_constantIbLb0EES1O_IbLb1EEEEDaS1K_S1L_EUlS1K_E_NS1_11comp_targetILNS1_3genE9ELNS1_11target_archE1100ELNS1_3gpuE3ELNS1_3repE0EEENS1_30default_config_static_selectorELNS0_4arch9wavefront6targetE1EEEvSY_, .Lfunc_end184-_ZN7rocprim17ROCPRIM_400000_NS6detail17trampoline_kernelINS0_13select_configILj256ELj13ELNS0_17block_load_methodE3ELS4_3ELS4_3ELNS0_20block_scan_algorithmE0ELj4294967295EEENS1_25partition_config_selectorILNS1_17partition_subalgoE3EjNS0_10empty_typeEbEEZZNS1_14partition_implILS8_3ELb0ES6_jNS0_17counting_iteratorIjlEEPS9_SE_NS0_5tupleIJPjSE_EEENSF_IJSE_SE_EEES9_SG_JZNS1_25segmented_radix_sort_implINS0_14default_configELb0EPKhPhPKlPlN2at6native12_GLOBAL__N_18offset_tEEE10hipError_tPvRmT1_PNSt15iterator_traitsISY_E10value_typeET2_T3_PNSZ_IS14_E10value_typeET4_jRbjT5_S1A_jjP12ihipStream_tbEUljE_EEESV_SW_SX_S14_S18_S1A_T6_T7_T9_mT8_S1C_bDpT10_ENKUlT_T0_E_clISt17integral_constantIbLb0EES1O_IbLb1EEEEDaS1K_S1L_EUlS1K_E_NS1_11comp_targetILNS1_3genE9ELNS1_11target_archE1100ELNS1_3gpuE3ELNS1_3repE0EEENS1_30default_config_static_selectorELNS0_4arch9wavefront6targetE1EEEvSY_
                                        ; -- End function
	.set _ZN7rocprim17ROCPRIM_400000_NS6detail17trampoline_kernelINS0_13select_configILj256ELj13ELNS0_17block_load_methodE3ELS4_3ELS4_3ELNS0_20block_scan_algorithmE0ELj4294967295EEENS1_25partition_config_selectorILNS1_17partition_subalgoE3EjNS0_10empty_typeEbEEZZNS1_14partition_implILS8_3ELb0ES6_jNS0_17counting_iteratorIjlEEPS9_SE_NS0_5tupleIJPjSE_EEENSF_IJSE_SE_EEES9_SG_JZNS1_25segmented_radix_sort_implINS0_14default_configELb0EPKhPhPKlPlN2at6native12_GLOBAL__N_18offset_tEEE10hipError_tPvRmT1_PNSt15iterator_traitsISY_E10value_typeET2_T3_PNSZ_IS14_E10value_typeET4_jRbjT5_S1A_jjP12ihipStream_tbEUljE_EEESV_SW_SX_S14_S18_S1A_T6_T7_T9_mT8_S1C_bDpT10_ENKUlT_T0_E_clISt17integral_constantIbLb0EES1O_IbLb1EEEEDaS1K_S1L_EUlS1K_E_NS1_11comp_targetILNS1_3genE9ELNS1_11target_archE1100ELNS1_3gpuE3ELNS1_3repE0EEENS1_30default_config_static_selectorELNS0_4arch9wavefront6targetE1EEEvSY_.num_vgpr, 0
	.set _ZN7rocprim17ROCPRIM_400000_NS6detail17trampoline_kernelINS0_13select_configILj256ELj13ELNS0_17block_load_methodE3ELS4_3ELS4_3ELNS0_20block_scan_algorithmE0ELj4294967295EEENS1_25partition_config_selectorILNS1_17partition_subalgoE3EjNS0_10empty_typeEbEEZZNS1_14partition_implILS8_3ELb0ES6_jNS0_17counting_iteratorIjlEEPS9_SE_NS0_5tupleIJPjSE_EEENSF_IJSE_SE_EEES9_SG_JZNS1_25segmented_radix_sort_implINS0_14default_configELb0EPKhPhPKlPlN2at6native12_GLOBAL__N_18offset_tEEE10hipError_tPvRmT1_PNSt15iterator_traitsISY_E10value_typeET2_T3_PNSZ_IS14_E10value_typeET4_jRbjT5_S1A_jjP12ihipStream_tbEUljE_EEESV_SW_SX_S14_S18_S1A_T6_T7_T9_mT8_S1C_bDpT10_ENKUlT_T0_E_clISt17integral_constantIbLb0EES1O_IbLb1EEEEDaS1K_S1L_EUlS1K_E_NS1_11comp_targetILNS1_3genE9ELNS1_11target_archE1100ELNS1_3gpuE3ELNS1_3repE0EEENS1_30default_config_static_selectorELNS0_4arch9wavefront6targetE1EEEvSY_.num_agpr, 0
	.set _ZN7rocprim17ROCPRIM_400000_NS6detail17trampoline_kernelINS0_13select_configILj256ELj13ELNS0_17block_load_methodE3ELS4_3ELS4_3ELNS0_20block_scan_algorithmE0ELj4294967295EEENS1_25partition_config_selectorILNS1_17partition_subalgoE3EjNS0_10empty_typeEbEEZZNS1_14partition_implILS8_3ELb0ES6_jNS0_17counting_iteratorIjlEEPS9_SE_NS0_5tupleIJPjSE_EEENSF_IJSE_SE_EEES9_SG_JZNS1_25segmented_radix_sort_implINS0_14default_configELb0EPKhPhPKlPlN2at6native12_GLOBAL__N_18offset_tEEE10hipError_tPvRmT1_PNSt15iterator_traitsISY_E10value_typeET2_T3_PNSZ_IS14_E10value_typeET4_jRbjT5_S1A_jjP12ihipStream_tbEUljE_EEESV_SW_SX_S14_S18_S1A_T6_T7_T9_mT8_S1C_bDpT10_ENKUlT_T0_E_clISt17integral_constantIbLb0EES1O_IbLb1EEEEDaS1K_S1L_EUlS1K_E_NS1_11comp_targetILNS1_3genE9ELNS1_11target_archE1100ELNS1_3gpuE3ELNS1_3repE0EEENS1_30default_config_static_selectorELNS0_4arch9wavefront6targetE1EEEvSY_.numbered_sgpr, 0
	.set _ZN7rocprim17ROCPRIM_400000_NS6detail17trampoline_kernelINS0_13select_configILj256ELj13ELNS0_17block_load_methodE3ELS4_3ELS4_3ELNS0_20block_scan_algorithmE0ELj4294967295EEENS1_25partition_config_selectorILNS1_17partition_subalgoE3EjNS0_10empty_typeEbEEZZNS1_14partition_implILS8_3ELb0ES6_jNS0_17counting_iteratorIjlEEPS9_SE_NS0_5tupleIJPjSE_EEENSF_IJSE_SE_EEES9_SG_JZNS1_25segmented_radix_sort_implINS0_14default_configELb0EPKhPhPKlPlN2at6native12_GLOBAL__N_18offset_tEEE10hipError_tPvRmT1_PNSt15iterator_traitsISY_E10value_typeET2_T3_PNSZ_IS14_E10value_typeET4_jRbjT5_S1A_jjP12ihipStream_tbEUljE_EEESV_SW_SX_S14_S18_S1A_T6_T7_T9_mT8_S1C_bDpT10_ENKUlT_T0_E_clISt17integral_constantIbLb0EES1O_IbLb1EEEEDaS1K_S1L_EUlS1K_E_NS1_11comp_targetILNS1_3genE9ELNS1_11target_archE1100ELNS1_3gpuE3ELNS1_3repE0EEENS1_30default_config_static_selectorELNS0_4arch9wavefront6targetE1EEEvSY_.num_named_barrier, 0
	.set _ZN7rocprim17ROCPRIM_400000_NS6detail17trampoline_kernelINS0_13select_configILj256ELj13ELNS0_17block_load_methodE3ELS4_3ELS4_3ELNS0_20block_scan_algorithmE0ELj4294967295EEENS1_25partition_config_selectorILNS1_17partition_subalgoE3EjNS0_10empty_typeEbEEZZNS1_14partition_implILS8_3ELb0ES6_jNS0_17counting_iteratorIjlEEPS9_SE_NS0_5tupleIJPjSE_EEENSF_IJSE_SE_EEES9_SG_JZNS1_25segmented_radix_sort_implINS0_14default_configELb0EPKhPhPKlPlN2at6native12_GLOBAL__N_18offset_tEEE10hipError_tPvRmT1_PNSt15iterator_traitsISY_E10value_typeET2_T3_PNSZ_IS14_E10value_typeET4_jRbjT5_S1A_jjP12ihipStream_tbEUljE_EEESV_SW_SX_S14_S18_S1A_T6_T7_T9_mT8_S1C_bDpT10_ENKUlT_T0_E_clISt17integral_constantIbLb0EES1O_IbLb1EEEEDaS1K_S1L_EUlS1K_E_NS1_11comp_targetILNS1_3genE9ELNS1_11target_archE1100ELNS1_3gpuE3ELNS1_3repE0EEENS1_30default_config_static_selectorELNS0_4arch9wavefront6targetE1EEEvSY_.private_seg_size, 0
	.set _ZN7rocprim17ROCPRIM_400000_NS6detail17trampoline_kernelINS0_13select_configILj256ELj13ELNS0_17block_load_methodE3ELS4_3ELS4_3ELNS0_20block_scan_algorithmE0ELj4294967295EEENS1_25partition_config_selectorILNS1_17partition_subalgoE3EjNS0_10empty_typeEbEEZZNS1_14partition_implILS8_3ELb0ES6_jNS0_17counting_iteratorIjlEEPS9_SE_NS0_5tupleIJPjSE_EEENSF_IJSE_SE_EEES9_SG_JZNS1_25segmented_radix_sort_implINS0_14default_configELb0EPKhPhPKlPlN2at6native12_GLOBAL__N_18offset_tEEE10hipError_tPvRmT1_PNSt15iterator_traitsISY_E10value_typeET2_T3_PNSZ_IS14_E10value_typeET4_jRbjT5_S1A_jjP12ihipStream_tbEUljE_EEESV_SW_SX_S14_S18_S1A_T6_T7_T9_mT8_S1C_bDpT10_ENKUlT_T0_E_clISt17integral_constantIbLb0EES1O_IbLb1EEEEDaS1K_S1L_EUlS1K_E_NS1_11comp_targetILNS1_3genE9ELNS1_11target_archE1100ELNS1_3gpuE3ELNS1_3repE0EEENS1_30default_config_static_selectorELNS0_4arch9wavefront6targetE1EEEvSY_.uses_vcc, 0
	.set _ZN7rocprim17ROCPRIM_400000_NS6detail17trampoline_kernelINS0_13select_configILj256ELj13ELNS0_17block_load_methodE3ELS4_3ELS4_3ELNS0_20block_scan_algorithmE0ELj4294967295EEENS1_25partition_config_selectorILNS1_17partition_subalgoE3EjNS0_10empty_typeEbEEZZNS1_14partition_implILS8_3ELb0ES6_jNS0_17counting_iteratorIjlEEPS9_SE_NS0_5tupleIJPjSE_EEENSF_IJSE_SE_EEES9_SG_JZNS1_25segmented_radix_sort_implINS0_14default_configELb0EPKhPhPKlPlN2at6native12_GLOBAL__N_18offset_tEEE10hipError_tPvRmT1_PNSt15iterator_traitsISY_E10value_typeET2_T3_PNSZ_IS14_E10value_typeET4_jRbjT5_S1A_jjP12ihipStream_tbEUljE_EEESV_SW_SX_S14_S18_S1A_T6_T7_T9_mT8_S1C_bDpT10_ENKUlT_T0_E_clISt17integral_constantIbLb0EES1O_IbLb1EEEEDaS1K_S1L_EUlS1K_E_NS1_11comp_targetILNS1_3genE9ELNS1_11target_archE1100ELNS1_3gpuE3ELNS1_3repE0EEENS1_30default_config_static_selectorELNS0_4arch9wavefront6targetE1EEEvSY_.uses_flat_scratch, 0
	.set _ZN7rocprim17ROCPRIM_400000_NS6detail17trampoline_kernelINS0_13select_configILj256ELj13ELNS0_17block_load_methodE3ELS4_3ELS4_3ELNS0_20block_scan_algorithmE0ELj4294967295EEENS1_25partition_config_selectorILNS1_17partition_subalgoE3EjNS0_10empty_typeEbEEZZNS1_14partition_implILS8_3ELb0ES6_jNS0_17counting_iteratorIjlEEPS9_SE_NS0_5tupleIJPjSE_EEENSF_IJSE_SE_EEES9_SG_JZNS1_25segmented_radix_sort_implINS0_14default_configELb0EPKhPhPKlPlN2at6native12_GLOBAL__N_18offset_tEEE10hipError_tPvRmT1_PNSt15iterator_traitsISY_E10value_typeET2_T3_PNSZ_IS14_E10value_typeET4_jRbjT5_S1A_jjP12ihipStream_tbEUljE_EEESV_SW_SX_S14_S18_S1A_T6_T7_T9_mT8_S1C_bDpT10_ENKUlT_T0_E_clISt17integral_constantIbLb0EES1O_IbLb1EEEEDaS1K_S1L_EUlS1K_E_NS1_11comp_targetILNS1_3genE9ELNS1_11target_archE1100ELNS1_3gpuE3ELNS1_3repE0EEENS1_30default_config_static_selectorELNS0_4arch9wavefront6targetE1EEEvSY_.has_dyn_sized_stack, 0
	.set _ZN7rocprim17ROCPRIM_400000_NS6detail17trampoline_kernelINS0_13select_configILj256ELj13ELNS0_17block_load_methodE3ELS4_3ELS4_3ELNS0_20block_scan_algorithmE0ELj4294967295EEENS1_25partition_config_selectorILNS1_17partition_subalgoE3EjNS0_10empty_typeEbEEZZNS1_14partition_implILS8_3ELb0ES6_jNS0_17counting_iteratorIjlEEPS9_SE_NS0_5tupleIJPjSE_EEENSF_IJSE_SE_EEES9_SG_JZNS1_25segmented_radix_sort_implINS0_14default_configELb0EPKhPhPKlPlN2at6native12_GLOBAL__N_18offset_tEEE10hipError_tPvRmT1_PNSt15iterator_traitsISY_E10value_typeET2_T3_PNSZ_IS14_E10value_typeET4_jRbjT5_S1A_jjP12ihipStream_tbEUljE_EEESV_SW_SX_S14_S18_S1A_T6_T7_T9_mT8_S1C_bDpT10_ENKUlT_T0_E_clISt17integral_constantIbLb0EES1O_IbLb1EEEEDaS1K_S1L_EUlS1K_E_NS1_11comp_targetILNS1_3genE9ELNS1_11target_archE1100ELNS1_3gpuE3ELNS1_3repE0EEENS1_30default_config_static_selectorELNS0_4arch9wavefront6targetE1EEEvSY_.has_recursion, 0
	.set _ZN7rocprim17ROCPRIM_400000_NS6detail17trampoline_kernelINS0_13select_configILj256ELj13ELNS0_17block_load_methodE3ELS4_3ELS4_3ELNS0_20block_scan_algorithmE0ELj4294967295EEENS1_25partition_config_selectorILNS1_17partition_subalgoE3EjNS0_10empty_typeEbEEZZNS1_14partition_implILS8_3ELb0ES6_jNS0_17counting_iteratorIjlEEPS9_SE_NS0_5tupleIJPjSE_EEENSF_IJSE_SE_EEES9_SG_JZNS1_25segmented_radix_sort_implINS0_14default_configELb0EPKhPhPKlPlN2at6native12_GLOBAL__N_18offset_tEEE10hipError_tPvRmT1_PNSt15iterator_traitsISY_E10value_typeET2_T3_PNSZ_IS14_E10value_typeET4_jRbjT5_S1A_jjP12ihipStream_tbEUljE_EEESV_SW_SX_S14_S18_S1A_T6_T7_T9_mT8_S1C_bDpT10_ENKUlT_T0_E_clISt17integral_constantIbLb0EES1O_IbLb1EEEEDaS1K_S1L_EUlS1K_E_NS1_11comp_targetILNS1_3genE9ELNS1_11target_archE1100ELNS1_3gpuE3ELNS1_3repE0EEENS1_30default_config_static_selectorELNS0_4arch9wavefront6targetE1EEEvSY_.has_indirect_call, 0
	.section	.AMDGPU.csdata,"",@progbits
; Kernel info:
; codeLenInByte = 0
; TotalNumSgprs: 4
; NumVgprs: 0
; ScratchSize: 0
; MemoryBound: 0
; FloatMode: 240
; IeeeMode: 1
; LDSByteSize: 0 bytes/workgroup (compile time only)
; SGPRBlocks: 0
; VGPRBlocks: 0
; NumSGPRsForWavesPerEU: 4
; NumVGPRsForWavesPerEU: 1
; Occupancy: 10
; WaveLimiterHint : 0
; COMPUTE_PGM_RSRC2:SCRATCH_EN: 0
; COMPUTE_PGM_RSRC2:USER_SGPR: 6
; COMPUTE_PGM_RSRC2:TRAP_HANDLER: 0
; COMPUTE_PGM_RSRC2:TGID_X_EN: 1
; COMPUTE_PGM_RSRC2:TGID_Y_EN: 0
; COMPUTE_PGM_RSRC2:TGID_Z_EN: 0
; COMPUTE_PGM_RSRC2:TIDIG_COMP_CNT: 0
	.section	.text._ZN7rocprim17ROCPRIM_400000_NS6detail17trampoline_kernelINS0_13select_configILj256ELj13ELNS0_17block_load_methodE3ELS4_3ELS4_3ELNS0_20block_scan_algorithmE0ELj4294967295EEENS1_25partition_config_selectorILNS1_17partition_subalgoE3EjNS0_10empty_typeEbEEZZNS1_14partition_implILS8_3ELb0ES6_jNS0_17counting_iteratorIjlEEPS9_SE_NS0_5tupleIJPjSE_EEENSF_IJSE_SE_EEES9_SG_JZNS1_25segmented_radix_sort_implINS0_14default_configELb0EPKhPhPKlPlN2at6native12_GLOBAL__N_18offset_tEEE10hipError_tPvRmT1_PNSt15iterator_traitsISY_E10value_typeET2_T3_PNSZ_IS14_E10value_typeET4_jRbjT5_S1A_jjP12ihipStream_tbEUljE_EEESV_SW_SX_S14_S18_S1A_T6_T7_T9_mT8_S1C_bDpT10_ENKUlT_T0_E_clISt17integral_constantIbLb0EES1O_IbLb1EEEEDaS1K_S1L_EUlS1K_E_NS1_11comp_targetILNS1_3genE8ELNS1_11target_archE1030ELNS1_3gpuE2ELNS1_3repE0EEENS1_30default_config_static_selectorELNS0_4arch9wavefront6targetE1EEEvSY_,"axG",@progbits,_ZN7rocprim17ROCPRIM_400000_NS6detail17trampoline_kernelINS0_13select_configILj256ELj13ELNS0_17block_load_methodE3ELS4_3ELS4_3ELNS0_20block_scan_algorithmE0ELj4294967295EEENS1_25partition_config_selectorILNS1_17partition_subalgoE3EjNS0_10empty_typeEbEEZZNS1_14partition_implILS8_3ELb0ES6_jNS0_17counting_iteratorIjlEEPS9_SE_NS0_5tupleIJPjSE_EEENSF_IJSE_SE_EEES9_SG_JZNS1_25segmented_radix_sort_implINS0_14default_configELb0EPKhPhPKlPlN2at6native12_GLOBAL__N_18offset_tEEE10hipError_tPvRmT1_PNSt15iterator_traitsISY_E10value_typeET2_T3_PNSZ_IS14_E10value_typeET4_jRbjT5_S1A_jjP12ihipStream_tbEUljE_EEESV_SW_SX_S14_S18_S1A_T6_T7_T9_mT8_S1C_bDpT10_ENKUlT_T0_E_clISt17integral_constantIbLb0EES1O_IbLb1EEEEDaS1K_S1L_EUlS1K_E_NS1_11comp_targetILNS1_3genE8ELNS1_11target_archE1030ELNS1_3gpuE2ELNS1_3repE0EEENS1_30default_config_static_selectorELNS0_4arch9wavefront6targetE1EEEvSY_,comdat
	.globl	_ZN7rocprim17ROCPRIM_400000_NS6detail17trampoline_kernelINS0_13select_configILj256ELj13ELNS0_17block_load_methodE3ELS4_3ELS4_3ELNS0_20block_scan_algorithmE0ELj4294967295EEENS1_25partition_config_selectorILNS1_17partition_subalgoE3EjNS0_10empty_typeEbEEZZNS1_14partition_implILS8_3ELb0ES6_jNS0_17counting_iteratorIjlEEPS9_SE_NS0_5tupleIJPjSE_EEENSF_IJSE_SE_EEES9_SG_JZNS1_25segmented_radix_sort_implINS0_14default_configELb0EPKhPhPKlPlN2at6native12_GLOBAL__N_18offset_tEEE10hipError_tPvRmT1_PNSt15iterator_traitsISY_E10value_typeET2_T3_PNSZ_IS14_E10value_typeET4_jRbjT5_S1A_jjP12ihipStream_tbEUljE_EEESV_SW_SX_S14_S18_S1A_T6_T7_T9_mT8_S1C_bDpT10_ENKUlT_T0_E_clISt17integral_constantIbLb0EES1O_IbLb1EEEEDaS1K_S1L_EUlS1K_E_NS1_11comp_targetILNS1_3genE8ELNS1_11target_archE1030ELNS1_3gpuE2ELNS1_3repE0EEENS1_30default_config_static_selectorELNS0_4arch9wavefront6targetE1EEEvSY_ ; -- Begin function _ZN7rocprim17ROCPRIM_400000_NS6detail17trampoline_kernelINS0_13select_configILj256ELj13ELNS0_17block_load_methodE3ELS4_3ELS4_3ELNS0_20block_scan_algorithmE0ELj4294967295EEENS1_25partition_config_selectorILNS1_17partition_subalgoE3EjNS0_10empty_typeEbEEZZNS1_14partition_implILS8_3ELb0ES6_jNS0_17counting_iteratorIjlEEPS9_SE_NS0_5tupleIJPjSE_EEENSF_IJSE_SE_EEES9_SG_JZNS1_25segmented_radix_sort_implINS0_14default_configELb0EPKhPhPKlPlN2at6native12_GLOBAL__N_18offset_tEEE10hipError_tPvRmT1_PNSt15iterator_traitsISY_E10value_typeET2_T3_PNSZ_IS14_E10value_typeET4_jRbjT5_S1A_jjP12ihipStream_tbEUljE_EEESV_SW_SX_S14_S18_S1A_T6_T7_T9_mT8_S1C_bDpT10_ENKUlT_T0_E_clISt17integral_constantIbLb0EES1O_IbLb1EEEEDaS1K_S1L_EUlS1K_E_NS1_11comp_targetILNS1_3genE8ELNS1_11target_archE1030ELNS1_3gpuE2ELNS1_3repE0EEENS1_30default_config_static_selectorELNS0_4arch9wavefront6targetE1EEEvSY_
	.p2align	8
	.type	_ZN7rocprim17ROCPRIM_400000_NS6detail17trampoline_kernelINS0_13select_configILj256ELj13ELNS0_17block_load_methodE3ELS4_3ELS4_3ELNS0_20block_scan_algorithmE0ELj4294967295EEENS1_25partition_config_selectorILNS1_17partition_subalgoE3EjNS0_10empty_typeEbEEZZNS1_14partition_implILS8_3ELb0ES6_jNS0_17counting_iteratorIjlEEPS9_SE_NS0_5tupleIJPjSE_EEENSF_IJSE_SE_EEES9_SG_JZNS1_25segmented_radix_sort_implINS0_14default_configELb0EPKhPhPKlPlN2at6native12_GLOBAL__N_18offset_tEEE10hipError_tPvRmT1_PNSt15iterator_traitsISY_E10value_typeET2_T3_PNSZ_IS14_E10value_typeET4_jRbjT5_S1A_jjP12ihipStream_tbEUljE_EEESV_SW_SX_S14_S18_S1A_T6_T7_T9_mT8_S1C_bDpT10_ENKUlT_T0_E_clISt17integral_constantIbLb0EES1O_IbLb1EEEEDaS1K_S1L_EUlS1K_E_NS1_11comp_targetILNS1_3genE8ELNS1_11target_archE1030ELNS1_3gpuE2ELNS1_3repE0EEENS1_30default_config_static_selectorELNS0_4arch9wavefront6targetE1EEEvSY_,@function
_ZN7rocprim17ROCPRIM_400000_NS6detail17trampoline_kernelINS0_13select_configILj256ELj13ELNS0_17block_load_methodE3ELS4_3ELS4_3ELNS0_20block_scan_algorithmE0ELj4294967295EEENS1_25partition_config_selectorILNS1_17partition_subalgoE3EjNS0_10empty_typeEbEEZZNS1_14partition_implILS8_3ELb0ES6_jNS0_17counting_iteratorIjlEEPS9_SE_NS0_5tupleIJPjSE_EEENSF_IJSE_SE_EEES9_SG_JZNS1_25segmented_radix_sort_implINS0_14default_configELb0EPKhPhPKlPlN2at6native12_GLOBAL__N_18offset_tEEE10hipError_tPvRmT1_PNSt15iterator_traitsISY_E10value_typeET2_T3_PNSZ_IS14_E10value_typeET4_jRbjT5_S1A_jjP12ihipStream_tbEUljE_EEESV_SW_SX_S14_S18_S1A_T6_T7_T9_mT8_S1C_bDpT10_ENKUlT_T0_E_clISt17integral_constantIbLb0EES1O_IbLb1EEEEDaS1K_S1L_EUlS1K_E_NS1_11comp_targetILNS1_3genE8ELNS1_11target_archE1030ELNS1_3gpuE2ELNS1_3repE0EEENS1_30default_config_static_selectorELNS0_4arch9wavefront6targetE1EEEvSY_: ; @_ZN7rocprim17ROCPRIM_400000_NS6detail17trampoline_kernelINS0_13select_configILj256ELj13ELNS0_17block_load_methodE3ELS4_3ELS4_3ELNS0_20block_scan_algorithmE0ELj4294967295EEENS1_25partition_config_selectorILNS1_17partition_subalgoE3EjNS0_10empty_typeEbEEZZNS1_14partition_implILS8_3ELb0ES6_jNS0_17counting_iteratorIjlEEPS9_SE_NS0_5tupleIJPjSE_EEENSF_IJSE_SE_EEES9_SG_JZNS1_25segmented_radix_sort_implINS0_14default_configELb0EPKhPhPKlPlN2at6native12_GLOBAL__N_18offset_tEEE10hipError_tPvRmT1_PNSt15iterator_traitsISY_E10value_typeET2_T3_PNSZ_IS14_E10value_typeET4_jRbjT5_S1A_jjP12ihipStream_tbEUljE_EEESV_SW_SX_S14_S18_S1A_T6_T7_T9_mT8_S1C_bDpT10_ENKUlT_T0_E_clISt17integral_constantIbLb0EES1O_IbLb1EEEEDaS1K_S1L_EUlS1K_E_NS1_11comp_targetILNS1_3genE8ELNS1_11target_archE1030ELNS1_3gpuE2ELNS1_3repE0EEENS1_30default_config_static_selectorELNS0_4arch9wavefront6targetE1EEEvSY_
; %bb.0:
	.section	.rodata,"a",@progbits
	.p2align	6, 0x0
	.amdhsa_kernel _ZN7rocprim17ROCPRIM_400000_NS6detail17trampoline_kernelINS0_13select_configILj256ELj13ELNS0_17block_load_methodE3ELS4_3ELS4_3ELNS0_20block_scan_algorithmE0ELj4294967295EEENS1_25partition_config_selectorILNS1_17partition_subalgoE3EjNS0_10empty_typeEbEEZZNS1_14partition_implILS8_3ELb0ES6_jNS0_17counting_iteratorIjlEEPS9_SE_NS0_5tupleIJPjSE_EEENSF_IJSE_SE_EEES9_SG_JZNS1_25segmented_radix_sort_implINS0_14default_configELb0EPKhPhPKlPlN2at6native12_GLOBAL__N_18offset_tEEE10hipError_tPvRmT1_PNSt15iterator_traitsISY_E10value_typeET2_T3_PNSZ_IS14_E10value_typeET4_jRbjT5_S1A_jjP12ihipStream_tbEUljE_EEESV_SW_SX_S14_S18_S1A_T6_T7_T9_mT8_S1C_bDpT10_ENKUlT_T0_E_clISt17integral_constantIbLb0EES1O_IbLb1EEEEDaS1K_S1L_EUlS1K_E_NS1_11comp_targetILNS1_3genE8ELNS1_11target_archE1030ELNS1_3gpuE2ELNS1_3repE0EEENS1_30default_config_static_selectorELNS0_4arch9wavefront6targetE1EEEvSY_
		.amdhsa_group_segment_fixed_size 0
		.amdhsa_private_segment_fixed_size 0
		.amdhsa_kernarg_size 152
		.amdhsa_user_sgpr_count 6
		.amdhsa_user_sgpr_private_segment_buffer 1
		.amdhsa_user_sgpr_dispatch_ptr 0
		.amdhsa_user_sgpr_queue_ptr 0
		.amdhsa_user_sgpr_kernarg_segment_ptr 1
		.amdhsa_user_sgpr_dispatch_id 0
		.amdhsa_user_sgpr_flat_scratch_init 0
		.amdhsa_user_sgpr_private_segment_size 0
		.amdhsa_uses_dynamic_stack 0
		.amdhsa_system_sgpr_private_segment_wavefront_offset 0
		.amdhsa_system_sgpr_workgroup_id_x 1
		.amdhsa_system_sgpr_workgroup_id_y 0
		.amdhsa_system_sgpr_workgroup_id_z 0
		.amdhsa_system_sgpr_workgroup_info 0
		.amdhsa_system_vgpr_workitem_id 0
		.amdhsa_next_free_vgpr 1
		.amdhsa_next_free_sgpr 0
		.amdhsa_reserve_vcc 0
		.amdhsa_reserve_flat_scratch 0
		.amdhsa_float_round_mode_32 0
		.amdhsa_float_round_mode_16_64 0
		.amdhsa_float_denorm_mode_32 3
		.amdhsa_float_denorm_mode_16_64 3
		.amdhsa_dx10_clamp 1
		.amdhsa_ieee_mode 1
		.amdhsa_fp16_overflow 0
		.amdhsa_exception_fp_ieee_invalid_op 0
		.amdhsa_exception_fp_denorm_src 0
		.amdhsa_exception_fp_ieee_div_zero 0
		.amdhsa_exception_fp_ieee_overflow 0
		.amdhsa_exception_fp_ieee_underflow 0
		.amdhsa_exception_fp_ieee_inexact 0
		.amdhsa_exception_int_div_zero 0
	.end_amdhsa_kernel
	.section	.text._ZN7rocprim17ROCPRIM_400000_NS6detail17trampoline_kernelINS0_13select_configILj256ELj13ELNS0_17block_load_methodE3ELS4_3ELS4_3ELNS0_20block_scan_algorithmE0ELj4294967295EEENS1_25partition_config_selectorILNS1_17partition_subalgoE3EjNS0_10empty_typeEbEEZZNS1_14partition_implILS8_3ELb0ES6_jNS0_17counting_iteratorIjlEEPS9_SE_NS0_5tupleIJPjSE_EEENSF_IJSE_SE_EEES9_SG_JZNS1_25segmented_radix_sort_implINS0_14default_configELb0EPKhPhPKlPlN2at6native12_GLOBAL__N_18offset_tEEE10hipError_tPvRmT1_PNSt15iterator_traitsISY_E10value_typeET2_T3_PNSZ_IS14_E10value_typeET4_jRbjT5_S1A_jjP12ihipStream_tbEUljE_EEESV_SW_SX_S14_S18_S1A_T6_T7_T9_mT8_S1C_bDpT10_ENKUlT_T0_E_clISt17integral_constantIbLb0EES1O_IbLb1EEEEDaS1K_S1L_EUlS1K_E_NS1_11comp_targetILNS1_3genE8ELNS1_11target_archE1030ELNS1_3gpuE2ELNS1_3repE0EEENS1_30default_config_static_selectorELNS0_4arch9wavefront6targetE1EEEvSY_,"axG",@progbits,_ZN7rocprim17ROCPRIM_400000_NS6detail17trampoline_kernelINS0_13select_configILj256ELj13ELNS0_17block_load_methodE3ELS4_3ELS4_3ELNS0_20block_scan_algorithmE0ELj4294967295EEENS1_25partition_config_selectorILNS1_17partition_subalgoE3EjNS0_10empty_typeEbEEZZNS1_14partition_implILS8_3ELb0ES6_jNS0_17counting_iteratorIjlEEPS9_SE_NS0_5tupleIJPjSE_EEENSF_IJSE_SE_EEES9_SG_JZNS1_25segmented_radix_sort_implINS0_14default_configELb0EPKhPhPKlPlN2at6native12_GLOBAL__N_18offset_tEEE10hipError_tPvRmT1_PNSt15iterator_traitsISY_E10value_typeET2_T3_PNSZ_IS14_E10value_typeET4_jRbjT5_S1A_jjP12ihipStream_tbEUljE_EEESV_SW_SX_S14_S18_S1A_T6_T7_T9_mT8_S1C_bDpT10_ENKUlT_T0_E_clISt17integral_constantIbLb0EES1O_IbLb1EEEEDaS1K_S1L_EUlS1K_E_NS1_11comp_targetILNS1_3genE8ELNS1_11target_archE1030ELNS1_3gpuE2ELNS1_3repE0EEENS1_30default_config_static_selectorELNS0_4arch9wavefront6targetE1EEEvSY_,comdat
.Lfunc_end185:
	.size	_ZN7rocprim17ROCPRIM_400000_NS6detail17trampoline_kernelINS0_13select_configILj256ELj13ELNS0_17block_load_methodE3ELS4_3ELS4_3ELNS0_20block_scan_algorithmE0ELj4294967295EEENS1_25partition_config_selectorILNS1_17partition_subalgoE3EjNS0_10empty_typeEbEEZZNS1_14partition_implILS8_3ELb0ES6_jNS0_17counting_iteratorIjlEEPS9_SE_NS0_5tupleIJPjSE_EEENSF_IJSE_SE_EEES9_SG_JZNS1_25segmented_radix_sort_implINS0_14default_configELb0EPKhPhPKlPlN2at6native12_GLOBAL__N_18offset_tEEE10hipError_tPvRmT1_PNSt15iterator_traitsISY_E10value_typeET2_T3_PNSZ_IS14_E10value_typeET4_jRbjT5_S1A_jjP12ihipStream_tbEUljE_EEESV_SW_SX_S14_S18_S1A_T6_T7_T9_mT8_S1C_bDpT10_ENKUlT_T0_E_clISt17integral_constantIbLb0EES1O_IbLb1EEEEDaS1K_S1L_EUlS1K_E_NS1_11comp_targetILNS1_3genE8ELNS1_11target_archE1030ELNS1_3gpuE2ELNS1_3repE0EEENS1_30default_config_static_selectorELNS0_4arch9wavefront6targetE1EEEvSY_, .Lfunc_end185-_ZN7rocprim17ROCPRIM_400000_NS6detail17trampoline_kernelINS0_13select_configILj256ELj13ELNS0_17block_load_methodE3ELS4_3ELS4_3ELNS0_20block_scan_algorithmE0ELj4294967295EEENS1_25partition_config_selectorILNS1_17partition_subalgoE3EjNS0_10empty_typeEbEEZZNS1_14partition_implILS8_3ELb0ES6_jNS0_17counting_iteratorIjlEEPS9_SE_NS0_5tupleIJPjSE_EEENSF_IJSE_SE_EEES9_SG_JZNS1_25segmented_radix_sort_implINS0_14default_configELb0EPKhPhPKlPlN2at6native12_GLOBAL__N_18offset_tEEE10hipError_tPvRmT1_PNSt15iterator_traitsISY_E10value_typeET2_T3_PNSZ_IS14_E10value_typeET4_jRbjT5_S1A_jjP12ihipStream_tbEUljE_EEESV_SW_SX_S14_S18_S1A_T6_T7_T9_mT8_S1C_bDpT10_ENKUlT_T0_E_clISt17integral_constantIbLb0EES1O_IbLb1EEEEDaS1K_S1L_EUlS1K_E_NS1_11comp_targetILNS1_3genE8ELNS1_11target_archE1030ELNS1_3gpuE2ELNS1_3repE0EEENS1_30default_config_static_selectorELNS0_4arch9wavefront6targetE1EEEvSY_
                                        ; -- End function
	.set _ZN7rocprim17ROCPRIM_400000_NS6detail17trampoline_kernelINS0_13select_configILj256ELj13ELNS0_17block_load_methodE3ELS4_3ELS4_3ELNS0_20block_scan_algorithmE0ELj4294967295EEENS1_25partition_config_selectorILNS1_17partition_subalgoE3EjNS0_10empty_typeEbEEZZNS1_14partition_implILS8_3ELb0ES6_jNS0_17counting_iteratorIjlEEPS9_SE_NS0_5tupleIJPjSE_EEENSF_IJSE_SE_EEES9_SG_JZNS1_25segmented_radix_sort_implINS0_14default_configELb0EPKhPhPKlPlN2at6native12_GLOBAL__N_18offset_tEEE10hipError_tPvRmT1_PNSt15iterator_traitsISY_E10value_typeET2_T3_PNSZ_IS14_E10value_typeET4_jRbjT5_S1A_jjP12ihipStream_tbEUljE_EEESV_SW_SX_S14_S18_S1A_T6_T7_T9_mT8_S1C_bDpT10_ENKUlT_T0_E_clISt17integral_constantIbLb0EES1O_IbLb1EEEEDaS1K_S1L_EUlS1K_E_NS1_11comp_targetILNS1_3genE8ELNS1_11target_archE1030ELNS1_3gpuE2ELNS1_3repE0EEENS1_30default_config_static_selectorELNS0_4arch9wavefront6targetE1EEEvSY_.num_vgpr, 0
	.set _ZN7rocprim17ROCPRIM_400000_NS6detail17trampoline_kernelINS0_13select_configILj256ELj13ELNS0_17block_load_methodE3ELS4_3ELS4_3ELNS0_20block_scan_algorithmE0ELj4294967295EEENS1_25partition_config_selectorILNS1_17partition_subalgoE3EjNS0_10empty_typeEbEEZZNS1_14partition_implILS8_3ELb0ES6_jNS0_17counting_iteratorIjlEEPS9_SE_NS0_5tupleIJPjSE_EEENSF_IJSE_SE_EEES9_SG_JZNS1_25segmented_radix_sort_implINS0_14default_configELb0EPKhPhPKlPlN2at6native12_GLOBAL__N_18offset_tEEE10hipError_tPvRmT1_PNSt15iterator_traitsISY_E10value_typeET2_T3_PNSZ_IS14_E10value_typeET4_jRbjT5_S1A_jjP12ihipStream_tbEUljE_EEESV_SW_SX_S14_S18_S1A_T6_T7_T9_mT8_S1C_bDpT10_ENKUlT_T0_E_clISt17integral_constantIbLb0EES1O_IbLb1EEEEDaS1K_S1L_EUlS1K_E_NS1_11comp_targetILNS1_3genE8ELNS1_11target_archE1030ELNS1_3gpuE2ELNS1_3repE0EEENS1_30default_config_static_selectorELNS0_4arch9wavefront6targetE1EEEvSY_.num_agpr, 0
	.set _ZN7rocprim17ROCPRIM_400000_NS6detail17trampoline_kernelINS0_13select_configILj256ELj13ELNS0_17block_load_methodE3ELS4_3ELS4_3ELNS0_20block_scan_algorithmE0ELj4294967295EEENS1_25partition_config_selectorILNS1_17partition_subalgoE3EjNS0_10empty_typeEbEEZZNS1_14partition_implILS8_3ELb0ES6_jNS0_17counting_iteratorIjlEEPS9_SE_NS0_5tupleIJPjSE_EEENSF_IJSE_SE_EEES9_SG_JZNS1_25segmented_radix_sort_implINS0_14default_configELb0EPKhPhPKlPlN2at6native12_GLOBAL__N_18offset_tEEE10hipError_tPvRmT1_PNSt15iterator_traitsISY_E10value_typeET2_T3_PNSZ_IS14_E10value_typeET4_jRbjT5_S1A_jjP12ihipStream_tbEUljE_EEESV_SW_SX_S14_S18_S1A_T6_T7_T9_mT8_S1C_bDpT10_ENKUlT_T0_E_clISt17integral_constantIbLb0EES1O_IbLb1EEEEDaS1K_S1L_EUlS1K_E_NS1_11comp_targetILNS1_3genE8ELNS1_11target_archE1030ELNS1_3gpuE2ELNS1_3repE0EEENS1_30default_config_static_selectorELNS0_4arch9wavefront6targetE1EEEvSY_.numbered_sgpr, 0
	.set _ZN7rocprim17ROCPRIM_400000_NS6detail17trampoline_kernelINS0_13select_configILj256ELj13ELNS0_17block_load_methodE3ELS4_3ELS4_3ELNS0_20block_scan_algorithmE0ELj4294967295EEENS1_25partition_config_selectorILNS1_17partition_subalgoE3EjNS0_10empty_typeEbEEZZNS1_14partition_implILS8_3ELb0ES6_jNS0_17counting_iteratorIjlEEPS9_SE_NS0_5tupleIJPjSE_EEENSF_IJSE_SE_EEES9_SG_JZNS1_25segmented_radix_sort_implINS0_14default_configELb0EPKhPhPKlPlN2at6native12_GLOBAL__N_18offset_tEEE10hipError_tPvRmT1_PNSt15iterator_traitsISY_E10value_typeET2_T3_PNSZ_IS14_E10value_typeET4_jRbjT5_S1A_jjP12ihipStream_tbEUljE_EEESV_SW_SX_S14_S18_S1A_T6_T7_T9_mT8_S1C_bDpT10_ENKUlT_T0_E_clISt17integral_constantIbLb0EES1O_IbLb1EEEEDaS1K_S1L_EUlS1K_E_NS1_11comp_targetILNS1_3genE8ELNS1_11target_archE1030ELNS1_3gpuE2ELNS1_3repE0EEENS1_30default_config_static_selectorELNS0_4arch9wavefront6targetE1EEEvSY_.num_named_barrier, 0
	.set _ZN7rocprim17ROCPRIM_400000_NS6detail17trampoline_kernelINS0_13select_configILj256ELj13ELNS0_17block_load_methodE3ELS4_3ELS4_3ELNS0_20block_scan_algorithmE0ELj4294967295EEENS1_25partition_config_selectorILNS1_17partition_subalgoE3EjNS0_10empty_typeEbEEZZNS1_14partition_implILS8_3ELb0ES6_jNS0_17counting_iteratorIjlEEPS9_SE_NS0_5tupleIJPjSE_EEENSF_IJSE_SE_EEES9_SG_JZNS1_25segmented_radix_sort_implINS0_14default_configELb0EPKhPhPKlPlN2at6native12_GLOBAL__N_18offset_tEEE10hipError_tPvRmT1_PNSt15iterator_traitsISY_E10value_typeET2_T3_PNSZ_IS14_E10value_typeET4_jRbjT5_S1A_jjP12ihipStream_tbEUljE_EEESV_SW_SX_S14_S18_S1A_T6_T7_T9_mT8_S1C_bDpT10_ENKUlT_T0_E_clISt17integral_constantIbLb0EES1O_IbLb1EEEEDaS1K_S1L_EUlS1K_E_NS1_11comp_targetILNS1_3genE8ELNS1_11target_archE1030ELNS1_3gpuE2ELNS1_3repE0EEENS1_30default_config_static_selectorELNS0_4arch9wavefront6targetE1EEEvSY_.private_seg_size, 0
	.set _ZN7rocprim17ROCPRIM_400000_NS6detail17trampoline_kernelINS0_13select_configILj256ELj13ELNS0_17block_load_methodE3ELS4_3ELS4_3ELNS0_20block_scan_algorithmE0ELj4294967295EEENS1_25partition_config_selectorILNS1_17partition_subalgoE3EjNS0_10empty_typeEbEEZZNS1_14partition_implILS8_3ELb0ES6_jNS0_17counting_iteratorIjlEEPS9_SE_NS0_5tupleIJPjSE_EEENSF_IJSE_SE_EEES9_SG_JZNS1_25segmented_radix_sort_implINS0_14default_configELb0EPKhPhPKlPlN2at6native12_GLOBAL__N_18offset_tEEE10hipError_tPvRmT1_PNSt15iterator_traitsISY_E10value_typeET2_T3_PNSZ_IS14_E10value_typeET4_jRbjT5_S1A_jjP12ihipStream_tbEUljE_EEESV_SW_SX_S14_S18_S1A_T6_T7_T9_mT8_S1C_bDpT10_ENKUlT_T0_E_clISt17integral_constantIbLb0EES1O_IbLb1EEEEDaS1K_S1L_EUlS1K_E_NS1_11comp_targetILNS1_3genE8ELNS1_11target_archE1030ELNS1_3gpuE2ELNS1_3repE0EEENS1_30default_config_static_selectorELNS0_4arch9wavefront6targetE1EEEvSY_.uses_vcc, 0
	.set _ZN7rocprim17ROCPRIM_400000_NS6detail17trampoline_kernelINS0_13select_configILj256ELj13ELNS0_17block_load_methodE3ELS4_3ELS4_3ELNS0_20block_scan_algorithmE0ELj4294967295EEENS1_25partition_config_selectorILNS1_17partition_subalgoE3EjNS0_10empty_typeEbEEZZNS1_14partition_implILS8_3ELb0ES6_jNS0_17counting_iteratorIjlEEPS9_SE_NS0_5tupleIJPjSE_EEENSF_IJSE_SE_EEES9_SG_JZNS1_25segmented_radix_sort_implINS0_14default_configELb0EPKhPhPKlPlN2at6native12_GLOBAL__N_18offset_tEEE10hipError_tPvRmT1_PNSt15iterator_traitsISY_E10value_typeET2_T3_PNSZ_IS14_E10value_typeET4_jRbjT5_S1A_jjP12ihipStream_tbEUljE_EEESV_SW_SX_S14_S18_S1A_T6_T7_T9_mT8_S1C_bDpT10_ENKUlT_T0_E_clISt17integral_constantIbLb0EES1O_IbLb1EEEEDaS1K_S1L_EUlS1K_E_NS1_11comp_targetILNS1_3genE8ELNS1_11target_archE1030ELNS1_3gpuE2ELNS1_3repE0EEENS1_30default_config_static_selectorELNS0_4arch9wavefront6targetE1EEEvSY_.uses_flat_scratch, 0
	.set _ZN7rocprim17ROCPRIM_400000_NS6detail17trampoline_kernelINS0_13select_configILj256ELj13ELNS0_17block_load_methodE3ELS4_3ELS4_3ELNS0_20block_scan_algorithmE0ELj4294967295EEENS1_25partition_config_selectorILNS1_17partition_subalgoE3EjNS0_10empty_typeEbEEZZNS1_14partition_implILS8_3ELb0ES6_jNS0_17counting_iteratorIjlEEPS9_SE_NS0_5tupleIJPjSE_EEENSF_IJSE_SE_EEES9_SG_JZNS1_25segmented_radix_sort_implINS0_14default_configELb0EPKhPhPKlPlN2at6native12_GLOBAL__N_18offset_tEEE10hipError_tPvRmT1_PNSt15iterator_traitsISY_E10value_typeET2_T3_PNSZ_IS14_E10value_typeET4_jRbjT5_S1A_jjP12ihipStream_tbEUljE_EEESV_SW_SX_S14_S18_S1A_T6_T7_T9_mT8_S1C_bDpT10_ENKUlT_T0_E_clISt17integral_constantIbLb0EES1O_IbLb1EEEEDaS1K_S1L_EUlS1K_E_NS1_11comp_targetILNS1_3genE8ELNS1_11target_archE1030ELNS1_3gpuE2ELNS1_3repE0EEENS1_30default_config_static_selectorELNS0_4arch9wavefront6targetE1EEEvSY_.has_dyn_sized_stack, 0
	.set _ZN7rocprim17ROCPRIM_400000_NS6detail17trampoline_kernelINS0_13select_configILj256ELj13ELNS0_17block_load_methodE3ELS4_3ELS4_3ELNS0_20block_scan_algorithmE0ELj4294967295EEENS1_25partition_config_selectorILNS1_17partition_subalgoE3EjNS0_10empty_typeEbEEZZNS1_14partition_implILS8_3ELb0ES6_jNS0_17counting_iteratorIjlEEPS9_SE_NS0_5tupleIJPjSE_EEENSF_IJSE_SE_EEES9_SG_JZNS1_25segmented_radix_sort_implINS0_14default_configELb0EPKhPhPKlPlN2at6native12_GLOBAL__N_18offset_tEEE10hipError_tPvRmT1_PNSt15iterator_traitsISY_E10value_typeET2_T3_PNSZ_IS14_E10value_typeET4_jRbjT5_S1A_jjP12ihipStream_tbEUljE_EEESV_SW_SX_S14_S18_S1A_T6_T7_T9_mT8_S1C_bDpT10_ENKUlT_T0_E_clISt17integral_constantIbLb0EES1O_IbLb1EEEEDaS1K_S1L_EUlS1K_E_NS1_11comp_targetILNS1_3genE8ELNS1_11target_archE1030ELNS1_3gpuE2ELNS1_3repE0EEENS1_30default_config_static_selectorELNS0_4arch9wavefront6targetE1EEEvSY_.has_recursion, 0
	.set _ZN7rocprim17ROCPRIM_400000_NS6detail17trampoline_kernelINS0_13select_configILj256ELj13ELNS0_17block_load_methodE3ELS4_3ELS4_3ELNS0_20block_scan_algorithmE0ELj4294967295EEENS1_25partition_config_selectorILNS1_17partition_subalgoE3EjNS0_10empty_typeEbEEZZNS1_14partition_implILS8_3ELb0ES6_jNS0_17counting_iteratorIjlEEPS9_SE_NS0_5tupleIJPjSE_EEENSF_IJSE_SE_EEES9_SG_JZNS1_25segmented_radix_sort_implINS0_14default_configELb0EPKhPhPKlPlN2at6native12_GLOBAL__N_18offset_tEEE10hipError_tPvRmT1_PNSt15iterator_traitsISY_E10value_typeET2_T3_PNSZ_IS14_E10value_typeET4_jRbjT5_S1A_jjP12ihipStream_tbEUljE_EEESV_SW_SX_S14_S18_S1A_T6_T7_T9_mT8_S1C_bDpT10_ENKUlT_T0_E_clISt17integral_constantIbLb0EES1O_IbLb1EEEEDaS1K_S1L_EUlS1K_E_NS1_11comp_targetILNS1_3genE8ELNS1_11target_archE1030ELNS1_3gpuE2ELNS1_3repE0EEENS1_30default_config_static_selectorELNS0_4arch9wavefront6targetE1EEEvSY_.has_indirect_call, 0
	.section	.AMDGPU.csdata,"",@progbits
; Kernel info:
; codeLenInByte = 0
; TotalNumSgprs: 4
; NumVgprs: 0
; ScratchSize: 0
; MemoryBound: 0
; FloatMode: 240
; IeeeMode: 1
; LDSByteSize: 0 bytes/workgroup (compile time only)
; SGPRBlocks: 0
; VGPRBlocks: 0
; NumSGPRsForWavesPerEU: 4
; NumVGPRsForWavesPerEU: 1
; Occupancy: 10
; WaveLimiterHint : 0
; COMPUTE_PGM_RSRC2:SCRATCH_EN: 0
; COMPUTE_PGM_RSRC2:USER_SGPR: 6
; COMPUTE_PGM_RSRC2:TRAP_HANDLER: 0
; COMPUTE_PGM_RSRC2:TGID_X_EN: 1
; COMPUTE_PGM_RSRC2:TGID_Y_EN: 0
; COMPUTE_PGM_RSRC2:TGID_Z_EN: 0
; COMPUTE_PGM_RSRC2:TIDIG_COMP_CNT: 0
	.section	.text._ZN7rocprim17ROCPRIM_400000_NS6detail17trampoline_kernelINS0_14default_configENS1_36segmented_radix_sort_config_selectorIhlEEZNS1_25segmented_radix_sort_implIS3_Lb0EPKhPhPKlPlN2at6native12_GLOBAL__N_18offset_tEEE10hipError_tPvRmT1_PNSt15iterator_traitsISK_E10value_typeET2_T3_PNSL_ISQ_E10value_typeET4_jRbjT5_SW_jjP12ihipStream_tbEUlT_E_NS1_11comp_targetILNS1_3genE0ELNS1_11target_archE4294967295ELNS1_3gpuE0ELNS1_3repE0EEENS1_30default_config_static_selectorELNS0_4arch9wavefront6targetE1EEEvSK_,"axG",@progbits,_ZN7rocprim17ROCPRIM_400000_NS6detail17trampoline_kernelINS0_14default_configENS1_36segmented_radix_sort_config_selectorIhlEEZNS1_25segmented_radix_sort_implIS3_Lb0EPKhPhPKlPlN2at6native12_GLOBAL__N_18offset_tEEE10hipError_tPvRmT1_PNSt15iterator_traitsISK_E10value_typeET2_T3_PNSL_ISQ_E10value_typeET4_jRbjT5_SW_jjP12ihipStream_tbEUlT_E_NS1_11comp_targetILNS1_3genE0ELNS1_11target_archE4294967295ELNS1_3gpuE0ELNS1_3repE0EEENS1_30default_config_static_selectorELNS0_4arch9wavefront6targetE1EEEvSK_,comdat
	.globl	_ZN7rocprim17ROCPRIM_400000_NS6detail17trampoline_kernelINS0_14default_configENS1_36segmented_radix_sort_config_selectorIhlEEZNS1_25segmented_radix_sort_implIS3_Lb0EPKhPhPKlPlN2at6native12_GLOBAL__N_18offset_tEEE10hipError_tPvRmT1_PNSt15iterator_traitsISK_E10value_typeET2_T3_PNSL_ISQ_E10value_typeET4_jRbjT5_SW_jjP12ihipStream_tbEUlT_E_NS1_11comp_targetILNS1_3genE0ELNS1_11target_archE4294967295ELNS1_3gpuE0ELNS1_3repE0EEENS1_30default_config_static_selectorELNS0_4arch9wavefront6targetE1EEEvSK_ ; -- Begin function _ZN7rocprim17ROCPRIM_400000_NS6detail17trampoline_kernelINS0_14default_configENS1_36segmented_radix_sort_config_selectorIhlEEZNS1_25segmented_radix_sort_implIS3_Lb0EPKhPhPKlPlN2at6native12_GLOBAL__N_18offset_tEEE10hipError_tPvRmT1_PNSt15iterator_traitsISK_E10value_typeET2_T3_PNSL_ISQ_E10value_typeET4_jRbjT5_SW_jjP12ihipStream_tbEUlT_E_NS1_11comp_targetILNS1_3genE0ELNS1_11target_archE4294967295ELNS1_3gpuE0ELNS1_3repE0EEENS1_30default_config_static_selectorELNS0_4arch9wavefront6targetE1EEEvSK_
	.p2align	8
	.type	_ZN7rocprim17ROCPRIM_400000_NS6detail17trampoline_kernelINS0_14default_configENS1_36segmented_radix_sort_config_selectorIhlEEZNS1_25segmented_radix_sort_implIS3_Lb0EPKhPhPKlPlN2at6native12_GLOBAL__N_18offset_tEEE10hipError_tPvRmT1_PNSt15iterator_traitsISK_E10value_typeET2_T3_PNSL_ISQ_E10value_typeET4_jRbjT5_SW_jjP12ihipStream_tbEUlT_E_NS1_11comp_targetILNS1_3genE0ELNS1_11target_archE4294967295ELNS1_3gpuE0ELNS1_3repE0EEENS1_30default_config_static_selectorELNS0_4arch9wavefront6targetE1EEEvSK_,@function
_ZN7rocprim17ROCPRIM_400000_NS6detail17trampoline_kernelINS0_14default_configENS1_36segmented_radix_sort_config_selectorIhlEEZNS1_25segmented_radix_sort_implIS3_Lb0EPKhPhPKlPlN2at6native12_GLOBAL__N_18offset_tEEE10hipError_tPvRmT1_PNSt15iterator_traitsISK_E10value_typeET2_T3_PNSL_ISQ_E10value_typeET4_jRbjT5_SW_jjP12ihipStream_tbEUlT_E_NS1_11comp_targetILNS1_3genE0ELNS1_11target_archE4294967295ELNS1_3gpuE0ELNS1_3repE0EEENS1_30default_config_static_selectorELNS0_4arch9wavefront6targetE1EEEvSK_: ; @_ZN7rocprim17ROCPRIM_400000_NS6detail17trampoline_kernelINS0_14default_configENS1_36segmented_radix_sort_config_selectorIhlEEZNS1_25segmented_radix_sort_implIS3_Lb0EPKhPhPKlPlN2at6native12_GLOBAL__N_18offset_tEEE10hipError_tPvRmT1_PNSt15iterator_traitsISK_E10value_typeET2_T3_PNSL_ISQ_E10value_typeET4_jRbjT5_SW_jjP12ihipStream_tbEUlT_E_NS1_11comp_targetILNS1_3genE0ELNS1_11target_archE4294967295ELNS1_3gpuE0ELNS1_3repE0EEENS1_30default_config_static_selectorELNS0_4arch9wavefront6targetE1EEEvSK_
; %bb.0:
	.section	.rodata,"a",@progbits
	.p2align	6, 0x0
	.amdhsa_kernel _ZN7rocprim17ROCPRIM_400000_NS6detail17trampoline_kernelINS0_14default_configENS1_36segmented_radix_sort_config_selectorIhlEEZNS1_25segmented_radix_sort_implIS3_Lb0EPKhPhPKlPlN2at6native12_GLOBAL__N_18offset_tEEE10hipError_tPvRmT1_PNSt15iterator_traitsISK_E10value_typeET2_T3_PNSL_ISQ_E10value_typeET4_jRbjT5_SW_jjP12ihipStream_tbEUlT_E_NS1_11comp_targetILNS1_3genE0ELNS1_11target_archE4294967295ELNS1_3gpuE0ELNS1_3repE0EEENS1_30default_config_static_selectorELNS0_4arch9wavefront6targetE1EEEvSK_
		.amdhsa_group_segment_fixed_size 0
		.amdhsa_private_segment_fixed_size 0
		.amdhsa_kernarg_size 96
		.amdhsa_user_sgpr_count 6
		.amdhsa_user_sgpr_private_segment_buffer 1
		.amdhsa_user_sgpr_dispatch_ptr 0
		.amdhsa_user_sgpr_queue_ptr 0
		.amdhsa_user_sgpr_kernarg_segment_ptr 1
		.amdhsa_user_sgpr_dispatch_id 0
		.amdhsa_user_sgpr_flat_scratch_init 0
		.amdhsa_user_sgpr_private_segment_size 0
		.amdhsa_uses_dynamic_stack 0
		.amdhsa_system_sgpr_private_segment_wavefront_offset 0
		.amdhsa_system_sgpr_workgroup_id_x 1
		.amdhsa_system_sgpr_workgroup_id_y 0
		.amdhsa_system_sgpr_workgroup_id_z 0
		.amdhsa_system_sgpr_workgroup_info 0
		.amdhsa_system_vgpr_workitem_id 0
		.amdhsa_next_free_vgpr 1
		.amdhsa_next_free_sgpr 0
		.amdhsa_reserve_vcc 0
		.amdhsa_reserve_flat_scratch 0
		.amdhsa_float_round_mode_32 0
		.amdhsa_float_round_mode_16_64 0
		.amdhsa_float_denorm_mode_32 3
		.amdhsa_float_denorm_mode_16_64 3
		.amdhsa_dx10_clamp 1
		.amdhsa_ieee_mode 1
		.amdhsa_fp16_overflow 0
		.amdhsa_exception_fp_ieee_invalid_op 0
		.amdhsa_exception_fp_denorm_src 0
		.amdhsa_exception_fp_ieee_div_zero 0
		.amdhsa_exception_fp_ieee_overflow 0
		.amdhsa_exception_fp_ieee_underflow 0
		.amdhsa_exception_fp_ieee_inexact 0
		.amdhsa_exception_int_div_zero 0
	.end_amdhsa_kernel
	.section	.text._ZN7rocprim17ROCPRIM_400000_NS6detail17trampoline_kernelINS0_14default_configENS1_36segmented_radix_sort_config_selectorIhlEEZNS1_25segmented_radix_sort_implIS3_Lb0EPKhPhPKlPlN2at6native12_GLOBAL__N_18offset_tEEE10hipError_tPvRmT1_PNSt15iterator_traitsISK_E10value_typeET2_T3_PNSL_ISQ_E10value_typeET4_jRbjT5_SW_jjP12ihipStream_tbEUlT_E_NS1_11comp_targetILNS1_3genE0ELNS1_11target_archE4294967295ELNS1_3gpuE0ELNS1_3repE0EEENS1_30default_config_static_selectorELNS0_4arch9wavefront6targetE1EEEvSK_,"axG",@progbits,_ZN7rocprim17ROCPRIM_400000_NS6detail17trampoline_kernelINS0_14default_configENS1_36segmented_radix_sort_config_selectorIhlEEZNS1_25segmented_radix_sort_implIS3_Lb0EPKhPhPKlPlN2at6native12_GLOBAL__N_18offset_tEEE10hipError_tPvRmT1_PNSt15iterator_traitsISK_E10value_typeET2_T3_PNSL_ISQ_E10value_typeET4_jRbjT5_SW_jjP12ihipStream_tbEUlT_E_NS1_11comp_targetILNS1_3genE0ELNS1_11target_archE4294967295ELNS1_3gpuE0ELNS1_3repE0EEENS1_30default_config_static_selectorELNS0_4arch9wavefront6targetE1EEEvSK_,comdat
.Lfunc_end186:
	.size	_ZN7rocprim17ROCPRIM_400000_NS6detail17trampoline_kernelINS0_14default_configENS1_36segmented_radix_sort_config_selectorIhlEEZNS1_25segmented_radix_sort_implIS3_Lb0EPKhPhPKlPlN2at6native12_GLOBAL__N_18offset_tEEE10hipError_tPvRmT1_PNSt15iterator_traitsISK_E10value_typeET2_T3_PNSL_ISQ_E10value_typeET4_jRbjT5_SW_jjP12ihipStream_tbEUlT_E_NS1_11comp_targetILNS1_3genE0ELNS1_11target_archE4294967295ELNS1_3gpuE0ELNS1_3repE0EEENS1_30default_config_static_selectorELNS0_4arch9wavefront6targetE1EEEvSK_, .Lfunc_end186-_ZN7rocprim17ROCPRIM_400000_NS6detail17trampoline_kernelINS0_14default_configENS1_36segmented_radix_sort_config_selectorIhlEEZNS1_25segmented_radix_sort_implIS3_Lb0EPKhPhPKlPlN2at6native12_GLOBAL__N_18offset_tEEE10hipError_tPvRmT1_PNSt15iterator_traitsISK_E10value_typeET2_T3_PNSL_ISQ_E10value_typeET4_jRbjT5_SW_jjP12ihipStream_tbEUlT_E_NS1_11comp_targetILNS1_3genE0ELNS1_11target_archE4294967295ELNS1_3gpuE0ELNS1_3repE0EEENS1_30default_config_static_selectorELNS0_4arch9wavefront6targetE1EEEvSK_
                                        ; -- End function
	.set _ZN7rocprim17ROCPRIM_400000_NS6detail17trampoline_kernelINS0_14default_configENS1_36segmented_radix_sort_config_selectorIhlEEZNS1_25segmented_radix_sort_implIS3_Lb0EPKhPhPKlPlN2at6native12_GLOBAL__N_18offset_tEEE10hipError_tPvRmT1_PNSt15iterator_traitsISK_E10value_typeET2_T3_PNSL_ISQ_E10value_typeET4_jRbjT5_SW_jjP12ihipStream_tbEUlT_E_NS1_11comp_targetILNS1_3genE0ELNS1_11target_archE4294967295ELNS1_3gpuE0ELNS1_3repE0EEENS1_30default_config_static_selectorELNS0_4arch9wavefront6targetE1EEEvSK_.num_vgpr, 0
	.set _ZN7rocprim17ROCPRIM_400000_NS6detail17trampoline_kernelINS0_14default_configENS1_36segmented_radix_sort_config_selectorIhlEEZNS1_25segmented_radix_sort_implIS3_Lb0EPKhPhPKlPlN2at6native12_GLOBAL__N_18offset_tEEE10hipError_tPvRmT1_PNSt15iterator_traitsISK_E10value_typeET2_T3_PNSL_ISQ_E10value_typeET4_jRbjT5_SW_jjP12ihipStream_tbEUlT_E_NS1_11comp_targetILNS1_3genE0ELNS1_11target_archE4294967295ELNS1_3gpuE0ELNS1_3repE0EEENS1_30default_config_static_selectorELNS0_4arch9wavefront6targetE1EEEvSK_.num_agpr, 0
	.set _ZN7rocprim17ROCPRIM_400000_NS6detail17trampoline_kernelINS0_14default_configENS1_36segmented_radix_sort_config_selectorIhlEEZNS1_25segmented_radix_sort_implIS3_Lb0EPKhPhPKlPlN2at6native12_GLOBAL__N_18offset_tEEE10hipError_tPvRmT1_PNSt15iterator_traitsISK_E10value_typeET2_T3_PNSL_ISQ_E10value_typeET4_jRbjT5_SW_jjP12ihipStream_tbEUlT_E_NS1_11comp_targetILNS1_3genE0ELNS1_11target_archE4294967295ELNS1_3gpuE0ELNS1_3repE0EEENS1_30default_config_static_selectorELNS0_4arch9wavefront6targetE1EEEvSK_.numbered_sgpr, 0
	.set _ZN7rocprim17ROCPRIM_400000_NS6detail17trampoline_kernelINS0_14default_configENS1_36segmented_radix_sort_config_selectorIhlEEZNS1_25segmented_radix_sort_implIS3_Lb0EPKhPhPKlPlN2at6native12_GLOBAL__N_18offset_tEEE10hipError_tPvRmT1_PNSt15iterator_traitsISK_E10value_typeET2_T3_PNSL_ISQ_E10value_typeET4_jRbjT5_SW_jjP12ihipStream_tbEUlT_E_NS1_11comp_targetILNS1_3genE0ELNS1_11target_archE4294967295ELNS1_3gpuE0ELNS1_3repE0EEENS1_30default_config_static_selectorELNS0_4arch9wavefront6targetE1EEEvSK_.num_named_barrier, 0
	.set _ZN7rocprim17ROCPRIM_400000_NS6detail17trampoline_kernelINS0_14default_configENS1_36segmented_radix_sort_config_selectorIhlEEZNS1_25segmented_radix_sort_implIS3_Lb0EPKhPhPKlPlN2at6native12_GLOBAL__N_18offset_tEEE10hipError_tPvRmT1_PNSt15iterator_traitsISK_E10value_typeET2_T3_PNSL_ISQ_E10value_typeET4_jRbjT5_SW_jjP12ihipStream_tbEUlT_E_NS1_11comp_targetILNS1_3genE0ELNS1_11target_archE4294967295ELNS1_3gpuE0ELNS1_3repE0EEENS1_30default_config_static_selectorELNS0_4arch9wavefront6targetE1EEEvSK_.private_seg_size, 0
	.set _ZN7rocprim17ROCPRIM_400000_NS6detail17trampoline_kernelINS0_14default_configENS1_36segmented_radix_sort_config_selectorIhlEEZNS1_25segmented_radix_sort_implIS3_Lb0EPKhPhPKlPlN2at6native12_GLOBAL__N_18offset_tEEE10hipError_tPvRmT1_PNSt15iterator_traitsISK_E10value_typeET2_T3_PNSL_ISQ_E10value_typeET4_jRbjT5_SW_jjP12ihipStream_tbEUlT_E_NS1_11comp_targetILNS1_3genE0ELNS1_11target_archE4294967295ELNS1_3gpuE0ELNS1_3repE0EEENS1_30default_config_static_selectorELNS0_4arch9wavefront6targetE1EEEvSK_.uses_vcc, 0
	.set _ZN7rocprim17ROCPRIM_400000_NS6detail17trampoline_kernelINS0_14default_configENS1_36segmented_radix_sort_config_selectorIhlEEZNS1_25segmented_radix_sort_implIS3_Lb0EPKhPhPKlPlN2at6native12_GLOBAL__N_18offset_tEEE10hipError_tPvRmT1_PNSt15iterator_traitsISK_E10value_typeET2_T3_PNSL_ISQ_E10value_typeET4_jRbjT5_SW_jjP12ihipStream_tbEUlT_E_NS1_11comp_targetILNS1_3genE0ELNS1_11target_archE4294967295ELNS1_3gpuE0ELNS1_3repE0EEENS1_30default_config_static_selectorELNS0_4arch9wavefront6targetE1EEEvSK_.uses_flat_scratch, 0
	.set _ZN7rocprim17ROCPRIM_400000_NS6detail17trampoline_kernelINS0_14default_configENS1_36segmented_radix_sort_config_selectorIhlEEZNS1_25segmented_radix_sort_implIS3_Lb0EPKhPhPKlPlN2at6native12_GLOBAL__N_18offset_tEEE10hipError_tPvRmT1_PNSt15iterator_traitsISK_E10value_typeET2_T3_PNSL_ISQ_E10value_typeET4_jRbjT5_SW_jjP12ihipStream_tbEUlT_E_NS1_11comp_targetILNS1_3genE0ELNS1_11target_archE4294967295ELNS1_3gpuE0ELNS1_3repE0EEENS1_30default_config_static_selectorELNS0_4arch9wavefront6targetE1EEEvSK_.has_dyn_sized_stack, 0
	.set _ZN7rocprim17ROCPRIM_400000_NS6detail17trampoline_kernelINS0_14default_configENS1_36segmented_radix_sort_config_selectorIhlEEZNS1_25segmented_radix_sort_implIS3_Lb0EPKhPhPKlPlN2at6native12_GLOBAL__N_18offset_tEEE10hipError_tPvRmT1_PNSt15iterator_traitsISK_E10value_typeET2_T3_PNSL_ISQ_E10value_typeET4_jRbjT5_SW_jjP12ihipStream_tbEUlT_E_NS1_11comp_targetILNS1_3genE0ELNS1_11target_archE4294967295ELNS1_3gpuE0ELNS1_3repE0EEENS1_30default_config_static_selectorELNS0_4arch9wavefront6targetE1EEEvSK_.has_recursion, 0
	.set _ZN7rocprim17ROCPRIM_400000_NS6detail17trampoline_kernelINS0_14default_configENS1_36segmented_radix_sort_config_selectorIhlEEZNS1_25segmented_radix_sort_implIS3_Lb0EPKhPhPKlPlN2at6native12_GLOBAL__N_18offset_tEEE10hipError_tPvRmT1_PNSt15iterator_traitsISK_E10value_typeET2_T3_PNSL_ISQ_E10value_typeET4_jRbjT5_SW_jjP12ihipStream_tbEUlT_E_NS1_11comp_targetILNS1_3genE0ELNS1_11target_archE4294967295ELNS1_3gpuE0ELNS1_3repE0EEENS1_30default_config_static_selectorELNS0_4arch9wavefront6targetE1EEEvSK_.has_indirect_call, 0
	.section	.AMDGPU.csdata,"",@progbits
; Kernel info:
; codeLenInByte = 0
; TotalNumSgprs: 4
; NumVgprs: 0
; ScratchSize: 0
; MemoryBound: 0
; FloatMode: 240
; IeeeMode: 1
; LDSByteSize: 0 bytes/workgroup (compile time only)
; SGPRBlocks: 0
; VGPRBlocks: 0
; NumSGPRsForWavesPerEU: 4
; NumVGPRsForWavesPerEU: 1
; Occupancy: 10
; WaveLimiterHint : 0
; COMPUTE_PGM_RSRC2:SCRATCH_EN: 0
; COMPUTE_PGM_RSRC2:USER_SGPR: 6
; COMPUTE_PGM_RSRC2:TRAP_HANDLER: 0
; COMPUTE_PGM_RSRC2:TGID_X_EN: 1
; COMPUTE_PGM_RSRC2:TGID_Y_EN: 0
; COMPUTE_PGM_RSRC2:TGID_Z_EN: 0
; COMPUTE_PGM_RSRC2:TIDIG_COMP_CNT: 0
	.section	.text._ZN7rocprim17ROCPRIM_400000_NS6detail17trampoline_kernelINS0_14default_configENS1_36segmented_radix_sort_config_selectorIhlEEZNS1_25segmented_radix_sort_implIS3_Lb0EPKhPhPKlPlN2at6native12_GLOBAL__N_18offset_tEEE10hipError_tPvRmT1_PNSt15iterator_traitsISK_E10value_typeET2_T3_PNSL_ISQ_E10value_typeET4_jRbjT5_SW_jjP12ihipStream_tbEUlT_E_NS1_11comp_targetILNS1_3genE5ELNS1_11target_archE942ELNS1_3gpuE9ELNS1_3repE0EEENS1_30default_config_static_selectorELNS0_4arch9wavefront6targetE1EEEvSK_,"axG",@progbits,_ZN7rocprim17ROCPRIM_400000_NS6detail17trampoline_kernelINS0_14default_configENS1_36segmented_radix_sort_config_selectorIhlEEZNS1_25segmented_radix_sort_implIS3_Lb0EPKhPhPKlPlN2at6native12_GLOBAL__N_18offset_tEEE10hipError_tPvRmT1_PNSt15iterator_traitsISK_E10value_typeET2_T3_PNSL_ISQ_E10value_typeET4_jRbjT5_SW_jjP12ihipStream_tbEUlT_E_NS1_11comp_targetILNS1_3genE5ELNS1_11target_archE942ELNS1_3gpuE9ELNS1_3repE0EEENS1_30default_config_static_selectorELNS0_4arch9wavefront6targetE1EEEvSK_,comdat
	.globl	_ZN7rocprim17ROCPRIM_400000_NS6detail17trampoline_kernelINS0_14default_configENS1_36segmented_radix_sort_config_selectorIhlEEZNS1_25segmented_radix_sort_implIS3_Lb0EPKhPhPKlPlN2at6native12_GLOBAL__N_18offset_tEEE10hipError_tPvRmT1_PNSt15iterator_traitsISK_E10value_typeET2_T3_PNSL_ISQ_E10value_typeET4_jRbjT5_SW_jjP12ihipStream_tbEUlT_E_NS1_11comp_targetILNS1_3genE5ELNS1_11target_archE942ELNS1_3gpuE9ELNS1_3repE0EEENS1_30default_config_static_selectorELNS0_4arch9wavefront6targetE1EEEvSK_ ; -- Begin function _ZN7rocprim17ROCPRIM_400000_NS6detail17trampoline_kernelINS0_14default_configENS1_36segmented_radix_sort_config_selectorIhlEEZNS1_25segmented_radix_sort_implIS3_Lb0EPKhPhPKlPlN2at6native12_GLOBAL__N_18offset_tEEE10hipError_tPvRmT1_PNSt15iterator_traitsISK_E10value_typeET2_T3_PNSL_ISQ_E10value_typeET4_jRbjT5_SW_jjP12ihipStream_tbEUlT_E_NS1_11comp_targetILNS1_3genE5ELNS1_11target_archE942ELNS1_3gpuE9ELNS1_3repE0EEENS1_30default_config_static_selectorELNS0_4arch9wavefront6targetE1EEEvSK_
	.p2align	8
	.type	_ZN7rocprim17ROCPRIM_400000_NS6detail17trampoline_kernelINS0_14default_configENS1_36segmented_radix_sort_config_selectorIhlEEZNS1_25segmented_radix_sort_implIS3_Lb0EPKhPhPKlPlN2at6native12_GLOBAL__N_18offset_tEEE10hipError_tPvRmT1_PNSt15iterator_traitsISK_E10value_typeET2_T3_PNSL_ISQ_E10value_typeET4_jRbjT5_SW_jjP12ihipStream_tbEUlT_E_NS1_11comp_targetILNS1_3genE5ELNS1_11target_archE942ELNS1_3gpuE9ELNS1_3repE0EEENS1_30default_config_static_selectorELNS0_4arch9wavefront6targetE1EEEvSK_,@function
_ZN7rocprim17ROCPRIM_400000_NS6detail17trampoline_kernelINS0_14default_configENS1_36segmented_radix_sort_config_selectorIhlEEZNS1_25segmented_radix_sort_implIS3_Lb0EPKhPhPKlPlN2at6native12_GLOBAL__N_18offset_tEEE10hipError_tPvRmT1_PNSt15iterator_traitsISK_E10value_typeET2_T3_PNSL_ISQ_E10value_typeET4_jRbjT5_SW_jjP12ihipStream_tbEUlT_E_NS1_11comp_targetILNS1_3genE5ELNS1_11target_archE942ELNS1_3gpuE9ELNS1_3repE0EEENS1_30default_config_static_selectorELNS0_4arch9wavefront6targetE1EEEvSK_: ; @_ZN7rocprim17ROCPRIM_400000_NS6detail17trampoline_kernelINS0_14default_configENS1_36segmented_radix_sort_config_selectorIhlEEZNS1_25segmented_radix_sort_implIS3_Lb0EPKhPhPKlPlN2at6native12_GLOBAL__N_18offset_tEEE10hipError_tPvRmT1_PNSt15iterator_traitsISK_E10value_typeET2_T3_PNSL_ISQ_E10value_typeET4_jRbjT5_SW_jjP12ihipStream_tbEUlT_E_NS1_11comp_targetILNS1_3genE5ELNS1_11target_archE942ELNS1_3gpuE9ELNS1_3repE0EEENS1_30default_config_static_selectorELNS0_4arch9wavefront6targetE1EEEvSK_
; %bb.0:
	.section	.rodata,"a",@progbits
	.p2align	6, 0x0
	.amdhsa_kernel _ZN7rocprim17ROCPRIM_400000_NS6detail17trampoline_kernelINS0_14default_configENS1_36segmented_radix_sort_config_selectorIhlEEZNS1_25segmented_radix_sort_implIS3_Lb0EPKhPhPKlPlN2at6native12_GLOBAL__N_18offset_tEEE10hipError_tPvRmT1_PNSt15iterator_traitsISK_E10value_typeET2_T3_PNSL_ISQ_E10value_typeET4_jRbjT5_SW_jjP12ihipStream_tbEUlT_E_NS1_11comp_targetILNS1_3genE5ELNS1_11target_archE942ELNS1_3gpuE9ELNS1_3repE0EEENS1_30default_config_static_selectorELNS0_4arch9wavefront6targetE1EEEvSK_
		.amdhsa_group_segment_fixed_size 0
		.amdhsa_private_segment_fixed_size 0
		.amdhsa_kernarg_size 96
		.amdhsa_user_sgpr_count 6
		.amdhsa_user_sgpr_private_segment_buffer 1
		.amdhsa_user_sgpr_dispatch_ptr 0
		.amdhsa_user_sgpr_queue_ptr 0
		.amdhsa_user_sgpr_kernarg_segment_ptr 1
		.amdhsa_user_sgpr_dispatch_id 0
		.amdhsa_user_sgpr_flat_scratch_init 0
		.amdhsa_user_sgpr_private_segment_size 0
		.amdhsa_uses_dynamic_stack 0
		.amdhsa_system_sgpr_private_segment_wavefront_offset 0
		.amdhsa_system_sgpr_workgroup_id_x 1
		.amdhsa_system_sgpr_workgroup_id_y 0
		.amdhsa_system_sgpr_workgroup_id_z 0
		.amdhsa_system_sgpr_workgroup_info 0
		.amdhsa_system_vgpr_workitem_id 0
		.amdhsa_next_free_vgpr 1
		.amdhsa_next_free_sgpr 0
		.amdhsa_reserve_vcc 0
		.amdhsa_reserve_flat_scratch 0
		.amdhsa_float_round_mode_32 0
		.amdhsa_float_round_mode_16_64 0
		.amdhsa_float_denorm_mode_32 3
		.amdhsa_float_denorm_mode_16_64 3
		.amdhsa_dx10_clamp 1
		.amdhsa_ieee_mode 1
		.amdhsa_fp16_overflow 0
		.amdhsa_exception_fp_ieee_invalid_op 0
		.amdhsa_exception_fp_denorm_src 0
		.amdhsa_exception_fp_ieee_div_zero 0
		.amdhsa_exception_fp_ieee_overflow 0
		.amdhsa_exception_fp_ieee_underflow 0
		.amdhsa_exception_fp_ieee_inexact 0
		.amdhsa_exception_int_div_zero 0
	.end_amdhsa_kernel
	.section	.text._ZN7rocprim17ROCPRIM_400000_NS6detail17trampoline_kernelINS0_14default_configENS1_36segmented_radix_sort_config_selectorIhlEEZNS1_25segmented_radix_sort_implIS3_Lb0EPKhPhPKlPlN2at6native12_GLOBAL__N_18offset_tEEE10hipError_tPvRmT1_PNSt15iterator_traitsISK_E10value_typeET2_T3_PNSL_ISQ_E10value_typeET4_jRbjT5_SW_jjP12ihipStream_tbEUlT_E_NS1_11comp_targetILNS1_3genE5ELNS1_11target_archE942ELNS1_3gpuE9ELNS1_3repE0EEENS1_30default_config_static_selectorELNS0_4arch9wavefront6targetE1EEEvSK_,"axG",@progbits,_ZN7rocprim17ROCPRIM_400000_NS6detail17trampoline_kernelINS0_14default_configENS1_36segmented_radix_sort_config_selectorIhlEEZNS1_25segmented_radix_sort_implIS3_Lb0EPKhPhPKlPlN2at6native12_GLOBAL__N_18offset_tEEE10hipError_tPvRmT1_PNSt15iterator_traitsISK_E10value_typeET2_T3_PNSL_ISQ_E10value_typeET4_jRbjT5_SW_jjP12ihipStream_tbEUlT_E_NS1_11comp_targetILNS1_3genE5ELNS1_11target_archE942ELNS1_3gpuE9ELNS1_3repE0EEENS1_30default_config_static_selectorELNS0_4arch9wavefront6targetE1EEEvSK_,comdat
.Lfunc_end187:
	.size	_ZN7rocprim17ROCPRIM_400000_NS6detail17trampoline_kernelINS0_14default_configENS1_36segmented_radix_sort_config_selectorIhlEEZNS1_25segmented_radix_sort_implIS3_Lb0EPKhPhPKlPlN2at6native12_GLOBAL__N_18offset_tEEE10hipError_tPvRmT1_PNSt15iterator_traitsISK_E10value_typeET2_T3_PNSL_ISQ_E10value_typeET4_jRbjT5_SW_jjP12ihipStream_tbEUlT_E_NS1_11comp_targetILNS1_3genE5ELNS1_11target_archE942ELNS1_3gpuE9ELNS1_3repE0EEENS1_30default_config_static_selectorELNS0_4arch9wavefront6targetE1EEEvSK_, .Lfunc_end187-_ZN7rocprim17ROCPRIM_400000_NS6detail17trampoline_kernelINS0_14default_configENS1_36segmented_radix_sort_config_selectorIhlEEZNS1_25segmented_radix_sort_implIS3_Lb0EPKhPhPKlPlN2at6native12_GLOBAL__N_18offset_tEEE10hipError_tPvRmT1_PNSt15iterator_traitsISK_E10value_typeET2_T3_PNSL_ISQ_E10value_typeET4_jRbjT5_SW_jjP12ihipStream_tbEUlT_E_NS1_11comp_targetILNS1_3genE5ELNS1_11target_archE942ELNS1_3gpuE9ELNS1_3repE0EEENS1_30default_config_static_selectorELNS0_4arch9wavefront6targetE1EEEvSK_
                                        ; -- End function
	.set _ZN7rocprim17ROCPRIM_400000_NS6detail17trampoline_kernelINS0_14default_configENS1_36segmented_radix_sort_config_selectorIhlEEZNS1_25segmented_radix_sort_implIS3_Lb0EPKhPhPKlPlN2at6native12_GLOBAL__N_18offset_tEEE10hipError_tPvRmT1_PNSt15iterator_traitsISK_E10value_typeET2_T3_PNSL_ISQ_E10value_typeET4_jRbjT5_SW_jjP12ihipStream_tbEUlT_E_NS1_11comp_targetILNS1_3genE5ELNS1_11target_archE942ELNS1_3gpuE9ELNS1_3repE0EEENS1_30default_config_static_selectorELNS0_4arch9wavefront6targetE1EEEvSK_.num_vgpr, 0
	.set _ZN7rocprim17ROCPRIM_400000_NS6detail17trampoline_kernelINS0_14default_configENS1_36segmented_radix_sort_config_selectorIhlEEZNS1_25segmented_radix_sort_implIS3_Lb0EPKhPhPKlPlN2at6native12_GLOBAL__N_18offset_tEEE10hipError_tPvRmT1_PNSt15iterator_traitsISK_E10value_typeET2_T3_PNSL_ISQ_E10value_typeET4_jRbjT5_SW_jjP12ihipStream_tbEUlT_E_NS1_11comp_targetILNS1_3genE5ELNS1_11target_archE942ELNS1_3gpuE9ELNS1_3repE0EEENS1_30default_config_static_selectorELNS0_4arch9wavefront6targetE1EEEvSK_.num_agpr, 0
	.set _ZN7rocprim17ROCPRIM_400000_NS6detail17trampoline_kernelINS0_14default_configENS1_36segmented_radix_sort_config_selectorIhlEEZNS1_25segmented_radix_sort_implIS3_Lb0EPKhPhPKlPlN2at6native12_GLOBAL__N_18offset_tEEE10hipError_tPvRmT1_PNSt15iterator_traitsISK_E10value_typeET2_T3_PNSL_ISQ_E10value_typeET4_jRbjT5_SW_jjP12ihipStream_tbEUlT_E_NS1_11comp_targetILNS1_3genE5ELNS1_11target_archE942ELNS1_3gpuE9ELNS1_3repE0EEENS1_30default_config_static_selectorELNS0_4arch9wavefront6targetE1EEEvSK_.numbered_sgpr, 0
	.set _ZN7rocprim17ROCPRIM_400000_NS6detail17trampoline_kernelINS0_14default_configENS1_36segmented_radix_sort_config_selectorIhlEEZNS1_25segmented_radix_sort_implIS3_Lb0EPKhPhPKlPlN2at6native12_GLOBAL__N_18offset_tEEE10hipError_tPvRmT1_PNSt15iterator_traitsISK_E10value_typeET2_T3_PNSL_ISQ_E10value_typeET4_jRbjT5_SW_jjP12ihipStream_tbEUlT_E_NS1_11comp_targetILNS1_3genE5ELNS1_11target_archE942ELNS1_3gpuE9ELNS1_3repE0EEENS1_30default_config_static_selectorELNS0_4arch9wavefront6targetE1EEEvSK_.num_named_barrier, 0
	.set _ZN7rocprim17ROCPRIM_400000_NS6detail17trampoline_kernelINS0_14default_configENS1_36segmented_radix_sort_config_selectorIhlEEZNS1_25segmented_radix_sort_implIS3_Lb0EPKhPhPKlPlN2at6native12_GLOBAL__N_18offset_tEEE10hipError_tPvRmT1_PNSt15iterator_traitsISK_E10value_typeET2_T3_PNSL_ISQ_E10value_typeET4_jRbjT5_SW_jjP12ihipStream_tbEUlT_E_NS1_11comp_targetILNS1_3genE5ELNS1_11target_archE942ELNS1_3gpuE9ELNS1_3repE0EEENS1_30default_config_static_selectorELNS0_4arch9wavefront6targetE1EEEvSK_.private_seg_size, 0
	.set _ZN7rocprim17ROCPRIM_400000_NS6detail17trampoline_kernelINS0_14default_configENS1_36segmented_radix_sort_config_selectorIhlEEZNS1_25segmented_radix_sort_implIS3_Lb0EPKhPhPKlPlN2at6native12_GLOBAL__N_18offset_tEEE10hipError_tPvRmT1_PNSt15iterator_traitsISK_E10value_typeET2_T3_PNSL_ISQ_E10value_typeET4_jRbjT5_SW_jjP12ihipStream_tbEUlT_E_NS1_11comp_targetILNS1_3genE5ELNS1_11target_archE942ELNS1_3gpuE9ELNS1_3repE0EEENS1_30default_config_static_selectorELNS0_4arch9wavefront6targetE1EEEvSK_.uses_vcc, 0
	.set _ZN7rocprim17ROCPRIM_400000_NS6detail17trampoline_kernelINS0_14default_configENS1_36segmented_radix_sort_config_selectorIhlEEZNS1_25segmented_radix_sort_implIS3_Lb0EPKhPhPKlPlN2at6native12_GLOBAL__N_18offset_tEEE10hipError_tPvRmT1_PNSt15iterator_traitsISK_E10value_typeET2_T3_PNSL_ISQ_E10value_typeET4_jRbjT5_SW_jjP12ihipStream_tbEUlT_E_NS1_11comp_targetILNS1_3genE5ELNS1_11target_archE942ELNS1_3gpuE9ELNS1_3repE0EEENS1_30default_config_static_selectorELNS0_4arch9wavefront6targetE1EEEvSK_.uses_flat_scratch, 0
	.set _ZN7rocprim17ROCPRIM_400000_NS6detail17trampoline_kernelINS0_14default_configENS1_36segmented_radix_sort_config_selectorIhlEEZNS1_25segmented_radix_sort_implIS3_Lb0EPKhPhPKlPlN2at6native12_GLOBAL__N_18offset_tEEE10hipError_tPvRmT1_PNSt15iterator_traitsISK_E10value_typeET2_T3_PNSL_ISQ_E10value_typeET4_jRbjT5_SW_jjP12ihipStream_tbEUlT_E_NS1_11comp_targetILNS1_3genE5ELNS1_11target_archE942ELNS1_3gpuE9ELNS1_3repE0EEENS1_30default_config_static_selectorELNS0_4arch9wavefront6targetE1EEEvSK_.has_dyn_sized_stack, 0
	.set _ZN7rocprim17ROCPRIM_400000_NS6detail17trampoline_kernelINS0_14default_configENS1_36segmented_radix_sort_config_selectorIhlEEZNS1_25segmented_radix_sort_implIS3_Lb0EPKhPhPKlPlN2at6native12_GLOBAL__N_18offset_tEEE10hipError_tPvRmT1_PNSt15iterator_traitsISK_E10value_typeET2_T3_PNSL_ISQ_E10value_typeET4_jRbjT5_SW_jjP12ihipStream_tbEUlT_E_NS1_11comp_targetILNS1_3genE5ELNS1_11target_archE942ELNS1_3gpuE9ELNS1_3repE0EEENS1_30default_config_static_selectorELNS0_4arch9wavefront6targetE1EEEvSK_.has_recursion, 0
	.set _ZN7rocprim17ROCPRIM_400000_NS6detail17trampoline_kernelINS0_14default_configENS1_36segmented_radix_sort_config_selectorIhlEEZNS1_25segmented_radix_sort_implIS3_Lb0EPKhPhPKlPlN2at6native12_GLOBAL__N_18offset_tEEE10hipError_tPvRmT1_PNSt15iterator_traitsISK_E10value_typeET2_T3_PNSL_ISQ_E10value_typeET4_jRbjT5_SW_jjP12ihipStream_tbEUlT_E_NS1_11comp_targetILNS1_3genE5ELNS1_11target_archE942ELNS1_3gpuE9ELNS1_3repE0EEENS1_30default_config_static_selectorELNS0_4arch9wavefront6targetE1EEEvSK_.has_indirect_call, 0
	.section	.AMDGPU.csdata,"",@progbits
; Kernel info:
; codeLenInByte = 0
; TotalNumSgprs: 4
; NumVgprs: 0
; ScratchSize: 0
; MemoryBound: 0
; FloatMode: 240
; IeeeMode: 1
; LDSByteSize: 0 bytes/workgroup (compile time only)
; SGPRBlocks: 0
; VGPRBlocks: 0
; NumSGPRsForWavesPerEU: 4
; NumVGPRsForWavesPerEU: 1
; Occupancy: 10
; WaveLimiterHint : 0
; COMPUTE_PGM_RSRC2:SCRATCH_EN: 0
; COMPUTE_PGM_RSRC2:USER_SGPR: 6
; COMPUTE_PGM_RSRC2:TRAP_HANDLER: 0
; COMPUTE_PGM_RSRC2:TGID_X_EN: 1
; COMPUTE_PGM_RSRC2:TGID_Y_EN: 0
; COMPUTE_PGM_RSRC2:TGID_Z_EN: 0
; COMPUTE_PGM_RSRC2:TIDIG_COMP_CNT: 0
	.section	.text._ZN7rocprim17ROCPRIM_400000_NS6detail17trampoline_kernelINS0_14default_configENS1_36segmented_radix_sort_config_selectorIhlEEZNS1_25segmented_radix_sort_implIS3_Lb0EPKhPhPKlPlN2at6native12_GLOBAL__N_18offset_tEEE10hipError_tPvRmT1_PNSt15iterator_traitsISK_E10value_typeET2_T3_PNSL_ISQ_E10value_typeET4_jRbjT5_SW_jjP12ihipStream_tbEUlT_E_NS1_11comp_targetILNS1_3genE4ELNS1_11target_archE910ELNS1_3gpuE8ELNS1_3repE0EEENS1_30default_config_static_selectorELNS0_4arch9wavefront6targetE1EEEvSK_,"axG",@progbits,_ZN7rocprim17ROCPRIM_400000_NS6detail17trampoline_kernelINS0_14default_configENS1_36segmented_radix_sort_config_selectorIhlEEZNS1_25segmented_radix_sort_implIS3_Lb0EPKhPhPKlPlN2at6native12_GLOBAL__N_18offset_tEEE10hipError_tPvRmT1_PNSt15iterator_traitsISK_E10value_typeET2_T3_PNSL_ISQ_E10value_typeET4_jRbjT5_SW_jjP12ihipStream_tbEUlT_E_NS1_11comp_targetILNS1_3genE4ELNS1_11target_archE910ELNS1_3gpuE8ELNS1_3repE0EEENS1_30default_config_static_selectorELNS0_4arch9wavefront6targetE1EEEvSK_,comdat
	.globl	_ZN7rocprim17ROCPRIM_400000_NS6detail17trampoline_kernelINS0_14default_configENS1_36segmented_radix_sort_config_selectorIhlEEZNS1_25segmented_radix_sort_implIS3_Lb0EPKhPhPKlPlN2at6native12_GLOBAL__N_18offset_tEEE10hipError_tPvRmT1_PNSt15iterator_traitsISK_E10value_typeET2_T3_PNSL_ISQ_E10value_typeET4_jRbjT5_SW_jjP12ihipStream_tbEUlT_E_NS1_11comp_targetILNS1_3genE4ELNS1_11target_archE910ELNS1_3gpuE8ELNS1_3repE0EEENS1_30default_config_static_selectorELNS0_4arch9wavefront6targetE1EEEvSK_ ; -- Begin function _ZN7rocprim17ROCPRIM_400000_NS6detail17trampoline_kernelINS0_14default_configENS1_36segmented_radix_sort_config_selectorIhlEEZNS1_25segmented_radix_sort_implIS3_Lb0EPKhPhPKlPlN2at6native12_GLOBAL__N_18offset_tEEE10hipError_tPvRmT1_PNSt15iterator_traitsISK_E10value_typeET2_T3_PNSL_ISQ_E10value_typeET4_jRbjT5_SW_jjP12ihipStream_tbEUlT_E_NS1_11comp_targetILNS1_3genE4ELNS1_11target_archE910ELNS1_3gpuE8ELNS1_3repE0EEENS1_30default_config_static_selectorELNS0_4arch9wavefront6targetE1EEEvSK_
	.p2align	8
	.type	_ZN7rocprim17ROCPRIM_400000_NS6detail17trampoline_kernelINS0_14default_configENS1_36segmented_radix_sort_config_selectorIhlEEZNS1_25segmented_radix_sort_implIS3_Lb0EPKhPhPKlPlN2at6native12_GLOBAL__N_18offset_tEEE10hipError_tPvRmT1_PNSt15iterator_traitsISK_E10value_typeET2_T3_PNSL_ISQ_E10value_typeET4_jRbjT5_SW_jjP12ihipStream_tbEUlT_E_NS1_11comp_targetILNS1_3genE4ELNS1_11target_archE910ELNS1_3gpuE8ELNS1_3repE0EEENS1_30default_config_static_selectorELNS0_4arch9wavefront6targetE1EEEvSK_,@function
_ZN7rocprim17ROCPRIM_400000_NS6detail17trampoline_kernelINS0_14default_configENS1_36segmented_radix_sort_config_selectorIhlEEZNS1_25segmented_radix_sort_implIS3_Lb0EPKhPhPKlPlN2at6native12_GLOBAL__N_18offset_tEEE10hipError_tPvRmT1_PNSt15iterator_traitsISK_E10value_typeET2_T3_PNSL_ISQ_E10value_typeET4_jRbjT5_SW_jjP12ihipStream_tbEUlT_E_NS1_11comp_targetILNS1_3genE4ELNS1_11target_archE910ELNS1_3gpuE8ELNS1_3repE0EEENS1_30default_config_static_selectorELNS0_4arch9wavefront6targetE1EEEvSK_: ; @_ZN7rocprim17ROCPRIM_400000_NS6detail17trampoline_kernelINS0_14default_configENS1_36segmented_radix_sort_config_selectorIhlEEZNS1_25segmented_radix_sort_implIS3_Lb0EPKhPhPKlPlN2at6native12_GLOBAL__N_18offset_tEEE10hipError_tPvRmT1_PNSt15iterator_traitsISK_E10value_typeET2_T3_PNSL_ISQ_E10value_typeET4_jRbjT5_SW_jjP12ihipStream_tbEUlT_E_NS1_11comp_targetILNS1_3genE4ELNS1_11target_archE910ELNS1_3gpuE8ELNS1_3repE0EEENS1_30default_config_static_selectorELNS0_4arch9wavefront6targetE1EEEvSK_
; %bb.0:
	.section	.rodata,"a",@progbits
	.p2align	6, 0x0
	.amdhsa_kernel _ZN7rocprim17ROCPRIM_400000_NS6detail17trampoline_kernelINS0_14default_configENS1_36segmented_radix_sort_config_selectorIhlEEZNS1_25segmented_radix_sort_implIS3_Lb0EPKhPhPKlPlN2at6native12_GLOBAL__N_18offset_tEEE10hipError_tPvRmT1_PNSt15iterator_traitsISK_E10value_typeET2_T3_PNSL_ISQ_E10value_typeET4_jRbjT5_SW_jjP12ihipStream_tbEUlT_E_NS1_11comp_targetILNS1_3genE4ELNS1_11target_archE910ELNS1_3gpuE8ELNS1_3repE0EEENS1_30default_config_static_selectorELNS0_4arch9wavefront6targetE1EEEvSK_
		.amdhsa_group_segment_fixed_size 0
		.amdhsa_private_segment_fixed_size 0
		.amdhsa_kernarg_size 96
		.amdhsa_user_sgpr_count 6
		.amdhsa_user_sgpr_private_segment_buffer 1
		.amdhsa_user_sgpr_dispatch_ptr 0
		.amdhsa_user_sgpr_queue_ptr 0
		.amdhsa_user_sgpr_kernarg_segment_ptr 1
		.amdhsa_user_sgpr_dispatch_id 0
		.amdhsa_user_sgpr_flat_scratch_init 0
		.amdhsa_user_sgpr_private_segment_size 0
		.amdhsa_uses_dynamic_stack 0
		.amdhsa_system_sgpr_private_segment_wavefront_offset 0
		.amdhsa_system_sgpr_workgroup_id_x 1
		.amdhsa_system_sgpr_workgroup_id_y 0
		.amdhsa_system_sgpr_workgroup_id_z 0
		.amdhsa_system_sgpr_workgroup_info 0
		.amdhsa_system_vgpr_workitem_id 0
		.amdhsa_next_free_vgpr 1
		.amdhsa_next_free_sgpr 0
		.amdhsa_reserve_vcc 0
		.amdhsa_reserve_flat_scratch 0
		.amdhsa_float_round_mode_32 0
		.amdhsa_float_round_mode_16_64 0
		.amdhsa_float_denorm_mode_32 3
		.amdhsa_float_denorm_mode_16_64 3
		.amdhsa_dx10_clamp 1
		.amdhsa_ieee_mode 1
		.amdhsa_fp16_overflow 0
		.amdhsa_exception_fp_ieee_invalid_op 0
		.amdhsa_exception_fp_denorm_src 0
		.amdhsa_exception_fp_ieee_div_zero 0
		.amdhsa_exception_fp_ieee_overflow 0
		.amdhsa_exception_fp_ieee_underflow 0
		.amdhsa_exception_fp_ieee_inexact 0
		.amdhsa_exception_int_div_zero 0
	.end_amdhsa_kernel
	.section	.text._ZN7rocprim17ROCPRIM_400000_NS6detail17trampoline_kernelINS0_14default_configENS1_36segmented_radix_sort_config_selectorIhlEEZNS1_25segmented_radix_sort_implIS3_Lb0EPKhPhPKlPlN2at6native12_GLOBAL__N_18offset_tEEE10hipError_tPvRmT1_PNSt15iterator_traitsISK_E10value_typeET2_T3_PNSL_ISQ_E10value_typeET4_jRbjT5_SW_jjP12ihipStream_tbEUlT_E_NS1_11comp_targetILNS1_3genE4ELNS1_11target_archE910ELNS1_3gpuE8ELNS1_3repE0EEENS1_30default_config_static_selectorELNS0_4arch9wavefront6targetE1EEEvSK_,"axG",@progbits,_ZN7rocprim17ROCPRIM_400000_NS6detail17trampoline_kernelINS0_14default_configENS1_36segmented_radix_sort_config_selectorIhlEEZNS1_25segmented_radix_sort_implIS3_Lb0EPKhPhPKlPlN2at6native12_GLOBAL__N_18offset_tEEE10hipError_tPvRmT1_PNSt15iterator_traitsISK_E10value_typeET2_T3_PNSL_ISQ_E10value_typeET4_jRbjT5_SW_jjP12ihipStream_tbEUlT_E_NS1_11comp_targetILNS1_3genE4ELNS1_11target_archE910ELNS1_3gpuE8ELNS1_3repE0EEENS1_30default_config_static_selectorELNS0_4arch9wavefront6targetE1EEEvSK_,comdat
.Lfunc_end188:
	.size	_ZN7rocprim17ROCPRIM_400000_NS6detail17trampoline_kernelINS0_14default_configENS1_36segmented_radix_sort_config_selectorIhlEEZNS1_25segmented_radix_sort_implIS3_Lb0EPKhPhPKlPlN2at6native12_GLOBAL__N_18offset_tEEE10hipError_tPvRmT1_PNSt15iterator_traitsISK_E10value_typeET2_T3_PNSL_ISQ_E10value_typeET4_jRbjT5_SW_jjP12ihipStream_tbEUlT_E_NS1_11comp_targetILNS1_3genE4ELNS1_11target_archE910ELNS1_3gpuE8ELNS1_3repE0EEENS1_30default_config_static_selectorELNS0_4arch9wavefront6targetE1EEEvSK_, .Lfunc_end188-_ZN7rocprim17ROCPRIM_400000_NS6detail17trampoline_kernelINS0_14default_configENS1_36segmented_radix_sort_config_selectorIhlEEZNS1_25segmented_radix_sort_implIS3_Lb0EPKhPhPKlPlN2at6native12_GLOBAL__N_18offset_tEEE10hipError_tPvRmT1_PNSt15iterator_traitsISK_E10value_typeET2_T3_PNSL_ISQ_E10value_typeET4_jRbjT5_SW_jjP12ihipStream_tbEUlT_E_NS1_11comp_targetILNS1_3genE4ELNS1_11target_archE910ELNS1_3gpuE8ELNS1_3repE0EEENS1_30default_config_static_selectorELNS0_4arch9wavefront6targetE1EEEvSK_
                                        ; -- End function
	.set _ZN7rocprim17ROCPRIM_400000_NS6detail17trampoline_kernelINS0_14default_configENS1_36segmented_radix_sort_config_selectorIhlEEZNS1_25segmented_radix_sort_implIS3_Lb0EPKhPhPKlPlN2at6native12_GLOBAL__N_18offset_tEEE10hipError_tPvRmT1_PNSt15iterator_traitsISK_E10value_typeET2_T3_PNSL_ISQ_E10value_typeET4_jRbjT5_SW_jjP12ihipStream_tbEUlT_E_NS1_11comp_targetILNS1_3genE4ELNS1_11target_archE910ELNS1_3gpuE8ELNS1_3repE0EEENS1_30default_config_static_selectorELNS0_4arch9wavefront6targetE1EEEvSK_.num_vgpr, 0
	.set _ZN7rocprim17ROCPRIM_400000_NS6detail17trampoline_kernelINS0_14default_configENS1_36segmented_radix_sort_config_selectorIhlEEZNS1_25segmented_radix_sort_implIS3_Lb0EPKhPhPKlPlN2at6native12_GLOBAL__N_18offset_tEEE10hipError_tPvRmT1_PNSt15iterator_traitsISK_E10value_typeET2_T3_PNSL_ISQ_E10value_typeET4_jRbjT5_SW_jjP12ihipStream_tbEUlT_E_NS1_11comp_targetILNS1_3genE4ELNS1_11target_archE910ELNS1_3gpuE8ELNS1_3repE0EEENS1_30default_config_static_selectorELNS0_4arch9wavefront6targetE1EEEvSK_.num_agpr, 0
	.set _ZN7rocprim17ROCPRIM_400000_NS6detail17trampoline_kernelINS0_14default_configENS1_36segmented_radix_sort_config_selectorIhlEEZNS1_25segmented_radix_sort_implIS3_Lb0EPKhPhPKlPlN2at6native12_GLOBAL__N_18offset_tEEE10hipError_tPvRmT1_PNSt15iterator_traitsISK_E10value_typeET2_T3_PNSL_ISQ_E10value_typeET4_jRbjT5_SW_jjP12ihipStream_tbEUlT_E_NS1_11comp_targetILNS1_3genE4ELNS1_11target_archE910ELNS1_3gpuE8ELNS1_3repE0EEENS1_30default_config_static_selectorELNS0_4arch9wavefront6targetE1EEEvSK_.numbered_sgpr, 0
	.set _ZN7rocprim17ROCPRIM_400000_NS6detail17trampoline_kernelINS0_14default_configENS1_36segmented_radix_sort_config_selectorIhlEEZNS1_25segmented_radix_sort_implIS3_Lb0EPKhPhPKlPlN2at6native12_GLOBAL__N_18offset_tEEE10hipError_tPvRmT1_PNSt15iterator_traitsISK_E10value_typeET2_T3_PNSL_ISQ_E10value_typeET4_jRbjT5_SW_jjP12ihipStream_tbEUlT_E_NS1_11comp_targetILNS1_3genE4ELNS1_11target_archE910ELNS1_3gpuE8ELNS1_3repE0EEENS1_30default_config_static_selectorELNS0_4arch9wavefront6targetE1EEEvSK_.num_named_barrier, 0
	.set _ZN7rocprim17ROCPRIM_400000_NS6detail17trampoline_kernelINS0_14default_configENS1_36segmented_radix_sort_config_selectorIhlEEZNS1_25segmented_radix_sort_implIS3_Lb0EPKhPhPKlPlN2at6native12_GLOBAL__N_18offset_tEEE10hipError_tPvRmT1_PNSt15iterator_traitsISK_E10value_typeET2_T3_PNSL_ISQ_E10value_typeET4_jRbjT5_SW_jjP12ihipStream_tbEUlT_E_NS1_11comp_targetILNS1_3genE4ELNS1_11target_archE910ELNS1_3gpuE8ELNS1_3repE0EEENS1_30default_config_static_selectorELNS0_4arch9wavefront6targetE1EEEvSK_.private_seg_size, 0
	.set _ZN7rocprim17ROCPRIM_400000_NS6detail17trampoline_kernelINS0_14default_configENS1_36segmented_radix_sort_config_selectorIhlEEZNS1_25segmented_radix_sort_implIS3_Lb0EPKhPhPKlPlN2at6native12_GLOBAL__N_18offset_tEEE10hipError_tPvRmT1_PNSt15iterator_traitsISK_E10value_typeET2_T3_PNSL_ISQ_E10value_typeET4_jRbjT5_SW_jjP12ihipStream_tbEUlT_E_NS1_11comp_targetILNS1_3genE4ELNS1_11target_archE910ELNS1_3gpuE8ELNS1_3repE0EEENS1_30default_config_static_selectorELNS0_4arch9wavefront6targetE1EEEvSK_.uses_vcc, 0
	.set _ZN7rocprim17ROCPRIM_400000_NS6detail17trampoline_kernelINS0_14default_configENS1_36segmented_radix_sort_config_selectorIhlEEZNS1_25segmented_radix_sort_implIS3_Lb0EPKhPhPKlPlN2at6native12_GLOBAL__N_18offset_tEEE10hipError_tPvRmT1_PNSt15iterator_traitsISK_E10value_typeET2_T3_PNSL_ISQ_E10value_typeET4_jRbjT5_SW_jjP12ihipStream_tbEUlT_E_NS1_11comp_targetILNS1_3genE4ELNS1_11target_archE910ELNS1_3gpuE8ELNS1_3repE0EEENS1_30default_config_static_selectorELNS0_4arch9wavefront6targetE1EEEvSK_.uses_flat_scratch, 0
	.set _ZN7rocprim17ROCPRIM_400000_NS6detail17trampoline_kernelINS0_14default_configENS1_36segmented_radix_sort_config_selectorIhlEEZNS1_25segmented_radix_sort_implIS3_Lb0EPKhPhPKlPlN2at6native12_GLOBAL__N_18offset_tEEE10hipError_tPvRmT1_PNSt15iterator_traitsISK_E10value_typeET2_T3_PNSL_ISQ_E10value_typeET4_jRbjT5_SW_jjP12ihipStream_tbEUlT_E_NS1_11comp_targetILNS1_3genE4ELNS1_11target_archE910ELNS1_3gpuE8ELNS1_3repE0EEENS1_30default_config_static_selectorELNS0_4arch9wavefront6targetE1EEEvSK_.has_dyn_sized_stack, 0
	.set _ZN7rocprim17ROCPRIM_400000_NS6detail17trampoline_kernelINS0_14default_configENS1_36segmented_radix_sort_config_selectorIhlEEZNS1_25segmented_radix_sort_implIS3_Lb0EPKhPhPKlPlN2at6native12_GLOBAL__N_18offset_tEEE10hipError_tPvRmT1_PNSt15iterator_traitsISK_E10value_typeET2_T3_PNSL_ISQ_E10value_typeET4_jRbjT5_SW_jjP12ihipStream_tbEUlT_E_NS1_11comp_targetILNS1_3genE4ELNS1_11target_archE910ELNS1_3gpuE8ELNS1_3repE0EEENS1_30default_config_static_selectorELNS0_4arch9wavefront6targetE1EEEvSK_.has_recursion, 0
	.set _ZN7rocprim17ROCPRIM_400000_NS6detail17trampoline_kernelINS0_14default_configENS1_36segmented_radix_sort_config_selectorIhlEEZNS1_25segmented_radix_sort_implIS3_Lb0EPKhPhPKlPlN2at6native12_GLOBAL__N_18offset_tEEE10hipError_tPvRmT1_PNSt15iterator_traitsISK_E10value_typeET2_T3_PNSL_ISQ_E10value_typeET4_jRbjT5_SW_jjP12ihipStream_tbEUlT_E_NS1_11comp_targetILNS1_3genE4ELNS1_11target_archE910ELNS1_3gpuE8ELNS1_3repE0EEENS1_30default_config_static_selectorELNS0_4arch9wavefront6targetE1EEEvSK_.has_indirect_call, 0
	.section	.AMDGPU.csdata,"",@progbits
; Kernel info:
; codeLenInByte = 0
; TotalNumSgprs: 4
; NumVgprs: 0
; ScratchSize: 0
; MemoryBound: 0
; FloatMode: 240
; IeeeMode: 1
; LDSByteSize: 0 bytes/workgroup (compile time only)
; SGPRBlocks: 0
; VGPRBlocks: 0
; NumSGPRsForWavesPerEU: 4
; NumVGPRsForWavesPerEU: 1
; Occupancy: 10
; WaveLimiterHint : 0
; COMPUTE_PGM_RSRC2:SCRATCH_EN: 0
; COMPUTE_PGM_RSRC2:USER_SGPR: 6
; COMPUTE_PGM_RSRC2:TRAP_HANDLER: 0
; COMPUTE_PGM_RSRC2:TGID_X_EN: 1
; COMPUTE_PGM_RSRC2:TGID_Y_EN: 0
; COMPUTE_PGM_RSRC2:TGID_Z_EN: 0
; COMPUTE_PGM_RSRC2:TIDIG_COMP_CNT: 0
	.section	.text._ZN7rocprim17ROCPRIM_400000_NS6detail17trampoline_kernelINS0_14default_configENS1_36segmented_radix_sort_config_selectorIhlEEZNS1_25segmented_radix_sort_implIS3_Lb0EPKhPhPKlPlN2at6native12_GLOBAL__N_18offset_tEEE10hipError_tPvRmT1_PNSt15iterator_traitsISK_E10value_typeET2_T3_PNSL_ISQ_E10value_typeET4_jRbjT5_SW_jjP12ihipStream_tbEUlT_E_NS1_11comp_targetILNS1_3genE3ELNS1_11target_archE908ELNS1_3gpuE7ELNS1_3repE0EEENS1_30default_config_static_selectorELNS0_4arch9wavefront6targetE1EEEvSK_,"axG",@progbits,_ZN7rocprim17ROCPRIM_400000_NS6detail17trampoline_kernelINS0_14default_configENS1_36segmented_radix_sort_config_selectorIhlEEZNS1_25segmented_radix_sort_implIS3_Lb0EPKhPhPKlPlN2at6native12_GLOBAL__N_18offset_tEEE10hipError_tPvRmT1_PNSt15iterator_traitsISK_E10value_typeET2_T3_PNSL_ISQ_E10value_typeET4_jRbjT5_SW_jjP12ihipStream_tbEUlT_E_NS1_11comp_targetILNS1_3genE3ELNS1_11target_archE908ELNS1_3gpuE7ELNS1_3repE0EEENS1_30default_config_static_selectorELNS0_4arch9wavefront6targetE1EEEvSK_,comdat
	.globl	_ZN7rocprim17ROCPRIM_400000_NS6detail17trampoline_kernelINS0_14default_configENS1_36segmented_radix_sort_config_selectorIhlEEZNS1_25segmented_radix_sort_implIS3_Lb0EPKhPhPKlPlN2at6native12_GLOBAL__N_18offset_tEEE10hipError_tPvRmT1_PNSt15iterator_traitsISK_E10value_typeET2_T3_PNSL_ISQ_E10value_typeET4_jRbjT5_SW_jjP12ihipStream_tbEUlT_E_NS1_11comp_targetILNS1_3genE3ELNS1_11target_archE908ELNS1_3gpuE7ELNS1_3repE0EEENS1_30default_config_static_selectorELNS0_4arch9wavefront6targetE1EEEvSK_ ; -- Begin function _ZN7rocprim17ROCPRIM_400000_NS6detail17trampoline_kernelINS0_14default_configENS1_36segmented_radix_sort_config_selectorIhlEEZNS1_25segmented_radix_sort_implIS3_Lb0EPKhPhPKlPlN2at6native12_GLOBAL__N_18offset_tEEE10hipError_tPvRmT1_PNSt15iterator_traitsISK_E10value_typeET2_T3_PNSL_ISQ_E10value_typeET4_jRbjT5_SW_jjP12ihipStream_tbEUlT_E_NS1_11comp_targetILNS1_3genE3ELNS1_11target_archE908ELNS1_3gpuE7ELNS1_3repE0EEENS1_30default_config_static_selectorELNS0_4arch9wavefront6targetE1EEEvSK_
	.p2align	8
	.type	_ZN7rocprim17ROCPRIM_400000_NS6detail17trampoline_kernelINS0_14default_configENS1_36segmented_radix_sort_config_selectorIhlEEZNS1_25segmented_radix_sort_implIS3_Lb0EPKhPhPKlPlN2at6native12_GLOBAL__N_18offset_tEEE10hipError_tPvRmT1_PNSt15iterator_traitsISK_E10value_typeET2_T3_PNSL_ISQ_E10value_typeET4_jRbjT5_SW_jjP12ihipStream_tbEUlT_E_NS1_11comp_targetILNS1_3genE3ELNS1_11target_archE908ELNS1_3gpuE7ELNS1_3repE0EEENS1_30default_config_static_selectorELNS0_4arch9wavefront6targetE1EEEvSK_,@function
_ZN7rocprim17ROCPRIM_400000_NS6detail17trampoline_kernelINS0_14default_configENS1_36segmented_radix_sort_config_selectorIhlEEZNS1_25segmented_radix_sort_implIS3_Lb0EPKhPhPKlPlN2at6native12_GLOBAL__N_18offset_tEEE10hipError_tPvRmT1_PNSt15iterator_traitsISK_E10value_typeET2_T3_PNSL_ISQ_E10value_typeET4_jRbjT5_SW_jjP12ihipStream_tbEUlT_E_NS1_11comp_targetILNS1_3genE3ELNS1_11target_archE908ELNS1_3gpuE7ELNS1_3repE0EEENS1_30default_config_static_selectorELNS0_4arch9wavefront6targetE1EEEvSK_: ; @_ZN7rocprim17ROCPRIM_400000_NS6detail17trampoline_kernelINS0_14default_configENS1_36segmented_radix_sort_config_selectorIhlEEZNS1_25segmented_radix_sort_implIS3_Lb0EPKhPhPKlPlN2at6native12_GLOBAL__N_18offset_tEEE10hipError_tPvRmT1_PNSt15iterator_traitsISK_E10value_typeET2_T3_PNSL_ISQ_E10value_typeET4_jRbjT5_SW_jjP12ihipStream_tbEUlT_E_NS1_11comp_targetILNS1_3genE3ELNS1_11target_archE908ELNS1_3gpuE7ELNS1_3repE0EEENS1_30default_config_static_selectorELNS0_4arch9wavefront6targetE1EEEvSK_
; %bb.0:
	.section	.rodata,"a",@progbits
	.p2align	6, 0x0
	.amdhsa_kernel _ZN7rocprim17ROCPRIM_400000_NS6detail17trampoline_kernelINS0_14default_configENS1_36segmented_radix_sort_config_selectorIhlEEZNS1_25segmented_radix_sort_implIS3_Lb0EPKhPhPKlPlN2at6native12_GLOBAL__N_18offset_tEEE10hipError_tPvRmT1_PNSt15iterator_traitsISK_E10value_typeET2_T3_PNSL_ISQ_E10value_typeET4_jRbjT5_SW_jjP12ihipStream_tbEUlT_E_NS1_11comp_targetILNS1_3genE3ELNS1_11target_archE908ELNS1_3gpuE7ELNS1_3repE0EEENS1_30default_config_static_selectorELNS0_4arch9wavefront6targetE1EEEvSK_
		.amdhsa_group_segment_fixed_size 0
		.amdhsa_private_segment_fixed_size 0
		.amdhsa_kernarg_size 96
		.amdhsa_user_sgpr_count 6
		.amdhsa_user_sgpr_private_segment_buffer 1
		.amdhsa_user_sgpr_dispatch_ptr 0
		.amdhsa_user_sgpr_queue_ptr 0
		.amdhsa_user_sgpr_kernarg_segment_ptr 1
		.amdhsa_user_sgpr_dispatch_id 0
		.amdhsa_user_sgpr_flat_scratch_init 0
		.amdhsa_user_sgpr_private_segment_size 0
		.amdhsa_uses_dynamic_stack 0
		.amdhsa_system_sgpr_private_segment_wavefront_offset 0
		.amdhsa_system_sgpr_workgroup_id_x 1
		.amdhsa_system_sgpr_workgroup_id_y 0
		.amdhsa_system_sgpr_workgroup_id_z 0
		.amdhsa_system_sgpr_workgroup_info 0
		.amdhsa_system_vgpr_workitem_id 0
		.amdhsa_next_free_vgpr 1
		.amdhsa_next_free_sgpr 0
		.amdhsa_reserve_vcc 0
		.amdhsa_reserve_flat_scratch 0
		.amdhsa_float_round_mode_32 0
		.amdhsa_float_round_mode_16_64 0
		.amdhsa_float_denorm_mode_32 3
		.amdhsa_float_denorm_mode_16_64 3
		.amdhsa_dx10_clamp 1
		.amdhsa_ieee_mode 1
		.amdhsa_fp16_overflow 0
		.amdhsa_exception_fp_ieee_invalid_op 0
		.amdhsa_exception_fp_denorm_src 0
		.amdhsa_exception_fp_ieee_div_zero 0
		.amdhsa_exception_fp_ieee_overflow 0
		.amdhsa_exception_fp_ieee_underflow 0
		.amdhsa_exception_fp_ieee_inexact 0
		.amdhsa_exception_int_div_zero 0
	.end_amdhsa_kernel
	.section	.text._ZN7rocprim17ROCPRIM_400000_NS6detail17trampoline_kernelINS0_14default_configENS1_36segmented_radix_sort_config_selectorIhlEEZNS1_25segmented_radix_sort_implIS3_Lb0EPKhPhPKlPlN2at6native12_GLOBAL__N_18offset_tEEE10hipError_tPvRmT1_PNSt15iterator_traitsISK_E10value_typeET2_T3_PNSL_ISQ_E10value_typeET4_jRbjT5_SW_jjP12ihipStream_tbEUlT_E_NS1_11comp_targetILNS1_3genE3ELNS1_11target_archE908ELNS1_3gpuE7ELNS1_3repE0EEENS1_30default_config_static_selectorELNS0_4arch9wavefront6targetE1EEEvSK_,"axG",@progbits,_ZN7rocprim17ROCPRIM_400000_NS6detail17trampoline_kernelINS0_14default_configENS1_36segmented_radix_sort_config_selectorIhlEEZNS1_25segmented_radix_sort_implIS3_Lb0EPKhPhPKlPlN2at6native12_GLOBAL__N_18offset_tEEE10hipError_tPvRmT1_PNSt15iterator_traitsISK_E10value_typeET2_T3_PNSL_ISQ_E10value_typeET4_jRbjT5_SW_jjP12ihipStream_tbEUlT_E_NS1_11comp_targetILNS1_3genE3ELNS1_11target_archE908ELNS1_3gpuE7ELNS1_3repE0EEENS1_30default_config_static_selectorELNS0_4arch9wavefront6targetE1EEEvSK_,comdat
.Lfunc_end189:
	.size	_ZN7rocprim17ROCPRIM_400000_NS6detail17trampoline_kernelINS0_14default_configENS1_36segmented_radix_sort_config_selectorIhlEEZNS1_25segmented_radix_sort_implIS3_Lb0EPKhPhPKlPlN2at6native12_GLOBAL__N_18offset_tEEE10hipError_tPvRmT1_PNSt15iterator_traitsISK_E10value_typeET2_T3_PNSL_ISQ_E10value_typeET4_jRbjT5_SW_jjP12ihipStream_tbEUlT_E_NS1_11comp_targetILNS1_3genE3ELNS1_11target_archE908ELNS1_3gpuE7ELNS1_3repE0EEENS1_30default_config_static_selectorELNS0_4arch9wavefront6targetE1EEEvSK_, .Lfunc_end189-_ZN7rocprim17ROCPRIM_400000_NS6detail17trampoline_kernelINS0_14default_configENS1_36segmented_radix_sort_config_selectorIhlEEZNS1_25segmented_radix_sort_implIS3_Lb0EPKhPhPKlPlN2at6native12_GLOBAL__N_18offset_tEEE10hipError_tPvRmT1_PNSt15iterator_traitsISK_E10value_typeET2_T3_PNSL_ISQ_E10value_typeET4_jRbjT5_SW_jjP12ihipStream_tbEUlT_E_NS1_11comp_targetILNS1_3genE3ELNS1_11target_archE908ELNS1_3gpuE7ELNS1_3repE0EEENS1_30default_config_static_selectorELNS0_4arch9wavefront6targetE1EEEvSK_
                                        ; -- End function
	.set _ZN7rocprim17ROCPRIM_400000_NS6detail17trampoline_kernelINS0_14default_configENS1_36segmented_radix_sort_config_selectorIhlEEZNS1_25segmented_radix_sort_implIS3_Lb0EPKhPhPKlPlN2at6native12_GLOBAL__N_18offset_tEEE10hipError_tPvRmT1_PNSt15iterator_traitsISK_E10value_typeET2_T3_PNSL_ISQ_E10value_typeET4_jRbjT5_SW_jjP12ihipStream_tbEUlT_E_NS1_11comp_targetILNS1_3genE3ELNS1_11target_archE908ELNS1_3gpuE7ELNS1_3repE0EEENS1_30default_config_static_selectorELNS0_4arch9wavefront6targetE1EEEvSK_.num_vgpr, 0
	.set _ZN7rocprim17ROCPRIM_400000_NS6detail17trampoline_kernelINS0_14default_configENS1_36segmented_radix_sort_config_selectorIhlEEZNS1_25segmented_radix_sort_implIS3_Lb0EPKhPhPKlPlN2at6native12_GLOBAL__N_18offset_tEEE10hipError_tPvRmT1_PNSt15iterator_traitsISK_E10value_typeET2_T3_PNSL_ISQ_E10value_typeET4_jRbjT5_SW_jjP12ihipStream_tbEUlT_E_NS1_11comp_targetILNS1_3genE3ELNS1_11target_archE908ELNS1_3gpuE7ELNS1_3repE0EEENS1_30default_config_static_selectorELNS0_4arch9wavefront6targetE1EEEvSK_.num_agpr, 0
	.set _ZN7rocprim17ROCPRIM_400000_NS6detail17trampoline_kernelINS0_14default_configENS1_36segmented_radix_sort_config_selectorIhlEEZNS1_25segmented_radix_sort_implIS3_Lb0EPKhPhPKlPlN2at6native12_GLOBAL__N_18offset_tEEE10hipError_tPvRmT1_PNSt15iterator_traitsISK_E10value_typeET2_T3_PNSL_ISQ_E10value_typeET4_jRbjT5_SW_jjP12ihipStream_tbEUlT_E_NS1_11comp_targetILNS1_3genE3ELNS1_11target_archE908ELNS1_3gpuE7ELNS1_3repE0EEENS1_30default_config_static_selectorELNS0_4arch9wavefront6targetE1EEEvSK_.numbered_sgpr, 0
	.set _ZN7rocprim17ROCPRIM_400000_NS6detail17trampoline_kernelINS0_14default_configENS1_36segmented_radix_sort_config_selectorIhlEEZNS1_25segmented_radix_sort_implIS3_Lb0EPKhPhPKlPlN2at6native12_GLOBAL__N_18offset_tEEE10hipError_tPvRmT1_PNSt15iterator_traitsISK_E10value_typeET2_T3_PNSL_ISQ_E10value_typeET4_jRbjT5_SW_jjP12ihipStream_tbEUlT_E_NS1_11comp_targetILNS1_3genE3ELNS1_11target_archE908ELNS1_3gpuE7ELNS1_3repE0EEENS1_30default_config_static_selectorELNS0_4arch9wavefront6targetE1EEEvSK_.num_named_barrier, 0
	.set _ZN7rocprim17ROCPRIM_400000_NS6detail17trampoline_kernelINS0_14default_configENS1_36segmented_radix_sort_config_selectorIhlEEZNS1_25segmented_radix_sort_implIS3_Lb0EPKhPhPKlPlN2at6native12_GLOBAL__N_18offset_tEEE10hipError_tPvRmT1_PNSt15iterator_traitsISK_E10value_typeET2_T3_PNSL_ISQ_E10value_typeET4_jRbjT5_SW_jjP12ihipStream_tbEUlT_E_NS1_11comp_targetILNS1_3genE3ELNS1_11target_archE908ELNS1_3gpuE7ELNS1_3repE0EEENS1_30default_config_static_selectorELNS0_4arch9wavefront6targetE1EEEvSK_.private_seg_size, 0
	.set _ZN7rocprim17ROCPRIM_400000_NS6detail17trampoline_kernelINS0_14default_configENS1_36segmented_radix_sort_config_selectorIhlEEZNS1_25segmented_radix_sort_implIS3_Lb0EPKhPhPKlPlN2at6native12_GLOBAL__N_18offset_tEEE10hipError_tPvRmT1_PNSt15iterator_traitsISK_E10value_typeET2_T3_PNSL_ISQ_E10value_typeET4_jRbjT5_SW_jjP12ihipStream_tbEUlT_E_NS1_11comp_targetILNS1_3genE3ELNS1_11target_archE908ELNS1_3gpuE7ELNS1_3repE0EEENS1_30default_config_static_selectorELNS0_4arch9wavefront6targetE1EEEvSK_.uses_vcc, 0
	.set _ZN7rocprim17ROCPRIM_400000_NS6detail17trampoline_kernelINS0_14default_configENS1_36segmented_radix_sort_config_selectorIhlEEZNS1_25segmented_radix_sort_implIS3_Lb0EPKhPhPKlPlN2at6native12_GLOBAL__N_18offset_tEEE10hipError_tPvRmT1_PNSt15iterator_traitsISK_E10value_typeET2_T3_PNSL_ISQ_E10value_typeET4_jRbjT5_SW_jjP12ihipStream_tbEUlT_E_NS1_11comp_targetILNS1_3genE3ELNS1_11target_archE908ELNS1_3gpuE7ELNS1_3repE0EEENS1_30default_config_static_selectorELNS0_4arch9wavefront6targetE1EEEvSK_.uses_flat_scratch, 0
	.set _ZN7rocprim17ROCPRIM_400000_NS6detail17trampoline_kernelINS0_14default_configENS1_36segmented_radix_sort_config_selectorIhlEEZNS1_25segmented_radix_sort_implIS3_Lb0EPKhPhPKlPlN2at6native12_GLOBAL__N_18offset_tEEE10hipError_tPvRmT1_PNSt15iterator_traitsISK_E10value_typeET2_T3_PNSL_ISQ_E10value_typeET4_jRbjT5_SW_jjP12ihipStream_tbEUlT_E_NS1_11comp_targetILNS1_3genE3ELNS1_11target_archE908ELNS1_3gpuE7ELNS1_3repE0EEENS1_30default_config_static_selectorELNS0_4arch9wavefront6targetE1EEEvSK_.has_dyn_sized_stack, 0
	.set _ZN7rocprim17ROCPRIM_400000_NS6detail17trampoline_kernelINS0_14default_configENS1_36segmented_radix_sort_config_selectorIhlEEZNS1_25segmented_radix_sort_implIS3_Lb0EPKhPhPKlPlN2at6native12_GLOBAL__N_18offset_tEEE10hipError_tPvRmT1_PNSt15iterator_traitsISK_E10value_typeET2_T3_PNSL_ISQ_E10value_typeET4_jRbjT5_SW_jjP12ihipStream_tbEUlT_E_NS1_11comp_targetILNS1_3genE3ELNS1_11target_archE908ELNS1_3gpuE7ELNS1_3repE0EEENS1_30default_config_static_selectorELNS0_4arch9wavefront6targetE1EEEvSK_.has_recursion, 0
	.set _ZN7rocprim17ROCPRIM_400000_NS6detail17trampoline_kernelINS0_14default_configENS1_36segmented_radix_sort_config_selectorIhlEEZNS1_25segmented_radix_sort_implIS3_Lb0EPKhPhPKlPlN2at6native12_GLOBAL__N_18offset_tEEE10hipError_tPvRmT1_PNSt15iterator_traitsISK_E10value_typeET2_T3_PNSL_ISQ_E10value_typeET4_jRbjT5_SW_jjP12ihipStream_tbEUlT_E_NS1_11comp_targetILNS1_3genE3ELNS1_11target_archE908ELNS1_3gpuE7ELNS1_3repE0EEENS1_30default_config_static_selectorELNS0_4arch9wavefront6targetE1EEEvSK_.has_indirect_call, 0
	.section	.AMDGPU.csdata,"",@progbits
; Kernel info:
; codeLenInByte = 0
; TotalNumSgprs: 4
; NumVgprs: 0
; ScratchSize: 0
; MemoryBound: 0
; FloatMode: 240
; IeeeMode: 1
; LDSByteSize: 0 bytes/workgroup (compile time only)
; SGPRBlocks: 0
; VGPRBlocks: 0
; NumSGPRsForWavesPerEU: 4
; NumVGPRsForWavesPerEU: 1
; Occupancy: 10
; WaveLimiterHint : 0
; COMPUTE_PGM_RSRC2:SCRATCH_EN: 0
; COMPUTE_PGM_RSRC2:USER_SGPR: 6
; COMPUTE_PGM_RSRC2:TRAP_HANDLER: 0
; COMPUTE_PGM_RSRC2:TGID_X_EN: 1
; COMPUTE_PGM_RSRC2:TGID_Y_EN: 0
; COMPUTE_PGM_RSRC2:TGID_Z_EN: 0
; COMPUTE_PGM_RSRC2:TIDIG_COMP_CNT: 0
	.text
	.p2align	2                               ; -- Begin function _ZN7rocprim17ROCPRIM_400000_NS6detail40segmented_radix_sort_single_block_helperIhlLj256ELj4ELb0EE4sortIPKhPhPKlPlEEbT_T0_T1_T2_jjjjRNS3_12storage_typeE
	.type	_ZN7rocprim17ROCPRIM_400000_NS6detail40segmented_radix_sort_single_block_helperIhlLj256ELj4ELb0EE4sortIPKhPhPKlPlEEbT_T0_T1_T2_jjjjRNS3_12storage_typeE,@function
_ZN7rocprim17ROCPRIM_400000_NS6detail40segmented_radix_sort_single_block_helperIhlLj256ELj4ELb0EE4sortIPKhPhPKlPlEEbT_T0_T1_T2_jjjjRNS3_12storage_typeE: ; @_ZN7rocprim17ROCPRIM_400000_NS6detail40segmented_radix_sort_single_block_helperIhlLj256ELj4ELb0EE4sortIPKhPhPKlPlEEbT_T0_T1_T2_jjjjRNS3_12storage_typeE
; %bb.0:
	s_waitcnt vmcnt(0) expcnt(0) lgkmcnt(0)
	v_sub_u32_e32 v50, v9, v8
	s_movk_i32 s4, 0x401
	v_cmp_gt_u32_e32 vcc, s4, v50
	s_and_saveexec_b64 s[46:47], vcc
	s_cbranch_execz .LBB190_106
; %bb.1:
	s_movk_i32 s4, 0x200
	v_cmp_lt_u32_e32 vcc, s4, v50
	v_bfe_u32 v15, v31, 10, 10
	v_bfe_u32 v18, v31, 20, 10
	v_mbcnt_lo_u32_b32 v17, -1, 0
	s_and_saveexec_b64 s[4:5], vcc
	s_xor_b64 s[56:57], exec, s[4:5]
	s_cbranch_execz .LBB190_47
; %bb.2:
	s_load_dwordx2 s[4:5], s[8:9], 0x0
	v_mov_b32_e32 v9, 0
	v_and_b32_e32 v14, 0x3ff, v31
	v_add_co_u32_e32 v23, vcc, v0, v8
	s_waitcnt lgkmcnt(0)
	s_cmp_lt_u32 s13, s5
	s_cselect_b32 s5, 14, 20
	s_add_u32 s6, s8, s5
	s_addc_u32 s7, s9, 0
	s_cmp_lt_u32 s12, s4
	s_cselect_b32 s4, 12, 18
	s_add_u32 s4, s8, s4
	global_load_ushort v21, v9, s[6:7]
	s_addc_u32 s5, s9, 0
	global_load_ushort v22, v9, s[4:5]
	v_addc_co_u32_e32 v24, vcc, 0, v1, vcc
	v_mbcnt_hi_u32_b32 v19, -1, v17
	v_and_b32_e32 v20, 63, v19
	v_mov_b32_e32 v51, 0xff
	v_mov_b32_e32 v52, 0xff
	;; [unrolled: 1-line block ×4, first 2 shown]
	s_waitcnt vmcnt(1)
	v_mad_u32_u24 v0, v18, v21, v15
	s_waitcnt vmcnt(0)
	v_mad_u64_u32 v[0:1], s[4:5], v0, v22, v[14:15]
	v_add_co_u32_e32 v1, vcc, v23, v20
	v_lshlrev_b32_e32 v15, 2, v0
	v_addc_co_u32_e32 v18, vcc, 0, v24, vcc
	v_and_b32_e32 v15, 0xffffff00, v15
	v_add_co_u32_e32 v17, vcc, v1, v15
	v_addc_co_u32_e32 v18, vcc, 0, v18, vcc
	v_or_b32_e32 v21, v15, v20
	v_cmp_lt_u32_e32 vcc, v21, v50
	v_mov_b32_e32 v1, 0xff
	s_and_saveexec_b64 s[4:5], vcc
	s_cbranch_execz .LBB190_4
; %bb.3:
	flat_load_ubyte v52, v[17:18]
	v_mov_b32_e32 v51, 0xff
	v_mov_b32_e32 v53, 0xff
	v_mov_b32_e32 v1, 0xff
.LBB190_4:
	s_or_b64 exec, exec, s[4:5]
	v_or_b32_e32 v22, 64, v21
	v_cmp_lt_u32_e64 s[4:5], v22, v50
	s_and_saveexec_b64 s[6:7], s[4:5]
	s_cbranch_execz .LBB190_6
; %bb.5:
	flat_load_ubyte v53, v[17:18] offset:64
.LBB190_6:
	s_or_b64 exec, exec, s[6:7]
	v_or_b32_e32 v22, 0x80, v21
	v_cmp_lt_u32_e64 s[6:7], v22, v50
	s_and_saveexec_b64 s[10:11], s[6:7]
	s_cbranch_execz .LBB190_8
; %bb.7:
	flat_load_ubyte v1, v[17:18] offset:128
.LBB190_8:
	;; [unrolled: 8-line block ×3, first 2 shown]
	s_or_b64 exec, exec, s[14:15]
	v_lshlrev_b64 v[17:18], 3, v[8:9]
	v_lshlrev_b32_e32 v9, 3, v20
	v_add_co_u32_e64 v4, s[14:15], v4, v17
	v_addc_co_u32_e64 v5, s[14:15], v5, v18, s[14:15]
	v_add_co_u32_e64 v9, s[14:15], v4, v9
	v_addc_co_u32_e64 v21, s[14:15], 0, v5, s[14:15]
	v_lshlrev_b64 v[4:5], 3, v[15:16]
                                        ; implicit-def: $vgpr25_vgpr26
	v_add_co_u32_e64 v4, s[14:15], v9, v4
	v_addc_co_u32_e64 v5, s[14:15], v21, v5, s[14:15]
	s_and_saveexec_b64 s[14:15], vcc
	s_cbranch_execnz .LBB190_71
; %bb.11:
	s_or_b64 exec, exec, s[14:15]
                                        ; implicit-def: $vgpr27_vgpr28
	s_and_saveexec_b64 s[14:15], s[4:5]
	s_cbranch_execnz .LBB190_72
.LBB190_12:
	s_or_b64 exec, exec, s[14:15]
                                        ; implicit-def: $vgpr29_vgpr30
	s_and_saveexec_b64 s[4:5], s[6:7]
	s_cbranch_execnz .LBB190_73
.LBB190_13:
	s_or_b64 exec, exec, s[4:5]
                                        ; implicit-def: $vgpr31_vgpr32
	s_and_saveexec_b64 s[4:5], s[10:11]
	s_cbranch_execz .LBB190_15
.LBB190_14:
	flat_load_dwordx2 v[31:32], v[4:5] offset:1536
.LBB190_15:
	s_or_b64 exec, exec, s[4:5]
	v_lshl_add_u32 v4, v14, 4, v12
	s_getpc_b64 s[4:5]
	s_add_u32 s4, s4, _ZN7rocprim17ROCPRIM_400000_NS16block_radix_sortIhLj256ELj4ElLj1ELj1ELj8ELNS0_26block_radix_rank_algorithmE2ELNS0_18block_padding_hintE2ELNS0_4arch9wavefront6targetE1EE19radix_bits_per_passE@rel32@lo+4
	s_addc_u32 s5, s5, _ZN7rocprim17ROCPRIM_400000_NS16block_radix_sortIhLj256ELj4ElLj1ELj1ELj8ELNS0_26block_radix_rank_algorithmE2ELNS0_18block_padding_hintE2ELNS0_4arch9wavefront6targetE1EE19radix_bits_per_passE@rel32@hi+12
	v_add_u32_e32 v9, 16, v4
	v_add_u32_e32 v54, 20, v4
	;; [unrolled: 1-line block ×4, first 2 shown]
	v_and_b32_e32 v4, 15, v19
	s_load_dword s62, s[4:5], 0x0
	v_cmp_eq_u32_e32 vcc, 0, v4
	v_cmp_lt_u32_e64 s[4:5], 1, v4
	v_cmp_lt_u32_e64 s[6:7], 3, v4
	;; [unrolled: 1-line block ×3, first 2 shown]
	v_and_b32_e32 v4, 16, v19
	v_cmp_eq_u32_e64 s[40:41], 0, v4
	v_and_b32_e32 v4, 0x3c0, v14
	v_min_u32_e32 v4, 0xc0, v4
	v_or_b32_e32 v4, 63, v4
	v_cmp_eq_u32_e64 s[16:17], v14, v4
	v_subrev_co_u32_e64 v4, s[22:23], 1, v19
	v_and_b32_e32 v15, 64, v19
	v_lshlrev_b32_e32 v5, 2, v14
	v_cmp_lt_i32_e64 s[24:25], v4, v15
	s_movk_i32 s42, 0xf00
	v_cndmask_b32_e64 v4, v4, v19, s[24:25]
	v_add_u32_e32 v68, v12, v5
	v_and_or_b32 v5, v5, s42, v20
	v_lshlrev_b32_e32 v66, 2, v4
	v_lshrrev_b32_e32 v4, 4, v14
	v_add_u32_e32 v69, v12, v5
	v_mul_u32_u24_e32 v5, 7, v5
	v_and_b32_e32 v4, 60, v4
	v_and_b32_e32 v15, 3, v19
	v_add_u32_e32 v70, v69, v5
	v_lshrrev_b32_e32 v65, 6, v0
	v_cmp_lt_u32_e64 s[14:15], 31, v19
	v_cmp_gt_u32_e64 s[18:19], 4, v14
	v_cmp_lt_u32_e64 s[20:21], 63, v14
	v_cmp_eq_u32_e64 s[24:25], 0, v14
	v_add_u32_e32 v67, v12, v4
	v_mov_b32_e32 v4, 0
	v_cmp_eq_u32_e64 s[26:27], 0, v15
	v_cmp_lt_u32_e64 s[28:29], 1, v15
	v_add_u32_e32 v71, 0x200, v70
	v_add_u32_e32 v80, 0x400, v70
	;; [unrolled: 1-line block ×3, first 2 shown]
	v_sub_u32_e32 v82, v11, v10
	s_mov_b64 s[58:59], 0
	s_waitcnt vmcnt(0) lgkmcnt(0)
	s_barrier
	s_branch .LBB190_17
.LBB190_16:                             ;   in Loop: Header=BB190_17 Depth=1
	s_or_b64 exec, exec, s[44:45]
	s_and_b64 s[42:43], exec, s[60:61]
	s_or_b64 s[58:59], s[42:43], s[58:59]
	s_andn2_b64 exec, exec, s[58:59]
	s_cbranch_execz .LBB190_33
.LBB190_17:                             ; =>This Inner Loop Header: Depth=1
	v_min_u32_e32 v5, s62, v82
	v_mov_b32_e32 v15, v31
	v_lshlrev_b32_e64 v5, v5, -1
	v_mov_b32_e32 v23, v25
	v_mov_b32_e32 v16, v32
	v_not_b32_e32 v32, v5
	v_lshrrev_b32_sdwa v5, v10, v52 dst_sel:DWORD dst_unused:UNUSED_PAD src0_sel:DWORD src1_sel:BYTE_0
	v_mov_b32_e32 v24, v26
	v_and_b32_e32 v25, v5, v32
	v_lshlrev_b32_e32 v5, 2, v25
	v_add_lshl_u32 v5, v5, v65, 2
	v_mov_b32_e32 v21, v27
	v_add_co_u32_e64 v5, s[42:43], v12, v5
	v_mov_b32_e32 v22, v28
	v_add_co_u32_e64 v27, s[42:43], 16, v5
	v_and_b32_e32 v5, 1, v25
	v_add_co_u32_e64 v26, s[42:43], -1, v5
	v_addc_co_u32_e64 v28, s[42:43], 0, -1, s[42:43]
	v_cmp_ne_u32_e64 s[42:43], 0, v5
	v_xor_b32_e32 v5, s43, v28
	v_and_b32_e32 v28, exec_hi, v5
	v_lshlrev_b32_e32 v5, 30, v25
	v_xor_b32_e32 v26, s42, v26
	v_cmp_gt_i64_e64 s[42:43], 0, v[4:5]
	v_not_b32_e32 v5, v5
	v_mov_b32_e32 v19, v29
	v_ashrrev_i32_e32 v5, 31, v5
	v_mov_b32_e32 v20, v30
	v_and_b32_e32 v26, exec_lo, v26
	v_xor_b32_e32 v29, s43, v5
	v_xor_b32_e32 v5, s42, v5
	v_and_b32_e32 v26, v26, v5
	v_lshlrev_b32_e32 v5, 29, v25
	v_cmp_gt_i64_e64 s[42:43], 0, v[4:5]
	v_not_b32_e32 v5, v5
	v_ashrrev_i32_e32 v5, 31, v5
	v_and_b32_e32 v28, v28, v29
	v_xor_b32_e32 v29, s43, v5
	v_xor_b32_e32 v5, s42, v5
	v_and_b32_e32 v26, v26, v5
	v_lshlrev_b32_e32 v5, 28, v25
	v_cmp_gt_i64_e64 s[42:43], 0, v[4:5]
	v_not_b32_e32 v5, v5
	v_ashrrev_i32_e32 v5, 31, v5
	v_and_b32_e32 v28, v28, v29
	;; [unrolled: 8-line block ×5, first 2 shown]
	v_xor_b32_e32 v29, s43, v5
	v_xor_b32_e32 v5, s42, v5
	v_and_b32_e32 v28, v28, v29
	v_and_b32_e32 v29, v26, v5
	v_lshlrev_b32_e32 v5, 24, v25
	v_cmp_gt_i64_e64 s[42:43], 0, v[4:5]
	v_not_b32_e32 v5, v5
	v_ashrrev_i32_e32 v5, 31, v5
	v_xor_b32_e32 v25, s43, v5
	v_xor_b32_e32 v5, s42, v5
	v_and_b32_e32 v26, v28, v25
	v_and_b32_e32 v25, v29, v5
	v_mbcnt_lo_u32_b32 v5, v25, 0
	v_mbcnt_hi_u32_b32 v28, v26, v5
	v_cmp_ne_u64_e64 s[42:43], 0, v[25:26]
	v_cmp_eq_u32_e64 s[44:45], 0, v28
	s_and_b64 s[44:45], s[42:43], s[44:45]
	ds_write_b32 v9, v4
	ds_write_b32 v54, v4
	;; [unrolled: 1-line block ×4, first 2 shown]
	s_waitcnt lgkmcnt(0)
	s_barrier
	; wave barrier
	s_and_saveexec_b64 s[42:43], s[44:45]
; %bb.18:                               ;   in Loop: Header=BB190_17 Depth=1
	v_bcnt_u32_b32 v5, v25, 0
	v_bcnt_u32_b32 v5, v26, v5
	ds_write_b32 v27, v5
; %bb.19:                               ;   in Loop: Header=BB190_17 Depth=1
	s_or_b64 exec, exec, s[42:43]
	v_lshrrev_b32_sdwa v5, v10, v53 dst_sel:DWORD dst_unused:UNUSED_PAD src0_sel:DWORD src1_sel:BYTE_0
	v_and_b32_e32 v25, v5, v32
	v_lshl_add_u32 v5, v25, 2, v65
	v_lshl_add_u32 v5, v5, 2, v12
	; wave barrier
	v_add_u32_e32 v30, 16, v5
	ds_read_b32 v29, v5 offset:16
	v_and_b32_e32 v5, 1, v25
	v_add_co_u32_e64 v26, s[42:43], -1, v5
	v_addc_co_u32_e64 v31, s[42:43], 0, -1, s[42:43]
	v_cmp_ne_u32_e64 s[42:43], 0, v5
	v_xor_b32_e32 v5, s43, v31
	v_and_b32_e32 v31, exec_hi, v5
	v_lshlrev_b32_e32 v5, 30, v25
	v_xor_b32_e32 v26, s42, v26
	v_cmp_gt_i64_e64 s[42:43], 0, v[4:5]
	v_not_b32_e32 v5, v5
	v_ashrrev_i32_e32 v5, 31, v5
	v_and_b32_e32 v26, exec_lo, v26
	v_xor_b32_e32 v33, s43, v5
	v_xor_b32_e32 v5, s42, v5
	v_and_b32_e32 v26, v26, v5
	v_lshlrev_b32_e32 v5, 29, v25
	v_cmp_gt_i64_e64 s[42:43], 0, v[4:5]
	v_not_b32_e32 v5, v5
	v_ashrrev_i32_e32 v5, 31, v5
	v_and_b32_e32 v31, v31, v33
	v_xor_b32_e32 v33, s43, v5
	v_xor_b32_e32 v5, s42, v5
	v_and_b32_e32 v26, v26, v5
	v_lshlrev_b32_e32 v5, 28, v25
	v_cmp_gt_i64_e64 s[42:43], 0, v[4:5]
	v_not_b32_e32 v5, v5
	v_ashrrev_i32_e32 v5, 31, v5
	v_and_b32_e32 v31, v31, v33
	;; [unrolled: 8-line block ×5, first 2 shown]
	v_xor_b32_e32 v33, s43, v5
	v_xor_b32_e32 v5, s42, v5
	v_and_b32_e32 v31, v31, v33
	v_and_b32_e32 v33, v26, v5
	v_lshlrev_b32_e32 v5, 24, v25
	v_cmp_gt_i64_e64 s[42:43], 0, v[4:5]
	v_not_b32_e32 v5, v5
	v_ashrrev_i32_e32 v5, 31, v5
	v_xor_b32_e32 v25, s43, v5
	v_xor_b32_e32 v5, s42, v5
	v_and_b32_e32 v26, v31, v25
	v_and_b32_e32 v25, v33, v5
	v_mbcnt_lo_u32_b32 v5, v25, 0
	v_mbcnt_hi_u32_b32 v31, v26, v5
	v_cmp_ne_u64_e64 s[42:43], 0, v[25:26]
	v_cmp_eq_u32_e64 s[44:45], 0, v31
	s_and_b64 s[44:45], s[42:43], s[44:45]
	; wave barrier
	s_and_saveexec_b64 s[42:43], s[44:45]
	s_cbranch_execz .LBB190_21
; %bb.20:                               ;   in Loop: Header=BB190_17 Depth=1
	v_bcnt_u32_b32 v5, v25, 0
	v_bcnt_u32_b32 v5, v26, v5
	s_waitcnt lgkmcnt(0)
	v_add_u32_e32 v5, v29, v5
	ds_write_b32 v30, v5
.LBB190_21:                             ;   in Loop: Header=BB190_17 Depth=1
	s_or_b64 exec, exec, s[42:43]
	v_lshrrev_b32_sdwa v5, v10, v1 dst_sel:DWORD dst_unused:UNUSED_PAD src0_sel:DWORD src1_sel:BYTE_0
	v_and_b32_e32 v25, v5, v32
	v_lshl_add_u32 v5, v25, 2, v65
	v_lshl_add_u32 v5, v5, 2, v12
	; wave barrier
	v_add_u32_e32 v34, 16, v5
	ds_read_b32 v33, v5 offset:16
	v_and_b32_e32 v5, 1, v25
	v_add_co_u32_e64 v26, s[42:43], -1, v5
	v_addc_co_u32_e64 v35, s[42:43], 0, -1, s[42:43]
	v_cmp_ne_u32_e64 s[42:43], 0, v5
	v_xor_b32_e32 v5, s43, v35
	v_and_b32_e32 v35, exec_hi, v5
	v_lshlrev_b32_e32 v5, 30, v25
	v_xor_b32_e32 v26, s42, v26
	v_cmp_gt_i64_e64 s[42:43], 0, v[4:5]
	v_not_b32_e32 v5, v5
	v_ashrrev_i32_e32 v5, 31, v5
	v_and_b32_e32 v26, exec_lo, v26
	v_xor_b32_e32 v36, s43, v5
	v_xor_b32_e32 v5, s42, v5
	v_and_b32_e32 v26, v26, v5
	v_lshlrev_b32_e32 v5, 29, v25
	v_cmp_gt_i64_e64 s[42:43], 0, v[4:5]
	v_not_b32_e32 v5, v5
	v_ashrrev_i32_e32 v5, 31, v5
	v_and_b32_e32 v35, v35, v36
	v_xor_b32_e32 v36, s43, v5
	v_xor_b32_e32 v5, s42, v5
	v_and_b32_e32 v26, v26, v5
	v_lshlrev_b32_e32 v5, 28, v25
	v_cmp_gt_i64_e64 s[42:43], 0, v[4:5]
	v_not_b32_e32 v5, v5
	v_ashrrev_i32_e32 v5, 31, v5
	v_and_b32_e32 v35, v35, v36
	;; [unrolled: 8-line block ×5, first 2 shown]
	v_xor_b32_e32 v36, s43, v5
	v_xor_b32_e32 v5, s42, v5
	v_and_b32_e32 v35, v35, v36
	v_and_b32_e32 v36, v26, v5
	v_lshlrev_b32_e32 v5, 24, v25
	v_cmp_gt_i64_e64 s[42:43], 0, v[4:5]
	v_not_b32_e32 v5, v5
	v_ashrrev_i32_e32 v5, 31, v5
	v_xor_b32_e32 v25, s43, v5
	v_xor_b32_e32 v5, s42, v5
	v_and_b32_e32 v26, v35, v25
	v_and_b32_e32 v25, v36, v5
	v_mbcnt_lo_u32_b32 v5, v25, 0
	v_mbcnt_hi_u32_b32 v35, v26, v5
	v_cmp_ne_u64_e64 s[42:43], 0, v[25:26]
	v_cmp_eq_u32_e64 s[44:45], 0, v35
	s_and_b64 s[44:45], s[42:43], s[44:45]
	; wave barrier
	s_and_saveexec_b64 s[42:43], s[44:45]
	s_cbranch_execz .LBB190_23
; %bb.22:                               ;   in Loop: Header=BB190_17 Depth=1
	v_bcnt_u32_b32 v5, v25, 0
	v_bcnt_u32_b32 v5, v26, v5
	s_waitcnt lgkmcnt(0)
	v_add_u32_e32 v5, v33, v5
	ds_write_b32 v34, v5
.LBB190_23:                             ;   in Loop: Header=BB190_17 Depth=1
	s_or_b64 exec, exec, s[42:43]
	v_lshrrev_b32_sdwa v5, v10, v51 dst_sel:DWORD dst_unused:UNUSED_PAD src0_sel:DWORD src1_sel:BYTE_0
	v_and_b32_e32 v25, v5, v32
	v_lshl_add_u32 v5, v25, 2, v65
	v_lshl_add_u32 v5, v5, 2, v12
	; wave barrier
	v_add_u32_e32 v36, 16, v5
	ds_read_b32 v32, v5 offset:16
	v_and_b32_e32 v5, 1, v25
	v_add_co_u32_e64 v26, s[42:43], -1, v5
	v_addc_co_u32_e64 v37, s[42:43], 0, -1, s[42:43]
	v_cmp_ne_u32_e64 s[42:43], 0, v5
	v_xor_b32_e32 v5, s43, v37
	v_and_b32_e32 v37, exec_hi, v5
	v_lshlrev_b32_e32 v5, 30, v25
	v_xor_b32_e32 v26, s42, v26
	v_cmp_gt_i64_e64 s[42:43], 0, v[4:5]
	v_not_b32_e32 v5, v5
	v_ashrrev_i32_e32 v5, 31, v5
	v_and_b32_e32 v26, exec_lo, v26
	v_xor_b32_e32 v38, s43, v5
	v_xor_b32_e32 v5, s42, v5
	v_and_b32_e32 v26, v26, v5
	v_lshlrev_b32_e32 v5, 29, v25
	v_cmp_gt_i64_e64 s[42:43], 0, v[4:5]
	v_not_b32_e32 v5, v5
	v_ashrrev_i32_e32 v5, 31, v5
	v_and_b32_e32 v37, v37, v38
	v_xor_b32_e32 v38, s43, v5
	v_xor_b32_e32 v5, s42, v5
	v_and_b32_e32 v26, v26, v5
	v_lshlrev_b32_e32 v5, 28, v25
	v_cmp_gt_i64_e64 s[42:43], 0, v[4:5]
	v_not_b32_e32 v5, v5
	v_ashrrev_i32_e32 v5, 31, v5
	v_and_b32_e32 v37, v37, v38
	;; [unrolled: 8-line block ×5, first 2 shown]
	v_xor_b32_e32 v38, s43, v5
	v_xor_b32_e32 v5, s42, v5
	v_and_b32_e32 v37, v37, v38
	v_and_b32_e32 v38, v26, v5
	v_lshlrev_b32_e32 v5, 24, v25
	v_cmp_gt_i64_e64 s[42:43], 0, v[4:5]
	v_not_b32_e32 v5, v5
	v_ashrrev_i32_e32 v5, 31, v5
	v_xor_b32_e32 v25, s43, v5
	v_xor_b32_e32 v5, s42, v5
	v_and_b32_e32 v26, v37, v25
	v_and_b32_e32 v25, v38, v5
	v_mbcnt_lo_u32_b32 v5, v25, 0
	v_mbcnt_hi_u32_b32 v37, v26, v5
	v_cmp_ne_u64_e64 s[42:43], 0, v[25:26]
	v_cmp_eq_u32_e64 s[44:45], 0, v37
	s_and_b64 s[44:45], s[42:43], s[44:45]
	; wave barrier
	s_and_saveexec_b64 s[42:43], s[44:45]
	s_cbranch_execz .LBB190_25
; %bb.24:                               ;   in Loop: Header=BB190_17 Depth=1
	v_bcnt_u32_b32 v5, v25, 0
	v_bcnt_u32_b32 v5, v26, v5
	s_waitcnt lgkmcnt(0)
	v_add_u32_e32 v5, v32, v5
	ds_write_b32 v36, v5
.LBB190_25:                             ;   in Loop: Header=BB190_17 Depth=1
	s_or_b64 exec, exec, s[42:43]
	; wave barrier
	s_waitcnt lgkmcnt(0)
	s_barrier
	ds_read_b32 v38, v9
	ds_read_b32 v25, v54
	;; [unrolled: 1-line block ×4, first 2 shown]
	s_waitcnt lgkmcnt(2)
	v_add_u32_e32 v39, v25, v38
	s_waitcnt lgkmcnt(0)
	v_add3_u32 v5, v39, v26, v5
	s_nop 1
	v_mov_b32_dpp v39, v5 row_shr:1 row_mask:0xf bank_mask:0xf
	v_cndmask_b32_e64 v39, v39, 0, vcc
	v_add_u32_e32 v5, v39, v5
	s_nop 1
	v_mov_b32_dpp v39, v5 row_shr:2 row_mask:0xf bank_mask:0xf
	v_cndmask_b32_e64 v39, 0, v39, s[4:5]
	v_add_u32_e32 v5, v5, v39
	s_nop 1
	v_mov_b32_dpp v39, v5 row_shr:4 row_mask:0xf bank_mask:0xf
	v_cndmask_b32_e64 v39, 0, v39, s[6:7]
	;; [unrolled: 4-line block ×3, first 2 shown]
	v_add_u32_e32 v5, v5, v39
	s_nop 1
	v_mov_b32_dpp v39, v5 row_bcast:15 row_mask:0xf bank_mask:0xf
	v_cndmask_b32_e64 v39, v39, 0, s[40:41]
	v_add_u32_e32 v5, v5, v39
	s_nop 1
	v_mov_b32_dpp v39, v5 row_bcast:31 row_mask:0xf bank_mask:0xf
	v_cndmask_b32_e64 v39, 0, v39, s[14:15]
	v_add_u32_e32 v5, v5, v39
	s_and_saveexec_b64 s[42:43], s[16:17]
; %bb.26:                               ;   in Loop: Header=BB190_17 Depth=1
	ds_write_b32 v67, v5
; %bb.27:                               ;   in Loop: Header=BB190_17 Depth=1
	s_or_b64 exec, exec, s[42:43]
	s_waitcnt lgkmcnt(0)
	s_barrier
	s_and_saveexec_b64 s[42:43], s[18:19]
	s_cbranch_execz .LBB190_29
; %bb.28:                               ;   in Loop: Header=BB190_17 Depth=1
	ds_read_b32 v39, v68
	s_waitcnt lgkmcnt(0)
	s_nop 0
	v_mov_b32_dpp v48, v39 row_shr:1 row_mask:0xf bank_mask:0xf
	v_cndmask_b32_e64 v48, v48, 0, s[26:27]
	v_add_u32_e32 v39, v48, v39
	s_nop 1
	v_mov_b32_dpp v48, v39 row_shr:2 row_mask:0xf bank_mask:0xf
	v_cndmask_b32_e64 v48, 0, v48, s[28:29]
	v_add_u32_e32 v39, v39, v48
	ds_write_b32 v68, v39
.LBB190_29:                             ;   in Loop: Header=BB190_17 Depth=1
	s_or_b64 exec, exec, s[42:43]
	v_mov_b32_e32 v39, 0
	s_waitcnt lgkmcnt(0)
	s_barrier
	s_and_saveexec_b64 s[42:43], s[20:21]
; %bb.30:                               ;   in Loop: Header=BB190_17 Depth=1
	v_add_u32_e32 v39, -4, v67
	ds_read_b32 v39, v39
; %bb.31:                               ;   in Loop: Header=BB190_17 Depth=1
	s_or_b64 exec, exec, s[42:43]
	s_waitcnt lgkmcnt(0)
	v_add_u32_e32 v5, v39, v5
	ds_bpermute_b32 v48, v66, v5
	v_add_u32_e32 v10, 8, v10
	v_mov_b32_e32 v5, v52
	v_mov_b32_e32 v83, v53
	;; [unrolled: 1-line block ×3, first 2 shown]
	s_waitcnt lgkmcnt(0)
	v_cndmask_b32_e64 v39, v48, v39, s[22:23]
	v_cndmask_b32_e64 v39, v39, 0, s[24:25]
	v_add_u32_e32 v38, v39, v38
	v_add_u32_e32 v25, v38, v25
	v_add_u32_e32 v26, v25, v26
	ds_write_b32 v9, v39
	ds_write_b32 v54, v38
	;; [unrolled: 1-line block ×4, first 2 shown]
	s_waitcnt lgkmcnt(0)
	s_barrier
	ds_read_b32 v25, v27
	ds_read_b32 v26, v30
	;; [unrolled: 1-line block ×4, first 2 shown]
	v_mov_b32_e32 v96, v51
	s_waitcnt lgkmcnt(3)
	v_add_u32_e32 v25, v25, v28
	v_add_co_u32_e64 v48, s[44:45], v12, v25
	s_waitcnt lgkmcnt(2)
	v_add3_u32 v87, v31, v29, v26
	v_addc_co_u32_e64 v49, s[44:45], 0, v13, s[44:45]
	s_waitcnt lgkmcnt(1)
	v_add3_u32 v86, v35, v33, v27
	v_add_co_u32_e64 v33, s[44:45], v12, v87
	v_addc_co_u32_e64 v34, s[44:45], 0, v13, s[44:45]
	v_add_co_u32_e64 v35, s[44:45], v12, v86
	s_waitcnt lgkmcnt(0)
	v_add3_u32 v85, v37, v32, v30
	v_addc_co_u32_e64 v36, s[44:45], 0, v13, s[44:45]
	v_mad_u64_u32 v[37:38], s[44:45], v25, 7, v[48:49]
	v_add_co_u32_e64 v38, s[44:45], v12, v85
	v_cmp_lt_u32_e64 s[42:43], v10, v11
	v_addc_co_u32_e64 v39, s[44:45], 0, v13, s[44:45]
	s_mov_b64 s[60:61], -1
                                        ; implicit-def: $vgpr25_vgpr26
                                        ; implicit-def: $vgpr27_vgpr28
                                        ; implicit-def: $vgpr29_vgpr30
                                        ; implicit-def: $vgpr31_vgpr32
	s_and_saveexec_b64 s[44:45], s[42:43]
	s_cbranch_execz .LBB190_16
; %bb.32:                               ;   in Loop: Header=BB190_17 Depth=1
	s_barrier
	ds_write_b8 v48, v52
	ds_write_b8 v33, v53
	;; [unrolled: 1-line block ×4, first 2 shown]
	v_add_u32_e32 v1, 0xc0, v69
	s_waitcnt lgkmcnt(0)
	s_barrier
	ds_read_u8 v51, v1
	v_add_u32_e32 v1, 0x80, v69
	v_add_u32_e32 v25, 64, v69
	ds_read_u8 v1, v1
	ds_read_u8 v53, v25
	;; [unrolled: 1-line block ×3, first 2 shown]
	v_mad_u64_u32 v[25:26], s[42:43], v87, 7, v[33:34]
	v_mad_u64_u32 v[26:27], s[42:43], v86, 7, v[35:36]
	;; [unrolled: 1-line block ×3, first 2 shown]
	s_waitcnt lgkmcnt(0)
	s_barrier
	ds_write_b64 v37, v[23:24]
	ds_write_b64 v25, v[21:22]
	;; [unrolled: 1-line block ×4, first 2 shown]
	s_waitcnt lgkmcnt(0)
	s_barrier
	ds_read_b64 v[25:26], v70
	ds_read_b64 v[27:28], v71
	;; [unrolled: 1-line block ×4, first 2 shown]
	v_add_u32_e32 v82, -8, v82
	s_xor_b64 s[60:61], exec, -1
	s_waitcnt lgkmcnt(0)
	s_barrier
	s_branch .LBB190_16
.LBB190_33:
	s_or_b64 exec, exec, s[58:59]
	v_mad_u64_u32 v[9:10], s[4:5], v87, 7, v[33:34]
	v_mad_u64_u32 v[10:11], s[4:5], v86, 7, v[35:36]
	v_add_u32_e32 v1, v12, v14
	v_mad_u64_u32 v[11:12], s[4:5], v85, 7, v[38:39]
	s_barrier
	ds_write_b8 v48, v5
	ds_write_b8 v33, v83
	;; [unrolled: 1-line block ×4, first 2 shown]
	s_waitcnt lgkmcnt(0)
	s_barrier
	ds_read_u8 v26, v1
	ds_read_u8 v25, v1 offset:256
	ds_read_u8 v5, v1 offset:512
	;; [unrolled: 1-line block ×3, first 2 shown]
	s_waitcnt lgkmcnt(0)
	s_barrier
	ds_write_b64 v37, v[23:24]
	ds_write_b64 v9, v[21:22]
	;; [unrolled: 1-line block ×4, first 2 shown]
	v_mul_u32_u24_e32 v9, 7, v14
	v_add_u32_e32 v1, v1, v9
	s_waitcnt lgkmcnt(0)
	s_barrier
	ds_read2st64_b64 v[13:16], v1 offset1:4
	ds_read2st64_b64 v[9:12], v1 offset0:8 offset1:12
	v_add_co_u32_e32 v2, vcc, v2, v8
	v_addc_co_u32_e32 v3, vcc, 0, v3, vcc
	v_add_co_u32_e32 v2, vcc, v2, v0
	v_addc_co_u32_e32 v3, vcc, 0, v3, vcc
	v_mov_b32_e32 v1, 0
	v_cmp_lt_u32_e32 vcc, v0, v50
	s_waitcnt lgkmcnt(0)
	s_barrier
	s_and_saveexec_b64 s[4:5], vcc
	s_cbranch_execz .LBB190_35
; %bb.34:
	flat_store_byte v[2:3], v26
.LBB190_35:
	s_or_b64 exec, exec, s[4:5]
	v_add_u32_e32 v8, 0x100, v0
	v_cmp_lt_u32_e64 s[6:7], v8, v50
	s_and_saveexec_b64 s[4:5], s[6:7]
	s_cbranch_execz .LBB190_37
; %bb.36:
	flat_store_byte v[2:3], v25 offset:256
.LBB190_37:
	s_or_b64 exec, exec, s[4:5]
	v_add_u32_e32 v8, 0x200, v0
	v_cmp_lt_u32_e64 s[10:11], v8, v50
	s_and_saveexec_b64 s[4:5], s[10:11]
	s_cbranch_execz .LBB190_39
; %bb.38:
	flat_store_byte v[2:3], v5 offset:512
.LBB190_39:
	s_or_b64 exec, exec, s[4:5]
	v_add_u32_e32 v5, 0x300, v0
	v_cmp_lt_u32_e64 s[4:5], v5, v50
	s_and_saveexec_b64 s[14:15], s[4:5]
	s_cbranch_execz .LBB190_41
; %bb.40:
	flat_store_byte v[2:3], v4 offset:768
.LBB190_41:
	s_or_b64 exec, exec, s[14:15]
	v_add_co_u32_e64 v2, s[14:15], v6, v17
	v_lshlrev_b64 v[0:1], 3, v[0:1]
	v_addc_co_u32_e64 v3, s[14:15], v7, v18, s[14:15]
	v_add_co_u32_e64 v0, s[14:15], v2, v0
	v_addc_co_u32_e64 v1, s[14:15], v3, v1, s[14:15]
	s_and_saveexec_b64 s[14:15], vcc
	s_cbranch_execnz .LBB190_74
; %bb.42:
	s_or_b64 exec, exec, s[14:15]
	s_and_saveexec_b64 s[14:15], s[6:7]
	s_cbranch_execnz .LBB190_75
.LBB190_43:
	s_or_b64 exec, exec, s[14:15]
	s_and_saveexec_b64 s[6:7], s[10:11]
	s_cbranch_execnz .LBB190_76
.LBB190_44:
	s_or_b64 exec, exec, s[6:7]
	s_and_saveexec_b64 s[6:7], s[4:5]
	s_cbranch_execz .LBB190_46
.LBB190_45:
	v_add_co_u32_e32 v0, vcc, 0x1000, v0
	v_addc_co_u32_e32 v1, vcc, 0, v1, vcc
	flat_store_dwordx2 v[0:1], v[11:12] offset:2048
.LBB190_46:
	s_or_b64 exec, exec, s[6:7]
                                        ; implicit-def: $vgpr50
                                        ; implicit-def: $vgpr0
                                        ; implicit-def: $vgpr1
                                        ; implicit-def: $vgpr2
                                        ; implicit-def: $vgpr3
                                        ; implicit-def: $vgpr4
                                        ; implicit-def: $vgpr5
                                        ; implicit-def: $vgpr6
                                        ; implicit-def: $vgpr7
                                        ; implicit-def: $vgpr8
                                        ; implicit-def: $vgpr10
                                        ; implicit-def: $vgpr11
                                        ; implicit-def: $vgpr12
                                        ; implicit-def: $vgpr13
                                        ; implicit-def: $vgpr31
                                        ; implicit-def: $vgpr15
                                        ; implicit-def: $vgpr18
                                        ; implicit-def: $vgpr17
.LBB190_47:
	s_andn2_saveexec_b64 s[4:5], s[56:57]
	s_cbranch_execz .LBB190_106
; %bb.48:
	s_load_dwordx2 s[4:5], s[8:9], 0x0
	v_mov_b32_e32 v9, 0
	v_and_b32_e32 v16, 0x3ff, v31
	s_waitcnt lgkmcnt(0)
	s_cmp_lt_u32 s13, s5
	s_cselect_b32 s5, 14, 20
	s_add_u32 s6, s8, s5
	s_addc_u32 s7, s9, 0
	s_cmp_lt_u32 s12, s4
	s_cselect_b32 s4, 12, 18
	s_add_u32 s4, s8, s4
	global_load_ushort v14, v9, s[6:7]
	s_addc_u32 s5, s9, 0
	global_load_ushort v19, v9, s[4:5]
	s_waitcnt vmcnt(0)
	v_mad_u32_u24 v14, v18, v14, v15
	v_mad_u64_u32 v[14:15], s[4:5], v14, v19, v[16:17]
	s_movk_i32 s4, 0x100
	v_cmp_lt_u32_e32 vcc, s4, v50
	s_and_saveexec_b64 s[4:5], vcc
	s_xor_b64 s[42:43], exec, s[4:5]
	s_cbranch_execz .LBB190_86
; %bb.49:
	v_add_co_u32_e32 v0, vcc, v0, v8
	v_mbcnt_hi_u32_b32 v20, -1, v17
	v_addc_co_u32_e32 v1, vcc, 0, v1, vcc
	v_and_b32_e32 v19, 63, v20
	v_lshlrev_b32_e32 v15, 1, v14
	v_add_co_u32_e32 v0, vcc, v0, v19
	v_and_b32_e32 v17, 0xffffff80, v15
	v_addc_co_u32_e32 v1, vcc, 0, v1, vcc
	v_add_co_u32_e32 v0, vcc, v0, v17
	v_addc_co_u32_e32 v1, vcc, 0, v1, vcc
	v_or_b32_e32 v21, v19, v17
	v_mov_b32_e32 v18, v9
	v_cmp_lt_u32_e32 vcc, v21, v50
	v_mov_b32_e32 v15, 0xff
	v_mov_b32_e32 v32, 0xff
	s_and_saveexec_b64 s[4:5], vcc
	s_cbranch_execz .LBB190_51
; %bb.50:
	flat_load_ubyte v32, v[0:1]
.LBB190_51:
	s_or_b64 exec, exec, s[4:5]
	v_or_b32_e32 v21, 64, v21
	v_cmp_lt_u32_e64 s[4:5], v21, v50
	s_and_saveexec_b64 s[6:7], s[4:5]
	s_cbranch_execz .LBB190_53
; %bb.52:
	flat_load_ubyte v15, v[0:1] offset:64
.LBB190_53:
	s_or_b64 exec, exec, s[6:7]
	v_lshlrev_b64 v[0:1], 3, v[8:9]
	v_lshlrev_b32_e32 v9, 3, v19
	v_add_co_u32_e64 v4, s[6:7], v4, v0
	v_addc_co_u32_e64 v5, s[6:7], v5, v1, s[6:7]
	v_add_co_u32_e64 v9, s[6:7], v4, v9
	v_addc_co_u32_e64 v25, s[6:7], 0, v5, s[6:7]
	v_lshlrev_b64 v[4:5], 3, v[17:18]
	v_mov_b32_e32 v23, 0
	v_mov_b32_e32 v21, 0
	v_add_co_u32_e64 v4, s[6:7], v9, v4
	v_mov_b32_e32 v24, 0
	v_mov_b32_e32 v22, 0
	v_addc_co_u32_e64 v5, s[6:7], v25, v5, s[6:7]
	s_and_saveexec_b64 s[6:7], vcc
	s_cbranch_execz .LBB190_55
; %bb.54:
	flat_load_dwordx2 v[21:22], v[4:5]
.LBB190_55:
	s_or_b64 exec, exec, s[6:7]
	s_and_saveexec_b64 s[6:7], s[4:5]
	s_cbranch_execz .LBB190_57
; %bb.56:
	flat_load_dwordx2 v[23:24], v[4:5] offset:512
.LBB190_57:
	s_or_b64 exec, exec, s[6:7]
	v_lshl_add_u32 v4, v16, 4, v12
	s_getpc_b64 s[4:5]
	s_add_u32 s4, s4, _ZN7rocprim17ROCPRIM_400000_NS16block_radix_sortIhLj256ELj2ElLj1ELj1ELj8ELNS0_26block_radix_rank_algorithmE2ELNS0_18block_padding_hintE2ELNS0_4arch9wavefront6targetE1EE19radix_bits_per_passE@rel32@lo+4
	s_addc_u32 s5, s5, _ZN7rocprim17ROCPRIM_400000_NS16block_radix_sortIhLj256ELj2ElLj1ELj1ELj8ELNS0_26block_radix_rank_algorithmE2ELNS0_18block_padding_hintE2ELNS0_4arch9wavefront6targetE1EE19radix_bits_per_passE@rel32@hi+12
	v_add_u32_e32 v9, 16, v4
	v_add_u32_e32 v33, 20, v4
	;; [unrolled: 1-line block ×4, first 2 shown]
	v_and_b32_e32 v4, 15, v20
	s_load_dword s58, s[4:5], 0x0
	v_cmp_eq_u32_e32 vcc, 0, v4
	v_cmp_lt_u32_e64 s[4:5], 1, v4
	v_cmp_lt_u32_e64 s[6:7], 3, v4
	v_cmp_lt_u32_e64 s[8:9], 7, v4
	v_and_b32_e32 v4, 16, v20
	v_cmp_eq_u32_e64 s[10:11], 0, v4
	v_and_b32_e32 v4, 0x3c0, v16
	v_min_u32_e32 v4, 0xc0, v4
	v_or_b32_e32 v4, 63, v4
	v_cmp_eq_u32_e64 s[14:15], v16, v4
	v_subrev_co_u32_e64 v4, s[20:21], 1, v20
	v_and_b32_e32 v5, 64, v20
	v_cmp_lt_i32_e64 s[22:23], v4, v5
	v_and_b32_e32 v5, 3, v20
	v_cndmask_b32_e64 v4, v4, v20, s[22:23]
	v_cmp_eq_u32_e64 s[24:25], 0, v5
	v_cmp_lt_u32_e64 s[26:27], 1, v5
	v_lshlrev_b32_e32 v5, 1, v16
	s_movk_i32 s28, 0x780
	v_lshlrev_b32_e32 v37, 2, v4
	v_lshrrev_b32_e32 v4, 4, v16
	v_and_or_b32 v5, v5, s28, v19
	v_and_b32_e32 v4, 60, v4
	v_add_u32_e32 v49, v12, v5
	v_mul_u32_u24_e32 v5, 7, v5
	v_add_u32_e32 v38, v12, v4
	v_add_u32_e32 v52, v49, v5
	v_lshrrev_b32_e32 v36, 6, v14
	v_cmp_lt_u32_e64 s[12:13], 31, v20
	v_cmp_gt_u32_e64 s[16:17], 4, v16
	v_cmp_lt_u32_e64 s[18:19], 63, v16
	v_cmp_eq_u32_e64 s[22:23], 0, v16
	v_mov_b32_e32 v4, 0
	v_lshl_add_u32 v39, v16, 2, v12
	v_add_u32_e32 v48, -4, v38
	v_add_u32_e32 v51, 64, v49
	v_add_u32_e32 v53, 0x200, v52
	v_sub_u32_e32 v54, v11, v10
	s_mov_b64 s[44:45], 0
	s_waitcnt vmcnt(0) lgkmcnt(0)
	s_barrier
	s_branch .LBB190_59
.LBB190_58:                             ;   in Loop: Header=BB190_59 Depth=1
	s_or_b64 exec, exec, s[40:41]
	s_and_b64 s[28:29], exec, s[56:57]
	s_or_b64 s[44:45], s[28:29], s[44:45]
	s_andn2_b64 exec, exec, s[44:45]
	s_cbranch_execz .LBB190_77
.LBB190_59:                             ; =>This Inner Loop Header: Depth=1
	v_min_u32_e32 v5, s58, v54
	v_lshlrev_b32_e64 v5, v5, -1
	v_mov_b32_e32 v19, v21
	v_not_b32_e32 v25, v5
	v_lshrrev_b32_sdwa v5, v10, v32 dst_sel:DWORD dst_unused:UNUSED_PAD src0_sel:DWORD src1_sel:BYTE_0
	v_mov_b32_e32 v20, v22
	v_and_b32_e32 v21, v5, v25
	v_lshlrev_b32_e32 v5, 2, v21
	v_add_lshl_u32 v5, v5, v36, 2
	v_mov_b32_e32 v17, v23
	v_add_co_u32_e64 v5, s[28:29], v12, v5
	v_mov_b32_e32 v18, v24
	v_add_co_u32_e64 v23, s[28:29], 16, v5
	v_and_b32_e32 v5, 1, v21
	v_add_co_u32_e64 v22, s[28:29], -1, v5
	v_addc_co_u32_e64 v24, s[28:29], 0, -1, s[28:29]
	v_cmp_ne_u32_e64 s[28:29], 0, v5
	v_xor_b32_e32 v5, s29, v24
	v_and_b32_e32 v24, exec_hi, v5
	v_lshlrev_b32_e32 v5, 30, v21
	v_xor_b32_e32 v22, s28, v22
	v_cmp_gt_i64_e64 s[28:29], 0, v[4:5]
	v_not_b32_e32 v5, v5
	v_ashrrev_i32_e32 v5, 31, v5
	v_and_b32_e32 v22, exec_lo, v22
	v_xor_b32_e32 v26, s29, v5
	v_xor_b32_e32 v5, s28, v5
	v_and_b32_e32 v22, v22, v5
	v_lshlrev_b32_e32 v5, 29, v21
	v_cmp_gt_i64_e64 s[28:29], 0, v[4:5]
	v_not_b32_e32 v5, v5
	v_ashrrev_i32_e32 v5, 31, v5
	v_and_b32_e32 v24, v24, v26
	v_xor_b32_e32 v26, s29, v5
	v_xor_b32_e32 v5, s28, v5
	v_and_b32_e32 v22, v22, v5
	v_lshlrev_b32_e32 v5, 28, v21
	v_cmp_gt_i64_e64 s[28:29], 0, v[4:5]
	v_not_b32_e32 v5, v5
	v_ashrrev_i32_e32 v5, 31, v5
	v_and_b32_e32 v24, v24, v26
	;; [unrolled: 8-line block ×5, first 2 shown]
	v_xor_b32_e32 v26, s29, v5
	v_xor_b32_e32 v5, s28, v5
	v_and_b32_e32 v24, v24, v26
	v_and_b32_e32 v26, v22, v5
	v_lshlrev_b32_e32 v5, 24, v21
	v_cmp_gt_i64_e64 s[28:29], 0, v[4:5]
	v_not_b32_e32 v5, v5
	v_ashrrev_i32_e32 v5, 31, v5
	v_xor_b32_e32 v21, s29, v5
	v_xor_b32_e32 v5, s28, v5
	v_and_b32_e32 v22, v24, v21
	v_and_b32_e32 v21, v26, v5
	v_mbcnt_lo_u32_b32 v5, v21, 0
	v_mbcnt_hi_u32_b32 v24, v22, v5
	v_cmp_ne_u64_e64 s[28:29], 0, v[21:22]
	v_cmp_eq_u32_e64 s[40:41], 0, v24
	s_and_b64 s[40:41], s[28:29], s[40:41]
	ds_write_b32 v9, v4
	ds_write_b32 v33, v4
	;; [unrolled: 1-line block ×4, first 2 shown]
	s_waitcnt lgkmcnt(0)
	s_barrier
	; wave barrier
	s_and_saveexec_b64 s[28:29], s[40:41]
; %bb.60:                               ;   in Loop: Header=BB190_59 Depth=1
	v_bcnt_u32_b32 v5, v21, 0
	v_bcnt_u32_b32 v5, v22, v5
	ds_write_b32 v23, v5
; %bb.61:                               ;   in Loop: Header=BB190_59 Depth=1
	s_or_b64 exec, exec, s[28:29]
	v_lshrrev_b32_sdwa v5, v10, v15 dst_sel:DWORD dst_unused:UNUSED_PAD src0_sel:DWORD src1_sel:BYTE_0
	v_and_b32_e32 v21, v5, v25
	v_lshl_add_u32 v5, v21, 2, v36
	v_lshl_add_u32 v5, v5, 2, v12
	; wave barrier
	v_add_u32_e32 v26, 16, v5
	ds_read_b32 v25, v5 offset:16
	v_and_b32_e32 v5, 1, v21
	v_add_co_u32_e64 v22, s[28:29], -1, v5
	v_addc_co_u32_e64 v27, s[28:29], 0, -1, s[28:29]
	v_cmp_ne_u32_e64 s[28:29], 0, v5
	v_xor_b32_e32 v5, s29, v27
	v_and_b32_e32 v27, exec_hi, v5
	v_lshlrev_b32_e32 v5, 30, v21
	v_xor_b32_e32 v22, s28, v22
	v_cmp_gt_i64_e64 s[28:29], 0, v[4:5]
	v_not_b32_e32 v5, v5
	v_ashrrev_i32_e32 v5, 31, v5
	v_and_b32_e32 v22, exec_lo, v22
	v_xor_b32_e32 v28, s29, v5
	v_xor_b32_e32 v5, s28, v5
	v_and_b32_e32 v22, v22, v5
	v_lshlrev_b32_e32 v5, 29, v21
	v_cmp_gt_i64_e64 s[28:29], 0, v[4:5]
	v_not_b32_e32 v5, v5
	v_ashrrev_i32_e32 v5, 31, v5
	v_and_b32_e32 v27, v27, v28
	v_xor_b32_e32 v28, s29, v5
	v_xor_b32_e32 v5, s28, v5
	v_and_b32_e32 v22, v22, v5
	v_lshlrev_b32_e32 v5, 28, v21
	v_cmp_gt_i64_e64 s[28:29], 0, v[4:5]
	v_not_b32_e32 v5, v5
	v_ashrrev_i32_e32 v5, 31, v5
	v_and_b32_e32 v27, v27, v28
	;; [unrolled: 8-line block ×5, first 2 shown]
	v_xor_b32_e32 v28, s29, v5
	v_xor_b32_e32 v5, s28, v5
	v_and_b32_e32 v27, v27, v28
	v_and_b32_e32 v28, v22, v5
	v_lshlrev_b32_e32 v5, 24, v21
	v_cmp_gt_i64_e64 s[28:29], 0, v[4:5]
	v_not_b32_e32 v5, v5
	v_ashrrev_i32_e32 v5, 31, v5
	v_xor_b32_e32 v21, s29, v5
	v_xor_b32_e32 v5, s28, v5
	v_and_b32_e32 v22, v27, v21
	v_and_b32_e32 v21, v28, v5
	v_mbcnt_lo_u32_b32 v5, v21, 0
	v_mbcnt_hi_u32_b32 v5, v22, v5
	v_cmp_ne_u64_e64 s[28:29], 0, v[21:22]
	v_cmp_eq_u32_e64 s[40:41], 0, v5
	s_and_b64 s[40:41], s[28:29], s[40:41]
	; wave barrier
	s_and_saveexec_b64 s[28:29], s[40:41]
	s_cbranch_execz .LBB190_63
; %bb.62:                               ;   in Loop: Header=BB190_59 Depth=1
	v_bcnt_u32_b32 v21, v21, 0
	v_bcnt_u32_b32 v21, v22, v21
	s_waitcnt lgkmcnt(0)
	v_add_u32_e32 v21, v25, v21
	ds_write_b32 v26, v21
.LBB190_63:                             ;   in Loop: Header=BB190_59 Depth=1
	s_or_b64 exec, exec, s[28:29]
	; wave barrier
	s_waitcnt lgkmcnt(0)
	s_barrier
	ds_read_b32 v27, v9
	ds_read_b32 v22, v33
	;; [unrolled: 1-line block ×4, first 2 shown]
	s_waitcnt lgkmcnt(2)
	v_add_u32_e32 v29, v22, v27
	s_waitcnt lgkmcnt(0)
	v_add3_u32 v28, v29, v21, v28
	s_nop 1
	v_mov_b32_dpp v29, v28 row_shr:1 row_mask:0xf bank_mask:0xf
	v_cndmask_b32_e64 v29, v29, 0, vcc
	v_add_u32_e32 v28, v29, v28
	s_nop 1
	v_mov_b32_dpp v29, v28 row_shr:2 row_mask:0xf bank_mask:0xf
	v_cndmask_b32_e64 v29, 0, v29, s[4:5]
	v_add_u32_e32 v28, v28, v29
	s_nop 1
	v_mov_b32_dpp v29, v28 row_shr:4 row_mask:0xf bank_mask:0xf
	v_cndmask_b32_e64 v29, 0, v29, s[6:7]
	;; [unrolled: 4-line block ×3, first 2 shown]
	v_add_u32_e32 v28, v28, v29
	s_nop 1
	v_mov_b32_dpp v29, v28 row_bcast:15 row_mask:0xf bank_mask:0xf
	v_cndmask_b32_e64 v29, v29, 0, s[10:11]
	v_add_u32_e32 v28, v28, v29
	s_nop 1
	v_mov_b32_dpp v29, v28 row_bcast:31 row_mask:0xf bank_mask:0xf
	v_cndmask_b32_e64 v29, 0, v29, s[12:13]
	v_add_u32_e32 v28, v28, v29
	s_and_saveexec_b64 s[28:29], s[14:15]
; %bb.64:                               ;   in Loop: Header=BB190_59 Depth=1
	ds_write_b32 v38, v28
; %bb.65:                               ;   in Loop: Header=BB190_59 Depth=1
	s_or_b64 exec, exec, s[28:29]
	s_waitcnt lgkmcnt(0)
	s_barrier
	s_and_saveexec_b64 s[28:29], s[16:17]
	s_cbranch_execz .LBB190_67
; %bb.66:                               ;   in Loop: Header=BB190_59 Depth=1
	ds_read_b32 v29, v39
	s_waitcnt lgkmcnt(0)
	s_nop 0
	v_mov_b32_dpp v30, v29 row_shr:1 row_mask:0xf bank_mask:0xf
	v_cndmask_b32_e64 v30, v30, 0, s[24:25]
	v_add_u32_e32 v29, v30, v29
	s_nop 1
	v_mov_b32_dpp v30, v29 row_shr:2 row_mask:0xf bank_mask:0xf
	v_cndmask_b32_e64 v30, 0, v30, s[26:27]
	v_add_u32_e32 v29, v29, v30
	ds_write_b32 v39, v29
.LBB190_67:                             ;   in Loop: Header=BB190_59 Depth=1
	s_or_b64 exec, exec, s[28:29]
	v_mov_b32_e32 v29, 0
	s_waitcnt lgkmcnt(0)
	s_barrier
	s_and_saveexec_b64 s[28:29], s[18:19]
; %bb.68:                               ;   in Loop: Header=BB190_59 Depth=1
	ds_read_b32 v29, v48
; %bb.69:                               ;   in Loop: Header=BB190_59 Depth=1
	s_or_b64 exec, exec, s[28:29]
	s_waitcnt lgkmcnt(0)
	v_add_u32_e32 v28, v29, v28
	ds_bpermute_b32 v28, v37, v28
	v_add_u32_e32 v10, 8, v10
	v_mov_b32_e32 v55, v32
	v_mov_b32_e32 v64, v15
	s_mov_b64 s[56:57], -1
	s_waitcnt lgkmcnt(0)
	v_cndmask_b32_e64 v28, v28, v29, s[20:21]
	v_cndmask_b32_e64 v28, v28, 0, s[22:23]
	v_add_u32_e32 v27, v28, v27
	v_add_u32_e32 v22, v27, v22
	;; [unrolled: 1-line block ×3, first 2 shown]
	ds_write_b32 v9, v28
	ds_write_b32 v33, v27
	;; [unrolled: 1-line block ×4, first 2 shown]
	s_waitcnt lgkmcnt(0)
	s_barrier
	ds_read_b32 v21, v23
	ds_read_b32 v22, v26
	s_waitcnt lgkmcnt(0)
	v_add_u32_e32 v21, v21, v24
	v_add_co_u32_e64 v28, s[28:29], v12, v21
	v_add3_u32 v5, v5, v25, v22
	v_addc_co_u32_e64 v29, s[28:29], 0, v13, s[28:29]
	v_add_co_u32_e64 v30, s[28:29], v12, v5
	v_addc_co_u32_e64 v31, s[28:29], 0, v13, s[28:29]
	v_mad_u64_u32 v[25:26], s[28:29], v21, 7, v[28:29]
	v_mad_u64_u32 v[26:27], s[28:29], v5, 7, v[30:31]
	v_cmp_lt_u32_e64 s[28:29], v10, v11
                                        ; implicit-def: $vgpr23_vgpr24
                                        ; implicit-def: $vgpr21_vgpr22
	s_and_saveexec_b64 s[40:41], s[28:29]
	s_cbranch_execz .LBB190_58
; %bb.70:                               ;   in Loop: Header=BB190_59 Depth=1
	s_barrier
	ds_write_b8 v28, v32
	ds_write_b8 v30, v15
	s_waitcnt lgkmcnt(0)
	s_barrier
	ds_read_u8 v15, v51
	ds_read_u8 v32, v49
	s_waitcnt lgkmcnt(0)
	s_barrier
	ds_write_b64 v25, v[19:20]
	ds_write_b64 v26, v[17:18]
	s_waitcnt lgkmcnt(0)
	s_barrier
	ds_read_b64 v[21:22], v52
	ds_read_b64 v[23:24], v53
	v_add_u32_e32 v54, -8, v54
	s_xor_b64 s[56:57], exec, -1
	s_waitcnt lgkmcnt(0)
	s_barrier
	s_branch .LBB190_58
.LBB190_71:
	flat_load_dwordx2 v[25:26], v[4:5]
	s_or_b64 exec, exec, s[14:15]
                                        ; implicit-def: $vgpr27_vgpr28
	s_and_saveexec_b64 s[14:15], s[4:5]
	s_cbranch_execz .LBB190_12
.LBB190_72:
	flat_load_dwordx2 v[27:28], v[4:5] offset:512
	s_or_b64 exec, exec, s[14:15]
                                        ; implicit-def: $vgpr29_vgpr30
	s_and_saveexec_b64 s[4:5], s[6:7]
	s_cbranch_execz .LBB190_13
.LBB190_73:
	flat_load_dwordx2 v[29:30], v[4:5] offset:1024
	s_or_b64 exec, exec, s[4:5]
                                        ; implicit-def: $vgpr31_vgpr32
	s_and_saveexec_b64 s[4:5], s[10:11]
	s_cbranch_execnz .LBB190_14
	s_branch .LBB190_15
.LBB190_74:
	flat_store_dwordx2 v[0:1], v[13:14]
	s_or_b64 exec, exec, s[14:15]
	s_and_saveexec_b64 s[14:15], s[6:7]
	s_cbranch_execz .LBB190_43
.LBB190_75:
	flat_store_dwordx2 v[0:1], v[15:16] offset:2048
	s_or_b64 exec, exec, s[14:15]
	s_and_saveexec_b64 s[6:7], s[10:11]
	s_cbranch_execz .LBB190_44
.LBB190_76:
	v_add_co_u32_e32 v2, vcc, 0x1000, v0
	v_addc_co_u32_e32 v3, vcc, 0, v1, vcc
	flat_store_dwordx2 v[2:3], v[9:10]
	s_or_b64 exec, exec, s[6:7]
	s_and_saveexec_b64 s[6:7], s[4:5]
	s_cbranch_execnz .LBB190_45
	s_branch .LBB190_46
.LBB190_77:
	s_or_b64 exec, exec, s[44:45]
	v_add_u32_e32 v9, v12, v16
	v_mul_u32_u24_e32 v10, 7, v16
	s_barrier
	ds_write_b8 v28, v55
	ds_write_b8 v30, v64
	s_waitcnt lgkmcnt(0)
	s_barrier
	ds_read_u8 v5, v9
	ds_read_u8 v4, v9 offset:256
	v_add_u32_e32 v9, v9, v10
	s_waitcnt lgkmcnt(0)
	s_barrier
	ds_write_b64 v25, v[19:20]
	ds_write_b64 v26, v[17:18]
	s_waitcnt lgkmcnt(0)
	s_barrier
	ds_read2st64_b64 v[9:12], v9 offset1:4
	v_add_co_u32_e32 v2, vcc, v2, v8
	v_addc_co_u32_e32 v3, vcc, 0, v3, vcc
	v_add_co_u32_e32 v2, vcc, v2, v14
	v_addc_co_u32_e32 v3, vcc, 0, v3, vcc
	v_mov_b32_e32 v15, 0
	v_cmp_lt_u32_e32 vcc, v14, v50
	s_waitcnt lgkmcnt(0)
	s_barrier
	s_and_saveexec_b64 s[4:5], vcc
	s_cbranch_execz .LBB190_79
; %bb.78:
	flat_store_byte v[2:3], v5
.LBB190_79:
	s_or_b64 exec, exec, s[4:5]
	v_add_u32_e32 v5, 0x100, v14
	v_cmp_lt_u32_e64 s[4:5], v5, v50
	s_and_saveexec_b64 s[6:7], s[4:5]
	s_cbranch_execz .LBB190_81
; %bb.80:
	flat_store_byte v[2:3], v4 offset:256
.LBB190_81:
	s_or_b64 exec, exec, s[6:7]
	v_add_co_u32_e64 v2, s[6:7], v6, v0
	v_addc_co_u32_e64 v3, s[6:7], v7, v1, s[6:7]
	v_lshlrev_b64 v[0:1], 3, v[14:15]
	v_add_co_u32_e64 v0, s[6:7], v2, v0
	v_addc_co_u32_e64 v1, s[6:7], v3, v1, s[6:7]
	s_and_saveexec_b64 s[6:7], vcc
	s_cbranch_execz .LBB190_83
; %bb.82:
	flat_store_dwordx2 v[0:1], v[9:10]
.LBB190_83:
	s_or_b64 exec, exec, s[6:7]
	s_and_saveexec_b64 s[6:7], s[4:5]
	s_cbranch_execz .LBB190_85
; %bb.84:
	flat_store_dwordx2 v[0:1], v[11:12] offset:2048
.LBB190_85:
	s_or_b64 exec, exec, s[6:7]
                                        ; implicit-def: $vgpr16
                                        ; implicit-def: $vgpr14_vgpr15
                                        ; implicit-def: $vgpr8_vgpr9
                                        ; implicit-def: $vgpr50
                                        ; implicit-def: $vgpr0
                                        ; implicit-def: $vgpr1
                                        ; implicit-def: $vgpr2
                                        ; implicit-def: $vgpr3
                                        ; implicit-def: $vgpr4
                                        ; implicit-def: $vgpr5
                                        ; implicit-def: $vgpr6
                                        ; implicit-def: $vgpr7
                                        ; implicit-def: $vgpr10
                                        ; implicit-def: $vgpr11
                                        ; implicit-def: $vgpr12
                                        ; implicit-def: $vgpr13
                                        ; implicit-def: $vgpr17
.LBB190_86:
	s_andn2_saveexec_b64 s[4:5], s[42:43]
	s_cbranch_execz .LBB190_106
; %bb.87:
	v_mbcnt_hi_u32_b32 v22, -1, v17
	v_bfi_b32 v15, 63, v22, v14
	v_and_b32_e32 v21, 63, v22
	v_and_b32_e32 v17, 0xffffffc0, v14
	v_cmp_lt_u32_e32 vcc, v15, v50
	v_mov_b32_e32 v34, 0xff
	s_and_saveexec_b64 s[6:7], vcc
	s_cbranch_execz .LBB190_89
; %bb.88:
	v_add_co_u32_e64 v0, s[4:5], v0, v8
	v_addc_co_u32_e64 v1, s[4:5], 0, v1, s[4:5]
	v_add_co_u32_e64 v0, s[4:5], v0, v21
	v_addc_co_u32_e64 v1, s[4:5], 0, v1, s[4:5]
	;; [unrolled: 2-line block ×3, first 2 shown]
	flat_load_ubyte v34, v[0:1]
.LBB190_89:
	s_or_b64 exec, exec, s[6:7]
	v_lshlrev_b64 v[0:1], 3, v[8:9]
                                        ; implicit-def: $vgpr19_vgpr20
	s_and_saveexec_b64 s[4:5], vcc
	s_cbranch_execz .LBB190_91
; %bb.90:
	v_add_co_u32_e32 v4, vcc, v4, v0
	v_addc_co_u32_e32 v5, vcc, v5, v1, vcc
	v_lshlrev_b32_e32 v9, 3, v21
	v_mov_b32_e32 v18, 0
	v_add_co_u32_e32 v9, vcc, v4, v9
	v_addc_co_u32_e32 v15, vcc, 0, v5, vcc
	v_lshlrev_b64 v[4:5], 3, v[17:18]
	v_add_co_u32_e32 v4, vcc, v9, v4
	v_addc_co_u32_e32 v5, vcc, v15, v5, vcc
	flat_load_dwordx2 v[19:20], v[4:5]
.LBB190_91:
	s_or_b64 exec, exec, s[4:5]
	v_lshl_add_u32 v4, v16, 4, v12
	s_getpc_b64 s[4:5]
	s_add_u32 s4, s4, _ZN7rocprim17ROCPRIM_400000_NS16block_radix_sortIhLj256ELj1ElLj1ELj1ELj8ELNS0_26block_radix_rank_algorithmE2ELNS0_18block_padding_hintE2ELNS0_4arch9wavefront6targetE1EE19radix_bits_per_passE@rel32@lo+4
	s_addc_u32 s5, s5, _ZN7rocprim17ROCPRIM_400000_NS16block_radix_sortIhLj256ELj1ElLj1ELj1ELj8ELNS0_26block_radix_rank_algorithmE2ELNS0_18block_padding_hintE2ELNS0_4arch9wavefront6targetE1EE19radix_bits_per_passE@rel32@hi+12
	v_add_u32_e32 v9, 16, v4
	v_add_u32_e32 v15, 20, v4
	v_add_u32_e32 v23, 24, v4
	v_add_u32_e32 v24, 28, v4
	v_and_b32_e32 v4, 15, v22
	s_load_dword s56, s[4:5], 0x0
	v_cmp_eq_u32_e32 vcc, 0, v4
	v_cmp_lt_u32_e64 s[4:5], 1, v4
	v_cmp_lt_u32_e64 s[6:7], 3, v4
	;; [unrolled: 1-line block ×3, first 2 shown]
	v_and_b32_e32 v4, 16, v22
	v_and_b32_e32 v5, 0x3c0, v16
	v_cmp_eq_u32_e64 s[10:11], 0, v4
	v_min_u32_e32 v4, 0xc0, v5
	v_or_b32_e32 v4, 63, v4
	v_cmp_eq_u32_e64 s[14:15], v16, v4
	v_subrev_co_u32_e64 v4, s[20:21], 1, v22
	v_and_b32_e32 v17, 64, v22
	v_cmp_lt_i32_e64 s[22:23], v4, v17
	v_cndmask_b32_e64 v4, v4, v22, s[22:23]
	v_lshlrev_b32_e32 v26, 2, v4
	v_lshrrev_b32_e32 v4, 4, v16
	v_and_b32_e32 v4, 60, v4
	v_or_b32_e32 v5, v21, v5
	v_add_u32_e32 v27, v12, v4
	v_and_b32_e32 v17, 3, v22
	v_add_u32_e32 v30, v12, v5
	v_mul_u32_u24_e32 v5, 7, v5
	v_lshrrev_b32_e32 v25, 6, v14
	v_cmp_lt_u32_e64 s[12:13], 31, v22
	v_cmp_gt_u32_e64 s[16:17], 4, v16
	v_cmp_lt_u32_e64 s[18:19], 63, v16
	v_cmp_eq_u32_e64 s[22:23], 0, v16
	v_mov_b32_e32 v4, 0
	v_lshl_add_u32 v28, v16, 2, v12
	v_cmp_eq_u32_e64 s[24:25], 0, v17
	v_cmp_lt_u32_e64 s[26:27], 1, v17
	v_add_u32_e32 v29, -4, v27
	v_add_u32_e32 v31, v30, v5
	s_mov_b64 s[42:43], 0
	v_sub_u32_e32 v32, v11, v10
	s_waitcnt vmcnt(0) lgkmcnt(0)
	s_barrier
	s_branch .LBB190_93
.LBB190_92:                             ;   in Loop: Header=BB190_93 Depth=1
	s_or_b64 exec, exec, s[40:41]
	s_and_b64 s[28:29], exec, s[44:45]
	s_or_b64 s[42:43], s[28:29], s[42:43]
	s_andn2_b64 exec, exec, s[42:43]
	s_cbranch_execz .LBB190_103
.LBB190_93:                             ; =>This Inner Loop Header: Depth=1
	v_mov_b32_e32 v17, v19
	v_mov_b32_e32 v33, v34
	;; [unrolled: 1-line block ×3, first 2 shown]
	v_min_u32_e32 v5, s56, v32
	v_lshrrev_b32_sdwa v19, v10, v33 dst_sel:DWORD dst_unused:UNUSED_PAD src0_sel:DWORD src1_sel:BYTE_0
	v_bfe_u32 v19, v19, 0, v5
	v_lshlrev_b32_e32 v5, 2, v19
	v_add_lshl_u32 v5, v5, v25, 2
	v_add_co_u32_e64 v5, s[28:29], v12, v5
	v_add_co_u32_e64 v21, s[28:29], 16, v5
	v_and_b32_e32 v5, 1, v19
	v_add_co_u32_e64 v20, s[28:29], -1, v5
	v_addc_co_u32_e64 v22, s[28:29], 0, -1, s[28:29]
	v_cmp_ne_u32_e64 s[28:29], 0, v5
	v_xor_b32_e32 v5, s29, v22
	v_and_b32_e32 v22, exec_hi, v5
	v_lshlrev_b32_e32 v5, 30, v19
	v_xor_b32_e32 v20, s28, v20
	v_cmp_gt_i64_e64 s[28:29], 0, v[4:5]
	v_not_b32_e32 v5, v5
	v_ashrrev_i32_e32 v5, 31, v5
	v_and_b32_e32 v20, exec_lo, v20
	v_xor_b32_e32 v34, s29, v5
	v_xor_b32_e32 v5, s28, v5
	v_and_b32_e32 v20, v20, v5
	v_lshlrev_b32_e32 v5, 29, v19
	v_cmp_gt_i64_e64 s[28:29], 0, v[4:5]
	v_not_b32_e32 v5, v5
	v_ashrrev_i32_e32 v5, 31, v5
	v_and_b32_e32 v22, v22, v34
	v_xor_b32_e32 v34, s29, v5
	v_xor_b32_e32 v5, s28, v5
	v_and_b32_e32 v20, v20, v5
	v_lshlrev_b32_e32 v5, 28, v19
	v_cmp_gt_i64_e64 s[28:29], 0, v[4:5]
	v_not_b32_e32 v5, v5
	v_ashrrev_i32_e32 v5, 31, v5
	v_and_b32_e32 v22, v22, v34
	;; [unrolled: 8-line block ×5, first 2 shown]
	v_xor_b32_e32 v34, s29, v5
	v_xor_b32_e32 v5, s28, v5
	v_and_b32_e32 v22, v22, v34
	v_and_b32_e32 v34, v20, v5
	v_lshlrev_b32_e32 v5, 24, v19
	v_cmp_gt_i64_e64 s[28:29], 0, v[4:5]
	v_not_b32_e32 v5, v5
	v_ashrrev_i32_e32 v5, 31, v5
	v_xor_b32_e32 v19, s29, v5
	v_xor_b32_e32 v5, s28, v5
	v_and_b32_e32 v20, v22, v19
	v_and_b32_e32 v19, v34, v5
	v_mbcnt_lo_u32_b32 v5, v19, 0
	v_mbcnt_hi_u32_b32 v5, v20, v5
	v_cmp_ne_u64_e64 s[28:29], 0, v[19:20]
	v_cmp_eq_u32_e64 s[40:41], 0, v5
	s_and_b64 s[40:41], s[28:29], s[40:41]
	ds_write_b32 v9, v4
	ds_write_b32 v15, v4
	;; [unrolled: 1-line block ×4, first 2 shown]
	s_waitcnt lgkmcnt(0)
	s_barrier
	; wave barrier
	s_and_saveexec_b64 s[28:29], s[40:41]
; %bb.94:                               ;   in Loop: Header=BB190_93 Depth=1
	v_bcnt_u32_b32 v19, v19, 0
	v_bcnt_u32_b32 v19, v20, v19
	ds_write_b32 v21, v19
; %bb.95:                               ;   in Loop: Header=BB190_93 Depth=1
	s_or_b64 exec, exec, s[28:29]
	; wave barrier
	s_waitcnt lgkmcnt(0)
	s_barrier
	ds_read_b32 v22, v9
	ds_read_b32 v20, v15
	;; [unrolled: 1-line block ×4, first 2 shown]
	s_waitcnt lgkmcnt(2)
	v_add_u32_e32 v35, v20, v22
	s_waitcnt lgkmcnt(0)
	v_add3_u32 v34, v35, v19, v34
	s_nop 1
	v_mov_b32_dpp v35, v34 row_shr:1 row_mask:0xf bank_mask:0xf
	v_cndmask_b32_e64 v35, v35, 0, vcc
	v_add_u32_e32 v34, v35, v34
	s_nop 1
	v_mov_b32_dpp v35, v34 row_shr:2 row_mask:0xf bank_mask:0xf
	v_cndmask_b32_e64 v35, 0, v35, s[4:5]
	v_add_u32_e32 v34, v34, v35
	s_nop 1
	v_mov_b32_dpp v35, v34 row_shr:4 row_mask:0xf bank_mask:0xf
	v_cndmask_b32_e64 v35, 0, v35, s[6:7]
	;; [unrolled: 4-line block ×3, first 2 shown]
	v_add_u32_e32 v34, v34, v35
	s_nop 1
	v_mov_b32_dpp v35, v34 row_bcast:15 row_mask:0xf bank_mask:0xf
	v_cndmask_b32_e64 v35, v35, 0, s[10:11]
	v_add_u32_e32 v34, v34, v35
	s_nop 1
	v_mov_b32_dpp v35, v34 row_bcast:31 row_mask:0xf bank_mask:0xf
	v_cndmask_b32_e64 v35, 0, v35, s[12:13]
	v_add_u32_e32 v34, v34, v35
	s_and_saveexec_b64 s[28:29], s[14:15]
; %bb.96:                               ;   in Loop: Header=BB190_93 Depth=1
	ds_write_b32 v27, v34
; %bb.97:                               ;   in Loop: Header=BB190_93 Depth=1
	s_or_b64 exec, exec, s[28:29]
	s_waitcnt lgkmcnt(0)
	s_barrier
	s_and_saveexec_b64 s[28:29], s[16:17]
	s_cbranch_execz .LBB190_99
; %bb.98:                               ;   in Loop: Header=BB190_93 Depth=1
	ds_read_b32 v35, v28
	s_waitcnt lgkmcnt(0)
	s_nop 0
	v_mov_b32_dpp v36, v35 row_shr:1 row_mask:0xf bank_mask:0xf
	v_cndmask_b32_e64 v36, v36, 0, s[24:25]
	v_add_u32_e32 v35, v36, v35
	s_nop 1
	v_mov_b32_dpp v36, v35 row_shr:2 row_mask:0xf bank_mask:0xf
	v_cndmask_b32_e64 v36, 0, v36, s[26:27]
	v_add_u32_e32 v35, v35, v36
	ds_write_b32 v28, v35
.LBB190_99:                             ;   in Loop: Header=BB190_93 Depth=1
	s_or_b64 exec, exec, s[28:29]
	v_mov_b32_e32 v35, 0
	s_waitcnt lgkmcnt(0)
	s_barrier
	s_and_saveexec_b64 s[28:29], s[18:19]
; %bb.100:                              ;   in Loop: Header=BB190_93 Depth=1
	ds_read_b32 v35, v29
; %bb.101:                              ;   in Loop: Header=BB190_93 Depth=1
	s_or_b64 exec, exec, s[28:29]
	s_waitcnt lgkmcnt(0)
	v_add_u32_e32 v34, v35, v34
	ds_bpermute_b32 v34, v26, v34
	v_add_u32_e32 v10, 8, v10
	v_cmp_lt_u32_e64 s[28:29], v10, v11
	s_mov_b64 s[44:45], -1
	s_waitcnt lgkmcnt(0)
	v_cndmask_b32_e64 v34, v34, v35, s[20:21]
	v_cndmask_b32_e64 v34, v34, 0, s[22:23]
	v_add_u32_e32 v22, v34, v22
	v_add_u32_e32 v20, v22, v20
	;; [unrolled: 1-line block ×3, first 2 shown]
	ds_write_b32 v9, v34
	ds_write_b32 v15, v22
	ds_write_b32 v23, v20
	ds_write_b32 v24, v19
	s_waitcnt lgkmcnt(0)
	s_barrier
	ds_read_b32 v19, v21
	s_waitcnt lgkmcnt(0)
                                        ; implicit-def: $vgpr34
	v_add_u32_e32 v5, v19, v5
	v_add_co_u32_e64 v21, s[40:41], v12, v5
	v_addc_co_u32_e64 v22, s[40:41], 0, v13, s[40:41]
                                        ; implicit-def: $vgpr19_vgpr20
	s_and_saveexec_b64 s[40:41], s[28:29]
	s_cbranch_execz .LBB190_92
; %bb.102:                              ;   in Loop: Header=BB190_93 Depth=1
	v_mad_u64_u32 v[19:20], s[28:29], v5, 7, v[21:22]
	s_barrier
	ds_write_b8 v21, v33
	s_waitcnt lgkmcnt(0)
	s_barrier
	ds_read_u8 v34, v30
	s_waitcnt lgkmcnt(0)
	s_barrier
	ds_write_b64 v19, v[17:18]
	s_waitcnt lgkmcnt(0)
	s_barrier
	ds_read_b64 v[19:20], v31
	v_add_u32_e32 v32, -8, v32
	s_xor_b64 s[44:45], exec, -1
	s_waitcnt lgkmcnt(0)
	s_barrier
	s_branch .LBB190_92
.LBB190_103:
	s_or_b64 exec, exec, s[42:43]
	v_mad_u64_u32 v[4:5], s[4:5], v5, 7, v[21:22]
	v_add_u32_e32 v10, v12, v16
	s_barrier
	ds_write_b8 v21, v33
	s_waitcnt lgkmcnt(0)
	s_barrier
	ds_read_u8 v9, v10
	s_waitcnt lgkmcnt(0)
	s_barrier
	ds_write_b64 v4, v[17:18]
	v_mul_u32_u24_e32 v4, 7, v16
	v_add_u32_e32 v4, v10, v4
	s_waitcnt lgkmcnt(0)
	s_barrier
	ds_read_b64 v[4:5], v4
	v_cmp_lt_u32_e32 vcc, v14, v50
	s_waitcnt lgkmcnt(0)
	s_barrier
	s_and_saveexec_b64 s[4:5], vcc
	s_cbranch_execz .LBB190_105
; %bb.104:
	v_add_co_u32_e32 v2, vcc, v2, v8
	v_addc_co_u32_e32 v3, vcc, 0, v3, vcc
	v_add_co_u32_e32 v2, vcc, v2, v14
	v_addc_co_u32_e32 v3, vcc, 0, v3, vcc
	v_mov_b32_e32 v15, 0
	v_add_co_u32_e32 v6, vcc, v6, v0
	v_addc_co_u32_e32 v7, vcc, v7, v1, vcc
	v_lshlrev_b64 v[0:1], 3, v[14:15]
	v_add_co_u32_e32 v0, vcc, v6, v0
	v_addc_co_u32_e32 v1, vcc, v7, v1, vcc
	flat_store_byte v[2:3], v9
	flat_store_dwordx2 v[0:1], v[4:5]
.LBB190_105:
	s_or_b64 exec, exec, s[4:5]
.LBB190_106:
	s_or_b64 exec, exec, s[46:47]
	s_waitcnt vmcnt(0) lgkmcnt(0)
	s_setpc_b64 s[30:31]
.Lfunc_end190:
	.size	_ZN7rocprim17ROCPRIM_400000_NS6detail40segmented_radix_sort_single_block_helperIhlLj256ELj4ELb0EE4sortIPKhPhPKlPlEEbT_T0_T1_T2_jjjjRNS3_12storage_typeE, .Lfunc_end190-_ZN7rocprim17ROCPRIM_400000_NS6detail40segmented_radix_sort_single_block_helperIhlLj256ELj4ELb0EE4sortIPKhPhPKlPlEEbT_T0_T1_T2_jjjjRNS3_12storage_typeE
                                        ; -- End function
	.set .L_ZN7rocprim17ROCPRIM_400000_NS6detail40segmented_radix_sort_single_block_helperIhlLj256ELj4ELb0EE4sortIPKhPhPKlPlEEbT_T0_T1_T2_jjjjRNS3_12storage_typeE.num_vgpr, 97
	.set .L_ZN7rocprim17ROCPRIM_400000_NS6detail40segmented_radix_sort_single_block_helperIhlLj256ELj4ELb0EE4sortIPKhPhPKlPlEEbT_T0_T1_T2_jjjjRNS3_12storage_typeE.num_agpr, 0
	.set .L_ZN7rocprim17ROCPRIM_400000_NS6detail40segmented_radix_sort_single_block_helperIhlLj256ELj4ELb0EE4sortIPKhPhPKlPlEEbT_T0_T1_T2_jjjjRNS3_12storage_typeE.numbered_sgpr, 63
	.set .L_ZN7rocprim17ROCPRIM_400000_NS6detail40segmented_radix_sort_single_block_helperIhlLj256ELj4ELb0EE4sortIPKhPhPKlPlEEbT_T0_T1_T2_jjjjRNS3_12storage_typeE.num_named_barrier, 0
	.set .L_ZN7rocprim17ROCPRIM_400000_NS6detail40segmented_radix_sort_single_block_helperIhlLj256ELj4ELb0EE4sortIPKhPhPKlPlEEbT_T0_T1_T2_jjjjRNS3_12storage_typeE.private_seg_size, 0
	.set .L_ZN7rocprim17ROCPRIM_400000_NS6detail40segmented_radix_sort_single_block_helperIhlLj256ELj4ELb0EE4sortIPKhPhPKlPlEEbT_T0_T1_T2_jjjjRNS3_12storage_typeE.uses_vcc, 1
	.set .L_ZN7rocprim17ROCPRIM_400000_NS6detail40segmented_radix_sort_single_block_helperIhlLj256ELj4ELb0EE4sortIPKhPhPKlPlEEbT_T0_T1_T2_jjjjRNS3_12storage_typeE.uses_flat_scratch, 0
	.set .L_ZN7rocprim17ROCPRIM_400000_NS6detail40segmented_radix_sort_single_block_helperIhlLj256ELj4ELb0EE4sortIPKhPhPKlPlEEbT_T0_T1_T2_jjjjRNS3_12storage_typeE.has_dyn_sized_stack, 0
	.set .L_ZN7rocprim17ROCPRIM_400000_NS6detail40segmented_radix_sort_single_block_helperIhlLj256ELj4ELb0EE4sortIPKhPhPKlPlEEbT_T0_T1_T2_jjjjRNS3_12storage_typeE.has_recursion, 0
	.set .L_ZN7rocprim17ROCPRIM_400000_NS6detail40segmented_radix_sort_single_block_helperIhlLj256ELj4ELb0EE4sortIPKhPhPKlPlEEbT_T0_T1_T2_jjjjRNS3_12storage_typeE.has_indirect_call, 0
	.section	.AMDGPU.csdata,"",@progbits
; Function info:
; codeLenInByte = 8208
; TotalNumSgprs: 67
; NumVgprs: 97
; ScratchSize: 0
; MemoryBound: 1
	.section	.text._ZN7rocprim17ROCPRIM_400000_NS6detail17trampoline_kernelINS0_14default_configENS1_36segmented_radix_sort_config_selectorIhlEEZNS1_25segmented_radix_sort_implIS3_Lb0EPKhPhPKlPlN2at6native12_GLOBAL__N_18offset_tEEE10hipError_tPvRmT1_PNSt15iterator_traitsISK_E10value_typeET2_T3_PNSL_ISQ_E10value_typeET4_jRbjT5_SW_jjP12ihipStream_tbEUlT_E_NS1_11comp_targetILNS1_3genE2ELNS1_11target_archE906ELNS1_3gpuE6ELNS1_3repE0EEENS1_30default_config_static_selectorELNS0_4arch9wavefront6targetE1EEEvSK_,"axG",@progbits,_ZN7rocprim17ROCPRIM_400000_NS6detail17trampoline_kernelINS0_14default_configENS1_36segmented_radix_sort_config_selectorIhlEEZNS1_25segmented_radix_sort_implIS3_Lb0EPKhPhPKlPlN2at6native12_GLOBAL__N_18offset_tEEE10hipError_tPvRmT1_PNSt15iterator_traitsISK_E10value_typeET2_T3_PNSL_ISQ_E10value_typeET4_jRbjT5_SW_jjP12ihipStream_tbEUlT_E_NS1_11comp_targetILNS1_3genE2ELNS1_11target_archE906ELNS1_3gpuE6ELNS1_3repE0EEENS1_30default_config_static_selectorELNS0_4arch9wavefront6targetE1EEEvSK_,comdat
	.globl	_ZN7rocprim17ROCPRIM_400000_NS6detail17trampoline_kernelINS0_14default_configENS1_36segmented_radix_sort_config_selectorIhlEEZNS1_25segmented_radix_sort_implIS3_Lb0EPKhPhPKlPlN2at6native12_GLOBAL__N_18offset_tEEE10hipError_tPvRmT1_PNSt15iterator_traitsISK_E10value_typeET2_T3_PNSL_ISQ_E10value_typeET4_jRbjT5_SW_jjP12ihipStream_tbEUlT_E_NS1_11comp_targetILNS1_3genE2ELNS1_11target_archE906ELNS1_3gpuE6ELNS1_3repE0EEENS1_30default_config_static_selectorELNS0_4arch9wavefront6targetE1EEEvSK_ ; -- Begin function _ZN7rocprim17ROCPRIM_400000_NS6detail17trampoline_kernelINS0_14default_configENS1_36segmented_radix_sort_config_selectorIhlEEZNS1_25segmented_radix_sort_implIS3_Lb0EPKhPhPKlPlN2at6native12_GLOBAL__N_18offset_tEEE10hipError_tPvRmT1_PNSt15iterator_traitsISK_E10value_typeET2_T3_PNSL_ISQ_E10value_typeET4_jRbjT5_SW_jjP12ihipStream_tbEUlT_E_NS1_11comp_targetILNS1_3genE2ELNS1_11target_archE906ELNS1_3gpuE6ELNS1_3repE0EEENS1_30default_config_static_selectorELNS0_4arch9wavefront6targetE1EEEvSK_
	.p2align	8
	.type	_ZN7rocprim17ROCPRIM_400000_NS6detail17trampoline_kernelINS0_14default_configENS1_36segmented_radix_sort_config_selectorIhlEEZNS1_25segmented_radix_sort_implIS3_Lb0EPKhPhPKlPlN2at6native12_GLOBAL__N_18offset_tEEE10hipError_tPvRmT1_PNSt15iterator_traitsISK_E10value_typeET2_T3_PNSL_ISQ_E10value_typeET4_jRbjT5_SW_jjP12ihipStream_tbEUlT_E_NS1_11comp_targetILNS1_3genE2ELNS1_11target_archE906ELNS1_3gpuE6ELNS1_3repE0EEENS1_30default_config_static_selectorELNS0_4arch9wavefront6targetE1EEEvSK_,@function
_ZN7rocprim17ROCPRIM_400000_NS6detail17trampoline_kernelINS0_14default_configENS1_36segmented_radix_sort_config_selectorIhlEEZNS1_25segmented_radix_sort_implIS3_Lb0EPKhPhPKlPlN2at6native12_GLOBAL__N_18offset_tEEE10hipError_tPvRmT1_PNSt15iterator_traitsISK_E10value_typeET2_T3_PNSL_ISQ_E10value_typeET4_jRbjT5_SW_jjP12ihipStream_tbEUlT_E_NS1_11comp_targetILNS1_3genE2ELNS1_11target_archE906ELNS1_3gpuE6ELNS1_3repE0EEENS1_30default_config_static_selectorELNS0_4arch9wavefront6targetE1EEEvSK_: ; @_ZN7rocprim17ROCPRIM_400000_NS6detail17trampoline_kernelINS0_14default_configENS1_36segmented_radix_sort_config_selectorIhlEEZNS1_25segmented_radix_sort_implIS3_Lb0EPKhPhPKlPlN2at6native12_GLOBAL__N_18offset_tEEE10hipError_tPvRmT1_PNSt15iterator_traitsISK_E10value_typeET2_T3_PNSL_ISQ_E10value_typeET4_jRbjT5_SW_jjP12ihipStream_tbEUlT_E_NS1_11comp_targetILNS1_3genE2ELNS1_11target_archE906ELNS1_3gpuE6ELNS1_3repE0EEENS1_30default_config_static_selectorELNS0_4arch9wavefront6targetE1EEEvSK_
; %bb.0:
	s_add_u32 s0, s0, s8
	s_mov_b64 s[34:35], s[4:5]
	s_load_dwordx2 s[4:5], s[4:5], 0x38
	s_nop 0
	s_load_dwordx4 s[8:11], s[34:35], 0x40
	s_mov_b32 s33, s7
	s_mov_b32 s7, 0
	s_addc_u32 s1, s1, 0
	s_lshl_b64 s[12:13], s[6:7], 2
	s_waitcnt lgkmcnt(0)
	s_add_u32 s4, s4, s12
	s_addc_u32 s5, s5, s13
	s_load_dword s4, s[4:5], 0x0
	s_mov_b32 s32, 0
	s_waitcnt lgkmcnt(0)
	s_add_i32 s63, s4, s9
	s_add_i32 s74, s4, s11
	s_mul_i32 s63, s63, s8
	s_mul_i32 s74, s74, s10
	s_cmp_le_u32 s74, s63
	s_cbranch_scc1 .LBB191_414
; %bb.1:
	s_load_dword s4, s[34:35], 0x30
	s_load_dwordx4 s[64:67], s[34:35], 0x20
	s_load_dwordx4 s[68:71], s[34:35], 0x50
	s_load_dwordx8 s[48:55], s[34:35], 0x0
	s_waitcnt lgkmcnt(0)
	s_bitcmp1_b32 s4, 0
	s_cselect_b64 s[72:73], -1, 0
	s_sub_i32 s71, s74, s63
	s_cmpk_lt_u32 s71, 0x401
	s_mov_b64 s[4:5], -1
	s_cbranch_scc0 .LBB191_7
; %bb.2:
	s_and_b32 s4, s68, 1
	v_cndmask_b32_e64 v3, 0, 1, s[72:73]
	v_cmp_ne_u32_e32 vcc, s4, v3
	s_mov_b64 s[4:5], -1
	v_lshlrev_b32_e32 v41, 20, v2
	v_lshlrev_b32_e32 v42, 10, v1
	s_cbranch_vccnz .LBB191_4
; %bb.3:
	s_add_u32 s8, s34, 0x60
	s_mov_b64 s[4:5], src_shared_base
	s_addc_u32 s9, s35, 0
	s_getpc_b64 s[10:11]
	s_add_u32 s10, s10, _ZN7rocprim17ROCPRIM_400000_NS6detail40segmented_radix_sort_single_block_helperIhlLj256ELj4ELb0EE4sortIPKhPhPKlPlEEbT_T0_T1_T2_jjjjRNS3_12storage_typeE@rel32@lo+4
	s_addc_u32 s11, s11, _ZN7rocprim17ROCPRIM_400000_NS6detail40segmented_radix_sort_single_block_helperIhlLj256ELj4ELb0EE4sortIPKhPhPKlPlEEbT_T0_T1_T2_jjjjRNS3_12storage_typeE@rel32@hi+12
	v_or3_b32 v31, v0, v42, v41
	s_mov_b32 s12, s6
	s_mov_b32 s13, s33
	v_mov_b32_e32 v40, v0
	v_mov_b32_e32 v0, s48
	;; [unrolled: 1-line block ×17, first 2 shown]
	s_mov_b32 s36, s6
	s_swappc_b64 s[30:31], s[10:11]
	v_mov_b32_e32 v1, v43
	v_mov_b32_e32 v2, v44
	v_mov_b32_e32 v0, v40
	s_mov_b32 s6, s36
	s_mov_b64 s[4:5], 0
.LBB191_4:
	s_andn2_b64 vcc, exec, s[4:5]
	s_cbranch_vccnz .LBB191_6
; %bb.5:
	s_add_u32 s8, s34, 0x60
	s_mov_b64 s[4:5], src_shared_base
	s_addc_u32 s9, s35, 0
	s_getpc_b64 s[10:11]
	s_add_u32 s10, s10, _ZN7rocprim17ROCPRIM_400000_NS6detail40segmented_radix_sort_single_block_helperIhlLj256ELj4ELb0EE4sortIPKhPhPKlPlEEbT_T0_T1_T2_jjjjRNS3_12storage_typeE@rel32@lo+4
	s_addc_u32 s11, s11, _ZN7rocprim17ROCPRIM_400000_NS6detail40segmented_radix_sort_single_block_helperIhlLj256ELj4ELb0EE4sortIPKhPhPKlPlEEbT_T0_T1_T2_jjjjRNS3_12storage_typeE@rel32@hi+12
	v_or3_b32 v31, v0, v42, v41
	s_mov_b32 s12, s6
	s_mov_b32 s13, s33
	v_mov_b32_e32 v40, v0
	v_mov_b32_e32 v0, s48
	v_mov_b32_e32 v41, v1
	v_mov_b32_e32 v1, s49
	v_mov_b32_e32 v42, v2
	v_mov_b32_e32 v2, s50
	v_mov_b32_e32 v3, s51
	v_mov_b32_e32 v4, s54
	v_mov_b32_e32 v5, s55
	v_mov_b32_e32 v6, s64
	v_mov_b32_e32 v7, s65
	v_mov_b32_e32 v8, s63
	v_mov_b32_e32 v9, s74
	v_mov_b32_e32 v10, s69
	v_mov_b32_e32 v11, s70
	v_mov_b32_e32 v12, 0
	v_mov_b32_e32 v13, s5
	s_mov_b32 s36, s6
	s_swappc_b64 s[30:31], s[10:11]
	v_mov_b32_e32 v1, v41
	v_mov_b32_e32 v2, v42
	;; [unrolled: 1-line block ×3, first 2 shown]
	s_mov_b32 s6, s36
.LBB191_6:
	s_mov_b64 s[4:5], 0
.LBB191_7:
	s_andn2_b64 vcc, exec, s[4:5]
	s_cbranch_vccnz .LBB191_414
; %bb.8:
	s_cmp_ge_u32 s69, s70
	s_cbranch_scc1 .LBB191_414
; %bb.9:
	v_and_b32_e32 v3, 3, v0
	v_lshlrev_b32_e32 v24, 2, v3
	v_or_b32_e32 v3, 63, v0
	v_lshlrev_b32_e32 v18, 2, v0
	v_mov_b32_e32 v4, s53
	v_add_co_u32_e32 v22, vcc, s52, v0
	v_cmp_eq_u32_e64 s[8:9], v0, v3
	v_lshrrev_b32_e32 v3, 4, v0
	v_addc_co_u32_e32 v23, vcc, 0, v4, vcc
	v_and_b32_e32 v26, 12, v3
	v_and_b32_e32 v3, 0x300, v18
	v_lshlrev_b32_e32 v4, 4, v0
	v_sub_u32_e32 v28, 0, v4
	v_lshlrev_b32_e32 v4, 3, v3
	v_mov_b32_e32 v5, s67
	v_add_co_u32_e32 v29, vcc, s66, v4
	v_addc_co_u32_e32 v30, vcc, 0, v5, vcc
	v_mov_b32_e32 v5, s53
	v_add_co_u32_e32 v31, vcc, s52, v3
	v_addc_co_u32_e32 v32, vcc, 0, v5, vcc
	;; [unrolled: 3-line block ×8, first 2 shown]
	v_mbcnt_lo_u32_b32 v4, -1, 0
	v_mbcnt_hi_u32_b32 v45, -1, v4
	v_mad_u32_u24 v25, v0, 12, v18
	v_and_b32_e32 v46, 63, v45
	s_movk_i32 s4, 0x100
	s_add_u32 s46, s34, 0x60
	s_movk_i32 s7, 0xff
	v_or_b32_e32 v47, v46, v3
	v_add_u32_e32 v50, v25, v18
	v_or_b32_e32 v19, 0x100, v0
	v_or_b32_e32 v20, 0x200, v0
	;; [unrolled: 1-line block ×3, first 2 shown]
	v_cmp_gt_u32_e64 s[4:5], s4, v0
	v_or_b32_e32 v27, 0x2400, v26
	v_cmp_gt_u32_e64 s[10:11], 4, v0
	v_cmp_lt_u32_e64 s[12:13], 63, v0
	s_addc_u32 s47, s35, 0
	s_mov_b32 s57, 0
	v_cmp_eq_u32_e64 s[14:15], 0, v0
	v_cmp_ne_u32_e64 s[16:17], s7, v0
	s_mov_b32 s7, s69
	v_or_b32_e32 v48, 0x2400, v18
	v_add_u32_e32 v49, 0x23fc, v26
	v_mul_u32_u24_e32 v51, 7, v0
	v_mov_b32_e32 v52, 1
	v_add_u32_e32 v53, 0x410, v50
	v_add_u32_e32 v54, 0x418, v50
	v_and_b32_e32 v55, 15, v45
	v_bfe_i32 v56, v45, 4, 1
	v_and_b32_e32 v57, 16, v45
	v_and_b32_e32 v58, 3, v45
	;; [unrolled: 1-line block ×3, first 2 shown]
	v_lshlrev_b32_e32 v60, 3, v46
	v_or_b32_e32 v61, 64, v47
	v_or_b32_e32 v62, 0x80, v47
	;; [unrolled: 1-line block ×3, first 2 shown]
	v_mov_b32_e32 v3, 0
	s_branch .LBB191_12
.LBB191_10:                             ;   in Loop: Header=BB191_12 Depth=1
	s_waitcnt lgkmcnt(0)
	s_barrier
.LBB191_11:                             ;   in Loop: Header=BB191_12 Depth=1
	s_add_i32 s7, s7, 8
	s_cmp_ge_u32 s7, s70
	s_cbranch_scc1 .LBB191_414
.LBB191_12:                             ; =>This Loop Header: Depth=1
                                        ;     Child Loop BB191_16 Depth 2
                                        ;     Child Loop BB191_48 Depth 2
	;; [unrolled: 1-line block ×8, first 2 shown]
	s_sub_i32 s18, s70, s7
	s_min_u32 s18, s18, 8
	s_lshl_b32 s18, -1, s18
	s_xor_b64 s[72:73], s[72:73], -1
	s_not_b32 s58, s18
	s_cmp_lg_u32 s7, s69
	s_mov_b64 s[18:19], -1
	ds_write2st64_b32 v18, v3, v3 offset1:4
	ds_write2st64_b32 v18, v3, v3 offset0:8 offset1:12
	s_waitcnt lgkmcnt(0)
	s_cbranch_scc0 .LBB191_214
; %bb.13:                               ;   in Loop: Header=BB191_12 Depth=1
	s_and_b64 vcc, exec, s[72:73]
	s_cbranch_vccz .LBB191_113
; %bb.14:                               ;   in Loop: Header=BB191_12 Depth=1
	v_mov_b32_e32 v4, 0
	s_mov_b32 s20, s71
	s_mov_b32 s22, s63
	v_mov_b32_e32 v7, 0
	v_mov_b32_e32 v6, 0
	;; [unrolled: 1-line block ×3, first 2 shown]
	s_barrier
	s_branch .LBB191_16
.LBB191_15:                             ;   in Loop: Header=BB191_16 Depth=2
	s_or_b64 exec, exec, s[18:19]
	s_addk_i32 s20, 0xfc00
	s_cmp_ge_u32 s21, s74
	s_mov_b32 s22, s21
	s_cbranch_scc1 .LBB191_36
.LBB191_16:                             ;   Parent Loop BB191_12 Depth=1
                                        ; =>  This Inner Loop Header: Depth=2
	s_add_i32 s21, s22, 0x400
	s_cmp_gt_u32 s21, s74
	s_mov_b64 s[18:19], -1
                                        ; implicit-def: $vgpr8
                                        ; implicit-def: $vgpr9
                                        ; implicit-def: $vgpr10
                                        ; implicit-def: $vgpr11
	s_cbranch_scc1 .LBB191_18
; %bb.17:                               ;   in Loop: Header=BB191_16 Depth=2
	v_add_co_u32_e32 v12, vcc, s22, v22
	v_addc_co_u32_e32 v13, vcc, 0, v23, vcc
	global_load_ubyte v11, v[12:13], off offset:768
	global_load_ubyte v10, v[12:13], off offset:512
	;; [unrolled: 1-line block ×3, first 2 shown]
	global_load_ubyte v8, v[12:13], off
	s_mov_b64 s[18:19], 0
.LBB191_18:                             ;   in Loop: Header=BB191_16 Depth=2
	s_andn2_b64 vcc, exec, s[18:19]
	s_movk_i32 s23, 0x400
	s_cbranch_vccnz .LBB191_25
; %bb.19:                               ;   in Loop: Header=BB191_16 Depth=2
	s_add_u32 s22, s52, s22
	s_addc_u32 s23, s53, 0
	v_cmp_gt_u32_e32 vcc, s20, v0
	s_and_saveexec_b64 s[18:19], vcc
	s_cbranch_execnz .LBB191_33
; %bb.20:                               ;   in Loop: Header=BB191_16 Depth=2
	s_or_b64 exec, exec, s[18:19]
	v_cmp_gt_u32_e32 vcc, s20, v19
	s_and_saveexec_b64 s[18:19], vcc
	s_cbranch_execnz .LBB191_34
.LBB191_21:                             ;   in Loop: Header=BB191_16 Depth=2
	s_or_b64 exec, exec, s[18:19]
	v_cmp_gt_u32_e32 vcc, s20, v20
	s_and_saveexec_b64 s[18:19], vcc
	s_cbranch_execnz .LBB191_35
.LBB191_22:                             ;   in Loop: Header=BB191_16 Depth=2
	s_or_b64 exec, exec, s[18:19]
	v_cmp_gt_u32_e32 vcc, s20, v21
	s_and_saveexec_b64 s[18:19], vcc
	s_cbranch_execz .LBB191_24
.LBB191_23:                             ;   in Loop: Header=BB191_16 Depth=2
	v_mov_b32_e32 v5, s23
	s_waitcnt vmcnt(0)
	v_add_co_u32_e32 v8, vcc, s22, v0
	v_addc_co_u32_e32 v9, vcc, 0, v5, vcc
	global_load_ubyte v5, v[8:9], off offset:768
.LBB191_24:                             ;   in Loop: Header=BB191_16 Depth=2
	s_or_b64 exec, exec, s[18:19]
	s_mov_b32 s23, s20
	s_waitcnt vmcnt(0)
	v_mov_b32_e32 v8, v4
	v_mov_b32_e32 v9, v7
	;; [unrolled: 1-line block ×4, first 2 shown]
.LBB191_25:                             ;   in Loop: Header=BB191_16 Depth=2
	s_waitcnt vmcnt(3)
	v_mov_b32_e32 v5, v11
	s_waitcnt vmcnt(2)
	v_mov_b32_e32 v6, v10
	;; [unrolled: 2-line block ×4, first 2 shown]
	v_cmp_gt_u32_e32 vcc, s23, v0
	s_and_saveexec_b64 s[18:19], vcc
	s_cbranch_execnz .LBB191_29
; %bb.26:                               ;   in Loop: Header=BB191_16 Depth=2
	s_or_b64 exec, exec, s[18:19]
	v_cmp_gt_u32_e32 vcc, s23, v19
	s_and_saveexec_b64 s[18:19], vcc
	s_cbranch_execnz .LBB191_30
.LBB191_27:                             ;   in Loop: Header=BB191_16 Depth=2
	s_or_b64 exec, exec, s[18:19]
	v_cmp_gt_u32_e32 vcc, s23, v20
	s_and_saveexec_b64 s[18:19], vcc
	s_cbranch_execnz .LBB191_31
.LBB191_28:                             ;   in Loop: Header=BB191_16 Depth=2
	s_or_b64 exec, exec, s[18:19]
	v_cmp_gt_u32_e32 vcc, s23, v21
	s_and_saveexec_b64 s[18:19], vcc
	s_cbranch_execz .LBB191_15
	s_branch .LBB191_32
.LBB191_29:                             ;   in Loop: Header=BB191_16 Depth=2
	v_lshrrev_b32_sdwa v8, s7, v4 dst_sel:DWORD dst_unused:UNUSED_PAD src0_sel:DWORD src1_sel:BYTE_0
	v_and_b32_e32 v8, s58, v8
	v_lshl_or_b32 v8, v8, 4, v24
	ds_add_u32 v8, v52
	s_or_b64 exec, exec, s[18:19]
	v_cmp_gt_u32_e32 vcc, s23, v19
	s_and_saveexec_b64 s[18:19], vcc
	s_cbranch_execz .LBB191_27
.LBB191_30:                             ;   in Loop: Header=BB191_16 Depth=2
	v_lshrrev_b32_sdwa v8, s7, v7 dst_sel:DWORD dst_unused:UNUSED_PAD src0_sel:DWORD src1_sel:BYTE_0
	v_and_b32_e32 v8, s58, v8
	v_lshl_or_b32 v8, v8, 4, v24
	ds_add_u32 v8, v52
	s_or_b64 exec, exec, s[18:19]
	v_cmp_gt_u32_e32 vcc, s23, v20
	s_and_saveexec_b64 s[18:19], vcc
	s_cbranch_execz .LBB191_28
.LBB191_31:                             ;   in Loop: Header=BB191_16 Depth=2
	v_lshrrev_b32_sdwa v8, s7, v6 dst_sel:DWORD dst_unused:UNUSED_PAD src0_sel:DWORD src1_sel:BYTE_0
	v_and_b32_e32 v8, s58, v8
	v_lshl_or_b32 v8, v8, 4, v24
	ds_add_u32 v8, v52
	s_or_b64 exec, exec, s[18:19]
	v_cmp_gt_u32_e32 vcc, s23, v21
	s_and_saveexec_b64 s[18:19], vcc
	s_cbranch_execz .LBB191_15
.LBB191_32:                             ;   in Loop: Header=BB191_16 Depth=2
	v_lshrrev_b32_sdwa v8, s7, v5 dst_sel:DWORD dst_unused:UNUSED_PAD src0_sel:DWORD src1_sel:BYTE_0
	v_and_b32_e32 v8, s58, v8
	v_lshl_or_b32 v8, v8, 4, v24
	ds_add_u32 v8, v52
	s_branch .LBB191_15
.LBB191_33:                             ;   in Loop: Header=BB191_16 Depth=2
	v_mov_b32_e32 v4, s23
	s_waitcnt vmcnt(0)
	v_add_co_u32_e32 v8, vcc, s22, v0
	v_addc_co_u32_e32 v9, vcc, 0, v4, vcc
	global_load_ubyte v4, v[8:9], off
	s_or_b64 exec, exec, s[18:19]
	v_cmp_gt_u32_e32 vcc, s20, v19
	s_and_saveexec_b64 s[18:19], vcc
	s_cbranch_execz .LBB191_21
.LBB191_34:                             ;   in Loop: Header=BB191_16 Depth=2
	s_waitcnt vmcnt(0)
	v_mov_b32_e32 v8, s23
	v_add_co_u32_e32 v7, vcc, s22, v0
	v_addc_co_u32_e32 v8, vcc, 0, v8, vcc
	global_load_ubyte v7, v[7:8], off offset:256
	s_or_b64 exec, exec, s[18:19]
	v_cmp_gt_u32_e32 vcc, s20, v20
	s_and_saveexec_b64 s[18:19], vcc
	s_cbranch_execz .LBB191_22
.LBB191_35:                             ;   in Loop: Header=BB191_16 Depth=2
	v_mov_b32_e32 v6, s23
	s_waitcnt vmcnt(0)
	v_add_co_u32_e32 v8, vcc, s22, v0
	v_addc_co_u32_e32 v9, vcc, 0, v6, vcc
	global_load_ubyte v6, v[8:9], off offset:512
	s_or_b64 exec, exec, s[18:19]
	v_cmp_gt_u32_e32 vcc, s20, v21
	s_and_saveexec_b64 s[18:19], vcc
	s_cbranch_execnz .LBB191_23
	s_branch .LBB191_24
.LBB191_36:                             ;   in Loop: Header=BB191_12 Depth=1
	v_mov_b32_e32 v4, 0
	s_waitcnt lgkmcnt(0)
	s_barrier
	s_and_saveexec_b64 s[18:19], s[4:5]
	s_cbranch_execz .LBB191_38
; %bb.37:                               ;   in Loop: Header=BB191_12 Depth=1
	ds_read2_b64 v[4:7], v25 offset1:1
	s_waitcnt lgkmcnt(0)
	v_add_u32_e32 v4, v5, v4
	v_add3_u32 v4, v4, v6, v7
.LBB191_38:                             ;   in Loop: Header=BB191_12 Depth=1
	s_or_b64 exec, exec, s[18:19]
	s_nop 0
	v_mov_b32_dpp v5, v4 row_shr:1 row_mask:0xf bank_mask:0xf
	v_cmp_eq_u32_e64 s[18:19], 0, v55
	v_cndmask_b32_e64 v5, v5, 0, s[18:19]
	v_add_u32_e32 v4, v5, v4
	v_cmp_lt_u32_e64 s[20:21], 1, v55
	v_cmp_lt_u32_e64 s[22:23], 3, v55
	v_mov_b32_dpp v5, v4 row_shr:2 row_mask:0xf bank_mask:0xf
	v_cndmask_b32_e64 v5, 0, v5, s[20:21]
	v_add_u32_e32 v4, v4, v5
	v_cmp_lt_u32_e64 s[24:25], 7, v55
	v_cmp_lt_u32_e64 s[28:29], 31, v45
	v_mov_b32_dpp v5, v4 row_shr:4 row_mask:0xf bank_mask:0xf
	v_cndmask_b32_e64 v5, 0, v5, s[22:23]
	v_add_u32_e32 v4, v4, v5
	v_cmp_eq_u32_e64 s[26:27], 0, v57
	s_nop 0
	v_mov_b32_dpp v5, v4 row_shr:8 row_mask:0xf bank_mask:0xf
	v_cndmask_b32_e64 v5, 0, v5, s[24:25]
	v_add_u32_e32 v4, v4, v5
	s_nop 1
	v_mov_b32_dpp v5, v4 row_bcast:15 row_mask:0xf bank_mask:0xf
	v_and_b32_e32 v5, v56, v5
	v_add_u32_e32 v4, v4, v5
	s_nop 1
	v_mov_b32_dpp v5, v4 row_bcast:31 row_mask:0xf bank_mask:0xf
	v_cndmask_b32_e64 v5, 0, v5, s[28:29]
	v_add_u32_e32 v4, v4, v5
	s_and_saveexec_b64 s[30:31], s[8:9]
; %bb.39:                               ;   in Loop: Header=BB191_12 Depth=1
	ds_write_b32 v27, v4
; %bb.40:                               ;   in Loop: Header=BB191_12 Depth=1
	s_or_b64 exec, exec, s[30:31]
	s_waitcnt lgkmcnt(0)
	s_barrier
	s_and_saveexec_b64 s[30:31], s[10:11]
	s_cbranch_execz .LBB191_42
; %bb.41:                               ;   in Loop: Header=BB191_12 Depth=1
	ds_read_b32 v5, v48
	v_cmp_ne_u32_e32 vcc, 0, v58
	s_waitcnt lgkmcnt(0)
	v_mov_b32_dpp v6, v5 row_shr:1 row_mask:0xf bank_mask:0xf
	v_cndmask_b32_e32 v6, 0, v6, vcc
	v_add_u32_e32 v5, v6, v5
	v_cmp_lt_u32_e32 vcc, 1, v58
	s_nop 0
	v_mov_b32_dpp v6, v5 row_shr:2 row_mask:0xf bank_mask:0xf
	v_cndmask_b32_e32 v6, 0, v6, vcc
	v_add_u32_e32 v5, v5, v6
	ds_write_b32 v48, v5
.LBB191_42:                             ;   in Loop: Header=BB191_12 Depth=1
	s_or_b64 exec, exec, s[30:31]
	v_mov_b32_e32 v5, 0
	s_waitcnt lgkmcnt(0)
	s_barrier
	s_and_saveexec_b64 s[30:31], s[12:13]
; %bb.43:                               ;   in Loop: Header=BB191_12 Depth=1
	ds_read_b32 v5, v49
; %bb.44:                               ;   in Loop: Header=BB191_12 Depth=1
	s_or_b64 exec, exec, s[30:31]
	v_subrev_co_u32_e64 v6, s[30:31], 1, v45
	v_cmp_lt_i32_e32 vcc, v6, v59
	v_cndmask_b32_e32 v6, v6, v45, vcc
	s_waitcnt lgkmcnt(0)
	v_add_u32_e32 v4, v5, v4
	v_lshlrev_b32_e32 v64, 2, v6
	ds_bpermute_b32 v4, v64, v4
	s_waitcnt lgkmcnt(0)
	s_barrier
	s_and_saveexec_b64 s[34:35], s[4:5]
; %bb.45:                               ;   in Loop: Header=BB191_12 Depth=1
	v_cndmask_b32_e64 v4, v4, v5, s[30:31]
	v_add_u32_e32 v4, s63, v4
	ds_write_b32 v18, v4
; %bb.46:                               ;   in Loop: Header=BB191_12 Depth=1
	s_or_b64 exec, exec, s[34:35]
	s_load_dword s34, s[46:47], 0x4
	s_load_dword s38, s[46:47], 0xc
	v_add_co_u32_e32 v65, vcc, v29, v60
	v_addc_co_u32_e32 v66, vcc, 0, v30, vcc
	s_waitcnt lgkmcnt(0)
	s_cmp_lt_u32 s33, s34
	s_cselect_b32 s34, 14, 20
	s_add_u32 s34, s46, s34
	s_addc_u32 s35, s47, 0
	global_load_ushort v4, v3, s[34:35]
	s_and_b32 s38, s38, 0xffff
	v_add_co_u32_e32 v67, vcc, v31, v46
	v_cmp_eq_u32_e64 s[34:35], 0, v58
	v_cmp_lt_u32_e64 s[36:37], 1, v58
	v_addc_co_u32_e32 v68, vcc, 0, v32, vcc
	s_mov_b32 s59, s71
	s_mov_b32 s56, s63
                                        ; implicit-def: $vgpr7_vgpr8
                                        ; implicit-def: $vgpr9_vgpr10
                                        ; implicit-def: $vgpr11_vgpr12
                                        ; implicit-def: $vgpr69
                                        ; implicit-def: $vgpr70
                                        ; implicit-def: $vgpr72
                                        ; implicit-def: $vgpr73
	s_waitcnt vmcnt(0)
	v_mad_u32_u24 v4, v2, v4, v1
	v_mad_u64_u32 v[4:5], s[38:39], v4, s38, v[0:1]
                                        ; implicit-def: $vgpr5_vgpr6
	v_lshrrev_b32_e32 v4, 4, v4
	v_and_b32_e32 v71, 0xffffffc, v4
	s_branch .LBB191_48
.LBB191_47:                             ;   in Loop: Header=BB191_48 Depth=2
	s_or_b64 exec, exec, s[38:39]
	s_addk_i32 s59, 0xfc00
	s_cmp_lt_u32 s60, s74
	s_mov_b32 s56, s60
	s_cbranch_scc0 .LBB191_112
.LBB191_48:                             ;   Parent Loop BB191_12 Depth=1
                                        ; =>  This Inner Loop Header: Depth=2
	s_add_i32 s60, s56, 0x400
	s_cmp_gt_u32 s60, s74
	s_cbranch_scc1 .LBB191_50
; %bb.49:                               ;   in Loop: Header=BB191_48 Depth=2
	v_add_co_u32_e32 v13, vcc, s56, v67
	v_addc_co_u32_e32 v14, vcc, 0, v68, vcc
	global_load_ubyte v17, v[13:14], off
	global_load_ubyte v75, v[13:14], off offset:64
	global_load_ubyte v76, v[13:14], off offset:128
	s_mov_b64 s[38:39], -1
	s_movk_i32 s42, 0x400
	s_cbranch_execz .LBB191_51
	s_branch .LBB191_58
.LBB191_50:                             ;   in Loop: Header=BB191_48 Depth=2
	s_mov_b64 s[38:39], 0
                                        ; implicit-def: $vgpr17
                                        ; implicit-def: $vgpr75
                                        ; implicit-def: $vgpr76
	s_movk_i32 s42, 0x400
.LBB191_51:                             ;   in Loop: Header=BB191_48 Depth=2
	v_add_co_u32_e32 v13, vcc, s56, v67
	v_addc_co_u32_e32 v14, vcc, 0, v68, vcc
	v_cmp_gt_u32_e32 vcc, s59, v47
	s_waitcnt vmcnt(1)
	v_mov_b32_e32 v75, 0xff
	v_mov_b32_e32 v17, 0xff
	s_and_saveexec_b64 s[38:39], vcc
	s_cbranch_execz .LBB191_53
; %bb.52:                               ;   in Loop: Header=BB191_48 Depth=2
	global_load_ubyte v17, v[13:14], off
.LBB191_53:                             ;   in Loop: Header=BB191_48 Depth=2
	s_or_b64 exec, exec, s[38:39]
	v_cmp_gt_u32_e32 vcc, s59, v61
	s_and_saveexec_b64 s[38:39], vcc
	s_cbranch_execz .LBB191_55
; %bb.54:                               ;   in Loop: Header=BB191_48 Depth=2
	global_load_ubyte v75, v[13:14], off offset:64
.LBB191_55:                             ;   in Loop: Header=BB191_48 Depth=2
	s_or_b64 exec, exec, s[38:39]
	v_cmp_gt_u32_e32 vcc, s59, v62
	s_waitcnt vmcnt(0)
	v_mov_b32_e32 v76, 0xff
	s_and_saveexec_b64 s[38:39], vcc
	s_cbranch_execz .LBB191_57
; %bb.56:                               ;   in Loop: Header=BB191_48 Depth=2
	global_load_ubyte v76, v[13:14], off offset:128
.LBB191_57:                             ;   in Loop: Header=BB191_48 Depth=2
	s_or_b64 exec, exec, s[38:39]
	s_sub_i32 s42, s74, s56
	v_cmp_gt_u32_e64 s[38:39], s59, v63
.LBB191_58:                             ;   in Loop: Header=BB191_48 Depth=2
	v_mov_b32_e32 v77, 0xff
	v_mov_b32_e32 v74, s59
	s_and_saveexec_b64 s[40:41], s[38:39]
	s_cbranch_execz .LBB191_60
; %bb.59:                               ;   in Loop: Header=BB191_48 Depth=2
	v_mov_b32_e32 v4, s57
	v_add_co_u32_e32 v13, vcc, s56, v67
	v_addc_co_u32_e32 v14, vcc, v68, v4, vcc
	global_load_ubyte v77, v[13:14], off offset:192
	v_mov_b32_e32 v74, s42
.LBB191_60:                             ;   in Loop: Header=BB191_48 Depth=2
	s_or_b64 exec, exec, s[40:41]
	s_waitcnt vmcnt(2)
	v_lshrrev_b32_sdwa v4, s7, v17 dst_sel:DWORD dst_unused:UNUSED_PAD src0_sel:DWORD src1_sel:BYTE_0
	v_and_b32_e32 v13, s58, v4
	v_and_b32_e32 v4, 1, v13
	v_add_co_u32_e32 v14, vcc, -1, v4
	v_addc_co_u32_e64 v16, s[38:39], 0, -1, vcc
	v_cmp_ne_u32_e32 vcc, 0, v4
	v_xor_b32_e32 v4, vcc_hi, v16
	v_and_b32_e32 v16, exec_hi, v4
	v_lshlrev_b32_e32 v4, 30, v13
	v_xor_b32_e32 v14, vcc_lo, v14
	v_cmp_gt_i64_e32 vcc, 0, v[3:4]
	v_not_b32_e32 v4, v4
	v_ashrrev_i32_e32 v4, 31, v4
	v_and_b32_e32 v14, exec_lo, v14
	v_xor_b32_e32 v78, vcc_hi, v4
	v_xor_b32_e32 v4, vcc_lo, v4
	v_and_b32_e32 v14, v14, v4
	v_lshlrev_b32_e32 v4, 29, v13
	v_cmp_gt_i64_e32 vcc, 0, v[3:4]
	v_not_b32_e32 v4, v4
	v_ashrrev_i32_e32 v4, 31, v4
	v_and_b32_e32 v16, v16, v78
	v_xor_b32_e32 v78, vcc_hi, v4
	v_xor_b32_e32 v4, vcc_lo, v4
	v_and_b32_e32 v14, v14, v4
	v_lshlrev_b32_e32 v4, 28, v13
	v_cmp_gt_i64_e32 vcc, 0, v[3:4]
	v_not_b32_e32 v4, v4
	v_ashrrev_i32_e32 v4, 31, v4
	v_and_b32_e32 v16, v16, v78
	;; [unrolled: 8-line block ×5, first 2 shown]
	v_xor_b32_e32 v78, vcc_hi, v4
	v_xor_b32_e32 v4, vcc_lo, v4
	v_and_b32_e32 v16, v16, v78
	v_and_b32_e32 v78, v14, v4
	v_lshlrev_b32_e32 v4, 24, v13
	v_cmp_gt_i64_e32 vcc, 0, v[3:4]
	v_not_b32_e32 v4, v4
	v_ashrrev_i32_e32 v4, 31, v4
	v_mul_u32_u24_e32 v15, 20, v13
	v_xor_b32_e32 v13, vcc_hi, v4
	v_xor_b32_e32 v4, vcc_lo, v4
	v_and_b32_e32 v14, v16, v13
	v_and_b32_e32 v13, v78, v4
	v_mbcnt_lo_u32_b32 v4, v13, 0
	v_mbcnt_hi_u32_b32 v78, v14, v4
	v_cmp_ne_u64_e32 vcc, 0, v[13:14]
	v_cmp_eq_u32_e64 s[38:39], 0, v78
	s_and_b64 s[40:41], vcc, s[38:39]
	v_add_u32_e32 v80, v71, v15
	ds_write2_b32 v53, v3, v3 offset1:1
	ds_write2_b32 v54, v3, v3 offset1:1
	ds_write_b32 v50, v3 offset:1056
	s_waitcnt vmcnt(0) lgkmcnt(0)
	s_barrier
	; wave barrier
	s_and_saveexec_b64 s[38:39], s[40:41]
; %bb.61:                               ;   in Loop: Header=BB191_48 Depth=2
	v_bcnt_u32_b32 v4, v13, 0
	v_bcnt_u32_b32 v4, v14, v4
	ds_write_b32 v80, v4 offset:1040
; %bb.62:                               ;   in Loop: Header=BB191_48 Depth=2
	s_or_b64 exec, exec, s[38:39]
	v_lshrrev_b32_sdwa v4, s7, v75 dst_sel:DWORD dst_unused:UNUSED_PAD src0_sel:DWORD src1_sel:BYTE_0
	v_and_b32_e32 v13, s58, v4
	v_mad_u32_u24 v4, v13, 20, v71
	; wave barrier
	ds_read_b32 v79, v4 offset:1040
	v_and_b32_e32 v4, 1, v13
	v_add_co_u32_e32 v14, vcc, -1, v4
	v_addc_co_u32_e64 v16, s[38:39], 0, -1, vcc
	v_cmp_ne_u32_e32 vcc, 0, v4
	v_xor_b32_e32 v4, vcc_hi, v16
	v_and_b32_e32 v16, exec_hi, v4
	v_lshlrev_b32_e32 v4, 30, v13
	v_xor_b32_e32 v14, vcc_lo, v14
	v_cmp_gt_i64_e32 vcc, 0, v[3:4]
	v_not_b32_e32 v4, v4
	v_ashrrev_i32_e32 v4, 31, v4
	v_and_b32_e32 v14, exec_lo, v14
	v_xor_b32_e32 v81, vcc_hi, v4
	v_xor_b32_e32 v4, vcc_lo, v4
	v_and_b32_e32 v14, v14, v4
	v_lshlrev_b32_e32 v4, 29, v13
	v_cmp_gt_i64_e32 vcc, 0, v[3:4]
	v_not_b32_e32 v4, v4
	v_ashrrev_i32_e32 v4, 31, v4
	v_and_b32_e32 v16, v16, v81
	v_xor_b32_e32 v81, vcc_hi, v4
	v_xor_b32_e32 v4, vcc_lo, v4
	v_and_b32_e32 v14, v14, v4
	v_lshlrev_b32_e32 v4, 28, v13
	v_cmp_gt_i64_e32 vcc, 0, v[3:4]
	v_not_b32_e32 v4, v4
	v_ashrrev_i32_e32 v4, 31, v4
	v_and_b32_e32 v16, v16, v81
	v_xor_b32_e32 v81, vcc_hi, v4
	v_xor_b32_e32 v4, vcc_lo, v4
	v_and_b32_e32 v14, v14, v4
	v_lshlrev_b32_e32 v4, 27, v13
	v_cmp_gt_i64_e32 vcc, 0, v[3:4]
	v_not_b32_e32 v4, v4
	v_ashrrev_i32_e32 v4, 31, v4
	v_and_b32_e32 v16, v16, v81
	v_xor_b32_e32 v81, vcc_hi, v4
	v_xor_b32_e32 v4, vcc_lo, v4
	v_and_b32_e32 v14, v14, v4
	v_lshlrev_b32_e32 v4, 26, v13
	v_cmp_gt_i64_e32 vcc, 0, v[3:4]
	v_not_b32_e32 v4, v4
	v_ashrrev_i32_e32 v4, 31, v4
	v_and_b32_e32 v16, v16, v81
	v_xor_b32_e32 v81, vcc_hi, v4
	v_xor_b32_e32 v4, vcc_lo, v4
	v_and_b32_e32 v14, v14, v4
	v_lshlrev_b32_e32 v4, 25, v13
	v_cmp_gt_i64_e32 vcc, 0, v[3:4]
	v_not_b32_e32 v4, v4
	v_ashrrev_i32_e32 v4, 31, v4
	v_and_b32_e32 v16, v16, v81
	v_xor_b32_e32 v81, vcc_hi, v4
	v_xor_b32_e32 v4, vcc_lo, v4
	v_and_b32_e32 v16, v16, v81
	v_and_b32_e32 v81, v14, v4
	v_lshlrev_b32_e32 v4, 24, v13
	v_cmp_gt_i64_e32 vcc, 0, v[3:4]
	v_not_b32_e32 v4, v4
	v_ashrrev_i32_e32 v4, 31, v4
	v_mul_u32_u24_e32 v15, 20, v13
	v_xor_b32_e32 v13, vcc_hi, v4
	v_xor_b32_e32 v4, vcc_lo, v4
	v_and_b32_e32 v14, v16, v13
	v_and_b32_e32 v13, v81, v4
	v_mbcnt_lo_u32_b32 v4, v13, 0
	v_mbcnt_hi_u32_b32 v81, v14, v4
	v_cmp_ne_u64_e32 vcc, 0, v[13:14]
	v_cmp_eq_u32_e64 s[38:39], 0, v81
	s_and_b64 s[40:41], vcc, s[38:39]
	v_add_u32_e32 v83, v71, v15
	; wave barrier
	s_and_saveexec_b64 s[38:39], s[40:41]
	s_cbranch_execz .LBB191_64
; %bb.63:                               ;   in Loop: Header=BB191_48 Depth=2
	v_bcnt_u32_b32 v4, v13, 0
	v_bcnt_u32_b32 v4, v14, v4
	s_waitcnt lgkmcnt(0)
	v_add_u32_e32 v4, v79, v4
	ds_write_b32 v83, v4 offset:1040
.LBB191_64:                             ;   in Loop: Header=BB191_48 Depth=2
	s_or_b64 exec, exec, s[38:39]
	v_lshrrev_b32_sdwa v4, s7, v76 dst_sel:DWORD dst_unused:UNUSED_PAD src0_sel:DWORD src1_sel:BYTE_0
	v_and_b32_e32 v13, s58, v4
	v_mad_u32_u24 v4, v13, 20, v71
	; wave barrier
	ds_read_b32 v82, v4 offset:1040
	v_and_b32_e32 v4, 1, v13
	v_add_co_u32_e32 v14, vcc, -1, v4
	v_addc_co_u32_e64 v16, s[38:39], 0, -1, vcc
	v_cmp_ne_u32_e32 vcc, 0, v4
	v_xor_b32_e32 v4, vcc_hi, v16
	v_and_b32_e32 v16, exec_hi, v4
	v_lshlrev_b32_e32 v4, 30, v13
	v_xor_b32_e32 v14, vcc_lo, v14
	v_cmp_gt_i64_e32 vcc, 0, v[3:4]
	v_not_b32_e32 v4, v4
	v_ashrrev_i32_e32 v4, 31, v4
	v_and_b32_e32 v14, exec_lo, v14
	v_xor_b32_e32 v84, vcc_hi, v4
	v_xor_b32_e32 v4, vcc_lo, v4
	v_and_b32_e32 v14, v14, v4
	v_lshlrev_b32_e32 v4, 29, v13
	v_cmp_gt_i64_e32 vcc, 0, v[3:4]
	v_not_b32_e32 v4, v4
	v_ashrrev_i32_e32 v4, 31, v4
	v_and_b32_e32 v16, v16, v84
	v_xor_b32_e32 v84, vcc_hi, v4
	v_xor_b32_e32 v4, vcc_lo, v4
	v_and_b32_e32 v14, v14, v4
	v_lshlrev_b32_e32 v4, 28, v13
	v_cmp_gt_i64_e32 vcc, 0, v[3:4]
	v_not_b32_e32 v4, v4
	v_ashrrev_i32_e32 v4, 31, v4
	v_and_b32_e32 v16, v16, v84
	;; [unrolled: 8-line block ×5, first 2 shown]
	v_xor_b32_e32 v84, vcc_hi, v4
	v_xor_b32_e32 v4, vcc_lo, v4
	v_and_b32_e32 v16, v16, v84
	v_and_b32_e32 v84, v14, v4
	v_lshlrev_b32_e32 v4, 24, v13
	v_cmp_gt_i64_e32 vcc, 0, v[3:4]
	v_not_b32_e32 v4, v4
	v_ashrrev_i32_e32 v4, 31, v4
	v_mul_u32_u24_e32 v15, 20, v13
	v_xor_b32_e32 v13, vcc_hi, v4
	v_xor_b32_e32 v4, vcc_lo, v4
	v_and_b32_e32 v14, v16, v13
	v_and_b32_e32 v13, v84, v4
	v_mbcnt_lo_u32_b32 v4, v13, 0
	v_mbcnt_hi_u32_b32 v84, v14, v4
	v_cmp_ne_u64_e32 vcc, 0, v[13:14]
	v_cmp_eq_u32_e64 s[38:39], 0, v84
	s_and_b64 s[40:41], vcc, s[38:39]
	v_add_u32_e32 v86, v71, v15
	; wave barrier
	s_and_saveexec_b64 s[38:39], s[40:41]
	s_cbranch_execz .LBB191_66
; %bb.65:                               ;   in Loop: Header=BB191_48 Depth=2
	v_bcnt_u32_b32 v4, v13, 0
	v_bcnt_u32_b32 v4, v14, v4
	s_waitcnt lgkmcnt(0)
	v_add_u32_e32 v4, v82, v4
	ds_write_b32 v86, v4 offset:1040
.LBB191_66:                             ;   in Loop: Header=BB191_48 Depth=2
	s_or_b64 exec, exec, s[38:39]
	v_lshrrev_b32_sdwa v4, s7, v77 dst_sel:DWORD dst_unused:UNUSED_PAD src0_sel:DWORD src1_sel:BYTE_0
	v_and_b32_e32 v13, s58, v4
	v_mad_u32_u24 v4, v13, 20, v71
	; wave barrier
	ds_read_b32 v85, v4 offset:1040
	v_and_b32_e32 v4, 1, v13
	v_add_co_u32_e32 v14, vcc, -1, v4
	v_addc_co_u32_e64 v16, s[38:39], 0, -1, vcc
	v_cmp_ne_u32_e32 vcc, 0, v4
	v_xor_b32_e32 v4, vcc_hi, v16
	v_and_b32_e32 v16, exec_hi, v4
	v_lshlrev_b32_e32 v4, 30, v13
	v_xor_b32_e32 v14, vcc_lo, v14
	v_cmp_gt_i64_e32 vcc, 0, v[3:4]
	v_not_b32_e32 v4, v4
	v_ashrrev_i32_e32 v4, 31, v4
	v_and_b32_e32 v14, exec_lo, v14
	v_xor_b32_e32 v87, vcc_hi, v4
	v_xor_b32_e32 v4, vcc_lo, v4
	v_and_b32_e32 v14, v14, v4
	v_lshlrev_b32_e32 v4, 29, v13
	v_cmp_gt_i64_e32 vcc, 0, v[3:4]
	v_not_b32_e32 v4, v4
	v_ashrrev_i32_e32 v4, 31, v4
	v_and_b32_e32 v16, v16, v87
	v_xor_b32_e32 v87, vcc_hi, v4
	v_xor_b32_e32 v4, vcc_lo, v4
	v_and_b32_e32 v14, v14, v4
	v_lshlrev_b32_e32 v4, 28, v13
	v_cmp_gt_i64_e32 vcc, 0, v[3:4]
	v_not_b32_e32 v4, v4
	v_ashrrev_i32_e32 v4, 31, v4
	v_and_b32_e32 v16, v16, v87
	;; [unrolled: 8-line block ×5, first 2 shown]
	v_xor_b32_e32 v87, vcc_hi, v4
	v_xor_b32_e32 v4, vcc_lo, v4
	v_and_b32_e32 v16, v16, v87
	v_and_b32_e32 v87, v14, v4
	v_lshlrev_b32_e32 v4, 24, v13
	v_cmp_gt_i64_e32 vcc, 0, v[3:4]
	v_not_b32_e32 v4, v4
	v_ashrrev_i32_e32 v4, 31, v4
	v_mul_u32_u24_e32 v15, 20, v13
	v_xor_b32_e32 v13, vcc_hi, v4
	v_xor_b32_e32 v4, vcc_lo, v4
	v_and_b32_e32 v14, v16, v13
	v_and_b32_e32 v13, v87, v4
	v_mbcnt_lo_u32_b32 v4, v13, 0
	v_mbcnt_hi_u32_b32 v4, v14, v4
	v_cmp_ne_u64_e32 vcc, 0, v[13:14]
	v_cmp_eq_u32_e64 s[38:39], 0, v4
	s_and_b64 s[40:41], vcc, s[38:39]
	v_add_u32_e32 v87, v71, v15
	; wave barrier
	s_and_saveexec_b64 s[38:39], s[40:41]
	s_cbranch_execz .LBB191_68
; %bb.67:                               ;   in Loop: Header=BB191_48 Depth=2
	v_bcnt_u32_b32 v13, v13, 0
	v_bcnt_u32_b32 v13, v14, v13
	s_waitcnt lgkmcnt(0)
	v_add_u32_e32 v13, v85, v13
	ds_write_b32 v87, v13 offset:1040
.LBB191_68:                             ;   in Loop: Header=BB191_48 Depth=2
	s_or_b64 exec, exec, s[38:39]
	; wave barrier
	s_waitcnt lgkmcnt(0)
	s_barrier
	ds_read2_b32 v[15:16], v53 offset1:1
	ds_read2_b32 v[13:14], v54 offset1:1
	ds_read_b32 v88, v50 offset:1056
	s_waitcnt lgkmcnt(1)
	v_add3_u32 v89, v16, v15, v13
	s_waitcnt lgkmcnt(0)
	v_add3_u32 v88, v89, v14, v88
	s_nop 1
	v_mov_b32_dpp v89, v88 row_shr:1 row_mask:0xf bank_mask:0xf
	v_cndmask_b32_e64 v89, v89, 0, s[18:19]
	v_add_u32_e32 v88, v89, v88
	s_nop 1
	v_mov_b32_dpp v89, v88 row_shr:2 row_mask:0xf bank_mask:0xf
	v_cndmask_b32_e64 v89, 0, v89, s[20:21]
	v_add_u32_e32 v88, v88, v89
	;; [unrolled: 4-line block ×4, first 2 shown]
	s_nop 1
	v_mov_b32_dpp v89, v88 row_bcast:15 row_mask:0xf bank_mask:0xf
	v_cndmask_b32_e64 v89, v89, 0, s[26:27]
	v_add_u32_e32 v88, v88, v89
	s_nop 1
	v_mov_b32_dpp v89, v88 row_bcast:31 row_mask:0xf bank_mask:0xf
	v_cndmask_b32_e64 v89, 0, v89, s[28:29]
	v_add_u32_e32 v88, v88, v89
	s_and_saveexec_b64 s[38:39], s[8:9]
; %bb.69:                               ;   in Loop: Header=BB191_48 Depth=2
	ds_write_b32 v26, v88 offset:1024
; %bb.70:                               ;   in Loop: Header=BB191_48 Depth=2
	s_or_b64 exec, exec, s[38:39]
	s_waitcnt lgkmcnt(0)
	s_barrier
	s_and_saveexec_b64 s[38:39], s[10:11]
	s_cbranch_execz .LBB191_72
; %bb.71:                               ;   in Loop: Header=BB191_48 Depth=2
	v_add_u32_e32 v89, v50, v28
	ds_read_b32 v90, v89 offset:1024
	s_waitcnt lgkmcnt(0)
	s_nop 0
	v_mov_b32_dpp v91, v90 row_shr:1 row_mask:0xf bank_mask:0xf
	v_cndmask_b32_e64 v91, v91, 0, s[34:35]
	v_add_u32_e32 v90, v91, v90
	s_nop 1
	v_mov_b32_dpp v91, v90 row_shr:2 row_mask:0xf bank_mask:0xf
	v_cndmask_b32_e64 v91, 0, v91, s[36:37]
	v_add_u32_e32 v90, v90, v91
	ds_write_b32 v89, v90 offset:1024
.LBB191_72:                             ;   in Loop: Header=BB191_48 Depth=2
	s_or_b64 exec, exec, s[38:39]
	v_mov_b32_e32 v89, 0
	s_waitcnt lgkmcnt(0)
	s_barrier
	s_and_saveexec_b64 s[38:39], s[12:13]
; %bb.73:                               ;   in Loop: Header=BB191_48 Depth=2
	ds_read_b32 v89, v26 offset:1020
; %bb.74:                               ;   in Loop: Header=BB191_48 Depth=2
	s_or_b64 exec, exec, s[38:39]
	s_waitcnt lgkmcnt(0)
	v_add_u32_e32 v88, v89, v88
	ds_bpermute_b32 v88, v64, v88
	s_waitcnt lgkmcnt(0)
	v_cndmask_b32_e64 v88, v88, v89, s[30:31]
	v_cndmask_b32_e64 v88, v88, 0, s[14:15]
	v_add_u32_e32 v15, v88, v15
	v_add_u32_e32 v16, v15, v16
	;; [unrolled: 1-line block ×4, first 2 shown]
	ds_write2_b32 v53, v88, v15 offset1:1
	ds_write2_b32 v54, v16, v13 offset1:1
	ds_write_b32 v50, v14 offset:1056
	s_waitcnt lgkmcnt(0)
	s_barrier
	ds_read_b32 v13, v80 offset:1040
	ds_read_b32 v14, v83 offset:1040
	;; [unrolled: 1-line block ×5, first 2 shown]
	v_mov_b32_e32 v80, 0x400
	s_and_saveexec_b64 s[38:39], s[16:17]
; %bb.75:                               ;   in Loop: Header=BB191_48 Depth=2
	ds_read_b32 v80, v50 offset:1060
; %bb.76:                               ;   in Loop: Header=BB191_48 Depth=2
	s_or_b64 exec, exec, s[38:39]
	s_waitcnt lgkmcnt(0)
	s_barrier
	s_and_saveexec_b64 s[38:39], s[4:5]
	s_cbranch_execz .LBB191_78
; %bb.77:                               ;   in Loop: Header=BB191_48 Depth=2
	ds_read_b32 v86, v18
	s_waitcnt lgkmcnt(0)
	v_sub_u32_e32 v15, v86, v15
	ds_write_b32 v18, v15
.LBB191_78:                             ;   in Loop: Header=BB191_48 Depth=2
	s_or_b64 exec, exec, s[38:39]
	v_add_u32_e32 v15, v13, v78
	v_add3_u32 v14, v81, v79, v14
	v_add3_u32 v13, v84, v82, v16
	v_add3_u32 v4, v4, v85, v83
	v_cmp_lt_u32_e64 s[42:43], v0, v74
	ds_write_b8 v15, v17 offset:1024
	ds_write_b8 v14, v75 offset:1024
	;; [unrolled: 1-line block ×4, first 2 shown]
	s_waitcnt lgkmcnt(0)
	s_barrier
	s_and_saveexec_b64 s[38:39], s[42:43]
	s_cbranch_execnz .LBB191_99
; %bb.79:                               ;   in Loop: Header=BB191_48 Depth=2
	s_or_b64 exec, exec, s[38:39]
	v_cmp_lt_u32_e64 s[40:41], v19, v74
	s_and_saveexec_b64 s[38:39], s[40:41]
	s_cbranch_execnz .LBB191_100
.LBB191_80:                             ;   in Loop: Header=BB191_48 Depth=2
	s_or_b64 exec, exec, s[38:39]
	v_cmp_lt_u32_e64 s[38:39], v20, v74
	s_and_saveexec_b64 s[44:45], s[38:39]
	s_cbranch_execnz .LBB191_101
.LBB191_81:                             ;   in Loop: Header=BB191_48 Depth=2
	s_or_b64 exec, exec, s[44:45]
	v_cmp_lt_u32_e32 vcc, v21, v74
	s_and_saveexec_b64 s[44:45], vcc
	s_cbranch_execz .LBB191_83
.LBB191_82:                             ;   in Loop: Header=BB191_48 Depth=2
	ds_read_u8 v16, v0 offset:1792
	s_waitcnt lgkmcnt(0)
	v_lshrrev_b32_sdwa v17, s7, v16 dst_sel:DWORD dst_unused:UNUSED_PAD src0_sel:DWORD src1_sel:BYTE_0
	v_and_b32_e32 v17, s58, v17
	v_lshlrev_b32_e32 v17, 2, v17
	ds_read_b32 v17, v17
	s_waitcnt lgkmcnt(0)
	v_add_u32_e32 v17, v17, v21
	global_store_byte v17, v16, s[50:51]
.LBB191_83:                             ;   in Loop: Header=BB191_48 Depth=2
	s_or_b64 exec, exec, s[44:45]
	s_lshl_b64 s[44:45], s[56:57], 3
	v_mov_b32_e32 v17, s45
	v_add_co_u32_e64 v16, s[44:45], s44, v65
	v_addc_co_u32_e64 v17, s[44:45], v66, v17, s[44:45]
	v_cmp_lt_u32_e64 s[44:45], v47, v74
	s_and_saveexec_b64 s[54:55], s[44:45]
	s_xor_b64 s[44:45], exec, s[54:55]
	s_cbranch_execnz .LBB191_102
; %bb.84:                               ;   in Loop: Header=BB191_48 Depth=2
	s_or_b64 exec, exec, s[44:45]
	v_cmp_lt_u32_e64 s[44:45], v61, v74
	s_and_saveexec_b64 s[54:55], s[44:45]
	s_cbranch_execnz .LBB191_103
.LBB191_85:                             ;   in Loop: Header=BB191_48 Depth=2
	s_or_b64 exec, exec, s[54:55]
	v_cmp_lt_u32_e64 s[44:45], v62, v74
	s_and_saveexec_b64 s[54:55], s[44:45]
	s_cbranch_execnz .LBB191_104
.LBB191_86:                             ;   in Loop: Header=BB191_48 Depth=2
	s_or_b64 exec, exec, s[54:55]
	v_cmp_lt_u32_e64 s[44:45], v63, v74
	s_and_saveexec_b64 s[54:55], s[44:45]
	s_cbranch_execnz .LBB191_105
.LBB191_87:                             ;   in Loop: Header=BB191_48 Depth=2
	s_or_b64 exec, exec, s[54:55]
	s_and_saveexec_b64 s[44:45], s[42:43]
	s_cbranch_execnz .LBB191_106
.LBB191_88:                             ;   in Loop: Header=BB191_48 Depth=2
	s_or_b64 exec, exec, s[44:45]
	s_and_saveexec_b64 s[44:45], s[40:41]
	s_cbranch_execnz .LBB191_107
.LBB191_89:                             ;   in Loop: Header=BB191_48 Depth=2
	s_or_b64 exec, exec, s[44:45]
	s_and_saveexec_b64 s[44:45], s[38:39]
	s_cbranch_execnz .LBB191_108
.LBB191_90:                             ;   in Loop: Header=BB191_48 Depth=2
	s_or_b64 exec, exec, s[44:45]
	s_and_saveexec_b64 s[44:45], vcc
	s_cbranch_execz .LBB191_92
.LBB191_91:                             ;   in Loop: Header=BB191_48 Depth=2
	ds_read_u8 v16, v0 offset:1792
	s_waitcnt lgkmcnt(0)
	v_lshrrev_b32_e32 v16, s7, v16
	v_and_b32_e32 v69, s58, v16
.LBB191_92:                             ;   in Loop: Header=BB191_48 Depth=2
	s_or_b64 exec, exec, s[44:45]
	v_mad_u64_u32 v[15:16], s[44:45], v15, 7, v[15:16]
	s_waitcnt vmcnt(0)
	v_mad_u64_u32 v[74:75], s[44:45], v4, 7, v[4:5]
	v_mad_u64_u32 v[16:17], s[44:45], v14, 7, v[14:15]
	;; [unrolled: 1-line block ×3, first 2 shown]
	s_barrier
	ds_write_b64 v15, v[11:12] offset:1024
	ds_write_b64 v16, v[9:10] offset:1024
	;; [unrolled: 1-line block ×4, first 2 shown]
	s_waitcnt lgkmcnt(0)
	s_barrier
	s_and_saveexec_b64 s[44:45], s[42:43]
	s_cbranch_execnz .LBB191_109
; %bb.93:                               ;   in Loop: Header=BB191_48 Depth=2
	s_or_b64 exec, exec, s[44:45]
	s_and_saveexec_b64 s[42:43], s[40:41]
	s_cbranch_execnz .LBB191_110
.LBB191_94:                             ;   in Loop: Header=BB191_48 Depth=2
	s_or_b64 exec, exec, s[42:43]
	s_and_saveexec_b64 s[40:41], s[38:39]
	s_cbranch_execnz .LBB191_111
.LBB191_95:                             ;   in Loop: Header=BB191_48 Depth=2
	s_or_b64 exec, exec, s[40:41]
	s_and_saveexec_b64 s[38:39], vcc
	s_cbranch_execz .LBB191_97
.LBB191_96:                             ;   in Loop: Header=BB191_48 Depth=2
	v_lshlrev_b32_e32 v4, 2, v69
	ds_read_b32 v4, v4
	v_add_u32_e32 v13, v0, v51
	ds_read_b64 v[13:14], v13 offset:7168
	v_mov_b32_e32 v16, v3
	v_mov_b32_e32 v17, s65
	s_waitcnt lgkmcnt(1)
	v_add_u32_e32 v15, v4, v21
	v_lshlrev_b64 v[15:16], 3, v[15:16]
	v_add_co_u32_e32 v15, vcc, s64, v15
	v_addc_co_u32_e32 v16, vcc, v17, v16, vcc
	s_waitcnt lgkmcnt(0)
	global_store_dwordx2 v[15:16], v[13:14], off
.LBB191_97:                             ;   in Loop: Header=BB191_48 Depth=2
	s_or_b64 exec, exec, s[38:39]
	s_waitcnt vmcnt(0)
	s_barrier
	s_and_saveexec_b64 s[38:39], s[4:5]
	s_cbranch_execz .LBB191_47
; %bb.98:                               ;   in Loop: Header=BB191_48 Depth=2
	ds_read_b32 v4, v18
	s_waitcnt lgkmcnt(0)
	v_add_u32_e32 v4, v4, v80
	ds_write_b32 v18, v4
	s_branch .LBB191_47
.LBB191_99:                             ;   in Loop: Header=BB191_48 Depth=2
	ds_read_u8 v16, v0 offset:1024
	s_waitcnt lgkmcnt(0)
	v_lshrrev_b32_sdwa v17, s7, v16 dst_sel:DWORD dst_unused:UNUSED_PAD src0_sel:DWORD src1_sel:BYTE_0
	v_and_b32_e32 v17, s58, v17
	v_lshlrev_b32_e32 v17, 2, v17
	ds_read_b32 v17, v17
	s_waitcnt lgkmcnt(0)
	v_add_u32_e32 v17, v17, v0
	global_store_byte v17, v16, s[50:51]
	s_or_b64 exec, exec, s[38:39]
	v_cmp_lt_u32_e64 s[40:41], v19, v74
	s_and_saveexec_b64 s[38:39], s[40:41]
	s_cbranch_execz .LBB191_80
.LBB191_100:                            ;   in Loop: Header=BB191_48 Depth=2
	ds_read_u8 v16, v0 offset:1280
	s_waitcnt lgkmcnt(0)
	v_lshrrev_b32_sdwa v17, s7, v16 dst_sel:DWORD dst_unused:UNUSED_PAD src0_sel:DWORD src1_sel:BYTE_0
	v_and_b32_e32 v17, s58, v17
	v_lshlrev_b32_e32 v17, 2, v17
	ds_read_b32 v17, v17
	s_waitcnt lgkmcnt(0)
	v_add_u32_e32 v17, v17, v19
	global_store_byte v17, v16, s[50:51]
	s_or_b64 exec, exec, s[38:39]
	v_cmp_lt_u32_e64 s[38:39], v20, v74
	s_and_saveexec_b64 s[44:45], s[38:39]
	s_cbranch_execz .LBB191_81
.LBB191_101:                            ;   in Loop: Header=BB191_48 Depth=2
	ds_read_u8 v16, v0 offset:1536
	s_waitcnt lgkmcnt(0)
	v_lshrrev_b32_sdwa v17, s7, v16 dst_sel:DWORD dst_unused:UNUSED_PAD src0_sel:DWORD src1_sel:BYTE_0
	v_and_b32_e32 v17, s58, v17
	v_lshlrev_b32_e32 v17, 2, v17
	ds_read_b32 v17, v17
	s_waitcnt lgkmcnt(0)
	v_add_u32_e32 v17, v17, v20
	global_store_byte v17, v16, s[50:51]
	s_or_b64 exec, exec, s[44:45]
	v_cmp_lt_u32_e32 vcc, v21, v74
	s_and_saveexec_b64 s[44:45], vcc
	s_cbranch_execnz .LBB191_82
	s_branch .LBB191_83
.LBB191_102:                            ;   in Loop: Header=BB191_48 Depth=2
	global_load_dwordx2 v[11:12], v[16:17], off
	s_or_b64 exec, exec, s[44:45]
	v_cmp_lt_u32_e64 s[44:45], v61, v74
	s_and_saveexec_b64 s[54:55], s[44:45]
	s_cbranch_execz .LBB191_85
.LBB191_103:                            ;   in Loop: Header=BB191_48 Depth=2
	global_load_dwordx2 v[9:10], v[16:17], off offset:512
	s_or_b64 exec, exec, s[54:55]
	v_cmp_lt_u32_e64 s[44:45], v62, v74
	s_and_saveexec_b64 s[54:55], s[44:45]
	s_cbranch_execz .LBB191_86
.LBB191_104:                            ;   in Loop: Header=BB191_48 Depth=2
	global_load_dwordx2 v[7:8], v[16:17], off offset:1024
	s_or_b64 exec, exec, s[54:55]
	v_cmp_lt_u32_e64 s[44:45], v63, v74
	s_and_saveexec_b64 s[54:55], s[44:45]
	s_cbranch_execz .LBB191_87
.LBB191_105:                            ;   in Loop: Header=BB191_48 Depth=2
	global_load_dwordx2 v[5:6], v[16:17], off offset:1536
	s_or_b64 exec, exec, s[54:55]
	s_and_saveexec_b64 s[44:45], s[42:43]
	s_cbranch_execz .LBB191_88
.LBB191_106:                            ;   in Loop: Header=BB191_48 Depth=2
	ds_read_u8 v16, v0 offset:1024
	s_waitcnt lgkmcnt(0)
	v_lshrrev_b32_e32 v16, s7, v16
	v_and_b32_e32 v73, s58, v16
	s_or_b64 exec, exec, s[44:45]
	s_and_saveexec_b64 s[44:45], s[40:41]
	s_cbranch_execz .LBB191_89
.LBB191_107:                            ;   in Loop: Header=BB191_48 Depth=2
	ds_read_u8 v16, v0 offset:1280
	s_waitcnt lgkmcnt(0)
	v_lshrrev_b32_e32 v16, s7, v16
	v_and_b32_e32 v72, s58, v16
	s_or_b64 exec, exec, s[44:45]
	s_and_saveexec_b64 s[44:45], s[38:39]
	s_cbranch_execz .LBB191_90
.LBB191_108:                            ;   in Loop: Header=BB191_48 Depth=2
	ds_read_u8 v16, v0 offset:1536
	s_waitcnt lgkmcnt(0)
	v_lshrrev_b32_e32 v16, s7, v16
	v_and_b32_e32 v70, s58, v16
	s_or_b64 exec, exec, s[44:45]
	s_and_saveexec_b64 s[44:45], vcc
	s_cbranch_execnz .LBB191_91
	s_branch .LBB191_92
.LBB191_109:                            ;   in Loop: Header=BB191_48 Depth=2
	v_lshlrev_b32_e32 v4, 2, v73
	ds_read_b32 v4, v4
	v_add_u32_e32 v13, v0, v51
	ds_read_b64 v[13:14], v13 offset:1024
	v_mov_b32_e32 v16, v3
	v_mov_b32_e32 v17, s65
	s_waitcnt lgkmcnt(1)
	v_add_u32_e32 v15, v4, v0
	v_lshlrev_b64 v[15:16], 3, v[15:16]
	v_add_co_u32_e64 v15, s[42:43], s64, v15
	v_addc_co_u32_e64 v16, s[42:43], v17, v16, s[42:43]
	s_waitcnt lgkmcnt(0)
	global_store_dwordx2 v[15:16], v[13:14], off
	s_or_b64 exec, exec, s[44:45]
	s_and_saveexec_b64 s[42:43], s[40:41]
	s_cbranch_execz .LBB191_94
.LBB191_110:                            ;   in Loop: Header=BB191_48 Depth=2
	v_lshlrev_b32_e32 v4, 2, v72
	ds_read_b32 v4, v4
	v_add_u32_e32 v13, v0, v51
	ds_read_b64 v[13:14], v13 offset:3072
	v_mov_b32_e32 v16, v3
	v_mov_b32_e32 v17, s65
	s_waitcnt lgkmcnt(1)
	v_add_u32_e32 v15, v4, v19
	v_lshlrev_b64 v[15:16], 3, v[15:16]
	v_add_co_u32_e64 v15, s[40:41], s64, v15
	v_addc_co_u32_e64 v16, s[40:41], v17, v16, s[40:41]
	s_waitcnt lgkmcnt(0)
	global_store_dwordx2 v[15:16], v[13:14], off
	s_or_b64 exec, exec, s[42:43]
	s_and_saveexec_b64 s[40:41], s[38:39]
	s_cbranch_execz .LBB191_95
.LBB191_111:                            ;   in Loop: Header=BB191_48 Depth=2
	v_lshlrev_b32_e32 v4, 2, v70
	ds_read_b32 v4, v4
	v_add_u32_e32 v13, v0, v51
	ds_read_b64 v[13:14], v13 offset:5120
	v_mov_b32_e32 v16, v3
	v_mov_b32_e32 v17, s65
	s_waitcnt lgkmcnt(1)
	v_add_u32_e32 v15, v4, v20
	v_lshlrev_b64 v[15:16], 3, v[15:16]
	v_add_co_u32_e64 v15, s[38:39], s64, v15
	v_addc_co_u32_e64 v16, s[38:39], v17, v16, s[38:39]
	s_waitcnt lgkmcnt(0)
	global_store_dwordx2 v[15:16], v[13:14], off
	s_or_b64 exec, exec, s[40:41]
	s_and_saveexec_b64 s[38:39], vcc
	s_cbranch_execnz .LBB191_96
	s_branch .LBB191_97
.LBB191_112:                            ;   in Loop: Header=BB191_12 Depth=1
	s_waitcnt lgkmcnt(0)
	s_barrier
	s_mov_b64 s[18:19], 0
.LBB191_113:                            ;   in Loop: Header=BB191_12 Depth=1
	s_and_b64 vcc, exec, s[18:19]
	s_cbranch_vccz .LBB191_213
; %bb.114:                              ;   in Loop: Header=BB191_12 Depth=1
	v_mov_b32_e32 v4, 0
	s_mov_b32 s20, s71
	s_mov_b32 s22, s63
	v_mov_b32_e32 v7, 0
	v_mov_b32_e32 v6, 0
	;; [unrolled: 1-line block ×3, first 2 shown]
	s_barrier
	s_branch .LBB191_116
.LBB191_115:                            ;   in Loop: Header=BB191_116 Depth=2
	s_or_b64 exec, exec, s[18:19]
	s_addk_i32 s20, 0xfc00
	s_cmp_ge_u32 s21, s74
	s_mov_b32 s22, s21
	s_cbranch_scc1 .LBB191_136
.LBB191_116:                            ;   Parent Loop BB191_12 Depth=1
                                        ; =>  This Inner Loop Header: Depth=2
	s_add_i32 s21, s22, 0x400
	s_cmp_gt_u32 s21, s74
	s_mov_b64 s[18:19], -1
                                        ; implicit-def: $vgpr8
                                        ; implicit-def: $vgpr9
                                        ; implicit-def: $vgpr10
                                        ; implicit-def: $vgpr11
	s_cbranch_scc1 .LBB191_118
; %bb.117:                              ;   in Loop: Header=BB191_116 Depth=2
	v_add_co_u32_e32 v12, vcc, s22, v33
	v_addc_co_u32_e32 v13, vcc, 0, v34, vcc
	global_load_ubyte v11, v[12:13], off offset:768
	global_load_ubyte v10, v[12:13], off offset:512
	;; [unrolled: 1-line block ×3, first 2 shown]
	global_load_ubyte v8, v[12:13], off
	s_mov_b64 s[18:19], 0
.LBB191_118:                            ;   in Loop: Header=BB191_116 Depth=2
	s_andn2_b64 vcc, exec, s[18:19]
	s_movk_i32 s23, 0x400
	s_cbranch_vccnz .LBB191_125
; %bb.119:                              ;   in Loop: Header=BB191_116 Depth=2
	s_add_u32 s22, s50, s22
	s_addc_u32 s23, s51, 0
	v_cmp_gt_u32_e32 vcc, s20, v0
	s_and_saveexec_b64 s[18:19], vcc
	s_cbranch_execnz .LBB191_133
; %bb.120:                              ;   in Loop: Header=BB191_116 Depth=2
	s_or_b64 exec, exec, s[18:19]
	v_cmp_gt_u32_e32 vcc, s20, v19
	s_and_saveexec_b64 s[18:19], vcc
	s_cbranch_execnz .LBB191_134
.LBB191_121:                            ;   in Loop: Header=BB191_116 Depth=2
	s_or_b64 exec, exec, s[18:19]
	v_cmp_gt_u32_e32 vcc, s20, v20
	s_and_saveexec_b64 s[18:19], vcc
	s_cbranch_execnz .LBB191_135
.LBB191_122:                            ;   in Loop: Header=BB191_116 Depth=2
	s_or_b64 exec, exec, s[18:19]
	v_cmp_gt_u32_e32 vcc, s20, v21
	s_and_saveexec_b64 s[18:19], vcc
	s_cbranch_execz .LBB191_124
.LBB191_123:                            ;   in Loop: Header=BB191_116 Depth=2
	v_mov_b32_e32 v5, s23
	s_waitcnt vmcnt(0)
	v_add_co_u32_e32 v8, vcc, s22, v0
	v_addc_co_u32_e32 v9, vcc, 0, v5, vcc
	global_load_ubyte v5, v[8:9], off offset:768
.LBB191_124:                            ;   in Loop: Header=BB191_116 Depth=2
	s_or_b64 exec, exec, s[18:19]
	s_mov_b32 s23, s20
	s_waitcnt vmcnt(0)
	v_mov_b32_e32 v8, v4
	v_mov_b32_e32 v9, v7
	;; [unrolled: 1-line block ×4, first 2 shown]
.LBB191_125:                            ;   in Loop: Header=BB191_116 Depth=2
	s_waitcnt vmcnt(3)
	v_mov_b32_e32 v5, v11
	s_waitcnt vmcnt(2)
	v_mov_b32_e32 v6, v10
	;; [unrolled: 2-line block ×4, first 2 shown]
	v_cmp_gt_u32_e32 vcc, s23, v0
	s_and_saveexec_b64 s[18:19], vcc
	s_cbranch_execnz .LBB191_129
; %bb.126:                              ;   in Loop: Header=BB191_116 Depth=2
	s_or_b64 exec, exec, s[18:19]
	v_cmp_gt_u32_e32 vcc, s23, v19
	s_and_saveexec_b64 s[18:19], vcc
	s_cbranch_execnz .LBB191_130
.LBB191_127:                            ;   in Loop: Header=BB191_116 Depth=2
	s_or_b64 exec, exec, s[18:19]
	v_cmp_gt_u32_e32 vcc, s23, v20
	s_and_saveexec_b64 s[18:19], vcc
	s_cbranch_execnz .LBB191_131
.LBB191_128:                            ;   in Loop: Header=BB191_116 Depth=2
	s_or_b64 exec, exec, s[18:19]
	v_cmp_gt_u32_e32 vcc, s23, v21
	s_and_saveexec_b64 s[18:19], vcc
	s_cbranch_execz .LBB191_115
	s_branch .LBB191_132
.LBB191_129:                            ;   in Loop: Header=BB191_116 Depth=2
	v_lshrrev_b32_sdwa v8, s7, v4 dst_sel:DWORD dst_unused:UNUSED_PAD src0_sel:DWORD src1_sel:BYTE_0
	v_and_b32_e32 v8, s58, v8
	v_lshl_or_b32 v8, v8, 4, v24
	ds_add_u32 v8, v52
	s_or_b64 exec, exec, s[18:19]
	v_cmp_gt_u32_e32 vcc, s23, v19
	s_and_saveexec_b64 s[18:19], vcc
	s_cbranch_execz .LBB191_127
.LBB191_130:                            ;   in Loop: Header=BB191_116 Depth=2
	v_lshrrev_b32_sdwa v8, s7, v7 dst_sel:DWORD dst_unused:UNUSED_PAD src0_sel:DWORD src1_sel:BYTE_0
	v_and_b32_e32 v8, s58, v8
	v_lshl_or_b32 v8, v8, 4, v24
	ds_add_u32 v8, v52
	s_or_b64 exec, exec, s[18:19]
	v_cmp_gt_u32_e32 vcc, s23, v20
	s_and_saveexec_b64 s[18:19], vcc
	s_cbranch_execz .LBB191_128
.LBB191_131:                            ;   in Loop: Header=BB191_116 Depth=2
	v_lshrrev_b32_sdwa v8, s7, v6 dst_sel:DWORD dst_unused:UNUSED_PAD src0_sel:DWORD src1_sel:BYTE_0
	v_and_b32_e32 v8, s58, v8
	v_lshl_or_b32 v8, v8, 4, v24
	ds_add_u32 v8, v52
	s_or_b64 exec, exec, s[18:19]
	v_cmp_gt_u32_e32 vcc, s23, v21
	s_and_saveexec_b64 s[18:19], vcc
	s_cbranch_execz .LBB191_115
.LBB191_132:                            ;   in Loop: Header=BB191_116 Depth=2
	v_lshrrev_b32_sdwa v8, s7, v5 dst_sel:DWORD dst_unused:UNUSED_PAD src0_sel:DWORD src1_sel:BYTE_0
	v_and_b32_e32 v8, s58, v8
	v_lshl_or_b32 v8, v8, 4, v24
	ds_add_u32 v8, v52
	s_branch .LBB191_115
.LBB191_133:                            ;   in Loop: Header=BB191_116 Depth=2
	v_mov_b32_e32 v4, s23
	s_waitcnt vmcnt(0)
	v_add_co_u32_e32 v8, vcc, s22, v0
	v_addc_co_u32_e32 v9, vcc, 0, v4, vcc
	global_load_ubyte v4, v[8:9], off
	s_or_b64 exec, exec, s[18:19]
	v_cmp_gt_u32_e32 vcc, s20, v19
	s_and_saveexec_b64 s[18:19], vcc
	s_cbranch_execz .LBB191_121
.LBB191_134:                            ;   in Loop: Header=BB191_116 Depth=2
	s_waitcnt vmcnt(0)
	v_mov_b32_e32 v8, s23
	v_add_co_u32_e32 v7, vcc, s22, v0
	v_addc_co_u32_e32 v8, vcc, 0, v8, vcc
	global_load_ubyte v7, v[7:8], off offset:256
	s_or_b64 exec, exec, s[18:19]
	v_cmp_gt_u32_e32 vcc, s20, v20
	s_and_saveexec_b64 s[18:19], vcc
	s_cbranch_execz .LBB191_122
.LBB191_135:                            ;   in Loop: Header=BB191_116 Depth=2
	v_mov_b32_e32 v6, s23
	s_waitcnt vmcnt(0)
	v_add_co_u32_e32 v8, vcc, s22, v0
	v_addc_co_u32_e32 v9, vcc, 0, v6, vcc
	global_load_ubyte v6, v[8:9], off offset:512
	s_or_b64 exec, exec, s[18:19]
	v_cmp_gt_u32_e32 vcc, s20, v21
	s_and_saveexec_b64 s[18:19], vcc
	s_cbranch_execnz .LBB191_123
	s_branch .LBB191_124
.LBB191_136:                            ;   in Loop: Header=BB191_12 Depth=1
	v_mov_b32_e32 v4, 0
	s_waitcnt lgkmcnt(0)
	s_barrier
	s_and_saveexec_b64 s[18:19], s[4:5]
	s_cbranch_execz .LBB191_138
; %bb.137:                              ;   in Loop: Header=BB191_12 Depth=1
	ds_read2_b64 v[4:7], v25 offset1:1
	s_waitcnt lgkmcnt(0)
	v_add_u32_e32 v4, v5, v4
	v_add3_u32 v4, v4, v6, v7
.LBB191_138:                            ;   in Loop: Header=BB191_12 Depth=1
	s_or_b64 exec, exec, s[18:19]
	s_nop 0
	v_mov_b32_dpp v5, v4 row_shr:1 row_mask:0xf bank_mask:0xf
	v_cmp_eq_u32_e64 s[18:19], 0, v55
	v_cndmask_b32_e64 v5, v5, 0, s[18:19]
	v_add_u32_e32 v4, v5, v4
	v_cmp_lt_u32_e64 s[20:21], 1, v55
	v_cmp_lt_u32_e64 s[22:23], 3, v55
	v_mov_b32_dpp v5, v4 row_shr:2 row_mask:0xf bank_mask:0xf
	v_cndmask_b32_e64 v5, 0, v5, s[20:21]
	v_add_u32_e32 v4, v4, v5
	v_cmp_lt_u32_e64 s[24:25], 7, v55
	v_cmp_lt_u32_e64 s[28:29], 31, v45
	v_mov_b32_dpp v5, v4 row_shr:4 row_mask:0xf bank_mask:0xf
	v_cndmask_b32_e64 v5, 0, v5, s[22:23]
	v_add_u32_e32 v4, v4, v5
	v_cmp_eq_u32_e64 s[26:27], 0, v57
	s_nop 0
	v_mov_b32_dpp v5, v4 row_shr:8 row_mask:0xf bank_mask:0xf
	v_cndmask_b32_e64 v5, 0, v5, s[24:25]
	v_add_u32_e32 v4, v4, v5
	s_nop 1
	v_mov_b32_dpp v5, v4 row_bcast:15 row_mask:0xf bank_mask:0xf
	v_and_b32_e32 v5, v56, v5
	v_add_u32_e32 v4, v4, v5
	s_nop 1
	v_mov_b32_dpp v5, v4 row_bcast:31 row_mask:0xf bank_mask:0xf
	v_cndmask_b32_e64 v5, 0, v5, s[28:29]
	v_add_u32_e32 v4, v4, v5
	s_and_saveexec_b64 s[30:31], s[8:9]
; %bb.139:                              ;   in Loop: Header=BB191_12 Depth=1
	ds_write_b32 v27, v4
; %bb.140:                              ;   in Loop: Header=BB191_12 Depth=1
	s_or_b64 exec, exec, s[30:31]
	s_waitcnt lgkmcnt(0)
	s_barrier
	s_and_saveexec_b64 s[30:31], s[10:11]
	s_cbranch_execz .LBB191_142
; %bb.141:                              ;   in Loop: Header=BB191_12 Depth=1
	ds_read_b32 v5, v48
	v_cmp_ne_u32_e32 vcc, 0, v58
	s_waitcnt lgkmcnt(0)
	v_mov_b32_dpp v6, v5 row_shr:1 row_mask:0xf bank_mask:0xf
	v_cndmask_b32_e32 v6, 0, v6, vcc
	v_add_u32_e32 v5, v6, v5
	v_cmp_lt_u32_e32 vcc, 1, v58
	s_nop 0
	v_mov_b32_dpp v6, v5 row_shr:2 row_mask:0xf bank_mask:0xf
	v_cndmask_b32_e32 v6, 0, v6, vcc
	v_add_u32_e32 v5, v5, v6
	ds_write_b32 v48, v5
.LBB191_142:                            ;   in Loop: Header=BB191_12 Depth=1
	s_or_b64 exec, exec, s[30:31]
	v_mov_b32_e32 v5, 0
	s_waitcnt lgkmcnt(0)
	s_barrier
	s_and_saveexec_b64 s[30:31], s[12:13]
; %bb.143:                              ;   in Loop: Header=BB191_12 Depth=1
	ds_read_b32 v5, v49
; %bb.144:                              ;   in Loop: Header=BB191_12 Depth=1
	s_or_b64 exec, exec, s[30:31]
	v_subrev_co_u32_e64 v6, s[30:31], 1, v45
	v_cmp_lt_i32_e32 vcc, v6, v59
	v_cndmask_b32_e32 v6, v6, v45, vcc
	s_waitcnt lgkmcnt(0)
	v_add_u32_e32 v4, v5, v4
	v_lshlrev_b32_e32 v64, 2, v6
	ds_bpermute_b32 v4, v64, v4
	s_waitcnt lgkmcnt(0)
	s_barrier
	s_and_saveexec_b64 s[34:35], s[4:5]
; %bb.145:                              ;   in Loop: Header=BB191_12 Depth=1
	v_cndmask_b32_e64 v4, v4, v5, s[30:31]
	v_add_u32_e32 v4, s63, v4
	ds_write_b32 v18, v4
; %bb.146:                              ;   in Loop: Header=BB191_12 Depth=1
	s_or_b64 exec, exec, s[34:35]
	s_load_dwordx2 s[34:35], s[46:47], 0x0
	v_add_co_u32_e32 v65, vcc, v35, v60
	v_addc_co_u32_e32 v66, vcc, 0, v36, vcc
	s_waitcnt lgkmcnt(0)
	s_cmp_lt_u32 s33, s35
	s_cselect_b32 s35, 14, 20
	s_add_u32 s36, s46, s35
	s_addc_u32 s37, s47, 0
	s_cmp_lt_u32 s6, s34
	s_cselect_b32 s34, 12, 18
	s_add_u32 s34, s46, s34
	global_load_ushort v4, v3, s[36:37]
	s_addc_u32 s35, s47, 0
	global_load_ushort v5, v3, s[34:35]
	v_add_co_u32_e32 v67, vcc, v37, v46
	v_cmp_eq_u32_e64 s[34:35], 0, v58
	v_cmp_lt_u32_e64 s[36:37], 1, v58
	v_addc_co_u32_e32 v68, vcc, 0, v38, vcc
	s_mov_b32 s59, s71
	s_mov_b32 s56, s63
                                        ; implicit-def: $vgpr7_vgpr8
                                        ; implicit-def: $vgpr9_vgpr10
                                        ; implicit-def: $vgpr11_vgpr12
                                        ; implicit-def: $vgpr69
                                        ; implicit-def: $vgpr70
                                        ; implicit-def: $vgpr72
                                        ; implicit-def: $vgpr73
	s_waitcnt vmcnt(1)
	v_mad_u32_u24 v4, v2, v4, v1
	s_waitcnt vmcnt(0)
	v_mad_u64_u32 v[4:5], s[38:39], v4, v5, v[0:1]
                                        ; implicit-def: $vgpr5_vgpr6
	v_lshrrev_b32_e32 v4, 4, v4
	v_and_b32_e32 v71, 0xffffffc, v4
	s_branch .LBB191_148
.LBB191_147:                            ;   in Loop: Header=BB191_148 Depth=2
	s_or_b64 exec, exec, s[38:39]
	s_addk_i32 s59, 0xfc00
	s_cmp_lt_u32 s60, s74
	s_mov_b32 s56, s60
	s_cbranch_scc0 .LBB191_212
.LBB191_148:                            ;   Parent Loop BB191_12 Depth=1
                                        ; =>  This Inner Loop Header: Depth=2
	s_add_i32 s60, s56, 0x400
	s_cmp_gt_u32 s60, s74
	s_cbranch_scc1 .LBB191_150
; %bb.149:                              ;   in Loop: Header=BB191_148 Depth=2
	v_add_co_u32_e32 v13, vcc, s56, v67
	v_addc_co_u32_e32 v14, vcc, 0, v68, vcc
	global_load_ubyte v17, v[13:14], off
	global_load_ubyte v75, v[13:14], off offset:64
	global_load_ubyte v76, v[13:14], off offset:128
	s_mov_b64 s[38:39], -1
	s_movk_i32 s42, 0x400
	s_cbranch_execz .LBB191_151
	s_branch .LBB191_158
.LBB191_150:                            ;   in Loop: Header=BB191_148 Depth=2
	s_mov_b64 s[38:39], 0
                                        ; implicit-def: $vgpr17
                                        ; implicit-def: $vgpr75
                                        ; implicit-def: $vgpr76
	s_movk_i32 s42, 0x400
.LBB191_151:                            ;   in Loop: Header=BB191_148 Depth=2
	v_add_co_u32_e32 v13, vcc, s56, v67
	v_addc_co_u32_e32 v14, vcc, 0, v68, vcc
	v_cmp_gt_u32_e32 vcc, s59, v47
	s_waitcnt vmcnt(1)
	v_mov_b32_e32 v75, 0xff
	v_mov_b32_e32 v17, 0xff
	s_and_saveexec_b64 s[38:39], vcc
	s_cbranch_execz .LBB191_153
; %bb.152:                              ;   in Loop: Header=BB191_148 Depth=2
	global_load_ubyte v17, v[13:14], off
.LBB191_153:                            ;   in Loop: Header=BB191_148 Depth=2
	s_or_b64 exec, exec, s[38:39]
	v_cmp_gt_u32_e32 vcc, s59, v61
	s_and_saveexec_b64 s[38:39], vcc
	s_cbranch_execz .LBB191_155
; %bb.154:                              ;   in Loop: Header=BB191_148 Depth=2
	global_load_ubyte v75, v[13:14], off offset:64
.LBB191_155:                            ;   in Loop: Header=BB191_148 Depth=2
	s_or_b64 exec, exec, s[38:39]
	v_cmp_gt_u32_e32 vcc, s59, v62
	s_waitcnt vmcnt(0)
	v_mov_b32_e32 v76, 0xff
	s_and_saveexec_b64 s[38:39], vcc
	s_cbranch_execz .LBB191_157
; %bb.156:                              ;   in Loop: Header=BB191_148 Depth=2
	global_load_ubyte v76, v[13:14], off offset:128
.LBB191_157:                            ;   in Loop: Header=BB191_148 Depth=2
	s_or_b64 exec, exec, s[38:39]
	s_sub_i32 s42, s74, s56
	v_cmp_gt_u32_e64 s[38:39], s59, v63
.LBB191_158:                            ;   in Loop: Header=BB191_148 Depth=2
	v_mov_b32_e32 v77, 0xff
	v_mov_b32_e32 v74, s59
	s_and_saveexec_b64 s[40:41], s[38:39]
	s_cbranch_execz .LBB191_160
; %bb.159:                              ;   in Loop: Header=BB191_148 Depth=2
	v_mov_b32_e32 v4, s57
	v_add_co_u32_e32 v13, vcc, s56, v67
	v_addc_co_u32_e32 v14, vcc, v68, v4, vcc
	global_load_ubyte v77, v[13:14], off offset:192
	v_mov_b32_e32 v74, s42
.LBB191_160:                            ;   in Loop: Header=BB191_148 Depth=2
	s_or_b64 exec, exec, s[40:41]
	s_waitcnt vmcnt(2)
	v_lshrrev_b32_sdwa v4, s7, v17 dst_sel:DWORD dst_unused:UNUSED_PAD src0_sel:DWORD src1_sel:BYTE_0
	v_and_b32_e32 v13, s58, v4
	v_and_b32_e32 v4, 1, v13
	v_add_co_u32_e32 v14, vcc, -1, v4
	v_addc_co_u32_e64 v16, s[38:39], 0, -1, vcc
	v_cmp_ne_u32_e32 vcc, 0, v4
	v_xor_b32_e32 v4, vcc_hi, v16
	v_and_b32_e32 v16, exec_hi, v4
	v_lshlrev_b32_e32 v4, 30, v13
	v_xor_b32_e32 v14, vcc_lo, v14
	v_cmp_gt_i64_e32 vcc, 0, v[3:4]
	v_not_b32_e32 v4, v4
	v_ashrrev_i32_e32 v4, 31, v4
	v_and_b32_e32 v14, exec_lo, v14
	v_xor_b32_e32 v78, vcc_hi, v4
	v_xor_b32_e32 v4, vcc_lo, v4
	v_and_b32_e32 v14, v14, v4
	v_lshlrev_b32_e32 v4, 29, v13
	v_cmp_gt_i64_e32 vcc, 0, v[3:4]
	v_not_b32_e32 v4, v4
	v_ashrrev_i32_e32 v4, 31, v4
	v_and_b32_e32 v16, v16, v78
	v_xor_b32_e32 v78, vcc_hi, v4
	v_xor_b32_e32 v4, vcc_lo, v4
	v_and_b32_e32 v14, v14, v4
	v_lshlrev_b32_e32 v4, 28, v13
	v_cmp_gt_i64_e32 vcc, 0, v[3:4]
	v_not_b32_e32 v4, v4
	v_ashrrev_i32_e32 v4, 31, v4
	v_and_b32_e32 v16, v16, v78
	;; [unrolled: 8-line block ×5, first 2 shown]
	v_xor_b32_e32 v78, vcc_hi, v4
	v_xor_b32_e32 v4, vcc_lo, v4
	v_and_b32_e32 v16, v16, v78
	v_and_b32_e32 v78, v14, v4
	v_lshlrev_b32_e32 v4, 24, v13
	v_cmp_gt_i64_e32 vcc, 0, v[3:4]
	v_not_b32_e32 v4, v4
	v_ashrrev_i32_e32 v4, 31, v4
	v_mul_u32_u24_e32 v15, 20, v13
	v_xor_b32_e32 v13, vcc_hi, v4
	v_xor_b32_e32 v4, vcc_lo, v4
	v_and_b32_e32 v14, v16, v13
	v_and_b32_e32 v13, v78, v4
	v_mbcnt_lo_u32_b32 v4, v13, 0
	v_mbcnt_hi_u32_b32 v78, v14, v4
	v_cmp_ne_u64_e32 vcc, 0, v[13:14]
	v_cmp_eq_u32_e64 s[38:39], 0, v78
	s_and_b64 s[40:41], vcc, s[38:39]
	v_add_u32_e32 v80, v71, v15
	ds_write2_b32 v53, v3, v3 offset1:1
	ds_write2_b32 v54, v3, v3 offset1:1
	ds_write_b32 v50, v3 offset:1056
	s_waitcnt vmcnt(0) lgkmcnt(0)
	s_barrier
	; wave barrier
	s_and_saveexec_b64 s[38:39], s[40:41]
; %bb.161:                              ;   in Loop: Header=BB191_148 Depth=2
	v_bcnt_u32_b32 v4, v13, 0
	v_bcnt_u32_b32 v4, v14, v4
	ds_write_b32 v80, v4 offset:1040
; %bb.162:                              ;   in Loop: Header=BB191_148 Depth=2
	s_or_b64 exec, exec, s[38:39]
	v_lshrrev_b32_sdwa v4, s7, v75 dst_sel:DWORD dst_unused:UNUSED_PAD src0_sel:DWORD src1_sel:BYTE_0
	v_and_b32_e32 v13, s58, v4
	v_mad_u32_u24 v4, v13, 20, v71
	; wave barrier
	ds_read_b32 v79, v4 offset:1040
	v_and_b32_e32 v4, 1, v13
	v_add_co_u32_e32 v14, vcc, -1, v4
	v_addc_co_u32_e64 v16, s[38:39], 0, -1, vcc
	v_cmp_ne_u32_e32 vcc, 0, v4
	v_xor_b32_e32 v4, vcc_hi, v16
	v_and_b32_e32 v16, exec_hi, v4
	v_lshlrev_b32_e32 v4, 30, v13
	v_xor_b32_e32 v14, vcc_lo, v14
	v_cmp_gt_i64_e32 vcc, 0, v[3:4]
	v_not_b32_e32 v4, v4
	v_ashrrev_i32_e32 v4, 31, v4
	v_and_b32_e32 v14, exec_lo, v14
	v_xor_b32_e32 v81, vcc_hi, v4
	v_xor_b32_e32 v4, vcc_lo, v4
	v_and_b32_e32 v14, v14, v4
	v_lshlrev_b32_e32 v4, 29, v13
	v_cmp_gt_i64_e32 vcc, 0, v[3:4]
	v_not_b32_e32 v4, v4
	v_ashrrev_i32_e32 v4, 31, v4
	v_and_b32_e32 v16, v16, v81
	v_xor_b32_e32 v81, vcc_hi, v4
	v_xor_b32_e32 v4, vcc_lo, v4
	v_and_b32_e32 v14, v14, v4
	v_lshlrev_b32_e32 v4, 28, v13
	v_cmp_gt_i64_e32 vcc, 0, v[3:4]
	v_not_b32_e32 v4, v4
	v_ashrrev_i32_e32 v4, 31, v4
	v_and_b32_e32 v16, v16, v81
	;; [unrolled: 8-line block ×5, first 2 shown]
	v_xor_b32_e32 v81, vcc_hi, v4
	v_xor_b32_e32 v4, vcc_lo, v4
	v_and_b32_e32 v16, v16, v81
	v_and_b32_e32 v81, v14, v4
	v_lshlrev_b32_e32 v4, 24, v13
	v_cmp_gt_i64_e32 vcc, 0, v[3:4]
	v_not_b32_e32 v4, v4
	v_ashrrev_i32_e32 v4, 31, v4
	v_mul_u32_u24_e32 v15, 20, v13
	v_xor_b32_e32 v13, vcc_hi, v4
	v_xor_b32_e32 v4, vcc_lo, v4
	v_and_b32_e32 v14, v16, v13
	v_and_b32_e32 v13, v81, v4
	v_mbcnt_lo_u32_b32 v4, v13, 0
	v_mbcnt_hi_u32_b32 v81, v14, v4
	v_cmp_ne_u64_e32 vcc, 0, v[13:14]
	v_cmp_eq_u32_e64 s[38:39], 0, v81
	s_and_b64 s[40:41], vcc, s[38:39]
	v_add_u32_e32 v83, v71, v15
	; wave barrier
	s_and_saveexec_b64 s[38:39], s[40:41]
	s_cbranch_execz .LBB191_164
; %bb.163:                              ;   in Loop: Header=BB191_148 Depth=2
	v_bcnt_u32_b32 v4, v13, 0
	v_bcnt_u32_b32 v4, v14, v4
	s_waitcnt lgkmcnt(0)
	v_add_u32_e32 v4, v79, v4
	ds_write_b32 v83, v4 offset:1040
.LBB191_164:                            ;   in Loop: Header=BB191_148 Depth=2
	s_or_b64 exec, exec, s[38:39]
	v_lshrrev_b32_sdwa v4, s7, v76 dst_sel:DWORD dst_unused:UNUSED_PAD src0_sel:DWORD src1_sel:BYTE_0
	v_and_b32_e32 v13, s58, v4
	v_mad_u32_u24 v4, v13, 20, v71
	; wave barrier
	ds_read_b32 v82, v4 offset:1040
	v_and_b32_e32 v4, 1, v13
	v_add_co_u32_e32 v14, vcc, -1, v4
	v_addc_co_u32_e64 v16, s[38:39], 0, -1, vcc
	v_cmp_ne_u32_e32 vcc, 0, v4
	v_xor_b32_e32 v4, vcc_hi, v16
	v_and_b32_e32 v16, exec_hi, v4
	v_lshlrev_b32_e32 v4, 30, v13
	v_xor_b32_e32 v14, vcc_lo, v14
	v_cmp_gt_i64_e32 vcc, 0, v[3:4]
	v_not_b32_e32 v4, v4
	v_ashrrev_i32_e32 v4, 31, v4
	v_and_b32_e32 v14, exec_lo, v14
	v_xor_b32_e32 v84, vcc_hi, v4
	v_xor_b32_e32 v4, vcc_lo, v4
	v_and_b32_e32 v14, v14, v4
	v_lshlrev_b32_e32 v4, 29, v13
	v_cmp_gt_i64_e32 vcc, 0, v[3:4]
	v_not_b32_e32 v4, v4
	v_ashrrev_i32_e32 v4, 31, v4
	v_and_b32_e32 v16, v16, v84
	v_xor_b32_e32 v84, vcc_hi, v4
	v_xor_b32_e32 v4, vcc_lo, v4
	v_and_b32_e32 v14, v14, v4
	v_lshlrev_b32_e32 v4, 28, v13
	v_cmp_gt_i64_e32 vcc, 0, v[3:4]
	v_not_b32_e32 v4, v4
	v_ashrrev_i32_e32 v4, 31, v4
	v_and_b32_e32 v16, v16, v84
	;; [unrolled: 8-line block ×5, first 2 shown]
	v_xor_b32_e32 v84, vcc_hi, v4
	v_xor_b32_e32 v4, vcc_lo, v4
	v_and_b32_e32 v16, v16, v84
	v_and_b32_e32 v84, v14, v4
	v_lshlrev_b32_e32 v4, 24, v13
	v_cmp_gt_i64_e32 vcc, 0, v[3:4]
	v_not_b32_e32 v4, v4
	v_ashrrev_i32_e32 v4, 31, v4
	v_mul_u32_u24_e32 v15, 20, v13
	v_xor_b32_e32 v13, vcc_hi, v4
	v_xor_b32_e32 v4, vcc_lo, v4
	v_and_b32_e32 v14, v16, v13
	v_and_b32_e32 v13, v84, v4
	v_mbcnt_lo_u32_b32 v4, v13, 0
	v_mbcnt_hi_u32_b32 v84, v14, v4
	v_cmp_ne_u64_e32 vcc, 0, v[13:14]
	v_cmp_eq_u32_e64 s[38:39], 0, v84
	s_and_b64 s[40:41], vcc, s[38:39]
	v_add_u32_e32 v86, v71, v15
	; wave barrier
	s_and_saveexec_b64 s[38:39], s[40:41]
	s_cbranch_execz .LBB191_166
; %bb.165:                              ;   in Loop: Header=BB191_148 Depth=2
	v_bcnt_u32_b32 v4, v13, 0
	v_bcnt_u32_b32 v4, v14, v4
	s_waitcnt lgkmcnt(0)
	v_add_u32_e32 v4, v82, v4
	ds_write_b32 v86, v4 offset:1040
.LBB191_166:                            ;   in Loop: Header=BB191_148 Depth=2
	s_or_b64 exec, exec, s[38:39]
	v_lshrrev_b32_sdwa v4, s7, v77 dst_sel:DWORD dst_unused:UNUSED_PAD src0_sel:DWORD src1_sel:BYTE_0
	v_and_b32_e32 v13, s58, v4
	v_mad_u32_u24 v4, v13, 20, v71
	; wave barrier
	ds_read_b32 v85, v4 offset:1040
	v_and_b32_e32 v4, 1, v13
	v_add_co_u32_e32 v14, vcc, -1, v4
	v_addc_co_u32_e64 v16, s[38:39], 0, -1, vcc
	v_cmp_ne_u32_e32 vcc, 0, v4
	v_xor_b32_e32 v4, vcc_hi, v16
	v_and_b32_e32 v16, exec_hi, v4
	v_lshlrev_b32_e32 v4, 30, v13
	v_xor_b32_e32 v14, vcc_lo, v14
	v_cmp_gt_i64_e32 vcc, 0, v[3:4]
	v_not_b32_e32 v4, v4
	v_ashrrev_i32_e32 v4, 31, v4
	v_and_b32_e32 v14, exec_lo, v14
	v_xor_b32_e32 v87, vcc_hi, v4
	v_xor_b32_e32 v4, vcc_lo, v4
	v_and_b32_e32 v14, v14, v4
	v_lshlrev_b32_e32 v4, 29, v13
	v_cmp_gt_i64_e32 vcc, 0, v[3:4]
	v_not_b32_e32 v4, v4
	v_ashrrev_i32_e32 v4, 31, v4
	v_and_b32_e32 v16, v16, v87
	v_xor_b32_e32 v87, vcc_hi, v4
	v_xor_b32_e32 v4, vcc_lo, v4
	v_and_b32_e32 v14, v14, v4
	v_lshlrev_b32_e32 v4, 28, v13
	v_cmp_gt_i64_e32 vcc, 0, v[3:4]
	v_not_b32_e32 v4, v4
	v_ashrrev_i32_e32 v4, 31, v4
	v_and_b32_e32 v16, v16, v87
	;; [unrolled: 8-line block ×5, first 2 shown]
	v_xor_b32_e32 v87, vcc_hi, v4
	v_xor_b32_e32 v4, vcc_lo, v4
	v_and_b32_e32 v16, v16, v87
	v_and_b32_e32 v87, v14, v4
	v_lshlrev_b32_e32 v4, 24, v13
	v_cmp_gt_i64_e32 vcc, 0, v[3:4]
	v_not_b32_e32 v4, v4
	v_ashrrev_i32_e32 v4, 31, v4
	v_mul_u32_u24_e32 v15, 20, v13
	v_xor_b32_e32 v13, vcc_hi, v4
	v_xor_b32_e32 v4, vcc_lo, v4
	v_and_b32_e32 v14, v16, v13
	v_and_b32_e32 v13, v87, v4
	v_mbcnt_lo_u32_b32 v4, v13, 0
	v_mbcnt_hi_u32_b32 v4, v14, v4
	v_cmp_ne_u64_e32 vcc, 0, v[13:14]
	v_cmp_eq_u32_e64 s[38:39], 0, v4
	s_and_b64 s[40:41], vcc, s[38:39]
	v_add_u32_e32 v87, v71, v15
	; wave barrier
	s_and_saveexec_b64 s[38:39], s[40:41]
	s_cbranch_execz .LBB191_168
; %bb.167:                              ;   in Loop: Header=BB191_148 Depth=2
	v_bcnt_u32_b32 v13, v13, 0
	v_bcnt_u32_b32 v13, v14, v13
	s_waitcnt lgkmcnt(0)
	v_add_u32_e32 v13, v85, v13
	ds_write_b32 v87, v13 offset:1040
.LBB191_168:                            ;   in Loop: Header=BB191_148 Depth=2
	s_or_b64 exec, exec, s[38:39]
	; wave barrier
	s_waitcnt lgkmcnt(0)
	s_barrier
	ds_read2_b32 v[15:16], v53 offset1:1
	ds_read2_b32 v[13:14], v54 offset1:1
	ds_read_b32 v88, v50 offset:1056
	s_waitcnt lgkmcnt(1)
	v_add3_u32 v89, v16, v15, v13
	s_waitcnt lgkmcnt(0)
	v_add3_u32 v88, v89, v14, v88
	s_nop 1
	v_mov_b32_dpp v89, v88 row_shr:1 row_mask:0xf bank_mask:0xf
	v_cndmask_b32_e64 v89, v89, 0, s[18:19]
	v_add_u32_e32 v88, v89, v88
	s_nop 1
	v_mov_b32_dpp v89, v88 row_shr:2 row_mask:0xf bank_mask:0xf
	v_cndmask_b32_e64 v89, 0, v89, s[20:21]
	v_add_u32_e32 v88, v88, v89
	;; [unrolled: 4-line block ×4, first 2 shown]
	s_nop 1
	v_mov_b32_dpp v89, v88 row_bcast:15 row_mask:0xf bank_mask:0xf
	v_cndmask_b32_e64 v89, v89, 0, s[26:27]
	v_add_u32_e32 v88, v88, v89
	s_nop 1
	v_mov_b32_dpp v89, v88 row_bcast:31 row_mask:0xf bank_mask:0xf
	v_cndmask_b32_e64 v89, 0, v89, s[28:29]
	v_add_u32_e32 v88, v88, v89
	s_and_saveexec_b64 s[38:39], s[8:9]
; %bb.169:                              ;   in Loop: Header=BB191_148 Depth=2
	ds_write_b32 v26, v88 offset:1024
; %bb.170:                              ;   in Loop: Header=BB191_148 Depth=2
	s_or_b64 exec, exec, s[38:39]
	s_waitcnt lgkmcnt(0)
	s_barrier
	s_and_saveexec_b64 s[38:39], s[10:11]
	s_cbranch_execz .LBB191_172
; %bb.171:                              ;   in Loop: Header=BB191_148 Depth=2
	v_add_u32_e32 v89, v50, v28
	ds_read_b32 v90, v89 offset:1024
	s_waitcnt lgkmcnt(0)
	s_nop 0
	v_mov_b32_dpp v91, v90 row_shr:1 row_mask:0xf bank_mask:0xf
	v_cndmask_b32_e64 v91, v91, 0, s[34:35]
	v_add_u32_e32 v90, v91, v90
	s_nop 1
	v_mov_b32_dpp v91, v90 row_shr:2 row_mask:0xf bank_mask:0xf
	v_cndmask_b32_e64 v91, 0, v91, s[36:37]
	v_add_u32_e32 v90, v90, v91
	ds_write_b32 v89, v90 offset:1024
.LBB191_172:                            ;   in Loop: Header=BB191_148 Depth=2
	s_or_b64 exec, exec, s[38:39]
	v_mov_b32_e32 v89, 0
	s_waitcnt lgkmcnt(0)
	s_barrier
	s_and_saveexec_b64 s[38:39], s[12:13]
; %bb.173:                              ;   in Loop: Header=BB191_148 Depth=2
	ds_read_b32 v89, v26 offset:1020
; %bb.174:                              ;   in Loop: Header=BB191_148 Depth=2
	s_or_b64 exec, exec, s[38:39]
	s_waitcnt lgkmcnt(0)
	v_add_u32_e32 v88, v89, v88
	ds_bpermute_b32 v88, v64, v88
	s_waitcnt lgkmcnt(0)
	v_cndmask_b32_e64 v88, v88, v89, s[30:31]
	v_cndmask_b32_e64 v88, v88, 0, s[14:15]
	v_add_u32_e32 v15, v88, v15
	v_add_u32_e32 v16, v15, v16
	;; [unrolled: 1-line block ×4, first 2 shown]
	ds_write2_b32 v53, v88, v15 offset1:1
	ds_write2_b32 v54, v16, v13 offset1:1
	ds_write_b32 v50, v14 offset:1056
	s_waitcnt lgkmcnt(0)
	s_barrier
	ds_read_b32 v13, v80 offset:1040
	ds_read_b32 v14, v83 offset:1040
	;; [unrolled: 1-line block ×5, first 2 shown]
	v_mov_b32_e32 v80, 0x400
	s_and_saveexec_b64 s[38:39], s[16:17]
; %bb.175:                              ;   in Loop: Header=BB191_148 Depth=2
	ds_read_b32 v80, v50 offset:1060
; %bb.176:                              ;   in Loop: Header=BB191_148 Depth=2
	s_or_b64 exec, exec, s[38:39]
	s_waitcnt lgkmcnt(0)
	s_barrier
	s_and_saveexec_b64 s[38:39], s[4:5]
	s_cbranch_execz .LBB191_178
; %bb.177:                              ;   in Loop: Header=BB191_148 Depth=2
	ds_read_b32 v86, v18
	s_waitcnt lgkmcnt(0)
	v_sub_u32_e32 v15, v86, v15
	ds_write_b32 v18, v15
.LBB191_178:                            ;   in Loop: Header=BB191_148 Depth=2
	s_or_b64 exec, exec, s[38:39]
	v_add_u32_e32 v15, v13, v78
	v_add3_u32 v14, v81, v79, v14
	v_add3_u32 v13, v84, v82, v16
	;; [unrolled: 1-line block ×3, first 2 shown]
	v_cmp_lt_u32_e64 s[42:43], v0, v74
	ds_write_b8 v15, v17 offset:1024
	ds_write_b8 v14, v75 offset:1024
	;; [unrolled: 1-line block ×4, first 2 shown]
	s_waitcnt lgkmcnt(0)
	s_barrier
	s_and_saveexec_b64 s[38:39], s[42:43]
	s_cbranch_execnz .LBB191_199
; %bb.179:                              ;   in Loop: Header=BB191_148 Depth=2
	s_or_b64 exec, exec, s[38:39]
	v_cmp_lt_u32_e64 s[40:41], v19, v74
	s_and_saveexec_b64 s[38:39], s[40:41]
	s_cbranch_execnz .LBB191_200
.LBB191_180:                            ;   in Loop: Header=BB191_148 Depth=2
	s_or_b64 exec, exec, s[38:39]
	v_cmp_lt_u32_e64 s[38:39], v20, v74
	s_and_saveexec_b64 s[44:45], s[38:39]
	s_cbranch_execnz .LBB191_201
.LBB191_181:                            ;   in Loop: Header=BB191_148 Depth=2
	s_or_b64 exec, exec, s[44:45]
	v_cmp_lt_u32_e32 vcc, v21, v74
	s_and_saveexec_b64 s[44:45], vcc
	s_cbranch_execz .LBB191_183
.LBB191_182:                            ;   in Loop: Header=BB191_148 Depth=2
	ds_read_u8 v16, v0 offset:1792
	s_waitcnt lgkmcnt(0)
	v_lshrrev_b32_sdwa v17, s7, v16 dst_sel:DWORD dst_unused:UNUSED_PAD src0_sel:DWORD src1_sel:BYTE_0
	v_and_b32_e32 v17, s58, v17
	v_lshlrev_b32_e32 v17, 2, v17
	ds_read_b32 v17, v17
	s_waitcnt lgkmcnt(0)
	v_add_u32_e32 v17, v17, v21
	global_store_byte v17, v16, s[52:53]
.LBB191_183:                            ;   in Loop: Header=BB191_148 Depth=2
	s_or_b64 exec, exec, s[44:45]
	s_lshl_b64 s[44:45], s[56:57], 3
	v_mov_b32_e32 v17, s45
	v_add_co_u32_e64 v16, s[44:45], s44, v65
	v_addc_co_u32_e64 v17, s[44:45], v66, v17, s[44:45]
	v_cmp_lt_u32_e64 s[44:45], v47, v74
	s_and_saveexec_b64 s[54:55], s[44:45]
	s_xor_b64 s[44:45], exec, s[54:55]
	s_cbranch_execnz .LBB191_202
; %bb.184:                              ;   in Loop: Header=BB191_148 Depth=2
	s_or_b64 exec, exec, s[44:45]
	v_cmp_lt_u32_e64 s[44:45], v61, v74
	s_and_saveexec_b64 s[54:55], s[44:45]
	s_cbranch_execnz .LBB191_203
.LBB191_185:                            ;   in Loop: Header=BB191_148 Depth=2
	s_or_b64 exec, exec, s[54:55]
	v_cmp_lt_u32_e64 s[44:45], v62, v74
	s_and_saveexec_b64 s[54:55], s[44:45]
	s_cbranch_execnz .LBB191_204
.LBB191_186:                            ;   in Loop: Header=BB191_148 Depth=2
	s_or_b64 exec, exec, s[54:55]
	v_cmp_lt_u32_e64 s[44:45], v63, v74
	s_and_saveexec_b64 s[54:55], s[44:45]
	s_cbranch_execnz .LBB191_205
.LBB191_187:                            ;   in Loop: Header=BB191_148 Depth=2
	s_or_b64 exec, exec, s[54:55]
	s_and_saveexec_b64 s[44:45], s[42:43]
	s_cbranch_execnz .LBB191_206
.LBB191_188:                            ;   in Loop: Header=BB191_148 Depth=2
	s_or_b64 exec, exec, s[44:45]
	s_and_saveexec_b64 s[44:45], s[40:41]
	s_cbranch_execnz .LBB191_207
.LBB191_189:                            ;   in Loop: Header=BB191_148 Depth=2
	s_or_b64 exec, exec, s[44:45]
	s_and_saveexec_b64 s[44:45], s[38:39]
	s_cbranch_execnz .LBB191_208
.LBB191_190:                            ;   in Loop: Header=BB191_148 Depth=2
	s_or_b64 exec, exec, s[44:45]
	s_and_saveexec_b64 s[44:45], vcc
	s_cbranch_execz .LBB191_192
.LBB191_191:                            ;   in Loop: Header=BB191_148 Depth=2
	ds_read_u8 v16, v0 offset:1792
	s_waitcnt lgkmcnt(0)
	v_lshrrev_b32_e32 v16, s7, v16
	v_and_b32_e32 v69, s58, v16
.LBB191_192:                            ;   in Loop: Header=BB191_148 Depth=2
	s_or_b64 exec, exec, s[44:45]
	v_mad_u64_u32 v[15:16], s[44:45], v15, 7, v[15:16]
	s_waitcnt vmcnt(0)
	v_mad_u64_u32 v[74:75], s[44:45], v4, 7, v[4:5]
	v_mad_u64_u32 v[16:17], s[44:45], v14, 7, v[14:15]
	;; [unrolled: 1-line block ×3, first 2 shown]
	s_barrier
	ds_write_b64 v15, v[11:12] offset:1024
	ds_write_b64 v16, v[9:10] offset:1024
	;; [unrolled: 1-line block ×4, first 2 shown]
	s_waitcnt lgkmcnt(0)
	s_barrier
	s_and_saveexec_b64 s[44:45], s[42:43]
	s_cbranch_execnz .LBB191_209
; %bb.193:                              ;   in Loop: Header=BB191_148 Depth=2
	s_or_b64 exec, exec, s[44:45]
	s_and_saveexec_b64 s[42:43], s[40:41]
	s_cbranch_execnz .LBB191_210
.LBB191_194:                            ;   in Loop: Header=BB191_148 Depth=2
	s_or_b64 exec, exec, s[42:43]
	s_and_saveexec_b64 s[40:41], s[38:39]
	s_cbranch_execnz .LBB191_211
.LBB191_195:                            ;   in Loop: Header=BB191_148 Depth=2
	s_or_b64 exec, exec, s[40:41]
	s_and_saveexec_b64 s[38:39], vcc
	s_cbranch_execz .LBB191_197
.LBB191_196:                            ;   in Loop: Header=BB191_148 Depth=2
	v_lshlrev_b32_e32 v4, 2, v69
	ds_read_b32 v4, v4
	v_add_u32_e32 v13, v0, v51
	ds_read_b64 v[13:14], v13 offset:7168
	v_mov_b32_e32 v16, v3
	v_mov_b32_e32 v17, s67
	s_waitcnt lgkmcnt(1)
	v_add_u32_e32 v15, v4, v21
	v_lshlrev_b64 v[15:16], 3, v[15:16]
	v_add_co_u32_e32 v15, vcc, s66, v15
	v_addc_co_u32_e32 v16, vcc, v17, v16, vcc
	s_waitcnt lgkmcnt(0)
	global_store_dwordx2 v[15:16], v[13:14], off
.LBB191_197:                            ;   in Loop: Header=BB191_148 Depth=2
	s_or_b64 exec, exec, s[38:39]
	s_waitcnt vmcnt(0)
	s_barrier
	s_and_saveexec_b64 s[38:39], s[4:5]
	s_cbranch_execz .LBB191_147
; %bb.198:                              ;   in Loop: Header=BB191_148 Depth=2
	ds_read_b32 v4, v18
	s_waitcnt lgkmcnt(0)
	v_add_u32_e32 v4, v4, v80
	ds_write_b32 v18, v4
	s_branch .LBB191_147
.LBB191_199:                            ;   in Loop: Header=BB191_148 Depth=2
	ds_read_u8 v16, v0 offset:1024
	s_waitcnt lgkmcnt(0)
	v_lshrrev_b32_sdwa v17, s7, v16 dst_sel:DWORD dst_unused:UNUSED_PAD src0_sel:DWORD src1_sel:BYTE_0
	v_and_b32_e32 v17, s58, v17
	v_lshlrev_b32_e32 v17, 2, v17
	ds_read_b32 v17, v17
	s_waitcnt lgkmcnt(0)
	v_add_u32_e32 v17, v17, v0
	global_store_byte v17, v16, s[52:53]
	s_or_b64 exec, exec, s[38:39]
	v_cmp_lt_u32_e64 s[40:41], v19, v74
	s_and_saveexec_b64 s[38:39], s[40:41]
	s_cbranch_execz .LBB191_180
.LBB191_200:                            ;   in Loop: Header=BB191_148 Depth=2
	ds_read_u8 v16, v0 offset:1280
	s_waitcnt lgkmcnt(0)
	v_lshrrev_b32_sdwa v17, s7, v16 dst_sel:DWORD dst_unused:UNUSED_PAD src0_sel:DWORD src1_sel:BYTE_0
	v_and_b32_e32 v17, s58, v17
	v_lshlrev_b32_e32 v17, 2, v17
	ds_read_b32 v17, v17
	s_waitcnt lgkmcnt(0)
	v_add_u32_e32 v17, v17, v19
	global_store_byte v17, v16, s[52:53]
	s_or_b64 exec, exec, s[38:39]
	v_cmp_lt_u32_e64 s[38:39], v20, v74
	s_and_saveexec_b64 s[44:45], s[38:39]
	s_cbranch_execz .LBB191_181
.LBB191_201:                            ;   in Loop: Header=BB191_148 Depth=2
	ds_read_u8 v16, v0 offset:1536
	s_waitcnt lgkmcnt(0)
	v_lshrrev_b32_sdwa v17, s7, v16 dst_sel:DWORD dst_unused:UNUSED_PAD src0_sel:DWORD src1_sel:BYTE_0
	v_and_b32_e32 v17, s58, v17
	v_lshlrev_b32_e32 v17, 2, v17
	ds_read_b32 v17, v17
	s_waitcnt lgkmcnt(0)
	v_add_u32_e32 v17, v17, v20
	global_store_byte v17, v16, s[52:53]
	s_or_b64 exec, exec, s[44:45]
	v_cmp_lt_u32_e32 vcc, v21, v74
	s_and_saveexec_b64 s[44:45], vcc
	s_cbranch_execnz .LBB191_182
	s_branch .LBB191_183
.LBB191_202:                            ;   in Loop: Header=BB191_148 Depth=2
	global_load_dwordx2 v[11:12], v[16:17], off
	s_or_b64 exec, exec, s[44:45]
	v_cmp_lt_u32_e64 s[44:45], v61, v74
	s_and_saveexec_b64 s[54:55], s[44:45]
	s_cbranch_execz .LBB191_185
.LBB191_203:                            ;   in Loop: Header=BB191_148 Depth=2
	global_load_dwordx2 v[9:10], v[16:17], off offset:512
	s_or_b64 exec, exec, s[54:55]
	v_cmp_lt_u32_e64 s[44:45], v62, v74
	s_and_saveexec_b64 s[54:55], s[44:45]
	s_cbranch_execz .LBB191_186
.LBB191_204:                            ;   in Loop: Header=BB191_148 Depth=2
	global_load_dwordx2 v[7:8], v[16:17], off offset:1024
	s_or_b64 exec, exec, s[54:55]
	v_cmp_lt_u32_e64 s[44:45], v63, v74
	s_and_saveexec_b64 s[54:55], s[44:45]
	s_cbranch_execz .LBB191_187
.LBB191_205:                            ;   in Loop: Header=BB191_148 Depth=2
	global_load_dwordx2 v[5:6], v[16:17], off offset:1536
	s_or_b64 exec, exec, s[54:55]
	s_and_saveexec_b64 s[44:45], s[42:43]
	s_cbranch_execz .LBB191_188
.LBB191_206:                            ;   in Loop: Header=BB191_148 Depth=2
	ds_read_u8 v16, v0 offset:1024
	s_waitcnt lgkmcnt(0)
	v_lshrrev_b32_e32 v16, s7, v16
	v_and_b32_e32 v73, s58, v16
	s_or_b64 exec, exec, s[44:45]
	s_and_saveexec_b64 s[44:45], s[40:41]
	s_cbranch_execz .LBB191_189
.LBB191_207:                            ;   in Loop: Header=BB191_148 Depth=2
	ds_read_u8 v16, v0 offset:1280
	s_waitcnt lgkmcnt(0)
	v_lshrrev_b32_e32 v16, s7, v16
	v_and_b32_e32 v72, s58, v16
	s_or_b64 exec, exec, s[44:45]
	s_and_saveexec_b64 s[44:45], s[38:39]
	s_cbranch_execz .LBB191_190
.LBB191_208:                            ;   in Loop: Header=BB191_148 Depth=2
	ds_read_u8 v16, v0 offset:1536
	s_waitcnt lgkmcnt(0)
	v_lshrrev_b32_e32 v16, s7, v16
	v_and_b32_e32 v70, s58, v16
	s_or_b64 exec, exec, s[44:45]
	s_and_saveexec_b64 s[44:45], vcc
	s_cbranch_execnz .LBB191_191
	s_branch .LBB191_192
.LBB191_209:                            ;   in Loop: Header=BB191_148 Depth=2
	v_lshlrev_b32_e32 v4, 2, v73
	ds_read_b32 v4, v4
	v_add_u32_e32 v13, v0, v51
	ds_read_b64 v[13:14], v13 offset:1024
	v_mov_b32_e32 v16, v3
	v_mov_b32_e32 v17, s67
	s_waitcnt lgkmcnt(1)
	v_add_u32_e32 v15, v4, v0
	v_lshlrev_b64 v[15:16], 3, v[15:16]
	v_add_co_u32_e64 v15, s[42:43], s66, v15
	v_addc_co_u32_e64 v16, s[42:43], v17, v16, s[42:43]
	s_waitcnt lgkmcnt(0)
	global_store_dwordx2 v[15:16], v[13:14], off
	s_or_b64 exec, exec, s[44:45]
	s_and_saveexec_b64 s[42:43], s[40:41]
	s_cbranch_execz .LBB191_194
.LBB191_210:                            ;   in Loop: Header=BB191_148 Depth=2
	v_lshlrev_b32_e32 v4, 2, v72
	ds_read_b32 v4, v4
	v_add_u32_e32 v13, v0, v51
	ds_read_b64 v[13:14], v13 offset:3072
	v_mov_b32_e32 v16, v3
	v_mov_b32_e32 v17, s67
	s_waitcnt lgkmcnt(1)
	v_add_u32_e32 v15, v4, v19
	v_lshlrev_b64 v[15:16], 3, v[15:16]
	v_add_co_u32_e64 v15, s[40:41], s66, v15
	v_addc_co_u32_e64 v16, s[40:41], v17, v16, s[40:41]
	s_waitcnt lgkmcnt(0)
	global_store_dwordx2 v[15:16], v[13:14], off
	s_or_b64 exec, exec, s[42:43]
	s_and_saveexec_b64 s[40:41], s[38:39]
	s_cbranch_execz .LBB191_195
.LBB191_211:                            ;   in Loop: Header=BB191_148 Depth=2
	v_lshlrev_b32_e32 v4, 2, v70
	ds_read_b32 v4, v4
	v_add_u32_e32 v13, v0, v51
	ds_read_b64 v[13:14], v13 offset:5120
	v_mov_b32_e32 v16, v3
	v_mov_b32_e32 v17, s67
	s_waitcnt lgkmcnt(1)
	v_add_u32_e32 v15, v4, v20
	v_lshlrev_b64 v[15:16], 3, v[15:16]
	v_add_co_u32_e64 v15, s[38:39], s66, v15
	v_addc_co_u32_e64 v16, s[38:39], v17, v16, s[38:39]
	s_waitcnt lgkmcnt(0)
	global_store_dwordx2 v[15:16], v[13:14], off
	s_or_b64 exec, exec, s[40:41]
	s_and_saveexec_b64 s[38:39], vcc
	s_cbranch_execnz .LBB191_196
	s_branch .LBB191_197
.LBB191_212:                            ;   in Loop: Header=BB191_12 Depth=1
	s_waitcnt lgkmcnt(0)
	s_barrier
.LBB191_213:                            ;   in Loop: Header=BB191_12 Depth=1
	s_mov_b64 s[18:19], 0
.LBB191_214:                            ;   in Loop: Header=BB191_12 Depth=1
	s_andn2_b64 vcc, exec, s[18:19]
	s_cbranch_vccnz .LBB191_11
; %bb.215:                              ;   in Loop: Header=BB191_12 Depth=1
	s_mov_b64 s[18:19], -1
	s_and_b64 vcc, exec, s[72:73]
	s_cbranch_vccz .LBB191_315
; %bb.216:                              ;   in Loop: Header=BB191_12 Depth=1
	v_mov_b32_e32 v4, 0
	s_mov_b32 s20, s71
	s_mov_b32 s22, s63
	v_mov_b32_e32 v7, 0
	v_mov_b32_e32 v6, 0
	;; [unrolled: 1-line block ×3, first 2 shown]
	s_barrier
	s_branch .LBB191_218
.LBB191_217:                            ;   in Loop: Header=BB191_218 Depth=2
	s_or_b64 exec, exec, s[18:19]
	s_addk_i32 s20, 0xfc00
	s_cmp_ge_u32 s21, s74
	s_mov_b32 s22, s21
	s_cbranch_scc1 .LBB191_238
.LBB191_218:                            ;   Parent Loop BB191_12 Depth=1
                                        ; =>  This Inner Loop Header: Depth=2
	s_add_i32 s21, s22, 0x400
	s_cmp_gt_u32 s21, s74
	s_mov_b64 s[18:19], -1
                                        ; implicit-def: $vgpr8
                                        ; implicit-def: $vgpr9
                                        ; implicit-def: $vgpr10
                                        ; implicit-def: $vgpr11
	s_cbranch_scc1 .LBB191_220
; %bb.219:                              ;   in Loop: Header=BB191_218 Depth=2
	v_add_co_u32_e32 v12, vcc, s22, v39
	v_addc_co_u32_e32 v13, vcc, 0, v40, vcc
	global_load_ubyte v11, v[12:13], off offset:768
	global_load_ubyte v10, v[12:13], off offset:512
	;; [unrolled: 1-line block ×3, first 2 shown]
	global_load_ubyte v8, v[12:13], off
	s_mov_b64 s[18:19], 0
.LBB191_220:                            ;   in Loop: Header=BB191_218 Depth=2
	s_andn2_b64 vcc, exec, s[18:19]
	s_movk_i32 s23, 0x400
	s_cbranch_vccnz .LBB191_227
; %bb.221:                              ;   in Loop: Header=BB191_218 Depth=2
	s_add_u32 s22, s48, s22
	s_addc_u32 s23, s49, 0
	v_cmp_gt_u32_e32 vcc, s20, v0
	s_and_saveexec_b64 s[18:19], vcc
	s_cbranch_execnz .LBB191_235
; %bb.222:                              ;   in Loop: Header=BB191_218 Depth=2
	s_or_b64 exec, exec, s[18:19]
	v_cmp_gt_u32_e32 vcc, s20, v19
	s_and_saveexec_b64 s[18:19], vcc
	s_cbranch_execnz .LBB191_236
.LBB191_223:                            ;   in Loop: Header=BB191_218 Depth=2
	s_or_b64 exec, exec, s[18:19]
	v_cmp_gt_u32_e32 vcc, s20, v20
	s_and_saveexec_b64 s[18:19], vcc
	s_cbranch_execnz .LBB191_237
.LBB191_224:                            ;   in Loop: Header=BB191_218 Depth=2
	s_or_b64 exec, exec, s[18:19]
	v_cmp_gt_u32_e32 vcc, s20, v21
	s_and_saveexec_b64 s[18:19], vcc
	s_cbranch_execz .LBB191_226
.LBB191_225:                            ;   in Loop: Header=BB191_218 Depth=2
	v_mov_b32_e32 v5, s23
	s_waitcnt vmcnt(0)
	v_add_co_u32_e32 v8, vcc, s22, v0
	v_addc_co_u32_e32 v9, vcc, 0, v5, vcc
	global_load_ubyte v5, v[8:9], off offset:768
.LBB191_226:                            ;   in Loop: Header=BB191_218 Depth=2
	s_or_b64 exec, exec, s[18:19]
	s_mov_b32 s23, s20
	s_waitcnt vmcnt(0)
	v_mov_b32_e32 v8, v4
	v_mov_b32_e32 v9, v7
	;; [unrolled: 1-line block ×4, first 2 shown]
.LBB191_227:                            ;   in Loop: Header=BB191_218 Depth=2
	s_waitcnt vmcnt(3)
	v_mov_b32_e32 v5, v11
	s_waitcnt vmcnt(2)
	v_mov_b32_e32 v6, v10
	s_waitcnt vmcnt(1)
	v_mov_b32_e32 v7, v9
	s_waitcnt vmcnt(0)
	v_mov_b32_e32 v4, v8
	v_cmp_gt_u32_e32 vcc, s23, v0
	s_and_saveexec_b64 s[18:19], vcc
	s_cbranch_execnz .LBB191_231
; %bb.228:                              ;   in Loop: Header=BB191_218 Depth=2
	s_or_b64 exec, exec, s[18:19]
	v_cmp_gt_u32_e32 vcc, s23, v19
	s_and_saveexec_b64 s[18:19], vcc
	s_cbranch_execnz .LBB191_232
.LBB191_229:                            ;   in Loop: Header=BB191_218 Depth=2
	s_or_b64 exec, exec, s[18:19]
	v_cmp_gt_u32_e32 vcc, s23, v20
	s_and_saveexec_b64 s[18:19], vcc
	s_cbranch_execnz .LBB191_233
.LBB191_230:                            ;   in Loop: Header=BB191_218 Depth=2
	s_or_b64 exec, exec, s[18:19]
	v_cmp_gt_u32_e32 vcc, s23, v21
	s_and_saveexec_b64 s[18:19], vcc
	s_cbranch_execz .LBB191_217
	s_branch .LBB191_234
.LBB191_231:                            ;   in Loop: Header=BB191_218 Depth=2
	v_lshrrev_b32_sdwa v8, s69, v4 dst_sel:DWORD dst_unused:UNUSED_PAD src0_sel:DWORD src1_sel:BYTE_0
	v_and_b32_e32 v8, s58, v8
	v_lshl_or_b32 v8, v8, 4, v24
	ds_add_u32 v8, v52
	s_or_b64 exec, exec, s[18:19]
	v_cmp_gt_u32_e32 vcc, s23, v19
	s_and_saveexec_b64 s[18:19], vcc
	s_cbranch_execz .LBB191_229
.LBB191_232:                            ;   in Loop: Header=BB191_218 Depth=2
	v_lshrrev_b32_sdwa v8, s69, v7 dst_sel:DWORD dst_unused:UNUSED_PAD src0_sel:DWORD src1_sel:BYTE_0
	v_and_b32_e32 v8, s58, v8
	v_lshl_or_b32 v8, v8, 4, v24
	ds_add_u32 v8, v52
	s_or_b64 exec, exec, s[18:19]
	v_cmp_gt_u32_e32 vcc, s23, v20
	s_and_saveexec_b64 s[18:19], vcc
	s_cbranch_execz .LBB191_230
.LBB191_233:                            ;   in Loop: Header=BB191_218 Depth=2
	v_lshrrev_b32_sdwa v8, s69, v6 dst_sel:DWORD dst_unused:UNUSED_PAD src0_sel:DWORD src1_sel:BYTE_0
	v_and_b32_e32 v8, s58, v8
	v_lshl_or_b32 v8, v8, 4, v24
	ds_add_u32 v8, v52
	s_or_b64 exec, exec, s[18:19]
	v_cmp_gt_u32_e32 vcc, s23, v21
	s_and_saveexec_b64 s[18:19], vcc
	s_cbranch_execz .LBB191_217
.LBB191_234:                            ;   in Loop: Header=BB191_218 Depth=2
	v_lshrrev_b32_sdwa v8, s69, v5 dst_sel:DWORD dst_unused:UNUSED_PAD src0_sel:DWORD src1_sel:BYTE_0
	v_and_b32_e32 v8, s58, v8
	v_lshl_or_b32 v8, v8, 4, v24
	ds_add_u32 v8, v52
	s_branch .LBB191_217
.LBB191_235:                            ;   in Loop: Header=BB191_218 Depth=2
	v_mov_b32_e32 v4, s23
	s_waitcnt vmcnt(0)
	v_add_co_u32_e32 v8, vcc, s22, v0
	v_addc_co_u32_e32 v9, vcc, 0, v4, vcc
	global_load_ubyte v4, v[8:9], off
	s_or_b64 exec, exec, s[18:19]
	v_cmp_gt_u32_e32 vcc, s20, v19
	s_and_saveexec_b64 s[18:19], vcc
	s_cbranch_execz .LBB191_223
.LBB191_236:                            ;   in Loop: Header=BB191_218 Depth=2
	s_waitcnt vmcnt(0)
	v_mov_b32_e32 v8, s23
	v_add_co_u32_e32 v7, vcc, s22, v0
	v_addc_co_u32_e32 v8, vcc, 0, v8, vcc
	global_load_ubyte v7, v[7:8], off offset:256
	s_or_b64 exec, exec, s[18:19]
	v_cmp_gt_u32_e32 vcc, s20, v20
	s_and_saveexec_b64 s[18:19], vcc
	s_cbranch_execz .LBB191_224
.LBB191_237:                            ;   in Loop: Header=BB191_218 Depth=2
	v_mov_b32_e32 v6, s23
	s_waitcnt vmcnt(0)
	v_add_co_u32_e32 v8, vcc, s22, v0
	v_addc_co_u32_e32 v9, vcc, 0, v6, vcc
	global_load_ubyte v6, v[8:9], off offset:512
	s_or_b64 exec, exec, s[18:19]
	v_cmp_gt_u32_e32 vcc, s20, v21
	s_and_saveexec_b64 s[18:19], vcc
	s_cbranch_execnz .LBB191_225
	s_branch .LBB191_226
.LBB191_238:                            ;   in Loop: Header=BB191_12 Depth=1
	v_mov_b32_e32 v4, 0
	s_waitcnt lgkmcnt(0)
	s_barrier
	s_and_saveexec_b64 s[18:19], s[4:5]
	s_cbranch_execz .LBB191_240
; %bb.239:                              ;   in Loop: Header=BB191_12 Depth=1
	ds_read2_b64 v[4:7], v25 offset1:1
	s_waitcnt lgkmcnt(0)
	v_add_u32_e32 v4, v5, v4
	v_add3_u32 v4, v4, v6, v7
.LBB191_240:                            ;   in Loop: Header=BB191_12 Depth=1
	s_or_b64 exec, exec, s[18:19]
	s_nop 0
	v_mov_b32_dpp v5, v4 row_shr:1 row_mask:0xf bank_mask:0xf
	v_cmp_eq_u32_e64 s[18:19], 0, v55
	v_cndmask_b32_e64 v5, v5, 0, s[18:19]
	v_add_u32_e32 v4, v5, v4
	v_cmp_lt_u32_e64 s[20:21], 1, v55
	v_cmp_lt_u32_e64 s[22:23], 3, v55
	v_mov_b32_dpp v5, v4 row_shr:2 row_mask:0xf bank_mask:0xf
	v_cndmask_b32_e64 v5, 0, v5, s[20:21]
	v_add_u32_e32 v4, v4, v5
	v_cmp_lt_u32_e64 s[24:25], 7, v55
	v_cmp_lt_u32_e64 s[28:29], 31, v45
	v_mov_b32_dpp v5, v4 row_shr:4 row_mask:0xf bank_mask:0xf
	v_cndmask_b32_e64 v5, 0, v5, s[22:23]
	v_add_u32_e32 v4, v4, v5
	v_cmp_eq_u32_e64 s[26:27], 0, v57
	s_nop 0
	v_mov_b32_dpp v5, v4 row_shr:8 row_mask:0xf bank_mask:0xf
	v_cndmask_b32_e64 v5, 0, v5, s[24:25]
	v_add_u32_e32 v4, v4, v5
	s_nop 1
	v_mov_b32_dpp v5, v4 row_bcast:15 row_mask:0xf bank_mask:0xf
	v_and_b32_e32 v5, v56, v5
	v_add_u32_e32 v4, v4, v5
	s_nop 1
	v_mov_b32_dpp v5, v4 row_bcast:31 row_mask:0xf bank_mask:0xf
	v_cndmask_b32_e64 v5, 0, v5, s[28:29]
	v_add_u32_e32 v4, v4, v5
	s_and_saveexec_b64 s[30:31], s[8:9]
; %bb.241:                              ;   in Loop: Header=BB191_12 Depth=1
	ds_write_b32 v27, v4
; %bb.242:                              ;   in Loop: Header=BB191_12 Depth=1
	s_or_b64 exec, exec, s[30:31]
	s_waitcnt lgkmcnt(0)
	s_barrier
	s_and_saveexec_b64 s[30:31], s[10:11]
	s_cbranch_execz .LBB191_244
; %bb.243:                              ;   in Loop: Header=BB191_12 Depth=1
	ds_read_b32 v5, v48
	v_cmp_ne_u32_e32 vcc, 0, v58
	s_waitcnt lgkmcnt(0)
	v_mov_b32_dpp v6, v5 row_shr:1 row_mask:0xf bank_mask:0xf
	v_cndmask_b32_e32 v6, 0, v6, vcc
	v_add_u32_e32 v5, v6, v5
	v_cmp_lt_u32_e32 vcc, 1, v58
	s_nop 0
	v_mov_b32_dpp v6, v5 row_shr:2 row_mask:0xf bank_mask:0xf
	v_cndmask_b32_e32 v6, 0, v6, vcc
	v_add_u32_e32 v5, v5, v6
	ds_write_b32 v48, v5
.LBB191_244:                            ;   in Loop: Header=BB191_12 Depth=1
	s_or_b64 exec, exec, s[30:31]
	v_mov_b32_e32 v5, 0
	s_waitcnt lgkmcnt(0)
	s_barrier
	s_and_saveexec_b64 s[30:31], s[12:13]
; %bb.245:                              ;   in Loop: Header=BB191_12 Depth=1
	ds_read_b32 v5, v49
; %bb.246:                              ;   in Loop: Header=BB191_12 Depth=1
	s_or_b64 exec, exec, s[30:31]
	v_subrev_co_u32_e64 v6, s[30:31], 1, v45
	v_cmp_lt_i32_e32 vcc, v6, v59
	v_cndmask_b32_e32 v6, v6, v45, vcc
	s_waitcnt lgkmcnt(0)
	v_add_u32_e32 v4, v5, v4
	v_lshlrev_b32_e32 v64, 2, v6
	ds_bpermute_b32 v4, v64, v4
	s_waitcnt lgkmcnt(0)
	s_barrier
	s_and_saveexec_b64 s[34:35], s[4:5]
; %bb.247:                              ;   in Loop: Header=BB191_12 Depth=1
	v_cndmask_b32_e64 v4, v4, v5, s[30:31]
	v_add_u32_e32 v4, s63, v4
	ds_write_b32 v18, v4
; %bb.248:                              ;   in Loop: Header=BB191_12 Depth=1
	s_or_b64 exec, exec, s[34:35]
	s_load_dwordx2 s[34:35], s[46:47], 0x0
	v_add_co_u32_e32 v65, vcc, v41, v60
	v_addc_co_u32_e32 v66, vcc, 0, v42, vcc
	s_waitcnt lgkmcnt(0)
	s_cmp_lt_u32 s33, s35
	s_cselect_b32 s35, 14, 20
	s_add_u32 s36, s46, s35
	s_addc_u32 s37, s47, 0
	s_cmp_lt_u32 s6, s34
	s_cselect_b32 s34, 12, 18
	s_add_u32 s34, s46, s34
	global_load_ushort v4, v3, s[36:37]
	s_addc_u32 s35, s47, 0
	global_load_ushort v5, v3, s[34:35]
	v_add_co_u32_e32 v67, vcc, v43, v46
	v_cmp_eq_u32_e64 s[34:35], 0, v58
	v_cmp_lt_u32_e64 s[36:37], 1, v58
	v_addc_co_u32_e32 v68, vcc, 0, v44, vcc
	s_mov_b32 s59, s71
	s_mov_b32 s56, s63
                                        ; implicit-def: $vgpr7_vgpr8
                                        ; implicit-def: $vgpr9_vgpr10
                                        ; implicit-def: $vgpr11_vgpr12
                                        ; implicit-def: $vgpr69
                                        ; implicit-def: $vgpr70
                                        ; implicit-def: $vgpr72
                                        ; implicit-def: $vgpr73
	s_waitcnt vmcnt(1)
	v_mad_u32_u24 v4, v2, v4, v1
	s_waitcnt vmcnt(0)
	v_mad_u64_u32 v[4:5], s[38:39], v4, v5, v[0:1]
                                        ; implicit-def: $vgpr5_vgpr6
	v_lshrrev_b32_e32 v4, 4, v4
	v_and_b32_e32 v71, 0xffffffc, v4
	s_branch .LBB191_250
.LBB191_249:                            ;   in Loop: Header=BB191_250 Depth=2
	s_or_b64 exec, exec, s[38:39]
	s_addk_i32 s59, 0xfc00
	s_cmp_lt_u32 s60, s74
	s_mov_b32 s56, s60
	s_cbranch_scc0 .LBB191_314
.LBB191_250:                            ;   Parent Loop BB191_12 Depth=1
                                        ; =>  This Inner Loop Header: Depth=2
	s_add_i32 s60, s56, 0x400
	s_cmp_gt_u32 s60, s74
	s_cbranch_scc1 .LBB191_252
; %bb.251:                              ;   in Loop: Header=BB191_250 Depth=2
	v_add_co_u32_e32 v13, vcc, s56, v67
	v_addc_co_u32_e32 v14, vcc, 0, v68, vcc
	global_load_ubyte v17, v[13:14], off
	global_load_ubyte v75, v[13:14], off offset:64
	global_load_ubyte v76, v[13:14], off offset:128
	s_mov_b64 s[38:39], -1
	s_movk_i32 s42, 0x400
	s_cbranch_execz .LBB191_253
	s_branch .LBB191_260
.LBB191_252:                            ;   in Loop: Header=BB191_250 Depth=2
	s_mov_b64 s[38:39], 0
                                        ; implicit-def: $vgpr17
                                        ; implicit-def: $vgpr75
                                        ; implicit-def: $vgpr76
	s_movk_i32 s42, 0x400
.LBB191_253:                            ;   in Loop: Header=BB191_250 Depth=2
	v_add_co_u32_e32 v13, vcc, s56, v67
	v_addc_co_u32_e32 v14, vcc, 0, v68, vcc
	v_cmp_gt_u32_e32 vcc, s59, v47
	s_waitcnt vmcnt(1)
	v_mov_b32_e32 v75, 0xff
	v_mov_b32_e32 v17, 0xff
	s_and_saveexec_b64 s[38:39], vcc
	s_cbranch_execz .LBB191_255
; %bb.254:                              ;   in Loop: Header=BB191_250 Depth=2
	global_load_ubyte v17, v[13:14], off
.LBB191_255:                            ;   in Loop: Header=BB191_250 Depth=2
	s_or_b64 exec, exec, s[38:39]
	v_cmp_gt_u32_e32 vcc, s59, v61
	s_and_saveexec_b64 s[38:39], vcc
	s_cbranch_execz .LBB191_257
; %bb.256:                              ;   in Loop: Header=BB191_250 Depth=2
	global_load_ubyte v75, v[13:14], off offset:64
.LBB191_257:                            ;   in Loop: Header=BB191_250 Depth=2
	s_or_b64 exec, exec, s[38:39]
	v_cmp_gt_u32_e32 vcc, s59, v62
	s_waitcnt vmcnt(0)
	v_mov_b32_e32 v76, 0xff
	s_and_saveexec_b64 s[38:39], vcc
	s_cbranch_execz .LBB191_259
; %bb.258:                              ;   in Loop: Header=BB191_250 Depth=2
	global_load_ubyte v76, v[13:14], off offset:128
.LBB191_259:                            ;   in Loop: Header=BB191_250 Depth=2
	s_or_b64 exec, exec, s[38:39]
	s_sub_i32 s42, s74, s56
	v_cmp_gt_u32_e64 s[38:39], s59, v63
.LBB191_260:                            ;   in Loop: Header=BB191_250 Depth=2
	v_mov_b32_e32 v77, 0xff
	v_mov_b32_e32 v74, s59
	s_and_saveexec_b64 s[40:41], s[38:39]
	s_cbranch_execz .LBB191_262
; %bb.261:                              ;   in Loop: Header=BB191_250 Depth=2
	v_mov_b32_e32 v4, s57
	v_add_co_u32_e32 v13, vcc, s56, v67
	v_addc_co_u32_e32 v14, vcc, v68, v4, vcc
	global_load_ubyte v77, v[13:14], off offset:192
	v_mov_b32_e32 v74, s42
.LBB191_262:                            ;   in Loop: Header=BB191_250 Depth=2
	s_or_b64 exec, exec, s[40:41]
	s_waitcnt vmcnt(2)
	v_lshrrev_b32_sdwa v4, s69, v17 dst_sel:DWORD dst_unused:UNUSED_PAD src0_sel:DWORD src1_sel:BYTE_0
	v_and_b32_e32 v13, s58, v4
	v_and_b32_e32 v4, 1, v13
	v_add_co_u32_e32 v14, vcc, -1, v4
	v_addc_co_u32_e64 v16, s[38:39], 0, -1, vcc
	v_cmp_ne_u32_e32 vcc, 0, v4
	v_xor_b32_e32 v4, vcc_hi, v16
	v_and_b32_e32 v16, exec_hi, v4
	v_lshlrev_b32_e32 v4, 30, v13
	v_xor_b32_e32 v14, vcc_lo, v14
	v_cmp_gt_i64_e32 vcc, 0, v[3:4]
	v_not_b32_e32 v4, v4
	v_ashrrev_i32_e32 v4, 31, v4
	v_and_b32_e32 v14, exec_lo, v14
	v_xor_b32_e32 v78, vcc_hi, v4
	v_xor_b32_e32 v4, vcc_lo, v4
	v_and_b32_e32 v14, v14, v4
	v_lshlrev_b32_e32 v4, 29, v13
	v_cmp_gt_i64_e32 vcc, 0, v[3:4]
	v_not_b32_e32 v4, v4
	v_ashrrev_i32_e32 v4, 31, v4
	v_and_b32_e32 v16, v16, v78
	v_xor_b32_e32 v78, vcc_hi, v4
	v_xor_b32_e32 v4, vcc_lo, v4
	v_and_b32_e32 v14, v14, v4
	v_lshlrev_b32_e32 v4, 28, v13
	v_cmp_gt_i64_e32 vcc, 0, v[3:4]
	v_not_b32_e32 v4, v4
	v_ashrrev_i32_e32 v4, 31, v4
	v_and_b32_e32 v16, v16, v78
	;; [unrolled: 8-line block ×5, first 2 shown]
	v_xor_b32_e32 v78, vcc_hi, v4
	v_xor_b32_e32 v4, vcc_lo, v4
	v_and_b32_e32 v16, v16, v78
	v_and_b32_e32 v78, v14, v4
	v_lshlrev_b32_e32 v4, 24, v13
	v_cmp_gt_i64_e32 vcc, 0, v[3:4]
	v_not_b32_e32 v4, v4
	v_ashrrev_i32_e32 v4, 31, v4
	v_mul_u32_u24_e32 v15, 20, v13
	v_xor_b32_e32 v13, vcc_hi, v4
	v_xor_b32_e32 v4, vcc_lo, v4
	v_and_b32_e32 v14, v16, v13
	v_and_b32_e32 v13, v78, v4
	v_mbcnt_lo_u32_b32 v4, v13, 0
	v_mbcnt_hi_u32_b32 v78, v14, v4
	v_cmp_ne_u64_e32 vcc, 0, v[13:14]
	v_cmp_eq_u32_e64 s[38:39], 0, v78
	s_and_b64 s[40:41], vcc, s[38:39]
	v_add_u32_e32 v80, v71, v15
	ds_write2_b32 v53, v3, v3 offset1:1
	ds_write2_b32 v54, v3, v3 offset1:1
	ds_write_b32 v50, v3 offset:1056
	s_waitcnt vmcnt(0) lgkmcnt(0)
	s_barrier
	; wave barrier
	s_and_saveexec_b64 s[38:39], s[40:41]
; %bb.263:                              ;   in Loop: Header=BB191_250 Depth=2
	v_bcnt_u32_b32 v4, v13, 0
	v_bcnt_u32_b32 v4, v14, v4
	ds_write_b32 v80, v4 offset:1040
; %bb.264:                              ;   in Loop: Header=BB191_250 Depth=2
	s_or_b64 exec, exec, s[38:39]
	v_lshrrev_b32_sdwa v4, s69, v75 dst_sel:DWORD dst_unused:UNUSED_PAD src0_sel:DWORD src1_sel:BYTE_0
	v_and_b32_e32 v13, s58, v4
	v_mad_u32_u24 v4, v13, 20, v71
	; wave barrier
	ds_read_b32 v79, v4 offset:1040
	v_and_b32_e32 v4, 1, v13
	v_add_co_u32_e32 v14, vcc, -1, v4
	v_addc_co_u32_e64 v16, s[38:39], 0, -1, vcc
	v_cmp_ne_u32_e32 vcc, 0, v4
	v_xor_b32_e32 v4, vcc_hi, v16
	v_and_b32_e32 v16, exec_hi, v4
	v_lshlrev_b32_e32 v4, 30, v13
	v_xor_b32_e32 v14, vcc_lo, v14
	v_cmp_gt_i64_e32 vcc, 0, v[3:4]
	v_not_b32_e32 v4, v4
	v_ashrrev_i32_e32 v4, 31, v4
	v_and_b32_e32 v14, exec_lo, v14
	v_xor_b32_e32 v81, vcc_hi, v4
	v_xor_b32_e32 v4, vcc_lo, v4
	v_and_b32_e32 v14, v14, v4
	v_lshlrev_b32_e32 v4, 29, v13
	v_cmp_gt_i64_e32 vcc, 0, v[3:4]
	v_not_b32_e32 v4, v4
	v_ashrrev_i32_e32 v4, 31, v4
	v_and_b32_e32 v16, v16, v81
	v_xor_b32_e32 v81, vcc_hi, v4
	v_xor_b32_e32 v4, vcc_lo, v4
	v_and_b32_e32 v14, v14, v4
	v_lshlrev_b32_e32 v4, 28, v13
	v_cmp_gt_i64_e32 vcc, 0, v[3:4]
	v_not_b32_e32 v4, v4
	v_ashrrev_i32_e32 v4, 31, v4
	v_and_b32_e32 v16, v16, v81
	;; [unrolled: 8-line block ×5, first 2 shown]
	v_xor_b32_e32 v81, vcc_hi, v4
	v_xor_b32_e32 v4, vcc_lo, v4
	v_and_b32_e32 v16, v16, v81
	v_and_b32_e32 v81, v14, v4
	v_lshlrev_b32_e32 v4, 24, v13
	v_cmp_gt_i64_e32 vcc, 0, v[3:4]
	v_not_b32_e32 v4, v4
	v_ashrrev_i32_e32 v4, 31, v4
	v_mul_u32_u24_e32 v15, 20, v13
	v_xor_b32_e32 v13, vcc_hi, v4
	v_xor_b32_e32 v4, vcc_lo, v4
	v_and_b32_e32 v14, v16, v13
	v_and_b32_e32 v13, v81, v4
	v_mbcnt_lo_u32_b32 v4, v13, 0
	v_mbcnt_hi_u32_b32 v81, v14, v4
	v_cmp_ne_u64_e32 vcc, 0, v[13:14]
	v_cmp_eq_u32_e64 s[38:39], 0, v81
	s_and_b64 s[40:41], vcc, s[38:39]
	v_add_u32_e32 v83, v71, v15
	; wave barrier
	s_and_saveexec_b64 s[38:39], s[40:41]
	s_cbranch_execz .LBB191_266
; %bb.265:                              ;   in Loop: Header=BB191_250 Depth=2
	v_bcnt_u32_b32 v4, v13, 0
	v_bcnt_u32_b32 v4, v14, v4
	s_waitcnt lgkmcnt(0)
	v_add_u32_e32 v4, v79, v4
	ds_write_b32 v83, v4 offset:1040
.LBB191_266:                            ;   in Loop: Header=BB191_250 Depth=2
	s_or_b64 exec, exec, s[38:39]
	v_lshrrev_b32_sdwa v4, s69, v76 dst_sel:DWORD dst_unused:UNUSED_PAD src0_sel:DWORD src1_sel:BYTE_0
	v_and_b32_e32 v13, s58, v4
	v_mad_u32_u24 v4, v13, 20, v71
	; wave barrier
	ds_read_b32 v82, v4 offset:1040
	v_and_b32_e32 v4, 1, v13
	v_add_co_u32_e32 v14, vcc, -1, v4
	v_addc_co_u32_e64 v16, s[38:39], 0, -1, vcc
	v_cmp_ne_u32_e32 vcc, 0, v4
	v_xor_b32_e32 v4, vcc_hi, v16
	v_and_b32_e32 v16, exec_hi, v4
	v_lshlrev_b32_e32 v4, 30, v13
	v_xor_b32_e32 v14, vcc_lo, v14
	v_cmp_gt_i64_e32 vcc, 0, v[3:4]
	v_not_b32_e32 v4, v4
	v_ashrrev_i32_e32 v4, 31, v4
	v_and_b32_e32 v14, exec_lo, v14
	v_xor_b32_e32 v84, vcc_hi, v4
	v_xor_b32_e32 v4, vcc_lo, v4
	v_and_b32_e32 v14, v14, v4
	v_lshlrev_b32_e32 v4, 29, v13
	v_cmp_gt_i64_e32 vcc, 0, v[3:4]
	v_not_b32_e32 v4, v4
	v_ashrrev_i32_e32 v4, 31, v4
	v_and_b32_e32 v16, v16, v84
	v_xor_b32_e32 v84, vcc_hi, v4
	v_xor_b32_e32 v4, vcc_lo, v4
	v_and_b32_e32 v14, v14, v4
	v_lshlrev_b32_e32 v4, 28, v13
	v_cmp_gt_i64_e32 vcc, 0, v[3:4]
	v_not_b32_e32 v4, v4
	v_ashrrev_i32_e32 v4, 31, v4
	v_and_b32_e32 v16, v16, v84
	;; [unrolled: 8-line block ×5, first 2 shown]
	v_xor_b32_e32 v84, vcc_hi, v4
	v_xor_b32_e32 v4, vcc_lo, v4
	v_and_b32_e32 v16, v16, v84
	v_and_b32_e32 v84, v14, v4
	v_lshlrev_b32_e32 v4, 24, v13
	v_cmp_gt_i64_e32 vcc, 0, v[3:4]
	v_not_b32_e32 v4, v4
	v_ashrrev_i32_e32 v4, 31, v4
	v_mul_u32_u24_e32 v15, 20, v13
	v_xor_b32_e32 v13, vcc_hi, v4
	v_xor_b32_e32 v4, vcc_lo, v4
	v_and_b32_e32 v14, v16, v13
	v_and_b32_e32 v13, v84, v4
	v_mbcnt_lo_u32_b32 v4, v13, 0
	v_mbcnt_hi_u32_b32 v84, v14, v4
	v_cmp_ne_u64_e32 vcc, 0, v[13:14]
	v_cmp_eq_u32_e64 s[38:39], 0, v84
	s_and_b64 s[40:41], vcc, s[38:39]
	v_add_u32_e32 v86, v71, v15
	; wave barrier
	s_and_saveexec_b64 s[38:39], s[40:41]
	s_cbranch_execz .LBB191_268
; %bb.267:                              ;   in Loop: Header=BB191_250 Depth=2
	v_bcnt_u32_b32 v4, v13, 0
	v_bcnt_u32_b32 v4, v14, v4
	s_waitcnt lgkmcnt(0)
	v_add_u32_e32 v4, v82, v4
	ds_write_b32 v86, v4 offset:1040
.LBB191_268:                            ;   in Loop: Header=BB191_250 Depth=2
	s_or_b64 exec, exec, s[38:39]
	v_lshrrev_b32_sdwa v4, s69, v77 dst_sel:DWORD dst_unused:UNUSED_PAD src0_sel:DWORD src1_sel:BYTE_0
	v_and_b32_e32 v13, s58, v4
	v_mad_u32_u24 v4, v13, 20, v71
	; wave barrier
	ds_read_b32 v85, v4 offset:1040
	v_and_b32_e32 v4, 1, v13
	v_add_co_u32_e32 v14, vcc, -1, v4
	v_addc_co_u32_e64 v16, s[38:39], 0, -1, vcc
	v_cmp_ne_u32_e32 vcc, 0, v4
	v_xor_b32_e32 v4, vcc_hi, v16
	v_and_b32_e32 v16, exec_hi, v4
	v_lshlrev_b32_e32 v4, 30, v13
	v_xor_b32_e32 v14, vcc_lo, v14
	v_cmp_gt_i64_e32 vcc, 0, v[3:4]
	v_not_b32_e32 v4, v4
	v_ashrrev_i32_e32 v4, 31, v4
	v_and_b32_e32 v14, exec_lo, v14
	v_xor_b32_e32 v87, vcc_hi, v4
	v_xor_b32_e32 v4, vcc_lo, v4
	v_and_b32_e32 v14, v14, v4
	v_lshlrev_b32_e32 v4, 29, v13
	v_cmp_gt_i64_e32 vcc, 0, v[3:4]
	v_not_b32_e32 v4, v4
	v_ashrrev_i32_e32 v4, 31, v4
	v_and_b32_e32 v16, v16, v87
	v_xor_b32_e32 v87, vcc_hi, v4
	v_xor_b32_e32 v4, vcc_lo, v4
	v_and_b32_e32 v14, v14, v4
	v_lshlrev_b32_e32 v4, 28, v13
	v_cmp_gt_i64_e32 vcc, 0, v[3:4]
	v_not_b32_e32 v4, v4
	v_ashrrev_i32_e32 v4, 31, v4
	v_and_b32_e32 v16, v16, v87
	;; [unrolled: 8-line block ×5, first 2 shown]
	v_xor_b32_e32 v87, vcc_hi, v4
	v_xor_b32_e32 v4, vcc_lo, v4
	v_and_b32_e32 v16, v16, v87
	v_and_b32_e32 v87, v14, v4
	v_lshlrev_b32_e32 v4, 24, v13
	v_cmp_gt_i64_e32 vcc, 0, v[3:4]
	v_not_b32_e32 v4, v4
	v_ashrrev_i32_e32 v4, 31, v4
	v_mul_u32_u24_e32 v15, 20, v13
	v_xor_b32_e32 v13, vcc_hi, v4
	v_xor_b32_e32 v4, vcc_lo, v4
	v_and_b32_e32 v14, v16, v13
	v_and_b32_e32 v13, v87, v4
	v_mbcnt_lo_u32_b32 v4, v13, 0
	v_mbcnt_hi_u32_b32 v4, v14, v4
	v_cmp_ne_u64_e32 vcc, 0, v[13:14]
	v_cmp_eq_u32_e64 s[38:39], 0, v4
	s_and_b64 s[40:41], vcc, s[38:39]
	v_add_u32_e32 v87, v71, v15
	; wave barrier
	s_and_saveexec_b64 s[38:39], s[40:41]
	s_cbranch_execz .LBB191_270
; %bb.269:                              ;   in Loop: Header=BB191_250 Depth=2
	v_bcnt_u32_b32 v13, v13, 0
	v_bcnt_u32_b32 v13, v14, v13
	s_waitcnt lgkmcnt(0)
	v_add_u32_e32 v13, v85, v13
	ds_write_b32 v87, v13 offset:1040
.LBB191_270:                            ;   in Loop: Header=BB191_250 Depth=2
	s_or_b64 exec, exec, s[38:39]
	; wave barrier
	s_waitcnt lgkmcnt(0)
	s_barrier
	ds_read2_b32 v[15:16], v53 offset1:1
	ds_read2_b32 v[13:14], v54 offset1:1
	ds_read_b32 v88, v50 offset:1056
	s_waitcnt lgkmcnt(1)
	v_add3_u32 v89, v16, v15, v13
	s_waitcnt lgkmcnt(0)
	v_add3_u32 v88, v89, v14, v88
	s_nop 1
	v_mov_b32_dpp v89, v88 row_shr:1 row_mask:0xf bank_mask:0xf
	v_cndmask_b32_e64 v89, v89, 0, s[18:19]
	v_add_u32_e32 v88, v89, v88
	s_nop 1
	v_mov_b32_dpp v89, v88 row_shr:2 row_mask:0xf bank_mask:0xf
	v_cndmask_b32_e64 v89, 0, v89, s[20:21]
	v_add_u32_e32 v88, v88, v89
	s_nop 1
	v_mov_b32_dpp v89, v88 row_shr:4 row_mask:0xf bank_mask:0xf
	v_cndmask_b32_e64 v89, 0, v89, s[22:23]
	v_add_u32_e32 v88, v88, v89
	s_nop 1
	v_mov_b32_dpp v89, v88 row_shr:8 row_mask:0xf bank_mask:0xf
	v_cndmask_b32_e64 v89, 0, v89, s[24:25]
	v_add_u32_e32 v88, v88, v89
	s_nop 1
	v_mov_b32_dpp v89, v88 row_bcast:15 row_mask:0xf bank_mask:0xf
	v_cndmask_b32_e64 v89, v89, 0, s[26:27]
	v_add_u32_e32 v88, v88, v89
	s_nop 1
	v_mov_b32_dpp v89, v88 row_bcast:31 row_mask:0xf bank_mask:0xf
	v_cndmask_b32_e64 v89, 0, v89, s[28:29]
	v_add_u32_e32 v88, v88, v89
	s_and_saveexec_b64 s[38:39], s[8:9]
; %bb.271:                              ;   in Loop: Header=BB191_250 Depth=2
	ds_write_b32 v26, v88 offset:1024
; %bb.272:                              ;   in Loop: Header=BB191_250 Depth=2
	s_or_b64 exec, exec, s[38:39]
	s_waitcnt lgkmcnt(0)
	s_barrier
	s_and_saveexec_b64 s[38:39], s[10:11]
	s_cbranch_execz .LBB191_274
; %bb.273:                              ;   in Loop: Header=BB191_250 Depth=2
	v_add_u32_e32 v89, v50, v28
	ds_read_b32 v90, v89 offset:1024
	s_waitcnt lgkmcnt(0)
	s_nop 0
	v_mov_b32_dpp v91, v90 row_shr:1 row_mask:0xf bank_mask:0xf
	v_cndmask_b32_e64 v91, v91, 0, s[34:35]
	v_add_u32_e32 v90, v91, v90
	s_nop 1
	v_mov_b32_dpp v91, v90 row_shr:2 row_mask:0xf bank_mask:0xf
	v_cndmask_b32_e64 v91, 0, v91, s[36:37]
	v_add_u32_e32 v90, v90, v91
	ds_write_b32 v89, v90 offset:1024
.LBB191_274:                            ;   in Loop: Header=BB191_250 Depth=2
	s_or_b64 exec, exec, s[38:39]
	v_mov_b32_e32 v89, 0
	s_waitcnt lgkmcnt(0)
	s_barrier
	s_and_saveexec_b64 s[38:39], s[12:13]
; %bb.275:                              ;   in Loop: Header=BB191_250 Depth=2
	ds_read_b32 v89, v26 offset:1020
; %bb.276:                              ;   in Loop: Header=BB191_250 Depth=2
	s_or_b64 exec, exec, s[38:39]
	s_waitcnt lgkmcnt(0)
	v_add_u32_e32 v88, v89, v88
	ds_bpermute_b32 v88, v64, v88
	s_waitcnt lgkmcnt(0)
	v_cndmask_b32_e64 v88, v88, v89, s[30:31]
	v_cndmask_b32_e64 v88, v88, 0, s[14:15]
	v_add_u32_e32 v15, v88, v15
	v_add_u32_e32 v16, v15, v16
	v_add_u32_e32 v13, v16, v13
	v_add_u32_e32 v14, v13, v14
	ds_write2_b32 v53, v88, v15 offset1:1
	ds_write2_b32 v54, v16, v13 offset1:1
	ds_write_b32 v50, v14 offset:1056
	s_waitcnt lgkmcnt(0)
	s_barrier
	ds_read_b32 v13, v80 offset:1040
	ds_read_b32 v14, v83 offset:1040
	;; [unrolled: 1-line block ×5, first 2 shown]
	v_mov_b32_e32 v80, 0x400
	s_and_saveexec_b64 s[38:39], s[16:17]
; %bb.277:                              ;   in Loop: Header=BB191_250 Depth=2
	ds_read_b32 v80, v50 offset:1060
; %bb.278:                              ;   in Loop: Header=BB191_250 Depth=2
	s_or_b64 exec, exec, s[38:39]
	s_waitcnt lgkmcnt(0)
	s_barrier
	s_and_saveexec_b64 s[38:39], s[4:5]
	s_cbranch_execz .LBB191_280
; %bb.279:                              ;   in Loop: Header=BB191_250 Depth=2
	ds_read_b32 v86, v18
	s_waitcnt lgkmcnt(0)
	v_sub_u32_e32 v15, v86, v15
	ds_write_b32 v18, v15
.LBB191_280:                            ;   in Loop: Header=BB191_250 Depth=2
	s_or_b64 exec, exec, s[38:39]
	v_add_u32_e32 v15, v13, v78
	v_add3_u32 v14, v81, v79, v14
	v_add3_u32 v13, v84, v82, v16
	;; [unrolled: 1-line block ×3, first 2 shown]
	v_cmp_lt_u32_e64 s[42:43], v0, v74
	ds_write_b8 v15, v17 offset:1024
	ds_write_b8 v14, v75 offset:1024
	;; [unrolled: 1-line block ×4, first 2 shown]
	s_waitcnt lgkmcnt(0)
	s_barrier
	s_and_saveexec_b64 s[38:39], s[42:43]
	s_cbranch_execnz .LBB191_301
; %bb.281:                              ;   in Loop: Header=BB191_250 Depth=2
	s_or_b64 exec, exec, s[38:39]
	v_cmp_lt_u32_e64 s[40:41], v19, v74
	s_and_saveexec_b64 s[38:39], s[40:41]
	s_cbranch_execnz .LBB191_302
.LBB191_282:                            ;   in Loop: Header=BB191_250 Depth=2
	s_or_b64 exec, exec, s[38:39]
	v_cmp_lt_u32_e64 s[38:39], v20, v74
	s_and_saveexec_b64 s[44:45], s[38:39]
	s_cbranch_execnz .LBB191_303
.LBB191_283:                            ;   in Loop: Header=BB191_250 Depth=2
	s_or_b64 exec, exec, s[44:45]
	v_cmp_lt_u32_e32 vcc, v21, v74
	s_and_saveexec_b64 s[44:45], vcc
	s_cbranch_execz .LBB191_285
.LBB191_284:                            ;   in Loop: Header=BB191_250 Depth=2
	ds_read_u8 v16, v0 offset:1792
	s_waitcnt lgkmcnt(0)
	v_lshrrev_b32_sdwa v17, s69, v16 dst_sel:DWORD dst_unused:UNUSED_PAD src0_sel:DWORD src1_sel:BYTE_0
	v_and_b32_e32 v17, s58, v17
	v_lshlrev_b32_e32 v17, 2, v17
	ds_read_b32 v17, v17
	s_waitcnt lgkmcnt(0)
	v_add_u32_e32 v17, v17, v21
	global_store_byte v17, v16, s[50:51]
.LBB191_285:                            ;   in Loop: Header=BB191_250 Depth=2
	s_or_b64 exec, exec, s[44:45]
	s_lshl_b64 s[44:45], s[56:57], 3
	v_mov_b32_e32 v17, s45
	v_add_co_u32_e64 v16, s[44:45], s44, v65
	v_addc_co_u32_e64 v17, s[44:45], v66, v17, s[44:45]
	v_cmp_lt_u32_e64 s[44:45], v47, v74
	s_and_saveexec_b64 s[54:55], s[44:45]
	s_xor_b64 s[44:45], exec, s[54:55]
	s_cbranch_execnz .LBB191_304
; %bb.286:                              ;   in Loop: Header=BB191_250 Depth=2
	s_or_b64 exec, exec, s[44:45]
	v_cmp_lt_u32_e64 s[44:45], v61, v74
	s_and_saveexec_b64 s[54:55], s[44:45]
	s_cbranch_execnz .LBB191_305
.LBB191_287:                            ;   in Loop: Header=BB191_250 Depth=2
	s_or_b64 exec, exec, s[54:55]
	v_cmp_lt_u32_e64 s[44:45], v62, v74
	s_and_saveexec_b64 s[54:55], s[44:45]
	s_cbranch_execnz .LBB191_306
.LBB191_288:                            ;   in Loop: Header=BB191_250 Depth=2
	s_or_b64 exec, exec, s[54:55]
	v_cmp_lt_u32_e64 s[44:45], v63, v74
	s_and_saveexec_b64 s[54:55], s[44:45]
	s_cbranch_execnz .LBB191_307
.LBB191_289:                            ;   in Loop: Header=BB191_250 Depth=2
	s_or_b64 exec, exec, s[54:55]
	s_and_saveexec_b64 s[44:45], s[42:43]
	s_cbranch_execnz .LBB191_308
.LBB191_290:                            ;   in Loop: Header=BB191_250 Depth=2
	s_or_b64 exec, exec, s[44:45]
	s_and_saveexec_b64 s[44:45], s[40:41]
	s_cbranch_execnz .LBB191_309
.LBB191_291:                            ;   in Loop: Header=BB191_250 Depth=2
	s_or_b64 exec, exec, s[44:45]
	s_and_saveexec_b64 s[44:45], s[38:39]
	s_cbranch_execnz .LBB191_310
.LBB191_292:                            ;   in Loop: Header=BB191_250 Depth=2
	s_or_b64 exec, exec, s[44:45]
	s_and_saveexec_b64 s[44:45], vcc
	s_cbranch_execz .LBB191_294
.LBB191_293:                            ;   in Loop: Header=BB191_250 Depth=2
	ds_read_u8 v16, v0 offset:1792
	s_waitcnt lgkmcnt(0)
	v_lshrrev_b32_e32 v16, s69, v16
	v_and_b32_e32 v69, s58, v16
.LBB191_294:                            ;   in Loop: Header=BB191_250 Depth=2
	s_or_b64 exec, exec, s[44:45]
	v_mad_u64_u32 v[15:16], s[44:45], v15, 7, v[15:16]
	s_waitcnt vmcnt(0)
	v_mad_u64_u32 v[74:75], s[44:45], v4, 7, v[4:5]
	v_mad_u64_u32 v[16:17], s[44:45], v14, 7, v[14:15]
	;; [unrolled: 1-line block ×3, first 2 shown]
	s_barrier
	ds_write_b64 v15, v[11:12] offset:1024
	ds_write_b64 v16, v[9:10] offset:1024
	;; [unrolled: 1-line block ×4, first 2 shown]
	s_waitcnt lgkmcnt(0)
	s_barrier
	s_and_saveexec_b64 s[44:45], s[42:43]
	s_cbranch_execnz .LBB191_311
; %bb.295:                              ;   in Loop: Header=BB191_250 Depth=2
	s_or_b64 exec, exec, s[44:45]
	s_and_saveexec_b64 s[42:43], s[40:41]
	s_cbranch_execnz .LBB191_312
.LBB191_296:                            ;   in Loop: Header=BB191_250 Depth=2
	s_or_b64 exec, exec, s[42:43]
	s_and_saveexec_b64 s[40:41], s[38:39]
	s_cbranch_execnz .LBB191_313
.LBB191_297:                            ;   in Loop: Header=BB191_250 Depth=2
	s_or_b64 exec, exec, s[40:41]
	s_and_saveexec_b64 s[38:39], vcc
	s_cbranch_execz .LBB191_299
.LBB191_298:                            ;   in Loop: Header=BB191_250 Depth=2
	v_lshlrev_b32_e32 v4, 2, v69
	ds_read_b32 v4, v4
	v_add_u32_e32 v13, v0, v51
	ds_read_b64 v[13:14], v13 offset:7168
	v_mov_b32_e32 v16, v3
	v_mov_b32_e32 v17, s65
	s_waitcnt lgkmcnt(1)
	v_add_u32_e32 v15, v4, v21
	v_lshlrev_b64 v[15:16], 3, v[15:16]
	v_add_co_u32_e32 v15, vcc, s64, v15
	v_addc_co_u32_e32 v16, vcc, v17, v16, vcc
	s_waitcnt lgkmcnt(0)
	global_store_dwordx2 v[15:16], v[13:14], off
.LBB191_299:                            ;   in Loop: Header=BB191_250 Depth=2
	s_or_b64 exec, exec, s[38:39]
	s_waitcnt vmcnt(0)
	s_barrier
	s_and_saveexec_b64 s[38:39], s[4:5]
	s_cbranch_execz .LBB191_249
; %bb.300:                              ;   in Loop: Header=BB191_250 Depth=2
	ds_read_b32 v4, v18
	s_waitcnt lgkmcnt(0)
	v_add_u32_e32 v4, v4, v80
	ds_write_b32 v18, v4
	s_branch .LBB191_249
.LBB191_301:                            ;   in Loop: Header=BB191_250 Depth=2
	ds_read_u8 v16, v0 offset:1024
	s_waitcnt lgkmcnt(0)
	v_lshrrev_b32_sdwa v17, s69, v16 dst_sel:DWORD dst_unused:UNUSED_PAD src0_sel:DWORD src1_sel:BYTE_0
	v_and_b32_e32 v17, s58, v17
	v_lshlrev_b32_e32 v17, 2, v17
	ds_read_b32 v17, v17
	s_waitcnt lgkmcnt(0)
	v_add_u32_e32 v17, v17, v0
	global_store_byte v17, v16, s[50:51]
	s_or_b64 exec, exec, s[38:39]
	v_cmp_lt_u32_e64 s[40:41], v19, v74
	s_and_saveexec_b64 s[38:39], s[40:41]
	s_cbranch_execz .LBB191_282
.LBB191_302:                            ;   in Loop: Header=BB191_250 Depth=2
	ds_read_u8 v16, v0 offset:1280
	s_waitcnt lgkmcnt(0)
	v_lshrrev_b32_sdwa v17, s69, v16 dst_sel:DWORD dst_unused:UNUSED_PAD src0_sel:DWORD src1_sel:BYTE_0
	v_and_b32_e32 v17, s58, v17
	v_lshlrev_b32_e32 v17, 2, v17
	ds_read_b32 v17, v17
	s_waitcnt lgkmcnt(0)
	v_add_u32_e32 v17, v17, v19
	global_store_byte v17, v16, s[50:51]
	s_or_b64 exec, exec, s[38:39]
	v_cmp_lt_u32_e64 s[38:39], v20, v74
	s_and_saveexec_b64 s[44:45], s[38:39]
	s_cbranch_execz .LBB191_283
.LBB191_303:                            ;   in Loop: Header=BB191_250 Depth=2
	ds_read_u8 v16, v0 offset:1536
	s_waitcnt lgkmcnt(0)
	v_lshrrev_b32_sdwa v17, s69, v16 dst_sel:DWORD dst_unused:UNUSED_PAD src0_sel:DWORD src1_sel:BYTE_0
	v_and_b32_e32 v17, s58, v17
	v_lshlrev_b32_e32 v17, 2, v17
	ds_read_b32 v17, v17
	s_waitcnt lgkmcnt(0)
	v_add_u32_e32 v17, v17, v20
	global_store_byte v17, v16, s[50:51]
	s_or_b64 exec, exec, s[44:45]
	v_cmp_lt_u32_e32 vcc, v21, v74
	s_and_saveexec_b64 s[44:45], vcc
	s_cbranch_execnz .LBB191_284
	s_branch .LBB191_285
.LBB191_304:                            ;   in Loop: Header=BB191_250 Depth=2
	global_load_dwordx2 v[11:12], v[16:17], off
	s_or_b64 exec, exec, s[44:45]
	v_cmp_lt_u32_e64 s[44:45], v61, v74
	s_and_saveexec_b64 s[54:55], s[44:45]
	s_cbranch_execz .LBB191_287
.LBB191_305:                            ;   in Loop: Header=BB191_250 Depth=2
	global_load_dwordx2 v[9:10], v[16:17], off offset:512
	s_or_b64 exec, exec, s[54:55]
	v_cmp_lt_u32_e64 s[44:45], v62, v74
	s_and_saveexec_b64 s[54:55], s[44:45]
	s_cbranch_execz .LBB191_288
.LBB191_306:                            ;   in Loop: Header=BB191_250 Depth=2
	global_load_dwordx2 v[7:8], v[16:17], off offset:1024
	s_or_b64 exec, exec, s[54:55]
	v_cmp_lt_u32_e64 s[44:45], v63, v74
	s_and_saveexec_b64 s[54:55], s[44:45]
	s_cbranch_execz .LBB191_289
.LBB191_307:                            ;   in Loop: Header=BB191_250 Depth=2
	global_load_dwordx2 v[5:6], v[16:17], off offset:1536
	s_or_b64 exec, exec, s[54:55]
	s_and_saveexec_b64 s[44:45], s[42:43]
	s_cbranch_execz .LBB191_290
.LBB191_308:                            ;   in Loop: Header=BB191_250 Depth=2
	ds_read_u8 v16, v0 offset:1024
	s_waitcnt lgkmcnt(0)
	v_lshrrev_b32_e32 v16, s69, v16
	v_and_b32_e32 v73, s58, v16
	s_or_b64 exec, exec, s[44:45]
	s_and_saveexec_b64 s[44:45], s[40:41]
	s_cbranch_execz .LBB191_291
.LBB191_309:                            ;   in Loop: Header=BB191_250 Depth=2
	ds_read_u8 v16, v0 offset:1280
	s_waitcnt lgkmcnt(0)
	v_lshrrev_b32_e32 v16, s69, v16
	v_and_b32_e32 v72, s58, v16
	s_or_b64 exec, exec, s[44:45]
	s_and_saveexec_b64 s[44:45], s[38:39]
	s_cbranch_execz .LBB191_292
.LBB191_310:                            ;   in Loop: Header=BB191_250 Depth=2
	ds_read_u8 v16, v0 offset:1536
	s_waitcnt lgkmcnt(0)
	v_lshrrev_b32_e32 v16, s69, v16
	v_and_b32_e32 v70, s58, v16
	s_or_b64 exec, exec, s[44:45]
	s_and_saveexec_b64 s[44:45], vcc
	s_cbranch_execnz .LBB191_293
	s_branch .LBB191_294
.LBB191_311:                            ;   in Loop: Header=BB191_250 Depth=2
	v_lshlrev_b32_e32 v4, 2, v73
	ds_read_b32 v4, v4
	v_add_u32_e32 v13, v0, v51
	ds_read_b64 v[13:14], v13 offset:1024
	v_mov_b32_e32 v16, v3
	v_mov_b32_e32 v17, s65
	s_waitcnt lgkmcnt(1)
	v_add_u32_e32 v15, v4, v0
	v_lshlrev_b64 v[15:16], 3, v[15:16]
	v_add_co_u32_e64 v15, s[42:43], s64, v15
	v_addc_co_u32_e64 v16, s[42:43], v17, v16, s[42:43]
	s_waitcnt lgkmcnt(0)
	global_store_dwordx2 v[15:16], v[13:14], off
	s_or_b64 exec, exec, s[44:45]
	s_and_saveexec_b64 s[42:43], s[40:41]
	s_cbranch_execz .LBB191_296
.LBB191_312:                            ;   in Loop: Header=BB191_250 Depth=2
	v_lshlrev_b32_e32 v4, 2, v72
	ds_read_b32 v4, v4
	v_add_u32_e32 v13, v0, v51
	ds_read_b64 v[13:14], v13 offset:3072
	v_mov_b32_e32 v16, v3
	v_mov_b32_e32 v17, s65
	s_waitcnt lgkmcnt(1)
	v_add_u32_e32 v15, v4, v19
	v_lshlrev_b64 v[15:16], 3, v[15:16]
	v_add_co_u32_e64 v15, s[40:41], s64, v15
	v_addc_co_u32_e64 v16, s[40:41], v17, v16, s[40:41]
	s_waitcnt lgkmcnt(0)
	global_store_dwordx2 v[15:16], v[13:14], off
	s_or_b64 exec, exec, s[42:43]
	s_and_saveexec_b64 s[40:41], s[38:39]
	s_cbranch_execz .LBB191_297
.LBB191_313:                            ;   in Loop: Header=BB191_250 Depth=2
	v_lshlrev_b32_e32 v4, 2, v70
	ds_read_b32 v4, v4
	v_add_u32_e32 v13, v0, v51
	ds_read_b64 v[13:14], v13 offset:5120
	v_mov_b32_e32 v16, v3
	v_mov_b32_e32 v17, s65
	s_waitcnt lgkmcnt(1)
	v_add_u32_e32 v15, v4, v20
	v_lshlrev_b64 v[15:16], 3, v[15:16]
	v_add_co_u32_e64 v15, s[38:39], s64, v15
	v_addc_co_u32_e64 v16, s[38:39], v17, v16, s[38:39]
	s_waitcnt lgkmcnt(0)
	global_store_dwordx2 v[15:16], v[13:14], off
	s_or_b64 exec, exec, s[40:41]
	s_and_saveexec_b64 s[38:39], vcc
	s_cbranch_execnz .LBB191_298
	s_branch .LBB191_299
.LBB191_314:                            ;   in Loop: Header=BB191_12 Depth=1
	s_waitcnt lgkmcnt(0)
	s_barrier
	s_mov_b64 s[18:19], 0
.LBB191_315:                            ;   in Loop: Header=BB191_12 Depth=1
	s_and_b64 vcc, exec, s[18:19]
	s_cbranch_vccz .LBB191_11
; %bb.316:                              ;   in Loop: Header=BB191_12 Depth=1
	v_mov_b32_e32 v4, 0
	s_mov_b32 s20, s71
	s_mov_b32 s22, s63
	v_mov_b32_e32 v7, 0
	v_mov_b32_e32 v6, 0
	;; [unrolled: 1-line block ×3, first 2 shown]
	s_barrier
	s_branch .LBB191_318
.LBB191_317:                            ;   in Loop: Header=BB191_318 Depth=2
	s_or_b64 exec, exec, s[18:19]
	s_addk_i32 s20, 0xfc00
	s_cmp_ge_u32 s21, s74
	s_mov_b32 s22, s21
	s_cbranch_scc1 .LBB191_338
.LBB191_318:                            ;   Parent Loop BB191_12 Depth=1
                                        ; =>  This Inner Loop Header: Depth=2
	s_add_i32 s21, s22, 0x400
	s_cmp_gt_u32 s21, s74
	s_mov_b64 s[18:19], -1
                                        ; implicit-def: $vgpr8
                                        ; implicit-def: $vgpr9
                                        ; implicit-def: $vgpr10
                                        ; implicit-def: $vgpr11
	s_cbranch_scc1 .LBB191_320
; %bb.319:                              ;   in Loop: Header=BB191_318 Depth=2
	v_add_co_u32_e32 v12, vcc, s22, v39
	v_addc_co_u32_e32 v13, vcc, 0, v40, vcc
	global_load_ubyte v11, v[12:13], off offset:768
	global_load_ubyte v10, v[12:13], off offset:512
	;; [unrolled: 1-line block ×3, first 2 shown]
	global_load_ubyte v8, v[12:13], off
	s_mov_b64 s[18:19], 0
.LBB191_320:                            ;   in Loop: Header=BB191_318 Depth=2
	s_andn2_b64 vcc, exec, s[18:19]
	s_movk_i32 s23, 0x400
	s_cbranch_vccnz .LBB191_327
; %bb.321:                              ;   in Loop: Header=BB191_318 Depth=2
	s_add_u32 s22, s48, s22
	s_addc_u32 s23, s49, 0
	v_cmp_gt_u32_e32 vcc, s20, v0
	s_and_saveexec_b64 s[18:19], vcc
	s_cbranch_execnz .LBB191_335
; %bb.322:                              ;   in Loop: Header=BB191_318 Depth=2
	s_or_b64 exec, exec, s[18:19]
	v_cmp_gt_u32_e32 vcc, s20, v19
	s_and_saveexec_b64 s[18:19], vcc
	s_cbranch_execnz .LBB191_336
.LBB191_323:                            ;   in Loop: Header=BB191_318 Depth=2
	s_or_b64 exec, exec, s[18:19]
	v_cmp_gt_u32_e32 vcc, s20, v20
	s_and_saveexec_b64 s[18:19], vcc
	s_cbranch_execnz .LBB191_337
.LBB191_324:                            ;   in Loop: Header=BB191_318 Depth=2
	s_or_b64 exec, exec, s[18:19]
	v_cmp_gt_u32_e32 vcc, s20, v21
	s_and_saveexec_b64 s[18:19], vcc
	s_cbranch_execz .LBB191_326
.LBB191_325:                            ;   in Loop: Header=BB191_318 Depth=2
	v_mov_b32_e32 v5, s23
	s_waitcnt vmcnt(0)
	v_add_co_u32_e32 v8, vcc, s22, v0
	v_addc_co_u32_e32 v9, vcc, 0, v5, vcc
	global_load_ubyte v5, v[8:9], off offset:768
.LBB191_326:                            ;   in Loop: Header=BB191_318 Depth=2
	s_or_b64 exec, exec, s[18:19]
	s_mov_b32 s23, s20
	s_waitcnt vmcnt(0)
	v_mov_b32_e32 v8, v4
	v_mov_b32_e32 v9, v7
	;; [unrolled: 1-line block ×4, first 2 shown]
.LBB191_327:                            ;   in Loop: Header=BB191_318 Depth=2
	s_waitcnt vmcnt(3)
	v_mov_b32_e32 v5, v11
	s_waitcnt vmcnt(2)
	v_mov_b32_e32 v6, v10
	;; [unrolled: 2-line block ×4, first 2 shown]
	v_cmp_gt_u32_e32 vcc, s23, v0
	s_and_saveexec_b64 s[18:19], vcc
	s_cbranch_execnz .LBB191_331
; %bb.328:                              ;   in Loop: Header=BB191_318 Depth=2
	s_or_b64 exec, exec, s[18:19]
	v_cmp_gt_u32_e32 vcc, s23, v19
	s_and_saveexec_b64 s[18:19], vcc
	s_cbranch_execnz .LBB191_332
.LBB191_329:                            ;   in Loop: Header=BB191_318 Depth=2
	s_or_b64 exec, exec, s[18:19]
	v_cmp_gt_u32_e32 vcc, s23, v20
	s_and_saveexec_b64 s[18:19], vcc
	s_cbranch_execnz .LBB191_333
.LBB191_330:                            ;   in Loop: Header=BB191_318 Depth=2
	s_or_b64 exec, exec, s[18:19]
	v_cmp_gt_u32_e32 vcc, s23, v21
	s_and_saveexec_b64 s[18:19], vcc
	s_cbranch_execz .LBB191_317
	s_branch .LBB191_334
.LBB191_331:                            ;   in Loop: Header=BB191_318 Depth=2
	v_lshrrev_b32_sdwa v8, s69, v4 dst_sel:DWORD dst_unused:UNUSED_PAD src0_sel:DWORD src1_sel:BYTE_0
	v_and_b32_e32 v8, s58, v8
	v_lshl_or_b32 v8, v8, 4, v24
	ds_add_u32 v8, v52
	s_or_b64 exec, exec, s[18:19]
	v_cmp_gt_u32_e32 vcc, s23, v19
	s_and_saveexec_b64 s[18:19], vcc
	s_cbranch_execz .LBB191_329
.LBB191_332:                            ;   in Loop: Header=BB191_318 Depth=2
	v_lshrrev_b32_sdwa v8, s69, v7 dst_sel:DWORD dst_unused:UNUSED_PAD src0_sel:DWORD src1_sel:BYTE_0
	v_and_b32_e32 v8, s58, v8
	v_lshl_or_b32 v8, v8, 4, v24
	ds_add_u32 v8, v52
	s_or_b64 exec, exec, s[18:19]
	v_cmp_gt_u32_e32 vcc, s23, v20
	s_and_saveexec_b64 s[18:19], vcc
	s_cbranch_execz .LBB191_330
.LBB191_333:                            ;   in Loop: Header=BB191_318 Depth=2
	v_lshrrev_b32_sdwa v8, s69, v6 dst_sel:DWORD dst_unused:UNUSED_PAD src0_sel:DWORD src1_sel:BYTE_0
	v_and_b32_e32 v8, s58, v8
	v_lshl_or_b32 v8, v8, 4, v24
	ds_add_u32 v8, v52
	s_or_b64 exec, exec, s[18:19]
	v_cmp_gt_u32_e32 vcc, s23, v21
	s_and_saveexec_b64 s[18:19], vcc
	s_cbranch_execz .LBB191_317
.LBB191_334:                            ;   in Loop: Header=BB191_318 Depth=2
	v_lshrrev_b32_sdwa v8, s69, v5 dst_sel:DWORD dst_unused:UNUSED_PAD src0_sel:DWORD src1_sel:BYTE_0
	v_and_b32_e32 v8, s58, v8
	v_lshl_or_b32 v8, v8, 4, v24
	ds_add_u32 v8, v52
	s_branch .LBB191_317
.LBB191_335:                            ;   in Loop: Header=BB191_318 Depth=2
	v_mov_b32_e32 v4, s23
	s_waitcnt vmcnt(0)
	v_add_co_u32_e32 v8, vcc, s22, v0
	v_addc_co_u32_e32 v9, vcc, 0, v4, vcc
	global_load_ubyte v4, v[8:9], off
	s_or_b64 exec, exec, s[18:19]
	v_cmp_gt_u32_e32 vcc, s20, v19
	s_and_saveexec_b64 s[18:19], vcc
	s_cbranch_execz .LBB191_323
.LBB191_336:                            ;   in Loop: Header=BB191_318 Depth=2
	s_waitcnt vmcnt(0)
	v_mov_b32_e32 v8, s23
	v_add_co_u32_e32 v7, vcc, s22, v0
	v_addc_co_u32_e32 v8, vcc, 0, v8, vcc
	global_load_ubyte v7, v[7:8], off offset:256
	s_or_b64 exec, exec, s[18:19]
	v_cmp_gt_u32_e32 vcc, s20, v20
	s_and_saveexec_b64 s[18:19], vcc
	s_cbranch_execz .LBB191_324
.LBB191_337:                            ;   in Loop: Header=BB191_318 Depth=2
	v_mov_b32_e32 v6, s23
	s_waitcnt vmcnt(0)
	v_add_co_u32_e32 v8, vcc, s22, v0
	v_addc_co_u32_e32 v9, vcc, 0, v6, vcc
	global_load_ubyte v6, v[8:9], off offset:512
	s_or_b64 exec, exec, s[18:19]
	v_cmp_gt_u32_e32 vcc, s20, v21
	s_and_saveexec_b64 s[18:19], vcc
	s_cbranch_execnz .LBB191_325
	s_branch .LBB191_326
.LBB191_338:                            ;   in Loop: Header=BB191_12 Depth=1
	v_mov_b32_e32 v4, 0
	s_waitcnt lgkmcnt(0)
	s_barrier
	s_and_saveexec_b64 s[18:19], s[4:5]
	s_cbranch_execz .LBB191_340
; %bb.339:                              ;   in Loop: Header=BB191_12 Depth=1
	ds_read2_b64 v[4:7], v25 offset1:1
	s_waitcnt lgkmcnt(0)
	v_add_u32_e32 v4, v5, v4
	v_add3_u32 v4, v4, v6, v7
.LBB191_340:                            ;   in Loop: Header=BB191_12 Depth=1
	s_or_b64 exec, exec, s[18:19]
	s_nop 0
	v_mov_b32_dpp v5, v4 row_shr:1 row_mask:0xf bank_mask:0xf
	v_cmp_eq_u32_e64 s[18:19], 0, v55
	v_cndmask_b32_e64 v5, v5, 0, s[18:19]
	v_add_u32_e32 v4, v5, v4
	v_cmp_lt_u32_e64 s[20:21], 1, v55
	v_cmp_lt_u32_e64 s[22:23], 3, v55
	v_mov_b32_dpp v5, v4 row_shr:2 row_mask:0xf bank_mask:0xf
	v_cndmask_b32_e64 v5, 0, v5, s[20:21]
	v_add_u32_e32 v4, v4, v5
	v_cmp_lt_u32_e64 s[24:25], 7, v55
	v_cmp_lt_u32_e64 s[28:29], 31, v45
	v_mov_b32_dpp v5, v4 row_shr:4 row_mask:0xf bank_mask:0xf
	v_cndmask_b32_e64 v5, 0, v5, s[22:23]
	v_add_u32_e32 v4, v4, v5
	v_cmp_eq_u32_e64 s[26:27], 0, v57
	s_nop 0
	v_mov_b32_dpp v5, v4 row_shr:8 row_mask:0xf bank_mask:0xf
	v_cndmask_b32_e64 v5, 0, v5, s[24:25]
	v_add_u32_e32 v4, v4, v5
	s_nop 1
	v_mov_b32_dpp v5, v4 row_bcast:15 row_mask:0xf bank_mask:0xf
	v_and_b32_e32 v5, v56, v5
	v_add_u32_e32 v4, v4, v5
	s_nop 1
	v_mov_b32_dpp v5, v4 row_bcast:31 row_mask:0xf bank_mask:0xf
	v_cndmask_b32_e64 v5, 0, v5, s[28:29]
	v_add_u32_e32 v4, v4, v5
	s_and_saveexec_b64 s[30:31], s[8:9]
; %bb.341:                              ;   in Loop: Header=BB191_12 Depth=1
	ds_write_b32 v27, v4
; %bb.342:                              ;   in Loop: Header=BB191_12 Depth=1
	s_or_b64 exec, exec, s[30:31]
	s_waitcnt lgkmcnt(0)
	s_barrier
	s_and_saveexec_b64 s[30:31], s[10:11]
	s_cbranch_execz .LBB191_344
; %bb.343:                              ;   in Loop: Header=BB191_12 Depth=1
	ds_read_b32 v5, v48
	v_cmp_ne_u32_e32 vcc, 0, v58
	s_waitcnt lgkmcnt(0)
	v_mov_b32_dpp v6, v5 row_shr:1 row_mask:0xf bank_mask:0xf
	v_cndmask_b32_e32 v6, 0, v6, vcc
	v_add_u32_e32 v5, v6, v5
	v_cmp_lt_u32_e32 vcc, 1, v58
	s_nop 0
	v_mov_b32_dpp v6, v5 row_shr:2 row_mask:0xf bank_mask:0xf
	v_cndmask_b32_e32 v6, 0, v6, vcc
	v_add_u32_e32 v5, v5, v6
	ds_write_b32 v48, v5
.LBB191_344:                            ;   in Loop: Header=BB191_12 Depth=1
	s_or_b64 exec, exec, s[30:31]
	v_mov_b32_e32 v5, 0
	s_waitcnt lgkmcnt(0)
	s_barrier
	s_and_saveexec_b64 s[30:31], s[12:13]
; %bb.345:                              ;   in Loop: Header=BB191_12 Depth=1
	ds_read_b32 v5, v49
; %bb.346:                              ;   in Loop: Header=BB191_12 Depth=1
	s_or_b64 exec, exec, s[30:31]
	v_subrev_co_u32_e64 v6, s[30:31], 1, v45
	v_cmp_lt_i32_e32 vcc, v6, v59
	v_cndmask_b32_e32 v6, v6, v45, vcc
	s_waitcnt lgkmcnt(0)
	v_add_u32_e32 v4, v5, v4
	v_lshlrev_b32_e32 v64, 2, v6
	ds_bpermute_b32 v4, v64, v4
	s_waitcnt lgkmcnt(0)
	s_barrier
	s_and_saveexec_b64 s[34:35], s[4:5]
; %bb.347:                              ;   in Loop: Header=BB191_12 Depth=1
	v_cndmask_b32_e64 v4, v4, v5, s[30:31]
	v_add_u32_e32 v4, s63, v4
	ds_write_b32 v18, v4
; %bb.348:                              ;   in Loop: Header=BB191_12 Depth=1
	s_or_b64 exec, exec, s[34:35]
	s_load_dwordx2 s[34:35], s[46:47], 0x0
	v_add_co_u32_e32 v65, vcc, v41, v60
	v_addc_co_u32_e32 v66, vcc, 0, v42, vcc
	s_waitcnt lgkmcnt(0)
	s_cmp_lt_u32 s33, s35
	s_cselect_b32 s35, 14, 20
	s_add_u32 s36, s46, s35
	s_addc_u32 s37, s47, 0
	s_cmp_lt_u32 s6, s34
	s_cselect_b32 s34, 12, 18
	s_add_u32 s34, s46, s34
	global_load_ushort v4, v3, s[36:37]
	s_addc_u32 s35, s47, 0
	global_load_ushort v5, v3, s[34:35]
	v_add_co_u32_e32 v67, vcc, v43, v46
	v_cmp_eq_u32_e64 s[34:35], 0, v58
	v_cmp_lt_u32_e64 s[36:37], 1, v58
	v_addc_co_u32_e32 v68, vcc, 0, v44, vcc
	s_mov_b32 s59, s71
	s_mov_b32 s56, s63
                                        ; implicit-def: $vgpr7_vgpr8
                                        ; implicit-def: $vgpr9_vgpr10
                                        ; implicit-def: $vgpr11_vgpr12
                                        ; implicit-def: $vgpr69
                                        ; implicit-def: $vgpr70
                                        ; implicit-def: $vgpr72
                                        ; implicit-def: $vgpr73
	s_waitcnt vmcnt(1)
	v_mad_u32_u24 v4, v2, v4, v1
	s_waitcnt vmcnt(0)
	v_mad_u64_u32 v[4:5], s[38:39], v4, v5, v[0:1]
                                        ; implicit-def: $vgpr5_vgpr6
	v_lshrrev_b32_e32 v4, 4, v4
	v_and_b32_e32 v71, 0xffffffc, v4
	s_branch .LBB191_350
.LBB191_349:                            ;   in Loop: Header=BB191_350 Depth=2
	s_or_b64 exec, exec, s[38:39]
	s_addk_i32 s59, 0xfc00
	s_cmp_lt_u32 s60, s74
	s_mov_b32 s56, s60
	s_cbranch_scc0 .LBB191_10
.LBB191_350:                            ;   Parent Loop BB191_12 Depth=1
                                        ; =>  This Inner Loop Header: Depth=2
	s_add_i32 s60, s56, 0x400
	s_cmp_gt_u32 s60, s74
	s_cbranch_scc1 .LBB191_352
; %bb.351:                              ;   in Loop: Header=BB191_350 Depth=2
	v_add_co_u32_e32 v13, vcc, s56, v67
	v_addc_co_u32_e32 v14, vcc, 0, v68, vcc
	global_load_ubyte v17, v[13:14], off
	global_load_ubyte v75, v[13:14], off offset:64
	global_load_ubyte v76, v[13:14], off offset:128
	s_mov_b64 s[38:39], -1
	s_movk_i32 s42, 0x400
	s_cbranch_execz .LBB191_353
	s_branch .LBB191_360
.LBB191_352:                            ;   in Loop: Header=BB191_350 Depth=2
	s_mov_b64 s[38:39], 0
                                        ; implicit-def: $vgpr17
                                        ; implicit-def: $vgpr75
                                        ; implicit-def: $vgpr76
	s_movk_i32 s42, 0x400
.LBB191_353:                            ;   in Loop: Header=BB191_350 Depth=2
	v_add_co_u32_e32 v13, vcc, s56, v67
	v_addc_co_u32_e32 v14, vcc, 0, v68, vcc
	v_cmp_gt_u32_e32 vcc, s59, v47
	s_waitcnt vmcnt(1)
	v_mov_b32_e32 v75, 0xff
	v_mov_b32_e32 v17, 0xff
	s_and_saveexec_b64 s[38:39], vcc
	s_cbranch_execz .LBB191_355
; %bb.354:                              ;   in Loop: Header=BB191_350 Depth=2
	global_load_ubyte v17, v[13:14], off
.LBB191_355:                            ;   in Loop: Header=BB191_350 Depth=2
	s_or_b64 exec, exec, s[38:39]
	v_cmp_gt_u32_e32 vcc, s59, v61
	s_and_saveexec_b64 s[38:39], vcc
	s_cbranch_execz .LBB191_357
; %bb.356:                              ;   in Loop: Header=BB191_350 Depth=2
	global_load_ubyte v75, v[13:14], off offset:64
.LBB191_357:                            ;   in Loop: Header=BB191_350 Depth=2
	s_or_b64 exec, exec, s[38:39]
	v_cmp_gt_u32_e32 vcc, s59, v62
	s_waitcnt vmcnt(0)
	v_mov_b32_e32 v76, 0xff
	s_and_saveexec_b64 s[38:39], vcc
	s_cbranch_execz .LBB191_359
; %bb.358:                              ;   in Loop: Header=BB191_350 Depth=2
	global_load_ubyte v76, v[13:14], off offset:128
.LBB191_359:                            ;   in Loop: Header=BB191_350 Depth=2
	s_or_b64 exec, exec, s[38:39]
	s_sub_i32 s42, s74, s56
	v_cmp_gt_u32_e64 s[38:39], s59, v63
.LBB191_360:                            ;   in Loop: Header=BB191_350 Depth=2
	v_mov_b32_e32 v77, 0xff
	v_mov_b32_e32 v74, s59
	s_and_saveexec_b64 s[40:41], s[38:39]
	s_cbranch_execz .LBB191_362
; %bb.361:                              ;   in Loop: Header=BB191_350 Depth=2
	v_mov_b32_e32 v4, s57
	v_add_co_u32_e32 v13, vcc, s56, v67
	v_addc_co_u32_e32 v14, vcc, v68, v4, vcc
	global_load_ubyte v77, v[13:14], off offset:192
	v_mov_b32_e32 v74, s42
.LBB191_362:                            ;   in Loop: Header=BB191_350 Depth=2
	s_or_b64 exec, exec, s[40:41]
	s_waitcnt vmcnt(2)
	v_lshrrev_b32_sdwa v4, s69, v17 dst_sel:DWORD dst_unused:UNUSED_PAD src0_sel:DWORD src1_sel:BYTE_0
	v_and_b32_e32 v13, s58, v4
	v_and_b32_e32 v4, 1, v13
	v_add_co_u32_e32 v14, vcc, -1, v4
	v_addc_co_u32_e64 v16, s[38:39], 0, -1, vcc
	v_cmp_ne_u32_e32 vcc, 0, v4
	v_xor_b32_e32 v4, vcc_hi, v16
	v_and_b32_e32 v16, exec_hi, v4
	v_lshlrev_b32_e32 v4, 30, v13
	v_xor_b32_e32 v14, vcc_lo, v14
	v_cmp_gt_i64_e32 vcc, 0, v[3:4]
	v_not_b32_e32 v4, v4
	v_ashrrev_i32_e32 v4, 31, v4
	v_and_b32_e32 v14, exec_lo, v14
	v_xor_b32_e32 v78, vcc_hi, v4
	v_xor_b32_e32 v4, vcc_lo, v4
	v_and_b32_e32 v14, v14, v4
	v_lshlrev_b32_e32 v4, 29, v13
	v_cmp_gt_i64_e32 vcc, 0, v[3:4]
	v_not_b32_e32 v4, v4
	v_ashrrev_i32_e32 v4, 31, v4
	v_and_b32_e32 v16, v16, v78
	v_xor_b32_e32 v78, vcc_hi, v4
	v_xor_b32_e32 v4, vcc_lo, v4
	v_and_b32_e32 v14, v14, v4
	v_lshlrev_b32_e32 v4, 28, v13
	v_cmp_gt_i64_e32 vcc, 0, v[3:4]
	v_not_b32_e32 v4, v4
	v_ashrrev_i32_e32 v4, 31, v4
	v_and_b32_e32 v16, v16, v78
	;; [unrolled: 8-line block ×5, first 2 shown]
	v_xor_b32_e32 v78, vcc_hi, v4
	v_xor_b32_e32 v4, vcc_lo, v4
	v_and_b32_e32 v16, v16, v78
	v_and_b32_e32 v78, v14, v4
	v_lshlrev_b32_e32 v4, 24, v13
	v_cmp_gt_i64_e32 vcc, 0, v[3:4]
	v_not_b32_e32 v4, v4
	v_ashrrev_i32_e32 v4, 31, v4
	v_mul_u32_u24_e32 v15, 20, v13
	v_xor_b32_e32 v13, vcc_hi, v4
	v_xor_b32_e32 v4, vcc_lo, v4
	v_and_b32_e32 v14, v16, v13
	v_and_b32_e32 v13, v78, v4
	v_mbcnt_lo_u32_b32 v4, v13, 0
	v_mbcnt_hi_u32_b32 v78, v14, v4
	v_cmp_ne_u64_e32 vcc, 0, v[13:14]
	v_cmp_eq_u32_e64 s[38:39], 0, v78
	s_and_b64 s[40:41], vcc, s[38:39]
	v_add_u32_e32 v80, v71, v15
	ds_write2_b32 v53, v3, v3 offset1:1
	ds_write2_b32 v54, v3, v3 offset1:1
	ds_write_b32 v50, v3 offset:1056
	s_waitcnt vmcnt(0) lgkmcnt(0)
	s_barrier
	; wave barrier
	s_and_saveexec_b64 s[38:39], s[40:41]
; %bb.363:                              ;   in Loop: Header=BB191_350 Depth=2
	v_bcnt_u32_b32 v4, v13, 0
	v_bcnt_u32_b32 v4, v14, v4
	ds_write_b32 v80, v4 offset:1040
; %bb.364:                              ;   in Loop: Header=BB191_350 Depth=2
	s_or_b64 exec, exec, s[38:39]
	v_lshrrev_b32_sdwa v4, s69, v75 dst_sel:DWORD dst_unused:UNUSED_PAD src0_sel:DWORD src1_sel:BYTE_0
	v_and_b32_e32 v13, s58, v4
	v_mad_u32_u24 v4, v13, 20, v71
	; wave barrier
	ds_read_b32 v79, v4 offset:1040
	v_and_b32_e32 v4, 1, v13
	v_add_co_u32_e32 v14, vcc, -1, v4
	v_addc_co_u32_e64 v16, s[38:39], 0, -1, vcc
	v_cmp_ne_u32_e32 vcc, 0, v4
	v_xor_b32_e32 v4, vcc_hi, v16
	v_and_b32_e32 v16, exec_hi, v4
	v_lshlrev_b32_e32 v4, 30, v13
	v_xor_b32_e32 v14, vcc_lo, v14
	v_cmp_gt_i64_e32 vcc, 0, v[3:4]
	v_not_b32_e32 v4, v4
	v_ashrrev_i32_e32 v4, 31, v4
	v_and_b32_e32 v14, exec_lo, v14
	v_xor_b32_e32 v81, vcc_hi, v4
	v_xor_b32_e32 v4, vcc_lo, v4
	v_and_b32_e32 v14, v14, v4
	v_lshlrev_b32_e32 v4, 29, v13
	v_cmp_gt_i64_e32 vcc, 0, v[3:4]
	v_not_b32_e32 v4, v4
	v_ashrrev_i32_e32 v4, 31, v4
	v_and_b32_e32 v16, v16, v81
	v_xor_b32_e32 v81, vcc_hi, v4
	v_xor_b32_e32 v4, vcc_lo, v4
	v_and_b32_e32 v14, v14, v4
	v_lshlrev_b32_e32 v4, 28, v13
	v_cmp_gt_i64_e32 vcc, 0, v[3:4]
	v_not_b32_e32 v4, v4
	v_ashrrev_i32_e32 v4, 31, v4
	v_and_b32_e32 v16, v16, v81
	;; [unrolled: 8-line block ×5, first 2 shown]
	v_xor_b32_e32 v81, vcc_hi, v4
	v_xor_b32_e32 v4, vcc_lo, v4
	v_and_b32_e32 v16, v16, v81
	v_and_b32_e32 v81, v14, v4
	v_lshlrev_b32_e32 v4, 24, v13
	v_cmp_gt_i64_e32 vcc, 0, v[3:4]
	v_not_b32_e32 v4, v4
	v_ashrrev_i32_e32 v4, 31, v4
	v_mul_u32_u24_e32 v15, 20, v13
	v_xor_b32_e32 v13, vcc_hi, v4
	v_xor_b32_e32 v4, vcc_lo, v4
	v_and_b32_e32 v14, v16, v13
	v_and_b32_e32 v13, v81, v4
	v_mbcnt_lo_u32_b32 v4, v13, 0
	v_mbcnt_hi_u32_b32 v81, v14, v4
	v_cmp_ne_u64_e32 vcc, 0, v[13:14]
	v_cmp_eq_u32_e64 s[38:39], 0, v81
	s_and_b64 s[40:41], vcc, s[38:39]
	v_add_u32_e32 v83, v71, v15
	; wave barrier
	s_and_saveexec_b64 s[38:39], s[40:41]
	s_cbranch_execz .LBB191_366
; %bb.365:                              ;   in Loop: Header=BB191_350 Depth=2
	v_bcnt_u32_b32 v4, v13, 0
	v_bcnt_u32_b32 v4, v14, v4
	s_waitcnt lgkmcnt(0)
	v_add_u32_e32 v4, v79, v4
	ds_write_b32 v83, v4 offset:1040
.LBB191_366:                            ;   in Loop: Header=BB191_350 Depth=2
	s_or_b64 exec, exec, s[38:39]
	v_lshrrev_b32_sdwa v4, s69, v76 dst_sel:DWORD dst_unused:UNUSED_PAD src0_sel:DWORD src1_sel:BYTE_0
	v_and_b32_e32 v13, s58, v4
	v_mad_u32_u24 v4, v13, 20, v71
	; wave barrier
	ds_read_b32 v82, v4 offset:1040
	v_and_b32_e32 v4, 1, v13
	v_add_co_u32_e32 v14, vcc, -1, v4
	v_addc_co_u32_e64 v16, s[38:39], 0, -1, vcc
	v_cmp_ne_u32_e32 vcc, 0, v4
	v_xor_b32_e32 v4, vcc_hi, v16
	v_and_b32_e32 v16, exec_hi, v4
	v_lshlrev_b32_e32 v4, 30, v13
	v_xor_b32_e32 v14, vcc_lo, v14
	v_cmp_gt_i64_e32 vcc, 0, v[3:4]
	v_not_b32_e32 v4, v4
	v_ashrrev_i32_e32 v4, 31, v4
	v_and_b32_e32 v14, exec_lo, v14
	v_xor_b32_e32 v84, vcc_hi, v4
	v_xor_b32_e32 v4, vcc_lo, v4
	v_and_b32_e32 v14, v14, v4
	v_lshlrev_b32_e32 v4, 29, v13
	v_cmp_gt_i64_e32 vcc, 0, v[3:4]
	v_not_b32_e32 v4, v4
	v_ashrrev_i32_e32 v4, 31, v4
	v_and_b32_e32 v16, v16, v84
	v_xor_b32_e32 v84, vcc_hi, v4
	v_xor_b32_e32 v4, vcc_lo, v4
	v_and_b32_e32 v14, v14, v4
	v_lshlrev_b32_e32 v4, 28, v13
	v_cmp_gt_i64_e32 vcc, 0, v[3:4]
	v_not_b32_e32 v4, v4
	v_ashrrev_i32_e32 v4, 31, v4
	v_and_b32_e32 v16, v16, v84
	;; [unrolled: 8-line block ×5, first 2 shown]
	v_xor_b32_e32 v84, vcc_hi, v4
	v_xor_b32_e32 v4, vcc_lo, v4
	v_and_b32_e32 v16, v16, v84
	v_and_b32_e32 v84, v14, v4
	v_lshlrev_b32_e32 v4, 24, v13
	v_cmp_gt_i64_e32 vcc, 0, v[3:4]
	v_not_b32_e32 v4, v4
	v_ashrrev_i32_e32 v4, 31, v4
	v_mul_u32_u24_e32 v15, 20, v13
	v_xor_b32_e32 v13, vcc_hi, v4
	v_xor_b32_e32 v4, vcc_lo, v4
	v_and_b32_e32 v14, v16, v13
	v_and_b32_e32 v13, v84, v4
	v_mbcnt_lo_u32_b32 v4, v13, 0
	v_mbcnt_hi_u32_b32 v84, v14, v4
	v_cmp_ne_u64_e32 vcc, 0, v[13:14]
	v_cmp_eq_u32_e64 s[38:39], 0, v84
	s_and_b64 s[40:41], vcc, s[38:39]
	v_add_u32_e32 v86, v71, v15
	; wave barrier
	s_and_saveexec_b64 s[38:39], s[40:41]
	s_cbranch_execz .LBB191_368
; %bb.367:                              ;   in Loop: Header=BB191_350 Depth=2
	v_bcnt_u32_b32 v4, v13, 0
	v_bcnt_u32_b32 v4, v14, v4
	s_waitcnt lgkmcnt(0)
	v_add_u32_e32 v4, v82, v4
	ds_write_b32 v86, v4 offset:1040
.LBB191_368:                            ;   in Loop: Header=BB191_350 Depth=2
	s_or_b64 exec, exec, s[38:39]
	v_lshrrev_b32_sdwa v4, s69, v77 dst_sel:DWORD dst_unused:UNUSED_PAD src0_sel:DWORD src1_sel:BYTE_0
	v_and_b32_e32 v13, s58, v4
	v_mad_u32_u24 v4, v13, 20, v71
	; wave barrier
	ds_read_b32 v85, v4 offset:1040
	v_and_b32_e32 v4, 1, v13
	v_add_co_u32_e32 v14, vcc, -1, v4
	v_addc_co_u32_e64 v16, s[38:39], 0, -1, vcc
	v_cmp_ne_u32_e32 vcc, 0, v4
	v_xor_b32_e32 v4, vcc_hi, v16
	v_and_b32_e32 v16, exec_hi, v4
	v_lshlrev_b32_e32 v4, 30, v13
	v_xor_b32_e32 v14, vcc_lo, v14
	v_cmp_gt_i64_e32 vcc, 0, v[3:4]
	v_not_b32_e32 v4, v4
	v_ashrrev_i32_e32 v4, 31, v4
	v_and_b32_e32 v14, exec_lo, v14
	v_xor_b32_e32 v87, vcc_hi, v4
	v_xor_b32_e32 v4, vcc_lo, v4
	v_and_b32_e32 v14, v14, v4
	v_lshlrev_b32_e32 v4, 29, v13
	v_cmp_gt_i64_e32 vcc, 0, v[3:4]
	v_not_b32_e32 v4, v4
	v_ashrrev_i32_e32 v4, 31, v4
	v_and_b32_e32 v16, v16, v87
	v_xor_b32_e32 v87, vcc_hi, v4
	v_xor_b32_e32 v4, vcc_lo, v4
	v_and_b32_e32 v14, v14, v4
	v_lshlrev_b32_e32 v4, 28, v13
	v_cmp_gt_i64_e32 vcc, 0, v[3:4]
	v_not_b32_e32 v4, v4
	v_ashrrev_i32_e32 v4, 31, v4
	v_and_b32_e32 v16, v16, v87
	;; [unrolled: 8-line block ×5, first 2 shown]
	v_xor_b32_e32 v87, vcc_hi, v4
	v_xor_b32_e32 v4, vcc_lo, v4
	v_and_b32_e32 v16, v16, v87
	v_and_b32_e32 v87, v14, v4
	v_lshlrev_b32_e32 v4, 24, v13
	v_cmp_gt_i64_e32 vcc, 0, v[3:4]
	v_not_b32_e32 v4, v4
	v_ashrrev_i32_e32 v4, 31, v4
	v_mul_u32_u24_e32 v15, 20, v13
	v_xor_b32_e32 v13, vcc_hi, v4
	v_xor_b32_e32 v4, vcc_lo, v4
	v_and_b32_e32 v14, v16, v13
	v_and_b32_e32 v13, v87, v4
	v_mbcnt_lo_u32_b32 v4, v13, 0
	v_mbcnt_hi_u32_b32 v4, v14, v4
	v_cmp_ne_u64_e32 vcc, 0, v[13:14]
	v_cmp_eq_u32_e64 s[38:39], 0, v4
	s_and_b64 s[40:41], vcc, s[38:39]
	v_add_u32_e32 v87, v71, v15
	; wave barrier
	s_and_saveexec_b64 s[38:39], s[40:41]
	s_cbranch_execz .LBB191_370
; %bb.369:                              ;   in Loop: Header=BB191_350 Depth=2
	v_bcnt_u32_b32 v13, v13, 0
	v_bcnt_u32_b32 v13, v14, v13
	s_waitcnt lgkmcnt(0)
	v_add_u32_e32 v13, v85, v13
	ds_write_b32 v87, v13 offset:1040
.LBB191_370:                            ;   in Loop: Header=BB191_350 Depth=2
	s_or_b64 exec, exec, s[38:39]
	; wave barrier
	s_waitcnt lgkmcnt(0)
	s_barrier
	ds_read2_b32 v[15:16], v53 offset1:1
	ds_read2_b32 v[13:14], v54 offset1:1
	ds_read_b32 v88, v50 offset:1056
	s_waitcnt lgkmcnt(1)
	v_add3_u32 v89, v16, v15, v13
	s_waitcnt lgkmcnt(0)
	v_add3_u32 v88, v89, v14, v88
	s_nop 1
	v_mov_b32_dpp v89, v88 row_shr:1 row_mask:0xf bank_mask:0xf
	v_cndmask_b32_e64 v89, v89, 0, s[18:19]
	v_add_u32_e32 v88, v89, v88
	s_nop 1
	v_mov_b32_dpp v89, v88 row_shr:2 row_mask:0xf bank_mask:0xf
	v_cndmask_b32_e64 v89, 0, v89, s[20:21]
	v_add_u32_e32 v88, v88, v89
	;; [unrolled: 4-line block ×4, first 2 shown]
	s_nop 1
	v_mov_b32_dpp v89, v88 row_bcast:15 row_mask:0xf bank_mask:0xf
	v_cndmask_b32_e64 v89, v89, 0, s[26:27]
	v_add_u32_e32 v88, v88, v89
	s_nop 1
	v_mov_b32_dpp v89, v88 row_bcast:31 row_mask:0xf bank_mask:0xf
	v_cndmask_b32_e64 v89, 0, v89, s[28:29]
	v_add_u32_e32 v88, v88, v89
	s_and_saveexec_b64 s[38:39], s[8:9]
; %bb.371:                              ;   in Loop: Header=BB191_350 Depth=2
	ds_write_b32 v26, v88 offset:1024
; %bb.372:                              ;   in Loop: Header=BB191_350 Depth=2
	s_or_b64 exec, exec, s[38:39]
	s_waitcnt lgkmcnt(0)
	s_barrier
	s_and_saveexec_b64 s[38:39], s[10:11]
	s_cbranch_execz .LBB191_374
; %bb.373:                              ;   in Loop: Header=BB191_350 Depth=2
	v_add_u32_e32 v89, v50, v28
	ds_read_b32 v90, v89 offset:1024
	s_waitcnt lgkmcnt(0)
	s_nop 0
	v_mov_b32_dpp v91, v90 row_shr:1 row_mask:0xf bank_mask:0xf
	v_cndmask_b32_e64 v91, v91, 0, s[34:35]
	v_add_u32_e32 v90, v91, v90
	s_nop 1
	v_mov_b32_dpp v91, v90 row_shr:2 row_mask:0xf bank_mask:0xf
	v_cndmask_b32_e64 v91, 0, v91, s[36:37]
	v_add_u32_e32 v90, v90, v91
	ds_write_b32 v89, v90 offset:1024
.LBB191_374:                            ;   in Loop: Header=BB191_350 Depth=2
	s_or_b64 exec, exec, s[38:39]
	v_mov_b32_e32 v89, 0
	s_waitcnt lgkmcnt(0)
	s_barrier
	s_and_saveexec_b64 s[38:39], s[12:13]
; %bb.375:                              ;   in Loop: Header=BB191_350 Depth=2
	ds_read_b32 v89, v26 offset:1020
; %bb.376:                              ;   in Loop: Header=BB191_350 Depth=2
	s_or_b64 exec, exec, s[38:39]
	s_waitcnt lgkmcnt(0)
	v_add_u32_e32 v88, v89, v88
	ds_bpermute_b32 v88, v64, v88
	s_waitcnt lgkmcnt(0)
	v_cndmask_b32_e64 v88, v88, v89, s[30:31]
	v_cndmask_b32_e64 v88, v88, 0, s[14:15]
	v_add_u32_e32 v15, v88, v15
	v_add_u32_e32 v16, v15, v16
	;; [unrolled: 1-line block ×4, first 2 shown]
	ds_write2_b32 v53, v88, v15 offset1:1
	ds_write2_b32 v54, v16, v13 offset1:1
	ds_write_b32 v50, v14 offset:1056
	s_waitcnt lgkmcnt(0)
	s_barrier
	ds_read_b32 v13, v80 offset:1040
	ds_read_b32 v14, v83 offset:1040
	;; [unrolled: 1-line block ×5, first 2 shown]
	v_mov_b32_e32 v80, 0x400
	s_and_saveexec_b64 s[38:39], s[16:17]
; %bb.377:                              ;   in Loop: Header=BB191_350 Depth=2
	ds_read_b32 v80, v50 offset:1060
; %bb.378:                              ;   in Loop: Header=BB191_350 Depth=2
	s_or_b64 exec, exec, s[38:39]
	s_waitcnt lgkmcnt(0)
	s_barrier
	s_and_saveexec_b64 s[38:39], s[4:5]
	s_cbranch_execz .LBB191_380
; %bb.379:                              ;   in Loop: Header=BB191_350 Depth=2
	ds_read_b32 v86, v18
	s_waitcnt lgkmcnt(0)
	v_sub_u32_e32 v15, v86, v15
	ds_write_b32 v18, v15
.LBB191_380:                            ;   in Loop: Header=BB191_350 Depth=2
	s_or_b64 exec, exec, s[38:39]
	v_add_u32_e32 v15, v13, v78
	v_add3_u32 v14, v81, v79, v14
	v_add3_u32 v13, v84, v82, v16
	;; [unrolled: 1-line block ×3, first 2 shown]
	v_cmp_lt_u32_e64 s[42:43], v0, v74
	ds_write_b8 v15, v17 offset:1024
	ds_write_b8 v14, v75 offset:1024
	;; [unrolled: 1-line block ×4, first 2 shown]
	s_waitcnt lgkmcnt(0)
	s_barrier
	s_and_saveexec_b64 s[38:39], s[42:43]
	s_cbranch_execnz .LBB191_401
; %bb.381:                              ;   in Loop: Header=BB191_350 Depth=2
	s_or_b64 exec, exec, s[38:39]
	v_cmp_lt_u32_e64 s[40:41], v19, v74
	s_and_saveexec_b64 s[38:39], s[40:41]
	s_cbranch_execnz .LBB191_402
.LBB191_382:                            ;   in Loop: Header=BB191_350 Depth=2
	s_or_b64 exec, exec, s[38:39]
	v_cmp_lt_u32_e64 s[38:39], v20, v74
	s_and_saveexec_b64 s[44:45], s[38:39]
	s_cbranch_execnz .LBB191_403
.LBB191_383:                            ;   in Loop: Header=BB191_350 Depth=2
	s_or_b64 exec, exec, s[44:45]
	v_cmp_lt_u32_e32 vcc, v21, v74
	s_and_saveexec_b64 s[44:45], vcc
	s_cbranch_execz .LBB191_385
.LBB191_384:                            ;   in Loop: Header=BB191_350 Depth=2
	ds_read_u8 v16, v0 offset:1792
	s_waitcnt lgkmcnt(0)
	v_lshrrev_b32_sdwa v17, s69, v16 dst_sel:DWORD dst_unused:UNUSED_PAD src0_sel:DWORD src1_sel:BYTE_0
	v_and_b32_e32 v17, s58, v17
	v_lshlrev_b32_e32 v17, 2, v17
	ds_read_b32 v17, v17
	s_waitcnt lgkmcnt(0)
	v_add_u32_e32 v17, v17, v21
	global_store_byte v17, v16, s[52:53]
.LBB191_385:                            ;   in Loop: Header=BB191_350 Depth=2
	s_or_b64 exec, exec, s[44:45]
	s_lshl_b64 s[44:45], s[56:57], 3
	v_mov_b32_e32 v17, s45
	v_add_co_u32_e64 v16, s[44:45], s44, v65
	v_addc_co_u32_e64 v17, s[44:45], v66, v17, s[44:45]
	v_cmp_lt_u32_e64 s[44:45], v47, v74
	s_and_saveexec_b64 s[54:55], s[44:45]
	s_xor_b64 s[44:45], exec, s[54:55]
	s_cbranch_execnz .LBB191_404
; %bb.386:                              ;   in Loop: Header=BB191_350 Depth=2
	s_or_b64 exec, exec, s[44:45]
	v_cmp_lt_u32_e64 s[44:45], v61, v74
	s_and_saveexec_b64 s[54:55], s[44:45]
	s_cbranch_execnz .LBB191_405
.LBB191_387:                            ;   in Loop: Header=BB191_350 Depth=2
	s_or_b64 exec, exec, s[54:55]
	v_cmp_lt_u32_e64 s[44:45], v62, v74
	s_and_saveexec_b64 s[54:55], s[44:45]
	s_cbranch_execnz .LBB191_406
.LBB191_388:                            ;   in Loop: Header=BB191_350 Depth=2
	s_or_b64 exec, exec, s[54:55]
	v_cmp_lt_u32_e64 s[44:45], v63, v74
	s_and_saveexec_b64 s[54:55], s[44:45]
	s_cbranch_execnz .LBB191_407
.LBB191_389:                            ;   in Loop: Header=BB191_350 Depth=2
	s_or_b64 exec, exec, s[54:55]
	s_and_saveexec_b64 s[44:45], s[42:43]
	s_cbranch_execnz .LBB191_408
.LBB191_390:                            ;   in Loop: Header=BB191_350 Depth=2
	s_or_b64 exec, exec, s[44:45]
	s_and_saveexec_b64 s[44:45], s[40:41]
	s_cbranch_execnz .LBB191_409
.LBB191_391:                            ;   in Loop: Header=BB191_350 Depth=2
	s_or_b64 exec, exec, s[44:45]
	s_and_saveexec_b64 s[44:45], s[38:39]
	s_cbranch_execnz .LBB191_410
.LBB191_392:                            ;   in Loop: Header=BB191_350 Depth=2
	s_or_b64 exec, exec, s[44:45]
	s_and_saveexec_b64 s[44:45], vcc
	s_cbranch_execz .LBB191_394
.LBB191_393:                            ;   in Loop: Header=BB191_350 Depth=2
	ds_read_u8 v16, v0 offset:1792
	s_waitcnt lgkmcnt(0)
	v_lshrrev_b32_e32 v16, s69, v16
	v_and_b32_e32 v69, s58, v16
.LBB191_394:                            ;   in Loop: Header=BB191_350 Depth=2
	s_or_b64 exec, exec, s[44:45]
	v_mad_u64_u32 v[15:16], s[44:45], v15, 7, v[15:16]
	s_waitcnt vmcnt(0)
	v_mad_u64_u32 v[74:75], s[44:45], v4, 7, v[4:5]
	v_mad_u64_u32 v[16:17], s[44:45], v14, 7, v[14:15]
	;; [unrolled: 1-line block ×3, first 2 shown]
	v_add_u32_e32 v4, v0, v51
	s_barrier
	ds_write_b64 v15, v[11:12] offset:1024
	ds_write_b64 v16, v[9:10] offset:1024
	;; [unrolled: 1-line block ×4, first 2 shown]
	s_waitcnt lgkmcnt(0)
	s_barrier
	s_and_saveexec_b64 s[44:45], s[42:43]
	s_cbranch_execnz .LBB191_411
; %bb.395:                              ;   in Loop: Header=BB191_350 Depth=2
	s_or_b64 exec, exec, s[44:45]
	s_and_saveexec_b64 s[42:43], s[40:41]
	s_cbranch_execnz .LBB191_412
.LBB191_396:                            ;   in Loop: Header=BB191_350 Depth=2
	s_or_b64 exec, exec, s[42:43]
	s_and_saveexec_b64 s[40:41], s[38:39]
	s_cbranch_execnz .LBB191_413
.LBB191_397:                            ;   in Loop: Header=BB191_350 Depth=2
	s_or_b64 exec, exec, s[40:41]
	s_and_saveexec_b64 s[38:39], vcc
	s_cbranch_execz .LBB191_399
.LBB191_398:                            ;   in Loop: Header=BB191_350 Depth=2
	v_lshlrev_b32_e32 v13, 2, v69
	ds_read_b32 v15, v13
	ds_read_b64 v[13:14], v4 offset:7168
	v_mov_b32_e32 v16, v3
	v_mov_b32_e32 v4, s67
	s_waitcnt lgkmcnt(1)
	v_add_u32_e32 v15, v15, v21
	v_lshlrev_b64 v[15:16], 3, v[15:16]
	v_add_co_u32_e32 v15, vcc, s66, v15
	v_addc_co_u32_e32 v16, vcc, v4, v16, vcc
	s_waitcnt lgkmcnt(0)
	global_store_dwordx2 v[15:16], v[13:14], off
.LBB191_399:                            ;   in Loop: Header=BB191_350 Depth=2
	s_or_b64 exec, exec, s[38:39]
	s_waitcnt vmcnt(0)
	s_barrier
	s_and_saveexec_b64 s[38:39], s[4:5]
	s_cbranch_execz .LBB191_349
; %bb.400:                              ;   in Loop: Header=BB191_350 Depth=2
	ds_read_b32 v4, v18
	s_waitcnt lgkmcnt(0)
	v_add_u32_e32 v4, v4, v80
	ds_write_b32 v18, v4
	s_branch .LBB191_349
.LBB191_401:                            ;   in Loop: Header=BB191_350 Depth=2
	ds_read_u8 v16, v0 offset:1024
	s_waitcnt lgkmcnt(0)
	v_lshrrev_b32_sdwa v17, s69, v16 dst_sel:DWORD dst_unused:UNUSED_PAD src0_sel:DWORD src1_sel:BYTE_0
	v_and_b32_e32 v17, s58, v17
	v_lshlrev_b32_e32 v17, 2, v17
	ds_read_b32 v17, v17
	s_waitcnt lgkmcnt(0)
	v_add_u32_e32 v17, v17, v0
	global_store_byte v17, v16, s[52:53]
	s_or_b64 exec, exec, s[38:39]
	v_cmp_lt_u32_e64 s[40:41], v19, v74
	s_and_saveexec_b64 s[38:39], s[40:41]
	s_cbranch_execz .LBB191_382
.LBB191_402:                            ;   in Loop: Header=BB191_350 Depth=2
	ds_read_u8 v16, v0 offset:1280
	s_waitcnt lgkmcnt(0)
	v_lshrrev_b32_sdwa v17, s69, v16 dst_sel:DWORD dst_unused:UNUSED_PAD src0_sel:DWORD src1_sel:BYTE_0
	v_and_b32_e32 v17, s58, v17
	v_lshlrev_b32_e32 v17, 2, v17
	ds_read_b32 v17, v17
	s_waitcnt lgkmcnt(0)
	v_add_u32_e32 v17, v17, v19
	global_store_byte v17, v16, s[52:53]
	s_or_b64 exec, exec, s[38:39]
	v_cmp_lt_u32_e64 s[38:39], v20, v74
	s_and_saveexec_b64 s[44:45], s[38:39]
	s_cbranch_execz .LBB191_383
.LBB191_403:                            ;   in Loop: Header=BB191_350 Depth=2
	ds_read_u8 v16, v0 offset:1536
	s_waitcnt lgkmcnt(0)
	v_lshrrev_b32_sdwa v17, s69, v16 dst_sel:DWORD dst_unused:UNUSED_PAD src0_sel:DWORD src1_sel:BYTE_0
	v_and_b32_e32 v17, s58, v17
	v_lshlrev_b32_e32 v17, 2, v17
	ds_read_b32 v17, v17
	s_waitcnt lgkmcnt(0)
	v_add_u32_e32 v17, v17, v20
	global_store_byte v17, v16, s[52:53]
	s_or_b64 exec, exec, s[44:45]
	v_cmp_lt_u32_e32 vcc, v21, v74
	s_and_saveexec_b64 s[44:45], vcc
	s_cbranch_execnz .LBB191_384
	s_branch .LBB191_385
.LBB191_404:                            ;   in Loop: Header=BB191_350 Depth=2
	global_load_dwordx2 v[11:12], v[16:17], off
	s_or_b64 exec, exec, s[44:45]
	v_cmp_lt_u32_e64 s[44:45], v61, v74
	s_and_saveexec_b64 s[54:55], s[44:45]
	s_cbranch_execz .LBB191_387
.LBB191_405:                            ;   in Loop: Header=BB191_350 Depth=2
	global_load_dwordx2 v[9:10], v[16:17], off offset:512
	s_or_b64 exec, exec, s[54:55]
	v_cmp_lt_u32_e64 s[44:45], v62, v74
	s_and_saveexec_b64 s[54:55], s[44:45]
	s_cbranch_execz .LBB191_388
.LBB191_406:                            ;   in Loop: Header=BB191_350 Depth=2
	global_load_dwordx2 v[7:8], v[16:17], off offset:1024
	s_or_b64 exec, exec, s[54:55]
	v_cmp_lt_u32_e64 s[44:45], v63, v74
	s_and_saveexec_b64 s[54:55], s[44:45]
	s_cbranch_execz .LBB191_389
.LBB191_407:                            ;   in Loop: Header=BB191_350 Depth=2
	global_load_dwordx2 v[5:6], v[16:17], off offset:1536
	s_or_b64 exec, exec, s[54:55]
	s_and_saveexec_b64 s[44:45], s[42:43]
	s_cbranch_execz .LBB191_390
.LBB191_408:                            ;   in Loop: Header=BB191_350 Depth=2
	ds_read_u8 v16, v0 offset:1024
	s_waitcnt lgkmcnt(0)
	v_lshrrev_b32_e32 v16, s69, v16
	v_and_b32_e32 v73, s58, v16
	s_or_b64 exec, exec, s[44:45]
	s_and_saveexec_b64 s[44:45], s[40:41]
	s_cbranch_execz .LBB191_391
.LBB191_409:                            ;   in Loop: Header=BB191_350 Depth=2
	ds_read_u8 v16, v0 offset:1280
	s_waitcnt lgkmcnt(0)
	v_lshrrev_b32_e32 v16, s69, v16
	v_and_b32_e32 v72, s58, v16
	s_or_b64 exec, exec, s[44:45]
	s_and_saveexec_b64 s[44:45], s[38:39]
	s_cbranch_execz .LBB191_392
.LBB191_410:                            ;   in Loop: Header=BB191_350 Depth=2
	ds_read_u8 v16, v0 offset:1536
	s_waitcnt lgkmcnt(0)
	v_lshrrev_b32_e32 v16, s69, v16
	v_and_b32_e32 v70, s58, v16
	s_or_b64 exec, exec, s[44:45]
	s_and_saveexec_b64 s[44:45], vcc
	s_cbranch_execnz .LBB191_393
	s_branch .LBB191_394
.LBB191_411:                            ;   in Loop: Header=BB191_350 Depth=2
	v_lshlrev_b32_e32 v13, 2, v73
	ds_read_b32 v15, v13
	ds_read_b64 v[13:14], v4 offset:1024
	v_mov_b32_e32 v16, v3
	v_mov_b32_e32 v17, s67
	s_waitcnt lgkmcnt(1)
	v_add_u32_e32 v15, v15, v0
	v_lshlrev_b64 v[15:16], 3, v[15:16]
	v_add_co_u32_e64 v15, s[42:43], s66, v15
	v_addc_co_u32_e64 v16, s[42:43], v17, v16, s[42:43]
	s_waitcnt lgkmcnt(0)
	global_store_dwordx2 v[15:16], v[13:14], off
	s_or_b64 exec, exec, s[44:45]
	s_and_saveexec_b64 s[42:43], s[40:41]
	s_cbranch_execz .LBB191_396
.LBB191_412:                            ;   in Loop: Header=BB191_350 Depth=2
	v_lshlrev_b32_e32 v13, 2, v72
	ds_read_b32 v15, v13
	ds_read_b64 v[13:14], v4 offset:3072
	v_mov_b32_e32 v16, v3
	v_mov_b32_e32 v17, s67
	s_waitcnt lgkmcnt(1)
	v_add_u32_e32 v15, v15, v19
	v_lshlrev_b64 v[15:16], 3, v[15:16]
	v_add_co_u32_e64 v15, s[40:41], s66, v15
	v_addc_co_u32_e64 v16, s[40:41], v17, v16, s[40:41]
	s_waitcnt lgkmcnt(0)
	global_store_dwordx2 v[15:16], v[13:14], off
	s_or_b64 exec, exec, s[42:43]
	s_and_saveexec_b64 s[40:41], s[38:39]
	s_cbranch_execz .LBB191_397
.LBB191_413:                            ;   in Loop: Header=BB191_350 Depth=2
	v_lshlrev_b32_e32 v13, 2, v70
	ds_read_b32 v15, v13
	ds_read_b64 v[13:14], v4 offset:5120
	v_mov_b32_e32 v16, v3
	v_mov_b32_e32 v17, s67
	s_waitcnt lgkmcnt(1)
	v_add_u32_e32 v15, v15, v20
	v_lshlrev_b64 v[15:16], 3, v[15:16]
	v_add_co_u32_e64 v15, s[38:39], s66, v15
	v_addc_co_u32_e64 v16, s[38:39], v17, v16, s[38:39]
	s_waitcnt lgkmcnt(0)
	global_store_dwordx2 v[15:16], v[13:14], off
	s_or_b64 exec, exec, s[40:41]
	s_and_saveexec_b64 s[38:39], vcc
	s_cbranch_execnz .LBB191_398
	s_branch .LBB191_399
.LBB191_414:
	s_endpgm
	.section	.rodata,"a",@progbits
	.p2align	6, 0x0
	.amdhsa_kernel _ZN7rocprim17ROCPRIM_400000_NS6detail17trampoline_kernelINS0_14default_configENS1_36segmented_radix_sort_config_selectorIhlEEZNS1_25segmented_radix_sort_implIS3_Lb0EPKhPhPKlPlN2at6native12_GLOBAL__N_18offset_tEEE10hipError_tPvRmT1_PNSt15iterator_traitsISK_E10value_typeET2_T3_PNSL_ISQ_E10value_typeET4_jRbjT5_SW_jjP12ihipStream_tbEUlT_E_NS1_11comp_targetILNS1_3genE2ELNS1_11target_archE906ELNS1_3gpuE6ELNS1_3repE0EEENS1_30default_config_static_selectorELNS0_4arch9wavefront6targetE1EEEvSK_
		.amdhsa_group_segment_fixed_size 9232
		.amdhsa_private_segment_fixed_size 0
		.amdhsa_kernarg_size 352
		.amdhsa_user_sgpr_count 6
		.amdhsa_user_sgpr_private_segment_buffer 1
		.amdhsa_user_sgpr_dispatch_ptr 0
		.amdhsa_user_sgpr_queue_ptr 0
		.amdhsa_user_sgpr_kernarg_segment_ptr 1
		.amdhsa_user_sgpr_dispatch_id 0
		.amdhsa_user_sgpr_flat_scratch_init 0
		.amdhsa_user_sgpr_private_segment_size 0
		.amdhsa_uses_dynamic_stack 0
		.amdhsa_system_sgpr_private_segment_wavefront_offset 0
		.amdhsa_system_sgpr_workgroup_id_x 1
		.amdhsa_system_sgpr_workgroup_id_y 1
		.amdhsa_system_sgpr_workgroup_id_z 0
		.amdhsa_system_sgpr_workgroup_info 0
		.amdhsa_system_vgpr_workitem_id 2
		.amdhsa_next_free_vgpr 97
		.amdhsa_next_free_sgpr 77
		.amdhsa_reserve_vcc 1
		.amdhsa_reserve_flat_scratch 0
		.amdhsa_float_round_mode_32 0
		.amdhsa_float_round_mode_16_64 0
		.amdhsa_float_denorm_mode_32 3
		.amdhsa_float_denorm_mode_16_64 3
		.amdhsa_dx10_clamp 1
		.amdhsa_ieee_mode 1
		.amdhsa_fp16_overflow 0
		.amdhsa_exception_fp_ieee_invalid_op 0
		.amdhsa_exception_fp_denorm_src 0
		.amdhsa_exception_fp_ieee_div_zero 0
		.amdhsa_exception_fp_ieee_overflow 0
		.amdhsa_exception_fp_ieee_underflow 0
		.amdhsa_exception_fp_ieee_inexact 0
		.amdhsa_exception_int_div_zero 0
	.end_amdhsa_kernel
	.section	.text._ZN7rocprim17ROCPRIM_400000_NS6detail17trampoline_kernelINS0_14default_configENS1_36segmented_radix_sort_config_selectorIhlEEZNS1_25segmented_radix_sort_implIS3_Lb0EPKhPhPKlPlN2at6native12_GLOBAL__N_18offset_tEEE10hipError_tPvRmT1_PNSt15iterator_traitsISK_E10value_typeET2_T3_PNSL_ISQ_E10value_typeET4_jRbjT5_SW_jjP12ihipStream_tbEUlT_E_NS1_11comp_targetILNS1_3genE2ELNS1_11target_archE906ELNS1_3gpuE6ELNS1_3repE0EEENS1_30default_config_static_selectorELNS0_4arch9wavefront6targetE1EEEvSK_,"axG",@progbits,_ZN7rocprim17ROCPRIM_400000_NS6detail17trampoline_kernelINS0_14default_configENS1_36segmented_radix_sort_config_selectorIhlEEZNS1_25segmented_radix_sort_implIS3_Lb0EPKhPhPKlPlN2at6native12_GLOBAL__N_18offset_tEEE10hipError_tPvRmT1_PNSt15iterator_traitsISK_E10value_typeET2_T3_PNSL_ISQ_E10value_typeET4_jRbjT5_SW_jjP12ihipStream_tbEUlT_E_NS1_11comp_targetILNS1_3genE2ELNS1_11target_archE906ELNS1_3gpuE6ELNS1_3repE0EEENS1_30default_config_static_selectorELNS0_4arch9wavefront6targetE1EEEvSK_,comdat
.Lfunc_end191:
	.size	_ZN7rocprim17ROCPRIM_400000_NS6detail17trampoline_kernelINS0_14default_configENS1_36segmented_radix_sort_config_selectorIhlEEZNS1_25segmented_radix_sort_implIS3_Lb0EPKhPhPKlPlN2at6native12_GLOBAL__N_18offset_tEEE10hipError_tPvRmT1_PNSt15iterator_traitsISK_E10value_typeET2_T3_PNSL_ISQ_E10value_typeET4_jRbjT5_SW_jjP12ihipStream_tbEUlT_E_NS1_11comp_targetILNS1_3genE2ELNS1_11target_archE906ELNS1_3gpuE6ELNS1_3repE0EEENS1_30default_config_static_selectorELNS0_4arch9wavefront6targetE1EEEvSK_, .Lfunc_end191-_ZN7rocprim17ROCPRIM_400000_NS6detail17trampoline_kernelINS0_14default_configENS1_36segmented_radix_sort_config_selectorIhlEEZNS1_25segmented_radix_sort_implIS3_Lb0EPKhPhPKlPlN2at6native12_GLOBAL__N_18offset_tEEE10hipError_tPvRmT1_PNSt15iterator_traitsISK_E10value_typeET2_T3_PNSL_ISQ_E10value_typeET4_jRbjT5_SW_jjP12ihipStream_tbEUlT_E_NS1_11comp_targetILNS1_3genE2ELNS1_11target_archE906ELNS1_3gpuE6ELNS1_3repE0EEENS1_30default_config_static_selectorELNS0_4arch9wavefront6targetE1EEEvSK_
                                        ; -- End function
	.set _ZN7rocprim17ROCPRIM_400000_NS6detail17trampoline_kernelINS0_14default_configENS1_36segmented_radix_sort_config_selectorIhlEEZNS1_25segmented_radix_sort_implIS3_Lb0EPKhPhPKlPlN2at6native12_GLOBAL__N_18offset_tEEE10hipError_tPvRmT1_PNSt15iterator_traitsISK_E10value_typeET2_T3_PNSL_ISQ_E10value_typeET4_jRbjT5_SW_jjP12ihipStream_tbEUlT_E_NS1_11comp_targetILNS1_3genE2ELNS1_11target_archE906ELNS1_3gpuE6ELNS1_3repE0EEENS1_30default_config_static_selectorELNS0_4arch9wavefront6targetE1EEEvSK_.num_vgpr, max(92, .L_ZN7rocprim17ROCPRIM_400000_NS6detail40segmented_radix_sort_single_block_helperIhlLj256ELj4ELb0EE4sortIPKhPhPKlPlEEbT_T0_T1_T2_jjjjRNS3_12storage_typeE.num_vgpr)
	.set _ZN7rocprim17ROCPRIM_400000_NS6detail17trampoline_kernelINS0_14default_configENS1_36segmented_radix_sort_config_selectorIhlEEZNS1_25segmented_radix_sort_implIS3_Lb0EPKhPhPKlPlN2at6native12_GLOBAL__N_18offset_tEEE10hipError_tPvRmT1_PNSt15iterator_traitsISK_E10value_typeET2_T3_PNSL_ISQ_E10value_typeET4_jRbjT5_SW_jjP12ihipStream_tbEUlT_E_NS1_11comp_targetILNS1_3genE2ELNS1_11target_archE906ELNS1_3gpuE6ELNS1_3repE0EEENS1_30default_config_static_selectorELNS0_4arch9wavefront6targetE1EEEvSK_.num_agpr, max(0, .L_ZN7rocprim17ROCPRIM_400000_NS6detail40segmented_radix_sort_single_block_helperIhlLj256ELj4ELb0EE4sortIPKhPhPKlPlEEbT_T0_T1_T2_jjjjRNS3_12storage_typeE.num_agpr)
	.set _ZN7rocprim17ROCPRIM_400000_NS6detail17trampoline_kernelINS0_14default_configENS1_36segmented_radix_sort_config_selectorIhlEEZNS1_25segmented_radix_sort_implIS3_Lb0EPKhPhPKlPlN2at6native12_GLOBAL__N_18offset_tEEE10hipError_tPvRmT1_PNSt15iterator_traitsISK_E10value_typeET2_T3_PNSL_ISQ_E10value_typeET4_jRbjT5_SW_jjP12ihipStream_tbEUlT_E_NS1_11comp_targetILNS1_3genE2ELNS1_11target_archE906ELNS1_3gpuE6ELNS1_3repE0EEENS1_30default_config_static_selectorELNS0_4arch9wavefront6targetE1EEEvSK_.numbered_sgpr, max(75, .L_ZN7rocprim17ROCPRIM_400000_NS6detail40segmented_radix_sort_single_block_helperIhlLj256ELj4ELb0EE4sortIPKhPhPKlPlEEbT_T0_T1_T2_jjjjRNS3_12storage_typeE.numbered_sgpr)
	.set _ZN7rocprim17ROCPRIM_400000_NS6detail17trampoline_kernelINS0_14default_configENS1_36segmented_radix_sort_config_selectorIhlEEZNS1_25segmented_radix_sort_implIS3_Lb0EPKhPhPKlPlN2at6native12_GLOBAL__N_18offset_tEEE10hipError_tPvRmT1_PNSt15iterator_traitsISK_E10value_typeET2_T3_PNSL_ISQ_E10value_typeET4_jRbjT5_SW_jjP12ihipStream_tbEUlT_E_NS1_11comp_targetILNS1_3genE2ELNS1_11target_archE906ELNS1_3gpuE6ELNS1_3repE0EEENS1_30default_config_static_selectorELNS0_4arch9wavefront6targetE1EEEvSK_.num_named_barrier, max(0, .L_ZN7rocprim17ROCPRIM_400000_NS6detail40segmented_radix_sort_single_block_helperIhlLj256ELj4ELb0EE4sortIPKhPhPKlPlEEbT_T0_T1_T2_jjjjRNS3_12storage_typeE.num_named_barrier)
	.set _ZN7rocprim17ROCPRIM_400000_NS6detail17trampoline_kernelINS0_14default_configENS1_36segmented_radix_sort_config_selectorIhlEEZNS1_25segmented_radix_sort_implIS3_Lb0EPKhPhPKlPlN2at6native12_GLOBAL__N_18offset_tEEE10hipError_tPvRmT1_PNSt15iterator_traitsISK_E10value_typeET2_T3_PNSL_ISQ_E10value_typeET4_jRbjT5_SW_jjP12ihipStream_tbEUlT_E_NS1_11comp_targetILNS1_3genE2ELNS1_11target_archE906ELNS1_3gpuE6ELNS1_3repE0EEENS1_30default_config_static_selectorELNS0_4arch9wavefront6targetE1EEEvSK_.private_seg_size, 0+max(.L_ZN7rocprim17ROCPRIM_400000_NS6detail40segmented_radix_sort_single_block_helperIhlLj256ELj4ELb0EE4sortIPKhPhPKlPlEEbT_T0_T1_T2_jjjjRNS3_12storage_typeE.private_seg_size)
	.set _ZN7rocprim17ROCPRIM_400000_NS6detail17trampoline_kernelINS0_14default_configENS1_36segmented_radix_sort_config_selectorIhlEEZNS1_25segmented_radix_sort_implIS3_Lb0EPKhPhPKlPlN2at6native12_GLOBAL__N_18offset_tEEE10hipError_tPvRmT1_PNSt15iterator_traitsISK_E10value_typeET2_T3_PNSL_ISQ_E10value_typeET4_jRbjT5_SW_jjP12ihipStream_tbEUlT_E_NS1_11comp_targetILNS1_3genE2ELNS1_11target_archE906ELNS1_3gpuE6ELNS1_3repE0EEENS1_30default_config_static_selectorELNS0_4arch9wavefront6targetE1EEEvSK_.uses_vcc, or(1, .L_ZN7rocprim17ROCPRIM_400000_NS6detail40segmented_radix_sort_single_block_helperIhlLj256ELj4ELb0EE4sortIPKhPhPKlPlEEbT_T0_T1_T2_jjjjRNS3_12storage_typeE.uses_vcc)
	.set _ZN7rocprim17ROCPRIM_400000_NS6detail17trampoline_kernelINS0_14default_configENS1_36segmented_radix_sort_config_selectorIhlEEZNS1_25segmented_radix_sort_implIS3_Lb0EPKhPhPKlPlN2at6native12_GLOBAL__N_18offset_tEEE10hipError_tPvRmT1_PNSt15iterator_traitsISK_E10value_typeET2_T3_PNSL_ISQ_E10value_typeET4_jRbjT5_SW_jjP12ihipStream_tbEUlT_E_NS1_11comp_targetILNS1_3genE2ELNS1_11target_archE906ELNS1_3gpuE6ELNS1_3repE0EEENS1_30default_config_static_selectorELNS0_4arch9wavefront6targetE1EEEvSK_.uses_flat_scratch, or(0, .L_ZN7rocprim17ROCPRIM_400000_NS6detail40segmented_radix_sort_single_block_helperIhlLj256ELj4ELb0EE4sortIPKhPhPKlPlEEbT_T0_T1_T2_jjjjRNS3_12storage_typeE.uses_flat_scratch)
	.set _ZN7rocprim17ROCPRIM_400000_NS6detail17trampoline_kernelINS0_14default_configENS1_36segmented_radix_sort_config_selectorIhlEEZNS1_25segmented_radix_sort_implIS3_Lb0EPKhPhPKlPlN2at6native12_GLOBAL__N_18offset_tEEE10hipError_tPvRmT1_PNSt15iterator_traitsISK_E10value_typeET2_T3_PNSL_ISQ_E10value_typeET4_jRbjT5_SW_jjP12ihipStream_tbEUlT_E_NS1_11comp_targetILNS1_3genE2ELNS1_11target_archE906ELNS1_3gpuE6ELNS1_3repE0EEENS1_30default_config_static_selectorELNS0_4arch9wavefront6targetE1EEEvSK_.has_dyn_sized_stack, or(0, .L_ZN7rocprim17ROCPRIM_400000_NS6detail40segmented_radix_sort_single_block_helperIhlLj256ELj4ELb0EE4sortIPKhPhPKlPlEEbT_T0_T1_T2_jjjjRNS3_12storage_typeE.has_dyn_sized_stack)
	.set _ZN7rocprim17ROCPRIM_400000_NS6detail17trampoline_kernelINS0_14default_configENS1_36segmented_radix_sort_config_selectorIhlEEZNS1_25segmented_radix_sort_implIS3_Lb0EPKhPhPKlPlN2at6native12_GLOBAL__N_18offset_tEEE10hipError_tPvRmT1_PNSt15iterator_traitsISK_E10value_typeET2_T3_PNSL_ISQ_E10value_typeET4_jRbjT5_SW_jjP12ihipStream_tbEUlT_E_NS1_11comp_targetILNS1_3genE2ELNS1_11target_archE906ELNS1_3gpuE6ELNS1_3repE0EEENS1_30default_config_static_selectorELNS0_4arch9wavefront6targetE1EEEvSK_.has_recursion, or(0, .L_ZN7rocprim17ROCPRIM_400000_NS6detail40segmented_radix_sort_single_block_helperIhlLj256ELj4ELb0EE4sortIPKhPhPKlPlEEbT_T0_T1_T2_jjjjRNS3_12storage_typeE.has_recursion)
	.set _ZN7rocprim17ROCPRIM_400000_NS6detail17trampoline_kernelINS0_14default_configENS1_36segmented_radix_sort_config_selectorIhlEEZNS1_25segmented_radix_sort_implIS3_Lb0EPKhPhPKlPlN2at6native12_GLOBAL__N_18offset_tEEE10hipError_tPvRmT1_PNSt15iterator_traitsISK_E10value_typeET2_T3_PNSL_ISQ_E10value_typeET4_jRbjT5_SW_jjP12ihipStream_tbEUlT_E_NS1_11comp_targetILNS1_3genE2ELNS1_11target_archE906ELNS1_3gpuE6ELNS1_3repE0EEENS1_30default_config_static_selectorELNS0_4arch9wavefront6targetE1EEEvSK_.has_indirect_call, or(0, .L_ZN7rocprim17ROCPRIM_400000_NS6detail40segmented_radix_sort_single_block_helperIhlLj256ELj4ELb0EE4sortIPKhPhPKlPlEEbT_T0_T1_T2_jjjjRNS3_12storage_typeE.has_indirect_call)
	.section	.AMDGPU.csdata,"",@progbits
; Kernel info:
; codeLenInByte = 20184
; TotalNumSgprs: 79
; NumVgprs: 97
; ScratchSize: 0
; MemoryBound: 0
; FloatMode: 240
; IeeeMode: 1
; LDSByteSize: 9232 bytes/workgroup (compile time only)
; SGPRBlocks: 10
; VGPRBlocks: 24
; NumSGPRsForWavesPerEU: 81
; NumVGPRsForWavesPerEU: 97
; Occupancy: 2
; WaveLimiterHint : 1
; COMPUTE_PGM_RSRC2:SCRATCH_EN: 0
; COMPUTE_PGM_RSRC2:USER_SGPR: 6
; COMPUTE_PGM_RSRC2:TRAP_HANDLER: 0
; COMPUTE_PGM_RSRC2:TGID_X_EN: 1
; COMPUTE_PGM_RSRC2:TGID_Y_EN: 1
; COMPUTE_PGM_RSRC2:TGID_Z_EN: 0
; COMPUTE_PGM_RSRC2:TIDIG_COMP_CNT: 2
	.section	.text._ZN7rocprim17ROCPRIM_400000_NS6detail17trampoline_kernelINS0_14default_configENS1_36segmented_radix_sort_config_selectorIhlEEZNS1_25segmented_radix_sort_implIS3_Lb0EPKhPhPKlPlN2at6native12_GLOBAL__N_18offset_tEEE10hipError_tPvRmT1_PNSt15iterator_traitsISK_E10value_typeET2_T3_PNSL_ISQ_E10value_typeET4_jRbjT5_SW_jjP12ihipStream_tbEUlT_E_NS1_11comp_targetILNS1_3genE10ELNS1_11target_archE1201ELNS1_3gpuE5ELNS1_3repE0EEENS1_30default_config_static_selectorELNS0_4arch9wavefront6targetE1EEEvSK_,"axG",@progbits,_ZN7rocprim17ROCPRIM_400000_NS6detail17trampoline_kernelINS0_14default_configENS1_36segmented_radix_sort_config_selectorIhlEEZNS1_25segmented_radix_sort_implIS3_Lb0EPKhPhPKlPlN2at6native12_GLOBAL__N_18offset_tEEE10hipError_tPvRmT1_PNSt15iterator_traitsISK_E10value_typeET2_T3_PNSL_ISQ_E10value_typeET4_jRbjT5_SW_jjP12ihipStream_tbEUlT_E_NS1_11comp_targetILNS1_3genE10ELNS1_11target_archE1201ELNS1_3gpuE5ELNS1_3repE0EEENS1_30default_config_static_selectorELNS0_4arch9wavefront6targetE1EEEvSK_,comdat
	.globl	_ZN7rocprim17ROCPRIM_400000_NS6detail17trampoline_kernelINS0_14default_configENS1_36segmented_radix_sort_config_selectorIhlEEZNS1_25segmented_radix_sort_implIS3_Lb0EPKhPhPKlPlN2at6native12_GLOBAL__N_18offset_tEEE10hipError_tPvRmT1_PNSt15iterator_traitsISK_E10value_typeET2_T3_PNSL_ISQ_E10value_typeET4_jRbjT5_SW_jjP12ihipStream_tbEUlT_E_NS1_11comp_targetILNS1_3genE10ELNS1_11target_archE1201ELNS1_3gpuE5ELNS1_3repE0EEENS1_30default_config_static_selectorELNS0_4arch9wavefront6targetE1EEEvSK_ ; -- Begin function _ZN7rocprim17ROCPRIM_400000_NS6detail17trampoline_kernelINS0_14default_configENS1_36segmented_radix_sort_config_selectorIhlEEZNS1_25segmented_radix_sort_implIS3_Lb0EPKhPhPKlPlN2at6native12_GLOBAL__N_18offset_tEEE10hipError_tPvRmT1_PNSt15iterator_traitsISK_E10value_typeET2_T3_PNSL_ISQ_E10value_typeET4_jRbjT5_SW_jjP12ihipStream_tbEUlT_E_NS1_11comp_targetILNS1_3genE10ELNS1_11target_archE1201ELNS1_3gpuE5ELNS1_3repE0EEENS1_30default_config_static_selectorELNS0_4arch9wavefront6targetE1EEEvSK_
	.p2align	8
	.type	_ZN7rocprim17ROCPRIM_400000_NS6detail17trampoline_kernelINS0_14default_configENS1_36segmented_radix_sort_config_selectorIhlEEZNS1_25segmented_radix_sort_implIS3_Lb0EPKhPhPKlPlN2at6native12_GLOBAL__N_18offset_tEEE10hipError_tPvRmT1_PNSt15iterator_traitsISK_E10value_typeET2_T3_PNSL_ISQ_E10value_typeET4_jRbjT5_SW_jjP12ihipStream_tbEUlT_E_NS1_11comp_targetILNS1_3genE10ELNS1_11target_archE1201ELNS1_3gpuE5ELNS1_3repE0EEENS1_30default_config_static_selectorELNS0_4arch9wavefront6targetE1EEEvSK_,@function
_ZN7rocprim17ROCPRIM_400000_NS6detail17trampoline_kernelINS0_14default_configENS1_36segmented_radix_sort_config_selectorIhlEEZNS1_25segmented_radix_sort_implIS3_Lb0EPKhPhPKlPlN2at6native12_GLOBAL__N_18offset_tEEE10hipError_tPvRmT1_PNSt15iterator_traitsISK_E10value_typeET2_T3_PNSL_ISQ_E10value_typeET4_jRbjT5_SW_jjP12ihipStream_tbEUlT_E_NS1_11comp_targetILNS1_3genE10ELNS1_11target_archE1201ELNS1_3gpuE5ELNS1_3repE0EEENS1_30default_config_static_selectorELNS0_4arch9wavefront6targetE1EEEvSK_: ; @_ZN7rocprim17ROCPRIM_400000_NS6detail17trampoline_kernelINS0_14default_configENS1_36segmented_radix_sort_config_selectorIhlEEZNS1_25segmented_radix_sort_implIS3_Lb0EPKhPhPKlPlN2at6native12_GLOBAL__N_18offset_tEEE10hipError_tPvRmT1_PNSt15iterator_traitsISK_E10value_typeET2_T3_PNSL_ISQ_E10value_typeET4_jRbjT5_SW_jjP12ihipStream_tbEUlT_E_NS1_11comp_targetILNS1_3genE10ELNS1_11target_archE1201ELNS1_3gpuE5ELNS1_3repE0EEENS1_30default_config_static_selectorELNS0_4arch9wavefront6targetE1EEEvSK_
; %bb.0:
	.section	.rodata,"a",@progbits
	.p2align	6, 0x0
	.amdhsa_kernel _ZN7rocprim17ROCPRIM_400000_NS6detail17trampoline_kernelINS0_14default_configENS1_36segmented_radix_sort_config_selectorIhlEEZNS1_25segmented_radix_sort_implIS3_Lb0EPKhPhPKlPlN2at6native12_GLOBAL__N_18offset_tEEE10hipError_tPvRmT1_PNSt15iterator_traitsISK_E10value_typeET2_T3_PNSL_ISQ_E10value_typeET4_jRbjT5_SW_jjP12ihipStream_tbEUlT_E_NS1_11comp_targetILNS1_3genE10ELNS1_11target_archE1201ELNS1_3gpuE5ELNS1_3repE0EEENS1_30default_config_static_selectorELNS0_4arch9wavefront6targetE1EEEvSK_
		.amdhsa_group_segment_fixed_size 0
		.amdhsa_private_segment_fixed_size 0
		.amdhsa_kernarg_size 96
		.amdhsa_user_sgpr_count 6
		.amdhsa_user_sgpr_private_segment_buffer 1
		.amdhsa_user_sgpr_dispatch_ptr 0
		.amdhsa_user_sgpr_queue_ptr 0
		.amdhsa_user_sgpr_kernarg_segment_ptr 1
		.amdhsa_user_sgpr_dispatch_id 0
		.amdhsa_user_sgpr_flat_scratch_init 0
		.amdhsa_user_sgpr_private_segment_size 0
		.amdhsa_uses_dynamic_stack 0
		.amdhsa_system_sgpr_private_segment_wavefront_offset 0
		.amdhsa_system_sgpr_workgroup_id_x 1
		.amdhsa_system_sgpr_workgroup_id_y 0
		.amdhsa_system_sgpr_workgroup_id_z 0
		.amdhsa_system_sgpr_workgroup_info 0
		.amdhsa_system_vgpr_workitem_id 0
		.amdhsa_next_free_vgpr 1
		.amdhsa_next_free_sgpr 0
		.amdhsa_reserve_vcc 0
		.amdhsa_reserve_flat_scratch 0
		.amdhsa_float_round_mode_32 0
		.amdhsa_float_round_mode_16_64 0
		.amdhsa_float_denorm_mode_32 3
		.amdhsa_float_denorm_mode_16_64 3
		.amdhsa_dx10_clamp 1
		.amdhsa_ieee_mode 1
		.amdhsa_fp16_overflow 0
		.amdhsa_exception_fp_ieee_invalid_op 0
		.amdhsa_exception_fp_denorm_src 0
		.amdhsa_exception_fp_ieee_div_zero 0
		.amdhsa_exception_fp_ieee_overflow 0
		.amdhsa_exception_fp_ieee_underflow 0
		.amdhsa_exception_fp_ieee_inexact 0
		.amdhsa_exception_int_div_zero 0
	.end_amdhsa_kernel
	.section	.text._ZN7rocprim17ROCPRIM_400000_NS6detail17trampoline_kernelINS0_14default_configENS1_36segmented_radix_sort_config_selectorIhlEEZNS1_25segmented_radix_sort_implIS3_Lb0EPKhPhPKlPlN2at6native12_GLOBAL__N_18offset_tEEE10hipError_tPvRmT1_PNSt15iterator_traitsISK_E10value_typeET2_T3_PNSL_ISQ_E10value_typeET4_jRbjT5_SW_jjP12ihipStream_tbEUlT_E_NS1_11comp_targetILNS1_3genE10ELNS1_11target_archE1201ELNS1_3gpuE5ELNS1_3repE0EEENS1_30default_config_static_selectorELNS0_4arch9wavefront6targetE1EEEvSK_,"axG",@progbits,_ZN7rocprim17ROCPRIM_400000_NS6detail17trampoline_kernelINS0_14default_configENS1_36segmented_radix_sort_config_selectorIhlEEZNS1_25segmented_radix_sort_implIS3_Lb0EPKhPhPKlPlN2at6native12_GLOBAL__N_18offset_tEEE10hipError_tPvRmT1_PNSt15iterator_traitsISK_E10value_typeET2_T3_PNSL_ISQ_E10value_typeET4_jRbjT5_SW_jjP12ihipStream_tbEUlT_E_NS1_11comp_targetILNS1_3genE10ELNS1_11target_archE1201ELNS1_3gpuE5ELNS1_3repE0EEENS1_30default_config_static_selectorELNS0_4arch9wavefront6targetE1EEEvSK_,comdat
.Lfunc_end192:
	.size	_ZN7rocprim17ROCPRIM_400000_NS6detail17trampoline_kernelINS0_14default_configENS1_36segmented_radix_sort_config_selectorIhlEEZNS1_25segmented_radix_sort_implIS3_Lb0EPKhPhPKlPlN2at6native12_GLOBAL__N_18offset_tEEE10hipError_tPvRmT1_PNSt15iterator_traitsISK_E10value_typeET2_T3_PNSL_ISQ_E10value_typeET4_jRbjT5_SW_jjP12ihipStream_tbEUlT_E_NS1_11comp_targetILNS1_3genE10ELNS1_11target_archE1201ELNS1_3gpuE5ELNS1_3repE0EEENS1_30default_config_static_selectorELNS0_4arch9wavefront6targetE1EEEvSK_, .Lfunc_end192-_ZN7rocprim17ROCPRIM_400000_NS6detail17trampoline_kernelINS0_14default_configENS1_36segmented_radix_sort_config_selectorIhlEEZNS1_25segmented_radix_sort_implIS3_Lb0EPKhPhPKlPlN2at6native12_GLOBAL__N_18offset_tEEE10hipError_tPvRmT1_PNSt15iterator_traitsISK_E10value_typeET2_T3_PNSL_ISQ_E10value_typeET4_jRbjT5_SW_jjP12ihipStream_tbEUlT_E_NS1_11comp_targetILNS1_3genE10ELNS1_11target_archE1201ELNS1_3gpuE5ELNS1_3repE0EEENS1_30default_config_static_selectorELNS0_4arch9wavefront6targetE1EEEvSK_
                                        ; -- End function
	.set _ZN7rocprim17ROCPRIM_400000_NS6detail17trampoline_kernelINS0_14default_configENS1_36segmented_radix_sort_config_selectorIhlEEZNS1_25segmented_radix_sort_implIS3_Lb0EPKhPhPKlPlN2at6native12_GLOBAL__N_18offset_tEEE10hipError_tPvRmT1_PNSt15iterator_traitsISK_E10value_typeET2_T3_PNSL_ISQ_E10value_typeET4_jRbjT5_SW_jjP12ihipStream_tbEUlT_E_NS1_11comp_targetILNS1_3genE10ELNS1_11target_archE1201ELNS1_3gpuE5ELNS1_3repE0EEENS1_30default_config_static_selectorELNS0_4arch9wavefront6targetE1EEEvSK_.num_vgpr, 0
	.set _ZN7rocprim17ROCPRIM_400000_NS6detail17trampoline_kernelINS0_14default_configENS1_36segmented_radix_sort_config_selectorIhlEEZNS1_25segmented_radix_sort_implIS3_Lb0EPKhPhPKlPlN2at6native12_GLOBAL__N_18offset_tEEE10hipError_tPvRmT1_PNSt15iterator_traitsISK_E10value_typeET2_T3_PNSL_ISQ_E10value_typeET4_jRbjT5_SW_jjP12ihipStream_tbEUlT_E_NS1_11comp_targetILNS1_3genE10ELNS1_11target_archE1201ELNS1_3gpuE5ELNS1_3repE0EEENS1_30default_config_static_selectorELNS0_4arch9wavefront6targetE1EEEvSK_.num_agpr, 0
	.set _ZN7rocprim17ROCPRIM_400000_NS6detail17trampoline_kernelINS0_14default_configENS1_36segmented_radix_sort_config_selectorIhlEEZNS1_25segmented_radix_sort_implIS3_Lb0EPKhPhPKlPlN2at6native12_GLOBAL__N_18offset_tEEE10hipError_tPvRmT1_PNSt15iterator_traitsISK_E10value_typeET2_T3_PNSL_ISQ_E10value_typeET4_jRbjT5_SW_jjP12ihipStream_tbEUlT_E_NS1_11comp_targetILNS1_3genE10ELNS1_11target_archE1201ELNS1_3gpuE5ELNS1_3repE0EEENS1_30default_config_static_selectorELNS0_4arch9wavefront6targetE1EEEvSK_.numbered_sgpr, 0
	.set _ZN7rocprim17ROCPRIM_400000_NS6detail17trampoline_kernelINS0_14default_configENS1_36segmented_radix_sort_config_selectorIhlEEZNS1_25segmented_radix_sort_implIS3_Lb0EPKhPhPKlPlN2at6native12_GLOBAL__N_18offset_tEEE10hipError_tPvRmT1_PNSt15iterator_traitsISK_E10value_typeET2_T3_PNSL_ISQ_E10value_typeET4_jRbjT5_SW_jjP12ihipStream_tbEUlT_E_NS1_11comp_targetILNS1_3genE10ELNS1_11target_archE1201ELNS1_3gpuE5ELNS1_3repE0EEENS1_30default_config_static_selectorELNS0_4arch9wavefront6targetE1EEEvSK_.num_named_barrier, 0
	.set _ZN7rocprim17ROCPRIM_400000_NS6detail17trampoline_kernelINS0_14default_configENS1_36segmented_radix_sort_config_selectorIhlEEZNS1_25segmented_radix_sort_implIS3_Lb0EPKhPhPKlPlN2at6native12_GLOBAL__N_18offset_tEEE10hipError_tPvRmT1_PNSt15iterator_traitsISK_E10value_typeET2_T3_PNSL_ISQ_E10value_typeET4_jRbjT5_SW_jjP12ihipStream_tbEUlT_E_NS1_11comp_targetILNS1_3genE10ELNS1_11target_archE1201ELNS1_3gpuE5ELNS1_3repE0EEENS1_30default_config_static_selectorELNS0_4arch9wavefront6targetE1EEEvSK_.private_seg_size, 0
	.set _ZN7rocprim17ROCPRIM_400000_NS6detail17trampoline_kernelINS0_14default_configENS1_36segmented_radix_sort_config_selectorIhlEEZNS1_25segmented_radix_sort_implIS3_Lb0EPKhPhPKlPlN2at6native12_GLOBAL__N_18offset_tEEE10hipError_tPvRmT1_PNSt15iterator_traitsISK_E10value_typeET2_T3_PNSL_ISQ_E10value_typeET4_jRbjT5_SW_jjP12ihipStream_tbEUlT_E_NS1_11comp_targetILNS1_3genE10ELNS1_11target_archE1201ELNS1_3gpuE5ELNS1_3repE0EEENS1_30default_config_static_selectorELNS0_4arch9wavefront6targetE1EEEvSK_.uses_vcc, 0
	.set _ZN7rocprim17ROCPRIM_400000_NS6detail17trampoline_kernelINS0_14default_configENS1_36segmented_radix_sort_config_selectorIhlEEZNS1_25segmented_radix_sort_implIS3_Lb0EPKhPhPKlPlN2at6native12_GLOBAL__N_18offset_tEEE10hipError_tPvRmT1_PNSt15iterator_traitsISK_E10value_typeET2_T3_PNSL_ISQ_E10value_typeET4_jRbjT5_SW_jjP12ihipStream_tbEUlT_E_NS1_11comp_targetILNS1_3genE10ELNS1_11target_archE1201ELNS1_3gpuE5ELNS1_3repE0EEENS1_30default_config_static_selectorELNS0_4arch9wavefront6targetE1EEEvSK_.uses_flat_scratch, 0
	.set _ZN7rocprim17ROCPRIM_400000_NS6detail17trampoline_kernelINS0_14default_configENS1_36segmented_radix_sort_config_selectorIhlEEZNS1_25segmented_radix_sort_implIS3_Lb0EPKhPhPKlPlN2at6native12_GLOBAL__N_18offset_tEEE10hipError_tPvRmT1_PNSt15iterator_traitsISK_E10value_typeET2_T3_PNSL_ISQ_E10value_typeET4_jRbjT5_SW_jjP12ihipStream_tbEUlT_E_NS1_11comp_targetILNS1_3genE10ELNS1_11target_archE1201ELNS1_3gpuE5ELNS1_3repE0EEENS1_30default_config_static_selectorELNS0_4arch9wavefront6targetE1EEEvSK_.has_dyn_sized_stack, 0
	.set _ZN7rocprim17ROCPRIM_400000_NS6detail17trampoline_kernelINS0_14default_configENS1_36segmented_radix_sort_config_selectorIhlEEZNS1_25segmented_radix_sort_implIS3_Lb0EPKhPhPKlPlN2at6native12_GLOBAL__N_18offset_tEEE10hipError_tPvRmT1_PNSt15iterator_traitsISK_E10value_typeET2_T3_PNSL_ISQ_E10value_typeET4_jRbjT5_SW_jjP12ihipStream_tbEUlT_E_NS1_11comp_targetILNS1_3genE10ELNS1_11target_archE1201ELNS1_3gpuE5ELNS1_3repE0EEENS1_30default_config_static_selectorELNS0_4arch9wavefront6targetE1EEEvSK_.has_recursion, 0
	.set _ZN7rocprim17ROCPRIM_400000_NS6detail17trampoline_kernelINS0_14default_configENS1_36segmented_radix_sort_config_selectorIhlEEZNS1_25segmented_radix_sort_implIS3_Lb0EPKhPhPKlPlN2at6native12_GLOBAL__N_18offset_tEEE10hipError_tPvRmT1_PNSt15iterator_traitsISK_E10value_typeET2_T3_PNSL_ISQ_E10value_typeET4_jRbjT5_SW_jjP12ihipStream_tbEUlT_E_NS1_11comp_targetILNS1_3genE10ELNS1_11target_archE1201ELNS1_3gpuE5ELNS1_3repE0EEENS1_30default_config_static_selectorELNS0_4arch9wavefront6targetE1EEEvSK_.has_indirect_call, 0
	.section	.AMDGPU.csdata,"",@progbits
; Kernel info:
; codeLenInByte = 0
; TotalNumSgprs: 4
; NumVgprs: 0
; ScratchSize: 0
; MemoryBound: 0
; FloatMode: 240
; IeeeMode: 1
; LDSByteSize: 0 bytes/workgroup (compile time only)
; SGPRBlocks: 0
; VGPRBlocks: 0
; NumSGPRsForWavesPerEU: 4
; NumVGPRsForWavesPerEU: 1
; Occupancy: 10
; WaveLimiterHint : 0
; COMPUTE_PGM_RSRC2:SCRATCH_EN: 0
; COMPUTE_PGM_RSRC2:USER_SGPR: 6
; COMPUTE_PGM_RSRC2:TRAP_HANDLER: 0
; COMPUTE_PGM_RSRC2:TGID_X_EN: 1
; COMPUTE_PGM_RSRC2:TGID_Y_EN: 0
; COMPUTE_PGM_RSRC2:TGID_Z_EN: 0
; COMPUTE_PGM_RSRC2:TIDIG_COMP_CNT: 0
	.section	.text._ZN7rocprim17ROCPRIM_400000_NS6detail17trampoline_kernelINS0_14default_configENS1_36segmented_radix_sort_config_selectorIhlEEZNS1_25segmented_radix_sort_implIS3_Lb0EPKhPhPKlPlN2at6native12_GLOBAL__N_18offset_tEEE10hipError_tPvRmT1_PNSt15iterator_traitsISK_E10value_typeET2_T3_PNSL_ISQ_E10value_typeET4_jRbjT5_SW_jjP12ihipStream_tbEUlT_E_NS1_11comp_targetILNS1_3genE10ELNS1_11target_archE1200ELNS1_3gpuE4ELNS1_3repE0EEENS1_30default_config_static_selectorELNS0_4arch9wavefront6targetE1EEEvSK_,"axG",@progbits,_ZN7rocprim17ROCPRIM_400000_NS6detail17trampoline_kernelINS0_14default_configENS1_36segmented_radix_sort_config_selectorIhlEEZNS1_25segmented_radix_sort_implIS3_Lb0EPKhPhPKlPlN2at6native12_GLOBAL__N_18offset_tEEE10hipError_tPvRmT1_PNSt15iterator_traitsISK_E10value_typeET2_T3_PNSL_ISQ_E10value_typeET4_jRbjT5_SW_jjP12ihipStream_tbEUlT_E_NS1_11comp_targetILNS1_3genE10ELNS1_11target_archE1200ELNS1_3gpuE4ELNS1_3repE0EEENS1_30default_config_static_selectorELNS0_4arch9wavefront6targetE1EEEvSK_,comdat
	.globl	_ZN7rocprim17ROCPRIM_400000_NS6detail17trampoline_kernelINS0_14default_configENS1_36segmented_radix_sort_config_selectorIhlEEZNS1_25segmented_radix_sort_implIS3_Lb0EPKhPhPKlPlN2at6native12_GLOBAL__N_18offset_tEEE10hipError_tPvRmT1_PNSt15iterator_traitsISK_E10value_typeET2_T3_PNSL_ISQ_E10value_typeET4_jRbjT5_SW_jjP12ihipStream_tbEUlT_E_NS1_11comp_targetILNS1_3genE10ELNS1_11target_archE1200ELNS1_3gpuE4ELNS1_3repE0EEENS1_30default_config_static_selectorELNS0_4arch9wavefront6targetE1EEEvSK_ ; -- Begin function _ZN7rocprim17ROCPRIM_400000_NS6detail17trampoline_kernelINS0_14default_configENS1_36segmented_radix_sort_config_selectorIhlEEZNS1_25segmented_radix_sort_implIS3_Lb0EPKhPhPKlPlN2at6native12_GLOBAL__N_18offset_tEEE10hipError_tPvRmT1_PNSt15iterator_traitsISK_E10value_typeET2_T3_PNSL_ISQ_E10value_typeET4_jRbjT5_SW_jjP12ihipStream_tbEUlT_E_NS1_11comp_targetILNS1_3genE10ELNS1_11target_archE1200ELNS1_3gpuE4ELNS1_3repE0EEENS1_30default_config_static_selectorELNS0_4arch9wavefront6targetE1EEEvSK_
	.p2align	8
	.type	_ZN7rocprim17ROCPRIM_400000_NS6detail17trampoline_kernelINS0_14default_configENS1_36segmented_radix_sort_config_selectorIhlEEZNS1_25segmented_radix_sort_implIS3_Lb0EPKhPhPKlPlN2at6native12_GLOBAL__N_18offset_tEEE10hipError_tPvRmT1_PNSt15iterator_traitsISK_E10value_typeET2_T3_PNSL_ISQ_E10value_typeET4_jRbjT5_SW_jjP12ihipStream_tbEUlT_E_NS1_11comp_targetILNS1_3genE10ELNS1_11target_archE1200ELNS1_3gpuE4ELNS1_3repE0EEENS1_30default_config_static_selectorELNS0_4arch9wavefront6targetE1EEEvSK_,@function
_ZN7rocprim17ROCPRIM_400000_NS6detail17trampoline_kernelINS0_14default_configENS1_36segmented_radix_sort_config_selectorIhlEEZNS1_25segmented_radix_sort_implIS3_Lb0EPKhPhPKlPlN2at6native12_GLOBAL__N_18offset_tEEE10hipError_tPvRmT1_PNSt15iterator_traitsISK_E10value_typeET2_T3_PNSL_ISQ_E10value_typeET4_jRbjT5_SW_jjP12ihipStream_tbEUlT_E_NS1_11comp_targetILNS1_3genE10ELNS1_11target_archE1200ELNS1_3gpuE4ELNS1_3repE0EEENS1_30default_config_static_selectorELNS0_4arch9wavefront6targetE1EEEvSK_: ; @_ZN7rocprim17ROCPRIM_400000_NS6detail17trampoline_kernelINS0_14default_configENS1_36segmented_radix_sort_config_selectorIhlEEZNS1_25segmented_radix_sort_implIS3_Lb0EPKhPhPKlPlN2at6native12_GLOBAL__N_18offset_tEEE10hipError_tPvRmT1_PNSt15iterator_traitsISK_E10value_typeET2_T3_PNSL_ISQ_E10value_typeET4_jRbjT5_SW_jjP12ihipStream_tbEUlT_E_NS1_11comp_targetILNS1_3genE10ELNS1_11target_archE1200ELNS1_3gpuE4ELNS1_3repE0EEENS1_30default_config_static_selectorELNS0_4arch9wavefront6targetE1EEEvSK_
; %bb.0:
	.section	.rodata,"a",@progbits
	.p2align	6, 0x0
	.amdhsa_kernel _ZN7rocprim17ROCPRIM_400000_NS6detail17trampoline_kernelINS0_14default_configENS1_36segmented_radix_sort_config_selectorIhlEEZNS1_25segmented_radix_sort_implIS3_Lb0EPKhPhPKlPlN2at6native12_GLOBAL__N_18offset_tEEE10hipError_tPvRmT1_PNSt15iterator_traitsISK_E10value_typeET2_T3_PNSL_ISQ_E10value_typeET4_jRbjT5_SW_jjP12ihipStream_tbEUlT_E_NS1_11comp_targetILNS1_3genE10ELNS1_11target_archE1200ELNS1_3gpuE4ELNS1_3repE0EEENS1_30default_config_static_selectorELNS0_4arch9wavefront6targetE1EEEvSK_
		.amdhsa_group_segment_fixed_size 0
		.amdhsa_private_segment_fixed_size 0
		.amdhsa_kernarg_size 96
		.amdhsa_user_sgpr_count 6
		.amdhsa_user_sgpr_private_segment_buffer 1
		.amdhsa_user_sgpr_dispatch_ptr 0
		.amdhsa_user_sgpr_queue_ptr 0
		.amdhsa_user_sgpr_kernarg_segment_ptr 1
		.amdhsa_user_sgpr_dispatch_id 0
		.amdhsa_user_sgpr_flat_scratch_init 0
		.amdhsa_user_sgpr_private_segment_size 0
		.amdhsa_uses_dynamic_stack 0
		.amdhsa_system_sgpr_private_segment_wavefront_offset 0
		.amdhsa_system_sgpr_workgroup_id_x 1
		.amdhsa_system_sgpr_workgroup_id_y 0
		.amdhsa_system_sgpr_workgroup_id_z 0
		.amdhsa_system_sgpr_workgroup_info 0
		.amdhsa_system_vgpr_workitem_id 0
		.amdhsa_next_free_vgpr 1
		.amdhsa_next_free_sgpr 0
		.amdhsa_reserve_vcc 0
		.amdhsa_reserve_flat_scratch 0
		.amdhsa_float_round_mode_32 0
		.amdhsa_float_round_mode_16_64 0
		.amdhsa_float_denorm_mode_32 3
		.amdhsa_float_denorm_mode_16_64 3
		.amdhsa_dx10_clamp 1
		.amdhsa_ieee_mode 1
		.amdhsa_fp16_overflow 0
		.amdhsa_exception_fp_ieee_invalid_op 0
		.amdhsa_exception_fp_denorm_src 0
		.amdhsa_exception_fp_ieee_div_zero 0
		.amdhsa_exception_fp_ieee_overflow 0
		.amdhsa_exception_fp_ieee_underflow 0
		.amdhsa_exception_fp_ieee_inexact 0
		.amdhsa_exception_int_div_zero 0
	.end_amdhsa_kernel
	.section	.text._ZN7rocprim17ROCPRIM_400000_NS6detail17trampoline_kernelINS0_14default_configENS1_36segmented_radix_sort_config_selectorIhlEEZNS1_25segmented_radix_sort_implIS3_Lb0EPKhPhPKlPlN2at6native12_GLOBAL__N_18offset_tEEE10hipError_tPvRmT1_PNSt15iterator_traitsISK_E10value_typeET2_T3_PNSL_ISQ_E10value_typeET4_jRbjT5_SW_jjP12ihipStream_tbEUlT_E_NS1_11comp_targetILNS1_3genE10ELNS1_11target_archE1200ELNS1_3gpuE4ELNS1_3repE0EEENS1_30default_config_static_selectorELNS0_4arch9wavefront6targetE1EEEvSK_,"axG",@progbits,_ZN7rocprim17ROCPRIM_400000_NS6detail17trampoline_kernelINS0_14default_configENS1_36segmented_radix_sort_config_selectorIhlEEZNS1_25segmented_radix_sort_implIS3_Lb0EPKhPhPKlPlN2at6native12_GLOBAL__N_18offset_tEEE10hipError_tPvRmT1_PNSt15iterator_traitsISK_E10value_typeET2_T3_PNSL_ISQ_E10value_typeET4_jRbjT5_SW_jjP12ihipStream_tbEUlT_E_NS1_11comp_targetILNS1_3genE10ELNS1_11target_archE1200ELNS1_3gpuE4ELNS1_3repE0EEENS1_30default_config_static_selectorELNS0_4arch9wavefront6targetE1EEEvSK_,comdat
.Lfunc_end193:
	.size	_ZN7rocprim17ROCPRIM_400000_NS6detail17trampoline_kernelINS0_14default_configENS1_36segmented_radix_sort_config_selectorIhlEEZNS1_25segmented_radix_sort_implIS3_Lb0EPKhPhPKlPlN2at6native12_GLOBAL__N_18offset_tEEE10hipError_tPvRmT1_PNSt15iterator_traitsISK_E10value_typeET2_T3_PNSL_ISQ_E10value_typeET4_jRbjT5_SW_jjP12ihipStream_tbEUlT_E_NS1_11comp_targetILNS1_3genE10ELNS1_11target_archE1200ELNS1_3gpuE4ELNS1_3repE0EEENS1_30default_config_static_selectorELNS0_4arch9wavefront6targetE1EEEvSK_, .Lfunc_end193-_ZN7rocprim17ROCPRIM_400000_NS6detail17trampoline_kernelINS0_14default_configENS1_36segmented_radix_sort_config_selectorIhlEEZNS1_25segmented_radix_sort_implIS3_Lb0EPKhPhPKlPlN2at6native12_GLOBAL__N_18offset_tEEE10hipError_tPvRmT1_PNSt15iterator_traitsISK_E10value_typeET2_T3_PNSL_ISQ_E10value_typeET4_jRbjT5_SW_jjP12ihipStream_tbEUlT_E_NS1_11comp_targetILNS1_3genE10ELNS1_11target_archE1200ELNS1_3gpuE4ELNS1_3repE0EEENS1_30default_config_static_selectorELNS0_4arch9wavefront6targetE1EEEvSK_
                                        ; -- End function
	.set _ZN7rocprim17ROCPRIM_400000_NS6detail17trampoline_kernelINS0_14default_configENS1_36segmented_radix_sort_config_selectorIhlEEZNS1_25segmented_radix_sort_implIS3_Lb0EPKhPhPKlPlN2at6native12_GLOBAL__N_18offset_tEEE10hipError_tPvRmT1_PNSt15iterator_traitsISK_E10value_typeET2_T3_PNSL_ISQ_E10value_typeET4_jRbjT5_SW_jjP12ihipStream_tbEUlT_E_NS1_11comp_targetILNS1_3genE10ELNS1_11target_archE1200ELNS1_3gpuE4ELNS1_3repE0EEENS1_30default_config_static_selectorELNS0_4arch9wavefront6targetE1EEEvSK_.num_vgpr, 0
	.set _ZN7rocprim17ROCPRIM_400000_NS6detail17trampoline_kernelINS0_14default_configENS1_36segmented_radix_sort_config_selectorIhlEEZNS1_25segmented_radix_sort_implIS3_Lb0EPKhPhPKlPlN2at6native12_GLOBAL__N_18offset_tEEE10hipError_tPvRmT1_PNSt15iterator_traitsISK_E10value_typeET2_T3_PNSL_ISQ_E10value_typeET4_jRbjT5_SW_jjP12ihipStream_tbEUlT_E_NS1_11comp_targetILNS1_3genE10ELNS1_11target_archE1200ELNS1_3gpuE4ELNS1_3repE0EEENS1_30default_config_static_selectorELNS0_4arch9wavefront6targetE1EEEvSK_.num_agpr, 0
	.set _ZN7rocprim17ROCPRIM_400000_NS6detail17trampoline_kernelINS0_14default_configENS1_36segmented_radix_sort_config_selectorIhlEEZNS1_25segmented_radix_sort_implIS3_Lb0EPKhPhPKlPlN2at6native12_GLOBAL__N_18offset_tEEE10hipError_tPvRmT1_PNSt15iterator_traitsISK_E10value_typeET2_T3_PNSL_ISQ_E10value_typeET4_jRbjT5_SW_jjP12ihipStream_tbEUlT_E_NS1_11comp_targetILNS1_3genE10ELNS1_11target_archE1200ELNS1_3gpuE4ELNS1_3repE0EEENS1_30default_config_static_selectorELNS0_4arch9wavefront6targetE1EEEvSK_.numbered_sgpr, 0
	.set _ZN7rocprim17ROCPRIM_400000_NS6detail17trampoline_kernelINS0_14default_configENS1_36segmented_radix_sort_config_selectorIhlEEZNS1_25segmented_radix_sort_implIS3_Lb0EPKhPhPKlPlN2at6native12_GLOBAL__N_18offset_tEEE10hipError_tPvRmT1_PNSt15iterator_traitsISK_E10value_typeET2_T3_PNSL_ISQ_E10value_typeET4_jRbjT5_SW_jjP12ihipStream_tbEUlT_E_NS1_11comp_targetILNS1_3genE10ELNS1_11target_archE1200ELNS1_3gpuE4ELNS1_3repE0EEENS1_30default_config_static_selectorELNS0_4arch9wavefront6targetE1EEEvSK_.num_named_barrier, 0
	.set _ZN7rocprim17ROCPRIM_400000_NS6detail17trampoline_kernelINS0_14default_configENS1_36segmented_radix_sort_config_selectorIhlEEZNS1_25segmented_radix_sort_implIS3_Lb0EPKhPhPKlPlN2at6native12_GLOBAL__N_18offset_tEEE10hipError_tPvRmT1_PNSt15iterator_traitsISK_E10value_typeET2_T3_PNSL_ISQ_E10value_typeET4_jRbjT5_SW_jjP12ihipStream_tbEUlT_E_NS1_11comp_targetILNS1_3genE10ELNS1_11target_archE1200ELNS1_3gpuE4ELNS1_3repE0EEENS1_30default_config_static_selectorELNS0_4arch9wavefront6targetE1EEEvSK_.private_seg_size, 0
	.set _ZN7rocprim17ROCPRIM_400000_NS6detail17trampoline_kernelINS0_14default_configENS1_36segmented_radix_sort_config_selectorIhlEEZNS1_25segmented_radix_sort_implIS3_Lb0EPKhPhPKlPlN2at6native12_GLOBAL__N_18offset_tEEE10hipError_tPvRmT1_PNSt15iterator_traitsISK_E10value_typeET2_T3_PNSL_ISQ_E10value_typeET4_jRbjT5_SW_jjP12ihipStream_tbEUlT_E_NS1_11comp_targetILNS1_3genE10ELNS1_11target_archE1200ELNS1_3gpuE4ELNS1_3repE0EEENS1_30default_config_static_selectorELNS0_4arch9wavefront6targetE1EEEvSK_.uses_vcc, 0
	.set _ZN7rocprim17ROCPRIM_400000_NS6detail17trampoline_kernelINS0_14default_configENS1_36segmented_radix_sort_config_selectorIhlEEZNS1_25segmented_radix_sort_implIS3_Lb0EPKhPhPKlPlN2at6native12_GLOBAL__N_18offset_tEEE10hipError_tPvRmT1_PNSt15iterator_traitsISK_E10value_typeET2_T3_PNSL_ISQ_E10value_typeET4_jRbjT5_SW_jjP12ihipStream_tbEUlT_E_NS1_11comp_targetILNS1_3genE10ELNS1_11target_archE1200ELNS1_3gpuE4ELNS1_3repE0EEENS1_30default_config_static_selectorELNS0_4arch9wavefront6targetE1EEEvSK_.uses_flat_scratch, 0
	.set _ZN7rocprim17ROCPRIM_400000_NS6detail17trampoline_kernelINS0_14default_configENS1_36segmented_radix_sort_config_selectorIhlEEZNS1_25segmented_radix_sort_implIS3_Lb0EPKhPhPKlPlN2at6native12_GLOBAL__N_18offset_tEEE10hipError_tPvRmT1_PNSt15iterator_traitsISK_E10value_typeET2_T3_PNSL_ISQ_E10value_typeET4_jRbjT5_SW_jjP12ihipStream_tbEUlT_E_NS1_11comp_targetILNS1_3genE10ELNS1_11target_archE1200ELNS1_3gpuE4ELNS1_3repE0EEENS1_30default_config_static_selectorELNS0_4arch9wavefront6targetE1EEEvSK_.has_dyn_sized_stack, 0
	.set _ZN7rocprim17ROCPRIM_400000_NS6detail17trampoline_kernelINS0_14default_configENS1_36segmented_radix_sort_config_selectorIhlEEZNS1_25segmented_radix_sort_implIS3_Lb0EPKhPhPKlPlN2at6native12_GLOBAL__N_18offset_tEEE10hipError_tPvRmT1_PNSt15iterator_traitsISK_E10value_typeET2_T3_PNSL_ISQ_E10value_typeET4_jRbjT5_SW_jjP12ihipStream_tbEUlT_E_NS1_11comp_targetILNS1_3genE10ELNS1_11target_archE1200ELNS1_3gpuE4ELNS1_3repE0EEENS1_30default_config_static_selectorELNS0_4arch9wavefront6targetE1EEEvSK_.has_recursion, 0
	.set _ZN7rocprim17ROCPRIM_400000_NS6detail17trampoline_kernelINS0_14default_configENS1_36segmented_radix_sort_config_selectorIhlEEZNS1_25segmented_radix_sort_implIS3_Lb0EPKhPhPKlPlN2at6native12_GLOBAL__N_18offset_tEEE10hipError_tPvRmT1_PNSt15iterator_traitsISK_E10value_typeET2_T3_PNSL_ISQ_E10value_typeET4_jRbjT5_SW_jjP12ihipStream_tbEUlT_E_NS1_11comp_targetILNS1_3genE10ELNS1_11target_archE1200ELNS1_3gpuE4ELNS1_3repE0EEENS1_30default_config_static_selectorELNS0_4arch9wavefront6targetE1EEEvSK_.has_indirect_call, 0
	.section	.AMDGPU.csdata,"",@progbits
; Kernel info:
; codeLenInByte = 0
; TotalNumSgprs: 4
; NumVgprs: 0
; ScratchSize: 0
; MemoryBound: 0
; FloatMode: 240
; IeeeMode: 1
; LDSByteSize: 0 bytes/workgroup (compile time only)
; SGPRBlocks: 0
; VGPRBlocks: 0
; NumSGPRsForWavesPerEU: 4
; NumVGPRsForWavesPerEU: 1
; Occupancy: 10
; WaveLimiterHint : 0
; COMPUTE_PGM_RSRC2:SCRATCH_EN: 0
; COMPUTE_PGM_RSRC2:USER_SGPR: 6
; COMPUTE_PGM_RSRC2:TRAP_HANDLER: 0
; COMPUTE_PGM_RSRC2:TGID_X_EN: 1
; COMPUTE_PGM_RSRC2:TGID_Y_EN: 0
; COMPUTE_PGM_RSRC2:TGID_Z_EN: 0
; COMPUTE_PGM_RSRC2:TIDIG_COMP_CNT: 0
	.section	.text._ZN7rocprim17ROCPRIM_400000_NS6detail17trampoline_kernelINS0_14default_configENS1_36segmented_radix_sort_config_selectorIhlEEZNS1_25segmented_radix_sort_implIS3_Lb0EPKhPhPKlPlN2at6native12_GLOBAL__N_18offset_tEEE10hipError_tPvRmT1_PNSt15iterator_traitsISK_E10value_typeET2_T3_PNSL_ISQ_E10value_typeET4_jRbjT5_SW_jjP12ihipStream_tbEUlT_E_NS1_11comp_targetILNS1_3genE9ELNS1_11target_archE1100ELNS1_3gpuE3ELNS1_3repE0EEENS1_30default_config_static_selectorELNS0_4arch9wavefront6targetE1EEEvSK_,"axG",@progbits,_ZN7rocprim17ROCPRIM_400000_NS6detail17trampoline_kernelINS0_14default_configENS1_36segmented_radix_sort_config_selectorIhlEEZNS1_25segmented_radix_sort_implIS3_Lb0EPKhPhPKlPlN2at6native12_GLOBAL__N_18offset_tEEE10hipError_tPvRmT1_PNSt15iterator_traitsISK_E10value_typeET2_T3_PNSL_ISQ_E10value_typeET4_jRbjT5_SW_jjP12ihipStream_tbEUlT_E_NS1_11comp_targetILNS1_3genE9ELNS1_11target_archE1100ELNS1_3gpuE3ELNS1_3repE0EEENS1_30default_config_static_selectorELNS0_4arch9wavefront6targetE1EEEvSK_,comdat
	.globl	_ZN7rocprim17ROCPRIM_400000_NS6detail17trampoline_kernelINS0_14default_configENS1_36segmented_radix_sort_config_selectorIhlEEZNS1_25segmented_radix_sort_implIS3_Lb0EPKhPhPKlPlN2at6native12_GLOBAL__N_18offset_tEEE10hipError_tPvRmT1_PNSt15iterator_traitsISK_E10value_typeET2_T3_PNSL_ISQ_E10value_typeET4_jRbjT5_SW_jjP12ihipStream_tbEUlT_E_NS1_11comp_targetILNS1_3genE9ELNS1_11target_archE1100ELNS1_3gpuE3ELNS1_3repE0EEENS1_30default_config_static_selectorELNS0_4arch9wavefront6targetE1EEEvSK_ ; -- Begin function _ZN7rocprim17ROCPRIM_400000_NS6detail17trampoline_kernelINS0_14default_configENS1_36segmented_radix_sort_config_selectorIhlEEZNS1_25segmented_radix_sort_implIS3_Lb0EPKhPhPKlPlN2at6native12_GLOBAL__N_18offset_tEEE10hipError_tPvRmT1_PNSt15iterator_traitsISK_E10value_typeET2_T3_PNSL_ISQ_E10value_typeET4_jRbjT5_SW_jjP12ihipStream_tbEUlT_E_NS1_11comp_targetILNS1_3genE9ELNS1_11target_archE1100ELNS1_3gpuE3ELNS1_3repE0EEENS1_30default_config_static_selectorELNS0_4arch9wavefront6targetE1EEEvSK_
	.p2align	8
	.type	_ZN7rocprim17ROCPRIM_400000_NS6detail17trampoline_kernelINS0_14default_configENS1_36segmented_radix_sort_config_selectorIhlEEZNS1_25segmented_radix_sort_implIS3_Lb0EPKhPhPKlPlN2at6native12_GLOBAL__N_18offset_tEEE10hipError_tPvRmT1_PNSt15iterator_traitsISK_E10value_typeET2_T3_PNSL_ISQ_E10value_typeET4_jRbjT5_SW_jjP12ihipStream_tbEUlT_E_NS1_11comp_targetILNS1_3genE9ELNS1_11target_archE1100ELNS1_3gpuE3ELNS1_3repE0EEENS1_30default_config_static_selectorELNS0_4arch9wavefront6targetE1EEEvSK_,@function
_ZN7rocprim17ROCPRIM_400000_NS6detail17trampoline_kernelINS0_14default_configENS1_36segmented_radix_sort_config_selectorIhlEEZNS1_25segmented_radix_sort_implIS3_Lb0EPKhPhPKlPlN2at6native12_GLOBAL__N_18offset_tEEE10hipError_tPvRmT1_PNSt15iterator_traitsISK_E10value_typeET2_T3_PNSL_ISQ_E10value_typeET4_jRbjT5_SW_jjP12ihipStream_tbEUlT_E_NS1_11comp_targetILNS1_3genE9ELNS1_11target_archE1100ELNS1_3gpuE3ELNS1_3repE0EEENS1_30default_config_static_selectorELNS0_4arch9wavefront6targetE1EEEvSK_: ; @_ZN7rocprim17ROCPRIM_400000_NS6detail17trampoline_kernelINS0_14default_configENS1_36segmented_radix_sort_config_selectorIhlEEZNS1_25segmented_radix_sort_implIS3_Lb0EPKhPhPKlPlN2at6native12_GLOBAL__N_18offset_tEEE10hipError_tPvRmT1_PNSt15iterator_traitsISK_E10value_typeET2_T3_PNSL_ISQ_E10value_typeET4_jRbjT5_SW_jjP12ihipStream_tbEUlT_E_NS1_11comp_targetILNS1_3genE9ELNS1_11target_archE1100ELNS1_3gpuE3ELNS1_3repE0EEENS1_30default_config_static_selectorELNS0_4arch9wavefront6targetE1EEEvSK_
; %bb.0:
	.section	.rodata,"a",@progbits
	.p2align	6, 0x0
	.amdhsa_kernel _ZN7rocprim17ROCPRIM_400000_NS6detail17trampoline_kernelINS0_14default_configENS1_36segmented_radix_sort_config_selectorIhlEEZNS1_25segmented_radix_sort_implIS3_Lb0EPKhPhPKlPlN2at6native12_GLOBAL__N_18offset_tEEE10hipError_tPvRmT1_PNSt15iterator_traitsISK_E10value_typeET2_T3_PNSL_ISQ_E10value_typeET4_jRbjT5_SW_jjP12ihipStream_tbEUlT_E_NS1_11comp_targetILNS1_3genE9ELNS1_11target_archE1100ELNS1_3gpuE3ELNS1_3repE0EEENS1_30default_config_static_selectorELNS0_4arch9wavefront6targetE1EEEvSK_
		.amdhsa_group_segment_fixed_size 0
		.amdhsa_private_segment_fixed_size 0
		.amdhsa_kernarg_size 96
		.amdhsa_user_sgpr_count 6
		.amdhsa_user_sgpr_private_segment_buffer 1
		.amdhsa_user_sgpr_dispatch_ptr 0
		.amdhsa_user_sgpr_queue_ptr 0
		.amdhsa_user_sgpr_kernarg_segment_ptr 1
		.amdhsa_user_sgpr_dispatch_id 0
		.amdhsa_user_sgpr_flat_scratch_init 0
		.amdhsa_user_sgpr_private_segment_size 0
		.amdhsa_uses_dynamic_stack 0
		.amdhsa_system_sgpr_private_segment_wavefront_offset 0
		.amdhsa_system_sgpr_workgroup_id_x 1
		.amdhsa_system_sgpr_workgroup_id_y 0
		.amdhsa_system_sgpr_workgroup_id_z 0
		.amdhsa_system_sgpr_workgroup_info 0
		.amdhsa_system_vgpr_workitem_id 0
		.amdhsa_next_free_vgpr 1
		.amdhsa_next_free_sgpr 0
		.amdhsa_reserve_vcc 0
		.amdhsa_reserve_flat_scratch 0
		.amdhsa_float_round_mode_32 0
		.amdhsa_float_round_mode_16_64 0
		.amdhsa_float_denorm_mode_32 3
		.amdhsa_float_denorm_mode_16_64 3
		.amdhsa_dx10_clamp 1
		.amdhsa_ieee_mode 1
		.amdhsa_fp16_overflow 0
		.amdhsa_exception_fp_ieee_invalid_op 0
		.amdhsa_exception_fp_denorm_src 0
		.amdhsa_exception_fp_ieee_div_zero 0
		.amdhsa_exception_fp_ieee_overflow 0
		.amdhsa_exception_fp_ieee_underflow 0
		.amdhsa_exception_fp_ieee_inexact 0
		.amdhsa_exception_int_div_zero 0
	.end_amdhsa_kernel
	.section	.text._ZN7rocprim17ROCPRIM_400000_NS6detail17trampoline_kernelINS0_14default_configENS1_36segmented_radix_sort_config_selectorIhlEEZNS1_25segmented_radix_sort_implIS3_Lb0EPKhPhPKlPlN2at6native12_GLOBAL__N_18offset_tEEE10hipError_tPvRmT1_PNSt15iterator_traitsISK_E10value_typeET2_T3_PNSL_ISQ_E10value_typeET4_jRbjT5_SW_jjP12ihipStream_tbEUlT_E_NS1_11comp_targetILNS1_3genE9ELNS1_11target_archE1100ELNS1_3gpuE3ELNS1_3repE0EEENS1_30default_config_static_selectorELNS0_4arch9wavefront6targetE1EEEvSK_,"axG",@progbits,_ZN7rocprim17ROCPRIM_400000_NS6detail17trampoline_kernelINS0_14default_configENS1_36segmented_radix_sort_config_selectorIhlEEZNS1_25segmented_radix_sort_implIS3_Lb0EPKhPhPKlPlN2at6native12_GLOBAL__N_18offset_tEEE10hipError_tPvRmT1_PNSt15iterator_traitsISK_E10value_typeET2_T3_PNSL_ISQ_E10value_typeET4_jRbjT5_SW_jjP12ihipStream_tbEUlT_E_NS1_11comp_targetILNS1_3genE9ELNS1_11target_archE1100ELNS1_3gpuE3ELNS1_3repE0EEENS1_30default_config_static_selectorELNS0_4arch9wavefront6targetE1EEEvSK_,comdat
.Lfunc_end194:
	.size	_ZN7rocprim17ROCPRIM_400000_NS6detail17trampoline_kernelINS0_14default_configENS1_36segmented_radix_sort_config_selectorIhlEEZNS1_25segmented_radix_sort_implIS3_Lb0EPKhPhPKlPlN2at6native12_GLOBAL__N_18offset_tEEE10hipError_tPvRmT1_PNSt15iterator_traitsISK_E10value_typeET2_T3_PNSL_ISQ_E10value_typeET4_jRbjT5_SW_jjP12ihipStream_tbEUlT_E_NS1_11comp_targetILNS1_3genE9ELNS1_11target_archE1100ELNS1_3gpuE3ELNS1_3repE0EEENS1_30default_config_static_selectorELNS0_4arch9wavefront6targetE1EEEvSK_, .Lfunc_end194-_ZN7rocprim17ROCPRIM_400000_NS6detail17trampoline_kernelINS0_14default_configENS1_36segmented_radix_sort_config_selectorIhlEEZNS1_25segmented_radix_sort_implIS3_Lb0EPKhPhPKlPlN2at6native12_GLOBAL__N_18offset_tEEE10hipError_tPvRmT1_PNSt15iterator_traitsISK_E10value_typeET2_T3_PNSL_ISQ_E10value_typeET4_jRbjT5_SW_jjP12ihipStream_tbEUlT_E_NS1_11comp_targetILNS1_3genE9ELNS1_11target_archE1100ELNS1_3gpuE3ELNS1_3repE0EEENS1_30default_config_static_selectorELNS0_4arch9wavefront6targetE1EEEvSK_
                                        ; -- End function
	.set _ZN7rocprim17ROCPRIM_400000_NS6detail17trampoline_kernelINS0_14default_configENS1_36segmented_radix_sort_config_selectorIhlEEZNS1_25segmented_radix_sort_implIS3_Lb0EPKhPhPKlPlN2at6native12_GLOBAL__N_18offset_tEEE10hipError_tPvRmT1_PNSt15iterator_traitsISK_E10value_typeET2_T3_PNSL_ISQ_E10value_typeET4_jRbjT5_SW_jjP12ihipStream_tbEUlT_E_NS1_11comp_targetILNS1_3genE9ELNS1_11target_archE1100ELNS1_3gpuE3ELNS1_3repE0EEENS1_30default_config_static_selectorELNS0_4arch9wavefront6targetE1EEEvSK_.num_vgpr, 0
	.set _ZN7rocprim17ROCPRIM_400000_NS6detail17trampoline_kernelINS0_14default_configENS1_36segmented_radix_sort_config_selectorIhlEEZNS1_25segmented_radix_sort_implIS3_Lb0EPKhPhPKlPlN2at6native12_GLOBAL__N_18offset_tEEE10hipError_tPvRmT1_PNSt15iterator_traitsISK_E10value_typeET2_T3_PNSL_ISQ_E10value_typeET4_jRbjT5_SW_jjP12ihipStream_tbEUlT_E_NS1_11comp_targetILNS1_3genE9ELNS1_11target_archE1100ELNS1_3gpuE3ELNS1_3repE0EEENS1_30default_config_static_selectorELNS0_4arch9wavefront6targetE1EEEvSK_.num_agpr, 0
	.set _ZN7rocprim17ROCPRIM_400000_NS6detail17trampoline_kernelINS0_14default_configENS1_36segmented_radix_sort_config_selectorIhlEEZNS1_25segmented_radix_sort_implIS3_Lb0EPKhPhPKlPlN2at6native12_GLOBAL__N_18offset_tEEE10hipError_tPvRmT1_PNSt15iterator_traitsISK_E10value_typeET2_T3_PNSL_ISQ_E10value_typeET4_jRbjT5_SW_jjP12ihipStream_tbEUlT_E_NS1_11comp_targetILNS1_3genE9ELNS1_11target_archE1100ELNS1_3gpuE3ELNS1_3repE0EEENS1_30default_config_static_selectorELNS0_4arch9wavefront6targetE1EEEvSK_.numbered_sgpr, 0
	.set _ZN7rocprim17ROCPRIM_400000_NS6detail17trampoline_kernelINS0_14default_configENS1_36segmented_radix_sort_config_selectorIhlEEZNS1_25segmented_radix_sort_implIS3_Lb0EPKhPhPKlPlN2at6native12_GLOBAL__N_18offset_tEEE10hipError_tPvRmT1_PNSt15iterator_traitsISK_E10value_typeET2_T3_PNSL_ISQ_E10value_typeET4_jRbjT5_SW_jjP12ihipStream_tbEUlT_E_NS1_11comp_targetILNS1_3genE9ELNS1_11target_archE1100ELNS1_3gpuE3ELNS1_3repE0EEENS1_30default_config_static_selectorELNS0_4arch9wavefront6targetE1EEEvSK_.num_named_barrier, 0
	.set _ZN7rocprim17ROCPRIM_400000_NS6detail17trampoline_kernelINS0_14default_configENS1_36segmented_radix_sort_config_selectorIhlEEZNS1_25segmented_radix_sort_implIS3_Lb0EPKhPhPKlPlN2at6native12_GLOBAL__N_18offset_tEEE10hipError_tPvRmT1_PNSt15iterator_traitsISK_E10value_typeET2_T3_PNSL_ISQ_E10value_typeET4_jRbjT5_SW_jjP12ihipStream_tbEUlT_E_NS1_11comp_targetILNS1_3genE9ELNS1_11target_archE1100ELNS1_3gpuE3ELNS1_3repE0EEENS1_30default_config_static_selectorELNS0_4arch9wavefront6targetE1EEEvSK_.private_seg_size, 0
	.set _ZN7rocprim17ROCPRIM_400000_NS6detail17trampoline_kernelINS0_14default_configENS1_36segmented_radix_sort_config_selectorIhlEEZNS1_25segmented_radix_sort_implIS3_Lb0EPKhPhPKlPlN2at6native12_GLOBAL__N_18offset_tEEE10hipError_tPvRmT1_PNSt15iterator_traitsISK_E10value_typeET2_T3_PNSL_ISQ_E10value_typeET4_jRbjT5_SW_jjP12ihipStream_tbEUlT_E_NS1_11comp_targetILNS1_3genE9ELNS1_11target_archE1100ELNS1_3gpuE3ELNS1_3repE0EEENS1_30default_config_static_selectorELNS0_4arch9wavefront6targetE1EEEvSK_.uses_vcc, 0
	.set _ZN7rocprim17ROCPRIM_400000_NS6detail17trampoline_kernelINS0_14default_configENS1_36segmented_radix_sort_config_selectorIhlEEZNS1_25segmented_radix_sort_implIS3_Lb0EPKhPhPKlPlN2at6native12_GLOBAL__N_18offset_tEEE10hipError_tPvRmT1_PNSt15iterator_traitsISK_E10value_typeET2_T3_PNSL_ISQ_E10value_typeET4_jRbjT5_SW_jjP12ihipStream_tbEUlT_E_NS1_11comp_targetILNS1_3genE9ELNS1_11target_archE1100ELNS1_3gpuE3ELNS1_3repE0EEENS1_30default_config_static_selectorELNS0_4arch9wavefront6targetE1EEEvSK_.uses_flat_scratch, 0
	.set _ZN7rocprim17ROCPRIM_400000_NS6detail17trampoline_kernelINS0_14default_configENS1_36segmented_radix_sort_config_selectorIhlEEZNS1_25segmented_radix_sort_implIS3_Lb0EPKhPhPKlPlN2at6native12_GLOBAL__N_18offset_tEEE10hipError_tPvRmT1_PNSt15iterator_traitsISK_E10value_typeET2_T3_PNSL_ISQ_E10value_typeET4_jRbjT5_SW_jjP12ihipStream_tbEUlT_E_NS1_11comp_targetILNS1_3genE9ELNS1_11target_archE1100ELNS1_3gpuE3ELNS1_3repE0EEENS1_30default_config_static_selectorELNS0_4arch9wavefront6targetE1EEEvSK_.has_dyn_sized_stack, 0
	.set _ZN7rocprim17ROCPRIM_400000_NS6detail17trampoline_kernelINS0_14default_configENS1_36segmented_radix_sort_config_selectorIhlEEZNS1_25segmented_radix_sort_implIS3_Lb0EPKhPhPKlPlN2at6native12_GLOBAL__N_18offset_tEEE10hipError_tPvRmT1_PNSt15iterator_traitsISK_E10value_typeET2_T3_PNSL_ISQ_E10value_typeET4_jRbjT5_SW_jjP12ihipStream_tbEUlT_E_NS1_11comp_targetILNS1_3genE9ELNS1_11target_archE1100ELNS1_3gpuE3ELNS1_3repE0EEENS1_30default_config_static_selectorELNS0_4arch9wavefront6targetE1EEEvSK_.has_recursion, 0
	.set _ZN7rocprim17ROCPRIM_400000_NS6detail17trampoline_kernelINS0_14default_configENS1_36segmented_radix_sort_config_selectorIhlEEZNS1_25segmented_radix_sort_implIS3_Lb0EPKhPhPKlPlN2at6native12_GLOBAL__N_18offset_tEEE10hipError_tPvRmT1_PNSt15iterator_traitsISK_E10value_typeET2_T3_PNSL_ISQ_E10value_typeET4_jRbjT5_SW_jjP12ihipStream_tbEUlT_E_NS1_11comp_targetILNS1_3genE9ELNS1_11target_archE1100ELNS1_3gpuE3ELNS1_3repE0EEENS1_30default_config_static_selectorELNS0_4arch9wavefront6targetE1EEEvSK_.has_indirect_call, 0
	.section	.AMDGPU.csdata,"",@progbits
; Kernel info:
; codeLenInByte = 0
; TotalNumSgprs: 4
; NumVgprs: 0
; ScratchSize: 0
; MemoryBound: 0
; FloatMode: 240
; IeeeMode: 1
; LDSByteSize: 0 bytes/workgroup (compile time only)
; SGPRBlocks: 0
; VGPRBlocks: 0
; NumSGPRsForWavesPerEU: 4
; NumVGPRsForWavesPerEU: 1
; Occupancy: 10
; WaveLimiterHint : 0
; COMPUTE_PGM_RSRC2:SCRATCH_EN: 0
; COMPUTE_PGM_RSRC2:USER_SGPR: 6
; COMPUTE_PGM_RSRC2:TRAP_HANDLER: 0
; COMPUTE_PGM_RSRC2:TGID_X_EN: 1
; COMPUTE_PGM_RSRC2:TGID_Y_EN: 0
; COMPUTE_PGM_RSRC2:TGID_Z_EN: 0
; COMPUTE_PGM_RSRC2:TIDIG_COMP_CNT: 0
	.section	.text._ZN7rocprim17ROCPRIM_400000_NS6detail17trampoline_kernelINS0_14default_configENS1_36segmented_radix_sort_config_selectorIhlEEZNS1_25segmented_radix_sort_implIS3_Lb0EPKhPhPKlPlN2at6native12_GLOBAL__N_18offset_tEEE10hipError_tPvRmT1_PNSt15iterator_traitsISK_E10value_typeET2_T3_PNSL_ISQ_E10value_typeET4_jRbjT5_SW_jjP12ihipStream_tbEUlT_E_NS1_11comp_targetILNS1_3genE8ELNS1_11target_archE1030ELNS1_3gpuE2ELNS1_3repE0EEENS1_30default_config_static_selectorELNS0_4arch9wavefront6targetE1EEEvSK_,"axG",@progbits,_ZN7rocprim17ROCPRIM_400000_NS6detail17trampoline_kernelINS0_14default_configENS1_36segmented_radix_sort_config_selectorIhlEEZNS1_25segmented_radix_sort_implIS3_Lb0EPKhPhPKlPlN2at6native12_GLOBAL__N_18offset_tEEE10hipError_tPvRmT1_PNSt15iterator_traitsISK_E10value_typeET2_T3_PNSL_ISQ_E10value_typeET4_jRbjT5_SW_jjP12ihipStream_tbEUlT_E_NS1_11comp_targetILNS1_3genE8ELNS1_11target_archE1030ELNS1_3gpuE2ELNS1_3repE0EEENS1_30default_config_static_selectorELNS0_4arch9wavefront6targetE1EEEvSK_,comdat
	.globl	_ZN7rocprim17ROCPRIM_400000_NS6detail17trampoline_kernelINS0_14default_configENS1_36segmented_radix_sort_config_selectorIhlEEZNS1_25segmented_radix_sort_implIS3_Lb0EPKhPhPKlPlN2at6native12_GLOBAL__N_18offset_tEEE10hipError_tPvRmT1_PNSt15iterator_traitsISK_E10value_typeET2_T3_PNSL_ISQ_E10value_typeET4_jRbjT5_SW_jjP12ihipStream_tbEUlT_E_NS1_11comp_targetILNS1_3genE8ELNS1_11target_archE1030ELNS1_3gpuE2ELNS1_3repE0EEENS1_30default_config_static_selectorELNS0_4arch9wavefront6targetE1EEEvSK_ ; -- Begin function _ZN7rocprim17ROCPRIM_400000_NS6detail17trampoline_kernelINS0_14default_configENS1_36segmented_radix_sort_config_selectorIhlEEZNS1_25segmented_radix_sort_implIS3_Lb0EPKhPhPKlPlN2at6native12_GLOBAL__N_18offset_tEEE10hipError_tPvRmT1_PNSt15iterator_traitsISK_E10value_typeET2_T3_PNSL_ISQ_E10value_typeET4_jRbjT5_SW_jjP12ihipStream_tbEUlT_E_NS1_11comp_targetILNS1_3genE8ELNS1_11target_archE1030ELNS1_3gpuE2ELNS1_3repE0EEENS1_30default_config_static_selectorELNS0_4arch9wavefront6targetE1EEEvSK_
	.p2align	8
	.type	_ZN7rocprim17ROCPRIM_400000_NS6detail17trampoline_kernelINS0_14default_configENS1_36segmented_radix_sort_config_selectorIhlEEZNS1_25segmented_radix_sort_implIS3_Lb0EPKhPhPKlPlN2at6native12_GLOBAL__N_18offset_tEEE10hipError_tPvRmT1_PNSt15iterator_traitsISK_E10value_typeET2_T3_PNSL_ISQ_E10value_typeET4_jRbjT5_SW_jjP12ihipStream_tbEUlT_E_NS1_11comp_targetILNS1_3genE8ELNS1_11target_archE1030ELNS1_3gpuE2ELNS1_3repE0EEENS1_30default_config_static_selectorELNS0_4arch9wavefront6targetE1EEEvSK_,@function
_ZN7rocprim17ROCPRIM_400000_NS6detail17trampoline_kernelINS0_14default_configENS1_36segmented_radix_sort_config_selectorIhlEEZNS1_25segmented_radix_sort_implIS3_Lb0EPKhPhPKlPlN2at6native12_GLOBAL__N_18offset_tEEE10hipError_tPvRmT1_PNSt15iterator_traitsISK_E10value_typeET2_T3_PNSL_ISQ_E10value_typeET4_jRbjT5_SW_jjP12ihipStream_tbEUlT_E_NS1_11comp_targetILNS1_3genE8ELNS1_11target_archE1030ELNS1_3gpuE2ELNS1_3repE0EEENS1_30default_config_static_selectorELNS0_4arch9wavefront6targetE1EEEvSK_: ; @_ZN7rocprim17ROCPRIM_400000_NS6detail17trampoline_kernelINS0_14default_configENS1_36segmented_radix_sort_config_selectorIhlEEZNS1_25segmented_radix_sort_implIS3_Lb0EPKhPhPKlPlN2at6native12_GLOBAL__N_18offset_tEEE10hipError_tPvRmT1_PNSt15iterator_traitsISK_E10value_typeET2_T3_PNSL_ISQ_E10value_typeET4_jRbjT5_SW_jjP12ihipStream_tbEUlT_E_NS1_11comp_targetILNS1_3genE8ELNS1_11target_archE1030ELNS1_3gpuE2ELNS1_3repE0EEENS1_30default_config_static_selectorELNS0_4arch9wavefront6targetE1EEEvSK_
; %bb.0:
	.section	.rodata,"a",@progbits
	.p2align	6, 0x0
	.amdhsa_kernel _ZN7rocprim17ROCPRIM_400000_NS6detail17trampoline_kernelINS0_14default_configENS1_36segmented_radix_sort_config_selectorIhlEEZNS1_25segmented_radix_sort_implIS3_Lb0EPKhPhPKlPlN2at6native12_GLOBAL__N_18offset_tEEE10hipError_tPvRmT1_PNSt15iterator_traitsISK_E10value_typeET2_T3_PNSL_ISQ_E10value_typeET4_jRbjT5_SW_jjP12ihipStream_tbEUlT_E_NS1_11comp_targetILNS1_3genE8ELNS1_11target_archE1030ELNS1_3gpuE2ELNS1_3repE0EEENS1_30default_config_static_selectorELNS0_4arch9wavefront6targetE1EEEvSK_
		.amdhsa_group_segment_fixed_size 0
		.amdhsa_private_segment_fixed_size 0
		.amdhsa_kernarg_size 96
		.amdhsa_user_sgpr_count 6
		.amdhsa_user_sgpr_private_segment_buffer 1
		.amdhsa_user_sgpr_dispatch_ptr 0
		.amdhsa_user_sgpr_queue_ptr 0
		.amdhsa_user_sgpr_kernarg_segment_ptr 1
		.amdhsa_user_sgpr_dispatch_id 0
		.amdhsa_user_sgpr_flat_scratch_init 0
		.amdhsa_user_sgpr_private_segment_size 0
		.amdhsa_uses_dynamic_stack 0
		.amdhsa_system_sgpr_private_segment_wavefront_offset 0
		.amdhsa_system_sgpr_workgroup_id_x 1
		.amdhsa_system_sgpr_workgroup_id_y 0
		.amdhsa_system_sgpr_workgroup_id_z 0
		.amdhsa_system_sgpr_workgroup_info 0
		.amdhsa_system_vgpr_workitem_id 0
		.amdhsa_next_free_vgpr 1
		.amdhsa_next_free_sgpr 0
		.amdhsa_reserve_vcc 0
		.amdhsa_reserve_flat_scratch 0
		.amdhsa_float_round_mode_32 0
		.amdhsa_float_round_mode_16_64 0
		.amdhsa_float_denorm_mode_32 3
		.amdhsa_float_denorm_mode_16_64 3
		.amdhsa_dx10_clamp 1
		.amdhsa_ieee_mode 1
		.amdhsa_fp16_overflow 0
		.amdhsa_exception_fp_ieee_invalid_op 0
		.amdhsa_exception_fp_denorm_src 0
		.amdhsa_exception_fp_ieee_div_zero 0
		.amdhsa_exception_fp_ieee_overflow 0
		.amdhsa_exception_fp_ieee_underflow 0
		.amdhsa_exception_fp_ieee_inexact 0
		.amdhsa_exception_int_div_zero 0
	.end_amdhsa_kernel
	.section	.text._ZN7rocprim17ROCPRIM_400000_NS6detail17trampoline_kernelINS0_14default_configENS1_36segmented_radix_sort_config_selectorIhlEEZNS1_25segmented_radix_sort_implIS3_Lb0EPKhPhPKlPlN2at6native12_GLOBAL__N_18offset_tEEE10hipError_tPvRmT1_PNSt15iterator_traitsISK_E10value_typeET2_T3_PNSL_ISQ_E10value_typeET4_jRbjT5_SW_jjP12ihipStream_tbEUlT_E_NS1_11comp_targetILNS1_3genE8ELNS1_11target_archE1030ELNS1_3gpuE2ELNS1_3repE0EEENS1_30default_config_static_selectorELNS0_4arch9wavefront6targetE1EEEvSK_,"axG",@progbits,_ZN7rocprim17ROCPRIM_400000_NS6detail17trampoline_kernelINS0_14default_configENS1_36segmented_radix_sort_config_selectorIhlEEZNS1_25segmented_radix_sort_implIS3_Lb0EPKhPhPKlPlN2at6native12_GLOBAL__N_18offset_tEEE10hipError_tPvRmT1_PNSt15iterator_traitsISK_E10value_typeET2_T3_PNSL_ISQ_E10value_typeET4_jRbjT5_SW_jjP12ihipStream_tbEUlT_E_NS1_11comp_targetILNS1_3genE8ELNS1_11target_archE1030ELNS1_3gpuE2ELNS1_3repE0EEENS1_30default_config_static_selectorELNS0_4arch9wavefront6targetE1EEEvSK_,comdat
.Lfunc_end195:
	.size	_ZN7rocprim17ROCPRIM_400000_NS6detail17trampoline_kernelINS0_14default_configENS1_36segmented_radix_sort_config_selectorIhlEEZNS1_25segmented_radix_sort_implIS3_Lb0EPKhPhPKlPlN2at6native12_GLOBAL__N_18offset_tEEE10hipError_tPvRmT1_PNSt15iterator_traitsISK_E10value_typeET2_T3_PNSL_ISQ_E10value_typeET4_jRbjT5_SW_jjP12ihipStream_tbEUlT_E_NS1_11comp_targetILNS1_3genE8ELNS1_11target_archE1030ELNS1_3gpuE2ELNS1_3repE0EEENS1_30default_config_static_selectorELNS0_4arch9wavefront6targetE1EEEvSK_, .Lfunc_end195-_ZN7rocprim17ROCPRIM_400000_NS6detail17trampoline_kernelINS0_14default_configENS1_36segmented_radix_sort_config_selectorIhlEEZNS1_25segmented_radix_sort_implIS3_Lb0EPKhPhPKlPlN2at6native12_GLOBAL__N_18offset_tEEE10hipError_tPvRmT1_PNSt15iterator_traitsISK_E10value_typeET2_T3_PNSL_ISQ_E10value_typeET4_jRbjT5_SW_jjP12ihipStream_tbEUlT_E_NS1_11comp_targetILNS1_3genE8ELNS1_11target_archE1030ELNS1_3gpuE2ELNS1_3repE0EEENS1_30default_config_static_selectorELNS0_4arch9wavefront6targetE1EEEvSK_
                                        ; -- End function
	.set _ZN7rocprim17ROCPRIM_400000_NS6detail17trampoline_kernelINS0_14default_configENS1_36segmented_radix_sort_config_selectorIhlEEZNS1_25segmented_radix_sort_implIS3_Lb0EPKhPhPKlPlN2at6native12_GLOBAL__N_18offset_tEEE10hipError_tPvRmT1_PNSt15iterator_traitsISK_E10value_typeET2_T3_PNSL_ISQ_E10value_typeET4_jRbjT5_SW_jjP12ihipStream_tbEUlT_E_NS1_11comp_targetILNS1_3genE8ELNS1_11target_archE1030ELNS1_3gpuE2ELNS1_3repE0EEENS1_30default_config_static_selectorELNS0_4arch9wavefront6targetE1EEEvSK_.num_vgpr, 0
	.set _ZN7rocprim17ROCPRIM_400000_NS6detail17trampoline_kernelINS0_14default_configENS1_36segmented_radix_sort_config_selectorIhlEEZNS1_25segmented_radix_sort_implIS3_Lb0EPKhPhPKlPlN2at6native12_GLOBAL__N_18offset_tEEE10hipError_tPvRmT1_PNSt15iterator_traitsISK_E10value_typeET2_T3_PNSL_ISQ_E10value_typeET4_jRbjT5_SW_jjP12ihipStream_tbEUlT_E_NS1_11comp_targetILNS1_3genE8ELNS1_11target_archE1030ELNS1_3gpuE2ELNS1_3repE0EEENS1_30default_config_static_selectorELNS0_4arch9wavefront6targetE1EEEvSK_.num_agpr, 0
	.set _ZN7rocprim17ROCPRIM_400000_NS6detail17trampoline_kernelINS0_14default_configENS1_36segmented_radix_sort_config_selectorIhlEEZNS1_25segmented_radix_sort_implIS3_Lb0EPKhPhPKlPlN2at6native12_GLOBAL__N_18offset_tEEE10hipError_tPvRmT1_PNSt15iterator_traitsISK_E10value_typeET2_T3_PNSL_ISQ_E10value_typeET4_jRbjT5_SW_jjP12ihipStream_tbEUlT_E_NS1_11comp_targetILNS1_3genE8ELNS1_11target_archE1030ELNS1_3gpuE2ELNS1_3repE0EEENS1_30default_config_static_selectorELNS0_4arch9wavefront6targetE1EEEvSK_.numbered_sgpr, 0
	.set _ZN7rocprim17ROCPRIM_400000_NS6detail17trampoline_kernelINS0_14default_configENS1_36segmented_radix_sort_config_selectorIhlEEZNS1_25segmented_radix_sort_implIS3_Lb0EPKhPhPKlPlN2at6native12_GLOBAL__N_18offset_tEEE10hipError_tPvRmT1_PNSt15iterator_traitsISK_E10value_typeET2_T3_PNSL_ISQ_E10value_typeET4_jRbjT5_SW_jjP12ihipStream_tbEUlT_E_NS1_11comp_targetILNS1_3genE8ELNS1_11target_archE1030ELNS1_3gpuE2ELNS1_3repE0EEENS1_30default_config_static_selectorELNS0_4arch9wavefront6targetE1EEEvSK_.num_named_barrier, 0
	.set _ZN7rocprim17ROCPRIM_400000_NS6detail17trampoline_kernelINS0_14default_configENS1_36segmented_radix_sort_config_selectorIhlEEZNS1_25segmented_radix_sort_implIS3_Lb0EPKhPhPKlPlN2at6native12_GLOBAL__N_18offset_tEEE10hipError_tPvRmT1_PNSt15iterator_traitsISK_E10value_typeET2_T3_PNSL_ISQ_E10value_typeET4_jRbjT5_SW_jjP12ihipStream_tbEUlT_E_NS1_11comp_targetILNS1_3genE8ELNS1_11target_archE1030ELNS1_3gpuE2ELNS1_3repE0EEENS1_30default_config_static_selectorELNS0_4arch9wavefront6targetE1EEEvSK_.private_seg_size, 0
	.set _ZN7rocprim17ROCPRIM_400000_NS6detail17trampoline_kernelINS0_14default_configENS1_36segmented_radix_sort_config_selectorIhlEEZNS1_25segmented_radix_sort_implIS3_Lb0EPKhPhPKlPlN2at6native12_GLOBAL__N_18offset_tEEE10hipError_tPvRmT1_PNSt15iterator_traitsISK_E10value_typeET2_T3_PNSL_ISQ_E10value_typeET4_jRbjT5_SW_jjP12ihipStream_tbEUlT_E_NS1_11comp_targetILNS1_3genE8ELNS1_11target_archE1030ELNS1_3gpuE2ELNS1_3repE0EEENS1_30default_config_static_selectorELNS0_4arch9wavefront6targetE1EEEvSK_.uses_vcc, 0
	.set _ZN7rocprim17ROCPRIM_400000_NS6detail17trampoline_kernelINS0_14default_configENS1_36segmented_radix_sort_config_selectorIhlEEZNS1_25segmented_radix_sort_implIS3_Lb0EPKhPhPKlPlN2at6native12_GLOBAL__N_18offset_tEEE10hipError_tPvRmT1_PNSt15iterator_traitsISK_E10value_typeET2_T3_PNSL_ISQ_E10value_typeET4_jRbjT5_SW_jjP12ihipStream_tbEUlT_E_NS1_11comp_targetILNS1_3genE8ELNS1_11target_archE1030ELNS1_3gpuE2ELNS1_3repE0EEENS1_30default_config_static_selectorELNS0_4arch9wavefront6targetE1EEEvSK_.uses_flat_scratch, 0
	.set _ZN7rocprim17ROCPRIM_400000_NS6detail17trampoline_kernelINS0_14default_configENS1_36segmented_radix_sort_config_selectorIhlEEZNS1_25segmented_radix_sort_implIS3_Lb0EPKhPhPKlPlN2at6native12_GLOBAL__N_18offset_tEEE10hipError_tPvRmT1_PNSt15iterator_traitsISK_E10value_typeET2_T3_PNSL_ISQ_E10value_typeET4_jRbjT5_SW_jjP12ihipStream_tbEUlT_E_NS1_11comp_targetILNS1_3genE8ELNS1_11target_archE1030ELNS1_3gpuE2ELNS1_3repE0EEENS1_30default_config_static_selectorELNS0_4arch9wavefront6targetE1EEEvSK_.has_dyn_sized_stack, 0
	.set _ZN7rocprim17ROCPRIM_400000_NS6detail17trampoline_kernelINS0_14default_configENS1_36segmented_radix_sort_config_selectorIhlEEZNS1_25segmented_radix_sort_implIS3_Lb0EPKhPhPKlPlN2at6native12_GLOBAL__N_18offset_tEEE10hipError_tPvRmT1_PNSt15iterator_traitsISK_E10value_typeET2_T3_PNSL_ISQ_E10value_typeET4_jRbjT5_SW_jjP12ihipStream_tbEUlT_E_NS1_11comp_targetILNS1_3genE8ELNS1_11target_archE1030ELNS1_3gpuE2ELNS1_3repE0EEENS1_30default_config_static_selectorELNS0_4arch9wavefront6targetE1EEEvSK_.has_recursion, 0
	.set _ZN7rocprim17ROCPRIM_400000_NS6detail17trampoline_kernelINS0_14default_configENS1_36segmented_radix_sort_config_selectorIhlEEZNS1_25segmented_radix_sort_implIS3_Lb0EPKhPhPKlPlN2at6native12_GLOBAL__N_18offset_tEEE10hipError_tPvRmT1_PNSt15iterator_traitsISK_E10value_typeET2_T3_PNSL_ISQ_E10value_typeET4_jRbjT5_SW_jjP12ihipStream_tbEUlT_E_NS1_11comp_targetILNS1_3genE8ELNS1_11target_archE1030ELNS1_3gpuE2ELNS1_3repE0EEENS1_30default_config_static_selectorELNS0_4arch9wavefront6targetE1EEEvSK_.has_indirect_call, 0
	.section	.AMDGPU.csdata,"",@progbits
; Kernel info:
; codeLenInByte = 0
; TotalNumSgprs: 4
; NumVgprs: 0
; ScratchSize: 0
; MemoryBound: 0
; FloatMode: 240
; IeeeMode: 1
; LDSByteSize: 0 bytes/workgroup (compile time only)
; SGPRBlocks: 0
; VGPRBlocks: 0
; NumSGPRsForWavesPerEU: 4
; NumVGPRsForWavesPerEU: 1
; Occupancy: 10
; WaveLimiterHint : 0
; COMPUTE_PGM_RSRC2:SCRATCH_EN: 0
; COMPUTE_PGM_RSRC2:USER_SGPR: 6
; COMPUTE_PGM_RSRC2:TRAP_HANDLER: 0
; COMPUTE_PGM_RSRC2:TGID_X_EN: 1
; COMPUTE_PGM_RSRC2:TGID_Y_EN: 0
; COMPUTE_PGM_RSRC2:TGID_Z_EN: 0
; COMPUTE_PGM_RSRC2:TIDIG_COMP_CNT: 0
	.section	.text._ZN7rocprim17ROCPRIM_400000_NS6detail17trampoline_kernelINS0_14default_configENS1_36segmented_radix_sort_config_selectorIhlEEZNS1_25segmented_radix_sort_implIS3_Lb0EPKhPhPKlPlN2at6native12_GLOBAL__N_18offset_tEEE10hipError_tPvRmT1_PNSt15iterator_traitsISK_E10value_typeET2_T3_PNSL_ISQ_E10value_typeET4_jRbjT5_SW_jjP12ihipStream_tbEUlT_E0_NS1_11comp_targetILNS1_3genE0ELNS1_11target_archE4294967295ELNS1_3gpuE0ELNS1_3repE0EEENS1_60segmented_radix_sort_warp_sort_medium_config_static_selectorELNS0_4arch9wavefront6targetE1EEEvSK_,"axG",@progbits,_ZN7rocprim17ROCPRIM_400000_NS6detail17trampoline_kernelINS0_14default_configENS1_36segmented_radix_sort_config_selectorIhlEEZNS1_25segmented_radix_sort_implIS3_Lb0EPKhPhPKlPlN2at6native12_GLOBAL__N_18offset_tEEE10hipError_tPvRmT1_PNSt15iterator_traitsISK_E10value_typeET2_T3_PNSL_ISQ_E10value_typeET4_jRbjT5_SW_jjP12ihipStream_tbEUlT_E0_NS1_11comp_targetILNS1_3genE0ELNS1_11target_archE4294967295ELNS1_3gpuE0ELNS1_3repE0EEENS1_60segmented_radix_sort_warp_sort_medium_config_static_selectorELNS0_4arch9wavefront6targetE1EEEvSK_,comdat
	.globl	_ZN7rocprim17ROCPRIM_400000_NS6detail17trampoline_kernelINS0_14default_configENS1_36segmented_radix_sort_config_selectorIhlEEZNS1_25segmented_radix_sort_implIS3_Lb0EPKhPhPKlPlN2at6native12_GLOBAL__N_18offset_tEEE10hipError_tPvRmT1_PNSt15iterator_traitsISK_E10value_typeET2_T3_PNSL_ISQ_E10value_typeET4_jRbjT5_SW_jjP12ihipStream_tbEUlT_E0_NS1_11comp_targetILNS1_3genE0ELNS1_11target_archE4294967295ELNS1_3gpuE0ELNS1_3repE0EEENS1_60segmented_radix_sort_warp_sort_medium_config_static_selectorELNS0_4arch9wavefront6targetE1EEEvSK_ ; -- Begin function _ZN7rocprim17ROCPRIM_400000_NS6detail17trampoline_kernelINS0_14default_configENS1_36segmented_radix_sort_config_selectorIhlEEZNS1_25segmented_radix_sort_implIS3_Lb0EPKhPhPKlPlN2at6native12_GLOBAL__N_18offset_tEEE10hipError_tPvRmT1_PNSt15iterator_traitsISK_E10value_typeET2_T3_PNSL_ISQ_E10value_typeET4_jRbjT5_SW_jjP12ihipStream_tbEUlT_E0_NS1_11comp_targetILNS1_3genE0ELNS1_11target_archE4294967295ELNS1_3gpuE0ELNS1_3repE0EEENS1_60segmented_radix_sort_warp_sort_medium_config_static_selectorELNS0_4arch9wavefront6targetE1EEEvSK_
	.p2align	8
	.type	_ZN7rocprim17ROCPRIM_400000_NS6detail17trampoline_kernelINS0_14default_configENS1_36segmented_radix_sort_config_selectorIhlEEZNS1_25segmented_radix_sort_implIS3_Lb0EPKhPhPKlPlN2at6native12_GLOBAL__N_18offset_tEEE10hipError_tPvRmT1_PNSt15iterator_traitsISK_E10value_typeET2_T3_PNSL_ISQ_E10value_typeET4_jRbjT5_SW_jjP12ihipStream_tbEUlT_E0_NS1_11comp_targetILNS1_3genE0ELNS1_11target_archE4294967295ELNS1_3gpuE0ELNS1_3repE0EEENS1_60segmented_radix_sort_warp_sort_medium_config_static_selectorELNS0_4arch9wavefront6targetE1EEEvSK_,@function
_ZN7rocprim17ROCPRIM_400000_NS6detail17trampoline_kernelINS0_14default_configENS1_36segmented_radix_sort_config_selectorIhlEEZNS1_25segmented_radix_sort_implIS3_Lb0EPKhPhPKlPlN2at6native12_GLOBAL__N_18offset_tEEE10hipError_tPvRmT1_PNSt15iterator_traitsISK_E10value_typeET2_T3_PNSL_ISQ_E10value_typeET4_jRbjT5_SW_jjP12ihipStream_tbEUlT_E0_NS1_11comp_targetILNS1_3genE0ELNS1_11target_archE4294967295ELNS1_3gpuE0ELNS1_3repE0EEENS1_60segmented_radix_sort_warp_sort_medium_config_static_selectorELNS0_4arch9wavefront6targetE1EEEvSK_: ; @_ZN7rocprim17ROCPRIM_400000_NS6detail17trampoline_kernelINS0_14default_configENS1_36segmented_radix_sort_config_selectorIhlEEZNS1_25segmented_radix_sort_implIS3_Lb0EPKhPhPKlPlN2at6native12_GLOBAL__N_18offset_tEEE10hipError_tPvRmT1_PNSt15iterator_traitsISK_E10value_typeET2_T3_PNSL_ISQ_E10value_typeET4_jRbjT5_SW_jjP12ihipStream_tbEUlT_E0_NS1_11comp_targetILNS1_3genE0ELNS1_11target_archE4294967295ELNS1_3gpuE0ELNS1_3repE0EEENS1_60segmented_radix_sort_warp_sort_medium_config_static_selectorELNS0_4arch9wavefront6targetE1EEEvSK_
; %bb.0:
	.section	.rodata,"a",@progbits
	.p2align	6, 0x0
	.amdhsa_kernel _ZN7rocprim17ROCPRIM_400000_NS6detail17trampoline_kernelINS0_14default_configENS1_36segmented_radix_sort_config_selectorIhlEEZNS1_25segmented_radix_sort_implIS3_Lb0EPKhPhPKlPlN2at6native12_GLOBAL__N_18offset_tEEE10hipError_tPvRmT1_PNSt15iterator_traitsISK_E10value_typeET2_T3_PNSL_ISQ_E10value_typeET4_jRbjT5_SW_jjP12ihipStream_tbEUlT_E0_NS1_11comp_targetILNS1_3genE0ELNS1_11target_archE4294967295ELNS1_3gpuE0ELNS1_3repE0EEENS1_60segmented_radix_sort_warp_sort_medium_config_static_selectorELNS0_4arch9wavefront6targetE1EEEvSK_
		.amdhsa_group_segment_fixed_size 0
		.amdhsa_private_segment_fixed_size 0
		.amdhsa_kernarg_size 88
		.amdhsa_user_sgpr_count 6
		.amdhsa_user_sgpr_private_segment_buffer 1
		.amdhsa_user_sgpr_dispatch_ptr 0
		.amdhsa_user_sgpr_queue_ptr 0
		.amdhsa_user_sgpr_kernarg_segment_ptr 1
		.amdhsa_user_sgpr_dispatch_id 0
		.amdhsa_user_sgpr_flat_scratch_init 0
		.amdhsa_user_sgpr_private_segment_size 0
		.amdhsa_uses_dynamic_stack 0
		.amdhsa_system_sgpr_private_segment_wavefront_offset 0
		.amdhsa_system_sgpr_workgroup_id_x 1
		.amdhsa_system_sgpr_workgroup_id_y 0
		.amdhsa_system_sgpr_workgroup_id_z 0
		.amdhsa_system_sgpr_workgroup_info 0
		.amdhsa_system_vgpr_workitem_id 0
		.amdhsa_next_free_vgpr 1
		.amdhsa_next_free_sgpr 0
		.amdhsa_reserve_vcc 0
		.amdhsa_reserve_flat_scratch 0
		.amdhsa_float_round_mode_32 0
		.amdhsa_float_round_mode_16_64 0
		.amdhsa_float_denorm_mode_32 3
		.amdhsa_float_denorm_mode_16_64 3
		.amdhsa_dx10_clamp 1
		.amdhsa_ieee_mode 1
		.amdhsa_fp16_overflow 0
		.amdhsa_exception_fp_ieee_invalid_op 0
		.amdhsa_exception_fp_denorm_src 0
		.amdhsa_exception_fp_ieee_div_zero 0
		.amdhsa_exception_fp_ieee_overflow 0
		.amdhsa_exception_fp_ieee_underflow 0
		.amdhsa_exception_fp_ieee_inexact 0
		.amdhsa_exception_int_div_zero 0
	.end_amdhsa_kernel
	.section	.text._ZN7rocprim17ROCPRIM_400000_NS6detail17trampoline_kernelINS0_14default_configENS1_36segmented_radix_sort_config_selectorIhlEEZNS1_25segmented_radix_sort_implIS3_Lb0EPKhPhPKlPlN2at6native12_GLOBAL__N_18offset_tEEE10hipError_tPvRmT1_PNSt15iterator_traitsISK_E10value_typeET2_T3_PNSL_ISQ_E10value_typeET4_jRbjT5_SW_jjP12ihipStream_tbEUlT_E0_NS1_11comp_targetILNS1_3genE0ELNS1_11target_archE4294967295ELNS1_3gpuE0ELNS1_3repE0EEENS1_60segmented_radix_sort_warp_sort_medium_config_static_selectorELNS0_4arch9wavefront6targetE1EEEvSK_,"axG",@progbits,_ZN7rocprim17ROCPRIM_400000_NS6detail17trampoline_kernelINS0_14default_configENS1_36segmented_radix_sort_config_selectorIhlEEZNS1_25segmented_radix_sort_implIS3_Lb0EPKhPhPKlPlN2at6native12_GLOBAL__N_18offset_tEEE10hipError_tPvRmT1_PNSt15iterator_traitsISK_E10value_typeET2_T3_PNSL_ISQ_E10value_typeET4_jRbjT5_SW_jjP12ihipStream_tbEUlT_E0_NS1_11comp_targetILNS1_3genE0ELNS1_11target_archE4294967295ELNS1_3gpuE0ELNS1_3repE0EEENS1_60segmented_radix_sort_warp_sort_medium_config_static_selectorELNS0_4arch9wavefront6targetE1EEEvSK_,comdat
.Lfunc_end196:
	.size	_ZN7rocprim17ROCPRIM_400000_NS6detail17trampoline_kernelINS0_14default_configENS1_36segmented_radix_sort_config_selectorIhlEEZNS1_25segmented_radix_sort_implIS3_Lb0EPKhPhPKlPlN2at6native12_GLOBAL__N_18offset_tEEE10hipError_tPvRmT1_PNSt15iterator_traitsISK_E10value_typeET2_T3_PNSL_ISQ_E10value_typeET4_jRbjT5_SW_jjP12ihipStream_tbEUlT_E0_NS1_11comp_targetILNS1_3genE0ELNS1_11target_archE4294967295ELNS1_3gpuE0ELNS1_3repE0EEENS1_60segmented_radix_sort_warp_sort_medium_config_static_selectorELNS0_4arch9wavefront6targetE1EEEvSK_, .Lfunc_end196-_ZN7rocprim17ROCPRIM_400000_NS6detail17trampoline_kernelINS0_14default_configENS1_36segmented_radix_sort_config_selectorIhlEEZNS1_25segmented_radix_sort_implIS3_Lb0EPKhPhPKlPlN2at6native12_GLOBAL__N_18offset_tEEE10hipError_tPvRmT1_PNSt15iterator_traitsISK_E10value_typeET2_T3_PNSL_ISQ_E10value_typeET4_jRbjT5_SW_jjP12ihipStream_tbEUlT_E0_NS1_11comp_targetILNS1_3genE0ELNS1_11target_archE4294967295ELNS1_3gpuE0ELNS1_3repE0EEENS1_60segmented_radix_sort_warp_sort_medium_config_static_selectorELNS0_4arch9wavefront6targetE1EEEvSK_
                                        ; -- End function
	.set _ZN7rocprim17ROCPRIM_400000_NS6detail17trampoline_kernelINS0_14default_configENS1_36segmented_radix_sort_config_selectorIhlEEZNS1_25segmented_radix_sort_implIS3_Lb0EPKhPhPKlPlN2at6native12_GLOBAL__N_18offset_tEEE10hipError_tPvRmT1_PNSt15iterator_traitsISK_E10value_typeET2_T3_PNSL_ISQ_E10value_typeET4_jRbjT5_SW_jjP12ihipStream_tbEUlT_E0_NS1_11comp_targetILNS1_3genE0ELNS1_11target_archE4294967295ELNS1_3gpuE0ELNS1_3repE0EEENS1_60segmented_radix_sort_warp_sort_medium_config_static_selectorELNS0_4arch9wavefront6targetE1EEEvSK_.num_vgpr, 0
	.set _ZN7rocprim17ROCPRIM_400000_NS6detail17trampoline_kernelINS0_14default_configENS1_36segmented_radix_sort_config_selectorIhlEEZNS1_25segmented_radix_sort_implIS3_Lb0EPKhPhPKlPlN2at6native12_GLOBAL__N_18offset_tEEE10hipError_tPvRmT1_PNSt15iterator_traitsISK_E10value_typeET2_T3_PNSL_ISQ_E10value_typeET4_jRbjT5_SW_jjP12ihipStream_tbEUlT_E0_NS1_11comp_targetILNS1_3genE0ELNS1_11target_archE4294967295ELNS1_3gpuE0ELNS1_3repE0EEENS1_60segmented_radix_sort_warp_sort_medium_config_static_selectorELNS0_4arch9wavefront6targetE1EEEvSK_.num_agpr, 0
	.set _ZN7rocprim17ROCPRIM_400000_NS6detail17trampoline_kernelINS0_14default_configENS1_36segmented_radix_sort_config_selectorIhlEEZNS1_25segmented_radix_sort_implIS3_Lb0EPKhPhPKlPlN2at6native12_GLOBAL__N_18offset_tEEE10hipError_tPvRmT1_PNSt15iterator_traitsISK_E10value_typeET2_T3_PNSL_ISQ_E10value_typeET4_jRbjT5_SW_jjP12ihipStream_tbEUlT_E0_NS1_11comp_targetILNS1_3genE0ELNS1_11target_archE4294967295ELNS1_3gpuE0ELNS1_3repE0EEENS1_60segmented_radix_sort_warp_sort_medium_config_static_selectorELNS0_4arch9wavefront6targetE1EEEvSK_.numbered_sgpr, 0
	.set _ZN7rocprim17ROCPRIM_400000_NS6detail17trampoline_kernelINS0_14default_configENS1_36segmented_radix_sort_config_selectorIhlEEZNS1_25segmented_radix_sort_implIS3_Lb0EPKhPhPKlPlN2at6native12_GLOBAL__N_18offset_tEEE10hipError_tPvRmT1_PNSt15iterator_traitsISK_E10value_typeET2_T3_PNSL_ISQ_E10value_typeET4_jRbjT5_SW_jjP12ihipStream_tbEUlT_E0_NS1_11comp_targetILNS1_3genE0ELNS1_11target_archE4294967295ELNS1_3gpuE0ELNS1_3repE0EEENS1_60segmented_radix_sort_warp_sort_medium_config_static_selectorELNS0_4arch9wavefront6targetE1EEEvSK_.num_named_barrier, 0
	.set _ZN7rocprim17ROCPRIM_400000_NS6detail17trampoline_kernelINS0_14default_configENS1_36segmented_radix_sort_config_selectorIhlEEZNS1_25segmented_radix_sort_implIS3_Lb0EPKhPhPKlPlN2at6native12_GLOBAL__N_18offset_tEEE10hipError_tPvRmT1_PNSt15iterator_traitsISK_E10value_typeET2_T3_PNSL_ISQ_E10value_typeET4_jRbjT5_SW_jjP12ihipStream_tbEUlT_E0_NS1_11comp_targetILNS1_3genE0ELNS1_11target_archE4294967295ELNS1_3gpuE0ELNS1_3repE0EEENS1_60segmented_radix_sort_warp_sort_medium_config_static_selectorELNS0_4arch9wavefront6targetE1EEEvSK_.private_seg_size, 0
	.set _ZN7rocprim17ROCPRIM_400000_NS6detail17trampoline_kernelINS0_14default_configENS1_36segmented_radix_sort_config_selectorIhlEEZNS1_25segmented_radix_sort_implIS3_Lb0EPKhPhPKlPlN2at6native12_GLOBAL__N_18offset_tEEE10hipError_tPvRmT1_PNSt15iterator_traitsISK_E10value_typeET2_T3_PNSL_ISQ_E10value_typeET4_jRbjT5_SW_jjP12ihipStream_tbEUlT_E0_NS1_11comp_targetILNS1_3genE0ELNS1_11target_archE4294967295ELNS1_3gpuE0ELNS1_3repE0EEENS1_60segmented_radix_sort_warp_sort_medium_config_static_selectorELNS0_4arch9wavefront6targetE1EEEvSK_.uses_vcc, 0
	.set _ZN7rocprim17ROCPRIM_400000_NS6detail17trampoline_kernelINS0_14default_configENS1_36segmented_radix_sort_config_selectorIhlEEZNS1_25segmented_radix_sort_implIS3_Lb0EPKhPhPKlPlN2at6native12_GLOBAL__N_18offset_tEEE10hipError_tPvRmT1_PNSt15iterator_traitsISK_E10value_typeET2_T3_PNSL_ISQ_E10value_typeET4_jRbjT5_SW_jjP12ihipStream_tbEUlT_E0_NS1_11comp_targetILNS1_3genE0ELNS1_11target_archE4294967295ELNS1_3gpuE0ELNS1_3repE0EEENS1_60segmented_radix_sort_warp_sort_medium_config_static_selectorELNS0_4arch9wavefront6targetE1EEEvSK_.uses_flat_scratch, 0
	.set _ZN7rocprim17ROCPRIM_400000_NS6detail17trampoline_kernelINS0_14default_configENS1_36segmented_radix_sort_config_selectorIhlEEZNS1_25segmented_radix_sort_implIS3_Lb0EPKhPhPKlPlN2at6native12_GLOBAL__N_18offset_tEEE10hipError_tPvRmT1_PNSt15iterator_traitsISK_E10value_typeET2_T3_PNSL_ISQ_E10value_typeET4_jRbjT5_SW_jjP12ihipStream_tbEUlT_E0_NS1_11comp_targetILNS1_3genE0ELNS1_11target_archE4294967295ELNS1_3gpuE0ELNS1_3repE0EEENS1_60segmented_radix_sort_warp_sort_medium_config_static_selectorELNS0_4arch9wavefront6targetE1EEEvSK_.has_dyn_sized_stack, 0
	.set _ZN7rocprim17ROCPRIM_400000_NS6detail17trampoline_kernelINS0_14default_configENS1_36segmented_radix_sort_config_selectorIhlEEZNS1_25segmented_radix_sort_implIS3_Lb0EPKhPhPKlPlN2at6native12_GLOBAL__N_18offset_tEEE10hipError_tPvRmT1_PNSt15iterator_traitsISK_E10value_typeET2_T3_PNSL_ISQ_E10value_typeET4_jRbjT5_SW_jjP12ihipStream_tbEUlT_E0_NS1_11comp_targetILNS1_3genE0ELNS1_11target_archE4294967295ELNS1_3gpuE0ELNS1_3repE0EEENS1_60segmented_radix_sort_warp_sort_medium_config_static_selectorELNS0_4arch9wavefront6targetE1EEEvSK_.has_recursion, 0
	.set _ZN7rocprim17ROCPRIM_400000_NS6detail17trampoline_kernelINS0_14default_configENS1_36segmented_radix_sort_config_selectorIhlEEZNS1_25segmented_radix_sort_implIS3_Lb0EPKhPhPKlPlN2at6native12_GLOBAL__N_18offset_tEEE10hipError_tPvRmT1_PNSt15iterator_traitsISK_E10value_typeET2_T3_PNSL_ISQ_E10value_typeET4_jRbjT5_SW_jjP12ihipStream_tbEUlT_E0_NS1_11comp_targetILNS1_3genE0ELNS1_11target_archE4294967295ELNS1_3gpuE0ELNS1_3repE0EEENS1_60segmented_radix_sort_warp_sort_medium_config_static_selectorELNS0_4arch9wavefront6targetE1EEEvSK_.has_indirect_call, 0
	.section	.AMDGPU.csdata,"",@progbits
; Kernel info:
; codeLenInByte = 0
; TotalNumSgprs: 4
; NumVgprs: 0
; ScratchSize: 0
; MemoryBound: 0
; FloatMode: 240
; IeeeMode: 1
; LDSByteSize: 0 bytes/workgroup (compile time only)
; SGPRBlocks: 0
; VGPRBlocks: 0
; NumSGPRsForWavesPerEU: 4
; NumVGPRsForWavesPerEU: 1
; Occupancy: 10
; WaveLimiterHint : 0
; COMPUTE_PGM_RSRC2:SCRATCH_EN: 0
; COMPUTE_PGM_RSRC2:USER_SGPR: 6
; COMPUTE_PGM_RSRC2:TRAP_HANDLER: 0
; COMPUTE_PGM_RSRC2:TGID_X_EN: 1
; COMPUTE_PGM_RSRC2:TGID_Y_EN: 0
; COMPUTE_PGM_RSRC2:TGID_Z_EN: 0
; COMPUTE_PGM_RSRC2:TIDIG_COMP_CNT: 0
	.section	.text._ZN7rocprim17ROCPRIM_400000_NS6detail17trampoline_kernelINS0_14default_configENS1_36segmented_radix_sort_config_selectorIhlEEZNS1_25segmented_radix_sort_implIS3_Lb0EPKhPhPKlPlN2at6native12_GLOBAL__N_18offset_tEEE10hipError_tPvRmT1_PNSt15iterator_traitsISK_E10value_typeET2_T3_PNSL_ISQ_E10value_typeET4_jRbjT5_SW_jjP12ihipStream_tbEUlT_E0_NS1_11comp_targetILNS1_3genE5ELNS1_11target_archE942ELNS1_3gpuE9ELNS1_3repE0EEENS1_60segmented_radix_sort_warp_sort_medium_config_static_selectorELNS0_4arch9wavefront6targetE1EEEvSK_,"axG",@progbits,_ZN7rocprim17ROCPRIM_400000_NS6detail17trampoline_kernelINS0_14default_configENS1_36segmented_radix_sort_config_selectorIhlEEZNS1_25segmented_radix_sort_implIS3_Lb0EPKhPhPKlPlN2at6native12_GLOBAL__N_18offset_tEEE10hipError_tPvRmT1_PNSt15iterator_traitsISK_E10value_typeET2_T3_PNSL_ISQ_E10value_typeET4_jRbjT5_SW_jjP12ihipStream_tbEUlT_E0_NS1_11comp_targetILNS1_3genE5ELNS1_11target_archE942ELNS1_3gpuE9ELNS1_3repE0EEENS1_60segmented_radix_sort_warp_sort_medium_config_static_selectorELNS0_4arch9wavefront6targetE1EEEvSK_,comdat
	.globl	_ZN7rocprim17ROCPRIM_400000_NS6detail17trampoline_kernelINS0_14default_configENS1_36segmented_radix_sort_config_selectorIhlEEZNS1_25segmented_radix_sort_implIS3_Lb0EPKhPhPKlPlN2at6native12_GLOBAL__N_18offset_tEEE10hipError_tPvRmT1_PNSt15iterator_traitsISK_E10value_typeET2_T3_PNSL_ISQ_E10value_typeET4_jRbjT5_SW_jjP12ihipStream_tbEUlT_E0_NS1_11comp_targetILNS1_3genE5ELNS1_11target_archE942ELNS1_3gpuE9ELNS1_3repE0EEENS1_60segmented_radix_sort_warp_sort_medium_config_static_selectorELNS0_4arch9wavefront6targetE1EEEvSK_ ; -- Begin function _ZN7rocprim17ROCPRIM_400000_NS6detail17trampoline_kernelINS0_14default_configENS1_36segmented_radix_sort_config_selectorIhlEEZNS1_25segmented_radix_sort_implIS3_Lb0EPKhPhPKlPlN2at6native12_GLOBAL__N_18offset_tEEE10hipError_tPvRmT1_PNSt15iterator_traitsISK_E10value_typeET2_T3_PNSL_ISQ_E10value_typeET4_jRbjT5_SW_jjP12ihipStream_tbEUlT_E0_NS1_11comp_targetILNS1_3genE5ELNS1_11target_archE942ELNS1_3gpuE9ELNS1_3repE0EEENS1_60segmented_radix_sort_warp_sort_medium_config_static_selectorELNS0_4arch9wavefront6targetE1EEEvSK_
	.p2align	8
	.type	_ZN7rocprim17ROCPRIM_400000_NS6detail17trampoline_kernelINS0_14default_configENS1_36segmented_radix_sort_config_selectorIhlEEZNS1_25segmented_radix_sort_implIS3_Lb0EPKhPhPKlPlN2at6native12_GLOBAL__N_18offset_tEEE10hipError_tPvRmT1_PNSt15iterator_traitsISK_E10value_typeET2_T3_PNSL_ISQ_E10value_typeET4_jRbjT5_SW_jjP12ihipStream_tbEUlT_E0_NS1_11comp_targetILNS1_3genE5ELNS1_11target_archE942ELNS1_3gpuE9ELNS1_3repE0EEENS1_60segmented_radix_sort_warp_sort_medium_config_static_selectorELNS0_4arch9wavefront6targetE1EEEvSK_,@function
_ZN7rocprim17ROCPRIM_400000_NS6detail17trampoline_kernelINS0_14default_configENS1_36segmented_radix_sort_config_selectorIhlEEZNS1_25segmented_radix_sort_implIS3_Lb0EPKhPhPKlPlN2at6native12_GLOBAL__N_18offset_tEEE10hipError_tPvRmT1_PNSt15iterator_traitsISK_E10value_typeET2_T3_PNSL_ISQ_E10value_typeET4_jRbjT5_SW_jjP12ihipStream_tbEUlT_E0_NS1_11comp_targetILNS1_3genE5ELNS1_11target_archE942ELNS1_3gpuE9ELNS1_3repE0EEENS1_60segmented_radix_sort_warp_sort_medium_config_static_selectorELNS0_4arch9wavefront6targetE1EEEvSK_: ; @_ZN7rocprim17ROCPRIM_400000_NS6detail17trampoline_kernelINS0_14default_configENS1_36segmented_radix_sort_config_selectorIhlEEZNS1_25segmented_radix_sort_implIS3_Lb0EPKhPhPKlPlN2at6native12_GLOBAL__N_18offset_tEEE10hipError_tPvRmT1_PNSt15iterator_traitsISK_E10value_typeET2_T3_PNSL_ISQ_E10value_typeET4_jRbjT5_SW_jjP12ihipStream_tbEUlT_E0_NS1_11comp_targetILNS1_3genE5ELNS1_11target_archE942ELNS1_3gpuE9ELNS1_3repE0EEENS1_60segmented_radix_sort_warp_sort_medium_config_static_selectorELNS0_4arch9wavefront6targetE1EEEvSK_
; %bb.0:
	.section	.rodata,"a",@progbits
	.p2align	6, 0x0
	.amdhsa_kernel _ZN7rocprim17ROCPRIM_400000_NS6detail17trampoline_kernelINS0_14default_configENS1_36segmented_radix_sort_config_selectorIhlEEZNS1_25segmented_radix_sort_implIS3_Lb0EPKhPhPKlPlN2at6native12_GLOBAL__N_18offset_tEEE10hipError_tPvRmT1_PNSt15iterator_traitsISK_E10value_typeET2_T3_PNSL_ISQ_E10value_typeET4_jRbjT5_SW_jjP12ihipStream_tbEUlT_E0_NS1_11comp_targetILNS1_3genE5ELNS1_11target_archE942ELNS1_3gpuE9ELNS1_3repE0EEENS1_60segmented_radix_sort_warp_sort_medium_config_static_selectorELNS0_4arch9wavefront6targetE1EEEvSK_
		.amdhsa_group_segment_fixed_size 0
		.amdhsa_private_segment_fixed_size 0
		.amdhsa_kernarg_size 88
		.amdhsa_user_sgpr_count 6
		.amdhsa_user_sgpr_private_segment_buffer 1
		.amdhsa_user_sgpr_dispatch_ptr 0
		.amdhsa_user_sgpr_queue_ptr 0
		.amdhsa_user_sgpr_kernarg_segment_ptr 1
		.amdhsa_user_sgpr_dispatch_id 0
		.amdhsa_user_sgpr_flat_scratch_init 0
		.amdhsa_user_sgpr_private_segment_size 0
		.amdhsa_uses_dynamic_stack 0
		.amdhsa_system_sgpr_private_segment_wavefront_offset 0
		.amdhsa_system_sgpr_workgroup_id_x 1
		.amdhsa_system_sgpr_workgroup_id_y 0
		.amdhsa_system_sgpr_workgroup_id_z 0
		.amdhsa_system_sgpr_workgroup_info 0
		.amdhsa_system_vgpr_workitem_id 0
		.amdhsa_next_free_vgpr 1
		.amdhsa_next_free_sgpr 0
		.amdhsa_reserve_vcc 0
		.amdhsa_reserve_flat_scratch 0
		.amdhsa_float_round_mode_32 0
		.amdhsa_float_round_mode_16_64 0
		.amdhsa_float_denorm_mode_32 3
		.amdhsa_float_denorm_mode_16_64 3
		.amdhsa_dx10_clamp 1
		.amdhsa_ieee_mode 1
		.amdhsa_fp16_overflow 0
		.amdhsa_exception_fp_ieee_invalid_op 0
		.amdhsa_exception_fp_denorm_src 0
		.amdhsa_exception_fp_ieee_div_zero 0
		.amdhsa_exception_fp_ieee_overflow 0
		.amdhsa_exception_fp_ieee_underflow 0
		.amdhsa_exception_fp_ieee_inexact 0
		.amdhsa_exception_int_div_zero 0
	.end_amdhsa_kernel
	.section	.text._ZN7rocprim17ROCPRIM_400000_NS6detail17trampoline_kernelINS0_14default_configENS1_36segmented_radix_sort_config_selectorIhlEEZNS1_25segmented_radix_sort_implIS3_Lb0EPKhPhPKlPlN2at6native12_GLOBAL__N_18offset_tEEE10hipError_tPvRmT1_PNSt15iterator_traitsISK_E10value_typeET2_T3_PNSL_ISQ_E10value_typeET4_jRbjT5_SW_jjP12ihipStream_tbEUlT_E0_NS1_11comp_targetILNS1_3genE5ELNS1_11target_archE942ELNS1_3gpuE9ELNS1_3repE0EEENS1_60segmented_radix_sort_warp_sort_medium_config_static_selectorELNS0_4arch9wavefront6targetE1EEEvSK_,"axG",@progbits,_ZN7rocprim17ROCPRIM_400000_NS6detail17trampoline_kernelINS0_14default_configENS1_36segmented_radix_sort_config_selectorIhlEEZNS1_25segmented_radix_sort_implIS3_Lb0EPKhPhPKlPlN2at6native12_GLOBAL__N_18offset_tEEE10hipError_tPvRmT1_PNSt15iterator_traitsISK_E10value_typeET2_T3_PNSL_ISQ_E10value_typeET4_jRbjT5_SW_jjP12ihipStream_tbEUlT_E0_NS1_11comp_targetILNS1_3genE5ELNS1_11target_archE942ELNS1_3gpuE9ELNS1_3repE0EEENS1_60segmented_radix_sort_warp_sort_medium_config_static_selectorELNS0_4arch9wavefront6targetE1EEEvSK_,comdat
.Lfunc_end197:
	.size	_ZN7rocprim17ROCPRIM_400000_NS6detail17trampoline_kernelINS0_14default_configENS1_36segmented_radix_sort_config_selectorIhlEEZNS1_25segmented_radix_sort_implIS3_Lb0EPKhPhPKlPlN2at6native12_GLOBAL__N_18offset_tEEE10hipError_tPvRmT1_PNSt15iterator_traitsISK_E10value_typeET2_T3_PNSL_ISQ_E10value_typeET4_jRbjT5_SW_jjP12ihipStream_tbEUlT_E0_NS1_11comp_targetILNS1_3genE5ELNS1_11target_archE942ELNS1_3gpuE9ELNS1_3repE0EEENS1_60segmented_radix_sort_warp_sort_medium_config_static_selectorELNS0_4arch9wavefront6targetE1EEEvSK_, .Lfunc_end197-_ZN7rocprim17ROCPRIM_400000_NS6detail17trampoline_kernelINS0_14default_configENS1_36segmented_radix_sort_config_selectorIhlEEZNS1_25segmented_radix_sort_implIS3_Lb0EPKhPhPKlPlN2at6native12_GLOBAL__N_18offset_tEEE10hipError_tPvRmT1_PNSt15iterator_traitsISK_E10value_typeET2_T3_PNSL_ISQ_E10value_typeET4_jRbjT5_SW_jjP12ihipStream_tbEUlT_E0_NS1_11comp_targetILNS1_3genE5ELNS1_11target_archE942ELNS1_3gpuE9ELNS1_3repE0EEENS1_60segmented_radix_sort_warp_sort_medium_config_static_selectorELNS0_4arch9wavefront6targetE1EEEvSK_
                                        ; -- End function
	.set _ZN7rocprim17ROCPRIM_400000_NS6detail17trampoline_kernelINS0_14default_configENS1_36segmented_radix_sort_config_selectorIhlEEZNS1_25segmented_radix_sort_implIS3_Lb0EPKhPhPKlPlN2at6native12_GLOBAL__N_18offset_tEEE10hipError_tPvRmT1_PNSt15iterator_traitsISK_E10value_typeET2_T3_PNSL_ISQ_E10value_typeET4_jRbjT5_SW_jjP12ihipStream_tbEUlT_E0_NS1_11comp_targetILNS1_3genE5ELNS1_11target_archE942ELNS1_3gpuE9ELNS1_3repE0EEENS1_60segmented_radix_sort_warp_sort_medium_config_static_selectorELNS0_4arch9wavefront6targetE1EEEvSK_.num_vgpr, 0
	.set _ZN7rocprim17ROCPRIM_400000_NS6detail17trampoline_kernelINS0_14default_configENS1_36segmented_radix_sort_config_selectorIhlEEZNS1_25segmented_radix_sort_implIS3_Lb0EPKhPhPKlPlN2at6native12_GLOBAL__N_18offset_tEEE10hipError_tPvRmT1_PNSt15iterator_traitsISK_E10value_typeET2_T3_PNSL_ISQ_E10value_typeET4_jRbjT5_SW_jjP12ihipStream_tbEUlT_E0_NS1_11comp_targetILNS1_3genE5ELNS1_11target_archE942ELNS1_3gpuE9ELNS1_3repE0EEENS1_60segmented_radix_sort_warp_sort_medium_config_static_selectorELNS0_4arch9wavefront6targetE1EEEvSK_.num_agpr, 0
	.set _ZN7rocprim17ROCPRIM_400000_NS6detail17trampoline_kernelINS0_14default_configENS1_36segmented_radix_sort_config_selectorIhlEEZNS1_25segmented_radix_sort_implIS3_Lb0EPKhPhPKlPlN2at6native12_GLOBAL__N_18offset_tEEE10hipError_tPvRmT1_PNSt15iterator_traitsISK_E10value_typeET2_T3_PNSL_ISQ_E10value_typeET4_jRbjT5_SW_jjP12ihipStream_tbEUlT_E0_NS1_11comp_targetILNS1_3genE5ELNS1_11target_archE942ELNS1_3gpuE9ELNS1_3repE0EEENS1_60segmented_radix_sort_warp_sort_medium_config_static_selectorELNS0_4arch9wavefront6targetE1EEEvSK_.numbered_sgpr, 0
	.set _ZN7rocprim17ROCPRIM_400000_NS6detail17trampoline_kernelINS0_14default_configENS1_36segmented_radix_sort_config_selectorIhlEEZNS1_25segmented_radix_sort_implIS3_Lb0EPKhPhPKlPlN2at6native12_GLOBAL__N_18offset_tEEE10hipError_tPvRmT1_PNSt15iterator_traitsISK_E10value_typeET2_T3_PNSL_ISQ_E10value_typeET4_jRbjT5_SW_jjP12ihipStream_tbEUlT_E0_NS1_11comp_targetILNS1_3genE5ELNS1_11target_archE942ELNS1_3gpuE9ELNS1_3repE0EEENS1_60segmented_radix_sort_warp_sort_medium_config_static_selectorELNS0_4arch9wavefront6targetE1EEEvSK_.num_named_barrier, 0
	.set _ZN7rocprim17ROCPRIM_400000_NS6detail17trampoline_kernelINS0_14default_configENS1_36segmented_radix_sort_config_selectorIhlEEZNS1_25segmented_radix_sort_implIS3_Lb0EPKhPhPKlPlN2at6native12_GLOBAL__N_18offset_tEEE10hipError_tPvRmT1_PNSt15iterator_traitsISK_E10value_typeET2_T3_PNSL_ISQ_E10value_typeET4_jRbjT5_SW_jjP12ihipStream_tbEUlT_E0_NS1_11comp_targetILNS1_3genE5ELNS1_11target_archE942ELNS1_3gpuE9ELNS1_3repE0EEENS1_60segmented_radix_sort_warp_sort_medium_config_static_selectorELNS0_4arch9wavefront6targetE1EEEvSK_.private_seg_size, 0
	.set _ZN7rocprim17ROCPRIM_400000_NS6detail17trampoline_kernelINS0_14default_configENS1_36segmented_radix_sort_config_selectorIhlEEZNS1_25segmented_radix_sort_implIS3_Lb0EPKhPhPKlPlN2at6native12_GLOBAL__N_18offset_tEEE10hipError_tPvRmT1_PNSt15iterator_traitsISK_E10value_typeET2_T3_PNSL_ISQ_E10value_typeET4_jRbjT5_SW_jjP12ihipStream_tbEUlT_E0_NS1_11comp_targetILNS1_3genE5ELNS1_11target_archE942ELNS1_3gpuE9ELNS1_3repE0EEENS1_60segmented_radix_sort_warp_sort_medium_config_static_selectorELNS0_4arch9wavefront6targetE1EEEvSK_.uses_vcc, 0
	.set _ZN7rocprim17ROCPRIM_400000_NS6detail17trampoline_kernelINS0_14default_configENS1_36segmented_radix_sort_config_selectorIhlEEZNS1_25segmented_radix_sort_implIS3_Lb0EPKhPhPKlPlN2at6native12_GLOBAL__N_18offset_tEEE10hipError_tPvRmT1_PNSt15iterator_traitsISK_E10value_typeET2_T3_PNSL_ISQ_E10value_typeET4_jRbjT5_SW_jjP12ihipStream_tbEUlT_E0_NS1_11comp_targetILNS1_3genE5ELNS1_11target_archE942ELNS1_3gpuE9ELNS1_3repE0EEENS1_60segmented_radix_sort_warp_sort_medium_config_static_selectorELNS0_4arch9wavefront6targetE1EEEvSK_.uses_flat_scratch, 0
	.set _ZN7rocprim17ROCPRIM_400000_NS6detail17trampoline_kernelINS0_14default_configENS1_36segmented_radix_sort_config_selectorIhlEEZNS1_25segmented_radix_sort_implIS3_Lb0EPKhPhPKlPlN2at6native12_GLOBAL__N_18offset_tEEE10hipError_tPvRmT1_PNSt15iterator_traitsISK_E10value_typeET2_T3_PNSL_ISQ_E10value_typeET4_jRbjT5_SW_jjP12ihipStream_tbEUlT_E0_NS1_11comp_targetILNS1_3genE5ELNS1_11target_archE942ELNS1_3gpuE9ELNS1_3repE0EEENS1_60segmented_radix_sort_warp_sort_medium_config_static_selectorELNS0_4arch9wavefront6targetE1EEEvSK_.has_dyn_sized_stack, 0
	.set _ZN7rocprim17ROCPRIM_400000_NS6detail17trampoline_kernelINS0_14default_configENS1_36segmented_radix_sort_config_selectorIhlEEZNS1_25segmented_radix_sort_implIS3_Lb0EPKhPhPKlPlN2at6native12_GLOBAL__N_18offset_tEEE10hipError_tPvRmT1_PNSt15iterator_traitsISK_E10value_typeET2_T3_PNSL_ISQ_E10value_typeET4_jRbjT5_SW_jjP12ihipStream_tbEUlT_E0_NS1_11comp_targetILNS1_3genE5ELNS1_11target_archE942ELNS1_3gpuE9ELNS1_3repE0EEENS1_60segmented_radix_sort_warp_sort_medium_config_static_selectorELNS0_4arch9wavefront6targetE1EEEvSK_.has_recursion, 0
	.set _ZN7rocprim17ROCPRIM_400000_NS6detail17trampoline_kernelINS0_14default_configENS1_36segmented_radix_sort_config_selectorIhlEEZNS1_25segmented_radix_sort_implIS3_Lb0EPKhPhPKlPlN2at6native12_GLOBAL__N_18offset_tEEE10hipError_tPvRmT1_PNSt15iterator_traitsISK_E10value_typeET2_T3_PNSL_ISQ_E10value_typeET4_jRbjT5_SW_jjP12ihipStream_tbEUlT_E0_NS1_11comp_targetILNS1_3genE5ELNS1_11target_archE942ELNS1_3gpuE9ELNS1_3repE0EEENS1_60segmented_radix_sort_warp_sort_medium_config_static_selectorELNS0_4arch9wavefront6targetE1EEEvSK_.has_indirect_call, 0
	.section	.AMDGPU.csdata,"",@progbits
; Kernel info:
; codeLenInByte = 0
; TotalNumSgprs: 4
; NumVgprs: 0
; ScratchSize: 0
; MemoryBound: 0
; FloatMode: 240
; IeeeMode: 1
; LDSByteSize: 0 bytes/workgroup (compile time only)
; SGPRBlocks: 0
; VGPRBlocks: 0
; NumSGPRsForWavesPerEU: 4
; NumVGPRsForWavesPerEU: 1
; Occupancy: 10
; WaveLimiterHint : 0
; COMPUTE_PGM_RSRC2:SCRATCH_EN: 0
; COMPUTE_PGM_RSRC2:USER_SGPR: 6
; COMPUTE_PGM_RSRC2:TRAP_HANDLER: 0
; COMPUTE_PGM_RSRC2:TGID_X_EN: 1
; COMPUTE_PGM_RSRC2:TGID_Y_EN: 0
; COMPUTE_PGM_RSRC2:TGID_Z_EN: 0
; COMPUTE_PGM_RSRC2:TIDIG_COMP_CNT: 0
	.section	.text._ZN7rocprim17ROCPRIM_400000_NS6detail17trampoline_kernelINS0_14default_configENS1_36segmented_radix_sort_config_selectorIhlEEZNS1_25segmented_radix_sort_implIS3_Lb0EPKhPhPKlPlN2at6native12_GLOBAL__N_18offset_tEEE10hipError_tPvRmT1_PNSt15iterator_traitsISK_E10value_typeET2_T3_PNSL_ISQ_E10value_typeET4_jRbjT5_SW_jjP12ihipStream_tbEUlT_E0_NS1_11comp_targetILNS1_3genE4ELNS1_11target_archE910ELNS1_3gpuE8ELNS1_3repE0EEENS1_60segmented_radix_sort_warp_sort_medium_config_static_selectorELNS0_4arch9wavefront6targetE1EEEvSK_,"axG",@progbits,_ZN7rocprim17ROCPRIM_400000_NS6detail17trampoline_kernelINS0_14default_configENS1_36segmented_radix_sort_config_selectorIhlEEZNS1_25segmented_radix_sort_implIS3_Lb0EPKhPhPKlPlN2at6native12_GLOBAL__N_18offset_tEEE10hipError_tPvRmT1_PNSt15iterator_traitsISK_E10value_typeET2_T3_PNSL_ISQ_E10value_typeET4_jRbjT5_SW_jjP12ihipStream_tbEUlT_E0_NS1_11comp_targetILNS1_3genE4ELNS1_11target_archE910ELNS1_3gpuE8ELNS1_3repE0EEENS1_60segmented_radix_sort_warp_sort_medium_config_static_selectorELNS0_4arch9wavefront6targetE1EEEvSK_,comdat
	.globl	_ZN7rocprim17ROCPRIM_400000_NS6detail17trampoline_kernelINS0_14default_configENS1_36segmented_radix_sort_config_selectorIhlEEZNS1_25segmented_radix_sort_implIS3_Lb0EPKhPhPKlPlN2at6native12_GLOBAL__N_18offset_tEEE10hipError_tPvRmT1_PNSt15iterator_traitsISK_E10value_typeET2_T3_PNSL_ISQ_E10value_typeET4_jRbjT5_SW_jjP12ihipStream_tbEUlT_E0_NS1_11comp_targetILNS1_3genE4ELNS1_11target_archE910ELNS1_3gpuE8ELNS1_3repE0EEENS1_60segmented_radix_sort_warp_sort_medium_config_static_selectorELNS0_4arch9wavefront6targetE1EEEvSK_ ; -- Begin function _ZN7rocprim17ROCPRIM_400000_NS6detail17trampoline_kernelINS0_14default_configENS1_36segmented_radix_sort_config_selectorIhlEEZNS1_25segmented_radix_sort_implIS3_Lb0EPKhPhPKlPlN2at6native12_GLOBAL__N_18offset_tEEE10hipError_tPvRmT1_PNSt15iterator_traitsISK_E10value_typeET2_T3_PNSL_ISQ_E10value_typeET4_jRbjT5_SW_jjP12ihipStream_tbEUlT_E0_NS1_11comp_targetILNS1_3genE4ELNS1_11target_archE910ELNS1_3gpuE8ELNS1_3repE0EEENS1_60segmented_radix_sort_warp_sort_medium_config_static_selectorELNS0_4arch9wavefront6targetE1EEEvSK_
	.p2align	8
	.type	_ZN7rocprim17ROCPRIM_400000_NS6detail17trampoline_kernelINS0_14default_configENS1_36segmented_radix_sort_config_selectorIhlEEZNS1_25segmented_radix_sort_implIS3_Lb0EPKhPhPKlPlN2at6native12_GLOBAL__N_18offset_tEEE10hipError_tPvRmT1_PNSt15iterator_traitsISK_E10value_typeET2_T3_PNSL_ISQ_E10value_typeET4_jRbjT5_SW_jjP12ihipStream_tbEUlT_E0_NS1_11comp_targetILNS1_3genE4ELNS1_11target_archE910ELNS1_3gpuE8ELNS1_3repE0EEENS1_60segmented_radix_sort_warp_sort_medium_config_static_selectorELNS0_4arch9wavefront6targetE1EEEvSK_,@function
_ZN7rocprim17ROCPRIM_400000_NS6detail17trampoline_kernelINS0_14default_configENS1_36segmented_radix_sort_config_selectorIhlEEZNS1_25segmented_radix_sort_implIS3_Lb0EPKhPhPKlPlN2at6native12_GLOBAL__N_18offset_tEEE10hipError_tPvRmT1_PNSt15iterator_traitsISK_E10value_typeET2_T3_PNSL_ISQ_E10value_typeET4_jRbjT5_SW_jjP12ihipStream_tbEUlT_E0_NS1_11comp_targetILNS1_3genE4ELNS1_11target_archE910ELNS1_3gpuE8ELNS1_3repE0EEENS1_60segmented_radix_sort_warp_sort_medium_config_static_selectorELNS0_4arch9wavefront6targetE1EEEvSK_: ; @_ZN7rocprim17ROCPRIM_400000_NS6detail17trampoline_kernelINS0_14default_configENS1_36segmented_radix_sort_config_selectorIhlEEZNS1_25segmented_radix_sort_implIS3_Lb0EPKhPhPKlPlN2at6native12_GLOBAL__N_18offset_tEEE10hipError_tPvRmT1_PNSt15iterator_traitsISK_E10value_typeET2_T3_PNSL_ISQ_E10value_typeET4_jRbjT5_SW_jjP12ihipStream_tbEUlT_E0_NS1_11comp_targetILNS1_3genE4ELNS1_11target_archE910ELNS1_3gpuE8ELNS1_3repE0EEENS1_60segmented_radix_sort_warp_sort_medium_config_static_selectorELNS0_4arch9wavefront6targetE1EEEvSK_
; %bb.0:
	.section	.rodata,"a",@progbits
	.p2align	6, 0x0
	.amdhsa_kernel _ZN7rocprim17ROCPRIM_400000_NS6detail17trampoline_kernelINS0_14default_configENS1_36segmented_radix_sort_config_selectorIhlEEZNS1_25segmented_radix_sort_implIS3_Lb0EPKhPhPKlPlN2at6native12_GLOBAL__N_18offset_tEEE10hipError_tPvRmT1_PNSt15iterator_traitsISK_E10value_typeET2_T3_PNSL_ISQ_E10value_typeET4_jRbjT5_SW_jjP12ihipStream_tbEUlT_E0_NS1_11comp_targetILNS1_3genE4ELNS1_11target_archE910ELNS1_3gpuE8ELNS1_3repE0EEENS1_60segmented_radix_sort_warp_sort_medium_config_static_selectorELNS0_4arch9wavefront6targetE1EEEvSK_
		.amdhsa_group_segment_fixed_size 0
		.amdhsa_private_segment_fixed_size 0
		.amdhsa_kernarg_size 88
		.amdhsa_user_sgpr_count 6
		.amdhsa_user_sgpr_private_segment_buffer 1
		.amdhsa_user_sgpr_dispatch_ptr 0
		.amdhsa_user_sgpr_queue_ptr 0
		.amdhsa_user_sgpr_kernarg_segment_ptr 1
		.amdhsa_user_sgpr_dispatch_id 0
		.amdhsa_user_sgpr_flat_scratch_init 0
		.amdhsa_user_sgpr_private_segment_size 0
		.amdhsa_uses_dynamic_stack 0
		.amdhsa_system_sgpr_private_segment_wavefront_offset 0
		.amdhsa_system_sgpr_workgroup_id_x 1
		.amdhsa_system_sgpr_workgroup_id_y 0
		.amdhsa_system_sgpr_workgroup_id_z 0
		.amdhsa_system_sgpr_workgroup_info 0
		.amdhsa_system_vgpr_workitem_id 0
		.amdhsa_next_free_vgpr 1
		.amdhsa_next_free_sgpr 0
		.amdhsa_reserve_vcc 0
		.amdhsa_reserve_flat_scratch 0
		.amdhsa_float_round_mode_32 0
		.amdhsa_float_round_mode_16_64 0
		.amdhsa_float_denorm_mode_32 3
		.amdhsa_float_denorm_mode_16_64 3
		.amdhsa_dx10_clamp 1
		.amdhsa_ieee_mode 1
		.amdhsa_fp16_overflow 0
		.amdhsa_exception_fp_ieee_invalid_op 0
		.amdhsa_exception_fp_denorm_src 0
		.amdhsa_exception_fp_ieee_div_zero 0
		.amdhsa_exception_fp_ieee_overflow 0
		.amdhsa_exception_fp_ieee_underflow 0
		.amdhsa_exception_fp_ieee_inexact 0
		.amdhsa_exception_int_div_zero 0
	.end_amdhsa_kernel
	.section	.text._ZN7rocprim17ROCPRIM_400000_NS6detail17trampoline_kernelINS0_14default_configENS1_36segmented_radix_sort_config_selectorIhlEEZNS1_25segmented_radix_sort_implIS3_Lb0EPKhPhPKlPlN2at6native12_GLOBAL__N_18offset_tEEE10hipError_tPvRmT1_PNSt15iterator_traitsISK_E10value_typeET2_T3_PNSL_ISQ_E10value_typeET4_jRbjT5_SW_jjP12ihipStream_tbEUlT_E0_NS1_11comp_targetILNS1_3genE4ELNS1_11target_archE910ELNS1_3gpuE8ELNS1_3repE0EEENS1_60segmented_radix_sort_warp_sort_medium_config_static_selectorELNS0_4arch9wavefront6targetE1EEEvSK_,"axG",@progbits,_ZN7rocprim17ROCPRIM_400000_NS6detail17trampoline_kernelINS0_14default_configENS1_36segmented_radix_sort_config_selectorIhlEEZNS1_25segmented_radix_sort_implIS3_Lb0EPKhPhPKlPlN2at6native12_GLOBAL__N_18offset_tEEE10hipError_tPvRmT1_PNSt15iterator_traitsISK_E10value_typeET2_T3_PNSL_ISQ_E10value_typeET4_jRbjT5_SW_jjP12ihipStream_tbEUlT_E0_NS1_11comp_targetILNS1_3genE4ELNS1_11target_archE910ELNS1_3gpuE8ELNS1_3repE0EEENS1_60segmented_radix_sort_warp_sort_medium_config_static_selectorELNS0_4arch9wavefront6targetE1EEEvSK_,comdat
.Lfunc_end198:
	.size	_ZN7rocprim17ROCPRIM_400000_NS6detail17trampoline_kernelINS0_14default_configENS1_36segmented_radix_sort_config_selectorIhlEEZNS1_25segmented_radix_sort_implIS3_Lb0EPKhPhPKlPlN2at6native12_GLOBAL__N_18offset_tEEE10hipError_tPvRmT1_PNSt15iterator_traitsISK_E10value_typeET2_T3_PNSL_ISQ_E10value_typeET4_jRbjT5_SW_jjP12ihipStream_tbEUlT_E0_NS1_11comp_targetILNS1_3genE4ELNS1_11target_archE910ELNS1_3gpuE8ELNS1_3repE0EEENS1_60segmented_radix_sort_warp_sort_medium_config_static_selectorELNS0_4arch9wavefront6targetE1EEEvSK_, .Lfunc_end198-_ZN7rocprim17ROCPRIM_400000_NS6detail17trampoline_kernelINS0_14default_configENS1_36segmented_radix_sort_config_selectorIhlEEZNS1_25segmented_radix_sort_implIS3_Lb0EPKhPhPKlPlN2at6native12_GLOBAL__N_18offset_tEEE10hipError_tPvRmT1_PNSt15iterator_traitsISK_E10value_typeET2_T3_PNSL_ISQ_E10value_typeET4_jRbjT5_SW_jjP12ihipStream_tbEUlT_E0_NS1_11comp_targetILNS1_3genE4ELNS1_11target_archE910ELNS1_3gpuE8ELNS1_3repE0EEENS1_60segmented_radix_sort_warp_sort_medium_config_static_selectorELNS0_4arch9wavefront6targetE1EEEvSK_
                                        ; -- End function
	.set _ZN7rocprim17ROCPRIM_400000_NS6detail17trampoline_kernelINS0_14default_configENS1_36segmented_radix_sort_config_selectorIhlEEZNS1_25segmented_radix_sort_implIS3_Lb0EPKhPhPKlPlN2at6native12_GLOBAL__N_18offset_tEEE10hipError_tPvRmT1_PNSt15iterator_traitsISK_E10value_typeET2_T3_PNSL_ISQ_E10value_typeET4_jRbjT5_SW_jjP12ihipStream_tbEUlT_E0_NS1_11comp_targetILNS1_3genE4ELNS1_11target_archE910ELNS1_3gpuE8ELNS1_3repE0EEENS1_60segmented_radix_sort_warp_sort_medium_config_static_selectorELNS0_4arch9wavefront6targetE1EEEvSK_.num_vgpr, 0
	.set _ZN7rocprim17ROCPRIM_400000_NS6detail17trampoline_kernelINS0_14default_configENS1_36segmented_radix_sort_config_selectorIhlEEZNS1_25segmented_radix_sort_implIS3_Lb0EPKhPhPKlPlN2at6native12_GLOBAL__N_18offset_tEEE10hipError_tPvRmT1_PNSt15iterator_traitsISK_E10value_typeET2_T3_PNSL_ISQ_E10value_typeET4_jRbjT5_SW_jjP12ihipStream_tbEUlT_E0_NS1_11comp_targetILNS1_3genE4ELNS1_11target_archE910ELNS1_3gpuE8ELNS1_3repE0EEENS1_60segmented_radix_sort_warp_sort_medium_config_static_selectorELNS0_4arch9wavefront6targetE1EEEvSK_.num_agpr, 0
	.set _ZN7rocprim17ROCPRIM_400000_NS6detail17trampoline_kernelINS0_14default_configENS1_36segmented_radix_sort_config_selectorIhlEEZNS1_25segmented_radix_sort_implIS3_Lb0EPKhPhPKlPlN2at6native12_GLOBAL__N_18offset_tEEE10hipError_tPvRmT1_PNSt15iterator_traitsISK_E10value_typeET2_T3_PNSL_ISQ_E10value_typeET4_jRbjT5_SW_jjP12ihipStream_tbEUlT_E0_NS1_11comp_targetILNS1_3genE4ELNS1_11target_archE910ELNS1_3gpuE8ELNS1_3repE0EEENS1_60segmented_radix_sort_warp_sort_medium_config_static_selectorELNS0_4arch9wavefront6targetE1EEEvSK_.numbered_sgpr, 0
	.set _ZN7rocprim17ROCPRIM_400000_NS6detail17trampoline_kernelINS0_14default_configENS1_36segmented_radix_sort_config_selectorIhlEEZNS1_25segmented_radix_sort_implIS3_Lb0EPKhPhPKlPlN2at6native12_GLOBAL__N_18offset_tEEE10hipError_tPvRmT1_PNSt15iterator_traitsISK_E10value_typeET2_T3_PNSL_ISQ_E10value_typeET4_jRbjT5_SW_jjP12ihipStream_tbEUlT_E0_NS1_11comp_targetILNS1_3genE4ELNS1_11target_archE910ELNS1_3gpuE8ELNS1_3repE0EEENS1_60segmented_radix_sort_warp_sort_medium_config_static_selectorELNS0_4arch9wavefront6targetE1EEEvSK_.num_named_barrier, 0
	.set _ZN7rocprim17ROCPRIM_400000_NS6detail17trampoline_kernelINS0_14default_configENS1_36segmented_radix_sort_config_selectorIhlEEZNS1_25segmented_radix_sort_implIS3_Lb0EPKhPhPKlPlN2at6native12_GLOBAL__N_18offset_tEEE10hipError_tPvRmT1_PNSt15iterator_traitsISK_E10value_typeET2_T3_PNSL_ISQ_E10value_typeET4_jRbjT5_SW_jjP12ihipStream_tbEUlT_E0_NS1_11comp_targetILNS1_3genE4ELNS1_11target_archE910ELNS1_3gpuE8ELNS1_3repE0EEENS1_60segmented_radix_sort_warp_sort_medium_config_static_selectorELNS0_4arch9wavefront6targetE1EEEvSK_.private_seg_size, 0
	.set _ZN7rocprim17ROCPRIM_400000_NS6detail17trampoline_kernelINS0_14default_configENS1_36segmented_radix_sort_config_selectorIhlEEZNS1_25segmented_radix_sort_implIS3_Lb0EPKhPhPKlPlN2at6native12_GLOBAL__N_18offset_tEEE10hipError_tPvRmT1_PNSt15iterator_traitsISK_E10value_typeET2_T3_PNSL_ISQ_E10value_typeET4_jRbjT5_SW_jjP12ihipStream_tbEUlT_E0_NS1_11comp_targetILNS1_3genE4ELNS1_11target_archE910ELNS1_3gpuE8ELNS1_3repE0EEENS1_60segmented_radix_sort_warp_sort_medium_config_static_selectorELNS0_4arch9wavefront6targetE1EEEvSK_.uses_vcc, 0
	.set _ZN7rocprim17ROCPRIM_400000_NS6detail17trampoline_kernelINS0_14default_configENS1_36segmented_radix_sort_config_selectorIhlEEZNS1_25segmented_radix_sort_implIS3_Lb0EPKhPhPKlPlN2at6native12_GLOBAL__N_18offset_tEEE10hipError_tPvRmT1_PNSt15iterator_traitsISK_E10value_typeET2_T3_PNSL_ISQ_E10value_typeET4_jRbjT5_SW_jjP12ihipStream_tbEUlT_E0_NS1_11comp_targetILNS1_3genE4ELNS1_11target_archE910ELNS1_3gpuE8ELNS1_3repE0EEENS1_60segmented_radix_sort_warp_sort_medium_config_static_selectorELNS0_4arch9wavefront6targetE1EEEvSK_.uses_flat_scratch, 0
	.set _ZN7rocprim17ROCPRIM_400000_NS6detail17trampoline_kernelINS0_14default_configENS1_36segmented_radix_sort_config_selectorIhlEEZNS1_25segmented_radix_sort_implIS3_Lb0EPKhPhPKlPlN2at6native12_GLOBAL__N_18offset_tEEE10hipError_tPvRmT1_PNSt15iterator_traitsISK_E10value_typeET2_T3_PNSL_ISQ_E10value_typeET4_jRbjT5_SW_jjP12ihipStream_tbEUlT_E0_NS1_11comp_targetILNS1_3genE4ELNS1_11target_archE910ELNS1_3gpuE8ELNS1_3repE0EEENS1_60segmented_radix_sort_warp_sort_medium_config_static_selectorELNS0_4arch9wavefront6targetE1EEEvSK_.has_dyn_sized_stack, 0
	.set _ZN7rocprim17ROCPRIM_400000_NS6detail17trampoline_kernelINS0_14default_configENS1_36segmented_radix_sort_config_selectorIhlEEZNS1_25segmented_radix_sort_implIS3_Lb0EPKhPhPKlPlN2at6native12_GLOBAL__N_18offset_tEEE10hipError_tPvRmT1_PNSt15iterator_traitsISK_E10value_typeET2_T3_PNSL_ISQ_E10value_typeET4_jRbjT5_SW_jjP12ihipStream_tbEUlT_E0_NS1_11comp_targetILNS1_3genE4ELNS1_11target_archE910ELNS1_3gpuE8ELNS1_3repE0EEENS1_60segmented_radix_sort_warp_sort_medium_config_static_selectorELNS0_4arch9wavefront6targetE1EEEvSK_.has_recursion, 0
	.set _ZN7rocprim17ROCPRIM_400000_NS6detail17trampoline_kernelINS0_14default_configENS1_36segmented_radix_sort_config_selectorIhlEEZNS1_25segmented_radix_sort_implIS3_Lb0EPKhPhPKlPlN2at6native12_GLOBAL__N_18offset_tEEE10hipError_tPvRmT1_PNSt15iterator_traitsISK_E10value_typeET2_T3_PNSL_ISQ_E10value_typeET4_jRbjT5_SW_jjP12ihipStream_tbEUlT_E0_NS1_11comp_targetILNS1_3genE4ELNS1_11target_archE910ELNS1_3gpuE8ELNS1_3repE0EEENS1_60segmented_radix_sort_warp_sort_medium_config_static_selectorELNS0_4arch9wavefront6targetE1EEEvSK_.has_indirect_call, 0
	.section	.AMDGPU.csdata,"",@progbits
; Kernel info:
; codeLenInByte = 0
; TotalNumSgprs: 4
; NumVgprs: 0
; ScratchSize: 0
; MemoryBound: 0
; FloatMode: 240
; IeeeMode: 1
; LDSByteSize: 0 bytes/workgroup (compile time only)
; SGPRBlocks: 0
; VGPRBlocks: 0
; NumSGPRsForWavesPerEU: 4
; NumVGPRsForWavesPerEU: 1
; Occupancy: 10
; WaveLimiterHint : 0
; COMPUTE_PGM_RSRC2:SCRATCH_EN: 0
; COMPUTE_PGM_RSRC2:USER_SGPR: 6
; COMPUTE_PGM_RSRC2:TRAP_HANDLER: 0
; COMPUTE_PGM_RSRC2:TGID_X_EN: 1
; COMPUTE_PGM_RSRC2:TGID_Y_EN: 0
; COMPUTE_PGM_RSRC2:TGID_Z_EN: 0
; COMPUTE_PGM_RSRC2:TIDIG_COMP_CNT: 0
	.section	.text._ZN7rocprim17ROCPRIM_400000_NS6detail17trampoline_kernelINS0_14default_configENS1_36segmented_radix_sort_config_selectorIhlEEZNS1_25segmented_radix_sort_implIS3_Lb0EPKhPhPKlPlN2at6native12_GLOBAL__N_18offset_tEEE10hipError_tPvRmT1_PNSt15iterator_traitsISK_E10value_typeET2_T3_PNSL_ISQ_E10value_typeET4_jRbjT5_SW_jjP12ihipStream_tbEUlT_E0_NS1_11comp_targetILNS1_3genE3ELNS1_11target_archE908ELNS1_3gpuE7ELNS1_3repE0EEENS1_60segmented_radix_sort_warp_sort_medium_config_static_selectorELNS0_4arch9wavefront6targetE1EEEvSK_,"axG",@progbits,_ZN7rocprim17ROCPRIM_400000_NS6detail17trampoline_kernelINS0_14default_configENS1_36segmented_radix_sort_config_selectorIhlEEZNS1_25segmented_radix_sort_implIS3_Lb0EPKhPhPKlPlN2at6native12_GLOBAL__N_18offset_tEEE10hipError_tPvRmT1_PNSt15iterator_traitsISK_E10value_typeET2_T3_PNSL_ISQ_E10value_typeET4_jRbjT5_SW_jjP12ihipStream_tbEUlT_E0_NS1_11comp_targetILNS1_3genE3ELNS1_11target_archE908ELNS1_3gpuE7ELNS1_3repE0EEENS1_60segmented_radix_sort_warp_sort_medium_config_static_selectorELNS0_4arch9wavefront6targetE1EEEvSK_,comdat
	.globl	_ZN7rocprim17ROCPRIM_400000_NS6detail17trampoline_kernelINS0_14default_configENS1_36segmented_radix_sort_config_selectorIhlEEZNS1_25segmented_radix_sort_implIS3_Lb0EPKhPhPKlPlN2at6native12_GLOBAL__N_18offset_tEEE10hipError_tPvRmT1_PNSt15iterator_traitsISK_E10value_typeET2_T3_PNSL_ISQ_E10value_typeET4_jRbjT5_SW_jjP12ihipStream_tbEUlT_E0_NS1_11comp_targetILNS1_3genE3ELNS1_11target_archE908ELNS1_3gpuE7ELNS1_3repE0EEENS1_60segmented_radix_sort_warp_sort_medium_config_static_selectorELNS0_4arch9wavefront6targetE1EEEvSK_ ; -- Begin function _ZN7rocprim17ROCPRIM_400000_NS6detail17trampoline_kernelINS0_14default_configENS1_36segmented_radix_sort_config_selectorIhlEEZNS1_25segmented_radix_sort_implIS3_Lb0EPKhPhPKlPlN2at6native12_GLOBAL__N_18offset_tEEE10hipError_tPvRmT1_PNSt15iterator_traitsISK_E10value_typeET2_T3_PNSL_ISQ_E10value_typeET4_jRbjT5_SW_jjP12ihipStream_tbEUlT_E0_NS1_11comp_targetILNS1_3genE3ELNS1_11target_archE908ELNS1_3gpuE7ELNS1_3repE0EEENS1_60segmented_radix_sort_warp_sort_medium_config_static_selectorELNS0_4arch9wavefront6targetE1EEEvSK_
	.p2align	8
	.type	_ZN7rocprim17ROCPRIM_400000_NS6detail17trampoline_kernelINS0_14default_configENS1_36segmented_radix_sort_config_selectorIhlEEZNS1_25segmented_radix_sort_implIS3_Lb0EPKhPhPKlPlN2at6native12_GLOBAL__N_18offset_tEEE10hipError_tPvRmT1_PNSt15iterator_traitsISK_E10value_typeET2_T3_PNSL_ISQ_E10value_typeET4_jRbjT5_SW_jjP12ihipStream_tbEUlT_E0_NS1_11comp_targetILNS1_3genE3ELNS1_11target_archE908ELNS1_3gpuE7ELNS1_3repE0EEENS1_60segmented_radix_sort_warp_sort_medium_config_static_selectorELNS0_4arch9wavefront6targetE1EEEvSK_,@function
_ZN7rocprim17ROCPRIM_400000_NS6detail17trampoline_kernelINS0_14default_configENS1_36segmented_radix_sort_config_selectorIhlEEZNS1_25segmented_radix_sort_implIS3_Lb0EPKhPhPKlPlN2at6native12_GLOBAL__N_18offset_tEEE10hipError_tPvRmT1_PNSt15iterator_traitsISK_E10value_typeET2_T3_PNSL_ISQ_E10value_typeET4_jRbjT5_SW_jjP12ihipStream_tbEUlT_E0_NS1_11comp_targetILNS1_3genE3ELNS1_11target_archE908ELNS1_3gpuE7ELNS1_3repE0EEENS1_60segmented_radix_sort_warp_sort_medium_config_static_selectorELNS0_4arch9wavefront6targetE1EEEvSK_: ; @_ZN7rocprim17ROCPRIM_400000_NS6detail17trampoline_kernelINS0_14default_configENS1_36segmented_radix_sort_config_selectorIhlEEZNS1_25segmented_radix_sort_implIS3_Lb0EPKhPhPKlPlN2at6native12_GLOBAL__N_18offset_tEEE10hipError_tPvRmT1_PNSt15iterator_traitsISK_E10value_typeET2_T3_PNSL_ISQ_E10value_typeET4_jRbjT5_SW_jjP12ihipStream_tbEUlT_E0_NS1_11comp_targetILNS1_3genE3ELNS1_11target_archE908ELNS1_3gpuE7ELNS1_3repE0EEENS1_60segmented_radix_sort_warp_sort_medium_config_static_selectorELNS0_4arch9wavefront6targetE1EEEvSK_
; %bb.0:
	.section	.rodata,"a",@progbits
	.p2align	6, 0x0
	.amdhsa_kernel _ZN7rocprim17ROCPRIM_400000_NS6detail17trampoline_kernelINS0_14default_configENS1_36segmented_radix_sort_config_selectorIhlEEZNS1_25segmented_radix_sort_implIS3_Lb0EPKhPhPKlPlN2at6native12_GLOBAL__N_18offset_tEEE10hipError_tPvRmT1_PNSt15iterator_traitsISK_E10value_typeET2_T3_PNSL_ISQ_E10value_typeET4_jRbjT5_SW_jjP12ihipStream_tbEUlT_E0_NS1_11comp_targetILNS1_3genE3ELNS1_11target_archE908ELNS1_3gpuE7ELNS1_3repE0EEENS1_60segmented_radix_sort_warp_sort_medium_config_static_selectorELNS0_4arch9wavefront6targetE1EEEvSK_
		.amdhsa_group_segment_fixed_size 0
		.amdhsa_private_segment_fixed_size 0
		.amdhsa_kernarg_size 88
		.amdhsa_user_sgpr_count 6
		.amdhsa_user_sgpr_private_segment_buffer 1
		.amdhsa_user_sgpr_dispatch_ptr 0
		.amdhsa_user_sgpr_queue_ptr 0
		.amdhsa_user_sgpr_kernarg_segment_ptr 1
		.amdhsa_user_sgpr_dispatch_id 0
		.amdhsa_user_sgpr_flat_scratch_init 0
		.amdhsa_user_sgpr_private_segment_size 0
		.amdhsa_uses_dynamic_stack 0
		.amdhsa_system_sgpr_private_segment_wavefront_offset 0
		.amdhsa_system_sgpr_workgroup_id_x 1
		.amdhsa_system_sgpr_workgroup_id_y 0
		.amdhsa_system_sgpr_workgroup_id_z 0
		.amdhsa_system_sgpr_workgroup_info 0
		.amdhsa_system_vgpr_workitem_id 0
		.amdhsa_next_free_vgpr 1
		.amdhsa_next_free_sgpr 0
		.amdhsa_reserve_vcc 0
		.amdhsa_reserve_flat_scratch 0
		.amdhsa_float_round_mode_32 0
		.amdhsa_float_round_mode_16_64 0
		.amdhsa_float_denorm_mode_32 3
		.amdhsa_float_denorm_mode_16_64 3
		.amdhsa_dx10_clamp 1
		.amdhsa_ieee_mode 1
		.amdhsa_fp16_overflow 0
		.amdhsa_exception_fp_ieee_invalid_op 0
		.amdhsa_exception_fp_denorm_src 0
		.amdhsa_exception_fp_ieee_div_zero 0
		.amdhsa_exception_fp_ieee_overflow 0
		.amdhsa_exception_fp_ieee_underflow 0
		.amdhsa_exception_fp_ieee_inexact 0
		.amdhsa_exception_int_div_zero 0
	.end_amdhsa_kernel
	.section	.text._ZN7rocprim17ROCPRIM_400000_NS6detail17trampoline_kernelINS0_14default_configENS1_36segmented_radix_sort_config_selectorIhlEEZNS1_25segmented_radix_sort_implIS3_Lb0EPKhPhPKlPlN2at6native12_GLOBAL__N_18offset_tEEE10hipError_tPvRmT1_PNSt15iterator_traitsISK_E10value_typeET2_T3_PNSL_ISQ_E10value_typeET4_jRbjT5_SW_jjP12ihipStream_tbEUlT_E0_NS1_11comp_targetILNS1_3genE3ELNS1_11target_archE908ELNS1_3gpuE7ELNS1_3repE0EEENS1_60segmented_radix_sort_warp_sort_medium_config_static_selectorELNS0_4arch9wavefront6targetE1EEEvSK_,"axG",@progbits,_ZN7rocprim17ROCPRIM_400000_NS6detail17trampoline_kernelINS0_14default_configENS1_36segmented_radix_sort_config_selectorIhlEEZNS1_25segmented_radix_sort_implIS3_Lb0EPKhPhPKlPlN2at6native12_GLOBAL__N_18offset_tEEE10hipError_tPvRmT1_PNSt15iterator_traitsISK_E10value_typeET2_T3_PNSL_ISQ_E10value_typeET4_jRbjT5_SW_jjP12ihipStream_tbEUlT_E0_NS1_11comp_targetILNS1_3genE3ELNS1_11target_archE908ELNS1_3gpuE7ELNS1_3repE0EEENS1_60segmented_radix_sort_warp_sort_medium_config_static_selectorELNS0_4arch9wavefront6targetE1EEEvSK_,comdat
.Lfunc_end199:
	.size	_ZN7rocprim17ROCPRIM_400000_NS6detail17trampoline_kernelINS0_14default_configENS1_36segmented_radix_sort_config_selectorIhlEEZNS1_25segmented_radix_sort_implIS3_Lb0EPKhPhPKlPlN2at6native12_GLOBAL__N_18offset_tEEE10hipError_tPvRmT1_PNSt15iterator_traitsISK_E10value_typeET2_T3_PNSL_ISQ_E10value_typeET4_jRbjT5_SW_jjP12ihipStream_tbEUlT_E0_NS1_11comp_targetILNS1_3genE3ELNS1_11target_archE908ELNS1_3gpuE7ELNS1_3repE0EEENS1_60segmented_radix_sort_warp_sort_medium_config_static_selectorELNS0_4arch9wavefront6targetE1EEEvSK_, .Lfunc_end199-_ZN7rocprim17ROCPRIM_400000_NS6detail17trampoline_kernelINS0_14default_configENS1_36segmented_radix_sort_config_selectorIhlEEZNS1_25segmented_radix_sort_implIS3_Lb0EPKhPhPKlPlN2at6native12_GLOBAL__N_18offset_tEEE10hipError_tPvRmT1_PNSt15iterator_traitsISK_E10value_typeET2_T3_PNSL_ISQ_E10value_typeET4_jRbjT5_SW_jjP12ihipStream_tbEUlT_E0_NS1_11comp_targetILNS1_3genE3ELNS1_11target_archE908ELNS1_3gpuE7ELNS1_3repE0EEENS1_60segmented_radix_sort_warp_sort_medium_config_static_selectorELNS0_4arch9wavefront6targetE1EEEvSK_
                                        ; -- End function
	.set _ZN7rocprim17ROCPRIM_400000_NS6detail17trampoline_kernelINS0_14default_configENS1_36segmented_radix_sort_config_selectorIhlEEZNS1_25segmented_radix_sort_implIS3_Lb0EPKhPhPKlPlN2at6native12_GLOBAL__N_18offset_tEEE10hipError_tPvRmT1_PNSt15iterator_traitsISK_E10value_typeET2_T3_PNSL_ISQ_E10value_typeET4_jRbjT5_SW_jjP12ihipStream_tbEUlT_E0_NS1_11comp_targetILNS1_3genE3ELNS1_11target_archE908ELNS1_3gpuE7ELNS1_3repE0EEENS1_60segmented_radix_sort_warp_sort_medium_config_static_selectorELNS0_4arch9wavefront6targetE1EEEvSK_.num_vgpr, 0
	.set _ZN7rocprim17ROCPRIM_400000_NS6detail17trampoline_kernelINS0_14default_configENS1_36segmented_radix_sort_config_selectorIhlEEZNS1_25segmented_radix_sort_implIS3_Lb0EPKhPhPKlPlN2at6native12_GLOBAL__N_18offset_tEEE10hipError_tPvRmT1_PNSt15iterator_traitsISK_E10value_typeET2_T3_PNSL_ISQ_E10value_typeET4_jRbjT5_SW_jjP12ihipStream_tbEUlT_E0_NS1_11comp_targetILNS1_3genE3ELNS1_11target_archE908ELNS1_3gpuE7ELNS1_3repE0EEENS1_60segmented_radix_sort_warp_sort_medium_config_static_selectorELNS0_4arch9wavefront6targetE1EEEvSK_.num_agpr, 0
	.set _ZN7rocprim17ROCPRIM_400000_NS6detail17trampoline_kernelINS0_14default_configENS1_36segmented_radix_sort_config_selectorIhlEEZNS1_25segmented_radix_sort_implIS3_Lb0EPKhPhPKlPlN2at6native12_GLOBAL__N_18offset_tEEE10hipError_tPvRmT1_PNSt15iterator_traitsISK_E10value_typeET2_T3_PNSL_ISQ_E10value_typeET4_jRbjT5_SW_jjP12ihipStream_tbEUlT_E0_NS1_11comp_targetILNS1_3genE3ELNS1_11target_archE908ELNS1_3gpuE7ELNS1_3repE0EEENS1_60segmented_radix_sort_warp_sort_medium_config_static_selectorELNS0_4arch9wavefront6targetE1EEEvSK_.numbered_sgpr, 0
	.set _ZN7rocprim17ROCPRIM_400000_NS6detail17trampoline_kernelINS0_14default_configENS1_36segmented_radix_sort_config_selectorIhlEEZNS1_25segmented_radix_sort_implIS3_Lb0EPKhPhPKlPlN2at6native12_GLOBAL__N_18offset_tEEE10hipError_tPvRmT1_PNSt15iterator_traitsISK_E10value_typeET2_T3_PNSL_ISQ_E10value_typeET4_jRbjT5_SW_jjP12ihipStream_tbEUlT_E0_NS1_11comp_targetILNS1_3genE3ELNS1_11target_archE908ELNS1_3gpuE7ELNS1_3repE0EEENS1_60segmented_radix_sort_warp_sort_medium_config_static_selectorELNS0_4arch9wavefront6targetE1EEEvSK_.num_named_barrier, 0
	.set _ZN7rocprim17ROCPRIM_400000_NS6detail17trampoline_kernelINS0_14default_configENS1_36segmented_radix_sort_config_selectorIhlEEZNS1_25segmented_radix_sort_implIS3_Lb0EPKhPhPKlPlN2at6native12_GLOBAL__N_18offset_tEEE10hipError_tPvRmT1_PNSt15iterator_traitsISK_E10value_typeET2_T3_PNSL_ISQ_E10value_typeET4_jRbjT5_SW_jjP12ihipStream_tbEUlT_E0_NS1_11comp_targetILNS1_3genE3ELNS1_11target_archE908ELNS1_3gpuE7ELNS1_3repE0EEENS1_60segmented_radix_sort_warp_sort_medium_config_static_selectorELNS0_4arch9wavefront6targetE1EEEvSK_.private_seg_size, 0
	.set _ZN7rocprim17ROCPRIM_400000_NS6detail17trampoline_kernelINS0_14default_configENS1_36segmented_radix_sort_config_selectorIhlEEZNS1_25segmented_radix_sort_implIS3_Lb0EPKhPhPKlPlN2at6native12_GLOBAL__N_18offset_tEEE10hipError_tPvRmT1_PNSt15iterator_traitsISK_E10value_typeET2_T3_PNSL_ISQ_E10value_typeET4_jRbjT5_SW_jjP12ihipStream_tbEUlT_E0_NS1_11comp_targetILNS1_3genE3ELNS1_11target_archE908ELNS1_3gpuE7ELNS1_3repE0EEENS1_60segmented_radix_sort_warp_sort_medium_config_static_selectorELNS0_4arch9wavefront6targetE1EEEvSK_.uses_vcc, 0
	.set _ZN7rocprim17ROCPRIM_400000_NS6detail17trampoline_kernelINS0_14default_configENS1_36segmented_radix_sort_config_selectorIhlEEZNS1_25segmented_radix_sort_implIS3_Lb0EPKhPhPKlPlN2at6native12_GLOBAL__N_18offset_tEEE10hipError_tPvRmT1_PNSt15iterator_traitsISK_E10value_typeET2_T3_PNSL_ISQ_E10value_typeET4_jRbjT5_SW_jjP12ihipStream_tbEUlT_E0_NS1_11comp_targetILNS1_3genE3ELNS1_11target_archE908ELNS1_3gpuE7ELNS1_3repE0EEENS1_60segmented_radix_sort_warp_sort_medium_config_static_selectorELNS0_4arch9wavefront6targetE1EEEvSK_.uses_flat_scratch, 0
	.set _ZN7rocprim17ROCPRIM_400000_NS6detail17trampoline_kernelINS0_14default_configENS1_36segmented_radix_sort_config_selectorIhlEEZNS1_25segmented_radix_sort_implIS3_Lb0EPKhPhPKlPlN2at6native12_GLOBAL__N_18offset_tEEE10hipError_tPvRmT1_PNSt15iterator_traitsISK_E10value_typeET2_T3_PNSL_ISQ_E10value_typeET4_jRbjT5_SW_jjP12ihipStream_tbEUlT_E0_NS1_11comp_targetILNS1_3genE3ELNS1_11target_archE908ELNS1_3gpuE7ELNS1_3repE0EEENS1_60segmented_radix_sort_warp_sort_medium_config_static_selectorELNS0_4arch9wavefront6targetE1EEEvSK_.has_dyn_sized_stack, 0
	.set _ZN7rocprim17ROCPRIM_400000_NS6detail17trampoline_kernelINS0_14default_configENS1_36segmented_radix_sort_config_selectorIhlEEZNS1_25segmented_radix_sort_implIS3_Lb0EPKhPhPKlPlN2at6native12_GLOBAL__N_18offset_tEEE10hipError_tPvRmT1_PNSt15iterator_traitsISK_E10value_typeET2_T3_PNSL_ISQ_E10value_typeET4_jRbjT5_SW_jjP12ihipStream_tbEUlT_E0_NS1_11comp_targetILNS1_3genE3ELNS1_11target_archE908ELNS1_3gpuE7ELNS1_3repE0EEENS1_60segmented_radix_sort_warp_sort_medium_config_static_selectorELNS0_4arch9wavefront6targetE1EEEvSK_.has_recursion, 0
	.set _ZN7rocprim17ROCPRIM_400000_NS6detail17trampoline_kernelINS0_14default_configENS1_36segmented_radix_sort_config_selectorIhlEEZNS1_25segmented_radix_sort_implIS3_Lb0EPKhPhPKlPlN2at6native12_GLOBAL__N_18offset_tEEE10hipError_tPvRmT1_PNSt15iterator_traitsISK_E10value_typeET2_T3_PNSL_ISQ_E10value_typeET4_jRbjT5_SW_jjP12ihipStream_tbEUlT_E0_NS1_11comp_targetILNS1_3genE3ELNS1_11target_archE908ELNS1_3gpuE7ELNS1_3repE0EEENS1_60segmented_radix_sort_warp_sort_medium_config_static_selectorELNS0_4arch9wavefront6targetE1EEEvSK_.has_indirect_call, 0
	.section	.AMDGPU.csdata,"",@progbits
; Kernel info:
; codeLenInByte = 0
; TotalNumSgprs: 4
; NumVgprs: 0
; ScratchSize: 0
; MemoryBound: 0
; FloatMode: 240
; IeeeMode: 1
; LDSByteSize: 0 bytes/workgroup (compile time only)
; SGPRBlocks: 0
; VGPRBlocks: 0
; NumSGPRsForWavesPerEU: 4
; NumVGPRsForWavesPerEU: 1
; Occupancy: 10
; WaveLimiterHint : 0
; COMPUTE_PGM_RSRC2:SCRATCH_EN: 0
; COMPUTE_PGM_RSRC2:USER_SGPR: 6
; COMPUTE_PGM_RSRC2:TRAP_HANDLER: 0
; COMPUTE_PGM_RSRC2:TGID_X_EN: 1
; COMPUTE_PGM_RSRC2:TGID_Y_EN: 0
; COMPUTE_PGM_RSRC2:TGID_Z_EN: 0
; COMPUTE_PGM_RSRC2:TIDIG_COMP_CNT: 0
	.text
	.p2align	2                               ; -- Begin function _ZN7rocprim17ROCPRIM_400000_NS6detail26segmented_warp_sort_helperINS1_20WarpSortHelperConfigILj16ELj8ELj256EEEhlLi256ELb0EvE4sortIPKhPhPKlPlEEvT_T0_T1_T2_jjjjRNS5_12storage_typeE
	.type	_ZN7rocprim17ROCPRIM_400000_NS6detail26segmented_warp_sort_helperINS1_20WarpSortHelperConfigILj16ELj8ELj256EEEhlLi256ELb0EvE4sortIPKhPhPKlPlEEvT_T0_T1_T2_jjjjRNS5_12storage_typeE,@function
_ZN7rocprim17ROCPRIM_400000_NS6detail26segmented_warp_sort_helperINS1_20WarpSortHelperConfigILj16ELj8ELj256EEEhlLi256ELb0EvE4sortIPKhPhPKlPlEEvT_T0_T1_T2_jjjjRNS5_12storage_typeE: ; @_ZN7rocprim17ROCPRIM_400000_NS6detail26segmented_warp_sort_helperINS1_20WarpSortHelperConfigILj16ELj8ELj256EEEhlLi256ELb0EvE4sortIPKhPhPKlPlEEvT_T0_T1_T2_jjjjRNS5_12storage_typeE
; %bb.0:
	s_waitcnt vmcnt(0) expcnt(0) lgkmcnt(0)
	v_mbcnt_lo_u32_b32 v13, -1, 0
	v_mbcnt_hi_u32_b32 v13, -1, v13
	v_add_co_u32_e32 v0, vcc, v0, v8
	v_lshlrev_b32_e32 v34, 3, v13
	v_addc_co_u32_e32 v1, vcc, 0, v1, vcc
	v_and_b32_e32 v32, 0x78, v34
	v_add_co_u32_e32 v0, vcc, v0, v32
	v_sub_u32_e32 v12, v9, v8
	v_addc_co_u32_e32 v1, vcc, 0, v1, vcc
	v_mov_b32_e32 v20, 0xff
	v_mov_b32_e32 v9, 0
	v_cmp_lt_u32_e32 vcc, v32, v12
	v_mov_b32_e32 v37, 0xff
	v_mov_b32_e32 v35, 0xff
	v_mov_b32_e32 v21, v20
	v_mov_b32_e32 v36, 0xff
	v_mov_b32_e32 v39, v20
	v_mov_b32_e32 v38, v20
	v_mov_b32_e32 v24, 0xff
	s_and_saveexec_b64 s[4:5], vcc
	s_cbranch_execz .LBB200_2
; %bb.1:
	flat_load_ubyte v20, v[0:1]
	v_mov_b32_e32 v35, 0xff
	v_mov_b32_e32 v37, 0xff
	;; [unrolled: 1-line block ×7, first 2 shown]
.LBB200_2:
	s_or_b64 exec, exec, s[4:5]
	v_or_b32_e32 v13, 1, v32
	v_cmp_lt_u32_e64 s[4:5], v13, v12
	s_and_saveexec_b64 s[6:7], s[4:5]
	s_cbranch_execz .LBB200_4
; %bb.3:
	flat_load_ubyte v35, v[0:1] offset:1
.LBB200_4:
	s_or_b64 exec, exec, s[6:7]
	v_or_b32_e32 v13, 2, v32
	v_cmp_lt_u32_e64 s[6:7], v13, v12
	s_and_saveexec_b64 s[10:11], s[6:7]
	s_cbranch_execz .LBB200_6
; %bb.5:
	flat_load_ubyte v36, v[0:1] offset:2
.LBB200_6:
	;; [unrolled: 8-line block ×7, first 2 shown]
	s_or_b64 exec, exec, s[20:21]
	v_lshlrev_b64 v[0:1], 3, v[8:9]
	v_lshlrev_b32_e32 v33, 3, v32
	v_add_co_u32_e64 v4, s[20:21], v4, v0
	v_addc_co_u32_e64 v5, s[20:21], v5, v1, s[20:21]
	v_add_co_u32_e64 v29, s[20:21], v4, v33
	v_addc_co_u32_e64 v30, s[20:21], 0, v5, s[20:21]
	; wave barrier
                                        ; implicit-def: $vgpr4_vgpr5
	s_and_saveexec_b64 s[20:21], vcc
	s_cbranch_execnz .LBB200_135
; %bb.17:
	s_or_b64 exec, exec, s[20:21]
                                        ; implicit-def: $vgpr12_vgpr13
	s_and_saveexec_b64 s[20:21], s[4:5]
	s_cbranch_execnz .LBB200_136
.LBB200_18:
	s_or_b64 exec, exec, s[20:21]
                                        ; implicit-def: $vgpr14_vgpr15
	s_and_saveexec_b64 s[20:21], s[6:7]
	s_cbranch_execnz .LBB200_137
.LBB200_19:
	s_or_b64 exec, exec, s[20:21]
                                        ; implicit-def: $vgpr16_vgpr17
	s_and_saveexec_b64 s[20:21], s[18:19]
	s_cbranch_execnz .LBB200_138
.LBB200_20:
	s_or_b64 exec, exec, s[20:21]
                                        ; implicit-def: $vgpr22_vgpr23
	s_and_saveexec_b64 s[20:21], s[10:11]
	s_cbranch_execnz .LBB200_139
.LBB200_21:
	s_or_b64 exec, exec, s[20:21]
                                        ; implicit-def: $vgpr18_vgpr19
	s_and_saveexec_b64 s[20:21], s[26:27]
	s_cbranch_execnz .LBB200_140
.LBB200_22:
	s_or_b64 exec, exec, s[20:21]
                                        ; implicit-def: $vgpr25_vgpr26
	s_and_saveexec_b64 s[20:21], s[14:15]
	s_cbranch_execnz .LBB200_141
.LBB200_23:
	s_or_b64 exec, exec, s[20:21]
                                        ; implicit-def: $vgpr27_vgpr28
	s_and_saveexec_b64 s[20:21], s[16:17]
	s_cbranch_execz .LBB200_25
.LBB200_24:
	flat_load_dwordx2 v[27:28], v[29:30] offset:56
.LBB200_25:
	s_or_b64 exec, exec, s[20:21]
	v_cmp_ne_u32_e64 s[20:21], 0, v10
	v_cmp_ne_u32_e64 s[22:23], 8, v11
	s_or_b64 s[20:21], s[20:21], s[22:23]
	v_bfe_u32 v9, v31, 10, 10
	v_bfe_u32 v29, v31, 20, 10
	; wave barrier
	s_and_saveexec_b64 s[22:23], s[20:21]
	s_xor_b64 s[56:57], exec, s[22:23]
	s_cbranch_execz .LBB200_71
; %bb.26:
	s_load_dwordx2 s[20:21], s[8:9], 0x0
	v_mov_b32_e32 v30, 0
	v_lshlrev_b32_e64 v11, v11, -1
	v_lshlrev_b32_e64 v10, v10, -1
	s_movk_i32 s24, 0x800
	s_waitcnt lgkmcnt(0)
	s_cmp_lt_u32 s13, s21
	s_cselect_b32 s21, 14, 20
	s_add_u32 s22, s8, s21
	s_addc_u32 s23, s9, 0
	s_cmp_lt_u32 s12, s20
	s_cselect_b32 s20, 12, 18
	s_add_u32 s20, s8, s20
	s_addc_u32 s21, s9, 0
	global_load_ushort v48, v30, s[22:23]
	global_load_ushort v49, v30, s[20:21]
	v_xor_b32_e32 v11, v11, v10
	s_waitcnt vmcnt(0)
	v_mad_u32_u24 v9, v29, v48, v9
	v_mul_lo_u32 v9, v9, v49
	v_and_b32_e32 v29, 0x3ff, v31
	v_add_lshl_u32 v29, v9, v29, 3
	v_cmp_gt_u32_e64 s[20:21], s24, v29
	s_and_saveexec_b64 s[22:23], s[20:21]
	s_cbranch_execz .LBB200_30
; %bb.27:
	s_mov_b32 s20, 0xc0c0004
	v_perm_b32 v9, v21, v39, s20
	v_perm_b32 v10, v38, v37, s20
	;; [unrolled: 1-line block ×3, first 2 shown]
	v_lshl_or_b32 v9, v10, 16, v9
	v_perm_b32 v10, v20, v35, s20
	v_and_b32_e32 v21, v35, v11
	v_and_b32_e32 v30, v20, v11
	v_perm_b32 v20, v35, v20, s20
	v_lshlrev_b32_e32 v24, 16, v24
	v_or_b32_e32 v20, v20, v24
	v_or_b32_e32 v10, v10, v24
	v_cmp_gt_u16_sdwa s[20:21], v30, v21 src0_sel:BYTE_0 src1_sel:BYTE_0
	v_cndmask_b32_e64 v10, v10, v20, s[20:21]
	v_cndmask_b32_e64 v21, v12, v4, s[20:21]
	;; [unrolled: 1-line block ×3, first 2 shown]
	v_lshrrev_b32_e32 v12, 16, v10
	s_mov_b32 s29, 0xc0c0001
	v_cndmask_b32_e64 v24, v13, v5, s[20:21]
	v_cndmask_b32_e64 v5, v5, v13, s[20:21]
	v_perm_b32 v13, 0, v12, s29
	v_and_b32_sdwa v20, v10, v11 dst_sel:DWORD dst_unused:UNUSED_PAD src0_sel:BYTE_3 src1_sel:DWORD
	v_and_b32_e32 v12, v12, v11
	v_cmp_gt_u16_sdwa s[20:21], v12, v20 src0_sel:BYTE_0 src1_sel:DWORD
	v_lshlrev_b32_e32 v13, 16, v13
	s_mov_b32 s28, 0xffff
	v_cndmask_b32_e64 v12, v16, v14, s[20:21]
	v_cndmask_b32_e64 v14, v14, v16, s[20:21]
	v_lshrrev_b32_e32 v16, 8, v9
	v_and_or_b32 v13, v10, s28, v13
	v_cndmask_b32_e64 v20, v17, v15, s[20:21]
	v_cndmask_b32_e64 v15, v15, v17, s[20:21]
	s_mov_b32 s43, 0x7060405
	v_and_b32_e32 v16, v16, v11
	v_and_b32_e32 v17, v9, v11
	v_cndmask_b32_e64 v10, v10, v13, s[20:21]
	v_perm_b32 v13, v9, v9, s43
	v_cmp_gt_u16_sdwa s[20:21], v17, v16 src0_sel:BYTE_0 src1_sel:BYTE_0
	v_cndmask_b32_e64 v9, v9, v13, s[20:21]
	v_cndmask_b32_e64 v16, v22, v18, s[20:21]
	v_cndmask_b32_e64 v18, v18, v22, s[20:21]
	v_and_b32_sdwa v13, v9, v11 dst_sel:DWORD dst_unused:UNUSED_PAD src0_sel:BYTE_3 src1_sel:DWORD
	v_and_b32_sdwa v22, v9, v11 dst_sel:DWORD dst_unused:UNUSED_PAD src0_sel:WORD_1 src1_sel:DWORD
	s_mov_b32 s41, 0x6070504
	v_cndmask_b32_e64 v17, v23, v19, s[20:21]
	v_cndmask_b32_e64 v19, v19, v23, s[20:21]
	v_perm_b32 v23, v9, v9, s41
	v_cmp_gt_u16_sdwa s[20:21], v22, v13 src0_sel:BYTE_0 src1_sel:DWORD
	v_cndmask_b32_e64 v9, v9, v23, s[20:21]
	v_lshrrev_b32_e32 v23, 8, v10
	v_cndmask_b32_e64 v13, v25, v27, s[20:21]
	v_cndmask_b32_e64 v25, v27, v25, s[20:21]
	v_and_b32_sdwa v27, v10, v11 dst_sel:DWORD dst_unused:UNUSED_PAD src0_sel:WORD_1 src1_sel:DWORD
	v_and_b32_e32 v23, v23, v11
	s_mov_b32 s40, 0x7050604
	v_cndmask_b32_e64 v22, v26, v28, s[20:21]
	v_cndmask_b32_e64 v26, v28, v26, s[20:21]
	v_perm_b32 v28, v10, v10, s40
	v_cmp_gt_u16_sdwa s[20:21], v23, v27 src0_sel:BYTE_0 src1_sel:BYTE_0
	s_movk_i32 s25, 0xff
	v_cndmask_b32_e64 v10, v10, v28, s[20:21]
	v_cndmask_b32_e64 v23, v15, v24, s[20:21]
	;; [unrolled: 1-line block ×3, first 2 shown]
	v_and_b32_sdwa v24, v10, s25 dst_sel:DWORD dst_unused:UNUSED_PAD src0_sel:WORD_1 src1_sel:DWORD
	v_lshlrev_b16_e32 v28, 8, v9
	s_mov_b32 s42, 0x3020107
	v_or_b32_sdwa v24, v24, v28 dst_sel:WORD_1 dst_unused:UNUSED_PAD src0_sel:DWORD src1_sel:DWORD
	v_and_b32_e32 v28, v9, v11
	v_and_b32_sdwa v30, v10, v11 dst_sel:DWORD dst_unused:UNUSED_PAD src0_sel:BYTE_3 src1_sel:DWORD
	v_cndmask_b32_e64 v27, v14, v21, s[20:21]
	v_cndmask_b32_e64 v14, v21, v14, s[20:21]
	v_perm_b32 v21, v10, v9, s42
	v_cmp_gt_u16_sdwa s[20:21], v30, v28 src0_sel:DWORD src1_sel:BYTE_0
	v_cndmask_b32_e64 v9, v9, v21, s[20:21]
	v_cndmask_b32_e64 v30, v12, v16, s[20:21]
	;; [unrolled: 1-line block ×3, first 2 shown]
	v_lshrrev_b32_e32 v16, 8, v9
	v_and_or_b32 v24, v10, s28, v24
	v_cndmask_b32_e64 v28, v20, v17, s[20:21]
	v_cndmask_b32_e64 v17, v17, v20, s[20:21]
	v_and_b32_sdwa v20, v9, v11 dst_sel:DWORD dst_unused:UNUSED_PAD src0_sel:WORD_1 src1_sel:DWORD
	v_and_b32_e32 v16, v16, v11
	v_cndmask_b32_e64 v10, v10, v24, s[20:21]
	v_perm_b32 v21, v9, v9, s40
	v_cmp_gt_u16_sdwa s[20:21], v16, v20 src0_sel:BYTE_0 src1_sel:BYTE_0
	v_cndmask_b32_e64 v9, v9, v21, s[20:21]
	v_lshrrev_b32_e32 v21, 8, v10
	v_cndmask_b32_e64 v16, v19, v22, s[20:21]
	v_cndmask_b32_e64 v20, v18, v13, s[20:21]
	;; [unrolled: 1-line block ×4, first 2 shown]
	v_perm_b32 v18, 0, v10, s29
	s_mov_b32 s44, 0xffff0000
	v_and_b32_e32 v21, v21, v11
	v_and_b32_e32 v22, v10, v11
	v_and_or_b32 v18, v10, s44, v18
	v_cmp_gt_u16_sdwa s[20:21], v22, v21 src0_sel:BYTE_0 src1_sel:BYTE_0
	v_cndmask_b32_e64 v10, v10, v18, s[20:21]
	v_cndmask_b32_e64 v21, v14, v4, s[20:21]
	v_cndmask_b32_e64 v4, v4, v14, s[20:21]
	v_lshrrev_b32_e32 v14, 16, v10
	v_cndmask_b32_e64 v22, v15, v5, s[20:21]
	v_cndmask_b32_e64 v5, v5, v15, s[20:21]
	v_perm_b32 v15, 0, v14, s29
	v_and_b32_sdwa v18, v10, v11 dst_sel:DWORD dst_unused:UNUSED_PAD src0_sel:BYTE_3 src1_sel:DWORD
	v_and_b32_e32 v14, v14, v11
	v_cmp_gt_u16_sdwa s[20:21], v14, v18 src0_sel:BYTE_0 src1_sel:DWORD
	v_lshlrev_b32_e32 v15, 16, v15
	v_cndmask_b32_e64 v14, v30, v27, s[20:21]
	v_cndmask_b32_e64 v24, v27, v30, s[20:21]
	v_lshrrev_b32_e32 v27, 8, v9
	v_and_or_b32 v15, v10, s28, v15
	v_cndmask_b32_e64 v18, v28, v23, s[20:21]
	v_cndmask_b32_e64 v23, v23, v28, s[20:21]
	v_and_b32_e32 v27, v27, v11
	v_and_b32_e32 v28, v9, v11
	v_cndmask_b32_e64 v10, v10, v15, s[20:21]
	v_perm_b32 v15, v9, v9, s43
	v_cmp_gt_u16_sdwa s[20:21], v28, v27 src0_sel:BYTE_0 src1_sel:BYTE_0
	v_cndmask_b32_e64 v9, v9, v15, s[20:21]
	v_cndmask_b32_e64 v28, v17, v16, s[20:21]
	;; [unrolled: 1-line block ×3, first 2 shown]
	v_and_b32_sdwa v15, v9, v11 dst_sel:DWORD dst_unused:UNUSED_PAD src0_sel:BYTE_3 src1_sel:DWORD
	v_and_b32_sdwa v17, v9, v11 dst_sel:DWORD dst_unused:UNUSED_PAD src0_sel:WORD_1 src1_sel:DWORD
	v_cndmask_b32_e64 v27, v12, v20, s[20:21]
	v_cndmask_b32_e64 v12, v20, v12, s[20:21]
	v_perm_b32 v20, v9, v9, s41
	v_cmp_gt_u16_sdwa s[20:21], v17, v15 src0_sel:BYTE_0 src1_sel:DWORD
	v_cndmask_b32_e64 v9, v9, v20, s[20:21]
	v_lshrrev_b32_e32 v20, 8, v10
	v_cndmask_b32_e64 v15, v13, v25, s[20:21]
	v_cndmask_b32_e64 v13, v25, v13, s[20:21]
	v_and_b32_sdwa v25, v10, v11 dst_sel:DWORD dst_unused:UNUSED_PAD src0_sel:WORD_1 src1_sel:DWORD
	v_and_b32_e32 v20, v20, v11
	v_cndmask_b32_e64 v17, v19, v26, s[20:21]
	v_cndmask_b32_e64 v19, v26, v19, s[20:21]
	v_perm_b32 v26, v10, v10, s40
	v_cmp_gt_u16_sdwa s[20:21], v20, v25 src0_sel:BYTE_0 src1_sel:BYTE_0
	v_cndmask_b32_e64 v10, v10, v26, s[20:21]
	v_cndmask_b32_e64 v25, v24, v21, s[20:21]
	;; [unrolled: 1-line block ×3, first 2 shown]
	v_and_b32_sdwa v24, v10, s25 dst_sel:DWORD dst_unused:UNUSED_PAD src0_sel:WORD_1 src1_sel:DWORD
	v_lshlrev_b16_e32 v26, 8, v9
	v_or_b32_sdwa v24, v24, v26 dst_sel:WORD_1 dst_unused:UNUSED_PAD src0_sel:DWORD src1_sel:DWORD
	v_and_b32_e32 v26, v9, v11
	v_and_b32_sdwa v30, v10, v11 dst_sel:DWORD dst_unused:UNUSED_PAD src0_sel:BYTE_3 src1_sel:DWORD
	v_cndmask_b32_e64 v20, v23, v22, s[20:21]
	v_cndmask_b32_e64 v22, v22, v23, s[20:21]
	v_perm_b32 v23, v10, v9, s42
	v_cmp_gt_u16_sdwa s[20:21], v30, v26 src0_sel:DWORD src1_sel:BYTE_0
	v_cndmask_b32_e64 v9, v9, v23, s[20:21]
	v_and_or_b32 v24, v10, s28, v24
	v_lshrrev_b32_e32 v23, 8, v9
	v_cndmask_b32_e64 v10, v10, v24, s[20:21]
	v_and_b32_sdwa v24, v9, v11 dst_sel:DWORD dst_unused:UNUSED_PAD src0_sel:WORD_1 src1_sel:DWORD
	v_and_b32_e32 v23, v23, v11
	v_cndmask_b32_e64 v26, v18, v28, s[20:21]
	v_cndmask_b32_e64 v30, v14, v27, s[20:21]
	v_cndmask_b32_e64 v18, v28, v18, s[20:21]
	v_cndmask_b32_e64 v14, v27, v14, s[20:21]
	v_cmp_gt_u16_sdwa s[20:21], v23, v24 src0_sel:BYTE_0 src1_sel:BYTE_0
	v_perm_b32 v27, v9, v9, s40
	v_cndmask_b32_e64 v23, v16, v17, s[20:21]
	v_cndmask_b32_e64 v16, v17, v16, s[20:21]
	v_lshrrev_b32_e32 v17, 8, v10
	v_cndmask_b32_e64 v24, v12, v15, s[20:21]
	v_cndmask_b32_e64 v12, v15, v12, s[20:21]
	;; [unrolled: 1-line block ×3, first 2 shown]
	v_perm_b32 v15, 0, v10, s29
	v_and_b32_e32 v17, v17, v11
	v_and_b32_e32 v27, v10, v11
	v_and_or_b32 v15, v10, s44, v15
	v_cmp_gt_u16_sdwa s[20:21], v27, v17 src0_sel:BYTE_0 src1_sel:BYTE_0
	v_cndmask_b32_e64 v10, v10, v15, s[20:21]
	v_lshrrev_b32_e32 v15, 16, v10
	v_cndmask_b32_e64 v17, v21, v4, s[20:21]
	v_cndmask_b32_e64 v27, v22, v5, s[20:21]
	;; [unrolled: 1-line block ×4, first 2 shown]
	v_perm_b32 v21, 0, v15, s29
	v_and_b32_sdwa v22, v10, v11 dst_sel:DWORD dst_unused:UNUSED_PAD src0_sel:BYTE_3 src1_sel:DWORD
	v_and_b32_e32 v15, v15, v11
	v_cmp_gt_u16_sdwa s[20:21], v15, v22 src0_sel:BYTE_0 src1_sel:DWORD
	v_lshlrev_b32_e32 v21, 16, v21
	v_cndmask_b32_e64 v22, v26, v20, s[20:21]
	v_cndmask_b32_e64 v20, v20, v26, s[20:21]
	v_lshrrev_b32_e32 v26, 8, v9
	v_and_or_b32 v21, v10, s28, v21
	v_and_b32_e32 v26, v26, v11
	v_and_b32_e32 v28, v9, v11
	v_cndmask_b32_e64 v15, v30, v25, s[20:21]
	v_cndmask_b32_e64 v25, v25, v30, s[20:21]
	;; [unrolled: 1-line block ×3, first 2 shown]
	v_perm_b32 v21, v9, v9, s43
	v_cmp_gt_u16_sdwa s[20:21], v28, v26 src0_sel:BYTE_0 src1_sel:BYTE_0
	v_cndmask_b32_e64 v9, v9, v21, s[20:21]
	v_cndmask_b32_e64 v28, v18, v23, s[20:21]
	;; [unrolled: 1-line block ×3, first 2 shown]
	v_and_b32_sdwa v21, v9, v11 dst_sel:DWORD dst_unused:UNUSED_PAD src0_sel:BYTE_3 src1_sel:DWORD
	v_and_b32_sdwa v23, v9, v11 dst_sel:DWORD dst_unused:UNUSED_PAD src0_sel:WORD_1 src1_sel:DWORD
	v_cndmask_b32_e64 v26, v14, v24, s[20:21]
	v_cndmask_b32_e64 v14, v24, v14, s[20:21]
	v_cmp_gt_u16_sdwa s[20:21], v23, v21 src0_sel:BYTE_0 src1_sel:DWORD
	v_cndmask_b32_e64 v21, v12, v13, s[20:21]
	v_cndmask_b32_e64 v23, v16, v19, s[20:21]
	;; [unrolled: 1-line block ×4, first 2 shown]
	v_lshrrev_b32_e32 v16, 8, v10
	v_perm_b32 v24, v9, v9, s41
	v_and_b32_sdwa v19, v10, v11 dst_sel:DWORD dst_unused:UNUSED_PAD src0_sel:WORD_1 src1_sel:DWORD
	v_and_b32_e32 v16, v16, v11
	v_cndmask_b32_e64 v9, v9, v24, s[20:21]
	v_perm_b32 v24, v10, v10, s40
	v_cmp_gt_u16_sdwa s[20:21], v16, v19 src0_sel:BYTE_0 src1_sel:BYTE_0
	v_cndmask_b32_e64 v10, v10, v24, s[20:21]
	v_cndmask_b32_e64 v16, v20, v27, s[20:21]
	;; [unrolled: 1-line block ×5, first 2 shown]
	v_and_b32_sdwa v25, v10, s25 dst_sel:DWORD dst_unused:UNUSED_PAD src0_sel:WORD_1 src1_sel:DWORD
	v_lshlrev_b16_e32 v27, 8, v9
	v_or_b32_sdwa v25, v25, v27 dst_sel:WORD_1 dst_unused:UNUSED_PAD src0_sel:DWORD src1_sel:DWORD
	v_and_b32_e32 v27, v9, v11
	v_and_b32_sdwa v30, v10, v11 dst_sel:DWORD dst_unused:UNUSED_PAD src0_sel:BYTE_3 src1_sel:DWORD
	v_perm_b32 v24, v10, v9, s42
	v_cmp_gt_u16_sdwa s[20:21], v30, v27 src0_sel:DWORD src1_sel:BYTE_0
	v_cndmask_b32_e64 v9, v9, v24, s[20:21]
	v_and_or_b32 v25, v10, s28, v25
	v_lshrrev_b32_e32 v24, 8, v9
	v_cndmask_b32_e64 v10, v10, v25, s[20:21]
	v_and_b32_sdwa v25, v9, v11 dst_sel:DWORD dst_unused:UNUSED_PAD src0_sel:WORD_1 src1_sel:DWORD
	v_and_b32_e32 v24, v24, v11
	v_cndmask_b32_e64 v27, v22, v28, s[20:21]
	v_cndmask_b32_e64 v30, v15, v26, s[20:21]
	;; [unrolled: 1-line block ×4, first 2 shown]
	v_cmp_gt_u16_sdwa s[20:21], v24, v25 src0_sel:BYTE_0 src1_sel:BYTE_0
	v_perm_b32 v26, v9, v9, s40
	v_cndmask_b32_e64 v24, v18, v23, s[20:21]
	v_cndmask_b32_e64 v25, v14, v21, s[20:21]
	v_cndmask_b32_e64 v14, v21, v14, s[20:21]
	v_cndmask_b32_e64 v21, v23, v18, s[20:21]
	v_lshrrev_b32_e32 v23, 8, v10
	v_cndmask_b32_e64 v9, v9, v26, s[20:21]
	v_perm_b32 v18, 0, v10, s29
	v_and_b32_e32 v23, v23, v11
	v_and_b32_e32 v26, v10, v11
	v_and_or_b32 v18, v10, s44, v18
	v_cmp_gt_u16_sdwa s[20:21], v26, v23 src0_sel:BYTE_0 src1_sel:BYTE_0
	v_cndmask_b32_e64 v10, v10, v18, s[20:21]
	v_cndmask_b32_e64 v23, v17, v4, s[20:21]
	;; [unrolled: 1-line block ×3, first 2 shown]
	v_lshrrev_b32_e32 v17, 16, v10
	v_perm_b32 v18, 0, v17, s29
	v_cndmask_b32_e64 v26, v20, v5, s[20:21]
	v_cndmask_b32_e64 v5, v5, v20, s[20:21]
	v_and_b32_sdwa v20, v10, v11 dst_sel:DWORD dst_unused:UNUSED_PAD src0_sel:BYTE_3 src1_sel:DWORD
	v_and_b32_e32 v17, v17, v11
	v_lshlrev_b32_e32 v18, 16, v18
	v_and_or_b32 v18, v10, s28, v18
	v_cmp_gt_u16_sdwa s[20:21], v17, v20 src0_sel:BYTE_0 src1_sel:DWORD
	v_cndmask_b32_e64 v20, v30, v19, s[20:21]
	v_cndmask_b32_e64 v17, v19, v30, s[20:21]
	;; [unrolled: 1-line block ×3, first 2 shown]
	v_lshrrev_b32_e32 v18, 8, v9
	v_and_b32_e32 v18, v18, v11
	v_and_b32_e32 v19, v9, v11
	v_cndmask_b32_e64 v31, v27, v16, s[20:21]
	v_cndmask_b32_e64 v16, v16, v27, s[20:21]
	v_perm_b32 v10, v9, v9, s43
	v_cmp_gt_u16_sdwa s[20:21], v19, v18 src0_sel:BYTE_0 src1_sel:BYTE_0
	v_cndmask_b32_e64 v35, v15, v25, s[20:21]
	v_cndmask_b32_e64 v18, v25, v15, s[20:21]
	v_cndmask_b32_e64 v15, v9, v10, s[20:21]
	v_and_b32_sdwa v9, v15, v11 dst_sel:DWORD dst_unused:UNUSED_PAD src0_sel:BYTE_3 src1_sel:DWORD
	v_and_b32_sdwa v10, v15, v11 dst_sel:DWORD dst_unused:UNUSED_PAD src0_sel:WORD_1 src1_sel:DWORD
	v_cndmask_b32_e64 v36, v22, v24, s[20:21]
	v_cndmask_b32_e64 v19, v24, v22, s[20:21]
	v_cmp_gt_u16_sdwa s[20:21], v10, v9 src0_sel:BYTE_0 src1_sel:DWORD
	v_cndmask_b32_e64 v9, v14, v12, s[20:21]
	v_cndmask_b32_e64 v27, v12, v14, s[20:21]
	v_lshrrev_b32_e32 v12, 8, v30
	v_perm_b32 v22, v15, v15, s41
	v_cndmask_b32_e64 v10, v21, v13, s[20:21]
	v_cndmask_b32_e64 v28, v13, v21, s[20:21]
	v_and_b32_sdwa v13, v30, v11 dst_sel:DWORD dst_unused:UNUSED_PAD src0_sel:WORD_1 src1_sel:DWORD
	v_and_b32_e32 v12, v12, v11
	v_cndmask_b32_e64 v21, v15, v22, s[20:21]
	v_perm_b32 v22, v30, v30, s40
	v_cmp_gt_u16_sdwa s[20:21], v12, v13 src0_sel:BYTE_0 src1_sel:BYTE_0
	v_cndmask_b32_e64 v24, v30, v22, s[20:21]
	v_cndmask_b32_e64 v15, v16, v26, s[20:21]
	;; [unrolled: 1-line block ×5, first 2 shown]
	v_and_b32_sdwa v16, v24, s25 dst_sel:DWORD dst_unused:UNUSED_PAD src0_sel:WORD_1 src1_sel:DWORD
	v_lshlrev_b16_e32 v17, 8, v21
	v_or_b32_sdwa v16, v16, v17 dst_sel:WORD_1 dst_unused:UNUSED_PAD src0_sel:DWORD src1_sel:DWORD
	v_and_b32_e32 v17, v21, v11
	v_and_b32_sdwa v22, v24, v11 dst_sel:DWORD dst_unused:UNUSED_PAD src0_sel:BYTE_3 src1_sel:DWORD
	v_perm_b32 v25, v24, v21, s42
	v_and_or_b32 v26, v24, s28, v16
	v_cmp_gt_u16_sdwa s[20:21], v22, v17 src0_sel:DWORD src1_sel:BYTE_0
	v_cndmask_b32_e64 v16, v20, v35, s[20:21]
	v_cndmask_b32_e64 v22, v35, v20, s[20:21]
	;; [unrolled: 1-line block ×4, first 2 shown]
	v_lshrrev_b64 v[24:25], 24, v[20:21]
	v_lshrrev_b32_e32 v39, 8, v21
	v_lshrrev_b32_e32 v38, 16, v21
	v_and_b32_e32 v25, v38, v11
	v_and_b32_e32 v26, v39, v11
	v_cmp_gt_u16_sdwa s[28:29], v26, v25 src0_sel:BYTE_0 src1_sel:BYTE_0
	v_mov_b32_e32 v26, v10
	v_cndmask_b32_e64 v17, v31, v36, s[20:21]
	v_cndmask_b32_e64 v23, v36, v31, s[20:21]
	v_lshrrev_b32_e32 v37, 24, v21
	v_lshrrev_b32_e32 v36, 16, v20
	;; [unrolled: 1-line block ×3, first 2 shown]
	v_mov_b32_e32 v25, v9
	s_and_saveexec_b64 s[20:21], s[28:29]
; %bb.28:
	v_mov_b32_e32 v25, v39
	v_mov_b32_e32 v26, v19
	v_swap_b32 v39, v38
	v_mov_b32_e32 v25, v18
	v_mov_b32_e32 v19, v10
	;; [unrolled: 1-line block ×3, first 2 shown]
; %bb.29:
	s_or_b64 exec, exec, s[20:21]
.LBB200_30:
	s_or_b64 exec, exec, s[22:23]
	v_and_b32_e32 v10, 0xfffffe00, v29
	v_sub_u32_e64 v29, s24, v10 clamp
	v_or_b32_e32 v48, 8, v34
	v_min_u32_e32 v48, v29, v48
	v_add_u32_e32 v49, 8, v48
	v_and_b32_e32 v50, 0x3f0, v34
	v_min_u32_e32 v49, v29, v49
	v_and_b32_e32 v51, 8, v34
	v_min_u32_e32 v51, v29, v51
	v_sub_u32_e32 v53, v48, v50
	v_sub_u32_e32 v52, v49, v48
	v_lshlrev_b32_e32 v9, 3, v10
	v_sub_u32_e64 v52, v51, v52 clamp
	v_min_u32_e32 v53, v51, v53
	v_add_u32_e32 v30, v10, v34
	v_lshl_add_u32 v31, v34, 3, v9
	v_cmp_lt_u32_e64 s[20:21], v52, v53
	ds_write_b8 v30, v20
	ds_write_b64 v31, v[4:5] offset:2048
	ds_write_b8 v30, v35 offset:1
	ds_write_b64 v31, v[12:13] offset:2056
	ds_write_b8 v30, v36 offset:2
	;; [unrolled: 2-line block ×7, first 2 shown]
	ds_write_b64 v31, v[27:28] offset:2104
	; wave barrier
	s_and_saveexec_b64 s[22:23], s[20:21]
	s_cbranch_execz .LBB200_34
; %bb.31:
	v_add_u32_e32 v54, v10, v50
	v_add3_u32 v55, v10, v48, v51
	s_mov_b64 s[24:25], 0
.LBB200_32:                             ; =>This Inner Loop Header: Depth=1
	v_add_u32_e32 v64, v53, v52
	v_lshrrev_b32_e32 v64, 1, v64
	v_add_u32_e32 v65, v54, v64
	v_xad_u32 v66, v64, -1, v55
	ds_read_u8 v66, v66
	ds_read_u8 v65, v65
	v_add_u32_e32 v67, 1, v64
	s_waitcnt lgkmcnt(1)
	v_and_b32_e32 v66, v66, v11
	s_waitcnt lgkmcnt(0)
	v_and_b32_e32 v65, v65, v11
	v_cmp_gt_u16_sdwa s[20:21], v65, v66 src0_sel:BYTE_0 src1_sel:BYTE_0
	v_cndmask_b32_e64 v53, v53, v64, s[20:21]
	v_cndmask_b32_e64 v52, v67, v52, s[20:21]
	v_cmp_ge_u32_e64 s[20:21], v52, v53
	s_or_b64 s[24:25], s[20:21], s[24:25]
	s_andn2_b64 exec, exec, s[24:25]
	s_cbranch_execnz .LBB200_32
; %bb.33:
	s_or_b64 exec, exec, s[24:25]
.LBB200_34:
	s_or_b64 exec, exec, s[22:23]
	v_add_u32_e32 v51, v48, v51
	v_add_u32_e32 v50, v52, v50
	v_sub_u32_e32 v51, v51, v52
	v_cmp_le_u32_e64 s[20:21], v50, v48
	v_cmp_le_u32_e64 s[22:23], v51, v49
	s_or_b64 s[20:21], s[20:21], s[22:23]
	s_and_saveexec_b64 s[58:59], s[20:21]
	s_cbranch_execz .LBB200_40
; %bb.35:
	v_cmp_lt_u32_e64 s[20:21], v50, v48
                                        ; implicit-def: $vgpr20
	s_and_saveexec_b64 s[22:23], s[20:21]
; %bb.36:
	v_add_u32_e32 v4, v10, v50
	ds_read_u8 v20, v4
; %bb.37:
	s_or_b64 exec, exec, s[22:23]
	v_cmp_ge_u32_e64 s[22:23], v51, v49
	v_cmp_lt_u32_e64 s[24:25], v51, v49
                                        ; implicit-def: $vgpr21
	s_and_saveexec_b64 s[28:29], s[24:25]
; %bb.38:
	v_add_u32_e32 v4, v10, v51
	ds_read_u8 v21, v4
; %bb.39:
	s_or_b64 exec, exec, s[28:29]
	s_waitcnt lgkmcnt(0)
	v_and_b32_e32 v4, v21, v11
	v_and_b32_e32 v5, v20, v11
	v_cmp_le_u16_sdwa s[24:25], v5, v4 src0_sel:BYTE_0 src1_sel:BYTE_0
	s_and_b64 s[20:21], s[20:21], s[24:25]
	s_or_b64 s[20:21], s[22:23], s[20:21]
	v_cndmask_b32_e64 v4, v51, v50, s[20:21]
	v_cndmask_b32_e64 v5, v49, v48, s[20:21]
	v_add_u32_e32 v12, 1, v4
	v_add_u32_e32 v5, -1, v5
	v_min_u32_e32 v5, v12, v5
	v_add_u32_e32 v5, v10, v5
	ds_read_u8 v5, v5
	v_lshl_add_u32 v4, v4, 3, v9
	s_waitcnt lgkmcnt(0)
	v_cndmask_b32_e64 v24, v5, v21, s[20:21]
	v_cndmask_b32_e64 v27, v20, v5, s[20:21]
	;; [unrolled: 1-line block ×4, first 2 shown]
	v_and_b32_e32 v13, v24, v11
	v_and_b32_e32 v14, v27, v11
	v_cmp_lt_u32_e64 s[24:25], v12, v48
	v_cmp_le_u16_sdwa s[28:29], v14, v13 src0_sel:BYTE_0 src1_sel:BYTE_0
	v_cmp_ge_u32_e64 s[22:23], v5, v49
	s_and_b64 s[24:25], s[24:25], s[28:29]
	s_or_b64 s[22:23], s[22:23], s[24:25]
	v_cndmask_b32_e64 v13, v5, v12, s[22:23]
	v_cndmask_b32_e64 v14, v49, v48, s[22:23]
	v_add_u32_e32 v15, 1, v13
	v_add_u32_e32 v14, -1, v14
	v_min_u32_e32 v14, v15, v14
	v_add_u32_e32 v14, v10, v14
	ds_read_u8 v14, v14
	v_cndmask_b32_e64 v5, v15, v5, s[22:23]
	v_cndmask_b32_e64 v12, v12, v15, s[22:23]
	v_cmp_lt_u32_e64 s[28:29], v12, v48
	v_cmp_ge_u32_e64 s[24:25], v5, v49
	s_waitcnt lgkmcnt(0)
	v_cndmask_b32_e64 v28, v14, v24, s[22:23]
	v_cndmask_b32_e64 v36, v27, v14, s[22:23]
	v_and_b32_e32 v14, v28, v11
	v_and_b32_e32 v15, v36, v11
	v_cmp_le_u16_sdwa s[40:41], v15, v14 src0_sel:BYTE_0 src1_sel:BYTE_0
	s_and_b64 s[28:29], s[28:29], s[40:41]
	s_or_b64 s[24:25], s[24:25], s[28:29]
	v_cndmask_b32_e64 v14, v5, v12, s[24:25]
	v_cndmask_b32_e64 v15, v49, v48, s[24:25]
	v_add_u32_e32 v16, 1, v14
	v_add_u32_e32 v15, -1, v15
	v_min_u32_e32 v15, v16, v15
	v_add_u32_e32 v15, v10, v15
	ds_read_u8 v15, v15
	v_lshl_add_u32 v14, v14, 3, v9
	v_cndmask_b32_e64 v20, v21, v20, s[20:21]
	s_waitcnt lgkmcnt(0)
	v_cndmask_b32_e64 v37, v15, v28, s[24:25]
	v_cndmask_b32_e64 v38, v36, v15, s[24:25]
	;; [unrolled: 1-line block ×4, first 2 shown]
	v_and_b32_e32 v5, v37, v11
	v_and_b32_e32 v12, v38, v11
	v_cmp_lt_u32_e64 s[40:41], v16, v48
	v_cmp_le_u16_sdwa s[42:43], v12, v5 src0_sel:BYTE_0 src1_sel:BYTE_0
	v_cmp_ge_u32_e64 s[28:29], v15, v49
	s_and_b64 s[40:41], s[40:41], s[42:43]
	s_or_b64 s[28:29], s[28:29], s[40:41]
	v_cndmask_b32_e64 v17, v15, v16, s[28:29]
	v_cndmask_b32_e64 v5, v49, v48, s[28:29]
	v_add_u32_e32 v18, 1, v17
	v_add_u32_e32 v5, -1, v5
	v_min_u32_e32 v5, v18, v5
	v_add_u32_e32 v5, v10, v5
	ds_read_u8 v19, v5
	v_lshl_add_u32 v12, v13, 3, v9
	ds_read_b64 v[4:5], v4 offset:2048
	ds_read_b64 v[12:13], v12 offset:2048
	v_cndmask_b32_e64 v36, v28, v36, s[24:25]
	s_waitcnt lgkmcnt(2)
	v_cndmask_b32_e64 v39, v19, v37, s[28:29]
	v_cndmask_b32_e64 v50, v38, v19, s[28:29]
	;; [unrolled: 1-line block ×4, first 2 shown]
	v_and_b32_e32 v15, v39, v11
	v_and_b32_e32 v16, v50, v11
	v_cmp_lt_u32_e64 s[42:43], v18, v48
	v_cmp_le_u16_sdwa s[44:45], v16, v15 src0_sel:BYTE_0 src1_sel:BYTE_0
	v_cmp_ge_u32_e64 s[40:41], v19, v49
	s_and_b64 s[42:43], s[42:43], s[44:45]
	s_or_b64 s[40:41], s[40:41], s[42:43]
	v_cndmask_b32_e64 v22, v19, v18, s[40:41]
	v_cndmask_b32_e64 v15, v49, v48, s[40:41]
	v_add_u32_e32 v23, 1, v22
	v_add_u32_e32 v15, -1, v15
	v_min_u32_e32 v15, v23, v15
	v_add_u32_e32 v15, v10, v15
	ds_read_u8 v25, v15
	v_cndmask_b32_e64 v26, v18, v23, s[40:41]
	v_cmp_lt_u32_e64 s[44:45], v26, v48
	v_lshl_add_u32 v16, v17, 3, v9
	ds_read_b64 v[14:15], v14 offset:2048
	ds_read_b64 v[16:17], v16 offset:2048
	s_waitcnt lgkmcnt(2)
	v_cndmask_b32_e64 v51, v25, v39, s[40:41]
	v_cndmask_b32_e64 v52, v50, v25, s[40:41]
	;; [unrolled: 1-line block ×3, first 2 shown]
	v_and_b32_e32 v18, v51, v11
	v_and_b32_e32 v19, v52, v11
	v_cmp_le_u16_sdwa s[46:47], v19, v18 src0_sel:BYTE_0 src1_sel:BYTE_0
	v_cmp_ge_u32_e64 s[42:43], v25, v49
	s_and_b64 s[44:45], s[44:45], s[46:47]
	s_or_b64 s[42:43], s[42:43], s[44:45]
	v_cndmask_b32_e64 v18, v25, v26, s[42:43]
	v_cndmask_b32_e64 v19, v49, v48, s[42:43]
	v_add_u32_e32 v35, 1, v18
	v_add_u32_e32 v19, -1, v19
	v_min_u32_e32 v19, v35, v19
	v_add_u32_e32 v19, v10, v19
	ds_read_u8 v53, v19
	v_cndmask_b32_e64 v55, v35, v25, s[42:43]
	v_cndmask_b32_e64 v64, v26, v35, s[42:43]
	v_cmp_lt_u32_e64 s[46:47], v64, v48
	v_cmp_ge_u32_e64 s[44:45], v55, v49
	s_waitcnt lgkmcnt(0)
	v_cndmask_b32_e64 v54, v53, v51, s[42:43]
	v_cndmask_b32_e64 v53, v52, v53, s[42:43]
	v_and_b32_e32 v25, v54, v11
	v_and_b32_e32 v26, v53, v11
	v_cmp_le_u16_sdwa s[60:61], v26, v25 src0_sel:BYTE_0 src1_sel:BYTE_0
	s_and_b64 s[46:47], s[46:47], s[60:61]
	s_or_b64 s[44:45], s[44:45], s[46:47]
	v_cndmask_b32_e64 v25, v55, v64, s[44:45]
	v_cndmask_b32_e64 v26, v49, v48, s[44:45]
	v_lshl_add_u32 v35, v25, 3, v9
	v_add_u32_e32 v65, 1, v25
	v_add_u32_e32 v25, -1, v26
	v_min_u32_e32 v25, v65, v25
	v_lshl_add_u32 v19, v22, 3, v9
	v_lshl_add_u32 v18, v18, 3, v9
	v_add_u32_e32 v66, v10, v25
	ds_read_b64 v[22:23], v19 offset:2048
	ds_read_b64 v[18:19], v18 offset:2048
	;; [unrolled: 1-line block ×3, first 2 shown]
	ds_read_u8 v66, v66
	v_cndmask_b32_e64 v35, v24, v27, s[22:23]
	v_cndmask_b32_e64 v24, v37, v38, s[28:29]
	;; [unrolled: 1-line block ×4, first 2 shown]
	s_waitcnt lgkmcnt(0)
	v_cndmask_b32_e64 v37, v66, v54, s[44:45]
	v_cndmask_b32_e64 v66, v53, v66, s[44:45]
	v_and_b32_e32 v28, v37, v11
	v_and_b32_e32 v38, v66, v11
	v_cmp_lt_u32_e64 s[22:23], v27, v48
	v_cmp_le_u16_sdwa s[24:25], v38, v28 src0_sel:BYTE_0 src1_sel:BYTE_0
	v_cmp_ge_u32_e64 s[20:21], v21, v49
	s_and_b64 s[22:23], s[22:23], s[24:25]
	s_or_b64 s[20:21], s[20:21], s[22:23]
	v_cndmask_b32_e64 v21, v21, v27, s[20:21]
	v_lshl_add_u32 v21, v21, 3, v9
	ds_read_b64 v[27:28], v21 offset:2048
	v_cndmask_b32_e64 v21, v39, v50, s[40:41]
	v_cndmask_b32_e64 v39, v51, v52, s[42:43]
	;; [unrolled: 1-line block ×4, first 2 shown]
.LBB200_40:
	s_or_b64 exec, exec, s[58:59]
	v_and_b32_e32 v50, 0x3e0, v34
	v_or_b32_e32 v48, 16, v50
	v_min_u32_e32 v48, v29, v48
	v_add_u32_e32 v49, 16, v48
	v_min_u32_e32 v49, v29, v49
	v_and_b32_e32 v51, 24, v34
	v_min_u32_e32 v51, v29, v51
	v_sub_u32_e32 v53, v48, v50
	v_sub_u32_e32 v52, v49, v48
	v_sub_u32_e64 v52, v51, v52 clamp
	v_min_u32_e32 v53, v51, v53
	v_cmp_lt_u32_e64 s[20:21], v52, v53
	; wave barrier
	ds_write_b8 v30, v20
	ds_write_b64 v31, v[4:5] offset:2048
	ds_write_b8 v30, v35 offset:1
	ds_write_b64 v31, v[12:13] offset:2056
	ds_write_b8 v30, v36 offset:2
	;; [unrolled: 2-line block ×7, first 2 shown]
	s_waitcnt lgkmcnt(14)
	ds_write_b64 v31, v[27:28] offset:2104
	; wave barrier
	s_and_saveexec_b64 s[22:23], s[20:21]
	s_cbranch_execz .LBB200_44
; %bb.41:
	v_add_u32_e32 v54, v10, v50
	v_add3_u32 v55, v10, v48, v51
	s_mov_b64 s[24:25], 0
.LBB200_42:                             ; =>This Inner Loop Header: Depth=1
	v_add_u32_e32 v64, v53, v52
	v_lshrrev_b32_e32 v64, 1, v64
	v_add_u32_e32 v65, v54, v64
	v_xad_u32 v66, v64, -1, v55
	ds_read_u8 v66, v66
	ds_read_u8 v65, v65
	v_add_u32_e32 v67, 1, v64
	s_waitcnt lgkmcnt(1)
	v_and_b32_e32 v66, v66, v11
	s_waitcnt lgkmcnt(0)
	v_and_b32_e32 v65, v65, v11
	v_cmp_gt_u16_sdwa s[20:21], v65, v66 src0_sel:BYTE_0 src1_sel:BYTE_0
	v_cndmask_b32_e64 v53, v53, v64, s[20:21]
	v_cndmask_b32_e64 v52, v67, v52, s[20:21]
	v_cmp_ge_u32_e64 s[20:21], v52, v53
	s_or_b64 s[24:25], s[20:21], s[24:25]
	s_andn2_b64 exec, exec, s[24:25]
	s_cbranch_execnz .LBB200_42
; %bb.43:
	s_or_b64 exec, exec, s[24:25]
.LBB200_44:
	s_or_b64 exec, exec, s[22:23]
	v_add_u32_e32 v51, v48, v51
	v_add_u32_e32 v50, v52, v50
	v_sub_u32_e32 v51, v51, v52
	v_cmp_le_u32_e64 s[20:21], v50, v48
	v_cmp_le_u32_e64 s[22:23], v51, v49
	s_or_b64 s[20:21], s[20:21], s[22:23]
	s_and_saveexec_b64 s[58:59], s[20:21]
	s_cbranch_execz .LBB200_50
; %bb.45:
	v_cmp_lt_u32_e64 s[20:21], v50, v48
                                        ; implicit-def: $vgpr20
	s_and_saveexec_b64 s[22:23], s[20:21]
; %bb.46:
	v_add_u32_e32 v4, v10, v50
	ds_read_u8 v20, v4
; %bb.47:
	s_or_b64 exec, exec, s[22:23]
	v_cmp_ge_u32_e64 s[22:23], v51, v49
	v_cmp_lt_u32_e64 s[24:25], v51, v49
                                        ; implicit-def: $vgpr21
	s_and_saveexec_b64 s[28:29], s[24:25]
; %bb.48:
	v_add_u32_e32 v4, v10, v51
	ds_read_u8 v21, v4
; %bb.49:
	s_or_b64 exec, exec, s[28:29]
	s_waitcnt lgkmcnt(0)
	v_and_b32_e32 v4, v21, v11
	v_and_b32_e32 v5, v20, v11
	v_cmp_le_u16_sdwa s[24:25], v5, v4 src0_sel:BYTE_0 src1_sel:BYTE_0
	s_and_b64 s[20:21], s[20:21], s[24:25]
	s_or_b64 s[20:21], s[22:23], s[20:21]
	v_cndmask_b32_e64 v4, v51, v50, s[20:21]
	v_cndmask_b32_e64 v5, v49, v48, s[20:21]
	v_add_u32_e32 v12, 1, v4
	v_add_u32_e32 v5, -1, v5
	v_min_u32_e32 v5, v12, v5
	v_add_u32_e32 v5, v10, v5
	ds_read_u8 v5, v5
	v_lshl_add_u32 v4, v4, 3, v9
	s_waitcnt lgkmcnt(0)
	v_cndmask_b32_e64 v24, v5, v21, s[20:21]
	v_cndmask_b32_e64 v27, v20, v5, s[20:21]
	v_cndmask_b32_e64 v5, v12, v51, s[20:21]
	v_cndmask_b32_e64 v12, v50, v12, s[20:21]
	v_and_b32_e32 v13, v24, v11
	v_and_b32_e32 v14, v27, v11
	v_cmp_lt_u32_e64 s[24:25], v12, v48
	v_cmp_le_u16_sdwa s[28:29], v14, v13 src0_sel:BYTE_0 src1_sel:BYTE_0
	v_cmp_ge_u32_e64 s[22:23], v5, v49
	s_and_b64 s[24:25], s[24:25], s[28:29]
	s_or_b64 s[22:23], s[22:23], s[24:25]
	v_cndmask_b32_e64 v13, v5, v12, s[22:23]
	v_cndmask_b32_e64 v14, v49, v48, s[22:23]
	v_add_u32_e32 v15, 1, v13
	v_add_u32_e32 v14, -1, v14
	v_min_u32_e32 v14, v15, v14
	v_add_u32_e32 v14, v10, v14
	ds_read_u8 v14, v14
	v_cndmask_b32_e64 v5, v15, v5, s[22:23]
	v_cndmask_b32_e64 v12, v12, v15, s[22:23]
	v_cmp_lt_u32_e64 s[28:29], v12, v48
	v_cmp_ge_u32_e64 s[24:25], v5, v49
	s_waitcnt lgkmcnt(0)
	v_cndmask_b32_e64 v28, v14, v24, s[22:23]
	v_cndmask_b32_e64 v36, v27, v14, s[22:23]
	v_and_b32_e32 v14, v28, v11
	v_and_b32_e32 v15, v36, v11
	v_cmp_le_u16_sdwa s[40:41], v15, v14 src0_sel:BYTE_0 src1_sel:BYTE_0
	s_and_b64 s[28:29], s[28:29], s[40:41]
	s_or_b64 s[24:25], s[24:25], s[28:29]
	v_cndmask_b32_e64 v14, v5, v12, s[24:25]
	v_cndmask_b32_e64 v15, v49, v48, s[24:25]
	v_add_u32_e32 v16, 1, v14
	v_add_u32_e32 v15, -1, v15
	v_min_u32_e32 v15, v16, v15
	v_add_u32_e32 v15, v10, v15
	ds_read_u8 v15, v15
	v_lshl_add_u32 v14, v14, 3, v9
	v_cndmask_b32_e64 v20, v21, v20, s[20:21]
	s_waitcnt lgkmcnt(0)
	v_cndmask_b32_e64 v37, v15, v28, s[24:25]
	v_cndmask_b32_e64 v38, v36, v15, s[24:25]
	;; [unrolled: 1-line block ×4, first 2 shown]
	v_and_b32_e32 v5, v37, v11
	v_and_b32_e32 v12, v38, v11
	v_cmp_lt_u32_e64 s[40:41], v16, v48
	v_cmp_le_u16_sdwa s[42:43], v12, v5 src0_sel:BYTE_0 src1_sel:BYTE_0
	v_cmp_ge_u32_e64 s[28:29], v15, v49
	s_and_b64 s[40:41], s[40:41], s[42:43]
	s_or_b64 s[28:29], s[28:29], s[40:41]
	v_cndmask_b32_e64 v17, v15, v16, s[28:29]
	v_cndmask_b32_e64 v5, v49, v48, s[28:29]
	v_add_u32_e32 v18, 1, v17
	v_add_u32_e32 v5, -1, v5
	v_min_u32_e32 v5, v18, v5
	v_add_u32_e32 v5, v10, v5
	ds_read_u8 v19, v5
	v_lshl_add_u32 v12, v13, 3, v9
	ds_read_b64 v[4:5], v4 offset:2048
	ds_read_b64 v[12:13], v12 offset:2048
	v_cndmask_b32_e64 v36, v28, v36, s[24:25]
	s_waitcnt lgkmcnt(2)
	v_cndmask_b32_e64 v39, v19, v37, s[28:29]
	v_cndmask_b32_e64 v50, v38, v19, s[28:29]
	;; [unrolled: 1-line block ×4, first 2 shown]
	v_and_b32_e32 v15, v39, v11
	v_and_b32_e32 v16, v50, v11
	v_cmp_lt_u32_e64 s[42:43], v18, v48
	v_cmp_le_u16_sdwa s[44:45], v16, v15 src0_sel:BYTE_0 src1_sel:BYTE_0
	v_cmp_ge_u32_e64 s[40:41], v19, v49
	s_and_b64 s[42:43], s[42:43], s[44:45]
	s_or_b64 s[40:41], s[40:41], s[42:43]
	v_cndmask_b32_e64 v22, v19, v18, s[40:41]
	v_cndmask_b32_e64 v15, v49, v48, s[40:41]
	v_add_u32_e32 v23, 1, v22
	v_add_u32_e32 v15, -1, v15
	v_min_u32_e32 v15, v23, v15
	v_add_u32_e32 v15, v10, v15
	ds_read_u8 v25, v15
	v_cndmask_b32_e64 v26, v18, v23, s[40:41]
	v_cmp_lt_u32_e64 s[44:45], v26, v48
	v_lshl_add_u32 v16, v17, 3, v9
	ds_read_b64 v[14:15], v14 offset:2048
	ds_read_b64 v[16:17], v16 offset:2048
	s_waitcnt lgkmcnt(2)
	v_cndmask_b32_e64 v51, v25, v39, s[40:41]
	v_cndmask_b32_e64 v52, v50, v25, s[40:41]
	;; [unrolled: 1-line block ×3, first 2 shown]
	v_and_b32_e32 v18, v51, v11
	v_and_b32_e32 v19, v52, v11
	v_cmp_le_u16_sdwa s[46:47], v19, v18 src0_sel:BYTE_0 src1_sel:BYTE_0
	v_cmp_ge_u32_e64 s[42:43], v25, v49
	s_and_b64 s[44:45], s[44:45], s[46:47]
	s_or_b64 s[42:43], s[42:43], s[44:45]
	v_cndmask_b32_e64 v18, v25, v26, s[42:43]
	v_cndmask_b32_e64 v19, v49, v48, s[42:43]
	v_add_u32_e32 v35, 1, v18
	v_add_u32_e32 v19, -1, v19
	v_min_u32_e32 v19, v35, v19
	v_add_u32_e32 v19, v10, v19
	ds_read_u8 v53, v19
	v_cndmask_b32_e64 v55, v35, v25, s[42:43]
	v_cndmask_b32_e64 v64, v26, v35, s[42:43]
	v_cmp_lt_u32_e64 s[46:47], v64, v48
	v_cmp_ge_u32_e64 s[44:45], v55, v49
	s_waitcnt lgkmcnt(0)
	v_cndmask_b32_e64 v54, v53, v51, s[42:43]
	v_cndmask_b32_e64 v53, v52, v53, s[42:43]
	v_and_b32_e32 v25, v54, v11
	v_and_b32_e32 v26, v53, v11
	v_cmp_le_u16_sdwa s[60:61], v26, v25 src0_sel:BYTE_0 src1_sel:BYTE_0
	s_and_b64 s[46:47], s[46:47], s[60:61]
	s_or_b64 s[44:45], s[44:45], s[46:47]
	v_cndmask_b32_e64 v25, v55, v64, s[44:45]
	v_cndmask_b32_e64 v26, v49, v48, s[44:45]
	v_lshl_add_u32 v35, v25, 3, v9
	v_add_u32_e32 v65, 1, v25
	v_add_u32_e32 v25, -1, v26
	v_min_u32_e32 v25, v65, v25
	v_lshl_add_u32 v19, v22, 3, v9
	v_lshl_add_u32 v18, v18, 3, v9
	v_add_u32_e32 v66, v10, v25
	ds_read_b64 v[22:23], v19 offset:2048
	ds_read_b64 v[18:19], v18 offset:2048
	;; [unrolled: 1-line block ×3, first 2 shown]
	ds_read_u8 v66, v66
	v_cndmask_b32_e64 v35, v24, v27, s[22:23]
	v_cndmask_b32_e64 v24, v37, v38, s[28:29]
	;; [unrolled: 1-line block ×4, first 2 shown]
	s_waitcnt lgkmcnt(0)
	v_cndmask_b32_e64 v37, v66, v54, s[44:45]
	v_cndmask_b32_e64 v66, v53, v66, s[44:45]
	v_and_b32_e32 v28, v37, v11
	v_and_b32_e32 v38, v66, v11
	v_cmp_lt_u32_e64 s[22:23], v27, v48
	v_cmp_le_u16_sdwa s[24:25], v38, v28 src0_sel:BYTE_0 src1_sel:BYTE_0
	v_cmp_ge_u32_e64 s[20:21], v21, v49
	s_and_b64 s[22:23], s[22:23], s[24:25]
	s_or_b64 s[20:21], s[20:21], s[22:23]
	v_cndmask_b32_e64 v21, v21, v27, s[20:21]
	v_lshl_add_u32 v21, v21, 3, v9
	ds_read_b64 v[27:28], v21 offset:2048
	v_cndmask_b32_e64 v21, v39, v50, s[40:41]
	v_cndmask_b32_e64 v39, v51, v52, s[42:43]
	;; [unrolled: 1-line block ×4, first 2 shown]
.LBB200_50:
	s_or_b64 exec, exec, s[58:59]
	v_and_b32_e32 v50, 0x3c0, v34
	v_or_b32_e32 v48, 32, v50
	v_min_u32_e32 v48, v29, v48
	v_add_u32_e32 v49, 32, v48
	v_min_u32_e32 v49, v29, v49
	v_and_b32_e32 v51, 56, v34
	v_min_u32_e32 v51, v29, v51
	v_sub_u32_e32 v53, v48, v50
	v_sub_u32_e32 v52, v49, v48
	v_sub_u32_e64 v52, v51, v52 clamp
	v_min_u32_e32 v53, v51, v53
	v_cmp_lt_u32_e64 s[20:21], v52, v53
	; wave barrier
	ds_write_b8 v30, v20
	ds_write_b64 v31, v[4:5] offset:2048
	ds_write_b8 v30, v35 offset:1
	ds_write_b64 v31, v[12:13] offset:2056
	ds_write_b8 v30, v36 offset:2
	;; [unrolled: 2-line block ×7, first 2 shown]
	s_waitcnt lgkmcnt(14)
	ds_write_b64 v31, v[27:28] offset:2104
	; wave barrier
	s_and_saveexec_b64 s[22:23], s[20:21]
	s_cbranch_execz .LBB200_54
; %bb.51:
	v_add_u32_e32 v54, v10, v50
	v_add3_u32 v55, v10, v48, v51
	s_mov_b64 s[24:25], 0
.LBB200_52:                             ; =>This Inner Loop Header: Depth=1
	v_add_u32_e32 v64, v53, v52
	v_lshrrev_b32_e32 v64, 1, v64
	v_add_u32_e32 v65, v54, v64
	v_xad_u32 v66, v64, -1, v55
	ds_read_u8 v66, v66
	ds_read_u8 v65, v65
	v_add_u32_e32 v67, 1, v64
	s_waitcnt lgkmcnt(1)
	v_and_b32_e32 v66, v66, v11
	s_waitcnt lgkmcnt(0)
	v_and_b32_e32 v65, v65, v11
	v_cmp_gt_u16_sdwa s[20:21], v65, v66 src0_sel:BYTE_0 src1_sel:BYTE_0
	v_cndmask_b32_e64 v53, v53, v64, s[20:21]
	v_cndmask_b32_e64 v52, v67, v52, s[20:21]
	v_cmp_ge_u32_e64 s[20:21], v52, v53
	s_or_b64 s[24:25], s[20:21], s[24:25]
	s_andn2_b64 exec, exec, s[24:25]
	s_cbranch_execnz .LBB200_52
; %bb.53:
	s_or_b64 exec, exec, s[24:25]
.LBB200_54:
	s_or_b64 exec, exec, s[22:23]
	v_add_u32_e32 v51, v48, v51
	v_add_u32_e32 v50, v52, v50
	v_sub_u32_e32 v51, v51, v52
	v_cmp_le_u32_e64 s[20:21], v50, v48
	v_cmp_le_u32_e64 s[22:23], v51, v49
	s_or_b64 s[20:21], s[20:21], s[22:23]
	s_and_saveexec_b64 s[58:59], s[20:21]
	s_cbranch_execz .LBB200_60
; %bb.55:
	v_cmp_lt_u32_e64 s[20:21], v50, v48
                                        ; implicit-def: $vgpr20
	s_and_saveexec_b64 s[22:23], s[20:21]
; %bb.56:
	v_add_u32_e32 v4, v10, v50
	ds_read_u8 v20, v4
; %bb.57:
	s_or_b64 exec, exec, s[22:23]
	v_cmp_ge_u32_e64 s[22:23], v51, v49
	v_cmp_lt_u32_e64 s[24:25], v51, v49
                                        ; implicit-def: $vgpr21
	s_and_saveexec_b64 s[28:29], s[24:25]
; %bb.58:
	v_add_u32_e32 v4, v10, v51
	ds_read_u8 v21, v4
; %bb.59:
	s_or_b64 exec, exec, s[28:29]
	s_waitcnt lgkmcnt(0)
	v_and_b32_e32 v4, v21, v11
	v_and_b32_e32 v5, v20, v11
	v_cmp_le_u16_sdwa s[24:25], v5, v4 src0_sel:BYTE_0 src1_sel:BYTE_0
	s_and_b64 s[20:21], s[20:21], s[24:25]
	s_or_b64 s[20:21], s[22:23], s[20:21]
	v_cndmask_b32_e64 v4, v51, v50, s[20:21]
	v_cndmask_b32_e64 v5, v49, v48, s[20:21]
	v_add_u32_e32 v12, 1, v4
	v_add_u32_e32 v5, -1, v5
	v_min_u32_e32 v5, v12, v5
	v_add_u32_e32 v5, v10, v5
	ds_read_u8 v5, v5
	v_lshl_add_u32 v4, v4, 3, v9
	s_waitcnt lgkmcnt(0)
	v_cndmask_b32_e64 v24, v5, v21, s[20:21]
	v_cndmask_b32_e64 v27, v20, v5, s[20:21]
	;; [unrolled: 1-line block ×4, first 2 shown]
	v_and_b32_e32 v13, v24, v11
	v_and_b32_e32 v14, v27, v11
	v_cmp_lt_u32_e64 s[24:25], v12, v48
	v_cmp_le_u16_sdwa s[28:29], v14, v13 src0_sel:BYTE_0 src1_sel:BYTE_0
	v_cmp_ge_u32_e64 s[22:23], v5, v49
	s_and_b64 s[24:25], s[24:25], s[28:29]
	s_or_b64 s[22:23], s[22:23], s[24:25]
	v_cndmask_b32_e64 v13, v5, v12, s[22:23]
	v_cndmask_b32_e64 v14, v49, v48, s[22:23]
	v_add_u32_e32 v15, 1, v13
	v_add_u32_e32 v14, -1, v14
	v_min_u32_e32 v14, v15, v14
	v_add_u32_e32 v14, v10, v14
	ds_read_u8 v14, v14
	v_cndmask_b32_e64 v5, v15, v5, s[22:23]
	v_cndmask_b32_e64 v12, v12, v15, s[22:23]
	v_cmp_lt_u32_e64 s[28:29], v12, v48
	v_cmp_ge_u32_e64 s[24:25], v5, v49
	s_waitcnt lgkmcnt(0)
	v_cndmask_b32_e64 v28, v14, v24, s[22:23]
	v_cndmask_b32_e64 v36, v27, v14, s[22:23]
	v_and_b32_e32 v14, v28, v11
	v_and_b32_e32 v15, v36, v11
	v_cmp_le_u16_sdwa s[40:41], v15, v14 src0_sel:BYTE_0 src1_sel:BYTE_0
	s_and_b64 s[28:29], s[28:29], s[40:41]
	s_or_b64 s[24:25], s[24:25], s[28:29]
	v_cndmask_b32_e64 v14, v5, v12, s[24:25]
	v_cndmask_b32_e64 v15, v49, v48, s[24:25]
	v_add_u32_e32 v16, 1, v14
	v_add_u32_e32 v15, -1, v15
	v_min_u32_e32 v15, v16, v15
	v_add_u32_e32 v15, v10, v15
	ds_read_u8 v15, v15
	v_lshl_add_u32 v14, v14, 3, v9
	v_cndmask_b32_e64 v20, v21, v20, s[20:21]
	s_waitcnt lgkmcnt(0)
	v_cndmask_b32_e64 v37, v15, v28, s[24:25]
	v_cndmask_b32_e64 v38, v36, v15, s[24:25]
	;; [unrolled: 1-line block ×4, first 2 shown]
	v_and_b32_e32 v5, v37, v11
	v_and_b32_e32 v12, v38, v11
	v_cmp_lt_u32_e64 s[40:41], v16, v48
	v_cmp_le_u16_sdwa s[42:43], v12, v5 src0_sel:BYTE_0 src1_sel:BYTE_0
	v_cmp_ge_u32_e64 s[28:29], v15, v49
	s_and_b64 s[40:41], s[40:41], s[42:43]
	s_or_b64 s[28:29], s[28:29], s[40:41]
	v_cndmask_b32_e64 v17, v15, v16, s[28:29]
	v_cndmask_b32_e64 v5, v49, v48, s[28:29]
	v_add_u32_e32 v18, 1, v17
	v_add_u32_e32 v5, -1, v5
	v_min_u32_e32 v5, v18, v5
	v_add_u32_e32 v5, v10, v5
	ds_read_u8 v19, v5
	v_lshl_add_u32 v12, v13, 3, v9
	ds_read_b64 v[4:5], v4 offset:2048
	ds_read_b64 v[12:13], v12 offset:2048
	v_cndmask_b32_e64 v36, v28, v36, s[24:25]
	s_waitcnt lgkmcnt(2)
	v_cndmask_b32_e64 v39, v19, v37, s[28:29]
	v_cndmask_b32_e64 v50, v38, v19, s[28:29]
	;; [unrolled: 1-line block ×4, first 2 shown]
	v_and_b32_e32 v15, v39, v11
	v_and_b32_e32 v16, v50, v11
	v_cmp_lt_u32_e64 s[42:43], v18, v48
	v_cmp_le_u16_sdwa s[44:45], v16, v15 src0_sel:BYTE_0 src1_sel:BYTE_0
	v_cmp_ge_u32_e64 s[40:41], v19, v49
	s_and_b64 s[42:43], s[42:43], s[44:45]
	s_or_b64 s[40:41], s[40:41], s[42:43]
	v_cndmask_b32_e64 v22, v19, v18, s[40:41]
	v_cndmask_b32_e64 v15, v49, v48, s[40:41]
	v_add_u32_e32 v23, 1, v22
	v_add_u32_e32 v15, -1, v15
	v_min_u32_e32 v15, v23, v15
	v_add_u32_e32 v15, v10, v15
	ds_read_u8 v25, v15
	v_cndmask_b32_e64 v26, v18, v23, s[40:41]
	v_cmp_lt_u32_e64 s[44:45], v26, v48
	v_lshl_add_u32 v16, v17, 3, v9
	ds_read_b64 v[14:15], v14 offset:2048
	ds_read_b64 v[16:17], v16 offset:2048
	s_waitcnt lgkmcnt(2)
	v_cndmask_b32_e64 v51, v25, v39, s[40:41]
	v_cndmask_b32_e64 v52, v50, v25, s[40:41]
	;; [unrolled: 1-line block ×3, first 2 shown]
	v_and_b32_e32 v18, v51, v11
	v_and_b32_e32 v19, v52, v11
	v_cmp_le_u16_sdwa s[46:47], v19, v18 src0_sel:BYTE_0 src1_sel:BYTE_0
	v_cmp_ge_u32_e64 s[42:43], v25, v49
	s_and_b64 s[44:45], s[44:45], s[46:47]
	s_or_b64 s[42:43], s[42:43], s[44:45]
	v_cndmask_b32_e64 v18, v25, v26, s[42:43]
	v_cndmask_b32_e64 v19, v49, v48, s[42:43]
	v_add_u32_e32 v35, 1, v18
	v_add_u32_e32 v19, -1, v19
	v_min_u32_e32 v19, v35, v19
	v_add_u32_e32 v19, v10, v19
	ds_read_u8 v53, v19
	v_cndmask_b32_e64 v55, v35, v25, s[42:43]
	v_cndmask_b32_e64 v64, v26, v35, s[42:43]
	v_cmp_lt_u32_e64 s[46:47], v64, v48
	v_cmp_ge_u32_e64 s[44:45], v55, v49
	s_waitcnt lgkmcnt(0)
	v_cndmask_b32_e64 v54, v53, v51, s[42:43]
	v_cndmask_b32_e64 v53, v52, v53, s[42:43]
	v_and_b32_e32 v25, v54, v11
	v_and_b32_e32 v26, v53, v11
	v_cmp_le_u16_sdwa s[60:61], v26, v25 src0_sel:BYTE_0 src1_sel:BYTE_0
	s_and_b64 s[46:47], s[46:47], s[60:61]
	s_or_b64 s[44:45], s[44:45], s[46:47]
	v_cndmask_b32_e64 v25, v55, v64, s[44:45]
	v_cndmask_b32_e64 v26, v49, v48, s[44:45]
	v_lshl_add_u32 v35, v25, 3, v9
	v_add_u32_e32 v65, 1, v25
	v_add_u32_e32 v25, -1, v26
	v_min_u32_e32 v25, v65, v25
	v_lshl_add_u32 v19, v22, 3, v9
	v_lshl_add_u32 v18, v18, 3, v9
	v_add_u32_e32 v66, v10, v25
	ds_read_b64 v[22:23], v19 offset:2048
	ds_read_b64 v[18:19], v18 offset:2048
	;; [unrolled: 1-line block ×3, first 2 shown]
	ds_read_u8 v66, v66
	v_cndmask_b32_e64 v35, v24, v27, s[22:23]
	v_cndmask_b32_e64 v24, v37, v38, s[28:29]
	;; [unrolled: 1-line block ×4, first 2 shown]
	s_waitcnt lgkmcnt(0)
	v_cndmask_b32_e64 v37, v66, v54, s[44:45]
	v_cndmask_b32_e64 v66, v53, v66, s[44:45]
	v_and_b32_e32 v28, v37, v11
	v_and_b32_e32 v38, v66, v11
	v_cmp_lt_u32_e64 s[22:23], v27, v48
	v_cmp_le_u16_sdwa s[24:25], v38, v28 src0_sel:BYTE_0 src1_sel:BYTE_0
	v_cmp_ge_u32_e64 s[20:21], v21, v49
	s_and_b64 s[22:23], s[22:23], s[24:25]
	s_or_b64 s[20:21], s[20:21], s[22:23]
	v_cndmask_b32_e64 v21, v21, v27, s[20:21]
	v_lshl_add_u32 v21, v21, 3, v9
	ds_read_b64 v[27:28], v21 offset:2048
	v_cndmask_b32_e64 v21, v39, v50, s[40:41]
	v_cndmask_b32_e64 v39, v51, v52, s[42:43]
	;; [unrolled: 1-line block ×4, first 2 shown]
.LBB200_60:
	s_or_b64 exec, exec, s[58:59]
	v_and_b32_e32 v34, 0x380, v34
	; wave barrier
	ds_write_b8 v30, v20
	ds_write_b64 v31, v[4:5] offset:2048
	ds_write_b8 v30, v35 offset:1
	ds_write_b64 v31, v[12:13] offset:2056
	ds_write_b8 v30, v36 offset:2
	ds_write_b64 v31, v[14:15] offset:2064
	ds_write_b8 v30, v24 offset:3
	ds_write_b64 v31, v[16:17] offset:2072
	ds_write_b8 v30, v21 offset:4
	ds_write_b64 v31, v[22:23] offset:2080
	ds_write_b8 v30, v39 offset:5
	ds_write_b64 v31, v[18:19] offset:2088
	ds_write_b8 v30, v38 offset:6
	ds_write_b64 v31, v[25:26] offset:2096
	ds_write_b8 v30, v37 offset:7
	s_waitcnt lgkmcnt(14)
	ds_write_b64 v31, v[27:28] offset:2104
	v_or_b32_e32 v30, 64, v34
	v_min_u32_e32 v30, v29, v30
	v_add_u32_e32 v31, 64, v30
	v_min_u32_e32 v31, v29, v31
	v_min_u32_e32 v48, v29, v32
	v_sub_u32_e32 v29, v30, v34
	v_sub_u32_e32 v49, v31, v30
	v_sub_u32_e64 v49, v48, v49 clamp
	v_min_u32_e32 v29, v48, v29
	v_cmp_lt_u32_e64 s[20:21], v49, v29
	; wave barrier
	s_and_saveexec_b64 s[22:23], s[20:21]
	s_cbranch_execz .LBB200_64
; %bb.61:
	v_add_u32_e32 v50, v10, v34
	v_add3_u32 v51, v10, v30, v48
	s_mov_b64 s[24:25], 0
.LBB200_62:                             ; =>This Inner Loop Header: Depth=1
	v_add_u32_e32 v52, v29, v49
	v_lshrrev_b32_e32 v52, 1, v52
	v_add_u32_e32 v53, v50, v52
	v_xad_u32 v54, v52, -1, v51
	ds_read_u8 v54, v54
	ds_read_u8 v53, v53
	v_add_u32_e32 v55, 1, v52
	s_waitcnt lgkmcnt(1)
	v_and_b32_e32 v54, v54, v11
	s_waitcnt lgkmcnt(0)
	v_and_b32_e32 v53, v53, v11
	v_cmp_gt_u16_sdwa s[20:21], v53, v54 src0_sel:BYTE_0 src1_sel:BYTE_0
	v_cndmask_b32_e64 v29, v29, v52, s[20:21]
	v_cndmask_b32_e64 v49, v55, v49, s[20:21]
	v_cmp_ge_u32_e64 s[20:21], v49, v29
	s_or_b64 s[24:25], s[20:21], s[24:25]
	s_andn2_b64 exec, exec, s[24:25]
	s_cbranch_execnz .LBB200_62
; %bb.63:
	s_or_b64 exec, exec, s[24:25]
.LBB200_64:
	s_or_b64 exec, exec, s[22:23]
	v_add_u32_e32 v29, v49, v34
	v_add_u32_e32 v34, v30, v48
	v_sub_u32_e32 v34, v34, v49
	v_cmp_le_u32_e64 s[20:21], v29, v30
	v_cmp_le_u32_e64 s[22:23], v34, v31
	s_or_b64 s[20:21], s[20:21], s[22:23]
	s_and_saveexec_b64 s[58:59], s[20:21]
	s_cbranch_execz .LBB200_70
; %bb.65:
	v_cmp_lt_u32_e64 s[20:21], v29, v30
                                        ; implicit-def: $vgpr20
	s_and_saveexec_b64 s[22:23], s[20:21]
; %bb.66:
	v_add_u32_e32 v4, v10, v29
	ds_read_u8 v20, v4
; %bb.67:
	s_or_b64 exec, exec, s[22:23]
	v_cmp_ge_u32_e64 s[22:23], v34, v31
	v_cmp_lt_u32_e64 s[24:25], v34, v31
                                        ; implicit-def: $vgpr21
	s_and_saveexec_b64 s[28:29], s[24:25]
; %bb.68:
	v_add_u32_e32 v4, v10, v34
	ds_read_u8 v21, v4
; %bb.69:
	s_or_b64 exec, exec, s[28:29]
	s_waitcnt lgkmcnt(0)
	v_and_b32_e32 v4, v21, v11
	v_and_b32_e32 v5, v20, v11
	v_cmp_le_u16_sdwa s[24:25], v5, v4 src0_sel:BYTE_0 src1_sel:BYTE_0
	s_and_b64 s[20:21], s[20:21], s[24:25]
	s_or_b64 s[20:21], s[22:23], s[20:21]
	v_cndmask_b32_e64 v4, v34, v29, s[20:21]
	v_cndmask_b32_e64 v5, v31, v30, s[20:21]
	v_add_u32_e32 v12, 1, v4
	v_add_u32_e32 v5, -1, v5
	v_min_u32_e32 v5, v12, v5
	v_add_u32_e32 v5, v10, v5
	ds_read_u8 v5, v5
	v_lshl_add_u32 v4, v4, 3, v9
	s_waitcnt lgkmcnt(0)
	v_cndmask_b32_e64 v24, v5, v21, s[20:21]
	v_cndmask_b32_e64 v27, v20, v5, s[20:21]
	;; [unrolled: 1-line block ×4, first 2 shown]
	v_and_b32_e32 v13, v24, v11
	v_and_b32_e32 v14, v27, v11
	v_cmp_lt_u32_e64 s[24:25], v12, v30
	v_cmp_le_u16_sdwa s[28:29], v14, v13 src0_sel:BYTE_0 src1_sel:BYTE_0
	v_cmp_ge_u32_e64 s[22:23], v5, v31
	s_and_b64 s[24:25], s[24:25], s[28:29]
	s_or_b64 s[22:23], s[22:23], s[24:25]
	v_cndmask_b32_e64 v13, v5, v12, s[22:23]
	v_cndmask_b32_e64 v14, v31, v30, s[22:23]
	v_add_u32_e32 v15, 1, v13
	v_add_u32_e32 v14, -1, v14
	v_min_u32_e32 v14, v15, v14
	v_add_u32_e32 v14, v10, v14
	ds_read_u8 v14, v14
	v_cndmask_b32_e64 v5, v15, v5, s[22:23]
	v_cndmask_b32_e64 v12, v12, v15, s[22:23]
	v_cmp_lt_u32_e64 s[28:29], v12, v30
	v_cmp_ge_u32_e64 s[24:25], v5, v31
	s_waitcnt lgkmcnt(0)
	v_cndmask_b32_e64 v28, v14, v24, s[22:23]
	v_cndmask_b32_e64 v29, v27, v14, s[22:23]
	v_and_b32_e32 v14, v28, v11
	v_and_b32_e32 v15, v29, v11
	v_cmp_le_u16_sdwa s[40:41], v15, v14 src0_sel:BYTE_0 src1_sel:BYTE_0
	s_and_b64 s[28:29], s[28:29], s[40:41]
	s_or_b64 s[24:25], s[24:25], s[28:29]
	v_cndmask_b32_e64 v14, v5, v12, s[24:25]
	v_cndmask_b32_e64 v15, v31, v30, s[24:25]
	v_add_u32_e32 v16, 1, v14
	v_add_u32_e32 v15, -1, v15
	v_min_u32_e32 v15, v16, v15
	v_add_u32_e32 v15, v10, v15
	ds_read_u8 v15, v15
	v_lshl_add_u32 v14, v14, 3, v9
	v_cndmask_b32_e64 v20, v21, v20, s[20:21]
	s_waitcnt lgkmcnt(0)
	v_cndmask_b32_e64 v34, v15, v28, s[24:25]
	v_cndmask_b32_e64 v37, v29, v15, s[24:25]
	;; [unrolled: 1-line block ×4, first 2 shown]
	v_and_b32_e32 v5, v34, v11
	v_and_b32_e32 v12, v37, v11
	v_cmp_lt_u32_e64 s[40:41], v16, v30
	v_cmp_le_u16_sdwa s[42:43], v12, v5 src0_sel:BYTE_0 src1_sel:BYTE_0
	v_cmp_ge_u32_e64 s[28:29], v15, v31
	s_and_b64 s[40:41], s[40:41], s[42:43]
	s_or_b64 s[28:29], s[28:29], s[40:41]
	v_cndmask_b32_e64 v17, v15, v16, s[28:29]
	v_cndmask_b32_e64 v5, v31, v30, s[28:29]
	v_add_u32_e32 v18, 1, v17
	v_add_u32_e32 v5, -1, v5
	v_min_u32_e32 v5, v18, v5
	v_add_u32_e32 v5, v10, v5
	ds_read_u8 v19, v5
	v_lshl_add_u32 v12, v13, 3, v9
	ds_read_b64 v[4:5], v4 offset:2048
	ds_read_b64 v[12:13], v12 offset:2048
	s_waitcnt lgkmcnt(2)
	v_cndmask_b32_e64 v38, v19, v34, s[28:29]
	v_cndmask_b32_e64 v39, v37, v19, s[28:29]
	;; [unrolled: 1-line block ×4, first 2 shown]
	v_and_b32_e32 v15, v38, v11
	v_and_b32_e32 v16, v39, v11
	v_cmp_lt_u32_e64 s[42:43], v18, v30
	v_cmp_le_u16_sdwa s[44:45], v16, v15 src0_sel:BYTE_0 src1_sel:BYTE_0
	v_cmp_ge_u32_e64 s[40:41], v19, v31
	s_and_b64 s[42:43], s[42:43], s[44:45]
	s_or_b64 s[40:41], s[40:41], s[42:43]
	v_cndmask_b32_e64 v22, v19, v18, s[40:41]
	v_cndmask_b32_e64 v15, v31, v30, s[40:41]
	v_add_u32_e32 v23, 1, v22
	v_add_u32_e32 v15, -1, v15
	v_min_u32_e32 v15, v23, v15
	v_add_u32_e32 v15, v10, v15
	ds_read_u8 v25, v15
	v_cndmask_b32_e64 v26, v18, v23, s[40:41]
	v_cmp_lt_u32_e64 s[44:45], v26, v30
	v_lshl_add_u32 v16, v17, 3, v9
	ds_read_b64 v[14:15], v14 offset:2048
	ds_read_b64 v[16:17], v16 offset:2048
	s_waitcnt lgkmcnt(2)
	v_cndmask_b32_e64 v48, v25, v38, s[40:41]
	v_cndmask_b32_e64 v49, v39, v25, s[40:41]
	;; [unrolled: 1-line block ×3, first 2 shown]
	v_and_b32_e32 v18, v48, v11
	v_and_b32_e32 v19, v49, v11
	v_cmp_le_u16_sdwa s[46:47], v19, v18 src0_sel:BYTE_0 src1_sel:BYTE_0
	v_cmp_ge_u32_e64 s[42:43], v25, v31
	s_and_b64 s[44:45], s[44:45], s[46:47]
	s_or_b64 s[42:43], s[42:43], s[44:45]
	v_cndmask_b32_e64 v18, v25, v26, s[42:43]
	v_cndmask_b32_e64 v19, v31, v30, s[42:43]
	v_add_u32_e32 v35, 1, v18
	v_add_u32_e32 v19, -1, v19
	v_min_u32_e32 v19, v35, v19
	v_add_u32_e32 v19, v10, v19
	ds_read_u8 v36, v19
	v_cndmask_b32_e64 v52, v35, v25, s[42:43]
	v_cndmask_b32_e64 v53, v26, v35, s[42:43]
	v_cmp_lt_u32_e64 s[46:47], v53, v30
	v_cmp_ge_u32_e64 s[44:45], v52, v31
	s_waitcnt lgkmcnt(0)
	v_cndmask_b32_e64 v50, v36, v48, s[42:43]
	v_cndmask_b32_e64 v51, v49, v36, s[42:43]
	v_and_b32_e32 v25, v50, v11
	v_and_b32_e32 v26, v51, v11
	v_cmp_le_u16_sdwa s[60:61], v26, v25 src0_sel:BYTE_0 src1_sel:BYTE_0
	s_and_b64 s[46:47], s[46:47], s[60:61]
	s_or_b64 s[44:45], s[44:45], s[46:47]
	v_cndmask_b32_e64 v25, v52, v53, s[44:45]
	v_cndmask_b32_e64 v26, v31, v30, s[44:45]
	v_lshl_add_u32 v35, v25, 3, v9
	v_add_u32_e32 v54, 1, v25
	v_add_u32_e32 v25, -1, v26
	v_min_u32_e32 v25, v54, v25
	v_lshl_add_u32 v19, v22, 3, v9
	v_lshl_add_u32 v18, v18, 3, v9
	v_add_u32_e32 v10, v10, v25
	ds_read_b64 v[22:23], v19 offset:2048
	ds_read_b64 v[18:19], v18 offset:2048
	;; [unrolled: 1-line block ×3, first 2 shown]
	ds_read_u8 v10, v10
	v_cndmask_b32_e64 v36, v28, v29, s[24:25]
	v_cndmask_b32_e64 v35, v24, v27, s[22:23]
	v_cndmask_b32_e64 v27, v53, v54, s[44:45]
	v_cndmask_b32_e64 v21, v54, v52, s[44:45]
	s_waitcnt lgkmcnt(0)
	v_cndmask_b32_e64 v29, v10, v50, s[44:45]
	v_cndmask_b32_e64 v10, v51, v10, s[44:45]
	v_and_b32_e32 v28, v29, v11
	v_and_b32_e32 v11, v10, v11
	v_cmp_lt_u32_e64 s[22:23], v27, v30
	v_cmp_le_u16_sdwa s[24:25], v11, v28 src0_sel:BYTE_0 src1_sel:BYTE_0
	v_cmp_ge_u32_e64 s[20:21], v21, v31
	s_and_b64 s[22:23], s[22:23], s[24:25]
	s_or_b64 s[20:21], s[20:21], s[22:23]
	v_cndmask_b32_e64 v11, v21, v27, s[20:21]
	v_lshl_add_u32 v9, v11, 3, v9
	ds_read_b64 v[27:28], v9 offset:2048
	v_cndmask_b32_e64 v24, v34, v37, s[28:29]
	v_cndmask_b32_e64 v21, v38, v39, s[40:41]
	;; [unrolled: 1-line block ×5, first 2 shown]
.LBB200_70:
	s_or_b64 exec, exec, s[58:59]
	; wave barrier
	s_waitcnt lgkmcnt(0)
	s_barrier
                                        ; implicit-def: $vgpr34
                                        ; implicit-def: $vgpr31
                                        ; implicit-def: $vgpr9
                                        ; implicit-def: $vgpr29
.LBB200_71:
	s_andn2_saveexec_b64 s[44:45], s[56:57]
	s_cbranch_execz .LBB200_117
; %bb.72:
	s_load_dwordx2 s[20:21], s[8:9], 0x0
	v_mov_b32_e32 v10, 0
	s_waitcnt lgkmcnt(0)
	s_cmp_lt_u32 s13, s21
	s_cselect_b32 s13, 14, 20
	s_add_u32 s22, s8, s13
	s_addc_u32 s23, s9, 0
	s_cmp_lt_u32 s12, s20
	s_cselect_b32 s12, 12, 18
	s_add_u32 s8, s8, s12
	s_addc_u32 s9, s9, 0
	global_load_ushort v11, v10, s[22:23]
	global_load_ushort v30, v10, s[8:9]
	v_and_b32_e32 v10, 0x3ff, v31
	s_movk_i32 s20, 0x800
	s_waitcnt vmcnt(0)
	v_mad_u32_u24 v9, v29, v11, v9
	v_mul_lo_u32 v9, v9, v30
	v_add_lshl_u32 v11, v9, v10, 3
	v_cmp_gt_u32_e64 s[8:9], s20, v11
	s_and_saveexec_b64 s[12:13], s[8:9]
	s_cbranch_execz .LBB200_76
; %bb.73:
	s_mov_b32 s8, 0xc0c0004
	v_perm_b32 v9, v21, v39, s8
	v_perm_b32 v10, v38, v37, s8
	;; [unrolled: 1-line block ×3, first 2 shown]
	v_lshl_or_b32 v9, v10, 16, v9
	v_perm_b32 v10, v20, v35, s8
	v_perm_b32 v21, v35, v20, s8
	v_lshlrev_b32_e32 v24, 16, v24
	v_or_b32_e32 v21, v21, v24
	v_or_b32_e32 v10, v10, v24
	v_cmp_gt_u16_sdwa s[8:9], v20, v35 src0_sel:BYTE_0 src1_sel:BYTE_0
	v_cndmask_b32_e64 v10, v10, v21, s[8:9]
	v_cndmask_b32_e64 v20, v12, v4, s[8:9]
	v_cndmask_b32_e64 v4, v4, v12, s[8:9]
	v_lshrrev_b32_e32 v12, 16, v10
	s_mov_b32 s23, 0xc0c0001
	v_cndmask_b32_e64 v24, v13, v5, s[8:9]
	v_cndmask_b32_e64 v5, v5, v13, s[8:9]
	v_perm_b32 v13, 0, v12, s23
	v_lshlrev_b32_e32 v13, 16, v13
	s_mov_b32 s22, 0xffff
	v_cmp_gt_u16_sdwa s[8:9], v12, v10 src0_sel:BYTE_0 src1_sel:BYTE_3
	v_and_or_b32 v13, v10, s22, v13
	v_cndmask_b32_e64 v12, v16, v14, s[8:9]
	v_cndmask_b32_e64 v14, v14, v16, s[8:9]
	s_mov_b32 s29, 0x7060405
	v_lshrrev_b32_e32 v16, 8, v9
	v_cndmask_b32_e64 v21, v17, v15, s[8:9]
	v_cndmask_b32_e64 v15, v15, v17, s[8:9]
	;; [unrolled: 1-line block ×3, first 2 shown]
	v_perm_b32 v13, v9, v9, s29
	v_cmp_gt_u16_sdwa s[8:9], v9, v16 src0_sel:BYTE_0 src1_sel:BYTE_0
	s_movk_i32 s21, 0xff
	v_cndmask_b32_e64 v9, v9, v13, s[8:9]
	v_and_b32_sdwa v13, v9, s21 dst_sel:DWORD dst_unused:UNUSED_PAD src0_sel:WORD_1 src1_sel:DWORD
	s_mov_b32 s25, 0x6070504
	v_cndmask_b32_e64 v16, v22, v18, s[8:9]
	v_cndmask_b32_e64 v17, v23, v19, s[8:9]
	v_cndmask_b32_e64 v18, v18, v22, s[8:9]
	v_cndmask_b32_e64 v19, v19, v23, s[8:9]
	v_perm_b32 v22, v9, v9, s25
	v_cmp_gt_u16_sdwa s[8:9], v13, v9 src0_sel:DWORD src1_sel:BYTE_3
	v_cndmask_b32_e64 v13, v25, v27, s[8:9]
	v_cndmask_b32_e64 v25, v27, v25, s[8:9]
	;; [unrolled: 1-line block ×3, first 2 shown]
	v_and_b32_sdwa v22, v10, s21 dst_sel:DWORD dst_unused:UNUSED_PAD src0_sel:WORD_1 src1_sel:DWORD
	v_lshrrev_b32_e32 v27, 8, v10
	s_mov_b32 s24, 0x7050604
	v_cndmask_b32_e64 v23, v26, v28, s[8:9]
	v_cndmask_b32_e64 v26, v28, v26, s[8:9]
	v_perm_b32 v28, v10, v10, s24
	v_cmp_gt_u16_sdwa s[8:9], v27, v22 src0_sel:BYTE_0 src1_sel:DWORD
	v_cndmask_b32_e64 v10, v10, v28, s[8:9]
	s_mov_b32 s28, 0x3020107
	v_cndmask_b32_e64 v22, v15, v24, s[8:9]
	v_cndmask_b32_e64 v27, v14, v20, s[8:9]
	;; [unrolled: 1-line block ×4, first 2 shown]
	v_perm_b32 v20, v10, v9, s28
	v_and_b32_sdwa v24, v10, s21 dst_sel:DWORD dst_unused:UNUSED_PAD src0_sel:WORD_1 src1_sel:DWORD
	v_lshlrev_b16_e32 v28, 8, v9
	v_cmp_gt_u16_sdwa s[8:9], v10, v9 src0_sel:BYTE_3 src1_sel:BYTE_0
	v_or_b32_sdwa v24, v24, v28 dst_sel:WORD_1 dst_unused:UNUSED_PAD src0_sel:DWORD src1_sel:DWORD
	v_cndmask_b32_e64 v9, v9, v20, s[8:9]
	v_and_or_b32 v24, v10, s22, v24
	v_cndmask_b32_e64 v29, v12, v16, s[8:9]
	v_cndmask_b32_e64 v12, v16, v12, s[8:9]
	v_and_b32_sdwa v16, v9, s21 dst_sel:DWORD dst_unused:UNUSED_PAD src0_sel:WORD_1 src1_sel:DWORD
	v_lshrrev_b32_e32 v20, 8, v9
	v_cndmask_b32_e64 v28, v21, v17, s[8:9]
	v_cndmask_b32_e64 v17, v17, v21, s[8:9]
	;; [unrolled: 1-line block ×3, first 2 shown]
	v_perm_b32 v21, v9, v9, s24
	v_cmp_gt_u16_sdwa s[8:9], v20, v16 src0_sel:BYTE_0 src1_sel:DWORD
	v_cndmask_b32_e64 v20, v18, v13, s[8:9]
	v_cndmask_b32_e64 v13, v13, v18, s[8:9]
	;; [unrolled: 1-line block ×3, first 2 shown]
	v_perm_b32 v18, 0, v10, s23
	s_mov_b32 s40, 0xffff0000
	v_lshrrev_b32_e32 v21, 8, v10
	v_cndmask_b32_e64 v16, v19, v23, s[8:9]
	v_cndmask_b32_e64 v19, v23, v19, s[8:9]
	v_and_or_b32 v18, v10, s40, v18
	v_cmp_gt_u16_sdwa s[8:9], v10, v21 src0_sel:BYTE_0 src1_sel:BYTE_0
	v_cndmask_b32_e64 v10, v10, v18, s[8:9]
	v_cndmask_b32_e64 v21, v14, v4, s[8:9]
	;; [unrolled: 1-line block ×3, first 2 shown]
	v_lshrrev_b32_e32 v14, 16, v10
	v_cndmask_b32_e64 v23, v15, v5, s[8:9]
	v_cndmask_b32_e64 v5, v5, v15, s[8:9]
	v_perm_b32 v15, 0, v14, s23
	v_lshlrev_b32_e32 v15, 16, v15
	v_cmp_gt_u16_sdwa s[8:9], v14, v10 src0_sel:BYTE_0 src1_sel:BYTE_3
	v_and_or_b32 v15, v10, s22, v15
	v_cndmask_b32_e64 v14, v29, v27, s[8:9]
	v_cndmask_b32_e64 v24, v27, v29, s[8:9]
	v_lshrrev_b32_e32 v27, 8, v9
	v_cndmask_b32_e64 v18, v28, v22, s[8:9]
	v_cndmask_b32_e64 v22, v22, v28, s[8:9]
	;; [unrolled: 1-line block ×3, first 2 shown]
	v_perm_b32 v15, v9, v9, s29
	v_cmp_gt_u16_sdwa s[8:9], v9, v27 src0_sel:BYTE_0 src1_sel:BYTE_0
	v_cndmask_b32_e64 v9, v9, v15, s[8:9]
	v_and_b32_sdwa v15, v9, s21 dst_sel:DWORD dst_unused:UNUSED_PAD src0_sel:WORD_1 src1_sel:DWORD
	v_cndmask_b32_e64 v27, v12, v20, s[8:9]
	v_cndmask_b32_e64 v28, v17, v16, s[8:9]
	;; [unrolled: 1-line block ×4, first 2 shown]
	v_perm_b32 v17, v9, v9, s25
	v_cmp_gt_u16_sdwa s[8:9], v15, v9 src0_sel:DWORD src1_sel:BYTE_3
	v_cndmask_b32_e64 v15, v13, v25, s[8:9]
	v_cndmask_b32_e64 v13, v25, v13, s[8:9]
	;; [unrolled: 1-line block ×3, first 2 shown]
	v_and_b32_sdwa v17, v10, s21 dst_sel:DWORD dst_unused:UNUSED_PAD src0_sel:WORD_1 src1_sel:DWORD
	v_lshrrev_b32_e32 v25, 8, v10
	v_cndmask_b32_e64 v20, v19, v26, s[8:9]
	v_cndmask_b32_e64 v19, v26, v19, s[8:9]
	v_perm_b32 v26, v10, v10, s24
	v_cmp_gt_u16_sdwa s[8:9], v25, v17 src0_sel:BYTE_0 src1_sel:DWORD
	v_cndmask_b32_e64 v10, v10, v26, s[8:9]
	v_cndmask_b32_e64 v25, v24, v21, s[8:9]
	;; [unrolled: 1-line block ×3, first 2 shown]
	v_and_b32_sdwa v24, v10, s21 dst_sel:DWORD dst_unused:UNUSED_PAD src0_sel:WORD_1 src1_sel:DWORD
	v_lshlrev_b16_e32 v26, 8, v9
	v_cndmask_b32_e64 v17, v22, v23, s[8:9]
	v_cndmask_b32_e64 v22, v23, v22, s[8:9]
	v_perm_b32 v23, v10, v9, s28
	v_or_b32_sdwa v24, v24, v26 dst_sel:WORD_1 dst_unused:UNUSED_PAD src0_sel:DWORD src1_sel:DWORD
	v_cmp_gt_u16_sdwa s[8:9], v10, v9 src0_sel:BYTE_3 src1_sel:BYTE_0
	v_and_or_b32 v24, v10, s22, v24
	v_cndmask_b32_e64 v9, v9, v23, s[8:9]
	v_cndmask_b32_e64 v10, v10, v24, s[8:9]
	v_and_b32_sdwa v23, v9, s21 dst_sel:DWORD dst_unused:UNUSED_PAD src0_sel:WORD_1 src1_sel:DWORD
	v_lshrrev_b32_e32 v24, 8, v9
	v_cndmask_b32_e64 v26, v18, v28, s[8:9]
	v_cndmask_b32_e64 v29, v14, v27, s[8:9]
	;; [unrolled: 1-line block ×4, first 2 shown]
	v_cmp_gt_u16_sdwa s[8:9], v24, v23 src0_sel:BYTE_0 src1_sel:DWORD
	v_perm_b32 v27, v9, v9, s24
	v_cndmask_b32_e64 v23, v16, v20, s[8:9]
	v_cndmask_b32_e64 v24, v12, v15, s[8:9]
	;; [unrolled: 1-line block ×4, first 2 shown]
	v_perm_b32 v15, 0, v10, s23
	v_lshrrev_b32_e32 v20, 8, v10
	v_cndmask_b32_e64 v9, v9, v27, s[8:9]
	v_and_or_b32 v15, v10, s40, v15
	v_cmp_gt_u16_sdwa s[8:9], v10, v20 src0_sel:BYTE_0 src1_sel:BYTE_0
	v_cndmask_b32_e64 v10, v10, v15, s[8:9]
	v_lshrrev_b32_e32 v15, 16, v10
	v_cndmask_b32_e64 v20, v21, v4, s[8:9]
	v_cndmask_b32_e64 v4, v4, v21, s[8:9]
	v_perm_b32 v21, 0, v15, s23
	v_cndmask_b32_e64 v27, v22, v5, s[8:9]
	v_cndmask_b32_e64 v5, v5, v22, s[8:9]
	v_lshlrev_b32_e32 v21, 16, v21
	v_cmp_gt_u16_sdwa s[8:9], v15, v10 src0_sel:BYTE_0 src1_sel:BYTE_3
	v_and_or_b32 v21, v10, s22, v21
	v_cndmask_b32_e64 v22, v26, v17, s[8:9]
	v_cndmask_b32_e64 v17, v17, v26, s[8:9]
	v_lshrrev_b32_e32 v26, 8, v9
	v_cndmask_b32_e64 v15, v29, v25, s[8:9]
	v_cndmask_b32_e64 v25, v25, v29, s[8:9]
	;; [unrolled: 1-line block ×3, first 2 shown]
	v_perm_b32 v21, v9, v9, s29
	v_cmp_gt_u16_sdwa s[8:9], v9, v26 src0_sel:BYTE_0 src1_sel:BYTE_0
	v_cndmask_b32_e64 v9, v9, v21, s[8:9]
	v_and_b32_sdwa v21, v9, s21 dst_sel:DWORD dst_unused:UNUSED_PAD src0_sel:WORD_1 src1_sel:DWORD
	v_cndmask_b32_e64 v26, v14, v24, s[8:9]
	v_cndmask_b32_e64 v28, v18, v23, s[8:9]
	;; [unrolled: 1-line block ×4, first 2 shown]
	v_cmp_gt_u16_sdwa s[8:9], v21, v9 src0_sel:DWORD src1_sel:BYTE_3
	v_perm_b32 v23, v9, v9, s25
	v_cndmask_b32_e64 v21, v12, v13, s[8:9]
	v_cndmask_b32_e64 v24, v16, v19, s[8:9]
	;; [unrolled: 1-line block ×4, first 2 shown]
	v_and_b32_sdwa v16, v10, s21 dst_sel:DWORD dst_unused:UNUSED_PAD src0_sel:WORD_1 src1_sel:DWORD
	v_lshrrev_b32_e32 v19, 8, v10
	v_cndmask_b32_e64 v9, v9, v23, s[8:9]
	v_perm_b32 v23, v10, v10, s24
	v_cmp_gt_u16_sdwa s[8:9], v19, v16 src0_sel:BYTE_0 src1_sel:DWORD
	v_cndmask_b32_e64 v10, v10, v23, s[8:9]
	v_cndmask_b32_e64 v16, v17, v27, s[8:9]
	;; [unrolled: 1-line block ×5, first 2 shown]
	v_and_b32_sdwa v25, v10, s21 dst_sel:DWORD dst_unused:UNUSED_PAD src0_sel:WORD_1 src1_sel:DWORD
	v_lshlrev_b16_e32 v27, 8, v9
	v_perm_b32 v23, v10, v9, s28
	v_or_b32_sdwa v25, v25, v27 dst_sel:WORD_1 dst_unused:UNUSED_PAD src0_sel:DWORD src1_sel:DWORD
	v_cmp_gt_u16_sdwa s[8:9], v10, v9 src0_sel:BYTE_3 src1_sel:BYTE_0
	v_and_or_b32 v25, v10, s22, v25
	v_cndmask_b32_e64 v9, v9, v23, s[8:9]
	v_cndmask_b32_e64 v10, v10, v25, s[8:9]
	v_and_b32_sdwa v23, v9, s21 dst_sel:DWORD dst_unused:UNUSED_PAD src0_sel:WORD_1 src1_sel:DWORD
	v_lshrrev_b32_e32 v25, 8, v9
	v_cndmask_b32_e64 v27, v22, v28, s[8:9]
	v_cndmask_b32_e64 v29, v15, v26, s[8:9]
	;; [unrolled: 1-line block ×4, first 2 shown]
	v_cmp_gt_u16_sdwa s[8:9], v25, v23 src0_sel:BYTE_0 src1_sel:DWORD
	v_perm_b32 v26, v9, v9, s24
	v_cndmask_b32_e64 v23, v18, v24, s[8:9]
	v_cndmask_b32_e64 v25, v14, v21, s[8:9]
	;; [unrolled: 1-line block ×4, first 2 shown]
	v_perm_b32 v18, 0, v10, s23
	v_lshrrev_b32_e32 v24, 8, v10
	v_cndmask_b32_e64 v9, v9, v26, s[8:9]
	v_and_or_b32 v18, v10, s40, v18
	v_cmp_gt_u16_sdwa s[8:9], v10, v24 src0_sel:BYTE_0 src1_sel:BYTE_0
	v_cndmask_b32_e64 v10, v10, v18, s[8:9]
	v_cndmask_b32_e64 v26, v17, v5, s[8:9]
	;; [unrolled: 1-line block ×3, first 2 shown]
	v_lshrrev_b32_e32 v17, 16, v10
	v_perm_b32 v18, 0, v17, s23
	v_lshlrev_b32_e32 v18, 16, v18
	v_cndmask_b32_e64 v24, v20, v4, s[8:9]
	v_cndmask_b32_e64 v4, v4, v20, s[8:9]
	v_and_or_b32 v18, v10, s22, v18
	v_cmp_gt_u16_sdwa s[8:9], v17, v10 src0_sel:BYTE_0 src1_sel:BYTE_3
	v_cndmask_b32_e64 v20, v29, v19, s[8:9]
	v_cndmask_b32_e64 v17, v19, v29, s[8:9]
	;; [unrolled: 1-line block ×3, first 2 shown]
	v_lshrrev_b32_e32 v18, 8, v9
	v_cndmask_b32_e64 v30, v27, v16, s[8:9]
	v_cndmask_b32_e64 v16, v16, v27, s[8:9]
	v_perm_b32 v10, v9, v9, s29
	v_cmp_gt_u16_sdwa s[8:9], v9, v18 src0_sel:BYTE_0 src1_sel:BYTE_0
	v_cndmask_b32_e64 v31, v15, v25, s[8:9]
	v_cndmask_b32_e64 v18, v25, v15, s[8:9]
	;; [unrolled: 1-line block ×3, first 2 shown]
	v_and_b32_sdwa v9, v15, s21 dst_sel:DWORD dst_unused:UNUSED_PAD src0_sel:WORD_1 src1_sel:DWORD
	v_cndmask_b32_e64 v35, v22, v23, s[8:9]
	v_cndmask_b32_e64 v19, v23, v22, s[8:9]
	v_cmp_gt_u16_sdwa s[8:9], v9, v15 src0_sel:DWORD src1_sel:BYTE_3
	v_perm_b32 v22, v15, v15, s25
	v_cndmask_b32_e64 v10, v21, v13, s[8:9]
	v_cndmask_b32_e64 v9, v14, v12, s[8:9]
	;; [unrolled: 1-line block ×4, first 2 shown]
	v_and_b32_sdwa v12, v29, s21 dst_sel:DWORD dst_unused:UNUSED_PAD src0_sel:WORD_1 src1_sel:DWORD
	v_lshrrev_b32_e32 v13, 8, v29
	v_cndmask_b32_e64 v21, v15, v22, s[8:9]
	v_perm_b32 v22, v29, v29, s24
	v_cmp_gt_u16_sdwa s[8:9], v13, v12 src0_sel:BYTE_0 src1_sel:DWORD
	v_cndmask_b32_e64 v14, v17, v24, s[8:9]
	v_cndmask_b32_e64 v12, v24, v17, s[8:9]
	;; [unrolled: 1-line block ×5, first 2 shown]
	v_and_b32_sdwa v16, v24, s21 dst_sel:DWORD dst_unused:UNUSED_PAD src0_sel:WORD_1 src1_sel:DWORD
	v_lshlrev_b16_e32 v17, 8, v21
	v_or_b32_sdwa v16, v16, v17 dst_sel:WORD_1 dst_unused:UNUSED_PAD src0_sel:DWORD src1_sel:DWORD
	v_perm_b32 v25, v24, v21, s28
	v_and_or_b32 v26, v24, s22, v16
	v_cmp_gt_u16_sdwa s[8:9], v24, v21 src0_sel:BYTE_3 src1_sel:BYTE_0
	v_cndmask_b32_e64 v16, v20, v31, s[8:9]
	v_cndmask_b32_e64 v22, v31, v20, s[8:9]
	;; [unrolled: 1-line block ×4, first 2 shown]
	v_lshrrev_b64 v[24:25], 24, v[20:21]
	v_lshrrev_b32_e32 v38, 16, v21
	v_lshrrev_b32_e32 v39, 8, v21
	v_mov_b32_e32 v26, v10
	v_cndmask_b32_e64 v17, v30, v35, s[8:9]
	v_cndmask_b32_e64 v23, v35, v30, s[8:9]
	v_lshrrev_b32_e32 v37, 24, v21
	v_lshrrev_b32_e32 v36, 16, v20
	;; [unrolled: 1-line block ×3, first 2 shown]
	v_cmp_gt_u16_sdwa s[22:23], v39, v38 src0_sel:BYTE_0 src1_sel:BYTE_0
	v_mov_b32_e32 v25, v9
	s_and_saveexec_b64 s[8:9], s[22:23]
; %bb.74:
	v_mov_b32_e32 v25, v39
	v_mov_b32_e32 v26, v19
	v_swap_b32 v39, v38
	v_mov_b32_e32 v25, v18
	v_mov_b32_e32 v19, v10
	;; [unrolled: 1-line block ×3, first 2 shown]
; %bb.75:
	s_or_b64 exec, exec, s[8:9]
.LBB200_76:
	s_or_b64 exec, exec, s[12:13]
	v_and_b32_e32 v10, 0xfffffe00, v11
	v_sub_u32_e64 v11, s20, v10 clamp
	v_or_b32_e32 v31, 8, v34
	v_min_u32_e32 v31, v11, v31
	v_add_u32_e32 v48, 8, v31
	v_and_b32_e32 v49, 0x3f0, v34
	v_min_u32_e32 v48, v11, v48
	v_and_b32_e32 v50, 8, v34
	v_min_u32_e32 v50, v11, v50
	v_sub_u32_e32 v51, v48, v31
	v_sub_u32_e32 v52, v31, v49
	v_lshlrev_b32_e32 v9, 3, v10
	v_sub_u32_e64 v51, v50, v51 clamp
	v_min_u32_e32 v52, v50, v52
	v_add_u32_e32 v29, v10, v34
	v_lshl_add_u32 v30, v34, 3, v9
	v_cmp_lt_u32_e64 s[8:9], v51, v52
	ds_write_b8 v29, v20
	ds_write_b64 v30, v[4:5] offset:2048
	ds_write_b8 v29, v35 offset:1
	ds_write_b64 v30, v[12:13] offset:2056
	ds_write_b8 v29, v36 offset:2
	;; [unrolled: 2-line block ×7, first 2 shown]
	ds_write_b64 v30, v[27:28] offset:2104
	; wave barrier
	s_and_saveexec_b64 s[12:13], s[8:9]
	s_cbranch_execz .LBB200_80
; %bb.77:
	v_add_u32_e32 v53, v10, v49
	v_add3_u32 v54, v10, v31, v50
	s_mov_b64 s[20:21], 0
.LBB200_78:                             ; =>This Inner Loop Header: Depth=1
	v_add_u32_e32 v55, v52, v51
	v_lshrrev_b32_e32 v55, 1, v55
	v_add_u32_e32 v64, v53, v55
	v_xad_u32 v65, v55, -1, v54
	ds_read_u8 v64, v64
	ds_read_u8 v65, v65
	v_add_u32_e32 v66, 1, v55
	s_waitcnt lgkmcnt(0)
	v_cmp_gt_u16_e64 s[8:9], v64, v65
	v_cndmask_b32_e64 v52, v52, v55, s[8:9]
	v_cndmask_b32_e64 v51, v66, v51, s[8:9]
	v_cmp_ge_u32_e64 s[8:9], v51, v52
	s_or_b64 s[20:21], s[8:9], s[20:21]
	s_andn2_b64 exec, exec, s[20:21]
	s_cbranch_execnz .LBB200_78
; %bb.79:
	s_or_b64 exec, exec, s[20:21]
.LBB200_80:
	s_or_b64 exec, exec, s[12:13]
	v_add_u32_e32 v50, v31, v50
	v_add_u32_e32 v49, v51, v49
	v_sub_u32_e32 v50, v50, v51
	v_cmp_le_u32_e64 s[8:9], v49, v31
	v_cmp_le_u32_e64 s[12:13], v50, v48
	s_or_b64 s[8:9], s[8:9], s[12:13]
	s_and_saveexec_b64 s[46:47], s[8:9]
	s_cbranch_execz .LBB200_86
; %bb.81:
	v_cmp_lt_u32_e64 s[8:9], v49, v31
                                        ; implicit-def: $vgpr20
	s_and_saveexec_b64 s[12:13], s[8:9]
; %bb.82:
	v_add_u32_e32 v4, v10, v49
	ds_read_u8 v20, v4
; %bb.83:
	s_or_b64 exec, exec, s[12:13]
	v_cmp_ge_u32_e64 s[20:21], v50, v48
	v_cmp_lt_u32_e64 s[12:13], v50, v48
                                        ; implicit-def: $vgpr21
	s_and_saveexec_b64 s[22:23], s[12:13]
; %bb.84:
	v_add_u32_e32 v4, v10, v50
	ds_read_u8 v21, v4
; %bb.85:
	s_or_b64 exec, exec, s[22:23]
	s_waitcnt lgkmcnt(0)
	v_cmp_le_u16_sdwa s[12:13], v20, v21 src0_sel:BYTE_0 src1_sel:BYTE_0
	s_and_b64 s[8:9], s[8:9], s[12:13]
	s_or_b64 s[8:9], s[20:21], s[8:9]
	v_cndmask_b32_e64 v4, v50, v49, s[8:9]
	v_cndmask_b32_e64 v5, v48, v31, s[8:9]
	v_add_u32_e32 v12, 1, v4
	v_add_u32_e32 v5, -1, v5
	v_min_u32_e32 v5, v12, v5
	v_add_u32_e32 v5, v10, v5
	ds_read_u8 v5, v5
	v_cndmask_b32_e64 v13, v12, v50, s[8:9]
	v_cmp_ge_u32_e64 s[12:13], v13, v48
	v_lshl_add_u32 v4, v4, 3, v9
	s_waitcnt lgkmcnt(0)
	v_cndmask_b32_e64 v24, v5, v21, s[8:9]
	v_cndmask_b32_e64 v27, v20, v5, s[8:9]
	;; [unrolled: 1-line block ×3, first 2 shown]
	v_cmp_lt_u32_e64 s[20:21], v5, v31
	v_cmp_le_u16_sdwa s[22:23], v27, v24 src0_sel:BYTE_0 src1_sel:BYTE_0
	s_and_b64 s[20:21], s[20:21], s[22:23]
	s_or_b64 s[20:21], s[12:13], s[20:21]
	v_cndmask_b32_e64 v12, v13, v5, s[20:21]
	v_cndmask_b32_e64 v14, v48, v31, s[20:21]
	v_add_u32_e32 v15, 1, v12
	v_add_u32_e32 v14, -1, v14
	v_min_u32_e32 v14, v15, v14
	v_add_u32_e32 v14, v10, v14
	ds_read_u8 v14, v14
	v_cndmask_b32_e64 v5, v5, v15, s[20:21]
	v_cndmask_b32_e64 v13, v15, v13, s[20:21]
	v_cmp_lt_u32_e64 s[22:23], v5, v31
	v_cmp_ge_u32_e64 s[12:13], v13, v48
	s_waitcnt lgkmcnt(0)
	v_cndmask_b32_e64 v28, v14, v24, s[20:21]
	v_cndmask_b32_e64 v36, v27, v14, s[20:21]
	v_cmp_le_u16_sdwa s[24:25], v36, v28 src0_sel:BYTE_0 src1_sel:BYTE_0
	s_and_b64 s[22:23], s[22:23], s[24:25]
	s_or_b64 s[22:23], s[12:13], s[22:23]
	v_cndmask_b32_e64 v14, v13, v5, s[22:23]
	v_cndmask_b32_e64 v15, v48, v31, s[22:23]
	v_add_u32_e32 v16, 1, v14
	v_add_u32_e32 v15, -1, v15
	v_min_u32_e32 v15, v16, v15
	v_add_u32_e32 v15, v10, v15
	ds_read_u8 v15, v15
	v_lshl_add_u32 v12, v12, 3, v9
	v_lshl_add_u32 v14, v14, 3, v9
	v_cndmask_b32_e64 v20, v21, v20, s[8:9]
	s_waitcnt lgkmcnt(0)
	v_cndmask_b32_e64 v37, v15, v28, s[22:23]
	v_cndmask_b32_e64 v38, v36, v15, s[22:23]
	;; [unrolled: 1-line block ×4, first 2 shown]
	v_cmp_lt_u32_e64 s[24:25], v16, v31
	v_cmp_le_u16_sdwa s[28:29], v38, v37 src0_sel:BYTE_0 src1_sel:BYTE_0
	v_cmp_ge_u32_e64 s[12:13], v15, v48
	s_and_b64 s[24:25], s[24:25], s[28:29]
	s_or_b64 s[12:13], s[12:13], s[24:25]
	v_cndmask_b32_e64 v17, v15, v16, s[12:13]
	v_cndmask_b32_e64 v5, v48, v31, s[12:13]
	v_add_u32_e32 v18, 1, v17
	v_add_u32_e32 v5, -1, v5
	v_min_u32_e32 v5, v18, v5
	v_add_u32_e32 v5, v10, v5
	ds_read_u8 v19, v5
	ds_read_b64 v[4:5], v4 offset:2048
	ds_read_b64 v[12:13], v12 offset:2048
	v_cndmask_b32_e64 v36, v28, v36, s[22:23]
	s_waitcnt lgkmcnt(2)
	v_cndmask_b32_e64 v39, v19, v37, s[12:13]
	v_cndmask_b32_e64 v49, v38, v19, s[12:13]
	v_cndmask_b32_e64 v19, v18, v15, s[12:13]
	v_cndmask_b32_e64 v18, v16, v18, s[12:13]
	v_cmp_lt_u32_e64 s[28:29], v18, v31
	v_cmp_le_u16_sdwa s[40:41], v49, v39 src0_sel:BYTE_0 src1_sel:BYTE_0
	v_cmp_ge_u32_e64 s[24:25], v19, v48
	s_and_b64 s[28:29], s[28:29], s[40:41]
	s_or_b64 s[24:25], s[24:25], s[28:29]
	v_cndmask_b32_e64 v22, v19, v18, s[24:25]
	v_cndmask_b32_e64 v15, v48, v31, s[24:25]
	v_add_u32_e32 v23, 1, v22
	v_add_u32_e32 v15, -1, v15
	v_min_u32_e32 v15, v23, v15
	v_add_u32_e32 v15, v10, v15
	ds_read_u8 v25, v15
	v_cndmask_b32_e64 v26, v18, v23, s[24:25]
	v_cmp_lt_u32_e64 s[40:41], v26, v31
	v_lshl_add_u32 v16, v17, 3, v9
	ds_read_b64 v[14:15], v14 offset:2048
	ds_read_b64 v[16:17], v16 offset:2048
	s_waitcnt lgkmcnt(2)
	v_cndmask_b32_e64 v50, v25, v39, s[24:25]
	v_cndmask_b32_e64 v51, v49, v25, s[24:25]
	;; [unrolled: 1-line block ×3, first 2 shown]
	v_cmp_le_u16_sdwa s[42:43], v51, v50 src0_sel:BYTE_0 src1_sel:BYTE_0
	v_cmp_ge_u32_e64 s[28:29], v25, v48
	s_and_b64 s[40:41], s[40:41], s[42:43]
	s_or_b64 s[28:29], s[28:29], s[40:41]
	v_cndmask_b32_e64 v18, v25, v26, s[28:29]
	v_cndmask_b32_e64 v19, v48, v31, s[28:29]
	v_add_u32_e32 v35, 1, v18
	v_add_u32_e32 v19, -1, v19
	v_min_u32_e32 v19, v35, v19
	v_add_u32_e32 v19, v10, v19
	ds_read_u8 v52, v19
	v_cndmask_b32_e64 v55, v26, v35, s[28:29]
	v_cndmask_b32_e64 v54, v35, v25, s[28:29]
	v_cmp_lt_u32_e64 s[42:43], v55, v31
	v_cmp_ge_u32_e64 s[40:41], v54, v48
	s_waitcnt lgkmcnt(0)
	v_cndmask_b32_e64 v53, v52, v50, s[28:29]
	v_cndmask_b32_e64 v52, v51, v52, s[28:29]
	v_cmp_le_u16_sdwa s[56:57], v52, v53 src0_sel:BYTE_0 src1_sel:BYTE_0
	s_and_b64 s[42:43], s[42:43], s[56:57]
	s_or_b64 s[40:41], s[40:41], s[42:43]
	v_cndmask_b32_e64 v25, v54, v55, s[40:41]
	v_cndmask_b32_e64 v26, v48, v31, s[40:41]
	v_lshl_add_u32 v35, v25, 3, v9
	v_add_u32_e32 v64, 1, v25
	v_add_u32_e32 v25, -1, v26
	v_min_u32_e32 v25, v64, v25
	v_lshl_add_u32 v19, v22, 3, v9
	v_lshl_add_u32 v18, v18, 3, v9
	v_add_u32_e32 v65, v10, v25
	ds_read_b64 v[22:23], v19 offset:2048
	ds_read_b64 v[18:19], v18 offset:2048
	;; [unrolled: 1-line block ×3, first 2 shown]
	ds_read_u8 v65, v65
	v_cndmask_b32_e64 v35, v24, v27, s[20:21]
	v_cndmask_b32_e64 v24, v37, v38, s[12:13]
	;; [unrolled: 1-line block ×4, first 2 shown]
	s_waitcnt lgkmcnt(0)
	v_cndmask_b32_e64 v37, v65, v53, s[40:41]
	v_cndmask_b32_e64 v65, v52, v65, s[40:41]
	v_cmp_lt_u32_e64 s[12:13], v27, v31
	v_cmp_le_u16_sdwa s[20:21], v65, v37 src0_sel:BYTE_0 src1_sel:BYTE_0
	v_cmp_ge_u32_e64 s[8:9], v21, v48
	s_and_b64 s[12:13], s[12:13], s[20:21]
	s_or_b64 s[8:9], s[8:9], s[12:13]
	v_cndmask_b32_e64 v21, v21, v27, s[8:9]
	v_lshl_add_u32 v21, v21, 3, v9
	ds_read_b64 v[27:28], v21 offset:2048
	v_cndmask_b32_e64 v21, v39, v49, s[24:25]
	v_cndmask_b32_e64 v39, v50, v51, s[28:29]
	;; [unrolled: 1-line block ×4, first 2 shown]
.LBB200_86:
	s_or_b64 exec, exec, s[46:47]
	v_and_b32_e32 v49, 0x3e0, v34
	v_or_b32_e32 v31, 16, v49
	v_min_u32_e32 v31, v11, v31
	v_add_u32_e32 v48, 16, v31
	v_min_u32_e32 v48, v11, v48
	v_and_b32_e32 v50, 24, v34
	v_min_u32_e32 v50, v11, v50
	v_sub_u32_e32 v52, v31, v49
	v_sub_u32_e32 v51, v48, v31
	v_sub_u32_e64 v51, v50, v51 clamp
	v_min_u32_e32 v52, v50, v52
	v_cmp_lt_u32_e64 s[8:9], v51, v52
	; wave barrier
	ds_write_b8 v29, v20
	ds_write_b64 v30, v[4:5] offset:2048
	ds_write_b8 v29, v35 offset:1
	ds_write_b64 v30, v[12:13] offset:2056
	ds_write_b8 v29, v36 offset:2
	;; [unrolled: 2-line block ×7, first 2 shown]
	s_waitcnt lgkmcnt(14)
	ds_write_b64 v30, v[27:28] offset:2104
	; wave barrier
	s_and_saveexec_b64 s[12:13], s[8:9]
	s_cbranch_execz .LBB200_90
; %bb.87:
	v_add_u32_e32 v53, v10, v49
	v_add3_u32 v54, v10, v31, v50
	s_mov_b64 s[20:21], 0
.LBB200_88:                             ; =>This Inner Loop Header: Depth=1
	v_add_u32_e32 v55, v52, v51
	v_lshrrev_b32_e32 v55, 1, v55
	v_add_u32_e32 v64, v53, v55
	v_xad_u32 v65, v55, -1, v54
	ds_read_u8 v64, v64
	ds_read_u8 v65, v65
	v_add_u32_e32 v66, 1, v55
	s_waitcnt lgkmcnt(0)
	v_cmp_gt_u16_e64 s[8:9], v64, v65
	v_cndmask_b32_e64 v52, v52, v55, s[8:9]
	v_cndmask_b32_e64 v51, v66, v51, s[8:9]
	v_cmp_ge_u32_e64 s[8:9], v51, v52
	s_or_b64 s[20:21], s[8:9], s[20:21]
	s_andn2_b64 exec, exec, s[20:21]
	s_cbranch_execnz .LBB200_88
; %bb.89:
	s_or_b64 exec, exec, s[20:21]
.LBB200_90:
	s_or_b64 exec, exec, s[12:13]
	v_add_u32_e32 v50, v31, v50
	v_add_u32_e32 v49, v51, v49
	v_sub_u32_e32 v50, v50, v51
	v_cmp_le_u32_e64 s[8:9], v49, v31
	v_cmp_le_u32_e64 s[12:13], v50, v48
	s_or_b64 s[8:9], s[8:9], s[12:13]
	s_and_saveexec_b64 s[46:47], s[8:9]
	s_cbranch_execz .LBB200_96
; %bb.91:
	v_cmp_lt_u32_e64 s[8:9], v49, v31
                                        ; implicit-def: $vgpr20
	s_and_saveexec_b64 s[12:13], s[8:9]
; %bb.92:
	v_add_u32_e32 v4, v10, v49
	ds_read_u8 v20, v4
; %bb.93:
	s_or_b64 exec, exec, s[12:13]
	v_cmp_ge_u32_e64 s[20:21], v50, v48
	v_cmp_lt_u32_e64 s[12:13], v50, v48
                                        ; implicit-def: $vgpr21
	s_and_saveexec_b64 s[22:23], s[12:13]
; %bb.94:
	v_add_u32_e32 v4, v10, v50
	ds_read_u8 v21, v4
; %bb.95:
	s_or_b64 exec, exec, s[22:23]
	s_waitcnt lgkmcnt(0)
	v_cmp_le_u16_sdwa s[12:13], v20, v21 src0_sel:BYTE_0 src1_sel:BYTE_0
	s_and_b64 s[8:9], s[8:9], s[12:13]
	s_or_b64 s[8:9], s[20:21], s[8:9]
	v_cndmask_b32_e64 v4, v50, v49, s[8:9]
	v_cndmask_b32_e64 v5, v48, v31, s[8:9]
	v_add_u32_e32 v12, 1, v4
	v_add_u32_e32 v5, -1, v5
	v_min_u32_e32 v5, v12, v5
	v_add_u32_e32 v5, v10, v5
	ds_read_u8 v5, v5
	v_cndmask_b32_e64 v13, v12, v50, s[8:9]
	v_cmp_ge_u32_e64 s[12:13], v13, v48
	v_lshl_add_u32 v4, v4, 3, v9
	s_waitcnt lgkmcnt(0)
	v_cndmask_b32_e64 v24, v5, v21, s[8:9]
	v_cndmask_b32_e64 v27, v20, v5, s[8:9]
	;; [unrolled: 1-line block ×3, first 2 shown]
	v_cmp_lt_u32_e64 s[20:21], v5, v31
	v_cmp_le_u16_sdwa s[22:23], v27, v24 src0_sel:BYTE_0 src1_sel:BYTE_0
	s_and_b64 s[20:21], s[20:21], s[22:23]
	s_or_b64 s[20:21], s[12:13], s[20:21]
	v_cndmask_b32_e64 v12, v13, v5, s[20:21]
	v_cndmask_b32_e64 v14, v48, v31, s[20:21]
	v_add_u32_e32 v15, 1, v12
	v_add_u32_e32 v14, -1, v14
	v_min_u32_e32 v14, v15, v14
	v_add_u32_e32 v14, v10, v14
	ds_read_u8 v14, v14
	v_cndmask_b32_e64 v5, v5, v15, s[20:21]
	v_cndmask_b32_e64 v13, v15, v13, s[20:21]
	v_cmp_lt_u32_e64 s[22:23], v5, v31
	v_cmp_ge_u32_e64 s[12:13], v13, v48
	s_waitcnt lgkmcnt(0)
	v_cndmask_b32_e64 v28, v14, v24, s[20:21]
	v_cndmask_b32_e64 v36, v27, v14, s[20:21]
	v_cmp_le_u16_sdwa s[24:25], v36, v28 src0_sel:BYTE_0 src1_sel:BYTE_0
	s_and_b64 s[22:23], s[22:23], s[24:25]
	s_or_b64 s[22:23], s[12:13], s[22:23]
	v_cndmask_b32_e64 v14, v13, v5, s[22:23]
	v_cndmask_b32_e64 v15, v48, v31, s[22:23]
	v_add_u32_e32 v16, 1, v14
	v_add_u32_e32 v15, -1, v15
	v_min_u32_e32 v15, v16, v15
	v_add_u32_e32 v15, v10, v15
	ds_read_u8 v15, v15
	v_lshl_add_u32 v12, v12, 3, v9
	v_lshl_add_u32 v14, v14, 3, v9
	v_cndmask_b32_e64 v20, v21, v20, s[8:9]
	s_waitcnt lgkmcnt(0)
	v_cndmask_b32_e64 v37, v15, v28, s[22:23]
	v_cndmask_b32_e64 v38, v36, v15, s[22:23]
	;; [unrolled: 1-line block ×4, first 2 shown]
	v_cmp_lt_u32_e64 s[24:25], v16, v31
	v_cmp_le_u16_sdwa s[28:29], v38, v37 src0_sel:BYTE_0 src1_sel:BYTE_0
	v_cmp_ge_u32_e64 s[12:13], v15, v48
	s_and_b64 s[24:25], s[24:25], s[28:29]
	s_or_b64 s[12:13], s[12:13], s[24:25]
	v_cndmask_b32_e64 v17, v15, v16, s[12:13]
	v_cndmask_b32_e64 v5, v48, v31, s[12:13]
	v_add_u32_e32 v18, 1, v17
	v_add_u32_e32 v5, -1, v5
	v_min_u32_e32 v5, v18, v5
	v_add_u32_e32 v5, v10, v5
	ds_read_u8 v19, v5
	ds_read_b64 v[4:5], v4 offset:2048
	ds_read_b64 v[12:13], v12 offset:2048
	v_cndmask_b32_e64 v36, v28, v36, s[22:23]
	s_waitcnt lgkmcnt(2)
	v_cndmask_b32_e64 v39, v19, v37, s[12:13]
	v_cndmask_b32_e64 v49, v38, v19, s[12:13]
	;; [unrolled: 1-line block ×4, first 2 shown]
	v_cmp_lt_u32_e64 s[28:29], v18, v31
	v_cmp_le_u16_sdwa s[40:41], v49, v39 src0_sel:BYTE_0 src1_sel:BYTE_0
	v_cmp_ge_u32_e64 s[24:25], v19, v48
	s_and_b64 s[28:29], s[28:29], s[40:41]
	s_or_b64 s[24:25], s[24:25], s[28:29]
	v_cndmask_b32_e64 v22, v19, v18, s[24:25]
	v_cndmask_b32_e64 v15, v48, v31, s[24:25]
	v_add_u32_e32 v23, 1, v22
	v_add_u32_e32 v15, -1, v15
	v_min_u32_e32 v15, v23, v15
	v_add_u32_e32 v15, v10, v15
	ds_read_u8 v25, v15
	v_cndmask_b32_e64 v26, v18, v23, s[24:25]
	v_cmp_lt_u32_e64 s[40:41], v26, v31
	v_lshl_add_u32 v16, v17, 3, v9
	ds_read_b64 v[14:15], v14 offset:2048
	ds_read_b64 v[16:17], v16 offset:2048
	s_waitcnt lgkmcnt(2)
	v_cndmask_b32_e64 v50, v25, v39, s[24:25]
	v_cndmask_b32_e64 v51, v49, v25, s[24:25]
	;; [unrolled: 1-line block ×3, first 2 shown]
	v_cmp_le_u16_sdwa s[42:43], v51, v50 src0_sel:BYTE_0 src1_sel:BYTE_0
	v_cmp_ge_u32_e64 s[28:29], v25, v48
	s_and_b64 s[40:41], s[40:41], s[42:43]
	s_or_b64 s[28:29], s[28:29], s[40:41]
	v_cndmask_b32_e64 v18, v25, v26, s[28:29]
	v_cndmask_b32_e64 v19, v48, v31, s[28:29]
	v_add_u32_e32 v35, 1, v18
	v_add_u32_e32 v19, -1, v19
	v_min_u32_e32 v19, v35, v19
	v_add_u32_e32 v19, v10, v19
	ds_read_u8 v52, v19
	v_cndmask_b32_e64 v55, v26, v35, s[28:29]
	v_cndmask_b32_e64 v54, v35, v25, s[28:29]
	v_cmp_lt_u32_e64 s[42:43], v55, v31
	v_cmp_ge_u32_e64 s[40:41], v54, v48
	s_waitcnt lgkmcnt(0)
	v_cndmask_b32_e64 v53, v52, v50, s[28:29]
	v_cndmask_b32_e64 v52, v51, v52, s[28:29]
	v_cmp_le_u16_sdwa s[56:57], v52, v53 src0_sel:BYTE_0 src1_sel:BYTE_0
	s_and_b64 s[42:43], s[42:43], s[56:57]
	s_or_b64 s[40:41], s[40:41], s[42:43]
	v_cndmask_b32_e64 v25, v54, v55, s[40:41]
	v_cndmask_b32_e64 v26, v48, v31, s[40:41]
	v_lshl_add_u32 v35, v25, 3, v9
	v_add_u32_e32 v64, 1, v25
	v_add_u32_e32 v25, -1, v26
	v_min_u32_e32 v25, v64, v25
	v_lshl_add_u32 v19, v22, 3, v9
	v_lshl_add_u32 v18, v18, 3, v9
	v_add_u32_e32 v65, v10, v25
	ds_read_b64 v[22:23], v19 offset:2048
	ds_read_b64 v[18:19], v18 offset:2048
	;; [unrolled: 1-line block ×3, first 2 shown]
	ds_read_u8 v65, v65
	v_cndmask_b32_e64 v35, v24, v27, s[20:21]
	v_cndmask_b32_e64 v24, v37, v38, s[12:13]
	;; [unrolled: 1-line block ×4, first 2 shown]
	s_waitcnt lgkmcnt(0)
	v_cndmask_b32_e64 v37, v65, v53, s[40:41]
	v_cndmask_b32_e64 v65, v52, v65, s[40:41]
	v_cmp_lt_u32_e64 s[12:13], v27, v31
	v_cmp_le_u16_sdwa s[20:21], v65, v37 src0_sel:BYTE_0 src1_sel:BYTE_0
	v_cmp_ge_u32_e64 s[8:9], v21, v48
	s_and_b64 s[12:13], s[12:13], s[20:21]
	s_or_b64 s[8:9], s[8:9], s[12:13]
	v_cndmask_b32_e64 v21, v21, v27, s[8:9]
	v_lshl_add_u32 v21, v21, 3, v9
	ds_read_b64 v[27:28], v21 offset:2048
	v_cndmask_b32_e64 v21, v39, v49, s[24:25]
	v_cndmask_b32_e64 v39, v50, v51, s[28:29]
	;; [unrolled: 1-line block ×4, first 2 shown]
.LBB200_96:
	s_or_b64 exec, exec, s[46:47]
	v_and_b32_e32 v49, 0x3c0, v34
	v_or_b32_e32 v31, 32, v49
	v_min_u32_e32 v31, v11, v31
	v_add_u32_e32 v48, 32, v31
	v_min_u32_e32 v48, v11, v48
	v_and_b32_e32 v50, 56, v34
	v_min_u32_e32 v50, v11, v50
	v_sub_u32_e32 v52, v31, v49
	v_sub_u32_e32 v51, v48, v31
	v_sub_u32_e64 v51, v50, v51 clamp
	v_min_u32_e32 v52, v50, v52
	v_cmp_lt_u32_e64 s[8:9], v51, v52
	; wave barrier
	ds_write_b8 v29, v20
	ds_write_b64 v30, v[4:5] offset:2048
	ds_write_b8 v29, v35 offset:1
	ds_write_b64 v30, v[12:13] offset:2056
	ds_write_b8 v29, v36 offset:2
	;; [unrolled: 2-line block ×7, first 2 shown]
	s_waitcnt lgkmcnt(14)
	ds_write_b64 v30, v[27:28] offset:2104
	; wave barrier
	s_and_saveexec_b64 s[12:13], s[8:9]
	s_cbranch_execz .LBB200_100
; %bb.97:
	v_add_u32_e32 v53, v10, v49
	v_add3_u32 v54, v10, v31, v50
	s_mov_b64 s[20:21], 0
.LBB200_98:                             ; =>This Inner Loop Header: Depth=1
	v_add_u32_e32 v55, v52, v51
	v_lshrrev_b32_e32 v55, 1, v55
	v_add_u32_e32 v64, v53, v55
	v_xad_u32 v65, v55, -1, v54
	ds_read_u8 v64, v64
	ds_read_u8 v65, v65
	v_add_u32_e32 v66, 1, v55
	s_waitcnt lgkmcnt(0)
	v_cmp_gt_u16_e64 s[8:9], v64, v65
	v_cndmask_b32_e64 v52, v52, v55, s[8:9]
	v_cndmask_b32_e64 v51, v66, v51, s[8:9]
	v_cmp_ge_u32_e64 s[8:9], v51, v52
	s_or_b64 s[20:21], s[8:9], s[20:21]
	s_andn2_b64 exec, exec, s[20:21]
	s_cbranch_execnz .LBB200_98
; %bb.99:
	s_or_b64 exec, exec, s[20:21]
.LBB200_100:
	s_or_b64 exec, exec, s[12:13]
	v_add_u32_e32 v50, v31, v50
	v_add_u32_e32 v49, v51, v49
	v_sub_u32_e32 v50, v50, v51
	v_cmp_le_u32_e64 s[8:9], v49, v31
	v_cmp_le_u32_e64 s[12:13], v50, v48
	s_or_b64 s[8:9], s[8:9], s[12:13]
	s_and_saveexec_b64 s[46:47], s[8:9]
	s_cbranch_execz .LBB200_106
; %bb.101:
	v_cmp_lt_u32_e64 s[8:9], v49, v31
                                        ; implicit-def: $vgpr20
	s_and_saveexec_b64 s[12:13], s[8:9]
; %bb.102:
	v_add_u32_e32 v4, v10, v49
	ds_read_u8 v20, v4
; %bb.103:
	s_or_b64 exec, exec, s[12:13]
	v_cmp_ge_u32_e64 s[20:21], v50, v48
	v_cmp_lt_u32_e64 s[12:13], v50, v48
                                        ; implicit-def: $vgpr21
	s_and_saveexec_b64 s[22:23], s[12:13]
; %bb.104:
	v_add_u32_e32 v4, v10, v50
	ds_read_u8 v21, v4
; %bb.105:
	s_or_b64 exec, exec, s[22:23]
	s_waitcnt lgkmcnt(0)
	v_cmp_le_u16_sdwa s[12:13], v20, v21 src0_sel:BYTE_0 src1_sel:BYTE_0
	s_and_b64 s[8:9], s[8:9], s[12:13]
	s_or_b64 s[8:9], s[20:21], s[8:9]
	v_cndmask_b32_e64 v4, v50, v49, s[8:9]
	v_cndmask_b32_e64 v5, v48, v31, s[8:9]
	v_add_u32_e32 v12, 1, v4
	v_add_u32_e32 v5, -1, v5
	v_min_u32_e32 v5, v12, v5
	v_add_u32_e32 v5, v10, v5
	ds_read_u8 v5, v5
	v_cndmask_b32_e64 v13, v12, v50, s[8:9]
	v_cmp_ge_u32_e64 s[12:13], v13, v48
	v_lshl_add_u32 v4, v4, 3, v9
	s_waitcnt lgkmcnt(0)
	v_cndmask_b32_e64 v24, v5, v21, s[8:9]
	v_cndmask_b32_e64 v27, v20, v5, s[8:9]
	;; [unrolled: 1-line block ×3, first 2 shown]
	v_cmp_lt_u32_e64 s[20:21], v5, v31
	v_cmp_le_u16_sdwa s[22:23], v27, v24 src0_sel:BYTE_0 src1_sel:BYTE_0
	s_and_b64 s[20:21], s[20:21], s[22:23]
	s_or_b64 s[20:21], s[12:13], s[20:21]
	v_cndmask_b32_e64 v12, v13, v5, s[20:21]
	v_cndmask_b32_e64 v14, v48, v31, s[20:21]
	v_add_u32_e32 v15, 1, v12
	v_add_u32_e32 v14, -1, v14
	v_min_u32_e32 v14, v15, v14
	v_add_u32_e32 v14, v10, v14
	ds_read_u8 v14, v14
	v_cndmask_b32_e64 v5, v5, v15, s[20:21]
	v_cndmask_b32_e64 v13, v15, v13, s[20:21]
	v_cmp_lt_u32_e64 s[22:23], v5, v31
	v_cmp_ge_u32_e64 s[12:13], v13, v48
	s_waitcnt lgkmcnt(0)
	v_cndmask_b32_e64 v28, v14, v24, s[20:21]
	v_cndmask_b32_e64 v36, v27, v14, s[20:21]
	v_cmp_le_u16_sdwa s[24:25], v36, v28 src0_sel:BYTE_0 src1_sel:BYTE_0
	s_and_b64 s[22:23], s[22:23], s[24:25]
	s_or_b64 s[22:23], s[12:13], s[22:23]
	v_cndmask_b32_e64 v14, v13, v5, s[22:23]
	v_cndmask_b32_e64 v15, v48, v31, s[22:23]
	v_add_u32_e32 v16, 1, v14
	v_add_u32_e32 v15, -1, v15
	v_min_u32_e32 v15, v16, v15
	v_add_u32_e32 v15, v10, v15
	ds_read_u8 v15, v15
	v_lshl_add_u32 v12, v12, 3, v9
	v_lshl_add_u32 v14, v14, 3, v9
	v_cndmask_b32_e64 v20, v21, v20, s[8:9]
	s_waitcnt lgkmcnt(0)
	v_cndmask_b32_e64 v37, v15, v28, s[22:23]
	v_cndmask_b32_e64 v38, v36, v15, s[22:23]
	;; [unrolled: 1-line block ×4, first 2 shown]
	v_cmp_lt_u32_e64 s[24:25], v16, v31
	v_cmp_le_u16_sdwa s[28:29], v38, v37 src0_sel:BYTE_0 src1_sel:BYTE_0
	v_cmp_ge_u32_e64 s[12:13], v15, v48
	s_and_b64 s[24:25], s[24:25], s[28:29]
	s_or_b64 s[12:13], s[12:13], s[24:25]
	v_cndmask_b32_e64 v17, v15, v16, s[12:13]
	v_cndmask_b32_e64 v5, v48, v31, s[12:13]
	v_add_u32_e32 v18, 1, v17
	v_add_u32_e32 v5, -1, v5
	v_min_u32_e32 v5, v18, v5
	v_add_u32_e32 v5, v10, v5
	ds_read_u8 v19, v5
	ds_read_b64 v[4:5], v4 offset:2048
	ds_read_b64 v[12:13], v12 offset:2048
	v_cndmask_b32_e64 v36, v28, v36, s[22:23]
	s_waitcnt lgkmcnt(2)
	v_cndmask_b32_e64 v39, v19, v37, s[12:13]
	v_cndmask_b32_e64 v49, v38, v19, s[12:13]
	;; [unrolled: 1-line block ×4, first 2 shown]
	v_cmp_lt_u32_e64 s[28:29], v18, v31
	v_cmp_le_u16_sdwa s[40:41], v49, v39 src0_sel:BYTE_0 src1_sel:BYTE_0
	v_cmp_ge_u32_e64 s[24:25], v19, v48
	s_and_b64 s[28:29], s[28:29], s[40:41]
	s_or_b64 s[24:25], s[24:25], s[28:29]
	v_cndmask_b32_e64 v22, v19, v18, s[24:25]
	v_cndmask_b32_e64 v15, v48, v31, s[24:25]
	v_add_u32_e32 v23, 1, v22
	v_add_u32_e32 v15, -1, v15
	v_min_u32_e32 v15, v23, v15
	v_add_u32_e32 v15, v10, v15
	ds_read_u8 v25, v15
	v_cndmask_b32_e64 v26, v18, v23, s[24:25]
	v_cmp_lt_u32_e64 s[40:41], v26, v31
	v_lshl_add_u32 v16, v17, 3, v9
	ds_read_b64 v[14:15], v14 offset:2048
	ds_read_b64 v[16:17], v16 offset:2048
	s_waitcnt lgkmcnt(2)
	v_cndmask_b32_e64 v50, v25, v39, s[24:25]
	v_cndmask_b32_e64 v51, v49, v25, s[24:25]
	v_cndmask_b32_e64 v25, v23, v19, s[24:25]
	v_cmp_le_u16_sdwa s[42:43], v51, v50 src0_sel:BYTE_0 src1_sel:BYTE_0
	v_cmp_ge_u32_e64 s[28:29], v25, v48
	s_and_b64 s[40:41], s[40:41], s[42:43]
	s_or_b64 s[28:29], s[28:29], s[40:41]
	v_cndmask_b32_e64 v18, v25, v26, s[28:29]
	v_cndmask_b32_e64 v19, v48, v31, s[28:29]
	v_add_u32_e32 v35, 1, v18
	v_add_u32_e32 v19, -1, v19
	v_min_u32_e32 v19, v35, v19
	v_add_u32_e32 v19, v10, v19
	ds_read_u8 v52, v19
	v_cndmask_b32_e64 v55, v26, v35, s[28:29]
	v_cndmask_b32_e64 v54, v35, v25, s[28:29]
	v_cmp_lt_u32_e64 s[42:43], v55, v31
	v_cmp_ge_u32_e64 s[40:41], v54, v48
	s_waitcnt lgkmcnt(0)
	v_cndmask_b32_e64 v53, v52, v50, s[28:29]
	v_cndmask_b32_e64 v52, v51, v52, s[28:29]
	v_cmp_le_u16_sdwa s[56:57], v52, v53 src0_sel:BYTE_0 src1_sel:BYTE_0
	s_and_b64 s[42:43], s[42:43], s[56:57]
	s_or_b64 s[40:41], s[40:41], s[42:43]
	v_cndmask_b32_e64 v25, v54, v55, s[40:41]
	v_cndmask_b32_e64 v26, v48, v31, s[40:41]
	v_lshl_add_u32 v35, v25, 3, v9
	v_add_u32_e32 v64, 1, v25
	v_add_u32_e32 v25, -1, v26
	v_min_u32_e32 v25, v64, v25
	v_lshl_add_u32 v19, v22, 3, v9
	v_lshl_add_u32 v18, v18, 3, v9
	v_add_u32_e32 v65, v10, v25
	ds_read_b64 v[22:23], v19 offset:2048
	ds_read_b64 v[18:19], v18 offset:2048
	;; [unrolled: 1-line block ×3, first 2 shown]
	ds_read_u8 v65, v65
	v_cndmask_b32_e64 v35, v24, v27, s[20:21]
	v_cndmask_b32_e64 v24, v37, v38, s[12:13]
	;; [unrolled: 1-line block ×4, first 2 shown]
	s_waitcnt lgkmcnt(0)
	v_cndmask_b32_e64 v37, v65, v53, s[40:41]
	v_cndmask_b32_e64 v65, v52, v65, s[40:41]
	v_cmp_lt_u32_e64 s[12:13], v27, v31
	v_cmp_le_u16_sdwa s[20:21], v65, v37 src0_sel:BYTE_0 src1_sel:BYTE_0
	v_cmp_ge_u32_e64 s[8:9], v21, v48
	s_and_b64 s[12:13], s[12:13], s[20:21]
	s_or_b64 s[8:9], s[8:9], s[12:13]
	v_cndmask_b32_e64 v21, v21, v27, s[8:9]
	v_lshl_add_u32 v21, v21, 3, v9
	ds_read_b64 v[27:28], v21 offset:2048
	v_cndmask_b32_e64 v21, v39, v49, s[24:25]
	v_cndmask_b32_e64 v39, v50, v51, s[28:29]
	;; [unrolled: 1-line block ×4, first 2 shown]
.LBB200_106:
	s_or_b64 exec, exec, s[46:47]
	v_and_b32_e32 v31, 0x380, v34
	; wave barrier
	ds_write_b8 v29, v20
	ds_write_b64 v30, v[4:5] offset:2048
	ds_write_b8 v29, v35 offset:1
	ds_write_b64 v30, v[12:13] offset:2056
	ds_write_b8 v29, v36 offset:2
	;; [unrolled: 2-line block ×7, first 2 shown]
	s_waitcnt lgkmcnt(14)
	ds_write_b64 v30, v[27:28] offset:2104
	v_or_b32_e32 v29, 64, v31
	v_min_u32_e32 v29, v11, v29
	v_add_u32_e32 v30, 64, v29
	v_min_u32_e32 v30, v11, v30
	v_min_u32_e32 v11, v11, v32
	v_sub_u32_e32 v48, v29, v31
	v_sub_u32_e32 v34, v30, v29
	v_sub_u32_e64 v34, v11, v34 clamp
	v_min_u32_e32 v48, v11, v48
	v_cmp_lt_u32_e64 s[8:9], v34, v48
	; wave barrier
	s_and_saveexec_b64 s[12:13], s[8:9]
	s_cbranch_execz .LBB200_110
; %bb.107:
	v_add_u32_e32 v49, v10, v31
	v_add3_u32 v50, v10, v29, v11
	s_mov_b64 s[20:21], 0
.LBB200_108:                            ; =>This Inner Loop Header: Depth=1
	v_add_u32_e32 v51, v48, v34
	v_lshrrev_b32_e32 v51, 1, v51
	v_add_u32_e32 v52, v49, v51
	v_xad_u32 v53, v51, -1, v50
	ds_read_u8 v52, v52
	ds_read_u8 v53, v53
	v_add_u32_e32 v54, 1, v51
	s_waitcnt lgkmcnt(0)
	v_cmp_gt_u16_e64 s[8:9], v52, v53
	v_cndmask_b32_e64 v48, v48, v51, s[8:9]
	v_cndmask_b32_e64 v34, v54, v34, s[8:9]
	v_cmp_ge_u32_e64 s[8:9], v34, v48
	s_or_b64 s[20:21], s[8:9], s[20:21]
	s_andn2_b64 exec, exec, s[20:21]
	s_cbranch_execnz .LBB200_108
; %bb.109:
	s_or_b64 exec, exec, s[20:21]
.LBB200_110:
	s_or_b64 exec, exec, s[12:13]
	v_add_u32_e32 v11, v29, v11
	v_add_u32_e32 v31, v34, v31
	v_sub_u32_e32 v34, v11, v34
	v_cmp_le_u32_e64 s[8:9], v31, v29
	v_cmp_le_u32_e64 s[12:13], v34, v30
	s_or_b64 s[8:9], s[8:9], s[12:13]
	s_and_saveexec_b64 s[46:47], s[8:9]
	s_cbranch_execz .LBB200_116
; %bb.111:
	v_cmp_lt_u32_e64 s[8:9], v31, v29
                                        ; implicit-def: $vgpr11
	s_and_saveexec_b64 s[12:13], s[8:9]
; %bb.112:
	v_add_u32_e32 v4, v10, v31
	ds_read_u8 v11, v4
; %bb.113:
	s_or_b64 exec, exec, s[12:13]
	v_cmp_ge_u32_e64 s[20:21], v34, v30
	v_cmp_lt_u32_e64 s[12:13], v34, v30
                                        ; implicit-def: $vgpr20
	s_and_saveexec_b64 s[22:23], s[12:13]
; %bb.114:
	v_add_u32_e32 v4, v10, v34
	ds_read_u8 v20, v4
; %bb.115:
	s_or_b64 exec, exec, s[22:23]
	s_waitcnt lgkmcnt(0)
	v_cmp_le_u16_sdwa s[12:13], v11, v20 src0_sel:BYTE_0 src1_sel:BYTE_0
	s_and_b64 s[8:9], s[8:9], s[12:13]
	s_or_b64 s[8:9], s[20:21], s[8:9]
	v_cndmask_b32_e64 v4, v34, v31, s[8:9]
	v_cndmask_b32_e64 v5, v30, v29, s[8:9]
	v_add_u32_e32 v12, 1, v4
	v_add_u32_e32 v5, -1, v5
	v_min_u32_e32 v5, v12, v5
	v_add_u32_e32 v5, v10, v5
	ds_read_u8 v5, v5
	v_cndmask_b32_e64 v13, v12, v34, s[8:9]
	v_cmp_ge_u32_e64 s[12:13], v13, v30
	v_lshl_add_u32 v4, v4, 3, v9
	s_waitcnt lgkmcnt(0)
	v_cndmask_b32_e64 v21, v5, v20, s[8:9]
	v_cndmask_b32_e64 v24, v11, v5, s[8:9]
	;; [unrolled: 1-line block ×3, first 2 shown]
	v_cmp_lt_u32_e64 s[20:21], v5, v29
	v_cmp_le_u16_sdwa s[22:23], v24, v21 src0_sel:BYTE_0 src1_sel:BYTE_0
	s_and_b64 s[20:21], s[20:21], s[22:23]
	s_or_b64 s[20:21], s[12:13], s[20:21]
	v_cndmask_b32_e64 v12, v13, v5, s[20:21]
	v_cndmask_b32_e64 v14, v30, v29, s[20:21]
	v_add_u32_e32 v15, 1, v12
	v_add_u32_e32 v14, -1, v14
	v_min_u32_e32 v14, v15, v14
	v_add_u32_e32 v14, v10, v14
	ds_read_u8 v14, v14
	v_cndmask_b32_e64 v5, v5, v15, s[20:21]
	v_cndmask_b32_e64 v13, v15, v13, s[20:21]
	v_cmp_lt_u32_e64 s[22:23], v5, v29
	v_cmp_ge_u32_e64 s[12:13], v13, v30
	s_waitcnt lgkmcnt(0)
	v_cndmask_b32_e64 v27, v14, v21, s[20:21]
	v_cndmask_b32_e64 v28, v24, v14, s[20:21]
	v_cmp_le_u16_sdwa s[24:25], v28, v27 src0_sel:BYTE_0 src1_sel:BYTE_0
	s_and_b64 s[22:23], s[22:23], s[24:25]
	s_or_b64 s[22:23], s[12:13], s[22:23]
	v_cndmask_b32_e64 v14, v13, v5, s[22:23]
	v_cndmask_b32_e64 v15, v30, v29, s[22:23]
	v_add_u32_e32 v16, 1, v14
	v_add_u32_e32 v15, -1, v15
	v_min_u32_e32 v15, v16, v15
	v_add_u32_e32 v15, v10, v15
	ds_read_u8 v15, v15
	v_lshl_add_u32 v12, v12, 3, v9
	v_lshl_add_u32 v14, v14, 3, v9
	v_cndmask_b32_e64 v20, v20, v11, s[8:9]
	s_waitcnt lgkmcnt(0)
	v_cndmask_b32_e64 v31, v15, v27, s[22:23]
	v_cndmask_b32_e64 v34, v28, v15, s[22:23]
	;; [unrolled: 1-line block ×4, first 2 shown]
	v_cmp_lt_u32_e64 s[24:25], v16, v29
	v_cmp_le_u16_sdwa s[28:29], v34, v31 src0_sel:BYTE_0 src1_sel:BYTE_0
	v_cmp_ge_u32_e64 s[12:13], v15, v30
	s_and_b64 s[24:25], s[24:25], s[28:29]
	s_or_b64 s[12:13], s[12:13], s[24:25]
	v_cndmask_b32_e64 v17, v15, v16, s[12:13]
	v_cndmask_b32_e64 v5, v30, v29, s[12:13]
	v_add_u32_e32 v18, 1, v17
	v_add_u32_e32 v5, -1, v5
	v_min_u32_e32 v5, v18, v5
	v_add_u32_e32 v5, v10, v5
	ds_read_u8 v19, v5
	ds_read_b64 v[4:5], v4 offset:2048
	ds_read_b64 v[12:13], v12 offset:2048
	s_waitcnt lgkmcnt(2)
	v_cndmask_b32_e64 v37, v19, v31, s[12:13]
	v_cndmask_b32_e64 v38, v34, v19, s[12:13]
	;; [unrolled: 1-line block ×4, first 2 shown]
	v_cmp_lt_u32_e64 s[28:29], v18, v29
	v_cmp_le_u16_sdwa s[40:41], v38, v37 src0_sel:BYTE_0 src1_sel:BYTE_0
	v_cmp_ge_u32_e64 s[24:25], v19, v30
	s_and_b64 s[28:29], s[28:29], s[40:41]
	s_or_b64 s[24:25], s[24:25], s[28:29]
	v_cndmask_b32_e64 v22, v19, v18, s[24:25]
	v_cndmask_b32_e64 v15, v30, v29, s[24:25]
	v_add_u32_e32 v23, 1, v22
	v_add_u32_e32 v15, -1, v15
	v_min_u32_e32 v15, v23, v15
	v_add_u32_e32 v15, v10, v15
	ds_read_u8 v25, v15
	v_cndmask_b32_e64 v26, v18, v23, s[24:25]
	v_cmp_lt_u32_e64 s[40:41], v26, v29
	v_lshl_add_u32 v16, v17, 3, v9
	ds_read_b64 v[14:15], v14 offset:2048
	ds_read_b64 v[16:17], v16 offset:2048
	s_waitcnt lgkmcnt(2)
	v_cndmask_b32_e64 v39, v25, v37, s[24:25]
	v_cndmask_b32_e64 v48, v38, v25, s[24:25]
	;; [unrolled: 1-line block ×3, first 2 shown]
	v_cmp_le_u16_sdwa s[42:43], v48, v39 src0_sel:BYTE_0 src1_sel:BYTE_0
	v_cmp_ge_u32_e64 s[28:29], v25, v30
	s_and_b64 s[40:41], s[40:41], s[42:43]
	s_or_b64 s[28:29], s[28:29], s[40:41]
	v_cndmask_b32_e64 v18, v25, v26, s[28:29]
	v_cndmask_b32_e64 v19, v30, v29, s[28:29]
	v_add_u32_e32 v35, 1, v18
	v_add_u32_e32 v19, -1, v19
	v_min_u32_e32 v19, v35, v19
	v_add_u32_e32 v19, v10, v19
	ds_read_u8 v36, v19
	v_cndmask_b32_e64 v52, v26, v35, s[28:29]
	v_cndmask_b32_e64 v51, v35, v25, s[28:29]
	v_cmp_lt_u32_e64 s[42:43], v52, v29
	v_cmp_ge_u32_e64 s[40:41], v51, v30
	s_waitcnt lgkmcnt(0)
	v_cndmask_b32_e64 v49, v36, v39, s[28:29]
	v_cndmask_b32_e64 v50, v48, v36, s[28:29]
	v_cmp_le_u16_sdwa s[56:57], v50, v49 src0_sel:BYTE_0 src1_sel:BYTE_0
	s_and_b64 s[42:43], s[42:43], s[56:57]
	s_or_b64 s[40:41], s[40:41], s[42:43]
	v_cndmask_b32_e64 v25, v51, v52, s[40:41]
	v_cndmask_b32_e64 v26, v30, v29, s[40:41]
	v_lshl_add_u32 v35, v25, 3, v9
	v_add_u32_e32 v53, 1, v25
	v_add_u32_e32 v25, -1, v26
	v_min_u32_e32 v25, v53, v25
	v_lshl_add_u32 v19, v22, 3, v9
	v_lshl_add_u32 v18, v18, 3, v9
	v_add_u32_e32 v10, v10, v25
	ds_read_b64 v[22:23], v19 offset:2048
	ds_read_b64 v[18:19], v18 offset:2048
	ds_read_b64 v[25:26], v35 offset:2048
	ds_read_u8 v10, v10
	v_cndmask_b32_e64 v36, v27, v28, s[22:23]
	v_cndmask_b32_e64 v27, v52, v53, s[40:41]
	;; [unrolled: 1-line block ×4, first 2 shown]
	s_waitcnt lgkmcnt(0)
	v_cndmask_b32_e64 v11, v10, v49, s[40:41]
	v_cndmask_b32_e64 v10, v50, v10, s[40:41]
	;; [unrolled: 1-line block ×3, first 2 shown]
	v_cmp_lt_u32_e64 s[12:13], v27, v29
	v_cmp_le_u16_sdwa s[20:21], v10, v11 src0_sel:BYTE_0 src1_sel:BYTE_0
	v_cmp_ge_u32_e64 s[8:9], v21, v30
	s_and_b64 s[12:13], s[12:13], s[20:21]
	s_or_b64 s[8:9], s[8:9], s[12:13]
	v_cndmask_b32_e64 v21, v21, v27, s[8:9]
	v_lshl_add_u32 v9, v21, 3, v9
	ds_read_b64 v[27:28], v9 offset:2048
	v_cndmask_b32_e64 v21, v37, v38, s[24:25]
	v_cndmask_b32_e64 v39, v39, v48, s[28:29]
	v_cndmask_b32_e64 v38, v49, v50, s[40:41]
	v_cndmask_b32_e64 v37, v11, v10, s[8:9]
.LBB200_116:
	s_or_b64 exec, exec, s[46:47]
	; wave barrier
	s_waitcnt lgkmcnt(0)
	s_barrier
.LBB200_117:
	s_or_b64 exec, exec, s[44:45]
	v_add_co_u32_e64 v2, s[8:9], v2, v8
	v_addc_co_u32_e64 v3, s[8:9], 0, v3, s[8:9]
	v_add_co_u32_e64 v2, s[8:9], v2, v32
	v_addc_co_u32_e64 v3, s[8:9], 0, v3, s[8:9]
	s_waitcnt lgkmcnt(0)
	; wave barrier
	s_and_saveexec_b64 s[8:9], vcc
	s_cbranch_execnz .LBB200_142
; %bb.118:
	s_or_b64 exec, exec, s[8:9]
	s_and_saveexec_b64 s[8:9], s[4:5]
	s_cbranch_execnz .LBB200_143
.LBB200_119:
	s_or_b64 exec, exec, s[8:9]
	s_and_saveexec_b64 s[8:9], s[6:7]
	s_cbranch_execnz .LBB200_144
.LBB200_120:
	s_or_b64 exec, exec, s[8:9]
	s_and_saveexec_b64 s[8:9], s[18:19]
	s_cbranch_execnz .LBB200_145
.LBB200_121:
	s_or_b64 exec, exec, s[8:9]
	s_and_saveexec_b64 s[8:9], s[10:11]
	s_cbranch_execnz .LBB200_146
.LBB200_122:
	s_or_b64 exec, exec, s[8:9]
	s_and_saveexec_b64 s[8:9], s[26:27]
	s_cbranch_execnz .LBB200_147
.LBB200_123:
	s_or_b64 exec, exec, s[8:9]
	s_and_saveexec_b64 s[8:9], s[14:15]
	s_cbranch_execnz .LBB200_148
.LBB200_124:
	s_or_b64 exec, exec, s[8:9]
	s_and_saveexec_b64 s[8:9], s[16:17]
	s_cbranch_execz .LBB200_126
.LBB200_125:
	s_waitcnt vmcnt(0)
	flat_store_byte v[2:3], v37 offset:7
.LBB200_126:
	s_or_b64 exec, exec, s[8:9]
	v_add_co_u32_e64 v0, s[8:9], v6, v0
	v_addc_co_u32_e64 v1, s[8:9], v7, v1, s[8:9]
	v_add_co_u32_e64 v0, s[8:9], v0, v33
	v_addc_co_u32_e64 v1, s[8:9], 0, v1, s[8:9]
	; wave barrier
	s_and_saveexec_b64 s[8:9], vcc
	s_cbranch_execnz .LBB200_149
; %bb.127:
	s_or_b64 exec, exec, s[8:9]
	s_and_saveexec_b64 s[8:9], s[4:5]
	s_cbranch_execnz .LBB200_150
.LBB200_128:
	s_or_b64 exec, exec, s[8:9]
	s_and_saveexec_b64 s[4:5], s[6:7]
	s_cbranch_execnz .LBB200_151
.LBB200_129:
	s_or_b64 exec, exec, s[4:5]
	s_and_saveexec_b64 s[4:5], s[18:19]
	s_cbranch_execnz .LBB200_152
.LBB200_130:
	s_or_b64 exec, exec, s[4:5]
	s_and_saveexec_b64 s[4:5], s[10:11]
	s_cbranch_execnz .LBB200_153
.LBB200_131:
	s_or_b64 exec, exec, s[4:5]
	s_and_saveexec_b64 s[4:5], s[26:27]
	s_cbranch_execnz .LBB200_154
.LBB200_132:
	s_or_b64 exec, exec, s[4:5]
	s_and_saveexec_b64 s[4:5], s[14:15]
	s_cbranch_execnz .LBB200_155
.LBB200_133:
	s_or_b64 exec, exec, s[4:5]
	s_and_saveexec_b64 s[4:5], s[16:17]
	s_cbranch_execnz .LBB200_156
.LBB200_134:
	s_or_b64 exec, exec, s[4:5]
	s_waitcnt vmcnt(0) lgkmcnt(0)
	s_setpc_b64 s[30:31]
.LBB200_135:
	flat_load_dwordx2 v[4:5], v[29:30]
	s_or_b64 exec, exec, s[20:21]
                                        ; implicit-def: $vgpr12_vgpr13
	s_and_saveexec_b64 s[20:21], s[4:5]
	s_cbranch_execz .LBB200_18
.LBB200_136:
	flat_load_dwordx2 v[12:13], v[29:30] offset:8
	s_or_b64 exec, exec, s[20:21]
                                        ; implicit-def: $vgpr14_vgpr15
	s_and_saveexec_b64 s[20:21], s[6:7]
	s_cbranch_execz .LBB200_19
.LBB200_137:
	flat_load_dwordx2 v[14:15], v[29:30] offset:16
	s_or_b64 exec, exec, s[20:21]
                                        ; implicit-def: $vgpr16_vgpr17
	s_and_saveexec_b64 s[20:21], s[18:19]
	s_cbranch_execz .LBB200_20
.LBB200_138:
	flat_load_dwordx2 v[16:17], v[29:30] offset:24
	s_or_b64 exec, exec, s[20:21]
                                        ; implicit-def: $vgpr22_vgpr23
	s_and_saveexec_b64 s[20:21], s[10:11]
	s_cbranch_execz .LBB200_21
.LBB200_139:
	flat_load_dwordx2 v[22:23], v[29:30] offset:32
	s_or_b64 exec, exec, s[20:21]
                                        ; implicit-def: $vgpr18_vgpr19
	s_and_saveexec_b64 s[20:21], s[26:27]
	s_cbranch_execz .LBB200_22
.LBB200_140:
	flat_load_dwordx2 v[18:19], v[29:30] offset:40
	s_or_b64 exec, exec, s[20:21]
                                        ; implicit-def: $vgpr25_vgpr26
	s_and_saveexec_b64 s[20:21], s[14:15]
	s_cbranch_execz .LBB200_23
.LBB200_141:
	flat_load_dwordx2 v[25:26], v[29:30] offset:48
	s_or_b64 exec, exec, s[20:21]
                                        ; implicit-def: $vgpr27_vgpr28
	s_and_saveexec_b64 s[20:21], s[16:17]
	s_cbranch_execnz .LBB200_24
	s_branch .LBB200_25
.LBB200_142:
	s_waitcnt vmcnt(0)
	flat_store_byte v[2:3], v20
	s_or_b64 exec, exec, s[8:9]
	s_and_saveexec_b64 s[8:9], s[4:5]
	s_cbranch_execz .LBB200_119
.LBB200_143:
	s_waitcnt vmcnt(0)
	flat_store_byte v[2:3], v35 offset:1
	s_or_b64 exec, exec, s[8:9]
	s_and_saveexec_b64 s[8:9], s[6:7]
	s_cbranch_execz .LBB200_120
.LBB200_144:
	s_waitcnt vmcnt(0)
	flat_store_byte v[2:3], v36 offset:2
	s_or_b64 exec, exec, s[8:9]
	s_and_saveexec_b64 s[8:9], s[18:19]
	s_cbranch_execz .LBB200_121
.LBB200_145:
	s_waitcnt vmcnt(0)
	flat_store_byte v[2:3], v24 offset:3
	s_or_b64 exec, exec, s[8:9]
	s_and_saveexec_b64 s[8:9], s[10:11]
	s_cbranch_execz .LBB200_122
.LBB200_146:
	s_waitcnt vmcnt(0)
	flat_store_byte v[2:3], v21 offset:4
	s_or_b64 exec, exec, s[8:9]
	s_and_saveexec_b64 s[8:9], s[26:27]
	s_cbranch_execz .LBB200_123
.LBB200_147:
	s_waitcnt vmcnt(0)
	flat_store_byte v[2:3], v39 offset:5
	s_or_b64 exec, exec, s[8:9]
	s_and_saveexec_b64 s[8:9], s[14:15]
	s_cbranch_execz .LBB200_124
.LBB200_148:
	s_waitcnt vmcnt(0)
	flat_store_byte v[2:3], v38 offset:6
	s_or_b64 exec, exec, s[8:9]
	s_and_saveexec_b64 s[8:9], s[16:17]
	s_cbranch_execnz .LBB200_125
	s_branch .LBB200_126
.LBB200_149:
	s_waitcnt vmcnt(0)
	flat_store_dwordx2 v[0:1], v[4:5]
	s_or_b64 exec, exec, s[8:9]
	s_and_saveexec_b64 s[8:9], s[4:5]
	s_cbranch_execz .LBB200_128
.LBB200_150:
	s_waitcnt vmcnt(0)
	flat_store_dwordx2 v[0:1], v[12:13] offset:8
	s_or_b64 exec, exec, s[8:9]
	s_and_saveexec_b64 s[4:5], s[6:7]
	s_cbranch_execz .LBB200_129
.LBB200_151:
	s_waitcnt vmcnt(0)
	flat_store_dwordx2 v[0:1], v[14:15] offset:16
	s_or_b64 exec, exec, s[4:5]
	s_and_saveexec_b64 s[4:5], s[18:19]
	s_cbranch_execz .LBB200_130
.LBB200_152:
	s_waitcnt vmcnt(0)
	flat_store_dwordx2 v[0:1], v[16:17] offset:24
	s_or_b64 exec, exec, s[4:5]
	s_and_saveexec_b64 s[4:5], s[10:11]
	s_cbranch_execz .LBB200_131
.LBB200_153:
	s_waitcnt vmcnt(0)
	flat_store_dwordx2 v[0:1], v[22:23] offset:32
	s_or_b64 exec, exec, s[4:5]
	s_and_saveexec_b64 s[4:5], s[26:27]
	s_cbranch_execz .LBB200_132
.LBB200_154:
	s_waitcnt vmcnt(0)
	flat_store_dwordx2 v[0:1], v[18:19] offset:40
	s_or_b64 exec, exec, s[4:5]
	s_and_saveexec_b64 s[4:5], s[14:15]
	s_cbranch_execz .LBB200_133
.LBB200_155:
	s_waitcnt vmcnt(0)
	flat_store_dwordx2 v[0:1], v[25:26] offset:48
	s_or_b64 exec, exec, s[4:5]
	s_and_saveexec_b64 s[4:5], s[16:17]
	s_cbranch_execz .LBB200_134
.LBB200_156:
	s_waitcnt vmcnt(0)
	flat_store_dwordx2 v[0:1], v[27:28] offset:56
	s_or_b64 exec, exec, s[4:5]
	s_waitcnt vmcnt(0) lgkmcnt(0)
	s_setpc_b64 s[30:31]
.Lfunc_end200:
	.size	_ZN7rocprim17ROCPRIM_400000_NS6detail26segmented_warp_sort_helperINS1_20WarpSortHelperConfigILj16ELj8ELj256EEEhlLi256ELb0EvE4sortIPKhPhPKlPlEEvT_T0_T1_T2_jjjjRNS5_12storage_typeE, .Lfunc_end200-_ZN7rocprim17ROCPRIM_400000_NS6detail26segmented_warp_sort_helperINS1_20WarpSortHelperConfigILj16ELj8ELj256EEEhlLi256ELb0EvE4sortIPKhPhPKlPlEEvT_T0_T1_T2_jjjjRNS5_12storage_typeE
                                        ; -- End function
	.set .L_ZN7rocprim17ROCPRIM_400000_NS6detail26segmented_warp_sort_helperINS1_20WarpSortHelperConfigILj16ELj8ELj256EEEhlLi256ELb0EvE4sortIPKhPhPKlPlEEvT_T0_T1_T2_jjjjRNS5_12storage_typeE.num_vgpr, 68
	.set .L_ZN7rocprim17ROCPRIM_400000_NS6detail26segmented_warp_sort_helperINS1_20WarpSortHelperConfigILj16ELj8ELj256EEEhlLi256ELb0EvE4sortIPKhPhPKlPlEEvT_T0_T1_T2_jjjjRNS5_12storage_typeE.num_agpr, 0
	.set .L_ZN7rocprim17ROCPRIM_400000_NS6detail26segmented_warp_sort_helperINS1_20WarpSortHelperConfigILj16ELj8ELj256EEEhlLi256ELb0EvE4sortIPKhPhPKlPlEEvT_T0_T1_T2_jjjjRNS5_12storage_typeE.numbered_sgpr, 62
	.set .L_ZN7rocprim17ROCPRIM_400000_NS6detail26segmented_warp_sort_helperINS1_20WarpSortHelperConfigILj16ELj8ELj256EEEhlLi256ELb0EvE4sortIPKhPhPKlPlEEvT_T0_T1_T2_jjjjRNS5_12storage_typeE.num_named_barrier, 0
	.set .L_ZN7rocprim17ROCPRIM_400000_NS6detail26segmented_warp_sort_helperINS1_20WarpSortHelperConfigILj16ELj8ELj256EEEhlLi256ELb0EvE4sortIPKhPhPKlPlEEvT_T0_T1_T2_jjjjRNS5_12storage_typeE.private_seg_size, 0
	.set .L_ZN7rocprim17ROCPRIM_400000_NS6detail26segmented_warp_sort_helperINS1_20WarpSortHelperConfigILj16ELj8ELj256EEEhlLi256ELb0EvE4sortIPKhPhPKlPlEEvT_T0_T1_T2_jjjjRNS5_12storage_typeE.uses_vcc, 1
	.set .L_ZN7rocprim17ROCPRIM_400000_NS6detail26segmented_warp_sort_helperINS1_20WarpSortHelperConfigILj16ELj8ELj256EEEhlLi256ELb0EvE4sortIPKhPhPKlPlEEvT_T0_T1_T2_jjjjRNS5_12storage_typeE.uses_flat_scratch, 0
	.set .L_ZN7rocprim17ROCPRIM_400000_NS6detail26segmented_warp_sort_helperINS1_20WarpSortHelperConfigILj16ELj8ELj256EEEhlLi256ELb0EvE4sortIPKhPhPKlPlEEvT_T0_T1_T2_jjjjRNS5_12storage_typeE.has_dyn_sized_stack, 0
	.set .L_ZN7rocprim17ROCPRIM_400000_NS6detail26segmented_warp_sort_helperINS1_20WarpSortHelperConfigILj16ELj8ELj256EEEhlLi256ELb0EvE4sortIPKhPhPKlPlEEvT_T0_T1_T2_jjjjRNS5_12storage_typeE.has_recursion, 0
	.set .L_ZN7rocprim17ROCPRIM_400000_NS6detail26segmented_warp_sort_helperINS1_20WarpSortHelperConfigILj16ELj8ELj256EEEhlLi256ELb0EvE4sortIPKhPhPKlPlEEvT_T0_T1_T2_jjjjRNS5_12storage_typeE.has_indirect_call, 0
	.section	.AMDGPU.csdata,"",@progbits
; Function info:
; codeLenInByte = 17604
; TotalNumSgprs: 66
; NumVgprs: 68
; ScratchSize: 0
; MemoryBound: 0
	.section	.text._ZN7rocprim17ROCPRIM_400000_NS6detail17trampoline_kernelINS0_14default_configENS1_36segmented_radix_sort_config_selectorIhlEEZNS1_25segmented_radix_sort_implIS3_Lb0EPKhPhPKlPlN2at6native12_GLOBAL__N_18offset_tEEE10hipError_tPvRmT1_PNSt15iterator_traitsISK_E10value_typeET2_T3_PNSL_ISQ_E10value_typeET4_jRbjT5_SW_jjP12ihipStream_tbEUlT_E0_NS1_11comp_targetILNS1_3genE2ELNS1_11target_archE906ELNS1_3gpuE6ELNS1_3repE0EEENS1_60segmented_radix_sort_warp_sort_medium_config_static_selectorELNS0_4arch9wavefront6targetE1EEEvSK_,"axG",@progbits,_ZN7rocprim17ROCPRIM_400000_NS6detail17trampoline_kernelINS0_14default_configENS1_36segmented_radix_sort_config_selectorIhlEEZNS1_25segmented_radix_sort_implIS3_Lb0EPKhPhPKlPlN2at6native12_GLOBAL__N_18offset_tEEE10hipError_tPvRmT1_PNSt15iterator_traitsISK_E10value_typeET2_T3_PNSL_ISQ_E10value_typeET4_jRbjT5_SW_jjP12ihipStream_tbEUlT_E0_NS1_11comp_targetILNS1_3genE2ELNS1_11target_archE906ELNS1_3gpuE6ELNS1_3repE0EEENS1_60segmented_radix_sort_warp_sort_medium_config_static_selectorELNS0_4arch9wavefront6targetE1EEEvSK_,comdat
	.globl	_ZN7rocprim17ROCPRIM_400000_NS6detail17trampoline_kernelINS0_14default_configENS1_36segmented_radix_sort_config_selectorIhlEEZNS1_25segmented_radix_sort_implIS3_Lb0EPKhPhPKlPlN2at6native12_GLOBAL__N_18offset_tEEE10hipError_tPvRmT1_PNSt15iterator_traitsISK_E10value_typeET2_T3_PNSL_ISQ_E10value_typeET4_jRbjT5_SW_jjP12ihipStream_tbEUlT_E0_NS1_11comp_targetILNS1_3genE2ELNS1_11target_archE906ELNS1_3gpuE6ELNS1_3repE0EEENS1_60segmented_radix_sort_warp_sort_medium_config_static_selectorELNS0_4arch9wavefront6targetE1EEEvSK_ ; -- Begin function _ZN7rocprim17ROCPRIM_400000_NS6detail17trampoline_kernelINS0_14default_configENS1_36segmented_radix_sort_config_selectorIhlEEZNS1_25segmented_radix_sort_implIS3_Lb0EPKhPhPKlPlN2at6native12_GLOBAL__N_18offset_tEEE10hipError_tPvRmT1_PNSt15iterator_traitsISK_E10value_typeET2_T3_PNSL_ISQ_E10value_typeET4_jRbjT5_SW_jjP12ihipStream_tbEUlT_E0_NS1_11comp_targetILNS1_3genE2ELNS1_11target_archE906ELNS1_3gpuE6ELNS1_3repE0EEENS1_60segmented_radix_sort_warp_sort_medium_config_static_selectorELNS0_4arch9wavefront6targetE1EEEvSK_
	.p2align	8
	.type	_ZN7rocprim17ROCPRIM_400000_NS6detail17trampoline_kernelINS0_14default_configENS1_36segmented_radix_sort_config_selectorIhlEEZNS1_25segmented_radix_sort_implIS3_Lb0EPKhPhPKlPlN2at6native12_GLOBAL__N_18offset_tEEE10hipError_tPvRmT1_PNSt15iterator_traitsISK_E10value_typeET2_T3_PNSL_ISQ_E10value_typeET4_jRbjT5_SW_jjP12ihipStream_tbEUlT_E0_NS1_11comp_targetILNS1_3genE2ELNS1_11target_archE906ELNS1_3gpuE6ELNS1_3repE0EEENS1_60segmented_radix_sort_warp_sort_medium_config_static_selectorELNS0_4arch9wavefront6targetE1EEEvSK_,@function
_ZN7rocprim17ROCPRIM_400000_NS6detail17trampoline_kernelINS0_14default_configENS1_36segmented_radix_sort_config_selectorIhlEEZNS1_25segmented_radix_sort_implIS3_Lb0EPKhPhPKlPlN2at6native12_GLOBAL__N_18offset_tEEE10hipError_tPvRmT1_PNSt15iterator_traitsISK_E10value_typeET2_T3_PNSL_ISQ_E10value_typeET4_jRbjT5_SW_jjP12ihipStream_tbEUlT_E0_NS1_11comp_targetILNS1_3genE2ELNS1_11target_archE906ELNS1_3gpuE6ELNS1_3repE0EEENS1_60segmented_radix_sort_warp_sort_medium_config_static_selectorELNS0_4arch9wavefront6targetE1EEEvSK_: ; @_ZN7rocprim17ROCPRIM_400000_NS6detail17trampoline_kernelINS0_14default_configENS1_36segmented_radix_sort_config_selectorIhlEEZNS1_25segmented_radix_sort_implIS3_Lb0EPKhPhPKlPlN2at6native12_GLOBAL__N_18offset_tEEE10hipError_tPvRmT1_PNSt15iterator_traitsISK_E10value_typeET2_T3_PNSL_ISQ_E10value_typeET4_jRbjT5_SW_jjP12ihipStream_tbEUlT_E0_NS1_11comp_targetILNS1_3genE2ELNS1_11target_archE906ELNS1_3gpuE6ELNS1_3repE0EEENS1_60segmented_radix_sort_warp_sort_medium_config_static_selectorELNS0_4arch9wavefront6targetE1EEEvSK_
; %bb.0:
	s_add_u32 s0, s0, s8
	s_load_dword s8, s[4:5], 0x64
	s_addc_u32 s1, s1, 0
	s_mov_b32 s32, 0
	s_waitcnt lgkmcnt(0)
	s_lshr_b32 s9, s8, 16
	s_and_b32 s8, s8, 0xffff
	v_mad_u32_u24 v3, v2, s9, v1
	v_mad_u64_u32 v[3:4], s[8:9], v3, s8, v[0:1]
	s_load_dword s8, s[4:5], 0x34
	v_lshrrev_b32_e32 v3, 4, v3
	v_lshl_add_u32 v3, s6, 4, v3
	s_waitcnt lgkmcnt(0)
	v_cmp_gt_u32_e32 vcc, s8, v3
	s_and_saveexec_b64 s[8:9], vcc
	s_cbranch_execz .LBB201_6
; %bb.1:
	s_load_dwordx2 s[12:13], s[4:5], 0x38
	s_load_dwordx4 s[8:11], s[4:5], 0x40
	v_mov_b32_e32 v4, 0
	v_lshlrev_b64 v[3:4], 2, v[3:4]
	s_waitcnt lgkmcnt(0)
	v_mov_b32_e32 v5, s13
	v_add_co_u32_e32 v3, vcc, s12, v3
	v_addc_co_u32_e32 v4, vcc, v5, v4, vcc
	global_load_dword v3, v[3:4], off
	s_waitcnt vmcnt(0)
	v_add_u32_e32 v4, s9, v3
	v_add_u32_e32 v3, s11, v3
	v_mul_lo_u32 v8, v4, s8
	v_mul_lo_u32 v40, v3, s10
	v_cmp_gt_u32_e32 vcc, v40, v8
	s_and_b64 exec, exec, vcc
	s_cbranch_execz .LBB201_6
; %bb.2:
	s_load_dword s10, s[4:5], 0x30
	s_load_dwordx4 s[36:39], s[4:5], 0x20
	s_load_dwordx8 s[48:55], s[4:5], 0x0
	s_load_dwordx2 s[34:35], s[4:5], 0x50
	s_mov_b64 s[8:9], -1
	s_waitcnt lgkmcnt(0)
	s_bitcmp0_b32 s10, 0
	v_lshlrev_b32_e32 v42, 20, v2
	v_lshlrev_b32_e32 v43, 10, v1
	s_cbranch_scc0 .LBB201_4
; %bb.3:
	s_add_u32 s8, s4, 0x58
	s_addc_u32 s9, s5, 0
	s_getpc_b64 s[10:11]
	s_add_u32 s10, s10, _ZN7rocprim17ROCPRIM_400000_NS6detail26segmented_warp_sort_helperINS1_20WarpSortHelperConfigILj16ELj8ELj256EEEhlLi256ELb0EvE4sortIPKhPhPKlPlEEvT_T0_T1_T2_jjjjRNS5_12storage_typeE@rel32@lo+4
	s_addc_u32 s11, s11, _ZN7rocprim17ROCPRIM_400000_NS6detail26segmented_warp_sort_helperINS1_20WarpSortHelperConfigILj16ELj8ELj256EEEhlLi256ELb0EvE4sortIPKhPhPKlPlEEvT_T0_T1_T2_jjjjRNS5_12storage_typeE@rel32@hi+12
	v_or3_b32 v31, v0, v43, v42
	s_mov_b32 s12, s6
	s_mov_b32 s13, s7
	v_mov_b32_e32 v41, v0
	v_mov_b32_e32 v0, s48
	v_mov_b32_e32 v1, s49
	v_mov_b32_e32 v2, s50
	v_mov_b32_e32 v3, s51
	v_mov_b32_e32 v4, s54
	v_mov_b32_e32 v5, s55
	v_mov_b32_e32 v6, s36
	v_mov_b32_e32 v7, s37
	v_mov_b32_e32 v9, v40
	v_mov_b32_e32 v10, s34
	v_mov_b32_e32 v11, s35
	s_mov_b64 s[36:37], s[4:5]
	s_mov_b32 s50, s7
	s_mov_b32 s33, s6
	s_swappc_b64 s[30:31], s[10:11]
	v_mov_b32_e32 v0, v41
	s_mov_b32 s6, s33
	s_mov_b32 s7, s50
	s_mov_b64 s[4:5], s[36:37]
	s_mov_b64 s[8:9], 0
.LBB201_4:
	s_andn2_b64 vcc, exec, s[8:9]
	s_cbranch_vccnz .LBB201_6
; %bb.5:
	s_add_u32 s8, s4, 0x58
	s_addc_u32 s9, s5, 0
	s_getpc_b64 s[4:5]
	s_add_u32 s4, s4, _ZN7rocprim17ROCPRIM_400000_NS6detail26segmented_warp_sort_helperINS1_20WarpSortHelperConfigILj16ELj8ELj256EEEhlLi256ELb0EvE4sortIPKhPhPKlPlEEvT_T0_T1_T2_jjjjRNS5_12storage_typeE@rel32@lo+4
	s_addc_u32 s5, s5, _ZN7rocprim17ROCPRIM_400000_NS6detail26segmented_warp_sort_helperINS1_20WarpSortHelperConfigILj16ELj8ELj256EEEhlLi256ELb0EvE4sortIPKhPhPKlPlEEvT_T0_T1_T2_jjjjRNS5_12storage_typeE@rel32@hi+12
	v_or3_b32 v31, v0, v43, v42
	s_mov_b32 s12, s6
	s_mov_b32 s13, s7
	v_mov_b32_e32 v0, s48
	v_mov_b32_e32 v1, s49
	;; [unrolled: 1-line block ×11, first 2 shown]
	s_swappc_b64 s[30:31], s[4:5]
.LBB201_6:
	s_endpgm
	.section	.rodata,"a",@progbits
	.p2align	6, 0x0
	.amdhsa_kernel _ZN7rocprim17ROCPRIM_400000_NS6detail17trampoline_kernelINS0_14default_configENS1_36segmented_radix_sort_config_selectorIhlEEZNS1_25segmented_radix_sort_implIS3_Lb0EPKhPhPKlPlN2at6native12_GLOBAL__N_18offset_tEEE10hipError_tPvRmT1_PNSt15iterator_traitsISK_E10value_typeET2_T3_PNSL_ISQ_E10value_typeET4_jRbjT5_SW_jjP12ihipStream_tbEUlT_E0_NS1_11comp_targetILNS1_3genE2ELNS1_11target_archE906ELNS1_3gpuE6ELNS1_3repE0EEENS1_60segmented_radix_sort_warp_sort_medium_config_static_selectorELNS0_4arch9wavefront6targetE1EEEvSK_
		.amdhsa_group_segment_fixed_size 18432
		.amdhsa_private_segment_fixed_size 0
		.amdhsa_kernarg_size 344
		.amdhsa_user_sgpr_count 6
		.amdhsa_user_sgpr_private_segment_buffer 1
		.amdhsa_user_sgpr_dispatch_ptr 0
		.amdhsa_user_sgpr_queue_ptr 0
		.amdhsa_user_sgpr_kernarg_segment_ptr 1
		.amdhsa_user_sgpr_dispatch_id 0
		.amdhsa_user_sgpr_flat_scratch_init 0
		.amdhsa_user_sgpr_private_segment_size 0
		.amdhsa_uses_dynamic_stack 0
		.amdhsa_system_sgpr_private_segment_wavefront_offset 0
		.amdhsa_system_sgpr_workgroup_id_x 1
		.amdhsa_system_sgpr_workgroup_id_y 1
		.amdhsa_system_sgpr_workgroup_id_z 0
		.amdhsa_system_sgpr_workgroup_info 0
		.amdhsa_system_vgpr_workitem_id 2
		.amdhsa_next_free_vgpr 68
		.amdhsa_next_free_sgpr 98
		.amdhsa_reserve_vcc 1
		.amdhsa_reserve_flat_scratch 0
		.amdhsa_float_round_mode_32 0
		.amdhsa_float_round_mode_16_64 0
		.amdhsa_float_denorm_mode_32 3
		.amdhsa_float_denorm_mode_16_64 3
		.amdhsa_dx10_clamp 1
		.amdhsa_ieee_mode 1
		.amdhsa_fp16_overflow 0
		.amdhsa_exception_fp_ieee_invalid_op 0
		.amdhsa_exception_fp_denorm_src 0
		.amdhsa_exception_fp_ieee_div_zero 0
		.amdhsa_exception_fp_ieee_overflow 0
		.amdhsa_exception_fp_ieee_underflow 0
		.amdhsa_exception_fp_ieee_inexact 0
		.amdhsa_exception_int_div_zero 0
	.end_amdhsa_kernel
	.section	.text._ZN7rocprim17ROCPRIM_400000_NS6detail17trampoline_kernelINS0_14default_configENS1_36segmented_radix_sort_config_selectorIhlEEZNS1_25segmented_radix_sort_implIS3_Lb0EPKhPhPKlPlN2at6native12_GLOBAL__N_18offset_tEEE10hipError_tPvRmT1_PNSt15iterator_traitsISK_E10value_typeET2_T3_PNSL_ISQ_E10value_typeET4_jRbjT5_SW_jjP12ihipStream_tbEUlT_E0_NS1_11comp_targetILNS1_3genE2ELNS1_11target_archE906ELNS1_3gpuE6ELNS1_3repE0EEENS1_60segmented_radix_sort_warp_sort_medium_config_static_selectorELNS0_4arch9wavefront6targetE1EEEvSK_,"axG",@progbits,_ZN7rocprim17ROCPRIM_400000_NS6detail17trampoline_kernelINS0_14default_configENS1_36segmented_radix_sort_config_selectorIhlEEZNS1_25segmented_radix_sort_implIS3_Lb0EPKhPhPKlPlN2at6native12_GLOBAL__N_18offset_tEEE10hipError_tPvRmT1_PNSt15iterator_traitsISK_E10value_typeET2_T3_PNSL_ISQ_E10value_typeET4_jRbjT5_SW_jjP12ihipStream_tbEUlT_E0_NS1_11comp_targetILNS1_3genE2ELNS1_11target_archE906ELNS1_3gpuE6ELNS1_3repE0EEENS1_60segmented_radix_sort_warp_sort_medium_config_static_selectorELNS0_4arch9wavefront6targetE1EEEvSK_,comdat
.Lfunc_end201:
	.size	_ZN7rocprim17ROCPRIM_400000_NS6detail17trampoline_kernelINS0_14default_configENS1_36segmented_radix_sort_config_selectorIhlEEZNS1_25segmented_radix_sort_implIS3_Lb0EPKhPhPKlPlN2at6native12_GLOBAL__N_18offset_tEEE10hipError_tPvRmT1_PNSt15iterator_traitsISK_E10value_typeET2_T3_PNSL_ISQ_E10value_typeET4_jRbjT5_SW_jjP12ihipStream_tbEUlT_E0_NS1_11comp_targetILNS1_3genE2ELNS1_11target_archE906ELNS1_3gpuE6ELNS1_3repE0EEENS1_60segmented_radix_sort_warp_sort_medium_config_static_selectorELNS0_4arch9wavefront6targetE1EEEvSK_, .Lfunc_end201-_ZN7rocprim17ROCPRIM_400000_NS6detail17trampoline_kernelINS0_14default_configENS1_36segmented_radix_sort_config_selectorIhlEEZNS1_25segmented_radix_sort_implIS3_Lb0EPKhPhPKlPlN2at6native12_GLOBAL__N_18offset_tEEE10hipError_tPvRmT1_PNSt15iterator_traitsISK_E10value_typeET2_T3_PNSL_ISQ_E10value_typeET4_jRbjT5_SW_jjP12ihipStream_tbEUlT_E0_NS1_11comp_targetILNS1_3genE2ELNS1_11target_archE906ELNS1_3gpuE6ELNS1_3repE0EEENS1_60segmented_radix_sort_warp_sort_medium_config_static_selectorELNS0_4arch9wavefront6targetE1EEEvSK_
                                        ; -- End function
	.set _ZN7rocprim17ROCPRIM_400000_NS6detail17trampoline_kernelINS0_14default_configENS1_36segmented_radix_sort_config_selectorIhlEEZNS1_25segmented_radix_sort_implIS3_Lb0EPKhPhPKlPlN2at6native12_GLOBAL__N_18offset_tEEE10hipError_tPvRmT1_PNSt15iterator_traitsISK_E10value_typeET2_T3_PNSL_ISQ_E10value_typeET4_jRbjT5_SW_jjP12ihipStream_tbEUlT_E0_NS1_11comp_targetILNS1_3genE2ELNS1_11target_archE906ELNS1_3gpuE6ELNS1_3repE0EEENS1_60segmented_radix_sort_warp_sort_medium_config_static_selectorELNS0_4arch9wavefront6targetE1EEEvSK_.num_vgpr, max(44, .L_ZN7rocprim17ROCPRIM_400000_NS6detail26segmented_warp_sort_helperINS1_20WarpSortHelperConfigILj16ELj8ELj256EEEhlLi256ELb0EvE4sortIPKhPhPKlPlEEvT_T0_T1_T2_jjjjRNS5_12storage_typeE.num_vgpr)
	.set _ZN7rocprim17ROCPRIM_400000_NS6detail17trampoline_kernelINS0_14default_configENS1_36segmented_radix_sort_config_selectorIhlEEZNS1_25segmented_radix_sort_implIS3_Lb0EPKhPhPKlPlN2at6native12_GLOBAL__N_18offset_tEEE10hipError_tPvRmT1_PNSt15iterator_traitsISK_E10value_typeET2_T3_PNSL_ISQ_E10value_typeET4_jRbjT5_SW_jjP12ihipStream_tbEUlT_E0_NS1_11comp_targetILNS1_3genE2ELNS1_11target_archE906ELNS1_3gpuE6ELNS1_3repE0EEENS1_60segmented_radix_sort_warp_sort_medium_config_static_selectorELNS0_4arch9wavefront6targetE1EEEvSK_.num_agpr, max(0, .L_ZN7rocprim17ROCPRIM_400000_NS6detail26segmented_warp_sort_helperINS1_20WarpSortHelperConfigILj16ELj8ELj256EEEhlLi256ELb0EvE4sortIPKhPhPKlPlEEvT_T0_T1_T2_jjjjRNS5_12storage_typeE.num_agpr)
	.set _ZN7rocprim17ROCPRIM_400000_NS6detail17trampoline_kernelINS0_14default_configENS1_36segmented_radix_sort_config_selectorIhlEEZNS1_25segmented_radix_sort_implIS3_Lb0EPKhPhPKlPlN2at6native12_GLOBAL__N_18offset_tEEE10hipError_tPvRmT1_PNSt15iterator_traitsISK_E10value_typeET2_T3_PNSL_ISQ_E10value_typeET4_jRbjT5_SW_jjP12ihipStream_tbEUlT_E0_NS1_11comp_targetILNS1_3genE2ELNS1_11target_archE906ELNS1_3gpuE6ELNS1_3repE0EEENS1_60segmented_radix_sort_warp_sort_medium_config_static_selectorELNS0_4arch9wavefront6targetE1EEEvSK_.numbered_sgpr, max(56, .L_ZN7rocprim17ROCPRIM_400000_NS6detail26segmented_warp_sort_helperINS1_20WarpSortHelperConfigILj16ELj8ELj256EEEhlLi256ELb0EvE4sortIPKhPhPKlPlEEvT_T0_T1_T2_jjjjRNS5_12storage_typeE.numbered_sgpr)
	.set _ZN7rocprim17ROCPRIM_400000_NS6detail17trampoline_kernelINS0_14default_configENS1_36segmented_radix_sort_config_selectorIhlEEZNS1_25segmented_radix_sort_implIS3_Lb0EPKhPhPKlPlN2at6native12_GLOBAL__N_18offset_tEEE10hipError_tPvRmT1_PNSt15iterator_traitsISK_E10value_typeET2_T3_PNSL_ISQ_E10value_typeET4_jRbjT5_SW_jjP12ihipStream_tbEUlT_E0_NS1_11comp_targetILNS1_3genE2ELNS1_11target_archE906ELNS1_3gpuE6ELNS1_3repE0EEENS1_60segmented_radix_sort_warp_sort_medium_config_static_selectorELNS0_4arch9wavefront6targetE1EEEvSK_.num_named_barrier, max(0, .L_ZN7rocprim17ROCPRIM_400000_NS6detail26segmented_warp_sort_helperINS1_20WarpSortHelperConfigILj16ELj8ELj256EEEhlLi256ELb0EvE4sortIPKhPhPKlPlEEvT_T0_T1_T2_jjjjRNS5_12storage_typeE.num_named_barrier)
	.set _ZN7rocprim17ROCPRIM_400000_NS6detail17trampoline_kernelINS0_14default_configENS1_36segmented_radix_sort_config_selectorIhlEEZNS1_25segmented_radix_sort_implIS3_Lb0EPKhPhPKlPlN2at6native12_GLOBAL__N_18offset_tEEE10hipError_tPvRmT1_PNSt15iterator_traitsISK_E10value_typeET2_T3_PNSL_ISQ_E10value_typeET4_jRbjT5_SW_jjP12ihipStream_tbEUlT_E0_NS1_11comp_targetILNS1_3genE2ELNS1_11target_archE906ELNS1_3gpuE6ELNS1_3repE0EEENS1_60segmented_radix_sort_warp_sort_medium_config_static_selectorELNS0_4arch9wavefront6targetE1EEEvSK_.private_seg_size, 0+max(.L_ZN7rocprim17ROCPRIM_400000_NS6detail26segmented_warp_sort_helperINS1_20WarpSortHelperConfigILj16ELj8ELj256EEEhlLi256ELb0EvE4sortIPKhPhPKlPlEEvT_T0_T1_T2_jjjjRNS5_12storage_typeE.private_seg_size)
	.set _ZN7rocprim17ROCPRIM_400000_NS6detail17trampoline_kernelINS0_14default_configENS1_36segmented_radix_sort_config_selectorIhlEEZNS1_25segmented_radix_sort_implIS3_Lb0EPKhPhPKlPlN2at6native12_GLOBAL__N_18offset_tEEE10hipError_tPvRmT1_PNSt15iterator_traitsISK_E10value_typeET2_T3_PNSL_ISQ_E10value_typeET4_jRbjT5_SW_jjP12ihipStream_tbEUlT_E0_NS1_11comp_targetILNS1_3genE2ELNS1_11target_archE906ELNS1_3gpuE6ELNS1_3repE0EEENS1_60segmented_radix_sort_warp_sort_medium_config_static_selectorELNS0_4arch9wavefront6targetE1EEEvSK_.uses_vcc, or(1, .L_ZN7rocprim17ROCPRIM_400000_NS6detail26segmented_warp_sort_helperINS1_20WarpSortHelperConfigILj16ELj8ELj256EEEhlLi256ELb0EvE4sortIPKhPhPKlPlEEvT_T0_T1_T2_jjjjRNS5_12storage_typeE.uses_vcc)
	.set _ZN7rocprim17ROCPRIM_400000_NS6detail17trampoline_kernelINS0_14default_configENS1_36segmented_radix_sort_config_selectorIhlEEZNS1_25segmented_radix_sort_implIS3_Lb0EPKhPhPKlPlN2at6native12_GLOBAL__N_18offset_tEEE10hipError_tPvRmT1_PNSt15iterator_traitsISK_E10value_typeET2_T3_PNSL_ISQ_E10value_typeET4_jRbjT5_SW_jjP12ihipStream_tbEUlT_E0_NS1_11comp_targetILNS1_3genE2ELNS1_11target_archE906ELNS1_3gpuE6ELNS1_3repE0EEENS1_60segmented_radix_sort_warp_sort_medium_config_static_selectorELNS0_4arch9wavefront6targetE1EEEvSK_.uses_flat_scratch, or(0, .L_ZN7rocprim17ROCPRIM_400000_NS6detail26segmented_warp_sort_helperINS1_20WarpSortHelperConfigILj16ELj8ELj256EEEhlLi256ELb0EvE4sortIPKhPhPKlPlEEvT_T0_T1_T2_jjjjRNS5_12storage_typeE.uses_flat_scratch)
	.set _ZN7rocprim17ROCPRIM_400000_NS6detail17trampoline_kernelINS0_14default_configENS1_36segmented_radix_sort_config_selectorIhlEEZNS1_25segmented_radix_sort_implIS3_Lb0EPKhPhPKlPlN2at6native12_GLOBAL__N_18offset_tEEE10hipError_tPvRmT1_PNSt15iterator_traitsISK_E10value_typeET2_T3_PNSL_ISQ_E10value_typeET4_jRbjT5_SW_jjP12ihipStream_tbEUlT_E0_NS1_11comp_targetILNS1_3genE2ELNS1_11target_archE906ELNS1_3gpuE6ELNS1_3repE0EEENS1_60segmented_radix_sort_warp_sort_medium_config_static_selectorELNS0_4arch9wavefront6targetE1EEEvSK_.has_dyn_sized_stack, or(0, .L_ZN7rocprim17ROCPRIM_400000_NS6detail26segmented_warp_sort_helperINS1_20WarpSortHelperConfigILj16ELj8ELj256EEEhlLi256ELb0EvE4sortIPKhPhPKlPlEEvT_T0_T1_T2_jjjjRNS5_12storage_typeE.has_dyn_sized_stack)
	.set _ZN7rocprim17ROCPRIM_400000_NS6detail17trampoline_kernelINS0_14default_configENS1_36segmented_radix_sort_config_selectorIhlEEZNS1_25segmented_radix_sort_implIS3_Lb0EPKhPhPKlPlN2at6native12_GLOBAL__N_18offset_tEEE10hipError_tPvRmT1_PNSt15iterator_traitsISK_E10value_typeET2_T3_PNSL_ISQ_E10value_typeET4_jRbjT5_SW_jjP12ihipStream_tbEUlT_E0_NS1_11comp_targetILNS1_3genE2ELNS1_11target_archE906ELNS1_3gpuE6ELNS1_3repE0EEENS1_60segmented_radix_sort_warp_sort_medium_config_static_selectorELNS0_4arch9wavefront6targetE1EEEvSK_.has_recursion, or(0, .L_ZN7rocprim17ROCPRIM_400000_NS6detail26segmented_warp_sort_helperINS1_20WarpSortHelperConfigILj16ELj8ELj256EEEhlLi256ELb0EvE4sortIPKhPhPKlPlEEvT_T0_T1_T2_jjjjRNS5_12storage_typeE.has_recursion)
	.set _ZN7rocprim17ROCPRIM_400000_NS6detail17trampoline_kernelINS0_14default_configENS1_36segmented_radix_sort_config_selectorIhlEEZNS1_25segmented_radix_sort_implIS3_Lb0EPKhPhPKlPlN2at6native12_GLOBAL__N_18offset_tEEE10hipError_tPvRmT1_PNSt15iterator_traitsISK_E10value_typeET2_T3_PNSL_ISQ_E10value_typeET4_jRbjT5_SW_jjP12ihipStream_tbEUlT_E0_NS1_11comp_targetILNS1_3genE2ELNS1_11target_archE906ELNS1_3gpuE6ELNS1_3repE0EEENS1_60segmented_radix_sort_warp_sort_medium_config_static_selectorELNS0_4arch9wavefront6targetE1EEEvSK_.has_indirect_call, or(0, .L_ZN7rocprim17ROCPRIM_400000_NS6detail26segmented_warp_sort_helperINS1_20WarpSortHelperConfigILj16ELj8ELj256EEEhlLi256ELb0EvE4sortIPKhPhPKlPlEEvT_T0_T1_T2_jjjjRNS5_12storage_typeE.has_indirect_call)
	.section	.AMDGPU.csdata,"",@progbits
; Kernel info:
; codeLenInByte = 476
; TotalNumSgprs: 66
; NumVgprs: 68
; ScratchSize: 0
; MemoryBound: 0
; FloatMode: 240
; IeeeMode: 1
; LDSByteSize: 18432 bytes/workgroup (compile time only)
; SGPRBlocks: 12
; VGPRBlocks: 16
; NumSGPRsForWavesPerEU: 102
; NumVGPRsForWavesPerEU: 68
; Occupancy: 3
; WaveLimiterHint : 0
; COMPUTE_PGM_RSRC2:SCRATCH_EN: 0
; COMPUTE_PGM_RSRC2:USER_SGPR: 6
; COMPUTE_PGM_RSRC2:TRAP_HANDLER: 0
; COMPUTE_PGM_RSRC2:TGID_X_EN: 1
; COMPUTE_PGM_RSRC2:TGID_Y_EN: 1
; COMPUTE_PGM_RSRC2:TGID_Z_EN: 0
; COMPUTE_PGM_RSRC2:TIDIG_COMP_CNT: 2
	.section	.text._ZN7rocprim17ROCPRIM_400000_NS6detail17trampoline_kernelINS0_14default_configENS1_36segmented_radix_sort_config_selectorIhlEEZNS1_25segmented_radix_sort_implIS3_Lb0EPKhPhPKlPlN2at6native12_GLOBAL__N_18offset_tEEE10hipError_tPvRmT1_PNSt15iterator_traitsISK_E10value_typeET2_T3_PNSL_ISQ_E10value_typeET4_jRbjT5_SW_jjP12ihipStream_tbEUlT_E0_NS1_11comp_targetILNS1_3genE10ELNS1_11target_archE1201ELNS1_3gpuE5ELNS1_3repE0EEENS1_60segmented_radix_sort_warp_sort_medium_config_static_selectorELNS0_4arch9wavefront6targetE1EEEvSK_,"axG",@progbits,_ZN7rocprim17ROCPRIM_400000_NS6detail17trampoline_kernelINS0_14default_configENS1_36segmented_radix_sort_config_selectorIhlEEZNS1_25segmented_radix_sort_implIS3_Lb0EPKhPhPKlPlN2at6native12_GLOBAL__N_18offset_tEEE10hipError_tPvRmT1_PNSt15iterator_traitsISK_E10value_typeET2_T3_PNSL_ISQ_E10value_typeET4_jRbjT5_SW_jjP12ihipStream_tbEUlT_E0_NS1_11comp_targetILNS1_3genE10ELNS1_11target_archE1201ELNS1_3gpuE5ELNS1_3repE0EEENS1_60segmented_radix_sort_warp_sort_medium_config_static_selectorELNS0_4arch9wavefront6targetE1EEEvSK_,comdat
	.globl	_ZN7rocprim17ROCPRIM_400000_NS6detail17trampoline_kernelINS0_14default_configENS1_36segmented_radix_sort_config_selectorIhlEEZNS1_25segmented_radix_sort_implIS3_Lb0EPKhPhPKlPlN2at6native12_GLOBAL__N_18offset_tEEE10hipError_tPvRmT1_PNSt15iterator_traitsISK_E10value_typeET2_T3_PNSL_ISQ_E10value_typeET4_jRbjT5_SW_jjP12ihipStream_tbEUlT_E0_NS1_11comp_targetILNS1_3genE10ELNS1_11target_archE1201ELNS1_3gpuE5ELNS1_3repE0EEENS1_60segmented_radix_sort_warp_sort_medium_config_static_selectorELNS0_4arch9wavefront6targetE1EEEvSK_ ; -- Begin function _ZN7rocprim17ROCPRIM_400000_NS6detail17trampoline_kernelINS0_14default_configENS1_36segmented_radix_sort_config_selectorIhlEEZNS1_25segmented_radix_sort_implIS3_Lb0EPKhPhPKlPlN2at6native12_GLOBAL__N_18offset_tEEE10hipError_tPvRmT1_PNSt15iterator_traitsISK_E10value_typeET2_T3_PNSL_ISQ_E10value_typeET4_jRbjT5_SW_jjP12ihipStream_tbEUlT_E0_NS1_11comp_targetILNS1_3genE10ELNS1_11target_archE1201ELNS1_3gpuE5ELNS1_3repE0EEENS1_60segmented_radix_sort_warp_sort_medium_config_static_selectorELNS0_4arch9wavefront6targetE1EEEvSK_
	.p2align	8
	.type	_ZN7rocprim17ROCPRIM_400000_NS6detail17trampoline_kernelINS0_14default_configENS1_36segmented_radix_sort_config_selectorIhlEEZNS1_25segmented_radix_sort_implIS3_Lb0EPKhPhPKlPlN2at6native12_GLOBAL__N_18offset_tEEE10hipError_tPvRmT1_PNSt15iterator_traitsISK_E10value_typeET2_T3_PNSL_ISQ_E10value_typeET4_jRbjT5_SW_jjP12ihipStream_tbEUlT_E0_NS1_11comp_targetILNS1_3genE10ELNS1_11target_archE1201ELNS1_3gpuE5ELNS1_3repE0EEENS1_60segmented_radix_sort_warp_sort_medium_config_static_selectorELNS0_4arch9wavefront6targetE1EEEvSK_,@function
_ZN7rocprim17ROCPRIM_400000_NS6detail17trampoline_kernelINS0_14default_configENS1_36segmented_radix_sort_config_selectorIhlEEZNS1_25segmented_radix_sort_implIS3_Lb0EPKhPhPKlPlN2at6native12_GLOBAL__N_18offset_tEEE10hipError_tPvRmT1_PNSt15iterator_traitsISK_E10value_typeET2_T3_PNSL_ISQ_E10value_typeET4_jRbjT5_SW_jjP12ihipStream_tbEUlT_E0_NS1_11comp_targetILNS1_3genE10ELNS1_11target_archE1201ELNS1_3gpuE5ELNS1_3repE0EEENS1_60segmented_radix_sort_warp_sort_medium_config_static_selectorELNS0_4arch9wavefront6targetE1EEEvSK_: ; @_ZN7rocprim17ROCPRIM_400000_NS6detail17trampoline_kernelINS0_14default_configENS1_36segmented_radix_sort_config_selectorIhlEEZNS1_25segmented_radix_sort_implIS3_Lb0EPKhPhPKlPlN2at6native12_GLOBAL__N_18offset_tEEE10hipError_tPvRmT1_PNSt15iterator_traitsISK_E10value_typeET2_T3_PNSL_ISQ_E10value_typeET4_jRbjT5_SW_jjP12ihipStream_tbEUlT_E0_NS1_11comp_targetILNS1_3genE10ELNS1_11target_archE1201ELNS1_3gpuE5ELNS1_3repE0EEENS1_60segmented_radix_sort_warp_sort_medium_config_static_selectorELNS0_4arch9wavefront6targetE1EEEvSK_
; %bb.0:
	.section	.rodata,"a",@progbits
	.p2align	6, 0x0
	.amdhsa_kernel _ZN7rocprim17ROCPRIM_400000_NS6detail17trampoline_kernelINS0_14default_configENS1_36segmented_radix_sort_config_selectorIhlEEZNS1_25segmented_radix_sort_implIS3_Lb0EPKhPhPKlPlN2at6native12_GLOBAL__N_18offset_tEEE10hipError_tPvRmT1_PNSt15iterator_traitsISK_E10value_typeET2_T3_PNSL_ISQ_E10value_typeET4_jRbjT5_SW_jjP12ihipStream_tbEUlT_E0_NS1_11comp_targetILNS1_3genE10ELNS1_11target_archE1201ELNS1_3gpuE5ELNS1_3repE0EEENS1_60segmented_radix_sort_warp_sort_medium_config_static_selectorELNS0_4arch9wavefront6targetE1EEEvSK_
		.amdhsa_group_segment_fixed_size 0
		.amdhsa_private_segment_fixed_size 0
		.amdhsa_kernarg_size 88
		.amdhsa_user_sgpr_count 6
		.amdhsa_user_sgpr_private_segment_buffer 1
		.amdhsa_user_sgpr_dispatch_ptr 0
		.amdhsa_user_sgpr_queue_ptr 0
		.amdhsa_user_sgpr_kernarg_segment_ptr 1
		.amdhsa_user_sgpr_dispatch_id 0
		.amdhsa_user_sgpr_flat_scratch_init 0
		.amdhsa_user_sgpr_private_segment_size 0
		.amdhsa_uses_dynamic_stack 0
		.amdhsa_system_sgpr_private_segment_wavefront_offset 0
		.amdhsa_system_sgpr_workgroup_id_x 1
		.amdhsa_system_sgpr_workgroup_id_y 0
		.amdhsa_system_sgpr_workgroup_id_z 0
		.amdhsa_system_sgpr_workgroup_info 0
		.amdhsa_system_vgpr_workitem_id 0
		.amdhsa_next_free_vgpr 1
		.amdhsa_next_free_sgpr 0
		.amdhsa_reserve_vcc 0
		.amdhsa_reserve_flat_scratch 0
		.amdhsa_float_round_mode_32 0
		.amdhsa_float_round_mode_16_64 0
		.amdhsa_float_denorm_mode_32 3
		.amdhsa_float_denorm_mode_16_64 3
		.amdhsa_dx10_clamp 1
		.amdhsa_ieee_mode 1
		.amdhsa_fp16_overflow 0
		.amdhsa_exception_fp_ieee_invalid_op 0
		.amdhsa_exception_fp_denorm_src 0
		.amdhsa_exception_fp_ieee_div_zero 0
		.amdhsa_exception_fp_ieee_overflow 0
		.amdhsa_exception_fp_ieee_underflow 0
		.amdhsa_exception_fp_ieee_inexact 0
		.amdhsa_exception_int_div_zero 0
	.end_amdhsa_kernel
	.section	.text._ZN7rocprim17ROCPRIM_400000_NS6detail17trampoline_kernelINS0_14default_configENS1_36segmented_radix_sort_config_selectorIhlEEZNS1_25segmented_radix_sort_implIS3_Lb0EPKhPhPKlPlN2at6native12_GLOBAL__N_18offset_tEEE10hipError_tPvRmT1_PNSt15iterator_traitsISK_E10value_typeET2_T3_PNSL_ISQ_E10value_typeET4_jRbjT5_SW_jjP12ihipStream_tbEUlT_E0_NS1_11comp_targetILNS1_3genE10ELNS1_11target_archE1201ELNS1_3gpuE5ELNS1_3repE0EEENS1_60segmented_radix_sort_warp_sort_medium_config_static_selectorELNS0_4arch9wavefront6targetE1EEEvSK_,"axG",@progbits,_ZN7rocprim17ROCPRIM_400000_NS6detail17trampoline_kernelINS0_14default_configENS1_36segmented_radix_sort_config_selectorIhlEEZNS1_25segmented_radix_sort_implIS3_Lb0EPKhPhPKlPlN2at6native12_GLOBAL__N_18offset_tEEE10hipError_tPvRmT1_PNSt15iterator_traitsISK_E10value_typeET2_T3_PNSL_ISQ_E10value_typeET4_jRbjT5_SW_jjP12ihipStream_tbEUlT_E0_NS1_11comp_targetILNS1_3genE10ELNS1_11target_archE1201ELNS1_3gpuE5ELNS1_3repE0EEENS1_60segmented_radix_sort_warp_sort_medium_config_static_selectorELNS0_4arch9wavefront6targetE1EEEvSK_,comdat
.Lfunc_end202:
	.size	_ZN7rocprim17ROCPRIM_400000_NS6detail17trampoline_kernelINS0_14default_configENS1_36segmented_radix_sort_config_selectorIhlEEZNS1_25segmented_radix_sort_implIS3_Lb0EPKhPhPKlPlN2at6native12_GLOBAL__N_18offset_tEEE10hipError_tPvRmT1_PNSt15iterator_traitsISK_E10value_typeET2_T3_PNSL_ISQ_E10value_typeET4_jRbjT5_SW_jjP12ihipStream_tbEUlT_E0_NS1_11comp_targetILNS1_3genE10ELNS1_11target_archE1201ELNS1_3gpuE5ELNS1_3repE0EEENS1_60segmented_radix_sort_warp_sort_medium_config_static_selectorELNS0_4arch9wavefront6targetE1EEEvSK_, .Lfunc_end202-_ZN7rocprim17ROCPRIM_400000_NS6detail17trampoline_kernelINS0_14default_configENS1_36segmented_radix_sort_config_selectorIhlEEZNS1_25segmented_radix_sort_implIS3_Lb0EPKhPhPKlPlN2at6native12_GLOBAL__N_18offset_tEEE10hipError_tPvRmT1_PNSt15iterator_traitsISK_E10value_typeET2_T3_PNSL_ISQ_E10value_typeET4_jRbjT5_SW_jjP12ihipStream_tbEUlT_E0_NS1_11comp_targetILNS1_3genE10ELNS1_11target_archE1201ELNS1_3gpuE5ELNS1_3repE0EEENS1_60segmented_radix_sort_warp_sort_medium_config_static_selectorELNS0_4arch9wavefront6targetE1EEEvSK_
                                        ; -- End function
	.set _ZN7rocprim17ROCPRIM_400000_NS6detail17trampoline_kernelINS0_14default_configENS1_36segmented_radix_sort_config_selectorIhlEEZNS1_25segmented_radix_sort_implIS3_Lb0EPKhPhPKlPlN2at6native12_GLOBAL__N_18offset_tEEE10hipError_tPvRmT1_PNSt15iterator_traitsISK_E10value_typeET2_T3_PNSL_ISQ_E10value_typeET4_jRbjT5_SW_jjP12ihipStream_tbEUlT_E0_NS1_11comp_targetILNS1_3genE10ELNS1_11target_archE1201ELNS1_3gpuE5ELNS1_3repE0EEENS1_60segmented_radix_sort_warp_sort_medium_config_static_selectorELNS0_4arch9wavefront6targetE1EEEvSK_.num_vgpr, 0
	.set _ZN7rocprim17ROCPRIM_400000_NS6detail17trampoline_kernelINS0_14default_configENS1_36segmented_radix_sort_config_selectorIhlEEZNS1_25segmented_radix_sort_implIS3_Lb0EPKhPhPKlPlN2at6native12_GLOBAL__N_18offset_tEEE10hipError_tPvRmT1_PNSt15iterator_traitsISK_E10value_typeET2_T3_PNSL_ISQ_E10value_typeET4_jRbjT5_SW_jjP12ihipStream_tbEUlT_E0_NS1_11comp_targetILNS1_3genE10ELNS1_11target_archE1201ELNS1_3gpuE5ELNS1_3repE0EEENS1_60segmented_radix_sort_warp_sort_medium_config_static_selectorELNS0_4arch9wavefront6targetE1EEEvSK_.num_agpr, 0
	.set _ZN7rocprim17ROCPRIM_400000_NS6detail17trampoline_kernelINS0_14default_configENS1_36segmented_radix_sort_config_selectorIhlEEZNS1_25segmented_radix_sort_implIS3_Lb0EPKhPhPKlPlN2at6native12_GLOBAL__N_18offset_tEEE10hipError_tPvRmT1_PNSt15iterator_traitsISK_E10value_typeET2_T3_PNSL_ISQ_E10value_typeET4_jRbjT5_SW_jjP12ihipStream_tbEUlT_E0_NS1_11comp_targetILNS1_3genE10ELNS1_11target_archE1201ELNS1_3gpuE5ELNS1_3repE0EEENS1_60segmented_radix_sort_warp_sort_medium_config_static_selectorELNS0_4arch9wavefront6targetE1EEEvSK_.numbered_sgpr, 0
	.set _ZN7rocprim17ROCPRIM_400000_NS6detail17trampoline_kernelINS0_14default_configENS1_36segmented_radix_sort_config_selectorIhlEEZNS1_25segmented_radix_sort_implIS3_Lb0EPKhPhPKlPlN2at6native12_GLOBAL__N_18offset_tEEE10hipError_tPvRmT1_PNSt15iterator_traitsISK_E10value_typeET2_T3_PNSL_ISQ_E10value_typeET4_jRbjT5_SW_jjP12ihipStream_tbEUlT_E0_NS1_11comp_targetILNS1_3genE10ELNS1_11target_archE1201ELNS1_3gpuE5ELNS1_3repE0EEENS1_60segmented_radix_sort_warp_sort_medium_config_static_selectorELNS0_4arch9wavefront6targetE1EEEvSK_.num_named_barrier, 0
	.set _ZN7rocprim17ROCPRIM_400000_NS6detail17trampoline_kernelINS0_14default_configENS1_36segmented_radix_sort_config_selectorIhlEEZNS1_25segmented_radix_sort_implIS3_Lb0EPKhPhPKlPlN2at6native12_GLOBAL__N_18offset_tEEE10hipError_tPvRmT1_PNSt15iterator_traitsISK_E10value_typeET2_T3_PNSL_ISQ_E10value_typeET4_jRbjT5_SW_jjP12ihipStream_tbEUlT_E0_NS1_11comp_targetILNS1_3genE10ELNS1_11target_archE1201ELNS1_3gpuE5ELNS1_3repE0EEENS1_60segmented_radix_sort_warp_sort_medium_config_static_selectorELNS0_4arch9wavefront6targetE1EEEvSK_.private_seg_size, 0
	.set _ZN7rocprim17ROCPRIM_400000_NS6detail17trampoline_kernelINS0_14default_configENS1_36segmented_radix_sort_config_selectorIhlEEZNS1_25segmented_radix_sort_implIS3_Lb0EPKhPhPKlPlN2at6native12_GLOBAL__N_18offset_tEEE10hipError_tPvRmT1_PNSt15iterator_traitsISK_E10value_typeET2_T3_PNSL_ISQ_E10value_typeET4_jRbjT5_SW_jjP12ihipStream_tbEUlT_E0_NS1_11comp_targetILNS1_3genE10ELNS1_11target_archE1201ELNS1_3gpuE5ELNS1_3repE0EEENS1_60segmented_radix_sort_warp_sort_medium_config_static_selectorELNS0_4arch9wavefront6targetE1EEEvSK_.uses_vcc, 0
	.set _ZN7rocprim17ROCPRIM_400000_NS6detail17trampoline_kernelINS0_14default_configENS1_36segmented_radix_sort_config_selectorIhlEEZNS1_25segmented_radix_sort_implIS3_Lb0EPKhPhPKlPlN2at6native12_GLOBAL__N_18offset_tEEE10hipError_tPvRmT1_PNSt15iterator_traitsISK_E10value_typeET2_T3_PNSL_ISQ_E10value_typeET4_jRbjT5_SW_jjP12ihipStream_tbEUlT_E0_NS1_11comp_targetILNS1_3genE10ELNS1_11target_archE1201ELNS1_3gpuE5ELNS1_3repE0EEENS1_60segmented_radix_sort_warp_sort_medium_config_static_selectorELNS0_4arch9wavefront6targetE1EEEvSK_.uses_flat_scratch, 0
	.set _ZN7rocprim17ROCPRIM_400000_NS6detail17trampoline_kernelINS0_14default_configENS1_36segmented_radix_sort_config_selectorIhlEEZNS1_25segmented_radix_sort_implIS3_Lb0EPKhPhPKlPlN2at6native12_GLOBAL__N_18offset_tEEE10hipError_tPvRmT1_PNSt15iterator_traitsISK_E10value_typeET2_T3_PNSL_ISQ_E10value_typeET4_jRbjT5_SW_jjP12ihipStream_tbEUlT_E0_NS1_11comp_targetILNS1_3genE10ELNS1_11target_archE1201ELNS1_3gpuE5ELNS1_3repE0EEENS1_60segmented_radix_sort_warp_sort_medium_config_static_selectorELNS0_4arch9wavefront6targetE1EEEvSK_.has_dyn_sized_stack, 0
	.set _ZN7rocprim17ROCPRIM_400000_NS6detail17trampoline_kernelINS0_14default_configENS1_36segmented_radix_sort_config_selectorIhlEEZNS1_25segmented_radix_sort_implIS3_Lb0EPKhPhPKlPlN2at6native12_GLOBAL__N_18offset_tEEE10hipError_tPvRmT1_PNSt15iterator_traitsISK_E10value_typeET2_T3_PNSL_ISQ_E10value_typeET4_jRbjT5_SW_jjP12ihipStream_tbEUlT_E0_NS1_11comp_targetILNS1_3genE10ELNS1_11target_archE1201ELNS1_3gpuE5ELNS1_3repE0EEENS1_60segmented_radix_sort_warp_sort_medium_config_static_selectorELNS0_4arch9wavefront6targetE1EEEvSK_.has_recursion, 0
	.set _ZN7rocprim17ROCPRIM_400000_NS6detail17trampoline_kernelINS0_14default_configENS1_36segmented_radix_sort_config_selectorIhlEEZNS1_25segmented_radix_sort_implIS3_Lb0EPKhPhPKlPlN2at6native12_GLOBAL__N_18offset_tEEE10hipError_tPvRmT1_PNSt15iterator_traitsISK_E10value_typeET2_T3_PNSL_ISQ_E10value_typeET4_jRbjT5_SW_jjP12ihipStream_tbEUlT_E0_NS1_11comp_targetILNS1_3genE10ELNS1_11target_archE1201ELNS1_3gpuE5ELNS1_3repE0EEENS1_60segmented_radix_sort_warp_sort_medium_config_static_selectorELNS0_4arch9wavefront6targetE1EEEvSK_.has_indirect_call, 0
	.section	.AMDGPU.csdata,"",@progbits
; Kernel info:
; codeLenInByte = 0
; TotalNumSgprs: 4
; NumVgprs: 0
; ScratchSize: 0
; MemoryBound: 0
; FloatMode: 240
; IeeeMode: 1
; LDSByteSize: 0 bytes/workgroup (compile time only)
; SGPRBlocks: 0
; VGPRBlocks: 0
; NumSGPRsForWavesPerEU: 4
; NumVGPRsForWavesPerEU: 1
; Occupancy: 10
; WaveLimiterHint : 0
; COMPUTE_PGM_RSRC2:SCRATCH_EN: 0
; COMPUTE_PGM_RSRC2:USER_SGPR: 6
; COMPUTE_PGM_RSRC2:TRAP_HANDLER: 0
; COMPUTE_PGM_RSRC2:TGID_X_EN: 1
; COMPUTE_PGM_RSRC2:TGID_Y_EN: 0
; COMPUTE_PGM_RSRC2:TGID_Z_EN: 0
; COMPUTE_PGM_RSRC2:TIDIG_COMP_CNT: 0
	.section	.text._ZN7rocprim17ROCPRIM_400000_NS6detail17trampoline_kernelINS0_14default_configENS1_36segmented_radix_sort_config_selectorIhlEEZNS1_25segmented_radix_sort_implIS3_Lb0EPKhPhPKlPlN2at6native12_GLOBAL__N_18offset_tEEE10hipError_tPvRmT1_PNSt15iterator_traitsISK_E10value_typeET2_T3_PNSL_ISQ_E10value_typeET4_jRbjT5_SW_jjP12ihipStream_tbEUlT_E0_NS1_11comp_targetILNS1_3genE10ELNS1_11target_archE1200ELNS1_3gpuE4ELNS1_3repE0EEENS1_60segmented_radix_sort_warp_sort_medium_config_static_selectorELNS0_4arch9wavefront6targetE1EEEvSK_,"axG",@progbits,_ZN7rocprim17ROCPRIM_400000_NS6detail17trampoline_kernelINS0_14default_configENS1_36segmented_radix_sort_config_selectorIhlEEZNS1_25segmented_radix_sort_implIS3_Lb0EPKhPhPKlPlN2at6native12_GLOBAL__N_18offset_tEEE10hipError_tPvRmT1_PNSt15iterator_traitsISK_E10value_typeET2_T3_PNSL_ISQ_E10value_typeET4_jRbjT5_SW_jjP12ihipStream_tbEUlT_E0_NS1_11comp_targetILNS1_3genE10ELNS1_11target_archE1200ELNS1_3gpuE4ELNS1_3repE0EEENS1_60segmented_radix_sort_warp_sort_medium_config_static_selectorELNS0_4arch9wavefront6targetE1EEEvSK_,comdat
	.globl	_ZN7rocprim17ROCPRIM_400000_NS6detail17trampoline_kernelINS0_14default_configENS1_36segmented_radix_sort_config_selectorIhlEEZNS1_25segmented_radix_sort_implIS3_Lb0EPKhPhPKlPlN2at6native12_GLOBAL__N_18offset_tEEE10hipError_tPvRmT1_PNSt15iterator_traitsISK_E10value_typeET2_T3_PNSL_ISQ_E10value_typeET4_jRbjT5_SW_jjP12ihipStream_tbEUlT_E0_NS1_11comp_targetILNS1_3genE10ELNS1_11target_archE1200ELNS1_3gpuE4ELNS1_3repE0EEENS1_60segmented_radix_sort_warp_sort_medium_config_static_selectorELNS0_4arch9wavefront6targetE1EEEvSK_ ; -- Begin function _ZN7rocprim17ROCPRIM_400000_NS6detail17trampoline_kernelINS0_14default_configENS1_36segmented_radix_sort_config_selectorIhlEEZNS1_25segmented_radix_sort_implIS3_Lb0EPKhPhPKlPlN2at6native12_GLOBAL__N_18offset_tEEE10hipError_tPvRmT1_PNSt15iterator_traitsISK_E10value_typeET2_T3_PNSL_ISQ_E10value_typeET4_jRbjT5_SW_jjP12ihipStream_tbEUlT_E0_NS1_11comp_targetILNS1_3genE10ELNS1_11target_archE1200ELNS1_3gpuE4ELNS1_3repE0EEENS1_60segmented_radix_sort_warp_sort_medium_config_static_selectorELNS0_4arch9wavefront6targetE1EEEvSK_
	.p2align	8
	.type	_ZN7rocprim17ROCPRIM_400000_NS6detail17trampoline_kernelINS0_14default_configENS1_36segmented_radix_sort_config_selectorIhlEEZNS1_25segmented_radix_sort_implIS3_Lb0EPKhPhPKlPlN2at6native12_GLOBAL__N_18offset_tEEE10hipError_tPvRmT1_PNSt15iterator_traitsISK_E10value_typeET2_T3_PNSL_ISQ_E10value_typeET4_jRbjT5_SW_jjP12ihipStream_tbEUlT_E0_NS1_11comp_targetILNS1_3genE10ELNS1_11target_archE1200ELNS1_3gpuE4ELNS1_3repE0EEENS1_60segmented_radix_sort_warp_sort_medium_config_static_selectorELNS0_4arch9wavefront6targetE1EEEvSK_,@function
_ZN7rocprim17ROCPRIM_400000_NS6detail17trampoline_kernelINS0_14default_configENS1_36segmented_radix_sort_config_selectorIhlEEZNS1_25segmented_radix_sort_implIS3_Lb0EPKhPhPKlPlN2at6native12_GLOBAL__N_18offset_tEEE10hipError_tPvRmT1_PNSt15iterator_traitsISK_E10value_typeET2_T3_PNSL_ISQ_E10value_typeET4_jRbjT5_SW_jjP12ihipStream_tbEUlT_E0_NS1_11comp_targetILNS1_3genE10ELNS1_11target_archE1200ELNS1_3gpuE4ELNS1_3repE0EEENS1_60segmented_radix_sort_warp_sort_medium_config_static_selectorELNS0_4arch9wavefront6targetE1EEEvSK_: ; @_ZN7rocprim17ROCPRIM_400000_NS6detail17trampoline_kernelINS0_14default_configENS1_36segmented_radix_sort_config_selectorIhlEEZNS1_25segmented_radix_sort_implIS3_Lb0EPKhPhPKlPlN2at6native12_GLOBAL__N_18offset_tEEE10hipError_tPvRmT1_PNSt15iterator_traitsISK_E10value_typeET2_T3_PNSL_ISQ_E10value_typeET4_jRbjT5_SW_jjP12ihipStream_tbEUlT_E0_NS1_11comp_targetILNS1_3genE10ELNS1_11target_archE1200ELNS1_3gpuE4ELNS1_3repE0EEENS1_60segmented_radix_sort_warp_sort_medium_config_static_selectorELNS0_4arch9wavefront6targetE1EEEvSK_
; %bb.0:
	.section	.rodata,"a",@progbits
	.p2align	6, 0x0
	.amdhsa_kernel _ZN7rocprim17ROCPRIM_400000_NS6detail17trampoline_kernelINS0_14default_configENS1_36segmented_radix_sort_config_selectorIhlEEZNS1_25segmented_radix_sort_implIS3_Lb0EPKhPhPKlPlN2at6native12_GLOBAL__N_18offset_tEEE10hipError_tPvRmT1_PNSt15iterator_traitsISK_E10value_typeET2_T3_PNSL_ISQ_E10value_typeET4_jRbjT5_SW_jjP12ihipStream_tbEUlT_E0_NS1_11comp_targetILNS1_3genE10ELNS1_11target_archE1200ELNS1_3gpuE4ELNS1_3repE0EEENS1_60segmented_radix_sort_warp_sort_medium_config_static_selectorELNS0_4arch9wavefront6targetE1EEEvSK_
		.amdhsa_group_segment_fixed_size 0
		.amdhsa_private_segment_fixed_size 0
		.amdhsa_kernarg_size 88
		.amdhsa_user_sgpr_count 6
		.amdhsa_user_sgpr_private_segment_buffer 1
		.amdhsa_user_sgpr_dispatch_ptr 0
		.amdhsa_user_sgpr_queue_ptr 0
		.amdhsa_user_sgpr_kernarg_segment_ptr 1
		.amdhsa_user_sgpr_dispatch_id 0
		.amdhsa_user_sgpr_flat_scratch_init 0
		.amdhsa_user_sgpr_private_segment_size 0
		.amdhsa_uses_dynamic_stack 0
		.amdhsa_system_sgpr_private_segment_wavefront_offset 0
		.amdhsa_system_sgpr_workgroup_id_x 1
		.amdhsa_system_sgpr_workgroup_id_y 0
		.amdhsa_system_sgpr_workgroup_id_z 0
		.amdhsa_system_sgpr_workgroup_info 0
		.amdhsa_system_vgpr_workitem_id 0
		.amdhsa_next_free_vgpr 1
		.amdhsa_next_free_sgpr 0
		.amdhsa_reserve_vcc 0
		.amdhsa_reserve_flat_scratch 0
		.amdhsa_float_round_mode_32 0
		.amdhsa_float_round_mode_16_64 0
		.amdhsa_float_denorm_mode_32 3
		.amdhsa_float_denorm_mode_16_64 3
		.amdhsa_dx10_clamp 1
		.amdhsa_ieee_mode 1
		.amdhsa_fp16_overflow 0
		.amdhsa_exception_fp_ieee_invalid_op 0
		.amdhsa_exception_fp_denorm_src 0
		.amdhsa_exception_fp_ieee_div_zero 0
		.amdhsa_exception_fp_ieee_overflow 0
		.amdhsa_exception_fp_ieee_underflow 0
		.amdhsa_exception_fp_ieee_inexact 0
		.amdhsa_exception_int_div_zero 0
	.end_amdhsa_kernel
	.section	.text._ZN7rocprim17ROCPRIM_400000_NS6detail17trampoline_kernelINS0_14default_configENS1_36segmented_radix_sort_config_selectorIhlEEZNS1_25segmented_radix_sort_implIS3_Lb0EPKhPhPKlPlN2at6native12_GLOBAL__N_18offset_tEEE10hipError_tPvRmT1_PNSt15iterator_traitsISK_E10value_typeET2_T3_PNSL_ISQ_E10value_typeET4_jRbjT5_SW_jjP12ihipStream_tbEUlT_E0_NS1_11comp_targetILNS1_3genE10ELNS1_11target_archE1200ELNS1_3gpuE4ELNS1_3repE0EEENS1_60segmented_radix_sort_warp_sort_medium_config_static_selectorELNS0_4arch9wavefront6targetE1EEEvSK_,"axG",@progbits,_ZN7rocprim17ROCPRIM_400000_NS6detail17trampoline_kernelINS0_14default_configENS1_36segmented_radix_sort_config_selectorIhlEEZNS1_25segmented_radix_sort_implIS3_Lb0EPKhPhPKlPlN2at6native12_GLOBAL__N_18offset_tEEE10hipError_tPvRmT1_PNSt15iterator_traitsISK_E10value_typeET2_T3_PNSL_ISQ_E10value_typeET4_jRbjT5_SW_jjP12ihipStream_tbEUlT_E0_NS1_11comp_targetILNS1_3genE10ELNS1_11target_archE1200ELNS1_3gpuE4ELNS1_3repE0EEENS1_60segmented_radix_sort_warp_sort_medium_config_static_selectorELNS0_4arch9wavefront6targetE1EEEvSK_,comdat
.Lfunc_end203:
	.size	_ZN7rocprim17ROCPRIM_400000_NS6detail17trampoline_kernelINS0_14default_configENS1_36segmented_radix_sort_config_selectorIhlEEZNS1_25segmented_radix_sort_implIS3_Lb0EPKhPhPKlPlN2at6native12_GLOBAL__N_18offset_tEEE10hipError_tPvRmT1_PNSt15iterator_traitsISK_E10value_typeET2_T3_PNSL_ISQ_E10value_typeET4_jRbjT5_SW_jjP12ihipStream_tbEUlT_E0_NS1_11comp_targetILNS1_3genE10ELNS1_11target_archE1200ELNS1_3gpuE4ELNS1_3repE0EEENS1_60segmented_radix_sort_warp_sort_medium_config_static_selectorELNS0_4arch9wavefront6targetE1EEEvSK_, .Lfunc_end203-_ZN7rocprim17ROCPRIM_400000_NS6detail17trampoline_kernelINS0_14default_configENS1_36segmented_radix_sort_config_selectorIhlEEZNS1_25segmented_radix_sort_implIS3_Lb0EPKhPhPKlPlN2at6native12_GLOBAL__N_18offset_tEEE10hipError_tPvRmT1_PNSt15iterator_traitsISK_E10value_typeET2_T3_PNSL_ISQ_E10value_typeET4_jRbjT5_SW_jjP12ihipStream_tbEUlT_E0_NS1_11comp_targetILNS1_3genE10ELNS1_11target_archE1200ELNS1_3gpuE4ELNS1_3repE0EEENS1_60segmented_radix_sort_warp_sort_medium_config_static_selectorELNS0_4arch9wavefront6targetE1EEEvSK_
                                        ; -- End function
	.set _ZN7rocprim17ROCPRIM_400000_NS6detail17trampoline_kernelINS0_14default_configENS1_36segmented_radix_sort_config_selectorIhlEEZNS1_25segmented_radix_sort_implIS3_Lb0EPKhPhPKlPlN2at6native12_GLOBAL__N_18offset_tEEE10hipError_tPvRmT1_PNSt15iterator_traitsISK_E10value_typeET2_T3_PNSL_ISQ_E10value_typeET4_jRbjT5_SW_jjP12ihipStream_tbEUlT_E0_NS1_11comp_targetILNS1_3genE10ELNS1_11target_archE1200ELNS1_3gpuE4ELNS1_3repE0EEENS1_60segmented_radix_sort_warp_sort_medium_config_static_selectorELNS0_4arch9wavefront6targetE1EEEvSK_.num_vgpr, 0
	.set _ZN7rocprim17ROCPRIM_400000_NS6detail17trampoline_kernelINS0_14default_configENS1_36segmented_radix_sort_config_selectorIhlEEZNS1_25segmented_radix_sort_implIS3_Lb0EPKhPhPKlPlN2at6native12_GLOBAL__N_18offset_tEEE10hipError_tPvRmT1_PNSt15iterator_traitsISK_E10value_typeET2_T3_PNSL_ISQ_E10value_typeET4_jRbjT5_SW_jjP12ihipStream_tbEUlT_E0_NS1_11comp_targetILNS1_3genE10ELNS1_11target_archE1200ELNS1_3gpuE4ELNS1_3repE0EEENS1_60segmented_radix_sort_warp_sort_medium_config_static_selectorELNS0_4arch9wavefront6targetE1EEEvSK_.num_agpr, 0
	.set _ZN7rocprim17ROCPRIM_400000_NS6detail17trampoline_kernelINS0_14default_configENS1_36segmented_radix_sort_config_selectorIhlEEZNS1_25segmented_radix_sort_implIS3_Lb0EPKhPhPKlPlN2at6native12_GLOBAL__N_18offset_tEEE10hipError_tPvRmT1_PNSt15iterator_traitsISK_E10value_typeET2_T3_PNSL_ISQ_E10value_typeET4_jRbjT5_SW_jjP12ihipStream_tbEUlT_E0_NS1_11comp_targetILNS1_3genE10ELNS1_11target_archE1200ELNS1_3gpuE4ELNS1_3repE0EEENS1_60segmented_radix_sort_warp_sort_medium_config_static_selectorELNS0_4arch9wavefront6targetE1EEEvSK_.numbered_sgpr, 0
	.set _ZN7rocprim17ROCPRIM_400000_NS6detail17trampoline_kernelINS0_14default_configENS1_36segmented_radix_sort_config_selectorIhlEEZNS1_25segmented_radix_sort_implIS3_Lb0EPKhPhPKlPlN2at6native12_GLOBAL__N_18offset_tEEE10hipError_tPvRmT1_PNSt15iterator_traitsISK_E10value_typeET2_T3_PNSL_ISQ_E10value_typeET4_jRbjT5_SW_jjP12ihipStream_tbEUlT_E0_NS1_11comp_targetILNS1_3genE10ELNS1_11target_archE1200ELNS1_3gpuE4ELNS1_3repE0EEENS1_60segmented_radix_sort_warp_sort_medium_config_static_selectorELNS0_4arch9wavefront6targetE1EEEvSK_.num_named_barrier, 0
	.set _ZN7rocprim17ROCPRIM_400000_NS6detail17trampoline_kernelINS0_14default_configENS1_36segmented_radix_sort_config_selectorIhlEEZNS1_25segmented_radix_sort_implIS3_Lb0EPKhPhPKlPlN2at6native12_GLOBAL__N_18offset_tEEE10hipError_tPvRmT1_PNSt15iterator_traitsISK_E10value_typeET2_T3_PNSL_ISQ_E10value_typeET4_jRbjT5_SW_jjP12ihipStream_tbEUlT_E0_NS1_11comp_targetILNS1_3genE10ELNS1_11target_archE1200ELNS1_3gpuE4ELNS1_3repE0EEENS1_60segmented_radix_sort_warp_sort_medium_config_static_selectorELNS0_4arch9wavefront6targetE1EEEvSK_.private_seg_size, 0
	.set _ZN7rocprim17ROCPRIM_400000_NS6detail17trampoline_kernelINS0_14default_configENS1_36segmented_radix_sort_config_selectorIhlEEZNS1_25segmented_radix_sort_implIS3_Lb0EPKhPhPKlPlN2at6native12_GLOBAL__N_18offset_tEEE10hipError_tPvRmT1_PNSt15iterator_traitsISK_E10value_typeET2_T3_PNSL_ISQ_E10value_typeET4_jRbjT5_SW_jjP12ihipStream_tbEUlT_E0_NS1_11comp_targetILNS1_3genE10ELNS1_11target_archE1200ELNS1_3gpuE4ELNS1_3repE0EEENS1_60segmented_radix_sort_warp_sort_medium_config_static_selectorELNS0_4arch9wavefront6targetE1EEEvSK_.uses_vcc, 0
	.set _ZN7rocprim17ROCPRIM_400000_NS6detail17trampoline_kernelINS0_14default_configENS1_36segmented_radix_sort_config_selectorIhlEEZNS1_25segmented_radix_sort_implIS3_Lb0EPKhPhPKlPlN2at6native12_GLOBAL__N_18offset_tEEE10hipError_tPvRmT1_PNSt15iterator_traitsISK_E10value_typeET2_T3_PNSL_ISQ_E10value_typeET4_jRbjT5_SW_jjP12ihipStream_tbEUlT_E0_NS1_11comp_targetILNS1_3genE10ELNS1_11target_archE1200ELNS1_3gpuE4ELNS1_3repE0EEENS1_60segmented_radix_sort_warp_sort_medium_config_static_selectorELNS0_4arch9wavefront6targetE1EEEvSK_.uses_flat_scratch, 0
	.set _ZN7rocprim17ROCPRIM_400000_NS6detail17trampoline_kernelINS0_14default_configENS1_36segmented_radix_sort_config_selectorIhlEEZNS1_25segmented_radix_sort_implIS3_Lb0EPKhPhPKlPlN2at6native12_GLOBAL__N_18offset_tEEE10hipError_tPvRmT1_PNSt15iterator_traitsISK_E10value_typeET2_T3_PNSL_ISQ_E10value_typeET4_jRbjT5_SW_jjP12ihipStream_tbEUlT_E0_NS1_11comp_targetILNS1_3genE10ELNS1_11target_archE1200ELNS1_3gpuE4ELNS1_3repE0EEENS1_60segmented_radix_sort_warp_sort_medium_config_static_selectorELNS0_4arch9wavefront6targetE1EEEvSK_.has_dyn_sized_stack, 0
	.set _ZN7rocprim17ROCPRIM_400000_NS6detail17trampoline_kernelINS0_14default_configENS1_36segmented_radix_sort_config_selectorIhlEEZNS1_25segmented_radix_sort_implIS3_Lb0EPKhPhPKlPlN2at6native12_GLOBAL__N_18offset_tEEE10hipError_tPvRmT1_PNSt15iterator_traitsISK_E10value_typeET2_T3_PNSL_ISQ_E10value_typeET4_jRbjT5_SW_jjP12ihipStream_tbEUlT_E0_NS1_11comp_targetILNS1_3genE10ELNS1_11target_archE1200ELNS1_3gpuE4ELNS1_3repE0EEENS1_60segmented_radix_sort_warp_sort_medium_config_static_selectorELNS0_4arch9wavefront6targetE1EEEvSK_.has_recursion, 0
	.set _ZN7rocprim17ROCPRIM_400000_NS6detail17trampoline_kernelINS0_14default_configENS1_36segmented_radix_sort_config_selectorIhlEEZNS1_25segmented_radix_sort_implIS3_Lb0EPKhPhPKlPlN2at6native12_GLOBAL__N_18offset_tEEE10hipError_tPvRmT1_PNSt15iterator_traitsISK_E10value_typeET2_T3_PNSL_ISQ_E10value_typeET4_jRbjT5_SW_jjP12ihipStream_tbEUlT_E0_NS1_11comp_targetILNS1_3genE10ELNS1_11target_archE1200ELNS1_3gpuE4ELNS1_3repE0EEENS1_60segmented_radix_sort_warp_sort_medium_config_static_selectorELNS0_4arch9wavefront6targetE1EEEvSK_.has_indirect_call, 0
	.section	.AMDGPU.csdata,"",@progbits
; Kernel info:
; codeLenInByte = 0
; TotalNumSgprs: 4
; NumVgprs: 0
; ScratchSize: 0
; MemoryBound: 0
; FloatMode: 240
; IeeeMode: 1
; LDSByteSize: 0 bytes/workgroup (compile time only)
; SGPRBlocks: 0
; VGPRBlocks: 0
; NumSGPRsForWavesPerEU: 4
; NumVGPRsForWavesPerEU: 1
; Occupancy: 10
; WaveLimiterHint : 0
; COMPUTE_PGM_RSRC2:SCRATCH_EN: 0
; COMPUTE_PGM_RSRC2:USER_SGPR: 6
; COMPUTE_PGM_RSRC2:TRAP_HANDLER: 0
; COMPUTE_PGM_RSRC2:TGID_X_EN: 1
; COMPUTE_PGM_RSRC2:TGID_Y_EN: 0
; COMPUTE_PGM_RSRC2:TGID_Z_EN: 0
; COMPUTE_PGM_RSRC2:TIDIG_COMP_CNT: 0
	.section	.text._ZN7rocprim17ROCPRIM_400000_NS6detail17trampoline_kernelINS0_14default_configENS1_36segmented_radix_sort_config_selectorIhlEEZNS1_25segmented_radix_sort_implIS3_Lb0EPKhPhPKlPlN2at6native12_GLOBAL__N_18offset_tEEE10hipError_tPvRmT1_PNSt15iterator_traitsISK_E10value_typeET2_T3_PNSL_ISQ_E10value_typeET4_jRbjT5_SW_jjP12ihipStream_tbEUlT_E0_NS1_11comp_targetILNS1_3genE9ELNS1_11target_archE1100ELNS1_3gpuE3ELNS1_3repE0EEENS1_60segmented_radix_sort_warp_sort_medium_config_static_selectorELNS0_4arch9wavefront6targetE1EEEvSK_,"axG",@progbits,_ZN7rocprim17ROCPRIM_400000_NS6detail17trampoline_kernelINS0_14default_configENS1_36segmented_radix_sort_config_selectorIhlEEZNS1_25segmented_radix_sort_implIS3_Lb0EPKhPhPKlPlN2at6native12_GLOBAL__N_18offset_tEEE10hipError_tPvRmT1_PNSt15iterator_traitsISK_E10value_typeET2_T3_PNSL_ISQ_E10value_typeET4_jRbjT5_SW_jjP12ihipStream_tbEUlT_E0_NS1_11comp_targetILNS1_3genE9ELNS1_11target_archE1100ELNS1_3gpuE3ELNS1_3repE0EEENS1_60segmented_radix_sort_warp_sort_medium_config_static_selectorELNS0_4arch9wavefront6targetE1EEEvSK_,comdat
	.globl	_ZN7rocprim17ROCPRIM_400000_NS6detail17trampoline_kernelINS0_14default_configENS1_36segmented_radix_sort_config_selectorIhlEEZNS1_25segmented_radix_sort_implIS3_Lb0EPKhPhPKlPlN2at6native12_GLOBAL__N_18offset_tEEE10hipError_tPvRmT1_PNSt15iterator_traitsISK_E10value_typeET2_T3_PNSL_ISQ_E10value_typeET4_jRbjT5_SW_jjP12ihipStream_tbEUlT_E0_NS1_11comp_targetILNS1_3genE9ELNS1_11target_archE1100ELNS1_3gpuE3ELNS1_3repE0EEENS1_60segmented_radix_sort_warp_sort_medium_config_static_selectorELNS0_4arch9wavefront6targetE1EEEvSK_ ; -- Begin function _ZN7rocprim17ROCPRIM_400000_NS6detail17trampoline_kernelINS0_14default_configENS1_36segmented_radix_sort_config_selectorIhlEEZNS1_25segmented_radix_sort_implIS3_Lb0EPKhPhPKlPlN2at6native12_GLOBAL__N_18offset_tEEE10hipError_tPvRmT1_PNSt15iterator_traitsISK_E10value_typeET2_T3_PNSL_ISQ_E10value_typeET4_jRbjT5_SW_jjP12ihipStream_tbEUlT_E0_NS1_11comp_targetILNS1_3genE9ELNS1_11target_archE1100ELNS1_3gpuE3ELNS1_3repE0EEENS1_60segmented_radix_sort_warp_sort_medium_config_static_selectorELNS0_4arch9wavefront6targetE1EEEvSK_
	.p2align	8
	.type	_ZN7rocprim17ROCPRIM_400000_NS6detail17trampoline_kernelINS0_14default_configENS1_36segmented_radix_sort_config_selectorIhlEEZNS1_25segmented_radix_sort_implIS3_Lb0EPKhPhPKlPlN2at6native12_GLOBAL__N_18offset_tEEE10hipError_tPvRmT1_PNSt15iterator_traitsISK_E10value_typeET2_T3_PNSL_ISQ_E10value_typeET4_jRbjT5_SW_jjP12ihipStream_tbEUlT_E0_NS1_11comp_targetILNS1_3genE9ELNS1_11target_archE1100ELNS1_3gpuE3ELNS1_3repE0EEENS1_60segmented_radix_sort_warp_sort_medium_config_static_selectorELNS0_4arch9wavefront6targetE1EEEvSK_,@function
_ZN7rocprim17ROCPRIM_400000_NS6detail17trampoline_kernelINS0_14default_configENS1_36segmented_radix_sort_config_selectorIhlEEZNS1_25segmented_radix_sort_implIS3_Lb0EPKhPhPKlPlN2at6native12_GLOBAL__N_18offset_tEEE10hipError_tPvRmT1_PNSt15iterator_traitsISK_E10value_typeET2_T3_PNSL_ISQ_E10value_typeET4_jRbjT5_SW_jjP12ihipStream_tbEUlT_E0_NS1_11comp_targetILNS1_3genE9ELNS1_11target_archE1100ELNS1_3gpuE3ELNS1_3repE0EEENS1_60segmented_radix_sort_warp_sort_medium_config_static_selectorELNS0_4arch9wavefront6targetE1EEEvSK_: ; @_ZN7rocprim17ROCPRIM_400000_NS6detail17trampoline_kernelINS0_14default_configENS1_36segmented_radix_sort_config_selectorIhlEEZNS1_25segmented_radix_sort_implIS3_Lb0EPKhPhPKlPlN2at6native12_GLOBAL__N_18offset_tEEE10hipError_tPvRmT1_PNSt15iterator_traitsISK_E10value_typeET2_T3_PNSL_ISQ_E10value_typeET4_jRbjT5_SW_jjP12ihipStream_tbEUlT_E0_NS1_11comp_targetILNS1_3genE9ELNS1_11target_archE1100ELNS1_3gpuE3ELNS1_3repE0EEENS1_60segmented_radix_sort_warp_sort_medium_config_static_selectorELNS0_4arch9wavefront6targetE1EEEvSK_
; %bb.0:
	.section	.rodata,"a",@progbits
	.p2align	6, 0x0
	.amdhsa_kernel _ZN7rocprim17ROCPRIM_400000_NS6detail17trampoline_kernelINS0_14default_configENS1_36segmented_radix_sort_config_selectorIhlEEZNS1_25segmented_radix_sort_implIS3_Lb0EPKhPhPKlPlN2at6native12_GLOBAL__N_18offset_tEEE10hipError_tPvRmT1_PNSt15iterator_traitsISK_E10value_typeET2_T3_PNSL_ISQ_E10value_typeET4_jRbjT5_SW_jjP12ihipStream_tbEUlT_E0_NS1_11comp_targetILNS1_3genE9ELNS1_11target_archE1100ELNS1_3gpuE3ELNS1_3repE0EEENS1_60segmented_radix_sort_warp_sort_medium_config_static_selectorELNS0_4arch9wavefront6targetE1EEEvSK_
		.amdhsa_group_segment_fixed_size 0
		.amdhsa_private_segment_fixed_size 0
		.amdhsa_kernarg_size 88
		.amdhsa_user_sgpr_count 6
		.amdhsa_user_sgpr_private_segment_buffer 1
		.amdhsa_user_sgpr_dispatch_ptr 0
		.amdhsa_user_sgpr_queue_ptr 0
		.amdhsa_user_sgpr_kernarg_segment_ptr 1
		.amdhsa_user_sgpr_dispatch_id 0
		.amdhsa_user_sgpr_flat_scratch_init 0
		.amdhsa_user_sgpr_private_segment_size 0
		.amdhsa_uses_dynamic_stack 0
		.amdhsa_system_sgpr_private_segment_wavefront_offset 0
		.amdhsa_system_sgpr_workgroup_id_x 1
		.amdhsa_system_sgpr_workgroup_id_y 0
		.amdhsa_system_sgpr_workgroup_id_z 0
		.amdhsa_system_sgpr_workgroup_info 0
		.amdhsa_system_vgpr_workitem_id 0
		.amdhsa_next_free_vgpr 1
		.amdhsa_next_free_sgpr 0
		.amdhsa_reserve_vcc 0
		.amdhsa_reserve_flat_scratch 0
		.amdhsa_float_round_mode_32 0
		.amdhsa_float_round_mode_16_64 0
		.amdhsa_float_denorm_mode_32 3
		.amdhsa_float_denorm_mode_16_64 3
		.amdhsa_dx10_clamp 1
		.amdhsa_ieee_mode 1
		.amdhsa_fp16_overflow 0
		.amdhsa_exception_fp_ieee_invalid_op 0
		.amdhsa_exception_fp_denorm_src 0
		.amdhsa_exception_fp_ieee_div_zero 0
		.amdhsa_exception_fp_ieee_overflow 0
		.amdhsa_exception_fp_ieee_underflow 0
		.amdhsa_exception_fp_ieee_inexact 0
		.amdhsa_exception_int_div_zero 0
	.end_amdhsa_kernel
	.section	.text._ZN7rocprim17ROCPRIM_400000_NS6detail17trampoline_kernelINS0_14default_configENS1_36segmented_radix_sort_config_selectorIhlEEZNS1_25segmented_radix_sort_implIS3_Lb0EPKhPhPKlPlN2at6native12_GLOBAL__N_18offset_tEEE10hipError_tPvRmT1_PNSt15iterator_traitsISK_E10value_typeET2_T3_PNSL_ISQ_E10value_typeET4_jRbjT5_SW_jjP12ihipStream_tbEUlT_E0_NS1_11comp_targetILNS1_3genE9ELNS1_11target_archE1100ELNS1_3gpuE3ELNS1_3repE0EEENS1_60segmented_radix_sort_warp_sort_medium_config_static_selectorELNS0_4arch9wavefront6targetE1EEEvSK_,"axG",@progbits,_ZN7rocprim17ROCPRIM_400000_NS6detail17trampoline_kernelINS0_14default_configENS1_36segmented_radix_sort_config_selectorIhlEEZNS1_25segmented_radix_sort_implIS3_Lb0EPKhPhPKlPlN2at6native12_GLOBAL__N_18offset_tEEE10hipError_tPvRmT1_PNSt15iterator_traitsISK_E10value_typeET2_T3_PNSL_ISQ_E10value_typeET4_jRbjT5_SW_jjP12ihipStream_tbEUlT_E0_NS1_11comp_targetILNS1_3genE9ELNS1_11target_archE1100ELNS1_3gpuE3ELNS1_3repE0EEENS1_60segmented_radix_sort_warp_sort_medium_config_static_selectorELNS0_4arch9wavefront6targetE1EEEvSK_,comdat
.Lfunc_end204:
	.size	_ZN7rocprim17ROCPRIM_400000_NS6detail17trampoline_kernelINS0_14default_configENS1_36segmented_radix_sort_config_selectorIhlEEZNS1_25segmented_radix_sort_implIS3_Lb0EPKhPhPKlPlN2at6native12_GLOBAL__N_18offset_tEEE10hipError_tPvRmT1_PNSt15iterator_traitsISK_E10value_typeET2_T3_PNSL_ISQ_E10value_typeET4_jRbjT5_SW_jjP12ihipStream_tbEUlT_E0_NS1_11comp_targetILNS1_3genE9ELNS1_11target_archE1100ELNS1_3gpuE3ELNS1_3repE0EEENS1_60segmented_radix_sort_warp_sort_medium_config_static_selectorELNS0_4arch9wavefront6targetE1EEEvSK_, .Lfunc_end204-_ZN7rocprim17ROCPRIM_400000_NS6detail17trampoline_kernelINS0_14default_configENS1_36segmented_radix_sort_config_selectorIhlEEZNS1_25segmented_radix_sort_implIS3_Lb0EPKhPhPKlPlN2at6native12_GLOBAL__N_18offset_tEEE10hipError_tPvRmT1_PNSt15iterator_traitsISK_E10value_typeET2_T3_PNSL_ISQ_E10value_typeET4_jRbjT5_SW_jjP12ihipStream_tbEUlT_E0_NS1_11comp_targetILNS1_3genE9ELNS1_11target_archE1100ELNS1_3gpuE3ELNS1_3repE0EEENS1_60segmented_radix_sort_warp_sort_medium_config_static_selectorELNS0_4arch9wavefront6targetE1EEEvSK_
                                        ; -- End function
	.set _ZN7rocprim17ROCPRIM_400000_NS6detail17trampoline_kernelINS0_14default_configENS1_36segmented_radix_sort_config_selectorIhlEEZNS1_25segmented_radix_sort_implIS3_Lb0EPKhPhPKlPlN2at6native12_GLOBAL__N_18offset_tEEE10hipError_tPvRmT1_PNSt15iterator_traitsISK_E10value_typeET2_T3_PNSL_ISQ_E10value_typeET4_jRbjT5_SW_jjP12ihipStream_tbEUlT_E0_NS1_11comp_targetILNS1_3genE9ELNS1_11target_archE1100ELNS1_3gpuE3ELNS1_3repE0EEENS1_60segmented_radix_sort_warp_sort_medium_config_static_selectorELNS0_4arch9wavefront6targetE1EEEvSK_.num_vgpr, 0
	.set _ZN7rocprim17ROCPRIM_400000_NS6detail17trampoline_kernelINS0_14default_configENS1_36segmented_radix_sort_config_selectorIhlEEZNS1_25segmented_radix_sort_implIS3_Lb0EPKhPhPKlPlN2at6native12_GLOBAL__N_18offset_tEEE10hipError_tPvRmT1_PNSt15iterator_traitsISK_E10value_typeET2_T3_PNSL_ISQ_E10value_typeET4_jRbjT5_SW_jjP12ihipStream_tbEUlT_E0_NS1_11comp_targetILNS1_3genE9ELNS1_11target_archE1100ELNS1_3gpuE3ELNS1_3repE0EEENS1_60segmented_radix_sort_warp_sort_medium_config_static_selectorELNS0_4arch9wavefront6targetE1EEEvSK_.num_agpr, 0
	.set _ZN7rocprim17ROCPRIM_400000_NS6detail17trampoline_kernelINS0_14default_configENS1_36segmented_radix_sort_config_selectorIhlEEZNS1_25segmented_radix_sort_implIS3_Lb0EPKhPhPKlPlN2at6native12_GLOBAL__N_18offset_tEEE10hipError_tPvRmT1_PNSt15iterator_traitsISK_E10value_typeET2_T3_PNSL_ISQ_E10value_typeET4_jRbjT5_SW_jjP12ihipStream_tbEUlT_E0_NS1_11comp_targetILNS1_3genE9ELNS1_11target_archE1100ELNS1_3gpuE3ELNS1_3repE0EEENS1_60segmented_radix_sort_warp_sort_medium_config_static_selectorELNS0_4arch9wavefront6targetE1EEEvSK_.numbered_sgpr, 0
	.set _ZN7rocprim17ROCPRIM_400000_NS6detail17trampoline_kernelINS0_14default_configENS1_36segmented_radix_sort_config_selectorIhlEEZNS1_25segmented_radix_sort_implIS3_Lb0EPKhPhPKlPlN2at6native12_GLOBAL__N_18offset_tEEE10hipError_tPvRmT1_PNSt15iterator_traitsISK_E10value_typeET2_T3_PNSL_ISQ_E10value_typeET4_jRbjT5_SW_jjP12ihipStream_tbEUlT_E0_NS1_11comp_targetILNS1_3genE9ELNS1_11target_archE1100ELNS1_3gpuE3ELNS1_3repE0EEENS1_60segmented_radix_sort_warp_sort_medium_config_static_selectorELNS0_4arch9wavefront6targetE1EEEvSK_.num_named_barrier, 0
	.set _ZN7rocprim17ROCPRIM_400000_NS6detail17trampoline_kernelINS0_14default_configENS1_36segmented_radix_sort_config_selectorIhlEEZNS1_25segmented_radix_sort_implIS3_Lb0EPKhPhPKlPlN2at6native12_GLOBAL__N_18offset_tEEE10hipError_tPvRmT1_PNSt15iterator_traitsISK_E10value_typeET2_T3_PNSL_ISQ_E10value_typeET4_jRbjT5_SW_jjP12ihipStream_tbEUlT_E0_NS1_11comp_targetILNS1_3genE9ELNS1_11target_archE1100ELNS1_3gpuE3ELNS1_3repE0EEENS1_60segmented_radix_sort_warp_sort_medium_config_static_selectorELNS0_4arch9wavefront6targetE1EEEvSK_.private_seg_size, 0
	.set _ZN7rocprim17ROCPRIM_400000_NS6detail17trampoline_kernelINS0_14default_configENS1_36segmented_radix_sort_config_selectorIhlEEZNS1_25segmented_radix_sort_implIS3_Lb0EPKhPhPKlPlN2at6native12_GLOBAL__N_18offset_tEEE10hipError_tPvRmT1_PNSt15iterator_traitsISK_E10value_typeET2_T3_PNSL_ISQ_E10value_typeET4_jRbjT5_SW_jjP12ihipStream_tbEUlT_E0_NS1_11comp_targetILNS1_3genE9ELNS1_11target_archE1100ELNS1_3gpuE3ELNS1_3repE0EEENS1_60segmented_radix_sort_warp_sort_medium_config_static_selectorELNS0_4arch9wavefront6targetE1EEEvSK_.uses_vcc, 0
	.set _ZN7rocprim17ROCPRIM_400000_NS6detail17trampoline_kernelINS0_14default_configENS1_36segmented_radix_sort_config_selectorIhlEEZNS1_25segmented_radix_sort_implIS3_Lb0EPKhPhPKlPlN2at6native12_GLOBAL__N_18offset_tEEE10hipError_tPvRmT1_PNSt15iterator_traitsISK_E10value_typeET2_T3_PNSL_ISQ_E10value_typeET4_jRbjT5_SW_jjP12ihipStream_tbEUlT_E0_NS1_11comp_targetILNS1_3genE9ELNS1_11target_archE1100ELNS1_3gpuE3ELNS1_3repE0EEENS1_60segmented_radix_sort_warp_sort_medium_config_static_selectorELNS0_4arch9wavefront6targetE1EEEvSK_.uses_flat_scratch, 0
	.set _ZN7rocprim17ROCPRIM_400000_NS6detail17trampoline_kernelINS0_14default_configENS1_36segmented_radix_sort_config_selectorIhlEEZNS1_25segmented_radix_sort_implIS3_Lb0EPKhPhPKlPlN2at6native12_GLOBAL__N_18offset_tEEE10hipError_tPvRmT1_PNSt15iterator_traitsISK_E10value_typeET2_T3_PNSL_ISQ_E10value_typeET4_jRbjT5_SW_jjP12ihipStream_tbEUlT_E0_NS1_11comp_targetILNS1_3genE9ELNS1_11target_archE1100ELNS1_3gpuE3ELNS1_3repE0EEENS1_60segmented_radix_sort_warp_sort_medium_config_static_selectorELNS0_4arch9wavefront6targetE1EEEvSK_.has_dyn_sized_stack, 0
	.set _ZN7rocprim17ROCPRIM_400000_NS6detail17trampoline_kernelINS0_14default_configENS1_36segmented_radix_sort_config_selectorIhlEEZNS1_25segmented_radix_sort_implIS3_Lb0EPKhPhPKlPlN2at6native12_GLOBAL__N_18offset_tEEE10hipError_tPvRmT1_PNSt15iterator_traitsISK_E10value_typeET2_T3_PNSL_ISQ_E10value_typeET4_jRbjT5_SW_jjP12ihipStream_tbEUlT_E0_NS1_11comp_targetILNS1_3genE9ELNS1_11target_archE1100ELNS1_3gpuE3ELNS1_3repE0EEENS1_60segmented_radix_sort_warp_sort_medium_config_static_selectorELNS0_4arch9wavefront6targetE1EEEvSK_.has_recursion, 0
	.set _ZN7rocprim17ROCPRIM_400000_NS6detail17trampoline_kernelINS0_14default_configENS1_36segmented_radix_sort_config_selectorIhlEEZNS1_25segmented_radix_sort_implIS3_Lb0EPKhPhPKlPlN2at6native12_GLOBAL__N_18offset_tEEE10hipError_tPvRmT1_PNSt15iterator_traitsISK_E10value_typeET2_T3_PNSL_ISQ_E10value_typeET4_jRbjT5_SW_jjP12ihipStream_tbEUlT_E0_NS1_11comp_targetILNS1_3genE9ELNS1_11target_archE1100ELNS1_3gpuE3ELNS1_3repE0EEENS1_60segmented_radix_sort_warp_sort_medium_config_static_selectorELNS0_4arch9wavefront6targetE1EEEvSK_.has_indirect_call, 0
	.section	.AMDGPU.csdata,"",@progbits
; Kernel info:
; codeLenInByte = 0
; TotalNumSgprs: 4
; NumVgprs: 0
; ScratchSize: 0
; MemoryBound: 0
; FloatMode: 240
; IeeeMode: 1
; LDSByteSize: 0 bytes/workgroup (compile time only)
; SGPRBlocks: 0
; VGPRBlocks: 0
; NumSGPRsForWavesPerEU: 4
; NumVGPRsForWavesPerEU: 1
; Occupancy: 10
; WaveLimiterHint : 0
; COMPUTE_PGM_RSRC2:SCRATCH_EN: 0
; COMPUTE_PGM_RSRC2:USER_SGPR: 6
; COMPUTE_PGM_RSRC2:TRAP_HANDLER: 0
; COMPUTE_PGM_RSRC2:TGID_X_EN: 1
; COMPUTE_PGM_RSRC2:TGID_Y_EN: 0
; COMPUTE_PGM_RSRC2:TGID_Z_EN: 0
; COMPUTE_PGM_RSRC2:TIDIG_COMP_CNT: 0
	.section	.text._ZN7rocprim17ROCPRIM_400000_NS6detail17trampoline_kernelINS0_14default_configENS1_36segmented_radix_sort_config_selectorIhlEEZNS1_25segmented_radix_sort_implIS3_Lb0EPKhPhPKlPlN2at6native12_GLOBAL__N_18offset_tEEE10hipError_tPvRmT1_PNSt15iterator_traitsISK_E10value_typeET2_T3_PNSL_ISQ_E10value_typeET4_jRbjT5_SW_jjP12ihipStream_tbEUlT_E0_NS1_11comp_targetILNS1_3genE8ELNS1_11target_archE1030ELNS1_3gpuE2ELNS1_3repE0EEENS1_60segmented_radix_sort_warp_sort_medium_config_static_selectorELNS0_4arch9wavefront6targetE1EEEvSK_,"axG",@progbits,_ZN7rocprim17ROCPRIM_400000_NS6detail17trampoline_kernelINS0_14default_configENS1_36segmented_radix_sort_config_selectorIhlEEZNS1_25segmented_radix_sort_implIS3_Lb0EPKhPhPKlPlN2at6native12_GLOBAL__N_18offset_tEEE10hipError_tPvRmT1_PNSt15iterator_traitsISK_E10value_typeET2_T3_PNSL_ISQ_E10value_typeET4_jRbjT5_SW_jjP12ihipStream_tbEUlT_E0_NS1_11comp_targetILNS1_3genE8ELNS1_11target_archE1030ELNS1_3gpuE2ELNS1_3repE0EEENS1_60segmented_radix_sort_warp_sort_medium_config_static_selectorELNS0_4arch9wavefront6targetE1EEEvSK_,comdat
	.globl	_ZN7rocprim17ROCPRIM_400000_NS6detail17trampoline_kernelINS0_14default_configENS1_36segmented_radix_sort_config_selectorIhlEEZNS1_25segmented_radix_sort_implIS3_Lb0EPKhPhPKlPlN2at6native12_GLOBAL__N_18offset_tEEE10hipError_tPvRmT1_PNSt15iterator_traitsISK_E10value_typeET2_T3_PNSL_ISQ_E10value_typeET4_jRbjT5_SW_jjP12ihipStream_tbEUlT_E0_NS1_11comp_targetILNS1_3genE8ELNS1_11target_archE1030ELNS1_3gpuE2ELNS1_3repE0EEENS1_60segmented_radix_sort_warp_sort_medium_config_static_selectorELNS0_4arch9wavefront6targetE1EEEvSK_ ; -- Begin function _ZN7rocprim17ROCPRIM_400000_NS6detail17trampoline_kernelINS0_14default_configENS1_36segmented_radix_sort_config_selectorIhlEEZNS1_25segmented_radix_sort_implIS3_Lb0EPKhPhPKlPlN2at6native12_GLOBAL__N_18offset_tEEE10hipError_tPvRmT1_PNSt15iterator_traitsISK_E10value_typeET2_T3_PNSL_ISQ_E10value_typeET4_jRbjT5_SW_jjP12ihipStream_tbEUlT_E0_NS1_11comp_targetILNS1_3genE8ELNS1_11target_archE1030ELNS1_3gpuE2ELNS1_3repE0EEENS1_60segmented_radix_sort_warp_sort_medium_config_static_selectorELNS0_4arch9wavefront6targetE1EEEvSK_
	.p2align	8
	.type	_ZN7rocprim17ROCPRIM_400000_NS6detail17trampoline_kernelINS0_14default_configENS1_36segmented_radix_sort_config_selectorIhlEEZNS1_25segmented_radix_sort_implIS3_Lb0EPKhPhPKlPlN2at6native12_GLOBAL__N_18offset_tEEE10hipError_tPvRmT1_PNSt15iterator_traitsISK_E10value_typeET2_T3_PNSL_ISQ_E10value_typeET4_jRbjT5_SW_jjP12ihipStream_tbEUlT_E0_NS1_11comp_targetILNS1_3genE8ELNS1_11target_archE1030ELNS1_3gpuE2ELNS1_3repE0EEENS1_60segmented_radix_sort_warp_sort_medium_config_static_selectorELNS0_4arch9wavefront6targetE1EEEvSK_,@function
_ZN7rocprim17ROCPRIM_400000_NS6detail17trampoline_kernelINS0_14default_configENS1_36segmented_radix_sort_config_selectorIhlEEZNS1_25segmented_radix_sort_implIS3_Lb0EPKhPhPKlPlN2at6native12_GLOBAL__N_18offset_tEEE10hipError_tPvRmT1_PNSt15iterator_traitsISK_E10value_typeET2_T3_PNSL_ISQ_E10value_typeET4_jRbjT5_SW_jjP12ihipStream_tbEUlT_E0_NS1_11comp_targetILNS1_3genE8ELNS1_11target_archE1030ELNS1_3gpuE2ELNS1_3repE0EEENS1_60segmented_radix_sort_warp_sort_medium_config_static_selectorELNS0_4arch9wavefront6targetE1EEEvSK_: ; @_ZN7rocprim17ROCPRIM_400000_NS6detail17trampoline_kernelINS0_14default_configENS1_36segmented_radix_sort_config_selectorIhlEEZNS1_25segmented_radix_sort_implIS3_Lb0EPKhPhPKlPlN2at6native12_GLOBAL__N_18offset_tEEE10hipError_tPvRmT1_PNSt15iterator_traitsISK_E10value_typeET2_T3_PNSL_ISQ_E10value_typeET4_jRbjT5_SW_jjP12ihipStream_tbEUlT_E0_NS1_11comp_targetILNS1_3genE8ELNS1_11target_archE1030ELNS1_3gpuE2ELNS1_3repE0EEENS1_60segmented_radix_sort_warp_sort_medium_config_static_selectorELNS0_4arch9wavefront6targetE1EEEvSK_
; %bb.0:
	.section	.rodata,"a",@progbits
	.p2align	6, 0x0
	.amdhsa_kernel _ZN7rocprim17ROCPRIM_400000_NS6detail17trampoline_kernelINS0_14default_configENS1_36segmented_radix_sort_config_selectorIhlEEZNS1_25segmented_radix_sort_implIS3_Lb0EPKhPhPKlPlN2at6native12_GLOBAL__N_18offset_tEEE10hipError_tPvRmT1_PNSt15iterator_traitsISK_E10value_typeET2_T3_PNSL_ISQ_E10value_typeET4_jRbjT5_SW_jjP12ihipStream_tbEUlT_E0_NS1_11comp_targetILNS1_3genE8ELNS1_11target_archE1030ELNS1_3gpuE2ELNS1_3repE0EEENS1_60segmented_radix_sort_warp_sort_medium_config_static_selectorELNS0_4arch9wavefront6targetE1EEEvSK_
		.amdhsa_group_segment_fixed_size 0
		.amdhsa_private_segment_fixed_size 0
		.amdhsa_kernarg_size 88
		.amdhsa_user_sgpr_count 6
		.amdhsa_user_sgpr_private_segment_buffer 1
		.amdhsa_user_sgpr_dispatch_ptr 0
		.amdhsa_user_sgpr_queue_ptr 0
		.amdhsa_user_sgpr_kernarg_segment_ptr 1
		.amdhsa_user_sgpr_dispatch_id 0
		.amdhsa_user_sgpr_flat_scratch_init 0
		.amdhsa_user_sgpr_private_segment_size 0
		.amdhsa_uses_dynamic_stack 0
		.amdhsa_system_sgpr_private_segment_wavefront_offset 0
		.amdhsa_system_sgpr_workgroup_id_x 1
		.amdhsa_system_sgpr_workgroup_id_y 0
		.amdhsa_system_sgpr_workgroup_id_z 0
		.amdhsa_system_sgpr_workgroup_info 0
		.amdhsa_system_vgpr_workitem_id 0
		.amdhsa_next_free_vgpr 1
		.amdhsa_next_free_sgpr 0
		.amdhsa_reserve_vcc 0
		.amdhsa_reserve_flat_scratch 0
		.amdhsa_float_round_mode_32 0
		.amdhsa_float_round_mode_16_64 0
		.amdhsa_float_denorm_mode_32 3
		.amdhsa_float_denorm_mode_16_64 3
		.amdhsa_dx10_clamp 1
		.amdhsa_ieee_mode 1
		.amdhsa_fp16_overflow 0
		.amdhsa_exception_fp_ieee_invalid_op 0
		.amdhsa_exception_fp_denorm_src 0
		.amdhsa_exception_fp_ieee_div_zero 0
		.amdhsa_exception_fp_ieee_overflow 0
		.amdhsa_exception_fp_ieee_underflow 0
		.amdhsa_exception_fp_ieee_inexact 0
		.amdhsa_exception_int_div_zero 0
	.end_amdhsa_kernel
	.section	.text._ZN7rocprim17ROCPRIM_400000_NS6detail17trampoline_kernelINS0_14default_configENS1_36segmented_radix_sort_config_selectorIhlEEZNS1_25segmented_radix_sort_implIS3_Lb0EPKhPhPKlPlN2at6native12_GLOBAL__N_18offset_tEEE10hipError_tPvRmT1_PNSt15iterator_traitsISK_E10value_typeET2_T3_PNSL_ISQ_E10value_typeET4_jRbjT5_SW_jjP12ihipStream_tbEUlT_E0_NS1_11comp_targetILNS1_3genE8ELNS1_11target_archE1030ELNS1_3gpuE2ELNS1_3repE0EEENS1_60segmented_radix_sort_warp_sort_medium_config_static_selectorELNS0_4arch9wavefront6targetE1EEEvSK_,"axG",@progbits,_ZN7rocprim17ROCPRIM_400000_NS6detail17trampoline_kernelINS0_14default_configENS1_36segmented_radix_sort_config_selectorIhlEEZNS1_25segmented_radix_sort_implIS3_Lb0EPKhPhPKlPlN2at6native12_GLOBAL__N_18offset_tEEE10hipError_tPvRmT1_PNSt15iterator_traitsISK_E10value_typeET2_T3_PNSL_ISQ_E10value_typeET4_jRbjT5_SW_jjP12ihipStream_tbEUlT_E0_NS1_11comp_targetILNS1_3genE8ELNS1_11target_archE1030ELNS1_3gpuE2ELNS1_3repE0EEENS1_60segmented_radix_sort_warp_sort_medium_config_static_selectorELNS0_4arch9wavefront6targetE1EEEvSK_,comdat
.Lfunc_end205:
	.size	_ZN7rocprim17ROCPRIM_400000_NS6detail17trampoline_kernelINS0_14default_configENS1_36segmented_radix_sort_config_selectorIhlEEZNS1_25segmented_radix_sort_implIS3_Lb0EPKhPhPKlPlN2at6native12_GLOBAL__N_18offset_tEEE10hipError_tPvRmT1_PNSt15iterator_traitsISK_E10value_typeET2_T3_PNSL_ISQ_E10value_typeET4_jRbjT5_SW_jjP12ihipStream_tbEUlT_E0_NS1_11comp_targetILNS1_3genE8ELNS1_11target_archE1030ELNS1_3gpuE2ELNS1_3repE0EEENS1_60segmented_radix_sort_warp_sort_medium_config_static_selectorELNS0_4arch9wavefront6targetE1EEEvSK_, .Lfunc_end205-_ZN7rocprim17ROCPRIM_400000_NS6detail17trampoline_kernelINS0_14default_configENS1_36segmented_radix_sort_config_selectorIhlEEZNS1_25segmented_radix_sort_implIS3_Lb0EPKhPhPKlPlN2at6native12_GLOBAL__N_18offset_tEEE10hipError_tPvRmT1_PNSt15iterator_traitsISK_E10value_typeET2_T3_PNSL_ISQ_E10value_typeET4_jRbjT5_SW_jjP12ihipStream_tbEUlT_E0_NS1_11comp_targetILNS1_3genE8ELNS1_11target_archE1030ELNS1_3gpuE2ELNS1_3repE0EEENS1_60segmented_radix_sort_warp_sort_medium_config_static_selectorELNS0_4arch9wavefront6targetE1EEEvSK_
                                        ; -- End function
	.set _ZN7rocprim17ROCPRIM_400000_NS6detail17trampoline_kernelINS0_14default_configENS1_36segmented_radix_sort_config_selectorIhlEEZNS1_25segmented_radix_sort_implIS3_Lb0EPKhPhPKlPlN2at6native12_GLOBAL__N_18offset_tEEE10hipError_tPvRmT1_PNSt15iterator_traitsISK_E10value_typeET2_T3_PNSL_ISQ_E10value_typeET4_jRbjT5_SW_jjP12ihipStream_tbEUlT_E0_NS1_11comp_targetILNS1_3genE8ELNS1_11target_archE1030ELNS1_3gpuE2ELNS1_3repE0EEENS1_60segmented_radix_sort_warp_sort_medium_config_static_selectorELNS0_4arch9wavefront6targetE1EEEvSK_.num_vgpr, 0
	.set _ZN7rocprim17ROCPRIM_400000_NS6detail17trampoline_kernelINS0_14default_configENS1_36segmented_radix_sort_config_selectorIhlEEZNS1_25segmented_radix_sort_implIS3_Lb0EPKhPhPKlPlN2at6native12_GLOBAL__N_18offset_tEEE10hipError_tPvRmT1_PNSt15iterator_traitsISK_E10value_typeET2_T3_PNSL_ISQ_E10value_typeET4_jRbjT5_SW_jjP12ihipStream_tbEUlT_E0_NS1_11comp_targetILNS1_3genE8ELNS1_11target_archE1030ELNS1_3gpuE2ELNS1_3repE0EEENS1_60segmented_radix_sort_warp_sort_medium_config_static_selectorELNS0_4arch9wavefront6targetE1EEEvSK_.num_agpr, 0
	.set _ZN7rocprim17ROCPRIM_400000_NS6detail17trampoline_kernelINS0_14default_configENS1_36segmented_radix_sort_config_selectorIhlEEZNS1_25segmented_radix_sort_implIS3_Lb0EPKhPhPKlPlN2at6native12_GLOBAL__N_18offset_tEEE10hipError_tPvRmT1_PNSt15iterator_traitsISK_E10value_typeET2_T3_PNSL_ISQ_E10value_typeET4_jRbjT5_SW_jjP12ihipStream_tbEUlT_E0_NS1_11comp_targetILNS1_3genE8ELNS1_11target_archE1030ELNS1_3gpuE2ELNS1_3repE0EEENS1_60segmented_radix_sort_warp_sort_medium_config_static_selectorELNS0_4arch9wavefront6targetE1EEEvSK_.numbered_sgpr, 0
	.set _ZN7rocprim17ROCPRIM_400000_NS6detail17trampoline_kernelINS0_14default_configENS1_36segmented_radix_sort_config_selectorIhlEEZNS1_25segmented_radix_sort_implIS3_Lb0EPKhPhPKlPlN2at6native12_GLOBAL__N_18offset_tEEE10hipError_tPvRmT1_PNSt15iterator_traitsISK_E10value_typeET2_T3_PNSL_ISQ_E10value_typeET4_jRbjT5_SW_jjP12ihipStream_tbEUlT_E0_NS1_11comp_targetILNS1_3genE8ELNS1_11target_archE1030ELNS1_3gpuE2ELNS1_3repE0EEENS1_60segmented_radix_sort_warp_sort_medium_config_static_selectorELNS0_4arch9wavefront6targetE1EEEvSK_.num_named_barrier, 0
	.set _ZN7rocprim17ROCPRIM_400000_NS6detail17trampoline_kernelINS0_14default_configENS1_36segmented_radix_sort_config_selectorIhlEEZNS1_25segmented_radix_sort_implIS3_Lb0EPKhPhPKlPlN2at6native12_GLOBAL__N_18offset_tEEE10hipError_tPvRmT1_PNSt15iterator_traitsISK_E10value_typeET2_T3_PNSL_ISQ_E10value_typeET4_jRbjT5_SW_jjP12ihipStream_tbEUlT_E0_NS1_11comp_targetILNS1_3genE8ELNS1_11target_archE1030ELNS1_3gpuE2ELNS1_3repE0EEENS1_60segmented_radix_sort_warp_sort_medium_config_static_selectorELNS0_4arch9wavefront6targetE1EEEvSK_.private_seg_size, 0
	.set _ZN7rocprim17ROCPRIM_400000_NS6detail17trampoline_kernelINS0_14default_configENS1_36segmented_radix_sort_config_selectorIhlEEZNS1_25segmented_radix_sort_implIS3_Lb0EPKhPhPKlPlN2at6native12_GLOBAL__N_18offset_tEEE10hipError_tPvRmT1_PNSt15iterator_traitsISK_E10value_typeET2_T3_PNSL_ISQ_E10value_typeET4_jRbjT5_SW_jjP12ihipStream_tbEUlT_E0_NS1_11comp_targetILNS1_3genE8ELNS1_11target_archE1030ELNS1_3gpuE2ELNS1_3repE0EEENS1_60segmented_radix_sort_warp_sort_medium_config_static_selectorELNS0_4arch9wavefront6targetE1EEEvSK_.uses_vcc, 0
	.set _ZN7rocprim17ROCPRIM_400000_NS6detail17trampoline_kernelINS0_14default_configENS1_36segmented_radix_sort_config_selectorIhlEEZNS1_25segmented_radix_sort_implIS3_Lb0EPKhPhPKlPlN2at6native12_GLOBAL__N_18offset_tEEE10hipError_tPvRmT1_PNSt15iterator_traitsISK_E10value_typeET2_T3_PNSL_ISQ_E10value_typeET4_jRbjT5_SW_jjP12ihipStream_tbEUlT_E0_NS1_11comp_targetILNS1_3genE8ELNS1_11target_archE1030ELNS1_3gpuE2ELNS1_3repE0EEENS1_60segmented_radix_sort_warp_sort_medium_config_static_selectorELNS0_4arch9wavefront6targetE1EEEvSK_.uses_flat_scratch, 0
	.set _ZN7rocprim17ROCPRIM_400000_NS6detail17trampoline_kernelINS0_14default_configENS1_36segmented_radix_sort_config_selectorIhlEEZNS1_25segmented_radix_sort_implIS3_Lb0EPKhPhPKlPlN2at6native12_GLOBAL__N_18offset_tEEE10hipError_tPvRmT1_PNSt15iterator_traitsISK_E10value_typeET2_T3_PNSL_ISQ_E10value_typeET4_jRbjT5_SW_jjP12ihipStream_tbEUlT_E0_NS1_11comp_targetILNS1_3genE8ELNS1_11target_archE1030ELNS1_3gpuE2ELNS1_3repE0EEENS1_60segmented_radix_sort_warp_sort_medium_config_static_selectorELNS0_4arch9wavefront6targetE1EEEvSK_.has_dyn_sized_stack, 0
	.set _ZN7rocprim17ROCPRIM_400000_NS6detail17trampoline_kernelINS0_14default_configENS1_36segmented_radix_sort_config_selectorIhlEEZNS1_25segmented_radix_sort_implIS3_Lb0EPKhPhPKlPlN2at6native12_GLOBAL__N_18offset_tEEE10hipError_tPvRmT1_PNSt15iterator_traitsISK_E10value_typeET2_T3_PNSL_ISQ_E10value_typeET4_jRbjT5_SW_jjP12ihipStream_tbEUlT_E0_NS1_11comp_targetILNS1_3genE8ELNS1_11target_archE1030ELNS1_3gpuE2ELNS1_3repE0EEENS1_60segmented_radix_sort_warp_sort_medium_config_static_selectorELNS0_4arch9wavefront6targetE1EEEvSK_.has_recursion, 0
	.set _ZN7rocprim17ROCPRIM_400000_NS6detail17trampoline_kernelINS0_14default_configENS1_36segmented_radix_sort_config_selectorIhlEEZNS1_25segmented_radix_sort_implIS3_Lb0EPKhPhPKlPlN2at6native12_GLOBAL__N_18offset_tEEE10hipError_tPvRmT1_PNSt15iterator_traitsISK_E10value_typeET2_T3_PNSL_ISQ_E10value_typeET4_jRbjT5_SW_jjP12ihipStream_tbEUlT_E0_NS1_11comp_targetILNS1_3genE8ELNS1_11target_archE1030ELNS1_3gpuE2ELNS1_3repE0EEENS1_60segmented_radix_sort_warp_sort_medium_config_static_selectorELNS0_4arch9wavefront6targetE1EEEvSK_.has_indirect_call, 0
	.section	.AMDGPU.csdata,"",@progbits
; Kernel info:
; codeLenInByte = 0
; TotalNumSgprs: 4
; NumVgprs: 0
; ScratchSize: 0
; MemoryBound: 0
; FloatMode: 240
; IeeeMode: 1
; LDSByteSize: 0 bytes/workgroup (compile time only)
; SGPRBlocks: 0
; VGPRBlocks: 0
; NumSGPRsForWavesPerEU: 4
; NumVGPRsForWavesPerEU: 1
; Occupancy: 10
; WaveLimiterHint : 0
; COMPUTE_PGM_RSRC2:SCRATCH_EN: 0
; COMPUTE_PGM_RSRC2:USER_SGPR: 6
; COMPUTE_PGM_RSRC2:TRAP_HANDLER: 0
; COMPUTE_PGM_RSRC2:TGID_X_EN: 1
; COMPUTE_PGM_RSRC2:TGID_Y_EN: 0
; COMPUTE_PGM_RSRC2:TGID_Z_EN: 0
; COMPUTE_PGM_RSRC2:TIDIG_COMP_CNT: 0
	.section	.text._ZN7rocprim17ROCPRIM_400000_NS6detail17trampoline_kernelINS0_14default_configENS1_36segmented_radix_sort_config_selectorIhlEEZNS1_25segmented_radix_sort_implIS3_Lb0EPKhPhPKlPlN2at6native12_GLOBAL__N_18offset_tEEE10hipError_tPvRmT1_PNSt15iterator_traitsISK_E10value_typeET2_T3_PNSL_ISQ_E10value_typeET4_jRbjT5_SW_jjP12ihipStream_tbEUlT_E1_NS1_11comp_targetILNS1_3genE0ELNS1_11target_archE4294967295ELNS1_3gpuE0ELNS1_3repE0EEENS1_59segmented_radix_sort_warp_sort_small_config_static_selectorELNS0_4arch9wavefront6targetE1EEEvSK_,"axG",@progbits,_ZN7rocprim17ROCPRIM_400000_NS6detail17trampoline_kernelINS0_14default_configENS1_36segmented_radix_sort_config_selectorIhlEEZNS1_25segmented_radix_sort_implIS3_Lb0EPKhPhPKlPlN2at6native12_GLOBAL__N_18offset_tEEE10hipError_tPvRmT1_PNSt15iterator_traitsISK_E10value_typeET2_T3_PNSL_ISQ_E10value_typeET4_jRbjT5_SW_jjP12ihipStream_tbEUlT_E1_NS1_11comp_targetILNS1_3genE0ELNS1_11target_archE4294967295ELNS1_3gpuE0ELNS1_3repE0EEENS1_59segmented_radix_sort_warp_sort_small_config_static_selectorELNS0_4arch9wavefront6targetE1EEEvSK_,comdat
	.globl	_ZN7rocprim17ROCPRIM_400000_NS6detail17trampoline_kernelINS0_14default_configENS1_36segmented_radix_sort_config_selectorIhlEEZNS1_25segmented_radix_sort_implIS3_Lb0EPKhPhPKlPlN2at6native12_GLOBAL__N_18offset_tEEE10hipError_tPvRmT1_PNSt15iterator_traitsISK_E10value_typeET2_T3_PNSL_ISQ_E10value_typeET4_jRbjT5_SW_jjP12ihipStream_tbEUlT_E1_NS1_11comp_targetILNS1_3genE0ELNS1_11target_archE4294967295ELNS1_3gpuE0ELNS1_3repE0EEENS1_59segmented_radix_sort_warp_sort_small_config_static_selectorELNS0_4arch9wavefront6targetE1EEEvSK_ ; -- Begin function _ZN7rocprim17ROCPRIM_400000_NS6detail17trampoline_kernelINS0_14default_configENS1_36segmented_radix_sort_config_selectorIhlEEZNS1_25segmented_radix_sort_implIS3_Lb0EPKhPhPKlPlN2at6native12_GLOBAL__N_18offset_tEEE10hipError_tPvRmT1_PNSt15iterator_traitsISK_E10value_typeET2_T3_PNSL_ISQ_E10value_typeET4_jRbjT5_SW_jjP12ihipStream_tbEUlT_E1_NS1_11comp_targetILNS1_3genE0ELNS1_11target_archE4294967295ELNS1_3gpuE0ELNS1_3repE0EEENS1_59segmented_radix_sort_warp_sort_small_config_static_selectorELNS0_4arch9wavefront6targetE1EEEvSK_
	.p2align	8
	.type	_ZN7rocprim17ROCPRIM_400000_NS6detail17trampoline_kernelINS0_14default_configENS1_36segmented_radix_sort_config_selectorIhlEEZNS1_25segmented_radix_sort_implIS3_Lb0EPKhPhPKlPlN2at6native12_GLOBAL__N_18offset_tEEE10hipError_tPvRmT1_PNSt15iterator_traitsISK_E10value_typeET2_T3_PNSL_ISQ_E10value_typeET4_jRbjT5_SW_jjP12ihipStream_tbEUlT_E1_NS1_11comp_targetILNS1_3genE0ELNS1_11target_archE4294967295ELNS1_3gpuE0ELNS1_3repE0EEENS1_59segmented_radix_sort_warp_sort_small_config_static_selectorELNS0_4arch9wavefront6targetE1EEEvSK_,@function
_ZN7rocprim17ROCPRIM_400000_NS6detail17trampoline_kernelINS0_14default_configENS1_36segmented_radix_sort_config_selectorIhlEEZNS1_25segmented_radix_sort_implIS3_Lb0EPKhPhPKlPlN2at6native12_GLOBAL__N_18offset_tEEE10hipError_tPvRmT1_PNSt15iterator_traitsISK_E10value_typeET2_T3_PNSL_ISQ_E10value_typeET4_jRbjT5_SW_jjP12ihipStream_tbEUlT_E1_NS1_11comp_targetILNS1_3genE0ELNS1_11target_archE4294967295ELNS1_3gpuE0ELNS1_3repE0EEENS1_59segmented_radix_sort_warp_sort_small_config_static_selectorELNS0_4arch9wavefront6targetE1EEEvSK_: ; @_ZN7rocprim17ROCPRIM_400000_NS6detail17trampoline_kernelINS0_14default_configENS1_36segmented_radix_sort_config_selectorIhlEEZNS1_25segmented_radix_sort_implIS3_Lb0EPKhPhPKlPlN2at6native12_GLOBAL__N_18offset_tEEE10hipError_tPvRmT1_PNSt15iterator_traitsISK_E10value_typeET2_T3_PNSL_ISQ_E10value_typeET4_jRbjT5_SW_jjP12ihipStream_tbEUlT_E1_NS1_11comp_targetILNS1_3genE0ELNS1_11target_archE4294967295ELNS1_3gpuE0ELNS1_3repE0EEENS1_59segmented_radix_sort_warp_sort_small_config_static_selectorELNS0_4arch9wavefront6targetE1EEEvSK_
; %bb.0:
	.section	.rodata,"a",@progbits
	.p2align	6, 0x0
	.amdhsa_kernel _ZN7rocprim17ROCPRIM_400000_NS6detail17trampoline_kernelINS0_14default_configENS1_36segmented_radix_sort_config_selectorIhlEEZNS1_25segmented_radix_sort_implIS3_Lb0EPKhPhPKlPlN2at6native12_GLOBAL__N_18offset_tEEE10hipError_tPvRmT1_PNSt15iterator_traitsISK_E10value_typeET2_T3_PNSL_ISQ_E10value_typeET4_jRbjT5_SW_jjP12ihipStream_tbEUlT_E1_NS1_11comp_targetILNS1_3genE0ELNS1_11target_archE4294967295ELNS1_3gpuE0ELNS1_3repE0EEENS1_59segmented_radix_sort_warp_sort_small_config_static_selectorELNS0_4arch9wavefront6targetE1EEEvSK_
		.amdhsa_group_segment_fixed_size 0
		.amdhsa_private_segment_fixed_size 0
		.amdhsa_kernarg_size 88
		.amdhsa_user_sgpr_count 6
		.amdhsa_user_sgpr_private_segment_buffer 1
		.amdhsa_user_sgpr_dispatch_ptr 0
		.amdhsa_user_sgpr_queue_ptr 0
		.amdhsa_user_sgpr_kernarg_segment_ptr 1
		.amdhsa_user_sgpr_dispatch_id 0
		.amdhsa_user_sgpr_flat_scratch_init 0
		.amdhsa_user_sgpr_private_segment_size 0
		.amdhsa_uses_dynamic_stack 0
		.amdhsa_system_sgpr_private_segment_wavefront_offset 0
		.amdhsa_system_sgpr_workgroup_id_x 1
		.amdhsa_system_sgpr_workgroup_id_y 0
		.amdhsa_system_sgpr_workgroup_id_z 0
		.amdhsa_system_sgpr_workgroup_info 0
		.amdhsa_system_vgpr_workitem_id 0
		.amdhsa_next_free_vgpr 1
		.amdhsa_next_free_sgpr 0
		.amdhsa_reserve_vcc 0
		.amdhsa_reserve_flat_scratch 0
		.amdhsa_float_round_mode_32 0
		.amdhsa_float_round_mode_16_64 0
		.amdhsa_float_denorm_mode_32 3
		.amdhsa_float_denorm_mode_16_64 3
		.amdhsa_dx10_clamp 1
		.amdhsa_ieee_mode 1
		.amdhsa_fp16_overflow 0
		.amdhsa_exception_fp_ieee_invalid_op 0
		.amdhsa_exception_fp_denorm_src 0
		.amdhsa_exception_fp_ieee_div_zero 0
		.amdhsa_exception_fp_ieee_overflow 0
		.amdhsa_exception_fp_ieee_underflow 0
		.amdhsa_exception_fp_ieee_inexact 0
		.amdhsa_exception_int_div_zero 0
	.end_amdhsa_kernel
	.section	.text._ZN7rocprim17ROCPRIM_400000_NS6detail17trampoline_kernelINS0_14default_configENS1_36segmented_radix_sort_config_selectorIhlEEZNS1_25segmented_radix_sort_implIS3_Lb0EPKhPhPKlPlN2at6native12_GLOBAL__N_18offset_tEEE10hipError_tPvRmT1_PNSt15iterator_traitsISK_E10value_typeET2_T3_PNSL_ISQ_E10value_typeET4_jRbjT5_SW_jjP12ihipStream_tbEUlT_E1_NS1_11comp_targetILNS1_3genE0ELNS1_11target_archE4294967295ELNS1_3gpuE0ELNS1_3repE0EEENS1_59segmented_radix_sort_warp_sort_small_config_static_selectorELNS0_4arch9wavefront6targetE1EEEvSK_,"axG",@progbits,_ZN7rocprim17ROCPRIM_400000_NS6detail17trampoline_kernelINS0_14default_configENS1_36segmented_radix_sort_config_selectorIhlEEZNS1_25segmented_radix_sort_implIS3_Lb0EPKhPhPKlPlN2at6native12_GLOBAL__N_18offset_tEEE10hipError_tPvRmT1_PNSt15iterator_traitsISK_E10value_typeET2_T3_PNSL_ISQ_E10value_typeET4_jRbjT5_SW_jjP12ihipStream_tbEUlT_E1_NS1_11comp_targetILNS1_3genE0ELNS1_11target_archE4294967295ELNS1_3gpuE0ELNS1_3repE0EEENS1_59segmented_radix_sort_warp_sort_small_config_static_selectorELNS0_4arch9wavefront6targetE1EEEvSK_,comdat
.Lfunc_end206:
	.size	_ZN7rocprim17ROCPRIM_400000_NS6detail17trampoline_kernelINS0_14default_configENS1_36segmented_radix_sort_config_selectorIhlEEZNS1_25segmented_radix_sort_implIS3_Lb0EPKhPhPKlPlN2at6native12_GLOBAL__N_18offset_tEEE10hipError_tPvRmT1_PNSt15iterator_traitsISK_E10value_typeET2_T3_PNSL_ISQ_E10value_typeET4_jRbjT5_SW_jjP12ihipStream_tbEUlT_E1_NS1_11comp_targetILNS1_3genE0ELNS1_11target_archE4294967295ELNS1_3gpuE0ELNS1_3repE0EEENS1_59segmented_radix_sort_warp_sort_small_config_static_selectorELNS0_4arch9wavefront6targetE1EEEvSK_, .Lfunc_end206-_ZN7rocprim17ROCPRIM_400000_NS6detail17trampoline_kernelINS0_14default_configENS1_36segmented_radix_sort_config_selectorIhlEEZNS1_25segmented_radix_sort_implIS3_Lb0EPKhPhPKlPlN2at6native12_GLOBAL__N_18offset_tEEE10hipError_tPvRmT1_PNSt15iterator_traitsISK_E10value_typeET2_T3_PNSL_ISQ_E10value_typeET4_jRbjT5_SW_jjP12ihipStream_tbEUlT_E1_NS1_11comp_targetILNS1_3genE0ELNS1_11target_archE4294967295ELNS1_3gpuE0ELNS1_3repE0EEENS1_59segmented_radix_sort_warp_sort_small_config_static_selectorELNS0_4arch9wavefront6targetE1EEEvSK_
                                        ; -- End function
	.set _ZN7rocprim17ROCPRIM_400000_NS6detail17trampoline_kernelINS0_14default_configENS1_36segmented_radix_sort_config_selectorIhlEEZNS1_25segmented_radix_sort_implIS3_Lb0EPKhPhPKlPlN2at6native12_GLOBAL__N_18offset_tEEE10hipError_tPvRmT1_PNSt15iterator_traitsISK_E10value_typeET2_T3_PNSL_ISQ_E10value_typeET4_jRbjT5_SW_jjP12ihipStream_tbEUlT_E1_NS1_11comp_targetILNS1_3genE0ELNS1_11target_archE4294967295ELNS1_3gpuE0ELNS1_3repE0EEENS1_59segmented_radix_sort_warp_sort_small_config_static_selectorELNS0_4arch9wavefront6targetE1EEEvSK_.num_vgpr, 0
	.set _ZN7rocprim17ROCPRIM_400000_NS6detail17trampoline_kernelINS0_14default_configENS1_36segmented_radix_sort_config_selectorIhlEEZNS1_25segmented_radix_sort_implIS3_Lb0EPKhPhPKlPlN2at6native12_GLOBAL__N_18offset_tEEE10hipError_tPvRmT1_PNSt15iterator_traitsISK_E10value_typeET2_T3_PNSL_ISQ_E10value_typeET4_jRbjT5_SW_jjP12ihipStream_tbEUlT_E1_NS1_11comp_targetILNS1_3genE0ELNS1_11target_archE4294967295ELNS1_3gpuE0ELNS1_3repE0EEENS1_59segmented_radix_sort_warp_sort_small_config_static_selectorELNS0_4arch9wavefront6targetE1EEEvSK_.num_agpr, 0
	.set _ZN7rocprim17ROCPRIM_400000_NS6detail17trampoline_kernelINS0_14default_configENS1_36segmented_radix_sort_config_selectorIhlEEZNS1_25segmented_radix_sort_implIS3_Lb0EPKhPhPKlPlN2at6native12_GLOBAL__N_18offset_tEEE10hipError_tPvRmT1_PNSt15iterator_traitsISK_E10value_typeET2_T3_PNSL_ISQ_E10value_typeET4_jRbjT5_SW_jjP12ihipStream_tbEUlT_E1_NS1_11comp_targetILNS1_3genE0ELNS1_11target_archE4294967295ELNS1_3gpuE0ELNS1_3repE0EEENS1_59segmented_radix_sort_warp_sort_small_config_static_selectorELNS0_4arch9wavefront6targetE1EEEvSK_.numbered_sgpr, 0
	.set _ZN7rocprim17ROCPRIM_400000_NS6detail17trampoline_kernelINS0_14default_configENS1_36segmented_radix_sort_config_selectorIhlEEZNS1_25segmented_radix_sort_implIS3_Lb0EPKhPhPKlPlN2at6native12_GLOBAL__N_18offset_tEEE10hipError_tPvRmT1_PNSt15iterator_traitsISK_E10value_typeET2_T3_PNSL_ISQ_E10value_typeET4_jRbjT5_SW_jjP12ihipStream_tbEUlT_E1_NS1_11comp_targetILNS1_3genE0ELNS1_11target_archE4294967295ELNS1_3gpuE0ELNS1_3repE0EEENS1_59segmented_radix_sort_warp_sort_small_config_static_selectorELNS0_4arch9wavefront6targetE1EEEvSK_.num_named_barrier, 0
	.set _ZN7rocprim17ROCPRIM_400000_NS6detail17trampoline_kernelINS0_14default_configENS1_36segmented_radix_sort_config_selectorIhlEEZNS1_25segmented_radix_sort_implIS3_Lb0EPKhPhPKlPlN2at6native12_GLOBAL__N_18offset_tEEE10hipError_tPvRmT1_PNSt15iterator_traitsISK_E10value_typeET2_T3_PNSL_ISQ_E10value_typeET4_jRbjT5_SW_jjP12ihipStream_tbEUlT_E1_NS1_11comp_targetILNS1_3genE0ELNS1_11target_archE4294967295ELNS1_3gpuE0ELNS1_3repE0EEENS1_59segmented_radix_sort_warp_sort_small_config_static_selectorELNS0_4arch9wavefront6targetE1EEEvSK_.private_seg_size, 0
	.set _ZN7rocprim17ROCPRIM_400000_NS6detail17trampoline_kernelINS0_14default_configENS1_36segmented_radix_sort_config_selectorIhlEEZNS1_25segmented_radix_sort_implIS3_Lb0EPKhPhPKlPlN2at6native12_GLOBAL__N_18offset_tEEE10hipError_tPvRmT1_PNSt15iterator_traitsISK_E10value_typeET2_T3_PNSL_ISQ_E10value_typeET4_jRbjT5_SW_jjP12ihipStream_tbEUlT_E1_NS1_11comp_targetILNS1_3genE0ELNS1_11target_archE4294967295ELNS1_3gpuE0ELNS1_3repE0EEENS1_59segmented_radix_sort_warp_sort_small_config_static_selectorELNS0_4arch9wavefront6targetE1EEEvSK_.uses_vcc, 0
	.set _ZN7rocprim17ROCPRIM_400000_NS6detail17trampoline_kernelINS0_14default_configENS1_36segmented_radix_sort_config_selectorIhlEEZNS1_25segmented_radix_sort_implIS3_Lb0EPKhPhPKlPlN2at6native12_GLOBAL__N_18offset_tEEE10hipError_tPvRmT1_PNSt15iterator_traitsISK_E10value_typeET2_T3_PNSL_ISQ_E10value_typeET4_jRbjT5_SW_jjP12ihipStream_tbEUlT_E1_NS1_11comp_targetILNS1_3genE0ELNS1_11target_archE4294967295ELNS1_3gpuE0ELNS1_3repE0EEENS1_59segmented_radix_sort_warp_sort_small_config_static_selectorELNS0_4arch9wavefront6targetE1EEEvSK_.uses_flat_scratch, 0
	.set _ZN7rocprim17ROCPRIM_400000_NS6detail17trampoline_kernelINS0_14default_configENS1_36segmented_radix_sort_config_selectorIhlEEZNS1_25segmented_radix_sort_implIS3_Lb0EPKhPhPKlPlN2at6native12_GLOBAL__N_18offset_tEEE10hipError_tPvRmT1_PNSt15iterator_traitsISK_E10value_typeET2_T3_PNSL_ISQ_E10value_typeET4_jRbjT5_SW_jjP12ihipStream_tbEUlT_E1_NS1_11comp_targetILNS1_3genE0ELNS1_11target_archE4294967295ELNS1_3gpuE0ELNS1_3repE0EEENS1_59segmented_radix_sort_warp_sort_small_config_static_selectorELNS0_4arch9wavefront6targetE1EEEvSK_.has_dyn_sized_stack, 0
	.set _ZN7rocprim17ROCPRIM_400000_NS6detail17trampoline_kernelINS0_14default_configENS1_36segmented_radix_sort_config_selectorIhlEEZNS1_25segmented_radix_sort_implIS3_Lb0EPKhPhPKlPlN2at6native12_GLOBAL__N_18offset_tEEE10hipError_tPvRmT1_PNSt15iterator_traitsISK_E10value_typeET2_T3_PNSL_ISQ_E10value_typeET4_jRbjT5_SW_jjP12ihipStream_tbEUlT_E1_NS1_11comp_targetILNS1_3genE0ELNS1_11target_archE4294967295ELNS1_3gpuE0ELNS1_3repE0EEENS1_59segmented_radix_sort_warp_sort_small_config_static_selectorELNS0_4arch9wavefront6targetE1EEEvSK_.has_recursion, 0
	.set _ZN7rocprim17ROCPRIM_400000_NS6detail17trampoline_kernelINS0_14default_configENS1_36segmented_radix_sort_config_selectorIhlEEZNS1_25segmented_radix_sort_implIS3_Lb0EPKhPhPKlPlN2at6native12_GLOBAL__N_18offset_tEEE10hipError_tPvRmT1_PNSt15iterator_traitsISK_E10value_typeET2_T3_PNSL_ISQ_E10value_typeET4_jRbjT5_SW_jjP12ihipStream_tbEUlT_E1_NS1_11comp_targetILNS1_3genE0ELNS1_11target_archE4294967295ELNS1_3gpuE0ELNS1_3repE0EEENS1_59segmented_radix_sort_warp_sort_small_config_static_selectorELNS0_4arch9wavefront6targetE1EEEvSK_.has_indirect_call, 0
	.section	.AMDGPU.csdata,"",@progbits
; Kernel info:
; codeLenInByte = 0
; TotalNumSgprs: 4
; NumVgprs: 0
; ScratchSize: 0
; MemoryBound: 0
; FloatMode: 240
; IeeeMode: 1
; LDSByteSize: 0 bytes/workgroup (compile time only)
; SGPRBlocks: 0
; VGPRBlocks: 0
; NumSGPRsForWavesPerEU: 4
; NumVGPRsForWavesPerEU: 1
; Occupancy: 10
; WaveLimiterHint : 0
; COMPUTE_PGM_RSRC2:SCRATCH_EN: 0
; COMPUTE_PGM_RSRC2:USER_SGPR: 6
; COMPUTE_PGM_RSRC2:TRAP_HANDLER: 0
; COMPUTE_PGM_RSRC2:TGID_X_EN: 1
; COMPUTE_PGM_RSRC2:TGID_Y_EN: 0
; COMPUTE_PGM_RSRC2:TGID_Z_EN: 0
; COMPUTE_PGM_RSRC2:TIDIG_COMP_CNT: 0
	.section	.text._ZN7rocprim17ROCPRIM_400000_NS6detail17trampoline_kernelINS0_14default_configENS1_36segmented_radix_sort_config_selectorIhlEEZNS1_25segmented_radix_sort_implIS3_Lb0EPKhPhPKlPlN2at6native12_GLOBAL__N_18offset_tEEE10hipError_tPvRmT1_PNSt15iterator_traitsISK_E10value_typeET2_T3_PNSL_ISQ_E10value_typeET4_jRbjT5_SW_jjP12ihipStream_tbEUlT_E1_NS1_11comp_targetILNS1_3genE5ELNS1_11target_archE942ELNS1_3gpuE9ELNS1_3repE0EEENS1_59segmented_radix_sort_warp_sort_small_config_static_selectorELNS0_4arch9wavefront6targetE1EEEvSK_,"axG",@progbits,_ZN7rocprim17ROCPRIM_400000_NS6detail17trampoline_kernelINS0_14default_configENS1_36segmented_radix_sort_config_selectorIhlEEZNS1_25segmented_radix_sort_implIS3_Lb0EPKhPhPKlPlN2at6native12_GLOBAL__N_18offset_tEEE10hipError_tPvRmT1_PNSt15iterator_traitsISK_E10value_typeET2_T3_PNSL_ISQ_E10value_typeET4_jRbjT5_SW_jjP12ihipStream_tbEUlT_E1_NS1_11comp_targetILNS1_3genE5ELNS1_11target_archE942ELNS1_3gpuE9ELNS1_3repE0EEENS1_59segmented_radix_sort_warp_sort_small_config_static_selectorELNS0_4arch9wavefront6targetE1EEEvSK_,comdat
	.globl	_ZN7rocprim17ROCPRIM_400000_NS6detail17trampoline_kernelINS0_14default_configENS1_36segmented_radix_sort_config_selectorIhlEEZNS1_25segmented_radix_sort_implIS3_Lb0EPKhPhPKlPlN2at6native12_GLOBAL__N_18offset_tEEE10hipError_tPvRmT1_PNSt15iterator_traitsISK_E10value_typeET2_T3_PNSL_ISQ_E10value_typeET4_jRbjT5_SW_jjP12ihipStream_tbEUlT_E1_NS1_11comp_targetILNS1_3genE5ELNS1_11target_archE942ELNS1_3gpuE9ELNS1_3repE0EEENS1_59segmented_radix_sort_warp_sort_small_config_static_selectorELNS0_4arch9wavefront6targetE1EEEvSK_ ; -- Begin function _ZN7rocprim17ROCPRIM_400000_NS6detail17trampoline_kernelINS0_14default_configENS1_36segmented_radix_sort_config_selectorIhlEEZNS1_25segmented_radix_sort_implIS3_Lb0EPKhPhPKlPlN2at6native12_GLOBAL__N_18offset_tEEE10hipError_tPvRmT1_PNSt15iterator_traitsISK_E10value_typeET2_T3_PNSL_ISQ_E10value_typeET4_jRbjT5_SW_jjP12ihipStream_tbEUlT_E1_NS1_11comp_targetILNS1_3genE5ELNS1_11target_archE942ELNS1_3gpuE9ELNS1_3repE0EEENS1_59segmented_radix_sort_warp_sort_small_config_static_selectorELNS0_4arch9wavefront6targetE1EEEvSK_
	.p2align	8
	.type	_ZN7rocprim17ROCPRIM_400000_NS6detail17trampoline_kernelINS0_14default_configENS1_36segmented_radix_sort_config_selectorIhlEEZNS1_25segmented_radix_sort_implIS3_Lb0EPKhPhPKlPlN2at6native12_GLOBAL__N_18offset_tEEE10hipError_tPvRmT1_PNSt15iterator_traitsISK_E10value_typeET2_T3_PNSL_ISQ_E10value_typeET4_jRbjT5_SW_jjP12ihipStream_tbEUlT_E1_NS1_11comp_targetILNS1_3genE5ELNS1_11target_archE942ELNS1_3gpuE9ELNS1_3repE0EEENS1_59segmented_radix_sort_warp_sort_small_config_static_selectorELNS0_4arch9wavefront6targetE1EEEvSK_,@function
_ZN7rocprim17ROCPRIM_400000_NS6detail17trampoline_kernelINS0_14default_configENS1_36segmented_radix_sort_config_selectorIhlEEZNS1_25segmented_radix_sort_implIS3_Lb0EPKhPhPKlPlN2at6native12_GLOBAL__N_18offset_tEEE10hipError_tPvRmT1_PNSt15iterator_traitsISK_E10value_typeET2_T3_PNSL_ISQ_E10value_typeET4_jRbjT5_SW_jjP12ihipStream_tbEUlT_E1_NS1_11comp_targetILNS1_3genE5ELNS1_11target_archE942ELNS1_3gpuE9ELNS1_3repE0EEENS1_59segmented_radix_sort_warp_sort_small_config_static_selectorELNS0_4arch9wavefront6targetE1EEEvSK_: ; @_ZN7rocprim17ROCPRIM_400000_NS6detail17trampoline_kernelINS0_14default_configENS1_36segmented_radix_sort_config_selectorIhlEEZNS1_25segmented_radix_sort_implIS3_Lb0EPKhPhPKlPlN2at6native12_GLOBAL__N_18offset_tEEE10hipError_tPvRmT1_PNSt15iterator_traitsISK_E10value_typeET2_T3_PNSL_ISQ_E10value_typeET4_jRbjT5_SW_jjP12ihipStream_tbEUlT_E1_NS1_11comp_targetILNS1_3genE5ELNS1_11target_archE942ELNS1_3gpuE9ELNS1_3repE0EEENS1_59segmented_radix_sort_warp_sort_small_config_static_selectorELNS0_4arch9wavefront6targetE1EEEvSK_
; %bb.0:
	.section	.rodata,"a",@progbits
	.p2align	6, 0x0
	.amdhsa_kernel _ZN7rocprim17ROCPRIM_400000_NS6detail17trampoline_kernelINS0_14default_configENS1_36segmented_radix_sort_config_selectorIhlEEZNS1_25segmented_radix_sort_implIS3_Lb0EPKhPhPKlPlN2at6native12_GLOBAL__N_18offset_tEEE10hipError_tPvRmT1_PNSt15iterator_traitsISK_E10value_typeET2_T3_PNSL_ISQ_E10value_typeET4_jRbjT5_SW_jjP12ihipStream_tbEUlT_E1_NS1_11comp_targetILNS1_3genE5ELNS1_11target_archE942ELNS1_3gpuE9ELNS1_3repE0EEENS1_59segmented_radix_sort_warp_sort_small_config_static_selectorELNS0_4arch9wavefront6targetE1EEEvSK_
		.amdhsa_group_segment_fixed_size 0
		.amdhsa_private_segment_fixed_size 0
		.amdhsa_kernarg_size 88
		.amdhsa_user_sgpr_count 6
		.amdhsa_user_sgpr_private_segment_buffer 1
		.amdhsa_user_sgpr_dispatch_ptr 0
		.amdhsa_user_sgpr_queue_ptr 0
		.amdhsa_user_sgpr_kernarg_segment_ptr 1
		.amdhsa_user_sgpr_dispatch_id 0
		.amdhsa_user_sgpr_flat_scratch_init 0
		.amdhsa_user_sgpr_private_segment_size 0
		.amdhsa_uses_dynamic_stack 0
		.amdhsa_system_sgpr_private_segment_wavefront_offset 0
		.amdhsa_system_sgpr_workgroup_id_x 1
		.amdhsa_system_sgpr_workgroup_id_y 0
		.amdhsa_system_sgpr_workgroup_id_z 0
		.amdhsa_system_sgpr_workgroup_info 0
		.amdhsa_system_vgpr_workitem_id 0
		.amdhsa_next_free_vgpr 1
		.amdhsa_next_free_sgpr 0
		.amdhsa_reserve_vcc 0
		.amdhsa_reserve_flat_scratch 0
		.amdhsa_float_round_mode_32 0
		.amdhsa_float_round_mode_16_64 0
		.amdhsa_float_denorm_mode_32 3
		.amdhsa_float_denorm_mode_16_64 3
		.amdhsa_dx10_clamp 1
		.amdhsa_ieee_mode 1
		.amdhsa_fp16_overflow 0
		.amdhsa_exception_fp_ieee_invalid_op 0
		.amdhsa_exception_fp_denorm_src 0
		.amdhsa_exception_fp_ieee_div_zero 0
		.amdhsa_exception_fp_ieee_overflow 0
		.amdhsa_exception_fp_ieee_underflow 0
		.amdhsa_exception_fp_ieee_inexact 0
		.amdhsa_exception_int_div_zero 0
	.end_amdhsa_kernel
	.section	.text._ZN7rocprim17ROCPRIM_400000_NS6detail17trampoline_kernelINS0_14default_configENS1_36segmented_radix_sort_config_selectorIhlEEZNS1_25segmented_radix_sort_implIS3_Lb0EPKhPhPKlPlN2at6native12_GLOBAL__N_18offset_tEEE10hipError_tPvRmT1_PNSt15iterator_traitsISK_E10value_typeET2_T3_PNSL_ISQ_E10value_typeET4_jRbjT5_SW_jjP12ihipStream_tbEUlT_E1_NS1_11comp_targetILNS1_3genE5ELNS1_11target_archE942ELNS1_3gpuE9ELNS1_3repE0EEENS1_59segmented_radix_sort_warp_sort_small_config_static_selectorELNS0_4arch9wavefront6targetE1EEEvSK_,"axG",@progbits,_ZN7rocprim17ROCPRIM_400000_NS6detail17trampoline_kernelINS0_14default_configENS1_36segmented_radix_sort_config_selectorIhlEEZNS1_25segmented_radix_sort_implIS3_Lb0EPKhPhPKlPlN2at6native12_GLOBAL__N_18offset_tEEE10hipError_tPvRmT1_PNSt15iterator_traitsISK_E10value_typeET2_T3_PNSL_ISQ_E10value_typeET4_jRbjT5_SW_jjP12ihipStream_tbEUlT_E1_NS1_11comp_targetILNS1_3genE5ELNS1_11target_archE942ELNS1_3gpuE9ELNS1_3repE0EEENS1_59segmented_radix_sort_warp_sort_small_config_static_selectorELNS0_4arch9wavefront6targetE1EEEvSK_,comdat
.Lfunc_end207:
	.size	_ZN7rocprim17ROCPRIM_400000_NS6detail17trampoline_kernelINS0_14default_configENS1_36segmented_radix_sort_config_selectorIhlEEZNS1_25segmented_radix_sort_implIS3_Lb0EPKhPhPKlPlN2at6native12_GLOBAL__N_18offset_tEEE10hipError_tPvRmT1_PNSt15iterator_traitsISK_E10value_typeET2_T3_PNSL_ISQ_E10value_typeET4_jRbjT5_SW_jjP12ihipStream_tbEUlT_E1_NS1_11comp_targetILNS1_3genE5ELNS1_11target_archE942ELNS1_3gpuE9ELNS1_3repE0EEENS1_59segmented_radix_sort_warp_sort_small_config_static_selectorELNS0_4arch9wavefront6targetE1EEEvSK_, .Lfunc_end207-_ZN7rocprim17ROCPRIM_400000_NS6detail17trampoline_kernelINS0_14default_configENS1_36segmented_radix_sort_config_selectorIhlEEZNS1_25segmented_radix_sort_implIS3_Lb0EPKhPhPKlPlN2at6native12_GLOBAL__N_18offset_tEEE10hipError_tPvRmT1_PNSt15iterator_traitsISK_E10value_typeET2_T3_PNSL_ISQ_E10value_typeET4_jRbjT5_SW_jjP12ihipStream_tbEUlT_E1_NS1_11comp_targetILNS1_3genE5ELNS1_11target_archE942ELNS1_3gpuE9ELNS1_3repE0EEENS1_59segmented_radix_sort_warp_sort_small_config_static_selectorELNS0_4arch9wavefront6targetE1EEEvSK_
                                        ; -- End function
	.set _ZN7rocprim17ROCPRIM_400000_NS6detail17trampoline_kernelINS0_14default_configENS1_36segmented_radix_sort_config_selectorIhlEEZNS1_25segmented_radix_sort_implIS3_Lb0EPKhPhPKlPlN2at6native12_GLOBAL__N_18offset_tEEE10hipError_tPvRmT1_PNSt15iterator_traitsISK_E10value_typeET2_T3_PNSL_ISQ_E10value_typeET4_jRbjT5_SW_jjP12ihipStream_tbEUlT_E1_NS1_11comp_targetILNS1_3genE5ELNS1_11target_archE942ELNS1_3gpuE9ELNS1_3repE0EEENS1_59segmented_radix_sort_warp_sort_small_config_static_selectorELNS0_4arch9wavefront6targetE1EEEvSK_.num_vgpr, 0
	.set _ZN7rocprim17ROCPRIM_400000_NS6detail17trampoline_kernelINS0_14default_configENS1_36segmented_radix_sort_config_selectorIhlEEZNS1_25segmented_radix_sort_implIS3_Lb0EPKhPhPKlPlN2at6native12_GLOBAL__N_18offset_tEEE10hipError_tPvRmT1_PNSt15iterator_traitsISK_E10value_typeET2_T3_PNSL_ISQ_E10value_typeET4_jRbjT5_SW_jjP12ihipStream_tbEUlT_E1_NS1_11comp_targetILNS1_3genE5ELNS1_11target_archE942ELNS1_3gpuE9ELNS1_3repE0EEENS1_59segmented_radix_sort_warp_sort_small_config_static_selectorELNS0_4arch9wavefront6targetE1EEEvSK_.num_agpr, 0
	.set _ZN7rocprim17ROCPRIM_400000_NS6detail17trampoline_kernelINS0_14default_configENS1_36segmented_radix_sort_config_selectorIhlEEZNS1_25segmented_radix_sort_implIS3_Lb0EPKhPhPKlPlN2at6native12_GLOBAL__N_18offset_tEEE10hipError_tPvRmT1_PNSt15iterator_traitsISK_E10value_typeET2_T3_PNSL_ISQ_E10value_typeET4_jRbjT5_SW_jjP12ihipStream_tbEUlT_E1_NS1_11comp_targetILNS1_3genE5ELNS1_11target_archE942ELNS1_3gpuE9ELNS1_3repE0EEENS1_59segmented_radix_sort_warp_sort_small_config_static_selectorELNS0_4arch9wavefront6targetE1EEEvSK_.numbered_sgpr, 0
	.set _ZN7rocprim17ROCPRIM_400000_NS6detail17trampoline_kernelINS0_14default_configENS1_36segmented_radix_sort_config_selectorIhlEEZNS1_25segmented_radix_sort_implIS3_Lb0EPKhPhPKlPlN2at6native12_GLOBAL__N_18offset_tEEE10hipError_tPvRmT1_PNSt15iterator_traitsISK_E10value_typeET2_T3_PNSL_ISQ_E10value_typeET4_jRbjT5_SW_jjP12ihipStream_tbEUlT_E1_NS1_11comp_targetILNS1_3genE5ELNS1_11target_archE942ELNS1_3gpuE9ELNS1_3repE0EEENS1_59segmented_radix_sort_warp_sort_small_config_static_selectorELNS0_4arch9wavefront6targetE1EEEvSK_.num_named_barrier, 0
	.set _ZN7rocprim17ROCPRIM_400000_NS6detail17trampoline_kernelINS0_14default_configENS1_36segmented_radix_sort_config_selectorIhlEEZNS1_25segmented_radix_sort_implIS3_Lb0EPKhPhPKlPlN2at6native12_GLOBAL__N_18offset_tEEE10hipError_tPvRmT1_PNSt15iterator_traitsISK_E10value_typeET2_T3_PNSL_ISQ_E10value_typeET4_jRbjT5_SW_jjP12ihipStream_tbEUlT_E1_NS1_11comp_targetILNS1_3genE5ELNS1_11target_archE942ELNS1_3gpuE9ELNS1_3repE0EEENS1_59segmented_radix_sort_warp_sort_small_config_static_selectorELNS0_4arch9wavefront6targetE1EEEvSK_.private_seg_size, 0
	.set _ZN7rocprim17ROCPRIM_400000_NS6detail17trampoline_kernelINS0_14default_configENS1_36segmented_radix_sort_config_selectorIhlEEZNS1_25segmented_radix_sort_implIS3_Lb0EPKhPhPKlPlN2at6native12_GLOBAL__N_18offset_tEEE10hipError_tPvRmT1_PNSt15iterator_traitsISK_E10value_typeET2_T3_PNSL_ISQ_E10value_typeET4_jRbjT5_SW_jjP12ihipStream_tbEUlT_E1_NS1_11comp_targetILNS1_3genE5ELNS1_11target_archE942ELNS1_3gpuE9ELNS1_3repE0EEENS1_59segmented_radix_sort_warp_sort_small_config_static_selectorELNS0_4arch9wavefront6targetE1EEEvSK_.uses_vcc, 0
	.set _ZN7rocprim17ROCPRIM_400000_NS6detail17trampoline_kernelINS0_14default_configENS1_36segmented_radix_sort_config_selectorIhlEEZNS1_25segmented_radix_sort_implIS3_Lb0EPKhPhPKlPlN2at6native12_GLOBAL__N_18offset_tEEE10hipError_tPvRmT1_PNSt15iterator_traitsISK_E10value_typeET2_T3_PNSL_ISQ_E10value_typeET4_jRbjT5_SW_jjP12ihipStream_tbEUlT_E1_NS1_11comp_targetILNS1_3genE5ELNS1_11target_archE942ELNS1_3gpuE9ELNS1_3repE0EEENS1_59segmented_radix_sort_warp_sort_small_config_static_selectorELNS0_4arch9wavefront6targetE1EEEvSK_.uses_flat_scratch, 0
	.set _ZN7rocprim17ROCPRIM_400000_NS6detail17trampoline_kernelINS0_14default_configENS1_36segmented_radix_sort_config_selectorIhlEEZNS1_25segmented_radix_sort_implIS3_Lb0EPKhPhPKlPlN2at6native12_GLOBAL__N_18offset_tEEE10hipError_tPvRmT1_PNSt15iterator_traitsISK_E10value_typeET2_T3_PNSL_ISQ_E10value_typeET4_jRbjT5_SW_jjP12ihipStream_tbEUlT_E1_NS1_11comp_targetILNS1_3genE5ELNS1_11target_archE942ELNS1_3gpuE9ELNS1_3repE0EEENS1_59segmented_radix_sort_warp_sort_small_config_static_selectorELNS0_4arch9wavefront6targetE1EEEvSK_.has_dyn_sized_stack, 0
	.set _ZN7rocprim17ROCPRIM_400000_NS6detail17trampoline_kernelINS0_14default_configENS1_36segmented_radix_sort_config_selectorIhlEEZNS1_25segmented_radix_sort_implIS3_Lb0EPKhPhPKlPlN2at6native12_GLOBAL__N_18offset_tEEE10hipError_tPvRmT1_PNSt15iterator_traitsISK_E10value_typeET2_T3_PNSL_ISQ_E10value_typeET4_jRbjT5_SW_jjP12ihipStream_tbEUlT_E1_NS1_11comp_targetILNS1_3genE5ELNS1_11target_archE942ELNS1_3gpuE9ELNS1_3repE0EEENS1_59segmented_radix_sort_warp_sort_small_config_static_selectorELNS0_4arch9wavefront6targetE1EEEvSK_.has_recursion, 0
	.set _ZN7rocprim17ROCPRIM_400000_NS6detail17trampoline_kernelINS0_14default_configENS1_36segmented_radix_sort_config_selectorIhlEEZNS1_25segmented_radix_sort_implIS3_Lb0EPKhPhPKlPlN2at6native12_GLOBAL__N_18offset_tEEE10hipError_tPvRmT1_PNSt15iterator_traitsISK_E10value_typeET2_T3_PNSL_ISQ_E10value_typeET4_jRbjT5_SW_jjP12ihipStream_tbEUlT_E1_NS1_11comp_targetILNS1_3genE5ELNS1_11target_archE942ELNS1_3gpuE9ELNS1_3repE0EEENS1_59segmented_radix_sort_warp_sort_small_config_static_selectorELNS0_4arch9wavefront6targetE1EEEvSK_.has_indirect_call, 0
	.section	.AMDGPU.csdata,"",@progbits
; Kernel info:
; codeLenInByte = 0
; TotalNumSgprs: 4
; NumVgprs: 0
; ScratchSize: 0
; MemoryBound: 0
; FloatMode: 240
; IeeeMode: 1
; LDSByteSize: 0 bytes/workgroup (compile time only)
; SGPRBlocks: 0
; VGPRBlocks: 0
; NumSGPRsForWavesPerEU: 4
; NumVGPRsForWavesPerEU: 1
; Occupancy: 10
; WaveLimiterHint : 0
; COMPUTE_PGM_RSRC2:SCRATCH_EN: 0
; COMPUTE_PGM_RSRC2:USER_SGPR: 6
; COMPUTE_PGM_RSRC2:TRAP_HANDLER: 0
; COMPUTE_PGM_RSRC2:TGID_X_EN: 1
; COMPUTE_PGM_RSRC2:TGID_Y_EN: 0
; COMPUTE_PGM_RSRC2:TGID_Z_EN: 0
; COMPUTE_PGM_RSRC2:TIDIG_COMP_CNT: 0
	.section	.text._ZN7rocprim17ROCPRIM_400000_NS6detail17trampoline_kernelINS0_14default_configENS1_36segmented_radix_sort_config_selectorIhlEEZNS1_25segmented_radix_sort_implIS3_Lb0EPKhPhPKlPlN2at6native12_GLOBAL__N_18offset_tEEE10hipError_tPvRmT1_PNSt15iterator_traitsISK_E10value_typeET2_T3_PNSL_ISQ_E10value_typeET4_jRbjT5_SW_jjP12ihipStream_tbEUlT_E1_NS1_11comp_targetILNS1_3genE4ELNS1_11target_archE910ELNS1_3gpuE8ELNS1_3repE0EEENS1_59segmented_radix_sort_warp_sort_small_config_static_selectorELNS0_4arch9wavefront6targetE1EEEvSK_,"axG",@progbits,_ZN7rocprim17ROCPRIM_400000_NS6detail17trampoline_kernelINS0_14default_configENS1_36segmented_radix_sort_config_selectorIhlEEZNS1_25segmented_radix_sort_implIS3_Lb0EPKhPhPKlPlN2at6native12_GLOBAL__N_18offset_tEEE10hipError_tPvRmT1_PNSt15iterator_traitsISK_E10value_typeET2_T3_PNSL_ISQ_E10value_typeET4_jRbjT5_SW_jjP12ihipStream_tbEUlT_E1_NS1_11comp_targetILNS1_3genE4ELNS1_11target_archE910ELNS1_3gpuE8ELNS1_3repE0EEENS1_59segmented_radix_sort_warp_sort_small_config_static_selectorELNS0_4arch9wavefront6targetE1EEEvSK_,comdat
	.globl	_ZN7rocprim17ROCPRIM_400000_NS6detail17trampoline_kernelINS0_14default_configENS1_36segmented_radix_sort_config_selectorIhlEEZNS1_25segmented_radix_sort_implIS3_Lb0EPKhPhPKlPlN2at6native12_GLOBAL__N_18offset_tEEE10hipError_tPvRmT1_PNSt15iterator_traitsISK_E10value_typeET2_T3_PNSL_ISQ_E10value_typeET4_jRbjT5_SW_jjP12ihipStream_tbEUlT_E1_NS1_11comp_targetILNS1_3genE4ELNS1_11target_archE910ELNS1_3gpuE8ELNS1_3repE0EEENS1_59segmented_radix_sort_warp_sort_small_config_static_selectorELNS0_4arch9wavefront6targetE1EEEvSK_ ; -- Begin function _ZN7rocprim17ROCPRIM_400000_NS6detail17trampoline_kernelINS0_14default_configENS1_36segmented_radix_sort_config_selectorIhlEEZNS1_25segmented_radix_sort_implIS3_Lb0EPKhPhPKlPlN2at6native12_GLOBAL__N_18offset_tEEE10hipError_tPvRmT1_PNSt15iterator_traitsISK_E10value_typeET2_T3_PNSL_ISQ_E10value_typeET4_jRbjT5_SW_jjP12ihipStream_tbEUlT_E1_NS1_11comp_targetILNS1_3genE4ELNS1_11target_archE910ELNS1_3gpuE8ELNS1_3repE0EEENS1_59segmented_radix_sort_warp_sort_small_config_static_selectorELNS0_4arch9wavefront6targetE1EEEvSK_
	.p2align	8
	.type	_ZN7rocprim17ROCPRIM_400000_NS6detail17trampoline_kernelINS0_14default_configENS1_36segmented_radix_sort_config_selectorIhlEEZNS1_25segmented_radix_sort_implIS3_Lb0EPKhPhPKlPlN2at6native12_GLOBAL__N_18offset_tEEE10hipError_tPvRmT1_PNSt15iterator_traitsISK_E10value_typeET2_T3_PNSL_ISQ_E10value_typeET4_jRbjT5_SW_jjP12ihipStream_tbEUlT_E1_NS1_11comp_targetILNS1_3genE4ELNS1_11target_archE910ELNS1_3gpuE8ELNS1_3repE0EEENS1_59segmented_radix_sort_warp_sort_small_config_static_selectorELNS0_4arch9wavefront6targetE1EEEvSK_,@function
_ZN7rocprim17ROCPRIM_400000_NS6detail17trampoline_kernelINS0_14default_configENS1_36segmented_radix_sort_config_selectorIhlEEZNS1_25segmented_radix_sort_implIS3_Lb0EPKhPhPKlPlN2at6native12_GLOBAL__N_18offset_tEEE10hipError_tPvRmT1_PNSt15iterator_traitsISK_E10value_typeET2_T3_PNSL_ISQ_E10value_typeET4_jRbjT5_SW_jjP12ihipStream_tbEUlT_E1_NS1_11comp_targetILNS1_3genE4ELNS1_11target_archE910ELNS1_3gpuE8ELNS1_3repE0EEENS1_59segmented_radix_sort_warp_sort_small_config_static_selectorELNS0_4arch9wavefront6targetE1EEEvSK_: ; @_ZN7rocprim17ROCPRIM_400000_NS6detail17trampoline_kernelINS0_14default_configENS1_36segmented_radix_sort_config_selectorIhlEEZNS1_25segmented_radix_sort_implIS3_Lb0EPKhPhPKlPlN2at6native12_GLOBAL__N_18offset_tEEE10hipError_tPvRmT1_PNSt15iterator_traitsISK_E10value_typeET2_T3_PNSL_ISQ_E10value_typeET4_jRbjT5_SW_jjP12ihipStream_tbEUlT_E1_NS1_11comp_targetILNS1_3genE4ELNS1_11target_archE910ELNS1_3gpuE8ELNS1_3repE0EEENS1_59segmented_radix_sort_warp_sort_small_config_static_selectorELNS0_4arch9wavefront6targetE1EEEvSK_
; %bb.0:
	.section	.rodata,"a",@progbits
	.p2align	6, 0x0
	.amdhsa_kernel _ZN7rocprim17ROCPRIM_400000_NS6detail17trampoline_kernelINS0_14default_configENS1_36segmented_radix_sort_config_selectorIhlEEZNS1_25segmented_radix_sort_implIS3_Lb0EPKhPhPKlPlN2at6native12_GLOBAL__N_18offset_tEEE10hipError_tPvRmT1_PNSt15iterator_traitsISK_E10value_typeET2_T3_PNSL_ISQ_E10value_typeET4_jRbjT5_SW_jjP12ihipStream_tbEUlT_E1_NS1_11comp_targetILNS1_3genE4ELNS1_11target_archE910ELNS1_3gpuE8ELNS1_3repE0EEENS1_59segmented_radix_sort_warp_sort_small_config_static_selectorELNS0_4arch9wavefront6targetE1EEEvSK_
		.amdhsa_group_segment_fixed_size 0
		.amdhsa_private_segment_fixed_size 0
		.amdhsa_kernarg_size 88
		.amdhsa_user_sgpr_count 6
		.amdhsa_user_sgpr_private_segment_buffer 1
		.amdhsa_user_sgpr_dispatch_ptr 0
		.amdhsa_user_sgpr_queue_ptr 0
		.amdhsa_user_sgpr_kernarg_segment_ptr 1
		.amdhsa_user_sgpr_dispatch_id 0
		.amdhsa_user_sgpr_flat_scratch_init 0
		.amdhsa_user_sgpr_private_segment_size 0
		.amdhsa_uses_dynamic_stack 0
		.amdhsa_system_sgpr_private_segment_wavefront_offset 0
		.amdhsa_system_sgpr_workgroup_id_x 1
		.amdhsa_system_sgpr_workgroup_id_y 0
		.amdhsa_system_sgpr_workgroup_id_z 0
		.amdhsa_system_sgpr_workgroup_info 0
		.amdhsa_system_vgpr_workitem_id 0
		.amdhsa_next_free_vgpr 1
		.amdhsa_next_free_sgpr 0
		.amdhsa_reserve_vcc 0
		.amdhsa_reserve_flat_scratch 0
		.amdhsa_float_round_mode_32 0
		.amdhsa_float_round_mode_16_64 0
		.amdhsa_float_denorm_mode_32 3
		.amdhsa_float_denorm_mode_16_64 3
		.amdhsa_dx10_clamp 1
		.amdhsa_ieee_mode 1
		.amdhsa_fp16_overflow 0
		.amdhsa_exception_fp_ieee_invalid_op 0
		.amdhsa_exception_fp_denorm_src 0
		.amdhsa_exception_fp_ieee_div_zero 0
		.amdhsa_exception_fp_ieee_overflow 0
		.amdhsa_exception_fp_ieee_underflow 0
		.amdhsa_exception_fp_ieee_inexact 0
		.amdhsa_exception_int_div_zero 0
	.end_amdhsa_kernel
	.section	.text._ZN7rocprim17ROCPRIM_400000_NS6detail17trampoline_kernelINS0_14default_configENS1_36segmented_radix_sort_config_selectorIhlEEZNS1_25segmented_radix_sort_implIS3_Lb0EPKhPhPKlPlN2at6native12_GLOBAL__N_18offset_tEEE10hipError_tPvRmT1_PNSt15iterator_traitsISK_E10value_typeET2_T3_PNSL_ISQ_E10value_typeET4_jRbjT5_SW_jjP12ihipStream_tbEUlT_E1_NS1_11comp_targetILNS1_3genE4ELNS1_11target_archE910ELNS1_3gpuE8ELNS1_3repE0EEENS1_59segmented_radix_sort_warp_sort_small_config_static_selectorELNS0_4arch9wavefront6targetE1EEEvSK_,"axG",@progbits,_ZN7rocprim17ROCPRIM_400000_NS6detail17trampoline_kernelINS0_14default_configENS1_36segmented_radix_sort_config_selectorIhlEEZNS1_25segmented_radix_sort_implIS3_Lb0EPKhPhPKlPlN2at6native12_GLOBAL__N_18offset_tEEE10hipError_tPvRmT1_PNSt15iterator_traitsISK_E10value_typeET2_T3_PNSL_ISQ_E10value_typeET4_jRbjT5_SW_jjP12ihipStream_tbEUlT_E1_NS1_11comp_targetILNS1_3genE4ELNS1_11target_archE910ELNS1_3gpuE8ELNS1_3repE0EEENS1_59segmented_radix_sort_warp_sort_small_config_static_selectorELNS0_4arch9wavefront6targetE1EEEvSK_,comdat
.Lfunc_end208:
	.size	_ZN7rocprim17ROCPRIM_400000_NS6detail17trampoline_kernelINS0_14default_configENS1_36segmented_radix_sort_config_selectorIhlEEZNS1_25segmented_radix_sort_implIS3_Lb0EPKhPhPKlPlN2at6native12_GLOBAL__N_18offset_tEEE10hipError_tPvRmT1_PNSt15iterator_traitsISK_E10value_typeET2_T3_PNSL_ISQ_E10value_typeET4_jRbjT5_SW_jjP12ihipStream_tbEUlT_E1_NS1_11comp_targetILNS1_3genE4ELNS1_11target_archE910ELNS1_3gpuE8ELNS1_3repE0EEENS1_59segmented_radix_sort_warp_sort_small_config_static_selectorELNS0_4arch9wavefront6targetE1EEEvSK_, .Lfunc_end208-_ZN7rocprim17ROCPRIM_400000_NS6detail17trampoline_kernelINS0_14default_configENS1_36segmented_radix_sort_config_selectorIhlEEZNS1_25segmented_radix_sort_implIS3_Lb0EPKhPhPKlPlN2at6native12_GLOBAL__N_18offset_tEEE10hipError_tPvRmT1_PNSt15iterator_traitsISK_E10value_typeET2_T3_PNSL_ISQ_E10value_typeET4_jRbjT5_SW_jjP12ihipStream_tbEUlT_E1_NS1_11comp_targetILNS1_3genE4ELNS1_11target_archE910ELNS1_3gpuE8ELNS1_3repE0EEENS1_59segmented_radix_sort_warp_sort_small_config_static_selectorELNS0_4arch9wavefront6targetE1EEEvSK_
                                        ; -- End function
	.set _ZN7rocprim17ROCPRIM_400000_NS6detail17trampoline_kernelINS0_14default_configENS1_36segmented_radix_sort_config_selectorIhlEEZNS1_25segmented_radix_sort_implIS3_Lb0EPKhPhPKlPlN2at6native12_GLOBAL__N_18offset_tEEE10hipError_tPvRmT1_PNSt15iterator_traitsISK_E10value_typeET2_T3_PNSL_ISQ_E10value_typeET4_jRbjT5_SW_jjP12ihipStream_tbEUlT_E1_NS1_11comp_targetILNS1_3genE4ELNS1_11target_archE910ELNS1_3gpuE8ELNS1_3repE0EEENS1_59segmented_radix_sort_warp_sort_small_config_static_selectorELNS0_4arch9wavefront6targetE1EEEvSK_.num_vgpr, 0
	.set _ZN7rocprim17ROCPRIM_400000_NS6detail17trampoline_kernelINS0_14default_configENS1_36segmented_radix_sort_config_selectorIhlEEZNS1_25segmented_radix_sort_implIS3_Lb0EPKhPhPKlPlN2at6native12_GLOBAL__N_18offset_tEEE10hipError_tPvRmT1_PNSt15iterator_traitsISK_E10value_typeET2_T3_PNSL_ISQ_E10value_typeET4_jRbjT5_SW_jjP12ihipStream_tbEUlT_E1_NS1_11comp_targetILNS1_3genE4ELNS1_11target_archE910ELNS1_3gpuE8ELNS1_3repE0EEENS1_59segmented_radix_sort_warp_sort_small_config_static_selectorELNS0_4arch9wavefront6targetE1EEEvSK_.num_agpr, 0
	.set _ZN7rocprim17ROCPRIM_400000_NS6detail17trampoline_kernelINS0_14default_configENS1_36segmented_radix_sort_config_selectorIhlEEZNS1_25segmented_radix_sort_implIS3_Lb0EPKhPhPKlPlN2at6native12_GLOBAL__N_18offset_tEEE10hipError_tPvRmT1_PNSt15iterator_traitsISK_E10value_typeET2_T3_PNSL_ISQ_E10value_typeET4_jRbjT5_SW_jjP12ihipStream_tbEUlT_E1_NS1_11comp_targetILNS1_3genE4ELNS1_11target_archE910ELNS1_3gpuE8ELNS1_3repE0EEENS1_59segmented_radix_sort_warp_sort_small_config_static_selectorELNS0_4arch9wavefront6targetE1EEEvSK_.numbered_sgpr, 0
	.set _ZN7rocprim17ROCPRIM_400000_NS6detail17trampoline_kernelINS0_14default_configENS1_36segmented_radix_sort_config_selectorIhlEEZNS1_25segmented_radix_sort_implIS3_Lb0EPKhPhPKlPlN2at6native12_GLOBAL__N_18offset_tEEE10hipError_tPvRmT1_PNSt15iterator_traitsISK_E10value_typeET2_T3_PNSL_ISQ_E10value_typeET4_jRbjT5_SW_jjP12ihipStream_tbEUlT_E1_NS1_11comp_targetILNS1_3genE4ELNS1_11target_archE910ELNS1_3gpuE8ELNS1_3repE0EEENS1_59segmented_radix_sort_warp_sort_small_config_static_selectorELNS0_4arch9wavefront6targetE1EEEvSK_.num_named_barrier, 0
	.set _ZN7rocprim17ROCPRIM_400000_NS6detail17trampoline_kernelINS0_14default_configENS1_36segmented_radix_sort_config_selectorIhlEEZNS1_25segmented_radix_sort_implIS3_Lb0EPKhPhPKlPlN2at6native12_GLOBAL__N_18offset_tEEE10hipError_tPvRmT1_PNSt15iterator_traitsISK_E10value_typeET2_T3_PNSL_ISQ_E10value_typeET4_jRbjT5_SW_jjP12ihipStream_tbEUlT_E1_NS1_11comp_targetILNS1_3genE4ELNS1_11target_archE910ELNS1_3gpuE8ELNS1_3repE0EEENS1_59segmented_radix_sort_warp_sort_small_config_static_selectorELNS0_4arch9wavefront6targetE1EEEvSK_.private_seg_size, 0
	.set _ZN7rocprim17ROCPRIM_400000_NS6detail17trampoline_kernelINS0_14default_configENS1_36segmented_radix_sort_config_selectorIhlEEZNS1_25segmented_radix_sort_implIS3_Lb0EPKhPhPKlPlN2at6native12_GLOBAL__N_18offset_tEEE10hipError_tPvRmT1_PNSt15iterator_traitsISK_E10value_typeET2_T3_PNSL_ISQ_E10value_typeET4_jRbjT5_SW_jjP12ihipStream_tbEUlT_E1_NS1_11comp_targetILNS1_3genE4ELNS1_11target_archE910ELNS1_3gpuE8ELNS1_3repE0EEENS1_59segmented_radix_sort_warp_sort_small_config_static_selectorELNS0_4arch9wavefront6targetE1EEEvSK_.uses_vcc, 0
	.set _ZN7rocprim17ROCPRIM_400000_NS6detail17trampoline_kernelINS0_14default_configENS1_36segmented_radix_sort_config_selectorIhlEEZNS1_25segmented_radix_sort_implIS3_Lb0EPKhPhPKlPlN2at6native12_GLOBAL__N_18offset_tEEE10hipError_tPvRmT1_PNSt15iterator_traitsISK_E10value_typeET2_T3_PNSL_ISQ_E10value_typeET4_jRbjT5_SW_jjP12ihipStream_tbEUlT_E1_NS1_11comp_targetILNS1_3genE4ELNS1_11target_archE910ELNS1_3gpuE8ELNS1_3repE0EEENS1_59segmented_radix_sort_warp_sort_small_config_static_selectorELNS0_4arch9wavefront6targetE1EEEvSK_.uses_flat_scratch, 0
	.set _ZN7rocprim17ROCPRIM_400000_NS6detail17trampoline_kernelINS0_14default_configENS1_36segmented_radix_sort_config_selectorIhlEEZNS1_25segmented_radix_sort_implIS3_Lb0EPKhPhPKlPlN2at6native12_GLOBAL__N_18offset_tEEE10hipError_tPvRmT1_PNSt15iterator_traitsISK_E10value_typeET2_T3_PNSL_ISQ_E10value_typeET4_jRbjT5_SW_jjP12ihipStream_tbEUlT_E1_NS1_11comp_targetILNS1_3genE4ELNS1_11target_archE910ELNS1_3gpuE8ELNS1_3repE0EEENS1_59segmented_radix_sort_warp_sort_small_config_static_selectorELNS0_4arch9wavefront6targetE1EEEvSK_.has_dyn_sized_stack, 0
	.set _ZN7rocprim17ROCPRIM_400000_NS6detail17trampoline_kernelINS0_14default_configENS1_36segmented_radix_sort_config_selectorIhlEEZNS1_25segmented_radix_sort_implIS3_Lb0EPKhPhPKlPlN2at6native12_GLOBAL__N_18offset_tEEE10hipError_tPvRmT1_PNSt15iterator_traitsISK_E10value_typeET2_T3_PNSL_ISQ_E10value_typeET4_jRbjT5_SW_jjP12ihipStream_tbEUlT_E1_NS1_11comp_targetILNS1_3genE4ELNS1_11target_archE910ELNS1_3gpuE8ELNS1_3repE0EEENS1_59segmented_radix_sort_warp_sort_small_config_static_selectorELNS0_4arch9wavefront6targetE1EEEvSK_.has_recursion, 0
	.set _ZN7rocprim17ROCPRIM_400000_NS6detail17trampoline_kernelINS0_14default_configENS1_36segmented_radix_sort_config_selectorIhlEEZNS1_25segmented_radix_sort_implIS3_Lb0EPKhPhPKlPlN2at6native12_GLOBAL__N_18offset_tEEE10hipError_tPvRmT1_PNSt15iterator_traitsISK_E10value_typeET2_T3_PNSL_ISQ_E10value_typeET4_jRbjT5_SW_jjP12ihipStream_tbEUlT_E1_NS1_11comp_targetILNS1_3genE4ELNS1_11target_archE910ELNS1_3gpuE8ELNS1_3repE0EEENS1_59segmented_radix_sort_warp_sort_small_config_static_selectorELNS0_4arch9wavefront6targetE1EEEvSK_.has_indirect_call, 0
	.section	.AMDGPU.csdata,"",@progbits
; Kernel info:
; codeLenInByte = 0
; TotalNumSgprs: 4
; NumVgprs: 0
; ScratchSize: 0
; MemoryBound: 0
; FloatMode: 240
; IeeeMode: 1
; LDSByteSize: 0 bytes/workgroup (compile time only)
; SGPRBlocks: 0
; VGPRBlocks: 0
; NumSGPRsForWavesPerEU: 4
; NumVGPRsForWavesPerEU: 1
; Occupancy: 10
; WaveLimiterHint : 0
; COMPUTE_PGM_RSRC2:SCRATCH_EN: 0
; COMPUTE_PGM_RSRC2:USER_SGPR: 6
; COMPUTE_PGM_RSRC2:TRAP_HANDLER: 0
; COMPUTE_PGM_RSRC2:TGID_X_EN: 1
; COMPUTE_PGM_RSRC2:TGID_Y_EN: 0
; COMPUTE_PGM_RSRC2:TGID_Z_EN: 0
; COMPUTE_PGM_RSRC2:TIDIG_COMP_CNT: 0
	.section	.text._ZN7rocprim17ROCPRIM_400000_NS6detail17trampoline_kernelINS0_14default_configENS1_36segmented_radix_sort_config_selectorIhlEEZNS1_25segmented_radix_sort_implIS3_Lb0EPKhPhPKlPlN2at6native12_GLOBAL__N_18offset_tEEE10hipError_tPvRmT1_PNSt15iterator_traitsISK_E10value_typeET2_T3_PNSL_ISQ_E10value_typeET4_jRbjT5_SW_jjP12ihipStream_tbEUlT_E1_NS1_11comp_targetILNS1_3genE3ELNS1_11target_archE908ELNS1_3gpuE7ELNS1_3repE0EEENS1_59segmented_radix_sort_warp_sort_small_config_static_selectorELNS0_4arch9wavefront6targetE1EEEvSK_,"axG",@progbits,_ZN7rocprim17ROCPRIM_400000_NS6detail17trampoline_kernelINS0_14default_configENS1_36segmented_radix_sort_config_selectorIhlEEZNS1_25segmented_radix_sort_implIS3_Lb0EPKhPhPKlPlN2at6native12_GLOBAL__N_18offset_tEEE10hipError_tPvRmT1_PNSt15iterator_traitsISK_E10value_typeET2_T3_PNSL_ISQ_E10value_typeET4_jRbjT5_SW_jjP12ihipStream_tbEUlT_E1_NS1_11comp_targetILNS1_3genE3ELNS1_11target_archE908ELNS1_3gpuE7ELNS1_3repE0EEENS1_59segmented_radix_sort_warp_sort_small_config_static_selectorELNS0_4arch9wavefront6targetE1EEEvSK_,comdat
	.globl	_ZN7rocprim17ROCPRIM_400000_NS6detail17trampoline_kernelINS0_14default_configENS1_36segmented_radix_sort_config_selectorIhlEEZNS1_25segmented_radix_sort_implIS3_Lb0EPKhPhPKlPlN2at6native12_GLOBAL__N_18offset_tEEE10hipError_tPvRmT1_PNSt15iterator_traitsISK_E10value_typeET2_T3_PNSL_ISQ_E10value_typeET4_jRbjT5_SW_jjP12ihipStream_tbEUlT_E1_NS1_11comp_targetILNS1_3genE3ELNS1_11target_archE908ELNS1_3gpuE7ELNS1_3repE0EEENS1_59segmented_radix_sort_warp_sort_small_config_static_selectorELNS0_4arch9wavefront6targetE1EEEvSK_ ; -- Begin function _ZN7rocprim17ROCPRIM_400000_NS6detail17trampoline_kernelINS0_14default_configENS1_36segmented_radix_sort_config_selectorIhlEEZNS1_25segmented_radix_sort_implIS3_Lb0EPKhPhPKlPlN2at6native12_GLOBAL__N_18offset_tEEE10hipError_tPvRmT1_PNSt15iterator_traitsISK_E10value_typeET2_T3_PNSL_ISQ_E10value_typeET4_jRbjT5_SW_jjP12ihipStream_tbEUlT_E1_NS1_11comp_targetILNS1_3genE3ELNS1_11target_archE908ELNS1_3gpuE7ELNS1_3repE0EEENS1_59segmented_radix_sort_warp_sort_small_config_static_selectorELNS0_4arch9wavefront6targetE1EEEvSK_
	.p2align	8
	.type	_ZN7rocprim17ROCPRIM_400000_NS6detail17trampoline_kernelINS0_14default_configENS1_36segmented_radix_sort_config_selectorIhlEEZNS1_25segmented_radix_sort_implIS3_Lb0EPKhPhPKlPlN2at6native12_GLOBAL__N_18offset_tEEE10hipError_tPvRmT1_PNSt15iterator_traitsISK_E10value_typeET2_T3_PNSL_ISQ_E10value_typeET4_jRbjT5_SW_jjP12ihipStream_tbEUlT_E1_NS1_11comp_targetILNS1_3genE3ELNS1_11target_archE908ELNS1_3gpuE7ELNS1_3repE0EEENS1_59segmented_radix_sort_warp_sort_small_config_static_selectorELNS0_4arch9wavefront6targetE1EEEvSK_,@function
_ZN7rocprim17ROCPRIM_400000_NS6detail17trampoline_kernelINS0_14default_configENS1_36segmented_radix_sort_config_selectorIhlEEZNS1_25segmented_radix_sort_implIS3_Lb0EPKhPhPKlPlN2at6native12_GLOBAL__N_18offset_tEEE10hipError_tPvRmT1_PNSt15iterator_traitsISK_E10value_typeET2_T3_PNSL_ISQ_E10value_typeET4_jRbjT5_SW_jjP12ihipStream_tbEUlT_E1_NS1_11comp_targetILNS1_3genE3ELNS1_11target_archE908ELNS1_3gpuE7ELNS1_3repE0EEENS1_59segmented_radix_sort_warp_sort_small_config_static_selectorELNS0_4arch9wavefront6targetE1EEEvSK_: ; @_ZN7rocprim17ROCPRIM_400000_NS6detail17trampoline_kernelINS0_14default_configENS1_36segmented_radix_sort_config_selectorIhlEEZNS1_25segmented_radix_sort_implIS3_Lb0EPKhPhPKlPlN2at6native12_GLOBAL__N_18offset_tEEE10hipError_tPvRmT1_PNSt15iterator_traitsISK_E10value_typeET2_T3_PNSL_ISQ_E10value_typeET4_jRbjT5_SW_jjP12ihipStream_tbEUlT_E1_NS1_11comp_targetILNS1_3genE3ELNS1_11target_archE908ELNS1_3gpuE7ELNS1_3repE0EEENS1_59segmented_radix_sort_warp_sort_small_config_static_selectorELNS0_4arch9wavefront6targetE1EEEvSK_
; %bb.0:
	.section	.rodata,"a",@progbits
	.p2align	6, 0x0
	.amdhsa_kernel _ZN7rocprim17ROCPRIM_400000_NS6detail17trampoline_kernelINS0_14default_configENS1_36segmented_radix_sort_config_selectorIhlEEZNS1_25segmented_radix_sort_implIS3_Lb0EPKhPhPKlPlN2at6native12_GLOBAL__N_18offset_tEEE10hipError_tPvRmT1_PNSt15iterator_traitsISK_E10value_typeET2_T3_PNSL_ISQ_E10value_typeET4_jRbjT5_SW_jjP12ihipStream_tbEUlT_E1_NS1_11comp_targetILNS1_3genE3ELNS1_11target_archE908ELNS1_3gpuE7ELNS1_3repE0EEENS1_59segmented_radix_sort_warp_sort_small_config_static_selectorELNS0_4arch9wavefront6targetE1EEEvSK_
		.amdhsa_group_segment_fixed_size 0
		.amdhsa_private_segment_fixed_size 0
		.amdhsa_kernarg_size 88
		.amdhsa_user_sgpr_count 6
		.amdhsa_user_sgpr_private_segment_buffer 1
		.amdhsa_user_sgpr_dispatch_ptr 0
		.amdhsa_user_sgpr_queue_ptr 0
		.amdhsa_user_sgpr_kernarg_segment_ptr 1
		.amdhsa_user_sgpr_dispatch_id 0
		.amdhsa_user_sgpr_flat_scratch_init 0
		.amdhsa_user_sgpr_private_segment_size 0
		.amdhsa_uses_dynamic_stack 0
		.amdhsa_system_sgpr_private_segment_wavefront_offset 0
		.amdhsa_system_sgpr_workgroup_id_x 1
		.amdhsa_system_sgpr_workgroup_id_y 0
		.amdhsa_system_sgpr_workgroup_id_z 0
		.amdhsa_system_sgpr_workgroup_info 0
		.amdhsa_system_vgpr_workitem_id 0
		.amdhsa_next_free_vgpr 1
		.amdhsa_next_free_sgpr 0
		.amdhsa_reserve_vcc 0
		.amdhsa_reserve_flat_scratch 0
		.amdhsa_float_round_mode_32 0
		.amdhsa_float_round_mode_16_64 0
		.amdhsa_float_denorm_mode_32 3
		.amdhsa_float_denorm_mode_16_64 3
		.amdhsa_dx10_clamp 1
		.amdhsa_ieee_mode 1
		.amdhsa_fp16_overflow 0
		.amdhsa_exception_fp_ieee_invalid_op 0
		.amdhsa_exception_fp_denorm_src 0
		.amdhsa_exception_fp_ieee_div_zero 0
		.amdhsa_exception_fp_ieee_overflow 0
		.amdhsa_exception_fp_ieee_underflow 0
		.amdhsa_exception_fp_ieee_inexact 0
		.amdhsa_exception_int_div_zero 0
	.end_amdhsa_kernel
	.section	.text._ZN7rocprim17ROCPRIM_400000_NS6detail17trampoline_kernelINS0_14default_configENS1_36segmented_radix_sort_config_selectorIhlEEZNS1_25segmented_radix_sort_implIS3_Lb0EPKhPhPKlPlN2at6native12_GLOBAL__N_18offset_tEEE10hipError_tPvRmT1_PNSt15iterator_traitsISK_E10value_typeET2_T3_PNSL_ISQ_E10value_typeET4_jRbjT5_SW_jjP12ihipStream_tbEUlT_E1_NS1_11comp_targetILNS1_3genE3ELNS1_11target_archE908ELNS1_3gpuE7ELNS1_3repE0EEENS1_59segmented_radix_sort_warp_sort_small_config_static_selectorELNS0_4arch9wavefront6targetE1EEEvSK_,"axG",@progbits,_ZN7rocprim17ROCPRIM_400000_NS6detail17trampoline_kernelINS0_14default_configENS1_36segmented_radix_sort_config_selectorIhlEEZNS1_25segmented_radix_sort_implIS3_Lb0EPKhPhPKlPlN2at6native12_GLOBAL__N_18offset_tEEE10hipError_tPvRmT1_PNSt15iterator_traitsISK_E10value_typeET2_T3_PNSL_ISQ_E10value_typeET4_jRbjT5_SW_jjP12ihipStream_tbEUlT_E1_NS1_11comp_targetILNS1_3genE3ELNS1_11target_archE908ELNS1_3gpuE7ELNS1_3repE0EEENS1_59segmented_radix_sort_warp_sort_small_config_static_selectorELNS0_4arch9wavefront6targetE1EEEvSK_,comdat
.Lfunc_end209:
	.size	_ZN7rocprim17ROCPRIM_400000_NS6detail17trampoline_kernelINS0_14default_configENS1_36segmented_radix_sort_config_selectorIhlEEZNS1_25segmented_radix_sort_implIS3_Lb0EPKhPhPKlPlN2at6native12_GLOBAL__N_18offset_tEEE10hipError_tPvRmT1_PNSt15iterator_traitsISK_E10value_typeET2_T3_PNSL_ISQ_E10value_typeET4_jRbjT5_SW_jjP12ihipStream_tbEUlT_E1_NS1_11comp_targetILNS1_3genE3ELNS1_11target_archE908ELNS1_3gpuE7ELNS1_3repE0EEENS1_59segmented_radix_sort_warp_sort_small_config_static_selectorELNS0_4arch9wavefront6targetE1EEEvSK_, .Lfunc_end209-_ZN7rocprim17ROCPRIM_400000_NS6detail17trampoline_kernelINS0_14default_configENS1_36segmented_radix_sort_config_selectorIhlEEZNS1_25segmented_radix_sort_implIS3_Lb0EPKhPhPKlPlN2at6native12_GLOBAL__N_18offset_tEEE10hipError_tPvRmT1_PNSt15iterator_traitsISK_E10value_typeET2_T3_PNSL_ISQ_E10value_typeET4_jRbjT5_SW_jjP12ihipStream_tbEUlT_E1_NS1_11comp_targetILNS1_3genE3ELNS1_11target_archE908ELNS1_3gpuE7ELNS1_3repE0EEENS1_59segmented_radix_sort_warp_sort_small_config_static_selectorELNS0_4arch9wavefront6targetE1EEEvSK_
                                        ; -- End function
	.set _ZN7rocprim17ROCPRIM_400000_NS6detail17trampoline_kernelINS0_14default_configENS1_36segmented_radix_sort_config_selectorIhlEEZNS1_25segmented_radix_sort_implIS3_Lb0EPKhPhPKlPlN2at6native12_GLOBAL__N_18offset_tEEE10hipError_tPvRmT1_PNSt15iterator_traitsISK_E10value_typeET2_T3_PNSL_ISQ_E10value_typeET4_jRbjT5_SW_jjP12ihipStream_tbEUlT_E1_NS1_11comp_targetILNS1_3genE3ELNS1_11target_archE908ELNS1_3gpuE7ELNS1_3repE0EEENS1_59segmented_radix_sort_warp_sort_small_config_static_selectorELNS0_4arch9wavefront6targetE1EEEvSK_.num_vgpr, 0
	.set _ZN7rocprim17ROCPRIM_400000_NS6detail17trampoline_kernelINS0_14default_configENS1_36segmented_radix_sort_config_selectorIhlEEZNS1_25segmented_radix_sort_implIS3_Lb0EPKhPhPKlPlN2at6native12_GLOBAL__N_18offset_tEEE10hipError_tPvRmT1_PNSt15iterator_traitsISK_E10value_typeET2_T3_PNSL_ISQ_E10value_typeET4_jRbjT5_SW_jjP12ihipStream_tbEUlT_E1_NS1_11comp_targetILNS1_3genE3ELNS1_11target_archE908ELNS1_3gpuE7ELNS1_3repE0EEENS1_59segmented_radix_sort_warp_sort_small_config_static_selectorELNS0_4arch9wavefront6targetE1EEEvSK_.num_agpr, 0
	.set _ZN7rocprim17ROCPRIM_400000_NS6detail17trampoline_kernelINS0_14default_configENS1_36segmented_radix_sort_config_selectorIhlEEZNS1_25segmented_radix_sort_implIS3_Lb0EPKhPhPKlPlN2at6native12_GLOBAL__N_18offset_tEEE10hipError_tPvRmT1_PNSt15iterator_traitsISK_E10value_typeET2_T3_PNSL_ISQ_E10value_typeET4_jRbjT5_SW_jjP12ihipStream_tbEUlT_E1_NS1_11comp_targetILNS1_3genE3ELNS1_11target_archE908ELNS1_3gpuE7ELNS1_3repE0EEENS1_59segmented_radix_sort_warp_sort_small_config_static_selectorELNS0_4arch9wavefront6targetE1EEEvSK_.numbered_sgpr, 0
	.set _ZN7rocprim17ROCPRIM_400000_NS6detail17trampoline_kernelINS0_14default_configENS1_36segmented_radix_sort_config_selectorIhlEEZNS1_25segmented_radix_sort_implIS3_Lb0EPKhPhPKlPlN2at6native12_GLOBAL__N_18offset_tEEE10hipError_tPvRmT1_PNSt15iterator_traitsISK_E10value_typeET2_T3_PNSL_ISQ_E10value_typeET4_jRbjT5_SW_jjP12ihipStream_tbEUlT_E1_NS1_11comp_targetILNS1_3genE3ELNS1_11target_archE908ELNS1_3gpuE7ELNS1_3repE0EEENS1_59segmented_radix_sort_warp_sort_small_config_static_selectorELNS0_4arch9wavefront6targetE1EEEvSK_.num_named_barrier, 0
	.set _ZN7rocprim17ROCPRIM_400000_NS6detail17trampoline_kernelINS0_14default_configENS1_36segmented_radix_sort_config_selectorIhlEEZNS1_25segmented_radix_sort_implIS3_Lb0EPKhPhPKlPlN2at6native12_GLOBAL__N_18offset_tEEE10hipError_tPvRmT1_PNSt15iterator_traitsISK_E10value_typeET2_T3_PNSL_ISQ_E10value_typeET4_jRbjT5_SW_jjP12ihipStream_tbEUlT_E1_NS1_11comp_targetILNS1_3genE3ELNS1_11target_archE908ELNS1_3gpuE7ELNS1_3repE0EEENS1_59segmented_radix_sort_warp_sort_small_config_static_selectorELNS0_4arch9wavefront6targetE1EEEvSK_.private_seg_size, 0
	.set _ZN7rocprim17ROCPRIM_400000_NS6detail17trampoline_kernelINS0_14default_configENS1_36segmented_radix_sort_config_selectorIhlEEZNS1_25segmented_radix_sort_implIS3_Lb0EPKhPhPKlPlN2at6native12_GLOBAL__N_18offset_tEEE10hipError_tPvRmT1_PNSt15iterator_traitsISK_E10value_typeET2_T3_PNSL_ISQ_E10value_typeET4_jRbjT5_SW_jjP12ihipStream_tbEUlT_E1_NS1_11comp_targetILNS1_3genE3ELNS1_11target_archE908ELNS1_3gpuE7ELNS1_3repE0EEENS1_59segmented_radix_sort_warp_sort_small_config_static_selectorELNS0_4arch9wavefront6targetE1EEEvSK_.uses_vcc, 0
	.set _ZN7rocprim17ROCPRIM_400000_NS6detail17trampoline_kernelINS0_14default_configENS1_36segmented_radix_sort_config_selectorIhlEEZNS1_25segmented_radix_sort_implIS3_Lb0EPKhPhPKlPlN2at6native12_GLOBAL__N_18offset_tEEE10hipError_tPvRmT1_PNSt15iterator_traitsISK_E10value_typeET2_T3_PNSL_ISQ_E10value_typeET4_jRbjT5_SW_jjP12ihipStream_tbEUlT_E1_NS1_11comp_targetILNS1_3genE3ELNS1_11target_archE908ELNS1_3gpuE7ELNS1_3repE0EEENS1_59segmented_radix_sort_warp_sort_small_config_static_selectorELNS0_4arch9wavefront6targetE1EEEvSK_.uses_flat_scratch, 0
	.set _ZN7rocprim17ROCPRIM_400000_NS6detail17trampoline_kernelINS0_14default_configENS1_36segmented_radix_sort_config_selectorIhlEEZNS1_25segmented_radix_sort_implIS3_Lb0EPKhPhPKlPlN2at6native12_GLOBAL__N_18offset_tEEE10hipError_tPvRmT1_PNSt15iterator_traitsISK_E10value_typeET2_T3_PNSL_ISQ_E10value_typeET4_jRbjT5_SW_jjP12ihipStream_tbEUlT_E1_NS1_11comp_targetILNS1_3genE3ELNS1_11target_archE908ELNS1_3gpuE7ELNS1_3repE0EEENS1_59segmented_radix_sort_warp_sort_small_config_static_selectorELNS0_4arch9wavefront6targetE1EEEvSK_.has_dyn_sized_stack, 0
	.set _ZN7rocprim17ROCPRIM_400000_NS6detail17trampoline_kernelINS0_14default_configENS1_36segmented_radix_sort_config_selectorIhlEEZNS1_25segmented_radix_sort_implIS3_Lb0EPKhPhPKlPlN2at6native12_GLOBAL__N_18offset_tEEE10hipError_tPvRmT1_PNSt15iterator_traitsISK_E10value_typeET2_T3_PNSL_ISQ_E10value_typeET4_jRbjT5_SW_jjP12ihipStream_tbEUlT_E1_NS1_11comp_targetILNS1_3genE3ELNS1_11target_archE908ELNS1_3gpuE7ELNS1_3repE0EEENS1_59segmented_radix_sort_warp_sort_small_config_static_selectorELNS0_4arch9wavefront6targetE1EEEvSK_.has_recursion, 0
	.set _ZN7rocprim17ROCPRIM_400000_NS6detail17trampoline_kernelINS0_14default_configENS1_36segmented_radix_sort_config_selectorIhlEEZNS1_25segmented_radix_sort_implIS3_Lb0EPKhPhPKlPlN2at6native12_GLOBAL__N_18offset_tEEE10hipError_tPvRmT1_PNSt15iterator_traitsISK_E10value_typeET2_T3_PNSL_ISQ_E10value_typeET4_jRbjT5_SW_jjP12ihipStream_tbEUlT_E1_NS1_11comp_targetILNS1_3genE3ELNS1_11target_archE908ELNS1_3gpuE7ELNS1_3repE0EEENS1_59segmented_radix_sort_warp_sort_small_config_static_selectorELNS0_4arch9wavefront6targetE1EEEvSK_.has_indirect_call, 0
	.section	.AMDGPU.csdata,"",@progbits
; Kernel info:
; codeLenInByte = 0
; TotalNumSgprs: 4
; NumVgprs: 0
; ScratchSize: 0
; MemoryBound: 0
; FloatMode: 240
; IeeeMode: 1
; LDSByteSize: 0 bytes/workgroup (compile time only)
; SGPRBlocks: 0
; VGPRBlocks: 0
; NumSGPRsForWavesPerEU: 4
; NumVGPRsForWavesPerEU: 1
; Occupancy: 10
; WaveLimiterHint : 0
; COMPUTE_PGM_RSRC2:SCRATCH_EN: 0
; COMPUTE_PGM_RSRC2:USER_SGPR: 6
; COMPUTE_PGM_RSRC2:TRAP_HANDLER: 0
; COMPUTE_PGM_RSRC2:TGID_X_EN: 1
; COMPUTE_PGM_RSRC2:TGID_Y_EN: 0
; COMPUTE_PGM_RSRC2:TGID_Z_EN: 0
; COMPUTE_PGM_RSRC2:TIDIG_COMP_CNT: 0
	.text
	.p2align	2                               ; -- Begin function _ZN7rocprim17ROCPRIM_400000_NS6detail26segmented_warp_sort_helperINS1_20WarpSortHelperConfigILj8ELj4ELj256EEEhlLi256ELb0EvE4sortIPKhPhPKlPlEEvT_T0_T1_T2_jjjjRNS5_12storage_typeE
	.type	_ZN7rocprim17ROCPRIM_400000_NS6detail26segmented_warp_sort_helperINS1_20WarpSortHelperConfigILj8ELj4ELj256EEEhlLi256ELb0EvE4sortIPKhPhPKlPlEEvT_T0_T1_T2_jjjjRNS5_12storage_typeE,@function
_ZN7rocprim17ROCPRIM_400000_NS6detail26segmented_warp_sort_helperINS1_20WarpSortHelperConfigILj8ELj4ELj256EEEhlLi256ELb0EvE4sortIPKhPhPKlPlEEvT_T0_T1_T2_jjjjRNS5_12storage_typeE: ; @_ZN7rocprim17ROCPRIM_400000_NS6detail26segmented_warp_sort_helperINS1_20WarpSortHelperConfigILj8ELj4ELj256EEEhlLi256ELb0EvE4sortIPKhPhPKlPlEEvT_T0_T1_T2_jjjjRNS5_12storage_typeE
; %bb.0:
	s_waitcnt vmcnt(0) expcnt(0) lgkmcnt(0)
	v_mbcnt_lo_u32_b32 v15, -1, 0
	v_mbcnt_hi_u32_b32 v15, -1, v15
	v_add_co_u32_e32 v0, vcc, v0, v8
	v_lshlrev_b32_e32 v24, 2, v15
	v_addc_co_u32_e32 v1, vcc, 0, v1, vcc
	v_and_b32_e32 v22, 28, v24
	v_add_co_u32_e32 v0, vcc, v0, v22
	v_sub_u32_e32 v14, v9, v8
	v_addc_co_u32_e32 v1, vcc, 0, v1, vcc
	v_mov_b32_e32 v9, 0
	v_cmp_lt_u32_e32 vcc, v22, v14
	v_mov_b32_e32 v28, 0xff
	v_mov_b32_e32 v25, 0xff
	;; [unrolled: 1-line block ×4, first 2 shown]
	s_and_saveexec_b64 s[4:5], vcc
	s_cbranch_execz .LBB210_2
; %bb.1:
	flat_load_ubyte v25, v[0:1]
	v_mov_b32_e32 v28, 0xff
	v_mov_b32_e32 v26, 0xff
	;; [unrolled: 1-line block ×3, first 2 shown]
.LBB210_2:
	s_or_b64 exec, exec, s[4:5]
	v_or_b32_e32 v15, 1, v22
	v_cmp_lt_u32_e64 s[4:5], v15, v14
	s_and_saveexec_b64 s[6:7], s[4:5]
	s_cbranch_execz .LBB210_4
; %bb.3:
	flat_load_ubyte v26, v[0:1] offset:1
.LBB210_4:
	s_or_b64 exec, exec, s[6:7]
	v_or_b32_e32 v15, 2, v22
	v_cmp_lt_u32_e64 s[6:7], v15, v14
	s_and_saveexec_b64 s[10:11], s[6:7]
	s_cbranch_execz .LBB210_6
; %bb.5:
	flat_load_ubyte v27, v[0:1] offset:2
.LBB210_6:
	;; [unrolled: 8-line block ×3, first 2 shown]
	s_or_b64 exec, exec, s[14:15]
	v_lshlrev_b64 v[0:1], 3, v[8:9]
	v_lshlrev_b32_e32 v23, 3, v22
	v_add_co_u32_e64 v4, s[14:15], v4, v0
	v_addc_co_u32_e64 v5, s[14:15], v5, v1, s[14:15]
	v_add_co_u32_e64 v20, s[14:15], v4, v23
	v_addc_co_u32_e64 v21, s[14:15], 0, v5, s[14:15]
	; wave barrier
                                        ; implicit-def: $vgpr4_vgpr5
	s_and_saveexec_b64 s[14:15], vcc
	s_cbranch_execnz .LBB210_107
; %bb.9:
	s_or_b64 exec, exec, s[14:15]
                                        ; implicit-def: $vgpr14_vgpr15
	s_and_saveexec_b64 s[14:15], s[4:5]
	s_cbranch_execnz .LBB210_108
.LBB210_10:
	s_or_b64 exec, exec, s[14:15]
                                        ; implicit-def: $vgpr18_vgpr19
	s_and_saveexec_b64 s[14:15], s[6:7]
	s_cbranch_execnz .LBB210_109
.LBB210_11:
	s_or_b64 exec, exec, s[14:15]
                                        ; implicit-def: $vgpr16_vgpr17
	s_and_saveexec_b64 s[14:15], s[10:11]
	s_cbranch_execz .LBB210_13
.LBB210_12:
	flat_load_dwordx2 v[16:17], v[20:21] offset:24
.LBB210_13:
	s_or_b64 exec, exec, s[14:15]
	v_cmp_ne_u32_e64 s[14:15], 0, v10
	v_cmp_ne_u32_e64 s[16:17], 8, v11
	s_or_b64 s[14:15], s[14:15], s[16:17]
	v_bfe_u32 v9, v31, 10, 10
	v_bfe_u32 v20, v31, 20, 10
	; wave barrier
	s_and_saveexec_b64 s[16:17], s[14:15]
	s_xor_b64 s[24:25], exec, s[16:17]
	s_cbranch_execz .LBB210_55
; %bb.14:
	s_load_dwordx2 s[14:15], s[8:9], 0x0
	v_mov_b32_e32 v21, 0
	v_lshlrev_b32_e64 v11, v11, -1
	v_lshlrev_b32_e64 v10, v10, -1
	s_waitcnt lgkmcnt(0)
	s_cmp_lt_u32 s13, s15
	s_cselect_b32 s15, 14, 20
	s_add_u32 s16, s8, s15
	s_addc_u32 s17, s9, 0
	s_cmp_lt_u32 s12, s14
	s_cselect_b32 s14, 12, 18
	s_add_u32 s14, s8, s14
	s_addc_u32 s15, s9, 0
	global_load_ushort v29, v21, s[16:17]
	global_load_ushort v30, v21, s[14:15]
	s_movk_i32 s14, 0x400
	s_waitcnt vmcnt(0)
	v_mad_u32_u24 v9, v20, v29, v9
	v_mul_lo_u32 v9, v9, v30
	v_and_b32_e32 v20, 0x3ff, v31
	v_xor_b32_e32 v29, v11, v10
	v_add_lshl_u32 v11, v9, v20, 2
	v_cmp_gt_u32_e64 s[14:15], s14, v11
	s_and_saveexec_b64 s[18:19], s[14:15]
	s_cbranch_execz .LBB210_24
; %bb.15:
	s_mov_b32 s14, 0xc0c0004
	v_perm_b32 v9, v27, v28, s14
	v_lshlrev_b32_e32 v9, 16, v9
	v_perm_b32 v10, v26, v25, s14
	v_perm_b32 v20, v25, v26, s14
	v_or_b32_e32 v10, v10, v9
	v_or_b32_e32 v9, v20, v9
	v_and_b32_e32 v20, v26, v29
	v_and_b32_e32 v21, v25, v29
	v_cmp_gt_u16_sdwa s[16:17], v21, v20 src0_sel:BYTE_0 src1_sel:BYTE_0
	v_cndmask_b32_e64 v25, v9, v10, s[16:17]
	v_lshrrev_b32_e32 v27, 16, v25
	v_lshrrev_b32_e32 v20, 24, v25
	v_and_b32_e32 v21, v20, v29
	v_and_b32_e32 v31, v27, v29
	v_mov_b32_e32 v9, v18
	v_lshrrev_b32_e32 v26, 8, v25
	v_cmp_gt_u16_sdwa s[20:21], v31, v21 src0_sel:BYTE_0 src1_sel:DWORD
	v_mov_b32_e32 v10, v19
	v_mov_b32_e32 v28, v20
	s_and_saveexec_b64 s[14:15], s[20:21]
; %bb.16:
	v_mov_b32_e32 v9, v16
	v_mov_b32_e32 v10, v17
	;; [unrolled: 1-line block ×7, first 2 shown]
; %bb.17:
	s_or_b64 exec, exec, s[14:15]
	v_cndmask_b32_e64 v20, v14, v4, s[16:17]
	v_cndmask_b32_e64 v21, v15, v5, s[16:17]
	v_and_b32_e32 v30, v26, v29
	v_mov_b32_e32 v18, v20
	v_cmp_gt_u16_sdwa s[14:15], v30, v31 src0_sel:BYTE_0 src1_sel:BYTE_0
	v_mov_b32_e32 v19, v21
	s_and_saveexec_b64 s[20:21], s[14:15]
	s_xor_b64 s[14:15], exec, s[20:21]
; %bb.18:
	v_mov_b32_e32 v19, v10
	v_and_b32_e32 v30, v27, v29
	v_mov_b32_e32 v31, v26
	v_mov_b32_e32 v18, v9
	;; [unrolled: 1-line block ×3, first 2 shown]
	v_swap_b32 v26, v27
	v_mov_b32_e32 v10, v21
; %bb.19:
	s_or_b64 exec, exec, s[14:15]
	s_mov_b32 s14, 0xc0c0004
	v_perm_b32 v20, v27, v28, s14
	v_lshlrev_b32_e32 v20, 16, v20
	v_perm_b32 v21, v26, v25, s14
	v_perm_b32 v26, v25, v26, s14
	v_and_b32_e32 v25, v25, v29
	v_or_b32_e32 v21, v21, v20
	v_or_b32_e32 v20, v26, v20
	v_cmp_gt_u16_sdwa s[14:15], v25, v30 src0_sel:BYTE_0 src1_sel:BYTE_0
	v_cndmask_b32_e64 v25, v20, v21, s[14:15]
	v_lshrrev_b32_e32 v27, 16, v25
	v_lshrrev_b32_e32 v31, 24, v25
	v_and_b32_e32 v32, v31, v29
	v_and_b32_e32 v30, v27, v29
	v_mov_b32_e32 v21, v10
	v_lshrrev_b32_e32 v26, 8, v25
	v_cmp_gt_u16_sdwa s[22:23], v30, v32 src0_sel:BYTE_0 src1_sel:DWORD
	v_mov_b32_e32 v20, v9
	v_mov_b32_e32 v28, v31
	s_and_saveexec_b64 s[20:21], s[22:23]
; %bb.20:
	v_mov_b32_e32 v21, v17
	v_mov_b32_e32 v20, v16
	;; [unrolled: 1-line block ×7, first 2 shown]
; %bb.21:
	s_or_b64 exec, exec, s[20:21]
	v_cndmask_b32_e64 v9, v4, v14, s[16:17]
	v_cndmask_b32_e64 v10, v5, v15, s[16:17]
	;; [unrolled: 1-line block ×6, first 2 shown]
	v_and_b32_e32 v9, v26, v29
	v_mov_b32_e32 v18, v20
	v_cmp_gt_u16_sdwa s[16:17], v9, v30 src0_sel:BYTE_0 src1_sel:BYTE_0
	v_mov_b32_e32 v19, v21
	s_and_saveexec_b64 s[14:15], s[16:17]
; %bb.22:
	v_mov_b32_e32 v19, v15
	v_mov_b32_e32 v9, v26
	v_swap_b32 v26, v27
	v_mov_b32_e32 v18, v14
	v_mov_b32_e32 v14, v20
	;; [unrolled: 1-line block ×3, first 2 shown]
; %bb.23:
	s_or_b64 exec, exec, s[14:15]
.LBB210_24:
	s_or_b64 exec, exec, s[18:19]
	v_and_b32_e32 v20, 0xffffff00, v11
	v_add_co_u32_e64 v11, s[14:15], v12, v20
	v_addc_co_u32_e64 v12, s[14:15], 0, v13, s[14:15]
	v_mad_u64_u32 v[9:10], s[14:15], v20, 7, v[11:12]
	v_add_co_u32_e64 v12, s[14:15], v11, v24
	s_movk_i32 s16, 0x400
	s_mov_b32 s14, 0xc0c0004
	v_sub_u32_e64 v10, s16, v20 clamp
	v_perm_b32 v20, v25, v26, s14
	v_perm_b32 v21, v27, v28, s14
	v_lshl_add_u32 v13, v24, 3, v9
	v_lshl_or_b32 v20, v21, 16, v20
	ds_write2_b64 v13, v[4:5], v[14:15] offset0:128 offset1:129
	ds_write_b64 v13, v[18:19] offset:1040
	ds_write_b32 v12, v20
	ds_write_b64 v13, v[16:17] offset:1048
	v_or_b32_e32 v20, 4, v24
	v_min_u32_e32 v31, v10, v20
	v_add_u32_e32 v20, 4, v31
	v_and_b32_e32 v33, 0x1f8, v24
	v_min_u32_e32 v32, v10, v20
	v_and_b32_e32 v20, 4, v24
	v_min_u32_e32 v34, v10, v20
	v_sub_u32_e32 v20, v31, v33
	v_sub_u32_e32 v21, v32, v31
	v_sub_u32_e64 v35, v34, v21 clamp
	v_min_u32_e32 v20, v34, v20
	v_cmp_lt_u32_e64 s[14:15], v35, v20
	; wave barrier
	s_and_saveexec_b64 s[16:17], s[14:15]
	s_cbranch_execz .LBB210_28
; %bb.25:
	v_add_co_u32_e64 v21, s[14:15], v11, v33
	v_add_co_u32_e64 v30, s[14:15], v11, v31
	s_mov_b64 s[18:19], 0
.LBB210_26:                             ; =>This Inner Loop Header: Depth=1
	v_add_u32_e32 v36, v20, v35
	v_lshrrev_b32_e32 v36, 1, v36
	v_not_b32_e32 v37, v36
	v_add_u32_e32 v38, v21, v36
	v_add3_u32 v37, v34, v37, v30
	ds_read_u8 v38, v38
	ds_read_u8 v37, v37
	v_add_u32_e32 v39, 1, v36
	s_waitcnt lgkmcnt(1)
	v_and_b32_e32 v38, v38, v29
	s_waitcnt lgkmcnt(0)
	v_and_b32_e32 v37, v37, v29
	v_cmp_gt_u16_sdwa s[14:15], v38, v37 src0_sel:BYTE_0 src1_sel:BYTE_0
	v_cndmask_b32_e64 v20, v20, v36, s[14:15]
	v_cndmask_b32_e64 v35, v39, v35, s[14:15]
	v_cmp_ge_u32_e64 s[14:15], v35, v20
	s_or_b64 s[18:19], s[14:15], s[18:19]
	s_andn2_b64 exec, exec, s[18:19]
	s_cbranch_execnz .LBB210_26
; %bb.27:
	s_or_b64 exec, exec, s[18:19]
.LBB210_28:
	s_or_b64 exec, exec, s[16:17]
	v_add_u32_e32 v34, v31, v34
	v_add_u32_e32 v33, v35, v33
	v_sub_u32_e32 v34, v34, v35
	v_cmp_le_u32_e64 s[14:15], v33, v31
	v_cmp_le_u32_e64 s[16:17], v34, v32
	v_add_u32_e32 v30, 0x400, v13
	v_add_u32_e32 v21, 0x408, v13
	;; [unrolled: 1-line block ×4, first 2 shown]
	s_or_b64 s[14:15], s[14:15], s[16:17]
	s_and_saveexec_b64 s[26:27], s[14:15]
	s_cbranch_execz .LBB210_34
; %bb.29:
	v_cmp_lt_u32_e64 s[16:17], v33, v31
                                        ; implicit-def: $vgpr25
	s_and_saveexec_b64 s[14:15], s[16:17]
; %bb.30:
	v_add_u32_e32 v4, v11, v33
	ds_read_u8 v25, v4
; %bb.31:
	s_or_b64 exec, exec, s[14:15]
	v_cmp_ge_u32_e64 s[14:15], v34, v32
	v_cmp_lt_u32_e64 s[18:19], v34, v32
                                        ; implicit-def: $vgpr26
	s_and_saveexec_b64 s[20:21], s[18:19]
; %bb.32:
	v_add_u32_e32 v4, v11, v34
	ds_read_u8 v26, v4
; %bb.33:
	s_or_b64 exec, exec, s[20:21]
	s_waitcnt lgkmcnt(0)
	v_and_b32_e32 v4, v26, v29
	v_and_b32_e32 v5, v25, v29
	v_cmp_le_u16_sdwa s[18:19], v5, v4 src0_sel:BYTE_0 src1_sel:BYTE_0
	s_and_b64 s[16:17], s[16:17], s[18:19]
	s_or_b64 s[14:15], s[14:15], s[16:17]
	v_cndmask_b32_e64 v4, v34, v33, s[14:15]
	v_cndmask_b32_e64 v5, v32, v31, s[14:15]
	v_add_u32_e32 v14, 1, v4
	v_add_u32_e32 v5, -1, v5
	v_min_u32_e32 v5, v14, v5
	v_add_u32_e32 v5, v11, v5
	ds_read_u8 v5, v5
	v_cndmask_b32_e64 v15, v14, v34, s[14:15]
	v_cndmask_b32_e64 v14, v33, v14, s[14:15]
	v_cmp_lt_u32_e64 s[18:19], v14, v31
	v_cmp_ge_u32_e64 s[16:17], v15, v32
	s_waitcnt lgkmcnt(0)
	v_cndmask_b32_e64 v27, v5, v26, s[14:15]
	v_cndmask_b32_e64 v28, v25, v5, s[14:15]
	v_and_b32_e32 v5, v27, v29
	v_and_b32_e32 v16, v28, v29
	v_cmp_le_u16_sdwa s[20:21], v16, v5 src0_sel:BYTE_0 src1_sel:BYTE_0
	s_and_b64 s[18:19], s[18:19], s[20:21]
	s_or_b64 s[16:17], s[16:17], s[18:19]
	v_cndmask_b32_e64 v16, v15, v14, s[16:17]
	v_cndmask_b32_e64 v5, v32, v31, s[16:17]
	v_add_u32_e32 v17, 1, v16
	v_add_u32_e32 v5, -1, v5
	v_min_u32_e32 v5, v17, v5
	v_add_u32_e32 v5, v11, v5
	ds_read_u8 v18, v5
	v_cndmask_b32_e64 v35, v17, v15, s[16:17]
	v_cndmask_b32_e64 v17, v14, v17, s[16:17]
	v_cmp_lt_u32_e64 s[20:21], v17, v31
	v_cmp_ge_u32_e64 s[18:19], v35, v32
	s_waitcnt lgkmcnt(0)
	v_cndmask_b32_e64 v33, v18, v27, s[16:17]
	v_cndmask_b32_e64 v34, v28, v18, s[16:17]
	v_and_b32_e32 v14, v33, v29
	v_and_b32_e32 v15, v34, v29
	v_cmp_le_u16_sdwa s[22:23], v15, v14 src0_sel:BYTE_0 src1_sel:BYTE_0
	s_and_b64 s[20:21], s[20:21], s[22:23]
	s_or_b64 s[18:19], s[18:19], s[20:21]
	v_cndmask_b32_e64 v18, v35, v17, s[18:19]
	v_cndmask_b32_e64 v14, v32, v31, s[18:19]
	v_add_u32_e32 v36, 1, v18
	v_add_u32_e32 v14, -1, v14
	v_min_u32_e32 v14, v36, v14
	v_add_u32_e32 v14, v11, v14
	ds_read_u8 v37, v14
	v_lshl_add_u32 v14, v16, 3, v9
	v_lshl_add_u32 v16, v18, 3, v9
	ds_read_b64 v[18:19], v16 offset:1024
	v_cndmask_b32_e64 v16, v36, v35, s[18:19]
	s_waitcnt lgkmcnt(1)
	v_cndmask_b32_e64 v38, v37, v33, s[18:19]
	v_cndmask_b32_e64 v37, v34, v37, s[18:19]
	;; [unrolled: 1-line block ×3, first 2 shown]
	v_cmp_ge_u32_e64 s[20:21], v16, v32
	v_cmp_lt_u32_e64 s[22:23], v17, v31
	v_and_b32_e32 v31, v38, v29
	v_and_b32_e32 v32, v37, v29
	v_cmp_le_u16_sdwa s[28:29], v32, v31 src0_sel:BYTE_0 src1_sel:BYTE_0
	s_and_b64 s[22:23], s[22:23], s[28:29]
	s_or_b64 s[20:21], s[20:21], s[22:23]
	v_cndmask_b32_e64 v16, v16, v17, s[20:21]
	v_lshl_add_u32 v4, v4, 3, v9
	v_lshl_add_u32 v16, v16, 3, v9
	ds_read_b64 v[4:5], v4 offset:1024
	ds_read_b64 v[14:15], v14 offset:1024
	;; [unrolled: 1-line block ×3, first 2 shown]
	v_cndmask_b32_e64 v25, v26, v25, s[14:15]
	v_cndmask_b32_e64 v26, v27, v28, s[16:17]
	;; [unrolled: 1-line block ×4, first 2 shown]
.LBB210_34:
	s_or_b64 exec, exec, s[26:27]
	v_and_b32_e32 v36, 0x1f0, v24
	v_or_b32_e32 v31, 8, v36
	v_min_u32_e32 v31, v10, v31
	v_add_u32_e32 v32, 8, v31
	v_min_u32_e32 v32, v10, v32
	v_and_b32_e32 v33, 12, v24
	v_min_u32_e32 v37, v10, v33
	v_sub_u32_e32 v33, v31, v36
	v_sub_u32_e32 v34, v32, v31
	v_sub_u32_e64 v38, v37, v34 clamp
	v_min_u32_e32 v33, v37, v33
	v_cmp_lt_u32_e64 s[14:15], v38, v33
	; wave barrier
	ds_write_b8 v12, v25
	s_waitcnt lgkmcnt(3)
	ds_write_b64 v30, v[4:5]
	ds_write_b8 v12, v26 offset:1
	s_waitcnt lgkmcnt(4)
	ds_write_b64 v21, v[14:15]
	ds_write_b8 v12, v27 offset:2
	ds_write_b64 v20, v[18:19]
	ds_write_b8 v12, v28 offset:3
	s_waitcnt lgkmcnt(7)
	ds_write_b64 v13, v[16:17]
	; wave barrier
	s_and_saveexec_b64 s[16:17], s[14:15]
	s_cbranch_execz .LBB210_38
; %bb.35:
	v_add_co_u32_e64 v34, s[14:15], v11, v36
	v_add_co_u32_e64 v35, s[14:15], v11, v31
	s_mov_b64 s[18:19], 0
.LBB210_36:                             ; =>This Inner Loop Header: Depth=1
	v_add_u32_e32 v39, v33, v38
	v_lshrrev_b32_e32 v39, 1, v39
	v_not_b32_e32 v48, v39
	v_add_u32_e32 v49, v34, v39
	v_add3_u32 v48, v37, v48, v35
	ds_read_u8 v49, v49
	ds_read_u8 v48, v48
	v_add_u32_e32 v50, 1, v39
	s_waitcnt lgkmcnt(1)
	v_and_b32_e32 v49, v49, v29
	s_waitcnt lgkmcnt(0)
	v_and_b32_e32 v48, v48, v29
	v_cmp_gt_u16_sdwa s[14:15], v49, v48 src0_sel:BYTE_0 src1_sel:BYTE_0
	v_cndmask_b32_e64 v33, v33, v39, s[14:15]
	v_cndmask_b32_e64 v38, v50, v38, s[14:15]
	v_cmp_ge_u32_e64 s[14:15], v38, v33
	s_or_b64 s[18:19], s[14:15], s[18:19]
	s_andn2_b64 exec, exec, s[18:19]
	s_cbranch_execnz .LBB210_36
; %bb.37:
	s_or_b64 exec, exec, s[18:19]
.LBB210_38:
	s_or_b64 exec, exec, s[16:17]
	v_add_u32_e32 v37, v31, v37
	v_add_u32_e32 v36, v38, v36
	v_sub_u32_e32 v37, v37, v38
	v_cmp_le_u32_e64 s[14:15], v36, v31
	v_cmp_le_u32_e64 s[16:17], v37, v32
	v_add_u32_e32 v35, 1, v12
	v_add_u32_e32 v34, 2, v12
	v_add_u32_e32 v33, 3, v12
	s_or_b64 s[14:15], s[14:15], s[16:17]
	s_and_saveexec_b64 s[26:27], s[14:15]
	s_cbranch_execz .LBB210_44
; %bb.39:
	v_cmp_lt_u32_e64 s[16:17], v36, v31
                                        ; implicit-def: $vgpr25
	s_and_saveexec_b64 s[14:15], s[16:17]
; %bb.40:
	v_add_u32_e32 v4, v11, v36
	ds_read_u8 v25, v4
; %bb.41:
	s_or_b64 exec, exec, s[14:15]
	v_cmp_ge_u32_e64 s[14:15], v37, v32
	v_cmp_lt_u32_e64 s[18:19], v37, v32
                                        ; implicit-def: $vgpr26
	s_and_saveexec_b64 s[20:21], s[18:19]
; %bb.42:
	v_add_u32_e32 v4, v11, v37
	ds_read_u8 v26, v4
; %bb.43:
	s_or_b64 exec, exec, s[20:21]
	s_waitcnt lgkmcnt(0)
	v_and_b32_e32 v4, v26, v29
	v_and_b32_e32 v5, v25, v29
	v_cmp_le_u16_sdwa s[18:19], v5, v4 src0_sel:BYTE_0 src1_sel:BYTE_0
	s_and_b64 s[16:17], s[16:17], s[18:19]
	s_or_b64 s[14:15], s[14:15], s[16:17]
	v_cndmask_b32_e64 v4, v37, v36, s[14:15]
	v_cndmask_b32_e64 v5, v32, v31, s[14:15]
	v_add_u32_e32 v14, 1, v4
	v_add_u32_e32 v5, -1, v5
	v_min_u32_e32 v5, v14, v5
	v_add_u32_e32 v5, v11, v5
	ds_read_u8 v5, v5
	v_cndmask_b32_e64 v15, v14, v37, s[14:15]
	v_cndmask_b32_e64 v14, v36, v14, s[14:15]
	v_cmp_lt_u32_e64 s[18:19], v14, v31
	v_cmp_ge_u32_e64 s[16:17], v15, v32
	s_waitcnt lgkmcnt(0)
	v_cndmask_b32_e64 v27, v5, v26, s[14:15]
	v_cndmask_b32_e64 v28, v25, v5, s[14:15]
	v_and_b32_e32 v5, v27, v29
	v_and_b32_e32 v16, v28, v29
	v_cmp_le_u16_sdwa s[20:21], v16, v5 src0_sel:BYTE_0 src1_sel:BYTE_0
	s_and_b64 s[18:19], s[18:19], s[20:21]
	s_or_b64 s[16:17], s[16:17], s[18:19]
	v_cndmask_b32_e64 v16, v15, v14, s[16:17]
	v_cndmask_b32_e64 v5, v32, v31, s[16:17]
	v_add_u32_e32 v17, 1, v16
	v_add_u32_e32 v5, -1, v5
	v_min_u32_e32 v5, v17, v5
	v_add_u32_e32 v5, v11, v5
	ds_read_u8 v18, v5
	v_cndmask_b32_e64 v38, v17, v15, s[16:17]
	v_cndmask_b32_e64 v17, v14, v17, s[16:17]
	v_cmp_lt_u32_e64 s[20:21], v17, v31
	v_cmp_ge_u32_e64 s[18:19], v38, v32
	s_waitcnt lgkmcnt(0)
	v_cndmask_b32_e64 v36, v18, v27, s[16:17]
	v_cndmask_b32_e64 v37, v28, v18, s[16:17]
	v_and_b32_e32 v14, v36, v29
	v_and_b32_e32 v15, v37, v29
	v_cmp_le_u16_sdwa s[22:23], v15, v14 src0_sel:BYTE_0 src1_sel:BYTE_0
	s_and_b64 s[20:21], s[20:21], s[22:23]
	s_or_b64 s[18:19], s[18:19], s[20:21]
	v_cndmask_b32_e64 v18, v38, v17, s[18:19]
	v_cndmask_b32_e64 v14, v32, v31, s[18:19]
	v_add_u32_e32 v39, 1, v18
	v_add_u32_e32 v14, -1, v14
	v_min_u32_e32 v14, v39, v14
	v_add_u32_e32 v14, v11, v14
	ds_read_u8 v48, v14
	v_lshl_add_u32 v14, v16, 3, v9
	v_lshl_add_u32 v16, v18, 3, v9
	ds_read_b64 v[18:19], v16 offset:1024
	v_cndmask_b32_e64 v16, v39, v38, s[18:19]
	s_waitcnt lgkmcnt(1)
	v_cndmask_b32_e64 v49, v48, v36, s[18:19]
	v_cndmask_b32_e64 v48, v37, v48, s[18:19]
	;; [unrolled: 1-line block ×3, first 2 shown]
	v_cmp_ge_u32_e64 s[20:21], v16, v32
	v_cmp_lt_u32_e64 s[22:23], v17, v31
	v_and_b32_e32 v31, v49, v29
	v_and_b32_e32 v32, v48, v29
	v_cmp_le_u16_sdwa s[28:29], v32, v31 src0_sel:BYTE_0 src1_sel:BYTE_0
	s_and_b64 s[22:23], s[22:23], s[28:29]
	s_or_b64 s[20:21], s[20:21], s[22:23]
	v_cndmask_b32_e64 v16, v16, v17, s[20:21]
	v_lshl_add_u32 v4, v4, 3, v9
	v_lshl_add_u32 v16, v16, 3, v9
	ds_read_b64 v[4:5], v4 offset:1024
	ds_read_b64 v[14:15], v14 offset:1024
	;; [unrolled: 1-line block ×3, first 2 shown]
	v_cndmask_b32_e64 v25, v26, v25, s[14:15]
	v_cndmask_b32_e64 v26, v27, v28, s[16:17]
	;; [unrolled: 1-line block ×4, first 2 shown]
.LBB210_44:
	s_or_b64 exec, exec, s[26:27]
	; wave barrier
	ds_write_b8 v12, v25
	s_waitcnt lgkmcnt(3)
	ds_write_b64 v30, v[4:5]
	ds_write_b8 v35, v26
	s_waitcnt lgkmcnt(4)
	ds_write_b64 v21, v[14:15]
	ds_write_b8 v34, v27
	ds_write_b64 v20, v[18:19]
	ds_write_b8 v33, v28
	s_waitcnt lgkmcnt(7)
	ds_write_b64 v13, v[16:17]
	v_and_b32_e32 v20, 0x1e0, v24
	v_or_b32_e32 v12, 16, v20
	v_min_u32_e32 v12, v10, v12
	v_add_u32_e32 v13, 16, v12
	v_min_u32_e32 v13, v10, v13
	v_min_u32_e32 v10, v10, v22
	v_sub_u32_e32 v21, v12, v20
	v_sub_u32_e32 v24, v13, v12
	v_sub_u32_e64 v24, v10, v24 clamp
	v_min_u32_e32 v21, v10, v21
	v_cmp_lt_u32_e64 s[14:15], v24, v21
	; wave barrier
	s_and_saveexec_b64 s[16:17], s[14:15]
	s_cbranch_execz .LBB210_48
; %bb.45:
	v_add_co_u32_e64 v30, s[14:15], v11, v20
	v_add_co_u32_e64 v31, s[14:15], v11, v12
	s_mov_b64 s[18:19], 0
.LBB210_46:                             ; =>This Inner Loop Header: Depth=1
	v_add_u32_e32 v32, v21, v24
	v_lshrrev_b32_e32 v32, 1, v32
	v_not_b32_e32 v33, v32
	v_add_u32_e32 v34, v30, v32
	v_add3_u32 v33, v10, v33, v31
	ds_read_u8 v34, v34
	ds_read_u8 v33, v33
	v_add_u32_e32 v35, 1, v32
	s_waitcnt lgkmcnt(1)
	v_and_b32_e32 v34, v34, v29
	s_waitcnt lgkmcnt(0)
	v_and_b32_e32 v33, v33, v29
	v_cmp_gt_u16_sdwa s[14:15], v34, v33 src0_sel:BYTE_0 src1_sel:BYTE_0
	v_cndmask_b32_e64 v21, v21, v32, s[14:15]
	v_cndmask_b32_e64 v24, v35, v24, s[14:15]
	v_cmp_ge_u32_e64 s[14:15], v24, v21
	s_or_b64 s[18:19], s[14:15], s[18:19]
	s_andn2_b64 exec, exec, s[18:19]
	s_cbranch_execnz .LBB210_46
; %bb.47:
	s_or_b64 exec, exec, s[18:19]
.LBB210_48:
	s_or_b64 exec, exec, s[16:17]
	v_add_u32_e32 v10, v12, v10
	v_add_u32_e32 v21, v24, v20
	v_sub_u32_e32 v24, v10, v24
	v_cmp_le_u32_e64 s[14:15], v21, v12
	v_cmp_le_u32_e64 s[16:17], v24, v13
	s_or_b64 s[14:15], s[14:15], s[16:17]
	s_and_saveexec_b64 s[26:27], s[14:15]
	s_cbranch_execz .LBB210_54
; %bb.49:
	v_cmp_lt_u32_e64 s[16:17], v21, v12
                                        ; implicit-def: $vgpr10
	s_and_saveexec_b64 s[14:15], s[16:17]
; %bb.50:
	v_add_u32_e32 v4, v11, v21
	ds_read_u8 v10, v4
; %bb.51:
	s_or_b64 exec, exec, s[14:15]
	v_cmp_ge_u32_e64 s[14:15], v24, v13
	v_cmp_lt_u32_e64 s[18:19], v24, v13
                                        ; implicit-def: $vgpr20
	s_and_saveexec_b64 s[20:21], s[18:19]
; %bb.52:
	v_add_u32_e32 v4, v11, v24
	ds_read_u8 v20, v4
; %bb.53:
	s_or_b64 exec, exec, s[20:21]
	s_waitcnt lgkmcnt(0)
	v_and_b32_e32 v4, v20, v29
	v_and_b32_e32 v5, v10, v29
	v_cmp_le_u16_sdwa s[18:19], v5, v4 src0_sel:BYTE_0 src1_sel:BYTE_0
	s_and_b64 s[16:17], s[16:17], s[18:19]
	s_or_b64 s[14:15], s[14:15], s[16:17]
	v_cndmask_b32_e64 v4, v24, v21, s[14:15]
	v_cndmask_b32_e64 v5, v13, v12, s[14:15]
	v_add_u32_e32 v14, 1, v4
	v_add_u32_e32 v5, -1, v5
	v_min_u32_e32 v5, v14, v5
	v_add_u32_e32 v5, v11, v5
	ds_read_u8 v5, v5
	v_cndmask_b32_e64 v15, v14, v24, s[14:15]
	v_cndmask_b32_e64 v14, v21, v14, s[14:15]
	v_cmp_lt_u32_e64 s[18:19], v14, v12
	v_cmp_ge_u32_e64 s[16:17], v15, v13
	s_waitcnt lgkmcnt(0)
	v_cndmask_b32_e64 v26, v5, v20, s[14:15]
	v_cndmask_b32_e64 v27, v10, v5, s[14:15]
	v_and_b32_e32 v5, v26, v29
	v_and_b32_e32 v16, v27, v29
	v_cmp_le_u16_sdwa s[20:21], v16, v5 src0_sel:BYTE_0 src1_sel:BYTE_0
	s_and_b64 s[18:19], s[18:19], s[20:21]
	s_or_b64 s[16:17], s[16:17], s[18:19]
	v_cndmask_b32_e64 v16, v15, v14, s[16:17]
	v_cndmask_b32_e64 v5, v13, v12, s[16:17]
	v_add_u32_e32 v17, 1, v16
	v_add_u32_e32 v5, -1, v5
	v_min_u32_e32 v5, v17, v5
	v_add_u32_e32 v5, v11, v5
	ds_read_u8 v18, v5
	v_cndmask_b32_e64 v25, v17, v15, s[16:17]
	v_cndmask_b32_e64 v17, v14, v17, s[16:17]
	v_cmp_lt_u32_e64 s[20:21], v17, v12
	v_cmp_ge_u32_e64 s[18:19], v25, v13
	s_waitcnt lgkmcnt(0)
	v_cndmask_b32_e64 v21, v18, v26, s[16:17]
	v_cndmask_b32_e64 v24, v27, v18, s[16:17]
	v_and_b32_e32 v14, v21, v29
	v_and_b32_e32 v15, v24, v29
	v_cmp_le_u16_sdwa s[22:23], v15, v14 src0_sel:BYTE_0 src1_sel:BYTE_0
	s_and_b64 s[20:21], s[20:21], s[22:23]
	s_or_b64 s[18:19], s[18:19], s[20:21]
	v_cndmask_b32_e64 v18, v25, v17, s[18:19]
	v_cndmask_b32_e64 v14, v13, v12, s[18:19]
	v_add_u32_e32 v28, 1, v18
	v_add_u32_e32 v14, -1, v14
	v_min_u32_e32 v14, v28, v14
	v_add_u32_e32 v11, v11, v14
	ds_read_u8 v11, v11
	v_lshl_add_u32 v14, v16, 3, v9
	v_lshl_add_u32 v16, v18, 3, v9
	ds_read_b64 v[18:19], v16 offset:1024
	v_cndmask_b32_e64 v16, v28, v25, s[18:19]
	s_waitcnt lgkmcnt(1)
	v_cndmask_b32_e64 v30, v11, v21, s[18:19]
	v_cndmask_b32_e64 v11, v24, v11, s[18:19]
	;; [unrolled: 1-line block ×3, first 2 shown]
	v_cmp_ge_u32_e64 s[20:21], v16, v13
	v_cmp_lt_u32_e64 s[22:23], v17, v12
	v_and_b32_e32 v12, v30, v29
	v_and_b32_e32 v13, v11, v29
	v_cmp_le_u16_sdwa s[28:29], v13, v12 src0_sel:BYTE_0 src1_sel:BYTE_0
	s_and_b64 s[22:23], s[22:23], s[28:29]
	s_or_b64 s[20:21], s[20:21], s[22:23]
	v_cndmask_b32_e64 v12, v16, v17, s[20:21]
	v_lshl_add_u32 v4, v4, 3, v9
	v_lshl_add_u32 v9, v12, 3, v9
	ds_read_b64 v[4:5], v4 offset:1024
	ds_read_b64 v[14:15], v14 offset:1024
	;; [unrolled: 1-line block ×3, first 2 shown]
	v_cndmask_b32_e64 v25, v20, v10, s[14:15]
	v_cndmask_b32_e64 v26, v26, v27, s[16:17]
	;; [unrolled: 1-line block ×4, first 2 shown]
.LBB210_54:
	s_or_b64 exec, exec, s[26:27]
	; wave barrier
	s_waitcnt lgkmcnt(0)
	s_barrier
                                        ; implicit-def: $vgpr24
                                        ; implicit-def: $vgpr12
                                        ; implicit-def: $vgpr13
                                        ; implicit-def: $vgpr31
                                        ; implicit-def: $vgpr9
                                        ; implicit-def: $vgpr20
.LBB210_55:
	s_andn2_saveexec_b64 s[20:21], s[24:25]
	s_cbranch_execz .LBB210_97
; %bb.56:
	s_load_dwordx2 s[14:15], s[8:9], 0x0
	v_mov_b32_e32 v10, 0
	s_waitcnt lgkmcnt(0)
	s_cmp_lt_u32 s13, s15
	s_cselect_b32 s13, 14, 20
	s_add_u32 s16, s8, s13
	s_addc_u32 s17, s9, 0
	s_cmp_lt_u32 s12, s14
	s_cselect_b32 s12, 12, 18
	s_add_u32 s8, s8, s12
	s_addc_u32 s9, s9, 0
	global_load_ushort v11, v10, s[16:17]
	global_load_ushort v21, v10, s[8:9]
	v_and_b32_e32 v10, 0x3ff, v31
	s_movk_i32 s8, 0x400
	s_waitcnt vmcnt(0)
	v_mad_u32_u24 v9, v20, v11, v9
	v_mul_lo_u32 v9, v9, v21
	v_add_lshl_u32 v11, v9, v10, 2
	v_cmp_gt_u32_e64 s[8:9], s8, v11
	s_and_saveexec_b64 s[14:15], s[8:9]
	s_cbranch_execz .LBB210_66
; %bb.57:
	s_mov_b32 s8, 0xc0c0004
	v_perm_b32 v9, v27, v28, s8
	v_lshlrev_b32_e32 v9, 16, v9
	v_perm_b32 v10, v26, v25, s8
	v_perm_b32 v20, v25, v26, s8
	v_or_b32_e32 v10, v10, v9
	v_or_b32_e32 v9, v20, v9
	v_cmp_gt_u16_sdwa s[8:9], v25, v26 src0_sel:BYTE_0 src1_sel:BYTE_0
	v_cndmask_b32_e64 v25, v9, v10, s[8:9]
	v_lshrrev_b32_e32 v27, 16, v25
	v_lshrrev_b32_e32 v20, 24, v25
	v_mov_b32_e32 v9, v18
	v_lshrrev_b32_e32 v26, 8, v25
	v_cmp_gt_u16_sdwa s[16:17], v27, v20 src0_sel:BYTE_0 src1_sel:DWORD
	v_mov_b32_e32 v10, v19
	v_mov_b32_e32 v28, v20
	s_and_saveexec_b64 s[12:13], s[16:17]
; %bb.58:
	v_mov_b32_e32 v9, v16
	v_mov_b32_e32 v10, v17
	;; [unrolled: 1-line block ×6, first 2 shown]
; %bb.59:
	s_or_b64 exec, exec, s[12:13]
	v_cndmask_b32_e64 v20, v14, v4, s[8:9]
	v_cndmask_b32_e64 v21, v15, v5, s[8:9]
	v_mov_b32_e32 v18, v20
	v_cmp_gt_u16_sdwa s[12:13], v26, v27 src0_sel:BYTE_0 src1_sel:BYTE_0
	v_mov_b32_e32 v19, v21
	s_and_saveexec_b64 s[16:17], s[12:13]
	s_xor_b64 s[12:13], exec, s[16:17]
; %bb.60:
	v_mov_b32_e32 v19, v10
	v_mov_b32_e32 v29, v26
	;; [unrolled: 1-line block ×4, first 2 shown]
	v_swap_b32 v26, v27
	v_mov_b32_e32 v10, v21
; %bb.61:
	s_or_b64 exec, exec, s[12:13]
	s_mov_b32 s12, 0xc0c0004
	v_perm_b32 v20, v27, v28, s12
	v_lshlrev_b32_e32 v20, 16, v20
	v_perm_b32 v21, v26, v25, s12
	v_perm_b32 v27, v25, v26, s12
	v_or_b32_e32 v21, v21, v20
	v_or_b32_e32 v20, v27, v20
	v_cmp_gt_u16_sdwa s[12:13], v25, v26 src0_sel:BYTE_0 src1_sel:BYTE_0
	v_cndmask_b32_e64 v25, v20, v21, s[12:13]
	v_lshrrev_b32_e32 v27, 16, v25
	v_lshrrev_b32_e32 v29, 24, v25
	v_mov_b32_e32 v21, v10
	v_lshrrev_b32_e32 v26, 8, v25
	v_cmp_gt_u16_sdwa s[18:19], v27, v29 src0_sel:BYTE_0 src1_sel:DWORD
	v_mov_b32_e32 v20, v9
	v_mov_b32_e32 v28, v29
	s_and_saveexec_b64 s[16:17], s[18:19]
; %bb.62:
	v_mov_b32_e32 v21, v17
	v_mov_b32_e32 v20, v16
	;; [unrolled: 1-line block ×6, first 2 shown]
; %bb.63:
	s_or_b64 exec, exec, s[16:17]
	v_cndmask_b32_e64 v9, v4, v14, s[8:9]
	v_cndmask_b32_e64 v10, v5, v15, s[8:9]
	;; [unrolled: 1-line block ×6, first 2 shown]
	v_mov_b32_e32 v18, v20
	v_cmp_gt_u16_sdwa s[12:13], v26, v27 src0_sel:BYTE_0 src1_sel:BYTE_0
	v_mov_b32_e32 v19, v21
	s_and_saveexec_b64 s[8:9], s[12:13]
; %bb.64:
	v_mov_b32_e32 v19, v15
	v_mov_b32_e32 v9, v26
	v_swap_b32 v26, v27
	v_mov_b32_e32 v18, v14
	v_mov_b32_e32 v14, v20
	;; [unrolled: 1-line block ×3, first 2 shown]
; %bb.65:
	s_or_b64 exec, exec, s[8:9]
.LBB210_66:
	s_or_b64 exec, exec, s[14:15]
	v_and_b32_e32 v20, 0xffffff00, v11
	v_add_co_u32_e64 v11, s[8:9], v12, v20
	v_addc_co_u32_e64 v12, s[8:9], 0, v13, s[8:9]
	v_mad_u64_u32 v[9:10], s[8:9], v20, 7, v[11:12]
	v_add_co_u32_e64 v12, s[8:9], v11, v24
	s_movk_i32 s12, 0x400
	s_mov_b32 s8, 0xc0c0004
	v_sub_u32_e64 v10, s12, v20 clamp
	v_perm_b32 v20, v25, v26, s8
	v_perm_b32 v21, v27, v28, s8
	v_lshl_add_u32 v13, v24, 3, v9
	v_lshl_or_b32 v20, v21, 16, v20
	ds_write2_b64 v13, v[4:5], v[14:15] offset0:128 offset1:129
	ds_write_b64 v13, v[18:19] offset:1040
	ds_write_b32 v12, v20
	ds_write_b64 v13, v[16:17] offset:1048
	v_or_b32_e32 v20, 4, v24
	v_min_u32_e32 v30, v10, v20
	v_add_u32_e32 v20, 4, v30
	v_and_b32_e32 v32, 0x1f8, v24
	v_min_u32_e32 v31, v10, v20
	v_and_b32_e32 v20, 4, v24
	v_min_u32_e32 v33, v10, v20
	v_sub_u32_e32 v20, v30, v32
	v_sub_u32_e32 v21, v31, v30
	v_sub_u32_e64 v34, v33, v21 clamp
	v_min_u32_e32 v20, v33, v20
	v_cmp_lt_u32_e64 s[8:9], v34, v20
	; wave barrier
	s_and_saveexec_b64 s[12:13], s[8:9]
	s_cbranch_execz .LBB210_70
; %bb.67:
	v_add_co_u32_e64 v21, s[8:9], v11, v32
	v_add_co_u32_e64 v29, s[8:9], v11, v30
	s_mov_b64 s[14:15], 0
.LBB210_68:                             ; =>This Inner Loop Header: Depth=1
	v_add_u32_e32 v35, v20, v34
	v_lshrrev_b32_e32 v35, 1, v35
	v_not_b32_e32 v36, v35
	v_add_u32_e32 v37, v21, v35
	v_add3_u32 v36, v33, v36, v29
	ds_read_u8 v37, v37
	ds_read_u8 v36, v36
	v_add_u32_e32 v38, 1, v35
	s_waitcnt lgkmcnt(0)
	v_cmp_gt_u16_e64 s[8:9], v37, v36
	v_cndmask_b32_e64 v20, v20, v35, s[8:9]
	v_cndmask_b32_e64 v34, v38, v34, s[8:9]
	v_cmp_ge_u32_e64 s[8:9], v34, v20
	s_or_b64 s[14:15], s[8:9], s[14:15]
	s_andn2_b64 exec, exec, s[14:15]
	s_cbranch_execnz .LBB210_68
; %bb.69:
	s_or_b64 exec, exec, s[14:15]
.LBB210_70:
	s_or_b64 exec, exec, s[12:13]
	v_add_u32_e32 v33, v30, v33
	v_add_u32_e32 v32, v34, v32
	v_sub_u32_e32 v33, v33, v34
	v_cmp_le_u32_e64 s[8:9], v32, v30
	v_cmp_le_u32_e64 s[12:13], v33, v31
	v_add_u32_e32 v29, 0x400, v13
	v_add_u32_e32 v21, 0x408, v13
	;; [unrolled: 1-line block ×4, first 2 shown]
	s_or_b64 s[8:9], s[8:9], s[12:13]
	s_and_saveexec_b64 s[22:23], s[8:9]
	s_cbranch_execz .LBB210_76
; %bb.71:
	v_cmp_lt_u32_e64 s[8:9], v32, v30
                                        ; implicit-def: $vgpr25
	s_and_saveexec_b64 s[12:13], s[8:9]
; %bb.72:
	v_add_u32_e32 v4, v11, v32
	ds_read_u8 v25, v4
; %bb.73:
	s_or_b64 exec, exec, s[12:13]
	v_cmp_ge_u32_e64 s[12:13], v33, v31
	v_cmp_lt_u32_e64 s[14:15], v33, v31
                                        ; implicit-def: $vgpr26
	s_and_saveexec_b64 s[16:17], s[14:15]
; %bb.74:
	v_add_u32_e32 v4, v11, v33
	ds_read_u8 v26, v4
; %bb.75:
	s_or_b64 exec, exec, s[16:17]
	s_waitcnt lgkmcnt(0)
	v_cmp_le_u16_sdwa s[14:15], v25, v26 src0_sel:BYTE_0 src1_sel:BYTE_0
	s_and_b64 s[8:9], s[8:9], s[14:15]
	s_or_b64 s[8:9], s[12:13], s[8:9]
	v_cndmask_b32_e64 v4, v33, v32, s[8:9]
	v_cndmask_b32_e64 v5, v31, v30, s[8:9]
	v_add_u32_e32 v14, 1, v4
	v_add_u32_e32 v5, -1, v5
	v_min_u32_e32 v5, v14, v5
	v_add_u32_e32 v5, v11, v5
	ds_read_u8 v5, v5
	v_cndmask_b32_e64 v15, v14, v33, s[8:9]
	v_cndmask_b32_e64 v14, v32, v14, s[8:9]
	v_cmp_lt_u32_e64 s[14:15], v14, v30
	v_cmp_ge_u32_e64 s[12:13], v15, v31
	s_waitcnt lgkmcnt(0)
	v_cndmask_b32_e64 v27, v5, v26, s[8:9]
	v_cndmask_b32_e64 v28, v25, v5, s[8:9]
	v_cmp_le_u16_sdwa s[16:17], v28, v27 src0_sel:BYTE_0 src1_sel:BYTE_0
	s_and_b64 s[14:15], s[14:15], s[16:17]
	s_or_b64 s[12:13], s[12:13], s[14:15]
	v_cndmask_b32_e64 v16, v15, v14, s[12:13]
	v_cndmask_b32_e64 v5, v31, v30, s[12:13]
	v_add_u32_e32 v17, 1, v16
	v_add_u32_e32 v5, -1, v5
	v_min_u32_e32 v5, v17, v5
	v_add_u32_e32 v5, v11, v5
	ds_read_u8 v18, v5
	v_cndmask_b32_e64 v34, v17, v15, s[12:13]
	v_cndmask_b32_e64 v17, v14, v17, s[12:13]
	v_cmp_lt_u32_e64 s[16:17], v17, v30
	v_cmp_ge_u32_e64 s[14:15], v34, v31
	s_waitcnt lgkmcnt(0)
	v_cndmask_b32_e64 v32, v18, v27, s[12:13]
	v_cndmask_b32_e64 v33, v28, v18, s[12:13]
	v_cmp_le_u16_sdwa s[18:19], v33, v32 src0_sel:BYTE_0 src1_sel:BYTE_0
	s_and_b64 s[16:17], s[16:17], s[18:19]
	s_or_b64 s[14:15], s[14:15], s[16:17]
	v_cndmask_b32_e64 v18, v34, v17, s[14:15]
	v_cndmask_b32_e64 v14, v31, v30, s[14:15]
	v_add_u32_e32 v35, 1, v18
	v_add_u32_e32 v14, -1, v14
	v_min_u32_e32 v14, v35, v14
	v_add_u32_e32 v14, v11, v14
	ds_read_u8 v36, v14
	v_lshl_add_u32 v14, v16, 3, v9
	v_lshl_add_u32 v16, v18, 3, v9
	v_cndmask_b32_e64 v17, v17, v35, s[14:15]
	ds_read_b64 v[18:19], v16 offset:1024
	s_waitcnt lgkmcnt(1)
	v_cndmask_b32_e64 v37, v36, v32, s[14:15]
	v_cndmask_b32_e64 v36, v33, v36, s[14:15]
	;; [unrolled: 1-line block ×3, first 2 shown]
	v_cmp_lt_u32_e64 s[18:19], v17, v30
	v_cmp_le_u16_sdwa s[24:25], v36, v37 src0_sel:BYTE_0 src1_sel:BYTE_0
	v_cmp_ge_u32_e64 s[16:17], v16, v31
	s_and_b64 s[18:19], s[18:19], s[24:25]
	s_or_b64 s[16:17], s[16:17], s[18:19]
	v_cndmask_b32_e64 v16, v16, v17, s[16:17]
	v_lshl_add_u32 v4, v4, 3, v9
	v_lshl_add_u32 v16, v16, 3, v9
	ds_read_b64 v[4:5], v4 offset:1024
	ds_read_b64 v[14:15], v14 offset:1024
	;; [unrolled: 1-line block ×3, first 2 shown]
	v_cndmask_b32_e64 v25, v26, v25, s[8:9]
	v_cndmask_b32_e64 v26, v27, v28, s[12:13]
	;; [unrolled: 1-line block ×4, first 2 shown]
.LBB210_76:
	s_or_b64 exec, exec, s[22:23]
	v_and_b32_e32 v35, 0x1f0, v24
	v_or_b32_e32 v30, 8, v35
	v_min_u32_e32 v30, v10, v30
	v_add_u32_e32 v31, 8, v30
	v_min_u32_e32 v32, v10, v31
	v_and_b32_e32 v31, 12, v24
	v_min_u32_e32 v36, v10, v31
	v_sub_u32_e32 v31, v30, v35
	v_sub_u32_e32 v33, v32, v30
	v_sub_u32_e64 v37, v36, v33 clamp
	v_min_u32_e32 v31, v36, v31
	v_cmp_lt_u32_e64 s[8:9], v37, v31
	; wave barrier
	ds_write_b8 v12, v25
	s_waitcnt lgkmcnt(3)
	ds_write_b64 v29, v[4:5]
	ds_write_b8 v12, v26 offset:1
	s_waitcnt lgkmcnt(4)
	ds_write_b64 v21, v[14:15]
	ds_write_b8 v12, v27 offset:2
	ds_write_b64 v20, v[18:19]
	ds_write_b8 v12, v28 offset:3
	s_waitcnt lgkmcnt(7)
	ds_write_b64 v13, v[16:17]
	; wave barrier
	s_and_saveexec_b64 s[12:13], s[8:9]
	s_cbranch_execz .LBB210_80
; %bb.77:
	v_add_co_u32_e64 v33, s[8:9], v11, v35
	v_add_co_u32_e64 v34, s[8:9], v11, v30
	s_mov_b64 s[14:15], 0
.LBB210_78:                             ; =>This Inner Loop Header: Depth=1
	v_add_u32_e32 v38, v31, v37
	v_lshrrev_b32_e32 v38, 1, v38
	v_not_b32_e32 v39, v38
	v_add_u32_e32 v48, v33, v38
	v_add3_u32 v39, v36, v39, v34
	ds_read_u8 v48, v48
	ds_read_u8 v39, v39
	v_add_u32_e32 v49, 1, v38
	s_waitcnt lgkmcnt(0)
	v_cmp_gt_u16_e64 s[8:9], v48, v39
	v_cndmask_b32_e64 v31, v31, v38, s[8:9]
	v_cndmask_b32_e64 v37, v49, v37, s[8:9]
	v_cmp_ge_u32_e64 s[8:9], v37, v31
	s_or_b64 s[14:15], s[8:9], s[14:15]
	s_andn2_b64 exec, exec, s[14:15]
	s_cbranch_execnz .LBB210_78
; %bb.79:
	s_or_b64 exec, exec, s[14:15]
.LBB210_80:
	s_or_b64 exec, exec, s[12:13]
	v_add_u32_e32 v36, v30, v36
	v_add_u32_e32 v35, v37, v35
	v_sub_u32_e32 v36, v36, v37
	v_cmp_le_u32_e64 s[8:9], v35, v30
	v_cmp_le_u32_e64 s[12:13], v36, v32
	v_add_u32_e32 v34, 1, v12
	v_add_u32_e32 v33, 2, v12
	;; [unrolled: 1-line block ×3, first 2 shown]
	s_or_b64 s[8:9], s[8:9], s[12:13]
	s_and_saveexec_b64 s[22:23], s[8:9]
	s_cbranch_execz .LBB210_86
; %bb.81:
	v_cmp_lt_u32_e64 s[8:9], v35, v30
                                        ; implicit-def: $vgpr25
	s_and_saveexec_b64 s[12:13], s[8:9]
; %bb.82:
	v_add_u32_e32 v4, v11, v35
	ds_read_u8 v25, v4
; %bb.83:
	s_or_b64 exec, exec, s[12:13]
	v_cmp_ge_u32_e64 s[12:13], v36, v32
	v_cmp_lt_u32_e64 s[14:15], v36, v32
                                        ; implicit-def: $vgpr26
	s_and_saveexec_b64 s[16:17], s[14:15]
; %bb.84:
	v_add_u32_e32 v4, v11, v36
	ds_read_u8 v26, v4
; %bb.85:
	s_or_b64 exec, exec, s[16:17]
	s_waitcnt lgkmcnt(0)
	v_cmp_le_u16_sdwa s[14:15], v25, v26 src0_sel:BYTE_0 src1_sel:BYTE_0
	s_and_b64 s[8:9], s[8:9], s[14:15]
	s_or_b64 s[8:9], s[12:13], s[8:9]
	v_cndmask_b32_e64 v4, v36, v35, s[8:9]
	v_cndmask_b32_e64 v5, v32, v30, s[8:9]
	v_add_u32_e32 v14, 1, v4
	v_add_u32_e32 v5, -1, v5
	v_min_u32_e32 v5, v14, v5
	v_add_u32_e32 v5, v11, v5
	ds_read_u8 v5, v5
	v_cndmask_b32_e64 v15, v14, v36, s[8:9]
	v_cndmask_b32_e64 v14, v35, v14, s[8:9]
	v_cmp_lt_u32_e64 s[14:15], v14, v30
	v_cmp_ge_u32_e64 s[12:13], v15, v32
	s_waitcnt lgkmcnt(0)
	v_cndmask_b32_e64 v27, v5, v26, s[8:9]
	v_cndmask_b32_e64 v28, v25, v5, s[8:9]
	v_cmp_le_u16_sdwa s[16:17], v28, v27 src0_sel:BYTE_0 src1_sel:BYTE_0
	s_and_b64 s[14:15], s[14:15], s[16:17]
	s_or_b64 s[12:13], s[12:13], s[14:15]
	v_cndmask_b32_e64 v16, v15, v14, s[12:13]
	v_cndmask_b32_e64 v5, v32, v30, s[12:13]
	v_add_u32_e32 v17, 1, v16
	v_add_u32_e32 v5, -1, v5
	v_min_u32_e32 v5, v17, v5
	v_add_u32_e32 v5, v11, v5
	ds_read_u8 v18, v5
	v_cndmask_b32_e64 v37, v17, v15, s[12:13]
	v_cndmask_b32_e64 v17, v14, v17, s[12:13]
	v_cmp_lt_u32_e64 s[16:17], v17, v30
	v_cmp_ge_u32_e64 s[14:15], v37, v32
	s_waitcnt lgkmcnt(0)
	v_cndmask_b32_e64 v35, v18, v27, s[12:13]
	v_cndmask_b32_e64 v36, v28, v18, s[12:13]
	v_cmp_le_u16_sdwa s[18:19], v36, v35 src0_sel:BYTE_0 src1_sel:BYTE_0
	s_and_b64 s[16:17], s[16:17], s[18:19]
	s_or_b64 s[14:15], s[14:15], s[16:17]
	v_cndmask_b32_e64 v18, v37, v17, s[14:15]
	v_cndmask_b32_e64 v14, v32, v30, s[14:15]
	v_add_u32_e32 v38, 1, v18
	v_add_u32_e32 v14, -1, v14
	v_min_u32_e32 v14, v38, v14
	v_add_u32_e32 v14, v11, v14
	ds_read_u8 v39, v14
	v_lshl_add_u32 v14, v16, 3, v9
	v_lshl_add_u32 v16, v18, 3, v9
	v_cndmask_b32_e64 v17, v17, v38, s[14:15]
	ds_read_b64 v[18:19], v16 offset:1024
	s_waitcnt lgkmcnt(1)
	v_cndmask_b32_e64 v48, v39, v35, s[14:15]
	v_cndmask_b32_e64 v39, v36, v39, s[14:15]
	;; [unrolled: 1-line block ×3, first 2 shown]
	v_cmp_lt_u32_e64 s[18:19], v17, v30
	v_cmp_le_u16_sdwa s[24:25], v39, v48 src0_sel:BYTE_0 src1_sel:BYTE_0
	v_cmp_ge_u32_e64 s[16:17], v16, v32
	s_and_b64 s[18:19], s[18:19], s[24:25]
	s_or_b64 s[16:17], s[16:17], s[18:19]
	v_cndmask_b32_e64 v16, v16, v17, s[16:17]
	v_lshl_add_u32 v4, v4, 3, v9
	v_lshl_add_u32 v16, v16, 3, v9
	ds_read_b64 v[4:5], v4 offset:1024
	ds_read_b64 v[14:15], v14 offset:1024
	;; [unrolled: 1-line block ×3, first 2 shown]
	v_cndmask_b32_e64 v25, v26, v25, s[8:9]
	v_cndmask_b32_e64 v26, v27, v28, s[12:13]
	;; [unrolled: 1-line block ×4, first 2 shown]
.LBB210_86:
	s_or_b64 exec, exec, s[22:23]
	; wave barrier
	ds_write_b8 v12, v25
	s_waitcnt lgkmcnt(3)
	ds_write_b64 v29, v[4:5]
	ds_write_b8 v34, v26
	s_waitcnt lgkmcnt(4)
	ds_write_b64 v21, v[14:15]
	ds_write_b8 v33, v27
	ds_write_b64 v20, v[18:19]
	ds_write_b8 v31, v28
	s_waitcnt lgkmcnt(7)
	ds_write_b64 v13, v[16:17]
	v_and_b32_e32 v20, 0x1e0, v24
	v_or_b32_e32 v12, 16, v20
	v_min_u32_e32 v12, v10, v12
	v_add_u32_e32 v13, 16, v12
	v_min_u32_e32 v13, v10, v13
	v_min_u32_e32 v10, v10, v22
	v_sub_u32_e32 v21, v12, v20
	v_sub_u32_e32 v24, v13, v12
	v_sub_u32_e64 v24, v10, v24 clamp
	v_min_u32_e32 v21, v10, v21
	v_cmp_lt_u32_e64 s[8:9], v24, v21
	; wave barrier
	s_and_saveexec_b64 s[12:13], s[8:9]
	s_cbranch_execz .LBB210_90
; %bb.87:
	v_add_co_u32_e64 v29, s[8:9], v11, v20
	v_add_co_u32_e64 v30, s[8:9], v11, v12
	s_mov_b64 s[14:15], 0
.LBB210_88:                             ; =>This Inner Loop Header: Depth=1
	v_add_u32_e32 v31, v21, v24
	v_lshrrev_b32_e32 v31, 1, v31
	v_not_b32_e32 v32, v31
	v_add_u32_e32 v33, v29, v31
	v_add3_u32 v32, v10, v32, v30
	ds_read_u8 v33, v33
	ds_read_u8 v32, v32
	v_add_u32_e32 v34, 1, v31
	s_waitcnt lgkmcnt(0)
	v_cmp_gt_u16_e64 s[8:9], v33, v32
	v_cndmask_b32_e64 v21, v21, v31, s[8:9]
	v_cndmask_b32_e64 v24, v34, v24, s[8:9]
	v_cmp_ge_u32_e64 s[8:9], v24, v21
	s_or_b64 s[14:15], s[8:9], s[14:15]
	s_andn2_b64 exec, exec, s[14:15]
	s_cbranch_execnz .LBB210_88
; %bb.89:
	s_or_b64 exec, exec, s[14:15]
.LBB210_90:
	s_or_b64 exec, exec, s[12:13]
	v_add_u32_e32 v10, v12, v10
	v_add_u32_e32 v21, v24, v20
	v_sub_u32_e32 v24, v10, v24
	v_cmp_le_u32_e64 s[8:9], v21, v12
	v_cmp_le_u32_e64 s[12:13], v24, v13
	s_or_b64 s[8:9], s[8:9], s[12:13]
	s_and_saveexec_b64 s[22:23], s[8:9]
	s_cbranch_execz .LBB210_96
; %bb.91:
	v_cmp_lt_u32_e64 s[8:9], v21, v12
                                        ; implicit-def: $vgpr10
	s_and_saveexec_b64 s[12:13], s[8:9]
; %bb.92:
	v_add_u32_e32 v4, v11, v21
	ds_read_u8 v10, v4
; %bb.93:
	s_or_b64 exec, exec, s[12:13]
	v_cmp_ge_u32_e64 s[12:13], v24, v13
	v_cmp_lt_u32_e64 s[14:15], v24, v13
                                        ; implicit-def: $vgpr20
	s_and_saveexec_b64 s[16:17], s[14:15]
; %bb.94:
	v_add_u32_e32 v4, v11, v24
	ds_read_u8 v20, v4
; %bb.95:
	s_or_b64 exec, exec, s[16:17]
	s_waitcnt lgkmcnt(0)
	v_cmp_le_u16_sdwa s[14:15], v10, v20 src0_sel:BYTE_0 src1_sel:BYTE_0
	s_and_b64 s[8:9], s[8:9], s[14:15]
	s_or_b64 s[8:9], s[12:13], s[8:9]
	v_cndmask_b32_e64 v4, v24, v21, s[8:9]
	v_cndmask_b32_e64 v5, v13, v12, s[8:9]
	v_add_u32_e32 v14, 1, v4
	v_add_u32_e32 v5, -1, v5
	v_min_u32_e32 v5, v14, v5
	v_add_u32_e32 v5, v11, v5
	ds_read_u8 v5, v5
	v_cndmask_b32_e64 v15, v14, v24, s[8:9]
	v_cndmask_b32_e64 v14, v21, v14, s[8:9]
	v_cmp_lt_u32_e64 s[14:15], v14, v12
	v_cmp_ge_u32_e64 s[12:13], v15, v13
	s_waitcnt lgkmcnt(0)
	v_cndmask_b32_e64 v24, v5, v20, s[8:9]
	v_cndmask_b32_e64 v26, v10, v5, s[8:9]
	v_cmp_le_u16_sdwa s[16:17], v26, v24 src0_sel:BYTE_0 src1_sel:BYTE_0
	s_and_b64 s[14:15], s[14:15], s[16:17]
	s_or_b64 s[12:13], s[12:13], s[14:15]
	v_cndmask_b32_e64 v16, v15, v14, s[12:13]
	v_cndmask_b32_e64 v5, v13, v12, s[12:13]
	v_add_u32_e32 v17, 1, v16
	v_add_u32_e32 v5, -1, v5
	v_min_u32_e32 v5, v17, v5
	v_add_u32_e32 v5, v11, v5
	ds_read_u8 v18, v5
	v_cndmask_b32_e64 v25, v17, v15, s[12:13]
	v_cndmask_b32_e64 v17, v14, v17, s[12:13]
	v_cmp_lt_u32_e64 s[16:17], v17, v12
	v_cmp_ge_u32_e64 s[14:15], v25, v13
	s_waitcnt lgkmcnt(0)
	v_cndmask_b32_e64 v21, v18, v24, s[12:13]
	v_cndmask_b32_e64 v27, v26, v18, s[12:13]
	v_cmp_le_u16_sdwa s[18:19], v27, v21 src0_sel:BYTE_0 src1_sel:BYTE_0
	s_and_b64 s[16:17], s[16:17], s[18:19]
	s_or_b64 s[14:15], s[14:15], s[16:17]
	v_cndmask_b32_e64 v18, v25, v17, s[14:15]
	v_cndmask_b32_e64 v14, v13, v12, s[14:15]
	v_add_u32_e32 v28, 1, v18
	v_add_u32_e32 v14, -1, v14
	v_min_u32_e32 v14, v28, v14
	v_add_u32_e32 v11, v11, v14
	ds_read_u8 v11, v11
	v_lshl_add_u32 v14, v16, 3, v9
	v_lshl_add_u32 v16, v18, 3, v9
	v_cndmask_b32_e64 v17, v17, v28, s[14:15]
	ds_read_b64 v[18:19], v16 offset:1024
	s_waitcnt lgkmcnt(1)
	v_cndmask_b32_e64 v29, v11, v21, s[14:15]
	v_cndmask_b32_e64 v11, v27, v11, s[14:15]
	;; [unrolled: 1-line block ×3, first 2 shown]
	v_cmp_lt_u32_e64 s[18:19], v17, v12
	v_cmp_le_u16_sdwa s[24:25], v11, v29 src0_sel:BYTE_0 src1_sel:BYTE_0
	v_cmp_ge_u32_e64 s[16:17], v16, v13
	s_and_b64 s[18:19], s[18:19], s[24:25]
	s_or_b64 s[16:17], s[16:17], s[18:19]
	v_cndmask_b32_e64 v12, v16, v17, s[16:17]
	v_lshl_add_u32 v4, v4, 3, v9
	v_lshl_add_u32 v9, v12, 3, v9
	ds_read_b64 v[4:5], v4 offset:1024
	ds_read_b64 v[14:15], v14 offset:1024
	;; [unrolled: 1-line block ×3, first 2 shown]
	v_cndmask_b32_e64 v25, v20, v10, s[8:9]
	v_cndmask_b32_e64 v26, v24, v26, s[12:13]
	;; [unrolled: 1-line block ×4, first 2 shown]
.LBB210_96:
	s_or_b64 exec, exec, s[22:23]
	; wave barrier
	s_waitcnt lgkmcnt(0)
	s_barrier
.LBB210_97:
	s_or_b64 exec, exec, s[20:21]
	v_add_co_u32_e64 v2, s[8:9], v2, v8
	v_addc_co_u32_e64 v3, s[8:9], 0, v3, s[8:9]
	v_add_co_u32_e64 v2, s[8:9], v2, v22
	v_addc_co_u32_e64 v3, s[8:9], 0, v3, s[8:9]
	s_waitcnt lgkmcnt(0)
	; wave barrier
	s_and_saveexec_b64 s[8:9], vcc
	s_cbranch_execnz .LBB210_110
; %bb.98:
	s_or_b64 exec, exec, s[8:9]
	s_and_saveexec_b64 s[8:9], s[4:5]
	s_cbranch_execnz .LBB210_111
.LBB210_99:
	s_or_b64 exec, exec, s[8:9]
	s_and_saveexec_b64 s[8:9], s[6:7]
	s_cbranch_execnz .LBB210_112
.LBB210_100:
	s_or_b64 exec, exec, s[8:9]
	s_and_saveexec_b64 s[8:9], s[10:11]
	s_cbranch_execz .LBB210_102
.LBB210_101:
	s_waitcnt vmcnt(0)
	flat_store_byte v[2:3], v28 offset:3
.LBB210_102:
	s_or_b64 exec, exec, s[8:9]
	v_add_co_u32_e64 v0, s[8:9], v6, v0
	v_addc_co_u32_e64 v1, s[8:9], v7, v1, s[8:9]
	v_add_co_u32_e64 v0, s[8:9], v0, v23
	v_addc_co_u32_e64 v1, s[8:9], 0, v1, s[8:9]
	; wave barrier
	s_and_saveexec_b64 s[8:9], vcc
	s_cbranch_execnz .LBB210_113
; %bb.103:
	s_or_b64 exec, exec, s[8:9]
	s_and_saveexec_b64 s[8:9], s[4:5]
	s_cbranch_execnz .LBB210_114
.LBB210_104:
	s_or_b64 exec, exec, s[8:9]
	s_and_saveexec_b64 s[4:5], s[6:7]
	s_cbranch_execnz .LBB210_115
.LBB210_105:
	s_or_b64 exec, exec, s[4:5]
	s_and_saveexec_b64 s[4:5], s[10:11]
	s_cbranch_execnz .LBB210_116
.LBB210_106:
	s_or_b64 exec, exec, s[4:5]
	s_waitcnt vmcnt(0) lgkmcnt(0)
	s_setpc_b64 s[30:31]
.LBB210_107:
	flat_load_dwordx2 v[4:5], v[20:21]
	s_or_b64 exec, exec, s[14:15]
                                        ; implicit-def: $vgpr14_vgpr15
	s_and_saveexec_b64 s[14:15], s[4:5]
	s_cbranch_execz .LBB210_10
.LBB210_108:
	flat_load_dwordx2 v[14:15], v[20:21] offset:8
	s_or_b64 exec, exec, s[14:15]
                                        ; implicit-def: $vgpr18_vgpr19
	s_and_saveexec_b64 s[14:15], s[6:7]
	s_cbranch_execz .LBB210_11
.LBB210_109:
	flat_load_dwordx2 v[18:19], v[20:21] offset:16
	s_or_b64 exec, exec, s[14:15]
                                        ; implicit-def: $vgpr16_vgpr17
	s_and_saveexec_b64 s[14:15], s[10:11]
	s_cbranch_execnz .LBB210_12
	s_branch .LBB210_13
.LBB210_110:
	s_waitcnt vmcnt(0)
	flat_store_byte v[2:3], v25
	s_or_b64 exec, exec, s[8:9]
	s_and_saveexec_b64 s[8:9], s[4:5]
	s_cbranch_execz .LBB210_99
.LBB210_111:
	s_waitcnt vmcnt(0)
	flat_store_byte v[2:3], v26 offset:1
	s_or_b64 exec, exec, s[8:9]
	s_and_saveexec_b64 s[8:9], s[6:7]
	s_cbranch_execz .LBB210_100
.LBB210_112:
	s_waitcnt vmcnt(0)
	flat_store_byte v[2:3], v27 offset:2
	s_or_b64 exec, exec, s[8:9]
	s_and_saveexec_b64 s[8:9], s[10:11]
	s_cbranch_execnz .LBB210_101
	s_branch .LBB210_102
.LBB210_113:
	s_waitcnt vmcnt(0)
	flat_store_dwordx2 v[0:1], v[4:5]
	s_or_b64 exec, exec, s[8:9]
	s_and_saveexec_b64 s[8:9], s[4:5]
	s_cbranch_execz .LBB210_104
.LBB210_114:
	s_waitcnt vmcnt(0)
	flat_store_dwordx2 v[0:1], v[14:15] offset:8
	s_or_b64 exec, exec, s[8:9]
	s_and_saveexec_b64 s[4:5], s[6:7]
	s_cbranch_execz .LBB210_105
.LBB210_115:
	s_waitcnt vmcnt(0)
	flat_store_dwordx2 v[0:1], v[18:19] offset:16
	s_or_b64 exec, exec, s[4:5]
	s_and_saveexec_b64 s[4:5], s[10:11]
	s_cbranch_execz .LBB210_106
.LBB210_116:
	s_waitcnt vmcnt(0)
	flat_store_dwordx2 v[0:1], v[16:17] offset:24
	s_or_b64 exec, exec, s[4:5]
	s_waitcnt vmcnt(0) lgkmcnt(0)
	s_setpc_b64 s[30:31]
.Lfunc_end210:
	.size	_ZN7rocprim17ROCPRIM_400000_NS6detail26segmented_warp_sort_helperINS1_20WarpSortHelperConfigILj8ELj4ELj256EEEhlLi256ELb0EvE4sortIPKhPhPKlPlEEvT_T0_T1_T2_jjjjRNS5_12storage_typeE, .Lfunc_end210-_ZN7rocprim17ROCPRIM_400000_NS6detail26segmented_warp_sort_helperINS1_20WarpSortHelperConfigILj8ELj4ELj256EEEhlLi256ELb0EvE4sortIPKhPhPKlPlEEvT_T0_T1_T2_jjjjRNS5_12storage_typeE
                                        ; -- End function
	.set .L_ZN7rocprim17ROCPRIM_400000_NS6detail26segmented_warp_sort_helperINS1_20WarpSortHelperConfigILj8ELj4ELj256EEEhlLi256ELb0EvE4sortIPKhPhPKlPlEEvT_T0_T1_T2_jjjjRNS5_12storage_typeE.num_vgpr, 51
	.set .L_ZN7rocprim17ROCPRIM_400000_NS6detail26segmented_warp_sort_helperINS1_20WarpSortHelperConfigILj8ELj4ELj256EEEhlLi256ELb0EvE4sortIPKhPhPKlPlEEvT_T0_T1_T2_jjjjRNS5_12storage_typeE.num_agpr, 0
	.set .L_ZN7rocprim17ROCPRIM_400000_NS6detail26segmented_warp_sort_helperINS1_20WarpSortHelperConfigILj8ELj4ELj256EEEhlLi256ELb0EvE4sortIPKhPhPKlPlEEvT_T0_T1_T2_jjjjRNS5_12storage_typeE.numbered_sgpr, 32
	.set .L_ZN7rocprim17ROCPRIM_400000_NS6detail26segmented_warp_sort_helperINS1_20WarpSortHelperConfigILj8ELj4ELj256EEEhlLi256ELb0EvE4sortIPKhPhPKlPlEEvT_T0_T1_T2_jjjjRNS5_12storage_typeE.num_named_barrier, 0
	.set .L_ZN7rocprim17ROCPRIM_400000_NS6detail26segmented_warp_sort_helperINS1_20WarpSortHelperConfigILj8ELj4ELj256EEEhlLi256ELb0EvE4sortIPKhPhPKlPlEEvT_T0_T1_T2_jjjjRNS5_12storage_typeE.private_seg_size, 0
	.set .L_ZN7rocprim17ROCPRIM_400000_NS6detail26segmented_warp_sort_helperINS1_20WarpSortHelperConfigILj8ELj4ELj256EEEhlLi256ELb0EvE4sortIPKhPhPKlPlEEvT_T0_T1_T2_jjjjRNS5_12storage_typeE.uses_vcc, 1
	.set .L_ZN7rocprim17ROCPRIM_400000_NS6detail26segmented_warp_sort_helperINS1_20WarpSortHelperConfigILj8ELj4ELj256EEEhlLi256ELb0EvE4sortIPKhPhPKlPlEEvT_T0_T1_T2_jjjjRNS5_12storage_typeE.uses_flat_scratch, 0
	.set .L_ZN7rocprim17ROCPRIM_400000_NS6detail26segmented_warp_sort_helperINS1_20WarpSortHelperConfigILj8ELj4ELj256EEEhlLi256ELb0EvE4sortIPKhPhPKlPlEEvT_T0_T1_T2_jjjjRNS5_12storage_typeE.has_dyn_sized_stack, 0
	.set .L_ZN7rocprim17ROCPRIM_400000_NS6detail26segmented_warp_sort_helperINS1_20WarpSortHelperConfigILj8ELj4ELj256EEEhlLi256ELb0EvE4sortIPKhPhPKlPlEEvT_T0_T1_T2_jjjjRNS5_12storage_typeE.has_recursion, 0
	.set .L_ZN7rocprim17ROCPRIM_400000_NS6detail26segmented_warp_sort_helperINS1_20WarpSortHelperConfigILj8ELj4ELj256EEEhlLi256ELb0EvE4sortIPKhPhPKlPlEEvT_T0_T1_T2_jjjjRNS5_12storage_typeE.has_indirect_call, 0
	.section	.AMDGPU.csdata,"",@progbits
; Function info:
; codeLenInByte = 7192
; TotalNumSgprs: 36
; NumVgprs: 51
; ScratchSize: 0
; MemoryBound: 0
	.section	.text._ZN7rocprim17ROCPRIM_400000_NS6detail17trampoline_kernelINS0_14default_configENS1_36segmented_radix_sort_config_selectorIhlEEZNS1_25segmented_radix_sort_implIS3_Lb0EPKhPhPKlPlN2at6native12_GLOBAL__N_18offset_tEEE10hipError_tPvRmT1_PNSt15iterator_traitsISK_E10value_typeET2_T3_PNSL_ISQ_E10value_typeET4_jRbjT5_SW_jjP12ihipStream_tbEUlT_E1_NS1_11comp_targetILNS1_3genE2ELNS1_11target_archE906ELNS1_3gpuE6ELNS1_3repE0EEENS1_59segmented_radix_sort_warp_sort_small_config_static_selectorELNS0_4arch9wavefront6targetE1EEEvSK_,"axG",@progbits,_ZN7rocprim17ROCPRIM_400000_NS6detail17trampoline_kernelINS0_14default_configENS1_36segmented_radix_sort_config_selectorIhlEEZNS1_25segmented_radix_sort_implIS3_Lb0EPKhPhPKlPlN2at6native12_GLOBAL__N_18offset_tEEE10hipError_tPvRmT1_PNSt15iterator_traitsISK_E10value_typeET2_T3_PNSL_ISQ_E10value_typeET4_jRbjT5_SW_jjP12ihipStream_tbEUlT_E1_NS1_11comp_targetILNS1_3genE2ELNS1_11target_archE906ELNS1_3gpuE6ELNS1_3repE0EEENS1_59segmented_radix_sort_warp_sort_small_config_static_selectorELNS0_4arch9wavefront6targetE1EEEvSK_,comdat
	.globl	_ZN7rocprim17ROCPRIM_400000_NS6detail17trampoline_kernelINS0_14default_configENS1_36segmented_radix_sort_config_selectorIhlEEZNS1_25segmented_radix_sort_implIS3_Lb0EPKhPhPKlPlN2at6native12_GLOBAL__N_18offset_tEEE10hipError_tPvRmT1_PNSt15iterator_traitsISK_E10value_typeET2_T3_PNSL_ISQ_E10value_typeET4_jRbjT5_SW_jjP12ihipStream_tbEUlT_E1_NS1_11comp_targetILNS1_3genE2ELNS1_11target_archE906ELNS1_3gpuE6ELNS1_3repE0EEENS1_59segmented_radix_sort_warp_sort_small_config_static_selectorELNS0_4arch9wavefront6targetE1EEEvSK_ ; -- Begin function _ZN7rocprim17ROCPRIM_400000_NS6detail17trampoline_kernelINS0_14default_configENS1_36segmented_radix_sort_config_selectorIhlEEZNS1_25segmented_radix_sort_implIS3_Lb0EPKhPhPKlPlN2at6native12_GLOBAL__N_18offset_tEEE10hipError_tPvRmT1_PNSt15iterator_traitsISK_E10value_typeET2_T3_PNSL_ISQ_E10value_typeET4_jRbjT5_SW_jjP12ihipStream_tbEUlT_E1_NS1_11comp_targetILNS1_3genE2ELNS1_11target_archE906ELNS1_3gpuE6ELNS1_3repE0EEENS1_59segmented_radix_sort_warp_sort_small_config_static_selectorELNS0_4arch9wavefront6targetE1EEEvSK_
	.p2align	8
	.type	_ZN7rocprim17ROCPRIM_400000_NS6detail17trampoline_kernelINS0_14default_configENS1_36segmented_radix_sort_config_selectorIhlEEZNS1_25segmented_radix_sort_implIS3_Lb0EPKhPhPKlPlN2at6native12_GLOBAL__N_18offset_tEEE10hipError_tPvRmT1_PNSt15iterator_traitsISK_E10value_typeET2_T3_PNSL_ISQ_E10value_typeET4_jRbjT5_SW_jjP12ihipStream_tbEUlT_E1_NS1_11comp_targetILNS1_3genE2ELNS1_11target_archE906ELNS1_3gpuE6ELNS1_3repE0EEENS1_59segmented_radix_sort_warp_sort_small_config_static_selectorELNS0_4arch9wavefront6targetE1EEEvSK_,@function
_ZN7rocprim17ROCPRIM_400000_NS6detail17trampoline_kernelINS0_14default_configENS1_36segmented_radix_sort_config_selectorIhlEEZNS1_25segmented_radix_sort_implIS3_Lb0EPKhPhPKlPlN2at6native12_GLOBAL__N_18offset_tEEE10hipError_tPvRmT1_PNSt15iterator_traitsISK_E10value_typeET2_T3_PNSL_ISQ_E10value_typeET4_jRbjT5_SW_jjP12ihipStream_tbEUlT_E1_NS1_11comp_targetILNS1_3genE2ELNS1_11target_archE906ELNS1_3gpuE6ELNS1_3repE0EEENS1_59segmented_radix_sort_warp_sort_small_config_static_selectorELNS0_4arch9wavefront6targetE1EEEvSK_: ; @_ZN7rocprim17ROCPRIM_400000_NS6detail17trampoline_kernelINS0_14default_configENS1_36segmented_radix_sort_config_selectorIhlEEZNS1_25segmented_radix_sort_implIS3_Lb0EPKhPhPKlPlN2at6native12_GLOBAL__N_18offset_tEEE10hipError_tPvRmT1_PNSt15iterator_traitsISK_E10value_typeET2_T3_PNSL_ISQ_E10value_typeET4_jRbjT5_SW_jjP12ihipStream_tbEUlT_E1_NS1_11comp_targetILNS1_3genE2ELNS1_11target_archE906ELNS1_3gpuE6ELNS1_3repE0EEENS1_59segmented_radix_sort_warp_sort_small_config_static_selectorELNS0_4arch9wavefront6targetE1EEEvSK_
; %bb.0:
	s_add_u32 s0, s0, s8
	s_load_dword s8, s[4:5], 0x64
	s_addc_u32 s1, s1, 0
	s_mov_b32 s32, 0
	s_waitcnt lgkmcnt(0)
	s_lshr_b32 s9, s8, 16
	s_and_b32 s8, s8, 0xffff
	v_mad_u32_u24 v3, v2, s9, v1
	v_mad_u64_u32 v[3:4], s[8:9], v3, s8, v[0:1]
	s_load_dword s8, s[4:5], 0x34
	v_lshrrev_b32_e32 v3, 3, v3
	v_lshl_add_u32 v3, s6, 5, v3
	s_waitcnt lgkmcnt(0)
	v_cmp_gt_u32_e32 vcc, s8, v3
	s_and_saveexec_b64 s[8:9], vcc
	s_cbranch_execz .LBB211_6
; %bb.1:
	s_load_dwordx2 s[12:13], s[4:5], 0x38
	s_load_dwordx4 s[8:11], s[4:5], 0x40
	v_mov_b32_e32 v4, 0
	v_lshlrev_b64 v[3:4], 2, v[3:4]
	s_waitcnt lgkmcnt(0)
	v_mov_b32_e32 v5, s13
	v_sub_co_u32_e32 v3, vcc, s12, v3
	v_subb_co_u32_e32 v4, vcc, v5, v4, vcc
	global_load_dword v3, v[3:4], off offset:-4
	s_waitcnt vmcnt(0)
	v_add_u32_e32 v4, s9, v3
	v_add_u32_e32 v3, s11, v3
	v_mul_lo_u32 v8, v4, s8
	v_mul_lo_u32 v40, v3, s10
	v_cmp_gt_u32_e32 vcc, v40, v8
	s_and_b64 exec, exec, vcc
	s_cbranch_execz .LBB211_6
; %bb.2:
	s_load_dword s10, s[4:5], 0x30
	s_load_dwordx4 s[44:47], s[4:5], 0x20
	s_load_dwordx8 s[36:43], s[4:5], 0x0
	s_load_dwordx2 s[34:35], s[4:5], 0x50
	s_mov_b64 s[8:9], -1
	s_waitcnt lgkmcnt(0)
	s_bitcmp0_b32 s10, 0
	v_lshlrev_b32_e32 v42, 20, v2
	v_lshlrev_b32_e32 v43, 10, v1
	s_cbranch_scc0 .LBB211_4
; %bb.3:
	s_add_u32 s8, s4, 0x58
	s_mov_b64 s[10:11], src_shared_base
	s_addc_u32 s9, s5, 0
	s_getpc_b64 s[14:15]
	s_add_u32 s14, s14, _ZN7rocprim17ROCPRIM_400000_NS6detail26segmented_warp_sort_helperINS1_20WarpSortHelperConfigILj8ELj4ELj256EEEhlLi256ELb0EvE4sortIPKhPhPKlPlEEvT_T0_T1_T2_jjjjRNS5_12storage_typeE@rel32@lo+4
	s_addc_u32 s15, s15, _ZN7rocprim17ROCPRIM_400000_NS6detail26segmented_warp_sort_helperINS1_20WarpSortHelperConfigILj8ELj4ELj256EEEhlLi256ELb0EvE4sortIPKhPhPKlPlEEvT_T0_T1_T2_jjjjRNS5_12storage_typeE@rel32@hi+12
	v_or3_b32 v31, v0, v43, v42
	s_mov_b32 s12, s6
	s_mov_b32 s13, s7
	v_mov_b32_e32 v41, v0
	v_mov_b32_e32 v0, s36
	;; [unrolled: 1-line block ×14, first 2 shown]
	s_mov_b64 s[38:39], s[4:5]
	s_mov_b32 s44, s7
	s_mov_b32 s33, s6
	s_swappc_b64 s[30:31], s[14:15]
	v_mov_b32_e32 v0, v41
	s_mov_b32 s6, s33
	s_mov_b32 s7, s44
	s_mov_b64 s[4:5], s[38:39]
	s_mov_b64 s[8:9], 0
.LBB211_4:
	s_andn2_b64 vcc, exec, s[8:9]
	s_cbranch_vccnz .LBB211_6
; %bb.5:
	s_add_u32 s8, s4, 0x58
	s_mov_b64 s[10:11], src_shared_base
	s_addc_u32 s9, s5, 0
	s_getpc_b64 s[4:5]
	s_add_u32 s4, s4, _ZN7rocprim17ROCPRIM_400000_NS6detail26segmented_warp_sort_helperINS1_20WarpSortHelperConfigILj8ELj4ELj256EEEhlLi256ELb0EvE4sortIPKhPhPKlPlEEvT_T0_T1_T2_jjjjRNS5_12storage_typeE@rel32@lo+4
	s_addc_u32 s5, s5, _ZN7rocprim17ROCPRIM_400000_NS6detail26segmented_warp_sort_helperINS1_20WarpSortHelperConfigILj8ELj4ELj256EEEhlLi256ELb0EvE4sortIPKhPhPKlPlEEvT_T0_T1_T2_jjjjRNS5_12storage_typeE@rel32@hi+12
	v_or3_b32 v31, v0, v43, v42
	s_mov_b32 s12, s6
	s_mov_b32 s13, s7
	v_mov_b32_e32 v0, s36
	v_mov_b32_e32 v1, s37
	;; [unrolled: 1-line block ×13, first 2 shown]
	s_swappc_b64 s[30:31], s[4:5]
.LBB211_6:
	s_endpgm
	.section	.rodata,"a",@progbits
	.p2align	6, 0x0
	.amdhsa_kernel _ZN7rocprim17ROCPRIM_400000_NS6detail17trampoline_kernelINS0_14default_configENS1_36segmented_radix_sort_config_selectorIhlEEZNS1_25segmented_radix_sort_implIS3_Lb0EPKhPhPKlPlN2at6native12_GLOBAL__N_18offset_tEEE10hipError_tPvRmT1_PNSt15iterator_traitsISK_E10value_typeET2_T3_PNSL_ISQ_E10value_typeET4_jRbjT5_SW_jjP12ihipStream_tbEUlT_E1_NS1_11comp_targetILNS1_3genE2ELNS1_11target_archE906ELNS1_3gpuE6ELNS1_3repE0EEENS1_59segmented_radix_sort_warp_sort_small_config_static_selectorELNS0_4arch9wavefront6targetE1EEEvSK_
		.amdhsa_group_segment_fixed_size 9216
		.amdhsa_private_segment_fixed_size 0
		.amdhsa_kernarg_size 344
		.amdhsa_user_sgpr_count 6
		.amdhsa_user_sgpr_private_segment_buffer 1
		.amdhsa_user_sgpr_dispatch_ptr 0
		.amdhsa_user_sgpr_queue_ptr 0
		.amdhsa_user_sgpr_kernarg_segment_ptr 1
		.amdhsa_user_sgpr_dispatch_id 0
		.amdhsa_user_sgpr_flat_scratch_init 0
		.amdhsa_user_sgpr_private_segment_size 0
		.amdhsa_uses_dynamic_stack 0
		.amdhsa_system_sgpr_private_segment_wavefront_offset 0
		.amdhsa_system_sgpr_workgroup_id_x 1
		.amdhsa_system_sgpr_workgroup_id_y 1
		.amdhsa_system_sgpr_workgroup_id_z 0
		.amdhsa_system_sgpr_workgroup_info 0
		.amdhsa_system_vgpr_workitem_id 2
		.amdhsa_next_free_vgpr 51
		.amdhsa_next_free_sgpr 77
		.amdhsa_reserve_vcc 1
		.amdhsa_reserve_flat_scratch 0
		.amdhsa_float_round_mode_32 0
		.amdhsa_float_round_mode_16_64 0
		.amdhsa_float_denorm_mode_32 3
		.amdhsa_float_denorm_mode_16_64 3
		.amdhsa_dx10_clamp 1
		.amdhsa_ieee_mode 1
		.amdhsa_fp16_overflow 0
		.amdhsa_exception_fp_ieee_invalid_op 0
		.amdhsa_exception_fp_denorm_src 0
		.amdhsa_exception_fp_ieee_div_zero 0
		.amdhsa_exception_fp_ieee_overflow 0
		.amdhsa_exception_fp_ieee_underflow 0
		.amdhsa_exception_fp_ieee_inexact 0
		.amdhsa_exception_int_div_zero 0
	.end_amdhsa_kernel
	.section	.text._ZN7rocprim17ROCPRIM_400000_NS6detail17trampoline_kernelINS0_14default_configENS1_36segmented_radix_sort_config_selectorIhlEEZNS1_25segmented_radix_sort_implIS3_Lb0EPKhPhPKlPlN2at6native12_GLOBAL__N_18offset_tEEE10hipError_tPvRmT1_PNSt15iterator_traitsISK_E10value_typeET2_T3_PNSL_ISQ_E10value_typeET4_jRbjT5_SW_jjP12ihipStream_tbEUlT_E1_NS1_11comp_targetILNS1_3genE2ELNS1_11target_archE906ELNS1_3gpuE6ELNS1_3repE0EEENS1_59segmented_radix_sort_warp_sort_small_config_static_selectorELNS0_4arch9wavefront6targetE1EEEvSK_,"axG",@progbits,_ZN7rocprim17ROCPRIM_400000_NS6detail17trampoline_kernelINS0_14default_configENS1_36segmented_radix_sort_config_selectorIhlEEZNS1_25segmented_radix_sort_implIS3_Lb0EPKhPhPKlPlN2at6native12_GLOBAL__N_18offset_tEEE10hipError_tPvRmT1_PNSt15iterator_traitsISK_E10value_typeET2_T3_PNSL_ISQ_E10value_typeET4_jRbjT5_SW_jjP12ihipStream_tbEUlT_E1_NS1_11comp_targetILNS1_3genE2ELNS1_11target_archE906ELNS1_3gpuE6ELNS1_3repE0EEENS1_59segmented_radix_sort_warp_sort_small_config_static_selectorELNS0_4arch9wavefront6targetE1EEEvSK_,comdat
.Lfunc_end211:
	.size	_ZN7rocprim17ROCPRIM_400000_NS6detail17trampoline_kernelINS0_14default_configENS1_36segmented_radix_sort_config_selectorIhlEEZNS1_25segmented_radix_sort_implIS3_Lb0EPKhPhPKlPlN2at6native12_GLOBAL__N_18offset_tEEE10hipError_tPvRmT1_PNSt15iterator_traitsISK_E10value_typeET2_T3_PNSL_ISQ_E10value_typeET4_jRbjT5_SW_jjP12ihipStream_tbEUlT_E1_NS1_11comp_targetILNS1_3genE2ELNS1_11target_archE906ELNS1_3gpuE6ELNS1_3repE0EEENS1_59segmented_radix_sort_warp_sort_small_config_static_selectorELNS0_4arch9wavefront6targetE1EEEvSK_, .Lfunc_end211-_ZN7rocprim17ROCPRIM_400000_NS6detail17trampoline_kernelINS0_14default_configENS1_36segmented_radix_sort_config_selectorIhlEEZNS1_25segmented_radix_sort_implIS3_Lb0EPKhPhPKlPlN2at6native12_GLOBAL__N_18offset_tEEE10hipError_tPvRmT1_PNSt15iterator_traitsISK_E10value_typeET2_T3_PNSL_ISQ_E10value_typeET4_jRbjT5_SW_jjP12ihipStream_tbEUlT_E1_NS1_11comp_targetILNS1_3genE2ELNS1_11target_archE906ELNS1_3gpuE6ELNS1_3repE0EEENS1_59segmented_radix_sort_warp_sort_small_config_static_selectorELNS0_4arch9wavefront6targetE1EEEvSK_
                                        ; -- End function
	.set _ZN7rocprim17ROCPRIM_400000_NS6detail17trampoline_kernelINS0_14default_configENS1_36segmented_radix_sort_config_selectorIhlEEZNS1_25segmented_radix_sort_implIS3_Lb0EPKhPhPKlPlN2at6native12_GLOBAL__N_18offset_tEEE10hipError_tPvRmT1_PNSt15iterator_traitsISK_E10value_typeET2_T3_PNSL_ISQ_E10value_typeET4_jRbjT5_SW_jjP12ihipStream_tbEUlT_E1_NS1_11comp_targetILNS1_3genE2ELNS1_11target_archE906ELNS1_3gpuE6ELNS1_3repE0EEENS1_59segmented_radix_sort_warp_sort_small_config_static_selectorELNS0_4arch9wavefront6targetE1EEEvSK_.num_vgpr, max(44, .L_ZN7rocprim17ROCPRIM_400000_NS6detail26segmented_warp_sort_helperINS1_20WarpSortHelperConfigILj8ELj4ELj256EEEhlLi256ELb0EvE4sortIPKhPhPKlPlEEvT_T0_T1_T2_jjjjRNS5_12storage_typeE.num_vgpr)
	.set _ZN7rocprim17ROCPRIM_400000_NS6detail17trampoline_kernelINS0_14default_configENS1_36segmented_radix_sort_config_selectorIhlEEZNS1_25segmented_radix_sort_implIS3_Lb0EPKhPhPKlPlN2at6native12_GLOBAL__N_18offset_tEEE10hipError_tPvRmT1_PNSt15iterator_traitsISK_E10value_typeET2_T3_PNSL_ISQ_E10value_typeET4_jRbjT5_SW_jjP12ihipStream_tbEUlT_E1_NS1_11comp_targetILNS1_3genE2ELNS1_11target_archE906ELNS1_3gpuE6ELNS1_3repE0EEENS1_59segmented_radix_sort_warp_sort_small_config_static_selectorELNS0_4arch9wavefront6targetE1EEEvSK_.num_agpr, max(0, .L_ZN7rocprim17ROCPRIM_400000_NS6detail26segmented_warp_sort_helperINS1_20WarpSortHelperConfigILj8ELj4ELj256EEEhlLi256ELb0EvE4sortIPKhPhPKlPlEEvT_T0_T1_T2_jjjjRNS5_12storage_typeE.num_agpr)
	.set _ZN7rocprim17ROCPRIM_400000_NS6detail17trampoline_kernelINS0_14default_configENS1_36segmented_radix_sort_config_selectorIhlEEZNS1_25segmented_radix_sort_implIS3_Lb0EPKhPhPKlPlN2at6native12_GLOBAL__N_18offset_tEEE10hipError_tPvRmT1_PNSt15iterator_traitsISK_E10value_typeET2_T3_PNSL_ISQ_E10value_typeET4_jRbjT5_SW_jjP12ihipStream_tbEUlT_E1_NS1_11comp_targetILNS1_3genE2ELNS1_11target_archE906ELNS1_3gpuE6ELNS1_3repE0EEENS1_59segmented_radix_sort_warp_sort_small_config_static_selectorELNS0_4arch9wavefront6targetE1EEEvSK_.numbered_sgpr, max(48, .L_ZN7rocprim17ROCPRIM_400000_NS6detail26segmented_warp_sort_helperINS1_20WarpSortHelperConfigILj8ELj4ELj256EEEhlLi256ELb0EvE4sortIPKhPhPKlPlEEvT_T0_T1_T2_jjjjRNS5_12storage_typeE.numbered_sgpr)
	.set _ZN7rocprim17ROCPRIM_400000_NS6detail17trampoline_kernelINS0_14default_configENS1_36segmented_radix_sort_config_selectorIhlEEZNS1_25segmented_radix_sort_implIS3_Lb0EPKhPhPKlPlN2at6native12_GLOBAL__N_18offset_tEEE10hipError_tPvRmT1_PNSt15iterator_traitsISK_E10value_typeET2_T3_PNSL_ISQ_E10value_typeET4_jRbjT5_SW_jjP12ihipStream_tbEUlT_E1_NS1_11comp_targetILNS1_3genE2ELNS1_11target_archE906ELNS1_3gpuE6ELNS1_3repE0EEENS1_59segmented_radix_sort_warp_sort_small_config_static_selectorELNS0_4arch9wavefront6targetE1EEEvSK_.num_named_barrier, max(0, .L_ZN7rocprim17ROCPRIM_400000_NS6detail26segmented_warp_sort_helperINS1_20WarpSortHelperConfigILj8ELj4ELj256EEEhlLi256ELb0EvE4sortIPKhPhPKlPlEEvT_T0_T1_T2_jjjjRNS5_12storage_typeE.num_named_barrier)
	.set _ZN7rocprim17ROCPRIM_400000_NS6detail17trampoline_kernelINS0_14default_configENS1_36segmented_radix_sort_config_selectorIhlEEZNS1_25segmented_radix_sort_implIS3_Lb0EPKhPhPKlPlN2at6native12_GLOBAL__N_18offset_tEEE10hipError_tPvRmT1_PNSt15iterator_traitsISK_E10value_typeET2_T3_PNSL_ISQ_E10value_typeET4_jRbjT5_SW_jjP12ihipStream_tbEUlT_E1_NS1_11comp_targetILNS1_3genE2ELNS1_11target_archE906ELNS1_3gpuE6ELNS1_3repE0EEENS1_59segmented_radix_sort_warp_sort_small_config_static_selectorELNS0_4arch9wavefront6targetE1EEEvSK_.private_seg_size, 0+max(.L_ZN7rocprim17ROCPRIM_400000_NS6detail26segmented_warp_sort_helperINS1_20WarpSortHelperConfigILj8ELj4ELj256EEEhlLi256ELb0EvE4sortIPKhPhPKlPlEEvT_T0_T1_T2_jjjjRNS5_12storage_typeE.private_seg_size)
	.set _ZN7rocprim17ROCPRIM_400000_NS6detail17trampoline_kernelINS0_14default_configENS1_36segmented_radix_sort_config_selectorIhlEEZNS1_25segmented_radix_sort_implIS3_Lb0EPKhPhPKlPlN2at6native12_GLOBAL__N_18offset_tEEE10hipError_tPvRmT1_PNSt15iterator_traitsISK_E10value_typeET2_T3_PNSL_ISQ_E10value_typeET4_jRbjT5_SW_jjP12ihipStream_tbEUlT_E1_NS1_11comp_targetILNS1_3genE2ELNS1_11target_archE906ELNS1_3gpuE6ELNS1_3repE0EEENS1_59segmented_radix_sort_warp_sort_small_config_static_selectorELNS0_4arch9wavefront6targetE1EEEvSK_.uses_vcc, or(1, .L_ZN7rocprim17ROCPRIM_400000_NS6detail26segmented_warp_sort_helperINS1_20WarpSortHelperConfigILj8ELj4ELj256EEEhlLi256ELb0EvE4sortIPKhPhPKlPlEEvT_T0_T1_T2_jjjjRNS5_12storage_typeE.uses_vcc)
	.set _ZN7rocprim17ROCPRIM_400000_NS6detail17trampoline_kernelINS0_14default_configENS1_36segmented_radix_sort_config_selectorIhlEEZNS1_25segmented_radix_sort_implIS3_Lb0EPKhPhPKlPlN2at6native12_GLOBAL__N_18offset_tEEE10hipError_tPvRmT1_PNSt15iterator_traitsISK_E10value_typeET2_T3_PNSL_ISQ_E10value_typeET4_jRbjT5_SW_jjP12ihipStream_tbEUlT_E1_NS1_11comp_targetILNS1_3genE2ELNS1_11target_archE906ELNS1_3gpuE6ELNS1_3repE0EEENS1_59segmented_radix_sort_warp_sort_small_config_static_selectorELNS0_4arch9wavefront6targetE1EEEvSK_.uses_flat_scratch, or(0, .L_ZN7rocprim17ROCPRIM_400000_NS6detail26segmented_warp_sort_helperINS1_20WarpSortHelperConfigILj8ELj4ELj256EEEhlLi256ELb0EvE4sortIPKhPhPKlPlEEvT_T0_T1_T2_jjjjRNS5_12storage_typeE.uses_flat_scratch)
	.set _ZN7rocprim17ROCPRIM_400000_NS6detail17trampoline_kernelINS0_14default_configENS1_36segmented_radix_sort_config_selectorIhlEEZNS1_25segmented_radix_sort_implIS3_Lb0EPKhPhPKlPlN2at6native12_GLOBAL__N_18offset_tEEE10hipError_tPvRmT1_PNSt15iterator_traitsISK_E10value_typeET2_T3_PNSL_ISQ_E10value_typeET4_jRbjT5_SW_jjP12ihipStream_tbEUlT_E1_NS1_11comp_targetILNS1_3genE2ELNS1_11target_archE906ELNS1_3gpuE6ELNS1_3repE0EEENS1_59segmented_radix_sort_warp_sort_small_config_static_selectorELNS0_4arch9wavefront6targetE1EEEvSK_.has_dyn_sized_stack, or(0, .L_ZN7rocprim17ROCPRIM_400000_NS6detail26segmented_warp_sort_helperINS1_20WarpSortHelperConfigILj8ELj4ELj256EEEhlLi256ELb0EvE4sortIPKhPhPKlPlEEvT_T0_T1_T2_jjjjRNS5_12storage_typeE.has_dyn_sized_stack)
	.set _ZN7rocprim17ROCPRIM_400000_NS6detail17trampoline_kernelINS0_14default_configENS1_36segmented_radix_sort_config_selectorIhlEEZNS1_25segmented_radix_sort_implIS3_Lb0EPKhPhPKlPlN2at6native12_GLOBAL__N_18offset_tEEE10hipError_tPvRmT1_PNSt15iterator_traitsISK_E10value_typeET2_T3_PNSL_ISQ_E10value_typeET4_jRbjT5_SW_jjP12ihipStream_tbEUlT_E1_NS1_11comp_targetILNS1_3genE2ELNS1_11target_archE906ELNS1_3gpuE6ELNS1_3repE0EEENS1_59segmented_radix_sort_warp_sort_small_config_static_selectorELNS0_4arch9wavefront6targetE1EEEvSK_.has_recursion, or(0, .L_ZN7rocprim17ROCPRIM_400000_NS6detail26segmented_warp_sort_helperINS1_20WarpSortHelperConfigILj8ELj4ELj256EEEhlLi256ELb0EvE4sortIPKhPhPKlPlEEvT_T0_T1_T2_jjjjRNS5_12storage_typeE.has_recursion)
	.set _ZN7rocprim17ROCPRIM_400000_NS6detail17trampoline_kernelINS0_14default_configENS1_36segmented_radix_sort_config_selectorIhlEEZNS1_25segmented_radix_sort_implIS3_Lb0EPKhPhPKlPlN2at6native12_GLOBAL__N_18offset_tEEE10hipError_tPvRmT1_PNSt15iterator_traitsISK_E10value_typeET2_T3_PNSL_ISQ_E10value_typeET4_jRbjT5_SW_jjP12ihipStream_tbEUlT_E1_NS1_11comp_targetILNS1_3genE2ELNS1_11target_archE906ELNS1_3gpuE6ELNS1_3repE0EEENS1_59segmented_radix_sort_warp_sort_small_config_static_selectorELNS0_4arch9wavefront6targetE1EEEvSK_.has_indirect_call, or(0, .L_ZN7rocprim17ROCPRIM_400000_NS6detail26segmented_warp_sort_helperINS1_20WarpSortHelperConfigILj8ELj4ELj256EEEhlLi256ELb0EvE4sortIPKhPhPKlPlEEvT_T0_T1_T2_jjjjRNS5_12storage_typeE.has_indirect_call)
	.section	.AMDGPU.csdata,"",@progbits
; Kernel info:
; codeLenInByte = 500
; TotalNumSgprs: 52
; NumVgprs: 51
; ScratchSize: 0
; MemoryBound: 0
; FloatMode: 240
; IeeeMode: 1
; LDSByteSize: 9216 bytes/workgroup (compile time only)
; SGPRBlocks: 10
; VGPRBlocks: 12
; NumSGPRsForWavesPerEU: 81
; NumVGPRsForWavesPerEU: 51
; Occupancy: 4
; WaveLimiterHint : 0
; COMPUTE_PGM_RSRC2:SCRATCH_EN: 0
; COMPUTE_PGM_RSRC2:USER_SGPR: 6
; COMPUTE_PGM_RSRC2:TRAP_HANDLER: 0
; COMPUTE_PGM_RSRC2:TGID_X_EN: 1
; COMPUTE_PGM_RSRC2:TGID_Y_EN: 1
; COMPUTE_PGM_RSRC2:TGID_Z_EN: 0
; COMPUTE_PGM_RSRC2:TIDIG_COMP_CNT: 2
	.section	.text._ZN7rocprim17ROCPRIM_400000_NS6detail17trampoline_kernelINS0_14default_configENS1_36segmented_radix_sort_config_selectorIhlEEZNS1_25segmented_radix_sort_implIS3_Lb0EPKhPhPKlPlN2at6native12_GLOBAL__N_18offset_tEEE10hipError_tPvRmT1_PNSt15iterator_traitsISK_E10value_typeET2_T3_PNSL_ISQ_E10value_typeET4_jRbjT5_SW_jjP12ihipStream_tbEUlT_E1_NS1_11comp_targetILNS1_3genE10ELNS1_11target_archE1201ELNS1_3gpuE5ELNS1_3repE0EEENS1_59segmented_radix_sort_warp_sort_small_config_static_selectorELNS0_4arch9wavefront6targetE1EEEvSK_,"axG",@progbits,_ZN7rocprim17ROCPRIM_400000_NS6detail17trampoline_kernelINS0_14default_configENS1_36segmented_radix_sort_config_selectorIhlEEZNS1_25segmented_radix_sort_implIS3_Lb0EPKhPhPKlPlN2at6native12_GLOBAL__N_18offset_tEEE10hipError_tPvRmT1_PNSt15iterator_traitsISK_E10value_typeET2_T3_PNSL_ISQ_E10value_typeET4_jRbjT5_SW_jjP12ihipStream_tbEUlT_E1_NS1_11comp_targetILNS1_3genE10ELNS1_11target_archE1201ELNS1_3gpuE5ELNS1_3repE0EEENS1_59segmented_radix_sort_warp_sort_small_config_static_selectorELNS0_4arch9wavefront6targetE1EEEvSK_,comdat
	.globl	_ZN7rocprim17ROCPRIM_400000_NS6detail17trampoline_kernelINS0_14default_configENS1_36segmented_radix_sort_config_selectorIhlEEZNS1_25segmented_radix_sort_implIS3_Lb0EPKhPhPKlPlN2at6native12_GLOBAL__N_18offset_tEEE10hipError_tPvRmT1_PNSt15iterator_traitsISK_E10value_typeET2_T3_PNSL_ISQ_E10value_typeET4_jRbjT5_SW_jjP12ihipStream_tbEUlT_E1_NS1_11comp_targetILNS1_3genE10ELNS1_11target_archE1201ELNS1_3gpuE5ELNS1_3repE0EEENS1_59segmented_radix_sort_warp_sort_small_config_static_selectorELNS0_4arch9wavefront6targetE1EEEvSK_ ; -- Begin function _ZN7rocprim17ROCPRIM_400000_NS6detail17trampoline_kernelINS0_14default_configENS1_36segmented_radix_sort_config_selectorIhlEEZNS1_25segmented_radix_sort_implIS3_Lb0EPKhPhPKlPlN2at6native12_GLOBAL__N_18offset_tEEE10hipError_tPvRmT1_PNSt15iterator_traitsISK_E10value_typeET2_T3_PNSL_ISQ_E10value_typeET4_jRbjT5_SW_jjP12ihipStream_tbEUlT_E1_NS1_11comp_targetILNS1_3genE10ELNS1_11target_archE1201ELNS1_3gpuE5ELNS1_3repE0EEENS1_59segmented_radix_sort_warp_sort_small_config_static_selectorELNS0_4arch9wavefront6targetE1EEEvSK_
	.p2align	8
	.type	_ZN7rocprim17ROCPRIM_400000_NS6detail17trampoline_kernelINS0_14default_configENS1_36segmented_radix_sort_config_selectorIhlEEZNS1_25segmented_radix_sort_implIS3_Lb0EPKhPhPKlPlN2at6native12_GLOBAL__N_18offset_tEEE10hipError_tPvRmT1_PNSt15iterator_traitsISK_E10value_typeET2_T3_PNSL_ISQ_E10value_typeET4_jRbjT5_SW_jjP12ihipStream_tbEUlT_E1_NS1_11comp_targetILNS1_3genE10ELNS1_11target_archE1201ELNS1_3gpuE5ELNS1_3repE0EEENS1_59segmented_radix_sort_warp_sort_small_config_static_selectorELNS0_4arch9wavefront6targetE1EEEvSK_,@function
_ZN7rocprim17ROCPRIM_400000_NS6detail17trampoline_kernelINS0_14default_configENS1_36segmented_radix_sort_config_selectorIhlEEZNS1_25segmented_radix_sort_implIS3_Lb0EPKhPhPKlPlN2at6native12_GLOBAL__N_18offset_tEEE10hipError_tPvRmT1_PNSt15iterator_traitsISK_E10value_typeET2_T3_PNSL_ISQ_E10value_typeET4_jRbjT5_SW_jjP12ihipStream_tbEUlT_E1_NS1_11comp_targetILNS1_3genE10ELNS1_11target_archE1201ELNS1_3gpuE5ELNS1_3repE0EEENS1_59segmented_radix_sort_warp_sort_small_config_static_selectorELNS0_4arch9wavefront6targetE1EEEvSK_: ; @_ZN7rocprim17ROCPRIM_400000_NS6detail17trampoline_kernelINS0_14default_configENS1_36segmented_radix_sort_config_selectorIhlEEZNS1_25segmented_radix_sort_implIS3_Lb0EPKhPhPKlPlN2at6native12_GLOBAL__N_18offset_tEEE10hipError_tPvRmT1_PNSt15iterator_traitsISK_E10value_typeET2_T3_PNSL_ISQ_E10value_typeET4_jRbjT5_SW_jjP12ihipStream_tbEUlT_E1_NS1_11comp_targetILNS1_3genE10ELNS1_11target_archE1201ELNS1_3gpuE5ELNS1_3repE0EEENS1_59segmented_radix_sort_warp_sort_small_config_static_selectorELNS0_4arch9wavefront6targetE1EEEvSK_
; %bb.0:
	.section	.rodata,"a",@progbits
	.p2align	6, 0x0
	.amdhsa_kernel _ZN7rocprim17ROCPRIM_400000_NS6detail17trampoline_kernelINS0_14default_configENS1_36segmented_radix_sort_config_selectorIhlEEZNS1_25segmented_radix_sort_implIS3_Lb0EPKhPhPKlPlN2at6native12_GLOBAL__N_18offset_tEEE10hipError_tPvRmT1_PNSt15iterator_traitsISK_E10value_typeET2_T3_PNSL_ISQ_E10value_typeET4_jRbjT5_SW_jjP12ihipStream_tbEUlT_E1_NS1_11comp_targetILNS1_3genE10ELNS1_11target_archE1201ELNS1_3gpuE5ELNS1_3repE0EEENS1_59segmented_radix_sort_warp_sort_small_config_static_selectorELNS0_4arch9wavefront6targetE1EEEvSK_
		.amdhsa_group_segment_fixed_size 0
		.amdhsa_private_segment_fixed_size 0
		.amdhsa_kernarg_size 88
		.amdhsa_user_sgpr_count 6
		.amdhsa_user_sgpr_private_segment_buffer 1
		.amdhsa_user_sgpr_dispatch_ptr 0
		.amdhsa_user_sgpr_queue_ptr 0
		.amdhsa_user_sgpr_kernarg_segment_ptr 1
		.amdhsa_user_sgpr_dispatch_id 0
		.amdhsa_user_sgpr_flat_scratch_init 0
		.amdhsa_user_sgpr_private_segment_size 0
		.amdhsa_uses_dynamic_stack 0
		.amdhsa_system_sgpr_private_segment_wavefront_offset 0
		.amdhsa_system_sgpr_workgroup_id_x 1
		.amdhsa_system_sgpr_workgroup_id_y 0
		.amdhsa_system_sgpr_workgroup_id_z 0
		.amdhsa_system_sgpr_workgroup_info 0
		.amdhsa_system_vgpr_workitem_id 0
		.amdhsa_next_free_vgpr 1
		.amdhsa_next_free_sgpr 0
		.amdhsa_reserve_vcc 0
		.amdhsa_reserve_flat_scratch 0
		.amdhsa_float_round_mode_32 0
		.amdhsa_float_round_mode_16_64 0
		.amdhsa_float_denorm_mode_32 3
		.amdhsa_float_denorm_mode_16_64 3
		.amdhsa_dx10_clamp 1
		.amdhsa_ieee_mode 1
		.amdhsa_fp16_overflow 0
		.amdhsa_exception_fp_ieee_invalid_op 0
		.amdhsa_exception_fp_denorm_src 0
		.amdhsa_exception_fp_ieee_div_zero 0
		.amdhsa_exception_fp_ieee_overflow 0
		.amdhsa_exception_fp_ieee_underflow 0
		.amdhsa_exception_fp_ieee_inexact 0
		.amdhsa_exception_int_div_zero 0
	.end_amdhsa_kernel
	.section	.text._ZN7rocprim17ROCPRIM_400000_NS6detail17trampoline_kernelINS0_14default_configENS1_36segmented_radix_sort_config_selectorIhlEEZNS1_25segmented_radix_sort_implIS3_Lb0EPKhPhPKlPlN2at6native12_GLOBAL__N_18offset_tEEE10hipError_tPvRmT1_PNSt15iterator_traitsISK_E10value_typeET2_T3_PNSL_ISQ_E10value_typeET4_jRbjT5_SW_jjP12ihipStream_tbEUlT_E1_NS1_11comp_targetILNS1_3genE10ELNS1_11target_archE1201ELNS1_3gpuE5ELNS1_3repE0EEENS1_59segmented_radix_sort_warp_sort_small_config_static_selectorELNS0_4arch9wavefront6targetE1EEEvSK_,"axG",@progbits,_ZN7rocprim17ROCPRIM_400000_NS6detail17trampoline_kernelINS0_14default_configENS1_36segmented_radix_sort_config_selectorIhlEEZNS1_25segmented_radix_sort_implIS3_Lb0EPKhPhPKlPlN2at6native12_GLOBAL__N_18offset_tEEE10hipError_tPvRmT1_PNSt15iterator_traitsISK_E10value_typeET2_T3_PNSL_ISQ_E10value_typeET4_jRbjT5_SW_jjP12ihipStream_tbEUlT_E1_NS1_11comp_targetILNS1_3genE10ELNS1_11target_archE1201ELNS1_3gpuE5ELNS1_3repE0EEENS1_59segmented_radix_sort_warp_sort_small_config_static_selectorELNS0_4arch9wavefront6targetE1EEEvSK_,comdat
.Lfunc_end212:
	.size	_ZN7rocprim17ROCPRIM_400000_NS6detail17trampoline_kernelINS0_14default_configENS1_36segmented_radix_sort_config_selectorIhlEEZNS1_25segmented_radix_sort_implIS3_Lb0EPKhPhPKlPlN2at6native12_GLOBAL__N_18offset_tEEE10hipError_tPvRmT1_PNSt15iterator_traitsISK_E10value_typeET2_T3_PNSL_ISQ_E10value_typeET4_jRbjT5_SW_jjP12ihipStream_tbEUlT_E1_NS1_11comp_targetILNS1_3genE10ELNS1_11target_archE1201ELNS1_3gpuE5ELNS1_3repE0EEENS1_59segmented_radix_sort_warp_sort_small_config_static_selectorELNS0_4arch9wavefront6targetE1EEEvSK_, .Lfunc_end212-_ZN7rocprim17ROCPRIM_400000_NS6detail17trampoline_kernelINS0_14default_configENS1_36segmented_radix_sort_config_selectorIhlEEZNS1_25segmented_radix_sort_implIS3_Lb0EPKhPhPKlPlN2at6native12_GLOBAL__N_18offset_tEEE10hipError_tPvRmT1_PNSt15iterator_traitsISK_E10value_typeET2_T3_PNSL_ISQ_E10value_typeET4_jRbjT5_SW_jjP12ihipStream_tbEUlT_E1_NS1_11comp_targetILNS1_3genE10ELNS1_11target_archE1201ELNS1_3gpuE5ELNS1_3repE0EEENS1_59segmented_radix_sort_warp_sort_small_config_static_selectorELNS0_4arch9wavefront6targetE1EEEvSK_
                                        ; -- End function
	.set _ZN7rocprim17ROCPRIM_400000_NS6detail17trampoline_kernelINS0_14default_configENS1_36segmented_radix_sort_config_selectorIhlEEZNS1_25segmented_radix_sort_implIS3_Lb0EPKhPhPKlPlN2at6native12_GLOBAL__N_18offset_tEEE10hipError_tPvRmT1_PNSt15iterator_traitsISK_E10value_typeET2_T3_PNSL_ISQ_E10value_typeET4_jRbjT5_SW_jjP12ihipStream_tbEUlT_E1_NS1_11comp_targetILNS1_3genE10ELNS1_11target_archE1201ELNS1_3gpuE5ELNS1_3repE0EEENS1_59segmented_radix_sort_warp_sort_small_config_static_selectorELNS0_4arch9wavefront6targetE1EEEvSK_.num_vgpr, 0
	.set _ZN7rocprim17ROCPRIM_400000_NS6detail17trampoline_kernelINS0_14default_configENS1_36segmented_radix_sort_config_selectorIhlEEZNS1_25segmented_radix_sort_implIS3_Lb0EPKhPhPKlPlN2at6native12_GLOBAL__N_18offset_tEEE10hipError_tPvRmT1_PNSt15iterator_traitsISK_E10value_typeET2_T3_PNSL_ISQ_E10value_typeET4_jRbjT5_SW_jjP12ihipStream_tbEUlT_E1_NS1_11comp_targetILNS1_3genE10ELNS1_11target_archE1201ELNS1_3gpuE5ELNS1_3repE0EEENS1_59segmented_radix_sort_warp_sort_small_config_static_selectorELNS0_4arch9wavefront6targetE1EEEvSK_.num_agpr, 0
	.set _ZN7rocprim17ROCPRIM_400000_NS6detail17trampoline_kernelINS0_14default_configENS1_36segmented_radix_sort_config_selectorIhlEEZNS1_25segmented_radix_sort_implIS3_Lb0EPKhPhPKlPlN2at6native12_GLOBAL__N_18offset_tEEE10hipError_tPvRmT1_PNSt15iterator_traitsISK_E10value_typeET2_T3_PNSL_ISQ_E10value_typeET4_jRbjT5_SW_jjP12ihipStream_tbEUlT_E1_NS1_11comp_targetILNS1_3genE10ELNS1_11target_archE1201ELNS1_3gpuE5ELNS1_3repE0EEENS1_59segmented_radix_sort_warp_sort_small_config_static_selectorELNS0_4arch9wavefront6targetE1EEEvSK_.numbered_sgpr, 0
	.set _ZN7rocprim17ROCPRIM_400000_NS6detail17trampoline_kernelINS0_14default_configENS1_36segmented_radix_sort_config_selectorIhlEEZNS1_25segmented_radix_sort_implIS3_Lb0EPKhPhPKlPlN2at6native12_GLOBAL__N_18offset_tEEE10hipError_tPvRmT1_PNSt15iterator_traitsISK_E10value_typeET2_T3_PNSL_ISQ_E10value_typeET4_jRbjT5_SW_jjP12ihipStream_tbEUlT_E1_NS1_11comp_targetILNS1_3genE10ELNS1_11target_archE1201ELNS1_3gpuE5ELNS1_3repE0EEENS1_59segmented_radix_sort_warp_sort_small_config_static_selectorELNS0_4arch9wavefront6targetE1EEEvSK_.num_named_barrier, 0
	.set _ZN7rocprim17ROCPRIM_400000_NS6detail17trampoline_kernelINS0_14default_configENS1_36segmented_radix_sort_config_selectorIhlEEZNS1_25segmented_radix_sort_implIS3_Lb0EPKhPhPKlPlN2at6native12_GLOBAL__N_18offset_tEEE10hipError_tPvRmT1_PNSt15iterator_traitsISK_E10value_typeET2_T3_PNSL_ISQ_E10value_typeET4_jRbjT5_SW_jjP12ihipStream_tbEUlT_E1_NS1_11comp_targetILNS1_3genE10ELNS1_11target_archE1201ELNS1_3gpuE5ELNS1_3repE0EEENS1_59segmented_radix_sort_warp_sort_small_config_static_selectorELNS0_4arch9wavefront6targetE1EEEvSK_.private_seg_size, 0
	.set _ZN7rocprim17ROCPRIM_400000_NS6detail17trampoline_kernelINS0_14default_configENS1_36segmented_radix_sort_config_selectorIhlEEZNS1_25segmented_radix_sort_implIS3_Lb0EPKhPhPKlPlN2at6native12_GLOBAL__N_18offset_tEEE10hipError_tPvRmT1_PNSt15iterator_traitsISK_E10value_typeET2_T3_PNSL_ISQ_E10value_typeET4_jRbjT5_SW_jjP12ihipStream_tbEUlT_E1_NS1_11comp_targetILNS1_3genE10ELNS1_11target_archE1201ELNS1_3gpuE5ELNS1_3repE0EEENS1_59segmented_radix_sort_warp_sort_small_config_static_selectorELNS0_4arch9wavefront6targetE1EEEvSK_.uses_vcc, 0
	.set _ZN7rocprim17ROCPRIM_400000_NS6detail17trampoline_kernelINS0_14default_configENS1_36segmented_radix_sort_config_selectorIhlEEZNS1_25segmented_radix_sort_implIS3_Lb0EPKhPhPKlPlN2at6native12_GLOBAL__N_18offset_tEEE10hipError_tPvRmT1_PNSt15iterator_traitsISK_E10value_typeET2_T3_PNSL_ISQ_E10value_typeET4_jRbjT5_SW_jjP12ihipStream_tbEUlT_E1_NS1_11comp_targetILNS1_3genE10ELNS1_11target_archE1201ELNS1_3gpuE5ELNS1_3repE0EEENS1_59segmented_radix_sort_warp_sort_small_config_static_selectorELNS0_4arch9wavefront6targetE1EEEvSK_.uses_flat_scratch, 0
	.set _ZN7rocprim17ROCPRIM_400000_NS6detail17trampoline_kernelINS0_14default_configENS1_36segmented_radix_sort_config_selectorIhlEEZNS1_25segmented_radix_sort_implIS3_Lb0EPKhPhPKlPlN2at6native12_GLOBAL__N_18offset_tEEE10hipError_tPvRmT1_PNSt15iterator_traitsISK_E10value_typeET2_T3_PNSL_ISQ_E10value_typeET4_jRbjT5_SW_jjP12ihipStream_tbEUlT_E1_NS1_11comp_targetILNS1_3genE10ELNS1_11target_archE1201ELNS1_3gpuE5ELNS1_3repE0EEENS1_59segmented_radix_sort_warp_sort_small_config_static_selectorELNS0_4arch9wavefront6targetE1EEEvSK_.has_dyn_sized_stack, 0
	.set _ZN7rocprim17ROCPRIM_400000_NS6detail17trampoline_kernelINS0_14default_configENS1_36segmented_radix_sort_config_selectorIhlEEZNS1_25segmented_radix_sort_implIS3_Lb0EPKhPhPKlPlN2at6native12_GLOBAL__N_18offset_tEEE10hipError_tPvRmT1_PNSt15iterator_traitsISK_E10value_typeET2_T3_PNSL_ISQ_E10value_typeET4_jRbjT5_SW_jjP12ihipStream_tbEUlT_E1_NS1_11comp_targetILNS1_3genE10ELNS1_11target_archE1201ELNS1_3gpuE5ELNS1_3repE0EEENS1_59segmented_radix_sort_warp_sort_small_config_static_selectorELNS0_4arch9wavefront6targetE1EEEvSK_.has_recursion, 0
	.set _ZN7rocprim17ROCPRIM_400000_NS6detail17trampoline_kernelINS0_14default_configENS1_36segmented_radix_sort_config_selectorIhlEEZNS1_25segmented_radix_sort_implIS3_Lb0EPKhPhPKlPlN2at6native12_GLOBAL__N_18offset_tEEE10hipError_tPvRmT1_PNSt15iterator_traitsISK_E10value_typeET2_T3_PNSL_ISQ_E10value_typeET4_jRbjT5_SW_jjP12ihipStream_tbEUlT_E1_NS1_11comp_targetILNS1_3genE10ELNS1_11target_archE1201ELNS1_3gpuE5ELNS1_3repE0EEENS1_59segmented_radix_sort_warp_sort_small_config_static_selectorELNS0_4arch9wavefront6targetE1EEEvSK_.has_indirect_call, 0
	.section	.AMDGPU.csdata,"",@progbits
; Kernel info:
; codeLenInByte = 0
; TotalNumSgprs: 4
; NumVgprs: 0
; ScratchSize: 0
; MemoryBound: 0
; FloatMode: 240
; IeeeMode: 1
; LDSByteSize: 0 bytes/workgroup (compile time only)
; SGPRBlocks: 0
; VGPRBlocks: 0
; NumSGPRsForWavesPerEU: 4
; NumVGPRsForWavesPerEU: 1
; Occupancy: 10
; WaveLimiterHint : 0
; COMPUTE_PGM_RSRC2:SCRATCH_EN: 0
; COMPUTE_PGM_RSRC2:USER_SGPR: 6
; COMPUTE_PGM_RSRC2:TRAP_HANDLER: 0
; COMPUTE_PGM_RSRC2:TGID_X_EN: 1
; COMPUTE_PGM_RSRC2:TGID_Y_EN: 0
; COMPUTE_PGM_RSRC2:TGID_Z_EN: 0
; COMPUTE_PGM_RSRC2:TIDIG_COMP_CNT: 0
	.section	.text._ZN7rocprim17ROCPRIM_400000_NS6detail17trampoline_kernelINS0_14default_configENS1_36segmented_radix_sort_config_selectorIhlEEZNS1_25segmented_radix_sort_implIS3_Lb0EPKhPhPKlPlN2at6native12_GLOBAL__N_18offset_tEEE10hipError_tPvRmT1_PNSt15iterator_traitsISK_E10value_typeET2_T3_PNSL_ISQ_E10value_typeET4_jRbjT5_SW_jjP12ihipStream_tbEUlT_E1_NS1_11comp_targetILNS1_3genE10ELNS1_11target_archE1200ELNS1_3gpuE4ELNS1_3repE0EEENS1_59segmented_radix_sort_warp_sort_small_config_static_selectorELNS0_4arch9wavefront6targetE1EEEvSK_,"axG",@progbits,_ZN7rocprim17ROCPRIM_400000_NS6detail17trampoline_kernelINS0_14default_configENS1_36segmented_radix_sort_config_selectorIhlEEZNS1_25segmented_radix_sort_implIS3_Lb0EPKhPhPKlPlN2at6native12_GLOBAL__N_18offset_tEEE10hipError_tPvRmT1_PNSt15iterator_traitsISK_E10value_typeET2_T3_PNSL_ISQ_E10value_typeET4_jRbjT5_SW_jjP12ihipStream_tbEUlT_E1_NS1_11comp_targetILNS1_3genE10ELNS1_11target_archE1200ELNS1_3gpuE4ELNS1_3repE0EEENS1_59segmented_radix_sort_warp_sort_small_config_static_selectorELNS0_4arch9wavefront6targetE1EEEvSK_,comdat
	.globl	_ZN7rocprim17ROCPRIM_400000_NS6detail17trampoline_kernelINS0_14default_configENS1_36segmented_radix_sort_config_selectorIhlEEZNS1_25segmented_radix_sort_implIS3_Lb0EPKhPhPKlPlN2at6native12_GLOBAL__N_18offset_tEEE10hipError_tPvRmT1_PNSt15iterator_traitsISK_E10value_typeET2_T3_PNSL_ISQ_E10value_typeET4_jRbjT5_SW_jjP12ihipStream_tbEUlT_E1_NS1_11comp_targetILNS1_3genE10ELNS1_11target_archE1200ELNS1_3gpuE4ELNS1_3repE0EEENS1_59segmented_radix_sort_warp_sort_small_config_static_selectorELNS0_4arch9wavefront6targetE1EEEvSK_ ; -- Begin function _ZN7rocprim17ROCPRIM_400000_NS6detail17trampoline_kernelINS0_14default_configENS1_36segmented_radix_sort_config_selectorIhlEEZNS1_25segmented_radix_sort_implIS3_Lb0EPKhPhPKlPlN2at6native12_GLOBAL__N_18offset_tEEE10hipError_tPvRmT1_PNSt15iterator_traitsISK_E10value_typeET2_T3_PNSL_ISQ_E10value_typeET4_jRbjT5_SW_jjP12ihipStream_tbEUlT_E1_NS1_11comp_targetILNS1_3genE10ELNS1_11target_archE1200ELNS1_3gpuE4ELNS1_3repE0EEENS1_59segmented_radix_sort_warp_sort_small_config_static_selectorELNS0_4arch9wavefront6targetE1EEEvSK_
	.p2align	8
	.type	_ZN7rocprim17ROCPRIM_400000_NS6detail17trampoline_kernelINS0_14default_configENS1_36segmented_radix_sort_config_selectorIhlEEZNS1_25segmented_radix_sort_implIS3_Lb0EPKhPhPKlPlN2at6native12_GLOBAL__N_18offset_tEEE10hipError_tPvRmT1_PNSt15iterator_traitsISK_E10value_typeET2_T3_PNSL_ISQ_E10value_typeET4_jRbjT5_SW_jjP12ihipStream_tbEUlT_E1_NS1_11comp_targetILNS1_3genE10ELNS1_11target_archE1200ELNS1_3gpuE4ELNS1_3repE0EEENS1_59segmented_radix_sort_warp_sort_small_config_static_selectorELNS0_4arch9wavefront6targetE1EEEvSK_,@function
_ZN7rocprim17ROCPRIM_400000_NS6detail17trampoline_kernelINS0_14default_configENS1_36segmented_radix_sort_config_selectorIhlEEZNS1_25segmented_radix_sort_implIS3_Lb0EPKhPhPKlPlN2at6native12_GLOBAL__N_18offset_tEEE10hipError_tPvRmT1_PNSt15iterator_traitsISK_E10value_typeET2_T3_PNSL_ISQ_E10value_typeET4_jRbjT5_SW_jjP12ihipStream_tbEUlT_E1_NS1_11comp_targetILNS1_3genE10ELNS1_11target_archE1200ELNS1_3gpuE4ELNS1_3repE0EEENS1_59segmented_radix_sort_warp_sort_small_config_static_selectorELNS0_4arch9wavefront6targetE1EEEvSK_: ; @_ZN7rocprim17ROCPRIM_400000_NS6detail17trampoline_kernelINS0_14default_configENS1_36segmented_radix_sort_config_selectorIhlEEZNS1_25segmented_radix_sort_implIS3_Lb0EPKhPhPKlPlN2at6native12_GLOBAL__N_18offset_tEEE10hipError_tPvRmT1_PNSt15iterator_traitsISK_E10value_typeET2_T3_PNSL_ISQ_E10value_typeET4_jRbjT5_SW_jjP12ihipStream_tbEUlT_E1_NS1_11comp_targetILNS1_3genE10ELNS1_11target_archE1200ELNS1_3gpuE4ELNS1_3repE0EEENS1_59segmented_radix_sort_warp_sort_small_config_static_selectorELNS0_4arch9wavefront6targetE1EEEvSK_
; %bb.0:
	.section	.rodata,"a",@progbits
	.p2align	6, 0x0
	.amdhsa_kernel _ZN7rocprim17ROCPRIM_400000_NS6detail17trampoline_kernelINS0_14default_configENS1_36segmented_radix_sort_config_selectorIhlEEZNS1_25segmented_radix_sort_implIS3_Lb0EPKhPhPKlPlN2at6native12_GLOBAL__N_18offset_tEEE10hipError_tPvRmT1_PNSt15iterator_traitsISK_E10value_typeET2_T3_PNSL_ISQ_E10value_typeET4_jRbjT5_SW_jjP12ihipStream_tbEUlT_E1_NS1_11comp_targetILNS1_3genE10ELNS1_11target_archE1200ELNS1_3gpuE4ELNS1_3repE0EEENS1_59segmented_radix_sort_warp_sort_small_config_static_selectorELNS0_4arch9wavefront6targetE1EEEvSK_
		.amdhsa_group_segment_fixed_size 0
		.amdhsa_private_segment_fixed_size 0
		.amdhsa_kernarg_size 88
		.amdhsa_user_sgpr_count 6
		.amdhsa_user_sgpr_private_segment_buffer 1
		.amdhsa_user_sgpr_dispatch_ptr 0
		.amdhsa_user_sgpr_queue_ptr 0
		.amdhsa_user_sgpr_kernarg_segment_ptr 1
		.amdhsa_user_sgpr_dispatch_id 0
		.amdhsa_user_sgpr_flat_scratch_init 0
		.amdhsa_user_sgpr_private_segment_size 0
		.amdhsa_uses_dynamic_stack 0
		.amdhsa_system_sgpr_private_segment_wavefront_offset 0
		.amdhsa_system_sgpr_workgroup_id_x 1
		.amdhsa_system_sgpr_workgroup_id_y 0
		.amdhsa_system_sgpr_workgroup_id_z 0
		.amdhsa_system_sgpr_workgroup_info 0
		.amdhsa_system_vgpr_workitem_id 0
		.amdhsa_next_free_vgpr 1
		.amdhsa_next_free_sgpr 0
		.amdhsa_reserve_vcc 0
		.amdhsa_reserve_flat_scratch 0
		.amdhsa_float_round_mode_32 0
		.amdhsa_float_round_mode_16_64 0
		.amdhsa_float_denorm_mode_32 3
		.amdhsa_float_denorm_mode_16_64 3
		.amdhsa_dx10_clamp 1
		.amdhsa_ieee_mode 1
		.amdhsa_fp16_overflow 0
		.amdhsa_exception_fp_ieee_invalid_op 0
		.amdhsa_exception_fp_denorm_src 0
		.amdhsa_exception_fp_ieee_div_zero 0
		.amdhsa_exception_fp_ieee_overflow 0
		.amdhsa_exception_fp_ieee_underflow 0
		.amdhsa_exception_fp_ieee_inexact 0
		.amdhsa_exception_int_div_zero 0
	.end_amdhsa_kernel
	.section	.text._ZN7rocprim17ROCPRIM_400000_NS6detail17trampoline_kernelINS0_14default_configENS1_36segmented_radix_sort_config_selectorIhlEEZNS1_25segmented_radix_sort_implIS3_Lb0EPKhPhPKlPlN2at6native12_GLOBAL__N_18offset_tEEE10hipError_tPvRmT1_PNSt15iterator_traitsISK_E10value_typeET2_T3_PNSL_ISQ_E10value_typeET4_jRbjT5_SW_jjP12ihipStream_tbEUlT_E1_NS1_11comp_targetILNS1_3genE10ELNS1_11target_archE1200ELNS1_3gpuE4ELNS1_3repE0EEENS1_59segmented_radix_sort_warp_sort_small_config_static_selectorELNS0_4arch9wavefront6targetE1EEEvSK_,"axG",@progbits,_ZN7rocprim17ROCPRIM_400000_NS6detail17trampoline_kernelINS0_14default_configENS1_36segmented_radix_sort_config_selectorIhlEEZNS1_25segmented_radix_sort_implIS3_Lb0EPKhPhPKlPlN2at6native12_GLOBAL__N_18offset_tEEE10hipError_tPvRmT1_PNSt15iterator_traitsISK_E10value_typeET2_T3_PNSL_ISQ_E10value_typeET4_jRbjT5_SW_jjP12ihipStream_tbEUlT_E1_NS1_11comp_targetILNS1_3genE10ELNS1_11target_archE1200ELNS1_3gpuE4ELNS1_3repE0EEENS1_59segmented_radix_sort_warp_sort_small_config_static_selectorELNS0_4arch9wavefront6targetE1EEEvSK_,comdat
.Lfunc_end213:
	.size	_ZN7rocprim17ROCPRIM_400000_NS6detail17trampoline_kernelINS0_14default_configENS1_36segmented_radix_sort_config_selectorIhlEEZNS1_25segmented_radix_sort_implIS3_Lb0EPKhPhPKlPlN2at6native12_GLOBAL__N_18offset_tEEE10hipError_tPvRmT1_PNSt15iterator_traitsISK_E10value_typeET2_T3_PNSL_ISQ_E10value_typeET4_jRbjT5_SW_jjP12ihipStream_tbEUlT_E1_NS1_11comp_targetILNS1_3genE10ELNS1_11target_archE1200ELNS1_3gpuE4ELNS1_3repE0EEENS1_59segmented_radix_sort_warp_sort_small_config_static_selectorELNS0_4arch9wavefront6targetE1EEEvSK_, .Lfunc_end213-_ZN7rocprim17ROCPRIM_400000_NS6detail17trampoline_kernelINS0_14default_configENS1_36segmented_radix_sort_config_selectorIhlEEZNS1_25segmented_radix_sort_implIS3_Lb0EPKhPhPKlPlN2at6native12_GLOBAL__N_18offset_tEEE10hipError_tPvRmT1_PNSt15iterator_traitsISK_E10value_typeET2_T3_PNSL_ISQ_E10value_typeET4_jRbjT5_SW_jjP12ihipStream_tbEUlT_E1_NS1_11comp_targetILNS1_3genE10ELNS1_11target_archE1200ELNS1_3gpuE4ELNS1_3repE0EEENS1_59segmented_radix_sort_warp_sort_small_config_static_selectorELNS0_4arch9wavefront6targetE1EEEvSK_
                                        ; -- End function
	.set _ZN7rocprim17ROCPRIM_400000_NS6detail17trampoline_kernelINS0_14default_configENS1_36segmented_radix_sort_config_selectorIhlEEZNS1_25segmented_radix_sort_implIS3_Lb0EPKhPhPKlPlN2at6native12_GLOBAL__N_18offset_tEEE10hipError_tPvRmT1_PNSt15iterator_traitsISK_E10value_typeET2_T3_PNSL_ISQ_E10value_typeET4_jRbjT5_SW_jjP12ihipStream_tbEUlT_E1_NS1_11comp_targetILNS1_3genE10ELNS1_11target_archE1200ELNS1_3gpuE4ELNS1_3repE0EEENS1_59segmented_radix_sort_warp_sort_small_config_static_selectorELNS0_4arch9wavefront6targetE1EEEvSK_.num_vgpr, 0
	.set _ZN7rocprim17ROCPRIM_400000_NS6detail17trampoline_kernelINS0_14default_configENS1_36segmented_radix_sort_config_selectorIhlEEZNS1_25segmented_radix_sort_implIS3_Lb0EPKhPhPKlPlN2at6native12_GLOBAL__N_18offset_tEEE10hipError_tPvRmT1_PNSt15iterator_traitsISK_E10value_typeET2_T3_PNSL_ISQ_E10value_typeET4_jRbjT5_SW_jjP12ihipStream_tbEUlT_E1_NS1_11comp_targetILNS1_3genE10ELNS1_11target_archE1200ELNS1_3gpuE4ELNS1_3repE0EEENS1_59segmented_radix_sort_warp_sort_small_config_static_selectorELNS0_4arch9wavefront6targetE1EEEvSK_.num_agpr, 0
	.set _ZN7rocprim17ROCPRIM_400000_NS6detail17trampoline_kernelINS0_14default_configENS1_36segmented_radix_sort_config_selectorIhlEEZNS1_25segmented_radix_sort_implIS3_Lb0EPKhPhPKlPlN2at6native12_GLOBAL__N_18offset_tEEE10hipError_tPvRmT1_PNSt15iterator_traitsISK_E10value_typeET2_T3_PNSL_ISQ_E10value_typeET4_jRbjT5_SW_jjP12ihipStream_tbEUlT_E1_NS1_11comp_targetILNS1_3genE10ELNS1_11target_archE1200ELNS1_3gpuE4ELNS1_3repE0EEENS1_59segmented_radix_sort_warp_sort_small_config_static_selectorELNS0_4arch9wavefront6targetE1EEEvSK_.numbered_sgpr, 0
	.set _ZN7rocprim17ROCPRIM_400000_NS6detail17trampoline_kernelINS0_14default_configENS1_36segmented_radix_sort_config_selectorIhlEEZNS1_25segmented_radix_sort_implIS3_Lb0EPKhPhPKlPlN2at6native12_GLOBAL__N_18offset_tEEE10hipError_tPvRmT1_PNSt15iterator_traitsISK_E10value_typeET2_T3_PNSL_ISQ_E10value_typeET4_jRbjT5_SW_jjP12ihipStream_tbEUlT_E1_NS1_11comp_targetILNS1_3genE10ELNS1_11target_archE1200ELNS1_3gpuE4ELNS1_3repE0EEENS1_59segmented_radix_sort_warp_sort_small_config_static_selectorELNS0_4arch9wavefront6targetE1EEEvSK_.num_named_barrier, 0
	.set _ZN7rocprim17ROCPRIM_400000_NS6detail17trampoline_kernelINS0_14default_configENS1_36segmented_radix_sort_config_selectorIhlEEZNS1_25segmented_radix_sort_implIS3_Lb0EPKhPhPKlPlN2at6native12_GLOBAL__N_18offset_tEEE10hipError_tPvRmT1_PNSt15iterator_traitsISK_E10value_typeET2_T3_PNSL_ISQ_E10value_typeET4_jRbjT5_SW_jjP12ihipStream_tbEUlT_E1_NS1_11comp_targetILNS1_3genE10ELNS1_11target_archE1200ELNS1_3gpuE4ELNS1_3repE0EEENS1_59segmented_radix_sort_warp_sort_small_config_static_selectorELNS0_4arch9wavefront6targetE1EEEvSK_.private_seg_size, 0
	.set _ZN7rocprim17ROCPRIM_400000_NS6detail17trampoline_kernelINS0_14default_configENS1_36segmented_radix_sort_config_selectorIhlEEZNS1_25segmented_radix_sort_implIS3_Lb0EPKhPhPKlPlN2at6native12_GLOBAL__N_18offset_tEEE10hipError_tPvRmT1_PNSt15iterator_traitsISK_E10value_typeET2_T3_PNSL_ISQ_E10value_typeET4_jRbjT5_SW_jjP12ihipStream_tbEUlT_E1_NS1_11comp_targetILNS1_3genE10ELNS1_11target_archE1200ELNS1_3gpuE4ELNS1_3repE0EEENS1_59segmented_radix_sort_warp_sort_small_config_static_selectorELNS0_4arch9wavefront6targetE1EEEvSK_.uses_vcc, 0
	.set _ZN7rocprim17ROCPRIM_400000_NS6detail17trampoline_kernelINS0_14default_configENS1_36segmented_radix_sort_config_selectorIhlEEZNS1_25segmented_radix_sort_implIS3_Lb0EPKhPhPKlPlN2at6native12_GLOBAL__N_18offset_tEEE10hipError_tPvRmT1_PNSt15iterator_traitsISK_E10value_typeET2_T3_PNSL_ISQ_E10value_typeET4_jRbjT5_SW_jjP12ihipStream_tbEUlT_E1_NS1_11comp_targetILNS1_3genE10ELNS1_11target_archE1200ELNS1_3gpuE4ELNS1_3repE0EEENS1_59segmented_radix_sort_warp_sort_small_config_static_selectorELNS0_4arch9wavefront6targetE1EEEvSK_.uses_flat_scratch, 0
	.set _ZN7rocprim17ROCPRIM_400000_NS6detail17trampoline_kernelINS0_14default_configENS1_36segmented_radix_sort_config_selectorIhlEEZNS1_25segmented_radix_sort_implIS3_Lb0EPKhPhPKlPlN2at6native12_GLOBAL__N_18offset_tEEE10hipError_tPvRmT1_PNSt15iterator_traitsISK_E10value_typeET2_T3_PNSL_ISQ_E10value_typeET4_jRbjT5_SW_jjP12ihipStream_tbEUlT_E1_NS1_11comp_targetILNS1_3genE10ELNS1_11target_archE1200ELNS1_3gpuE4ELNS1_3repE0EEENS1_59segmented_radix_sort_warp_sort_small_config_static_selectorELNS0_4arch9wavefront6targetE1EEEvSK_.has_dyn_sized_stack, 0
	.set _ZN7rocprim17ROCPRIM_400000_NS6detail17trampoline_kernelINS0_14default_configENS1_36segmented_radix_sort_config_selectorIhlEEZNS1_25segmented_radix_sort_implIS3_Lb0EPKhPhPKlPlN2at6native12_GLOBAL__N_18offset_tEEE10hipError_tPvRmT1_PNSt15iterator_traitsISK_E10value_typeET2_T3_PNSL_ISQ_E10value_typeET4_jRbjT5_SW_jjP12ihipStream_tbEUlT_E1_NS1_11comp_targetILNS1_3genE10ELNS1_11target_archE1200ELNS1_3gpuE4ELNS1_3repE0EEENS1_59segmented_radix_sort_warp_sort_small_config_static_selectorELNS0_4arch9wavefront6targetE1EEEvSK_.has_recursion, 0
	.set _ZN7rocprim17ROCPRIM_400000_NS6detail17trampoline_kernelINS0_14default_configENS1_36segmented_radix_sort_config_selectorIhlEEZNS1_25segmented_radix_sort_implIS3_Lb0EPKhPhPKlPlN2at6native12_GLOBAL__N_18offset_tEEE10hipError_tPvRmT1_PNSt15iterator_traitsISK_E10value_typeET2_T3_PNSL_ISQ_E10value_typeET4_jRbjT5_SW_jjP12ihipStream_tbEUlT_E1_NS1_11comp_targetILNS1_3genE10ELNS1_11target_archE1200ELNS1_3gpuE4ELNS1_3repE0EEENS1_59segmented_radix_sort_warp_sort_small_config_static_selectorELNS0_4arch9wavefront6targetE1EEEvSK_.has_indirect_call, 0
	.section	.AMDGPU.csdata,"",@progbits
; Kernel info:
; codeLenInByte = 0
; TotalNumSgprs: 4
; NumVgprs: 0
; ScratchSize: 0
; MemoryBound: 0
; FloatMode: 240
; IeeeMode: 1
; LDSByteSize: 0 bytes/workgroup (compile time only)
; SGPRBlocks: 0
; VGPRBlocks: 0
; NumSGPRsForWavesPerEU: 4
; NumVGPRsForWavesPerEU: 1
; Occupancy: 10
; WaveLimiterHint : 0
; COMPUTE_PGM_RSRC2:SCRATCH_EN: 0
; COMPUTE_PGM_RSRC2:USER_SGPR: 6
; COMPUTE_PGM_RSRC2:TRAP_HANDLER: 0
; COMPUTE_PGM_RSRC2:TGID_X_EN: 1
; COMPUTE_PGM_RSRC2:TGID_Y_EN: 0
; COMPUTE_PGM_RSRC2:TGID_Z_EN: 0
; COMPUTE_PGM_RSRC2:TIDIG_COMP_CNT: 0
	.section	.text._ZN7rocprim17ROCPRIM_400000_NS6detail17trampoline_kernelINS0_14default_configENS1_36segmented_radix_sort_config_selectorIhlEEZNS1_25segmented_radix_sort_implIS3_Lb0EPKhPhPKlPlN2at6native12_GLOBAL__N_18offset_tEEE10hipError_tPvRmT1_PNSt15iterator_traitsISK_E10value_typeET2_T3_PNSL_ISQ_E10value_typeET4_jRbjT5_SW_jjP12ihipStream_tbEUlT_E1_NS1_11comp_targetILNS1_3genE9ELNS1_11target_archE1100ELNS1_3gpuE3ELNS1_3repE0EEENS1_59segmented_radix_sort_warp_sort_small_config_static_selectorELNS0_4arch9wavefront6targetE1EEEvSK_,"axG",@progbits,_ZN7rocprim17ROCPRIM_400000_NS6detail17trampoline_kernelINS0_14default_configENS1_36segmented_radix_sort_config_selectorIhlEEZNS1_25segmented_radix_sort_implIS3_Lb0EPKhPhPKlPlN2at6native12_GLOBAL__N_18offset_tEEE10hipError_tPvRmT1_PNSt15iterator_traitsISK_E10value_typeET2_T3_PNSL_ISQ_E10value_typeET4_jRbjT5_SW_jjP12ihipStream_tbEUlT_E1_NS1_11comp_targetILNS1_3genE9ELNS1_11target_archE1100ELNS1_3gpuE3ELNS1_3repE0EEENS1_59segmented_radix_sort_warp_sort_small_config_static_selectorELNS0_4arch9wavefront6targetE1EEEvSK_,comdat
	.globl	_ZN7rocprim17ROCPRIM_400000_NS6detail17trampoline_kernelINS0_14default_configENS1_36segmented_radix_sort_config_selectorIhlEEZNS1_25segmented_radix_sort_implIS3_Lb0EPKhPhPKlPlN2at6native12_GLOBAL__N_18offset_tEEE10hipError_tPvRmT1_PNSt15iterator_traitsISK_E10value_typeET2_T3_PNSL_ISQ_E10value_typeET4_jRbjT5_SW_jjP12ihipStream_tbEUlT_E1_NS1_11comp_targetILNS1_3genE9ELNS1_11target_archE1100ELNS1_3gpuE3ELNS1_3repE0EEENS1_59segmented_radix_sort_warp_sort_small_config_static_selectorELNS0_4arch9wavefront6targetE1EEEvSK_ ; -- Begin function _ZN7rocprim17ROCPRIM_400000_NS6detail17trampoline_kernelINS0_14default_configENS1_36segmented_radix_sort_config_selectorIhlEEZNS1_25segmented_radix_sort_implIS3_Lb0EPKhPhPKlPlN2at6native12_GLOBAL__N_18offset_tEEE10hipError_tPvRmT1_PNSt15iterator_traitsISK_E10value_typeET2_T3_PNSL_ISQ_E10value_typeET4_jRbjT5_SW_jjP12ihipStream_tbEUlT_E1_NS1_11comp_targetILNS1_3genE9ELNS1_11target_archE1100ELNS1_3gpuE3ELNS1_3repE0EEENS1_59segmented_radix_sort_warp_sort_small_config_static_selectorELNS0_4arch9wavefront6targetE1EEEvSK_
	.p2align	8
	.type	_ZN7rocprim17ROCPRIM_400000_NS6detail17trampoline_kernelINS0_14default_configENS1_36segmented_radix_sort_config_selectorIhlEEZNS1_25segmented_radix_sort_implIS3_Lb0EPKhPhPKlPlN2at6native12_GLOBAL__N_18offset_tEEE10hipError_tPvRmT1_PNSt15iterator_traitsISK_E10value_typeET2_T3_PNSL_ISQ_E10value_typeET4_jRbjT5_SW_jjP12ihipStream_tbEUlT_E1_NS1_11comp_targetILNS1_3genE9ELNS1_11target_archE1100ELNS1_3gpuE3ELNS1_3repE0EEENS1_59segmented_radix_sort_warp_sort_small_config_static_selectorELNS0_4arch9wavefront6targetE1EEEvSK_,@function
_ZN7rocprim17ROCPRIM_400000_NS6detail17trampoline_kernelINS0_14default_configENS1_36segmented_radix_sort_config_selectorIhlEEZNS1_25segmented_radix_sort_implIS3_Lb0EPKhPhPKlPlN2at6native12_GLOBAL__N_18offset_tEEE10hipError_tPvRmT1_PNSt15iterator_traitsISK_E10value_typeET2_T3_PNSL_ISQ_E10value_typeET4_jRbjT5_SW_jjP12ihipStream_tbEUlT_E1_NS1_11comp_targetILNS1_3genE9ELNS1_11target_archE1100ELNS1_3gpuE3ELNS1_3repE0EEENS1_59segmented_radix_sort_warp_sort_small_config_static_selectorELNS0_4arch9wavefront6targetE1EEEvSK_: ; @_ZN7rocprim17ROCPRIM_400000_NS6detail17trampoline_kernelINS0_14default_configENS1_36segmented_radix_sort_config_selectorIhlEEZNS1_25segmented_radix_sort_implIS3_Lb0EPKhPhPKlPlN2at6native12_GLOBAL__N_18offset_tEEE10hipError_tPvRmT1_PNSt15iterator_traitsISK_E10value_typeET2_T3_PNSL_ISQ_E10value_typeET4_jRbjT5_SW_jjP12ihipStream_tbEUlT_E1_NS1_11comp_targetILNS1_3genE9ELNS1_11target_archE1100ELNS1_3gpuE3ELNS1_3repE0EEENS1_59segmented_radix_sort_warp_sort_small_config_static_selectorELNS0_4arch9wavefront6targetE1EEEvSK_
; %bb.0:
	.section	.rodata,"a",@progbits
	.p2align	6, 0x0
	.amdhsa_kernel _ZN7rocprim17ROCPRIM_400000_NS6detail17trampoline_kernelINS0_14default_configENS1_36segmented_radix_sort_config_selectorIhlEEZNS1_25segmented_radix_sort_implIS3_Lb0EPKhPhPKlPlN2at6native12_GLOBAL__N_18offset_tEEE10hipError_tPvRmT1_PNSt15iterator_traitsISK_E10value_typeET2_T3_PNSL_ISQ_E10value_typeET4_jRbjT5_SW_jjP12ihipStream_tbEUlT_E1_NS1_11comp_targetILNS1_3genE9ELNS1_11target_archE1100ELNS1_3gpuE3ELNS1_3repE0EEENS1_59segmented_radix_sort_warp_sort_small_config_static_selectorELNS0_4arch9wavefront6targetE1EEEvSK_
		.amdhsa_group_segment_fixed_size 0
		.amdhsa_private_segment_fixed_size 0
		.amdhsa_kernarg_size 88
		.amdhsa_user_sgpr_count 6
		.amdhsa_user_sgpr_private_segment_buffer 1
		.amdhsa_user_sgpr_dispatch_ptr 0
		.amdhsa_user_sgpr_queue_ptr 0
		.amdhsa_user_sgpr_kernarg_segment_ptr 1
		.amdhsa_user_sgpr_dispatch_id 0
		.amdhsa_user_sgpr_flat_scratch_init 0
		.amdhsa_user_sgpr_private_segment_size 0
		.amdhsa_uses_dynamic_stack 0
		.amdhsa_system_sgpr_private_segment_wavefront_offset 0
		.amdhsa_system_sgpr_workgroup_id_x 1
		.amdhsa_system_sgpr_workgroup_id_y 0
		.amdhsa_system_sgpr_workgroup_id_z 0
		.amdhsa_system_sgpr_workgroup_info 0
		.amdhsa_system_vgpr_workitem_id 0
		.amdhsa_next_free_vgpr 1
		.amdhsa_next_free_sgpr 0
		.amdhsa_reserve_vcc 0
		.amdhsa_reserve_flat_scratch 0
		.amdhsa_float_round_mode_32 0
		.amdhsa_float_round_mode_16_64 0
		.amdhsa_float_denorm_mode_32 3
		.amdhsa_float_denorm_mode_16_64 3
		.amdhsa_dx10_clamp 1
		.amdhsa_ieee_mode 1
		.amdhsa_fp16_overflow 0
		.amdhsa_exception_fp_ieee_invalid_op 0
		.amdhsa_exception_fp_denorm_src 0
		.amdhsa_exception_fp_ieee_div_zero 0
		.amdhsa_exception_fp_ieee_overflow 0
		.amdhsa_exception_fp_ieee_underflow 0
		.amdhsa_exception_fp_ieee_inexact 0
		.amdhsa_exception_int_div_zero 0
	.end_amdhsa_kernel
	.section	.text._ZN7rocprim17ROCPRIM_400000_NS6detail17trampoline_kernelINS0_14default_configENS1_36segmented_radix_sort_config_selectorIhlEEZNS1_25segmented_radix_sort_implIS3_Lb0EPKhPhPKlPlN2at6native12_GLOBAL__N_18offset_tEEE10hipError_tPvRmT1_PNSt15iterator_traitsISK_E10value_typeET2_T3_PNSL_ISQ_E10value_typeET4_jRbjT5_SW_jjP12ihipStream_tbEUlT_E1_NS1_11comp_targetILNS1_3genE9ELNS1_11target_archE1100ELNS1_3gpuE3ELNS1_3repE0EEENS1_59segmented_radix_sort_warp_sort_small_config_static_selectorELNS0_4arch9wavefront6targetE1EEEvSK_,"axG",@progbits,_ZN7rocprim17ROCPRIM_400000_NS6detail17trampoline_kernelINS0_14default_configENS1_36segmented_radix_sort_config_selectorIhlEEZNS1_25segmented_radix_sort_implIS3_Lb0EPKhPhPKlPlN2at6native12_GLOBAL__N_18offset_tEEE10hipError_tPvRmT1_PNSt15iterator_traitsISK_E10value_typeET2_T3_PNSL_ISQ_E10value_typeET4_jRbjT5_SW_jjP12ihipStream_tbEUlT_E1_NS1_11comp_targetILNS1_3genE9ELNS1_11target_archE1100ELNS1_3gpuE3ELNS1_3repE0EEENS1_59segmented_radix_sort_warp_sort_small_config_static_selectorELNS0_4arch9wavefront6targetE1EEEvSK_,comdat
.Lfunc_end214:
	.size	_ZN7rocprim17ROCPRIM_400000_NS6detail17trampoline_kernelINS0_14default_configENS1_36segmented_radix_sort_config_selectorIhlEEZNS1_25segmented_radix_sort_implIS3_Lb0EPKhPhPKlPlN2at6native12_GLOBAL__N_18offset_tEEE10hipError_tPvRmT1_PNSt15iterator_traitsISK_E10value_typeET2_T3_PNSL_ISQ_E10value_typeET4_jRbjT5_SW_jjP12ihipStream_tbEUlT_E1_NS1_11comp_targetILNS1_3genE9ELNS1_11target_archE1100ELNS1_3gpuE3ELNS1_3repE0EEENS1_59segmented_radix_sort_warp_sort_small_config_static_selectorELNS0_4arch9wavefront6targetE1EEEvSK_, .Lfunc_end214-_ZN7rocprim17ROCPRIM_400000_NS6detail17trampoline_kernelINS0_14default_configENS1_36segmented_radix_sort_config_selectorIhlEEZNS1_25segmented_radix_sort_implIS3_Lb0EPKhPhPKlPlN2at6native12_GLOBAL__N_18offset_tEEE10hipError_tPvRmT1_PNSt15iterator_traitsISK_E10value_typeET2_T3_PNSL_ISQ_E10value_typeET4_jRbjT5_SW_jjP12ihipStream_tbEUlT_E1_NS1_11comp_targetILNS1_3genE9ELNS1_11target_archE1100ELNS1_3gpuE3ELNS1_3repE0EEENS1_59segmented_radix_sort_warp_sort_small_config_static_selectorELNS0_4arch9wavefront6targetE1EEEvSK_
                                        ; -- End function
	.set _ZN7rocprim17ROCPRIM_400000_NS6detail17trampoline_kernelINS0_14default_configENS1_36segmented_radix_sort_config_selectorIhlEEZNS1_25segmented_radix_sort_implIS3_Lb0EPKhPhPKlPlN2at6native12_GLOBAL__N_18offset_tEEE10hipError_tPvRmT1_PNSt15iterator_traitsISK_E10value_typeET2_T3_PNSL_ISQ_E10value_typeET4_jRbjT5_SW_jjP12ihipStream_tbEUlT_E1_NS1_11comp_targetILNS1_3genE9ELNS1_11target_archE1100ELNS1_3gpuE3ELNS1_3repE0EEENS1_59segmented_radix_sort_warp_sort_small_config_static_selectorELNS0_4arch9wavefront6targetE1EEEvSK_.num_vgpr, 0
	.set _ZN7rocprim17ROCPRIM_400000_NS6detail17trampoline_kernelINS0_14default_configENS1_36segmented_radix_sort_config_selectorIhlEEZNS1_25segmented_radix_sort_implIS3_Lb0EPKhPhPKlPlN2at6native12_GLOBAL__N_18offset_tEEE10hipError_tPvRmT1_PNSt15iterator_traitsISK_E10value_typeET2_T3_PNSL_ISQ_E10value_typeET4_jRbjT5_SW_jjP12ihipStream_tbEUlT_E1_NS1_11comp_targetILNS1_3genE9ELNS1_11target_archE1100ELNS1_3gpuE3ELNS1_3repE0EEENS1_59segmented_radix_sort_warp_sort_small_config_static_selectorELNS0_4arch9wavefront6targetE1EEEvSK_.num_agpr, 0
	.set _ZN7rocprim17ROCPRIM_400000_NS6detail17trampoline_kernelINS0_14default_configENS1_36segmented_radix_sort_config_selectorIhlEEZNS1_25segmented_radix_sort_implIS3_Lb0EPKhPhPKlPlN2at6native12_GLOBAL__N_18offset_tEEE10hipError_tPvRmT1_PNSt15iterator_traitsISK_E10value_typeET2_T3_PNSL_ISQ_E10value_typeET4_jRbjT5_SW_jjP12ihipStream_tbEUlT_E1_NS1_11comp_targetILNS1_3genE9ELNS1_11target_archE1100ELNS1_3gpuE3ELNS1_3repE0EEENS1_59segmented_radix_sort_warp_sort_small_config_static_selectorELNS0_4arch9wavefront6targetE1EEEvSK_.numbered_sgpr, 0
	.set _ZN7rocprim17ROCPRIM_400000_NS6detail17trampoline_kernelINS0_14default_configENS1_36segmented_radix_sort_config_selectorIhlEEZNS1_25segmented_radix_sort_implIS3_Lb0EPKhPhPKlPlN2at6native12_GLOBAL__N_18offset_tEEE10hipError_tPvRmT1_PNSt15iterator_traitsISK_E10value_typeET2_T3_PNSL_ISQ_E10value_typeET4_jRbjT5_SW_jjP12ihipStream_tbEUlT_E1_NS1_11comp_targetILNS1_3genE9ELNS1_11target_archE1100ELNS1_3gpuE3ELNS1_3repE0EEENS1_59segmented_radix_sort_warp_sort_small_config_static_selectorELNS0_4arch9wavefront6targetE1EEEvSK_.num_named_barrier, 0
	.set _ZN7rocprim17ROCPRIM_400000_NS6detail17trampoline_kernelINS0_14default_configENS1_36segmented_radix_sort_config_selectorIhlEEZNS1_25segmented_radix_sort_implIS3_Lb0EPKhPhPKlPlN2at6native12_GLOBAL__N_18offset_tEEE10hipError_tPvRmT1_PNSt15iterator_traitsISK_E10value_typeET2_T3_PNSL_ISQ_E10value_typeET4_jRbjT5_SW_jjP12ihipStream_tbEUlT_E1_NS1_11comp_targetILNS1_3genE9ELNS1_11target_archE1100ELNS1_3gpuE3ELNS1_3repE0EEENS1_59segmented_radix_sort_warp_sort_small_config_static_selectorELNS0_4arch9wavefront6targetE1EEEvSK_.private_seg_size, 0
	.set _ZN7rocprim17ROCPRIM_400000_NS6detail17trampoline_kernelINS0_14default_configENS1_36segmented_radix_sort_config_selectorIhlEEZNS1_25segmented_radix_sort_implIS3_Lb0EPKhPhPKlPlN2at6native12_GLOBAL__N_18offset_tEEE10hipError_tPvRmT1_PNSt15iterator_traitsISK_E10value_typeET2_T3_PNSL_ISQ_E10value_typeET4_jRbjT5_SW_jjP12ihipStream_tbEUlT_E1_NS1_11comp_targetILNS1_3genE9ELNS1_11target_archE1100ELNS1_3gpuE3ELNS1_3repE0EEENS1_59segmented_radix_sort_warp_sort_small_config_static_selectorELNS0_4arch9wavefront6targetE1EEEvSK_.uses_vcc, 0
	.set _ZN7rocprim17ROCPRIM_400000_NS6detail17trampoline_kernelINS0_14default_configENS1_36segmented_radix_sort_config_selectorIhlEEZNS1_25segmented_radix_sort_implIS3_Lb0EPKhPhPKlPlN2at6native12_GLOBAL__N_18offset_tEEE10hipError_tPvRmT1_PNSt15iterator_traitsISK_E10value_typeET2_T3_PNSL_ISQ_E10value_typeET4_jRbjT5_SW_jjP12ihipStream_tbEUlT_E1_NS1_11comp_targetILNS1_3genE9ELNS1_11target_archE1100ELNS1_3gpuE3ELNS1_3repE0EEENS1_59segmented_radix_sort_warp_sort_small_config_static_selectorELNS0_4arch9wavefront6targetE1EEEvSK_.uses_flat_scratch, 0
	.set _ZN7rocprim17ROCPRIM_400000_NS6detail17trampoline_kernelINS0_14default_configENS1_36segmented_radix_sort_config_selectorIhlEEZNS1_25segmented_radix_sort_implIS3_Lb0EPKhPhPKlPlN2at6native12_GLOBAL__N_18offset_tEEE10hipError_tPvRmT1_PNSt15iterator_traitsISK_E10value_typeET2_T3_PNSL_ISQ_E10value_typeET4_jRbjT5_SW_jjP12ihipStream_tbEUlT_E1_NS1_11comp_targetILNS1_3genE9ELNS1_11target_archE1100ELNS1_3gpuE3ELNS1_3repE0EEENS1_59segmented_radix_sort_warp_sort_small_config_static_selectorELNS0_4arch9wavefront6targetE1EEEvSK_.has_dyn_sized_stack, 0
	.set _ZN7rocprim17ROCPRIM_400000_NS6detail17trampoline_kernelINS0_14default_configENS1_36segmented_radix_sort_config_selectorIhlEEZNS1_25segmented_radix_sort_implIS3_Lb0EPKhPhPKlPlN2at6native12_GLOBAL__N_18offset_tEEE10hipError_tPvRmT1_PNSt15iterator_traitsISK_E10value_typeET2_T3_PNSL_ISQ_E10value_typeET4_jRbjT5_SW_jjP12ihipStream_tbEUlT_E1_NS1_11comp_targetILNS1_3genE9ELNS1_11target_archE1100ELNS1_3gpuE3ELNS1_3repE0EEENS1_59segmented_radix_sort_warp_sort_small_config_static_selectorELNS0_4arch9wavefront6targetE1EEEvSK_.has_recursion, 0
	.set _ZN7rocprim17ROCPRIM_400000_NS6detail17trampoline_kernelINS0_14default_configENS1_36segmented_radix_sort_config_selectorIhlEEZNS1_25segmented_radix_sort_implIS3_Lb0EPKhPhPKlPlN2at6native12_GLOBAL__N_18offset_tEEE10hipError_tPvRmT1_PNSt15iterator_traitsISK_E10value_typeET2_T3_PNSL_ISQ_E10value_typeET4_jRbjT5_SW_jjP12ihipStream_tbEUlT_E1_NS1_11comp_targetILNS1_3genE9ELNS1_11target_archE1100ELNS1_3gpuE3ELNS1_3repE0EEENS1_59segmented_radix_sort_warp_sort_small_config_static_selectorELNS0_4arch9wavefront6targetE1EEEvSK_.has_indirect_call, 0
	.section	.AMDGPU.csdata,"",@progbits
; Kernel info:
; codeLenInByte = 0
; TotalNumSgprs: 4
; NumVgprs: 0
; ScratchSize: 0
; MemoryBound: 0
; FloatMode: 240
; IeeeMode: 1
; LDSByteSize: 0 bytes/workgroup (compile time only)
; SGPRBlocks: 0
; VGPRBlocks: 0
; NumSGPRsForWavesPerEU: 4
; NumVGPRsForWavesPerEU: 1
; Occupancy: 10
; WaveLimiterHint : 0
; COMPUTE_PGM_RSRC2:SCRATCH_EN: 0
; COMPUTE_PGM_RSRC2:USER_SGPR: 6
; COMPUTE_PGM_RSRC2:TRAP_HANDLER: 0
; COMPUTE_PGM_RSRC2:TGID_X_EN: 1
; COMPUTE_PGM_RSRC2:TGID_Y_EN: 0
; COMPUTE_PGM_RSRC2:TGID_Z_EN: 0
; COMPUTE_PGM_RSRC2:TIDIG_COMP_CNT: 0
	.section	.text._ZN7rocprim17ROCPRIM_400000_NS6detail17trampoline_kernelINS0_14default_configENS1_36segmented_radix_sort_config_selectorIhlEEZNS1_25segmented_radix_sort_implIS3_Lb0EPKhPhPKlPlN2at6native12_GLOBAL__N_18offset_tEEE10hipError_tPvRmT1_PNSt15iterator_traitsISK_E10value_typeET2_T3_PNSL_ISQ_E10value_typeET4_jRbjT5_SW_jjP12ihipStream_tbEUlT_E1_NS1_11comp_targetILNS1_3genE8ELNS1_11target_archE1030ELNS1_3gpuE2ELNS1_3repE0EEENS1_59segmented_radix_sort_warp_sort_small_config_static_selectorELNS0_4arch9wavefront6targetE1EEEvSK_,"axG",@progbits,_ZN7rocprim17ROCPRIM_400000_NS6detail17trampoline_kernelINS0_14default_configENS1_36segmented_radix_sort_config_selectorIhlEEZNS1_25segmented_radix_sort_implIS3_Lb0EPKhPhPKlPlN2at6native12_GLOBAL__N_18offset_tEEE10hipError_tPvRmT1_PNSt15iterator_traitsISK_E10value_typeET2_T3_PNSL_ISQ_E10value_typeET4_jRbjT5_SW_jjP12ihipStream_tbEUlT_E1_NS1_11comp_targetILNS1_3genE8ELNS1_11target_archE1030ELNS1_3gpuE2ELNS1_3repE0EEENS1_59segmented_radix_sort_warp_sort_small_config_static_selectorELNS0_4arch9wavefront6targetE1EEEvSK_,comdat
	.globl	_ZN7rocprim17ROCPRIM_400000_NS6detail17trampoline_kernelINS0_14default_configENS1_36segmented_radix_sort_config_selectorIhlEEZNS1_25segmented_radix_sort_implIS3_Lb0EPKhPhPKlPlN2at6native12_GLOBAL__N_18offset_tEEE10hipError_tPvRmT1_PNSt15iterator_traitsISK_E10value_typeET2_T3_PNSL_ISQ_E10value_typeET4_jRbjT5_SW_jjP12ihipStream_tbEUlT_E1_NS1_11comp_targetILNS1_3genE8ELNS1_11target_archE1030ELNS1_3gpuE2ELNS1_3repE0EEENS1_59segmented_radix_sort_warp_sort_small_config_static_selectorELNS0_4arch9wavefront6targetE1EEEvSK_ ; -- Begin function _ZN7rocprim17ROCPRIM_400000_NS6detail17trampoline_kernelINS0_14default_configENS1_36segmented_radix_sort_config_selectorIhlEEZNS1_25segmented_radix_sort_implIS3_Lb0EPKhPhPKlPlN2at6native12_GLOBAL__N_18offset_tEEE10hipError_tPvRmT1_PNSt15iterator_traitsISK_E10value_typeET2_T3_PNSL_ISQ_E10value_typeET4_jRbjT5_SW_jjP12ihipStream_tbEUlT_E1_NS1_11comp_targetILNS1_3genE8ELNS1_11target_archE1030ELNS1_3gpuE2ELNS1_3repE0EEENS1_59segmented_radix_sort_warp_sort_small_config_static_selectorELNS0_4arch9wavefront6targetE1EEEvSK_
	.p2align	8
	.type	_ZN7rocprim17ROCPRIM_400000_NS6detail17trampoline_kernelINS0_14default_configENS1_36segmented_radix_sort_config_selectorIhlEEZNS1_25segmented_radix_sort_implIS3_Lb0EPKhPhPKlPlN2at6native12_GLOBAL__N_18offset_tEEE10hipError_tPvRmT1_PNSt15iterator_traitsISK_E10value_typeET2_T3_PNSL_ISQ_E10value_typeET4_jRbjT5_SW_jjP12ihipStream_tbEUlT_E1_NS1_11comp_targetILNS1_3genE8ELNS1_11target_archE1030ELNS1_3gpuE2ELNS1_3repE0EEENS1_59segmented_radix_sort_warp_sort_small_config_static_selectorELNS0_4arch9wavefront6targetE1EEEvSK_,@function
_ZN7rocprim17ROCPRIM_400000_NS6detail17trampoline_kernelINS0_14default_configENS1_36segmented_radix_sort_config_selectorIhlEEZNS1_25segmented_radix_sort_implIS3_Lb0EPKhPhPKlPlN2at6native12_GLOBAL__N_18offset_tEEE10hipError_tPvRmT1_PNSt15iterator_traitsISK_E10value_typeET2_T3_PNSL_ISQ_E10value_typeET4_jRbjT5_SW_jjP12ihipStream_tbEUlT_E1_NS1_11comp_targetILNS1_3genE8ELNS1_11target_archE1030ELNS1_3gpuE2ELNS1_3repE0EEENS1_59segmented_radix_sort_warp_sort_small_config_static_selectorELNS0_4arch9wavefront6targetE1EEEvSK_: ; @_ZN7rocprim17ROCPRIM_400000_NS6detail17trampoline_kernelINS0_14default_configENS1_36segmented_radix_sort_config_selectorIhlEEZNS1_25segmented_radix_sort_implIS3_Lb0EPKhPhPKlPlN2at6native12_GLOBAL__N_18offset_tEEE10hipError_tPvRmT1_PNSt15iterator_traitsISK_E10value_typeET2_T3_PNSL_ISQ_E10value_typeET4_jRbjT5_SW_jjP12ihipStream_tbEUlT_E1_NS1_11comp_targetILNS1_3genE8ELNS1_11target_archE1030ELNS1_3gpuE2ELNS1_3repE0EEENS1_59segmented_radix_sort_warp_sort_small_config_static_selectorELNS0_4arch9wavefront6targetE1EEEvSK_
; %bb.0:
	.section	.rodata,"a",@progbits
	.p2align	6, 0x0
	.amdhsa_kernel _ZN7rocprim17ROCPRIM_400000_NS6detail17trampoline_kernelINS0_14default_configENS1_36segmented_radix_sort_config_selectorIhlEEZNS1_25segmented_radix_sort_implIS3_Lb0EPKhPhPKlPlN2at6native12_GLOBAL__N_18offset_tEEE10hipError_tPvRmT1_PNSt15iterator_traitsISK_E10value_typeET2_T3_PNSL_ISQ_E10value_typeET4_jRbjT5_SW_jjP12ihipStream_tbEUlT_E1_NS1_11comp_targetILNS1_3genE8ELNS1_11target_archE1030ELNS1_3gpuE2ELNS1_3repE0EEENS1_59segmented_radix_sort_warp_sort_small_config_static_selectorELNS0_4arch9wavefront6targetE1EEEvSK_
		.amdhsa_group_segment_fixed_size 0
		.amdhsa_private_segment_fixed_size 0
		.amdhsa_kernarg_size 88
		.amdhsa_user_sgpr_count 6
		.amdhsa_user_sgpr_private_segment_buffer 1
		.amdhsa_user_sgpr_dispatch_ptr 0
		.amdhsa_user_sgpr_queue_ptr 0
		.amdhsa_user_sgpr_kernarg_segment_ptr 1
		.amdhsa_user_sgpr_dispatch_id 0
		.amdhsa_user_sgpr_flat_scratch_init 0
		.amdhsa_user_sgpr_private_segment_size 0
		.amdhsa_uses_dynamic_stack 0
		.amdhsa_system_sgpr_private_segment_wavefront_offset 0
		.amdhsa_system_sgpr_workgroup_id_x 1
		.amdhsa_system_sgpr_workgroup_id_y 0
		.amdhsa_system_sgpr_workgroup_id_z 0
		.amdhsa_system_sgpr_workgroup_info 0
		.amdhsa_system_vgpr_workitem_id 0
		.amdhsa_next_free_vgpr 1
		.amdhsa_next_free_sgpr 0
		.amdhsa_reserve_vcc 0
		.amdhsa_reserve_flat_scratch 0
		.amdhsa_float_round_mode_32 0
		.amdhsa_float_round_mode_16_64 0
		.amdhsa_float_denorm_mode_32 3
		.amdhsa_float_denorm_mode_16_64 3
		.amdhsa_dx10_clamp 1
		.amdhsa_ieee_mode 1
		.amdhsa_fp16_overflow 0
		.amdhsa_exception_fp_ieee_invalid_op 0
		.amdhsa_exception_fp_denorm_src 0
		.amdhsa_exception_fp_ieee_div_zero 0
		.amdhsa_exception_fp_ieee_overflow 0
		.amdhsa_exception_fp_ieee_underflow 0
		.amdhsa_exception_fp_ieee_inexact 0
		.amdhsa_exception_int_div_zero 0
	.end_amdhsa_kernel
	.section	.text._ZN7rocprim17ROCPRIM_400000_NS6detail17trampoline_kernelINS0_14default_configENS1_36segmented_radix_sort_config_selectorIhlEEZNS1_25segmented_radix_sort_implIS3_Lb0EPKhPhPKlPlN2at6native12_GLOBAL__N_18offset_tEEE10hipError_tPvRmT1_PNSt15iterator_traitsISK_E10value_typeET2_T3_PNSL_ISQ_E10value_typeET4_jRbjT5_SW_jjP12ihipStream_tbEUlT_E1_NS1_11comp_targetILNS1_3genE8ELNS1_11target_archE1030ELNS1_3gpuE2ELNS1_3repE0EEENS1_59segmented_radix_sort_warp_sort_small_config_static_selectorELNS0_4arch9wavefront6targetE1EEEvSK_,"axG",@progbits,_ZN7rocprim17ROCPRIM_400000_NS6detail17trampoline_kernelINS0_14default_configENS1_36segmented_radix_sort_config_selectorIhlEEZNS1_25segmented_radix_sort_implIS3_Lb0EPKhPhPKlPlN2at6native12_GLOBAL__N_18offset_tEEE10hipError_tPvRmT1_PNSt15iterator_traitsISK_E10value_typeET2_T3_PNSL_ISQ_E10value_typeET4_jRbjT5_SW_jjP12ihipStream_tbEUlT_E1_NS1_11comp_targetILNS1_3genE8ELNS1_11target_archE1030ELNS1_3gpuE2ELNS1_3repE0EEENS1_59segmented_radix_sort_warp_sort_small_config_static_selectorELNS0_4arch9wavefront6targetE1EEEvSK_,comdat
.Lfunc_end215:
	.size	_ZN7rocprim17ROCPRIM_400000_NS6detail17trampoline_kernelINS0_14default_configENS1_36segmented_radix_sort_config_selectorIhlEEZNS1_25segmented_radix_sort_implIS3_Lb0EPKhPhPKlPlN2at6native12_GLOBAL__N_18offset_tEEE10hipError_tPvRmT1_PNSt15iterator_traitsISK_E10value_typeET2_T3_PNSL_ISQ_E10value_typeET4_jRbjT5_SW_jjP12ihipStream_tbEUlT_E1_NS1_11comp_targetILNS1_3genE8ELNS1_11target_archE1030ELNS1_3gpuE2ELNS1_3repE0EEENS1_59segmented_radix_sort_warp_sort_small_config_static_selectorELNS0_4arch9wavefront6targetE1EEEvSK_, .Lfunc_end215-_ZN7rocprim17ROCPRIM_400000_NS6detail17trampoline_kernelINS0_14default_configENS1_36segmented_radix_sort_config_selectorIhlEEZNS1_25segmented_radix_sort_implIS3_Lb0EPKhPhPKlPlN2at6native12_GLOBAL__N_18offset_tEEE10hipError_tPvRmT1_PNSt15iterator_traitsISK_E10value_typeET2_T3_PNSL_ISQ_E10value_typeET4_jRbjT5_SW_jjP12ihipStream_tbEUlT_E1_NS1_11comp_targetILNS1_3genE8ELNS1_11target_archE1030ELNS1_3gpuE2ELNS1_3repE0EEENS1_59segmented_radix_sort_warp_sort_small_config_static_selectorELNS0_4arch9wavefront6targetE1EEEvSK_
                                        ; -- End function
	.set _ZN7rocprim17ROCPRIM_400000_NS6detail17trampoline_kernelINS0_14default_configENS1_36segmented_radix_sort_config_selectorIhlEEZNS1_25segmented_radix_sort_implIS3_Lb0EPKhPhPKlPlN2at6native12_GLOBAL__N_18offset_tEEE10hipError_tPvRmT1_PNSt15iterator_traitsISK_E10value_typeET2_T3_PNSL_ISQ_E10value_typeET4_jRbjT5_SW_jjP12ihipStream_tbEUlT_E1_NS1_11comp_targetILNS1_3genE8ELNS1_11target_archE1030ELNS1_3gpuE2ELNS1_3repE0EEENS1_59segmented_radix_sort_warp_sort_small_config_static_selectorELNS0_4arch9wavefront6targetE1EEEvSK_.num_vgpr, 0
	.set _ZN7rocprim17ROCPRIM_400000_NS6detail17trampoline_kernelINS0_14default_configENS1_36segmented_radix_sort_config_selectorIhlEEZNS1_25segmented_radix_sort_implIS3_Lb0EPKhPhPKlPlN2at6native12_GLOBAL__N_18offset_tEEE10hipError_tPvRmT1_PNSt15iterator_traitsISK_E10value_typeET2_T3_PNSL_ISQ_E10value_typeET4_jRbjT5_SW_jjP12ihipStream_tbEUlT_E1_NS1_11comp_targetILNS1_3genE8ELNS1_11target_archE1030ELNS1_3gpuE2ELNS1_3repE0EEENS1_59segmented_radix_sort_warp_sort_small_config_static_selectorELNS0_4arch9wavefront6targetE1EEEvSK_.num_agpr, 0
	.set _ZN7rocprim17ROCPRIM_400000_NS6detail17trampoline_kernelINS0_14default_configENS1_36segmented_radix_sort_config_selectorIhlEEZNS1_25segmented_radix_sort_implIS3_Lb0EPKhPhPKlPlN2at6native12_GLOBAL__N_18offset_tEEE10hipError_tPvRmT1_PNSt15iterator_traitsISK_E10value_typeET2_T3_PNSL_ISQ_E10value_typeET4_jRbjT5_SW_jjP12ihipStream_tbEUlT_E1_NS1_11comp_targetILNS1_3genE8ELNS1_11target_archE1030ELNS1_3gpuE2ELNS1_3repE0EEENS1_59segmented_radix_sort_warp_sort_small_config_static_selectorELNS0_4arch9wavefront6targetE1EEEvSK_.numbered_sgpr, 0
	.set _ZN7rocprim17ROCPRIM_400000_NS6detail17trampoline_kernelINS0_14default_configENS1_36segmented_radix_sort_config_selectorIhlEEZNS1_25segmented_radix_sort_implIS3_Lb0EPKhPhPKlPlN2at6native12_GLOBAL__N_18offset_tEEE10hipError_tPvRmT1_PNSt15iterator_traitsISK_E10value_typeET2_T3_PNSL_ISQ_E10value_typeET4_jRbjT5_SW_jjP12ihipStream_tbEUlT_E1_NS1_11comp_targetILNS1_3genE8ELNS1_11target_archE1030ELNS1_3gpuE2ELNS1_3repE0EEENS1_59segmented_radix_sort_warp_sort_small_config_static_selectorELNS0_4arch9wavefront6targetE1EEEvSK_.num_named_barrier, 0
	.set _ZN7rocprim17ROCPRIM_400000_NS6detail17trampoline_kernelINS0_14default_configENS1_36segmented_radix_sort_config_selectorIhlEEZNS1_25segmented_radix_sort_implIS3_Lb0EPKhPhPKlPlN2at6native12_GLOBAL__N_18offset_tEEE10hipError_tPvRmT1_PNSt15iterator_traitsISK_E10value_typeET2_T3_PNSL_ISQ_E10value_typeET4_jRbjT5_SW_jjP12ihipStream_tbEUlT_E1_NS1_11comp_targetILNS1_3genE8ELNS1_11target_archE1030ELNS1_3gpuE2ELNS1_3repE0EEENS1_59segmented_radix_sort_warp_sort_small_config_static_selectorELNS0_4arch9wavefront6targetE1EEEvSK_.private_seg_size, 0
	.set _ZN7rocprim17ROCPRIM_400000_NS6detail17trampoline_kernelINS0_14default_configENS1_36segmented_radix_sort_config_selectorIhlEEZNS1_25segmented_radix_sort_implIS3_Lb0EPKhPhPKlPlN2at6native12_GLOBAL__N_18offset_tEEE10hipError_tPvRmT1_PNSt15iterator_traitsISK_E10value_typeET2_T3_PNSL_ISQ_E10value_typeET4_jRbjT5_SW_jjP12ihipStream_tbEUlT_E1_NS1_11comp_targetILNS1_3genE8ELNS1_11target_archE1030ELNS1_3gpuE2ELNS1_3repE0EEENS1_59segmented_radix_sort_warp_sort_small_config_static_selectorELNS0_4arch9wavefront6targetE1EEEvSK_.uses_vcc, 0
	.set _ZN7rocprim17ROCPRIM_400000_NS6detail17trampoline_kernelINS0_14default_configENS1_36segmented_radix_sort_config_selectorIhlEEZNS1_25segmented_radix_sort_implIS3_Lb0EPKhPhPKlPlN2at6native12_GLOBAL__N_18offset_tEEE10hipError_tPvRmT1_PNSt15iterator_traitsISK_E10value_typeET2_T3_PNSL_ISQ_E10value_typeET4_jRbjT5_SW_jjP12ihipStream_tbEUlT_E1_NS1_11comp_targetILNS1_3genE8ELNS1_11target_archE1030ELNS1_3gpuE2ELNS1_3repE0EEENS1_59segmented_radix_sort_warp_sort_small_config_static_selectorELNS0_4arch9wavefront6targetE1EEEvSK_.uses_flat_scratch, 0
	.set _ZN7rocprim17ROCPRIM_400000_NS6detail17trampoline_kernelINS0_14default_configENS1_36segmented_radix_sort_config_selectorIhlEEZNS1_25segmented_radix_sort_implIS3_Lb0EPKhPhPKlPlN2at6native12_GLOBAL__N_18offset_tEEE10hipError_tPvRmT1_PNSt15iterator_traitsISK_E10value_typeET2_T3_PNSL_ISQ_E10value_typeET4_jRbjT5_SW_jjP12ihipStream_tbEUlT_E1_NS1_11comp_targetILNS1_3genE8ELNS1_11target_archE1030ELNS1_3gpuE2ELNS1_3repE0EEENS1_59segmented_radix_sort_warp_sort_small_config_static_selectorELNS0_4arch9wavefront6targetE1EEEvSK_.has_dyn_sized_stack, 0
	.set _ZN7rocprim17ROCPRIM_400000_NS6detail17trampoline_kernelINS0_14default_configENS1_36segmented_radix_sort_config_selectorIhlEEZNS1_25segmented_radix_sort_implIS3_Lb0EPKhPhPKlPlN2at6native12_GLOBAL__N_18offset_tEEE10hipError_tPvRmT1_PNSt15iterator_traitsISK_E10value_typeET2_T3_PNSL_ISQ_E10value_typeET4_jRbjT5_SW_jjP12ihipStream_tbEUlT_E1_NS1_11comp_targetILNS1_3genE8ELNS1_11target_archE1030ELNS1_3gpuE2ELNS1_3repE0EEENS1_59segmented_radix_sort_warp_sort_small_config_static_selectorELNS0_4arch9wavefront6targetE1EEEvSK_.has_recursion, 0
	.set _ZN7rocprim17ROCPRIM_400000_NS6detail17trampoline_kernelINS0_14default_configENS1_36segmented_radix_sort_config_selectorIhlEEZNS1_25segmented_radix_sort_implIS3_Lb0EPKhPhPKlPlN2at6native12_GLOBAL__N_18offset_tEEE10hipError_tPvRmT1_PNSt15iterator_traitsISK_E10value_typeET2_T3_PNSL_ISQ_E10value_typeET4_jRbjT5_SW_jjP12ihipStream_tbEUlT_E1_NS1_11comp_targetILNS1_3genE8ELNS1_11target_archE1030ELNS1_3gpuE2ELNS1_3repE0EEENS1_59segmented_radix_sort_warp_sort_small_config_static_selectorELNS0_4arch9wavefront6targetE1EEEvSK_.has_indirect_call, 0
	.section	.AMDGPU.csdata,"",@progbits
; Kernel info:
; codeLenInByte = 0
; TotalNumSgprs: 4
; NumVgprs: 0
; ScratchSize: 0
; MemoryBound: 0
; FloatMode: 240
; IeeeMode: 1
; LDSByteSize: 0 bytes/workgroup (compile time only)
; SGPRBlocks: 0
; VGPRBlocks: 0
; NumSGPRsForWavesPerEU: 4
; NumVGPRsForWavesPerEU: 1
; Occupancy: 10
; WaveLimiterHint : 0
; COMPUTE_PGM_RSRC2:SCRATCH_EN: 0
; COMPUTE_PGM_RSRC2:USER_SGPR: 6
; COMPUTE_PGM_RSRC2:TRAP_HANDLER: 0
; COMPUTE_PGM_RSRC2:TGID_X_EN: 1
; COMPUTE_PGM_RSRC2:TGID_Y_EN: 0
; COMPUTE_PGM_RSRC2:TGID_Z_EN: 0
; COMPUTE_PGM_RSRC2:TIDIG_COMP_CNT: 0
	.section	.text._ZN7rocprim17ROCPRIM_400000_NS6detail17trampoline_kernelINS0_14default_configENS1_36segmented_radix_sort_config_selectorIhlEEZNS1_25segmented_radix_sort_implIS3_Lb0EPKhPhPKlPlN2at6native12_GLOBAL__N_18offset_tEEE10hipError_tPvRmT1_PNSt15iterator_traitsISK_E10value_typeET2_T3_PNSL_ISQ_E10value_typeET4_jRbjT5_SW_jjP12ihipStream_tbEUlT_E2_NS1_11comp_targetILNS1_3genE0ELNS1_11target_archE4294967295ELNS1_3gpuE0ELNS1_3repE0EEENS1_30default_config_static_selectorELNS0_4arch9wavefront6targetE1EEEvSK_,"axG",@progbits,_ZN7rocprim17ROCPRIM_400000_NS6detail17trampoline_kernelINS0_14default_configENS1_36segmented_radix_sort_config_selectorIhlEEZNS1_25segmented_radix_sort_implIS3_Lb0EPKhPhPKlPlN2at6native12_GLOBAL__N_18offset_tEEE10hipError_tPvRmT1_PNSt15iterator_traitsISK_E10value_typeET2_T3_PNSL_ISQ_E10value_typeET4_jRbjT5_SW_jjP12ihipStream_tbEUlT_E2_NS1_11comp_targetILNS1_3genE0ELNS1_11target_archE4294967295ELNS1_3gpuE0ELNS1_3repE0EEENS1_30default_config_static_selectorELNS0_4arch9wavefront6targetE1EEEvSK_,comdat
	.globl	_ZN7rocprim17ROCPRIM_400000_NS6detail17trampoline_kernelINS0_14default_configENS1_36segmented_radix_sort_config_selectorIhlEEZNS1_25segmented_radix_sort_implIS3_Lb0EPKhPhPKlPlN2at6native12_GLOBAL__N_18offset_tEEE10hipError_tPvRmT1_PNSt15iterator_traitsISK_E10value_typeET2_T3_PNSL_ISQ_E10value_typeET4_jRbjT5_SW_jjP12ihipStream_tbEUlT_E2_NS1_11comp_targetILNS1_3genE0ELNS1_11target_archE4294967295ELNS1_3gpuE0ELNS1_3repE0EEENS1_30default_config_static_selectorELNS0_4arch9wavefront6targetE1EEEvSK_ ; -- Begin function _ZN7rocprim17ROCPRIM_400000_NS6detail17trampoline_kernelINS0_14default_configENS1_36segmented_radix_sort_config_selectorIhlEEZNS1_25segmented_radix_sort_implIS3_Lb0EPKhPhPKlPlN2at6native12_GLOBAL__N_18offset_tEEE10hipError_tPvRmT1_PNSt15iterator_traitsISK_E10value_typeET2_T3_PNSL_ISQ_E10value_typeET4_jRbjT5_SW_jjP12ihipStream_tbEUlT_E2_NS1_11comp_targetILNS1_3genE0ELNS1_11target_archE4294967295ELNS1_3gpuE0ELNS1_3repE0EEENS1_30default_config_static_selectorELNS0_4arch9wavefront6targetE1EEEvSK_
	.p2align	8
	.type	_ZN7rocprim17ROCPRIM_400000_NS6detail17trampoline_kernelINS0_14default_configENS1_36segmented_radix_sort_config_selectorIhlEEZNS1_25segmented_radix_sort_implIS3_Lb0EPKhPhPKlPlN2at6native12_GLOBAL__N_18offset_tEEE10hipError_tPvRmT1_PNSt15iterator_traitsISK_E10value_typeET2_T3_PNSL_ISQ_E10value_typeET4_jRbjT5_SW_jjP12ihipStream_tbEUlT_E2_NS1_11comp_targetILNS1_3genE0ELNS1_11target_archE4294967295ELNS1_3gpuE0ELNS1_3repE0EEENS1_30default_config_static_selectorELNS0_4arch9wavefront6targetE1EEEvSK_,@function
_ZN7rocprim17ROCPRIM_400000_NS6detail17trampoline_kernelINS0_14default_configENS1_36segmented_radix_sort_config_selectorIhlEEZNS1_25segmented_radix_sort_implIS3_Lb0EPKhPhPKlPlN2at6native12_GLOBAL__N_18offset_tEEE10hipError_tPvRmT1_PNSt15iterator_traitsISK_E10value_typeET2_T3_PNSL_ISQ_E10value_typeET4_jRbjT5_SW_jjP12ihipStream_tbEUlT_E2_NS1_11comp_targetILNS1_3genE0ELNS1_11target_archE4294967295ELNS1_3gpuE0ELNS1_3repE0EEENS1_30default_config_static_selectorELNS0_4arch9wavefront6targetE1EEEvSK_: ; @_ZN7rocprim17ROCPRIM_400000_NS6detail17trampoline_kernelINS0_14default_configENS1_36segmented_radix_sort_config_selectorIhlEEZNS1_25segmented_radix_sort_implIS3_Lb0EPKhPhPKlPlN2at6native12_GLOBAL__N_18offset_tEEE10hipError_tPvRmT1_PNSt15iterator_traitsISK_E10value_typeET2_T3_PNSL_ISQ_E10value_typeET4_jRbjT5_SW_jjP12ihipStream_tbEUlT_E2_NS1_11comp_targetILNS1_3genE0ELNS1_11target_archE4294967295ELNS1_3gpuE0ELNS1_3repE0EEENS1_30default_config_static_selectorELNS0_4arch9wavefront6targetE1EEEvSK_
; %bb.0:
	.section	.rodata,"a",@progbits
	.p2align	6, 0x0
	.amdhsa_kernel _ZN7rocprim17ROCPRIM_400000_NS6detail17trampoline_kernelINS0_14default_configENS1_36segmented_radix_sort_config_selectorIhlEEZNS1_25segmented_radix_sort_implIS3_Lb0EPKhPhPKlPlN2at6native12_GLOBAL__N_18offset_tEEE10hipError_tPvRmT1_PNSt15iterator_traitsISK_E10value_typeET2_T3_PNSL_ISQ_E10value_typeET4_jRbjT5_SW_jjP12ihipStream_tbEUlT_E2_NS1_11comp_targetILNS1_3genE0ELNS1_11target_archE4294967295ELNS1_3gpuE0ELNS1_3repE0EEENS1_30default_config_static_selectorELNS0_4arch9wavefront6targetE1EEEvSK_
		.amdhsa_group_segment_fixed_size 0
		.amdhsa_private_segment_fixed_size 0
		.amdhsa_kernarg_size 80
		.amdhsa_user_sgpr_count 6
		.amdhsa_user_sgpr_private_segment_buffer 1
		.amdhsa_user_sgpr_dispatch_ptr 0
		.amdhsa_user_sgpr_queue_ptr 0
		.amdhsa_user_sgpr_kernarg_segment_ptr 1
		.amdhsa_user_sgpr_dispatch_id 0
		.amdhsa_user_sgpr_flat_scratch_init 0
		.amdhsa_user_sgpr_private_segment_size 0
		.amdhsa_uses_dynamic_stack 0
		.amdhsa_system_sgpr_private_segment_wavefront_offset 0
		.amdhsa_system_sgpr_workgroup_id_x 1
		.amdhsa_system_sgpr_workgroup_id_y 0
		.amdhsa_system_sgpr_workgroup_id_z 0
		.amdhsa_system_sgpr_workgroup_info 0
		.amdhsa_system_vgpr_workitem_id 0
		.amdhsa_next_free_vgpr 1
		.amdhsa_next_free_sgpr 0
		.amdhsa_reserve_vcc 0
		.amdhsa_reserve_flat_scratch 0
		.amdhsa_float_round_mode_32 0
		.amdhsa_float_round_mode_16_64 0
		.amdhsa_float_denorm_mode_32 3
		.amdhsa_float_denorm_mode_16_64 3
		.amdhsa_dx10_clamp 1
		.amdhsa_ieee_mode 1
		.amdhsa_fp16_overflow 0
		.amdhsa_exception_fp_ieee_invalid_op 0
		.amdhsa_exception_fp_denorm_src 0
		.amdhsa_exception_fp_ieee_div_zero 0
		.amdhsa_exception_fp_ieee_overflow 0
		.amdhsa_exception_fp_ieee_underflow 0
		.amdhsa_exception_fp_ieee_inexact 0
		.amdhsa_exception_int_div_zero 0
	.end_amdhsa_kernel
	.section	.text._ZN7rocprim17ROCPRIM_400000_NS6detail17trampoline_kernelINS0_14default_configENS1_36segmented_radix_sort_config_selectorIhlEEZNS1_25segmented_radix_sort_implIS3_Lb0EPKhPhPKlPlN2at6native12_GLOBAL__N_18offset_tEEE10hipError_tPvRmT1_PNSt15iterator_traitsISK_E10value_typeET2_T3_PNSL_ISQ_E10value_typeET4_jRbjT5_SW_jjP12ihipStream_tbEUlT_E2_NS1_11comp_targetILNS1_3genE0ELNS1_11target_archE4294967295ELNS1_3gpuE0ELNS1_3repE0EEENS1_30default_config_static_selectorELNS0_4arch9wavefront6targetE1EEEvSK_,"axG",@progbits,_ZN7rocprim17ROCPRIM_400000_NS6detail17trampoline_kernelINS0_14default_configENS1_36segmented_radix_sort_config_selectorIhlEEZNS1_25segmented_radix_sort_implIS3_Lb0EPKhPhPKlPlN2at6native12_GLOBAL__N_18offset_tEEE10hipError_tPvRmT1_PNSt15iterator_traitsISK_E10value_typeET2_T3_PNSL_ISQ_E10value_typeET4_jRbjT5_SW_jjP12ihipStream_tbEUlT_E2_NS1_11comp_targetILNS1_3genE0ELNS1_11target_archE4294967295ELNS1_3gpuE0ELNS1_3repE0EEENS1_30default_config_static_selectorELNS0_4arch9wavefront6targetE1EEEvSK_,comdat
.Lfunc_end216:
	.size	_ZN7rocprim17ROCPRIM_400000_NS6detail17trampoline_kernelINS0_14default_configENS1_36segmented_radix_sort_config_selectorIhlEEZNS1_25segmented_radix_sort_implIS3_Lb0EPKhPhPKlPlN2at6native12_GLOBAL__N_18offset_tEEE10hipError_tPvRmT1_PNSt15iterator_traitsISK_E10value_typeET2_T3_PNSL_ISQ_E10value_typeET4_jRbjT5_SW_jjP12ihipStream_tbEUlT_E2_NS1_11comp_targetILNS1_3genE0ELNS1_11target_archE4294967295ELNS1_3gpuE0ELNS1_3repE0EEENS1_30default_config_static_selectorELNS0_4arch9wavefront6targetE1EEEvSK_, .Lfunc_end216-_ZN7rocprim17ROCPRIM_400000_NS6detail17trampoline_kernelINS0_14default_configENS1_36segmented_radix_sort_config_selectorIhlEEZNS1_25segmented_radix_sort_implIS3_Lb0EPKhPhPKlPlN2at6native12_GLOBAL__N_18offset_tEEE10hipError_tPvRmT1_PNSt15iterator_traitsISK_E10value_typeET2_T3_PNSL_ISQ_E10value_typeET4_jRbjT5_SW_jjP12ihipStream_tbEUlT_E2_NS1_11comp_targetILNS1_3genE0ELNS1_11target_archE4294967295ELNS1_3gpuE0ELNS1_3repE0EEENS1_30default_config_static_selectorELNS0_4arch9wavefront6targetE1EEEvSK_
                                        ; -- End function
	.set _ZN7rocprim17ROCPRIM_400000_NS6detail17trampoline_kernelINS0_14default_configENS1_36segmented_radix_sort_config_selectorIhlEEZNS1_25segmented_radix_sort_implIS3_Lb0EPKhPhPKlPlN2at6native12_GLOBAL__N_18offset_tEEE10hipError_tPvRmT1_PNSt15iterator_traitsISK_E10value_typeET2_T3_PNSL_ISQ_E10value_typeET4_jRbjT5_SW_jjP12ihipStream_tbEUlT_E2_NS1_11comp_targetILNS1_3genE0ELNS1_11target_archE4294967295ELNS1_3gpuE0ELNS1_3repE0EEENS1_30default_config_static_selectorELNS0_4arch9wavefront6targetE1EEEvSK_.num_vgpr, 0
	.set _ZN7rocprim17ROCPRIM_400000_NS6detail17trampoline_kernelINS0_14default_configENS1_36segmented_radix_sort_config_selectorIhlEEZNS1_25segmented_radix_sort_implIS3_Lb0EPKhPhPKlPlN2at6native12_GLOBAL__N_18offset_tEEE10hipError_tPvRmT1_PNSt15iterator_traitsISK_E10value_typeET2_T3_PNSL_ISQ_E10value_typeET4_jRbjT5_SW_jjP12ihipStream_tbEUlT_E2_NS1_11comp_targetILNS1_3genE0ELNS1_11target_archE4294967295ELNS1_3gpuE0ELNS1_3repE0EEENS1_30default_config_static_selectorELNS0_4arch9wavefront6targetE1EEEvSK_.num_agpr, 0
	.set _ZN7rocprim17ROCPRIM_400000_NS6detail17trampoline_kernelINS0_14default_configENS1_36segmented_radix_sort_config_selectorIhlEEZNS1_25segmented_radix_sort_implIS3_Lb0EPKhPhPKlPlN2at6native12_GLOBAL__N_18offset_tEEE10hipError_tPvRmT1_PNSt15iterator_traitsISK_E10value_typeET2_T3_PNSL_ISQ_E10value_typeET4_jRbjT5_SW_jjP12ihipStream_tbEUlT_E2_NS1_11comp_targetILNS1_3genE0ELNS1_11target_archE4294967295ELNS1_3gpuE0ELNS1_3repE0EEENS1_30default_config_static_selectorELNS0_4arch9wavefront6targetE1EEEvSK_.numbered_sgpr, 0
	.set _ZN7rocprim17ROCPRIM_400000_NS6detail17trampoline_kernelINS0_14default_configENS1_36segmented_radix_sort_config_selectorIhlEEZNS1_25segmented_radix_sort_implIS3_Lb0EPKhPhPKlPlN2at6native12_GLOBAL__N_18offset_tEEE10hipError_tPvRmT1_PNSt15iterator_traitsISK_E10value_typeET2_T3_PNSL_ISQ_E10value_typeET4_jRbjT5_SW_jjP12ihipStream_tbEUlT_E2_NS1_11comp_targetILNS1_3genE0ELNS1_11target_archE4294967295ELNS1_3gpuE0ELNS1_3repE0EEENS1_30default_config_static_selectorELNS0_4arch9wavefront6targetE1EEEvSK_.num_named_barrier, 0
	.set _ZN7rocprim17ROCPRIM_400000_NS6detail17trampoline_kernelINS0_14default_configENS1_36segmented_radix_sort_config_selectorIhlEEZNS1_25segmented_radix_sort_implIS3_Lb0EPKhPhPKlPlN2at6native12_GLOBAL__N_18offset_tEEE10hipError_tPvRmT1_PNSt15iterator_traitsISK_E10value_typeET2_T3_PNSL_ISQ_E10value_typeET4_jRbjT5_SW_jjP12ihipStream_tbEUlT_E2_NS1_11comp_targetILNS1_3genE0ELNS1_11target_archE4294967295ELNS1_3gpuE0ELNS1_3repE0EEENS1_30default_config_static_selectorELNS0_4arch9wavefront6targetE1EEEvSK_.private_seg_size, 0
	.set _ZN7rocprim17ROCPRIM_400000_NS6detail17trampoline_kernelINS0_14default_configENS1_36segmented_radix_sort_config_selectorIhlEEZNS1_25segmented_radix_sort_implIS3_Lb0EPKhPhPKlPlN2at6native12_GLOBAL__N_18offset_tEEE10hipError_tPvRmT1_PNSt15iterator_traitsISK_E10value_typeET2_T3_PNSL_ISQ_E10value_typeET4_jRbjT5_SW_jjP12ihipStream_tbEUlT_E2_NS1_11comp_targetILNS1_3genE0ELNS1_11target_archE4294967295ELNS1_3gpuE0ELNS1_3repE0EEENS1_30default_config_static_selectorELNS0_4arch9wavefront6targetE1EEEvSK_.uses_vcc, 0
	.set _ZN7rocprim17ROCPRIM_400000_NS6detail17trampoline_kernelINS0_14default_configENS1_36segmented_radix_sort_config_selectorIhlEEZNS1_25segmented_radix_sort_implIS3_Lb0EPKhPhPKlPlN2at6native12_GLOBAL__N_18offset_tEEE10hipError_tPvRmT1_PNSt15iterator_traitsISK_E10value_typeET2_T3_PNSL_ISQ_E10value_typeET4_jRbjT5_SW_jjP12ihipStream_tbEUlT_E2_NS1_11comp_targetILNS1_3genE0ELNS1_11target_archE4294967295ELNS1_3gpuE0ELNS1_3repE0EEENS1_30default_config_static_selectorELNS0_4arch9wavefront6targetE1EEEvSK_.uses_flat_scratch, 0
	.set _ZN7rocprim17ROCPRIM_400000_NS6detail17trampoline_kernelINS0_14default_configENS1_36segmented_radix_sort_config_selectorIhlEEZNS1_25segmented_radix_sort_implIS3_Lb0EPKhPhPKlPlN2at6native12_GLOBAL__N_18offset_tEEE10hipError_tPvRmT1_PNSt15iterator_traitsISK_E10value_typeET2_T3_PNSL_ISQ_E10value_typeET4_jRbjT5_SW_jjP12ihipStream_tbEUlT_E2_NS1_11comp_targetILNS1_3genE0ELNS1_11target_archE4294967295ELNS1_3gpuE0ELNS1_3repE0EEENS1_30default_config_static_selectorELNS0_4arch9wavefront6targetE1EEEvSK_.has_dyn_sized_stack, 0
	.set _ZN7rocprim17ROCPRIM_400000_NS6detail17trampoline_kernelINS0_14default_configENS1_36segmented_radix_sort_config_selectorIhlEEZNS1_25segmented_radix_sort_implIS3_Lb0EPKhPhPKlPlN2at6native12_GLOBAL__N_18offset_tEEE10hipError_tPvRmT1_PNSt15iterator_traitsISK_E10value_typeET2_T3_PNSL_ISQ_E10value_typeET4_jRbjT5_SW_jjP12ihipStream_tbEUlT_E2_NS1_11comp_targetILNS1_3genE0ELNS1_11target_archE4294967295ELNS1_3gpuE0ELNS1_3repE0EEENS1_30default_config_static_selectorELNS0_4arch9wavefront6targetE1EEEvSK_.has_recursion, 0
	.set _ZN7rocprim17ROCPRIM_400000_NS6detail17trampoline_kernelINS0_14default_configENS1_36segmented_radix_sort_config_selectorIhlEEZNS1_25segmented_radix_sort_implIS3_Lb0EPKhPhPKlPlN2at6native12_GLOBAL__N_18offset_tEEE10hipError_tPvRmT1_PNSt15iterator_traitsISK_E10value_typeET2_T3_PNSL_ISQ_E10value_typeET4_jRbjT5_SW_jjP12ihipStream_tbEUlT_E2_NS1_11comp_targetILNS1_3genE0ELNS1_11target_archE4294967295ELNS1_3gpuE0ELNS1_3repE0EEENS1_30default_config_static_selectorELNS0_4arch9wavefront6targetE1EEEvSK_.has_indirect_call, 0
	.section	.AMDGPU.csdata,"",@progbits
; Kernel info:
; codeLenInByte = 0
; TotalNumSgprs: 4
; NumVgprs: 0
; ScratchSize: 0
; MemoryBound: 0
; FloatMode: 240
; IeeeMode: 1
; LDSByteSize: 0 bytes/workgroup (compile time only)
; SGPRBlocks: 0
; VGPRBlocks: 0
; NumSGPRsForWavesPerEU: 4
; NumVGPRsForWavesPerEU: 1
; Occupancy: 10
; WaveLimiterHint : 0
; COMPUTE_PGM_RSRC2:SCRATCH_EN: 0
; COMPUTE_PGM_RSRC2:USER_SGPR: 6
; COMPUTE_PGM_RSRC2:TRAP_HANDLER: 0
; COMPUTE_PGM_RSRC2:TGID_X_EN: 1
; COMPUTE_PGM_RSRC2:TGID_Y_EN: 0
; COMPUTE_PGM_RSRC2:TGID_Z_EN: 0
; COMPUTE_PGM_RSRC2:TIDIG_COMP_CNT: 0
	.section	.text._ZN7rocprim17ROCPRIM_400000_NS6detail17trampoline_kernelINS0_14default_configENS1_36segmented_radix_sort_config_selectorIhlEEZNS1_25segmented_radix_sort_implIS3_Lb0EPKhPhPKlPlN2at6native12_GLOBAL__N_18offset_tEEE10hipError_tPvRmT1_PNSt15iterator_traitsISK_E10value_typeET2_T3_PNSL_ISQ_E10value_typeET4_jRbjT5_SW_jjP12ihipStream_tbEUlT_E2_NS1_11comp_targetILNS1_3genE5ELNS1_11target_archE942ELNS1_3gpuE9ELNS1_3repE0EEENS1_30default_config_static_selectorELNS0_4arch9wavefront6targetE1EEEvSK_,"axG",@progbits,_ZN7rocprim17ROCPRIM_400000_NS6detail17trampoline_kernelINS0_14default_configENS1_36segmented_radix_sort_config_selectorIhlEEZNS1_25segmented_radix_sort_implIS3_Lb0EPKhPhPKlPlN2at6native12_GLOBAL__N_18offset_tEEE10hipError_tPvRmT1_PNSt15iterator_traitsISK_E10value_typeET2_T3_PNSL_ISQ_E10value_typeET4_jRbjT5_SW_jjP12ihipStream_tbEUlT_E2_NS1_11comp_targetILNS1_3genE5ELNS1_11target_archE942ELNS1_3gpuE9ELNS1_3repE0EEENS1_30default_config_static_selectorELNS0_4arch9wavefront6targetE1EEEvSK_,comdat
	.globl	_ZN7rocprim17ROCPRIM_400000_NS6detail17trampoline_kernelINS0_14default_configENS1_36segmented_radix_sort_config_selectorIhlEEZNS1_25segmented_radix_sort_implIS3_Lb0EPKhPhPKlPlN2at6native12_GLOBAL__N_18offset_tEEE10hipError_tPvRmT1_PNSt15iterator_traitsISK_E10value_typeET2_T3_PNSL_ISQ_E10value_typeET4_jRbjT5_SW_jjP12ihipStream_tbEUlT_E2_NS1_11comp_targetILNS1_3genE5ELNS1_11target_archE942ELNS1_3gpuE9ELNS1_3repE0EEENS1_30default_config_static_selectorELNS0_4arch9wavefront6targetE1EEEvSK_ ; -- Begin function _ZN7rocprim17ROCPRIM_400000_NS6detail17trampoline_kernelINS0_14default_configENS1_36segmented_radix_sort_config_selectorIhlEEZNS1_25segmented_radix_sort_implIS3_Lb0EPKhPhPKlPlN2at6native12_GLOBAL__N_18offset_tEEE10hipError_tPvRmT1_PNSt15iterator_traitsISK_E10value_typeET2_T3_PNSL_ISQ_E10value_typeET4_jRbjT5_SW_jjP12ihipStream_tbEUlT_E2_NS1_11comp_targetILNS1_3genE5ELNS1_11target_archE942ELNS1_3gpuE9ELNS1_3repE0EEENS1_30default_config_static_selectorELNS0_4arch9wavefront6targetE1EEEvSK_
	.p2align	8
	.type	_ZN7rocprim17ROCPRIM_400000_NS6detail17trampoline_kernelINS0_14default_configENS1_36segmented_radix_sort_config_selectorIhlEEZNS1_25segmented_radix_sort_implIS3_Lb0EPKhPhPKlPlN2at6native12_GLOBAL__N_18offset_tEEE10hipError_tPvRmT1_PNSt15iterator_traitsISK_E10value_typeET2_T3_PNSL_ISQ_E10value_typeET4_jRbjT5_SW_jjP12ihipStream_tbEUlT_E2_NS1_11comp_targetILNS1_3genE5ELNS1_11target_archE942ELNS1_3gpuE9ELNS1_3repE0EEENS1_30default_config_static_selectorELNS0_4arch9wavefront6targetE1EEEvSK_,@function
_ZN7rocprim17ROCPRIM_400000_NS6detail17trampoline_kernelINS0_14default_configENS1_36segmented_radix_sort_config_selectorIhlEEZNS1_25segmented_radix_sort_implIS3_Lb0EPKhPhPKlPlN2at6native12_GLOBAL__N_18offset_tEEE10hipError_tPvRmT1_PNSt15iterator_traitsISK_E10value_typeET2_T3_PNSL_ISQ_E10value_typeET4_jRbjT5_SW_jjP12ihipStream_tbEUlT_E2_NS1_11comp_targetILNS1_3genE5ELNS1_11target_archE942ELNS1_3gpuE9ELNS1_3repE0EEENS1_30default_config_static_selectorELNS0_4arch9wavefront6targetE1EEEvSK_: ; @_ZN7rocprim17ROCPRIM_400000_NS6detail17trampoline_kernelINS0_14default_configENS1_36segmented_radix_sort_config_selectorIhlEEZNS1_25segmented_radix_sort_implIS3_Lb0EPKhPhPKlPlN2at6native12_GLOBAL__N_18offset_tEEE10hipError_tPvRmT1_PNSt15iterator_traitsISK_E10value_typeET2_T3_PNSL_ISQ_E10value_typeET4_jRbjT5_SW_jjP12ihipStream_tbEUlT_E2_NS1_11comp_targetILNS1_3genE5ELNS1_11target_archE942ELNS1_3gpuE9ELNS1_3repE0EEENS1_30default_config_static_selectorELNS0_4arch9wavefront6targetE1EEEvSK_
; %bb.0:
	.section	.rodata,"a",@progbits
	.p2align	6, 0x0
	.amdhsa_kernel _ZN7rocprim17ROCPRIM_400000_NS6detail17trampoline_kernelINS0_14default_configENS1_36segmented_radix_sort_config_selectorIhlEEZNS1_25segmented_radix_sort_implIS3_Lb0EPKhPhPKlPlN2at6native12_GLOBAL__N_18offset_tEEE10hipError_tPvRmT1_PNSt15iterator_traitsISK_E10value_typeET2_T3_PNSL_ISQ_E10value_typeET4_jRbjT5_SW_jjP12ihipStream_tbEUlT_E2_NS1_11comp_targetILNS1_3genE5ELNS1_11target_archE942ELNS1_3gpuE9ELNS1_3repE0EEENS1_30default_config_static_selectorELNS0_4arch9wavefront6targetE1EEEvSK_
		.amdhsa_group_segment_fixed_size 0
		.amdhsa_private_segment_fixed_size 0
		.amdhsa_kernarg_size 80
		.amdhsa_user_sgpr_count 6
		.amdhsa_user_sgpr_private_segment_buffer 1
		.amdhsa_user_sgpr_dispatch_ptr 0
		.amdhsa_user_sgpr_queue_ptr 0
		.amdhsa_user_sgpr_kernarg_segment_ptr 1
		.amdhsa_user_sgpr_dispatch_id 0
		.amdhsa_user_sgpr_flat_scratch_init 0
		.amdhsa_user_sgpr_private_segment_size 0
		.amdhsa_uses_dynamic_stack 0
		.amdhsa_system_sgpr_private_segment_wavefront_offset 0
		.amdhsa_system_sgpr_workgroup_id_x 1
		.amdhsa_system_sgpr_workgroup_id_y 0
		.amdhsa_system_sgpr_workgroup_id_z 0
		.amdhsa_system_sgpr_workgroup_info 0
		.amdhsa_system_vgpr_workitem_id 0
		.amdhsa_next_free_vgpr 1
		.amdhsa_next_free_sgpr 0
		.amdhsa_reserve_vcc 0
		.amdhsa_reserve_flat_scratch 0
		.amdhsa_float_round_mode_32 0
		.amdhsa_float_round_mode_16_64 0
		.amdhsa_float_denorm_mode_32 3
		.amdhsa_float_denorm_mode_16_64 3
		.amdhsa_dx10_clamp 1
		.amdhsa_ieee_mode 1
		.amdhsa_fp16_overflow 0
		.amdhsa_exception_fp_ieee_invalid_op 0
		.amdhsa_exception_fp_denorm_src 0
		.amdhsa_exception_fp_ieee_div_zero 0
		.amdhsa_exception_fp_ieee_overflow 0
		.amdhsa_exception_fp_ieee_underflow 0
		.amdhsa_exception_fp_ieee_inexact 0
		.amdhsa_exception_int_div_zero 0
	.end_amdhsa_kernel
	.section	.text._ZN7rocprim17ROCPRIM_400000_NS6detail17trampoline_kernelINS0_14default_configENS1_36segmented_radix_sort_config_selectorIhlEEZNS1_25segmented_radix_sort_implIS3_Lb0EPKhPhPKlPlN2at6native12_GLOBAL__N_18offset_tEEE10hipError_tPvRmT1_PNSt15iterator_traitsISK_E10value_typeET2_T3_PNSL_ISQ_E10value_typeET4_jRbjT5_SW_jjP12ihipStream_tbEUlT_E2_NS1_11comp_targetILNS1_3genE5ELNS1_11target_archE942ELNS1_3gpuE9ELNS1_3repE0EEENS1_30default_config_static_selectorELNS0_4arch9wavefront6targetE1EEEvSK_,"axG",@progbits,_ZN7rocprim17ROCPRIM_400000_NS6detail17trampoline_kernelINS0_14default_configENS1_36segmented_radix_sort_config_selectorIhlEEZNS1_25segmented_radix_sort_implIS3_Lb0EPKhPhPKlPlN2at6native12_GLOBAL__N_18offset_tEEE10hipError_tPvRmT1_PNSt15iterator_traitsISK_E10value_typeET2_T3_PNSL_ISQ_E10value_typeET4_jRbjT5_SW_jjP12ihipStream_tbEUlT_E2_NS1_11comp_targetILNS1_3genE5ELNS1_11target_archE942ELNS1_3gpuE9ELNS1_3repE0EEENS1_30default_config_static_selectorELNS0_4arch9wavefront6targetE1EEEvSK_,comdat
.Lfunc_end217:
	.size	_ZN7rocprim17ROCPRIM_400000_NS6detail17trampoline_kernelINS0_14default_configENS1_36segmented_radix_sort_config_selectorIhlEEZNS1_25segmented_radix_sort_implIS3_Lb0EPKhPhPKlPlN2at6native12_GLOBAL__N_18offset_tEEE10hipError_tPvRmT1_PNSt15iterator_traitsISK_E10value_typeET2_T3_PNSL_ISQ_E10value_typeET4_jRbjT5_SW_jjP12ihipStream_tbEUlT_E2_NS1_11comp_targetILNS1_3genE5ELNS1_11target_archE942ELNS1_3gpuE9ELNS1_3repE0EEENS1_30default_config_static_selectorELNS0_4arch9wavefront6targetE1EEEvSK_, .Lfunc_end217-_ZN7rocprim17ROCPRIM_400000_NS6detail17trampoline_kernelINS0_14default_configENS1_36segmented_radix_sort_config_selectorIhlEEZNS1_25segmented_radix_sort_implIS3_Lb0EPKhPhPKlPlN2at6native12_GLOBAL__N_18offset_tEEE10hipError_tPvRmT1_PNSt15iterator_traitsISK_E10value_typeET2_T3_PNSL_ISQ_E10value_typeET4_jRbjT5_SW_jjP12ihipStream_tbEUlT_E2_NS1_11comp_targetILNS1_3genE5ELNS1_11target_archE942ELNS1_3gpuE9ELNS1_3repE0EEENS1_30default_config_static_selectorELNS0_4arch9wavefront6targetE1EEEvSK_
                                        ; -- End function
	.set _ZN7rocprim17ROCPRIM_400000_NS6detail17trampoline_kernelINS0_14default_configENS1_36segmented_radix_sort_config_selectorIhlEEZNS1_25segmented_radix_sort_implIS3_Lb0EPKhPhPKlPlN2at6native12_GLOBAL__N_18offset_tEEE10hipError_tPvRmT1_PNSt15iterator_traitsISK_E10value_typeET2_T3_PNSL_ISQ_E10value_typeET4_jRbjT5_SW_jjP12ihipStream_tbEUlT_E2_NS1_11comp_targetILNS1_3genE5ELNS1_11target_archE942ELNS1_3gpuE9ELNS1_3repE0EEENS1_30default_config_static_selectorELNS0_4arch9wavefront6targetE1EEEvSK_.num_vgpr, 0
	.set _ZN7rocprim17ROCPRIM_400000_NS6detail17trampoline_kernelINS0_14default_configENS1_36segmented_radix_sort_config_selectorIhlEEZNS1_25segmented_radix_sort_implIS3_Lb0EPKhPhPKlPlN2at6native12_GLOBAL__N_18offset_tEEE10hipError_tPvRmT1_PNSt15iterator_traitsISK_E10value_typeET2_T3_PNSL_ISQ_E10value_typeET4_jRbjT5_SW_jjP12ihipStream_tbEUlT_E2_NS1_11comp_targetILNS1_3genE5ELNS1_11target_archE942ELNS1_3gpuE9ELNS1_3repE0EEENS1_30default_config_static_selectorELNS0_4arch9wavefront6targetE1EEEvSK_.num_agpr, 0
	.set _ZN7rocprim17ROCPRIM_400000_NS6detail17trampoline_kernelINS0_14default_configENS1_36segmented_radix_sort_config_selectorIhlEEZNS1_25segmented_radix_sort_implIS3_Lb0EPKhPhPKlPlN2at6native12_GLOBAL__N_18offset_tEEE10hipError_tPvRmT1_PNSt15iterator_traitsISK_E10value_typeET2_T3_PNSL_ISQ_E10value_typeET4_jRbjT5_SW_jjP12ihipStream_tbEUlT_E2_NS1_11comp_targetILNS1_3genE5ELNS1_11target_archE942ELNS1_3gpuE9ELNS1_3repE0EEENS1_30default_config_static_selectorELNS0_4arch9wavefront6targetE1EEEvSK_.numbered_sgpr, 0
	.set _ZN7rocprim17ROCPRIM_400000_NS6detail17trampoline_kernelINS0_14default_configENS1_36segmented_radix_sort_config_selectorIhlEEZNS1_25segmented_radix_sort_implIS3_Lb0EPKhPhPKlPlN2at6native12_GLOBAL__N_18offset_tEEE10hipError_tPvRmT1_PNSt15iterator_traitsISK_E10value_typeET2_T3_PNSL_ISQ_E10value_typeET4_jRbjT5_SW_jjP12ihipStream_tbEUlT_E2_NS1_11comp_targetILNS1_3genE5ELNS1_11target_archE942ELNS1_3gpuE9ELNS1_3repE0EEENS1_30default_config_static_selectorELNS0_4arch9wavefront6targetE1EEEvSK_.num_named_barrier, 0
	.set _ZN7rocprim17ROCPRIM_400000_NS6detail17trampoline_kernelINS0_14default_configENS1_36segmented_radix_sort_config_selectorIhlEEZNS1_25segmented_radix_sort_implIS3_Lb0EPKhPhPKlPlN2at6native12_GLOBAL__N_18offset_tEEE10hipError_tPvRmT1_PNSt15iterator_traitsISK_E10value_typeET2_T3_PNSL_ISQ_E10value_typeET4_jRbjT5_SW_jjP12ihipStream_tbEUlT_E2_NS1_11comp_targetILNS1_3genE5ELNS1_11target_archE942ELNS1_3gpuE9ELNS1_3repE0EEENS1_30default_config_static_selectorELNS0_4arch9wavefront6targetE1EEEvSK_.private_seg_size, 0
	.set _ZN7rocprim17ROCPRIM_400000_NS6detail17trampoline_kernelINS0_14default_configENS1_36segmented_radix_sort_config_selectorIhlEEZNS1_25segmented_radix_sort_implIS3_Lb0EPKhPhPKlPlN2at6native12_GLOBAL__N_18offset_tEEE10hipError_tPvRmT1_PNSt15iterator_traitsISK_E10value_typeET2_T3_PNSL_ISQ_E10value_typeET4_jRbjT5_SW_jjP12ihipStream_tbEUlT_E2_NS1_11comp_targetILNS1_3genE5ELNS1_11target_archE942ELNS1_3gpuE9ELNS1_3repE0EEENS1_30default_config_static_selectorELNS0_4arch9wavefront6targetE1EEEvSK_.uses_vcc, 0
	.set _ZN7rocprim17ROCPRIM_400000_NS6detail17trampoline_kernelINS0_14default_configENS1_36segmented_radix_sort_config_selectorIhlEEZNS1_25segmented_radix_sort_implIS3_Lb0EPKhPhPKlPlN2at6native12_GLOBAL__N_18offset_tEEE10hipError_tPvRmT1_PNSt15iterator_traitsISK_E10value_typeET2_T3_PNSL_ISQ_E10value_typeET4_jRbjT5_SW_jjP12ihipStream_tbEUlT_E2_NS1_11comp_targetILNS1_3genE5ELNS1_11target_archE942ELNS1_3gpuE9ELNS1_3repE0EEENS1_30default_config_static_selectorELNS0_4arch9wavefront6targetE1EEEvSK_.uses_flat_scratch, 0
	.set _ZN7rocprim17ROCPRIM_400000_NS6detail17trampoline_kernelINS0_14default_configENS1_36segmented_radix_sort_config_selectorIhlEEZNS1_25segmented_radix_sort_implIS3_Lb0EPKhPhPKlPlN2at6native12_GLOBAL__N_18offset_tEEE10hipError_tPvRmT1_PNSt15iterator_traitsISK_E10value_typeET2_T3_PNSL_ISQ_E10value_typeET4_jRbjT5_SW_jjP12ihipStream_tbEUlT_E2_NS1_11comp_targetILNS1_3genE5ELNS1_11target_archE942ELNS1_3gpuE9ELNS1_3repE0EEENS1_30default_config_static_selectorELNS0_4arch9wavefront6targetE1EEEvSK_.has_dyn_sized_stack, 0
	.set _ZN7rocprim17ROCPRIM_400000_NS6detail17trampoline_kernelINS0_14default_configENS1_36segmented_radix_sort_config_selectorIhlEEZNS1_25segmented_radix_sort_implIS3_Lb0EPKhPhPKlPlN2at6native12_GLOBAL__N_18offset_tEEE10hipError_tPvRmT1_PNSt15iterator_traitsISK_E10value_typeET2_T3_PNSL_ISQ_E10value_typeET4_jRbjT5_SW_jjP12ihipStream_tbEUlT_E2_NS1_11comp_targetILNS1_3genE5ELNS1_11target_archE942ELNS1_3gpuE9ELNS1_3repE0EEENS1_30default_config_static_selectorELNS0_4arch9wavefront6targetE1EEEvSK_.has_recursion, 0
	.set _ZN7rocprim17ROCPRIM_400000_NS6detail17trampoline_kernelINS0_14default_configENS1_36segmented_radix_sort_config_selectorIhlEEZNS1_25segmented_radix_sort_implIS3_Lb0EPKhPhPKlPlN2at6native12_GLOBAL__N_18offset_tEEE10hipError_tPvRmT1_PNSt15iterator_traitsISK_E10value_typeET2_T3_PNSL_ISQ_E10value_typeET4_jRbjT5_SW_jjP12ihipStream_tbEUlT_E2_NS1_11comp_targetILNS1_3genE5ELNS1_11target_archE942ELNS1_3gpuE9ELNS1_3repE0EEENS1_30default_config_static_selectorELNS0_4arch9wavefront6targetE1EEEvSK_.has_indirect_call, 0
	.section	.AMDGPU.csdata,"",@progbits
; Kernel info:
; codeLenInByte = 0
; TotalNumSgprs: 4
; NumVgprs: 0
; ScratchSize: 0
; MemoryBound: 0
; FloatMode: 240
; IeeeMode: 1
; LDSByteSize: 0 bytes/workgroup (compile time only)
; SGPRBlocks: 0
; VGPRBlocks: 0
; NumSGPRsForWavesPerEU: 4
; NumVGPRsForWavesPerEU: 1
; Occupancy: 10
; WaveLimiterHint : 0
; COMPUTE_PGM_RSRC2:SCRATCH_EN: 0
; COMPUTE_PGM_RSRC2:USER_SGPR: 6
; COMPUTE_PGM_RSRC2:TRAP_HANDLER: 0
; COMPUTE_PGM_RSRC2:TGID_X_EN: 1
; COMPUTE_PGM_RSRC2:TGID_Y_EN: 0
; COMPUTE_PGM_RSRC2:TGID_Z_EN: 0
; COMPUTE_PGM_RSRC2:TIDIG_COMP_CNT: 0
	.section	.text._ZN7rocprim17ROCPRIM_400000_NS6detail17trampoline_kernelINS0_14default_configENS1_36segmented_radix_sort_config_selectorIhlEEZNS1_25segmented_radix_sort_implIS3_Lb0EPKhPhPKlPlN2at6native12_GLOBAL__N_18offset_tEEE10hipError_tPvRmT1_PNSt15iterator_traitsISK_E10value_typeET2_T3_PNSL_ISQ_E10value_typeET4_jRbjT5_SW_jjP12ihipStream_tbEUlT_E2_NS1_11comp_targetILNS1_3genE4ELNS1_11target_archE910ELNS1_3gpuE8ELNS1_3repE0EEENS1_30default_config_static_selectorELNS0_4arch9wavefront6targetE1EEEvSK_,"axG",@progbits,_ZN7rocprim17ROCPRIM_400000_NS6detail17trampoline_kernelINS0_14default_configENS1_36segmented_radix_sort_config_selectorIhlEEZNS1_25segmented_radix_sort_implIS3_Lb0EPKhPhPKlPlN2at6native12_GLOBAL__N_18offset_tEEE10hipError_tPvRmT1_PNSt15iterator_traitsISK_E10value_typeET2_T3_PNSL_ISQ_E10value_typeET4_jRbjT5_SW_jjP12ihipStream_tbEUlT_E2_NS1_11comp_targetILNS1_3genE4ELNS1_11target_archE910ELNS1_3gpuE8ELNS1_3repE0EEENS1_30default_config_static_selectorELNS0_4arch9wavefront6targetE1EEEvSK_,comdat
	.globl	_ZN7rocprim17ROCPRIM_400000_NS6detail17trampoline_kernelINS0_14default_configENS1_36segmented_radix_sort_config_selectorIhlEEZNS1_25segmented_radix_sort_implIS3_Lb0EPKhPhPKlPlN2at6native12_GLOBAL__N_18offset_tEEE10hipError_tPvRmT1_PNSt15iterator_traitsISK_E10value_typeET2_T3_PNSL_ISQ_E10value_typeET4_jRbjT5_SW_jjP12ihipStream_tbEUlT_E2_NS1_11comp_targetILNS1_3genE4ELNS1_11target_archE910ELNS1_3gpuE8ELNS1_3repE0EEENS1_30default_config_static_selectorELNS0_4arch9wavefront6targetE1EEEvSK_ ; -- Begin function _ZN7rocprim17ROCPRIM_400000_NS6detail17trampoline_kernelINS0_14default_configENS1_36segmented_radix_sort_config_selectorIhlEEZNS1_25segmented_radix_sort_implIS3_Lb0EPKhPhPKlPlN2at6native12_GLOBAL__N_18offset_tEEE10hipError_tPvRmT1_PNSt15iterator_traitsISK_E10value_typeET2_T3_PNSL_ISQ_E10value_typeET4_jRbjT5_SW_jjP12ihipStream_tbEUlT_E2_NS1_11comp_targetILNS1_3genE4ELNS1_11target_archE910ELNS1_3gpuE8ELNS1_3repE0EEENS1_30default_config_static_selectorELNS0_4arch9wavefront6targetE1EEEvSK_
	.p2align	8
	.type	_ZN7rocprim17ROCPRIM_400000_NS6detail17trampoline_kernelINS0_14default_configENS1_36segmented_radix_sort_config_selectorIhlEEZNS1_25segmented_radix_sort_implIS3_Lb0EPKhPhPKlPlN2at6native12_GLOBAL__N_18offset_tEEE10hipError_tPvRmT1_PNSt15iterator_traitsISK_E10value_typeET2_T3_PNSL_ISQ_E10value_typeET4_jRbjT5_SW_jjP12ihipStream_tbEUlT_E2_NS1_11comp_targetILNS1_3genE4ELNS1_11target_archE910ELNS1_3gpuE8ELNS1_3repE0EEENS1_30default_config_static_selectorELNS0_4arch9wavefront6targetE1EEEvSK_,@function
_ZN7rocprim17ROCPRIM_400000_NS6detail17trampoline_kernelINS0_14default_configENS1_36segmented_radix_sort_config_selectorIhlEEZNS1_25segmented_radix_sort_implIS3_Lb0EPKhPhPKlPlN2at6native12_GLOBAL__N_18offset_tEEE10hipError_tPvRmT1_PNSt15iterator_traitsISK_E10value_typeET2_T3_PNSL_ISQ_E10value_typeET4_jRbjT5_SW_jjP12ihipStream_tbEUlT_E2_NS1_11comp_targetILNS1_3genE4ELNS1_11target_archE910ELNS1_3gpuE8ELNS1_3repE0EEENS1_30default_config_static_selectorELNS0_4arch9wavefront6targetE1EEEvSK_: ; @_ZN7rocprim17ROCPRIM_400000_NS6detail17trampoline_kernelINS0_14default_configENS1_36segmented_radix_sort_config_selectorIhlEEZNS1_25segmented_radix_sort_implIS3_Lb0EPKhPhPKlPlN2at6native12_GLOBAL__N_18offset_tEEE10hipError_tPvRmT1_PNSt15iterator_traitsISK_E10value_typeET2_T3_PNSL_ISQ_E10value_typeET4_jRbjT5_SW_jjP12ihipStream_tbEUlT_E2_NS1_11comp_targetILNS1_3genE4ELNS1_11target_archE910ELNS1_3gpuE8ELNS1_3repE0EEENS1_30default_config_static_selectorELNS0_4arch9wavefront6targetE1EEEvSK_
; %bb.0:
	.section	.rodata,"a",@progbits
	.p2align	6, 0x0
	.amdhsa_kernel _ZN7rocprim17ROCPRIM_400000_NS6detail17trampoline_kernelINS0_14default_configENS1_36segmented_radix_sort_config_selectorIhlEEZNS1_25segmented_radix_sort_implIS3_Lb0EPKhPhPKlPlN2at6native12_GLOBAL__N_18offset_tEEE10hipError_tPvRmT1_PNSt15iterator_traitsISK_E10value_typeET2_T3_PNSL_ISQ_E10value_typeET4_jRbjT5_SW_jjP12ihipStream_tbEUlT_E2_NS1_11comp_targetILNS1_3genE4ELNS1_11target_archE910ELNS1_3gpuE8ELNS1_3repE0EEENS1_30default_config_static_selectorELNS0_4arch9wavefront6targetE1EEEvSK_
		.amdhsa_group_segment_fixed_size 0
		.amdhsa_private_segment_fixed_size 0
		.amdhsa_kernarg_size 80
		.amdhsa_user_sgpr_count 6
		.amdhsa_user_sgpr_private_segment_buffer 1
		.amdhsa_user_sgpr_dispatch_ptr 0
		.amdhsa_user_sgpr_queue_ptr 0
		.amdhsa_user_sgpr_kernarg_segment_ptr 1
		.amdhsa_user_sgpr_dispatch_id 0
		.amdhsa_user_sgpr_flat_scratch_init 0
		.amdhsa_user_sgpr_private_segment_size 0
		.amdhsa_uses_dynamic_stack 0
		.amdhsa_system_sgpr_private_segment_wavefront_offset 0
		.amdhsa_system_sgpr_workgroup_id_x 1
		.amdhsa_system_sgpr_workgroup_id_y 0
		.amdhsa_system_sgpr_workgroup_id_z 0
		.amdhsa_system_sgpr_workgroup_info 0
		.amdhsa_system_vgpr_workitem_id 0
		.amdhsa_next_free_vgpr 1
		.amdhsa_next_free_sgpr 0
		.amdhsa_reserve_vcc 0
		.amdhsa_reserve_flat_scratch 0
		.amdhsa_float_round_mode_32 0
		.amdhsa_float_round_mode_16_64 0
		.amdhsa_float_denorm_mode_32 3
		.amdhsa_float_denorm_mode_16_64 3
		.amdhsa_dx10_clamp 1
		.amdhsa_ieee_mode 1
		.amdhsa_fp16_overflow 0
		.amdhsa_exception_fp_ieee_invalid_op 0
		.amdhsa_exception_fp_denorm_src 0
		.amdhsa_exception_fp_ieee_div_zero 0
		.amdhsa_exception_fp_ieee_overflow 0
		.amdhsa_exception_fp_ieee_underflow 0
		.amdhsa_exception_fp_ieee_inexact 0
		.amdhsa_exception_int_div_zero 0
	.end_amdhsa_kernel
	.section	.text._ZN7rocprim17ROCPRIM_400000_NS6detail17trampoline_kernelINS0_14default_configENS1_36segmented_radix_sort_config_selectorIhlEEZNS1_25segmented_radix_sort_implIS3_Lb0EPKhPhPKlPlN2at6native12_GLOBAL__N_18offset_tEEE10hipError_tPvRmT1_PNSt15iterator_traitsISK_E10value_typeET2_T3_PNSL_ISQ_E10value_typeET4_jRbjT5_SW_jjP12ihipStream_tbEUlT_E2_NS1_11comp_targetILNS1_3genE4ELNS1_11target_archE910ELNS1_3gpuE8ELNS1_3repE0EEENS1_30default_config_static_selectorELNS0_4arch9wavefront6targetE1EEEvSK_,"axG",@progbits,_ZN7rocprim17ROCPRIM_400000_NS6detail17trampoline_kernelINS0_14default_configENS1_36segmented_radix_sort_config_selectorIhlEEZNS1_25segmented_radix_sort_implIS3_Lb0EPKhPhPKlPlN2at6native12_GLOBAL__N_18offset_tEEE10hipError_tPvRmT1_PNSt15iterator_traitsISK_E10value_typeET2_T3_PNSL_ISQ_E10value_typeET4_jRbjT5_SW_jjP12ihipStream_tbEUlT_E2_NS1_11comp_targetILNS1_3genE4ELNS1_11target_archE910ELNS1_3gpuE8ELNS1_3repE0EEENS1_30default_config_static_selectorELNS0_4arch9wavefront6targetE1EEEvSK_,comdat
.Lfunc_end218:
	.size	_ZN7rocprim17ROCPRIM_400000_NS6detail17trampoline_kernelINS0_14default_configENS1_36segmented_radix_sort_config_selectorIhlEEZNS1_25segmented_radix_sort_implIS3_Lb0EPKhPhPKlPlN2at6native12_GLOBAL__N_18offset_tEEE10hipError_tPvRmT1_PNSt15iterator_traitsISK_E10value_typeET2_T3_PNSL_ISQ_E10value_typeET4_jRbjT5_SW_jjP12ihipStream_tbEUlT_E2_NS1_11comp_targetILNS1_3genE4ELNS1_11target_archE910ELNS1_3gpuE8ELNS1_3repE0EEENS1_30default_config_static_selectorELNS0_4arch9wavefront6targetE1EEEvSK_, .Lfunc_end218-_ZN7rocprim17ROCPRIM_400000_NS6detail17trampoline_kernelINS0_14default_configENS1_36segmented_radix_sort_config_selectorIhlEEZNS1_25segmented_radix_sort_implIS3_Lb0EPKhPhPKlPlN2at6native12_GLOBAL__N_18offset_tEEE10hipError_tPvRmT1_PNSt15iterator_traitsISK_E10value_typeET2_T3_PNSL_ISQ_E10value_typeET4_jRbjT5_SW_jjP12ihipStream_tbEUlT_E2_NS1_11comp_targetILNS1_3genE4ELNS1_11target_archE910ELNS1_3gpuE8ELNS1_3repE0EEENS1_30default_config_static_selectorELNS0_4arch9wavefront6targetE1EEEvSK_
                                        ; -- End function
	.set _ZN7rocprim17ROCPRIM_400000_NS6detail17trampoline_kernelINS0_14default_configENS1_36segmented_radix_sort_config_selectorIhlEEZNS1_25segmented_radix_sort_implIS3_Lb0EPKhPhPKlPlN2at6native12_GLOBAL__N_18offset_tEEE10hipError_tPvRmT1_PNSt15iterator_traitsISK_E10value_typeET2_T3_PNSL_ISQ_E10value_typeET4_jRbjT5_SW_jjP12ihipStream_tbEUlT_E2_NS1_11comp_targetILNS1_3genE4ELNS1_11target_archE910ELNS1_3gpuE8ELNS1_3repE0EEENS1_30default_config_static_selectorELNS0_4arch9wavefront6targetE1EEEvSK_.num_vgpr, 0
	.set _ZN7rocprim17ROCPRIM_400000_NS6detail17trampoline_kernelINS0_14default_configENS1_36segmented_radix_sort_config_selectorIhlEEZNS1_25segmented_radix_sort_implIS3_Lb0EPKhPhPKlPlN2at6native12_GLOBAL__N_18offset_tEEE10hipError_tPvRmT1_PNSt15iterator_traitsISK_E10value_typeET2_T3_PNSL_ISQ_E10value_typeET4_jRbjT5_SW_jjP12ihipStream_tbEUlT_E2_NS1_11comp_targetILNS1_3genE4ELNS1_11target_archE910ELNS1_3gpuE8ELNS1_3repE0EEENS1_30default_config_static_selectorELNS0_4arch9wavefront6targetE1EEEvSK_.num_agpr, 0
	.set _ZN7rocprim17ROCPRIM_400000_NS6detail17trampoline_kernelINS0_14default_configENS1_36segmented_radix_sort_config_selectorIhlEEZNS1_25segmented_radix_sort_implIS3_Lb0EPKhPhPKlPlN2at6native12_GLOBAL__N_18offset_tEEE10hipError_tPvRmT1_PNSt15iterator_traitsISK_E10value_typeET2_T3_PNSL_ISQ_E10value_typeET4_jRbjT5_SW_jjP12ihipStream_tbEUlT_E2_NS1_11comp_targetILNS1_3genE4ELNS1_11target_archE910ELNS1_3gpuE8ELNS1_3repE0EEENS1_30default_config_static_selectorELNS0_4arch9wavefront6targetE1EEEvSK_.numbered_sgpr, 0
	.set _ZN7rocprim17ROCPRIM_400000_NS6detail17trampoline_kernelINS0_14default_configENS1_36segmented_radix_sort_config_selectorIhlEEZNS1_25segmented_radix_sort_implIS3_Lb0EPKhPhPKlPlN2at6native12_GLOBAL__N_18offset_tEEE10hipError_tPvRmT1_PNSt15iterator_traitsISK_E10value_typeET2_T3_PNSL_ISQ_E10value_typeET4_jRbjT5_SW_jjP12ihipStream_tbEUlT_E2_NS1_11comp_targetILNS1_3genE4ELNS1_11target_archE910ELNS1_3gpuE8ELNS1_3repE0EEENS1_30default_config_static_selectorELNS0_4arch9wavefront6targetE1EEEvSK_.num_named_barrier, 0
	.set _ZN7rocprim17ROCPRIM_400000_NS6detail17trampoline_kernelINS0_14default_configENS1_36segmented_radix_sort_config_selectorIhlEEZNS1_25segmented_radix_sort_implIS3_Lb0EPKhPhPKlPlN2at6native12_GLOBAL__N_18offset_tEEE10hipError_tPvRmT1_PNSt15iterator_traitsISK_E10value_typeET2_T3_PNSL_ISQ_E10value_typeET4_jRbjT5_SW_jjP12ihipStream_tbEUlT_E2_NS1_11comp_targetILNS1_3genE4ELNS1_11target_archE910ELNS1_3gpuE8ELNS1_3repE0EEENS1_30default_config_static_selectorELNS0_4arch9wavefront6targetE1EEEvSK_.private_seg_size, 0
	.set _ZN7rocprim17ROCPRIM_400000_NS6detail17trampoline_kernelINS0_14default_configENS1_36segmented_radix_sort_config_selectorIhlEEZNS1_25segmented_radix_sort_implIS3_Lb0EPKhPhPKlPlN2at6native12_GLOBAL__N_18offset_tEEE10hipError_tPvRmT1_PNSt15iterator_traitsISK_E10value_typeET2_T3_PNSL_ISQ_E10value_typeET4_jRbjT5_SW_jjP12ihipStream_tbEUlT_E2_NS1_11comp_targetILNS1_3genE4ELNS1_11target_archE910ELNS1_3gpuE8ELNS1_3repE0EEENS1_30default_config_static_selectorELNS0_4arch9wavefront6targetE1EEEvSK_.uses_vcc, 0
	.set _ZN7rocprim17ROCPRIM_400000_NS6detail17trampoline_kernelINS0_14default_configENS1_36segmented_radix_sort_config_selectorIhlEEZNS1_25segmented_radix_sort_implIS3_Lb0EPKhPhPKlPlN2at6native12_GLOBAL__N_18offset_tEEE10hipError_tPvRmT1_PNSt15iterator_traitsISK_E10value_typeET2_T3_PNSL_ISQ_E10value_typeET4_jRbjT5_SW_jjP12ihipStream_tbEUlT_E2_NS1_11comp_targetILNS1_3genE4ELNS1_11target_archE910ELNS1_3gpuE8ELNS1_3repE0EEENS1_30default_config_static_selectorELNS0_4arch9wavefront6targetE1EEEvSK_.uses_flat_scratch, 0
	.set _ZN7rocprim17ROCPRIM_400000_NS6detail17trampoline_kernelINS0_14default_configENS1_36segmented_radix_sort_config_selectorIhlEEZNS1_25segmented_radix_sort_implIS3_Lb0EPKhPhPKlPlN2at6native12_GLOBAL__N_18offset_tEEE10hipError_tPvRmT1_PNSt15iterator_traitsISK_E10value_typeET2_T3_PNSL_ISQ_E10value_typeET4_jRbjT5_SW_jjP12ihipStream_tbEUlT_E2_NS1_11comp_targetILNS1_3genE4ELNS1_11target_archE910ELNS1_3gpuE8ELNS1_3repE0EEENS1_30default_config_static_selectorELNS0_4arch9wavefront6targetE1EEEvSK_.has_dyn_sized_stack, 0
	.set _ZN7rocprim17ROCPRIM_400000_NS6detail17trampoline_kernelINS0_14default_configENS1_36segmented_radix_sort_config_selectorIhlEEZNS1_25segmented_radix_sort_implIS3_Lb0EPKhPhPKlPlN2at6native12_GLOBAL__N_18offset_tEEE10hipError_tPvRmT1_PNSt15iterator_traitsISK_E10value_typeET2_T3_PNSL_ISQ_E10value_typeET4_jRbjT5_SW_jjP12ihipStream_tbEUlT_E2_NS1_11comp_targetILNS1_3genE4ELNS1_11target_archE910ELNS1_3gpuE8ELNS1_3repE0EEENS1_30default_config_static_selectorELNS0_4arch9wavefront6targetE1EEEvSK_.has_recursion, 0
	.set _ZN7rocprim17ROCPRIM_400000_NS6detail17trampoline_kernelINS0_14default_configENS1_36segmented_radix_sort_config_selectorIhlEEZNS1_25segmented_radix_sort_implIS3_Lb0EPKhPhPKlPlN2at6native12_GLOBAL__N_18offset_tEEE10hipError_tPvRmT1_PNSt15iterator_traitsISK_E10value_typeET2_T3_PNSL_ISQ_E10value_typeET4_jRbjT5_SW_jjP12ihipStream_tbEUlT_E2_NS1_11comp_targetILNS1_3genE4ELNS1_11target_archE910ELNS1_3gpuE8ELNS1_3repE0EEENS1_30default_config_static_selectorELNS0_4arch9wavefront6targetE1EEEvSK_.has_indirect_call, 0
	.section	.AMDGPU.csdata,"",@progbits
; Kernel info:
; codeLenInByte = 0
; TotalNumSgprs: 4
; NumVgprs: 0
; ScratchSize: 0
; MemoryBound: 0
; FloatMode: 240
; IeeeMode: 1
; LDSByteSize: 0 bytes/workgroup (compile time only)
; SGPRBlocks: 0
; VGPRBlocks: 0
; NumSGPRsForWavesPerEU: 4
; NumVGPRsForWavesPerEU: 1
; Occupancy: 10
; WaveLimiterHint : 0
; COMPUTE_PGM_RSRC2:SCRATCH_EN: 0
; COMPUTE_PGM_RSRC2:USER_SGPR: 6
; COMPUTE_PGM_RSRC2:TRAP_HANDLER: 0
; COMPUTE_PGM_RSRC2:TGID_X_EN: 1
; COMPUTE_PGM_RSRC2:TGID_Y_EN: 0
; COMPUTE_PGM_RSRC2:TGID_Z_EN: 0
; COMPUTE_PGM_RSRC2:TIDIG_COMP_CNT: 0
	.section	.text._ZN7rocprim17ROCPRIM_400000_NS6detail17trampoline_kernelINS0_14default_configENS1_36segmented_radix_sort_config_selectorIhlEEZNS1_25segmented_radix_sort_implIS3_Lb0EPKhPhPKlPlN2at6native12_GLOBAL__N_18offset_tEEE10hipError_tPvRmT1_PNSt15iterator_traitsISK_E10value_typeET2_T3_PNSL_ISQ_E10value_typeET4_jRbjT5_SW_jjP12ihipStream_tbEUlT_E2_NS1_11comp_targetILNS1_3genE3ELNS1_11target_archE908ELNS1_3gpuE7ELNS1_3repE0EEENS1_30default_config_static_selectorELNS0_4arch9wavefront6targetE1EEEvSK_,"axG",@progbits,_ZN7rocprim17ROCPRIM_400000_NS6detail17trampoline_kernelINS0_14default_configENS1_36segmented_radix_sort_config_selectorIhlEEZNS1_25segmented_radix_sort_implIS3_Lb0EPKhPhPKlPlN2at6native12_GLOBAL__N_18offset_tEEE10hipError_tPvRmT1_PNSt15iterator_traitsISK_E10value_typeET2_T3_PNSL_ISQ_E10value_typeET4_jRbjT5_SW_jjP12ihipStream_tbEUlT_E2_NS1_11comp_targetILNS1_3genE3ELNS1_11target_archE908ELNS1_3gpuE7ELNS1_3repE0EEENS1_30default_config_static_selectorELNS0_4arch9wavefront6targetE1EEEvSK_,comdat
	.globl	_ZN7rocprim17ROCPRIM_400000_NS6detail17trampoline_kernelINS0_14default_configENS1_36segmented_radix_sort_config_selectorIhlEEZNS1_25segmented_radix_sort_implIS3_Lb0EPKhPhPKlPlN2at6native12_GLOBAL__N_18offset_tEEE10hipError_tPvRmT1_PNSt15iterator_traitsISK_E10value_typeET2_T3_PNSL_ISQ_E10value_typeET4_jRbjT5_SW_jjP12ihipStream_tbEUlT_E2_NS1_11comp_targetILNS1_3genE3ELNS1_11target_archE908ELNS1_3gpuE7ELNS1_3repE0EEENS1_30default_config_static_selectorELNS0_4arch9wavefront6targetE1EEEvSK_ ; -- Begin function _ZN7rocprim17ROCPRIM_400000_NS6detail17trampoline_kernelINS0_14default_configENS1_36segmented_radix_sort_config_selectorIhlEEZNS1_25segmented_radix_sort_implIS3_Lb0EPKhPhPKlPlN2at6native12_GLOBAL__N_18offset_tEEE10hipError_tPvRmT1_PNSt15iterator_traitsISK_E10value_typeET2_T3_PNSL_ISQ_E10value_typeET4_jRbjT5_SW_jjP12ihipStream_tbEUlT_E2_NS1_11comp_targetILNS1_3genE3ELNS1_11target_archE908ELNS1_3gpuE7ELNS1_3repE0EEENS1_30default_config_static_selectorELNS0_4arch9wavefront6targetE1EEEvSK_
	.p2align	8
	.type	_ZN7rocprim17ROCPRIM_400000_NS6detail17trampoline_kernelINS0_14default_configENS1_36segmented_radix_sort_config_selectorIhlEEZNS1_25segmented_radix_sort_implIS3_Lb0EPKhPhPKlPlN2at6native12_GLOBAL__N_18offset_tEEE10hipError_tPvRmT1_PNSt15iterator_traitsISK_E10value_typeET2_T3_PNSL_ISQ_E10value_typeET4_jRbjT5_SW_jjP12ihipStream_tbEUlT_E2_NS1_11comp_targetILNS1_3genE3ELNS1_11target_archE908ELNS1_3gpuE7ELNS1_3repE0EEENS1_30default_config_static_selectorELNS0_4arch9wavefront6targetE1EEEvSK_,@function
_ZN7rocprim17ROCPRIM_400000_NS6detail17trampoline_kernelINS0_14default_configENS1_36segmented_radix_sort_config_selectorIhlEEZNS1_25segmented_radix_sort_implIS3_Lb0EPKhPhPKlPlN2at6native12_GLOBAL__N_18offset_tEEE10hipError_tPvRmT1_PNSt15iterator_traitsISK_E10value_typeET2_T3_PNSL_ISQ_E10value_typeET4_jRbjT5_SW_jjP12ihipStream_tbEUlT_E2_NS1_11comp_targetILNS1_3genE3ELNS1_11target_archE908ELNS1_3gpuE7ELNS1_3repE0EEENS1_30default_config_static_selectorELNS0_4arch9wavefront6targetE1EEEvSK_: ; @_ZN7rocprim17ROCPRIM_400000_NS6detail17trampoline_kernelINS0_14default_configENS1_36segmented_radix_sort_config_selectorIhlEEZNS1_25segmented_radix_sort_implIS3_Lb0EPKhPhPKlPlN2at6native12_GLOBAL__N_18offset_tEEE10hipError_tPvRmT1_PNSt15iterator_traitsISK_E10value_typeET2_T3_PNSL_ISQ_E10value_typeET4_jRbjT5_SW_jjP12ihipStream_tbEUlT_E2_NS1_11comp_targetILNS1_3genE3ELNS1_11target_archE908ELNS1_3gpuE7ELNS1_3repE0EEENS1_30default_config_static_selectorELNS0_4arch9wavefront6targetE1EEEvSK_
; %bb.0:
	.section	.rodata,"a",@progbits
	.p2align	6, 0x0
	.amdhsa_kernel _ZN7rocprim17ROCPRIM_400000_NS6detail17trampoline_kernelINS0_14default_configENS1_36segmented_radix_sort_config_selectorIhlEEZNS1_25segmented_radix_sort_implIS3_Lb0EPKhPhPKlPlN2at6native12_GLOBAL__N_18offset_tEEE10hipError_tPvRmT1_PNSt15iterator_traitsISK_E10value_typeET2_T3_PNSL_ISQ_E10value_typeET4_jRbjT5_SW_jjP12ihipStream_tbEUlT_E2_NS1_11comp_targetILNS1_3genE3ELNS1_11target_archE908ELNS1_3gpuE7ELNS1_3repE0EEENS1_30default_config_static_selectorELNS0_4arch9wavefront6targetE1EEEvSK_
		.amdhsa_group_segment_fixed_size 0
		.amdhsa_private_segment_fixed_size 0
		.amdhsa_kernarg_size 80
		.amdhsa_user_sgpr_count 6
		.amdhsa_user_sgpr_private_segment_buffer 1
		.amdhsa_user_sgpr_dispatch_ptr 0
		.amdhsa_user_sgpr_queue_ptr 0
		.amdhsa_user_sgpr_kernarg_segment_ptr 1
		.amdhsa_user_sgpr_dispatch_id 0
		.amdhsa_user_sgpr_flat_scratch_init 0
		.amdhsa_user_sgpr_private_segment_size 0
		.amdhsa_uses_dynamic_stack 0
		.amdhsa_system_sgpr_private_segment_wavefront_offset 0
		.amdhsa_system_sgpr_workgroup_id_x 1
		.amdhsa_system_sgpr_workgroup_id_y 0
		.amdhsa_system_sgpr_workgroup_id_z 0
		.amdhsa_system_sgpr_workgroup_info 0
		.amdhsa_system_vgpr_workitem_id 0
		.amdhsa_next_free_vgpr 1
		.amdhsa_next_free_sgpr 0
		.amdhsa_reserve_vcc 0
		.amdhsa_reserve_flat_scratch 0
		.amdhsa_float_round_mode_32 0
		.amdhsa_float_round_mode_16_64 0
		.amdhsa_float_denorm_mode_32 3
		.amdhsa_float_denorm_mode_16_64 3
		.amdhsa_dx10_clamp 1
		.amdhsa_ieee_mode 1
		.amdhsa_fp16_overflow 0
		.amdhsa_exception_fp_ieee_invalid_op 0
		.amdhsa_exception_fp_denorm_src 0
		.amdhsa_exception_fp_ieee_div_zero 0
		.amdhsa_exception_fp_ieee_overflow 0
		.amdhsa_exception_fp_ieee_underflow 0
		.amdhsa_exception_fp_ieee_inexact 0
		.amdhsa_exception_int_div_zero 0
	.end_amdhsa_kernel
	.section	.text._ZN7rocprim17ROCPRIM_400000_NS6detail17trampoline_kernelINS0_14default_configENS1_36segmented_radix_sort_config_selectorIhlEEZNS1_25segmented_radix_sort_implIS3_Lb0EPKhPhPKlPlN2at6native12_GLOBAL__N_18offset_tEEE10hipError_tPvRmT1_PNSt15iterator_traitsISK_E10value_typeET2_T3_PNSL_ISQ_E10value_typeET4_jRbjT5_SW_jjP12ihipStream_tbEUlT_E2_NS1_11comp_targetILNS1_3genE3ELNS1_11target_archE908ELNS1_3gpuE7ELNS1_3repE0EEENS1_30default_config_static_selectorELNS0_4arch9wavefront6targetE1EEEvSK_,"axG",@progbits,_ZN7rocprim17ROCPRIM_400000_NS6detail17trampoline_kernelINS0_14default_configENS1_36segmented_radix_sort_config_selectorIhlEEZNS1_25segmented_radix_sort_implIS3_Lb0EPKhPhPKlPlN2at6native12_GLOBAL__N_18offset_tEEE10hipError_tPvRmT1_PNSt15iterator_traitsISK_E10value_typeET2_T3_PNSL_ISQ_E10value_typeET4_jRbjT5_SW_jjP12ihipStream_tbEUlT_E2_NS1_11comp_targetILNS1_3genE3ELNS1_11target_archE908ELNS1_3gpuE7ELNS1_3repE0EEENS1_30default_config_static_selectorELNS0_4arch9wavefront6targetE1EEEvSK_,comdat
.Lfunc_end219:
	.size	_ZN7rocprim17ROCPRIM_400000_NS6detail17trampoline_kernelINS0_14default_configENS1_36segmented_radix_sort_config_selectorIhlEEZNS1_25segmented_radix_sort_implIS3_Lb0EPKhPhPKlPlN2at6native12_GLOBAL__N_18offset_tEEE10hipError_tPvRmT1_PNSt15iterator_traitsISK_E10value_typeET2_T3_PNSL_ISQ_E10value_typeET4_jRbjT5_SW_jjP12ihipStream_tbEUlT_E2_NS1_11comp_targetILNS1_3genE3ELNS1_11target_archE908ELNS1_3gpuE7ELNS1_3repE0EEENS1_30default_config_static_selectorELNS0_4arch9wavefront6targetE1EEEvSK_, .Lfunc_end219-_ZN7rocprim17ROCPRIM_400000_NS6detail17trampoline_kernelINS0_14default_configENS1_36segmented_radix_sort_config_selectorIhlEEZNS1_25segmented_radix_sort_implIS3_Lb0EPKhPhPKlPlN2at6native12_GLOBAL__N_18offset_tEEE10hipError_tPvRmT1_PNSt15iterator_traitsISK_E10value_typeET2_T3_PNSL_ISQ_E10value_typeET4_jRbjT5_SW_jjP12ihipStream_tbEUlT_E2_NS1_11comp_targetILNS1_3genE3ELNS1_11target_archE908ELNS1_3gpuE7ELNS1_3repE0EEENS1_30default_config_static_selectorELNS0_4arch9wavefront6targetE1EEEvSK_
                                        ; -- End function
	.set _ZN7rocprim17ROCPRIM_400000_NS6detail17trampoline_kernelINS0_14default_configENS1_36segmented_radix_sort_config_selectorIhlEEZNS1_25segmented_radix_sort_implIS3_Lb0EPKhPhPKlPlN2at6native12_GLOBAL__N_18offset_tEEE10hipError_tPvRmT1_PNSt15iterator_traitsISK_E10value_typeET2_T3_PNSL_ISQ_E10value_typeET4_jRbjT5_SW_jjP12ihipStream_tbEUlT_E2_NS1_11comp_targetILNS1_3genE3ELNS1_11target_archE908ELNS1_3gpuE7ELNS1_3repE0EEENS1_30default_config_static_selectorELNS0_4arch9wavefront6targetE1EEEvSK_.num_vgpr, 0
	.set _ZN7rocprim17ROCPRIM_400000_NS6detail17trampoline_kernelINS0_14default_configENS1_36segmented_radix_sort_config_selectorIhlEEZNS1_25segmented_radix_sort_implIS3_Lb0EPKhPhPKlPlN2at6native12_GLOBAL__N_18offset_tEEE10hipError_tPvRmT1_PNSt15iterator_traitsISK_E10value_typeET2_T3_PNSL_ISQ_E10value_typeET4_jRbjT5_SW_jjP12ihipStream_tbEUlT_E2_NS1_11comp_targetILNS1_3genE3ELNS1_11target_archE908ELNS1_3gpuE7ELNS1_3repE0EEENS1_30default_config_static_selectorELNS0_4arch9wavefront6targetE1EEEvSK_.num_agpr, 0
	.set _ZN7rocprim17ROCPRIM_400000_NS6detail17trampoline_kernelINS0_14default_configENS1_36segmented_radix_sort_config_selectorIhlEEZNS1_25segmented_radix_sort_implIS3_Lb0EPKhPhPKlPlN2at6native12_GLOBAL__N_18offset_tEEE10hipError_tPvRmT1_PNSt15iterator_traitsISK_E10value_typeET2_T3_PNSL_ISQ_E10value_typeET4_jRbjT5_SW_jjP12ihipStream_tbEUlT_E2_NS1_11comp_targetILNS1_3genE3ELNS1_11target_archE908ELNS1_3gpuE7ELNS1_3repE0EEENS1_30default_config_static_selectorELNS0_4arch9wavefront6targetE1EEEvSK_.numbered_sgpr, 0
	.set _ZN7rocprim17ROCPRIM_400000_NS6detail17trampoline_kernelINS0_14default_configENS1_36segmented_radix_sort_config_selectorIhlEEZNS1_25segmented_radix_sort_implIS3_Lb0EPKhPhPKlPlN2at6native12_GLOBAL__N_18offset_tEEE10hipError_tPvRmT1_PNSt15iterator_traitsISK_E10value_typeET2_T3_PNSL_ISQ_E10value_typeET4_jRbjT5_SW_jjP12ihipStream_tbEUlT_E2_NS1_11comp_targetILNS1_3genE3ELNS1_11target_archE908ELNS1_3gpuE7ELNS1_3repE0EEENS1_30default_config_static_selectorELNS0_4arch9wavefront6targetE1EEEvSK_.num_named_barrier, 0
	.set _ZN7rocprim17ROCPRIM_400000_NS6detail17trampoline_kernelINS0_14default_configENS1_36segmented_radix_sort_config_selectorIhlEEZNS1_25segmented_radix_sort_implIS3_Lb0EPKhPhPKlPlN2at6native12_GLOBAL__N_18offset_tEEE10hipError_tPvRmT1_PNSt15iterator_traitsISK_E10value_typeET2_T3_PNSL_ISQ_E10value_typeET4_jRbjT5_SW_jjP12ihipStream_tbEUlT_E2_NS1_11comp_targetILNS1_3genE3ELNS1_11target_archE908ELNS1_3gpuE7ELNS1_3repE0EEENS1_30default_config_static_selectorELNS0_4arch9wavefront6targetE1EEEvSK_.private_seg_size, 0
	.set _ZN7rocprim17ROCPRIM_400000_NS6detail17trampoline_kernelINS0_14default_configENS1_36segmented_radix_sort_config_selectorIhlEEZNS1_25segmented_radix_sort_implIS3_Lb0EPKhPhPKlPlN2at6native12_GLOBAL__N_18offset_tEEE10hipError_tPvRmT1_PNSt15iterator_traitsISK_E10value_typeET2_T3_PNSL_ISQ_E10value_typeET4_jRbjT5_SW_jjP12ihipStream_tbEUlT_E2_NS1_11comp_targetILNS1_3genE3ELNS1_11target_archE908ELNS1_3gpuE7ELNS1_3repE0EEENS1_30default_config_static_selectorELNS0_4arch9wavefront6targetE1EEEvSK_.uses_vcc, 0
	.set _ZN7rocprim17ROCPRIM_400000_NS6detail17trampoline_kernelINS0_14default_configENS1_36segmented_radix_sort_config_selectorIhlEEZNS1_25segmented_radix_sort_implIS3_Lb0EPKhPhPKlPlN2at6native12_GLOBAL__N_18offset_tEEE10hipError_tPvRmT1_PNSt15iterator_traitsISK_E10value_typeET2_T3_PNSL_ISQ_E10value_typeET4_jRbjT5_SW_jjP12ihipStream_tbEUlT_E2_NS1_11comp_targetILNS1_3genE3ELNS1_11target_archE908ELNS1_3gpuE7ELNS1_3repE0EEENS1_30default_config_static_selectorELNS0_4arch9wavefront6targetE1EEEvSK_.uses_flat_scratch, 0
	.set _ZN7rocprim17ROCPRIM_400000_NS6detail17trampoline_kernelINS0_14default_configENS1_36segmented_radix_sort_config_selectorIhlEEZNS1_25segmented_radix_sort_implIS3_Lb0EPKhPhPKlPlN2at6native12_GLOBAL__N_18offset_tEEE10hipError_tPvRmT1_PNSt15iterator_traitsISK_E10value_typeET2_T3_PNSL_ISQ_E10value_typeET4_jRbjT5_SW_jjP12ihipStream_tbEUlT_E2_NS1_11comp_targetILNS1_3genE3ELNS1_11target_archE908ELNS1_3gpuE7ELNS1_3repE0EEENS1_30default_config_static_selectorELNS0_4arch9wavefront6targetE1EEEvSK_.has_dyn_sized_stack, 0
	.set _ZN7rocprim17ROCPRIM_400000_NS6detail17trampoline_kernelINS0_14default_configENS1_36segmented_radix_sort_config_selectorIhlEEZNS1_25segmented_radix_sort_implIS3_Lb0EPKhPhPKlPlN2at6native12_GLOBAL__N_18offset_tEEE10hipError_tPvRmT1_PNSt15iterator_traitsISK_E10value_typeET2_T3_PNSL_ISQ_E10value_typeET4_jRbjT5_SW_jjP12ihipStream_tbEUlT_E2_NS1_11comp_targetILNS1_3genE3ELNS1_11target_archE908ELNS1_3gpuE7ELNS1_3repE0EEENS1_30default_config_static_selectorELNS0_4arch9wavefront6targetE1EEEvSK_.has_recursion, 0
	.set _ZN7rocprim17ROCPRIM_400000_NS6detail17trampoline_kernelINS0_14default_configENS1_36segmented_radix_sort_config_selectorIhlEEZNS1_25segmented_radix_sort_implIS3_Lb0EPKhPhPKlPlN2at6native12_GLOBAL__N_18offset_tEEE10hipError_tPvRmT1_PNSt15iterator_traitsISK_E10value_typeET2_T3_PNSL_ISQ_E10value_typeET4_jRbjT5_SW_jjP12ihipStream_tbEUlT_E2_NS1_11comp_targetILNS1_3genE3ELNS1_11target_archE908ELNS1_3gpuE7ELNS1_3repE0EEENS1_30default_config_static_selectorELNS0_4arch9wavefront6targetE1EEEvSK_.has_indirect_call, 0
	.section	.AMDGPU.csdata,"",@progbits
; Kernel info:
; codeLenInByte = 0
; TotalNumSgprs: 4
; NumVgprs: 0
; ScratchSize: 0
; MemoryBound: 0
; FloatMode: 240
; IeeeMode: 1
; LDSByteSize: 0 bytes/workgroup (compile time only)
; SGPRBlocks: 0
; VGPRBlocks: 0
; NumSGPRsForWavesPerEU: 4
; NumVGPRsForWavesPerEU: 1
; Occupancy: 10
; WaveLimiterHint : 0
; COMPUTE_PGM_RSRC2:SCRATCH_EN: 0
; COMPUTE_PGM_RSRC2:USER_SGPR: 6
; COMPUTE_PGM_RSRC2:TRAP_HANDLER: 0
; COMPUTE_PGM_RSRC2:TGID_X_EN: 1
; COMPUTE_PGM_RSRC2:TGID_Y_EN: 0
; COMPUTE_PGM_RSRC2:TGID_Z_EN: 0
; COMPUTE_PGM_RSRC2:TIDIG_COMP_CNT: 0
	.section	.text._ZN7rocprim17ROCPRIM_400000_NS6detail17trampoline_kernelINS0_14default_configENS1_36segmented_radix_sort_config_selectorIhlEEZNS1_25segmented_radix_sort_implIS3_Lb0EPKhPhPKlPlN2at6native12_GLOBAL__N_18offset_tEEE10hipError_tPvRmT1_PNSt15iterator_traitsISK_E10value_typeET2_T3_PNSL_ISQ_E10value_typeET4_jRbjT5_SW_jjP12ihipStream_tbEUlT_E2_NS1_11comp_targetILNS1_3genE2ELNS1_11target_archE906ELNS1_3gpuE6ELNS1_3repE0EEENS1_30default_config_static_selectorELNS0_4arch9wavefront6targetE1EEEvSK_,"axG",@progbits,_ZN7rocprim17ROCPRIM_400000_NS6detail17trampoline_kernelINS0_14default_configENS1_36segmented_radix_sort_config_selectorIhlEEZNS1_25segmented_radix_sort_implIS3_Lb0EPKhPhPKlPlN2at6native12_GLOBAL__N_18offset_tEEE10hipError_tPvRmT1_PNSt15iterator_traitsISK_E10value_typeET2_T3_PNSL_ISQ_E10value_typeET4_jRbjT5_SW_jjP12ihipStream_tbEUlT_E2_NS1_11comp_targetILNS1_3genE2ELNS1_11target_archE906ELNS1_3gpuE6ELNS1_3repE0EEENS1_30default_config_static_selectorELNS0_4arch9wavefront6targetE1EEEvSK_,comdat
	.globl	_ZN7rocprim17ROCPRIM_400000_NS6detail17trampoline_kernelINS0_14default_configENS1_36segmented_radix_sort_config_selectorIhlEEZNS1_25segmented_radix_sort_implIS3_Lb0EPKhPhPKlPlN2at6native12_GLOBAL__N_18offset_tEEE10hipError_tPvRmT1_PNSt15iterator_traitsISK_E10value_typeET2_T3_PNSL_ISQ_E10value_typeET4_jRbjT5_SW_jjP12ihipStream_tbEUlT_E2_NS1_11comp_targetILNS1_3genE2ELNS1_11target_archE906ELNS1_3gpuE6ELNS1_3repE0EEENS1_30default_config_static_selectorELNS0_4arch9wavefront6targetE1EEEvSK_ ; -- Begin function _ZN7rocprim17ROCPRIM_400000_NS6detail17trampoline_kernelINS0_14default_configENS1_36segmented_radix_sort_config_selectorIhlEEZNS1_25segmented_radix_sort_implIS3_Lb0EPKhPhPKlPlN2at6native12_GLOBAL__N_18offset_tEEE10hipError_tPvRmT1_PNSt15iterator_traitsISK_E10value_typeET2_T3_PNSL_ISQ_E10value_typeET4_jRbjT5_SW_jjP12ihipStream_tbEUlT_E2_NS1_11comp_targetILNS1_3genE2ELNS1_11target_archE906ELNS1_3gpuE6ELNS1_3repE0EEENS1_30default_config_static_selectorELNS0_4arch9wavefront6targetE1EEEvSK_
	.p2align	8
	.type	_ZN7rocprim17ROCPRIM_400000_NS6detail17trampoline_kernelINS0_14default_configENS1_36segmented_radix_sort_config_selectorIhlEEZNS1_25segmented_radix_sort_implIS3_Lb0EPKhPhPKlPlN2at6native12_GLOBAL__N_18offset_tEEE10hipError_tPvRmT1_PNSt15iterator_traitsISK_E10value_typeET2_T3_PNSL_ISQ_E10value_typeET4_jRbjT5_SW_jjP12ihipStream_tbEUlT_E2_NS1_11comp_targetILNS1_3genE2ELNS1_11target_archE906ELNS1_3gpuE6ELNS1_3repE0EEENS1_30default_config_static_selectorELNS0_4arch9wavefront6targetE1EEEvSK_,@function
_ZN7rocprim17ROCPRIM_400000_NS6detail17trampoline_kernelINS0_14default_configENS1_36segmented_radix_sort_config_selectorIhlEEZNS1_25segmented_radix_sort_implIS3_Lb0EPKhPhPKlPlN2at6native12_GLOBAL__N_18offset_tEEE10hipError_tPvRmT1_PNSt15iterator_traitsISK_E10value_typeET2_T3_PNSL_ISQ_E10value_typeET4_jRbjT5_SW_jjP12ihipStream_tbEUlT_E2_NS1_11comp_targetILNS1_3genE2ELNS1_11target_archE906ELNS1_3gpuE6ELNS1_3repE0EEENS1_30default_config_static_selectorELNS0_4arch9wavefront6targetE1EEEvSK_: ; @_ZN7rocprim17ROCPRIM_400000_NS6detail17trampoline_kernelINS0_14default_configENS1_36segmented_radix_sort_config_selectorIhlEEZNS1_25segmented_radix_sort_implIS3_Lb0EPKhPhPKlPlN2at6native12_GLOBAL__N_18offset_tEEE10hipError_tPvRmT1_PNSt15iterator_traitsISK_E10value_typeET2_T3_PNSL_ISQ_E10value_typeET4_jRbjT5_SW_jjP12ihipStream_tbEUlT_E2_NS1_11comp_targetILNS1_3genE2ELNS1_11target_archE906ELNS1_3gpuE6ELNS1_3repE0EEENS1_30default_config_static_selectorELNS0_4arch9wavefront6targetE1EEEvSK_
; %bb.0:
	s_add_u32 s0, s0, s8
	s_load_dwordx4 s[8:11], s[4:5], 0x34
	s_addc_u32 s1, s1, 0
	s_mov_b32 s32, 0
	s_waitcnt lgkmcnt(0)
	s_add_i32 s49, s9, s6
	s_add_i32 s63, s11, s6
	s_mul_i32 s49, s49, s8
	s_mul_i32 s63, s63, s10
	s_cmp_le_u32 s63, s49
	s_cbranch_scc1 .LBB220_422
; %bb.1:
	s_mov_b32 s48, s6
	s_load_dword s6, s[4:5], 0x30
	s_load_dwordx4 s[52:55], s[4:5], 0x20
	s_load_dwordx4 s[72:75], s[4:5], 0x44
	s_load_dwordx8 s[64:71], s[4:5], 0x0
	s_mov_b32 s33, s7
	s_waitcnt lgkmcnt(0)
	s_bitcmp1_b32 s6, 0
	s_cselect_b64 s[50:51], -1, 0
	s_sub_i32 s75, s63, s49
	s_cmpk_lt_u32 s75, 0x401
	s_mov_b64 s[6:7], -1
	s_cbranch_scc0 .LBB220_15
; %bb.2:
	s_cmp_lt_u32 s75, 33
	s_cbranch_scc0 .LBB220_9
; %bb.3:
	s_load_dword s6, s[4:5], 0x5c
	s_waitcnt lgkmcnt(0)
	s_lshr_b32 s7, s6, 16
	s_and_b32 s6, s6, 0xffff
	v_mad_u32_u24 v3, v2, s7, v1
	v_mad_u64_u32 v[3:4], s[6:7], v3, s6, v[0:1]
	v_cmp_gt_u32_e32 vcc, 8, v3
	s_and_saveexec_b64 s[34:35], vcc
	s_cbranch_execz .LBB220_8
; %bb.4:
	s_and_b32 s6, s72, 1
	v_cndmask_b32_e64 v3, 0, 1, s[50:51]
	v_cmp_ne_u32_e32 vcc, s6, v3
	s_mov_b64 s[6:7], -1
	s_cbranch_vccnz .LBB220_6
; %bb.5:
	s_add_u32 s8, s4, 0x50
	s_mov_b64 s[6:7], src_shared_base
	s_addc_u32 s9, s5, 0
	v_lshlrev_b32_e32 v3, 20, v2
	v_lshlrev_b32_e32 v4, 10, v1
	s_getpc_b64 s[10:11]
	s_add_u32 s10, s10, _ZN7rocprim17ROCPRIM_400000_NS6detail26segmented_warp_sort_helperINS1_20WarpSortHelperConfigILj8ELj4ELj256EEEhlLi256ELb0EvE4sortIPKhPhPKlPlEEvT_T0_T1_T2_jjjjRNS5_12storage_typeE@rel32@lo+4
	s_addc_u32 s11, s11, _ZN7rocprim17ROCPRIM_400000_NS6detail26segmented_warp_sort_helperINS1_20WarpSortHelperConfigILj8ELj4ELj256EEEhlLi256ELb0EvE4sortIPKhPhPKlPlEEvT_T0_T1_T2_jjjjRNS5_12storage_typeE@rel32@hi+12
	v_or3_b32 v31, v0, v4, v3
	s_mov_b32 s12, s48
	s_mov_b32 s13, s33
	v_mov_b32_e32 v40, v0
	v_mov_b32_e32 v0, s64
	;; [unrolled: 1-line block ×17, first 2 shown]
	s_mov_b64 s[36:37], s[4:5]
	s_swappc_b64 s[30:31], s[10:11]
	v_mov_b32_e32 v1, v41
	v_mov_b32_e32 v2, v42
	;; [unrolled: 1-line block ×3, first 2 shown]
	s_mov_b64 s[4:5], s[36:37]
	s_mov_b64 s[6:7], 0
.LBB220_6:
	s_andn2_b64 vcc, exec, s[6:7]
	s_cbranch_vccnz .LBB220_8
; %bb.7:
	s_add_u32 s8, s4, 0x50
	s_mov_b64 s[6:7], src_shared_base
	s_addc_u32 s9, s5, 0
	v_lshlrev_b32_e32 v3, 20, v2
	v_lshlrev_b32_e32 v4, 10, v1
	s_getpc_b64 s[10:11]
	s_add_u32 s10, s10, _ZN7rocprim17ROCPRIM_400000_NS6detail26segmented_warp_sort_helperINS1_20WarpSortHelperConfigILj8ELj4ELj256EEEhlLi256ELb0EvE4sortIPKhPhPKlPlEEvT_T0_T1_T2_jjjjRNS5_12storage_typeE@rel32@lo+4
	s_addc_u32 s11, s11, _ZN7rocprim17ROCPRIM_400000_NS6detail26segmented_warp_sort_helperINS1_20WarpSortHelperConfigILj8ELj4ELj256EEEhlLi256ELb0EvE4sortIPKhPhPKlPlEEvT_T0_T1_T2_jjjjRNS5_12storage_typeE@rel32@hi+12
	v_or3_b32 v31, v0, v4, v3
	s_mov_b32 s12, s48
	s_mov_b32 s13, s33
	v_mov_b32_e32 v40, v0
	v_mov_b32_e32 v0, s64
	;; [unrolled: 1-line block ×17, first 2 shown]
	s_mov_b64 s[36:37], s[4:5]
	s_swappc_b64 s[30:31], s[10:11]
	v_mov_b32_e32 v1, v41
	v_mov_b32_e32 v2, v42
	;; [unrolled: 1-line block ×3, first 2 shown]
	s_mov_b64 s[4:5], s[36:37]
.LBB220_8:
	s_or_b64 exec, exec, s[34:35]
	s_mov_b64 s[6:7], 0
.LBB220_9:
	s_andn2_b64 vcc, exec, s[6:7]
	s_cbranch_vccnz .LBB220_14
; %bb.10:
	s_and_b32 s6, s72, 1
	v_cndmask_b32_e64 v3, 0, 1, s[50:51]
	v_cmp_ne_u32_e32 vcc, s6, v3
	s_mov_b64 s[6:7], -1
	v_lshlrev_b32_e32 v41, 20, v2
	v_lshlrev_b32_e32 v42, 10, v1
	s_cbranch_vccnz .LBB220_12
; %bb.11:
	s_add_u32 s8, s4, 0x50
	s_mov_b64 s[6:7], src_shared_base
	s_addc_u32 s9, s5, 0
	s_getpc_b64 s[10:11]
	s_add_u32 s10, s10, _ZN7rocprim17ROCPRIM_400000_NS6detail40segmented_radix_sort_single_block_helperIhlLj256ELj4ELb0EE4sortIPKhPhPKlPlEEbT_T0_T1_T2_jjjjRNS3_12storage_typeE@rel32@lo+4
	s_addc_u32 s11, s11, _ZN7rocprim17ROCPRIM_400000_NS6detail40segmented_radix_sort_single_block_helperIhlLj256ELj4ELb0EE4sortIPKhPhPKlPlEEbT_T0_T1_T2_jjjjRNS3_12storage_typeE@rel32@hi+12
	v_or3_b32 v31, v0, v42, v41
	s_mov_b32 s12, s48
	s_mov_b32 s13, s33
	v_mov_b32_e32 v40, v0
	v_mov_b32_e32 v0, s64
	;; [unrolled: 1-line block ×17, first 2 shown]
	s_mov_b64 s[34:35], s[4:5]
	s_swappc_b64 s[30:31], s[10:11]
	v_mov_b32_e32 v1, v43
	v_mov_b32_e32 v2, v44
	;; [unrolled: 1-line block ×3, first 2 shown]
	s_mov_b64 s[4:5], s[34:35]
	s_mov_b64 s[6:7], 0
.LBB220_12:
	s_andn2_b64 vcc, exec, s[6:7]
	s_cbranch_vccnz .LBB220_14
; %bb.13:
	s_add_u32 s8, s4, 0x50
	s_mov_b64 s[6:7], src_shared_base
	s_addc_u32 s9, s5, 0
	s_getpc_b64 s[10:11]
	s_add_u32 s10, s10, _ZN7rocprim17ROCPRIM_400000_NS6detail40segmented_radix_sort_single_block_helperIhlLj256ELj4ELb0EE4sortIPKhPhPKlPlEEbT_T0_T1_T2_jjjjRNS3_12storage_typeE@rel32@lo+4
	s_addc_u32 s11, s11, _ZN7rocprim17ROCPRIM_400000_NS6detail40segmented_radix_sort_single_block_helperIhlLj256ELj4ELb0EE4sortIPKhPhPKlPlEEbT_T0_T1_T2_jjjjRNS3_12storage_typeE@rel32@hi+12
	v_or3_b32 v31, v0, v42, v41
	s_mov_b32 s12, s48
	s_mov_b32 s13, s33
	v_mov_b32_e32 v40, v0
	v_mov_b32_e32 v0, s64
	;; [unrolled: 1-line block ×17, first 2 shown]
	s_mov_b64 s[34:35], s[4:5]
	s_swappc_b64 s[30:31], s[10:11]
	v_mov_b32_e32 v1, v41
	v_mov_b32_e32 v2, v42
	;; [unrolled: 1-line block ×3, first 2 shown]
	s_mov_b64 s[4:5], s[34:35]
.LBB220_14:
	s_mov_b64 s[6:7], 0
.LBB220_15:
	s_andn2_b64 vcc, exec, s[6:7]
	s_cbranch_vccnz .LBB220_422
; %bb.16:
	s_cmp_ge_u32 s73, s74
	s_cbranch_scc1 .LBB220_422
; %bb.17:
	v_and_b32_e32 v3, 3, v0
	s_movk_i32 s6, 0x100
	v_lshlrev_b32_e32 v24, 2, v3
	v_or_b32_e32 v3, 63, v0
	v_lshlrev_b32_e32 v18, 2, v0
	v_mov_b32_e32 v4, s69
	v_add_co_u32_e32 v22, vcc, s68, v0
	s_mov_b64 s[12:13], s[4:5]
	v_cmp_gt_u32_e64 s[4:5], s6, v0
	v_cmp_eq_u32_e64 s[6:7], v0, v3
	v_lshrrev_b32_e32 v3, 4, v0
	v_addc_co_u32_e32 v23, vcc, 0, v4, vcc
	v_and_b32_e32 v26, 12, v3
	v_and_b32_e32 v3, 0x300, v18
	v_lshlrev_b32_e32 v4, 4, v0
	v_sub_u32_e32 v28, 0, v4
	v_lshlrev_b32_e32 v4, 3, v3
	v_mov_b32_e32 v5, s55
	v_add_co_u32_e32 v29, vcc, s54, v4
	v_addc_co_u32_e32 v30, vcc, 0, v5, vcc
	v_mov_b32_e32 v5, s69
	v_add_co_u32_e32 v31, vcc, s68, v3
	v_addc_co_u32_e32 v32, vcc, 0, v5, vcc
	;; [unrolled: 3-line block ×8, first 2 shown]
	v_mbcnt_lo_u32_b32 v4, -1, 0
	v_mbcnt_hi_u32_b32 v45, -1, v4
	v_mad_u32_u24 v25, v0, 12, v18
	v_and_b32_e32 v46, 63, v45
	s_add_u32 s44, s12, 0x50
	s_movk_i32 s14, 0xff
	v_or_b32_e32 v47, v46, v3
	v_add_u32_e32 v50, v25, v18
	v_or_b32_e32 v19, 0x100, v0
	v_or_b32_e32 v20, 0x200, v0
	;; [unrolled: 1-line block ×4, first 2 shown]
	v_cmp_gt_u32_e64 s[8:9], 4, v0
	v_cmp_lt_u32_e64 s[10:11], 63, v0
	s_addc_u32 s45, s13, 0
	s_mov_b32 s47, 0
	v_cmp_eq_u32_e64 s[12:13], 0, v0
	v_cmp_ne_u32_e64 s[14:15], s14, v0
	s_mov_b32 s58, s73
	v_or_b32_e32 v48, 0x2400, v18
	v_add_u32_e32 v49, 0x23fc, v26
	v_mul_u32_u24_e32 v51, 7, v0
	v_mov_b32_e32 v52, 1
	v_add_u32_e32 v53, 0x410, v50
	v_add_u32_e32 v54, 0x418, v50
	v_and_b32_e32 v55, 15, v45
	v_bfe_i32 v56, v45, 4, 1
	v_and_b32_e32 v57, 16, v45
	v_and_b32_e32 v58, 3, v45
	;; [unrolled: 1-line block ×3, first 2 shown]
	v_lshlrev_b32_e32 v60, 3, v46
	v_or_b32_e32 v61, 64, v47
	v_or_b32_e32 v62, 0x80, v47
	;; [unrolled: 1-line block ×3, first 2 shown]
	v_mov_b32_e32 v3, 0
	s_branch .LBB220_20
.LBB220_18:                             ;   in Loop: Header=BB220_20 Depth=1
	s_waitcnt lgkmcnt(0)
	s_barrier
.LBB220_19:                             ;   in Loop: Header=BB220_20 Depth=1
	s_add_i32 s58, s58, 8
	s_cmp_ge_u32 s58, s74
	s_cbranch_scc1 .LBB220_422
.LBB220_20:                             ; =>This Loop Header: Depth=1
                                        ;     Child Loop BB220_24 Depth 2
                                        ;     Child Loop BB220_56 Depth 2
                                        ;     Child Loop BB220_124 Depth 2
                                        ;     Child Loop BB220_156 Depth 2
                                        ;     Child Loop BB220_226 Depth 2
                                        ;     Child Loop BB220_258 Depth 2
                                        ;     Child Loop BB220_326 Depth 2
                                        ;     Child Loop BB220_358 Depth 2
	s_sub_i32 s16, s74, s58
	s_min_u32 s16, s16, 8
	s_lshl_b32 s16, -1, s16
	s_xor_b64 s[50:51], s[50:51], -1
	s_not_b32 s59, s16
	s_cmp_lg_u32 s58, s73
	s_mov_b64 s[16:17], -1
	ds_write2st64_b32 v18, v3, v3 offset1:4
	ds_write2st64_b32 v18, v3, v3 offset0:8 offset1:12
	s_waitcnt lgkmcnt(0)
	s_cbranch_scc0 .LBB220_222
; %bb.21:                               ;   in Loop: Header=BB220_20 Depth=1
	s_and_b64 vcc, exec, s[50:51]
	s_cbranch_vccz .LBB220_121
; %bb.22:                               ;   in Loop: Header=BB220_20 Depth=1
	v_mov_b32_e32 v4, 0
	s_mov_b32 s18, s75
	s_mov_b32 s20, s49
	v_mov_b32_e32 v7, 0
	v_mov_b32_e32 v6, 0
	;; [unrolled: 1-line block ×3, first 2 shown]
	s_barrier
	s_branch .LBB220_24
.LBB220_23:                             ;   in Loop: Header=BB220_24 Depth=2
	s_or_b64 exec, exec, s[16:17]
	s_addk_i32 s18, 0xfc00
	s_cmp_ge_u32 s19, s63
	s_mov_b32 s20, s19
	s_cbranch_scc1 .LBB220_44
.LBB220_24:                             ;   Parent Loop BB220_20 Depth=1
                                        ; =>  This Inner Loop Header: Depth=2
	s_add_i32 s19, s20, 0x400
	s_cmp_gt_u32 s19, s63
	s_mov_b64 s[16:17], -1
                                        ; implicit-def: $vgpr8
                                        ; implicit-def: $vgpr9
                                        ; implicit-def: $vgpr10
                                        ; implicit-def: $vgpr11
	s_cbranch_scc1 .LBB220_26
; %bb.25:                               ;   in Loop: Header=BB220_24 Depth=2
	v_add_co_u32_e32 v12, vcc, s20, v22
	v_addc_co_u32_e32 v13, vcc, 0, v23, vcc
	global_load_ubyte v11, v[12:13], off offset:768
	global_load_ubyte v10, v[12:13], off offset:512
	;; [unrolled: 1-line block ×3, first 2 shown]
	global_load_ubyte v8, v[12:13], off
	s_mov_b64 s[16:17], 0
.LBB220_26:                             ;   in Loop: Header=BB220_24 Depth=2
	s_andn2_b64 vcc, exec, s[16:17]
	s_movk_i32 s21, 0x400
	s_cbranch_vccnz .LBB220_33
; %bb.27:                               ;   in Loop: Header=BB220_24 Depth=2
	s_add_u32 s20, s68, s20
	s_addc_u32 s21, s69, 0
	v_cmp_gt_u32_e32 vcc, s18, v0
	s_and_saveexec_b64 s[16:17], vcc
	s_cbranch_execnz .LBB220_41
; %bb.28:                               ;   in Loop: Header=BB220_24 Depth=2
	s_or_b64 exec, exec, s[16:17]
	v_cmp_gt_u32_e32 vcc, s18, v19
	s_and_saveexec_b64 s[16:17], vcc
	s_cbranch_execnz .LBB220_42
.LBB220_29:                             ;   in Loop: Header=BB220_24 Depth=2
	s_or_b64 exec, exec, s[16:17]
	v_cmp_gt_u32_e32 vcc, s18, v20
	s_and_saveexec_b64 s[16:17], vcc
	s_cbranch_execnz .LBB220_43
.LBB220_30:                             ;   in Loop: Header=BB220_24 Depth=2
	s_or_b64 exec, exec, s[16:17]
	v_cmp_gt_u32_e32 vcc, s18, v21
	s_and_saveexec_b64 s[16:17], vcc
	s_cbranch_execz .LBB220_32
.LBB220_31:                             ;   in Loop: Header=BB220_24 Depth=2
	v_mov_b32_e32 v5, s21
	s_waitcnt vmcnt(0)
	v_add_co_u32_e32 v8, vcc, s20, v0
	v_addc_co_u32_e32 v9, vcc, 0, v5, vcc
	global_load_ubyte v5, v[8:9], off offset:768
.LBB220_32:                             ;   in Loop: Header=BB220_24 Depth=2
	s_or_b64 exec, exec, s[16:17]
	s_mov_b32 s21, s18
	s_waitcnt vmcnt(0)
	v_mov_b32_e32 v8, v4
	v_mov_b32_e32 v9, v7
	;; [unrolled: 1-line block ×4, first 2 shown]
.LBB220_33:                             ;   in Loop: Header=BB220_24 Depth=2
	s_waitcnt vmcnt(3)
	v_mov_b32_e32 v5, v11
	s_waitcnt vmcnt(2)
	v_mov_b32_e32 v6, v10
	;; [unrolled: 2-line block ×4, first 2 shown]
	v_cmp_gt_u32_e32 vcc, s21, v0
	s_and_saveexec_b64 s[16:17], vcc
	s_cbranch_execnz .LBB220_37
; %bb.34:                               ;   in Loop: Header=BB220_24 Depth=2
	s_or_b64 exec, exec, s[16:17]
	v_cmp_gt_u32_e32 vcc, s21, v19
	s_and_saveexec_b64 s[16:17], vcc
	s_cbranch_execnz .LBB220_38
.LBB220_35:                             ;   in Loop: Header=BB220_24 Depth=2
	s_or_b64 exec, exec, s[16:17]
	v_cmp_gt_u32_e32 vcc, s21, v20
	s_and_saveexec_b64 s[16:17], vcc
	s_cbranch_execnz .LBB220_39
.LBB220_36:                             ;   in Loop: Header=BB220_24 Depth=2
	s_or_b64 exec, exec, s[16:17]
	v_cmp_gt_u32_e32 vcc, s21, v21
	s_and_saveexec_b64 s[16:17], vcc
	s_cbranch_execz .LBB220_23
	s_branch .LBB220_40
.LBB220_37:                             ;   in Loop: Header=BB220_24 Depth=2
	v_lshrrev_b32_sdwa v8, s58, v4 dst_sel:DWORD dst_unused:UNUSED_PAD src0_sel:DWORD src1_sel:BYTE_0
	v_and_b32_e32 v8, s59, v8
	v_lshl_or_b32 v8, v8, 4, v24
	ds_add_u32 v8, v52
	s_or_b64 exec, exec, s[16:17]
	v_cmp_gt_u32_e32 vcc, s21, v19
	s_and_saveexec_b64 s[16:17], vcc
	s_cbranch_execz .LBB220_35
.LBB220_38:                             ;   in Loop: Header=BB220_24 Depth=2
	v_lshrrev_b32_sdwa v8, s58, v7 dst_sel:DWORD dst_unused:UNUSED_PAD src0_sel:DWORD src1_sel:BYTE_0
	v_and_b32_e32 v8, s59, v8
	v_lshl_or_b32 v8, v8, 4, v24
	ds_add_u32 v8, v52
	s_or_b64 exec, exec, s[16:17]
	v_cmp_gt_u32_e32 vcc, s21, v20
	s_and_saveexec_b64 s[16:17], vcc
	s_cbranch_execz .LBB220_36
.LBB220_39:                             ;   in Loop: Header=BB220_24 Depth=2
	v_lshrrev_b32_sdwa v8, s58, v6 dst_sel:DWORD dst_unused:UNUSED_PAD src0_sel:DWORD src1_sel:BYTE_0
	v_and_b32_e32 v8, s59, v8
	v_lshl_or_b32 v8, v8, 4, v24
	ds_add_u32 v8, v52
	s_or_b64 exec, exec, s[16:17]
	v_cmp_gt_u32_e32 vcc, s21, v21
	s_and_saveexec_b64 s[16:17], vcc
	s_cbranch_execz .LBB220_23
.LBB220_40:                             ;   in Loop: Header=BB220_24 Depth=2
	v_lshrrev_b32_sdwa v8, s58, v5 dst_sel:DWORD dst_unused:UNUSED_PAD src0_sel:DWORD src1_sel:BYTE_0
	v_and_b32_e32 v8, s59, v8
	v_lshl_or_b32 v8, v8, 4, v24
	ds_add_u32 v8, v52
	s_branch .LBB220_23
.LBB220_41:                             ;   in Loop: Header=BB220_24 Depth=2
	v_mov_b32_e32 v4, s21
	s_waitcnt vmcnt(0)
	v_add_co_u32_e32 v8, vcc, s20, v0
	v_addc_co_u32_e32 v9, vcc, 0, v4, vcc
	global_load_ubyte v4, v[8:9], off
	s_or_b64 exec, exec, s[16:17]
	v_cmp_gt_u32_e32 vcc, s18, v19
	s_and_saveexec_b64 s[16:17], vcc
	s_cbranch_execz .LBB220_29
.LBB220_42:                             ;   in Loop: Header=BB220_24 Depth=2
	s_waitcnt vmcnt(0)
	v_mov_b32_e32 v8, s21
	v_add_co_u32_e32 v7, vcc, s20, v0
	v_addc_co_u32_e32 v8, vcc, 0, v8, vcc
	global_load_ubyte v7, v[7:8], off offset:256
	s_or_b64 exec, exec, s[16:17]
	v_cmp_gt_u32_e32 vcc, s18, v20
	s_and_saveexec_b64 s[16:17], vcc
	s_cbranch_execz .LBB220_30
.LBB220_43:                             ;   in Loop: Header=BB220_24 Depth=2
	v_mov_b32_e32 v6, s21
	s_waitcnt vmcnt(0)
	v_add_co_u32_e32 v8, vcc, s20, v0
	v_addc_co_u32_e32 v9, vcc, 0, v6, vcc
	global_load_ubyte v6, v[8:9], off offset:512
	s_or_b64 exec, exec, s[16:17]
	v_cmp_gt_u32_e32 vcc, s18, v21
	s_and_saveexec_b64 s[16:17], vcc
	s_cbranch_execnz .LBB220_31
	s_branch .LBB220_32
.LBB220_44:                             ;   in Loop: Header=BB220_20 Depth=1
	v_mov_b32_e32 v4, 0
	s_waitcnt lgkmcnt(0)
	s_barrier
	s_and_saveexec_b64 s[16:17], s[4:5]
	s_cbranch_execz .LBB220_46
; %bb.45:                               ;   in Loop: Header=BB220_20 Depth=1
	ds_read2_b64 v[4:7], v25 offset1:1
	s_waitcnt lgkmcnt(0)
	v_add_u32_e32 v4, v5, v4
	v_add3_u32 v4, v4, v6, v7
.LBB220_46:                             ;   in Loop: Header=BB220_20 Depth=1
	s_or_b64 exec, exec, s[16:17]
	s_nop 0
	v_mov_b32_dpp v5, v4 row_shr:1 row_mask:0xf bank_mask:0xf
	v_cmp_eq_u32_e64 s[16:17], 0, v55
	v_cndmask_b32_e64 v5, v5, 0, s[16:17]
	v_add_u32_e32 v4, v5, v4
	v_cmp_lt_u32_e64 s[18:19], 1, v55
	v_cmp_lt_u32_e64 s[20:21], 3, v55
	v_mov_b32_dpp v5, v4 row_shr:2 row_mask:0xf bank_mask:0xf
	v_cndmask_b32_e64 v5, 0, v5, s[18:19]
	v_add_u32_e32 v4, v4, v5
	v_cmp_lt_u32_e64 s[22:23], 7, v55
	v_cmp_lt_u32_e64 s[26:27], 31, v45
	v_mov_b32_dpp v5, v4 row_shr:4 row_mask:0xf bank_mask:0xf
	v_cndmask_b32_e64 v5, 0, v5, s[20:21]
	v_add_u32_e32 v4, v4, v5
	v_cmp_eq_u32_e64 s[24:25], 0, v57
	s_nop 0
	v_mov_b32_dpp v5, v4 row_shr:8 row_mask:0xf bank_mask:0xf
	v_cndmask_b32_e64 v5, 0, v5, s[22:23]
	v_add_u32_e32 v4, v4, v5
	s_nop 1
	v_mov_b32_dpp v5, v4 row_bcast:15 row_mask:0xf bank_mask:0xf
	v_and_b32_e32 v5, v56, v5
	v_add_u32_e32 v4, v4, v5
	s_nop 1
	v_mov_b32_dpp v5, v4 row_bcast:31 row_mask:0xf bank_mask:0xf
	v_cndmask_b32_e64 v5, 0, v5, s[26:27]
	v_add_u32_e32 v4, v4, v5
	s_and_saveexec_b64 s[28:29], s[6:7]
; %bb.47:                               ;   in Loop: Header=BB220_20 Depth=1
	ds_write_b32 v27, v4
; %bb.48:                               ;   in Loop: Header=BB220_20 Depth=1
	s_or_b64 exec, exec, s[28:29]
	s_waitcnt lgkmcnt(0)
	s_barrier
	s_and_saveexec_b64 s[28:29], s[8:9]
	s_cbranch_execz .LBB220_50
; %bb.49:                               ;   in Loop: Header=BB220_20 Depth=1
	ds_read_b32 v5, v48
	v_cmp_ne_u32_e32 vcc, 0, v58
	s_waitcnt lgkmcnt(0)
	v_mov_b32_dpp v6, v5 row_shr:1 row_mask:0xf bank_mask:0xf
	v_cndmask_b32_e32 v6, 0, v6, vcc
	v_add_u32_e32 v5, v6, v5
	v_cmp_lt_u32_e32 vcc, 1, v58
	s_nop 0
	v_mov_b32_dpp v6, v5 row_shr:2 row_mask:0xf bank_mask:0xf
	v_cndmask_b32_e32 v6, 0, v6, vcc
	v_add_u32_e32 v5, v5, v6
	ds_write_b32 v48, v5
.LBB220_50:                             ;   in Loop: Header=BB220_20 Depth=1
	s_or_b64 exec, exec, s[28:29]
	v_mov_b32_e32 v5, 0
	s_waitcnt lgkmcnt(0)
	s_barrier
	s_and_saveexec_b64 s[28:29], s[10:11]
; %bb.51:                               ;   in Loop: Header=BB220_20 Depth=1
	ds_read_b32 v5, v49
; %bb.52:                               ;   in Loop: Header=BB220_20 Depth=1
	s_or_b64 exec, exec, s[28:29]
	v_subrev_co_u32_e64 v6, s[28:29], 1, v45
	v_cmp_lt_i32_e32 vcc, v6, v59
	v_cndmask_b32_e32 v6, v6, v45, vcc
	s_waitcnt lgkmcnt(0)
	v_add_u32_e32 v4, v5, v4
	v_lshlrev_b32_e32 v64, 2, v6
	ds_bpermute_b32 v4, v64, v4
	s_waitcnt lgkmcnt(0)
	s_barrier
	s_and_saveexec_b64 s[30:31], s[4:5]
; %bb.53:                               ;   in Loop: Header=BB220_20 Depth=1
	v_cndmask_b32_e64 v4, v4, v5, s[28:29]
	v_add_u32_e32 v4, s49, v4
	ds_write_b32 v18, v4
; %bb.54:                               ;   in Loop: Header=BB220_20 Depth=1
	s_or_b64 exec, exec, s[30:31]
	s_load_dword s30, s[44:45], 0x4
	s_load_dword s36, s[44:45], 0xc
	v_add_co_u32_e32 v65, vcc, v29, v60
	v_addc_co_u32_e32 v66, vcc, 0, v30, vcc
	s_waitcnt lgkmcnt(0)
	s_cmp_lt_u32 s33, s30
	s_cselect_b32 s30, 14, 20
	s_add_u32 s30, s44, s30
	s_addc_u32 s31, s45, 0
	global_load_ushort v4, v3, s[30:31]
	s_and_b32 s36, s36, 0xffff
	v_add_co_u32_e32 v67, vcc, v31, v46
	v_cmp_eq_u32_e64 s[30:31], 0, v58
	v_cmp_lt_u32_e64 s[34:35], 1, v58
	v_addc_co_u32_e32 v68, vcc, 0, v32, vcc
	s_mov_b32 s60, s75
	s_mov_b32 s46, s49
                                        ; implicit-def: $vgpr7_vgpr8
                                        ; implicit-def: $vgpr9_vgpr10
                                        ; implicit-def: $vgpr11_vgpr12
                                        ; implicit-def: $vgpr69
                                        ; implicit-def: $vgpr70
                                        ; implicit-def: $vgpr72
                                        ; implicit-def: $vgpr73
	s_waitcnt vmcnt(0)
	v_mad_u32_u24 v4, v2, v4, v1
	v_mad_u64_u32 v[4:5], s[36:37], v4, s36, v[0:1]
                                        ; implicit-def: $vgpr5_vgpr6
	v_lshrrev_b32_e32 v4, 4, v4
	v_and_b32_e32 v71, 0xffffffc, v4
	s_branch .LBB220_56
.LBB220_55:                             ;   in Loop: Header=BB220_56 Depth=2
	s_or_b64 exec, exec, s[36:37]
	s_addk_i32 s60, 0xfc00
	s_cmp_lt_u32 s61, s63
	s_mov_b32 s46, s61
	s_cbranch_scc0 .LBB220_120
.LBB220_56:                             ;   Parent Loop BB220_20 Depth=1
                                        ; =>  This Inner Loop Header: Depth=2
	s_add_i32 s61, s46, 0x400
	s_cmp_gt_u32 s61, s63
	s_cbranch_scc1 .LBB220_58
; %bb.57:                               ;   in Loop: Header=BB220_56 Depth=2
	v_add_co_u32_e32 v13, vcc, s46, v67
	v_addc_co_u32_e32 v14, vcc, 0, v68, vcc
	global_load_ubyte v17, v[13:14], off
	global_load_ubyte v75, v[13:14], off offset:64
	global_load_ubyte v76, v[13:14], off offset:128
	s_mov_b64 s[36:37], -1
	s_movk_i32 s40, 0x400
	s_cbranch_execz .LBB220_59
	s_branch .LBB220_66
.LBB220_58:                             ;   in Loop: Header=BB220_56 Depth=2
	s_mov_b64 s[36:37], 0
                                        ; implicit-def: $vgpr17
                                        ; implicit-def: $vgpr75
                                        ; implicit-def: $vgpr76
	s_movk_i32 s40, 0x400
.LBB220_59:                             ;   in Loop: Header=BB220_56 Depth=2
	v_add_co_u32_e32 v13, vcc, s46, v67
	v_addc_co_u32_e32 v14, vcc, 0, v68, vcc
	v_cmp_gt_u32_e32 vcc, s60, v47
	s_waitcnt vmcnt(1)
	v_mov_b32_e32 v75, 0xff
	v_mov_b32_e32 v17, 0xff
	s_and_saveexec_b64 s[36:37], vcc
	s_cbranch_execz .LBB220_61
; %bb.60:                               ;   in Loop: Header=BB220_56 Depth=2
	global_load_ubyte v17, v[13:14], off
.LBB220_61:                             ;   in Loop: Header=BB220_56 Depth=2
	s_or_b64 exec, exec, s[36:37]
	v_cmp_gt_u32_e32 vcc, s60, v61
	s_and_saveexec_b64 s[36:37], vcc
	s_cbranch_execz .LBB220_63
; %bb.62:                               ;   in Loop: Header=BB220_56 Depth=2
	global_load_ubyte v75, v[13:14], off offset:64
.LBB220_63:                             ;   in Loop: Header=BB220_56 Depth=2
	s_or_b64 exec, exec, s[36:37]
	v_cmp_gt_u32_e32 vcc, s60, v62
	s_waitcnt vmcnt(0)
	v_mov_b32_e32 v76, 0xff
	s_and_saveexec_b64 s[36:37], vcc
	s_cbranch_execz .LBB220_65
; %bb.64:                               ;   in Loop: Header=BB220_56 Depth=2
	global_load_ubyte v76, v[13:14], off offset:128
.LBB220_65:                             ;   in Loop: Header=BB220_56 Depth=2
	s_or_b64 exec, exec, s[36:37]
	s_sub_i32 s40, s63, s46
	v_cmp_gt_u32_e64 s[36:37], s60, v63
.LBB220_66:                             ;   in Loop: Header=BB220_56 Depth=2
	v_mov_b32_e32 v77, 0xff
	v_mov_b32_e32 v74, s60
	s_and_saveexec_b64 s[38:39], s[36:37]
	s_cbranch_execz .LBB220_68
; %bb.67:                               ;   in Loop: Header=BB220_56 Depth=2
	v_mov_b32_e32 v4, s47
	v_add_co_u32_e32 v13, vcc, s46, v67
	v_addc_co_u32_e32 v14, vcc, v68, v4, vcc
	global_load_ubyte v77, v[13:14], off offset:192
	v_mov_b32_e32 v74, s40
.LBB220_68:                             ;   in Loop: Header=BB220_56 Depth=2
	s_or_b64 exec, exec, s[38:39]
	s_waitcnt vmcnt(2)
	v_lshrrev_b32_sdwa v4, s58, v17 dst_sel:DWORD dst_unused:UNUSED_PAD src0_sel:DWORD src1_sel:BYTE_0
	v_and_b32_e32 v13, s59, v4
	v_and_b32_e32 v4, 1, v13
	v_add_co_u32_e32 v14, vcc, -1, v4
	v_addc_co_u32_e64 v16, s[36:37], 0, -1, vcc
	v_cmp_ne_u32_e32 vcc, 0, v4
	v_xor_b32_e32 v4, vcc_hi, v16
	v_and_b32_e32 v16, exec_hi, v4
	v_lshlrev_b32_e32 v4, 30, v13
	v_xor_b32_e32 v14, vcc_lo, v14
	v_cmp_gt_i64_e32 vcc, 0, v[3:4]
	v_not_b32_e32 v4, v4
	v_ashrrev_i32_e32 v4, 31, v4
	v_and_b32_e32 v14, exec_lo, v14
	v_xor_b32_e32 v78, vcc_hi, v4
	v_xor_b32_e32 v4, vcc_lo, v4
	v_and_b32_e32 v14, v14, v4
	v_lshlrev_b32_e32 v4, 29, v13
	v_cmp_gt_i64_e32 vcc, 0, v[3:4]
	v_not_b32_e32 v4, v4
	v_ashrrev_i32_e32 v4, 31, v4
	v_and_b32_e32 v16, v16, v78
	v_xor_b32_e32 v78, vcc_hi, v4
	v_xor_b32_e32 v4, vcc_lo, v4
	v_and_b32_e32 v14, v14, v4
	v_lshlrev_b32_e32 v4, 28, v13
	v_cmp_gt_i64_e32 vcc, 0, v[3:4]
	v_not_b32_e32 v4, v4
	v_ashrrev_i32_e32 v4, 31, v4
	v_and_b32_e32 v16, v16, v78
	;; [unrolled: 8-line block ×5, first 2 shown]
	v_xor_b32_e32 v78, vcc_hi, v4
	v_xor_b32_e32 v4, vcc_lo, v4
	v_and_b32_e32 v16, v16, v78
	v_and_b32_e32 v78, v14, v4
	v_lshlrev_b32_e32 v4, 24, v13
	v_cmp_gt_i64_e32 vcc, 0, v[3:4]
	v_not_b32_e32 v4, v4
	v_ashrrev_i32_e32 v4, 31, v4
	v_mul_u32_u24_e32 v15, 20, v13
	v_xor_b32_e32 v13, vcc_hi, v4
	v_xor_b32_e32 v4, vcc_lo, v4
	v_and_b32_e32 v14, v16, v13
	v_and_b32_e32 v13, v78, v4
	v_mbcnt_lo_u32_b32 v4, v13, 0
	v_mbcnt_hi_u32_b32 v78, v14, v4
	v_cmp_ne_u64_e32 vcc, 0, v[13:14]
	v_cmp_eq_u32_e64 s[36:37], 0, v78
	s_and_b64 s[38:39], vcc, s[36:37]
	v_add_u32_e32 v80, v71, v15
	ds_write2_b32 v53, v3, v3 offset1:1
	ds_write2_b32 v54, v3, v3 offset1:1
	ds_write_b32 v50, v3 offset:1056
	s_waitcnt vmcnt(0) lgkmcnt(0)
	s_barrier
	; wave barrier
	s_and_saveexec_b64 s[36:37], s[38:39]
; %bb.69:                               ;   in Loop: Header=BB220_56 Depth=2
	v_bcnt_u32_b32 v4, v13, 0
	v_bcnt_u32_b32 v4, v14, v4
	ds_write_b32 v80, v4 offset:1040
; %bb.70:                               ;   in Loop: Header=BB220_56 Depth=2
	s_or_b64 exec, exec, s[36:37]
	v_lshrrev_b32_sdwa v4, s58, v75 dst_sel:DWORD dst_unused:UNUSED_PAD src0_sel:DWORD src1_sel:BYTE_0
	v_and_b32_e32 v13, s59, v4
	v_mad_u32_u24 v4, v13, 20, v71
	; wave barrier
	ds_read_b32 v79, v4 offset:1040
	v_and_b32_e32 v4, 1, v13
	v_add_co_u32_e32 v14, vcc, -1, v4
	v_addc_co_u32_e64 v16, s[36:37], 0, -1, vcc
	v_cmp_ne_u32_e32 vcc, 0, v4
	v_xor_b32_e32 v4, vcc_hi, v16
	v_and_b32_e32 v16, exec_hi, v4
	v_lshlrev_b32_e32 v4, 30, v13
	v_xor_b32_e32 v14, vcc_lo, v14
	v_cmp_gt_i64_e32 vcc, 0, v[3:4]
	v_not_b32_e32 v4, v4
	v_ashrrev_i32_e32 v4, 31, v4
	v_and_b32_e32 v14, exec_lo, v14
	v_xor_b32_e32 v81, vcc_hi, v4
	v_xor_b32_e32 v4, vcc_lo, v4
	v_and_b32_e32 v14, v14, v4
	v_lshlrev_b32_e32 v4, 29, v13
	v_cmp_gt_i64_e32 vcc, 0, v[3:4]
	v_not_b32_e32 v4, v4
	v_ashrrev_i32_e32 v4, 31, v4
	v_and_b32_e32 v16, v16, v81
	v_xor_b32_e32 v81, vcc_hi, v4
	v_xor_b32_e32 v4, vcc_lo, v4
	v_and_b32_e32 v14, v14, v4
	v_lshlrev_b32_e32 v4, 28, v13
	v_cmp_gt_i64_e32 vcc, 0, v[3:4]
	v_not_b32_e32 v4, v4
	v_ashrrev_i32_e32 v4, 31, v4
	v_and_b32_e32 v16, v16, v81
	v_xor_b32_e32 v81, vcc_hi, v4
	v_xor_b32_e32 v4, vcc_lo, v4
	v_and_b32_e32 v14, v14, v4
	v_lshlrev_b32_e32 v4, 27, v13
	v_cmp_gt_i64_e32 vcc, 0, v[3:4]
	v_not_b32_e32 v4, v4
	v_ashrrev_i32_e32 v4, 31, v4
	v_and_b32_e32 v16, v16, v81
	v_xor_b32_e32 v81, vcc_hi, v4
	v_xor_b32_e32 v4, vcc_lo, v4
	v_and_b32_e32 v14, v14, v4
	v_lshlrev_b32_e32 v4, 26, v13
	v_cmp_gt_i64_e32 vcc, 0, v[3:4]
	v_not_b32_e32 v4, v4
	v_ashrrev_i32_e32 v4, 31, v4
	v_and_b32_e32 v16, v16, v81
	v_xor_b32_e32 v81, vcc_hi, v4
	v_xor_b32_e32 v4, vcc_lo, v4
	v_and_b32_e32 v14, v14, v4
	v_lshlrev_b32_e32 v4, 25, v13
	v_cmp_gt_i64_e32 vcc, 0, v[3:4]
	v_not_b32_e32 v4, v4
	v_ashrrev_i32_e32 v4, 31, v4
	v_and_b32_e32 v16, v16, v81
	v_xor_b32_e32 v81, vcc_hi, v4
	v_xor_b32_e32 v4, vcc_lo, v4
	v_and_b32_e32 v16, v16, v81
	v_and_b32_e32 v81, v14, v4
	v_lshlrev_b32_e32 v4, 24, v13
	v_cmp_gt_i64_e32 vcc, 0, v[3:4]
	v_not_b32_e32 v4, v4
	v_ashrrev_i32_e32 v4, 31, v4
	v_mul_u32_u24_e32 v15, 20, v13
	v_xor_b32_e32 v13, vcc_hi, v4
	v_xor_b32_e32 v4, vcc_lo, v4
	v_and_b32_e32 v14, v16, v13
	v_and_b32_e32 v13, v81, v4
	v_mbcnt_lo_u32_b32 v4, v13, 0
	v_mbcnt_hi_u32_b32 v81, v14, v4
	v_cmp_ne_u64_e32 vcc, 0, v[13:14]
	v_cmp_eq_u32_e64 s[36:37], 0, v81
	s_and_b64 s[38:39], vcc, s[36:37]
	v_add_u32_e32 v83, v71, v15
	; wave barrier
	s_and_saveexec_b64 s[36:37], s[38:39]
	s_cbranch_execz .LBB220_72
; %bb.71:                               ;   in Loop: Header=BB220_56 Depth=2
	v_bcnt_u32_b32 v4, v13, 0
	v_bcnt_u32_b32 v4, v14, v4
	s_waitcnt lgkmcnt(0)
	v_add_u32_e32 v4, v79, v4
	ds_write_b32 v83, v4 offset:1040
.LBB220_72:                             ;   in Loop: Header=BB220_56 Depth=2
	s_or_b64 exec, exec, s[36:37]
	v_lshrrev_b32_sdwa v4, s58, v76 dst_sel:DWORD dst_unused:UNUSED_PAD src0_sel:DWORD src1_sel:BYTE_0
	v_and_b32_e32 v13, s59, v4
	v_mad_u32_u24 v4, v13, 20, v71
	; wave barrier
	ds_read_b32 v82, v4 offset:1040
	v_and_b32_e32 v4, 1, v13
	v_add_co_u32_e32 v14, vcc, -1, v4
	v_addc_co_u32_e64 v16, s[36:37], 0, -1, vcc
	v_cmp_ne_u32_e32 vcc, 0, v4
	v_xor_b32_e32 v4, vcc_hi, v16
	v_and_b32_e32 v16, exec_hi, v4
	v_lshlrev_b32_e32 v4, 30, v13
	v_xor_b32_e32 v14, vcc_lo, v14
	v_cmp_gt_i64_e32 vcc, 0, v[3:4]
	v_not_b32_e32 v4, v4
	v_ashrrev_i32_e32 v4, 31, v4
	v_and_b32_e32 v14, exec_lo, v14
	v_xor_b32_e32 v84, vcc_hi, v4
	v_xor_b32_e32 v4, vcc_lo, v4
	v_and_b32_e32 v14, v14, v4
	v_lshlrev_b32_e32 v4, 29, v13
	v_cmp_gt_i64_e32 vcc, 0, v[3:4]
	v_not_b32_e32 v4, v4
	v_ashrrev_i32_e32 v4, 31, v4
	v_and_b32_e32 v16, v16, v84
	v_xor_b32_e32 v84, vcc_hi, v4
	v_xor_b32_e32 v4, vcc_lo, v4
	v_and_b32_e32 v14, v14, v4
	v_lshlrev_b32_e32 v4, 28, v13
	v_cmp_gt_i64_e32 vcc, 0, v[3:4]
	v_not_b32_e32 v4, v4
	v_ashrrev_i32_e32 v4, 31, v4
	v_and_b32_e32 v16, v16, v84
	;; [unrolled: 8-line block ×5, first 2 shown]
	v_xor_b32_e32 v84, vcc_hi, v4
	v_xor_b32_e32 v4, vcc_lo, v4
	v_and_b32_e32 v16, v16, v84
	v_and_b32_e32 v84, v14, v4
	v_lshlrev_b32_e32 v4, 24, v13
	v_cmp_gt_i64_e32 vcc, 0, v[3:4]
	v_not_b32_e32 v4, v4
	v_ashrrev_i32_e32 v4, 31, v4
	v_mul_u32_u24_e32 v15, 20, v13
	v_xor_b32_e32 v13, vcc_hi, v4
	v_xor_b32_e32 v4, vcc_lo, v4
	v_and_b32_e32 v14, v16, v13
	v_and_b32_e32 v13, v84, v4
	v_mbcnt_lo_u32_b32 v4, v13, 0
	v_mbcnt_hi_u32_b32 v84, v14, v4
	v_cmp_ne_u64_e32 vcc, 0, v[13:14]
	v_cmp_eq_u32_e64 s[36:37], 0, v84
	s_and_b64 s[38:39], vcc, s[36:37]
	v_add_u32_e32 v86, v71, v15
	; wave barrier
	s_and_saveexec_b64 s[36:37], s[38:39]
	s_cbranch_execz .LBB220_74
; %bb.73:                               ;   in Loop: Header=BB220_56 Depth=2
	v_bcnt_u32_b32 v4, v13, 0
	v_bcnt_u32_b32 v4, v14, v4
	s_waitcnt lgkmcnt(0)
	v_add_u32_e32 v4, v82, v4
	ds_write_b32 v86, v4 offset:1040
.LBB220_74:                             ;   in Loop: Header=BB220_56 Depth=2
	s_or_b64 exec, exec, s[36:37]
	v_lshrrev_b32_sdwa v4, s58, v77 dst_sel:DWORD dst_unused:UNUSED_PAD src0_sel:DWORD src1_sel:BYTE_0
	v_and_b32_e32 v13, s59, v4
	v_mad_u32_u24 v4, v13, 20, v71
	; wave barrier
	ds_read_b32 v85, v4 offset:1040
	v_and_b32_e32 v4, 1, v13
	v_add_co_u32_e32 v14, vcc, -1, v4
	v_addc_co_u32_e64 v16, s[36:37], 0, -1, vcc
	v_cmp_ne_u32_e32 vcc, 0, v4
	v_xor_b32_e32 v4, vcc_hi, v16
	v_and_b32_e32 v16, exec_hi, v4
	v_lshlrev_b32_e32 v4, 30, v13
	v_xor_b32_e32 v14, vcc_lo, v14
	v_cmp_gt_i64_e32 vcc, 0, v[3:4]
	v_not_b32_e32 v4, v4
	v_ashrrev_i32_e32 v4, 31, v4
	v_and_b32_e32 v14, exec_lo, v14
	v_xor_b32_e32 v87, vcc_hi, v4
	v_xor_b32_e32 v4, vcc_lo, v4
	v_and_b32_e32 v14, v14, v4
	v_lshlrev_b32_e32 v4, 29, v13
	v_cmp_gt_i64_e32 vcc, 0, v[3:4]
	v_not_b32_e32 v4, v4
	v_ashrrev_i32_e32 v4, 31, v4
	v_and_b32_e32 v16, v16, v87
	v_xor_b32_e32 v87, vcc_hi, v4
	v_xor_b32_e32 v4, vcc_lo, v4
	v_and_b32_e32 v14, v14, v4
	v_lshlrev_b32_e32 v4, 28, v13
	v_cmp_gt_i64_e32 vcc, 0, v[3:4]
	v_not_b32_e32 v4, v4
	v_ashrrev_i32_e32 v4, 31, v4
	v_and_b32_e32 v16, v16, v87
	;; [unrolled: 8-line block ×5, first 2 shown]
	v_xor_b32_e32 v87, vcc_hi, v4
	v_xor_b32_e32 v4, vcc_lo, v4
	v_and_b32_e32 v16, v16, v87
	v_and_b32_e32 v87, v14, v4
	v_lshlrev_b32_e32 v4, 24, v13
	v_cmp_gt_i64_e32 vcc, 0, v[3:4]
	v_not_b32_e32 v4, v4
	v_ashrrev_i32_e32 v4, 31, v4
	v_mul_u32_u24_e32 v15, 20, v13
	v_xor_b32_e32 v13, vcc_hi, v4
	v_xor_b32_e32 v4, vcc_lo, v4
	v_and_b32_e32 v14, v16, v13
	v_and_b32_e32 v13, v87, v4
	v_mbcnt_lo_u32_b32 v4, v13, 0
	v_mbcnt_hi_u32_b32 v4, v14, v4
	v_cmp_ne_u64_e32 vcc, 0, v[13:14]
	v_cmp_eq_u32_e64 s[36:37], 0, v4
	s_and_b64 s[38:39], vcc, s[36:37]
	v_add_u32_e32 v87, v71, v15
	; wave barrier
	s_and_saveexec_b64 s[36:37], s[38:39]
	s_cbranch_execz .LBB220_76
; %bb.75:                               ;   in Loop: Header=BB220_56 Depth=2
	v_bcnt_u32_b32 v13, v13, 0
	v_bcnt_u32_b32 v13, v14, v13
	s_waitcnt lgkmcnt(0)
	v_add_u32_e32 v13, v85, v13
	ds_write_b32 v87, v13 offset:1040
.LBB220_76:                             ;   in Loop: Header=BB220_56 Depth=2
	s_or_b64 exec, exec, s[36:37]
	; wave barrier
	s_waitcnt lgkmcnt(0)
	s_barrier
	ds_read2_b32 v[15:16], v53 offset1:1
	ds_read2_b32 v[13:14], v54 offset1:1
	ds_read_b32 v88, v50 offset:1056
	s_waitcnt lgkmcnt(1)
	v_add3_u32 v89, v16, v15, v13
	s_waitcnt lgkmcnt(0)
	v_add3_u32 v88, v89, v14, v88
	s_nop 1
	v_mov_b32_dpp v89, v88 row_shr:1 row_mask:0xf bank_mask:0xf
	v_cndmask_b32_e64 v89, v89, 0, s[16:17]
	v_add_u32_e32 v88, v89, v88
	s_nop 1
	v_mov_b32_dpp v89, v88 row_shr:2 row_mask:0xf bank_mask:0xf
	v_cndmask_b32_e64 v89, 0, v89, s[18:19]
	v_add_u32_e32 v88, v88, v89
	;; [unrolled: 4-line block ×4, first 2 shown]
	s_nop 1
	v_mov_b32_dpp v89, v88 row_bcast:15 row_mask:0xf bank_mask:0xf
	v_cndmask_b32_e64 v89, v89, 0, s[24:25]
	v_add_u32_e32 v88, v88, v89
	s_nop 1
	v_mov_b32_dpp v89, v88 row_bcast:31 row_mask:0xf bank_mask:0xf
	v_cndmask_b32_e64 v89, 0, v89, s[26:27]
	v_add_u32_e32 v88, v88, v89
	s_and_saveexec_b64 s[36:37], s[6:7]
; %bb.77:                               ;   in Loop: Header=BB220_56 Depth=2
	ds_write_b32 v26, v88 offset:1024
; %bb.78:                               ;   in Loop: Header=BB220_56 Depth=2
	s_or_b64 exec, exec, s[36:37]
	s_waitcnt lgkmcnt(0)
	s_barrier
	s_and_saveexec_b64 s[36:37], s[8:9]
	s_cbranch_execz .LBB220_80
; %bb.79:                               ;   in Loop: Header=BB220_56 Depth=2
	v_add_u32_e32 v89, v50, v28
	ds_read_b32 v90, v89 offset:1024
	s_waitcnt lgkmcnt(0)
	s_nop 0
	v_mov_b32_dpp v91, v90 row_shr:1 row_mask:0xf bank_mask:0xf
	v_cndmask_b32_e64 v91, v91, 0, s[30:31]
	v_add_u32_e32 v90, v91, v90
	s_nop 1
	v_mov_b32_dpp v91, v90 row_shr:2 row_mask:0xf bank_mask:0xf
	v_cndmask_b32_e64 v91, 0, v91, s[34:35]
	v_add_u32_e32 v90, v90, v91
	ds_write_b32 v89, v90 offset:1024
.LBB220_80:                             ;   in Loop: Header=BB220_56 Depth=2
	s_or_b64 exec, exec, s[36:37]
	v_mov_b32_e32 v89, 0
	s_waitcnt lgkmcnt(0)
	s_barrier
	s_and_saveexec_b64 s[36:37], s[10:11]
; %bb.81:                               ;   in Loop: Header=BB220_56 Depth=2
	ds_read_b32 v89, v26 offset:1020
; %bb.82:                               ;   in Loop: Header=BB220_56 Depth=2
	s_or_b64 exec, exec, s[36:37]
	s_waitcnt lgkmcnt(0)
	v_add_u32_e32 v88, v89, v88
	ds_bpermute_b32 v88, v64, v88
	s_waitcnt lgkmcnt(0)
	v_cndmask_b32_e64 v88, v88, v89, s[28:29]
	v_cndmask_b32_e64 v88, v88, 0, s[12:13]
	v_add_u32_e32 v15, v88, v15
	v_add_u32_e32 v16, v15, v16
	;; [unrolled: 1-line block ×4, first 2 shown]
	ds_write2_b32 v53, v88, v15 offset1:1
	ds_write2_b32 v54, v16, v13 offset1:1
	ds_write_b32 v50, v14 offset:1056
	s_waitcnt lgkmcnt(0)
	s_barrier
	ds_read_b32 v13, v80 offset:1040
	ds_read_b32 v14, v83 offset:1040
	;; [unrolled: 1-line block ×5, first 2 shown]
	v_mov_b32_e32 v80, 0x400
	s_and_saveexec_b64 s[36:37], s[14:15]
; %bb.83:                               ;   in Loop: Header=BB220_56 Depth=2
	ds_read_b32 v80, v50 offset:1060
; %bb.84:                               ;   in Loop: Header=BB220_56 Depth=2
	s_or_b64 exec, exec, s[36:37]
	s_waitcnt lgkmcnt(0)
	s_barrier
	s_and_saveexec_b64 s[36:37], s[4:5]
	s_cbranch_execz .LBB220_86
; %bb.85:                               ;   in Loop: Header=BB220_56 Depth=2
	ds_read_b32 v86, v18
	s_waitcnt lgkmcnt(0)
	v_sub_u32_e32 v15, v86, v15
	ds_write_b32 v18, v15
.LBB220_86:                             ;   in Loop: Header=BB220_56 Depth=2
	s_or_b64 exec, exec, s[36:37]
	v_add_u32_e32 v15, v13, v78
	v_add3_u32 v14, v81, v79, v14
	v_add3_u32 v13, v84, v82, v16
	;; [unrolled: 1-line block ×3, first 2 shown]
	v_cmp_lt_u32_e64 s[40:41], v0, v74
	ds_write_b8 v15, v17 offset:1024
	ds_write_b8 v14, v75 offset:1024
	;; [unrolled: 1-line block ×4, first 2 shown]
	s_waitcnt lgkmcnt(0)
	s_barrier
	s_and_saveexec_b64 s[36:37], s[40:41]
	s_cbranch_execnz .LBB220_107
; %bb.87:                               ;   in Loop: Header=BB220_56 Depth=2
	s_or_b64 exec, exec, s[36:37]
	v_cmp_lt_u32_e64 s[38:39], v19, v74
	s_and_saveexec_b64 s[36:37], s[38:39]
	s_cbranch_execnz .LBB220_108
.LBB220_88:                             ;   in Loop: Header=BB220_56 Depth=2
	s_or_b64 exec, exec, s[36:37]
	v_cmp_lt_u32_e64 s[36:37], v20, v74
	s_and_saveexec_b64 s[42:43], s[36:37]
	s_cbranch_execnz .LBB220_109
.LBB220_89:                             ;   in Loop: Header=BB220_56 Depth=2
	s_or_b64 exec, exec, s[42:43]
	v_cmp_lt_u32_e32 vcc, v21, v74
	s_and_saveexec_b64 s[42:43], vcc
	s_cbranch_execz .LBB220_91
.LBB220_90:                             ;   in Loop: Header=BB220_56 Depth=2
	ds_read_u8 v16, v0 offset:1792
	s_waitcnt lgkmcnt(0)
	v_lshrrev_b32_sdwa v17, s58, v16 dst_sel:DWORD dst_unused:UNUSED_PAD src0_sel:DWORD src1_sel:BYTE_0
	v_and_b32_e32 v17, s59, v17
	v_lshlrev_b32_e32 v17, 2, v17
	ds_read_b32 v17, v17
	s_waitcnt lgkmcnt(0)
	v_add_u32_e32 v17, v17, v21
	global_store_byte v17, v16, s[66:67]
.LBB220_91:                             ;   in Loop: Header=BB220_56 Depth=2
	s_or_b64 exec, exec, s[42:43]
	s_lshl_b64 s[42:43], s[46:47], 3
	v_mov_b32_e32 v17, s43
	v_add_co_u32_e64 v16, s[42:43], s42, v65
	v_addc_co_u32_e64 v17, s[42:43], v66, v17, s[42:43]
	v_cmp_lt_u32_e64 s[42:43], v47, v74
	s_and_saveexec_b64 s[56:57], s[42:43]
	s_xor_b64 s[42:43], exec, s[56:57]
	s_cbranch_execnz .LBB220_110
; %bb.92:                               ;   in Loop: Header=BB220_56 Depth=2
	s_or_b64 exec, exec, s[42:43]
	v_cmp_lt_u32_e64 s[42:43], v61, v74
	s_and_saveexec_b64 s[56:57], s[42:43]
	s_cbranch_execnz .LBB220_111
.LBB220_93:                             ;   in Loop: Header=BB220_56 Depth=2
	s_or_b64 exec, exec, s[56:57]
	v_cmp_lt_u32_e64 s[42:43], v62, v74
	s_and_saveexec_b64 s[56:57], s[42:43]
	s_cbranch_execnz .LBB220_112
.LBB220_94:                             ;   in Loop: Header=BB220_56 Depth=2
	s_or_b64 exec, exec, s[56:57]
	v_cmp_lt_u32_e64 s[42:43], v63, v74
	s_and_saveexec_b64 s[56:57], s[42:43]
	s_cbranch_execnz .LBB220_113
.LBB220_95:                             ;   in Loop: Header=BB220_56 Depth=2
	s_or_b64 exec, exec, s[56:57]
	s_and_saveexec_b64 s[42:43], s[40:41]
	s_cbranch_execnz .LBB220_114
.LBB220_96:                             ;   in Loop: Header=BB220_56 Depth=2
	s_or_b64 exec, exec, s[42:43]
	s_and_saveexec_b64 s[42:43], s[38:39]
	s_cbranch_execnz .LBB220_115
.LBB220_97:                             ;   in Loop: Header=BB220_56 Depth=2
	s_or_b64 exec, exec, s[42:43]
	s_and_saveexec_b64 s[42:43], s[36:37]
	s_cbranch_execnz .LBB220_116
.LBB220_98:                             ;   in Loop: Header=BB220_56 Depth=2
	s_or_b64 exec, exec, s[42:43]
	s_and_saveexec_b64 s[42:43], vcc
	s_cbranch_execz .LBB220_100
.LBB220_99:                             ;   in Loop: Header=BB220_56 Depth=2
	ds_read_u8 v16, v0 offset:1792
	s_waitcnt lgkmcnt(0)
	v_lshrrev_b32_e32 v16, s58, v16
	v_and_b32_e32 v69, s59, v16
.LBB220_100:                            ;   in Loop: Header=BB220_56 Depth=2
	s_or_b64 exec, exec, s[42:43]
	v_mad_u64_u32 v[15:16], s[42:43], v15, 7, v[15:16]
	s_waitcnt vmcnt(0)
	v_mad_u64_u32 v[74:75], s[42:43], v4, 7, v[4:5]
	v_mad_u64_u32 v[16:17], s[42:43], v14, 7, v[14:15]
	;; [unrolled: 1-line block ×3, first 2 shown]
	s_barrier
	ds_write_b64 v15, v[11:12] offset:1024
	ds_write_b64 v16, v[9:10] offset:1024
	;; [unrolled: 1-line block ×4, first 2 shown]
	s_waitcnt lgkmcnt(0)
	s_barrier
	s_and_saveexec_b64 s[42:43], s[40:41]
	s_cbranch_execnz .LBB220_117
; %bb.101:                              ;   in Loop: Header=BB220_56 Depth=2
	s_or_b64 exec, exec, s[42:43]
	s_and_saveexec_b64 s[40:41], s[38:39]
	s_cbranch_execnz .LBB220_118
.LBB220_102:                            ;   in Loop: Header=BB220_56 Depth=2
	s_or_b64 exec, exec, s[40:41]
	s_and_saveexec_b64 s[38:39], s[36:37]
	s_cbranch_execnz .LBB220_119
.LBB220_103:                            ;   in Loop: Header=BB220_56 Depth=2
	s_or_b64 exec, exec, s[38:39]
	s_and_saveexec_b64 s[36:37], vcc
	s_cbranch_execz .LBB220_105
.LBB220_104:                            ;   in Loop: Header=BB220_56 Depth=2
	v_lshlrev_b32_e32 v4, 2, v69
	ds_read_b32 v4, v4
	v_add_u32_e32 v13, v0, v51
	ds_read_b64 v[13:14], v13 offset:7168
	v_mov_b32_e32 v16, v3
	v_mov_b32_e32 v17, s53
	s_waitcnt lgkmcnt(1)
	v_add_u32_e32 v15, v4, v21
	v_lshlrev_b64 v[15:16], 3, v[15:16]
	v_add_co_u32_e32 v15, vcc, s52, v15
	v_addc_co_u32_e32 v16, vcc, v17, v16, vcc
	s_waitcnt lgkmcnt(0)
	global_store_dwordx2 v[15:16], v[13:14], off
.LBB220_105:                            ;   in Loop: Header=BB220_56 Depth=2
	s_or_b64 exec, exec, s[36:37]
	s_waitcnt vmcnt(0)
	s_barrier
	s_and_saveexec_b64 s[36:37], s[4:5]
	s_cbranch_execz .LBB220_55
; %bb.106:                              ;   in Loop: Header=BB220_56 Depth=2
	ds_read_b32 v4, v18
	s_waitcnt lgkmcnt(0)
	v_add_u32_e32 v4, v4, v80
	ds_write_b32 v18, v4
	s_branch .LBB220_55
.LBB220_107:                            ;   in Loop: Header=BB220_56 Depth=2
	ds_read_u8 v16, v0 offset:1024
	s_waitcnt lgkmcnt(0)
	v_lshrrev_b32_sdwa v17, s58, v16 dst_sel:DWORD dst_unused:UNUSED_PAD src0_sel:DWORD src1_sel:BYTE_0
	v_and_b32_e32 v17, s59, v17
	v_lshlrev_b32_e32 v17, 2, v17
	ds_read_b32 v17, v17
	s_waitcnt lgkmcnt(0)
	v_add_u32_e32 v17, v17, v0
	global_store_byte v17, v16, s[66:67]
	s_or_b64 exec, exec, s[36:37]
	v_cmp_lt_u32_e64 s[38:39], v19, v74
	s_and_saveexec_b64 s[36:37], s[38:39]
	s_cbranch_execz .LBB220_88
.LBB220_108:                            ;   in Loop: Header=BB220_56 Depth=2
	ds_read_u8 v16, v0 offset:1280
	s_waitcnt lgkmcnt(0)
	v_lshrrev_b32_sdwa v17, s58, v16 dst_sel:DWORD dst_unused:UNUSED_PAD src0_sel:DWORD src1_sel:BYTE_0
	v_and_b32_e32 v17, s59, v17
	v_lshlrev_b32_e32 v17, 2, v17
	ds_read_b32 v17, v17
	s_waitcnt lgkmcnt(0)
	v_add_u32_e32 v17, v17, v19
	global_store_byte v17, v16, s[66:67]
	s_or_b64 exec, exec, s[36:37]
	v_cmp_lt_u32_e64 s[36:37], v20, v74
	s_and_saveexec_b64 s[42:43], s[36:37]
	s_cbranch_execz .LBB220_89
.LBB220_109:                            ;   in Loop: Header=BB220_56 Depth=2
	ds_read_u8 v16, v0 offset:1536
	s_waitcnt lgkmcnt(0)
	v_lshrrev_b32_sdwa v17, s58, v16 dst_sel:DWORD dst_unused:UNUSED_PAD src0_sel:DWORD src1_sel:BYTE_0
	v_and_b32_e32 v17, s59, v17
	v_lshlrev_b32_e32 v17, 2, v17
	ds_read_b32 v17, v17
	s_waitcnt lgkmcnt(0)
	v_add_u32_e32 v17, v17, v20
	global_store_byte v17, v16, s[66:67]
	s_or_b64 exec, exec, s[42:43]
	v_cmp_lt_u32_e32 vcc, v21, v74
	s_and_saveexec_b64 s[42:43], vcc
	s_cbranch_execnz .LBB220_90
	s_branch .LBB220_91
.LBB220_110:                            ;   in Loop: Header=BB220_56 Depth=2
	global_load_dwordx2 v[11:12], v[16:17], off
	s_or_b64 exec, exec, s[42:43]
	v_cmp_lt_u32_e64 s[42:43], v61, v74
	s_and_saveexec_b64 s[56:57], s[42:43]
	s_cbranch_execz .LBB220_93
.LBB220_111:                            ;   in Loop: Header=BB220_56 Depth=2
	global_load_dwordx2 v[9:10], v[16:17], off offset:512
	s_or_b64 exec, exec, s[56:57]
	v_cmp_lt_u32_e64 s[42:43], v62, v74
	s_and_saveexec_b64 s[56:57], s[42:43]
	s_cbranch_execz .LBB220_94
.LBB220_112:                            ;   in Loop: Header=BB220_56 Depth=2
	global_load_dwordx2 v[7:8], v[16:17], off offset:1024
	s_or_b64 exec, exec, s[56:57]
	v_cmp_lt_u32_e64 s[42:43], v63, v74
	s_and_saveexec_b64 s[56:57], s[42:43]
	s_cbranch_execz .LBB220_95
.LBB220_113:                            ;   in Loop: Header=BB220_56 Depth=2
	global_load_dwordx2 v[5:6], v[16:17], off offset:1536
	s_or_b64 exec, exec, s[56:57]
	s_and_saveexec_b64 s[42:43], s[40:41]
	s_cbranch_execz .LBB220_96
.LBB220_114:                            ;   in Loop: Header=BB220_56 Depth=2
	ds_read_u8 v16, v0 offset:1024
	s_waitcnt lgkmcnt(0)
	v_lshrrev_b32_e32 v16, s58, v16
	v_and_b32_e32 v73, s59, v16
	s_or_b64 exec, exec, s[42:43]
	s_and_saveexec_b64 s[42:43], s[38:39]
	s_cbranch_execz .LBB220_97
.LBB220_115:                            ;   in Loop: Header=BB220_56 Depth=2
	ds_read_u8 v16, v0 offset:1280
	s_waitcnt lgkmcnt(0)
	v_lshrrev_b32_e32 v16, s58, v16
	v_and_b32_e32 v72, s59, v16
	s_or_b64 exec, exec, s[42:43]
	s_and_saveexec_b64 s[42:43], s[36:37]
	s_cbranch_execz .LBB220_98
.LBB220_116:                            ;   in Loop: Header=BB220_56 Depth=2
	ds_read_u8 v16, v0 offset:1536
	s_waitcnt lgkmcnt(0)
	v_lshrrev_b32_e32 v16, s58, v16
	v_and_b32_e32 v70, s59, v16
	s_or_b64 exec, exec, s[42:43]
	s_and_saveexec_b64 s[42:43], vcc
	s_cbranch_execnz .LBB220_99
	s_branch .LBB220_100
.LBB220_117:                            ;   in Loop: Header=BB220_56 Depth=2
	v_lshlrev_b32_e32 v4, 2, v73
	ds_read_b32 v4, v4
	v_add_u32_e32 v13, v0, v51
	ds_read_b64 v[13:14], v13 offset:1024
	v_mov_b32_e32 v16, v3
	v_mov_b32_e32 v17, s53
	s_waitcnt lgkmcnt(1)
	v_add_u32_e32 v15, v4, v0
	v_lshlrev_b64 v[15:16], 3, v[15:16]
	v_add_co_u32_e64 v15, s[40:41], s52, v15
	v_addc_co_u32_e64 v16, s[40:41], v17, v16, s[40:41]
	s_waitcnt lgkmcnt(0)
	global_store_dwordx2 v[15:16], v[13:14], off
	s_or_b64 exec, exec, s[42:43]
	s_and_saveexec_b64 s[40:41], s[38:39]
	s_cbranch_execz .LBB220_102
.LBB220_118:                            ;   in Loop: Header=BB220_56 Depth=2
	v_lshlrev_b32_e32 v4, 2, v72
	ds_read_b32 v4, v4
	v_add_u32_e32 v13, v0, v51
	ds_read_b64 v[13:14], v13 offset:3072
	v_mov_b32_e32 v16, v3
	v_mov_b32_e32 v17, s53
	s_waitcnt lgkmcnt(1)
	v_add_u32_e32 v15, v4, v19
	v_lshlrev_b64 v[15:16], 3, v[15:16]
	v_add_co_u32_e64 v15, s[38:39], s52, v15
	v_addc_co_u32_e64 v16, s[38:39], v17, v16, s[38:39]
	s_waitcnt lgkmcnt(0)
	global_store_dwordx2 v[15:16], v[13:14], off
	s_or_b64 exec, exec, s[40:41]
	s_and_saveexec_b64 s[38:39], s[36:37]
	s_cbranch_execz .LBB220_103
.LBB220_119:                            ;   in Loop: Header=BB220_56 Depth=2
	v_lshlrev_b32_e32 v4, 2, v70
	ds_read_b32 v4, v4
	v_add_u32_e32 v13, v0, v51
	ds_read_b64 v[13:14], v13 offset:5120
	v_mov_b32_e32 v16, v3
	v_mov_b32_e32 v17, s53
	s_waitcnt lgkmcnt(1)
	v_add_u32_e32 v15, v4, v20
	v_lshlrev_b64 v[15:16], 3, v[15:16]
	v_add_co_u32_e64 v15, s[36:37], s52, v15
	v_addc_co_u32_e64 v16, s[36:37], v17, v16, s[36:37]
	s_waitcnt lgkmcnt(0)
	global_store_dwordx2 v[15:16], v[13:14], off
	s_or_b64 exec, exec, s[38:39]
	s_and_saveexec_b64 s[36:37], vcc
	s_cbranch_execnz .LBB220_104
	s_branch .LBB220_105
.LBB220_120:                            ;   in Loop: Header=BB220_20 Depth=1
	s_waitcnt lgkmcnt(0)
	s_barrier
	s_mov_b64 s[16:17], 0
.LBB220_121:                            ;   in Loop: Header=BB220_20 Depth=1
	s_and_b64 vcc, exec, s[16:17]
	s_cbranch_vccz .LBB220_221
; %bb.122:                              ;   in Loop: Header=BB220_20 Depth=1
	v_mov_b32_e32 v4, 0
	s_mov_b32 s18, s75
	s_mov_b32 s20, s49
	v_mov_b32_e32 v7, 0
	v_mov_b32_e32 v6, 0
	;; [unrolled: 1-line block ×3, first 2 shown]
	s_barrier
	s_branch .LBB220_124
.LBB220_123:                            ;   in Loop: Header=BB220_124 Depth=2
	s_or_b64 exec, exec, s[16:17]
	s_addk_i32 s18, 0xfc00
	s_cmp_ge_u32 s19, s63
	s_mov_b32 s20, s19
	s_cbranch_scc1 .LBB220_144
.LBB220_124:                            ;   Parent Loop BB220_20 Depth=1
                                        ; =>  This Inner Loop Header: Depth=2
	s_add_i32 s19, s20, 0x400
	s_cmp_gt_u32 s19, s63
	s_mov_b64 s[16:17], -1
                                        ; implicit-def: $vgpr8
                                        ; implicit-def: $vgpr9
                                        ; implicit-def: $vgpr10
                                        ; implicit-def: $vgpr11
	s_cbranch_scc1 .LBB220_126
; %bb.125:                              ;   in Loop: Header=BB220_124 Depth=2
	v_add_co_u32_e32 v12, vcc, s20, v33
	v_addc_co_u32_e32 v13, vcc, 0, v34, vcc
	global_load_ubyte v11, v[12:13], off offset:768
	global_load_ubyte v10, v[12:13], off offset:512
	;; [unrolled: 1-line block ×3, first 2 shown]
	global_load_ubyte v8, v[12:13], off
	s_mov_b64 s[16:17], 0
.LBB220_126:                            ;   in Loop: Header=BB220_124 Depth=2
	s_andn2_b64 vcc, exec, s[16:17]
	s_movk_i32 s21, 0x400
	s_cbranch_vccnz .LBB220_133
; %bb.127:                              ;   in Loop: Header=BB220_124 Depth=2
	s_add_u32 s20, s66, s20
	s_addc_u32 s21, s67, 0
	v_cmp_gt_u32_e32 vcc, s18, v0
	s_and_saveexec_b64 s[16:17], vcc
	s_cbranch_execnz .LBB220_141
; %bb.128:                              ;   in Loop: Header=BB220_124 Depth=2
	s_or_b64 exec, exec, s[16:17]
	v_cmp_gt_u32_e32 vcc, s18, v19
	s_and_saveexec_b64 s[16:17], vcc
	s_cbranch_execnz .LBB220_142
.LBB220_129:                            ;   in Loop: Header=BB220_124 Depth=2
	s_or_b64 exec, exec, s[16:17]
	v_cmp_gt_u32_e32 vcc, s18, v20
	s_and_saveexec_b64 s[16:17], vcc
	s_cbranch_execnz .LBB220_143
.LBB220_130:                            ;   in Loop: Header=BB220_124 Depth=2
	s_or_b64 exec, exec, s[16:17]
	v_cmp_gt_u32_e32 vcc, s18, v21
	s_and_saveexec_b64 s[16:17], vcc
	s_cbranch_execz .LBB220_132
.LBB220_131:                            ;   in Loop: Header=BB220_124 Depth=2
	v_mov_b32_e32 v5, s21
	s_waitcnt vmcnt(0)
	v_add_co_u32_e32 v8, vcc, s20, v0
	v_addc_co_u32_e32 v9, vcc, 0, v5, vcc
	global_load_ubyte v5, v[8:9], off offset:768
.LBB220_132:                            ;   in Loop: Header=BB220_124 Depth=2
	s_or_b64 exec, exec, s[16:17]
	s_mov_b32 s21, s18
	s_waitcnt vmcnt(0)
	v_mov_b32_e32 v8, v4
	v_mov_b32_e32 v9, v7
	;; [unrolled: 1-line block ×4, first 2 shown]
.LBB220_133:                            ;   in Loop: Header=BB220_124 Depth=2
	s_waitcnt vmcnt(3)
	v_mov_b32_e32 v5, v11
	s_waitcnt vmcnt(2)
	v_mov_b32_e32 v6, v10
	;; [unrolled: 2-line block ×4, first 2 shown]
	v_cmp_gt_u32_e32 vcc, s21, v0
	s_and_saveexec_b64 s[16:17], vcc
	s_cbranch_execnz .LBB220_137
; %bb.134:                              ;   in Loop: Header=BB220_124 Depth=2
	s_or_b64 exec, exec, s[16:17]
	v_cmp_gt_u32_e32 vcc, s21, v19
	s_and_saveexec_b64 s[16:17], vcc
	s_cbranch_execnz .LBB220_138
.LBB220_135:                            ;   in Loop: Header=BB220_124 Depth=2
	s_or_b64 exec, exec, s[16:17]
	v_cmp_gt_u32_e32 vcc, s21, v20
	s_and_saveexec_b64 s[16:17], vcc
	s_cbranch_execnz .LBB220_139
.LBB220_136:                            ;   in Loop: Header=BB220_124 Depth=2
	s_or_b64 exec, exec, s[16:17]
	v_cmp_gt_u32_e32 vcc, s21, v21
	s_and_saveexec_b64 s[16:17], vcc
	s_cbranch_execz .LBB220_123
	s_branch .LBB220_140
.LBB220_137:                            ;   in Loop: Header=BB220_124 Depth=2
	v_lshrrev_b32_sdwa v8, s58, v4 dst_sel:DWORD dst_unused:UNUSED_PAD src0_sel:DWORD src1_sel:BYTE_0
	v_and_b32_e32 v8, s59, v8
	v_lshl_or_b32 v8, v8, 4, v24
	ds_add_u32 v8, v52
	s_or_b64 exec, exec, s[16:17]
	v_cmp_gt_u32_e32 vcc, s21, v19
	s_and_saveexec_b64 s[16:17], vcc
	s_cbranch_execz .LBB220_135
.LBB220_138:                            ;   in Loop: Header=BB220_124 Depth=2
	v_lshrrev_b32_sdwa v8, s58, v7 dst_sel:DWORD dst_unused:UNUSED_PAD src0_sel:DWORD src1_sel:BYTE_0
	v_and_b32_e32 v8, s59, v8
	v_lshl_or_b32 v8, v8, 4, v24
	ds_add_u32 v8, v52
	s_or_b64 exec, exec, s[16:17]
	v_cmp_gt_u32_e32 vcc, s21, v20
	s_and_saveexec_b64 s[16:17], vcc
	s_cbranch_execz .LBB220_136
.LBB220_139:                            ;   in Loop: Header=BB220_124 Depth=2
	v_lshrrev_b32_sdwa v8, s58, v6 dst_sel:DWORD dst_unused:UNUSED_PAD src0_sel:DWORD src1_sel:BYTE_0
	v_and_b32_e32 v8, s59, v8
	v_lshl_or_b32 v8, v8, 4, v24
	ds_add_u32 v8, v52
	s_or_b64 exec, exec, s[16:17]
	v_cmp_gt_u32_e32 vcc, s21, v21
	s_and_saveexec_b64 s[16:17], vcc
	s_cbranch_execz .LBB220_123
.LBB220_140:                            ;   in Loop: Header=BB220_124 Depth=2
	v_lshrrev_b32_sdwa v8, s58, v5 dst_sel:DWORD dst_unused:UNUSED_PAD src0_sel:DWORD src1_sel:BYTE_0
	v_and_b32_e32 v8, s59, v8
	v_lshl_or_b32 v8, v8, 4, v24
	ds_add_u32 v8, v52
	s_branch .LBB220_123
.LBB220_141:                            ;   in Loop: Header=BB220_124 Depth=2
	v_mov_b32_e32 v4, s21
	s_waitcnt vmcnt(0)
	v_add_co_u32_e32 v8, vcc, s20, v0
	v_addc_co_u32_e32 v9, vcc, 0, v4, vcc
	global_load_ubyte v4, v[8:9], off
	s_or_b64 exec, exec, s[16:17]
	v_cmp_gt_u32_e32 vcc, s18, v19
	s_and_saveexec_b64 s[16:17], vcc
	s_cbranch_execz .LBB220_129
.LBB220_142:                            ;   in Loop: Header=BB220_124 Depth=2
	s_waitcnt vmcnt(0)
	v_mov_b32_e32 v8, s21
	v_add_co_u32_e32 v7, vcc, s20, v0
	v_addc_co_u32_e32 v8, vcc, 0, v8, vcc
	global_load_ubyte v7, v[7:8], off offset:256
	s_or_b64 exec, exec, s[16:17]
	v_cmp_gt_u32_e32 vcc, s18, v20
	s_and_saveexec_b64 s[16:17], vcc
	s_cbranch_execz .LBB220_130
.LBB220_143:                            ;   in Loop: Header=BB220_124 Depth=2
	v_mov_b32_e32 v6, s21
	s_waitcnt vmcnt(0)
	v_add_co_u32_e32 v8, vcc, s20, v0
	v_addc_co_u32_e32 v9, vcc, 0, v6, vcc
	global_load_ubyte v6, v[8:9], off offset:512
	s_or_b64 exec, exec, s[16:17]
	v_cmp_gt_u32_e32 vcc, s18, v21
	s_and_saveexec_b64 s[16:17], vcc
	s_cbranch_execnz .LBB220_131
	s_branch .LBB220_132
.LBB220_144:                            ;   in Loop: Header=BB220_20 Depth=1
	v_mov_b32_e32 v4, 0
	s_waitcnt lgkmcnt(0)
	s_barrier
	s_and_saveexec_b64 s[16:17], s[4:5]
	s_cbranch_execz .LBB220_146
; %bb.145:                              ;   in Loop: Header=BB220_20 Depth=1
	ds_read2_b64 v[4:7], v25 offset1:1
	s_waitcnt lgkmcnt(0)
	v_add_u32_e32 v4, v5, v4
	v_add3_u32 v4, v4, v6, v7
.LBB220_146:                            ;   in Loop: Header=BB220_20 Depth=1
	s_or_b64 exec, exec, s[16:17]
	s_nop 0
	v_mov_b32_dpp v5, v4 row_shr:1 row_mask:0xf bank_mask:0xf
	v_cmp_eq_u32_e64 s[16:17], 0, v55
	v_cndmask_b32_e64 v5, v5, 0, s[16:17]
	v_add_u32_e32 v4, v5, v4
	v_cmp_lt_u32_e64 s[18:19], 1, v55
	v_cmp_lt_u32_e64 s[20:21], 3, v55
	v_mov_b32_dpp v5, v4 row_shr:2 row_mask:0xf bank_mask:0xf
	v_cndmask_b32_e64 v5, 0, v5, s[18:19]
	v_add_u32_e32 v4, v4, v5
	v_cmp_lt_u32_e64 s[22:23], 7, v55
	v_cmp_lt_u32_e64 s[26:27], 31, v45
	v_mov_b32_dpp v5, v4 row_shr:4 row_mask:0xf bank_mask:0xf
	v_cndmask_b32_e64 v5, 0, v5, s[20:21]
	v_add_u32_e32 v4, v4, v5
	v_cmp_eq_u32_e64 s[24:25], 0, v57
	s_nop 0
	v_mov_b32_dpp v5, v4 row_shr:8 row_mask:0xf bank_mask:0xf
	v_cndmask_b32_e64 v5, 0, v5, s[22:23]
	v_add_u32_e32 v4, v4, v5
	s_nop 1
	v_mov_b32_dpp v5, v4 row_bcast:15 row_mask:0xf bank_mask:0xf
	v_and_b32_e32 v5, v56, v5
	v_add_u32_e32 v4, v4, v5
	s_nop 1
	v_mov_b32_dpp v5, v4 row_bcast:31 row_mask:0xf bank_mask:0xf
	v_cndmask_b32_e64 v5, 0, v5, s[26:27]
	v_add_u32_e32 v4, v4, v5
	s_and_saveexec_b64 s[28:29], s[6:7]
; %bb.147:                              ;   in Loop: Header=BB220_20 Depth=1
	ds_write_b32 v27, v4
; %bb.148:                              ;   in Loop: Header=BB220_20 Depth=1
	s_or_b64 exec, exec, s[28:29]
	s_waitcnt lgkmcnt(0)
	s_barrier
	s_and_saveexec_b64 s[28:29], s[8:9]
	s_cbranch_execz .LBB220_150
; %bb.149:                              ;   in Loop: Header=BB220_20 Depth=1
	ds_read_b32 v5, v48
	v_cmp_ne_u32_e32 vcc, 0, v58
	s_waitcnt lgkmcnt(0)
	v_mov_b32_dpp v6, v5 row_shr:1 row_mask:0xf bank_mask:0xf
	v_cndmask_b32_e32 v6, 0, v6, vcc
	v_add_u32_e32 v5, v6, v5
	v_cmp_lt_u32_e32 vcc, 1, v58
	s_nop 0
	v_mov_b32_dpp v6, v5 row_shr:2 row_mask:0xf bank_mask:0xf
	v_cndmask_b32_e32 v6, 0, v6, vcc
	v_add_u32_e32 v5, v5, v6
	ds_write_b32 v48, v5
.LBB220_150:                            ;   in Loop: Header=BB220_20 Depth=1
	s_or_b64 exec, exec, s[28:29]
	v_mov_b32_e32 v5, 0
	s_waitcnt lgkmcnt(0)
	s_barrier
	s_and_saveexec_b64 s[28:29], s[10:11]
; %bb.151:                              ;   in Loop: Header=BB220_20 Depth=1
	ds_read_b32 v5, v49
; %bb.152:                              ;   in Loop: Header=BB220_20 Depth=1
	s_or_b64 exec, exec, s[28:29]
	v_subrev_co_u32_e64 v6, s[28:29], 1, v45
	v_cmp_lt_i32_e32 vcc, v6, v59
	v_cndmask_b32_e32 v6, v6, v45, vcc
	s_waitcnt lgkmcnt(0)
	v_add_u32_e32 v4, v5, v4
	v_lshlrev_b32_e32 v64, 2, v6
	ds_bpermute_b32 v4, v64, v4
	s_waitcnt lgkmcnt(0)
	s_barrier
	s_and_saveexec_b64 s[30:31], s[4:5]
; %bb.153:                              ;   in Loop: Header=BB220_20 Depth=1
	v_cndmask_b32_e64 v4, v4, v5, s[28:29]
	v_add_u32_e32 v4, s49, v4
	ds_write_b32 v18, v4
; %bb.154:                              ;   in Loop: Header=BB220_20 Depth=1
	s_or_b64 exec, exec, s[30:31]
	s_load_dwordx2 s[30:31], s[44:45], 0x0
	v_add_co_u32_e32 v65, vcc, v35, v60
	v_addc_co_u32_e32 v66, vcc, 0, v36, vcc
	s_waitcnt lgkmcnt(0)
	s_cmp_lt_u32 s33, s31
	s_cselect_b32 s31, 14, 20
	s_add_u32 s34, s44, s31
	s_addc_u32 s35, s45, 0
	s_cmp_lt_u32 s48, s30
	s_cselect_b32 s30, 12, 18
	s_add_u32 s30, s44, s30
	global_load_ushort v4, v3, s[34:35]
	s_addc_u32 s31, s45, 0
	global_load_ushort v5, v3, s[30:31]
	v_add_co_u32_e32 v67, vcc, v37, v46
	v_cmp_eq_u32_e64 s[30:31], 0, v58
	v_cmp_lt_u32_e64 s[34:35], 1, v58
	v_addc_co_u32_e32 v68, vcc, 0, v38, vcc
	s_mov_b32 s60, s75
	s_mov_b32 s46, s49
                                        ; implicit-def: $vgpr7_vgpr8
                                        ; implicit-def: $vgpr9_vgpr10
                                        ; implicit-def: $vgpr11_vgpr12
                                        ; implicit-def: $vgpr69
                                        ; implicit-def: $vgpr70
                                        ; implicit-def: $vgpr72
                                        ; implicit-def: $vgpr73
	s_waitcnt vmcnt(1)
	v_mad_u32_u24 v4, v2, v4, v1
	s_waitcnt vmcnt(0)
	v_mad_u64_u32 v[4:5], s[36:37], v4, v5, v[0:1]
                                        ; implicit-def: $vgpr5_vgpr6
	v_lshrrev_b32_e32 v4, 4, v4
	v_and_b32_e32 v71, 0xffffffc, v4
	s_branch .LBB220_156
.LBB220_155:                            ;   in Loop: Header=BB220_156 Depth=2
	s_or_b64 exec, exec, s[36:37]
	s_addk_i32 s60, 0xfc00
	s_cmp_lt_u32 s61, s63
	s_mov_b32 s46, s61
	s_cbranch_scc0 .LBB220_220
.LBB220_156:                            ;   Parent Loop BB220_20 Depth=1
                                        ; =>  This Inner Loop Header: Depth=2
	s_add_i32 s61, s46, 0x400
	s_cmp_gt_u32 s61, s63
	s_cbranch_scc1 .LBB220_158
; %bb.157:                              ;   in Loop: Header=BB220_156 Depth=2
	v_add_co_u32_e32 v13, vcc, s46, v67
	v_addc_co_u32_e32 v14, vcc, 0, v68, vcc
	global_load_ubyte v17, v[13:14], off
	global_load_ubyte v75, v[13:14], off offset:64
	global_load_ubyte v76, v[13:14], off offset:128
	s_mov_b64 s[36:37], -1
	s_movk_i32 s40, 0x400
	s_cbranch_execz .LBB220_159
	s_branch .LBB220_166
.LBB220_158:                            ;   in Loop: Header=BB220_156 Depth=2
	s_mov_b64 s[36:37], 0
                                        ; implicit-def: $vgpr17
                                        ; implicit-def: $vgpr75
                                        ; implicit-def: $vgpr76
	s_movk_i32 s40, 0x400
.LBB220_159:                            ;   in Loop: Header=BB220_156 Depth=2
	v_add_co_u32_e32 v13, vcc, s46, v67
	v_addc_co_u32_e32 v14, vcc, 0, v68, vcc
	v_cmp_gt_u32_e32 vcc, s60, v47
	s_waitcnt vmcnt(1)
	v_mov_b32_e32 v75, 0xff
	v_mov_b32_e32 v17, 0xff
	s_and_saveexec_b64 s[36:37], vcc
	s_cbranch_execz .LBB220_161
; %bb.160:                              ;   in Loop: Header=BB220_156 Depth=2
	global_load_ubyte v17, v[13:14], off
.LBB220_161:                            ;   in Loop: Header=BB220_156 Depth=2
	s_or_b64 exec, exec, s[36:37]
	v_cmp_gt_u32_e32 vcc, s60, v61
	s_and_saveexec_b64 s[36:37], vcc
	s_cbranch_execz .LBB220_163
; %bb.162:                              ;   in Loop: Header=BB220_156 Depth=2
	global_load_ubyte v75, v[13:14], off offset:64
.LBB220_163:                            ;   in Loop: Header=BB220_156 Depth=2
	s_or_b64 exec, exec, s[36:37]
	v_cmp_gt_u32_e32 vcc, s60, v62
	s_waitcnt vmcnt(0)
	v_mov_b32_e32 v76, 0xff
	s_and_saveexec_b64 s[36:37], vcc
	s_cbranch_execz .LBB220_165
; %bb.164:                              ;   in Loop: Header=BB220_156 Depth=2
	global_load_ubyte v76, v[13:14], off offset:128
.LBB220_165:                            ;   in Loop: Header=BB220_156 Depth=2
	s_or_b64 exec, exec, s[36:37]
	s_sub_i32 s40, s63, s46
	v_cmp_gt_u32_e64 s[36:37], s60, v63
.LBB220_166:                            ;   in Loop: Header=BB220_156 Depth=2
	v_mov_b32_e32 v77, 0xff
	v_mov_b32_e32 v74, s60
	s_and_saveexec_b64 s[38:39], s[36:37]
	s_cbranch_execz .LBB220_168
; %bb.167:                              ;   in Loop: Header=BB220_156 Depth=2
	v_mov_b32_e32 v4, s47
	v_add_co_u32_e32 v13, vcc, s46, v67
	v_addc_co_u32_e32 v14, vcc, v68, v4, vcc
	global_load_ubyte v77, v[13:14], off offset:192
	v_mov_b32_e32 v74, s40
.LBB220_168:                            ;   in Loop: Header=BB220_156 Depth=2
	s_or_b64 exec, exec, s[38:39]
	s_waitcnt vmcnt(2)
	v_lshrrev_b32_sdwa v4, s58, v17 dst_sel:DWORD dst_unused:UNUSED_PAD src0_sel:DWORD src1_sel:BYTE_0
	v_and_b32_e32 v13, s59, v4
	v_and_b32_e32 v4, 1, v13
	v_add_co_u32_e32 v14, vcc, -1, v4
	v_addc_co_u32_e64 v16, s[36:37], 0, -1, vcc
	v_cmp_ne_u32_e32 vcc, 0, v4
	v_xor_b32_e32 v4, vcc_hi, v16
	v_and_b32_e32 v16, exec_hi, v4
	v_lshlrev_b32_e32 v4, 30, v13
	v_xor_b32_e32 v14, vcc_lo, v14
	v_cmp_gt_i64_e32 vcc, 0, v[3:4]
	v_not_b32_e32 v4, v4
	v_ashrrev_i32_e32 v4, 31, v4
	v_and_b32_e32 v14, exec_lo, v14
	v_xor_b32_e32 v78, vcc_hi, v4
	v_xor_b32_e32 v4, vcc_lo, v4
	v_and_b32_e32 v14, v14, v4
	v_lshlrev_b32_e32 v4, 29, v13
	v_cmp_gt_i64_e32 vcc, 0, v[3:4]
	v_not_b32_e32 v4, v4
	v_ashrrev_i32_e32 v4, 31, v4
	v_and_b32_e32 v16, v16, v78
	v_xor_b32_e32 v78, vcc_hi, v4
	v_xor_b32_e32 v4, vcc_lo, v4
	v_and_b32_e32 v14, v14, v4
	v_lshlrev_b32_e32 v4, 28, v13
	v_cmp_gt_i64_e32 vcc, 0, v[3:4]
	v_not_b32_e32 v4, v4
	v_ashrrev_i32_e32 v4, 31, v4
	v_and_b32_e32 v16, v16, v78
	;; [unrolled: 8-line block ×5, first 2 shown]
	v_xor_b32_e32 v78, vcc_hi, v4
	v_xor_b32_e32 v4, vcc_lo, v4
	v_and_b32_e32 v16, v16, v78
	v_and_b32_e32 v78, v14, v4
	v_lshlrev_b32_e32 v4, 24, v13
	v_cmp_gt_i64_e32 vcc, 0, v[3:4]
	v_not_b32_e32 v4, v4
	v_ashrrev_i32_e32 v4, 31, v4
	v_mul_u32_u24_e32 v15, 20, v13
	v_xor_b32_e32 v13, vcc_hi, v4
	v_xor_b32_e32 v4, vcc_lo, v4
	v_and_b32_e32 v14, v16, v13
	v_and_b32_e32 v13, v78, v4
	v_mbcnt_lo_u32_b32 v4, v13, 0
	v_mbcnt_hi_u32_b32 v78, v14, v4
	v_cmp_ne_u64_e32 vcc, 0, v[13:14]
	v_cmp_eq_u32_e64 s[36:37], 0, v78
	s_and_b64 s[38:39], vcc, s[36:37]
	v_add_u32_e32 v80, v71, v15
	ds_write2_b32 v53, v3, v3 offset1:1
	ds_write2_b32 v54, v3, v3 offset1:1
	ds_write_b32 v50, v3 offset:1056
	s_waitcnt vmcnt(0) lgkmcnt(0)
	s_barrier
	; wave barrier
	s_and_saveexec_b64 s[36:37], s[38:39]
; %bb.169:                              ;   in Loop: Header=BB220_156 Depth=2
	v_bcnt_u32_b32 v4, v13, 0
	v_bcnt_u32_b32 v4, v14, v4
	ds_write_b32 v80, v4 offset:1040
; %bb.170:                              ;   in Loop: Header=BB220_156 Depth=2
	s_or_b64 exec, exec, s[36:37]
	v_lshrrev_b32_sdwa v4, s58, v75 dst_sel:DWORD dst_unused:UNUSED_PAD src0_sel:DWORD src1_sel:BYTE_0
	v_and_b32_e32 v13, s59, v4
	v_mad_u32_u24 v4, v13, 20, v71
	; wave barrier
	ds_read_b32 v79, v4 offset:1040
	v_and_b32_e32 v4, 1, v13
	v_add_co_u32_e32 v14, vcc, -1, v4
	v_addc_co_u32_e64 v16, s[36:37], 0, -1, vcc
	v_cmp_ne_u32_e32 vcc, 0, v4
	v_xor_b32_e32 v4, vcc_hi, v16
	v_and_b32_e32 v16, exec_hi, v4
	v_lshlrev_b32_e32 v4, 30, v13
	v_xor_b32_e32 v14, vcc_lo, v14
	v_cmp_gt_i64_e32 vcc, 0, v[3:4]
	v_not_b32_e32 v4, v4
	v_ashrrev_i32_e32 v4, 31, v4
	v_and_b32_e32 v14, exec_lo, v14
	v_xor_b32_e32 v81, vcc_hi, v4
	v_xor_b32_e32 v4, vcc_lo, v4
	v_and_b32_e32 v14, v14, v4
	v_lshlrev_b32_e32 v4, 29, v13
	v_cmp_gt_i64_e32 vcc, 0, v[3:4]
	v_not_b32_e32 v4, v4
	v_ashrrev_i32_e32 v4, 31, v4
	v_and_b32_e32 v16, v16, v81
	v_xor_b32_e32 v81, vcc_hi, v4
	v_xor_b32_e32 v4, vcc_lo, v4
	v_and_b32_e32 v14, v14, v4
	v_lshlrev_b32_e32 v4, 28, v13
	v_cmp_gt_i64_e32 vcc, 0, v[3:4]
	v_not_b32_e32 v4, v4
	v_ashrrev_i32_e32 v4, 31, v4
	v_and_b32_e32 v16, v16, v81
	;; [unrolled: 8-line block ×5, first 2 shown]
	v_xor_b32_e32 v81, vcc_hi, v4
	v_xor_b32_e32 v4, vcc_lo, v4
	v_and_b32_e32 v16, v16, v81
	v_and_b32_e32 v81, v14, v4
	v_lshlrev_b32_e32 v4, 24, v13
	v_cmp_gt_i64_e32 vcc, 0, v[3:4]
	v_not_b32_e32 v4, v4
	v_ashrrev_i32_e32 v4, 31, v4
	v_mul_u32_u24_e32 v15, 20, v13
	v_xor_b32_e32 v13, vcc_hi, v4
	v_xor_b32_e32 v4, vcc_lo, v4
	v_and_b32_e32 v14, v16, v13
	v_and_b32_e32 v13, v81, v4
	v_mbcnt_lo_u32_b32 v4, v13, 0
	v_mbcnt_hi_u32_b32 v81, v14, v4
	v_cmp_ne_u64_e32 vcc, 0, v[13:14]
	v_cmp_eq_u32_e64 s[36:37], 0, v81
	s_and_b64 s[38:39], vcc, s[36:37]
	v_add_u32_e32 v83, v71, v15
	; wave barrier
	s_and_saveexec_b64 s[36:37], s[38:39]
	s_cbranch_execz .LBB220_172
; %bb.171:                              ;   in Loop: Header=BB220_156 Depth=2
	v_bcnt_u32_b32 v4, v13, 0
	v_bcnt_u32_b32 v4, v14, v4
	s_waitcnt lgkmcnt(0)
	v_add_u32_e32 v4, v79, v4
	ds_write_b32 v83, v4 offset:1040
.LBB220_172:                            ;   in Loop: Header=BB220_156 Depth=2
	s_or_b64 exec, exec, s[36:37]
	v_lshrrev_b32_sdwa v4, s58, v76 dst_sel:DWORD dst_unused:UNUSED_PAD src0_sel:DWORD src1_sel:BYTE_0
	v_and_b32_e32 v13, s59, v4
	v_mad_u32_u24 v4, v13, 20, v71
	; wave barrier
	ds_read_b32 v82, v4 offset:1040
	v_and_b32_e32 v4, 1, v13
	v_add_co_u32_e32 v14, vcc, -1, v4
	v_addc_co_u32_e64 v16, s[36:37], 0, -1, vcc
	v_cmp_ne_u32_e32 vcc, 0, v4
	v_xor_b32_e32 v4, vcc_hi, v16
	v_and_b32_e32 v16, exec_hi, v4
	v_lshlrev_b32_e32 v4, 30, v13
	v_xor_b32_e32 v14, vcc_lo, v14
	v_cmp_gt_i64_e32 vcc, 0, v[3:4]
	v_not_b32_e32 v4, v4
	v_ashrrev_i32_e32 v4, 31, v4
	v_and_b32_e32 v14, exec_lo, v14
	v_xor_b32_e32 v84, vcc_hi, v4
	v_xor_b32_e32 v4, vcc_lo, v4
	v_and_b32_e32 v14, v14, v4
	v_lshlrev_b32_e32 v4, 29, v13
	v_cmp_gt_i64_e32 vcc, 0, v[3:4]
	v_not_b32_e32 v4, v4
	v_ashrrev_i32_e32 v4, 31, v4
	v_and_b32_e32 v16, v16, v84
	v_xor_b32_e32 v84, vcc_hi, v4
	v_xor_b32_e32 v4, vcc_lo, v4
	v_and_b32_e32 v14, v14, v4
	v_lshlrev_b32_e32 v4, 28, v13
	v_cmp_gt_i64_e32 vcc, 0, v[3:4]
	v_not_b32_e32 v4, v4
	v_ashrrev_i32_e32 v4, 31, v4
	v_and_b32_e32 v16, v16, v84
	;; [unrolled: 8-line block ×5, first 2 shown]
	v_xor_b32_e32 v84, vcc_hi, v4
	v_xor_b32_e32 v4, vcc_lo, v4
	v_and_b32_e32 v16, v16, v84
	v_and_b32_e32 v84, v14, v4
	v_lshlrev_b32_e32 v4, 24, v13
	v_cmp_gt_i64_e32 vcc, 0, v[3:4]
	v_not_b32_e32 v4, v4
	v_ashrrev_i32_e32 v4, 31, v4
	v_mul_u32_u24_e32 v15, 20, v13
	v_xor_b32_e32 v13, vcc_hi, v4
	v_xor_b32_e32 v4, vcc_lo, v4
	v_and_b32_e32 v14, v16, v13
	v_and_b32_e32 v13, v84, v4
	v_mbcnt_lo_u32_b32 v4, v13, 0
	v_mbcnt_hi_u32_b32 v84, v14, v4
	v_cmp_ne_u64_e32 vcc, 0, v[13:14]
	v_cmp_eq_u32_e64 s[36:37], 0, v84
	s_and_b64 s[38:39], vcc, s[36:37]
	v_add_u32_e32 v86, v71, v15
	; wave barrier
	s_and_saveexec_b64 s[36:37], s[38:39]
	s_cbranch_execz .LBB220_174
; %bb.173:                              ;   in Loop: Header=BB220_156 Depth=2
	v_bcnt_u32_b32 v4, v13, 0
	v_bcnt_u32_b32 v4, v14, v4
	s_waitcnt lgkmcnt(0)
	v_add_u32_e32 v4, v82, v4
	ds_write_b32 v86, v4 offset:1040
.LBB220_174:                            ;   in Loop: Header=BB220_156 Depth=2
	s_or_b64 exec, exec, s[36:37]
	v_lshrrev_b32_sdwa v4, s58, v77 dst_sel:DWORD dst_unused:UNUSED_PAD src0_sel:DWORD src1_sel:BYTE_0
	v_and_b32_e32 v13, s59, v4
	v_mad_u32_u24 v4, v13, 20, v71
	; wave barrier
	ds_read_b32 v85, v4 offset:1040
	v_and_b32_e32 v4, 1, v13
	v_add_co_u32_e32 v14, vcc, -1, v4
	v_addc_co_u32_e64 v16, s[36:37], 0, -1, vcc
	v_cmp_ne_u32_e32 vcc, 0, v4
	v_xor_b32_e32 v4, vcc_hi, v16
	v_and_b32_e32 v16, exec_hi, v4
	v_lshlrev_b32_e32 v4, 30, v13
	v_xor_b32_e32 v14, vcc_lo, v14
	v_cmp_gt_i64_e32 vcc, 0, v[3:4]
	v_not_b32_e32 v4, v4
	v_ashrrev_i32_e32 v4, 31, v4
	v_and_b32_e32 v14, exec_lo, v14
	v_xor_b32_e32 v87, vcc_hi, v4
	v_xor_b32_e32 v4, vcc_lo, v4
	v_and_b32_e32 v14, v14, v4
	v_lshlrev_b32_e32 v4, 29, v13
	v_cmp_gt_i64_e32 vcc, 0, v[3:4]
	v_not_b32_e32 v4, v4
	v_ashrrev_i32_e32 v4, 31, v4
	v_and_b32_e32 v16, v16, v87
	v_xor_b32_e32 v87, vcc_hi, v4
	v_xor_b32_e32 v4, vcc_lo, v4
	v_and_b32_e32 v14, v14, v4
	v_lshlrev_b32_e32 v4, 28, v13
	v_cmp_gt_i64_e32 vcc, 0, v[3:4]
	v_not_b32_e32 v4, v4
	v_ashrrev_i32_e32 v4, 31, v4
	v_and_b32_e32 v16, v16, v87
	;; [unrolled: 8-line block ×5, first 2 shown]
	v_xor_b32_e32 v87, vcc_hi, v4
	v_xor_b32_e32 v4, vcc_lo, v4
	v_and_b32_e32 v16, v16, v87
	v_and_b32_e32 v87, v14, v4
	v_lshlrev_b32_e32 v4, 24, v13
	v_cmp_gt_i64_e32 vcc, 0, v[3:4]
	v_not_b32_e32 v4, v4
	v_ashrrev_i32_e32 v4, 31, v4
	v_mul_u32_u24_e32 v15, 20, v13
	v_xor_b32_e32 v13, vcc_hi, v4
	v_xor_b32_e32 v4, vcc_lo, v4
	v_and_b32_e32 v14, v16, v13
	v_and_b32_e32 v13, v87, v4
	v_mbcnt_lo_u32_b32 v4, v13, 0
	v_mbcnt_hi_u32_b32 v4, v14, v4
	v_cmp_ne_u64_e32 vcc, 0, v[13:14]
	v_cmp_eq_u32_e64 s[36:37], 0, v4
	s_and_b64 s[38:39], vcc, s[36:37]
	v_add_u32_e32 v87, v71, v15
	; wave barrier
	s_and_saveexec_b64 s[36:37], s[38:39]
	s_cbranch_execz .LBB220_176
; %bb.175:                              ;   in Loop: Header=BB220_156 Depth=2
	v_bcnt_u32_b32 v13, v13, 0
	v_bcnt_u32_b32 v13, v14, v13
	s_waitcnt lgkmcnt(0)
	v_add_u32_e32 v13, v85, v13
	ds_write_b32 v87, v13 offset:1040
.LBB220_176:                            ;   in Loop: Header=BB220_156 Depth=2
	s_or_b64 exec, exec, s[36:37]
	; wave barrier
	s_waitcnt lgkmcnt(0)
	s_barrier
	ds_read2_b32 v[15:16], v53 offset1:1
	ds_read2_b32 v[13:14], v54 offset1:1
	ds_read_b32 v88, v50 offset:1056
	s_waitcnt lgkmcnt(1)
	v_add3_u32 v89, v16, v15, v13
	s_waitcnt lgkmcnt(0)
	v_add3_u32 v88, v89, v14, v88
	s_nop 1
	v_mov_b32_dpp v89, v88 row_shr:1 row_mask:0xf bank_mask:0xf
	v_cndmask_b32_e64 v89, v89, 0, s[16:17]
	v_add_u32_e32 v88, v89, v88
	s_nop 1
	v_mov_b32_dpp v89, v88 row_shr:2 row_mask:0xf bank_mask:0xf
	v_cndmask_b32_e64 v89, 0, v89, s[18:19]
	v_add_u32_e32 v88, v88, v89
	;; [unrolled: 4-line block ×4, first 2 shown]
	s_nop 1
	v_mov_b32_dpp v89, v88 row_bcast:15 row_mask:0xf bank_mask:0xf
	v_cndmask_b32_e64 v89, v89, 0, s[24:25]
	v_add_u32_e32 v88, v88, v89
	s_nop 1
	v_mov_b32_dpp v89, v88 row_bcast:31 row_mask:0xf bank_mask:0xf
	v_cndmask_b32_e64 v89, 0, v89, s[26:27]
	v_add_u32_e32 v88, v88, v89
	s_and_saveexec_b64 s[36:37], s[6:7]
; %bb.177:                              ;   in Loop: Header=BB220_156 Depth=2
	ds_write_b32 v26, v88 offset:1024
; %bb.178:                              ;   in Loop: Header=BB220_156 Depth=2
	s_or_b64 exec, exec, s[36:37]
	s_waitcnt lgkmcnt(0)
	s_barrier
	s_and_saveexec_b64 s[36:37], s[8:9]
	s_cbranch_execz .LBB220_180
; %bb.179:                              ;   in Loop: Header=BB220_156 Depth=2
	v_add_u32_e32 v89, v50, v28
	ds_read_b32 v90, v89 offset:1024
	s_waitcnt lgkmcnt(0)
	s_nop 0
	v_mov_b32_dpp v91, v90 row_shr:1 row_mask:0xf bank_mask:0xf
	v_cndmask_b32_e64 v91, v91, 0, s[30:31]
	v_add_u32_e32 v90, v91, v90
	s_nop 1
	v_mov_b32_dpp v91, v90 row_shr:2 row_mask:0xf bank_mask:0xf
	v_cndmask_b32_e64 v91, 0, v91, s[34:35]
	v_add_u32_e32 v90, v90, v91
	ds_write_b32 v89, v90 offset:1024
.LBB220_180:                            ;   in Loop: Header=BB220_156 Depth=2
	s_or_b64 exec, exec, s[36:37]
	v_mov_b32_e32 v89, 0
	s_waitcnt lgkmcnt(0)
	s_barrier
	s_and_saveexec_b64 s[36:37], s[10:11]
; %bb.181:                              ;   in Loop: Header=BB220_156 Depth=2
	ds_read_b32 v89, v26 offset:1020
; %bb.182:                              ;   in Loop: Header=BB220_156 Depth=2
	s_or_b64 exec, exec, s[36:37]
	s_waitcnt lgkmcnt(0)
	v_add_u32_e32 v88, v89, v88
	ds_bpermute_b32 v88, v64, v88
	s_waitcnt lgkmcnt(0)
	v_cndmask_b32_e64 v88, v88, v89, s[28:29]
	v_cndmask_b32_e64 v88, v88, 0, s[12:13]
	v_add_u32_e32 v15, v88, v15
	v_add_u32_e32 v16, v15, v16
	;; [unrolled: 1-line block ×4, first 2 shown]
	ds_write2_b32 v53, v88, v15 offset1:1
	ds_write2_b32 v54, v16, v13 offset1:1
	ds_write_b32 v50, v14 offset:1056
	s_waitcnt lgkmcnt(0)
	s_barrier
	ds_read_b32 v13, v80 offset:1040
	ds_read_b32 v14, v83 offset:1040
	;; [unrolled: 1-line block ×5, first 2 shown]
	v_mov_b32_e32 v80, 0x400
	s_and_saveexec_b64 s[36:37], s[14:15]
; %bb.183:                              ;   in Loop: Header=BB220_156 Depth=2
	ds_read_b32 v80, v50 offset:1060
; %bb.184:                              ;   in Loop: Header=BB220_156 Depth=2
	s_or_b64 exec, exec, s[36:37]
	s_waitcnt lgkmcnt(0)
	s_barrier
	s_and_saveexec_b64 s[36:37], s[4:5]
	s_cbranch_execz .LBB220_186
; %bb.185:                              ;   in Loop: Header=BB220_156 Depth=2
	ds_read_b32 v86, v18
	s_waitcnt lgkmcnt(0)
	v_sub_u32_e32 v15, v86, v15
	ds_write_b32 v18, v15
.LBB220_186:                            ;   in Loop: Header=BB220_156 Depth=2
	s_or_b64 exec, exec, s[36:37]
	v_add_u32_e32 v15, v13, v78
	v_add3_u32 v14, v81, v79, v14
	v_add3_u32 v13, v84, v82, v16
	;; [unrolled: 1-line block ×3, first 2 shown]
	v_cmp_lt_u32_e64 s[40:41], v0, v74
	ds_write_b8 v15, v17 offset:1024
	ds_write_b8 v14, v75 offset:1024
	;; [unrolled: 1-line block ×4, first 2 shown]
	s_waitcnt lgkmcnt(0)
	s_barrier
	s_and_saveexec_b64 s[36:37], s[40:41]
	s_cbranch_execnz .LBB220_207
; %bb.187:                              ;   in Loop: Header=BB220_156 Depth=2
	s_or_b64 exec, exec, s[36:37]
	v_cmp_lt_u32_e64 s[38:39], v19, v74
	s_and_saveexec_b64 s[36:37], s[38:39]
	s_cbranch_execnz .LBB220_208
.LBB220_188:                            ;   in Loop: Header=BB220_156 Depth=2
	s_or_b64 exec, exec, s[36:37]
	v_cmp_lt_u32_e64 s[36:37], v20, v74
	s_and_saveexec_b64 s[42:43], s[36:37]
	s_cbranch_execnz .LBB220_209
.LBB220_189:                            ;   in Loop: Header=BB220_156 Depth=2
	s_or_b64 exec, exec, s[42:43]
	v_cmp_lt_u32_e32 vcc, v21, v74
	s_and_saveexec_b64 s[42:43], vcc
	s_cbranch_execz .LBB220_191
.LBB220_190:                            ;   in Loop: Header=BB220_156 Depth=2
	ds_read_u8 v16, v0 offset:1792
	s_waitcnt lgkmcnt(0)
	v_lshrrev_b32_sdwa v17, s58, v16 dst_sel:DWORD dst_unused:UNUSED_PAD src0_sel:DWORD src1_sel:BYTE_0
	v_and_b32_e32 v17, s59, v17
	v_lshlrev_b32_e32 v17, 2, v17
	ds_read_b32 v17, v17
	s_waitcnt lgkmcnt(0)
	v_add_u32_e32 v17, v17, v21
	global_store_byte v17, v16, s[68:69]
.LBB220_191:                            ;   in Loop: Header=BB220_156 Depth=2
	s_or_b64 exec, exec, s[42:43]
	s_lshl_b64 s[42:43], s[46:47], 3
	v_mov_b32_e32 v17, s43
	v_add_co_u32_e64 v16, s[42:43], s42, v65
	v_addc_co_u32_e64 v17, s[42:43], v66, v17, s[42:43]
	v_cmp_lt_u32_e64 s[42:43], v47, v74
	s_and_saveexec_b64 s[56:57], s[42:43]
	s_xor_b64 s[42:43], exec, s[56:57]
	s_cbranch_execnz .LBB220_210
; %bb.192:                              ;   in Loop: Header=BB220_156 Depth=2
	s_or_b64 exec, exec, s[42:43]
	v_cmp_lt_u32_e64 s[42:43], v61, v74
	s_and_saveexec_b64 s[56:57], s[42:43]
	s_cbranch_execnz .LBB220_211
.LBB220_193:                            ;   in Loop: Header=BB220_156 Depth=2
	s_or_b64 exec, exec, s[56:57]
	v_cmp_lt_u32_e64 s[42:43], v62, v74
	s_and_saveexec_b64 s[56:57], s[42:43]
	s_cbranch_execnz .LBB220_212
.LBB220_194:                            ;   in Loop: Header=BB220_156 Depth=2
	s_or_b64 exec, exec, s[56:57]
	v_cmp_lt_u32_e64 s[42:43], v63, v74
	s_and_saveexec_b64 s[56:57], s[42:43]
	s_cbranch_execnz .LBB220_213
.LBB220_195:                            ;   in Loop: Header=BB220_156 Depth=2
	s_or_b64 exec, exec, s[56:57]
	s_and_saveexec_b64 s[42:43], s[40:41]
	s_cbranch_execnz .LBB220_214
.LBB220_196:                            ;   in Loop: Header=BB220_156 Depth=2
	s_or_b64 exec, exec, s[42:43]
	s_and_saveexec_b64 s[42:43], s[38:39]
	s_cbranch_execnz .LBB220_215
.LBB220_197:                            ;   in Loop: Header=BB220_156 Depth=2
	s_or_b64 exec, exec, s[42:43]
	s_and_saveexec_b64 s[42:43], s[36:37]
	s_cbranch_execnz .LBB220_216
.LBB220_198:                            ;   in Loop: Header=BB220_156 Depth=2
	s_or_b64 exec, exec, s[42:43]
	s_and_saveexec_b64 s[42:43], vcc
	s_cbranch_execz .LBB220_200
.LBB220_199:                            ;   in Loop: Header=BB220_156 Depth=2
	ds_read_u8 v16, v0 offset:1792
	s_waitcnt lgkmcnt(0)
	v_lshrrev_b32_e32 v16, s58, v16
	v_and_b32_e32 v69, s59, v16
.LBB220_200:                            ;   in Loop: Header=BB220_156 Depth=2
	s_or_b64 exec, exec, s[42:43]
	v_mad_u64_u32 v[15:16], s[42:43], v15, 7, v[15:16]
	s_waitcnt vmcnt(0)
	v_mad_u64_u32 v[74:75], s[42:43], v4, 7, v[4:5]
	v_mad_u64_u32 v[16:17], s[42:43], v14, 7, v[14:15]
	;; [unrolled: 1-line block ×3, first 2 shown]
	s_barrier
	ds_write_b64 v15, v[11:12] offset:1024
	ds_write_b64 v16, v[9:10] offset:1024
	;; [unrolled: 1-line block ×4, first 2 shown]
	s_waitcnt lgkmcnt(0)
	s_barrier
	s_and_saveexec_b64 s[42:43], s[40:41]
	s_cbranch_execnz .LBB220_217
; %bb.201:                              ;   in Loop: Header=BB220_156 Depth=2
	s_or_b64 exec, exec, s[42:43]
	s_and_saveexec_b64 s[40:41], s[38:39]
	s_cbranch_execnz .LBB220_218
.LBB220_202:                            ;   in Loop: Header=BB220_156 Depth=2
	s_or_b64 exec, exec, s[40:41]
	s_and_saveexec_b64 s[38:39], s[36:37]
	s_cbranch_execnz .LBB220_219
.LBB220_203:                            ;   in Loop: Header=BB220_156 Depth=2
	s_or_b64 exec, exec, s[38:39]
	s_and_saveexec_b64 s[36:37], vcc
	s_cbranch_execz .LBB220_205
.LBB220_204:                            ;   in Loop: Header=BB220_156 Depth=2
	v_lshlrev_b32_e32 v4, 2, v69
	ds_read_b32 v4, v4
	v_add_u32_e32 v13, v0, v51
	ds_read_b64 v[13:14], v13 offset:7168
	v_mov_b32_e32 v16, v3
	v_mov_b32_e32 v17, s55
	s_waitcnt lgkmcnt(1)
	v_add_u32_e32 v15, v4, v21
	v_lshlrev_b64 v[15:16], 3, v[15:16]
	v_add_co_u32_e32 v15, vcc, s54, v15
	v_addc_co_u32_e32 v16, vcc, v17, v16, vcc
	s_waitcnt lgkmcnt(0)
	global_store_dwordx2 v[15:16], v[13:14], off
.LBB220_205:                            ;   in Loop: Header=BB220_156 Depth=2
	s_or_b64 exec, exec, s[36:37]
	s_waitcnt vmcnt(0)
	s_barrier
	s_and_saveexec_b64 s[36:37], s[4:5]
	s_cbranch_execz .LBB220_155
; %bb.206:                              ;   in Loop: Header=BB220_156 Depth=2
	ds_read_b32 v4, v18
	s_waitcnt lgkmcnt(0)
	v_add_u32_e32 v4, v4, v80
	ds_write_b32 v18, v4
	s_branch .LBB220_155
.LBB220_207:                            ;   in Loop: Header=BB220_156 Depth=2
	ds_read_u8 v16, v0 offset:1024
	s_waitcnt lgkmcnt(0)
	v_lshrrev_b32_sdwa v17, s58, v16 dst_sel:DWORD dst_unused:UNUSED_PAD src0_sel:DWORD src1_sel:BYTE_0
	v_and_b32_e32 v17, s59, v17
	v_lshlrev_b32_e32 v17, 2, v17
	ds_read_b32 v17, v17
	s_waitcnt lgkmcnt(0)
	v_add_u32_e32 v17, v17, v0
	global_store_byte v17, v16, s[68:69]
	s_or_b64 exec, exec, s[36:37]
	v_cmp_lt_u32_e64 s[38:39], v19, v74
	s_and_saveexec_b64 s[36:37], s[38:39]
	s_cbranch_execz .LBB220_188
.LBB220_208:                            ;   in Loop: Header=BB220_156 Depth=2
	ds_read_u8 v16, v0 offset:1280
	s_waitcnt lgkmcnt(0)
	v_lshrrev_b32_sdwa v17, s58, v16 dst_sel:DWORD dst_unused:UNUSED_PAD src0_sel:DWORD src1_sel:BYTE_0
	v_and_b32_e32 v17, s59, v17
	v_lshlrev_b32_e32 v17, 2, v17
	ds_read_b32 v17, v17
	s_waitcnt lgkmcnt(0)
	v_add_u32_e32 v17, v17, v19
	global_store_byte v17, v16, s[68:69]
	s_or_b64 exec, exec, s[36:37]
	v_cmp_lt_u32_e64 s[36:37], v20, v74
	s_and_saveexec_b64 s[42:43], s[36:37]
	s_cbranch_execz .LBB220_189
.LBB220_209:                            ;   in Loop: Header=BB220_156 Depth=2
	ds_read_u8 v16, v0 offset:1536
	s_waitcnt lgkmcnt(0)
	v_lshrrev_b32_sdwa v17, s58, v16 dst_sel:DWORD dst_unused:UNUSED_PAD src0_sel:DWORD src1_sel:BYTE_0
	v_and_b32_e32 v17, s59, v17
	v_lshlrev_b32_e32 v17, 2, v17
	ds_read_b32 v17, v17
	s_waitcnt lgkmcnt(0)
	v_add_u32_e32 v17, v17, v20
	global_store_byte v17, v16, s[68:69]
	s_or_b64 exec, exec, s[42:43]
	v_cmp_lt_u32_e32 vcc, v21, v74
	s_and_saveexec_b64 s[42:43], vcc
	s_cbranch_execnz .LBB220_190
	s_branch .LBB220_191
.LBB220_210:                            ;   in Loop: Header=BB220_156 Depth=2
	global_load_dwordx2 v[11:12], v[16:17], off
	s_or_b64 exec, exec, s[42:43]
	v_cmp_lt_u32_e64 s[42:43], v61, v74
	s_and_saveexec_b64 s[56:57], s[42:43]
	s_cbranch_execz .LBB220_193
.LBB220_211:                            ;   in Loop: Header=BB220_156 Depth=2
	global_load_dwordx2 v[9:10], v[16:17], off offset:512
	s_or_b64 exec, exec, s[56:57]
	v_cmp_lt_u32_e64 s[42:43], v62, v74
	s_and_saveexec_b64 s[56:57], s[42:43]
	s_cbranch_execz .LBB220_194
.LBB220_212:                            ;   in Loop: Header=BB220_156 Depth=2
	global_load_dwordx2 v[7:8], v[16:17], off offset:1024
	s_or_b64 exec, exec, s[56:57]
	v_cmp_lt_u32_e64 s[42:43], v63, v74
	s_and_saveexec_b64 s[56:57], s[42:43]
	s_cbranch_execz .LBB220_195
.LBB220_213:                            ;   in Loop: Header=BB220_156 Depth=2
	global_load_dwordx2 v[5:6], v[16:17], off offset:1536
	s_or_b64 exec, exec, s[56:57]
	s_and_saveexec_b64 s[42:43], s[40:41]
	s_cbranch_execz .LBB220_196
.LBB220_214:                            ;   in Loop: Header=BB220_156 Depth=2
	ds_read_u8 v16, v0 offset:1024
	s_waitcnt lgkmcnt(0)
	v_lshrrev_b32_e32 v16, s58, v16
	v_and_b32_e32 v73, s59, v16
	s_or_b64 exec, exec, s[42:43]
	s_and_saveexec_b64 s[42:43], s[38:39]
	s_cbranch_execz .LBB220_197
.LBB220_215:                            ;   in Loop: Header=BB220_156 Depth=2
	ds_read_u8 v16, v0 offset:1280
	s_waitcnt lgkmcnt(0)
	v_lshrrev_b32_e32 v16, s58, v16
	v_and_b32_e32 v72, s59, v16
	s_or_b64 exec, exec, s[42:43]
	s_and_saveexec_b64 s[42:43], s[36:37]
	s_cbranch_execz .LBB220_198
.LBB220_216:                            ;   in Loop: Header=BB220_156 Depth=2
	ds_read_u8 v16, v0 offset:1536
	s_waitcnt lgkmcnt(0)
	v_lshrrev_b32_e32 v16, s58, v16
	v_and_b32_e32 v70, s59, v16
	s_or_b64 exec, exec, s[42:43]
	s_and_saveexec_b64 s[42:43], vcc
	s_cbranch_execnz .LBB220_199
	s_branch .LBB220_200
.LBB220_217:                            ;   in Loop: Header=BB220_156 Depth=2
	v_lshlrev_b32_e32 v4, 2, v73
	ds_read_b32 v4, v4
	v_add_u32_e32 v13, v0, v51
	ds_read_b64 v[13:14], v13 offset:1024
	v_mov_b32_e32 v16, v3
	v_mov_b32_e32 v17, s55
	s_waitcnt lgkmcnt(1)
	v_add_u32_e32 v15, v4, v0
	v_lshlrev_b64 v[15:16], 3, v[15:16]
	v_add_co_u32_e64 v15, s[40:41], s54, v15
	v_addc_co_u32_e64 v16, s[40:41], v17, v16, s[40:41]
	s_waitcnt lgkmcnt(0)
	global_store_dwordx2 v[15:16], v[13:14], off
	s_or_b64 exec, exec, s[42:43]
	s_and_saveexec_b64 s[40:41], s[38:39]
	s_cbranch_execz .LBB220_202
.LBB220_218:                            ;   in Loop: Header=BB220_156 Depth=2
	v_lshlrev_b32_e32 v4, 2, v72
	ds_read_b32 v4, v4
	v_add_u32_e32 v13, v0, v51
	ds_read_b64 v[13:14], v13 offset:3072
	v_mov_b32_e32 v16, v3
	v_mov_b32_e32 v17, s55
	s_waitcnt lgkmcnt(1)
	v_add_u32_e32 v15, v4, v19
	v_lshlrev_b64 v[15:16], 3, v[15:16]
	v_add_co_u32_e64 v15, s[38:39], s54, v15
	v_addc_co_u32_e64 v16, s[38:39], v17, v16, s[38:39]
	s_waitcnt lgkmcnt(0)
	global_store_dwordx2 v[15:16], v[13:14], off
	s_or_b64 exec, exec, s[40:41]
	s_and_saveexec_b64 s[38:39], s[36:37]
	s_cbranch_execz .LBB220_203
.LBB220_219:                            ;   in Loop: Header=BB220_156 Depth=2
	v_lshlrev_b32_e32 v4, 2, v70
	ds_read_b32 v4, v4
	v_add_u32_e32 v13, v0, v51
	ds_read_b64 v[13:14], v13 offset:5120
	v_mov_b32_e32 v16, v3
	v_mov_b32_e32 v17, s55
	s_waitcnt lgkmcnt(1)
	v_add_u32_e32 v15, v4, v20
	v_lshlrev_b64 v[15:16], 3, v[15:16]
	v_add_co_u32_e64 v15, s[36:37], s54, v15
	v_addc_co_u32_e64 v16, s[36:37], v17, v16, s[36:37]
	s_waitcnt lgkmcnt(0)
	global_store_dwordx2 v[15:16], v[13:14], off
	s_or_b64 exec, exec, s[38:39]
	s_and_saveexec_b64 s[36:37], vcc
	s_cbranch_execnz .LBB220_204
	s_branch .LBB220_205
.LBB220_220:                            ;   in Loop: Header=BB220_20 Depth=1
	s_waitcnt lgkmcnt(0)
	s_barrier
.LBB220_221:                            ;   in Loop: Header=BB220_20 Depth=1
	s_mov_b64 s[16:17], 0
.LBB220_222:                            ;   in Loop: Header=BB220_20 Depth=1
	s_andn2_b64 vcc, exec, s[16:17]
	s_cbranch_vccnz .LBB220_19
; %bb.223:                              ;   in Loop: Header=BB220_20 Depth=1
	s_mov_b64 s[16:17], -1
	s_and_b64 vcc, exec, s[50:51]
	s_cbranch_vccz .LBB220_323
; %bb.224:                              ;   in Loop: Header=BB220_20 Depth=1
	v_mov_b32_e32 v4, 0
	s_mov_b32 s18, s75
	s_mov_b32 s20, s49
	v_mov_b32_e32 v7, 0
	v_mov_b32_e32 v6, 0
	;; [unrolled: 1-line block ×3, first 2 shown]
	s_barrier
	s_branch .LBB220_226
.LBB220_225:                            ;   in Loop: Header=BB220_226 Depth=2
	s_or_b64 exec, exec, s[16:17]
	s_addk_i32 s18, 0xfc00
	s_cmp_ge_u32 s19, s63
	s_mov_b32 s20, s19
	s_cbranch_scc1 .LBB220_246
.LBB220_226:                            ;   Parent Loop BB220_20 Depth=1
                                        ; =>  This Inner Loop Header: Depth=2
	s_add_i32 s19, s20, 0x400
	s_cmp_gt_u32 s19, s63
	s_mov_b64 s[16:17], -1
                                        ; implicit-def: $vgpr8
                                        ; implicit-def: $vgpr9
                                        ; implicit-def: $vgpr10
                                        ; implicit-def: $vgpr11
	s_cbranch_scc1 .LBB220_228
; %bb.227:                              ;   in Loop: Header=BB220_226 Depth=2
	v_add_co_u32_e32 v12, vcc, s20, v39
	v_addc_co_u32_e32 v13, vcc, 0, v40, vcc
	global_load_ubyte v11, v[12:13], off offset:768
	global_load_ubyte v10, v[12:13], off offset:512
	global_load_ubyte v9, v[12:13], off offset:256
	global_load_ubyte v8, v[12:13], off
	s_mov_b64 s[16:17], 0
.LBB220_228:                            ;   in Loop: Header=BB220_226 Depth=2
	s_andn2_b64 vcc, exec, s[16:17]
	s_movk_i32 s21, 0x400
	s_cbranch_vccnz .LBB220_235
; %bb.229:                              ;   in Loop: Header=BB220_226 Depth=2
	s_add_u32 s20, s64, s20
	s_addc_u32 s21, s65, 0
	v_cmp_gt_u32_e32 vcc, s18, v0
	s_and_saveexec_b64 s[16:17], vcc
	s_cbranch_execnz .LBB220_243
; %bb.230:                              ;   in Loop: Header=BB220_226 Depth=2
	s_or_b64 exec, exec, s[16:17]
	v_cmp_gt_u32_e32 vcc, s18, v19
	s_and_saveexec_b64 s[16:17], vcc
	s_cbranch_execnz .LBB220_244
.LBB220_231:                            ;   in Loop: Header=BB220_226 Depth=2
	s_or_b64 exec, exec, s[16:17]
	v_cmp_gt_u32_e32 vcc, s18, v20
	s_and_saveexec_b64 s[16:17], vcc
	s_cbranch_execnz .LBB220_245
.LBB220_232:                            ;   in Loop: Header=BB220_226 Depth=2
	s_or_b64 exec, exec, s[16:17]
	v_cmp_gt_u32_e32 vcc, s18, v21
	s_and_saveexec_b64 s[16:17], vcc
	s_cbranch_execz .LBB220_234
.LBB220_233:                            ;   in Loop: Header=BB220_226 Depth=2
	v_mov_b32_e32 v5, s21
	s_waitcnt vmcnt(0)
	v_add_co_u32_e32 v8, vcc, s20, v0
	v_addc_co_u32_e32 v9, vcc, 0, v5, vcc
	global_load_ubyte v5, v[8:9], off offset:768
.LBB220_234:                            ;   in Loop: Header=BB220_226 Depth=2
	s_or_b64 exec, exec, s[16:17]
	s_mov_b32 s21, s18
	s_waitcnt vmcnt(0)
	v_mov_b32_e32 v8, v4
	v_mov_b32_e32 v9, v7
	;; [unrolled: 1-line block ×4, first 2 shown]
.LBB220_235:                            ;   in Loop: Header=BB220_226 Depth=2
	s_waitcnt vmcnt(3)
	v_mov_b32_e32 v5, v11
	s_waitcnt vmcnt(2)
	v_mov_b32_e32 v6, v10
	;; [unrolled: 2-line block ×4, first 2 shown]
	v_cmp_gt_u32_e32 vcc, s21, v0
	s_and_saveexec_b64 s[16:17], vcc
	s_cbranch_execnz .LBB220_239
; %bb.236:                              ;   in Loop: Header=BB220_226 Depth=2
	s_or_b64 exec, exec, s[16:17]
	v_cmp_gt_u32_e32 vcc, s21, v19
	s_and_saveexec_b64 s[16:17], vcc
	s_cbranch_execnz .LBB220_240
.LBB220_237:                            ;   in Loop: Header=BB220_226 Depth=2
	s_or_b64 exec, exec, s[16:17]
	v_cmp_gt_u32_e32 vcc, s21, v20
	s_and_saveexec_b64 s[16:17], vcc
	s_cbranch_execnz .LBB220_241
.LBB220_238:                            ;   in Loop: Header=BB220_226 Depth=2
	s_or_b64 exec, exec, s[16:17]
	v_cmp_gt_u32_e32 vcc, s21, v21
	s_and_saveexec_b64 s[16:17], vcc
	s_cbranch_execz .LBB220_225
	s_branch .LBB220_242
.LBB220_239:                            ;   in Loop: Header=BB220_226 Depth=2
	v_lshrrev_b32_sdwa v8, s73, v4 dst_sel:DWORD dst_unused:UNUSED_PAD src0_sel:DWORD src1_sel:BYTE_0
	v_and_b32_e32 v8, s59, v8
	v_lshl_or_b32 v8, v8, 4, v24
	ds_add_u32 v8, v52
	s_or_b64 exec, exec, s[16:17]
	v_cmp_gt_u32_e32 vcc, s21, v19
	s_and_saveexec_b64 s[16:17], vcc
	s_cbranch_execz .LBB220_237
.LBB220_240:                            ;   in Loop: Header=BB220_226 Depth=2
	v_lshrrev_b32_sdwa v8, s73, v7 dst_sel:DWORD dst_unused:UNUSED_PAD src0_sel:DWORD src1_sel:BYTE_0
	v_and_b32_e32 v8, s59, v8
	v_lshl_or_b32 v8, v8, 4, v24
	ds_add_u32 v8, v52
	s_or_b64 exec, exec, s[16:17]
	v_cmp_gt_u32_e32 vcc, s21, v20
	s_and_saveexec_b64 s[16:17], vcc
	s_cbranch_execz .LBB220_238
.LBB220_241:                            ;   in Loop: Header=BB220_226 Depth=2
	v_lshrrev_b32_sdwa v8, s73, v6 dst_sel:DWORD dst_unused:UNUSED_PAD src0_sel:DWORD src1_sel:BYTE_0
	v_and_b32_e32 v8, s59, v8
	v_lshl_or_b32 v8, v8, 4, v24
	ds_add_u32 v8, v52
	s_or_b64 exec, exec, s[16:17]
	v_cmp_gt_u32_e32 vcc, s21, v21
	s_and_saveexec_b64 s[16:17], vcc
	s_cbranch_execz .LBB220_225
.LBB220_242:                            ;   in Loop: Header=BB220_226 Depth=2
	v_lshrrev_b32_sdwa v8, s73, v5 dst_sel:DWORD dst_unused:UNUSED_PAD src0_sel:DWORD src1_sel:BYTE_0
	v_and_b32_e32 v8, s59, v8
	v_lshl_or_b32 v8, v8, 4, v24
	ds_add_u32 v8, v52
	s_branch .LBB220_225
.LBB220_243:                            ;   in Loop: Header=BB220_226 Depth=2
	v_mov_b32_e32 v4, s21
	s_waitcnt vmcnt(0)
	v_add_co_u32_e32 v8, vcc, s20, v0
	v_addc_co_u32_e32 v9, vcc, 0, v4, vcc
	global_load_ubyte v4, v[8:9], off
	s_or_b64 exec, exec, s[16:17]
	v_cmp_gt_u32_e32 vcc, s18, v19
	s_and_saveexec_b64 s[16:17], vcc
	s_cbranch_execz .LBB220_231
.LBB220_244:                            ;   in Loop: Header=BB220_226 Depth=2
	s_waitcnt vmcnt(0)
	v_mov_b32_e32 v8, s21
	v_add_co_u32_e32 v7, vcc, s20, v0
	v_addc_co_u32_e32 v8, vcc, 0, v8, vcc
	global_load_ubyte v7, v[7:8], off offset:256
	s_or_b64 exec, exec, s[16:17]
	v_cmp_gt_u32_e32 vcc, s18, v20
	s_and_saveexec_b64 s[16:17], vcc
	s_cbranch_execz .LBB220_232
.LBB220_245:                            ;   in Loop: Header=BB220_226 Depth=2
	v_mov_b32_e32 v6, s21
	s_waitcnt vmcnt(0)
	v_add_co_u32_e32 v8, vcc, s20, v0
	v_addc_co_u32_e32 v9, vcc, 0, v6, vcc
	global_load_ubyte v6, v[8:9], off offset:512
	s_or_b64 exec, exec, s[16:17]
	v_cmp_gt_u32_e32 vcc, s18, v21
	s_and_saveexec_b64 s[16:17], vcc
	s_cbranch_execnz .LBB220_233
	s_branch .LBB220_234
.LBB220_246:                            ;   in Loop: Header=BB220_20 Depth=1
	v_mov_b32_e32 v4, 0
	s_waitcnt lgkmcnt(0)
	s_barrier
	s_and_saveexec_b64 s[16:17], s[4:5]
	s_cbranch_execz .LBB220_248
; %bb.247:                              ;   in Loop: Header=BB220_20 Depth=1
	ds_read2_b64 v[4:7], v25 offset1:1
	s_waitcnt lgkmcnt(0)
	v_add_u32_e32 v4, v5, v4
	v_add3_u32 v4, v4, v6, v7
.LBB220_248:                            ;   in Loop: Header=BB220_20 Depth=1
	s_or_b64 exec, exec, s[16:17]
	s_nop 0
	v_mov_b32_dpp v5, v4 row_shr:1 row_mask:0xf bank_mask:0xf
	v_cmp_eq_u32_e64 s[16:17], 0, v55
	v_cndmask_b32_e64 v5, v5, 0, s[16:17]
	v_add_u32_e32 v4, v5, v4
	v_cmp_lt_u32_e64 s[18:19], 1, v55
	v_cmp_lt_u32_e64 s[20:21], 3, v55
	v_mov_b32_dpp v5, v4 row_shr:2 row_mask:0xf bank_mask:0xf
	v_cndmask_b32_e64 v5, 0, v5, s[18:19]
	v_add_u32_e32 v4, v4, v5
	v_cmp_lt_u32_e64 s[22:23], 7, v55
	v_cmp_lt_u32_e64 s[26:27], 31, v45
	v_mov_b32_dpp v5, v4 row_shr:4 row_mask:0xf bank_mask:0xf
	v_cndmask_b32_e64 v5, 0, v5, s[20:21]
	v_add_u32_e32 v4, v4, v5
	v_cmp_eq_u32_e64 s[24:25], 0, v57
	s_nop 0
	v_mov_b32_dpp v5, v4 row_shr:8 row_mask:0xf bank_mask:0xf
	v_cndmask_b32_e64 v5, 0, v5, s[22:23]
	v_add_u32_e32 v4, v4, v5
	s_nop 1
	v_mov_b32_dpp v5, v4 row_bcast:15 row_mask:0xf bank_mask:0xf
	v_and_b32_e32 v5, v56, v5
	v_add_u32_e32 v4, v4, v5
	s_nop 1
	v_mov_b32_dpp v5, v4 row_bcast:31 row_mask:0xf bank_mask:0xf
	v_cndmask_b32_e64 v5, 0, v5, s[26:27]
	v_add_u32_e32 v4, v4, v5
	s_and_saveexec_b64 s[28:29], s[6:7]
; %bb.249:                              ;   in Loop: Header=BB220_20 Depth=1
	ds_write_b32 v27, v4
; %bb.250:                              ;   in Loop: Header=BB220_20 Depth=1
	s_or_b64 exec, exec, s[28:29]
	s_waitcnt lgkmcnt(0)
	s_barrier
	s_and_saveexec_b64 s[28:29], s[8:9]
	s_cbranch_execz .LBB220_252
; %bb.251:                              ;   in Loop: Header=BB220_20 Depth=1
	ds_read_b32 v5, v48
	v_cmp_ne_u32_e32 vcc, 0, v58
	s_waitcnt lgkmcnt(0)
	v_mov_b32_dpp v6, v5 row_shr:1 row_mask:0xf bank_mask:0xf
	v_cndmask_b32_e32 v6, 0, v6, vcc
	v_add_u32_e32 v5, v6, v5
	v_cmp_lt_u32_e32 vcc, 1, v58
	s_nop 0
	v_mov_b32_dpp v6, v5 row_shr:2 row_mask:0xf bank_mask:0xf
	v_cndmask_b32_e32 v6, 0, v6, vcc
	v_add_u32_e32 v5, v5, v6
	ds_write_b32 v48, v5
.LBB220_252:                            ;   in Loop: Header=BB220_20 Depth=1
	s_or_b64 exec, exec, s[28:29]
	v_mov_b32_e32 v5, 0
	s_waitcnt lgkmcnt(0)
	s_barrier
	s_and_saveexec_b64 s[28:29], s[10:11]
; %bb.253:                              ;   in Loop: Header=BB220_20 Depth=1
	ds_read_b32 v5, v49
; %bb.254:                              ;   in Loop: Header=BB220_20 Depth=1
	s_or_b64 exec, exec, s[28:29]
	v_subrev_co_u32_e64 v6, s[28:29], 1, v45
	v_cmp_lt_i32_e32 vcc, v6, v59
	v_cndmask_b32_e32 v6, v6, v45, vcc
	s_waitcnt lgkmcnt(0)
	v_add_u32_e32 v4, v5, v4
	v_lshlrev_b32_e32 v64, 2, v6
	ds_bpermute_b32 v4, v64, v4
	s_waitcnt lgkmcnt(0)
	s_barrier
	s_and_saveexec_b64 s[30:31], s[4:5]
; %bb.255:                              ;   in Loop: Header=BB220_20 Depth=1
	v_cndmask_b32_e64 v4, v4, v5, s[28:29]
	v_add_u32_e32 v4, s49, v4
	ds_write_b32 v18, v4
; %bb.256:                              ;   in Loop: Header=BB220_20 Depth=1
	s_or_b64 exec, exec, s[30:31]
	s_load_dwordx2 s[30:31], s[44:45], 0x0
	v_add_co_u32_e32 v65, vcc, v41, v60
	v_addc_co_u32_e32 v66, vcc, 0, v42, vcc
	s_waitcnt lgkmcnt(0)
	s_cmp_lt_u32 s33, s31
	s_cselect_b32 s31, 14, 20
	s_add_u32 s34, s44, s31
	s_addc_u32 s35, s45, 0
	s_cmp_lt_u32 s48, s30
	s_cselect_b32 s30, 12, 18
	s_add_u32 s30, s44, s30
	global_load_ushort v4, v3, s[34:35]
	s_addc_u32 s31, s45, 0
	global_load_ushort v5, v3, s[30:31]
	v_add_co_u32_e32 v67, vcc, v43, v46
	v_cmp_eq_u32_e64 s[30:31], 0, v58
	v_cmp_lt_u32_e64 s[34:35], 1, v58
	v_addc_co_u32_e32 v68, vcc, 0, v44, vcc
	s_mov_b32 s60, s75
	s_mov_b32 s46, s49
                                        ; implicit-def: $vgpr7_vgpr8
                                        ; implicit-def: $vgpr9_vgpr10
                                        ; implicit-def: $vgpr11_vgpr12
                                        ; implicit-def: $vgpr69
                                        ; implicit-def: $vgpr70
                                        ; implicit-def: $vgpr72
                                        ; implicit-def: $vgpr73
	s_waitcnt vmcnt(1)
	v_mad_u32_u24 v4, v2, v4, v1
	s_waitcnt vmcnt(0)
	v_mad_u64_u32 v[4:5], s[36:37], v4, v5, v[0:1]
                                        ; implicit-def: $vgpr5_vgpr6
	v_lshrrev_b32_e32 v4, 4, v4
	v_and_b32_e32 v71, 0xffffffc, v4
	s_branch .LBB220_258
.LBB220_257:                            ;   in Loop: Header=BB220_258 Depth=2
	s_or_b64 exec, exec, s[36:37]
	s_addk_i32 s60, 0xfc00
	s_cmp_lt_u32 s61, s63
	s_mov_b32 s46, s61
	s_cbranch_scc0 .LBB220_322
.LBB220_258:                            ;   Parent Loop BB220_20 Depth=1
                                        ; =>  This Inner Loop Header: Depth=2
	s_add_i32 s61, s46, 0x400
	s_cmp_gt_u32 s61, s63
	s_cbranch_scc1 .LBB220_260
; %bb.259:                              ;   in Loop: Header=BB220_258 Depth=2
	v_add_co_u32_e32 v13, vcc, s46, v67
	v_addc_co_u32_e32 v14, vcc, 0, v68, vcc
	global_load_ubyte v17, v[13:14], off
	global_load_ubyte v75, v[13:14], off offset:64
	global_load_ubyte v76, v[13:14], off offset:128
	s_mov_b64 s[36:37], -1
	s_movk_i32 s40, 0x400
	s_cbranch_execz .LBB220_261
	s_branch .LBB220_268
.LBB220_260:                            ;   in Loop: Header=BB220_258 Depth=2
	s_mov_b64 s[36:37], 0
                                        ; implicit-def: $vgpr17
                                        ; implicit-def: $vgpr75
                                        ; implicit-def: $vgpr76
	s_movk_i32 s40, 0x400
.LBB220_261:                            ;   in Loop: Header=BB220_258 Depth=2
	v_add_co_u32_e32 v13, vcc, s46, v67
	v_addc_co_u32_e32 v14, vcc, 0, v68, vcc
	v_cmp_gt_u32_e32 vcc, s60, v47
	s_waitcnt vmcnt(1)
	v_mov_b32_e32 v75, 0xff
	v_mov_b32_e32 v17, 0xff
	s_and_saveexec_b64 s[36:37], vcc
	s_cbranch_execz .LBB220_263
; %bb.262:                              ;   in Loop: Header=BB220_258 Depth=2
	global_load_ubyte v17, v[13:14], off
.LBB220_263:                            ;   in Loop: Header=BB220_258 Depth=2
	s_or_b64 exec, exec, s[36:37]
	v_cmp_gt_u32_e32 vcc, s60, v61
	s_and_saveexec_b64 s[36:37], vcc
	s_cbranch_execz .LBB220_265
; %bb.264:                              ;   in Loop: Header=BB220_258 Depth=2
	global_load_ubyte v75, v[13:14], off offset:64
.LBB220_265:                            ;   in Loop: Header=BB220_258 Depth=2
	s_or_b64 exec, exec, s[36:37]
	v_cmp_gt_u32_e32 vcc, s60, v62
	s_waitcnt vmcnt(0)
	v_mov_b32_e32 v76, 0xff
	s_and_saveexec_b64 s[36:37], vcc
	s_cbranch_execz .LBB220_267
; %bb.266:                              ;   in Loop: Header=BB220_258 Depth=2
	global_load_ubyte v76, v[13:14], off offset:128
.LBB220_267:                            ;   in Loop: Header=BB220_258 Depth=2
	s_or_b64 exec, exec, s[36:37]
	s_sub_i32 s40, s63, s46
	v_cmp_gt_u32_e64 s[36:37], s60, v63
.LBB220_268:                            ;   in Loop: Header=BB220_258 Depth=2
	v_mov_b32_e32 v77, 0xff
	v_mov_b32_e32 v74, s60
	s_and_saveexec_b64 s[38:39], s[36:37]
	s_cbranch_execz .LBB220_270
; %bb.269:                              ;   in Loop: Header=BB220_258 Depth=2
	v_mov_b32_e32 v4, s47
	v_add_co_u32_e32 v13, vcc, s46, v67
	v_addc_co_u32_e32 v14, vcc, v68, v4, vcc
	global_load_ubyte v77, v[13:14], off offset:192
	v_mov_b32_e32 v74, s40
.LBB220_270:                            ;   in Loop: Header=BB220_258 Depth=2
	s_or_b64 exec, exec, s[38:39]
	s_waitcnt vmcnt(2)
	v_lshrrev_b32_sdwa v4, s73, v17 dst_sel:DWORD dst_unused:UNUSED_PAD src0_sel:DWORD src1_sel:BYTE_0
	v_and_b32_e32 v13, s59, v4
	v_and_b32_e32 v4, 1, v13
	v_add_co_u32_e32 v14, vcc, -1, v4
	v_addc_co_u32_e64 v16, s[36:37], 0, -1, vcc
	v_cmp_ne_u32_e32 vcc, 0, v4
	v_xor_b32_e32 v4, vcc_hi, v16
	v_and_b32_e32 v16, exec_hi, v4
	v_lshlrev_b32_e32 v4, 30, v13
	v_xor_b32_e32 v14, vcc_lo, v14
	v_cmp_gt_i64_e32 vcc, 0, v[3:4]
	v_not_b32_e32 v4, v4
	v_ashrrev_i32_e32 v4, 31, v4
	v_and_b32_e32 v14, exec_lo, v14
	v_xor_b32_e32 v78, vcc_hi, v4
	v_xor_b32_e32 v4, vcc_lo, v4
	v_and_b32_e32 v14, v14, v4
	v_lshlrev_b32_e32 v4, 29, v13
	v_cmp_gt_i64_e32 vcc, 0, v[3:4]
	v_not_b32_e32 v4, v4
	v_ashrrev_i32_e32 v4, 31, v4
	v_and_b32_e32 v16, v16, v78
	v_xor_b32_e32 v78, vcc_hi, v4
	v_xor_b32_e32 v4, vcc_lo, v4
	v_and_b32_e32 v14, v14, v4
	v_lshlrev_b32_e32 v4, 28, v13
	v_cmp_gt_i64_e32 vcc, 0, v[3:4]
	v_not_b32_e32 v4, v4
	v_ashrrev_i32_e32 v4, 31, v4
	v_and_b32_e32 v16, v16, v78
	;; [unrolled: 8-line block ×5, first 2 shown]
	v_xor_b32_e32 v78, vcc_hi, v4
	v_xor_b32_e32 v4, vcc_lo, v4
	v_and_b32_e32 v16, v16, v78
	v_and_b32_e32 v78, v14, v4
	v_lshlrev_b32_e32 v4, 24, v13
	v_cmp_gt_i64_e32 vcc, 0, v[3:4]
	v_not_b32_e32 v4, v4
	v_ashrrev_i32_e32 v4, 31, v4
	v_mul_u32_u24_e32 v15, 20, v13
	v_xor_b32_e32 v13, vcc_hi, v4
	v_xor_b32_e32 v4, vcc_lo, v4
	v_and_b32_e32 v14, v16, v13
	v_and_b32_e32 v13, v78, v4
	v_mbcnt_lo_u32_b32 v4, v13, 0
	v_mbcnt_hi_u32_b32 v78, v14, v4
	v_cmp_ne_u64_e32 vcc, 0, v[13:14]
	v_cmp_eq_u32_e64 s[36:37], 0, v78
	s_and_b64 s[38:39], vcc, s[36:37]
	v_add_u32_e32 v80, v71, v15
	ds_write2_b32 v53, v3, v3 offset1:1
	ds_write2_b32 v54, v3, v3 offset1:1
	ds_write_b32 v50, v3 offset:1056
	s_waitcnt vmcnt(0) lgkmcnt(0)
	s_barrier
	; wave barrier
	s_and_saveexec_b64 s[36:37], s[38:39]
; %bb.271:                              ;   in Loop: Header=BB220_258 Depth=2
	v_bcnt_u32_b32 v4, v13, 0
	v_bcnt_u32_b32 v4, v14, v4
	ds_write_b32 v80, v4 offset:1040
; %bb.272:                              ;   in Loop: Header=BB220_258 Depth=2
	s_or_b64 exec, exec, s[36:37]
	v_lshrrev_b32_sdwa v4, s73, v75 dst_sel:DWORD dst_unused:UNUSED_PAD src0_sel:DWORD src1_sel:BYTE_0
	v_and_b32_e32 v13, s59, v4
	v_mad_u32_u24 v4, v13, 20, v71
	; wave barrier
	ds_read_b32 v79, v4 offset:1040
	v_and_b32_e32 v4, 1, v13
	v_add_co_u32_e32 v14, vcc, -1, v4
	v_addc_co_u32_e64 v16, s[36:37], 0, -1, vcc
	v_cmp_ne_u32_e32 vcc, 0, v4
	v_xor_b32_e32 v4, vcc_hi, v16
	v_and_b32_e32 v16, exec_hi, v4
	v_lshlrev_b32_e32 v4, 30, v13
	v_xor_b32_e32 v14, vcc_lo, v14
	v_cmp_gt_i64_e32 vcc, 0, v[3:4]
	v_not_b32_e32 v4, v4
	v_ashrrev_i32_e32 v4, 31, v4
	v_and_b32_e32 v14, exec_lo, v14
	v_xor_b32_e32 v81, vcc_hi, v4
	v_xor_b32_e32 v4, vcc_lo, v4
	v_and_b32_e32 v14, v14, v4
	v_lshlrev_b32_e32 v4, 29, v13
	v_cmp_gt_i64_e32 vcc, 0, v[3:4]
	v_not_b32_e32 v4, v4
	v_ashrrev_i32_e32 v4, 31, v4
	v_and_b32_e32 v16, v16, v81
	v_xor_b32_e32 v81, vcc_hi, v4
	v_xor_b32_e32 v4, vcc_lo, v4
	v_and_b32_e32 v14, v14, v4
	v_lshlrev_b32_e32 v4, 28, v13
	v_cmp_gt_i64_e32 vcc, 0, v[3:4]
	v_not_b32_e32 v4, v4
	v_ashrrev_i32_e32 v4, 31, v4
	v_and_b32_e32 v16, v16, v81
	;; [unrolled: 8-line block ×5, first 2 shown]
	v_xor_b32_e32 v81, vcc_hi, v4
	v_xor_b32_e32 v4, vcc_lo, v4
	v_and_b32_e32 v16, v16, v81
	v_and_b32_e32 v81, v14, v4
	v_lshlrev_b32_e32 v4, 24, v13
	v_cmp_gt_i64_e32 vcc, 0, v[3:4]
	v_not_b32_e32 v4, v4
	v_ashrrev_i32_e32 v4, 31, v4
	v_mul_u32_u24_e32 v15, 20, v13
	v_xor_b32_e32 v13, vcc_hi, v4
	v_xor_b32_e32 v4, vcc_lo, v4
	v_and_b32_e32 v14, v16, v13
	v_and_b32_e32 v13, v81, v4
	v_mbcnt_lo_u32_b32 v4, v13, 0
	v_mbcnt_hi_u32_b32 v81, v14, v4
	v_cmp_ne_u64_e32 vcc, 0, v[13:14]
	v_cmp_eq_u32_e64 s[36:37], 0, v81
	s_and_b64 s[38:39], vcc, s[36:37]
	v_add_u32_e32 v83, v71, v15
	; wave barrier
	s_and_saveexec_b64 s[36:37], s[38:39]
	s_cbranch_execz .LBB220_274
; %bb.273:                              ;   in Loop: Header=BB220_258 Depth=2
	v_bcnt_u32_b32 v4, v13, 0
	v_bcnt_u32_b32 v4, v14, v4
	s_waitcnt lgkmcnt(0)
	v_add_u32_e32 v4, v79, v4
	ds_write_b32 v83, v4 offset:1040
.LBB220_274:                            ;   in Loop: Header=BB220_258 Depth=2
	s_or_b64 exec, exec, s[36:37]
	v_lshrrev_b32_sdwa v4, s73, v76 dst_sel:DWORD dst_unused:UNUSED_PAD src0_sel:DWORD src1_sel:BYTE_0
	v_and_b32_e32 v13, s59, v4
	v_mad_u32_u24 v4, v13, 20, v71
	; wave barrier
	ds_read_b32 v82, v4 offset:1040
	v_and_b32_e32 v4, 1, v13
	v_add_co_u32_e32 v14, vcc, -1, v4
	v_addc_co_u32_e64 v16, s[36:37], 0, -1, vcc
	v_cmp_ne_u32_e32 vcc, 0, v4
	v_xor_b32_e32 v4, vcc_hi, v16
	v_and_b32_e32 v16, exec_hi, v4
	v_lshlrev_b32_e32 v4, 30, v13
	v_xor_b32_e32 v14, vcc_lo, v14
	v_cmp_gt_i64_e32 vcc, 0, v[3:4]
	v_not_b32_e32 v4, v4
	v_ashrrev_i32_e32 v4, 31, v4
	v_and_b32_e32 v14, exec_lo, v14
	v_xor_b32_e32 v84, vcc_hi, v4
	v_xor_b32_e32 v4, vcc_lo, v4
	v_and_b32_e32 v14, v14, v4
	v_lshlrev_b32_e32 v4, 29, v13
	v_cmp_gt_i64_e32 vcc, 0, v[3:4]
	v_not_b32_e32 v4, v4
	v_ashrrev_i32_e32 v4, 31, v4
	v_and_b32_e32 v16, v16, v84
	v_xor_b32_e32 v84, vcc_hi, v4
	v_xor_b32_e32 v4, vcc_lo, v4
	v_and_b32_e32 v14, v14, v4
	v_lshlrev_b32_e32 v4, 28, v13
	v_cmp_gt_i64_e32 vcc, 0, v[3:4]
	v_not_b32_e32 v4, v4
	v_ashrrev_i32_e32 v4, 31, v4
	v_and_b32_e32 v16, v16, v84
	;; [unrolled: 8-line block ×5, first 2 shown]
	v_xor_b32_e32 v84, vcc_hi, v4
	v_xor_b32_e32 v4, vcc_lo, v4
	v_and_b32_e32 v16, v16, v84
	v_and_b32_e32 v84, v14, v4
	v_lshlrev_b32_e32 v4, 24, v13
	v_cmp_gt_i64_e32 vcc, 0, v[3:4]
	v_not_b32_e32 v4, v4
	v_ashrrev_i32_e32 v4, 31, v4
	v_mul_u32_u24_e32 v15, 20, v13
	v_xor_b32_e32 v13, vcc_hi, v4
	v_xor_b32_e32 v4, vcc_lo, v4
	v_and_b32_e32 v14, v16, v13
	v_and_b32_e32 v13, v84, v4
	v_mbcnt_lo_u32_b32 v4, v13, 0
	v_mbcnt_hi_u32_b32 v84, v14, v4
	v_cmp_ne_u64_e32 vcc, 0, v[13:14]
	v_cmp_eq_u32_e64 s[36:37], 0, v84
	s_and_b64 s[38:39], vcc, s[36:37]
	v_add_u32_e32 v86, v71, v15
	; wave barrier
	s_and_saveexec_b64 s[36:37], s[38:39]
	s_cbranch_execz .LBB220_276
; %bb.275:                              ;   in Loop: Header=BB220_258 Depth=2
	v_bcnt_u32_b32 v4, v13, 0
	v_bcnt_u32_b32 v4, v14, v4
	s_waitcnt lgkmcnt(0)
	v_add_u32_e32 v4, v82, v4
	ds_write_b32 v86, v4 offset:1040
.LBB220_276:                            ;   in Loop: Header=BB220_258 Depth=2
	s_or_b64 exec, exec, s[36:37]
	v_lshrrev_b32_sdwa v4, s73, v77 dst_sel:DWORD dst_unused:UNUSED_PAD src0_sel:DWORD src1_sel:BYTE_0
	v_and_b32_e32 v13, s59, v4
	v_mad_u32_u24 v4, v13, 20, v71
	; wave barrier
	ds_read_b32 v85, v4 offset:1040
	v_and_b32_e32 v4, 1, v13
	v_add_co_u32_e32 v14, vcc, -1, v4
	v_addc_co_u32_e64 v16, s[36:37], 0, -1, vcc
	v_cmp_ne_u32_e32 vcc, 0, v4
	v_xor_b32_e32 v4, vcc_hi, v16
	v_and_b32_e32 v16, exec_hi, v4
	v_lshlrev_b32_e32 v4, 30, v13
	v_xor_b32_e32 v14, vcc_lo, v14
	v_cmp_gt_i64_e32 vcc, 0, v[3:4]
	v_not_b32_e32 v4, v4
	v_ashrrev_i32_e32 v4, 31, v4
	v_and_b32_e32 v14, exec_lo, v14
	v_xor_b32_e32 v87, vcc_hi, v4
	v_xor_b32_e32 v4, vcc_lo, v4
	v_and_b32_e32 v14, v14, v4
	v_lshlrev_b32_e32 v4, 29, v13
	v_cmp_gt_i64_e32 vcc, 0, v[3:4]
	v_not_b32_e32 v4, v4
	v_ashrrev_i32_e32 v4, 31, v4
	v_and_b32_e32 v16, v16, v87
	v_xor_b32_e32 v87, vcc_hi, v4
	v_xor_b32_e32 v4, vcc_lo, v4
	v_and_b32_e32 v14, v14, v4
	v_lshlrev_b32_e32 v4, 28, v13
	v_cmp_gt_i64_e32 vcc, 0, v[3:4]
	v_not_b32_e32 v4, v4
	v_ashrrev_i32_e32 v4, 31, v4
	v_and_b32_e32 v16, v16, v87
	;; [unrolled: 8-line block ×5, first 2 shown]
	v_xor_b32_e32 v87, vcc_hi, v4
	v_xor_b32_e32 v4, vcc_lo, v4
	v_and_b32_e32 v16, v16, v87
	v_and_b32_e32 v87, v14, v4
	v_lshlrev_b32_e32 v4, 24, v13
	v_cmp_gt_i64_e32 vcc, 0, v[3:4]
	v_not_b32_e32 v4, v4
	v_ashrrev_i32_e32 v4, 31, v4
	v_mul_u32_u24_e32 v15, 20, v13
	v_xor_b32_e32 v13, vcc_hi, v4
	v_xor_b32_e32 v4, vcc_lo, v4
	v_and_b32_e32 v14, v16, v13
	v_and_b32_e32 v13, v87, v4
	v_mbcnt_lo_u32_b32 v4, v13, 0
	v_mbcnt_hi_u32_b32 v4, v14, v4
	v_cmp_ne_u64_e32 vcc, 0, v[13:14]
	v_cmp_eq_u32_e64 s[36:37], 0, v4
	s_and_b64 s[38:39], vcc, s[36:37]
	v_add_u32_e32 v87, v71, v15
	; wave barrier
	s_and_saveexec_b64 s[36:37], s[38:39]
	s_cbranch_execz .LBB220_278
; %bb.277:                              ;   in Loop: Header=BB220_258 Depth=2
	v_bcnt_u32_b32 v13, v13, 0
	v_bcnt_u32_b32 v13, v14, v13
	s_waitcnt lgkmcnt(0)
	v_add_u32_e32 v13, v85, v13
	ds_write_b32 v87, v13 offset:1040
.LBB220_278:                            ;   in Loop: Header=BB220_258 Depth=2
	s_or_b64 exec, exec, s[36:37]
	; wave barrier
	s_waitcnt lgkmcnt(0)
	s_barrier
	ds_read2_b32 v[15:16], v53 offset1:1
	ds_read2_b32 v[13:14], v54 offset1:1
	ds_read_b32 v88, v50 offset:1056
	s_waitcnt lgkmcnt(1)
	v_add3_u32 v89, v16, v15, v13
	s_waitcnt lgkmcnt(0)
	v_add3_u32 v88, v89, v14, v88
	s_nop 1
	v_mov_b32_dpp v89, v88 row_shr:1 row_mask:0xf bank_mask:0xf
	v_cndmask_b32_e64 v89, v89, 0, s[16:17]
	v_add_u32_e32 v88, v89, v88
	s_nop 1
	v_mov_b32_dpp v89, v88 row_shr:2 row_mask:0xf bank_mask:0xf
	v_cndmask_b32_e64 v89, 0, v89, s[18:19]
	v_add_u32_e32 v88, v88, v89
	;; [unrolled: 4-line block ×4, first 2 shown]
	s_nop 1
	v_mov_b32_dpp v89, v88 row_bcast:15 row_mask:0xf bank_mask:0xf
	v_cndmask_b32_e64 v89, v89, 0, s[24:25]
	v_add_u32_e32 v88, v88, v89
	s_nop 1
	v_mov_b32_dpp v89, v88 row_bcast:31 row_mask:0xf bank_mask:0xf
	v_cndmask_b32_e64 v89, 0, v89, s[26:27]
	v_add_u32_e32 v88, v88, v89
	s_and_saveexec_b64 s[36:37], s[6:7]
; %bb.279:                              ;   in Loop: Header=BB220_258 Depth=2
	ds_write_b32 v26, v88 offset:1024
; %bb.280:                              ;   in Loop: Header=BB220_258 Depth=2
	s_or_b64 exec, exec, s[36:37]
	s_waitcnt lgkmcnt(0)
	s_barrier
	s_and_saveexec_b64 s[36:37], s[8:9]
	s_cbranch_execz .LBB220_282
; %bb.281:                              ;   in Loop: Header=BB220_258 Depth=2
	v_add_u32_e32 v89, v50, v28
	ds_read_b32 v90, v89 offset:1024
	s_waitcnt lgkmcnt(0)
	s_nop 0
	v_mov_b32_dpp v91, v90 row_shr:1 row_mask:0xf bank_mask:0xf
	v_cndmask_b32_e64 v91, v91, 0, s[30:31]
	v_add_u32_e32 v90, v91, v90
	s_nop 1
	v_mov_b32_dpp v91, v90 row_shr:2 row_mask:0xf bank_mask:0xf
	v_cndmask_b32_e64 v91, 0, v91, s[34:35]
	v_add_u32_e32 v90, v90, v91
	ds_write_b32 v89, v90 offset:1024
.LBB220_282:                            ;   in Loop: Header=BB220_258 Depth=2
	s_or_b64 exec, exec, s[36:37]
	v_mov_b32_e32 v89, 0
	s_waitcnt lgkmcnt(0)
	s_barrier
	s_and_saveexec_b64 s[36:37], s[10:11]
; %bb.283:                              ;   in Loop: Header=BB220_258 Depth=2
	ds_read_b32 v89, v26 offset:1020
; %bb.284:                              ;   in Loop: Header=BB220_258 Depth=2
	s_or_b64 exec, exec, s[36:37]
	s_waitcnt lgkmcnt(0)
	v_add_u32_e32 v88, v89, v88
	ds_bpermute_b32 v88, v64, v88
	s_waitcnt lgkmcnt(0)
	v_cndmask_b32_e64 v88, v88, v89, s[28:29]
	v_cndmask_b32_e64 v88, v88, 0, s[12:13]
	v_add_u32_e32 v15, v88, v15
	v_add_u32_e32 v16, v15, v16
	;; [unrolled: 1-line block ×4, first 2 shown]
	ds_write2_b32 v53, v88, v15 offset1:1
	ds_write2_b32 v54, v16, v13 offset1:1
	ds_write_b32 v50, v14 offset:1056
	s_waitcnt lgkmcnt(0)
	s_barrier
	ds_read_b32 v13, v80 offset:1040
	ds_read_b32 v14, v83 offset:1040
	;; [unrolled: 1-line block ×5, first 2 shown]
	v_mov_b32_e32 v80, 0x400
	s_and_saveexec_b64 s[36:37], s[14:15]
; %bb.285:                              ;   in Loop: Header=BB220_258 Depth=2
	ds_read_b32 v80, v50 offset:1060
; %bb.286:                              ;   in Loop: Header=BB220_258 Depth=2
	s_or_b64 exec, exec, s[36:37]
	s_waitcnt lgkmcnt(0)
	s_barrier
	s_and_saveexec_b64 s[36:37], s[4:5]
	s_cbranch_execz .LBB220_288
; %bb.287:                              ;   in Loop: Header=BB220_258 Depth=2
	ds_read_b32 v86, v18
	s_waitcnt lgkmcnt(0)
	v_sub_u32_e32 v15, v86, v15
	ds_write_b32 v18, v15
.LBB220_288:                            ;   in Loop: Header=BB220_258 Depth=2
	s_or_b64 exec, exec, s[36:37]
	v_add_u32_e32 v15, v13, v78
	v_add3_u32 v14, v81, v79, v14
	v_add3_u32 v13, v84, v82, v16
	;; [unrolled: 1-line block ×3, first 2 shown]
	v_cmp_lt_u32_e64 s[40:41], v0, v74
	ds_write_b8 v15, v17 offset:1024
	ds_write_b8 v14, v75 offset:1024
	;; [unrolled: 1-line block ×4, first 2 shown]
	s_waitcnt lgkmcnt(0)
	s_barrier
	s_and_saveexec_b64 s[36:37], s[40:41]
	s_cbranch_execnz .LBB220_309
; %bb.289:                              ;   in Loop: Header=BB220_258 Depth=2
	s_or_b64 exec, exec, s[36:37]
	v_cmp_lt_u32_e64 s[38:39], v19, v74
	s_and_saveexec_b64 s[36:37], s[38:39]
	s_cbranch_execnz .LBB220_310
.LBB220_290:                            ;   in Loop: Header=BB220_258 Depth=2
	s_or_b64 exec, exec, s[36:37]
	v_cmp_lt_u32_e64 s[36:37], v20, v74
	s_and_saveexec_b64 s[42:43], s[36:37]
	s_cbranch_execnz .LBB220_311
.LBB220_291:                            ;   in Loop: Header=BB220_258 Depth=2
	s_or_b64 exec, exec, s[42:43]
	v_cmp_lt_u32_e32 vcc, v21, v74
	s_and_saveexec_b64 s[42:43], vcc
	s_cbranch_execz .LBB220_293
.LBB220_292:                            ;   in Loop: Header=BB220_258 Depth=2
	ds_read_u8 v16, v0 offset:1792
	s_waitcnt lgkmcnt(0)
	v_lshrrev_b32_sdwa v17, s73, v16 dst_sel:DWORD dst_unused:UNUSED_PAD src0_sel:DWORD src1_sel:BYTE_0
	v_and_b32_e32 v17, s59, v17
	v_lshlrev_b32_e32 v17, 2, v17
	ds_read_b32 v17, v17
	s_waitcnt lgkmcnt(0)
	v_add_u32_e32 v17, v17, v21
	global_store_byte v17, v16, s[66:67]
.LBB220_293:                            ;   in Loop: Header=BB220_258 Depth=2
	s_or_b64 exec, exec, s[42:43]
	s_lshl_b64 s[42:43], s[46:47], 3
	v_mov_b32_e32 v17, s43
	v_add_co_u32_e64 v16, s[42:43], s42, v65
	v_addc_co_u32_e64 v17, s[42:43], v66, v17, s[42:43]
	v_cmp_lt_u32_e64 s[42:43], v47, v74
	s_and_saveexec_b64 s[56:57], s[42:43]
	s_xor_b64 s[42:43], exec, s[56:57]
	s_cbranch_execnz .LBB220_312
; %bb.294:                              ;   in Loop: Header=BB220_258 Depth=2
	s_or_b64 exec, exec, s[42:43]
	v_cmp_lt_u32_e64 s[42:43], v61, v74
	s_and_saveexec_b64 s[56:57], s[42:43]
	s_cbranch_execnz .LBB220_313
.LBB220_295:                            ;   in Loop: Header=BB220_258 Depth=2
	s_or_b64 exec, exec, s[56:57]
	v_cmp_lt_u32_e64 s[42:43], v62, v74
	s_and_saveexec_b64 s[56:57], s[42:43]
	s_cbranch_execnz .LBB220_314
.LBB220_296:                            ;   in Loop: Header=BB220_258 Depth=2
	s_or_b64 exec, exec, s[56:57]
	v_cmp_lt_u32_e64 s[42:43], v63, v74
	s_and_saveexec_b64 s[56:57], s[42:43]
	s_cbranch_execnz .LBB220_315
.LBB220_297:                            ;   in Loop: Header=BB220_258 Depth=2
	s_or_b64 exec, exec, s[56:57]
	s_and_saveexec_b64 s[42:43], s[40:41]
	s_cbranch_execnz .LBB220_316
.LBB220_298:                            ;   in Loop: Header=BB220_258 Depth=2
	s_or_b64 exec, exec, s[42:43]
	s_and_saveexec_b64 s[42:43], s[38:39]
	s_cbranch_execnz .LBB220_317
.LBB220_299:                            ;   in Loop: Header=BB220_258 Depth=2
	s_or_b64 exec, exec, s[42:43]
	s_and_saveexec_b64 s[42:43], s[36:37]
	s_cbranch_execnz .LBB220_318
.LBB220_300:                            ;   in Loop: Header=BB220_258 Depth=2
	s_or_b64 exec, exec, s[42:43]
	s_and_saveexec_b64 s[42:43], vcc
	s_cbranch_execz .LBB220_302
.LBB220_301:                            ;   in Loop: Header=BB220_258 Depth=2
	ds_read_u8 v16, v0 offset:1792
	s_waitcnt lgkmcnt(0)
	v_lshrrev_b32_e32 v16, s73, v16
	v_and_b32_e32 v69, s59, v16
.LBB220_302:                            ;   in Loop: Header=BB220_258 Depth=2
	s_or_b64 exec, exec, s[42:43]
	v_mad_u64_u32 v[15:16], s[42:43], v15, 7, v[15:16]
	s_waitcnt vmcnt(0)
	v_mad_u64_u32 v[74:75], s[42:43], v4, 7, v[4:5]
	v_mad_u64_u32 v[16:17], s[42:43], v14, 7, v[14:15]
	;; [unrolled: 1-line block ×3, first 2 shown]
	s_barrier
	ds_write_b64 v15, v[11:12] offset:1024
	ds_write_b64 v16, v[9:10] offset:1024
	;; [unrolled: 1-line block ×4, first 2 shown]
	s_waitcnt lgkmcnt(0)
	s_barrier
	s_and_saveexec_b64 s[42:43], s[40:41]
	s_cbranch_execnz .LBB220_319
; %bb.303:                              ;   in Loop: Header=BB220_258 Depth=2
	s_or_b64 exec, exec, s[42:43]
	s_and_saveexec_b64 s[40:41], s[38:39]
	s_cbranch_execnz .LBB220_320
.LBB220_304:                            ;   in Loop: Header=BB220_258 Depth=2
	s_or_b64 exec, exec, s[40:41]
	s_and_saveexec_b64 s[38:39], s[36:37]
	s_cbranch_execnz .LBB220_321
.LBB220_305:                            ;   in Loop: Header=BB220_258 Depth=2
	s_or_b64 exec, exec, s[38:39]
	s_and_saveexec_b64 s[36:37], vcc
	s_cbranch_execz .LBB220_307
.LBB220_306:                            ;   in Loop: Header=BB220_258 Depth=2
	v_lshlrev_b32_e32 v4, 2, v69
	ds_read_b32 v4, v4
	v_add_u32_e32 v13, v0, v51
	ds_read_b64 v[13:14], v13 offset:7168
	v_mov_b32_e32 v16, v3
	v_mov_b32_e32 v17, s53
	s_waitcnt lgkmcnt(1)
	v_add_u32_e32 v15, v4, v21
	v_lshlrev_b64 v[15:16], 3, v[15:16]
	v_add_co_u32_e32 v15, vcc, s52, v15
	v_addc_co_u32_e32 v16, vcc, v17, v16, vcc
	s_waitcnt lgkmcnt(0)
	global_store_dwordx2 v[15:16], v[13:14], off
.LBB220_307:                            ;   in Loop: Header=BB220_258 Depth=2
	s_or_b64 exec, exec, s[36:37]
	s_waitcnt vmcnt(0)
	s_barrier
	s_and_saveexec_b64 s[36:37], s[4:5]
	s_cbranch_execz .LBB220_257
; %bb.308:                              ;   in Loop: Header=BB220_258 Depth=2
	ds_read_b32 v4, v18
	s_waitcnt lgkmcnt(0)
	v_add_u32_e32 v4, v4, v80
	ds_write_b32 v18, v4
	s_branch .LBB220_257
.LBB220_309:                            ;   in Loop: Header=BB220_258 Depth=2
	ds_read_u8 v16, v0 offset:1024
	s_waitcnt lgkmcnt(0)
	v_lshrrev_b32_sdwa v17, s73, v16 dst_sel:DWORD dst_unused:UNUSED_PAD src0_sel:DWORD src1_sel:BYTE_0
	v_and_b32_e32 v17, s59, v17
	v_lshlrev_b32_e32 v17, 2, v17
	ds_read_b32 v17, v17
	s_waitcnt lgkmcnt(0)
	v_add_u32_e32 v17, v17, v0
	global_store_byte v17, v16, s[66:67]
	s_or_b64 exec, exec, s[36:37]
	v_cmp_lt_u32_e64 s[38:39], v19, v74
	s_and_saveexec_b64 s[36:37], s[38:39]
	s_cbranch_execz .LBB220_290
.LBB220_310:                            ;   in Loop: Header=BB220_258 Depth=2
	ds_read_u8 v16, v0 offset:1280
	s_waitcnt lgkmcnt(0)
	v_lshrrev_b32_sdwa v17, s73, v16 dst_sel:DWORD dst_unused:UNUSED_PAD src0_sel:DWORD src1_sel:BYTE_0
	v_and_b32_e32 v17, s59, v17
	v_lshlrev_b32_e32 v17, 2, v17
	ds_read_b32 v17, v17
	s_waitcnt lgkmcnt(0)
	v_add_u32_e32 v17, v17, v19
	global_store_byte v17, v16, s[66:67]
	s_or_b64 exec, exec, s[36:37]
	v_cmp_lt_u32_e64 s[36:37], v20, v74
	s_and_saveexec_b64 s[42:43], s[36:37]
	s_cbranch_execz .LBB220_291
.LBB220_311:                            ;   in Loop: Header=BB220_258 Depth=2
	ds_read_u8 v16, v0 offset:1536
	s_waitcnt lgkmcnt(0)
	v_lshrrev_b32_sdwa v17, s73, v16 dst_sel:DWORD dst_unused:UNUSED_PAD src0_sel:DWORD src1_sel:BYTE_0
	v_and_b32_e32 v17, s59, v17
	v_lshlrev_b32_e32 v17, 2, v17
	ds_read_b32 v17, v17
	s_waitcnt lgkmcnt(0)
	v_add_u32_e32 v17, v17, v20
	global_store_byte v17, v16, s[66:67]
	s_or_b64 exec, exec, s[42:43]
	v_cmp_lt_u32_e32 vcc, v21, v74
	s_and_saveexec_b64 s[42:43], vcc
	s_cbranch_execnz .LBB220_292
	s_branch .LBB220_293
.LBB220_312:                            ;   in Loop: Header=BB220_258 Depth=2
	global_load_dwordx2 v[11:12], v[16:17], off
	s_or_b64 exec, exec, s[42:43]
	v_cmp_lt_u32_e64 s[42:43], v61, v74
	s_and_saveexec_b64 s[56:57], s[42:43]
	s_cbranch_execz .LBB220_295
.LBB220_313:                            ;   in Loop: Header=BB220_258 Depth=2
	global_load_dwordx2 v[9:10], v[16:17], off offset:512
	s_or_b64 exec, exec, s[56:57]
	v_cmp_lt_u32_e64 s[42:43], v62, v74
	s_and_saveexec_b64 s[56:57], s[42:43]
	s_cbranch_execz .LBB220_296
.LBB220_314:                            ;   in Loop: Header=BB220_258 Depth=2
	global_load_dwordx2 v[7:8], v[16:17], off offset:1024
	s_or_b64 exec, exec, s[56:57]
	v_cmp_lt_u32_e64 s[42:43], v63, v74
	s_and_saveexec_b64 s[56:57], s[42:43]
	s_cbranch_execz .LBB220_297
.LBB220_315:                            ;   in Loop: Header=BB220_258 Depth=2
	global_load_dwordx2 v[5:6], v[16:17], off offset:1536
	s_or_b64 exec, exec, s[56:57]
	s_and_saveexec_b64 s[42:43], s[40:41]
	s_cbranch_execz .LBB220_298
.LBB220_316:                            ;   in Loop: Header=BB220_258 Depth=2
	ds_read_u8 v16, v0 offset:1024
	s_waitcnt lgkmcnt(0)
	v_lshrrev_b32_e32 v16, s73, v16
	v_and_b32_e32 v73, s59, v16
	s_or_b64 exec, exec, s[42:43]
	s_and_saveexec_b64 s[42:43], s[38:39]
	s_cbranch_execz .LBB220_299
.LBB220_317:                            ;   in Loop: Header=BB220_258 Depth=2
	ds_read_u8 v16, v0 offset:1280
	s_waitcnt lgkmcnt(0)
	v_lshrrev_b32_e32 v16, s73, v16
	v_and_b32_e32 v72, s59, v16
	s_or_b64 exec, exec, s[42:43]
	s_and_saveexec_b64 s[42:43], s[36:37]
	s_cbranch_execz .LBB220_300
.LBB220_318:                            ;   in Loop: Header=BB220_258 Depth=2
	ds_read_u8 v16, v0 offset:1536
	s_waitcnt lgkmcnt(0)
	v_lshrrev_b32_e32 v16, s73, v16
	v_and_b32_e32 v70, s59, v16
	s_or_b64 exec, exec, s[42:43]
	s_and_saveexec_b64 s[42:43], vcc
	s_cbranch_execnz .LBB220_301
	s_branch .LBB220_302
.LBB220_319:                            ;   in Loop: Header=BB220_258 Depth=2
	v_lshlrev_b32_e32 v4, 2, v73
	ds_read_b32 v4, v4
	v_add_u32_e32 v13, v0, v51
	ds_read_b64 v[13:14], v13 offset:1024
	v_mov_b32_e32 v16, v3
	v_mov_b32_e32 v17, s53
	s_waitcnt lgkmcnt(1)
	v_add_u32_e32 v15, v4, v0
	v_lshlrev_b64 v[15:16], 3, v[15:16]
	v_add_co_u32_e64 v15, s[40:41], s52, v15
	v_addc_co_u32_e64 v16, s[40:41], v17, v16, s[40:41]
	s_waitcnt lgkmcnt(0)
	global_store_dwordx2 v[15:16], v[13:14], off
	s_or_b64 exec, exec, s[42:43]
	s_and_saveexec_b64 s[40:41], s[38:39]
	s_cbranch_execz .LBB220_304
.LBB220_320:                            ;   in Loop: Header=BB220_258 Depth=2
	v_lshlrev_b32_e32 v4, 2, v72
	ds_read_b32 v4, v4
	v_add_u32_e32 v13, v0, v51
	ds_read_b64 v[13:14], v13 offset:3072
	v_mov_b32_e32 v16, v3
	v_mov_b32_e32 v17, s53
	s_waitcnt lgkmcnt(1)
	v_add_u32_e32 v15, v4, v19
	v_lshlrev_b64 v[15:16], 3, v[15:16]
	v_add_co_u32_e64 v15, s[38:39], s52, v15
	v_addc_co_u32_e64 v16, s[38:39], v17, v16, s[38:39]
	s_waitcnt lgkmcnt(0)
	global_store_dwordx2 v[15:16], v[13:14], off
	s_or_b64 exec, exec, s[40:41]
	s_and_saveexec_b64 s[38:39], s[36:37]
	s_cbranch_execz .LBB220_305
.LBB220_321:                            ;   in Loop: Header=BB220_258 Depth=2
	v_lshlrev_b32_e32 v4, 2, v70
	ds_read_b32 v4, v4
	v_add_u32_e32 v13, v0, v51
	ds_read_b64 v[13:14], v13 offset:5120
	v_mov_b32_e32 v16, v3
	v_mov_b32_e32 v17, s53
	s_waitcnt lgkmcnt(1)
	v_add_u32_e32 v15, v4, v20
	v_lshlrev_b64 v[15:16], 3, v[15:16]
	v_add_co_u32_e64 v15, s[36:37], s52, v15
	v_addc_co_u32_e64 v16, s[36:37], v17, v16, s[36:37]
	s_waitcnt lgkmcnt(0)
	global_store_dwordx2 v[15:16], v[13:14], off
	s_or_b64 exec, exec, s[38:39]
	s_and_saveexec_b64 s[36:37], vcc
	s_cbranch_execnz .LBB220_306
	s_branch .LBB220_307
.LBB220_322:                            ;   in Loop: Header=BB220_20 Depth=1
	s_waitcnt lgkmcnt(0)
	s_barrier
	s_mov_b64 s[16:17], 0
.LBB220_323:                            ;   in Loop: Header=BB220_20 Depth=1
	s_and_b64 vcc, exec, s[16:17]
	s_cbranch_vccz .LBB220_19
; %bb.324:                              ;   in Loop: Header=BB220_20 Depth=1
	v_mov_b32_e32 v4, 0
	s_mov_b32 s18, s75
	s_mov_b32 s20, s49
	v_mov_b32_e32 v7, 0
	v_mov_b32_e32 v6, 0
	;; [unrolled: 1-line block ×3, first 2 shown]
	s_barrier
	s_branch .LBB220_326
.LBB220_325:                            ;   in Loop: Header=BB220_326 Depth=2
	s_or_b64 exec, exec, s[16:17]
	s_addk_i32 s18, 0xfc00
	s_cmp_ge_u32 s19, s63
	s_mov_b32 s20, s19
	s_cbranch_scc1 .LBB220_346
.LBB220_326:                            ;   Parent Loop BB220_20 Depth=1
                                        ; =>  This Inner Loop Header: Depth=2
	s_add_i32 s19, s20, 0x400
	s_cmp_gt_u32 s19, s63
	s_mov_b64 s[16:17], -1
                                        ; implicit-def: $vgpr8
                                        ; implicit-def: $vgpr9
                                        ; implicit-def: $vgpr10
                                        ; implicit-def: $vgpr11
	s_cbranch_scc1 .LBB220_328
; %bb.327:                              ;   in Loop: Header=BB220_326 Depth=2
	v_add_co_u32_e32 v12, vcc, s20, v39
	v_addc_co_u32_e32 v13, vcc, 0, v40, vcc
	global_load_ubyte v11, v[12:13], off offset:768
	global_load_ubyte v10, v[12:13], off offset:512
	;; [unrolled: 1-line block ×3, first 2 shown]
	global_load_ubyte v8, v[12:13], off
	s_mov_b64 s[16:17], 0
.LBB220_328:                            ;   in Loop: Header=BB220_326 Depth=2
	s_andn2_b64 vcc, exec, s[16:17]
	s_movk_i32 s21, 0x400
	s_cbranch_vccnz .LBB220_335
; %bb.329:                              ;   in Loop: Header=BB220_326 Depth=2
	s_add_u32 s20, s64, s20
	s_addc_u32 s21, s65, 0
	v_cmp_gt_u32_e32 vcc, s18, v0
	s_and_saveexec_b64 s[16:17], vcc
	s_cbranch_execnz .LBB220_343
; %bb.330:                              ;   in Loop: Header=BB220_326 Depth=2
	s_or_b64 exec, exec, s[16:17]
	v_cmp_gt_u32_e32 vcc, s18, v19
	s_and_saveexec_b64 s[16:17], vcc
	s_cbranch_execnz .LBB220_344
.LBB220_331:                            ;   in Loop: Header=BB220_326 Depth=2
	s_or_b64 exec, exec, s[16:17]
	v_cmp_gt_u32_e32 vcc, s18, v20
	s_and_saveexec_b64 s[16:17], vcc
	s_cbranch_execnz .LBB220_345
.LBB220_332:                            ;   in Loop: Header=BB220_326 Depth=2
	s_or_b64 exec, exec, s[16:17]
	v_cmp_gt_u32_e32 vcc, s18, v21
	s_and_saveexec_b64 s[16:17], vcc
	s_cbranch_execz .LBB220_334
.LBB220_333:                            ;   in Loop: Header=BB220_326 Depth=2
	v_mov_b32_e32 v5, s21
	s_waitcnt vmcnt(0)
	v_add_co_u32_e32 v8, vcc, s20, v0
	v_addc_co_u32_e32 v9, vcc, 0, v5, vcc
	global_load_ubyte v5, v[8:9], off offset:768
.LBB220_334:                            ;   in Loop: Header=BB220_326 Depth=2
	s_or_b64 exec, exec, s[16:17]
	s_mov_b32 s21, s18
	s_waitcnt vmcnt(0)
	v_mov_b32_e32 v8, v4
	v_mov_b32_e32 v9, v7
	;; [unrolled: 1-line block ×4, first 2 shown]
.LBB220_335:                            ;   in Loop: Header=BB220_326 Depth=2
	s_waitcnt vmcnt(3)
	v_mov_b32_e32 v5, v11
	s_waitcnt vmcnt(2)
	v_mov_b32_e32 v6, v10
	;; [unrolled: 2-line block ×4, first 2 shown]
	v_cmp_gt_u32_e32 vcc, s21, v0
	s_and_saveexec_b64 s[16:17], vcc
	s_cbranch_execnz .LBB220_339
; %bb.336:                              ;   in Loop: Header=BB220_326 Depth=2
	s_or_b64 exec, exec, s[16:17]
	v_cmp_gt_u32_e32 vcc, s21, v19
	s_and_saveexec_b64 s[16:17], vcc
	s_cbranch_execnz .LBB220_340
.LBB220_337:                            ;   in Loop: Header=BB220_326 Depth=2
	s_or_b64 exec, exec, s[16:17]
	v_cmp_gt_u32_e32 vcc, s21, v20
	s_and_saveexec_b64 s[16:17], vcc
	s_cbranch_execnz .LBB220_341
.LBB220_338:                            ;   in Loop: Header=BB220_326 Depth=2
	s_or_b64 exec, exec, s[16:17]
	v_cmp_gt_u32_e32 vcc, s21, v21
	s_and_saveexec_b64 s[16:17], vcc
	s_cbranch_execz .LBB220_325
	s_branch .LBB220_342
.LBB220_339:                            ;   in Loop: Header=BB220_326 Depth=2
	v_lshrrev_b32_sdwa v8, s73, v4 dst_sel:DWORD dst_unused:UNUSED_PAD src0_sel:DWORD src1_sel:BYTE_0
	v_and_b32_e32 v8, s59, v8
	v_lshl_or_b32 v8, v8, 4, v24
	ds_add_u32 v8, v52
	s_or_b64 exec, exec, s[16:17]
	v_cmp_gt_u32_e32 vcc, s21, v19
	s_and_saveexec_b64 s[16:17], vcc
	s_cbranch_execz .LBB220_337
.LBB220_340:                            ;   in Loop: Header=BB220_326 Depth=2
	v_lshrrev_b32_sdwa v8, s73, v7 dst_sel:DWORD dst_unused:UNUSED_PAD src0_sel:DWORD src1_sel:BYTE_0
	v_and_b32_e32 v8, s59, v8
	v_lshl_or_b32 v8, v8, 4, v24
	ds_add_u32 v8, v52
	s_or_b64 exec, exec, s[16:17]
	v_cmp_gt_u32_e32 vcc, s21, v20
	s_and_saveexec_b64 s[16:17], vcc
	s_cbranch_execz .LBB220_338
.LBB220_341:                            ;   in Loop: Header=BB220_326 Depth=2
	v_lshrrev_b32_sdwa v8, s73, v6 dst_sel:DWORD dst_unused:UNUSED_PAD src0_sel:DWORD src1_sel:BYTE_0
	v_and_b32_e32 v8, s59, v8
	v_lshl_or_b32 v8, v8, 4, v24
	ds_add_u32 v8, v52
	s_or_b64 exec, exec, s[16:17]
	v_cmp_gt_u32_e32 vcc, s21, v21
	s_and_saveexec_b64 s[16:17], vcc
	s_cbranch_execz .LBB220_325
.LBB220_342:                            ;   in Loop: Header=BB220_326 Depth=2
	v_lshrrev_b32_sdwa v8, s73, v5 dst_sel:DWORD dst_unused:UNUSED_PAD src0_sel:DWORD src1_sel:BYTE_0
	v_and_b32_e32 v8, s59, v8
	v_lshl_or_b32 v8, v8, 4, v24
	ds_add_u32 v8, v52
	s_branch .LBB220_325
.LBB220_343:                            ;   in Loop: Header=BB220_326 Depth=2
	v_mov_b32_e32 v4, s21
	s_waitcnt vmcnt(0)
	v_add_co_u32_e32 v8, vcc, s20, v0
	v_addc_co_u32_e32 v9, vcc, 0, v4, vcc
	global_load_ubyte v4, v[8:9], off
	s_or_b64 exec, exec, s[16:17]
	v_cmp_gt_u32_e32 vcc, s18, v19
	s_and_saveexec_b64 s[16:17], vcc
	s_cbranch_execz .LBB220_331
.LBB220_344:                            ;   in Loop: Header=BB220_326 Depth=2
	s_waitcnt vmcnt(0)
	v_mov_b32_e32 v8, s21
	v_add_co_u32_e32 v7, vcc, s20, v0
	v_addc_co_u32_e32 v8, vcc, 0, v8, vcc
	global_load_ubyte v7, v[7:8], off offset:256
	s_or_b64 exec, exec, s[16:17]
	v_cmp_gt_u32_e32 vcc, s18, v20
	s_and_saveexec_b64 s[16:17], vcc
	s_cbranch_execz .LBB220_332
.LBB220_345:                            ;   in Loop: Header=BB220_326 Depth=2
	v_mov_b32_e32 v6, s21
	s_waitcnt vmcnt(0)
	v_add_co_u32_e32 v8, vcc, s20, v0
	v_addc_co_u32_e32 v9, vcc, 0, v6, vcc
	global_load_ubyte v6, v[8:9], off offset:512
	s_or_b64 exec, exec, s[16:17]
	v_cmp_gt_u32_e32 vcc, s18, v21
	s_and_saveexec_b64 s[16:17], vcc
	s_cbranch_execnz .LBB220_333
	s_branch .LBB220_334
.LBB220_346:                            ;   in Loop: Header=BB220_20 Depth=1
	v_mov_b32_e32 v4, 0
	s_waitcnt lgkmcnt(0)
	s_barrier
	s_and_saveexec_b64 s[16:17], s[4:5]
	s_cbranch_execz .LBB220_348
; %bb.347:                              ;   in Loop: Header=BB220_20 Depth=1
	ds_read2_b64 v[4:7], v25 offset1:1
	s_waitcnt lgkmcnt(0)
	v_add_u32_e32 v4, v5, v4
	v_add3_u32 v4, v4, v6, v7
.LBB220_348:                            ;   in Loop: Header=BB220_20 Depth=1
	s_or_b64 exec, exec, s[16:17]
	s_nop 0
	v_mov_b32_dpp v5, v4 row_shr:1 row_mask:0xf bank_mask:0xf
	v_cmp_eq_u32_e64 s[16:17], 0, v55
	v_cndmask_b32_e64 v5, v5, 0, s[16:17]
	v_add_u32_e32 v4, v5, v4
	v_cmp_lt_u32_e64 s[18:19], 1, v55
	v_cmp_lt_u32_e64 s[20:21], 3, v55
	v_mov_b32_dpp v5, v4 row_shr:2 row_mask:0xf bank_mask:0xf
	v_cndmask_b32_e64 v5, 0, v5, s[18:19]
	v_add_u32_e32 v4, v4, v5
	v_cmp_lt_u32_e64 s[22:23], 7, v55
	v_cmp_lt_u32_e64 s[26:27], 31, v45
	v_mov_b32_dpp v5, v4 row_shr:4 row_mask:0xf bank_mask:0xf
	v_cndmask_b32_e64 v5, 0, v5, s[20:21]
	v_add_u32_e32 v4, v4, v5
	v_cmp_eq_u32_e64 s[24:25], 0, v57
	s_nop 0
	v_mov_b32_dpp v5, v4 row_shr:8 row_mask:0xf bank_mask:0xf
	v_cndmask_b32_e64 v5, 0, v5, s[22:23]
	v_add_u32_e32 v4, v4, v5
	s_nop 1
	v_mov_b32_dpp v5, v4 row_bcast:15 row_mask:0xf bank_mask:0xf
	v_and_b32_e32 v5, v56, v5
	v_add_u32_e32 v4, v4, v5
	s_nop 1
	v_mov_b32_dpp v5, v4 row_bcast:31 row_mask:0xf bank_mask:0xf
	v_cndmask_b32_e64 v5, 0, v5, s[26:27]
	v_add_u32_e32 v4, v4, v5
	s_and_saveexec_b64 s[28:29], s[6:7]
; %bb.349:                              ;   in Loop: Header=BB220_20 Depth=1
	ds_write_b32 v27, v4
; %bb.350:                              ;   in Loop: Header=BB220_20 Depth=1
	s_or_b64 exec, exec, s[28:29]
	s_waitcnt lgkmcnt(0)
	s_barrier
	s_and_saveexec_b64 s[28:29], s[8:9]
	s_cbranch_execz .LBB220_352
; %bb.351:                              ;   in Loop: Header=BB220_20 Depth=1
	ds_read_b32 v5, v48
	v_cmp_ne_u32_e32 vcc, 0, v58
	s_waitcnt lgkmcnt(0)
	v_mov_b32_dpp v6, v5 row_shr:1 row_mask:0xf bank_mask:0xf
	v_cndmask_b32_e32 v6, 0, v6, vcc
	v_add_u32_e32 v5, v6, v5
	v_cmp_lt_u32_e32 vcc, 1, v58
	s_nop 0
	v_mov_b32_dpp v6, v5 row_shr:2 row_mask:0xf bank_mask:0xf
	v_cndmask_b32_e32 v6, 0, v6, vcc
	v_add_u32_e32 v5, v5, v6
	ds_write_b32 v48, v5
.LBB220_352:                            ;   in Loop: Header=BB220_20 Depth=1
	s_or_b64 exec, exec, s[28:29]
	v_mov_b32_e32 v5, 0
	s_waitcnt lgkmcnt(0)
	s_barrier
	s_and_saveexec_b64 s[28:29], s[10:11]
; %bb.353:                              ;   in Loop: Header=BB220_20 Depth=1
	ds_read_b32 v5, v49
; %bb.354:                              ;   in Loop: Header=BB220_20 Depth=1
	s_or_b64 exec, exec, s[28:29]
	v_subrev_co_u32_e64 v6, s[28:29], 1, v45
	v_cmp_lt_i32_e32 vcc, v6, v59
	v_cndmask_b32_e32 v6, v6, v45, vcc
	s_waitcnt lgkmcnt(0)
	v_add_u32_e32 v4, v5, v4
	v_lshlrev_b32_e32 v64, 2, v6
	ds_bpermute_b32 v4, v64, v4
	s_waitcnt lgkmcnt(0)
	s_barrier
	s_and_saveexec_b64 s[30:31], s[4:5]
; %bb.355:                              ;   in Loop: Header=BB220_20 Depth=1
	v_cndmask_b32_e64 v4, v4, v5, s[28:29]
	v_add_u32_e32 v4, s49, v4
	ds_write_b32 v18, v4
; %bb.356:                              ;   in Loop: Header=BB220_20 Depth=1
	s_or_b64 exec, exec, s[30:31]
	s_load_dwordx2 s[30:31], s[44:45], 0x0
	v_add_co_u32_e32 v65, vcc, v41, v60
	v_addc_co_u32_e32 v66, vcc, 0, v42, vcc
	s_waitcnt lgkmcnt(0)
	s_cmp_lt_u32 s33, s31
	s_cselect_b32 s31, 14, 20
	s_add_u32 s34, s44, s31
	s_addc_u32 s35, s45, 0
	s_cmp_lt_u32 s48, s30
	s_cselect_b32 s30, 12, 18
	s_add_u32 s30, s44, s30
	global_load_ushort v4, v3, s[34:35]
	s_addc_u32 s31, s45, 0
	global_load_ushort v5, v3, s[30:31]
	v_add_co_u32_e32 v67, vcc, v43, v46
	v_cmp_eq_u32_e64 s[30:31], 0, v58
	v_cmp_lt_u32_e64 s[34:35], 1, v58
	v_addc_co_u32_e32 v68, vcc, 0, v44, vcc
	s_mov_b32 s60, s75
	s_mov_b32 s46, s49
                                        ; implicit-def: $vgpr7_vgpr8
                                        ; implicit-def: $vgpr9_vgpr10
                                        ; implicit-def: $vgpr11_vgpr12
                                        ; implicit-def: $vgpr69
                                        ; implicit-def: $vgpr70
                                        ; implicit-def: $vgpr72
                                        ; implicit-def: $vgpr73
	s_waitcnt vmcnt(1)
	v_mad_u32_u24 v4, v2, v4, v1
	s_waitcnt vmcnt(0)
	v_mad_u64_u32 v[4:5], s[36:37], v4, v5, v[0:1]
                                        ; implicit-def: $vgpr5_vgpr6
	v_lshrrev_b32_e32 v4, 4, v4
	v_and_b32_e32 v71, 0xffffffc, v4
	s_branch .LBB220_358
.LBB220_357:                            ;   in Loop: Header=BB220_358 Depth=2
	s_or_b64 exec, exec, s[36:37]
	s_addk_i32 s60, 0xfc00
	s_cmp_lt_u32 s61, s63
	s_mov_b32 s46, s61
	s_cbranch_scc0 .LBB220_18
.LBB220_358:                            ;   Parent Loop BB220_20 Depth=1
                                        ; =>  This Inner Loop Header: Depth=2
	s_add_i32 s61, s46, 0x400
	s_cmp_gt_u32 s61, s63
	s_cbranch_scc1 .LBB220_360
; %bb.359:                              ;   in Loop: Header=BB220_358 Depth=2
	v_add_co_u32_e32 v13, vcc, s46, v67
	v_addc_co_u32_e32 v14, vcc, 0, v68, vcc
	global_load_ubyte v17, v[13:14], off
	global_load_ubyte v75, v[13:14], off offset:64
	global_load_ubyte v76, v[13:14], off offset:128
	s_mov_b64 s[36:37], -1
	s_movk_i32 s40, 0x400
	s_cbranch_execz .LBB220_361
	s_branch .LBB220_368
.LBB220_360:                            ;   in Loop: Header=BB220_358 Depth=2
	s_mov_b64 s[36:37], 0
                                        ; implicit-def: $vgpr17
                                        ; implicit-def: $vgpr75
                                        ; implicit-def: $vgpr76
	s_movk_i32 s40, 0x400
.LBB220_361:                            ;   in Loop: Header=BB220_358 Depth=2
	v_add_co_u32_e32 v13, vcc, s46, v67
	v_addc_co_u32_e32 v14, vcc, 0, v68, vcc
	v_cmp_gt_u32_e32 vcc, s60, v47
	s_waitcnt vmcnt(1)
	v_mov_b32_e32 v75, 0xff
	v_mov_b32_e32 v17, 0xff
	s_and_saveexec_b64 s[36:37], vcc
	s_cbranch_execz .LBB220_363
; %bb.362:                              ;   in Loop: Header=BB220_358 Depth=2
	global_load_ubyte v17, v[13:14], off
.LBB220_363:                            ;   in Loop: Header=BB220_358 Depth=2
	s_or_b64 exec, exec, s[36:37]
	v_cmp_gt_u32_e32 vcc, s60, v61
	s_and_saveexec_b64 s[36:37], vcc
	s_cbranch_execz .LBB220_365
; %bb.364:                              ;   in Loop: Header=BB220_358 Depth=2
	global_load_ubyte v75, v[13:14], off offset:64
.LBB220_365:                            ;   in Loop: Header=BB220_358 Depth=2
	s_or_b64 exec, exec, s[36:37]
	v_cmp_gt_u32_e32 vcc, s60, v62
	s_waitcnt vmcnt(0)
	v_mov_b32_e32 v76, 0xff
	s_and_saveexec_b64 s[36:37], vcc
	s_cbranch_execz .LBB220_367
; %bb.366:                              ;   in Loop: Header=BB220_358 Depth=2
	global_load_ubyte v76, v[13:14], off offset:128
.LBB220_367:                            ;   in Loop: Header=BB220_358 Depth=2
	s_or_b64 exec, exec, s[36:37]
	s_sub_i32 s40, s63, s46
	v_cmp_gt_u32_e64 s[36:37], s60, v63
.LBB220_368:                            ;   in Loop: Header=BB220_358 Depth=2
	v_mov_b32_e32 v77, 0xff
	v_mov_b32_e32 v74, s60
	s_and_saveexec_b64 s[38:39], s[36:37]
	s_cbranch_execz .LBB220_370
; %bb.369:                              ;   in Loop: Header=BB220_358 Depth=2
	v_mov_b32_e32 v4, s47
	v_add_co_u32_e32 v13, vcc, s46, v67
	v_addc_co_u32_e32 v14, vcc, v68, v4, vcc
	global_load_ubyte v77, v[13:14], off offset:192
	v_mov_b32_e32 v74, s40
.LBB220_370:                            ;   in Loop: Header=BB220_358 Depth=2
	s_or_b64 exec, exec, s[38:39]
	s_waitcnt vmcnt(2)
	v_lshrrev_b32_sdwa v4, s73, v17 dst_sel:DWORD dst_unused:UNUSED_PAD src0_sel:DWORD src1_sel:BYTE_0
	v_and_b32_e32 v13, s59, v4
	v_and_b32_e32 v4, 1, v13
	v_add_co_u32_e32 v14, vcc, -1, v4
	v_addc_co_u32_e64 v16, s[36:37], 0, -1, vcc
	v_cmp_ne_u32_e32 vcc, 0, v4
	v_xor_b32_e32 v4, vcc_hi, v16
	v_and_b32_e32 v16, exec_hi, v4
	v_lshlrev_b32_e32 v4, 30, v13
	v_xor_b32_e32 v14, vcc_lo, v14
	v_cmp_gt_i64_e32 vcc, 0, v[3:4]
	v_not_b32_e32 v4, v4
	v_ashrrev_i32_e32 v4, 31, v4
	v_and_b32_e32 v14, exec_lo, v14
	v_xor_b32_e32 v78, vcc_hi, v4
	v_xor_b32_e32 v4, vcc_lo, v4
	v_and_b32_e32 v14, v14, v4
	v_lshlrev_b32_e32 v4, 29, v13
	v_cmp_gt_i64_e32 vcc, 0, v[3:4]
	v_not_b32_e32 v4, v4
	v_ashrrev_i32_e32 v4, 31, v4
	v_and_b32_e32 v16, v16, v78
	v_xor_b32_e32 v78, vcc_hi, v4
	v_xor_b32_e32 v4, vcc_lo, v4
	v_and_b32_e32 v14, v14, v4
	v_lshlrev_b32_e32 v4, 28, v13
	v_cmp_gt_i64_e32 vcc, 0, v[3:4]
	v_not_b32_e32 v4, v4
	v_ashrrev_i32_e32 v4, 31, v4
	v_and_b32_e32 v16, v16, v78
	;; [unrolled: 8-line block ×5, first 2 shown]
	v_xor_b32_e32 v78, vcc_hi, v4
	v_xor_b32_e32 v4, vcc_lo, v4
	v_and_b32_e32 v16, v16, v78
	v_and_b32_e32 v78, v14, v4
	v_lshlrev_b32_e32 v4, 24, v13
	v_cmp_gt_i64_e32 vcc, 0, v[3:4]
	v_not_b32_e32 v4, v4
	v_ashrrev_i32_e32 v4, 31, v4
	v_mul_u32_u24_e32 v15, 20, v13
	v_xor_b32_e32 v13, vcc_hi, v4
	v_xor_b32_e32 v4, vcc_lo, v4
	v_and_b32_e32 v14, v16, v13
	v_and_b32_e32 v13, v78, v4
	v_mbcnt_lo_u32_b32 v4, v13, 0
	v_mbcnt_hi_u32_b32 v78, v14, v4
	v_cmp_ne_u64_e32 vcc, 0, v[13:14]
	v_cmp_eq_u32_e64 s[36:37], 0, v78
	s_and_b64 s[38:39], vcc, s[36:37]
	v_add_u32_e32 v80, v71, v15
	ds_write2_b32 v53, v3, v3 offset1:1
	ds_write2_b32 v54, v3, v3 offset1:1
	ds_write_b32 v50, v3 offset:1056
	s_waitcnt vmcnt(0) lgkmcnt(0)
	s_barrier
	; wave barrier
	s_and_saveexec_b64 s[36:37], s[38:39]
; %bb.371:                              ;   in Loop: Header=BB220_358 Depth=2
	v_bcnt_u32_b32 v4, v13, 0
	v_bcnt_u32_b32 v4, v14, v4
	ds_write_b32 v80, v4 offset:1040
; %bb.372:                              ;   in Loop: Header=BB220_358 Depth=2
	s_or_b64 exec, exec, s[36:37]
	v_lshrrev_b32_sdwa v4, s73, v75 dst_sel:DWORD dst_unused:UNUSED_PAD src0_sel:DWORD src1_sel:BYTE_0
	v_and_b32_e32 v13, s59, v4
	v_mad_u32_u24 v4, v13, 20, v71
	; wave barrier
	ds_read_b32 v79, v4 offset:1040
	v_and_b32_e32 v4, 1, v13
	v_add_co_u32_e32 v14, vcc, -1, v4
	v_addc_co_u32_e64 v16, s[36:37], 0, -1, vcc
	v_cmp_ne_u32_e32 vcc, 0, v4
	v_xor_b32_e32 v4, vcc_hi, v16
	v_and_b32_e32 v16, exec_hi, v4
	v_lshlrev_b32_e32 v4, 30, v13
	v_xor_b32_e32 v14, vcc_lo, v14
	v_cmp_gt_i64_e32 vcc, 0, v[3:4]
	v_not_b32_e32 v4, v4
	v_ashrrev_i32_e32 v4, 31, v4
	v_and_b32_e32 v14, exec_lo, v14
	v_xor_b32_e32 v81, vcc_hi, v4
	v_xor_b32_e32 v4, vcc_lo, v4
	v_and_b32_e32 v14, v14, v4
	v_lshlrev_b32_e32 v4, 29, v13
	v_cmp_gt_i64_e32 vcc, 0, v[3:4]
	v_not_b32_e32 v4, v4
	v_ashrrev_i32_e32 v4, 31, v4
	v_and_b32_e32 v16, v16, v81
	v_xor_b32_e32 v81, vcc_hi, v4
	v_xor_b32_e32 v4, vcc_lo, v4
	v_and_b32_e32 v14, v14, v4
	v_lshlrev_b32_e32 v4, 28, v13
	v_cmp_gt_i64_e32 vcc, 0, v[3:4]
	v_not_b32_e32 v4, v4
	v_ashrrev_i32_e32 v4, 31, v4
	v_and_b32_e32 v16, v16, v81
	;; [unrolled: 8-line block ×5, first 2 shown]
	v_xor_b32_e32 v81, vcc_hi, v4
	v_xor_b32_e32 v4, vcc_lo, v4
	v_and_b32_e32 v16, v16, v81
	v_and_b32_e32 v81, v14, v4
	v_lshlrev_b32_e32 v4, 24, v13
	v_cmp_gt_i64_e32 vcc, 0, v[3:4]
	v_not_b32_e32 v4, v4
	v_ashrrev_i32_e32 v4, 31, v4
	v_mul_u32_u24_e32 v15, 20, v13
	v_xor_b32_e32 v13, vcc_hi, v4
	v_xor_b32_e32 v4, vcc_lo, v4
	v_and_b32_e32 v14, v16, v13
	v_and_b32_e32 v13, v81, v4
	v_mbcnt_lo_u32_b32 v4, v13, 0
	v_mbcnt_hi_u32_b32 v81, v14, v4
	v_cmp_ne_u64_e32 vcc, 0, v[13:14]
	v_cmp_eq_u32_e64 s[36:37], 0, v81
	s_and_b64 s[38:39], vcc, s[36:37]
	v_add_u32_e32 v83, v71, v15
	; wave barrier
	s_and_saveexec_b64 s[36:37], s[38:39]
	s_cbranch_execz .LBB220_374
; %bb.373:                              ;   in Loop: Header=BB220_358 Depth=2
	v_bcnt_u32_b32 v4, v13, 0
	v_bcnt_u32_b32 v4, v14, v4
	s_waitcnt lgkmcnt(0)
	v_add_u32_e32 v4, v79, v4
	ds_write_b32 v83, v4 offset:1040
.LBB220_374:                            ;   in Loop: Header=BB220_358 Depth=2
	s_or_b64 exec, exec, s[36:37]
	v_lshrrev_b32_sdwa v4, s73, v76 dst_sel:DWORD dst_unused:UNUSED_PAD src0_sel:DWORD src1_sel:BYTE_0
	v_and_b32_e32 v13, s59, v4
	v_mad_u32_u24 v4, v13, 20, v71
	; wave barrier
	ds_read_b32 v82, v4 offset:1040
	v_and_b32_e32 v4, 1, v13
	v_add_co_u32_e32 v14, vcc, -1, v4
	v_addc_co_u32_e64 v16, s[36:37], 0, -1, vcc
	v_cmp_ne_u32_e32 vcc, 0, v4
	v_xor_b32_e32 v4, vcc_hi, v16
	v_and_b32_e32 v16, exec_hi, v4
	v_lshlrev_b32_e32 v4, 30, v13
	v_xor_b32_e32 v14, vcc_lo, v14
	v_cmp_gt_i64_e32 vcc, 0, v[3:4]
	v_not_b32_e32 v4, v4
	v_ashrrev_i32_e32 v4, 31, v4
	v_and_b32_e32 v14, exec_lo, v14
	v_xor_b32_e32 v84, vcc_hi, v4
	v_xor_b32_e32 v4, vcc_lo, v4
	v_and_b32_e32 v14, v14, v4
	v_lshlrev_b32_e32 v4, 29, v13
	v_cmp_gt_i64_e32 vcc, 0, v[3:4]
	v_not_b32_e32 v4, v4
	v_ashrrev_i32_e32 v4, 31, v4
	v_and_b32_e32 v16, v16, v84
	v_xor_b32_e32 v84, vcc_hi, v4
	v_xor_b32_e32 v4, vcc_lo, v4
	v_and_b32_e32 v14, v14, v4
	v_lshlrev_b32_e32 v4, 28, v13
	v_cmp_gt_i64_e32 vcc, 0, v[3:4]
	v_not_b32_e32 v4, v4
	v_ashrrev_i32_e32 v4, 31, v4
	v_and_b32_e32 v16, v16, v84
	v_xor_b32_e32 v84, vcc_hi, v4
	v_xor_b32_e32 v4, vcc_lo, v4
	v_and_b32_e32 v14, v14, v4
	v_lshlrev_b32_e32 v4, 27, v13
	v_cmp_gt_i64_e32 vcc, 0, v[3:4]
	v_not_b32_e32 v4, v4
	v_ashrrev_i32_e32 v4, 31, v4
	v_and_b32_e32 v16, v16, v84
	v_xor_b32_e32 v84, vcc_hi, v4
	v_xor_b32_e32 v4, vcc_lo, v4
	v_and_b32_e32 v14, v14, v4
	v_lshlrev_b32_e32 v4, 26, v13
	v_cmp_gt_i64_e32 vcc, 0, v[3:4]
	v_not_b32_e32 v4, v4
	v_ashrrev_i32_e32 v4, 31, v4
	v_and_b32_e32 v16, v16, v84
	v_xor_b32_e32 v84, vcc_hi, v4
	v_xor_b32_e32 v4, vcc_lo, v4
	v_and_b32_e32 v14, v14, v4
	v_lshlrev_b32_e32 v4, 25, v13
	v_cmp_gt_i64_e32 vcc, 0, v[3:4]
	v_not_b32_e32 v4, v4
	v_ashrrev_i32_e32 v4, 31, v4
	v_and_b32_e32 v16, v16, v84
	v_xor_b32_e32 v84, vcc_hi, v4
	v_xor_b32_e32 v4, vcc_lo, v4
	v_and_b32_e32 v16, v16, v84
	v_and_b32_e32 v84, v14, v4
	v_lshlrev_b32_e32 v4, 24, v13
	v_cmp_gt_i64_e32 vcc, 0, v[3:4]
	v_not_b32_e32 v4, v4
	v_ashrrev_i32_e32 v4, 31, v4
	v_mul_u32_u24_e32 v15, 20, v13
	v_xor_b32_e32 v13, vcc_hi, v4
	v_xor_b32_e32 v4, vcc_lo, v4
	v_and_b32_e32 v14, v16, v13
	v_and_b32_e32 v13, v84, v4
	v_mbcnt_lo_u32_b32 v4, v13, 0
	v_mbcnt_hi_u32_b32 v84, v14, v4
	v_cmp_ne_u64_e32 vcc, 0, v[13:14]
	v_cmp_eq_u32_e64 s[36:37], 0, v84
	s_and_b64 s[38:39], vcc, s[36:37]
	v_add_u32_e32 v86, v71, v15
	; wave barrier
	s_and_saveexec_b64 s[36:37], s[38:39]
	s_cbranch_execz .LBB220_376
; %bb.375:                              ;   in Loop: Header=BB220_358 Depth=2
	v_bcnt_u32_b32 v4, v13, 0
	v_bcnt_u32_b32 v4, v14, v4
	s_waitcnt lgkmcnt(0)
	v_add_u32_e32 v4, v82, v4
	ds_write_b32 v86, v4 offset:1040
.LBB220_376:                            ;   in Loop: Header=BB220_358 Depth=2
	s_or_b64 exec, exec, s[36:37]
	v_lshrrev_b32_sdwa v4, s73, v77 dst_sel:DWORD dst_unused:UNUSED_PAD src0_sel:DWORD src1_sel:BYTE_0
	v_and_b32_e32 v13, s59, v4
	v_mad_u32_u24 v4, v13, 20, v71
	; wave barrier
	ds_read_b32 v85, v4 offset:1040
	v_and_b32_e32 v4, 1, v13
	v_add_co_u32_e32 v14, vcc, -1, v4
	v_addc_co_u32_e64 v16, s[36:37], 0, -1, vcc
	v_cmp_ne_u32_e32 vcc, 0, v4
	v_xor_b32_e32 v4, vcc_hi, v16
	v_and_b32_e32 v16, exec_hi, v4
	v_lshlrev_b32_e32 v4, 30, v13
	v_xor_b32_e32 v14, vcc_lo, v14
	v_cmp_gt_i64_e32 vcc, 0, v[3:4]
	v_not_b32_e32 v4, v4
	v_ashrrev_i32_e32 v4, 31, v4
	v_and_b32_e32 v14, exec_lo, v14
	v_xor_b32_e32 v87, vcc_hi, v4
	v_xor_b32_e32 v4, vcc_lo, v4
	v_and_b32_e32 v14, v14, v4
	v_lshlrev_b32_e32 v4, 29, v13
	v_cmp_gt_i64_e32 vcc, 0, v[3:4]
	v_not_b32_e32 v4, v4
	v_ashrrev_i32_e32 v4, 31, v4
	v_and_b32_e32 v16, v16, v87
	v_xor_b32_e32 v87, vcc_hi, v4
	v_xor_b32_e32 v4, vcc_lo, v4
	v_and_b32_e32 v14, v14, v4
	v_lshlrev_b32_e32 v4, 28, v13
	v_cmp_gt_i64_e32 vcc, 0, v[3:4]
	v_not_b32_e32 v4, v4
	v_ashrrev_i32_e32 v4, 31, v4
	v_and_b32_e32 v16, v16, v87
	;; [unrolled: 8-line block ×5, first 2 shown]
	v_xor_b32_e32 v87, vcc_hi, v4
	v_xor_b32_e32 v4, vcc_lo, v4
	v_and_b32_e32 v16, v16, v87
	v_and_b32_e32 v87, v14, v4
	v_lshlrev_b32_e32 v4, 24, v13
	v_cmp_gt_i64_e32 vcc, 0, v[3:4]
	v_not_b32_e32 v4, v4
	v_ashrrev_i32_e32 v4, 31, v4
	v_mul_u32_u24_e32 v15, 20, v13
	v_xor_b32_e32 v13, vcc_hi, v4
	v_xor_b32_e32 v4, vcc_lo, v4
	v_and_b32_e32 v14, v16, v13
	v_and_b32_e32 v13, v87, v4
	v_mbcnt_lo_u32_b32 v4, v13, 0
	v_mbcnt_hi_u32_b32 v4, v14, v4
	v_cmp_ne_u64_e32 vcc, 0, v[13:14]
	v_cmp_eq_u32_e64 s[36:37], 0, v4
	s_and_b64 s[38:39], vcc, s[36:37]
	v_add_u32_e32 v87, v71, v15
	; wave barrier
	s_and_saveexec_b64 s[36:37], s[38:39]
	s_cbranch_execz .LBB220_378
; %bb.377:                              ;   in Loop: Header=BB220_358 Depth=2
	v_bcnt_u32_b32 v13, v13, 0
	v_bcnt_u32_b32 v13, v14, v13
	s_waitcnt lgkmcnt(0)
	v_add_u32_e32 v13, v85, v13
	ds_write_b32 v87, v13 offset:1040
.LBB220_378:                            ;   in Loop: Header=BB220_358 Depth=2
	s_or_b64 exec, exec, s[36:37]
	; wave barrier
	s_waitcnt lgkmcnt(0)
	s_barrier
	ds_read2_b32 v[15:16], v53 offset1:1
	ds_read2_b32 v[13:14], v54 offset1:1
	ds_read_b32 v88, v50 offset:1056
	s_waitcnt lgkmcnt(1)
	v_add3_u32 v89, v16, v15, v13
	s_waitcnt lgkmcnt(0)
	v_add3_u32 v88, v89, v14, v88
	s_nop 1
	v_mov_b32_dpp v89, v88 row_shr:1 row_mask:0xf bank_mask:0xf
	v_cndmask_b32_e64 v89, v89, 0, s[16:17]
	v_add_u32_e32 v88, v89, v88
	s_nop 1
	v_mov_b32_dpp v89, v88 row_shr:2 row_mask:0xf bank_mask:0xf
	v_cndmask_b32_e64 v89, 0, v89, s[18:19]
	v_add_u32_e32 v88, v88, v89
	;; [unrolled: 4-line block ×4, first 2 shown]
	s_nop 1
	v_mov_b32_dpp v89, v88 row_bcast:15 row_mask:0xf bank_mask:0xf
	v_cndmask_b32_e64 v89, v89, 0, s[24:25]
	v_add_u32_e32 v88, v88, v89
	s_nop 1
	v_mov_b32_dpp v89, v88 row_bcast:31 row_mask:0xf bank_mask:0xf
	v_cndmask_b32_e64 v89, 0, v89, s[26:27]
	v_add_u32_e32 v88, v88, v89
	s_and_saveexec_b64 s[36:37], s[6:7]
; %bb.379:                              ;   in Loop: Header=BB220_358 Depth=2
	ds_write_b32 v26, v88 offset:1024
; %bb.380:                              ;   in Loop: Header=BB220_358 Depth=2
	s_or_b64 exec, exec, s[36:37]
	s_waitcnt lgkmcnt(0)
	s_barrier
	s_and_saveexec_b64 s[36:37], s[8:9]
	s_cbranch_execz .LBB220_382
; %bb.381:                              ;   in Loop: Header=BB220_358 Depth=2
	v_add_u32_e32 v89, v50, v28
	ds_read_b32 v90, v89 offset:1024
	s_waitcnt lgkmcnt(0)
	s_nop 0
	v_mov_b32_dpp v91, v90 row_shr:1 row_mask:0xf bank_mask:0xf
	v_cndmask_b32_e64 v91, v91, 0, s[30:31]
	v_add_u32_e32 v90, v91, v90
	s_nop 1
	v_mov_b32_dpp v91, v90 row_shr:2 row_mask:0xf bank_mask:0xf
	v_cndmask_b32_e64 v91, 0, v91, s[34:35]
	v_add_u32_e32 v90, v90, v91
	ds_write_b32 v89, v90 offset:1024
.LBB220_382:                            ;   in Loop: Header=BB220_358 Depth=2
	s_or_b64 exec, exec, s[36:37]
	v_mov_b32_e32 v89, 0
	s_waitcnt lgkmcnt(0)
	s_barrier
	s_and_saveexec_b64 s[36:37], s[10:11]
; %bb.383:                              ;   in Loop: Header=BB220_358 Depth=2
	ds_read_b32 v89, v26 offset:1020
; %bb.384:                              ;   in Loop: Header=BB220_358 Depth=2
	s_or_b64 exec, exec, s[36:37]
	s_waitcnt lgkmcnt(0)
	v_add_u32_e32 v88, v89, v88
	ds_bpermute_b32 v88, v64, v88
	s_waitcnt lgkmcnt(0)
	v_cndmask_b32_e64 v88, v88, v89, s[28:29]
	v_cndmask_b32_e64 v88, v88, 0, s[12:13]
	v_add_u32_e32 v15, v88, v15
	v_add_u32_e32 v16, v15, v16
	;; [unrolled: 1-line block ×4, first 2 shown]
	ds_write2_b32 v53, v88, v15 offset1:1
	ds_write2_b32 v54, v16, v13 offset1:1
	ds_write_b32 v50, v14 offset:1056
	s_waitcnt lgkmcnt(0)
	s_barrier
	ds_read_b32 v13, v80 offset:1040
	ds_read_b32 v14, v83 offset:1040
	;; [unrolled: 1-line block ×5, first 2 shown]
	v_mov_b32_e32 v80, 0x400
	s_and_saveexec_b64 s[36:37], s[14:15]
; %bb.385:                              ;   in Loop: Header=BB220_358 Depth=2
	ds_read_b32 v80, v50 offset:1060
; %bb.386:                              ;   in Loop: Header=BB220_358 Depth=2
	s_or_b64 exec, exec, s[36:37]
	s_waitcnt lgkmcnt(0)
	s_barrier
	s_and_saveexec_b64 s[36:37], s[4:5]
	s_cbranch_execz .LBB220_388
; %bb.387:                              ;   in Loop: Header=BB220_358 Depth=2
	ds_read_b32 v86, v18
	s_waitcnt lgkmcnt(0)
	v_sub_u32_e32 v15, v86, v15
	ds_write_b32 v18, v15
.LBB220_388:                            ;   in Loop: Header=BB220_358 Depth=2
	s_or_b64 exec, exec, s[36:37]
	v_add_u32_e32 v15, v13, v78
	v_add3_u32 v14, v81, v79, v14
	v_add3_u32 v13, v84, v82, v16
	v_add3_u32 v4, v4, v85, v83
	v_cmp_lt_u32_e64 s[40:41], v0, v74
	ds_write_b8 v15, v17 offset:1024
	ds_write_b8 v14, v75 offset:1024
	;; [unrolled: 1-line block ×4, first 2 shown]
	s_waitcnt lgkmcnt(0)
	s_barrier
	s_and_saveexec_b64 s[36:37], s[40:41]
	s_cbranch_execnz .LBB220_409
; %bb.389:                              ;   in Loop: Header=BB220_358 Depth=2
	s_or_b64 exec, exec, s[36:37]
	v_cmp_lt_u32_e64 s[38:39], v19, v74
	s_and_saveexec_b64 s[36:37], s[38:39]
	s_cbranch_execnz .LBB220_410
.LBB220_390:                            ;   in Loop: Header=BB220_358 Depth=2
	s_or_b64 exec, exec, s[36:37]
	v_cmp_lt_u32_e64 s[36:37], v20, v74
	s_and_saveexec_b64 s[42:43], s[36:37]
	s_cbranch_execnz .LBB220_411
.LBB220_391:                            ;   in Loop: Header=BB220_358 Depth=2
	s_or_b64 exec, exec, s[42:43]
	v_cmp_lt_u32_e32 vcc, v21, v74
	s_and_saveexec_b64 s[42:43], vcc
	s_cbranch_execz .LBB220_393
.LBB220_392:                            ;   in Loop: Header=BB220_358 Depth=2
	ds_read_u8 v16, v0 offset:1792
	s_waitcnt lgkmcnt(0)
	v_lshrrev_b32_sdwa v17, s73, v16 dst_sel:DWORD dst_unused:UNUSED_PAD src0_sel:DWORD src1_sel:BYTE_0
	v_and_b32_e32 v17, s59, v17
	v_lshlrev_b32_e32 v17, 2, v17
	ds_read_b32 v17, v17
	s_waitcnt lgkmcnt(0)
	v_add_u32_e32 v17, v17, v21
	global_store_byte v17, v16, s[68:69]
.LBB220_393:                            ;   in Loop: Header=BB220_358 Depth=2
	s_or_b64 exec, exec, s[42:43]
	s_lshl_b64 s[42:43], s[46:47], 3
	v_mov_b32_e32 v17, s43
	v_add_co_u32_e64 v16, s[42:43], s42, v65
	v_addc_co_u32_e64 v17, s[42:43], v66, v17, s[42:43]
	v_cmp_lt_u32_e64 s[42:43], v47, v74
	s_and_saveexec_b64 s[56:57], s[42:43]
	s_xor_b64 s[42:43], exec, s[56:57]
	s_cbranch_execnz .LBB220_412
; %bb.394:                              ;   in Loop: Header=BB220_358 Depth=2
	s_or_b64 exec, exec, s[42:43]
	v_cmp_lt_u32_e64 s[42:43], v61, v74
	s_and_saveexec_b64 s[56:57], s[42:43]
	s_cbranch_execnz .LBB220_413
.LBB220_395:                            ;   in Loop: Header=BB220_358 Depth=2
	s_or_b64 exec, exec, s[56:57]
	v_cmp_lt_u32_e64 s[42:43], v62, v74
	s_and_saveexec_b64 s[56:57], s[42:43]
	s_cbranch_execnz .LBB220_414
.LBB220_396:                            ;   in Loop: Header=BB220_358 Depth=2
	s_or_b64 exec, exec, s[56:57]
	v_cmp_lt_u32_e64 s[42:43], v63, v74
	s_and_saveexec_b64 s[56:57], s[42:43]
	s_cbranch_execnz .LBB220_415
.LBB220_397:                            ;   in Loop: Header=BB220_358 Depth=2
	s_or_b64 exec, exec, s[56:57]
	s_and_saveexec_b64 s[42:43], s[40:41]
	s_cbranch_execnz .LBB220_416
.LBB220_398:                            ;   in Loop: Header=BB220_358 Depth=2
	s_or_b64 exec, exec, s[42:43]
	s_and_saveexec_b64 s[42:43], s[38:39]
	s_cbranch_execnz .LBB220_417
.LBB220_399:                            ;   in Loop: Header=BB220_358 Depth=2
	s_or_b64 exec, exec, s[42:43]
	s_and_saveexec_b64 s[42:43], s[36:37]
	s_cbranch_execnz .LBB220_418
.LBB220_400:                            ;   in Loop: Header=BB220_358 Depth=2
	s_or_b64 exec, exec, s[42:43]
	s_and_saveexec_b64 s[42:43], vcc
	s_cbranch_execz .LBB220_402
.LBB220_401:                            ;   in Loop: Header=BB220_358 Depth=2
	ds_read_u8 v16, v0 offset:1792
	s_waitcnt lgkmcnt(0)
	v_lshrrev_b32_e32 v16, s73, v16
	v_and_b32_e32 v69, s59, v16
.LBB220_402:                            ;   in Loop: Header=BB220_358 Depth=2
	s_or_b64 exec, exec, s[42:43]
	v_mad_u64_u32 v[15:16], s[42:43], v15, 7, v[15:16]
	s_waitcnt vmcnt(0)
	v_mad_u64_u32 v[74:75], s[42:43], v4, 7, v[4:5]
	v_mad_u64_u32 v[16:17], s[42:43], v14, 7, v[14:15]
	;; [unrolled: 1-line block ×3, first 2 shown]
	v_add_u32_e32 v4, v0, v51
	s_barrier
	ds_write_b64 v15, v[11:12] offset:1024
	ds_write_b64 v16, v[9:10] offset:1024
	;; [unrolled: 1-line block ×4, first 2 shown]
	s_waitcnt lgkmcnt(0)
	s_barrier
	s_and_saveexec_b64 s[42:43], s[40:41]
	s_cbranch_execnz .LBB220_419
; %bb.403:                              ;   in Loop: Header=BB220_358 Depth=2
	s_or_b64 exec, exec, s[42:43]
	s_and_saveexec_b64 s[40:41], s[38:39]
	s_cbranch_execnz .LBB220_420
.LBB220_404:                            ;   in Loop: Header=BB220_358 Depth=2
	s_or_b64 exec, exec, s[40:41]
	s_and_saveexec_b64 s[38:39], s[36:37]
	s_cbranch_execnz .LBB220_421
.LBB220_405:                            ;   in Loop: Header=BB220_358 Depth=2
	s_or_b64 exec, exec, s[38:39]
	s_and_saveexec_b64 s[36:37], vcc
	s_cbranch_execz .LBB220_407
.LBB220_406:                            ;   in Loop: Header=BB220_358 Depth=2
	v_lshlrev_b32_e32 v13, 2, v69
	ds_read_b32 v15, v13
	ds_read_b64 v[13:14], v4 offset:7168
	v_mov_b32_e32 v16, v3
	v_mov_b32_e32 v4, s55
	s_waitcnt lgkmcnt(1)
	v_add_u32_e32 v15, v15, v21
	v_lshlrev_b64 v[15:16], 3, v[15:16]
	v_add_co_u32_e32 v15, vcc, s54, v15
	v_addc_co_u32_e32 v16, vcc, v4, v16, vcc
	s_waitcnt lgkmcnt(0)
	global_store_dwordx2 v[15:16], v[13:14], off
.LBB220_407:                            ;   in Loop: Header=BB220_358 Depth=2
	s_or_b64 exec, exec, s[36:37]
	s_waitcnt vmcnt(0)
	s_barrier
	s_and_saveexec_b64 s[36:37], s[4:5]
	s_cbranch_execz .LBB220_357
; %bb.408:                              ;   in Loop: Header=BB220_358 Depth=2
	ds_read_b32 v4, v18
	s_waitcnt lgkmcnt(0)
	v_add_u32_e32 v4, v4, v80
	ds_write_b32 v18, v4
	s_branch .LBB220_357
.LBB220_409:                            ;   in Loop: Header=BB220_358 Depth=2
	ds_read_u8 v16, v0 offset:1024
	s_waitcnt lgkmcnt(0)
	v_lshrrev_b32_sdwa v17, s73, v16 dst_sel:DWORD dst_unused:UNUSED_PAD src0_sel:DWORD src1_sel:BYTE_0
	v_and_b32_e32 v17, s59, v17
	v_lshlrev_b32_e32 v17, 2, v17
	ds_read_b32 v17, v17
	s_waitcnt lgkmcnt(0)
	v_add_u32_e32 v17, v17, v0
	global_store_byte v17, v16, s[68:69]
	s_or_b64 exec, exec, s[36:37]
	v_cmp_lt_u32_e64 s[38:39], v19, v74
	s_and_saveexec_b64 s[36:37], s[38:39]
	s_cbranch_execz .LBB220_390
.LBB220_410:                            ;   in Loop: Header=BB220_358 Depth=2
	ds_read_u8 v16, v0 offset:1280
	s_waitcnt lgkmcnt(0)
	v_lshrrev_b32_sdwa v17, s73, v16 dst_sel:DWORD dst_unused:UNUSED_PAD src0_sel:DWORD src1_sel:BYTE_0
	v_and_b32_e32 v17, s59, v17
	v_lshlrev_b32_e32 v17, 2, v17
	ds_read_b32 v17, v17
	s_waitcnt lgkmcnt(0)
	v_add_u32_e32 v17, v17, v19
	global_store_byte v17, v16, s[68:69]
	s_or_b64 exec, exec, s[36:37]
	v_cmp_lt_u32_e64 s[36:37], v20, v74
	s_and_saveexec_b64 s[42:43], s[36:37]
	s_cbranch_execz .LBB220_391
.LBB220_411:                            ;   in Loop: Header=BB220_358 Depth=2
	ds_read_u8 v16, v0 offset:1536
	s_waitcnt lgkmcnt(0)
	v_lshrrev_b32_sdwa v17, s73, v16 dst_sel:DWORD dst_unused:UNUSED_PAD src0_sel:DWORD src1_sel:BYTE_0
	v_and_b32_e32 v17, s59, v17
	v_lshlrev_b32_e32 v17, 2, v17
	ds_read_b32 v17, v17
	s_waitcnt lgkmcnt(0)
	v_add_u32_e32 v17, v17, v20
	global_store_byte v17, v16, s[68:69]
	s_or_b64 exec, exec, s[42:43]
	v_cmp_lt_u32_e32 vcc, v21, v74
	s_and_saveexec_b64 s[42:43], vcc
	s_cbranch_execnz .LBB220_392
	s_branch .LBB220_393
.LBB220_412:                            ;   in Loop: Header=BB220_358 Depth=2
	global_load_dwordx2 v[11:12], v[16:17], off
	s_or_b64 exec, exec, s[42:43]
	v_cmp_lt_u32_e64 s[42:43], v61, v74
	s_and_saveexec_b64 s[56:57], s[42:43]
	s_cbranch_execz .LBB220_395
.LBB220_413:                            ;   in Loop: Header=BB220_358 Depth=2
	global_load_dwordx2 v[9:10], v[16:17], off offset:512
	s_or_b64 exec, exec, s[56:57]
	v_cmp_lt_u32_e64 s[42:43], v62, v74
	s_and_saveexec_b64 s[56:57], s[42:43]
	s_cbranch_execz .LBB220_396
.LBB220_414:                            ;   in Loop: Header=BB220_358 Depth=2
	global_load_dwordx2 v[7:8], v[16:17], off offset:1024
	s_or_b64 exec, exec, s[56:57]
	v_cmp_lt_u32_e64 s[42:43], v63, v74
	s_and_saveexec_b64 s[56:57], s[42:43]
	s_cbranch_execz .LBB220_397
.LBB220_415:                            ;   in Loop: Header=BB220_358 Depth=2
	global_load_dwordx2 v[5:6], v[16:17], off offset:1536
	s_or_b64 exec, exec, s[56:57]
	s_and_saveexec_b64 s[42:43], s[40:41]
	s_cbranch_execz .LBB220_398
.LBB220_416:                            ;   in Loop: Header=BB220_358 Depth=2
	ds_read_u8 v16, v0 offset:1024
	s_waitcnt lgkmcnt(0)
	v_lshrrev_b32_e32 v16, s73, v16
	v_and_b32_e32 v73, s59, v16
	s_or_b64 exec, exec, s[42:43]
	s_and_saveexec_b64 s[42:43], s[38:39]
	s_cbranch_execz .LBB220_399
.LBB220_417:                            ;   in Loop: Header=BB220_358 Depth=2
	ds_read_u8 v16, v0 offset:1280
	s_waitcnt lgkmcnt(0)
	v_lshrrev_b32_e32 v16, s73, v16
	v_and_b32_e32 v72, s59, v16
	s_or_b64 exec, exec, s[42:43]
	s_and_saveexec_b64 s[42:43], s[36:37]
	s_cbranch_execz .LBB220_400
.LBB220_418:                            ;   in Loop: Header=BB220_358 Depth=2
	ds_read_u8 v16, v0 offset:1536
	s_waitcnt lgkmcnt(0)
	v_lshrrev_b32_e32 v16, s73, v16
	v_and_b32_e32 v70, s59, v16
	s_or_b64 exec, exec, s[42:43]
	s_and_saveexec_b64 s[42:43], vcc
	s_cbranch_execnz .LBB220_401
	s_branch .LBB220_402
.LBB220_419:                            ;   in Loop: Header=BB220_358 Depth=2
	v_lshlrev_b32_e32 v13, 2, v73
	ds_read_b32 v15, v13
	ds_read_b64 v[13:14], v4 offset:1024
	v_mov_b32_e32 v16, v3
	v_mov_b32_e32 v17, s55
	s_waitcnt lgkmcnt(1)
	v_add_u32_e32 v15, v15, v0
	v_lshlrev_b64 v[15:16], 3, v[15:16]
	v_add_co_u32_e64 v15, s[40:41], s54, v15
	v_addc_co_u32_e64 v16, s[40:41], v17, v16, s[40:41]
	s_waitcnt lgkmcnt(0)
	global_store_dwordx2 v[15:16], v[13:14], off
	s_or_b64 exec, exec, s[42:43]
	s_and_saveexec_b64 s[40:41], s[38:39]
	s_cbranch_execz .LBB220_404
.LBB220_420:                            ;   in Loop: Header=BB220_358 Depth=2
	v_lshlrev_b32_e32 v13, 2, v72
	ds_read_b32 v15, v13
	ds_read_b64 v[13:14], v4 offset:3072
	v_mov_b32_e32 v16, v3
	v_mov_b32_e32 v17, s55
	s_waitcnt lgkmcnt(1)
	v_add_u32_e32 v15, v15, v19
	v_lshlrev_b64 v[15:16], 3, v[15:16]
	v_add_co_u32_e64 v15, s[38:39], s54, v15
	v_addc_co_u32_e64 v16, s[38:39], v17, v16, s[38:39]
	s_waitcnt lgkmcnt(0)
	global_store_dwordx2 v[15:16], v[13:14], off
	s_or_b64 exec, exec, s[40:41]
	s_and_saveexec_b64 s[38:39], s[36:37]
	s_cbranch_execz .LBB220_405
.LBB220_421:                            ;   in Loop: Header=BB220_358 Depth=2
	v_lshlrev_b32_e32 v13, 2, v70
	ds_read_b32 v15, v13
	ds_read_b64 v[13:14], v4 offset:5120
	v_mov_b32_e32 v16, v3
	v_mov_b32_e32 v17, s55
	s_waitcnt lgkmcnt(1)
	v_add_u32_e32 v15, v15, v20
	v_lshlrev_b64 v[15:16], 3, v[15:16]
	v_add_co_u32_e64 v15, s[36:37], s54, v15
	v_addc_co_u32_e64 v16, s[36:37], v17, v16, s[36:37]
	s_waitcnt lgkmcnt(0)
	global_store_dwordx2 v[15:16], v[13:14], off
	s_or_b64 exec, exec, s[38:39]
	s_and_saveexec_b64 s[36:37], vcc
	s_cbranch_execnz .LBB220_406
	s_branch .LBB220_407
.LBB220_422:
	s_endpgm
	.section	.rodata,"a",@progbits
	.p2align	6, 0x0
	.amdhsa_kernel _ZN7rocprim17ROCPRIM_400000_NS6detail17trampoline_kernelINS0_14default_configENS1_36segmented_radix_sort_config_selectorIhlEEZNS1_25segmented_radix_sort_implIS3_Lb0EPKhPhPKlPlN2at6native12_GLOBAL__N_18offset_tEEE10hipError_tPvRmT1_PNSt15iterator_traitsISK_E10value_typeET2_T3_PNSL_ISQ_E10value_typeET4_jRbjT5_SW_jjP12ihipStream_tbEUlT_E2_NS1_11comp_targetILNS1_3genE2ELNS1_11target_archE906ELNS1_3gpuE6ELNS1_3repE0EEENS1_30default_config_static_selectorELNS0_4arch9wavefront6targetE1EEEvSK_
		.amdhsa_group_segment_fixed_size 9232
		.amdhsa_private_segment_fixed_size 0
		.amdhsa_kernarg_size 336
		.amdhsa_user_sgpr_count 6
		.amdhsa_user_sgpr_private_segment_buffer 1
		.amdhsa_user_sgpr_dispatch_ptr 0
		.amdhsa_user_sgpr_queue_ptr 0
		.amdhsa_user_sgpr_kernarg_segment_ptr 1
		.amdhsa_user_sgpr_dispatch_id 0
		.amdhsa_user_sgpr_flat_scratch_init 0
		.amdhsa_user_sgpr_private_segment_size 0
		.amdhsa_uses_dynamic_stack 0
		.amdhsa_system_sgpr_private_segment_wavefront_offset 0
		.amdhsa_system_sgpr_workgroup_id_x 1
		.amdhsa_system_sgpr_workgroup_id_y 1
		.amdhsa_system_sgpr_workgroup_id_z 0
		.amdhsa_system_sgpr_workgroup_info 0
		.amdhsa_system_vgpr_workitem_id 2
		.amdhsa_next_free_vgpr 97
		.amdhsa_next_free_sgpr 77
		.amdhsa_reserve_vcc 1
		.amdhsa_reserve_flat_scratch 0
		.amdhsa_float_round_mode_32 0
		.amdhsa_float_round_mode_16_64 0
		.amdhsa_float_denorm_mode_32 3
		.amdhsa_float_denorm_mode_16_64 3
		.amdhsa_dx10_clamp 1
		.amdhsa_ieee_mode 1
		.amdhsa_fp16_overflow 0
		.amdhsa_exception_fp_ieee_invalid_op 0
		.amdhsa_exception_fp_denorm_src 0
		.amdhsa_exception_fp_ieee_div_zero 0
		.amdhsa_exception_fp_ieee_overflow 0
		.amdhsa_exception_fp_ieee_underflow 0
		.amdhsa_exception_fp_ieee_inexact 0
		.amdhsa_exception_int_div_zero 0
	.end_amdhsa_kernel
	.section	.text._ZN7rocprim17ROCPRIM_400000_NS6detail17trampoline_kernelINS0_14default_configENS1_36segmented_radix_sort_config_selectorIhlEEZNS1_25segmented_radix_sort_implIS3_Lb0EPKhPhPKlPlN2at6native12_GLOBAL__N_18offset_tEEE10hipError_tPvRmT1_PNSt15iterator_traitsISK_E10value_typeET2_T3_PNSL_ISQ_E10value_typeET4_jRbjT5_SW_jjP12ihipStream_tbEUlT_E2_NS1_11comp_targetILNS1_3genE2ELNS1_11target_archE906ELNS1_3gpuE6ELNS1_3repE0EEENS1_30default_config_static_selectorELNS0_4arch9wavefront6targetE1EEEvSK_,"axG",@progbits,_ZN7rocprim17ROCPRIM_400000_NS6detail17trampoline_kernelINS0_14default_configENS1_36segmented_radix_sort_config_selectorIhlEEZNS1_25segmented_radix_sort_implIS3_Lb0EPKhPhPKlPlN2at6native12_GLOBAL__N_18offset_tEEE10hipError_tPvRmT1_PNSt15iterator_traitsISK_E10value_typeET2_T3_PNSL_ISQ_E10value_typeET4_jRbjT5_SW_jjP12ihipStream_tbEUlT_E2_NS1_11comp_targetILNS1_3genE2ELNS1_11target_archE906ELNS1_3gpuE6ELNS1_3repE0EEENS1_30default_config_static_selectorELNS0_4arch9wavefront6targetE1EEEvSK_,comdat
.Lfunc_end220:
	.size	_ZN7rocprim17ROCPRIM_400000_NS6detail17trampoline_kernelINS0_14default_configENS1_36segmented_radix_sort_config_selectorIhlEEZNS1_25segmented_radix_sort_implIS3_Lb0EPKhPhPKlPlN2at6native12_GLOBAL__N_18offset_tEEE10hipError_tPvRmT1_PNSt15iterator_traitsISK_E10value_typeET2_T3_PNSL_ISQ_E10value_typeET4_jRbjT5_SW_jjP12ihipStream_tbEUlT_E2_NS1_11comp_targetILNS1_3genE2ELNS1_11target_archE906ELNS1_3gpuE6ELNS1_3repE0EEENS1_30default_config_static_selectorELNS0_4arch9wavefront6targetE1EEEvSK_, .Lfunc_end220-_ZN7rocprim17ROCPRIM_400000_NS6detail17trampoline_kernelINS0_14default_configENS1_36segmented_radix_sort_config_selectorIhlEEZNS1_25segmented_radix_sort_implIS3_Lb0EPKhPhPKlPlN2at6native12_GLOBAL__N_18offset_tEEE10hipError_tPvRmT1_PNSt15iterator_traitsISK_E10value_typeET2_T3_PNSL_ISQ_E10value_typeET4_jRbjT5_SW_jjP12ihipStream_tbEUlT_E2_NS1_11comp_targetILNS1_3genE2ELNS1_11target_archE906ELNS1_3gpuE6ELNS1_3repE0EEENS1_30default_config_static_selectorELNS0_4arch9wavefront6targetE1EEEvSK_
                                        ; -- End function
	.set _ZN7rocprim17ROCPRIM_400000_NS6detail17trampoline_kernelINS0_14default_configENS1_36segmented_radix_sort_config_selectorIhlEEZNS1_25segmented_radix_sort_implIS3_Lb0EPKhPhPKlPlN2at6native12_GLOBAL__N_18offset_tEEE10hipError_tPvRmT1_PNSt15iterator_traitsISK_E10value_typeET2_T3_PNSL_ISQ_E10value_typeET4_jRbjT5_SW_jjP12ihipStream_tbEUlT_E2_NS1_11comp_targetILNS1_3genE2ELNS1_11target_archE906ELNS1_3gpuE6ELNS1_3repE0EEENS1_30default_config_static_selectorELNS0_4arch9wavefront6targetE1EEEvSK_.num_vgpr, max(92, .L_ZN7rocprim17ROCPRIM_400000_NS6detail26segmented_warp_sort_helperINS1_20WarpSortHelperConfigILj8ELj4ELj256EEEhlLi256ELb0EvE4sortIPKhPhPKlPlEEvT_T0_T1_T2_jjjjRNS5_12storage_typeE.num_vgpr, .L_ZN7rocprim17ROCPRIM_400000_NS6detail40segmented_radix_sort_single_block_helperIhlLj256ELj4ELb0EE4sortIPKhPhPKlPlEEbT_T0_T1_T2_jjjjRNS3_12storage_typeE.num_vgpr)
	.set _ZN7rocprim17ROCPRIM_400000_NS6detail17trampoline_kernelINS0_14default_configENS1_36segmented_radix_sort_config_selectorIhlEEZNS1_25segmented_radix_sort_implIS3_Lb0EPKhPhPKlPlN2at6native12_GLOBAL__N_18offset_tEEE10hipError_tPvRmT1_PNSt15iterator_traitsISK_E10value_typeET2_T3_PNSL_ISQ_E10value_typeET4_jRbjT5_SW_jjP12ihipStream_tbEUlT_E2_NS1_11comp_targetILNS1_3genE2ELNS1_11target_archE906ELNS1_3gpuE6ELNS1_3repE0EEENS1_30default_config_static_selectorELNS0_4arch9wavefront6targetE1EEEvSK_.num_agpr, max(0, .L_ZN7rocprim17ROCPRIM_400000_NS6detail26segmented_warp_sort_helperINS1_20WarpSortHelperConfigILj8ELj4ELj256EEEhlLi256ELb0EvE4sortIPKhPhPKlPlEEvT_T0_T1_T2_jjjjRNS5_12storage_typeE.num_agpr, .L_ZN7rocprim17ROCPRIM_400000_NS6detail40segmented_radix_sort_single_block_helperIhlLj256ELj4ELb0EE4sortIPKhPhPKlPlEEbT_T0_T1_T2_jjjjRNS3_12storage_typeE.num_agpr)
	.set _ZN7rocprim17ROCPRIM_400000_NS6detail17trampoline_kernelINS0_14default_configENS1_36segmented_radix_sort_config_selectorIhlEEZNS1_25segmented_radix_sort_implIS3_Lb0EPKhPhPKlPlN2at6native12_GLOBAL__N_18offset_tEEE10hipError_tPvRmT1_PNSt15iterator_traitsISK_E10value_typeET2_T3_PNSL_ISQ_E10value_typeET4_jRbjT5_SW_jjP12ihipStream_tbEUlT_E2_NS1_11comp_targetILNS1_3genE2ELNS1_11target_archE906ELNS1_3gpuE6ELNS1_3repE0EEENS1_30default_config_static_selectorELNS0_4arch9wavefront6targetE1EEEvSK_.numbered_sgpr, max(76, .L_ZN7rocprim17ROCPRIM_400000_NS6detail26segmented_warp_sort_helperINS1_20WarpSortHelperConfigILj8ELj4ELj256EEEhlLi256ELb0EvE4sortIPKhPhPKlPlEEvT_T0_T1_T2_jjjjRNS5_12storage_typeE.numbered_sgpr, .L_ZN7rocprim17ROCPRIM_400000_NS6detail40segmented_radix_sort_single_block_helperIhlLj256ELj4ELb0EE4sortIPKhPhPKlPlEEbT_T0_T1_T2_jjjjRNS3_12storage_typeE.numbered_sgpr)
	.set _ZN7rocprim17ROCPRIM_400000_NS6detail17trampoline_kernelINS0_14default_configENS1_36segmented_radix_sort_config_selectorIhlEEZNS1_25segmented_radix_sort_implIS3_Lb0EPKhPhPKlPlN2at6native12_GLOBAL__N_18offset_tEEE10hipError_tPvRmT1_PNSt15iterator_traitsISK_E10value_typeET2_T3_PNSL_ISQ_E10value_typeET4_jRbjT5_SW_jjP12ihipStream_tbEUlT_E2_NS1_11comp_targetILNS1_3genE2ELNS1_11target_archE906ELNS1_3gpuE6ELNS1_3repE0EEENS1_30default_config_static_selectorELNS0_4arch9wavefront6targetE1EEEvSK_.num_named_barrier, max(0, .L_ZN7rocprim17ROCPRIM_400000_NS6detail26segmented_warp_sort_helperINS1_20WarpSortHelperConfigILj8ELj4ELj256EEEhlLi256ELb0EvE4sortIPKhPhPKlPlEEvT_T0_T1_T2_jjjjRNS5_12storage_typeE.num_named_barrier, .L_ZN7rocprim17ROCPRIM_400000_NS6detail40segmented_radix_sort_single_block_helperIhlLj256ELj4ELb0EE4sortIPKhPhPKlPlEEbT_T0_T1_T2_jjjjRNS3_12storage_typeE.num_named_barrier)
	.set _ZN7rocprim17ROCPRIM_400000_NS6detail17trampoline_kernelINS0_14default_configENS1_36segmented_radix_sort_config_selectorIhlEEZNS1_25segmented_radix_sort_implIS3_Lb0EPKhPhPKlPlN2at6native12_GLOBAL__N_18offset_tEEE10hipError_tPvRmT1_PNSt15iterator_traitsISK_E10value_typeET2_T3_PNSL_ISQ_E10value_typeET4_jRbjT5_SW_jjP12ihipStream_tbEUlT_E2_NS1_11comp_targetILNS1_3genE2ELNS1_11target_archE906ELNS1_3gpuE6ELNS1_3repE0EEENS1_30default_config_static_selectorELNS0_4arch9wavefront6targetE1EEEvSK_.private_seg_size, 0+max(.L_ZN7rocprim17ROCPRIM_400000_NS6detail26segmented_warp_sort_helperINS1_20WarpSortHelperConfigILj8ELj4ELj256EEEhlLi256ELb0EvE4sortIPKhPhPKlPlEEvT_T0_T1_T2_jjjjRNS5_12storage_typeE.private_seg_size, .L_ZN7rocprim17ROCPRIM_400000_NS6detail40segmented_radix_sort_single_block_helperIhlLj256ELj4ELb0EE4sortIPKhPhPKlPlEEbT_T0_T1_T2_jjjjRNS3_12storage_typeE.private_seg_size)
	.set _ZN7rocprim17ROCPRIM_400000_NS6detail17trampoline_kernelINS0_14default_configENS1_36segmented_radix_sort_config_selectorIhlEEZNS1_25segmented_radix_sort_implIS3_Lb0EPKhPhPKlPlN2at6native12_GLOBAL__N_18offset_tEEE10hipError_tPvRmT1_PNSt15iterator_traitsISK_E10value_typeET2_T3_PNSL_ISQ_E10value_typeET4_jRbjT5_SW_jjP12ihipStream_tbEUlT_E2_NS1_11comp_targetILNS1_3genE2ELNS1_11target_archE906ELNS1_3gpuE6ELNS1_3repE0EEENS1_30default_config_static_selectorELNS0_4arch9wavefront6targetE1EEEvSK_.uses_vcc, or(1, .L_ZN7rocprim17ROCPRIM_400000_NS6detail26segmented_warp_sort_helperINS1_20WarpSortHelperConfigILj8ELj4ELj256EEEhlLi256ELb0EvE4sortIPKhPhPKlPlEEvT_T0_T1_T2_jjjjRNS5_12storage_typeE.uses_vcc, .L_ZN7rocprim17ROCPRIM_400000_NS6detail40segmented_radix_sort_single_block_helperIhlLj256ELj4ELb0EE4sortIPKhPhPKlPlEEbT_T0_T1_T2_jjjjRNS3_12storage_typeE.uses_vcc)
	.set _ZN7rocprim17ROCPRIM_400000_NS6detail17trampoline_kernelINS0_14default_configENS1_36segmented_radix_sort_config_selectorIhlEEZNS1_25segmented_radix_sort_implIS3_Lb0EPKhPhPKlPlN2at6native12_GLOBAL__N_18offset_tEEE10hipError_tPvRmT1_PNSt15iterator_traitsISK_E10value_typeET2_T3_PNSL_ISQ_E10value_typeET4_jRbjT5_SW_jjP12ihipStream_tbEUlT_E2_NS1_11comp_targetILNS1_3genE2ELNS1_11target_archE906ELNS1_3gpuE6ELNS1_3repE0EEENS1_30default_config_static_selectorELNS0_4arch9wavefront6targetE1EEEvSK_.uses_flat_scratch, or(0, .L_ZN7rocprim17ROCPRIM_400000_NS6detail26segmented_warp_sort_helperINS1_20WarpSortHelperConfigILj8ELj4ELj256EEEhlLi256ELb0EvE4sortIPKhPhPKlPlEEvT_T0_T1_T2_jjjjRNS5_12storage_typeE.uses_flat_scratch, .L_ZN7rocprim17ROCPRIM_400000_NS6detail40segmented_radix_sort_single_block_helperIhlLj256ELj4ELb0EE4sortIPKhPhPKlPlEEbT_T0_T1_T2_jjjjRNS3_12storage_typeE.uses_flat_scratch)
	.set _ZN7rocprim17ROCPRIM_400000_NS6detail17trampoline_kernelINS0_14default_configENS1_36segmented_radix_sort_config_selectorIhlEEZNS1_25segmented_radix_sort_implIS3_Lb0EPKhPhPKlPlN2at6native12_GLOBAL__N_18offset_tEEE10hipError_tPvRmT1_PNSt15iterator_traitsISK_E10value_typeET2_T3_PNSL_ISQ_E10value_typeET4_jRbjT5_SW_jjP12ihipStream_tbEUlT_E2_NS1_11comp_targetILNS1_3genE2ELNS1_11target_archE906ELNS1_3gpuE6ELNS1_3repE0EEENS1_30default_config_static_selectorELNS0_4arch9wavefront6targetE1EEEvSK_.has_dyn_sized_stack, or(0, .L_ZN7rocprim17ROCPRIM_400000_NS6detail26segmented_warp_sort_helperINS1_20WarpSortHelperConfigILj8ELj4ELj256EEEhlLi256ELb0EvE4sortIPKhPhPKlPlEEvT_T0_T1_T2_jjjjRNS5_12storage_typeE.has_dyn_sized_stack, .L_ZN7rocprim17ROCPRIM_400000_NS6detail40segmented_radix_sort_single_block_helperIhlLj256ELj4ELb0EE4sortIPKhPhPKlPlEEbT_T0_T1_T2_jjjjRNS3_12storage_typeE.has_dyn_sized_stack)
	.set _ZN7rocprim17ROCPRIM_400000_NS6detail17trampoline_kernelINS0_14default_configENS1_36segmented_radix_sort_config_selectorIhlEEZNS1_25segmented_radix_sort_implIS3_Lb0EPKhPhPKlPlN2at6native12_GLOBAL__N_18offset_tEEE10hipError_tPvRmT1_PNSt15iterator_traitsISK_E10value_typeET2_T3_PNSL_ISQ_E10value_typeET4_jRbjT5_SW_jjP12ihipStream_tbEUlT_E2_NS1_11comp_targetILNS1_3genE2ELNS1_11target_archE906ELNS1_3gpuE6ELNS1_3repE0EEENS1_30default_config_static_selectorELNS0_4arch9wavefront6targetE1EEEvSK_.has_recursion, or(0, .L_ZN7rocprim17ROCPRIM_400000_NS6detail26segmented_warp_sort_helperINS1_20WarpSortHelperConfigILj8ELj4ELj256EEEhlLi256ELb0EvE4sortIPKhPhPKlPlEEvT_T0_T1_T2_jjjjRNS5_12storage_typeE.has_recursion, .L_ZN7rocprim17ROCPRIM_400000_NS6detail40segmented_radix_sort_single_block_helperIhlLj256ELj4ELb0EE4sortIPKhPhPKlPlEEbT_T0_T1_T2_jjjjRNS3_12storage_typeE.has_recursion)
	.set _ZN7rocprim17ROCPRIM_400000_NS6detail17trampoline_kernelINS0_14default_configENS1_36segmented_radix_sort_config_selectorIhlEEZNS1_25segmented_radix_sort_implIS3_Lb0EPKhPhPKlPlN2at6native12_GLOBAL__N_18offset_tEEE10hipError_tPvRmT1_PNSt15iterator_traitsISK_E10value_typeET2_T3_PNSL_ISQ_E10value_typeET4_jRbjT5_SW_jjP12ihipStream_tbEUlT_E2_NS1_11comp_targetILNS1_3genE2ELNS1_11target_archE906ELNS1_3gpuE6ELNS1_3repE0EEENS1_30default_config_static_selectorELNS0_4arch9wavefront6targetE1EEEvSK_.has_indirect_call, or(0, .L_ZN7rocprim17ROCPRIM_400000_NS6detail26segmented_warp_sort_helperINS1_20WarpSortHelperConfigILj8ELj4ELj256EEEhlLi256ELb0EvE4sortIPKhPhPKlPlEEvT_T0_T1_T2_jjjjRNS5_12storage_typeE.has_indirect_call, .L_ZN7rocprim17ROCPRIM_400000_NS6detail40segmented_radix_sort_single_block_helperIhlLj256ELj4ELb0EE4sortIPKhPhPKlPlEEbT_T0_T1_T2_jjjjRNS3_12storage_typeE.has_indirect_call)
	.section	.AMDGPU.csdata,"",@progbits
; Kernel info:
; codeLenInByte = 20564
; TotalNumSgprs: 80
; NumVgprs: 97
; ScratchSize: 0
; MemoryBound: 0
; FloatMode: 240
; IeeeMode: 1
; LDSByteSize: 9232 bytes/workgroup (compile time only)
; SGPRBlocks: 10
; VGPRBlocks: 24
; NumSGPRsForWavesPerEU: 81
; NumVGPRsForWavesPerEU: 97
; Occupancy: 2
; WaveLimiterHint : 1
; COMPUTE_PGM_RSRC2:SCRATCH_EN: 0
; COMPUTE_PGM_RSRC2:USER_SGPR: 6
; COMPUTE_PGM_RSRC2:TRAP_HANDLER: 0
; COMPUTE_PGM_RSRC2:TGID_X_EN: 1
; COMPUTE_PGM_RSRC2:TGID_Y_EN: 1
; COMPUTE_PGM_RSRC2:TGID_Z_EN: 0
; COMPUTE_PGM_RSRC2:TIDIG_COMP_CNT: 2
	.section	.text._ZN7rocprim17ROCPRIM_400000_NS6detail17trampoline_kernelINS0_14default_configENS1_36segmented_radix_sort_config_selectorIhlEEZNS1_25segmented_radix_sort_implIS3_Lb0EPKhPhPKlPlN2at6native12_GLOBAL__N_18offset_tEEE10hipError_tPvRmT1_PNSt15iterator_traitsISK_E10value_typeET2_T3_PNSL_ISQ_E10value_typeET4_jRbjT5_SW_jjP12ihipStream_tbEUlT_E2_NS1_11comp_targetILNS1_3genE10ELNS1_11target_archE1201ELNS1_3gpuE5ELNS1_3repE0EEENS1_30default_config_static_selectorELNS0_4arch9wavefront6targetE1EEEvSK_,"axG",@progbits,_ZN7rocprim17ROCPRIM_400000_NS6detail17trampoline_kernelINS0_14default_configENS1_36segmented_radix_sort_config_selectorIhlEEZNS1_25segmented_radix_sort_implIS3_Lb0EPKhPhPKlPlN2at6native12_GLOBAL__N_18offset_tEEE10hipError_tPvRmT1_PNSt15iterator_traitsISK_E10value_typeET2_T3_PNSL_ISQ_E10value_typeET4_jRbjT5_SW_jjP12ihipStream_tbEUlT_E2_NS1_11comp_targetILNS1_3genE10ELNS1_11target_archE1201ELNS1_3gpuE5ELNS1_3repE0EEENS1_30default_config_static_selectorELNS0_4arch9wavefront6targetE1EEEvSK_,comdat
	.globl	_ZN7rocprim17ROCPRIM_400000_NS6detail17trampoline_kernelINS0_14default_configENS1_36segmented_radix_sort_config_selectorIhlEEZNS1_25segmented_radix_sort_implIS3_Lb0EPKhPhPKlPlN2at6native12_GLOBAL__N_18offset_tEEE10hipError_tPvRmT1_PNSt15iterator_traitsISK_E10value_typeET2_T3_PNSL_ISQ_E10value_typeET4_jRbjT5_SW_jjP12ihipStream_tbEUlT_E2_NS1_11comp_targetILNS1_3genE10ELNS1_11target_archE1201ELNS1_3gpuE5ELNS1_3repE0EEENS1_30default_config_static_selectorELNS0_4arch9wavefront6targetE1EEEvSK_ ; -- Begin function _ZN7rocprim17ROCPRIM_400000_NS6detail17trampoline_kernelINS0_14default_configENS1_36segmented_radix_sort_config_selectorIhlEEZNS1_25segmented_radix_sort_implIS3_Lb0EPKhPhPKlPlN2at6native12_GLOBAL__N_18offset_tEEE10hipError_tPvRmT1_PNSt15iterator_traitsISK_E10value_typeET2_T3_PNSL_ISQ_E10value_typeET4_jRbjT5_SW_jjP12ihipStream_tbEUlT_E2_NS1_11comp_targetILNS1_3genE10ELNS1_11target_archE1201ELNS1_3gpuE5ELNS1_3repE0EEENS1_30default_config_static_selectorELNS0_4arch9wavefront6targetE1EEEvSK_
	.p2align	8
	.type	_ZN7rocprim17ROCPRIM_400000_NS6detail17trampoline_kernelINS0_14default_configENS1_36segmented_radix_sort_config_selectorIhlEEZNS1_25segmented_radix_sort_implIS3_Lb0EPKhPhPKlPlN2at6native12_GLOBAL__N_18offset_tEEE10hipError_tPvRmT1_PNSt15iterator_traitsISK_E10value_typeET2_T3_PNSL_ISQ_E10value_typeET4_jRbjT5_SW_jjP12ihipStream_tbEUlT_E2_NS1_11comp_targetILNS1_3genE10ELNS1_11target_archE1201ELNS1_3gpuE5ELNS1_3repE0EEENS1_30default_config_static_selectorELNS0_4arch9wavefront6targetE1EEEvSK_,@function
_ZN7rocprim17ROCPRIM_400000_NS6detail17trampoline_kernelINS0_14default_configENS1_36segmented_radix_sort_config_selectorIhlEEZNS1_25segmented_radix_sort_implIS3_Lb0EPKhPhPKlPlN2at6native12_GLOBAL__N_18offset_tEEE10hipError_tPvRmT1_PNSt15iterator_traitsISK_E10value_typeET2_T3_PNSL_ISQ_E10value_typeET4_jRbjT5_SW_jjP12ihipStream_tbEUlT_E2_NS1_11comp_targetILNS1_3genE10ELNS1_11target_archE1201ELNS1_3gpuE5ELNS1_3repE0EEENS1_30default_config_static_selectorELNS0_4arch9wavefront6targetE1EEEvSK_: ; @_ZN7rocprim17ROCPRIM_400000_NS6detail17trampoline_kernelINS0_14default_configENS1_36segmented_radix_sort_config_selectorIhlEEZNS1_25segmented_radix_sort_implIS3_Lb0EPKhPhPKlPlN2at6native12_GLOBAL__N_18offset_tEEE10hipError_tPvRmT1_PNSt15iterator_traitsISK_E10value_typeET2_T3_PNSL_ISQ_E10value_typeET4_jRbjT5_SW_jjP12ihipStream_tbEUlT_E2_NS1_11comp_targetILNS1_3genE10ELNS1_11target_archE1201ELNS1_3gpuE5ELNS1_3repE0EEENS1_30default_config_static_selectorELNS0_4arch9wavefront6targetE1EEEvSK_
; %bb.0:
	.section	.rodata,"a",@progbits
	.p2align	6, 0x0
	.amdhsa_kernel _ZN7rocprim17ROCPRIM_400000_NS6detail17trampoline_kernelINS0_14default_configENS1_36segmented_radix_sort_config_selectorIhlEEZNS1_25segmented_radix_sort_implIS3_Lb0EPKhPhPKlPlN2at6native12_GLOBAL__N_18offset_tEEE10hipError_tPvRmT1_PNSt15iterator_traitsISK_E10value_typeET2_T3_PNSL_ISQ_E10value_typeET4_jRbjT5_SW_jjP12ihipStream_tbEUlT_E2_NS1_11comp_targetILNS1_3genE10ELNS1_11target_archE1201ELNS1_3gpuE5ELNS1_3repE0EEENS1_30default_config_static_selectorELNS0_4arch9wavefront6targetE1EEEvSK_
		.amdhsa_group_segment_fixed_size 0
		.amdhsa_private_segment_fixed_size 0
		.amdhsa_kernarg_size 80
		.amdhsa_user_sgpr_count 6
		.amdhsa_user_sgpr_private_segment_buffer 1
		.amdhsa_user_sgpr_dispatch_ptr 0
		.amdhsa_user_sgpr_queue_ptr 0
		.amdhsa_user_sgpr_kernarg_segment_ptr 1
		.amdhsa_user_sgpr_dispatch_id 0
		.amdhsa_user_sgpr_flat_scratch_init 0
		.amdhsa_user_sgpr_private_segment_size 0
		.amdhsa_uses_dynamic_stack 0
		.amdhsa_system_sgpr_private_segment_wavefront_offset 0
		.amdhsa_system_sgpr_workgroup_id_x 1
		.amdhsa_system_sgpr_workgroup_id_y 0
		.amdhsa_system_sgpr_workgroup_id_z 0
		.amdhsa_system_sgpr_workgroup_info 0
		.amdhsa_system_vgpr_workitem_id 0
		.amdhsa_next_free_vgpr 1
		.amdhsa_next_free_sgpr 0
		.amdhsa_reserve_vcc 0
		.amdhsa_reserve_flat_scratch 0
		.amdhsa_float_round_mode_32 0
		.amdhsa_float_round_mode_16_64 0
		.amdhsa_float_denorm_mode_32 3
		.amdhsa_float_denorm_mode_16_64 3
		.amdhsa_dx10_clamp 1
		.amdhsa_ieee_mode 1
		.amdhsa_fp16_overflow 0
		.amdhsa_exception_fp_ieee_invalid_op 0
		.amdhsa_exception_fp_denorm_src 0
		.amdhsa_exception_fp_ieee_div_zero 0
		.amdhsa_exception_fp_ieee_overflow 0
		.amdhsa_exception_fp_ieee_underflow 0
		.amdhsa_exception_fp_ieee_inexact 0
		.amdhsa_exception_int_div_zero 0
	.end_amdhsa_kernel
	.section	.text._ZN7rocprim17ROCPRIM_400000_NS6detail17trampoline_kernelINS0_14default_configENS1_36segmented_radix_sort_config_selectorIhlEEZNS1_25segmented_radix_sort_implIS3_Lb0EPKhPhPKlPlN2at6native12_GLOBAL__N_18offset_tEEE10hipError_tPvRmT1_PNSt15iterator_traitsISK_E10value_typeET2_T3_PNSL_ISQ_E10value_typeET4_jRbjT5_SW_jjP12ihipStream_tbEUlT_E2_NS1_11comp_targetILNS1_3genE10ELNS1_11target_archE1201ELNS1_3gpuE5ELNS1_3repE0EEENS1_30default_config_static_selectorELNS0_4arch9wavefront6targetE1EEEvSK_,"axG",@progbits,_ZN7rocprim17ROCPRIM_400000_NS6detail17trampoline_kernelINS0_14default_configENS1_36segmented_radix_sort_config_selectorIhlEEZNS1_25segmented_radix_sort_implIS3_Lb0EPKhPhPKlPlN2at6native12_GLOBAL__N_18offset_tEEE10hipError_tPvRmT1_PNSt15iterator_traitsISK_E10value_typeET2_T3_PNSL_ISQ_E10value_typeET4_jRbjT5_SW_jjP12ihipStream_tbEUlT_E2_NS1_11comp_targetILNS1_3genE10ELNS1_11target_archE1201ELNS1_3gpuE5ELNS1_3repE0EEENS1_30default_config_static_selectorELNS0_4arch9wavefront6targetE1EEEvSK_,comdat
.Lfunc_end221:
	.size	_ZN7rocprim17ROCPRIM_400000_NS6detail17trampoline_kernelINS0_14default_configENS1_36segmented_radix_sort_config_selectorIhlEEZNS1_25segmented_radix_sort_implIS3_Lb0EPKhPhPKlPlN2at6native12_GLOBAL__N_18offset_tEEE10hipError_tPvRmT1_PNSt15iterator_traitsISK_E10value_typeET2_T3_PNSL_ISQ_E10value_typeET4_jRbjT5_SW_jjP12ihipStream_tbEUlT_E2_NS1_11comp_targetILNS1_3genE10ELNS1_11target_archE1201ELNS1_3gpuE5ELNS1_3repE0EEENS1_30default_config_static_selectorELNS0_4arch9wavefront6targetE1EEEvSK_, .Lfunc_end221-_ZN7rocprim17ROCPRIM_400000_NS6detail17trampoline_kernelINS0_14default_configENS1_36segmented_radix_sort_config_selectorIhlEEZNS1_25segmented_radix_sort_implIS3_Lb0EPKhPhPKlPlN2at6native12_GLOBAL__N_18offset_tEEE10hipError_tPvRmT1_PNSt15iterator_traitsISK_E10value_typeET2_T3_PNSL_ISQ_E10value_typeET4_jRbjT5_SW_jjP12ihipStream_tbEUlT_E2_NS1_11comp_targetILNS1_3genE10ELNS1_11target_archE1201ELNS1_3gpuE5ELNS1_3repE0EEENS1_30default_config_static_selectorELNS0_4arch9wavefront6targetE1EEEvSK_
                                        ; -- End function
	.set _ZN7rocprim17ROCPRIM_400000_NS6detail17trampoline_kernelINS0_14default_configENS1_36segmented_radix_sort_config_selectorIhlEEZNS1_25segmented_radix_sort_implIS3_Lb0EPKhPhPKlPlN2at6native12_GLOBAL__N_18offset_tEEE10hipError_tPvRmT1_PNSt15iterator_traitsISK_E10value_typeET2_T3_PNSL_ISQ_E10value_typeET4_jRbjT5_SW_jjP12ihipStream_tbEUlT_E2_NS1_11comp_targetILNS1_3genE10ELNS1_11target_archE1201ELNS1_3gpuE5ELNS1_3repE0EEENS1_30default_config_static_selectorELNS0_4arch9wavefront6targetE1EEEvSK_.num_vgpr, 0
	.set _ZN7rocprim17ROCPRIM_400000_NS6detail17trampoline_kernelINS0_14default_configENS1_36segmented_radix_sort_config_selectorIhlEEZNS1_25segmented_radix_sort_implIS3_Lb0EPKhPhPKlPlN2at6native12_GLOBAL__N_18offset_tEEE10hipError_tPvRmT1_PNSt15iterator_traitsISK_E10value_typeET2_T3_PNSL_ISQ_E10value_typeET4_jRbjT5_SW_jjP12ihipStream_tbEUlT_E2_NS1_11comp_targetILNS1_3genE10ELNS1_11target_archE1201ELNS1_3gpuE5ELNS1_3repE0EEENS1_30default_config_static_selectorELNS0_4arch9wavefront6targetE1EEEvSK_.num_agpr, 0
	.set _ZN7rocprim17ROCPRIM_400000_NS6detail17trampoline_kernelINS0_14default_configENS1_36segmented_radix_sort_config_selectorIhlEEZNS1_25segmented_radix_sort_implIS3_Lb0EPKhPhPKlPlN2at6native12_GLOBAL__N_18offset_tEEE10hipError_tPvRmT1_PNSt15iterator_traitsISK_E10value_typeET2_T3_PNSL_ISQ_E10value_typeET4_jRbjT5_SW_jjP12ihipStream_tbEUlT_E2_NS1_11comp_targetILNS1_3genE10ELNS1_11target_archE1201ELNS1_3gpuE5ELNS1_3repE0EEENS1_30default_config_static_selectorELNS0_4arch9wavefront6targetE1EEEvSK_.numbered_sgpr, 0
	.set _ZN7rocprim17ROCPRIM_400000_NS6detail17trampoline_kernelINS0_14default_configENS1_36segmented_radix_sort_config_selectorIhlEEZNS1_25segmented_radix_sort_implIS3_Lb0EPKhPhPKlPlN2at6native12_GLOBAL__N_18offset_tEEE10hipError_tPvRmT1_PNSt15iterator_traitsISK_E10value_typeET2_T3_PNSL_ISQ_E10value_typeET4_jRbjT5_SW_jjP12ihipStream_tbEUlT_E2_NS1_11comp_targetILNS1_3genE10ELNS1_11target_archE1201ELNS1_3gpuE5ELNS1_3repE0EEENS1_30default_config_static_selectorELNS0_4arch9wavefront6targetE1EEEvSK_.num_named_barrier, 0
	.set _ZN7rocprim17ROCPRIM_400000_NS6detail17trampoline_kernelINS0_14default_configENS1_36segmented_radix_sort_config_selectorIhlEEZNS1_25segmented_radix_sort_implIS3_Lb0EPKhPhPKlPlN2at6native12_GLOBAL__N_18offset_tEEE10hipError_tPvRmT1_PNSt15iterator_traitsISK_E10value_typeET2_T3_PNSL_ISQ_E10value_typeET4_jRbjT5_SW_jjP12ihipStream_tbEUlT_E2_NS1_11comp_targetILNS1_3genE10ELNS1_11target_archE1201ELNS1_3gpuE5ELNS1_3repE0EEENS1_30default_config_static_selectorELNS0_4arch9wavefront6targetE1EEEvSK_.private_seg_size, 0
	.set _ZN7rocprim17ROCPRIM_400000_NS6detail17trampoline_kernelINS0_14default_configENS1_36segmented_radix_sort_config_selectorIhlEEZNS1_25segmented_radix_sort_implIS3_Lb0EPKhPhPKlPlN2at6native12_GLOBAL__N_18offset_tEEE10hipError_tPvRmT1_PNSt15iterator_traitsISK_E10value_typeET2_T3_PNSL_ISQ_E10value_typeET4_jRbjT5_SW_jjP12ihipStream_tbEUlT_E2_NS1_11comp_targetILNS1_3genE10ELNS1_11target_archE1201ELNS1_3gpuE5ELNS1_3repE0EEENS1_30default_config_static_selectorELNS0_4arch9wavefront6targetE1EEEvSK_.uses_vcc, 0
	.set _ZN7rocprim17ROCPRIM_400000_NS6detail17trampoline_kernelINS0_14default_configENS1_36segmented_radix_sort_config_selectorIhlEEZNS1_25segmented_radix_sort_implIS3_Lb0EPKhPhPKlPlN2at6native12_GLOBAL__N_18offset_tEEE10hipError_tPvRmT1_PNSt15iterator_traitsISK_E10value_typeET2_T3_PNSL_ISQ_E10value_typeET4_jRbjT5_SW_jjP12ihipStream_tbEUlT_E2_NS1_11comp_targetILNS1_3genE10ELNS1_11target_archE1201ELNS1_3gpuE5ELNS1_3repE0EEENS1_30default_config_static_selectorELNS0_4arch9wavefront6targetE1EEEvSK_.uses_flat_scratch, 0
	.set _ZN7rocprim17ROCPRIM_400000_NS6detail17trampoline_kernelINS0_14default_configENS1_36segmented_radix_sort_config_selectorIhlEEZNS1_25segmented_radix_sort_implIS3_Lb0EPKhPhPKlPlN2at6native12_GLOBAL__N_18offset_tEEE10hipError_tPvRmT1_PNSt15iterator_traitsISK_E10value_typeET2_T3_PNSL_ISQ_E10value_typeET4_jRbjT5_SW_jjP12ihipStream_tbEUlT_E2_NS1_11comp_targetILNS1_3genE10ELNS1_11target_archE1201ELNS1_3gpuE5ELNS1_3repE0EEENS1_30default_config_static_selectorELNS0_4arch9wavefront6targetE1EEEvSK_.has_dyn_sized_stack, 0
	.set _ZN7rocprim17ROCPRIM_400000_NS6detail17trampoline_kernelINS0_14default_configENS1_36segmented_radix_sort_config_selectorIhlEEZNS1_25segmented_radix_sort_implIS3_Lb0EPKhPhPKlPlN2at6native12_GLOBAL__N_18offset_tEEE10hipError_tPvRmT1_PNSt15iterator_traitsISK_E10value_typeET2_T3_PNSL_ISQ_E10value_typeET4_jRbjT5_SW_jjP12ihipStream_tbEUlT_E2_NS1_11comp_targetILNS1_3genE10ELNS1_11target_archE1201ELNS1_3gpuE5ELNS1_3repE0EEENS1_30default_config_static_selectorELNS0_4arch9wavefront6targetE1EEEvSK_.has_recursion, 0
	.set _ZN7rocprim17ROCPRIM_400000_NS6detail17trampoline_kernelINS0_14default_configENS1_36segmented_radix_sort_config_selectorIhlEEZNS1_25segmented_radix_sort_implIS3_Lb0EPKhPhPKlPlN2at6native12_GLOBAL__N_18offset_tEEE10hipError_tPvRmT1_PNSt15iterator_traitsISK_E10value_typeET2_T3_PNSL_ISQ_E10value_typeET4_jRbjT5_SW_jjP12ihipStream_tbEUlT_E2_NS1_11comp_targetILNS1_3genE10ELNS1_11target_archE1201ELNS1_3gpuE5ELNS1_3repE0EEENS1_30default_config_static_selectorELNS0_4arch9wavefront6targetE1EEEvSK_.has_indirect_call, 0
	.section	.AMDGPU.csdata,"",@progbits
; Kernel info:
; codeLenInByte = 0
; TotalNumSgprs: 4
; NumVgprs: 0
; ScratchSize: 0
; MemoryBound: 0
; FloatMode: 240
; IeeeMode: 1
; LDSByteSize: 0 bytes/workgroup (compile time only)
; SGPRBlocks: 0
; VGPRBlocks: 0
; NumSGPRsForWavesPerEU: 4
; NumVGPRsForWavesPerEU: 1
; Occupancy: 10
; WaveLimiterHint : 0
; COMPUTE_PGM_RSRC2:SCRATCH_EN: 0
; COMPUTE_PGM_RSRC2:USER_SGPR: 6
; COMPUTE_PGM_RSRC2:TRAP_HANDLER: 0
; COMPUTE_PGM_RSRC2:TGID_X_EN: 1
; COMPUTE_PGM_RSRC2:TGID_Y_EN: 0
; COMPUTE_PGM_RSRC2:TGID_Z_EN: 0
; COMPUTE_PGM_RSRC2:TIDIG_COMP_CNT: 0
	.section	.text._ZN7rocprim17ROCPRIM_400000_NS6detail17trampoline_kernelINS0_14default_configENS1_36segmented_radix_sort_config_selectorIhlEEZNS1_25segmented_radix_sort_implIS3_Lb0EPKhPhPKlPlN2at6native12_GLOBAL__N_18offset_tEEE10hipError_tPvRmT1_PNSt15iterator_traitsISK_E10value_typeET2_T3_PNSL_ISQ_E10value_typeET4_jRbjT5_SW_jjP12ihipStream_tbEUlT_E2_NS1_11comp_targetILNS1_3genE10ELNS1_11target_archE1200ELNS1_3gpuE4ELNS1_3repE0EEENS1_30default_config_static_selectorELNS0_4arch9wavefront6targetE1EEEvSK_,"axG",@progbits,_ZN7rocprim17ROCPRIM_400000_NS6detail17trampoline_kernelINS0_14default_configENS1_36segmented_radix_sort_config_selectorIhlEEZNS1_25segmented_radix_sort_implIS3_Lb0EPKhPhPKlPlN2at6native12_GLOBAL__N_18offset_tEEE10hipError_tPvRmT1_PNSt15iterator_traitsISK_E10value_typeET2_T3_PNSL_ISQ_E10value_typeET4_jRbjT5_SW_jjP12ihipStream_tbEUlT_E2_NS1_11comp_targetILNS1_3genE10ELNS1_11target_archE1200ELNS1_3gpuE4ELNS1_3repE0EEENS1_30default_config_static_selectorELNS0_4arch9wavefront6targetE1EEEvSK_,comdat
	.globl	_ZN7rocprim17ROCPRIM_400000_NS6detail17trampoline_kernelINS0_14default_configENS1_36segmented_radix_sort_config_selectorIhlEEZNS1_25segmented_radix_sort_implIS3_Lb0EPKhPhPKlPlN2at6native12_GLOBAL__N_18offset_tEEE10hipError_tPvRmT1_PNSt15iterator_traitsISK_E10value_typeET2_T3_PNSL_ISQ_E10value_typeET4_jRbjT5_SW_jjP12ihipStream_tbEUlT_E2_NS1_11comp_targetILNS1_3genE10ELNS1_11target_archE1200ELNS1_3gpuE4ELNS1_3repE0EEENS1_30default_config_static_selectorELNS0_4arch9wavefront6targetE1EEEvSK_ ; -- Begin function _ZN7rocprim17ROCPRIM_400000_NS6detail17trampoline_kernelINS0_14default_configENS1_36segmented_radix_sort_config_selectorIhlEEZNS1_25segmented_radix_sort_implIS3_Lb0EPKhPhPKlPlN2at6native12_GLOBAL__N_18offset_tEEE10hipError_tPvRmT1_PNSt15iterator_traitsISK_E10value_typeET2_T3_PNSL_ISQ_E10value_typeET4_jRbjT5_SW_jjP12ihipStream_tbEUlT_E2_NS1_11comp_targetILNS1_3genE10ELNS1_11target_archE1200ELNS1_3gpuE4ELNS1_3repE0EEENS1_30default_config_static_selectorELNS0_4arch9wavefront6targetE1EEEvSK_
	.p2align	8
	.type	_ZN7rocprim17ROCPRIM_400000_NS6detail17trampoline_kernelINS0_14default_configENS1_36segmented_radix_sort_config_selectorIhlEEZNS1_25segmented_radix_sort_implIS3_Lb0EPKhPhPKlPlN2at6native12_GLOBAL__N_18offset_tEEE10hipError_tPvRmT1_PNSt15iterator_traitsISK_E10value_typeET2_T3_PNSL_ISQ_E10value_typeET4_jRbjT5_SW_jjP12ihipStream_tbEUlT_E2_NS1_11comp_targetILNS1_3genE10ELNS1_11target_archE1200ELNS1_3gpuE4ELNS1_3repE0EEENS1_30default_config_static_selectorELNS0_4arch9wavefront6targetE1EEEvSK_,@function
_ZN7rocprim17ROCPRIM_400000_NS6detail17trampoline_kernelINS0_14default_configENS1_36segmented_radix_sort_config_selectorIhlEEZNS1_25segmented_radix_sort_implIS3_Lb0EPKhPhPKlPlN2at6native12_GLOBAL__N_18offset_tEEE10hipError_tPvRmT1_PNSt15iterator_traitsISK_E10value_typeET2_T3_PNSL_ISQ_E10value_typeET4_jRbjT5_SW_jjP12ihipStream_tbEUlT_E2_NS1_11comp_targetILNS1_3genE10ELNS1_11target_archE1200ELNS1_3gpuE4ELNS1_3repE0EEENS1_30default_config_static_selectorELNS0_4arch9wavefront6targetE1EEEvSK_: ; @_ZN7rocprim17ROCPRIM_400000_NS6detail17trampoline_kernelINS0_14default_configENS1_36segmented_radix_sort_config_selectorIhlEEZNS1_25segmented_radix_sort_implIS3_Lb0EPKhPhPKlPlN2at6native12_GLOBAL__N_18offset_tEEE10hipError_tPvRmT1_PNSt15iterator_traitsISK_E10value_typeET2_T3_PNSL_ISQ_E10value_typeET4_jRbjT5_SW_jjP12ihipStream_tbEUlT_E2_NS1_11comp_targetILNS1_3genE10ELNS1_11target_archE1200ELNS1_3gpuE4ELNS1_3repE0EEENS1_30default_config_static_selectorELNS0_4arch9wavefront6targetE1EEEvSK_
; %bb.0:
	.section	.rodata,"a",@progbits
	.p2align	6, 0x0
	.amdhsa_kernel _ZN7rocprim17ROCPRIM_400000_NS6detail17trampoline_kernelINS0_14default_configENS1_36segmented_radix_sort_config_selectorIhlEEZNS1_25segmented_radix_sort_implIS3_Lb0EPKhPhPKlPlN2at6native12_GLOBAL__N_18offset_tEEE10hipError_tPvRmT1_PNSt15iterator_traitsISK_E10value_typeET2_T3_PNSL_ISQ_E10value_typeET4_jRbjT5_SW_jjP12ihipStream_tbEUlT_E2_NS1_11comp_targetILNS1_3genE10ELNS1_11target_archE1200ELNS1_3gpuE4ELNS1_3repE0EEENS1_30default_config_static_selectorELNS0_4arch9wavefront6targetE1EEEvSK_
		.amdhsa_group_segment_fixed_size 0
		.amdhsa_private_segment_fixed_size 0
		.amdhsa_kernarg_size 80
		.amdhsa_user_sgpr_count 6
		.amdhsa_user_sgpr_private_segment_buffer 1
		.amdhsa_user_sgpr_dispatch_ptr 0
		.amdhsa_user_sgpr_queue_ptr 0
		.amdhsa_user_sgpr_kernarg_segment_ptr 1
		.amdhsa_user_sgpr_dispatch_id 0
		.amdhsa_user_sgpr_flat_scratch_init 0
		.amdhsa_user_sgpr_private_segment_size 0
		.amdhsa_uses_dynamic_stack 0
		.amdhsa_system_sgpr_private_segment_wavefront_offset 0
		.amdhsa_system_sgpr_workgroup_id_x 1
		.amdhsa_system_sgpr_workgroup_id_y 0
		.amdhsa_system_sgpr_workgroup_id_z 0
		.amdhsa_system_sgpr_workgroup_info 0
		.amdhsa_system_vgpr_workitem_id 0
		.amdhsa_next_free_vgpr 1
		.amdhsa_next_free_sgpr 0
		.amdhsa_reserve_vcc 0
		.amdhsa_reserve_flat_scratch 0
		.amdhsa_float_round_mode_32 0
		.amdhsa_float_round_mode_16_64 0
		.amdhsa_float_denorm_mode_32 3
		.amdhsa_float_denorm_mode_16_64 3
		.amdhsa_dx10_clamp 1
		.amdhsa_ieee_mode 1
		.amdhsa_fp16_overflow 0
		.amdhsa_exception_fp_ieee_invalid_op 0
		.amdhsa_exception_fp_denorm_src 0
		.amdhsa_exception_fp_ieee_div_zero 0
		.amdhsa_exception_fp_ieee_overflow 0
		.amdhsa_exception_fp_ieee_underflow 0
		.amdhsa_exception_fp_ieee_inexact 0
		.amdhsa_exception_int_div_zero 0
	.end_amdhsa_kernel
	.section	.text._ZN7rocprim17ROCPRIM_400000_NS6detail17trampoline_kernelINS0_14default_configENS1_36segmented_radix_sort_config_selectorIhlEEZNS1_25segmented_radix_sort_implIS3_Lb0EPKhPhPKlPlN2at6native12_GLOBAL__N_18offset_tEEE10hipError_tPvRmT1_PNSt15iterator_traitsISK_E10value_typeET2_T3_PNSL_ISQ_E10value_typeET4_jRbjT5_SW_jjP12ihipStream_tbEUlT_E2_NS1_11comp_targetILNS1_3genE10ELNS1_11target_archE1200ELNS1_3gpuE4ELNS1_3repE0EEENS1_30default_config_static_selectorELNS0_4arch9wavefront6targetE1EEEvSK_,"axG",@progbits,_ZN7rocprim17ROCPRIM_400000_NS6detail17trampoline_kernelINS0_14default_configENS1_36segmented_radix_sort_config_selectorIhlEEZNS1_25segmented_radix_sort_implIS3_Lb0EPKhPhPKlPlN2at6native12_GLOBAL__N_18offset_tEEE10hipError_tPvRmT1_PNSt15iterator_traitsISK_E10value_typeET2_T3_PNSL_ISQ_E10value_typeET4_jRbjT5_SW_jjP12ihipStream_tbEUlT_E2_NS1_11comp_targetILNS1_3genE10ELNS1_11target_archE1200ELNS1_3gpuE4ELNS1_3repE0EEENS1_30default_config_static_selectorELNS0_4arch9wavefront6targetE1EEEvSK_,comdat
.Lfunc_end222:
	.size	_ZN7rocprim17ROCPRIM_400000_NS6detail17trampoline_kernelINS0_14default_configENS1_36segmented_radix_sort_config_selectorIhlEEZNS1_25segmented_radix_sort_implIS3_Lb0EPKhPhPKlPlN2at6native12_GLOBAL__N_18offset_tEEE10hipError_tPvRmT1_PNSt15iterator_traitsISK_E10value_typeET2_T3_PNSL_ISQ_E10value_typeET4_jRbjT5_SW_jjP12ihipStream_tbEUlT_E2_NS1_11comp_targetILNS1_3genE10ELNS1_11target_archE1200ELNS1_3gpuE4ELNS1_3repE0EEENS1_30default_config_static_selectorELNS0_4arch9wavefront6targetE1EEEvSK_, .Lfunc_end222-_ZN7rocprim17ROCPRIM_400000_NS6detail17trampoline_kernelINS0_14default_configENS1_36segmented_radix_sort_config_selectorIhlEEZNS1_25segmented_radix_sort_implIS3_Lb0EPKhPhPKlPlN2at6native12_GLOBAL__N_18offset_tEEE10hipError_tPvRmT1_PNSt15iterator_traitsISK_E10value_typeET2_T3_PNSL_ISQ_E10value_typeET4_jRbjT5_SW_jjP12ihipStream_tbEUlT_E2_NS1_11comp_targetILNS1_3genE10ELNS1_11target_archE1200ELNS1_3gpuE4ELNS1_3repE0EEENS1_30default_config_static_selectorELNS0_4arch9wavefront6targetE1EEEvSK_
                                        ; -- End function
	.set _ZN7rocprim17ROCPRIM_400000_NS6detail17trampoline_kernelINS0_14default_configENS1_36segmented_radix_sort_config_selectorIhlEEZNS1_25segmented_radix_sort_implIS3_Lb0EPKhPhPKlPlN2at6native12_GLOBAL__N_18offset_tEEE10hipError_tPvRmT1_PNSt15iterator_traitsISK_E10value_typeET2_T3_PNSL_ISQ_E10value_typeET4_jRbjT5_SW_jjP12ihipStream_tbEUlT_E2_NS1_11comp_targetILNS1_3genE10ELNS1_11target_archE1200ELNS1_3gpuE4ELNS1_3repE0EEENS1_30default_config_static_selectorELNS0_4arch9wavefront6targetE1EEEvSK_.num_vgpr, 0
	.set _ZN7rocprim17ROCPRIM_400000_NS6detail17trampoline_kernelINS0_14default_configENS1_36segmented_radix_sort_config_selectorIhlEEZNS1_25segmented_radix_sort_implIS3_Lb0EPKhPhPKlPlN2at6native12_GLOBAL__N_18offset_tEEE10hipError_tPvRmT1_PNSt15iterator_traitsISK_E10value_typeET2_T3_PNSL_ISQ_E10value_typeET4_jRbjT5_SW_jjP12ihipStream_tbEUlT_E2_NS1_11comp_targetILNS1_3genE10ELNS1_11target_archE1200ELNS1_3gpuE4ELNS1_3repE0EEENS1_30default_config_static_selectorELNS0_4arch9wavefront6targetE1EEEvSK_.num_agpr, 0
	.set _ZN7rocprim17ROCPRIM_400000_NS6detail17trampoline_kernelINS0_14default_configENS1_36segmented_radix_sort_config_selectorIhlEEZNS1_25segmented_radix_sort_implIS3_Lb0EPKhPhPKlPlN2at6native12_GLOBAL__N_18offset_tEEE10hipError_tPvRmT1_PNSt15iterator_traitsISK_E10value_typeET2_T3_PNSL_ISQ_E10value_typeET4_jRbjT5_SW_jjP12ihipStream_tbEUlT_E2_NS1_11comp_targetILNS1_3genE10ELNS1_11target_archE1200ELNS1_3gpuE4ELNS1_3repE0EEENS1_30default_config_static_selectorELNS0_4arch9wavefront6targetE1EEEvSK_.numbered_sgpr, 0
	.set _ZN7rocprim17ROCPRIM_400000_NS6detail17trampoline_kernelINS0_14default_configENS1_36segmented_radix_sort_config_selectorIhlEEZNS1_25segmented_radix_sort_implIS3_Lb0EPKhPhPKlPlN2at6native12_GLOBAL__N_18offset_tEEE10hipError_tPvRmT1_PNSt15iterator_traitsISK_E10value_typeET2_T3_PNSL_ISQ_E10value_typeET4_jRbjT5_SW_jjP12ihipStream_tbEUlT_E2_NS1_11comp_targetILNS1_3genE10ELNS1_11target_archE1200ELNS1_3gpuE4ELNS1_3repE0EEENS1_30default_config_static_selectorELNS0_4arch9wavefront6targetE1EEEvSK_.num_named_barrier, 0
	.set _ZN7rocprim17ROCPRIM_400000_NS6detail17trampoline_kernelINS0_14default_configENS1_36segmented_radix_sort_config_selectorIhlEEZNS1_25segmented_radix_sort_implIS3_Lb0EPKhPhPKlPlN2at6native12_GLOBAL__N_18offset_tEEE10hipError_tPvRmT1_PNSt15iterator_traitsISK_E10value_typeET2_T3_PNSL_ISQ_E10value_typeET4_jRbjT5_SW_jjP12ihipStream_tbEUlT_E2_NS1_11comp_targetILNS1_3genE10ELNS1_11target_archE1200ELNS1_3gpuE4ELNS1_3repE0EEENS1_30default_config_static_selectorELNS0_4arch9wavefront6targetE1EEEvSK_.private_seg_size, 0
	.set _ZN7rocprim17ROCPRIM_400000_NS6detail17trampoline_kernelINS0_14default_configENS1_36segmented_radix_sort_config_selectorIhlEEZNS1_25segmented_radix_sort_implIS3_Lb0EPKhPhPKlPlN2at6native12_GLOBAL__N_18offset_tEEE10hipError_tPvRmT1_PNSt15iterator_traitsISK_E10value_typeET2_T3_PNSL_ISQ_E10value_typeET4_jRbjT5_SW_jjP12ihipStream_tbEUlT_E2_NS1_11comp_targetILNS1_3genE10ELNS1_11target_archE1200ELNS1_3gpuE4ELNS1_3repE0EEENS1_30default_config_static_selectorELNS0_4arch9wavefront6targetE1EEEvSK_.uses_vcc, 0
	.set _ZN7rocprim17ROCPRIM_400000_NS6detail17trampoline_kernelINS0_14default_configENS1_36segmented_radix_sort_config_selectorIhlEEZNS1_25segmented_radix_sort_implIS3_Lb0EPKhPhPKlPlN2at6native12_GLOBAL__N_18offset_tEEE10hipError_tPvRmT1_PNSt15iterator_traitsISK_E10value_typeET2_T3_PNSL_ISQ_E10value_typeET4_jRbjT5_SW_jjP12ihipStream_tbEUlT_E2_NS1_11comp_targetILNS1_3genE10ELNS1_11target_archE1200ELNS1_3gpuE4ELNS1_3repE0EEENS1_30default_config_static_selectorELNS0_4arch9wavefront6targetE1EEEvSK_.uses_flat_scratch, 0
	.set _ZN7rocprim17ROCPRIM_400000_NS6detail17trampoline_kernelINS0_14default_configENS1_36segmented_radix_sort_config_selectorIhlEEZNS1_25segmented_radix_sort_implIS3_Lb0EPKhPhPKlPlN2at6native12_GLOBAL__N_18offset_tEEE10hipError_tPvRmT1_PNSt15iterator_traitsISK_E10value_typeET2_T3_PNSL_ISQ_E10value_typeET4_jRbjT5_SW_jjP12ihipStream_tbEUlT_E2_NS1_11comp_targetILNS1_3genE10ELNS1_11target_archE1200ELNS1_3gpuE4ELNS1_3repE0EEENS1_30default_config_static_selectorELNS0_4arch9wavefront6targetE1EEEvSK_.has_dyn_sized_stack, 0
	.set _ZN7rocprim17ROCPRIM_400000_NS6detail17trampoline_kernelINS0_14default_configENS1_36segmented_radix_sort_config_selectorIhlEEZNS1_25segmented_radix_sort_implIS3_Lb0EPKhPhPKlPlN2at6native12_GLOBAL__N_18offset_tEEE10hipError_tPvRmT1_PNSt15iterator_traitsISK_E10value_typeET2_T3_PNSL_ISQ_E10value_typeET4_jRbjT5_SW_jjP12ihipStream_tbEUlT_E2_NS1_11comp_targetILNS1_3genE10ELNS1_11target_archE1200ELNS1_3gpuE4ELNS1_3repE0EEENS1_30default_config_static_selectorELNS0_4arch9wavefront6targetE1EEEvSK_.has_recursion, 0
	.set _ZN7rocprim17ROCPRIM_400000_NS6detail17trampoline_kernelINS0_14default_configENS1_36segmented_radix_sort_config_selectorIhlEEZNS1_25segmented_radix_sort_implIS3_Lb0EPKhPhPKlPlN2at6native12_GLOBAL__N_18offset_tEEE10hipError_tPvRmT1_PNSt15iterator_traitsISK_E10value_typeET2_T3_PNSL_ISQ_E10value_typeET4_jRbjT5_SW_jjP12ihipStream_tbEUlT_E2_NS1_11comp_targetILNS1_3genE10ELNS1_11target_archE1200ELNS1_3gpuE4ELNS1_3repE0EEENS1_30default_config_static_selectorELNS0_4arch9wavefront6targetE1EEEvSK_.has_indirect_call, 0
	.section	.AMDGPU.csdata,"",@progbits
; Kernel info:
; codeLenInByte = 0
; TotalNumSgprs: 4
; NumVgprs: 0
; ScratchSize: 0
; MemoryBound: 0
; FloatMode: 240
; IeeeMode: 1
; LDSByteSize: 0 bytes/workgroup (compile time only)
; SGPRBlocks: 0
; VGPRBlocks: 0
; NumSGPRsForWavesPerEU: 4
; NumVGPRsForWavesPerEU: 1
; Occupancy: 10
; WaveLimiterHint : 0
; COMPUTE_PGM_RSRC2:SCRATCH_EN: 0
; COMPUTE_PGM_RSRC2:USER_SGPR: 6
; COMPUTE_PGM_RSRC2:TRAP_HANDLER: 0
; COMPUTE_PGM_RSRC2:TGID_X_EN: 1
; COMPUTE_PGM_RSRC2:TGID_Y_EN: 0
; COMPUTE_PGM_RSRC2:TGID_Z_EN: 0
; COMPUTE_PGM_RSRC2:TIDIG_COMP_CNT: 0
	.section	.text._ZN7rocprim17ROCPRIM_400000_NS6detail17trampoline_kernelINS0_14default_configENS1_36segmented_radix_sort_config_selectorIhlEEZNS1_25segmented_radix_sort_implIS3_Lb0EPKhPhPKlPlN2at6native12_GLOBAL__N_18offset_tEEE10hipError_tPvRmT1_PNSt15iterator_traitsISK_E10value_typeET2_T3_PNSL_ISQ_E10value_typeET4_jRbjT5_SW_jjP12ihipStream_tbEUlT_E2_NS1_11comp_targetILNS1_3genE9ELNS1_11target_archE1100ELNS1_3gpuE3ELNS1_3repE0EEENS1_30default_config_static_selectorELNS0_4arch9wavefront6targetE1EEEvSK_,"axG",@progbits,_ZN7rocprim17ROCPRIM_400000_NS6detail17trampoline_kernelINS0_14default_configENS1_36segmented_radix_sort_config_selectorIhlEEZNS1_25segmented_radix_sort_implIS3_Lb0EPKhPhPKlPlN2at6native12_GLOBAL__N_18offset_tEEE10hipError_tPvRmT1_PNSt15iterator_traitsISK_E10value_typeET2_T3_PNSL_ISQ_E10value_typeET4_jRbjT5_SW_jjP12ihipStream_tbEUlT_E2_NS1_11comp_targetILNS1_3genE9ELNS1_11target_archE1100ELNS1_3gpuE3ELNS1_3repE0EEENS1_30default_config_static_selectorELNS0_4arch9wavefront6targetE1EEEvSK_,comdat
	.globl	_ZN7rocprim17ROCPRIM_400000_NS6detail17trampoline_kernelINS0_14default_configENS1_36segmented_radix_sort_config_selectorIhlEEZNS1_25segmented_radix_sort_implIS3_Lb0EPKhPhPKlPlN2at6native12_GLOBAL__N_18offset_tEEE10hipError_tPvRmT1_PNSt15iterator_traitsISK_E10value_typeET2_T3_PNSL_ISQ_E10value_typeET4_jRbjT5_SW_jjP12ihipStream_tbEUlT_E2_NS1_11comp_targetILNS1_3genE9ELNS1_11target_archE1100ELNS1_3gpuE3ELNS1_3repE0EEENS1_30default_config_static_selectorELNS0_4arch9wavefront6targetE1EEEvSK_ ; -- Begin function _ZN7rocprim17ROCPRIM_400000_NS6detail17trampoline_kernelINS0_14default_configENS1_36segmented_radix_sort_config_selectorIhlEEZNS1_25segmented_radix_sort_implIS3_Lb0EPKhPhPKlPlN2at6native12_GLOBAL__N_18offset_tEEE10hipError_tPvRmT1_PNSt15iterator_traitsISK_E10value_typeET2_T3_PNSL_ISQ_E10value_typeET4_jRbjT5_SW_jjP12ihipStream_tbEUlT_E2_NS1_11comp_targetILNS1_3genE9ELNS1_11target_archE1100ELNS1_3gpuE3ELNS1_3repE0EEENS1_30default_config_static_selectorELNS0_4arch9wavefront6targetE1EEEvSK_
	.p2align	8
	.type	_ZN7rocprim17ROCPRIM_400000_NS6detail17trampoline_kernelINS0_14default_configENS1_36segmented_radix_sort_config_selectorIhlEEZNS1_25segmented_radix_sort_implIS3_Lb0EPKhPhPKlPlN2at6native12_GLOBAL__N_18offset_tEEE10hipError_tPvRmT1_PNSt15iterator_traitsISK_E10value_typeET2_T3_PNSL_ISQ_E10value_typeET4_jRbjT5_SW_jjP12ihipStream_tbEUlT_E2_NS1_11comp_targetILNS1_3genE9ELNS1_11target_archE1100ELNS1_3gpuE3ELNS1_3repE0EEENS1_30default_config_static_selectorELNS0_4arch9wavefront6targetE1EEEvSK_,@function
_ZN7rocprim17ROCPRIM_400000_NS6detail17trampoline_kernelINS0_14default_configENS1_36segmented_radix_sort_config_selectorIhlEEZNS1_25segmented_radix_sort_implIS3_Lb0EPKhPhPKlPlN2at6native12_GLOBAL__N_18offset_tEEE10hipError_tPvRmT1_PNSt15iterator_traitsISK_E10value_typeET2_T3_PNSL_ISQ_E10value_typeET4_jRbjT5_SW_jjP12ihipStream_tbEUlT_E2_NS1_11comp_targetILNS1_3genE9ELNS1_11target_archE1100ELNS1_3gpuE3ELNS1_3repE0EEENS1_30default_config_static_selectorELNS0_4arch9wavefront6targetE1EEEvSK_: ; @_ZN7rocprim17ROCPRIM_400000_NS6detail17trampoline_kernelINS0_14default_configENS1_36segmented_radix_sort_config_selectorIhlEEZNS1_25segmented_radix_sort_implIS3_Lb0EPKhPhPKlPlN2at6native12_GLOBAL__N_18offset_tEEE10hipError_tPvRmT1_PNSt15iterator_traitsISK_E10value_typeET2_T3_PNSL_ISQ_E10value_typeET4_jRbjT5_SW_jjP12ihipStream_tbEUlT_E2_NS1_11comp_targetILNS1_3genE9ELNS1_11target_archE1100ELNS1_3gpuE3ELNS1_3repE0EEENS1_30default_config_static_selectorELNS0_4arch9wavefront6targetE1EEEvSK_
; %bb.0:
	.section	.rodata,"a",@progbits
	.p2align	6, 0x0
	.amdhsa_kernel _ZN7rocprim17ROCPRIM_400000_NS6detail17trampoline_kernelINS0_14default_configENS1_36segmented_radix_sort_config_selectorIhlEEZNS1_25segmented_radix_sort_implIS3_Lb0EPKhPhPKlPlN2at6native12_GLOBAL__N_18offset_tEEE10hipError_tPvRmT1_PNSt15iterator_traitsISK_E10value_typeET2_T3_PNSL_ISQ_E10value_typeET4_jRbjT5_SW_jjP12ihipStream_tbEUlT_E2_NS1_11comp_targetILNS1_3genE9ELNS1_11target_archE1100ELNS1_3gpuE3ELNS1_3repE0EEENS1_30default_config_static_selectorELNS0_4arch9wavefront6targetE1EEEvSK_
		.amdhsa_group_segment_fixed_size 0
		.amdhsa_private_segment_fixed_size 0
		.amdhsa_kernarg_size 80
		.amdhsa_user_sgpr_count 6
		.amdhsa_user_sgpr_private_segment_buffer 1
		.amdhsa_user_sgpr_dispatch_ptr 0
		.amdhsa_user_sgpr_queue_ptr 0
		.amdhsa_user_sgpr_kernarg_segment_ptr 1
		.amdhsa_user_sgpr_dispatch_id 0
		.amdhsa_user_sgpr_flat_scratch_init 0
		.amdhsa_user_sgpr_private_segment_size 0
		.amdhsa_uses_dynamic_stack 0
		.amdhsa_system_sgpr_private_segment_wavefront_offset 0
		.amdhsa_system_sgpr_workgroup_id_x 1
		.amdhsa_system_sgpr_workgroup_id_y 0
		.amdhsa_system_sgpr_workgroup_id_z 0
		.amdhsa_system_sgpr_workgroup_info 0
		.amdhsa_system_vgpr_workitem_id 0
		.amdhsa_next_free_vgpr 1
		.amdhsa_next_free_sgpr 0
		.amdhsa_reserve_vcc 0
		.amdhsa_reserve_flat_scratch 0
		.amdhsa_float_round_mode_32 0
		.amdhsa_float_round_mode_16_64 0
		.amdhsa_float_denorm_mode_32 3
		.amdhsa_float_denorm_mode_16_64 3
		.amdhsa_dx10_clamp 1
		.amdhsa_ieee_mode 1
		.amdhsa_fp16_overflow 0
		.amdhsa_exception_fp_ieee_invalid_op 0
		.amdhsa_exception_fp_denorm_src 0
		.amdhsa_exception_fp_ieee_div_zero 0
		.amdhsa_exception_fp_ieee_overflow 0
		.amdhsa_exception_fp_ieee_underflow 0
		.amdhsa_exception_fp_ieee_inexact 0
		.amdhsa_exception_int_div_zero 0
	.end_amdhsa_kernel
	.section	.text._ZN7rocprim17ROCPRIM_400000_NS6detail17trampoline_kernelINS0_14default_configENS1_36segmented_radix_sort_config_selectorIhlEEZNS1_25segmented_radix_sort_implIS3_Lb0EPKhPhPKlPlN2at6native12_GLOBAL__N_18offset_tEEE10hipError_tPvRmT1_PNSt15iterator_traitsISK_E10value_typeET2_T3_PNSL_ISQ_E10value_typeET4_jRbjT5_SW_jjP12ihipStream_tbEUlT_E2_NS1_11comp_targetILNS1_3genE9ELNS1_11target_archE1100ELNS1_3gpuE3ELNS1_3repE0EEENS1_30default_config_static_selectorELNS0_4arch9wavefront6targetE1EEEvSK_,"axG",@progbits,_ZN7rocprim17ROCPRIM_400000_NS6detail17trampoline_kernelINS0_14default_configENS1_36segmented_radix_sort_config_selectorIhlEEZNS1_25segmented_radix_sort_implIS3_Lb0EPKhPhPKlPlN2at6native12_GLOBAL__N_18offset_tEEE10hipError_tPvRmT1_PNSt15iterator_traitsISK_E10value_typeET2_T3_PNSL_ISQ_E10value_typeET4_jRbjT5_SW_jjP12ihipStream_tbEUlT_E2_NS1_11comp_targetILNS1_3genE9ELNS1_11target_archE1100ELNS1_3gpuE3ELNS1_3repE0EEENS1_30default_config_static_selectorELNS0_4arch9wavefront6targetE1EEEvSK_,comdat
.Lfunc_end223:
	.size	_ZN7rocprim17ROCPRIM_400000_NS6detail17trampoline_kernelINS0_14default_configENS1_36segmented_radix_sort_config_selectorIhlEEZNS1_25segmented_radix_sort_implIS3_Lb0EPKhPhPKlPlN2at6native12_GLOBAL__N_18offset_tEEE10hipError_tPvRmT1_PNSt15iterator_traitsISK_E10value_typeET2_T3_PNSL_ISQ_E10value_typeET4_jRbjT5_SW_jjP12ihipStream_tbEUlT_E2_NS1_11comp_targetILNS1_3genE9ELNS1_11target_archE1100ELNS1_3gpuE3ELNS1_3repE0EEENS1_30default_config_static_selectorELNS0_4arch9wavefront6targetE1EEEvSK_, .Lfunc_end223-_ZN7rocprim17ROCPRIM_400000_NS6detail17trampoline_kernelINS0_14default_configENS1_36segmented_radix_sort_config_selectorIhlEEZNS1_25segmented_radix_sort_implIS3_Lb0EPKhPhPKlPlN2at6native12_GLOBAL__N_18offset_tEEE10hipError_tPvRmT1_PNSt15iterator_traitsISK_E10value_typeET2_T3_PNSL_ISQ_E10value_typeET4_jRbjT5_SW_jjP12ihipStream_tbEUlT_E2_NS1_11comp_targetILNS1_3genE9ELNS1_11target_archE1100ELNS1_3gpuE3ELNS1_3repE0EEENS1_30default_config_static_selectorELNS0_4arch9wavefront6targetE1EEEvSK_
                                        ; -- End function
	.set _ZN7rocprim17ROCPRIM_400000_NS6detail17trampoline_kernelINS0_14default_configENS1_36segmented_radix_sort_config_selectorIhlEEZNS1_25segmented_radix_sort_implIS3_Lb0EPKhPhPKlPlN2at6native12_GLOBAL__N_18offset_tEEE10hipError_tPvRmT1_PNSt15iterator_traitsISK_E10value_typeET2_T3_PNSL_ISQ_E10value_typeET4_jRbjT5_SW_jjP12ihipStream_tbEUlT_E2_NS1_11comp_targetILNS1_3genE9ELNS1_11target_archE1100ELNS1_3gpuE3ELNS1_3repE0EEENS1_30default_config_static_selectorELNS0_4arch9wavefront6targetE1EEEvSK_.num_vgpr, 0
	.set _ZN7rocprim17ROCPRIM_400000_NS6detail17trampoline_kernelINS0_14default_configENS1_36segmented_radix_sort_config_selectorIhlEEZNS1_25segmented_radix_sort_implIS3_Lb0EPKhPhPKlPlN2at6native12_GLOBAL__N_18offset_tEEE10hipError_tPvRmT1_PNSt15iterator_traitsISK_E10value_typeET2_T3_PNSL_ISQ_E10value_typeET4_jRbjT5_SW_jjP12ihipStream_tbEUlT_E2_NS1_11comp_targetILNS1_3genE9ELNS1_11target_archE1100ELNS1_3gpuE3ELNS1_3repE0EEENS1_30default_config_static_selectorELNS0_4arch9wavefront6targetE1EEEvSK_.num_agpr, 0
	.set _ZN7rocprim17ROCPRIM_400000_NS6detail17trampoline_kernelINS0_14default_configENS1_36segmented_radix_sort_config_selectorIhlEEZNS1_25segmented_radix_sort_implIS3_Lb0EPKhPhPKlPlN2at6native12_GLOBAL__N_18offset_tEEE10hipError_tPvRmT1_PNSt15iterator_traitsISK_E10value_typeET2_T3_PNSL_ISQ_E10value_typeET4_jRbjT5_SW_jjP12ihipStream_tbEUlT_E2_NS1_11comp_targetILNS1_3genE9ELNS1_11target_archE1100ELNS1_3gpuE3ELNS1_3repE0EEENS1_30default_config_static_selectorELNS0_4arch9wavefront6targetE1EEEvSK_.numbered_sgpr, 0
	.set _ZN7rocprim17ROCPRIM_400000_NS6detail17trampoline_kernelINS0_14default_configENS1_36segmented_radix_sort_config_selectorIhlEEZNS1_25segmented_radix_sort_implIS3_Lb0EPKhPhPKlPlN2at6native12_GLOBAL__N_18offset_tEEE10hipError_tPvRmT1_PNSt15iterator_traitsISK_E10value_typeET2_T3_PNSL_ISQ_E10value_typeET4_jRbjT5_SW_jjP12ihipStream_tbEUlT_E2_NS1_11comp_targetILNS1_3genE9ELNS1_11target_archE1100ELNS1_3gpuE3ELNS1_3repE0EEENS1_30default_config_static_selectorELNS0_4arch9wavefront6targetE1EEEvSK_.num_named_barrier, 0
	.set _ZN7rocprim17ROCPRIM_400000_NS6detail17trampoline_kernelINS0_14default_configENS1_36segmented_radix_sort_config_selectorIhlEEZNS1_25segmented_radix_sort_implIS3_Lb0EPKhPhPKlPlN2at6native12_GLOBAL__N_18offset_tEEE10hipError_tPvRmT1_PNSt15iterator_traitsISK_E10value_typeET2_T3_PNSL_ISQ_E10value_typeET4_jRbjT5_SW_jjP12ihipStream_tbEUlT_E2_NS1_11comp_targetILNS1_3genE9ELNS1_11target_archE1100ELNS1_3gpuE3ELNS1_3repE0EEENS1_30default_config_static_selectorELNS0_4arch9wavefront6targetE1EEEvSK_.private_seg_size, 0
	.set _ZN7rocprim17ROCPRIM_400000_NS6detail17trampoline_kernelINS0_14default_configENS1_36segmented_radix_sort_config_selectorIhlEEZNS1_25segmented_radix_sort_implIS3_Lb0EPKhPhPKlPlN2at6native12_GLOBAL__N_18offset_tEEE10hipError_tPvRmT1_PNSt15iterator_traitsISK_E10value_typeET2_T3_PNSL_ISQ_E10value_typeET4_jRbjT5_SW_jjP12ihipStream_tbEUlT_E2_NS1_11comp_targetILNS1_3genE9ELNS1_11target_archE1100ELNS1_3gpuE3ELNS1_3repE0EEENS1_30default_config_static_selectorELNS0_4arch9wavefront6targetE1EEEvSK_.uses_vcc, 0
	.set _ZN7rocprim17ROCPRIM_400000_NS6detail17trampoline_kernelINS0_14default_configENS1_36segmented_radix_sort_config_selectorIhlEEZNS1_25segmented_radix_sort_implIS3_Lb0EPKhPhPKlPlN2at6native12_GLOBAL__N_18offset_tEEE10hipError_tPvRmT1_PNSt15iterator_traitsISK_E10value_typeET2_T3_PNSL_ISQ_E10value_typeET4_jRbjT5_SW_jjP12ihipStream_tbEUlT_E2_NS1_11comp_targetILNS1_3genE9ELNS1_11target_archE1100ELNS1_3gpuE3ELNS1_3repE0EEENS1_30default_config_static_selectorELNS0_4arch9wavefront6targetE1EEEvSK_.uses_flat_scratch, 0
	.set _ZN7rocprim17ROCPRIM_400000_NS6detail17trampoline_kernelINS0_14default_configENS1_36segmented_radix_sort_config_selectorIhlEEZNS1_25segmented_radix_sort_implIS3_Lb0EPKhPhPKlPlN2at6native12_GLOBAL__N_18offset_tEEE10hipError_tPvRmT1_PNSt15iterator_traitsISK_E10value_typeET2_T3_PNSL_ISQ_E10value_typeET4_jRbjT5_SW_jjP12ihipStream_tbEUlT_E2_NS1_11comp_targetILNS1_3genE9ELNS1_11target_archE1100ELNS1_3gpuE3ELNS1_3repE0EEENS1_30default_config_static_selectorELNS0_4arch9wavefront6targetE1EEEvSK_.has_dyn_sized_stack, 0
	.set _ZN7rocprim17ROCPRIM_400000_NS6detail17trampoline_kernelINS0_14default_configENS1_36segmented_radix_sort_config_selectorIhlEEZNS1_25segmented_radix_sort_implIS3_Lb0EPKhPhPKlPlN2at6native12_GLOBAL__N_18offset_tEEE10hipError_tPvRmT1_PNSt15iterator_traitsISK_E10value_typeET2_T3_PNSL_ISQ_E10value_typeET4_jRbjT5_SW_jjP12ihipStream_tbEUlT_E2_NS1_11comp_targetILNS1_3genE9ELNS1_11target_archE1100ELNS1_3gpuE3ELNS1_3repE0EEENS1_30default_config_static_selectorELNS0_4arch9wavefront6targetE1EEEvSK_.has_recursion, 0
	.set _ZN7rocprim17ROCPRIM_400000_NS6detail17trampoline_kernelINS0_14default_configENS1_36segmented_radix_sort_config_selectorIhlEEZNS1_25segmented_radix_sort_implIS3_Lb0EPKhPhPKlPlN2at6native12_GLOBAL__N_18offset_tEEE10hipError_tPvRmT1_PNSt15iterator_traitsISK_E10value_typeET2_T3_PNSL_ISQ_E10value_typeET4_jRbjT5_SW_jjP12ihipStream_tbEUlT_E2_NS1_11comp_targetILNS1_3genE9ELNS1_11target_archE1100ELNS1_3gpuE3ELNS1_3repE0EEENS1_30default_config_static_selectorELNS0_4arch9wavefront6targetE1EEEvSK_.has_indirect_call, 0
	.section	.AMDGPU.csdata,"",@progbits
; Kernel info:
; codeLenInByte = 0
; TotalNumSgprs: 4
; NumVgprs: 0
; ScratchSize: 0
; MemoryBound: 0
; FloatMode: 240
; IeeeMode: 1
; LDSByteSize: 0 bytes/workgroup (compile time only)
; SGPRBlocks: 0
; VGPRBlocks: 0
; NumSGPRsForWavesPerEU: 4
; NumVGPRsForWavesPerEU: 1
; Occupancy: 10
; WaveLimiterHint : 0
; COMPUTE_PGM_RSRC2:SCRATCH_EN: 0
; COMPUTE_PGM_RSRC2:USER_SGPR: 6
; COMPUTE_PGM_RSRC2:TRAP_HANDLER: 0
; COMPUTE_PGM_RSRC2:TGID_X_EN: 1
; COMPUTE_PGM_RSRC2:TGID_Y_EN: 0
; COMPUTE_PGM_RSRC2:TGID_Z_EN: 0
; COMPUTE_PGM_RSRC2:TIDIG_COMP_CNT: 0
	.section	.text._ZN7rocprim17ROCPRIM_400000_NS6detail17trampoline_kernelINS0_14default_configENS1_36segmented_radix_sort_config_selectorIhlEEZNS1_25segmented_radix_sort_implIS3_Lb0EPKhPhPKlPlN2at6native12_GLOBAL__N_18offset_tEEE10hipError_tPvRmT1_PNSt15iterator_traitsISK_E10value_typeET2_T3_PNSL_ISQ_E10value_typeET4_jRbjT5_SW_jjP12ihipStream_tbEUlT_E2_NS1_11comp_targetILNS1_3genE8ELNS1_11target_archE1030ELNS1_3gpuE2ELNS1_3repE0EEENS1_30default_config_static_selectorELNS0_4arch9wavefront6targetE1EEEvSK_,"axG",@progbits,_ZN7rocprim17ROCPRIM_400000_NS6detail17trampoline_kernelINS0_14default_configENS1_36segmented_radix_sort_config_selectorIhlEEZNS1_25segmented_radix_sort_implIS3_Lb0EPKhPhPKlPlN2at6native12_GLOBAL__N_18offset_tEEE10hipError_tPvRmT1_PNSt15iterator_traitsISK_E10value_typeET2_T3_PNSL_ISQ_E10value_typeET4_jRbjT5_SW_jjP12ihipStream_tbEUlT_E2_NS1_11comp_targetILNS1_3genE8ELNS1_11target_archE1030ELNS1_3gpuE2ELNS1_3repE0EEENS1_30default_config_static_selectorELNS0_4arch9wavefront6targetE1EEEvSK_,comdat
	.globl	_ZN7rocprim17ROCPRIM_400000_NS6detail17trampoline_kernelINS0_14default_configENS1_36segmented_radix_sort_config_selectorIhlEEZNS1_25segmented_radix_sort_implIS3_Lb0EPKhPhPKlPlN2at6native12_GLOBAL__N_18offset_tEEE10hipError_tPvRmT1_PNSt15iterator_traitsISK_E10value_typeET2_T3_PNSL_ISQ_E10value_typeET4_jRbjT5_SW_jjP12ihipStream_tbEUlT_E2_NS1_11comp_targetILNS1_3genE8ELNS1_11target_archE1030ELNS1_3gpuE2ELNS1_3repE0EEENS1_30default_config_static_selectorELNS0_4arch9wavefront6targetE1EEEvSK_ ; -- Begin function _ZN7rocprim17ROCPRIM_400000_NS6detail17trampoline_kernelINS0_14default_configENS1_36segmented_radix_sort_config_selectorIhlEEZNS1_25segmented_radix_sort_implIS3_Lb0EPKhPhPKlPlN2at6native12_GLOBAL__N_18offset_tEEE10hipError_tPvRmT1_PNSt15iterator_traitsISK_E10value_typeET2_T3_PNSL_ISQ_E10value_typeET4_jRbjT5_SW_jjP12ihipStream_tbEUlT_E2_NS1_11comp_targetILNS1_3genE8ELNS1_11target_archE1030ELNS1_3gpuE2ELNS1_3repE0EEENS1_30default_config_static_selectorELNS0_4arch9wavefront6targetE1EEEvSK_
	.p2align	8
	.type	_ZN7rocprim17ROCPRIM_400000_NS6detail17trampoline_kernelINS0_14default_configENS1_36segmented_radix_sort_config_selectorIhlEEZNS1_25segmented_radix_sort_implIS3_Lb0EPKhPhPKlPlN2at6native12_GLOBAL__N_18offset_tEEE10hipError_tPvRmT1_PNSt15iterator_traitsISK_E10value_typeET2_T3_PNSL_ISQ_E10value_typeET4_jRbjT5_SW_jjP12ihipStream_tbEUlT_E2_NS1_11comp_targetILNS1_3genE8ELNS1_11target_archE1030ELNS1_3gpuE2ELNS1_3repE0EEENS1_30default_config_static_selectorELNS0_4arch9wavefront6targetE1EEEvSK_,@function
_ZN7rocprim17ROCPRIM_400000_NS6detail17trampoline_kernelINS0_14default_configENS1_36segmented_radix_sort_config_selectorIhlEEZNS1_25segmented_radix_sort_implIS3_Lb0EPKhPhPKlPlN2at6native12_GLOBAL__N_18offset_tEEE10hipError_tPvRmT1_PNSt15iterator_traitsISK_E10value_typeET2_T3_PNSL_ISQ_E10value_typeET4_jRbjT5_SW_jjP12ihipStream_tbEUlT_E2_NS1_11comp_targetILNS1_3genE8ELNS1_11target_archE1030ELNS1_3gpuE2ELNS1_3repE0EEENS1_30default_config_static_selectorELNS0_4arch9wavefront6targetE1EEEvSK_: ; @_ZN7rocprim17ROCPRIM_400000_NS6detail17trampoline_kernelINS0_14default_configENS1_36segmented_radix_sort_config_selectorIhlEEZNS1_25segmented_radix_sort_implIS3_Lb0EPKhPhPKlPlN2at6native12_GLOBAL__N_18offset_tEEE10hipError_tPvRmT1_PNSt15iterator_traitsISK_E10value_typeET2_T3_PNSL_ISQ_E10value_typeET4_jRbjT5_SW_jjP12ihipStream_tbEUlT_E2_NS1_11comp_targetILNS1_3genE8ELNS1_11target_archE1030ELNS1_3gpuE2ELNS1_3repE0EEENS1_30default_config_static_selectorELNS0_4arch9wavefront6targetE1EEEvSK_
; %bb.0:
	.section	.rodata,"a",@progbits
	.p2align	6, 0x0
	.amdhsa_kernel _ZN7rocprim17ROCPRIM_400000_NS6detail17trampoline_kernelINS0_14default_configENS1_36segmented_radix_sort_config_selectorIhlEEZNS1_25segmented_radix_sort_implIS3_Lb0EPKhPhPKlPlN2at6native12_GLOBAL__N_18offset_tEEE10hipError_tPvRmT1_PNSt15iterator_traitsISK_E10value_typeET2_T3_PNSL_ISQ_E10value_typeET4_jRbjT5_SW_jjP12ihipStream_tbEUlT_E2_NS1_11comp_targetILNS1_3genE8ELNS1_11target_archE1030ELNS1_3gpuE2ELNS1_3repE0EEENS1_30default_config_static_selectorELNS0_4arch9wavefront6targetE1EEEvSK_
		.amdhsa_group_segment_fixed_size 0
		.amdhsa_private_segment_fixed_size 0
		.amdhsa_kernarg_size 80
		.amdhsa_user_sgpr_count 6
		.amdhsa_user_sgpr_private_segment_buffer 1
		.amdhsa_user_sgpr_dispatch_ptr 0
		.amdhsa_user_sgpr_queue_ptr 0
		.amdhsa_user_sgpr_kernarg_segment_ptr 1
		.amdhsa_user_sgpr_dispatch_id 0
		.amdhsa_user_sgpr_flat_scratch_init 0
		.amdhsa_user_sgpr_private_segment_size 0
		.amdhsa_uses_dynamic_stack 0
		.amdhsa_system_sgpr_private_segment_wavefront_offset 0
		.amdhsa_system_sgpr_workgroup_id_x 1
		.amdhsa_system_sgpr_workgroup_id_y 0
		.amdhsa_system_sgpr_workgroup_id_z 0
		.amdhsa_system_sgpr_workgroup_info 0
		.amdhsa_system_vgpr_workitem_id 0
		.amdhsa_next_free_vgpr 1
		.amdhsa_next_free_sgpr 0
		.amdhsa_reserve_vcc 0
		.amdhsa_reserve_flat_scratch 0
		.amdhsa_float_round_mode_32 0
		.amdhsa_float_round_mode_16_64 0
		.amdhsa_float_denorm_mode_32 3
		.amdhsa_float_denorm_mode_16_64 3
		.amdhsa_dx10_clamp 1
		.amdhsa_ieee_mode 1
		.amdhsa_fp16_overflow 0
		.amdhsa_exception_fp_ieee_invalid_op 0
		.amdhsa_exception_fp_denorm_src 0
		.amdhsa_exception_fp_ieee_div_zero 0
		.amdhsa_exception_fp_ieee_overflow 0
		.amdhsa_exception_fp_ieee_underflow 0
		.amdhsa_exception_fp_ieee_inexact 0
		.amdhsa_exception_int_div_zero 0
	.end_amdhsa_kernel
	.section	.text._ZN7rocprim17ROCPRIM_400000_NS6detail17trampoline_kernelINS0_14default_configENS1_36segmented_radix_sort_config_selectorIhlEEZNS1_25segmented_radix_sort_implIS3_Lb0EPKhPhPKlPlN2at6native12_GLOBAL__N_18offset_tEEE10hipError_tPvRmT1_PNSt15iterator_traitsISK_E10value_typeET2_T3_PNSL_ISQ_E10value_typeET4_jRbjT5_SW_jjP12ihipStream_tbEUlT_E2_NS1_11comp_targetILNS1_3genE8ELNS1_11target_archE1030ELNS1_3gpuE2ELNS1_3repE0EEENS1_30default_config_static_selectorELNS0_4arch9wavefront6targetE1EEEvSK_,"axG",@progbits,_ZN7rocprim17ROCPRIM_400000_NS6detail17trampoline_kernelINS0_14default_configENS1_36segmented_radix_sort_config_selectorIhlEEZNS1_25segmented_radix_sort_implIS3_Lb0EPKhPhPKlPlN2at6native12_GLOBAL__N_18offset_tEEE10hipError_tPvRmT1_PNSt15iterator_traitsISK_E10value_typeET2_T3_PNSL_ISQ_E10value_typeET4_jRbjT5_SW_jjP12ihipStream_tbEUlT_E2_NS1_11comp_targetILNS1_3genE8ELNS1_11target_archE1030ELNS1_3gpuE2ELNS1_3repE0EEENS1_30default_config_static_selectorELNS0_4arch9wavefront6targetE1EEEvSK_,comdat
.Lfunc_end224:
	.size	_ZN7rocprim17ROCPRIM_400000_NS6detail17trampoline_kernelINS0_14default_configENS1_36segmented_radix_sort_config_selectorIhlEEZNS1_25segmented_radix_sort_implIS3_Lb0EPKhPhPKlPlN2at6native12_GLOBAL__N_18offset_tEEE10hipError_tPvRmT1_PNSt15iterator_traitsISK_E10value_typeET2_T3_PNSL_ISQ_E10value_typeET4_jRbjT5_SW_jjP12ihipStream_tbEUlT_E2_NS1_11comp_targetILNS1_3genE8ELNS1_11target_archE1030ELNS1_3gpuE2ELNS1_3repE0EEENS1_30default_config_static_selectorELNS0_4arch9wavefront6targetE1EEEvSK_, .Lfunc_end224-_ZN7rocprim17ROCPRIM_400000_NS6detail17trampoline_kernelINS0_14default_configENS1_36segmented_radix_sort_config_selectorIhlEEZNS1_25segmented_radix_sort_implIS3_Lb0EPKhPhPKlPlN2at6native12_GLOBAL__N_18offset_tEEE10hipError_tPvRmT1_PNSt15iterator_traitsISK_E10value_typeET2_T3_PNSL_ISQ_E10value_typeET4_jRbjT5_SW_jjP12ihipStream_tbEUlT_E2_NS1_11comp_targetILNS1_3genE8ELNS1_11target_archE1030ELNS1_3gpuE2ELNS1_3repE0EEENS1_30default_config_static_selectorELNS0_4arch9wavefront6targetE1EEEvSK_
                                        ; -- End function
	.set _ZN7rocprim17ROCPRIM_400000_NS6detail17trampoline_kernelINS0_14default_configENS1_36segmented_radix_sort_config_selectorIhlEEZNS1_25segmented_radix_sort_implIS3_Lb0EPKhPhPKlPlN2at6native12_GLOBAL__N_18offset_tEEE10hipError_tPvRmT1_PNSt15iterator_traitsISK_E10value_typeET2_T3_PNSL_ISQ_E10value_typeET4_jRbjT5_SW_jjP12ihipStream_tbEUlT_E2_NS1_11comp_targetILNS1_3genE8ELNS1_11target_archE1030ELNS1_3gpuE2ELNS1_3repE0EEENS1_30default_config_static_selectorELNS0_4arch9wavefront6targetE1EEEvSK_.num_vgpr, 0
	.set _ZN7rocprim17ROCPRIM_400000_NS6detail17trampoline_kernelINS0_14default_configENS1_36segmented_radix_sort_config_selectorIhlEEZNS1_25segmented_radix_sort_implIS3_Lb0EPKhPhPKlPlN2at6native12_GLOBAL__N_18offset_tEEE10hipError_tPvRmT1_PNSt15iterator_traitsISK_E10value_typeET2_T3_PNSL_ISQ_E10value_typeET4_jRbjT5_SW_jjP12ihipStream_tbEUlT_E2_NS1_11comp_targetILNS1_3genE8ELNS1_11target_archE1030ELNS1_3gpuE2ELNS1_3repE0EEENS1_30default_config_static_selectorELNS0_4arch9wavefront6targetE1EEEvSK_.num_agpr, 0
	.set _ZN7rocprim17ROCPRIM_400000_NS6detail17trampoline_kernelINS0_14default_configENS1_36segmented_radix_sort_config_selectorIhlEEZNS1_25segmented_radix_sort_implIS3_Lb0EPKhPhPKlPlN2at6native12_GLOBAL__N_18offset_tEEE10hipError_tPvRmT1_PNSt15iterator_traitsISK_E10value_typeET2_T3_PNSL_ISQ_E10value_typeET4_jRbjT5_SW_jjP12ihipStream_tbEUlT_E2_NS1_11comp_targetILNS1_3genE8ELNS1_11target_archE1030ELNS1_3gpuE2ELNS1_3repE0EEENS1_30default_config_static_selectorELNS0_4arch9wavefront6targetE1EEEvSK_.numbered_sgpr, 0
	.set _ZN7rocprim17ROCPRIM_400000_NS6detail17trampoline_kernelINS0_14default_configENS1_36segmented_radix_sort_config_selectorIhlEEZNS1_25segmented_radix_sort_implIS3_Lb0EPKhPhPKlPlN2at6native12_GLOBAL__N_18offset_tEEE10hipError_tPvRmT1_PNSt15iterator_traitsISK_E10value_typeET2_T3_PNSL_ISQ_E10value_typeET4_jRbjT5_SW_jjP12ihipStream_tbEUlT_E2_NS1_11comp_targetILNS1_3genE8ELNS1_11target_archE1030ELNS1_3gpuE2ELNS1_3repE0EEENS1_30default_config_static_selectorELNS0_4arch9wavefront6targetE1EEEvSK_.num_named_barrier, 0
	.set _ZN7rocprim17ROCPRIM_400000_NS6detail17trampoline_kernelINS0_14default_configENS1_36segmented_radix_sort_config_selectorIhlEEZNS1_25segmented_radix_sort_implIS3_Lb0EPKhPhPKlPlN2at6native12_GLOBAL__N_18offset_tEEE10hipError_tPvRmT1_PNSt15iterator_traitsISK_E10value_typeET2_T3_PNSL_ISQ_E10value_typeET4_jRbjT5_SW_jjP12ihipStream_tbEUlT_E2_NS1_11comp_targetILNS1_3genE8ELNS1_11target_archE1030ELNS1_3gpuE2ELNS1_3repE0EEENS1_30default_config_static_selectorELNS0_4arch9wavefront6targetE1EEEvSK_.private_seg_size, 0
	.set _ZN7rocprim17ROCPRIM_400000_NS6detail17trampoline_kernelINS0_14default_configENS1_36segmented_radix_sort_config_selectorIhlEEZNS1_25segmented_radix_sort_implIS3_Lb0EPKhPhPKlPlN2at6native12_GLOBAL__N_18offset_tEEE10hipError_tPvRmT1_PNSt15iterator_traitsISK_E10value_typeET2_T3_PNSL_ISQ_E10value_typeET4_jRbjT5_SW_jjP12ihipStream_tbEUlT_E2_NS1_11comp_targetILNS1_3genE8ELNS1_11target_archE1030ELNS1_3gpuE2ELNS1_3repE0EEENS1_30default_config_static_selectorELNS0_4arch9wavefront6targetE1EEEvSK_.uses_vcc, 0
	.set _ZN7rocprim17ROCPRIM_400000_NS6detail17trampoline_kernelINS0_14default_configENS1_36segmented_radix_sort_config_selectorIhlEEZNS1_25segmented_radix_sort_implIS3_Lb0EPKhPhPKlPlN2at6native12_GLOBAL__N_18offset_tEEE10hipError_tPvRmT1_PNSt15iterator_traitsISK_E10value_typeET2_T3_PNSL_ISQ_E10value_typeET4_jRbjT5_SW_jjP12ihipStream_tbEUlT_E2_NS1_11comp_targetILNS1_3genE8ELNS1_11target_archE1030ELNS1_3gpuE2ELNS1_3repE0EEENS1_30default_config_static_selectorELNS0_4arch9wavefront6targetE1EEEvSK_.uses_flat_scratch, 0
	.set _ZN7rocprim17ROCPRIM_400000_NS6detail17trampoline_kernelINS0_14default_configENS1_36segmented_radix_sort_config_selectorIhlEEZNS1_25segmented_radix_sort_implIS3_Lb0EPKhPhPKlPlN2at6native12_GLOBAL__N_18offset_tEEE10hipError_tPvRmT1_PNSt15iterator_traitsISK_E10value_typeET2_T3_PNSL_ISQ_E10value_typeET4_jRbjT5_SW_jjP12ihipStream_tbEUlT_E2_NS1_11comp_targetILNS1_3genE8ELNS1_11target_archE1030ELNS1_3gpuE2ELNS1_3repE0EEENS1_30default_config_static_selectorELNS0_4arch9wavefront6targetE1EEEvSK_.has_dyn_sized_stack, 0
	.set _ZN7rocprim17ROCPRIM_400000_NS6detail17trampoline_kernelINS0_14default_configENS1_36segmented_radix_sort_config_selectorIhlEEZNS1_25segmented_radix_sort_implIS3_Lb0EPKhPhPKlPlN2at6native12_GLOBAL__N_18offset_tEEE10hipError_tPvRmT1_PNSt15iterator_traitsISK_E10value_typeET2_T3_PNSL_ISQ_E10value_typeET4_jRbjT5_SW_jjP12ihipStream_tbEUlT_E2_NS1_11comp_targetILNS1_3genE8ELNS1_11target_archE1030ELNS1_3gpuE2ELNS1_3repE0EEENS1_30default_config_static_selectorELNS0_4arch9wavefront6targetE1EEEvSK_.has_recursion, 0
	.set _ZN7rocprim17ROCPRIM_400000_NS6detail17trampoline_kernelINS0_14default_configENS1_36segmented_radix_sort_config_selectorIhlEEZNS1_25segmented_radix_sort_implIS3_Lb0EPKhPhPKlPlN2at6native12_GLOBAL__N_18offset_tEEE10hipError_tPvRmT1_PNSt15iterator_traitsISK_E10value_typeET2_T3_PNSL_ISQ_E10value_typeET4_jRbjT5_SW_jjP12ihipStream_tbEUlT_E2_NS1_11comp_targetILNS1_3genE8ELNS1_11target_archE1030ELNS1_3gpuE2ELNS1_3repE0EEENS1_30default_config_static_selectorELNS0_4arch9wavefront6targetE1EEEvSK_.has_indirect_call, 0
	.section	.AMDGPU.csdata,"",@progbits
; Kernel info:
; codeLenInByte = 0
; TotalNumSgprs: 4
; NumVgprs: 0
; ScratchSize: 0
; MemoryBound: 0
; FloatMode: 240
; IeeeMode: 1
; LDSByteSize: 0 bytes/workgroup (compile time only)
; SGPRBlocks: 0
; VGPRBlocks: 0
; NumSGPRsForWavesPerEU: 4
; NumVGPRsForWavesPerEU: 1
; Occupancy: 10
; WaveLimiterHint : 0
; COMPUTE_PGM_RSRC2:SCRATCH_EN: 0
; COMPUTE_PGM_RSRC2:USER_SGPR: 6
; COMPUTE_PGM_RSRC2:TRAP_HANDLER: 0
; COMPUTE_PGM_RSRC2:TGID_X_EN: 1
; COMPUTE_PGM_RSRC2:TGID_Y_EN: 0
; COMPUTE_PGM_RSRC2:TGID_Z_EN: 0
; COMPUTE_PGM_RSRC2:TIDIG_COMP_CNT: 0
	.section	.text._ZN2at6native12_GLOBAL__N_123sort_postprocess_kernelIaEEvPKT_PS3_PlPK15HIP_vector_typeIiLj2EEii,"axG",@progbits,_ZN2at6native12_GLOBAL__N_123sort_postprocess_kernelIaEEvPKT_PS3_PlPK15HIP_vector_typeIiLj2EEii,comdat
	.globl	_ZN2at6native12_GLOBAL__N_123sort_postprocess_kernelIaEEvPKT_PS3_PlPK15HIP_vector_typeIiLj2EEii ; -- Begin function _ZN2at6native12_GLOBAL__N_123sort_postprocess_kernelIaEEvPKT_PS3_PlPK15HIP_vector_typeIiLj2EEii
	.p2align	8
	.type	_ZN2at6native12_GLOBAL__N_123sort_postprocess_kernelIaEEvPKT_PS3_PlPK15HIP_vector_typeIiLj2EEii,@function
_ZN2at6native12_GLOBAL__N_123sort_postprocess_kernelIaEEvPKT_PS3_PlPK15HIP_vector_typeIiLj2EEii: ; @_ZN2at6native12_GLOBAL__N_123sort_postprocess_kernelIaEEvPKT_PS3_PlPK15HIP_vector_typeIiLj2EEii
; %bb.0:
	s_load_dword s2, s[4:5], 0x34
	s_load_dwordx2 s[8:9], s[4:5], 0x20
	s_add_u32 s0, s4, 40
	s_addc_u32 s1, s5, 0
	s_waitcnt lgkmcnt(0)
	s_and_b32 s16, s2, 0xffff
	s_mul_hi_u32 s17, s16, s6
	s_mul_i32 s6, s16, s6
	v_mov_b32_e32 v2, s17
	v_add_co_u32_e32 v1, vcc, s6, v0
	s_mul_i32 s2, s9, s8
	v_addc_co_u32_e32 v2, vcc, 0, v2, vcc
	s_ashr_i32 s3, s2, 31
	v_cmp_gt_i64_e32 vcc, s[2:3], v[1:2]
	v_mov_b32_e32 v1, 0
	s_and_saveexec_b64 s[10:11], vcc
	s_cbranch_execz .LBB225_3
; %bb.1:
	s_abs_i32 s7, s9
	v_cvt_f32_u32_e32 v2, s7
	s_load_dword s18, s[0:1], 0x0
	s_load_dwordx8 s[8:15], s[4:5], 0x0
	s_sub_i32 s0, 0, s7
	s_mov_b64 s[4:5], 0
	v_rcp_iflag_f32_e32 v2, v2
	s_waitcnt lgkmcnt(0)
	s_mul_i32 s16, s18, s16
	v_mov_b32_e32 v4, s13
	v_mov_b32_e32 v5, s15
	v_mul_f32_e32 v2, 0x4f7ffffe, v2
	v_cvt_u32_f32_e32 v6, v2
	v_mov_b32_e32 v2, s9
	v_mul_lo_u32 v3, s0, v6
	v_mul_hi_u32 v7, v6, v3
	v_mov_b32_e32 v3, s11
	v_add_u32_e32 v6, v6, v7
	v_mov_b32_e32 v7, s17
.LBB225_2:                              ; =>This Inner Loop Header: Depth=1
	v_add_u32_e32 v8, s6, v0
	v_ashrrev_i32_e32 v9, 31, v8
	v_sub_u32_e32 v10, 0, v8
	v_add_u32_e32 v11, v8, v9
	v_max_i32_e32 v8, v8, v10
	v_mul_hi_u32 v10, v8, v6
	v_mul_lo_u32 v10, v10, s7
	v_sub_u32_e32 v8, v8, v10
	v_subrev_u32_e32 v10, s7, v8
	v_cmp_le_u32_e32 vcc, s7, v8
	v_cndmask_b32_e32 v8, v8, v10, vcc
	v_subrev_u32_e32 v10, s7, v8
	v_cmp_le_u32_e32 vcc, s7, v8
	v_cndmask_b32_e32 v8, v8, v10, vcc
	v_xor_b32_e32 v10, v8, v9
	v_sub_u32_e32 v8, v10, v9
	v_sub_u32_e32 v10, v11, v10
	v_ashrrev_i32_e32 v11, 31, v10
	v_lshlrev_b64 v[12:13], 3, v[10:11]
	v_ashrrev_i32_e32 v9, 31, v8
	v_lshlrev_b64 v[14:15], 3, v[8:9]
	v_add_co_u32_e32 v16, vcc, s14, v12
	v_addc_co_u32_e32 v17, vcc, v5, v13, vcc
	v_add_co_u32_e32 v16, vcc, v16, v14
	v_addc_co_u32_e32 v17, vcc, v17, v15, vcc
	global_load_dword v16, v[16:17], off offset:4
	v_add_co_u32_e64 v12, s[0:1], s12, v12
	v_addc_co_u32_e64 v13, s[0:1], v4, v13, s[0:1]
	v_add_co_u32_e32 v18, vcc, s8, v10
	v_add_co_u32_e64 v12, s[0:1], v12, v14
	v_addc_co_u32_e64 v13, s[0:1], v13, v15, s[0:1]
	v_addc_co_u32_e32 v15, vcc, v2, v11, vcc
	s_waitcnt vmcnt(0)
	v_ashrrev_i32_e32 v17, 31, v16
	v_add_co_u32_e32 v14, vcc, v18, v16
	global_store_dwordx2 v[12:13], v[16:17], off
	v_addc_co_u32_e32 v15, vcc, v15, v17, vcc
	global_load_ubyte v14, v[14:15], off
	v_add_co_u32_e32 v0, vcc, s16, v0
	v_addc_co_u32_e32 v1, vcc, 0, v1, vcc
	v_add_co_u32_e32 v12, vcc, s6, v0
	v_addc_co_u32_e32 v13, vcc, v7, v1, vcc
	v_cmp_le_i64_e32 vcc, s[2:3], v[12:13]
	s_or_b64 s[4:5], vcc, s[4:5]
	v_add_co_u32_e32 v10, vcc, s10, v10
	v_addc_co_u32_e32 v11, vcc, v3, v11, vcc
	v_add_co_u32_e32 v8, vcc, v10, v8
	v_addc_co_u32_e32 v9, vcc, v11, v9, vcc
	s_waitcnt vmcnt(0)
	global_store_byte v[8:9], v14, off
	s_andn2_b64 exec, exec, s[4:5]
	s_cbranch_execnz .LBB225_2
.LBB225_3:
	s_endpgm
	.section	.rodata,"a",@progbits
	.p2align	6, 0x0
	.amdhsa_kernel _ZN2at6native12_GLOBAL__N_123sort_postprocess_kernelIaEEvPKT_PS3_PlPK15HIP_vector_typeIiLj2EEii
		.amdhsa_group_segment_fixed_size 0
		.amdhsa_private_segment_fixed_size 0
		.amdhsa_kernarg_size 296
		.amdhsa_user_sgpr_count 6
		.amdhsa_user_sgpr_private_segment_buffer 1
		.amdhsa_user_sgpr_dispatch_ptr 0
		.amdhsa_user_sgpr_queue_ptr 0
		.amdhsa_user_sgpr_kernarg_segment_ptr 1
		.amdhsa_user_sgpr_dispatch_id 0
		.amdhsa_user_sgpr_flat_scratch_init 0
		.amdhsa_user_sgpr_private_segment_size 0
		.amdhsa_uses_dynamic_stack 0
		.amdhsa_system_sgpr_private_segment_wavefront_offset 0
		.amdhsa_system_sgpr_workgroup_id_x 1
		.amdhsa_system_sgpr_workgroup_id_y 0
		.amdhsa_system_sgpr_workgroup_id_z 0
		.amdhsa_system_sgpr_workgroup_info 0
		.amdhsa_system_vgpr_workitem_id 0
		.amdhsa_next_free_vgpr 19
		.amdhsa_next_free_sgpr 19
		.amdhsa_reserve_vcc 1
		.amdhsa_reserve_flat_scratch 0
		.amdhsa_float_round_mode_32 0
		.amdhsa_float_round_mode_16_64 0
		.amdhsa_float_denorm_mode_32 3
		.amdhsa_float_denorm_mode_16_64 3
		.amdhsa_dx10_clamp 1
		.amdhsa_ieee_mode 1
		.amdhsa_fp16_overflow 0
		.amdhsa_exception_fp_ieee_invalid_op 0
		.amdhsa_exception_fp_denorm_src 0
		.amdhsa_exception_fp_ieee_div_zero 0
		.amdhsa_exception_fp_ieee_overflow 0
		.amdhsa_exception_fp_ieee_underflow 0
		.amdhsa_exception_fp_ieee_inexact 0
		.amdhsa_exception_int_div_zero 0
	.end_amdhsa_kernel
	.section	.text._ZN2at6native12_GLOBAL__N_123sort_postprocess_kernelIaEEvPKT_PS3_PlPK15HIP_vector_typeIiLj2EEii,"axG",@progbits,_ZN2at6native12_GLOBAL__N_123sort_postprocess_kernelIaEEvPKT_PS3_PlPK15HIP_vector_typeIiLj2EEii,comdat
.Lfunc_end225:
	.size	_ZN2at6native12_GLOBAL__N_123sort_postprocess_kernelIaEEvPKT_PS3_PlPK15HIP_vector_typeIiLj2EEii, .Lfunc_end225-_ZN2at6native12_GLOBAL__N_123sort_postprocess_kernelIaEEvPKT_PS3_PlPK15HIP_vector_typeIiLj2EEii
                                        ; -- End function
	.set _ZN2at6native12_GLOBAL__N_123sort_postprocess_kernelIaEEvPKT_PS3_PlPK15HIP_vector_typeIiLj2EEii.num_vgpr, 19
	.set _ZN2at6native12_GLOBAL__N_123sort_postprocess_kernelIaEEvPKT_PS3_PlPK15HIP_vector_typeIiLj2EEii.num_agpr, 0
	.set _ZN2at6native12_GLOBAL__N_123sort_postprocess_kernelIaEEvPKT_PS3_PlPK15HIP_vector_typeIiLj2EEii.numbered_sgpr, 19
	.set _ZN2at6native12_GLOBAL__N_123sort_postprocess_kernelIaEEvPKT_PS3_PlPK15HIP_vector_typeIiLj2EEii.num_named_barrier, 0
	.set _ZN2at6native12_GLOBAL__N_123sort_postprocess_kernelIaEEvPKT_PS3_PlPK15HIP_vector_typeIiLj2EEii.private_seg_size, 0
	.set _ZN2at6native12_GLOBAL__N_123sort_postprocess_kernelIaEEvPKT_PS3_PlPK15HIP_vector_typeIiLj2EEii.uses_vcc, 1
	.set _ZN2at6native12_GLOBAL__N_123sort_postprocess_kernelIaEEvPKT_PS3_PlPK15HIP_vector_typeIiLj2EEii.uses_flat_scratch, 0
	.set _ZN2at6native12_GLOBAL__N_123sort_postprocess_kernelIaEEvPKT_PS3_PlPK15HIP_vector_typeIiLj2EEii.has_dyn_sized_stack, 0
	.set _ZN2at6native12_GLOBAL__N_123sort_postprocess_kernelIaEEvPKT_PS3_PlPK15HIP_vector_typeIiLj2EEii.has_recursion, 0
	.set _ZN2at6native12_GLOBAL__N_123sort_postprocess_kernelIaEEvPKT_PS3_PlPK15HIP_vector_typeIiLj2EEii.has_indirect_call, 0
	.section	.AMDGPU.csdata,"",@progbits
; Kernel info:
; codeLenInByte = 436
; TotalNumSgprs: 23
; NumVgprs: 19
; ScratchSize: 0
; MemoryBound: 0
; FloatMode: 240
; IeeeMode: 1
; LDSByteSize: 0 bytes/workgroup (compile time only)
; SGPRBlocks: 2
; VGPRBlocks: 4
; NumSGPRsForWavesPerEU: 23
; NumVGPRsForWavesPerEU: 19
; Occupancy: 10
; WaveLimiterHint : 1
; COMPUTE_PGM_RSRC2:SCRATCH_EN: 0
; COMPUTE_PGM_RSRC2:USER_SGPR: 6
; COMPUTE_PGM_RSRC2:TRAP_HANDLER: 0
; COMPUTE_PGM_RSRC2:TGID_X_EN: 1
; COMPUTE_PGM_RSRC2:TGID_Y_EN: 0
; COMPUTE_PGM_RSRC2:TGID_Z_EN: 0
; COMPUTE_PGM_RSRC2:TIDIG_COMP_CNT: 0
	.section	.text._ZN7rocprim17ROCPRIM_400000_NS6detail17trampoline_kernelINS0_13select_configILj256ELj13ELNS0_17block_load_methodE3ELS4_3ELS4_3ELNS0_20block_scan_algorithmE0ELj4294967295EEENS1_25partition_config_selectorILNS1_17partition_subalgoE4EjNS0_10empty_typeEbEEZZNS1_14partition_implILS8_4ELb0ES6_15HIP_vector_typeIjLj2EENS0_17counting_iteratorIjlEEPS9_SG_NS0_5tupleIJPjSI_NS0_16reverse_iteratorISI_EEEEENSH_IJSG_SG_SG_EEES9_SI_JZNS1_25segmented_radix_sort_implINS0_14default_configELb1EPKaPaPKlPlN2at6native12_GLOBAL__N_18offset_tEEE10hipError_tPvRmT1_PNSt15iterator_traitsIS12_E10value_typeET2_T3_PNS13_IS18_E10value_typeET4_jRbjT5_S1E_jjP12ihipStream_tbEUljE_ZNSN_ISO_Lb1ESQ_SR_ST_SU_SY_EESZ_S10_S11_S12_S16_S17_S18_S1B_S1C_jS1D_jS1E_S1E_jjS1G_bEUljE0_EEESZ_S10_S11_S18_S1C_S1E_T6_T7_T9_mT8_S1G_bDpT10_ENKUlT_T0_E_clISt17integral_constantIbLb0EES1U_EEDaS1P_S1Q_EUlS1P_E_NS1_11comp_targetILNS1_3genE0ELNS1_11target_archE4294967295ELNS1_3gpuE0ELNS1_3repE0EEENS1_30default_config_static_selectorELNS0_4arch9wavefront6targetE1EEEvS12_,"axG",@progbits,_ZN7rocprim17ROCPRIM_400000_NS6detail17trampoline_kernelINS0_13select_configILj256ELj13ELNS0_17block_load_methodE3ELS4_3ELS4_3ELNS0_20block_scan_algorithmE0ELj4294967295EEENS1_25partition_config_selectorILNS1_17partition_subalgoE4EjNS0_10empty_typeEbEEZZNS1_14partition_implILS8_4ELb0ES6_15HIP_vector_typeIjLj2EENS0_17counting_iteratorIjlEEPS9_SG_NS0_5tupleIJPjSI_NS0_16reverse_iteratorISI_EEEEENSH_IJSG_SG_SG_EEES9_SI_JZNS1_25segmented_radix_sort_implINS0_14default_configELb1EPKaPaPKlPlN2at6native12_GLOBAL__N_18offset_tEEE10hipError_tPvRmT1_PNSt15iterator_traitsIS12_E10value_typeET2_T3_PNS13_IS18_E10value_typeET4_jRbjT5_S1E_jjP12ihipStream_tbEUljE_ZNSN_ISO_Lb1ESQ_SR_ST_SU_SY_EESZ_S10_S11_S12_S16_S17_S18_S1B_S1C_jS1D_jS1E_S1E_jjS1G_bEUljE0_EEESZ_S10_S11_S18_S1C_S1E_T6_T7_T9_mT8_S1G_bDpT10_ENKUlT_T0_E_clISt17integral_constantIbLb0EES1U_EEDaS1P_S1Q_EUlS1P_E_NS1_11comp_targetILNS1_3genE0ELNS1_11target_archE4294967295ELNS1_3gpuE0ELNS1_3repE0EEENS1_30default_config_static_selectorELNS0_4arch9wavefront6targetE1EEEvS12_,comdat
	.globl	_ZN7rocprim17ROCPRIM_400000_NS6detail17trampoline_kernelINS0_13select_configILj256ELj13ELNS0_17block_load_methodE3ELS4_3ELS4_3ELNS0_20block_scan_algorithmE0ELj4294967295EEENS1_25partition_config_selectorILNS1_17partition_subalgoE4EjNS0_10empty_typeEbEEZZNS1_14partition_implILS8_4ELb0ES6_15HIP_vector_typeIjLj2EENS0_17counting_iteratorIjlEEPS9_SG_NS0_5tupleIJPjSI_NS0_16reverse_iteratorISI_EEEEENSH_IJSG_SG_SG_EEES9_SI_JZNS1_25segmented_radix_sort_implINS0_14default_configELb1EPKaPaPKlPlN2at6native12_GLOBAL__N_18offset_tEEE10hipError_tPvRmT1_PNSt15iterator_traitsIS12_E10value_typeET2_T3_PNS13_IS18_E10value_typeET4_jRbjT5_S1E_jjP12ihipStream_tbEUljE_ZNSN_ISO_Lb1ESQ_SR_ST_SU_SY_EESZ_S10_S11_S12_S16_S17_S18_S1B_S1C_jS1D_jS1E_S1E_jjS1G_bEUljE0_EEESZ_S10_S11_S18_S1C_S1E_T6_T7_T9_mT8_S1G_bDpT10_ENKUlT_T0_E_clISt17integral_constantIbLb0EES1U_EEDaS1P_S1Q_EUlS1P_E_NS1_11comp_targetILNS1_3genE0ELNS1_11target_archE4294967295ELNS1_3gpuE0ELNS1_3repE0EEENS1_30default_config_static_selectorELNS0_4arch9wavefront6targetE1EEEvS12_ ; -- Begin function _ZN7rocprim17ROCPRIM_400000_NS6detail17trampoline_kernelINS0_13select_configILj256ELj13ELNS0_17block_load_methodE3ELS4_3ELS4_3ELNS0_20block_scan_algorithmE0ELj4294967295EEENS1_25partition_config_selectorILNS1_17partition_subalgoE4EjNS0_10empty_typeEbEEZZNS1_14partition_implILS8_4ELb0ES6_15HIP_vector_typeIjLj2EENS0_17counting_iteratorIjlEEPS9_SG_NS0_5tupleIJPjSI_NS0_16reverse_iteratorISI_EEEEENSH_IJSG_SG_SG_EEES9_SI_JZNS1_25segmented_radix_sort_implINS0_14default_configELb1EPKaPaPKlPlN2at6native12_GLOBAL__N_18offset_tEEE10hipError_tPvRmT1_PNSt15iterator_traitsIS12_E10value_typeET2_T3_PNS13_IS18_E10value_typeET4_jRbjT5_S1E_jjP12ihipStream_tbEUljE_ZNSN_ISO_Lb1ESQ_SR_ST_SU_SY_EESZ_S10_S11_S12_S16_S17_S18_S1B_S1C_jS1D_jS1E_S1E_jjS1G_bEUljE0_EEESZ_S10_S11_S18_S1C_S1E_T6_T7_T9_mT8_S1G_bDpT10_ENKUlT_T0_E_clISt17integral_constantIbLb0EES1U_EEDaS1P_S1Q_EUlS1P_E_NS1_11comp_targetILNS1_3genE0ELNS1_11target_archE4294967295ELNS1_3gpuE0ELNS1_3repE0EEENS1_30default_config_static_selectorELNS0_4arch9wavefront6targetE1EEEvS12_
	.p2align	8
	.type	_ZN7rocprim17ROCPRIM_400000_NS6detail17trampoline_kernelINS0_13select_configILj256ELj13ELNS0_17block_load_methodE3ELS4_3ELS4_3ELNS0_20block_scan_algorithmE0ELj4294967295EEENS1_25partition_config_selectorILNS1_17partition_subalgoE4EjNS0_10empty_typeEbEEZZNS1_14partition_implILS8_4ELb0ES6_15HIP_vector_typeIjLj2EENS0_17counting_iteratorIjlEEPS9_SG_NS0_5tupleIJPjSI_NS0_16reverse_iteratorISI_EEEEENSH_IJSG_SG_SG_EEES9_SI_JZNS1_25segmented_radix_sort_implINS0_14default_configELb1EPKaPaPKlPlN2at6native12_GLOBAL__N_18offset_tEEE10hipError_tPvRmT1_PNSt15iterator_traitsIS12_E10value_typeET2_T3_PNS13_IS18_E10value_typeET4_jRbjT5_S1E_jjP12ihipStream_tbEUljE_ZNSN_ISO_Lb1ESQ_SR_ST_SU_SY_EESZ_S10_S11_S12_S16_S17_S18_S1B_S1C_jS1D_jS1E_S1E_jjS1G_bEUljE0_EEESZ_S10_S11_S18_S1C_S1E_T6_T7_T9_mT8_S1G_bDpT10_ENKUlT_T0_E_clISt17integral_constantIbLb0EES1U_EEDaS1P_S1Q_EUlS1P_E_NS1_11comp_targetILNS1_3genE0ELNS1_11target_archE4294967295ELNS1_3gpuE0ELNS1_3repE0EEENS1_30default_config_static_selectorELNS0_4arch9wavefront6targetE1EEEvS12_,@function
_ZN7rocprim17ROCPRIM_400000_NS6detail17trampoline_kernelINS0_13select_configILj256ELj13ELNS0_17block_load_methodE3ELS4_3ELS4_3ELNS0_20block_scan_algorithmE0ELj4294967295EEENS1_25partition_config_selectorILNS1_17partition_subalgoE4EjNS0_10empty_typeEbEEZZNS1_14partition_implILS8_4ELb0ES6_15HIP_vector_typeIjLj2EENS0_17counting_iteratorIjlEEPS9_SG_NS0_5tupleIJPjSI_NS0_16reverse_iteratorISI_EEEEENSH_IJSG_SG_SG_EEES9_SI_JZNS1_25segmented_radix_sort_implINS0_14default_configELb1EPKaPaPKlPlN2at6native12_GLOBAL__N_18offset_tEEE10hipError_tPvRmT1_PNSt15iterator_traitsIS12_E10value_typeET2_T3_PNS13_IS18_E10value_typeET4_jRbjT5_S1E_jjP12ihipStream_tbEUljE_ZNSN_ISO_Lb1ESQ_SR_ST_SU_SY_EESZ_S10_S11_S12_S16_S17_S18_S1B_S1C_jS1D_jS1E_S1E_jjS1G_bEUljE0_EEESZ_S10_S11_S18_S1C_S1E_T6_T7_T9_mT8_S1G_bDpT10_ENKUlT_T0_E_clISt17integral_constantIbLb0EES1U_EEDaS1P_S1Q_EUlS1P_E_NS1_11comp_targetILNS1_3genE0ELNS1_11target_archE4294967295ELNS1_3gpuE0ELNS1_3repE0EEENS1_30default_config_static_selectorELNS0_4arch9wavefront6targetE1EEEvS12_: ; @_ZN7rocprim17ROCPRIM_400000_NS6detail17trampoline_kernelINS0_13select_configILj256ELj13ELNS0_17block_load_methodE3ELS4_3ELS4_3ELNS0_20block_scan_algorithmE0ELj4294967295EEENS1_25partition_config_selectorILNS1_17partition_subalgoE4EjNS0_10empty_typeEbEEZZNS1_14partition_implILS8_4ELb0ES6_15HIP_vector_typeIjLj2EENS0_17counting_iteratorIjlEEPS9_SG_NS0_5tupleIJPjSI_NS0_16reverse_iteratorISI_EEEEENSH_IJSG_SG_SG_EEES9_SI_JZNS1_25segmented_radix_sort_implINS0_14default_configELb1EPKaPaPKlPlN2at6native12_GLOBAL__N_18offset_tEEE10hipError_tPvRmT1_PNSt15iterator_traitsIS12_E10value_typeET2_T3_PNS13_IS18_E10value_typeET4_jRbjT5_S1E_jjP12ihipStream_tbEUljE_ZNSN_ISO_Lb1ESQ_SR_ST_SU_SY_EESZ_S10_S11_S12_S16_S17_S18_S1B_S1C_jS1D_jS1E_S1E_jjS1G_bEUljE0_EEESZ_S10_S11_S18_S1C_S1E_T6_T7_T9_mT8_S1G_bDpT10_ENKUlT_T0_E_clISt17integral_constantIbLb0EES1U_EEDaS1P_S1Q_EUlS1P_E_NS1_11comp_targetILNS1_3genE0ELNS1_11target_archE4294967295ELNS1_3gpuE0ELNS1_3repE0EEENS1_30default_config_static_selectorELNS0_4arch9wavefront6targetE1EEEvS12_
; %bb.0:
	.section	.rodata,"a",@progbits
	.p2align	6, 0x0
	.amdhsa_kernel _ZN7rocprim17ROCPRIM_400000_NS6detail17trampoline_kernelINS0_13select_configILj256ELj13ELNS0_17block_load_methodE3ELS4_3ELS4_3ELNS0_20block_scan_algorithmE0ELj4294967295EEENS1_25partition_config_selectorILNS1_17partition_subalgoE4EjNS0_10empty_typeEbEEZZNS1_14partition_implILS8_4ELb0ES6_15HIP_vector_typeIjLj2EENS0_17counting_iteratorIjlEEPS9_SG_NS0_5tupleIJPjSI_NS0_16reverse_iteratorISI_EEEEENSH_IJSG_SG_SG_EEES9_SI_JZNS1_25segmented_radix_sort_implINS0_14default_configELb1EPKaPaPKlPlN2at6native12_GLOBAL__N_18offset_tEEE10hipError_tPvRmT1_PNSt15iterator_traitsIS12_E10value_typeET2_T3_PNS13_IS18_E10value_typeET4_jRbjT5_S1E_jjP12ihipStream_tbEUljE_ZNSN_ISO_Lb1ESQ_SR_ST_SU_SY_EESZ_S10_S11_S12_S16_S17_S18_S1B_S1C_jS1D_jS1E_S1E_jjS1G_bEUljE0_EEESZ_S10_S11_S18_S1C_S1E_T6_T7_T9_mT8_S1G_bDpT10_ENKUlT_T0_E_clISt17integral_constantIbLb0EES1U_EEDaS1P_S1Q_EUlS1P_E_NS1_11comp_targetILNS1_3genE0ELNS1_11target_archE4294967295ELNS1_3gpuE0ELNS1_3repE0EEENS1_30default_config_static_selectorELNS0_4arch9wavefront6targetE1EEEvS12_
		.amdhsa_group_segment_fixed_size 0
		.amdhsa_private_segment_fixed_size 0
		.amdhsa_kernarg_size 176
		.amdhsa_user_sgpr_count 6
		.amdhsa_user_sgpr_private_segment_buffer 1
		.amdhsa_user_sgpr_dispatch_ptr 0
		.amdhsa_user_sgpr_queue_ptr 0
		.amdhsa_user_sgpr_kernarg_segment_ptr 1
		.amdhsa_user_sgpr_dispatch_id 0
		.amdhsa_user_sgpr_flat_scratch_init 0
		.amdhsa_user_sgpr_private_segment_size 0
		.amdhsa_uses_dynamic_stack 0
		.amdhsa_system_sgpr_private_segment_wavefront_offset 0
		.amdhsa_system_sgpr_workgroup_id_x 1
		.amdhsa_system_sgpr_workgroup_id_y 0
		.amdhsa_system_sgpr_workgroup_id_z 0
		.amdhsa_system_sgpr_workgroup_info 0
		.amdhsa_system_vgpr_workitem_id 0
		.amdhsa_next_free_vgpr 1
		.amdhsa_next_free_sgpr 0
		.amdhsa_reserve_vcc 0
		.amdhsa_reserve_flat_scratch 0
		.amdhsa_float_round_mode_32 0
		.amdhsa_float_round_mode_16_64 0
		.amdhsa_float_denorm_mode_32 3
		.amdhsa_float_denorm_mode_16_64 3
		.amdhsa_dx10_clamp 1
		.amdhsa_ieee_mode 1
		.amdhsa_fp16_overflow 0
		.amdhsa_exception_fp_ieee_invalid_op 0
		.amdhsa_exception_fp_denorm_src 0
		.amdhsa_exception_fp_ieee_div_zero 0
		.amdhsa_exception_fp_ieee_overflow 0
		.amdhsa_exception_fp_ieee_underflow 0
		.amdhsa_exception_fp_ieee_inexact 0
		.amdhsa_exception_int_div_zero 0
	.end_amdhsa_kernel
	.section	.text._ZN7rocprim17ROCPRIM_400000_NS6detail17trampoline_kernelINS0_13select_configILj256ELj13ELNS0_17block_load_methodE3ELS4_3ELS4_3ELNS0_20block_scan_algorithmE0ELj4294967295EEENS1_25partition_config_selectorILNS1_17partition_subalgoE4EjNS0_10empty_typeEbEEZZNS1_14partition_implILS8_4ELb0ES6_15HIP_vector_typeIjLj2EENS0_17counting_iteratorIjlEEPS9_SG_NS0_5tupleIJPjSI_NS0_16reverse_iteratorISI_EEEEENSH_IJSG_SG_SG_EEES9_SI_JZNS1_25segmented_radix_sort_implINS0_14default_configELb1EPKaPaPKlPlN2at6native12_GLOBAL__N_18offset_tEEE10hipError_tPvRmT1_PNSt15iterator_traitsIS12_E10value_typeET2_T3_PNS13_IS18_E10value_typeET4_jRbjT5_S1E_jjP12ihipStream_tbEUljE_ZNSN_ISO_Lb1ESQ_SR_ST_SU_SY_EESZ_S10_S11_S12_S16_S17_S18_S1B_S1C_jS1D_jS1E_S1E_jjS1G_bEUljE0_EEESZ_S10_S11_S18_S1C_S1E_T6_T7_T9_mT8_S1G_bDpT10_ENKUlT_T0_E_clISt17integral_constantIbLb0EES1U_EEDaS1P_S1Q_EUlS1P_E_NS1_11comp_targetILNS1_3genE0ELNS1_11target_archE4294967295ELNS1_3gpuE0ELNS1_3repE0EEENS1_30default_config_static_selectorELNS0_4arch9wavefront6targetE1EEEvS12_,"axG",@progbits,_ZN7rocprim17ROCPRIM_400000_NS6detail17trampoline_kernelINS0_13select_configILj256ELj13ELNS0_17block_load_methodE3ELS4_3ELS4_3ELNS0_20block_scan_algorithmE0ELj4294967295EEENS1_25partition_config_selectorILNS1_17partition_subalgoE4EjNS0_10empty_typeEbEEZZNS1_14partition_implILS8_4ELb0ES6_15HIP_vector_typeIjLj2EENS0_17counting_iteratorIjlEEPS9_SG_NS0_5tupleIJPjSI_NS0_16reverse_iteratorISI_EEEEENSH_IJSG_SG_SG_EEES9_SI_JZNS1_25segmented_radix_sort_implINS0_14default_configELb1EPKaPaPKlPlN2at6native12_GLOBAL__N_18offset_tEEE10hipError_tPvRmT1_PNSt15iterator_traitsIS12_E10value_typeET2_T3_PNS13_IS18_E10value_typeET4_jRbjT5_S1E_jjP12ihipStream_tbEUljE_ZNSN_ISO_Lb1ESQ_SR_ST_SU_SY_EESZ_S10_S11_S12_S16_S17_S18_S1B_S1C_jS1D_jS1E_S1E_jjS1G_bEUljE0_EEESZ_S10_S11_S18_S1C_S1E_T6_T7_T9_mT8_S1G_bDpT10_ENKUlT_T0_E_clISt17integral_constantIbLb0EES1U_EEDaS1P_S1Q_EUlS1P_E_NS1_11comp_targetILNS1_3genE0ELNS1_11target_archE4294967295ELNS1_3gpuE0ELNS1_3repE0EEENS1_30default_config_static_selectorELNS0_4arch9wavefront6targetE1EEEvS12_,comdat
.Lfunc_end226:
	.size	_ZN7rocprim17ROCPRIM_400000_NS6detail17trampoline_kernelINS0_13select_configILj256ELj13ELNS0_17block_load_methodE3ELS4_3ELS4_3ELNS0_20block_scan_algorithmE0ELj4294967295EEENS1_25partition_config_selectorILNS1_17partition_subalgoE4EjNS0_10empty_typeEbEEZZNS1_14partition_implILS8_4ELb0ES6_15HIP_vector_typeIjLj2EENS0_17counting_iteratorIjlEEPS9_SG_NS0_5tupleIJPjSI_NS0_16reverse_iteratorISI_EEEEENSH_IJSG_SG_SG_EEES9_SI_JZNS1_25segmented_radix_sort_implINS0_14default_configELb1EPKaPaPKlPlN2at6native12_GLOBAL__N_18offset_tEEE10hipError_tPvRmT1_PNSt15iterator_traitsIS12_E10value_typeET2_T3_PNS13_IS18_E10value_typeET4_jRbjT5_S1E_jjP12ihipStream_tbEUljE_ZNSN_ISO_Lb1ESQ_SR_ST_SU_SY_EESZ_S10_S11_S12_S16_S17_S18_S1B_S1C_jS1D_jS1E_S1E_jjS1G_bEUljE0_EEESZ_S10_S11_S18_S1C_S1E_T6_T7_T9_mT8_S1G_bDpT10_ENKUlT_T0_E_clISt17integral_constantIbLb0EES1U_EEDaS1P_S1Q_EUlS1P_E_NS1_11comp_targetILNS1_3genE0ELNS1_11target_archE4294967295ELNS1_3gpuE0ELNS1_3repE0EEENS1_30default_config_static_selectorELNS0_4arch9wavefront6targetE1EEEvS12_, .Lfunc_end226-_ZN7rocprim17ROCPRIM_400000_NS6detail17trampoline_kernelINS0_13select_configILj256ELj13ELNS0_17block_load_methodE3ELS4_3ELS4_3ELNS0_20block_scan_algorithmE0ELj4294967295EEENS1_25partition_config_selectorILNS1_17partition_subalgoE4EjNS0_10empty_typeEbEEZZNS1_14partition_implILS8_4ELb0ES6_15HIP_vector_typeIjLj2EENS0_17counting_iteratorIjlEEPS9_SG_NS0_5tupleIJPjSI_NS0_16reverse_iteratorISI_EEEEENSH_IJSG_SG_SG_EEES9_SI_JZNS1_25segmented_radix_sort_implINS0_14default_configELb1EPKaPaPKlPlN2at6native12_GLOBAL__N_18offset_tEEE10hipError_tPvRmT1_PNSt15iterator_traitsIS12_E10value_typeET2_T3_PNS13_IS18_E10value_typeET4_jRbjT5_S1E_jjP12ihipStream_tbEUljE_ZNSN_ISO_Lb1ESQ_SR_ST_SU_SY_EESZ_S10_S11_S12_S16_S17_S18_S1B_S1C_jS1D_jS1E_S1E_jjS1G_bEUljE0_EEESZ_S10_S11_S18_S1C_S1E_T6_T7_T9_mT8_S1G_bDpT10_ENKUlT_T0_E_clISt17integral_constantIbLb0EES1U_EEDaS1P_S1Q_EUlS1P_E_NS1_11comp_targetILNS1_3genE0ELNS1_11target_archE4294967295ELNS1_3gpuE0ELNS1_3repE0EEENS1_30default_config_static_selectorELNS0_4arch9wavefront6targetE1EEEvS12_
                                        ; -- End function
	.set _ZN7rocprim17ROCPRIM_400000_NS6detail17trampoline_kernelINS0_13select_configILj256ELj13ELNS0_17block_load_methodE3ELS4_3ELS4_3ELNS0_20block_scan_algorithmE0ELj4294967295EEENS1_25partition_config_selectorILNS1_17partition_subalgoE4EjNS0_10empty_typeEbEEZZNS1_14partition_implILS8_4ELb0ES6_15HIP_vector_typeIjLj2EENS0_17counting_iteratorIjlEEPS9_SG_NS0_5tupleIJPjSI_NS0_16reverse_iteratorISI_EEEEENSH_IJSG_SG_SG_EEES9_SI_JZNS1_25segmented_radix_sort_implINS0_14default_configELb1EPKaPaPKlPlN2at6native12_GLOBAL__N_18offset_tEEE10hipError_tPvRmT1_PNSt15iterator_traitsIS12_E10value_typeET2_T3_PNS13_IS18_E10value_typeET4_jRbjT5_S1E_jjP12ihipStream_tbEUljE_ZNSN_ISO_Lb1ESQ_SR_ST_SU_SY_EESZ_S10_S11_S12_S16_S17_S18_S1B_S1C_jS1D_jS1E_S1E_jjS1G_bEUljE0_EEESZ_S10_S11_S18_S1C_S1E_T6_T7_T9_mT8_S1G_bDpT10_ENKUlT_T0_E_clISt17integral_constantIbLb0EES1U_EEDaS1P_S1Q_EUlS1P_E_NS1_11comp_targetILNS1_3genE0ELNS1_11target_archE4294967295ELNS1_3gpuE0ELNS1_3repE0EEENS1_30default_config_static_selectorELNS0_4arch9wavefront6targetE1EEEvS12_.num_vgpr, 0
	.set _ZN7rocprim17ROCPRIM_400000_NS6detail17trampoline_kernelINS0_13select_configILj256ELj13ELNS0_17block_load_methodE3ELS4_3ELS4_3ELNS0_20block_scan_algorithmE0ELj4294967295EEENS1_25partition_config_selectorILNS1_17partition_subalgoE4EjNS0_10empty_typeEbEEZZNS1_14partition_implILS8_4ELb0ES6_15HIP_vector_typeIjLj2EENS0_17counting_iteratorIjlEEPS9_SG_NS0_5tupleIJPjSI_NS0_16reverse_iteratorISI_EEEEENSH_IJSG_SG_SG_EEES9_SI_JZNS1_25segmented_radix_sort_implINS0_14default_configELb1EPKaPaPKlPlN2at6native12_GLOBAL__N_18offset_tEEE10hipError_tPvRmT1_PNSt15iterator_traitsIS12_E10value_typeET2_T3_PNS13_IS18_E10value_typeET4_jRbjT5_S1E_jjP12ihipStream_tbEUljE_ZNSN_ISO_Lb1ESQ_SR_ST_SU_SY_EESZ_S10_S11_S12_S16_S17_S18_S1B_S1C_jS1D_jS1E_S1E_jjS1G_bEUljE0_EEESZ_S10_S11_S18_S1C_S1E_T6_T7_T9_mT8_S1G_bDpT10_ENKUlT_T0_E_clISt17integral_constantIbLb0EES1U_EEDaS1P_S1Q_EUlS1P_E_NS1_11comp_targetILNS1_3genE0ELNS1_11target_archE4294967295ELNS1_3gpuE0ELNS1_3repE0EEENS1_30default_config_static_selectorELNS0_4arch9wavefront6targetE1EEEvS12_.num_agpr, 0
	.set _ZN7rocprim17ROCPRIM_400000_NS6detail17trampoline_kernelINS0_13select_configILj256ELj13ELNS0_17block_load_methodE3ELS4_3ELS4_3ELNS0_20block_scan_algorithmE0ELj4294967295EEENS1_25partition_config_selectorILNS1_17partition_subalgoE4EjNS0_10empty_typeEbEEZZNS1_14partition_implILS8_4ELb0ES6_15HIP_vector_typeIjLj2EENS0_17counting_iteratorIjlEEPS9_SG_NS0_5tupleIJPjSI_NS0_16reverse_iteratorISI_EEEEENSH_IJSG_SG_SG_EEES9_SI_JZNS1_25segmented_radix_sort_implINS0_14default_configELb1EPKaPaPKlPlN2at6native12_GLOBAL__N_18offset_tEEE10hipError_tPvRmT1_PNSt15iterator_traitsIS12_E10value_typeET2_T3_PNS13_IS18_E10value_typeET4_jRbjT5_S1E_jjP12ihipStream_tbEUljE_ZNSN_ISO_Lb1ESQ_SR_ST_SU_SY_EESZ_S10_S11_S12_S16_S17_S18_S1B_S1C_jS1D_jS1E_S1E_jjS1G_bEUljE0_EEESZ_S10_S11_S18_S1C_S1E_T6_T7_T9_mT8_S1G_bDpT10_ENKUlT_T0_E_clISt17integral_constantIbLb0EES1U_EEDaS1P_S1Q_EUlS1P_E_NS1_11comp_targetILNS1_3genE0ELNS1_11target_archE4294967295ELNS1_3gpuE0ELNS1_3repE0EEENS1_30default_config_static_selectorELNS0_4arch9wavefront6targetE1EEEvS12_.numbered_sgpr, 0
	.set _ZN7rocprim17ROCPRIM_400000_NS6detail17trampoline_kernelINS0_13select_configILj256ELj13ELNS0_17block_load_methodE3ELS4_3ELS4_3ELNS0_20block_scan_algorithmE0ELj4294967295EEENS1_25partition_config_selectorILNS1_17partition_subalgoE4EjNS0_10empty_typeEbEEZZNS1_14partition_implILS8_4ELb0ES6_15HIP_vector_typeIjLj2EENS0_17counting_iteratorIjlEEPS9_SG_NS0_5tupleIJPjSI_NS0_16reverse_iteratorISI_EEEEENSH_IJSG_SG_SG_EEES9_SI_JZNS1_25segmented_radix_sort_implINS0_14default_configELb1EPKaPaPKlPlN2at6native12_GLOBAL__N_18offset_tEEE10hipError_tPvRmT1_PNSt15iterator_traitsIS12_E10value_typeET2_T3_PNS13_IS18_E10value_typeET4_jRbjT5_S1E_jjP12ihipStream_tbEUljE_ZNSN_ISO_Lb1ESQ_SR_ST_SU_SY_EESZ_S10_S11_S12_S16_S17_S18_S1B_S1C_jS1D_jS1E_S1E_jjS1G_bEUljE0_EEESZ_S10_S11_S18_S1C_S1E_T6_T7_T9_mT8_S1G_bDpT10_ENKUlT_T0_E_clISt17integral_constantIbLb0EES1U_EEDaS1P_S1Q_EUlS1P_E_NS1_11comp_targetILNS1_3genE0ELNS1_11target_archE4294967295ELNS1_3gpuE0ELNS1_3repE0EEENS1_30default_config_static_selectorELNS0_4arch9wavefront6targetE1EEEvS12_.num_named_barrier, 0
	.set _ZN7rocprim17ROCPRIM_400000_NS6detail17trampoline_kernelINS0_13select_configILj256ELj13ELNS0_17block_load_methodE3ELS4_3ELS4_3ELNS0_20block_scan_algorithmE0ELj4294967295EEENS1_25partition_config_selectorILNS1_17partition_subalgoE4EjNS0_10empty_typeEbEEZZNS1_14partition_implILS8_4ELb0ES6_15HIP_vector_typeIjLj2EENS0_17counting_iteratorIjlEEPS9_SG_NS0_5tupleIJPjSI_NS0_16reverse_iteratorISI_EEEEENSH_IJSG_SG_SG_EEES9_SI_JZNS1_25segmented_radix_sort_implINS0_14default_configELb1EPKaPaPKlPlN2at6native12_GLOBAL__N_18offset_tEEE10hipError_tPvRmT1_PNSt15iterator_traitsIS12_E10value_typeET2_T3_PNS13_IS18_E10value_typeET4_jRbjT5_S1E_jjP12ihipStream_tbEUljE_ZNSN_ISO_Lb1ESQ_SR_ST_SU_SY_EESZ_S10_S11_S12_S16_S17_S18_S1B_S1C_jS1D_jS1E_S1E_jjS1G_bEUljE0_EEESZ_S10_S11_S18_S1C_S1E_T6_T7_T9_mT8_S1G_bDpT10_ENKUlT_T0_E_clISt17integral_constantIbLb0EES1U_EEDaS1P_S1Q_EUlS1P_E_NS1_11comp_targetILNS1_3genE0ELNS1_11target_archE4294967295ELNS1_3gpuE0ELNS1_3repE0EEENS1_30default_config_static_selectorELNS0_4arch9wavefront6targetE1EEEvS12_.private_seg_size, 0
	.set _ZN7rocprim17ROCPRIM_400000_NS6detail17trampoline_kernelINS0_13select_configILj256ELj13ELNS0_17block_load_methodE3ELS4_3ELS4_3ELNS0_20block_scan_algorithmE0ELj4294967295EEENS1_25partition_config_selectorILNS1_17partition_subalgoE4EjNS0_10empty_typeEbEEZZNS1_14partition_implILS8_4ELb0ES6_15HIP_vector_typeIjLj2EENS0_17counting_iteratorIjlEEPS9_SG_NS0_5tupleIJPjSI_NS0_16reverse_iteratorISI_EEEEENSH_IJSG_SG_SG_EEES9_SI_JZNS1_25segmented_radix_sort_implINS0_14default_configELb1EPKaPaPKlPlN2at6native12_GLOBAL__N_18offset_tEEE10hipError_tPvRmT1_PNSt15iterator_traitsIS12_E10value_typeET2_T3_PNS13_IS18_E10value_typeET4_jRbjT5_S1E_jjP12ihipStream_tbEUljE_ZNSN_ISO_Lb1ESQ_SR_ST_SU_SY_EESZ_S10_S11_S12_S16_S17_S18_S1B_S1C_jS1D_jS1E_S1E_jjS1G_bEUljE0_EEESZ_S10_S11_S18_S1C_S1E_T6_T7_T9_mT8_S1G_bDpT10_ENKUlT_T0_E_clISt17integral_constantIbLb0EES1U_EEDaS1P_S1Q_EUlS1P_E_NS1_11comp_targetILNS1_3genE0ELNS1_11target_archE4294967295ELNS1_3gpuE0ELNS1_3repE0EEENS1_30default_config_static_selectorELNS0_4arch9wavefront6targetE1EEEvS12_.uses_vcc, 0
	.set _ZN7rocprim17ROCPRIM_400000_NS6detail17trampoline_kernelINS0_13select_configILj256ELj13ELNS0_17block_load_methodE3ELS4_3ELS4_3ELNS0_20block_scan_algorithmE0ELj4294967295EEENS1_25partition_config_selectorILNS1_17partition_subalgoE4EjNS0_10empty_typeEbEEZZNS1_14partition_implILS8_4ELb0ES6_15HIP_vector_typeIjLj2EENS0_17counting_iteratorIjlEEPS9_SG_NS0_5tupleIJPjSI_NS0_16reverse_iteratorISI_EEEEENSH_IJSG_SG_SG_EEES9_SI_JZNS1_25segmented_radix_sort_implINS0_14default_configELb1EPKaPaPKlPlN2at6native12_GLOBAL__N_18offset_tEEE10hipError_tPvRmT1_PNSt15iterator_traitsIS12_E10value_typeET2_T3_PNS13_IS18_E10value_typeET4_jRbjT5_S1E_jjP12ihipStream_tbEUljE_ZNSN_ISO_Lb1ESQ_SR_ST_SU_SY_EESZ_S10_S11_S12_S16_S17_S18_S1B_S1C_jS1D_jS1E_S1E_jjS1G_bEUljE0_EEESZ_S10_S11_S18_S1C_S1E_T6_T7_T9_mT8_S1G_bDpT10_ENKUlT_T0_E_clISt17integral_constantIbLb0EES1U_EEDaS1P_S1Q_EUlS1P_E_NS1_11comp_targetILNS1_3genE0ELNS1_11target_archE4294967295ELNS1_3gpuE0ELNS1_3repE0EEENS1_30default_config_static_selectorELNS0_4arch9wavefront6targetE1EEEvS12_.uses_flat_scratch, 0
	.set _ZN7rocprim17ROCPRIM_400000_NS6detail17trampoline_kernelINS0_13select_configILj256ELj13ELNS0_17block_load_methodE3ELS4_3ELS4_3ELNS0_20block_scan_algorithmE0ELj4294967295EEENS1_25partition_config_selectorILNS1_17partition_subalgoE4EjNS0_10empty_typeEbEEZZNS1_14partition_implILS8_4ELb0ES6_15HIP_vector_typeIjLj2EENS0_17counting_iteratorIjlEEPS9_SG_NS0_5tupleIJPjSI_NS0_16reverse_iteratorISI_EEEEENSH_IJSG_SG_SG_EEES9_SI_JZNS1_25segmented_radix_sort_implINS0_14default_configELb1EPKaPaPKlPlN2at6native12_GLOBAL__N_18offset_tEEE10hipError_tPvRmT1_PNSt15iterator_traitsIS12_E10value_typeET2_T3_PNS13_IS18_E10value_typeET4_jRbjT5_S1E_jjP12ihipStream_tbEUljE_ZNSN_ISO_Lb1ESQ_SR_ST_SU_SY_EESZ_S10_S11_S12_S16_S17_S18_S1B_S1C_jS1D_jS1E_S1E_jjS1G_bEUljE0_EEESZ_S10_S11_S18_S1C_S1E_T6_T7_T9_mT8_S1G_bDpT10_ENKUlT_T0_E_clISt17integral_constantIbLb0EES1U_EEDaS1P_S1Q_EUlS1P_E_NS1_11comp_targetILNS1_3genE0ELNS1_11target_archE4294967295ELNS1_3gpuE0ELNS1_3repE0EEENS1_30default_config_static_selectorELNS0_4arch9wavefront6targetE1EEEvS12_.has_dyn_sized_stack, 0
	.set _ZN7rocprim17ROCPRIM_400000_NS6detail17trampoline_kernelINS0_13select_configILj256ELj13ELNS0_17block_load_methodE3ELS4_3ELS4_3ELNS0_20block_scan_algorithmE0ELj4294967295EEENS1_25partition_config_selectorILNS1_17partition_subalgoE4EjNS0_10empty_typeEbEEZZNS1_14partition_implILS8_4ELb0ES6_15HIP_vector_typeIjLj2EENS0_17counting_iteratorIjlEEPS9_SG_NS0_5tupleIJPjSI_NS0_16reverse_iteratorISI_EEEEENSH_IJSG_SG_SG_EEES9_SI_JZNS1_25segmented_radix_sort_implINS0_14default_configELb1EPKaPaPKlPlN2at6native12_GLOBAL__N_18offset_tEEE10hipError_tPvRmT1_PNSt15iterator_traitsIS12_E10value_typeET2_T3_PNS13_IS18_E10value_typeET4_jRbjT5_S1E_jjP12ihipStream_tbEUljE_ZNSN_ISO_Lb1ESQ_SR_ST_SU_SY_EESZ_S10_S11_S12_S16_S17_S18_S1B_S1C_jS1D_jS1E_S1E_jjS1G_bEUljE0_EEESZ_S10_S11_S18_S1C_S1E_T6_T7_T9_mT8_S1G_bDpT10_ENKUlT_T0_E_clISt17integral_constantIbLb0EES1U_EEDaS1P_S1Q_EUlS1P_E_NS1_11comp_targetILNS1_3genE0ELNS1_11target_archE4294967295ELNS1_3gpuE0ELNS1_3repE0EEENS1_30default_config_static_selectorELNS0_4arch9wavefront6targetE1EEEvS12_.has_recursion, 0
	.set _ZN7rocprim17ROCPRIM_400000_NS6detail17trampoline_kernelINS0_13select_configILj256ELj13ELNS0_17block_load_methodE3ELS4_3ELS4_3ELNS0_20block_scan_algorithmE0ELj4294967295EEENS1_25partition_config_selectorILNS1_17partition_subalgoE4EjNS0_10empty_typeEbEEZZNS1_14partition_implILS8_4ELb0ES6_15HIP_vector_typeIjLj2EENS0_17counting_iteratorIjlEEPS9_SG_NS0_5tupleIJPjSI_NS0_16reverse_iteratorISI_EEEEENSH_IJSG_SG_SG_EEES9_SI_JZNS1_25segmented_radix_sort_implINS0_14default_configELb1EPKaPaPKlPlN2at6native12_GLOBAL__N_18offset_tEEE10hipError_tPvRmT1_PNSt15iterator_traitsIS12_E10value_typeET2_T3_PNS13_IS18_E10value_typeET4_jRbjT5_S1E_jjP12ihipStream_tbEUljE_ZNSN_ISO_Lb1ESQ_SR_ST_SU_SY_EESZ_S10_S11_S12_S16_S17_S18_S1B_S1C_jS1D_jS1E_S1E_jjS1G_bEUljE0_EEESZ_S10_S11_S18_S1C_S1E_T6_T7_T9_mT8_S1G_bDpT10_ENKUlT_T0_E_clISt17integral_constantIbLb0EES1U_EEDaS1P_S1Q_EUlS1P_E_NS1_11comp_targetILNS1_3genE0ELNS1_11target_archE4294967295ELNS1_3gpuE0ELNS1_3repE0EEENS1_30default_config_static_selectorELNS0_4arch9wavefront6targetE1EEEvS12_.has_indirect_call, 0
	.section	.AMDGPU.csdata,"",@progbits
; Kernel info:
; codeLenInByte = 0
; TotalNumSgprs: 4
; NumVgprs: 0
; ScratchSize: 0
; MemoryBound: 0
; FloatMode: 240
; IeeeMode: 1
; LDSByteSize: 0 bytes/workgroup (compile time only)
; SGPRBlocks: 0
; VGPRBlocks: 0
; NumSGPRsForWavesPerEU: 4
; NumVGPRsForWavesPerEU: 1
; Occupancy: 10
; WaveLimiterHint : 0
; COMPUTE_PGM_RSRC2:SCRATCH_EN: 0
; COMPUTE_PGM_RSRC2:USER_SGPR: 6
; COMPUTE_PGM_RSRC2:TRAP_HANDLER: 0
; COMPUTE_PGM_RSRC2:TGID_X_EN: 1
; COMPUTE_PGM_RSRC2:TGID_Y_EN: 0
; COMPUTE_PGM_RSRC2:TGID_Z_EN: 0
; COMPUTE_PGM_RSRC2:TIDIG_COMP_CNT: 0
	.section	.text._ZN7rocprim17ROCPRIM_400000_NS6detail17trampoline_kernelINS0_13select_configILj256ELj13ELNS0_17block_load_methodE3ELS4_3ELS4_3ELNS0_20block_scan_algorithmE0ELj4294967295EEENS1_25partition_config_selectorILNS1_17partition_subalgoE4EjNS0_10empty_typeEbEEZZNS1_14partition_implILS8_4ELb0ES6_15HIP_vector_typeIjLj2EENS0_17counting_iteratorIjlEEPS9_SG_NS0_5tupleIJPjSI_NS0_16reverse_iteratorISI_EEEEENSH_IJSG_SG_SG_EEES9_SI_JZNS1_25segmented_radix_sort_implINS0_14default_configELb1EPKaPaPKlPlN2at6native12_GLOBAL__N_18offset_tEEE10hipError_tPvRmT1_PNSt15iterator_traitsIS12_E10value_typeET2_T3_PNS13_IS18_E10value_typeET4_jRbjT5_S1E_jjP12ihipStream_tbEUljE_ZNSN_ISO_Lb1ESQ_SR_ST_SU_SY_EESZ_S10_S11_S12_S16_S17_S18_S1B_S1C_jS1D_jS1E_S1E_jjS1G_bEUljE0_EEESZ_S10_S11_S18_S1C_S1E_T6_T7_T9_mT8_S1G_bDpT10_ENKUlT_T0_E_clISt17integral_constantIbLb0EES1U_EEDaS1P_S1Q_EUlS1P_E_NS1_11comp_targetILNS1_3genE5ELNS1_11target_archE942ELNS1_3gpuE9ELNS1_3repE0EEENS1_30default_config_static_selectorELNS0_4arch9wavefront6targetE1EEEvS12_,"axG",@progbits,_ZN7rocprim17ROCPRIM_400000_NS6detail17trampoline_kernelINS0_13select_configILj256ELj13ELNS0_17block_load_methodE3ELS4_3ELS4_3ELNS0_20block_scan_algorithmE0ELj4294967295EEENS1_25partition_config_selectorILNS1_17partition_subalgoE4EjNS0_10empty_typeEbEEZZNS1_14partition_implILS8_4ELb0ES6_15HIP_vector_typeIjLj2EENS0_17counting_iteratorIjlEEPS9_SG_NS0_5tupleIJPjSI_NS0_16reverse_iteratorISI_EEEEENSH_IJSG_SG_SG_EEES9_SI_JZNS1_25segmented_radix_sort_implINS0_14default_configELb1EPKaPaPKlPlN2at6native12_GLOBAL__N_18offset_tEEE10hipError_tPvRmT1_PNSt15iterator_traitsIS12_E10value_typeET2_T3_PNS13_IS18_E10value_typeET4_jRbjT5_S1E_jjP12ihipStream_tbEUljE_ZNSN_ISO_Lb1ESQ_SR_ST_SU_SY_EESZ_S10_S11_S12_S16_S17_S18_S1B_S1C_jS1D_jS1E_S1E_jjS1G_bEUljE0_EEESZ_S10_S11_S18_S1C_S1E_T6_T7_T9_mT8_S1G_bDpT10_ENKUlT_T0_E_clISt17integral_constantIbLb0EES1U_EEDaS1P_S1Q_EUlS1P_E_NS1_11comp_targetILNS1_3genE5ELNS1_11target_archE942ELNS1_3gpuE9ELNS1_3repE0EEENS1_30default_config_static_selectorELNS0_4arch9wavefront6targetE1EEEvS12_,comdat
	.globl	_ZN7rocprim17ROCPRIM_400000_NS6detail17trampoline_kernelINS0_13select_configILj256ELj13ELNS0_17block_load_methodE3ELS4_3ELS4_3ELNS0_20block_scan_algorithmE0ELj4294967295EEENS1_25partition_config_selectorILNS1_17partition_subalgoE4EjNS0_10empty_typeEbEEZZNS1_14partition_implILS8_4ELb0ES6_15HIP_vector_typeIjLj2EENS0_17counting_iteratorIjlEEPS9_SG_NS0_5tupleIJPjSI_NS0_16reverse_iteratorISI_EEEEENSH_IJSG_SG_SG_EEES9_SI_JZNS1_25segmented_radix_sort_implINS0_14default_configELb1EPKaPaPKlPlN2at6native12_GLOBAL__N_18offset_tEEE10hipError_tPvRmT1_PNSt15iterator_traitsIS12_E10value_typeET2_T3_PNS13_IS18_E10value_typeET4_jRbjT5_S1E_jjP12ihipStream_tbEUljE_ZNSN_ISO_Lb1ESQ_SR_ST_SU_SY_EESZ_S10_S11_S12_S16_S17_S18_S1B_S1C_jS1D_jS1E_S1E_jjS1G_bEUljE0_EEESZ_S10_S11_S18_S1C_S1E_T6_T7_T9_mT8_S1G_bDpT10_ENKUlT_T0_E_clISt17integral_constantIbLb0EES1U_EEDaS1P_S1Q_EUlS1P_E_NS1_11comp_targetILNS1_3genE5ELNS1_11target_archE942ELNS1_3gpuE9ELNS1_3repE0EEENS1_30default_config_static_selectorELNS0_4arch9wavefront6targetE1EEEvS12_ ; -- Begin function _ZN7rocprim17ROCPRIM_400000_NS6detail17trampoline_kernelINS0_13select_configILj256ELj13ELNS0_17block_load_methodE3ELS4_3ELS4_3ELNS0_20block_scan_algorithmE0ELj4294967295EEENS1_25partition_config_selectorILNS1_17partition_subalgoE4EjNS0_10empty_typeEbEEZZNS1_14partition_implILS8_4ELb0ES6_15HIP_vector_typeIjLj2EENS0_17counting_iteratorIjlEEPS9_SG_NS0_5tupleIJPjSI_NS0_16reverse_iteratorISI_EEEEENSH_IJSG_SG_SG_EEES9_SI_JZNS1_25segmented_radix_sort_implINS0_14default_configELb1EPKaPaPKlPlN2at6native12_GLOBAL__N_18offset_tEEE10hipError_tPvRmT1_PNSt15iterator_traitsIS12_E10value_typeET2_T3_PNS13_IS18_E10value_typeET4_jRbjT5_S1E_jjP12ihipStream_tbEUljE_ZNSN_ISO_Lb1ESQ_SR_ST_SU_SY_EESZ_S10_S11_S12_S16_S17_S18_S1B_S1C_jS1D_jS1E_S1E_jjS1G_bEUljE0_EEESZ_S10_S11_S18_S1C_S1E_T6_T7_T9_mT8_S1G_bDpT10_ENKUlT_T0_E_clISt17integral_constantIbLb0EES1U_EEDaS1P_S1Q_EUlS1P_E_NS1_11comp_targetILNS1_3genE5ELNS1_11target_archE942ELNS1_3gpuE9ELNS1_3repE0EEENS1_30default_config_static_selectorELNS0_4arch9wavefront6targetE1EEEvS12_
	.p2align	8
	.type	_ZN7rocprim17ROCPRIM_400000_NS6detail17trampoline_kernelINS0_13select_configILj256ELj13ELNS0_17block_load_methodE3ELS4_3ELS4_3ELNS0_20block_scan_algorithmE0ELj4294967295EEENS1_25partition_config_selectorILNS1_17partition_subalgoE4EjNS0_10empty_typeEbEEZZNS1_14partition_implILS8_4ELb0ES6_15HIP_vector_typeIjLj2EENS0_17counting_iteratorIjlEEPS9_SG_NS0_5tupleIJPjSI_NS0_16reverse_iteratorISI_EEEEENSH_IJSG_SG_SG_EEES9_SI_JZNS1_25segmented_radix_sort_implINS0_14default_configELb1EPKaPaPKlPlN2at6native12_GLOBAL__N_18offset_tEEE10hipError_tPvRmT1_PNSt15iterator_traitsIS12_E10value_typeET2_T3_PNS13_IS18_E10value_typeET4_jRbjT5_S1E_jjP12ihipStream_tbEUljE_ZNSN_ISO_Lb1ESQ_SR_ST_SU_SY_EESZ_S10_S11_S12_S16_S17_S18_S1B_S1C_jS1D_jS1E_S1E_jjS1G_bEUljE0_EEESZ_S10_S11_S18_S1C_S1E_T6_T7_T9_mT8_S1G_bDpT10_ENKUlT_T0_E_clISt17integral_constantIbLb0EES1U_EEDaS1P_S1Q_EUlS1P_E_NS1_11comp_targetILNS1_3genE5ELNS1_11target_archE942ELNS1_3gpuE9ELNS1_3repE0EEENS1_30default_config_static_selectorELNS0_4arch9wavefront6targetE1EEEvS12_,@function
_ZN7rocprim17ROCPRIM_400000_NS6detail17trampoline_kernelINS0_13select_configILj256ELj13ELNS0_17block_load_methodE3ELS4_3ELS4_3ELNS0_20block_scan_algorithmE0ELj4294967295EEENS1_25partition_config_selectorILNS1_17partition_subalgoE4EjNS0_10empty_typeEbEEZZNS1_14partition_implILS8_4ELb0ES6_15HIP_vector_typeIjLj2EENS0_17counting_iteratorIjlEEPS9_SG_NS0_5tupleIJPjSI_NS0_16reverse_iteratorISI_EEEEENSH_IJSG_SG_SG_EEES9_SI_JZNS1_25segmented_radix_sort_implINS0_14default_configELb1EPKaPaPKlPlN2at6native12_GLOBAL__N_18offset_tEEE10hipError_tPvRmT1_PNSt15iterator_traitsIS12_E10value_typeET2_T3_PNS13_IS18_E10value_typeET4_jRbjT5_S1E_jjP12ihipStream_tbEUljE_ZNSN_ISO_Lb1ESQ_SR_ST_SU_SY_EESZ_S10_S11_S12_S16_S17_S18_S1B_S1C_jS1D_jS1E_S1E_jjS1G_bEUljE0_EEESZ_S10_S11_S18_S1C_S1E_T6_T7_T9_mT8_S1G_bDpT10_ENKUlT_T0_E_clISt17integral_constantIbLb0EES1U_EEDaS1P_S1Q_EUlS1P_E_NS1_11comp_targetILNS1_3genE5ELNS1_11target_archE942ELNS1_3gpuE9ELNS1_3repE0EEENS1_30default_config_static_selectorELNS0_4arch9wavefront6targetE1EEEvS12_: ; @_ZN7rocprim17ROCPRIM_400000_NS6detail17trampoline_kernelINS0_13select_configILj256ELj13ELNS0_17block_load_methodE3ELS4_3ELS4_3ELNS0_20block_scan_algorithmE0ELj4294967295EEENS1_25partition_config_selectorILNS1_17partition_subalgoE4EjNS0_10empty_typeEbEEZZNS1_14partition_implILS8_4ELb0ES6_15HIP_vector_typeIjLj2EENS0_17counting_iteratorIjlEEPS9_SG_NS0_5tupleIJPjSI_NS0_16reverse_iteratorISI_EEEEENSH_IJSG_SG_SG_EEES9_SI_JZNS1_25segmented_radix_sort_implINS0_14default_configELb1EPKaPaPKlPlN2at6native12_GLOBAL__N_18offset_tEEE10hipError_tPvRmT1_PNSt15iterator_traitsIS12_E10value_typeET2_T3_PNS13_IS18_E10value_typeET4_jRbjT5_S1E_jjP12ihipStream_tbEUljE_ZNSN_ISO_Lb1ESQ_SR_ST_SU_SY_EESZ_S10_S11_S12_S16_S17_S18_S1B_S1C_jS1D_jS1E_S1E_jjS1G_bEUljE0_EEESZ_S10_S11_S18_S1C_S1E_T6_T7_T9_mT8_S1G_bDpT10_ENKUlT_T0_E_clISt17integral_constantIbLb0EES1U_EEDaS1P_S1Q_EUlS1P_E_NS1_11comp_targetILNS1_3genE5ELNS1_11target_archE942ELNS1_3gpuE9ELNS1_3repE0EEENS1_30default_config_static_selectorELNS0_4arch9wavefront6targetE1EEEvS12_
; %bb.0:
	.section	.rodata,"a",@progbits
	.p2align	6, 0x0
	.amdhsa_kernel _ZN7rocprim17ROCPRIM_400000_NS6detail17trampoline_kernelINS0_13select_configILj256ELj13ELNS0_17block_load_methodE3ELS4_3ELS4_3ELNS0_20block_scan_algorithmE0ELj4294967295EEENS1_25partition_config_selectorILNS1_17partition_subalgoE4EjNS0_10empty_typeEbEEZZNS1_14partition_implILS8_4ELb0ES6_15HIP_vector_typeIjLj2EENS0_17counting_iteratorIjlEEPS9_SG_NS0_5tupleIJPjSI_NS0_16reverse_iteratorISI_EEEEENSH_IJSG_SG_SG_EEES9_SI_JZNS1_25segmented_radix_sort_implINS0_14default_configELb1EPKaPaPKlPlN2at6native12_GLOBAL__N_18offset_tEEE10hipError_tPvRmT1_PNSt15iterator_traitsIS12_E10value_typeET2_T3_PNS13_IS18_E10value_typeET4_jRbjT5_S1E_jjP12ihipStream_tbEUljE_ZNSN_ISO_Lb1ESQ_SR_ST_SU_SY_EESZ_S10_S11_S12_S16_S17_S18_S1B_S1C_jS1D_jS1E_S1E_jjS1G_bEUljE0_EEESZ_S10_S11_S18_S1C_S1E_T6_T7_T9_mT8_S1G_bDpT10_ENKUlT_T0_E_clISt17integral_constantIbLb0EES1U_EEDaS1P_S1Q_EUlS1P_E_NS1_11comp_targetILNS1_3genE5ELNS1_11target_archE942ELNS1_3gpuE9ELNS1_3repE0EEENS1_30default_config_static_selectorELNS0_4arch9wavefront6targetE1EEEvS12_
		.amdhsa_group_segment_fixed_size 0
		.amdhsa_private_segment_fixed_size 0
		.amdhsa_kernarg_size 176
		.amdhsa_user_sgpr_count 6
		.amdhsa_user_sgpr_private_segment_buffer 1
		.amdhsa_user_sgpr_dispatch_ptr 0
		.amdhsa_user_sgpr_queue_ptr 0
		.amdhsa_user_sgpr_kernarg_segment_ptr 1
		.amdhsa_user_sgpr_dispatch_id 0
		.amdhsa_user_sgpr_flat_scratch_init 0
		.amdhsa_user_sgpr_private_segment_size 0
		.amdhsa_uses_dynamic_stack 0
		.amdhsa_system_sgpr_private_segment_wavefront_offset 0
		.amdhsa_system_sgpr_workgroup_id_x 1
		.amdhsa_system_sgpr_workgroup_id_y 0
		.amdhsa_system_sgpr_workgroup_id_z 0
		.amdhsa_system_sgpr_workgroup_info 0
		.amdhsa_system_vgpr_workitem_id 0
		.amdhsa_next_free_vgpr 1
		.amdhsa_next_free_sgpr 0
		.amdhsa_reserve_vcc 0
		.amdhsa_reserve_flat_scratch 0
		.amdhsa_float_round_mode_32 0
		.amdhsa_float_round_mode_16_64 0
		.amdhsa_float_denorm_mode_32 3
		.amdhsa_float_denorm_mode_16_64 3
		.amdhsa_dx10_clamp 1
		.amdhsa_ieee_mode 1
		.amdhsa_fp16_overflow 0
		.amdhsa_exception_fp_ieee_invalid_op 0
		.amdhsa_exception_fp_denorm_src 0
		.amdhsa_exception_fp_ieee_div_zero 0
		.amdhsa_exception_fp_ieee_overflow 0
		.amdhsa_exception_fp_ieee_underflow 0
		.amdhsa_exception_fp_ieee_inexact 0
		.amdhsa_exception_int_div_zero 0
	.end_amdhsa_kernel
	.section	.text._ZN7rocprim17ROCPRIM_400000_NS6detail17trampoline_kernelINS0_13select_configILj256ELj13ELNS0_17block_load_methodE3ELS4_3ELS4_3ELNS0_20block_scan_algorithmE0ELj4294967295EEENS1_25partition_config_selectorILNS1_17partition_subalgoE4EjNS0_10empty_typeEbEEZZNS1_14partition_implILS8_4ELb0ES6_15HIP_vector_typeIjLj2EENS0_17counting_iteratorIjlEEPS9_SG_NS0_5tupleIJPjSI_NS0_16reverse_iteratorISI_EEEEENSH_IJSG_SG_SG_EEES9_SI_JZNS1_25segmented_radix_sort_implINS0_14default_configELb1EPKaPaPKlPlN2at6native12_GLOBAL__N_18offset_tEEE10hipError_tPvRmT1_PNSt15iterator_traitsIS12_E10value_typeET2_T3_PNS13_IS18_E10value_typeET4_jRbjT5_S1E_jjP12ihipStream_tbEUljE_ZNSN_ISO_Lb1ESQ_SR_ST_SU_SY_EESZ_S10_S11_S12_S16_S17_S18_S1B_S1C_jS1D_jS1E_S1E_jjS1G_bEUljE0_EEESZ_S10_S11_S18_S1C_S1E_T6_T7_T9_mT8_S1G_bDpT10_ENKUlT_T0_E_clISt17integral_constantIbLb0EES1U_EEDaS1P_S1Q_EUlS1P_E_NS1_11comp_targetILNS1_3genE5ELNS1_11target_archE942ELNS1_3gpuE9ELNS1_3repE0EEENS1_30default_config_static_selectorELNS0_4arch9wavefront6targetE1EEEvS12_,"axG",@progbits,_ZN7rocprim17ROCPRIM_400000_NS6detail17trampoline_kernelINS0_13select_configILj256ELj13ELNS0_17block_load_methodE3ELS4_3ELS4_3ELNS0_20block_scan_algorithmE0ELj4294967295EEENS1_25partition_config_selectorILNS1_17partition_subalgoE4EjNS0_10empty_typeEbEEZZNS1_14partition_implILS8_4ELb0ES6_15HIP_vector_typeIjLj2EENS0_17counting_iteratorIjlEEPS9_SG_NS0_5tupleIJPjSI_NS0_16reverse_iteratorISI_EEEEENSH_IJSG_SG_SG_EEES9_SI_JZNS1_25segmented_radix_sort_implINS0_14default_configELb1EPKaPaPKlPlN2at6native12_GLOBAL__N_18offset_tEEE10hipError_tPvRmT1_PNSt15iterator_traitsIS12_E10value_typeET2_T3_PNS13_IS18_E10value_typeET4_jRbjT5_S1E_jjP12ihipStream_tbEUljE_ZNSN_ISO_Lb1ESQ_SR_ST_SU_SY_EESZ_S10_S11_S12_S16_S17_S18_S1B_S1C_jS1D_jS1E_S1E_jjS1G_bEUljE0_EEESZ_S10_S11_S18_S1C_S1E_T6_T7_T9_mT8_S1G_bDpT10_ENKUlT_T0_E_clISt17integral_constantIbLb0EES1U_EEDaS1P_S1Q_EUlS1P_E_NS1_11comp_targetILNS1_3genE5ELNS1_11target_archE942ELNS1_3gpuE9ELNS1_3repE0EEENS1_30default_config_static_selectorELNS0_4arch9wavefront6targetE1EEEvS12_,comdat
.Lfunc_end227:
	.size	_ZN7rocprim17ROCPRIM_400000_NS6detail17trampoline_kernelINS0_13select_configILj256ELj13ELNS0_17block_load_methodE3ELS4_3ELS4_3ELNS0_20block_scan_algorithmE0ELj4294967295EEENS1_25partition_config_selectorILNS1_17partition_subalgoE4EjNS0_10empty_typeEbEEZZNS1_14partition_implILS8_4ELb0ES6_15HIP_vector_typeIjLj2EENS0_17counting_iteratorIjlEEPS9_SG_NS0_5tupleIJPjSI_NS0_16reverse_iteratorISI_EEEEENSH_IJSG_SG_SG_EEES9_SI_JZNS1_25segmented_radix_sort_implINS0_14default_configELb1EPKaPaPKlPlN2at6native12_GLOBAL__N_18offset_tEEE10hipError_tPvRmT1_PNSt15iterator_traitsIS12_E10value_typeET2_T3_PNS13_IS18_E10value_typeET4_jRbjT5_S1E_jjP12ihipStream_tbEUljE_ZNSN_ISO_Lb1ESQ_SR_ST_SU_SY_EESZ_S10_S11_S12_S16_S17_S18_S1B_S1C_jS1D_jS1E_S1E_jjS1G_bEUljE0_EEESZ_S10_S11_S18_S1C_S1E_T6_T7_T9_mT8_S1G_bDpT10_ENKUlT_T0_E_clISt17integral_constantIbLb0EES1U_EEDaS1P_S1Q_EUlS1P_E_NS1_11comp_targetILNS1_3genE5ELNS1_11target_archE942ELNS1_3gpuE9ELNS1_3repE0EEENS1_30default_config_static_selectorELNS0_4arch9wavefront6targetE1EEEvS12_, .Lfunc_end227-_ZN7rocprim17ROCPRIM_400000_NS6detail17trampoline_kernelINS0_13select_configILj256ELj13ELNS0_17block_load_methodE3ELS4_3ELS4_3ELNS0_20block_scan_algorithmE0ELj4294967295EEENS1_25partition_config_selectorILNS1_17partition_subalgoE4EjNS0_10empty_typeEbEEZZNS1_14partition_implILS8_4ELb0ES6_15HIP_vector_typeIjLj2EENS0_17counting_iteratorIjlEEPS9_SG_NS0_5tupleIJPjSI_NS0_16reverse_iteratorISI_EEEEENSH_IJSG_SG_SG_EEES9_SI_JZNS1_25segmented_radix_sort_implINS0_14default_configELb1EPKaPaPKlPlN2at6native12_GLOBAL__N_18offset_tEEE10hipError_tPvRmT1_PNSt15iterator_traitsIS12_E10value_typeET2_T3_PNS13_IS18_E10value_typeET4_jRbjT5_S1E_jjP12ihipStream_tbEUljE_ZNSN_ISO_Lb1ESQ_SR_ST_SU_SY_EESZ_S10_S11_S12_S16_S17_S18_S1B_S1C_jS1D_jS1E_S1E_jjS1G_bEUljE0_EEESZ_S10_S11_S18_S1C_S1E_T6_T7_T9_mT8_S1G_bDpT10_ENKUlT_T0_E_clISt17integral_constantIbLb0EES1U_EEDaS1P_S1Q_EUlS1P_E_NS1_11comp_targetILNS1_3genE5ELNS1_11target_archE942ELNS1_3gpuE9ELNS1_3repE0EEENS1_30default_config_static_selectorELNS0_4arch9wavefront6targetE1EEEvS12_
                                        ; -- End function
	.set _ZN7rocprim17ROCPRIM_400000_NS6detail17trampoline_kernelINS0_13select_configILj256ELj13ELNS0_17block_load_methodE3ELS4_3ELS4_3ELNS0_20block_scan_algorithmE0ELj4294967295EEENS1_25partition_config_selectorILNS1_17partition_subalgoE4EjNS0_10empty_typeEbEEZZNS1_14partition_implILS8_4ELb0ES6_15HIP_vector_typeIjLj2EENS0_17counting_iteratorIjlEEPS9_SG_NS0_5tupleIJPjSI_NS0_16reverse_iteratorISI_EEEEENSH_IJSG_SG_SG_EEES9_SI_JZNS1_25segmented_radix_sort_implINS0_14default_configELb1EPKaPaPKlPlN2at6native12_GLOBAL__N_18offset_tEEE10hipError_tPvRmT1_PNSt15iterator_traitsIS12_E10value_typeET2_T3_PNS13_IS18_E10value_typeET4_jRbjT5_S1E_jjP12ihipStream_tbEUljE_ZNSN_ISO_Lb1ESQ_SR_ST_SU_SY_EESZ_S10_S11_S12_S16_S17_S18_S1B_S1C_jS1D_jS1E_S1E_jjS1G_bEUljE0_EEESZ_S10_S11_S18_S1C_S1E_T6_T7_T9_mT8_S1G_bDpT10_ENKUlT_T0_E_clISt17integral_constantIbLb0EES1U_EEDaS1P_S1Q_EUlS1P_E_NS1_11comp_targetILNS1_3genE5ELNS1_11target_archE942ELNS1_3gpuE9ELNS1_3repE0EEENS1_30default_config_static_selectorELNS0_4arch9wavefront6targetE1EEEvS12_.num_vgpr, 0
	.set _ZN7rocprim17ROCPRIM_400000_NS6detail17trampoline_kernelINS0_13select_configILj256ELj13ELNS0_17block_load_methodE3ELS4_3ELS4_3ELNS0_20block_scan_algorithmE0ELj4294967295EEENS1_25partition_config_selectorILNS1_17partition_subalgoE4EjNS0_10empty_typeEbEEZZNS1_14partition_implILS8_4ELb0ES6_15HIP_vector_typeIjLj2EENS0_17counting_iteratorIjlEEPS9_SG_NS0_5tupleIJPjSI_NS0_16reverse_iteratorISI_EEEEENSH_IJSG_SG_SG_EEES9_SI_JZNS1_25segmented_radix_sort_implINS0_14default_configELb1EPKaPaPKlPlN2at6native12_GLOBAL__N_18offset_tEEE10hipError_tPvRmT1_PNSt15iterator_traitsIS12_E10value_typeET2_T3_PNS13_IS18_E10value_typeET4_jRbjT5_S1E_jjP12ihipStream_tbEUljE_ZNSN_ISO_Lb1ESQ_SR_ST_SU_SY_EESZ_S10_S11_S12_S16_S17_S18_S1B_S1C_jS1D_jS1E_S1E_jjS1G_bEUljE0_EEESZ_S10_S11_S18_S1C_S1E_T6_T7_T9_mT8_S1G_bDpT10_ENKUlT_T0_E_clISt17integral_constantIbLb0EES1U_EEDaS1P_S1Q_EUlS1P_E_NS1_11comp_targetILNS1_3genE5ELNS1_11target_archE942ELNS1_3gpuE9ELNS1_3repE0EEENS1_30default_config_static_selectorELNS0_4arch9wavefront6targetE1EEEvS12_.num_agpr, 0
	.set _ZN7rocprim17ROCPRIM_400000_NS6detail17trampoline_kernelINS0_13select_configILj256ELj13ELNS0_17block_load_methodE3ELS4_3ELS4_3ELNS0_20block_scan_algorithmE0ELj4294967295EEENS1_25partition_config_selectorILNS1_17partition_subalgoE4EjNS0_10empty_typeEbEEZZNS1_14partition_implILS8_4ELb0ES6_15HIP_vector_typeIjLj2EENS0_17counting_iteratorIjlEEPS9_SG_NS0_5tupleIJPjSI_NS0_16reverse_iteratorISI_EEEEENSH_IJSG_SG_SG_EEES9_SI_JZNS1_25segmented_radix_sort_implINS0_14default_configELb1EPKaPaPKlPlN2at6native12_GLOBAL__N_18offset_tEEE10hipError_tPvRmT1_PNSt15iterator_traitsIS12_E10value_typeET2_T3_PNS13_IS18_E10value_typeET4_jRbjT5_S1E_jjP12ihipStream_tbEUljE_ZNSN_ISO_Lb1ESQ_SR_ST_SU_SY_EESZ_S10_S11_S12_S16_S17_S18_S1B_S1C_jS1D_jS1E_S1E_jjS1G_bEUljE0_EEESZ_S10_S11_S18_S1C_S1E_T6_T7_T9_mT8_S1G_bDpT10_ENKUlT_T0_E_clISt17integral_constantIbLb0EES1U_EEDaS1P_S1Q_EUlS1P_E_NS1_11comp_targetILNS1_3genE5ELNS1_11target_archE942ELNS1_3gpuE9ELNS1_3repE0EEENS1_30default_config_static_selectorELNS0_4arch9wavefront6targetE1EEEvS12_.numbered_sgpr, 0
	.set _ZN7rocprim17ROCPRIM_400000_NS6detail17trampoline_kernelINS0_13select_configILj256ELj13ELNS0_17block_load_methodE3ELS4_3ELS4_3ELNS0_20block_scan_algorithmE0ELj4294967295EEENS1_25partition_config_selectorILNS1_17partition_subalgoE4EjNS0_10empty_typeEbEEZZNS1_14partition_implILS8_4ELb0ES6_15HIP_vector_typeIjLj2EENS0_17counting_iteratorIjlEEPS9_SG_NS0_5tupleIJPjSI_NS0_16reverse_iteratorISI_EEEEENSH_IJSG_SG_SG_EEES9_SI_JZNS1_25segmented_radix_sort_implINS0_14default_configELb1EPKaPaPKlPlN2at6native12_GLOBAL__N_18offset_tEEE10hipError_tPvRmT1_PNSt15iterator_traitsIS12_E10value_typeET2_T3_PNS13_IS18_E10value_typeET4_jRbjT5_S1E_jjP12ihipStream_tbEUljE_ZNSN_ISO_Lb1ESQ_SR_ST_SU_SY_EESZ_S10_S11_S12_S16_S17_S18_S1B_S1C_jS1D_jS1E_S1E_jjS1G_bEUljE0_EEESZ_S10_S11_S18_S1C_S1E_T6_T7_T9_mT8_S1G_bDpT10_ENKUlT_T0_E_clISt17integral_constantIbLb0EES1U_EEDaS1P_S1Q_EUlS1P_E_NS1_11comp_targetILNS1_3genE5ELNS1_11target_archE942ELNS1_3gpuE9ELNS1_3repE0EEENS1_30default_config_static_selectorELNS0_4arch9wavefront6targetE1EEEvS12_.num_named_barrier, 0
	.set _ZN7rocprim17ROCPRIM_400000_NS6detail17trampoline_kernelINS0_13select_configILj256ELj13ELNS0_17block_load_methodE3ELS4_3ELS4_3ELNS0_20block_scan_algorithmE0ELj4294967295EEENS1_25partition_config_selectorILNS1_17partition_subalgoE4EjNS0_10empty_typeEbEEZZNS1_14partition_implILS8_4ELb0ES6_15HIP_vector_typeIjLj2EENS0_17counting_iteratorIjlEEPS9_SG_NS0_5tupleIJPjSI_NS0_16reverse_iteratorISI_EEEEENSH_IJSG_SG_SG_EEES9_SI_JZNS1_25segmented_radix_sort_implINS0_14default_configELb1EPKaPaPKlPlN2at6native12_GLOBAL__N_18offset_tEEE10hipError_tPvRmT1_PNSt15iterator_traitsIS12_E10value_typeET2_T3_PNS13_IS18_E10value_typeET4_jRbjT5_S1E_jjP12ihipStream_tbEUljE_ZNSN_ISO_Lb1ESQ_SR_ST_SU_SY_EESZ_S10_S11_S12_S16_S17_S18_S1B_S1C_jS1D_jS1E_S1E_jjS1G_bEUljE0_EEESZ_S10_S11_S18_S1C_S1E_T6_T7_T9_mT8_S1G_bDpT10_ENKUlT_T0_E_clISt17integral_constantIbLb0EES1U_EEDaS1P_S1Q_EUlS1P_E_NS1_11comp_targetILNS1_3genE5ELNS1_11target_archE942ELNS1_3gpuE9ELNS1_3repE0EEENS1_30default_config_static_selectorELNS0_4arch9wavefront6targetE1EEEvS12_.private_seg_size, 0
	.set _ZN7rocprim17ROCPRIM_400000_NS6detail17trampoline_kernelINS0_13select_configILj256ELj13ELNS0_17block_load_methodE3ELS4_3ELS4_3ELNS0_20block_scan_algorithmE0ELj4294967295EEENS1_25partition_config_selectorILNS1_17partition_subalgoE4EjNS0_10empty_typeEbEEZZNS1_14partition_implILS8_4ELb0ES6_15HIP_vector_typeIjLj2EENS0_17counting_iteratorIjlEEPS9_SG_NS0_5tupleIJPjSI_NS0_16reverse_iteratorISI_EEEEENSH_IJSG_SG_SG_EEES9_SI_JZNS1_25segmented_radix_sort_implINS0_14default_configELb1EPKaPaPKlPlN2at6native12_GLOBAL__N_18offset_tEEE10hipError_tPvRmT1_PNSt15iterator_traitsIS12_E10value_typeET2_T3_PNS13_IS18_E10value_typeET4_jRbjT5_S1E_jjP12ihipStream_tbEUljE_ZNSN_ISO_Lb1ESQ_SR_ST_SU_SY_EESZ_S10_S11_S12_S16_S17_S18_S1B_S1C_jS1D_jS1E_S1E_jjS1G_bEUljE0_EEESZ_S10_S11_S18_S1C_S1E_T6_T7_T9_mT8_S1G_bDpT10_ENKUlT_T0_E_clISt17integral_constantIbLb0EES1U_EEDaS1P_S1Q_EUlS1P_E_NS1_11comp_targetILNS1_3genE5ELNS1_11target_archE942ELNS1_3gpuE9ELNS1_3repE0EEENS1_30default_config_static_selectorELNS0_4arch9wavefront6targetE1EEEvS12_.uses_vcc, 0
	.set _ZN7rocprim17ROCPRIM_400000_NS6detail17trampoline_kernelINS0_13select_configILj256ELj13ELNS0_17block_load_methodE3ELS4_3ELS4_3ELNS0_20block_scan_algorithmE0ELj4294967295EEENS1_25partition_config_selectorILNS1_17partition_subalgoE4EjNS0_10empty_typeEbEEZZNS1_14partition_implILS8_4ELb0ES6_15HIP_vector_typeIjLj2EENS0_17counting_iteratorIjlEEPS9_SG_NS0_5tupleIJPjSI_NS0_16reverse_iteratorISI_EEEEENSH_IJSG_SG_SG_EEES9_SI_JZNS1_25segmented_radix_sort_implINS0_14default_configELb1EPKaPaPKlPlN2at6native12_GLOBAL__N_18offset_tEEE10hipError_tPvRmT1_PNSt15iterator_traitsIS12_E10value_typeET2_T3_PNS13_IS18_E10value_typeET4_jRbjT5_S1E_jjP12ihipStream_tbEUljE_ZNSN_ISO_Lb1ESQ_SR_ST_SU_SY_EESZ_S10_S11_S12_S16_S17_S18_S1B_S1C_jS1D_jS1E_S1E_jjS1G_bEUljE0_EEESZ_S10_S11_S18_S1C_S1E_T6_T7_T9_mT8_S1G_bDpT10_ENKUlT_T0_E_clISt17integral_constantIbLb0EES1U_EEDaS1P_S1Q_EUlS1P_E_NS1_11comp_targetILNS1_3genE5ELNS1_11target_archE942ELNS1_3gpuE9ELNS1_3repE0EEENS1_30default_config_static_selectorELNS0_4arch9wavefront6targetE1EEEvS12_.uses_flat_scratch, 0
	.set _ZN7rocprim17ROCPRIM_400000_NS6detail17trampoline_kernelINS0_13select_configILj256ELj13ELNS0_17block_load_methodE3ELS4_3ELS4_3ELNS0_20block_scan_algorithmE0ELj4294967295EEENS1_25partition_config_selectorILNS1_17partition_subalgoE4EjNS0_10empty_typeEbEEZZNS1_14partition_implILS8_4ELb0ES6_15HIP_vector_typeIjLj2EENS0_17counting_iteratorIjlEEPS9_SG_NS0_5tupleIJPjSI_NS0_16reverse_iteratorISI_EEEEENSH_IJSG_SG_SG_EEES9_SI_JZNS1_25segmented_radix_sort_implINS0_14default_configELb1EPKaPaPKlPlN2at6native12_GLOBAL__N_18offset_tEEE10hipError_tPvRmT1_PNSt15iterator_traitsIS12_E10value_typeET2_T3_PNS13_IS18_E10value_typeET4_jRbjT5_S1E_jjP12ihipStream_tbEUljE_ZNSN_ISO_Lb1ESQ_SR_ST_SU_SY_EESZ_S10_S11_S12_S16_S17_S18_S1B_S1C_jS1D_jS1E_S1E_jjS1G_bEUljE0_EEESZ_S10_S11_S18_S1C_S1E_T6_T7_T9_mT8_S1G_bDpT10_ENKUlT_T0_E_clISt17integral_constantIbLb0EES1U_EEDaS1P_S1Q_EUlS1P_E_NS1_11comp_targetILNS1_3genE5ELNS1_11target_archE942ELNS1_3gpuE9ELNS1_3repE0EEENS1_30default_config_static_selectorELNS0_4arch9wavefront6targetE1EEEvS12_.has_dyn_sized_stack, 0
	.set _ZN7rocprim17ROCPRIM_400000_NS6detail17trampoline_kernelINS0_13select_configILj256ELj13ELNS0_17block_load_methodE3ELS4_3ELS4_3ELNS0_20block_scan_algorithmE0ELj4294967295EEENS1_25partition_config_selectorILNS1_17partition_subalgoE4EjNS0_10empty_typeEbEEZZNS1_14partition_implILS8_4ELb0ES6_15HIP_vector_typeIjLj2EENS0_17counting_iteratorIjlEEPS9_SG_NS0_5tupleIJPjSI_NS0_16reverse_iteratorISI_EEEEENSH_IJSG_SG_SG_EEES9_SI_JZNS1_25segmented_radix_sort_implINS0_14default_configELb1EPKaPaPKlPlN2at6native12_GLOBAL__N_18offset_tEEE10hipError_tPvRmT1_PNSt15iterator_traitsIS12_E10value_typeET2_T3_PNS13_IS18_E10value_typeET4_jRbjT5_S1E_jjP12ihipStream_tbEUljE_ZNSN_ISO_Lb1ESQ_SR_ST_SU_SY_EESZ_S10_S11_S12_S16_S17_S18_S1B_S1C_jS1D_jS1E_S1E_jjS1G_bEUljE0_EEESZ_S10_S11_S18_S1C_S1E_T6_T7_T9_mT8_S1G_bDpT10_ENKUlT_T0_E_clISt17integral_constantIbLb0EES1U_EEDaS1P_S1Q_EUlS1P_E_NS1_11comp_targetILNS1_3genE5ELNS1_11target_archE942ELNS1_3gpuE9ELNS1_3repE0EEENS1_30default_config_static_selectorELNS0_4arch9wavefront6targetE1EEEvS12_.has_recursion, 0
	.set _ZN7rocprim17ROCPRIM_400000_NS6detail17trampoline_kernelINS0_13select_configILj256ELj13ELNS0_17block_load_methodE3ELS4_3ELS4_3ELNS0_20block_scan_algorithmE0ELj4294967295EEENS1_25partition_config_selectorILNS1_17partition_subalgoE4EjNS0_10empty_typeEbEEZZNS1_14partition_implILS8_4ELb0ES6_15HIP_vector_typeIjLj2EENS0_17counting_iteratorIjlEEPS9_SG_NS0_5tupleIJPjSI_NS0_16reverse_iteratorISI_EEEEENSH_IJSG_SG_SG_EEES9_SI_JZNS1_25segmented_radix_sort_implINS0_14default_configELb1EPKaPaPKlPlN2at6native12_GLOBAL__N_18offset_tEEE10hipError_tPvRmT1_PNSt15iterator_traitsIS12_E10value_typeET2_T3_PNS13_IS18_E10value_typeET4_jRbjT5_S1E_jjP12ihipStream_tbEUljE_ZNSN_ISO_Lb1ESQ_SR_ST_SU_SY_EESZ_S10_S11_S12_S16_S17_S18_S1B_S1C_jS1D_jS1E_S1E_jjS1G_bEUljE0_EEESZ_S10_S11_S18_S1C_S1E_T6_T7_T9_mT8_S1G_bDpT10_ENKUlT_T0_E_clISt17integral_constantIbLb0EES1U_EEDaS1P_S1Q_EUlS1P_E_NS1_11comp_targetILNS1_3genE5ELNS1_11target_archE942ELNS1_3gpuE9ELNS1_3repE0EEENS1_30default_config_static_selectorELNS0_4arch9wavefront6targetE1EEEvS12_.has_indirect_call, 0
	.section	.AMDGPU.csdata,"",@progbits
; Kernel info:
; codeLenInByte = 0
; TotalNumSgprs: 4
; NumVgprs: 0
; ScratchSize: 0
; MemoryBound: 0
; FloatMode: 240
; IeeeMode: 1
; LDSByteSize: 0 bytes/workgroup (compile time only)
; SGPRBlocks: 0
; VGPRBlocks: 0
; NumSGPRsForWavesPerEU: 4
; NumVGPRsForWavesPerEU: 1
; Occupancy: 10
; WaveLimiterHint : 0
; COMPUTE_PGM_RSRC2:SCRATCH_EN: 0
; COMPUTE_PGM_RSRC2:USER_SGPR: 6
; COMPUTE_PGM_RSRC2:TRAP_HANDLER: 0
; COMPUTE_PGM_RSRC2:TGID_X_EN: 1
; COMPUTE_PGM_RSRC2:TGID_Y_EN: 0
; COMPUTE_PGM_RSRC2:TGID_Z_EN: 0
; COMPUTE_PGM_RSRC2:TIDIG_COMP_CNT: 0
	.section	.text._ZN7rocprim17ROCPRIM_400000_NS6detail17trampoline_kernelINS0_13select_configILj256ELj13ELNS0_17block_load_methodE3ELS4_3ELS4_3ELNS0_20block_scan_algorithmE0ELj4294967295EEENS1_25partition_config_selectorILNS1_17partition_subalgoE4EjNS0_10empty_typeEbEEZZNS1_14partition_implILS8_4ELb0ES6_15HIP_vector_typeIjLj2EENS0_17counting_iteratorIjlEEPS9_SG_NS0_5tupleIJPjSI_NS0_16reverse_iteratorISI_EEEEENSH_IJSG_SG_SG_EEES9_SI_JZNS1_25segmented_radix_sort_implINS0_14default_configELb1EPKaPaPKlPlN2at6native12_GLOBAL__N_18offset_tEEE10hipError_tPvRmT1_PNSt15iterator_traitsIS12_E10value_typeET2_T3_PNS13_IS18_E10value_typeET4_jRbjT5_S1E_jjP12ihipStream_tbEUljE_ZNSN_ISO_Lb1ESQ_SR_ST_SU_SY_EESZ_S10_S11_S12_S16_S17_S18_S1B_S1C_jS1D_jS1E_S1E_jjS1G_bEUljE0_EEESZ_S10_S11_S18_S1C_S1E_T6_T7_T9_mT8_S1G_bDpT10_ENKUlT_T0_E_clISt17integral_constantIbLb0EES1U_EEDaS1P_S1Q_EUlS1P_E_NS1_11comp_targetILNS1_3genE4ELNS1_11target_archE910ELNS1_3gpuE8ELNS1_3repE0EEENS1_30default_config_static_selectorELNS0_4arch9wavefront6targetE1EEEvS12_,"axG",@progbits,_ZN7rocprim17ROCPRIM_400000_NS6detail17trampoline_kernelINS0_13select_configILj256ELj13ELNS0_17block_load_methodE3ELS4_3ELS4_3ELNS0_20block_scan_algorithmE0ELj4294967295EEENS1_25partition_config_selectorILNS1_17partition_subalgoE4EjNS0_10empty_typeEbEEZZNS1_14partition_implILS8_4ELb0ES6_15HIP_vector_typeIjLj2EENS0_17counting_iteratorIjlEEPS9_SG_NS0_5tupleIJPjSI_NS0_16reverse_iteratorISI_EEEEENSH_IJSG_SG_SG_EEES9_SI_JZNS1_25segmented_radix_sort_implINS0_14default_configELb1EPKaPaPKlPlN2at6native12_GLOBAL__N_18offset_tEEE10hipError_tPvRmT1_PNSt15iterator_traitsIS12_E10value_typeET2_T3_PNS13_IS18_E10value_typeET4_jRbjT5_S1E_jjP12ihipStream_tbEUljE_ZNSN_ISO_Lb1ESQ_SR_ST_SU_SY_EESZ_S10_S11_S12_S16_S17_S18_S1B_S1C_jS1D_jS1E_S1E_jjS1G_bEUljE0_EEESZ_S10_S11_S18_S1C_S1E_T6_T7_T9_mT8_S1G_bDpT10_ENKUlT_T0_E_clISt17integral_constantIbLb0EES1U_EEDaS1P_S1Q_EUlS1P_E_NS1_11comp_targetILNS1_3genE4ELNS1_11target_archE910ELNS1_3gpuE8ELNS1_3repE0EEENS1_30default_config_static_selectorELNS0_4arch9wavefront6targetE1EEEvS12_,comdat
	.globl	_ZN7rocprim17ROCPRIM_400000_NS6detail17trampoline_kernelINS0_13select_configILj256ELj13ELNS0_17block_load_methodE3ELS4_3ELS4_3ELNS0_20block_scan_algorithmE0ELj4294967295EEENS1_25partition_config_selectorILNS1_17partition_subalgoE4EjNS0_10empty_typeEbEEZZNS1_14partition_implILS8_4ELb0ES6_15HIP_vector_typeIjLj2EENS0_17counting_iteratorIjlEEPS9_SG_NS0_5tupleIJPjSI_NS0_16reverse_iteratorISI_EEEEENSH_IJSG_SG_SG_EEES9_SI_JZNS1_25segmented_radix_sort_implINS0_14default_configELb1EPKaPaPKlPlN2at6native12_GLOBAL__N_18offset_tEEE10hipError_tPvRmT1_PNSt15iterator_traitsIS12_E10value_typeET2_T3_PNS13_IS18_E10value_typeET4_jRbjT5_S1E_jjP12ihipStream_tbEUljE_ZNSN_ISO_Lb1ESQ_SR_ST_SU_SY_EESZ_S10_S11_S12_S16_S17_S18_S1B_S1C_jS1D_jS1E_S1E_jjS1G_bEUljE0_EEESZ_S10_S11_S18_S1C_S1E_T6_T7_T9_mT8_S1G_bDpT10_ENKUlT_T0_E_clISt17integral_constantIbLb0EES1U_EEDaS1P_S1Q_EUlS1P_E_NS1_11comp_targetILNS1_3genE4ELNS1_11target_archE910ELNS1_3gpuE8ELNS1_3repE0EEENS1_30default_config_static_selectorELNS0_4arch9wavefront6targetE1EEEvS12_ ; -- Begin function _ZN7rocprim17ROCPRIM_400000_NS6detail17trampoline_kernelINS0_13select_configILj256ELj13ELNS0_17block_load_methodE3ELS4_3ELS4_3ELNS0_20block_scan_algorithmE0ELj4294967295EEENS1_25partition_config_selectorILNS1_17partition_subalgoE4EjNS0_10empty_typeEbEEZZNS1_14partition_implILS8_4ELb0ES6_15HIP_vector_typeIjLj2EENS0_17counting_iteratorIjlEEPS9_SG_NS0_5tupleIJPjSI_NS0_16reverse_iteratorISI_EEEEENSH_IJSG_SG_SG_EEES9_SI_JZNS1_25segmented_radix_sort_implINS0_14default_configELb1EPKaPaPKlPlN2at6native12_GLOBAL__N_18offset_tEEE10hipError_tPvRmT1_PNSt15iterator_traitsIS12_E10value_typeET2_T3_PNS13_IS18_E10value_typeET4_jRbjT5_S1E_jjP12ihipStream_tbEUljE_ZNSN_ISO_Lb1ESQ_SR_ST_SU_SY_EESZ_S10_S11_S12_S16_S17_S18_S1B_S1C_jS1D_jS1E_S1E_jjS1G_bEUljE0_EEESZ_S10_S11_S18_S1C_S1E_T6_T7_T9_mT8_S1G_bDpT10_ENKUlT_T0_E_clISt17integral_constantIbLb0EES1U_EEDaS1P_S1Q_EUlS1P_E_NS1_11comp_targetILNS1_3genE4ELNS1_11target_archE910ELNS1_3gpuE8ELNS1_3repE0EEENS1_30default_config_static_selectorELNS0_4arch9wavefront6targetE1EEEvS12_
	.p2align	8
	.type	_ZN7rocprim17ROCPRIM_400000_NS6detail17trampoline_kernelINS0_13select_configILj256ELj13ELNS0_17block_load_methodE3ELS4_3ELS4_3ELNS0_20block_scan_algorithmE0ELj4294967295EEENS1_25partition_config_selectorILNS1_17partition_subalgoE4EjNS0_10empty_typeEbEEZZNS1_14partition_implILS8_4ELb0ES6_15HIP_vector_typeIjLj2EENS0_17counting_iteratorIjlEEPS9_SG_NS0_5tupleIJPjSI_NS0_16reverse_iteratorISI_EEEEENSH_IJSG_SG_SG_EEES9_SI_JZNS1_25segmented_radix_sort_implINS0_14default_configELb1EPKaPaPKlPlN2at6native12_GLOBAL__N_18offset_tEEE10hipError_tPvRmT1_PNSt15iterator_traitsIS12_E10value_typeET2_T3_PNS13_IS18_E10value_typeET4_jRbjT5_S1E_jjP12ihipStream_tbEUljE_ZNSN_ISO_Lb1ESQ_SR_ST_SU_SY_EESZ_S10_S11_S12_S16_S17_S18_S1B_S1C_jS1D_jS1E_S1E_jjS1G_bEUljE0_EEESZ_S10_S11_S18_S1C_S1E_T6_T7_T9_mT8_S1G_bDpT10_ENKUlT_T0_E_clISt17integral_constantIbLb0EES1U_EEDaS1P_S1Q_EUlS1P_E_NS1_11comp_targetILNS1_3genE4ELNS1_11target_archE910ELNS1_3gpuE8ELNS1_3repE0EEENS1_30default_config_static_selectorELNS0_4arch9wavefront6targetE1EEEvS12_,@function
_ZN7rocprim17ROCPRIM_400000_NS6detail17trampoline_kernelINS0_13select_configILj256ELj13ELNS0_17block_load_methodE3ELS4_3ELS4_3ELNS0_20block_scan_algorithmE0ELj4294967295EEENS1_25partition_config_selectorILNS1_17partition_subalgoE4EjNS0_10empty_typeEbEEZZNS1_14partition_implILS8_4ELb0ES6_15HIP_vector_typeIjLj2EENS0_17counting_iteratorIjlEEPS9_SG_NS0_5tupleIJPjSI_NS0_16reverse_iteratorISI_EEEEENSH_IJSG_SG_SG_EEES9_SI_JZNS1_25segmented_radix_sort_implINS0_14default_configELb1EPKaPaPKlPlN2at6native12_GLOBAL__N_18offset_tEEE10hipError_tPvRmT1_PNSt15iterator_traitsIS12_E10value_typeET2_T3_PNS13_IS18_E10value_typeET4_jRbjT5_S1E_jjP12ihipStream_tbEUljE_ZNSN_ISO_Lb1ESQ_SR_ST_SU_SY_EESZ_S10_S11_S12_S16_S17_S18_S1B_S1C_jS1D_jS1E_S1E_jjS1G_bEUljE0_EEESZ_S10_S11_S18_S1C_S1E_T6_T7_T9_mT8_S1G_bDpT10_ENKUlT_T0_E_clISt17integral_constantIbLb0EES1U_EEDaS1P_S1Q_EUlS1P_E_NS1_11comp_targetILNS1_3genE4ELNS1_11target_archE910ELNS1_3gpuE8ELNS1_3repE0EEENS1_30default_config_static_selectorELNS0_4arch9wavefront6targetE1EEEvS12_: ; @_ZN7rocprim17ROCPRIM_400000_NS6detail17trampoline_kernelINS0_13select_configILj256ELj13ELNS0_17block_load_methodE3ELS4_3ELS4_3ELNS0_20block_scan_algorithmE0ELj4294967295EEENS1_25partition_config_selectorILNS1_17partition_subalgoE4EjNS0_10empty_typeEbEEZZNS1_14partition_implILS8_4ELb0ES6_15HIP_vector_typeIjLj2EENS0_17counting_iteratorIjlEEPS9_SG_NS0_5tupleIJPjSI_NS0_16reverse_iteratorISI_EEEEENSH_IJSG_SG_SG_EEES9_SI_JZNS1_25segmented_radix_sort_implINS0_14default_configELb1EPKaPaPKlPlN2at6native12_GLOBAL__N_18offset_tEEE10hipError_tPvRmT1_PNSt15iterator_traitsIS12_E10value_typeET2_T3_PNS13_IS18_E10value_typeET4_jRbjT5_S1E_jjP12ihipStream_tbEUljE_ZNSN_ISO_Lb1ESQ_SR_ST_SU_SY_EESZ_S10_S11_S12_S16_S17_S18_S1B_S1C_jS1D_jS1E_S1E_jjS1G_bEUljE0_EEESZ_S10_S11_S18_S1C_S1E_T6_T7_T9_mT8_S1G_bDpT10_ENKUlT_T0_E_clISt17integral_constantIbLb0EES1U_EEDaS1P_S1Q_EUlS1P_E_NS1_11comp_targetILNS1_3genE4ELNS1_11target_archE910ELNS1_3gpuE8ELNS1_3repE0EEENS1_30default_config_static_selectorELNS0_4arch9wavefront6targetE1EEEvS12_
; %bb.0:
	.section	.rodata,"a",@progbits
	.p2align	6, 0x0
	.amdhsa_kernel _ZN7rocprim17ROCPRIM_400000_NS6detail17trampoline_kernelINS0_13select_configILj256ELj13ELNS0_17block_load_methodE3ELS4_3ELS4_3ELNS0_20block_scan_algorithmE0ELj4294967295EEENS1_25partition_config_selectorILNS1_17partition_subalgoE4EjNS0_10empty_typeEbEEZZNS1_14partition_implILS8_4ELb0ES6_15HIP_vector_typeIjLj2EENS0_17counting_iteratorIjlEEPS9_SG_NS0_5tupleIJPjSI_NS0_16reverse_iteratorISI_EEEEENSH_IJSG_SG_SG_EEES9_SI_JZNS1_25segmented_radix_sort_implINS0_14default_configELb1EPKaPaPKlPlN2at6native12_GLOBAL__N_18offset_tEEE10hipError_tPvRmT1_PNSt15iterator_traitsIS12_E10value_typeET2_T3_PNS13_IS18_E10value_typeET4_jRbjT5_S1E_jjP12ihipStream_tbEUljE_ZNSN_ISO_Lb1ESQ_SR_ST_SU_SY_EESZ_S10_S11_S12_S16_S17_S18_S1B_S1C_jS1D_jS1E_S1E_jjS1G_bEUljE0_EEESZ_S10_S11_S18_S1C_S1E_T6_T7_T9_mT8_S1G_bDpT10_ENKUlT_T0_E_clISt17integral_constantIbLb0EES1U_EEDaS1P_S1Q_EUlS1P_E_NS1_11comp_targetILNS1_3genE4ELNS1_11target_archE910ELNS1_3gpuE8ELNS1_3repE0EEENS1_30default_config_static_selectorELNS0_4arch9wavefront6targetE1EEEvS12_
		.amdhsa_group_segment_fixed_size 0
		.amdhsa_private_segment_fixed_size 0
		.amdhsa_kernarg_size 176
		.amdhsa_user_sgpr_count 6
		.amdhsa_user_sgpr_private_segment_buffer 1
		.amdhsa_user_sgpr_dispatch_ptr 0
		.amdhsa_user_sgpr_queue_ptr 0
		.amdhsa_user_sgpr_kernarg_segment_ptr 1
		.amdhsa_user_sgpr_dispatch_id 0
		.amdhsa_user_sgpr_flat_scratch_init 0
		.amdhsa_user_sgpr_private_segment_size 0
		.amdhsa_uses_dynamic_stack 0
		.amdhsa_system_sgpr_private_segment_wavefront_offset 0
		.amdhsa_system_sgpr_workgroup_id_x 1
		.amdhsa_system_sgpr_workgroup_id_y 0
		.amdhsa_system_sgpr_workgroup_id_z 0
		.amdhsa_system_sgpr_workgroup_info 0
		.amdhsa_system_vgpr_workitem_id 0
		.amdhsa_next_free_vgpr 1
		.amdhsa_next_free_sgpr 0
		.amdhsa_reserve_vcc 0
		.amdhsa_reserve_flat_scratch 0
		.amdhsa_float_round_mode_32 0
		.amdhsa_float_round_mode_16_64 0
		.amdhsa_float_denorm_mode_32 3
		.amdhsa_float_denorm_mode_16_64 3
		.amdhsa_dx10_clamp 1
		.amdhsa_ieee_mode 1
		.amdhsa_fp16_overflow 0
		.amdhsa_exception_fp_ieee_invalid_op 0
		.amdhsa_exception_fp_denorm_src 0
		.amdhsa_exception_fp_ieee_div_zero 0
		.amdhsa_exception_fp_ieee_overflow 0
		.amdhsa_exception_fp_ieee_underflow 0
		.amdhsa_exception_fp_ieee_inexact 0
		.amdhsa_exception_int_div_zero 0
	.end_amdhsa_kernel
	.section	.text._ZN7rocprim17ROCPRIM_400000_NS6detail17trampoline_kernelINS0_13select_configILj256ELj13ELNS0_17block_load_methodE3ELS4_3ELS4_3ELNS0_20block_scan_algorithmE0ELj4294967295EEENS1_25partition_config_selectorILNS1_17partition_subalgoE4EjNS0_10empty_typeEbEEZZNS1_14partition_implILS8_4ELb0ES6_15HIP_vector_typeIjLj2EENS0_17counting_iteratorIjlEEPS9_SG_NS0_5tupleIJPjSI_NS0_16reverse_iteratorISI_EEEEENSH_IJSG_SG_SG_EEES9_SI_JZNS1_25segmented_radix_sort_implINS0_14default_configELb1EPKaPaPKlPlN2at6native12_GLOBAL__N_18offset_tEEE10hipError_tPvRmT1_PNSt15iterator_traitsIS12_E10value_typeET2_T3_PNS13_IS18_E10value_typeET4_jRbjT5_S1E_jjP12ihipStream_tbEUljE_ZNSN_ISO_Lb1ESQ_SR_ST_SU_SY_EESZ_S10_S11_S12_S16_S17_S18_S1B_S1C_jS1D_jS1E_S1E_jjS1G_bEUljE0_EEESZ_S10_S11_S18_S1C_S1E_T6_T7_T9_mT8_S1G_bDpT10_ENKUlT_T0_E_clISt17integral_constantIbLb0EES1U_EEDaS1P_S1Q_EUlS1P_E_NS1_11comp_targetILNS1_3genE4ELNS1_11target_archE910ELNS1_3gpuE8ELNS1_3repE0EEENS1_30default_config_static_selectorELNS0_4arch9wavefront6targetE1EEEvS12_,"axG",@progbits,_ZN7rocprim17ROCPRIM_400000_NS6detail17trampoline_kernelINS0_13select_configILj256ELj13ELNS0_17block_load_methodE3ELS4_3ELS4_3ELNS0_20block_scan_algorithmE0ELj4294967295EEENS1_25partition_config_selectorILNS1_17partition_subalgoE4EjNS0_10empty_typeEbEEZZNS1_14partition_implILS8_4ELb0ES6_15HIP_vector_typeIjLj2EENS0_17counting_iteratorIjlEEPS9_SG_NS0_5tupleIJPjSI_NS0_16reverse_iteratorISI_EEEEENSH_IJSG_SG_SG_EEES9_SI_JZNS1_25segmented_radix_sort_implINS0_14default_configELb1EPKaPaPKlPlN2at6native12_GLOBAL__N_18offset_tEEE10hipError_tPvRmT1_PNSt15iterator_traitsIS12_E10value_typeET2_T3_PNS13_IS18_E10value_typeET4_jRbjT5_S1E_jjP12ihipStream_tbEUljE_ZNSN_ISO_Lb1ESQ_SR_ST_SU_SY_EESZ_S10_S11_S12_S16_S17_S18_S1B_S1C_jS1D_jS1E_S1E_jjS1G_bEUljE0_EEESZ_S10_S11_S18_S1C_S1E_T6_T7_T9_mT8_S1G_bDpT10_ENKUlT_T0_E_clISt17integral_constantIbLb0EES1U_EEDaS1P_S1Q_EUlS1P_E_NS1_11comp_targetILNS1_3genE4ELNS1_11target_archE910ELNS1_3gpuE8ELNS1_3repE0EEENS1_30default_config_static_selectorELNS0_4arch9wavefront6targetE1EEEvS12_,comdat
.Lfunc_end228:
	.size	_ZN7rocprim17ROCPRIM_400000_NS6detail17trampoline_kernelINS0_13select_configILj256ELj13ELNS0_17block_load_methodE3ELS4_3ELS4_3ELNS0_20block_scan_algorithmE0ELj4294967295EEENS1_25partition_config_selectorILNS1_17partition_subalgoE4EjNS0_10empty_typeEbEEZZNS1_14partition_implILS8_4ELb0ES6_15HIP_vector_typeIjLj2EENS0_17counting_iteratorIjlEEPS9_SG_NS0_5tupleIJPjSI_NS0_16reverse_iteratorISI_EEEEENSH_IJSG_SG_SG_EEES9_SI_JZNS1_25segmented_radix_sort_implINS0_14default_configELb1EPKaPaPKlPlN2at6native12_GLOBAL__N_18offset_tEEE10hipError_tPvRmT1_PNSt15iterator_traitsIS12_E10value_typeET2_T3_PNS13_IS18_E10value_typeET4_jRbjT5_S1E_jjP12ihipStream_tbEUljE_ZNSN_ISO_Lb1ESQ_SR_ST_SU_SY_EESZ_S10_S11_S12_S16_S17_S18_S1B_S1C_jS1D_jS1E_S1E_jjS1G_bEUljE0_EEESZ_S10_S11_S18_S1C_S1E_T6_T7_T9_mT8_S1G_bDpT10_ENKUlT_T0_E_clISt17integral_constantIbLb0EES1U_EEDaS1P_S1Q_EUlS1P_E_NS1_11comp_targetILNS1_3genE4ELNS1_11target_archE910ELNS1_3gpuE8ELNS1_3repE0EEENS1_30default_config_static_selectorELNS0_4arch9wavefront6targetE1EEEvS12_, .Lfunc_end228-_ZN7rocprim17ROCPRIM_400000_NS6detail17trampoline_kernelINS0_13select_configILj256ELj13ELNS0_17block_load_methodE3ELS4_3ELS4_3ELNS0_20block_scan_algorithmE0ELj4294967295EEENS1_25partition_config_selectorILNS1_17partition_subalgoE4EjNS0_10empty_typeEbEEZZNS1_14partition_implILS8_4ELb0ES6_15HIP_vector_typeIjLj2EENS0_17counting_iteratorIjlEEPS9_SG_NS0_5tupleIJPjSI_NS0_16reverse_iteratorISI_EEEEENSH_IJSG_SG_SG_EEES9_SI_JZNS1_25segmented_radix_sort_implINS0_14default_configELb1EPKaPaPKlPlN2at6native12_GLOBAL__N_18offset_tEEE10hipError_tPvRmT1_PNSt15iterator_traitsIS12_E10value_typeET2_T3_PNS13_IS18_E10value_typeET4_jRbjT5_S1E_jjP12ihipStream_tbEUljE_ZNSN_ISO_Lb1ESQ_SR_ST_SU_SY_EESZ_S10_S11_S12_S16_S17_S18_S1B_S1C_jS1D_jS1E_S1E_jjS1G_bEUljE0_EEESZ_S10_S11_S18_S1C_S1E_T6_T7_T9_mT8_S1G_bDpT10_ENKUlT_T0_E_clISt17integral_constantIbLb0EES1U_EEDaS1P_S1Q_EUlS1P_E_NS1_11comp_targetILNS1_3genE4ELNS1_11target_archE910ELNS1_3gpuE8ELNS1_3repE0EEENS1_30default_config_static_selectorELNS0_4arch9wavefront6targetE1EEEvS12_
                                        ; -- End function
	.set _ZN7rocprim17ROCPRIM_400000_NS6detail17trampoline_kernelINS0_13select_configILj256ELj13ELNS0_17block_load_methodE3ELS4_3ELS4_3ELNS0_20block_scan_algorithmE0ELj4294967295EEENS1_25partition_config_selectorILNS1_17partition_subalgoE4EjNS0_10empty_typeEbEEZZNS1_14partition_implILS8_4ELb0ES6_15HIP_vector_typeIjLj2EENS0_17counting_iteratorIjlEEPS9_SG_NS0_5tupleIJPjSI_NS0_16reverse_iteratorISI_EEEEENSH_IJSG_SG_SG_EEES9_SI_JZNS1_25segmented_radix_sort_implINS0_14default_configELb1EPKaPaPKlPlN2at6native12_GLOBAL__N_18offset_tEEE10hipError_tPvRmT1_PNSt15iterator_traitsIS12_E10value_typeET2_T3_PNS13_IS18_E10value_typeET4_jRbjT5_S1E_jjP12ihipStream_tbEUljE_ZNSN_ISO_Lb1ESQ_SR_ST_SU_SY_EESZ_S10_S11_S12_S16_S17_S18_S1B_S1C_jS1D_jS1E_S1E_jjS1G_bEUljE0_EEESZ_S10_S11_S18_S1C_S1E_T6_T7_T9_mT8_S1G_bDpT10_ENKUlT_T0_E_clISt17integral_constantIbLb0EES1U_EEDaS1P_S1Q_EUlS1P_E_NS1_11comp_targetILNS1_3genE4ELNS1_11target_archE910ELNS1_3gpuE8ELNS1_3repE0EEENS1_30default_config_static_selectorELNS0_4arch9wavefront6targetE1EEEvS12_.num_vgpr, 0
	.set _ZN7rocprim17ROCPRIM_400000_NS6detail17trampoline_kernelINS0_13select_configILj256ELj13ELNS0_17block_load_methodE3ELS4_3ELS4_3ELNS0_20block_scan_algorithmE0ELj4294967295EEENS1_25partition_config_selectorILNS1_17partition_subalgoE4EjNS0_10empty_typeEbEEZZNS1_14partition_implILS8_4ELb0ES6_15HIP_vector_typeIjLj2EENS0_17counting_iteratorIjlEEPS9_SG_NS0_5tupleIJPjSI_NS0_16reverse_iteratorISI_EEEEENSH_IJSG_SG_SG_EEES9_SI_JZNS1_25segmented_radix_sort_implINS0_14default_configELb1EPKaPaPKlPlN2at6native12_GLOBAL__N_18offset_tEEE10hipError_tPvRmT1_PNSt15iterator_traitsIS12_E10value_typeET2_T3_PNS13_IS18_E10value_typeET4_jRbjT5_S1E_jjP12ihipStream_tbEUljE_ZNSN_ISO_Lb1ESQ_SR_ST_SU_SY_EESZ_S10_S11_S12_S16_S17_S18_S1B_S1C_jS1D_jS1E_S1E_jjS1G_bEUljE0_EEESZ_S10_S11_S18_S1C_S1E_T6_T7_T9_mT8_S1G_bDpT10_ENKUlT_T0_E_clISt17integral_constantIbLb0EES1U_EEDaS1P_S1Q_EUlS1P_E_NS1_11comp_targetILNS1_3genE4ELNS1_11target_archE910ELNS1_3gpuE8ELNS1_3repE0EEENS1_30default_config_static_selectorELNS0_4arch9wavefront6targetE1EEEvS12_.num_agpr, 0
	.set _ZN7rocprim17ROCPRIM_400000_NS6detail17trampoline_kernelINS0_13select_configILj256ELj13ELNS0_17block_load_methodE3ELS4_3ELS4_3ELNS0_20block_scan_algorithmE0ELj4294967295EEENS1_25partition_config_selectorILNS1_17partition_subalgoE4EjNS0_10empty_typeEbEEZZNS1_14partition_implILS8_4ELb0ES6_15HIP_vector_typeIjLj2EENS0_17counting_iteratorIjlEEPS9_SG_NS0_5tupleIJPjSI_NS0_16reverse_iteratorISI_EEEEENSH_IJSG_SG_SG_EEES9_SI_JZNS1_25segmented_radix_sort_implINS0_14default_configELb1EPKaPaPKlPlN2at6native12_GLOBAL__N_18offset_tEEE10hipError_tPvRmT1_PNSt15iterator_traitsIS12_E10value_typeET2_T3_PNS13_IS18_E10value_typeET4_jRbjT5_S1E_jjP12ihipStream_tbEUljE_ZNSN_ISO_Lb1ESQ_SR_ST_SU_SY_EESZ_S10_S11_S12_S16_S17_S18_S1B_S1C_jS1D_jS1E_S1E_jjS1G_bEUljE0_EEESZ_S10_S11_S18_S1C_S1E_T6_T7_T9_mT8_S1G_bDpT10_ENKUlT_T0_E_clISt17integral_constantIbLb0EES1U_EEDaS1P_S1Q_EUlS1P_E_NS1_11comp_targetILNS1_3genE4ELNS1_11target_archE910ELNS1_3gpuE8ELNS1_3repE0EEENS1_30default_config_static_selectorELNS0_4arch9wavefront6targetE1EEEvS12_.numbered_sgpr, 0
	.set _ZN7rocprim17ROCPRIM_400000_NS6detail17trampoline_kernelINS0_13select_configILj256ELj13ELNS0_17block_load_methodE3ELS4_3ELS4_3ELNS0_20block_scan_algorithmE0ELj4294967295EEENS1_25partition_config_selectorILNS1_17partition_subalgoE4EjNS0_10empty_typeEbEEZZNS1_14partition_implILS8_4ELb0ES6_15HIP_vector_typeIjLj2EENS0_17counting_iteratorIjlEEPS9_SG_NS0_5tupleIJPjSI_NS0_16reverse_iteratorISI_EEEEENSH_IJSG_SG_SG_EEES9_SI_JZNS1_25segmented_radix_sort_implINS0_14default_configELb1EPKaPaPKlPlN2at6native12_GLOBAL__N_18offset_tEEE10hipError_tPvRmT1_PNSt15iterator_traitsIS12_E10value_typeET2_T3_PNS13_IS18_E10value_typeET4_jRbjT5_S1E_jjP12ihipStream_tbEUljE_ZNSN_ISO_Lb1ESQ_SR_ST_SU_SY_EESZ_S10_S11_S12_S16_S17_S18_S1B_S1C_jS1D_jS1E_S1E_jjS1G_bEUljE0_EEESZ_S10_S11_S18_S1C_S1E_T6_T7_T9_mT8_S1G_bDpT10_ENKUlT_T0_E_clISt17integral_constantIbLb0EES1U_EEDaS1P_S1Q_EUlS1P_E_NS1_11comp_targetILNS1_3genE4ELNS1_11target_archE910ELNS1_3gpuE8ELNS1_3repE0EEENS1_30default_config_static_selectorELNS0_4arch9wavefront6targetE1EEEvS12_.num_named_barrier, 0
	.set _ZN7rocprim17ROCPRIM_400000_NS6detail17trampoline_kernelINS0_13select_configILj256ELj13ELNS0_17block_load_methodE3ELS4_3ELS4_3ELNS0_20block_scan_algorithmE0ELj4294967295EEENS1_25partition_config_selectorILNS1_17partition_subalgoE4EjNS0_10empty_typeEbEEZZNS1_14partition_implILS8_4ELb0ES6_15HIP_vector_typeIjLj2EENS0_17counting_iteratorIjlEEPS9_SG_NS0_5tupleIJPjSI_NS0_16reverse_iteratorISI_EEEEENSH_IJSG_SG_SG_EEES9_SI_JZNS1_25segmented_radix_sort_implINS0_14default_configELb1EPKaPaPKlPlN2at6native12_GLOBAL__N_18offset_tEEE10hipError_tPvRmT1_PNSt15iterator_traitsIS12_E10value_typeET2_T3_PNS13_IS18_E10value_typeET4_jRbjT5_S1E_jjP12ihipStream_tbEUljE_ZNSN_ISO_Lb1ESQ_SR_ST_SU_SY_EESZ_S10_S11_S12_S16_S17_S18_S1B_S1C_jS1D_jS1E_S1E_jjS1G_bEUljE0_EEESZ_S10_S11_S18_S1C_S1E_T6_T7_T9_mT8_S1G_bDpT10_ENKUlT_T0_E_clISt17integral_constantIbLb0EES1U_EEDaS1P_S1Q_EUlS1P_E_NS1_11comp_targetILNS1_3genE4ELNS1_11target_archE910ELNS1_3gpuE8ELNS1_3repE0EEENS1_30default_config_static_selectorELNS0_4arch9wavefront6targetE1EEEvS12_.private_seg_size, 0
	.set _ZN7rocprim17ROCPRIM_400000_NS6detail17trampoline_kernelINS0_13select_configILj256ELj13ELNS0_17block_load_methodE3ELS4_3ELS4_3ELNS0_20block_scan_algorithmE0ELj4294967295EEENS1_25partition_config_selectorILNS1_17partition_subalgoE4EjNS0_10empty_typeEbEEZZNS1_14partition_implILS8_4ELb0ES6_15HIP_vector_typeIjLj2EENS0_17counting_iteratorIjlEEPS9_SG_NS0_5tupleIJPjSI_NS0_16reverse_iteratorISI_EEEEENSH_IJSG_SG_SG_EEES9_SI_JZNS1_25segmented_radix_sort_implINS0_14default_configELb1EPKaPaPKlPlN2at6native12_GLOBAL__N_18offset_tEEE10hipError_tPvRmT1_PNSt15iterator_traitsIS12_E10value_typeET2_T3_PNS13_IS18_E10value_typeET4_jRbjT5_S1E_jjP12ihipStream_tbEUljE_ZNSN_ISO_Lb1ESQ_SR_ST_SU_SY_EESZ_S10_S11_S12_S16_S17_S18_S1B_S1C_jS1D_jS1E_S1E_jjS1G_bEUljE0_EEESZ_S10_S11_S18_S1C_S1E_T6_T7_T9_mT8_S1G_bDpT10_ENKUlT_T0_E_clISt17integral_constantIbLb0EES1U_EEDaS1P_S1Q_EUlS1P_E_NS1_11comp_targetILNS1_3genE4ELNS1_11target_archE910ELNS1_3gpuE8ELNS1_3repE0EEENS1_30default_config_static_selectorELNS0_4arch9wavefront6targetE1EEEvS12_.uses_vcc, 0
	.set _ZN7rocprim17ROCPRIM_400000_NS6detail17trampoline_kernelINS0_13select_configILj256ELj13ELNS0_17block_load_methodE3ELS4_3ELS4_3ELNS0_20block_scan_algorithmE0ELj4294967295EEENS1_25partition_config_selectorILNS1_17partition_subalgoE4EjNS0_10empty_typeEbEEZZNS1_14partition_implILS8_4ELb0ES6_15HIP_vector_typeIjLj2EENS0_17counting_iteratorIjlEEPS9_SG_NS0_5tupleIJPjSI_NS0_16reverse_iteratorISI_EEEEENSH_IJSG_SG_SG_EEES9_SI_JZNS1_25segmented_radix_sort_implINS0_14default_configELb1EPKaPaPKlPlN2at6native12_GLOBAL__N_18offset_tEEE10hipError_tPvRmT1_PNSt15iterator_traitsIS12_E10value_typeET2_T3_PNS13_IS18_E10value_typeET4_jRbjT5_S1E_jjP12ihipStream_tbEUljE_ZNSN_ISO_Lb1ESQ_SR_ST_SU_SY_EESZ_S10_S11_S12_S16_S17_S18_S1B_S1C_jS1D_jS1E_S1E_jjS1G_bEUljE0_EEESZ_S10_S11_S18_S1C_S1E_T6_T7_T9_mT8_S1G_bDpT10_ENKUlT_T0_E_clISt17integral_constantIbLb0EES1U_EEDaS1P_S1Q_EUlS1P_E_NS1_11comp_targetILNS1_3genE4ELNS1_11target_archE910ELNS1_3gpuE8ELNS1_3repE0EEENS1_30default_config_static_selectorELNS0_4arch9wavefront6targetE1EEEvS12_.uses_flat_scratch, 0
	.set _ZN7rocprim17ROCPRIM_400000_NS6detail17trampoline_kernelINS0_13select_configILj256ELj13ELNS0_17block_load_methodE3ELS4_3ELS4_3ELNS0_20block_scan_algorithmE0ELj4294967295EEENS1_25partition_config_selectorILNS1_17partition_subalgoE4EjNS0_10empty_typeEbEEZZNS1_14partition_implILS8_4ELb0ES6_15HIP_vector_typeIjLj2EENS0_17counting_iteratorIjlEEPS9_SG_NS0_5tupleIJPjSI_NS0_16reverse_iteratorISI_EEEEENSH_IJSG_SG_SG_EEES9_SI_JZNS1_25segmented_radix_sort_implINS0_14default_configELb1EPKaPaPKlPlN2at6native12_GLOBAL__N_18offset_tEEE10hipError_tPvRmT1_PNSt15iterator_traitsIS12_E10value_typeET2_T3_PNS13_IS18_E10value_typeET4_jRbjT5_S1E_jjP12ihipStream_tbEUljE_ZNSN_ISO_Lb1ESQ_SR_ST_SU_SY_EESZ_S10_S11_S12_S16_S17_S18_S1B_S1C_jS1D_jS1E_S1E_jjS1G_bEUljE0_EEESZ_S10_S11_S18_S1C_S1E_T6_T7_T9_mT8_S1G_bDpT10_ENKUlT_T0_E_clISt17integral_constantIbLb0EES1U_EEDaS1P_S1Q_EUlS1P_E_NS1_11comp_targetILNS1_3genE4ELNS1_11target_archE910ELNS1_3gpuE8ELNS1_3repE0EEENS1_30default_config_static_selectorELNS0_4arch9wavefront6targetE1EEEvS12_.has_dyn_sized_stack, 0
	.set _ZN7rocprim17ROCPRIM_400000_NS6detail17trampoline_kernelINS0_13select_configILj256ELj13ELNS0_17block_load_methodE3ELS4_3ELS4_3ELNS0_20block_scan_algorithmE0ELj4294967295EEENS1_25partition_config_selectorILNS1_17partition_subalgoE4EjNS0_10empty_typeEbEEZZNS1_14partition_implILS8_4ELb0ES6_15HIP_vector_typeIjLj2EENS0_17counting_iteratorIjlEEPS9_SG_NS0_5tupleIJPjSI_NS0_16reverse_iteratorISI_EEEEENSH_IJSG_SG_SG_EEES9_SI_JZNS1_25segmented_radix_sort_implINS0_14default_configELb1EPKaPaPKlPlN2at6native12_GLOBAL__N_18offset_tEEE10hipError_tPvRmT1_PNSt15iterator_traitsIS12_E10value_typeET2_T3_PNS13_IS18_E10value_typeET4_jRbjT5_S1E_jjP12ihipStream_tbEUljE_ZNSN_ISO_Lb1ESQ_SR_ST_SU_SY_EESZ_S10_S11_S12_S16_S17_S18_S1B_S1C_jS1D_jS1E_S1E_jjS1G_bEUljE0_EEESZ_S10_S11_S18_S1C_S1E_T6_T7_T9_mT8_S1G_bDpT10_ENKUlT_T0_E_clISt17integral_constantIbLb0EES1U_EEDaS1P_S1Q_EUlS1P_E_NS1_11comp_targetILNS1_3genE4ELNS1_11target_archE910ELNS1_3gpuE8ELNS1_3repE0EEENS1_30default_config_static_selectorELNS0_4arch9wavefront6targetE1EEEvS12_.has_recursion, 0
	.set _ZN7rocprim17ROCPRIM_400000_NS6detail17trampoline_kernelINS0_13select_configILj256ELj13ELNS0_17block_load_methodE3ELS4_3ELS4_3ELNS0_20block_scan_algorithmE0ELj4294967295EEENS1_25partition_config_selectorILNS1_17partition_subalgoE4EjNS0_10empty_typeEbEEZZNS1_14partition_implILS8_4ELb0ES6_15HIP_vector_typeIjLj2EENS0_17counting_iteratorIjlEEPS9_SG_NS0_5tupleIJPjSI_NS0_16reverse_iteratorISI_EEEEENSH_IJSG_SG_SG_EEES9_SI_JZNS1_25segmented_radix_sort_implINS0_14default_configELb1EPKaPaPKlPlN2at6native12_GLOBAL__N_18offset_tEEE10hipError_tPvRmT1_PNSt15iterator_traitsIS12_E10value_typeET2_T3_PNS13_IS18_E10value_typeET4_jRbjT5_S1E_jjP12ihipStream_tbEUljE_ZNSN_ISO_Lb1ESQ_SR_ST_SU_SY_EESZ_S10_S11_S12_S16_S17_S18_S1B_S1C_jS1D_jS1E_S1E_jjS1G_bEUljE0_EEESZ_S10_S11_S18_S1C_S1E_T6_T7_T9_mT8_S1G_bDpT10_ENKUlT_T0_E_clISt17integral_constantIbLb0EES1U_EEDaS1P_S1Q_EUlS1P_E_NS1_11comp_targetILNS1_3genE4ELNS1_11target_archE910ELNS1_3gpuE8ELNS1_3repE0EEENS1_30default_config_static_selectorELNS0_4arch9wavefront6targetE1EEEvS12_.has_indirect_call, 0
	.section	.AMDGPU.csdata,"",@progbits
; Kernel info:
; codeLenInByte = 0
; TotalNumSgprs: 4
; NumVgprs: 0
; ScratchSize: 0
; MemoryBound: 0
; FloatMode: 240
; IeeeMode: 1
; LDSByteSize: 0 bytes/workgroup (compile time only)
; SGPRBlocks: 0
; VGPRBlocks: 0
; NumSGPRsForWavesPerEU: 4
; NumVGPRsForWavesPerEU: 1
; Occupancy: 10
; WaveLimiterHint : 0
; COMPUTE_PGM_RSRC2:SCRATCH_EN: 0
; COMPUTE_PGM_RSRC2:USER_SGPR: 6
; COMPUTE_PGM_RSRC2:TRAP_HANDLER: 0
; COMPUTE_PGM_RSRC2:TGID_X_EN: 1
; COMPUTE_PGM_RSRC2:TGID_Y_EN: 0
; COMPUTE_PGM_RSRC2:TGID_Z_EN: 0
; COMPUTE_PGM_RSRC2:TIDIG_COMP_CNT: 0
	.section	.text._ZN7rocprim17ROCPRIM_400000_NS6detail17trampoline_kernelINS0_13select_configILj256ELj13ELNS0_17block_load_methodE3ELS4_3ELS4_3ELNS0_20block_scan_algorithmE0ELj4294967295EEENS1_25partition_config_selectorILNS1_17partition_subalgoE4EjNS0_10empty_typeEbEEZZNS1_14partition_implILS8_4ELb0ES6_15HIP_vector_typeIjLj2EENS0_17counting_iteratorIjlEEPS9_SG_NS0_5tupleIJPjSI_NS0_16reverse_iteratorISI_EEEEENSH_IJSG_SG_SG_EEES9_SI_JZNS1_25segmented_radix_sort_implINS0_14default_configELb1EPKaPaPKlPlN2at6native12_GLOBAL__N_18offset_tEEE10hipError_tPvRmT1_PNSt15iterator_traitsIS12_E10value_typeET2_T3_PNS13_IS18_E10value_typeET4_jRbjT5_S1E_jjP12ihipStream_tbEUljE_ZNSN_ISO_Lb1ESQ_SR_ST_SU_SY_EESZ_S10_S11_S12_S16_S17_S18_S1B_S1C_jS1D_jS1E_S1E_jjS1G_bEUljE0_EEESZ_S10_S11_S18_S1C_S1E_T6_T7_T9_mT8_S1G_bDpT10_ENKUlT_T0_E_clISt17integral_constantIbLb0EES1U_EEDaS1P_S1Q_EUlS1P_E_NS1_11comp_targetILNS1_3genE3ELNS1_11target_archE908ELNS1_3gpuE7ELNS1_3repE0EEENS1_30default_config_static_selectorELNS0_4arch9wavefront6targetE1EEEvS12_,"axG",@progbits,_ZN7rocprim17ROCPRIM_400000_NS6detail17trampoline_kernelINS0_13select_configILj256ELj13ELNS0_17block_load_methodE3ELS4_3ELS4_3ELNS0_20block_scan_algorithmE0ELj4294967295EEENS1_25partition_config_selectorILNS1_17partition_subalgoE4EjNS0_10empty_typeEbEEZZNS1_14partition_implILS8_4ELb0ES6_15HIP_vector_typeIjLj2EENS0_17counting_iteratorIjlEEPS9_SG_NS0_5tupleIJPjSI_NS0_16reverse_iteratorISI_EEEEENSH_IJSG_SG_SG_EEES9_SI_JZNS1_25segmented_radix_sort_implINS0_14default_configELb1EPKaPaPKlPlN2at6native12_GLOBAL__N_18offset_tEEE10hipError_tPvRmT1_PNSt15iterator_traitsIS12_E10value_typeET2_T3_PNS13_IS18_E10value_typeET4_jRbjT5_S1E_jjP12ihipStream_tbEUljE_ZNSN_ISO_Lb1ESQ_SR_ST_SU_SY_EESZ_S10_S11_S12_S16_S17_S18_S1B_S1C_jS1D_jS1E_S1E_jjS1G_bEUljE0_EEESZ_S10_S11_S18_S1C_S1E_T6_T7_T9_mT8_S1G_bDpT10_ENKUlT_T0_E_clISt17integral_constantIbLb0EES1U_EEDaS1P_S1Q_EUlS1P_E_NS1_11comp_targetILNS1_3genE3ELNS1_11target_archE908ELNS1_3gpuE7ELNS1_3repE0EEENS1_30default_config_static_selectorELNS0_4arch9wavefront6targetE1EEEvS12_,comdat
	.globl	_ZN7rocprim17ROCPRIM_400000_NS6detail17trampoline_kernelINS0_13select_configILj256ELj13ELNS0_17block_load_methodE3ELS4_3ELS4_3ELNS0_20block_scan_algorithmE0ELj4294967295EEENS1_25partition_config_selectorILNS1_17partition_subalgoE4EjNS0_10empty_typeEbEEZZNS1_14partition_implILS8_4ELb0ES6_15HIP_vector_typeIjLj2EENS0_17counting_iteratorIjlEEPS9_SG_NS0_5tupleIJPjSI_NS0_16reverse_iteratorISI_EEEEENSH_IJSG_SG_SG_EEES9_SI_JZNS1_25segmented_radix_sort_implINS0_14default_configELb1EPKaPaPKlPlN2at6native12_GLOBAL__N_18offset_tEEE10hipError_tPvRmT1_PNSt15iterator_traitsIS12_E10value_typeET2_T3_PNS13_IS18_E10value_typeET4_jRbjT5_S1E_jjP12ihipStream_tbEUljE_ZNSN_ISO_Lb1ESQ_SR_ST_SU_SY_EESZ_S10_S11_S12_S16_S17_S18_S1B_S1C_jS1D_jS1E_S1E_jjS1G_bEUljE0_EEESZ_S10_S11_S18_S1C_S1E_T6_T7_T9_mT8_S1G_bDpT10_ENKUlT_T0_E_clISt17integral_constantIbLb0EES1U_EEDaS1P_S1Q_EUlS1P_E_NS1_11comp_targetILNS1_3genE3ELNS1_11target_archE908ELNS1_3gpuE7ELNS1_3repE0EEENS1_30default_config_static_selectorELNS0_4arch9wavefront6targetE1EEEvS12_ ; -- Begin function _ZN7rocprim17ROCPRIM_400000_NS6detail17trampoline_kernelINS0_13select_configILj256ELj13ELNS0_17block_load_methodE3ELS4_3ELS4_3ELNS0_20block_scan_algorithmE0ELj4294967295EEENS1_25partition_config_selectorILNS1_17partition_subalgoE4EjNS0_10empty_typeEbEEZZNS1_14partition_implILS8_4ELb0ES6_15HIP_vector_typeIjLj2EENS0_17counting_iteratorIjlEEPS9_SG_NS0_5tupleIJPjSI_NS0_16reverse_iteratorISI_EEEEENSH_IJSG_SG_SG_EEES9_SI_JZNS1_25segmented_radix_sort_implINS0_14default_configELb1EPKaPaPKlPlN2at6native12_GLOBAL__N_18offset_tEEE10hipError_tPvRmT1_PNSt15iterator_traitsIS12_E10value_typeET2_T3_PNS13_IS18_E10value_typeET4_jRbjT5_S1E_jjP12ihipStream_tbEUljE_ZNSN_ISO_Lb1ESQ_SR_ST_SU_SY_EESZ_S10_S11_S12_S16_S17_S18_S1B_S1C_jS1D_jS1E_S1E_jjS1G_bEUljE0_EEESZ_S10_S11_S18_S1C_S1E_T6_T7_T9_mT8_S1G_bDpT10_ENKUlT_T0_E_clISt17integral_constantIbLb0EES1U_EEDaS1P_S1Q_EUlS1P_E_NS1_11comp_targetILNS1_3genE3ELNS1_11target_archE908ELNS1_3gpuE7ELNS1_3repE0EEENS1_30default_config_static_selectorELNS0_4arch9wavefront6targetE1EEEvS12_
	.p2align	8
	.type	_ZN7rocprim17ROCPRIM_400000_NS6detail17trampoline_kernelINS0_13select_configILj256ELj13ELNS0_17block_load_methodE3ELS4_3ELS4_3ELNS0_20block_scan_algorithmE0ELj4294967295EEENS1_25partition_config_selectorILNS1_17partition_subalgoE4EjNS0_10empty_typeEbEEZZNS1_14partition_implILS8_4ELb0ES6_15HIP_vector_typeIjLj2EENS0_17counting_iteratorIjlEEPS9_SG_NS0_5tupleIJPjSI_NS0_16reverse_iteratorISI_EEEEENSH_IJSG_SG_SG_EEES9_SI_JZNS1_25segmented_radix_sort_implINS0_14default_configELb1EPKaPaPKlPlN2at6native12_GLOBAL__N_18offset_tEEE10hipError_tPvRmT1_PNSt15iterator_traitsIS12_E10value_typeET2_T3_PNS13_IS18_E10value_typeET4_jRbjT5_S1E_jjP12ihipStream_tbEUljE_ZNSN_ISO_Lb1ESQ_SR_ST_SU_SY_EESZ_S10_S11_S12_S16_S17_S18_S1B_S1C_jS1D_jS1E_S1E_jjS1G_bEUljE0_EEESZ_S10_S11_S18_S1C_S1E_T6_T7_T9_mT8_S1G_bDpT10_ENKUlT_T0_E_clISt17integral_constantIbLb0EES1U_EEDaS1P_S1Q_EUlS1P_E_NS1_11comp_targetILNS1_3genE3ELNS1_11target_archE908ELNS1_3gpuE7ELNS1_3repE0EEENS1_30default_config_static_selectorELNS0_4arch9wavefront6targetE1EEEvS12_,@function
_ZN7rocprim17ROCPRIM_400000_NS6detail17trampoline_kernelINS0_13select_configILj256ELj13ELNS0_17block_load_methodE3ELS4_3ELS4_3ELNS0_20block_scan_algorithmE0ELj4294967295EEENS1_25partition_config_selectorILNS1_17partition_subalgoE4EjNS0_10empty_typeEbEEZZNS1_14partition_implILS8_4ELb0ES6_15HIP_vector_typeIjLj2EENS0_17counting_iteratorIjlEEPS9_SG_NS0_5tupleIJPjSI_NS0_16reverse_iteratorISI_EEEEENSH_IJSG_SG_SG_EEES9_SI_JZNS1_25segmented_radix_sort_implINS0_14default_configELb1EPKaPaPKlPlN2at6native12_GLOBAL__N_18offset_tEEE10hipError_tPvRmT1_PNSt15iterator_traitsIS12_E10value_typeET2_T3_PNS13_IS18_E10value_typeET4_jRbjT5_S1E_jjP12ihipStream_tbEUljE_ZNSN_ISO_Lb1ESQ_SR_ST_SU_SY_EESZ_S10_S11_S12_S16_S17_S18_S1B_S1C_jS1D_jS1E_S1E_jjS1G_bEUljE0_EEESZ_S10_S11_S18_S1C_S1E_T6_T7_T9_mT8_S1G_bDpT10_ENKUlT_T0_E_clISt17integral_constantIbLb0EES1U_EEDaS1P_S1Q_EUlS1P_E_NS1_11comp_targetILNS1_3genE3ELNS1_11target_archE908ELNS1_3gpuE7ELNS1_3repE0EEENS1_30default_config_static_selectorELNS0_4arch9wavefront6targetE1EEEvS12_: ; @_ZN7rocprim17ROCPRIM_400000_NS6detail17trampoline_kernelINS0_13select_configILj256ELj13ELNS0_17block_load_methodE3ELS4_3ELS4_3ELNS0_20block_scan_algorithmE0ELj4294967295EEENS1_25partition_config_selectorILNS1_17partition_subalgoE4EjNS0_10empty_typeEbEEZZNS1_14partition_implILS8_4ELb0ES6_15HIP_vector_typeIjLj2EENS0_17counting_iteratorIjlEEPS9_SG_NS0_5tupleIJPjSI_NS0_16reverse_iteratorISI_EEEEENSH_IJSG_SG_SG_EEES9_SI_JZNS1_25segmented_radix_sort_implINS0_14default_configELb1EPKaPaPKlPlN2at6native12_GLOBAL__N_18offset_tEEE10hipError_tPvRmT1_PNSt15iterator_traitsIS12_E10value_typeET2_T3_PNS13_IS18_E10value_typeET4_jRbjT5_S1E_jjP12ihipStream_tbEUljE_ZNSN_ISO_Lb1ESQ_SR_ST_SU_SY_EESZ_S10_S11_S12_S16_S17_S18_S1B_S1C_jS1D_jS1E_S1E_jjS1G_bEUljE0_EEESZ_S10_S11_S18_S1C_S1E_T6_T7_T9_mT8_S1G_bDpT10_ENKUlT_T0_E_clISt17integral_constantIbLb0EES1U_EEDaS1P_S1Q_EUlS1P_E_NS1_11comp_targetILNS1_3genE3ELNS1_11target_archE908ELNS1_3gpuE7ELNS1_3repE0EEENS1_30default_config_static_selectorELNS0_4arch9wavefront6targetE1EEEvS12_
; %bb.0:
	.section	.rodata,"a",@progbits
	.p2align	6, 0x0
	.amdhsa_kernel _ZN7rocprim17ROCPRIM_400000_NS6detail17trampoline_kernelINS0_13select_configILj256ELj13ELNS0_17block_load_methodE3ELS4_3ELS4_3ELNS0_20block_scan_algorithmE0ELj4294967295EEENS1_25partition_config_selectorILNS1_17partition_subalgoE4EjNS0_10empty_typeEbEEZZNS1_14partition_implILS8_4ELb0ES6_15HIP_vector_typeIjLj2EENS0_17counting_iteratorIjlEEPS9_SG_NS0_5tupleIJPjSI_NS0_16reverse_iteratorISI_EEEEENSH_IJSG_SG_SG_EEES9_SI_JZNS1_25segmented_radix_sort_implINS0_14default_configELb1EPKaPaPKlPlN2at6native12_GLOBAL__N_18offset_tEEE10hipError_tPvRmT1_PNSt15iterator_traitsIS12_E10value_typeET2_T3_PNS13_IS18_E10value_typeET4_jRbjT5_S1E_jjP12ihipStream_tbEUljE_ZNSN_ISO_Lb1ESQ_SR_ST_SU_SY_EESZ_S10_S11_S12_S16_S17_S18_S1B_S1C_jS1D_jS1E_S1E_jjS1G_bEUljE0_EEESZ_S10_S11_S18_S1C_S1E_T6_T7_T9_mT8_S1G_bDpT10_ENKUlT_T0_E_clISt17integral_constantIbLb0EES1U_EEDaS1P_S1Q_EUlS1P_E_NS1_11comp_targetILNS1_3genE3ELNS1_11target_archE908ELNS1_3gpuE7ELNS1_3repE0EEENS1_30default_config_static_selectorELNS0_4arch9wavefront6targetE1EEEvS12_
		.amdhsa_group_segment_fixed_size 0
		.amdhsa_private_segment_fixed_size 0
		.amdhsa_kernarg_size 176
		.amdhsa_user_sgpr_count 6
		.amdhsa_user_sgpr_private_segment_buffer 1
		.amdhsa_user_sgpr_dispatch_ptr 0
		.amdhsa_user_sgpr_queue_ptr 0
		.amdhsa_user_sgpr_kernarg_segment_ptr 1
		.amdhsa_user_sgpr_dispatch_id 0
		.amdhsa_user_sgpr_flat_scratch_init 0
		.amdhsa_user_sgpr_private_segment_size 0
		.amdhsa_uses_dynamic_stack 0
		.amdhsa_system_sgpr_private_segment_wavefront_offset 0
		.amdhsa_system_sgpr_workgroup_id_x 1
		.amdhsa_system_sgpr_workgroup_id_y 0
		.amdhsa_system_sgpr_workgroup_id_z 0
		.amdhsa_system_sgpr_workgroup_info 0
		.amdhsa_system_vgpr_workitem_id 0
		.amdhsa_next_free_vgpr 1
		.amdhsa_next_free_sgpr 0
		.amdhsa_reserve_vcc 0
		.amdhsa_reserve_flat_scratch 0
		.amdhsa_float_round_mode_32 0
		.amdhsa_float_round_mode_16_64 0
		.amdhsa_float_denorm_mode_32 3
		.amdhsa_float_denorm_mode_16_64 3
		.amdhsa_dx10_clamp 1
		.amdhsa_ieee_mode 1
		.amdhsa_fp16_overflow 0
		.amdhsa_exception_fp_ieee_invalid_op 0
		.amdhsa_exception_fp_denorm_src 0
		.amdhsa_exception_fp_ieee_div_zero 0
		.amdhsa_exception_fp_ieee_overflow 0
		.amdhsa_exception_fp_ieee_underflow 0
		.amdhsa_exception_fp_ieee_inexact 0
		.amdhsa_exception_int_div_zero 0
	.end_amdhsa_kernel
	.section	.text._ZN7rocprim17ROCPRIM_400000_NS6detail17trampoline_kernelINS0_13select_configILj256ELj13ELNS0_17block_load_methodE3ELS4_3ELS4_3ELNS0_20block_scan_algorithmE0ELj4294967295EEENS1_25partition_config_selectorILNS1_17partition_subalgoE4EjNS0_10empty_typeEbEEZZNS1_14partition_implILS8_4ELb0ES6_15HIP_vector_typeIjLj2EENS0_17counting_iteratorIjlEEPS9_SG_NS0_5tupleIJPjSI_NS0_16reverse_iteratorISI_EEEEENSH_IJSG_SG_SG_EEES9_SI_JZNS1_25segmented_radix_sort_implINS0_14default_configELb1EPKaPaPKlPlN2at6native12_GLOBAL__N_18offset_tEEE10hipError_tPvRmT1_PNSt15iterator_traitsIS12_E10value_typeET2_T3_PNS13_IS18_E10value_typeET4_jRbjT5_S1E_jjP12ihipStream_tbEUljE_ZNSN_ISO_Lb1ESQ_SR_ST_SU_SY_EESZ_S10_S11_S12_S16_S17_S18_S1B_S1C_jS1D_jS1E_S1E_jjS1G_bEUljE0_EEESZ_S10_S11_S18_S1C_S1E_T6_T7_T9_mT8_S1G_bDpT10_ENKUlT_T0_E_clISt17integral_constantIbLb0EES1U_EEDaS1P_S1Q_EUlS1P_E_NS1_11comp_targetILNS1_3genE3ELNS1_11target_archE908ELNS1_3gpuE7ELNS1_3repE0EEENS1_30default_config_static_selectorELNS0_4arch9wavefront6targetE1EEEvS12_,"axG",@progbits,_ZN7rocprim17ROCPRIM_400000_NS6detail17trampoline_kernelINS0_13select_configILj256ELj13ELNS0_17block_load_methodE3ELS4_3ELS4_3ELNS0_20block_scan_algorithmE0ELj4294967295EEENS1_25partition_config_selectorILNS1_17partition_subalgoE4EjNS0_10empty_typeEbEEZZNS1_14partition_implILS8_4ELb0ES6_15HIP_vector_typeIjLj2EENS0_17counting_iteratorIjlEEPS9_SG_NS0_5tupleIJPjSI_NS0_16reverse_iteratorISI_EEEEENSH_IJSG_SG_SG_EEES9_SI_JZNS1_25segmented_radix_sort_implINS0_14default_configELb1EPKaPaPKlPlN2at6native12_GLOBAL__N_18offset_tEEE10hipError_tPvRmT1_PNSt15iterator_traitsIS12_E10value_typeET2_T3_PNS13_IS18_E10value_typeET4_jRbjT5_S1E_jjP12ihipStream_tbEUljE_ZNSN_ISO_Lb1ESQ_SR_ST_SU_SY_EESZ_S10_S11_S12_S16_S17_S18_S1B_S1C_jS1D_jS1E_S1E_jjS1G_bEUljE0_EEESZ_S10_S11_S18_S1C_S1E_T6_T7_T9_mT8_S1G_bDpT10_ENKUlT_T0_E_clISt17integral_constantIbLb0EES1U_EEDaS1P_S1Q_EUlS1P_E_NS1_11comp_targetILNS1_3genE3ELNS1_11target_archE908ELNS1_3gpuE7ELNS1_3repE0EEENS1_30default_config_static_selectorELNS0_4arch9wavefront6targetE1EEEvS12_,comdat
.Lfunc_end229:
	.size	_ZN7rocprim17ROCPRIM_400000_NS6detail17trampoline_kernelINS0_13select_configILj256ELj13ELNS0_17block_load_methodE3ELS4_3ELS4_3ELNS0_20block_scan_algorithmE0ELj4294967295EEENS1_25partition_config_selectorILNS1_17partition_subalgoE4EjNS0_10empty_typeEbEEZZNS1_14partition_implILS8_4ELb0ES6_15HIP_vector_typeIjLj2EENS0_17counting_iteratorIjlEEPS9_SG_NS0_5tupleIJPjSI_NS0_16reverse_iteratorISI_EEEEENSH_IJSG_SG_SG_EEES9_SI_JZNS1_25segmented_radix_sort_implINS0_14default_configELb1EPKaPaPKlPlN2at6native12_GLOBAL__N_18offset_tEEE10hipError_tPvRmT1_PNSt15iterator_traitsIS12_E10value_typeET2_T3_PNS13_IS18_E10value_typeET4_jRbjT5_S1E_jjP12ihipStream_tbEUljE_ZNSN_ISO_Lb1ESQ_SR_ST_SU_SY_EESZ_S10_S11_S12_S16_S17_S18_S1B_S1C_jS1D_jS1E_S1E_jjS1G_bEUljE0_EEESZ_S10_S11_S18_S1C_S1E_T6_T7_T9_mT8_S1G_bDpT10_ENKUlT_T0_E_clISt17integral_constantIbLb0EES1U_EEDaS1P_S1Q_EUlS1P_E_NS1_11comp_targetILNS1_3genE3ELNS1_11target_archE908ELNS1_3gpuE7ELNS1_3repE0EEENS1_30default_config_static_selectorELNS0_4arch9wavefront6targetE1EEEvS12_, .Lfunc_end229-_ZN7rocprim17ROCPRIM_400000_NS6detail17trampoline_kernelINS0_13select_configILj256ELj13ELNS0_17block_load_methodE3ELS4_3ELS4_3ELNS0_20block_scan_algorithmE0ELj4294967295EEENS1_25partition_config_selectorILNS1_17partition_subalgoE4EjNS0_10empty_typeEbEEZZNS1_14partition_implILS8_4ELb0ES6_15HIP_vector_typeIjLj2EENS0_17counting_iteratorIjlEEPS9_SG_NS0_5tupleIJPjSI_NS0_16reverse_iteratorISI_EEEEENSH_IJSG_SG_SG_EEES9_SI_JZNS1_25segmented_radix_sort_implINS0_14default_configELb1EPKaPaPKlPlN2at6native12_GLOBAL__N_18offset_tEEE10hipError_tPvRmT1_PNSt15iterator_traitsIS12_E10value_typeET2_T3_PNS13_IS18_E10value_typeET4_jRbjT5_S1E_jjP12ihipStream_tbEUljE_ZNSN_ISO_Lb1ESQ_SR_ST_SU_SY_EESZ_S10_S11_S12_S16_S17_S18_S1B_S1C_jS1D_jS1E_S1E_jjS1G_bEUljE0_EEESZ_S10_S11_S18_S1C_S1E_T6_T7_T9_mT8_S1G_bDpT10_ENKUlT_T0_E_clISt17integral_constantIbLb0EES1U_EEDaS1P_S1Q_EUlS1P_E_NS1_11comp_targetILNS1_3genE3ELNS1_11target_archE908ELNS1_3gpuE7ELNS1_3repE0EEENS1_30default_config_static_selectorELNS0_4arch9wavefront6targetE1EEEvS12_
                                        ; -- End function
	.set _ZN7rocprim17ROCPRIM_400000_NS6detail17trampoline_kernelINS0_13select_configILj256ELj13ELNS0_17block_load_methodE3ELS4_3ELS4_3ELNS0_20block_scan_algorithmE0ELj4294967295EEENS1_25partition_config_selectorILNS1_17partition_subalgoE4EjNS0_10empty_typeEbEEZZNS1_14partition_implILS8_4ELb0ES6_15HIP_vector_typeIjLj2EENS0_17counting_iteratorIjlEEPS9_SG_NS0_5tupleIJPjSI_NS0_16reverse_iteratorISI_EEEEENSH_IJSG_SG_SG_EEES9_SI_JZNS1_25segmented_radix_sort_implINS0_14default_configELb1EPKaPaPKlPlN2at6native12_GLOBAL__N_18offset_tEEE10hipError_tPvRmT1_PNSt15iterator_traitsIS12_E10value_typeET2_T3_PNS13_IS18_E10value_typeET4_jRbjT5_S1E_jjP12ihipStream_tbEUljE_ZNSN_ISO_Lb1ESQ_SR_ST_SU_SY_EESZ_S10_S11_S12_S16_S17_S18_S1B_S1C_jS1D_jS1E_S1E_jjS1G_bEUljE0_EEESZ_S10_S11_S18_S1C_S1E_T6_T7_T9_mT8_S1G_bDpT10_ENKUlT_T0_E_clISt17integral_constantIbLb0EES1U_EEDaS1P_S1Q_EUlS1P_E_NS1_11comp_targetILNS1_3genE3ELNS1_11target_archE908ELNS1_3gpuE7ELNS1_3repE0EEENS1_30default_config_static_selectorELNS0_4arch9wavefront6targetE1EEEvS12_.num_vgpr, 0
	.set _ZN7rocprim17ROCPRIM_400000_NS6detail17trampoline_kernelINS0_13select_configILj256ELj13ELNS0_17block_load_methodE3ELS4_3ELS4_3ELNS0_20block_scan_algorithmE0ELj4294967295EEENS1_25partition_config_selectorILNS1_17partition_subalgoE4EjNS0_10empty_typeEbEEZZNS1_14partition_implILS8_4ELb0ES6_15HIP_vector_typeIjLj2EENS0_17counting_iteratorIjlEEPS9_SG_NS0_5tupleIJPjSI_NS0_16reverse_iteratorISI_EEEEENSH_IJSG_SG_SG_EEES9_SI_JZNS1_25segmented_radix_sort_implINS0_14default_configELb1EPKaPaPKlPlN2at6native12_GLOBAL__N_18offset_tEEE10hipError_tPvRmT1_PNSt15iterator_traitsIS12_E10value_typeET2_T3_PNS13_IS18_E10value_typeET4_jRbjT5_S1E_jjP12ihipStream_tbEUljE_ZNSN_ISO_Lb1ESQ_SR_ST_SU_SY_EESZ_S10_S11_S12_S16_S17_S18_S1B_S1C_jS1D_jS1E_S1E_jjS1G_bEUljE0_EEESZ_S10_S11_S18_S1C_S1E_T6_T7_T9_mT8_S1G_bDpT10_ENKUlT_T0_E_clISt17integral_constantIbLb0EES1U_EEDaS1P_S1Q_EUlS1P_E_NS1_11comp_targetILNS1_3genE3ELNS1_11target_archE908ELNS1_3gpuE7ELNS1_3repE0EEENS1_30default_config_static_selectorELNS0_4arch9wavefront6targetE1EEEvS12_.num_agpr, 0
	.set _ZN7rocprim17ROCPRIM_400000_NS6detail17trampoline_kernelINS0_13select_configILj256ELj13ELNS0_17block_load_methodE3ELS4_3ELS4_3ELNS0_20block_scan_algorithmE0ELj4294967295EEENS1_25partition_config_selectorILNS1_17partition_subalgoE4EjNS0_10empty_typeEbEEZZNS1_14partition_implILS8_4ELb0ES6_15HIP_vector_typeIjLj2EENS0_17counting_iteratorIjlEEPS9_SG_NS0_5tupleIJPjSI_NS0_16reverse_iteratorISI_EEEEENSH_IJSG_SG_SG_EEES9_SI_JZNS1_25segmented_radix_sort_implINS0_14default_configELb1EPKaPaPKlPlN2at6native12_GLOBAL__N_18offset_tEEE10hipError_tPvRmT1_PNSt15iterator_traitsIS12_E10value_typeET2_T3_PNS13_IS18_E10value_typeET4_jRbjT5_S1E_jjP12ihipStream_tbEUljE_ZNSN_ISO_Lb1ESQ_SR_ST_SU_SY_EESZ_S10_S11_S12_S16_S17_S18_S1B_S1C_jS1D_jS1E_S1E_jjS1G_bEUljE0_EEESZ_S10_S11_S18_S1C_S1E_T6_T7_T9_mT8_S1G_bDpT10_ENKUlT_T0_E_clISt17integral_constantIbLb0EES1U_EEDaS1P_S1Q_EUlS1P_E_NS1_11comp_targetILNS1_3genE3ELNS1_11target_archE908ELNS1_3gpuE7ELNS1_3repE0EEENS1_30default_config_static_selectorELNS0_4arch9wavefront6targetE1EEEvS12_.numbered_sgpr, 0
	.set _ZN7rocprim17ROCPRIM_400000_NS6detail17trampoline_kernelINS0_13select_configILj256ELj13ELNS0_17block_load_methodE3ELS4_3ELS4_3ELNS0_20block_scan_algorithmE0ELj4294967295EEENS1_25partition_config_selectorILNS1_17partition_subalgoE4EjNS0_10empty_typeEbEEZZNS1_14partition_implILS8_4ELb0ES6_15HIP_vector_typeIjLj2EENS0_17counting_iteratorIjlEEPS9_SG_NS0_5tupleIJPjSI_NS0_16reverse_iteratorISI_EEEEENSH_IJSG_SG_SG_EEES9_SI_JZNS1_25segmented_radix_sort_implINS0_14default_configELb1EPKaPaPKlPlN2at6native12_GLOBAL__N_18offset_tEEE10hipError_tPvRmT1_PNSt15iterator_traitsIS12_E10value_typeET2_T3_PNS13_IS18_E10value_typeET4_jRbjT5_S1E_jjP12ihipStream_tbEUljE_ZNSN_ISO_Lb1ESQ_SR_ST_SU_SY_EESZ_S10_S11_S12_S16_S17_S18_S1B_S1C_jS1D_jS1E_S1E_jjS1G_bEUljE0_EEESZ_S10_S11_S18_S1C_S1E_T6_T7_T9_mT8_S1G_bDpT10_ENKUlT_T0_E_clISt17integral_constantIbLb0EES1U_EEDaS1P_S1Q_EUlS1P_E_NS1_11comp_targetILNS1_3genE3ELNS1_11target_archE908ELNS1_3gpuE7ELNS1_3repE0EEENS1_30default_config_static_selectorELNS0_4arch9wavefront6targetE1EEEvS12_.num_named_barrier, 0
	.set _ZN7rocprim17ROCPRIM_400000_NS6detail17trampoline_kernelINS0_13select_configILj256ELj13ELNS0_17block_load_methodE3ELS4_3ELS4_3ELNS0_20block_scan_algorithmE0ELj4294967295EEENS1_25partition_config_selectorILNS1_17partition_subalgoE4EjNS0_10empty_typeEbEEZZNS1_14partition_implILS8_4ELb0ES6_15HIP_vector_typeIjLj2EENS0_17counting_iteratorIjlEEPS9_SG_NS0_5tupleIJPjSI_NS0_16reverse_iteratorISI_EEEEENSH_IJSG_SG_SG_EEES9_SI_JZNS1_25segmented_radix_sort_implINS0_14default_configELb1EPKaPaPKlPlN2at6native12_GLOBAL__N_18offset_tEEE10hipError_tPvRmT1_PNSt15iterator_traitsIS12_E10value_typeET2_T3_PNS13_IS18_E10value_typeET4_jRbjT5_S1E_jjP12ihipStream_tbEUljE_ZNSN_ISO_Lb1ESQ_SR_ST_SU_SY_EESZ_S10_S11_S12_S16_S17_S18_S1B_S1C_jS1D_jS1E_S1E_jjS1G_bEUljE0_EEESZ_S10_S11_S18_S1C_S1E_T6_T7_T9_mT8_S1G_bDpT10_ENKUlT_T0_E_clISt17integral_constantIbLb0EES1U_EEDaS1P_S1Q_EUlS1P_E_NS1_11comp_targetILNS1_3genE3ELNS1_11target_archE908ELNS1_3gpuE7ELNS1_3repE0EEENS1_30default_config_static_selectorELNS0_4arch9wavefront6targetE1EEEvS12_.private_seg_size, 0
	.set _ZN7rocprim17ROCPRIM_400000_NS6detail17trampoline_kernelINS0_13select_configILj256ELj13ELNS0_17block_load_methodE3ELS4_3ELS4_3ELNS0_20block_scan_algorithmE0ELj4294967295EEENS1_25partition_config_selectorILNS1_17partition_subalgoE4EjNS0_10empty_typeEbEEZZNS1_14partition_implILS8_4ELb0ES6_15HIP_vector_typeIjLj2EENS0_17counting_iteratorIjlEEPS9_SG_NS0_5tupleIJPjSI_NS0_16reverse_iteratorISI_EEEEENSH_IJSG_SG_SG_EEES9_SI_JZNS1_25segmented_radix_sort_implINS0_14default_configELb1EPKaPaPKlPlN2at6native12_GLOBAL__N_18offset_tEEE10hipError_tPvRmT1_PNSt15iterator_traitsIS12_E10value_typeET2_T3_PNS13_IS18_E10value_typeET4_jRbjT5_S1E_jjP12ihipStream_tbEUljE_ZNSN_ISO_Lb1ESQ_SR_ST_SU_SY_EESZ_S10_S11_S12_S16_S17_S18_S1B_S1C_jS1D_jS1E_S1E_jjS1G_bEUljE0_EEESZ_S10_S11_S18_S1C_S1E_T6_T7_T9_mT8_S1G_bDpT10_ENKUlT_T0_E_clISt17integral_constantIbLb0EES1U_EEDaS1P_S1Q_EUlS1P_E_NS1_11comp_targetILNS1_3genE3ELNS1_11target_archE908ELNS1_3gpuE7ELNS1_3repE0EEENS1_30default_config_static_selectorELNS0_4arch9wavefront6targetE1EEEvS12_.uses_vcc, 0
	.set _ZN7rocprim17ROCPRIM_400000_NS6detail17trampoline_kernelINS0_13select_configILj256ELj13ELNS0_17block_load_methodE3ELS4_3ELS4_3ELNS0_20block_scan_algorithmE0ELj4294967295EEENS1_25partition_config_selectorILNS1_17partition_subalgoE4EjNS0_10empty_typeEbEEZZNS1_14partition_implILS8_4ELb0ES6_15HIP_vector_typeIjLj2EENS0_17counting_iteratorIjlEEPS9_SG_NS0_5tupleIJPjSI_NS0_16reverse_iteratorISI_EEEEENSH_IJSG_SG_SG_EEES9_SI_JZNS1_25segmented_radix_sort_implINS0_14default_configELb1EPKaPaPKlPlN2at6native12_GLOBAL__N_18offset_tEEE10hipError_tPvRmT1_PNSt15iterator_traitsIS12_E10value_typeET2_T3_PNS13_IS18_E10value_typeET4_jRbjT5_S1E_jjP12ihipStream_tbEUljE_ZNSN_ISO_Lb1ESQ_SR_ST_SU_SY_EESZ_S10_S11_S12_S16_S17_S18_S1B_S1C_jS1D_jS1E_S1E_jjS1G_bEUljE0_EEESZ_S10_S11_S18_S1C_S1E_T6_T7_T9_mT8_S1G_bDpT10_ENKUlT_T0_E_clISt17integral_constantIbLb0EES1U_EEDaS1P_S1Q_EUlS1P_E_NS1_11comp_targetILNS1_3genE3ELNS1_11target_archE908ELNS1_3gpuE7ELNS1_3repE0EEENS1_30default_config_static_selectorELNS0_4arch9wavefront6targetE1EEEvS12_.uses_flat_scratch, 0
	.set _ZN7rocprim17ROCPRIM_400000_NS6detail17trampoline_kernelINS0_13select_configILj256ELj13ELNS0_17block_load_methodE3ELS4_3ELS4_3ELNS0_20block_scan_algorithmE0ELj4294967295EEENS1_25partition_config_selectorILNS1_17partition_subalgoE4EjNS0_10empty_typeEbEEZZNS1_14partition_implILS8_4ELb0ES6_15HIP_vector_typeIjLj2EENS0_17counting_iteratorIjlEEPS9_SG_NS0_5tupleIJPjSI_NS0_16reverse_iteratorISI_EEEEENSH_IJSG_SG_SG_EEES9_SI_JZNS1_25segmented_radix_sort_implINS0_14default_configELb1EPKaPaPKlPlN2at6native12_GLOBAL__N_18offset_tEEE10hipError_tPvRmT1_PNSt15iterator_traitsIS12_E10value_typeET2_T3_PNS13_IS18_E10value_typeET4_jRbjT5_S1E_jjP12ihipStream_tbEUljE_ZNSN_ISO_Lb1ESQ_SR_ST_SU_SY_EESZ_S10_S11_S12_S16_S17_S18_S1B_S1C_jS1D_jS1E_S1E_jjS1G_bEUljE0_EEESZ_S10_S11_S18_S1C_S1E_T6_T7_T9_mT8_S1G_bDpT10_ENKUlT_T0_E_clISt17integral_constantIbLb0EES1U_EEDaS1P_S1Q_EUlS1P_E_NS1_11comp_targetILNS1_3genE3ELNS1_11target_archE908ELNS1_3gpuE7ELNS1_3repE0EEENS1_30default_config_static_selectorELNS0_4arch9wavefront6targetE1EEEvS12_.has_dyn_sized_stack, 0
	.set _ZN7rocprim17ROCPRIM_400000_NS6detail17trampoline_kernelINS0_13select_configILj256ELj13ELNS0_17block_load_methodE3ELS4_3ELS4_3ELNS0_20block_scan_algorithmE0ELj4294967295EEENS1_25partition_config_selectorILNS1_17partition_subalgoE4EjNS0_10empty_typeEbEEZZNS1_14partition_implILS8_4ELb0ES6_15HIP_vector_typeIjLj2EENS0_17counting_iteratorIjlEEPS9_SG_NS0_5tupleIJPjSI_NS0_16reverse_iteratorISI_EEEEENSH_IJSG_SG_SG_EEES9_SI_JZNS1_25segmented_radix_sort_implINS0_14default_configELb1EPKaPaPKlPlN2at6native12_GLOBAL__N_18offset_tEEE10hipError_tPvRmT1_PNSt15iterator_traitsIS12_E10value_typeET2_T3_PNS13_IS18_E10value_typeET4_jRbjT5_S1E_jjP12ihipStream_tbEUljE_ZNSN_ISO_Lb1ESQ_SR_ST_SU_SY_EESZ_S10_S11_S12_S16_S17_S18_S1B_S1C_jS1D_jS1E_S1E_jjS1G_bEUljE0_EEESZ_S10_S11_S18_S1C_S1E_T6_T7_T9_mT8_S1G_bDpT10_ENKUlT_T0_E_clISt17integral_constantIbLb0EES1U_EEDaS1P_S1Q_EUlS1P_E_NS1_11comp_targetILNS1_3genE3ELNS1_11target_archE908ELNS1_3gpuE7ELNS1_3repE0EEENS1_30default_config_static_selectorELNS0_4arch9wavefront6targetE1EEEvS12_.has_recursion, 0
	.set _ZN7rocprim17ROCPRIM_400000_NS6detail17trampoline_kernelINS0_13select_configILj256ELj13ELNS0_17block_load_methodE3ELS4_3ELS4_3ELNS0_20block_scan_algorithmE0ELj4294967295EEENS1_25partition_config_selectorILNS1_17partition_subalgoE4EjNS0_10empty_typeEbEEZZNS1_14partition_implILS8_4ELb0ES6_15HIP_vector_typeIjLj2EENS0_17counting_iteratorIjlEEPS9_SG_NS0_5tupleIJPjSI_NS0_16reverse_iteratorISI_EEEEENSH_IJSG_SG_SG_EEES9_SI_JZNS1_25segmented_radix_sort_implINS0_14default_configELb1EPKaPaPKlPlN2at6native12_GLOBAL__N_18offset_tEEE10hipError_tPvRmT1_PNSt15iterator_traitsIS12_E10value_typeET2_T3_PNS13_IS18_E10value_typeET4_jRbjT5_S1E_jjP12ihipStream_tbEUljE_ZNSN_ISO_Lb1ESQ_SR_ST_SU_SY_EESZ_S10_S11_S12_S16_S17_S18_S1B_S1C_jS1D_jS1E_S1E_jjS1G_bEUljE0_EEESZ_S10_S11_S18_S1C_S1E_T6_T7_T9_mT8_S1G_bDpT10_ENKUlT_T0_E_clISt17integral_constantIbLb0EES1U_EEDaS1P_S1Q_EUlS1P_E_NS1_11comp_targetILNS1_3genE3ELNS1_11target_archE908ELNS1_3gpuE7ELNS1_3repE0EEENS1_30default_config_static_selectorELNS0_4arch9wavefront6targetE1EEEvS12_.has_indirect_call, 0
	.section	.AMDGPU.csdata,"",@progbits
; Kernel info:
; codeLenInByte = 0
; TotalNumSgprs: 4
; NumVgprs: 0
; ScratchSize: 0
; MemoryBound: 0
; FloatMode: 240
; IeeeMode: 1
; LDSByteSize: 0 bytes/workgroup (compile time only)
; SGPRBlocks: 0
; VGPRBlocks: 0
; NumSGPRsForWavesPerEU: 4
; NumVGPRsForWavesPerEU: 1
; Occupancy: 10
; WaveLimiterHint : 0
; COMPUTE_PGM_RSRC2:SCRATCH_EN: 0
; COMPUTE_PGM_RSRC2:USER_SGPR: 6
; COMPUTE_PGM_RSRC2:TRAP_HANDLER: 0
; COMPUTE_PGM_RSRC2:TGID_X_EN: 1
; COMPUTE_PGM_RSRC2:TGID_Y_EN: 0
; COMPUTE_PGM_RSRC2:TGID_Z_EN: 0
; COMPUTE_PGM_RSRC2:TIDIG_COMP_CNT: 0
	.section	.text._ZN7rocprim17ROCPRIM_400000_NS6detail17trampoline_kernelINS0_13select_configILj256ELj13ELNS0_17block_load_methodE3ELS4_3ELS4_3ELNS0_20block_scan_algorithmE0ELj4294967295EEENS1_25partition_config_selectorILNS1_17partition_subalgoE4EjNS0_10empty_typeEbEEZZNS1_14partition_implILS8_4ELb0ES6_15HIP_vector_typeIjLj2EENS0_17counting_iteratorIjlEEPS9_SG_NS0_5tupleIJPjSI_NS0_16reverse_iteratorISI_EEEEENSH_IJSG_SG_SG_EEES9_SI_JZNS1_25segmented_radix_sort_implINS0_14default_configELb1EPKaPaPKlPlN2at6native12_GLOBAL__N_18offset_tEEE10hipError_tPvRmT1_PNSt15iterator_traitsIS12_E10value_typeET2_T3_PNS13_IS18_E10value_typeET4_jRbjT5_S1E_jjP12ihipStream_tbEUljE_ZNSN_ISO_Lb1ESQ_SR_ST_SU_SY_EESZ_S10_S11_S12_S16_S17_S18_S1B_S1C_jS1D_jS1E_S1E_jjS1G_bEUljE0_EEESZ_S10_S11_S18_S1C_S1E_T6_T7_T9_mT8_S1G_bDpT10_ENKUlT_T0_E_clISt17integral_constantIbLb0EES1U_EEDaS1P_S1Q_EUlS1P_E_NS1_11comp_targetILNS1_3genE2ELNS1_11target_archE906ELNS1_3gpuE6ELNS1_3repE0EEENS1_30default_config_static_selectorELNS0_4arch9wavefront6targetE1EEEvS12_,"axG",@progbits,_ZN7rocprim17ROCPRIM_400000_NS6detail17trampoline_kernelINS0_13select_configILj256ELj13ELNS0_17block_load_methodE3ELS4_3ELS4_3ELNS0_20block_scan_algorithmE0ELj4294967295EEENS1_25partition_config_selectorILNS1_17partition_subalgoE4EjNS0_10empty_typeEbEEZZNS1_14partition_implILS8_4ELb0ES6_15HIP_vector_typeIjLj2EENS0_17counting_iteratorIjlEEPS9_SG_NS0_5tupleIJPjSI_NS0_16reverse_iteratorISI_EEEEENSH_IJSG_SG_SG_EEES9_SI_JZNS1_25segmented_radix_sort_implINS0_14default_configELb1EPKaPaPKlPlN2at6native12_GLOBAL__N_18offset_tEEE10hipError_tPvRmT1_PNSt15iterator_traitsIS12_E10value_typeET2_T3_PNS13_IS18_E10value_typeET4_jRbjT5_S1E_jjP12ihipStream_tbEUljE_ZNSN_ISO_Lb1ESQ_SR_ST_SU_SY_EESZ_S10_S11_S12_S16_S17_S18_S1B_S1C_jS1D_jS1E_S1E_jjS1G_bEUljE0_EEESZ_S10_S11_S18_S1C_S1E_T6_T7_T9_mT8_S1G_bDpT10_ENKUlT_T0_E_clISt17integral_constantIbLb0EES1U_EEDaS1P_S1Q_EUlS1P_E_NS1_11comp_targetILNS1_3genE2ELNS1_11target_archE906ELNS1_3gpuE6ELNS1_3repE0EEENS1_30default_config_static_selectorELNS0_4arch9wavefront6targetE1EEEvS12_,comdat
	.globl	_ZN7rocprim17ROCPRIM_400000_NS6detail17trampoline_kernelINS0_13select_configILj256ELj13ELNS0_17block_load_methodE3ELS4_3ELS4_3ELNS0_20block_scan_algorithmE0ELj4294967295EEENS1_25partition_config_selectorILNS1_17partition_subalgoE4EjNS0_10empty_typeEbEEZZNS1_14partition_implILS8_4ELb0ES6_15HIP_vector_typeIjLj2EENS0_17counting_iteratorIjlEEPS9_SG_NS0_5tupleIJPjSI_NS0_16reverse_iteratorISI_EEEEENSH_IJSG_SG_SG_EEES9_SI_JZNS1_25segmented_radix_sort_implINS0_14default_configELb1EPKaPaPKlPlN2at6native12_GLOBAL__N_18offset_tEEE10hipError_tPvRmT1_PNSt15iterator_traitsIS12_E10value_typeET2_T3_PNS13_IS18_E10value_typeET4_jRbjT5_S1E_jjP12ihipStream_tbEUljE_ZNSN_ISO_Lb1ESQ_SR_ST_SU_SY_EESZ_S10_S11_S12_S16_S17_S18_S1B_S1C_jS1D_jS1E_S1E_jjS1G_bEUljE0_EEESZ_S10_S11_S18_S1C_S1E_T6_T7_T9_mT8_S1G_bDpT10_ENKUlT_T0_E_clISt17integral_constantIbLb0EES1U_EEDaS1P_S1Q_EUlS1P_E_NS1_11comp_targetILNS1_3genE2ELNS1_11target_archE906ELNS1_3gpuE6ELNS1_3repE0EEENS1_30default_config_static_selectorELNS0_4arch9wavefront6targetE1EEEvS12_ ; -- Begin function _ZN7rocprim17ROCPRIM_400000_NS6detail17trampoline_kernelINS0_13select_configILj256ELj13ELNS0_17block_load_methodE3ELS4_3ELS4_3ELNS0_20block_scan_algorithmE0ELj4294967295EEENS1_25partition_config_selectorILNS1_17partition_subalgoE4EjNS0_10empty_typeEbEEZZNS1_14partition_implILS8_4ELb0ES6_15HIP_vector_typeIjLj2EENS0_17counting_iteratorIjlEEPS9_SG_NS0_5tupleIJPjSI_NS0_16reverse_iteratorISI_EEEEENSH_IJSG_SG_SG_EEES9_SI_JZNS1_25segmented_radix_sort_implINS0_14default_configELb1EPKaPaPKlPlN2at6native12_GLOBAL__N_18offset_tEEE10hipError_tPvRmT1_PNSt15iterator_traitsIS12_E10value_typeET2_T3_PNS13_IS18_E10value_typeET4_jRbjT5_S1E_jjP12ihipStream_tbEUljE_ZNSN_ISO_Lb1ESQ_SR_ST_SU_SY_EESZ_S10_S11_S12_S16_S17_S18_S1B_S1C_jS1D_jS1E_S1E_jjS1G_bEUljE0_EEESZ_S10_S11_S18_S1C_S1E_T6_T7_T9_mT8_S1G_bDpT10_ENKUlT_T0_E_clISt17integral_constantIbLb0EES1U_EEDaS1P_S1Q_EUlS1P_E_NS1_11comp_targetILNS1_3genE2ELNS1_11target_archE906ELNS1_3gpuE6ELNS1_3repE0EEENS1_30default_config_static_selectorELNS0_4arch9wavefront6targetE1EEEvS12_
	.p2align	8
	.type	_ZN7rocprim17ROCPRIM_400000_NS6detail17trampoline_kernelINS0_13select_configILj256ELj13ELNS0_17block_load_methodE3ELS4_3ELS4_3ELNS0_20block_scan_algorithmE0ELj4294967295EEENS1_25partition_config_selectorILNS1_17partition_subalgoE4EjNS0_10empty_typeEbEEZZNS1_14partition_implILS8_4ELb0ES6_15HIP_vector_typeIjLj2EENS0_17counting_iteratorIjlEEPS9_SG_NS0_5tupleIJPjSI_NS0_16reverse_iteratorISI_EEEEENSH_IJSG_SG_SG_EEES9_SI_JZNS1_25segmented_radix_sort_implINS0_14default_configELb1EPKaPaPKlPlN2at6native12_GLOBAL__N_18offset_tEEE10hipError_tPvRmT1_PNSt15iterator_traitsIS12_E10value_typeET2_T3_PNS13_IS18_E10value_typeET4_jRbjT5_S1E_jjP12ihipStream_tbEUljE_ZNSN_ISO_Lb1ESQ_SR_ST_SU_SY_EESZ_S10_S11_S12_S16_S17_S18_S1B_S1C_jS1D_jS1E_S1E_jjS1G_bEUljE0_EEESZ_S10_S11_S18_S1C_S1E_T6_T7_T9_mT8_S1G_bDpT10_ENKUlT_T0_E_clISt17integral_constantIbLb0EES1U_EEDaS1P_S1Q_EUlS1P_E_NS1_11comp_targetILNS1_3genE2ELNS1_11target_archE906ELNS1_3gpuE6ELNS1_3repE0EEENS1_30default_config_static_selectorELNS0_4arch9wavefront6targetE1EEEvS12_,@function
_ZN7rocprim17ROCPRIM_400000_NS6detail17trampoline_kernelINS0_13select_configILj256ELj13ELNS0_17block_load_methodE3ELS4_3ELS4_3ELNS0_20block_scan_algorithmE0ELj4294967295EEENS1_25partition_config_selectorILNS1_17partition_subalgoE4EjNS0_10empty_typeEbEEZZNS1_14partition_implILS8_4ELb0ES6_15HIP_vector_typeIjLj2EENS0_17counting_iteratorIjlEEPS9_SG_NS0_5tupleIJPjSI_NS0_16reverse_iteratorISI_EEEEENSH_IJSG_SG_SG_EEES9_SI_JZNS1_25segmented_radix_sort_implINS0_14default_configELb1EPKaPaPKlPlN2at6native12_GLOBAL__N_18offset_tEEE10hipError_tPvRmT1_PNSt15iterator_traitsIS12_E10value_typeET2_T3_PNS13_IS18_E10value_typeET4_jRbjT5_S1E_jjP12ihipStream_tbEUljE_ZNSN_ISO_Lb1ESQ_SR_ST_SU_SY_EESZ_S10_S11_S12_S16_S17_S18_S1B_S1C_jS1D_jS1E_S1E_jjS1G_bEUljE0_EEESZ_S10_S11_S18_S1C_S1E_T6_T7_T9_mT8_S1G_bDpT10_ENKUlT_T0_E_clISt17integral_constantIbLb0EES1U_EEDaS1P_S1Q_EUlS1P_E_NS1_11comp_targetILNS1_3genE2ELNS1_11target_archE906ELNS1_3gpuE6ELNS1_3repE0EEENS1_30default_config_static_selectorELNS0_4arch9wavefront6targetE1EEEvS12_: ; @_ZN7rocprim17ROCPRIM_400000_NS6detail17trampoline_kernelINS0_13select_configILj256ELj13ELNS0_17block_load_methodE3ELS4_3ELS4_3ELNS0_20block_scan_algorithmE0ELj4294967295EEENS1_25partition_config_selectorILNS1_17partition_subalgoE4EjNS0_10empty_typeEbEEZZNS1_14partition_implILS8_4ELb0ES6_15HIP_vector_typeIjLj2EENS0_17counting_iteratorIjlEEPS9_SG_NS0_5tupleIJPjSI_NS0_16reverse_iteratorISI_EEEEENSH_IJSG_SG_SG_EEES9_SI_JZNS1_25segmented_radix_sort_implINS0_14default_configELb1EPKaPaPKlPlN2at6native12_GLOBAL__N_18offset_tEEE10hipError_tPvRmT1_PNSt15iterator_traitsIS12_E10value_typeET2_T3_PNS13_IS18_E10value_typeET4_jRbjT5_S1E_jjP12ihipStream_tbEUljE_ZNSN_ISO_Lb1ESQ_SR_ST_SU_SY_EESZ_S10_S11_S12_S16_S17_S18_S1B_S1C_jS1D_jS1E_S1E_jjS1G_bEUljE0_EEESZ_S10_S11_S18_S1C_S1E_T6_T7_T9_mT8_S1G_bDpT10_ENKUlT_T0_E_clISt17integral_constantIbLb0EES1U_EEDaS1P_S1Q_EUlS1P_E_NS1_11comp_targetILNS1_3genE2ELNS1_11target_archE906ELNS1_3gpuE6ELNS1_3repE0EEENS1_30default_config_static_selectorELNS0_4arch9wavefront6targetE1EEEvS12_
; %bb.0:
	s_load_dwordx2 s[0:1], s[4:5], 0x68
	s_load_dwordx4 s[44:47], s[4:5], 0x58
	s_load_dword s8, s[4:5], 0x8
	s_load_dwordx2 s[56:57], s[4:5], 0x10
	s_load_dword s7, s[4:5], 0x80
	s_load_dwordx2 s[58:59], s[4:5], 0xa8
	s_load_dwordx8 s[36:43], s[4:5], 0x88
	s_waitcnt lgkmcnt(0)
	s_load_dwordx4 s[48:51], s[46:47], 0x0
	s_mul_i32 s33, s6, 0xd00
	s_add_i32 s9, s7, -1
	s_mulk_i32 s7, 0xd00
	s_add_u32 s2, s56, s7
	s_addc_u32 s3, s57, 0
	v_mov_b32_e32 v1, s2
	v_mov_b32_e32 v2, s3
	s_cmp_eq_u32 s6, s9
	v_cmp_gt_u64_e32 vcc, s[0:1], v[1:2]
	s_cselect_b64 s[34:35], -1, 0
	s_cmp_lg_u32 s6, s9
	s_cselect_b64 s[2:3], -1, 0
	s_add_i32 s1, s8, s33
	s_or_b64 s[2:3], s[2:3], vcc
	s_add_i32 s1, s1, s56
	s_mov_b64 s[8:9], -1
	s_and_b64 vcc, exec, s[2:3]
	v_add_u32_e32 v1, s1, v0
	s_cbranch_vccz .LBB230_2
; %bb.1:
	v_add_u32_e32 v2, 0x100, v1
	v_lshlrev_b32_e32 v14, 2, v0
	v_add_u32_e32 v3, 0x200, v1
	v_add_u32_e32 v4, 0x300, v1
	;; [unrolled: 1-line block ×11, first 2 shown]
	ds_write2st64_b32 v14, v1, v2 offset1:4
	ds_write2st64_b32 v14, v3, v4 offset0:8 offset1:12
	ds_write2st64_b32 v14, v5, v6 offset0:16 offset1:20
	;; [unrolled: 1-line block ×5, first 2 shown]
	ds_write_b32 v14, v13 offset:12288
	s_waitcnt lgkmcnt(0)
	s_barrier
	s_mov_b64 s[8:9], 0
.LBB230_2:
	s_andn2_b64 vcc, exec, s[8:9]
	s_add_i32 s7, s7, s56
	s_cbranch_vccnz .LBB230_4
; %bb.3:
	v_add_u32_e32 v2, 0x100, v1
	v_lshlrev_b32_e32 v14, 2, v0
	v_add_u32_e32 v3, 0x200, v1
	v_add_u32_e32 v4, 0x300, v1
	;; [unrolled: 1-line block ×11, first 2 shown]
	ds_write2st64_b32 v14, v1, v2 offset1:4
	ds_write2st64_b32 v14, v3, v4 offset0:8 offset1:12
	ds_write2st64_b32 v14, v5, v6 offset0:16 offset1:20
	;; [unrolled: 1-line block ×5, first 2 shown]
	ds_write_b32 v14, v13 offset:12288
	s_waitcnt lgkmcnt(0)
	s_barrier
.LBB230_4:
	v_mul_u32_u24_e32 v30, 13, v0
	v_lshlrev_b32_e32 v1, 2, v30
	s_load_dwordx4 s[52:55], s[4:5], 0x28
	s_load_dwordx2 s[46:47], s[4:5], 0x38
	s_waitcnt lgkmcnt(0)
	ds_read_b32 v29, v1 offset:48
	ds_read2_b32 v[9:10], v1 offset0:10 offset1:11
	ds_read2_b32 v[11:12], v1 offset0:8 offset1:9
	;; [unrolled: 1-line block ×4, first 2 shown]
	ds_read2_b32 v[19:20], v1 offset1:1
	ds_read2_b32 v[17:18], v1 offset0:2 offset1:3
	v_cndmask_b32_e64 v1, 0, 1, s[2:3]
	s_sub_i32 s7, s0, s7
	v_cmp_ne_u32_e64 s[0:1], 1, v1
	s_andn2_b64 vcc, exec, s[2:3]
	s_waitcnt lgkmcnt(0)
	s_barrier
	s_cbranch_vccnz .LBB230_32
; %bb.5:
	v_add_u32_e32 v1, s37, v19
	v_add_u32_e32 v2, s39, v19
	v_mul_lo_u32 v1, v1, s36
	v_mul_lo_u32 v2, v2, s38
	s_mov_b64 s[62:63], 0
	s_mov_b64 s[60:61], 0
	v_sub_u32_e32 v1, v1, v2
	v_cmp_lt_u32_e32 vcc, s40, v1
	v_cmp_ge_u32_e64 s[2:3], s40, v1
	s_and_saveexec_b64 s[8:9], s[2:3]
	s_cbranch_execz .LBB230_7
; %bb.6:
	v_add_u32_e32 v1, s42, v19
	v_add_u32_e32 v2, s58, v19
	v_mul_lo_u32 v1, v1, s41
	v_mul_lo_u32 v2, v2, s43
	v_sub_u32_e32 v1, v1, v2
	v_cmp_lt_u32_e64 s[2:3], s59, v1
	s_and_b64 s[60:61], s[2:3], exec
.LBB230_7:
	s_or_b64 exec, exec, s[8:9]
	v_add_u32_e32 v1, s37, v20
	v_add_u32_e32 v2, s39, v20
	v_mul_lo_u32 v1, v1, s36
	v_mul_lo_u32 v2, v2, s38
	v_sub_u32_e32 v1, v1, v2
	v_cmp_lt_u32_e64 s[2:3], s40, v1
	v_cmp_ge_u32_e64 s[8:9], s40, v1
	s_and_saveexec_b64 s[10:11], s[8:9]
	s_cbranch_execz .LBB230_9
; %bb.8:
	v_add_u32_e32 v1, s42, v20
	v_add_u32_e32 v2, s58, v20
	v_mul_lo_u32 v1, v1, s41
	v_mul_lo_u32 v2, v2, s43
	v_sub_u32_e32 v1, v1, v2
	v_cmp_lt_u32_e64 s[8:9], s59, v1
	s_and_b64 s[62:63], s[8:9], exec
.LBB230_9:
	s_or_b64 exec, exec, s[10:11]
	v_add_u32_e32 v1, s37, v17
	v_add_u32_e32 v2, s39, v17
	v_mul_lo_u32 v1, v1, s36
	v_mul_lo_u32 v2, v2, s38
	s_mov_b64 s[66:67], 0
	s_mov_b64 s[64:65], 0
	v_sub_u32_e32 v1, v1, v2
	v_cmp_lt_u32_e64 s[28:29], s40, v1
	v_cmp_ge_u32_e64 s[8:9], s40, v1
	s_and_saveexec_b64 s[10:11], s[8:9]
	s_cbranch_execz .LBB230_11
; %bb.10:
	v_add_u32_e32 v1, s42, v17
	v_add_u32_e32 v2, s58, v17
	v_mul_lo_u32 v1, v1, s41
	v_mul_lo_u32 v2, v2, s43
	v_sub_u32_e32 v1, v1, v2
	v_cmp_lt_u32_e64 s[8:9], s59, v1
	s_and_b64 s[64:65], s[8:9], exec
.LBB230_11:
	s_or_b64 exec, exec, s[10:11]
	v_add_u32_e32 v1, s37, v18
	v_add_u32_e32 v2, s39, v18
	v_mul_lo_u32 v1, v1, s36
	v_mul_lo_u32 v2, v2, s38
	v_sub_u32_e32 v1, v1, v2
	v_cmp_lt_u32_e64 s[8:9], s40, v1
	v_cmp_ge_u32_e64 s[10:11], s40, v1
	s_and_saveexec_b64 s[12:13], s[10:11]
	s_cbranch_execz .LBB230_13
; %bb.12:
	v_add_u32_e32 v1, s42, v18
	v_add_u32_e32 v2, s58, v18
	v_mul_lo_u32 v1, v1, s41
	v_mul_lo_u32 v2, v2, s43
	v_sub_u32_e32 v1, v1, v2
	v_cmp_lt_u32_e64 s[10:11], s59, v1
	s_and_b64 s[66:67], s[10:11], exec
.LBB230_13:
	s_or_b64 exec, exec, s[12:13]
	v_add_u32_e32 v1, s37, v15
	v_add_u32_e32 v2, s39, v15
	v_mul_lo_u32 v1, v1, s36
	v_mul_lo_u32 v2, v2, s38
	s_mov_b64 s[70:71], 0
	s_mov_b64 s[68:69], 0
	v_sub_u32_e32 v1, v1, v2
	v_cmp_lt_u32_e64 s[10:11], s40, v1
	;; [unrolled: 40-line block ×6, first 2 shown]
	v_cmp_ge_u32_e64 s[30:31], s40, v1
	s_and_saveexec_b64 s[88:89], s[30:31]
	s_cbranch_execz .LBB230_31
; %bb.30:
	v_add_u32_e32 v1, s42, v29
	v_add_u32_e32 v2, s58, v29
	v_mul_lo_u32 v1, v1, s41
	v_mul_lo_u32 v2, v2, s43
	v_sub_u32_e32 v1, v1, v2
	v_cmp_lt_u32_e64 s[30:31], s59, v1
	s_and_b64 s[86:87], s[30:31], exec
.LBB230_31:
	s_or_b64 exec, exec, s[88:89]
	v_cndmask_b32_e64 v2, 0, 1, s[2:3]
	v_cndmask_b32_e64 v1, 0, 1, vcc
	v_cndmask_b32_e64 v4, 0, 1, s[8:9]
	v_lshlrev_b16_e32 v2, 8, v2
	v_cndmask_b32_e64 v3, 0, 1, s[28:29]
	v_or_b32_e32 v1, v1, v2
	v_lshlrev_b16_e32 v2, 8, v4
	v_cndmask_b32_e64 v6, 0, 1, s[12:13]
	v_cndmask_b32_e64 v8, 0, 1, s[16:17]
	v_or_b32_sdwa v2, v3, v2 dst_sel:WORD_1 dst_unused:UNUSED_PAD src0_sel:DWORD src1_sel:DWORD
	v_cndmask_b32_e64 v5, 0, 1, s[10:11]
	v_cndmask_b32_e64 v7, 0, 1, s[14:15]
	v_or_b32_sdwa v31, v1, v2 dst_sel:DWORD dst_unused:UNUSED_PAD src0_sel:WORD_0 src1_sel:DWORD
	v_lshlrev_b16_e32 v1, 8, v6
	v_lshlrev_b16_e32 v2, 8, v8
	v_cndmask_b32_e64 v22, 0, 1, s[20:21]
	v_cndmask_b32_e64 v25, 0, 1, s[24:25]
	v_or_b32_e32 v1, v5, v1
	v_or_b32_sdwa v2, v7, v2 dst_sel:WORD_1 dst_unused:UNUSED_PAD src0_sel:DWORD src1_sel:DWORD
	v_cndmask_b32_e64 v21, 0, 1, s[18:19]
	v_cndmask_b32_e64 v23, 0, 1, s[22:23]
	v_or_b32_sdwa v33, v1, v2 dst_sel:DWORD dst_unused:UNUSED_PAD src0_sel:WORD_0 src1_sel:DWORD
	v_lshlrev_b16_e32 v1, 8, v22
	v_lshlrev_b16_e32 v2, 8, v25
	v_cndmask_b32_e64 v37, 0, 1, s[64:65]
	v_cndmask_b32_e64 v42, 0, 1, s[60:61]
	v_or_b32_e32 v1, v21, v1
	v_or_b32_sdwa v2, v23, v2 dst_sel:WORD_1 dst_unused:UNUSED_PAD src0_sel:DWORD src1_sel:DWORD
	v_cndmask_b32_e64 v41, 0, 1, s[62:63]
	v_cndmask_b32_e64 v43, 0, 1, s[26:27]
	v_or_b32_sdwa v36, v1, v2 dst_sel:DWORD dst_unused:UNUSED_PAD src0_sel:WORD_0 src1_sel:DWORD
	v_lshlrev_b16_e32 v1, 8, v42
	v_lshlrev_b16_e32 v2, 8, v37
	v_cndmask_b32_e64 v32, 0, 1, s[72:73]
	v_cndmask_b32_e64 v39, 0, 1, s[68:69]
	v_or_b32_e32 v1, v43, v1
	v_or_b32_sdwa v2, v41, v2 dst_sel:WORD_1 dst_unused:UNUSED_PAD src0_sel:DWORD src1_sel:DWORD
	v_cndmask_b32_e64 v34, 0, 1, s[70:71]
	v_cndmask_b32_e64 v40, 0, 1, s[66:67]
	v_or_b32_sdwa v37, v1, v2 dst_sel:DWORD dst_unused:UNUSED_PAD src0_sel:WORD_0 src1_sel:DWORD
	v_lshlrev_b16_e32 v1, 8, v39
	v_lshlrev_b16_e32 v2, 8, v32
	v_cndmask_b32_e64 v24, 0, 1, s[84:85]
	v_cndmask_b32_e64 v27, 0, 1, s[76:77]
	v_or_b32_e32 v1, v40, v1
	v_or_b32_sdwa v2, v34, v2 dst_sel:WORD_1 dst_unused:UNUSED_PAD src0_sel:DWORD src1_sel:DWORD
	v_cndmask_b32_e64 v26, 0, 1, s[78:79]
	v_cndmask_b32_e64 v28, 0, 1, s[74:75]
	v_or_b32_sdwa v32, v1, v2 dst_sel:DWORD dst_unused:UNUSED_PAD src0_sel:WORD_0 src1_sel:DWORD
	v_lshlrev_b16_e32 v1, 8, v27
	v_lshlrev_b16_e32 v2, 8, v24
	v_or_b32_e32 v1, v28, v1
	v_or_b32_sdwa v2, v26, v2 dst_sel:WORD_1 dst_unused:UNUSED_PAD src0_sel:DWORD src1_sel:DWORD
	v_cndmask_b32_e64 v35, 0, 1, s[82:83]
	v_cndmask_b32_e64 v38, 0, 1, s[86:87]
	v_or_b32_sdwa v34, v1, v2 dst_sel:DWORD dst_unused:UNUSED_PAD src0_sel:WORD_0 src1_sel:DWORD
	s_load_dwordx2 s[12:13], s[4:5], 0x78
	s_add_i32 s18, s7, 0xd00
	s_and_b64 vcc, exec, s[80:81]
	s_cbranch_vccnz .LBB230_33
	s_branch .LBB230_110
.LBB230_32:
                                        ; implicit-def: $vgpr38
                                        ; implicit-def: $vgpr35
                                        ; implicit-def: $vgpr34
                                        ; implicit-def: $vgpr32
                                        ; implicit-def: $vgpr37
                                        ; implicit-def: $vgpr36
                                        ; implicit-def: $vgpr33
                                        ; implicit-def: $vgpr31
	s_load_dwordx2 s[12:13], s[4:5], 0x78
	s_add_i32 s18, s7, 0xd00
	s_cbranch_execz .LBB230_110
.LBB230_33:
	v_cmp_gt_u32_e32 vcc, s18, v30
	v_mov_b32_e32 v2, 0
	v_mov_b32_e32 v1, 0
	s_and_saveexec_b64 s[4:5], vcc
	s_cbranch_execz .LBB230_37
; %bb.34:
	v_add_u32_e32 v1, s37, v19
	v_add_u32_e32 v2, s39, v19
	v_mul_lo_u32 v1, v1, s36
	v_mul_lo_u32 v2, v2, s38
	s_mov_b64 s[10:11], 0
	v_sub_u32_e32 v1, v1, v2
	v_cmp_lt_u32_e32 vcc, s40, v1
	v_cmp_ge_u32_e64 s[2:3], s40, v1
	s_and_saveexec_b64 s[8:9], s[2:3]
	s_cbranch_execz .LBB230_36
; %bb.35:
	v_add_u32_e32 v1, s42, v19
	v_add_u32_e32 v2, s58, v19
	v_mul_lo_u32 v1, v1, s41
	v_mul_lo_u32 v2, v2, s43
	v_sub_u32_e32 v1, v1, v2
	v_cmp_lt_u32_e64 s[2:3], s59, v1
	s_and_b64 s[10:11], s[2:3], exec
.LBB230_36:
	s_or_b64 exec, exec, s[8:9]
	v_cndmask_b32_e64 v2, 0, 1, s[10:11]
	v_cndmask_b32_e64 v1, 0, 1, vcc
.LBB230_37:
	s_or_b64 exec, exec, s[4:5]
	v_lshlrev_b16_e32 v7, 8, v2
	v_add_u32_e32 v2, 1, v30
	v_cmp_le_u32_e32 vcc, s18, v2
	v_lshlrev_b16_e64 v4, 8, 0
                                        ; implicit-def: $vgpr3
                                        ; implicit-def: $vgpr5
                                        ; implicit-def: $vgpr6
                                        ; implicit-def: $vgpr2
                                        ; implicit-def: $vgpr8
	s_and_saveexec_b64 s[2:3], vcc
	s_xor_b64 s[2:3], exec, s[2:3]
; %bb.38:
	v_mov_b32_e32 v2, 8
	v_lshrrev_b32_sdwa v3, v2, v7 dst_sel:BYTE_1 dst_unused:UNUSED_PAD src0_sel:DWORD src1_sel:DWORD
	v_and_b32_e32 v8, 0xff, v1
	v_or_b32_sdwa v1, v7, v3 dst_sel:DWORD dst_unused:UNUSED_PAD src0_sel:BYTE_0 src1_sel:DWORD
	v_mov_b32_e32 v5, 0
	v_lshlrev_b16_e64 v4, 8, 0
	v_lshlrev_b16_e64 v2, 8, 0
	v_and_b32_e32 v6, 0xffff, v1
	v_lshlrev_b16_e64 v3, 8, 0
                                        ; implicit-def: $vgpr1
                                        ; implicit-def: $vgpr7
; %bb.39:
	s_andn2_saveexec_b64 s[4:5], s[2:3]
	s_cbranch_execz .LBB230_43
; %bb.40:
	v_add_u32_e32 v2, s37, v20
	v_add_u32_e32 v3, s39, v20
	v_mul_lo_u32 v2, v2, s36
	v_mul_lo_u32 v3, v3, s38
	s_mov_b64 s[8:9], 0
	v_sub_u32_e32 v2, v2, v3
	v_cmp_lt_u32_e32 vcc, s40, v2
	v_cmp_ge_u32_e64 s[2:3], s40, v2
	s_and_saveexec_b64 s[10:11], s[2:3]
	s_cbranch_execz .LBB230_42
; %bb.41:
	v_add_u32_e32 v2, s42, v20
	v_add_u32_e32 v3, s58, v20
	v_mul_lo_u32 v2, v2, s41
	v_mul_lo_u32 v3, v3, s43
	v_sub_u32_e32 v2, v2, v3
	v_cmp_lt_u32_e64 s[2:3], s59, v2
	s_and_b64 s[8:9], s[2:3], exec
.LBB230_42:
	s_or_b64 exec, exec, s[10:11]
	v_cndmask_b32_e64 v3, 0, 1, vcc
	v_lshlrev_b16_e32 v3, 8, v3
	v_or_b32_sdwa v1, v1, v3 dst_sel:DWORD dst_unused:UNUSED_PAD src0_sel:BYTE_0 src1_sel:DWORD
	v_and_b32_e32 v8, 0xffff, v1
	v_mov_b32_e32 v1, 8
	v_lshrrev_b32_sdwa v1, v1, v7 dst_sel:BYTE_1 dst_unused:UNUSED_PAD src0_sel:DWORD src1_sel:DWORD
	v_or_b32_sdwa v1, v7, v1 dst_sel:DWORD dst_unused:UNUSED_PAD src0_sel:BYTE_0 src1_sel:DWORD
	v_and_b32_e32 v1, 0xffff, v1
	v_cndmask_b32_e64 v3, 0, 1, s[8:9]
	v_mov_b32_e32 v2, 0
	v_mov_b32_e32 v5, 0
	v_lshl_or_b32 v6, v3, 16, v1
	v_lshlrev_b16_e64 v3, 8, 0
.LBB230_43:
	s_or_b64 exec, exec, s[4:5]
	v_add_u32_e32 v1, 2, v30
	v_cmp_le_u32_e32 vcc, s18, v1
	v_lshrrev_b32_e32 v21, 24, v8
                                        ; implicit-def: $vgpr1
                                        ; implicit-def: $vgpr7
	s_and_saveexec_b64 s[2:3], vcc
	s_xor_b64 s[2:3], exec, s[2:3]
	s_cbranch_execz .LBB230_45
; %bb.44:
	s_mov_b32 s4, 0x40c0100
	v_perm_b32 v7, v21, v8, s4
	v_mov_b32_e32 v8, 8
	v_lshrrev_b32_sdwa v8, v8, v7 dst_sel:BYTE_1 dst_unused:UNUSED_PAD src0_sel:DWORD src1_sel:DWORD
	v_or_b32_sdwa v8, v7, v8 dst_sel:DWORD dst_unused:UNUSED_PAD src0_sel:BYTE_0 src1_sel:DWORD
	v_and_b32_e32 v8, 0xffff, v8
	s_mov_b32 s4, 0xff000000
	v_and_or_b32 v7, v7, s4, v8
	s_mov_b32 s4, 0x3060504
	v_and_b32_e32 v1, 0xff0000, v6
	v_perm_b32 v4, v4, v4, s4
	s_mov_b32 s4, 0x3020504
	v_perm_b32 v1, v6, v1, s4
                                        ; implicit-def: $vgpr8
                                        ; implicit-def: $vgpr21
                                        ; implicit-def: $vgpr6
.LBB230_45:
	s_andn2_saveexec_b64 s[4:5], s[2:3]
	s_cbranch_execz .LBB230_49
; %bb.46:
	v_add_u32_e32 v1, s37, v17
	v_add_u32_e32 v7, s39, v17
	v_mul_lo_u32 v1, v1, s36
	v_mul_lo_u32 v7, v7, s38
	s_mov_b64 s[8:9], 0
	v_sub_u32_e32 v1, v1, v7
	v_cmp_lt_u32_e32 vcc, s40, v1
	v_cmp_ge_u32_e64 s[2:3], s40, v1
	s_and_saveexec_b64 s[10:11], s[2:3]
	s_cbranch_execz .LBB230_48
; %bb.47:
	v_add_u32_e32 v1, s42, v17
	v_add_u32_e32 v7, s58, v17
	v_mul_lo_u32 v1, v1, s41
	v_mul_lo_u32 v7, v7, s43
	v_sub_u32_e32 v1, v1, v7
	v_cmp_lt_u32_e64 s[2:3], s59, v1
	s_and_b64 s[8:9], s[2:3], exec
.LBB230_48:
	s_or_b64 exec, exec, s[10:11]
	v_mov_b32_e32 v23, 8
	v_lshrrev_b32_sdwa v7, v23, v8 dst_sel:BYTE_1 dst_unused:UNUSED_PAD src0_sel:DWORD src1_sel:DWORD
	v_cndmask_b32_e64 v1, 0, 1, vcc
	v_or_b32_sdwa v7, v8, v7 dst_sel:DWORD dst_unused:UNUSED_PAD src0_sel:BYTE_0 src1_sel:DWORD
	v_lshlrev_b16_e32 v8, 8, v21
	v_or_b32_sdwa v1, v1, v8 dst_sel:WORD_1 dst_unused:UNUSED_PAD src0_sel:DWORD src1_sel:DWORD
	v_cndmask_b32_e64 v22, 0, 1, s[8:9]
	s_movk_i32 s2, 0xff
	v_or_b32_sdwa v7, v7, v1 dst_sel:DWORD dst_unused:UNUSED_PAD src0_sel:WORD_0 src1_sel:DWORD
	v_lshrrev_b32_sdwa v1, v23, v6 dst_sel:BYTE_1 dst_unused:UNUSED_PAD src0_sel:DWORD src1_sel:DWORD
	v_or_b32_sdwa v1, v6, v1 dst_sel:DWORD dst_unused:UNUSED_PAD src0_sel:BYTE_0 src1_sel:DWORD
	v_lshlrev_b16_e32 v8, 8, v22
	v_and_b32_sdwa v6, v6, s2 dst_sel:DWORD dst_unused:UNUSED_PAD src0_sel:WORD_1 src1_sel:DWORD
	v_or_b32_sdwa v6, v6, v8 dst_sel:WORD_1 dst_unused:UNUSED_PAD src0_sel:DWORD src1_sel:DWORD
	v_or_b32_sdwa v1, v1, v6 dst_sel:DWORD dst_unused:UNUSED_PAD src0_sel:WORD_0 src1_sel:DWORD
.LBB230_49:
	s_or_b64 exec, exec, s[4:5]
	v_add_u32_e32 v6, 3, v30
	v_cmp_le_u32_e32 vcc, s18, v6
	v_lshrrev_b32_e32 v8, 24, v5
                                        ; implicit-def: $vgpr6
                                        ; implicit-def: $vgpr31
	s_and_saveexec_b64 s[2:3], vcc
	s_xor_b64 s[2:3], exec, s[2:3]
	s_cbranch_execz .LBB230_51
; %bb.50:
	v_and_b32_e32 v6, 0xff0000, v7
	s_mov_b32 s4, 0x3020504
	s_movk_i32 s5, 0xff
	v_perm_b32 v31, v7, v6, s4
	v_lshlrev_b16_e32 v6, 8, v8
	v_and_b32_sdwa v7, v5, s5 dst_sel:DWORD dst_unused:UNUSED_PAD src0_sel:WORD_1 src1_sel:DWORD
	s_mov_b32 s4, 0x3060504
	v_or_b32_sdwa v6, v7, v6 dst_sel:WORD_1 dst_unused:UNUSED_PAD src0_sel:DWORD src1_sel:DWORD
	v_mov_b32_e32 v7, 8
	v_perm_b32 v4, v4, v4, s4
	v_lshrrev_b32_sdwa v6, v7, v5 dst_sel:BYTE_1 dst_unused:UNUSED_PRESERVE src0_sel:DWORD src1_sel:DWORD
	v_perm_b32 v3, v3, v3, s4
                                        ; implicit-def: $vgpr7
                                        ; implicit-def: $vgpr8
                                        ; implicit-def: $vgpr5
.LBB230_51:
	s_andn2_saveexec_b64 s[4:5], s[2:3]
	s_cbranch_execz .LBB230_55
; %bb.52:
	v_add_u32_e32 v6, s37, v18
	v_add_u32_e32 v21, s39, v18
	v_mul_lo_u32 v6, v6, s36
	v_mul_lo_u32 v21, v21, s38
	s_mov_b64 s[8:9], 0
	v_sub_u32_e32 v6, v6, v21
	v_cmp_lt_u32_e32 vcc, s40, v6
	v_cmp_ge_u32_e64 s[2:3], s40, v6
	s_and_saveexec_b64 s[10:11], s[2:3]
	s_cbranch_execz .LBB230_54
; %bb.53:
	v_add_u32_e32 v6, s42, v18
	v_add_u32_e32 v21, s58, v18
	v_mul_lo_u32 v6, v6, s41
	v_mul_lo_u32 v21, v21, s43
	v_sub_u32_e32 v6, v6, v21
	v_cmp_lt_u32_e64 s[2:3], s59, v6
	s_and_b64 s[8:9], s[2:3], exec
.LBB230_54:
	s_or_b64 exec, exec, s[10:11]
	v_mov_b32_e32 v22, 8
	v_cndmask_b32_e64 v6, 0, 1, vcc
	s_movk_i32 s2, 0xff
	v_lshrrev_b32_sdwa v23, v22, v7 dst_sel:BYTE_1 dst_unused:UNUSED_PAD src0_sel:DWORD src1_sel:DWORD
	v_or_b32_sdwa v23, v7, v23 dst_sel:DWORD dst_unused:UNUSED_PAD src0_sel:BYTE_0 src1_sel:DWORD
	v_lshlrev_b16_e32 v6, 8, v6
	v_and_b32_sdwa v7, v7, s2 dst_sel:DWORD dst_unused:UNUSED_PAD src0_sel:WORD_1 src1_sel:DWORD
	v_or_b32_sdwa v6, v7, v6 dst_sel:WORD_1 dst_unused:UNUSED_PAD src0_sel:DWORD src1_sel:DWORD
	v_cndmask_b32_e64 v21, 0, 1, s[8:9]
	v_or_b32_sdwa v31, v23, v6 dst_sel:DWORD dst_unused:UNUSED_PAD src0_sel:WORD_0 src1_sel:DWORD
	v_lshlrev_b16_e32 v6, 8, v8
	v_and_b32_sdwa v7, v5, s2 dst_sel:DWORD dst_unused:UNUSED_PAD src0_sel:WORD_1 src1_sel:DWORD
	v_lshrrev_b32_sdwa v5, v22, v5 dst_sel:BYTE_1 dst_unused:UNUSED_PAD src0_sel:DWORD src1_sel:DWORD
	v_or_b32_sdwa v6, v7, v6 dst_sel:WORD_1 dst_unused:UNUSED_PAD src0_sel:DWORD src1_sel:DWORD
	v_or_b32_e32 v5, v21, v5
	v_or_b32_sdwa v6, v5, v6 dst_sel:DWORD dst_unused:UNUSED_PAD src0_sel:WORD_0 src1_sel:DWORD
.LBB230_55:
	s_or_b64 exec, exec, s[4:5]
	v_add_u32_e32 v5, 4, v30
	v_cmp_le_u32_e32 vcc, s18, v5
	v_lshrrev_b32_e32 v21, 24, v4
	v_lshrrev_b32_e32 v8, 24, v6
                                        ; implicit-def: $vgpr7
                                        ; implicit-def: $vgpr5
	s_and_saveexec_b64 s[2:3], vcc
	s_xor_b64 s[2:3], exec, s[2:3]
	s_cbranch_execz .LBB230_57
; %bb.56:
	s_movk_i32 s4, 0xff
	v_lshlrev_b16_e32 v5, 8, v21
	v_and_b32_sdwa v21, v4, s4 dst_sel:DWORD dst_unused:UNUSED_PAD src0_sel:WORD_1 src1_sel:DWORD
	v_mov_b32_e32 v7, 8
	v_or_b32_sdwa v5, v21, v5 dst_sel:WORD_1 dst_unused:UNUSED_PAD src0_sel:DWORD src1_sel:DWORD
	v_lshrrev_b32_sdwa v5, v7, v4 dst_sel:BYTE_1 dst_unused:UNUSED_PRESERVE src0_sel:DWORD src1_sel:DWORD
	v_lshlrev_b16_e32 v4, 8, v8
	v_and_b32_sdwa v7, v6, s4 dst_sel:DWORD dst_unused:UNUSED_PAD src0_sel:WORD_1 src1_sel:DWORD
	v_or_b32_e32 v4, v7, v4
	s_mov_b32 s4, 0x5040c00
	v_perm_b32 v7, v4, v6, s4
	s_mov_b32 s4, 0x3060504
	v_perm_b32 v3, v3, v3, s4
                                        ; implicit-def: $vgpr21
                                        ; implicit-def: $vgpr4
                                        ; implicit-def: $vgpr6
                                        ; implicit-def: $vgpr8
.LBB230_57:
	s_andn2_saveexec_b64 s[4:5], s[2:3]
	s_cbranch_execz .LBB230_61
; %bb.58:
	v_add_u32_e32 v5, s37, v15
	v_add_u32_e32 v7, s39, v15
	v_mul_lo_u32 v5, v5, s36
	v_mul_lo_u32 v7, v7, s38
	s_mov_b64 s[8:9], 0
	v_sub_u32_e32 v5, v5, v7
	v_cmp_lt_u32_e32 vcc, s40, v5
	v_cmp_ge_u32_e64 s[2:3], s40, v5
	s_and_saveexec_b64 s[10:11], s[2:3]
	s_cbranch_execz .LBB230_60
; %bb.59:
	v_add_u32_e32 v5, s42, v15
	v_add_u32_e32 v7, s58, v15
	v_mul_lo_u32 v5, v5, s41
	v_mul_lo_u32 v7, v7, s43
	v_sub_u32_e32 v5, v5, v7
	v_cmp_lt_u32_e64 s[2:3], s59, v5
	s_and_b64 s[8:9], s[2:3], exec
.LBB230_60:
	s_or_b64 exec, exec, s[10:11]
	s_movk_i32 s2, 0xff
	v_lshlrev_b16_e32 v21, 8, v21
	v_and_b32_sdwa v22, v4, s2 dst_sel:DWORD dst_unused:UNUSED_PAD src0_sel:WORD_1 src1_sel:DWORD
	v_or_b32_sdwa v21, v22, v21 dst_sel:WORD_1 dst_unused:UNUSED_PAD src0_sel:DWORD src1_sel:DWORD
	v_mov_b32_e32 v22, 8
	v_cndmask_b32_e64 v5, 0, 1, vcc
	v_lshrrev_b32_sdwa v4, v22, v4 dst_sel:BYTE_1 dst_unused:UNUSED_PAD src0_sel:DWORD src1_sel:DWORD
	v_cndmask_b32_e64 v7, 0, 1, s[8:9]
	v_or_b32_e32 v4, v5, v4
	v_or_b32_sdwa v5, v4, v21 dst_sel:DWORD dst_unused:UNUSED_PAD src0_sel:WORD_0 src1_sel:DWORD
	v_lshlrev_b16_e32 v4, 8, v7
	v_or_b32_sdwa v4, v6, v4 dst_sel:DWORD dst_unused:UNUSED_PAD src0_sel:BYTE_0 src1_sel:DWORD
	v_lshlrev_b16_e32 v7, 8, v8
	v_and_b32_sdwa v6, v6, s2 dst_sel:DWORD dst_unused:UNUSED_PAD src0_sel:WORD_1 src1_sel:DWORD
	v_or_b32_sdwa v6, v6, v7 dst_sel:WORD_1 dst_unused:UNUSED_PAD src0_sel:DWORD src1_sel:DWORD
	v_or_b32_sdwa v7, v4, v6 dst_sel:DWORD dst_unused:UNUSED_PAD src0_sel:WORD_0 src1_sel:DWORD
.LBB230_61:
	s_or_b64 exec, exec, s[4:5]
	v_add_u32_e32 v4, 5, v30
	v_cmp_le_u32_e32 vcc, s18, v4
	v_lshrrev_b32_e32 v8, 24, v7
	v_lshrrev_b32_e32 v21, 24, v5
                                        ; implicit-def: $vgpr4
                                        ; implicit-def: $vgpr6
	s_and_saveexec_b64 s[2:3], vcc
	s_xor_b64 s[2:3], exec, s[2:3]
	s_cbranch_execz .LBB230_63
; %bb.62:
	s_mov_b32 s4, 0x40c0100
	v_perm_b32 v4, v8, v7, s4
	s_movk_i32 s4, 0xff
	v_lshlrev_b16_e32 v6, 8, v21
	v_and_b32_sdwa v7, v5, s4 dst_sel:DWORD dst_unused:UNUSED_PAD src0_sel:WORD_1 src1_sel:DWORD
	v_or_b32_e32 v6, v7, v6
	s_mov_b32 s4, 0x5040c00
	v_perm_b32 v6, v6, v5, s4
	v_mov_b32_e32 v5, 8
	v_lshrrev_b32_sdwa v5, v5, v4 dst_sel:BYTE_1 dst_unused:UNUSED_PAD src0_sel:DWORD src1_sel:DWORD
	v_or_b32_sdwa v5, v4, v5 dst_sel:DWORD dst_unused:UNUSED_PAD src0_sel:BYTE_0 src1_sel:DWORD
	v_and_b32_e32 v5, 0xffff, v5
	s_mov_b32 s4, 0xff000000
	v_and_or_b32 v4, v4, s4, v5
	s_mov_b32 s4, 0x3060504
	v_perm_b32 v3, v3, v3, s4
                                        ; implicit-def: $vgpr5
                                        ; implicit-def: $vgpr21
                                        ; implicit-def: $vgpr7
                                        ; implicit-def: $vgpr8
.LBB230_63:
	s_andn2_saveexec_b64 s[4:5], s[2:3]
	s_cbranch_execz .LBB230_67
; %bb.64:
	v_add_u32_e32 v4, s37, v16
	v_add_u32_e32 v6, s39, v16
	v_mul_lo_u32 v4, v4, s36
	v_mul_lo_u32 v6, v6, s38
	s_mov_b64 s[8:9], 0
	v_sub_u32_e32 v4, v4, v6
	v_cmp_lt_u32_e32 vcc, s40, v4
	v_cmp_ge_u32_e64 s[2:3], s40, v4
	s_and_saveexec_b64 s[10:11], s[2:3]
	s_cbranch_execz .LBB230_66
; %bb.65:
	v_add_u32_e32 v4, s42, v16
	v_add_u32_e32 v6, s58, v16
	v_mul_lo_u32 v4, v4, s41
	v_mul_lo_u32 v6, v6, s43
	v_sub_u32_e32 v4, v4, v6
	v_cmp_lt_u32_e64 s[2:3], s59, v4
	s_and_b64 s[8:9], s[2:3], exec
.LBB230_66:
	s_or_b64 exec, exec, s[10:11]
	v_cndmask_b32_e64 v4, 0, 1, vcc
	v_lshlrev_b16_e32 v4, 8, v4
	s_movk_i32 s2, 0xff
	v_or_b32_sdwa v4, v5, v4 dst_sel:DWORD dst_unused:UNUSED_PAD src0_sel:BYTE_0 src1_sel:DWORD
	v_lshlrev_b16_e32 v6, 8, v21
	v_and_b32_sdwa v5, v5, s2 dst_sel:DWORD dst_unused:UNUSED_PAD src0_sel:WORD_1 src1_sel:DWORD
	v_or_b32_sdwa v5, v5, v6 dst_sel:WORD_1 dst_unused:UNUSED_PAD src0_sel:DWORD src1_sel:DWORD
	v_or_b32_sdwa v6, v4, v5 dst_sel:DWORD dst_unused:UNUSED_PAD src0_sel:WORD_0 src1_sel:DWORD
	v_mov_b32_e32 v4, 8
	v_cndmask_b32_e64 v22, 0, 1, s[8:9]
	v_lshrrev_b32_sdwa v4, v4, v7 dst_sel:BYTE_1 dst_unused:UNUSED_PAD src0_sel:DWORD src1_sel:DWORD
	v_lshlrev_b16_e32 v5, 8, v8
	v_or_b32_sdwa v4, v7, v4 dst_sel:DWORD dst_unused:UNUSED_PAD src0_sel:BYTE_0 src1_sel:DWORD
	v_or_b32_sdwa v5, v22, v5 dst_sel:WORD_1 dst_unused:UNUSED_PAD src0_sel:DWORD src1_sel:DWORD
	v_or_b32_sdwa v4, v4, v5 dst_sel:DWORD dst_unused:UNUSED_PAD src0_sel:WORD_0 src1_sel:DWORD
.LBB230_67:
	s_or_b64 exec, exec, s[4:5]
	v_add_u32_e32 v5, 6, v30
	v_cmp_le_u32_e32 vcc, s18, v5
	v_lshrrev_b32_e32 v7, 24, v6
                                        ; implicit-def: $vgpr32
                                        ; implicit-def: $vgpr5
	s_and_saveexec_b64 s[2:3], vcc
	s_xor_b64 s[2:3], exec, s[2:3]
	s_cbranch_execz .LBB230_69
; %bb.68:
	s_mov_b32 s4, 0x40c0100
	v_perm_b32 v5, v7, v6, s4
	v_mov_b32_e32 v6, 8
	v_lshrrev_b32_sdwa v6, v6, v5 dst_sel:BYTE_1 dst_unused:UNUSED_PAD src0_sel:DWORD src1_sel:DWORD
	v_or_b32_sdwa v6, v5, v6 dst_sel:DWORD dst_unused:UNUSED_PAD src0_sel:BYTE_0 src1_sel:DWORD
	v_and_b32_e32 v6, 0xffff, v6
	s_mov_b32 s4, 0xff000000
	v_and_b32_e32 v8, 0xff0000, v4
	v_and_or_b32 v5, v5, s4, v6
	s_mov_b32 s4, 0x3020504
	v_perm_b32 v32, v4, v8, s4
	s_mov_b32 s4, 0x3060504
	v_perm_b32 v3, v3, v3, s4
                                        ; implicit-def: $vgpr6
                                        ; implicit-def: $vgpr7
                                        ; implicit-def: $vgpr4
.LBB230_69:
	s_andn2_saveexec_b64 s[4:5], s[2:3]
	s_cbranch_execz .LBB230_73
; %bb.70:
	v_add_u32_e32 v5, s37, v13
	v_add_u32_e32 v8, s39, v13
	v_mul_lo_u32 v5, v5, s36
	v_mul_lo_u32 v8, v8, s38
	s_mov_b64 s[8:9], 0
	v_sub_u32_e32 v5, v5, v8
	v_cmp_lt_u32_e32 vcc, s40, v5
	v_cmp_ge_u32_e64 s[2:3], s40, v5
	s_and_saveexec_b64 s[10:11], s[2:3]
	s_cbranch_execz .LBB230_72
; %bb.71:
	v_add_u32_e32 v5, s42, v13
	v_add_u32_e32 v8, s58, v13
	v_mul_lo_u32 v5, v5, s41
	v_mul_lo_u32 v8, v8, s43
	v_sub_u32_e32 v5, v5, v8
	v_cmp_lt_u32_e64 s[2:3], s59, v5
	s_and_b64 s[8:9], s[2:3], exec
.LBB230_72:
	s_or_b64 exec, exec, s[10:11]
	v_mov_b32_e32 v21, 8
	v_cndmask_b32_e64 v5, 0, 1, vcc
	v_lshrrev_b32_sdwa v22, v21, v6 dst_sel:BYTE_1 dst_unused:UNUSED_PAD src0_sel:DWORD src1_sel:DWORD
	v_lshlrev_b16_e32 v7, 8, v7
	v_or_b32_sdwa v6, v6, v22 dst_sel:DWORD dst_unused:UNUSED_PAD src0_sel:BYTE_0 src1_sel:DWORD
	v_or_b32_sdwa v5, v5, v7 dst_sel:WORD_1 dst_unused:UNUSED_PAD src0_sel:DWORD src1_sel:DWORD
	v_cndmask_b32_e64 v8, 0, 1, s[8:9]
	s_movk_i32 s2, 0xff
	v_or_b32_sdwa v5, v6, v5 dst_sel:DWORD dst_unused:UNUSED_PAD src0_sel:WORD_0 src1_sel:DWORD
	v_lshrrev_b32_sdwa v6, v21, v4 dst_sel:BYTE_1 dst_unused:UNUSED_PAD src0_sel:DWORD src1_sel:DWORD
	v_or_b32_sdwa v6, v4, v6 dst_sel:DWORD dst_unused:UNUSED_PAD src0_sel:BYTE_0 src1_sel:DWORD
	v_lshlrev_b16_e32 v7, 8, v8
	v_and_b32_sdwa v4, v4, s2 dst_sel:DWORD dst_unused:UNUSED_PAD src0_sel:WORD_1 src1_sel:DWORD
	v_or_b32_sdwa v4, v4, v7 dst_sel:WORD_1 dst_unused:UNUSED_PAD src0_sel:DWORD src1_sel:DWORD
	v_or_b32_sdwa v32, v6, v4 dst_sel:DWORD dst_unused:UNUSED_PAD src0_sel:WORD_0 src1_sel:DWORD
.LBB230_73:
	s_or_b64 exec, exec, s[4:5]
	v_add_u32_e32 v4, 7, v30
	v_cmp_le_u32_e32 vcc, s18, v4
	v_lshrrev_b32_e32 v6, 24, v3
                                        ; implicit-def: $vgpr4
                                        ; implicit-def: $vgpr33
	s_and_saveexec_b64 s[2:3], vcc
	s_xor_b64 s[2:3], exec, s[2:3]
; %bb.74:
	v_and_b32_e32 v4, 0xff0000, v5
	s_mov_b32 s4, 0x3020504
	v_perm_b32 v33, v5, v4, s4
	s_movk_i32 s4, 0xff
	v_lshlrev_b16_e32 v4, 8, v6
	v_and_b32_sdwa v5, v3, s4 dst_sel:DWORD dst_unused:UNUSED_PAD src0_sel:WORD_1 src1_sel:DWORD
	v_mov_b32_e32 v7, 8
	v_or_b32_sdwa v4, v5, v4 dst_sel:WORD_1 dst_unused:UNUSED_PAD src0_sel:DWORD src1_sel:DWORD
	v_lshrrev_b32_sdwa v4, v7, v3 dst_sel:BYTE_1 dst_unused:UNUSED_PRESERVE src0_sel:DWORD src1_sel:DWORD
                                        ; implicit-def: $vgpr5
                                        ; implicit-def: $vgpr6
                                        ; implicit-def: $vgpr3
; %bb.75:
	s_andn2_saveexec_b64 s[4:5], s[2:3]
	s_cbranch_execz .LBB230_79
; %bb.76:
	v_add_u32_e32 v4, s37, v14
	v_add_u32_e32 v7, s39, v14
	v_mul_lo_u32 v4, v4, s36
	v_mul_lo_u32 v7, v7, s38
	s_mov_b64 s[8:9], 0
	v_sub_u32_e32 v4, v4, v7
	v_cmp_lt_u32_e32 vcc, s40, v4
	v_cmp_ge_u32_e64 s[2:3], s40, v4
	s_and_saveexec_b64 s[10:11], s[2:3]
	s_cbranch_execz .LBB230_78
; %bb.77:
	v_add_u32_e32 v4, s42, v14
	v_add_u32_e32 v7, s58, v14
	v_mul_lo_u32 v4, v4, s41
	v_mul_lo_u32 v7, v7, s43
	v_sub_u32_e32 v4, v4, v7
	v_cmp_lt_u32_e64 s[2:3], s59, v4
	s_and_b64 s[8:9], s[2:3], exec
.LBB230_78:
	s_or_b64 exec, exec, s[10:11]
	v_mov_b32_e32 v8, 8
	v_cndmask_b32_e64 v4, 0, 1, vcc
	s_movk_i32 s2, 0xff
	v_lshrrev_b32_sdwa v21, v8, v5 dst_sel:BYTE_1 dst_unused:UNUSED_PAD src0_sel:DWORD src1_sel:DWORD
	v_or_b32_sdwa v21, v5, v21 dst_sel:DWORD dst_unused:UNUSED_PAD src0_sel:BYTE_0 src1_sel:DWORD
	v_lshlrev_b16_e32 v4, 8, v4
	v_and_b32_sdwa v5, v5, s2 dst_sel:DWORD dst_unused:UNUSED_PAD src0_sel:WORD_1 src1_sel:DWORD
	v_or_b32_sdwa v4, v5, v4 dst_sel:WORD_1 dst_unused:UNUSED_PAD src0_sel:DWORD src1_sel:DWORD
	v_cndmask_b32_e64 v7, 0, 1, s[8:9]
	v_or_b32_sdwa v33, v21, v4 dst_sel:DWORD dst_unused:UNUSED_PAD src0_sel:WORD_0 src1_sel:DWORD
	v_lshlrev_b16_e32 v4, 8, v6
	v_and_b32_sdwa v5, v3, s2 dst_sel:DWORD dst_unused:UNUSED_PAD src0_sel:WORD_1 src1_sel:DWORD
	v_lshrrev_b32_sdwa v3, v8, v3 dst_sel:BYTE_1 dst_unused:UNUSED_PAD src0_sel:DWORD src1_sel:DWORD
	v_or_b32_sdwa v4, v5, v4 dst_sel:WORD_1 dst_unused:UNUSED_PAD src0_sel:DWORD src1_sel:DWORD
	v_or_b32_e32 v3, v7, v3
	v_or_b32_sdwa v4, v3, v4 dst_sel:DWORD dst_unused:UNUSED_PAD src0_sel:WORD_0 src1_sel:DWORD
.LBB230_79:
	s_or_b64 exec, exec, s[4:5]
	v_add_u32_e32 v3, 8, v30
	v_cmp_le_u32_e32 vcc, s18, v3
	v_lshrrev_b32_e32 v6, 24, v4
	v_lshrrev_b32_e32 v7, 24, v2
                                        ; implicit-def: $vgpr5
                                        ; implicit-def: $vgpr3
	s_and_saveexec_b64 s[2:3], vcc
	s_xor_b64 s[2:3], exec, s[2:3]
	s_cbranch_execz .LBB230_81
; %bb.80:
	s_movk_i32 s4, 0xff
	v_lshlrev_b16_e32 v3, 8, v7
	v_and_b32_sdwa v5, v2, s4 dst_sel:DWORD dst_unused:UNUSED_PAD src0_sel:WORD_1 src1_sel:DWORD
	v_or_b32_sdwa v3, v5, v3 dst_sel:WORD_1 dst_unused:UNUSED_PAD src0_sel:DWORD src1_sel:DWORD
	v_mov_b32_e32 v5, 8
	v_lshrrev_b32_sdwa v3, v5, v2 dst_sel:BYTE_1 dst_unused:UNUSED_PRESERVE src0_sel:DWORD src1_sel:DWORD
	v_lshlrev_b16_e32 v2, 8, v6
	v_and_b32_sdwa v5, v4, s4 dst_sel:DWORD dst_unused:UNUSED_PAD src0_sel:WORD_1 src1_sel:DWORD
	s_mov_b32 s5, 0x3060504
	v_or_b32_e32 v2, v5, v2
	s_mov_b32 s4, 0x5040c00
	v_perm_b32 v1, v1, v1, s5
	v_perm_b32 v5, v2, v4, s4
                                        ; implicit-def: $vgpr7
                                        ; implicit-def: $vgpr2
                                        ; implicit-def: $vgpr4
                                        ; implicit-def: $vgpr6
.LBB230_81:
	s_andn2_saveexec_b64 s[4:5], s[2:3]
	s_cbranch_execz .LBB230_85
; %bb.82:
	v_add_u32_e32 v3, s37, v11
	v_add_u32_e32 v5, s39, v11
	v_mul_lo_u32 v3, v3, s36
	v_mul_lo_u32 v5, v5, s38
	s_mov_b64 s[8:9], 0
	v_sub_u32_e32 v3, v3, v5
	v_cmp_lt_u32_e32 vcc, s40, v3
	v_cmp_ge_u32_e64 s[2:3], s40, v3
	s_and_saveexec_b64 s[10:11], s[2:3]
	s_cbranch_execz .LBB230_84
; %bb.83:
	v_add_u32_e32 v3, s42, v11
	v_add_u32_e32 v5, s58, v11
	v_mul_lo_u32 v3, v3, s41
	v_mul_lo_u32 v5, v5, s43
	v_sub_u32_e32 v3, v3, v5
	v_cmp_lt_u32_e64 s[2:3], s59, v3
	s_and_b64 s[8:9], s[2:3], exec
.LBB230_84:
	s_or_b64 exec, exec, s[10:11]
	s_movk_i32 s2, 0xff
	v_lshlrev_b16_e32 v7, 8, v7
	v_and_b32_sdwa v8, v2, s2 dst_sel:DWORD dst_unused:UNUSED_PAD src0_sel:WORD_1 src1_sel:DWORD
	v_or_b32_sdwa v7, v8, v7 dst_sel:WORD_1 dst_unused:UNUSED_PAD src0_sel:DWORD src1_sel:DWORD
	v_mov_b32_e32 v8, 8
	v_cndmask_b32_e64 v3, 0, 1, vcc
	v_lshrrev_b32_sdwa v2, v8, v2 dst_sel:BYTE_1 dst_unused:UNUSED_PAD src0_sel:DWORD src1_sel:DWORD
	v_cndmask_b32_e64 v5, 0, 1, s[8:9]
	v_or_b32_e32 v2, v3, v2
	v_or_b32_sdwa v3, v2, v7 dst_sel:DWORD dst_unused:UNUSED_PAD src0_sel:WORD_0 src1_sel:DWORD
	v_lshlrev_b16_e32 v2, 8, v5
	v_or_b32_sdwa v2, v4, v2 dst_sel:DWORD dst_unused:UNUSED_PAD src0_sel:BYTE_0 src1_sel:DWORD
	v_lshlrev_b16_e32 v5, 8, v6
	v_and_b32_sdwa v4, v4, s2 dst_sel:DWORD dst_unused:UNUSED_PAD src0_sel:WORD_1 src1_sel:DWORD
	v_or_b32_sdwa v4, v4, v5 dst_sel:WORD_1 dst_unused:UNUSED_PAD src0_sel:DWORD src1_sel:DWORD
	v_or_b32_sdwa v5, v2, v4 dst_sel:DWORD dst_unused:UNUSED_PAD src0_sel:WORD_0 src1_sel:DWORD
.LBB230_85:
	s_or_b64 exec, exec, s[4:5]
	v_add_u32_e32 v2, 9, v30
	v_cmp_le_u32_e32 vcc, s18, v2
	v_lshrrev_b32_e32 v6, 24, v5
	v_lshrrev_b32_e32 v7, 24, v3
                                        ; implicit-def: $vgpr2
                                        ; implicit-def: $vgpr4
	s_and_saveexec_b64 s[2:3], vcc
	s_xor_b64 s[2:3], exec, s[2:3]
	s_cbranch_execz .LBB230_87
; %bb.86:
	s_mov_b32 s4, 0x40c0100
	v_perm_b32 v2, v6, v5, s4
	v_mov_b32_e32 v4, 8
	s_movk_i32 s4, 0xff
	v_lshrrev_b32_sdwa v5, v4, v2 dst_sel:BYTE_1 dst_unused:UNUSED_PAD src0_sel:DWORD src1_sel:DWORD
	v_lshlrev_b16_e32 v4, 8, v7
	v_and_b32_sdwa v6, v3, s4 dst_sel:DWORD dst_unused:UNUSED_PAD src0_sel:WORD_1 src1_sel:DWORD
	v_or_b32_e32 v4, v6, v4
	s_mov_b32 s4, 0x5040c00
	v_perm_b32 v4, v4, v3, s4
	s_mov_b32 s4, 0x3060504
	v_or_b32_sdwa v3, v2, v5 dst_sel:DWORD dst_unused:UNUSED_PAD src0_sel:BYTE_0 src1_sel:DWORD
	v_perm_b32 v1, v1, v1, s4
	v_and_b32_e32 v3, 0xffff, v3
	s_mov_b32 s4, 0xff000000
	v_and_or_b32 v2, v2, s4, v3
                                        ; implicit-def: $vgpr3
                                        ; implicit-def: $vgpr7
                                        ; implicit-def: $vgpr5
                                        ; implicit-def: $vgpr6
.LBB230_87:
	s_andn2_saveexec_b64 s[4:5], s[2:3]
	s_cbranch_execz .LBB230_91
; %bb.88:
	v_add_u32_e32 v2, s37, v12
	v_add_u32_e32 v4, s39, v12
	v_mul_lo_u32 v2, v2, s36
	v_mul_lo_u32 v4, v4, s38
	s_mov_b64 s[8:9], 0
	v_sub_u32_e32 v2, v2, v4
	v_cmp_lt_u32_e32 vcc, s40, v2
	v_cmp_ge_u32_e64 s[2:3], s40, v2
	s_and_saveexec_b64 s[10:11], s[2:3]
	s_cbranch_execz .LBB230_90
; %bb.89:
	v_add_u32_e32 v2, s42, v12
	v_add_u32_e32 v4, s58, v12
	v_mul_lo_u32 v2, v2, s41
	v_mul_lo_u32 v4, v4, s43
	v_sub_u32_e32 v2, v2, v4
	v_cmp_lt_u32_e64 s[2:3], s59, v2
	s_and_b64 s[8:9], s[2:3], exec
.LBB230_90:
	s_or_b64 exec, exec, s[10:11]
	v_cndmask_b32_e64 v2, 0, 1, vcc
	v_lshlrev_b16_e32 v2, 8, v2
	s_movk_i32 s2, 0xff
	v_or_b32_sdwa v2, v3, v2 dst_sel:DWORD dst_unused:UNUSED_PAD src0_sel:BYTE_0 src1_sel:DWORD
	v_lshlrev_b16_e32 v4, 8, v7
	v_and_b32_sdwa v3, v3, s2 dst_sel:DWORD dst_unused:UNUSED_PAD src0_sel:WORD_1 src1_sel:DWORD
	v_or_b32_sdwa v3, v3, v4 dst_sel:WORD_1 dst_unused:UNUSED_PAD src0_sel:DWORD src1_sel:DWORD
	v_or_b32_sdwa v4, v2, v3 dst_sel:DWORD dst_unused:UNUSED_PAD src0_sel:WORD_0 src1_sel:DWORD
	v_mov_b32_e32 v2, 8
	v_cndmask_b32_e64 v8, 0, 1, s[8:9]
	v_lshrrev_b32_sdwa v2, v2, v5 dst_sel:BYTE_1 dst_unused:UNUSED_PAD src0_sel:DWORD src1_sel:DWORD
	v_lshlrev_b16_e32 v3, 8, v6
	v_or_b32_sdwa v2, v5, v2 dst_sel:DWORD dst_unused:UNUSED_PAD src0_sel:BYTE_0 src1_sel:DWORD
	v_or_b32_sdwa v3, v8, v3 dst_sel:WORD_1 dst_unused:UNUSED_PAD src0_sel:DWORD src1_sel:DWORD
	v_or_b32_sdwa v2, v2, v3 dst_sel:DWORD dst_unused:UNUSED_PAD src0_sel:WORD_0 src1_sel:DWORD
.LBB230_91:
	s_or_b64 exec, exec, s[4:5]
	v_add_u32_e32 v3, 10, v30
	v_cmp_le_u32_e32 vcc, s18, v3
	v_lshrrev_b32_e32 v5, 24, v4
                                        ; implicit-def: $vgpr34
                                        ; implicit-def: $vgpr3
	s_and_saveexec_b64 s[2:3], vcc
	s_xor_b64 s[2:3], exec, s[2:3]
	s_cbranch_execz .LBB230_93
; %bb.92:
	s_mov_b32 s4, 0x40c0100
	v_perm_b32 v3, v5, v4, s4
	v_mov_b32_e32 v4, 8
	v_lshrrev_b32_sdwa v4, v4, v3 dst_sel:BYTE_1 dst_unused:UNUSED_PAD src0_sel:DWORD src1_sel:DWORD
	v_or_b32_sdwa v4, v3, v4 dst_sel:DWORD dst_unused:UNUSED_PAD src0_sel:BYTE_0 src1_sel:DWORD
	v_and_b32_e32 v4, 0xffff, v4
	s_mov_b32 s4, 0xff000000
	v_and_or_b32 v3, v3, s4, v4
	s_mov_b32 s4, 0x3060504
	v_and_b32_e32 v6, 0xff0000, v2
	v_perm_b32 v1, v1, v1, s4
	s_mov_b32 s4, 0x3020504
	v_perm_b32 v34, v2, v6, s4
                                        ; implicit-def: $vgpr4
                                        ; implicit-def: $vgpr5
                                        ; implicit-def: $vgpr2
.LBB230_93:
	s_andn2_saveexec_b64 s[4:5], s[2:3]
	s_cbranch_execz .LBB230_97
; %bb.94:
	v_add_u32_e32 v3, s37, v9
	v_add_u32_e32 v6, s39, v9
	v_mul_lo_u32 v3, v3, s36
	v_mul_lo_u32 v6, v6, s38
	s_mov_b64 s[8:9], 0
	v_sub_u32_e32 v3, v3, v6
	v_cmp_lt_u32_e32 vcc, s40, v3
	v_cmp_ge_u32_e64 s[2:3], s40, v3
	s_and_saveexec_b64 s[10:11], s[2:3]
	s_cbranch_execz .LBB230_96
; %bb.95:
	v_add_u32_e32 v3, s42, v9
	v_add_u32_e32 v6, s58, v9
	v_mul_lo_u32 v3, v3, s41
	v_mul_lo_u32 v6, v6, s43
	v_sub_u32_e32 v3, v3, v6
	v_cmp_lt_u32_e64 s[2:3], s59, v3
	s_and_b64 s[8:9], s[2:3], exec
.LBB230_96:
	s_or_b64 exec, exec, s[10:11]
	v_mov_b32_e32 v7, 8
	v_cndmask_b32_e64 v3, 0, 1, vcc
	v_lshrrev_b32_sdwa v8, v7, v4 dst_sel:BYTE_1 dst_unused:UNUSED_PAD src0_sel:DWORD src1_sel:DWORD
	v_lshlrev_b16_e32 v5, 8, v5
	v_or_b32_sdwa v4, v4, v8 dst_sel:DWORD dst_unused:UNUSED_PAD src0_sel:BYTE_0 src1_sel:DWORD
	v_or_b32_sdwa v3, v3, v5 dst_sel:WORD_1 dst_unused:UNUSED_PAD src0_sel:DWORD src1_sel:DWORD
	v_cndmask_b32_e64 v6, 0, 1, s[8:9]
	s_movk_i32 s2, 0xff
	v_or_b32_sdwa v3, v4, v3 dst_sel:DWORD dst_unused:UNUSED_PAD src0_sel:WORD_0 src1_sel:DWORD
	v_lshrrev_b32_sdwa v4, v7, v2 dst_sel:BYTE_1 dst_unused:UNUSED_PAD src0_sel:DWORD src1_sel:DWORD
	v_or_b32_sdwa v4, v2, v4 dst_sel:DWORD dst_unused:UNUSED_PAD src0_sel:BYTE_0 src1_sel:DWORD
	v_lshlrev_b16_e32 v5, 8, v6
	v_and_b32_sdwa v2, v2, s2 dst_sel:DWORD dst_unused:UNUSED_PAD src0_sel:WORD_1 src1_sel:DWORD
	v_or_b32_sdwa v2, v2, v5 dst_sel:WORD_1 dst_unused:UNUSED_PAD src0_sel:DWORD src1_sel:DWORD
	v_or_b32_sdwa v34, v4, v2 dst_sel:DWORD dst_unused:UNUSED_PAD src0_sel:WORD_0 src1_sel:DWORD
.LBB230_97:
	s_or_b64 exec, exec, s[4:5]
	v_add_u32_e32 v2, 11, v30
	v_mov_b32_e32 v35, 0
	v_cmp_le_u32_e32 vcc, s18, v2
                                        ; implicit-def: $vgpr36
	s_and_saveexec_b64 s[2:3], vcc
	s_xor_b64 s[2:3], exec, s[2:3]
; %bb.98:
	v_and_b32_e32 v2, 0xff0000, v3
	s_mov_b32 s4, 0x3020504
	v_perm_b32 v36, v3, v2, s4
	s_mov_b32 s4, 0x3060504
	v_perm_b32 v1, v1, v1, s4
                                        ; implicit-def: $vgpr3
; %bb.99:
	s_andn2_saveexec_b64 s[4:5], s[2:3]
	s_cbranch_execz .LBB230_103
; %bb.100:
	v_add_u32_e32 v2, s37, v10
	v_add_u32_e32 v4, s39, v10
	v_mul_lo_u32 v2, v2, s36
	v_mul_lo_u32 v4, v4, s38
	s_mov_b64 s[8:9], 0
	v_sub_u32_e32 v2, v2, v4
	v_cmp_lt_u32_e32 vcc, s40, v2
	v_cmp_ge_u32_e64 s[2:3], s40, v2
	s_and_saveexec_b64 s[10:11], s[2:3]
	s_cbranch_execz .LBB230_102
; %bb.101:
	v_add_u32_e32 v2, s42, v10
	v_add_u32_e32 v4, s58, v10
	v_mul_lo_u32 v2, v2, s41
	v_mul_lo_u32 v4, v4, s43
	v_sub_u32_e32 v2, v2, v4
	v_cmp_lt_u32_e64 s[2:3], s59, v2
	s_and_b64 s[8:9], s[2:3], exec
.LBB230_102:
	s_or_b64 exec, exec, s[10:11]
	v_mov_b32_e32 v4, 8
	v_cndmask_b32_e64 v2, 0, 1, vcc
	s_movk_i32 s2, 0xff
	v_lshrrev_b32_sdwa v4, v4, v3 dst_sel:BYTE_1 dst_unused:UNUSED_PAD src0_sel:DWORD src1_sel:DWORD
	v_or_b32_sdwa v4, v3, v4 dst_sel:DWORD dst_unused:UNUSED_PAD src0_sel:BYTE_0 src1_sel:DWORD
	v_lshlrev_b16_e32 v2, 8, v2
	v_and_b32_sdwa v3, v3, s2 dst_sel:DWORD dst_unused:UNUSED_PAD src0_sel:WORD_1 src1_sel:DWORD
	v_or_b32_sdwa v2, v3, v2 dst_sel:WORD_1 dst_unused:UNUSED_PAD src0_sel:DWORD src1_sel:DWORD
	v_cndmask_b32_e64 v35, 0, 1, s[8:9]
	v_or_b32_sdwa v36, v4, v2 dst_sel:DWORD dst_unused:UNUSED_PAD src0_sel:WORD_0 src1_sel:DWORD
.LBB230_103:
	s_or_b64 exec, exec, s[4:5]
	v_add_u32_e32 v2, 12, v30
	v_cmp_le_u32_e32 vcc, s18, v2
	v_lshrrev_b32_e32 v2, 24, v1
                                        ; implicit-def: $vgpr37
	s_and_saveexec_b64 s[2:3], vcc
	s_xor_b64 s[2:3], exec, s[2:3]
; %bb.104:
	s_movk_i32 s4, 0xff
	v_lshlrev_b16_e32 v2, 8, v2
	v_and_b32_sdwa v4, v1, s4 dst_sel:DWORD dst_unused:UNUSED_PAD src0_sel:WORD_1 src1_sel:DWORD
	v_mov_b32_e32 v3, 8
	v_or_b32_sdwa v37, v4, v2 dst_sel:WORD_1 dst_unused:UNUSED_PAD src0_sel:DWORD src1_sel:DWORD
	v_lshrrev_b32_sdwa v37, v3, v1 dst_sel:BYTE_1 dst_unused:UNUSED_PRESERVE src0_sel:DWORD src1_sel:DWORD
                                        ; implicit-def: $vgpr2
                                        ; implicit-def: $vgpr1
; %bb.105:
	s_or_saveexec_b64 s[4:5], s[2:3]
	v_mov_b32_e32 v38, 0
	s_xor_b64 exec, exec, s[4:5]
	s_cbranch_execz .LBB230_109
; %bb.106:
	v_add_u32_e32 v3, s37, v29
	v_add_u32_e32 v4, s39, v29
	v_mul_lo_u32 v3, v3, s36
	v_mul_lo_u32 v4, v4, s38
	s_mov_b64 s[8:9], 0
	v_sub_u32_e32 v3, v3, v4
	v_cmp_lt_u32_e32 vcc, s40, v3
	v_cmp_ge_u32_e64 s[2:3], s40, v3
	s_and_saveexec_b64 s[10:11], s[2:3]
	s_cbranch_execz .LBB230_108
; %bb.107:
	v_add_u32_e32 v3, s42, v29
	v_add_u32_e32 v4, s58, v29
	v_mul_lo_u32 v3, v3, s41
	v_mul_lo_u32 v4, v4, s43
	v_sub_u32_e32 v3, v3, v4
	v_cmp_lt_u32_e64 s[2:3], s59, v3
	s_and_b64 s[8:9], s[2:3], exec
.LBB230_108:
	s_or_b64 exec, exec, s[10:11]
	s_movk_i32 s2, 0xff
	v_lshlrev_b16_e32 v2, 8, v2
	v_and_b32_sdwa v4, v1, s2 dst_sel:DWORD dst_unused:UNUSED_PAD src0_sel:WORD_1 src1_sel:DWORD
	v_or_b32_sdwa v2, v4, v2 dst_sel:WORD_1 dst_unused:UNUSED_PAD src0_sel:DWORD src1_sel:DWORD
	v_mov_b32_e32 v4, 8
	v_cndmask_b32_e64 v3, 0, 1, vcc
	v_lshrrev_b32_sdwa v1, v4, v1 dst_sel:BYTE_1 dst_unused:UNUSED_PAD src0_sel:DWORD src1_sel:DWORD
	v_or_b32_e32 v1, v3, v1
	v_cndmask_b32_e64 v38, 0, 1, s[8:9]
	v_or_b32_sdwa v37, v1, v2 dst_sel:DWORD dst_unused:UNUSED_PAD src0_sel:WORD_0 src1_sel:DWORD
.LBB230_109:
	s_or_b64 exec, exec, s[4:5]
.LBB230_110:
	v_and_b32_e32 v48, 0xff, v31
	v_bfe_u32 v45, v31, 8, 8
	v_bfe_u32 v50, v31, 16, 8
	v_lshrrev_b32_e32 v43, 24, v31
	v_and_b32_e32 v51, 0xff, v33
	v_add3_u32 v4, v45, v48, v50
	v_bfe_u32 v46, v33, 8, 8
	v_bfe_u32 v53, v33, 16, 8
	v_add3_u32 v4, v4, v43, v51
	v_bfe_u32 v49, v37, 8, 8
	v_bfe_u32 v57, v37, 16, 8
	v_lshrrev_b32_e32 v44, 24, v37
	v_lshrrev_b32_e32 v41, 24, v33
	v_and_b32_e32 v54, 0xff, v36
	v_add3_u32 v4, v4, v46, v53
	v_and_b32_e32 v58, 0xff, v32
	v_bfe_u32 v52, v32, 8, 8
	v_bfe_u32 v47, v36, 8, 8
	;; [unrolled: 1-line block ×3, first 2 shown]
	v_add3_u32 v3, v57, v49, v44
	v_add3_u32 v4, v4, v41, v54
	v_bfe_u32 v59, v32, 16, 8
	v_lshrrev_b32_e32 v42, 24, v32
	v_lshrrev_b32_e32 v39, 24, v36
	v_and_b32_e32 v1, 0xff, v37
	v_add3_u32 v3, v3, v58, v52
	v_add3_u32 v4, v4, v47, v56
	v_and_b32_e32 v60, 0xff, v34
	v_bfe_u32 v55, v34, 8, 8
	v_add3_u32 v3, v3, v59, v42
	v_add3_u32 v68, v4, v39, v1
	v_mbcnt_lo_u32_b32 v1, -1, 0
	v_bfe_u32 v61, v34, 16, 8
	v_lshrrev_b32_e32 v40, 24, v34
	v_add3_u32 v3, v3, v60, v55
	v_mbcnt_hi_u32_b32 v63, -1, v1
	v_and_b32_e32 v62, 0xff, v35
	v_and_b32_e32 v2, 0xff, v38
	v_add3_u32 v3, v3, v61, v40
	v_and_b32_e32 v67, 15, v63
	s_cmp_lg_u32 s6, 0
	v_add3_u32 v69, v3, v62, v2
	v_cmp_eq_u32_e64 s[4:5], 0, v67
	v_cmp_lt_u32_e64 s[2:3], 1, v67
	v_cmp_lt_u32_e64 s[8:9], 3, v67
	;; [unrolled: 1-line block ×3, first 2 shown]
	v_and_b32_e32 v66, 16, v63
	v_cmp_lt_u32_e32 vcc, 31, v63
	v_lshrrev_b32_e32 v64, 6, v0
	v_or_b32_e32 v65, 63, v0
	s_cbranch_scc0 .LBB230_132
; %bb.111:
	v_mov_b32_dpp v1, v68 row_shr:1 row_mask:0xf bank_mask:0xf
	v_mov_b32_dpp v2, v69 row_shr:1 row_mask:0xf bank_mask:0xf
	v_add_u32_e32 v1, v1, v68
	v_add_u32_e32 v2, v2, v69
	v_cndmask_b32_e64 v2, v2, v69, s[4:5]
	v_cndmask_b32_e64 v1, v1, v68, s[4:5]
	s_nop 0
	v_mov_b32_dpp v4, v2 row_shr:2 row_mask:0xf bank_mask:0xf
	v_mov_b32_dpp v3, v1 row_shr:2 row_mask:0xf bank_mask:0xf
	v_add_u32_e32 v3, v1, v3
	v_add_u32_e32 v4, v2, v4
	v_cndmask_b32_e64 v2, v2, v4, s[2:3]
	v_cndmask_b32_e64 v1, v1, v3, s[2:3]
	s_nop 0
	v_mov_b32_dpp v4, v2 row_shr:4 row_mask:0xf bank_mask:0xf
	v_mov_b32_dpp v3, v1 row_shr:4 row_mask:0xf bank_mask:0xf
	v_add_u32_e32 v3, v1, v3
	v_add_u32_e32 v4, v2, v4
	v_cndmask_b32_e64 v2, v2, v4, s[8:9]
	v_cndmask_b32_e64 v1, v1, v3, s[8:9]
	v_cmp_eq_u32_e64 s[8:9], 0, v66
	v_mov_b32_dpp v4, v2 row_shr:8 row_mask:0xf bank_mask:0xf
	v_mov_b32_dpp v3, v1 row_shr:8 row_mask:0xf bank_mask:0xf
	v_add_u32_e32 v3, v1, v3
	v_add_u32_e32 v4, v2, v4
	v_cndmask_b32_e64 v2, v2, v4, s[10:11]
	v_cndmask_b32_e64 v3, v1, v3, s[10:11]
	s_nop 0
	v_mov_b32_dpp v4, v2 row_bcast:15 row_mask:0xf bank_mask:0xf
	v_mov_b32_dpp v1, v3 row_bcast:15 row_mask:0xf bank_mask:0xf
	v_add_u32_e32 v5, v3, v1
	v_add_u32_e32 v1, v2, v4
	v_cndmask_b32_e64 v1, v1, v2, s[8:9]
	v_cndmask_b32_e64 v2, v5, v3, s[8:9]
	v_cmp_eq_u32_e64 s[8:9], v0, v65
	v_mov_b32_dpp v3, v1 row_bcast:31 row_mask:0xf bank_mask:0xf
	v_mov_b32_dpp v4, v2 row_bcast:31 row_mask:0xf bank_mask:0xf
	v_add_u32_e32 v3, v1, v3
	v_add_u32_e32 v4, v2, v4
	s_and_saveexec_b64 s[10:11], s[8:9]
; %bb.112:
	v_lshlrev_b32_e32 v7, 3, v64
	v_cndmask_b32_e32 v6, v1, v3, vcc
	v_cndmask_b32_e32 v5, v2, v4, vcc
	ds_write_b64 v7, v[5:6]
; %bb.113:
	s_or_b64 exec, exec, s[10:11]
	v_cmp_gt_u32_e64 s[8:9], 4, v0
	s_waitcnt lgkmcnt(0)
	s_barrier
	s_and_saveexec_b64 s[10:11], s[8:9]
	s_cbranch_execz .LBB230_115
; %bb.114:
	v_lshlrev_b32_e32 v7, 3, v0
	ds_read_b64 v[5:6], v7
	v_and_b32_e32 v8, 3, v63
	v_cmp_eq_u32_e64 s[8:9], 0, v8
	s_waitcnt lgkmcnt(0)
	v_mov_b32_dpp v21, v5 row_shr:1 row_mask:0xf bank_mask:0xf
	v_mov_b32_dpp v22, v6 row_shr:1 row_mask:0xf bank_mask:0xf
	v_add_u32_e32 v21, v21, v5
	v_add_u32_e32 v22, v22, v6
	v_cndmask_b32_e64 v6, v22, v6, s[8:9]
	v_cndmask_b32_e64 v5, v21, v5, s[8:9]
	v_cmp_lt_u32_e64 s[8:9], 1, v8
	v_mov_b32_dpp v22, v6 row_shr:2 row_mask:0xf bank_mask:0xf
	v_mov_b32_dpp v21, v5 row_shr:2 row_mask:0xf bank_mask:0xf
	v_cndmask_b32_e64 v8, 0, v21, s[8:9]
	v_cndmask_b32_e64 v21, 0, v22, s[8:9]
	v_add_u32_e32 v6, v21, v6
	v_add_u32_e32 v5, v8, v5
	ds_write_b64 v7, v[5:6]
.LBB230_115:
	s_or_b64 exec, exec, s[10:11]
	v_cndmask_b32_e32 v1, v1, v3, vcc
	v_cndmask_b32_e32 v2, v2, v4, vcc
	v_cmp_gt_u32_e32 vcc, 64, v0
	v_cmp_lt_u32_e64 s[8:9], 63, v0
	s_waitcnt lgkmcnt(0)
	s_barrier
                                        ; implicit-def: $vgpr21
	s_and_saveexec_b64 s[10:11], s[8:9]
	s_cbranch_execz .LBB230_117
; %bb.116:
	v_lshl_add_u32 v3, v64, 3, -8
	ds_read_b64 v[21:22], v3
	s_waitcnt lgkmcnt(0)
	v_add_u32_e32 v1, v22, v1
	v_add_u32_e32 v2, v21, v2
.LBB230_117:
	s_or_b64 exec, exec, s[10:11]
	v_subrev_co_u32_e64 v3, s[8:9], 1, v63
	v_and_b32_e32 v4, 64, v63
	v_cmp_lt_i32_e64 s[10:11], v3, v4
	v_cndmask_b32_e64 v3, v3, v63, s[10:11]
	v_lshlrev_b32_e32 v3, 2, v3
	ds_bpermute_b32 v70, v3, v2
	ds_bpermute_b32 v71, v3, v1
	s_and_saveexec_b64 s[10:11], vcc
	s_cbranch_execz .LBB230_137
; %bb.118:
	v_mov_b32_e32 v4, 0
	ds_read_b64 v[1:2], v4 offset:24
	s_and_saveexec_b64 s[14:15], s[8:9]
	s_cbranch_execz .LBB230_120
; %bb.119:
	s_add_i32 s16, s6, 64
	s_mov_b32 s17, 0
	s_lshl_b64 s[16:17], s[16:17], 4
	s_add_u32 s16, s12, s16
	s_addc_u32 s17, s13, s17
	v_mov_b32_e32 v5, s16
	v_mov_b32_e32 v3, 1
	;; [unrolled: 1-line block ×3, first 2 shown]
	s_waitcnt lgkmcnt(0)
	;;#ASMSTART
	global_store_dwordx4 v[5:6], v[1:4] off	
s_waitcnt vmcnt(0)
	;;#ASMEND
.LBB230_120:
	s_or_b64 exec, exec, s[14:15]
	v_xad_u32 v23, v63, -1, s6
	v_add_u32_e32 v3, 64, v23
	v_lshlrev_b64 v[5:6], 4, v[3:4]
	v_mov_b32_e32 v3, s13
	v_add_co_u32_e32 v24, vcc, s12, v5
	v_addc_co_u32_e32 v25, vcc, v3, v6, vcc
	;;#ASMSTART
	global_load_dwordx4 v[5:8], v[24:25] off glc	
s_waitcnt vmcnt(0)
	;;#ASMEND
	v_cmp_eq_u16_sdwa s[16:17], v7, v4 src0_sel:BYTE_0 src1_sel:DWORD
	s_and_saveexec_b64 s[14:15], s[16:17]
	s_cbranch_execz .LBB230_124
; %bb.121:
	s_mov_b64 s[16:17], 0
	v_mov_b32_e32 v3, 0
.LBB230_122:                            ; =>This Inner Loop Header: Depth=1
	;;#ASMSTART
	global_load_dwordx4 v[5:8], v[24:25] off glc	
s_waitcnt vmcnt(0)
	;;#ASMEND
	v_cmp_ne_u16_sdwa s[20:21], v7, v3 src0_sel:BYTE_0 src1_sel:DWORD
	s_or_b64 s[16:17], s[20:21], s[16:17]
	s_andn2_b64 exec, exec, s[16:17]
	s_cbranch_execnz .LBB230_122
; %bb.123:
	s_or_b64 exec, exec, s[16:17]
.LBB230_124:
	s_or_b64 exec, exec, s[14:15]
	v_and_b32_e32 v73, 63, v63
	v_cmp_ne_u32_e32 vcc, 63, v73
	v_mov_b32_e32 v72, 2
	v_lshlrev_b64 v[25:26], v63, -1
	v_addc_co_u32_e32 v8, vcc, 0, v63, vcc
	v_cmp_eq_u16_sdwa s[14:15], v7, v72 src0_sel:BYTE_0 src1_sel:DWORD
	v_lshlrev_b32_e32 v74, 2, v8
	v_and_b32_e32 v3, s15, v26
	ds_bpermute_b32 v8, v74, v5
	ds_bpermute_b32 v24, v74, v6
	v_or_b32_e32 v3, 0x80000000, v3
	v_and_b32_e32 v4, s14, v25
	v_ffbl_b32_e32 v3, v3
	v_add_u32_e32 v3, 32, v3
	v_ffbl_b32_e32 v4, v4
	v_min_u32_e32 v3, v4, v3
	s_waitcnt lgkmcnt(1)
	v_add_u32_e32 v4, v8, v5
	s_waitcnt lgkmcnt(0)
	v_add_u32_e32 v8, v24, v6
	v_cmp_lt_u32_e32 vcc, v73, v3
	v_cndmask_b32_e32 v6, v6, v8, vcc
	v_cndmask_b32_e32 v4, v5, v4, vcc
	v_cmp_gt_u32_e32 vcc, 62, v73
	v_cndmask_b32_e64 v5, 0, 2, vcc
	v_add_lshl_u32 v75, v5, v63, 2
	ds_bpermute_b32 v5, v75, v4
	ds_bpermute_b32 v8, v75, v6
	v_add_u32_e32 v76, 2, v73
	v_cmp_gt_u32_e32 vcc, v76, v3
	v_add_u32_e32 v78, 4, v73
	s_waitcnt lgkmcnt(1)
	v_add_u32_e32 v5, v4, v5
	s_waitcnt lgkmcnt(0)
	v_add_u32_e32 v8, v6, v8
	v_cndmask_b32_e32 v6, v8, v6, vcc
	v_cndmask_b32_e32 v4, v5, v4, vcc
	v_cmp_gt_u32_e32 vcc, 60, v73
	v_cndmask_b32_e64 v5, 0, 4, vcc
	v_add_lshl_u32 v77, v5, v63, 2
	ds_bpermute_b32 v5, v77, v4
	ds_bpermute_b32 v8, v77, v6
	v_cmp_gt_u32_e32 vcc, v78, v3
	v_add_u32_e32 v80, 8, v73
	v_add_u32_e32 v82, 16, v73
	s_waitcnt lgkmcnt(1)
	v_add_u32_e32 v5, v4, v5
	s_waitcnt lgkmcnt(0)
	v_add_u32_e32 v8, v6, v8
	v_cndmask_b32_e32 v6, v8, v6, vcc
	v_cndmask_b32_e32 v4, v5, v4, vcc
	v_cmp_gt_u32_e32 vcc, 56, v73
	v_cndmask_b32_e64 v5, 0, 8, vcc
	v_add_lshl_u32 v79, v5, v63, 2
	ds_bpermute_b32 v5, v79, v4
	ds_bpermute_b32 v8, v79, v6
	v_cmp_gt_u32_e32 vcc, v80, v3
	v_add_u32_e32 v84, 32, v73
	v_mov_b32_e32 v24, 0
	s_waitcnt lgkmcnt(1)
	v_add_u32_e32 v5, v4, v5
	s_waitcnt lgkmcnt(0)
	v_add_u32_e32 v8, v6, v8
	v_cndmask_b32_e32 v6, v8, v6, vcc
	v_cndmask_b32_e32 v4, v5, v4, vcc
	v_cmp_gt_u32_e32 vcc, 48, v73
	v_cndmask_b32_e64 v5, 0, 16, vcc
	v_add_lshl_u32 v81, v5, v63, 2
	ds_bpermute_b32 v5, v81, v4
	ds_bpermute_b32 v8, v81, v6
	v_cmp_gt_u32_e32 vcc, v82, v3
	s_waitcnt lgkmcnt(1)
	v_add_u32_e32 v5, v4, v5
	s_waitcnt lgkmcnt(0)
	v_add_u32_e32 v8, v6, v8
	v_cndmask_b32_e32 v4, v5, v4, vcc
	v_mov_b32_e32 v5, 0x80
	v_cndmask_b32_e32 v6, v8, v6, vcc
	v_lshl_or_b32 v83, v63, 2, v5
	ds_bpermute_b32 v5, v83, v4
	ds_bpermute_b32 v8, v83, v6
	v_cmp_le_u32_e32 vcc, v84, v3
	s_waitcnt lgkmcnt(1)
	v_cndmask_b32_e32 v3, 0, v5, vcc
	s_waitcnt lgkmcnt(0)
	v_cndmask_b32_e32 v5, 0, v8, vcc
	v_add_u32_e32 v6, v6, v5
	v_add_u32_e32 v5, v4, v3
	s_branch .LBB230_128
.LBB230_125:                            ;   in Loop: Header=BB230_128 Depth=1
	s_or_b64 exec, exec, s[16:17]
.LBB230_126:                            ;   in Loop: Header=BB230_128 Depth=1
	s_or_b64 exec, exec, s[14:15]
	v_cmp_eq_u16_sdwa s[14:15], v7, v72 src0_sel:BYTE_0 src1_sel:DWORD
	v_and_b32_e32 v8, s15, v26
	ds_bpermute_b32 v28, v74, v5
	ds_bpermute_b32 v85, v74, v6
	v_or_b32_e32 v8, 0x80000000, v8
	v_and_b32_e32 v27, s14, v25
	v_ffbl_b32_e32 v8, v8
	v_add_u32_e32 v8, 32, v8
	v_ffbl_b32_e32 v27, v27
	v_min_u32_e32 v8, v27, v8
	s_waitcnt lgkmcnt(1)
	v_add_u32_e32 v27, v28, v5
	s_waitcnt lgkmcnt(0)
	v_add_u32_e32 v28, v85, v6
	v_cmp_lt_u32_e32 vcc, v73, v8
	v_cndmask_b32_e32 v6, v6, v28, vcc
	v_cndmask_b32_e32 v5, v5, v27, vcc
	ds_bpermute_b32 v27, v75, v5
	ds_bpermute_b32 v28, v75, v6
	v_cmp_gt_u32_e32 vcc, v76, v8
	v_subrev_u32_e32 v23, 64, v23
	s_mov_b64 s[14:15], 0
	s_waitcnt lgkmcnt(1)
	v_add_u32_e32 v27, v5, v27
	s_waitcnt lgkmcnt(0)
	v_add_u32_e32 v28, v6, v28
	v_cndmask_b32_e32 v6, v28, v6, vcc
	v_cndmask_b32_e32 v5, v27, v5, vcc
	ds_bpermute_b32 v27, v77, v5
	ds_bpermute_b32 v28, v77, v6
	v_cmp_gt_u32_e32 vcc, v78, v8
	s_waitcnt lgkmcnt(1)
	v_add_u32_e32 v27, v5, v27
	s_waitcnt lgkmcnt(0)
	v_add_u32_e32 v28, v6, v28
	v_cndmask_b32_e32 v6, v28, v6, vcc
	v_cndmask_b32_e32 v5, v27, v5, vcc
	ds_bpermute_b32 v27, v79, v5
	ds_bpermute_b32 v28, v79, v6
	v_cmp_gt_u32_e32 vcc, v80, v8
	s_waitcnt lgkmcnt(1)
	v_add_u32_e32 v27, v5, v27
	s_waitcnt lgkmcnt(0)
	v_add_u32_e32 v28, v6, v28
	v_cndmask_b32_e32 v6, v28, v6, vcc
	v_cndmask_b32_e32 v5, v27, v5, vcc
	ds_bpermute_b32 v27, v81, v5
	ds_bpermute_b32 v28, v81, v6
	v_cmp_gt_u32_e32 vcc, v82, v8
	s_waitcnt lgkmcnt(1)
	v_add_u32_e32 v27, v5, v27
	s_waitcnt lgkmcnt(0)
	v_add_u32_e32 v28, v6, v28
	v_cndmask_b32_e32 v6, v28, v6, vcc
	v_cndmask_b32_e32 v5, v27, v5, vcc
	ds_bpermute_b32 v27, v83, v5
	ds_bpermute_b32 v28, v83, v6
	v_cmp_le_u32_e32 vcc, v84, v8
	s_waitcnt lgkmcnt(1)
	v_cndmask_b32_e32 v8, 0, v27, vcc
	s_waitcnt lgkmcnt(0)
	v_cndmask_b32_e32 v27, 0, v28, vcc
	v_add3_u32 v6, v27, v4, v6
	v_add3_u32 v5, v8, v3, v5
.LBB230_127:                            ;   in Loop: Header=BB230_128 Depth=1
	s_and_b64 vcc, exec, s[14:15]
	s_cbranch_vccnz .LBB230_133
.LBB230_128:                            ; =>This Loop Header: Depth=1
                                        ;     Child Loop BB230_131 Depth 2
	v_mov_b32_e32 v3, v5
	v_cmp_ne_u16_sdwa s[14:15], v7, v72 src0_sel:BYTE_0 src1_sel:DWORD
	v_mov_b32_e32 v4, v6
	s_cmp_lg_u64 s[14:15], exec
	s_mov_b64 s[14:15], -1
                                        ; implicit-def: $vgpr7
                                        ; implicit-def: $vgpr5_vgpr6
	s_cbranch_scc1 .LBB230_127
; %bb.129:                              ;   in Loop: Header=BB230_128 Depth=1
	v_lshlrev_b64 v[5:6], 4, v[23:24]
	v_mov_b32_e32 v7, s13
	v_add_co_u32_e32 v27, vcc, s12, v5
	v_addc_co_u32_e32 v28, vcc, v7, v6, vcc
	;;#ASMSTART
	global_load_dwordx4 v[5:8], v[27:28] off glc	
s_waitcnt vmcnt(0)
	;;#ASMEND
	v_cmp_eq_u16_sdwa s[16:17], v7, v24 src0_sel:BYTE_0 src1_sel:DWORD
	s_and_saveexec_b64 s[14:15], s[16:17]
	s_cbranch_execz .LBB230_126
; %bb.130:                              ;   in Loop: Header=BB230_128 Depth=1
	s_mov_b64 s[16:17], 0
.LBB230_131:                            ;   Parent Loop BB230_128 Depth=1
                                        ; =>  This Inner Loop Header: Depth=2
	;;#ASMSTART
	global_load_dwordx4 v[5:8], v[27:28] off glc	
s_waitcnt vmcnt(0)
	;;#ASMEND
	v_cmp_ne_u16_sdwa s[20:21], v7, v24 src0_sel:BYTE_0 src1_sel:DWORD
	s_or_b64 s[16:17], s[20:21], s[16:17]
	s_andn2_b64 exec, exec, s[16:17]
	s_cbranch_execnz .LBB230_131
	s_branch .LBB230_125
.LBB230_132:
                                        ; implicit-def: $vgpr22
                                        ; implicit-def: $vgpr3
                                        ; implicit-def: $vgpr23
	s_cbranch_execnz .LBB230_138
	s_branch .LBB230_147
.LBB230_133:
	s_and_saveexec_b64 s[14:15], s[8:9]
	s_cbranch_execnz .LBB230_375
; %bb.134:
	s_or_b64 exec, exec, s[14:15]
	s_and_saveexec_b64 s[6:7], s[8:9]
	s_cbranch_execnz .LBB230_376
.LBB230_135:
	s_or_b64 exec, exec, s[6:7]
	v_cmp_eq_u32_e32 vcc, 0, v0
	s_and_b64 exec, exec, vcc
.LBB230_136:
	v_mov_b32_e32 v1, 0
	ds_write_b64 v1, v[3:4] offset:24
.LBB230_137:
	s_or_b64 exec, exec, s[10:11]
	v_mov_b32_e32 v1, 0
	s_waitcnt lgkmcnt(0)
	s_barrier
	ds_read_b64 v[5:6], v1 offset:24
	v_cndmask_b32_e64 v2, v71, v22, s[8:9]
	v_cndmask_b32_e64 v3, v70, v21, s[8:9]
	s_waitcnt lgkmcnt(0)
	s_barrier
	v_add_u32_e32 v7, v5, v3
	v_add_u32_e32 v8, v6, v2
	ds_read_b128 v[1:4], v1 offset:13312
	v_cmp_eq_u32_e32 vcc, 0, v0
	v_cndmask_b32_e32 v22, v8, v6, vcc
	v_cndmask_b32_e32 v23, v7, v5, vcc
	s_branch .LBB230_147
.LBB230_138:
	s_waitcnt lgkmcnt(0)
	v_mov_b32_dpp v1, v68 row_shr:1 row_mask:0xf bank_mask:0xf
	v_mov_b32_dpp v2, v69 row_shr:1 row_mask:0xf bank_mask:0xf
	v_add_u32_e32 v1, v1, v68
	v_add_u32_e32 v2, v2, v69
	v_cndmask_b32_e64 v2, v2, v69, s[4:5]
	v_cndmask_b32_e64 v1, v1, v68, s[4:5]
	v_cmp_lt_u32_e32 vcc, 3, v67
	v_mov_b32_dpp v4, v2 row_shr:2 row_mask:0xf bank_mask:0xf
	v_mov_b32_dpp v3, v1 row_shr:2 row_mask:0xf bank_mask:0xf
	v_add_u32_e32 v3, v1, v3
	v_add_u32_e32 v4, v2, v4
	v_cndmask_b32_e64 v2, v2, v4, s[2:3]
	v_cndmask_b32_e64 v1, v1, v3, s[2:3]
	v_cmp_eq_u32_e64 s[2:3], v0, v65
	v_mov_b32_dpp v4, v2 row_shr:4 row_mask:0xf bank_mask:0xf
	v_mov_b32_dpp v3, v1 row_shr:4 row_mask:0xf bank_mask:0xf
	v_add_u32_e32 v3, v1, v3
	v_add_u32_e32 v4, v2, v4
	v_cndmask_b32_e32 v2, v2, v4, vcc
	v_cndmask_b32_e32 v1, v1, v3, vcc
	v_cmp_lt_u32_e32 vcc, 7, v67
	v_mov_b32_dpp v4, v2 row_shr:8 row_mask:0xf bank_mask:0xf
	v_mov_b32_dpp v3, v1 row_shr:8 row_mask:0xf bank_mask:0xf
	v_add_u32_e32 v3, v1, v3
	v_add_u32_e32 v4, v2, v4
	v_cndmask_b32_e32 v2, v2, v4, vcc
	v_cndmask_b32_e32 v3, v1, v3, vcc
	v_cmp_eq_u32_e32 vcc, 0, v66
	v_mov_b32_dpp v4, v2 row_bcast:15 row_mask:0xf bank_mask:0xf
	v_mov_b32_dpp v1, v3 row_bcast:15 row_mask:0xf bank_mask:0xf
	v_add_u32_e32 v5, v3, v1
	v_add_u32_e32 v1, v2, v4
	v_cndmask_b32_e32 v1, v1, v2, vcc
	v_cndmask_b32_e32 v2, v5, v3, vcc
	v_cmp_lt_u32_e32 vcc, 31, v63
	v_mov_b32_dpp v3, v1 row_bcast:31 row_mask:0xf bank_mask:0xf
	v_mov_b32_dpp v4, v2 row_bcast:31 row_mask:0xf bank_mask:0xf
	v_add_u32_e32 v3, v1, v3
	v_add_u32_e32 v4, v2, v4
	s_and_saveexec_b64 s[4:5], s[2:3]
; %bb.139:
	v_cndmask_b32_e32 v5, v2, v4, vcc
	v_cndmask_b32_e32 v6, v1, v3, vcc
	v_lshlrev_b32_e32 v7, 3, v64
	ds_write_b64 v7, v[5:6]
; %bb.140:
	s_or_b64 exec, exec, s[4:5]
	v_cmp_gt_u32_e64 s[2:3], 4, v0
	s_waitcnt lgkmcnt(0)
	s_barrier
	s_and_saveexec_b64 s[4:5], s[2:3]
	s_cbranch_execz .LBB230_142
; %bb.141:
	v_lshlrev_b32_e32 v7, 3, v0
	ds_read_b64 v[5:6], v7
	v_and_b32_e32 v8, 3, v63
	v_cmp_eq_u32_e64 s[2:3], 0, v8
	s_waitcnt lgkmcnt(0)
	v_mov_b32_dpp v21, v5 row_shr:1 row_mask:0xf bank_mask:0xf
	v_mov_b32_dpp v22, v6 row_shr:1 row_mask:0xf bank_mask:0xf
	v_add_u32_e32 v21, v21, v5
	v_add_u32_e32 v22, v22, v6
	v_cndmask_b32_e64 v6, v22, v6, s[2:3]
	v_cndmask_b32_e64 v5, v21, v5, s[2:3]
	v_cmp_lt_u32_e64 s[2:3], 1, v8
	v_mov_b32_dpp v22, v6 row_shr:2 row_mask:0xf bank_mask:0xf
	v_mov_b32_dpp v21, v5 row_shr:2 row_mask:0xf bank_mask:0xf
	v_cndmask_b32_e64 v8, 0, v21, s[2:3]
	v_cndmask_b32_e64 v21, 0, v22, s[2:3]
	v_add_u32_e32 v6, v21, v6
	v_add_u32_e32 v5, v8, v5
	ds_write_b64 v7, v[5:6]
.LBB230_142:
	s_or_b64 exec, exec, s[4:5]
	v_cmp_lt_u32_e64 s[2:3], 63, v0
	v_mov_b32_e32 v7, 0
	v_mov_b32_e32 v5, 0
	;; [unrolled: 1-line block ×3, first 2 shown]
	s_waitcnt lgkmcnt(0)
	s_barrier
	s_and_saveexec_b64 s[4:5], s[2:3]
; %bb.143:
	v_lshl_add_u32 v5, v64, 3, -8
	ds_read_b64 v[5:6], v5
; %bb.144:
	s_or_b64 exec, exec, s[4:5]
	v_cndmask_b32_e32 v2, v2, v4, vcc
	v_cndmask_b32_e32 v1, v1, v3, vcc
	v_subrev_co_u32_e32 v3, vcc, 1, v63
	v_and_b32_e32 v4, 64, v63
	v_cmp_lt_i32_e64 s[2:3], v3, v4
	v_cndmask_b32_e64 v3, v3, v63, s[2:3]
	s_waitcnt lgkmcnt(0)
	v_add_u32_e32 v1, v6, v1
	v_add_u32_e32 v2, v5, v2
	v_lshlrev_b32_e32 v3, 2, v3
	ds_bpermute_b32 v8, v3, v2
	ds_bpermute_b32 v21, v3, v1
	ds_read_b64 v[1:2], v7 offset:24
	v_cmp_eq_u32_e64 s[2:3], 0, v0
	s_and_saveexec_b64 s[4:5], s[2:3]
	s_cbranch_execz .LBB230_146
; %bb.145:
	s_add_u32 s6, s12, 0x400
	s_addc_u32 s7, s13, 0
	v_mov_b32_e32 v23, s7
	v_mov_b32_e32 v3, 2
	;; [unrolled: 1-line block ×4, first 2 shown]
	s_waitcnt lgkmcnt(0)
	;;#ASMSTART
	global_store_dwordx4 v[22:23], v[1:4] off	
s_waitcnt vmcnt(0)
	;;#ASMEND
.LBB230_146:
	s_or_b64 exec, exec, s[4:5]
	s_waitcnt lgkmcnt(2)
	v_cndmask_b32_e32 v3, v8, v5, vcc
	s_waitcnt lgkmcnt(1)
	v_cndmask_b32_e32 v4, v21, v6, vcc
	v_cndmask_b32_e64 v22, v4, 0, s[2:3]
	v_cndmask_b32_e64 v23, v3, 0, s[2:3]
	v_mov_b32_e32 v4, 0
	v_mov_b32_e32 v3, 0
	s_waitcnt lgkmcnt(0)
	s_barrier
.LBB230_147:
	v_mov_b32_e32 v6, s49
	s_waitcnt lgkmcnt(0)
	v_add_co_u32_e32 v5, vcc, s48, v3
	v_addc_co_u32_e32 v6, vcc, 0, v6, vcc
	v_mov_b32_e32 v27, s51
	v_sub_co_u32_e32 v28, vcc, s50, v1
	v_subbrev_co_u32_e32 v69, vcc, 0, v27, vcc
	v_add_co_u32_e32 v27, vcc, v28, v4
	v_add_u32_e32 v49, v22, v49
	v_addc_co_u32_e32 v28, vcc, 0, v69, vcc
	v_lshlrev_b32_e32 v69, 1, v1
	v_sub_u32_e32 v22, v22, v4
	v_lshrrev_b32_e32 v26, 8, v37
	v_add_u32_e32 v48, v23, v48
	v_add_u32_e32 v70, v69, v2
	v_sub_u32_e32 v23, v23, v3
	v_add_u32_e32 v22, v22, v1
	v_add_u32_e32 v30, v70, v30
	v_and_b32_e32 v26, 1, v26
	v_add_u32_e32 v71, v23, v22
	v_and_b32_e32 v70, 1, v31
	v_sub_u32_e32 v71, v30, v71
	v_cmp_eq_u32_e32 vcc, 1, v26
	v_cndmask_b32_e32 v22, v71, v22, vcc
	v_cmp_eq_u32_e32 vcc, 1, v70
	v_cndmask_b32_e32 v22, v22, v23, vcc
	v_lshlrev_b32_e32 v22, 2, v22
	v_sub_u32_e32 v23, v49, v4
	v_lshrrev_b32_e32 v25, 8, v31
	ds_write_b32 v22, v19
	v_sub_u32_e32 v19, v48, v3
	v_add_u32_e32 v23, v23, v1
	v_add_u32_e32 v45, v48, v45
	v_and_b32_e32 v22, 1, v25
	v_mov_b32_e32 v25, 1
	v_add_u32_e32 v48, v23, v19
	v_and_b32_sdwa v26, v25, v37 dst_sel:DWORD dst_unused:UNUSED_PAD src0_sel:DWORD src1_sel:WORD_1
	v_sub_u32_e32 v48, v30, v48
	v_add_u32_e32 v48, 1, v48
	v_cmp_eq_u32_e32 vcc, 1, v26
	v_cndmask_b32_e32 v23, v48, v23, vcc
	v_cmp_eq_u32_e32 vcc, 1, v22
	v_add_u32_e32 v57, v49, v57
	v_cndmask_b32_e32 v19, v23, v19, vcc
	v_lshlrev_b32_e32 v19, 2, v19
	v_sub_u32_e32 v22, v57, v4
	ds_write_b32 v19, v20
	v_sub_u32_e32 v19, v45, v3
	v_add_u32_e32 v22, v22, v1
	v_add_u32_e32 v26, v22, v19
	v_and_b32_e32 v23, 1, v44
	v_sub_u32_e32 v26, v30, v26
	v_and_b32_sdwa v20, v25, v31 dst_sel:DWORD dst_unused:UNUSED_PAD src0_sel:DWORD src1_sel:WORD_1
	v_add_u32_e32 v26, 2, v26
	v_cmp_eq_u32_e32 vcc, 1, v23
	v_cndmask_b32_e32 v22, v26, v22, vcc
	v_cmp_eq_u32_e32 vcc, 1, v20
	v_add_u32_e32 v63, v57, v44
	v_cndmask_b32_e32 v19, v22, v19, vcc
	v_add_u32_e32 v50, v45, v50
	v_lshlrev_b32_e32 v19, 2, v19
	v_sub_u32_e32 v20, v63, v4
	ds_write_b32 v19, v17
	v_sub_u32_e32 v17, v50, v3
	v_add_u32_e32 v20, v20, v1
	v_add_u32_e32 v23, v17, v20
	v_and_b32_e32 v22, 1, v32
	v_sub_u32_e32 v23, v30, v23
	v_and_b32_e32 v19, 1, v43
	v_add_u32_e32 v23, 3, v23
	v_cmp_eq_u32_e32 vcc, 1, v22
	v_cndmask_b32_e32 v20, v23, v20, vcc
	v_cmp_eq_u32_e32 vcc, 1, v19
	v_add_u32_e32 v58, v63, v58
	v_cndmask_b32_e32 v17, v20, v17, vcc
	v_add_u32_e32 v64, v50, v43
	v_lshlrev_b32_e32 v17, 2, v17
	v_sub_u32_e32 v19, v58, v4
	ds_write_b32 v17, v18
	v_sub_u32_e32 v17, v64, v3
	v_add_u32_e32 v19, v19, v1
	v_lshrrev_b32_e32 v24, 8, v32
	v_add_u32_e32 v22, v17, v19
	v_and_b32_e32 v20, 1, v24
	v_sub_u32_e32 v22, v30, v22
	v_and_b32_e32 v18, 1, v33
	v_add_u32_e32 v22, 4, v22
	v_cmp_eq_u32_e32 vcc, 1, v20
	v_cndmask_b32_e32 v19, v22, v19, vcc
	v_cmp_eq_u32_e32 vcc, 1, v18
	v_add_u32_e32 v52, v58, v52
	v_cndmask_b32_e32 v17, v19, v17, vcc
	v_add_u32_e32 v51, v64, v51
	v_lshlrev_b32_e32 v17, 2, v17
	v_sub_u32_e32 v18, v52, v4
	ds_write_b32 v17, v15
	v_sub_u32_e32 v15, v51, v3
	v_add_u32_e32 v18, v18, v1
	v_add_u32_e32 v20, v15, v18
	v_lshrrev_b32_e32 v21, 8, v33
	v_and_b32_sdwa v19, v25, v32 dst_sel:DWORD dst_unused:UNUSED_PAD src0_sel:DWORD src1_sel:WORD_1
	v_sub_u32_e32 v20, v30, v20
	v_and_b32_e32 v17, 1, v21
	v_add_u32_e32 v20, 5, v20
	v_cmp_eq_u32_e32 vcc, 1, v19
	v_cndmask_b32_e32 v18, v20, v18, vcc
	v_cmp_eq_u32_e32 vcc, 1, v17
	v_add_u32_e32 v59, v52, v59
	v_cndmask_b32_e32 v15, v18, v15, vcc
	v_add_u32_e32 v46, v51, v46
	v_lshlrev_b32_e32 v15, 2, v15
	v_sub_u32_e32 v17, v59, v4
	ds_write_b32 v15, v16
	v_sub_u32_e32 v15, v46, v3
	v_add_u32_e32 v17, v17, v1
	v_add_u32_e32 v19, v15, v17
	v_and_b32_e32 v18, 1, v42
	v_sub_u32_e32 v19, v30, v19
	v_and_b32_sdwa v16, v25, v33 dst_sel:DWORD dst_unused:UNUSED_PAD src0_sel:DWORD src1_sel:WORD_1
	v_add_u32_e32 v19, 6, v19
	v_cmp_eq_u32_e32 vcc, 1, v18
	v_cndmask_b32_e32 v17, v19, v17, vcc
	v_cmp_eq_u32_e32 vcc, 1, v16
	v_add_u32_e32 v65, v59, v42
	v_cndmask_b32_e32 v15, v17, v15, vcc
	v_add_u32_e32 v53, v46, v53
	v_lshlrev_b32_e32 v15, 2, v15
	v_sub_u32_e32 v16, v65, v4
	ds_write_b32 v15, v13
	v_sub_u32_e32 v13, v53, v3
	v_add_u32_e32 v16, v16, v1
	v_add_u32_e32 v18, v13, v16
	v_and_b32_e32 v17, 1, v34
	v_sub_u32_e32 v18, v30, v18
	v_and_b32_e32 v15, 1, v41
	v_add_u32_e32 v18, 7, v18
	v_cmp_eq_u32_e32 vcc, 1, v17
	v_cndmask_b32_e32 v16, v18, v16, vcc
	v_cmp_eq_u32_e32 vcc, 1, v15
	v_add_u32_e32 v60, v65, v60
	v_cndmask_b32_e32 v13, v16, v13, vcc
	v_add_u32_e32 v66, v53, v41
	v_lshlrev_b32_e32 v13, 2, v13
	v_sub_u32_e32 v15, v60, v4
	ds_write_b32 v13, v14
	v_sub_u32_e32 v13, v66, v3
	v_add_u32_e32 v15, v15, v1
	v_lshrrev_b32_e32 v8, 8, v34
	v_add_u32_e32 v16, v13, v15
	v_and_b32_e32 v8, 1, v8
	v_sub_u32_e32 v16, v30, v16
	v_and_b32_e32 v14, 1, v36
	v_add_u32_e32 v16, 8, v16
	v_cmp_eq_u32_e32 vcc, 1, v8
	v_cndmask_b32_e32 v8, v16, v15, vcc
	v_cmp_eq_u32_e32 vcc, 1, v14
	v_cndmask_b32_e32 v8, v8, v13, vcc
	v_add_u32_e32 v55, v60, v55
	v_lshlrev_b32_e32 v8, 2, v8
	v_add_u32_e32 v54, v66, v54
	ds_write_b32 v8, v11
	v_sub_u32_e32 v11, v55, v4
	v_sub_u32_e32 v8, v54, v3
	v_add_u32_e32 v11, v11, v1
	v_add_u32_e32 v14, v8, v11
	v_lshrrev_b32_e32 v7, 8, v36
	v_and_b32_sdwa v13, v25, v34 dst_sel:DWORD dst_unused:UNUSED_PAD src0_sel:DWORD src1_sel:WORD_1
	v_sub_u32_e32 v14, v30, v14
	v_and_b32_e32 v7, 1, v7
	v_add_u32_e32 v14, 9, v14
	v_cmp_eq_u32_e32 vcc, 1, v13
	v_cndmask_b32_e32 v11, v14, v11, vcc
	v_cmp_eq_u32_e32 vcc, 1, v7
	v_add_u32_e32 v61, v55, v61
	v_cndmask_b32_e32 v7, v11, v8, vcc
	v_add_u32_e32 v47, v54, v47
	v_lshlrev_b32_e32 v7, 2, v7
	v_sub_u32_e32 v11, v61, v4
	ds_write_b32 v7, v12
	v_sub_u32_e32 v7, v47, v3
	v_add_u32_e32 v11, v11, v1
	v_add_u32_e32 v13, v7, v11
	v_and_b32_e32 v12, 1, v40
	v_sub_u32_e32 v13, v30, v13
	v_and_b32_sdwa v8, v25, v36 dst_sel:DWORD dst_unused:UNUSED_PAD src0_sel:DWORD src1_sel:WORD_1
	v_add_u32_e32 v13, 10, v13
	v_cmp_eq_u32_e32 vcc, 1, v12
	v_cndmask_b32_e32 v11, v13, v11, vcc
	v_cmp_eq_u32_e32 vcc, 1, v8
	v_cndmask_b32_e32 v7, v11, v7, vcc
	v_add_u32_e32 v67, v61, v40
	v_lshlrev_b32_e32 v7, 2, v7
	v_add_u32_e32 v56, v47, v56
	ds_write_b32 v7, v9
	v_sub_u32_e32 v9, v67, v4
	v_sub_u32_e32 v7, v56, v3
	v_add_u32_e32 v9, v9, v1
	v_add_u32_e32 v12, v7, v9
	v_and_b32_e32 v11, 1, v35
	v_sub_u32_e32 v12, v30, v12
	v_and_b32_e32 v8, 1, v39
	v_add_u32_e32 v12, 11, v12
	v_cmp_eq_u32_e32 vcc, 1, v11
	v_add_u32_e32 v62, v67, v62
	v_cndmask_b32_e32 v9, v12, v9, vcc
	v_cmp_eq_u32_e32 vcc, 1, v8
	v_add_u32_e32 v68, v56, v39
	v_cndmask_b32_e32 v7, v9, v7, vcc
	v_sub_u32_e32 v8, v62, v4
	v_lshlrev_b32_e32 v7, 2, v7
	v_sub_u32_e32 v3, v68, v3
	v_add_u32_e32 v8, v8, v1
	ds_write_b32 v7, v10
	v_add_u32_e32 v10, v3, v8
	v_and_b32_e32 v9, 1, v38
	v_sub_u32_e32 v10, v30, v10
	v_and_b32_e32 v7, 1, v37
	v_add_u32_e32 v10, 12, v10
	v_cmp_eq_u32_e32 vcc, 1, v9
	v_cndmask_b32_e32 v8, v10, v8, vcc
	v_cmp_eq_u32_e32 vcc, 1, v7
	v_cndmask_b32_e32 v3, v8, v3, vcc
	v_lshlrev_b32_e32 v3, 2, v3
	ds_write_b32 v3, v29
	v_add_co_u32_e32 v3, vcc, v2, v69
	v_addc_co_u32_e64 v7, s[2:3], 0, 0, vcc
	v_add_co_u32_e32 v3, vcc, v3, v27
	v_addc_co_u32_e32 v7, vcc, v7, v28, vcc
	s_add_u32 s4, s56, s33
	v_add_co_u32_e32 v3, vcc, v3, v5
	s_addc_u32 s5, s57, 0
	v_addc_co_u32_e32 v7, vcc, v7, v6, vcc
	v_mov_b32_e32 v8, s5
	v_sub_co_u32_e32 v3, vcc, s4, v3
	v_subb_co_u32_e32 v11, vcc, v8, v7, vcc
	v_lshlrev_b64 v[7:8], 2, v[27:28]
	v_mov_b32_e32 v9, s55
	v_add_co_u32_e32 v7, vcc, s54, v7
	v_addc_co_u32_e32 v8, vcc, v9, v8, vcc
	v_lshlrev_b64 v[9:10], 2, v[5:6]
	v_mov_b32_e32 v13, s53
	v_add_co_u32_e32 v9, vcc, s52, v9
	v_addc_co_u32_e32 v10, vcc, v13, v10, vcc
	v_add_u32_e32 v12, v1, v2
	s_and_b64 vcc, exec, s[0:1]
	s_mov_b64 s[0:1], -1
	s_waitcnt lgkmcnt(0)
	s_barrier
	s_cbranch_vccz .LBB230_151
; %bb.148:
	s_and_b64 vcc, exec, s[0:1]
	s_cbranch_vccnz .LBB230_256
.LBB230_149:
	v_cmp_eq_u32_e32 vcc, 0, v0
	s_and_b64 s[0:1], vcc, s[34:35]
	s_and_saveexec_b64 s[2:3], s[0:1]
	s_cbranch_execnz .LBB230_374
.LBB230_150:
	s_endpgm
.LBB230_151:
	v_cmp_ge_u32_e32 vcc, v0, v1
	s_and_saveexec_b64 s[0:1], vcc
	s_xor_b64 s[0:1], exec, s[0:1]
	s_cbranch_execz .LBB230_157
; %bb.152:
	v_cmp_ge_u32_e32 vcc, v0, v12
	s_and_saveexec_b64 s[2:3], vcc
	s_xor_b64 s[2:3], exec, s[2:3]
	s_cbranch_execz .LBB230_154
; %bb.153:
	v_add_co_u32_e32 v13, vcc, v3, v0
	v_lshlrev_b32_e32 v15, 2, v0
	v_addc_co_u32_e32 v14, vcc, 0, v11, vcc
	ds_read_b32 v15, v15
	v_lshlrev_b64 v[13:14], 2, v[13:14]
	v_mov_b32_e32 v16, s47
	v_sub_co_u32_e32 v13, vcc, s46, v13
	v_subb_co_u32_e32 v14, vcc, v16, v14, vcc
	s_waitcnt lgkmcnt(0)
	global_store_dword v[13:14], v15, off offset:-4
.LBB230_154:
	s_andn2_saveexec_b64 s[2:3], s[2:3]
	s_cbranch_execz .LBB230_156
; %bb.155:
	v_lshlrev_b32_e32 v13, 2, v0
	ds_read_b32 v14, v13
	v_readfirstlane_b32 s4, v7
	v_readfirstlane_b32 s5, v8
	s_waitcnt lgkmcnt(0)
	s_nop 3
	global_store_dword v13, v14, s[4:5]
.LBB230_156:
	s_or_b64 exec, exec, s[2:3]
.LBB230_157:
	s_andn2_saveexec_b64 s[0:1], s[0:1]
	s_cbranch_execz .LBB230_159
; %bb.158:
	v_lshlrev_b32_e32 v13, 2, v0
	ds_read_b32 v14, v13
	v_readfirstlane_b32 s2, v9
	v_readfirstlane_b32 s3, v10
	s_waitcnt lgkmcnt(0)
	s_nop 3
	global_store_dword v13, v14, s[2:3]
.LBB230_159:
	s_or_b64 exec, exec, s[0:1]
	v_or_b32_e32 v13, 0x100, v0
	v_cmp_ge_u32_e32 vcc, v13, v1
	s_and_saveexec_b64 s[0:1], vcc
	s_xor_b64 s[0:1], exec, s[0:1]
	s_cbranch_execz .LBB230_165
; %bb.160:
	v_cmp_ge_u32_e32 vcc, v13, v12
	s_and_saveexec_b64 s[2:3], vcc
	s_xor_b64 s[2:3], exec, s[2:3]
	s_cbranch_execz .LBB230_162
; %bb.161:
	v_lshlrev_b32_e32 v13, 2, v0
	ds_read_b32 v15, v13 offset:1024
	v_add_co_u32_e32 v13, vcc, v3, v0
	v_addc_co_u32_e32 v14, vcc, 0, v11, vcc
	v_lshlrev_b64 v[13:14], 2, v[13:14]
	v_mov_b32_e32 v16, s47
	v_sub_co_u32_e32 v13, vcc, s46, v13
	v_subb_co_u32_e32 v14, vcc, v16, v14, vcc
	s_waitcnt lgkmcnt(0)
	global_store_dword v[13:14], v15, off offset:-1028
.LBB230_162:
	s_andn2_saveexec_b64 s[2:3], s[2:3]
	s_cbranch_execz .LBB230_164
; %bb.163:
	v_lshlrev_b32_e32 v13, 2, v0
	ds_read_b32 v14, v13 offset:1024
	v_readfirstlane_b32 s4, v7
	v_readfirstlane_b32 s5, v8
	s_waitcnt lgkmcnt(0)
	s_nop 3
	global_store_dword v13, v14, s[4:5] offset:1024
.LBB230_164:
	s_or_b64 exec, exec, s[2:3]
.LBB230_165:
	s_andn2_saveexec_b64 s[0:1], s[0:1]
	s_cbranch_execz .LBB230_167
; %bb.166:
	v_lshlrev_b32_e32 v13, 2, v0
	ds_read_b32 v14, v13 offset:1024
	v_readfirstlane_b32 s2, v9
	v_readfirstlane_b32 s3, v10
	s_waitcnt lgkmcnt(0)
	s_nop 3
	global_store_dword v13, v14, s[2:3] offset:1024
.LBB230_167:
	s_or_b64 exec, exec, s[0:1]
	v_or_b32_e32 v13, 0x200, v0
	v_cmp_ge_u32_e32 vcc, v13, v1
	s_and_saveexec_b64 s[0:1], vcc
	s_xor_b64 s[0:1], exec, s[0:1]
	s_cbranch_execz .LBB230_173
; %bb.168:
	v_cmp_ge_u32_e32 vcc, v13, v12
	s_and_saveexec_b64 s[2:3], vcc
	s_xor_b64 s[2:3], exec, s[2:3]
	s_cbranch_execz .LBB230_170
; %bb.169:
	v_lshlrev_b32_e32 v13, 2, v0
	ds_read_b32 v15, v13 offset:2048
	v_add_co_u32_e32 v13, vcc, v3, v0
	v_addc_co_u32_e32 v14, vcc, 0, v11, vcc
	v_lshlrev_b64 v[13:14], 2, v[13:14]
	v_mov_b32_e32 v16, s47
	v_sub_co_u32_e32 v13, vcc, s46, v13
	v_subb_co_u32_e32 v14, vcc, v16, v14, vcc
	s_waitcnt lgkmcnt(0)
	global_store_dword v[13:14], v15, off offset:-2052
.LBB230_170:
	s_andn2_saveexec_b64 s[2:3], s[2:3]
	s_cbranch_execz .LBB230_172
; %bb.171:
	v_lshlrev_b32_e32 v13, 2, v0
	ds_read_b32 v14, v13 offset:2048
	v_readfirstlane_b32 s4, v7
	v_readfirstlane_b32 s5, v8
	s_waitcnt lgkmcnt(0)
	s_nop 3
	global_store_dword v13, v14, s[4:5] offset:2048
.LBB230_172:
	s_or_b64 exec, exec, s[2:3]
.LBB230_173:
	s_andn2_saveexec_b64 s[0:1], s[0:1]
	s_cbranch_execz .LBB230_175
; %bb.174:
	v_lshlrev_b32_e32 v13, 2, v0
	ds_read_b32 v14, v13 offset:2048
	v_readfirstlane_b32 s2, v9
	v_readfirstlane_b32 s3, v10
	s_waitcnt lgkmcnt(0)
	s_nop 3
	global_store_dword v13, v14, s[2:3] offset:2048
.LBB230_175:
	;; [unrolled: 47-line block ×3, first 2 shown]
	s_or_b64 exec, exec, s[0:1]
	v_or_b32_e32 v13, 0x400, v0
	v_cmp_ge_u32_e32 vcc, v13, v1
	s_and_saveexec_b64 s[0:1], vcc
	s_xor_b64 s[0:1], exec, s[0:1]
	s_cbranch_execz .LBB230_189
; %bb.184:
	v_cmp_ge_u32_e32 vcc, v13, v12
	s_and_saveexec_b64 s[2:3], vcc
	s_xor_b64 s[2:3], exec, s[2:3]
	s_cbranch_execz .LBB230_186
; %bb.185:
	v_lshlrev_b32_e32 v13, 2, v0
	ds_read_b32 v15, v13 offset:4096
	v_add_co_u32_e32 v13, vcc, v3, v0
	v_addc_co_u32_e32 v14, vcc, 0, v11, vcc
	v_lshlrev_b64 v[13:14], 2, v[13:14]
	v_mov_b32_e32 v16, s47
	v_sub_co_u32_e32 v13, vcc, s46, v13
	v_subb_co_u32_e32 v14, vcc, v16, v14, vcc
	v_add_co_u32_e32 v13, vcc, 0xfffff000, v13
	v_addc_co_u32_e32 v14, vcc, -1, v14, vcc
	s_waitcnt lgkmcnt(0)
	global_store_dword v[13:14], v15, off offset:-4
                                        ; implicit-def: $vgpr13
.LBB230_186:
	s_andn2_saveexec_b64 s[2:3], s[2:3]
	s_cbranch_execz .LBB230_188
; %bb.187:
	v_lshlrev_b32_e32 v14, 2, v0
	ds_read_b32 v14, v14 offset:4096
	v_lshlrev_b32_e32 v13, 2, v13
	v_readfirstlane_b32 s4, v7
	v_readfirstlane_b32 s5, v8
	s_waitcnt lgkmcnt(0)
	s_nop 3
	global_store_dword v13, v14, s[4:5]
.LBB230_188:
	s_or_b64 exec, exec, s[2:3]
                                        ; implicit-def: $vgpr13
.LBB230_189:
	s_andn2_saveexec_b64 s[0:1], s[0:1]
	s_cbranch_execz .LBB230_191
; %bb.190:
	v_lshlrev_b32_e32 v14, 2, v0
	ds_read_b32 v14, v14 offset:4096
	v_lshlrev_b32_e32 v13, 2, v13
	v_readfirstlane_b32 s2, v9
	v_readfirstlane_b32 s3, v10
	s_waitcnt lgkmcnt(0)
	s_nop 3
	global_store_dword v13, v14, s[2:3]
.LBB230_191:
	s_or_b64 exec, exec, s[0:1]
	v_or_b32_e32 v13, 0x500, v0
	v_cmp_ge_u32_e32 vcc, v13, v1
	s_and_saveexec_b64 s[0:1], vcc
	s_xor_b64 s[0:1], exec, s[0:1]
	s_cbranch_execz .LBB230_197
; %bb.192:
	v_cmp_ge_u32_e32 vcc, v13, v12
	s_and_saveexec_b64 s[2:3], vcc
	s_xor_b64 s[2:3], exec, s[2:3]
	s_cbranch_execz .LBB230_194
; %bb.193:
	v_add_co_u32_e32 v13, vcc, v3, v13
	v_lshlrev_b32_e32 v15, 2, v0
	v_addc_co_u32_e32 v14, vcc, 0, v11, vcc
	ds_read_b32 v15, v15 offset:5120
	v_lshlrev_b64 v[13:14], 2, v[13:14]
	v_mov_b32_e32 v16, s47
	v_sub_co_u32_e32 v13, vcc, s46, v13
	v_subb_co_u32_e32 v14, vcc, v16, v14, vcc
	s_waitcnt lgkmcnt(0)
	global_store_dword v[13:14], v15, off offset:-4
                                        ; implicit-def: $vgpr13
.LBB230_194:
	s_andn2_saveexec_b64 s[2:3], s[2:3]
	s_cbranch_execz .LBB230_196
; %bb.195:
	v_lshlrev_b32_e32 v14, 2, v0
	ds_read_b32 v14, v14 offset:5120
	v_lshlrev_b32_e32 v13, 2, v13
	v_readfirstlane_b32 s4, v7
	v_readfirstlane_b32 s5, v8
	s_waitcnt lgkmcnt(0)
	s_nop 3
	global_store_dword v13, v14, s[4:5]
.LBB230_196:
	s_or_b64 exec, exec, s[2:3]
                                        ; implicit-def: $vgpr13
.LBB230_197:
	s_andn2_saveexec_b64 s[0:1], s[0:1]
	s_cbranch_execz .LBB230_199
; %bb.198:
	v_lshlrev_b32_e32 v14, 2, v0
	ds_read_b32 v14, v14 offset:5120
	v_lshlrev_b32_e32 v13, 2, v13
	v_readfirstlane_b32 s2, v9
	v_readfirstlane_b32 s3, v10
	s_waitcnt lgkmcnt(0)
	s_nop 3
	global_store_dword v13, v14, s[2:3]
.LBB230_199:
	s_or_b64 exec, exec, s[0:1]
	v_or_b32_e32 v13, 0x600, v0
	v_cmp_ge_u32_e32 vcc, v13, v1
	s_and_saveexec_b64 s[0:1], vcc
	s_xor_b64 s[0:1], exec, s[0:1]
	s_cbranch_execz .LBB230_205
; %bb.200:
	v_cmp_ge_u32_e32 vcc, v13, v12
	s_and_saveexec_b64 s[2:3], vcc
	s_xor_b64 s[2:3], exec, s[2:3]
	s_cbranch_execz .LBB230_202
; %bb.201:
	v_add_co_u32_e32 v13, vcc, v3, v13
	v_lshlrev_b32_e32 v15, 2, v0
	v_addc_co_u32_e32 v14, vcc, 0, v11, vcc
	ds_read_b32 v15, v15 offset:6144
	v_lshlrev_b64 v[13:14], 2, v[13:14]
	v_mov_b32_e32 v16, s47
	v_sub_co_u32_e32 v13, vcc, s46, v13
	v_subb_co_u32_e32 v14, vcc, v16, v14, vcc
	s_waitcnt lgkmcnt(0)
	global_store_dword v[13:14], v15, off offset:-4
                                        ; implicit-def: $vgpr13
.LBB230_202:
	s_andn2_saveexec_b64 s[2:3], s[2:3]
	s_cbranch_execz .LBB230_204
; %bb.203:
	v_lshlrev_b32_e32 v14, 2, v0
	ds_read_b32 v14, v14 offset:6144
	v_lshlrev_b32_e32 v13, 2, v13
	v_readfirstlane_b32 s4, v7
	v_readfirstlane_b32 s5, v8
	s_waitcnt lgkmcnt(0)
	s_nop 3
	global_store_dword v13, v14, s[4:5]
.LBB230_204:
	s_or_b64 exec, exec, s[2:3]
                                        ; implicit-def: $vgpr13
.LBB230_205:
	;; [unrolled: 51-line block ×8, first 2 shown]
	s_andn2_saveexec_b64 s[0:1], s[0:1]
	s_cbranch_execz .LBB230_255
; %bb.254:
	v_lshlrev_b32_e32 v14, 2, v0
	ds_read_b32 v14, v14 offset:12288
	v_lshlrev_b32_e32 v13, 2, v13
	v_readfirstlane_b32 s2, v9
	v_readfirstlane_b32 s3, v10
	s_waitcnt lgkmcnt(0)
	s_nop 3
	global_store_dword v13, v14, s[2:3]
.LBB230_255:
	s_or_b64 exec, exec, s[0:1]
	s_branch .LBB230_149
.LBB230_256:
	v_cmp_gt_u32_e32 vcc, s18, v0
	s_and_saveexec_b64 s[0:1], vcc
	s_cbranch_execz .LBB230_265
; %bb.257:
	v_cmp_ge_u32_e32 vcc, v0, v1
	s_and_saveexec_b64 s[2:3], vcc
	s_xor_b64 s[2:3], exec, s[2:3]
	s_cbranch_execz .LBB230_263
; %bb.258:
	v_cmp_ge_u32_e32 vcc, v0, v12
	s_and_saveexec_b64 s[4:5], vcc
	s_xor_b64 s[4:5], exec, s[4:5]
	s_cbranch_execz .LBB230_260
; %bb.259:
	v_add_co_u32_e32 v13, vcc, v3, v0
	v_lshlrev_b32_e32 v15, 2, v0
	v_addc_co_u32_e32 v14, vcc, 0, v11, vcc
	ds_read_b32 v15, v15
	v_lshlrev_b64 v[13:14], 2, v[13:14]
	v_mov_b32_e32 v16, s47
	v_sub_co_u32_e32 v13, vcc, s46, v13
	v_subb_co_u32_e32 v14, vcc, v16, v14, vcc
	s_waitcnt lgkmcnt(0)
	global_store_dword v[13:14], v15, off offset:-4
.LBB230_260:
	s_andn2_saveexec_b64 s[4:5], s[4:5]
	s_cbranch_execz .LBB230_262
; %bb.261:
	v_lshlrev_b32_e32 v13, 2, v0
	ds_read_b32 v14, v13
	v_readfirstlane_b32 s6, v7
	v_readfirstlane_b32 s7, v8
	s_waitcnt lgkmcnt(0)
	s_nop 3
	global_store_dword v13, v14, s[6:7]
.LBB230_262:
	s_or_b64 exec, exec, s[4:5]
.LBB230_263:
	s_andn2_saveexec_b64 s[2:3], s[2:3]
	s_cbranch_execz .LBB230_265
; %bb.264:
	v_lshlrev_b32_e32 v13, 2, v0
	ds_read_b32 v14, v13
	v_readfirstlane_b32 s2, v9
	v_readfirstlane_b32 s3, v10
	s_waitcnt lgkmcnt(0)
	s_nop 3
	global_store_dword v13, v14, s[2:3]
.LBB230_265:
	s_or_b64 exec, exec, s[0:1]
	v_or_b32_e32 v13, 0x100, v0
	v_cmp_gt_u32_e32 vcc, s18, v13
	s_and_saveexec_b64 s[0:1], vcc
	s_cbranch_execz .LBB230_274
; %bb.266:
	v_cmp_ge_u32_e32 vcc, v13, v1
	s_and_saveexec_b64 s[2:3], vcc
	s_xor_b64 s[2:3], exec, s[2:3]
	s_cbranch_execz .LBB230_272
; %bb.267:
	v_cmp_ge_u32_e32 vcc, v13, v12
	s_and_saveexec_b64 s[4:5], vcc
	s_xor_b64 s[4:5], exec, s[4:5]
	s_cbranch_execz .LBB230_269
; %bb.268:
	v_lshlrev_b32_e32 v13, 2, v0
	ds_read_b32 v15, v13 offset:1024
	v_add_co_u32_e32 v13, vcc, v3, v0
	v_addc_co_u32_e32 v14, vcc, 0, v11, vcc
	v_lshlrev_b64 v[13:14], 2, v[13:14]
	v_mov_b32_e32 v16, s47
	v_sub_co_u32_e32 v13, vcc, s46, v13
	v_subb_co_u32_e32 v14, vcc, v16, v14, vcc
	s_waitcnt lgkmcnt(0)
	global_store_dword v[13:14], v15, off offset:-1028
.LBB230_269:
	s_andn2_saveexec_b64 s[4:5], s[4:5]
	s_cbranch_execz .LBB230_271
; %bb.270:
	v_lshlrev_b32_e32 v13, 2, v0
	ds_read_b32 v14, v13 offset:1024
	v_readfirstlane_b32 s6, v7
	v_readfirstlane_b32 s7, v8
	s_waitcnt lgkmcnt(0)
	s_nop 3
	global_store_dword v13, v14, s[6:7] offset:1024
.LBB230_271:
	s_or_b64 exec, exec, s[4:5]
.LBB230_272:
	s_andn2_saveexec_b64 s[2:3], s[2:3]
	s_cbranch_execz .LBB230_274
; %bb.273:
	v_lshlrev_b32_e32 v13, 2, v0
	ds_read_b32 v14, v13 offset:1024
	v_readfirstlane_b32 s2, v9
	v_readfirstlane_b32 s3, v10
	s_waitcnt lgkmcnt(0)
	s_nop 3
	global_store_dword v13, v14, s[2:3] offset:1024
.LBB230_274:
	s_or_b64 exec, exec, s[0:1]
	v_or_b32_e32 v13, 0x200, v0
	v_cmp_gt_u32_e32 vcc, s18, v13
	s_and_saveexec_b64 s[0:1], vcc
	s_cbranch_execz .LBB230_283
; %bb.275:
	v_cmp_ge_u32_e32 vcc, v13, v1
	s_and_saveexec_b64 s[2:3], vcc
	s_xor_b64 s[2:3], exec, s[2:3]
	s_cbranch_execz .LBB230_281
; %bb.276:
	v_cmp_ge_u32_e32 vcc, v13, v12
	s_and_saveexec_b64 s[4:5], vcc
	s_xor_b64 s[4:5], exec, s[4:5]
	s_cbranch_execz .LBB230_278
; %bb.277:
	v_lshlrev_b32_e32 v13, 2, v0
	ds_read_b32 v15, v13 offset:2048
	v_add_co_u32_e32 v13, vcc, v3, v0
	v_addc_co_u32_e32 v14, vcc, 0, v11, vcc
	v_lshlrev_b64 v[13:14], 2, v[13:14]
	v_mov_b32_e32 v16, s47
	v_sub_co_u32_e32 v13, vcc, s46, v13
	v_subb_co_u32_e32 v14, vcc, v16, v14, vcc
	s_waitcnt lgkmcnt(0)
	global_store_dword v[13:14], v15, off offset:-2052
.LBB230_278:
	s_andn2_saveexec_b64 s[4:5], s[4:5]
	s_cbranch_execz .LBB230_280
; %bb.279:
	v_lshlrev_b32_e32 v13, 2, v0
	ds_read_b32 v14, v13 offset:2048
	v_readfirstlane_b32 s6, v7
	v_readfirstlane_b32 s7, v8
	s_waitcnt lgkmcnt(0)
	s_nop 3
	global_store_dword v13, v14, s[6:7] offset:2048
.LBB230_280:
	s_or_b64 exec, exec, s[4:5]
.LBB230_281:
	s_andn2_saveexec_b64 s[2:3], s[2:3]
	s_cbranch_execz .LBB230_283
; %bb.282:
	v_lshlrev_b32_e32 v13, 2, v0
	ds_read_b32 v14, v13 offset:2048
	v_readfirstlane_b32 s2, v9
	v_readfirstlane_b32 s3, v10
	s_waitcnt lgkmcnt(0)
	s_nop 3
	global_store_dword v13, v14, s[2:3] offset:2048
.LBB230_283:
	;; [unrolled: 51-line block ×3, first 2 shown]
	s_or_b64 exec, exec, s[0:1]
	v_or_b32_e32 v13, 0x400, v0
	v_cmp_gt_u32_e32 vcc, s18, v13
	s_and_saveexec_b64 s[0:1], vcc
	s_cbranch_execz .LBB230_301
; %bb.293:
	v_cmp_ge_u32_e32 vcc, v13, v1
	s_and_saveexec_b64 s[2:3], vcc
	s_xor_b64 s[2:3], exec, s[2:3]
	s_cbranch_execz .LBB230_299
; %bb.294:
	v_cmp_ge_u32_e32 vcc, v13, v12
	s_and_saveexec_b64 s[4:5], vcc
	s_xor_b64 s[4:5], exec, s[4:5]
	s_cbranch_execz .LBB230_296
; %bb.295:
	v_lshlrev_b32_e32 v13, 2, v0
	ds_read_b32 v15, v13 offset:4096
	v_add_co_u32_e32 v13, vcc, v3, v0
	v_addc_co_u32_e32 v14, vcc, 0, v11, vcc
	v_lshlrev_b64 v[13:14], 2, v[13:14]
	v_mov_b32_e32 v16, s47
	v_sub_co_u32_e32 v13, vcc, s46, v13
	v_subb_co_u32_e32 v14, vcc, v16, v14, vcc
	v_add_co_u32_e32 v13, vcc, 0xfffff000, v13
	v_addc_co_u32_e32 v14, vcc, -1, v14, vcc
	s_waitcnt lgkmcnt(0)
	global_store_dword v[13:14], v15, off offset:-4
                                        ; implicit-def: $vgpr13
.LBB230_296:
	s_andn2_saveexec_b64 s[4:5], s[4:5]
	s_cbranch_execz .LBB230_298
; %bb.297:
	v_lshlrev_b32_e32 v14, 2, v0
	ds_read_b32 v14, v14 offset:4096
	v_lshlrev_b32_e32 v13, 2, v13
	v_readfirstlane_b32 s6, v7
	v_readfirstlane_b32 s7, v8
	s_waitcnt lgkmcnt(0)
	s_nop 3
	global_store_dword v13, v14, s[6:7]
.LBB230_298:
	s_or_b64 exec, exec, s[4:5]
                                        ; implicit-def: $vgpr13
.LBB230_299:
	s_andn2_saveexec_b64 s[2:3], s[2:3]
	s_cbranch_execz .LBB230_301
; %bb.300:
	v_lshlrev_b32_e32 v14, 2, v0
	ds_read_b32 v14, v14 offset:4096
	v_lshlrev_b32_e32 v13, 2, v13
	v_readfirstlane_b32 s2, v9
	v_readfirstlane_b32 s3, v10
	s_waitcnt lgkmcnt(0)
	s_nop 3
	global_store_dword v13, v14, s[2:3]
.LBB230_301:
	s_or_b64 exec, exec, s[0:1]
	v_or_b32_e32 v13, 0x500, v0
	v_cmp_gt_u32_e32 vcc, s18, v13
	s_and_saveexec_b64 s[0:1], vcc
	s_cbranch_execz .LBB230_310
; %bb.302:
	v_cmp_ge_u32_e32 vcc, v13, v1
	s_and_saveexec_b64 s[2:3], vcc
	s_xor_b64 s[2:3], exec, s[2:3]
	s_cbranch_execz .LBB230_308
; %bb.303:
	v_cmp_ge_u32_e32 vcc, v13, v12
	s_and_saveexec_b64 s[4:5], vcc
	s_xor_b64 s[4:5], exec, s[4:5]
	s_cbranch_execz .LBB230_305
; %bb.304:
	v_add_co_u32_e32 v13, vcc, v3, v13
	v_lshlrev_b32_e32 v15, 2, v0
	v_addc_co_u32_e32 v14, vcc, 0, v11, vcc
	ds_read_b32 v15, v15 offset:5120
	v_lshlrev_b64 v[13:14], 2, v[13:14]
	v_mov_b32_e32 v16, s47
	v_sub_co_u32_e32 v13, vcc, s46, v13
	v_subb_co_u32_e32 v14, vcc, v16, v14, vcc
	s_waitcnt lgkmcnt(0)
	global_store_dword v[13:14], v15, off offset:-4
                                        ; implicit-def: $vgpr13
.LBB230_305:
	s_andn2_saveexec_b64 s[4:5], s[4:5]
	s_cbranch_execz .LBB230_307
; %bb.306:
	v_lshlrev_b32_e32 v14, 2, v0
	ds_read_b32 v14, v14 offset:5120
	v_lshlrev_b32_e32 v13, 2, v13
	v_readfirstlane_b32 s6, v7
	v_readfirstlane_b32 s7, v8
	s_waitcnt lgkmcnt(0)
	s_nop 3
	global_store_dword v13, v14, s[6:7]
.LBB230_307:
	s_or_b64 exec, exec, s[4:5]
                                        ; implicit-def: $vgpr13
.LBB230_308:
	s_andn2_saveexec_b64 s[2:3], s[2:3]
	s_cbranch_execz .LBB230_310
; %bb.309:
	v_lshlrev_b32_e32 v14, 2, v0
	ds_read_b32 v14, v14 offset:5120
	v_lshlrev_b32_e32 v13, 2, v13
	v_readfirstlane_b32 s2, v9
	v_readfirstlane_b32 s3, v10
	s_waitcnt lgkmcnt(0)
	s_nop 3
	global_store_dword v13, v14, s[2:3]
.LBB230_310:
	s_or_b64 exec, exec, s[0:1]
	v_or_b32_e32 v13, 0x600, v0
	v_cmp_gt_u32_e32 vcc, s18, v13
	s_and_saveexec_b64 s[0:1], vcc
	s_cbranch_execz .LBB230_319
; %bb.311:
	v_cmp_ge_u32_e32 vcc, v13, v1
	s_and_saveexec_b64 s[2:3], vcc
	s_xor_b64 s[2:3], exec, s[2:3]
	s_cbranch_execz .LBB230_317
; %bb.312:
	v_cmp_ge_u32_e32 vcc, v13, v12
	s_and_saveexec_b64 s[4:5], vcc
	s_xor_b64 s[4:5], exec, s[4:5]
	s_cbranch_execz .LBB230_314
; %bb.313:
	v_add_co_u32_e32 v13, vcc, v3, v13
	v_lshlrev_b32_e32 v15, 2, v0
	v_addc_co_u32_e32 v14, vcc, 0, v11, vcc
	ds_read_b32 v15, v15 offset:6144
	v_lshlrev_b64 v[13:14], 2, v[13:14]
	v_mov_b32_e32 v16, s47
	v_sub_co_u32_e32 v13, vcc, s46, v13
	v_subb_co_u32_e32 v14, vcc, v16, v14, vcc
	s_waitcnt lgkmcnt(0)
	global_store_dword v[13:14], v15, off offset:-4
                                        ; implicit-def: $vgpr13
.LBB230_314:
	s_andn2_saveexec_b64 s[4:5], s[4:5]
	s_cbranch_execz .LBB230_316
; %bb.315:
	v_lshlrev_b32_e32 v14, 2, v0
	ds_read_b32 v14, v14 offset:6144
	v_lshlrev_b32_e32 v13, 2, v13
	v_readfirstlane_b32 s6, v7
	v_readfirstlane_b32 s7, v8
	s_waitcnt lgkmcnt(0)
	s_nop 3
	global_store_dword v13, v14, s[6:7]
.LBB230_316:
	s_or_b64 exec, exec, s[4:5]
                                        ; implicit-def: $vgpr13
.LBB230_317:
	s_andn2_saveexec_b64 s[2:3], s[2:3]
	s_cbranch_execz .LBB230_319
; %bb.318:
	v_lshlrev_b32_e32 v14, 2, v0
	ds_read_b32 v14, v14 offset:6144
	v_lshlrev_b32_e32 v13, 2, v13
	v_readfirstlane_b32 s2, v9
	v_readfirstlane_b32 s3, v10
	s_waitcnt lgkmcnt(0)
	s_nop 3
	global_store_dword v13, v14, s[2:3]
.LBB230_319:
	s_or_b64 exec, exec, s[0:1]
	v_or_b32_e32 v13, 0x700, v0
	v_cmp_gt_u32_e32 vcc, s18, v13
	s_and_saveexec_b64 s[0:1], vcc
	s_cbranch_execz .LBB230_328
; %bb.320:
	v_cmp_ge_u32_e32 vcc, v13, v1
	s_and_saveexec_b64 s[2:3], vcc
	s_xor_b64 s[2:3], exec, s[2:3]
	s_cbranch_execz .LBB230_326
; %bb.321:
	v_cmp_ge_u32_e32 vcc, v13, v12
	s_and_saveexec_b64 s[4:5], vcc
	s_xor_b64 s[4:5], exec, s[4:5]
	s_cbranch_execz .LBB230_323
; %bb.322:
	v_add_co_u32_e32 v13, vcc, v3, v13
	v_lshlrev_b32_e32 v15, 2, v0
	v_addc_co_u32_e32 v14, vcc, 0, v11, vcc
	ds_read_b32 v15, v15 offset:7168
	v_lshlrev_b64 v[13:14], 2, v[13:14]
	v_mov_b32_e32 v16, s47
	v_sub_co_u32_e32 v13, vcc, s46, v13
	v_subb_co_u32_e32 v14, vcc, v16, v14, vcc
	s_waitcnt lgkmcnt(0)
	global_store_dword v[13:14], v15, off offset:-4
                                        ; implicit-def: $vgpr13
.LBB230_323:
	s_andn2_saveexec_b64 s[4:5], s[4:5]
	s_cbranch_execz .LBB230_325
; %bb.324:
	v_lshlrev_b32_e32 v14, 2, v0
	ds_read_b32 v14, v14 offset:7168
	v_lshlrev_b32_e32 v13, 2, v13
	v_readfirstlane_b32 s6, v7
	v_readfirstlane_b32 s7, v8
	s_waitcnt lgkmcnt(0)
	s_nop 3
	global_store_dword v13, v14, s[6:7]
.LBB230_325:
	s_or_b64 exec, exec, s[4:5]
                                        ; implicit-def: $vgpr13
.LBB230_326:
	s_andn2_saveexec_b64 s[2:3], s[2:3]
	s_cbranch_execz .LBB230_328
; %bb.327:
	v_lshlrev_b32_e32 v14, 2, v0
	ds_read_b32 v14, v14 offset:7168
	v_lshlrev_b32_e32 v13, 2, v13
	v_readfirstlane_b32 s2, v9
	v_readfirstlane_b32 s3, v10
	s_waitcnt lgkmcnt(0)
	s_nop 3
	global_store_dword v13, v14, s[2:3]
.LBB230_328:
	s_or_b64 exec, exec, s[0:1]
	v_or_b32_e32 v13, 0x800, v0
	v_cmp_gt_u32_e32 vcc, s18, v13
	s_and_saveexec_b64 s[0:1], vcc
	s_cbranch_execz .LBB230_337
; %bb.329:
	v_cmp_ge_u32_e32 vcc, v13, v1
	s_and_saveexec_b64 s[2:3], vcc
	s_xor_b64 s[2:3], exec, s[2:3]
	s_cbranch_execz .LBB230_335
; %bb.330:
	v_cmp_ge_u32_e32 vcc, v13, v12
	s_and_saveexec_b64 s[4:5], vcc
	s_xor_b64 s[4:5], exec, s[4:5]
	s_cbranch_execz .LBB230_332
; %bb.331:
	v_add_co_u32_e32 v13, vcc, v3, v13
	v_lshlrev_b32_e32 v15, 2, v0
	v_addc_co_u32_e32 v14, vcc, 0, v11, vcc
	ds_read_b32 v15, v15 offset:8192
	v_lshlrev_b64 v[13:14], 2, v[13:14]
	v_mov_b32_e32 v16, s47
	v_sub_co_u32_e32 v13, vcc, s46, v13
	v_subb_co_u32_e32 v14, vcc, v16, v14, vcc
	s_waitcnt lgkmcnt(0)
	global_store_dword v[13:14], v15, off offset:-4
                                        ; implicit-def: $vgpr13
.LBB230_332:
	s_andn2_saveexec_b64 s[4:5], s[4:5]
	s_cbranch_execz .LBB230_334
; %bb.333:
	v_lshlrev_b32_e32 v14, 2, v0
	ds_read_b32 v14, v14 offset:8192
	v_lshlrev_b32_e32 v13, 2, v13
	v_readfirstlane_b32 s6, v7
	v_readfirstlane_b32 s7, v8
	s_waitcnt lgkmcnt(0)
	s_nop 3
	global_store_dword v13, v14, s[6:7]
.LBB230_334:
	s_or_b64 exec, exec, s[4:5]
                                        ; implicit-def: $vgpr13
.LBB230_335:
	s_andn2_saveexec_b64 s[2:3], s[2:3]
	s_cbranch_execz .LBB230_337
; %bb.336:
	v_lshlrev_b32_e32 v14, 2, v0
	ds_read_b32 v14, v14 offset:8192
	v_lshlrev_b32_e32 v13, 2, v13
	v_readfirstlane_b32 s2, v9
	v_readfirstlane_b32 s3, v10
	s_waitcnt lgkmcnt(0)
	s_nop 3
	global_store_dword v13, v14, s[2:3]
.LBB230_337:
	s_or_b64 exec, exec, s[0:1]
	v_or_b32_e32 v13, 0x900, v0
	v_cmp_gt_u32_e32 vcc, s18, v13
	s_and_saveexec_b64 s[0:1], vcc
	s_cbranch_execz .LBB230_346
; %bb.338:
	v_cmp_ge_u32_e32 vcc, v13, v1
	s_and_saveexec_b64 s[2:3], vcc
	s_xor_b64 s[2:3], exec, s[2:3]
	s_cbranch_execz .LBB230_344
; %bb.339:
	v_cmp_ge_u32_e32 vcc, v13, v12
	s_and_saveexec_b64 s[4:5], vcc
	s_xor_b64 s[4:5], exec, s[4:5]
	s_cbranch_execz .LBB230_341
; %bb.340:
	v_add_co_u32_e32 v13, vcc, v3, v13
	v_lshlrev_b32_e32 v15, 2, v0
	v_addc_co_u32_e32 v14, vcc, 0, v11, vcc
	ds_read_b32 v15, v15 offset:9216
	v_lshlrev_b64 v[13:14], 2, v[13:14]
	v_mov_b32_e32 v16, s47
	v_sub_co_u32_e32 v13, vcc, s46, v13
	v_subb_co_u32_e32 v14, vcc, v16, v14, vcc
	s_waitcnt lgkmcnt(0)
	global_store_dword v[13:14], v15, off offset:-4
                                        ; implicit-def: $vgpr13
.LBB230_341:
	s_andn2_saveexec_b64 s[4:5], s[4:5]
	s_cbranch_execz .LBB230_343
; %bb.342:
	v_lshlrev_b32_e32 v14, 2, v0
	ds_read_b32 v14, v14 offset:9216
	v_lshlrev_b32_e32 v13, 2, v13
	v_readfirstlane_b32 s6, v7
	v_readfirstlane_b32 s7, v8
	s_waitcnt lgkmcnt(0)
	s_nop 3
	global_store_dword v13, v14, s[6:7]
.LBB230_343:
	s_or_b64 exec, exec, s[4:5]
                                        ; implicit-def: $vgpr13
.LBB230_344:
	s_andn2_saveexec_b64 s[2:3], s[2:3]
	s_cbranch_execz .LBB230_346
; %bb.345:
	v_lshlrev_b32_e32 v14, 2, v0
	ds_read_b32 v14, v14 offset:9216
	v_lshlrev_b32_e32 v13, 2, v13
	v_readfirstlane_b32 s2, v9
	v_readfirstlane_b32 s3, v10
	s_waitcnt lgkmcnt(0)
	s_nop 3
	global_store_dword v13, v14, s[2:3]
.LBB230_346:
	s_or_b64 exec, exec, s[0:1]
	v_or_b32_e32 v13, 0xa00, v0
	v_cmp_gt_u32_e32 vcc, s18, v13
	s_and_saveexec_b64 s[0:1], vcc
	s_cbranch_execz .LBB230_355
; %bb.347:
	v_cmp_ge_u32_e32 vcc, v13, v1
	s_and_saveexec_b64 s[2:3], vcc
	s_xor_b64 s[2:3], exec, s[2:3]
	s_cbranch_execz .LBB230_353
; %bb.348:
	v_cmp_ge_u32_e32 vcc, v13, v12
	s_and_saveexec_b64 s[4:5], vcc
	s_xor_b64 s[4:5], exec, s[4:5]
	s_cbranch_execz .LBB230_350
; %bb.349:
	v_add_co_u32_e32 v13, vcc, v3, v13
	v_lshlrev_b32_e32 v15, 2, v0
	v_addc_co_u32_e32 v14, vcc, 0, v11, vcc
	ds_read_b32 v15, v15 offset:10240
	v_lshlrev_b64 v[13:14], 2, v[13:14]
	v_mov_b32_e32 v16, s47
	v_sub_co_u32_e32 v13, vcc, s46, v13
	v_subb_co_u32_e32 v14, vcc, v16, v14, vcc
	s_waitcnt lgkmcnt(0)
	global_store_dword v[13:14], v15, off offset:-4
                                        ; implicit-def: $vgpr13
.LBB230_350:
	s_andn2_saveexec_b64 s[4:5], s[4:5]
	s_cbranch_execz .LBB230_352
; %bb.351:
	v_lshlrev_b32_e32 v14, 2, v0
	ds_read_b32 v14, v14 offset:10240
	v_lshlrev_b32_e32 v13, 2, v13
	v_readfirstlane_b32 s6, v7
	v_readfirstlane_b32 s7, v8
	s_waitcnt lgkmcnt(0)
	s_nop 3
	global_store_dword v13, v14, s[6:7]
.LBB230_352:
	s_or_b64 exec, exec, s[4:5]
                                        ; implicit-def: $vgpr13
.LBB230_353:
	s_andn2_saveexec_b64 s[2:3], s[2:3]
	s_cbranch_execz .LBB230_355
; %bb.354:
	v_lshlrev_b32_e32 v14, 2, v0
	ds_read_b32 v14, v14 offset:10240
	v_lshlrev_b32_e32 v13, 2, v13
	v_readfirstlane_b32 s2, v9
	v_readfirstlane_b32 s3, v10
	s_waitcnt lgkmcnt(0)
	s_nop 3
	global_store_dword v13, v14, s[2:3]
.LBB230_355:
	s_or_b64 exec, exec, s[0:1]
	v_or_b32_e32 v13, 0xb00, v0
	v_cmp_gt_u32_e32 vcc, s18, v13
	s_and_saveexec_b64 s[0:1], vcc
	s_cbranch_execz .LBB230_364
; %bb.356:
	v_cmp_ge_u32_e32 vcc, v13, v1
	s_and_saveexec_b64 s[2:3], vcc
	s_xor_b64 s[2:3], exec, s[2:3]
	s_cbranch_execz .LBB230_362
; %bb.357:
	v_cmp_ge_u32_e32 vcc, v13, v12
	s_and_saveexec_b64 s[4:5], vcc
	s_xor_b64 s[4:5], exec, s[4:5]
	s_cbranch_execz .LBB230_359
; %bb.358:
	v_add_co_u32_e32 v13, vcc, v3, v13
	v_lshlrev_b32_e32 v15, 2, v0
	v_addc_co_u32_e32 v14, vcc, 0, v11, vcc
	ds_read_b32 v15, v15 offset:11264
	v_lshlrev_b64 v[13:14], 2, v[13:14]
	v_mov_b32_e32 v16, s47
	v_sub_co_u32_e32 v13, vcc, s46, v13
	v_subb_co_u32_e32 v14, vcc, v16, v14, vcc
	s_waitcnt lgkmcnt(0)
	global_store_dword v[13:14], v15, off offset:-4
                                        ; implicit-def: $vgpr13
.LBB230_359:
	s_andn2_saveexec_b64 s[4:5], s[4:5]
	s_cbranch_execz .LBB230_361
; %bb.360:
	v_lshlrev_b32_e32 v14, 2, v0
	ds_read_b32 v14, v14 offset:11264
	v_lshlrev_b32_e32 v13, 2, v13
	v_readfirstlane_b32 s6, v7
	v_readfirstlane_b32 s7, v8
	s_waitcnt lgkmcnt(0)
	s_nop 3
	global_store_dword v13, v14, s[6:7]
.LBB230_361:
	s_or_b64 exec, exec, s[4:5]
                                        ; implicit-def: $vgpr13
.LBB230_362:
	s_andn2_saveexec_b64 s[2:3], s[2:3]
	s_cbranch_execz .LBB230_364
; %bb.363:
	v_lshlrev_b32_e32 v14, 2, v0
	ds_read_b32 v14, v14 offset:11264
	v_lshlrev_b32_e32 v13, 2, v13
	v_readfirstlane_b32 s2, v9
	v_readfirstlane_b32 s3, v10
	s_waitcnt lgkmcnt(0)
	s_nop 3
	global_store_dword v13, v14, s[2:3]
.LBB230_364:
	s_or_b64 exec, exec, s[0:1]
	v_or_b32_e32 v13, 0xc00, v0
	v_cmp_gt_u32_e32 vcc, s18, v13
	s_and_saveexec_b64 s[0:1], vcc
	s_cbranch_execz .LBB230_373
; %bb.365:
	v_cmp_ge_u32_e32 vcc, v13, v1
	s_and_saveexec_b64 s[2:3], vcc
	s_xor_b64 s[2:3], exec, s[2:3]
	s_cbranch_execz .LBB230_371
; %bb.366:
	v_cmp_ge_u32_e32 vcc, v13, v12
	s_and_saveexec_b64 s[4:5], vcc
	s_xor_b64 s[4:5], exec, s[4:5]
	s_cbranch_execz .LBB230_368
; %bb.367:
	v_add_co_u32_e32 v7, vcc, v3, v13
	v_lshlrev_b32_e32 v3, 2, v0
	v_addc_co_u32_e32 v8, vcc, 0, v11, vcc
	ds_read_b32 v3, v3 offset:12288
	v_lshlrev_b64 v[7:8], 2, v[7:8]
	v_mov_b32_e32 v9, s47
	v_sub_co_u32_e32 v7, vcc, s46, v7
	v_subb_co_u32_e32 v8, vcc, v9, v8, vcc
	s_waitcnt lgkmcnt(0)
	global_store_dword v[7:8], v3, off offset:-4
                                        ; implicit-def: $vgpr13
                                        ; implicit-def: $vgpr7_vgpr8
.LBB230_368:
	s_andn2_saveexec_b64 s[4:5], s[4:5]
	s_cbranch_execz .LBB230_370
; %bb.369:
	v_lshlrev_b32_e32 v3, 2, v0
	ds_read_b32 v3, v3 offset:12288
	v_lshlrev_b32_e32 v9, 2, v13
	v_readfirstlane_b32 s6, v7
	v_readfirstlane_b32 s7, v8
	s_waitcnt lgkmcnt(0)
	s_nop 3
	global_store_dword v9, v3, s[6:7]
.LBB230_370:
	s_or_b64 exec, exec, s[4:5]
                                        ; implicit-def: $vgpr13
                                        ; implicit-def: $vgpr9_vgpr10
.LBB230_371:
	s_andn2_saveexec_b64 s[2:3], s[2:3]
	s_cbranch_execz .LBB230_373
; %bb.372:
	v_lshlrev_b32_e32 v3, 2, v0
	ds_read_b32 v3, v3 offset:12288
	v_lshlrev_b32_e32 v7, 2, v13
	v_readfirstlane_b32 s2, v9
	v_readfirstlane_b32 s3, v10
	s_waitcnt lgkmcnt(0)
	s_nop 3
	global_store_dword v7, v3, s[2:3]
.LBB230_373:
	s_or_b64 exec, exec, s[0:1]
	v_cmp_eq_u32_e32 vcc, 0, v0
	s_and_b64 s[0:1], vcc, s[34:35]
	s_and_saveexec_b64 s[2:3], s[0:1]
	s_cbranch_execz .LBB230_150
.LBB230_374:
	v_mov_b32_e32 v0, s51
	v_add_co_u32_e32 v2, vcc, s50, v2
	v_addc_co_u32_e32 v0, vcc, 0, v0, vcc
	v_add_co_u32_e32 v2, vcc, v2, v4
	v_addc_co_u32_e32 v3, vcc, 0, v0, vcc
	v_add_co_u32_e32 v0, vcc, v5, v1
	v_mov_b32_e32 v7, 0
	v_addc_co_u32_e32 v1, vcc, 0, v6, vcc
	global_store_dwordx4 v7, v[0:3], s[44:45]
	s_endpgm
.LBB230_375:
	s_add_i32 s6, s6, 64
	s_mov_b32 s7, 0
	s_lshl_b64 s[6:7], s[6:7], 4
	s_add_u32 s6, s12, s6
	s_addc_u32 s7, s13, s7
	v_mov_b32_e32 v24, s7
	v_add_u32_e32 v6, v4, v2
	v_add_u32_e32 v5, v3, v1
	v_mov_b32_e32 v7, 2
	v_mov_b32_e32 v8, 0
	;; [unrolled: 1-line block ×3, first 2 shown]
	;;#ASMSTART
	global_store_dwordx4 v[23:24], v[5:8] off	
s_waitcnt vmcnt(0)
	;;#ASMEND
	s_or_b64 exec, exec, s[14:15]
	s_and_saveexec_b64 s[6:7], s[8:9]
	s_cbranch_execz .LBB230_135
.LBB230_376:
	v_mov_b32_e32 v5, 0
	ds_write_b128 v5, v[1:4] offset:13312
	s_or_b64 exec, exec, s[6:7]
	v_cmp_eq_u32_e32 vcc, 0, v0
	s_and_b64 exec, exec, vcc
	s_cbranch_execnz .LBB230_136
	s_branch .LBB230_137
	.section	.rodata,"a",@progbits
	.p2align	6, 0x0
	.amdhsa_kernel _ZN7rocprim17ROCPRIM_400000_NS6detail17trampoline_kernelINS0_13select_configILj256ELj13ELNS0_17block_load_methodE3ELS4_3ELS4_3ELNS0_20block_scan_algorithmE0ELj4294967295EEENS1_25partition_config_selectorILNS1_17partition_subalgoE4EjNS0_10empty_typeEbEEZZNS1_14partition_implILS8_4ELb0ES6_15HIP_vector_typeIjLj2EENS0_17counting_iteratorIjlEEPS9_SG_NS0_5tupleIJPjSI_NS0_16reverse_iteratorISI_EEEEENSH_IJSG_SG_SG_EEES9_SI_JZNS1_25segmented_radix_sort_implINS0_14default_configELb1EPKaPaPKlPlN2at6native12_GLOBAL__N_18offset_tEEE10hipError_tPvRmT1_PNSt15iterator_traitsIS12_E10value_typeET2_T3_PNS13_IS18_E10value_typeET4_jRbjT5_S1E_jjP12ihipStream_tbEUljE_ZNSN_ISO_Lb1ESQ_SR_ST_SU_SY_EESZ_S10_S11_S12_S16_S17_S18_S1B_S1C_jS1D_jS1E_S1E_jjS1G_bEUljE0_EEESZ_S10_S11_S18_S1C_S1E_T6_T7_T9_mT8_S1G_bDpT10_ENKUlT_T0_E_clISt17integral_constantIbLb0EES1U_EEDaS1P_S1Q_EUlS1P_E_NS1_11comp_targetILNS1_3genE2ELNS1_11target_archE906ELNS1_3gpuE6ELNS1_3repE0EEENS1_30default_config_static_selectorELNS0_4arch9wavefront6targetE1EEEvS12_
		.amdhsa_group_segment_fixed_size 13328
		.amdhsa_private_segment_fixed_size 0
		.amdhsa_kernarg_size 176
		.amdhsa_user_sgpr_count 6
		.amdhsa_user_sgpr_private_segment_buffer 1
		.amdhsa_user_sgpr_dispatch_ptr 0
		.amdhsa_user_sgpr_queue_ptr 0
		.amdhsa_user_sgpr_kernarg_segment_ptr 1
		.amdhsa_user_sgpr_dispatch_id 0
		.amdhsa_user_sgpr_flat_scratch_init 0
		.amdhsa_user_sgpr_private_segment_size 0
		.amdhsa_uses_dynamic_stack 0
		.amdhsa_system_sgpr_private_segment_wavefront_offset 0
		.amdhsa_system_sgpr_workgroup_id_x 1
		.amdhsa_system_sgpr_workgroup_id_y 0
		.amdhsa_system_sgpr_workgroup_id_z 0
		.amdhsa_system_sgpr_workgroup_info 0
		.amdhsa_system_vgpr_workitem_id 0
		.amdhsa_next_free_vgpr 86
		.amdhsa_next_free_sgpr 98
		.amdhsa_reserve_vcc 1
		.amdhsa_reserve_flat_scratch 0
		.amdhsa_float_round_mode_32 0
		.amdhsa_float_round_mode_16_64 0
		.amdhsa_float_denorm_mode_32 3
		.amdhsa_float_denorm_mode_16_64 3
		.amdhsa_dx10_clamp 1
		.amdhsa_ieee_mode 1
		.amdhsa_fp16_overflow 0
		.amdhsa_exception_fp_ieee_invalid_op 0
		.amdhsa_exception_fp_denorm_src 0
		.amdhsa_exception_fp_ieee_div_zero 0
		.amdhsa_exception_fp_ieee_overflow 0
		.amdhsa_exception_fp_ieee_underflow 0
		.amdhsa_exception_fp_ieee_inexact 0
		.amdhsa_exception_int_div_zero 0
	.end_amdhsa_kernel
	.section	.text._ZN7rocprim17ROCPRIM_400000_NS6detail17trampoline_kernelINS0_13select_configILj256ELj13ELNS0_17block_load_methodE3ELS4_3ELS4_3ELNS0_20block_scan_algorithmE0ELj4294967295EEENS1_25partition_config_selectorILNS1_17partition_subalgoE4EjNS0_10empty_typeEbEEZZNS1_14partition_implILS8_4ELb0ES6_15HIP_vector_typeIjLj2EENS0_17counting_iteratorIjlEEPS9_SG_NS0_5tupleIJPjSI_NS0_16reverse_iteratorISI_EEEEENSH_IJSG_SG_SG_EEES9_SI_JZNS1_25segmented_radix_sort_implINS0_14default_configELb1EPKaPaPKlPlN2at6native12_GLOBAL__N_18offset_tEEE10hipError_tPvRmT1_PNSt15iterator_traitsIS12_E10value_typeET2_T3_PNS13_IS18_E10value_typeET4_jRbjT5_S1E_jjP12ihipStream_tbEUljE_ZNSN_ISO_Lb1ESQ_SR_ST_SU_SY_EESZ_S10_S11_S12_S16_S17_S18_S1B_S1C_jS1D_jS1E_S1E_jjS1G_bEUljE0_EEESZ_S10_S11_S18_S1C_S1E_T6_T7_T9_mT8_S1G_bDpT10_ENKUlT_T0_E_clISt17integral_constantIbLb0EES1U_EEDaS1P_S1Q_EUlS1P_E_NS1_11comp_targetILNS1_3genE2ELNS1_11target_archE906ELNS1_3gpuE6ELNS1_3repE0EEENS1_30default_config_static_selectorELNS0_4arch9wavefront6targetE1EEEvS12_,"axG",@progbits,_ZN7rocprim17ROCPRIM_400000_NS6detail17trampoline_kernelINS0_13select_configILj256ELj13ELNS0_17block_load_methodE3ELS4_3ELS4_3ELNS0_20block_scan_algorithmE0ELj4294967295EEENS1_25partition_config_selectorILNS1_17partition_subalgoE4EjNS0_10empty_typeEbEEZZNS1_14partition_implILS8_4ELb0ES6_15HIP_vector_typeIjLj2EENS0_17counting_iteratorIjlEEPS9_SG_NS0_5tupleIJPjSI_NS0_16reverse_iteratorISI_EEEEENSH_IJSG_SG_SG_EEES9_SI_JZNS1_25segmented_radix_sort_implINS0_14default_configELb1EPKaPaPKlPlN2at6native12_GLOBAL__N_18offset_tEEE10hipError_tPvRmT1_PNSt15iterator_traitsIS12_E10value_typeET2_T3_PNS13_IS18_E10value_typeET4_jRbjT5_S1E_jjP12ihipStream_tbEUljE_ZNSN_ISO_Lb1ESQ_SR_ST_SU_SY_EESZ_S10_S11_S12_S16_S17_S18_S1B_S1C_jS1D_jS1E_S1E_jjS1G_bEUljE0_EEESZ_S10_S11_S18_S1C_S1E_T6_T7_T9_mT8_S1G_bDpT10_ENKUlT_T0_E_clISt17integral_constantIbLb0EES1U_EEDaS1P_S1Q_EUlS1P_E_NS1_11comp_targetILNS1_3genE2ELNS1_11target_archE906ELNS1_3gpuE6ELNS1_3repE0EEENS1_30default_config_static_selectorELNS0_4arch9wavefront6targetE1EEEvS12_,comdat
.Lfunc_end230:
	.size	_ZN7rocprim17ROCPRIM_400000_NS6detail17trampoline_kernelINS0_13select_configILj256ELj13ELNS0_17block_load_methodE3ELS4_3ELS4_3ELNS0_20block_scan_algorithmE0ELj4294967295EEENS1_25partition_config_selectorILNS1_17partition_subalgoE4EjNS0_10empty_typeEbEEZZNS1_14partition_implILS8_4ELb0ES6_15HIP_vector_typeIjLj2EENS0_17counting_iteratorIjlEEPS9_SG_NS0_5tupleIJPjSI_NS0_16reverse_iteratorISI_EEEEENSH_IJSG_SG_SG_EEES9_SI_JZNS1_25segmented_radix_sort_implINS0_14default_configELb1EPKaPaPKlPlN2at6native12_GLOBAL__N_18offset_tEEE10hipError_tPvRmT1_PNSt15iterator_traitsIS12_E10value_typeET2_T3_PNS13_IS18_E10value_typeET4_jRbjT5_S1E_jjP12ihipStream_tbEUljE_ZNSN_ISO_Lb1ESQ_SR_ST_SU_SY_EESZ_S10_S11_S12_S16_S17_S18_S1B_S1C_jS1D_jS1E_S1E_jjS1G_bEUljE0_EEESZ_S10_S11_S18_S1C_S1E_T6_T7_T9_mT8_S1G_bDpT10_ENKUlT_T0_E_clISt17integral_constantIbLb0EES1U_EEDaS1P_S1Q_EUlS1P_E_NS1_11comp_targetILNS1_3genE2ELNS1_11target_archE906ELNS1_3gpuE6ELNS1_3repE0EEENS1_30default_config_static_selectorELNS0_4arch9wavefront6targetE1EEEvS12_, .Lfunc_end230-_ZN7rocprim17ROCPRIM_400000_NS6detail17trampoline_kernelINS0_13select_configILj256ELj13ELNS0_17block_load_methodE3ELS4_3ELS4_3ELNS0_20block_scan_algorithmE0ELj4294967295EEENS1_25partition_config_selectorILNS1_17partition_subalgoE4EjNS0_10empty_typeEbEEZZNS1_14partition_implILS8_4ELb0ES6_15HIP_vector_typeIjLj2EENS0_17counting_iteratorIjlEEPS9_SG_NS0_5tupleIJPjSI_NS0_16reverse_iteratorISI_EEEEENSH_IJSG_SG_SG_EEES9_SI_JZNS1_25segmented_radix_sort_implINS0_14default_configELb1EPKaPaPKlPlN2at6native12_GLOBAL__N_18offset_tEEE10hipError_tPvRmT1_PNSt15iterator_traitsIS12_E10value_typeET2_T3_PNS13_IS18_E10value_typeET4_jRbjT5_S1E_jjP12ihipStream_tbEUljE_ZNSN_ISO_Lb1ESQ_SR_ST_SU_SY_EESZ_S10_S11_S12_S16_S17_S18_S1B_S1C_jS1D_jS1E_S1E_jjS1G_bEUljE0_EEESZ_S10_S11_S18_S1C_S1E_T6_T7_T9_mT8_S1G_bDpT10_ENKUlT_T0_E_clISt17integral_constantIbLb0EES1U_EEDaS1P_S1Q_EUlS1P_E_NS1_11comp_targetILNS1_3genE2ELNS1_11target_archE906ELNS1_3gpuE6ELNS1_3repE0EEENS1_30default_config_static_selectorELNS0_4arch9wavefront6targetE1EEEvS12_
                                        ; -- End function
	.set _ZN7rocprim17ROCPRIM_400000_NS6detail17trampoline_kernelINS0_13select_configILj256ELj13ELNS0_17block_load_methodE3ELS4_3ELS4_3ELNS0_20block_scan_algorithmE0ELj4294967295EEENS1_25partition_config_selectorILNS1_17partition_subalgoE4EjNS0_10empty_typeEbEEZZNS1_14partition_implILS8_4ELb0ES6_15HIP_vector_typeIjLj2EENS0_17counting_iteratorIjlEEPS9_SG_NS0_5tupleIJPjSI_NS0_16reverse_iteratorISI_EEEEENSH_IJSG_SG_SG_EEES9_SI_JZNS1_25segmented_radix_sort_implINS0_14default_configELb1EPKaPaPKlPlN2at6native12_GLOBAL__N_18offset_tEEE10hipError_tPvRmT1_PNSt15iterator_traitsIS12_E10value_typeET2_T3_PNS13_IS18_E10value_typeET4_jRbjT5_S1E_jjP12ihipStream_tbEUljE_ZNSN_ISO_Lb1ESQ_SR_ST_SU_SY_EESZ_S10_S11_S12_S16_S17_S18_S1B_S1C_jS1D_jS1E_S1E_jjS1G_bEUljE0_EEESZ_S10_S11_S18_S1C_S1E_T6_T7_T9_mT8_S1G_bDpT10_ENKUlT_T0_E_clISt17integral_constantIbLb0EES1U_EEDaS1P_S1Q_EUlS1P_E_NS1_11comp_targetILNS1_3genE2ELNS1_11target_archE906ELNS1_3gpuE6ELNS1_3repE0EEENS1_30default_config_static_selectorELNS0_4arch9wavefront6targetE1EEEvS12_.num_vgpr, 86
	.set _ZN7rocprim17ROCPRIM_400000_NS6detail17trampoline_kernelINS0_13select_configILj256ELj13ELNS0_17block_load_methodE3ELS4_3ELS4_3ELNS0_20block_scan_algorithmE0ELj4294967295EEENS1_25partition_config_selectorILNS1_17partition_subalgoE4EjNS0_10empty_typeEbEEZZNS1_14partition_implILS8_4ELb0ES6_15HIP_vector_typeIjLj2EENS0_17counting_iteratorIjlEEPS9_SG_NS0_5tupleIJPjSI_NS0_16reverse_iteratorISI_EEEEENSH_IJSG_SG_SG_EEES9_SI_JZNS1_25segmented_radix_sort_implINS0_14default_configELb1EPKaPaPKlPlN2at6native12_GLOBAL__N_18offset_tEEE10hipError_tPvRmT1_PNSt15iterator_traitsIS12_E10value_typeET2_T3_PNS13_IS18_E10value_typeET4_jRbjT5_S1E_jjP12ihipStream_tbEUljE_ZNSN_ISO_Lb1ESQ_SR_ST_SU_SY_EESZ_S10_S11_S12_S16_S17_S18_S1B_S1C_jS1D_jS1E_S1E_jjS1G_bEUljE0_EEESZ_S10_S11_S18_S1C_S1E_T6_T7_T9_mT8_S1G_bDpT10_ENKUlT_T0_E_clISt17integral_constantIbLb0EES1U_EEDaS1P_S1Q_EUlS1P_E_NS1_11comp_targetILNS1_3genE2ELNS1_11target_archE906ELNS1_3gpuE6ELNS1_3repE0EEENS1_30default_config_static_selectorELNS0_4arch9wavefront6targetE1EEEvS12_.num_agpr, 0
	.set _ZN7rocprim17ROCPRIM_400000_NS6detail17trampoline_kernelINS0_13select_configILj256ELj13ELNS0_17block_load_methodE3ELS4_3ELS4_3ELNS0_20block_scan_algorithmE0ELj4294967295EEENS1_25partition_config_selectorILNS1_17partition_subalgoE4EjNS0_10empty_typeEbEEZZNS1_14partition_implILS8_4ELb0ES6_15HIP_vector_typeIjLj2EENS0_17counting_iteratorIjlEEPS9_SG_NS0_5tupleIJPjSI_NS0_16reverse_iteratorISI_EEEEENSH_IJSG_SG_SG_EEES9_SI_JZNS1_25segmented_radix_sort_implINS0_14default_configELb1EPKaPaPKlPlN2at6native12_GLOBAL__N_18offset_tEEE10hipError_tPvRmT1_PNSt15iterator_traitsIS12_E10value_typeET2_T3_PNS13_IS18_E10value_typeET4_jRbjT5_S1E_jjP12ihipStream_tbEUljE_ZNSN_ISO_Lb1ESQ_SR_ST_SU_SY_EESZ_S10_S11_S12_S16_S17_S18_S1B_S1C_jS1D_jS1E_S1E_jjS1G_bEUljE0_EEESZ_S10_S11_S18_S1C_S1E_T6_T7_T9_mT8_S1G_bDpT10_ENKUlT_T0_E_clISt17integral_constantIbLb0EES1U_EEDaS1P_S1Q_EUlS1P_E_NS1_11comp_targetILNS1_3genE2ELNS1_11target_archE906ELNS1_3gpuE6ELNS1_3repE0EEENS1_30default_config_static_selectorELNS0_4arch9wavefront6targetE1EEEvS12_.numbered_sgpr, 90
	.set _ZN7rocprim17ROCPRIM_400000_NS6detail17trampoline_kernelINS0_13select_configILj256ELj13ELNS0_17block_load_methodE3ELS4_3ELS4_3ELNS0_20block_scan_algorithmE0ELj4294967295EEENS1_25partition_config_selectorILNS1_17partition_subalgoE4EjNS0_10empty_typeEbEEZZNS1_14partition_implILS8_4ELb0ES6_15HIP_vector_typeIjLj2EENS0_17counting_iteratorIjlEEPS9_SG_NS0_5tupleIJPjSI_NS0_16reverse_iteratorISI_EEEEENSH_IJSG_SG_SG_EEES9_SI_JZNS1_25segmented_radix_sort_implINS0_14default_configELb1EPKaPaPKlPlN2at6native12_GLOBAL__N_18offset_tEEE10hipError_tPvRmT1_PNSt15iterator_traitsIS12_E10value_typeET2_T3_PNS13_IS18_E10value_typeET4_jRbjT5_S1E_jjP12ihipStream_tbEUljE_ZNSN_ISO_Lb1ESQ_SR_ST_SU_SY_EESZ_S10_S11_S12_S16_S17_S18_S1B_S1C_jS1D_jS1E_S1E_jjS1G_bEUljE0_EEESZ_S10_S11_S18_S1C_S1E_T6_T7_T9_mT8_S1G_bDpT10_ENKUlT_T0_E_clISt17integral_constantIbLb0EES1U_EEDaS1P_S1Q_EUlS1P_E_NS1_11comp_targetILNS1_3genE2ELNS1_11target_archE906ELNS1_3gpuE6ELNS1_3repE0EEENS1_30default_config_static_selectorELNS0_4arch9wavefront6targetE1EEEvS12_.num_named_barrier, 0
	.set _ZN7rocprim17ROCPRIM_400000_NS6detail17trampoline_kernelINS0_13select_configILj256ELj13ELNS0_17block_load_methodE3ELS4_3ELS4_3ELNS0_20block_scan_algorithmE0ELj4294967295EEENS1_25partition_config_selectorILNS1_17partition_subalgoE4EjNS0_10empty_typeEbEEZZNS1_14partition_implILS8_4ELb0ES6_15HIP_vector_typeIjLj2EENS0_17counting_iteratorIjlEEPS9_SG_NS0_5tupleIJPjSI_NS0_16reverse_iteratorISI_EEEEENSH_IJSG_SG_SG_EEES9_SI_JZNS1_25segmented_radix_sort_implINS0_14default_configELb1EPKaPaPKlPlN2at6native12_GLOBAL__N_18offset_tEEE10hipError_tPvRmT1_PNSt15iterator_traitsIS12_E10value_typeET2_T3_PNS13_IS18_E10value_typeET4_jRbjT5_S1E_jjP12ihipStream_tbEUljE_ZNSN_ISO_Lb1ESQ_SR_ST_SU_SY_EESZ_S10_S11_S12_S16_S17_S18_S1B_S1C_jS1D_jS1E_S1E_jjS1G_bEUljE0_EEESZ_S10_S11_S18_S1C_S1E_T6_T7_T9_mT8_S1G_bDpT10_ENKUlT_T0_E_clISt17integral_constantIbLb0EES1U_EEDaS1P_S1Q_EUlS1P_E_NS1_11comp_targetILNS1_3genE2ELNS1_11target_archE906ELNS1_3gpuE6ELNS1_3repE0EEENS1_30default_config_static_selectorELNS0_4arch9wavefront6targetE1EEEvS12_.private_seg_size, 0
	.set _ZN7rocprim17ROCPRIM_400000_NS6detail17trampoline_kernelINS0_13select_configILj256ELj13ELNS0_17block_load_methodE3ELS4_3ELS4_3ELNS0_20block_scan_algorithmE0ELj4294967295EEENS1_25partition_config_selectorILNS1_17partition_subalgoE4EjNS0_10empty_typeEbEEZZNS1_14partition_implILS8_4ELb0ES6_15HIP_vector_typeIjLj2EENS0_17counting_iteratorIjlEEPS9_SG_NS0_5tupleIJPjSI_NS0_16reverse_iteratorISI_EEEEENSH_IJSG_SG_SG_EEES9_SI_JZNS1_25segmented_radix_sort_implINS0_14default_configELb1EPKaPaPKlPlN2at6native12_GLOBAL__N_18offset_tEEE10hipError_tPvRmT1_PNSt15iterator_traitsIS12_E10value_typeET2_T3_PNS13_IS18_E10value_typeET4_jRbjT5_S1E_jjP12ihipStream_tbEUljE_ZNSN_ISO_Lb1ESQ_SR_ST_SU_SY_EESZ_S10_S11_S12_S16_S17_S18_S1B_S1C_jS1D_jS1E_S1E_jjS1G_bEUljE0_EEESZ_S10_S11_S18_S1C_S1E_T6_T7_T9_mT8_S1G_bDpT10_ENKUlT_T0_E_clISt17integral_constantIbLb0EES1U_EEDaS1P_S1Q_EUlS1P_E_NS1_11comp_targetILNS1_3genE2ELNS1_11target_archE906ELNS1_3gpuE6ELNS1_3repE0EEENS1_30default_config_static_selectorELNS0_4arch9wavefront6targetE1EEEvS12_.uses_vcc, 1
	.set _ZN7rocprim17ROCPRIM_400000_NS6detail17trampoline_kernelINS0_13select_configILj256ELj13ELNS0_17block_load_methodE3ELS4_3ELS4_3ELNS0_20block_scan_algorithmE0ELj4294967295EEENS1_25partition_config_selectorILNS1_17partition_subalgoE4EjNS0_10empty_typeEbEEZZNS1_14partition_implILS8_4ELb0ES6_15HIP_vector_typeIjLj2EENS0_17counting_iteratorIjlEEPS9_SG_NS0_5tupleIJPjSI_NS0_16reverse_iteratorISI_EEEEENSH_IJSG_SG_SG_EEES9_SI_JZNS1_25segmented_radix_sort_implINS0_14default_configELb1EPKaPaPKlPlN2at6native12_GLOBAL__N_18offset_tEEE10hipError_tPvRmT1_PNSt15iterator_traitsIS12_E10value_typeET2_T3_PNS13_IS18_E10value_typeET4_jRbjT5_S1E_jjP12ihipStream_tbEUljE_ZNSN_ISO_Lb1ESQ_SR_ST_SU_SY_EESZ_S10_S11_S12_S16_S17_S18_S1B_S1C_jS1D_jS1E_S1E_jjS1G_bEUljE0_EEESZ_S10_S11_S18_S1C_S1E_T6_T7_T9_mT8_S1G_bDpT10_ENKUlT_T0_E_clISt17integral_constantIbLb0EES1U_EEDaS1P_S1Q_EUlS1P_E_NS1_11comp_targetILNS1_3genE2ELNS1_11target_archE906ELNS1_3gpuE6ELNS1_3repE0EEENS1_30default_config_static_selectorELNS0_4arch9wavefront6targetE1EEEvS12_.uses_flat_scratch, 0
	.set _ZN7rocprim17ROCPRIM_400000_NS6detail17trampoline_kernelINS0_13select_configILj256ELj13ELNS0_17block_load_methodE3ELS4_3ELS4_3ELNS0_20block_scan_algorithmE0ELj4294967295EEENS1_25partition_config_selectorILNS1_17partition_subalgoE4EjNS0_10empty_typeEbEEZZNS1_14partition_implILS8_4ELb0ES6_15HIP_vector_typeIjLj2EENS0_17counting_iteratorIjlEEPS9_SG_NS0_5tupleIJPjSI_NS0_16reverse_iteratorISI_EEEEENSH_IJSG_SG_SG_EEES9_SI_JZNS1_25segmented_radix_sort_implINS0_14default_configELb1EPKaPaPKlPlN2at6native12_GLOBAL__N_18offset_tEEE10hipError_tPvRmT1_PNSt15iterator_traitsIS12_E10value_typeET2_T3_PNS13_IS18_E10value_typeET4_jRbjT5_S1E_jjP12ihipStream_tbEUljE_ZNSN_ISO_Lb1ESQ_SR_ST_SU_SY_EESZ_S10_S11_S12_S16_S17_S18_S1B_S1C_jS1D_jS1E_S1E_jjS1G_bEUljE0_EEESZ_S10_S11_S18_S1C_S1E_T6_T7_T9_mT8_S1G_bDpT10_ENKUlT_T0_E_clISt17integral_constantIbLb0EES1U_EEDaS1P_S1Q_EUlS1P_E_NS1_11comp_targetILNS1_3genE2ELNS1_11target_archE906ELNS1_3gpuE6ELNS1_3repE0EEENS1_30default_config_static_selectorELNS0_4arch9wavefront6targetE1EEEvS12_.has_dyn_sized_stack, 0
	.set _ZN7rocprim17ROCPRIM_400000_NS6detail17trampoline_kernelINS0_13select_configILj256ELj13ELNS0_17block_load_methodE3ELS4_3ELS4_3ELNS0_20block_scan_algorithmE0ELj4294967295EEENS1_25partition_config_selectorILNS1_17partition_subalgoE4EjNS0_10empty_typeEbEEZZNS1_14partition_implILS8_4ELb0ES6_15HIP_vector_typeIjLj2EENS0_17counting_iteratorIjlEEPS9_SG_NS0_5tupleIJPjSI_NS0_16reverse_iteratorISI_EEEEENSH_IJSG_SG_SG_EEES9_SI_JZNS1_25segmented_radix_sort_implINS0_14default_configELb1EPKaPaPKlPlN2at6native12_GLOBAL__N_18offset_tEEE10hipError_tPvRmT1_PNSt15iterator_traitsIS12_E10value_typeET2_T3_PNS13_IS18_E10value_typeET4_jRbjT5_S1E_jjP12ihipStream_tbEUljE_ZNSN_ISO_Lb1ESQ_SR_ST_SU_SY_EESZ_S10_S11_S12_S16_S17_S18_S1B_S1C_jS1D_jS1E_S1E_jjS1G_bEUljE0_EEESZ_S10_S11_S18_S1C_S1E_T6_T7_T9_mT8_S1G_bDpT10_ENKUlT_T0_E_clISt17integral_constantIbLb0EES1U_EEDaS1P_S1Q_EUlS1P_E_NS1_11comp_targetILNS1_3genE2ELNS1_11target_archE906ELNS1_3gpuE6ELNS1_3repE0EEENS1_30default_config_static_selectorELNS0_4arch9wavefront6targetE1EEEvS12_.has_recursion, 0
	.set _ZN7rocprim17ROCPRIM_400000_NS6detail17trampoline_kernelINS0_13select_configILj256ELj13ELNS0_17block_load_methodE3ELS4_3ELS4_3ELNS0_20block_scan_algorithmE0ELj4294967295EEENS1_25partition_config_selectorILNS1_17partition_subalgoE4EjNS0_10empty_typeEbEEZZNS1_14partition_implILS8_4ELb0ES6_15HIP_vector_typeIjLj2EENS0_17counting_iteratorIjlEEPS9_SG_NS0_5tupleIJPjSI_NS0_16reverse_iteratorISI_EEEEENSH_IJSG_SG_SG_EEES9_SI_JZNS1_25segmented_radix_sort_implINS0_14default_configELb1EPKaPaPKlPlN2at6native12_GLOBAL__N_18offset_tEEE10hipError_tPvRmT1_PNSt15iterator_traitsIS12_E10value_typeET2_T3_PNS13_IS18_E10value_typeET4_jRbjT5_S1E_jjP12ihipStream_tbEUljE_ZNSN_ISO_Lb1ESQ_SR_ST_SU_SY_EESZ_S10_S11_S12_S16_S17_S18_S1B_S1C_jS1D_jS1E_S1E_jjS1G_bEUljE0_EEESZ_S10_S11_S18_S1C_S1E_T6_T7_T9_mT8_S1G_bDpT10_ENKUlT_T0_E_clISt17integral_constantIbLb0EES1U_EEDaS1P_S1Q_EUlS1P_E_NS1_11comp_targetILNS1_3genE2ELNS1_11target_archE906ELNS1_3gpuE6ELNS1_3repE0EEENS1_30default_config_static_selectorELNS0_4arch9wavefront6targetE1EEEvS12_.has_indirect_call, 0
	.section	.AMDGPU.csdata,"",@progbits
; Kernel info:
; codeLenInByte = 15480
; TotalNumSgprs: 94
; NumVgprs: 86
; ScratchSize: 0
; MemoryBound: 0
; FloatMode: 240
; IeeeMode: 1
; LDSByteSize: 13328 bytes/workgroup (compile time only)
; SGPRBlocks: 12
; VGPRBlocks: 21
; NumSGPRsForWavesPerEU: 102
; NumVGPRsForWavesPerEU: 86
; Occupancy: 2
; WaveLimiterHint : 1
; COMPUTE_PGM_RSRC2:SCRATCH_EN: 0
; COMPUTE_PGM_RSRC2:USER_SGPR: 6
; COMPUTE_PGM_RSRC2:TRAP_HANDLER: 0
; COMPUTE_PGM_RSRC2:TGID_X_EN: 1
; COMPUTE_PGM_RSRC2:TGID_Y_EN: 0
; COMPUTE_PGM_RSRC2:TGID_Z_EN: 0
; COMPUTE_PGM_RSRC2:TIDIG_COMP_CNT: 0
	.section	.text._ZN7rocprim17ROCPRIM_400000_NS6detail17trampoline_kernelINS0_13select_configILj256ELj13ELNS0_17block_load_methodE3ELS4_3ELS4_3ELNS0_20block_scan_algorithmE0ELj4294967295EEENS1_25partition_config_selectorILNS1_17partition_subalgoE4EjNS0_10empty_typeEbEEZZNS1_14partition_implILS8_4ELb0ES6_15HIP_vector_typeIjLj2EENS0_17counting_iteratorIjlEEPS9_SG_NS0_5tupleIJPjSI_NS0_16reverse_iteratorISI_EEEEENSH_IJSG_SG_SG_EEES9_SI_JZNS1_25segmented_radix_sort_implINS0_14default_configELb1EPKaPaPKlPlN2at6native12_GLOBAL__N_18offset_tEEE10hipError_tPvRmT1_PNSt15iterator_traitsIS12_E10value_typeET2_T3_PNS13_IS18_E10value_typeET4_jRbjT5_S1E_jjP12ihipStream_tbEUljE_ZNSN_ISO_Lb1ESQ_SR_ST_SU_SY_EESZ_S10_S11_S12_S16_S17_S18_S1B_S1C_jS1D_jS1E_S1E_jjS1G_bEUljE0_EEESZ_S10_S11_S18_S1C_S1E_T6_T7_T9_mT8_S1G_bDpT10_ENKUlT_T0_E_clISt17integral_constantIbLb0EES1U_EEDaS1P_S1Q_EUlS1P_E_NS1_11comp_targetILNS1_3genE10ELNS1_11target_archE1200ELNS1_3gpuE4ELNS1_3repE0EEENS1_30default_config_static_selectorELNS0_4arch9wavefront6targetE1EEEvS12_,"axG",@progbits,_ZN7rocprim17ROCPRIM_400000_NS6detail17trampoline_kernelINS0_13select_configILj256ELj13ELNS0_17block_load_methodE3ELS4_3ELS4_3ELNS0_20block_scan_algorithmE0ELj4294967295EEENS1_25partition_config_selectorILNS1_17partition_subalgoE4EjNS0_10empty_typeEbEEZZNS1_14partition_implILS8_4ELb0ES6_15HIP_vector_typeIjLj2EENS0_17counting_iteratorIjlEEPS9_SG_NS0_5tupleIJPjSI_NS0_16reverse_iteratorISI_EEEEENSH_IJSG_SG_SG_EEES9_SI_JZNS1_25segmented_radix_sort_implINS0_14default_configELb1EPKaPaPKlPlN2at6native12_GLOBAL__N_18offset_tEEE10hipError_tPvRmT1_PNSt15iterator_traitsIS12_E10value_typeET2_T3_PNS13_IS18_E10value_typeET4_jRbjT5_S1E_jjP12ihipStream_tbEUljE_ZNSN_ISO_Lb1ESQ_SR_ST_SU_SY_EESZ_S10_S11_S12_S16_S17_S18_S1B_S1C_jS1D_jS1E_S1E_jjS1G_bEUljE0_EEESZ_S10_S11_S18_S1C_S1E_T6_T7_T9_mT8_S1G_bDpT10_ENKUlT_T0_E_clISt17integral_constantIbLb0EES1U_EEDaS1P_S1Q_EUlS1P_E_NS1_11comp_targetILNS1_3genE10ELNS1_11target_archE1200ELNS1_3gpuE4ELNS1_3repE0EEENS1_30default_config_static_selectorELNS0_4arch9wavefront6targetE1EEEvS12_,comdat
	.globl	_ZN7rocprim17ROCPRIM_400000_NS6detail17trampoline_kernelINS0_13select_configILj256ELj13ELNS0_17block_load_methodE3ELS4_3ELS4_3ELNS0_20block_scan_algorithmE0ELj4294967295EEENS1_25partition_config_selectorILNS1_17partition_subalgoE4EjNS0_10empty_typeEbEEZZNS1_14partition_implILS8_4ELb0ES6_15HIP_vector_typeIjLj2EENS0_17counting_iteratorIjlEEPS9_SG_NS0_5tupleIJPjSI_NS0_16reverse_iteratorISI_EEEEENSH_IJSG_SG_SG_EEES9_SI_JZNS1_25segmented_radix_sort_implINS0_14default_configELb1EPKaPaPKlPlN2at6native12_GLOBAL__N_18offset_tEEE10hipError_tPvRmT1_PNSt15iterator_traitsIS12_E10value_typeET2_T3_PNS13_IS18_E10value_typeET4_jRbjT5_S1E_jjP12ihipStream_tbEUljE_ZNSN_ISO_Lb1ESQ_SR_ST_SU_SY_EESZ_S10_S11_S12_S16_S17_S18_S1B_S1C_jS1D_jS1E_S1E_jjS1G_bEUljE0_EEESZ_S10_S11_S18_S1C_S1E_T6_T7_T9_mT8_S1G_bDpT10_ENKUlT_T0_E_clISt17integral_constantIbLb0EES1U_EEDaS1P_S1Q_EUlS1P_E_NS1_11comp_targetILNS1_3genE10ELNS1_11target_archE1200ELNS1_3gpuE4ELNS1_3repE0EEENS1_30default_config_static_selectorELNS0_4arch9wavefront6targetE1EEEvS12_ ; -- Begin function _ZN7rocprim17ROCPRIM_400000_NS6detail17trampoline_kernelINS0_13select_configILj256ELj13ELNS0_17block_load_methodE3ELS4_3ELS4_3ELNS0_20block_scan_algorithmE0ELj4294967295EEENS1_25partition_config_selectorILNS1_17partition_subalgoE4EjNS0_10empty_typeEbEEZZNS1_14partition_implILS8_4ELb0ES6_15HIP_vector_typeIjLj2EENS0_17counting_iteratorIjlEEPS9_SG_NS0_5tupleIJPjSI_NS0_16reverse_iteratorISI_EEEEENSH_IJSG_SG_SG_EEES9_SI_JZNS1_25segmented_radix_sort_implINS0_14default_configELb1EPKaPaPKlPlN2at6native12_GLOBAL__N_18offset_tEEE10hipError_tPvRmT1_PNSt15iterator_traitsIS12_E10value_typeET2_T3_PNS13_IS18_E10value_typeET4_jRbjT5_S1E_jjP12ihipStream_tbEUljE_ZNSN_ISO_Lb1ESQ_SR_ST_SU_SY_EESZ_S10_S11_S12_S16_S17_S18_S1B_S1C_jS1D_jS1E_S1E_jjS1G_bEUljE0_EEESZ_S10_S11_S18_S1C_S1E_T6_T7_T9_mT8_S1G_bDpT10_ENKUlT_T0_E_clISt17integral_constantIbLb0EES1U_EEDaS1P_S1Q_EUlS1P_E_NS1_11comp_targetILNS1_3genE10ELNS1_11target_archE1200ELNS1_3gpuE4ELNS1_3repE0EEENS1_30default_config_static_selectorELNS0_4arch9wavefront6targetE1EEEvS12_
	.p2align	8
	.type	_ZN7rocprim17ROCPRIM_400000_NS6detail17trampoline_kernelINS0_13select_configILj256ELj13ELNS0_17block_load_methodE3ELS4_3ELS4_3ELNS0_20block_scan_algorithmE0ELj4294967295EEENS1_25partition_config_selectorILNS1_17partition_subalgoE4EjNS0_10empty_typeEbEEZZNS1_14partition_implILS8_4ELb0ES6_15HIP_vector_typeIjLj2EENS0_17counting_iteratorIjlEEPS9_SG_NS0_5tupleIJPjSI_NS0_16reverse_iteratorISI_EEEEENSH_IJSG_SG_SG_EEES9_SI_JZNS1_25segmented_radix_sort_implINS0_14default_configELb1EPKaPaPKlPlN2at6native12_GLOBAL__N_18offset_tEEE10hipError_tPvRmT1_PNSt15iterator_traitsIS12_E10value_typeET2_T3_PNS13_IS18_E10value_typeET4_jRbjT5_S1E_jjP12ihipStream_tbEUljE_ZNSN_ISO_Lb1ESQ_SR_ST_SU_SY_EESZ_S10_S11_S12_S16_S17_S18_S1B_S1C_jS1D_jS1E_S1E_jjS1G_bEUljE0_EEESZ_S10_S11_S18_S1C_S1E_T6_T7_T9_mT8_S1G_bDpT10_ENKUlT_T0_E_clISt17integral_constantIbLb0EES1U_EEDaS1P_S1Q_EUlS1P_E_NS1_11comp_targetILNS1_3genE10ELNS1_11target_archE1200ELNS1_3gpuE4ELNS1_3repE0EEENS1_30default_config_static_selectorELNS0_4arch9wavefront6targetE1EEEvS12_,@function
_ZN7rocprim17ROCPRIM_400000_NS6detail17trampoline_kernelINS0_13select_configILj256ELj13ELNS0_17block_load_methodE3ELS4_3ELS4_3ELNS0_20block_scan_algorithmE0ELj4294967295EEENS1_25partition_config_selectorILNS1_17partition_subalgoE4EjNS0_10empty_typeEbEEZZNS1_14partition_implILS8_4ELb0ES6_15HIP_vector_typeIjLj2EENS0_17counting_iteratorIjlEEPS9_SG_NS0_5tupleIJPjSI_NS0_16reverse_iteratorISI_EEEEENSH_IJSG_SG_SG_EEES9_SI_JZNS1_25segmented_radix_sort_implINS0_14default_configELb1EPKaPaPKlPlN2at6native12_GLOBAL__N_18offset_tEEE10hipError_tPvRmT1_PNSt15iterator_traitsIS12_E10value_typeET2_T3_PNS13_IS18_E10value_typeET4_jRbjT5_S1E_jjP12ihipStream_tbEUljE_ZNSN_ISO_Lb1ESQ_SR_ST_SU_SY_EESZ_S10_S11_S12_S16_S17_S18_S1B_S1C_jS1D_jS1E_S1E_jjS1G_bEUljE0_EEESZ_S10_S11_S18_S1C_S1E_T6_T7_T9_mT8_S1G_bDpT10_ENKUlT_T0_E_clISt17integral_constantIbLb0EES1U_EEDaS1P_S1Q_EUlS1P_E_NS1_11comp_targetILNS1_3genE10ELNS1_11target_archE1200ELNS1_3gpuE4ELNS1_3repE0EEENS1_30default_config_static_selectorELNS0_4arch9wavefront6targetE1EEEvS12_: ; @_ZN7rocprim17ROCPRIM_400000_NS6detail17trampoline_kernelINS0_13select_configILj256ELj13ELNS0_17block_load_methodE3ELS4_3ELS4_3ELNS0_20block_scan_algorithmE0ELj4294967295EEENS1_25partition_config_selectorILNS1_17partition_subalgoE4EjNS0_10empty_typeEbEEZZNS1_14partition_implILS8_4ELb0ES6_15HIP_vector_typeIjLj2EENS0_17counting_iteratorIjlEEPS9_SG_NS0_5tupleIJPjSI_NS0_16reverse_iteratorISI_EEEEENSH_IJSG_SG_SG_EEES9_SI_JZNS1_25segmented_radix_sort_implINS0_14default_configELb1EPKaPaPKlPlN2at6native12_GLOBAL__N_18offset_tEEE10hipError_tPvRmT1_PNSt15iterator_traitsIS12_E10value_typeET2_T3_PNS13_IS18_E10value_typeET4_jRbjT5_S1E_jjP12ihipStream_tbEUljE_ZNSN_ISO_Lb1ESQ_SR_ST_SU_SY_EESZ_S10_S11_S12_S16_S17_S18_S1B_S1C_jS1D_jS1E_S1E_jjS1G_bEUljE0_EEESZ_S10_S11_S18_S1C_S1E_T6_T7_T9_mT8_S1G_bDpT10_ENKUlT_T0_E_clISt17integral_constantIbLb0EES1U_EEDaS1P_S1Q_EUlS1P_E_NS1_11comp_targetILNS1_3genE10ELNS1_11target_archE1200ELNS1_3gpuE4ELNS1_3repE0EEENS1_30default_config_static_selectorELNS0_4arch9wavefront6targetE1EEEvS12_
; %bb.0:
	.section	.rodata,"a",@progbits
	.p2align	6, 0x0
	.amdhsa_kernel _ZN7rocprim17ROCPRIM_400000_NS6detail17trampoline_kernelINS0_13select_configILj256ELj13ELNS0_17block_load_methodE3ELS4_3ELS4_3ELNS0_20block_scan_algorithmE0ELj4294967295EEENS1_25partition_config_selectorILNS1_17partition_subalgoE4EjNS0_10empty_typeEbEEZZNS1_14partition_implILS8_4ELb0ES6_15HIP_vector_typeIjLj2EENS0_17counting_iteratorIjlEEPS9_SG_NS0_5tupleIJPjSI_NS0_16reverse_iteratorISI_EEEEENSH_IJSG_SG_SG_EEES9_SI_JZNS1_25segmented_radix_sort_implINS0_14default_configELb1EPKaPaPKlPlN2at6native12_GLOBAL__N_18offset_tEEE10hipError_tPvRmT1_PNSt15iterator_traitsIS12_E10value_typeET2_T3_PNS13_IS18_E10value_typeET4_jRbjT5_S1E_jjP12ihipStream_tbEUljE_ZNSN_ISO_Lb1ESQ_SR_ST_SU_SY_EESZ_S10_S11_S12_S16_S17_S18_S1B_S1C_jS1D_jS1E_S1E_jjS1G_bEUljE0_EEESZ_S10_S11_S18_S1C_S1E_T6_T7_T9_mT8_S1G_bDpT10_ENKUlT_T0_E_clISt17integral_constantIbLb0EES1U_EEDaS1P_S1Q_EUlS1P_E_NS1_11comp_targetILNS1_3genE10ELNS1_11target_archE1200ELNS1_3gpuE4ELNS1_3repE0EEENS1_30default_config_static_selectorELNS0_4arch9wavefront6targetE1EEEvS12_
		.amdhsa_group_segment_fixed_size 0
		.amdhsa_private_segment_fixed_size 0
		.amdhsa_kernarg_size 176
		.amdhsa_user_sgpr_count 6
		.amdhsa_user_sgpr_private_segment_buffer 1
		.amdhsa_user_sgpr_dispatch_ptr 0
		.amdhsa_user_sgpr_queue_ptr 0
		.amdhsa_user_sgpr_kernarg_segment_ptr 1
		.amdhsa_user_sgpr_dispatch_id 0
		.amdhsa_user_sgpr_flat_scratch_init 0
		.amdhsa_user_sgpr_private_segment_size 0
		.amdhsa_uses_dynamic_stack 0
		.amdhsa_system_sgpr_private_segment_wavefront_offset 0
		.amdhsa_system_sgpr_workgroup_id_x 1
		.amdhsa_system_sgpr_workgroup_id_y 0
		.amdhsa_system_sgpr_workgroup_id_z 0
		.amdhsa_system_sgpr_workgroup_info 0
		.amdhsa_system_vgpr_workitem_id 0
		.amdhsa_next_free_vgpr 1
		.amdhsa_next_free_sgpr 0
		.amdhsa_reserve_vcc 0
		.amdhsa_reserve_flat_scratch 0
		.amdhsa_float_round_mode_32 0
		.amdhsa_float_round_mode_16_64 0
		.amdhsa_float_denorm_mode_32 3
		.amdhsa_float_denorm_mode_16_64 3
		.amdhsa_dx10_clamp 1
		.amdhsa_ieee_mode 1
		.amdhsa_fp16_overflow 0
		.amdhsa_exception_fp_ieee_invalid_op 0
		.amdhsa_exception_fp_denorm_src 0
		.amdhsa_exception_fp_ieee_div_zero 0
		.amdhsa_exception_fp_ieee_overflow 0
		.amdhsa_exception_fp_ieee_underflow 0
		.amdhsa_exception_fp_ieee_inexact 0
		.amdhsa_exception_int_div_zero 0
	.end_amdhsa_kernel
	.section	.text._ZN7rocprim17ROCPRIM_400000_NS6detail17trampoline_kernelINS0_13select_configILj256ELj13ELNS0_17block_load_methodE3ELS4_3ELS4_3ELNS0_20block_scan_algorithmE0ELj4294967295EEENS1_25partition_config_selectorILNS1_17partition_subalgoE4EjNS0_10empty_typeEbEEZZNS1_14partition_implILS8_4ELb0ES6_15HIP_vector_typeIjLj2EENS0_17counting_iteratorIjlEEPS9_SG_NS0_5tupleIJPjSI_NS0_16reverse_iteratorISI_EEEEENSH_IJSG_SG_SG_EEES9_SI_JZNS1_25segmented_radix_sort_implINS0_14default_configELb1EPKaPaPKlPlN2at6native12_GLOBAL__N_18offset_tEEE10hipError_tPvRmT1_PNSt15iterator_traitsIS12_E10value_typeET2_T3_PNS13_IS18_E10value_typeET4_jRbjT5_S1E_jjP12ihipStream_tbEUljE_ZNSN_ISO_Lb1ESQ_SR_ST_SU_SY_EESZ_S10_S11_S12_S16_S17_S18_S1B_S1C_jS1D_jS1E_S1E_jjS1G_bEUljE0_EEESZ_S10_S11_S18_S1C_S1E_T6_T7_T9_mT8_S1G_bDpT10_ENKUlT_T0_E_clISt17integral_constantIbLb0EES1U_EEDaS1P_S1Q_EUlS1P_E_NS1_11comp_targetILNS1_3genE10ELNS1_11target_archE1200ELNS1_3gpuE4ELNS1_3repE0EEENS1_30default_config_static_selectorELNS0_4arch9wavefront6targetE1EEEvS12_,"axG",@progbits,_ZN7rocprim17ROCPRIM_400000_NS6detail17trampoline_kernelINS0_13select_configILj256ELj13ELNS0_17block_load_methodE3ELS4_3ELS4_3ELNS0_20block_scan_algorithmE0ELj4294967295EEENS1_25partition_config_selectorILNS1_17partition_subalgoE4EjNS0_10empty_typeEbEEZZNS1_14partition_implILS8_4ELb0ES6_15HIP_vector_typeIjLj2EENS0_17counting_iteratorIjlEEPS9_SG_NS0_5tupleIJPjSI_NS0_16reverse_iteratorISI_EEEEENSH_IJSG_SG_SG_EEES9_SI_JZNS1_25segmented_radix_sort_implINS0_14default_configELb1EPKaPaPKlPlN2at6native12_GLOBAL__N_18offset_tEEE10hipError_tPvRmT1_PNSt15iterator_traitsIS12_E10value_typeET2_T3_PNS13_IS18_E10value_typeET4_jRbjT5_S1E_jjP12ihipStream_tbEUljE_ZNSN_ISO_Lb1ESQ_SR_ST_SU_SY_EESZ_S10_S11_S12_S16_S17_S18_S1B_S1C_jS1D_jS1E_S1E_jjS1G_bEUljE0_EEESZ_S10_S11_S18_S1C_S1E_T6_T7_T9_mT8_S1G_bDpT10_ENKUlT_T0_E_clISt17integral_constantIbLb0EES1U_EEDaS1P_S1Q_EUlS1P_E_NS1_11comp_targetILNS1_3genE10ELNS1_11target_archE1200ELNS1_3gpuE4ELNS1_3repE0EEENS1_30default_config_static_selectorELNS0_4arch9wavefront6targetE1EEEvS12_,comdat
.Lfunc_end231:
	.size	_ZN7rocprim17ROCPRIM_400000_NS6detail17trampoline_kernelINS0_13select_configILj256ELj13ELNS0_17block_load_methodE3ELS4_3ELS4_3ELNS0_20block_scan_algorithmE0ELj4294967295EEENS1_25partition_config_selectorILNS1_17partition_subalgoE4EjNS0_10empty_typeEbEEZZNS1_14partition_implILS8_4ELb0ES6_15HIP_vector_typeIjLj2EENS0_17counting_iteratorIjlEEPS9_SG_NS0_5tupleIJPjSI_NS0_16reverse_iteratorISI_EEEEENSH_IJSG_SG_SG_EEES9_SI_JZNS1_25segmented_radix_sort_implINS0_14default_configELb1EPKaPaPKlPlN2at6native12_GLOBAL__N_18offset_tEEE10hipError_tPvRmT1_PNSt15iterator_traitsIS12_E10value_typeET2_T3_PNS13_IS18_E10value_typeET4_jRbjT5_S1E_jjP12ihipStream_tbEUljE_ZNSN_ISO_Lb1ESQ_SR_ST_SU_SY_EESZ_S10_S11_S12_S16_S17_S18_S1B_S1C_jS1D_jS1E_S1E_jjS1G_bEUljE0_EEESZ_S10_S11_S18_S1C_S1E_T6_T7_T9_mT8_S1G_bDpT10_ENKUlT_T0_E_clISt17integral_constantIbLb0EES1U_EEDaS1P_S1Q_EUlS1P_E_NS1_11comp_targetILNS1_3genE10ELNS1_11target_archE1200ELNS1_3gpuE4ELNS1_3repE0EEENS1_30default_config_static_selectorELNS0_4arch9wavefront6targetE1EEEvS12_, .Lfunc_end231-_ZN7rocprim17ROCPRIM_400000_NS6detail17trampoline_kernelINS0_13select_configILj256ELj13ELNS0_17block_load_methodE3ELS4_3ELS4_3ELNS0_20block_scan_algorithmE0ELj4294967295EEENS1_25partition_config_selectorILNS1_17partition_subalgoE4EjNS0_10empty_typeEbEEZZNS1_14partition_implILS8_4ELb0ES6_15HIP_vector_typeIjLj2EENS0_17counting_iteratorIjlEEPS9_SG_NS0_5tupleIJPjSI_NS0_16reverse_iteratorISI_EEEEENSH_IJSG_SG_SG_EEES9_SI_JZNS1_25segmented_radix_sort_implINS0_14default_configELb1EPKaPaPKlPlN2at6native12_GLOBAL__N_18offset_tEEE10hipError_tPvRmT1_PNSt15iterator_traitsIS12_E10value_typeET2_T3_PNS13_IS18_E10value_typeET4_jRbjT5_S1E_jjP12ihipStream_tbEUljE_ZNSN_ISO_Lb1ESQ_SR_ST_SU_SY_EESZ_S10_S11_S12_S16_S17_S18_S1B_S1C_jS1D_jS1E_S1E_jjS1G_bEUljE0_EEESZ_S10_S11_S18_S1C_S1E_T6_T7_T9_mT8_S1G_bDpT10_ENKUlT_T0_E_clISt17integral_constantIbLb0EES1U_EEDaS1P_S1Q_EUlS1P_E_NS1_11comp_targetILNS1_3genE10ELNS1_11target_archE1200ELNS1_3gpuE4ELNS1_3repE0EEENS1_30default_config_static_selectorELNS0_4arch9wavefront6targetE1EEEvS12_
                                        ; -- End function
	.set _ZN7rocprim17ROCPRIM_400000_NS6detail17trampoline_kernelINS0_13select_configILj256ELj13ELNS0_17block_load_methodE3ELS4_3ELS4_3ELNS0_20block_scan_algorithmE0ELj4294967295EEENS1_25partition_config_selectorILNS1_17partition_subalgoE4EjNS0_10empty_typeEbEEZZNS1_14partition_implILS8_4ELb0ES6_15HIP_vector_typeIjLj2EENS0_17counting_iteratorIjlEEPS9_SG_NS0_5tupleIJPjSI_NS0_16reverse_iteratorISI_EEEEENSH_IJSG_SG_SG_EEES9_SI_JZNS1_25segmented_radix_sort_implINS0_14default_configELb1EPKaPaPKlPlN2at6native12_GLOBAL__N_18offset_tEEE10hipError_tPvRmT1_PNSt15iterator_traitsIS12_E10value_typeET2_T3_PNS13_IS18_E10value_typeET4_jRbjT5_S1E_jjP12ihipStream_tbEUljE_ZNSN_ISO_Lb1ESQ_SR_ST_SU_SY_EESZ_S10_S11_S12_S16_S17_S18_S1B_S1C_jS1D_jS1E_S1E_jjS1G_bEUljE0_EEESZ_S10_S11_S18_S1C_S1E_T6_T7_T9_mT8_S1G_bDpT10_ENKUlT_T0_E_clISt17integral_constantIbLb0EES1U_EEDaS1P_S1Q_EUlS1P_E_NS1_11comp_targetILNS1_3genE10ELNS1_11target_archE1200ELNS1_3gpuE4ELNS1_3repE0EEENS1_30default_config_static_selectorELNS0_4arch9wavefront6targetE1EEEvS12_.num_vgpr, 0
	.set _ZN7rocprim17ROCPRIM_400000_NS6detail17trampoline_kernelINS0_13select_configILj256ELj13ELNS0_17block_load_methodE3ELS4_3ELS4_3ELNS0_20block_scan_algorithmE0ELj4294967295EEENS1_25partition_config_selectorILNS1_17partition_subalgoE4EjNS0_10empty_typeEbEEZZNS1_14partition_implILS8_4ELb0ES6_15HIP_vector_typeIjLj2EENS0_17counting_iteratorIjlEEPS9_SG_NS0_5tupleIJPjSI_NS0_16reverse_iteratorISI_EEEEENSH_IJSG_SG_SG_EEES9_SI_JZNS1_25segmented_radix_sort_implINS0_14default_configELb1EPKaPaPKlPlN2at6native12_GLOBAL__N_18offset_tEEE10hipError_tPvRmT1_PNSt15iterator_traitsIS12_E10value_typeET2_T3_PNS13_IS18_E10value_typeET4_jRbjT5_S1E_jjP12ihipStream_tbEUljE_ZNSN_ISO_Lb1ESQ_SR_ST_SU_SY_EESZ_S10_S11_S12_S16_S17_S18_S1B_S1C_jS1D_jS1E_S1E_jjS1G_bEUljE0_EEESZ_S10_S11_S18_S1C_S1E_T6_T7_T9_mT8_S1G_bDpT10_ENKUlT_T0_E_clISt17integral_constantIbLb0EES1U_EEDaS1P_S1Q_EUlS1P_E_NS1_11comp_targetILNS1_3genE10ELNS1_11target_archE1200ELNS1_3gpuE4ELNS1_3repE0EEENS1_30default_config_static_selectorELNS0_4arch9wavefront6targetE1EEEvS12_.num_agpr, 0
	.set _ZN7rocprim17ROCPRIM_400000_NS6detail17trampoline_kernelINS0_13select_configILj256ELj13ELNS0_17block_load_methodE3ELS4_3ELS4_3ELNS0_20block_scan_algorithmE0ELj4294967295EEENS1_25partition_config_selectorILNS1_17partition_subalgoE4EjNS0_10empty_typeEbEEZZNS1_14partition_implILS8_4ELb0ES6_15HIP_vector_typeIjLj2EENS0_17counting_iteratorIjlEEPS9_SG_NS0_5tupleIJPjSI_NS0_16reverse_iteratorISI_EEEEENSH_IJSG_SG_SG_EEES9_SI_JZNS1_25segmented_radix_sort_implINS0_14default_configELb1EPKaPaPKlPlN2at6native12_GLOBAL__N_18offset_tEEE10hipError_tPvRmT1_PNSt15iterator_traitsIS12_E10value_typeET2_T3_PNS13_IS18_E10value_typeET4_jRbjT5_S1E_jjP12ihipStream_tbEUljE_ZNSN_ISO_Lb1ESQ_SR_ST_SU_SY_EESZ_S10_S11_S12_S16_S17_S18_S1B_S1C_jS1D_jS1E_S1E_jjS1G_bEUljE0_EEESZ_S10_S11_S18_S1C_S1E_T6_T7_T9_mT8_S1G_bDpT10_ENKUlT_T0_E_clISt17integral_constantIbLb0EES1U_EEDaS1P_S1Q_EUlS1P_E_NS1_11comp_targetILNS1_3genE10ELNS1_11target_archE1200ELNS1_3gpuE4ELNS1_3repE0EEENS1_30default_config_static_selectorELNS0_4arch9wavefront6targetE1EEEvS12_.numbered_sgpr, 0
	.set _ZN7rocprim17ROCPRIM_400000_NS6detail17trampoline_kernelINS0_13select_configILj256ELj13ELNS0_17block_load_methodE3ELS4_3ELS4_3ELNS0_20block_scan_algorithmE0ELj4294967295EEENS1_25partition_config_selectorILNS1_17partition_subalgoE4EjNS0_10empty_typeEbEEZZNS1_14partition_implILS8_4ELb0ES6_15HIP_vector_typeIjLj2EENS0_17counting_iteratorIjlEEPS9_SG_NS0_5tupleIJPjSI_NS0_16reverse_iteratorISI_EEEEENSH_IJSG_SG_SG_EEES9_SI_JZNS1_25segmented_radix_sort_implINS0_14default_configELb1EPKaPaPKlPlN2at6native12_GLOBAL__N_18offset_tEEE10hipError_tPvRmT1_PNSt15iterator_traitsIS12_E10value_typeET2_T3_PNS13_IS18_E10value_typeET4_jRbjT5_S1E_jjP12ihipStream_tbEUljE_ZNSN_ISO_Lb1ESQ_SR_ST_SU_SY_EESZ_S10_S11_S12_S16_S17_S18_S1B_S1C_jS1D_jS1E_S1E_jjS1G_bEUljE0_EEESZ_S10_S11_S18_S1C_S1E_T6_T7_T9_mT8_S1G_bDpT10_ENKUlT_T0_E_clISt17integral_constantIbLb0EES1U_EEDaS1P_S1Q_EUlS1P_E_NS1_11comp_targetILNS1_3genE10ELNS1_11target_archE1200ELNS1_3gpuE4ELNS1_3repE0EEENS1_30default_config_static_selectorELNS0_4arch9wavefront6targetE1EEEvS12_.num_named_barrier, 0
	.set _ZN7rocprim17ROCPRIM_400000_NS6detail17trampoline_kernelINS0_13select_configILj256ELj13ELNS0_17block_load_methodE3ELS4_3ELS4_3ELNS0_20block_scan_algorithmE0ELj4294967295EEENS1_25partition_config_selectorILNS1_17partition_subalgoE4EjNS0_10empty_typeEbEEZZNS1_14partition_implILS8_4ELb0ES6_15HIP_vector_typeIjLj2EENS0_17counting_iteratorIjlEEPS9_SG_NS0_5tupleIJPjSI_NS0_16reverse_iteratorISI_EEEEENSH_IJSG_SG_SG_EEES9_SI_JZNS1_25segmented_radix_sort_implINS0_14default_configELb1EPKaPaPKlPlN2at6native12_GLOBAL__N_18offset_tEEE10hipError_tPvRmT1_PNSt15iterator_traitsIS12_E10value_typeET2_T3_PNS13_IS18_E10value_typeET4_jRbjT5_S1E_jjP12ihipStream_tbEUljE_ZNSN_ISO_Lb1ESQ_SR_ST_SU_SY_EESZ_S10_S11_S12_S16_S17_S18_S1B_S1C_jS1D_jS1E_S1E_jjS1G_bEUljE0_EEESZ_S10_S11_S18_S1C_S1E_T6_T7_T9_mT8_S1G_bDpT10_ENKUlT_T0_E_clISt17integral_constantIbLb0EES1U_EEDaS1P_S1Q_EUlS1P_E_NS1_11comp_targetILNS1_3genE10ELNS1_11target_archE1200ELNS1_3gpuE4ELNS1_3repE0EEENS1_30default_config_static_selectorELNS0_4arch9wavefront6targetE1EEEvS12_.private_seg_size, 0
	.set _ZN7rocprim17ROCPRIM_400000_NS6detail17trampoline_kernelINS0_13select_configILj256ELj13ELNS0_17block_load_methodE3ELS4_3ELS4_3ELNS0_20block_scan_algorithmE0ELj4294967295EEENS1_25partition_config_selectorILNS1_17partition_subalgoE4EjNS0_10empty_typeEbEEZZNS1_14partition_implILS8_4ELb0ES6_15HIP_vector_typeIjLj2EENS0_17counting_iteratorIjlEEPS9_SG_NS0_5tupleIJPjSI_NS0_16reverse_iteratorISI_EEEEENSH_IJSG_SG_SG_EEES9_SI_JZNS1_25segmented_radix_sort_implINS0_14default_configELb1EPKaPaPKlPlN2at6native12_GLOBAL__N_18offset_tEEE10hipError_tPvRmT1_PNSt15iterator_traitsIS12_E10value_typeET2_T3_PNS13_IS18_E10value_typeET4_jRbjT5_S1E_jjP12ihipStream_tbEUljE_ZNSN_ISO_Lb1ESQ_SR_ST_SU_SY_EESZ_S10_S11_S12_S16_S17_S18_S1B_S1C_jS1D_jS1E_S1E_jjS1G_bEUljE0_EEESZ_S10_S11_S18_S1C_S1E_T6_T7_T9_mT8_S1G_bDpT10_ENKUlT_T0_E_clISt17integral_constantIbLb0EES1U_EEDaS1P_S1Q_EUlS1P_E_NS1_11comp_targetILNS1_3genE10ELNS1_11target_archE1200ELNS1_3gpuE4ELNS1_3repE0EEENS1_30default_config_static_selectorELNS0_4arch9wavefront6targetE1EEEvS12_.uses_vcc, 0
	.set _ZN7rocprim17ROCPRIM_400000_NS6detail17trampoline_kernelINS0_13select_configILj256ELj13ELNS0_17block_load_methodE3ELS4_3ELS4_3ELNS0_20block_scan_algorithmE0ELj4294967295EEENS1_25partition_config_selectorILNS1_17partition_subalgoE4EjNS0_10empty_typeEbEEZZNS1_14partition_implILS8_4ELb0ES6_15HIP_vector_typeIjLj2EENS0_17counting_iteratorIjlEEPS9_SG_NS0_5tupleIJPjSI_NS0_16reverse_iteratorISI_EEEEENSH_IJSG_SG_SG_EEES9_SI_JZNS1_25segmented_radix_sort_implINS0_14default_configELb1EPKaPaPKlPlN2at6native12_GLOBAL__N_18offset_tEEE10hipError_tPvRmT1_PNSt15iterator_traitsIS12_E10value_typeET2_T3_PNS13_IS18_E10value_typeET4_jRbjT5_S1E_jjP12ihipStream_tbEUljE_ZNSN_ISO_Lb1ESQ_SR_ST_SU_SY_EESZ_S10_S11_S12_S16_S17_S18_S1B_S1C_jS1D_jS1E_S1E_jjS1G_bEUljE0_EEESZ_S10_S11_S18_S1C_S1E_T6_T7_T9_mT8_S1G_bDpT10_ENKUlT_T0_E_clISt17integral_constantIbLb0EES1U_EEDaS1P_S1Q_EUlS1P_E_NS1_11comp_targetILNS1_3genE10ELNS1_11target_archE1200ELNS1_3gpuE4ELNS1_3repE0EEENS1_30default_config_static_selectorELNS0_4arch9wavefront6targetE1EEEvS12_.uses_flat_scratch, 0
	.set _ZN7rocprim17ROCPRIM_400000_NS6detail17trampoline_kernelINS0_13select_configILj256ELj13ELNS0_17block_load_methodE3ELS4_3ELS4_3ELNS0_20block_scan_algorithmE0ELj4294967295EEENS1_25partition_config_selectorILNS1_17partition_subalgoE4EjNS0_10empty_typeEbEEZZNS1_14partition_implILS8_4ELb0ES6_15HIP_vector_typeIjLj2EENS0_17counting_iteratorIjlEEPS9_SG_NS0_5tupleIJPjSI_NS0_16reverse_iteratorISI_EEEEENSH_IJSG_SG_SG_EEES9_SI_JZNS1_25segmented_radix_sort_implINS0_14default_configELb1EPKaPaPKlPlN2at6native12_GLOBAL__N_18offset_tEEE10hipError_tPvRmT1_PNSt15iterator_traitsIS12_E10value_typeET2_T3_PNS13_IS18_E10value_typeET4_jRbjT5_S1E_jjP12ihipStream_tbEUljE_ZNSN_ISO_Lb1ESQ_SR_ST_SU_SY_EESZ_S10_S11_S12_S16_S17_S18_S1B_S1C_jS1D_jS1E_S1E_jjS1G_bEUljE0_EEESZ_S10_S11_S18_S1C_S1E_T6_T7_T9_mT8_S1G_bDpT10_ENKUlT_T0_E_clISt17integral_constantIbLb0EES1U_EEDaS1P_S1Q_EUlS1P_E_NS1_11comp_targetILNS1_3genE10ELNS1_11target_archE1200ELNS1_3gpuE4ELNS1_3repE0EEENS1_30default_config_static_selectorELNS0_4arch9wavefront6targetE1EEEvS12_.has_dyn_sized_stack, 0
	.set _ZN7rocprim17ROCPRIM_400000_NS6detail17trampoline_kernelINS0_13select_configILj256ELj13ELNS0_17block_load_methodE3ELS4_3ELS4_3ELNS0_20block_scan_algorithmE0ELj4294967295EEENS1_25partition_config_selectorILNS1_17partition_subalgoE4EjNS0_10empty_typeEbEEZZNS1_14partition_implILS8_4ELb0ES6_15HIP_vector_typeIjLj2EENS0_17counting_iteratorIjlEEPS9_SG_NS0_5tupleIJPjSI_NS0_16reverse_iteratorISI_EEEEENSH_IJSG_SG_SG_EEES9_SI_JZNS1_25segmented_radix_sort_implINS0_14default_configELb1EPKaPaPKlPlN2at6native12_GLOBAL__N_18offset_tEEE10hipError_tPvRmT1_PNSt15iterator_traitsIS12_E10value_typeET2_T3_PNS13_IS18_E10value_typeET4_jRbjT5_S1E_jjP12ihipStream_tbEUljE_ZNSN_ISO_Lb1ESQ_SR_ST_SU_SY_EESZ_S10_S11_S12_S16_S17_S18_S1B_S1C_jS1D_jS1E_S1E_jjS1G_bEUljE0_EEESZ_S10_S11_S18_S1C_S1E_T6_T7_T9_mT8_S1G_bDpT10_ENKUlT_T0_E_clISt17integral_constantIbLb0EES1U_EEDaS1P_S1Q_EUlS1P_E_NS1_11comp_targetILNS1_3genE10ELNS1_11target_archE1200ELNS1_3gpuE4ELNS1_3repE0EEENS1_30default_config_static_selectorELNS0_4arch9wavefront6targetE1EEEvS12_.has_recursion, 0
	.set _ZN7rocprim17ROCPRIM_400000_NS6detail17trampoline_kernelINS0_13select_configILj256ELj13ELNS0_17block_load_methodE3ELS4_3ELS4_3ELNS0_20block_scan_algorithmE0ELj4294967295EEENS1_25partition_config_selectorILNS1_17partition_subalgoE4EjNS0_10empty_typeEbEEZZNS1_14partition_implILS8_4ELb0ES6_15HIP_vector_typeIjLj2EENS0_17counting_iteratorIjlEEPS9_SG_NS0_5tupleIJPjSI_NS0_16reverse_iteratorISI_EEEEENSH_IJSG_SG_SG_EEES9_SI_JZNS1_25segmented_radix_sort_implINS0_14default_configELb1EPKaPaPKlPlN2at6native12_GLOBAL__N_18offset_tEEE10hipError_tPvRmT1_PNSt15iterator_traitsIS12_E10value_typeET2_T3_PNS13_IS18_E10value_typeET4_jRbjT5_S1E_jjP12ihipStream_tbEUljE_ZNSN_ISO_Lb1ESQ_SR_ST_SU_SY_EESZ_S10_S11_S12_S16_S17_S18_S1B_S1C_jS1D_jS1E_S1E_jjS1G_bEUljE0_EEESZ_S10_S11_S18_S1C_S1E_T6_T7_T9_mT8_S1G_bDpT10_ENKUlT_T0_E_clISt17integral_constantIbLb0EES1U_EEDaS1P_S1Q_EUlS1P_E_NS1_11comp_targetILNS1_3genE10ELNS1_11target_archE1200ELNS1_3gpuE4ELNS1_3repE0EEENS1_30default_config_static_selectorELNS0_4arch9wavefront6targetE1EEEvS12_.has_indirect_call, 0
	.section	.AMDGPU.csdata,"",@progbits
; Kernel info:
; codeLenInByte = 0
; TotalNumSgprs: 4
; NumVgprs: 0
; ScratchSize: 0
; MemoryBound: 0
; FloatMode: 240
; IeeeMode: 1
; LDSByteSize: 0 bytes/workgroup (compile time only)
; SGPRBlocks: 0
; VGPRBlocks: 0
; NumSGPRsForWavesPerEU: 4
; NumVGPRsForWavesPerEU: 1
; Occupancy: 10
; WaveLimiterHint : 0
; COMPUTE_PGM_RSRC2:SCRATCH_EN: 0
; COMPUTE_PGM_RSRC2:USER_SGPR: 6
; COMPUTE_PGM_RSRC2:TRAP_HANDLER: 0
; COMPUTE_PGM_RSRC2:TGID_X_EN: 1
; COMPUTE_PGM_RSRC2:TGID_Y_EN: 0
; COMPUTE_PGM_RSRC2:TGID_Z_EN: 0
; COMPUTE_PGM_RSRC2:TIDIG_COMP_CNT: 0
	.section	.text._ZN7rocprim17ROCPRIM_400000_NS6detail17trampoline_kernelINS0_13select_configILj256ELj13ELNS0_17block_load_methodE3ELS4_3ELS4_3ELNS0_20block_scan_algorithmE0ELj4294967295EEENS1_25partition_config_selectorILNS1_17partition_subalgoE4EjNS0_10empty_typeEbEEZZNS1_14partition_implILS8_4ELb0ES6_15HIP_vector_typeIjLj2EENS0_17counting_iteratorIjlEEPS9_SG_NS0_5tupleIJPjSI_NS0_16reverse_iteratorISI_EEEEENSH_IJSG_SG_SG_EEES9_SI_JZNS1_25segmented_radix_sort_implINS0_14default_configELb1EPKaPaPKlPlN2at6native12_GLOBAL__N_18offset_tEEE10hipError_tPvRmT1_PNSt15iterator_traitsIS12_E10value_typeET2_T3_PNS13_IS18_E10value_typeET4_jRbjT5_S1E_jjP12ihipStream_tbEUljE_ZNSN_ISO_Lb1ESQ_SR_ST_SU_SY_EESZ_S10_S11_S12_S16_S17_S18_S1B_S1C_jS1D_jS1E_S1E_jjS1G_bEUljE0_EEESZ_S10_S11_S18_S1C_S1E_T6_T7_T9_mT8_S1G_bDpT10_ENKUlT_T0_E_clISt17integral_constantIbLb0EES1U_EEDaS1P_S1Q_EUlS1P_E_NS1_11comp_targetILNS1_3genE9ELNS1_11target_archE1100ELNS1_3gpuE3ELNS1_3repE0EEENS1_30default_config_static_selectorELNS0_4arch9wavefront6targetE1EEEvS12_,"axG",@progbits,_ZN7rocprim17ROCPRIM_400000_NS6detail17trampoline_kernelINS0_13select_configILj256ELj13ELNS0_17block_load_methodE3ELS4_3ELS4_3ELNS0_20block_scan_algorithmE0ELj4294967295EEENS1_25partition_config_selectorILNS1_17partition_subalgoE4EjNS0_10empty_typeEbEEZZNS1_14partition_implILS8_4ELb0ES6_15HIP_vector_typeIjLj2EENS0_17counting_iteratorIjlEEPS9_SG_NS0_5tupleIJPjSI_NS0_16reverse_iteratorISI_EEEEENSH_IJSG_SG_SG_EEES9_SI_JZNS1_25segmented_radix_sort_implINS0_14default_configELb1EPKaPaPKlPlN2at6native12_GLOBAL__N_18offset_tEEE10hipError_tPvRmT1_PNSt15iterator_traitsIS12_E10value_typeET2_T3_PNS13_IS18_E10value_typeET4_jRbjT5_S1E_jjP12ihipStream_tbEUljE_ZNSN_ISO_Lb1ESQ_SR_ST_SU_SY_EESZ_S10_S11_S12_S16_S17_S18_S1B_S1C_jS1D_jS1E_S1E_jjS1G_bEUljE0_EEESZ_S10_S11_S18_S1C_S1E_T6_T7_T9_mT8_S1G_bDpT10_ENKUlT_T0_E_clISt17integral_constantIbLb0EES1U_EEDaS1P_S1Q_EUlS1P_E_NS1_11comp_targetILNS1_3genE9ELNS1_11target_archE1100ELNS1_3gpuE3ELNS1_3repE0EEENS1_30default_config_static_selectorELNS0_4arch9wavefront6targetE1EEEvS12_,comdat
	.globl	_ZN7rocprim17ROCPRIM_400000_NS6detail17trampoline_kernelINS0_13select_configILj256ELj13ELNS0_17block_load_methodE3ELS4_3ELS4_3ELNS0_20block_scan_algorithmE0ELj4294967295EEENS1_25partition_config_selectorILNS1_17partition_subalgoE4EjNS0_10empty_typeEbEEZZNS1_14partition_implILS8_4ELb0ES6_15HIP_vector_typeIjLj2EENS0_17counting_iteratorIjlEEPS9_SG_NS0_5tupleIJPjSI_NS0_16reverse_iteratorISI_EEEEENSH_IJSG_SG_SG_EEES9_SI_JZNS1_25segmented_radix_sort_implINS0_14default_configELb1EPKaPaPKlPlN2at6native12_GLOBAL__N_18offset_tEEE10hipError_tPvRmT1_PNSt15iterator_traitsIS12_E10value_typeET2_T3_PNS13_IS18_E10value_typeET4_jRbjT5_S1E_jjP12ihipStream_tbEUljE_ZNSN_ISO_Lb1ESQ_SR_ST_SU_SY_EESZ_S10_S11_S12_S16_S17_S18_S1B_S1C_jS1D_jS1E_S1E_jjS1G_bEUljE0_EEESZ_S10_S11_S18_S1C_S1E_T6_T7_T9_mT8_S1G_bDpT10_ENKUlT_T0_E_clISt17integral_constantIbLb0EES1U_EEDaS1P_S1Q_EUlS1P_E_NS1_11comp_targetILNS1_3genE9ELNS1_11target_archE1100ELNS1_3gpuE3ELNS1_3repE0EEENS1_30default_config_static_selectorELNS0_4arch9wavefront6targetE1EEEvS12_ ; -- Begin function _ZN7rocprim17ROCPRIM_400000_NS6detail17trampoline_kernelINS0_13select_configILj256ELj13ELNS0_17block_load_methodE3ELS4_3ELS4_3ELNS0_20block_scan_algorithmE0ELj4294967295EEENS1_25partition_config_selectorILNS1_17partition_subalgoE4EjNS0_10empty_typeEbEEZZNS1_14partition_implILS8_4ELb0ES6_15HIP_vector_typeIjLj2EENS0_17counting_iteratorIjlEEPS9_SG_NS0_5tupleIJPjSI_NS0_16reverse_iteratorISI_EEEEENSH_IJSG_SG_SG_EEES9_SI_JZNS1_25segmented_radix_sort_implINS0_14default_configELb1EPKaPaPKlPlN2at6native12_GLOBAL__N_18offset_tEEE10hipError_tPvRmT1_PNSt15iterator_traitsIS12_E10value_typeET2_T3_PNS13_IS18_E10value_typeET4_jRbjT5_S1E_jjP12ihipStream_tbEUljE_ZNSN_ISO_Lb1ESQ_SR_ST_SU_SY_EESZ_S10_S11_S12_S16_S17_S18_S1B_S1C_jS1D_jS1E_S1E_jjS1G_bEUljE0_EEESZ_S10_S11_S18_S1C_S1E_T6_T7_T9_mT8_S1G_bDpT10_ENKUlT_T0_E_clISt17integral_constantIbLb0EES1U_EEDaS1P_S1Q_EUlS1P_E_NS1_11comp_targetILNS1_3genE9ELNS1_11target_archE1100ELNS1_3gpuE3ELNS1_3repE0EEENS1_30default_config_static_selectorELNS0_4arch9wavefront6targetE1EEEvS12_
	.p2align	8
	.type	_ZN7rocprim17ROCPRIM_400000_NS6detail17trampoline_kernelINS0_13select_configILj256ELj13ELNS0_17block_load_methodE3ELS4_3ELS4_3ELNS0_20block_scan_algorithmE0ELj4294967295EEENS1_25partition_config_selectorILNS1_17partition_subalgoE4EjNS0_10empty_typeEbEEZZNS1_14partition_implILS8_4ELb0ES6_15HIP_vector_typeIjLj2EENS0_17counting_iteratorIjlEEPS9_SG_NS0_5tupleIJPjSI_NS0_16reverse_iteratorISI_EEEEENSH_IJSG_SG_SG_EEES9_SI_JZNS1_25segmented_radix_sort_implINS0_14default_configELb1EPKaPaPKlPlN2at6native12_GLOBAL__N_18offset_tEEE10hipError_tPvRmT1_PNSt15iterator_traitsIS12_E10value_typeET2_T3_PNS13_IS18_E10value_typeET4_jRbjT5_S1E_jjP12ihipStream_tbEUljE_ZNSN_ISO_Lb1ESQ_SR_ST_SU_SY_EESZ_S10_S11_S12_S16_S17_S18_S1B_S1C_jS1D_jS1E_S1E_jjS1G_bEUljE0_EEESZ_S10_S11_S18_S1C_S1E_T6_T7_T9_mT8_S1G_bDpT10_ENKUlT_T0_E_clISt17integral_constantIbLb0EES1U_EEDaS1P_S1Q_EUlS1P_E_NS1_11comp_targetILNS1_3genE9ELNS1_11target_archE1100ELNS1_3gpuE3ELNS1_3repE0EEENS1_30default_config_static_selectorELNS0_4arch9wavefront6targetE1EEEvS12_,@function
_ZN7rocprim17ROCPRIM_400000_NS6detail17trampoline_kernelINS0_13select_configILj256ELj13ELNS0_17block_load_methodE3ELS4_3ELS4_3ELNS0_20block_scan_algorithmE0ELj4294967295EEENS1_25partition_config_selectorILNS1_17partition_subalgoE4EjNS0_10empty_typeEbEEZZNS1_14partition_implILS8_4ELb0ES6_15HIP_vector_typeIjLj2EENS0_17counting_iteratorIjlEEPS9_SG_NS0_5tupleIJPjSI_NS0_16reverse_iteratorISI_EEEEENSH_IJSG_SG_SG_EEES9_SI_JZNS1_25segmented_radix_sort_implINS0_14default_configELb1EPKaPaPKlPlN2at6native12_GLOBAL__N_18offset_tEEE10hipError_tPvRmT1_PNSt15iterator_traitsIS12_E10value_typeET2_T3_PNS13_IS18_E10value_typeET4_jRbjT5_S1E_jjP12ihipStream_tbEUljE_ZNSN_ISO_Lb1ESQ_SR_ST_SU_SY_EESZ_S10_S11_S12_S16_S17_S18_S1B_S1C_jS1D_jS1E_S1E_jjS1G_bEUljE0_EEESZ_S10_S11_S18_S1C_S1E_T6_T7_T9_mT8_S1G_bDpT10_ENKUlT_T0_E_clISt17integral_constantIbLb0EES1U_EEDaS1P_S1Q_EUlS1P_E_NS1_11comp_targetILNS1_3genE9ELNS1_11target_archE1100ELNS1_3gpuE3ELNS1_3repE0EEENS1_30default_config_static_selectorELNS0_4arch9wavefront6targetE1EEEvS12_: ; @_ZN7rocprim17ROCPRIM_400000_NS6detail17trampoline_kernelINS0_13select_configILj256ELj13ELNS0_17block_load_methodE3ELS4_3ELS4_3ELNS0_20block_scan_algorithmE0ELj4294967295EEENS1_25partition_config_selectorILNS1_17partition_subalgoE4EjNS0_10empty_typeEbEEZZNS1_14partition_implILS8_4ELb0ES6_15HIP_vector_typeIjLj2EENS0_17counting_iteratorIjlEEPS9_SG_NS0_5tupleIJPjSI_NS0_16reverse_iteratorISI_EEEEENSH_IJSG_SG_SG_EEES9_SI_JZNS1_25segmented_radix_sort_implINS0_14default_configELb1EPKaPaPKlPlN2at6native12_GLOBAL__N_18offset_tEEE10hipError_tPvRmT1_PNSt15iterator_traitsIS12_E10value_typeET2_T3_PNS13_IS18_E10value_typeET4_jRbjT5_S1E_jjP12ihipStream_tbEUljE_ZNSN_ISO_Lb1ESQ_SR_ST_SU_SY_EESZ_S10_S11_S12_S16_S17_S18_S1B_S1C_jS1D_jS1E_S1E_jjS1G_bEUljE0_EEESZ_S10_S11_S18_S1C_S1E_T6_T7_T9_mT8_S1G_bDpT10_ENKUlT_T0_E_clISt17integral_constantIbLb0EES1U_EEDaS1P_S1Q_EUlS1P_E_NS1_11comp_targetILNS1_3genE9ELNS1_11target_archE1100ELNS1_3gpuE3ELNS1_3repE0EEENS1_30default_config_static_selectorELNS0_4arch9wavefront6targetE1EEEvS12_
; %bb.0:
	.section	.rodata,"a",@progbits
	.p2align	6, 0x0
	.amdhsa_kernel _ZN7rocprim17ROCPRIM_400000_NS6detail17trampoline_kernelINS0_13select_configILj256ELj13ELNS0_17block_load_methodE3ELS4_3ELS4_3ELNS0_20block_scan_algorithmE0ELj4294967295EEENS1_25partition_config_selectorILNS1_17partition_subalgoE4EjNS0_10empty_typeEbEEZZNS1_14partition_implILS8_4ELb0ES6_15HIP_vector_typeIjLj2EENS0_17counting_iteratorIjlEEPS9_SG_NS0_5tupleIJPjSI_NS0_16reverse_iteratorISI_EEEEENSH_IJSG_SG_SG_EEES9_SI_JZNS1_25segmented_radix_sort_implINS0_14default_configELb1EPKaPaPKlPlN2at6native12_GLOBAL__N_18offset_tEEE10hipError_tPvRmT1_PNSt15iterator_traitsIS12_E10value_typeET2_T3_PNS13_IS18_E10value_typeET4_jRbjT5_S1E_jjP12ihipStream_tbEUljE_ZNSN_ISO_Lb1ESQ_SR_ST_SU_SY_EESZ_S10_S11_S12_S16_S17_S18_S1B_S1C_jS1D_jS1E_S1E_jjS1G_bEUljE0_EEESZ_S10_S11_S18_S1C_S1E_T6_T7_T9_mT8_S1G_bDpT10_ENKUlT_T0_E_clISt17integral_constantIbLb0EES1U_EEDaS1P_S1Q_EUlS1P_E_NS1_11comp_targetILNS1_3genE9ELNS1_11target_archE1100ELNS1_3gpuE3ELNS1_3repE0EEENS1_30default_config_static_selectorELNS0_4arch9wavefront6targetE1EEEvS12_
		.amdhsa_group_segment_fixed_size 0
		.amdhsa_private_segment_fixed_size 0
		.amdhsa_kernarg_size 176
		.amdhsa_user_sgpr_count 6
		.amdhsa_user_sgpr_private_segment_buffer 1
		.amdhsa_user_sgpr_dispatch_ptr 0
		.amdhsa_user_sgpr_queue_ptr 0
		.amdhsa_user_sgpr_kernarg_segment_ptr 1
		.amdhsa_user_sgpr_dispatch_id 0
		.amdhsa_user_sgpr_flat_scratch_init 0
		.amdhsa_user_sgpr_private_segment_size 0
		.amdhsa_uses_dynamic_stack 0
		.amdhsa_system_sgpr_private_segment_wavefront_offset 0
		.amdhsa_system_sgpr_workgroup_id_x 1
		.amdhsa_system_sgpr_workgroup_id_y 0
		.amdhsa_system_sgpr_workgroup_id_z 0
		.amdhsa_system_sgpr_workgroup_info 0
		.amdhsa_system_vgpr_workitem_id 0
		.amdhsa_next_free_vgpr 1
		.amdhsa_next_free_sgpr 0
		.amdhsa_reserve_vcc 0
		.amdhsa_reserve_flat_scratch 0
		.amdhsa_float_round_mode_32 0
		.amdhsa_float_round_mode_16_64 0
		.amdhsa_float_denorm_mode_32 3
		.amdhsa_float_denorm_mode_16_64 3
		.amdhsa_dx10_clamp 1
		.amdhsa_ieee_mode 1
		.amdhsa_fp16_overflow 0
		.amdhsa_exception_fp_ieee_invalid_op 0
		.amdhsa_exception_fp_denorm_src 0
		.amdhsa_exception_fp_ieee_div_zero 0
		.amdhsa_exception_fp_ieee_overflow 0
		.amdhsa_exception_fp_ieee_underflow 0
		.amdhsa_exception_fp_ieee_inexact 0
		.amdhsa_exception_int_div_zero 0
	.end_amdhsa_kernel
	.section	.text._ZN7rocprim17ROCPRIM_400000_NS6detail17trampoline_kernelINS0_13select_configILj256ELj13ELNS0_17block_load_methodE3ELS4_3ELS4_3ELNS0_20block_scan_algorithmE0ELj4294967295EEENS1_25partition_config_selectorILNS1_17partition_subalgoE4EjNS0_10empty_typeEbEEZZNS1_14partition_implILS8_4ELb0ES6_15HIP_vector_typeIjLj2EENS0_17counting_iteratorIjlEEPS9_SG_NS0_5tupleIJPjSI_NS0_16reverse_iteratorISI_EEEEENSH_IJSG_SG_SG_EEES9_SI_JZNS1_25segmented_radix_sort_implINS0_14default_configELb1EPKaPaPKlPlN2at6native12_GLOBAL__N_18offset_tEEE10hipError_tPvRmT1_PNSt15iterator_traitsIS12_E10value_typeET2_T3_PNS13_IS18_E10value_typeET4_jRbjT5_S1E_jjP12ihipStream_tbEUljE_ZNSN_ISO_Lb1ESQ_SR_ST_SU_SY_EESZ_S10_S11_S12_S16_S17_S18_S1B_S1C_jS1D_jS1E_S1E_jjS1G_bEUljE0_EEESZ_S10_S11_S18_S1C_S1E_T6_T7_T9_mT8_S1G_bDpT10_ENKUlT_T0_E_clISt17integral_constantIbLb0EES1U_EEDaS1P_S1Q_EUlS1P_E_NS1_11comp_targetILNS1_3genE9ELNS1_11target_archE1100ELNS1_3gpuE3ELNS1_3repE0EEENS1_30default_config_static_selectorELNS0_4arch9wavefront6targetE1EEEvS12_,"axG",@progbits,_ZN7rocprim17ROCPRIM_400000_NS6detail17trampoline_kernelINS0_13select_configILj256ELj13ELNS0_17block_load_methodE3ELS4_3ELS4_3ELNS0_20block_scan_algorithmE0ELj4294967295EEENS1_25partition_config_selectorILNS1_17partition_subalgoE4EjNS0_10empty_typeEbEEZZNS1_14partition_implILS8_4ELb0ES6_15HIP_vector_typeIjLj2EENS0_17counting_iteratorIjlEEPS9_SG_NS0_5tupleIJPjSI_NS0_16reverse_iteratorISI_EEEEENSH_IJSG_SG_SG_EEES9_SI_JZNS1_25segmented_radix_sort_implINS0_14default_configELb1EPKaPaPKlPlN2at6native12_GLOBAL__N_18offset_tEEE10hipError_tPvRmT1_PNSt15iterator_traitsIS12_E10value_typeET2_T3_PNS13_IS18_E10value_typeET4_jRbjT5_S1E_jjP12ihipStream_tbEUljE_ZNSN_ISO_Lb1ESQ_SR_ST_SU_SY_EESZ_S10_S11_S12_S16_S17_S18_S1B_S1C_jS1D_jS1E_S1E_jjS1G_bEUljE0_EEESZ_S10_S11_S18_S1C_S1E_T6_T7_T9_mT8_S1G_bDpT10_ENKUlT_T0_E_clISt17integral_constantIbLb0EES1U_EEDaS1P_S1Q_EUlS1P_E_NS1_11comp_targetILNS1_3genE9ELNS1_11target_archE1100ELNS1_3gpuE3ELNS1_3repE0EEENS1_30default_config_static_selectorELNS0_4arch9wavefront6targetE1EEEvS12_,comdat
.Lfunc_end232:
	.size	_ZN7rocprim17ROCPRIM_400000_NS6detail17trampoline_kernelINS0_13select_configILj256ELj13ELNS0_17block_load_methodE3ELS4_3ELS4_3ELNS0_20block_scan_algorithmE0ELj4294967295EEENS1_25partition_config_selectorILNS1_17partition_subalgoE4EjNS0_10empty_typeEbEEZZNS1_14partition_implILS8_4ELb0ES6_15HIP_vector_typeIjLj2EENS0_17counting_iteratorIjlEEPS9_SG_NS0_5tupleIJPjSI_NS0_16reverse_iteratorISI_EEEEENSH_IJSG_SG_SG_EEES9_SI_JZNS1_25segmented_radix_sort_implINS0_14default_configELb1EPKaPaPKlPlN2at6native12_GLOBAL__N_18offset_tEEE10hipError_tPvRmT1_PNSt15iterator_traitsIS12_E10value_typeET2_T3_PNS13_IS18_E10value_typeET4_jRbjT5_S1E_jjP12ihipStream_tbEUljE_ZNSN_ISO_Lb1ESQ_SR_ST_SU_SY_EESZ_S10_S11_S12_S16_S17_S18_S1B_S1C_jS1D_jS1E_S1E_jjS1G_bEUljE0_EEESZ_S10_S11_S18_S1C_S1E_T6_T7_T9_mT8_S1G_bDpT10_ENKUlT_T0_E_clISt17integral_constantIbLb0EES1U_EEDaS1P_S1Q_EUlS1P_E_NS1_11comp_targetILNS1_3genE9ELNS1_11target_archE1100ELNS1_3gpuE3ELNS1_3repE0EEENS1_30default_config_static_selectorELNS0_4arch9wavefront6targetE1EEEvS12_, .Lfunc_end232-_ZN7rocprim17ROCPRIM_400000_NS6detail17trampoline_kernelINS0_13select_configILj256ELj13ELNS0_17block_load_methodE3ELS4_3ELS4_3ELNS0_20block_scan_algorithmE0ELj4294967295EEENS1_25partition_config_selectorILNS1_17partition_subalgoE4EjNS0_10empty_typeEbEEZZNS1_14partition_implILS8_4ELb0ES6_15HIP_vector_typeIjLj2EENS0_17counting_iteratorIjlEEPS9_SG_NS0_5tupleIJPjSI_NS0_16reverse_iteratorISI_EEEEENSH_IJSG_SG_SG_EEES9_SI_JZNS1_25segmented_radix_sort_implINS0_14default_configELb1EPKaPaPKlPlN2at6native12_GLOBAL__N_18offset_tEEE10hipError_tPvRmT1_PNSt15iterator_traitsIS12_E10value_typeET2_T3_PNS13_IS18_E10value_typeET4_jRbjT5_S1E_jjP12ihipStream_tbEUljE_ZNSN_ISO_Lb1ESQ_SR_ST_SU_SY_EESZ_S10_S11_S12_S16_S17_S18_S1B_S1C_jS1D_jS1E_S1E_jjS1G_bEUljE0_EEESZ_S10_S11_S18_S1C_S1E_T6_T7_T9_mT8_S1G_bDpT10_ENKUlT_T0_E_clISt17integral_constantIbLb0EES1U_EEDaS1P_S1Q_EUlS1P_E_NS1_11comp_targetILNS1_3genE9ELNS1_11target_archE1100ELNS1_3gpuE3ELNS1_3repE0EEENS1_30default_config_static_selectorELNS0_4arch9wavefront6targetE1EEEvS12_
                                        ; -- End function
	.set _ZN7rocprim17ROCPRIM_400000_NS6detail17trampoline_kernelINS0_13select_configILj256ELj13ELNS0_17block_load_methodE3ELS4_3ELS4_3ELNS0_20block_scan_algorithmE0ELj4294967295EEENS1_25partition_config_selectorILNS1_17partition_subalgoE4EjNS0_10empty_typeEbEEZZNS1_14partition_implILS8_4ELb0ES6_15HIP_vector_typeIjLj2EENS0_17counting_iteratorIjlEEPS9_SG_NS0_5tupleIJPjSI_NS0_16reverse_iteratorISI_EEEEENSH_IJSG_SG_SG_EEES9_SI_JZNS1_25segmented_radix_sort_implINS0_14default_configELb1EPKaPaPKlPlN2at6native12_GLOBAL__N_18offset_tEEE10hipError_tPvRmT1_PNSt15iterator_traitsIS12_E10value_typeET2_T3_PNS13_IS18_E10value_typeET4_jRbjT5_S1E_jjP12ihipStream_tbEUljE_ZNSN_ISO_Lb1ESQ_SR_ST_SU_SY_EESZ_S10_S11_S12_S16_S17_S18_S1B_S1C_jS1D_jS1E_S1E_jjS1G_bEUljE0_EEESZ_S10_S11_S18_S1C_S1E_T6_T7_T9_mT8_S1G_bDpT10_ENKUlT_T0_E_clISt17integral_constantIbLb0EES1U_EEDaS1P_S1Q_EUlS1P_E_NS1_11comp_targetILNS1_3genE9ELNS1_11target_archE1100ELNS1_3gpuE3ELNS1_3repE0EEENS1_30default_config_static_selectorELNS0_4arch9wavefront6targetE1EEEvS12_.num_vgpr, 0
	.set _ZN7rocprim17ROCPRIM_400000_NS6detail17trampoline_kernelINS0_13select_configILj256ELj13ELNS0_17block_load_methodE3ELS4_3ELS4_3ELNS0_20block_scan_algorithmE0ELj4294967295EEENS1_25partition_config_selectorILNS1_17partition_subalgoE4EjNS0_10empty_typeEbEEZZNS1_14partition_implILS8_4ELb0ES6_15HIP_vector_typeIjLj2EENS0_17counting_iteratorIjlEEPS9_SG_NS0_5tupleIJPjSI_NS0_16reverse_iteratorISI_EEEEENSH_IJSG_SG_SG_EEES9_SI_JZNS1_25segmented_radix_sort_implINS0_14default_configELb1EPKaPaPKlPlN2at6native12_GLOBAL__N_18offset_tEEE10hipError_tPvRmT1_PNSt15iterator_traitsIS12_E10value_typeET2_T3_PNS13_IS18_E10value_typeET4_jRbjT5_S1E_jjP12ihipStream_tbEUljE_ZNSN_ISO_Lb1ESQ_SR_ST_SU_SY_EESZ_S10_S11_S12_S16_S17_S18_S1B_S1C_jS1D_jS1E_S1E_jjS1G_bEUljE0_EEESZ_S10_S11_S18_S1C_S1E_T6_T7_T9_mT8_S1G_bDpT10_ENKUlT_T0_E_clISt17integral_constantIbLb0EES1U_EEDaS1P_S1Q_EUlS1P_E_NS1_11comp_targetILNS1_3genE9ELNS1_11target_archE1100ELNS1_3gpuE3ELNS1_3repE0EEENS1_30default_config_static_selectorELNS0_4arch9wavefront6targetE1EEEvS12_.num_agpr, 0
	.set _ZN7rocprim17ROCPRIM_400000_NS6detail17trampoline_kernelINS0_13select_configILj256ELj13ELNS0_17block_load_methodE3ELS4_3ELS4_3ELNS0_20block_scan_algorithmE0ELj4294967295EEENS1_25partition_config_selectorILNS1_17partition_subalgoE4EjNS0_10empty_typeEbEEZZNS1_14partition_implILS8_4ELb0ES6_15HIP_vector_typeIjLj2EENS0_17counting_iteratorIjlEEPS9_SG_NS0_5tupleIJPjSI_NS0_16reverse_iteratorISI_EEEEENSH_IJSG_SG_SG_EEES9_SI_JZNS1_25segmented_radix_sort_implINS0_14default_configELb1EPKaPaPKlPlN2at6native12_GLOBAL__N_18offset_tEEE10hipError_tPvRmT1_PNSt15iterator_traitsIS12_E10value_typeET2_T3_PNS13_IS18_E10value_typeET4_jRbjT5_S1E_jjP12ihipStream_tbEUljE_ZNSN_ISO_Lb1ESQ_SR_ST_SU_SY_EESZ_S10_S11_S12_S16_S17_S18_S1B_S1C_jS1D_jS1E_S1E_jjS1G_bEUljE0_EEESZ_S10_S11_S18_S1C_S1E_T6_T7_T9_mT8_S1G_bDpT10_ENKUlT_T0_E_clISt17integral_constantIbLb0EES1U_EEDaS1P_S1Q_EUlS1P_E_NS1_11comp_targetILNS1_3genE9ELNS1_11target_archE1100ELNS1_3gpuE3ELNS1_3repE0EEENS1_30default_config_static_selectorELNS0_4arch9wavefront6targetE1EEEvS12_.numbered_sgpr, 0
	.set _ZN7rocprim17ROCPRIM_400000_NS6detail17trampoline_kernelINS0_13select_configILj256ELj13ELNS0_17block_load_methodE3ELS4_3ELS4_3ELNS0_20block_scan_algorithmE0ELj4294967295EEENS1_25partition_config_selectorILNS1_17partition_subalgoE4EjNS0_10empty_typeEbEEZZNS1_14partition_implILS8_4ELb0ES6_15HIP_vector_typeIjLj2EENS0_17counting_iteratorIjlEEPS9_SG_NS0_5tupleIJPjSI_NS0_16reverse_iteratorISI_EEEEENSH_IJSG_SG_SG_EEES9_SI_JZNS1_25segmented_radix_sort_implINS0_14default_configELb1EPKaPaPKlPlN2at6native12_GLOBAL__N_18offset_tEEE10hipError_tPvRmT1_PNSt15iterator_traitsIS12_E10value_typeET2_T3_PNS13_IS18_E10value_typeET4_jRbjT5_S1E_jjP12ihipStream_tbEUljE_ZNSN_ISO_Lb1ESQ_SR_ST_SU_SY_EESZ_S10_S11_S12_S16_S17_S18_S1B_S1C_jS1D_jS1E_S1E_jjS1G_bEUljE0_EEESZ_S10_S11_S18_S1C_S1E_T6_T7_T9_mT8_S1G_bDpT10_ENKUlT_T0_E_clISt17integral_constantIbLb0EES1U_EEDaS1P_S1Q_EUlS1P_E_NS1_11comp_targetILNS1_3genE9ELNS1_11target_archE1100ELNS1_3gpuE3ELNS1_3repE0EEENS1_30default_config_static_selectorELNS0_4arch9wavefront6targetE1EEEvS12_.num_named_barrier, 0
	.set _ZN7rocprim17ROCPRIM_400000_NS6detail17trampoline_kernelINS0_13select_configILj256ELj13ELNS0_17block_load_methodE3ELS4_3ELS4_3ELNS0_20block_scan_algorithmE0ELj4294967295EEENS1_25partition_config_selectorILNS1_17partition_subalgoE4EjNS0_10empty_typeEbEEZZNS1_14partition_implILS8_4ELb0ES6_15HIP_vector_typeIjLj2EENS0_17counting_iteratorIjlEEPS9_SG_NS0_5tupleIJPjSI_NS0_16reverse_iteratorISI_EEEEENSH_IJSG_SG_SG_EEES9_SI_JZNS1_25segmented_radix_sort_implINS0_14default_configELb1EPKaPaPKlPlN2at6native12_GLOBAL__N_18offset_tEEE10hipError_tPvRmT1_PNSt15iterator_traitsIS12_E10value_typeET2_T3_PNS13_IS18_E10value_typeET4_jRbjT5_S1E_jjP12ihipStream_tbEUljE_ZNSN_ISO_Lb1ESQ_SR_ST_SU_SY_EESZ_S10_S11_S12_S16_S17_S18_S1B_S1C_jS1D_jS1E_S1E_jjS1G_bEUljE0_EEESZ_S10_S11_S18_S1C_S1E_T6_T7_T9_mT8_S1G_bDpT10_ENKUlT_T0_E_clISt17integral_constantIbLb0EES1U_EEDaS1P_S1Q_EUlS1P_E_NS1_11comp_targetILNS1_3genE9ELNS1_11target_archE1100ELNS1_3gpuE3ELNS1_3repE0EEENS1_30default_config_static_selectorELNS0_4arch9wavefront6targetE1EEEvS12_.private_seg_size, 0
	.set _ZN7rocprim17ROCPRIM_400000_NS6detail17trampoline_kernelINS0_13select_configILj256ELj13ELNS0_17block_load_methodE3ELS4_3ELS4_3ELNS0_20block_scan_algorithmE0ELj4294967295EEENS1_25partition_config_selectorILNS1_17partition_subalgoE4EjNS0_10empty_typeEbEEZZNS1_14partition_implILS8_4ELb0ES6_15HIP_vector_typeIjLj2EENS0_17counting_iteratorIjlEEPS9_SG_NS0_5tupleIJPjSI_NS0_16reverse_iteratorISI_EEEEENSH_IJSG_SG_SG_EEES9_SI_JZNS1_25segmented_radix_sort_implINS0_14default_configELb1EPKaPaPKlPlN2at6native12_GLOBAL__N_18offset_tEEE10hipError_tPvRmT1_PNSt15iterator_traitsIS12_E10value_typeET2_T3_PNS13_IS18_E10value_typeET4_jRbjT5_S1E_jjP12ihipStream_tbEUljE_ZNSN_ISO_Lb1ESQ_SR_ST_SU_SY_EESZ_S10_S11_S12_S16_S17_S18_S1B_S1C_jS1D_jS1E_S1E_jjS1G_bEUljE0_EEESZ_S10_S11_S18_S1C_S1E_T6_T7_T9_mT8_S1G_bDpT10_ENKUlT_T0_E_clISt17integral_constantIbLb0EES1U_EEDaS1P_S1Q_EUlS1P_E_NS1_11comp_targetILNS1_3genE9ELNS1_11target_archE1100ELNS1_3gpuE3ELNS1_3repE0EEENS1_30default_config_static_selectorELNS0_4arch9wavefront6targetE1EEEvS12_.uses_vcc, 0
	.set _ZN7rocprim17ROCPRIM_400000_NS6detail17trampoline_kernelINS0_13select_configILj256ELj13ELNS0_17block_load_methodE3ELS4_3ELS4_3ELNS0_20block_scan_algorithmE0ELj4294967295EEENS1_25partition_config_selectorILNS1_17partition_subalgoE4EjNS0_10empty_typeEbEEZZNS1_14partition_implILS8_4ELb0ES6_15HIP_vector_typeIjLj2EENS0_17counting_iteratorIjlEEPS9_SG_NS0_5tupleIJPjSI_NS0_16reverse_iteratorISI_EEEEENSH_IJSG_SG_SG_EEES9_SI_JZNS1_25segmented_radix_sort_implINS0_14default_configELb1EPKaPaPKlPlN2at6native12_GLOBAL__N_18offset_tEEE10hipError_tPvRmT1_PNSt15iterator_traitsIS12_E10value_typeET2_T3_PNS13_IS18_E10value_typeET4_jRbjT5_S1E_jjP12ihipStream_tbEUljE_ZNSN_ISO_Lb1ESQ_SR_ST_SU_SY_EESZ_S10_S11_S12_S16_S17_S18_S1B_S1C_jS1D_jS1E_S1E_jjS1G_bEUljE0_EEESZ_S10_S11_S18_S1C_S1E_T6_T7_T9_mT8_S1G_bDpT10_ENKUlT_T0_E_clISt17integral_constantIbLb0EES1U_EEDaS1P_S1Q_EUlS1P_E_NS1_11comp_targetILNS1_3genE9ELNS1_11target_archE1100ELNS1_3gpuE3ELNS1_3repE0EEENS1_30default_config_static_selectorELNS0_4arch9wavefront6targetE1EEEvS12_.uses_flat_scratch, 0
	.set _ZN7rocprim17ROCPRIM_400000_NS6detail17trampoline_kernelINS0_13select_configILj256ELj13ELNS0_17block_load_methodE3ELS4_3ELS4_3ELNS0_20block_scan_algorithmE0ELj4294967295EEENS1_25partition_config_selectorILNS1_17partition_subalgoE4EjNS0_10empty_typeEbEEZZNS1_14partition_implILS8_4ELb0ES6_15HIP_vector_typeIjLj2EENS0_17counting_iteratorIjlEEPS9_SG_NS0_5tupleIJPjSI_NS0_16reverse_iteratorISI_EEEEENSH_IJSG_SG_SG_EEES9_SI_JZNS1_25segmented_radix_sort_implINS0_14default_configELb1EPKaPaPKlPlN2at6native12_GLOBAL__N_18offset_tEEE10hipError_tPvRmT1_PNSt15iterator_traitsIS12_E10value_typeET2_T3_PNS13_IS18_E10value_typeET4_jRbjT5_S1E_jjP12ihipStream_tbEUljE_ZNSN_ISO_Lb1ESQ_SR_ST_SU_SY_EESZ_S10_S11_S12_S16_S17_S18_S1B_S1C_jS1D_jS1E_S1E_jjS1G_bEUljE0_EEESZ_S10_S11_S18_S1C_S1E_T6_T7_T9_mT8_S1G_bDpT10_ENKUlT_T0_E_clISt17integral_constantIbLb0EES1U_EEDaS1P_S1Q_EUlS1P_E_NS1_11comp_targetILNS1_3genE9ELNS1_11target_archE1100ELNS1_3gpuE3ELNS1_3repE0EEENS1_30default_config_static_selectorELNS0_4arch9wavefront6targetE1EEEvS12_.has_dyn_sized_stack, 0
	.set _ZN7rocprim17ROCPRIM_400000_NS6detail17trampoline_kernelINS0_13select_configILj256ELj13ELNS0_17block_load_methodE3ELS4_3ELS4_3ELNS0_20block_scan_algorithmE0ELj4294967295EEENS1_25partition_config_selectorILNS1_17partition_subalgoE4EjNS0_10empty_typeEbEEZZNS1_14partition_implILS8_4ELb0ES6_15HIP_vector_typeIjLj2EENS0_17counting_iteratorIjlEEPS9_SG_NS0_5tupleIJPjSI_NS0_16reverse_iteratorISI_EEEEENSH_IJSG_SG_SG_EEES9_SI_JZNS1_25segmented_radix_sort_implINS0_14default_configELb1EPKaPaPKlPlN2at6native12_GLOBAL__N_18offset_tEEE10hipError_tPvRmT1_PNSt15iterator_traitsIS12_E10value_typeET2_T3_PNS13_IS18_E10value_typeET4_jRbjT5_S1E_jjP12ihipStream_tbEUljE_ZNSN_ISO_Lb1ESQ_SR_ST_SU_SY_EESZ_S10_S11_S12_S16_S17_S18_S1B_S1C_jS1D_jS1E_S1E_jjS1G_bEUljE0_EEESZ_S10_S11_S18_S1C_S1E_T6_T7_T9_mT8_S1G_bDpT10_ENKUlT_T0_E_clISt17integral_constantIbLb0EES1U_EEDaS1P_S1Q_EUlS1P_E_NS1_11comp_targetILNS1_3genE9ELNS1_11target_archE1100ELNS1_3gpuE3ELNS1_3repE0EEENS1_30default_config_static_selectorELNS0_4arch9wavefront6targetE1EEEvS12_.has_recursion, 0
	.set _ZN7rocprim17ROCPRIM_400000_NS6detail17trampoline_kernelINS0_13select_configILj256ELj13ELNS0_17block_load_methodE3ELS4_3ELS4_3ELNS0_20block_scan_algorithmE0ELj4294967295EEENS1_25partition_config_selectorILNS1_17partition_subalgoE4EjNS0_10empty_typeEbEEZZNS1_14partition_implILS8_4ELb0ES6_15HIP_vector_typeIjLj2EENS0_17counting_iteratorIjlEEPS9_SG_NS0_5tupleIJPjSI_NS0_16reverse_iteratorISI_EEEEENSH_IJSG_SG_SG_EEES9_SI_JZNS1_25segmented_radix_sort_implINS0_14default_configELb1EPKaPaPKlPlN2at6native12_GLOBAL__N_18offset_tEEE10hipError_tPvRmT1_PNSt15iterator_traitsIS12_E10value_typeET2_T3_PNS13_IS18_E10value_typeET4_jRbjT5_S1E_jjP12ihipStream_tbEUljE_ZNSN_ISO_Lb1ESQ_SR_ST_SU_SY_EESZ_S10_S11_S12_S16_S17_S18_S1B_S1C_jS1D_jS1E_S1E_jjS1G_bEUljE0_EEESZ_S10_S11_S18_S1C_S1E_T6_T7_T9_mT8_S1G_bDpT10_ENKUlT_T0_E_clISt17integral_constantIbLb0EES1U_EEDaS1P_S1Q_EUlS1P_E_NS1_11comp_targetILNS1_3genE9ELNS1_11target_archE1100ELNS1_3gpuE3ELNS1_3repE0EEENS1_30default_config_static_selectorELNS0_4arch9wavefront6targetE1EEEvS12_.has_indirect_call, 0
	.section	.AMDGPU.csdata,"",@progbits
; Kernel info:
; codeLenInByte = 0
; TotalNumSgprs: 4
; NumVgprs: 0
; ScratchSize: 0
; MemoryBound: 0
; FloatMode: 240
; IeeeMode: 1
; LDSByteSize: 0 bytes/workgroup (compile time only)
; SGPRBlocks: 0
; VGPRBlocks: 0
; NumSGPRsForWavesPerEU: 4
; NumVGPRsForWavesPerEU: 1
; Occupancy: 10
; WaveLimiterHint : 0
; COMPUTE_PGM_RSRC2:SCRATCH_EN: 0
; COMPUTE_PGM_RSRC2:USER_SGPR: 6
; COMPUTE_PGM_RSRC2:TRAP_HANDLER: 0
; COMPUTE_PGM_RSRC2:TGID_X_EN: 1
; COMPUTE_PGM_RSRC2:TGID_Y_EN: 0
; COMPUTE_PGM_RSRC2:TGID_Z_EN: 0
; COMPUTE_PGM_RSRC2:TIDIG_COMP_CNT: 0
	.section	.text._ZN7rocprim17ROCPRIM_400000_NS6detail17trampoline_kernelINS0_13select_configILj256ELj13ELNS0_17block_load_methodE3ELS4_3ELS4_3ELNS0_20block_scan_algorithmE0ELj4294967295EEENS1_25partition_config_selectorILNS1_17partition_subalgoE4EjNS0_10empty_typeEbEEZZNS1_14partition_implILS8_4ELb0ES6_15HIP_vector_typeIjLj2EENS0_17counting_iteratorIjlEEPS9_SG_NS0_5tupleIJPjSI_NS0_16reverse_iteratorISI_EEEEENSH_IJSG_SG_SG_EEES9_SI_JZNS1_25segmented_radix_sort_implINS0_14default_configELb1EPKaPaPKlPlN2at6native12_GLOBAL__N_18offset_tEEE10hipError_tPvRmT1_PNSt15iterator_traitsIS12_E10value_typeET2_T3_PNS13_IS18_E10value_typeET4_jRbjT5_S1E_jjP12ihipStream_tbEUljE_ZNSN_ISO_Lb1ESQ_SR_ST_SU_SY_EESZ_S10_S11_S12_S16_S17_S18_S1B_S1C_jS1D_jS1E_S1E_jjS1G_bEUljE0_EEESZ_S10_S11_S18_S1C_S1E_T6_T7_T9_mT8_S1G_bDpT10_ENKUlT_T0_E_clISt17integral_constantIbLb0EES1U_EEDaS1P_S1Q_EUlS1P_E_NS1_11comp_targetILNS1_3genE8ELNS1_11target_archE1030ELNS1_3gpuE2ELNS1_3repE0EEENS1_30default_config_static_selectorELNS0_4arch9wavefront6targetE1EEEvS12_,"axG",@progbits,_ZN7rocprim17ROCPRIM_400000_NS6detail17trampoline_kernelINS0_13select_configILj256ELj13ELNS0_17block_load_methodE3ELS4_3ELS4_3ELNS0_20block_scan_algorithmE0ELj4294967295EEENS1_25partition_config_selectorILNS1_17partition_subalgoE4EjNS0_10empty_typeEbEEZZNS1_14partition_implILS8_4ELb0ES6_15HIP_vector_typeIjLj2EENS0_17counting_iteratorIjlEEPS9_SG_NS0_5tupleIJPjSI_NS0_16reverse_iteratorISI_EEEEENSH_IJSG_SG_SG_EEES9_SI_JZNS1_25segmented_radix_sort_implINS0_14default_configELb1EPKaPaPKlPlN2at6native12_GLOBAL__N_18offset_tEEE10hipError_tPvRmT1_PNSt15iterator_traitsIS12_E10value_typeET2_T3_PNS13_IS18_E10value_typeET4_jRbjT5_S1E_jjP12ihipStream_tbEUljE_ZNSN_ISO_Lb1ESQ_SR_ST_SU_SY_EESZ_S10_S11_S12_S16_S17_S18_S1B_S1C_jS1D_jS1E_S1E_jjS1G_bEUljE0_EEESZ_S10_S11_S18_S1C_S1E_T6_T7_T9_mT8_S1G_bDpT10_ENKUlT_T0_E_clISt17integral_constantIbLb0EES1U_EEDaS1P_S1Q_EUlS1P_E_NS1_11comp_targetILNS1_3genE8ELNS1_11target_archE1030ELNS1_3gpuE2ELNS1_3repE0EEENS1_30default_config_static_selectorELNS0_4arch9wavefront6targetE1EEEvS12_,comdat
	.globl	_ZN7rocprim17ROCPRIM_400000_NS6detail17trampoline_kernelINS0_13select_configILj256ELj13ELNS0_17block_load_methodE3ELS4_3ELS4_3ELNS0_20block_scan_algorithmE0ELj4294967295EEENS1_25partition_config_selectorILNS1_17partition_subalgoE4EjNS0_10empty_typeEbEEZZNS1_14partition_implILS8_4ELb0ES6_15HIP_vector_typeIjLj2EENS0_17counting_iteratorIjlEEPS9_SG_NS0_5tupleIJPjSI_NS0_16reverse_iteratorISI_EEEEENSH_IJSG_SG_SG_EEES9_SI_JZNS1_25segmented_radix_sort_implINS0_14default_configELb1EPKaPaPKlPlN2at6native12_GLOBAL__N_18offset_tEEE10hipError_tPvRmT1_PNSt15iterator_traitsIS12_E10value_typeET2_T3_PNS13_IS18_E10value_typeET4_jRbjT5_S1E_jjP12ihipStream_tbEUljE_ZNSN_ISO_Lb1ESQ_SR_ST_SU_SY_EESZ_S10_S11_S12_S16_S17_S18_S1B_S1C_jS1D_jS1E_S1E_jjS1G_bEUljE0_EEESZ_S10_S11_S18_S1C_S1E_T6_T7_T9_mT8_S1G_bDpT10_ENKUlT_T0_E_clISt17integral_constantIbLb0EES1U_EEDaS1P_S1Q_EUlS1P_E_NS1_11comp_targetILNS1_3genE8ELNS1_11target_archE1030ELNS1_3gpuE2ELNS1_3repE0EEENS1_30default_config_static_selectorELNS0_4arch9wavefront6targetE1EEEvS12_ ; -- Begin function _ZN7rocprim17ROCPRIM_400000_NS6detail17trampoline_kernelINS0_13select_configILj256ELj13ELNS0_17block_load_methodE3ELS4_3ELS4_3ELNS0_20block_scan_algorithmE0ELj4294967295EEENS1_25partition_config_selectorILNS1_17partition_subalgoE4EjNS0_10empty_typeEbEEZZNS1_14partition_implILS8_4ELb0ES6_15HIP_vector_typeIjLj2EENS0_17counting_iteratorIjlEEPS9_SG_NS0_5tupleIJPjSI_NS0_16reverse_iteratorISI_EEEEENSH_IJSG_SG_SG_EEES9_SI_JZNS1_25segmented_radix_sort_implINS0_14default_configELb1EPKaPaPKlPlN2at6native12_GLOBAL__N_18offset_tEEE10hipError_tPvRmT1_PNSt15iterator_traitsIS12_E10value_typeET2_T3_PNS13_IS18_E10value_typeET4_jRbjT5_S1E_jjP12ihipStream_tbEUljE_ZNSN_ISO_Lb1ESQ_SR_ST_SU_SY_EESZ_S10_S11_S12_S16_S17_S18_S1B_S1C_jS1D_jS1E_S1E_jjS1G_bEUljE0_EEESZ_S10_S11_S18_S1C_S1E_T6_T7_T9_mT8_S1G_bDpT10_ENKUlT_T0_E_clISt17integral_constantIbLb0EES1U_EEDaS1P_S1Q_EUlS1P_E_NS1_11comp_targetILNS1_3genE8ELNS1_11target_archE1030ELNS1_3gpuE2ELNS1_3repE0EEENS1_30default_config_static_selectorELNS0_4arch9wavefront6targetE1EEEvS12_
	.p2align	8
	.type	_ZN7rocprim17ROCPRIM_400000_NS6detail17trampoline_kernelINS0_13select_configILj256ELj13ELNS0_17block_load_methodE3ELS4_3ELS4_3ELNS0_20block_scan_algorithmE0ELj4294967295EEENS1_25partition_config_selectorILNS1_17partition_subalgoE4EjNS0_10empty_typeEbEEZZNS1_14partition_implILS8_4ELb0ES6_15HIP_vector_typeIjLj2EENS0_17counting_iteratorIjlEEPS9_SG_NS0_5tupleIJPjSI_NS0_16reverse_iteratorISI_EEEEENSH_IJSG_SG_SG_EEES9_SI_JZNS1_25segmented_radix_sort_implINS0_14default_configELb1EPKaPaPKlPlN2at6native12_GLOBAL__N_18offset_tEEE10hipError_tPvRmT1_PNSt15iterator_traitsIS12_E10value_typeET2_T3_PNS13_IS18_E10value_typeET4_jRbjT5_S1E_jjP12ihipStream_tbEUljE_ZNSN_ISO_Lb1ESQ_SR_ST_SU_SY_EESZ_S10_S11_S12_S16_S17_S18_S1B_S1C_jS1D_jS1E_S1E_jjS1G_bEUljE0_EEESZ_S10_S11_S18_S1C_S1E_T6_T7_T9_mT8_S1G_bDpT10_ENKUlT_T0_E_clISt17integral_constantIbLb0EES1U_EEDaS1P_S1Q_EUlS1P_E_NS1_11comp_targetILNS1_3genE8ELNS1_11target_archE1030ELNS1_3gpuE2ELNS1_3repE0EEENS1_30default_config_static_selectorELNS0_4arch9wavefront6targetE1EEEvS12_,@function
_ZN7rocprim17ROCPRIM_400000_NS6detail17trampoline_kernelINS0_13select_configILj256ELj13ELNS0_17block_load_methodE3ELS4_3ELS4_3ELNS0_20block_scan_algorithmE0ELj4294967295EEENS1_25partition_config_selectorILNS1_17partition_subalgoE4EjNS0_10empty_typeEbEEZZNS1_14partition_implILS8_4ELb0ES6_15HIP_vector_typeIjLj2EENS0_17counting_iteratorIjlEEPS9_SG_NS0_5tupleIJPjSI_NS0_16reverse_iteratorISI_EEEEENSH_IJSG_SG_SG_EEES9_SI_JZNS1_25segmented_radix_sort_implINS0_14default_configELb1EPKaPaPKlPlN2at6native12_GLOBAL__N_18offset_tEEE10hipError_tPvRmT1_PNSt15iterator_traitsIS12_E10value_typeET2_T3_PNS13_IS18_E10value_typeET4_jRbjT5_S1E_jjP12ihipStream_tbEUljE_ZNSN_ISO_Lb1ESQ_SR_ST_SU_SY_EESZ_S10_S11_S12_S16_S17_S18_S1B_S1C_jS1D_jS1E_S1E_jjS1G_bEUljE0_EEESZ_S10_S11_S18_S1C_S1E_T6_T7_T9_mT8_S1G_bDpT10_ENKUlT_T0_E_clISt17integral_constantIbLb0EES1U_EEDaS1P_S1Q_EUlS1P_E_NS1_11comp_targetILNS1_3genE8ELNS1_11target_archE1030ELNS1_3gpuE2ELNS1_3repE0EEENS1_30default_config_static_selectorELNS0_4arch9wavefront6targetE1EEEvS12_: ; @_ZN7rocprim17ROCPRIM_400000_NS6detail17trampoline_kernelINS0_13select_configILj256ELj13ELNS0_17block_load_methodE3ELS4_3ELS4_3ELNS0_20block_scan_algorithmE0ELj4294967295EEENS1_25partition_config_selectorILNS1_17partition_subalgoE4EjNS0_10empty_typeEbEEZZNS1_14partition_implILS8_4ELb0ES6_15HIP_vector_typeIjLj2EENS0_17counting_iteratorIjlEEPS9_SG_NS0_5tupleIJPjSI_NS0_16reverse_iteratorISI_EEEEENSH_IJSG_SG_SG_EEES9_SI_JZNS1_25segmented_radix_sort_implINS0_14default_configELb1EPKaPaPKlPlN2at6native12_GLOBAL__N_18offset_tEEE10hipError_tPvRmT1_PNSt15iterator_traitsIS12_E10value_typeET2_T3_PNS13_IS18_E10value_typeET4_jRbjT5_S1E_jjP12ihipStream_tbEUljE_ZNSN_ISO_Lb1ESQ_SR_ST_SU_SY_EESZ_S10_S11_S12_S16_S17_S18_S1B_S1C_jS1D_jS1E_S1E_jjS1G_bEUljE0_EEESZ_S10_S11_S18_S1C_S1E_T6_T7_T9_mT8_S1G_bDpT10_ENKUlT_T0_E_clISt17integral_constantIbLb0EES1U_EEDaS1P_S1Q_EUlS1P_E_NS1_11comp_targetILNS1_3genE8ELNS1_11target_archE1030ELNS1_3gpuE2ELNS1_3repE0EEENS1_30default_config_static_selectorELNS0_4arch9wavefront6targetE1EEEvS12_
; %bb.0:
	.section	.rodata,"a",@progbits
	.p2align	6, 0x0
	.amdhsa_kernel _ZN7rocprim17ROCPRIM_400000_NS6detail17trampoline_kernelINS0_13select_configILj256ELj13ELNS0_17block_load_methodE3ELS4_3ELS4_3ELNS0_20block_scan_algorithmE0ELj4294967295EEENS1_25partition_config_selectorILNS1_17partition_subalgoE4EjNS0_10empty_typeEbEEZZNS1_14partition_implILS8_4ELb0ES6_15HIP_vector_typeIjLj2EENS0_17counting_iteratorIjlEEPS9_SG_NS0_5tupleIJPjSI_NS0_16reverse_iteratorISI_EEEEENSH_IJSG_SG_SG_EEES9_SI_JZNS1_25segmented_radix_sort_implINS0_14default_configELb1EPKaPaPKlPlN2at6native12_GLOBAL__N_18offset_tEEE10hipError_tPvRmT1_PNSt15iterator_traitsIS12_E10value_typeET2_T3_PNS13_IS18_E10value_typeET4_jRbjT5_S1E_jjP12ihipStream_tbEUljE_ZNSN_ISO_Lb1ESQ_SR_ST_SU_SY_EESZ_S10_S11_S12_S16_S17_S18_S1B_S1C_jS1D_jS1E_S1E_jjS1G_bEUljE0_EEESZ_S10_S11_S18_S1C_S1E_T6_T7_T9_mT8_S1G_bDpT10_ENKUlT_T0_E_clISt17integral_constantIbLb0EES1U_EEDaS1P_S1Q_EUlS1P_E_NS1_11comp_targetILNS1_3genE8ELNS1_11target_archE1030ELNS1_3gpuE2ELNS1_3repE0EEENS1_30default_config_static_selectorELNS0_4arch9wavefront6targetE1EEEvS12_
		.amdhsa_group_segment_fixed_size 0
		.amdhsa_private_segment_fixed_size 0
		.amdhsa_kernarg_size 176
		.amdhsa_user_sgpr_count 6
		.amdhsa_user_sgpr_private_segment_buffer 1
		.amdhsa_user_sgpr_dispatch_ptr 0
		.amdhsa_user_sgpr_queue_ptr 0
		.amdhsa_user_sgpr_kernarg_segment_ptr 1
		.amdhsa_user_sgpr_dispatch_id 0
		.amdhsa_user_sgpr_flat_scratch_init 0
		.amdhsa_user_sgpr_private_segment_size 0
		.amdhsa_uses_dynamic_stack 0
		.amdhsa_system_sgpr_private_segment_wavefront_offset 0
		.amdhsa_system_sgpr_workgroup_id_x 1
		.amdhsa_system_sgpr_workgroup_id_y 0
		.amdhsa_system_sgpr_workgroup_id_z 0
		.amdhsa_system_sgpr_workgroup_info 0
		.amdhsa_system_vgpr_workitem_id 0
		.amdhsa_next_free_vgpr 1
		.amdhsa_next_free_sgpr 0
		.amdhsa_reserve_vcc 0
		.amdhsa_reserve_flat_scratch 0
		.amdhsa_float_round_mode_32 0
		.amdhsa_float_round_mode_16_64 0
		.amdhsa_float_denorm_mode_32 3
		.amdhsa_float_denorm_mode_16_64 3
		.amdhsa_dx10_clamp 1
		.amdhsa_ieee_mode 1
		.amdhsa_fp16_overflow 0
		.amdhsa_exception_fp_ieee_invalid_op 0
		.amdhsa_exception_fp_denorm_src 0
		.amdhsa_exception_fp_ieee_div_zero 0
		.amdhsa_exception_fp_ieee_overflow 0
		.amdhsa_exception_fp_ieee_underflow 0
		.amdhsa_exception_fp_ieee_inexact 0
		.amdhsa_exception_int_div_zero 0
	.end_amdhsa_kernel
	.section	.text._ZN7rocprim17ROCPRIM_400000_NS6detail17trampoline_kernelINS0_13select_configILj256ELj13ELNS0_17block_load_methodE3ELS4_3ELS4_3ELNS0_20block_scan_algorithmE0ELj4294967295EEENS1_25partition_config_selectorILNS1_17partition_subalgoE4EjNS0_10empty_typeEbEEZZNS1_14partition_implILS8_4ELb0ES6_15HIP_vector_typeIjLj2EENS0_17counting_iteratorIjlEEPS9_SG_NS0_5tupleIJPjSI_NS0_16reverse_iteratorISI_EEEEENSH_IJSG_SG_SG_EEES9_SI_JZNS1_25segmented_radix_sort_implINS0_14default_configELb1EPKaPaPKlPlN2at6native12_GLOBAL__N_18offset_tEEE10hipError_tPvRmT1_PNSt15iterator_traitsIS12_E10value_typeET2_T3_PNS13_IS18_E10value_typeET4_jRbjT5_S1E_jjP12ihipStream_tbEUljE_ZNSN_ISO_Lb1ESQ_SR_ST_SU_SY_EESZ_S10_S11_S12_S16_S17_S18_S1B_S1C_jS1D_jS1E_S1E_jjS1G_bEUljE0_EEESZ_S10_S11_S18_S1C_S1E_T6_T7_T9_mT8_S1G_bDpT10_ENKUlT_T0_E_clISt17integral_constantIbLb0EES1U_EEDaS1P_S1Q_EUlS1P_E_NS1_11comp_targetILNS1_3genE8ELNS1_11target_archE1030ELNS1_3gpuE2ELNS1_3repE0EEENS1_30default_config_static_selectorELNS0_4arch9wavefront6targetE1EEEvS12_,"axG",@progbits,_ZN7rocprim17ROCPRIM_400000_NS6detail17trampoline_kernelINS0_13select_configILj256ELj13ELNS0_17block_load_methodE3ELS4_3ELS4_3ELNS0_20block_scan_algorithmE0ELj4294967295EEENS1_25partition_config_selectorILNS1_17partition_subalgoE4EjNS0_10empty_typeEbEEZZNS1_14partition_implILS8_4ELb0ES6_15HIP_vector_typeIjLj2EENS0_17counting_iteratorIjlEEPS9_SG_NS0_5tupleIJPjSI_NS0_16reverse_iteratorISI_EEEEENSH_IJSG_SG_SG_EEES9_SI_JZNS1_25segmented_radix_sort_implINS0_14default_configELb1EPKaPaPKlPlN2at6native12_GLOBAL__N_18offset_tEEE10hipError_tPvRmT1_PNSt15iterator_traitsIS12_E10value_typeET2_T3_PNS13_IS18_E10value_typeET4_jRbjT5_S1E_jjP12ihipStream_tbEUljE_ZNSN_ISO_Lb1ESQ_SR_ST_SU_SY_EESZ_S10_S11_S12_S16_S17_S18_S1B_S1C_jS1D_jS1E_S1E_jjS1G_bEUljE0_EEESZ_S10_S11_S18_S1C_S1E_T6_T7_T9_mT8_S1G_bDpT10_ENKUlT_T0_E_clISt17integral_constantIbLb0EES1U_EEDaS1P_S1Q_EUlS1P_E_NS1_11comp_targetILNS1_3genE8ELNS1_11target_archE1030ELNS1_3gpuE2ELNS1_3repE0EEENS1_30default_config_static_selectorELNS0_4arch9wavefront6targetE1EEEvS12_,comdat
.Lfunc_end233:
	.size	_ZN7rocprim17ROCPRIM_400000_NS6detail17trampoline_kernelINS0_13select_configILj256ELj13ELNS0_17block_load_methodE3ELS4_3ELS4_3ELNS0_20block_scan_algorithmE0ELj4294967295EEENS1_25partition_config_selectorILNS1_17partition_subalgoE4EjNS0_10empty_typeEbEEZZNS1_14partition_implILS8_4ELb0ES6_15HIP_vector_typeIjLj2EENS0_17counting_iteratorIjlEEPS9_SG_NS0_5tupleIJPjSI_NS0_16reverse_iteratorISI_EEEEENSH_IJSG_SG_SG_EEES9_SI_JZNS1_25segmented_radix_sort_implINS0_14default_configELb1EPKaPaPKlPlN2at6native12_GLOBAL__N_18offset_tEEE10hipError_tPvRmT1_PNSt15iterator_traitsIS12_E10value_typeET2_T3_PNS13_IS18_E10value_typeET4_jRbjT5_S1E_jjP12ihipStream_tbEUljE_ZNSN_ISO_Lb1ESQ_SR_ST_SU_SY_EESZ_S10_S11_S12_S16_S17_S18_S1B_S1C_jS1D_jS1E_S1E_jjS1G_bEUljE0_EEESZ_S10_S11_S18_S1C_S1E_T6_T7_T9_mT8_S1G_bDpT10_ENKUlT_T0_E_clISt17integral_constantIbLb0EES1U_EEDaS1P_S1Q_EUlS1P_E_NS1_11comp_targetILNS1_3genE8ELNS1_11target_archE1030ELNS1_3gpuE2ELNS1_3repE0EEENS1_30default_config_static_selectorELNS0_4arch9wavefront6targetE1EEEvS12_, .Lfunc_end233-_ZN7rocprim17ROCPRIM_400000_NS6detail17trampoline_kernelINS0_13select_configILj256ELj13ELNS0_17block_load_methodE3ELS4_3ELS4_3ELNS0_20block_scan_algorithmE0ELj4294967295EEENS1_25partition_config_selectorILNS1_17partition_subalgoE4EjNS0_10empty_typeEbEEZZNS1_14partition_implILS8_4ELb0ES6_15HIP_vector_typeIjLj2EENS0_17counting_iteratorIjlEEPS9_SG_NS0_5tupleIJPjSI_NS0_16reverse_iteratorISI_EEEEENSH_IJSG_SG_SG_EEES9_SI_JZNS1_25segmented_radix_sort_implINS0_14default_configELb1EPKaPaPKlPlN2at6native12_GLOBAL__N_18offset_tEEE10hipError_tPvRmT1_PNSt15iterator_traitsIS12_E10value_typeET2_T3_PNS13_IS18_E10value_typeET4_jRbjT5_S1E_jjP12ihipStream_tbEUljE_ZNSN_ISO_Lb1ESQ_SR_ST_SU_SY_EESZ_S10_S11_S12_S16_S17_S18_S1B_S1C_jS1D_jS1E_S1E_jjS1G_bEUljE0_EEESZ_S10_S11_S18_S1C_S1E_T6_T7_T9_mT8_S1G_bDpT10_ENKUlT_T0_E_clISt17integral_constantIbLb0EES1U_EEDaS1P_S1Q_EUlS1P_E_NS1_11comp_targetILNS1_3genE8ELNS1_11target_archE1030ELNS1_3gpuE2ELNS1_3repE0EEENS1_30default_config_static_selectorELNS0_4arch9wavefront6targetE1EEEvS12_
                                        ; -- End function
	.set _ZN7rocprim17ROCPRIM_400000_NS6detail17trampoline_kernelINS0_13select_configILj256ELj13ELNS0_17block_load_methodE3ELS4_3ELS4_3ELNS0_20block_scan_algorithmE0ELj4294967295EEENS1_25partition_config_selectorILNS1_17partition_subalgoE4EjNS0_10empty_typeEbEEZZNS1_14partition_implILS8_4ELb0ES6_15HIP_vector_typeIjLj2EENS0_17counting_iteratorIjlEEPS9_SG_NS0_5tupleIJPjSI_NS0_16reverse_iteratorISI_EEEEENSH_IJSG_SG_SG_EEES9_SI_JZNS1_25segmented_radix_sort_implINS0_14default_configELb1EPKaPaPKlPlN2at6native12_GLOBAL__N_18offset_tEEE10hipError_tPvRmT1_PNSt15iterator_traitsIS12_E10value_typeET2_T3_PNS13_IS18_E10value_typeET4_jRbjT5_S1E_jjP12ihipStream_tbEUljE_ZNSN_ISO_Lb1ESQ_SR_ST_SU_SY_EESZ_S10_S11_S12_S16_S17_S18_S1B_S1C_jS1D_jS1E_S1E_jjS1G_bEUljE0_EEESZ_S10_S11_S18_S1C_S1E_T6_T7_T9_mT8_S1G_bDpT10_ENKUlT_T0_E_clISt17integral_constantIbLb0EES1U_EEDaS1P_S1Q_EUlS1P_E_NS1_11comp_targetILNS1_3genE8ELNS1_11target_archE1030ELNS1_3gpuE2ELNS1_3repE0EEENS1_30default_config_static_selectorELNS0_4arch9wavefront6targetE1EEEvS12_.num_vgpr, 0
	.set _ZN7rocprim17ROCPRIM_400000_NS6detail17trampoline_kernelINS0_13select_configILj256ELj13ELNS0_17block_load_methodE3ELS4_3ELS4_3ELNS0_20block_scan_algorithmE0ELj4294967295EEENS1_25partition_config_selectorILNS1_17partition_subalgoE4EjNS0_10empty_typeEbEEZZNS1_14partition_implILS8_4ELb0ES6_15HIP_vector_typeIjLj2EENS0_17counting_iteratorIjlEEPS9_SG_NS0_5tupleIJPjSI_NS0_16reverse_iteratorISI_EEEEENSH_IJSG_SG_SG_EEES9_SI_JZNS1_25segmented_radix_sort_implINS0_14default_configELb1EPKaPaPKlPlN2at6native12_GLOBAL__N_18offset_tEEE10hipError_tPvRmT1_PNSt15iterator_traitsIS12_E10value_typeET2_T3_PNS13_IS18_E10value_typeET4_jRbjT5_S1E_jjP12ihipStream_tbEUljE_ZNSN_ISO_Lb1ESQ_SR_ST_SU_SY_EESZ_S10_S11_S12_S16_S17_S18_S1B_S1C_jS1D_jS1E_S1E_jjS1G_bEUljE0_EEESZ_S10_S11_S18_S1C_S1E_T6_T7_T9_mT8_S1G_bDpT10_ENKUlT_T0_E_clISt17integral_constantIbLb0EES1U_EEDaS1P_S1Q_EUlS1P_E_NS1_11comp_targetILNS1_3genE8ELNS1_11target_archE1030ELNS1_3gpuE2ELNS1_3repE0EEENS1_30default_config_static_selectorELNS0_4arch9wavefront6targetE1EEEvS12_.num_agpr, 0
	.set _ZN7rocprim17ROCPRIM_400000_NS6detail17trampoline_kernelINS0_13select_configILj256ELj13ELNS0_17block_load_methodE3ELS4_3ELS4_3ELNS0_20block_scan_algorithmE0ELj4294967295EEENS1_25partition_config_selectorILNS1_17partition_subalgoE4EjNS0_10empty_typeEbEEZZNS1_14partition_implILS8_4ELb0ES6_15HIP_vector_typeIjLj2EENS0_17counting_iteratorIjlEEPS9_SG_NS0_5tupleIJPjSI_NS0_16reverse_iteratorISI_EEEEENSH_IJSG_SG_SG_EEES9_SI_JZNS1_25segmented_radix_sort_implINS0_14default_configELb1EPKaPaPKlPlN2at6native12_GLOBAL__N_18offset_tEEE10hipError_tPvRmT1_PNSt15iterator_traitsIS12_E10value_typeET2_T3_PNS13_IS18_E10value_typeET4_jRbjT5_S1E_jjP12ihipStream_tbEUljE_ZNSN_ISO_Lb1ESQ_SR_ST_SU_SY_EESZ_S10_S11_S12_S16_S17_S18_S1B_S1C_jS1D_jS1E_S1E_jjS1G_bEUljE0_EEESZ_S10_S11_S18_S1C_S1E_T6_T7_T9_mT8_S1G_bDpT10_ENKUlT_T0_E_clISt17integral_constantIbLb0EES1U_EEDaS1P_S1Q_EUlS1P_E_NS1_11comp_targetILNS1_3genE8ELNS1_11target_archE1030ELNS1_3gpuE2ELNS1_3repE0EEENS1_30default_config_static_selectorELNS0_4arch9wavefront6targetE1EEEvS12_.numbered_sgpr, 0
	.set _ZN7rocprim17ROCPRIM_400000_NS6detail17trampoline_kernelINS0_13select_configILj256ELj13ELNS0_17block_load_methodE3ELS4_3ELS4_3ELNS0_20block_scan_algorithmE0ELj4294967295EEENS1_25partition_config_selectorILNS1_17partition_subalgoE4EjNS0_10empty_typeEbEEZZNS1_14partition_implILS8_4ELb0ES6_15HIP_vector_typeIjLj2EENS0_17counting_iteratorIjlEEPS9_SG_NS0_5tupleIJPjSI_NS0_16reverse_iteratorISI_EEEEENSH_IJSG_SG_SG_EEES9_SI_JZNS1_25segmented_radix_sort_implINS0_14default_configELb1EPKaPaPKlPlN2at6native12_GLOBAL__N_18offset_tEEE10hipError_tPvRmT1_PNSt15iterator_traitsIS12_E10value_typeET2_T3_PNS13_IS18_E10value_typeET4_jRbjT5_S1E_jjP12ihipStream_tbEUljE_ZNSN_ISO_Lb1ESQ_SR_ST_SU_SY_EESZ_S10_S11_S12_S16_S17_S18_S1B_S1C_jS1D_jS1E_S1E_jjS1G_bEUljE0_EEESZ_S10_S11_S18_S1C_S1E_T6_T7_T9_mT8_S1G_bDpT10_ENKUlT_T0_E_clISt17integral_constantIbLb0EES1U_EEDaS1P_S1Q_EUlS1P_E_NS1_11comp_targetILNS1_3genE8ELNS1_11target_archE1030ELNS1_3gpuE2ELNS1_3repE0EEENS1_30default_config_static_selectorELNS0_4arch9wavefront6targetE1EEEvS12_.num_named_barrier, 0
	.set _ZN7rocprim17ROCPRIM_400000_NS6detail17trampoline_kernelINS0_13select_configILj256ELj13ELNS0_17block_load_methodE3ELS4_3ELS4_3ELNS0_20block_scan_algorithmE0ELj4294967295EEENS1_25partition_config_selectorILNS1_17partition_subalgoE4EjNS0_10empty_typeEbEEZZNS1_14partition_implILS8_4ELb0ES6_15HIP_vector_typeIjLj2EENS0_17counting_iteratorIjlEEPS9_SG_NS0_5tupleIJPjSI_NS0_16reverse_iteratorISI_EEEEENSH_IJSG_SG_SG_EEES9_SI_JZNS1_25segmented_radix_sort_implINS0_14default_configELb1EPKaPaPKlPlN2at6native12_GLOBAL__N_18offset_tEEE10hipError_tPvRmT1_PNSt15iterator_traitsIS12_E10value_typeET2_T3_PNS13_IS18_E10value_typeET4_jRbjT5_S1E_jjP12ihipStream_tbEUljE_ZNSN_ISO_Lb1ESQ_SR_ST_SU_SY_EESZ_S10_S11_S12_S16_S17_S18_S1B_S1C_jS1D_jS1E_S1E_jjS1G_bEUljE0_EEESZ_S10_S11_S18_S1C_S1E_T6_T7_T9_mT8_S1G_bDpT10_ENKUlT_T0_E_clISt17integral_constantIbLb0EES1U_EEDaS1P_S1Q_EUlS1P_E_NS1_11comp_targetILNS1_3genE8ELNS1_11target_archE1030ELNS1_3gpuE2ELNS1_3repE0EEENS1_30default_config_static_selectorELNS0_4arch9wavefront6targetE1EEEvS12_.private_seg_size, 0
	.set _ZN7rocprim17ROCPRIM_400000_NS6detail17trampoline_kernelINS0_13select_configILj256ELj13ELNS0_17block_load_methodE3ELS4_3ELS4_3ELNS0_20block_scan_algorithmE0ELj4294967295EEENS1_25partition_config_selectorILNS1_17partition_subalgoE4EjNS0_10empty_typeEbEEZZNS1_14partition_implILS8_4ELb0ES6_15HIP_vector_typeIjLj2EENS0_17counting_iteratorIjlEEPS9_SG_NS0_5tupleIJPjSI_NS0_16reverse_iteratorISI_EEEEENSH_IJSG_SG_SG_EEES9_SI_JZNS1_25segmented_radix_sort_implINS0_14default_configELb1EPKaPaPKlPlN2at6native12_GLOBAL__N_18offset_tEEE10hipError_tPvRmT1_PNSt15iterator_traitsIS12_E10value_typeET2_T3_PNS13_IS18_E10value_typeET4_jRbjT5_S1E_jjP12ihipStream_tbEUljE_ZNSN_ISO_Lb1ESQ_SR_ST_SU_SY_EESZ_S10_S11_S12_S16_S17_S18_S1B_S1C_jS1D_jS1E_S1E_jjS1G_bEUljE0_EEESZ_S10_S11_S18_S1C_S1E_T6_T7_T9_mT8_S1G_bDpT10_ENKUlT_T0_E_clISt17integral_constantIbLb0EES1U_EEDaS1P_S1Q_EUlS1P_E_NS1_11comp_targetILNS1_3genE8ELNS1_11target_archE1030ELNS1_3gpuE2ELNS1_3repE0EEENS1_30default_config_static_selectorELNS0_4arch9wavefront6targetE1EEEvS12_.uses_vcc, 0
	.set _ZN7rocprim17ROCPRIM_400000_NS6detail17trampoline_kernelINS0_13select_configILj256ELj13ELNS0_17block_load_methodE3ELS4_3ELS4_3ELNS0_20block_scan_algorithmE0ELj4294967295EEENS1_25partition_config_selectorILNS1_17partition_subalgoE4EjNS0_10empty_typeEbEEZZNS1_14partition_implILS8_4ELb0ES6_15HIP_vector_typeIjLj2EENS0_17counting_iteratorIjlEEPS9_SG_NS0_5tupleIJPjSI_NS0_16reverse_iteratorISI_EEEEENSH_IJSG_SG_SG_EEES9_SI_JZNS1_25segmented_radix_sort_implINS0_14default_configELb1EPKaPaPKlPlN2at6native12_GLOBAL__N_18offset_tEEE10hipError_tPvRmT1_PNSt15iterator_traitsIS12_E10value_typeET2_T3_PNS13_IS18_E10value_typeET4_jRbjT5_S1E_jjP12ihipStream_tbEUljE_ZNSN_ISO_Lb1ESQ_SR_ST_SU_SY_EESZ_S10_S11_S12_S16_S17_S18_S1B_S1C_jS1D_jS1E_S1E_jjS1G_bEUljE0_EEESZ_S10_S11_S18_S1C_S1E_T6_T7_T9_mT8_S1G_bDpT10_ENKUlT_T0_E_clISt17integral_constantIbLb0EES1U_EEDaS1P_S1Q_EUlS1P_E_NS1_11comp_targetILNS1_3genE8ELNS1_11target_archE1030ELNS1_3gpuE2ELNS1_3repE0EEENS1_30default_config_static_selectorELNS0_4arch9wavefront6targetE1EEEvS12_.uses_flat_scratch, 0
	.set _ZN7rocprim17ROCPRIM_400000_NS6detail17trampoline_kernelINS0_13select_configILj256ELj13ELNS0_17block_load_methodE3ELS4_3ELS4_3ELNS0_20block_scan_algorithmE0ELj4294967295EEENS1_25partition_config_selectorILNS1_17partition_subalgoE4EjNS0_10empty_typeEbEEZZNS1_14partition_implILS8_4ELb0ES6_15HIP_vector_typeIjLj2EENS0_17counting_iteratorIjlEEPS9_SG_NS0_5tupleIJPjSI_NS0_16reverse_iteratorISI_EEEEENSH_IJSG_SG_SG_EEES9_SI_JZNS1_25segmented_radix_sort_implINS0_14default_configELb1EPKaPaPKlPlN2at6native12_GLOBAL__N_18offset_tEEE10hipError_tPvRmT1_PNSt15iterator_traitsIS12_E10value_typeET2_T3_PNS13_IS18_E10value_typeET4_jRbjT5_S1E_jjP12ihipStream_tbEUljE_ZNSN_ISO_Lb1ESQ_SR_ST_SU_SY_EESZ_S10_S11_S12_S16_S17_S18_S1B_S1C_jS1D_jS1E_S1E_jjS1G_bEUljE0_EEESZ_S10_S11_S18_S1C_S1E_T6_T7_T9_mT8_S1G_bDpT10_ENKUlT_T0_E_clISt17integral_constantIbLb0EES1U_EEDaS1P_S1Q_EUlS1P_E_NS1_11comp_targetILNS1_3genE8ELNS1_11target_archE1030ELNS1_3gpuE2ELNS1_3repE0EEENS1_30default_config_static_selectorELNS0_4arch9wavefront6targetE1EEEvS12_.has_dyn_sized_stack, 0
	.set _ZN7rocprim17ROCPRIM_400000_NS6detail17trampoline_kernelINS0_13select_configILj256ELj13ELNS0_17block_load_methodE3ELS4_3ELS4_3ELNS0_20block_scan_algorithmE0ELj4294967295EEENS1_25partition_config_selectorILNS1_17partition_subalgoE4EjNS0_10empty_typeEbEEZZNS1_14partition_implILS8_4ELb0ES6_15HIP_vector_typeIjLj2EENS0_17counting_iteratorIjlEEPS9_SG_NS0_5tupleIJPjSI_NS0_16reverse_iteratorISI_EEEEENSH_IJSG_SG_SG_EEES9_SI_JZNS1_25segmented_radix_sort_implINS0_14default_configELb1EPKaPaPKlPlN2at6native12_GLOBAL__N_18offset_tEEE10hipError_tPvRmT1_PNSt15iterator_traitsIS12_E10value_typeET2_T3_PNS13_IS18_E10value_typeET4_jRbjT5_S1E_jjP12ihipStream_tbEUljE_ZNSN_ISO_Lb1ESQ_SR_ST_SU_SY_EESZ_S10_S11_S12_S16_S17_S18_S1B_S1C_jS1D_jS1E_S1E_jjS1G_bEUljE0_EEESZ_S10_S11_S18_S1C_S1E_T6_T7_T9_mT8_S1G_bDpT10_ENKUlT_T0_E_clISt17integral_constantIbLb0EES1U_EEDaS1P_S1Q_EUlS1P_E_NS1_11comp_targetILNS1_3genE8ELNS1_11target_archE1030ELNS1_3gpuE2ELNS1_3repE0EEENS1_30default_config_static_selectorELNS0_4arch9wavefront6targetE1EEEvS12_.has_recursion, 0
	.set _ZN7rocprim17ROCPRIM_400000_NS6detail17trampoline_kernelINS0_13select_configILj256ELj13ELNS0_17block_load_methodE3ELS4_3ELS4_3ELNS0_20block_scan_algorithmE0ELj4294967295EEENS1_25partition_config_selectorILNS1_17partition_subalgoE4EjNS0_10empty_typeEbEEZZNS1_14partition_implILS8_4ELb0ES6_15HIP_vector_typeIjLj2EENS0_17counting_iteratorIjlEEPS9_SG_NS0_5tupleIJPjSI_NS0_16reverse_iteratorISI_EEEEENSH_IJSG_SG_SG_EEES9_SI_JZNS1_25segmented_radix_sort_implINS0_14default_configELb1EPKaPaPKlPlN2at6native12_GLOBAL__N_18offset_tEEE10hipError_tPvRmT1_PNSt15iterator_traitsIS12_E10value_typeET2_T3_PNS13_IS18_E10value_typeET4_jRbjT5_S1E_jjP12ihipStream_tbEUljE_ZNSN_ISO_Lb1ESQ_SR_ST_SU_SY_EESZ_S10_S11_S12_S16_S17_S18_S1B_S1C_jS1D_jS1E_S1E_jjS1G_bEUljE0_EEESZ_S10_S11_S18_S1C_S1E_T6_T7_T9_mT8_S1G_bDpT10_ENKUlT_T0_E_clISt17integral_constantIbLb0EES1U_EEDaS1P_S1Q_EUlS1P_E_NS1_11comp_targetILNS1_3genE8ELNS1_11target_archE1030ELNS1_3gpuE2ELNS1_3repE0EEENS1_30default_config_static_selectorELNS0_4arch9wavefront6targetE1EEEvS12_.has_indirect_call, 0
	.section	.AMDGPU.csdata,"",@progbits
; Kernel info:
; codeLenInByte = 0
; TotalNumSgprs: 4
; NumVgprs: 0
; ScratchSize: 0
; MemoryBound: 0
; FloatMode: 240
; IeeeMode: 1
; LDSByteSize: 0 bytes/workgroup (compile time only)
; SGPRBlocks: 0
; VGPRBlocks: 0
; NumSGPRsForWavesPerEU: 4
; NumVGPRsForWavesPerEU: 1
; Occupancy: 10
; WaveLimiterHint : 0
; COMPUTE_PGM_RSRC2:SCRATCH_EN: 0
; COMPUTE_PGM_RSRC2:USER_SGPR: 6
; COMPUTE_PGM_RSRC2:TRAP_HANDLER: 0
; COMPUTE_PGM_RSRC2:TGID_X_EN: 1
; COMPUTE_PGM_RSRC2:TGID_Y_EN: 0
; COMPUTE_PGM_RSRC2:TGID_Z_EN: 0
; COMPUTE_PGM_RSRC2:TIDIG_COMP_CNT: 0
	.section	.text._ZN7rocprim17ROCPRIM_400000_NS6detail17trampoline_kernelINS0_13select_configILj256ELj13ELNS0_17block_load_methodE3ELS4_3ELS4_3ELNS0_20block_scan_algorithmE0ELj4294967295EEENS1_25partition_config_selectorILNS1_17partition_subalgoE4EjNS0_10empty_typeEbEEZZNS1_14partition_implILS8_4ELb0ES6_15HIP_vector_typeIjLj2EENS0_17counting_iteratorIjlEEPS9_SG_NS0_5tupleIJPjSI_NS0_16reverse_iteratorISI_EEEEENSH_IJSG_SG_SG_EEES9_SI_JZNS1_25segmented_radix_sort_implINS0_14default_configELb1EPKaPaPKlPlN2at6native12_GLOBAL__N_18offset_tEEE10hipError_tPvRmT1_PNSt15iterator_traitsIS12_E10value_typeET2_T3_PNS13_IS18_E10value_typeET4_jRbjT5_S1E_jjP12ihipStream_tbEUljE_ZNSN_ISO_Lb1ESQ_SR_ST_SU_SY_EESZ_S10_S11_S12_S16_S17_S18_S1B_S1C_jS1D_jS1E_S1E_jjS1G_bEUljE0_EEESZ_S10_S11_S18_S1C_S1E_T6_T7_T9_mT8_S1G_bDpT10_ENKUlT_T0_E_clISt17integral_constantIbLb1EES1U_EEDaS1P_S1Q_EUlS1P_E_NS1_11comp_targetILNS1_3genE0ELNS1_11target_archE4294967295ELNS1_3gpuE0ELNS1_3repE0EEENS1_30default_config_static_selectorELNS0_4arch9wavefront6targetE1EEEvS12_,"axG",@progbits,_ZN7rocprim17ROCPRIM_400000_NS6detail17trampoline_kernelINS0_13select_configILj256ELj13ELNS0_17block_load_methodE3ELS4_3ELS4_3ELNS0_20block_scan_algorithmE0ELj4294967295EEENS1_25partition_config_selectorILNS1_17partition_subalgoE4EjNS0_10empty_typeEbEEZZNS1_14partition_implILS8_4ELb0ES6_15HIP_vector_typeIjLj2EENS0_17counting_iteratorIjlEEPS9_SG_NS0_5tupleIJPjSI_NS0_16reverse_iteratorISI_EEEEENSH_IJSG_SG_SG_EEES9_SI_JZNS1_25segmented_radix_sort_implINS0_14default_configELb1EPKaPaPKlPlN2at6native12_GLOBAL__N_18offset_tEEE10hipError_tPvRmT1_PNSt15iterator_traitsIS12_E10value_typeET2_T3_PNS13_IS18_E10value_typeET4_jRbjT5_S1E_jjP12ihipStream_tbEUljE_ZNSN_ISO_Lb1ESQ_SR_ST_SU_SY_EESZ_S10_S11_S12_S16_S17_S18_S1B_S1C_jS1D_jS1E_S1E_jjS1G_bEUljE0_EEESZ_S10_S11_S18_S1C_S1E_T6_T7_T9_mT8_S1G_bDpT10_ENKUlT_T0_E_clISt17integral_constantIbLb1EES1U_EEDaS1P_S1Q_EUlS1P_E_NS1_11comp_targetILNS1_3genE0ELNS1_11target_archE4294967295ELNS1_3gpuE0ELNS1_3repE0EEENS1_30default_config_static_selectorELNS0_4arch9wavefront6targetE1EEEvS12_,comdat
	.globl	_ZN7rocprim17ROCPRIM_400000_NS6detail17trampoline_kernelINS0_13select_configILj256ELj13ELNS0_17block_load_methodE3ELS4_3ELS4_3ELNS0_20block_scan_algorithmE0ELj4294967295EEENS1_25partition_config_selectorILNS1_17partition_subalgoE4EjNS0_10empty_typeEbEEZZNS1_14partition_implILS8_4ELb0ES6_15HIP_vector_typeIjLj2EENS0_17counting_iteratorIjlEEPS9_SG_NS0_5tupleIJPjSI_NS0_16reverse_iteratorISI_EEEEENSH_IJSG_SG_SG_EEES9_SI_JZNS1_25segmented_radix_sort_implINS0_14default_configELb1EPKaPaPKlPlN2at6native12_GLOBAL__N_18offset_tEEE10hipError_tPvRmT1_PNSt15iterator_traitsIS12_E10value_typeET2_T3_PNS13_IS18_E10value_typeET4_jRbjT5_S1E_jjP12ihipStream_tbEUljE_ZNSN_ISO_Lb1ESQ_SR_ST_SU_SY_EESZ_S10_S11_S12_S16_S17_S18_S1B_S1C_jS1D_jS1E_S1E_jjS1G_bEUljE0_EEESZ_S10_S11_S18_S1C_S1E_T6_T7_T9_mT8_S1G_bDpT10_ENKUlT_T0_E_clISt17integral_constantIbLb1EES1U_EEDaS1P_S1Q_EUlS1P_E_NS1_11comp_targetILNS1_3genE0ELNS1_11target_archE4294967295ELNS1_3gpuE0ELNS1_3repE0EEENS1_30default_config_static_selectorELNS0_4arch9wavefront6targetE1EEEvS12_ ; -- Begin function _ZN7rocprim17ROCPRIM_400000_NS6detail17trampoline_kernelINS0_13select_configILj256ELj13ELNS0_17block_load_methodE3ELS4_3ELS4_3ELNS0_20block_scan_algorithmE0ELj4294967295EEENS1_25partition_config_selectorILNS1_17partition_subalgoE4EjNS0_10empty_typeEbEEZZNS1_14partition_implILS8_4ELb0ES6_15HIP_vector_typeIjLj2EENS0_17counting_iteratorIjlEEPS9_SG_NS0_5tupleIJPjSI_NS0_16reverse_iteratorISI_EEEEENSH_IJSG_SG_SG_EEES9_SI_JZNS1_25segmented_radix_sort_implINS0_14default_configELb1EPKaPaPKlPlN2at6native12_GLOBAL__N_18offset_tEEE10hipError_tPvRmT1_PNSt15iterator_traitsIS12_E10value_typeET2_T3_PNS13_IS18_E10value_typeET4_jRbjT5_S1E_jjP12ihipStream_tbEUljE_ZNSN_ISO_Lb1ESQ_SR_ST_SU_SY_EESZ_S10_S11_S12_S16_S17_S18_S1B_S1C_jS1D_jS1E_S1E_jjS1G_bEUljE0_EEESZ_S10_S11_S18_S1C_S1E_T6_T7_T9_mT8_S1G_bDpT10_ENKUlT_T0_E_clISt17integral_constantIbLb1EES1U_EEDaS1P_S1Q_EUlS1P_E_NS1_11comp_targetILNS1_3genE0ELNS1_11target_archE4294967295ELNS1_3gpuE0ELNS1_3repE0EEENS1_30default_config_static_selectorELNS0_4arch9wavefront6targetE1EEEvS12_
	.p2align	8
	.type	_ZN7rocprim17ROCPRIM_400000_NS6detail17trampoline_kernelINS0_13select_configILj256ELj13ELNS0_17block_load_methodE3ELS4_3ELS4_3ELNS0_20block_scan_algorithmE0ELj4294967295EEENS1_25partition_config_selectorILNS1_17partition_subalgoE4EjNS0_10empty_typeEbEEZZNS1_14partition_implILS8_4ELb0ES6_15HIP_vector_typeIjLj2EENS0_17counting_iteratorIjlEEPS9_SG_NS0_5tupleIJPjSI_NS0_16reverse_iteratorISI_EEEEENSH_IJSG_SG_SG_EEES9_SI_JZNS1_25segmented_radix_sort_implINS0_14default_configELb1EPKaPaPKlPlN2at6native12_GLOBAL__N_18offset_tEEE10hipError_tPvRmT1_PNSt15iterator_traitsIS12_E10value_typeET2_T3_PNS13_IS18_E10value_typeET4_jRbjT5_S1E_jjP12ihipStream_tbEUljE_ZNSN_ISO_Lb1ESQ_SR_ST_SU_SY_EESZ_S10_S11_S12_S16_S17_S18_S1B_S1C_jS1D_jS1E_S1E_jjS1G_bEUljE0_EEESZ_S10_S11_S18_S1C_S1E_T6_T7_T9_mT8_S1G_bDpT10_ENKUlT_T0_E_clISt17integral_constantIbLb1EES1U_EEDaS1P_S1Q_EUlS1P_E_NS1_11comp_targetILNS1_3genE0ELNS1_11target_archE4294967295ELNS1_3gpuE0ELNS1_3repE0EEENS1_30default_config_static_selectorELNS0_4arch9wavefront6targetE1EEEvS12_,@function
_ZN7rocprim17ROCPRIM_400000_NS6detail17trampoline_kernelINS0_13select_configILj256ELj13ELNS0_17block_load_methodE3ELS4_3ELS4_3ELNS0_20block_scan_algorithmE0ELj4294967295EEENS1_25partition_config_selectorILNS1_17partition_subalgoE4EjNS0_10empty_typeEbEEZZNS1_14partition_implILS8_4ELb0ES6_15HIP_vector_typeIjLj2EENS0_17counting_iteratorIjlEEPS9_SG_NS0_5tupleIJPjSI_NS0_16reverse_iteratorISI_EEEEENSH_IJSG_SG_SG_EEES9_SI_JZNS1_25segmented_radix_sort_implINS0_14default_configELb1EPKaPaPKlPlN2at6native12_GLOBAL__N_18offset_tEEE10hipError_tPvRmT1_PNSt15iterator_traitsIS12_E10value_typeET2_T3_PNS13_IS18_E10value_typeET4_jRbjT5_S1E_jjP12ihipStream_tbEUljE_ZNSN_ISO_Lb1ESQ_SR_ST_SU_SY_EESZ_S10_S11_S12_S16_S17_S18_S1B_S1C_jS1D_jS1E_S1E_jjS1G_bEUljE0_EEESZ_S10_S11_S18_S1C_S1E_T6_T7_T9_mT8_S1G_bDpT10_ENKUlT_T0_E_clISt17integral_constantIbLb1EES1U_EEDaS1P_S1Q_EUlS1P_E_NS1_11comp_targetILNS1_3genE0ELNS1_11target_archE4294967295ELNS1_3gpuE0ELNS1_3repE0EEENS1_30default_config_static_selectorELNS0_4arch9wavefront6targetE1EEEvS12_: ; @_ZN7rocprim17ROCPRIM_400000_NS6detail17trampoline_kernelINS0_13select_configILj256ELj13ELNS0_17block_load_methodE3ELS4_3ELS4_3ELNS0_20block_scan_algorithmE0ELj4294967295EEENS1_25partition_config_selectorILNS1_17partition_subalgoE4EjNS0_10empty_typeEbEEZZNS1_14partition_implILS8_4ELb0ES6_15HIP_vector_typeIjLj2EENS0_17counting_iteratorIjlEEPS9_SG_NS0_5tupleIJPjSI_NS0_16reverse_iteratorISI_EEEEENSH_IJSG_SG_SG_EEES9_SI_JZNS1_25segmented_radix_sort_implINS0_14default_configELb1EPKaPaPKlPlN2at6native12_GLOBAL__N_18offset_tEEE10hipError_tPvRmT1_PNSt15iterator_traitsIS12_E10value_typeET2_T3_PNS13_IS18_E10value_typeET4_jRbjT5_S1E_jjP12ihipStream_tbEUljE_ZNSN_ISO_Lb1ESQ_SR_ST_SU_SY_EESZ_S10_S11_S12_S16_S17_S18_S1B_S1C_jS1D_jS1E_S1E_jjS1G_bEUljE0_EEESZ_S10_S11_S18_S1C_S1E_T6_T7_T9_mT8_S1G_bDpT10_ENKUlT_T0_E_clISt17integral_constantIbLb1EES1U_EEDaS1P_S1Q_EUlS1P_E_NS1_11comp_targetILNS1_3genE0ELNS1_11target_archE4294967295ELNS1_3gpuE0ELNS1_3repE0EEENS1_30default_config_static_selectorELNS0_4arch9wavefront6targetE1EEEvS12_
; %bb.0:
	.section	.rodata,"a",@progbits
	.p2align	6, 0x0
	.amdhsa_kernel _ZN7rocprim17ROCPRIM_400000_NS6detail17trampoline_kernelINS0_13select_configILj256ELj13ELNS0_17block_load_methodE3ELS4_3ELS4_3ELNS0_20block_scan_algorithmE0ELj4294967295EEENS1_25partition_config_selectorILNS1_17partition_subalgoE4EjNS0_10empty_typeEbEEZZNS1_14partition_implILS8_4ELb0ES6_15HIP_vector_typeIjLj2EENS0_17counting_iteratorIjlEEPS9_SG_NS0_5tupleIJPjSI_NS0_16reverse_iteratorISI_EEEEENSH_IJSG_SG_SG_EEES9_SI_JZNS1_25segmented_radix_sort_implINS0_14default_configELb1EPKaPaPKlPlN2at6native12_GLOBAL__N_18offset_tEEE10hipError_tPvRmT1_PNSt15iterator_traitsIS12_E10value_typeET2_T3_PNS13_IS18_E10value_typeET4_jRbjT5_S1E_jjP12ihipStream_tbEUljE_ZNSN_ISO_Lb1ESQ_SR_ST_SU_SY_EESZ_S10_S11_S12_S16_S17_S18_S1B_S1C_jS1D_jS1E_S1E_jjS1G_bEUljE0_EEESZ_S10_S11_S18_S1C_S1E_T6_T7_T9_mT8_S1G_bDpT10_ENKUlT_T0_E_clISt17integral_constantIbLb1EES1U_EEDaS1P_S1Q_EUlS1P_E_NS1_11comp_targetILNS1_3genE0ELNS1_11target_archE4294967295ELNS1_3gpuE0ELNS1_3repE0EEENS1_30default_config_static_selectorELNS0_4arch9wavefront6targetE1EEEvS12_
		.amdhsa_group_segment_fixed_size 0
		.amdhsa_private_segment_fixed_size 0
		.amdhsa_kernarg_size 184
		.amdhsa_user_sgpr_count 6
		.amdhsa_user_sgpr_private_segment_buffer 1
		.amdhsa_user_sgpr_dispatch_ptr 0
		.amdhsa_user_sgpr_queue_ptr 0
		.amdhsa_user_sgpr_kernarg_segment_ptr 1
		.amdhsa_user_sgpr_dispatch_id 0
		.amdhsa_user_sgpr_flat_scratch_init 0
		.amdhsa_user_sgpr_private_segment_size 0
		.amdhsa_uses_dynamic_stack 0
		.amdhsa_system_sgpr_private_segment_wavefront_offset 0
		.amdhsa_system_sgpr_workgroup_id_x 1
		.amdhsa_system_sgpr_workgroup_id_y 0
		.amdhsa_system_sgpr_workgroup_id_z 0
		.amdhsa_system_sgpr_workgroup_info 0
		.amdhsa_system_vgpr_workitem_id 0
		.amdhsa_next_free_vgpr 1
		.amdhsa_next_free_sgpr 0
		.amdhsa_reserve_vcc 0
		.amdhsa_reserve_flat_scratch 0
		.amdhsa_float_round_mode_32 0
		.amdhsa_float_round_mode_16_64 0
		.amdhsa_float_denorm_mode_32 3
		.amdhsa_float_denorm_mode_16_64 3
		.amdhsa_dx10_clamp 1
		.amdhsa_ieee_mode 1
		.amdhsa_fp16_overflow 0
		.amdhsa_exception_fp_ieee_invalid_op 0
		.amdhsa_exception_fp_denorm_src 0
		.amdhsa_exception_fp_ieee_div_zero 0
		.amdhsa_exception_fp_ieee_overflow 0
		.amdhsa_exception_fp_ieee_underflow 0
		.amdhsa_exception_fp_ieee_inexact 0
		.amdhsa_exception_int_div_zero 0
	.end_amdhsa_kernel
	.section	.text._ZN7rocprim17ROCPRIM_400000_NS6detail17trampoline_kernelINS0_13select_configILj256ELj13ELNS0_17block_load_methodE3ELS4_3ELS4_3ELNS0_20block_scan_algorithmE0ELj4294967295EEENS1_25partition_config_selectorILNS1_17partition_subalgoE4EjNS0_10empty_typeEbEEZZNS1_14partition_implILS8_4ELb0ES6_15HIP_vector_typeIjLj2EENS0_17counting_iteratorIjlEEPS9_SG_NS0_5tupleIJPjSI_NS0_16reverse_iteratorISI_EEEEENSH_IJSG_SG_SG_EEES9_SI_JZNS1_25segmented_radix_sort_implINS0_14default_configELb1EPKaPaPKlPlN2at6native12_GLOBAL__N_18offset_tEEE10hipError_tPvRmT1_PNSt15iterator_traitsIS12_E10value_typeET2_T3_PNS13_IS18_E10value_typeET4_jRbjT5_S1E_jjP12ihipStream_tbEUljE_ZNSN_ISO_Lb1ESQ_SR_ST_SU_SY_EESZ_S10_S11_S12_S16_S17_S18_S1B_S1C_jS1D_jS1E_S1E_jjS1G_bEUljE0_EEESZ_S10_S11_S18_S1C_S1E_T6_T7_T9_mT8_S1G_bDpT10_ENKUlT_T0_E_clISt17integral_constantIbLb1EES1U_EEDaS1P_S1Q_EUlS1P_E_NS1_11comp_targetILNS1_3genE0ELNS1_11target_archE4294967295ELNS1_3gpuE0ELNS1_3repE0EEENS1_30default_config_static_selectorELNS0_4arch9wavefront6targetE1EEEvS12_,"axG",@progbits,_ZN7rocprim17ROCPRIM_400000_NS6detail17trampoline_kernelINS0_13select_configILj256ELj13ELNS0_17block_load_methodE3ELS4_3ELS4_3ELNS0_20block_scan_algorithmE0ELj4294967295EEENS1_25partition_config_selectorILNS1_17partition_subalgoE4EjNS0_10empty_typeEbEEZZNS1_14partition_implILS8_4ELb0ES6_15HIP_vector_typeIjLj2EENS0_17counting_iteratorIjlEEPS9_SG_NS0_5tupleIJPjSI_NS0_16reverse_iteratorISI_EEEEENSH_IJSG_SG_SG_EEES9_SI_JZNS1_25segmented_radix_sort_implINS0_14default_configELb1EPKaPaPKlPlN2at6native12_GLOBAL__N_18offset_tEEE10hipError_tPvRmT1_PNSt15iterator_traitsIS12_E10value_typeET2_T3_PNS13_IS18_E10value_typeET4_jRbjT5_S1E_jjP12ihipStream_tbEUljE_ZNSN_ISO_Lb1ESQ_SR_ST_SU_SY_EESZ_S10_S11_S12_S16_S17_S18_S1B_S1C_jS1D_jS1E_S1E_jjS1G_bEUljE0_EEESZ_S10_S11_S18_S1C_S1E_T6_T7_T9_mT8_S1G_bDpT10_ENKUlT_T0_E_clISt17integral_constantIbLb1EES1U_EEDaS1P_S1Q_EUlS1P_E_NS1_11comp_targetILNS1_3genE0ELNS1_11target_archE4294967295ELNS1_3gpuE0ELNS1_3repE0EEENS1_30default_config_static_selectorELNS0_4arch9wavefront6targetE1EEEvS12_,comdat
.Lfunc_end234:
	.size	_ZN7rocprim17ROCPRIM_400000_NS6detail17trampoline_kernelINS0_13select_configILj256ELj13ELNS0_17block_load_methodE3ELS4_3ELS4_3ELNS0_20block_scan_algorithmE0ELj4294967295EEENS1_25partition_config_selectorILNS1_17partition_subalgoE4EjNS0_10empty_typeEbEEZZNS1_14partition_implILS8_4ELb0ES6_15HIP_vector_typeIjLj2EENS0_17counting_iteratorIjlEEPS9_SG_NS0_5tupleIJPjSI_NS0_16reverse_iteratorISI_EEEEENSH_IJSG_SG_SG_EEES9_SI_JZNS1_25segmented_radix_sort_implINS0_14default_configELb1EPKaPaPKlPlN2at6native12_GLOBAL__N_18offset_tEEE10hipError_tPvRmT1_PNSt15iterator_traitsIS12_E10value_typeET2_T3_PNS13_IS18_E10value_typeET4_jRbjT5_S1E_jjP12ihipStream_tbEUljE_ZNSN_ISO_Lb1ESQ_SR_ST_SU_SY_EESZ_S10_S11_S12_S16_S17_S18_S1B_S1C_jS1D_jS1E_S1E_jjS1G_bEUljE0_EEESZ_S10_S11_S18_S1C_S1E_T6_T7_T9_mT8_S1G_bDpT10_ENKUlT_T0_E_clISt17integral_constantIbLb1EES1U_EEDaS1P_S1Q_EUlS1P_E_NS1_11comp_targetILNS1_3genE0ELNS1_11target_archE4294967295ELNS1_3gpuE0ELNS1_3repE0EEENS1_30default_config_static_selectorELNS0_4arch9wavefront6targetE1EEEvS12_, .Lfunc_end234-_ZN7rocprim17ROCPRIM_400000_NS6detail17trampoline_kernelINS0_13select_configILj256ELj13ELNS0_17block_load_methodE3ELS4_3ELS4_3ELNS0_20block_scan_algorithmE0ELj4294967295EEENS1_25partition_config_selectorILNS1_17partition_subalgoE4EjNS0_10empty_typeEbEEZZNS1_14partition_implILS8_4ELb0ES6_15HIP_vector_typeIjLj2EENS0_17counting_iteratorIjlEEPS9_SG_NS0_5tupleIJPjSI_NS0_16reverse_iteratorISI_EEEEENSH_IJSG_SG_SG_EEES9_SI_JZNS1_25segmented_radix_sort_implINS0_14default_configELb1EPKaPaPKlPlN2at6native12_GLOBAL__N_18offset_tEEE10hipError_tPvRmT1_PNSt15iterator_traitsIS12_E10value_typeET2_T3_PNS13_IS18_E10value_typeET4_jRbjT5_S1E_jjP12ihipStream_tbEUljE_ZNSN_ISO_Lb1ESQ_SR_ST_SU_SY_EESZ_S10_S11_S12_S16_S17_S18_S1B_S1C_jS1D_jS1E_S1E_jjS1G_bEUljE0_EEESZ_S10_S11_S18_S1C_S1E_T6_T7_T9_mT8_S1G_bDpT10_ENKUlT_T0_E_clISt17integral_constantIbLb1EES1U_EEDaS1P_S1Q_EUlS1P_E_NS1_11comp_targetILNS1_3genE0ELNS1_11target_archE4294967295ELNS1_3gpuE0ELNS1_3repE0EEENS1_30default_config_static_selectorELNS0_4arch9wavefront6targetE1EEEvS12_
                                        ; -- End function
	.set _ZN7rocprim17ROCPRIM_400000_NS6detail17trampoline_kernelINS0_13select_configILj256ELj13ELNS0_17block_load_methodE3ELS4_3ELS4_3ELNS0_20block_scan_algorithmE0ELj4294967295EEENS1_25partition_config_selectorILNS1_17partition_subalgoE4EjNS0_10empty_typeEbEEZZNS1_14partition_implILS8_4ELb0ES6_15HIP_vector_typeIjLj2EENS0_17counting_iteratorIjlEEPS9_SG_NS0_5tupleIJPjSI_NS0_16reverse_iteratorISI_EEEEENSH_IJSG_SG_SG_EEES9_SI_JZNS1_25segmented_radix_sort_implINS0_14default_configELb1EPKaPaPKlPlN2at6native12_GLOBAL__N_18offset_tEEE10hipError_tPvRmT1_PNSt15iterator_traitsIS12_E10value_typeET2_T3_PNS13_IS18_E10value_typeET4_jRbjT5_S1E_jjP12ihipStream_tbEUljE_ZNSN_ISO_Lb1ESQ_SR_ST_SU_SY_EESZ_S10_S11_S12_S16_S17_S18_S1B_S1C_jS1D_jS1E_S1E_jjS1G_bEUljE0_EEESZ_S10_S11_S18_S1C_S1E_T6_T7_T9_mT8_S1G_bDpT10_ENKUlT_T0_E_clISt17integral_constantIbLb1EES1U_EEDaS1P_S1Q_EUlS1P_E_NS1_11comp_targetILNS1_3genE0ELNS1_11target_archE4294967295ELNS1_3gpuE0ELNS1_3repE0EEENS1_30default_config_static_selectorELNS0_4arch9wavefront6targetE1EEEvS12_.num_vgpr, 0
	.set _ZN7rocprim17ROCPRIM_400000_NS6detail17trampoline_kernelINS0_13select_configILj256ELj13ELNS0_17block_load_methodE3ELS4_3ELS4_3ELNS0_20block_scan_algorithmE0ELj4294967295EEENS1_25partition_config_selectorILNS1_17partition_subalgoE4EjNS0_10empty_typeEbEEZZNS1_14partition_implILS8_4ELb0ES6_15HIP_vector_typeIjLj2EENS0_17counting_iteratorIjlEEPS9_SG_NS0_5tupleIJPjSI_NS0_16reverse_iteratorISI_EEEEENSH_IJSG_SG_SG_EEES9_SI_JZNS1_25segmented_radix_sort_implINS0_14default_configELb1EPKaPaPKlPlN2at6native12_GLOBAL__N_18offset_tEEE10hipError_tPvRmT1_PNSt15iterator_traitsIS12_E10value_typeET2_T3_PNS13_IS18_E10value_typeET4_jRbjT5_S1E_jjP12ihipStream_tbEUljE_ZNSN_ISO_Lb1ESQ_SR_ST_SU_SY_EESZ_S10_S11_S12_S16_S17_S18_S1B_S1C_jS1D_jS1E_S1E_jjS1G_bEUljE0_EEESZ_S10_S11_S18_S1C_S1E_T6_T7_T9_mT8_S1G_bDpT10_ENKUlT_T0_E_clISt17integral_constantIbLb1EES1U_EEDaS1P_S1Q_EUlS1P_E_NS1_11comp_targetILNS1_3genE0ELNS1_11target_archE4294967295ELNS1_3gpuE0ELNS1_3repE0EEENS1_30default_config_static_selectorELNS0_4arch9wavefront6targetE1EEEvS12_.num_agpr, 0
	.set _ZN7rocprim17ROCPRIM_400000_NS6detail17trampoline_kernelINS0_13select_configILj256ELj13ELNS0_17block_load_methodE3ELS4_3ELS4_3ELNS0_20block_scan_algorithmE0ELj4294967295EEENS1_25partition_config_selectorILNS1_17partition_subalgoE4EjNS0_10empty_typeEbEEZZNS1_14partition_implILS8_4ELb0ES6_15HIP_vector_typeIjLj2EENS0_17counting_iteratorIjlEEPS9_SG_NS0_5tupleIJPjSI_NS0_16reverse_iteratorISI_EEEEENSH_IJSG_SG_SG_EEES9_SI_JZNS1_25segmented_radix_sort_implINS0_14default_configELb1EPKaPaPKlPlN2at6native12_GLOBAL__N_18offset_tEEE10hipError_tPvRmT1_PNSt15iterator_traitsIS12_E10value_typeET2_T3_PNS13_IS18_E10value_typeET4_jRbjT5_S1E_jjP12ihipStream_tbEUljE_ZNSN_ISO_Lb1ESQ_SR_ST_SU_SY_EESZ_S10_S11_S12_S16_S17_S18_S1B_S1C_jS1D_jS1E_S1E_jjS1G_bEUljE0_EEESZ_S10_S11_S18_S1C_S1E_T6_T7_T9_mT8_S1G_bDpT10_ENKUlT_T0_E_clISt17integral_constantIbLb1EES1U_EEDaS1P_S1Q_EUlS1P_E_NS1_11comp_targetILNS1_3genE0ELNS1_11target_archE4294967295ELNS1_3gpuE0ELNS1_3repE0EEENS1_30default_config_static_selectorELNS0_4arch9wavefront6targetE1EEEvS12_.numbered_sgpr, 0
	.set _ZN7rocprim17ROCPRIM_400000_NS6detail17trampoline_kernelINS0_13select_configILj256ELj13ELNS0_17block_load_methodE3ELS4_3ELS4_3ELNS0_20block_scan_algorithmE0ELj4294967295EEENS1_25partition_config_selectorILNS1_17partition_subalgoE4EjNS0_10empty_typeEbEEZZNS1_14partition_implILS8_4ELb0ES6_15HIP_vector_typeIjLj2EENS0_17counting_iteratorIjlEEPS9_SG_NS0_5tupleIJPjSI_NS0_16reverse_iteratorISI_EEEEENSH_IJSG_SG_SG_EEES9_SI_JZNS1_25segmented_radix_sort_implINS0_14default_configELb1EPKaPaPKlPlN2at6native12_GLOBAL__N_18offset_tEEE10hipError_tPvRmT1_PNSt15iterator_traitsIS12_E10value_typeET2_T3_PNS13_IS18_E10value_typeET4_jRbjT5_S1E_jjP12ihipStream_tbEUljE_ZNSN_ISO_Lb1ESQ_SR_ST_SU_SY_EESZ_S10_S11_S12_S16_S17_S18_S1B_S1C_jS1D_jS1E_S1E_jjS1G_bEUljE0_EEESZ_S10_S11_S18_S1C_S1E_T6_T7_T9_mT8_S1G_bDpT10_ENKUlT_T0_E_clISt17integral_constantIbLb1EES1U_EEDaS1P_S1Q_EUlS1P_E_NS1_11comp_targetILNS1_3genE0ELNS1_11target_archE4294967295ELNS1_3gpuE0ELNS1_3repE0EEENS1_30default_config_static_selectorELNS0_4arch9wavefront6targetE1EEEvS12_.num_named_barrier, 0
	.set _ZN7rocprim17ROCPRIM_400000_NS6detail17trampoline_kernelINS0_13select_configILj256ELj13ELNS0_17block_load_methodE3ELS4_3ELS4_3ELNS0_20block_scan_algorithmE0ELj4294967295EEENS1_25partition_config_selectorILNS1_17partition_subalgoE4EjNS0_10empty_typeEbEEZZNS1_14partition_implILS8_4ELb0ES6_15HIP_vector_typeIjLj2EENS0_17counting_iteratorIjlEEPS9_SG_NS0_5tupleIJPjSI_NS0_16reverse_iteratorISI_EEEEENSH_IJSG_SG_SG_EEES9_SI_JZNS1_25segmented_radix_sort_implINS0_14default_configELb1EPKaPaPKlPlN2at6native12_GLOBAL__N_18offset_tEEE10hipError_tPvRmT1_PNSt15iterator_traitsIS12_E10value_typeET2_T3_PNS13_IS18_E10value_typeET4_jRbjT5_S1E_jjP12ihipStream_tbEUljE_ZNSN_ISO_Lb1ESQ_SR_ST_SU_SY_EESZ_S10_S11_S12_S16_S17_S18_S1B_S1C_jS1D_jS1E_S1E_jjS1G_bEUljE0_EEESZ_S10_S11_S18_S1C_S1E_T6_T7_T9_mT8_S1G_bDpT10_ENKUlT_T0_E_clISt17integral_constantIbLb1EES1U_EEDaS1P_S1Q_EUlS1P_E_NS1_11comp_targetILNS1_3genE0ELNS1_11target_archE4294967295ELNS1_3gpuE0ELNS1_3repE0EEENS1_30default_config_static_selectorELNS0_4arch9wavefront6targetE1EEEvS12_.private_seg_size, 0
	.set _ZN7rocprim17ROCPRIM_400000_NS6detail17trampoline_kernelINS0_13select_configILj256ELj13ELNS0_17block_load_methodE3ELS4_3ELS4_3ELNS0_20block_scan_algorithmE0ELj4294967295EEENS1_25partition_config_selectorILNS1_17partition_subalgoE4EjNS0_10empty_typeEbEEZZNS1_14partition_implILS8_4ELb0ES6_15HIP_vector_typeIjLj2EENS0_17counting_iteratorIjlEEPS9_SG_NS0_5tupleIJPjSI_NS0_16reverse_iteratorISI_EEEEENSH_IJSG_SG_SG_EEES9_SI_JZNS1_25segmented_radix_sort_implINS0_14default_configELb1EPKaPaPKlPlN2at6native12_GLOBAL__N_18offset_tEEE10hipError_tPvRmT1_PNSt15iterator_traitsIS12_E10value_typeET2_T3_PNS13_IS18_E10value_typeET4_jRbjT5_S1E_jjP12ihipStream_tbEUljE_ZNSN_ISO_Lb1ESQ_SR_ST_SU_SY_EESZ_S10_S11_S12_S16_S17_S18_S1B_S1C_jS1D_jS1E_S1E_jjS1G_bEUljE0_EEESZ_S10_S11_S18_S1C_S1E_T6_T7_T9_mT8_S1G_bDpT10_ENKUlT_T0_E_clISt17integral_constantIbLb1EES1U_EEDaS1P_S1Q_EUlS1P_E_NS1_11comp_targetILNS1_3genE0ELNS1_11target_archE4294967295ELNS1_3gpuE0ELNS1_3repE0EEENS1_30default_config_static_selectorELNS0_4arch9wavefront6targetE1EEEvS12_.uses_vcc, 0
	.set _ZN7rocprim17ROCPRIM_400000_NS6detail17trampoline_kernelINS0_13select_configILj256ELj13ELNS0_17block_load_methodE3ELS4_3ELS4_3ELNS0_20block_scan_algorithmE0ELj4294967295EEENS1_25partition_config_selectorILNS1_17partition_subalgoE4EjNS0_10empty_typeEbEEZZNS1_14partition_implILS8_4ELb0ES6_15HIP_vector_typeIjLj2EENS0_17counting_iteratorIjlEEPS9_SG_NS0_5tupleIJPjSI_NS0_16reverse_iteratorISI_EEEEENSH_IJSG_SG_SG_EEES9_SI_JZNS1_25segmented_radix_sort_implINS0_14default_configELb1EPKaPaPKlPlN2at6native12_GLOBAL__N_18offset_tEEE10hipError_tPvRmT1_PNSt15iterator_traitsIS12_E10value_typeET2_T3_PNS13_IS18_E10value_typeET4_jRbjT5_S1E_jjP12ihipStream_tbEUljE_ZNSN_ISO_Lb1ESQ_SR_ST_SU_SY_EESZ_S10_S11_S12_S16_S17_S18_S1B_S1C_jS1D_jS1E_S1E_jjS1G_bEUljE0_EEESZ_S10_S11_S18_S1C_S1E_T6_T7_T9_mT8_S1G_bDpT10_ENKUlT_T0_E_clISt17integral_constantIbLb1EES1U_EEDaS1P_S1Q_EUlS1P_E_NS1_11comp_targetILNS1_3genE0ELNS1_11target_archE4294967295ELNS1_3gpuE0ELNS1_3repE0EEENS1_30default_config_static_selectorELNS0_4arch9wavefront6targetE1EEEvS12_.uses_flat_scratch, 0
	.set _ZN7rocprim17ROCPRIM_400000_NS6detail17trampoline_kernelINS0_13select_configILj256ELj13ELNS0_17block_load_methodE3ELS4_3ELS4_3ELNS0_20block_scan_algorithmE0ELj4294967295EEENS1_25partition_config_selectorILNS1_17partition_subalgoE4EjNS0_10empty_typeEbEEZZNS1_14partition_implILS8_4ELb0ES6_15HIP_vector_typeIjLj2EENS0_17counting_iteratorIjlEEPS9_SG_NS0_5tupleIJPjSI_NS0_16reverse_iteratorISI_EEEEENSH_IJSG_SG_SG_EEES9_SI_JZNS1_25segmented_radix_sort_implINS0_14default_configELb1EPKaPaPKlPlN2at6native12_GLOBAL__N_18offset_tEEE10hipError_tPvRmT1_PNSt15iterator_traitsIS12_E10value_typeET2_T3_PNS13_IS18_E10value_typeET4_jRbjT5_S1E_jjP12ihipStream_tbEUljE_ZNSN_ISO_Lb1ESQ_SR_ST_SU_SY_EESZ_S10_S11_S12_S16_S17_S18_S1B_S1C_jS1D_jS1E_S1E_jjS1G_bEUljE0_EEESZ_S10_S11_S18_S1C_S1E_T6_T7_T9_mT8_S1G_bDpT10_ENKUlT_T0_E_clISt17integral_constantIbLb1EES1U_EEDaS1P_S1Q_EUlS1P_E_NS1_11comp_targetILNS1_3genE0ELNS1_11target_archE4294967295ELNS1_3gpuE0ELNS1_3repE0EEENS1_30default_config_static_selectorELNS0_4arch9wavefront6targetE1EEEvS12_.has_dyn_sized_stack, 0
	.set _ZN7rocprim17ROCPRIM_400000_NS6detail17trampoline_kernelINS0_13select_configILj256ELj13ELNS0_17block_load_methodE3ELS4_3ELS4_3ELNS0_20block_scan_algorithmE0ELj4294967295EEENS1_25partition_config_selectorILNS1_17partition_subalgoE4EjNS0_10empty_typeEbEEZZNS1_14partition_implILS8_4ELb0ES6_15HIP_vector_typeIjLj2EENS0_17counting_iteratorIjlEEPS9_SG_NS0_5tupleIJPjSI_NS0_16reverse_iteratorISI_EEEEENSH_IJSG_SG_SG_EEES9_SI_JZNS1_25segmented_radix_sort_implINS0_14default_configELb1EPKaPaPKlPlN2at6native12_GLOBAL__N_18offset_tEEE10hipError_tPvRmT1_PNSt15iterator_traitsIS12_E10value_typeET2_T3_PNS13_IS18_E10value_typeET4_jRbjT5_S1E_jjP12ihipStream_tbEUljE_ZNSN_ISO_Lb1ESQ_SR_ST_SU_SY_EESZ_S10_S11_S12_S16_S17_S18_S1B_S1C_jS1D_jS1E_S1E_jjS1G_bEUljE0_EEESZ_S10_S11_S18_S1C_S1E_T6_T7_T9_mT8_S1G_bDpT10_ENKUlT_T0_E_clISt17integral_constantIbLb1EES1U_EEDaS1P_S1Q_EUlS1P_E_NS1_11comp_targetILNS1_3genE0ELNS1_11target_archE4294967295ELNS1_3gpuE0ELNS1_3repE0EEENS1_30default_config_static_selectorELNS0_4arch9wavefront6targetE1EEEvS12_.has_recursion, 0
	.set _ZN7rocprim17ROCPRIM_400000_NS6detail17trampoline_kernelINS0_13select_configILj256ELj13ELNS0_17block_load_methodE3ELS4_3ELS4_3ELNS0_20block_scan_algorithmE0ELj4294967295EEENS1_25partition_config_selectorILNS1_17partition_subalgoE4EjNS0_10empty_typeEbEEZZNS1_14partition_implILS8_4ELb0ES6_15HIP_vector_typeIjLj2EENS0_17counting_iteratorIjlEEPS9_SG_NS0_5tupleIJPjSI_NS0_16reverse_iteratorISI_EEEEENSH_IJSG_SG_SG_EEES9_SI_JZNS1_25segmented_radix_sort_implINS0_14default_configELb1EPKaPaPKlPlN2at6native12_GLOBAL__N_18offset_tEEE10hipError_tPvRmT1_PNSt15iterator_traitsIS12_E10value_typeET2_T3_PNS13_IS18_E10value_typeET4_jRbjT5_S1E_jjP12ihipStream_tbEUljE_ZNSN_ISO_Lb1ESQ_SR_ST_SU_SY_EESZ_S10_S11_S12_S16_S17_S18_S1B_S1C_jS1D_jS1E_S1E_jjS1G_bEUljE0_EEESZ_S10_S11_S18_S1C_S1E_T6_T7_T9_mT8_S1G_bDpT10_ENKUlT_T0_E_clISt17integral_constantIbLb1EES1U_EEDaS1P_S1Q_EUlS1P_E_NS1_11comp_targetILNS1_3genE0ELNS1_11target_archE4294967295ELNS1_3gpuE0ELNS1_3repE0EEENS1_30default_config_static_selectorELNS0_4arch9wavefront6targetE1EEEvS12_.has_indirect_call, 0
	.section	.AMDGPU.csdata,"",@progbits
; Kernel info:
; codeLenInByte = 0
; TotalNumSgprs: 4
; NumVgprs: 0
; ScratchSize: 0
; MemoryBound: 0
; FloatMode: 240
; IeeeMode: 1
; LDSByteSize: 0 bytes/workgroup (compile time only)
; SGPRBlocks: 0
; VGPRBlocks: 0
; NumSGPRsForWavesPerEU: 4
; NumVGPRsForWavesPerEU: 1
; Occupancy: 10
; WaveLimiterHint : 0
; COMPUTE_PGM_RSRC2:SCRATCH_EN: 0
; COMPUTE_PGM_RSRC2:USER_SGPR: 6
; COMPUTE_PGM_RSRC2:TRAP_HANDLER: 0
; COMPUTE_PGM_RSRC2:TGID_X_EN: 1
; COMPUTE_PGM_RSRC2:TGID_Y_EN: 0
; COMPUTE_PGM_RSRC2:TGID_Z_EN: 0
; COMPUTE_PGM_RSRC2:TIDIG_COMP_CNT: 0
	.section	.text._ZN7rocprim17ROCPRIM_400000_NS6detail17trampoline_kernelINS0_13select_configILj256ELj13ELNS0_17block_load_methodE3ELS4_3ELS4_3ELNS0_20block_scan_algorithmE0ELj4294967295EEENS1_25partition_config_selectorILNS1_17partition_subalgoE4EjNS0_10empty_typeEbEEZZNS1_14partition_implILS8_4ELb0ES6_15HIP_vector_typeIjLj2EENS0_17counting_iteratorIjlEEPS9_SG_NS0_5tupleIJPjSI_NS0_16reverse_iteratorISI_EEEEENSH_IJSG_SG_SG_EEES9_SI_JZNS1_25segmented_radix_sort_implINS0_14default_configELb1EPKaPaPKlPlN2at6native12_GLOBAL__N_18offset_tEEE10hipError_tPvRmT1_PNSt15iterator_traitsIS12_E10value_typeET2_T3_PNS13_IS18_E10value_typeET4_jRbjT5_S1E_jjP12ihipStream_tbEUljE_ZNSN_ISO_Lb1ESQ_SR_ST_SU_SY_EESZ_S10_S11_S12_S16_S17_S18_S1B_S1C_jS1D_jS1E_S1E_jjS1G_bEUljE0_EEESZ_S10_S11_S18_S1C_S1E_T6_T7_T9_mT8_S1G_bDpT10_ENKUlT_T0_E_clISt17integral_constantIbLb1EES1U_EEDaS1P_S1Q_EUlS1P_E_NS1_11comp_targetILNS1_3genE5ELNS1_11target_archE942ELNS1_3gpuE9ELNS1_3repE0EEENS1_30default_config_static_selectorELNS0_4arch9wavefront6targetE1EEEvS12_,"axG",@progbits,_ZN7rocprim17ROCPRIM_400000_NS6detail17trampoline_kernelINS0_13select_configILj256ELj13ELNS0_17block_load_methodE3ELS4_3ELS4_3ELNS0_20block_scan_algorithmE0ELj4294967295EEENS1_25partition_config_selectorILNS1_17partition_subalgoE4EjNS0_10empty_typeEbEEZZNS1_14partition_implILS8_4ELb0ES6_15HIP_vector_typeIjLj2EENS0_17counting_iteratorIjlEEPS9_SG_NS0_5tupleIJPjSI_NS0_16reverse_iteratorISI_EEEEENSH_IJSG_SG_SG_EEES9_SI_JZNS1_25segmented_radix_sort_implINS0_14default_configELb1EPKaPaPKlPlN2at6native12_GLOBAL__N_18offset_tEEE10hipError_tPvRmT1_PNSt15iterator_traitsIS12_E10value_typeET2_T3_PNS13_IS18_E10value_typeET4_jRbjT5_S1E_jjP12ihipStream_tbEUljE_ZNSN_ISO_Lb1ESQ_SR_ST_SU_SY_EESZ_S10_S11_S12_S16_S17_S18_S1B_S1C_jS1D_jS1E_S1E_jjS1G_bEUljE0_EEESZ_S10_S11_S18_S1C_S1E_T6_T7_T9_mT8_S1G_bDpT10_ENKUlT_T0_E_clISt17integral_constantIbLb1EES1U_EEDaS1P_S1Q_EUlS1P_E_NS1_11comp_targetILNS1_3genE5ELNS1_11target_archE942ELNS1_3gpuE9ELNS1_3repE0EEENS1_30default_config_static_selectorELNS0_4arch9wavefront6targetE1EEEvS12_,comdat
	.globl	_ZN7rocprim17ROCPRIM_400000_NS6detail17trampoline_kernelINS0_13select_configILj256ELj13ELNS0_17block_load_methodE3ELS4_3ELS4_3ELNS0_20block_scan_algorithmE0ELj4294967295EEENS1_25partition_config_selectorILNS1_17partition_subalgoE4EjNS0_10empty_typeEbEEZZNS1_14partition_implILS8_4ELb0ES6_15HIP_vector_typeIjLj2EENS0_17counting_iteratorIjlEEPS9_SG_NS0_5tupleIJPjSI_NS0_16reverse_iteratorISI_EEEEENSH_IJSG_SG_SG_EEES9_SI_JZNS1_25segmented_radix_sort_implINS0_14default_configELb1EPKaPaPKlPlN2at6native12_GLOBAL__N_18offset_tEEE10hipError_tPvRmT1_PNSt15iterator_traitsIS12_E10value_typeET2_T3_PNS13_IS18_E10value_typeET4_jRbjT5_S1E_jjP12ihipStream_tbEUljE_ZNSN_ISO_Lb1ESQ_SR_ST_SU_SY_EESZ_S10_S11_S12_S16_S17_S18_S1B_S1C_jS1D_jS1E_S1E_jjS1G_bEUljE0_EEESZ_S10_S11_S18_S1C_S1E_T6_T7_T9_mT8_S1G_bDpT10_ENKUlT_T0_E_clISt17integral_constantIbLb1EES1U_EEDaS1P_S1Q_EUlS1P_E_NS1_11comp_targetILNS1_3genE5ELNS1_11target_archE942ELNS1_3gpuE9ELNS1_3repE0EEENS1_30default_config_static_selectorELNS0_4arch9wavefront6targetE1EEEvS12_ ; -- Begin function _ZN7rocprim17ROCPRIM_400000_NS6detail17trampoline_kernelINS0_13select_configILj256ELj13ELNS0_17block_load_methodE3ELS4_3ELS4_3ELNS0_20block_scan_algorithmE0ELj4294967295EEENS1_25partition_config_selectorILNS1_17partition_subalgoE4EjNS0_10empty_typeEbEEZZNS1_14partition_implILS8_4ELb0ES6_15HIP_vector_typeIjLj2EENS0_17counting_iteratorIjlEEPS9_SG_NS0_5tupleIJPjSI_NS0_16reverse_iteratorISI_EEEEENSH_IJSG_SG_SG_EEES9_SI_JZNS1_25segmented_radix_sort_implINS0_14default_configELb1EPKaPaPKlPlN2at6native12_GLOBAL__N_18offset_tEEE10hipError_tPvRmT1_PNSt15iterator_traitsIS12_E10value_typeET2_T3_PNS13_IS18_E10value_typeET4_jRbjT5_S1E_jjP12ihipStream_tbEUljE_ZNSN_ISO_Lb1ESQ_SR_ST_SU_SY_EESZ_S10_S11_S12_S16_S17_S18_S1B_S1C_jS1D_jS1E_S1E_jjS1G_bEUljE0_EEESZ_S10_S11_S18_S1C_S1E_T6_T7_T9_mT8_S1G_bDpT10_ENKUlT_T0_E_clISt17integral_constantIbLb1EES1U_EEDaS1P_S1Q_EUlS1P_E_NS1_11comp_targetILNS1_3genE5ELNS1_11target_archE942ELNS1_3gpuE9ELNS1_3repE0EEENS1_30default_config_static_selectorELNS0_4arch9wavefront6targetE1EEEvS12_
	.p2align	8
	.type	_ZN7rocprim17ROCPRIM_400000_NS6detail17trampoline_kernelINS0_13select_configILj256ELj13ELNS0_17block_load_methodE3ELS4_3ELS4_3ELNS0_20block_scan_algorithmE0ELj4294967295EEENS1_25partition_config_selectorILNS1_17partition_subalgoE4EjNS0_10empty_typeEbEEZZNS1_14partition_implILS8_4ELb0ES6_15HIP_vector_typeIjLj2EENS0_17counting_iteratorIjlEEPS9_SG_NS0_5tupleIJPjSI_NS0_16reverse_iteratorISI_EEEEENSH_IJSG_SG_SG_EEES9_SI_JZNS1_25segmented_radix_sort_implINS0_14default_configELb1EPKaPaPKlPlN2at6native12_GLOBAL__N_18offset_tEEE10hipError_tPvRmT1_PNSt15iterator_traitsIS12_E10value_typeET2_T3_PNS13_IS18_E10value_typeET4_jRbjT5_S1E_jjP12ihipStream_tbEUljE_ZNSN_ISO_Lb1ESQ_SR_ST_SU_SY_EESZ_S10_S11_S12_S16_S17_S18_S1B_S1C_jS1D_jS1E_S1E_jjS1G_bEUljE0_EEESZ_S10_S11_S18_S1C_S1E_T6_T7_T9_mT8_S1G_bDpT10_ENKUlT_T0_E_clISt17integral_constantIbLb1EES1U_EEDaS1P_S1Q_EUlS1P_E_NS1_11comp_targetILNS1_3genE5ELNS1_11target_archE942ELNS1_3gpuE9ELNS1_3repE0EEENS1_30default_config_static_selectorELNS0_4arch9wavefront6targetE1EEEvS12_,@function
_ZN7rocprim17ROCPRIM_400000_NS6detail17trampoline_kernelINS0_13select_configILj256ELj13ELNS0_17block_load_methodE3ELS4_3ELS4_3ELNS0_20block_scan_algorithmE0ELj4294967295EEENS1_25partition_config_selectorILNS1_17partition_subalgoE4EjNS0_10empty_typeEbEEZZNS1_14partition_implILS8_4ELb0ES6_15HIP_vector_typeIjLj2EENS0_17counting_iteratorIjlEEPS9_SG_NS0_5tupleIJPjSI_NS0_16reverse_iteratorISI_EEEEENSH_IJSG_SG_SG_EEES9_SI_JZNS1_25segmented_radix_sort_implINS0_14default_configELb1EPKaPaPKlPlN2at6native12_GLOBAL__N_18offset_tEEE10hipError_tPvRmT1_PNSt15iterator_traitsIS12_E10value_typeET2_T3_PNS13_IS18_E10value_typeET4_jRbjT5_S1E_jjP12ihipStream_tbEUljE_ZNSN_ISO_Lb1ESQ_SR_ST_SU_SY_EESZ_S10_S11_S12_S16_S17_S18_S1B_S1C_jS1D_jS1E_S1E_jjS1G_bEUljE0_EEESZ_S10_S11_S18_S1C_S1E_T6_T7_T9_mT8_S1G_bDpT10_ENKUlT_T0_E_clISt17integral_constantIbLb1EES1U_EEDaS1P_S1Q_EUlS1P_E_NS1_11comp_targetILNS1_3genE5ELNS1_11target_archE942ELNS1_3gpuE9ELNS1_3repE0EEENS1_30default_config_static_selectorELNS0_4arch9wavefront6targetE1EEEvS12_: ; @_ZN7rocprim17ROCPRIM_400000_NS6detail17trampoline_kernelINS0_13select_configILj256ELj13ELNS0_17block_load_methodE3ELS4_3ELS4_3ELNS0_20block_scan_algorithmE0ELj4294967295EEENS1_25partition_config_selectorILNS1_17partition_subalgoE4EjNS0_10empty_typeEbEEZZNS1_14partition_implILS8_4ELb0ES6_15HIP_vector_typeIjLj2EENS0_17counting_iteratorIjlEEPS9_SG_NS0_5tupleIJPjSI_NS0_16reverse_iteratorISI_EEEEENSH_IJSG_SG_SG_EEES9_SI_JZNS1_25segmented_radix_sort_implINS0_14default_configELb1EPKaPaPKlPlN2at6native12_GLOBAL__N_18offset_tEEE10hipError_tPvRmT1_PNSt15iterator_traitsIS12_E10value_typeET2_T3_PNS13_IS18_E10value_typeET4_jRbjT5_S1E_jjP12ihipStream_tbEUljE_ZNSN_ISO_Lb1ESQ_SR_ST_SU_SY_EESZ_S10_S11_S12_S16_S17_S18_S1B_S1C_jS1D_jS1E_S1E_jjS1G_bEUljE0_EEESZ_S10_S11_S18_S1C_S1E_T6_T7_T9_mT8_S1G_bDpT10_ENKUlT_T0_E_clISt17integral_constantIbLb1EES1U_EEDaS1P_S1Q_EUlS1P_E_NS1_11comp_targetILNS1_3genE5ELNS1_11target_archE942ELNS1_3gpuE9ELNS1_3repE0EEENS1_30default_config_static_selectorELNS0_4arch9wavefront6targetE1EEEvS12_
; %bb.0:
	.section	.rodata,"a",@progbits
	.p2align	6, 0x0
	.amdhsa_kernel _ZN7rocprim17ROCPRIM_400000_NS6detail17trampoline_kernelINS0_13select_configILj256ELj13ELNS0_17block_load_methodE3ELS4_3ELS4_3ELNS0_20block_scan_algorithmE0ELj4294967295EEENS1_25partition_config_selectorILNS1_17partition_subalgoE4EjNS0_10empty_typeEbEEZZNS1_14partition_implILS8_4ELb0ES6_15HIP_vector_typeIjLj2EENS0_17counting_iteratorIjlEEPS9_SG_NS0_5tupleIJPjSI_NS0_16reverse_iteratorISI_EEEEENSH_IJSG_SG_SG_EEES9_SI_JZNS1_25segmented_radix_sort_implINS0_14default_configELb1EPKaPaPKlPlN2at6native12_GLOBAL__N_18offset_tEEE10hipError_tPvRmT1_PNSt15iterator_traitsIS12_E10value_typeET2_T3_PNS13_IS18_E10value_typeET4_jRbjT5_S1E_jjP12ihipStream_tbEUljE_ZNSN_ISO_Lb1ESQ_SR_ST_SU_SY_EESZ_S10_S11_S12_S16_S17_S18_S1B_S1C_jS1D_jS1E_S1E_jjS1G_bEUljE0_EEESZ_S10_S11_S18_S1C_S1E_T6_T7_T9_mT8_S1G_bDpT10_ENKUlT_T0_E_clISt17integral_constantIbLb1EES1U_EEDaS1P_S1Q_EUlS1P_E_NS1_11comp_targetILNS1_3genE5ELNS1_11target_archE942ELNS1_3gpuE9ELNS1_3repE0EEENS1_30default_config_static_selectorELNS0_4arch9wavefront6targetE1EEEvS12_
		.amdhsa_group_segment_fixed_size 0
		.amdhsa_private_segment_fixed_size 0
		.amdhsa_kernarg_size 184
		.amdhsa_user_sgpr_count 6
		.amdhsa_user_sgpr_private_segment_buffer 1
		.amdhsa_user_sgpr_dispatch_ptr 0
		.amdhsa_user_sgpr_queue_ptr 0
		.amdhsa_user_sgpr_kernarg_segment_ptr 1
		.amdhsa_user_sgpr_dispatch_id 0
		.amdhsa_user_sgpr_flat_scratch_init 0
		.amdhsa_user_sgpr_private_segment_size 0
		.amdhsa_uses_dynamic_stack 0
		.amdhsa_system_sgpr_private_segment_wavefront_offset 0
		.amdhsa_system_sgpr_workgroup_id_x 1
		.amdhsa_system_sgpr_workgroup_id_y 0
		.amdhsa_system_sgpr_workgroup_id_z 0
		.amdhsa_system_sgpr_workgroup_info 0
		.amdhsa_system_vgpr_workitem_id 0
		.amdhsa_next_free_vgpr 1
		.amdhsa_next_free_sgpr 0
		.amdhsa_reserve_vcc 0
		.amdhsa_reserve_flat_scratch 0
		.amdhsa_float_round_mode_32 0
		.amdhsa_float_round_mode_16_64 0
		.amdhsa_float_denorm_mode_32 3
		.amdhsa_float_denorm_mode_16_64 3
		.amdhsa_dx10_clamp 1
		.amdhsa_ieee_mode 1
		.amdhsa_fp16_overflow 0
		.amdhsa_exception_fp_ieee_invalid_op 0
		.amdhsa_exception_fp_denorm_src 0
		.amdhsa_exception_fp_ieee_div_zero 0
		.amdhsa_exception_fp_ieee_overflow 0
		.amdhsa_exception_fp_ieee_underflow 0
		.amdhsa_exception_fp_ieee_inexact 0
		.amdhsa_exception_int_div_zero 0
	.end_amdhsa_kernel
	.section	.text._ZN7rocprim17ROCPRIM_400000_NS6detail17trampoline_kernelINS0_13select_configILj256ELj13ELNS0_17block_load_methodE3ELS4_3ELS4_3ELNS0_20block_scan_algorithmE0ELj4294967295EEENS1_25partition_config_selectorILNS1_17partition_subalgoE4EjNS0_10empty_typeEbEEZZNS1_14partition_implILS8_4ELb0ES6_15HIP_vector_typeIjLj2EENS0_17counting_iteratorIjlEEPS9_SG_NS0_5tupleIJPjSI_NS0_16reverse_iteratorISI_EEEEENSH_IJSG_SG_SG_EEES9_SI_JZNS1_25segmented_radix_sort_implINS0_14default_configELb1EPKaPaPKlPlN2at6native12_GLOBAL__N_18offset_tEEE10hipError_tPvRmT1_PNSt15iterator_traitsIS12_E10value_typeET2_T3_PNS13_IS18_E10value_typeET4_jRbjT5_S1E_jjP12ihipStream_tbEUljE_ZNSN_ISO_Lb1ESQ_SR_ST_SU_SY_EESZ_S10_S11_S12_S16_S17_S18_S1B_S1C_jS1D_jS1E_S1E_jjS1G_bEUljE0_EEESZ_S10_S11_S18_S1C_S1E_T6_T7_T9_mT8_S1G_bDpT10_ENKUlT_T0_E_clISt17integral_constantIbLb1EES1U_EEDaS1P_S1Q_EUlS1P_E_NS1_11comp_targetILNS1_3genE5ELNS1_11target_archE942ELNS1_3gpuE9ELNS1_3repE0EEENS1_30default_config_static_selectorELNS0_4arch9wavefront6targetE1EEEvS12_,"axG",@progbits,_ZN7rocprim17ROCPRIM_400000_NS6detail17trampoline_kernelINS0_13select_configILj256ELj13ELNS0_17block_load_methodE3ELS4_3ELS4_3ELNS0_20block_scan_algorithmE0ELj4294967295EEENS1_25partition_config_selectorILNS1_17partition_subalgoE4EjNS0_10empty_typeEbEEZZNS1_14partition_implILS8_4ELb0ES6_15HIP_vector_typeIjLj2EENS0_17counting_iteratorIjlEEPS9_SG_NS0_5tupleIJPjSI_NS0_16reverse_iteratorISI_EEEEENSH_IJSG_SG_SG_EEES9_SI_JZNS1_25segmented_radix_sort_implINS0_14default_configELb1EPKaPaPKlPlN2at6native12_GLOBAL__N_18offset_tEEE10hipError_tPvRmT1_PNSt15iterator_traitsIS12_E10value_typeET2_T3_PNS13_IS18_E10value_typeET4_jRbjT5_S1E_jjP12ihipStream_tbEUljE_ZNSN_ISO_Lb1ESQ_SR_ST_SU_SY_EESZ_S10_S11_S12_S16_S17_S18_S1B_S1C_jS1D_jS1E_S1E_jjS1G_bEUljE0_EEESZ_S10_S11_S18_S1C_S1E_T6_T7_T9_mT8_S1G_bDpT10_ENKUlT_T0_E_clISt17integral_constantIbLb1EES1U_EEDaS1P_S1Q_EUlS1P_E_NS1_11comp_targetILNS1_3genE5ELNS1_11target_archE942ELNS1_3gpuE9ELNS1_3repE0EEENS1_30default_config_static_selectorELNS0_4arch9wavefront6targetE1EEEvS12_,comdat
.Lfunc_end235:
	.size	_ZN7rocprim17ROCPRIM_400000_NS6detail17trampoline_kernelINS0_13select_configILj256ELj13ELNS0_17block_load_methodE3ELS4_3ELS4_3ELNS0_20block_scan_algorithmE0ELj4294967295EEENS1_25partition_config_selectorILNS1_17partition_subalgoE4EjNS0_10empty_typeEbEEZZNS1_14partition_implILS8_4ELb0ES6_15HIP_vector_typeIjLj2EENS0_17counting_iteratorIjlEEPS9_SG_NS0_5tupleIJPjSI_NS0_16reverse_iteratorISI_EEEEENSH_IJSG_SG_SG_EEES9_SI_JZNS1_25segmented_radix_sort_implINS0_14default_configELb1EPKaPaPKlPlN2at6native12_GLOBAL__N_18offset_tEEE10hipError_tPvRmT1_PNSt15iterator_traitsIS12_E10value_typeET2_T3_PNS13_IS18_E10value_typeET4_jRbjT5_S1E_jjP12ihipStream_tbEUljE_ZNSN_ISO_Lb1ESQ_SR_ST_SU_SY_EESZ_S10_S11_S12_S16_S17_S18_S1B_S1C_jS1D_jS1E_S1E_jjS1G_bEUljE0_EEESZ_S10_S11_S18_S1C_S1E_T6_T7_T9_mT8_S1G_bDpT10_ENKUlT_T0_E_clISt17integral_constantIbLb1EES1U_EEDaS1P_S1Q_EUlS1P_E_NS1_11comp_targetILNS1_3genE5ELNS1_11target_archE942ELNS1_3gpuE9ELNS1_3repE0EEENS1_30default_config_static_selectorELNS0_4arch9wavefront6targetE1EEEvS12_, .Lfunc_end235-_ZN7rocprim17ROCPRIM_400000_NS6detail17trampoline_kernelINS0_13select_configILj256ELj13ELNS0_17block_load_methodE3ELS4_3ELS4_3ELNS0_20block_scan_algorithmE0ELj4294967295EEENS1_25partition_config_selectorILNS1_17partition_subalgoE4EjNS0_10empty_typeEbEEZZNS1_14partition_implILS8_4ELb0ES6_15HIP_vector_typeIjLj2EENS0_17counting_iteratorIjlEEPS9_SG_NS0_5tupleIJPjSI_NS0_16reverse_iteratorISI_EEEEENSH_IJSG_SG_SG_EEES9_SI_JZNS1_25segmented_radix_sort_implINS0_14default_configELb1EPKaPaPKlPlN2at6native12_GLOBAL__N_18offset_tEEE10hipError_tPvRmT1_PNSt15iterator_traitsIS12_E10value_typeET2_T3_PNS13_IS18_E10value_typeET4_jRbjT5_S1E_jjP12ihipStream_tbEUljE_ZNSN_ISO_Lb1ESQ_SR_ST_SU_SY_EESZ_S10_S11_S12_S16_S17_S18_S1B_S1C_jS1D_jS1E_S1E_jjS1G_bEUljE0_EEESZ_S10_S11_S18_S1C_S1E_T6_T7_T9_mT8_S1G_bDpT10_ENKUlT_T0_E_clISt17integral_constantIbLb1EES1U_EEDaS1P_S1Q_EUlS1P_E_NS1_11comp_targetILNS1_3genE5ELNS1_11target_archE942ELNS1_3gpuE9ELNS1_3repE0EEENS1_30default_config_static_selectorELNS0_4arch9wavefront6targetE1EEEvS12_
                                        ; -- End function
	.set _ZN7rocprim17ROCPRIM_400000_NS6detail17trampoline_kernelINS0_13select_configILj256ELj13ELNS0_17block_load_methodE3ELS4_3ELS4_3ELNS0_20block_scan_algorithmE0ELj4294967295EEENS1_25partition_config_selectorILNS1_17partition_subalgoE4EjNS0_10empty_typeEbEEZZNS1_14partition_implILS8_4ELb0ES6_15HIP_vector_typeIjLj2EENS0_17counting_iteratorIjlEEPS9_SG_NS0_5tupleIJPjSI_NS0_16reverse_iteratorISI_EEEEENSH_IJSG_SG_SG_EEES9_SI_JZNS1_25segmented_radix_sort_implINS0_14default_configELb1EPKaPaPKlPlN2at6native12_GLOBAL__N_18offset_tEEE10hipError_tPvRmT1_PNSt15iterator_traitsIS12_E10value_typeET2_T3_PNS13_IS18_E10value_typeET4_jRbjT5_S1E_jjP12ihipStream_tbEUljE_ZNSN_ISO_Lb1ESQ_SR_ST_SU_SY_EESZ_S10_S11_S12_S16_S17_S18_S1B_S1C_jS1D_jS1E_S1E_jjS1G_bEUljE0_EEESZ_S10_S11_S18_S1C_S1E_T6_T7_T9_mT8_S1G_bDpT10_ENKUlT_T0_E_clISt17integral_constantIbLb1EES1U_EEDaS1P_S1Q_EUlS1P_E_NS1_11comp_targetILNS1_3genE5ELNS1_11target_archE942ELNS1_3gpuE9ELNS1_3repE0EEENS1_30default_config_static_selectorELNS0_4arch9wavefront6targetE1EEEvS12_.num_vgpr, 0
	.set _ZN7rocprim17ROCPRIM_400000_NS6detail17trampoline_kernelINS0_13select_configILj256ELj13ELNS0_17block_load_methodE3ELS4_3ELS4_3ELNS0_20block_scan_algorithmE0ELj4294967295EEENS1_25partition_config_selectorILNS1_17partition_subalgoE4EjNS0_10empty_typeEbEEZZNS1_14partition_implILS8_4ELb0ES6_15HIP_vector_typeIjLj2EENS0_17counting_iteratorIjlEEPS9_SG_NS0_5tupleIJPjSI_NS0_16reverse_iteratorISI_EEEEENSH_IJSG_SG_SG_EEES9_SI_JZNS1_25segmented_radix_sort_implINS0_14default_configELb1EPKaPaPKlPlN2at6native12_GLOBAL__N_18offset_tEEE10hipError_tPvRmT1_PNSt15iterator_traitsIS12_E10value_typeET2_T3_PNS13_IS18_E10value_typeET4_jRbjT5_S1E_jjP12ihipStream_tbEUljE_ZNSN_ISO_Lb1ESQ_SR_ST_SU_SY_EESZ_S10_S11_S12_S16_S17_S18_S1B_S1C_jS1D_jS1E_S1E_jjS1G_bEUljE0_EEESZ_S10_S11_S18_S1C_S1E_T6_T7_T9_mT8_S1G_bDpT10_ENKUlT_T0_E_clISt17integral_constantIbLb1EES1U_EEDaS1P_S1Q_EUlS1P_E_NS1_11comp_targetILNS1_3genE5ELNS1_11target_archE942ELNS1_3gpuE9ELNS1_3repE0EEENS1_30default_config_static_selectorELNS0_4arch9wavefront6targetE1EEEvS12_.num_agpr, 0
	.set _ZN7rocprim17ROCPRIM_400000_NS6detail17trampoline_kernelINS0_13select_configILj256ELj13ELNS0_17block_load_methodE3ELS4_3ELS4_3ELNS0_20block_scan_algorithmE0ELj4294967295EEENS1_25partition_config_selectorILNS1_17partition_subalgoE4EjNS0_10empty_typeEbEEZZNS1_14partition_implILS8_4ELb0ES6_15HIP_vector_typeIjLj2EENS0_17counting_iteratorIjlEEPS9_SG_NS0_5tupleIJPjSI_NS0_16reverse_iteratorISI_EEEEENSH_IJSG_SG_SG_EEES9_SI_JZNS1_25segmented_radix_sort_implINS0_14default_configELb1EPKaPaPKlPlN2at6native12_GLOBAL__N_18offset_tEEE10hipError_tPvRmT1_PNSt15iterator_traitsIS12_E10value_typeET2_T3_PNS13_IS18_E10value_typeET4_jRbjT5_S1E_jjP12ihipStream_tbEUljE_ZNSN_ISO_Lb1ESQ_SR_ST_SU_SY_EESZ_S10_S11_S12_S16_S17_S18_S1B_S1C_jS1D_jS1E_S1E_jjS1G_bEUljE0_EEESZ_S10_S11_S18_S1C_S1E_T6_T7_T9_mT8_S1G_bDpT10_ENKUlT_T0_E_clISt17integral_constantIbLb1EES1U_EEDaS1P_S1Q_EUlS1P_E_NS1_11comp_targetILNS1_3genE5ELNS1_11target_archE942ELNS1_3gpuE9ELNS1_3repE0EEENS1_30default_config_static_selectorELNS0_4arch9wavefront6targetE1EEEvS12_.numbered_sgpr, 0
	.set _ZN7rocprim17ROCPRIM_400000_NS6detail17trampoline_kernelINS0_13select_configILj256ELj13ELNS0_17block_load_methodE3ELS4_3ELS4_3ELNS0_20block_scan_algorithmE0ELj4294967295EEENS1_25partition_config_selectorILNS1_17partition_subalgoE4EjNS0_10empty_typeEbEEZZNS1_14partition_implILS8_4ELb0ES6_15HIP_vector_typeIjLj2EENS0_17counting_iteratorIjlEEPS9_SG_NS0_5tupleIJPjSI_NS0_16reverse_iteratorISI_EEEEENSH_IJSG_SG_SG_EEES9_SI_JZNS1_25segmented_radix_sort_implINS0_14default_configELb1EPKaPaPKlPlN2at6native12_GLOBAL__N_18offset_tEEE10hipError_tPvRmT1_PNSt15iterator_traitsIS12_E10value_typeET2_T3_PNS13_IS18_E10value_typeET4_jRbjT5_S1E_jjP12ihipStream_tbEUljE_ZNSN_ISO_Lb1ESQ_SR_ST_SU_SY_EESZ_S10_S11_S12_S16_S17_S18_S1B_S1C_jS1D_jS1E_S1E_jjS1G_bEUljE0_EEESZ_S10_S11_S18_S1C_S1E_T6_T7_T9_mT8_S1G_bDpT10_ENKUlT_T0_E_clISt17integral_constantIbLb1EES1U_EEDaS1P_S1Q_EUlS1P_E_NS1_11comp_targetILNS1_3genE5ELNS1_11target_archE942ELNS1_3gpuE9ELNS1_3repE0EEENS1_30default_config_static_selectorELNS0_4arch9wavefront6targetE1EEEvS12_.num_named_barrier, 0
	.set _ZN7rocprim17ROCPRIM_400000_NS6detail17trampoline_kernelINS0_13select_configILj256ELj13ELNS0_17block_load_methodE3ELS4_3ELS4_3ELNS0_20block_scan_algorithmE0ELj4294967295EEENS1_25partition_config_selectorILNS1_17partition_subalgoE4EjNS0_10empty_typeEbEEZZNS1_14partition_implILS8_4ELb0ES6_15HIP_vector_typeIjLj2EENS0_17counting_iteratorIjlEEPS9_SG_NS0_5tupleIJPjSI_NS0_16reverse_iteratorISI_EEEEENSH_IJSG_SG_SG_EEES9_SI_JZNS1_25segmented_radix_sort_implINS0_14default_configELb1EPKaPaPKlPlN2at6native12_GLOBAL__N_18offset_tEEE10hipError_tPvRmT1_PNSt15iterator_traitsIS12_E10value_typeET2_T3_PNS13_IS18_E10value_typeET4_jRbjT5_S1E_jjP12ihipStream_tbEUljE_ZNSN_ISO_Lb1ESQ_SR_ST_SU_SY_EESZ_S10_S11_S12_S16_S17_S18_S1B_S1C_jS1D_jS1E_S1E_jjS1G_bEUljE0_EEESZ_S10_S11_S18_S1C_S1E_T6_T7_T9_mT8_S1G_bDpT10_ENKUlT_T0_E_clISt17integral_constantIbLb1EES1U_EEDaS1P_S1Q_EUlS1P_E_NS1_11comp_targetILNS1_3genE5ELNS1_11target_archE942ELNS1_3gpuE9ELNS1_3repE0EEENS1_30default_config_static_selectorELNS0_4arch9wavefront6targetE1EEEvS12_.private_seg_size, 0
	.set _ZN7rocprim17ROCPRIM_400000_NS6detail17trampoline_kernelINS0_13select_configILj256ELj13ELNS0_17block_load_methodE3ELS4_3ELS4_3ELNS0_20block_scan_algorithmE0ELj4294967295EEENS1_25partition_config_selectorILNS1_17partition_subalgoE4EjNS0_10empty_typeEbEEZZNS1_14partition_implILS8_4ELb0ES6_15HIP_vector_typeIjLj2EENS0_17counting_iteratorIjlEEPS9_SG_NS0_5tupleIJPjSI_NS0_16reverse_iteratorISI_EEEEENSH_IJSG_SG_SG_EEES9_SI_JZNS1_25segmented_radix_sort_implINS0_14default_configELb1EPKaPaPKlPlN2at6native12_GLOBAL__N_18offset_tEEE10hipError_tPvRmT1_PNSt15iterator_traitsIS12_E10value_typeET2_T3_PNS13_IS18_E10value_typeET4_jRbjT5_S1E_jjP12ihipStream_tbEUljE_ZNSN_ISO_Lb1ESQ_SR_ST_SU_SY_EESZ_S10_S11_S12_S16_S17_S18_S1B_S1C_jS1D_jS1E_S1E_jjS1G_bEUljE0_EEESZ_S10_S11_S18_S1C_S1E_T6_T7_T9_mT8_S1G_bDpT10_ENKUlT_T0_E_clISt17integral_constantIbLb1EES1U_EEDaS1P_S1Q_EUlS1P_E_NS1_11comp_targetILNS1_3genE5ELNS1_11target_archE942ELNS1_3gpuE9ELNS1_3repE0EEENS1_30default_config_static_selectorELNS0_4arch9wavefront6targetE1EEEvS12_.uses_vcc, 0
	.set _ZN7rocprim17ROCPRIM_400000_NS6detail17trampoline_kernelINS0_13select_configILj256ELj13ELNS0_17block_load_methodE3ELS4_3ELS4_3ELNS0_20block_scan_algorithmE0ELj4294967295EEENS1_25partition_config_selectorILNS1_17partition_subalgoE4EjNS0_10empty_typeEbEEZZNS1_14partition_implILS8_4ELb0ES6_15HIP_vector_typeIjLj2EENS0_17counting_iteratorIjlEEPS9_SG_NS0_5tupleIJPjSI_NS0_16reverse_iteratorISI_EEEEENSH_IJSG_SG_SG_EEES9_SI_JZNS1_25segmented_radix_sort_implINS0_14default_configELb1EPKaPaPKlPlN2at6native12_GLOBAL__N_18offset_tEEE10hipError_tPvRmT1_PNSt15iterator_traitsIS12_E10value_typeET2_T3_PNS13_IS18_E10value_typeET4_jRbjT5_S1E_jjP12ihipStream_tbEUljE_ZNSN_ISO_Lb1ESQ_SR_ST_SU_SY_EESZ_S10_S11_S12_S16_S17_S18_S1B_S1C_jS1D_jS1E_S1E_jjS1G_bEUljE0_EEESZ_S10_S11_S18_S1C_S1E_T6_T7_T9_mT8_S1G_bDpT10_ENKUlT_T0_E_clISt17integral_constantIbLb1EES1U_EEDaS1P_S1Q_EUlS1P_E_NS1_11comp_targetILNS1_3genE5ELNS1_11target_archE942ELNS1_3gpuE9ELNS1_3repE0EEENS1_30default_config_static_selectorELNS0_4arch9wavefront6targetE1EEEvS12_.uses_flat_scratch, 0
	.set _ZN7rocprim17ROCPRIM_400000_NS6detail17trampoline_kernelINS0_13select_configILj256ELj13ELNS0_17block_load_methodE3ELS4_3ELS4_3ELNS0_20block_scan_algorithmE0ELj4294967295EEENS1_25partition_config_selectorILNS1_17partition_subalgoE4EjNS0_10empty_typeEbEEZZNS1_14partition_implILS8_4ELb0ES6_15HIP_vector_typeIjLj2EENS0_17counting_iteratorIjlEEPS9_SG_NS0_5tupleIJPjSI_NS0_16reverse_iteratorISI_EEEEENSH_IJSG_SG_SG_EEES9_SI_JZNS1_25segmented_radix_sort_implINS0_14default_configELb1EPKaPaPKlPlN2at6native12_GLOBAL__N_18offset_tEEE10hipError_tPvRmT1_PNSt15iterator_traitsIS12_E10value_typeET2_T3_PNS13_IS18_E10value_typeET4_jRbjT5_S1E_jjP12ihipStream_tbEUljE_ZNSN_ISO_Lb1ESQ_SR_ST_SU_SY_EESZ_S10_S11_S12_S16_S17_S18_S1B_S1C_jS1D_jS1E_S1E_jjS1G_bEUljE0_EEESZ_S10_S11_S18_S1C_S1E_T6_T7_T9_mT8_S1G_bDpT10_ENKUlT_T0_E_clISt17integral_constantIbLb1EES1U_EEDaS1P_S1Q_EUlS1P_E_NS1_11comp_targetILNS1_3genE5ELNS1_11target_archE942ELNS1_3gpuE9ELNS1_3repE0EEENS1_30default_config_static_selectorELNS0_4arch9wavefront6targetE1EEEvS12_.has_dyn_sized_stack, 0
	.set _ZN7rocprim17ROCPRIM_400000_NS6detail17trampoline_kernelINS0_13select_configILj256ELj13ELNS0_17block_load_methodE3ELS4_3ELS4_3ELNS0_20block_scan_algorithmE0ELj4294967295EEENS1_25partition_config_selectorILNS1_17partition_subalgoE4EjNS0_10empty_typeEbEEZZNS1_14partition_implILS8_4ELb0ES6_15HIP_vector_typeIjLj2EENS0_17counting_iteratorIjlEEPS9_SG_NS0_5tupleIJPjSI_NS0_16reverse_iteratorISI_EEEEENSH_IJSG_SG_SG_EEES9_SI_JZNS1_25segmented_radix_sort_implINS0_14default_configELb1EPKaPaPKlPlN2at6native12_GLOBAL__N_18offset_tEEE10hipError_tPvRmT1_PNSt15iterator_traitsIS12_E10value_typeET2_T3_PNS13_IS18_E10value_typeET4_jRbjT5_S1E_jjP12ihipStream_tbEUljE_ZNSN_ISO_Lb1ESQ_SR_ST_SU_SY_EESZ_S10_S11_S12_S16_S17_S18_S1B_S1C_jS1D_jS1E_S1E_jjS1G_bEUljE0_EEESZ_S10_S11_S18_S1C_S1E_T6_T7_T9_mT8_S1G_bDpT10_ENKUlT_T0_E_clISt17integral_constantIbLb1EES1U_EEDaS1P_S1Q_EUlS1P_E_NS1_11comp_targetILNS1_3genE5ELNS1_11target_archE942ELNS1_3gpuE9ELNS1_3repE0EEENS1_30default_config_static_selectorELNS0_4arch9wavefront6targetE1EEEvS12_.has_recursion, 0
	.set _ZN7rocprim17ROCPRIM_400000_NS6detail17trampoline_kernelINS0_13select_configILj256ELj13ELNS0_17block_load_methodE3ELS4_3ELS4_3ELNS0_20block_scan_algorithmE0ELj4294967295EEENS1_25partition_config_selectorILNS1_17partition_subalgoE4EjNS0_10empty_typeEbEEZZNS1_14partition_implILS8_4ELb0ES6_15HIP_vector_typeIjLj2EENS0_17counting_iteratorIjlEEPS9_SG_NS0_5tupleIJPjSI_NS0_16reverse_iteratorISI_EEEEENSH_IJSG_SG_SG_EEES9_SI_JZNS1_25segmented_radix_sort_implINS0_14default_configELb1EPKaPaPKlPlN2at6native12_GLOBAL__N_18offset_tEEE10hipError_tPvRmT1_PNSt15iterator_traitsIS12_E10value_typeET2_T3_PNS13_IS18_E10value_typeET4_jRbjT5_S1E_jjP12ihipStream_tbEUljE_ZNSN_ISO_Lb1ESQ_SR_ST_SU_SY_EESZ_S10_S11_S12_S16_S17_S18_S1B_S1C_jS1D_jS1E_S1E_jjS1G_bEUljE0_EEESZ_S10_S11_S18_S1C_S1E_T6_T7_T9_mT8_S1G_bDpT10_ENKUlT_T0_E_clISt17integral_constantIbLb1EES1U_EEDaS1P_S1Q_EUlS1P_E_NS1_11comp_targetILNS1_3genE5ELNS1_11target_archE942ELNS1_3gpuE9ELNS1_3repE0EEENS1_30default_config_static_selectorELNS0_4arch9wavefront6targetE1EEEvS12_.has_indirect_call, 0
	.section	.AMDGPU.csdata,"",@progbits
; Kernel info:
; codeLenInByte = 0
; TotalNumSgprs: 4
; NumVgprs: 0
; ScratchSize: 0
; MemoryBound: 0
; FloatMode: 240
; IeeeMode: 1
; LDSByteSize: 0 bytes/workgroup (compile time only)
; SGPRBlocks: 0
; VGPRBlocks: 0
; NumSGPRsForWavesPerEU: 4
; NumVGPRsForWavesPerEU: 1
; Occupancy: 10
; WaveLimiterHint : 0
; COMPUTE_PGM_RSRC2:SCRATCH_EN: 0
; COMPUTE_PGM_RSRC2:USER_SGPR: 6
; COMPUTE_PGM_RSRC2:TRAP_HANDLER: 0
; COMPUTE_PGM_RSRC2:TGID_X_EN: 1
; COMPUTE_PGM_RSRC2:TGID_Y_EN: 0
; COMPUTE_PGM_RSRC2:TGID_Z_EN: 0
; COMPUTE_PGM_RSRC2:TIDIG_COMP_CNT: 0
	.section	.text._ZN7rocprim17ROCPRIM_400000_NS6detail17trampoline_kernelINS0_13select_configILj256ELj13ELNS0_17block_load_methodE3ELS4_3ELS4_3ELNS0_20block_scan_algorithmE0ELj4294967295EEENS1_25partition_config_selectorILNS1_17partition_subalgoE4EjNS0_10empty_typeEbEEZZNS1_14partition_implILS8_4ELb0ES6_15HIP_vector_typeIjLj2EENS0_17counting_iteratorIjlEEPS9_SG_NS0_5tupleIJPjSI_NS0_16reverse_iteratorISI_EEEEENSH_IJSG_SG_SG_EEES9_SI_JZNS1_25segmented_radix_sort_implINS0_14default_configELb1EPKaPaPKlPlN2at6native12_GLOBAL__N_18offset_tEEE10hipError_tPvRmT1_PNSt15iterator_traitsIS12_E10value_typeET2_T3_PNS13_IS18_E10value_typeET4_jRbjT5_S1E_jjP12ihipStream_tbEUljE_ZNSN_ISO_Lb1ESQ_SR_ST_SU_SY_EESZ_S10_S11_S12_S16_S17_S18_S1B_S1C_jS1D_jS1E_S1E_jjS1G_bEUljE0_EEESZ_S10_S11_S18_S1C_S1E_T6_T7_T9_mT8_S1G_bDpT10_ENKUlT_T0_E_clISt17integral_constantIbLb1EES1U_EEDaS1P_S1Q_EUlS1P_E_NS1_11comp_targetILNS1_3genE4ELNS1_11target_archE910ELNS1_3gpuE8ELNS1_3repE0EEENS1_30default_config_static_selectorELNS0_4arch9wavefront6targetE1EEEvS12_,"axG",@progbits,_ZN7rocprim17ROCPRIM_400000_NS6detail17trampoline_kernelINS0_13select_configILj256ELj13ELNS0_17block_load_methodE3ELS4_3ELS4_3ELNS0_20block_scan_algorithmE0ELj4294967295EEENS1_25partition_config_selectorILNS1_17partition_subalgoE4EjNS0_10empty_typeEbEEZZNS1_14partition_implILS8_4ELb0ES6_15HIP_vector_typeIjLj2EENS0_17counting_iteratorIjlEEPS9_SG_NS0_5tupleIJPjSI_NS0_16reverse_iteratorISI_EEEEENSH_IJSG_SG_SG_EEES9_SI_JZNS1_25segmented_radix_sort_implINS0_14default_configELb1EPKaPaPKlPlN2at6native12_GLOBAL__N_18offset_tEEE10hipError_tPvRmT1_PNSt15iterator_traitsIS12_E10value_typeET2_T3_PNS13_IS18_E10value_typeET4_jRbjT5_S1E_jjP12ihipStream_tbEUljE_ZNSN_ISO_Lb1ESQ_SR_ST_SU_SY_EESZ_S10_S11_S12_S16_S17_S18_S1B_S1C_jS1D_jS1E_S1E_jjS1G_bEUljE0_EEESZ_S10_S11_S18_S1C_S1E_T6_T7_T9_mT8_S1G_bDpT10_ENKUlT_T0_E_clISt17integral_constantIbLb1EES1U_EEDaS1P_S1Q_EUlS1P_E_NS1_11comp_targetILNS1_3genE4ELNS1_11target_archE910ELNS1_3gpuE8ELNS1_3repE0EEENS1_30default_config_static_selectorELNS0_4arch9wavefront6targetE1EEEvS12_,comdat
	.globl	_ZN7rocprim17ROCPRIM_400000_NS6detail17trampoline_kernelINS0_13select_configILj256ELj13ELNS0_17block_load_methodE3ELS4_3ELS4_3ELNS0_20block_scan_algorithmE0ELj4294967295EEENS1_25partition_config_selectorILNS1_17partition_subalgoE4EjNS0_10empty_typeEbEEZZNS1_14partition_implILS8_4ELb0ES6_15HIP_vector_typeIjLj2EENS0_17counting_iteratorIjlEEPS9_SG_NS0_5tupleIJPjSI_NS0_16reverse_iteratorISI_EEEEENSH_IJSG_SG_SG_EEES9_SI_JZNS1_25segmented_radix_sort_implINS0_14default_configELb1EPKaPaPKlPlN2at6native12_GLOBAL__N_18offset_tEEE10hipError_tPvRmT1_PNSt15iterator_traitsIS12_E10value_typeET2_T3_PNS13_IS18_E10value_typeET4_jRbjT5_S1E_jjP12ihipStream_tbEUljE_ZNSN_ISO_Lb1ESQ_SR_ST_SU_SY_EESZ_S10_S11_S12_S16_S17_S18_S1B_S1C_jS1D_jS1E_S1E_jjS1G_bEUljE0_EEESZ_S10_S11_S18_S1C_S1E_T6_T7_T9_mT8_S1G_bDpT10_ENKUlT_T0_E_clISt17integral_constantIbLb1EES1U_EEDaS1P_S1Q_EUlS1P_E_NS1_11comp_targetILNS1_3genE4ELNS1_11target_archE910ELNS1_3gpuE8ELNS1_3repE0EEENS1_30default_config_static_selectorELNS0_4arch9wavefront6targetE1EEEvS12_ ; -- Begin function _ZN7rocprim17ROCPRIM_400000_NS6detail17trampoline_kernelINS0_13select_configILj256ELj13ELNS0_17block_load_methodE3ELS4_3ELS4_3ELNS0_20block_scan_algorithmE0ELj4294967295EEENS1_25partition_config_selectorILNS1_17partition_subalgoE4EjNS0_10empty_typeEbEEZZNS1_14partition_implILS8_4ELb0ES6_15HIP_vector_typeIjLj2EENS0_17counting_iteratorIjlEEPS9_SG_NS0_5tupleIJPjSI_NS0_16reverse_iteratorISI_EEEEENSH_IJSG_SG_SG_EEES9_SI_JZNS1_25segmented_radix_sort_implINS0_14default_configELb1EPKaPaPKlPlN2at6native12_GLOBAL__N_18offset_tEEE10hipError_tPvRmT1_PNSt15iterator_traitsIS12_E10value_typeET2_T3_PNS13_IS18_E10value_typeET4_jRbjT5_S1E_jjP12ihipStream_tbEUljE_ZNSN_ISO_Lb1ESQ_SR_ST_SU_SY_EESZ_S10_S11_S12_S16_S17_S18_S1B_S1C_jS1D_jS1E_S1E_jjS1G_bEUljE0_EEESZ_S10_S11_S18_S1C_S1E_T6_T7_T9_mT8_S1G_bDpT10_ENKUlT_T0_E_clISt17integral_constantIbLb1EES1U_EEDaS1P_S1Q_EUlS1P_E_NS1_11comp_targetILNS1_3genE4ELNS1_11target_archE910ELNS1_3gpuE8ELNS1_3repE0EEENS1_30default_config_static_selectorELNS0_4arch9wavefront6targetE1EEEvS12_
	.p2align	8
	.type	_ZN7rocprim17ROCPRIM_400000_NS6detail17trampoline_kernelINS0_13select_configILj256ELj13ELNS0_17block_load_methodE3ELS4_3ELS4_3ELNS0_20block_scan_algorithmE0ELj4294967295EEENS1_25partition_config_selectorILNS1_17partition_subalgoE4EjNS0_10empty_typeEbEEZZNS1_14partition_implILS8_4ELb0ES6_15HIP_vector_typeIjLj2EENS0_17counting_iteratorIjlEEPS9_SG_NS0_5tupleIJPjSI_NS0_16reverse_iteratorISI_EEEEENSH_IJSG_SG_SG_EEES9_SI_JZNS1_25segmented_radix_sort_implINS0_14default_configELb1EPKaPaPKlPlN2at6native12_GLOBAL__N_18offset_tEEE10hipError_tPvRmT1_PNSt15iterator_traitsIS12_E10value_typeET2_T3_PNS13_IS18_E10value_typeET4_jRbjT5_S1E_jjP12ihipStream_tbEUljE_ZNSN_ISO_Lb1ESQ_SR_ST_SU_SY_EESZ_S10_S11_S12_S16_S17_S18_S1B_S1C_jS1D_jS1E_S1E_jjS1G_bEUljE0_EEESZ_S10_S11_S18_S1C_S1E_T6_T7_T9_mT8_S1G_bDpT10_ENKUlT_T0_E_clISt17integral_constantIbLb1EES1U_EEDaS1P_S1Q_EUlS1P_E_NS1_11comp_targetILNS1_3genE4ELNS1_11target_archE910ELNS1_3gpuE8ELNS1_3repE0EEENS1_30default_config_static_selectorELNS0_4arch9wavefront6targetE1EEEvS12_,@function
_ZN7rocprim17ROCPRIM_400000_NS6detail17trampoline_kernelINS0_13select_configILj256ELj13ELNS0_17block_load_methodE3ELS4_3ELS4_3ELNS0_20block_scan_algorithmE0ELj4294967295EEENS1_25partition_config_selectorILNS1_17partition_subalgoE4EjNS0_10empty_typeEbEEZZNS1_14partition_implILS8_4ELb0ES6_15HIP_vector_typeIjLj2EENS0_17counting_iteratorIjlEEPS9_SG_NS0_5tupleIJPjSI_NS0_16reverse_iteratorISI_EEEEENSH_IJSG_SG_SG_EEES9_SI_JZNS1_25segmented_radix_sort_implINS0_14default_configELb1EPKaPaPKlPlN2at6native12_GLOBAL__N_18offset_tEEE10hipError_tPvRmT1_PNSt15iterator_traitsIS12_E10value_typeET2_T3_PNS13_IS18_E10value_typeET4_jRbjT5_S1E_jjP12ihipStream_tbEUljE_ZNSN_ISO_Lb1ESQ_SR_ST_SU_SY_EESZ_S10_S11_S12_S16_S17_S18_S1B_S1C_jS1D_jS1E_S1E_jjS1G_bEUljE0_EEESZ_S10_S11_S18_S1C_S1E_T6_T7_T9_mT8_S1G_bDpT10_ENKUlT_T0_E_clISt17integral_constantIbLb1EES1U_EEDaS1P_S1Q_EUlS1P_E_NS1_11comp_targetILNS1_3genE4ELNS1_11target_archE910ELNS1_3gpuE8ELNS1_3repE0EEENS1_30default_config_static_selectorELNS0_4arch9wavefront6targetE1EEEvS12_: ; @_ZN7rocprim17ROCPRIM_400000_NS6detail17trampoline_kernelINS0_13select_configILj256ELj13ELNS0_17block_load_methodE3ELS4_3ELS4_3ELNS0_20block_scan_algorithmE0ELj4294967295EEENS1_25partition_config_selectorILNS1_17partition_subalgoE4EjNS0_10empty_typeEbEEZZNS1_14partition_implILS8_4ELb0ES6_15HIP_vector_typeIjLj2EENS0_17counting_iteratorIjlEEPS9_SG_NS0_5tupleIJPjSI_NS0_16reverse_iteratorISI_EEEEENSH_IJSG_SG_SG_EEES9_SI_JZNS1_25segmented_radix_sort_implINS0_14default_configELb1EPKaPaPKlPlN2at6native12_GLOBAL__N_18offset_tEEE10hipError_tPvRmT1_PNSt15iterator_traitsIS12_E10value_typeET2_T3_PNS13_IS18_E10value_typeET4_jRbjT5_S1E_jjP12ihipStream_tbEUljE_ZNSN_ISO_Lb1ESQ_SR_ST_SU_SY_EESZ_S10_S11_S12_S16_S17_S18_S1B_S1C_jS1D_jS1E_S1E_jjS1G_bEUljE0_EEESZ_S10_S11_S18_S1C_S1E_T6_T7_T9_mT8_S1G_bDpT10_ENKUlT_T0_E_clISt17integral_constantIbLb1EES1U_EEDaS1P_S1Q_EUlS1P_E_NS1_11comp_targetILNS1_3genE4ELNS1_11target_archE910ELNS1_3gpuE8ELNS1_3repE0EEENS1_30default_config_static_selectorELNS0_4arch9wavefront6targetE1EEEvS12_
; %bb.0:
	.section	.rodata,"a",@progbits
	.p2align	6, 0x0
	.amdhsa_kernel _ZN7rocprim17ROCPRIM_400000_NS6detail17trampoline_kernelINS0_13select_configILj256ELj13ELNS0_17block_load_methodE3ELS4_3ELS4_3ELNS0_20block_scan_algorithmE0ELj4294967295EEENS1_25partition_config_selectorILNS1_17partition_subalgoE4EjNS0_10empty_typeEbEEZZNS1_14partition_implILS8_4ELb0ES6_15HIP_vector_typeIjLj2EENS0_17counting_iteratorIjlEEPS9_SG_NS0_5tupleIJPjSI_NS0_16reverse_iteratorISI_EEEEENSH_IJSG_SG_SG_EEES9_SI_JZNS1_25segmented_radix_sort_implINS0_14default_configELb1EPKaPaPKlPlN2at6native12_GLOBAL__N_18offset_tEEE10hipError_tPvRmT1_PNSt15iterator_traitsIS12_E10value_typeET2_T3_PNS13_IS18_E10value_typeET4_jRbjT5_S1E_jjP12ihipStream_tbEUljE_ZNSN_ISO_Lb1ESQ_SR_ST_SU_SY_EESZ_S10_S11_S12_S16_S17_S18_S1B_S1C_jS1D_jS1E_S1E_jjS1G_bEUljE0_EEESZ_S10_S11_S18_S1C_S1E_T6_T7_T9_mT8_S1G_bDpT10_ENKUlT_T0_E_clISt17integral_constantIbLb1EES1U_EEDaS1P_S1Q_EUlS1P_E_NS1_11comp_targetILNS1_3genE4ELNS1_11target_archE910ELNS1_3gpuE8ELNS1_3repE0EEENS1_30default_config_static_selectorELNS0_4arch9wavefront6targetE1EEEvS12_
		.amdhsa_group_segment_fixed_size 0
		.amdhsa_private_segment_fixed_size 0
		.amdhsa_kernarg_size 184
		.amdhsa_user_sgpr_count 6
		.amdhsa_user_sgpr_private_segment_buffer 1
		.amdhsa_user_sgpr_dispatch_ptr 0
		.amdhsa_user_sgpr_queue_ptr 0
		.amdhsa_user_sgpr_kernarg_segment_ptr 1
		.amdhsa_user_sgpr_dispatch_id 0
		.amdhsa_user_sgpr_flat_scratch_init 0
		.amdhsa_user_sgpr_private_segment_size 0
		.amdhsa_uses_dynamic_stack 0
		.amdhsa_system_sgpr_private_segment_wavefront_offset 0
		.amdhsa_system_sgpr_workgroup_id_x 1
		.amdhsa_system_sgpr_workgroup_id_y 0
		.amdhsa_system_sgpr_workgroup_id_z 0
		.amdhsa_system_sgpr_workgroup_info 0
		.amdhsa_system_vgpr_workitem_id 0
		.amdhsa_next_free_vgpr 1
		.amdhsa_next_free_sgpr 0
		.amdhsa_reserve_vcc 0
		.amdhsa_reserve_flat_scratch 0
		.amdhsa_float_round_mode_32 0
		.amdhsa_float_round_mode_16_64 0
		.amdhsa_float_denorm_mode_32 3
		.amdhsa_float_denorm_mode_16_64 3
		.amdhsa_dx10_clamp 1
		.amdhsa_ieee_mode 1
		.amdhsa_fp16_overflow 0
		.amdhsa_exception_fp_ieee_invalid_op 0
		.amdhsa_exception_fp_denorm_src 0
		.amdhsa_exception_fp_ieee_div_zero 0
		.amdhsa_exception_fp_ieee_overflow 0
		.amdhsa_exception_fp_ieee_underflow 0
		.amdhsa_exception_fp_ieee_inexact 0
		.amdhsa_exception_int_div_zero 0
	.end_amdhsa_kernel
	.section	.text._ZN7rocprim17ROCPRIM_400000_NS6detail17trampoline_kernelINS0_13select_configILj256ELj13ELNS0_17block_load_methodE3ELS4_3ELS4_3ELNS0_20block_scan_algorithmE0ELj4294967295EEENS1_25partition_config_selectorILNS1_17partition_subalgoE4EjNS0_10empty_typeEbEEZZNS1_14partition_implILS8_4ELb0ES6_15HIP_vector_typeIjLj2EENS0_17counting_iteratorIjlEEPS9_SG_NS0_5tupleIJPjSI_NS0_16reverse_iteratorISI_EEEEENSH_IJSG_SG_SG_EEES9_SI_JZNS1_25segmented_radix_sort_implINS0_14default_configELb1EPKaPaPKlPlN2at6native12_GLOBAL__N_18offset_tEEE10hipError_tPvRmT1_PNSt15iterator_traitsIS12_E10value_typeET2_T3_PNS13_IS18_E10value_typeET4_jRbjT5_S1E_jjP12ihipStream_tbEUljE_ZNSN_ISO_Lb1ESQ_SR_ST_SU_SY_EESZ_S10_S11_S12_S16_S17_S18_S1B_S1C_jS1D_jS1E_S1E_jjS1G_bEUljE0_EEESZ_S10_S11_S18_S1C_S1E_T6_T7_T9_mT8_S1G_bDpT10_ENKUlT_T0_E_clISt17integral_constantIbLb1EES1U_EEDaS1P_S1Q_EUlS1P_E_NS1_11comp_targetILNS1_3genE4ELNS1_11target_archE910ELNS1_3gpuE8ELNS1_3repE0EEENS1_30default_config_static_selectorELNS0_4arch9wavefront6targetE1EEEvS12_,"axG",@progbits,_ZN7rocprim17ROCPRIM_400000_NS6detail17trampoline_kernelINS0_13select_configILj256ELj13ELNS0_17block_load_methodE3ELS4_3ELS4_3ELNS0_20block_scan_algorithmE0ELj4294967295EEENS1_25partition_config_selectorILNS1_17partition_subalgoE4EjNS0_10empty_typeEbEEZZNS1_14partition_implILS8_4ELb0ES6_15HIP_vector_typeIjLj2EENS0_17counting_iteratorIjlEEPS9_SG_NS0_5tupleIJPjSI_NS0_16reverse_iteratorISI_EEEEENSH_IJSG_SG_SG_EEES9_SI_JZNS1_25segmented_radix_sort_implINS0_14default_configELb1EPKaPaPKlPlN2at6native12_GLOBAL__N_18offset_tEEE10hipError_tPvRmT1_PNSt15iterator_traitsIS12_E10value_typeET2_T3_PNS13_IS18_E10value_typeET4_jRbjT5_S1E_jjP12ihipStream_tbEUljE_ZNSN_ISO_Lb1ESQ_SR_ST_SU_SY_EESZ_S10_S11_S12_S16_S17_S18_S1B_S1C_jS1D_jS1E_S1E_jjS1G_bEUljE0_EEESZ_S10_S11_S18_S1C_S1E_T6_T7_T9_mT8_S1G_bDpT10_ENKUlT_T0_E_clISt17integral_constantIbLb1EES1U_EEDaS1P_S1Q_EUlS1P_E_NS1_11comp_targetILNS1_3genE4ELNS1_11target_archE910ELNS1_3gpuE8ELNS1_3repE0EEENS1_30default_config_static_selectorELNS0_4arch9wavefront6targetE1EEEvS12_,comdat
.Lfunc_end236:
	.size	_ZN7rocprim17ROCPRIM_400000_NS6detail17trampoline_kernelINS0_13select_configILj256ELj13ELNS0_17block_load_methodE3ELS4_3ELS4_3ELNS0_20block_scan_algorithmE0ELj4294967295EEENS1_25partition_config_selectorILNS1_17partition_subalgoE4EjNS0_10empty_typeEbEEZZNS1_14partition_implILS8_4ELb0ES6_15HIP_vector_typeIjLj2EENS0_17counting_iteratorIjlEEPS9_SG_NS0_5tupleIJPjSI_NS0_16reverse_iteratorISI_EEEEENSH_IJSG_SG_SG_EEES9_SI_JZNS1_25segmented_radix_sort_implINS0_14default_configELb1EPKaPaPKlPlN2at6native12_GLOBAL__N_18offset_tEEE10hipError_tPvRmT1_PNSt15iterator_traitsIS12_E10value_typeET2_T3_PNS13_IS18_E10value_typeET4_jRbjT5_S1E_jjP12ihipStream_tbEUljE_ZNSN_ISO_Lb1ESQ_SR_ST_SU_SY_EESZ_S10_S11_S12_S16_S17_S18_S1B_S1C_jS1D_jS1E_S1E_jjS1G_bEUljE0_EEESZ_S10_S11_S18_S1C_S1E_T6_T7_T9_mT8_S1G_bDpT10_ENKUlT_T0_E_clISt17integral_constantIbLb1EES1U_EEDaS1P_S1Q_EUlS1P_E_NS1_11comp_targetILNS1_3genE4ELNS1_11target_archE910ELNS1_3gpuE8ELNS1_3repE0EEENS1_30default_config_static_selectorELNS0_4arch9wavefront6targetE1EEEvS12_, .Lfunc_end236-_ZN7rocprim17ROCPRIM_400000_NS6detail17trampoline_kernelINS0_13select_configILj256ELj13ELNS0_17block_load_methodE3ELS4_3ELS4_3ELNS0_20block_scan_algorithmE0ELj4294967295EEENS1_25partition_config_selectorILNS1_17partition_subalgoE4EjNS0_10empty_typeEbEEZZNS1_14partition_implILS8_4ELb0ES6_15HIP_vector_typeIjLj2EENS0_17counting_iteratorIjlEEPS9_SG_NS0_5tupleIJPjSI_NS0_16reverse_iteratorISI_EEEEENSH_IJSG_SG_SG_EEES9_SI_JZNS1_25segmented_radix_sort_implINS0_14default_configELb1EPKaPaPKlPlN2at6native12_GLOBAL__N_18offset_tEEE10hipError_tPvRmT1_PNSt15iterator_traitsIS12_E10value_typeET2_T3_PNS13_IS18_E10value_typeET4_jRbjT5_S1E_jjP12ihipStream_tbEUljE_ZNSN_ISO_Lb1ESQ_SR_ST_SU_SY_EESZ_S10_S11_S12_S16_S17_S18_S1B_S1C_jS1D_jS1E_S1E_jjS1G_bEUljE0_EEESZ_S10_S11_S18_S1C_S1E_T6_T7_T9_mT8_S1G_bDpT10_ENKUlT_T0_E_clISt17integral_constantIbLb1EES1U_EEDaS1P_S1Q_EUlS1P_E_NS1_11comp_targetILNS1_3genE4ELNS1_11target_archE910ELNS1_3gpuE8ELNS1_3repE0EEENS1_30default_config_static_selectorELNS0_4arch9wavefront6targetE1EEEvS12_
                                        ; -- End function
	.set _ZN7rocprim17ROCPRIM_400000_NS6detail17trampoline_kernelINS0_13select_configILj256ELj13ELNS0_17block_load_methodE3ELS4_3ELS4_3ELNS0_20block_scan_algorithmE0ELj4294967295EEENS1_25partition_config_selectorILNS1_17partition_subalgoE4EjNS0_10empty_typeEbEEZZNS1_14partition_implILS8_4ELb0ES6_15HIP_vector_typeIjLj2EENS0_17counting_iteratorIjlEEPS9_SG_NS0_5tupleIJPjSI_NS0_16reverse_iteratorISI_EEEEENSH_IJSG_SG_SG_EEES9_SI_JZNS1_25segmented_radix_sort_implINS0_14default_configELb1EPKaPaPKlPlN2at6native12_GLOBAL__N_18offset_tEEE10hipError_tPvRmT1_PNSt15iterator_traitsIS12_E10value_typeET2_T3_PNS13_IS18_E10value_typeET4_jRbjT5_S1E_jjP12ihipStream_tbEUljE_ZNSN_ISO_Lb1ESQ_SR_ST_SU_SY_EESZ_S10_S11_S12_S16_S17_S18_S1B_S1C_jS1D_jS1E_S1E_jjS1G_bEUljE0_EEESZ_S10_S11_S18_S1C_S1E_T6_T7_T9_mT8_S1G_bDpT10_ENKUlT_T0_E_clISt17integral_constantIbLb1EES1U_EEDaS1P_S1Q_EUlS1P_E_NS1_11comp_targetILNS1_3genE4ELNS1_11target_archE910ELNS1_3gpuE8ELNS1_3repE0EEENS1_30default_config_static_selectorELNS0_4arch9wavefront6targetE1EEEvS12_.num_vgpr, 0
	.set _ZN7rocprim17ROCPRIM_400000_NS6detail17trampoline_kernelINS0_13select_configILj256ELj13ELNS0_17block_load_methodE3ELS4_3ELS4_3ELNS0_20block_scan_algorithmE0ELj4294967295EEENS1_25partition_config_selectorILNS1_17partition_subalgoE4EjNS0_10empty_typeEbEEZZNS1_14partition_implILS8_4ELb0ES6_15HIP_vector_typeIjLj2EENS0_17counting_iteratorIjlEEPS9_SG_NS0_5tupleIJPjSI_NS0_16reverse_iteratorISI_EEEEENSH_IJSG_SG_SG_EEES9_SI_JZNS1_25segmented_radix_sort_implINS0_14default_configELb1EPKaPaPKlPlN2at6native12_GLOBAL__N_18offset_tEEE10hipError_tPvRmT1_PNSt15iterator_traitsIS12_E10value_typeET2_T3_PNS13_IS18_E10value_typeET4_jRbjT5_S1E_jjP12ihipStream_tbEUljE_ZNSN_ISO_Lb1ESQ_SR_ST_SU_SY_EESZ_S10_S11_S12_S16_S17_S18_S1B_S1C_jS1D_jS1E_S1E_jjS1G_bEUljE0_EEESZ_S10_S11_S18_S1C_S1E_T6_T7_T9_mT8_S1G_bDpT10_ENKUlT_T0_E_clISt17integral_constantIbLb1EES1U_EEDaS1P_S1Q_EUlS1P_E_NS1_11comp_targetILNS1_3genE4ELNS1_11target_archE910ELNS1_3gpuE8ELNS1_3repE0EEENS1_30default_config_static_selectorELNS0_4arch9wavefront6targetE1EEEvS12_.num_agpr, 0
	.set _ZN7rocprim17ROCPRIM_400000_NS6detail17trampoline_kernelINS0_13select_configILj256ELj13ELNS0_17block_load_methodE3ELS4_3ELS4_3ELNS0_20block_scan_algorithmE0ELj4294967295EEENS1_25partition_config_selectorILNS1_17partition_subalgoE4EjNS0_10empty_typeEbEEZZNS1_14partition_implILS8_4ELb0ES6_15HIP_vector_typeIjLj2EENS0_17counting_iteratorIjlEEPS9_SG_NS0_5tupleIJPjSI_NS0_16reverse_iteratorISI_EEEEENSH_IJSG_SG_SG_EEES9_SI_JZNS1_25segmented_radix_sort_implINS0_14default_configELb1EPKaPaPKlPlN2at6native12_GLOBAL__N_18offset_tEEE10hipError_tPvRmT1_PNSt15iterator_traitsIS12_E10value_typeET2_T3_PNS13_IS18_E10value_typeET4_jRbjT5_S1E_jjP12ihipStream_tbEUljE_ZNSN_ISO_Lb1ESQ_SR_ST_SU_SY_EESZ_S10_S11_S12_S16_S17_S18_S1B_S1C_jS1D_jS1E_S1E_jjS1G_bEUljE0_EEESZ_S10_S11_S18_S1C_S1E_T6_T7_T9_mT8_S1G_bDpT10_ENKUlT_T0_E_clISt17integral_constantIbLb1EES1U_EEDaS1P_S1Q_EUlS1P_E_NS1_11comp_targetILNS1_3genE4ELNS1_11target_archE910ELNS1_3gpuE8ELNS1_3repE0EEENS1_30default_config_static_selectorELNS0_4arch9wavefront6targetE1EEEvS12_.numbered_sgpr, 0
	.set _ZN7rocprim17ROCPRIM_400000_NS6detail17trampoline_kernelINS0_13select_configILj256ELj13ELNS0_17block_load_methodE3ELS4_3ELS4_3ELNS0_20block_scan_algorithmE0ELj4294967295EEENS1_25partition_config_selectorILNS1_17partition_subalgoE4EjNS0_10empty_typeEbEEZZNS1_14partition_implILS8_4ELb0ES6_15HIP_vector_typeIjLj2EENS0_17counting_iteratorIjlEEPS9_SG_NS0_5tupleIJPjSI_NS0_16reverse_iteratorISI_EEEEENSH_IJSG_SG_SG_EEES9_SI_JZNS1_25segmented_radix_sort_implINS0_14default_configELb1EPKaPaPKlPlN2at6native12_GLOBAL__N_18offset_tEEE10hipError_tPvRmT1_PNSt15iterator_traitsIS12_E10value_typeET2_T3_PNS13_IS18_E10value_typeET4_jRbjT5_S1E_jjP12ihipStream_tbEUljE_ZNSN_ISO_Lb1ESQ_SR_ST_SU_SY_EESZ_S10_S11_S12_S16_S17_S18_S1B_S1C_jS1D_jS1E_S1E_jjS1G_bEUljE0_EEESZ_S10_S11_S18_S1C_S1E_T6_T7_T9_mT8_S1G_bDpT10_ENKUlT_T0_E_clISt17integral_constantIbLb1EES1U_EEDaS1P_S1Q_EUlS1P_E_NS1_11comp_targetILNS1_3genE4ELNS1_11target_archE910ELNS1_3gpuE8ELNS1_3repE0EEENS1_30default_config_static_selectorELNS0_4arch9wavefront6targetE1EEEvS12_.num_named_barrier, 0
	.set _ZN7rocprim17ROCPRIM_400000_NS6detail17trampoline_kernelINS0_13select_configILj256ELj13ELNS0_17block_load_methodE3ELS4_3ELS4_3ELNS0_20block_scan_algorithmE0ELj4294967295EEENS1_25partition_config_selectorILNS1_17partition_subalgoE4EjNS0_10empty_typeEbEEZZNS1_14partition_implILS8_4ELb0ES6_15HIP_vector_typeIjLj2EENS0_17counting_iteratorIjlEEPS9_SG_NS0_5tupleIJPjSI_NS0_16reverse_iteratorISI_EEEEENSH_IJSG_SG_SG_EEES9_SI_JZNS1_25segmented_radix_sort_implINS0_14default_configELb1EPKaPaPKlPlN2at6native12_GLOBAL__N_18offset_tEEE10hipError_tPvRmT1_PNSt15iterator_traitsIS12_E10value_typeET2_T3_PNS13_IS18_E10value_typeET4_jRbjT5_S1E_jjP12ihipStream_tbEUljE_ZNSN_ISO_Lb1ESQ_SR_ST_SU_SY_EESZ_S10_S11_S12_S16_S17_S18_S1B_S1C_jS1D_jS1E_S1E_jjS1G_bEUljE0_EEESZ_S10_S11_S18_S1C_S1E_T6_T7_T9_mT8_S1G_bDpT10_ENKUlT_T0_E_clISt17integral_constantIbLb1EES1U_EEDaS1P_S1Q_EUlS1P_E_NS1_11comp_targetILNS1_3genE4ELNS1_11target_archE910ELNS1_3gpuE8ELNS1_3repE0EEENS1_30default_config_static_selectorELNS0_4arch9wavefront6targetE1EEEvS12_.private_seg_size, 0
	.set _ZN7rocprim17ROCPRIM_400000_NS6detail17trampoline_kernelINS0_13select_configILj256ELj13ELNS0_17block_load_methodE3ELS4_3ELS4_3ELNS0_20block_scan_algorithmE0ELj4294967295EEENS1_25partition_config_selectorILNS1_17partition_subalgoE4EjNS0_10empty_typeEbEEZZNS1_14partition_implILS8_4ELb0ES6_15HIP_vector_typeIjLj2EENS0_17counting_iteratorIjlEEPS9_SG_NS0_5tupleIJPjSI_NS0_16reverse_iteratorISI_EEEEENSH_IJSG_SG_SG_EEES9_SI_JZNS1_25segmented_radix_sort_implINS0_14default_configELb1EPKaPaPKlPlN2at6native12_GLOBAL__N_18offset_tEEE10hipError_tPvRmT1_PNSt15iterator_traitsIS12_E10value_typeET2_T3_PNS13_IS18_E10value_typeET4_jRbjT5_S1E_jjP12ihipStream_tbEUljE_ZNSN_ISO_Lb1ESQ_SR_ST_SU_SY_EESZ_S10_S11_S12_S16_S17_S18_S1B_S1C_jS1D_jS1E_S1E_jjS1G_bEUljE0_EEESZ_S10_S11_S18_S1C_S1E_T6_T7_T9_mT8_S1G_bDpT10_ENKUlT_T0_E_clISt17integral_constantIbLb1EES1U_EEDaS1P_S1Q_EUlS1P_E_NS1_11comp_targetILNS1_3genE4ELNS1_11target_archE910ELNS1_3gpuE8ELNS1_3repE0EEENS1_30default_config_static_selectorELNS0_4arch9wavefront6targetE1EEEvS12_.uses_vcc, 0
	.set _ZN7rocprim17ROCPRIM_400000_NS6detail17trampoline_kernelINS0_13select_configILj256ELj13ELNS0_17block_load_methodE3ELS4_3ELS4_3ELNS0_20block_scan_algorithmE0ELj4294967295EEENS1_25partition_config_selectorILNS1_17partition_subalgoE4EjNS0_10empty_typeEbEEZZNS1_14partition_implILS8_4ELb0ES6_15HIP_vector_typeIjLj2EENS0_17counting_iteratorIjlEEPS9_SG_NS0_5tupleIJPjSI_NS0_16reverse_iteratorISI_EEEEENSH_IJSG_SG_SG_EEES9_SI_JZNS1_25segmented_radix_sort_implINS0_14default_configELb1EPKaPaPKlPlN2at6native12_GLOBAL__N_18offset_tEEE10hipError_tPvRmT1_PNSt15iterator_traitsIS12_E10value_typeET2_T3_PNS13_IS18_E10value_typeET4_jRbjT5_S1E_jjP12ihipStream_tbEUljE_ZNSN_ISO_Lb1ESQ_SR_ST_SU_SY_EESZ_S10_S11_S12_S16_S17_S18_S1B_S1C_jS1D_jS1E_S1E_jjS1G_bEUljE0_EEESZ_S10_S11_S18_S1C_S1E_T6_T7_T9_mT8_S1G_bDpT10_ENKUlT_T0_E_clISt17integral_constantIbLb1EES1U_EEDaS1P_S1Q_EUlS1P_E_NS1_11comp_targetILNS1_3genE4ELNS1_11target_archE910ELNS1_3gpuE8ELNS1_3repE0EEENS1_30default_config_static_selectorELNS0_4arch9wavefront6targetE1EEEvS12_.uses_flat_scratch, 0
	.set _ZN7rocprim17ROCPRIM_400000_NS6detail17trampoline_kernelINS0_13select_configILj256ELj13ELNS0_17block_load_methodE3ELS4_3ELS4_3ELNS0_20block_scan_algorithmE0ELj4294967295EEENS1_25partition_config_selectorILNS1_17partition_subalgoE4EjNS0_10empty_typeEbEEZZNS1_14partition_implILS8_4ELb0ES6_15HIP_vector_typeIjLj2EENS0_17counting_iteratorIjlEEPS9_SG_NS0_5tupleIJPjSI_NS0_16reverse_iteratorISI_EEEEENSH_IJSG_SG_SG_EEES9_SI_JZNS1_25segmented_radix_sort_implINS0_14default_configELb1EPKaPaPKlPlN2at6native12_GLOBAL__N_18offset_tEEE10hipError_tPvRmT1_PNSt15iterator_traitsIS12_E10value_typeET2_T3_PNS13_IS18_E10value_typeET4_jRbjT5_S1E_jjP12ihipStream_tbEUljE_ZNSN_ISO_Lb1ESQ_SR_ST_SU_SY_EESZ_S10_S11_S12_S16_S17_S18_S1B_S1C_jS1D_jS1E_S1E_jjS1G_bEUljE0_EEESZ_S10_S11_S18_S1C_S1E_T6_T7_T9_mT8_S1G_bDpT10_ENKUlT_T0_E_clISt17integral_constantIbLb1EES1U_EEDaS1P_S1Q_EUlS1P_E_NS1_11comp_targetILNS1_3genE4ELNS1_11target_archE910ELNS1_3gpuE8ELNS1_3repE0EEENS1_30default_config_static_selectorELNS0_4arch9wavefront6targetE1EEEvS12_.has_dyn_sized_stack, 0
	.set _ZN7rocprim17ROCPRIM_400000_NS6detail17trampoline_kernelINS0_13select_configILj256ELj13ELNS0_17block_load_methodE3ELS4_3ELS4_3ELNS0_20block_scan_algorithmE0ELj4294967295EEENS1_25partition_config_selectorILNS1_17partition_subalgoE4EjNS0_10empty_typeEbEEZZNS1_14partition_implILS8_4ELb0ES6_15HIP_vector_typeIjLj2EENS0_17counting_iteratorIjlEEPS9_SG_NS0_5tupleIJPjSI_NS0_16reverse_iteratorISI_EEEEENSH_IJSG_SG_SG_EEES9_SI_JZNS1_25segmented_radix_sort_implINS0_14default_configELb1EPKaPaPKlPlN2at6native12_GLOBAL__N_18offset_tEEE10hipError_tPvRmT1_PNSt15iterator_traitsIS12_E10value_typeET2_T3_PNS13_IS18_E10value_typeET4_jRbjT5_S1E_jjP12ihipStream_tbEUljE_ZNSN_ISO_Lb1ESQ_SR_ST_SU_SY_EESZ_S10_S11_S12_S16_S17_S18_S1B_S1C_jS1D_jS1E_S1E_jjS1G_bEUljE0_EEESZ_S10_S11_S18_S1C_S1E_T6_T7_T9_mT8_S1G_bDpT10_ENKUlT_T0_E_clISt17integral_constantIbLb1EES1U_EEDaS1P_S1Q_EUlS1P_E_NS1_11comp_targetILNS1_3genE4ELNS1_11target_archE910ELNS1_3gpuE8ELNS1_3repE0EEENS1_30default_config_static_selectorELNS0_4arch9wavefront6targetE1EEEvS12_.has_recursion, 0
	.set _ZN7rocprim17ROCPRIM_400000_NS6detail17trampoline_kernelINS0_13select_configILj256ELj13ELNS0_17block_load_methodE3ELS4_3ELS4_3ELNS0_20block_scan_algorithmE0ELj4294967295EEENS1_25partition_config_selectorILNS1_17partition_subalgoE4EjNS0_10empty_typeEbEEZZNS1_14partition_implILS8_4ELb0ES6_15HIP_vector_typeIjLj2EENS0_17counting_iteratorIjlEEPS9_SG_NS0_5tupleIJPjSI_NS0_16reverse_iteratorISI_EEEEENSH_IJSG_SG_SG_EEES9_SI_JZNS1_25segmented_radix_sort_implINS0_14default_configELb1EPKaPaPKlPlN2at6native12_GLOBAL__N_18offset_tEEE10hipError_tPvRmT1_PNSt15iterator_traitsIS12_E10value_typeET2_T3_PNS13_IS18_E10value_typeET4_jRbjT5_S1E_jjP12ihipStream_tbEUljE_ZNSN_ISO_Lb1ESQ_SR_ST_SU_SY_EESZ_S10_S11_S12_S16_S17_S18_S1B_S1C_jS1D_jS1E_S1E_jjS1G_bEUljE0_EEESZ_S10_S11_S18_S1C_S1E_T6_T7_T9_mT8_S1G_bDpT10_ENKUlT_T0_E_clISt17integral_constantIbLb1EES1U_EEDaS1P_S1Q_EUlS1P_E_NS1_11comp_targetILNS1_3genE4ELNS1_11target_archE910ELNS1_3gpuE8ELNS1_3repE0EEENS1_30default_config_static_selectorELNS0_4arch9wavefront6targetE1EEEvS12_.has_indirect_call, 0
	.section	.AMDGPU.csdata,"",@progbits
; Kernel info:
; codeLenInByte = 0
; TotalNumSgprs: 4
; NumVgprs: 0
; ScratchSize: 0
; MemoryBound: 0
; FloatMode: 240
; IeeeMode: 1
; LDSByteSize: 0 bytes/workgroup (compile time only)
; SGPRBlocks: 0
; VGPRBlocks: 0
; NumSGPRsForWavesPerEU: 4
; NumVGPRsForWavesPerEU: 1
; Occupancy: 10
; WaveLimiterHint : 0
; COMPUTE_PGM_RSRC2:SCRATCH_EN: 0
; COMPUTE_PGM_RSRC2:USER_SGPR: 6
; COMPUTE_PGM_RSRC2:TRAP_HANDLER: 0
; COMPUTE_PGM_RSRC2:TGID_X_EN: 1
; COMPUTE_PGM_RSRC2:TGID_Y_EN: 0
; COMPUTE_PGM_RSRC2:TGID_Z_EN: 0
; COMPUTE_PGM_RSRC2:TIDIG_COMP_CNT: 0
	.section	.text._ZN7rocprim17ROCPRIM_400000_NS6detail17trampoline_kernelINS0_13select_configILj256ELj13ELNS0_17block_load_methodE3ELS4_3ELS4_3ELNS0_20block_scan_algorithmE0ELj4294967295EEENS1_25partition_config_selectorILNS1_17partition_subalgoE4EjNS0_10empty_typeEbEEZZNS1_14partition_implILS8_4ELb0ES6_15HIP_vector_typeIjLj2EENS0_17counting_iteratorIjlEEPS9_SG_NS0_5tupleIJPjSI_NS0_16reverse_iteratorISI_EEEEENSH_IJSG_SG_SG_EEES9_SI_JZNS1_25segmented_radix_sort_implINS0_14default_configELb1EPKaPaPKlPlN2at6native12_GLOBAL__N_18offset_tEEE10hipError_tPvRmT1_PNSt15iterator_traitsIS12_E10value_typeET2_T3_PNS13_IS18_E10value_typeET4_jRbjT5_S1E_jjP12ihipStream_tbEUljE_ZNSN_ISO_Lb1ESQ_SR_ST_SU_SY_EESZ_S10_S11_S12_S16_S17_S18_S1B_S1C_jS1D_jS1E_S1E_jjS1G_bEUljE0_EEESZ_S10_S11_S18_S1C_S1E_T6_T7_T9_mT8_S1G_bDpT10_ENKUlT_T0_E_clISt17integral_constantIbLb1EES1U_EEDaS1P_S1Q_EUlS1P_E_NS1_11comp_targetILNS1_3genE3ELNS1_11target_archE908ELNS1_3gpuE7ELNS1_3repE0EEENS1_30default_config_static_selectorELNS0_4arch9wavefront6targetE1EEEvS12_,"axG",@progbits,_ZN7rocprim17ROCPRIM_400000_NS6detail17trampoline_kernelINS0_13select_configILj256ELj13ELNS0_17block_load_methodE3ELS4_3ELS4_3ELNS0_20block_scan_algorithmE0ELj4294967295EEENS1_25partition_config_selectorILNS1_17partition_subalgoE4EjNS0_10empty_typeEbEEZZNS1_14partition_implILS8_4ELb0ES6_15HIP_vector_typeIjLj2EENS0_17counting_iteratorIjlEEPS9_SG_NS0_5tupleIJPjSI_NS0_16reverse_iteratorISI_EEEEENSH_IJSG_SG_SG_EEES9_SI_JZNS1_25segmented_radix_sort_implINS0_14default_configELb1EPKaPaPKlPlN2at6native12_GLOBAL__N_18offset_tEEE10hipError_tPvRmT1_PNSt15iterator_traitsIS12_E10value_typeET2_T3_PNS13_IS18_E10value_typeET4_jRbjT5_S1E_jjP12ihipStream_tbEUljE_ZNSN_ISO_Lb1ESQ_SR_ST_SU_SY_EESZ_S10_S11_S12_S16_S17_S18_S1B_S1C_jS1D_jS1E_S1E_jjS1G_bEUljE0_EEESZ_S10_S11_S18_S1C_S1E_T6_T7_T9_mT8_S1G_bDpT10_ENKUlT_T0_E_clISt17integral_constantIbLb1EES1U_EEDaS1P_S1Q_EUlS1P_E_NS1_11comp_targetILNS1_3genE3ELNS1_11target_archE908ELNS1_3gpuE7ELNS1_3repE0EEENS1_30default_config_static_selectorELNS0_4arch9wavefront6targetE1EEEvS12_,comdat
	.globl	_ZN7rocprim17ROCPRIM_400000_NS6detail17trampoline_kernelINS0_13select_configILj256ELj13ELNS0_17block_load_methodE3ELS4_3ELS4_3ELNS0_20block_scan_algorithmE0ELj4294967295EEENS1_25partition_config_selectorILNS1_17partition_subalgoE4EjNS0_10empty_typeEbEEZZNS1_14partition_implILS8_4ELb0ES6_15HIP_vector_typeIjLj2EENS0_17counting_iteratorIjlEEPS9_SG_NS0_5tupleIJPjSI_NS0_16reverse_iteratorISI_EEEEENSH_IJSG_SG_SG_EEES9_SI_JZNS1_25segmented_radix_sort_implINS0_14default_configELb1EPKaPaPKlPlN2at6native12_GLOBAL__N_18offset_tEEE10hipError_tPvRmT1_PNSt15iterator_traitsIS12_E10value_typeET2_T3_PNS13_IS18_E10value_typeET4_jRbjT5_S1E_jjP12ihipStream_tbEUljE_ZNSN_ISO_Lb1ESQ_SR_ST_SU_SY_EESZ_S10_S11_S12_S16_S17_S18_S1B_S1C_jS1D_jS1E_S1E_jjS1G_bEUljE0_EEESZ_S10_S11_S18_S1C_S1E_T6_T7_T9_mT8_S1G_bDpT10_ENKUlT_T0_E_clISt17integral_constantIbLb1EES1U_EEDaS1P_S1Q_EUlS1P_E_NS1_11comp_targetILNS1_3genE3ELNS1_11target_archE908ELNS1_3gpuE7ELNS1_3repE0EEENS1_30default_config_static_selectorELNS0_4arch9wavefront6targetE1EEEvS12_ ; -- Begin function _ZN7rocprim17ROCPRIM_400000_NS6detail17trampoline_kernelINS0_13select_configILj256ELj13ELNS0_17block_load_methodE3ELS4_3ELS4_3ELNS0_20block_scan_algorithmE0ELj4294967295EEENS1_25partition_config_selectorILNS1_17partition_subalgoE4EjNS0_10empty_typeEbEEZZNS1_14partition_implILS8_4ELb0ES6_15HIP_vector_typeIjLj2EENS0_17counting_iteratorIjlEEPS9_SG_NS0_5tupleIJPjSI_NS0_16reverse_iteratorISI_EEEEENSH_IJSG_SG_SG_EEES9_SI_JZNS1_25segmented_radix_sort_implINS0_14default_configELb1EPKaPaPKlPlN2at6native12_GLOBAL__N_18offset_tEEE10hipError_tPvRmT1_PNSt15iterator_traitsIS12_E10value_typeET2_T3_PNS13_IS18_E10value_typeET4_jRbjT5_S1E_jjP12ihipStream_tbEUljE_ZNSN_ISO_Lb1ESQ_SR_ST_SU_SY_EESZ_S10_S11_S12_S16_S17_S18_S1B_S1C_jS1D_jS1E_S1E_jjS1G_bEUljE0_EEESZ_S10_S11_S18_S1C_S1E_T6_T7_T9_mT8_S1G_bDpT10_ENKUlT_T0_E_clISt17integral_constantIbLb1EES1U_EEDaS1P_S1Q_EUlS1P_E_NS1_11comp_targetILNS1_3genE3ELNS1_11target_archE908ELNS1_3gpuE7ELNS1_3repE0EEENS1_30default_config_static_selectorELNS0_4arch9wavefront6targetE1EEEvS12_
	.p2align	8
	.type	_ZN7rocprim17ROCPRIM_400000_NS6detail17trampoline_kernelINS0_13select_configILj256ELj13ELNS0_17block_load_methodE3ELS4_3ELS4_3ELNS0_20block_scan_algorithmE0ELj4294967295EEENS1_25partition_config_selectorILNS1_17partition_subalgoE4EjNS0_10empty_typeEbEEZZNS1_14partition_implILS8_4ELb0ES6_15HIP_vector_typeIjLj2EENS0_17counting_iteratorIjlEEPS9_SG_NS0_5tupleIJPjSI_NS0_16reverse_iteratorISI_EEEEENSH_IJSG_SG_SG_EEES9_SI_JZNS1_25segmented_radix_sort_implINS0_14default_configELb1EPKaPaPKlPlN2at6native12_GLOBAL__N_18offset_tEEE10hipError_tPvRmT1_PNSt15iterator_traitsIS12_E10value_typeET2_T3_PNS13_IS18_E10value_typeET4_jRbjT5_S1E_jjP12ihipStream_tbEUljE_ZNSN_ISO_Lb1ESQ_SR_ST_SU_SY_EESZ_S10_S11_S12_S16_S17_S18_S1B_S1C_jS1D_jS1E_S1E_jjS1G_bEUljE0_EEESZ_S10_S11_S18_S1C_S1E_T6_T7_T9_mT8_S1G_bDpT10_ENKUlT_T0_E_clISt17integral_constantIbLb1EES1U_EEDaS1P_S1Q_EUlS1P_E_NS1_11comp_targetILNS1_3genE3ELNS1_11target_archE908ELNS1_3gpuE7ELNS1_3repE0EEENS1_30default_config_static_selectorELNS0_4arch9wavefront6targetE1EEEvS12_,@function
_ZN7rocprim17ROCPRIM_400000_NS6detail17trampoline_kernelINS0_13select_configILj256ELj13ELNS0_17block_load_methodE3ELS4_3ELS4_3ELNS0_20block_scan_algorithmE0ELj4294967295EEENS1_25partition_config_selectorILNS1_17partition_subalgoE4EjNS0_10empty_typeEbEEZZNS1_14partition_implILS8_4ELb0ES6_15HIP_vector_typeIjLj2EENS0_17counting_iteratorIjlEEPS9_SG_NS0_5tupleIJPjSI_NS0_16reverse_iteratorISI_EEEEENSH_IJSG_SG_SG_EEES9_SI_JZNS1_25segmented_radix_sort_implINS0_14default_configELb1EPKaPaPKlPlN2at6native12_GLOBAL__N_18offset_tEEE10hipError_tPvRmT1_PNSt15iterator_traitsIS12_E10value_typeET2_T3_PNS13_IS18_E10value_typeET4_jRbjT5_S1E_jjP12ihipStream_tbEUljE_ZNSN_ISO_Lb1ESQ_SR_ST_SU_SY_EESZ_S10_S11_S12_S16_S17_S18_S1B_S1C_jS1D_jS1E_S1E_jjS1G_bEUljE0_EEESZ_S10_S11_S18_S1C_S1E_T6_T7_T9_mT8_S1G_bDpT10_ENKUlT_T0_E_clISt17integral_constantIbLb1EES1U_EEDaS1P_S1Q_EUlS1P_E_NS1_11comp_targetILNS1_3genE3ELNS1_11target_archE908ELNS1_3gpuE7ELNS1_3repE0EEENS1_30default_config_static_selectorELNS0_4arch9wavefront6targetE1EEEvS12_: ; @_ZN7rocprim17ROCPRIM_400000_NS6detail17trampoline_kernelINS0_13select_configILj256ELj13ELNS0_17block_load_methodE3ELS4_3ELS4_3ELNS0_20block_scan_algorithmE0ELj4294967295EEENS1_25partition_config_selectorILNS1_17partition_subalgoE4EjNS0_10empty_typeEbEEZZNS1_14partition_implILS8_4ELb0ES6_15HIP_vector_typeIjLj2EENS0_17counting_iteratorIjlEEPS9_SG_NS0_5tupleIJPjSI_NS0_16reverse_iteratorISI_EEEEENSH_IJSG_SG_SG_EEES9_SI_JZNS1_25segmented_radix_sort_implINS0_14default_configELb1EPKaPaPKlPlN2at6native12_GLOBAL__N_18offset_tEEE10hipError_tPvRmT1_PNSt15iterator_traitsIS12_E10value_typeET2_T3_PNS13_IS18_E10value_typeET4_jRbjT5_S1E_jjP12ihipStream_tbEUljE_ZNSN_ISO_Lb1ESQ_SR_ST_SU_SY_EESZ_S10_S11_S12_S16_S17_S18_S1B_S1C_jS1D_jS1E_S1E_jjS1G_bEUljE0_EEESZ_S10_S11_S18_S1C_S1E_T6_T7_T9_mT8_S1G_bDpT10_ENKUlT_T0_E_clISt17integral_constantIbLb1EES1U_EEDaS1P_S1Q_EUlS1P_E_NS1_11comp_targetILNS1_3genE3ELNS1_11target_archE908ELNS1_3gpuE7ELNS1_3repE0EEENS1_30default_config_static_selectorELNS0_4arch9wavefront6targetE1EEEvS12_
; %bb.0:
	.section	.rodata,"a",@progbits
	.p2align	6, 0x0
	.amdhsa_kernel _ZN7rocprim17ROCPRIM_400000_NS6detail17trampoline_kernelINS0_13select_configILj256ELj13ELNS0_17block_load_methodE3ELS4_3ELS4_3ELNS0_20block_scan_algorithmE0ELj4294967295EEENS1_25partition_config_selectorILNS1_17partition_subalgoE4EjNS0_10empty_typeEbEEZZNS1_14partition_implILS8_4ELb0ES6_15HIP_vector_typeIjLj2EENS0_17counting_iteratorIjlEEPS9_SG_NS0_5tupleIJPjSI_NS0_16reverse_iteratorISI_EEEEENSH_IJSG_SG_SG_EEES9_SI_JZNS1_25segmented_radix_sort_implINS0_14default_configELb1EPKaPaPKlPlN2at6native12_GLOBAL__N_18offset_tEEE10hipError_tPvRmT1_PNSt15iterator_traitsIS12_E10value_typeET2_T3_PNS13_IS18_E10value_typeET4_jRbjT5_S1E_jjP12ihipStream_tbEUljE_ZNSN_ISO_Lb1ESQ_SR_ST_SU_SY_EESZ_S10_S11_S12_S16_S17_S18_S1B_S1C_jS1D_jS1E_S1E_jjS1G_bEUljE0_EEESZ_S10_S11_S18_S1C_S1E_T6_T7_T9_mT8_S1G_bDpT10_ENKUlT_T0_E_clISt17integral_constantIbLb1EES1U_EEDaS1P_S1Q_EUlS1P_E_NS1_11comp_targetILNS1_3genE3ELNS1_11target_archE908ELNS1_3gpuE7ELNS1_3repE0EEENS1_30default_config_static_selectorELNS0_4arch9wavefront6targetE1EEEvS12_
		.amdhsa_group_segment_fixed_size 0
		.amdhsa_private_segment_fixed_size 0
		.amdhsa_kernarg_size 184
		.amdhsa_user_sgpr_count 6
		.amdhsa_user_sgpr_private_segment_buffer 1
		.amdhsa_user_sgpr_dispatch_ptr 0
		.amdhsa_user_sgpr_queue_ptr 0
		.amdhsa_user_sgpr_kernarg_segment_ptr 1
		.amdhsa_user_sgpr_dispatch_id 0
		.amdhsa_user_sgpr_flat_scratch_init 0
		.amdhsa_user_sgpr_private_segment_size 0
		.amdhsa_uses_dynamic_stack 0
		.amdhsa_system_sgpr_private_segment_wavefront_offset 0
		.amdhsa_system_sgpr_workgroup_id_x 1
		.amdhsa_system_sgpr_workgroup_id_y 0
		.amdhsa_system_sgpr_workgroup_id_z 0
		.amdhsa_system_sgpr_workgroup_info 0
		.amdhsa_system_vgpr_workitem_id 0
		.amdhsa_next_free_vgpr 1
		.amdhsa_next_free_sgpr 0
		.amdhsa_reserve_vcc 0
		.amdhsa_reserve_flat_scratch 0
		.amdhsa_float_round_mode_32 0
		.amdhsa_float_round_mode_16_64 0
		.amdhsa_float_denorm_mode_32 3
		.amdhsa_float_denorm_mode_16_64 3
		.amdhsa_dx10_clamp 1
		.amdhsa_ieee_mode 1
		.amdhsa_fp16_overflow 0
		.amdhsa_exception_fp_ieee_invalid_op 0
		.amdhsa_exception_fp_denorm_src 0
		.amdhsa_exception_fp_ieee_div_zero 0
		.amdhsa_exception_fp_ieee_overflow 0
		.amdhsa_exception_fp_ieee_underflow 0
		.amdhsa_exception_fp_ieee_inexact 0
		.amdhsa_exception_int_div_zero 0
	.end_amdhsa_kernel
	.section	.text._ZN7rocprim17ROCPRIM_400000_NS6detail17trampoline_kernelINS0_13select_configILj256ELj13ELNS0_17block_load_methodE3ELS4_3ELS4_3ELNS0_20block_scan_algorithmE0ELj4294967295EEENS1_25partition_config_selectorILNS1_17partition_subalgoE4EjNS0_10empty_typeEbEEZZNS1_14partition_implILS8_4ELb0ES6_15HIP_vector_typeIjLj2EENS0_17counting_iteratorIjlEEPS9_SG_NS0_5tupleIJPjSI_NS0_16reverse_iteratorISI_EEEEENSH_IJSG_SG_SG_EEES9_SI_JZNS1_25segmented_radix_sort_implINS0_14default_configELb1EPKaPaPKlPlN2at6native12_GLOBAL__N_18offset_tEEE10hipError_tPvRmT1_PNSt15iterator_traitsIS12_E10value_typeET2_T3_PNS13_IS18_E10value_typeET4_jRbjT5_S1E_jjP12ihipStream_tbEUljE_ZNSN_ISO_Lb1ESQ_SR_ST_SU_SY_EESZ_S10_S11_S12_S16_S17_S18_S1B_S1C_jS1D_jS1E_S1E_jjS1G_bEUljE0_EEESZ_S10_S11_S18_S1C_S1E_T6_T7_T9_mT8_S1G_bDpT10_ENKUlT_T0_E_clISt17integral_constantIbLb1EES1U_EEDaS1P_S1Q_EUlS1P_E_NS1_11comp_targetILNS1_3genE3ELNS1_11target_archE908ELNS1_3gpuE7ELNS1_3repE0EEENS1_30default_config_static_selectorELNS0_4arch9wavefront6targetE1EEEvS12_,"axG",@progbits,_ZN7rocprim17ROCPRIM_400000_NS6detail17trampoline_kernelINS0_13select_configILj256ELj13ELNS0_17block_load_methodE3ELS4_3ELS4_3ELNS0_20block_scan_algorithmE0ELj4294967295EEENS1_25partition_config_selectorILNS1_17partition_subalgoE4EjNS0_10empty_typeEbEEZZNS1_14partition_implILS8_4ELb0ES6_15HIP_vector_typeIjLj2EENS0_17counting_iteratorIjlEEPS9_SG_NS0_5tupleIJPjSI_NS0_16reverse_iteratorISI_EEEEENSH_IJSG_SG_SG_EEES9_SI_JZNS1_25segmented_radix_sort_implINS0_14default_configELb1EPKaPaPKlPlN2at6native12_GLOBAL__N_18offset_tEEE10hipError_tPvRmT1_PNSt15iterator_traitsIS12_E10value_typeET2_T3_PNS13_IS18_E10value_typeET4_jRbjT5_S1E_jjP12ihipStream_tbEUljE_ZNSN_ISO_Lb1ESQ_SR_ST_SU_SY_EESZ_S10_S11_S12_S16_S17_S18_S1B_S1C_jS1D_jS1E_S1E_jjS1G_bEUljE0_EEESZ_S10_S11_S18_S1C_S1E_T6_T7_T9_mT8_S1G_bDpT10_ENKUlT_T0_E_clISt17integral_constantIbLb1EES1U_EEDaS1P_S1Q_EUlS1P_E_NS1_11comp_targetILNS1_3genE3ELNS1_11target_archE908ELNS1_3gpuE7ELNS1_3repE0EEENS1_30default_config_static_selectorELNS0_4arch9wavefront6targetE1EEEvS12_,comdat
.Lfunc_end237:
	.size	_ZN7rocprim17ROCPRIM_400000_NS6detail17trampoline_kernelINS0_13select_configILj256ELj13ELNS0_17block_load_methodE3ELS4_3ELS4_3ELNS0_20block_scan_algorithmE0ELj4294967295EEENS1_25partition_config_selectorILNS1_17partition_subalgoE4EjNS0_10empty_typeEbEEZZNS1_14partition_implILS8_4ELb0ES6_15HIP_vector_typeIjLj2EENS0_17counting_iteratorIjlEEPS9_SG_NS0_5tupleIJPjSI_NS0_16reverse_iteratorISI_EEEEENSH_IJSG_SG_SG_EEES9_SI_JZNS1_25segmented_radix_sort_implINS0_14default_configELb1EPKaPaPKlPlN2at6native12_GLOBAL__N_18offset_tEEE10hipError_tPvRmT1_PNSt15iterator_traitsIS12_E10value_typeET2_T3_PNS13_IS18_E10value_typeET4_jRbjT5_S1E_jjP12ihipStream_tbEUljE_ZNSN_ISO_Lb1ESQ_SR_ST_SU_SY_EESZ_S10_S11_S12_S16_S17_S18_S1B_S1C_jS1D_jS1E_S1E_jjS1G_bEUljE0_EEESZ_S10_S11_S18_S1C_S1E_T6_T7_T9_mT8_S1G_bDpT10_ENKUlT_T0_E_clISt17integral_constantIbLb1EES1U_EEDaS1P_S1Q_EUlS1P_E_NS1_11comp_targetILNS1_3genE3ELNS1_11target_archE908ELNS1_3gpuE7ELNS1_3repE0EEENS1_30default_config_static_selectorELNS0_4arch9wavefront6targetE1EEEvS12_, .Lfunc_end237-_ZN7rocprim17ROCPRIM_400000_NS6detail17trampoline_kernelINS0_13select_configILj256ELj13ELNS0_17block_load_methodE3ELS4_3ELS4_3ELNS0_20block_scan_algorithmE0ELj4294967295EEENS1_25partition_config_selectorILNS1_17partition_subalgoE4EjNS0_10empty_typeEbEEZZNS1_14partition_implILS8_4ELb0ES6_15HIP_vector_typeIjLj2EENS0_17counting_iteratorIjlEEPS9_SG_NS0_5tupleIJPjSI_NS0_16reverse_iteratorISI_EEEEENSH_IJSG_SG_SG_EEES9_SI_JZNS1_25segmented_radix_sort_implINS0_14default_configELb1EPKaPaPKlPlN2at6native12_GLOBAL__N_18offset_tEEE10hipError_tPvRmT1_PNSt15iterator_traitsIS12_E10value_typeET2_T3_PNS13_IS18_E10value_typeET4_jRbjT5_S1E_jjP12ihipStream_tbEUljE_ZNSN_ISO_Lb1ESQ_SR_ST_SU_SY_EESZ_S10_S11_S12_S16_S17_S18_S1B_S1C_jS1D_jS1E_S1E_jjS1G_bEUljE0_EEESZ_S10_S11_S18_S1C_S1E_T6_T7_T9_mT8_S1G_bDpT10_ENKUlT_T0_E_clISt17integral_constantIbLb1EES1U_EEDaS1P_S1Q_EUlS1P_E_NS1_11comp_targetILNS1_3genE3ELNS1_11target_archE908ELNS1_3gpuE7ELNS1_3repE0EEENS1_30default_config_static_selectorELNS0_4arch9wavefront6targetE1EEEvS12_
                                        ; -- End function
	.set _ZN7rocprim17ROCPRIM_400000_NS6detail17trampoline_kernelINS0_13select_configILj256ELj13ELNS0_17block_load_methodE3ELS4_3ELS4_3ELNS0_20block_scan_algorithmE0ELj4294967295EEENS1_25partition_config_selectorILNS1_17partition_subalgoE4EjNS0_10empty_typeEbEEZZNS1_14partition_implILS8_4ELb0ES6_15HIP_vector_typeIjLj2EENS0_17counting_iteratorIjlEEPS9_SG_NS0_5tupleIJPjSI_NS0_16reverse_iteratorISI_EEEEENSH_IJSG_SG_SG_EEES9_SI_JZNS1_25segmented_radix_sort_implINS0_14default_configELb1EPKaPaPKlPlN2at6native12_GLOBAL__N_18offset_tEEE10hipError_tPvRmT1_PNSt15iterator_traitsIS12_E10value_typeET2_T3_PNS13_IS18_E10value_typeET4_jRbjT5_S1E_jjP12ihipStream_tbEUljE_ZNSN_ISO_Lb1ESQ_SR_ST_SU_SY_EESZ_S10_S11_S12_S16_S17_S18_S1B_S1C_jS1D_jS1E_S1E_jjS1G_bEUljE0_EEESZ_S10_S11_S18_S1C_S1E_T6_T7_T9_mT8_S1G_bDpT10_ENKUlT_T0_E_clISt17integral_constantIbLb1EES1U_EEDaS1P_S1Q_EUlS1P_E_NS1_11comp_targetILNS1_3genE3ELNS1_11target_archE908ELNS1_3gpuE7ELNS1_3repE0EEENS1_30default_config_static_selectorELNS0_4arch9wavefront6targetE1EEEvS12_.num_vgpr, 0
	.set _ZN7rocprim17ROCPRIM_400000_NS6detail17trampoline_kernelINS0_13select_configILj256ELj13ELNS0_17block_load_methodE3ELS4_3ELS4_3ELNS0_20block_scan_algorithmE0ELj4294967295EEENS1_25partition_config_selectorILNS1_17partition_subalgoE4EjNS0_10empty_typeEbEEZZNS1_14partition_implILS8_4ELb0ES6_15HIP_vector_typeIjLj2EENS0_17counting_iteratorIjlEEPS9_SG_NS0_5tupleIJPjSI_NS0_16reverse_iteratorISI_EEEEENSH_IJSG_SG_SG_EEES9_SI_JZNS1_25segmented_radix_sort_implINS0_14default_configELb1EPKaPaPKlPlN2at6native12_GLOBAL__N_18offset_tEEE10hipError_tPvRmT1_PNSt15iterator_traitsIS12_E10value_typeET2_T3_PNS13_IS18_E10value_typeET4_jRbjT5_S1E_jjP12ihipStream_tbEUljE_ZNSN_ISO_Lb1ESQ_SR_ST_SU_SY_EESZ_S10_S11_S12_S16_S17_S18_S1B_S1C_jS1D_jS1E_S1E_jjS1G_bEUljE0_EEESZ_S10_S11_S18_S1C_S1E_T6_T7_T9_mT8_S1G_bDpT10_ENKUlT_T0_E_clISt17integral_constantIbLb1EES1U_EEDaS1P_S1Q_EUlS1P_E_NS1_11comp_targetILNS1_3genE3ELNS1_11target_archE908ELNS1_3gpuE7ELNS1_3repE0EEENS1_30default_config_static_selectorELNS0_4arch9wavefront6targetE1EEEvS12_.num_agpr, 0
	.set _ZN7rocprim17ROCPRIM_400000_NS6detail17trampoline_kernelINS0_13select_configILj256ELj13ELNS0_17block_load_methodE3ELS4_3ELS4_3ELNS0_20block_scan_algorithmE0ELj4294967295EEENS1_25partition_config_selectorILNS1_17partition_subalgoE4EjNS0_10empty_typeEbEEZZNS1_14partition_implILS8_4ELb0ES6_15HIP_vector_typeIjLj2EENS0_17counting_iteratorIjlEEPS9_SG_NS0_5tupleIJPjSI_NS0_16reverse_iteratorISI_EEEEENSH_IJSG_SG_SG_EEES9_SI_JZNS1_25segmented_radix_sort_implINS0_14default_configELb1EPKaPaPKlPlN2at6native12_GLOBAL__N_18offset_tEEE10hipError_tPvRmT1_PNSt15iterator_traitsIS12_E10value_typeET2_T3_PNS13_IS18_E10value_typeET4_jRbjT5_S1E_jjP12ihipStream_tbEUljE_ZNSN_ISO_Lb1ESQ_SR_ST_SU_SY_EESZ_S10_S11_S12_S16_S17_S18_S1B_S1C_jS1D_jS1E_S1E_jjS1G_bEUljE0_EEESZ_S10_S11_S18_S1C_S1E_T6_T7_T9_mT8_S1G_bDpT10_ENKUlT_T0_E_clISt17integral_constantIbLb1EES1U_EEDaS1P_S1Q_EUlS1P_E_NS1_11comp_targetILNS1_3genE3ELNS1_11target_archE908ELNS1_3gpuE7ELNS1_3repE0EEENS1_30default_config_static_selectorELNS0_4arch9wavefront6targetE1EEEvS12_.numbered_sgpr, 0
	.set _ZN7rocprim17ROCPRIM_400000_NS6detail17trampoline_kernelINS0_13select_configILj256ELj13ELNS0_17block_load_methodE3ELS4_3ELS4_3ELNS0_20block_scan_algorithmE0ELj4294967295EEENS1_25partition_config_selectorILNS1_17partition_subalgoE4EjNS0_10empty_typeEbEEZZNS1_14partition_implILS8_4ELb0ES6_15HIP_vector_typeIjLj2EENS0_17counting_iteratorIjlEEPS9_SG_NS0_5tupleIJPjSI_NS0_16reverse_iteratorISI_EEEEENSH_IJSG_SG_SG_EEES9_SI_JZNS1_25segmented_radix_sort_implINS0_14default_configELb1EPKaPaPKlPlN2at6native12_GLOBAL__N_18offset_tEEE10hipError_tPvRmT1_PNSt15iterator_traitsIS12_E10value_typeET2_T3_PNS13_IS18_E10value_typeET4_jRbjT5_S1E_jjP12ihipStream_tbEUljE_ZNSN_ISO_Lb1ESQ_SR_ST_SU_SY_EESZ_S10_S11_S12_S16_S17_S18_S1B_S1C_jS1D_jS1E_S1E_jjS1G_bEUljE0_EEESZ_S10_S11_S18_S1C_S1E_T6_T7_T9_mT8_S1G_bDpT10_ENKUlT_T0_E_clISt17integral_constantIbLb1EES1U_EEDaS1P_S1Q_EUlS1P_E_NS1_11comp_targetILNS1_3genE3ELNS1_11target_archE908ELNS1_3gpuE7ELNS1_3repE0EEENS1_30default_config_static_selectorELNS0_4arch9wavefront6targetE1EEEvS12_.num_named_barrier, 0
	.set _ZN7rocprim17ROCPRIM_400000_NS6detail17trampoline_kernelINS0_13select_configILj256ELj13ELNS0_17block_load_methodE3ELS4_3ELS4_3ELNS0_20block_scan_algorithmE0ELj4294967295EEENS1_25partition_config_selectorILNS1_17partition_subalgoE4EjNS0_10empty_typeEbEEZZNS1_14partition_implILS8_4ELb0ES6_15HIP_vector_typeIjLj2EENS0_17counting_iteratorIjlEEPS9_SG_NS0_5tupleIJPjSI_NS0_16reverse_iteratorISI_EEEEENSH_IJSG_SG_SG_EEES9_SI_JZNS1_25segmented_radix_sort_implINS0_14default_configELb1EPKaPaPKlPlN2at6native12_GLOBAL__N_18offset_tEEE10hipError_tPvRmT1_PNSt15iterator_traitsIS12_E10value_typeET2_T3_PNS13_IS18_E10value_typeET4_jRbjT5_S1E_jjP12ihipStream_tbEUljE_ZNSN_ISO_Lb1ESQ_SR_ST_SU_SY_EESZ_S10_S11_S12_S16_S17_S18_S1B_S1C_jS1D_jS1E_S1E_jjS1G_bEUljE0_EEESZ_S10_S11_S18_S1C_S1E_T6_T7_T9_mT8_S1G_bDpT10_ENKUlT_T0_E_clISt17integral_constantIbLb1EES1U_EEDaS1P_S1Q_EUlS1P_E_NS1_11comp_targetILNS1_3genE3ELNS1_11target_archE908ELNS1_3gpuE7ELNS1_3repE0EEENS1_30default_config_static_selectorELNS0_4arch9wavefront6targetE1EEEvS12_.private_seg_size, 0
	.set _ZN7rocprim17ROCPRIM_400000_NS6detail17trampoline_kernelINS0_13select_configILj256ELj13ELNS0_17block_load_methodE3ELS4_3ELS4_3ELNS0_20block_scan_algorithmE0ELj4294967295EEENS1_25partition_config_selectorILNS1_17partition_subalgoE4EjNS0_10empty_typeEbEEZZNS1_14partition_implILS8_4ELb0ES6_15HIP_vector_typeIjLj2EENS0_17counting_iteratorIjlEEPS9_SG_NS0_5tupleIJPjSI_NS0_16reverse_iteratorISI_EEEEENSH_IJSG_SG_SG_EEES9_SI_JZNS1_25segmented_radix_sort_implINS0_14default_configELb1EPKaPaPKlPlN2at6native12_GLOBAL__N_18offset_tEEE10hipError_tPvRmT1_PNSt15iterator_traitsIS12_E10value_typeET2_T3_PNS13_IS18_E10value_typeET4_jRbjT5_S1E_jjP12ihipStream_tbEUljE_ZNSN_ISO_Lb1ESQ_SR_ST_SU_SY_EESZ_S10_S11_S12_S16_S17_S18_S1B_S1C_jS1D_jS1E_S1E_jjS1G_bEUljE0_EEESZ_S10_S11_S18_S1C_S1E_T6_T7_T9_mT8_S1G_bDpT10_ENKUlT_T0_E_clISt17integral_constantIbLb1EES1U_EEDaS1P_S1Q_EUlS1P_E_NS1_11comp_targetILNS1_3genE3ELNS1_11target_archE908ELNS1_3gpuE7ELNS1_3repE0EEENS1_30default_config_static_selectorELNS0_4arch9wavefront6targetE1EEEvS12_.uses_vcc, 0
	.set _ZN7rocprim17ROCPRIM_400000_NS6detail17trampoline_kernelINS0_13select_configILj256ELj13ELNS0_17block_load_methodE3ELS4_3ELS4_3ELNS0_20block_scan_algorithmE0ELj4294967295EEENS1_25partition_config_selectorILNS1_17partition_subalgoE4EjNS0_10empty_typeEbEEZZNS1_14partition_implILS8_4ELb0ES6_15HIP_vector_typeIjLj2EENS0_17counting_iteratorIjlEEPS9_SG_NS0_5tupleIJPjSI_NS0_16reverse_iteratorISI_EEEEENSH_IJSG_SG_SG_EEES9_SI_JZNS1_25segmented_radix_sort_implINS0_14default_configELb1EPKaPaPKlPlN2at6native12_GLOBAL__N_18offset_tEEE10hipError_tPvRmT1_PNSt15iterator_traitsIS12_E10value_typeET2_T3_PNS13_IS18_E10value_typeET4_jRbjT5_S1E_jjP12ihipStream_tbEUljE_ZNSN_ISO_Lb1ESQ_SR_ST_SU_SY_EESZ_S10_S11_S12_S16_S17_S18_S1B_S1C_jS1D_jS1E_S1E_jjS1G_bEUljE0_EEESZ_S10_S11_S18_S1C_S1E_T6_T7_T9_mT8_S1G_bDpT10_ENKUlT_T0_E_clISt17integral_constantIbLb1EES1U_EEDaS1P_S1Q_EUlS1P_E_NS1_11comp_targetILNS1_3genE3ELNS1_11target_archE908ELNS1_3gpuE7ELNS1_3repE0EEENS1_30default_config_static_selectorELNS0_4arch9wavefront6targetE1EEEvS12_.uses_flat_scratch, 0
	.set _ZN7rocprim17ROCPRIM_400000_NS6detail17trampoline_kernelINS0_13select_configILj256ELj13ELNS0_17block_load_methodE3ELS4_3ELS4_3ELNS0_20block_scan_algorithmE0ELj4294967295EEENS1_25partition_config_selectorILNS1_17partition_subalgoE4EjNS0_10empty_typeEbEEZZNS1_14partition_implILS8_4ELb0ES6_15HIP_vector_typeIjLj2EENS0_17counting_iteratorIjlEEPS9_SG_NS0_5tupleIJPjSI_NS0_16reverse_iteratorISI_EEEEENSH_IJSG_SG_SG_EEES9_SI_JZNS1_25segmented_radix_sort_implINS0_14default_configELb1EPKaPaPKlPlN2at6native12_GLOBAL__N_18offset_tEEE10hipError_tPvRmT1_PNSt15iterator_traitsIS12_E10value_typeET2_T3_PNS13_IS18_E10value_typeET4_jRbjT5_S1E_jjP12ihipStream_tbEUljE_ZNSN_ISO_Lb1ESQ_SR_ST_SU_SY_EESZ_S10_S11_S12_S16_S17_S18_S1B_S1C_jS1D_jS1E_S1E_jjS1G_bEUljE0_EEESZ_S10_S11_S18_S1C_S1E_T6_T7_T9_mT8_S1G_bDpT10_ENKUlT_T0_E_clISt17integral_constantIbLb1EES1U_EEDaS1P_S1Q_EUlS1P_E_NS1_11comp_targetILNS1_3genE3ELNS1_11target_archE908ELNS1_3gpuE7ELNS1_3repE0EEENS1_30default_config_static_selectorELNS0_4arch9wavefront6targetE1EEEvS12_.has_dyn_sized_stack, 0
	.set _ZN7rocprim17ROCPRIM_400000_NS6detail17trampoline_kernelINS0_13select_configILj256ELj13ELNS0_17block_load_methodE3ELS4_3ELS4_3ELNS0_20block_scan_algorithmE0ELj4294967295EEENS1_25partition_config_selectorILNS1_17partition_subalgoE4EjNS0_10empty_typeEbEEZZNS1_14partition_implILS8_4ELb0ES6_15HIP_vector_typeIjLj2EENS0_17counting_iteratorIjlEEPS9_SG_NS0_5tupleIJPjSI_NS0_16reverse_iteratorISI_EEEEENSH_IJSG_SG_SG_EEES9_SI_JZNS1_25segmented_radix_sort_implINS0_14default_configELb1EPKaPaPKlPlN2at6native12_GLOBAL__N_18offset_tEEE10hipError_tPvRmT1_PNSt15iterator_traitsIS12_E10value_typeET2_T3_PNS13_IS18_E10value_typeET4_jRbjT5_S1E_jjP12ihipStream_tbEUljE_ZNSN_ISO_Lb1ESQ_SR_ST_SU_SY_EESZ_S10_S11_S12_S16_S17_S18_S1B_S1C_jS1D_jS1E_S1E_jjS1G_bEUljE0_EEESZ_S10_S11_S18_S1C_S1E_T6_T7_T9_mT8_S1G_bDpT10_ENKUlT_T0_E_clISt17integral_constantIbLb1EES1U_EEDaS1P_S1Q_EUlS1P_E_NS1_11comp_targetILNS1_3genE3ELNS1_11target_archE908ELNS1_3gpuE7ELNS1_3repE0EEENS1_30default_config_static_selectorELNS0_4arch9wavefront6targetE1EEEvS12_.has_recursion, 0
	.set _ZN7rocprim17ROCPRIM_400000_NS6detail17trampoline_kernelINS0_13select_configILj256ELj13ELNS0_17block_load_methodE3ELS4_3ELS4_3ELNS0_20block_scan_algorithmE0ELj4294967295EEENS1_25partition_config_selectorILNS1_17partition_subalgoE4EjNS0_10empty_typeEbEEZZNS1_14partition_implILS8_4ELb0ES6_15HIP_vector_typeIjLj2EENS0_17counting_iteratorIjlEEPS9_SG_NS0_5tupleIJPjSI_NS0_16reverse_iteratorISI_EEEEENSH_IJSG_SG_SG_EEES9_SI_JZNS1_25segmented_radix_sort_implINS0_14default_configELb1EPKaPaPKlPlN2at6native12_GLOBAL__N_18offset_tEEE10hipError_tPvRmT1_PNSt15iterator_traitsIS12_E10value_typeET2_T3_PNS13_IS18_E10value_typeET4_jRbjT5_S1E_jjP12ihipStream_tbEUljE_ZNSN_ISO_Lb1ESQ_SR_ST_SU_SY_EESZ_S10_S11_S12_S16_S17_S18_S1B_S1C_jS1D_jS1E_S1E_jjS1G_bEUljE0_EEESZ_S10_S11_S18_S1C_S1E_T6_T7_T9_mT8_S1G_bDpT10_ENKUlT_T0_E_clISt17integral_constantIbLb1EES1U_EEDaS1P_S1Q_EUlS1P_E_NS1_11comp_targetILNS1_3genE3ELNS1_11target_archE908ELNS1_3gpuE7ELNS1_3repE0EEENS1_30default_config_static_selectorELNS0_4arch9wavefront6targetE1EEEvS12_.has_indirect_call, 0
	.section	.AMDGPU.csdata,"",@progbits
; Kernel info:
; codeLenInByte = 0
; TotalNumSgprs: 4
; NumVgprs: 0
; ScratchSize: 0
; MemoryBound: 0
; FloatMode: 240
; IeeeMode: 1
; LDSByteSize: 0 bytes/workgroup (compile time only)
; SGPRBlocks: 0
; VGPRBlocks: 0
; NumSGPRsForWavesPerEU: 4
; NumVGPRsForWavesPerEU: 1
; Occupancy: 10
; WaveLimiterHint : 0
; COMPUTE_PGM_RSRC2:SCRATCH_EN: 0
; COMPUTE_PGM_RSRC2:USER_SGPR: 6
; COMPUTE_PGM_RSRC2:TRAP_HANDLER: 0
; COMPUTE_PGM_RSRC2:TGID_X_EN: 1
; COMPUTE_PGM_RSRC2:TGID_Y_EN: 0
; COMPUTE_PGM_RSRC2:TGID_Z_EN: 0
; COMPUTE_PGM_RSRC2:TIDIG_COMP_CNT: 0
	.section	.text._ZN7rocprim17ROCPRIM_400000_NS6detail17trampoline_kernelINS0_13select_configILj256ELj13ELNS0_17block_load_methodE3ELS4_3ELS4_3ELNS0_20block_scan_algorithmE0ELj4294967295EEENS1_25partition_config_selectorILNS1_17partition_subalgoE4EjNS0_10empty_typeEbEEZZNS1_14partition_implILS8_4ELb0ES6_15HIP_vector_typeIjLj2EENS0_17counting_iteratorIjlEEPS9_SG_NS0_5tupleIJPjSI_NS0_16reverse_iteratorISI_EEEEENSH_IJSG_SG_SG_EEES9_SI_JZNS1_25segmented_radix_sort_implINS0_14default_configELb1EPKaPaPKlPlN2at6native12_GLOBAL__N_18offset_tEEE10hipError_tPvRmT1_PNSt15iterator_traitsIS12_E10value_typeET2_T3_PNS13_IS18_E10value_typeET4_jRbjT5_S1E_jjP12ihipStream_tbEUljE_ZNSN_ISO_Lb1ESQ_SR_ST_SU_SY_EESZ_S10_S11_S12_S16_S17_S18_S1B_S1C_jS1D_jS1E_S1E_jjS1G_bEUljE0_EEESZ_S10_S11_S18_S1C_S1E_T6_T7_T9_mT8_S1G_bDpT10_ENKUlT_T0_E_clISt17integral_constantIbLb1EES1U_EEDaS1P_S1Q_EUlS1P_E_NS1_11comp_targetILNS1_3genE2ELNS1_11target_archE906ELNS1_3gpuE6ELNS1_3repE0EEENS1_30default_config_static_selectorELNS0_4arch9wavefront6targetE1EEEvS12_,"axG",@progbits,_ZN7rocprim17ROCPRIM_400000_NS6detail17trampoline_kernelINS0_13select_configILj256ELj13ELNS0_17block_load_methodE3ELS4_3ELS4_3ELNS0_20block_scan_algorithmE0ELj4294967295EEENS1_25partition_config_selectorILNS1_17partition_subalgoE4EjNS0_10empty_typeEbEEZZNS1_14partition_implILS8_4ELb0ES6_15HIP_vector_typeIjLj2EENS0_17counting_iteratorIjlEEPS9_SG_NS0_5tupleIJPjSI_NS0_16reverse_iteratorISI_EEEEENSH_IJSG_SG_SG_EEES9_SI_JZNS1_25segmented_radix_sort_implINS0_14default_configELb1EPKaPaPKlPlN2at6native12_GLOBAL__N_18offset_tEEE10hipError_tPvRmT1_PNSt15iterator_traitsIS12_E10value_typeET2_T3_PNS13_IS18_E10value_typeET4_jRbjT5_S1E_jjP12ihipStream_tbEUljE_ZNSN_ISO_Lb1ESQ_SR_ST_SU_SY_EESZ_S10_S11_S12_S16_S17_S18_S1B_S1C_jS1D_jS1E_S1E_jjS1G_bEUljE0_EEESZ_S10_S11_S18_S1C_S1E_T6_T7_T9_mT8_S1G_bDpT10_ENKUlT_T0_E_clISt17integral_constantIbLb1EES1U_EEDaS1P_S1Q_EUlS1P_E_NS1_11comp_targetILNS1_3genE2ELNS1_11target_archE906ELNS1_3gpuE6ELNS1_3repE0EEENS1_30default_config_static_selectorELNS0_4arch9wavefront6targetE1EEEvS12_,comdat
	.globl	_ZN7rocprim17ROCPRIM_400000_NS6detail17trampoline_kernelINS0_13select_configILj256ELj13ELNS0_17block_load_methodE3ELS4_3ELS4_3ELNS0_20block_scan_algorithmE0ELj4294967295EEENS1_25partition_config_selectorILNS1_17partition_subalgoE4EjNS0_10empty_typeEbEEZZNS1_14partition_implILS8_4ELb0ES6_15HIP_vector_typeIjLj2EENS0_17counting_iteratorIjlEEPS9_SG_NS0_5tupleIJPjSI_NS0_16reverse_iteratorISI_EEEEENSH_IJSG_SG_SG_EEES9_SI_JZNS1_25segmented_radix_sort_implINS0_14default_configELb1EPKaPaPKlPlN2at6native12_GLOBAL__N_18offset_tEEE10hipError_tPvRmT1_PNSt15iterator_traitsIS12_E10value_typeET2_T3_PNS13_IS18_E10value_typeET4_jRbjT5_S1E_jjP12ihipStream_tbEUljE_ZNSN_ISO_Lb1ESQ_SR_ST_SU_SY_EESZ_S10_S11_S12_S16_S17_S18_S1B_S1C_jS1D_jS1E_S1E_jjS1G_bEUljE0_EEESZ_S10_S11_S18_S1C_S1E_T6_T7_T9_mT8_S1G_bDpT10_ENKUlT_T0_E_clISt17integral_constantIbLb1EES1U_EEDaS1P_S1Q_EUlS1P_E_NS1_11comp_targetILNS1_3genE2ELNS1_11target_archE906ELNS1_3gpuE6ELNS1_3repE0EEENS1_30default_config_static_selectorELNS0_4arch9wavefront6targetE1EEEvS12_ ; -- Begin function _ZN7rocprim17ROCPRIM_400000_NS6detail17trampoline_kernelINS0_13select_configILj256ELj13ELNS0_17block_load_methodE3ELS4_3ELS4_3ELNS0_20block_scan_algorithmE0ELj4294967295EEENS1_25partition_config_selectorILNS1_17partition_subalgoE4EjNS0_10empty_typeEbEEZZNS1_14partition_implILS8_4ELb0ES6_15HIP_vector_typeIjLj2EENS0_17counting_iteratorIjlEEPS9_SG_NS0_5tupleIJPjSI_NS0_16reverse_iteratorISI_EEEEENSH_IJSG_SG_SG_EEES9_SI_JZNS1_25segmented_radix_sort_implINS0_14default_configELb1EPKaPaPKlPlN2at6native12_GLOBAL__N_18offset_tEEE10hipError_tPvRmT1_PNSt15iterator_traitsIS12_E10value_typeET2_T3_PNS13_IS18_E10value_typeET4_jRbjT5_S1E_jjP12ihipStream_tbEUljE_ZNSN_ISO_Lb1ESQ_SR_ST_SU_SY_EESZ_S10_S11_S12_S16_S17_S18_S1B_S1C_jS1D_jS1E_S1E_jjS1G_bEUljE0_EEESZ_S10_S11_S18_S1C_S1E_T6_T7_T9_mT8_S1G_bDpT10_ENKUlT_T0_E_clISt17integral_constantIbLb1EES1U_EEDaS1P_S1Q_EUlS1P_E_NS1_11comp_targetILNS1_3genE2ELNS1_11target_archE906ELNS1_3gpuE6ELNS1_3repE0EEENS1_30default_config_static_selectorELNS0_4arch9wavefront6targetE1EEEvS12_
	.p2align	8
	.type	_ZN7rocprim17ROCPRIM_400000_NS6detail17trampoline_kernelINS0_13select_configILj256ELj13ELNS0_17block_load_methodE3ELS4_3ELS4_3ELNS0_20block_scan_algorithmE0ELj4294967295EEENS1_25partition_config_selectorILNS1_17partition_subalgoE4EjNS0_10empty_typeEbEEZZNS1_14partition_implILS8_4ELb0ES6_15HIP_vector_typeIjLj2EENS0_17counting_iteratorIjlEEPS9_SG_NS0_5tupleIJPjSI_NS0_16reverse_iteratorISI_EEEEENSH_IJSG_SG_SG_EEES9_SI_JZNS1_25segmented_radix_sort_implINS0_14default_configELb1EPKaPaPKlPlN2at6native12_GLOBAL__N_18offset_tEEE10hipError_tPvRmT1_PNSt15iterator_traitsIS12_E10value_typeET2_T3_PNS13_IS18_E10value_typeET4_jRbjT5_S1E_jjP12ihipStream_tbEUljE_ZNSN_ISO_Lb1ESQ_SR_ST_SU_SY_EESZ_S10_S11_S12_S16_S17_S18_S1B_S1C_jS1D_jS1E_S1E_jjS1G_bEUljE0_EEESZ_S10_S11_S18_S1C_S1E_T6_T7_T9_mT8_S1G_bDpT10_ENKUlT_T0_E_clISt17integral_constantIbLb1EES1U_EEDaS1P_S1Q_EUlS1P_E_NS1_11comp_targetILNS1_3genE2ELNS1_11target_archE906ELNS1_3gpuE6ELNS1_3repE0EEENS1_30default_config_static_selectorELNS0_4arch9wavefront6targetE1EEEvS12_,@function
_ZN7rocprim17ROCPRIM_400000_NS6detail17trampoline_kernelINS0_13select_configILj256ELj13ELNS0_17block_load_methodE3ELS4_3ELS4_3ELNS0_20block_scan_algorithmE0ELj4294967295EEENS1_25partition_config_selectorILNS1_17partition_subalgoE4EjNS0_10empty_typeEbEEZZNS1_14partition_implILS8_4ELb0ES6_15HIP_vector_typeIjLj2EENS0_17counting_iteratorIjlEEPS9_SG_NS0_5tupleIJPjSI_NS0_16reverse_iteratorISI_EEEEENSH_IJSG_SG_SG_EEES9_SI_JZNS1_25segmented_radix_sort_implINS0_14default_configELb1EPKaPaPKlPlN2at6native12_GLOBAL__N_18offset_tEEE10hipError_tPvRmT1_PNSt15iterator_traitsIS12_E10value_typeET2_T3_PNS13_IS18_E10value_typeET4_jRbjT5_S1E_jjP12ihipStream_tbEUljE_ZNSN_ISO_Lb1ESQ_SR_ST_SU_SY_EESZ_S10_S11_S12_S16_S17_S18_S1B_S1C_jS1D_jS1E_S1E_jjS1G_bEUljE0_EEESZ_S10_S11_S18_S1C_S1E_T6_T7_T9_mT8_S1G_bDpT10_ENKUlT_T0_E_clISt17integral_constantIbLb1EES1U_EEDaS1P_S1Q_EUlS1P_E_NS1_11comp_targetILNS1_3genE2ELNS1_11target_archE906ELNS1_3gpuE6ELNS1_3repE0EEENS1_30default_config_static_selectorELNS0_4arch9wavefront6targetE1EEEvS12_: ; @_ZN7rocprim17ROCPRIM_400000_NS6detail17trampoline_kernelINS0_13select_configILj256ELj13ELNS0_17block_load_methodE3ELS4_3ELS4_3ELNS0_20block_scan_algorithmE0ELj4294967295EEENS1_25partition_config_selectorILNS1_17partition_subalgoE4EjNS0_10empty_typeEbEEZZNS1_14partition_implILS8_4ELb0ES6_15HIP_vector_typeIjLj2EENS0_17counting_iteratorIjlEEPS9_SG_NS0_5tupleIJPjSI_NS0_16reverse_iteratorISI_EEEEENSH_IJSG_SG_SG_EEES9_SI_JZNS1_25segmented_radix_sort_implINS0_14default_configELb1EPKaPaPKlPlN2at6native12_GLOBAL__N_18offset_tEEE10hipError_tPvRmT1_PNSt15iterator_traitsIS12_E10value_typeET2_T3_PNS13_IS18_E10value_typeET4_jRbjT5_S1E_jjP12ihipStream_tbEUljE_ZNSN_ISO_Lb1ESQ_SR_ST_SU_SY_EESZ_S10_S11_S12_S16_S17_S18_S1B_S1C_jS1D_jS1E_S1E_jjS1G_bEUljE0_EEESZ_S10_S11_S18_S1C_S1E_T6_T7_T9_mT8_S1G_bDpT10_ENKUlT_T0_E_clISt17integral_constantIbLb1EES1U_EEDaS1P_S1Q_EUlS1P_E_NS1_11comp_targetILNS1_3genE2ELNS1_11target_archE906ELNS1_3gpuE6ELNS1_3repE0EEENS1_30default_config_static_selectorELNS0_4arch9wavefront6targetE1EEEvS12_
; %bb.0:
	s_endpgm
	.section	.rodata,"a",@progbits
	.p2align	6, 0x0
	.amdhsa_kernel _ZN7rocprim17ROCPRIM_400000_NS6detail17trampoline_kernelINS0_13select_configILj256ELj13ELNS0_17block_load_methodE3ELS4_3ELS4_3ELNS0_20block_scan_algorithmE0ELj4294967295EEENS1_25partition_config_selectorILNS1_17partition_subalgoE4EjNS0_10empty_typeEbEEZZNS1_14partition_implILS8_4ELb0ES6_15HIP_vector_typeIjLj2EENS0_17counting_iteratorIjlEEPS9_SG_NS0_5tupleIJPjSI_NS0_16reverse_iteratorISI_EEEEENSH_IJSG_SG_SG_EEES9_SI_JZNS1_25segmented_radix_sort_implINS0_14default_configELb1EPKaPaPKlPlN2at6native12_GLOBAL__N_18offset_tEEE10hipError_tPvRmT1_PNSt15iterator_traitsIS12_E10value_typeET2_T3_PNS13_IS18_E10value_typeET4_jRbjT5_S1E_jjP12ihipStream_tbEUljE_ZNSN_ISO_Lb1ESQ_SR_ST_SU_SY_EESZ_S10_S11_S12_S16_S17_S18_S1B_S1C_jS1D_jS1E_S1E_jjS1G_bEUljE0_EEESZ_S10_S11_S18_S1C_S1E_T6_T7_T9_mT8_S1G_bDpT10_ENKUlT_T0_E_clISt17integral_constantIbLb1EES1U_EEDaS1P_S1Q_EUlS1P_E_NS1_11comp_targetILNS1_3genE2ELNS1_11target_archE906ELNS1_3gpuE6ELNS1_3repE0EEENS1_30default_config_static_selectorELNS0_4arch9wavefront6targetE1EEEvS12_
		.amdhsa_group_segment_fixed_size 0
		.amdhsa_private_segment_fixed_size 0
		.amdhsa_kernarg_size 184
		.amdhsa_user_sgpr_count 6
		.amdhsa_user_sgpr_private_segment_buffer 1
		.amdhsa_user_sgpr_dispatch_ptr 0
		.amdhsa_user_sgpr_queue_ptr 0
		.amdhsa_user_sgpr_kernarg_segment_ptr 1
		.amdhsa_user_sgpr_dispatch_id 0
		.amdhsa_user_sgpr_flat_scratch_init 0
		.amdhsa_user_sgpr_private_segment_size 0
		.amdhsa_uses_dynamic_stack 0
		.amdhsa_system_sgpr_private_segment_wavefront_offset 0
		.amdhsa_system_sgpr_workgroup_id_x 1
		.amdhsa_system_sgpr_workgroup_id_y 0
		.amdhsa_system_sgpr_workgroup_id_z 0
		.amdhsa_system_sgpr_workgroup_info 0
		.amdhsa_system_vgpr_workitem_id 0
		.amdhsa_next_free_vgpr 1
		.amdhsa_next_free_sgpr 0
		.amdhsa_reserve_vcc 0
		.amdhsa_reserve_flat_scratch 0
		.amdhsa_float_round_mode_32 0
		.amdhsa_float_round_mode_16_64 0
		.amdhsa_float_denorm_mode_32 3
		.amdhsa_float_denorm_mode_16_64 3
		.amdhsa_dx10_clamp 1
		.amdhsa_ieee_mode 1
		.amdhsa_fp16_overflow 0
		.amdhsa_exception_fp_ieee_invalid_op 0
		.amdhsa_exception_fp_denorm_src 0
		.amdhsa_exception_fp_ieee_div_zero 0
		.amdhsa_exception_fp_ieee_overflow 0
		.amdhsa_exception_fp_ieee_underflow 0
		.amdhsa_exception_fp_ieee_inexact 0
		.amdhsa_exception_int_div_zero 0
	.end_amdhsa_kernel
	.section	.text._ZN7rocprim17ROCPRIM_400000_NS6detail17trampoline_kernelINS0_13select_configILj256ELj13ELNS0_17block_load_methodE3ELS4_3ELS4_3ELNS0_20block_scan_algorithmE0ELj4294967295EEENS1_25partition_config_selectorILNS1_17partition_subalgoE4EjNS0_10empty_typeEbEEZZNS1_14partition_implILS8_4ELb0ES6_15HIP_vector_typeIjLj2EENS0_17counting_iteratorIjlEEPS9_SG_NS0_5tupleIJPjSI_NS0_16reverse_iteratorISI_EEEEENSH_IJSG_SG_SG_EEES9_SI_JZNS1_25segmented_radix_sort_implINS0_14default_configELb1EPKaPaPKlPlN2at6native12_GLOBAL__N_18offset_tEEE10hipError_tPvRmT1_PNSt15iterator_traitsIS12_E10value_typeET2_T3_PNS13_IS18_E10value_typeET4_jRbjT5_S1E_jjP12ihipStream_tbEUljE_ZNSN_ISO_Lb1ESQ_SR_ST_SU_SY_EESZ_S10_S11_S12_S16_S17_S18_S1B_S1C_jS1D_jS1E_S1E_jjS1G_bEUljE0_EEESZ_S10_S11_S18_S1C_S1E_T6_T7_T9_mT8_S1G_bDpT10_ENKUlT_T0_E_clISt17integral_constantIbLb1EES1U_EEDaS1P_S1Q_EUlS1P_E_NS1_11comp_targetILNS1_3genE2ELNS1_11target_archE906ELNS1_3gpuE6ELNS1_3repE0EEENS1_30default_config_static_selectorELNS0_4arch9wavefront6targetE1EEEvS12_,"axG",@progbits,_ZN7rocprim17ROCPRIM_400000_NS6detail17trampoline_kernelINS0_13select_configILj256ELj13ELNS0_17block_load_methodE3ELS4_3ELS4_3ELNS0_20block_scan_algorithmE0ELj4294967295EEENS1_25partition_config_selectorILNS1_17partition_subalgoE4EjNS0_10empty_typeEbEEZZNS1_14partition_implILS8_4ELb0ES6_15HIP_vector_typeIjLj2EENS0_17counting_iteratorIjlEEPS9_SG_NS0_5tupleIJPjSI_NS0_16reverse_iteratorISI_EEEEENSH_IJSG_SG_SG_EEES9_SI_JZNS1_25segmented_radix_sort_implINS0_14default_configELb1EPKaPaPKlPlN2at6native12_GLOBAL__N_18offset_tEEE10hipError_tPvRmT1_PNSt15iterator_traitsIS12_E10value_typeET2_T3_PNS13_IS18_E10value_typeET4_jRbjT5_S1E_jjP12ihipStream_tbEUljE_ZNSN_ISO_Lb1ESQ_SR_ST_SU_SY_EESZ_S10_S11_S12_S16_S17_S18_S1B_S1C_jS1D_jS1E_S1E_jjS1G_bEUljE0_EEESZ_S10_S11_S18_S1C_S1E_T6_T7_T9_mT8_S1G_bDpT10_ENKUlT_T0_E_clISt17integral_constantIbLb1EES1U_EEDaS1P_S1Q_EUlS1P_E_NS1_11comp_targetILNS1_3genE2ELNS1_11target_archE906ELNS1_3gpuE6ELNS1_3repE0EEENS1_30default_config_static_selectorELNS0_4arch9wavefront6targetE1EEEvS12_,comdat
.Lfunc_end238:
	.size	_ZN7rocprim17ROCPRIM_400000_NS6detail17trampoline_kernelINS0_13select_configILj256ELj13ELNS0_17block_load_methodE3ELS4_3ELS4_3ELNS0_20block_scan_algorithmE0ELj4294967295EEENS1_25partition_config_selectorILNS1_17partition_subalgoE4EjNS0_10empty_typeEbEEZZNS1_14partition_implILS8_4ELb0ES6_15HIP_vector_typeIjLj2EENS0_17counting_iteratorIjlEEPS9_SG_NS0_5tupleIJPjSI_NS0_16reverse_iteratorISI_EEEEENSH_IJSG_SG_SG_EEES9_SI_JZNS1_25segmented_radix_sort_implINS0_14default_configELb1EPKaPaPKlPlN2at6native12_GLOBAL__N_18offset_tEEE10hipError_tPvRmT1_PNSt15iterator_traitsIS12_E10value_typeET2_T3_PNS13_IS18_E10value_typeET4_jRbjT5_S1E_jjP12ihipStream_tbEUljE_ZNSN_ISO_Lb1ESQ_SR_ST_SU_SY_EESZ_S10_S11_S12_S16_S17_S18_S1B_S1C_jS1D_jS1E_S1E_jjS1G_bEUljE0_EEESZ_S10_S11_S18_S1C_S1E_T6_T7_T9_mT8_S1G_bDpT10_ENKUlT_T0_E_clISt17integral_constantIbLb1EES1U_EEDaS1P_S1Q_EUlS1P_E_NS1_11comp_targetILNS1_3genE2ELNS1_11target_archE906ELNS1_3gpuE6ELNS1_3repE0EEENS1_30default_config_static_selectorELNS0_4arch9wavefront6targetE1EEEvS12_, .Lfunc_end238-_ZN7rocprim17ROCPRIM_400000_NS6detail17trampoline_kernelINS0_13select_configILj256ELj13ELNS0_17block_load_methodE3ELS4_3ELS4_3ELNS0_20block_scan_algorithmE0ELj4294967295EEENS1_25partition_config_selectorILNS1_17partition_subalgoE4EjNS0_10empty_typeEbEEZZNS1_14partition_implILS8_4ELb0ES6_15HIP_vector_typeIjLj2EENS0_17counting_iteratorIjlEEPS9_SG_NS0_5tupleIJPjSI_NS0_16reverse_iteratorISI_EEEEENSH_IJSG_SG_SG_EEES9_SI_JZNS1_25segmented_radix_sort_implINS0_14default_configELb1EPKaPaPKlPlN2at6native12_GLOBAL__N_18offset_tEEE10hipError_tPvRmT1_PNSt15iterator_traitsIS12_E10value_typeET2_T3_PNS13_IS18_E10value_typeET4_jRbjT5_S1E_jjP12ihipStream_tbEUljE_ZNSN_ISO_Lb1ESQ_SR_ST_SU_SY_EESZ_S10_S11_S12_S16_S17_S18_S1B_S1C_jS1D_jS1E_S1E_jjS1G_bEUljE0_EEESZ_S10_S11_S18_S1C_S1E_T6_T7_T9_mT8_S1G_bDpT10_ENKUlT_T0_E_clISt17integral_constantIbLb1EES1U_EEDaS1P_S1Q_EUlS1P_E_NS1_11comp_targetILNS1_3genE2ELNS1_11target_archE906ELNS1_3gpuE6ELNS1_3repE0EEENS1_30default_config_static_selectorELNS0_4arch9wavefront6targetE1EEEvS12_
                                        ; -- End function
	.set _ZN7rocprim17ROCPRIM_400000_NS6detail17trampoline_kernelINS0_13select_configILj256ELj13ELNS0_17block_load_methodE3ELS4_3ELS4_3ELNS0_20block_scan_algorithmE0ELj4294967295EEENS1_25partition_config_selectorILNS1_17partition_subalgoE4EjNS0_10empty_typeEbEEZZNS1_14partition_implILS8_4ELb0ES6_15HIP_vector_typeIjLj2EENS0_17counting_iteratorIjlEEPS9_SG_NS0_5tupleIJPjSI_NS0_16reverse_iteratorISI_EEEEENSH_IJSG_SG_SG_EEES9_SI_JZNS1_25segmented_radix_sort_implINS0_14default_configELb1EPKaPaPKlPlN2at6native12_GLOBAL__N_18offset_tEEE10hipError_tPvRmT1_PNSt15iterator_traitsIS12_E10value_typeET2_T3_PNS13_IS18_E10value_typeET4_jRbjT5_S1E_jjP12ihipStream_tbEUljE_ZNSN_ISO_Lb1ESQ_SR_ST_SU_SY_EESZ_S10_S11_S12_S16_S17_S18_S1B_S1C_jS1D_jS1E_S1E_jjS1G_bEUljE0_EEESZ_S10_S11_S18_S1C_S1E_T6_T7_T9_mT8_S1G_bDpT10_ENKUlT_T0_E_clISt17integral_constantIbLb1EES1U_EEDaS1P_S1Q_EUlS1P_E_NS1_11comp_targetILNS1_3genE2ELNS1_11target_archE906ELNS1_3gpuE6ELNS1_3repE0EEENS1_30default_config_static_selectorELNS0_4arch9wavefront6targetE1EEEvS12_.num_vgpr, 0
	.set _ZN7rocprim17ROCPRIM_400000_NS6detail17trampoline_kernelINS0_13select_configILj256ELj13ELNS0_17block_load_methodE3ELS4_3ELS4_3ELNS0_20block_scan_algorithmE0ELj4294967295EEENS1_25partition_config_selectorILNS1_17partition_subalgoE4EjNS0_10empty_typeEbEEZZNS1_14partition_implILS8_4ELb0ES6_15HIP_vector_typeIjLj2EENS0_17counting_iteratorIjlEEPS9_SG_NS0_5tupleIJPjSI_NS0_16reverse_iteratorISI_EEEEENSH_IJSG_SG_SG_EEES9_SI_JZNS1_25segmented_radix_sort_implINS0_14default_configELb1EPKaPaPKlPlN2at6native12_GLOBAL__N_18offset_tEEE10hipError_tPvRmT1_PNSt15iterator_traitsIS12_E10value_typeET2_T3_PNS13_IS18_E10value_typeET4_jRbjT5_S1E_jjP12ihipStream_tbEUljE_ZNSN_ISO_Lb1ESQ_SR_ST_SU_SY_EESZ_S10_S11_S12_S16_S17_S18_S1B_S1C_jS1D_jS1E_S1E_jjS1G_bEUljE0_EEESZ_S10_S11_S18_S1C_S1E_T6_T7_T9_mT8_S1G_bDpT10_ENKUlT_T0_E_clISt17integral_constantIbLb1EES1U_EEDaS1P_S1Q_EUlS1P_E_NS1_11comp_targetILNS1_3genE2ELNS1_11target_archE906ELNS1_3gpuE6ELNS1_3repE0EEENS1_30default_config_static_selectorELNS0_4arch9wavefront6targetE1EEEvS12_.num_agpr, 0
	.set _ZN7rocprim17ROCPRIM_400000_NS6detail17trampoline_kernelINS0_13select_configILj256ELj13ELNS0_17block_load_methodE3ELS4_3ELS4_3ELNS0_20block_scan_algorithmE0ELj4294967295EEENS1_25partition_config_selectorILNS1_17partition_subalgoE4EjNS0_10empty_typeEbEEZZNS1_14partition_implILS8_4ELb0ES6_15HIP_vector_typeIjLj2EENS0_17counting_iteratorIjlEEPS9_SG_NS0_5tupleIJPjSI_NS0_16reverse_iteratorISI_EEEEENSH_IJSG_SG_SG_EEES9_SI_JZNS1_25segmented_radix_sort_implINS0_14default_configELb1EPKaPaPKlPlN2at6native12_GLOBAL__N_18offset_tEEE10hipError_tPvRmT1_PNSt15iterator_traitsIS12_E10value_typeET2_T3_PNS13_IS18_E10value_typeET4_jRbjT5_S1E_jjP12ihipStream_tbEUljE_ZNSN_ISO_Lb1ESQ_SR_ST_SU_SY_EESZ_S10_S11_S12_S16_S17_S18_S1B_S1C_jS1D_jS1E_S1E_jjS1G_bEUljE0_EEESZ_S10_S11_S18_S1C_S1E_T6_T7_T9_mT8_S1G_bDpT10_ENKUlT_T0_E_clISt17integral_constantIbLb1EES1U_EEDaS1P_S1Q_EUlS1P_E_NS1_11comp_targetILNS1_3genE2ELNS1_11target_archE906ELNS1_3gpuE6ELNS1_3repE0EEENS1_30default_config_static_selectorELNS0_4arch9wavefront6targetE1EEEvS12_.numbered_sgpr, 0
	.set _ZN7rocprim17ROCPRIM_400000_NS6detail17trampoline_kernelINS0_13select_configILj256ELj13ELNS0_17block_load_methodE3ELS4_3ELS4_3ELNS0_20block_scan_algorithmE0ELj4294967295EEENS1_25partition_config_selectorILNS1_17partition_subalgoE4EjNS0_10empty_typeEbEEZZNS1_14partition_implILS8_4ELb0ES6_15HIP_vector_typeIjLj2EENS0_17counting_iteratorIjlEEPS9_SG_NS0_5tupleIJPjSI_NS0_16reverse_iteratorISI_EEEEENSH_IJSG_SG_SG_EEES9_SI_JZNS1_25segmented_radix_sort_implINS0_14default_configELb1EPKaPaPKlPlN2at6native12_GLOBAL__N_18offset_tEEE10hipError_tPvRmT1_PNSt15iterator_traitsIS12_E10value_typeET2_T3_PNS13_IS18_E10value_typeET4_jRbjT5_S1E_jjP12ihipStream_tbEUljE_ZNSN_ISO_Lb1ESQ_SR_ST_SU_SY_EESZ_S10_S11_S12_S16_S17_S18_S1B_S1C_jS1D_jS1E_S1E_jjS1G_bEUljE0_EEESZ_S10_S11_S18_S1C_S1E_T6_T7_T9_mT8_S1G_bDpT10_ENKUlT_T0_E_clISt17integral_constantIbLb1EES1U_EEDaS1P_S1Q_EUlS1P_E_NS1_11comp_targetILNS1_3genE2ELNS1_11target_archE906ELNS1_3gpuE6ELNS1_3repE0EEENS1_30default_config_static_selectorELNS0_4arch9wavefront6targetE1EEEvS12_.num_named_barrier, 0
	.set _ZN7rocprim17ROCPRIM_400000_NS6detail17trampoline_kernelINS0_13select_configILj256ELj13ELNS0_17block_load_methodE3ELS4_3ELS4_3ELNS0_20block_scan_algorithmE0ELj4294967295EEENS1_25partition_config_selectorILNS1_17partition_subalgoE4EjNS0_10empty_typeEbEEZZNS1_14partition_implILS8_4ELb0ES6_15HIP_vector_typeIjLj2EENS0_17counting_iteratorIjlEEPS9_SG_NS0_5tupleIJPjSI_NS0_16reverse_iteratorISI_EEEEENSH_IJSG_SG_SG_EEES9_SI_JZNS1_25segmented_radix_sort_implINS0_14default_configELb1EPKaPaPKlPlN2at6native12_GLOBAL__N_18offset_tEEE10hipError_tPvRmT1_PNSt15iterator_traitsIS12_E10value_typeET2_T3_PNS13_IS18_E10value_typeET4_jRbjT5_S1E_jjP12ihipStream_tbEUljE_ZNSN_ISO_Lb1ESQ_SR_ST_SU_SY_EESZ_S10_S11_S12_S16_S17_S18_S1B_S1C_jS1D_jS1E_S1E_jjS1G_bEUljE0_EEESZ_S10_S11_S18_S1C_S1E_T6_T7_T9_mT8_S1G_bDpT10_ENKUlT_T0_E_clISt17integral_constantIbLb1EES1U_EEDaS1P_S1Q_EUlS1P_E_NS1_11comp_targetILNS1_3genE2ELNS1_11target_archE906ELNS1_3gpuE6ELNS1_3repE0EEENS1_30default_config_static_selectorELNS0_4arch9wavefront6targetE1EEEvS12_.private_seg_size, 0
	.set _ZN7rocprim17ROCPRIM_400000_NS6detail17trampoline_kernelINS0_13select_configILj256ELj13ELNS0_17block_load_methodE3ELS4_3ELS4_3ELNS0_20block_scan_algorithmE0ELj4294967295EEENS1_25partition_config_selectorILNS1_17partition_subalgoE4EjNS0_10empty_typeEbEEZZNS1_14partition_implILS8_4ELb0ES6_15HIP_vector_typeIjLj2EENS0_17counting_iteratorIjlEEPS9_SG_NS0_5tupleIJPjSI_NS0_16reverse_iteratorISI_EEEEENSH_IJSG_SG_SG_EEES9_SI_JZNS1_25segmented_radix_sort_implINS0_14default_configELb1EPKaPaPKlPlN2at6native12_GLOBAL__N_18offset_tEEE10hipError_tPvRmT1_PNSt15iterator_traitsIS12_E10value_typeET2_T3_PNS13_IS18_E10value_typeET4_jRbjT5_S1E_jjP12ihipStream_tbEUljE_ZNSN_ISO_Lb1ESQ_SR_ST_SU_SY_EESZ_S10_S11_S12_S16_S17_S18_S1B_S1C_jS1D_jS1E_S1E_jjS1G_bEUljE0_EEESZ_S10_S11_S18_S1C_S1E_T6_T7_T9_mT8_S1G_bDpT10_ENKUlT_T0_E_clISt17integral_constantIbLb1EES1U_EEDaS1P_S1Q_EUlS1P_E_NS1_11comp_targetILNS1_3genE2ELNS1_11target_archE906ELNS1_3gpuE6ELNS1_3repE0EEENS1_30default_config_static_selectorELNS0_4arch9wavefront6targetE1EEEvS12_.uses_vcc, 0
	.set _ZN7rocprim17ROCPRIM_400000_NS6detail17trampoline_kernelINS0_13select_configILj256ELj13ELNS0_17block_load_methodE3ELS4_3ELS4_3ELNS0_20block_scan_algorithmE0ELj4294967295EEENS1_25partition_config_selectorILNS1_17partition_subalgoE4EjNS0_10empty_typeEbEEZZNS1_14partition_implILS8_4ELb0ES6_15HIP_vector_typeIjLj2EENS0_17counting_iteratorIjlEEPS9_SG_NS0_5tupleIJPjSI_NS0_16reverse_iteratorISI_EEEEENSH_IJSG_SG_SG_EEES9_SI_JZNS1_25segmented_radix_sort_implINS0_14default_configELb1EPKaPaPKlPlN2at6native12_GLOBAL__N_18offset_tEEE10hipError_tPvRmT1_PNSt15iterator_traitsIS12_E10value_typeET2_T3_PNS13_IS18_E10value_typeET4_jRbjT5_S1E_jjP12ihipStream_tbEUljE_ZNSN_ISO_Lb1ESQ_SR_ST_SU_SY_EESZ_S10_S11_S12_S16_S17_S18_S1B_S1C_jS1D_jS1E_S1E_jjS1G_bEUljE0_EEESZ_S10_S11_S18_S1C_S1E_T6_T7_T9_mT8_S1G_bDpT10_ENKUlT_T0_E_clISt17integral_constantIbLb1EES1U_EEDaS1P_S1Q_EUlS1P_E_NS1_11comp_targetILNS1_3genE2ELNS1_11target_archE906ELNS1_3gpuE6ELNS1_3repE0EEENS1_30default_config_static_selectorELNS0_4arch9wavefront6targetE1EEEvS12_.uses_flat_scratch, 0
	.set _ZN7rocprim17ROCPRIM_400000_NS6detail17trampoline_kernelINS0_13select_configILj256ELj13ELNS0_17block_load_methodE3ELS4_3ELS4_3ELNS0_20block_scan_algorithmE0ELj4294967295EEENS1_25partition_config_selectorILNS1_17partition_subalgoE4EjNS0_10empty_typeEbEEZZNS1_14partition_implILS8_4ELb0ES6_15HIP_vector_typeIjLj2EENS0_17counting_iteratorIjlEEPS9_SG_NS0_5tupleIJPjSI_NS0_16reverse_iteratorISI_EEEEENSH_IJSG_SG_SG_EEES9_SI_JZNS1_25segmented_radix_sort_implINS0_14default_configELb1EPKaPaPKlPlN2at6native12_GLOBAL__N_18offset_tEEE10hipError_tPvRmT1_PNSt15iterator_traitsIS12_E10value_typeET2_T3_PNS13_IS18_E10value_typeET4_jRbjT5_S1E_jjP12ihipStream_tbEUljE_ZNSN_ISO_Lb1ESQ_SR_ST_SU_SY_EESZ_S10_S11_S12_S16_S17_S18_S1B_S1C_jS1D_jS1E_S1E_jjS1G_bEUljE0_EEESZ_S10_S11_S18_S1C_S1E_T6_T7_T9_mT8_S1G_bDpT10_ENKUlT_T0_E_clISt17integral_constantIbLb1EES1U_EEDaS1P_S1Q_EUlS1P_E_NS1_11comp_targetILNS1_3genE2ELNS1_11target_archE906ELNS1_3gpuE6ELNS1_3repE0EEENS1_30default_config_static_selectorELNS0_4arch9wavefront6targetE1EEEvS12_.has_dyn_sized_stack, 0
	.set _ZN7rocprim17ROCPRIM_400000_NS6detail17trampoline_kernelINS0_13select_configILj256ELj13ELNS0_17block_load_methodE3ELS4_3ELS4_3ELNS0_20block_scan_algorithmE0ELj4294967295EEENS1_25partition_config_selectorILNS1_17partition_subalgoE4EjNS0_10empty_typeEbEEZZNS1_14partition_implILS8_4ELb0ES6_15HIP_vector_typeIjLj2EENS0_17counting_iteratorIjlEEPS9_SG_NS0_5tupleIJPjSI_NS0_16reverse_iteratorISI_EEEEENSH_IJSG_SG_SG_EEES9_SI_JZNS1_25segmented_radix_sort_implINS0_14default_configELb1EPKaPaPKlPlN2at6native12_GLOBAL__N_18offset_tEEE10hipError_tPvRmT1_PNSt15iterator_traitsIS12_E10value_typeET2_T3_PNS13_IS18_E10value_typeET4_jRbjT5_S1E_jjP12ihipStream_tbEUljE_ZNSN_ISO_Lb1ESQ_SR_ST_SU_SY_EESZ_S10_S11_S12_S16_S17_S18_S1B_S1C_jS1D_jS1E_S1E_jjS1G_bEUljE0_EEESZ_S10_S11_S18_S1C_S1E_T6_T7_T9_mT8_S1G_bDpT10_ENKUlT_T0_E_clISt17integral_constantIbLb1EES1U_EEDaS1P_S1Q_EUlS1P_E_NS1_11comp_targetILNS1_3genE2ELNS1_11target_archE906ELNS1_3gpuE6ELNS1_3repE0EEENS1_30default_config_static_selectorELNS0_4arch9wavefront6targetE1EEEvS12_.has_recursion, 0
	.set _ZN7rocprim17ROCPRIM_400000_NS6detail17trampoline_kernelINS0_13select_configILj256ELj13ELNS0_17block_load_methodE3ELS4_3ELS4_3ELNS0_20block_scan_algorithmE0ELj4294967295EEENS1_25partition_config_selectorILNS1_17partition_subalgoE4EjNS0_10empty_typeEbEEZZNS1_14partition_implILS8_4ELb0ES6_15HIP_vector_typeIjLj2EENS0_17counting_iteratorIjlEEPS9_SG_NS0_5tupleIJPjSI_NS0_16reverse_iteratorISI_EEEEENSH_IJSG_SG_SG_EEES9_SI_JZNS1_25segmented_radix_sort_implINS0_14default_configELb1EPKaPaPKlPlN2at6native12_GLOBAL__N_18offset_tEEE10hipError_tPvRmT1_PNSt15iterator_traitsIS12_E10value_typeET2_T3_PNS13_IS18_E10value_typeET4_jRbjT5_S1E_jjP12ihipStream_tbEUljE_ZNSN_ISO_Lb1ESQ_SR_ST_SU_SY_EESZ_S10_S11_S12_S16_S17_S18_S1B_S1C_jS1D_jS1E_S1E_jjS1G_bEUljE0_EEESZ_S10_S11_S18_S1C_S1E_T6_T7_T9_mT8_S1G_bDpT10_ENKUlT_T0_E_clISt17integral_constantIbLb1EES1U_EEDaS1P_S1Q_EUlS1P_E_NS1_11comp_targetILNS1_3genE2ELNS1_11target_archE906ELNS1_3gpuE6ELNS1_3repE0EEENS1_30default_config_static_selectorELNS0_4arch9wavefront6targetE1EEEvS12_.has_indirect_call, 0
	.section	.AMDGPU.csdata,"",@progbits
; Kernel info:
; codeLenInByte = 4
; TotalNumSgprs: 4
; NumVgprs: 0
; ScratchSize: 0
; MemoryBound: 0
; FloatMode: 240
; IeeeMode: 1
; LDSByteSize: 0 bytes/workgroup (compile time only)
; SGPRBlocks: 0
; VGPRBlocks: 0
; NumSGPRsForWavesPerEU: 4
; NumVGPRsForWavesPerEU: 1
; Occupancy: 10
; WaveLimiterHint : 0
; COMPUTE_PGM_RSRC2:SCRATCH_EN: 0
; COMPUTE_PGM_RSRC2:USER_SGPR: 6
; COMPUTE_PGM_RSRC2:TRAP_HANDLER: 0
; COMPUTE_PGM_RSRC2:TGID_X_EN: 1
; COMPUTE_PGM_RSRC2:TGID_Y_EN: 0
; COMPUTE_PGM_RSRC2:TGID_Z_EN: 0
; COMPUTE_PGM_RSRC2:TIDIG_COMP_CNT: 0
	.section	.text._ZN7rocprim17ROCPRIM_400000_NS6detail17trampoline_kernelINS0_13select_configILj256ELj13ELNS0_17block_load_methodE3ELS4_3ELS4_3ELNS0_20block_scan_algorithmE0ELj4294967295EEENS1_25partition_config_selectorILNS1_17partition_subalgoE4EjNS0_10empty_typeEbEEZZNS1_14partition_implILS8_4ELb0ES6_15HIP_vector_typeIjLj2EENS0_17counting_iteratorIjlEEPS9_SG_NS0_5tupleIJPjSI_NS0_16reverse_iteratorISI_EEEEENSH_IJSG_SG_SG_EEES9_SI_JZNS1_25segmented_radix_sort_implINS0_14default_configELb1EPKaPaPKlPlN2at6native12_GLOBAL__N_18offset_tEEE10hipError_tPvRmT1_PNSt15iterator_traitsIS12_E10value_typeET2_T3_PNS13_IS18_E10value_typeET4_jRbjT5_S1E_jjP12ihipStream_tbEUljE_ZNSN_ISO_Lb1ESQ_SR_ST_SU_SY_EESZ_S10_S11_S12_S16_S17_S18_S1B_S1C_jS1D_jS1E_S1E_jjS1G_bEUljE0_EEESZ_S10_S11_S18_S1C_S1E_T6_T7_T9_mT8_S1G_bDpT10_ENKUlT_T0_E_clISt17integral_constantIbLb1EES1U_EEDaS1P_S1Q_EUlS1P_E_NS1_11comp_targetILNS1_3genE10ELNS1_11target_archE1200ELNS1_3gpuE4ELNS1_3repE0EEENS1_30default_config_static_selectorELNS0_4arch9wavefront6targetE1EEEvS12_,"axG",@progbits,_ZN7rocprim17ROCPRIM_400000_NS6detail17trampoline_kernelINS0_13select_configILj256ELj13ELNS0_17block_load_methodE3ELS4_3ELS4_3ELNS0_20block_scan_algorithmE0ELj4294967295EEENS1_25partition_config_selectorILNS1_17partition_subalgoE4EjNS0_10empty_typeEbEEZZNS1_14partition_implILS8_4ELb0ES6_15HIP_vector_typeIjLj2EENS0_17counting_iteratorIjlEEPS9_SG_NS0_5tupleIJPjSI_NS0_16reverse_iteratorISI_EEEEENSH_IJSG_SG_SG_EEES9_SI_JZNS1_25segmented_radix_sort_implINS0_14default_configELb1EPKaPaPKlPlN2at6native12_GLOBAL__N_18offset_tEEE10hipError_tPvRmT1_PNSt15iterator_traitsIS12_E10value_typeET2_T3_PNS13_IS18_E10value_typeET4_jRbjT5_S1E_jjP12ihipStream_tbEUljE_ZNSN_ISO_Lb1ESQ_SR_ST_SU_SY_EESZ_S10_S11_S12_S16_S17_S18_S1B_S1C_jS1D_jS1E_S1E_jjS1G_bEUljE0_EEESZ_S10_S11_S18_S1C_S1E_T6_T7_T9_mT8_S1G_bDpT10_ENKUlT_T0_E_clISt17integral_constantIbLb1EES1U_EEDaS1P_S1Q_EUlS1P_E_NS1_11comp_targetILNS1_3genE10ELNS1_11target_archE1200ELNS1_3gpuE4ELNS1_3repE0EEENS1_30default_config_static_selectorELNS0_4arch9wavefront6targetE1EEEvS12_,comdat
	.globl	_ZN7rocprim17ROCPRIM_400000_NS6detail17trampoline_kernelINS0_13select_configILj256ELj13ELNS0_17block_load_methodE3ELS4_3ELS4_3ELNS0_20block_scan_algorithmE0ELj4294967295EEENS1_25partition_config_selectorILNS1_17partition_subalgoE4EjNS0_10empty_typeEbEEZZNS1_14partition_implILS8_4ELb0ES6_15HIP_vector_typeIjLj2EENS0_17counting_iteratorIjlEEPS9_SG_NS0_5tupleIJPjSI_NS0_16reverse_iteratorISI_EEEEENSH_IJSG_SG_SG_EEES9_SI_JZNS1_25segmented_radix_sort_implINS0_14default_configELb1EPKaPaPKlPlN2at6native12_GLOBAL__N_18offset_tEEE10hipError_tPvRmT1_PNSt15iterator_traitsIS12_E10value_typeET2_T3_PNS13_IS18_E10value_typeET4_jRbjT5_S1E_jjP12ihipStream_tbEUljE_ZNSN_ISO_Lb1ESQ_SR_ST_SU_SY_EESZ_S10_S11_S12_S16_S17_S18_S1B_S1C_jS1D_jS1E_S1E_jjS1G_bEUljE0_EEESZ_S10_S11_S18_S1C_S1E_T6_T7_T9_mT8_S1G_bDpT10_ENKUlT_T0_E_clISt17integral_constantIbLb1EES1U_EEDaS1P_S1Q_EUlS1P_E_NS1_11comp_targetILNS1_3genE10ELNS1_11target_archE1200ELNS1_3gpuE4ELNS1_3repE0EEENS1_30default_config_static_selectorELNS0_4arch9wavefront6targetE1EEEvS12_ ; -- Begin function _ZN7rocprim17ROCPRIM_400000_NS6detail17trampoline_kernelINS0_13select_configILj256ELj13ELNS0_17block_load_methodE3ELS4_3ELS4_3ELNS0_20block_scan_algorithmE0ELj4294967295EEENS1_25partition_config_selectorILNS1_17partition_subalgoE4EjNS0_10empty_typeEbEEZZNS1_14partition_implILS8_4ELb0ES6_15HIP_vector_typeIjLj2EENS0_17counting_iteratorIjlEEPS9_SG_NS0_5tupleIJPjSI_NS0_16reverse_iteratorISI_EEEEENSH_IJSG_SG_SG_EEES9_SI_JZNS1_25segmented_radix_sort_implINS0_14default_configELb1EPKaPaPKlPlN2at6native12_GLOBAL__N_18offset_tEEE10hipError_tPvRmT1_PNSt15iterator_traitsIS12_E10value_typeET2_T3_PNS13_IS18_E10value_typeET4_jRbjT5_S1E_jjP12ihipStream_tbEUljE_ZNSN_ISO_Lb1ESQ_SR_ST_SU_SY_EESZ_S10_S11_S12_S16_S17_S18_S1B_S1C_jS1D_jS1E_S1E_jjS1G_bEUljE0_EEESZ_S10_S11_S18_S1C_S1E_T6_T7_T9_mT8_S1G_bDpT10_ENKUlT_T0_E_clISt17integral_constantIbLb1EES1U_EEDaS1P_S1Q_EUlS1P_E_NS1_11comp_targetILNS1_3genE10ELNS1_11target_archE1200ELNS1_3gpuE4ELNS1_3repE0EEENS1_30default_config_static_selectorELNS0_4arch9wavefront6targetE1EEEvS12_
	.p2align	8
	.type	_ZN7rocprim17ROCPRIM_400000_NS6detail17trampoline_kernelINS0_13select_configILj256ELj13ELNS0_17block_load_methodE3ELS4_3ELS4_3ELNS0_20block_scan_algorithmE0ELj4294967295EEENS1_25partition_config_selectorILNS1_17partition_subalgoE4EjNS0_10empty_typeEbEEZZNS1_14partition_implILS8_4ELb0ES6_15HIP_vector_typeIjLj2EENS0_17counting_iteratorIjlEEPS9_SG_NS0_5tupleIJPjSI_NS0_16reverse_iteratorISI_EEEEENSH_IJSG_SG_SG_EEES9_SI_JZNS1_25segmented_radix_sort_implINS0_14default_configELb1EPKaPaPKlPlN2at6native12_GLOBAL__N_18offset_tEEE10hipError_tPvRmT1_PNSt15iterator_traitsIS12_E10value_typeET2_T3_PNS13_IS18_E10value_typeET4_jRbjT5_S1E_jjP12ihipStream_tbEUljE_ZNSN_ISO_Lb1ESQ_SR_ST_SU_SY_EESZ_S10_S11_S12_S16_S17_S18_S1B_S1C_jS1D_jS1E_S1E_jjS1G_bEUljE0_EEESZ_S10_S11_S18_S1C_S1E_T6_T7_T9_mT8_S1G_bDpT10_ENKUlT_T0_E_clISt17integral_constantIbLb1EES1U_EEDaS1P_S1Q_EUlS1P_E_NS1_11comp_targetILNS1_3genE10ELNS1_11target_archE1200ELNS1_3gpuE4ELNS1_3repE0EEENS1_30default_config_static_selectorELNS0_4arch9wavefront6targetE1EEEvS12_,@function
_ZN7rocprim17ROCPRIM_400000_NS6detail17trampoline_kernelINS0_13select_configILj256ELj13ELNS0_17block_load_methodE3ELS4_3ELS4_3ELNS0_20block_scan_algorithmE0ELj4294967295EEENS1_25partition_config_selectorILNS1_17partition_subalgoE4EjNS0_10empty_typeEbEEZZNS1_14partition_implILS8_4ELb0ES6_15HIP_vector_typeIjLj2EENS0_17counting_iteratorIjlEEPS9_SG_NS0_5tupleIJPjSI_NS0_16reverse_iteratorISI_EEEEENSH_IJSG_SG_SG_EEES9_SI_JZNS1_25segmented_radix_sort_implINS0_14default_configELb1EPKaPaPKlPlN2at6native12_GLOBAL__N_18offset_tEEE10hipError_tPvRmT1_PNSt15iterator_traitsIS12_E10value_typeET2_T3_PNS13_IS18_E10value_typeET4_jRbjT5_S1E_jjP12ihipStream_tbEUljE_ZNSN_ISO_Lb1ESQ_SR_ST_SU_SY_EESZ_S10_S11_S12_S16_S17_S18_S1B_S1C_jS1D_jS1E_S1E_jjS1G_bEUljE0_EEESZ_S10_S11_S18_S1C_S1E_T6_T7_T9_mT8_S1G_bDpT10_ENKUlT_T0_E_clISt17integral_constantIbLb1EES1U_EEDaS1P_S1Q_EUlS1P_E_NS1_11comp_targetILNS1_3genE10ELNS1_11target_archE1200ELNS1_3gpuE4ELNS1_3repE0EEENS1_30default_config_static_selectorELNS0_4arch9wavefront6targetE1EEEvS12_: ; @_ZN7rocprim17ROCPRIM_400000_NS6detail17trampoline_kernelINS0_13select_configILj256ELj13ELNS0_17block_load_methodE3ELS4_3ELS4_3ELNS0_20block_scan_algorithmE0ELj4294967295EEENS1_25partition_config_selectorILNS1_17partition_subalgoE4EjNS0_10empty_typeEbEEZZNS1_14partition_implILS8_4ELb0ES6_15HIP_vector_typeIjLj2EENS0_17counting_iteratorIjlEEPS9_SG_NS0_5tupleIJPjSI_NS0_16reverse_iteratorISI_EEEEENSH_IJSG_SG_SG_EEES9_SI_JZNS1_25segmented_radix_sort_implINS0_14default_configELb1EPKaPaPKlPlN2at6native12_GLOBAL__N_18offset_tEEE10hipError_tPvRmT1_PNSt15iterator_traitsIS12_E10value_typeET2_T3_PNS13_IS18_E10value_typeET4_jRbjT5_S1E_jjP12ihipStream_tbEUljE_ZNSN_ISO_Lb1ESQ_SR_ST_SU_SY_EESZ_S10_S11_S12_S16_S17_S18_S1B_S1C_jS1D_jS1E_S1E_jjS1G_bEUljE0_EEESZ_S10_S11_S18_S1C_S1E_T6_T7_T9_mT8_S1G_bDpT10_ENKUlT_T0_E_clISt17integral_constantIbLb1EES1U_EEDaS1P_S1Q_EUlS1P_E_NS1_11comp_targetILNS1_3genE10ELNS1_11target_archE1200ELNS1_3gpuE4ELNS1_3repE0EEENS1_30default_config_static_selectorELNS0_4arch9wavefront6targetE1EEEvS12_
; %bb.0:
	.section	.rodata,"a",@progbits
	.p2align	6, 0x0
	.amdhsa_kernel _ZN7rocprim17ROCPRIM_400000_NS6detail17trampoline_kernelINS0_13select_configILj256ELj13ELNS0_17block_load_methodE3ELS4_3ELS4_3ELNS0_20block_scan_algorithmE0ELj4294967295EEENS1_25partition_config_selectorILNS1_17partition_subalgoE4EjNS0_10empty_typeEbEEZZNS1_14partition_implILS8_4ELb0ES6_15HIP_vector_typeIjLj2EENS0_17counting_iteratorIjlEEPS9_SG_NS0_5tupleIJPjSI_NS0_16reverse_iteratorISI_EEEEENSH_IJSG_SG_SG_EEES9_SI_JZNS1_25segmented_radix_sort_implINS0_14default_configELb1EPKaPaPKlPlN2at6native12_GLOBAL__N_18offset_tEEE10hipError_tPvRmT1_PNSt15iterator_traitsIS12_E10value_typeET2_T3_PNS13_IS18_E10value_typeET4_jRbjT5_S1E_jjP12ihipStream_tbEUljE_ZNSN_ISO_Lb1ESQ_SR_ST_SU_SY_EESZ_S10_S11_S12_S16_S17_S18_S1B_S1C_jS1D_jS1E_S1E_jjS1G_bEUljE0_EEESZ_S10_S11_S18_S1C_S1E_T6_T7_T9_mT8_S1G_bDpT10_ENKUlT_T0_E_clISt17integral_constantIbLb1EES1U_EEDaS1P_S1Q_EUlS1P_E_NS1_11comp_targetILNS1_3genE10ELNS1_11target_archE1200ELNS1_3gpuE4ELNS1_3repE0EEENS1_30default_config_static_selectorELNS0_4arch9wavefront6targetE1EEEvS12_
		.amdhsa_group_segment_fixed_size 0
		.amdhsa_private_segment_fixed_size 0
		.amdhsa_kernarg_size 184
		.amdhsa_user_sgpr_count 6
		.amdhsa_user_sgpr_private_segment_buffer 1
		.amdhsa_user_sgpr_dispatch_ptr 0
		.amdhsa_user_sgpr_queue_ptr 0
		.amdhsa_user_sgpr_kernarg_segment_ptr 1
		.amdhsa_user_sgpr_dispatch_id 0
		.amdhsa_user_sgpr_flat_scratch_init 0
		.amdhsa_user_sgpr_private_segment_size 0
		.amdhsa_uses_dynamic_stack 0
		.amdhsa_system_sgpr_private_segment_wavefront_offset 0
		.amdhsa_system_sgpr_workgroup_id_x 1
		.amdhsa_system_sgpr_workgroup_id_y 0
		.amdhsa_system_sgpr_workgroup_id_z 0
		.amdhsa_system_sgpr_workgroup_info 0
		.amdhsa_system_vgpr_workitem_id 0
		.amdhsa_next_free_vgpr 1
		.amdhsa_next_free_sgpr 0
		.amdhsa_reserve_vcc 0
		.amdhsa_reserve_flat_scratch 0
		.amdhsa_float_round_mode_32 0
		.amdhsa_float_round_mode_16_64 0
		.amdhsa_float_denorm_mode_32 3
		.amdhsa_float_denorm_mode_16_64 3
		.amdhsa_dx10_clamp 1
		.amdhsa_ieee_mode 1
		.amdhsa_fp16_overflow 0
		.amdhsa_exception_fp_ieee_invalid_op 0
		.amdhsa_exception_fp_denorm_src 0
		.amdhsa_exception_fp_ieee_div_zero 0
		.amdhsa_exception_fp_ieee_overflow 0
		.amdhsa_exception_fp_ieee_underflow 0
		.amdhsa_exception_fp_ieee_inexact 0
		.amdhsa_exception_int_div_zero 0
	.end_amdhsa_kernel
	.section	.text._ZN7rocprim17ROCPRIM_400000_NS6detail17trampoline_kernelINS0_13select_configILj256ELj13ELNS0_17block_load_methodE3ELS4_3ELS4_3ELNS0_20block_scan_algorithmE0ELj4294967295EEENS1_25partition_config_selectorILNS1_17partition_subalgoE4EjNS0_10empty_typeEbEEZZNS1_14partition_implILS8_4ELb0ES6_15HIP_vector_typeIjLj2EENS0_17counting_iteratorIjlEEPS9_SG_NS0_5tupleIJPjSI_NS0_16reverse_iteratorISI_EEEEENSH_IJSG_SG_SG_EEES9_SI_JZNS1_25segmented_radix_sort_implINS0_14default_configELb1EPKaPaPKlPlN2at6native12_GLOBAL__N_18offset_tEEE10hipError_tPvRmT1_PNSt15iterator_traitsIS12_E10value_typeET2_T3_PNS13_IS18_E10value_typeET4_jRbjT5_S1E_jjP12ihipStream_tbEUljE_ZNSN_ISO_Lb1ESQ_SR_ST_SU_SY_EESZ_S10_S11_S12_S16_S17_S18_S1B_S1C_jS1D_jS1E_S1E_jjS1G_bEUljE0_EEESZ_S10_S11_S18_S1C_S1E_T6_T7_T9_mT8_S1G_bDpT10_ENKUlT_T0_E_clISt17integral_constantIbLb1EES1U_EEDaS1P_S1Q_EUlS1P_E_NS1_11comp_targetILNS1_3genE10ELNS1_11target_archE1200ELNS1_3gpuE4ELNS1_3repE0EEENS1_30default_config_static_selectorELNS0_4arch9wavefront6targetE1EEEvS12_,"axG",@progbits,_ZN7rocprim17ROCPRIM_400000_NS6detail17trampoline_kernelINS0_13select_configILj256ELj13ELNS0_17block_load_methodE3ELS4_3ELS4_3ELNS0_20block_scan_algorithmE0ELj4294967295EEENS1_25partition_config_selectorILNS1_17partition_subalgoE4EjNS0_10empty_typeEbEEZZNS1_14partition_implILS8_4ELb0ES6_15HIP_vector_typeIjLj2EENS0_17counting_iteratorIjlEEPS9_SG_NS0_5tupleIJPjSI_NS0_16reverse_iteratorISI_EEEEENSH_IJSG_SG_SG_EEES9_SI_JZNS1_25segmented_radix_sort_implINS0_14default_configELb1EPKaPaPKlPlN2at6native12_GLOBAL__N_18offset_tEEE10hipError_tPvRmT1_PNSt15iterator_traitsIS12_E10value_typeET2_T3_PNS13_IS18_E10value_typeET4_jRbjT5_S1E_jjP12ihipStream_tbEUljE_ZNSN_ISO_Lb1ESQ_SR_ST_SU_SY_EESZ_S10_S11_S12_S16_S17_S18_S1B_S1C_jS1D_jS1E_S1E_jjS1G_bEUljE0_EEESZ_S10_S11_S18_S1C_S1E_T6_T7_T9_mT8_S1G_bDpT10_ENKUlT_T0_E_clISt17integral_constantIbLb1EES1U_EEDaS1P_S1Q_EUlS1P_E_NS1_11comp_targetILNS1_3genE10ELNS1_11target_archE1200ELNS1_3gpuE4ELNS1_3repE0EEENS1_30default_config_static_selectorELNS0_4arch9wavefront6targetE1EEEvS12_,comdat
.Lfunc_end239:
	.size	_ZN7rocprim17ROCPRIM_400000_NS6detail17trampoline_kernelINS0_13select_configILj256ELj13ELNS0_17block_load_methodE3ELS4_3ELS4_3ELNS0_20block_scan_algorithmE0ELj4294967295EEENS1_25partition_config_selectorILNS1_17partition_subalgoE4EjNS0_10empty_typeEbEEZZNS1_14partition_implILS8_4ELb0ES6_15HIP_vector_typeIjLj2EENS0_17counting_iteratorIjlEEPS9_SG_NS0_5tupleIJPjSI_NS0_16reverse_iteratorISI_EEEEENSH_IJSG_SG_SG_EEES9_SI_JZNS1_25segmented_radix_sort_implINS0_14default_configELb1EPKaPaPKlPlN2at6native12_GLOBAL__N_18offset_tEEE10hipError_tPvRmT1_PNSt15iterator_traitsIS12_E10value_typeET2_T3_PNS13_IS18_E10value_typeET4_jRbjT5_S1E_jjP12ihipStream_tbEUljE_ZNSN_ISO_Lb1ESQ_SR_ST_SU_SY_EESZ_S10_S11_S12_S16_S17_S18_S1B_S1C_jS1D_jS1E_S1E_jjS1G_bEUljE0_EEESZ_S10_S11_S18_S1C_S1E_T6_T7_T9_mT8_S1G_bDpT10_ENKUlT_T0_E_clISt17integral_constantIbLb1EES1U_EEDaS1P_S1Q_EUlS1P_E_NS1_11comp_targetILNS1_3genE10ELNS1_11target_archE1200ELNS1_3gpuE4ELNS1_3repE0EEENS1_30default_config_static_selectorELNS0_4arch9wavefront6targetE1EEEvS12_, .Lfunc_end239-_ZN7rocprim17ROCPRIM_400000_NS6detail17trampoline_kernelINS0_13select_configILj256ELj13ELNS0_17block_load_methodE3ELS4_3ELS4_3ELNS0_20block_scan_algorithmE0ELj4294967295EEENS1_25partition_config_selectorILNS1_17partition_subalgoE4EjNS0_10empty_typeEbEEZZNS1_14partition_implILS8_4ELb0ES6_15HIP_vector_typeIjLj2EENS0_17counting_iteratorIjlEEPS9_SG_NS0_5tupleIJPjSI_NS0_16reverse_iteratorISI_EEEEENSH_IJSG_SG_SG_EEES9_SI_JZNS1_25segmented_radix_sort_implINS0_14default_configELb1EPKaPaPKlPlN2at6native12_GLOBAL__N_18offset_tEEE10hipError_tPvRmT1_PNSt15iterator_traitsIS12_E10value_typeET2_T3_PNS13_IS18_E10value_typeET4_jRbjT5_S1E_jjP12ihipStream_tbEUljE_ZNSN_ISO_Lb1ESQ_SR_ST_SU_SY_EESZ_S10_S11_S12_S16_S17_S18_S1B_S1C_jS1D_jS1E_S1E_jjS1G_bEUljE0_EEESZ_S10_S11_S18_S1C_S1E_T6_T7_T9_mT8_S1G_bDpT10_ENKUlT_T0_E_clISt17integral_constantIbLb1EES1U_EEDaS1P_S1Q_EUlS1P_E_NS1_11comp_targetILNS1_3genE10ELNS1_11target_archE1200ELNS1_3gpuE4ELNS1_3repE0EEENS1_30default_config_static_selectorELNS0_4arch9wavefront6targetE1EEEvS12_
                                        ; -- End function
	.set _ZN7rocprim17ROCPRIM_400000_NS6detail17trampoline_kernelINS0_13select_configILj256ELj13ELNS0_17block_load_methodE3ELS4_3ELS4_3ELNS0_20block_scan_algorithmE0ELj4294967295EEENS1_25partition_config_selectorILNS1_17partition_subalgoE4EjNS0_10empty_typeEbEEZZNS1_14partition_implILS8_4ELb0ES6_15HIP_vector_typeIjLj2EENS0_17counting_iteratorIjlEEPS9_SG_NS0_5tupleIJPjSI_NS0_16reverse_iteratorISI_EEEEENSH_IJSG_SG_SG_EEES9_SI_JZNS1_25segmented_radix_sort_implINS0_14default_configELb1EPKaPaPKlPlN2at6native12_GLOBAL__N_18offset_tEEE10hipError_tPvRmT1_PNSt15iterator_traitsIS12_E10value_typeET2_T3_PNS13_IS18_E10value_typeET4_jRbjT5_S1E_jjP12ihipStream_tbEUljE_ZNSN_ISO_Lb1ESQ_SR_ST_SU_SY_EESZ_S10_S11_S12_S16_S17_S18_S1B_S1C_jS1D_jS1E_S1E_jjS1G_bEUljE0_EEESZ_S10_S11_S18_S1C_S1E_T6_T7_T9_mT8_S1G_bDpT10_ENKUlT_T0_E_clISt17integral_constantIbLb1EES1U_EEDaS1P_S1Q_EUlS1P_E_NS1_11comp_targetILNS1_3genE10ELNS1_11target_archE1200ELNS1_3gpuE4ELNS1_3repE0EEENS1_30default_config_static_selectorELNS0_4arch9wavefront6targetE1EEEvS12_.num_vgpr, 0
	.set _ZN7rocprim17ROCPRIM_400000_NS6detail17trampoline_kernelINS0_13select_configILj256ELj13ELNS0_17block_load_methodE3ELS4_3ELS4_3ELNS0_20block_scan_algorithmE0ELj4294967295EEENS1_25partition_config_selectorILNS1_17partition_subalgoE4EjNS0_10empty_typeEbEEZZNS1_14partition_implILS8_4ELb0ES6_15HIP_vector_typeIjLj2EENS0_17counting_iteratorIjlEEPS9_SG_NS0_5tupleIJPjSI_NS0_16reverse_iteratorISI_EEEEENSH_IJSG_SG_SG_EEES9_SI_JZNS1_25segmented_radix_sort_implINS0_14default_configELb1EPKaPaPKlPlN2at6native12_GLOBAL__N_18offset_tEEE10hipError_tPvRmT1_PNSt15iterator_traitsIS12_E10value_typeET2_T3_PNS13_IS18_E10value_typeET4_jRbjT5_S1E_jjP12ihipStream_tbEUljE_ZNSN_ISO_Lb1ESQ_SR_ST_SU_SY_EESZ_S10_S11_S12_S16_S17_S18_S1B_S1C_jS1D_jS1E_S1E_jjS1G_bEUljE0_EEESZ_S10_S11_S18_S1C_S1E_T6_T7_T9_mT8_S1G_bDpT10_ENKUlT_T0_E_clISt17integral_constantIbLb1EES1U_EEDaS1P_S1Q_EUlS1P_E_NS1_11comp_targetILNS1_3genE10ELNS1_11target_archE1200ELNS1_3gpuE4ELNS1_3repE0EEENS1_30default_config_static_selectorELNS0_4arch9wavefront6targetE1EEEvS12_.num_agpr, 0
	.set _ZN7rocprim17ROCPRIM_400000_NS6detail17trampoline_kernelINS0_13select_configILj256ELj13ELNS0_17block_load_methodE3ELS4_3ELS4_3ELNS0_20block_scan_algorithmE0ELj4294967295EEENS1_25partition_config_selectorILNS1_17partition_subalgoE4EjNS0_10empty_typeEbEEZZNS1_14partition_implILS8_4ELb0ES6_15HIP_vector_typeIjLj2EENS0_17counting_iteratorIjlEEPS9_SG_NS0_5tupleIJPjSI_NS0_16reverse_iteratorISI_EEEEENSH_IJSG_SG_SG_EEES9_SI_JZNS1_25segmented_radix_sort_implINS0_14default_configELb1EPKaPaPKlPlN2at6native12_GLOBAL__N_18offset_tEEE10hipError_tPvRmT1_PNSt15iterator_traitsIS12_E10value_typeET2_T3_PNS13_IS18_E10value_typeET4_jRbjT5_S1E_jjP12ihipStream_tbEUljE_ZNSN_ISO_Lb1ESQ_SR_ST_SU_SY_EESZ_S10_S11_S12_S16_S17_S18_S1B_S1C_jS1D_jS1E_S1E_jjS1G_bEUljE0_EEESZ_S10_S11_S18_S1C_S1E_T6_T7_T9_mT8_S1G_bDpT10_ENKUlT_T0_E_clISt17integral_constantIbLb1EES1U_EEDaS1P_S1Q_EUlS1P_E_NS1_11comp_targetILNS1_3genE10ELNS1_11target_archE1200ELNS1_3gpuE4ELNS1_3repE0EEENS1_30default_config_static_selectorELNS0_4arch9wavefront6targetE1EEEvS12_.numbered_sgpr, 0
	.set _ZN7rocprim17ROCPRIM_400000_NS6detail17trampoline_kernelINS0_13select_configILj256ELj13ELNS0_17block_load_methodE3ELS4_3ELS4_3ELNS0_20block_scan_algorithmE0ELj4294967295EEENS1_25partition_config_selectorILNS1_17partition_subalgoE4EjNS0_10empty_typeEbEEZZNS1_14partition_implILS8_4ELb0ES6_15HIP_vector_typeIjLj2EENS0_17counting_iteratorIjlEEPS9_SG_NS0_5tupleIJPjSI_NS0_16reverse_iteratorISI_EEEEENSH_IJSG_SG_SG_EEES9_SI_JZNS1_25segmented_radix_sort_implINS0_14default_configELb1EPKaPaPKlPlN2at6native12_GLOBAL__N_18offset_tEEE10hipError_tPvRmT1_PNSt15iterator_traitsIS12_E10value_typeET2_T3_PNS13_IS18_E10value_typeET4_jRbjT5_S1E_jjP12ihipStream_tbEUljE_ZNSN_ISO_Lb1ESQ_SR_ST_SU_SY_EESZ_S10_S11_S12_S16_S17_S18_S1B_S1C_jS1D_jS1E_S1E_jjS1G_bEUljE0_EEESZ_S10_S11_S18_S1C_S1E_T6_T7_T9_mT8_S1G_bDpT10_ENKUlT_T0_E_clISt17integral_constantIbLb1EES1U_EEDaS1P_S1Q_EUlS1P_E_NS1_11comp_targetILNS1_3genE10ELNS1_11target_archE1200ELNS1_3gpuE4ELNS1_3repE0EEENS1_30default_config_static_selectorELNS0_4arch9wavefront6targetE1EEEvS12_.num_named_barrier, 0
	.set _ZN7rocprim17ROCPRIM_400000_NS6detail17trampoline_kernelINS0_13select_configILj256ELj13ELNS0_17block_load_methodE3ELS4_3ELS4_3ELNS0_20block_scan_algorithmE0ELj4294967295EEENS1_25partition_config_selectorILNS1_17partition_subalgoE4EjNS0_10empty_typeEbEEZZNS1_14partition_implILS8_4ELb0ES6_15HIP_vector_typeIjLj2EENS0_17counting_iteratorIjlEEPS9_SG_NS0_5tupleIJPjSI_NS0_16reverse_iteratorISI_EEEEENSH_IJSG_SG_SG_EEES9_SI_JZNS1_25segmented_radix_sort_implINS0_14default_configELb1EPKaPaPKlPlN2at6native12_GLOBAL__N_18offset_tEEE10hipError_tPvRmT1_PNSt15iterator_traitsIS12_E10value_typeET2_T3_PNS13_IS18_E10value_typeET4_jRbjT5_S1E_jjP12ihipStream_tbEUljE_ZNSN_ISO_Lb1ESQ_SR_ST_SU_SY_EESZ_S10_S11_S12_S16_S17_S18_S1B_S1C_jS1D_jS1E_S1E_jjS1G_bEUljE0_EEESZ_S10_S11_S18_S1C_S1E_T6_T7_T9_mT8_S1G_bDpT10_ENKUlT_T0_E_clISt17integral_constantIbLb1EES1U_EEDaS1P_S1Q_EUlS1P_E_NS1_11comp_targetILNS1_3genE10ELNS1_11target_archE1200ELNS1_3gpuE4ELNS1_3repE0EEENS1_30default_config_static_selectorELNS0_4arch9wavefront6targetE1EEEvS12_.private_seg_size, 0
	.set _ZN7rocprim17ROCPRIM_400000_NS6detail17trampoline_kernelINS0_13select_configILj256ELj13ELNS0_17block_load_methodE3ELS4_3ELS4_3ELNS0_20block_scan_algorithmE0ELj4294967295EEENS1_25partition_config_selectorILNS1_17partition_subalgoE4EjNS0_10empty_typeEbEEZZNS1_14partition_implILS8_4ELb0ES6_15HIP_vector_typeIjLj2EENS0_17counting_iteratorIjlEEPS9_SG_NS0_5tupleIJPjSI_NS0_16reverse_iteratorISI_EEEEENSH_IJSG_SG_SG_EEES9_SI_JZNS1_25segmented_radix_sort_implINS0_14default_configELb1EPKaPaPKlPlN2at6native12_GLOBAL__N_18offset_tEEE10hipError_tPvRmT1_PNSt15iterator_traitsIS12_E10value_typeET2_T3_PNS13_IS18_E10value_typeET4_jRbjT5_S1E_jjP12ihipStream_tbEUljE_ZNSN_ISO_Lb1ESQ_SR_ST_SU_SY_EESZ_S10_S11_S12_S16_S17_S18_S1B_S1C_jS1D_jS1E_S1E_jjS1G_bEUljE0_EEESZ_S10_S11_S18_S1C_S1E_T6_T7_T9_mT8_S1G_bDpT10_ENKUlT_T0_E_clISt17integral_constantIbLb1EES1U_EEDaS1P_S1Q_EUlS1P_E_NS1_11comp_targetILNS1_3genE10ELNS1_11target_archE1200ELNS1_3gpuE4ELNS1_3repE0EEENS1_30default_config_static_selectorELNS0_4arch9wavefront6targetE1EEEvS12_.uses_vcc, 0
	.set _ZN7rocprim17ROCPRIM_400000_NS6detail17trampoline_kernelINS0_13select_configILj256ELj13ELNS0_17block_load_methodE3ELS4_3ELS4_3ELNS0_20block_scan_algorithmE0ELj4294967295EEENS1_25partition_config_selectorILNS1_17partition_subalgoE4EjNS0_10empty_typeEbEEZZNS1_14partition_implILS8_4ELb0ES6_15HIP_vector_typeIjLj2EENS0_17counting_iteratorIjlEEPS9_SG_NS0_5tupleIJPjSI_NS0_16reverse_iteratorISI_EEEEENSH_IJSG_SG_SG_EEES9_SI_JZNS1_25segmented_radix_sort_implINS0_14default_configELb1EPKaPaPKlPlN2at6native12_GLOBAL__N_18offset_tEEE10hipError_tPvRmT1_PNSt15iterator_traitsIS12_E10value_typeET2_T3_PNS13_IS18_E10value_typeET4_jRbjT5_S1E_jjP12ihipStream_tbEUljE_ZNSN_ISO_Lb1ESQ_SR_ST_SU_SY_EESZ_S10_S11_S12_S16_S17_S18_S1B_S1C_jS1D_jS1E_S1E_jjS1G_bEUljE0_EEESZ_S10_S11_S18_S1C_S1E_T6_T7_T9_mT8_S1G_bDpT10_ENKUlT_T0_E_clISt17integral_constantIbLb1EES1U_EEDaS1P_S1Q_EUlS1P_E_NS1_11comp_targetILNS1_3genE10ELNS1_11target_archE1200ELNS1_3gpuE4ELNS1_3repE0EEENS1_30default_config_static_selectorELNS0_4arch9wavefront6targetE1EEEvS12_.uses_flat_scratch, 0
	.set _ZN7rocprim17ROCPRIM_400000_NS6detail17trampoline_kernelINS0_13select_configILj256ELj13ELNS0_17block_load_methodE3ELS4_3ELS4_3ELNS0_20block_scan_algorithmE0ELj4294967295EEENS1_25partition_config_selectorILNS1_17partition_subalgoE4EjNS0_10empty_typeEbEEZZNS1_14partition_implILS8_4ELb0ES6_15HIP_vector_typeIjLj2EENS0_17counting_iteratorIjlEEPS9_SG_NS0_5tupleIJPjSI_NS0_16reverse_iteratorISI_EEEEENSH_IJSG_SG_SG_EEES9_SI_JZNS1_25segmented_radix_sort_implINS0_14default_configELb1EPKaPaPKlPlN2at6native12_GLOBAL__N_18offset_tEEE10hipError_tPvRmT1_PNSt15iterator_traitsIS12_E10value_typeET2_T3_PNS13_IS18_E10value_typeET4_jRbjT5_S1E_jjP12ihipStream_tbEUljE_ZNSN_ISO_Lb1ESQ_SR_ST_SU_SY_EESZ_S10_S11_S12_S16_S17_S18_S1B_S1C_jS1D_jS1E_S1E_jjS1G_bEUljE0_EEESZ_S10_S11_S18_S1C_S1E_T6_T7_T9_mT8_S1G_bDpT10_ENKUlT_T0_E_clISt17integral_constantIbLb1EES1U_EEDaS1P_S1Q_EUlS1P_E_NS1_11comp_targetILNS1_3genE10ELNS1_11target_archE1200ELNS1_3gpuE4ELNS1_3repE0EEENS1_30default_config_static_selectorELNS0_4arch9wavefront6targetE1EEEvS12_.has_dyn_sized_stack, 0
	.set _ZN7rocprim17ROCPRIM_400000_NS6detail17trampoline_kernelINS0_13select_configILj256ELj13ELNS0_17block_load_methodE3ELS4_3ELS4_3ELNS0_20block_scan_algorithmE0ELj4294967295EEENS1_25partition_config_selectorILNS1_17partition_subalgoE4EjNS0_10empty_typeEbEEZZNS1_14partition_implILS8_4ELb0ES6_15HIP_vector_typeIjLj2EENS0_17counting_iteratorIjlEEPS9_SG_NS0_5tupleIJPjSI_NS0_16reverse_iteratorISI_EEEEENSH_IJSG_SG_SG_EEES9_SI_JZNS1_25segmented_radix_sort_implINS0_14default_configELb1EPKaPaPKlPlN2at6native12_GLOBAL__N_18offset_tEEE10hipError_tPvRmT1_PNSt15iterator_traitsIS12_E10value_typeET2_T3_PNS13_IS18_E10value_typeET4_jRbjT5_S1E_jjP12ihipStream_tbEUljE_ZNSN_ISO_Lb1ESQ_SR_ST_SU_SY_EESZ_S10_S11_S12_S16_S17_S18_S1B_S1C_jS1D_jS1E_S1E_jjS1G_bEUljE0_EEESZ_S10_S11_S18_S1C_S1E_T6_T7_T9_mT8_S1G_bDpT10_ENKUlT_T0_E_clISt17integral_constantIbLb1EES1U_EEDaS1P_S1Q_EUlS1P_E_NS1_11comp_targetILNS1_3genE10ELNS1_11target_archE1200ELNS1_3gpuE4ELNS1_3repE0EEENS1_30default_config_static_selectorELNS0_4arch9wavefront6targetE1EEEvS12_.has_recursion, 0
	.set _ZN7rocprim17ROCPRIM_400000_NS6detail17trampoline_kernelINS0_13select_configILj256ELj13ELNS0_17block_load_methodE3ELS4_3ELS4_3ELNS0_20block_scan_algorithmE0ELj4294967295EEENS1_25partition_config_selectorILNS1_17partition_subalgoE4EjNS0_10empty_typeEbEEZZNS1_14partition_implILS8_4ELb0ES6_15HIP_vector_typeIjLj2EENS0_17counting_iteratorIjlEEPS9_SG_NS0_5tupleIJPjSI_NS0_16reverse_iteratorISI_EEEEENSH_IJSG_SG_SG_EEES9_SI_JZNS1_25segmented_radix_sort_implINS0_14default_configELb1EPKaPaPKlPlN2at6native12_GLOBAL__N_18offset_tEEE10hipError_tPvRmT1_PNSt15iterator_traitsIS12_E10value_typeET2_T3_PNS13_IS18_E10value_typeET4_jRbjT5_S1E_jjP12ihipStream_tbEUljE_ZNSN_ISO_Lb1ESQ_SR_ST_SU_SY_EESZ_S10_S11_S12_S16_S17_S18_S1B_S1C_jS1D_jS1E_S1E_jjS1G_bEUljE0_EEESZ_S10_S11_S18_S1C_S1E_T6_T7_T9_mT8_S1G_bDpT10_ENKUlT_T0_E_clISt17integral_constantIbLb1EES1U_EEDaS1P_S1Q_EUlS1P_E_NS1_11comp_targetILNS1_3genE10ELNS1_11target_archE1200ELNS1_3gpuE4ELNS1_3repE0EEENS1_30default_config_static_selectorELNS0_4arch9wavefront6targetE1EEEvS12_.has_indirect_call, 0
	.section	.AMDGPU.csdata,"",@progbits
; Kernel info:
; codeLenInByte = 0
; TotalNumSgprs: 4
; NumVgprs: 0
; ScratchSize: 0
; MemoryBound: 0
; FloatMode: 240
; IeeeMode: 1
; LDSByteSize: 0 bytes/workgroup (compile time only)
; SGPRBlocks: 0
; VGPRBlocks: 0
; NumSGPRsForWavesPerEU: 4
; NumVGPRsForWavesPerEU: 1
; Occupancy: 10
; WaveLimiterHint : 0
; COMPUTE_PGM_RSRC2:SCRATCH_EN: 0
; COMPUTE_PGM_RSRC2:USER_SGPR: 6
; COMPUTE_PGM_RSRC2:TRAP_HANDLER: 0
; COMPUTE_PGM_RSRC2:TGID_X_EN: 1
; COMPUTE_PGM_RSRC2:TGID_Y_EN: 0
; COMPUTE_PGM_RSRC2:TGID_Z_EN: 0
; COMPUTE_PGM_RSRC2:TIDIG_COMP_CNT: 0
	.section	.text._ZN7rocprim17ROCPRIM_400000_NS6detail17trampoline_kernelINS0_13select_configILj256ELj13ELNS0_17block_load_methodE3ELS4_3ELS4_3ELNS0_20block_scan_algorithmE0ELj4294967295EEENS1_25partition_config_selectorILNS1_17partition_subalgoE4EjNS0_10empty_typeEbEEZZNS1_14partition_implILS8_4ELb0ES6_15HIP_vector_typeIjLj2EENS0_17counting_iteratorIjlEEPS9_SG_NS0_5tupleIJPjSI_NS0_16reverse_iteratorISI_EEEEENSH_IJSG_SG_SG_EEES9_SI_JZNS1_25segmented_radix_sort_implINS0_14default_configELb1EPKaPaPKlPlN2at6native12_GLOBAL__N_18offset_tEEE10hipError_tPvRmT1_PNSt15iterator_traitsIS12_E10value_typeET2_T3_PNS13_IS18_E10value_typeET4_jRbjT5_S1E_jjP12ihipStream_tbEUljE_ZNSN_ISO_Lb1ESQ_SR_ST_SU_SY_EESZ_S10_S11_S12_S16_S17_S18_S1B_S1C_jS1D_jS1E_S1E_jjS1G_bEUljE0_EEESZ_S10_S11_S18_S1C_S1E_T6_T7_T9_mT8_S1G_bDpT10_ENKUlT_T0_E_clISt17integral_constantIbLb1EES1U_EEDaS1P_S1Q_EUlS1P_E_NS1_11comp_targetILNS1_3genE9ELNS1_11target_archE1100ELNS1_3gpuE3ELNS1_3repE0EEENS1_30default_config_static_selectorELNS0_4arch9wavefront6targetE1EEEvS12_,"axG",@progbits,_ZN7rocprim17ROCPRIM_400000_NS6detail17trampoline_kernelINS0_13select_configILj256ELj13ELNS0_17block_load_methodE3ELS4_3ELS4_3ELNS0_20block_scan_algorithmE0ELj4294967295EEENS1_25partition_config_selectorILNS1_17partition_subalgoE4EjNS0_10empty_typeEbEEZZNS1_14partition_implILS8_4ELb0ES6_15HIP_vector_typeIjLj2EENS0_17counting_iteratorIjlEEPS9_SG_NS0_5tupleIJPjSI_NS0_16reverse_iteratorISI_EEEEENSH_IJSG_SG_SG_EEES9_SI_JZNS1_25segmented_radix_sort_implINS0_14default_configELb1EPKaPaPKlPlN2at6native12_GLOBAL__N_18offset_tEEE10hipError_tPvRmT1_PNSt15iterator_traitsIS12_E10value_typeET2_T3_PNS13_IS18_E10value_typeET4_jRbjT5_S1E_jjP12ihipStream_tbEUljE_ZNSN_ISO_Lb1ESQ_SR_ST_SU_SY_EESZ_S10_S11_S12_S16_S17_S18_S1B_S1C_jS1D_jS1E_S1E_jjS1G_bEUljE0_EEESZ_S10_S11_S18_S1C_S1E_T6_T7_T9_mT8_S1G_bDpT10_ENKUlT_T0_E_clISt17integral_constantIbLb1EES1U_EEDaS1P_S1Q_EUlS1P_E_NS1_11comp_targetILNS1_3genE9ELNS1_11target_archE1100ELNS1_3gpuE3ELNS1_3repE0EEENS1_30default_config_static_selectorELNS0_4arch9wavefront6targetE1EEEvS12_,comdat
	.globl	_ZN7rocprim17ROCPRIM_400000_NS6detail17trampoline_kernelINS0_13select_configILj256ELj13ELNS0_17block_load_methodE3ELS4_3ELS4_3ELNS0_20block_scan_algorithmE0ELj4294967295EEENS1_25partition_config_selectorILNS1_17partition_subalgoE4EjNS0_10empty_typeEbEEZZNS1_14partition_implILS8_4ELb0ES6_15HIP_vector_typeIjLj2EENS0_17counting_iteratorIjlEEPS9_SG_NS0_5tupleIJPjSI_NS0_16reverse_iteratorISI_EEEEENSH_IJSG_SG_SG_EEES9_SI_JZNS1_25segmented_radix_sort_implINS0_14default_configELb1EPKaPaPKlPlN2at6native12_GLOBAL__N_18offset_tEEE10hipError_tPvRmT1_PNSt15iterator_traitsIS12_E10value_typeET2_T3_PNS13_IS18_E10value_typeET4_jRbjT5_S1E_jjP12ihipStream_tbEUljE_ZNSN_ISO_Lb1ESQ_SR_ST_SU_SY_EESZ_S10_S11_S12_S16_S17_S18_S1B_S1C_jS1D_jS1E_S1E_jjS1G_bEUljE0_EEESZ_S10_S11_S18_S1C_S1E_T6_T7_T9_mT8_S1G_bDpT10_ENKUlT_T0_E_clISt17integral_constantIbLb1EES1U_EEDaS1P_S1Q_EUlS1P_E_NS1_11comp_targetILNS1_3genE9ELNS1_11target_archE1100ELNS1_3gpuE3ELNS1_3repE0EEENS1_30default_config_static_selectorELNS0_4arch9wavefront6targetE1EEEvS12_ ; -- Begin function _ZN7rocprim17ROCPRIM_400000_NS6detail17trampoline_kernelINS0_13select_configILj256ELj13ELNS0_17block_load_methodE3ELS4_3ELS4_3ELNS0_20block_scan_algorithmE0ELj4294967295EEENS1_25partition_config_selectorILNS1_17partition_subalgoE4EjNS0_10empty_typeEbEEZZNS1_14partition_implILS8_4ELb0ES6_15HIP_vector_typeIjLj2EENS0_17counting_iteratorIjlEEPS9_SG_NS0_5tupleIJPjSI_NS0_16reverse_iteratorISI_EEEEENSH_IJSG_SG_SG_EEES9_SI_JZNS1_25segmented_radix_sort_implINS0_14default_configELb1EPKaPaPKlPlN2at6native12_GLOBAL__N_18offset_tEEE10hipError_tPvRmT1_PNSt15iterator_traitsIS12_E10value_typeET2_T3_PNS13_IS18_E10value_typeET4_jRbjT5_S1E_jjP12ihipStream_tbEUljE_ZNSN_ISO_Lb1ESQ_SR_ST_SU_SY_EESZ_S10_S11_S12_S16_S17_S18_S1B_S1C_jS1D_jS1E_S1E_jjS1G_bEUljE0_EEESZ_S10_S11_S18_S1C_S1E_T6_T7_T9_mT8_S1G_bDpT10_ENKUlT_T0_E_clISt17integral_constantIbLb1EES1U_EEDaS1P_S1Q_EUlS1P_E_NS1_11comp_targetILNS1_3genE9ELNS1_11target_archE1100ELNS1_3gpuE3ELNS1_3repE0EEENS1_30default_config_static_selectorELNS0_4arch9wavefront6targetE1EEEvS12_
	.p2align	8
	.type	_ZN7rocprim17ROCPRIM_400000_NS6detail17trampoline_kernelINS0_13select_configILj256ELj13ELNS0_17block_load_methodE3ELS4_3ELS4_3ELNS0_20block_scan_algorithmE0ELj4294967295EEENS1_25partition_config_selectorILNS1_17partition_subalgoE4EjNS0_10empty_typeEbEEZZNS1_14partition_implILS8_4ELb0ES6_15HIP_vector_typeIjLj2EENS0_17counting_iteratorIjlEEPS9_SG_NS0_5tupleIJPjSI_NS0_16reverse_iteratorISI_EEEEENSH_IJSG_SG_SG_EEES9_SI_JZNS1_25segmented_radix_sort_implINS0_14default_configELb1EPKaPaPKlPlN2at6native12_GLOBAL__N_18offset_tEEE10hipError_tPvRmT1_PNSt15iterator_traitsIS12_E10value_typeET2_T3_PNS13_IS18_E10value_typeET4_jRbjT5_S1E_jjP12ihipStream_tbEUljE_ZNSN_ISO_Lb1ESQ_SR_ST_SU_SY_EESZ_S10_S11_S12_S16_S17_S18_S1B_S1C_jS1D_jS1E_S1E_jjS1G_bEUljE0_EEESZ_S10_S11_S18_S1C_S1E_T6_T7_T9_mT8_S1G_bDpT10_ENKUlT_T0_E_clISt17integral_constantIbLb1EES1U_EEDaS1P_S1Q_EUlS1P_E_NS1_11comp_targetILNS1_3genE9ELNS1_11target_archE1100ELNS1_3gpuE3ELNS1_3repE0EEENS1_30default_config_static_selectorELNS0_4arch9wavefront6targetE1EEEvS12_,@function
_ZN7rocprim17ROCPRIM_400000_NS6detail17trampoline_kernelINS0_13select_configILj256ELj13ELNS0_17block_load_methodE3ELS4_3ELS4_3ELNS0_20block_scan_algorithmE0ELj4294967295EEENS1_25partition_config_selectorILNS1_17partition_subalgoE4EjNS0_10empty_typeEbEEZZNS1_14partition_implILS8_4ELb0ES6_15HIP_vector_typeIjLj2EENS0_17counting_iteratorIjlEEPS9_SG_NS0_5tupleIJPjSI_NS0_16reverse_iteratorISI_EEEEENSH_IJSG_SG_SG_EEES9_SI_JZNS1_25segmented_radix_sort_implINS0_14default_configELb1EPKaPaPKlPlN2at6native12_GLOBAL__N_18offset_tEEE10hipError_tPvRmT1_PNSt15iterator_traitsIS12_E10value_typeET2_T3_PNS13_IS18_E10value_typeET4_jRbjT5_S1E_jjP12ihipStream_tbEUljE_ZNSN_ISO_Lb1ESQ_SR_ST_SU_SY_EESZ_S10_S11_S12_S16_S17_S18_S1B_S1C_jS1D_jS1E_S1E_jjS1G_bEUljE0_EEESZ_S10_S11_S18_S1C_S1E_T6_T7_T9_mT8_S1G_bDpT10_ENKUlT_T0_E_clISt17integral_constantIbLb1EES1U_EEDaS1P_S1Q_EUlS1P_E_NS1_11comp_targetILNS1_3genE9ELNS1_11target_archE1100ELNS1_3gpuE3ELNS1_3repE0EEENS1_30default_config_static_selectorELNS0_4arch9wavefront6targetE1EEEvS12_: ; @_ZN7rocprim17ROCPRIM_400000_NS6detail17trampoline_kernelINS0_13select_configILj256ELj13ELNS0_17block_load_methodE3ELS4_3ELS4_3ELNS0_20block_scan_algorithmE0ELj4294967295EEENS1_25partition_config_selectorILNS1_17partition_subalgoE4EjNS0_10empty_typeEbEEZZNS1_14partition_implILS8_4ELb0ES6_15HIP_vector_typeIjLj2EENS0_17counting_iteratorIjlEEPS9_SG_NS0_5tupleIJPjSI_NS0_16reverse_iteratorISI_EEEEENSH_IJSG_SG_SG_EEES9_SI_JZNS1_25segmented_radix_sort_implINS0_14default_configELb1EPKaPaPKlPlN2at6native12_GLOBAL__N_18offset_tEEE10hipError_tPvRmT1_PNSt15iterator_traitsIS12_E10value_typeET2_T3_PNS13_IS18_E10value_typeET4_jRbjT5_S1E_jjP12ihipStream_tbEUljE_ZNSN_ISO_Lb1ESQ_SR_ST_SU_SY_EESZ_S10_S11_S12_S16_S17_S18_S1B_S1C_jS1D_jS1E_S1E_jjS1G_bEUljE0_EEESZ_S10_S11_S18_S1C_S1E_T6_T7_T9_mT8_S1G_bDpT10_ENKUlT_T0_E_clISt17integral_constantIbLb1EES1U_EEDaS1P_S1Q_EUlS1P_E_NS1_11comp_targetILNS1_3genE9ELNS1_11target_archE1100ELNS1_3gpuE3ELNS1_3repE0EEENS1_30default_config_static_selectorELNS0_4arch9wavefront6targetE1EEEvS12_
; %bb.0:
	.section	.rodata,"a",@progbits
	.p2align	6, 0x0
	.amdhsa_kernel _ZN7rocprim17ROCPRIM_400000_NS6detail17trampoline_kernelINS0_13select_configILj256ELj13ELNS0_17block_load_methodE3ELS4_3ELS4_3ELNS0_20block_scan_algorithmE0ELj4294967295EEENS1_25partition_config_selectorILNS1_17partition_subalgoE4EjNS0_10empty_typeEbEEZZNS1_14partition_implILS8_4ELb0ES6_15HIP_vector_typeIjLj2EENS0_17counting_iteratorIjlEEPS9_SG_NS0_5tupleIJPjSI_NS0_16reverse_iteratorISI_EEEEENSH_IJSG_SG_SG_EEES9_SI_JZNS1_25segmented_radix_sort_implINS0_14default_configELb1EPKaPaPKlPlN2at6native12_GLOBAL__N_18offset_tEEE10hipError_tPvRmT1_PNSt15iterator_traitsIS12_E10value_typeET2_T3_PNS13_IS18_E10value_typeET4_jRbjT5_S1E_jjP12ihipStream_tbEUljE_ZNSN_ISO_Lb1ESQ_SR_ST_SU_SY_EESZ_S10_S11_S12_S16_S17_S18_S1B_S1C_jS1D_jS1E_S1E_jjS1G_bEUljE0_EEESZ_S10_S11_S18_S1C_S1E_T6_T7_T9_mT8_S1G_bDpT10_ENKUlT_T0_E_clISt17integral_constantIbLb1EES1U_EEDaS1P_S1Q_EUlS1P_E_NS1_11comp_targetILNS1_3genE9ELNS1_11target_archE1100ELNS1_3gpuE3ELNS1_3repE0EEENS1_30default_config_static_selectorELNS0_4arch9wavefront6targetE1EEEvS12_
		.amdhsa_group_segment_fixed_size 0
		.amdhsa_private_segment_fixed_size 0
		.amdhsa_kernarg_size 184
		.amdhsa_user_sgpr_count 6
		.amdhsa_user_sgpr_private_segment_buffer 1
		.amdhsa_user_sgpr_dispatch_ptr 0
		.amdhsa_user_sgpr_queue_ptr 0
		.amdhsa_user_sgpr_kernarg_segment_ptr 1
		.amdhsa_user_sgpr_dispatch_id 0
		.amdhsa_user_sgpr_flat_scratch_init 0
		.amdhsa_user_sgpr_private_segment_size 0
		.amdhsa_uses_dynamic_stack 0
		.amdhsa_system_sgpr_private_segment_wavefront_offset 0
		.amdhsa_system_sgpr_workgroup_id_x 1
		.amdhsa_system_sgpr_workgroup_id_y 0
		.amdhsa_system_sgpr_workgroup_id_z 0
		.amdhsa_system_sgpr_workgroup_info 0
		.amdhsa_system_vgpr_workitem_id 0
		.amdhsa_next_free_vgpr 1
		.amdhsa_next_free_sgpr 0
		.amdhsa_reserve_vcc 0
		.amdhsa_reserve_flat_scratch 0
		.amdhsa_float_round_mode_32 0
		.amdhsa_float_round_mode_16_64 0
		.amdhsa_float_denorm_mode_32 3
		.amdhsa_float_denorm_mode_16_64 3
		.amdhsa_dx10_clamp 1
		.amdhsa_ieee_mode 1
		.amdhsa_fp16_overflow 0
		.amdhsa_exception_fp_ieee_invalid_op 0
		.amdhsa_exception_fp_denorm_src 0
		.amdhsa_exception_fp_ieee_div_zero 0
		.amdhsa_exception_fp_ieee_overflow 0
		.amdhsa_exception_fp_ieee_underflow 0
		.amdhsa_exception_fp_ieee_inexact 0
		.amdhsa_exception_int_div_zero 0
	.end_amdhsa_kernel
	.section	.text._ZN7rocprim17ROCPRIM_400000_NS6detail17trampoline_kernelINS0_13select_configILj256ELj13ELNS0_17block_load_methodE3ELS4_3ELS4_3ELNS0_20block_scan_algorithmE0ELj4294967295EEENS1_25partition_config_selectorILNS1_17partition_subalgoE4EjNS0_10empty_typeEbEEZZNS1_14partition_implILS8_4ELb0ES6_15HIP_vector_typeIjLj2EENS0_17counting_iteratorIjlEEPS9_SG_NS0_5tupleIJPjSI_NS0_16reverse_iteratorISI_EEEEENSH_IJSG_SG_SG_EEES9_SI_JZNS1_25segmented_radix_sort_implINS0_14default_configELb1EPKaPaPKlPlN2at6native12_GLOBAL__N_18offset_tEEE10hipError_tPvRmT1_PNSt15iterator_traitsIS12_E10value_typeET2_T3_PNS13_IS18_E10value_typeET4_jRbjT5_S1E_jjP12ihipStream_tbEUljE_ZNSN_ISO_Lb1ESQ_SR_ST_SU_SY_EESZ_S10_S11_S12_S16_S17_S18_S1B_S1C_jS1D_jS1E_S1E_jjS1G_bEUljE0_EEESZ_S10_S11_S18_S1C_S1E_T6_T7_T9_mT8_S1G_bDpT10_ENKUlT_T0_E_clISt17integral_constantIbLb1EES1U_EEDaS1P_S1Q_EUlS1P_E_NS1_11comp_targetILNS1_3genE9ELNS1_11target_archE1100ELNS1_3gpuE3ELNS1_3repE0EEENS1_30default_config_static_selectorELNS0_4arch9wavefront6targetE1EEEvS12_,"axG",@progbits,_ZN7rocprim17ROCPRIM_400000_NS6detail17trampoline_kernelINS0_13select_configILj256ELj13ELNS0_17block_load_methodE3ELS4_3ELS4_3ELNS0_20block_scan_algorithmE0ELj4294967295EEENS1_25partition_config_selectorILNS1_17partition_subalgoE4EjNS0_10empty_typeEbEEZZNS1_14partition_implILS8_4ELb0ES6_15HIP_vector_typeIjLj2EENS0_17counting_iteratorIjlEEPS9_SG_NS0_5tupleIJPjSI_NS0_16reverse_iteratorISI_EEEEENSH_IJSG_SG_SG_EEES9_SI_JZNS1_25segmented_radix_sort_implINS0_14default_configELb1EPKaPaPKlPlN2at6native12_GLOBAL__N_18offset_tEEE10hipError_tPvRmT1_PNSt15iterator_traitsIS12_E10value_typeET2_T3_PNS13_IS18_E10value_typeET4_jRbjT5_S1E_jjP12ihipStream_tbEUljE_ZNSN_ISO_Lb1ESQ_SR_ST_SU_SY_EESZ_S10_S11_S12_S16_S17_S18_S1B_S1C_jS1D_jS1E_S1E_jjS1G_bEUljE0_EEESZ_S10_S11_S18_S1C_S1E_T6_T7_T9_mT8_S1G_bDpT10_ENKUlT_T0_E_clISt17integral_constantIbLb1EES1U_EEDaS1P_S1Q_EUlS1P_E_NS1_11comp_targetILNS1_3genE9ELNS1_11target_archE1100ELNS1_3gpuE3ELNS1_3repE0EEENS1_30default_config_static_selectorELNS0_4arch9wavefront6targetE1EEEvS12_,comdat
.Lfunc_end240:
	.size	_ZN7rocprim17ROCPRIM_400000_NS6detail17trampoline_kernelINS0_13select_configILj256ELj13ELNS0_17block_load_methodE3ELS4_3ELS4_3ELNS0_20block_scan_algorithmE0ELj4294967295EEENS1_25partition_config_selectorILNS1_17partition_subalgoE4EjNS0_10empty_typeEbEEZZNS1_14partition_implILS8_4ELb0ES6_15HIP_vector_typeIjLj2EENS0_17counting_iteratorIjlEEPS9_SG_NS0_5tupleIJPjSI_NS0_16reverse_iteratorISI_EEEEENSH_IJSG_SG_SG_EEES9_SI_JZNS1_25segmented_radix_sort_implINS0_14default_configELb1EPKaPaPKlPlN2at6native12_GLOBAL__N_18offset_tEEE10hipError_tPvRmT1_PNSt15iterator_traitsIS12_E10value_typeET2_T3_PNS13_IS18_E10value_typeET4_jRbjT5_S1E_jjP12ihipStream_tbEUljE_ZNSN_ISO_Lb1ESQ_SR_ST_SU_SY_EESZ_S10_S11_S12_S16_S17_S18_S1B_S1C_jS1D_jS1E_S1E_jjS1G_bEUljE0_EEESZ_S10_S11_S18_S1C_S1E_T6_T7_T9_mT8_S1G_bDpT10_ENKUlT_T0_E_clISt17integral_constantIbLb1EES1U_EEDaS1P_S1Q_EUlS1P_E_NS1_11comp_targetILNS1_3genE9ELNS1_11target_archE1100ELNS1_3gpuE3ELNS1_3repE0EEENS1_30default_config_static_selectorELNS0_4arch9wavefront6targetE1EEEvS12_, .Lfunc_end240-_ZN7rocprim17ROCPRIM_400000_NS6detail17trampoline_kernelINS0_13select_configILj256ELj13ELNS0_17block_load_methodE3ELS4_3ELS4_3ELNS0_20block_scan_algorithmE0ELj4294967295EEENS1_25partition_config_selectorILNS1_17partition_subalgoE4EjNS0_10empty_typeEbEEZZNS1_14partition_implILS8_4ELb0ES6_15HIP_vector_typeIjLj2EENS0_17counting_iteratorIjlEEPS9_SG_NS0_5tupleIJPjSI_NS0_16reverse_iteratorISI_EEEEENSH_IJSG_SG_SG_EEES9_SI_JZNS1_25segmented_radix_sort_implINS0_14default_configELb1EPKaPaPKlPlN2at6native12_GLOBAL__N_18offset_tEEE10hipError_tPvRmT1_PNSt15iterator_traitsIS12_E10value_typeET2_T3_PNS13_IS18_E10value_typeET4_jRbjT5_S1E_jjP12ihipStream_tbEUljE_ZNSN_ISO_Lb1ESQ_SR_ST_SU_SY_EESZ_S10_S11_S12_S16_S17_S18_S1B_S1C_jS1D_jS1E_S1E_jjS1G_bEUljE0_EEESZ_S10_S11_S18_S1C_S1E_T6_T7_T9_mT8_S1G_bDpT10_ENKUlT_T0_E_clISt17integral_constantIbLb1EES1U_EEDaS1P_S1Q_EUlS1P_E_NS1_11comp_targetILNS1_3genE9ELNS1_11target_archE1100ELNS1_3gpuE3ELNS1_3repE0EEENS1_30default_config_static_selectorELNS0_4arch9wavefront6targetE1EEEvS12_
                                        ; -- End function
	.set _ZN7rocprim17ROCPRIM_400000_NS6detail17trampoline_kernelINS0_13select_configILj256ELj13ELNS0_17block_load_methodE3ELS4_3ELS4_3ELNS0_20block_scan_algorithmE0ELj4294967295EEENS1_25partition_config_selectorILNS1_17partition_subalgoE4EjNS0_10empty_typeEbEEZZNS1_14partition_implILS8_4ELb0ES6_15HIP_vector_typeIjLj2EENS0_17counting_iteratorIjlEEPS9_SG_NS0_5tupleIJPjSI_NS0_16reverse_iteratorISI_EEEEENSH_IJSG_SG_SG_EEES9_SI_JZNS1_25segmented_radix_sort_implINS0_14default_configELb1EPKaPaPKlPlN2at6native12_GLOBAL__N_18offset_tEEE10hipError_tPvRmT1_PNSt15iterator_traitsIS12_E10value_typeET2_T3_PNS13_IS18_E10value_typeET4_jRbjT5_S1E_jjP12ihipStream_tbEUljE_ZNSN_ISO_Lb1ESQ_SR_ST_SU_SY_EESZ_S10_S11_S12_S16_S17_S18_S1B_S1C_jS1D_jS1E_S1E_jjS1G_bEUljE0_EEESZ_S10_S11_S18_S1C_S1E_T6_T7_T9_mT8_S1G_bDpT10_ENKUlT_T0_E_clISt17integral_constantIbLb1EES1U_EEDaS1P_S1Q_EUlS1P_E_NS1_11comp_targetILNS1_3genE9ELNS1_11target_archE1100ELNS1_3gpuE3ELNS1_3repE0EEENS1_30default_config_static_selectorELNS0_4arch9wavefront6targetE1EEEvS12_.num_vgpr, 0
	.set _ZN7rocprim17ROCPRIM_400000_NS6detail17trampoline_kernelINS0_13select_configILj256ELj13ELNS0_17block_load_methodE3ELS4_3ELS4_3ELNS0_20block_scan_algorithmE0ELj4294967295EEENS1_25partition_config_selectorILNS1_17partition_subalgoE4EjNS0_10empty_typeEbEEZZNS1_14partition_implILS8_4ELb0ES6_15HIP_vector_typeIjLj2EENS0_17counting_iteratorIjlEEPS9_SG_NS0_5tupleIJPjSI_NS0_16reverse_iteratorISI_EEEEENSH_IJSG_SG_SG_EEES9_SI_JZNS1_25segmented_radix_sort_implINS0_14default_configELb1EPKaPaPKlPlN2at6native12_GLOBAL__N_18offset_tEEE10hipError_tPvRmT1_PNSt15iterator_traitsIS12_E10value_typeET2_T3_PNS13_IS18_E10value_typeET4_jRbjT5_S1E_jjP12ihipStream_tbEUljE_ZNSN_ISO_Lb1ESQ_SR_ST_SU_SY_EESZ_S10_S11_S12_S16_S17_S18_S1B_S1C_jS1D_jS1E_S1E_jjS1G_bEUljE0_EEESZ_S10_S11_S18_S1C_S1E_T6_T7_T9_mT8_S1G_bDpT10_ENKUlT_T0_E_clISt17integral_constantIbLb1EES1U_EEDaS1P_S1Q_EUlS1P_E_NS1_11comp_targetILNS1_3genE9ELNS1_11target_archE1100ELNS1_3gpuE3ELNS1_3repE0EEENS1_30default_config_static_selectorELNS0_4arch9wavefront6targetE1EEEvS12_.num_agpr, 0
	.set _ZN7rocprim17ROCPRIM_400000_NS6detail17trampoline_kernelINS0_13select_configILj256ELj13ELNS0_17block_load_methodE3ELS4_3ELS4_3ELNS0_20block_scan_algorithmE0ELj4294967295EEENS1_25partition_config_selectorILNS1_17partition_subalgoE4EjNS0_10empty_typeEbEEZZNS1_14partition_implILS8_4ELb0ES6_15HIP_vector_typeIjLj2EENS0_17counting_iteratorIjlEEPS9_SG_NS0_5tupleIJPjSI_NS0_16reverse_iteratorISI_EEEEENSH_IJSG_SG_SG_EEES9_SI_JZNS1_25segmented_radix_sort_implINS0_14default_configELb1EPKaPaPKlPlN2at6native12_GLOBAL__N_18offset_tEEE10hipError_tPvRmT1_PNSt15iterator_traitsIS12_E10value_typeET2_T3_PNS13_IS18_E10value_typeET4_jRbjT5_S1E_jjP12ihipStream_tbEUljE_ZNSN_ISO_Lb1ESQ_SR_ST_SU_SY_EESZ_S10_S11_S12_S16_S17_S18_S1B_S1C_jS1D_jS1E_S1E_jjS1G_bEUljE0_EEESZ_S10_S11_S18_S1C_S1E_T6_T7_T9_mT8_S1G_bDpT10_ENKUlT_T0_E_clISt17integral_constantIbLb1EES1U_EEDaS1P_S1Q_EUlS1P_E_NS1_11comp_targetILNS1_3genE9ELNS1_11target_archE1100ELNS1_3gpuE3ELNS1_3repE0EEENS1_30default_config_static_selectorELNS0_4arch9wavefront6targetE1EEEvS12_.numbered_sgpr, 0
	.set _ZN7rocprim17ROCPRIM_400000_NS6detail17trampoline_kernelINS0_13select_configILj256ELj13ELNS0_17block_load_methodE3ELS4_3ELS4_3ELNS0_20block_scan_algorithmE0ELj4294967295EEENS1_25partition_config_selectorILNS1_17partition_subalgoE4EjNS0_10empty_typeEbEEZZNS1_14partition_implILS8_4ELb0ES6_15HIP_vector_typeIjLj2EENS0_17counting_iteratorIjlEEPS9_SG_NS0_5tupleIJPjSI_NS0_16reverse_iteratorISI_EEEEENSH_IJSG_SG_SG_EEES9_SI_JZNS1_25segmented_radix_sort_implINS0_14default_configELb1EPKaPaPKlPlN2at6native12_GLOBAL__N_18offset_tEEE10hipError_tPvRmT1_PNSt15iterator_traitsIS12_E10value_typeET2_T3_PNS13_IS18_E10value_typeET4_jRbjT5_S1E_jjP12ihipStream_tbEUljE_ZNSN_ISO_Lb1ESQ_SR_ST_SU_SY_EESZ_S10_S11_S12_S16_S17_S18_S1B_S1C_jS1D_jS1E_S1E_jjS1G_bEUljE0_EEESZ_S10_S11_S18_S1C_S1E_T6_T7_T9_mT8_S1G_bDpT10_ENKUlT_T0_E_clISt17integral_constantIbLb1EES1U_EEDaS1P_S1Q_EUlS1P_E_NS1_11comp_targetILNS1_3genE9ELNS1_11target_archE1100ELNS1_3gpuE3ELNS1_3repE0EEENS1_30default_config_static_selectorELNS0_4arch9wavefront6targetE1EEEvS12_.num_named_barrier, 0
	.set _ZN7rocprim17ROCPRIM_400000_NS6detail17trampoline_kernelINS0_13select_configILj256ELj13ELNS0_17block_load_methodE3ELS4_3ELS4_3ELNS0_20block_scan_algorithmE0ELj4294967295EEENS1_25partition_config_selectorILNS1_17partition_subalgoE4EjNS0_10empty_typeEbEEZZNS1_14partition_implILS8_4ELb0ES6_15HIP_vector_typeIjLj2EENS0_17counting_iteratorIjlEEPS9_SG_NS0_5tupleIJPjSI_NS0_16reverse_iteratorISI_EEEEENSH_IJSG_SG_SG_EEES9_SI_JZNS1_25segmented_radix_sort_implINS0_14default_configELb1EPKaPaPKlPlN2at6native12_GLOBAL__N_18offset_tEEE10hipError_tPvRmT1_PNSt15iterator_traitsIS12_E10value_typeET2_T3_PNS13_IS18_E10value_typeET4_jRbjT5_S1E_jjP12ihipStream_tbEUljE_ZNSN_ISO_Lb1ESQ_SR_ST_SU_SY_EESZ_S10_S11_S12_S16_S17_S18_S1B_S1C_jS1D_jS1E_S1E_jjS1G_bEUljE0_EEESZ_S10_S11_S18_S1C_S1E_T6_T7_T9_mT8_S1G_bDpT10_ENKUlT_T0_E_clISt17integral_constantIbLb1EES1U_EEDaS1P_S1Q_EUlS1P_E_NS1_11comp_targetILNS1_3genE9ELNS1_11target_archE1100ELNS1_3gpuE3ELNS1_3repE0EEENS1_30default_config_static_selectorELNS0_4arch9wavefront6targetE1EEEvS12_.private_seg_size, 0
	.set _ZN7rocprim17ROCPRIM_400000_NS6detail17trampoline_kernelINS0_13select_configILj256ELj13ELNS0_17block_load_methodE3ELS4_3ELS4_3ELNS0_20block_scan_algorithmE0ELj4294967295EEENS1_25partition_config_selectorILNS1_17partition_subalgoE4EjNS0_10empty_typeEbEEZZNS1_14partition_implILS8_4ELb0ES6_15HIP_vector_typeIjLj2EENS0_17counting_iteratorIjlEEPS9_SG_NS0_5tupleIJPjSI_NS0_16reverse_iteratorISI_EEEEENSH_IJSG_SG_SG_EEES9_SI_JZNS1_25segmented_radix_sort_implINS0_14default_configELb1EPKaPaPKlPlN2at6native12_GLOBAL__N_18offset_tEEE10hipError_tPvRmT1_PNSt15iterator_traitsIS12_E10value_typeET2_T3_PNS13_IS18_E10value_typeET4_jRbjT5_S1E_jjP12ihipStream_tbEUljE_ZNSN_ISO_Lb1ESQ_SR_ST_SU_SY_EESZ_S10_S11_S12_S16_S17_S18_S1B_S1C_jS1D_jS1E_S1E_jjS1G_bEUljE0_EEESZ_S10_S11_S18_S1C_S1E_T6_T7_T9_mT8_S1G_bDpT10_ENKUlT_T0_E_clISt17integral_constantIbLb1EES1U_EEDaS1P_S1Q_EUlS1P_E_NS1_11comp_targetILNS1_3genE9ELNS1_11target_archE1100ELNS1_3gpuE3ELNS1_3repE0EEENS1_30default_config_static_selectorELNS0_4arch9wavefront6targetE1EEEvS12_.uses_vcc, 0
	.set _ZN7rocprim17ROCPRIM_400000_NS6detail17trampoline_kernelINS0_13select_configILj256ELj13ELNS0_17block_load_methodE3ELS4_3ELS4_3ELNS0_20block_scan_algorithmE0ELj4294967295EEENS1_25partition_config_selectorILNS1_17partition_subalgoE4EjNS0_10empty_typeEbEEZZNS1_14partition_implILS8_4ELb0ES6_15HIP_vector_typeIjLj2EENS0_17counting_iteratorIjlEEPS9_SG_NS0_5tupleIJPjSI_NS0_16reverse_iteratorISI_EEEEENSH_IJSG_SG_SG_EEES9_SI_JZNS1_25segmented_radix_sort_implINS0_14default_configELb1EPKaPaPKlPlN2at6native12_GLOBAL__N_18offset_tEEE10hipError_tPvRmT1_PNSt15iterator_traitsIS12_E10value_typeET2_T3_PNS13_IS18_E10value_typeET4_jRbjT5_S1E_jjP12ihipStream_tbEUljE_ZNSN_ISO_Lb1ESQ_SR_ST_SU_SY_EESZ_S10_S11_S12_S16_S17_S18_S1B_S1C_jS1D_jS1E_S1E_jjS1G_bEUljE0_EEESZ_S10_S11_S18_S1C_S1E_T6_T7_T9_mT8_S1G_bDpT10_ENKUlT_T0_E_clISt17integral_constantIbLb1EES1U_EEDaS1P_S1Q_EUlS1P_E_NS1_11comp_targetILNS1_3genE9ELNS1_11target_archE1100ELNS1_3gpuE3ELNS1_3repE0EEENS1_30default_config_static_selectorELNS0_4arch9wavefront6targetE1EEEvS12_.uses_flat_scratch, 0
	.set _ZN7rocprim17ROCPRIM_400000_NS6detail17trampoline_kernelINS0_13select_configILj256ELj13ELNS0_17block_load_methodE3ELS4_3ELS4_3ELNS0_20block_scan_algorithmE0ELj4294967295EEENS1_25partition_config_selectorILNS1_17partition_subalgoE4EjNS0_10empty_typeEbEEZZNS1_14partition_implILS8_4ELb0ES6_15HIP_vector_typeIjLj2EENS0_17counting_iteratorIjlEEPS9_SG_NS0_5tupleIJPjSI_NS0_16reverse_iteratorISI_EEEEENSH_IJSG_SG_SG_EEES9_SI_JZNS1_25segmented_radix_sort_implINS0_14default_configELb1EPKaPaPKlPlN2at6native12_GLOBAL__N_18offset_tEEE10hipError_tPvRmT1_PNSt15iterator_traitsIS12_E10value_typeET2_T3_PNS13_IS18_E10value_typeET4_jRbjT5_S1E_jjP12ihipStream_tbEUljE_ZNSN_ISO_Lb1ESQ_SR_ST_SU_SY_EESZ_S10_S11_S12_S16_S17_S18_S1B_S1C_jS1D_jS1E_S1E_jjS1G_bEUljE0_EEESZ_S10_S11_S18_S1C_S1E_T6_T7_T9_mT8_S1G_bDpT10_ENKUlT_T0_E_clISt17integral_constantIbLb1EES1U_EEDaS1P_S1Q_EUlS1P_E_NS1_11comp_targetILNS1_3genE9ELNS1_11target_archE1100ELNS1_3gpuE3ELNS1_3repE0EEENS1_30default_config_static_selectorELNS0_4arch9wavefront6targetE1EEEvS12_.has_dyn_sized_stack, 0
	.set _ZN7rocprim17ROCPRIM_400000_NS6detail17trampoline_kernelINS0_13select_configILj256ELj13ELNS0_17block_load_methodE3ELS4_3ELS4_3ELNS0_20block_scan_algorithmE0ELj4294967295EEENS1_25partition_config_selectorILNS1_17partition_subalgoE4EjNS0_10empty_typeEbEEZZNS1_14partition_implILS8_4ELb0ES6_15HIP_vector_typeIjLj2EENS0_17counting_iteratorIjlEEPS9_SG_NS0_5tupleIJPjSI_NS0_16reverse_iteratorISI_EEEEENSH_IJSG_SG_SG_EEES9_SI_JZNS1_25segmented_radix_sort_implINS0_14default_configELb1EPKaPaPKlPlN2at6native12_GLOBAL__N_18offset_tEEE10hipError_tPvRmT1_PNSt15iterator_traitsIS12_E10value_typeET2_T3_PNS13_IS18_E10value_typeET4_jRbjT5_S1E_jjP12ihipStream_tbEUljE_ZNSN_ISO_Lb1ESQ_SR_ST_SU_SY_EESZ_S10_S11_S12_S16_S17_S18_S1B_S1C_jS1D_jS1E_S1E_jjS1G_bEUljE0_EEESZ_S10_S11_S18_S1C_S1E_T6_T7_T9_mT8_S1G_bDpT10_ENKUlT_T0_E_clISt17integral_constantIbLb1EES1U_EEDaS1P_S1Q_EUlS1P_E_NS1_11comp_targetILNS1_3genE9ELNS1_11target_archE1100ELNS1_3gpuE3ELNS1_3repE0EEENS1_30default_config_static_selectorELNS0_4arch9wavefront6targetE1EEEvS12_.has_recursion, 0
	.set _ZN7rocprim17ROCPRIM_400000_NS6detail17trampoline_kernelINS0_13select_configILj256ELj13ELNS0_17block_load_methodE3ELS4_3ELS4_3ELNS0_20block_scan_algorithmE0ELj4294967295EEENS1_25partition_config_selectorILNS1_17partition_subalgoE4EjNS0_10empty_typeEbEEZZNS1_14partition_implILS8_4ELb0ES6_15HIP_vector_typeIjLj2EENS0_17counting_iteratorIjlEEPS9_SG_NS0_5tupleIJPjSI_NS0_16reverse_iteratorISI_EEEEENSH_IJSG_SG_SG_EEES9_SI_JZNS1_25segmented_radix_sort_implINS0_14default_configELb1EPKaPaPKlPlN2at6native12_GLOBAL__N_18offset_tEEE10hipError_tPvRmT1_PNSt15iterator_traitsIS12_E10value_typeET2_T3_PNS13_IS18_E10value_typeET4_jRbjT5_S1E_jjP12ihipStream_tbEUljE_ZNSN_ISO_Lb1ESQ_SR_ST_SU_SY_EESZ_S10_S11_S12_S16_S17_S18_S1B_S1C_jS1D_jS1E_S1E_jjS1G_bEUljE0_EEESZ_S10_S11_S18_S1C_S1E_T6_T7_T9_mT8_S1G_bDpT10_ENKUlT_T0_E_clISt17integral_constantIbLb1EES1U_EEDaS1P_S1Q_EUlS1P_E_NS1_11comp_targetILNS1_3genE9ELNS1_11target_archE1100ELNS1_3gpuE3ELNS1_3repE0EEENS1_30default_config_static_selectorELNS0_4arch9wavefront6targetE1EEEvS12_.has_indirect_call, 0
	.section	.AMDGPU.csdata,"",@progbits
; Kernel info:
; codeLenInByte = 0
; TotalNumSgprs: 4
; NumVgprs: 0
; ScratchSize: 0
; MemoryBound: 0
; FloatMode: 240
; IeeeMode: 1
; LDSByteSize: 0 bytes/workgroup (compile time only)
; SGPRBlocks: 0
; VGPRBlocks: 0
; NumSGPRsForWavesPerEU: 4
; NumVGPRsForWavesPerEU: 1
; Occupancy: 10
; WaveLimiterHint : 0
; COMPUTE_PGM_RSRC2:SCRATCH_EN: 0
; COMPUTE_PGM_RSRC2:USER_SGPR: 6
; COMPUTE_PGM_RSRC2:TRAP_HANDLER: 0
; COMPUTE_PGM_RSRC2:TGID_X_EN: 1
; COMPUTE_PGM_RSRC2:TGID_Y_EN: 0
; COMPUTE_PGM_RSRC2:TGID_Z_EN: 0
; COMPUTE_PGM_RSRC2:TIDIG_COMP_CNT: 0
	.section	.text._ZN7rocprim17ROCPRIM_400000_NS6detail17trampoline_kernelINS0_13select_configILj256ELj13ELNS0_17block_load_methodE3ELS4_3ELS4_3ELNS0_20block_scan_algorithmE0ELj4294967295EEENS1_25partition_config_selectorILNS1_17partition_subalgoE4EjNS0_10empty_typeEbEEZZNS1_14partition_implILS8_4ELb0ES6_15HIP_vector_typeIjLj2EENS0_17counting_iteratorIjlEEPS9_SG_NS0_5tupleIJPjSI_NS0_16reverse_iteratorISI_EEEEENSH_IJSG_SG_SG_EEES9_SI_JZNS1_25segmented_radix_sort_implINS0_14default_configELb1EPKaPaPKlPlN2at6native12_GLOBAL__N_18offset_tEEE10hipError_tPvRmT1_PNSt15iterator_traitsIS12_E10value_typeET2_T3_PNS13_IS18_E10value_typeET4_jRbjT5_S1E_jjP12ihipStream_tbEUljE_ZNSN_ISO_Lb1ESQ_SR_ST_SU_SY_EESZ_S10_S11_S12_S16_S17_S18_S1B_S1C_jS1D_jS1E_S1E_jjS1G_bEUljE0_EEESZ_S10_S11_S18_S1C_S1E_T6_T7_T9_mT8_S1G_bDpT10_ENKUlT_T0_E_clISt17integral_constantIbLb1EES1U_EEDaS1P_S1Q_EUlS1P_E_NS1_11comp_targetILNS1_3genE8ELNS1_11target_archE1030ELNS1_3gpuE2ELNS1_3repE0EEENS1_30default_config_static_selectorELNS0_4arch9wavefront6targetE1EEEvS12_,"axG",@progbits,_ZN7rocprim17ROCPRIM_400000_NS6detail17trampoline_kernelINS0_13select_configILj256ELj13ELNS0_17block_load_methodE3ELS4_3ELS4_3ELNS0_20block_scan_algorithmE0ELj4294967295EEENS1_25partition_config_selectorILNS1_17partition_subalgoE4EjNS0_10empty_typeEbEEZZNS1_14partition_implILS8_4ELb0ES6_15HIP_vector_typeIjLj2EENS0_17counting_iteratorIjlEEPS9_SG_NS0_5tupleIJPjSI_NS0_16reverse_iteratorISI_EEEEENSH_IJSG_SG_SG_EEES9_SI_JZNS1_25segmented_radix_sort_implINS0_14default_configELb1EPKaPaPKlPlN2at6native12_GLOBAL__N_18offset_tEEE10hipError_tPvRmT1_PNSt15iterator_traitsIS12_E10value_typeET2_T3_PNS13_IS18_E10value_typeET4_jRbjT5_S1E_jjP12ihipStream_tbEUljE_ZNSN_ISO_Lb1ESQ_SR_ST_SU_SY_EESZ_S10_S11_S12_S16_S17_S18_S1B_S1C_jS1D_jS1E_S1E_jjS1G_bEUljE0_EEESZ_S10_S11_S18_S1C_S1E_T6_T7_T9_mT8_S1G_bDpT10_ENKUlT_T0_E_clISt17integral_constantIbLb1EES1U_EEDaS1P_S1Q_EUlS1P_E_NS1_11comp_targetILNS1_3genE8ELNS1_11target_archE1030ELNS1_3gpuE2ELNS1_3repE0EEENS1_30default_config_static_selectorELNS0_4arch9wavefront6targetE1EEEvS12_,comdat
	.globl	_ZN7rocprim17ROCPRIM_400000_NS6detail17trampoline_kernelINS0_13select_configILj256ELj13ELNS0_17block_load_methodE3ELS4_3ELS4_3ELNS0_20block_scan_algorithmE0ELj4294967295EEENS1_25partition_config_selectorILNS1_17partition_subalgoE4EjNS0_10empty_typeEbEEZZNS1_14partition_implILS8_4ELb0ES6_15HIP_vector_typeIjLj2EENS0_17counting_iteratorIjlEEPS9_SG_NS0_5tupleIJPjSI_NS0_16reverse_iteratorISI_EEEEENSH_IJSG_SG_SG_EEES9_SI_JZNS1_25segmented_radix_sort_implINS0_14default_configELb1EPKaPaPKlPlN2at6native12_GLOBAL__N_18offset_tEEE10hipError_tPvRmT1_PNSt15iterator_traitsIS12_E10value_typeET2_T3_PNS13_IS18_E10value_typeET4_jRbjT5_S1E_jjP12ihipStream_tbEUljE_ZNSN_ISO_Lb1ESQ_SR_ST_SU_SY_EESZ_S10_S11_S12_S16_S17_S18_S1B_S1C_jS1D_jS1E_S1E_jjS1G_bEUljE0_EEESZ_S10_S11_S18_S1C_S1E_T6_T7_T9_mT8_S1G_bDpT10_ENKUlT_T0_E_clISt17integral_constantIbLb1EES1U_EEDaS1P_S1Q_EUlS1P_E_NS1_11comp_targetILNS1_3genE8ELNS1_11target_archE1030ELNS1_3gpuE2ELNS1_3repE0EEENS1_30default_config_static_selectorELNS0_4arch9wavefront6targetE1EEEvS12_ ; -- Begin function _ZN7rocprim17ROCPRIM_400000_NS6detail17trampoline_kernelINS0_13select_configILj256ELj13ELNS0_17block_load_methodE3ELS4_3ELS4_3ELNS0_20block_scan_algorithmE0ELj4294967295EEENS1_25partition_config_selectorILNS1_17partition_subalgoE4EjNS0_10empty_typeEbEEZZNS1_14partition_implILS8_4ELb0ES6_15HIP_vector_typeIjLj2EENS0_17counting_iteratorIjlEEPS9_SG_NS0_5tupleIJPjSI_NS0_16reverse_iteratorISI_EEEEENSH_IJSG_SG_SG_EEES9_SI_JZNS1_25segmented_radix_sort_implINS0_14default_configELb1EPKaPaPKlPlN2at6native12_GLOBAL__N_18offset_tEEE10hipError_tPvRmT1_PNSt15iterator_traitsIS12_E10value_typeET2_T3_PNS13_IS18_E10value_typeET4_jRbjT5_S1E_jjP12ihipStream_tbEUljE_ZNSN_ISO_Lb1ESQ_SR_ST_SU_SY_EESZ_S10_S11_S12_S16_S17_S18_S1B_S1C_jS1D_jS1E_S1E_jjS1G_bEUljE0_EEESZ_S10_S11_S18_S1C_S1E_T6_T7_T9_mT8_S1G_bDpT10_ENKUlT_T0_E_clISt17integral_constantIbLb1EES1U_EEDaS1P_S1Q_EUlS1P_E_NS1_11comp_targetILNS1_3genE8ELNS1_11target_archE1030ELNS1_3gpuE2ELNS1_3repE0EEENS1_30default_config_static_selectorELNS0_4arch9wavefront6targetE1EEEvS12_
	.p2align	8
	.type	_ZN7rocprim17ROCPRIM_400000_NS6detail17trampoline_kernelINS0_13select_configILj256ELj13ELNS0_17block_load_methodE3ELS4_3ELS4_3ELNS0_20block_scan_algorithmE0ELj4294967295EEENS1_25partition_config_selectorILNS1_17partition_subalgoE4EjNS0_10empty_typeEbEEZZNS1_14partition_implILS8_4ELb0ES6_15HIP_vector_typeIjLj2EENS0_17counting_iteratorIjlEEPS9_SG_NS0_5tupleIJPjSI_NS0_16reverse_iteratorISI_EEEEENSH_IJSG_SG_SG_EEES9_SI_JZNS1_25segmented_radix_sort_implINS0_14default_configELb1EPKaPaPKlPlN2at6native12_GLOBAL__N_18offset_tEEE10hipError_tPvRmT1_PNSt15iterator_traitsIS12_E10value_typeET2_T3_PNS13_IS18_E10value_typeET4_jRbjT5_S1E_jjP12ihipStream_tbEUljE_ZNSN_ISO_Lb1ESQ_SR_ST_SU_SY_EESZ_S10_S11_S12_S16_S17_S18_S1B_S1C_jS1D_jS1E_S1E_jjS1G_bEUljE0_EEESZ_S10_S11_S18_S1C_S1E_T6_T7_T9_mT8_S1G_bDpT10_ENKUlT_T0_E_clISt17integral_constantIbLb1EES1U_EEDaS1P_S1Q_EUlS1P_E_NS1_11comp_targetILNS1_3genE8ELNS1_11target_archE1030ELNS1_3gpuE2ELNS1_3repE0EEENS1_30default_config_static_selectorELNS0_4arch9wavefront6targetE1EEEvS12_,@function
_ZN7rocprim17ROCPRIM_400000_NS6detail17trampoline_kernelINS0_13select_configILj256ELj13ELNS0_17block_load_methodE3ELS4_3ELS4_3ELNS0_20block_scan_algorithmE0ELj4294967295EEENS1_25partition_config_selectorILNS1_17partition_subalgoE4EjNS0_10empty_typeEbEEZZNS1_14partition_implILS8_4ELb0ES6_15HIP_vector_typeIjLj2EENS0_17counting_iteratorIjlEEPS9_SG_NS0_5tupleIJPjSI_NS0_16reverse_iteratorISI_EEEEENSH_IJSG_SG_SG_EEES9_SI_JZNS1_25segmented_radix_sort_implINS0_14default_configELb1EPKaPaPKlPlN2at6native12_GLOBAL__N_18offset_tEEE10hipError_tPvRmT1_PNSt15iterator_traitsIS12_E10value_typeET2_T3_PNS13_IS18_E10value_typeET4_jRbjT5_S1E_jjP12ihipStream_tbEUljE_ZNSN_ISO_Lb1ESQ_SR_ST_SU_SY_EESZ_S10_S11_S12_S16_S17_S18_S1B_S1C_jS1D_jS1E_S1E_jjS1G_bEUljE0_EEESZ_S10_S11_S18_S1C_S1E_T6_T7_T9_mT8_S1G_bDpT10_ENKUlT_T0_E_clISt17integral_constantIbLb1EES1U_EEDaS1P_S1Q_EUlS1P_E_NS1_11comp_targetILNS1_3genE8ELNS1_11target_archE1030ELNS1_3gpuE2ELNS1_3repE0EEENS1_30default_config_static_selectorELNS0_4arch9wavefront6targetE1EEEvS12_: ; @_ZN7rocprim17ROCPRIM_400000_NS6detail17trampoline_kernelINS0_13select_configILj256ELj13ELNS0_17block_load_methodE3ELS4_3ELS4_3ELNS0_20block_scan_algorithmE0ELj4294967295EEENS1_25partition_config_selectorILNS1_17partition_subalgoE4EjNS0_10empty_typeEbEEZZNS1_14partition_implILS8_4ELb0ES6_15HIP_vector_typeIjLj2EENS0_17counting_iteratorIjlEEPS9_SG_NS0_5tupleIJPjSI_NS0_16reverse_iteratorISI_EEEEENSH_IJSG_SG_SG_EEES9_SI_JZNS1_25segmented_radix_sort_implINS0_14default_configELb1EPKaPaPKlPlN2at6native12_GLOBAL__N_18offset_tEEE10hipError_tPvRmT1_PNSt15iterator_traitsIS12_E10value_typeET2_T3_PNS13_IS18_E10value_typeET4_jRbjT5_S1E_jjP12ihipStream_tbEUljE_ZNSN_ISO_Lb1ESQ_SR_ST_SU_SY_EESZ_S10_S11_S12_S16_S17_S18_S1B_S1C_jS1D_jS1E_S1E_jjS1G_bEUljE0_EEESZ_S10_S11_S18_S1C_S1E_T6_T7_T9_mT8_S1G_bDpT10_ENKUlT_T0_E_clISt17integral_constantIbLb1EES1U_EEDaS1P_S1Q_EUlS1P_E_NS1_11comp_targetILNS1_3genE8ELNS1_11target_archE1030ELNS1_3gpuE2ELNS1_3repE0EEENS1_30default_config_static_selectorELNS0_4arch9wavefront6targetE1EEEvS12_
; %bb.0:
	.section	.rodata,"a",@progbits
	.p2align	6, 0x0
	.amdhsa_kernel _ZN7rocprim17ROCPRIM_400000_NS6detail17trampoline_kernelINS0_13select_configILj256ELj13ELNS0_17block_load_methodE3ELS4_3ELS4_3ELNS0_20block_scan_algorithmE0ELj4294967295EEENS1_25partition_config_selectorILNS1_17partition_subalgoE4EjNS0_10empty_typeEbEEZZNS1_14partition_implILS8_4ELb0ES6_15HIP_vector_typeIjLj2EENS0_17counting_iteratorIjlEEPS9_SG_NS0_5tupleIJPjSI_NS0_16reverse_iteratorISI_EEEEENSH_IJSG_SG_SG_EEES9_SI_JZNS1_25segmented_radix_sort_implINS0_14default_configELb1EPKaPaPKlPlN2at6native12_GLOBAL__N_18offset_tEEE10hipError_tPvRmT1_PNSt15iterator_traitsIS12_E10value_typeET2_T3_PNS13_IS18_E10value_typeET4_jRbjT5_S1E_jjP12ihipStream_tbEUljE_ZNSN_ISO_Lb1ESQ_SR_ST_SU_SY_EESZ_S10_S11_S12_S16_S17_S18_S1B_S1C_jS1D_jS1E_S1E_jjS1G_bEUljE0_EEESZ_S10_S11_S18_S1C_S1E_T6_T7_T9_mT8_S1G_bDpT10_ENKUlT_T0_E_clISt17integral_constantIbLb1EES1U_EEDaS1P_S1Q_EUlS1P_E_NS1_11comp_targetILNS1_3genE8ELNS1_11target_archE1030ELNS1_3gpuE2ELNS1_3repE0EEENS1_30default_config_static_selectorELNS0_4arch9wavefront6targetE1EEEvS12_
		.amdhsa_group_segment_fixed_size 0
		.amdhsa_private_segment_fixed_size 0
		.amdhsa_kernarg_size 184
		.amdhsa_user_sgpr_count 6
		.amdhsa_user_sgpr_private_segment_buffer 1
		.amdhsa_user_sgpr_dispatch_ptr 0
		.amdhsa_user_sgpr_queue_ptr 0
		.amdhsa_user_sgpr_kernarg_segment_ptr 1
		.amdhsa_user_sgpr_dispatch_id 0
		.amdhsa_user_sgpr_flat_scratch_init 0
		.amdhsa_user_sgpr_private_segment_size 0
		.amdhsa_uses_dynamic_stack 0
		.amdhsa_system_sgpr_private_segment_wavefront_offset 0
		.amdhsa_system_sgpr_workgroup_id_x 1
		.amdhsa_system_sgpr_workgroup_id_y 0
		.amdhsa_system_sgpr_workgroup_id_z 0
		.amdhsa_system_sgpr_workgroup_info 0
		.amdhsa_system_vgpr_workitem_id 0
		.amdhsa_next_free_vgpr 1
		.amdhsa_next_free_sgpr 0
		.amdhsa_reserve_vcc 0
		.amdhsa_reserve_flat_scratch 0
		.amdhsa_float_round_mode_32 0
		.amdhsa_float_round_mode_16_64 0
		.amdhsa_float_denorm_mode_32 3
		.amdhsa_float_denorm_mode_16_64 3
		.amdhsa_dx10_clamp 1
		.amdhsa_ieee_mode 1
		.amdhsa_fp16_overflow 0
		.amdhsa_exception_fp_ieee_invalid_op 0
		.amdhsa_exception_fp_denorm_src 0
		.amdhsa_exception_fp_ieee_div_zero 0
		.amdhsa_exception_fp_ieee_overflow 0
		.amdhsa_exception_fp_ieee_underflow 0
		.amdhsa_exception_fp_ieee_inexact 0
		.amdhsa_exception_int_div_zero 0
	.end_amdhsa_kernel
	.section	.text._ZN7rocprim17ROCPRIM_400000_NS6detail17trampoline_kernelINS0_13select_configILj256ELj13ELNS0_17block_load_methodE3ELS4_3ELS4_3ELNS0_20block_scan_algorithmE0ELj4294967295EEENS1_25partition_config_selectorILNS1_17partition_subalgoE4EjNS0_10empty_typeEbEEZZNS1_14partition_implILS8_4ELb0ES6_15HIP_vector_typeIjLj2EENS0_17counting_iteratorIjlEEPS9_SG_NS0_5tupleIJPjSI_NS0_16reverse_iteratorISI_EEEEENSH_IJSG_SG_SG_EEES9_SI_JZNS1_25segmented_radix_sort_implINS0_14default_configELb1EPKaPaPKlPlN2at6native12_GLOBAL__N_18offset_tEEE10hipError_tPvRmT1_PNSt15iterator_traitsIS12_E10value_typeET2_T3_PNS13_IS18_E10value_typeET4_jRbjT5_S1E_jjP12ihipStream_tbEUljE_ZNSN_ISO_Lb1ESQ_SR_ST_SU_SY_EESZ_S10_S11_S12_S16_S17_S18_S1B_S1C_jS1D_jS1E_S1E_jjS1G_bEUljE0_EEESZ_S10_S11_S18_S1C_S1E_T6_T7_T9_mT8_S1G_bDpT10_ENKUlT_T0_E_clISt17integral_constantIbLb1EES1U_EEDaS1P_S1Q_EUlS1P_E_NS1_11comp_targetILNS1_3genE8ELNS1_11target_archE1030ELNS1_3gpuE2ELNS1_3repE0EEENS1_30default_config_static_selectorELNS0_4arch9wavefront6targetE1EEEvS12_,"axG",@progbits,_ZN7rocprim17ROCPRIM_400000_NS6detail17trampoline_kernelINS0_13select_configILj256ELj13ELNS0_17block_load_methodE3ELS4_3ELS4_3ELNS0_20block_scan_algorithmE0ELj4294967295EEENS1_25partition_config_selectorILNS1_17partition_subalgoE4EjNS0_10empty_typeEbEEZZNS1_14partition_implILS8_4ELb0ES6_15HIP_vector_typeIjLj2EENS0_17counting_iteratorIjlEEPS9_SG_NS0_5tupleIJPjSI_NS0_16reverse_iteratorISI_EEEEENSH_IJSG_SG_SG_EEES9_SI_JZNS1_25segmented_radix_sort_implINS0_14default_configELb1EPKaPaPKlPlN2at6native12_GLOBAL__N_18offset_tEEE10hipError_tPvRmT1_PNSt15iterator_traitsIS12_E10value_typeET2_T3_PNS13_IS18_E10value_typeET4_jRbjT5_S1E_jjP12ihipStream_tbEUljE_ZNSN_ISO_Lb1ESQ_SR_ST_SU_SY_EESZ_S10_S11_S12_S16_S17_S18_S1B_S1C_jS1D_jS1E_S1E_jjS1G_bEUljE0_EEESZ_S10_S11_S18_S1C_S1E_T6_T7_T9_mT8_S1G_bDpT10_ENKUlT_T0_E_clISt17integral_constantIbLb1EES1U_EEDaS1P_S1Q_EUlS1P_E_NS1_11comp_targetILNS1_3genE8ELNS1_11target_archE1030ELNS1_3gpuE2ELNS1_3repE0EEENS1_30default_config_static_selectorELNS0_4arch9wavefront6targetE1EEEvS12_,comdat
.Lfunc_end241:
	.size	_ZN7rocprim17ROCPRIM_400000_NS6detail17trampoline_kernelINS0_13select_configILj256ELj13ELNS0_17block_load_methodE3ELS4_3ELS4_3ELNS0_20block_scan_algorithmE0ELj4294967295EEENS1_25partition_config_selectorILNS1_17partition_subalgoE4EjNS0_10empty_typeEbEEZZNS1_14partition_implILS8_4ELb0ES6_15HIP_vector_typeIjLj2EENS0_17counting_iteratorIjlEEPS9_SG_NS0_5tupleIJPjSI_NS0_16reverse_iteratorISI_EEEEENSH_IJSG_SG_SG_EEES9_SI_JZNS1_25segmented_radix_sort_implINS0_14default_configELb1EPKaPaPKlPlN2at6native12_GLOBAL__N_18offset_tEEE10hipError_tPvRmT1_PNSt15iterator_traitsIS12_E10value_typeET2_T3_PNS13_IS18_E10value_typeET4_jRbjT5_S1E_jjP12ihipStream_tbEUljE_ZNSN_ISO_Lb1ESQ_SR_ST_SU_SY_EESZ_S10_S11_S12_S16_S17_S18_S1B_S1C_jS1D_jS1E_S1E_jjS1G_bEUljE0_EEESZ_S10_S11_S18_S1C_S1E_T6_T7_T9_mT8_S1G_bDpT10_ENKUlT_T0_E_clISt17integral_constantIbLb1EES1U_EEDaS1P_S1Q_EUlS1P_E_NS1_11comp_targetILNS1_3genE8ELNS1_11target_archE1030ELNS1_3gpuE2ELNS1_3repE0EEENS1_30default_config_static_selectorELNS0_4arch9wavefront6targetE1EEEvS12_, .Lfunc_end241-_ZN7rocprim17ROCPRIM_400000_NS6detail17trampoline_kernelINS0_13select_configILj256ELj13ELNS0_17block_load_methodE3ELS4_3ELS4_3ELNS0_20block_scan_algorithmE0ELj4294967295EEENS1_25partition_config_selectorILNS1_17partition_subalgoE4EjNS0_10empty_typeEbEEZZNS1_14partition_implILS8_4ELb0ES6_15HIP_vector_typeIjLj2EENS0_17counting_iteratorIjlEEPS9_SG_NS0_5tupleIJPjSI_NS0_16reverse_iteratorISI_EEEEENSH_IJSG_SG_SG_EEES9_SI_JZNS1_25segmented_radix_sort_implINS0_14default_configELb1EPKaPaPKlPlN2at6native12_GLOBAL__N_18offset_tEEE10hipError_tPvRmT1_PNSt15iterator_traitsIS12_E10value_typeET2_T3_PNS13_IS18_E10value_typeET4_jRbjT5_S1E_jjP12ihipStream_tbEUljE_ZNSN_ISO_Lb1ESQ_SR_ST_SU_SY_EESZ_S10_S11_S12_S16_S17_S18_S1B_S1C_jS1D_jS1E_S1E_jjS1G_bEUljE0_EEESZ_S10_S11_S18_S1C_S1E_T6_T7_T9_mT8_S1G_bDpT10_ENKUlT_T0_E_clISt17integral_constantIbLb1EES1U_EEDaS1P_S1Q_EUlS1P_E_NS1_11comp_targetILNS1_3genE8ELNS1_11target_archE1030ELNS1_3gpuE2ELNS1_3repE0EEENS1_30default_config_static_selectorELNS0_4arch9wavefront6targetE1EEEvS12_
                                        ; -- End function
	.set _ZN7rocprim17ROCPRIM_400000_NS6detail17trampoline_kernelINS0_13select_configILj256ELj13ELNS0_17block_load_methodE3ELS4_3ELS4_3ELNS0_20block_scan_algorithmE0ELj4294967295EEENS1_25partition_config_selectorILNS1_17partition_subalgoE4EjNS0_10empty_typeEbEEZZNS1_14partition_implILS8_4ELb0ES6_15HIP_vector_typeIjLj2EENS0_17counting_iteratorIjlEEPS9_SG_NS0_5tupleIJPjSI_NS0_16reverse_iteratorISI_EEEEENSH_IJSG_SG_SG_EEES9_SI_JZNS1_25segmented_radix_sort_implINS0_14default_configELb1EPKaPaPKlPlN2at6native12_GLOBAL__N_18offset_tEEE10hipError_tPvRmT1_PNSt15iterator_traitsIS12_E10value_typeET2_T3_PNS13_IS18_E10value_typeET4_jRbjT5_S1E_jjP12ihipStream_tbEUljE_ZNSN_ISO_Lb1ESQ_SR_ST_SU_SY_EESZ_S10_S11_S12_S16_S17_S18_S1B_S1C_jS1D_jS1E_S1E_jjS1G_bEUljE0_EEESZ_S10_S11_S18_S1C_S1E_T6_T7_T9_mT8_S1G_bDpT10_ENKUlT_T0_E_clISt17integral_constantIbLb1EES1U_EEDaS1P_S1Q_EUlS1P_E_NS1_11comp_targetILNS1_3genE8ELNS1_11target_archE1030ELNS1_3gpuE2ELNS1_3repE0EEENS1_30default_config_static_selectorELNS0_4arch9wavefront6targetE1EEEvS12_.num_vgpr, 0
	.set _ZN7rocprim17ROCPRIM_400000_NS6detail17trampoline_kernelINS0_13select_configILj256ELj13ELNS0_17block_load_methodE3ELS4_3ELS4_3ELNS0_20block_scan_algorithmE0ELj4294967295EEENS1_25partition_config_selectorILNS1_17partition_subalgoE4EjNS0_10empty_typeEbEEZZNS1_14partition_implILS8_4ELb0ES6_15HIP_vector_typeIjLj2EENS0_17counting_iteratorIjlEEPS9_SG_NS0_5tupleIJPjSI_NS0_16reverse_iteratorISI_EEEEENSH_IJSG_SG_SG_EEES9_SI_JZNS1_25segmented_radix_sort_implINS0_14default_configELb1EPKaPaPKlPlN2at6native12_GLOBAL__N_18offset_tEEE10hipError_tPvRmT1_PNSt15iterator_traitsIS12_E10value_typeET2_T3_PNS13_IS18_E10value_typeET4_jRbjT5_S1E_jjP12ihipStream_tbEUljE_ZNSN_ISO_Lb1ESQ_SR_ST_SU_SY_EESZ_S10_S11_S12_S16_S17_S18_S1B_S1C_jS1D_jS1E_S1E_jjS1G_bEUljE0_EEESZ_S10_S11_S18_S1C_S1E_T6_T7_T9_mT8_S1G_bDpT10_ENKUlT_T0_E_clISt17integral_constantIbLb1EES1U_EEDaS1P_S1Q_EUlS1P_E_NS1_11comp_targetILNS1_3genE8ELNS1_11target_archE1030ELNS1_3gpuE2ELNS1_3repE0EEENS1_30default_config_static_selectorELNS0_4arch9wavefront6targetE1EEEvS12_.num_agpr, 0
	.set _ZN7rocprim17ROCPRIM_400000_NS6detail17trampoline_kernelINS0_13select_configILj256ELj13ELNS0_17block_load_methodE3ELS4_3ELS4_3ELNS0_20block_scan_algorithmE0ELj4294967295EEENS1_25partition_config_selectorILNS1_17partition_subalgoE4EjNS0_10empty_typeEbEEZZNS1_14partition_implILS8_4ELb0ES6_15HIP_vector_typeIjLj2EENS0_17counting_iteratorIjlEEPS9_SG_NS0_5tupleIJPjSI_NS0_16reverse_iteratorISI_EEEEENSH_IJSG_SG_SG_EEES9_SI_JZNS1_25segmented_radix_sort_implINS0_14default_configELb1EPKaPaPKlPlN2at6native12_GLOBAL__N_18offset_tEEE10hipError_tPvRmT1_PNSt15iterator_traitsIS12_E10value_typeET2_T3_PNS13_IS18_E10value_typeET4_jRbjT5_S1E_jjP12ihipStream_tbEUljE_ZNSN_ISO_Lb1ESQ_SR_ST_SU_SY_EESZ_S10_S11_S12_S16_S17_S18_S1B_S1C_jS1D_jS1E_S1E_jjS1G_bEUljE0_EEESZ_S10_S11_S18_S1C_S1E_T6_T7_T9_mT8_S1G_bDpT10_ENKUlT_T0_E_clISt17integral_constantIbLb1EES1U_EEDaS1P_S1Q_EUlS1P_E_NS1_11comp_targetILNS1_3genE8ELNS1_11target_archE1030ELNS1_3gpuE2ELNS1_3repE0EEENS1_30default_config_static_selectorELNS0_4arch9wavefront6targetE1EEEvS12_.numbered_sgpr, 0
	.set _ZN7rocprim17ROCPRIM_400000_NS6detail17trampoline_kernelINS0_13select_configILj256ELj13ELNS0_17block_load_methodE3ELS4_3ELS4_3ELNS0_20block_scan_algorithmE0ELj4294967295EEENS1_25partition_config_selectorILNS1_17partition_subalgoE4EjNS0_10empty_typeEbEEZZNS1_14partition_implILS8_4ELb0ES6_15HIP_vector_typeIjLj2EENS0_17counting_iteratorIjlEEPS9_SG_NS0_5tupleIJPjSI_NS0_16reverse_iteratorISI_EEEEENSH_IJSG_SG_SG_EEES9_SI_JZNS1_25segmented_radix_sort_implINS0_14default_configELb1EPKaPaPKlPlN2at6native12_GLOBAL__N_18offset_tEEE10hipError_tPvRmT1_PNSt15iterator_traitsIS12_E10value_typeET2_T3_PNS13_IS18_E10value_typeET4_jRbjT5_S1E_jjP12ihipStream_tbEUljE_ZNSN_ISO_Lb1ESQ_SR_ST_SU_SY_EESZ_S10_S11_S12_S16_S17_S18_S1B_S1C_jS1D_jS1E_S1E_jjS1G_bEUljE0_EEESZ_S10_S11_S18_S1C_S1E_T6_T7_T9_mT8_S1G_bDpT10_ENKUlT_T0_E_clISt17integral_constantIbLb1EES1U_EEDaS1P_S1Q_EUlS1P_E_NS1_11comp_targetILNS1_3genE8ELNS1_11target_archE1030ELNS1_3gpuE2ELNS1_3repE0EEENS1_30default_config_static_selectorELNS0_4arch9wavefront6targetE1EEEvS12_.num_named_barrier, 0
	.set _ZN7rocprim17ROCPRIM_400000_NS6detail17trampoline_kernelINS0_13select_configILj256ELj13ELNS0_17block_load_methodE3ELS4_3ELS4_3ELNS0_20block_scan_algorithmE0ELj4294967295EEENS1_25partition_config_selectorILNS1_17partition_subalgoE4EjNS0_10empty_typeEbEEZZNS1_14partition_implILS8_4ELb0ES6_15HIP_vector_typeIjLj2EENS0_17counting_iteratorIjlEEPS9_SG_NS0_5tupleIJPjSI_NS0_16reverse_iteratorISI_EEEEENSH_IJSG_SG_SG_EEES9_SI_JZNS1_25segmented_radix_sort_implINS0_14default_configELb1EPKaPaPKlPlN2at6native12_GLOBAL__N_18offset_tEEE10hipError_tPvRmT1_PNSt15iterator_traitsIS12_E10value_typeET2_T3_PNS13_IS18_E10value_typeET4_jRbjT5_S1E_jjP12ihipStream_tbEUljE_ZNSN_ISO_Lb1ESQ_SR_ST_SU_SY_EESZ_S10_S11_S12_S16_S17_S18_S1B_S1C_jS1D_jS1E_S1E_jjS1G_bEUljE0_EEESZ_S10_S11_S18_S1C_S1E_T6_T7_T9_mT8_S1G_bDpT10_ENKUlT_T0_E_clISt17integral_constantIbLb1EES1U_EEDaS1P_S1Q_EUlS1P_E_NS1_11comp_targetILNS1_3genE8ELNS1_11target_archE1030ELNS1_3gpuE2ELNS1_3repE0EEENS1_30default_config_static_selectorELNS0_4arch9wavefront6targetE1EEEvS12_.private_seg_size, 0
	.set _ZN7rocprim17ROCPRIM_400000_NS6detail17trampoline_kernelINS0_13select_configILj256ELj13ELNS0_17block_load_methodE3ELS4_3ELS4_3ELNS0_20block_scan_algorithmE0ELj4294967295EEENS1_25partition_config_selectorILNS1_17partition_subalgoE4EjNS0_10empty_typeEbEEZZNS1_14partition_implILS8_4ELb0ES6_15HIP_vector_typeIjLj2EENS0_17counting_iteratorIjlEEPS9_SG_NS0_5tupleIJPjSI_NS0_16reverse_iteratorISI_EEEEENSH_IJSG_SG_SG_EEES9_SI_JZNS1_25segmented_radix_sort_implINS0_14default_configELb1EPKaPaPKlPlN2at6native12_GLOBAL__N_18offset_tEEE10hipError_tPvRmT1_PNSt15iterator_traitsIS12_E10value_typeET2_T3_PNS13_IS18_E10value_typeET4_jRbjT5_S1E_jjP12ihipStream_tbEUljE_ZNSN_ISO_Lb1ESQ_SR_ST_SU_SY_EESZ_S10_S11_S12_S16_S17_S18_S1B_S1C_jS1D_jS1E_S1E_jjS1G_bEUljE0_EEESZ_S10_S11_S18_S1C_S1E_T6_T7_T9_mT8_S1G_bDpT10_ENKUlT_T0_E_clISt17integral_constantIbLb1EES1U_EEDaS1P_S1Q_EUlS1P_E_NS1_11comp_targetILNS1_3genE8ELNS1_11target_archE1030ELNS1_3gpuE2ELNS1_3repE0EEENS1_30default_config_static_selectorELNS0_4arch9wavefront6targetE1EEEvS12_.uses_vcc, 0
	.set _ZN7rocprim17ROCPRIM_400000_NS6detail17trampoline_kernelINS0_13select_configILj256ELj13ELNS0_17block_load_methodE3ELS4_3ELS4_3ELNS0_20block_scan_algorithmE0ELj4294967295EEENS1_25partition_config_selectorILNS1_17partition_subalgoE4EjNS0_10empty_typeEbEEZZNS1_14partition_implILS8_4ELb0ES6_15HIP_vector_typeIjLj2EENS0_17counting_iteratorIjlEEPS9_SG_NS0_5tupleIJPjSI_NS0_16reverse_iteratorISI_EEEEENSH_IJSG_SG_SG_EEES9_SI_JZNS1_25segmented_radix_sort_implINS0_14default_configELb1EPKaPaPKlPlN2at6native12_GLOBAL__N_18offset_tEEE10hipError_tPvRmT1_PNSt15iterator_traitsIS12_E10value_typeET2_T3_PNS13_IS18_E10value_typeET4_jRbjT5_S1E_jjP12ihipStream_tbEUljE_ZNSN_ISO_Lb1ESQ_SR_ST_SU_SY_EESZ_S10_S11_S12_S16_S17_S18_S1B_S1C_jS1D_jS1E_S1E_jjS1G_bEUljE0_EEESZ_S10_S11_S18_S1C_S1E_T6_T7_T9_mT8_S1G_bDpT10_ENKUlT_T0_E_clISt17integral_constantIbLb1EES1U_EEDaS1P_S1Q_EUlS1P_E_NS1_11comp_targetILNS1_3genE8ELNS1_11target_archE1030ELNS1_3gpuE2ELNS1_3repE0EEENS1_30default_config_static_selectorELNS0_4arch9wavefront6targetE1EEEvS12_.uses_flat_scratch, 0
	.set _ZN7rocprim17ROCPRIM_400000_NS6detail17trampoline_kernelINS0_13select_configILj256ELj13ELNS0_17block_load_methodE3ELS4_3ELS4_3ELNS0_20block_scan_algorithmE0ELj4294967295EEENS1_25partition_config_selectorILNS1_17partition_subalgoE4EjNS0_10empty_typeEbEEZZNS1_14partition_implILS8_4ELb0ES6_15HIP_vector_typeIjLj2EENS0_17counting_iteratorIjlEEPS9_SG_NS0_5tupleIJPjSI_NS0_16reverse_iteratorISI_EEEEENSH_IJSG_SG_SG_EEES9_SI_JZNS1_25segmented_radix_sort_implINS0_14default_configELb1EPKaPaPKlPlN2at6native12_GLOBAL__N_18offset_tEEE10hipError_tPvRmT1_PNSt15iterator_traitsIS12_E10value_typeET2_T3_PNS13_IS18_E10value_typeET4_jRbjT5_S1E_jjP12ihipStream_tbEUljE_ZNSN_ISO_Lb1ESQ_SR_ST_SU_SY_EESZ_S10_S11_S12_S16_S17_S18_S1B_S1C_jS1D_jS1E_S1E_jjS1G_bEUljE0_EEESZ_S10_S11_S18_S1C_S1E_T6_T7_T9_mT8_S1G_bDpT10_ENKUlT_T0_E_clISt17integral_constantIbLb1EES1U_EEDaS1P_S1Q_EUlS1P_E_NS1_11comp_targetILNS1_3genE8ELNS1_11target_archE1030ELNS1_3gpuE2ELNS1_3repE0EEENS1_30default_config_static_selectorELNS0_4arch9wavefront6targetE1EEEvS12_.has_dyn_sized_stack, 0
	.set _ZN7rocprim17ROCPRIM_400000_NS6detail17trampoline_kernelINS0_13select_configILj256ELj13ELNS0_17block_load_methodE3ELS4_3ELS4_3ELNS0_20block_scan_algorithmE0ELj4294967295EEENS1_25partition_config_selectorILNS1_17partition_subalgoE4EjNS0_10empty_typeEbEEZZNS1_14partition_implILS8_4ELb0ES6_15HIP_vector_typeIjLj2EENS0_17counting_iteratorIjlEEPS9_SG_NS0_5tupleIJPjSI_NS0_16reverse_iteratorISI_EEEEENSH_IJSG_SG_SG_EEES9_SI_JZNS1_25segmented_radix_sort_implINS0_14default_configELb1EPKaPaPKlPlN2at6native12_GLOBAL__N_18offset_tEEE10hipError_tPvRmT1_PNSt15iterator_traitsIS12_E10value_typeET2_T3_PNS13_IS18_E10value_typeET4_jRbjT5_S1E_jjP12ihipStream_tbEUljE_ZNSN_ISO_Lb1ESQ_SR_ST_SU_SY_EESZ_S10_S11_S12_S16_S17_S18_S1B_S1C_jS1D_jS1E_S1E_jjS1G_bEUljE0_EEESZ_S10_S11_S18_S1C_S1E_T6_T7_T9_mT8_S1G_bDpT10_ENKUlT_T0_E_clISt17integral_constantIbLb1EES1U_EEDaS1P_S1Q_EUlS1P_E_NS1_11comp_targetILNS1_3genE8ELNS1_11target_archE1030ELNS1_3gpuE2ELNS1_3repE0EEENS1_30default_config_static_selectorELNS0_4arch9wavefront6targetE1EEEvS12_.has_recursion, 0
	.set _ZN7rocprim17ROCPRIM_400000_NS6detail17trampoline_kernelINS0_13select_configILj256ELj13ELNS0_17block_load_methodE3ELS4_3ELS4_3ELNS0_20block_scan_algorithmE0ELj4294967295EEENS1_25partition_config_selectorILNS1_17partition_subalgoE4EjNS0_10empty_typeEbEEZZNS1_14partition_implILS8_4ELb0ES6_15HIP_vector_typeIjLj2EENS0_17counting_iteratorIjlEEPS9_SG_NS0_5tupleIJPjSI_NS0_16reverse_iteratorISI_EEEEENSH_IJSG_SG_SG_EEES9_SI_JZNS1_25segmented_radix_sort_implINS0_14default_configELb1EPKaPaPKlPlN2at6native12_GLOBAL__N_18offset_tEEE10hipError_tPvRmT1_PNSt15iterator_traitsIS12_E10value_typeET2_T3_PNS13_IS18_E10value_typeET4_jRbjT5_S1E_jjP12ihipStream_tbEUljE_ZNSN_ISO_Lb1ESQ_SR_ST_SU_SY_EESZ_S10_S11_S12_S16_S17_S18_S1B_S1C_jS1D_jS1E_S1E_jjS1G_bEUljE0_EEESZ_S10_S11_S18_S1C_S1E_T6_T7_T9_mT8_S1G_bDpT10_ENKUlT_T0_E_clISt17integral_constantIbLb1EES1U_EEDaS1P_S1Q_EUlS1P_E_NS1_11comp_targetILNS1_3genE8ELNS1_11target_archE1030ELNS1_3gpuE2ELNS1_3repE0EEENS1_30default_config_static_selectorELNS0_4arch9wavefront6targetE1EEEvS12_.has_indirect_call, 0
	.section	.AMDGPU.csdata,"",@progbits
; Kernel info:
; codeLenInByte = 0
; TotalNumSgprs: 4
; NumVgprs: 0
; ScratchSize: 0
; MemoryBound: 0
; FloatMode: 240
; IeeeMode: 1
; LDSByteSize: 0 bytes/workgroup (compile time only)
; SGPRBlocks: 0
; VGPRBlocks: 0
; NumSGPRsForWavesPerEU: 4
; NumVGPRsForWavesPerEU: 1
; Occupancy: 10
; WaveLimiterHint : 0
; COMPUTE_PGM_RSRC2:SCRATCH_EN: 0
; COMPUTE_PGM_RSRC2:USER_SGPR: 6
; COMPUTE_PGM_RSRC2:TRAP_HANDLER: 0
; COMPUTE_PGM_RSRC2:TGID_X_EN: 1
; COMPUTE_PGM_RSRC2:TGID_Y_EN: 0
; COMPUTE_PGM_RSRC2:TGID_Z_EN: 0
; COMPUTE_PGM_RSRC2:TIDIG_COMP_CNT: 0
	.section	.text._ZN7rocprim17ROCPRIM_400000_NS6detail17trampoline_kernelINS0_13select_configILj256ELj13ELNS0_17block_load_methodE3ELS4_3ELS4_3ELNS0_20block_scan_algorithmE0ELj4294967295EEENS1_25partition_config_selectorILNS1_17partition_subalgoE4EjNS0_10empty_typeEbEEZZNS1_14partition_implILS8_4ELb0ES6_15HIP_vector_typeIjLj2EENS0_17counting_iteratorIjlEEPS9_SG_NS0_5tupleIJPjSI_NS0_16reverse_iteratorISI_EEEEENSH_IJSG_SG_SG_EEES9_SI_JZNS1_25segmented_radix_sort_implINS0_14default_configELb1EPKaPaPKlPlN2at6native12_GLOBAL__N_18offset_tEEE10hipError_tPvRmT1_PNSt15iterator_traitsIS12_E10value_typeET2_T3_PNS13_IS18_E10value_typeET4_jRbjT5_S1E_jjP12ihipStream_tbEUljE_ZNSN_ISO_Lb1ESQ_SR_ST_SU_SY_EESZ_S10_S11_S12_S16_S17_S18_S1B_S1C_jS1D_jS1E_S1E_jjS1G_bEUljE0_EEESZ_S10_S11_S18_S1C_S1E_T6_T7_T9_mT8_S1G_bDpT10_ENKUlT_T0_E_clISt17integral_constantIbLb1EES1T_IbLb0EEEEDaS1P_S1Q_EUlS1P_E_NS1_11comp_targetILNS1_3genE0ELNS1_11target_archE4294967295ELNS1_3gpuE0ELNS1_3repE0EEENS1_30default_config_static_selectorELNS0_4arch9wavefront6targetE1EEEvS12_,"axG",@progbits,_ZN7rocprim17ROCPRIM_400000_NS6detail17trampoline_kernelINS0_13select_configILj256ELj13ELNS0_17block_load_methodE3ELS4_3ELS4_3ELNS0_20block_scan_algorithmE0ELj4294967295EEENS1_25partition_config_selectorILNS1_17partition_subalgoE4EjNS0_10empty_typeEbEEZZNS1_14partition_implILS8_4ELb0ES6_15HIP_vector_typeIjLj2EENS0_17counting_iteratorIjlEEPS9_SG_NS0_5tupleIJPjSI_NS0_16reverse_iteratorISI_EEEEENSH_IJSG_SG_SG_EEES9_SI_JZNS1_25segmented_radix_sort_implINS0_14default_configELb1EPKaPaPKlPlN2at6native12_GLOBAL__N_18offset_tEEE10hipError_tPvRmT1_PNSt15iterator_traitsIS12_E10value_typeET2_T3_PNS13_IS18_E10value_typeET4_jRbjT5_S1E_jjP12ihipStream_tbEUljE_ZNSN_ISO_Lb1ESQ_SR_ST_SU_SY_EESZ_S10_S11_S12_S16_S17_S18_S1B_S1C_jS1D_jS1E_S1E_jjS1G_bEUljE0_EEESZ_S10_S11_S18_S1C_S1E_T6_T7_T9_mT8_S1G_bDpT10_ENKUlT_T0_E_clISt17integral_constantIbLb1EES1T_IbLb0EEEEDaS1P_S1Q_EUlS1P_E_NS1_11comp_targetILNS1_3genE0ELNS1_11target_archE4294967295ELNS1_3gpuE0ELNS1_3repE0EEENS1_30default_config_static_selectorELNS0_4arch9wavefront6targetE1EEEvS12_,comdat
	.globl	_ZN7rocprim17ROCPRIM_400000_NS6detail17trampoline_kernelINS0_13select_configILj256ELj13ELNS0_17block_load_methodE3ELS4_3ELS4_3ELNS0_20block_scan_algorithmE0ELj4294967295EEENS1_25partition_config_selectorILNS1_17partition_subalgoE4EjNS0_10empty_typeEbEEZZNS1_14partition_implILS8_4ELb0ES6_15HIP_vector_typeIjLj2EENS0_17counting_iteratorIjlEEPS9_SG_NS0_5tupleIJPjSI_NS0_16reverse_iteratorISI_EEEEENSH_IJSG_SG_SG_EEES9_SI_JZNS1_25segmented_radix_sort_implINS0_14default_configELb1EPKaPaPKlPlN2at6native12_GLOBAL__N_18offset_tEEE10hipError_tPvRmT1_PNSt15iterator_traitsIS12_E10value_typeET2_T3_PNS13_IS18_E10value_typeET4_jRbjT5_S1E_jjP12ihipStream_tbEUljE_ZNSN_ISO_Lb1ESQ_SR_ST_SU_SY_EESZ_S10_S11_S12_S16_S17_S18_S1B_S1C_jS1D_jS1E_S1E_jjS1G_bEUljE0_EEESZ_S10_S11_S18_S1C_S1E_T6_T7_T9_mT8_S1G_bDpT10_ENKUlT_T0_E_clISt17integral_constantIbLb1EES1T_IbLb0EEEEDaS1P_S1Q_EUlS1P_E_NS1_11comp_targetILNS1_3genE0ELNS1_11target_archE4294967295ELNS1_3gpuE0ELNS1_3repE0EEENS1_30default_config_static_selectorELNS0_4arch9wavefront6targetE1EEEvS12_ ; -- Begin function _ZN7rocprim17ROCPRIM_400000_NS6detail17trampoline_kernelINS0_13select_configILj256ELj13ELNS0_17block_load_methodE3ELS4_3ELS4_3ELNS0_20block_scan_algorithmE0ELj4294967295EEENS1_25partition_config_selectorILNS1_17partition_subalgoE4EjNS0_10empty_typeEbEEZZNS1_14partition_implILS8_4ELb0ES6_15HIP_vector_typeIjLj2EENS0_17counting_iteratorIjlEEPS9_SG_NS0_5tupleIJPjSI_NS0_16reverse_iteratorISI_EEEEENSH_IJSG_SG_SG_EEES9_SI_JZNS1_25segmented_radix_sort_implINS0_14default_configELb1EPKaPaPKlPlN2at6native12_GLOBAL__N_18offset_tEEE10hipError_tPvRmT1_PNSt15iterator_traitsIS12_E10value_typeET2_T3_PNS13_IS18_E10value_typeET4_jRbjT5_S1E_jjP12ihipStream_tbEUljE_ZNSN_ISO_Lb1ESQ_SR_ST_SU_SY_EESZ_S10_S11_S12_S16_S17_S18_S1B_S1C_jS1D_jS1E_S1E_jjS1G_bEUljE0_EEESZ_S10_S11_S18_S1C_S1E_T6_T7_T9_mT8_S1G_bDpT10_ENKUlT_T0_E_clISt17integral_constantIbLb1EES1T_IbLb0EEEEDaS1P_S1Q_EUlS1P_E_NS1_11comp_targetILNS1_3genE0ELNS1_11target_archE4294967295ELNS1_3gpuE0ELNS1_3repE0EEENS1_30default_config_static_selectorELNS0_4arch9wavefront6targetE1EEEvS12_
	.p2align	8
	.type	_ZN7rocprim17ROCPRIM_400000_NS6detail17trampoline_kernelINS0_13select_configILj256ELj13ELNS0_17block_load_methodE3ELS4_3ELS4_3ELNS0_20block_scan_algorithmE0ELj4294967295EEENS1_25partition_config_selectorILNS1_17partition_subalgoE4EjNS0_10empty_typeEbEEZZNS1_14partition_implILS8_4ELb0ES6_15HIP_vector_typeIjLj2EENS0_17counting_iteratorIjlEEPS9_SG_NS0_5tupleIJPjSI_NS0_16reverse_iteratorISI_EEEEENSH_IJSG_SG_SG_EEES9_SI_JZNS1_25segmented_radix_sort_implINS0_14default_configELb1EPKaPaPKlPlN2at6native12_GLOBAL__N_18offset_tEEE10hipError_tPvRmT1_PNSt15iterator_traitsIS12_E10value_typeET2_T3_PNS13_IS18_E10value_typeET4_jRbjT5_S1E_jjP12ihipStream_tbEUljE_ZNSN_ISO_Lb1ESQ_SR_ST_SU_SY_EESZ_S10_S11_S12_S16_S17_S18_S1B_S1C_jS1D_jS1E_S1E_jjS1G_bEUljE0_EEESZ_S10_S11_S18_S1C_S1E_T6_T7_T9_mT8_S1G_bDpT10_ENKUlT_T0_E_clISt17integral_constantIbLb1EES1T_IbLb0EEEEDaS1P_S1Q_EUlS1P_E_NS1_11comp_targetILNS1_3genE0ELNS1_11target_archE4294967295ELNS1_3gpuE0ELNS1_3repE0EEENS1_30default_config_static_selectorELNS0_4arch9wavefront6targetE1EEEvS12_,@function
_ZN7rocprim17ROCPRIM_400000_NS6detail17trampoline_kernelINS0_13select_configILj256ELj13ELNS0_17block_load_methodE3ELS4_3ELS4_3ELNS0_20block_scan_algorithmE0ELj4294967295EEENS1_25partition_config_selectorILNS1_17partition_subalgoE4EjNS0_10empty_typeEbEEZZNS1_14partition_implILS8_4ELb0ES6_15HIP_vector_typeIjLj2EENS0_17counting_iteratorIjlEEPS9_SG_NS0_5tupleIJPjSI_NS0_16reverse_iteratorISI_EEEEENSH_IJSG_SG_SG_EEES9_SI_JZNS1_25segmented_radix_sort_implINS0_14default_configELb1EPKaPaPKlPlN2at6native12_GLOBAL__N_18offset_tEEE10hipError_tPvRmT1_PNSt15iterator_traitsIS12_E10value_typeET2_T3_PNS13_IS18_E10value_typeET4_jRbjT5_S1E_jjP12ihipStream_tbEUljE_ZNSN_ISO_Lb1ESQ_SR_ST_SU_SY_EESZ_S10_S11_S12_S16_S17_S18_S1B_S1C_jS1D_jS1E_S1E_jjS1G_bEUljE0_EEESZ_S10_S11_S18_S1C_S1E_T6_T7_T9_mT8_S1G_bDpT10_ENKUlT_T0_E_clISt17integral_constantIbLb1EES1T_IbLb0EEEEDaS1P_S1Q_EUlS1P_E_NS1_11comp_targetILNS1_3genE0ELNS1_11target_archE4294967295ELNS1_3gpuE0ELNS1_3repE0EEENS1_30default_config_static_selectorELNS0_4arch9wavefront6targetE1EEEvS12_: ; @_ZN7rocprim17ROCPRIM_400000_NS6detail17trampoline_kernelINS0_13select_configILj256ELj13ELNS0_17block_load_methodE3ELS4_3ELS4_3ELNS0_20block_scan_algorithmE0ELj4294967295EEENS1_25partition_config_selectorILNS1_17partition_subalgoE4EjNS0_10empty_typeEbEEZZNS1_14partition_implILS8_4ELb0ES6_15HIP_vector_typeIjLj2EENS0_17counting_iteratorIjlEEPS9_SG_NS0_5tupleIJPjSI_NS0_16reverse_iteratorISI_EEEEENSH_IJSG_SG_SG_EEES9_SI_JZNS1_25segmented_radix_sort_implINS0_14default_configELb1EPKaPaPKlPlN2at6native12_GLOBAL__N_18offset_tEEE10hipError_tPvRmT1_PNSt15iterator_traitsIS12_E10value_typeET2_T3_PNS13_IS18_E10value_typeET4_jRbjT5_S1E_jjP12ihipStream_tbEUljE_ZNSN_ISO_Lb1ESQ_SR_ST_SU_SY_EESZ_S10_S11_S12_S16_S17_S18_S1B_S1C_jS1D_jS1E_S1E_jjS1G_bEUljE0_EEESZ_S10_S11_S18_S1C_S1E_T6_T7_T9_mT8_S1G_bDpT10_ENKUlT_T0_E_clISt17integral_constantIbLb1EES1T_IbLb0EEEEDaS1P_S1Q_EUlS1P_E_NS1_11comp_targetILNS1_3genE0ELNS1_11target_archE4294967295ELNS1_3gpuE0ELNS1_3repE0EEENS1_30default_config_static_selectorELNS0_4arch9wavefront6targetE1EEEvS12_
; %bb.0:
	.section	.rodata,"a",@progbits
	.p2align	6, 0x0
	.amdhsa_kernel _ZN7rocprim17ROCPRIM_400000_NS6detail17trampoline_kernelINS0_13select_configILj256ELj13ELNS0_17block_load_methodE3ELS4_3ELS4_3ELNS0_20block_scan_algorithmE0ELj4294967295EEENS1_25partition_config_selectorILNS1_17partition_subalgoE4EjNS0_10empty_typeEbEEZZNS1_14partition_implILS8_4ELb0ES6_15HIP_vector_typeIjLj2EENS0_17counting_iteratorIjlEEPS9_SG_NS0_5tupleIJPjSI_NS0_16reverse_iteratorISI_EEEEENSH_IJSG_SG_SG_EEES9_SI_JZNS1_25segmented_radix_sort_implINS0_14default_configELb1EPKaPaPKlPlN2at6native12_GLOBAL__N_18offset_tEEE10hipError_tPvRmT1_PNSt15iterator_traitsIS12_E10value_typeET2_T3_PNS13_IS18_E10value_typeET4_jRbjT5_S1E_jjP12ihipStream_tbEUljE_ZNSN_ISO_Lb1ESQ_SR_ST_SU_SY_EESZ_S10_S11_S12_S16_S17_S18_S1B_S1C_jS1D_jS1E_S1E_jjS1G_bEUljE0_EEESZ_S10_S11_S18_S1C_S1E_T6_T7_T9_mT8_S1G_bDpT10_ENKUlT_T0_E_clISt17integral_constantIbLb1EES1T_IbLb0EEEEDaS1P_S1Q_EUlS1P_E_NS1_11comp_targetILNS1_3genE0ELNS1_11target_archE4294967295ELNS1_3gpuE0ELNS1_3repE0EEENS1_30default_config_static_selectorELNS0_4arch9wavefront6targetE1EEEvS12_
		.amdhsa_group_segment_fixed_size 0
		.amdhsa_private_segment_fixed_size 0
		.amdhsa_kernarg_size 176
		.amdhsa_user_sgpr_count 6
		.amdhsa_user_sgpr_private_segment_buffer 1
		.amdhsa_user_sgpr_dispatch_ptr 0
		.amdhsa_user_sgpr_queue_ptr 0
		.amdhsa_user_sgpr_kernarg_segment_ptr 1
		.amdhsa_user_sgpr_dispatch_id 0
		.amdhsa_user_sgpr_flat_scratch_init 0
		.amdhsa_user_sgpr_private_segment_size 0
		.amdhsa_uses_dynamic_stack 0
		.amdhsa_system_sgpr_private_segment_wavefront_offset 0
		.amdhsa_system_sgpr_workgroup_id_x 1
		.amdhsa_system_sgpr_workgroup_id_y 0
		.amdhsa_system_sgpr_workgroup_id_z 0
		.amdhsa_system_sgpr_workgroup_info 0
		.amdhsa_system_vgpr_workitem_id 0
		.amdhsa_next_free_vgpr 1
		.amdhsa_next_free_sgpr 0
		.amdhsa_reserve_vcc 0
		.amdhsa_reserve_flat_scratch 0
		.amdhsa_float_round_mode_32 0
		.amdhsa_float_round_mode_16_64 0
		.amdhsa_float_denorm_mode_32 3
		.amdhsa_float_denorm_mode_16_64 3
		.amdhsa_dx10_clamp 1
		.amdhsa_ieee_mode 1
		.amdhsa_fp16_overflow 0
		.amdhsa_exception_fp_ieee_invalid_op 0
		.amdhsa_exception_fp_denorm_src 0
		.amdhsa_exception_fp_ieee_div_zero 0
		.amdhsa_exception_fp_ieee_overflow 0
		.amdhsa_exception_fp_ieee_underflow 0
		.amdhsa_exception_fp_ieee_inexact 0
		.amdhsa_exception_int_div_zero 0
	.end_amdhsa_kernel
	.section	.text._ZN7rocprim17ROCPRIM_400000_NS6detail17trampoline_kernelINS0_13select_configILj256ELj13ELNS0_17block_load_methodE3ELS4_3ELS4_3ELNS0_20block_scan_algorithmE0ELj4294967295EEENS1_25partition_config_selectorILNS1_17partition_subalgoE4EjNS0_10empty_typeEbEEZZNS1_14partition_implILS8_4ELb0ES6_15HIP_vector_typeIjLj2EENS0_17counting_iteratorIjlEEPS9_SG_NS0_5tupleIJPjSI_NS0_16reverse_iteratorISI_EEEEENSH_IJSG_SG_SG_EEES9_SI_JZNS1_25segmented_radix_sort_implINS0_14default_configELb1EPKaPaPKlPlN2at6native12_GLOBAL__N_18offset_tEEE10hipError_tPvRmT1_PNSt15iterator_traitsIS12_E10value_typeET2_T3_PNS13_IS18_E10value_typeET4_jRbjT5_S1E_jjP12ihipStream_tbEUljE_ZNSN_ISO_Lb1ESQ_SR_ST_SU_SY_EESZ_S10_S11_S12_S16_S17_S18_S1B_S1C_jS1D_jS1E_S1E_jjS1G_bEUljE0_EEESZ_S10_S11_S18_S1C_S1E_T6_T7_T9_mT8_S1G_bDpT10_ENKUlT_T0_E_clISt17integral_constantIbLb1EES1T_IbLb0EEEEDaS1P_S1Q_EUlS1P_E_NS1_11comp_targetILNS1_3genE0ELNS1_11target_archE4294967295ELNS1_3gpuE0ELNS1_3repE0EEENS1_30default_config_static_selectorELNS0_4arch9wavefront6targetE1EEEvS12_,"axG",@progbits,_ZN7rocprim17ROCPRIM_400000_NS6detail17trampoline_kernelINS0_13select_configILj256ELj13ELNS0_17block_load_methodE3ELS4_3ELS4_3ELNS0_20block_scan_algorithmE0ELj4294967295EEENS1_25partition_config_selectorILNS1_17partition_subalgoE4EjNS0_10empty_typeEbEEZZNS1_14partition_implILS8_4ELb0ES6_15HIP_vector_typeIjLj2EENS0_17counting_iteratorIjlEEPS9_SG_NS0_5tupleIJPjSI_NS0_16reverse_iteratorISI_EEEEENSH_IJSG_SG_SG_EEES9_SI_JZNS1_25segmented_radix_sort_implINS0_14default_configELb1EPKaPaPKlPlN2at6native12_GLOBAL__N_18offset_tEEE10hipError_tPvRmT1_PNSt15iterator_traitsIS12_E10value_typeET2_T3_PNS13_IS18_E10value_typeET4_jRbjT5_S1E_jjP12ihipStream_tbEUljE_ZNSN_ISO_Lb1ESQ_SR_ST_SU_SY_EESZ_S10_S11_S12_S16_S17_S18_S1B_S1C_jS1D_jS1E_S1E_jjS1G_bEUljE0_EEESZ_S10_S11_S18_S1C_S1E_T6_T7_T9_mT8_S1G_bDpT10_ENKUlT_T0_E_clISt17integral_constantIbLb1EES1T_IbLb0EEEEDaS1P_S1Q_EUlS1P_E_NS1_11comp_targetILNS1_3genE0ELNS1_11target_archE4294967295ELNS1_3gpuE0ELNS1_3repE0EEENS1_30default_config_static_selectorELNS0_4arch9wavefront6targetE1EEEvS12_,comdat
.Lfunc_end242:
	.size	_ZN7rocprim17ROCPRIM_400000_NS6detail17trampoline_kernelINS0_13select_configILj256ELj13ELNS0_17block_load_methodE3ELS4_3ELS4_3ELNS0_20block_scan_algorithmE0ELj4294967295EEENS1_25partition_config_selectorILNS1_17partition_subalgoE4EjNS0_10empty_typeEbEEZZNS1_14partition_implILS8_4ELb0ES6_15HIP_vector_typeIjLj2EENS0_17counting_iteratorIjlEEPS9_SG_NS0_5tupleIJPjSI_NS0_16reverse_iteratorISI_EEEEENSH_IJSG_SG_SG_EEES9_SI_JZNS1_25segmented_radix_sort_implINS0_14default_configELb1EPKaPaPKlPlN2at6native12_GLOBAL__N_18offset_tEEE10hipError_tPvRmT1_PNSt15iterator_traitsIS12_E10value_typeET2_T3_PNS13_IS18_E10value_typeET4_jRbjT5_S1E_jjP12ihipStream_tbEUljE_ZNSN_ISO_Lb1ESQ_SR_ST_SU_SY_EESZ_S10_S11_S12_S16_S17_S18_S1B_S1C_jS1D_jS1E_S1E_jjS1G_bEUljE0_EEESZ_S10_S11_S18_S1C_S1E_T6_T7_T9_mT8_S1G_bDpT10_ENKUlT_T0_E_clISt17integral_constantIbLb1EES1T_IbLb0EEEEDaS1P_S1Q_EUlS1P_E_NS1_11comp_targetILNS1_3genE0ELNS1_11target_archE4294967295ELNS1_3gpuE0ELNS1_3repE0EEENS1_30default_config_static_selectorELNS0_4arch9wavefront6targetE1EEEvS12_, .Lfunc_end242-_ZN7rocprim17ROCPRIM_400000_NS6detail17trampoline_kernelINS0_13select_configILj256ELj13ELNS0_17block_load_methodE3ELS4_3ELS4_3ELNS0_20block_scan_algorithmE0ELj4294967295EEENS1_25partition_config_selectorILNS1_17partition_subalgoE4EjNS0_10empty_typeEbEEZZNS1_14partition_implILS8_4ELb0ES6_15HIP_vector_typeIjLj2EENS0_17counting_iteratorIjlEEPS9_SG_NS0_5tupleIJPjSI_NS0_16reverse_iteratorISI_EEEEENSH_IJSG_SG_SG_EEES9_SI_JZNS1_25segmented_radix_sort_implINS0_14default_configELb1EPKaPaPKlPlN2at6native12_GLOBAL__N_18offset_tEEE10hipError_tPvRmT1_PNSt15iterator_traitsIS12_E10value_typeET2_T3_PNS13_IS18_E10value_typeET4_jRbjT5_S1E_jjP12ihipStream_tbEUljE_ZNSN_ISO_Lb1ESQ_SR_ST_SU_SY_EESZ_S10_S11_S12_S16_S17_S18_S1B_S1C_jS1D_jS1E_S1E_jjS1G_bEUljE0_EEESZ_S10_S11_S18_S1C_S1E_T6_T7_T9_mT8_S1G_bDpT10_ENKUlT_T0_E_clISt17integral_constantIbLb1EES1T_IbLb0EEEEDaS1P_S1Q_EUlS1P_E_NS1_11comp_targetILNS1_3genE0ELNS1_11target_archE4294967295ELNS1_3gpuE0ELNS1_3repE0EEENS1_30default_config_static_selectorELNS0_4arch9wavefront6targetE1EEEvS12_
                                        ; -- End function
	.set _ZN7rocprim17ROCPRIM_400000_NS6detail17trampoline_kernelINS0_13select_configILj256ELj13ELNS0_17block_load_methodE3ELS4_3ELS4_3ELNS0_20block_scan_algorithmE0ELj4294967295EEENS1_25partition_config_selectorILNS1_17partition_subalgoE4EjNS0_10empty_typeEbEEZZNS1_14partition_implILS8_4ELb0ES6_15HIP_vector_typeIjLj2EENS0_17counting_iteratorIjlEEPS9_SG_NS0_5tupleIJPjSI_NS0_16reverse_iteratorISI_EEEEENSH_IJSG_SG_SG_EEES9_SI_JZNS1_25segmented_radix_sort_implINS0_14default_configELb1EPKaPaPKlPlN2at6native12_GLOBAL__N_18offset_tEEE10hipError_tPvRmT1_PNSt15iterator_traitsIS12_E10value_typeET2_T3_PNS13_IS18_E10value_typeET4_jRbjT5_S1E_jjP12ihipStream_tbEUljE_ZNSN_ISO_Lb1ESQ_SR_ST_SU_SY_EESZ_S10_S11_S12_S16_S17_S18_S1B_S1C_jS1D_jS1E_S1E_jjS1G_bEUljE0_EEESZ_S10_S11_S18_S1C_S1E_T6_T7_T9_mT8_S1G_bDpT10_ENKUlT_T0_E_clISt17integral_constantIbLb1EES1T_IbLb0EEEEDaS1P_S1Q_EUlS1P_E_NS1_11comp_targetILNS1_3genE0ELNS1_11target_archE4294967295ELNS1_3gpuE0ELNS1_3repE0EEENS1_30default_config_static_selectorELNS0_4arch9wavefront6targetE1EEEvS12_.num_vgpr, 0
	.set _ZN7rocprim17ROCPRIM_400000_NS6detail17trampoline_kernelINS0_13select_configILj256ELj13ELNS0_17block_load_methodE3ELS4_3ELS4_3ELNS0_20block_scan_algorithmE0ELj4294967295EEENS1_25partition_config_selectorILNS1_17partition_subalgoE4EjNS0_10empty_typeEbEEZZNS1_14partition_implILS8_4ELb0ES6_15HIP_vector_typeIjLj2EENS0_17counting_iteratorIjlEEPS9_SG_NS0_5tupleIJPjSI_NS0_16reverse_iteratorISI_EEEEENSH_IJSG_SG_SG_EEES9_SI_JZNS1_25segmented_radix_sort_implINS0_14default_configELb1EPKaPaPKlPlN2at6native12_GLOBAL__N_18offset_tEEE10hipError_tPvRmT1_PNSt15iterator_traitsIS12_E10value_typeET2_T3_PNS13_IS18_E10value_typeET4_jRbjT5_S1E_jjP12ihipStream_tbEUljE_ZNSN_ISO_Lb1ESQ_SR_ST_SU_SY_EESZ_S10_S11_S12_S16_S17_S18_S1B_S1C_jS1D_jS1E_S1E_jjS1G_bEUljE0_EEESZ_S10_S11_S18_S1C_S1E_T6_T7_T9_mT8_S1G_bDpT10_ENKUlT_T0_E_clISt17integral_constantIbLb1EES1T_IbLb0EEEEDaS1P_S1Q_EUlS1P_E_NS1_11comp_targetILNS1_3genE0ELNS1_11target_archE4294967295ELNS1_3gpuE0ELNS1_3repE0EEENS1_30default_config_static_selectorELNS0_4arch9wavefront6targetE1EEEvS12_.num_agpr, 0
	.set _ZN7rocprim17ROCPRIM_400000_NS6detail17trampoline_kernelINS0_13select_configILj256ELj13ELNS0_17block_load_methodE3ELS4_3ELS4_3ELNS0_20block_scan_algorithmE0ELj4294967295EEENS1_25partition_config_selectorILNS1_17partition_subalgoE4EjNS0_10empty_typeEbEEZZNS1_14partition_implILS8_4ELb0ES6_15HIP_vector_typeIjLj2EENS0_17counting_iteratorIjlEEPS9_SG_NS0_5tupleIJPjSI_NS0_16reverse_iteratorISI_EEEEENSH_IJSG_SG_SG_EEES9_SI_JZNS1_25segmented_radix_sort_implINS0_14default_configELb1EPKaPaPKlPlN2at6native12_GLOBAL__N_18offset_tEEE10hipError_tPvRmT1_PNSt15iterator_traitsIS12_E10value_typeET2_T3_PNS13_IS18_E10value_typeET4_jRbjT5_S1E_jjP12ihipStream_tbEUljE_ZNSN_ISO_Lb1ESQ_SR_ST_SU_SY_EESZ_S10_S11_S12_S16_S17_S18_S1B_S1C_jS1D_jS1E_S1E_jjS1G_bEUljE0_EEESZ_S10_S11_S18_S1C_S1E_T6_T7_T9_mT8_S1G_bDpT10_ENKUlT_T0_E_clISt17integral_constantIbLb1EES1T_IbLb0EEEEDaS1P_S1Q_EUlS1P_E_NS1_11comp_targetILNS1_3genE0ELNS1_11target_archE4294967295ELNS1_3gpuE0ELNS1_3repE0EEENS1_30default_config_static_selectorELNS0_4arch9wavefront6targetE1EEEvS12_.numbered_sgpr, 0
	.set _ZN7rocprim17ROCPRIM_400000_NS6detail17trampoline_kernelINS0_13select_configILj256ELj13ELNS0_17block_load_methodE3ELS4_3ELS4_3ELNS0_20block_scan_algorithmE0ELj4294967295EEENS1_25partition_config_selectorILNS1_17partition_subalgoE4EjNS0_10empty_typeEbEEZZNS1_14partition_implILS8_4ELb0ES6_15HIP_vector_typeIjLj2EENS0_17counting_iteratorIjlEEPS9_SG_NS0_5tupleIJPjSI_NS0_16reverse_iteratorISI_EEEEENSH_IJSG_SG_SG_EEES9_SI_JZNS1_25segmented_radix_sort_implINS0_14default_configELb1EPKaPaPKlPlN2at6native12_GLOBAL__N_18offset_tEEE10hipError_tPvRmT1_PNSt15iterator_traitsIS12_E10value_typeET2_T3_PNS13_IS18_E10value_typeET4_jRbjT5_S1E_jjP12ihipStream_tbEUljE_ZNSN_ISO_Lb1ESQ_SR_ST_SU_SY_EESZ_S10_S11_S12_S16_S17_S18_S1B_S1C_jS1D_jS1E_S1E_jjS1G_bEUljE0_EEESZ_S10_S11_S18_S1C_S1E_T6_T7_T9_mT8_S1G_bDpT10_ENKUlT_T0_E_clISt17integral_constantIbLb1EES1T_IbLb0EEEEDaS1P_S1Q_EUlS1P_E_NS1_11comp_targetILNS1_3genE0ELNS1_11target_archE4294967295ELNS1_3gpuE0ELNS1_3repE0EEENS1_30default_config_static_selectorELNS0_4arch9wavefront6targetE1EEEvS12_.num_named_barrier, 0
	.set _ZN7rocprim17ROCPRIM_400000_NS6detail17trampoline_kernelINS0_13select_configILj256ELj13ELNS0_17block_load_methodE3ELS4_3ELS4_3ELNS0_20block_scan_algorithmE0ELj4294967295EEENS1_25partition_config_selectorILNS1_17partition_subalgoE4EjNS0_10empty_typeEbEEZZNS1_14partition_implILS8_4ELb0ES6_15HIP_vector_typeIjLj2EENS0_17counting_iteratorIjlEEPS9_SG_NS0_5tupleIJPjSI_NS0_16reverse_iteratorISI_EEEEENSH_IJSG_SG_SG_EEES9_SI_JZNS1_25segmented_radix_sort_implINS0_14default_configELb1EPKaPaPKlPlN2at6native12_GLOBAL__N_18offset_tEEE10hipError_tPvRmT1_PNSt15iterator_traitsIS12_E10value_typeET2_T3_PNS13_IS18_E10value_typeET4_jRbjT5_S1E_jjP12ihipStream_tbEUljE_ZNSN_ISO_Lb1ESQ_SR_ST_SU_SY_EESZ_S10_S11_S12_S16_S17_S18_S1B_S1C_jS1D_jS1E_S1E_jjS1G_bEUljE0_EEESZ_S10_S11_S18_S1C_S1E_T6_T7_T9_mT8_S1G_bDpT10_ENKUlT_T0_E_clISt17integral_constantIbLb1EES1T_IbLb0EEEEDaS1P_S1Q_EUlS1P_E_NS1_11comp_targetILNS1_3genE0ELNS1_11target_archE4294967295ELNS1_3gpuE0ELNS1_3repE0EEENS1_30default_config_static_selectorELNS0_4arch9wavefront6targetE1EEEvS12_.private_seg_size, 0
	.set _ZN7rocprim17ROCPRIM_400000_NS6detail17trampoline_kernelINS0_13select_configILj256ELj13ELNS0_17block_load_methodE3ELS4_3ELS4_3ELNS0_20block_scan_algorithmE0ELj4294967295EEENS1_25partition_config_selectorILNS1_17partition_subalgoE4EjNS0_10empty_typeEbEEZZNS1_14partition_implILS8_4ELb0ES6_15HIP_vector_typeIjLj2EENS0_17counting_iteratorIjlEEPS9_SG_NS0_5tupleIJPjSI_NS0_16reverse_iteratorISI_EEEEENSH_IJSG_SG_SG_EEES9_SI_JZNS1_25segmented_radix_sort_implINS0_14default_configELb1EPKaPaPKlPlN2at6native12_GLOBAL__N_18offset_tEEE10hipError_tPvRmT1_PNSt15iterator_traitsIS12_E10value_typeET2_T3_PNS13_IS18_E10value_typeET4_jRbjT5_S1E_jjP12ihipStream_tbEUljE_ZNSN_ISO_Lb1ESQ_SR_ST_SU_SY_EESZ_S10_S11_S12_S16_S17_S18_S1B_S1C_jS1D_jS1E_S1E_jjS1G_bEUljE0_EEESZ_S10_S11_S18_S1C_S1E_T6_T7_T9_mT8_S1G_bDpT10_ENKUlT_T0_E_clISt17integral_constantIbLb1EES1T_IbLb0EEEEDaS1P_S1Q_EUlS1P_E_NS1_11comp_targetILNS1_3genE0ELNS1_11target_archE4294967295ELNS1_3gpuE0ELNS1_3repE0EEENS1_30default_config_static_selectorELNS0_4arch9wavefront6targetE1EEEvS12_.uses_vcc, 0
	.set _ZN7rocprim17ROCPRIM_400000_NS6detail17trampoline_kernelINS0_13select_configILj256ELj13ELNS0_17block_load_methodE3ELS4_3ELS4_3ELNS0_20block_scan_algorithmE0ELj4294967295EEENS1_25partition_config_selectorILNS1_17partition_subalgoE4EjNS0_10empty_typeEbEEZZNS1_14partition_implILS8_4ELb0ES6_15HIP_vector_typeIjLj2EENS0_17counting_iteratorIjlEEPS9_SG_NS0_5tupleIJPjSI_NS0_16reverse_iteratorISI_EEEEENSH_IJSG_SG_SG_EEES9_SI_JZNS1_25segmented_radix_sort_implINS0_14default_configELb1EPKaPaPKlPlN2at6native12_GLOBAL__N_18offset_tEEE10hipError_tPvRmT1_PNSt15iterator_traitsIS12_E10value_typeET2_T3_PNS13_IS18_E10value_typeET4_jRbjT5_S1E_jjP12ihipStream_tbEUljE_ZNSN_ISO_Lb1ESQ_SR_ST_SU_SY_EESZ_S10_S11_S12_S16_S17_S18_S1B_S1C_jS1D_jS1E_S1E_jjS1G_bEUljE0_EEESZ_S10_S11_S18_S1C_S1E_T6_T7_T9_mT8_S1G_bDpT10_ENKUlT_T0_E_clISt17integral_constantIbLb1EES1T_IbLb0EEEEDaS1P_S1Q_EUlS1P_E_NS1_11comp_targetILNS1_3genE0ELNS1_11target_archE4294967295ELNS1_3gpuE0ELNS1_3repE0EEENS1_30default_config_static_selectorELNS0_4arch9wavefront6targetE1EEEvS12_.uses_flat_scratch, 0
	.set _ZN7rocprim17ROCPRIM_400000_NS6detail17trampoline_kernelINS0_13select_configILj256ELj13ELNS0_17block_load_methodE3ELS4_3ELS4_3ELNS0_20block_scan_algorithmE0ELj4294967295EEENS1_25partition_config_selectorILNS1_17partition_subalgoE4EjNS0_10empty_typeEbEEZZNS1_14partition_implILS8_4ELb0ES6_15HIP_vector_typeIjLj2EENS0_17counting_iteratorIjlEEPS9_SG_NS0_5tupleIJPjSI_NS0_16reverse_iteratorISI_EEEEENSH_IJSG_SG_SG_EEES9_SI_JZNS1_25segmented_radix_sort_implINS0_14default_configELb1EPKaPaPKlPlN2at6native12_GLOBAL__N_18offset_tEEE10hipError_tPvRmT1_PNSt15iterator_traitsIS12_E10value_typeET2_T3_PNS13_IS18_E10value_typeET4_jRbjT5_S1E_jjP12ihipStream_tbEUljE_ZNSN_ISO_Lb1ESQ_SR_ST_SU_SY_EESZ_S10_S11_S12_S16_S17_S18_S1B_S1C_jS1D_jS1E_S1E_jjS1G_bEUljE0_EEESZ_S10_S11_S18_S1C_S1E_T6_T7_T9_mT8_S1G_bDpT10_ENKUlT_T0_E_clISt17integral_constantIbLb1EES1T_IbLb0EEEEDaS1P_S1Q_EUlS1P_E_NS1_11comp_targetILNS1_3genE0ELNS1_11target_archE4294967295ELNS1_3gpuE0ELNS1_3repE0EEENS1_30default_config_static_selectorELNS0_4arch9wavefront6targetE1EEEvS12_.has_dyn_sized_stack, 0
	.set _ZN7rocprim17ROCPRIM_400000_NS6detail17trampoline_kernelINS0_13select_configILj256ELj13ELNS0_17block_load_methodE3ELS4_3ELS4_3ELNS0_20block_scan_algorithmE0ELj4294967295EEENS1_25partition_config_selectorILNS1_17partition_subalgoE4EjNS0_10empty_typeEbEEZZNS1_14partition_implILS8_4ELb0ES6_15HIP_vector_typeIjLj2EENS0_17counting_iteratorIjlEEPS9_SG_NS0_5tupleIJPjSI_NS0_16reverse_iteratorISI_EEEEENSH_IJSG_SG_SG_EEES9_SI_JZNS1_25segmented_radix_sort_implINS0_14default_configELb1EPKaPaPKlPlN2at6native12_GLOBAL__N_18offset_tEEE10hipError_tPvRmT1_PNSt15iterator_traitsIS12_E10value_typeET2_T3_PNS13_IS18_E10value_typeET4_jRbjT5_S1E_jjP12ihipStream_tbEUljE_ZNSN_ISO_Lb1ESQ_SR_ST_SU_SY_EESZ_S10_S11_S12_S16_S17_S18_S1B_S1C_jS1D_jS1E_S1E_jjS1G_bEUljE0_EEESZ_S10_S11_S18_S1C_S1E_T6_T7_T9_mT8_S1G_bDpT10_ENKUlT_T0_E_clISt17integral_constantIbLb1EES1T_IbLb0EEEEDaS1P_S1Q_EUlS1P_E_NS1_11comp_targetILNS1_3genE0ELNS1_11target_archE4294967295ELNS1_3gpuE0ELNS1_3repE0EEENS1_30default_config_static_selectorELNS0_4arch9wavefront6targetE1EEEvS12_.has_recursion, 0
	.set _ZN7rocprim17ROCPRIM_400000_NS6detail17trampoline_kernelINS0_13select_configILj256ELj13ELNS0_17block_load_methodE3ELS4_3ELS4_3ELNS0_20block_scan_algorithmE0ELj4294967295EEENS1_25partition_config_selectorILNS1_17partition_subalgoE4EjNS0_10empty_typeEbEEZZNS1_14partition_implILS8_4ELb0ES6_15HIP_vector_typeIjLj2EENS0_17counting_iteratorIjlEEPS9_SG_NS0_5tupleIJPjSI_NS0_16reverse_iteratorISI_EEEEENSH_IJSG_SG_SG_EEES9_SI_JZNS1_25segmented_radix_sort_implINS0_14default_configELb1EPKaPaPKlPlN2at6native12_GLOBAL__N_18offset_tEEE10hipError_tPvRmT1_PNSt15iterator_traitsIS12_E10value_typeET2_T3_PNS13_IS18_E10value_typeET4_jRbjT5_S1E_jjP12ihipStream_tbEUljE_ZNSN_ISO_Lb1ESQ_SR_ST_SU_SY_EESZ_S10_S11_S12_S16_S17_S18_S1B_S1C_jS1D_jS1E_S1E_jjS1G_bEUljE0_EEESZ_S10_S11_S18_S1C_S1E_T6_T7_T9_mT8_S1G_bDpT10_ENKUlT_T0_E_clISt17integral_constantIbLb1EES1T_IbLb0EEEEDaS1P_S1Q_EUlS1P_E_NS1_11comp_targetILNS1_3genE0ELNS1_11target_archE4294967295ELNS1_3gpuE0ELNS1_3repE0EEENS1_30default_config_static_selectorELNS0_4arch9wavefront6targetE1EEEvS12_.has_indirect_call, 0
	.section	.AMDGPU.csdata,"",@progbits
; Kernel info:
; codeLenInByte = 0
; TotalNumSgprs: 4
; NumVgprs: 0
; ScratchSize: 0
; MemoryBound: 0
; FloatMode: 240
; IeeeMode: 1
; LDSByteSize: 0 bytes/workgroup (compile time only)
; SGPRBlocks: 0
; VGPRBlocks: 0
; NumSGPRsForWavesPerEU: 4
; NumVGPRsForWavesPerEU: 1
; Occupancy: 10
; WaveLimiterHint : 0
; COMPUTE_PGM_RSRC2:SCRATCH_EN: 0
; COMPUTE_PGM_RSRC2:USER_SGPR: 6
; COMPUTE_PGM_RSRC2:TRAP_HANDLER: 0
; COMPUTE_PGM_RSRC2:TGID_X_EN: 1
; COMPUTE_PGM_RSRC2:TGID_Y_EN: 0
; COMPUTE_PGM_RSRC2:TGID_Z_EN: 0
; COMPUTE_PGM_RSRC2:TIDIG_COMP_CNT: 0
	.section	.text._ZN7rocprim17ROCPRIM_400000_NS6detail17trampoline_kernelINS0_13select_configILj256ELj13ELNS0_17block_load_methodE3ELS4_3ELS4_3ELNS0_20block_scan_algorithmE0ELj4294967295EEENS1_25partition_config_selectorILNS1_17partition_subalgoE4EjNS0_10empty_typeEbEEZZNS1_14partition_implILS8_4ELb0ES6_15HIP_vector_typeIjLj2EENS0_17counting_iteratorIjlEEPS9_SG_NS0_5tupleIJPjSI_NS0_16reverse_iteratorISI_EEEEENSH_IJSG_SG_SG_EEES9_SI_JZNS1_25segmented_radix_sort_implINS0_14default_configELb1EPKaPaPKlPlN2at6native12_GLOBAL__N_18offset_tEEE10hipError_tPvRmT1_PNSt15iterator_traitsIS12_E10value_typeET2_T3_PNS13_IS18_E10value_typeET4_jRbjT5_S1E_jjP12ihipStream_tbEUljE_ZNSN_ISO_Lb1ESQ_SR_ST_SU_SY_EESZ_S10_S11_S12_S16_S17_S18_S1B_S1C_jS1D_jS1E_S1E_jjS1G_bEUljE0_EEESZ_S10_S11_S18_S1C_S1E_T6_T7_T9_mT8_S1G_bDpT10_ENKUlT_T0_E_clISt17integral_constantIbLb1EES1T_IbLb0EEEEDaS1P_S1Q_EUlS1P_E_NS1_11comp_targetILNS1_3genE5ELNS1_11target_archE942ELNS1_3gpuE9ELNS1_3repE0EEENS1_30default_config_static_selectorELNS0_4arch9wavefront6targetE1EEEvS12_,"axG",@progbits,_ZN7rocprim17ROCPRIM_400000_NS6detail17trampoline_kernelINS0_13select_configILj256ELj13ELNS0_17block_load_methodE3ELS4_3ELS4_3ELNS0_20block_scan_algorithmE0ELj4294967295EEENS1_25partition_config_selectorILNS1_17partition_subalgoE4EjNS0_10empty_typeEbEEZZNS1_14partition_implILS8_4ELb0ES6_15HIP_vector_typeIjLj2EENS0_17counting_iteratorIjlEEPS9_SG_NS0_5tupleIJPjSI_NS0_16reverse_iteratorISI_EEEEENSH_IJSG_SG_SG_EEES9_SI_JZNS1_25segmented_radix_sort_implINS0_14default_configELb1EPKaPaPKlPlN2at6native12_GLOBAL__N_18offset_tEEE10hipError_tPvRmT1_PNSt15iterator_traitsIS12_E10value_typeET2_T3_PNS13_IS18_E10value_typeET4_jRbjT5_S1E_jjP12ihipStream_tbEUljE_ZNSN_ISO_Lb1ESQ_SR_ST_SU_SY_EESZ_S10_S11_S12_S16_S17_S18_S1B_S1C_jS1D_jS1E_S1E_jjS1G_bEUljE0_EEESZ_S10_S11_S18_S1C_S1E_T6_T7_T9_mT8_S1G_bDpT10_ENKUlT_T0_E_clISt17integral_constantIbLb1EES1T_IbLb0EEEEDaS1P_S1Q_EUlS1P_E_NS1_11comp_targetILNS1_3genE5ELNS1_11target_archE942ELNS1_3gpuE9ELNS1_3repE0EEENS1_30default_config_static_selectorELNS0_4arch9wavefront6targetE1EEEvS12_,comdat
	.globl	_ZN7rocprim17ROCPRIM_400000_NS6detail17trampoline_kernelINS0_13select_configILj256ELj13ELNS0_17block_load_methodE3ELS4_3ELS4_3ELNS0_20block_scan_algorithmE0ELj4294967295EEENS1_25partition_config_selectorILNS1_17partition_subalgoE4EjNS0_10empty_typeEbEEZZNS1_14partition_implILS8_4ELb0ES6_15HIP_vector_typeIjLj2EENS0_17counting_iteratorIjlEEPS9_SG_NS0_5tupleIJPjSI_NS0_16reverse_iteratorISI_EEEEENSH_IJSG_SG_SG_EEES9_SI_JZNS1_25segmented_radix_sort_implINS0_14default_configELb1EPKaPaPKlPlN2at6native12_GLOBAL__N_18offset_tEEE10hipError_tPvRmT1_PNSt15iterator_traitsIS12_E10value_typeET2_T3_PNS13_IS18_E10value_typeET4_jRbjT5_S1E_jjP12ihipStream_tbEUljE_ZNSN_ISO_Lb1ESQ_SR_ST_SU_SY_EESZ_S10_S11_S12_S16_S17_S18_S1B_S1C_jS1D_jS1E_S1E_jjS1G_bEUljE0_EEESZ_S10_S11_S18_S1C_S1E_T6_T7_T9_mT8_S1G_bDpT10_ENKUlT_T0_E_clISt17integral_constantIbLb1EES1T_IbLb0EEEEDaS1P_S1Q_EUlS1P_E_NS1_11comp_targetILNS1_3genE5ELNS1_11target_archE942ELNS1_3gpuE9ELNS1_3repE0EEENS1_30default_config_static_selectorELNS0_4arch9wavefront6targetE1EEEvS12_ ; -- Begin function _ZN7rocprim17ROCPRIM_400000_NS6detail17trampoline_kernelINS0_13select_configILj256ELj13ELNS0_17block_load_methodE3ELS4_3ELS4_3ELNS0_20block_scan_algorithmE0ELj4294967295EEENS1_25partition_config_selectorILNS1_17partition_subalgoE4EjNS0_10empty_typeEbEEZZNS1_14partition_implILS8_4ELb0ES6_15HIP_vector_typeIjLj2EENS0_17counting_iteratorIjlEEPS9_SG_NS0_5tupleIJPjSI_NS0_16reverse_iteratorISI_EEEEENSH_IJSG_SG_SG_EEES9_SI_JZNS1_25segmented_radix_sort_implINS0_14default_configELb1EPKaPaPKlPlN2at6native12_GLOBAL__N_18offset_tEEE10hipError_tPvRmT1_PNSt15iterator_traitsIS12_E10value_typeET2_T3_PNS13_IS18_E10value_typeET4_jRbjT5_S1E_jjP12ihipStream_tbEUljE_ZNSN_ISO_Lb1ESQ_SR_ST_SU_SY_EESZ_S10_S11_S12_S16_S17_S18_S1B_S1C_jS1D_jS1E_S1E_jjS1G_bEUljE0_EEESZ_S10_S11_S18_S1C_S1E_T6_T7_T9_mT8_S1G_bDpT10_ENKUlT_T0_E_clISt17integral_constantIbLb1EES1T_IbLb0EEEEDaS1P_S1Q_EUlS1P_E_NS1_11comp_targetILNS1_3genE5ELNS1_11target_archE942ELNS1_3gpuE9ELNS1_3repE0EEENS1_30default_config_static_selectorELNS0_4arch9wavefront6targetE1EEEvS12_
	.p2align	8
	.type	_ZN7rocprim17ROCPRIM_400000_NS6detail17trampoline_kernelINS0_13select_configILj256ELj13ELNS0_17block_load_methodE3ELS4_3ELS4_3ELNS0_20block_scan_algorithmE0ELj4294967295EEENS1_25partition_config_selectorILNS1_17partition_subalgoE4EjNS0_10empty_typeEbEEZZNS1_14partition_implILS8_4ELb0ES6_15HIP_vector_typeIjLj2EENS0_17counting_iteratorIjlEEPS9_SG_NS0_5tupleIJPjSI_NS0_16reverse_iteratorISI_EEEEENSH_IJSG_SG_SG_EEES9_SI_JZNS1_25segmented_radix_sort_implINS0_14default_configELb1EPKaPaPKlPlN2at6native12_GLOBAL__N_18offset_tEEE10hipError_tPvRmT1_PNSt15iterator_traitsIS12_E10value_typeET2_T3_PNS13_IS18_E10value_typeET4_jRbjT5_S1E_jjP12ihipStream_tbEUljE_ZNSN_ISO_Lb1ESQ_SR_ST_SU_SY_EESZ_S10_S11_S12_S16_S17_S18_S1B_S1C_jS1D_jS1E_S1E_jjS1G_bEUljE0_EEESZ_S10_S11_S18_S1C_S1E_T6_T7_T9_mT8_S1G_bDpT10_ENKUlT_T0_E_clISt17integral_constantIbLb1EES1T_IbLb0EEEEDaS1P_S1Q_EUlS1P_E_NS1_11comp_targetILNS1_3genE5ELNS1_11target_archE942ELNS1_3gpuE9ELNS1_3repE0EEENS1_30default_config_static_selectorELNS0_4arch9wavefront6targetE1EEEvS12_,@function
_ZN7rocprim17ROCPRIM_400000_NS6detail17trampoline_kernelINS0_13select_configILj256ELj13ELNS0_17block_load_methodE3ELS4_3ELS4_3ELNS0_20block_scan_algorithmE0ELj4294967295EEENS1_25partition_config_selectorILNS1_17partition_subalgoE4EjNS0_10empty_typeEbEEZZNS1_14partition_implILS8_4ELb0ES6_15HIP_vector_typeIjLj2EENS0_17counting_iteratorIjlEEPS9_SG_NS0_5tupleIJPjSI_NS0_16reverse_iteratorISI_EEEEENSH_IJSG_SG_SG_EEES9_SI_JZNS1_25segmented_radix_sort_implINS0_14default_configELb1EPKaPaPKlPlN2at6native12_GLOBAL__N_18offset_tEEE10hipError_tPvRmT1_PNSt15iterator_traitsIS12_E10value_typeET2_T3_PNS13_IS18_E10value_typeET4_jRbjT5_S1E_jjP12ihipStream_tbEUljE_ZNSN_ISO_Lb1ESQ_SR_ST_SU_SY_EESZ_S10_S11_S12_S16_S17_S18_S1B_S1C_jS1D_jS1E_S1E_jjS1G_bEUljE0_EEESZ_S10_S11_S18_S1C_S1E_T6_T7_T9_mT8_S1G_bDpT10_ENKUlT_T0_E_clISt17integral_constantIbLb1EES1T_IbLb0EEEEDaS1P_S1Q_EUlS1P_E_NS1_11comp_targetILNS1_3genE5ELNS1_11target_archE942ELNS1_3gpuE9ELNS1_3repE0EEENS1_30default_config_static_selectorELNS0_4arch9wavefront6targetE1EEEvS12_: ; @_ZN7rocprim17ROCPRIM_400000_NS6detail17trampoline_kernelINS0_13select_configILj256ELj13ELNS0_17block_load_methodE3ELS4_3ELS4_3ELNS0_20block_scan_algorithmE0ELj4294967295EEENS1_25partition_config_selectorILNS1_17partition_subalgoE4EjNS0_10empty_typeEbEEZZNS1_14partition_implILS8_4ELb0ES6_15HIP_vector_typeIjLj2EENS0_17counting_iteratorIjlEEPS9_SG_NS0_5tupleIJPjSI_NS0_16reverse_iteratorISI_EEEEENSH_IJSG_SG_SG_EEES9_SI_JZNS1_25segmented_radix_sort_implINS0_14default_configELb1EPKaPaPKlPlN2at6native12_GLOBAL__N_18offset_tEEE10hipError_tPvRmT1_PNSt15iterator_traitsIS12_E10value_typeET2_T3_PNS13_IS18_E10value_typeET4_jRbjT5_S1E_jjP12ihipStream_tbEUljE_ZNSN_ISO_Lb1ESQ_SR_ST_SU_SY_EESZ_S10_S11_S12_S16_S17_S18_S1B_S1C_jS1D_jS1E_S1E_jjS1G_bEUljE0_EEESZ_S10_S11_S18_S1C_S1E_T6_T7_T9_mT8_S1G_bDpT10_ENKUlT_T0_E_clISt17integral_constantIbLb1EES1T_IbLb0EEEEDaS1P_S1Q_EUlS1P_E_NS1_11comp_targetILNS1_3genE5ELNS1_11target_archE942ELNS1_3gpuE9ELNS1_3repE0EEENS1_30default_config_static_selectorELNS0_4arch9wavefront6targetE1EEEvS12_
; %bb.0:
	.section	.rodata,"a",@progbits
	.p2align	6, 0x0
	.amdhsa_kernel _ZN7rocprim17ROCPRIM_400000_NS6detail17trampoline_kernelINS0_13select_configILj256ELj13ELNS0_17block_load_methodE3ELS4_3ELS4_3ELNS0_20block_scan_algorithmE0ELj4294967295EEENS1_25partition_config_selectorILNS1_17partition_subalgoE4EjNS0_10empty_typeEbEEZZNS1_14partition_implILS8_4ELb0ES6_15HIP_vector_typeIjLj2EENS0_17counting_iteratorIjlEEPS9_SG_NS0_5tupleIJPjSI_NS0_16reverse_iteratorISI_EEEEENSH_IJSG_SG_SG_EEES9_SI_JZNS1_25segmented_radix_sort_implINS0_14default_configELb1EPKaPaPKlPlN2at6native12_GLOBAL__N_18offset_tEEE10hipError_tPvRmT1_PNSt15iterator_traitsIS12_E10value_typeET2_T3_PNS13_IS18_E10value_typeET4_jRbjT5_S1E_jjP12ihipStream_tbEUljE_ZNSN_ISO_Lb1ESQ_SR_ST_SU_SY_EESZ_S10_S11_S12_S16_S17_S18_S1B_S1C_jS1D_jS1E_S1E_jjS1G_bEUljE0_EEESZ_S10_S11_S18_S1C_S1E_T6_T7_T9_mT8_S1G_bDpT10_ENKUlT_T0_E_clISt17integral_constantIbLb1EES1T_IbLb0EEEEDaS1P_S1Q_EUlS1P_E_NS1_11comp_targetILNS1_3genE5ELNS1_11target_archE942ELNS1_3gpuE9ELNS1_3repE0EEENS1_30default_config_static_selectorELNS0_4arch9wavefront6targetE1EEEvS12_
		.amdhsa_group_segment_fixed_size 0
		.amdhsa_private_segment_fixed_size 0
		.amdhsa_kernarg_size 176
		.amdhsa_user_sgpr_count 6
		.amdhsa_user_sgpr_private_segment_buffer 1
		.amdhsa_user_sgpr_dispatch_ptr 0
		.amdhsa_user_sgpr_queue_ptr 0
		.amdhsa_user_sgpr_kernarg_segment_ptr 1
		.amdhsa_user_sgpr_dispatch_id 0
		.amdhsa_user_sgpr_flat_scratch_init 0
		.amdhsa_user_sgpr_private_segment_size 0
		.amdhsa_uses_dynamic_stack 0
		.amdhsa_system_sgpr_private_segment_wavefront_offset 0
		.amdhsa_system_sgpr_workgroup_id_x 1
		.amdhsa_system_sgpr_workgroup_id_y 0
		.amdhsa_system_sgpr_workgroup_id_z 0
		.amdhsa_system_sgpr_workgroup_info 0
		.amdhsa_system_vgpr_workitem_id 0
		.amdhsa_next_free_vgpr 1
		.amdhsa_next_free_sgpr 0
		.amdhsa_reserve_vcc 0
		.amdhsa_reserve_flat_scratch 0
		.amdhsa_float_round_mode_32 0
		.amdhsa_float_round_mode_16_64 0
		.amdhsa_float_denorm_mode_32 3
		.amdhsa_float_denorm_mode_16_64 3
		.amdhsa_dx10_clamp 1
		.amdhsa_ieee_mode 1
		.amdhsa_fp16_overflow 0
		.amdhsa_exception_fp_ieee_invalid_op 0
		.amdhsa_exception_fp_denorm_src 0
		.amdhsa_exception_fp_ieee_div_zero 0
		.amdhsa_exception_fp_ieee_overflow 0
		.amdhsa_exception_fp_ieee_underflow 0
		.amdhsa_exception_fp_ieee_inexact 0
		.amdhsa_exception_int_div_zero 0
	.end_amdhsa_kernel
	.section	.text._ZN7rocprim17ROCPRIM_400000_NS6detail17trampoline_kernelINS0_13select_configILj256ELj13ELNS0_17block_load_methodE3ELS4_3ELS4_3ELNS0_20block_scan_algorithmE0ELj4294967295EEENS1_25partition_config_selectorILNS1_17partition_subalgoE4EjNS0_10empty_typeEbEEZZNS1_14partition_implILS8_4ELb0ES6_15HIP_vector_typeIjLj2EENS0_17counting_iteratorIjlEEPS9_SG_NS0_5tupleIJPjSI_NS0_16reverse_iteratorISI_EEEEENSH_IJSG_SG_SG_EEES9_SI_JZNS1_25segmented_radix_sort_implINS0_14default_configELb1EPKaPaPKlPlN2at6native12_GLOBAL__N_18offset_tEEE10hipError_tPvRmT1_PNSt15iterator_traitsIS12_E10value_typeET2_T3_PNS13_IS18_E10value_typeET4_jRbjT5_S1E_jjP12ihipStream_tbEUljE_ZNSN_ISO_Lb1ESQ_SR_ST_SU_SY_EESZ_S10_S11_S12_S16_S17_S18_S1B_S1C_jS1D_jS1E_S1E_jjS1G_bEUljE0_EEESZ_S10_S11_S18_S1C_S1E_T6_T7_T9_mT8_S1G_bDpT10_ENKUlT_T0_E_clISt17integral_constantIbLb1EES1T_IbLb0EEEEDaS1P_S1Q_EUlS1P_E_NS1_11comp_targetILNS1_3genE5ELNS1_11target_archE942ELNS1_3gpuE9ELNS1_3repE0EEENS1_30default_config_static_selectorELNS0_4arch9wavefront6targetE1EEEvS12_,"axG",@progbits,_ZN7rocprim17ROCPRIM_400000_NS6detail17trampoline_kernelINS0_13select_configILj256ELj13ELNS0_17block_load_methodE3ELS4_3ELS4_3ELNS0_20block_scan_algorithmE0ELj4294967295EEENS1_25partition_config_selectorILNS1_17partition_subalgoE4EjNS0_10empty_typeEbEEZZNS1_14partition_implILS8_4ELb0ES6_15HIP_vector_typeIjLj2EENS0_17counting_iteratorIjlEEPS9_SG_NS0_5tupleIJPjSI_NS0_16reverse_iteratorISI_EEEEENSH_IJSG_SG_SG_EEES9_SI_JZNS1_25segmented_radix_sort_implINS0_14default_configELb1EPKaPaPKlPlN2at6native12_GLOBAL__N_18offset_tEEE10hipError_tPvRmT1_PNSt15iterator_traitsIS12_E10value_typeET2_T3_PNS13_IS18_E10value_typeET4_jRbjT5_S1E_jjP12ihipStream_tbEUljE_ZNSN_ISO_Lb1ESQ_SR_ST_SU_SY_EESZ_S10_S11_S12_S16_S17_S18_S1B_S1C_jS1D_jS1E_S1E_jjS1G_bEUljE0_EEESZ_S10_S11_S18_S1C_S1E_T6_T7_T9_mT8_S1G_bDpT10_ENKUlT_T0_E_clISt17integral_constantIbLb1EES1T_IbLb0EEEEDaS1P_S1Q_EUlS1P_E_NS1_11comp_targetILNS1_3genE5ELNS1_11target_archE942ELNS1_3gpuE9ELNS1_3repE0EEENS1_30default_config_static_selectorELNS0_4arch9wavefront6targetE1EEEvS12_,comdat
.Lfunc_end243:
	.size	_ZN7rocprim17ROCPRIM_400000_NS6detail17trampoline_kernelINS0_13select_configILj256ELj13ELNS0_17block_load_methodE3ELS4_3ELS4_3ELNS0_20block_scan_algorithmE0ELj4294967295EEENS1_25partition_config_selectorILNS1_17partition_subalgoE4EjNS0_10empty_typeEbEEZZNS1_14partition_implILS8_4ELb0ES6_15HIP_vector_typeIjLj2EENS0_17counting_iteratorIjlEEPS9_SG_NS0_5tupleIJPjSI_NS0_16reverse_iteratorISI_EEEEENSH_IJSG_SG_SG_EEES9_SI_JZNS1_25segmented_radix_sort_implINS0_14default_configELb1EPKaPaPKlPlN2at6native12_GLOBAL__N_18offset_tEEE10hipError_tPvRmT1_PNSt15iterator_traitsIS12_E10value_typeET2_T3_PNS13_IS18_E10value_typeET4_jRbjT5_S1E_jjP12ihipStream_tbEUljE_ZNSN_ISO_Lb1ESQ_SR_ST_SU_SY_EESZ_S10_S11_S12_S16_S17_S18_S1B_S1C_jS1D_jS1E_S1E_jjS1G_bEUljE0_EEESZ_S10_S11_S18_S1C_S1E_T6_T7_T9_mT8_S1G_bDpT10_ENKUlT_T0_E_clISt17integral_constantIbLb1EES1T_IbLb0EEEEDaS1P_S1Q_EUlS1P_E_NS1_11comp_targetILNS1_3genE5ELNS1_11target_archE942ELNS1_3gpuE9ELNS1_3repE0EEENS1_30default_config_static_selectorELNS0_4arch9wavefront6targetE1EEEvS12_, .Lfunc_end243-_ZN7rocprim17ROCPRIM_400000_NS6detail17trampoline_kernelINS0_13select_configILj256ELj13ELNS0_17block_load_methodE3ELS4_3ELS4_3ELNS0_20block_scan_algorithmE0ELj4294967295EEENS1_25partition_config_selectorILNS1_17partition_subalgoE4EjNS0_10empty_typeEbEEZZNS1_14partition_implILS8_4ELb0ES6_15HIP_vector_typeIjLj2EENS0_17counting_iteratorIjlEEPS9_SG_NS0_5tupleIJPjSI_NS0_16reverse_iteratorISI_EEEEENSH_IJSG_SG_SG_EEES9_SI_JZNS1_25segmented_radix_sort_implINS0_14default_configELb1EPKaPaPKlPlN2at6native12_GLOBAL__N_18offset_tEEE10hipError_tPvRmT1_PNSt15iterator_traitsIS12_E10value_typeET2_T3_PNS13_IS18_E10value_typeET4_jRbjT5_S1E_jjP12ihipStream_tbEUljE_ZNSN_ISO_Lb1ESQ_SR_ST_SU_SY_EESZ_S10_S11_S12_S16_S17_S18_S1B_S1C_jS1D_jS1E_S1E_jjS1G_bEUljE0_EEESZ_S10_S11_S18_S1C_S1E_T6_T7_T9_mT8_S1G_bDpT10_ENKUlT_T0_E_clISt17integral_constantIbLb1EES1T_IbLb0EEEEDaS1P_S1Q_EUlS1P_E_NS1_11comp_targetILNS1_3genE5ELNS1_11target_archE942ELNS1_3gpuE9ELNS1_3repE0EEENS1_30default_config_static_selectorELNS0_4arch9wavefront6targetE1EEEvS12_
                                        ; -- End function
	.set _ZN7rocprim17ROCPRIM_400000_NS6detail17trampoline_kernelINS0_13select_configILj256ELj13ELNS0_17block_load_methodE3ELS4_3ELS4_3ELNS0_20block_scan_algorithmE0ELj4294967295EEENS1_25partition_config_selectorILNS1_17partition_subalgoE4EjNS0_10empty_typeEbEEZZNS1_14partition_implILS8_4ELb0ES6_15HIP_vector_typeIjLj2EENS0_17counting_iteratorIjlEEPS9_SG_NS0_5tupleIJPjSI_NS0_16reverse_iteratorISI_EEEEENSH_IJSG_SG_SG_EEES9_SI_JZNS1_25segmented_radix_sort_implINS0_14default_configELb1EPKaPaPKlPlN2at6native12_GLOBAL__N_18offset_tEEE10hipError_tPvRmT1_PNSt15iterator_traitsIS12_E10value_typeET2_T3_PNS13_IS18_E10value_typeET4_jRbjT5_S1E_jjP12ihipStream_tbEUljE_ZNSN_ISO_Lb1ESQ_SR_ST_SU_SY_EESZ_S10_S11_S12_S16_S17_S18_S1B_S1C_jS1D_jS1E_S1E_jjS1G_bEUljE0_EEESZ_S10_S11_S18_S1C_S1E_T6_T7_T9_mT8_S1G_bDpT10_ENKUlT_T0_E_clISt17integral_constantIbLb1EES1T_IbLb0EEEEDaS1P_S1Q_EUlS1P_E_NS1_11comp_targetILNS1_3genE5ELNS1_11target_archE942ELNS1_3gpuE9ELNS1_3repE0EEENS1_30default_config_static_selectorELNS0_4arch9wavefront6targetE1EEEvS12_.num_vgpr, 0
	.set _ZN7rocprim17ROCPRIM_400000_NS6detail17trampoline_kernelINS0_13select_configILj256ELj13ELNS0_17block_load_methodE3ELS4_3ELS4_3ELNS0_20block_scan_algorithmE0ELj4294967295EEENS1_25partition_config_selectorILNS1_17partition_subalgoE4EjNS0_10empty_typeEbEEZZNS1_14partition_implILS8_4ELb0ES6_15HIP_vector_typeIjLj2EENS0_17counting_iteratorIjlEEPS9_SG_NS0_5tupleIJPjSI_NS0_16reverse_iteratorISI_EEEEENSH_IJSG_SG_SG_EEES9_SI_JZNS1_25segmented_radix_sort_implINS0_14default_configELb1EPKaPaPKlPlN2at6native12_GLOBAL__N_18offset_tEEE10hipError_tPvRmT1_PNSt15iterator_traitsIS12_E10value_typeET2_T3_PNS13_IS18_E10value_typeET4_jRbjT5_S1E_jjP12ihipStream_tbEUljE_ZNSN_ISO_Lb1ESQ_SR_ST_SU_SY_EESZ_S10_S11_S12_S16_S17_S18_S1B_S1C_jS1D_jS1E_S1E_jjS1G_bEUljE0_EEESZ_S10_S11_S18_S1C_S1E_T6_T7_T9_mT8_S1G_bDpT10_ENKUlT_T0_E_clISt17integral_constantIbLb1EES1T_IbLb0EEEEDaS1P_S1Q_EUlS1P_E_NS1_11comp_targetILNS1_3genE5ELNS1_11target_archE942ELNS1_3gpuE9ELNS1_3repE0EEENS1_30default_config_static_selectorELNS0_4arch9wavefront6targetE1EEEvS12_.num_agpr, 0
	.set _ZN7rocprim17ROCPRIM_400000_NS6detail17trampoline_kernelINS0_13select_configILj256ELj13ELNS0_17block_load_methodE3ELS4_3ELS4_3ELNS0_20block_scan_algorithmE0ELj4294967295EEENS1_25partition_config_selectorILNS1_17partition_subalgoE4EjNS0_10empty_typeEbEEZZNS1_14partition_implILS8_4ELb0ES6_15HIP_vector_typeIjLj2EENS0_17counting_iteratorIjlEEPS9_SG_NS0_5tupleIJPjSI_NS0_16reverse_iteratorISI_EEEEENSH_IJSG_SG_SG_EEES9_SI_JZNS1_25segmented_radix_sort_implINS0_14default_configELb1EPKaPaPKlPlN2at6native12_GLOBAL__N_18offset_tEEE10hipError_tPvRmT1_PNSt15iterator_traitsIS12_E10value_typeET2_T3_PNS13_IS18_E10value_typeET4_jRbjT5_S1E_jjP12ihipStream_tbEUljE_ZNSN_ISO_Lb1ESQ_SR_ST_SU_SY_EESZ_S10_S11_S12_S16_S17_S18_S1B_S1C_jS1D_jS1E_S1E_jjS1G_bEUljE0_EEESZ_S10_S11_S18_S1C_S1E_T6_T7_T9_mT8_S1G_bDpT10_ENKUlT_T0_E_clISt17integral_constantIbLb1EES1T_IbLb0EEEEDaS1P_S1Q_EUlS1P_E_NS1_11comp_targetILNS1_3genE5ELNS1_11target_archE942ELNS1_3gpuE9ELNS1_3repE0EEENS1_30default_config_static_selectorELNS0_4arch9wavefront6targetE1EEEvS12_.numbered_sgpr, 0
	.set _ZN7rocprim17ROCPRIM_400000_NS6detail17trampoline_kernelINS0_13select_configILj256ELj13ELNS0_17block_load_methodE3ELS4_3ELS4_3ELNS0_20block_scan_algorithmE0ELj4294967295EEENS1_25partition_config_selectorILNS1_17partition_subalgoE4EjNS0_10empty_typeEbEEZZNS1_14partition_implILS8_4ELb0ES6_15HIP_vector_typeIjLj2EENS0_17counting_iteratorIjlEEPS9_SG_NS0_5tupleIJPjSI_NS0_16reverse_iteratorISI_EEEEENSH_IJSG_SG_SG_EEES9_SI_JZNS1_25segmented_radix_sort_implINS0_14default_configELb1EPKaPaPKlPlN2at6native12_GLOBAL__N_18offset_tEEE10hipError_tPvRmT1_PNSt15iterator_traitsIS12_E10value_typeET2_T3_PNS13_IS18_E10value_typeET4_jRbjT5_S1E_jjP12ihipStream_tbEUljE_ZNSN_ISO_Lb1ESQ_SR_ST_SU_SY_EESZ_S10_S11_S12_S16_S17_S18_S1B_S1C_jS1D_jS1E_S1E_jjS1G_bEUljE0_EEESZ_S10_S11_S18_S1C_S1E_T6_T7_T9_mT8_S1G_bDpT10_ENKUlT_T0_E_clISt17integral_constantIbLb1EES1T_IbLb0EEEEDaS1P_S1Q_EUlS1P_E_NS1_11comp_targetILNS1_3genE5ELNS1_11target_archE942ELNS1_3gpuE9ELNS1_3repE0EEENS1_30default_config_static_selectorELNS0_4arch9wavefront6targetE1EEEvS12_.num_named_barrier, 0
	.set _ZN7rocprim17ROCPRIM_400000_NS6detail17trampoline_kernelINS0_13select_configILj256ELj13ELNS0_17block_load_methodE3ELS4_3ELS4_3ELNS0_20block_scan_algorithmE0ELj4294967295EEENS1_25partition_config_selectorILNS1_17partition_subalgoE4EjNS0_10empty_typeEbEEZZNS1_14partition_implILS8_4ELb0ES6_15HIP_vector_typeIjLj2EENS0_17counting_iteratorIjlEEPS9_SG_NS0_5tupleIJPjSI_NS0_16reverse_iteratorISI_EEEEENSH_IJSG_SG_SG_EEES9_SI_JZNS1_25segmented_radix_sort_implINS0_14default_configELb1EPKaPaPKlPlN2at6native12_GLOBAL__N_18offset_tEEE10hipError_tPvRmT1_PNSt15iterator_traitsIS12_E10value_typeET2_T3_PNS13_IS18_E10value_typeET4_jRbjT5_S1E_jjP12ihipStream_tbEUljE_ZNSN_ISO_Lb1ESQ_SR_ST_SU_SY_EESZ_S10_S11_S12_S16_S17_S18_S1B_S1C_jS1D_jS1E_S1E_jjS1G_bEUljE0_EEESZ_S10_S11_S18_S1C_S1E_T6_T7_T9_mT8_S1G_bDpT10_ENKUlT_T0_E_clISt17integral_constantIbLb1EES1T_IbLb0EEEEDaS1P_S1Q_EUlS1P_E_NS1_11comp_targetILNS1_3genE5ELNS1_11target_archE942ELNS1_3gpuE9ELNS1_3repE0EEENS1_30default_config_static_selectorELNS0_4arch9wavefront6targetE1EEEvS12_.private_seg_size, 0
	.set _ZN7rocprim17ROCPRIM_400000_NS6detail17trampoline_kernelINS0_13select_configILj256ELj13ELNS0_17block_load_methodE3ELS4_3ELS4_3ELNS0_20block_scan_algorithmE0ELj4294967295EEENS1_25partition_config_selectorILNS1_17partition_subalgoE4EjNS0_10empty_typeEbEEZZNS1_14partition_implILS8_4ELb0ES6_15HIP_vector_typeIjLj2EENS0_17counting_iteratorIjlEEPS9_SG_NS0_5tupleIJPjSI_NS0_16reverse_iteratorISI_EEEEENSH_IJSG_SG_SG_EEES9_SI_JZNS1_25segmented_radix_sort_implINS0_14default_configELb1EPKaPaPKlPlN2at6native12_GLOBAL__N_18offset_tEEE10hipError_tPvRmT1_PNSt15iterator_traitsIS12_E10value_typeET2_T3_PNS13_IS18_E10value_typeET4_jRbjT5_S1E_jjP12ihipStream_tbEUljE_ZNSN_ISO_Lb1ESQ_SR_ST_SU_SY_EESZ_S10_S11_S12_S16_S17_S18_S1B_S1C_jS1D_jS1E_S1E_jjS1G_bEUljE0_EEESZ_S10_S11_S18_S1C_S1E_T6_T7_T9_mT8_S1G_bDpT10_ENKUlT_T0_E_clISt17integral_constantIbLb1EES1T_IbLb0EEEEDaS1P_S1Q_EUlS1P_E_NS1_11comp_targetILNS1_3genE5ELNS1_11target_archE942ELNS1_3gpuE9ELNS1_3repE0EEENS1_30default_config_static_selectorELNS0_4arch9wavefront6targetE1EEEvS12_.uses_vcc, 0
	.set _ZN7rocprim17ROCPRIM_400000_NS6detail17trampoline_kernelINS0_13select_configILj256ELj13ELNS0_17block_load_methodE3ELS4_3ELS4_3ELNS0_20block_scan_algorithmE0ELj4294967295EEENS1_25partition_config_selectorILNS1_17partition_subalgoE4EjNS0_10empty_typeEbEEZZNS1_14partition_implILS8_4ELb0ES6_15HIP_vector_typeIjLj2EENS0_17counting_iteratorIjlEEPS9_SG_NS0_5tupleIJPjSI_NS0_16reverse_iteratorISI_EEEEENSH_IJSG_SG_SG_EEES9_SI_JZNS1_25segmented_radix_sort_implINS0_14default_configELb1EPKaPaPKlPlN2at6native12_GLOBAL__N_18offset_tEEE10hipError_tPvRmT1_PNSt15iterator_traitsIS12_E10value_typeET2_T3_PNS13_IS18_E10value_typeET4_jRbjT5_S1E_jjP12ihipStream_tbEUljE_ZNSN_ISO_Lb1ESQ_SR_ST_SU_SY_EESZ_S10_S11_S12_S16_S17_S18_S1B_S1C_jS1D_jS1E_S1E_jjS1G_bEUljE0_EEESZ_S10_S11_S18_S1C_S1E_T6_T7_T9_mT8_S1G_bDpT10_ENKUlT_T0_E_clISt17integral_constantIbLb1EES1T_IbLb0EEEEDaS1P_S1Q_EUlS1P_E_NS1_11comp_targetILNS1_3genE5ELNS1_11target_archE942ELNS1_3gpuE9ELNS1_3repE0EEENS1_30default_config_static_selectorELNS0_4arch9wavefront6targetE1EEEvS12_.uses_flat_scratch, 0
	.set _ZN7rocprim17ROCPRIM_400000_NS6detail17trampoline_kernelINS0_13select_configILj256ELj13ELNS0_17block_load_methodE3ELS4_3ELS4_3ELNS0_20block_scan_algorithmE0ELj4294967295EEENS1_25partition_config_selectorILNS1_17partition_subalgoE4EjNS0_10empty_typeEbEEZZNS1_14partition_implILS8_4ELb0ES6_15HIP_vector_typeIjLj2EENS0_17counting_iteratorIjlEEPS9_SG_NS0_5tupleIJPjSI_NS0_16reverse_iteratorISI_EEEEENSH_IJSG_SG_SG_EEES9_SI_JZNS1_25segmented_radix_sort_implINS0_14default_configELb1EPKaPaPKlPlN2at6native12_GLOBAL__N_18offset_tEEE10hipError_tPvRmT1_PNSt15iterator_traitsIS12_E10value_typeET2_T3_PNS13_IS18_E10value_typeET4_jRbjT5_S1E_jjP12ihipStream_tbEUljE_ZNSN_ISO_Lb1ESQ_SR_ST_SU_SY_EESZ_S10_S11_S12_S16_S17_S18_S1B_S1C_jS1D_jS1E_S1E_jjS1G_bEUljE0_EEESZ_S10_S11_S18_S1C_S1E_T6_T7_T9_mT8_S1G_bDpT10_ENKUlT_T0_E_clISt17integral_constantIbLb1EES1T_IbLb0EEEEDaS1P_S1Q_EUlS1P_E_NS1_11comp_targetILNS1_3genE5ELNS1_11target_archE942ELNS1_3gpuE9ELNS1_3repE0EEENS1_30default_config_static_selectorELNS0_4arch9wavefront6targetE1EEEvS12_.has_dyn_sized_stack, 0
	.set _ZN7rocprim17ROCPRIM_400000_NS6detail17trampoline_kernelINS0_13select_configILj256ELj13ELNS0_17block_load_methodE3ELS4_3ELS4_3ELNS0_20block_scan_algorithmE0ELj4294967295EEENS1_25partition_config_selectorILNS1_17partition_subalgoE4EjNS0_10empty_typeEbEEZZNS1_14partition_implILS8_4ELb0ES6_15HIP_vector_typeIjLj2EENS0_17counting_iteratorIjlEEPS9_SG_NS0_5tupleIJPjSI_NS0_16reverse_iteratorISI_EEEEENSH_IJSG_SG_SG_EEES9_SI_JZNS1_25segmented_radix_sort_implINS0_14default_configELb1EPKaPaPKlPlN2at6native12_GLOBAL__N_18offset_tEEE10hipError_tPvRmT1_PNSt15iterator_traitsIS12_E10value_typeET2_T3_PNS13_IS18_E10value_typeET4_jRbjT5_S1E_jjP12ihipStream_tbEUljE_ZNSN_ISO_Lb1ESQ_SR_ST_SU_SY_EESZ_S10_S11_S12_S16_S17_S18_S1B_S1C_jS1D_jS1E_S1E_jjS1G_bEUljE0_EEESZ_S10_S11_S18_S1C_S1E_T6_T7_T9_mT8_S1G_bDpT10_ENKUlT_T0_E_clISt17integral_constantIbLb1EES1T_IbLb0EEEEDaS1P_S1Q_EUlS1P_E_NS1_11comp_targetILNS1_3genE5ELNS1_11target_archE942ELNS1_3gpuE9ELNS1_3repE0EEENS1_30default_config_static_selectorELNS0_4arch9wavefront6targetE1EEEvS12_.has_recursion, 0
	.set _ZN7rocprim17ROCPRIM_400000_NS6detail17trampoline_kernelINS0_13select_configILj256ELj13ELNS0_17block_load_methodE3ELS4_3ELS4_3ELNS0_20block_scan_algorithmE0ELj4294967295EEENS1_25partition_config_selectorILNS1_17partition_subalgoE4EjNS0_10empty_typeEbEEZZNS1_14partition_implILS8_4ELb0ES6_15HIP_vector_typeIjLj2EENS0_17counting_iteratorIjlEEPS9_SG_NS0_5tupleIJPjSI_NS0_16reverse_iteratorISI_EEEEENSH_IJSG_SG_SG_EEES9_SI_JZNS1_25segmented_radix_sort_implINS0_14default_configELb1EPKaPaPKlPlN2at6native12_GLOBAL__N_18offset_tEEE10hipError_tPvRmT1_PNSt15iterator_traitsIS12_E10value_typeET2_T3_PNS13_IS18_E10value_typeET4_jRbjT5_S1E_jjP12ihipStream_tbEUljE_ZNSN_ISO_Lb1ESQ_SR_ST_SU_SY_EESZ_S10_S11_S12_S16_S17_S18_S1B_S1C_jS1D_jS1E_S1E_jjS1G_bEUljE0_EEESZ_S10_S11_S18_S1C_S1E_T6_T7_T9_mT8_S1G_bDpT10_ENKUlT_T0_E_clISt17integral_constantIbLb1EES1T_IbLb0EEEEDaS1P_S1Q_EUlS1P_E_NS1_11comp_targetILNS1_3genE5ELNS1_11target_archE942ELNS1_3gpuE9ELNS1_3repE0EEENS1_30default_config_static_selectorELNS0_4arch9wavefront6targetE1EEEvS12_.has_indirect_call, 0
	.section	.AMDGPU.csdata,"",@progbits
; Kernel info:
; codeLenInByte = 0
; TotalNumSgprs: 4
; NumVgprs: 0
; ScratchSize: 0
; MemoryBound: 0
; FloatMode: 240
; IeeeMode: 1
; LDSByteSize: 0 bytes/workgroup (compile time only)
; SGPRBlocks: 0
; VGPRBlocks: 0
; NumSGPRsForWavesPerEU: 4
; NumVGPRsForWavesPerEU: 1
; Occupancy: 10
; WaveLimiterHint : 0
; COMPUTE_PGM_RSRC2:SCRATCH_EN: 0
; COMPUTE_PGM_RSRC2:USER_SGPR: 6
; COMPUTE_PGM_RSRC2:TRAP_HANDLER: 0
; COMPUTE_PGM_RSRC2:TGID_X_EN: 1
; COMPUTE_PGM_RSRC2:TGID_Y_EN: 0
; COMPUTE_PGM_RSRC2:TGID_Z_EN: 0
; COMPUTE_PGM_RSRC2:TIDIG_COMP_CNT: 0
	.section	.text._ZN7rocprim17ROCPRIM_400000_NS6detail17trampoline_kernelINS0_13select_configILj256ELj13ELNS0_17block_load_methodE3ELS4_3ELS4_3ELNS0_20block_scan_algorithmE0ELj4294967295EEENS1_25partition_config_selectorILNS1_17partition_subalgoE4EjNS0_10empty_typeEbEEZZNS1_14partition_implILS8_4ELb0ES6_15HIP_vector_typeIjLj2EENS0_17counting_iteratorIjlEEPS9_SG_NS0_5tupleIJPjSI_NS0_16reverse_iteratorISI_EEEEENSH_IJSG_SG_SG_EEES9_SI_JZNS1_25segmented_radix_sort_implINS0_14default_configELb1EPKaPaPKlPlN2at6native12_GLOBAL__N_18offset_tEEE10hipError_tPvRmT1_PNSt15iterator_traitsIS12_E10value_typeET2_T3_PNS13_IS18_E10value_typeET4_jRbjT5_S1E_jjP12ihipStream_tbEUljE_ZNSN_ISO_Lb1ESQ_SR_ST_SU_SY_EESZ_S10_S11_S12_S16_S17_S18_S1B_S1C_jS1D_jS1E_S1E_jjS1G_bEUljE0_EEESZ_S10_S11_S18_S1C_S1E_T6_T7_T9_mT8_S1G_bDpT10_ENKUlT_T0_E_clISt17integral_constantIbLb1EES1T_IbLb0EEEEDaS1P_S1Q_EUlS1P_E_NS1_11comp_targetILNS1_3genE4ELNS1_11target_archE910ELNS1_3gpuE8ELNS1_3repE0EEENS1_30default_config_static_selectorELNS0_4arch9wavefront6targetE1EEEvS12_,"axG",@progbits,_ZN7rocprim17ROCPRIM_400000_NS6detail17trampoline_kernelINS0_13select_configILj256ELj13ELNS0_17block_load_methodE3ELS4_3ELS4_3ELNS0_20block_scan_algorithmE0ELj4294967295EEENS1_25partition_config_selectorILNS1_17partition_subalgoE4EjNS0_10empty_typeEbEEZZNS1_14partition_implILS8_4ELb0ES6_15HIP_vector_typeIjLj2EENS0_17counting_iteratorIjlEEPS9_SG_NS0_5tupleIJPjSI_NS0_16reverse_iteratorISI_EEEEENSH_IJSG_SG_SG_EEES9_SI_JZNS1_25segmented_radix_sort_implINS0_14default_configELb1EPKaPaPKlPlN2at6native12_GLOBAL__N_18offset_tEEE10hipError_tPvRmT1_PNSt15iterator_traitsIS12_E10value_typeET2_T3_PNS13_IS18_E10value_typeET4_jRbjT5_S1E_jjP12ihipStream_tbEUljE_ZNSN_ISO_Lb1ESQ_SR_ST_SU_SY_EESZ_S10_S11_S12_S16_S17_S18_S1B_S1C_jS1D_jS1E_S1E_jjS1G_bEUljE0_EEESZ_S10_S11_S18_S1C_S1E_T6_T7_T9_mT8_S1G_bDpT10_ENKUlT_T0_E_clISt17integral_constantIbLb1EES1T_IbLb0EEEEDaS1P_S1Q_EUlS1P_E_NS1_11comp_targetILNS1_3genE4ELNS1_11target_archE910ELNS1_3gpuE8ELNS1_3repE0EEENS1_30default_config_static_selectorELNS0_4arch9wavefront6targetE1EEEvS12_,comdat
	.globl	_ZN7rocprim17ROCPRIM_400000_NS6detail17trampoline_kernelINS0_13select_configILj256ELj13ELNS0_17block_load_methodE3ELS4_3ELS4_3ELNS0_20block_scan_algorithmE0ELj4294967295EEENS1_25partition_config_selectorILNS1_17partition_subalgoE4EjNS0_10empty_typeEbEEZZNS1_14partition_implILS8_4ELb0ES6_15HIP_vector_typeIjLj2EENS0_17counting_iteratorIjlEEPS9_SG_NS0_5tupleIJPjSI_NS0_16reverse_iteratorISI_EEEEENSH_IJSG_SG_SG_EEES9_SI_JZNS1_25segmented_radix_sort_implINS0_14default_configELb1EPKaPaPKlPlN2at6native12_GLOBAL__N_18offset_tEEE10hipError_tPvRmT1_PNSt15iterator_traitsIS12_E10value_typeET2_T3_PNS13_IS18_E10value_typeET4_jRbjT5_S1E_jjP12ihipStream_tbEUljE_ZNSN_ISO_Lb1ESQ_SR_ST_SU_SY_EESZ_S10_S11_S12_S16_S17_S18_S1B_S1C_jS1D_jS1E_S1E_jjS1G_bEUljE0_EEESZ_S10_S11_S18_S1C_S1E_T6_T7_T9_mT8_S1G_bDpT10_ENKUlT_T0_E_clISt17integral_constantIbLb1EES1T_IbLb0EEEEDaS1P_S1Q_EUlS1P_E_NS1_11comp_targetILNS1_3genE4ELNS1_11target_archE910ELNS1_3gpuE8ELNS1_3repE0EEENS1_30default_config_static_selectorELNS0_4arch9wavefront6targetE1EEEvS12_ ; -- Begin function _ZN7rocprim17ROCPRIM_400000_NS6detail17trampoline_kernelINS0_13select_configILj256ELj13ELNS0_17block_load_methodE3ELS4_3ELS4_3ELNS0_20block_scan_algorithmE0ELj4294967295EEENS1_25partition_config_selectorILNS1_17partition_subalgoE4EjNS0_10empty_typeEbEEZZNS1_14partition_implILS8_4ELb0ES6_15HIP_vector_typeIjLj2EENS0_17counting_iteratorIjlEEPS9_SG_NS0_5tupleIJPjSI_NS0_16reverse_iteratorISI_EEEEENSH_IJSG_SG_SG_EEES9_SI_JZNS1_25segmented_radix_sort_implINS0_14default_configELb1EPKaPaPKlPlN2at6native12_GLOBAL__N_18offset_tEEE10hipError_tPvRmT1_PNSt15iterator_traitsIS12_E10value_typeET2_T3_PNS13_IS18_E10value_typeET4_jRbjT5_S1E_jjP12ihipStream_tbEUljE_ZNSN_ISO_Lb1ESQ_SR_ST_SU_SY_EESZ_S10_S11_S12_S16_S17_S18_S1B_S1C_jS1D_jS1E_S1E_jjS1G_bEUljE0_EEESZ_S10_S11_S18_S1C_S1E_T6_T7_T9_mT8_S1G_bDpT10_ENKUlT_T0_E_clISt17integral_constantIbLb1EES1T_IbLb0EEEEDaS1P_S1Q_EUlS1P_E_NS1_11comp_targetILNS1_3genE4ELNS1_11target_archE910ELNS1_3gpuE8ELNS1_3repE0EEENS1_30default_config_static_selectorELNS0_4arch9wavefront6targetE1EEEvS12_
	.p2align	8
	.type	_ZN7rocprim17ROCPRIM_400000_NS6detail17trampoline_kernelINS0_13select_configILj256ELj13ELNS0_17block_load_methodE3ELS4_3ELS4_3ELNS0_20block_scan_algorithmE0ELj4294967295EEENS1_25partition_config_selectorILNS1_17partition_subalgoE4EjNS0_10empty_typeEbEEZZNS1_14partition_implILS8_4ELb0ES6_15HIP_vector_typeIjLj2EENS0_17counting_iteratorIjlEEPS9_SG_NS0_5tupleIJPjSI_NS0_16reverse_iteratorISI_EEEEENSH_IJSG_SG_SG_EEES9_SI_JZNS1_25segmented_radix_sort_implINS0_14default_configELb1EPKaPaPKlPlN2at6native12_GLOBAL__N_18offset_tEEE10hipError_tPvRmT1_PNSt15iterator_traitsIS12_E10value_typeET2_T3_PNS13_IS18_E10value_typeET4_jRbjT5_S1E_jjP12ihipStream_tbEUljE_ZNSN_ISO_Lb1ESQ_SR_ST_SU_SY_EESZ_S10_S11_S12_S16_S17_S18_S1B_S1C_jS1D_jS1E_S1E_jjS1G_bEUljE0_EEESZ_S10_S11_S18_S1C_S1E_T6_T7_T9_mT8_S1G_bDpT10_ENKUlT_T0_E_clISt17integral_constantIbLb1EES1T_IbLb0EEEEDaS1P_S1Q_EUlS1P_E_NS1_11comp_targetILNS1_3genE4ELNS1_11target_archE910ELNS1_3gpuE8ELNS1_3repE0EEENS1_30default_config_static_selectorELNS0_4arch9wavefront6targetE1EEEvS12_,@function
_ZN7rocprim17ROCPRIM_400000_NS6detail17trampoline_kernelINS0_13select_configILj256ELj13ELNS0_17block_load_methodE3ELS4_3ELS4_3ELNS0_20block_scan_algorithmE0ELj4294967295EEENS1_25partition_config_selectorILNS1_17partition_subalgoE4EjNS0_10empty_typeEbEEZZNS1_14partition_implILS8_4ELb0ES6_15HIP_vector_typeIjLj2EENS0_17counting_iteratorIjlEEPS9_SG_NS0_5tupleIJPjSI_NS0_16reverse_iteratorISI_EEEEENSH_IJSG_SG_SG_EEES9_SI_JZNS1_25segmented_radix_sort_implINS0_14default_configELb1EPKaPaPKlPlN2at6native12_GLOBAL__N_18offset_tEEE10hipError_tPvRmT1_PNSt15iterator_traitsIS12_E10value_typeET2_T3_PNS13_IS18_E10value_typeET4_jRbjT5_S1E_jjP12ihipStream_tbEUljE_ZNSN_ISO_Lb1ESQ_SR_ST_SU_SY_EESZ_S10_S11_S12_S16_S17_S18_S1B_S1C_jS1D_jS1E_S1E_jjS1G_bEUljE0_EEESZ_S10_S11_S18_S1C_S1E_T6_T7_T9_mT8_S1G_bDpT10_ENKUlT_T0_E_clISt17integral_constantIbLb1EES1T_IbLb0EEEEDaS1P_S1Q_EUlS1P_E_NS1_11comp_targetILNS1_3genE4ELNS1_11target_archE910ELNS1_3gpuE8ELNS1_3repE0EEENS1_30default_config_static_selectorELNS0_4arch9wavefront6targetE1EEEvS12_: ; @_ZN7rocprim17ROCPRIM_400000_NS6detail17trampoline_kernelINS0_13select_configILj256ELj13ELNS0_17block_load_methodE3ELS4_3ELS4_3ELNS0_20block_scan_algorithmE0ELj4294967295EEENS1_25partition_config_selectorILNS1_17partition_subalgoE4EjNS0_10empty_typeEbEEZZNS1_14partition_implILS8_4ELb0ES6_15HIP_vector_typeIjLj2EENS0_17counting_iteratorIjlEEPS9_SG_NS0_5tupleIJPjSI_NS0_16reverse_iteratorISI_EEEEENSH_IJSG_SG_SG_EEES9_SI_JZNS1_25segmented_radix_sort_implINS0_14default_configELb1EPKaPaPKlPlN2at6native12_GLOBAL__N_18offset_tEEE10hipError_tPvRmT1_PNSt15iterator_traitsIS12_E10value_typeET2_T3_PNS13_IS18_E10value_typeET4_jRbjT5_S1E_jjP12ihipStream_tbEUljE_ZNSN_ISO_Lb1ESQ_SR_ST_SU_SY_EESZ_S10_S11_S12_S16_S17_S18_S1B_S1C_jS1D_jS1E_S1E_jjS1G_bEUljE0_EEESZ_S10_S11_S18_S1C_S1E_T6_T7_T9_mT8_S1G_bDpT10_ENKUlT_T0_E_clISt17integral_constantIbLb1EES1T_IbLb0EEEEDaS1P_S1Q_EUlS1P_E_NS1_11comp_targetILNS1_3genE4ELNS1_11target_archE910ELNS1_3gpuE8ELNS1_3repE0EEENS1_30default_config_static_selectorELNS0_4arch9wavefront6targetE1EEEvS12_
; %bb.0:
	.section	.rodata,"a",@progbits
	.p2align	6, 0x0
	.amdhsa_kernel _ZN7rocprim17ROCPRIM_400000_NS6detail17trampoline_kernelINS0_13select_configILj256ELj13ELNS0_17block_load_methodE3ELS4_3ELS4_3ELNS0_20block_scan_algorithmE0ELj4294967295EEENS1_25partition_config_selectorILNS1_17partition_subalgoE4EjNS0_10empty_typeEbEEZZNS1_14partition_implILS8_4ELb0ES6_15HIP_vector_typeIjLj2EENS0_17counting_iteratorIjlEEPS9_SG_NS0_5tupleIJPjSI_NS0_16reverse_iteratorISI_EEEEENSH_IJSG_SG_SG_EEES9_SI_JZNS1_25segmented_radix_sort_implINS0_14default_configELb1EPKaPaPKlPlN2at6native12_GLOBAL__N_18offset_tEEE10hipError_tPvRmT1_PNSt15iterator_traitsIS12_E10value_typeET2_T3_PNS13_IS18_E10value_typeET4_jRbjT5_S1E_jjP12ihipStream_tbEUljE_ZNSN_ISO_Lb1ESQ_SR_ST_SU_SY_EESZ_S10_S11_S12_S16_S17_S18_S1B_S1C_jS1D_jS1E_S1E_jjS1G_bEUljE0_EEESZ_S10_S11_S18_S1C_S1E_T6_T7_T9_mT8_S1G_bDpT10_ENKUlT_T0_E_clISt17integral_constantIbLb1EES1T_IbLb0EEEEDaS1P_S1Q_EUlS1P_E_NS1_11comp_targetILNS1_3genE4ELNS1_11target_archE910ELNS1_3gpuE8ELNS1_3repE0EEENS1_30default_config_static_selectorELNS0_4arch9wavefront6targetE1EEEvS12_
		.amdhsa_group_segment_fixed_size 0
		.amdhsa_private_segment_fixed_size 0
		.amdhsa_kernarg_size 176
		.amdhsa_user_sgpr_count 6
		.amdhsa_user_sgpr_private_segment_buffer 1
		.amdhsa_user_sgpr_dispatch_ptr 0
		.amdhsa_user_sgpr_queue_ptr 0
		.amdhsa_user_sgpr_kernarg_segment_ptr 1
		.amdhsa_user_sgpr_dispatch_id 0
		.amdhsa_user_sgpr_flat_scratch_init 0
		.amdhsa_user_sgpr_private_segment_size 0
		.amdhsa_uses_dynamic_stack 0
		.amdhsa_system_sgpr_private_segment_wavefront_offset 0
		.amdhsa_system_sgpr_workgroup_id_x 1
		.amdhsa_system_sgpr_workgroup_id_y 0
		.amdhsa_system_sgpr_workgroup_id_z 0
		.amdhsa_system_sgpr_workgroup_info 0
		.amdhsa_system_vgpr_workitem_id 0
		.amdhsa_next_free_vgpr 1
		.amdhsa_next_free_sgpr 0
		.amdhsa_reserve_vcc 0
		.amdhsa_reserve_flat_scratch 0
		.amdhsa_float_round_mode_32 0
		.amdhsa_float_round_mode_16_64 0
		.amdhsa_float_denorm_mode_32 3
		.amdhsa_float_denorm_mode_16_64 3
		.amdhsa_dx10_clamp 1
		.amdhsa_ieee_mode 1
		.amdhsa_fp16_overflow 0
		.amdhsa_exception_fp_ieee_invalid_op 0
		.amdhsa_exception_fp_denorm_src 0
		.amdhsa_exception_fp_ieee_div_zero 0
		.amdhsa_exception_fp_ieee_overflow 0
		.amdhsa_exception_fp_ieee_underflow 0
		.amdhsa_exception_fp_ieee_inexact 0
		.amdhsa_exception_int_div_zero 0
	.end_amdhsa_kernel
	.section	.text._ZN7rocprim17ROCPRIM_400000_NS6detail17trampoline_kernelINS0_13select_configILj256ELj13ELNS0_17block_load_methodE3ELS4_3ELS4_3ELNS0_20block_scan_algorithmE0ELj4294967295EEENS1_25partition_config_selectorILNS1_17partition_subalgoE4EjNS0_10empty_typeEbEEZZNS1_14partition_implILS8_4ELb0ES6_15HIP_vector_typeIjLj2EENS0_17counting_iteratorIjlEEPS9_SG_NS0_5tupleIJPjSI_NS0_16reverse_iteratorISI_EEEEENSH_IJSG_SG_SG_EEES9_SI_JZNS1_25segmented_radix_sort_implINS0_14default_configELb1EPKaPaPKlPlN2at6native12_GLOBAL__N_18offset_tEEE10hipError_tPvRmT1_PNSt15iterator_traitsIS12_E10value_typeET2_T3_PNS13_IS18_E10value_typeET4_jRbjT5_S1E_jjP12ihipStream_tbEUljE_ZNSN_ISO_Lb1ESQ_SR_ST_SU_SY_EESZ_S10_S11_S12_S16_S17_S18_S1B_S1C_jS1D_jS1E_S1E_jjS1G_bEUljE0_EEESZ_S10_S11_S18_S1C_S1E_T6_T7_T9_mT8_S1G_bDpT10_ENKUlT_T0_E_clISt17integral_constantIbLb1EES1T_IbLb0EEEEDaS1P_S1Q_EUlS1P_E_NS1_11comp_targetILNS1_3genE4ELNS1_11target_archE910ELNS1_3gpuE8ELNS1_3repE0EEENS1_30default_config_static_selectorELNS0_4arch9wavefront6targetE1EEEvS12_,"axG",@progbits,_ZN7rocprim17ROCPRIM_400000_NS6detail17trampoline_kernelINS0_13select_configILj256ELj13ELNS0_17block_load_methodE3ELS4_3ELS4_3ELNS0_20block_scan_algorithmE0ELj4294967295EEENS1_25partition_config_selectorILNS1_17partition_subalgoE4EjNS0_10empty_typeEbEEZZNS1_14partition_implILS8_4ELb0ES6_15HIP_vector_typeIjLj2EENS0_17counting_iteratorIjlEEPS9_SG_NS0_5tupleIJPjSI_NS0_16reverse_iteratorISI_EEEEENSH_IJSG_SG_SG_EEES9_SI_JZNS1_25segmented_radix_sort_implINS0_14default_configELb1EPKaPaPKlPlN2at6native12_GLOBAL__N_18offset_tEEE10hipError_tPvRmT1_PNSt15iterator_traitsIS12_E10value_typeET2_T3_PNS13_IS18_E10value_typeET4_jRbjT5_S1E_jjP12ihipStream_tbEUljE_ZNSN_ISO_Lb1ESQ_SR_ST_SU_SY_EESZ_S10_S11_S12_S16_S17_S18_S1B_S1C_jS1D_jS1E_S1E_jjS1G_bEUljE0_EEESZ_S10_S11_S18_S1C_S1E_T6_T7_T9_mT8_S1G_bDpT10_ENKUlT_T0_E_clISt17integral_constantIbLb1EES1T_IbLb0EEEEDaS1P_S1Q_EUlS1P_E_NS1_11comp_targetILNS1_3genE4ELNS1_11target_archE910ELNS1_3gpuE8ELNS1_3repE0EEENS1_30default_config_static_selectorELNS0_4arch9wavefront6targetE1EEEvS12_,comdat
.Lfunc_end244:
	.size	_ZN7rocprim17ROCPRIM_400000_NS6detail17trampoline_kernelINS0_13select_configILj256ELj13ELNS0_17block_load_methodE3ELS4_3ELS4_3ELNS0_20block_scan_algorithmE0ELj4294967295EEENS1_25partition_config_selectorILNS1_17partition_subalgoE4EjNS0_10empty_typeEbEEZZNS1_14partition_implILS8_4ELb0ES6_15HIP_vector_typeIjLj2EENS0_17counting_iteratorIjlEEPS9_SG_NS0_5tupleIJPjSI_NS0_16reverse_iteratorISI_EEEEENSH_IJSG_SG_SG_EEES9_SI_JZNS1_25segmented_radix_sort_implINS0_14default_configELb1EPKaPaPKlPlN2at6native12_GLOBAL__N_18offset_tEEE10hipError_tPvRmT1_PNSt15iterator_traitsIS12_E10value_typeET2_T3_PNS13_IS18_E10value_typeET4_jRbjT5_S1E_jjP12ihipStream_tbEUljE_ZNSN_ISO_Lb1ESQ_SR_ST_SU_SY_EESZ_S10_S11_S12_S16_S17_S18_S1B_S1C_jS1D_jS1E_S1E_jjS1G_bEUljE0_EEESZ_S10_S11_S18_S1C_S1E_T6_T7_T9_mT8_S1G_bDpT10_ENKUlT_T0_E_clISt17integral_constantIbLb1EES1T_IbLb0EEEEDaS1P_S1Q_EUlS1P_E_NS1_11comp_targetILNS1_3genE4ELNS1_11target_archE910ELNS1_3gpuE8ELNS1_3repE0EEENS1_30default_config_static_selectorELNS0_4arch9wavefront6targetE1EEEvS12_, .Lfunc_end244-_ZN7rocprim17ROCPRIM_400000_NS6detail17trampoline_kernelINS0_13select_configILj256ELj13ELNS0_17block_load_methodE3ELS4_3ELS4_3ELNS0_20block_scan_algorithmE0ELj4294967295EEENS1_25partition_config_selectorILNS1_17partition_subalgoE4EjNS0_10empty_typeEbEEZZNS1_14partition_implILS8_4ELb0ES6_15HIP_vector_typeIjLj2EENS0_17counting_iteratorIjlEEPS9_SG_NS0_5tupleIJPjSI_NS0_16reverse_iteratorISI_EEEEENSH_IJSG_SG_SG_EEES9_SI_JZNS1_25segmented_radix_sort_implINS0_14default_configELb1EPKaPaPKlPlN2at6native12_GLOBAL__N_18offset_tEEE10hipError_tPvRmT1_PNSt15iterator_traitsIS12_E10value_typeET2_T3_PNS13_IS18_E10value_typeET4_jRbjT5_S1E_jjP12ihipStream_tbEUljE_ZNSN_ISO_Lb1ESQ_SR_ST_SU_SY_EESZ_S10_S11_S12_S16_S17_S18_S1B_S1C_jS1D_jS1E_S1E_jjS1G_bEUljE0_EEESZ_S10_S11_S18_S1C_S1E_T6_T7_T9_mT8_S1G_bDpT10_ENKUlT_T0_E_clISt17integral_constantIbLb1EES1T_IbLb0EEEEDaS1P_S1Q_EUlS1P_E_NS1_11comp_targetILNS1_3genE4ELNS1_11target_archE910ELNS1_3gpuE8ELNS1_3repE0EEENS1_30default_config_static_selectorELNS0_4arch9wavefront6targetE1EEEvS12_
                                        ; -- End function
	.set _ZN7rocprim17ROCPRIM_400000_NS6detail17trampoline_kernelINS0_13select_configILj256ELj13ELNS0_17block_load_methodE3ELS4_3ELS4_3ELNS0_20block_scan_algorithmE0ELj4294967295EEENS1_25partition_config_selectorILNS1_17partition_subalgoE4EjNS0_10empty_typeEbEEZZNS1_14partition_implILS8_4ELb0ES6_15HIP_vector_typeIjLj2EENS0_17counting_iteratorIjlEEPS9_SG_NS0_5tupleIJPjSI_NS0_16reverse_iteratorISI_EEEEENSH_IJSG_SG_SG_EEES9_SI_JZNS1_25segmented_radix_sort_implINS0_14default_configELb1EPKaPaPKlPlN2at6native12_GLOBAL__N_18offset_tEEE10hipError_tPvRmT1_PNSt15iterator_traitsIS12_E10value_typeET2_T3_PNS13_IS18_E10value_typeET4_jRbjT5_S1E_jjP12ihipStream_tbEUljE_ZNSN_ISO_Lb1ESQ_SR_ST_SU_SY_EESZ_S10_S11_S12_S16_S17_S18_S1B_S1C_jS1D_jS1E_S1E_jjS1G_bEUljE0_EEESZ_S10_S11_S18_S1C_S1E_T6_T7_T9_mT8_S1G_bDpT10_ENKUlT_T0_E_clISt17integral_constantIbLb1EES1T_IbLb0EEEEDaS1P_S1Q_EUlS1P_E_NS1_11comp_targetILNS1_3genE4ELNS1_11target_archE910ELNS1_3gpuE8ELNS1_3repE0EEENS1_30default_config_static_selectorELNS0_4arch9wavefront6targetE1EEEvS12_.num_vgpr, 0
	.set _ZN7rocprim17ROCPRIM_400000_NS6detail17trampoline_kernelINS0_13select_configILj256ELj13ELNS0_17block_load_methodE3ELS4_3ELS4_3ELNS0_20block_scan_algorithmE0ELj4294967295EEENS1_25partition_config_selectorILNS1_17partition_subalgoE4EjNS0_10empty_typeEbEEZZNS1_14partition_implILS8_4ELb0ES6_15HIP_vector_typeIjLj2EENS0_17counting_iteratorIjlEEPS9_SG_NS0_5tupleIJPjSI_NS0_16reverse_iteratorISI_EEEEENSH_IJSG_SG_SG_EEES9_SI_JZNS1_25segmented_radix_sort_implINS0_14default_configELb1EPKaPaPKlPlN2at6native12_GLOBAL__N_18offset_tEEE10hipError_tPvRmT1_PNSt15iterator_traitsIS12_E10value_typeET2_T3_PNS13_IS18_E10value_typeET4_jRbjT5_S1E_jjP12ihipStream_tbEUljE_ZNSN_ISO_Lb1ESQ_SR_ST_SU_SY_EESZ_S10_S11_S12_S16_S17_S18_S1B_S1C_jS1D_jS1E_S1E_jjS1G_bEUljE0_EEESZ_S10_S11_S18_S1C_S1E_T6_T7_T9_mT8_S1G_bDpT10_ENKUlT_T0_E_clISt17integral_constantIbLb1EES1T_IbLb0EEEEDaS1P_S1Q_EUlS1P_E_NS1_11comp_targetILNS1_3genE4ELNS1_11target_archE910ELNS1_3gpuE8ELNS1_3repE0EEENS1_30default_config_static_selectorELNS0_4arch9wavefront6targetE1EEEvS12_.num_agpr, 0
	.set _ZN7rocprim17ROCPRIM_400000_NS6detail17trampoline_kernelINS0_13select_configILj256ELj13ELNS0_17block_load_methodE3ELS4_3ELS4_3ELNS0_20block_scan_algorithmE0ELj4294967295EEENS1_25partition_config_selectorILNS1_17partition_subalgoE4EjNS0_10empty_typeEbEEZZNS1_14partition_implILS8_4ELb0ES6_15HIP_vector_typeIjLj2EENS0_17counting_iteratorIjlEEPS9_SG_NS0_5tupleIJPjSI_NS0_16reverse_iteratorISI_EEEEENSH_IJSG_SG_SG_EEES9_SI_JZNS1_25segmented_radix_sort_implINS0_14default_configELb1EPKaPaPKlPlN2at6native12_GLOBAL__N_18offset_tEEE10hipError_tPvRmT1_PNSt15iterator_traitsIS12_E10value_typeET2_T3_PNS13_IS18_E10value_typeET4_jRbjT5_S1E_jjP12ihipStream_tbEUljE_ZNSN_ISO_Lb1ESQ_SR_ST_SU_SY_EESZ_S10_S11_S12_S16_S17_S18_S1B_S1C_jS1D_jS1E_S1E_jjS1G_bEUljE0_EEESZ_S10_S11_S18_S1C_S1E_T6_T7_T9_mT8_S1G_bDpT10_ENKUlT_T0_E_clISt17integral_constantIbLb1EES1T_IbLb0EEEEDaS1P_S1Q_EUlS1P_E_NS1_11comp_targetILNS1_3genE4ELNS1_11target_archE910ELNS1_3gpuE8ELNS1_3repE0EEENS1_30default_config_static_selectorELNS0_4arch9wavefront6targetE1EEEvS12_.numbered_sgpr, 0
	.set _ZN7rocprim17ROCPRIM_400000_NS6detail17trampoline_kernelINS0_13select_configILj256ELj13ELNS0_17block_load_methodE3ELS4_3ELS4_3ELNS0_20block_scan_algorithmE0ELj4294967295EEENS1_25partition_config_selectorILNS1_17partition_subalgoE4EjNS0_10empty_typeEbEEZZNS1_14partition_implILS8_4ELb0ES6_15HIP_vector_typeIjLj2EENS0_17counting_iteratorIjlEEPS9_SG_NS0_5tupleIJPjSI_NS0_16reverse_iteratorISI_EEEEENSH_IJSG_SG_SG_EEES9_SI_JZNS1_25segmented_radix_sort_implINS0_14default_configELb1EPKaPaPKlPlN2at6native12_GLOBAL__N_18offset_tEEE10hipError_tPvRmT1_PNSt15iterator_traitsIS12_E10value_typeET2_T3_PNS13_IS18_E10value_typeET4_jRbjT5_S1E_jjP12ihipStream_tbEUljE_ZNSN_ISO_Lb1ESQ_SR_ST_SU_SY_EESZ_S10_S11_S12_S16_S17_S18_S1B_S1C_jS1D_jS1E_S1E_jjS1G_bEUljE0_EEESZ_S10_S11_S18_S1C_S1E_T6_T7_T9_mT8_S1G_bDpT10_ENKUlT_T0_E_clISt17integral_constantIbLb1EES1T_IbLb0EEEEDaS1P_S1Q_EUlS1P_E_NS1_11comp_targetILNS1_3genE4ELNS1_11target_archE910ELNS1_3gpuE8ELNS1_3repE0EEENS1_30default_config_static_selectorELNS0_4arch9wavefront6targetE1EEEvS12_.num_named_barrier, 0
	.set _ZN7rocprim17ROCPRIM_400000_NS6detail17trampoline_kernelINS0_13select_configILj256ELj13ELNS0_17block_load_methodE3ELS4_3ELS4_3ELNS0_20block_scan_algorithmE0ELj4294967295EEENS1_25partition_config_selectorILNS1_17partition_subalgoE4EjNS0_10empty_typeEbEEZZNS1_14partition_implILS8_4ELb0ES6_15HIP_vector_typeIjLj2EENS0_17counting_iteratorIjlEEPS9_SG_NS0_5tupleIJPjSI_NS0_16reverse_iteratorISI_EEEEENSH_IJSG_SG_SG_EEES9_SI_JZNS1_25segmented_radix_sort_implINS0_14default_configELb1EPKaPaPKlPlN2at6native12_GLOBAL__N_18offset_tEEE10hipError_tPvRmT1_PNSt15iterator_traitsIS12_E10value_typeET2_T3_PNS13_IS18_E10value_typeET4_jRbjT5_S1E_jjP12ihipStream_tbEUljE_ZNSN_ISO_Lb1ESQ_SR_ST_SU_SY_EESZ_S10_S11_S12_S16_S17_S18_S1B_S1C_jS1D_jS1E_S1E_jjS1G_bEUljE0_EEESZ_S10_S11_S18_S1C_S1E_T6_T7_T9_mT8_S1G_bDpT10_ENKUlT_T0_E_clISt17integral_constantIbLb1EES1T_IbLb0EEEEDaS1P_S1Q_EUlS1P_E_NS1_11comp_targetILNS1_3genE4ELNS1_11target_archE910ELNS1_3gpuE8ELNS1_3repE0EEENS1_30default_config_static_selectorELNS0_4arch9wavefront6targetE1EEEvS12_.private_seg_size, 0
	.set _ZN7rocprim17ROCPRIM_400000_NS6detail17trampoline_kernelINS0_13select_configILj256ELj13ELNS0_17block_load_methodE3ELS4_3ELS4_3ELNS0_20block_scan_algorithmE0ELj4294967295EEENS1_25partition_config_selectorILNS1_17partition_subalgoE4EjNS0_10empty_typeEbEEZZNS1_14partition_implILS8_4ELb0ES6_15HIP_vector_typeIjLj2EENS0_17counting_iteratorIjlEEPS9_SG_NS0_5tupleIJPjSI_NS0_16reverse_iteratorISI_EEEEENSH_IJSG_SG_SG_EEES9_SI_JZNS1_25segmented_radix_sort_implINS0_14default_configELb1EPKaPaPKlPlN2at6native12_GLOBAL__N_18offset_tEEE10hipError_tPvRmT1_PNSt15iterator_traitsIS12_E10value_typeET2_T3_PNS13_IS18_E10value_typeET4_jRbjT5_S1E_jjP12ihipStream_tbEUljE_ZNSN_ISO_Lb1ESQ_SR_ST_SU_SY_EESZ_S10_S11_S12_S16_S17_S18_S1B_S1C_jS1D_jS1E_S1E_jjS1G_bEUljE0_EEESZ_S10_S11_S18_S1C_S1E_T6_T7_T9_mT8_S1G_bDpT10_ENKUlT_T0_E_clISt17integral_constantIbLb1EES1T_IbLb0EEEEDaS1P_S1Q_EUlS1P_E_NS1_11comp_targetILNS1_3genE4ELNS1_11target_archE910ELNS1_3gpuE8ELNS1_3repE0EEENS1_30default_config_static_selectorELNS0_4arch9wavefront6targetE1EEEvS12_.uses_vcc, 0
	.set _ZN7rocprim17ROCPRIM_400000_NS6detail17trampoline_kernelINS0_13select_configILj256ELj13ELNS0_17block_load_methodE3ELS4_3ELS4_3ELNS0_20block_scan_algorithmE0ELj4294967295EEENS1_25partition_config_selectorILNS1_17partition_subalgoE4EjNS0_10empty_typeEbEEZZNS1_14partition_implILS8_4ELb0ES6_15HIP_vector_typeIjLj2EENS0_17counting_iteratorIjlEEPS9_SG_NS0_5tupleIJPjSI_NS0_16reverse_iteratorISI_EEEEENSH_IJSG_SG_SG_EEES9_SI_JZNS1_25segmented_radix_sort_implINS0_14default_configELb1EPKaPaPKlPlN2at6native12_GLOBAL__N_18offset_tEEE10hipError_tPvRmT1_PNSt15iterator_traitsIS12_E10value_typeET2_T3_PNS13_IS18_E10value_typeET4_jRbjT5_S1E_jjP12ihipStream_tbEUljE_ZNSN_ISO_Lb1ESQ_SR_ST_SU_SY_EESZ_S10_S11_S12_S16_S17_S18_S1B_S1C_jS1D_jS1E_S1E_jjS1G_bEUljE0_EEESZ_S10_S11_S18_S1C_S1E_T6_T7_T9_mT8_S1G_bDpT10_ENKUlT_T0_E_clISt17integral_constantIbLb1EES1T_IbLb0EEEEDaS1P_S1Q_EUlS1P_E_NS1_11comp_targetILNS1_3genE4ELNS1_11target_archE910ELNS1_3gpuE8ELNS1_3repE0EEENS1_30default_config_static_selectorELNS0_4arch9wavefront6targetE1EEEvS12_.uses_flat_scratch, 0
	.set _ZN7rocprim17ROCPRIM_400000_NS6detail17trampoline_kernelINS0_13select_configILj256ELj13ELNS0_17block_load_methodE3ELS4_3ELS4_3ELNS0_20block_scan_algorithmE0ELj4294967295EEENS1_25partition_config_selectorILNS1_17partition_subalgoE4EjNS0_10empty_typeEbEEZZNS1_14partition_implILS8_4ELb0ES6_15HIP_vector_typeIjLj2EENS0_17counting_iteratorIjlEEPS9_SG_NS0_5tupleIJPjSI_NS0_16reverse_iteratorISI_EEEEENSH_IJSG_SG_SG_EEES9_SI_JZNS1_25segmented_radix_sort_implINS0_14default_configELb1EPKaPaPKlPlN2at6native12_GLOBAL__N_18offset_tEEE10hipError_tPvRmT1_PNSt15iterator_traitsIS12_E10value_typeET2_T3_PNS13_IS18_E10value_typeET4_jRbjT5_S1E_jjP12ihipStream_tbEUljE_ZNSN_ISO_Lb1ESQ_SR_ST_SU_SY_EESZ_S10_S11_S12_S16_S17_S18_S1B_S1C_jS1D_jS1E_S1E_jjS1G_bEUljE0_EEESZ_S10_S11_S18_S1C_S1E_T6_T7_T9_mT8_S1G_bDpT10_ENKUlT_T0_E_clISt17integral_constantIbLb1EES1T_IbLb0EEEEDaS1P_S1Q_EUlS1P_E_NS1_11comp_targetILNS1_3genE4ELNS1_11target_archE910ELNS1_3gpuE8ELNS1_3repE0EEENS1_30default_config_static_selectorELNS0_4arch9wavefront6targetE1EEEvS12_.has_dyn_sized_stack, 0
	.set _ZN7rocprim17ROCPRIM_400000_NS6detail17trampoline_kernelINS0_13select_configILj256ELj13ELNS0_17block_load_methodE3ELS4_3ELS4_3ELNS0_20block_scan_algorithmE0ELj4294967295EEENS1_25partition_config_selectorILNS1_17partition_subalgoE4EjNS0_10empty_typeEbEEZZNS1_14partition_implILS8_4ELb0ES6_15HIP_vector_typeIjLj2EENS0_17counting_iteratorIjlEEPS9_SG_NS0_5tupleIJPjSI_NS0_16reverse_iteratorISI_EEEEENSH_IJSG_SG_SG_EEES9_SI_JZNS1_25segmented_radix_sort_implINS0_14default_configELb1EPKaPaPKlPlN2at6native12_GLOBAL__N_18offset_tEEE10hipError_tPvRmT1_PNSt15iterator_traitsIS12_E10value_typeET2_T3_PNS13_IS18_E10value_typeET4_jRbjT5_S1E_jjP12ihipStream_tbEUljE_ZNSN_ISO_Lb1ESQ_SR_ST_SU_SY_EESZ_S10_S11_S12_S16_S17_S18_S1B_S1C_jS1D_jS1E_S1E_jjS1G_bEUljE0_EEESZ_S10_S11_S18_S1C_S1E_T6_T7_T9_mT8_S1G_bDpT10_ENKUlT_T0_E_clISt17integral_constantIbLb1EES1T_IbLb0EEEEDaS1P_S1Q_EUlS1P_E_NS1_11comp_targetILNS1_3genE4ELNS1_11target_archE910ELNS1_3gpuE8ELNS1_3repE0EEENS1_30default_config_static_selectorELNS0_4arch9wavefront6targetE1EEEvS12_.has_recursion, 0
	.set _ZN7rocprim17ROCPRIM_400000_NS6detail17trampoline_kernelINS0_13select_configILj256ELj13ELNS0_17block_load_methodE3ELS4_3ELS4_3ELNS0_20block_scan_algorithmE0ELj4294967295EEENS1_25partition_config_selectorILNS1_17partition_subalgoE4EjNS0_10empty_typeEbEEZZNS1_14partition_implILS8_4ELb0ES6_15HIP_vector_typeIjLj2EENS0_17counting_iteratorIjlEEPS9_SG_NS0_5tupleIJPjSI_NS0_16reverse_iteratorISI_EEEEENSH_IJSG_SG_SG_EEES9_SI_JZNS1_25segmented_radix_sort_implINS0_14default_configELb1EPKaPaPKlPlN2at6native12_GLOBAL__N_18offset_tEEE10hipError_tPvRmT1_PNSt15iterator_traitsIS12_E10value_typeET2_T3_PNS13_IS18_E10value_typeET4_jRbjT5_S1E_jjP12ihipStream_tbEUljE_ZNSN_ISO_Lb1ESQ_SR_ST_SU_SY_EESZ_S10_S11_S12_S16_S17_S18_S1B_S1C_jS1D_jS1E_S1E_jjS1G_bEUljE0_EEESZ_S10_S11_S18_S1C_S1E_T6_T7_T9_mT8_S1G_bDpT10_ENKUlT_T0_E_clISt17integral_constantIbLb1EES1T_IbLb0EEEEDaS1P_S1Q_EUlS1P_E_NS1_11comp_targetILNS1_3genE4ELNS1_11target_archE910ELNS1_3gpuE8ELNS1_3repE0EEENS1_30default_config_static_selectorELNS0_4arch9wavefront6targetE1EEEvS12_.has_indirect_call, 0
	.section	.AMDGPU.csdata,"",@progbits
; Kernel info:
; codeLenInByte = 0
; TotalNumSgprs: 4
; NumVgprs: 0
; ScratchSize: 0
; MemoryBound: 0
; FloatMode: 240
; IeeeMode: 1
; LDSByteSize: 0 bytes/workgroup (compile time only)
; SGPRBlocks: 0
; VGPRBlocks: 0
; NumSGPRsForWavesPerEU: 4
; NumVGPRsForWavesPerEU: 1
; Occupancy: 10
; WaveLimiterHint : 0
; COMPUTE_PGM_RSRC2:SCRATCH_EN: 0
; COMPUTE_PGM_RSRC2:USER_SGPR: 6
; COMPUTE_PGM_RSRC2:TRAP_HANDLER: 0
; COMPUTE_PGM_RSRC2:TGID_X_EN: 1
; COMPUTE_PGM_RSRC2:TGID_Y_EN: 0
; COMPUTE_PGM_RSRC2:TGID_Z_EN: 0
; COMPUTE_PGM_RSRC2:TIDIG_COMP_CNT: 0
	.section	.text._ZN7rocprim17ROCPRIM_400000_NS6detail17trampoline_kernelINS0_13select_configILj256ELj13ELNS0_17block_load_methodE3ELS4_3ELS4_3ELNS0_20block_scan_algorithmE0ELj4294967295EEENS1_25partition_config_selectorILNS1_17partition_subalgoE4EjNS0_10empty_typeEbEEZZNS1_14partition_implILS8_4ELb0ES6_15HIP_vector_typeIjLj2EENS0_17counting_iteratorIjlEEPS9_SG_NS0_5tupleIJPjSI_NS0_16reverse_iteratorISI_EEEEENSH_IJSG_SG_SG_EEES9_SI_JZNS1_25segmented_radix_sort_implINS0_14default_configELb1EPKaPaPKlPlN2at6native12_GLOBAL__N_18offset_tEEE10hipError_tPvRmT1_PNSt15iterator_traitsIS12_E10value_typeET2_T3_PNS13_IS18_E10value_typeET4_jRbjT5_S1E_jjP12ihipStream_tbEUljE_ZNSN_ISO_Lb1ESQ_SR_ST_SU_SY_EESZ_S10_S11_S12_S16_S17_S18_S1B_S1C_jS1D_jS1E_S1E_jjS1G_bEUljE0_EEESZ_S10_S11_S18_S1C_S1E_T6_T7_T9_mT8_S1G_bDpT10_ENKUlT_T0_E_clISt17integral_constantIbLb1EES1T_IbLb0EEEEDaS1P_S1Q_EUlS1P_E_NS1_11comp_targetILNS1_3genE3ELNS1_11target_archE908ELNS1_3gpuE7ELNS1_3repE0EEENS1_30default_config_static_selectorELNS0_4arch9wavefront6targetE1EEEvS12_,"axG",@progbits,_ZN7rocprim17ROCPRIM_400000_NS6detail17trampoline_kernelINS0_13select_configILj256ELj13ELNS0_17block_load_methodE3ELS4_3ELS4_3ELNS0_20block_scan_algorithmE0ELj4294967295EEENS1_25partition_config_selectorILNS1_17partition_subalgoE4EjNS0_10empty_typeEbEEZZNS1_14partition_implILS8_4ELb0ES6_15HIP_vector_typeIjLj2EENS0_17counting_iteratorIjlEEPS9_SG_NS0_5tupleIJPjSI_NS0_16reverse_iteratorISI_EEEEENSH_IJSG_SG_SG_EEES9_SI_JZNS1_25segmented_radix_sort_implINS0_14default_configELb1EPKaPaPKlPlN2at6native12_GLOBAL__N_18offset_tEEE10hipError_tPvRmT1_PNSt15iterator_traitsIS12_E10value_typeET2_T3_PNS13_IS18_E10value_typeET4_jRbjT5_S1E_jjP12ihipStream_tbEUljE_ZNSN_ISO_Lb1ESQ_SR_ST_SU_SY_EESZ_S10_S11_S12_S16_S17_S18_S1B_S1C_jS1D_jS1E_S1E_jjS1G_bEUljE0_EEESZ_S10_S11_S18_S1C_S1E_T6_T7_T9_mT8_S1G_bDpT10_ENKUlT_T0_E_clISt17integral_constantIbLb1EES1T_IbLb0EEEEDaS1P_S1Q_EUlS1P_E_NS1_11comp_targetILNS1_3genE3ELNS1_11target_archE908ELNS1_3gpuE7ELNS1_3repE0EEENS1_30default_config_static_selectorELNS0_4arch9wavefront6targetE1EEEvS12_,comdat
	.globl	_ZN7rocprim17ROCPRIM_400000_NS6detail17trampoline_kernelINS0_13select_configILj256ELj13ELNS0_17block_load_methodE3ELS4_3ELS4_3ELNS0_20block_scan_algorithmE0ELj4294967295EEENS1_25partition_config_selectorILNS1_17partition_subalgoE4EjNS0_10empty_typeEbEEZZNS1_14partition_implILS8_4ELb0ES6_15HIP_vector_typeIjLj2EENS0_17counting_iteratorIjlEEPS9_SG_NS0_5tupleIJPjSI_NS0_16reverse_iteratorISI_EEEEENSH_IJSG_SG_SG_EEES9_SI_JZNS1_25segmented_radix_sort_implINS0_14default_configELb1EPKaPaPKlPlN2at6native12_GLOBAL__N_18offset_tEEE10hipError_tPvRmT1_PNSt15iterator_traitsIS12_E10value_typeET2_T3_PNS13_IS18_E10value_typeET4_jRbjT5_S1E_jjP12ihipStream_tbEUljE_ZNSN_ISO_Lb1ESQ_SR_ST_SU_SY_EESZ_S10_S11_S12_S16_S17_S18_S1B_S1C_jS1D_jS1E_S1E_jjS1G_bEUljE0_EEESZ_S10_S11_S18_S1C_S1E_T6_T7_T9_mT8_S1G_bDpT10_ENKUlT_T0_E_clISt17integral_constantIbLb1EES1T_IbLb0EEEEDaS1P_S1Q_EUlS1P_E_NS1_11comp_targetILNS1_3genE3ELNS1_11target_archE908ELNS1_3gpuE7ELNS1_3repE0EEENS1_30default_config_static_selectorELNS0_4arch9wavefront6targetE1EEEvS12_ ; -- Begin function _ZN7rocprim17ROCPRIM_400000_NS6detail17trampoline_kernelINS0_13select_configILj256ELj13ELNS0_17block_load_methodE3ELS4_3ELS4_3ELNS0_20block_scan_algorithmE0ELj4294967295EEENS1_25partition_config_selectorILNS1_17partition_subalgoE4EjNS0_10empty_typeEbEEZZNS1_14partition_implILS8_4ELb0ES6_15HIP_vector_typeIjLj2EENS0_17counting_iteratorIjlEEPS9_SG_NS0_5tupleIJPjSI_NS0_16reverse_iteratorISI_EEEEENSH_IJSG_SG_SG_EEES9_SI_JZNS1_25segmented_radix_sort_implINS0_14default_configELb1EPKaPaPKlPlN2at6native12_GLOBAL__N_18offset_tEEE10hipError_tPvRmT1_PNSt15iterator_traitsIS12_E10value_typeET2_T3_PNS13_IS18_E10value_typeET4_jRbjT5_S1E_jjP12ihipStream_tbEUljE_ZNSN_ISO_Lb1ESQ_SR_ST_SU_SY_EESZ_S10_S11_S12_S16_S17_S18_S1B_S1C_jS1D_jS1E_S1E_jjS1G_bEUljE0_EEESZ_S10_S11_S18_S1C_S1E_T6_T7_T9_mT8_S1G_bDpT10_ENKUlT_T0_E_clISt17integral_constantIbLb1EES1T_IbLb0EEEEDaS1P_S1Q_EUlS1P_E_NS1_11comp_targetILNS1_3genE3ELNS1_11target_archE908ELNS1_3gpuE7ELNS1_3repE0EEENS1_30default_config_static_selectorELNS0_4arch9wavefront6targetE1EEEvS12_
	.p2align	8
	.type	_ZN7rocprim17ROCPRIM_400000_NS6detail17trampoline_kernelINS0_13select_configILj256ELj13ELNS0_17block_load_methodE3ELS4_3ELS4_3ELNS0_20block_scan_algorithmE0ELj4294967295EEENS1_25partition_config_selectorILNS1_17partition_subalgoE4EjNS0_10empty_typeEbEEZZNS1_14partition_implILS8_4ELb0ES6_15HIP_vector_typeIjLj2EENS0_17counting_iteratorIjlEEPS9_SG_NS0_5tupleIJPjSI_NS0_16reverse_iteratorISI_EEEEENSH_IJSG_SG_SG_EEES9_SI_JZNS1_25segmented_radix_sort_implINS0_14default_configELb1EPKaPaPKlPlN2at6native12_GLOBAL__N_18offset_tEEE10hipError_tPvRmT1_PNSt15iterator_traitsIS12_E10value_typeET2_T3_PNS13_IS18_E10value_typeET4_jRbjT5_S1E_jjP12ihipStream_tbEUljE_ZNSN_ISO_Lb1ESQ_SR_ST_SU_SY_EESZ_S10_S11_S12_S16_S17_S18_S1B_S1C_jS1D_jS1E_S1E_jjS1G_bEUljE0_EEESZ_S10_S11_S18_S1C_S1E_T6_T7_T9_mT8_S1G_bDpT10_ENKUlT_T0_E_clISt17integral_constantIbLb1EES1T_IbLb0EEEEDaS1P_S1Q_EUlS1P_E_NS1_11comp_targetILNS1_3genE3ELNS1_11target_archE908ELNS1_3gpuE7ELNS1_3repE0EEENS1_30default_config_static_selectorELNS0_4arch9wavefront6targetE1EEEvS12_,@function
_ZN7rocprim17ROCPRIM_400000_NS6detail17trampoline_kernelINS0_13select_configILj256ELj13ELNS0_17block_load_methodE3ELS4_3ELS4_3ELNS0_20block_scan_algorithmE0ELj4294967295EEENS1_25partition_config_selectorILNS1_17partition_subalgoE4EjNS0_10empty_typeEbEEZZNS1_14partition_implILS8_4ELb0ES6_15HIP_vector_typeIjLj2EENS0_17counting_iteratorIjlEEPS9_SG_NS0_5tupleIJPjSI_NS0_16reverse_iteratorISI_EEEEENSH_IJSG_SG_SG_EEES9_SI_JZNS1_25segmented_radix_sort_implINS0_14default_configELb1EPKaPaPKlPlN2at6native12_GLOBAL__N_18offset_tEEE10hipError_tPvRmT1_PNSt15iterator_traitsIS12_E10value_typeET2_T3_PNS13_IS18_E10value_typeET4_jRbjT5_S1E_jjP12ihipStream_tbEUljE_ZNSN_ISO_Lb1ESQ_SR_ST_SU_SY_EESZ_S10_S11_S12_S16_S17_S18_S1B_S1C_jS1D_jS1E_S1E_jjS1G_bEUljE0_EEESZ_S10_S11_S18_S1C_S1E_T6_T7_T9_mT8_S1G_bDpT10_ENKUlT_T0_E_clISt17integral_constantIbLb1EES1T_IbLb0EEEEDaS1P_S1Q_EUlS1P_E_NS1_11comp_targetILNS1_3genE3ELNS1_11target_archE908ELNS1_3gpuE7ELNS1_3repE0EEENS1_30default_config_static_selectorELNS0_4arch9wavefront6targetE1EEEvS12_: ; @_ZN7rocprim17ROCPRIM_400000_NS6detail17trampoline_kernelINS0_13select_configILj256ELj13ELNS0_17block_load_methodE3ELS4_3ELS4_3ELNS0_20block_scan_algorithmE0ELj4294967295EEENS1_25partition_config_selectorILNS1_17partition_subalgoE4EjNS0_10empty_typeEbEEZZNS1_14partition_implILS8_4ELb0ES6_15HIP_vector_typeIjLj2EENS0_17counting_iteratorIjlEEPS9_SG_NS0_5tupleIJPjSI_NS0_16reverse_iteratorISI_EEEEENSH_IJSG_SG_SG_EEES9_SI_JZNS1_25segmented_radix_sort_implINS0_14default_configELb1EPKaPaPKlPlN2at6native12_GLOBAL__N_18offset_tEEE10hipError_tPvRmT1_PNSt15iterator_traitsIS12_E10value_typeET2_T3_PNS13_IS18_E10value_typeET4_jRbjT5_S1E_jjP12ihipStream_tbEUljE_ZNSN_ISO_Lb1ESQ_SR_ST_SU_SY_EESZ_S10_S11_S12_S16_S17_S18_S1B_S1C_jS1D_jS1E_S1E_jjS1G_bEUljE0_EEESZ_S10_S11_S18_S1C_S1E_T6_T7_T9_mT8_S1G_bDpT10_ENKUlT_T0_E_clISt17integral_constantIbLb1EES1T_IbLb0EEEEDaS1P_S1Q_EUlS1P_E_NS1_11comp_targetILNS1_3genE3ELNS1_11target_archE908ELNS1_3gpuE7ELNS1_3repE0EEENS1_30default_config_static_selectorELNS0_4arch9wavefront6targetE1EEEvS12_
; %bb.0:
	.section	.rodata,"a",@progbits
	.p2align	6, 0x0
	.amdhsa_kernel _ZN7rocprim17ROCPRIM_400000_NS6detail17trampoline_kernelINS0_13select_configILj256ELj13ELNS0_17block_load_methodE3ELS4_3ELS4_3ELNS0_20block_scan_algorithmE0ELj4294967295EEENS1_25partition_config_selectorILNS1_17partition_subalgoE4EjNS0_10empty_typeEbEEZZNS1_14partition_implILS8_4ELb0ES6_15HIP_vector_typeIjLj2EENS0_17counting_iteratorIjlEEPS9_SG_NS0_5tupleIJPjSI_NS0_16reverse_iteratorISI_EEEEENSH_IJSG_SG_SG_EEES9_SI_JZNS1_25segmented_radix_sort_implINS0_14default_configELb1EPKaPaPKlPlN2at6native12_GLOBAL__N_18offset_tEEE10hipError_tPvRmT1_PNSt15iterator_traitsIS12_E10value_typeET2_T3_PNS13_IS18_E10value_typeET4_jRbjT5_S1E_jjP12ihipStream_tbEUljE_ZNSN_ISO_Lb1ESQ_SR_ST_SU_SY_EESZ_S10_S11_S12_S16_S17_S18_S1B_S1C_jS1D_jS1E_S1E_jjS1G_bEUljE0_EEESZ_S10_S11_S18_S1C_S1E_T6_T7_T9_mT8_S1G_bDpT10_ENKUlT_T0_E_clISt17integral_constantIbLb1EES1T_IbLb0EEEEDaS1P_S1Q_EUlS1P_E_NS1_11comp_targetILNS1_3genE3ELNS1_11target_archE908ELNS1_3gpuE7ELNS1_3repE0EEENS1_30default_config_static_selectorELNS0_4arch9wavefront6targetE1EEEvS12_
		.amdhsa_group_segment_fixed_size 0
		.amdhsa_private_segment_fixed_size 0
		.amdhsa_kernarg_size 176
		.amdhsa_user_sgpr_count 6
		.amdhsa_user_sgpr_private_segment_buffer 1
		.amdhsa_user_sgpr_dispatch_ptr 0
		.amdhsa_user_sgpr_queue_ptr 0
		.amdhsa_user_sgpr_kernarg_segment_ptr 1
		.amdhsa_user_sgpr_dispatch_id 0
		.amdhsa_user_sgpr_flat_scratch_init 0
		.amdhsa_user_sgpr_private_segment_size 0
		.amdhsa_uses_dynamic_stack 0
		.amdhsa_system_sgpr_private_segment_wavefront_offset 0
		.amdhsa_system_sgpr_workgroup_id_x 1
		.amdhsa_system_sgpr_workgroup_id_y 0
		.amdhsa_system_sgpr_workgroup_id_z 0
		.amdhsa_system_sgpr_workgroup_info 0
		.amdhsa_system_vgpr_workitem_id 0
		.amdhsa_next_free_vgpr 1
		.amdhsa_next_free_sgpr 0
		.amdhsa_reserve_vcc 0
		.amdhsa_reserve_flat_scratch 0
		.amdhsa_float_round_mode_32 0
		.amdhsa_float_round_mode_16_64 0
		.amdhsa_float_denorm_mode_32 3
		.amdhsa_float_denorm_mode_16_64 3
		.amdhsa_dx10_clamp 1
		.amdhsa_ieee_mode 1
		.amdhsa_fp16_overflow 0
		.amdhsa_exception_fp_ieee_invalid_op 0
		.amdhsa_exception_fp_denorm_src 0
		.amdhsa_exception_fp_ieee_div_zero 0
		.amdhsa_exception_fp_ieee_overflow 0
		.amdhsa_exception_fp_ieee_underflow 0
		.amdhsa_exception_fp_ieee_inexact 0
		.amdhsa_exception_int_div_zero 0
	.end_amdhsa_kernel
	.section	.text._ZN7rocprim17ROCPRIM_400000_NS6detail17trampoline_kernelINS0_13select_configILj256ELj13ELNS0_17block_load_methodE3ELS4_3ELS4_3ELNS0_20block_scan_algorithmE0ELj4294967295EEENS1_25partition_config_selectorILNS1_17partition_subalgoE4EjNS0_10empty_typeEbEEZZNS1_14partition_implILS8_4ELb0ES6_15HIP_vector_typeIjLj2EENS0_17counting_iteratorIjlEEPS9_SG_NS0_5tupleIJPjSI_NS0_16reverse_iteratorISI_EEEEENSH_IJSG_SG_SG_EEES9_SI_JZNS1_25segmented_radix_sort_implINS0_14default_configELb1EPKaPaPKlPlN2at6native12_GLOBAL__N_18offset_tEEE10hipError_tPvRmT1_PNSt15iterator_traitsIS12_E10value_typeET2_T3_PNS13_IS18_E10value_typeET4_jRbjT5_S1E_jjP12ihipStream_tbEUljE_ZNSN_ISO_Lb1ESQ_SR_ST_SU_SY_EESZ_S10_S11_S12_S16_S17_S18_S1B_S1C_jS1D_jS1E_S1E_jjS1G_bEUljE0_EEESZ_S10_S11_S18_S1C_S1E_T6_T7_T9_mT8_S1G_bDpT10_ENKUlT_T0_E_clISt17integral_constantIbLb1EES1T_IbLb0EEEEDaS1P_S1Q_EUlS1P_E_NS1_11comp_targetILNS1_3genE3ELNS1_11target_archE908ELNS1_3gpuE7ELNS1_3repE0EEENS1_30default_config_static_selectorELNS0_4arch9wavefront6targetE1EEEvS12_,"axG",@progbits,_ZN7rocprim17ROCPRIM_400000_NS6detail17trampoline_kernelINS0_13select_configILj256ELj13ELNS0_17block_load_methodE3ELS4_3ELS4_3ELNS0_20block_scan_algorithmE0ELj4294967295EEENS1_25partition_config_selectorILNS1_17partition_subalgoE4EjNS0_10empty_typeEbEEZZNS1_14partition_implILS8_4ELb0ES6_15HIP_vector_typeIjLj2EENS0_17counting_iteratorIjlEEPS9_SG_NS0_5tupleIJPjSI_NS0_16reverse_iteratorISI_EEEEENSH_IJSG_SG_SG_EEES9_SI_JZNS1_25segmented_radix_sort_implINS0_14default_configELb1EPKaPaPKlPlN2at6native12_GLOBAL__N_18offset_tEEE10hipError_tPvRmT1_PNSt15iterator_traitsIS12_E10value_typeET2_T3_PNS13_IS18_E10value_typeET4_jRbjT5_S1E_jjP12ihipStream_tbEUljE_ZNSN_ISO_Lb1ESQ_SR_ST_SU_SY_EESZ_S10_S11_S12_S16_S17_S18_S1B_S1C_jS1D_jS1E_S1E_jjS1G_bEUljE0_EEESZ_S10_S11_S18_S1C_S1E_T6_T7_T9_mT8_S1G_bDpT10_ENKUlT_T0_E_clISt17integral_constantIbLb1EES1T_IbLb0EEEEDaS1P_S1Q_EUlS1P_E_NS1_11comp_targetILNS1_3genE3ELNS1_11target_archE908ELNS1_3gpuE7ELNS1_3repE0EEENS1_30default_config_static_selectorELNS0_4arch9wavefront6targetE1EEEvS12_,comdat
.Lfunc_end245:
	.size	_ZN7rocprim17ROCPRIM_400000_NS6detail17trampoline_kernelINS0_13select_configILj256ELj13ELNS0_17block_load_methodE3ELS4_3ELS4_3ELNS0_20block_scan_algorithmE0ELj4294967295EEENS1_25partition_config_selectorILNS1_17partition_subalgoE4EjNS0_10empty_typeEbEEZZNS1_14partition_implILS8_4ELb0ES6_15HIP_vector_typeIjLj2EENS0_17counting_iteratorIjlEEPS9_SG_NS0_5tupleIJPjSI_NS0_16reverse_iteratorISI_EEEEENSH_IJSG_SG_SG_EEES9_SI_JZNS1_25segmented_radix_sort_implINS0_14default_configELb1EPKaPaPKlPlN2at6native12_GLOBAL__N_18offset_tEEE10hipError_tPvRmT1_PNSt15iterator_traitsIS12_E10value_typeET2_T3_PNS13_IS18_E10value_typeET4_jRbjT5_S1E_jjP12ihipStream_tbEUljE_ZNSN_ISO_Lb1ESQ_SR_ST_SU_SY_EESZ_S10_S11_S12_S16_S17_S18_S1B_S1C_jS1D_jS1E_S1E_jjS1G_bEUljE0_EEESZ_S10_S11_S18_S1C_S1E_T6_T7_T9_mT8_S1G_bDpT10_ENKUlT_T0_E_clISt17integral_constantIbLb1EES1T_IbLb0EEEEDaS1P_S1Q_EUlS1P_E_NS1_11comp_targetILNS1_3genE3ELNS1_11target_archE908ELNS1_3gpuE7ELNS1_3repE0EEENS1_30default_config_static_selectorELNS0_4arch9wavefront6targetE1EEEvS12_, .Lfunc_end245-_ZN7rocprim17ROCPRIM_400000_NS6detail17trampoline_kernelINS0_13select_configILj256ELj13ELNS0_17block_load_methodE3ELS4_3ELS4_3ELNS0_20block_scan_algorithmE0ELj4294967295EEENS1_25partition_config_selectorILNS1_17partition_subalgoE4EjNS0_10empty_typeEbEEZZNS1_14partition_implILS8_4ELb0ES6_15HIP_vector_typeIjLj2EENS0_17counting_iteratorIjlEEPS9_SG_NS0_5tupleIJPjSI_NS0_16reverse_iteratorISI_EEEEENSH_IJSG_SG_SG_EEES9_SI_JZNS1_25segmented_radix_sort_implINS0_14default_configELb1EPKaPaPKlPlN2at6native12_GLOBAL__N_18offset_tEEE10hipError_tPvRmT1_PNSt15iterator_traitsIS12_E10value_typeET2_T3_PNS13_IS18_E10value_typeET4_jRbjT5_S1E_jjP12ihipStream_tbEUljE_ZNSN_ISO_Lb1ESQ_SR_ST_SU_SY_EESZ_S10_S11_S12_S16_S17_S18_S1B_S1C_jS1D_jS1E_S1E_jjS1G_bEUljE0_EEESZ_S10_S11_S18_S1C_S1E_T6_T7_T9_mT8_S1G_bDpT10_ENKUlT_T0_E_clISt17integral_constantIbLb1EES1T_IbLb0EEEEDaS1P_S1Q_EUlS1P_E_NS1_11comp_targetILNS1_3genE3ELNS1_11target_archE908ELNS1_3gpuE7ELNS1_3repE0EEENS1_30default_config_static_selectorELNS0_4arch9wavefront6targetE1EEEvS12_
                                        ; -- End function
	.set _ZN7rocprim17ROCPRIM_400000_NS6detail17trampoline_kernelINS0_13select_configILj256ELj13ELNS0_17block_load_methodE3ELS4_3ELS4_3ELNS0_20block_scan_algorithmE0ELj4294967295EEENS1_25partition_config_selectorILNS1_17partition_subalgoE4EjNS0_10empty_typeEbEEZZNS1_14partition_implILS8_4ELb0ES6_15HIP_vector_typeIjLj2EENS0_17counting_iteratorIjlEEPS9_SG_NS0_5tupleIJPjSI_NS0_16reverse_iteratorISI_EEEEENSH_IJSG_SG_SG_EEES9_SI_JZNS1_25segmented_radix_sort_implINS0_14default_configELb1EPKaPaPKlPlN2at6native12_GLOBAL__N_18offset_tEEE10hipError_tPvRmT1_PNSt15iterator_traitsIS12_E10value_typeET2_T3_PNS13_IS18_E10value_typeET4_jRbjT5_S1E_jjP12ihipStream_tbEUljE_ZNSN_ISO_Lb1ESQ_SR_ST_SU_SY_EESZ_S10_S11_S12_S16_S17_S18_S1B_S1C_jS1D_jS1E_S1E_jjS1G_bEUljE0_EEESZ_S10_S11_S18_S1C_S1E_T6_T7_T9_mT8_S1G_bDpT10_ENKUlT_T0_E_clISt17integral_constantIbLb1EES1T_IbLb0EEEEDaS1P_S1Q_EUlS1P_E_NS1_11comp_targetILNS1_3genE3ELNS1_11target_archE908ELNS1_3gpuE7ELNS1_3repE0EEENS1_30default_config_static_selectorELNS0_4arch9wavefront6targetE1EEEvS12_.num_vgpr, 0
	.set _ZN7rocprim17ROCPRIM_400000_NS6detail17trampoline_kernelINS0_13select_configILj256ELj13ELNS0_17block_load_methodE3ELS4_3ELS4_3ELNS0_20block_scan_algorithmE0ELj4294967295EEENS1_25partition_config_selectorILNS1_17partition_subalgoE4EjNS0_10empty_typeEbEEZZNS1_14partition_implILS8_4ELb0ES6_15HIP_vector_typeIjLj2EENS0_17counting_iteratorIjlEEPS9_SG_NS0_5tupleIJPjSI_NS0_16reverse_iteratorISI_EEEEENSH_IJSG_SG_SG_EEES9_SI_JZNS1_25segmented_radix_sort_implINS0_14default_configELb1EPKaPaPKlPlN2at6native12_GLOBAL__N_18offset_tEEE10hipError_tPvRmT1_PNSt15iterator_traitsIS12_E10value_typeET2_T3_PNS13_IS18_E10value_typeET4_jRbjT5_S1E_jjP12ihipStream_tbEUljE_ZNSN_ISO_Lb1ESQ_SR_ST_SU_SY_EESZ_S10_S11_S12_S16_S17_S18_S1B_S1C_jS1D_jS1E_S1E_jjS1G_bEUljE0_EEESZ_S10_S11_S18_S1C_S1E_T6_T7_T9_mT8_S1G_bDpT10_ENKUlT_T0_E_clISt17integral_constantIbLb1EES1T_IbLb0EEEEDaS1P_S1Q_EUlS1P_E_NS1_11comp_targetILNS1_3genE3ELNS1_11target_archE908ELNS1_3gpuE7ELNS1_3repE0EEENS1_30default_config_static_selectorELNS0_4arch9wavefront6targetE1EEEvS12_.num_agpr, 0
	.set _ZN7rocprim17ROCPRIM_400000_NS6detail17trampoline_kernelINS0_13select_configILj256ELj13ELNS0_17block_load_methodE3ELS4_3ELS4_3ELNS0_20block_scan_algorithmE0ELj4294967295EEENS1_25partition_config_selectorILNS1_17partition_subalgoE4EjNS0_10empty_typeEbEEZZNS1_14partition_implILS8_4ELb0ES6_15HIP_vector_typeIjLj2EENS0_17counting_iteratorIjlEEPS9_SG_NS0_5tupleIJPjSI_NS0_16reverse_iteratorISI_EEEEENSH_IJSG_SG_SG_EEES9_SI_JZNS1_25segmented_radix_sort_implINS0_14default_configELb1EPKaPaPKlPlN2at6native12_GLOBAL__N_18offset_tEEE10hipError_tPvRmT1_PNSt15iterator_traitsIS12_E10value_typeET2_T3_PNS13_IS18_E10value_typeET4_jRbjT5_S1E_jjP12ihipStream_tbEUljE_ZNSN_ISO_Lb1ESQ_SR_ST_SU_SY_EESZ_S10_S11_S12_S16_S17_S18_S1B_S1C_jS1D_jS1E_S1E_jjS1G_bEUljE0_EEESZ_S10_S11_S18_S1C_S1E_T6_T7_T9_mT8_S1G_bDpT10_ENKUlT_T0_E_clISt17integral_constantIbLb1EES1T_IbLb0EEEEDaS1P_S1Q_EUlS1P_E_NS1_11comp_targetILNS1_3genE3ELNS1_11target_archE908ELNS1_3gpuE7ELNS1_3repE0EEENS1_30default_config_static_selectorELNS0_4arch9wavefront6targetE1EEEvS12_.numbered_sgpr, 0
	.set _ZN7rocprim17ROCPRIM_400000_NS6detail17trampoline_kernelINS0_13select_configILj256ELj13ELNS0_17block_load_methodE3ELS4_3ELS4_3ELNS0_20block_scan_algorithmE0ELj4294967295EEENS1_25partition_config_selectorILNS1_17partition_subalgoE4EjNS0_10empty_typeEbEEZZNS1_14partition_implILS8_4ELb0ES6_15HIP_vector_typeIjLj2EENS0_17counting_iteratorIjlEEPS9_SG_NS0_5tupleIJPjSI_NS0_16reverse_iteratorISI_EEEEENSH_IJSG_SG_SG_EEES9_SI_JZNS1_25segmented_radix_sort_implINS0_14default_configELb1EPKaPaPKlPlN2at6native12_GLOBAL__N_18offset_tEEE10hipError_tPvRmT1_PNSt15iterator_traitsIS12_E10value_typeET2_T3_PNS13_IS18_E10value_typeET4_jRbjT5_S1E_jjP12ihipStream_tbEUljE_ZNSN_ISO_Lb1ESQ_SR_ST_SU_SY_EESZ_S10_S11_S12_S16_S17_S18_S1B_S1C_jS1D_jS1E_S1E_jjS1G_bEUljE0_EEESZ_S10_S11_S18_S1C_S1E_T6_T7_T9_mT8_S1G_bDpT10_ENKUlT_T0_E_clISt17integral_constantIbLb1EES1T_IbLb0EEEEDaS1P_S1Q_EUlS1P_E_NS1_11comp_targetILNS1_3genE3ELNS1_11target_archE908ELNS1_3gpuE7ELNS1_3repE0EEENS1_30default_config_static_selectorELNS0_4arch9wavefront6targetE1EEEvS12_.num_named_barrier, 0
	.set _ZN7rocprim17ROCPRIM_400000_NS6detail17trampoline_kernelINS0_13select_configILj256ELj13ELNS0_17block_load_methodE3ELS4_3ELS4_3ELNS0_20block_scan_algorithmE0ELj4294967295EEENS1_25partition_config_selectorILNS1_17partition_subalgoE4EjNS0_10empty_typeEbEEZZNS1_14partition_implILS8_4ELb0ES6_15HIP_vector_typeIjLj2EENS0_17counting_iteratorIjlEEPS9_SG_NS0_5tupleIJPjSI_NS0_16reverse_iteratorISI_EEEEENSH_IJSG_SG_SG_EEES9_SI_JZNS1_25segmented_radix_sort_implINS0_14default_configELb1EPKaPaPKlPlN2at6native12_GLOBAL__N_18offset_tEEE10hipError_tPvRmT1_PNSt15iterator_traitsIS12_E10value_typeET2_T3_PNS13_IS18_E10value_typeET4_jRbjT5_S1E_jjP12ihipStream_tbEUljE_ZNSN_ISO_Lb1ESQ_SR_ST_SU_SY_EESZ_S10_S11_S12_S16_S17_S18_S1B_S1C_jS1D_jS1E_S1E_jjS1G_bEUljE0_EEESZ_S10_S11_S18_S1C_S1E_T6_T7_T9_mT8_S1G_bDpT10_ENKUlT_T0_E_clISt17integral_constantIbLb1EES1T_IbLb0EEEEDaS1P_S1Q_EUlS1P_E_NS1_11comp_targetILNS1_3genE3ELNS1_11target_archE908ELNS1_3gpuE7ELNS1_3repE0EEENS1_30default_config_static_selectorELNS0_4arch9wavefront6targetE1EEEvS12_.private_seg_size, 0
	.set _ZN7rocprim17ROCPRIM_400000_NS6detail17trampoline_kernelINS0_13select_configILj256ELj13ELNS0_17block_load_methodE3ELS4_3ELS4_3ELNS0_20block_scan_algorithmE0ELj4294967295EEENS1_25partition_config_selectorILNS1_17partition_subalgoE4EjNS0_10empty_typeEbEEZZNS1_14partition_implILS8_4ELb0ES6_15HIP_vector_typeIjLj2EENS0_17counting_iteratorIjlEEPS9_SG_NS0_5tupleIJPjSI_NS0_16reverse_iteratorISI_EEEEENSH_IJSG_SG_SG_EEES9_SI_JZNS1_25segmented_radix_sort_implINS0_14default_configELb1EPKaPaPKlPlN2at6native12_GLOBAL__N_18offset_tEEE10hipError_tPvRmT1_PNSt15iterator_traitsIS12_E10value_typeET2_T3_PNS13_IS18_E10value_typeET4_jRbjT5_S1E_jjP12ihipStream_tbEUljE_ZNSN_ISO_Lb1ESQ_SR_ST_SU_SY_EESZ_S10_S11_S12_S16_S17_S18_S1B_S1C_jS1D_jS1E_S1E_jjS1G_bEUljE0_EEESZ_S10_S11_S18_S1C_S1E_T6_T7_T9_mT8_S1G_bDpT10_ENKUlT_T0_E_clISt17integral_constantIbLb1EES1T_IbLb0EEEEDaS1P_S1Q_EUlS1P_E_NS1_11comp_targetILNS1_3genE3ELNS1_11target_archE908ELNS1_3gpuE7ELNS1_3repE0EEENS1_30default_config_static_selectorELNS0_4arch9wavefront6targetE1EEEvS12_.uses_vcc, 0
	.set _ZN7rocprim17ROCPRIM_400000_NS6detail17trampoline_kernelINS0_13select_configILj256ELj13ELNS0_17block_load_methodE3ELS4_3ELS4_3ELNS0_20block_scan_algorithmE0ELj4294967295EEENS1_25partition_config_selectorILNS1_17partition_subalgoE4EjNS0_10empty_typeEbEEZZNS1_14partition_implILS8_4ELb0ES6_15HIP_vector_typeIjLj2EENS0_17counting_iteratorIjlEEPS9_SG_NS0_5tupleIJPjSI_NS0_16reverse_iteratorISI_EEEEENSH_IJSG_SG_SG_EEES9_SI_JZNS1_25segmented_radix_sort_implINS0_14default_configELb1EPKaPaPKlPlN2at6native12_GLOBAL__N_18offset_tEEE10hipError_tPvRmT1_PNSt15iterator_traitsIS12_E10value_typeET2_T3_PNS13_IS18_E10value_typeET4_jRbjT5_S1E_jjP12ihipStream_tbEUljE_ZNSN_ISO_Lb1ESQ_SR_ST_SU_SY_EESZ_S10_S11_S12_S16_S17_S18_S1B_S1C_jS1D_jS1E_S1E_jjS1G_bEUljE0_EEESZ_S10_S11_S18_S1C_S1E_T6_T7_T9_mT8_S1G_bDpT10_ENKUlT_T0_E_clISt17integral_constantIbLb1EES1T_IbLb0EEEEDaS1P_S1Q_EUlS1P_E_NS1_11comp_targetILNS1_3genE3ELNS1_11target_archE908ELNS1_3gpuE7ELNS1_3repE0EEENS1_30default_config_static_selectorELNS0_4arch9wavefront6targetE1EEEvS12_.uses_flat_scratch, 0
	.set _ZN7rocprim17ROCPRIM_400000_NS6detail17trampoline_kernelINS0_13select_configILj256ELj13ELNS0_17block_load_methodE3ELS4_3ELS4_3ELNS0_20block_scan_algorithmE0ELj4294967295EEENS1_25partition_config_selectorILNS1_17partition_subalgoE4EjNS0_10empty_typeEbEEZZNS1_14partition_implILS8_4ELb0ES6_15HIP_vector_typeIjLj2EENS0_17counting_iteratorIjlEEPS9_SG_NS0_5tupleIJPjSI_NS0_16reverse_iteratorISI_EEEEENSH_IJSG_SG_SG_EEES9_SI_JZNS1_25segmented_radix_sort_implINS0_14default_configELb1EPKaPaPKlPlN2at6native12_GLOBAL__N_18offset_tEEE10hipError_tPvRmT1_PNSt15iterator_traitsIS12_E10value_typeET2_T3_PNS13_IS18_E10value_typeET4_jRbjT5_S1E_jjP12ihipStream_tbEUljE_ZNSN_ISO_Lb1ESQ_SR_ST_SU_SY_EESZ_S10_S11_S12_S16_S17_S18_S1B_S1C_jS1D_jS1E_S1E_jjS1G_bEUljE0_EEESZ_S10_S11_S18_S1C_S1E_T6_T7_T9_mT8_S1G_bDpT10_ENKUlT_T0_E_clISt17integral_constantIbLb1EES1T_IbLb0EEEEDaS1P_S1Q_EUlS1P_E_NS1_11comp_targetILNS1_3genE3ELNS1_11target_archE908ELNS1_3gpuE7ELNS1_3repE0EEENS1_30default_config_static_selectorELNS0_4arch9wavefront6targetE1EEEvS12_.has_dyn_sized_stack, 0
	.set _ZN7rocprim17ROCPRIM_400000_NS6detail17trampoline_kernelINS0_13select_configILj256ELj13ELNS0_17block_load_methodE3ELS4_3ELS4_3ELNS0_20block_scan_algorithmE0ELj4294967295EEENS1_25partition_config_selectorILNS1_17partition_subalgoE4EjNS0_10empty_typeEbEEZZNS1_14partition_implILS8_4ELb0ES6_15HIP_vector_typeIjLj2EENS0_17counting_iteratorIjlEEPS9_SG_NS0_5tupleIJPjSI_NS0_16reverse_iteratorISI_EEEEENSH_IJSG_SG_SG_EEES9_SI_JZNS1_25segmented_radix_sort_implINS0_14default_configELb1EPKaPaPKlPlN2at6native12_GLOBAL__N_18offset_tEEE10hipError_tPvRmT1_PNSt15iterator_traitsIS12_E10value_typeET2_T3_PNS13_IS18_E10value_typeET4_jRbjT5_S1E_jjP12ihipStream_tbEUljE_ZNSN_ISO_Lb1ESQ_SR_ST_SU_SY_EESZ_S10_S11_S12_S16_S17_S18_S1B_S1C_jS1D_jS1E_S1E_jjS1G_bEUljE0_EEESZ_S10_S11_S18_S1C_S1E_T6_T7_T9_mT8_S1G_bDpT10_ENKUlT_T0_E_clISt17integral_constantIbLb1EES1T_IbLb0EEEEDaS1P_S1Q_EUlS1P_E_NS1_11comp_targetILNS1_3genE3ELNS1_11target_archE908ELNS1_3gpuE7ELNS1_3repE0EEENS1_30default_config_static_selectorELNS0_4arch9wavefront6targetE1EEEvS12_.has_recursion, 0
	.set _ZN7rocprim17ROCPRIM_400000_NS6detail17trampoline_kernelINS0_13select_configILj256ELj13ELNS0_17block_load_methodE3ELS4_3ELS4_3ELNS0_20block_scan_algorithmE0ELj4294967295EEENS1_25partition_config_selectorILNS1_17partition_subalgoE4EjNS0_10empty_typeEbEEZZNS1_14partition_implILS8_4ELb0ES6_15HIP_vector_typeIjLj2EENS0_17counting_iteratorIjlEEPS9_SG_NS0_5tupleIJPjSI_NS0_16reverse_iteratorISI_EEEEENSH_IJSG_SG_SG_EEES9_SI_JZNS1_25segmented_radix_sort_implINS0_14default_configELb1EPKaPaPKlPlN2at6native12_GLOBAL__N_18offset_tEEE10hipError_tPvRmT1_PNSt15iterator_traitsIS12_E10value_typeET2_T3_PNS13_IS18_E10value_typeET4_jRbjT5_S1E_jjP12ihipStream_tbEUljE_ZNSN_ISO_Lb1ESQ_SR_ST_SU_SY_EESZ_S10_S11_S12_S16_S17_S18_S1B_S1C_jS1D_jS1E_S1E_jjS1G_bEUljE0_EEESZ_S10_S11_S18_S1C_S1E_T6_T7_T9_mT8_S1G_bDpT10_ENKUlT_T0_E_clISt17integral_constantIbLb1EES1T_IbLb0EEEEDaS1P_S1Q_EUlS1P_E_NS1_11comp_targetILNS1_3genE3ELNS1_11target_archE908ELNS1_3gpuE7ELNS1_3repE0EEENS1_30default_config_static_selectorELNS0_4arch9wavefront6targetE1EEEvS12_.has_indirect_call, 0
	.section	.AMDGPU.csdata,"",@progbits
; Kernel info:
; codeLenInByte = 0
; TotalNumSgprs: 4
; NumVgprs: 0
; ScratchSize: 0
; MemoryBound: 0
; FloatMode: 240
; IeeeMode: 1
; LDSByteSize: 0 bytes/workgroup (compile time only)
; SGPRBlocks: 0
; VGPRBlocks: 0
; NumSGPRsForWavesPerEU: 4
; NumVGPRsForWavesPerEU: 1
; Occupancy: 10
; WaveLimiterHint : 0
; COMPUTE_PGM_RSRC2:SCRATCH_EN: 0
; COMPUTE_PGM_RSRC2:USER_SGPR: 6
; COMPUTE_PGM_RSRC2:TRAP_HANDLER: 0
; COMPUTE_PGM_RSRC2:TGID_X_EN: 1
; COMPUTE_PGM_RSRC2:TGID_Y_EN: 0
; COMPUTE_PGM_RSRC2:TGID_Z_EN: 0
; COMPUTE_PGM_RSRC2:TIDIG_COMP_CNT: 0
	.section	.text._ZN7rocprim17ROCPRIM_400000_NS6detail17trampoline_kernelINS0_13select_configILj256ELj13ELNS0_17block_load_methodE3ELS4_3ELS4_3ELNS0_20block_scan_algorithmE0ELj4294967295EEENS1_25partition_config_selectorILNS1_17partition_subalgoE4EjNS0_10empty_typeEbEEZZNS1_14partition_implILS8_4ELb0ES6_15HIP_vector_typeIjLj2EENS0_17counting_iteratorIjlEEPS9_SG_NS0_5tupleIJPjSI_NS0_16reverse_iteratorISI_EEEEENSH_IJSG_SG_SG_EEES9_SI_JZNS1_25segmented_radix_sort_implINS0_14default_configELb1EPKaPaPKlPlN2at6native12_GLOBAL__N_18offset_tEEE10hipError_tPvRmT1_PNSt15iterator_traitsIS12_E10value_typeET2_T3_PNS13_IS18_E10value_typeET4_jRbjT5_S1E_jjP12ihipStream_tbEUljE_ZNSN_ISO_Lb1ESQ_SR_ST_SU_SY_EESZ_S10_S11_S12_S16_S17_S18_S1B_S1C_jS1D_jS1E_S1E_jjS1G_bEUljE0_EEESZ_S10_S11_S18_S1C_S1E_T6_T7_T9_mT8_S1G_bDpT10_ENKUlT_T0_E_clISt17integral_constantIbLb1EES1T_IbLb0EEEEDaS1P_S1Q_EUlS1P_E_NS1_11comp_targetILNS1_3genE2ELNS1_11target_archE906ELNS1_3gpuE6ELNS1_3repE0EEENS1_30default_config_static_selectorELNS0_4arch9wavefront6targetE1EEEvS12_,"axG",@progbits,_ZN7rocprim17ROCPRIM_400000_NS6detail17trampoline_kernelINS0_13select_configILj256ELj13ELNS0_17block_load_methodE3ELS4_3ELS4_3ELNS0_20block_scan_algorithmE0ELj4294967295EEENS1_25partition_config_selectorILNS1_17partition_subalgoE4EjNS0_10empty_typeEbEEZZNS1_14partition_implILS8_4ELb0ES6_15HIP_vector_typeIjLj2EENS0_17counting_iteratorIjlEEPS9_SG_NS0_5tupleIJPjSI_NS0_16reverse_iteratorISI_EEEEENSH_IJSG_SG_SG_EEES9_SI_JZNS1_25segmented_radix_sort_implINS0_14default_configELb1EPKaPaPKlPlN2at6native12_GLOBAL__N_18offset_tEEE10hipError_tPvRmT1_PNSt15iterator_traitsIS12_E10value_typeET2_T3_PNS13_IS18_E10value_typeET4_jRbjT5_S1E_jjP12ihipStream_tbEUljE_ZNSN_ISO_Lb1ESQ_SR_ST_SU_SY_EESZ_S10_S11_S12_S16_S17_S18_S1B_S1C_jS1D_jS1E_S1E_jjS1G_bEUljE0_EEESZ_S10_S11_S18_S1C_S1E_T6_T7_T9_mT8_S1G_bDpT10_ENKUlT_T0_E_clISt17integral_constantIbLb1EES1T_IbLb0EEEEDaS1P_S1Q_EUlS1P_E_NS1_11comp_targetILNS1_3genE2ELNS1_11target_archE906ELNS1_3gpuE6ELNS1_3repE0EEENS1_30default_config_static_selectorELNS0_4arch9wavefront6targetE1EEEvS12_,comdat
	.globl	_ZN7rocprim17ROCPRIM_400000_NS6detail17trampoline_kernelINS0_13select_configILj256ELj13ELNS0_17block_load_methodE3ELS4_3ELS4_3ELNS0_20block_scan_algorithmE0ELj4294967295EEENS1_25partition_config_selectorILNS1_17partition_subalgoE4EjNS0_10empty_typeEbEEZZNS1_14partition_implILS8_4ELb0ES6_15HIP_vector_typeIjLj2EENS0_17counting_iteratorIjlEEPS9_SG_NS0_5tupleIJPjSI_NS0_16reverse_iteratorISI_EEEEENSH_IJSG_SG_SG_EEES9_SI_JZNS1_25segmented_radix_sort_implINS0_14default_configELb1EPKaPaPKlPlN2at6native12_GLOBAL__N_18offset_tEEE10hipError_tPvRmT1_PNSt15iterator_traitsIS12_E10value_typeET2_T3_PNS13_IS18_E10value_typeET4_jRbjT5_S1E_jjP12ihipStream_tbEUljE_ZNSN_ISO_Lb1ESQ_SR_ST_SU_SY_EESZ_S10_S11_S12_S16_S17_S18_S1B_S1C_jS1D_jS1E_S1E_jjS1G_bEUljE0_EEESZ_S10_S11_S18_S1C_S1E_T6_T7_T9_mT8_S1G_bDpT10_ENKUlT_T0_E_clISt17integral_constantIbLb1EES1T_IbLb0EEEEDaS1P_S1Q_EUlS1P_E_NS1_11comp_targetILNS1_3genE2ELNS1_11target_archE906ELNS1_3gpuE6ELNS1_3repE0EEENS1_30default_config_static_selectorELNS0_4arch9wavefront6targetE1EEEvS12_ ; -- Begin function _ZN7rocprim17ROCPRIM_400000_NS6detail17trampoline_kernelINS0_13select_configILj256ELj13ELNS0_17block_load_methodE3ELS4_3ELS4_3ELNS0_20block_scan_algorithmE0ELj4294967295EEENS1_25partition_config_selectorILNS1_17partition_subalgoE4EjNS0_10empty_typeEbEEZZNS1_14partition_implILS8_4ELb0ES6_15HIP_vector_typeIjLj2EENS0_17counting_iteratorIjlEEPS9_SG_NS0_5tupleIJPjSI_NS0_16reverse_iteratorISI_EEEEENSH_IJSG_SG_SG_EEES9_SI_JZNS1_25segmented_radix_sort_implINS0_14default_configELb1EPKaPaPKlPlN2at6native12_GLOBAL__N_18offset_tEEE10hipError_tPvRmT1_PNSt15iterator_traitsIS12_E10value_typeET2_T3_PNS13_IS18_E10value_typeET4_jRbjT5_S1E_jjP12ihipStream_tbEUljE_ZNSN_ISO_Lb1ESQ_SR_ST_SU_SY_EESZ_S10_S11_S12_S16_S17_S18_S1B_S1C_jS1D_jS1E_S1E_jjS1G_bEUljE0_EEESZ_S10_S11_S18_S1C_S1E_T6_T7_T9_mT8_S1G_bDpT10_ENKUlT_T0_E_clISt17integral_constantIbLb1EES1T_IbLb0EEEEDaS1P_S1Q_EUlS1P_E_NS1_11comp_targetILNS1_3genE2ELNS1_11target_archE906ELNS1_3gpuE6ELNS1_3repE0EEENS1_30default_config_static_selectorELNS0_4arch9wavefront6targetE1EEEvS12_
	.p2align	8
	.type	_ZN7rocprim17ROCPRIM_400000_NS6detail17trampoline_kernelINS0_13select_configILj256ELj13ELNS0_17block_load_methodE3ELS4_3ELS4_3ELNS0_20block_scan_algorithmE0ELj4294967295EEENS1_25partition_config_selectorILNS1_17partition_subalgoE4EjNS0_10empty_typeEbEEZZNS1_14partition_implILS8_4ELb0ES6_15HIP_vector_typeIjLj2EENS0_17counting_iteratorIjlEEPS9_SG_NS0_5tupleIJPjSI_NS0_16reverse_iteratorISI_EEEEENSH_IJSG_SG_SG_EEES9_SI_JZNS1_25segmented_radix_sort_implINS0_14default_configELb1EPKaPaPKlPlN2at6native12_GLOBAL__N_18offset_tEEE10hipError_tPvRmT1_PNSt15iterator_traitsIS12_E10value_typeET2_T3_PNS13_IS18_E10value_typeET4_jRbjT5_S1E_jjP12ihipStream_tbEUljE_ZNSN_ISO_Lb1ESQ_SR_ST_SU_SY_EESZ_S10_S11_S12_S16_S17_S18_S1B_S1C_jS1D_jS1E_S1E_jjS1G_bEUljE0_EEESZ_S10_S11_S18_S1C_S1E_T6_T7_T9_mT8_S1G_bDpT10_ENKUlT_T0_E_clISt17integral_constantIbLb1EES1T_IbLb0EEEEDaS1P_S1Q_EUlS1P_E_NS1_11comp_targetILNS1_3genE2ELNS1_11target_archE906ELNS1_3gpuE6ELNS1_3repE0EEENS1_30default_config_static_selectorELNS0_4arch9wavefront6targetE1EEEvS12_,@function
_ZN7rocprim17ROCPRIM_400000_NS6detail17trampoline_kernelINS0_13select_configILj256ELj13ELNS0_17block_load_methodE3ELS4_3ELS4_3ELNS0_20block_scan_algorithmE0ELj4294967295EEENS1_25partition_config_selectorILNS1_17partition_subalgoE4EjNS0_10empty_typeEbEEZZNS1_14partition_implILS8_4ELb0ES6_15HIP_vector_typeIjLj2EENS0_17counting_iteratorIjlEEPS9_SG_NS0_5tupleIJPjSI_NS0_16reverse_iteratorISI_EEEEENSH_IJSG_SG_SG_EEES9_SI_JZNS1_25segmented_radix_sort_implINS0_14default_configELb1EPKaPaPKlPlN2at6native12_GLOBAL__N_18offset_tEEE10hipError_tPvRmT1_PNSt15iterator_traitsIS12_E10value_typeET2_T3_PNS13_IS18_E10value_typeET4_jRbjT5_S1E_jjP12ihipStream_tbEUljE_ZNSN_ISO_Lb1ESQ_SR_ST_SU_SY_EESZ_S10_S11_S12_S16_S17_S18_S1B_S1C_jS1D_jS1E_S1E_jjS1G_bEUljE0_EEESZ_S10_S11_S18_S1C_S1E_T6_T7_T9_mT8_S1G_bDpT10_ENKUlT_T0_E_clISt17integral_constantIbLb1EES1T_IbLb0EEEEDaS1P_S1Q_EUlS1P_E_NS1_11comp_targetILNS1_3genE2ELNS1_11target_archE906ELNS1_3gpuE6ELNS1_3repE0EEENS1_30default_config_static_selectorELNS0_4arch9wavefront6targetE1EEEvS12_: ; @_ZN7rocprim17ROCPRIM_400000_NS6detail17trampoline_kernelINS0_13select_configILj256ELj13ELNS0_17block_load_methodE3ELS4_3ELS4_3ELNS0_20block_scan_algorithmE0ELj4294967295EEENS1_25partition_config_selectorILNS1_17partition_subalgoE4EjNS0_10empty_typeEbEEZZNS1_14partition_implILS8_4ELb0ES6_15HIP_vector_typeIjLj2EENS0_17counting_iteratorIjlEEPS9_SG_NS0_5tupleIJPjSI_NS0_16reverse_iteratorISI_EEEEENSH_IJSG_SG_SG_EEES9_SI_JZNS1_25segmented_radix_sort_implINS0_14default_configELb1EPKaPaPKlPlN2at6native12_GLOBAL__N_18offset_tEEE10hipError_tPvRmT1_PNSt15iterator_traitsIS12_E10value_typeET2_T3_PNS13_IS18_E10value_typeET4_jRbjT5_S1E_jjP12ihipStream_tbEUljE_ZNSN_ISO_Lb1ESQ_SR_ST_SU_SY_EESZ_S10_S11_S12_S16_S17_S18_S1B_S1C_jS1D_jS1E_S1E_jjS1G_bEUljE0_EEESZ_S10_S11_S18_S1C_S1E_T6_T7_T9_mT8_S1G_bDpT10_ENKUlT_T0_E_clISt17integral_constantIbLb1EES1T_IbLb0EEEEDaS1P_S1Q_EUlS1P_E_NS1_11comp_targetILNS1_3genE2ELNS1_11target_archE906ELNS1_3gpuE6ELNS1_3repE0EEENS1_30default_config_static_selectorELNS0_4arch9wavefront6targetE1EEEvS12_
; %bb.0:
	s_endpgm
	.section	.rodata,"a",@progbits
	.p2align	6, 0x0
	.amdhsa_kernel _ZN7rocprim17ROCPRIM_400000_NS6detail17trampoline_kernelINS0_13select_configILj256ELj13ELNS0_17block_load_methodE3ELS4_3ELS4_3ELNS0_20block_scan_algorithmE0ELj4294967295EEENS1_25partition_config_selectorILNS1_17partition_subalgoE4EjNS0_10empty_typeEbEEZZNS1_14partition_implILS8_4ELb0ES6_15HIP_vector_typeIjLj2EENS0_17counting_iteratorIjlEEPS9_SG_NS0_5tupleIJPjSI_NS0_16reverse_iteratorISI_EEEEENSH_IJSG_SG_SG_EEES9_SI_JZNS1_25segmented_radix_sort_implINS0_14default_configELb1EPKaPaPKlPlN2at6native12_GLOBAL__N_18offset_tEEE10hipError_tPvRmT1_PNSt15iterator_traitsIS12_E10value_typeET2_T3_PNS13_IS18_E10value_typeET4_jRbjT5_S1E_jjP12ihipStream_tbEUljE_ZNSN_ISO_Lb1ESQ_SR_ST_SU_SY_EESZ_S10_S11_S12_S16_S17_S18_S1B_S1C_jS1D_jS1E_S1E_jjS1G_bEUljE0_EEESZ_S10_S11_S18_S1C_S1E_T6_T7_T9_mT8_S1G_bDpT10_ENKUlT_T0_E_clISt17integral_constantIbLb1EES1T_IbLb0EEEEDaS1P_S1Q_EUlS1P_E_NS1_11comp_targetILNS1_3genE2ELNS1_11target_archE906ELNS1_3gpuE6ELNS1_3repE0EEENS1_30default_config_static_selectorELNS0_4arch9wavefront6targetE1EEEvS12_
		.amdhsa_group_segment_fixed_size 0
		.amdhsa_private_segment_fixed_size 0
		.amdhsa_kernarg_size 176
		.amdhsa_user_sgpr_count 6
		.amdhsa_user_sgpr_private_segment_buffer 1
		.amdhsa_user_sgpr_dispatch_ptr 0
		.amdhsa_user_sgpr_queue_ptr 0
		.amdhsa_user_sgpr_kernarg_segment_ptr 1
		.amdhsa_user_sgpr_dispatch_id 0
		.amdhsa_user_sgpr_flat_scratch_init 0
		.amdhsa_user_sgpr_private_segment_size 0
		.amdhsa_uses_dynamic_stack 0
		.amdhsa_system_sgpr_private_segment_wavefront_offset 0
		.amdhsa_system_sgpr_workgroup_id_x 1
		.amdhsa_system_sgpr_workgroup_id_y 0
		.amdhsa_system_sgpr_workgroup_id_z 0
		.amdhsa_system_sgpr_workgroup_info 0
		.amdhsa_system_vgpr_workitem_id 0
		.amdhsa_next_free_vgpr 1
		.amdhsa_next_free_sgpr 0
		.amdhsa_reserve_vcc 0
		.amdhsa_reserve_flat_scratch 0
		.amdhsa_float_round_mode_32 0
		.amdhsa_float_round_mode_16_64 0
		.amdhsa_float_denorm_mode_32 3
		.amdhsa_float_denorm_mode_16_64 3
		.amdhsa_dx10_clamp 1
		.amdhsa_ieee_mode 1
		.amdhsa_fp16_overflow 0
		.amdhsa_exception_fp_ieee_invalid_op 0
		.amdhsa_exception_fp_denorm_src 0
		.amdhsa_exception_fp_ieee_div_zero 0
		.amdhsa_exception_fp_ieee_overflow 0
		.amdhsa_exception_fp_ieee_underflow 0
		.amdhsa_exception_fp_ieee_inexact 0
		.amdhsa_exception_int_div_zero 0
	.end_amdhsa_kernel
	.section	.text._ZN7rocprim17ROCPRIM_400000_NS6detail17trampoline_kernelINS0_13select_configILj256ELj13ELNS0_17block_load_methodE3ELS4_3ELS4_3ELNS0_20block_scan_algorithmE0ELj4294967295EEENS1_25partition_config_selectorILNS1_17partition_subalgoE4EjNS0_10empty_typeEbEEZZNS1_14partition_implILS8_4ELb0ES6_15HIP_vector_typeIjLj2EENS0_17counting_iteratorIjlEEPS9_SG_NS0_5tupleIJPjSI_NS0_16reverse_iteratorISI_EEEEENSH_IJSG_SG_SG_EEES9_SI_JZNS1_25segmented_radix_sort_implINS0_14default_configELb1EPKaPaPKlPlN2at6native12_GLOBAL__N_18offset_tEEE10hipError_tPvRmT1_PNSt15iterator_traitsIS12_E10value_typeET2_T3_PNS13_IS18_E10value_typeET4_jRbjT5_S1E_jjP12ihipStream_tbEUljE_ZNSN_ISO_Lb1ESQ_SR_ST_SU_SY_EESZ_S10_S11_S12_S16_S17_S18_S1B_S1C_jS1D_jS1E_S1E_jjS1G_bEUljE0_EEESZ_S10_S11_S18_S1C_S1E_T6_T7_T9_mT8_S1G_bDpT10_ENKUlT_T0_E_clISt17integral_constantIbLb1EES1T_IbLb0EEEEDaS1P_S1Q_EUlS1P_E_NS1_11comp_targetILNS1_3genE2ELNS1_11target_archE906ELNS1_3gpuE6ELNS1_3repE0EEENS1_30default_config_static_selectorELNS0_4arch9wavefront6targetE1EEEvS12_,"axG",@progbits,_ZN7rocprim17ROCPRIM_400000_NS6detail17trampoline_kernelINS0_13select_configILj256ELj13ELNS0_17block_load_methodE3ELS4_3ELS4_3ELNS0_20block_scan_algorithmE0ELj4294967295EEENS1_25partition_config_selectorILNS1_17partition_subalgoE4EjNS0_10empty_typeEbEEZZNS1_14partition_implILS8_4ELb0ES6_15HIP_vector_typeIjLj2EENS0_17counting_iteratorIjlEEPS9_SG_NS0_5tupleIJPjSI_NS0_16reverse_iteratorISI_EEEEENSH_IJSG_SG_SG_EEES9_SI_JZNS1_25segmented_radix_sort_implINS0_14default_configELb1EPKaPaPKlPlN2at6native12_GLOBAL__N_18offset_tEEE10hipError_tPvRmT1_PNSt15iterator_traitsIS12_E10value_typeET2_T3_PNS13_IS18_E10value_typeET4_jRbjT5_S1E_jjP12ihipStream_tbEUljE_ZNSN_ISO_Lb1ESQ_SR_ST_SU_SY_EESZ_S10_S11_S12_S16_S17_S18_S1B_S1C_jS1D_jS1E_S1E_jjS1G_bEUljE0_EEESZ_S10_S11_S18_S1C_S1E_T6_T7_T9_mT8_S1G_bDpT10_ENKUlT_T0_E_clISt17integral_constantIbLb1EES1T_IbLb0EEEEDaS1P_S1Q_EUlS1P_E_NS1_11comp_targetILNS1_3genE2ELNS1_11target_archE906ELNS1_3gpuE6ELNS1_3repE0EEENS1_30default_config_static_selectorELNS0_4arch9wavefront6targetE1EEEvS12_,comdat
.Lfunc_end246:
	.size	_ZN7rocprim17ROCPRIM_400000_NS6detail17trampoline_kernelINS0_13select_configILj256ELj13ELNS0_17block_load_methodE3ELS4_3ELS4_3ELNS0_20block_scan_algorithmE0ELj4294967295EEENS1_25partition_config_selectorILNS1_17partition_subalgoE4EjNS0_10empty_typeEbEEZZNS1_14partition_implILS8_4ELb0ES6_15HIP_vector_typeIjLj2EENS0_17counting_iteratorIjlEEPS9_SG_NS0_5tupleIJPjSI_NS0_16reverse_iteratorISI_EEEEENSH_IJSG_SG_SG_EEES9_SI_JZNS1_25segmented_radix_sort_implINS0_14default_configELb1EPKaPaPKlPlN2at6native12_GLOBAL__N_18offset_tEEE10hipError_tPvRmT1_PNSt15iterator_traitsIS12_E10value_typeET2_T3_PNS13_IS18_E10value_typeET4_jRbjT5_S1E_jjP12ihipStream_tbEUljE_ZNSN_ISO_Lb1ESQ_SR_ST_SU_SY_EESZ_S10_S11_S12_S16_S17_S18_S1B_S1C_jS1D_jS1E_S1E_jjS1G_bEUljE0_EEESZ_S10_S11_S18_S1C_S1E_T6_T7_T9_mT8_S1G_bDpT10_ENKUlT_T0_E_clISt17integral_constantIbLb1EES1T_IbLb0EEEEDaS1P_S1Q_EUlS1P_E_NS1_11comp_targetILNS1_3genE2ELNS1_11target_archE906ELNS1_3gpuE6ELNS1_3repE0EEENS1_30default_config_static_selectorELNS0_4arch9wavefront6targetE1EEEvS12_, .Lfunc_end246-_ZN7rocprim17ROCPRIM_400000_NS6detail17trampoline_kernelINS0_13select_configILj256ELj13ELNS0_17block_load_methodE3ELS4_3ELS4_3ELNS0_20block_scan_algorithmE0ELj4294967295EEENS1_25partition_config_selectorILNS1_17partition_subalgoE4EjNS0_10empty_typeEbEEZZNS1_14partition_implILS8_4ELb0ES6_15HIP_vector_typeIjLj2EENS0_17counting_iteratorIjlEEPS9_SG_NS0_5tupleIJPjSI_NS0_16reverse_iteratorISI_EEEEENSH_IJSG_SG_SG_EEES9_SI_JZNS1_25segmented_radix_sort_implINS0_14default_configELb1EPKaPaPKlPlN2at6native12_GLOBAL__N_18offset_tEEE10hipError_tPvRmT1_PNSt15iterator_traitsIS12_E10value_typeET2_T3_PNS13_IS18_E10value_typeET4_jRbjT5_S1E_jjP12ihipStream_tbEUljE_ZNSN_ISO_Lb1ESQ_SR_ST_SU_SY_EESZ_S10_S11_S12_S16_S17_S18_S1B_S1C_jS1D_jS1E_S1E_jjS1G_bEUljE0_EEESZ_S10_S11_S18_S1C_S1E_T6_T7_T9_mT8_S1G_bDpT10_ENKUlT_T0_E_clISt17integral_constantIbLb1EES1T_IbLb0EEEEDaS1P_S1Q_EUlS1P_E_NS1_11comp_targetILNS1_3genE2ELNS1_11target_archE906ELNS1_3gpuE6ELNS1_3repE0EEENS1_30default_config_static_selectorELNS0_4arch9wavefront6targetE1EEEvS12_
                                        ; -- End function
	.set _ZN7rocprim17ROCPRIM_400000_NS6detail17trampoline_kernelINS0_13select_configILj256ELj13ELNS0_17block_load_methodE3ELS4_3ELS4_3ELNS0_20block_scan_algorithmE0ELj4294967295EEENS1_25partition_config_selectorILNS1_17partition_subalgoE4EjNS0_10empty_typeEbEEZZNS1_14partition_implILS8_4ELb0ES6_15HIP_vector_typeIjLj2EENS0_17counting_iteratorIjlEEPS9_SG_NS0_5tupleIJPjSI_NS0_16reverse_iteratorISI_EEEEENSH_IJSG_SG_SG_EEES9_SI_JZNS1_25segmented_radix_sort_implINS0_14default_configELb1EPKaPaPKlPlN2at6native12_GLOBAL__N_18offset_tEEE10hipError_tPvRmT1_PNSt15iterator_traitsIS12_E10value_typeET2_T3_PNS13_IS18_E10value_typeET4_jRbjT5_S1E_jjP12ihipStream_tbEUljE_ZNSN_ISO_Lb1ESQ_SR_ST_SU_SY_EESZ_S10_S11_S12_S16_S17_S18_S1B_S1C_jS1D_jS1E_S1E_jjS1G_bEUljE0_EEESZ_S10_S11_S18_S1C_S1E_T6_T7_T9_mT8_S1G_bDpT10_ENKUlT_T0_E_clISt17integral_constantIbLb1EES1T_IbLb0EEEEDaS1P_S1Q_EUlS1P_E_NS1_11comp_targetILNS1_3genE2ELNS1_11target_archE906ELNS1_3gpuE6ELNS1_3repE0EEENS1_30default_config_static_selectorELNS0_4arch9wavefront6targetE1EEEvS12_.num_vgpr, 0
	.set _ZN7rocprim17ROCPRIM_400000_NS6detail17trampoline_kernelINS0_13select_configILj256ELj13ELNS0_17block_load_methodE3ELS4_3ELS4_3ELNS0_20block_scan_algorithmE0ELj4294967295EEENS1_25partition_config_selectorILNS1_17partition_subalgoE4EjNS0_10empty_typeEbEEZZNS1_14partition_implILS8_4ELb0ES6_15HIP_vector_typeIjLj2EENS0_17counting_iteratorIjlEEPS9_SG_NS0_5tupleIJPjSI_NS0_16reverse_iteratorISI_EEEEENSH_IJSG_SG_SG_EEES9_SI_JZNS1_25segmented_radix_sort_implINS0_14default_configELb1EPKaPaPKlPlN2at6native12_GLOBAL__N_18offset_tEEE10hipError_tPvRmT1_PNSt15iterator_traitsIS12_E10value_typeET2_T3_PNS13_IS18_E10value_typeET4_jRbjT5_S1E_jjP12ihipStream_tbEUljE_ZNSN_ISO_Lb1ESQ_SR_ST_SU_SY_EESZ_S10_S11_S12_S16_S17_S18_S1B_S1C_jS1D_jS1E_S1E_jjS1G_bEUljE0_EEESZ_S10_S11_S18_S1C_S1E_T6_T7_T9_mT8_S1G_bDpT10_ENKUlT_T0_E_clISt17integral_constantIbLb1EES1T_IbLb0EEEEDaS1P_S1Q_EUlS1P_E_NS1_11comp_targetILNS1_3genE2ELNS1_11target_archE906ELNS1_3gpuE6ELNS1_3repE0EEENS1_30default_config_static_selectorELNS0_4arch9wavefront6targetE1EEEvS12_.num_agpr, 0
	.set _ZN7rocprim17ROCPRIM_400000_NS6detail17trampoline_kernelINS0_13select_configILj256ELj13ELNS0_17block_load_methodE3ELS4_3ELS4_3ELNS0_20block_scan_algorithmE0ELj4294967295EEENS1_25partition_config_selectorILNS1_17partition_subalgoE4EjNS0_10empty_typeEbEEZZNS1_14partition_implILS8_4ELb0ES6_15HIP_vector_typeIjLj2EENS0_17counting_iteratorIjlEEPS9_SG_NS0_5tupleIJPjSI_NS0_16reverse_iteratorISI_EEEEENSH_IJSG_SG_SG_EEES9_SI_JZNS1_25segmented_radix_sort_implINS0_14default_configELb1EPKaPaPKlPlN2at6native12_GLOBAL__N_18offset_tEEE10hipError_tPvRmT1_PNSt15iterator_traitsIS12_E10value_typeET2_T3_PNS13_IS18_E10value_typeET4_jRbjT5_S1E_jjP12ihipStream_tbEUljE_ZNSN_ISO_Lb1ESQ_SR_ST_SU_SY_EESZ_S10_S11_S12_S16_S17_S18_S1B_S1C_jS1D_jS1E_S1E_jjS1G_bEUljE0_EEESZ_S10_S11_S18_S1C_S1E_T6_T7_T9_mT8_S1G_bDpT10_ENKUlT_T0_E_clISt17integral_constantIbLb1EES1T_IbLb0EEEEDaS1P_S1Q_EUlS1P_E_NS1_11comp_targetILNS1_3genE2ELNS1_11target_archE906ELNS1_3gpuE6ELNS1_3repE0EEENS1_30default_config_static_selectorELNS0_4arch9wavefront6targetE1EEEvS12_.numbered_sgpr, 0
	.set _ZN7rocprim17ROCPRIM_400000_NS6detail17trampoline_kernelINS0_13select_configILj256ELj13ELNS0_17block_load_methodE3ELS4_3ELS4_3ELNS0_20block_scan_algorithmE0ELj4294967295EEENS1_25partition_config_selectorILNS1_17partition_subalgoE4EjNS0_10empty_typeEbEEZZNS1_14partition_implILS8_4ELb0ES6_15HIP_vector_typeIjLj2EENS0_17counting_iteratorIjlEEPS9_SG_NS0_5tupleIJPjSI_NS0_16reverse_iteratorISI_EEEEENSH_IJSG_SG_SG_EEES9_SI_JZNS1_25segmented_radix_sort_implINS0_14default_configELb1EPKaPaPKlPlN2at6native12_GLOBAL__N_18offset_tEEE10hipError_tPvRmT1_PNSt15iterator_traitsIS12_E10value_typeET2_T3_PNS13_IS18_E10value_typeET4_jRbjT5_S1E_jjP12ihipStream_tbEUljE_ZNSN_ISO_Lb1ESQ_SR_ST_SU_SY_EESZ_S10_S11_S12_S16_S17_S18_S1B_S1C_jS1D_jS1E_S1E_jjS1G_bEUljE0_EEESZ_S10_S11_S18_S1C_S1E_T6_T7_T9_mT8_S1G_bDpT10_ENKUlT_T0_E_clISt17integral_constantIbLb1EES1T_IbLb0EEEEDaS1P_S1Q_EUlS1P_E_NS1_11comp_targetILNS1_3genE2ELNS1_11target_archE906ELNS1_3gpuE6ELNS1_3repE0EEENS1_30default_config_static_selectorELNS0_4arch9wavefront6targetE1EEEvS12_.num_named_barrier, 0
	.set _ZN7rocprim17ROCPRIM_400000_NS6detail17trampoline_kernelINS0_13select_configILj256ELj13ELNS0_17block_load_methodE3ELS4_3ELS4_3ELNS0_20block_scan_algorithmE0ELj4294967295EEENS1_25partition_config_selectorILNS1_17partition_subalgoE4EjNS0_10empty_typeEbEEZZNS1_14partition_implILS8_4ELb0ES6_15HIP_vector_typeIjLj2EENS0_17counting_iteratorIjlEEPS9_SG_NS0_5tupleIJPjSI_NS0_16reverse_iteratorISI_EEEEENSH_IJSG_SG_SG_EEES9_SI_JZNS1_25segmented_radix_sort_implINS0_14default_configELb1EPKaPaPKlPlN2at6native12_GLOBAL__N_18offset_tEEE10hipError_tPvRmT1_PNSt15iterator_traitsIS12_E10value_typeET2_T3_PNS13_IS18_E10value_typeET4_jRbjT5_S1E_jjP12ihipStream_tbEUljE_ZNSN_ISO_Lb1ESQ_SR_ST_SU_SY_EESZ_S10_S11_S12_S16_S17_S18_S1B_S1C_jS1D_jS1E_S1E_jjS1G_bEUljE0_EEESZ_S10_S11_S18_S1C_S1E_T6_T7_T9_mT8_S1G_bDpT10_ENKUlT_T0_E_clISt17integral_constantIbLb1EES1T_IbLb0EEEEDaS1P_S1Q_EUlS1P_E_NS1_11comp_targetILNS1_3genE2ELNS1_11target_archE906ELNS1_3gpuE6ELNS1_3repE0EEENS1_30default_config_static_selectorELNS0_4arch9wavefront6targetE1EEEvS12_.private_seg_size, 0
	.set _ZN7rocprim17ROCPRIM_400000_NS6detail17trampoline_kernelINS0_13select_configILj256ELj13ELNS0_17block_load_methodE3ELS4_3ELS4_3ELNS0_20block_scan_algorithmE0ELj4294967295EEENS1_25partition_config_selectorILNS1_17partition_subalgoE4EjNS0_10empty_typeEbEEZZNS1_14partition_implILS8_4ELb0ES6_15HIP_vector_typeIjLj2EENS0_17counting_iteratorIjlEEPS9_SG_NS0_5tupleIJPjSI_NS0_16reverse_iteratorISI_EEEEENSH_IJSG_SG_SG_EEES9_SI_JZNS1_25segmented_radix_sort_implINS0_14default_configELb1EPKaPaPKlPlN2at6native12_GLOBAL__N_18offset_tEEE10hipError_tPvRmT1_PNSt15iterator_traitsIS12_E10value_typeET2_T3_PNS13_IS18_E10value_typeET4_jRbjT5_S1E_jjP12ihipStream_tbEUljE_ZNSN_ISO_Lb1ESQ_SR_ST_SU_SY_EESZ_S10_S11_S12_S16_S17_S18_S1B_S1C_jS1D_jS1E_S1E_jjS1G_bEUljE0_EEESZ_S10_S11_S18_S1C_S1E_T6_T7_T9_mT8_S1G_bDpT10_ENKUlT_T0_E_clISt17integral_constantIbLb1EES1T_IbLb0EEEEDaS1P_S1Q_EUlS1P_E_NS1_11comp_targetILNS1_3genE2ELNS1_11target_archE906ELNS1_3gpuE6ELNS1_3repE0EEENS1_30default_config_static_selectorELNS0_4arch9wavefront6targetE1EEEvS12_.uses_vcc, 0
	.set _ZN7rocprim17ROCPRIM_400000_NS6detail17trampoline_kernelINS0_13select_configILj256ELj13ELNS0_17block_load_methodE3ELS4_3ELS4_3ELNS0_20block_scan_algorithmE0ELj4294967295EEENS1_25partition_config_selectorILNS1_17partition_subalgoE4EjNS0_10empty_typeEbEEZZNS1_14partition_implILS8_4ELb0ES6_15HIP_vector_typeIjLj2EENS0_17counting_iteratorIjlEEPS9_SG_NS0_5tupleIJPjSI_NS0_16reverse_iteratorISI_EEEEENSH_IJSG_SG_SG_EEES9_SI_JZNS1_25segmented_radix_sort_implINS0_14default_configELb1EPKaPaPKlPlN2at6native12_GLOBAL__N_18offset_tEEE10hipError_tPvRmT1_PNSt15iterator_traitsIS12_E10value_typeET2_T3_PNS13_IS18_E10value_typeET4_jRbjT5_S1E_jjP12ihipStream_tbEUljE_ZNSN_ISO_Lb1ESQ_SR_ST_SU_SY_EESZ_S10_S11_S12_S16_S17_S18_S1B_S1C_jS1D_jS1E_S1E_jjS1G_bEUljE0_EEESZ_S10_S11_S18_S1C_S1E_T6_T7_T9_mT8_S1G_bDpT10_ENKUlT_T0_E_clISt17integral_constantIbLb1EES1T_IbLb0EEEEDaS1P_S1Q_EUlS1P_E_NS1_11comp_targetILNS1_3genE2ELNS1_11target_archE906ELNS1_3gpuE6ELNS1_3repE0EEENS1_30default_config_static_selectorELNS0_4arch9wavefront6targetE1EEEvS12_.uses_flat_scratch, 0
	.set _ZN7rocprim17ROCPRIM_400000_NS6detail17trampoline_kernelINS0_13select_configILj256ELj13ELNS0_17block_load_methodE3ELS4_3ELS4_3ELNS0_20block_scan_algorithmE0ELj4294967295EEENS1_25partition_config_selectorILNS1_17partition_subalgoE4EjNS0_10empty_typeEbEEZZNS1_14partition_implILS8_4ELb0ES6_15HIP_vector_typeIjLj2EENS0_17counting_iteratorIjlEEPS9_SG_NS0_5tupleIJPjSI_NS0_16reverse_iteratorISI_EEEEENSH_IJSG_SG_SG_EEES9_SI_JZNS1_25segmented_radix_sort_implINS0_14default_configELb1EPKaPaPKlPlN2at6native12_GLOBAL__N_18offset_tEEE10hipError_tPvRmT1_PNSt15iterator_traitsIS12_E10value_typeET2_T3_PNS13_IS18_E10value_typeET4_jRbjT5_S1E_jjP12ihipStream_tbEUljE_ZNSN_ISO_Lb1ESQ_SR_ST_SU_SY_EESZ_S10_S11_S12_S16_S17_S18_S1B_S1C_jS1D_jS1E_S1E_jjS1G_bEUljE0_EEESZ_S10_S11_S18_S1C_S1E_T6_T7_T9_mT8_S1G_bDpT10_ENKUlT_T0_E_clISt17integral_constantIbLb1EES1T_IbLb0EEEEDaS1P_S1Q_EUlS1P_E_NS1_11comp_targetILNS1_3genE2ELNS1_11target_archE906ELNS1_3gpuE6ELNS1_3repE0EEENS1_30default_config_static_selectorELNS0_4arch9wavefront6targetE1EEEvS12_.has_dyn_sized_stack, 0
	.set _ZN7rocprim17ROCPRIM_400000_NS6detail17trampoline_kernelINS0_13select_configILj256ELj13ELNS0_17block_load_methodE3ELS4_3ELS4_3ELNS0_20block_scan_algorithmE0ELj4294967295EEENS1_25partition_config_selectorILNS1_17partition_subalgoE4EjNS0_10empty_typeEbEEZZNS1_14partition_implILS8_4ELb0ES6_15HIP_vector_typeIjLj2EENS0_17counting_iteratorIjlEEPS9_SG_NS0_5tupleIJPjSI_NS0_16reverse_iteratorISI_EEEEENSH_IJSG_SG_SG_EEES9_SI_JZNS1_25segmented_radix_sort_implINS0_14default_configELb1EPKaPaPKlPlN2at6native12_GLOBAL__N_18offset_tEEE10hipError_tPvRmT1_PNSt15iterator_traitsIS12_E10value_typeET2_T3_PNS13_IS18_E10value_typeET4_jRbjT5_S1E_jjP12ihipStream_tbEUljE_ZNSN_ISO_Lb1ESQ_SR_ST_SU_SY_EESZ_S10_S11_S12_S16_S17_S18_S1B_S1C_jS1D_jS1E_S1E_jjS1G_bEUljE0_EEESZ_S10_S11_S18_S1C_S1E_T6_T7_T9_mT8_S1G_bDpT10_ENKUlT_T0_E_clISt17integral_constantIbLb1EES1T_IbLb0EEEEDaS1P_S1Q_EUlS1P_E_NS1_11comp_targetILNS1_3genE2ELNS1_11target_archE906ELNS1_3gpuE6ELNS1_3repE0EEENS1_30default_config_static_selectorELNS0_4arch9wavefront6targetE1EEEvS12_.has_recursion, 0
	.set _ZN7rocprim17ROCPRIM_400000_NS6detail17trampoline_kernelINS0_13select_configILj256ELj13ELNS0_17block_load_methodE3ELS4_3ELS4_3ELNS0_20block_scan_algorithmE0ELj4294967295EEENS1_25partition_config_selectorILNS1_17partition_subalgoE4EjNS0_10empty_typeEbEEZZNS1_14partition_implILS8_4ELb0ES6_15HIP_vector_typeIjLj2EENS0_17counting_iteratorIjlEEPS9_SG_NS0_5tupleIJPjSI_NS0_16reverse_iteratorISI_EEEEENSH_IJSG_SG_SG_EEES9_SI_JZNS1_25segmented_radix_sort_implINS0_14default_configELb1EPKaPaPKlPlN2at6native12_GLOBAL__N_18offset_tEEE10hipError_tPvRmT1_PNSt15iterator_traitsIS12_E10value_typeET2_T3_PNS13_IS18_E10value_typeET4_jRbjT5_S1E_jjP12ihipStream_tbEUljE_ZNSN_ISO_Lb1ESQ_SR_ST_SU_SY_EESZ_S10_S11_S12_S16_S17_S18_S1B_S1C_jS1D_jS1E_S1E_jjS1G_bEUljE0_EEESZ_S10_S11_S18_S1C_S1E_T6_T7_T9_mT8_S1G_bDpT10_ENKUlT_T0_E_clISt17integral_constantIbLb1EES1T_IbLb0EEEEDaS1P_S1Q_EUlS1P_E_NS1_11comp_targetILNS1_3genE2ELNS1_11target_archE906ELNS1_3gpuE6ELNS1_3repE0EEENS1_30default_config_static_selectorELNS0_4arch9wavefront6targetE1EEEvS12_.has_indirect_call, 0
	.section	.AMDGPU.csdata,"",@progbits
; Kernel info:
; codeLenInByte = 4
; TotalNumSgprs: 4
; NumVgprs: 0
; ScratchSize: 0
; MemoryBound: 0
; FloatMode: 240
; IeeeMode: 1
; LDSByteSize: 0 bytes/workgroup (compile time only)
; SGPRBlocks: 0
; VGPRBlocks: 0
; NumSGPRsForWavesPerEU: 4
; NumVGPRsForWavesPerEU: 1
; Occupancy: 10
; WaveLimiterHint : 0
; COMPUTE_PGM_RSRC2:SCRATCH_EN: 0
; COMPUTE_PGM_RSRC2:USER_SGPR: 6
; COMPUTE_PGM_RSRC2:TRAP_HANDLER: 0
; COMPUTE_PGM_RSRC2:TGID_X_EN: 1
; COMPUTE_PGM_RSRC2:TGID_Y_EN: 0
; COMPUTE_PGM_RSRC2:TGID_Z_EN: 0
; COMPUTE_PGM_RSRC2:TIDIG_COMP_CNT: 0
	.section	.text._ZN7rocprim17ROCPRIM_400000_NS6detail17trampoline_kernelINS0_13select_configILj256ELj13ELNS0_17block_load_methodE3ELS4_3ELS4_3ELNS0_20block_scan_algorithmE0ELj4294967295EEENS1_25partition_config_selectorILNS1_17partition_subalgoE4EjNS0_10empty_typeEbEEZZNS1_14partition_implILS8_4ELb0ES6_15HIP_vector_typeIjLj2EENS0_17counting_iteratorIjlEEPS9_SG_NS0_5tupleIJPjSI_NS0_16reverse_iteratorISI_EEEEENSH_IJSG_SG_SG_EEES9_SI_JZNS1_25segmented_radix_sort_implINS0_14default_configELb1EPKaPaPKlPlN2at6native12_GLOBAL__N_18offset_tEEE10hipError_tPvRmT1_PNSt15iterator_traitsIS12_E10value_typeET2_T3_PNS13_IS18_E10value_typeET4_jRbjT5_S1E_jjP12ihipStream_tbEUljE_ZNSN_ISO_Lb1ESQ_SR_ST_SU_SY_EESZ_S10_S11_S12_S16_S17_S18_S1B_S1C_jS1D_jS1E_S1E_jjS1G_bEUljE0_EEESZ_S10_S11_S18_S1C_S1E_T6_T7_T9_mT8_S1G_bDpT10_ENKUlT_T0_E_clISt17integral_constantIbLb1EES1T_IbLb0EEEEDaS1P_S1Q_EUlS1P_E_NS1_11comp_targetILNS1_3genE10ELNS1_11target_archE1200ELNS1_3gpuE4ELNS1_3repE0EEENS1_30default_config_static_selectorELNS0_4arch9wavefront6targetE1EEEvS12_,"axG",@progbits,_ZN7rocprim17ROCPRIM_400000_NS6detail17trampoline_kernelINS0_13select_configILj256ELj13ELNS0_17block_load_methodE3ELS4_3ELS4_3ELNS0_20block_scan_algorithmE0ELj4294967295EEENS1_25partition_config_selectorILNS1_17partition_subalgoE4EjNS0_10empty_typeEbEEZZNS1_14partition_implILS8_4ELb0ES6_15HIP_vector_typeIjLj2EENS0_17counting_iteratorIjlEEPS9_SG_NS0_5tupleIJPjSI_NS0_16reverse_iteratorISI_EEEEENSH_IJSG_SG_SG_EEES9_SI_JZNS1_25segmented_radix_sort_implINS0_14default_configELb1EPKaPaPKlPlN2at6native12_GLOBAL__N_18offset_tEEE10hipError_tPvRmT1_PNSt15iterator_traitsIS12_E10value_typeET2_T3_PNS13_IS18_E10value_typeET4_jRbjT5_S1E_jjP12ihipStream_tbEUljE_ZNSN_ISO_Lb1ESQ_SR_ST_SU_SY_EESZ_S10_S11_S12_S16_S17_S18_S1B_S1C_jS1D_jS1E_S1E_jjS1G_bEUljE0_EEESZ_S10_S11_S18_S1C_S1E_T6_T7_T9_mT8_S1G_bDpT10_ENKUlT_T0_E_clISt17integral_constantIbLb1EES1T_IbLb0EEEEDaS1P_S1Q_EUlS1P_E_NS1_11comp_targetILNS1_3genE10ELNS1_11target_archE1200ELNS1_3gpuE4ELNS1_3repE0EEENS1_30default_config_static_selectorELNS0_4arch9wavefront6targetE1EEEvS12_,comdat
	.globl	_ZN7rocprim17ROCPRIM_400000_NS6detail17trampoline_kernelINS0_13select_configILj256ELj13ELNS0_17block_load_methodE3ELS4_3ELS4_3ELNS0_20block_scan_algorithmE0ELj4294967295EEENS1_25partition_config_selectorILNS1_17partition_subalgoE4EjNS0_10empty_typeEbEEZZNS1_14partition_implILS8_4ELb0ES6_15HIP_vector_typeIjLj2EENS0_17counting_iteratorIjlEEPS9_SG_NS0_5tupleIJPjSI_NS0_16reverse_iteratorISI_EEEEENSH_IJSG_SG_SG_EEES9_SI_JZNS1_25segmented_radix_sort_implINS0_14default_configELb1EPKaPaPKlPlN2at6native12_GLOBAL__N_18offset_tEEE10hipError_tPvRmT1_PNSt15iterator_traitsIS12_E10value_typeET2_T3_PNS13_IS18_E10value_typeET4_jRbjT5_S1E_jjP12ihipStream_tbEUljE_ZNSN_ISO_Lb1ESQ_SR_ST_SU_SY_EESZ_S10_S11_S12_S16_S17_S18_S1B_S1C_jS1D_jS1E_S1E_jjS1G_bEUljE0_EEESZ_S10_S11_S18_S1C_S1E_T6_T7_T9_mT8_S1G_bDpT10_ENKUlT_T0_E_clISt17integral_constantIbLb1EES1T_IbLb0EEEEDaS1P_S1Q_EUlS1P_E_NS1_11comp_targetILNS1_3genE10ELNS1_11target_archE1200ELNS1_3gpuE4ELNS1_3repE0EEENS1_30default_config_static_selectorELNS0_4arch9wavefront6targetE1EEEvS12_ ; -- Begin function _ZN7rocprim17ROCPRIM_400000_NS6detail17trampoline_kernelINS0_13select_configILj256ELj13ELNS0_17block_load_methodE3ELS4_3ELS4_3ELNS0_20block_scan_algorithmE0ELj4294967295EEENS1_25partition_config_selectorILNS1_17partition_subalgoE4EjNS0_10empty_typeEbEEZZNS1_14partition_implILS8_4ELb0ES6_15HIP_vector_typeIjLj2EENS0_17counting_iteratorIjlEEPS9_SG_NS0_5tupleIJPjSI_NS0_16reverse_iteratorISI_EEEEENSH_IJSG_SG_SG_EEES9_SI_JZNS1_25segmented_radix_sort_implINS0_14default_configELb1EPKaPaPKlPlN2at6native12_GLOBAL__N_18offset_tEEE10hipError_tPvRmT1_PNSt15iterator_traitsIS12_E10value_typeET2_T3_PNS13_IS18_E10value_typeET4_jRbjT5_S1E_jjP12ihipStream_tbEUljE_ZNSN_ISO_Lb1ESQ_SR_ST_SU_SY_EESZ_S10_S11_S12_S16_S17_S18_S1B_S1C_jS1D_jS1E_S1E_jjS1G_bEUljE0_EEESZ_S10_S11_S18_S1C_S1E_T6_T7_T9_mT8_S1G_bDpT10_ENKUlT_T0_E_clISt17integral_constantIbLb1EES1T_IbLb0EEEEDaS1P_S1Q_EUlS1P_E_NS1_11comp_targetILNS1_3genE10ELNS1_11target_archE1200ELNS1_3gpuE4ELNS1_3repE0EEENS1_30default_config_static_selectorELNS0_4arch9wavefront6targetE1EEEvS12_
	.p2align	8
	.type	_ZN7rocprim17ROCPRIM_400000_NS6detail17trampoline_kernelINS0_13select_configILj256ELj13ELNS0_17block_load_methodE3ELS4_3ELS4_3ELNS0_20block_scan_algorithmE0ELj4294967295EEENS1_25partition_config_selectorILNS1_17partition_subalgoE4EjNS0_10empty_typeEbEEZZNS1_14partition_implILS8_4ELb0ES6_15HIP_vector_typeIjLj2EENS0_17counting_iteratorIjlEEPS9_SG_NS0_5tupleIJPjSI_NS0_16reverse_iteratorISI_EEEEENSH_IJSG_SG_SG_EEES9_SI_JZNS1_25segmented_radix_sort_implINS0_14default_configELb1EPKaPaPKlPlN2at6native12_GLOBAL__N_18offset_tEEE10hipError_tPvRmT1_PNSt15iterator_traitsIS12_E10value_typeET2_T3_PNS13_IS18_E10value_typeET4_jRbjT5_S1E_jjP12ihipStream_tbEUljE_ZNSN_ISO_Lb1ESQ_SR_ST_SU_SY_EESZ_S10_S11_S12_S16_S17_S18_S1B_S1C_jS1D_jS1E_S1E_jjS1G_bEUljE0_EEESZ_S10_S11_S18_S1C_S1E_T6_T7_T9_mT8_S1G_bDpT10_ENKUlT_T0_E_clISt17integral_constantIbLb1EES1T_IbLb0EEEEDaS1P_S1Q_EUlS1P_E_NS1_11comp_targetILNS1_3genE10ELNS1_11target_archE1200ELNS1_3gpuE4ELNS1_3repE0EEENS1_30default_config_static_selectorELNS0_4arch9wavefront6targetE1EEEvS12_,@function
_ZN7rocprim17ROCPRIM_400000_NS6detail17trampoline_kernelINS0_13select_configILj256ELj13ELNS0_17block_load_methodE3ELS4_3ELS4_3ELNS0_20block_scan_algorithmE0ELj4294967295EEENS1_25partition_config_selectorILNS1_17partition_subalgoE4EjNS0_10empty_typeEbEEZZNS1_14partition_implILS8_4ELb0ES6_15HIP_vector_typeIjLj2EENS0_17counting_iteratorIjlEEPS9_SG_NS0_5tupleIJPjSI_NS0_16reverse_iteratorISI_EEEEENSH_IJSG_SG_SG_EEES9_SI_JZNS1_25segmented_radix_sort_implINS0_14default_configELb1EPKaPaPKlPlN2at6native12_GLOBAL__N_18offset_tEEE10hipError_tPvRmT1_PNSt15iterator_traitsIS12_E10value_typeET2_T3_PNS13_IS18_E10value_typeET4_jRbjT5_S1E_jjP12ihipStream_tbEUljE_ZNSN_ISO_Lb1ESQ_SR_ST_SU_SY_EESZ_S10_S11_S12_S16_S17_S18_S1B_S1C_jS1D_jS1E_S1E_jjS1G_bEUljE0_EEESZ_S10_S11_S18_S1C_S1E_T6_T7_T9_mT8_S1G_bDpT10_ENKUlT_T0_E_clISt17integral_constantIbLb1EES1T_IbLb0EEEEDaS1P_S1Q_EUlS1P_E_NS1_11comp_targetILNS1_3genE10ELNS1_11target_archE1200ELNS1_3gpuE4ELNS1_3repE0EEENS1_30default_config_static_selectorELNS0_4arch9wavefront6targetE1EEEvS12_: ; @_ZN7rocprim17ROCPRIM_400000_NS6detail17trampoline_kernelINS0_13select_configILj256ELj13ELNS0_17block_load_methodE3ELS4_3ELS4_3ELNS0_20block_scan_algorithmE0ELj4294967295EEENS1_25partition_config_selectorILNS1_17partition_subalgoE4EjNS0_10empty_typeEbEEZZNS1_14partition_implILS8_4ELb0ES6_15HIP_vector_typeIjLj2EENS0_17counting_iteratorIjlEEPS9_SG_NS0_5tupleIJPjSI_NS0_16reverse_iteratorISI_EEEEENSH_IJSG_SG_SG_EEES9_SI_JZNS1_25segmented_radix_sort_implINS0_14default_configELb1EPKaPaPKlPlN2at6native12_GLOBAL__N_18offset_tEEE10hipError_tPvRmT1_PNSt15iterator_traitsIS12_E10value_typeET2_T3_PNS13_IS18_E10value_typeET4_jRbjT5_S1E_jjP12ihipStream_tbEUljE_ZNSN_ISO_Lb1ESQ_SR_ST_SU_SY_EESZ_S10_S11_S12_S16_S17_S18_S1B_S1C_jS1D_jS1E_S1E_jjS1G_bEUljE0_EEESZ_S10_S11_S18_S1C_S1E_T6_T7_T9_mT8_S1G_bDpT10_ENKUlT_T0_E_clISt17integral_constantIbLb1EES1T_IbLb0EEEEDaS1P_S1Q_EUlS1P_E_NS1_11comp_targetILNS1_3genE10ELNS1_11target_archE1200ELNS1_3gpuE4ELNS1_3repE0EEENS1_30default_config_static_selectorELNS0_4arch9wavefront6targetE1EEEvS12_
; %bb.0:
	.section	.rodata,"a",@progbits
	.p2align	6, 0x0
	.amdhsa_kernel _ZN7rocprim17ROCPRIM_400000_NS6detail17trampoline_kernelINS0_13select_configILj256ELj13ELNS0_17block_load_methodE3ELS4_3ELS4_3ELNS0_20block_scan_algorithmE0ELj4294967295EEENS1_25partition_config_selectorILNS1_17partition_subalgoE4EjNS0_10empty_typeEbEEZZNS1_14partition_implILS8_4ELb0ES6_15HIP_vector_typeIjLj2EENS0_17counting_iteratorIjlEEPS9_SG_NS0_5tupleIJPjSI_NS0_16reverse_iteratorISI_EEEEENSH_IJSG_SG_SG_EEES9_SI_JZNS1_25segmented_radix_sort_implINS0_14default_configELb1EPKaPaPKlPlN2at6native12_GLOBAL__N_18offset_tEEE10hipError_tPvRmT1_PNSt15iterator_traitsIS12_E10value_typeET2_T3_PNS13_IS18_E10value_typeET4_jRbjT5_S1E_jjP12ihipStream_tbEUljE_ZNSN_ISO_Lb1ESQ_SR_ST_SU_SY_EESZ_S10_S11_S12_S16_S17_S18_S1B_S1C_jS1D_jS1E_S1E_jjS1G_bEUljE0_EEESZ_S10_S11_S18_S1C_S1E_T6_T7_T9_mT8_S1G_bDpT10_ENKUlT_T0_E_clISt17integral_constantIbLb1EES1T_IbLb0EEEEDaS1P_S1Q_EUlS1P_E_NS1_11comp_targetILNS1_3genE10ELNS1_11target_archE1200ELNS1_3gpuE4ELNS1_3repE0EEENS1_30default_config_static_selectorELNS0_4arch9wavefront6targetE1EEEvS12_
		.amdhsa_group_segment_fixed_size 0
		.amdhsa_private_segment_fixed_size 0
		.amdhsa_kernarg_size 176
		.amdhsa_user_sgpr_count 6
		.amdhsa_user_sgpr_private_segment_buffer 1
		.amdhsa_user_sgpr_dispatch_ptr 0
		.amdhsa_user_sgpr_queue_ptr 0
		.amdhsa_user_sgpr_kernarg_segment_ptr 1
		.amdhsa_user_sgpr_dispatch_id 0
		.amdhsa_user_sgpr_flat_scratch_init 0
		.amdhsa_user_sgpr_private_segment_size 0
		.amdhsa_uses_dynamic_stack 0
		.amdhsa_system_sgpr_private_segment_wavefront_offset 0
		.amdhsa_system_sgpr_workgroup_id_x 1
		.amdhsa_system_sgpr_workgroup_id_y 0
		.amdhsa_system_sgpr_workgroup_id_z 0
		.amdhsa_system_sgpr_workgroup_info 0
		.amdhsa_system_vgpr_workitem_id 0
		.amdhsa_next_free_vgpr 1
		.amdhsa_next_free_sgpr 0
		.amdhsa_reserve_vcc 0
		.amdhsa_reserve_flat_scratch 0
		.amdhsa_float_round_mode_32 0
		.amdhsa_float_round_mode_16_64 0
		.amdhsa_float_denorm_mode_32 3
		.amdhsa_float_denorm_mode_16_64 3
		.amdhsa_dx10_clamp 1
		.amdhsa_ieee_mode 1
		.amdhsa_fp16_overflow 0
		.amdhsa_exception_fp_ieee_invalid_op 0
		.amdhsa_exception_fp_denorm_src 0
		.amdhsa_exception_fp_ieee_div_zero 0
		.amdhsa_exception_fp_ieee_overflow 0
		.amdhsa_exception_fp_ieee_underflow 0
		.amdhsa_exception_fp_ieee_inexact 0
		.amdhsa_exception_int_div_zero 0
	.end_amdhsa_kernel
	.section	.text._ZN7rocprim17ROCPRIM_400000_NS6detail17trampoline_kernelINS0_13select_configILj256ELj13ELNS0_17block_load_methodE3ELS4_3ELS4_3ELNS0_20block_scan_algorithmE0ELj4294967295EEENS1_25partition_config_selectorILNS1_17partition_subalgoE4EjNS0_10empty_typeEbEEZZNS1_14partition_implILS8_4ELb0ES6_15HIP_vector_typeIjLj2EENS0_17counting_iteratorIjlEEPS9_SG_NS0_5tupleIJPjSI_NS0_16reverse_iteratorISI_EEEEENSH_IJSG_SG_SG_EEES9_SI_JZNS1_25segmented_radix_sort_implINS0_14default_configELb1EPKaPaPKlPlN2at6native12_GLOBAL__N_18offset_tEEE10hipError_tPvRmT1_PNSt15iterator_traitsIS12_E10value_typeET2_T3_PNS13_IS18_E10value_typeET4_jRbjT5_S1E_jjP12ihipStream_tbEUljE_ZNSN_ISO_Lb1ESQ_SR_ST_SU_SY_EESZ_S10_S11_S12_S16_S17_S18_S1B_S1C_jS1D_jS1E_S1E_jjS1G_bEUljE0_EEESZ_S10_S11_S18_S1C_S1E_T6_T7_T9_mT8_S1G_bDpT10_ENKUlT_T0_E_clISt17integral_constantIbLb1EES1T_IbLb0EEEEDaS1P_S1Q_EUlS1P_E_NS1_11comp_targetILNS1_3genE10ELNS1_11target_archE1200ELNS1_3gpuE4ELNS1_3repE0EEENS1_30default_config_static_selectorELNS0_4arch9wavefront6targetE1EEEvS12_,"axG",@progbits,_ZN7rocprim17ROCPRIM_400000_NS6detail17trampoline_kernelINS0_13select_configILj256ELj13ELNS0_17block_load_methodE3ELS4_3ELS4_3ELNS0_20block_scan_algorithmE0ELj4294967295EEENS1_25partition_config_selectorILNS1_17partition_subalgoE4EjNS0_10empty_typeEbEEZZNS1_14partition_implILS8_4ELb0ES6_15HIP_vector_typeIjLj2EENS0_17counting_iteratorIjlEEPS9_SG_NS0_5tupleIJPjSI_NS0_16reverse_iteratorISI_EEEEENSH_IJSG_SG_SG_EEES9_SI_JZNS1_25segmented_radix_sort_implINS0_14default_configELb1EPKaPaPKlPlN2at6native12_GLOBAL__N_18offset_tEEE10hipError_tPvRmT1_PNSt15iterator_traitsIS12_E10value_typeET2_T3_PNS13_IS18_E10value_typeET4_jRbjT5_S1E_jjP12ihipStream_tbEUljE_ZNSN_ISO_Lb1ESQ_SR_ST_SU_SY_EESZ_S10_S11_S12_S16_S17_S18_S1B_S1C_jS1D_jS1E_S1E_jjS1G_bEUljE0_EEESZ_S10_S11_S18_S1C_S1E_T6_T7_T9_mT8_S1G_bDpT10_ENKUlT_T0_E_clISt17integral_constantIbLb1EES1T_IbLb0EEEEDaS1P_S1Q_EUlS1P_E_NS1_11comp_targetILNS1_3genE10ELNS1_11target_archE1200ELNS1_3gpuE4ELNS1_3repE0EEENS1_30default_config_static_selectorELNS0_4arch9wavefront6targetE1EEEvS12_,comdat
.Lfunc_end247:
	.size	_ZN7rocprim17ROCPRIM_400000_NS6detail17trampoline_kernelINS0_13select_configILj256ELj13ELNS0_17block_load_methodE3ELS4_3ELS4_3ELNS0_20block_scan_algorithmE0ELj4294967295EEENS1_25partition_config_selectorILNS1_17partition_subalgoE4EjNS0_10empty_typeEbEEZZNS1_14partition_implILS8_4ELb0ES6_15HIP_vector_typeIjLj2EENS0_17counting_iteratorIjlEEPS9_SG_NS0_5tupleIJPjSI_NS0_16reverse_iteratorISI_EEEEENSH_IJSG_SG_SG_EEES9_SI_JZNS1_25segmented_radix_sort_implINS0_14default_configELb1EPKaPaPKlPlN2at6native12_GLOBAL__N_18offset_tEEE10hipError_tPvRmT1_PNSt15iterator_traitsIS12_E10value_typeET2_T3_PNS13_IS18_E10value_typeET4_jRbjT5_S1E_jjP12ihipStream_tbEUljE_ZNSN_ISO_Lb1ESQ_SR_ST_SU_SY_EESZ_S10_S11_S12_S16_S17_S18_S1B_S1C_jS1D_jS1E_S1E_jjS1G_bEUljE0_EEESZ_S10_S11_S18_S1C_S1E_T6_T7_T9_mT8_S1G_bDpT10_ENKUlT_T0_E_clISt17integral_constantIbLb1EES1T_IbLb0EEEEDaS1P_S1Q_EUlS1P_E_NS1_11comp_targetILNS1_3genE10ELNS1_11target_archE1200ELNS1_3gpuE4ELNS1_3repE0EEENS1_30default_config_static_selectorELNS0_4arch9wavefront6targetE1EEEvS12_, .Lfunc_end247-_ZN7rocprim17ROCPRIM_400000_NS6detail17trampoline_kernelINS0_13select_configILj256ELj13ELNS0_17block_load_methodE3ELS4_3ELS4_3ELNS0_20block_scan_algorithmE0ELj4294967295EEENS1_25partition_config_selectorILNS1_17partition_subalgoE4EjNS0_10empty_typeEbEEZZNS1_14partition_implILS8_4ELb0ES6_15HIP_vector_typeIjLj2EENS0_17counting_iteratorIjlEEPS9_SG_NS0_5tupleIJPjSI_NS0_16reverse_iteratorISI_EEEEENSH_IJSG_SG_SG_EEES9_SI_JZNS1_25segmented_radix_sort_implINS0_14default_configELb1EPKaPaPKlPlN2at6native12_GLOBAL__N_18offset_tEEE10hipError_tPvRmT1_PNSt15iterator_traitsIS12_E10value_typeET2_T3_PNS13_IS18_E10value_typeET4_jRbjT5_S1E_jjP12ihipStream_tbEUljE_ZNSN_ISO_Lb1ESQ_SR_ST_SU_SY_EESZ_S10_S11_S12_S16_S17_S18_S1B_S1C_jS1D_jS1E_S1E_jjS1G_bEUljE0_EEESZ_S10_S11_S18_S1C_S1E_T6_T7_T9_mT8_S1G_bDpT10_ENKUlT_T0_E_clISt17integral_constantIbLb1EES1T_IbLb0EEEEDaS1P_S1Q_EUlS1P_E_NS1_11comp_targetILNS1_3genE10ELNS1_11target_archE1200ELNS1_3gpuE4ELNS1_3repE0EEENS1_30default_config_static_selectorELNS0_4arch9wavefront6targetE1EEEvS12_
                                        ; -- End function
	.set _ZN7rocprim17ROCPRIM_400000_NS6detail17trampoline_kernelINS0_13select_configILj256ELj13ELNS0_17block_load_methodE3ELS4_3ELS4_3ELNS0_20block_scan_algorithmE0ELj4294967295EEENS1_25partition_config_selectorILNS1_17partition_subalgoE4EjNS0_10empty_typeEbEEZZNS1_14partition_implILS8_4ELb0ES6_15HIP_vector_typeIjLj2EENS0_17counting_iteratorIjlEEPS9_SG_NS0_5tupleIJPjSI_NS0_16reverse_iteratorISI_EEEEENSH_IJSG_SG_SG_EEES9_SI_JZNS1_25segmented_radix_sort_implINS0_14default_configELb1EPKaPaPKlPlN2at6native12_GLOBAL__N_18offset_tEEE10hipError_tPvRmT1_PNSt15iterator_traitsIS12_E10value_typeET2_T3_PNS13_IS18_E10value_typeET4_jRbjT5_S1E_jjP12ihipStream_tbEUljE_ZNSN_ISO_Lb1ESQ_SR_ST_SU_SY_EESZ_S10_S11_S12_S16_S17_S18_S1B_S1C_jS1D_jS1E_S1E_jjS1G_bEUljE0_EEESZ_S10_S11_S18_S1C_S1E_T6_T7_T9_mT8_S1G_bDpT10_ENKUlT_T0_E_clISt17integral_constantIbLb1EES1T_IbLb0EEEEDaS1P_S1Q_EUlS1P_E_NS1_11comp_targetILNS1_3genE10ELNS1_11target_archE1200ELNS1_3gpuE4ELNS1_3repE0EEENS1_30default_config_static_selectorELNS0_4arch9wavefront6targetE1EEEvS12_.num_vgpr, 0
	.set _ZN7rocprim17ROCPRIM_400000_NS6detail17trampoline_kernelINS0_13select_configILj256ELj13ELNS0_17block_load_methodE3ELS4_3ELS4_3ELNS0_20block_scan_algorithmE0ELj4294967295EEENS1_25partition_config_selectorILNS1_17partition_subalgoE4EjNS0_10empty_typeEbEEZZNS1_14partition_implILS8_4ELb0ES6_15HIP_vector_typeIjLj2EENS0_17counting_iteratorIjlEEPS9_SG_NS0_5tupleIJPjSI_NS0_16reverse_iteratorISI_EEEEENSH_IJSG_SG_SG_EEES9_SI_JZNS1_25segmented_radix_sort_implINS0_14default_configELb1EPKaPaPKlPlN2at6native12_GLOBAL__N_18offset_tEEE10hipError_tPvRmT1_PNSt15iterator_traitsIS12_E10value_typeET2_T3_PNS13_IS18_E10value_typeET4_jRbjT5_S1E_jjP12ihipStream_tbEUljE_ZNSN_ISO_Lb1ESQ_SR_ST_SU_SY_EESZ_S10_S11_S12_S16_S17_S18_S1B_S1C_jS1D_jS1E_S1E_jjS1G_bEUljE0_EEESZ_S10_S11_S18_S1C_S1E_T6_T7_T9_mT8_S1G_bDpT10_ENKUlT_T0_E_clISt17integral_constantIbLb1EES1T_IbLb0EEEEDaS1P_S1Q_EUlS1P_E_NS1_11comp_targetILNS1_3genE10ELNS1_11target_archE1200ELNS1_3gpuE4ELNS1_3repE0EEENS1_30default_config_static_selectorELNS0_4arch9wavefront6targetE1EEEvS12_.num_agpr, 0
	.set _ZN7rocprim17ROCPRIM_400000_NS6detail17trampoline_kernelINS0_13select_configILj256ELj13ELNS0_17block_load_methodE3ELS4_3ELS4_3ELNS0_20block_scan_algorithmE0ELj4294967295EEENS1_25partition_config_selectorILNS1_17partition_subalgoE4EjNS0_10empty_typeEbEEZZNS1_14partition_implILS8_4ELb0ES6_15HIP_vector_typeIjLj2EENS0_17counting_iteratorIjlEEPS9_SG_NS0_5tupleIJPjSI_NS0_16reverse_iteratorISI_EEEEENSH_IJSG_SG_SG_EEES9_SI_JZNS1_25segmented_radix_sort_implINS0_14default_configELb1EPKaPaPKlPlN2at6native12_GLOBAL__N_18offset_tEEE10hipError_tPvRmT1_PNSt15iterator_traitsIS12_E10value_typeET2_T3_PNS13_IS18_E10value_typeET4_jRbjT5_S1E_jjP12ihipStream_tbEUljE_ZNSN_ISO_Lb1ESQ_SR_ST_SU_SY_EESZ_S10_S11_S12_S16_S17_S18_S1B_S1C_jS1D_jS1E_S1E_jjS1G_bEUljE0_EEESZ_S10_S11_S18_S1C_S1E_T6_T7_T9_mT8_S1G_bDpT10_ENKUlT_T0_E_clISt17integral_constantIbLb1EES1T_IbLb0EEEEDaS1P_S1Q_EUlS1P_E_NS1_11comp_targetILNS1_3genE10ELNS1_11target_archE1200ELNS1_3gpuE4ELNS1_3repE0EEENS1_30default_config_static_selectorELNS0_4arch9wavefront6targetE1EEEvS12_.numbered_sgpr, 0
	.set _ZN7rocprim17ROCPRIM_400000_NS6detail17trampoline_kernelINS0_13select_configILj256ELj13ELNS0_17block_load_methodE3ELS4_3ELS4_3ELNS0_20block_scan_algorithmE0ELj4294967295EEENS1_25partition_config_selectorILNS1_17partition_subalgoE4EjNS0_10empty_typeEbEEZZNS1_14partition_implILS8_4ELb0ES6_15HIP_vector_typeIjLj2EENS0_17counting_iteratorIjlEEPS9_SG_NS0_5tupleIJPjSI_NS0_16reverse_iteratorISI_EEEEENSH_IJSG_SG_SG_EEES9_SI_JZNS1_25segmented_radix_sort_implINS0_14default_configELb1EPKaPaPKlPlN2at6native12_GLOBAL__N_18offset_tEEE10hipError_tPvRmT1_PNSt15iterator_traitsIS12_E10value_typeET2_T3_PNS13_IS18_E10value_typeET4_jRbjT5_S1E_jjP12ihipStream_tbEUljE_ZNSN_ISO_Lb1ESQ_SR_ST_SU_SY_EESZ_S10_S11_S12_S16_S17_S18_S1B_S1C_jS1D_jS1E_S1E_jjS1G_bEUljE0_EEESZ_S10_S11_S18_S1C_S1E_T6_T7_T9_mT8_S1G_bDpT10_ENKUlT_T0_E_clISt17integral_constantIbLb1EES1T_IbLb0EEEEDaS1P_S1Q_EUlS1P_E_NS1_11comp_targetILNS1_3genE10ELNS1_11target_archE1200ELNS1_3gpuE4ELNS1_3repE0EEENS1_30default_config_static_selectorELNS0_4arch9wavefront6targetE1EEEvS12_.num_named_barrier, 0
	.set _ZN7rocprim17ROCPRIM_400000_NS6detail17trampoline_kernelINS0_13select_configILj256ELj13ELNS0_17block_load_methodE3ELS4_3ELS4_3ELNS0_20block_scan_algorithmE0ELj4294967295EEENS1_25partition_config_selectorILNS1_17partition_subalgoE4EjNS0_10empty_typeEbEEZZNS1_14partition_implILS8_4ELb0ES6_15HIP_vector_typeIjLj2EENS0_17counting_iteratorIjlEEPS9_SG_NS0_5tupleIJPjSI_NS0_16reverse_iteratorISI_EEEEENSH_IJSG_SG_SG_EEES9_SI_JZNS1_25segmented_radix_sort_implINS0_14default_configELb1EPKaPaPKlPlN2at6native12_GLOBAL__N_18offset_tEEE10hipError_tPvRmT1_PNSt15iterator_traitsIS12_E10value_typeET2_T3_PNS13_IS18_E10value_typeET4_jRbjT5_S1E_jjP12ihipStream_tbEUljE_ZNSN_ISO_Lb1ESQ_SR_ST_SU_SY_EESZ_S10_S11_S12_S16_S17_S18_S1B_S1C_jS1D_jS1E_S1E_jjS1G_bEUljE0_EEESZ_S10_S11_S18_S1C_S1E_T6_T7_T9_mT8_S1G_bDpT10_ENKUlT_T0_E_clISt17integral_constantIbLb1EES1T_IbLb0EEEEDaS1P_S1Q_EUlS1P_E_NS1_11comp_targetILNS1_3genE10ELNS1_11target_archE1200ELNS1_3gpuE4ELNS1_3repE0EEENS1_30default_config_static_selectorELNS0_4arch9wavefront6targetE1EEEvS12_.private_seg_size, 0
	.set _ZN7rocprim17ROCPRIM_400000_NS6detail17trampoline_kernelINS0_13select_configILj256ELj13ELNS0_17block_load_methodE3ELS4_3ELS4_3ELNS0_20block_scan_algorithmE0ELj4294967295EEENS1_25partition_config_selectorILNS1_17partition_subalgoE4EjNS0_10empty_typeEbEEZZNS1_14partition_implILS8_4ELb0ES6_15HIP_vector_typeIjLj2EENS0_17counting_iteratorIjlEEPS9_SG_NS0_5tupleIJPjSI_NS0_16reverse_iteratorISI_EEEEENSH_IJSG_SG_SG_EEES9_SI_JZNS1_25segmented_radix_sort_implINS0_14default_configELb1EPKaPaPKlPlN2at6native12_GLOBAL__N_18offset_tEEE10hipError_tPvRmT1_PNSt15iterator_traitsIS12_E10value_typeET2_T3_PNS13_IS18_E10value_typeET4_jRbjT5_S1E_jjP12ihipStream_tbEUljE_ZNSN_ISO_Lb1ESQ_SR_ST_SU_SY_EESZ_S10_S11_S12_S16_S17_S18_S1B_S1C_jS1D_jS1E_S1E_jjS1G_bEUljE0_EEESZ_S10_S11_S18_S1C_S1E_T6_T7_T9_mT8_S1G_bDpT10_ENKUlT_T0_E_clISt17integral_constantIbLb1EES1T_IbLb0EEEEDaS1P_S1Q_EUlS1P_E_NS1_11comp_targetILNS1_3genE10ELNS1_11target_archE1200ELNS1_3gpuE4ELNS1_3repE0EEENS1_30default_config_static_selectorELNS0_4arch9wavefront6targetE1EEEvS12_.uses_vcc, 0
	.set _ZN7rocprim17ROCPRIM_400000_NS6detail17trampoline_kernelINS0_13select_configILj256ELj13ELNS0_17block_load_methodE3ELS4_3ELS4_3ELNS0_20block_scan_algorithmE0ELj4294967295EEENS1_25partition_config_selectorILNS1_17partition_subalgoE4EjNS0_10empty_typeEbEEZZNS1_14partition_implILS8_4ELb0ES6_15HIP_vector_typeIjLj2EENS0_17counting_iteratorIjlEEPS9_SG_NS0_5tupleIJPjSI_NS0_16reverse_iteratorISI_EEEEENSH_IJSG_SG_SG_EEES9_SI_JZNS1_25segmented_radix_sort_implINS0_14default_configELb1EPKaPaPKlPlN2at6native12_GLOBAL__N_18offset_tEEE10hipError_tPvRmT1_PNSt15iterator_traitsIS12_E10value_typeET2_T3_PNS13_IS18_E10value_typeET4_jRbjT5_S1E_jjP12ihipStream_tbEUljE_ZNSN_ISO_Lb1ESQ_SR_ST_SU_SY_EESZ_S10_S11_S12_S16_S17_S18_S1B_S1C_jS1D_jS1E_S1E_jjS1G_bEUljE0_EEESZ_S10_S11_S18_S1C_S1E_T6_T7_T9_mT8_S1G_bDpT10_ENKUlT_T0_E_clISt17integral_constantIbLb1EES1T_IbLb0EEEEDaS1P_S1Q_EUlS1P_E_NS1_11comp_targetILNS1_3genE10ELNS1_11target_archE1200ELNS1_3gpuE4ELNS1_3repE0EEENS1_30default_config_static_selectorELNS0_4arch9wavefront6targetE1EEEvS12_.uses_flat_scratch, 0
	.set _ZN7rocprim17ROCPRIM_400000_NS6detail17trampoline_kernelINS0_13select_configILj256ELj13ELNS0_17block_load_methodE3ELS4_3ELS4_3ELNS0_20block_scan_algorithmE0ELj4294967295EEENS1_25partition_config_selectorILNS1_17partition_subalgoE4EjNS0_10empty_typeEbEEZZNS1_14partition_implILS8_4ELb0ES6_15HIP_vector_typeIjLj2EENS0_17counting_iteratorIjlEEPS9_SG_NS0_5tupleIJPjSI_NS0_16reverse_iteratorISI_EEEEENSH_IJSG_SG_SG_EEES9_SI_JZNS1_25segmented_radix_sort_implINS0_14default_configELb1EPKaPaPKlPlN2at6native12_GLOBAL__N_18offset_tEEE10hipError_tPvRmT1_PNSt15iterator_traitsIS12_E10value_typeET2_T3_PNS13_IS18_E10value_typeET4_jRbjT5_S1E_jjP12ihipStream_tbEUljE_ZNSN_ISO_Lb1ESQ_SR_ST_SU_SY_EESZ_S10_S11_S12_S16_S17_S18_S1B_S1C_jS1D_jS1E_S1E_jjS1G_bEUljE0_EEESZ_S10_S11_S18_S1C_S1E_T6_T7_T9_mT8_S1G_bDpT10_ENKUlT_T0_E_clISt17integral_constantIbLb1EES1T_IbLb0EEEEDaS1P_S1Q_EUlS1P_E_NS1_11comp_targetILNS1_3genE10ELNS1_11target_archE1200ELNS1_3gpuE4ELNS1_3repE0EEENS1_30default_config_static_selectorELNS0_4arch9wavefront6targetE1EEEvS12_.has_dyn_sized_stack, 0
	.set _ZN7rocprim17ROCPRIM_400000_NS6detail17trampoline_kernelINS0_13select_configILj256ELj13ELNS0_17block_load_methodE3ELS4_3ELS4_3ELNS0_20block_scan_algorithmE0ELj4294967295EEENS1_25partition_config_selectorILNS1_17partition_subalgoE4EjNS0_10empty_typeEbEEZZNS1_14partition_implILS8_4ELb0ES6_15HIP_vector_typeIjLj2EENS0_17counting_iteratorIjlEEPS9_SG_NS0_5tupleIJPjSI_NS0_16reverse_iteratorISI_EEEEENSH_IJSG_SG_SG_EEES9_SI_JZNS1_25segmented_radix_sort_implINS0_14default_configELb1EPKaPaPKlPlN2at6native12_GLOBAL__N_18offset_tEEE10hipError_tPvRmT1_PNSt15iterator_traitsIS12_E10value_typeET2_T3_PNS13_IS18_E10value_typeET4_jRbjT5_S1E_jjP12ihipStream_tbEUljE_ZNSN_ISO_Lb1ESQ_SR_ST_SU_SY_EESZ_S10_S11_S12_S16_S17_S18_S1B_S1C_jS1D_jS1E_S1E_jjS1G_bEUljE0_EEESZ_S10_S11_S18_S1C_S1E_T6_T7_T9_mT8_S1G_bDpT10_ENKUlT_T0_E_clISt17integral_constantIbLb1EES1T_IbLb0EEEEDaS1P_S1Q_EUlS1P_E_NS1_11comp_targetILNS1_3genE10ELNS1_11target_archE1200ELNS1_3gpuE4ELNS1_3repE0EEENS1_30default_config_static_selectorELNS0_4arch9wavefront6targetE1EEEvS12_.has_recursion, 0
	.set _ZN7rocprim17ROCPRIM_400000_NS6detail17trampoline_kernelINS0_13select_configILj256ELj13ELNS0_17block_load_methodE3ELS4_3ELS4_3ELNS0_20block_scan_algorithmE0ELj4294967295EEENS1_25partition_config_selectorILNS1_17partition_subalgoE4EjNS0_10empty_typeEbEEZZNS1_14partition_implILS8_4ELb0ES6_15HIP_vector_typeIjLj2EENS0_17counting_iteratorIjlEEPS9_SG_NS0_5tupleIJPjSI_NS0_16reverse_iteratorISI_EEEEENSH_IJSG_SG_SG_EEES9_SI_JZNS1_25segmented_radix_sort_implINS0_14default_configELb1EPKaPaPKlPlN2at6native12_GLOBAL__N_18offset_tEEE10hipError_tPvRmT1_PNSt15iterator_traitsIS12_E10value_typeET2_T3_PNS13_IS18_E10value_typeET4_jRbjT5_S1E_jjP12ihipStream_tbEUljE_ZNSN_ISO_Lb1ESQ_SR_ST_SU_SY_EESZ_S10_S11_S12_S16_S17_S18_S1B_S1C_jS1D_jS1E_S1E_jjS1G_bEUljE0_EEESZ_S10_S11_S18_S1C_S1E_T6_T7_T9_mT8_S1G_bDpT10_ENKUlT_T0_E_clISt17integral_constantIbLb1EES1T_IbLb0EEEEDaS1P_S1Q_EUlS1P_E_NS1_11comp_targetILNS1_3genE10ELNS1_11target_archE1200ELNS1_3gpuE4ELNS1_3repE0EEENS1_30default_config_static_selectorELNS0_4arch9wavefront6targetE1EEEvS12_.has_indirect_call, 0
	.section	.AMDGPU.csdata,"",@progbits
; Kernel info:
; codeLenInByte = 0
; TotalNumSgprs: 4
; NumVgprs: 0
; ScratchSize: 0
; MemoryBound: 0
; FloatMode: 240
; IeeeMode: 1
; LDSByteSize: 0 bytes/workgroup (compile time only)
; SGPRBlocks: 0
; VGPRBlocks: 0
; NumSGPRsForWavesPerEU: 4
; NumVGPRsForWavesPerEU: 1
; Occupancy: 10
; WaveLimiterHint : 0
; COMPUTE_PGM_RSRC2:SCRATCH_EN: 0
; COMPUTE_PGM_RSRC2:USER_SGPR: 6
; COMPUTE_PGM_RSRC2:TRAP_HANDLER: 0
; COMPUTE_PGM_RSRC2:TGID_X_EN: 1
; COMPUTE_PGM_RSRC2:TGID_Y_EN: 0
; COMPUTE_PGM_RSRC2:TGID_Z_EN: 0
; COMPUTE_PGM_RSRC2:TIDIG_COMP_CNT: 0
	.section	.text._ZN7rocprim17ROCPRIM_400000_NS6detail17trampoline_kernelINS0_13select_configILj256ELj13ELNS0_17block_load_methodE3ELS4_3ELS4_3ELNS0_20block_scan_algorithmE0ELj4294967295EEENS1_25partition_config_selectorILNS1_17partition_subalgoE4EjNS0_10empty_typeEbEEZZNS1_14partition_implILS8_4ELb0ES6_15HIP_vector_typeIjLj2EENS0_17counting_iteratorIjlEEPS9_SG_NS0_5tupleIJPjSI_NS0_16reverse_iteratorISI_EEEEENSH_IJSG_SG_SG_EEES9_SI_JZNS1_25segmented_radix_sort_implINS0_14default_configELb1EPKaPaPKlPlN2at6native12_GLOBAL__N_18offset_tEEE10hipError_tPvRmT1_PNSt15iterator_traitsIS12_E10value_typeET2_T3_PNS13_IS18_E10value_typeET4_jRbjT5_S1E_jjP12ihipStream_tbEUljE_ZNSN_ISO_Lb1ESQ_SR_ST_SU_SY_EESZ_S10_S11_S12_S16_S17_S18_S1B_S1C_jS1D_jS1E_S1E_jjS1G_bEUljE0_EEESZ_S10_S11_S18_S1C_S1E_T6_T7_T9_mT8_S1G_bDpT10_ENKUlT_T0_E_clISt17integral_constantIbLb1EES1T_IbLb0EEEEDaS1P_S1Q_EUlS1P_E_NS1_11comp_targetILNS1_3genE9ELNS1_11target_archE1100ELNS1_3gpuE3ELNS1_3repE0EEENS1_30default_config_static_selectorELNS0_4arch9wavefront6targetE1EEEvS12_,"axG",@progbits,_ZN7rocprim17ROCPRIM_400000_NS6detail17trampoline_kernelINS0_13select_configILj256ELj13ELNS0_17block_load_methodE3ELS4_3ELS4_3ELNS0_20block_scan_algorithmE0ELj4294967295EEENS1_25partition_config_selectorILNS1_17partition_subalgoE4EjNS0_10empty_typeEbEEZZNS1_14partition_implILS8_4ELb0ES6_15HIP_vector_typeIjLj2EENS0_17counting_iteratorIjlEEPS9_SG_NS0_5tupleIJPjSI_NS0_16reverse_iteratorISI_EEEEENSH_IJSG_SG_SG_EEES9_SI_JZNS1_25segmented_radix_sort_implINS0_14default_configELb1EPKaPaPKlPlN2at6native12_GLOBAL__N_18offset_tEEE10hipError_tPvRmT1_PNSt15iterator_traitsIS12_E10value_typeET2_T3_PNS13_IS18_E10value_typeET4_jRbjT5_S1E_jjP12ihipStream_tbEUljE_ZNSN_ISO_Lb1ESQ_SR_ST_SU_SY_EESZ_S10_S11_S12_S16_S17_S18_S1B_S1C_jS1D_jS1E_S1E_jjS1G_bEUljE0_EEESZ_S10_S11_S18_S1C_S1E_T6_T7_T9_mT8_S1G_bDpT10_ENKUlT_T0_E_clISt17integral_constantIbLb1EES1T_IbLb0EEEEDaS1P_S1Q_EUlS1P_E_NS1_11comp_targetILNS1_3genE9ELNS1_11target_archE1100ELNS1_3gpuE3ELNS1_3repE0EEENS1_30default_config_static_selectorELNS0_4arch9wavefront6targetE1EEEvS12_,comdat
	.globl	_ZN7rocprim17ROCPRIM_400000_NS6detail17trampoline_kernelINS0_13select_configILj256ELj13ELNS0_17block_load_methodE3ELS4_3ELS4_3ELNS0_20block_scan_algorithmE0ELj4294967295EEENS1_25partition_config_selectorILNS1_17partition_subalgoE4EjNS0_10empty_typeEbEEZZNS1_14partition_implILS8_4ELb0ES6_15HIP_vector_typeIjLj2EENS0_17counting_iteratorIjlEEPS9_SG_NS0_5tupleIJPjSI_NS0_16reverse_iteratorISI_EEEEENSH_IJSG_SG_SG_EEES9_SI_JZNS1_25segmented_radix_sort_implINS0_14default_configELb1EPKaPaPKlPlN2at6native12_GLOBAL__N_18offset_tEEE10hipError_tPvRmT1_PNSt15iterator_traitsIS12_E10value_typeET2_T3_PNS13_IS18_E10value_typeET4_jRbjT5_S1E_jjP12ihipStream_tbEUljE_ZNSN_ISO_Lb1ESQ_SR_ST_SU_SY_EESZ_S10_S11_S12_S16_S17_S18_S1B_S1C_jS1D_jS1E_S1E_jjS1G_bEUljE0_EEESZ_S10_S11_S18_S1C_S1E_T6_T7_T9_mT8_S1G_bDpT10_ENKUlT_T0_E_clISt17integral_constantIbLb1EES1T_IbLb0EEEEDaS1P_S1Q_EUlS1P_E_NS1_11comp_targetILNS1_3genE9ELNS1_11target_archE1100ELNS1_3gpuE3ELNS1_3repE0EEENS1_30default_config_static_selectorELNS0_4arch9wavefront6targetE1EEEvS12_ ; -- Begin function _ZN7rocprim17ROCPRIM_400000_NS6detail17trampoline_kernelINS0_13select_configILj256ELj13ELNS0_17block_load_methodE3ELS4_3ELS4_3ELNS0_20block_scan_algorithmE0ELj4294967295EEENS1_25partition_config_selectorILNS1_17partition_subalgoE4EjNS0_10empty_typeEbEEZZNS1_14partition_implILS8_4ELb0ES6_15HIP_vector_typeIjLj2EENS0_17counting_iteratorIjlEEPS9_SG_NS0_5tupleIJPjSI_NS0_16reverse_iteratorISI_EEEEENSH_IJSG_SG_SG_EEES9_SI_JZNS1_25segmented_radix_sort_implINS0_14default_configELb1EPKaPaPKlPlN2at6native12_GLOBAL__N_18offset_tEEE10hipError_tPvRmT1_PNSt15iterator_traitsIS12_E10value_typeET2_T3_PNS13_IS18_E10value_typeET4_jRbjT5_S1E_jjP12ihipStream_tbEUljE_ZNSN_ISO_Lb1ESQ_SR_ST_SU_SY_EESZ_S10_S11_S12_S16_S17_S18_S1B_S1C_jS1D_jS1E_S1E_jjS1G_bEUljE0_EEESZ_S10_S11_S18_S1C_S1E_T6_T7_T9_mT8_S1G_bDpT10_ENKUlT_T0_E_clISt17integral_constantIbLb1EES1T_IbLb0EEEEDaS1P_S1Q_EUlS1P_E_NS1_11comp_targetILNS1_3genE9ELNS1_11target_archE1100ELNS1_3gpuE3ELNS1_3repE0EEENS1_30default_config_static_selectorELNS0_4arch9wavefront6targetE1EEEvS12_
	.p2align	8
	.type	_ZN7rocprim17ROCPRIM_400000_NS6detail17trampoline_kernelINS0_13select_configILj256ELj13ELNS0_17block_load_methodE3ELS4_3ELS4_3ELNS0_20block_scan_algorithmE0ELj4294967295EEENS1_25partition_config_selectorILNS1_17partition_subalgoE4EjNS0_10empty_typeEbEEZZNS1_14partition_implILS8_4ELb0ES6_15HIP_vector_typeIjLj2EENS0_17counting_iteratorIjlEEPS9_SG_NS0_5tupleIJPjSI_NS0_16reverse_iteratorISI_EEEEENSH_IJSG_SG_SG_EEES9_SI_JZNS1_25segmented_radix_sort_implINS0_14default_configELb1EPKaPaPKlPlN2at6native12_GLOBAL__N_18offset_tEEE10hipError_tPvRmT1_PNSt15iterator_traitsIS12_E10value_typeET2_T3_PNS13_IS18_E10value_typeET4_jRbjT5_S1E_jjP12ihipStream_tbEUljE_ZNSN_ISO_Lb1ESQ_SR_ST_SU_SY_EESZ_S10_S11_S12_S16_S17_S18_S1B_S1C_jS1D_jS1E_S1E_jjS1G_bEUljE0_EEESZ_S10_S11_S18_S1C_S1E_T6_T7_T9_mT8_S1G_bDpT10_ENKUlT_T0_E_clISt17integral_constantIbLb1EES1T_IbLb0EEEEDaS1P_S1Q_EUlS1P_E_NS1_11comp_targetILNS1_3genE9ELNS1_11target_archE1100ELNS1_3gpuE3ELNS1_3repE0EEENS1_30default_config_static_selectorELNS0_4arch9wavefront6targetE1EEEvS12_,@function
_ZN7rocprim17ROCPRIM_400000_NS6detail17trampoline_kernelINS0_13select_configILj256ELj13ELNS0_17block_load_methodE3ELS4_3ELS4_3ELNS0_20block_scan_algorithmE0ELj4294967295EEENS1_25partition_config_selectorILNS1_17partition_subalgoE4EjNS0_10empty_typeEbEEZZNS1_14partition_implILS8_4ELb0ES6_15HIP_vector_typeIjLj2EENS0_17counting_iteratorIjlEEPS9_SG_NS0_5tupleIJPjSI_NS0_16reverse_iteratorISI_EEEEENSH_IJSG_SG_SG_EEES9_SI_JZNS1_25segmented_radix_sort_implINS0_14default_configELb1EPKaPaPKlPlN2at6native12_GLOBAL__N_18offset_tEEE10hipError_tPvRmT1_PNSt15iterator_traitsIS12_E10value_typeET2_T3_PNS13_IS18_E10value_typeET4_jRbjT5_S1E_jjP12ihipStream_tbEUljE_ZNSN_ISO_Lb1ESQ_SR_ST_SU_SY_EESZ_S10_S11_S12_S16_S17_S18_S1B_S1C_jS1D_jS1E_S1E_jjS1G_bEUljE0_EEESZ_S10_S11_S18_S1C_S1E_T6_T7_T9_mT8_S1G_bDpT10_ENKUlT_T0_E_clISt17integral_constantIbLb1EES1T_IbLb0EEEEDaS1P_S1Q_EUlS1P_E_NS1_11comp_targetILNS1_3genE9ELNS1_11target_archE1100ELNS1_3gpuE3ELNS1_3repE0EEENS1_30default_config_static_selectorELNS0_4arch9wavefront6targetE1EEEvS12_: ; @_ZN7rocprim17ROCPRIM_400000_NS6detail17trampoline_kernelINS0_13select_configILj256ELj13ELNS0_17block_load_methodE3ELS4_3ELS4_3ELNS0_20block_scan_algorithmE0ELj4294967295EEENS1_25partition_config_selectorILNS1_17partition_subalgoE4EjNS0_10empty_typeEbEEZZNS1_14partition_implILS8_4ELb0ES6_15HIP_vector_typeIjLj2EENS0_17counting_iteratorIjlEEPS9_SG_NS0_5tupleIJPjSI_NS0_16reverse_iteratorISI_EEEEENSH_IJSG_SG_SG_EEES9_SI_JZNS1_25segmented_radix_sort_implINS0_14default_configELb1EPKaPaPKlPlN2at6native12_GLOBAL__N_18offset_tEEE10hipError_tPvRmT1_PNSt15iterator_traitsIS12_E10value_typeET2_T3_PNS13_IS18_E10value_typeET4_jRbjT5_S1E_jjP12ihipStream_tbEUljE_ZNSN_ISO_Lb1ESQ_SR_ST_SU_SY_EESZ_S10_S11_S12_S16_S17_S18_S1B_S1C_jS1D_jS1E_S1E_jjS1G_bEUljE0_EEESZ_S10_S11_S18_S1C_S1E_T6_T7_T9_mT8_S1G_bDpT10_ENKUlT_T0_E_clISt17integral_constantIbLb1EES1T_IbLb0EEEEDaS1P_S1Q_EUlS1P_E_NS1_11comp_targetILNS1_3genE9ELNS1_11target_archE1100ELNS1_3gpuE3ELNS1_3repE0EEENS1_30default_config_static_selectorELNS0_4arch9wavefront6targetE1EEEvS12_
; %bb.0:
	.section	.rodata,"a",@progbits
	.p2align	6, 0x0
	.amdhsa_kernel _ZN7rocprim17ROCPRIM_400000_NS6detail17trampoline_kernelINS0_13select_configILj256ELj13ELNS0_17block_load_methodE3ELS4_3ELS4_3ELNS0_20block_scan_algorithmE0ELj4294967295EEENS1_25partition_config_selectorILNS1_17partition_subalgoE4EjNS0_10empty_typeEbEEZZNS1_14partition_implILS8_4ELb0ES6_15HIP_vector_typeIjLj2EENS0_17counting_iteratorIjlEEPS9_SG_NS0_5tupleIJPjSI_NS0_16reverse_iteratorISI_EEEEENSH_IJSG_SG_SG_EEES9_SI_JZNS1_25segmented_radix_sort_implINS0_14default_configELb1EPKaPaPKlPlN2at6native12_GLOBAL__N_18offset_tEEE10hipError_tPvRmT1_PNSt15iterator_traitsIS12_E10value_typeET2_T3_PNS13_IS18_E10value_typeET4_jRbjT5_S1E_jjP12ihipStream_tbEUljE_ZNSN_ISO_Lb1ESQ_SR_ST_SU_SY_EESZ_S10_S11_S12_S16_S17_S18_S1B_S1C_jS1D_jS1E_S1E_jjS1G_bEUljE0_EEESZ_S10_S11_S18_S1C_S1E_T6_T7_T9_mT8_S1G_bDpT10_ENKUlT_T0_E_clISt17integral_constantIbLb1EES1T_IbLb0EEEEDaS1P_S1Q_EUlS1P_E_NS1_11comp_targetILNS1_3genE9ELNS1_11target_archE1100ELNS1_3gpuE3ELNS1_3repE0EEENS1_30default_config_static_selectorELNS0_4arch9wavefront6targetE1EEEvS12_
		.amdhsa_group_segment_fixed_size 0
		.amdhsa_private_segment_fixed_size 0
		.amdhsa_kernarg_size 176
		.amdhsa_user_sgpr_count 6
		.amdhsa_user_sgpr_private_segment_buffer 1
		.amdhsa_user_sgpr_dispatch_ptr 0
		.amdhsa_user_sgpr_queue_ptr 0
		.amdhsa_user_sgpr_kernarg_segment_ptr 1
		.amdhsa_user_sgpr_dispatch_id 0
		.amdhsa_user_sgpr_flat_scratch_init 0
		.amdhsa_user_sgpr_private_segment_size 0
		.amdhsa_uses_dynamic_stack 0
		.amdhsa_system_sgpr_private_segment_wavefront_offset 0
		.amdhsa_system_sgpr_workgroup_id_x 1
		.amdhsa_system_sgpr_workgroup_id_y 0
		.amdhsa_system_sgpr_workgroup_id_z 0
		.amdhsa_system_sgpr_workgroup_info 0
		.amdhsa_system_vgpr_workitem_id 0
		.amdhsa_next_free_vgpr 1
		.amdhsa_next_free_sgpr 0
		.amdhsa_reserve_vcc 0
		.amdhsa_reserve_flat_scratch 0
		.amdhsa_float_round_mode_32 0
		.amdhsa_float_round_mode_16_64 0
		.amdhsa_float_denorm_mode_32 3
		.amdhsa_float_denorm_mode_16_64 3
		.amdhsa_dx10_clamp 1
		.amdhsa_ieee_mode 1
		.amdhsa_fp16_overflow 0
		.amdhsa_exception_fp_ieee_invalid_op 0
		.amdhsa_exception_fp_denorm_src 0
		.amdhsa_exception_fp_ieee_div_zero 0
		.amdhsa_exception_fp_ieee_overflow 0
		.amdhsa_exception_fp_ieee_underflow 0
		.amdhsa_exception_fp_ieee_inexact 0
		.amdhsa_exception_int_div_zero 0
	.end_amdhsa_kernel
	.section	.text._ZN7rocprim17ROCPRIM_400000_NS6detail17trampoline_kernelINS0_13select_configILj256ELj13ELNS0_17block_load_methodE3ELS4_3ELS4_3ELNS0_20block_scan_algorithmE0ELj4294967295EEENS1_25partition_config_selectorILNS1_17partition_subalgoE4EjNS0_10empty_typeEbEEZZNS1_14partition_implILS8_4ELb0ES6_15HIP_vector_typeIjLj2EENS0_17counting_iteratorIjlEEPS9_SG_NS0_5tupleIJPjSI_NS0_16reverse_iteratorISI_EEEEENSH_IJSG_SG_SG_EEES9_SI_JZNS1_25segmented_radix_sort_implINS0_14default_configELb1EPKaPaPKlPlN2at6native12_GLOBAL__N_18offset_tEEE10hipError_tPvRmT1_PNSt15iterator_traitsIS12_E10value_typeET2_T3_PNS13_IS18_E10value_typeET4_jRbjT5_S1E_jjP12ihipStream_tbEUljE_ZNSN_ISO_Lb1ESQ_SR_ST_SU_SY_EESZ_S10_S11_S12_S16_S17_S18_S1B_S1C_jS1D_jS1E_S1E_jjS1G_bEUljE0_EEESZ_S10_S11_S18_S1C_S1E_T6_T7_T9_mT8_S1G_bDpT10_ENKUlT_T0_E_clISt17integral_constantIbLb1EES1T_IbLb0EEEEDaS1P_S1Q_EUlS1P_E_NS1_11comp_targetILNS1_3genE9ELNS1_11target_archE1100ELNS1_3gpuE3ELNS1_3repE0EEENS1_30default_config_static_selectorELNS0_4arch9wavefront6targetE1EEEvS12_,"axG",@progbits,_ZN7rocprim17ROCPRIM_400000_NS6detail17trampoline_kernelINS0_13select_configILj256ELj13ELNS0_17block_load_methodE3ELS4_3ELS4_3ELNS0_20block_scan_algorithmE0ELj4294967295EEENS1_25partition_config_selectorILNS1_17partition_subalgoE4EjNS0_10empty_typeEbEEZZNS1_14partition_implILS8_4ELb0ES6_15HIP_vector_typeIjLj2EENS0_17counting_iteratorIjlEEPS9_SG_NS0_5tupleIJPjSI_NS0_16reverse_iteratorISI_EEEEENSH_IJSG_SG_SG_EEES9_SI_JZNS1_25segmented_radix_sort_implINS0_14default_configELb1EPKaPaPKlPlN2at6native12_GLOBAL__N_18offset_tEEE10hipError_tPvRmT1_PNSt15iterator_traitsIS12_E10value_typeET2_T3_PNS13_IS18_E10value_typeET4_jRbjT5_S1E_jjP12ihipStream_tbEUljE_ZNSN_ISO_Lb1ESQ_SR_ST_SU_SY_EESZ_S10_S11_S12_S16_S17_S18_S1B_S1C_jS1D_jS1E_S1E_jjS1G_bEUljE0_EEESZ_S10_S11_S18_S1C_S1E_T6_T7_T9_mT8_S1G_bDpT10_ENKUlT_T0_E_clISt17integral_constantIbLb1EES1T_IbLb0EEEEDaS1P_S1Q_EUlS1P_E_NS1_11comp_targetILNS1_3genE9ELNS1_11target_archE1100ELNS1_3gpuE3ELNS1_3repE0EEENS1_30default_config_static_selectorELNS0_4arch9wavefront6targetE1EEEvS12_,comdat
.Lfunc_end248:
	.size	_ZN7rocprim17ROCPRIM_400000_NS6detail17trampoline_kernelINS0_13select_configILj256ELj13ELNS0_17block_load_methodE3ELS4_3ELS4_3ELNS0_20block_scan_algorithmE0ELj4294967295EEENS1_25partition_config_selectorILNS1_17partition_subalgoE4EjNS0_10empty_typeEbEEZZNS1_14partition_implILS8_4ELb0ES6_15HIP_vector_typeIjLj2EENS0_17counting_iteratorIjlEEPS9_SG_NS0_5tupleIJPjSI_NS0_16reverse_iteratorISI_EEEEENSH_IJSG_SG_SG_EEES9_SI_JZNS1_25segmented_radix_sort_implINS0_14default_configELb1EPKaPaPKlPlN2at6native12_GLOBAL__N_18offset_tEEE10hipError_tPvRmT1_PNSt15iterator_traitsIS12_E10value_typeET2_T3_PNS13_IS18_E10value_typeET4_jRbjT5_S1E_jjP12ihipStream_tbEUljE_ZNSN_ISO_Lb1ESQ_SR_ST_SU_SY_EESZ_S10_S11_S12_S16_S17_S18_S1B_S1C_jS1D_jS1E_S1E_jjS1G_bEUljE0_EEESZ_S10_S11_S18_S1C_S1E_T6_T7_T9_mT8_S1G_bDpT10_ENKUlT_T0_E_clISt17integral_constantIbLb1EES1T_IbLb0EEEEDaS1P_S1Q_EUlS1P_E_NS1_11comp_targetILNS1_3genE9ELNS1_11target_archE1100ELNS1_3gpuE3ELNS1_3repE0EEENS1_30default_config_static_selectorELNS0_4arch9wavefront6targetE1EEEvS12_, .Lfunc_end248-_ZN7rocprim17ROCPRIM_400000_NS6detail17trampoline_kernelINS0_13select_configILj256ELj13ELNS0_17block_load_methodE3ELS4_3ELS4_3ELNS0_20block_scan_algorithmE0ELj4294967295EEENS1_25partition_config_selectorILNS1_17partition_subalgoE4EjNS0_10empty_typeEbEEZZNS1_14partition_implILS8_4ELb0ES6_15HIP_vector_typeIjLj2EENS0_17counting_iteratorIjlEEPS9_SG_NS0_5tupleIJPjSI_NS0_16reverse_iteratorISI_EEEEENSH_IJSG_SG_SG_EEES9_SI_JZNS1_25segmented_radix_sort_implINS0_14default_configELb1EPKaPaPKlPlN2at6native12_GLOBAL__N_18offset_tEEE10hipError_tPvRmT1_PNSt15iterator_traitsIS12_E10value_typeET2_T3_PNS13_IS18_E10value_typeET4_jRbjT5_S1E_jjP12ihipStream_tbEUljE_ZNSN_ISO_Lb1ESQ_SR_ST_SU_SY_EESZ_S10_S11_S12_S16_S17_S18_S1B_S1C_jS1D_jS1E_S1E_jjS1G_bEUljE0_EEESZ_S10_S11_S18_S1C_S1E_T6_T7_T9_mT8_S1G_bDpT10_ENKUlT_T0_E_clISt17integral_constantIbLb1EES1T_IbLb0EEEEDaS1P_S1Q_EUlS1P_E_NS1_11comp_targetILNS1_3genE9ELNS1_11target_archE1100ELNS1_3gpuE3ELNS1_3repE0EEENS1_30default_config_static_selectorELNS0_4arch9wavefront6targetE1EEEvS12_
                                        ; -- End function
	.set _ZN7rocprim17ROCPRIM_400000_NS6detail17trampoline_kernelINS0_13select_configILj256ELj13ELNS0_17block_load_methodE3ELS4_3ELS4_3ELNS0_20block_scan_algorithmE0ELj4294967295EEENS1_25partition_config_selectorILNS1_17partition_subalgoE4EjNS0_10empty_typeEbEEZZNS1_14partition_implILS8_4ELb0ES6_15HIP_vector_typeIjLj2EENS0_17counting_iteratorIjlEEPS9_SG_NS0_5tupleIJPjSI_NS0_16reverse_iteratorISI_EEEEENSH_IJSG_SG_SG_EEES9_SI_JZNS1_25segmented_radix_sort_implINS0_14default_configELb1EPKaPaPKlPlN2at6native12_GLOBAL__N_18offset_tEEE10hipError_tPvRmT1_PNSt15iterator_traitsIS12_E10value_typeET2_T3_PNS13_IS18_E10value_typeET4_jRbjT5_S1E_jjP12ihipStream_tbEUljE_ZNSN_ISO_Lb1ESQ_SR_ST_SU_SY_EESZ_S10_S11_S12_S16_S17_S18_S1B_S1C_jS1D_jS1E_S1E_jjS1G_bEUljE0_EEESZ_S10_S11_S18_S1C_S1E_T6_T7_T9_mT8_S1G_bDpT10_ENKUlT_T0_E_clISt17integral_constantIbLb1EES1T_IbLb0EEEEDaS1P_S1Q_EUlS1P_E_NS1_11comp_targetILNS1_3genE9ELNS1_11target_archE1100ELNS1_3gpuE3ELNS1_3repE0EEENS1_30default_config_static_selectorELNS0_4arch9wavefront6targetE1EEEvS12_.num_vgpr, 0
	.set _ZN7rocprim17ROCPRIM_400000_NS6detail17trampoline_kernelINS0_13select_configILj256ELj13ELNS0_17block_load_methodE3ELS4_3ELS4_3ELNS0_20block_scan_algorithmE0ELj4294967295EEENS1_25partition_config_selectorILNS1_17partition_subalgoE4EjNS0_10empty_typeEbEEZZNS1_14partition_implILS8_4ELb0ES6_15HIP_vector_typeIjLj2EENS0_17counting_iteratorIjlEEPS9_SG_NS0_5tupleIJPjSI_NS0_16reverse_iteratorISI_EEEEENSH_IJSG_SG_SG_EEES9_SI_JZNS1_25segmented_radix_sort_implINS0_14default_configELb1EPKaPaPKlPlN2at6native12_GLOBAL__N_18offset_tEEE10hipError_tPvRmT1_PNSt15iterator_traitsIS12_E10value_typeET2_T3_PNS13_IS18_E10value_typeET4_jRbjT5_S1E_jjP12ihipStream_tbEUljE_ZNSN_ISO_Lb1ESQ_SR_ST_SU_SY_EESZ_S10_S11_S12_S16_S17_S18_S1B_S1C_jS1D_jS1E_S1E_jjS1G_bEUljE0_EEESZ_S10_S11_S18_S1C_S1E_T6_T7_T9_mT8_S1G_bDpT10_ENKUlT_T0_E_clISt17integral_constantIbLb1EES1T_IbLb0EEEEDaS1P_S1Q_EUlS1P_E_NS1_11comp_targetILNS1_3genE9ELNS1_11target_archE1100ELNS1_3gpuE3ELNS1_3repE0EEENS1_30default_config_static_selectorELNS0_4arch9wavefront6targetE1EEEvS12_.num_agpr, 0
	.set _ZN7rocprim17ROCPRIM_400000_NS6detail17trampoline_kernelINS0_13select_configILj256ELj13ELNS0_17block_load_methodE3ELS4_3ELS4_3ELNS0_20block_scan_algorithmE0ELj4294967295EEENS1_25partition_config_selectorILNS1_17partition_subalgoE4EjNS0_10empty_typeEbEEZZNS1_14partition_implILS8_4ELb0ES6_15HIP_vector_typeIjLj2EENS0_17counting_iteratorIjlEEPS9_SG_NS0_5tupleIJPjSI_NS0_16reverse_iteratorISI_EEEEENSH_IJSG_SG_SG_EEES9_SI_JZNS1_25segmented_radix_sort_implINS0_14default_configELb1EPKaPaPKlPlN2at6native12_GLOBAL__N_18offset_tEEE10hipError_tPvRmT1_PNSt15iterator_traitsIS12_E10value_typeET2_T3_PNS13_IS18_E10value_typeET4_jRbjT5_S1E_jjP12ihipStream_tbEUljE_ZNSN_ISO_Lb1ESQ_SR_ST_SU_SY_EESZ_S10_S11_S12_S16_S17_S18_S1B_S1C_jS1D_jS1E_S1E_jjS1G_bEUljE0_EEESZ_S10_S11_S18_S1C_S1E_T6_T7_T9_mT8_S1G_bDpT10_ENKUlT_T0_E_clISt17integral_constantIbLb1EES1T_IbLb0EEEEDaS1P_S1Q_EUlS1P_E_NS1_11comp_targetILNS1_3genE9ELNS1_11target_archE1100ELNS1_3gpuE3ELNS1_3repE0EEENS1_30default_config_static_selectorELNS0_4arch9wavefront6targetE1EEEvS12_.numbered_sgpr, 0
	.set _ZN7rocprim17ROCPRIM_400000_NS6detail17trampoline_kernelINS0_13select_configILj256ELj13ELNS0_17block_load_methodE3ELS4_3ELS4_3ELNS0_20block_scan_algorithmE0ELj4294967295EEENS1_25partition_config_selectorILNS1_17partition_subalgoE4EjNS0_10empty_typeEbEEZZNS1_14partition_implILS8_4ELb0ES6_15HIP_vector_typeIjLj2EENS0_17counting_iteratorIjlEEPS9_SG_NS0_5tupleIJPjSI_NS0_16reverse_iteratorISI_EEEEENSH_IJSG_SG_SG_EEES9_SI_JZNS1_25segmented_radix_sort_implINS0_14default_configELb1EPKaPaPKlPlN2at6native12_GLOBAL__N_18offset_tEEE10hipError_tPvRmT1_PNSt15iterator_traitsIS12_E10value_typeET2_T3_PNS13_IS18_E10value_typeET4_jRbjT5_S1E_jjP12ihipStream_tbEUljE_ZNSN_ISO_Lb1ESQ_SR_ST_SU_SY_EESZ_S10_S11_S12_S16_S17_S18_S1B_S1C_jS1D_jS1E_S1E_jjS1G_bEUljE0_EEESZ_S10_S11_S18_S1C_S1E_T6_T7_T9_mT8_S1G_bDpT10_ENKUlT_T0_E_clISt17integral_constantIbLb1EES1T_IbLb0EEEEDaS1P_S1Q_EUlS1P_E_NS1_11comp_targetILNS1_3genE9ELNS1_11target_archE1100ELNS1_3gpuE3ELNS1_3repE0EEENS1_30default_config_static_selectorELNS0_4arch9wavefront6targetE1EEEvS12_.num_named_barrier, 0
	.set _ZN7rocprim17ROCPRIM_400000_NS6detail17trampoline_kernelINS0_13select_configILj256ELj13ELNS0_17block_load_methodE3ELS4_3ELS4_3ELNS0_20block_scan_algorithmE0ELj4294967295EEENS1_25partition_config_selectorILNS1_17partition_subalgoE4EjNS0_10empty_typeEbEEZZNS1_14partition_implILS8_4ELb0ES6_15HIP_vector_typeIjLj2EENS0_17counting_iteratorIjlEEPS9_SG_NS0_5tupleIJPjSI_NS0_16reverse_iteratorISI_EEEEENSH_IJSG_SG_SG_EEES9_SI_JZNS1_25segmented_radix_sort_implINS0_14default_configELb1EPKaPaPKlPlN2at6native12_GLOBAL__N_18offset_tEEE10hipError_tPvRmT1_PNSt15iterator_traitsIS12_E10value_typeET2_T3_PNS13_IS18_E10value_typeET4_jRbjT5_S1E_jjP12ihipStream_tbEUljE_ZNSN_ISO_Lb1ESQ_SR_ST_SU_SY_EESZ_S10_S11_S12_S16_S17_S18_S1B_S1C_jS1D_jS1E_S1E_jjS1G_bEUljE0_EEESZ_S10_S11_S18_S1C_S1E_T6_T7_T9_mT8_S1G_bDpT10_ENKUlT_T0_E_clISt17integral_constantIbLb1EES1T_IbLb0EEEEDaS1P_S1Q_EUlS1P_E_NS1_11comp_targetILNS1_3genE9ELNS1_11target_archE1100ELNS1_3gpuE3ELNS1_3repE0EEENS1_30default_config_static_selectorELNS0_4arch9wavefront6targetE1EEEvS12_.private_seg_size, 0
	.set _ZN7rocprim17ROCPRIM_400000_NS6detail17trampoline_kernelINS0_13select_configILj256ELj13ELNS0_17block_load_methodE3ELS4_3ELS4_3ELNS0_20block_scan_algorithmE0ELj4294967295EEENS1_25partition_config_selectorILNS1_17partition_subalgoE4EjNS0_10empty_typeEbEEZZNS1_14partition_implILS8_4ELb0ES6_15HIP_vector_typeIjLj2EENS0_17counting_iteratorIjlEEPS9_SG_NS0_5tupleIJPjSI_NS0_16reverse_iteratorISI_EEEEENSH_IJSG_SG_SG_EEES9_SI_JZNS1_25segmented_radix_sort_implINS0_14default_configELb1EPKaPaPKlPlN2at6native12_GLOBAL__N_18offset_tEEE10hipError_tPvRmT1_PNSt15iterator_traitsIS12_E10value_typeET2_T3_PNS13_IS18_E10value_typeET4_jRbjT5_S1E_jjP12ihipStream_tbEUljE_ZNSN_ISO_Lb1ESQ_SR_ST_SU_SY_EESZ_S10_S11_S12_S16_S17_S18_S1B_S1C_jS1D_jS1E_S1E_jjS1G_bEUljE0_EEESZ_S10_S11_S18_S1C_S1E_T6_T7_T9_mT8_S1G_bDpT10_ENKUlT_T0_E_clISt17integral_constantIbLb1EES1T_IbLb0EEEEDaS1P_S1Q_EUlS1P_E_NS1_11comp_targetILNS1_3genE9ELNS1_11target_archE1100ELNS1_3gpuE3ELNS1_3repE0EEENS1_30default_config_static_selectorELNS0_4arch9wavefront6targetE1EEEvS12_.uses_vcc, 0
	.set _ZN7rocprim17ROCPRIM_400000_NS6detail17trampoline_kernelINS0_13select_configILj256ELj13ELNS0_17block_load_methodE3ELS4_3ELS4_3ELNS0_20block_scan_algorithmE0ELj4294967295EEENS1_25partition_config_selectorILNS1_17partition_subalgoE4EjNS0_10empty_typeEbEEZZNS1_14partition_implILS8_4ELb0ES6_15HIP_vector_typeIjLj2EENS0_17counting_iteratorIjlEEPS9_SG_NS0_5tupleIJPjSI_NS0_16reverse_iteratorISI_EEEEENSH_IJSG_SG_SG_EEES9_SI_JZNS1_25segmented_radix_sort_implINS0_14default_configELb1EPKaPaPKlPlN2at6native12_GLOBAL__N_18offset_tEEE10hipError_tPvRmT1_PNSt15iterator_traitsIS12_E10value_typeET2_T3_PNS13_IS18_E10value_typeET4_jRbjT5_S1E_jjP12ihipStream_tbEUljE_ZNSN_ISO_Lb1ESQ_SR_ST_SU_SY_EESZ_S10_S11_S12_S16_S17_S18_S1B_S1C_jS1D_jS1E_S1E_jjS1G_bEUljE0_EEESZ_S10_S11_S18_S1C_S1E_T6_T7_T9_mT8_S1G_bDpT10_ENKUlT_T0_E_clISt17integral_constantIbLb1EES1T_IbLb0EEEEDaS1P_S1Q_EUlS1P_E_NS1_11comp_targetILNS1_3genE9ELNS1_11target_archE1100ELNS1_3gpuE3ELNS1_3repE0EEENS1_30default_config_static_selectorELNS0_4arch9wavefront6targetE1EEEvS12_.uses_flat_scratch, 0
	.set _ZN7rocprim17ROCPRIM_400000_NS6detail17trampoline_kernelINS0_13select_configILj256ELj13ELNS0_17block_load_methodE3ELS4_3ELS4_3ELNS0_20block_scan_algorithmE0ELj4294967295EEENS1_25partition_config_selectorILNS1_17partition_subalgoE4EjNS0_10empty_typeEbEEZZNS1_14partition_implILS8_4ELb0ES6_15HIP_vector_typeIjLj2EENS0_17counting_iteratorIjlEEPS9_SG_NS0_5tupleIJPjSI_NS0_16reverse_iteratorISI_EEEEENSH_IJSG_SG_SG_EEES9_SI_JZNS1_25segmented_radix_sort_implINS0_14default_configELb1EPKaPaPKlPlN2at6native12_GLOBAL__N_18offset_tEEE10hipError_tPvRmT1_PNSt15iterator_traitsIS12_E10value_typeET2_T3_PNS13_IS18_E10value_typeET4_jRbjT5_S1E_jjP12ihipStream_tbEUljE_ZNSN_ISO_Lb1ESQ_SR_ST_SU_SY_EESZ_S10_S11_S12_S16_S17_S18_S1B_S1C_jS1D_jS1E_S1E_jjS1G_bEUljE0_EEESZ_S10_S11_S18_S1C_S1E_T6_T7_T9_mT8_S1G_bDpT10_ENKUlT_T0_E_clISt17integral_constantIbLb1EES1T_IbLb0EEEEDaS1P_S1Q_EUlS1P_E_NS1_11comp_targetILNS1_3genE9ELNS1_11target_archE1100ELNS1_3gpuE3ELNS1_3repE0EEENS1_30default_config_static_selectorELNS0_4arch9wavefront6targetE1EEEvS12_.has_dyn_sized_stack, 0
	.set _ZN7rocprim17ROCPRIM_400000_NS6detail17trampoline_kernelINS0_13select_configILj256ELj13ELNS0_17block_load_methodE3ELS4_3ELS4_3ELNS0_20block_scan_algorithmE0ELj4294967295EEENS1_25partition_config_selectorILNS1_17partition_subalgoE4EjNS0_10empty_typeEbEEZZNS1_14partition_implILS8_4ELb0ES6_15HIP_vector_typeIjLj2EENS0_17counting_iteratorIjlEEPS9_SG_NS0_5tupleIJPjSI_NS0_16reverse_iteratorISI_EEEEENSH_IJSG_SG_SG_EEES9_SI_JZNS1_25segmented_radix_sort_implINS0_14default_configELb1EPKaPaPKlPlN2at6native12_GLOBAL__N_18offset_tEEE10hipError_tPvRmT1_PNSt15iterator_traitsIS12_E10value_typeET2_T3_PNS13_IS18_E10value_typeET4_jRbjT5_S1E_jjP12ihipStream_tbEUljE_ZNSN_ISO_Lb1ESQ_SR_ST_SU_SY_EESZ_S10_S11_S12_S16_S17_S18_S1B_S1C_jS1D_jS1E_S1E_jjS1G_bEUljE0_EEESZ_S10_S11_S18_S1C_S1E_T6_T7_T9_mT8_S1G_bDpT10_ENKUlT_T0_E_clISt17integral_constantIbLb1EES1T_IbLb0EEEEDaS1P_S1Q_EUlS1P_E_NS1_11comp_targetILNS1_3genE9ELNS1_11target_archE1100ELNS1_3gpuE3ELNS1_3repE0EEENS1_30default_config_static_selectorELNS0_4arch9wavefront6targetE1EEEvS12_.has_recursion, 0
	.set _ZN7rocprim17ROCPRIM_400000_NS6detail17trampoline_kernelINS0_13select_configILj256ELj13ELNS0_17block_load_methodE3ELS4_3ELS4_3ELNS0_20block_scan_algorithmE0ELj4294967295EEENS1_25partition_config_selectorILNS1_17partition_subalgoE4EjNS0_10empty_typeEbEEZZNS1_14partition_implILS8_4ELb0ES6_15HIP_vector_typeIjLj2EENS0_17counting_iteratorIjlEEPS9_SG_NS0_5tupleIJPjSI_NS0_16reverse_iteratorISI_EEEEENSH_IJSG_SG_SG_EEES9_SI_JZNS1_25segmented_radix_sort_implINS0_14default_configELb1EPKaPaPKlPlN2at6native12_GLOBAL__N_18offset_tEEE10hipError_tPvRmT1_PNSt15iterator_traitsIS12_E10value_typeET2_T3_PNS13_IS18_E10value_typeET4_jRbjT5_S1E_jjP12ihipStream_tbEUljE_ZNSN_ISO_Lb1ESQ_SR_ST_SU_SY_EESZ_S10_S11_S12_S16_S17_S18_S1B_S1C_jS1D_jS1E_S1E_jjS1G_bEUljE0_EEESZ_S10_S11_S18_S1C_S1E_T6_T7_T9_mT8_S1G_bDpT10_ENKUlT_T0_E_clISt17integral_constantIbLb1EES1T_IbLb0EEEEDaS1P_S1Q_EUlS1P_E_NS1_11comp_targetILNS1_3genE9ELNS1_11target_archE1100ELNS1_3gpuE3ELNS1_3repE0EEENS1_30default_config_static_selectorELNS0_4arch9wavefront6targetE1EEEvS12_.has_indirect_call, 0
	.section	.AMDGPU.csdata,"",@progbits
; Kernel info:
; codeLenInByte = 0
; TotalNumSgprs: 4
; NumVgprs: 0
; ScratchSize: 0
; MemoryBound: 0
; FloatMode: 240
; IeeeMode: 1
; LDSByteSize: 0 bytes/workgroup (compile time only)
; SGPRBlocks: 0
; VGPRBlocks: 0
; NumSGPRsForWavesPerEU: 4
; NumVGPRsForWavesPerEU: 1
; Occupancy: 10
; WaveLimiterHint : 0
; COMPUTE_PGM_RSRC2:SCRATCH_EN: 0
; COMPUTE_PGM_RSRC2:USER_SGPR: 6
; COMPUTE_PGM_RSRC2:TRAP_HANDLER: 0
; COMPUTE_PGM_RSRC2:TGID_X_EN: 1
; COMPUTE_PGM_RSRC2:TGID_Y_EN: 0
; COMPUTE_PGM_RSRC2:TGID_Z_EN: 0
; COMPUTE_PGM_RSRC2:TIDIG_COMP_CNT: 0
	.section	.text._ZN7rocprim17ROCPRIM_400000_NS6detail17trampoline_kernelINS0_13select_configILj256ELj13ELNS0_17block_load_methodE3ELS4_3ELS4_3ELNS0_20block_scan_algorithmE0ELj4294967295EEENS1_25partition_config_selectorILNS1_17partition_subalgoE4EjNS0_10empty_typeEbEEZZNS1_14partition_implILS8_4ELb0ES6_15HIP_vector_typeIjLj2EENS0_17counting_iteratorIjlEEPS9_SG_NS0_5tupleIJPjSI_NS0_16reverse_iteratorISI_EEEEENSH_IJSG_SG_SG_EEES9_SI_JZNS1_25segmented_radix_sort_implINS0_14default_configELb1EPKaPaPKlPlN2at6native12_GLOBAL__N_18offset_tEEE10hipError_tPvRmT1_PNSt15iterator_traitsIS12_E10value_typeET2_T3_PNS13_IS18_E10value_typeET4_jRbjT5_S1E_jjP12ihipStream_tbEUljE_ZNSN_ISO_Lb1ESQ_SR_ST_SU_SY_EESZ_S10_S11_S12_S16_S17_S18_S1B_S1C_jS1D_jS1E_S1E_jjS1G_bEUljE0_EEESZ_S10_S11_S18_S1C_S1E_T6_T7_T9_mT8_S1G_bDpT10_ENKUlT_T0_E_clISt17integral_constantIbLb1EES1T_IbLb0EEEEDaS1P_S1Q_EUlS1P_E_NS1_11comp_targetILNS1_3genE8ELNS1_11target_archE1030ELNS1_3gpuE2ELNS1_3repE0EEENS1_30default_config_static_selectorELNS0_4arch9wavefront6targetE1EEEvS12_,"axG",@progbits,_ZN7rocprim17ROCPRIM_400000_NS6detail17trampoline_kernelINS0_13select_configILj256ELj13ELNS0_17block_load_methodE3ELS4_3ELS4_3ELNS0_20block_scan_algorithmE0ELj4294967295EEENS1_25partition_config_selectorILNS1_17partition_subalgoE4EjNS0_10empty_typeEbEEZZNS1_14partition_implILS8_4ELb0ES6_15HIP_vector_typeIjLj2EENS0_17counting_iteratorIjlEEPS9_SG_NS0_5tupleIJPjSI_NS0_16reverse_iteratorISI_EEEEENSH_IJSG_SG_SG_EEES9_SI_JZNS1_25segmented_radix_sort_implINS0_14default_configELb1EPKaPaPKlPlN2at6native12_GLOBAL__N_18offset_tEEE10hipError_tPvRmT1_PNSt15iterator_traitsIS12_E10value_typeET2_T3_PNS13_IS18_E10value_typeET4_jRbjT5_S1E_jjP12ihipStream_tbEUljE_ZNSN_ISO_Lb1ESQ_SR_ST_SU_SY_EESZ_S10_S11_S12_S16_S17_S18_S1B_S1C_jS1D_jS1E_S1E_jjS1G_bEUljE0_EEESZ_S10_S11_S18_S1C_S1E_T6_T7_T9_mT8_S1G_bDpT10_ENKUlT_T0_E_clISt17integral_constantIbLb1EES1T_IbLb0EEEEDaS1P_S1Q_EUlS1P_E_NS1_11comp_targetILNS1_3genE8ELNS1_11target_archE1030ELNS1_3gpuE2ELNS1_3repE0EEENS1_30default_config_static_selectorELNS0_4arch9wavefront6targetE1EEEvS12_,comdat
	.globl	_ZN7rocprim17ROCPRIM_400000_NS6detail17trampoline_kernelINS0_13select_configILj256ELj13ELNS0_17block_load_methodE3ELS4_3ELS4_3ELNS0_20block_scan_algorithmE0ELj4294967295EEENS1_25partition_config_selectorILNS1_17partition_subalgoE4EjNS0_10empty_typeEbEEZZNS1_14partition_implILS8_4ELb0ES6_15HIP_vector_typeIjLj2EENS0_17counting_iteratorIjlEEPS9_SG_NS0_5tupleIJPjSI_NS0_16reverse_iteratorISI_EEEEENSH_IJSG_SG_SG_EEES9_SI_JZNS1_25segmented_radix_sort_implINS0_14default_configELb1EPKaPaPKlPlN2at6native12_GLOBAL__N_18offset_tEEE10hipError_tPvRmT1_PNSt15iterator_traitsIS12_E10value_typeET2_T3_PNS13_IS18_E10value_typeET4_jRbjT5_S1E_jjP12ihipStream_tbEUljE_ZNSN_ISO_Lb1ESQ_SR_ST_SU_SY_EESZ_S10_S11_S12_S16_S17_S18_S1B_S1C_jS1D_jS1E_S1E_jjS1G_bEUljE0_EEESZ_S10_S11_S18_S1C_S1E_T6_T7_T9_mT8_S1G_bDpT10_ENKUlT_T0_E_clISt17integral_constantIbLb1EES1T_IbLb0EEEEDaS1P_S1Q_EUlS1P_E_NS1_11comp_targetILNS1_3genE8ELNS1_11target_archE1030ELNS1_3gpuE2ELNS1_3repE0EEENS1_30default_config_static_selectorELNS0_4arch9wavefront6targetE1EEEvS12_ ; -- Begin function _ZN7rocprim17ROCPRIM_400000_NS6detail17trampoline_kernelINS0_13select_configILj256ELj13ELNS0_17block_load_methodE3ELS4_3ELS4_3ELNS0_20block_scan_algorithmE0ELj4294967295EEENS1_25partition_config_selectorILNS1_17partition_subalgoE4EjNS0_10empty_typeEbEEZZNS1_14partition_implILS8_4ELb0ES6_15HIP_vector_typeIjLj2EENS0_17counting_iteratorIjlEEPS9_SG_NS0_5tupleIJPjSI_NS0_16reverse_iteratorISI_EEEEENSH_IJSG_SG_SG_EEES9_SI_JZNS1_25segmented_radix_sort_implINS0_14default_configELb1EPKaPaPKlPlN2at6native12_GLOBAL__N_18offset_tEEE10hipError_tPvRmT1_PNSt15iterator_traitsIS12_E10value_typeET2_T3_PNS13_IS18_E10value_typeET4_jRbjT5_S1E_jjP12ihipStream_tbEUljE_ZNSN_ISO_Lb1ESQ_SR_ST_SU_SY_EESZ_S10_S11_S12_S16_S17_S18_S1B_S1C_jS1D_jS1E_S1E_jjS1G_bEUljE0_EEESZ_S10_S11_S18_S1C_S1E_T6_T7_T9_mT8_S1G_bDpT10_ENKUlT_T0_E_clISt17integral_constantIbLb1EES1T_IbLb0EEEEDaS1P_S1Q_EUlS1P_E_NS1_11comp_targetILNS1_3genE8ELNS1_11target_archE1030ELNS1_3gpuE2ELNS1_3repE0EEENS1_30default_config_static_selectorELNS0_4arch9wavefront6targetE1EEEvS12_
	.p2align	8
	.type	_ZN7rocprim17ROCPRIM_400000_NS6detail17trampoline_kernelINS0_13select_configILj256ELj13ELNS0_17block_load_methodE3ELS4_3ELS4_3ELNS0_20block_scan_algorithmE0ELj4294967295EEENS1_25partition_config_selectorILNS1_17partition_subalgoE4EjNS0_10empty_typeEbEEZZNS1_14partition_implILS8_4ELb0ES6_15HIP_vector_typeIjLj2EENS0_17counting_iteratorIjlEEPS9_SG_NS0_5tupleIJPjSI_NS0_16reverse_iteratorISI_EEEEENSH_IJSG_SG_SG_EEES9_SI_JZNS1_25segmented_radix_sort_implINS0_14default_configELb1EPKaPaPKlPlN2at6native12_GLOBAL__N_18offset_tEEE10hipError_tPvRmT1_PNSt15iterator_traitsIS12_E10value_typeET2_T3_PNS13_IS18_E10value_typeET4_jRbjT5_S1E_jjP12ihipStream_tbEUljE_ZNSN_ISO_Lb1ESQ_SR_ST_SU_SY_EESZ_S10_S11_S12_S16_S17_S18_S1B_S1C_jS1D_jS1E_S1E_jjS1G_bEUljE0_EEESZ_S10_S11_S18_S1C_S1E_T6_T7_T9_mT8_S1G_bDpT10_ENKUlT_T0_E_clISt17integral_constantIbLb1EES1T_IbLb0EEEEDaS1P_S1Q_EUlS1P_E_NS1_11comp_targetILNS1_3genE8ELNS1_11target_archE1030ELNS1_3gpuE2ELNS1_3repE0EEENS1_30default_config_static_selectorELNS0_4arch9wavefront6targetE1EEEvS12_,@function
_ZN7rocprim17ROCPRIM_400000_NS6detail17trampoline_kernelINS0_13select_configILj256ELj13ELNS0_17block_load_methodE3ELS4_3ELS4_3ELNS0_20block_scan_algorithmE0ELj4294967295EEENS1_25partition_config_selectorILNS1_17partition_subalgoE4EjNS0_10empty_typeEbEEZZNS1_14partition_implILS8_4ELb0ES6_15HIP_vector_typeIjLj2EENS0_17counting_iteratorIjlEEPS9_SG_NS0_5tupleIJPjSI_NS0_16reverse_iteratorISI_EEEEENSH_IJSG_SG_SG_EEES9_SI_JZNS1_25segmented_radix_sort_implINS0_14default_configELb1EPKaPaPKlPlN2at6native12_GLOBAL__N_18offset_tEEE10hipError_tPvRmT1_PNSt15iterator_traitsIS12_E10value_typeET2_T3_PNS13_IS18_E10value_typeET4_jRbjT5_S1E_jjP12ihipStream_tbEUljE_ZNSN_ISO_Lb1ESQ_SR_ST_SU_SY_EESZ_S10_S11_S12_S16_S17_S18_S1B_S1C_jS1D_jS1E_S1E_jjS1G_bEUljE0_EEESZ_S10_S11_S18_S1C_S1E_T6_T7_T9_mT8_S1G_bDpT10_ENKUlT_T0_E_clISt17integral_constantIbLb1EES1T_IbLb0EEEEDaS1P_S1Q_EUlS1P_E_NS1_11comp_targetILNS1_3genE8ELNS1_11target_archE1030ELNS1_3gpuE2ELNS1_3repE0EEENS1_30default_config_static_selectorELNS0_4arch9wavefront6targetE1EEEvS12_: ; @_ZN7rocprim17ROCPRIM_400000_NS6detail17trampoline_kernelINS0_13select_configILj256ELj13ELNS0_17block_load_methodE3ELS4_3ELS4_3ELNS0_20block_scan_algorithmE0ELj4294967295EEENS1_25partition_config_selectorILNS1_17partition_subalgoE4EjNS0_10empty_typeEbEEZZNS1_14partition_implILS8_4ELb0ES6_15HIP_vector_typeIjLj2EENS0_17counting_iteratorIjlEEPS9_SG_NS0_5tupleIJPjSI_NS0_16reverse_iteratorISI_EEEEENSH_IJSG_SG_SG_EEES9_SI_JZNS1_25segmented_radix_sort_implINS0_14default_configELb1EPKaPaPKlPlN2at6native12_GLOBAL__N_18offset_tEEE10hipError_tPvRmT1_PNSt15iterator_traitsIS12_E10value_typeET2_T3_PNS13_IS18_E10value_typeET4_jRbjT5_S1E_jjP12ihipStream_tbEUljE_ZNSN_ISO_Lb1ESQ_SR_ST_SU_SY_EESZ_S10_S11_S12_S16_S17_S18_S1B_S1C_jS1D_jS1E_S1E_jjS1G_bEUljE0_EEESZ_S10_S11_S18_S1C_S1E_T6_T7_T9_mT8_S1G_bDpT10_ENKUlT_T0_E_clISt17integral_constantIbLb1EES1T_IbLb0EEEEDaS1P_S1Q_EUlS1P_E_NS1_11comp_targetILNS1_3genE8ELNS1_11target_archE1030ELNS1_3gpuE2ELNS1_3repE0EEENS1_30default_config_static_selectorELNS0_4arch9wavefront6targetE1EEEvS12_
; %bb.0:
	.section	.rodata,"a",@progbits
	.p2align	6, 0x0
	.amdhsa_kernel _ZN7rocprim17ROCPRIM_400000_NS6detail17trampoline_kernelINS0_13select_configILj256ELj13ELNS0_17block_load_methodE3ELS4_3ELS4_3ELNS0_20block_scan_algorithmE0ELj4294967295EEENS1_25partition_config_selectorILNS1_17partition_subalgoE4EjNS0_10empty_typeEbEEZZNS1_14partition_implILS8_4ELb0ES6_15HIP_vector_typeIjLj2EENS0_17counting_iteratorIjlEEPS9_SG_NS0_5tupleIJPjSI_NS0_16reverse_iteratorISI_EEEEENSH_IJSG_SG_SG_EEES9_SI_JZNS1_25segmented_radix_sort_implINS0_14default_configELb1EPKaPaPKlPlN2at6native12_GLOBAL__N_18offset_tEEE10hipError_tPvRmT1_PNSt15iterator_traitsIS12_E10value_typeET2_T3_PNS13_IS18_E10value_typeET4_jRbjT5_S1E_jjP12ihipStream_tbEUljE_ZNSN_ISO_Lb1ESQ_SR_ST_SU_SY_EESZ_S10_S11_S12_S16_S17_S18_S1B_S1C_jS1D_jS1E_S1E_jjS1G_bEUljE0_EEESZ_S10_S11_S18_S1C_S1E_T6_T7_T9_mT8_S1G_bDpT10_ENKUlT_T0_E_clISt17integral_constantIbLb1EES1T_IbLb0EEEEDaS1P_S1Q_EUlS1P_E_NS1_11comp_targetILNS1_3genE8ELNS1_11target_archE1030ELNS1_3gpuE2ELNS1_3repE0EEENS1_30default_config_static_selectorELNS0_4arch9wavefront6targetE1EEEvS12_
		.amdhsa_group_segment_fixed_size 0
		.amdhsa_private_segment_fixed_size 0
		.amdhsa_kernarg_size 176
		.amdhsa_user_sgpr_count 6
		.amdhsa_user_sgpr_private_segment_buffer 1
		.amdhsa_user_sgpr_dispatch_ptr 0
		.amdhsa_user_sgpr_queue_ptr 0
		.amdhsa_user_sgpr_kernarg_segment_ptr 1
		.amdhsa_user_sgpr_dispatch_id 0
		.amdhsa_user_sgpr_flat_scratch_init 0
		.amdhsa_user_sgpr_private_segment_size 0
		.amdhsa_uses_dynamic_stack 0
		.amdhsa_system_sgpr_private_segment_wavefront_offset 0
		.amdhsa_system_sgpr_workgroup_id_x 1
		.amdhsa_system_sgpr_workgroup_id_y 0
		.amdhsa_system_sgpr_workgroup_id_z 0
		.amdhsa_system_sgpr_workgroup_info 0
		.amdhsa_system_vgpr_workitem_id 0
		.amdhsa_next_free_vgpr 1
		.amdhsa_next_free_sgpr 0
		.amdhsa_reserve_vcc 0
		.amdhsa_reserve_flat_scratch 0
		.amdhsa_float_round_mode_32 0
		.amdhsa_float_round_mode_16_64 0
		.amdhsa_float_denorm_mode_32 3
		.amdhsa_float_denorm_mode_16_64 3
		.amdhsa_dx10_clamp 1
		.amdhsa_ieee_mode 1
		.amdhsa_fp16_overflow 0
		.amdhsa_exception_fp_ieee_invalid_op 0
		.amdhsa_exception_fp_denorm_src 0
		.amdhsa_exception_fp_ieee_div_zero 0
		.amdhsa_exception_fp_ieee_overflow 0
		.amdhsa_exception_fp_ieee_underflow 0
		.amdhsa_exception_fp_ieee_inexact 0
		.amdhsa_exception_int_div_zero 0
	.end_amdhsa_kernel
	.section	.text._ZN7rocprim17ROCPRIM_400000_NS6detail17trampoline_kernelINS0_13select_configILj256ELj13ELNS0_17block_load_methodE3ELS4_3ELS4_3ELNS0_20block_scan_algorithmE0ELj4294967295EEENS1_25partition_config_selectorILNS1_17partition_subalgoE4EjNS0_10empty_typeEbEEZZNS1_14partition_implILS8_4ELb0ES6_15HIP_vector_typeIjLj2EENS0_17counting_iteratorIjlEEPS9_SG_NS0_5tupleIJPjSI_NS0_16reverse_iteratorISI_EEEEENSH_IJSG_SG_SG_EEES9_SI_JZNS1_25segmented_radix_sort_implINS0_14default_configELb1EPKaPaPKlPlN2at6native12_GLOBAL__N_18offset_tEEE10hipError_tPvRmT1_PNSt15iterator_traitsIS12_E10value_typeET2_T3_PNS13_IS18_E10value_typeET4_jRbjT5_S1E_jjP12ihipStream_tbEUljE_ZNSN_ISO_Lb1ESQ_SR_ST_SU_SY_EESZ_S10_S11_S12_S16_S17_S18_S1B_S1C_jS1D_jS1E_S1E_jjS1G_bEUljE0_EEESZ_S10_S11_S18_S1C_S1E_T6_T7_T9_mT8_S1G_bDpT10_ENKUlT_T0_E_clISt17integral_constantIbLb1EES1T_IbLb0EEEEDaS1P_S1Q_EUlS1P_E_NS1_11comp_targetILNS1_3genE8ELNS1_11target_archE1030ELNS1_3gpuE2ELNS1_3repE0EEENS1_30default_config_static_selectorELNS0_4arch9wavefront6targetE1EEEvS12_,"axG",@progbits,_ZN7rocprim17ROCPRIM_400000_NS6detail17trampoline_kernelINS0_13select_configILj256ELj13ELNS0_17block_load_methodE3ELS4_3ELS4_3ELNS0_20block_scan_algorithmE0ELj4294967295EEENS1_25partition_config_selectorILNS1_17partition_subalgoE4EjNS0_10empty_typeEbEEZZNS1_14partition_implILS8_4ELb0ES6_15HIP_vector_typeIjLj2EENS0_17counting_iteratorIjlEEPS9_SG_NS0_5tupleIJPjSI_NS0_16reverse_iteratorISI_EEEEENSH_IJSG_SG_SG_EEES9_SI_JZNS1_25segmented_radix_sort_implINS0_14default_configELb1EPKaPaPKlPlN2at6native12_GLOBAL__N_18offset_tEEE10hipError_tPvRmT1_PNSt15iterator_traitsIS12_E10value_typeET2_T3_PNS13_IS18_E10value_typeET4_jRbjT5_S1E_jjP12ihipStream_tbEUljE_ZNSN_ISO_Lb1ESQ_SR_ST_SU_SY_EESZ_S10_S11_S12_S16_S17_S18_S1B_S1C_jS1D_jS1E_S1E_jjS1G_bEUljE0_EEESZ_S10_S11_S18_S1C_S1E_T6_T7_T9_mT8_S1G_bDpT10_ENKUlT_T0_E_clISt17integral_constantIbLb1EES1T_IbLb0EEEEDaS1P_S1Q_EUlS1P_E_NS1_11comp_targetILNS1_3genE8ELNS1_11target_archE1030ELNS1_3gpuE2ELNS1_3repE0EEENS1_30default_config_static_selectorELNS0_4arch9wavefront6targetE1EEEvS12_,comdat
.Lfunc_end249:
	.size	_ZN7rocprim17ROCPRIM_400000_NS6detail17trampoline_kernelINS0_13select_configILj256ELj13ELNS0_17block_load_methodE3ELS4_3ELS4_3ELNS0_20block_scan_algorithmE0ELj4294967295EEENS1_25partition_config_selectorILNS1_17partition_subalgoE4EjNS0_10empty_typeEbEEZZNS1_14partition_implILS8_4ELb0ES6_15HIP_vector_typeIjLj2EENS0_17counting_iteratorIjlEEPS9_SG_NS0_5tupleIJPjSI_NS0_16reverse_iteratorISI_EEEEENSH_IJSG_SG_SG_EEES9_SI_JZNS1_25segmented_radix_sort_implINS0_14default_configELb1EPKaPaPKlPlN2at6native12_GLOBAL__N_18offset_tEEE10hipError_tPvRmT1_PNSt15iterator_traitsIS12_E10value_typeET2_T3_PNS13_IS18_E10value_typeET4_jRbjT5_S1E_jjP12ihipStream_tbEUljE_ZNSN_ISO_Lb1ESQ_SR_ST_SU_SY_EESZ_S10_S11_S12_S16_S17_S18_S1B_S1C_jS1D_jS1E_S1E_jjS1G_bEUljE0_EEESZ_S10_S11_S18_S1C_S1E_T6_T7_T9_mT8_S1G_bDpT10_ENKUlT_T0_E_clISt17integral_constantIbLb1EES1T_IbLb0EEEEDaS1P_S1Q_EUlS1P_E_NS1_11comp_targetILNS1_3genE8ELNS1_11target_archE1030ELNS1_3gpuE2ELNS1_3repE0EEENS1_30default_config_static_selectorELNS0_4arch9wavefront6targetE1EEEvS12_, .Lfunc_end249-_ZN7rocprim17ROCPRIM_400000_NS6detail17trampoline_kernelINS0_13select_configILj256ELj13ELNS0_17block_load_methodE3ELS4_3ELS4_3ELNS0_20block_scan_algorithmE0ELj4294967295EEENS1_25partition_config_selectorILNS1_17partition_subalgoE4EjNS0_10empty_typeEbEEZZNS1_14partition_implILS8_4ELb0ES6_15HIP_vector_typeIjLj2EENS0_17counting_iteratorIjlEEPS9_SG_NS0_5tupleIJPjSI_NS0_16reverse_iteratorISI_EEEEENSH_IJSG_SG_SG_EEES9_SI_JZNS1_25segmented_radix_sort_implINS0_14default_configELb1EPKaPaPKlPlN2at6native12_GLOBAL__N_18offset_tEEE10hipError_tPvRmT1_PNSt15iterator_traitsIS12_E10value_typeET2_T3_PNS13_IS18_E10value_typeET4_jRbjT5_S1E_jjP12ihipStream_tbEUljE_ZNSN_ISO_Lb1ESQ_SR_ST_SU_SY_EESZ_S10_S11_S12_S16_S17_S18_S1B_S1C_jS1D_jS1E_S1E_jjS1G_bEUljE0_EEESZ_S10_S11_S18_S1C_S1E_T6_T7_T9_mT8_S1G_bDpT10_ENKUlT_T0_E_clISt17integral_constantIbLb1EES1T_IbLb0EEEEDaS1P_S1Q_EUlS1P_E_NS1_11comp_targetILNS1_3genE8ELNS1_11target_archE1030ELNS1_3gpuE2ELNS1_3repE0EEENS1_30default_config_static_selectorELNS0_4arch9wavefront6targetE1EEEvS12_
                                        ; -- End function
	.set _ZN7rocprim17ROCPRIM_400000_NS6detail17trampoline_kernelINS0_13select_configILj256ELj13ELNS0_17block_load_methodE3ELS4_3ELS4_3ELNS0_20block_scan_algorithmE0ELj4294967295EEENS1_25partition_config_selectorILNS1_17partition_subalgoE4EjNS0_10empty_typeEbEEZZNS1_14partition_implILS8_4ELb0ES6_15HIP_vector_typeIjLj2EENS0_17counting_iteratorIjlEEPS9_SG_NS0_5tupleIJPjSI_NS0_16reverse_iteratorISI_EEEEENSH_IJSG_SG_SG_EEES9_SI_JZNS1_25segmented_radix_sort_implINS0_14default_configELb1EPKaPaPKlPlN2at6native12_GLOBAL__N_18offset_tEEE10hipError_tPvRmT1_PNSt15iterator_traitsIS12_E10value_typeET2_T3_PNS13_IS18_E10value_typeET4_jRbjT5_S1E_jjP12ihipStream_tbEUljE_ZNSN_ISO_Lb1ESQ_SR_ST_SU_SY_EESZ_S10_S11_S12_S16_S17_S18_S1B_S1C_jS1D_jS1E_S1E_jjS1G_bEUljE0_EEESZ_S10_S11_S18_S1C_S1E_T6_T7_T9_mT8_S1G_bDpT10_ENKUlT_T0_E_clISt17integral_constantIbLb1EES1T_IbLb0EEEEDaS1P_S1Q_EUlS1P_E_NS1_11comp_targetILNS1_3genE8ELNS1_11target_archE1030ELNS1_3gpuE2ELNS1_3repE0EEENS1_30default_config_static_selectorELNS0_4arch9wavefront6targetE1EEEvS12_.num_vgpr, 0
	.set _ZN7rocprim17ROCPRIM_400000_NS6detail17trampoline_kernelINS0_13select_configILj256ELj13ELNS0_17block_load_methodE3ELS4_3ELS4_3ELNS0_20block_scan_algorithmE0ELj4294967295EEENS1_25partition_config_selectorILNS1_17partition_subalgoE4EjNS0_10empty_typeEbEEZZNS1_14partition_implILS8_4ELb0ES6_15HIP_vector_typeIjLj2EENS0_17counting_iteratorIjlEEPS9_SG_NS0_5tupleIJPjSI_NS0_16reverse_iteratorISI_EEEEENSH_IJSG_SG_SG_EEES9_SI_JZNS1_25segmented_radix_sort_implINS0_14default_configELb1EPKaPaPKlPlN2at6native12_GLOBAL__N_18offset_tEEE10hipError_tPvRmT1_PNSt15iterator_traitsIS12_E10value_typeET2_T3_PNS13_IS18_E10value_typeET4_jRbjT5_S1E_jjP12ihipStream_tbEUljE_ZNSN_ISO_Lb1ESQ_SR_ST_SU_SY_EESZ_S10_S11_S12_S16_S17_S18_S1B_S1C_jS1D_jS1E_S1E_jjS1G_bEUljE0_EEESZ_S10_S11_S18_S1C_S1E_T6_T7_T9_mT8_S1G_bDpT10_ENKUlT_T0_E_clISt17integral_constantIbLb1EES1T_IbLb0EEEEDaS1P_S1Q_EUlS1P_E_NS1_11comp_targetILNS1_3genE8ELNS1_11target_archE1030ELNS1_3gpuE2ELNS1_3repE0EEENS1_30default_config_static_selectorELNS0_4arch9wavefront6targetE1EEEvS12_.num_agpr, 0
	.set _ZN7rocprim17ROCPRIM_400000_NS6detail17trampoline_kernelINS0_13select_configILj256ELj13ELNS0_17block_load_methodE3ELS4_3ELS4_3ELNS0_20block_scan_algorithmE0ELj4294967295EEENS1_25partition_config_selectorILNS1_17partition_subalgoE4EjNS0_10empty_typeEbEEZZNS1_14partition_implILS8_4ELb0ES6_15HIP_vector_typeIjLj2EENS0_17counting_iteratorIjlEEPS9_SG_NS0_5tupleIJPjSI_NS0_16reverse_iteratorISI_EEEEENSH_IJSG_SG_SG_EEES9_SI_JZNS1_25segmented_radix_sort_implINS0_14default_configELb1EPKaPaPKlPlN2at6native12_GLOBAL__N_18offset_tEEE10hipError_tPvRmT1_PNSt15iterator_traitsIS12_E10value_typeET2_T3_PNS13_IS18_E10value_typeET4_jRbjT5_S1E_jjP12ihipStream_tbEUljE_ZNSN_ISO_Lb1ESQ_SR_ST_SU_SY_EESZ_S10_S11_S12_S16_S17_S18_S1B_S1C_jS1D_jS1E_S1E_jjS1G_bEUljE0_EEESZ_S10_S11_S18_S1C_S1E_T6_T7_T9_mT8_S1G_bDpT10_ENKUlT_T0_E_clISt17integral_constantIbLb1EES1T_IbLb0EEEEDaS1P_S1Q_EUlS1P_E_NS1_11comp_targetILNS1_3genE8ELNS1_11target_archE1030ELNS1_3gpuE2ELNS1_3repE0EEENS1_30default_config_static_selectorELNS0_4arch9wavefront6targetE1EEEvS12_.numbered_sgpr, 0
	.set _ZN7rocprim17ROCPRIM_400000_NS6detail17trampoline_kernelINS0_13select_configILj256ELj13ELNS0_17block_load_methodE3ELS4_3ELS4_3ELNS0_20block_scan_algorithmE0ELj4294967295EEENS1_25partition_config_selectorILNS1_17partition_subalgoE4EjNS0_10empty_typeEbEEZZNS1_14partition_implILS8_4ELb0ES6_15HIP_vector_typeIjLj2EENS0_17counting_iteratorIjlEEPS9_SG_NS0_5tupleIJPjSI_NS0_16reverse_iteratorISI_EEEEENSH_IJSG_SG_SG_EEES9_SI_JZNS1_25segmented_radix_sort_implINS0_14default_configELb1EPKaPaPKlPlN2at6native12_GLOBAL__N_18offset_tEEE10hipError_tPvRmT1_PNSt15iterator_traitsIS12_E10value_typeET2_T3_PNS13_IS18_E10value_typeET4_jRbjT5_S1E_jjP12ihipStream_tbEUljE_ZNSN_ISO_Lb1ESQ_SR_ST_SU_SY_EESZ_S10_S11_S12_S16_S17_S18_S1B_S1C_jS1D_jS1E_S1E_jjS1G_bEUljE0_EEESZ_S10_S11_S18_S1C_S1E_T6_T7_T9_mT8_S1G_bDpT10_ENKUlT_T0_E_clISt17integral_constantIbLb1EES1T_IbLb0EEEEDaS1P_S1Q_EUlS1P_E_NS1_11comp_targetILNS1_3genE8ELNS1_11target_archE1030ELNS1_3gpuE2ELNS1_3repE0EEENS1_30default_config_static_selectorELNS0_4arch9wavefront6targetE1EEEvS12_.num_named_barrier, 0
	.set _ZN7rocprim17ROCPRIM_400000_NS6detail17trampoline_kernelINS0_13select_configILj256ELj13ELNS0_17block_load_methodE3ELS4_3ELS4_3ELNS0_20block_scan_algorithmE0ELj4294967295EEENS1_25partition_config_selectorILNS1_17partition_subalgoE4EjNS0_10empty_typeEbEEZZNS1_14partition_implILS8_4ELb0ES6_15HIP_vector_typeIjLj2EENS0_17counting_iteratorIjlEEPS9_SG_NS0_5tupleIJPjSI_NS0_16reverse_iteratorISI_EEEEENSH_IJSG_SG_SG_EEES9_SI_JZNS1_25segmented_radix_sort_implINS0_14default_configELb1EPKaPaPKlPlN2at6native12_GLOBAL__N_18offset_tEEE10hipError_tPvRmT1_PNSt15iterator_traitsIS12_E10value_typeET2_T3_PNS13_IS18_E10value_typeET4_jRbjT5_S1E_jjP12ihipStream_tbEUljE_ZNSN_ISO_Lb1ESQ_SR_ST_SU_SY_EESZ_S10_S11_S12_S16_S17_S18_S1B_S1C_jS1D_jS1E_S1E_jjS1G_bEUljE0_EEESZ_S10_S11_S18_S1C_S1E_T6_T7_T9_mT8_S1G_bDpT10_ENKUlT_T0_E_clISt17integral_constantIbLb1EES1T_IbLb0EEEEDaS1P_S1Q_EUlS1P_E_NS1_11comp_targetILNS1_3genE8ELNS1_11target_archE1030ELNS1_3gpuE2ELNS1_3repE0EEENS1_30default_config_static_selectorELNS0_4arch9wavefront6targetE1EEEvS12_.private_seg_size, 0
	.set _ZN7rocprim17ROCPRIM_400000_NS6detail17trampoline_kernelINS0_13select_configILj256ELj13ELNS0_17block_load_methodE3ELS4_3ELS4_3ELNS0_20block_scan_algorithmE0ELj4294967295EEENS1_25partition_config_selectorILNS1_17partition_subalgoE4EjNS0_10empty_typeEbEEZZNS1_14partition_implILS8_4ELb0ES6_15HIP_vector_typeIjLj2EENS0_17counting_iteratorIjlEEPS9_SG_NS0_5tupleIJPjSI_NS0_16reverse_iteratorISI_EEEEENSH_IJSG_SG_SG_EEES9_SI_JZNS1_25segmented_radix_sort_implINS0_14default_configELb1EPKaPaPKlPlN2at6native12_GLOBAL__N_18offset_tEEE10hipError_tPvRmT1_PNSt15iterator_traitsIS12_E10value_typeET2_T3_PNS13_IS18_E10value_typeET4_jRbjT5_S1E_jjP12ihipStream_tbEUljE_ZNSN_ISO_Lb1ESQ_SR_ST_SU_SY_EESZ_S10_S11_S12_S16_S17_S18_S1B_S1C_jS1D_jS1E_S1E_jjS1G_bEUljE0_EEESZ_S10_S11_S18_S1C_S1E_T6_T7_T9_mT8_S1G_bDpT10_ENKUlT_T0_E_clISt17integral_constantIbLb1EES1T_IbLb0EEEEDaS1P_S1Q_EUlS1P_E_NS1_11comp_targetILNS1_3genE8ELNS1_11target_archE1030ELNS1_3gpuE2ELNS1_3repE0EEENS1_30default_config_static_selectorELNS0_4arch9wavefront6targetE1EEEvS12_.uses_vcc, 0
	.set _ZN7rocprim17ROCPRIM_400000_NS6detail17trampoline_kernelINS0_13select_configILj256ELj13ELNS0_17block_load_methodE3ELS4_3ELS4_3ELNS0_20block_scan_algorithmE0ELj4294967295EEENS1_25partition_config_selectorILNS1_17partition_subalgoE4EjNS0_10empty_typeEbEEZZNS1_14partition_implILS8_4ELb0ES6_15HIP_vector_typeIjLj2EENS0_17counting_iteratorIjlEEPS9_SG_NS0_5tupleIJPjSI_NS0_16reverse_iteratorISI_EEEEENSH_IJSG_SG_SG_EEES9_SI_JZNS1_25segmented_radix_sort_implINS0_14default_configELb1EPKaPaPKlPlN2at6native12_GLOBAL__N_18offset_tEEE10hipError_tPvRmT1_PNSt15iterator_traitsIS12_E10value_typeET2_T3_PNS13_IS18_E10value_typeET4_jRbjT5_S1E_jjP12ihipStream_tbEUljE_ZNSN_ISO_Lb1ESQ_SR_ST_SU_SY_EESZ_S10_S11_S12_S16_S17_S18_S1B_S1C_jS1D_jS1E_S1E_jjS1G_bEUljE0_EEESZ_S10_S11_S18_S1C_S1E_T6_T7_T9_mT8_S1G_bDpT10_ENKUlT_T0_E_clISt17integral_constantIbLb1EES1T_IbLb0EEEEDaS1P_S1Q_EUlS1P_E_NS1_11comp_targetILNS1_3genE8ELNS1_11target_archE1030ELNS1_3gpuE2ELNS1_3repE0EEENS1_30default_config_static_selectorELNS0_4arch9wavefront6targetE1EEEvS12_.uses_flat_scratch, 0
	.set _ZN7rocprim17ROCPRIM_400000_NS6detail17trampoline_kernelINS0_13select_configILj256ELj13ELNS0_17block_load_methodE3ELS4_3ELS4_3ELNS0_20block_scan_algorithmE0ELj4294967295EEENS1_25partition_config_selectorILNS1_17partition_subalgoE4EjNS0_10empty_typeEbEEZZNS1_14partition_implILS8_4ELb0ES6_15HIP_vector_typeIjLj2EENS0_17counting_iteratorIjlEEPS9_SG_NS0_5tupleIJPjSI_NS0_16reverse_iteratorISI_EEEEENSH_IJSG_SG_SG_EEES9_SI_JZNS1_25segmented_radix_sort_implINS0_14default_configELb1EPKaPaPKlPlN2at6native12_GLOBAL__N_18offset_tEEE10hipError_tPvRmT1_PNSt15iterator_traitsIS12_E10value_typeET2_T3_PNS13_IS18_E10value_typeET4_jRbjT5_S1E_jjP12ihipStream_tbEUljE_ZNSN_ISO_Lb1ESQ_SR_ST_SU_SY_EESZ_S10_S11_S12_S16_S17_S18_S1B_S1C_jS1D_jS1E_S1E_jjS1G_bEUljE0_EEESZ_S10_S11_S18_S1C_S1E_T6_T7_T9_mT8_S1G_bDpT10_ENKUlT_T0_E_clISt17integral_constantIbLb1EES1T_IbLb0EEEEDaS1P_S1Q_EUlS1P_E_NS1_11comp_targetILNS1_3genE8ELNS1_11target_archE1030ELNS1_3gpuE2ELNS1_3repE0EEENS1_30default_config_static_selectorELNS0_4arch9wavefront6targetE1EEEvS12_.has_dyn_sized_stack, 0
	.set _ZN7rocprim17ROCPRIM_400000_NS6detail17trampoline_kernelINS0_13select_configILj256ELj13ELNS0_17block_load_methodE3ELS4_3ELS4_3ELNS0_20block_scan_algorithmE0ELj4294967295EEENS1_25partition_config_selectorILNS1_17partition_subalgoE4EjNS0_10empty_typeEbEEZZNS1_14partition_implILS8_4ELb0ES6_15HIP_vector_typeIjLj2EENS0_17counting_iteratorIjlEEPS9_SG_NS0_5tupleIJPjSI_NS0_16reverse_iteratorISI_EEEEENSH_IJSG_SG_SG_EEES9_SI_JZNS1_25segmented_radix_sort_implINS0_14default_configELb1EPKaPaPKlPlN2at6native12_GLOBAL__N_18offset_tEEE10hipError_tPvRmT1_PNSt15iterator_traitsIS12_E10value_typeET2_T3_PNS13_IS18_E10value_typeET4_jRbjT5_S1E_jjP12ihipStream_tbEUljE_ZNSN_ISO_Lb1ESQ_SR_ST_SU_SY_EESZ_S10_S11_S12_S16_S17_S18_S1B_S1C_jS1D_jS1E_S1E_jjS1G_bEUljE0_EEESZ_S10_S11_S18_S1C_S1E_T6_T7_T9_mT8_S1G_bDpT10_ENKUlT_T0_E_clISt17integral_constantIbLb1EES1T_IbLb0EEEEDaS1P_S1Q_EUlS1P_E_NS1_11comp_targetILNS1_3genE8ELNS1_11target_archE1030ELNS1_3gpuE2ELNS1_3repE0EEENS1_30default_config_static_selectorELNS0_4arch9wavefront6targetE1EEEvS12_.has_recursion, 0
	.set _ZN7rocprim17ROCPRIM_400000_NS6detail17trampoline_kernelINS0_13select_configILj256ELj13ELNS0_17block_load_methodE3ELS4_3ELS4_3ELNS0_20block_scan_algorithmE0ELj4294967295EEENS1_25partition_config_selectorILNS1_17partition_subalgoE4EjNS0_10empty_typeEbEEZZNS1_14partition_implILS8_4ELb0ES6_15HIP_vector_typeIjLj2EENS0_17counting_iteratorIjlEEPS9_SG_NS0_5tupleIJPjSI_NS0_16reverse_iteratorISI_EEEEENSH_IJSG_SG_SG_EEES9_SI_JZNS1_25segmented_radix_sort_implINS0_14default_configELb1EPKaPaPKlPlN2at6native12_GLOBAL__N_18offset_tEEE10hipError_tPvRmT1_PNSt15iterator_traitsIS12_E10value_typeET2_T3_PNS13_IS18_E10value_typeET4_jRbjT5_S1E_jjP12ihipStream_tbEUljE_ZNSN_ISO_Lb1ESQ_SR_ST_SU_SY_EESZ_S10_S11_S12_S16_S17_S18_S1B_S1C_jS1D_jS1E_S1E_jjS1G_bEUljE0_EEESZ_S10_S11_S18_S1C_S1E_T6_T7_T9_mT8_S1G_bDpT10_ENKUlT_T0_E_clISt17integral_constantIbLb1EES1T_IbLb0EEEEDaS1P_S1Q_EUlS1P_E_NS1_11comp_targetILNS1_3genE8ELNS1_11target_archE1030ELNS1_3gpuE2ELNS1_3repE0EEENS1_30default_config_static_selectorELNS0_4arch9wavefront6targetE1EEEvS12_.has_indirect_call, 0
	.section	.AMDGPU.csdata,"",@progbits
; Kernel info:
; codeLenInByte = 0
; TotalNumSgprs: 4
; NumVgprs: 0
; ScratchSize: 0
; MemoryBound: 0
; FloatMode: 240
; IeeeMode: 1
; LDSByteSize: 0 bytes/workgroup (compile time only)
; SGPRBlocks: 0
; VGPRBlocks: 0
; NumSGPRsForWavesPerEU: 4
; NumVGPRsForWavesPerEU: 1
; Occupancy: 10
; WaveLimiterHint : 0
; COMPUTE_PGM_RSRC2:SCRATCH_EN: 0
; COMPUTE_PGM_RSRC2:USER_SGPR: 6
; COMPUTE_PGM_RSRC2:TRAP_HANDLER: 0
; COMPUTE_PGM_RSRC2:TGID_X_EN: 1
; COMPUTE_PGM_RSRC2:TGID_Y_EN: 0
; COMPUTE_PGM_RSRC2:TGID_Z_EN: 0
; COMPUTE_PGM_RSRC2:TIDIG_COMP_CNT: 0
	.section	.text._ZN7rocprim17ROCPRIM_400000_NS6detail17trampoline_kernelINS0_13select_configILj256ELj13ELNS0_17block_load_methodE3ELS4_3ELS4_3ELNS0_20block_scan_algorithmE0ELj4294967295EEENS1_25partition_config_selectorILNS1_17partition_subalgoE4EjNS0_10empty_typeEbEEZZNS1_14partition_implILS8_4ELb0ES6_15HIP_vector_typeIjLj2EENS0_17counting_iteratorIjlEEPS9_SG_NS0_5tupleIJPjSI_NS0_16reverse_iteratorISI_EEEEENSH_IJSG_SG_SG_EEES9_SI_JZNS1_25segmented_radix_sort_implINS0_14default_configELb1EPKaPaPKlPlN2at6native12_GLOBAL__N_18offset_tEEE10hipError_tPvRmT1_PNSt15iterator_traitsIS12_E10value_typeET2_T3_PNS13_IS18_E10value_typeET4_jRbjT5_S1E_jjP12ihipStream_tbEUljE_ZNSN_ISO_Lb1ESQ_SR_ST_SU_SY_EESZ_S10_S11_S12_S16_S17_S18_S1B_S1C_jS1D_jS1E_S1E_jjS1G_bEUljE0_EEESZ_S10_S11_S18_S1C_S1E_T6_T7_T9_mT8_S1G_bDpT10_ENKUlT_T0_E_clISt17integral_constantIbLb0EES1T_IbLb1EEEEDaS1P_S1Q_EUlS1P_E_NS1_11comp_targetILNS1_3genE0ELNS1_11target_archE4294967295ELNS1_3gpuE0ELNS1_3repE0EEENS1_30default_config_static_selectorELNS0_4arch9wavefront6targetE1EEEvS12_,"axG",@progbits,_ZN7rocprim17ROCPRIM_400000_NS6detail17trampoline_kernelINS0_13select_configILj256ELj13ELNS0_17block_load_methodE3ELS4_3ELS4_3ELNS0_20block_scan_algorithmE0ELj4294967295EEENS1_25partition_config_selectorILNS1_17partition_subalgoE4EjNS0_10empty_typeEbEEZZNS1_14partition_implILS8_4ELb0ES6_15HIP_vector_typeIjLj2EENS0_17counting_iteratorIjlEEPS9_SG_NS0_5tupleIJPjSI_NS0_16reverse_iteratorISI_EEEEENSH_IJSG_SG_SG_EEES9_SI_JZNS1_25segmented_radix_sort_implINS0_14default_configELb1EPKaPaPKlPlN2at6native12_GLOBAL__N_18offset_tEEE10hipError_tPvRmT1_PNSt15iterator_traitsIS12_E10value_typeET2_T3_PNS13_IS18_E10value_typeET4_jRbjT5_S1E_jjP12ihipStream_tbEUljE_ZNSN_ISO_Lb1ESQ_SR_ST_SU_SY_EESZ_S10_S11_S12_S16_S17_S18_S1B_S1C_jS1D_jS1E_S1E_jjS1G_bEUljE0_EEESZ_S10_S11_S18_S1C_S1E_T6_T7_T9_mT8_S1G_bDpT10_ENKUlT_T0_E_clISt17integral_constantIbLb0EES1T_IbLb1EEEEDaS1P_S1Q_EUlS1P_E_NS1_11comp_targetILNS1_3genE0ELNS1_11target_archE4294967295ELNS1_3gpuE0ELNS1_3repE0EEENS1_30default_config_static_selectorELNS0_4arch9wavefront6targetE1EEEvS12_,comdat
	.globl	_ZN7rocprim17ROCPRIM_400000_NS6detail17trampoline_kernelINS0_13select_configILj256ELj13ELNS0_17block_load_methodE3ELS4_3ELS4_3ELNS0_20block_scan_algorithmE0ELj4294967295EEENS1_25partition_config_selectorILNS1_17partition_subalgoE4EjNS0_10empty_typeEbEEZZNS1_14partition_implILS8_4ELb0ES6_15HIP_vector_typeIjLj2EENS0_17counting_iteratorIjlEEPS9_SG_NS0_5tupleIJPjSI_NS0_16reverse_iteratorISI_EEEEENSH_IJSG_SG_SG_EEES9_SI_JZNS1_25segmented_radix_sort_implINS0_14default_configELb1EPKaPaPKlPlN2at6native12_GLOBAL__N_18offset_tEEE10hipError_tPvRmT1_PNSt15iterator_traitsIS12_E10value_typeET2_T3_PNS13_IS18_E10value_typeET4_jRbjT5_S1E_jjP12ihipStream_tbEUljE_ZNSN_ISO_Lb1ESQ_SR_ST_SU_SY_EESZ_S10_S11_S12_S16_S17_S18_S1B_S1C_jS1D_jS1E_S1E_jjS1G_bEUljE0_EEESZ_S10_S11_S18_S1C_S1E_T6_T7_T9_mT8_S1G_bDpT10_ENKUlT_T0_E_clISt17integral_constantIbLb0EES1T_IbLb1EEEEDaS1P_S1Q_EUlS1P_E_NS1_11comp_targetILNS1_3genE0ELNS1_11target_archE4294967295ELNS1_3gpuE0ELNS1_3repE0EEENS1_30default_config_static_selectorELNS0_4arch9wavefront6targetE1EEEvS12_ ; -- Begin function _ZN7rocprim17ROCPRIM_400000_NS6detail17trampoline_kernelINS0_13select_configILj256ELj13ELNS0_17block_load_methodE3ELS4_3ELS4_3ELNS0_20block_scan_algorithmE0ELj4294967295EEENS1_25partition_config_selectorILNS1_17partition_subalgoE4EjNS0_10empty_typeEbEEZZNS1_14partition_implILS8_4ELb0ES6_15HIP_vector_typeIjLj2EENS0_17counting_iteratorIjlEEPS9_SG_NS0_5tupleIJPjSI_NS0_16reverse_iteratorISI_EEEEENSH_IJSG_SG_SG_EEES9_SI_JZNS1_25segmented_radix_sort_implINS0_14default_configELb1EPKaPaPKlPlN2at6native12_GLOBAL__N_18offset_tEEE10hipError_tPvRmT1_PNSt15iterator_traitsIS12_E10value_typeET2_T3_PNS13_IS18_E10value_typeET4_jRbjT5_S1E_jjP12ihipStream_tbEUljE_ZNSN_ISO_Lb1ESQ_SR_ST_SU_SY_EESZ_S10_S11_S12_S16_S17_S18_S1B_S1C_jS1D_jS1E_S1E_jjS1G_bEUljE0_EEESZ_S10_S11_S18_S1C_S1E_T6_T7_T9_mT8_S1G_bDpT10_ENKUlT_T0_E_clISt17integral_constantIbLb0EES1T_IbLb1EEEEDaS1P_S1Q_EUlS1P_E_NS1_11comp_targetILNS1_3genE0ELNS1_11target_archE4294967295ELNS1_3gpuE0ELNS1_3repE0EEENS1_30default_config_static_selectorELNS0_4arch9wavefront6targetE1EEEvS12_
	.p2align	8
	.type	_ZN7rocprim17ROCPRIM_400000_NS6detail17trampoline_kernelINS0_13select_configILj256ELj13ELNS0_17block_load_methodE3ELS4_3ELS4_3ELNS0_20block_scan_algorithmE0ELj4294967295EEENS1_25partition_config_selectorILNS1_17partition_subalgoE4EjNS0_10empty_typeEbEEZZNS1_14partition_implILS8_4ELb0ES6_15HIP_vector_typeIjLj2EENS0_17counting_iteratorIjlEEPS9_SG_NS0_5tupleIJPjSI_NS0_16reverse_iteratorISI_EEEEENSH_IJSG_SG_SG_EEES9_SI_JZNS1_25segmented_radix_sort_implINS0_14default_configELb1EPKaPaPKlPlN2at6native12_GLOBAL__N_18offset_tEEE10hipError_tPvRmT1_PNSt15iterator_traitsIS12_E10value_typeET2_T3_PNS13_IS18_E10value_typeET4_jRbjT5_S1E_jjP12ihipStream_tbEUljE_ZNSN_ISO_Lb1ESQ_SR_ST_SU_SY_EESZ_S10_S11_S12_S16_S17_S18_S1B_S1C_jS1D_jS1E_S1E_jjS1G_bEUljE0_EEESZ_S10_S11_S18_S1C_S1E_T6_T7_T9_mT8_S1G_bDpT10_ENKUlT_T0_E_clISt17integral_constantIbLb0EES1T_IbLb1EEEEDaS1P_S1Q_EUlS1P_E_NS1_11comp_targetILNS1_3genE0ELNS1_11target_archE4294967295ELNS1_3gpuE0ELNS1_3repE0EEENS1_30default_config_static_selectorELNS0_4arch9wavefront6targetE1EEEvS12_,@function
_ZN7rocprim17ROCPRIM_400000_NS6detail17trampoline_kernelINS0_13select_configILj256ELj13ELNS0_17block_load_methodE3ELS4_3ELS4_3ELNS0_20block_scan_algorithmE0ELj4294967295EEENS1_25partition_config_selectorILNS1_17partition_subalgoE4EjNS0_10empty_typeEbEEZZNS1_14partition_implILS8_4ELb0ES6_15HIP_vector_typeIjLj2EENS0_17counting_iteratorIjlEEPS9_SG_NS0_5tupleIJPjSI_NS0_16reverse_iteratorISI_EEEEENSH_IJSG_SG_SG_EEES9_SI_JZNS1_25segmented_radix_sort_implINS0_14default_configELb1EPKaPaPKlPlN2at6native12_GLOBAL__N_18offset_tEEE10hipError_tPvRmT1_PNSt15iterator_traitsIS12_E10value_typeET2_T3_PNS13_IS18_E10value_typeET4_jRbjT5_S1E_jjP12ihipStream_tbEUljE_ZNSN_ISO_Lb1ESQ_SR_ST_SU_SY_EESZ_S10_S11_S12_S16_S17_S18_S1B_S1C_jS1D_jS1E_S1E_jjS1G_bEUljE0_EEESZ_S10_S11_S18_S1C_S1E_T6_T7_T9_mT8_S1G_bDpT10_ENKUlT_T0_E_clISt17integral_constantIbLb0EES1T_IbLb1EEEEDaS1P_S1Q_EUlS1P_E_NS1_11comp_targetILNS1_3genE0ELNS1_11target_archE4294967295ELNS1_3gpuE0ELNS1_3repE0EEENS1_30default_config_static_selectorELNS0_4arch9wavefront6targetE1EEEvS12_: ; @_ZN7rocprim17ROCPRIM_400000_NS6detail17trampoline_kernelINS0_13select_configILj256ELj13ELNS0_17block_load_methodE3ELS4_3ELS4_3ELNS0_20block_scan_algorithmE0ELj4294967295EEENS1_25partition_config_selectorILNS1_17partition_subalgoE4EjNS0_10empty_typeEbEEZZNS1_14partition_implILS8_4ELb0ES6_15HIP_vector_typeIjLj2EENS0_17counting_iteratorIjlEEPS9_SG_NS0_5tupleIJPjSI_NS0_16reverse_iteratorISI_EEEEENSH_IJSG_SG_SG_EEES9_SI_JZNS1_25segmented_radix_sort_implINS0_14default_configELb1EPKaPaPKlPlN2at6native12_GLOBAL__N_18offset_tEEE10hipError_tPvRmT1_PNSt15iterator_traitsIS12_E10value_typeET2_T3_PNS13_IS18_E10value_typeET4_jRbjT5_S1E_jjP12ihipStream_tbEUljE_ZNSN_ISO_Lb1ESQ_SR_ST_SU_SY_EESZ_S10_S11_S12_S16_S17_S18_S1B_S1C_jS1D_jS1E_S1E_jjS1G_bEUljE0_EEESZ_S10_S11_S18_S1C_S1E_T6_T7_T9_mT8_S1G_bDpT10_ENKUlT_T0_E_clISt17integral_constantIbLb0EES1T_IbLb1EEEEDaS1P_S1Q_EUlS1P_E_NS1_11comp_targetILNS1_3genE0ELNS1_11target_archE4294967295ELNS1_3gpuE0ELNS1_3repE0EEENS1_30default_config_static_selectorELNS0_4arch9wavefront6targetE1EEEvS12_
; %bb.0:
	.section	.rodata,"a",@progbits
	.p2align	6, 0x0
	.amdhsa_kernel _ZN7rocprim17ROCPRIM_400000_NS6detail17trampoline_kernelINS0_13select_configILj256ELj13ELNS0_17block_load_methodE3ELS4_3ELS4_3ELNS0_20block_scan_algorithmE0ELj4294967295EEENS1_25partition_config_selectorILNS1_17partition_subalgoE4EjNS0_10empty_typeEbEEZZNS1_14partition_implILS8_4ELb0ES6_15HIP_vector_typeIjLj2EENS0_17counting_iteratorIjlEEPS9_SG_NS0_5tupleIJPjSI_NS0_16reverse_iteratorISI_EEEEENSH_IJSG_SG_SG_EEES9_SI_JZNS1_25segmented_radix_sort_implINS0_14default_configELb1EPKaPaPKlPlN2at6native12_GLOBAL__N_18offset_tEEE10hipError_tPvRmT1_PNSt15iterator_traitsIS12_E10value_typeET2_T3_PNS13_IS18_E10value_typeET4_jRbjT5_S1E_jjP12ihipStream_tbEUljE_ZNSN_ISO_Lb1ESQ_SR_ST_SU_SY_EESZ_S10_S11_S12_S16_S17_S18_S1B_S1C_jS1D_jS1E_S1E_jjS1G_bEUljE0_EEESZ_S10_S11_S18_S1C_S1E_T6_T7_T9_mT8_S1G_bDpT10_ENKUlT_T0_E_clISt17integral_constantIbLb0EES1T_IbLb1EEEEDaS1P_S1Q_EUlS1P_E_NS1_11comp_targetILNS1_3genE0ELNS1_11target_archE4294967295ELNS1_3gpuE0ELNS1_3repE0EEENS1_30default_config_static_selectorELNS0_4arch9wavefront6targetE1EEEvS12_
		.amdhsa_group_segment_fixed_size 0
		.amdhsa_private_segment_fixed_size 0
		.amdhsa_kernarg_size 184
		.amdhsa_user_sgpr_count 6
		.amdhsa_user_sgpr_private_segment_buffer 1
		.amdhsa_user_sgpr_dispatch_ptr 0
		.amdhsa_user_sgpr_queue_ptr 0
		.amdhsa_user_sgpr_kernarg_segment_ptr 1
		.amdhsa_user_sgpr_dispatch_id 0
		.amdhsa_user_sgpr_flat_scratch_init 0
		.amdhsa_user_sgpr_private_segment_size 0
		.amdhsa_uses_dynamic_stack 0
		.amdhsa_system_sgpr_private_segment_wavefront_offset 0
		.amdhsa_system_sgpr_workgroup_id_x 1
		.amdhsa_system_sgpr_workgroup_id_y 0
		.amdhsa_system_sgpr_workgroup_id_z 0
		.amdhsa_system_sgpr_workgroup_info 0
		.amdhsa_system_vgpr_workitem_id 0
		.amdhsa_next_free_vgpr 1
		.amdhsa_next_free_sgpr 0
		.amdhsa_reserve_vcc 0
		.amdhsa_reserve_flat_scratch 0
		.amdhsa_float_round_mode_32 0
		.amdhsa_float_round_mode_16_64 0
		.amdhsa_float_denorm_mode_32 3
		.amdhsa_float_denorm_mode_16_64 3
		.amdhsa_dx10_clamp 1
		.amdhsa_ieee_mode 1
		.amdhsa_fp16_overflow 0
		.amdhsa_exception_fp_ieee_invalid_op 0
		.amdhsa_exception_fp_denorm_src 0
		.amdhsa_exception_fp_ieee_div_zero 0
		.amdhsa_exception_fp_ieee_overflow 0
		.amdhsa_exception_fp_ieee_underflow 0
		.amdhsa_exception_fp_ieee_inexact 0
		.amdhsa_exception_int_div_zero 0
	.end_amdhsa_kernel
	.section	.text._ZN7rocprim17ROCPRIM_400000_NS6detail17trampoline_kernelINS0_13select_configILj256ELj13ELNS0_17block_load_methodE3ELS4_3ELS4_3ELNS0_20block_scan_algorithmE0ELj4294967295EEENS1_25partition_config_selectorILNS1_17partition_subalgoE4EjNS0_10empty_typeEbEEZZNS1_14partition_implILS8_4ELb0ES6_15HIP_vector_typeIjLj2EENS0_17counting_iteratorIjlEEPS9_SG_NS0_5tupleIJPjSI_NS0_16reverse_iteratorISI_EEEEENSH_IJSG_SG_SG_EEES9_SI_JZNS1_25segmented_radix_sort_implINS0_14default_configELb1EPKaPaPKlPlN2at6native12_GLOBAL__N_18offset_tEEE10hipError_tPvRmT1_PNSt15iterator_traitsIS12_E10value_typeET2_T3_PNS13_IS18_E10value_typeET4_jRbjT5_S1E_jjP12ihipStream_tbEUljE_ZNSN_ISO_Lb1ESQ_SR_ST_SU_SY_EESZ_S10_S11_S12_S16_S17_S18_S1B_S1C_jS1D_jS1E_S1E_jjS1G_bEUljE0_EEESZ_S10_S11_S18_S1C_S1E_T6_T7_T9_mT8_S1G_bDpT10_ENKUlT_T0_E_clISt17integral_constantIbLb0EES1T_IbLb1EEEEDaS1P_S1Q_EUlS1P_E_NS1_11comp_targetILNS1_3genE0ELNS1_11target_archE4294967295ELNS1_3gpuE0ELNS1_3repE0EEENS1_30default_config_static_selectorELNS0_4arch9wavefront6targetE1EEEvS12_,"axG",@progbits,_ZN7rocprim17ROCPRIM_400000_NS6detail17trampoline_kernelINS0_13select_configILj256ELj13ELNS0_17block_load_methodE3ELS4_3ELS4_3ELNS0_20block_scan_algorithmE0ELj4294967295EEENS1_25partition_config_selectorILNS1_17partition_subalgoE4EjNS0_10empty_typeEbEEZZNS1_14partition_implILS8_4ELb0ES6_15HIP_vector_typeIjLj2EENS0_17counting_iteratorIjlEEPS9_SG_NS0_5tupleIJPjSI_NS0_16reverse_iteratorISI_EEEEENSH_IJSG_SG_SG_EEES9_SI_JZNS1_25segmented_radix_sort_implINS0_14default_configELb1EPKaPaPKlPlN2at6native12_GLOBAL__N_18offset_tEEE10hipError_tPvRmT1_PNSt15iterator_traitsIS12_E10value_typeET2_T3_PNS13_IS18_E10value_typeET4_jRbjT5_S1E_jjP12ihipStream_tbEUljE_ZNSN_ISO_Lb1ESQ_SR_ST_SU_SY_EESZ_S10_S11_S12_S16_S17_S18_S1B_S1C_jS1D_jS1E_S1E_jjS1G_bEUljE0_EEESZ_S10_S11_S18_S1C_S1E_T6_T7_T9_mT8_S1G_bDpT10_ENKUlT_T0_E_clISt17integral_constantIbLb0EES1T_IbLb1EEEEDaS1P_S1Q_EUlS1P_E_NS1_11comp_targetILNS1_3genE0ELNS1_11target_archE4294967295ELNS1_3gpuE0ELNS1_3repE0EEENS1_30default_config_static_selectorELNS0_4arch9wavefront6targetE1EEEvS12_,comdat
.Lfunc_end250:
	.size	_ZN7rocprim17ROCPRIM_400000_NS6detail17trampoline_kernelINS0_13select_configILj256ELj13ELNS0_17block_load_methodE3ELS4_3ELS4_3ELNS0_20block_scan_algorithmE0ELj4294967295EEENS1_25partition_config_selectorILNS1_17partition_subalgoE4EjNS0_10empty_typeEbEEZZNS1_14partition_implILS8_4ELb0ES6_15HIP_vector_typeIjLj2EENS0_17counting_iteratorIjlEEPS9_SG_NS0_5tupleIJPjSI_NS0_16reverse_iteratorISI_EEEEENSH_IJSG_SG_SG_EEES9_SI_JZNS1_25segmented_radix_sort_implINS0_14default_configELb1EPKaPaPKlPlN2at6native12_GLOBAL__N_18offset_tEEE10hipError_tPvRmT1_PNSt15iterator_traitsIS12_E10value_typeET2_T3_PNS13_IS18_E10value_typeET4_jRbjT5_S1E_jjP12ihipStream_tbEUljE_ZNSN_ISO_Lb1ESQ_SR_ST_SU_SY_EESZ_S10_S11_S12_S16_S17_S18_S1B_S1C_jS1D_jS1E_S1E_jjS1G_bEUljE0_EEESZ_S10_S11_S18_S1C_S1E_T6_T7_T9_mT8_S1G_bDpT10_ENKUlT_T0_E_clISt17integral_constantIbLb0EES1T_IbLb1EEEEDaS1P_S1Q_EUlS1P_E_NS1_11comp_targetILNS1_3genE0ELNS1_11target_archE4294967295ELNS1_3gpuE0ELNS1_3repE0EEENS1_30default_config_static_selectorELNS0_4arch9wavefront6targetE1EEEvS12_, .Lfunc_end250-_ZN7rocprim17ROCPRIM_400000_NS6detail17trampoline_kernelINS0_13select_configILj256ELj13ELNS0_17block_load_methodE3ELS4_3ELS4_3ELNS0_20block_scan_algorithmE0ELj4294967295EEENS1_25partition_config_selectorILNS1_17partition_subalgoE4EjNS0_10empty_typeEbEEZZNS1_14partition_implILS8_4ELb0ES6_15HIP_vector_typeIjLj2EENS0_17counting_iteratorIjlEEPS9_SG_NS0_5tupleIJPjSI_NS0_16reverse_iteratorISI_EEEEENSH_IJSG_SG_SG_EEES9_SI_JZNS1_25segmented_radix_sort_implINS0_14default_configELb1EPKaPaPKlPlN2at6native12_GLOBAL__N_18offset_tEEE10hipError_tPvRmT1_PNSt15iterator_traitsIS12_E10value_typeET2_T3_PNS13_IS18_E10value_typeET4_jRbjT5_S1E_jjP12ihipStream_tbEUljE_ZNSN_ISO_Lb1ESQ_SR_ST_SU_SY_EESZ_S10_S11_S12_S16_S17_S18_S1B_S1C_jS1D_jS1E_S1E_jjS1G_bEUljE0_EEESZ_S10_S11_S18_S1C_S1E_T6_T7_T9_mT8_S1G_bDpT10_ENKUlT_T0_E_clISt17integral_constantIbLb0EES1T_IbLb1EEEEDaS1P_S1Q_EUlS1P_E_NS1_11comp_targetILNS1_3genE0ELNS1_11target_archE4294967295ELNS1_3gpuE0ELNS1_3repE0EEENS1_30default_config_static_selectorELNS0_4arch9wavefront6targetE1EEEvS12_
                                        ; -- End function
	.set _ZN7rocprim17ROCPRIM_400000_NS6detail17trampoline_kernelINS0_13select_configILj256ELj13ELNS0_17block_load_methodE3ELS4_3ELS4_3ELNS0_20block_scan_algorithmE0ELj4294967295EEENS1_25partition_config_selectorILNS1_17partition_subalgoE4EjNS0_10empty_typeEbEEZZNS1_14partition_implILS8_4ELb0ES6_15HIP_vector_typeIjLj2EENS0_17counting_iteratorIjlEEPS9_SG_NS0_5tupleIJPjSI_NS0_16reverse_iteratorISI_EEEEENSH_IJSG_SG_SG_EEES9_SI_JZNS1_25segmented_radix_sort_implINS0_14default_configELb1EPKaPaPKlPlN2at6native12_GLOBAL__N_18offset_tEEE10hipError_tPvRmT1_PNSt15iterator_traitsIS12_E10value_typeET2_T3_PNS13_IS18_E10value_typeET4_jRbjT5_S1E_jjP12ihipStream_tbEUljE_ZNSN_ISO_Lb1ESQ_SR_ST_SU_SY_EESZ_S10_S11_S12_S16_S17_S18_S1B_S1C_jS1D_jS1E_S1E_jjS1G_bEUljE0_EEESZ_S10_S11_S18_S1C_S1E_T6_T7_T9_mT8_S1G_bDpT10_ENKUlT_T0_E_clISt17integral_constantIbLb0EES1T_IbLb1EEEEDaS1P_S1Q_EUlS1P_E_NS1_11comp_targetILNS1_3genE0ELNS1_11target_archE4294967295ELNS1_3gpuE0ELNS1_3repE0EEENS1_30default_config_static_selectorELNS0_4arch9wavefront6targetE1EEEvS12_.num_vgpr, 0
	.set _ZN7rocprim17ROCPRIM_400000_NS6detail17trampoline_kernelINS0_13select_configILj256ELj13ELNS0_17block_load_methodE3ELS4_3ELS4_3ELNS0_20block_scan_algorithmE0ELj4294967295EEENS1_25partition_config_selectorILNS1_17partition_subalgoE4EjNS0_10empty_typeEbEEZZNS1_14partition_implILS8_4ELb0ES6_15HIP_vector_typeIjLj2EENS0_17counting_iteratorIjlEEPS9_SG_NS0_5tupleIJPjSI_NS0_16reverse_iteratorISI_EEEEENSH_IJSG_SG_SG_EEES9_SI_JZNS1_25segmented_radix_sort_implINS0_14default_configELb1EPKaPaPKlPlN2at6native12_GLOBAL__N_18offset_tEEE10hipError_tPvRmT1_PNSt15iterator_traitsIS12_E10value_typeET2_T3_PNS13_IS18_E10value_typeET4_jRbjT5_S1E_jjP12ihipStream_tbEUljE_ZNSN_ISO_Lb1ESQ_SR_ST_SU_SY_EESZ_S10_S11_S12_S16_S17_S18_S1B_S1C_jS1D_jS1E_S1E_jjS1G_bEUljE0_EEESZ_S10_S11_S18_S1C_S1E_T6_T7_T9_mT8_S1G_bDpT10_ENKUlT_T0_E_clISt17integral_constantIbLb0EES1T_IbLb1EEEEDaS1P_S1Q_EUlS1P_E_NS1_11comp_targetILNS1_3genE0ELNS1_11target_archE4294967295ELNS1_3gpuE0ELNS1_3repE0EEENS1_30default_config_static_selectorELNS0_4arch9wavefront6targetE1EEEvS12_.num_agpr, 0
	.set _ZN7rocprim17ROCPRIM_400000_NS6detail17trampoline_kernelINS0_13select_configILj256ELj13ELNS0_17block_load_methodE3ELS4_3ELS4_3ELNS0_20block_scan_algorithmE0ELj4294967295EEENS1_25partition_config_selectorILNS1_17partition_subalgoE4EjNS0_10empty_typeEbEEZZNS1_14partition_implILS8_4ELb0ES6_15HIP_vector_typeIjLj2EENS0_17counting_iteratorIjlEEPS9_SG_NS0_5tupleIJPjSI_NS0_16reverse_iteratorISI_EEEEENSH_IJSG_SG_SG_EEES9_SI_JZNS1_25segmented_radix_sort_implINS0_14default_configELb1EPKaPaPKlPlN2at6native12_GLOBAL__N_18offset_tEEE10hipError_tPvRmT1_PNSt15iterator_traitsIS12_E10value_typeET2_T3_PNS13_IS18_E10value_typeET4_jRbjT5_S1E_jjP12ihipStream_tbEUljE_ZNSN_ISO_Lb1ESQ_SR_ST_SU_SY_EESZ_S10_S11_S12_S16_S17_S18_S1B_S1C_jS1D_jS1E_S1E_jjS1G_bEUljE0_EEESZ_S10_S11_S18_S1C_S1E_T6_T7_T9_mT8_S1G_bDpT10_ENKUlT_T0_E_clISt17integral_constantIbLb0EES1T_IbLb1EEEEDaS1P_S1Q_EUlS1P_E_NS1_11comp_targetILNS1_3genE0ELNS1_11target_archE4294967295ELNS1_3gpuE0ELNS1_3repE0EEENS1_30default_config_static_selectorELNS0_4arch9wavefront6targetE1EEEvS12_.numbered_sgpr, 0
	.set _ZN7rocprim17ROCPRIM_400000_NS6detail17trampoline_kernelINS0_13select_configILj256ELj13ELNS0_17block_load_methodE3ELS4_3ELS4_3ELNS0_20block_scan_algorithmE0ELj4294967295EEENS1_25partition_config_selectorILNS1_17partition_subalgoE4EjNS0_10empty_typeEbEEZZNS1_14partition_implILS8_4ELb0ES6_15HIP_vector_typeIjLj2EENS0_17counting_iteratorIjlEEPS9_SG_NS0_5tupleIJPjSI_NS0_16reverse_iteratorISI_EEEEENSH_IJSG_SG_SG_EEES9_SI_JZNS1_25segmented_radix_sort_implINS0_14default_configELb1EPKaPaPKlPlN2at6native12_GLOBAL__N_18offset_tEEE10hipError_tPvRmT1_PNSt15iterator_traitsIS12_E10value_typeET2_T3_PNS13_IS18_E10value_typeET4_jRbjT5_S1E_jjP12ihipStream_tbEUljE_ZNSN_ISO_Lb1ESQ_SR_ST_SU_SY_EESZ_S10_S11_S12_S16_S17_S18_S1B_S1C_jS1D_jS1E_S1E_jjS1G_bEUljE0_EEESZ_S10_S11_S18_S1C_S1E_T6_T7_T9_mT8_S1G_bDpT10_ENKUlT_T0_E_clISt17integral_constantIbLb0EES1T_IbLb1EEEEDaS1P_S1Q_EUlS1P_E_NS1_11comp_targetILNS1_3genE0ELNS1_11target_archE4294967295ELNS1_3gpuE0ELNS1_3repE0EEENS1_30default_config_static_selectorELNS0_4arch9wavefront6targetE1EEEvS12_.num_named_barrier, 0
	.set _ZN7rocprim17ROCPRIM_400000_NS6detail17trampoline_kernelINS0_13select_configILj256ELj13ELNS0_17block_load_methodE3ELS4_3ELS4_3ELNS0_20block_scan_algorithmE0ELj4294967295EEENS1_25partition_config_selectorILNS1_17partition_subalgoE4EjNS0_10empty_typeEbEEZZNS1_14partition_implILS8_4ELb0ES6_15HIP_vector_typeIjLj2EENS0_17counting_iteratorIjlEEPS9_SG_NS0_5tupleIJPjSI_NS0_16reverse_iteratorISI_EEEEENSH_IJSG_SG_SG_EEES9_SI_JZNS1_25segmented_radix_sort_implINS0_14default_configELb1EPKaPaPKlPlN2at6native12_GLOBAL__N_18offset_tEEE10hipError_tPvRmT1_PNSt15iterator_traitsIS12_E10value_typeET2_T3_PNS13_IS18_E10value_typeET4_jRbjT5_S1E_jjP12ihipStream_tbEUljE_ZNSN_ISO_Lb1ESQ_SR_ST_SU_SY_EESZ_S10_S11_S12_S16_S17_S18_S1B_S1C_jS1D_jS1E_S1E_jjS1G_bEUljE0_EEESZ_S10_S11_S18_S1C_S1E_T6_T7_T9_mT8_S1G_bDpT10_ENKUlT_T0_E_clISt17integral_constantIbLb0EES1T_IbLb1EEEEDaS1P_S1Q_EUlS1P_E_NS1_11comp_targetILNS1_3genE0ELNS1_11target_archE4294967295ELNS1_3gpuE0ELNS1_3repE0EEENS1_30default_config_static_selectorELNS0_4arch9wavefront6targetE1EEEvS12_.private_seg_size, 0
	.set _ZN7rocprim17ROCPRIM_400000_NS6detail17trampoline_kernelINS0_13select_configILj256ELj13ELNS0_17block_load_methodE3ELS4_3ELS4_3ELNS0_20block_scan_algorithmE0ELj4294967295EEENS1_25partition_config_selectorILNS1_17partition_subalgoE4EjNS0_10empty_typeEbEEZZNS1_14partition_implILS8_4ELb0ES6_15HIP_vector_typeIjLj2EENS0_17counting_iteratorIjlEEPS9_SG_NS0_5tupleIJPjSI_NS0_16reverse_iteratorISI_EEEEENSH_IJSG_SG_SG_EEES9_SI_JZNS1_25segmented_radix_sort_implINS0_14default_configELb1EPKaPaPKlPlN2at6native12_GLOBAL__N_18offset_tEEE10hipError_tPvRmT1_PNSt15iterator_traitsIS12_E10value_typeET2_T3_PNS13_IS18_E10value_typeET4_jRbjT5_S1E_jjP12ihipStream_tbEUljE_ZNSN_ISO_Lb1ESQ_SR_ST_SU_SY_EESZ_S10_S11_S12_S16_S17_S18_S1B_S1C_jS1D_jS1E_S1E_jjS1G_bEUljE0_EEESZ_S10_S11_S18_S1C_S1E_T6_T7_T9_mT8_S1G_bDpT10_ENKUlT_T0_E_clISt17integral_constantIbLb0EES1T_IbLb1EEEEDaS1P_S1Q_EUlS1P_E_NS1_11comp_targetILNS1_3genE0ELNS1_11target_archE4294967295ELNS1_3gpuE0ELNS1_3repE0EEENS1_30default_config_static_selectorELNS0_4arch9wavefront6targetE1EEEvS12_.uses_vcc, 0
	.set _ZN7rocprim17ROCPRIM_400000_NS6detail17trampoline_kernelINS0_13select_configILj256ELj13ELNS0_17block_load_methodE3ELS4_3ELS4_3ELNS0_20block_scan_algorithmE0ELj4294967295EEENS1_25partition_config_selectorILNS1_17partition_subalgoE4EjNS0_10empty_typeEbEEZZNS1_14partition_implILS8_4ELb0ES6_15HIP_vector_typeIjLj2EENS0_17counting_iteratorIjlEEPS9_SG_NS0_5tupleIJPjSI_NS0_16reverse_iteratorISI_EEEEENSH_IJSG_SG_SG_EEES9_SI_JZNS1_25segmented_radix_sort_implINS0_14default_configELb1EPKaPaPKlPlN2at6native12_GLOBAL__N_18offset_tEEE10hipError_tPvRmT1_PNSt15iterator_traitsIS12_E10value_typeET2_T3_PNS13_IS18_E10value_typeET4_jRbjT5_S1E_jjP12ihipStream_tbEUljE_ZNSN_ISO_Lb1ESQ_SR_ST_SU_SY_EESZ_S10_S11_S12_S16_S17_S18_S1B_S1C_jS1D_jS1E_S1E_jjS1G_bEUljE0_EEESZ_S10_S11_S18_S1C_S1E_T6_T7_T9_mT8_S1G_bDpT10_ENKUlT_T0_E_clISt17integral_constantIbLb0EES1T_IbLb1EEEEDaS1P_S1Q_EUlS1P_E_NS1_11comp_targetILNS1_3genE0ELNS1_11target_archE4294967295ELNS1_3gpuE0ELNS1_3repE0EEENS1_30default_config_static_selectorELNS0_4arch9wavefront6targetE1EEEvS12_.uses_flat_scratch, 0
	.set _ZN7rocprim17ROCPRIM_400000_NS6detail17trampoline_kernelINS0_13select_configILj256ELj13ELNS0_17block_load_methodE3ELS4_3ELS4_3ELNS0_20block_scan_algorithmE0ELj4294967295EEENS1_25partition_config_selectorILNS1_17partition_subalgoE4EjNS0_10empty_typeEbEEZZNS1_14partition_implILS8_4ELb0ES6_15HIP_vector_typeIjLj2EENS0_17counting_iteratorIjlEEPS9_SG_NS0_5tupleIJPjSI_NS0_16reverse_iteratorISI_EEEEENSH_IJSG_SG_SG_EEES9_SI_JZNS1_25segmented_radix_sort_implINS0_14default_configELb1EPKaPaPKlPlN2at6native12_GLOBAL__N_18offset_tEEE10hipError_tPvRmT1_PNSt15iterator_traitsIS12_E10value_typeET2_T3_PNS13_IS18_E10value_typeET4_jRbjT5_S1E_jjP12ihipStream_tbEUljE_ZNSN_ISO_Lb1ESQ_SR_ST_SU_SY_EESZ_S10_S11_S12_S16_S17_S18_S1B_S1C_jS1D_jS1E_S1E_jjS1G_bEUljE0_EEESZ_S10_S11_S18_S1C_S1E_T6_T7_T9_mT8_S1G_bDpT10_ENKUlT_T0_E_clISt17integral_constantIbLb0EES1T_IbLb1EEEEDaS1P_S1Q_EUlS1P_E_NS1_11comp_targetILNS1_3genE0ELNS1_11target_archE4294967295ELNS1_3gpuE0ELNS1_3repE0EEENS1_30default_config_static_selectorELNS0_4arch9wavefront6targetE1EEEvS12_.has_dyn_sized_stack, 0
	.set _ZN7rocprim17ROCPRIM_400000_NS6detail17trampoline_kernelINS0_13select_configILj256ELj13ELNS0_17block_load_methodE3ELS4_3ELS4_3ELNS0_20block_scan_algorithmE0ELj4294967295EEENS1_25partition_config_selectorILNS1_17partition_subalgoE4EjNS0_10empty_typeEbEEZZNS1_14partition_implILS8_4ELb0ES6_15HIP_vector_typeIjLj2EENS0_17counting_iteratorIjlEEPS9_SG_NS0_5tupleIJPjSI_NS0_16reverse_iteratorISI_EEEEENSH_IJSG_SG_SG_EEES9_SI_JZNS1_25segmented_radix_sort_implINS0_14default_configELb1EPKaPaPKlPlN2at6native12_GLOBAL__N_18offset_tEEE10hipError_tPvRmT1_PNSt15iterator_traitsIS12_E10value_typeET2_T3_PNS13_IS18_E10value_typeET4_jRbjT5_S1E_jjP12ihipStream_tbEUljE_ZNSN_ISO_Lb1ESQ_SR_ST_SU_SY_EESZ_S10_S11_S12_S16_S17_S18_S1B_S1C_jS1D_jS1E_S1E_jjS1G_bEUljE0_EEESZ_S10_S11_S18_S1C_S1E_T6_T7_T9_mT8_S1G_bDpT10_ENKUlT_T0_E_clISt17integral_constantIbLb0EES1T_IbLb1EEEEDaS1P_S1Q_EUlS1P_E_NS1_11comp_targetILNS1_3genE0ELNS1_11target_archE4294967295ELNS1_3gpuE0ELNS1_3repE0EEENS1_30default_config_static_selectorELNS0_4arch9wavefront6targetE1EEEvS12_.has_recursion, 0
	.set _ZN7rocprim17ROCPRIM_400000_NS6detail17trampoline_kernelINS0_13select_configILj256ELj13ELNS0_17block_load_methodE3ELS4_3ELS4_3ELNS0_20block_scan_algorithmE0ELj4294967295EEENS1_25partition_config_selectorILNS1_17partition_subalgoE4EjNS0_10empty_typeEbEEZZNS1_14partition_implILS8_4ELb0ES6_15HIP_vector_typeIjLj2EENS0_17counting_iteratorIjlEEPS9_SG_NS0_5tupleIJPjSI_NS0_16reverse_iteratorISI_EEEEENSH_IJSG_SG_SG_EEES9_SI_JZNS1_25segmented_radix_sort_implINS0_14default_configELb1EPKaPaPKlPlN2at6native12_GLOBAL__N_18offset_tEEE10hipError_tPvRmT1_PNSt15iterator_traitsIS12_E10value_typeET2_T3_PNS13_IS18_E10value_typeET4_jRbjT5_S1E_jjP12ihipStream_tbEUljE_ZNSN_ISO_Lb1ESQ_SR_ST_SU_SY_EESZ_S10_S11_S12_S16_S17_S18_S1B_S1C_jS1D_jS1E_S1E_jjS1G_bEUljE0_EEESZ_S10_S11_S18_S1C_S1E_T6_T7_T9_mT8_S1G_bDpT10_ENKUlT_T0_E_clISt17integral_constantIbLb0EES1T_IbLb1EEEEDaS1P_S1Q_EUlS1P_E_NS1_11comp_targetILNS1_3genE0ELNS1_11target_archE4294967295ELNS1_3gpuE0ELNS1_3repE0EEENS1_30default_config_static_selectorELNS0_4arch9wavefront6targetE1EEEvS12_.has_indirect_call, 0
	.section	.AMDGPU.csdata,"",@progbits
; Kernel info:
; codeLenInByte = 0
; TotalNumSgprs: 4
; NumVgprs: 0
; ScratchSize: 0
; MemoryBound: 0
; FloatMode: 240
; IeeeMode: 1
; LDSByteSize: 0 bytes/workgroup (compile time only)
; SGPRBlocks: 0
; VGPRBlocks: 0
; NumSGPRsForWavesPerEU: 4
; NumVGPRsForWavesPerEU: 1
; Occupancy: 10
; WaveLimiterHint : 0
; COMPUTE_PGM_RSRC2:SCRATCH_EN: 0
; COMPUTE_PGM_RSRC2:USER_SGPR: 6
; COMPUTE_PGM_RSRC2:TRAP_HANDLER: 0
; COMPUTE_PGM_RSRC2:TGID_X_EN: 1
; COMPUTE_PGM_RSRC2:TGID_Y_EN: 0
; COMPUTE_PGM_RSRC2:TGID_Z_EN: 0
; COMPUTE_PGM_RSRC2:TIDIG_COMP_CNT: 0
	.section	.text._ZN7rocprim17ROCPRIM_400000_NS6detail17trampoline_kernelINS0_13select_configILj256ELj13ELNS0_17block_load_methodE3ELS4_3ELS4_3ELNS0_20block_scan_algorithmE0ELj4294967295EEENS1_25partition_config_selectorILNS1_17partition_subalgoE4EjNS0_10empty_typeEbEEZZNS1_14partition_implILS8_4ELb0ES6_15HIP_vector_typeIjLj2EENS0_17counting_iteratorIjlEEPS9_SG_NS0_5tupleIJPjSI_NS0_16reverse_iteratorISI_EEEEENSH_IJSG_SG_SG_EEES9_SI_JZNS1_25segmented_radix_sort_implINS0_14default_configELb1EPKaPaPKlPlN2at6native12_GLOBAL__N_18offset_tEEE10hipError_tPvRmT1_PNSt15iterator_traitsIS12_E10value_typeET2_T3_PNS13_IS18_E10value_typeET4_jRbjT5_S1E_jjP12ihipStream_tbEUljE_ZNSN_ISO_Lb1ESQ_SR_ST_SU_SY_EESZ_S10_S11_S12_S16_S17_S18_S1B_S1C_jS1D_jS1E_S1E_jjS1G_bEUljE0_EEESZ_S10_S11_S18_S1C_S1E_T6_T7_T9_mT8_S1G_bDpT10_ENKUlT_T0_E_clISt17integral_constantIbLb0EES1T_IbLb1EEEEDaS1P_S1Q_EUlS1P_E_NS1_11comp_targetILNS1_3genE5ELNS1_11target_archE942ELNS1_3gpuE9ELNS1_3repE0EEENS1_30default_config_static_selectorELNS0_4arch9wavefront6targetE1EEEvS12_,"axG",@progbits,_ZN7rocprim17ROCPRIM_400000_NS6detail17trampoline_kernelINS0_13select_configILj256ELj13ELNS0_17block_load_methodE3ELS4_3ELS4_3ELNS0_20block_scan_algorithmE0ELj4294967295EEENS1_25partition_config_selectorILNS1_17partition_subalgoE4EjNS0_10empty_typeEbEEZZNS1_14partition_implILS8_4ELb0ES6_15HIP_vector_typeIjLj2EENS0_17counting_iteratorIjlEEPS9_SG_NS0_5tupleIJPjSI_NS0_16reverse_iteratorISI_EEEEENSH_IJSG_SG_SG_EEES9_SI_JZNS1_25segmented_radix_sort_implINS0_14default_configELb1EPKaPaPKlPlN2at6native12_GLOBAL__N_18offset_tEEE10hipError_tPvRmT1_PNSt15iterator_traitsIS12_E10value_typeET2_T3_PNS13_IS18_E10value_typeET4_jRbjT5_S1E_jjP12ihipStream_tbEUljE_ZNSN_ISO_Lb1ESQ_SR_ST_SU_SY_EESZ_S10_S11_S12_S16_S17_S18_S1B_S1C_jS1D_jS1E_S1E_jjS1G_bEUljE0_EEESZ_S10_S11_S18_S1C_S1E_T6_T7_T9_mT8_S1G_bDpT10_ENKUlT_T0_E_clISt17integral_constantIbLb0EES1T_IbLb1EEEEDaS1P_S1Q_EUlS1P_E_NS1_11comp_targetILNS1_3genE5ELNS1_11target_archE942ELNS1_3gpuE9ELNS1_3repE0EEENS1_30default_config_static_selectorELNS0_4arch9wavefront6targetE1EEEvS12_,comdat
	.globl	_ZN7rocprim17ROCPRIM_400000_NS6detail17trampoline_kernelINS0_13select_configILj256ELj13ELNS0_17block_load_methodE3ELS4_3ELS4_3ELNS0_20block_scan_algorithmE0ELj4294967295EEENS1_25partition_config_selectorILNS1_17partition_subalgoE4EjNS0_10empty_typeEbEEZZNS1_14partition_implILS8_4ELb0ES6_15HIP_vector_typeIjLj2EENS0_17counting_iteratorIjlEEPS9_SG_NS0_5tupleIJPjSI_NS0_16reverse_iteratorISI_EEEEENSH_IJSG_SG_SG_EEES9_SI_JZNS1_25segmented_radix_sort_implINS0_14default_configELb1EPKaPaPKlPlN2at6native12_GLOBAL__N_18offset_tEEE10hipError_tPvRmT1_PNSt15iterator_traitsIS12_E10value_typeET2_T3_PNS13_IS18_E10value_typeET4_jRbjT5_S1E_jjP12ihipStream_tbEUljE_ZNSN_ISO_Lb1ESQ_SR_ST_SU_SY_EESZ_S10_S11_S12_S16_S17_S18_S1B_S1C_jS1D_jS1E_S1E_jjS1G_bEUljE0_EEESZ_S10_S11_S18_S1C_S1E_T6_T7_T9_mT8_S1G_bDpT10_ENKUlT_T0_E_clISt17integral_constantIbLb0EES1T_IbLb1EEEEDaS1P_S1Q_EUlS1P_E_NS1_11comp_targetILNS1_3genE5ELNS1_11target_archE942ELNS1_3gpuE9ELNS1_3repE0EEENS1_30default_config_static_selectorELNS0_4arch9wavefront6targetE1EEEvS12_ ; -- Begin function _ZN7rocprim17ROCPRIM_400000_NS6detail17trampoline_kernelINS0_13select_configILj256ELj13ELNS0_17block_load_methodE3ELS4_3ELS4_3ELNS0_20block_scan_algorithmE0ELj4294967295EEENS1_25partition_config_selectorILNS1_17partition_subalgoE4EjNS0_10empty_typeEbEEZZNS1_14partition_implILS8_4ELb0ES6_15HIP_vector_typeIjLj2EENS0_17counting_iteratorIjlEEPS9_SG_NS0_5tupleIJPjSI_NS0_16reverse_iteratorISI_EEEEENSH_IJSG_SG_SG_EEES9_SI_JZNS1_25segmented_radix_sort_implINS0_14default_configELb1EPKaPaPKlPlN2at6native12_GLOBAL__N_18offset_tEEE10hipError_tPvRmT1_PNSt15iterator_traitsIS12_E10value_typeET2_T3_PNS13_IS18_E10value_typeET4_jRbjT5_S1E_jjP12ihipStream_tbEUljE_ZNSN_ISO_Lb1ESQ_SR_ST_SU_SY_EESZ_S10_S11_S12_S16_S17_S18_S1B_S1C_jS1D_jS1E_S1E_jjS1G_bEUljE0_EEESZ_S10_S11_S18_S1C_S1E_T6_T7_T9_mT8_S1G_bDpT10_ENKUlT_T0_E_clISt17integral_constantIbLb0EES1T_IbLb1EEEEDaS1P_S1Q_EUlS1P_E_NS1_11comp_targetILNS1_3genE5ELNS1_11target_archE942ELNS1_3gpuE9ELNS1_3repE0EEENS1_30default_config_static_selectorELNS0_4arch9wavefront6targetE1EEEvS12_
	.p2align	8
	.type	_ZN7rocprim17ROCPRIM_400000_NS6detail17trampoline_kernelINS0_13select_configILj256ELj13ELNS0_17block_load_methodE3ELS4_3ELS4_3ELNS0_20block_scan_algorithmE0ELj4294967295EEENS1_25partition_config_selectorILNS1_17partition_subalgoE4EjNS0_10empty_typeEbEEZZNS1_14partition_implILS8_4ELb0ES6_15HIP_vector_typeIjLj2EENS0_17counting_iteratorIjlEEPS9_SG_NS0_5tupleIJPjSI_NS0_16reverse_iteratorISI_EEEEENSH_IJSG_SG_SG_EEES9_SI_JZNS1_25segmented_radix_sort_implINS0_14default_configELb1EPKaPaPKlPlN2at6native12_GLOBAL__N_18offset_tEEE10hipError_tPvRmT1_PNSt15iterator_traitsIS12_E10value_typeET2_T3_PNS13_IS18_E10value_typeET4_jRbjT5_S1E_jjP12ihipStream_tbEUljE_ZNSN_ISO_Lb1ESQ_SR_ST_SU_SY_EESZ_S10_S11_S12_S16_S17_S18_S1B_S1C_jS1D_jS1E_S1E_jjS1G_bEUljE0_EEESZ_S10_S11_S18_S1C_S1E_T6_T7_T9_mT8_S1G_bDpT10_ENKUlT_T0_E_clISt17integral_constantIbLb0EES1T_IbLb1EEEEDaS1P_S1Q_EUlS1P_E_NS1_11comp_targetILNS1_3genE5ELNS1_11target_archE942ELNS1_3gpuE9ELNS1_3repE0EEENS1_30default_config_static_selectorELNS0_4arch9wavefront6targetE1EEEvS12_,@function
_ZN7rocprim17ROCPRIM_400000_NS6detail17trampoline_kernelINS0_13select_configILj256ELj13ELNS0_17block_load_methodE3ELS4_3ELS4_3ELNS0_20block_scan_algorithmE0ELj4294967295EEENS1_25partition_config_selectorILNS1_17partition_subalgoE4EjNS0_10empty_typeEbEEZZNS1_14partition_implILS8_4ELb0ES6_15HIP_vector_typeIjLj2EENS0_17counting_iteratorIjlEEPS9_SG_NS0_5tupleIJPjSI_NS0_16reverse_iteratorISI_EEEEENSH_IJSG_SG_SG_EEES9_SI_JZNS1_25segmented_radix_sort_implINS0_14default_configELb1EPKaPaPKlPlN2at6native12_GLOBAL__N_18offset_tEEE10hipError_tPvRmT1_PNSt15iterator_traitsIS12_E10value_typeET2_T3_PNS13_IS18_E10value_typeET4_jRbjT5_S1E_jjP12ihipStream_tbEUljE_ZNSN_ISO_Lb1ESQ_SR_ST_SU_SY_EESZ_S10_S11_S12_S16_S17_S18_S1B_S1C_jS1D_jS1E_S1E_jjS1G_bEUljE0_EEESZ_S10_S11_S18_S1C_S1E_T6_T7_T9_mT8_S1G_bDpT10_ENKUlT_T0_E_clISt17integral_constantIbLb0EES1T_IbLb1EEEEDaS1P_S1Q_EUlS1P_E_NS1_11comp_targetILNS1_3genE5ELNS1_11target_archE942ELNS1_3gpuE9ELNS1_3repE0EEENS1_30default_config_static_selectorELNS0_4arch9wavefront6targetE1EEEvS12_: ; @_ZN7rocprim17ROCPRIM_400000_NS6detail17trampoline_kernelINS0_13select_configILj256ELj13ELNS0_17block_load_methodE3ELS4_3ELS4_3ELNS0_20block_scan_algorithmE0ELj4294967295EEENS1_25partition_config_selectorILNS1_17partition_subalgoE4EjNS0_10empty_typeEbEEZZNS1_14partition_implILS8_4ELb0ES6_15HIP_vector_typeIjLj2EENS0_17counting_iteratorIjlEEPS9_SG_NS0_5tupleIJPjSI_NS0_16reverse_iteratorISI_EEEEENSH_IJSG_SG_SG_EEES9_SI_JZNS1_25segmented_radix_sort_implINS0_14default_configELb1EPKaPaPKlPlN2at6native12_GLOBAL__N_18offset_tEEE10hipError_tPvRmT1_PNSt15iterator_traitsIS12_E10value_typeET2_T3_PNS13_IS18_E10value_typeET4_jRbjT5_S1E_jjP12ihipStream_tbEUljE_ZNSN_ISO_Lb1ESQ_SR_ST_SU_SY_EESZ_S10_S11_S12_S16_S17_S18_S1B_S1C_jS1D_jS1E_S1E_jjS1G_bEUljE0_EEESZ_S10_S11_S18_S1C_S1E_T6_T7_T9_mT8_S1G_bDpT10_ENKUlT_T0_E_clISt17integral_constantIbLb0EES1T_IbLb1EEEEDaS1P_S1Q_EUlS1P_E_NS1_11comp_targetILNS1_3genE5ELNS1_11target_archE942ELNS1_3gpuE9ELNS1_3repE0EEENS1_30default_config_static_selectorELNS0_4arch9wavefront6targetE1EEEvS12_
; %bb.0:
	.section	.rodata,"a",@progbits
	.p2align	6, 0x0
	.amdhsa_kernel _ZN7rocprim17ROCPRIM_400000_NS6detail17trampoline_kernelINS0_13select_configILj256ELj13ELNS0_17block_load_methodE3ELS4_3ELS4_3ELNS0_20block_scan_algorithmE0ELj4294967295EEENS1_25partition_config_selectorILNS1_17partition_subalgoE4EjNS0_10empty_typeEbEEZZNS1_14partition_implILS8_4ELb0ES6_15HIP_vector_typeIjLj2EENS0_17counting_iteratorIjlEEPS9_SG_NS0_5tupleIJPjSI_NS0_16reverse_iteratorISI_EEEEENSH_IJSG_SG_SG_EEES9_SI_JZNS1_25segmented_radix_sort_implINS0_14default_configELb1EPKaPaPKlPlN2at6native12_GLOBAL__N_18offset_tEEE10hipError_tPvRmT1_PNSt15iterator_traitsIS12_E10value_typeET2_T3_PNS13_IS18_E10value_typeET4_jRbjT5_S1E_jjP12ihipStream_tbEUljE_ZNSN_ISO_Lb1ESQ_SR_ST_SU_SY_EESZ_S10_S11_S12_S16_S17_S18_S1B_S1C_jS1D_jS1E_S1E_jjS1G_bEUljE0_EEESZ_S10_S11_S18_S1C_S1E_T6_T7_T9_mT8_S1G_bDpT10_ENKUlT_T0_E_clISt17integral_constantIbLb0EES1T_IbLb1EEEEDaS1P_S1Q_EUlS1P_E_NS1_11comp_targetILNS1_3genE5ELNS1_11target_archE942ELNS1_3gpuE9ELNS1_3repE0EEENS1_30default_config_static_selectorELNS0_4arch9wavefront6targetE1EEEvS12_
		.amdhsa_group_segment_fixed_size 0
		.amdhsa_private_segment_fixed_size 0
		.amdhsa_kernarg_size 184
		.amdhsa_user_sgpr_count 6
		.amdhsa_user_sgpr_private_segment_buffer 1
		.amdhsa_user_sgpr_dispatch_ptr 0
		.amdhsa_user_sgpr_queue_ptr 0
		.amdhsa_user_sgpr_kernarg_segment_ptr 1
		.amdhsa_user_sgpr_dispatch_id 0
		.amdhsa_user_sgpr_flat_scratch_init 0
		.amdhsa_user_sgpr_private_segment_size 0
		.amdhsa_uses_dynamic_stack 0
		.amdhsa_system_sgpr_private_segment_wavefront_offset 0
		.amdhsa_system_sgpr_workgroup_id_x 1
		.amdhsa_system_sgpr_workgroup_id_y 0
		.amdhsa_system_sgpr_workgroup_id_z 0
		.amdhsa_system_sgpr_workgroup_info 0
		.amdhsa_system_vgpr_workitem_id 0
		.amdhsa_next_free_vgpr 1
		.amdhsa_next_free_sgpr 0
		.amdhsa_reserve_vcc 0
		.amdhsa_reserve_flat_scratch 0
		.amdhsa_float_round_mode_32 0
		.amdhsa_float_round_mode_16_64 0
		.amdhsa_float_denorm_mode_32 3
		.amdhsa_float_denorm_mode_16_64 3
		.amdhsa_dx10_clamp 1
		.amdhsa_ieee_mode 1
		.amdhsa_fp16_overflow 0
		.amdhsa_exception_fp_ieee_invalid_op 0
		.amdhsa_exception_fp_denorm_src 0
		.amdhsa_exception_fp_ieee_div_zero 0
		.amdhsa_exception_fp_ieee_overflow 0
		.amdhsa_exception_fp_ieee_underflow 0
		.amdhsa_exception_fp_ieee_inexact 0
		.amdhsa_exception_int_div_zero 0
	.end_amdhsa_kernel
	.section	.text._ZN7rocprim17ROCPRIM_400000_NS6detail17trampoline_kernelINS0_13select_configILj256ELj13ELNS0_17block_load_methodE3ELS4_3ELS4_3ELNS0_20block_scan_algorithmE0ELj4294967295EEENS1_25partition_config_selectorILNS1_17partition_subalgoE4EjNS0_10empty_typeEbEEZZNS1_14partition_implILS8_4ELb0ES6_15HIP_vector_typeIjLj2EENS0_17counting_iteratorIjlEEPS9_SG_NS0_5tupleIJPjSI_NS0_16reverse_iteratorISI_EEEEENSH_IJSG_SG_SG_EEES9_SI_JZNS1_25segmented_radix_sort_implINS0_14default_configELb1EPKaPaPKlPlN2at6native12_GLOBAL__N_18offset_tEEE10hipError_tPvRmT1_PNSt15iterator_traitsIS12_E10value_typeET2_T3_PNS13_IS18_E10value_typeET4_jRbjT5_S1E_jjP12ihipStream_tbEUljE_ZNSN_ISO_Lb1ESQ_SR_ST_SU_SY_EESZ_S10_S11_S12_S16_S17_S18_S1B_S1C_jS1D_jS1E_S1E_jjS1G_bEUljE0_EEESZ_S10_S11_S18_S1C_S1E_T6_T7_T9_mT8_S1G_bDpT10_ENKUlT_T0_E_clISt17integral_constantIbLb0EES1T_IbLb1EEEEDaS1P_S1Q_EUlS1P_E_NS1_11comp_targetILNS1_3genE5ELNS1_11target_archE942ELNS1_3gpuE9ELNS1_3repE0EEENS1_30default_config_static_selectorELNS0_4arch9wavefront6targetE1EEEvS12_,"axG",@progbits,_ZN7rocprim17ROCPRIM_400000_NS6detail17trampoline_kernelINS0_13select_configILj256ELj13ELNS0_17block_load_methodE3ELS4_3ELS4_3ELNS0_20block_scan_algorithmE0ELj4294967295EEENS1_25partition_config_selectorILNS1_17partition_subalgoE4EjNS0_10empty_typeEbEEZZNS1_14partition_implILS8_4ELb0ES6_15HIP_vector_typeIjLj2EENS0_17counting_iteratorIjlEEPS9_SG_NS0_5tupleIJPjSI_NS0_16reverse_iteratorISI_EEEEENSH_IJSG_SG_SG_EEES9_SI_JZNS1_25segmented_radix_sort_implINS0_14default_configELb1EPKaPaPKlPlN2at6native12_GLOBAL__N_18offset_tEEE10hipError_tPvRmT1_PNSt15iterator_traitsIS12_E10value_typeET2_T3_PNS13_IS18_E10value_typeET4_jRbjT5_S1E_jjP12ihipStream_tbEUljE_ZNSN_ISO_Lb1ESQ_SR_ST_SU_SY_EESZ_S10_S11_S12_S16_S17_S18_S1B_S1C_jS1D_jS1E_S1E_jjS1G_bEUljE0_EEESZ_S10_S11_S18_S1C_S1E_T6_T7_T9_mT8_S1G_bDpT10_ENKUlT_T0_E_clISt17integral_constantIbLb0EES1T_IbLb1EEEEDaS1P_S1Q_EUlS1P_E_NS1_11comp_targetILNS1_3genE5ELNS1_11target_archE942ELNS1_3gpuE9ELNS1_3repE0EEENS1_30default_config_static_selectorELNS0_4arch9wavefront6targetE1EEEvS12_,comdat
.Lfunc_end251:
	.size	_ZN7rocprim17ROCPRIM_400000_NS6detail17trampoline_kernelINS0_13select_configILj256ELj13ELNS0_17block_load_methodE3ELS4_3ELS4_3ELNS0_20block_scan_algorithmE0ELj4294967295EEENS1_25partition_config_selectorILNS1_17partition_subalgoE4EjNS0_10empty_typeEbEEZZNS1_14partition_implILS8_4ELb0ES6_15HIP_vector_typeIjLj2EENS0_17counting_iteratorIjlEEPS9_SG_NS0_5tupleIJPjSI_NS0_16reverse_iteratorISI_EEEEENSH_IJSG_SG_SG_EEES9_SI_JZNS1_25segmented_radix_sort_implINS0_14default_configELb1EPKaPaPKlPlN2at6native12_GLOBAL__N_18offset_tEEE10hipError_tPvRmT1_PNSt15iterator_traitsIS12_E10value_typeET2_T3_PNS13_IS18_E10value_typeET4_jRbjT5_S1E_jjP12ihipStream_tbEUljE_ZNSN_ISO_Lb1ESQ_SR_ST_SU_SY_EESZ_S10_S11_S12_S16_S17_S18_S1B_S1C_jS1D_jS1E_S1E_jjS1G_bEUljE0_EEESZ_S10_S11_S18_S1C_S1E_T6_T7_T9_mT8_S1G_bDpT10_ENKUlT_T0_E_clISt17integral_constantIbLb0EES1T_IbLb1EEEEDaS1P_S1Q_EUlS1P_E_NS1_11comp_targetILNS1_3genE5ELNS1_11target_archE942ELNS1_3gpuE9ELNS1_3repE0EEENS1_30default_config_static_selectorELNS0_4arch9wavefront6targetE1EEEvS12_, .Lfunc_end251-_ZN7rocprim17ROCPRIM_400000_NS6detail17trampoline_kernelINS0_13select_configILj256ELj13ELNS0_17block_load_methodE3ELS4_3ELS4_3ELNS0_20block_scan_algorithmE0ELj4294967295EEENS1_25partition_config_selectorILNS1_17partition_subalgoE4EjNS0_10empty_typeEbEEZZNS1_14partition_implILS8_4ELb0ES6_15HIP_vector_typeIjLj2EENS0_17counting_iteratorIjlEEPS9_SG_NS0_5tupleIJPjSI_NS0_16reverse_iteratorISI_EEEEENSH_IJSG_SG_SG_EEES9_SI_JZNS1_25segmented_radix_sort_implINS0_14default_configELb1EPKaPaPKlPlN2at6native12_GLOBAL__N_18offset_tEEE10hipError_tPvRmT1_PNSt15iterator_traitsIS12_E10value_typeET2_T3_PNS13_IS18_E10value_typeET4_jRbjT5_S1E_jjP12ihipStream_tbEUljE_ZNSN_ISO_Lb1ESQ_SR_ST_SU_SY_EESZ_S10_S11_S12_S16_S17_S18_S1B_S1C_jS1D_jS1E_S1E_jjS1G_bEUljE0_EEESZ_S10_S11_S18_S1C_S1E_T6_T7_T9_mT8_S1G_bDpT10_ENKUlT_T0_E_clISt17integral_constantIbLb0EES1T_IbLb1EEEEDaS1P_S1Q_EUlS1P_E_NS1_11comp_targetILNS1_3genE5ELNS1_11target_archE942ELNS1_3gpuE9ELNS1_3repE0EEENS1_30default_config_static_selectorELNS0_4arch9wavefront6targetE1EEEvS12_
                                        ; -- End function
	.set _ZN7rocprim17ROCPRIM_400000_NS6detail17trampoline_kernelINS0_13select_configILj256ELj13ELNS0_17block_load_methodE3ELS4_3ELS4_3ELNS0_20block_scan_algorithmE0ELj4294967295EEENS1_25partition_config_selectorILNS1_17partition_subalgoE4EjNS0_10empty_typeEbEEZZNS1_14partition_implILS8_4ELb0ES6_15HIP_vector_typeIjLj2EENS0_17counting_iteratorIjlEEPS9_SG_NS0_5tupleIJPjSI_NS0_16reverse_iteratorISI_EEEEENSH_IJSG_SG_SG_EEES9_SI_JZNS1_25segmented_radix_sort_implINS0_14default_configELb1EPKaPaPKlPlN2at6native12_GLOBAL__N_18offset_tEEE10hipError_tPvRmT1_PNSt15iterator_traitsIS12_E10value_typeET2_T3_PNS13_IS18_E10value_typeET4_jRbjT5_S1E_jjP12ihipStream_tbEUljE_ZNSN_ISO_Lb1ESQ_SR_ST_SU_SY_EESZ_S10_S11_S12_S16_S17_S18_S1B_S1C_jS1D_jS1E_S1E_jjS1G_bEUljE0_EEESZ_S10_S11_S18_S1C_S1E_T6_T7_T9_mT8_S1G_bDpT10_ENKUlT_T0_E_clISt17integral_constantIbLb0EES1T_IbLb1EEEEDaS1P_S1Q_EUlS1P_E_NS1_11comp_targetILNS1_3genE5ELNS1_11target_archE942ELNS1_3gpuE9ELNS1_3repE0EEENS1_30default_config_static_selectorELNS0_4arch9wavefront6targetE1EEEvS12_.num_vgpr, 0
	.set _ZN7rocprim17ROCPRIM_400000_NS6detail17trampoline_kernelINS0_13select_configILj256ELj13ELNS0_17block_load_methodE3ELS4_3ELS4_3ELNS0_20block_scan_algorithmE0ELj4294967295EEENS1_25partition_config_selectorILNS1_17partition_subalgoE4EjNS0_10empty_typeEbEEZZNS1_14partition_implILS8_4ELb0ES6_15HIP_vector_typeIjLj2EENS0_17counting_iteratorIjlEEPS9_SG_NS0_5tupleIJPjSI_NS0_16reverse_iteratorISI_EEEEENSH_IJSG_SG_SG_EEES9_SI_JZNS1_25segmented_radix_sort_implINS0_14default_configELb1EPKaPaPKlPlN2at6native12_GLOBAL__N_18offset_tEEE10hipError_tPvRmT1_PNSt15iterator_traitsIS12_E10value_typeET2_T3_PNS13_IS18_E10value_typeET4_jRbjT5_S1E_jjP12ihipStream_tbEUljE_ZNSN_ISO_Lb1ESQ_SR_ST_SU_SY_EESZ_S10_S11_S12_S16_S17_S18_S1B_S1C_jS1D_jS1E_S1E_jjS1G_bEUljE0_EEESZ_S10_S11_S18_S1C_S1E_T6_T7_T9_mT8_S1G_bDpT10_ENKUlT_T0_E_clISt17integral_constantIbLb0EES1T_IbLb1EEEEDaS1P_S1Q_EUlS1P_E_NS1_11comp_targetILNS1_3genE5ELNS1_11target_archE942ELNS1_3gpuE9ELNS1_3repE0EEENS1_30default_config_static_selectorELNS0_4arch9wavefront6targetE1EEEvS12_.num_agpr, 0
	.set _ZN7rocprim17ROCPRIM_400000_NS6detail17trampoline_kernelINS0_13select_configILj256ELj13ELNS0_17block_load_methodE3ELS4_3ELS4_3ELNS0_20block_scan_algorithmE0ELj4294967295EEENS1_25partition_config_selectorILNS1_17partition_subalgoE4EjNS0_10empty_typeEbEEZZNS1_14partition_implILS8_4ELb0ES6_15HIP_vector_typeIjLj2EENS0_17counting_iteratorIjlEEPS9_SG_NS0_5tupleIJPjSI_NS0_16reverse_iteratorISI_EEEEENSH_IJSG_SG_SG_EEES9_SI_JZNS1_25segmented_radix_sort_implINS0_14default_configELb1EPKaPaPKlPlN2at6native12_GLOBAL__N_18offset_tEEE10hipError_tPvRmT1_PNSt15iterator_traitsIS12_E10value_typeET2_T3_PNS13_IS18_E10value_typeET4_jRbjT5_S1E_jjP12ihipStream_tbEUljE_ZNSN_ISO_Lb1ESQ_SR_ST_SU_SY_EESZ_S10_S11_S12_S16_S17_S18_S1B_S1C_jS1D_jS1E_S1E_jjS1G_bEUljE0_EEESZ_S10_S11_S18_S1C_S1E_T6_T7_T9_mT8_S1G_bDpT10_ENKUlT_T0_E_clISt17integral_constantIbLb0EES1T_IbLb1EEEEDaS1P_S1Q_EUlS1P_E_NS1_11comp_targetILNS1_3genE5ELNS1_11target_archE942ELNS1_3gpuE9ELNS1_3repE0EEENS1_30default_config_static_selectorELNS0_4arch9wavefront6targetE1EEEvS12_.numbered_sgpr, 0
	.set _ZN7rocprim17ROCPRIM_400000_NS6detail17trampoline_kernelINS0_13select_configILj256ELj13ELNS0_17block_load_methodE3ELS4_3ELS4_3ELNS0_20block_scan_algorithmE0ELj4294967295EEENS1_25partition_config_selectorILNS1_17partition_subalgoE4EjNS0_10empty_typeEbEEZZNS1_14partition_implILS8_4ELb0ES6_15HIP_vector_typeIjLj2EENS0_17counting_iteratorIjlEEPS9_SG_NS0_5tupleIJPjSI_NS0_16reverse_iteratorISI_EEEEENSH_IJSG_SG_SG_EEES9_SI_JZNS1_25segmented_radix_sort_implINS0_14default_configELb1EPKaPaPKlPlN2at6native12_GLOBAL__N_18offset_tEEE10hipError_tPvRmT1_PNSt15iterator_traitsIS12_E10value_typeET2_T3_PNS13_IS18_E10value_typeET4_jRbjT5_S1E_jjP12ihipStream_tbEUljE_ZNSN_ISO_Lb1ESQ_SR_ST_SU_SY_EESZ_S10_S11_S12_S16_S17_S18_S1B_S1C_jS1D_jS1E_S1E_jjS1G_bEUljE0_EEESZ_S10_S11_S18_S1C_S1E_T6_T7_T9_mT8_S1G_bDpT10_ENKUlT_T0_E_clISt17integral_constantIbLb0EES1T_IbLb1EEEEDaS1P_S1Q_EUlS1P_E_NS1_11comp_targetILNS1_3genE5ELNS1_11target_archE942ELNS1_3gpuE9ELNS1_3repE0EEENS1_30default_config_static_selectorELNS0_4arch9wavefront6targetE1EEEvS12_.num_named_barrier, 0
	.set _ZN7rocprim17ROCPRIM_400000_NS6detail17trampoline_kernelINS0_13select_configILj256ELj13ELNS0_17block_load_methodE3ELS4_3ELS4_3ELNS0_20block_scan_algorithmE0ELj4294967295EEENS1_25partition_config_selectorILNS1_17partition_subalgoE4EjNS0_10empty_typeEbEEZZNS1_14partition_implILS8_4ELb0ES6_15HIP_vector_typeIjLj2EENS0_17counting_iteratorIjlEEPS9_SG_NS0_5tupleIJPjSI_NS0_16reverse_iteratorISI_EEEEENSH_IJSG_SG_SG_EEES9_SI_JZNS1_25segmented_radix_sort_implINS0_14default_configELb1EPKaPaPKlPlN2at6native12_GLOBAL__N_18offset_tEEE10hipError_tPvRmT1_PNSt15iterator_traitsIS12_E10value_typeET2_T3_PNS13_IS18_E10value_typeET4_jRbjT5_S1E_jjP12ihipStream_tbEUljE_ZNSN_ISO_Lb1ESQ_SR_ST_SU_SY_EESZ_S10_S11_S12_S16_S17_S18_S1B_S1C_jS1D_jS1E_S1E_jjS1G_bEUljE0_EEESZ_S10_S11_S18_S1C_S1E_T6_T7_T9_mT8_S1G_bDpT10_ENKUlT_T0_E_clISt17integral_constantIbLb0EES1T_IbLb1EEEEDaS1P_S1Q_EUlS1P_E_NS1_11comp_targetILNS1_3genE5ELNS1_11target_archE942ELNS1_3gpuE9ELNS1_3repE0EEENS1_30default_config_static_selectorELNS0_4arch9wavefront6targetE1EEEvS12_.private_seg_size, 0
	.set _ZN7rocprim17ROCPRIM_400000_NS6detail17trampoline_kernelINS0_13select_configILj256ELj13ELNS0_17block_load_methodE3ELS4_3ELS4_3ELNS0_20block_scan_algorithmE0ELj4294967295EEENS1_25partition_config_selectorILNS1_17partition_subalgoE4EjNS0_10empty_typeEbEEZZNS1_14partition_implILS8_4ELb0ES6_15HIP_vector_typeIjLj2EENS0_17counting_iteratorIjlEEPS9_SG_NS0_5tupleIJPjSI_NS0_16reverse_iteratorISI_EEEEENSH_IJSG_SG_SG_EEES9_SI_JZNS1_25segmented_radix_sort_implINS0_14default_configELb1EPKaPaPKlPlN2at6native12_GLOBAL__N_18offset_tEEE10hipError_tPvRmT1_PNSt15iterator_traitsIS12_E10value_typeET2_T3_PNS13_IS18_E10value_typeET4_jRbjT5_S1E_jjP12ihipStream_tbEUljE_ZNSN_ISO_Lb1ESQ_SR_ST_SU_SY_EESZ_S10_S11_S12_S16_S17_S18_S1B_S1C_jS1D_jS1E_S1E_jjS1G_bEUljE0_EEESZ_S10_S11_S18_S1C_S1E_T6_T7_T9_mT8_S1G_bDpT10_ENKUlT_T0_E_clISt17integral_constantIbLb0EES1T_IbLb1EEEEDaS1P_S1Q_EUlS1P_E_NS1_11comp_targetILNS1_3genE5ELNS1_11target_archE942ELNS1_3gpuE9ELNS1_3repE0EEENS1_30default_config_static_selectorELNS0_4arch9wavefront6targetE1EEEvS12_.uses_vcc, 0
	.set _ZN7rocprim17ROCPRIM_400000_NS6detail17trampoline_kernelINS0_13select_configILj256ELj13ELNS0_17block_load_methodE3ELS4_3ELS4_3ELNS0_20block_scan_algorithmE0ELj4294967295EEENS1_25partition_config_selectorILNS1_17partition_subalgoE4EjNS0_10empty_typeEbEEZZNS1_14partition_implILS8_4ELb0ES6_15HIP_vector_typeIjLj2EENS0_17counting_iteratorIjlEEPS9_SG_NS0_5tupleIJPjSI_NS0_16reverse_iteratorISI_EEEEENSH_IJSG_SG_SG_EEES9_SI_JZNS1_25segmented_radix_sort_implINS0_14default_configELb1EPKaPaPKlPlN2at6native12_GLOBAL__N_18offset_tEEE10hipError_tPvRmT1_PNSt15iterator_traitsIS12_E10value_typeET2_T3_PNS13_IS18_E10value_typeET4_jRbjT5_S1E_jjP12ihipStream_tbEUljE_ZNSN_ISO_Lb1ESQ_SR_ST_SU_SY_EESZ_S10_S11_S12_S16_S17_S18_S1B_S1C_jS1D_jS1E_S1E_jjS1G_bEUljE0_EEESZ_S10_S11_S18_S1C_S1E_T6_T7_T9_mT8_S1G_bDpT10_ENKUlT_T0_E_clISt17integral_constantIbLb0EES1T_IbLb1EEEEDaS1P_S1Q_EUlS1P_E_NS1_11comp_targetILNS1_3genE5ELNS1_11target_archE942ELNS1_3gpuE9ELNS1_3repE0EEENS1_30default_config_static_selectorELNS0_4arch9wavefront6targetE1EEEvS12_.uses_flat_scratch, 0
	.set _ZN7rocprim17ROCPRIM_400000_NS6detail17trampoline_kernelINS0_13select_configILj256ELj13ELNS0_17block_load_methodE3ELS4_3ELS4_3ELNS0_20block_scan_algorithmE0ELj4294967295EEENS1_25partition_config_selectorILNS1_17partition_subalgoE4EjNS0_10empty_typeEbEEZZNS1_14partition_implILS8_4ELb0ES6_15HIP_vector_typeIjLj2EENS0_17counting_iteratorIjlEEPS9_SG_NS0_5tupleIJPjSI_NS0_16reverse_iteratorISI_EEEEENSH_IJSG_SG_SG_EEES9_SI_JZNS1_25segmented_radix_sort_implINS0_14default_configELb1EPKaPaPKlPlN2at6native12_GLOBAL__N_18offset_tEEE10hipError_tPvRmT1_PNSt15iterator_traitsIS12_E10value_typeET2_T3_PNS13_IS18_E10value_typeET4_jRbjT5_S1E_jjP12ihipStream_tbEUljE_ZNSN_ISO_Lb1ESQ_SR_ST_SU_SY_EESZ_S10_S11_S12_S16_S17_S18_S1B_S1C_jS1D_jS1E_S1E_jjS1G_bEUljE0_EEESZ_S10_S11_S18_S1C_S1E_T6_T7_T9_mT8_S1G_bDpT10_ENKUlT_T0_E_clISt17integral_constantIbLb0EES1T_IbLb1EEEEDaS1P_S1Q_EUlS1P_E_NS1_11comp_targetILNS1_3genE5ELNS1_11target_archE942ELNS1_3gpuE9ELNS1_3repE0EEENS1_30default_config_static_selectorELNS0_4arch9wavefront6targetE1EEEvS12_.has_dyn_sized_stack, 0
	.set _ZN7rocprim17ROCPRIM_400000_NS6detail17trampoline_kernelINS0_13select_configILj256ELj13ELNS0_17block_load_methodE3ELS4_3ELS4_3ELNS0_20block_scan_algorithmE0ELj4294967295EEENS1_25partition_config_selectorILNS1_17partition_subalgoE4EjNS0_10empty_typeEbEEZZNS1_14partition_implILS8_4ELb0ES6_15HIP_vector_typeIjLj2EENS0_17counting_iteratorIjlEEPS9_SG_NS0_5tupleIJPjSI_NS0_16reverse_iteratorISI_EEEEENSH_IJSG_SG_SG_EEES9_SI_JZNS1_25segmented_radix_sort_implINS0_14default_configELb1EPKaPaPKlPlN2at6native12_GLOBAL__N_18offset_tEEE10hipError_tPvRmT1_PNSt15iterator_traitsIS12_E10value_typeET2_T3_PNS13_IS18_E10value_typeET4_jRbjT5_S1E_jjP12ihipStream_tbEUljE_ZNSN_ISO_Lb1ESQ_SR_ST_SU_SY_EESZ_S10_S11_S12_S16_S17_S18_S1B_S1C_jS1D_jS1E_S1E_jjS1G_bEUljE0_EEESZ_S10_S11_S18_S1C_S1E_T6_T7_T9_mT8_S1G_bDpT10_ENKUlT_T0_E_clISt17integral_constantIbLb0EES1T_IbLb1EEEEDaS1P_S1Q_EUlS1P_E_NS1_11comp_targetILNS1_3genE5ELNS1_11target_archE942ELNS1_3gpuE9ELNS1_3repE0EEENS1_30default_config_static_selectorELNS0_4arch9wavefront6targetE1EEEvS12_.has_recursion, 0
	.set _ZN7rocprim17ROCPRIM_400000_NS6detail17trampoline_kernelINS0_13select_configILj256ELj13ELNS0_17block_load_methodE3ELS4_3ELS4_3ELNS0_20block_scan_algorithmE0ELj4294967295EEENS1_25partition_config_selectorILNS1_17partition_subalgoE4EjNS0_10empty_typeEbEEZZNS1_14partition_implILS8_4ELb0ES6_15HIP_vector_typeIjLj2EENS0_17counting_iteratorIjlEEPS9_SG_NS0_5tupleIJPjSI_NS0_16reverse_iteratorISI_EEEEENSH_IJSG_SG_SG_EEES9_SI_JZNS1_25segmented_radix_sort_implINS0_14default_configELb1EPKaPaPKlPlN2at6native12_GLOBAL__N_18offset_tEEE10hipError_tPvRmT1_PNSt15iterator_traitsIS12_E10value_typeET2_T3_PNS13_IS18_E10value_typeET4_jRbjT5_S1E_jjP12ihipStream_tbEUljE_ZNSN_ISO_Lb1ESQ_SR_ST_SU_SY_EESZ_S10_S11_S12_S16_S17_S18_S1B_S1C_jS1D_jS1E_S1E_jjS1G_bEUljE0_EEESZ_S10_S11_S18_S1C_S1E_T6_T7_T9_mT8_S1G_bDpT10_ENKUlT_T0_E_clISt17integral_constantIbLb0EES1T_IbLb1EEEEDaS1P_S1Q_EUlS1P_E_NS1_11comp_targetILNS1_3genE5ELNS1_11target_archE942ELNS1_3gpuE9ELNS1_3repE0EEENS1_30default_config_static_selectorELNS0_4arch9wavefront6targetE1EEEvS12_.has_indirect_call, 0
	.section	.AMDGPU.csdata,"",@progbits
; Kernel info:
; codeLenInByte = 0
; TotalNumSgprs: 4
; NumVgprs: 0
; ScratchSize: 0
; MemoryBound: 0
; FloatMode: 240
; IeeeMode: 1
; LDSByteSize: 0 bytes/workgroup (compile time only)
; SGPRBlocks: 0
; VGPRBlocks: 0
; NumSGPRsForWavesPerEU: 4
; NumVGPRsForWavesPerEU: 1
; Occupancy: 10
; WaveLimiterHint : 0
; COMPUTE_PGM_RSRC2:SCRATCH_EN: 0
; COMPUTE_PGM_RSRC2:USER_SGPR: 6
; COMPUTE_PGM_RSRC2:TRAP_HANDLER: 0
; COMPUTE_PGM_RSRC2:TGID_X_EN: 1
; COMPUTE_PGM_RSRC2:TGID_Y_EN: 0
; COMPUTE_PGM_RSRC2:TGID_Z_EN: 0
; COMPUTE_PGM_RSRC2:TIDIG_COMP_CNT: 0
	.section	.text._ZN7rocprim17ROCPRIM_400000_NS6detail17trampoline_kernelINS0_13select_configILj256ELj13ELNS0_17block_load_methodE3ELS4_3ELS4_3ELNS0_20block_scan_algorithmE0ELj4294967295EEENS1_25partition_config_selectorILNS1_17partition_subalgoE4EjNS0_10empty_typeEbEEZZNS1_14partition_implILS8_4ELb0ES6_15HIP_vector_typeIjLj2EENS0_17counting_iteratorIjlEEPS9_SG_NS0_5tupleIJPjSI_NS0_16reverse_iteratorISI_EEEEENSH_IJSG_SG_SG_EEES9_SI_JZNS1_25segmented_radix_sort_implINS0_14default_configELb1EPKaPaPKlPlN2at6native12_GLOBAL__N_18offset_tEEE10hipError_tPvRmT1_PNSt15iterator_traitsIS12_E10value_typeET2_T3_PNS13_IS18_E10value_typeET4_jRbjT5_S1E_jjP12ihipStream_tbEUljE_ZNSN_ISO_Lb1ESQ_SR_ST_SU_SY_EESZ_S10_S11_S12_S16_S17_S18_S1B_S1C_jS1D_jS1E_S1E_jjS1G_bEUljE0_EEESZ_S10_S11_S18_S1C_S1E_T6_T7_T9_mT8_S1G_bDpT10_ENKUlT_T0_E_clISt17integral_constantIbLb0EES1T_IbLb1EEEEDaS1P_S1Q_EUlS1P_E_NS1_11comp_targetILNS1_3genE4ELNS1_11target_archE910ELNS1_3gpuE8ELNS1_3repE0EEENS1_30default_config_static_selectorELNS0_4arch9wavefront6targetE1EEEvS12_,"axG",@progbits,_ZN7rocprim17ROCPRIM_400000_NS6detail17trampoline_kernelINS0_13select_configILj256ELj13ELNS0_17block_load_methodE3ELS4_3ELS4_3ELNS0_20block_scan_algorithmE0ELj4294967295EEENS1_25partition_config_selectorILNS1_17partition_subalgoE4EjNS0_10empty_typeEbEEZZNS1_14partition_implILS8_4ELb0ES6_15HIP_vector_typeIjLj2EENS0_17counting_iteratorIjlEEPS9_SG_NS0_5tupleIJPjSI_NS0_16reverse_iteratorISI_EEEEENSH_IJSG_SG_SG_EEES9_SI_JZNS1_25segmented_radix_sort_implINS0_14default_configELb1EPKaPaPKlPlN2at6native12_GLOBAL__N_18offset_tEEE10hipError_tPvRmT1_PNSt15iterator_traitsIS12_E10value_typeET2_T3_PNS13_IS18_E10value_typeET4_jRbjT5_S1E_jjP12ihipStream_tbEUljE_ZNSN_ISO_Lb1ESQ_SR_ST_SU_SY_EESZ_S10_S11_S12_S16_S17_S18_S1B_S1C_jS1D_jS1E_S1E_jjS1G_bEUljE0_EEESZ_S10_S11_S18_S1C_S1E_T6_T7_T9_mT8_S1G_bDpT10_ENKUlT_T0_E_clISt17integral_constantIbLb0EES1T_IbLb1EEEEDaS1P_S1Q_EUlS1P_E_NS1_11comp_targetILNS1_3genE4ELNS1_11target_archE910ELNS1_3gpuE8ELNS1_3repE0EEENS1_30default_config_static_selectorELNS0_4arch9wavefront6targetE1EEEvS12_,comdat
	.globl	_ZN7rocprim17ROCPRIM_400000_NS6detail17trampoline_kernelINS0_13select_configILj256ELj13ELNS0_17block_load_methodE3ELS4_3ELS4_3ELNS0_20block_scan_algorithmE0ELj4294967295EEENS1_25partition_config_selectorILNS1_17partition_subalgoE4EjNS0_10empty_typeEbEEZZNS1_14partition_implILS8_4ELb0ES6_15HIP_vector_typeIjLj2EENS0_17counting_iteratorIjlEEPS9_SG_NS0_5tupleIJPjSI_NS0_16reverse_iteratorISI_EEEEENSH_IJSG_SG_SG_EEES9_SI_JZNS1_25segmented_radix_sort_implINS0_14default_configELb1EPKaPaPKlPlN2at6native12_GLOBAL__N_18offset_tEEE10hipError_tPvRmT1_PNSt15iterator_traitsIS12_E10value_typeET2_T3_PNS13_IS18_E10value_typeET4_jRbjT5_S1E_jjP12ihipStream_tbEUljE_ZNSN_ISO_Lb1ESQ_SR_ST_SU_SY_EESZ_S10_S11_S12_S16_S17_S18_S1B_S1C_jS1D_jS1E_S1E_jjS1G_bEUljE0_EEESZ_S10_S11_S18_S1C_S1E_T6_T7_T9_mT8_S1G_bDpT10_ENKUlT_T0_E_clISt17integral_constantIbLb0EES1T_IbLb1EEEEDaS1P_S1Q_EUlS1P_E_NS1_11comp_targetILNS1_3genE4ELNS1_11target_archE910ELNS1_3gpuE8ELNS1_3repE0EEENS1_30default_config_static_selectorELNS0_4arch9wavefront6targetE1EEEvS12_ ; -- Begin function _ZN7rocprim17ROCPRIM_400000_NS6detail17trampoline_kernelINS0_13select_configILj256ELj13ELNS0_17block_load_methodE3ELS4_3ELS4_3ELNS0_20block_scan_algorithmE0ELj4294967295EEENS1_25partition_config_selectorILNS1_17partition_subalgoE4EjNS0_10empty_typeEbEEZZNS1_14partition_implILS8_4ELb0ES6_15HIP_vector_typeIjLj2EENS0_17counting_iteratorIjlEEPS9_SG_NS0_5tupleIJPjSI_NS0_16reverse_iteratorISI_EEEEENSH_IJSG_SG_SG_EEES9_SI_JZNS1_25segmented_radix_sort_implINS0_14default_configELb1EPKaPaPKlPlN2at6native12_GLOBAL__N_18offset_tEEE10hipError_tPvRmT1_PNSt15iterator_traitsIS12_E10value_typeET2_T3_PNS13_IS18_E10value_typeET4_jRbjT5_S1E_jjP12ihipStream_tbEUljE_ZNSN_ISO_Lb1ESQ_SR_ST_SU_SY_EESZ_S10_S11_S12_S16_S17_S18_S1B_S1C_jS1D_jS1E_S1E_jjS1G_bEUljE0_EEESZ_S10_S11_S18_S1C_S1E_T6_T7_T9_mT8_S1G_bDpT10_ENKUlT_T0_E_clISt17integral_constantIbLb0EES1T_IbLb1EEEEDaS1P_S1Q_EUlS1P_E_NS1_11comp_targetILNS1_3genE4ELNS1_11target_archE910ELNS1_3gpuE8ELNS1_3repE0EEENS1_30default_config_static_selectorELNS0_4arch9wavefront6targetE1EEEvS12_
	.p2align	8
	.type	_ZN7rocprim17ROCPRIM_400000_NS6detail17trampoline_kernelINS0_13select_configILj256ELj13ELNS0_17block_load_methodE3ELS4_3ELS4_3ELNS0_20block_scan_algorithmE0ELj4294967295EEENS1_25partition_config_selectorILNS1_17partition_subalgoE4EjNS0_10empty_typeEbEEZZNS1_14partition_implILS8_4ELb0ES6_15HIP_vector_typeIjLj2EENS0_17counting_iteratorIjlEEPS9_SG_NS0_5tupleIJPjSI_NS0_16reverse_iteratorISI_EEEEENSH_IJSG_SG_SG_EEES9_SI_JZNS1_25segmented_radix_sort_implINS0_14default_configELb1EPKaPaPKlPlN2at6native12_GLOBAL__N_18offset_tEEE10hipError_tPvRmT1_PNSt15iterator_traitsIS12_E10value_typeET2_T3_PNS13_IS18_E10value_typeET4_jRbjT5_S1E_jjP12ihipStream_tbEUljE_ZNSN_ISO_Lb1ESQ_SR_ST_SU_SY_EESZ_S10_S11_S12_S16_S17_S18_S1B_S1C_jS1D_jS1E_S1E_jjS1G_bEUljE0_EEESZ_S10_S11_S18_S1C_S1E_T6_T7_T9_mT8_S1G_bDpT10_ENKUlT_T0_E_clISt17integral_constantIbLb0EES1T_IbLb1EEEEDaS1P_S1Q_EUlS1P_E_NS1_11comp_targetILNS1_3genE4ELNS1_11target_archE910ELNS1_3gpuE8ELNS1_3repE0EEENS1_30default_config_static_selectorELNS0_4arch9wavefront6targetE1EEEvS12_,@function
_ZN7rocprim17ROCPRIM_400000_NS6detail17trampoline_kernelINS0_13select_configILj256ELj13ELNS0_17block_load_methodE3ELS4_3ELS4_3ELNS0_20block_scan_algorithmE0ELj4294967295EEENS1_25partition_config_selectorILNS1_17partition_subalgoE4EjNS0_10empty_typeEbEEZZNS1_14partition_implILS8_4ELb0ES6_15HIP_vector_typeIjLj2EENS0_17counting_iteratorIjlEEPS9_SG_NS0_5tupleIJPjSI_NS0_16reverse_iteratorISI_EEEEENSH_IJSG_SG_SG_EEES9_SI_JZNS1_25segmented_radix_sort_implINS0_14default_configELb1EPKaPaPKlPlN2at6native12_GLOBAL__N_18offset_tEEE10hipError_tPvRmT1_PNSt15iterator_traitsIS12_E10value_typeET2_T3_PNS13_IS18_E10value_typeET4_jRbjT5_S1E_jjP12ihipStream_tbEUljE_ZNSN_ISO_Lb1ESQ_SR_ST_SU_SY_EESZ_S10_S11_S12_S16_S17_S18_S1B_S1C_jS1D_jS1E_S1E_jjS1G_bEUljE0_EEESZ_S10_S11_S18_S1C_S1E_T6_T7_T9_mT8_S1G_bDpT10_ENKUlT_T0_E_clISt17integral_constantIbLb0EES1T_IbLb1EEEEDaS1P_S1Q_EUlS1P_E_NS1_11comp_targetILNS1_3genE4ELNS1_11target_archE910ELNS1_3gpuE8ELNS1_3repE0EEENS1_30default_config_static_selectorELNS0_4arch9wavefront6targetE1EEEvS12_: ; @_ZN7rocprim17ROCPRIM_400000_NS6detail17trampoline_kernelINS0_13select_configILj256ELj13ELNS0_17block_load_methodE3ELS4_3ELS4_3ELNS0_20block_scan_algorithmE0ELj4294967295EEENS1_25partition_config_selectorILNS1_17partition_subalgoE4EjNS0_10empty_typeEbEEZZNS1_14partition_implILS8_4ELb0ES6_15HIP_vector_typeIjLj2EENS0_17counting_iteratorIjlEEPS9_SG_NS0_5tupleIJPjSI_NS0_16reverse_iteratorISI_EEEEENSH_IJSG_SG_SG_EEES9_SI_JZNS1_25segmented_radix_sort_implINS0_14default_configELb1EPKaPaPKlPlN2at6native12_GLOBAL__N_18offset_tEEE10hipError_tPvRmT1_PNSt15iterator_traitsIS12_E10value_typeET2_T3_PNS13_IS18_E10value_typeET4_jRbjT5_S1E_jjP12ihipStream_tbEUljE_ZNSN_ISO_Lb1ESQ_SR_ST_SU_SY_EESZ_S10_S11_S12_S16_S17_S18_S1B_S1C_jS1D_jS1E_S1E_jjS1G_bEUljE0_EEESZ_S10_S11_S18_S1C_S1E_T6_T7_T9_mT8_S1G_bDpT10_ENKUlT_T0_E_clISt17integral_constantIbLb0EES1T_IbLb1EEEEDaS1P_S1Q_EUlS1P_E_NS1_11comp_targetILNS1_3genE4ELNS1_11target_archE910ELNS1_3gpuE8ELNS1_3repE0EEENS1_30default_config_static_selectorELNS0_4arch9wavefront6targetE1EEEvS12_
; %bb.0:
	.section	.rodata,"a",@progbits
	.p2align	6, 0x0
	.amdhsa_kernel _ZN7rocprim17ROCPRIM_400000_NS6detail17trampoline_kernelINS0_13select_configILj256ELj13ELNS0_17block_load_methodE3ELS4_3ELS4_3ELNS0_20block_scan_algorithmE0ELj4294967295EEENS1_25partition_config_selectorILNS1_17partition_subalgoE4EjNS0_10empty_typeEbEEZZNS1_14partition_implILS8_4ELb0ES6_15HIP_vector_typeIjLj2EENS0_17counting_iteratorIjlEEPS9_SG_NS0_5tupleIJPjSI_NS0_16reverse_iteratorISI_EEEEENSH_IJSG_SG_SG_EEES9_SI_JZNS1_25segmented_radix_sort_implINS0_14default_configELb1EPKaPaPKlPlN2at6native12_GLOBAL__N_18offset_tEEE10hipError_tPvRmT1_PNSt15iterator_traitsIS12_E10value_typeET2_T3_PNS13_IS18_E10value_typeET4_jRbjT5_S1E_jjP12ihipStream_tbEUljE_ZNSN_ISO_Lb1ESQ_SR_ST_SU_SY_EESZ_S10_S11_S12_S16_S17_S18_S1B_S1C_jS1D_jS1E_S1E_jjS1G_bEUljE0_EEESZ_S10_S11_S18_S1C_S1E_T6_T7_T9_mT8_S1G_bDpT10_ENKUlT_T0_E_clISt17integral_constantIbLb0EES1T_IbLb1EEEEDaS1P_S1Q_EUlS1P_E_NS1_11comp_targetILNS1_3genE4ELNS1_11target_archE910ELNS1_3gpuE8ELNS1_3repE0EEENS1_30default_config_static_selectorELNS0_4arch9wavefront6targetE1EEEvS12_
		.amdhsa_group_segment_fixed_size 0
		.amdhsa_private_segment_fixed_size 0
		.amdhsa_kernarg_size 184
		.amdhsa_user_sgpr_count 6
		.amdhsa_user_sgpr_private_segment_buffer 1
		.amdhsa_user_sgpr_dispatch_ptr 0
		.amdhsa_user_sgpr_queue_ptr 0
		.amdhsa_user_sgpr_kernarg_segment_ptr 1
		.amdhsa_user_sgpr_dispatch_id 0
		.amdhsa_user_sgpr_flat_scratch_init 0
		.amdhsa_user_sgpr_private_segment_size 0
		.amdhsa_uses_dynamic_stack 0
		.amdhsa_system_sgpr_private_segment_wavefront_offset 0
		.amdhsa_system_sgpr_workgroup_id_x 1
		.amdhsa_system_sgpr_workgroup_id_y 0
		.amdhsa_system_sgpr_workgroup_id_z 0
		.amdhsa_system_sgpr_workgroup_info 0
		.amdhsa_system_vgpr_workitem_id 0
		.amdhsa_next_free_vgpr 1
		.amdhsa_next_free_sgpr 0
		.amdhsa_reserve_vcc 0
		.amdhsa_reserve_flat_scratch 0
		.amdhsa_float_round_mode_32 0
		.amdhsa_float_round_mode_16_64 0
		.amdhsa_float_denorm_mode_32 3
		.amdhsa_float_denorm_mode_16_64 3
		.amdhsa_dx10_clamp 1
		.amdhsa_ieee_mode 1
		.amdhsa_fp16_overflow 0
		.amdhsa_exception_fp_ieee_invalid_op 0
		.amdhsa_exception_fp_denorm_src 0
		.amdhsa_exception_fp_ieee_div_zero 0
		.amdhsa_exception_fp_ieee_overflow 0
		.amdhsa_exception_fp_ieee_underflow 0
		.amdhsa_exception_fp_ieee_inexact 0
		.amdhsa_exception_int_div_zero 0
	.end_amdhsa_kernel
	.section	.text._ZN7rocprim17ROCPRIM_400000_NS6detail17trampoline_kernelINS0_13select_configILj256ELj13ELNS0_17block_load_methodE3ELS4_3ELS4_3ELNS0_20block_scan_algorithmE0ELj4294967295EEENS1_25partition_config_selectorILNS1_17partition_subalgoE4EjNS0_10empty_typeEbEEZZNS1_14partition_implILS8_4ELb0ES6_15HIP_vector_typeIjLj2EENS0_17counting_iteratorIjlEEPS9_SG_NS0_5tupleIJPjSI_NS0_16reverse_iteratorISI_EEEEENSH_IJSG_SG_SG_EEES9_SI_JZNS1_25segmented_radix_sort_implINS0_14default_configELb1EPKaPaPKlPlN2at6native12_GLOBAL__N_18offset_tEEE10hipError_tPvRmT1_PNSt15iterator_traitsIS12_E10value_typeET2_T3_PNS13_IS18_E10value_typeET4_jRbjT5_S1E_jjP12ihipStream_tbEUljE_ZNSN_ISO_Lb1ESQ_SR_ST_SU_SY_EESZ_S10_S11_S12_S16_S17_S18_S1B_S1C_jS1D_jS1E_S1E_jjS1G_bEUljE0_EEESZ_S10_S11_S18_S1C_S1E_T6_T7_T9_mT8_S1G_bDpT10_ENKUlT_T0_E_clISt17integral_constantIbLb0EES1T_IbLb1EEEEDaS1P_S1Q_EUlS1P_E_NS1_11comp_targetILNS1_3genE4ELNS1_11target_archE910ELNS1_3gpuE8ELNS1_3repE0EEENS1_30default_config_static_selectorELNS0_4arch9wavefront6targetE1EEEvS12_,"axG",@progbits,_ZN7rocprim17ROCPRIM_400000_NS6detail17trampoline_kernelINS0_13select_configILj256ELj13ELNS0_17block_load_methodE3ELS4_3ELS4_3ELNS0_20block_scan_algorithmE0ELj4294967295EEENS1_25partition_config_selectorILNS1_17partition_subalgoE4EjNS0_10empty_typeEbEEZZNS1_14partition_implILS8_4ELb0ES6_15HIP_vector_typeIjLj2EENS0_17counting_iteratorIjlEEPS9_SG_NS0_5tupleIJPjSI_NS0_16reverse_iteratorISI_EEEEENSH_IJSG_SG_SG_EEES9_SI_JZNS1_25segmented_radix_sort_implINS0_14default_configELb1EPKaPaPKlPlN2at6native12_GLOBAL__N_18offset_tEEE10hipError_tPvRmT1_PNSt15iterator_traitsIS12_E10value_typeET2_T3_PNS13_IS18_E10value_typeET4_jRbjT5_S1E_jjP12ihipStream_tbEUljE_ZNSN_ISO_Lb1ESQ_SR_ST_SU_SY_EESZ_S10_S11_S12_S16_S17_S18_S1B_S1C_jS1D_jS1E_S1E_jjS1G_bEUljE0_EEESZ_S10_S11_S18_S1C_S1E_T6_T7_T9_mT8_S1G_bDpT10_ENKUlT_T0_E_clISt17integral_constantIbLb0EES1T_IbLb1EEEEDaS1P_S1Q_EUlS1P_E_NS1_11comp_targetILNS1_3genE4ELNS1_11target_archE910ELNS1_3gpuE8ELNS1_3repE0EEENS1_30default_config_static_selectorELNS0_4arch9wavefront6targetE1EEEvS12_,comdat
.Lfunc_end252:
	.size	_ZN7rocprim17ROCPRIM_400000_NS6detail17trampoline_kernelINS0_13select_configILj256ELj13ELNS0_17block_load_methodE3ELS4_3ELS4_3ELNS0_20block_scan_algorithmE0ELj4294967295EEENS1_25partition_config_selectorILNS1_17partition_subalgoE4EjNS0_10empty_typeEbEEZZNS1_14partition_implILS8_4ELb0ES6_15HIP_vector_typeIjLj2EENS0_17counting_iteratorIjlEEPS9_SG_NS0_5tupleIJPjSI_NS0_16reverse_iteratorISI_EEEEENSH_IJSG_SG_SG_EEES9_SI_JZNS1_25segmented_radix_sort_implINS0_14default_configELb1EPKaPaPKlPlN2at6native12_GLOBAL__N_18offset_tEEE10hipError_tPvRmT1_PNSt15iterator_traitsIS12_E10value_typeET2_T3_PNS13_IS18_E10value_typeET4_jRbjT5_S1E_jjP12ihipStream_tbEUljE_ZNSN_ISO_Lb1ESQ_SR_ST_SU_SY_EESZ_S10_S11_S12_S16_S17_S18_S1B_S1C_jS1D_jS1E_S1E_jjS1G_bEUljE0_EEESZ_S10_S11_S18_S1C_S1E_T6_T7_T9_mT8_S1G_bDpT10_ENKUlT_T0_E_clISt17integral_constantIbLb0EES1T_IbLb1EEEEDaS1P_S1Q_EUlS1P_E_NS1_11comp_targetILNS1_3genE4ELNS1_11target_archE910ELNS1_3gpuE8ELNS1_3repE0EEENS1_30default_config_static_selectorELNS0_4arch9wavefront6targetE1EEEvS12_, .Lfunc_end252-_ZN7rocprim17ROCPRIM_400000_NS6detail17trampoline_kernelINS0_13select_configILj256ELj13ELNS0_17block_load_methodE3ELS4_3ELS4_3ELNS0_20block_scan_algorithmE0ELj4294967295EEENS1_25partition_config_selectorILNS1_17partition_subalgoE4EjNS0_10empty_typeEbEEZZNS1_14partition_implILS8_4ELb0ES6_15HIP_vector_typeIjLj2EENS0_17counting_iteratorIjlEEPS9_SG_NS0_5tupleIJPjSI_NS0_16reverse_iteratorISI_EEEEENSH_IJSG_SG_SG_EEES9_SI_JZNS1_25segmented_radix_sort_implINS0_14default_configELb1EPKaPaPKlPlN2at6native12_GLOBAL__N_18offset_tEEE10hipError_tPvRmT1_PNSt15iterator_traitsIS12_E10value_typeET2_T3_PNS13_IS18_E10value_typeET4_jRbjT5_S1E_jjP12ihipStream_tbEUljE_ZNSN_ISO_Lb1ESQ_SR_ST_SU_SY_EESZ_S10_S11_S12_S16_S17_S18_S1B_S1C_jS1D_jS1E_S1E_jjS1G_bEUljE0_EEESZ_S10_S11_S18_S1C_S1E_T6_T7_T9_mT8_S1G_bDpT10_ENKUlT_T0_E_clISt17integral_constantIbLb0EES1T_IbLb1EEEEDaS1P_S1Q_EUlS1P_E_NS1_11comp_targetILNS1_3genE4ELNS1_11target_archE910ELNS1_3gpuE8ELNS1_3repE0EEENS1_30default_config_static_selectorELNS0_4arch9wavefront6targetE1EEEvS12_
                                        ; -- End function
	.set _ZN7rocprim17ROCPRIM_400000_NS6detail17trampoline_kernelINS0_13select_configILj256ELj13ELNS0_17block_load_methodE3ELS4_3ELS4_3ELNS0_20block_scan_algorithmE0ELj4294967295EEENS1_25partition_config_selectorILNS1_17partition_subalgoE4EjNS0_10empty_typeEbEEZZNS1_14partition_implILS8_4ELb0ES6_15HIP_vector_typeIjLj2EENS0_17counting_iteratorIjlEEPS9_SG_NS0_5tupleIJPjSI_NS0_16reverse_iteratorISI_EEEEENSH_IJSG_SG_SG_EEES9_SI_JZNS1_25segmented_radix_sort_implINS0_14default_configELb1EPKaPaPKlPlN2at6native12_GLOBAL__N_18offset_tEEE10hipError_tPvRmT1_PNSt15iterator_traitsIS12_E10value_typeET2_T3_PNS13_IS18_E10value_typeET4_jRbjT5_S1E_jjP12ihipStream_tbEUljE_ZNSN_ISO_Lb1ESQ_SR_ST_SU_SY_EESZ_S10_S11_S12_S16_S17_S18_S1B_S1C_jS1D_jS1E_S1E_jjS1G_bEUljE0_EEESZ_S10_S11_S18_S1C_S1E_T6_T7_T9_mT8_S1G_bDpT10_ENKUlT_T0_E_clISt17integral_constantIbLb0EES1T_IbLb1EEEEDaS1P_S1Q_EUlS1P_E_NS1_11comp_targetILNS1_3genE4ELNS1_11target_archE910ELNS1_3gpuE8ELNS1_3repE0EEENS1_30default_config_static_selectorELNS0_4arch9wavefront6targetE1EEEvS12_.num_vgpr, 0
	.set _ZN7rocprim17ROCPRIM_400000_NS6detail17trampoline_kernelINS0_13select_configILj256ELj13ELNS0_17block_load_methodE3ELS4_3ELS4_3ELNS0_20block_scan_algorithmE0ELj4294967295EEENS1_25partition_config_selectorILNS1_17partition_subalgoE4EjNS0_10empty_typeEbEEZZNS1_14partition_implILS8_4ELb0ES6_15HIP_vector_typeIjLj2EENS0_17counting_iteratorIjlEEPS9_SG_NS0_5tupleIJPjSI_NS0_16reverse_iteratorISI_EEEEENSH_IJSG_SG_SG_EEES9_SI_JZNS1_25segmented_radix_sort_implINS0_14default_configELb1EPKaPaPKlPlN2at6native12_GLOBAL__N_18offset_tEEE10hipError_tPvRmT1_PNSt15iterator_traitsIS12_E10value_typeET2_T3_PNS13_IS18_E10value_typeET4_jRbjT5_S1E_jjP12ihipStream_tbEUljE_ZNSN_ISO_Lb1ESQ_SR_ST_SU_SY_EESZ_S10_S11_S12_S16_S17_S18_S1B_S1C_jS1D_jS1E_S1E_jjS1G_bEUljE0_EEESZ_S10_S11_S18_S1C_S1E_T6_T7_T9_mT8_S1G_bDpT10_ENKUlT_T0_E_clISt17integral_constantIbLb0EES1T_IbLb1EEEEDaS1P_S1Q_EUlS1P_E_NS1_11comp_targetILNS1_3genE4ELNS1_11target_archE910ELNS1_3gpuE8ELNS1_3repE0EEENS1_30default_config_static_selectorELNS0_4arch9wavefront6targetE1EEEvS12_.num_agpr, 0
	.set _ZN7rocprim17ROCPRIM_400000_NS6detail17trampoline_kernelINS0_13select_configILj256ELj13ELNS0_17block_load_methodE3ELS4_3ELS4_3ELNS0_20block_scan_algorithmE0ELj4294967295EEENS1_25partition_config_selectorILNS1_17partition_subalgoE4EjNS0_10empty_typeEbEEZZNS1_14partition_implILS8_4ELb0ES6_15HIP_vector_typeIjLj2EENS0_17counting_iteratorIjlEEPS9_SG_NS0_5tupleIJPjSI_NS0_16reverse_iteratorISI_EEEEENSH_IJSG_SG_SG_EEES9_SI_JZNS1_25segmented_radix_sort_implINS0_14default_configELb1EPKaPaPKlPlN2at6native12_GLOBAL__N_18offset_tEEE10hipError_tPvRmT1_PNSt15iterator_traitsIS12_E10value_typeET2_T3_PNS13_IS18_E10value_typeET4_jRbjT5_S1E_jjP12ihipStream_tbEUljE_ZNSN_ISO_Lb1ESQ_SR_ST_SU_SY_EESZ_S10_S11_S12_S16_S17_S18_S1B_S1C_jS1D_jS1E_S1E_jjS1G_bEUljE0_EEESZ_S10_S11_S18_S1C_S1E_T6_T7_T9_mT8_S1G_bDpT10_ENKUlT_T0_E_clISt17integral_constantIbLb0EES1T_IbLb1EEEEDaS1P_S1Q_EUlS1P_E_NS1_11comp_targetILNS1_3genE4ELNS1_11target_archE910ELNS1_3gpuE8ELNS1_3repE0EEENS1_30default_config_static_selectorELNS0_4arch9wavefront6targetE1EEEvS12_.numbered_sgpr, 0
	.set _ZN7rocprim17ROCPRIM_400000_NS6detail17trampoline_kernelINS0_13select_configILj256ELj13ELNS0_17block_load_methodE3ELS4_3ELS4_3ELNS0_20block_scan_algorithmE0ELj4294967295EEENS1_25partition_config_selectorILNS1_17partition_subalgoE4EjNS0_10empty_typeEbEEZZNS1_14partition_implILS8_4ELb0ES6_15HIP_vector_typeIjLj2EENS0_17counting_iteratorIjlEEPS9_SG_NS0_5tupleIJPjSI_NS0_16reverse_iteratorISI_EEEEENSH_IJSG_SG_SG_EEES9_SI_JZNS1_25segmented_radix_sort_implINS0_14default_configELb1EPKaPaPKlPlN2at6native12_GLOBAL__N_18offset_tEEE10hipError_tPvRmT1_PNSt15iterator_traitsIS12_E10value_typeET2_T3_PNS13_IS18_E10value_typeET4_jRbjT5_S1E_jjP12ihipStream_tbEUljE_ZNSN_ISO_Lb1ESQ_SR_ST_SU_SY_EESZ_S10_S11_S12_S16_S17_S18_S1B_S1C_jS1D_jS1E_S1E_jjS1G_bEUljE0_EEESZ_S10_S11_S18_S1C_S1E_T6_T7_T9_mT8_S1G_bDpT10_ENKUlT_T0_E_clISt17integral_constantIbLb0EES1T_IbLb1EEEEDaS1P_S1Q_EUlS1P_E_NS1_11comp_targetILNS1_3genE4ELNS1_11target_archE910ELNS1_3gpuE8ELNS1_3repE0EEENS1_30default_config_static_selectorELNS0_4arch9wavefront6targetE1EEEvS12_.num_named_barrier, 0
	.set _ZN7rocprim17ROCPRIM_400000_NS6detail17trampoline_kernelINS0_13select_configILj256ELj13ELNS0_17block_load_methodE3ELS4_3ELS4_3ELNS0_20block_scan_algorithmE0ELj4294967295EEENS1_25partition_config_selectorILNS1_17partition_subalgoE4EjNS0_10empty_typeEbEEZZNS1_14partition_implILS8_4ELb0ES6_15HIP_vector_typeIjLj2EENS0_17counting_iteratorIjlEEPS9_SG_NS0_5tupleIJPjSI_NS0_16reverse_iteratorISI_EEEEENSH_IJSG_SG_SG_EEES9_SI_JZNS1_25segmented_radix_sort_implINS0_14default_configELb1EPKaPaPKlPlN2at6native12_GLOBAL__N_18offset_tEEE10hipError_tPvRmT1_PNSt15iterator_traitsIS12_E10value_typeET2_T3_PNS13_IS18_E10value_typeET4_jRbjT5_S1E_jjP12ihipStream_tbEUljE_ZNSN_ISO_Lb1ESQ_SR_ST_SU_SY_EESZ_S10_S11_S12_S16_S17_S18_S1B_S1C_jS1D_jS1E_S1E_jjS1G_bEUljE0_EEESZ_S10_S11_S18_S1C_S1E_T6_T7_T9_mT8_S1G_bDpT10_ENKUlT_T0_E_clISt17integral_constantIbLb0EES1T_IbLb1EEEEDaS1P_S1Q_EUlS1P_E_NS1_11comp_targetILNS1_3genE4ELNS1_11target_archE910ELNS1_3gpuE8ELNS1_3repE0EEENS1_30default_config_static_selectorELNS0_4arch9wavefront6targetE1EEEvS12_.private_seg_size, 0
	.set _ZN7rocprim17ROCPRIM_400000_NS6detail17trampoline_kernelINS0_13select_configILj256ELj13ELNS0_17block_load_methodE3ELS4_3ELS4_3ELNS0_20block_scan_algorithmE0ELj4294967295EEENS1_25partition_config_selectorILNS1_17partition_subalgoE4EjNS0_10empty_typeEbEEZZNS1_14partition_implILS8_4ELb0ES6_15HIP_vector_typeIjLj2EENS0_17counting_iteratorIjlEEPS9_SG_NS0_5tupleIJPjSI_NS0_16reverse_iteratorISI_EEEEENSH_IJSG_SG_SG_EEES9_SI_JZNS1_25segmented_radix_sort_implINS0_14default_configELb1EPKaPaPKlPlN2at6native12_GLOBAL__N_18offset_tEEE10hipError_tPvRmT1_PNSt15iterator_traitsIS12_E10value_typeET2_T3_PNS13_IS18_E10value_typeET4_jRbjT5_S1E_jjP12ihipStream_tbEUljE_ZNSN_ISO_Lb1ESQ_SR_ST_SU_SY_EESZ_S10_S11_S12_S16_S17_S18_S1B_S1C_jS1D_jS1E_S1E_jjS1G_bEUljE0_EEESZ_S10_S11_S18_S1C_S1E_T6_T7_T9_mT8_S1G_bDpT10_ENKUlT_T0_E_clISt17integral_constantIbLb0EES1T_IbLb1EEEEDaS1P_S1Q_EUlS1P_E_NS1_11comp_targetILNS1_3genE4ELNS1_11target_archE910ELNS1_3gpuE8ELNS1_3repE0EEENS1_30default_config_static_selectorELNS0_4arch9wavefront6targetE1EEEvS12_.uses_vcc, 0
	.set _ZN7rocprim17ROCPRIM_400000_NS6detail17trampoline_kernelINS0_13select_configILj256ELj13ELNS0_17block_load_methodE3ELS4_3ELS4_3ELNS0_20block_scan_algorithmE0ELj4294967295EEENS1_25partition_config_selectorILNS1_17partition_subalgoE4EjNS0_10empty_typeEbEEZZNS1_14partition_implILS8_4ELb0ES6_15HIP_vector_typeIjLj2EENS0_17counting_iteratorIjlEEPS9_SG_NS0_5tupleIJPjSI_NS0_16reverse_iteratorISI_EEEEENSH_IJSG_SG_SG_EEES9_SI_JZNS1_25segmented_radix_sort_implINS0_14default_configELb1EPKaPaPKlPlN2at6native12_GLOBAL__N_18offset_tEEE10hipError_tPvRmT1_PNSt15iterator_traitsIS12_E10value_typeET2_T3_PNS13_IS18_E10value_typeET4_jRbjT5_S1E_jjP12ihipStream_tbEUljE_ZNSN_ISO_Lb1ESQ_SR_ST_SU_SY_EESZ_S10_S11_S12_S16_S17_S18_S1B_S1C_jS1D_jS1E_S1E_jjS1G_bEUljE0_EEESZ_S10_S11_S18_S1C_S1E_T6_T7_T9_mT8_S1G_bDpT10_ENKUlT_T0_E_clISt17integral_constantIbLb0EES1T_IbLb1EEEEDaS1P_S1Q_EUlS1P_E_NS1_11comp_targetILNS1_3genE4ELNS1_11target_archE910ELNS1_3gpuE8ELNS1_3repE0EEENS1_30default_config_static_selectorELNS0_4arch9wavefront6targetE1EEEvS12_.uses_flat_scratch, 0
	.set _ZN7rocprim17ROCPRIM_400000_NS6detail17trampoline_kernelINS0_13select_configILj256ELj13ELNS0_17block_load_methodE3ELS4_3ELS4_3ELNS0_20block_scan_algorithmE0ELj4294967295EEENS1_25partition_config_selectorILNS1_17partition_subalgoE4EjNS0_10empty_typeEbEEZZNS1_14partition_implILS8_4ELb0ES6_15HIP_vector_typeIjLj2EENS0_17counting_iteratorIjlEEPS9_SG_NS0_5tupleIJPjSI_NS0_16reverse_iteratorISI_EEEEENSH_IJSG_SG_SG_EEES9_SI_JZNS1_25segmented_radix_sort_implINS0_14default_configELb1EPKaPaPKlPlN2at6native12_GLOBAL__N_18offset_tEEE10hipError_tPvRmT1_PNSt15iterator_traitsIS12_E10value_typeET2_T3_PNS13_IS18_E10value_typeET4_jRbjT5_S1E_jjP12ihipStream_tbEUljE_ZNSN_ISO_Lb1ESQ_SR_ST_SU_SY_EESZ_S10_S11_S12_S16_S17_S18_S1B_S1C_jS1D_jS1E_S1E_jjS1G_bEUljE0_EEESZ_S10_S11_S18_S1C_S1E_T6_T7_T9_mT8_S1G_bDpT10_ENKUlT_T0_E_clISt17integral_constantIbLb0EES1T_IbLb1EEEEDaS1P_S1Q_EUlS1P_E_NS1_11comp_targetILNS1_3genE4ELNS1_11target_archE910ELNS1_3gpuE8ELNS1_3repE0EEENS1_30default_config_static_selectorELNS0_4arch9wavefront6targetE1EEEvS12_.has_dyn_sized_stack, 0
	.set _ZN7rocprim17ROCPRIM_400000_NS6detail17trampoline_kernelINS0_13select_configILj256ELj13ELNS0_17block_load_methodE3ELS4_3ELS4_3ELNS0_20block_scan_algorithmE0ELj4294967295EEENS1_25partition_config_selectorILNS1_17partition_subalgoE4EjNS0_10empty_typeEbEEZZNS1_14partition_implILS8_4ELb0ES6_15HIP_vector_typeIjLj2EENS0_17counting_iteratorIjlEEPS9_SG_NS0_5tupleIJPjSI_NS0_16reverse_iteratorISI_EEEEENSH_IJSG_SG_SG_EEES9_SI_JZNS1_25segmented_radix_sort_implINS0_14default_configELb1EPKaPaPKlPlN2at6native12_GLOBAL__N_18offset_tEEE10hipError_tPvRmT1_PNSt15iterator_traitsIS12_E10value_typeET2_T3_PNS13_IS18_E10value_typeET4_jRbjT5_S1E_jjP12ihipStream_tbEUljE_ZNSN_ISO_Lb1ESQ_SR_ST_SU_SY_EESZ_S10_S11_S12_S16_S17_S18_S1B_S1C_jS1D_jS1E_S1E_jjS1G_bEUljE0_EEESZ_S10_S11_S18_S1C_S1E_T6_T7_T9_mT8_S1G_bDpT10_ENKUlT_T0_E_clISt17integral_constantIbLb0EES1T_IbLb1EEEEDaS1P_S1Q_EUlS1P_E_NS1_11comp_targetILNS1_3genE4ELNS1_11target_archE910ELNS1_3gpuE8ELNS1_3repE0EEENS1_30default_config_static_selectorELNS0_4arch9wavefront6targetE1EEEvS12_.has_recursion, 0
	.set _ZN7rocprim17ROCPRIM_400000_NS6detail17trampoline_kernelINS0_13select_configILj256ELj13ELNS0_17block_load_methodE3ELS4_3ELS4_3ELNS0_20block_scan_algorithmE0ELj4294967295EEENS1_25partition_config_selectorILNS1_17partition_subalgoE4EjNS0_10empty_typeEbEEZZNS1_14partition_implILS8_4ELb0ES6_15HIP_vector_typeIjLj2EENS0_17counting_iteratorIjlEEPS9_SG_NS0_5tupleIJPjSI_NS0_16reverse_iteratorISI_EEEEENSH_IJSG_SG_SG_EEES9_SI_JZNS1_25segmented_radix_sort_implINS0_14default_configELb1EPKaPaPKlPlN2at6native12_GLOBAL__N_18offset_tEEE10hipError_tPvRmT1_PNSt15iterator_traitsIS12_E10value_typeET2_T3_PNS13_IS18_E10value_typeET4_jRbjT5_S1E_jjP12ihipStream_tbEUljE_ZNSN_ISO_Lb1ESQ_SR_ST_SU_SY_EESZ_S10_S11_S12_S16_S17_S18_S1B_S1C_jS1D_jS1E_S1E_jjS1G_bEUljE0_EEESZ_S10_S11_S18_S1C_S1E_T6_T7_T9_mT8_S1G_bDpT10_ENKUlT_T0_E_clISt17integral_constantIbLb0EES1T_IbLb1EEEEDaS1P_S1Q_EUlS1P_E_NS1_11comp_targetILNS1_3genE4ELNS1_11target_archE910ELNS1_3gpuE8ELNS1_3repE0EEENS1_30default_config_static_selectorELNS0_4arch9wavefront6targetE1EEEvS12_.has_indirect_call, 0
	.section	.AMDGPU.csdata,"",@progbits
; Kernel info:
; codeLenInByte = 0
; TotalNumSgprs: 4
; NumVgprs: 0
; ScratchSize: 0
; MemoryBound: 0
; FloatMode: 240
; IeeeMode: 1
; LDSByteSize: 0 bytes/workgroup (compile time only)
; SGPRBlocks: 0
; VGPRBlocks: 0
; NumSGPRsForWavesPerEU: 4
; NumVGPRsForWavesPerEU: 1
; Occupancy: 10
; WaveLimiterHint : 0
; COMPUTE_PGM_RSRC2:SCRATCH_EN: 0
; COMPUTE_PGM_RSRC2:USER_SGPR: 6
; COMPUTE_PGM_RSRC2:TRAP_HANDLER: 0
; COMPUTE_PGM_RSRC2:TGID_X_EN: 1
; COMPUTE_PGM_RSRC2:TGID_Y_EN: 0
; COMPUTE_PGM_RSRC2:TGID_Z_EN: 0
; COMPUTE_PGM_RSRC2:TIDIG_COMP_CNT: 0
	.section	.text._ZN7rocprim17ROCPRIM_400000_NS6detail17trampoline_kernelINS0_13select_configILj256ELj13ELNS0_17block_load_methodE3ELS4_3ELS4_3ELNS0_20block_scan_algorithmE0ELj4294967295EEENS1_25partition_config_selectorILNS1_17partition_subalgoE4EjNS0_10empty_typeEbEEZZNS1_14partition_implILS8_4ELb0ES6_15HIP_vector_typeIjLj2EENS0_17counting_iteratorIjlEEPS9_SG_NS0_5tupleIJPjSI_NS0_16reverse_iteratorISI_EEEEENSH_IJSG_SG_SG_EEES9_SI_JZNS1_25segmented_radix_sort_implINS0_14default_configELb1EPKaPaPKlPlN2at6native12_GLOBAL__N_18offset_tEEE10hipError_tPvRmT1_PNSt15iterator_traitsIS12_E10value_typeET2_T3_PNS13_IS18_E10value_typeET4_jRbjT5_S1E_jjP12ihipStream_tbEUljE_ZNSN_ISO_Lb1ESQ_SR_ST_SU_SY_EESZ_S10_S11_S12_S16_S17_S18_S1B_S1C_jS1D_jS1E_S1E_jjS1G_bEUljE0_EEESZ_S10_S11_S18_S1C_S1E_T6_T7_T9_mT8_S1G_bDpT10_ENKUlT_T0_E_clISt17integral_constantIbLb0EES1T_IbLb1EEEEDaS1P_S1Q_EUlS1P_E_NS1_11comp_targetILNS1_3genE3ELNS1_11target_archE908ELNS1_3gpuE7ELNS1_3repE0EEENS1_30default_config_static_selectorELNS0_4arch9wavefront6targetE1EEEvS12_,"axG",@progbits,_ZN7rocprim17ROCPRIM_400000_NS6detail17trampoline_kernelINS0_13select_configILj256ELj13ELNS0_17block_load_methodE3ELS4_3ELS4_3ELNS0_20block_scan_algorithmE0ELj4294967295EEENS1_25partition_config_selectorILNS1_17partition_subalgoE4EjNS0_10empty_typeEbEEZZNS1_14partition_implILS8_4ELb0ES6_15HIP_vector_typeIjLj2EENS0_17counting_iteratorIjlEEPS9_SG_NS0_5tupleIJPjSI_NS0_16reverse_iteratorISI_EEEEENSH_IJSG_SG_SG_EEES9_SI_JZNS1_25segmented_radix_sort_implINS0_14default_configELb1EPKaPaPKlPlN2at6native12_GLOBAL__N_18offset_tEEE10hipError_tPvRmT1_PNSt15iterator_traitsIS12_E10value_typeET2_T3_PNS13_IS18_E10value_typeET4_jRbjT5_S1E_jjP12ihipStream_tbEUljE_ZNSN_ISO_Lb1ESQ_SR_ST_SU_SY_EESZ_S10_S11_S12_S16_S17_S18_S1B_S1C_jS1D_jS1E_S1E_jjS1G_bEUljE0_EEESZ_S10_S11_S18_S1C_S1E_T6_T7_T9_mT8_S1G_bDpT10_ENKUlT_T0_E_clISt17integral_constantIbLb0EES1T_IbLb1EEEEDaS1P_S1Q_EUlS1P_E_NS1_11comp_targetILNS1_3genE3ELNS1_11target_archE908ELNS1_3gpuE7ELNS1_3repE0EEENS1_30default_config_static_selectorELNS0_4arch9wavefront6targetE1EEEvS12_,comdat
	.globl	_ZN7rocprim17ROCPRIM_400000_NS6detail17trampoline_kernelINS0_13select_configILj256ELj13ELNS0_17block_load_methodE3ELS4_3ELS4_3ELNS0_20block_scan_algorithmE0ELj4294967295EEENS1_25partition_config_selectorILNS1_17partition_subalgoE4EjNS0_10empty_typeEbEEZZNS1_14partition_implILS8_4ELb0ES6_15HIP_vector_typeIjLj2EENS0_17counting_iteratorIjlEEPS9_SG_NS0_5tupleIJPjSI_NS0_16reverse_iteratorISI_EEEEENSH_IJSG_SG_SG_EEES9_SI_JZNS1_25segmented_radix_sort_implINS0_14default_configELb1EPKaPaPKlPlN2at6native12_GLOBAL__N_18offset_tEEE10hipError_tPvRmT1_PNSt15iterator_traitsIS12_E10value_typeET2_T3_PNS13_IS18_E10value_typeET4_jRbjT5_S1E_jjP12ihipStream_tbEUljE_ZNSN_ISO_Lb1ESQ_SR_ST_SU_SY_EESZ_S10_S11_S12_S16_S17_S18_S1B_S1C_jS1D_jS1E_S1E_jjS1G_bEUljE0_EEESZ_S10_S11_S18_S1C_S1E_T6_T7_T9_mT8_S1G_bDpT10_ENKUlT_T0_E_clISt17integral_constantIbLb0EES1T_IbLb1EEEEDaS1P_S1Q_EUlS1P_E_NS1_11comp_targetILNS1_3genE3ELNS1_11target_archE908ELNS1_3gpuE7ELNS1_3repE0EEENS1_30default_config_static_selectorELNS0_4arch9wavefront6targetE1EEEvS12_ ; -- Begin function _ZN7rocprim17ROCPRIM_400000_NS6detail17trampoline_kernelINS0_13select_configILj256ELj13ELNS0_17block_load_methodE3ELS4_3ELS4_3ELNS0_20block_scan_algorithmE0ELj4294967295EEENS1_25partition_config_selectorILNS1_17partition_subalgoE4EjNS0_10empty_typeEbEEZZNS1_14partition_implILS8_4ELb0ES6_15HIP_vector_typeIjLj2EENS0_17counting_iteratorIjlEEPS9_SG_NS0_5tupleIJPjSI_NS0_16reverse_iteratorISI_EEEEENSH_IJSG_SG_SG_EEES9_SI_JZNS1_25segmented_radix_sort_implINS0_14default_configELb1EPKaPaPKlPlN2at6native12_GLOBAL__N_18offset_tEEE10hipError_tPvRmT1_PNSt15iterator_traitsIS12_E10value_typeET2_T3_PNS13_IS18_E10value_typeET4_jRbjT5_S1E_jjP12ihipStream_tbEUljE_ZNSN_ISO_Lb1ESQ_SR_ST_SU_SY_EESZ_S10_S11_S12_S16_S17_S18_S1B_S1C_jS1D_jS1E_S1E_jjS1G_bEUljE0_EEESZ_S10_S11_S18_S1C_S1E_T6_T7_T9_mT8_S1G_bDpT10_ENKUlT_T0_E_clISt17integral_constantIbLb0EES1T_IbLb1EEEEDaS1P_S1Q_EUlS1P_E_NS1_11comp_targetILNS1_3genE3ELNS1_11target_archE908ELNS1_3gpuE7ELNS1_3repE0EEENS1_30default_config_static_selectorELNS0_4arch9wavefront6targetE1EEEvS12_
	.p2align	8
	.type	_ZN7rocprim17ROCPRIM_400000_NS6detail17trampoline_kernelINS0_13select_configILj256ELj13ELNS0_17block_load_methodE3ELS4_3ELS4_3ELNS0_20block_scan_algorithmE0ELj4294967295EEENS1_25partition_config_selectorILNS1_17partition_subalgoE4EjNS0_10empty_typeEbEEZZNS1_14partition_implILS8_4ELb0ES6_15HIP_vector_typeIjLj2EENS0_17counting_iteratorIjlEEPS9_SG_NS0_5tupleIJPjSI_NS0_16reverse_iteratorISI_EEEEENSH_IJSG_SG_SG_EEES9_SI_JZNS1_25segmented_radix_sort_implINS0_14default_configELb1EPKaPaPKlPlN2at6native12_GLOBAL__N_18offset_tEEE10hipError_tPvRmT1_PNSt15iterator_traitsIS12_E10value_typeET2_T3_PNS13_IS18_E10value_typeET4_jRbjT5_S1E_jjP12ihipStream_tbEUljE_ZNSN_ISO_Lb1ESQ_SR_ST_SU_SY_EESZ_S10_S11_S12_S16_S17_S18_S1B_S1C_jS1D_jS1E_S1E_jjS1G_bEUljE0_EEESZ_S10_S11_S18_S1C_S1E_T6_T7_T9_mT8_S1G_bDpT10_ENKUlT_T0_E_clISt17integral_constantIbLb0EES1T_IbLb1EEEEDaS1P_S1Q_EUlS1P_E_NS1_11comp_targetILNS1_3genE3ELNS1_11target_archE908ELNS1_3gpuE7ELNS1_3repE0EEENS1_30default_config_static_selectorELNS0_4arch9wavefront6targetE1EEEvS12_,@function
_ZN7rocprim17ROCPRIM_400000_NS6detail17trampoline_kernelINS0_13select_configILj256ELj13ELNS0_17block_load_methodE3ELS4_3ELS4_3ELNS0_20block_scan_algorithmE0ELj4294967295EEENS1_25partition_config_selectorILNS1_17partition_subalgoE4EjNS0_10empty_typeEbEEZZNS1_14partition_implILS8_4ELb0ES6_15HIP_vector_typeIjLj2EENS0_17counting_iteratorIjlEEPS9_SG_NS0_5tupleIJPjSI_NS0_16reverse_iteratorISI_EEEEENSH_IJSG_SG_SG_EEES9_SI_JZNS1_25segmented_radix_sort_implINS0_14default_configELb1EPKaPaPKlPlN2at6native12_GLOBAL__N_18offset_tEEE10hipError_tPvRmT1_PNSt15iterator_traitsIS12_E10value_typeET2_T3_PNS13_IS18_E10value_typeET4_jRbjT5_S1E_jjP12ihipStream_tbEUljE_ZNSN_ISO_Lb1ESQ_SR_ST_SU_SY_EESZ_S10_S11_S12_S16_S17_S18_S1B_S1C_jS1D_jS1E_S1E_jjS1G_bEUljE0_EEESZ_S10_S11_S18_S1C_S1E_T6_T7_T9_mT8_S1G_bDpT10_ENKUlT_T0_E_clISt17integral_constantIbLb0EES1T_IbLb1EEEEDaS1P_S1Q_EUlS1P_E_NS1_11comp_targetILNS1_3genE3ELNS1_11target_archE908ELNS1_3gpuE7ELNS1_3repE0EEENS1_30default_config_static_selectorELNS0_4arch9wavefront6targetE1EEEvS12_: ; @_ZN7rocprim17ROCPRIM_400000_NS6detail17trampoline_kernelINS0_13select_configILj256ELj13ELNS0_17block_load_methodE3ELS4_3ELS4_3ELNS0_20block_scan_algorithmE0ELj4294967295EEENS1_25partition_config_selectorILNS1_17partition_subalgoE4EjNS0_10empty_typeEbEEZZNS1_14partition_implILS8_4ELb0ES6_15HIP_vector_typeIjLj2EENS0_17counting_iteratorIjlEEPS9_SG_NS0_5tupleIJPjSI_NS0_16reverse_iteratorISI_EEEEENSH_IJSG_SG_SG_EEES9_SI_JZNS1_25segmented_radix_sort_implINS0_14default_configELb1EPKaPaPKlPlN2at6native12_GLOBAL__N_18offset_tEEE10hipError_tPvRmT1_PNSt15iterator_traitsIS12_E10value_typeET2_T3_PNS13_IS18_E10value_typeET4_jRbjT5_S1E_jjP12ihipStream_tbEUljE_ZNSN_ISO_Lb1ESQ_SR_ST_SU_SY_EESZ_S10_S11_S12_S16_S17_S18_S1B_S1C_jS1D_jS1E_S1E_jjS1G_bEUljE0_EEESZ_S10_S11_S18_S1C_S1E_T6_T7_T9_mT8_S1G_bDpT10_ENKUlT_T0_E_clISt17integral_constantIbLb0EES1T_IbLb1EEEEDaS1P_S1Q_EUlS1P_E_NS1_11comp_targetILNS1_3genE3ELNS1_11target_archE908ELNS1_3gpuE7ELNS1_3repE0EEENS1_30default_config_static_selectorELNS0_4arch9wavefront6targetE1EEEvS12_
; %bb.0:
	.section	.rodata,"a",@progbits
	.p2align	6, 0x0
	.amdhsa_kernel _ZN7rocprim17ROCPRIM_400000_NS6detail17trampoline_kernelINS0_13select_configILj256ELj13ELNS0_17block_load_methodE3ELS4_3ELS4_3ELNS0_20block_scan_algorithmE0ELj4294967295EEENS1_25partition_config_selectorILNS1_17partition_subalgoE4EjNS0_10empty_typeEbEEZZNS1_14partition_implILS8_4ELb0ES6_15HIP_vector_typeIjLj2EENS0_17counting_iteratorIjlEEPS9_SG_NS0_5tupleIJPjSI_NS0_16reverse_iteratorISI_EEEEENSH_IJSG_SG_SG_EEES9_SI_JZNS1_25segmented_radix_sort_implINS0_14default_configELb1EPKaPaPKlPlN2at6native12_GLOBAL__N_18offset_tEEE10hipError_tPvRmT1_PNSt15iterator_traitsIS12_E10value_typeET2_T3_PNS13_IS18_E10value_typeET4_jRbjT5_S1E_jjP12ihipStream_tbEUljE_ZNSN_ISO_Lb1ESQ_SR_ST_SU_SY_EESZ_S10_S11_S12_S16_S17_S18_S1B_S1C_jS1D_jS1E_S1E_jjS1G_bEUljE0_EEESZ_S10_S11_S18_S1C_S1E_T6_T7_T9_mT8_S1G_bDpT10_ENKUlT_T0_E_clISt17integral_constantIbLb0EES1T_IbLb1EEEEDaS1P_S1Q_EUlS1P_E_NS1_11comp_targetILNS1_3genE3ELNS1_11target_archE908ELNS1_3gpuE7ELNS1_3repE0EEENS1_30default_config_static_selectorELNS0_4arch9wavefront6targetE1EEEvS12_
		.amdhsa_group_segment_fixed_size 0
		.amdhsa_private_segment_fixed_size 0
		.amdhsa_kernarg_size 184
		.amdhsa_user_sgpr_count 6
		.amdhsa_user_sgpr_private_segment_buffer 1
		.amdhsa_user_sgpr_dispatch_ptr 0
		.amdhsa_user_sgpr_queue_ptr 0
		.amdhsa_user_sgpr_kernarg_segment_ptr 1
		.amdhsa_user_sgpr_dispatch_id 0
		.amdhsa_user_sgpr_flat_scratch_init 0
		.amdhsa_user_sgpr_private_segment_size 0
		.amdhsa_uses_dynamic_stack 0
		.amdhsa_system_sgpr_private_segment_wavefront_offset 0
		.amdhsa_system_sgpr_workgroup_id_x 1
		.amdhsa_system_sgpr_workgroup_id_y 0
		.amdhsa_system_sgpr_workgroup_id_z 0
		.amdhsa_system_sgpr_workgroup_info 0
		.amdhsa_system_vgpr_workitem_id 0
		.amdhsa_next_free_vgpr 1
		.amdhsa_next_free_sgpr 0
		.amdhsa_reserve_vcc 0
		.amdhsa_reserve_flat_scratch 0
		.amdhsa_float_round_mode_32 0
		.amdhsa_float_round_mode_16_64 0
		.amdhsa_float_denorm_mode_32 3
		.amdhsa_float_denorm_mode_16_64 3
		.amdhsa_dx10_clamp 1
		.amdhsa_ieee_mode 1
		.amdhsa_fp16_overflow 0
		.amdhsa_exception_fp_ieee_invalid_op 0
		.amdhsa_exception_fp_denorm_src 0
		.amdhsa_exception_fp_ieee_div_zero 0
		.amdhsa_exception_fp_ieee_overflow 0
		.amdhsa_exception_fp_ieee_underflow 0
		.amdhsa_exception_fp_ieee_inexact 0
		.amdhsa_exception_int_div_zero 0
	.end_amdhsa_kernel
	.section	.text._ZN7rocprim17ROCPRIM_400000_NS6detail17trampoline_kernelINS0_13select_configILj256ELj13ELNS0_17block_load_methodE3ELS4_3ELS4_3ELNS0_20block_scan_algorithmE0ELj4294967295EEENS1_25partition_config_selectorILNS1_17partition_subalgoE4EjNS0_10empty_typeEbEEZZNS1_14partition_implILS8_4ELb0ES6_15HIP_vector_typeIjLj2EENS0_17counting_iteratorIjlEEPS9_SG_NS0_5tupleIJPjSI_NS0_16reverse_iteratorISI_EEEEENSH_IJSG_SG_SG_EEES9_SI_JZNS1_25segmented_radix_sort_implINS0_14default_configELb1EPKaPaPKlPlN2at6native12_GLOBAL__N_18offset_tEEE10hipError_tPvRmT1_PNSt15iterator_traitsIS12_E10value_typeET2_T3_PNS13_IS18_E10value_typeET4_jRbjT5_S1E_jjP12ihipStream_tbEUljE_ZNSN_ISO_Lb1ESQ_SR_ST_SU_SY_EESZ_S10_S11_S12_S16_S17_S18_S1B_S1C_jS1D_jS1E_S1E_jjS1G_bEUljE0_EEESZ_S10_S11_S18_S1C_S1E_T6_T7_T9_mT8_S1G_bDpT10_ENKUlT_T0_E_clISt17integral_constantIbLb0EES1T_IbLb1EEEEDaS1P_S1Q_EUlS1P_E_NS1_11comp_targetILNS1_3genE3ELNS1_11target_archE908ELNS1_3gpuE7ELNS1_3repE0EEENS1_30default_config_static_selectorELNS0_4arch9wavefront6targetE1EEEvS12_,"axG",@progbits,_ZN7rocprim17ROCPRIM_400000_NS6detail17trampoline_kernelINS0_13select_configILj256ELj13ELNS0_17block_load_methodE3ELS4_3ELS4_3ELNS0_20block_scan_algorithmE0ELj4294967295EEENS1_25partition_config_selectorILNS1_17partition_subalgoE4EjNS0_10empty_typeEbEEZZNS1_14partition_implILS8_4ELb0ES6_15HIP_vector_typeIjLj2EENS0_17counting_iteratorIjlEEPS9_SG_NS0_5tupleIJPjSI_NS0_16reverse_iteratorISI_EEEEENSH_IJSG_SG_SG_EEES9_SI_JZNS1_25segmented_radix_sort_implINS0_14default_configELb1EPKaPaPKlPlN2at6native12_GLOBAL__N_18offset_tEEE10hipError_tPvRmT1_PNSt15iterator_traitsIS12_E10value_typeET2_T3_PNS13_IS18_E10value_typeET4_jRbjT5_S1E_jjP12ihipStream_tbEUljE_ZNSN_ISO_Lb1ESQ_SR_ST_SU_SY_EESZ_S10_S11_S12_S16_S17_S18_S1B_S1C_jS1D_jS1E_S1E_jjS1G_bEUljE0_EEESZ_S10_S11_S18_S1C_S1E_T6_T7_T9_mT8_S1G_bDpT10_ENKUlT_T0_E_clISt17integral_constantIbLb0EES1T_IbLb1EEEEDaS1P_S1Q_EUlS1P_E_NS1_11comp_targetILNS1_3genE3ELNS1_11target_archE908ELNS1_3gpuE7ELNS1_3repE0EEENS1_30default_config_static_selectorELNS0_4arch9wavefront6targetE1EEEvS12_,comdat
.Lfunc_end253:
	.size	_ZN7rocprim17ROCPRIM_400000_NS6detail17trampoline_kernelINS0_13select_configILj256ELj13ELNS0_17block_load_methodE3ELS4_3ELS4_3ELNS0_20block_scan_algorithmE0ELj4294967295EEENS1_25partition_config_selectorILNS1_17partition_subalgoE4EjNS0_10empty_typeEbEEZZNS1_14partition_implILS8_4ELb0ES6_15HIP_vector_typeIjLj2EENS0_17counting_iteratorIjlEEPS9_SG_NS0_5tupleIJPjSI_NS0_16reverse_iteratorISI_EEEEENSH_IJSG_SG_SG_EEES9_SI_JZNS1_25segmented_radix_sort_implINS0_14default_configELb1EPKaPaPKlPlN2at6native12_GLOBAL__N_18offset_tEEE10hipError_tPvRmT1_PNSt15iterator_traitsIS12_E10value_typeET2_T3_PNS13_IS18_E10value_typeET4_jRbjT5_S1E_jjP12ihipStream_tbEUljE_ZNSN_ISO_Lb1ESQ_SR_ST_SU_SY_EESZ_S10_S11_S12_S16_S17_S18_S1B_S1C_jS1D_jS1E_S1E_jjS1G_bEUljE0_EEESZ_S10_S11_S18_S1C_S1E_T6_T7_T9_mT8_S1G_bDpT10_ENKUlT_T0_E_clISt17integral_constantIbLb0EES1T_IbLb1EEEEDaS1P_S1Q_EUlS1P_E_NS1_11comp_targetILNS1_3genE3ELNS1_11target_archE908ELNS1_3gpuE7ELNS1_3repE0EEENS1_30default_config_static_selectorELNS0_4arch9wavefront6targetE1EEEvS12_, .Lfunc_end253-_ZN7rocprim17ROCPRIM_400000_NS6detail17trampoline_kernelINS0_13select_configILj256ELj13ELNS0_17block_load_methodE3ELS4_3ELS4_3ELNS0_20block_scan_algorithmE0ELj4294967295EEENS1_25partition_config_selectorILNS1_17partition_subalgoE4EjNS0_10empty_typeEbEEZZNS1_14partition_implILS8_4ELb0ES6_15HIP_vector_typeIjLj2EENS0_17counting_iteratorIjlEEPS9_SG_NS0_5tupleIJPjSI_NS0_16reverse_iteratorISI_EEEEENSH_IJSG_SG_SG_EEES9_SI_JZNS1_25segmented_radix_sort_implINS0_14default_configELb1EPKaPaPKlPlN2at6native12_GLOBAL__N_18offset_tEEE10hipError_tPvRmT1_PNSt15iterator_traitsIS12_E10value_typeET2_T3_PNS13_IS18_E10value_typeET4_jRbjT5_S1E_jjP12ihipStream_tbEUljE_ZNSN_ISO_Lb1ESQ_SR_ST_SU_SY_EESZ_S10_S11_S12_S16_S17_S18_S1B_S1C_jS1D_jS1E_S1E_jjS1G_bEUljE0_EEESZ_S10_S11_S18_S1C_S1E_T6_T7_T9_mT8_S1G_bDpT10_ENKUlT_T0_E_clISt17integral_constantIbLb0EES1T_IbLb1EEEEDaS1P_S1Q_EUlS1P_E_NS1_11comp_targetILNS1_3genE3ELNS1_11target_archE908ELNS1_3gpuE7ELNS1_3repE0EEENS1_30default_config_static_selectorELNS0_4arch9wavefront6targetE1EEEvS12_
                                        ; -- End function
	.set _ZN7rocprim17ROCPRIM_400000_NS6detail17trampoline_kernelINS0_13select_configILj256ELj13ELNS0_17block_load_methodE3ELS4_3ELS4_3ELNS0_20block_scan_algorithmE0ELj4294967295EEENS1_25partition_config_selectorILNS1_17partition_subalgoE4EjNS0_10empty_typeEbEEZZNS1_14partition_implILS8_4ELb0ES6_15HIP_vector_typeIjLj2EENS0_17counting_iteratorIjlEEPS9_SG_NS0_5tupleIJPjSI_NS0_16reverse_iteratorISI_EEEEENSH_IJSG_SG_SG_EEES9_SI_JZNS1_25segmented_radix_sort_implINS0_14default_configELb1EPKaPaPKlPlN2at6native12_GLOBAL__N_18offset_tEEE10hipError_tPvRmT1_PNSt15iterator_traitsIS12_E10value_typeET2_T3_PNS13_IS18_E10value_typeET4_jRbjT5_S1E_jjP12ihipStream_tbEUljE_ZNSN_ISO_Lb1ESQ_SR_ST_SU_SY_EESZ_S10_S11_S12_S16_S17_S18_S1B_S1C_jS1D_jS1E_S1E_jjS1G_bEUljE0_EEESZ_S10_S11_S18_S1C_S1E_T6_T7_T9_mT8_S1G_bDpT10_ENKUlT_T0_E_clISt17integral_constantIbLb0EES1T_IbLb1EEEEDaS1P_S1Q_EUlS1P_E_NS1_11comp_targetILNS1_3genE3ELNS1_11target_archE908ELNS1_3gpuE7ELNS1_3repE0EEENS1_30default_config_static_selectorELNS0_4arch9wavefront6targetE1EEEvS12_.num_vgpr, 0
	.set _ZN7rocprim17ROCPRIM_400000_NS6detail17trampoline_kernelINS0_13select_configILj256ELj13ELNS0_17block_load_methodE3ELS4_3ELS4_3ELNS0_20block_scan_algorithmE0ELj4294967295EEENS1_25partition_config_selectorILNS1_17partition_subalgoE4EjNS0_10empty_typeEbEEZZNS1_14partition_implILS8_4ELb0ES6_15HIP_vector_typeIjLj2EENS0_17counting_iteratorIjlEEPS9_SG_NS0_5tupleIJPjSI_NS0_16reverse_iteratorISI_EEEEENSH_IJSG_SG_SG_EEES9_SI_JZNS1_25segmented_radix_sort_implINS0_14default_configELb1EPKaPaPKlPlN2at6native12_GLOBAL__N_18offset_tEEE10hipError_tPvRmT1_PNSt15iterator_traitsIS12_E10value_typeET2_T3_PNS13_IS18_E10value_typeET4_jRbjT5_S1E_jjP12ihipStream_tbEUljE_ZNSN_ISO_Lb1ESQ_SR_ST_SU_SY_EESZ_S10_S11_S12_S16_S17_S18_S1B_S1C_jS1D_jS1E_S1E_jjS1G_bEUljE0_EEESZ_S10_S11_S18_S1C_S1E_T6_T7_T9_mT8_S1G_bDpT10_ENKUlT_T0_E_clISt17integral_constantIbLb0EES1T_IbLb1EEEEDaS1P_S1Q_EUlS1P_E_NS1_11comp_targetILNS1_3genE3ELNS1_11target_archE908ELNS1_3gpuE7ELNS1_3repE0EEENS1_30default_config_static_selectorELNS0_4arch9wavefront6targetE1EEEvS12_.num_agpr, 0
	.set _ZN7rocprim17ROCPRIM_400000_NS6detail17trampoline_kernelINS0_13select_configILj256ELj13ELNS0_17block_load_methodE3ELS4_3ELS4_3ELNS0_20block_scan_algorithmE0ELj4294967295EEENS1_25partition_config_selectorILNS1_17partition_subalgoE4EjNS0_10empty_typeEbEEZZNS1_14partition_implILS8_4ELb0ES6_15HIP_vector_typeIjLj2EENS0_17counting_iteratorIjlEEPS9_SG_NS0_5tupleIJPjSI_NS0_16reverse_iteratorISI_EEEEENSH_IJSG_SG_SG_EEES9_SI_JZNS1_25segmented_radix_sort_implINS0_14default_configELb1EPKaPaPKlPlN2at6native12_GLOBAL__N_18offset_tEEE10hipError_tPvRmT1_PNSt15iterator_traitsIS12_E10value_typeET2_T3_PNS13_IS18_E10value_typeET4_jRbjT5_S1E_jjP12ihipStream_tbEUljE_ZNSN_ISO_Lb1ESQ_SR_ST_SU_SY_EESZ_S10_S11_S12_S16_S17_S18_S1B_S1C_jS1D_jS1E_S1E_jjS1G_bEUljE0_EEESZ_S10_S11_S18_S1C_S1E_T6_T7_T9_mT8_S1G_bDpT10_ENKUlT_T0_E_clISt17integral_constantIbLb0EES1T_IbLb1EEEEDaS1P_S1Q_EUlS1P_E_NS1_11comp_targetILNS1_3genE3ELNS1_11target_archE908ELNS1_3gpuE7ELNS1_3repE0EEENS1_30default_config_static_selectorELNS0_4arch9wavefront6targetE1EEEvS12_.numbered_sgpr, 0
	.set _ZN7rocprim17ROCPRIM_400000_NS6detail17trampoline_kernelINS0_13select_configILj256ELj13ELNS0_17block_load_methodE3ELS4_3ELS4_3ELNS0_20block_scan_algorithmE0ELj4294967295EEENS1_25partition_config_selectorILNS1_17partition_subalgoE4EjNS0_10empty_typeEbEEZZNS1_14partition_implILS8_4ELb0ES6_15HIP_vector_typeIjLj2EENS0_17counting_iteratorIjlEEPS9_SG_NS0_5tupleIJPjSI_NS0_16reverse_iteratorISI_EEEEENSH_IJSG_SG_SG_EEES9_SI_JZNS1_25segmented_radix_sort_implINS0_14default_configELb1EPKaPaPKlPlN2at6native12_GLOBAL__N_18offset_tEEE10hipError_tPvRmT1_PNSt15iterator_traitsIS12_E10value_typeET2_T3_PNS13_IS18_E10value_typeET4_jRbjT5_S1E_jjP12ihipStream_tbEUljE_ZNSN_ISO_Lb1ESQ_SR_ST_SU_SY_EESZ_S10_S11_S12_S16_S17_S18_S1B_S1C_jS1D_jS1E_S1E_jjS1G_bEUljE0_EEESZ_S10_S11_S18_S1C_S1E_T6_T7_T9_mT8_S1G_bDpT10_ENKUlT_T0_E_clISt17integral_constantIbLb0EES1T_IbLb1EEEEDaS1P_S1Q_EUlS1P_E_NS1_11comp_targetILNS1_3genE3ELNS1_11target_archE908ELNS1_3gpuE7ELNS1_3repE0EEENS1_30default_config_static_selectorELNS0_4arch9wavefront6targetE1EEEvS12_.num_named_barrier, 0
	.set _ZN7rocprim17ROCPRIM_400000_NS6detail17trampoline_kernelINS0_13select_configILj256ELj13ELNS0_17block_load_methodE3ELS4_3ELS4_3ELNS0_20block_scan_algorithmE0ELj4294967295EEENS1_25partition_config_selectorILNS1_17partition_subalgoE4EjNS0_10empty_typeEbEEZZNS1_14partition_implILS8_4ELb0ES6_15HIP_vector_typeIjLj2EENS0_17counting_iteratorIjlEEPS9_SG_NS0_5tupleIJPjSI_NS0_16reverse_iteratorISI_EEEEENSH_IJSG_SG_SG_EEES9_SI_JZNS1_25segmented_radix_sort_implINS0_14default_configELb1EPKaPaPKlPlN2at6native12_GLOBAL__N_18offset_tEEE10hipError_tPvRmT1_PNSt15iterator_traitsIS12_E10value_typeET2_T3_PNS13_IS18_E10value_typeET4_jRbjT5_S1E_jjP12ihipStream_tbEUljE_ZNSN_ISO_Lb1ESQ_SR_ST_SU_SY_EESZ_S10_S11_S12_S16_S17_S18_S1B_S1C_jS1D_jS1E_S1E_jjS1G_bEUljE0_EEESZ_S10_S11_S18_S1C_S1E_T6_T7_T9_mT8_S1G_bDpT10_ENKUlT_T0_E_clISt17integral_constantIbLb0EES1T_IbLb1EEEEDaS1P_S1Q_EUlS1P_E_NS1_11comp_targetILNS1_3genE3ELNS1_11target_archE908ELNS1_3gpuE7ELNS1_3repE0EEENS1_30default_config_static_selectorELNS0_4arch9wavefront6targetE1EEEvS12_.private_seg_size, 0
	.set _ZN7rocprim17ROCPRIM_400000_NS6detail17trampoline_kernelINS0_13select_configILj256ELj13ELNS0_17block_load_methodE3ELS4_3ELS4_3ELNS0_20block_scan_algorithmE0ELj4294967295EEENS1_25partition_config_selectorILNS1_17partition_subalgoE4EjNS0_10empty_typeEbEEZZNS1_14partition_implILS8_4ELb0ES6_15HIP_vector_typeIjLj2EENS0_17counting_iteratorIjlEEPS9_SG_NS0_5tupleIJPjSI_NS0_16reverse_iteratorISI_EEEEENSH_IJSG_SG_SG_EEES9_SI_JZNS1_25segmented_radix_sort_implINS0_14default_configELb1EPKaPaPKlPlN2at6native12_GLOBAL__N_18offset_tEEE10hipError_tPvRmT1_PNSt15iterator_traitsIS12_E10value_typeET2_T3_PNS13_IS18_E10value_typeET4_jRbjT5_S1E_jjP12ihipStream_tbEUljE_ZNSN_ISO_Lb1ESQ_SR_ST_SU_SY_EESZ_S10_S11_S12_S16_S17_S18_S1B_S1C_jS1D_jS1E_S1E_jjS1G_bEUljE0_EEESZ_S10_S11_S18_S1C_S1E_T6_T7_T9_mT8_S1G_bDpT10_ENKUlT_T0_E_clISt17integral_constantIbLb0EES1T_IbLb1EEEEDaS1P_S1Q_EUlS1P_E_NS1_11comp_targetILNS1_3genE3ELNS1_11target_archE908ELNS1_3gpuE7ELNS1_3repE0EEENS1_30default_config_static_selectorELNS0_4arch9wavefront6targetE1EEEvS12_.uses_vcc, 0
	.set _ZN7rocprim17ROCPRIM_400000_NS6detail17trampoline_kernelINS0_13select_configILj256ELj13ELNS0_17block_load_methodE3ELS4_3ELS4_3ELNS0_20block_scan_algorithmE0ELj4294967295EEENS1_25partition_config_selectorILNS1_17partition_subalgoE4EjNS0_10empty_typeEbEEZZNS1_14partition_implILS8_4ELb0ES6_15HIP_vector_typeIjLj2EENS0_17counting_iteratorIjlEEPS9_SG_NS0_5tupleIJPjSI_NS0_16reverse_iteratorISI_EEEEENSH_IJSG_SG_SG_EEES9_SI_JZNS1_25segmented_radix_sort_implINS0_14default_configELb1EPKaPaPKlPlN2at6native12_GLOBAL__N_18offset_tEEE10hipError_tPvRmT1_PNSt15iterator_traitsIS12_E10value_typeET2_T3_PNS13_IS18_E10value_typeET4_jRbjT5_S1E_jjP12ihipStream_tbEUljE_ZNSN_ISO_Lb1ESQ_SR_ST_SU_SY_EESZ_S10_S11_S12_S16_S17_S18_S1B_S1C_jS1D_jS1E_S1E_jjS1G_bEUljE0_EEESZ_S10_S11_S18_S1C_S1E_T6_T7_T9_mT8_S1G_bDpT10_ENKUlT_T0_E_clISt17integral_constantIbLb0EES1T_IbLb1EEEEDaS1P_S1Q_EUlS1P_E_NS1_11comp_targetILNS1_3genE3ELNS1_11target_archE908ELNS1_3gpuE7ELNS1_3repE0EEENS1_30default_config_static_selectorELNS0_4arch9wavefront6targetE1EEEvS12_.uses_flat_scratch, 0
	.set _ZN7rocprim17ROCPRIM_400000_NS6detail17trampoline_kernelINS0_13select_configILj256ELj13ELNS0_17block_load_methodE3ELS4_3ELS4_3ELNS0_20block_scan_algorithmE0ELj4294967295EEENS1_25partition_config_selectorILNS1_17partition_subalgoE4EjNS0_10empty_typeEbEEZZNS1_14partition_implILS8_4ELb0ES6_15HIP_vector_typeIjLj2EENS0_17counting_iteratorIjlEEPS9_SG_NS0_5tupleIJPjSI_NS0_16reverse_iteratorISI_EEEEENSH_IJSG_SG_SG_EEES9_SI_JZNS1_25segmented_radix_sort_implINS0_14default_configELb1EPKaPaPKlPlN2at6native12_GLOBAL__N_18offset_tEEE10hipError_tPvRmT1_PNSt15iterator_traitsIS12_E10value_typeET2_T3_PNS13_IS18_E10value_typeET4_jRbjT5_S1E_jjP12ihipStream_tbEUljE_ZNSN_ISO_Lb1ESQ_SR_ST_SU_SY_EESZ_S10_S11_S12_S16_S17_S18_S1B_S1C_jS1D_jS1E_S1E_jjS1G_bEUljE0_EEESZ_S10_S11_S18_S1C_S1E_T6_T7_T9_mT8_S1G_bDpT10_ENKUlT_T0_E_clISt17integral_constantIbLb0EES1T_IbLb1EEEEDaS1P_S1Q_EUlS1P_E_NS1_11comp_targetILNS1_3genE3ELNS1_11target_archE908ELNS1_3gpuE7ELNS1_3repE0EEENS1_30default_config_static_selectorELNS0_4arch9wavefront6targetE1EEEvS12_.has_dyn_sized_stack, 0
	.set _ZN7rocprim17ROCPRIM_400000_NS6detail17trampoline_kernelINS0_13select_configILj256ELj13ELNS0_17block_load_methodE3ELS4_3ELS4_3ELNS0_20block_scan_algorithmE0ELj4294967295EEENS1_25partition_config_selectorILNS1_17partition_subalgoE4EjNS0_10empty_typeEbEEZZNS1_14partition_implILS8_4ELb0ES6_15HIP_vector_typeIjLj2EENS0_17counting_iteratorIjlEEPS9_SG_NS0_5tupleIJPjSI_NS0_16reverse_iteratorISI_EEEEENSH_IJSG_SG_SG_EEES9_SI_JZNS1_25segmented_radix_sort_implINS0_14default_configELb1EPKaPaPKlPlN2at6native12_GLOBAL__N_18offset_tEEE10hipError_tPvRmT1_PNSt15iterator_traitsIS12_E10value_typeET2_T3_PNS13_IS18_E10value_typeET4_jRbjT5_S1E_jjP12ihipStream_tbEUljE_ZNSN_ISO_Lb1ESQ_SR_ST_SU_SY_EESZ_S10_S11_S12_S16_S17_S18_S1B_S1C_jS1D_jS1E_S1E_jjS1G_bEUljE0_EEESZ_S10_S11_S18_S1C_S1E_T6_T7_T9_mT8_S1G_bDpT10_ENKUlT_T0_E_clISt17integral_constantIbLb0EES1T_IbLb1EEEEDaS1P_S1Q_EUlS1P_E_NS1_11comp_targetILNS1_3genE3ELNS1_11target_archE908ELNS1_3gpuE7ELNS1_3repE0EEENS1_30default_config_static_selectorELNS0_4arch9wavefront6targetE1EEEvS12_.has_recursion, 0
	.set _ZN7rocprim17ROCPRIM_400000_NS6detail17trampoline_kernelINS0_13select_configILj256ELj13ELNS0_17block_load_methodE3ELS4_3ELS4_3ELNS0_20block_scan_algorithmE0ELj4294967295EEENS1_25partition_config_selectorILNS1_17partition_subalgoE4EjNS0_10empty_typeEbEEZZNS1_14partition_implILS8_4ELb0ES6_15HIP_vector_typeIjLj2EENS0_17counting_iteratorIjlEEPS9_SG_NS0_5tupleIJPjSI_NS0_16reverse_iteratorISI_EEEEENSH_IJSG_SG_SG_EEES9_SI_JZNS1_25segmented_radix_sort_implINS0_14default_configELb1EPKaPaPKlPlN2at6native12_GLOBAL__N_18offset_tEEE10hipError_tPvRmT1_PNSt15iterator_traitsIS12_E10value_typeET2_T3_PNS13_IS18_E10value_typeET4_jRbjT5_S1E_jjP12ihipStream_tbEUljE_ZNSN_ISO_Lb1ESQ_SR_ST_SU_SY_EESZ_S10_S11_S12_S16_S17_S18_S1B_S1C_jS1D_jS1E_S1E_jjS1G_bEUljE0_EEESZ_S10_S11_S18_S1C_S1E_T6_T7_T9_mT8_S1G_bDpT10_ENKUlT_T0_E_clISt17integral_constantIbLb0EES1T_IbLb1EEEEDaS1P_S1Q_EUlS1P_E_NS1_11comp_targetILNS1_3genE3ELNS1_11target_archE908ELNS1_3gpuE7ELNS1_3repE0EEENS1_30default_config_static_selectorELNS0_4arch9wavefront6targetE1EEEvS12_.has_indirect_call, 0
	.section	.AMDGPU.csdata,"",@progbits
; Kernel info:
; codeLenInByte = 0
; TotalNumSgprs: 4
; NumVgprs: 0
; ScratchSize: 0
; MemoryBound: 0
; FloatMode: 240
; IeeeMode: 1
; LDSByteSize: 0 bytes/workgroup (compile time only)
; SGPRBlocks: 0
; VGPRBlocks: 0
; NumSGPRsForWavesPerEU: 4
; NumVGPRsForWavesPerEU: 1
; Occupancy: 10
; WaveLimiterHint : 0
; COMPUTE_PGM_RSRC2:SCRATCH_EN: 0
; COMPUTE_PGM_RSRC2:USER_SGPR: 6
; COMPUTE_PGM_RSRC2:TRAP_HANDLER: 0
; COMPUTE_PGM_RSRC2:TGID_X_EN: 1
; COMPUTE_PGM_RSRC2:TGID_Y_EN: 0
; COMPUTE_PGM_RSRC2:TGID_Z_EN: 0
; COMPUTE_PGM_RSRC2:TIDIG_COMP_CNT: 0
	.section	.text._ZN7rocprim17ROCPRIM_400000_NS6detail17trampoline_kernelINS0_13select_configILj256ELj13ELNS0_17block_load_methodE3ELS4_3ELS4_3ELNS0_20block_scan_algorithmE0ELj4294967295EEENS1_25partition_config_selectorILNS1_17partition_subalgoE4EjNS0_10empty_typeEbEEZZNS1_14partition_implILS8_4ELb0ES6_15HIP_vector_typeIjLj2EENS0_17counting_iteratorIjlEEPS9_SG_NS0_5tupleIJPjSI_NS0_16reverse_iteratorISI_EEEEENSH_IJSG_SG_SG_EEES9_SI_JZNS1_25segmented_radix_sort_implINS0_14default_configELb1EPKaPaPKlPlN2at6native12_GLOBAL__N_18offset_tEEE10hipError_tPvRmT1_PNSt15iterator_traitsIS12_E10value_typeET2_T3_PNS13_IS18_E10value_typeET4_jRbjT5_S1E_jjP12ihipStream_tbEUljE_ZNSN_ISO_Lb1ESQ_SR_ST_SU_SY_EESZ_S10_S11_S12_S16_S17_S18_S1B_S1C_jS1D_jS1E_S1E_jjS1G_bEUljE0_EEESZ_S10_S11_S18_S1C_S1E_T6_T7_T9_mT8_S1G_bDpT10_ENKUlT_T0_E_clISt17integral_constantIbLb0EES1T_IbLb1EEEEDaS1P_S1Q_EUlS1P_E_NS1_11comp_targetILNS1_3genE2ELNS1_11target_archE906ELNS1_3gpuE6ELNS1_3repE0EEENS1_30default_config_static_selectorELNS0_4arch9wavefront6targetE1EEEvS12_,"axG",@progbits,_ZN7rocprim17ROCPRIM_400000_NS6detail17trampoline_kernelINS0_13select_configILj256ELj13ELNS0_17block_load_methodE3ELS4_3ELS4_3ELNS0_20block_scan_algorithmE0ELj4294967295EEENS1_25partition_config_selectorILNS1_17partition_subalgoE4EjNS0_10empty_typeEbEEZZNS1_14partition_implILS8_4ELb0ES6_15HIP_vector_typeIjLj2EENS0_17counting_iteratorIjlEEPS9_SG_NS0_5tupleIJPjSI_NS0_16reverse_iteratorISI_EEEEENSH_IJSG_SG_SG_EEES9_SI_JZNS1_25segmented_radix_sort_implINS0_14default_configELb1EPKaPaPKlPlN2at6native12_GLOBAL__N_18offset_tEEE10hipError_tPvRmT1_PNSt15iterator_traitsIS12_E10value_typeET2_T3_PNS13_IS18_E10value_typeET4_jRbjT5_S1E_jjP12ihipStream_tbEUljE_ZNSN_ISO_Lb1ESQ_SR_ST_SU_SY_EESZ_S10_S11_S12_S16_S17_S18_S1B_S1C_jS1D_jS1E_S1E_jjS1G_bEUljE0_EEESZ_S10_S11_S18_S1C_S1E_T6_T7_T9_mT8_S1G_bDpT10_ENKUlT_T0_E_clISt17integral_constantIbLb0EES1T_IbLb1EEEEDaS1P_S1Q_EUlS1P_E_NS1_11comp_targetILNS1_3genE2ELNS1_11target_archE906ELNS1_3gpuE6ELNS1_3repE0EEENS1_30default_config_static_selectorELNS0_4arch9wavefront6targetE1EEEvS12_,comdat
	.globl	_ZN7rocprim17ROCPRIM_400000_NS6detail17trampoline_kernelINS0_13select_configILj256ELj13ELNS0_17block_load_methodE3ELS4_3ELS4_3ELNS0_20block_scan_algorithmE0ELj4294967295EEENS1_25partition_config_selectorILNS1_17partition_subalgoE4EjNS0_10empty_typeEbEEZZNS1_14partition_implILS8_4ELb0ES6_15HIP_vector_typeIjLj2EENS0_17counting_iteratorIjlEEPS9_SG_NS0_5tupleIJPjSI_NS0_16reverse_iteratorISI_EEEEENSH_IJSG_SG_SG_EEES9_SI_JZNS1_25segmented_radix_sort_implINS0_14default_configELb1EPKaPaPKlPlN2at6native12_GLOBAL__N_18offset_tEEE10hipError_tPvRmT1_PNSt15iterator_traitsIS12_E10value_typeET2_T3_PNS13_IS18_E10value_typeET4_jRbjT5_S1E_jjP12ihipStream_tbEUljE_ZNSN_ISO_Lb1ESQ_SR_ST_SU_SY_EESZ_S10_S11_S12_S16_S17_S18_S1B_S1C_jS1D_jS1E_S1E_jjS1G_bEUljE0_EEESZ_S10_S11_S18_S1C_S1E_T6_T7_T9_mT8_S1G_bDpT10_ENKUlT_T0_E_clISt17integral_constantIbLb0EES1T_IbLb1EEEEDaS1P_S1Q_EUlS1P_E_NS1_11comp_targetILNS1_3genE2ELNS1_11target_archE906ELNS1_3gpuE6ELNS1_3repE0EEENS1_30default_config_static_selectorELNS0_4arch9wavefront6targetE1EEEvS12_ ; -- Begin function _ZN7rocprim17ROCPRIM_400000_NS6detail17trampoline_kernelINS0_13select_configILj256ELj13ELNS0_17block_load_methodE3ELS4_3ELS4_3ELNS0_20block_scan_algorithmE0ELj4294967295EEENS1_25partition_config_selectorILNS1_17partition_subalgoE4EjNS0_10empty_typeEbEEZZNS1_14partition_implILS8_4ELb0ES6_15HIP_vector_typeIjLj2EENS0_17counting_iteratorIjlEEPS9_SG_NS0_5tupleIJPjSI_NS0_16reverse_iteratorISI_EEEEENSH_IJSG_SG_SG_EEES9_SI_JZNS1_25segmented_radix_sort_implINS0_14default_configELb1EPKaPaPKlPlN2at6native12_GLOBAL__N_18offset_tEEE10hipError_tPvRmT1_PNSt15iterator_traitsIS12_E10value_typeET2_T3_PNS13_IS18_E10value_typeET4_jRbjT5_S1E_jjP12ihipStream_tbEUljE_ZNSN_ISO_Lb1ESQ_SR_ST_SU_SY_EESZ_S10_S11_S12_S16_S17_S18_S1B_S1C_jS1D_jS1E_S1E_jjS1G_bEUljE0_EEESZ_S10_S11_S18_S1C_S1E_T6_T7_T9_mT8_S1G_bDpT10_ENKUlT_T0_E_clISt17integral_constantIbLb0EES1T_IbLb1EEEEDaS1P_S1Q_EUlS1P_E_NS1_11comp_targetILNS1_3genE2ELNS1_11target_archE906ELNS1_3gpuE6ELNS1_3repE0EEENS1_30default_config_static_selectorELNS0_4arch9wavefront6targetE1EEEvS12_
	.p2align	8
	.type	_ZN7rocprim17ROCPRIM_400000_NS6detail17trampoline_kernelINS0_13select_configILj256ELj13ELNS0_17block_load_methodE3ELS4_3ELS4_3ELNS0_20block_scan_algorithmE0ELj4294967295EEENS1_25partition_config_selectorILNS1_17partition_subalgoE4EjNS0_10empty_typeEbEEZZNS1_14partition_implILS8_4ELb0ES6_15HIP_vector_typeIjLj2EENS0_17counting_iteratorIjlEEPS9_SG_NS0_5tupleIJPjSI_NS0_16reverse_iteratorISI_EEEEENSH_IJSG_SG_SG_EEES9_SI_JZNS1_25segmented_radix_sort_implINS0_14default_configELb1EPKaPaPKlPlN2at6native12_GLOBAL__N_18offset_tEEE10hipError_tPvRmT1_PNSt15iterator_traitsIS12_E10value_typeET2_T3_PNS13_IS18_E10value_typeET4_jRbjT5_S1E_jjP12ihipStream_tbEUljE_ZNSN_ISO_Lb1ESQ_SR_ST_SU_SY_EESZ_S10_S11_S12_S16_S17_S18_S1B_S1C_jS1D_jS1E_S1E_jjS1G_bEUljE0_EEESZ_S10_S11_S18_S1C_S1E_T6_T7_T9_mT8_S1G_bDpT10_ENKUlT_T0_E_clISt17integral_constantIbLb0EES1T_IbLb1EEEEDaS1P_S1Q_EUlS1P_E_NS1_11comp_targetILNS1_3genE2ELNS1_11target_archE906ELNS1_3gpuE6ELNS1_3repE0EEENS1_30default_config_static_selectorELNS0_4arch9wavefront6targetE1EEEvS12_,@function
_ZN7rocprim17ROCPRIM_400000_NS6detail17trampoline_kernelINS0_13select_configILj256ELj13ELNS0_17block_load_methodE3ELS4_3ELS4_3ELNS0_20block_scan_algorithmE0ELj4294967295EEENS1_25partition_config_selectorILNS1_17partition_subalgoE4EjNS0_10empty_typeEbEEZZNS1_14partition_implILS8_4ELb0ES6_15HIP_vector_typeIjLj2EENS0_17counting_iteratorIjlEEPS9_SG_NS0_5tupleIJPjSI_NS0_16reverse_iteratorISI_EEEEENSH_IJSG_SG_SG_EEES9_SI_JZNS1_25segmented_radix_sort_implINS0_14default_configELb1EPKaPaPKlPlN2at6native12_GLOBAL__N_18offset_tEEE10hipError_tPvRmT1_PNSt15iterator_traitsIS12_E10value_typeET2_T3_PNS13_IS18_E10value_typeET4_jRbjT5_S1E_jjP12ihipStream_tbEUljE_ZNSN_ISO_Lb1ESQ_SR_ST_SU_SY_EESZ_S10_S11_S12_S16_S17_S18_S1B_S1C_jS1D_jS1E_S1E_jjS1G_bEUljE0_EEESZ_S10_S11_S18_S1C_S1E_T6_T7_T9_mT8_S1G_bDpT10_ENKUlT_T0_E_clISt17integral_constantIbLb0EES1T_IbLb1EEEEDaS1P_S1Q_EUlS1P_E_NS1_11comp_targetILNS1_3genE2ELNS1_11target_archE906ELNS1_3gpuE6ELNS1_3repE0EEENS1_30default_config_static_selectorELNS0_4arch9wavefront6targetE1EEEvS12_: ; @_ZN7rocprim17ROCPRIM_400000_NS6detail17trampoline_kernelINS0_13select_configILj256ELj13ELNS0_17block_load_methodE3ELS4_3ELS4_3ELNS0_20block_scan_algorithmE0ELj4294967295EEENS1_25partition_config_selectorILNS1_17partition_subalgoE4EjNS0_10empty_typeEbEEZZNS1_14partition_implILS8_4ELb0ES6_15HIP_vector_typeIjLj2EENS0_17counting_iteratorIjlEEPS9_SG_NS0_5tupleIJPjSI_NS0_16reverse_iteratorISI_EEEEENSH_IJSG_SG_SG_EEES9_SI_JZNS1_25segmented_radix_sort_implINS0_14default_configELb1EPKaPaPKlPlN2at6native12_GLOBAL__N_18offset_tEEE10hipError_tPvRmT1_PNSt15iterator_traitsIS12_E10value_typeET2_T3_PNS13_IS18_E10value_typeET4_jRbjT5_S1E_jjP12ihipStream_tbEUljE_ZNSN_ISO_Lb1ESQ_SR_ST_SU_SY_EESZ_S10_S11_S12_S16_S17_S18_S1B_S1C_jS1D_jS1E_S1E_jjS1G_bEUljE0_EEESZ_S10_S11_S18_S1C_S1E_T6_T7_T9_mT8_S1G_bDpT10_ENKUlT_T0_E_clISt17integral_constantIbLb0EES1T_IbLb1EEEEDaS1P_S1Q_EUlS1P_E_NS1_11comp_targetILNS1_3genE2ELNS1_11target_archE906ELNS1_3gpuE6ELNS1_3repE0EEENS1_30default_config_static_selectorELNS0_4arch9wavefront6targetE1EEEvS12_
; %bb.0:
	s_load_dwordx2 s[52:53], s[4:5], 0x10
	s_load_dwordx4 s[48:51], s[4:5], 0x28
	s_load_dwordx2 s[30:31], s[4:5], 0x38
	s_load_dwordx4 s[44:47], s[4:5], 0x58
	s_load_dwordx2 s[6:7], s[4:5], 0x68
	s_load_dwordx2 s[54:55], s[4:5], 0x78
	;; [unrolled: 1-line block ×3, first 2 shown]
	s_load_dwordx8 s[36:43], s[4:5], 0x90
	v_cmp_eq_u32_e64 s[0:1], 0, v0
	s_and_saveexec_b64 s[2:3], s[0:1]
	s_cbranch_execz .LBB254_4
; %bb.1:
	s_mov_b64 s[10:11], exec
	v_mbcnt_lo_u32_b32 v1, s10, 0
	v_mbcnt_hi_u32_b32 v1, s11, v1
	v_cmp_eq_u32_e32 vcc, 0, v1
                                        ; implicit-def: $vgpr2
	s_and_saveexec_b64 s[8:9], vcc
	s_cbranch_execz .LBB254_3
; %bb.2:
	s_load_dwordx2 s[12:13], s[4:5], 0x88
	s_bcnt1_i32_b64 s10, s[10:11]
	v_mov_b32_e32 v2, 0
	v_mov_b32_e32 v3, s10
	s_waitcnt lgkmcnt(0)
	global_atomic_add v2, v2, v3, s[12:13] glc
.LBB254_3:
	s_or_b64 exec, exec, s[8:9]
	s_waitcnt vmcnt(0)
	v_readfirstlane_b32 s8, v2
	v_add_u32_e32 v1, s8, v1
	v_mov_b32_e32 v2, 0
	ds_write_b32 v2, v1
.LBB254_4:
	s_or_b64 exec, exec, s[2:3]
	v_mov_b32_e32 v1, 0
	s_load_dword s2, s[4:5], 0x8
	s_load_dword s8, s[4:5], 0x80
	s_waitcnt lgkmcnt(0)
	s_barrier
	ds_read_b32 v7, v1
	s_waitcnt lgkmcnt(0)
	s_barrier
	global_load_dwordx4 v[1:4], v1, s[46:47]
	s_add_i32 s9, s2, s52
	s_movk_i32 s2, 0xd00
	s_add_i32 s4, s8, -1
	s_mulk_i32 s8, 0xd00
	v_mul_lo_u32 v33, v7, s2
	s_add_u32 s2, s52, s8
	s_addc_u32 s3, s53, 0
	v_mov_b32_e32 v6, s3
	v_mov_b32_e32 v5, s2
	v_readfirstlane_b32 s33, v7
	v_cmp_gt_u64_e32 vcc, s[6:7], v[5:6]
	s_cmp_eq_u32 s33, s4
	v_cmp_ne_u32_e64 s[2:3], s4, v7
	s_cselect_b64 s[34:35], -1, 0
	s_or_b64 s[4:5], vcc, s[2:3]
	v_add_u32_e32 v5, s9, v33
	s_mov_b64 s[2:3], -1
	s_and_b64 vcc, exec, s[4:5]
	v_add_u32_e32 v5, v5, v0
	s_cbranch_vccz .LBB254_6
; %bb.5:
	v_add_u32_e32 v6, 0x100, v5
	v_lshlrev_b32_e32 v18, 2, v0
	v_add_u32_e32 v7, 0x200, v5
	v_add_u32_e32 v8, 0x300, v5
	;; [unrolled: 1-line block ×11, first 2 shown]
	ds_write2st64_b32 v18, v5, v6 offset1:4
	ds_write2st64_b32 v18, v7, v8 offset0:8 offset1:12
	ds_write2st64_b32 v18, v9, v10 offset0:16 offset1:20
	;; [unrolled: 1-line block ×5, first 2 shown]
	ds_write_b32 v18, v17 offset:12288
	s_waitcnt vmcnt(0) lgkmcnt(0)
	s_barrier
	s_mov_b64 s[2:3], 0
.LBB254_6:
	s_andn2_b64 vcc, exec, s[2:3]
	s_add_i32 s8, s8, s52
	s_cbranch_vccnz .LBB254_8
; %bb.7:
	v_add_u32_e32 v6, 0x100, v5
	v_lshlrev_b32_e32 v18, 2, v0
	v_add_u32_e32 v7, 0x200, v5
	v_add_u32_e32 v8, 0x300, v5
	;; [unrolled: 1-line block ×11, first 2 shown]
	ds_write2st64_b32 v18, v5, v6 offset1:4
	ds_write2st64_b32 v18, v7, v8 offset0:8 offset1:12
	ds_write2st64_b32 v18, v9, v10 offset0:16 offset1:20
	;; [unrolled: 1-line block ×5, first 2 shown]
	ds_write_b32 v18, v17 offset:12288
	s_waitcnt vmcnt(0) lgkmcnt(0)
	s_barrier
.LBB254_8:
	v_mul_u32_u24_e32 v35, 13, v0
	v_lshlrev_b32_e32 v5, 2, v35
	ds_read_b32 v34, v5 offset:48
	ds_read2_b32 v[13:14], v5 offset0:10 offset1:11
	ds_read2_b32 v[15:16], v5 offset0:8 offset1:9
	;; [unrolled: 1-line block ×4, first 2 shown]
	ds_read2_b32 v[23:24], v5 offset1:1
	ds_read2_b32 v[21:22], v5 offset0:2 offset1:3
	v_cndmask_b32_e64 v5, 0, 1, s[4:5]
	s_sub_i32 s86, s6, s8
	v_cmp_ne_u32_e64 s[2:3], 1, v5
	s_andn2_b64 vcc, exec, s[4:5]
	s_waitcnt vmcnt(0) lgkmcnt(0)
	s_barrier
	s_cbranch_vccnz .LBB254_36
; %bb.9:
	v_add_u32_e32 v5, s37, v23
	v_add_u32_e32 v6, s39, v23
	v_mul_lo_u32 v5, v5, s36
	v_mul_lo_u32 v6, v6, s38
	s_mov_b64 s[58:59], 0
	s_mov_b64 s[46:47], 0
	v_sub_u32_e32 v5, v5, v6
	v_cmp_lt_u32_e32 vcc, s40, v5
	v_cmp_ge_u32_e64 s[4:5], s40, v5
	s_and_saveexec_b64 s[6:7], s[4:5]
	s_cbranch_execz .LBB254_11
; %bb.10:
	v_add_u32_e32 v5, s42, v23
	v_add_u32_e32 v6, s56, v23
	v_mul_lo_u32 v5, v5, s41
	v_mul_lo_u32 v6, v6, s43
	v_sub_u32_e32 v5, v5, v6
	v_cmp_lt_u32_e64 s[4:5], s57, v5
	s_and_b64 s[46:47], s[4:5], exec
.LBB254_11:
	s_or_b64 exec, exec, s[6:7]
	v_add_u32_e32 v5, s37, v24
	v_add_u32_e32 v6, s39, v24
	v_mul_lo_u32 v5, v5, s36
	v_mul_lo_u32 v6, v6, s38
	v_sub_u32_e32 v5, v5, v6
	v_cmp_lt_u32_e64 s[4:5], s40, v5
	v_cmp_ge_u32_e64 s[6:7], s40, v5
	s_and_saveexec_b64 s[8:9], s[6:7]
	s_cbranch_execz .LBB254_13
; %bb.12:
	v_add_u32_e32 v5, s42, v24
	v_add_u32_e32 v6, s56, v24
	v_mul_lo_u32 v5, v5, s41
	v_mul_lo_u32 v6, v6, s43
	v_sub_u32_e32 v5, v5, v6
	v_cmp_lt_u32_e64 s[6:7], s57, v5
	s_and_b64 s[58:59], s[6:7], exec
.LBB254_13:
	s_or_b64 exec, exec, s[8:9]
	v_add_u32_e32 v5, s37, v21
	v_add_u32_e32 v6, s39, v21
	v_mul_lo_u32 v5, v5, s36
	v_mul_lo_u32 v6, v6, s38
	s_mov_b64 s[62:63], 0
	s_mov_b64 s[60:61], 0
	v_sub_u32_e32 v5, v5, v6
	v_cmp_lt_u32_e64 s[6:7], s40, v5
	v_cmp_ge_u32_e64 s[8:9], s40, v5
	s_and_saveexec_b64 s[10:11], s[8:9]
	s_cbranch_execz .LBB254_15
; %bb.14:
	v_add_u32_e32 v5, s42, v21
	v_add_u32_e32 v6, s56, v21
	v_mul_lo_u32 v5, v5, s41
	v_mul_lo_u32 v6, v6, s43
	v_sub_u32_e32 v5, v5, v6
	v_cmp_lt_u32_e64 s[8:9], s57, v5
	s_and_b64 s[60:61], s[8:9], exec
.LBB254_15:
	s_or_b64 exec, exec, s[10:11]
	v_add_u32_e32 v5, s37, v22
	v_add_u32_e32 v6, s39, v22
	v_mul_lo_u32 v5, v5, s36
	v_mul_lo_u32 v6, v6, s38
	v_sub_u32_e32 v5, v5, v6
	v_cmp_lt_u32_e64 s[8:9], s40, v5
	v_cmp_ge_u32_e64 s[10:11], s40, v5
	s_and_saveexec_b64 s[12:13], s[10:11]
	s_cbranch_execz .LBB254_17
; %bb.16:
	v_add_u32_e32 v5, s42, v22
	v_add_u32_e32 v6, s56, v22
	v_mul_lo_u32 v5, v5, s41
	v_mul_lo_u32 v6, v6, s43
	v_sub_u32_e32 v5, v5, v6
	v_cmp_lt_u32_e64 s[10:11], s57, v5
	s_and_b64 s[62:63], s[10:11], exec
.LBB254_17:
	s_or_b64 exec, exec, s[12:13]
	v_add_u32_e32 v5, s37, v19
	v_add_u32_e32 v6, s39, v19
	v_mul_lo_u32 v5, v5, s36
	v_mul_lo_u32 v6, v6, s38
	s_mov_b64 s[66:67], 0
	s_mov_b64 s[64:65], 0
	v_sub_u32_e32 v5, v5, v6
	v_cmp_lt_u32_e64 s[10:11], s40, v5
	;; [unrolled: 40-line block ×6, first 2 shown]
	v_cmp_ge_u32_e64 s[28:29], s40, v5
	s_and_saveexec_b64 s[84:85], s[28:29]
	s_cbranch_execz .LBB254_35
; %bb.34:
	v_add_u32_e32 v5, s42, v34
	v_add_u32_e32 v6, s56, v34
	v_mul_lo_u32 v5, v5, s41
	v_mul_lo_u32 v6, v6, s43
	v_sub_u32_e32 v5, v5, v6
	v_cmp_lt_u32_e64 s[28:29], s57, v5
	s_and_b64 s[82:83], s[28:29], exec
.LBB254_35:
	s_or_b64 exec, exec, s[84:85]
	v_cndmask_b32_e64 v6, 0, 1, s[4:5]
	v_cndmask_b32_e64 v5, 0, 1, vcc
	v_cndmask_b32_e64 v8, 0, 1, s[8:9]
	v_lshlrev_b16_e32 v6, 8, v6
	v_cndmask_b32_e64 v7, 0, 1, s[6:7]
	v_or_b32_e32 v5, v5, v6
	v_lshlrev_b16_e32 v6, 8, v8
	v_cndmask_b32_e64 v10, 0, 1, s[12:13]
	v_cndmask_b32_e64 v12, 0, 1, s[16:17]
	v_or_b32_sdwa v6, v7, v6 dst_sel:WORD_1 dst_unused:UNUSED_PAD src0_sel:DWORD src1_sel:DWORD
	v_cndmask_b32_e64 v9, 0, 1, s[10:11]
	v_cndmask_b32_e64 v11, 0, 1, s[14:15]
	v_or_b32_sdwa v36, v5, v6 dst_sel:DWORD dst_unused:UNUSED_PAD src0_sel:WORD_0 src1_sel:DWORD
	v_lshlrev_b16_e32 v5, 8, v10
	v_lshlrev_b16_e32 v6, 8, v12
	v_cndmask_b32_e64 v26, 0, 1, s[20:21]
	v_cndmask_b32_e64 v29, 0, 1, s[24:25]
	v_or_b32_e32 v5, v9, v5
	v_or_b32_sdwa v6, v11, v6 dst_sel:WORD_1 dst_unused:UNUSED_PAD src0_sel:DWORD src1_sel:DWORD
	v_cndmask_b32_e64 v25, 0, 1, s[18:19]
	v_cndmask_b32_e64 v27, 0, 1, s[22:23]
	v_or_b32_sdwa v38, v5, v6 dst_sel:DWORD dst_unused:UNUSED_PAD src0_sel:WORD_0 src1_sel:DWORD
	v_lshlrev_b16_e32 v5, 8, v26
	v_lshlrev_b16_e32 v6, 8, v29
	v_cndmask_b32_e64 v42, 0, 1, s[60:61]
	v_cndmask_b32_e64 v47, 0, 1, s[46:47]
	v_or_b32_e32 v5, v25, v5
	;; [unrolled: 9-line block ×4, first 2 shown]
	v_or_b32_sdwa v6, v39, v6 dst_sel:WORD_1 dst_unused:UNUSED_PAD src0_sel:DWORD src1_sel:DWORD
	v_cndmask_b32_e64 v30, 0, 1, s[74:75]
	v_cndmask_b32_e64 v32, 0, 1, s[70:71]
	v_or_b32_sdwa v37, v5, v6 dst_sel:DWORD dst_unused:UNUSED_PAD src0_sel:WORD_0 src1_sel:DWORD
	v_lshlrev_b16_e32 v5, 8, v31
	v_lshlrev_b16_e32 v6, 8, v28
	v_or_b32_e32 v5, v32, v5
	v_or_b32_sdwa v6, v30, v6 dst_sel:WORD_1 dst_unused:UNUSED_PAD src0_sel:DWORD src1_sel:DWORD
	v_cndmask_b32_e64 v40, 0, 1, s[78:79]
	v_cndmask_b32_e64 v43, 0, 1, s[82:83]
	v_or_b32_sdwa v39, v5, v6 dst_sel:DWORD dst_unused:UNUSED_PAD src0_sel:WORD_0 src1_sel:DWORD
	s_add_i32 s16, s86, 0xd00
	s_and_b64 vcc, exec, s[76:77]
	s_cbranch_vccnz .LBB254_37
	s_branch .LBB254_114
.LBB254_36:
                                        ; implicit-def: $vgpr43
                                        ; implicit-def: $vgpr40
                                        ; implicit-def: $vgpr39
                                        ; implicit-def: $vgpr37
                                        ; implicit-def: $vgpr42
                                        ; implicit-def: $vgpr41
                                        ; implicit-def: $vgpr38
                                        ; implicit-def: $vgpr36
	s_add_i32 s16, s86, 0xd00
	s_cbranch_execz .LBB254_114
.LBB254_37:
	v_cmp_gt_u32_e32 vcc, s16, v35
	v_mov_b32_e32 v6, 0
	v_mov_b32_e32 v5, 0
	s_and_saveexec_b64 s[6:7], vcc
	s_cbranch_execz .LBB254_41
; %bb.38:
	v_add_u32_e32 v5, s37, v23
	v_add_u32_e32 v6, s39, v23
	v_mul_lo_u32 v5, v5, s36
	v_mul_lo_u32 v6, v6, s38
	s_mov_b64 s[10:11], 0
	v_sub_u32_e32 v5, v5, v6
	v_cmp_lt_u32_e32 vcc, s40, v5
	v_cmp_ge_u32_e64 s[4:5], s40, v5
	s_and_saveexec_b64 s[8:9], s[4:5]
	s_cbranch_execz .LBB254_40
; %bb.39:
	v_add_u32_e32 v5, s42, v23
	v_add_u32_e32 v6, s56, v23
	v_mul_lo_u32 v5, v5, s41
	v_mul_lo_u32 v6, v6, s43
	v_sub_u32_e32 v5, v5, v6
	v_cmp_lt_u32_e64 s[4:5], s57, v5
	s_and_b64 s[10:11], s[4:5], exec
.LBB254_40:
	s_or_b64 exec, exec, s[8:9]
	v_cndmask_b32_e64 v6, 0, 1, s[10:11]
	v_cndmask_b32_e64 v5, 0, 1, vcc
.LBB254_41:
	s_or_b64 exec, exec, s[6:7]
	v_lshlrev_b16_e32 v11, 8, v6
	v_add_u32_e32 v6, 1, v35
	v_cmp_le_u32_e32 vcc, s16, v6
	v_lshlrev_b16_e64 v8, 8, 0
                                        ; implicit-def: $vgpr7
                                        ; implicit-def: $vgpr9
                                        ; implicit-def: $vgpr10
                                        ; implicit-def: $vgpr6
                                        ; implicit-def: $vgpr12
	s_and_saveexec_b64 s[4:5], vcc
	s_xor_b64 s[4:5], exec, s[4:5]
; %bb.42:
	v_mov_b32_e32 v6, 8
	v_lshrrev_b32_sdwa v7, v6, v11 dst_sel:BYTE_1 dst_unused:UNUSED_PAD src0_sel:DWORD src1_sel:DWORD
	v_and_b32_e32 v12, 0xff, v5
	v_or_b32_sdwa v5, v11, v7 dst_sel:DWORD dst_unused:UNUSED_PAD src0_sel:BYTE_0 src1_sel:DWORD
	v_mov_b32_e32 v9, 0
	v_lshlrev_b16_e64 v8, 8, 0
	v_lshlrev_b16_e64 v6, 8, 0
	v_and_b32_e32 v10, 0xffff, v5
	v_lshlrev_b16_e64 v7, 8, 0
                                        ; implicit-def: $vgpr5
                                        ; implicit-def: $vgpr11
; %bb.43:
	s_andn2_saveexec_b64 s[6:7], s[4:5]
	s_cbranch_execz .LBB254_47
; %bb.44:
	v_add_u32_e32 v6, s37, v24
	v_add_u32_e32 v7, s39, v24
	v_mul_lo_u32 v6, v6, s36
	v_mul_lo_u32 v7, v7, s38
	s_mov_b64 s[8:9], 0
	v_sub_u32_e32 v6, v6, v7
	v_cmp_lt_u32_e32 vcc, s40, v6
	v_cmp_ge_u32_e64 s[4:5], s40, v6
	s_and_saveexec_b64 s[10:11], s[4:5]
	s_cbranch_execz .LBB254_46
; %bb.45:
	v_add_u32_e32 v6, s42, v24
	v_add_u32_e32 v7, s56, v24
	v_mul_lo_u32 v6, v6, s41
	v_mul_lo_u32 v7, v7, s43
	v_sub_u32_e32 v6, v6, v7
	v_cmp_lt_u32_e64 s[4:5], s57, v6
	s_and_b64 s[8:9], s[4:5], exec
.LBB254_46:
	s_or_b64 exec, exec, s[10:11]
	v_cndmask_b32_e64 v7, 0, 1, vcc
	v_lshlrev_b16_e32 v7, 8, v7
	v_or_b32_sdwa v5, v5, v7 dst_sel:DWORD dst_unused:UNUSED_PAD src0_sel:BYTE_0 src1_sel:DWORD
	v_and_b32_e32 v12, 0xffff, v5
	v_mov_b32_e32 v5, 8
	v_lshrrev_b32_sdwa v5, v5, v11 dst_sel:BYTE_1 dst_unused:UNUSED_PAD src0_sel:DWORD src1_sel:DWORD
	v_or_b32_sdwa v5, v11, v5 dst_sel:DWORD dst_unused:UNUSED_PAD src0_sel:BYTE_0 src1_sel:DWORD
	v_and_b32_e32 v5, 0xffff, v5
	v_cndmask_b32_e64 v7, 0, 1, s[8:9]
	v_mov_b32_e32 v6, 0
	v_mov_b32_e32 v9, 0
	v_lshl_or_b32 v10, v7, 16, v5
	v_lshlrev_b16_e64 v7, 8, 0
.LBB254_47:
	s_or_b64 exec, exec, s[6:7]
	v_add_u32_e32 v5, 2, v35
	v_cmp_le_u32_e32 vcc, s16, v5
	v_lshrrev_b32_e32 v25, 24, v12
                                        ; implicit-def: $vgpr5
                                        ; implicit-def: $vgpr11
	s_and_saveexec_b64 s[4:5], vcc
	s_xor_b64 s[4:5], exec, s[4:5]
	s_cbranch_execz .LBB254_49
; %bb.48:
	s_mov_b32 s6, 0x40c0100
	v_perm_b32 v11, v25, v12, s6
	v_mov_b32_e32 v12, 8
	v_lshrrev_b32_sdwa v12, v12, v11 dst_sel:BYTE_1 dst_unused:UNUSED_PAD src0_sel:DWORD src1_sel:DWORD
	v_or_b32_sdwa v12, v11, v12 dst_sel:DWORD dst_unused:UNUSED_PAD src0_sel:BYTE_0 src1_sel:DWORD
	v_and_b32_e32 v12, 0xffff, v12
	s_mov_b32 s6, 0xff000000
	v_and_or_b32 v11, v11, s6, v12
	s_mov_b32 s6, 0x3060504
	v_and_b32_e32 v5, 0xff0000, v10
	v_perm_b32 v8, v8, v8, s6
	s_mov_b32 s6, 0x3020504
	v_perm_b32 v5, v10, v5, s6
                                        ; implicit-def: $vgpr12
                                        ; implicit-def: $vgpr25
                                        ; implicit-def: $vgpr10
.LBB254_49:
	s_andn2_saveexec_b64 s[6:7], s[4:5]
	s_cbranch_execz .LBB254_53
; %bb.50:
	v_add_u32_e32 v5, s37, v21
	v_add_u32_e32 v11, s39, v21
	v_mul_lo_u32 v5, v5, s36
	v_mul_lo_u32 v11, v11, s38
	s_mov_b64 s[8:9], 0
	v_sub_u32_e32 v5, v5, v11
	v_cmp_lt_u32_e32 vcc, s40, v5
	v_cmp_ge_u32_e64 s[4:5], s40, v5
	s_and_saveexec_b64 s[10:11], s[4:5]
	s_cbranch_execz .LBB254_52
; %bb.51:
	v_add_u32_e32 v5, s42, v21
	v_add_u32_e32 v11, s56, v21
	v_mul_lo_u32 v5, v5, s41
	v_mul_lo_u32 v11, v11, s43
	v_sub_u32_e32 v5, v5, v11
	v_cmp_lt_u32_e64 s[4:5], s57, v5
	s_and_b64 s[8:9], s[4:5], exec
.LBB254_52:
	s_or_b64 exec, exec, s[10:11]
	v_mov_b32_e32 v27, 8
	v_lshrrev_b32_sdwa v11, v27, v12 dst_sel:BYTE_1 dst_unused:UNUSED_PAD src0_sel:DWORD src1_sel:DWORD
	v_cndmask_b32_e64 v5, 0, 1, vcc
	v_or_b32_sdwa v11, v12, v11 dst_sel:DWORD dst_unused:UNUSED_PAD src0_sel:BYTE_0 src1_sel:DWORD
	v_lshlrev_b16_e32 v12, 8, v25
	v_or_b32_sdwa v5, v5, v12 dst_sel:WORD_1 dst_unused:UNUSED_PAD src0_sel:DWORD src1_sel:DWORD
	v_cndmask_b32_e64 v26, 0, 1, s[8:9]
	s_movk_i32 s4, 0xff
	v_or_b32_sdwa v11, v11, v5 dst_sel:DWORD dst_unused:UNUSED_PAD src0_sel:WORD_0 src1_sel:DWORD
	v_lshrrev_b32_sdwa v5, v27, v10 dst_sel:BYTE_1 dst_unused:UNUSED_PAD src0_sel:DWORD src1_sel:DWORD
	v_or_b32_sdwa v5, v10, v5 dst_sel:DWORD dst_unused:UNUSED_PAD src0_sel:BYTE_0 src1_sel:DWORD
	v_lshlrev_b16_e32 v12, 8, v26
	v_and_b32_sdwa v10, v10, s4 dst_sel:DWORD dst_unused:UNUSED_PAD src0_sel:WORD_1 src1_sel:DWORD
	v_or_b32_sdwa v10, v10, v12 dst_sel:WORD_1 dst_unused:UNUSED_PAD src0_sel:DWORD src1_sel:DWORD
	v_or_b32_sdwa v5, v5, v10 dst_sel:DWORD dst_unused:UNUSED_PAD src0_sel:WORD_0 src1_sel:DWORD
.LBB254_53:
	s_or_b64 exec, exec, s[6:7]
	v_add_u32_e32 v10, 3, v35
	v_cmp_le_u32_e32 vcc, s16, v10
	v_lshrrev_b32_e32 v12, 24, v9
                                        ; implicit-def: $vgpr10
                                        ; implicit-def: $vgpr36
	s_and_saveexec_b64 s[4:5], vcc
	s_xor_b64 s[4:5], exec, s[4:5]
	s_cbranch_execz .LBB254_55
; %bb.54:
	v_and_b32_e32 v10, 0xff0000, v11
	s_mov_b32 s6, 0x3020504
	s_movk_i32 s7, 0xff
	v_perm_b32 v36, v11, v10, s6
	v_lshlrev_b16_e32 v10, 8, v12
	v_and_b32_sdwa v11, v9, s7 dst_sel:DWORD dst_unused:UNUSED_PAD src0_sel:WORD_1 src1_sel:DWORD
	s_mov_b32 s6, 0x3060504
	v_or_b32_sdwa v10, v11, v10 dst_sel:WORD_1 dst_unused:UNUSED_PAD src0_sel:DWORD src1_sel:DWORD
	v_mov_b32_e32 v11, 8
	v_perm_b32 v8, v8, v8, s6
	v_lshrrev_b32_sdwa v10, v11, v9 dst_sel:BYTE_1 dst_unused:UNUSED_PRESERVE src0_sel:DWORD src1_sel:DWORD
	v_perm_b32 v7, v7, v7, s6
                                        ; implicit-def: $vgpr11
                                        ; implicit-def: $vgpr12
                                        ; implicit-def: $vgpr9
.LBB254_55:
	s_andn2_saveexec_b64 s[6:7], s[4:5]
	s_cbranch_execz .LBB254_59
; %bb.56:
	v_add_u32_e32 v10, s37, v22
	v_add_u32_e32 v25, s39, v22
	v_mul_lo_u32 v10, v10, s36
	v_mul_lo_u32 v25, v25, s38
	s_mov_b64 s[8:9], 0
	v_sub_u32_e32 v10, v10, v25
	v_cmp_lt_u32_e32 vcc, s40, v10
	v_cmp_ge_u32_e64 s[4:5], s40, v10
	s_and_saveexec_b64 s[10:11], s[4:5]
	s_cbranch_execz .LBB254_58
; %bb.57:
	v_add_u32_e32 v10, s42, v22
	v_add_u32_e32 v25, s56, v22
	v_mul_lo_u32 v10, v10, s41
	v_mul_lo_u32 v25, v25, s43
	v_sub_u32_e32 v10, v10, v25
	v_cmp_lt_u32_e64 s[4:5], s57, v10
	s_and_b64 s[8:9], s[4:5], exec
.LBB254_58:
	s_or_b64 exec, exec, s[10:11]
	v_mov_b32_e32 v26, 8
	v_cndmask_b32_e64 v10, 0, 1, vcc
	s_movk_i32 s4, 0xff
	v_lshrrev_b32_sdwa v27, v26, v11 dst_sel:BYTE_1 dst_unused:UNUSED_PAD src0_sel:DWORD src1_sel:DWORD
	v_or_b32_sdwa v27, v11, v27 dst_sel:DWORD dst_unused:UNUSED_PAD src0_sel:BYTE_0 src1_sel:DWORD
	v_lshlrev_b16_e32 v10, 8, v10
	v_and_b32_sdwa v11, v11, s4 dst_sel:DWORD dst_unused:UNUSED_PAD src0_sel:WORD_1 src1_sel:DWORD
	v_or_b32_sdwa v10, v11, v10 dst_sel:WORD_1 dst_unused:UNUSED_PAD src0_sel:DWORD src1_sel:DWORD
	v_cndmask_b32_e64 v25, 0, 1, s[8:9]
	v_or_b32_sdwa v36, v27, v10 dst_sel:DWORD dst_unused:UNUSED_PAD src0_sel:WORD_0 src1_sel:DWORD
	v_lshlrev_b16_e32 v10, 8, v12
	v_and_b32_sdwa v11, v9, s4 dst_sel:DWORD dst_unused:UNUSED_PAD src0_sel:WORD_1 src1_sel:DWORD
	v_lshrrev_b32_sdwa v9, v26, v9 dst_sel:BYTE_1 dst_unused:UNUSED_PAD src0_sel:DWORD src1_sel:DWORD
	v_or_b32_sdwa v10, v11, v10 dst_sel:WORD_1 dst_unused:UNUSED_PAD src0_sel:DWORD src1_sel:DWORD
	v_or_b32_e32 v9, v25, v9
	v_or_b32_sdwa v10, v9, v10 dst_sel:DWORD dst_unused:UNUSED_PAD src0_sel:WORD_0 src1_sel:DWORD
.LBB254_59:
	s_or_b64 exec, exec, s[6:7]
	v_add_u32_e32 v9, 4, v35
	v_cmp_le_u32_e32 vcc, s16, v9
	v_lshrrev_b32_e32 v25, 24, v8
	v_lshrrev_b32_e32 v12, 24, v10
                                        ; implicit-def: $vgpr11
                                        ; implicit-def: $vgpr9
	s_and_saveexec_b64 s[4:5], vcc
	s_xor_b64 s[4:5], exec, s[4:5]
	s_cbranch_execz .LBB254_61
; %bb.60:
	s_movk_i32 s6, 0xff
	v_lshlrev_b16_e32 v9, 8, v25
	v_and_b32_sdwa v25, v8, s6 dst_sel:DWORD dst_unused:UNUSED_PAD src0_sel:WORD_1 src1_sel:DWORD
	v_mov_b32_e32 v11, 8
	v_or_b32_sdwa v9, v25, v9 dst_sel:WORD_1 dst_unused:UNUSED_PAD src0_sel:DWORD src1_sel:DWORD
	v_lshrrev_b32_sdwa v9, v11, v8 dst_sel:BYTE_1 dst_unused:UNUSED_PRESERVE src0_sel:DWORD src1_sel:DWORD
	v_lshlrev_b16_e32 v8, 8, v12
	v_and_b32_sdwa v11, v10, s6 dst_sel:DWORD dst_unused:UNUSED_PAD src0_sel:WORD_1 src1_sel:DWORD
	v_or_b32_e32 v8, v11, v8
	s_mov_b32 s6, 0x5040c00
	v_perm_b32 v11, v8, v10, s6
	s_mov_b32 s6, 0x3060504
	v_perm_b32 v7, v7, v7, s6
                                        ; implicit-def: $vgpr25
                                        ; implicit-def: $vgpr8
                                        ; implicit-def: $vgpr10
                                        ; implicit-def: $vgpr12
.LBB254_61:
	s_andn2_saveexec_b64 s[6:7], s[4:5]
	s_cbranch_execz .LBB254_65
; %bb.62:
	v_add_u32_e32 v9, s37, v19
	v_add_u32_e32 v11, s39, v19
	v_mul_lo_u32 v9, v9, s36
	v_mul_lo_u32 v11, v11, s38
	s_mov_b64 s[8:9], 0
	v_sub_u32_e32 v9, v9, v11
	v_cmp_lt_u32_e32 vcc, s40, v9
	v_cmp_ge_u32_e64 s[4:5], s40, v9
	s_and_saveexec_b64 s[10:11], s[4:5]
	s_cbranch_execz .LBB254_64
; %bb.63:
	v_add_u32_e32 v9, s42, v19
	v_add_u32_e32 v11, s56, v19
	v_mul_lo_u32 v9, v9, s41
	v_mul_lo_u32 v11, v11, s43
	v_sub_u32_e32 v9, v9, v11
	v_cmp_lt_u32_e64 s[4:5], s57, v9
	s_and_b64 s[8:9], s[4:5], exec
.LBB254_64:
	s_or_b64 exec, exec, s[10:11]
	s_movk_i32 s4, 0xff
	v_lshlrev_b16_e32 v25, 8, v25
	v_and_b32_sdwa v26, v8, s4 dst_sel:DWORD dst_unused:UNUSED_PAD src0_sel:WORD_1 src1_sel:DWORD
	v_or_b32_sdwa v25, v26, v25 dst_sel:WORD_1 dst_unused:UNUSED_PAD src0_sel:DWORD src1_sel:DWORD
	v_mov_b32_e32 v26, 8
	v_cndmask_b32_e64 v9, 0, 1, vcc
	v_lshrrev_b32_sdwa v8, v26, v8 dst_sel:BYTE_1 dst_unused:UNUSED_PAD src0_sel:DWORD src1_sel:DWORD
	v_cndmask_b32_e64 v11, 0, 1, s[8:9]
	v_or_b32_e32 v8, v9, v8
	v_or_b32_sdwa v9, v8, v25 dst_sel:DWORD dst_unused:UNUSED_PAD src0_sel:WORD_0 src1_sel:DWORD
	v_lshlrev_b16_e32 v8, 8, v11
	v_or_b32_sdwa v8, v10, v8 dst_sel:DWORD dst_unused:UNUSED_PAD src0_sel:BYTE_0 src1_sel:DWORD
	v_lshlrev_b16_e32 v11, 8, v12
	v_and_b32_sdwa v10, v10, s4 dst_sel:DWORD dst_unused:UNUSED_PAD src0_sel:WORD_1 src1_sel:DWORD
	v_or_b32_sdwa v10, v10, v11 dst_sel:WORD_1 dst_unused:UNUSED_PAD src0_sel:DWORD src1_sel:DWORD
	v_or_b32_sdwa v11, v8, v10 dst_sel:DWORD dst_unused:UNUSED_PAD src0_sel:WORD_0 src1_sel:DWORD
.LBB254_65:
	s_or_b64 exec, exec, s[6:7]
	v_add_u32_e32 v8, 5, v35
	v_cmp_le_u32_e32 vcc, s16, v8
	v_lshrrev_b32_e32 v12, 24, v11
	v_lshrrev_b32_e32 v25, 24, v9
                                        ; implicit-def: $vgpr8
                                        ; implicit-def: $vgpr10
	s_and_saveexec_b64 s[4:5], vcc
	s_xor_b64 s[4:5], exec, s[4:5]
	s_cbranch_execz .LBB254_67
; %bb.66:
	s_mov_b32 s6, 0x40c0100
	v_perm_b32 v8, v12, v11, s6
	s_movk_i32 s6, 0xff
	v_lshlrev_b16_e32 v10, 8, v25
	v_and_b32_sdwa v11, v9, s6 dst_sel:DWORD dst_unused:UNUSED_PAD src0_sel:WORD_1 src1_sel:DWORD
	v_or_b32_e32 v10, v11, v10
	s_mov_b32 s6, 0x5040c00
	v_perm_b32 v10, v10, v9, s6
	v_mov_b32_e32 v9, 8
	v_lshrrev_b32_sdwa v9, v9, v8 dst_sel:BYTE_1 dst_unused:UNUSED_PAD src0_sel:DWORD src1_sel:DWORD
	v_or_b32_sdwa v9, v8, v9 dst_sel:DWORD dst_unused:UNUSED_PAD src0_sel:BYTE_0 src1_sel:DWORD
	v_and_b32_e32 v9, 0xffff, v9
	s_mov_b32 s6, 0xff000000
	v_and_or_b32 v8, v8, s6, v9
	s_mov_b32 s6, 0x3060504
	v_perm_b32 v7, v7, v7, s6
                                        ; implicit-def: $vgpr9
                                        ; implicit-def: $vgpr25
                                        ; implicit-def: $vgpr11
                                        ; implicit-def: $vgpr12
.LBB254_67:
	s_andn2_saveexec_b64 s[6:7], s[4:5]
	s_cbranch_execz .LBB254_71
; %bb.68:
	v_add_u32_e32 v8, s37, v20
	v_add_u32_e32 v10, s39, v20
	v_mul_lo_u32 v8, v8, s36
	v_mul_lo_u32 v10, v10, s38
	s_mov_b64 s[8:9], 0
	v_sub_u32_e32 v8, v8, v10
	v_cmp_lt_u32_e32 vcc, s40, v8
	v_cmp_ge_u32_e64 s[4:5], s40, v8
	s_and_saveexec_b64 s[10:11], s[4:5]
	s_cbranch_execz .LBB254_70
; %bb.69:
	v_add_u32_e32 v8, s42, v20
	v_add_u32_e32 v10, s56, v20
	v_mul_lo_u32 v8, v8, s41
	v_mul_lo_u32 v10, v10, s43
	v_sub_u32_e32 v8, v8, v10
	v_cmp_lt_u32_e64 s[4:5], s57, v8
	s_and_b64 s[8:9], s[4:5], exec
.LBB254_70:
	s_or_b64 exec, exec, s[10:11]
	v_cndmask_b32_e64 v8, 0, 1, vcc
	v_lshlrev_b16_e32 v8, 8, v8
	s_movk_i32 s4, 0xff
	v_or_b32_sdwa v8, v9, v8 dst_sel:DWORD dst_unused:UNUSED_PAD src0_sel:BYTE_0 src1_sel:DWORD
	v_lshlrev_b16_e32 v10, 8, v25
	v_and_b32_sdwa v9, v9, s4 dst_sel:DWORD dst_unused:UNUSED_PAD src0_sel:WORD_1 src1_sel:DWORD
	v_or_b32_sdwa v9, v9, v10 dst_sel:WORD_1 dst_unused:UNUSED_PAD src0_sel:DWORD src1_sel:DWORD
	v_or_b32_sdwa v10, v8, v9 dst_sel:DWORD dst_unused:UNUSED_PAD src0_sel:WORD_0 src1_sel:DWORD
	v_mov_b32_e32 v8, 8
	v_cndmask_b32_e64 v26, 0, 1, s[8:9]
	v_lshrrev_b32_sdwa v8, v8, v11 dst_sel:BYTE_1 dst_unused:UNUSED_PAD src0_sel:DWORD src1_sel:DWORD
	v_lshlrev_b16_e32 v9, 8, v12
	v_or_b32_sdwa v8, v11, v8 dst_sel:DWORD dst_unused:UNUSED_PAD src0_sel:BYTE_0 src1_sel:DWORD
	v_or_b32_sdwa v9, v26, v9 dst_sel:WORD_1 dst_unused:UNUSED_PAD src0_sel:DWORD src1_sel:DWORD
	v_or_b32_sdwa v8, v8, v9 dst_sel:DWORD dst_unused:UNUSED_PAD src0_sel:WORD_0 src1_sel:DWORD
.LBB254_71:
	s_or_b64 exec, exec, s[6:7]
	v_add_u32_e32 v9, 6, v35
	v_cmp_le_u32_e32 vcc, s16, v9
	v_lshrrev_b32_e32 v11, 24, v10
                                        ; implicit-def: $vgpr37
                                        ; implicit-def: $vgpr9
	s_and_saveexec_b64 s[4:5], vcc
	s_xor_b64 s[4:5], exec, s[4:5]
	s_cbranch_execz .LBB254_73
; %bb.72:
	s_mov_b32 s6, 0x40c0100
	v_perm_b32 v9, v11, v10, s6
	v_mov_b32_e32 v10, 8
	v_lshrrev_b32_sdwa v10, v10, v9 dst_sel:BYTE_1 dst_unused:UNUSED_PAD src0_sel:DWORD src1_sel:DWORD
	v_or_b32_sdwa v10, v9, v10 dst_sel:DWORD dst_unused:UNUSED_PAD src0_sel:BYTE_0 src1_sel:DWORD
	v_and_b32_e32 v10, 0xffff, v10
	s_mov_b32 s6, 0xff000000
	v_and_b32_e32 v12, 0xff0000, v8
	v_and_or_b32 v9, v9, s6, v10
	s_mov_b32 s6, 0x3020504
	v_perm_b32 v37, v8, v12, s6
	s_mov_b32 s6, 0x3060504
	v_perm_b32 v7, v7, v7, s6
                                        ; implicit-def: $vgpr10
                                        ; implicit-def: $vgpr11
                                        ; implicit-def: $vgpr8
.LBB254_73:
	s_andn2_saveexec_b64 s[6:7], s[4:5]
	s_cbranch_execz .LBB254_77
; %bb.74:
	v_add_u32_e32 v9, s37, v17
	v_add_u32_e32 v12, s39, v17
	v_mul_lo_u32 v9, v9, s36
	v_mul_lo_u32 v12, v12, s38
	s_mov_b64 s[8:9], 0
	v_sub_u32_e32 v9, v9, v12
	v_cmp_lt_u32_e32 vcc, s40, v9
	v_cmp_ge_u32_e64 s[4:5], s40, v9
	s_and_saveexec_b64 s[10:11], s[4:5]
	s_cbranch_execz .LBB254_76
; %bb.75:
	v_add_u32_e32 v9, s42, v17
	v_add_u32_e32 v12, s56, v17
	v_mul_lo_u32 v9, v9, s41
	v_mul_lo_u32 v12, v12, s43
	v_sub_u32_e32 v9, v9, v12
	v_cmp_lt_u32_e64 s[4:5], s57, v9
	s_and_b64 s[8:9], s[4:5], exec
.LBB254_76:
	s_or_b64 exec, exec, s[10:11]
	v_mov_b32_e32 v25, 8
	v_cndmask_b32_e64 v9, 0, 1, vcc
	v_lshrrev_b32_sdwa v26, v25, v10 dst_sel:BYTE_1 dst_unused:UNUSED_PAD src0_sel:DWORD src1_sel:DWORD
	v_lshlrev_b16_e32 v11, 8, v11
	v_or_b32_sdwa v10, v10, v26 dst_sel:DWORD dst_unused:UNUSED_PAD src0_sel:BYTE_0 src1_sel:DWORD
	v_or_b32_sdwa v9, v9, v11 dst_sel:WORD_1 dst_unused:UNUSED_PAD src0_sel:DWORD src1_sel:DWORD
	v_cndmask_b32_e64 v12, 0, 1, s[8:9]
	s_movk_i32 s4, 0xff
	v_or_b32_sdwa v9, v10, v9 dst_sel:DWORD dst_unused:UNUSED_PAD src0_sel:WORD_0 src1_sel:DWORD
	v_lshrrev_b32_sdwa v10, v25, v8 dst_sel:BYTE_1 dst_unused:UNUSED_PAD src0_sel:DWORD src1_sel:DWORD
	v_or_b32_sdwa v10, v8, v10 dst_sel:DWORD dst_unused:UNUSED_PAD src0_sel:BYTE_0 src1_sel:DWORD
	v_lshlrev_b16_e32 v11, 8, v12
	v_and_b32_sdwa v8, v8, s4 dst_sel:DWORD dst_unused:UNUSED_PAD src0_sel:WORD_1 src1_sel:DWORD
	v_or_b32_sdwa v8, v8, v11 dst_sel:WORD_1 dst_unused:UNUSED_PAD src0_sel:DWORD src1_sel:DWORD
	v_or_b32_sdwa v37, v10, v8 dst_sel:DWORD dst_unused:UNUSED_PAD src0_sel:WORD_0 src1_sel:DWORD
.LBB254_77:
	s_or_b64 exec, exec, s[6:7]
	v_add_u32_e32 v8, 7, v35
	v_cmp_le_u32_e32 vcc, s16, v8
	v_lshrrev_b32_e32 v10, 24, v7
                                        ; implicit-def: $vgpr8
                                        ; implicit-def: $vgpr38
	s_and_saveexec_b64 s[4:5], vcc
	s_xor_b64 s[4:5], exec, s[4:5]
; %bb.78:
	v_and_b32_e32 v8, 0xff0000, v9
	s_mov_b32 s6, 0x3020504
	v_perm_b32 v38, v9, v8, s6
	s_movk_i32 s6, 0xff
	v_lshlrev_b16_e32 v8, 8, v10
	v_and_b32_sdwa v9, v7, s6 dst_sel:DWORD dst_unused:UNUSED_PAD src0_sel:WORD_1 src1_sel:DWORD
	v_mov_b32_e32 v11, 8
	v_or_b32_sdwa v8, v9, v8 dst_sel:WORD_1 dst_unused:UNUSED_PAD src0_sel:DWORD src1_sel:DWORD
	v_lshrrev_b32_sdwa v8, v11, v7 dst_sel:BYTE_1 dst_unused:UNUSED_PRESERVE src0_sel:DWORD src1_sel:DWORD
                                        ; implicit-def: $vgpr9
                                        ; implicit-def: $vgpr10
                                        ; implicit-def: $vgpr7
; %bb.79:
	s_andn2_saveexec_b64 s[6:7], s[4:5]
	s_cbranch_execz .LBB254_83
; %bb.80:
	v_add_u32_e32 v8, s37, v18
	v_add_u32_e32 v11, s39, v18
	v_mul_lo_u32 v8, v8, s36
	v_mul_lo_u32 v11, v11, s38
	s_mov_b64 s[8:9], 0
	v_sub_u32_e32 v8, v8, v11
	v_cmp_lt_u32_e32 vcc, s40, v8
	v_cmp_ge_u32_e64 s[4:5], s40, v8
	s_and_saveexec_b64 s[10:11], s[4:5]
	s_cbranch_execz .LBB254_82
; %bb.81:
	v_add_u32_e32 v8, s42, v18
	v_add_u32_e32 v11, s56, v18
	v_mul_lo_u32 v8, v8, s41
	v_mul_lo_u32 v11, v11, s43
	v_sub_u32_e32 v8, v8, v11
	v_cmp_lt_u32_e64 s[4:5], s57, v8
	s_and_b64 s[8:9], s[4:5], exec
.LBB254_82:
	s_or_b64 exec, exec, s[10:11]
	v_mov_b32_e32 v12, 8
	v_cndmask_b32_e64 v8, 0, 1, vcc
	s_movk_i32 s4, 0xff
	v_lshrrev_b32_sdwa v25, v12, v9 dst_sel:BYTE_1 dst_unused:UNUSED_PAD src0_sel:DWORD src1_sel:DWORD
	v_or_b32_sdwa v25, v9, v25 dst_sel:DWORD dst_unused:UNUSED_PAD src0_sel:BYTE_0 src1_sel:DWORD
	v_lshlrev_b16_e32 v8, 8, v8
	v_and_b32_sdwa v9, v9, s4 dst_sel:DWORD dst_unused:UNUSED_PAD src0_sel:WORD_1 src1_sel:DWORD
	v_or_b32_sdwa v8, v9, v8 dst_sel:WORD_1 dst_unused:UNUSED_PAD src0_sel:DWORD src1_sel:DWORD
	v_cndmask_b32_e64 v11, 0, 1, s[8:9]
	v_or_b32_sdwa v38, v25, v8 dst_sel:DWORD dst_unused:UNUSED_PAD src0_sel:WORD_0 src1_sel:DWORD
	v_lshlrev_b16_e32 v8, 8, v10
	v_and_b32_sdwa v9, v7, s4 dst_sel:DWORD dst_unused:UNUSED_PAD src0_sel:WORD_1 src1_sel:DWORD
	v_lshrrev_b32_sdwa v7, v12, v7 dst_sel:BYTE_1 dst_unused:UNUSED_PAD src0_sel:DWORD src1_sel:DWORD
	v_or_b32_sdwa v8, v9, v8 dst_sel:WORD_1 dst_unused:UNUSED_PAD src0_sel:DWORD src1_sel:DWORD
	v_or_b32_e32 v7, v11, v7
	v_or_b32_sdwa v8, v7, v8 dst_sel:DWORD dst_unused:UNUSED_PAD src0_sel:WORD_0 src1_sel:DWORD
.LBB254_83:
	s_or_b64 exec, exec, s[6:7]
	v_add_u32_e32 v7, 8, v35
	v_cmp_le_u32_e32 vcc, s16, v7
	v_lshrrev_b32_e32 v10, 24, v8
	v_lshrrev_b32_e32 v11, 24, v6
                                        ; implicit-def: $vgpr9
                                        ; implicit-def: $vgpr7
	s_and_saveexec_b64 s[4:5], vcc
	s_xor_b64 s[4:5], exec, s[4:5]
	s_cbranch_execz .LBB254_85
; %bb.84:
	s_movk_i32 s6, 0xff
	v_lshlrev_b16_e32 v7, 8, v11
	v_and_b32_sdwa v9, v6, s6 dst_sel:DWORD dst_unused:UNUSED_PAD src0_sel:WORD_1 src1_sel:DWORD
	v_or_b32_sdwa v7, v9, v7 dst_sel:WORD_1 dst_unused:UNUSED_PAD src0_sel:DWORD src1_sel:DWORD
	v_mov_b32_e32 v9, 8
	v_lshrrev_b32_sdwa v7, v9, v6 dst_sel:BYTE_1 dst_unused:UNUSED_PRESERVE src0_sel:DWORD src1_sel:DWORD
	v_lshlrev_b16_e32 v6, 8, v10
	v_and_b32_sdwa v9, v8, s6 dst_sel:DWORD dst_unused:UNUSED_PAD src0_sel:WORD_1 src1_sel:DWORD
	s_mov_b32 s7, 0x3060504
	v_or_b32_e32 v6, v9, v6
	s_mov_b32 s6, 0x5040c00
	v_perm_b32 v5, v5, v5, s7
	v_perm_b32 v9, v6, v8, s6
                                        ; implicit-def: $vgpr11
                                        ; implicit-def: $vgpr6
                                        ; implicit-def: $vgpr8
                                        ; implicit-def: $vgpr10
.LBB254_85:
	s_andn2_saveexec_b64 s[6:7], s[4:5]
	s_cbranch_execz .LBB254_89
; %bb.86:
	v_add_u32_e32 v7, s37, v15
	v_add_u32_e32 v9, s39, v15
	v_mul_lo_u32 v7, v7, s36
	v_mul_lo_u32 v9, v9, s38
	s_mov_b64 s[8:9], 0
	v_sub_u32_e32 v7, v7, v9
	v_cmp_lt_u32_e32 vcc, s40, v7
	v_cmp_ge_u32_e64 s[4:5], s40, v7
	s_and_saveexec_b64 s[10:11], s[4:5]
	s_cbranch_execz .LBB254_88
; %bb.87:
	v_add_u32_e32 v7, s42, v15
	v_add_u32_e32 v9, s56, v15
	v_mul_lo_u32 v7, v7, s41
	v_mul_lo_u32 v9, v9, s43
	v_sub_u32_e32 v7, v7, v9
	v_cmp_lt_u32_e64 s[4:5], s57, v7
	s_and_b64 s[8:9], s[4:5], exec
.LBB254_88:
	s_or_b64 exec, exec, s[10:11]
	s_movk_i32 s4, 0xff
	v_lshlrev_b16_e32 v11, 8, v11
	v_and_b32_sdwa v12, v6, s4 dst_sel:DWORD dst_unused:UNUSED_PAD src0_sel:WORD_1 src1_sel:DWORD
	v_or_b32_sdwa v11, v12, v11 dst_sel:WORD_1 dst_unused:UNUSED_PAD src0_sel:DWORD src1_sel:DWORD
	v_mov_b32_e32 v12, 8
	v_cndmask_b32_e64 v7, 0, 1, vcc
	v_lshrrev_b32_sdwa v6, v12, v6 dst_sel:BYTE_1 dst_unused:UNUSED_PAD src0_sel:DWORD src1_sel:DWORD
	v_cndmask_b32_e64 v9, 0, 1, s[8:9]
	v_or_b32_e32 v6, v7, v6
	v_or_b32_sdwa v7, v6, v11 dst_sel:DWORD dst_unused:UNUSED_PAD src0_sel:WORD_0 src1_sel:DWORD
	v_lshlrev_b16_e32 v6, 8, v9
	v_or_b32_sdwa v6, v8, v6 dst_sel:DWORD dst_unused:UNUSED_PAD src0_sel:BYTE_0 src1_sel:DWORD
	v_lshlrev_b16_e32 v9, 8, v10
	v_and_b32_sdwa v8, v8, s4 dst_sel:DWORD dst_unused:UNUSED_PAD src0_sel:WORD_1 src1_sel:DWORD
	v_or_b32_sdwa v8, v8, v9 dst_sel:WORD_1 dst_unused:UNUSED_PAD src0_sel:DWORD src1_sel:DWORD
	v_or_b32_sdwa v9, v6, v8 dst_sel:DWORD dst_unused:UNUSED_PAD src0_sel:WORD_0 src1_sel:DWORD
.LBB254_89:
	s_or_b64 exec, exec, s[6:7]
	v_add_u32_e32 v6, 9, v35
	v_cmp_le_u32_e32 vcc, s16, v6
	v_lshrrev_b32_e32 v10, 24, v9
	v_lshrrev_b32_e32 v11, 24, v7
                                        ; implicit-def: $vgpr6
                                        ; implicit-def: $vgpr8
	s_and_saveexec_b64 s[4:5], vcc
	s_xor_b64 s[4:5], exec, s[4:5]
	s_cbranch_execz .LBB254_91
; %bb.90:
	s_mov_b32 s6, 0x40c0100
	v_perm_b32 v6, v10, v9, s6
	v_mov_b32_e32 v8, 8
	s_movk_i32 s6, 0xff
	v_lshrrev_b32_sdwa v9, v8, v6 dst_sel:BYTE_1 dst_unused:UNUSED_PAD src0_sel:DWORD src1_sel:DWORD
	v_lshlrev_b16_e32 v8, 8, v11
	v_and_b32_sdwa v10, v7, s6 dst_sel:DWORD dst_unused:UNUSED_PAD src0_sel:WORD_1 src1_sel:DWORD
	v_or_b32_e32 v8, v10, v8
	s_mov_b32 s6, 0x5040c00
	v_perm_b32 v8, v8, v7, s6
	s_mov_b32 s6, 0x3060504
	v_or_b32_sdwa v7, v6, v9 dst_sel:DWORD dst_unused:UNUSED_PAD src0_sel:BYTE_0 src1_sel:DWORD
	v_perm_b32 v5, v5, v5, s6
	v_and_b32_e32 v7, 0xffff, v7
	s_mov_b32 s6, 0xff000000
	v_and_or_b32 v6, v6, s6, v7
                                        ; implicit-def: $vgpr7
                                        ; implicit-def: $vgpr11
                                        ; implicit-def: $vgpr9
                                        ; implicit-def: $vgpr10
.LBB254_91:
	s_andn2_saveexec_b64 s[6:7], s[4:5]
	s_cbranch_execz .LBB254_95
; %bb.92:
	v_add_u32_e32 v6, s37, v16
	v_add_u32_e32 v8, s39, v16
	v_mul_lo_u32 v6, v6, s36
	v_mul_lo_u32 v8, v8, s38
	s_mov_b64 s[8:9], 0
	v_sub_u32_e32 v6, v6, v8
	v_cmp_lt_u32_e32 vcc, s40, v6
	v_cmp_ge_u32_e64 s[4:5], s40, v6
	s_and_saveexec_b64 s[10:11], s[4:5]
	s_cbranch_execz .LBB254_94
; %bb.93:
	v_add_u32_e32 v6, s42, v16
	v_add_u32_e32 v8, s56, v16
	v_mul_lo_u32 v6, v6, s41
	v_mul_lo_u32 v8, v8, s43
	v_sub_u32_e32 v6, v6, v8
	v_cmp_lt_u32_e64 s[4:5], s57, v6
	s_and_b64 s[8:9], s[4:5], exec
.LBB254_94:
	s_or_b64 exec, exec, s[10:11]
	v_cndmask_b32_e64 v6, 0, 1, vcc
	v_lshlrev_b16_e32 v6, 8, v6
	s_movk_i32 s4, 0xff
	v_or_b32_sdwa v6, v7, v6 dst_sel:DWORD dst_unused:UNUSED_PAD src0_sel:BYTE_0 src1_sel:DWORD
	v_lshlrev_b16_e32 v8, 8, v11
	v_and_b32_sdwa v7, v7, s4 dst_sel:DWORD dst_unused:UNUSED_PAD src0_sel:WORD_1 src1_sel:DWORD
	v_or_b32_sdwa v7, v7, v8 dst_sel:WORD_1 dst_unused:UNUSED_PAD src0_sel:DWORD src1_sel:DWORD
	v_or_b32_sdwa v8, v6, v7 dst_sel:DWORD dst_unused:UNUSED_PAD src0_sel:WORD_0 src1_sel:DWORD
	v_mov_b32_e32 v6, 8
	v_cndmask_b32_e64 v12, 0, 1, s[8:9]
	v_lshrrev_b32_sdwa v6, v6, v9 dst_sel:BYTE_1 dst_unused:UNUSED_PAD src0_sel:DWORD src1_sel:DWORD
	v_lshlrev_b16_e32 v7, 8, v10
	v_or_b32_sdwa v6, v9, v6 dst_sel:DWORD dst_unused:UNUSED_PAD src0_sel:BYTE_0 src1_sel:DWORD
	v_or_b32_sdwa v7, v12, v7 dst_sel:WORD_1 dst_unused:UNUSED_PAD src0_sel:DWORD src1_sel:DWORD
	v_or_b32_sdwa v6, v6, v7 dst_sel:DWORD dst_unused:UNUSED_PAD src0_sel:WORD_0 src1_sel:DWORD
.LBB254_95:
	s_or_b64 exec, exec, s[6:7]
	v_add_u32_e32 v7, 10, v35
	v_cmp_le_u32_e32 vcc, s16, v7
	v_lshrrev_b32_e32 v9, 24, v8
                                        ; implicit-def: $vgpr39
                                        ; implicit-def: $vgpr7
	s_and_saveexec_b64 s[4:5], vcc
	s_xor_b64 s[4:5], exec, s[4:5]
	s_cbranch_execz .LBB254_97
; %bb.96:
	s_mov_b32 s6, 0x40c0100
	v_perm_b32 v7, v9, v8, s6
	v_mov_b32_e32 v8, 8
	v_lshrrev_b32_sdwa v8, v8, v7 dst_sel:BYTE_1 dst_unused:UNUSED_PAD src0_sel:DWORD src1_sel:DWORD
	v_or_b32_sdwa v8, v7, v8 dst_sel:DWORD dst_unused:UNUSED_PAD src0_sel:BYTE_0 src1_sel:DWORD
	v_and_b32_e32 v8, 0xffff, v8
	s_mov_b32 s6, 0xff000000
	v_and_or_b32 v7, v7, s6, v8
	s_mov_b32 s6, 0x3060504
	v_and_b32_e32 v10, 0xff0000, v6
	v_perm_b32 v5, v5, v5, s6
	s_mov_b32 s6, 0x3020504
	v_perm_b32 v39, v6, v10, s6
                                        ; implicit-def: $vgpr8
                                        ; implicit-def: $vgpr9
                                        ; implicit-def: $vgpr6
.LBB254_97:
	s_andn2_saveexec_b64 s[6:7], s[4:5]
	s_cbranch_execz .LBB254_101
; %bb.98:
	v_add_u32_e32 v7, s37, v13
	v_add_u32_e32 v10, s39, v13
	v_mul_lo_u32 v7, v7, s36
	v_mul_lo_u32 v10, v10, s38
	s_mov_b64 s[8:9], 0
	v_sub_u32_e32 v7, v7, v10
	v_cmp_lt_u32_e32 vcc, s40, v7
	v_cmp_ge_u32_e64 s[4:5], s40, v7
	s_and_saveexec_b64 s[10:11], s[4:5]
	s_cbranch_execz .LBB254_100
; %bb.99:
	v_add_u32_e32 v7, s42, v13
	v_add_u32_e32 v10, s56, v13
	v_mul_lo_u32 v7, v7, s41
	v_mul_lo_u32 v10, v10, s43
	v_sub_u32_e32 v7, v7, v10
	v_cmp_lt_u32_e64 s[4:5], s57, v7
	s_and_b64 s[8:9], s[4:5], exec
.LBB254_100:
	s_or_b64 exec, exec, s[10:11]
	v_mov_b32_e32 v11, 8
	v_cndmask_b32_e64 v7, 0, 1, vcc
	v_lshrrev_b32_sdwa v12, v11, v8 dst_sel:BYTE_1 dst_unused:UNUSED_PAD src0_sel:DWORD src1_sel:DWORD
	v_lshlrev_b16_e32 v9, 8, v9
	v_or_b32_sdwa v8, v8, v12 dst_sel:DWORD dst_unused:UNUSED_PAD src0_sel:BYTE_0 src1_sel:DWORD
	v_or_b32_sdwa v7, v7, v9 dst_sel:WORD_1 dst_unused:UNUSED_PAD src0_sel:DWORD src1_sel:DWORD
	v_cndmask_b32_e64 v10, 0, 1, s[8:9]
	s_movk_i32 s4, 0xff
	v_or_b32_sdwa v7, v8, v7 dst_sel:DWORD dst_unused:UNUSED_PAD src0_sel:WORD_0 src1_sel:DWORD
	v_lshrrev_b32_sdwa v8, v11, v6 dst_sel:BYTE_1 dst_unused:UNUSED_PAD src0_sel:DWORD src1_sel:DWORD
	v_or_b32_sdwa v8, v6, v8 dst_sel:DWORD dst_unused:UNUSED_PAD src0_sel:BYTE_0 src1_sel:DWORD
	v_lshlrev_b16_e32 v9, 8, v10
	v_and_b32_sdwa v6, v6, s4 dst_sel:DWORD dst_unused:UNUSED_PAD src0_sel:WORD_1 src1_sel:DWORD
	v_or_b32_sdwa v6, v6, v9 dst_sel:WORD_1 dst_unused:UNUSED_PAD src0_sel:DWORD src1_sel:DWORD
	v_or_b32_sdwa v39, v8, v6 dst_sel:DWORD dst_unused:UNUSED_PAD src0_sel:WORD_0 src1_sel:DWORD
.LBB254_101:
	s_or_b64 exec, exec, s[6:7]
	v_add_u32_e32 v6, 11, v35
	v_mov_b32_e32 v40, 0
	v_cmp_le_u32_e32 vcc, s16, v6
                                        ; implicit-def: $vgpr41
	s_and_saveexec_b64 s[4:5], vcc
	s_xor_b64 s[4:5], exec, s[4:5]
; %bb.102:
	v_and_b32_e32 v6, 0xff0000, v7
	s_mov_b32 s6, 0x3020504
	v_perm_b32 v41, v7, v6, s6
	s_mov_b32 s6, 0x3060504
	v_perm_b32 v5, v5, v5, s6
                                        ; implicit-def: $vgpr7
; %bb.103:
	s_andn2_saveexec_b64 s[6:7], s[4:5]
	s_cbranch_execz .LBB254_107
; %bb.104:
	v_add_u32_e32 v6, s37, v14
	v_add_u32_e32 v8, s39, v14
	v_mul_lo_u32 v6, v6, s36
	v_mul_lo_u32 v8, v8, s38
	s_mov_b64 s[8:9], 0
	v_sub_u32_e32 v6, v6, v8
	v_cmp_lt_u32_e32 vcc, s40, v6
	v_cmp_ge_u32_e64 s[4:5], s40, v6
	s_and_saveexec_b64 s[10:11], s[4:5]
	s_cbranch_execz .LBB254_106
; %bb.105:
	v_add_u32_e32 v6, s42, v14
	v_add_u32_e32 v8, s56, v14
	v_mul_lo_u32 v6, v6, s41
	v_mul_lo_u32 v8, v8, s43
	v_sub_u32_e32 v6, v6, v8
	v_cmp_lt_u32_e64 s[4:5], s57, v6
	s_and_b64 s[8:9], s[4:5], exec
.LBB254_106:
	s_or_b64 exec, exec, s[10:11]
	v_mov_b32_e32 v8, 8
	v_cndmask_b32_e64 v6, 0, 1, vcc
	s_movk_i32 s4, 0xff
	v_lshrrev_b32_sdwa v8, v8, v7 dst_sel:BYTE_1 dst_unused:UNUSED_PAD src0_sel:DWORD src1_sel:DWORD
	v_or_b32_sdwa v8, v7, v8 dst_sel:DWORD dst_unused:UNUSED_PAD src0_sel:BYTE_0 src1_sel:DWORD
	v_lshlrev_b16_e32 v6, 8, v6
	v_and_b32_sdwa v7, v7, s4 dst_sel:DWORD dst_unused:UNUSED_PAD src0_sel:WORD_1 src1_sel:DWORD
	v_or_b32_sdwa v6, v7, v6 dst_sel:WORD_1 dst_unused:UNUSED_PAD src0_sel:DWORD src1_sel:DWORD
	v_cndmask_b32_e64 v40, 0, 1, s[8:9]
	v_or_b32_sdwa v41, v8, v6 dst_sel:DWORD dst_unused:UNUSED_PAD src0_sel:WORD_0 src1_sel:DWORD
.LBB254_107:
	s_or_b64 exec, exec, s[6:7]
	v_add_u32_e32 v6, 12, v35
	v_cmp_le_u32_e32 vcc, s16, v6
	v_lshrrev_b32_e32 v6, 24, v5
                                        ; implicit-def: $vgpr42
	s_and_saveexec_b64 s[4:5], vcc
	s_xor_b64 s[4:5], exec, s[4:5]
; %bb.108:
	s_movk_i32 s6, 0xff
	v_lshlrev_b16_e32 v6, 8, v6
	v_and_b32_sdwa v8, v5, s6 dst_sel:DWORD dst_unused:UNUSED_PAD src0_sel:WORD_1 src1_sel:DWORD
	v_mov_b32_e32 v7, 8
	v_or_b32_sdwa v42, v8, v6 dst_sel:WORD_1 dst_unused:UNUSED_PAD src0_sel:DWORD src1_sel:DWORD
	v_lshrrev_b32_sdwa v42, v7, v5 dst_sel:BYTE_1 dst_unused:UNUSED_PRESERVE src0_sel:DWORD src1_sel:DWORD
                                        ; implicit-def: $vgpr6
                                        ; implicit-def: $vgpr5
; %bb.109:
	s_or_saveexec_b64 s[6:7], s[4:5]
	v_mov_b32_e32 v43, 0
	s_xor_b64 exec, exec, s[6:7]
	s_cbranch_execz .LBB254_113
; %bb.110:
	v_add_u32_e32 v7, s37, v34
	v_add_u32_e32 v8, s39, v34
	v_mul_lo_u32 v7, v7, s36
	v_mul_lo_u32 v8, v8, s38
	s_mov_b64 s[8:9], 0
	v_sub_u32_e32 v7, v7, v8
	v_cmp_lt_u32_e32 vcc, s40, v7
	v_cmp_ge_u32_e64 s[4:5], s40, v7
	s_and_saveexec_b64 s[10:11], s[4:5]
	s_cbranch_execz .LBB254_112
; %bb.111:
	v_add_u32_e32 v7, s42, v34
	v_add_u32_e32 v8, s56, v34
	v_mul_lo_u32 v7, v7, s41
	v_mul_lo_u32 v8, v8, s43
	v_sub_u32_e32 v7, v7, v8
	v_cmp_lt_u32_e64 s[4:5], s57, v7
	s_and_b64 s[8:9], s[4:5], exec
.LBB254_112:
	s_or_b64 exec, exec, s[10:11]
	s_movk_i32 s4, 0xff
	v_lshlrev_b16_e32 v6, 8, v6
	v_and_b32_sdwa v8, v5, s4 dst_sel:DWORD dst_unused:UNUSED_PAD src0_sel:WORD_1 src1_sel:DWORD
	v_or_b32_sdwa v6, v8, v6 dst_sel:WORD_1 dst_unused:UNUSED_PAD src0_sel:DWORD src1_sel:DWORD
	v_mov_b32_e32 v8, 8
	v_cndmask_b32_e64 v7, 0, 1, vcc
	v_lshrrev_b32_sdwa v5, v8, v5 dst_sel:BYTE_1 dst_unused:UNUSED_PAD src0_sel:DWORD src1_sel:DWORD
	v_or_b32_e32 v5, v7, v5
	v_cndmask_b32_e64 v43, 0, 1, s[8:9]
	v_or_b32_sdwa v42, v5, v6 dst_sel:DWORD dst_unused:UNUSED_PAD src0_sel:WORD_0 src1_sel:DWORD
.LBB254_113:
	s_or_b64 exec, exec, s[6:7]
.LBB254_114:
	v_and_b32_e32 v53, 0xff, v36
	v_bfe_u32 v50, v36, 8, 8
	v_bfe_u32 v55, v36, 16, 8
	v_lshrrev_b32_e32 v48, 24, v36
	v_and_b32_e32 v56, 0xff, v38
	v_add3_u32 v8, v50, v53, v55
	v_bfe_u32 v51, v38, 8, 8
	v_bfe_u32 v58, v38, 16, 8
	v_add3_u32 v8, v8, v48, v56
	v_bfe_u32 v54, v42, 8, 8
	v_bfe_u32 v62, v42, 16, 8
	v_lshrrev_b32_e32 v49, 24, v42
	v_lshrrev_b32_e32 v46, 24, v38
	v_and_b32_e32 v59, 0xff, v41
	v_add3_u32 v8, v8, v51, v58
	v_and_b32_e32 v63, 0xff, v37
	v_bfe_u32 v57, v37, 8, 8
	v_bfe_u32 v52, v41, 8, 8
	;; [unrolled: 1-line block ×3, first 2 shown]
	v_add3_u32 v7, v62, v54, v49
	v_add3_u32 v8, v8, v46, v59
	v_bfe_u32 v64, v37, 16, 8
	v_lshrrev_b32_e32 v47, 24, v37
	v_lshrrev_b32_e32 v44, 24, v41
	v_and_b32_e32 v5, 0xff, v42
	v_add3_u32 v7, v7, v63, v57
	v_add3_u32 v8, v8, v52, v61
	v_and_b32_e32 v65, 0xff, v39
	v_bfe_u32 v60, v39, 8, 8
	v_add3_u32 v7, v7, v64, v47
	v_add3_u32 v73, v8, v44, v5
	v_mbcnt_lo_u32_b32 v5, -1, 0
	v_bfe_u32 v66, v39, 16, 8
	v_lshrrev_b32_e32 v45, 24, v39
	v_add3_u32 v7, v7, v65, v60
	v_mbcnt_hi_u32_b32 v68, -1, v5
	v_and_b32_e32 v67, 0xff, v40
	v_and_b32_e32 v6, 0xff, v43
	v_add3_u32 v7, v7, v66, v45
	v_and_b32_e32 v72, 15, v68
	s_cmp_lg_u32 s33, 0
	v_add3_u32 v74, v7, v67, v6
	v_cmp_eq_u32_e64 s[6:7], 0, v72
	v_cmp_lt_u32_e64 s[4:5], 1, v72
	v_cmp_lt_u32_e64 s[10:11], 3, v72
	;; [unrolled: 1-line block ×3, first 2 shown]
	v_and_b32_e32 v71, 16, v68
	v_cmp_lt_u32_e32 vcc, 31, v68
	v_lshrrev_b32_e32 v69, 6, v0
	v_or_b32_e32 v70, 63, v0
	s_cbranch_scc0 .LBB254_136
; %bb.115:
	v_mov_b32_dpp v5, v73 row_shr:1 row_mask:0xf bank_mask:0xf
	v_mov_b32_dpp v6, v74 row_shr:1 row_mask:0xf bank_mask:0xf
	v_add_u32_e32 v5, v5, v73
	v_add_u32_e32 v6, v6, v74
	v_cndmask_b32_e64 v6, v6, v74, s[6:7]
	v_cndmask_b32_e64 v5, v5, v73, s[6:7]
	s_nop 0
	v_mov_b32_dpp v8, v6 row_shr:2 row_mask:0xf bank_mask:0xf
	v_mov_b32_dpp v7, v5 row_shr:2 row_mask:0xf bank_mask:0xf
	v_add_u32_e32 v7, v5, v7
	v_add_u32_e32 v8, v6, v8
	v_cndmask_b32_e64 v6, v6, v8, s[4:5]
	v_cndmask_b32_e64 v5, v5, v7, s[4:5]
	s_nop 0
	;; [unrolled: 7-line block ×3, first 2 shown]
	v_mov_b32_dpp v8, v6 row_shr:8 row_mask:0xf bank_mask:0xf
	v_mov_b32_dpp v7, v5 row_shr:8 row_mask:0xf bank_mask:0xf
	v_add_u32_e32 v7, v5, v7
	v_add_u32_e32 v8, v6, v8
	v_cndmask_b32_e64 v6, v6, v8, s[8:9]
	v_cndmask_b32_e64 v7, v5, v7, s[8:9]
	v_cmp_eq_u32_e64 s[8:9], 0, v71
	v_mov_b32_dpp v8, v6 row_bcast:15 row_mask:0xf bank_mask:0xf
	v_mov_b32_dpp v5, v7 row_bcast:15 row_mask:0xf bank_mask:0xf
	v_add_u32_e32 v9, v7, v5
	v_add_u32_e32 v5, v6, v8
	v_cndmask_b32_e64 v5, v5, v6, s[8:9]
	v_cndmask_b32_e64 v6, v9, v7, s[8:9]
	v_cmp_eq_u32_e64 s[8:9], v0, v70
	v_mov_b32_dpp v7, v5 row_bcast:31 row_mask:0xf bank_mask:0xf
	v_mov_b32_dpp v8, v6 row_bcast:31 row_mask:0xf bank_mask:0xf
	v_add_u32_e32 v7, v5, v7
	v_add_u32_e32 v8, v6, v8
	s_and_saveexec_b64 s[10:11], s[8:9]
; %bb.116:
	v_lshlrev_b32_e32 v11, 3, v69
	v_cndmask_b32_e32 v10, v5, v7, vcc
	v_cndmask_b32_e32 v9, v6, v8, vcc
	ds_write_b64 v11, v[9:10]
; %bb.117:
	s_or_b64 exec, exec, s[10:11]
	v_cmp_gt_u32_e64 s[8:9], 4, v0
	s_waitcnt lgkmcnt(0)
	s_barrier
	s_and_saveexec_b64 s[10:11], s[8:9]
	s_cbranch_execz .LBB254_119
; %bb.118:
	v_lshlrev_b32_e32 v11, 3, v0
	ds_read_b64 v[9:10], v11
	v_and_b32_e32 v12, 3, v68
	v_cmp_eq_u32_e64 s[8:9], 0, v12
	s_waitcnt lgkmcnt(0)
	v_mov_b32_dpp v25, v9 row_shr:1 row_mask:0xf bank_mask:0xf
	v_mov_b32_dpp v26, v10 row_shr:1 row_mask:0xf bank_mask:0xf
	v_add_u32_e32 v25, v25, v9
	v_add_u32_e32 v26, v26, v10
	v_cndmask_b32_e64 v10, v26, v10, s[8:9]
	v_cndmask_b32_e64 v9, v25, v9, s[8:9]
	v_cmp_lt_u32_e64 s[8:9], 1, v12
	v_mov_b32_dpp v26, v10 row_shr:2 row_mask:0xf bank_mask:0xf
	v_mov_b32_dpp v25, v9 row_shr:2 row_mask:0xf bank_mask:0xf
	v_cndmask_b32_e64 v12, 0, v25, s[8:9]
	v_cndmask_b32_e64 v25, 0, v26, s[8:9]
	v_add_u32_e32 v10, v25, v10
	v_add_u32_e32 v9, v12, v9
	ds_write_b64 v11, v[9:10]
.LBB254_119:
	s_or_b64 exec, exec, s[10:11]
	v_cndmask_b32_e32 v5, v5, v7, vcc
	v_cndmask_b32_e32 v6, v6, v8, vcc
	v_cmp_gt_u32_e32 vcc, 64, v0
	v_cmp_lt_u32_e64 s[8:9], 63, v0
	s_waitcnt lgkmcnt(0)
	s_barrier
                                        ; implicit-def: $vgpr25
	s_and_saveexec_b64 s[10:11], s[8:9]
	s_cbranch_execz .LBB254_121
; %bb.120:
	v_lshl_add_u32 v7, v69, 3, -8
	ds_read_b64 v[25:26], v7
	s_waitcnt lgkmcnt(0)
	v_add_u32_e32 v5, v26, v5
	v_add_u32_e32 v6, v25, v6
.LBB254_121:
	s_or_b64 exec, exec, s[10:11]
	v_subrev_co_u32_e64 v7, s[8:9], 1, v68
	v_and_b32_e32 v8, 64, v68
	v_cmp_lt_i32_e64 s[10:11], v7, v8
	v_cndmask_b32_e64 v7, v7, v68, s[10:11]
	v_lshlrev_b32_e32 v7, 2, v7
	ds_bpermute_b32 v75, v7, v6
	ds_bpermute_b32 v76, v7, v5
	s_and_saveexec_b64 s[10:11], vcc
	s_cbranch_execz .LBB254_141
; %bb.122:
	v_mov_b32_e32 v8, 0
	ds_read_b64 v[5:6], v8 offset:24
	s_and_saveexec_b64 s[12:13], s[8:9]
	s_cbranch_execz .LBB254_124
; %bb.123:
	s_add_i32 s14, s33, 64
	s_mov_b32 s15, 0
	s_lshl_b64 s[14:15], s[14:15], 4
	s_add_u32 s14, s54, s14
	s_addc_u32 s15, s55, s15
	v_mov_b32_e32 v9, s14
	v_mov_b32_e32 v7, 1
	;; [unrolled: 1-line block ×3, first 2 shown]
	s_waitcnt lgkmcnt(0)
	;;#ASMSTART
	global_store_dwordx4 v[9:10], v[5:8] off	
s_waitcnt vmcnt(0)
	;;#ASMEND
.LBB254_124:
	s_or_b64 exec, exec, s[12:13]
	v_xad_u32 v27, v68, -1, s33
	v_add_u32_e32 v7, 64, v27
	v_lshlrev_b64 v[9:10], 4, v[7:8]
	v_mov_b32_e32 v7, s55
	v_add_co_u32_e32 v28, vcc, s54, v9
	v_addc_co_u32_e32 v29, vcc, v7, v10, vcc
	;;#ASMSTART
	global_load_dwordx4 v[9:12], v[28:29] off glc	
s_waitcnt vmcnt(0)
	;;#ASMEND
	v_cmp_eq_u16_sdwa s[14:15], v11, v8 src0_sel:BYTE_0 src1_sel:DWORD
	s_and_saveexec_b64 s[12:13], s[14:15]
	s_cbranch_execz .LBB254_128
; %bb.125:
	s_mov_b64 s[14:15], 0
	v_mov_b32_e32 v7, 0
.LBB254_126:                            ; =>This Inner Loop Header: Depth=1
	;;#ASMSTART
	global_load_dwordx4 v[9:12], v[28:29] off glc	
s_waitcnt vmcnt(0)
	;;#ASMEND
	v_cmp_ne_u16_sdwa s[18:19], v11, v7 src0_sel:BYTE_0 src1_sel:DWORD
	s_or_b64 s[14:15], s[18:19], s[14:15]
	s_andn2_b64 exec, exec, s[14:15]
	s_cbranch_execnz .LBB254_126
; %bb.127:
	s_or_b64 exec, exec, s[14:15]
.LBB254_128:
	s_or_b64 exec, exec, s[12:13]
	v_and_b32_e32 v78, 63, v68
	v_cmp_ne_u32_e32 vcc, 63, v78
	v_mov_b32_e32 v77, 2
	v_lshlrev_b64 v[29:30], v68, -1
	v_addc_co_u32_e32 v12, vcc, 0, v68, vcc
	v_cmp_eq_u16_sdwa s[12:13], v11, v77 src0_sel:BYTE_0 src1_sel:DWORD
	v_lshlrev_b32_e32 v79, 2, v12
	v_and_b32_e32 v7, s13, v30
	ds_bpermute_b32 v12, v79, v9
	ds_bpermute_b32 v28, v79, v10
	v_or_b32_e32 v7, 0x80000000, v7
	v_and_b32_e32 v8, s12, v29
	v_ffbl_b32_e32 v7, v7
	v_add_u32_e32 v7, 32, v7
	v_ffbl_b32_e32 v8, v8
	v_min_u32_e32 v7, v8, v7
	s_waitcnt lgkmcnt(1)
	v_add_u32_e32 v8, v12, v9
	s_waitcnt lgkmcnt(0)
	v_add_u32_e32 v12, v28, v10
	v_cmp_lt_u32_e32 vcc, v78, v7
	v_cndmask_b32_e32 v10, v10, v12, vcc
	v_cndmask_b32_e32 v8, v9, v8, vcc
	v_cmp_gt_u32_e32 vcc, 62, v78
	v_cndmask_b32_e64 v9, 0, 2, vcc
	v_add_lshl_u32 v80, v9, v68, 2
	ds_bpermute_b32 v9, v80, v8
	ds_bpermute_b32 v12, v80, v10
	v_add_u32_e32 v81, 2, v78
	v_cmp_gt_u32_e32 vcc, v81, v7
	v_add_u32_e32 v83, 4, v78
	s_waitcnt lgkmcnt(1)
	v_add_u32_e32 v9, v8, v9
	s_waitcnt lgkmcnt(0)
	v_add_u32_e32 v12, v10, v12
	v_cndmask_b32_e32 v10, v12, v10, vcc
	v_cndmask_b32_e32 v8, v9, v8, vcc
	v_cmp_gt_u32_e32 vcc, 60, v78
	v_cndmask_b32_e64 v9, 0, 4, vcc
	v_add_lshl_u32 v82, v9, v68, 2
	ds_bpermute_b32 v9, v82, v8
	ds_bpermute_b32 v12, v82, v10
	v_cmp_gt_u32_e32 vcc, v83, v7
	v_add_u32_e32 v85, 8, v78
	v_add_u32_e32 v87, 16, v78
	s_waitcnt lgkmcnt(1)
	v_add_u32_e32 v9, v8, v9
	s_waitcnt lgkmcnt(0)
	v_add_u32_e32 v12, v10, v12
	v_cndmask_b32_e32 v10, v12, v10, vcc
	v_cndmask_b32_e32 v8, v9, v8, vcc
	v_cmp_gt_u32_e32 vcc, 56, v78
	v_cndmask_b32_e64 v9, 0, 8, vcc
	v_add_lshl_u32 v84, v9, v68, 2
	ds_bpermute_b32 v9, v84, v8
	ds_bpermute_b32 v12, v84, v10
	v_cmp_gt_u32_e32 vcc, v85, v7
	v_add_u32_e32 v89, 32, v78
	v_mov_b32_e32 v28, 0
	s_waitcnt lgkmcnt(1)
	v_add_u32_e32 v9, v8, v9
	s_waitcnt lgkmcnt(0)
	v_add_u32_e32 v12, v10, v12
	v_cndmask_b32_e32 v10, v12, v10, vcc
	v_cndmask_b32_e32 v8, v9, v8, vcc
	v_cmp_gt_u32_e32 vcc, 48, v78
	v_cndmask_b32_e64 v9, 0, 16, vcc
	v_add_lshl_u32 v86, v9, v68, 2
	ds_bpermute_b32 v9, v86, v8
	ds_bpermute_b32 v12, v86, v10
	v_cmp_gt_u32_e32 vcc, v87, v7
	s_waitcnt lgkmcnt(1)
	v_add_u32_e32 v9, v8, v9
	s_waitcnt lgkmcnt(0)
	v_add_u32_e32 v12, v10, v12
	v_cndmask_b32_e32 v8, v9, v8, vcc
	v_mov_b32_e32 v9, 0x80
	v_cndmask_b32_e32 v10, v12, v10, vcc
	v_lshl_or_b32 v88, v68, 2, v9
	ds_bpermute_b32 v9, v88, v8
	ds_bpermute_b32 v12, v88, v10
	v_cmp_le_u32_e32 vcc, v89, v7
	s_waitcnt lgkmcnt(1)
	v_cndmask_b32_e32 v7, 0, v9, vcc
	s_waitcnt lgkmcnt(0)
	v_cndmask_b32_e32 v9, 0, v12, vcc
	v_add_u32_e32 v10, v10, v9
	v_add_u32_e32 v9, v8, v7
	s_branch .LBB254_132
.LBB254_129:                            ;   in Loop: Header=BB254_132 Depth=1
	s_or_b64 exec, exec, s[14:15]
.LBB254_130:                            ;   in Loop: Header=BB254_132 Depth=1
	s_or_b64 exec, exec, s[12:13]
	v_cmp_eq_u16_sdwa s[12:13], v11, v77 src0_sel:BYTE_0 src1_sel:DWORD
	v_and_b32_e32 v12, s13, v30
	ds_bpermute_b32 v32, v79, v9
	ds_bpermute_b32 v90, v79, v10
	v_or_b32_e32 v12, 0x80000000, v12
	v_and_b32_e32 v31, s12, v29
	v_ffbl_b32_e32 v12, v12
	v_add_u32_e32 v12, 32, v12
	v_ffbl_b32_e32 v31, v31
	v_min_u32_e32 v12, v31, v12
	s_waitcnt lgkmcnt(1)
	v_add_u32_e32 v31, v32, v9
	s_waitcnt lgkmcnt(0)
	v_add_u32_e32 v32, v90, v10
	v_cmp_lt_u32_e32 vcc, v78, v12
	v_cndmask_b32_e32 v10, v10, v32, vcc
	v_cndmask_b32_e32 v9, v9, v31, vcc
	ds_bpermute_b32 v31, v80, v9
	ds_bpermute_b32 v32, v80, v10
	v_cmp_gt_u32_e32 vcc, v81, v12
	v_subrev_u32_e32 v27, 64, v27
	s_mov_b64 s[12:13], 0
	s_waitcnt lgkmcnt(1)
	v_add_u32_e32 v31, v9, v31
	s_waitcnt lgkmcnt(0)
	v_add_u32_e32 v32, v10, v32
	v_cndmask_b32_e32 v10, v32, v10, vcc
	v_cndmask_b32_e32 v9, v31, v9, vcc
	ds_bpermute_b32 v31, v82, v9
	ds_bpermute_b32 v32, v82, v10
	v_cmp_gt_u32_e32 vcc, v83, v12
	s_waitcnt lgkmcnt(1)
	v_add_u32_e32 v31, v9, v31
	s_waitcnt lgkmcnt(0)
	v_add_u32_e32 v32, v10, v32
	v_cndmask_b32_e32 v10, v32, v10, vcc
	v_cndmask_b32_e32 v9, v31, v9, vcc
	ds_bpermute_b32 v31, v84, v9
	ds_bpermute_b32 v32, v84, v10
	v_cmp_gt_u32_e32 vcc, v85, v12
	;; [unrolled: 9-line block ×3, first 2 shown]
	s_waitcnt lgkmcnt(1)
	v_add_u32_e32 v31, v9, v31
	s_waitcnt lgkmcnt(0)
	v_add_u32_e32 v32, v10, v32
	v_cndmask_b32_e32 v10, v32, v10, vcc
	v_cndmask_b32_e32 v9, v31, v9, vcc
	ds_bpermute_b32 v31, v88, v9
	ds_bpermute_b32 v32, v88, v10
	v_cmp_le_u32_e32 vcc, v89, v12
	s_waitcnt lgkmcnt(1)
	v_cndmask_b32_e32 v12, 0, v31, vcc
	s_waitcnt lgkmcnt(0)
	v_cndmask_b32_e32 v31, 0, v32, vcc
	v_add3_u32 v10, v31, v8, v10
	v_add3_u32 v9, v12, v7, v9
.LBB254_131:                            ;   in Loop: Header=BB254_132 Depth=1
	s_and_b64 vcc, exec, s[12:13]
	s_cbranch_vccnz .LBB254_137
.LBB254_132:                            ; =>This Loop Header: Depth=1
                                        ;     Child Loop BB254_135 Depth 2
	v_mov_b32_e32 v7, v9
	v_cmp_ne_u16_sdwa s[12:13], v11, v77 src0_sel:BYTE_0 src1_sel:DWORD
	v_mov_b32_e32 v8, v10
	s_cmp_lg_u64 s[12:13], exec
	s_mov_b64 s[12:13], -1
                                        ; implicit-def: $vgpr11
                                        ; implicit-def: $vgpr9_vgpr10
	s_cbranch_scc1 .LBB254_131
; %bb.133:                              ;   in Loop: Header=BB254_132 Depth=1
	v_lshlrev_b64 v[9:10], 4, v[27:28]
	v_mov_b32_e32 v11, s55
	v_add_co_u32_e32 v31, vcc, s54, v9
	v_addc_co_u32_e32 v32, vcc, v11, v10, vcc
	;;#ASMSTART
	global_load_dwordx4 v[9:12], v[31:32] off glc	
s_waitcnt vmcnt(0)
	;;#ASMEND
	v_cmp_eq_u16_sdwa s[14:15], v11, v28 src0_sel:BYTE_0 src1_sel:DWORD
	s_and_saveexec_b64 s[12:13], s[14:15]
	s_cbranch_execz .LBB254_130
; %bb.134:                              ;   in Loop: Header=BB254_132 Depth=1
	s_mov_b64 s[14:15], 0
.LBB254_135:                            ;   Parent Loop BB254_132 Depth=1
                                        ; =>  This Inner Loop Header: Depth=2
	;;#ASMSTART
	global_load_dwordx4 v[9:12], v[31:32] off glc	
s_waitcnt vmcnt(0)
	;;#ASMEND
	v_cmp_ne_u16_sdwa s[18:19], v11, v28 src0_sel:BYTE_0 src1_sel:DWORD
	s_or_b64 s[14:15], s[18:19], s[14:15]
	s_andn2_b64 exec, exec, s[14:15]
	s_cbranch_execnz .LBB254_135
	s_branch .LBB254_129
.LBB254_136:
                                        ; implicit-def: $vgpr12
                                        ; implicit-def: $vgpr7
                                        ; implicit-def: $vgpr25
	s_cbranch_execnz .LBB254_142
	s_branch .LBB254_151
.LBB254_137:
	s_and_saveexec_b64 s[12:13], s[8:9]
	s_cbranch_execnz .LBB254_379
; %bb.138:
	s_or_b64 exec, exec, s[12:13]
	s_and_saveexec_b64 s[12:13], s[8:9]
	s_cbranch_execnz .LBB254_380
.LBB254_139:
	s_or_b64 exec, exec, s[12:13]
	s_and_b64 exec, exec, s[0:1]
.LBB254_140:
	v_mov_b32_e32 v5, 0
	ds_write_b64 v5, v[7:8] offset:24
.LBB254_141:
	s_or_b64 exec, exec, s[10:11]
	v_mov_b32_e32 v5, 0
	s_waitcnt lgkmcnt(0)
	s_barrier
	ds_read_b64 v[9:10], v5 offset:24
	v_cndmask_b32_e64 v6, v75, v25, s[8:9]
	s_waitcnt lgkmcnt(0)
	s_barrier
	v_add_u32_e32 v25, v9, v6
	ds_read_b128 v[5:8], v5 offset:13312
	v_cndmask_b32_e64 v11, v76, v26, s[8:9]
	v_add_u32_e32 v11, v10, v11
	v_cndmask_b32_e64 v12, v11, v10, s[0:1]
	v_cndmask_b32_e64 v25, v25, v9, s[0:1]
	s_branch .LBB254_151
.LBB254_142:
	s_waitcnt lgkmcnt(0)
	v_mov_b32_dpp v5, v73 row_shr:1 row_mask:0xf bank_mask:0xf
	v_mov_b32_dpp v6, v74 row_shr:1 row_mask:0xf bank_mask:0xf
	v_add_u32_e32 v5, v5, v73
	v_add_u32_e32 v6, v6, v74
	v_cndmask_b32_e64 v6, v6, v74, s[6:7]
	v_cndmask_b32_e64 v5, v5, v73, s[6:7]
	v_cmp_lt_u32_e32 vcc, 3, v72
	v_mov_b32_dpp v8, v6 row_shr:2 row_mask:0xf bank_mask:0xf
	v_mov_b32_dpp v7, v5 row_shr:2 row_mask:0xf bank_mask:0xf
	v_add_u32_e32 v7, v5, v7
	v_add_u32_e32 v8, v6, v8
	v_cndmask_b32_e64 v6, v6, v8, s[4:5]
	v_cndmask_b32_e64 v5, v5, v7, s[4:5]
	v_cmp_eq_u32_e64 s[4:5], v0, v70
	v_mov_b32_dpp v8, v6 row_shr:4 row_mask:0xf bank_mask:0xf
	v_mov_b32_dpp v7, v5 row_shr:4 row_mask:0xf bank_mask:0xf
	v_add_u32_e32 v7, v5, v7
	v_add_u32_e32 v8, v6, v8
	v_cndmask_b32_e32 v6, v6, v8, vcc
	v_cndmask_b32_e32 v5, v5, v7, vcc
	v_cmp_lt_u32_e32 vcc, 7, v72
	v_mov_b32_dpp v8, v6 row_shr:8 row_mask:0xf bank_mask:0xf
	v_mov_b32_dpp v7, v5 row_shr:8 row_mask:0xf bank_mask:0xf
	v_add_u32_e32 v7, v5, v7
	v_add_u32_e32 v8, v6, v8
	v_cndmask_b32_e32 v6, v6, v8, vcc
	v_cndmask_b32_e32 v7, v5, v7, vcc
	v_cmp_eq_u32_e32 vcc, 0, v71
	v_mov_b32_dpp v8, v6 row_bcast:15 row_mask:0xf bank_mask:0xf
	v_mov_b32_dpp v5, v7 row_bcast:15 row_mask:0xf bank_mask:0xf
	v_add_u32_e32 v9, v7, v5
	v_add_u32_e32 v5, v6, v8
	v_cndmask_b32_e32 v5, v5, v6, vcc
	v_cndmask_b32_e32 v6, v9, v7, vcc
	v_cmp_lt_u32_e32 vcc, 31, v68
	v_mov_b32_dpp v7, v5 row_bcast:31 row_mask:0xf bank_mask:0xf
	v_mov_b32_dpp v8, v6 row_bcast:31 row_mask:0xf bank_mask:0xf
	v_add_u32_e32 v7, v5, v7
	v_add_u32_e32 v8, v6, v8
	s_and_saveexec_b64 s[6:7], s[4:5]
; %bb.143:
	v_cndmask_b32_e32 v9, v6, v8, vcc
	v_cndmask_b32_e32 v10, v5, v7, vcc
	v_lshlrev_b32_e32 v11, 3, v69
	ds_write_b64 v11, v[9:10]
; %bb.144:
	s_or_b64 exec, exec, s[6:7]
	v_cmp_gt_u32_e64 s[4:5], 4, v0
	s_waitcnt lgkmcnt(0)
	s_barrier
	s_and_saveexec_b64 s[6:7], s[4:5]
	s_cbranch_execz .LBB254_146
; %bb.145:
	v_lshlrev_b32_e32 v11, 3, v0
	ds_read_b64 v[9:10], v11
	v_and_b32_e32 v12, 3, v68
	v_cmp_eq_u32_e64 s[4:5], 0, v12
	s_waitcnt lgkmcnt(0)
	v_mov_b32_dpp v25, v9 row_shr:1 row_mask:0xf bank_mask:0xf
	v_mov_b32_dpp v26, v10 row_shr:1 row_mask:0xf bank_mask:0xf
	v_add_u32_e32 v25, v25, v9
	v_add_u32_e32 v26, v26, v10
	v_cndmask_b32_e64 v10, v26, v10, s[4:5]
	v_cndmask_b32_e64 v9, v25, v9, s[4:5]
	v_cmp_lt_u32_e64 s[4:5], 1, v12
	v_mov_b32_dpp v26, v10 row_shr:2 row_mask:0xf bank_mask:0xf
	v_mov_b32_dpp v25, v9 row_shr:2 row_mask:0xf bank_mask:0xf
	v_cndmask_b32_e64 v12, 0, v25, s[4:5]
	v_cndmask_b32_e64 v25, 0, v26, s[4:5]
	v_add_u32_e32 v10, v25, v10
	v_add_u32_e32 v9, v12, v9
	ds_write_b64 v11, v[9:10]
.LBB254_146:
	s_or_b64 exec, exec, s[6:7]
	v_cmp_lt_u32_e64 s[4:5], 63, v0
	v_mov_b32_e32 v11, 0
	v_mov_b32_e32 v9, 0
	;; [unrolled: 1-line block ×3, first 2 shown]
	s_waitcnt lgkmcnt(0)
	s_barrier
	s_and_saveexec_b64 s[6:7], s[4:5]
; %bb.147:
	v_lshl_add_u32 v9, v69, 3, -8
	ds_read_b64 v[9:10], v9
; %bb.148:
	s_or_b64 exec, exec, s[6:7]
	v_cndmask_b32_e32 v6, v6, v8, vcc
	v_cndmask_b32_e32 v5, v5, v7, vcc
	v_subrev_co_u32_e32 v7, vcc, 1, v68
	v_and_b32_e32 v8, 64, v68
	v_cmp_lt_i32_e64 s[4:5], v7, v8
	v_cndmask_b32_e64 v7, v7, v68, s[4:5]
	s_waitcnt lgkmcnt(0)
	v_add_u32_e32 v5, v10, v5
	v_add_u32_e32 v6, v9, v6
	v_lshlrev_b32_e32 v7, 2, v7
	ds_bpermute_b32 v12, v7, v6
	ds_bpermute_b32 v25, v7, v5
	ds_read_b64 v[5:6], v11 offset:24
	s_and_saveexec_b64 s[4:5], s[0:1]
	s_cbranch_execz .LBB254_150
; %bb.149:
	s_add_u32 s6, s54, 0x400
	s_addc_u32 s7, s55, 0
	v_mov_b32_e32 v27, s7
	v_mov_b32_e32 v7, 2
	;; [unrolled: 1-line block ×4, first 2 shown]
	s_waitcnt lgkmcnt(0)
	;;#ASMSTART
	global_store_dwordx4 v[26:27], v[5:8] off	
s_waitcnt vmcnt(0)
	;;#ASMEND
.LBB254_150:
	s_or_b64 exec, exec, s[4:5]
	s_waitcnt lgkmcnt(2)
	v_cndmask_b32_e32 v7, v12, v9, vcc
	s_waitcnt lgkmcnt(1)
	v_cndmask_b32_e32 v8, v25, v10, vcc
	v_cndmask_b32_e64 v12, v8, 0, s[0:1]
	v_cndmask_b32_e64 v25, v7, 0, s[0:1]
	v_mov_b32_e32 v8, 0
	v_mov_b32_e32 v7, 0
	s_waitcnt lgkmcnt(0)
	s_barrier
.LBB254_151:
	s_waitcnt lgkmcnt(0)
	v_add_co_u32_e32 v1, vcc, v1, v7
	v_addc_co_u32_e32 v2, vcc, 0, v2, vcc
	v_sub_co_u32_e32 v29, vcc, v3, v5
	v_add_u32_e32 v32, v12, v54
	v_subbrev_co_u32_e32 v30, vcc, 0, v4, vcc
	v_lshlrev_b32_e32 v72, 1, v5
	v_sub_u32_e32 v12, v12, v8
	v_lshrrev_b32_e32 v28, 8, v42
	v_add_u32_e32 v31, v25, v53
	v_add_co_u32_e32 v29, vcc, v29, v8
	v_add_u32_e32 v73, v72, v6
	v_sub_u32_e32 v25, v25, v7
	v_add_u32_e32 v12, v12, v5
	v_addc_co_u32_e32 v30, vcc, 0, v30, vcc
	v_add_u32_e32 v35, v73, v35
	v_and_b32_e32 v28, 1, v28
	v_add_u32_e32 v74, v25, v12
	v_and_b32_e32 v73, 1, v36
	v_sub_u32_e32 v74, v35, v74
	v_cmp_eq_u32_e32 vcc, 1, v28
	v_cndmask_b32_e32 v12, v74, v12, vcc
	v_cmp_eq_u32_e32 vcc, 1, v73
	v_cndmask_b32_e32 v12, v12, v25, vcc
	v_lshlrev_b32_e32 v12, 2, v12
	v_sub_u32_e32 v25, v32, v8
	v_lshrrev_b32_e32 v27, 8, v36
	ds_write_b32 v12, v23
	v_sub_u32_e32 v12, v31, v7
	v_add_u32_e32 v25, v25, v5
	v_add_u32_e32 v50, v31, v50
	v_and_b32_e32 v23, 1, v27
	v_mov_b32_e32 v27, 1
	v_add_u32_e32 v31, v25, v12
	v_and_b32_sdwa v28, v27, v42 dst_sel:DWORD dst_unused:UNUSED_PAD src0_sel:DWORD src1_sel:WORD_1
	v_sub_u32_e32 v31, v35, v31
	v_add_u32_e32 v31, 1, v31
	v_cmp_eq_u32_e32 vcc, 1, v28
	v_cndmask_b32_e32 v25, v31, v25, vcc
	v_cmp_eq_u32_e32 vcc, 1, v23
	v_cndmask_b32_e32 v12, v25, v12, vcc
	v_add_u32_e32 v53, v32, v62
	v_lshlrev_b32_e32 v12, 2, v12
	ds_write_b32 v12, v24
	v_sub_u32_e32 v24, v53, v8
	v_sub_u32_e32 v12, v50, v7
	v_add_u32_e32 v24, v24, v5
	v_add_u32_e32 v28, v24, v12
	v_and_b32_e32 v25, 1, v49
	v_sub_u32_e32 v28, v35, v28
	v_and_b32_sdwa v23, v27, v36 dst_sel:DWORD dst_unused:UNUSED_PAD src0_sel:DWORD src1_sel:WORD_1
	v_add_u32_e32 v28, 2, v28
	v_cmp_eq_u32_e32 vcc, 1, v25
	v_cndmask_b32_e32 v24, v28, v24, vcc
	v_cmp_eq_u32_e32 vcc, 1, v23
	v_add_u32_e32 v54, v50, v55
	v_add_u32_e32 v55, v53, v49
	v_cndmask_b32_e32 v12, v24, v12, vcc
	v_lshlrev_b32_e32 v12, 2, v12
	v_sub_u32_e32 v23, v55, v8
	ds_write_b32 v12, v21
	v_sub_u32_e32 v12, v54, v7
	v_add_u32_e32 v23, v23, v5
	v_add_u32_e32 v25, v12, v23
	v_and_b32_e32 v24, 1, v37
	v_sub_u32_e32 v25, v35, v25
	v_and_b32_e32 v21, 1, v48
	v_add_u32_e32 v25, 3, v25
	v_cmp_eq_u32_e32 vcc, 1, v24
	v_cndmask_b32_e32 v23, v25, v23, vcc
	v_cmp_eq_u32_e32 vcc, 1, v21
	v_cndmask_b32_e32 v12, v23, v12, vcc
	v_add_u32_e32 v62, v55, v63
	v_lshlrev_b32_e32 v12, 2, v12
	v_add_u32_e32 v63, v54, v48
	ds_write_b32 v12, v22
	v_sub_u32_e32 v22, v62, v8
	v_sub_u32_e32 v12, v63, v7
	v_add_u32_e32 v22, v22, v5
	v_lshrrev_b32_e32 v26, 8, v37
	v_add_u32_e32 v24, v12, v22
	v_and_b32_e32 v23, 1, v26
	v_sub_u32_e32 v24, v35, v24
	v_and_b32_e32 v21, 1, v38
	v_add_u32_e32 v24, 4, v24
	v_cmp_eq_u32_e32 vcc, 1, v23
	v_cndmask_b32_e32 v22, v24, v22, vcc
	v_cmp_eq_u32_e32 vcc, 1, v21
	v_cndmask_b32_e32 v12, v22, v12, vcc
	v_add_u32_e32 v57, v62, v57
	v_lshlrev_b32_e32 v12, 2, v12
	v_add_u32_e32 v56, v63, v56
	ds_write_b32 v12, v19
	v_sub_u32_e32 v19, v57, v8
	v_sub_u32_e32 v12, v56, v7
	v_add_u32_e32 v19, v19, v5
	v_add_u32_e32 v22, v12, v19
	v_lshrrev_b32_e32 v11, 8, v38
	v_and_b32_sdwa v21, v27, v37 dst_sel:DWORD dst_unused:UNUSED_PAD src0_sel:DWORD src1_sel:WORD_1
	v_sub_u32_e32 v22, v35, v22
	v_and_b32_e32 v11, 1, v11
	v_add_u32_e32 v22, 5, v22
	v_cmp_eq_u32_e32 vcc, 1, v21
	v_cndmask_b32_e32 v19, v22, v19, vcc
	v_cmp_eq_u32_e32 vcc, 1, v11
	v_add_u32_e32 v64, v57, v64
	v_cndmask_b32_e32 v11, v19, v12, vcc
	v_add_u32_e32 v51, v56, v51
	v_lshlrev_b32_e32 v11, 2, v11
	v_sub_u32_e32 v19, v64, v8
	ds_write_b32 v11, v20
	v_sub_u32_e32 v11, v51, v7
	v_add_u32_e32 v19, v19, v5
	v_add_u32_e32 v21, v11, v19
	v_and_b32_e32 v20, 1, v47
	v_sub_u32_e32 v21, v35, v21
	v_and_b32_sdwa v12, v27, v38 dst_sel:DWORD dst_unused:UNUSED_PAD src0_sel:DWORD src1_sel:WORD_1
	v_add_u32_e32 v21, 6, v21
	v_cmp_eq_u32_e32 vcc, 1, v20
	v_cndmask_b32_e32 v19, v21, v19, vcc
	v_cmp_eq_u32_e32 vcc, 1, v12
	v_cndmask_b32_e32 v11, v19, v11, vcc
	v_add_u32_e32 v68, v64, v47
	v_lshlrev_b32_e32 v11, 2, v11
	v_add_u32_e32 v58, v51, v58
	ds_write_b32 v11, v17
	v_sub_u32_e32 v17, v68, v8
	v_sub_u32_e32 v11, v58, v7
	v_add_u32_e32 v17, v17, v5
	v_add_u32_e32 v20, v11, v17
	v_and_b32_e32 v19, 1, v39
	v_sub_u32_e32 v20, v35, v20
	v_and_b32_e32 v12, 1, v46
	v_add_u32_e32 v20, 7, v20
	v_cmp_eq_u32_e32 vcc, 1, v19
	v_cndmask_b32_e32 v17, v20, v17, vcc
	v_cmp_eq_u32_e32 vcc, 1, v12
	v_add_u32_e32 v65, v68, v65
	v_cndmask_b32_e32 v11, v17, v11, vcc
	v_add_u32_e32 v69, v58, v46
	v_lshlrev_b32_e32 v11, 2, v11
	v_sub_u32_e32 v17, v65, v8
	ds_write_b32 v11, v18
	v_sub_u32_e32 v11, v69, v7
	v_add_u32_e32 v17, v17, v5
	v_lshrrev_b32_e32 v10, 8, v39
	v_add_u32_e32 v18, v11, v17
	v_and_b32_e32 v10, 1, v10
	v_sub_u32_e32 v18, v35, v18
	v_and_b32_e32 v12, 1, v41
	v_add_u32_e32 v18, 8, v18
	v_cmp_eq_u32_e32 vcc, 1, v10
	v_cndmask_b32_e32 v10, v18, v17, vcc
	v_cmp_eq_u32_e32 vcc, 1, v12
	v_add_u32_e32 v60, v65, v60
	v_cndmask_b32_e32 v10, v10, v11, vcc
	v_add_u32_e32 v59, v69, v59
	v_lshlrev_b32_e32 v10, 2, v10
	v_sub_u32_e32 v11, v60, v8
	ds_write_b32 v10, v15
	v_sub_u32_e32 v10, v59, v7
	v_add_u32_e32 v11, v11, v5
	v_add_u32_e32 v15, v10, v11
	v_lshrrev_b32_e32 v9, 8, v41
	v_and_b32_sdwa v12, v27, v39 dst_sel:DWORD dst_unused:UNUSED_PAD src0_sel:DWORD src1_sel:WORD_1
	v_sub_u32_e32 v15, v35, v15
	v_and_b32_e32 v9, 1, v9
	v_add_u32_e32 v15, 9, v15
	v_cmp_eq_u32_e32 vcc, 1, v12
	v_cndmask_b32_e32 v11, v15, v11, vcc
	v_cmp_eq_u32_e32 vcc, 1, v9
	v_add_u32_e32 v66, v60, v66
	v_cndmask_b32_e32 v9, v11, v10, vcc
	v_add_u32_e32 v52, v59, v52
	v_lshlrev_b32_e32 v9, 2, v9
	v_sub_u32_e32 v11, v66, v8
	ds_write_b32 v9, v16
	v_sub_u32_e32 v9, v52, v7
	v_add_u32_e32 v11, v11, v5
	v_add_u32_e32 v15, v9, v11
	v_and_b32_e32 v12, 1, v45
	v_sub_u32_e32 v15, v35, v15
	v_and_b32_sdwa v10, v27, v41 dst_sel:DWORD dst_unused:UNUSED_PAD src0_sel:DWORD src1_sel:WORD_1
	v_add_u32_e32 v15, 10, v15
	v_cmp_eq_u32_e32 vcc, 1, v12
	v_cndmask_b32_e32 v11, v15, v11, vcc
	v_cmp_eq_u32_e32 vcc, 1, v10
	v_add_u32_e32 v70, v66, v45
	v_cndmask_b32_e32 v9, v11, v9, vcc
	v_add_u32_e32 v61, v52, v61
	v_lshlrev_b32_e32 v9, 2, v9
	v_sub_u32_e32 v11, v70, v8
	ds_write_b32 v9, v13
	v_sub_u32_e32 v9, v61, v7
	v_add_u32_e32 v11, v11, v5
	v_add_u32_e32 v13, v9, v11
	v_and_b32_e32 v12, 1, v40
	v_sub_u32_e32 v13, v35, v13
	v_add_u32_e32 v67, v70, v67
	v_and_b32_e32 v10, 1, v44
	v_add_u32_e32 v13, 11, v13
	v_cmp_eq_u32_e32 vcc, 1, v12
	v_add_u32_e32 v71, v61, v44
	v_cndmask_b32_e32 v11, v13, v11, vcc
	v_cmp_eq_u32_e32 vcc, 1, v10
	v_sub_u32_e32 v10, v67, v8
	v_sub_u32_e32 v7, v71, v7
	v_add_u32_e32 v10, v10, v5
	v_cndmask_b32_e32 v9, v11, v9, vcc
	v_add_u32_e32 v12, v7, v10
	v_lshlrev_b32_e32 v9, 2, v9
	v_and_b32_e32 v11, 1, v43
	v_sub_u32_e32 v12, v35, v12
	ds_write_b32 v9, v14
	v_and_b32_e32 v9, 1, v42
	v_add_u32_e32 v12, 12, v12
	v_cmp_eq_u32_e32 vcc, 1, v11
	v_cndmask_b32_e32 v10, v12, v10, vcc
	v_cmp_eq_u32_e32 vcc, 1, v9
	v_cndmask_b32_e32 v7, v10, v7, vcc
	v_lshlrev_b32_e32 v7, 2, v7
	ds_write_b32 v7, v34
	v_mov_b32_e32 v7, s53
	v_add_co_u32_e32 v9, vcc, s52, v33
	v_addc_co_u32_e32 v10, vcc, 0, v7, vcc
	v_add_co_u32_e32 v7, vcc, v6, v72
	v_addc_co_u32_e64 v11, s[4:5], 0, 0, vcc
	v_add_co_u32_e32 v7, vcc, v7, v29
	v_addc_co_u32_e32 v11, vcc, v11, v30, vcc
	v_add_co_u32_e32 v7, vcc, v7, v1
	v_addc_co_u32_e32 v11, vcc, v11, v2, vcc
	v_sub_co_u32_e32 v7, vcc, v9, v7
	v_subb_co_u32_e32 v13, vcc, v10, v11, vcc
	v_lshlrev_b64 v[9:10], 2, v[29:30]
	v_mov_b32_e32 v11, s51
	v_add_co_u32_e32 v9, vcc, s50, v9
	v_addc_co_u32_e32 v10, vcc, v11, v10, vcc
	v_lshlrev_b64 v[11:12], 2, v[1:2]
	v_mov_b32_e32 v15, s49
	v_add_co_u32_e32 v11, vcc, s48, v11
	v_addc_co_u32_e32 v12, vcc, v15, v12, vcc
	v_add_u32_e32 v14, v5, v6
	s_and_b64 vcc, exec, s[2:3]
	s_mov_b64 s[2:3], -1
	s_waitcnt lgkmcnt(0)
	s_barrier
	s_cbranch_vccz .LBB254_155
; %bb.152:
	s_and_b64 vcc, exec, s[2:3]
	s_cbranch_vccnz .LBB254_260
.LBB254_153:
	s_and_b64 s[0:1], s[0:1], s[34:35]
	s_and_saveexec_b64 s[2:3], s[0:1]
	s_cbranch_execnz .LBB254_378
.LBB254_154:
	s_endpgm
.LBB254_155:
	v_cmp_ge_u32_e32 vcc, v0, v5
	s_and_saveexec_b64 s[2:3], vcc
	s_xor_b64 s[2:3], exec, s[2:3]
	s_cbranch_execz .LBB254_161
; %bb.156:
	v_cmp_ge_u32_e32 vcc, v0, v14
	s_and_saveexec_b64 s[4:5], vcc
	s_xor_b64 s[4:5], exec, s[4:5]
	s_cbranch_execz .LBB254_158
; %bb.157:
	v_add_co_u32_e32 v15, vcc, v7, v0
	v_lshlrev_b32_e32 v17, 2, v0
	v_addc_co_u32_e32 v16, vcc, 0, v13, vcc
	ds_read_b32 v17, v17
	v_lshlrev_b64 v[15:16], 2, v[15:16]
	v_mov_b32_e32 v18, s31
	v_sub_co_u32_e32 v15, vcc, s30, v15
	v_subb_co_u32_e32 v16, vcc, v18, v16, vcc
	s_waitcnt lgkmcnt(0)
	global_store_dword v[15:16], v17, off offset:-4
.LBB254_158:
	s_andn2_saveexec_b64 s[4:5], s[4:5]
	s_cbranch_execz .LBB254_160
; %bb.159:
	v_lshlrev_b32_e32 v15, 2, v0
	ds_read_b32 v16, v15
	v_readfirstlane_b32 s6, v9
	v_readfirstlane_b32 s7, v10
	s_waitcnt lgkmcnt(0)
	s_nop 3
	global_store_dword v15, v16, s[6:7]
.LBB254_160:
	s_or_b64 exec, exec, s[4:5]
.LBB254_161:
	s_andn2_saveexec_b64 s[2:3], s[2:3]
	s_cbranch_execz .LBB254_163
; %bb.162:
	v_lshlrev_b32_e32 v15, 2, v0
	ds_read_b32 v16, v15
	v_readfirstlane_b32 s4, v11
	v_readfirstlane_b32 s5, v12
	s_waitcnt lgkmcnt(0)
	s_nop 3
	global_store_dword v15, v16, s[4:5]
.LBB254_163:
	s_or_b64 exec, exec, s[2:3]
	v_or_b32_e32 v15, 0x100, v0
	v_cmp_ge_u32_e32 vcc, v15, v5
	s_and_saveexec_b64 s[2:3], vcc
	s_xor_b64 s[2:3], exec, s[2:3]
	s_cbranch_execz .LBB254_169
; %bb.164:
	v_cmp_ge_u32_e32 vcc, v15, v14
	s_and_saveexec_b64 s[4:5], vcc
	s_xor_b64 s[4:5], exec, s[4:5]
	s_cbranch_execz .LBB254_166
; %bb.165:
	v_lshlrev_b32_e32 v15, 2, v0
	ds_read_b32 v17, v15 offset:1024
	v_add_co_u32_e32 v15, vcc, v7, v0
	v_addc_co_u32_e32 v16, vcc, 0, v13, vcc
	v_lshlrev_b64 v[15:16], 2, v[15:16]
	v_mov_b32_e32 v18, s31
	v_sub_co_u32_e32 v15, vcc, s30, v15
	v_subb_co_u32_e32 v16, vcc, v18, v16, vcc
	s_waitcnt lgkmcnt(0)
	global_store_dword v[15:16], v17, off offset:-1028
.LBB254_166:
	s_andn2_saveexec_b64 s[4:5], s[4:5]
	s_cbranch_execz .LBB254_168
; %bb.167:
	v_lshlrev_b32_e32 v15, 2, v0
	ds_read_b32 v16, v15 offset:1024
	v_readfirstlane_b32 s6, v9
	v_readfirstlane_b32 s7, v10
	s_waitcnt lgkmcnt(0)
	s_nop 3
	global_store_dword v15, v16, s[6:7] offset:1024
.LBB254_168:
	s_or_b64 exec, exec, s[4:5]
.LBB254_169:
	s_andn2_saveexec_b64 s[2:3], s[2:3]
	s_cbranch_execz .LBB254_171
; %bb.170:
	v_lshlrev_b32_e32 v15, 2, v0
	ds_read_b32 v16, v15 offset:1024
	v_readfirstlane_b32 s4, v11
	v_readfirstlane_b32 s5, v12
	s_waitcnt lgkmcnt(0)
	s_nop 3
	global_store_dword v15, v16, s[4:5] offset:1024
.LBB254_171:
	s_or_b64 exec, exec, s[2:3]
	v_or_b32_e32 v15, 0x200, v0
	v_cmp_ge_u32_e32 vcc, v15, v5
	s_and_saveexec_b64 s[2:3], vcc
	s_xor_b64 s[2:3], exec, s[2:3]
	s_cbranch_execz .LBB254_177
; %bb.172:
	v_cmp_ge_u32_e32 vcc, v15, v14
	s_and_saveexec_b64 s[4:5], vcc
	s_xor_b64 s[4:5], exec, s[4:5]
	s_cbranch_execz .LBB254_174
; %bb.173:
	v_lshlrev_b32_e32 v15, 2, v0
	ds_read_b32 v17, v15 offset:2048
	v_add_co_u32_e32 v15, vcc, v7, v0
	v_addc_co_u32_e32 v16, vcc, 0, v13, vcc
	v_lshlrev_b64 v[15:16], 2, v[15:16]
	v_mov_b32_e32 v18, s31
	v_sub_co_u32_e32 v15, vcc, s30, v15
	v_subb_co_u32_e32 v16, vcc, v18, v16, vcc
	s_waitcnt lgkmcnt(0)
	global_store_dword v[15:16], v17, off offset:-2052
.LBB254_174:
	s_andn2_saveexec_b64 s[4:5], s[4:5]
	s_cbranch_execz .LBB254_176
; %bb.175:
	v_lshlrev_b32_e32 v15, 2, v0
	ds_read_b32 v16, v15 offset:2048
	v_readfirstlane_b32 s6, v9
	v_readfirstlane_b32 s7, v10
	s_waitcnt lgkmcnt(0)
	s_nop 3
	global_store_dword v15, v16, s[6:7] offset:2048
.LBB254_176:
	s_or_b64 exec, exec, s[4:5]
.LBB254_177:
	s_andn2_saveexec_b64 s[2:3], s[2:3]
	s_cbranch_execz .LBB254_179
; %bb.178:
	v_lshlrev_b32_e32 v15, 2, v0
	ds_read_b32 v16, v15 offset:2048
	v_readfirstlane_b32 s4, v11
	v_readfirstlane_b32 s5, v12
	s_waitcnt lgkmcnt(0)
	s_nop 3
	global_store_dword v15, v16, s[4:5] offset:2048
.LBB254_179:
	;; [unrolled: 47-line block ×3, first 2 shown]
	s_or_b64 exec, exec, s[2:3]
	v_or_b32_e32 v15, 0x400, v0
	v_cmp_ge_u32_e32 vcc, v15, v5
	s_and_saveexec_b64 s[2:3], vcc
	s_xor_b64 s[2:3], exec, s[2:3]
	s_cbranch_execz .LBB254_193
; %bb.188:
	v_cmp_ge_u32_e32 vcc, v15, v14
	s_and_saveexec_b64 s[4:5], vcc
	s_xor_b64 s[4:5], exec, s[4:5]
	s_cbranch_execz .LBB254_190
; %bb.189:
	v_lshlrev_b32_e32 v15, 2, v0
	ds_read_b32 v17, v15 offset:4096
	v_add_co_u32_e32 v15, vcc, v7, v0
	v_addc_co_u32_e32 v16, vcc, 0, v13, vcc
	v_lshlrev_b64 v[15:16], 2, v[15:16]
	v_mov_b32_e32 v18, s31
	v_sub_co_u32_e32 v15, vcc, s30, v15
	v_subb_co_u32_e32 v16, vcc, v18, v16, vcc
	v_add_co_u32_e32 v15, vcc, 0xfffff000, v15
	v_addc_co_u32_e32 v16, vcc, -1, v16, vcc
	s_waitcnt lgkmcnt(0)
	global_store_dword v[15:16], v17, off offset:-4
                                        ; implicit-def: $vgpr15
.LBB254_190:
	s_andn2_saveexec_b64 s[4:5], s[4:5]
	s_cbranch_execz .LBB254_192
; %bb.191:
	v_lshlrev_b32_e32 v16, 2, v0
	ds_read_b32 v16, v16 offset:4096
	v_lshlrev_b32_e32 v15, 2, v15
	v_readfirstlane_b32 s6, v9
	v_readfirstlane_b32 s7, v10
	s_waitcnt lgkmcnt(0)
	s_nop 3
	global_store_dword v15, v16, s[6:7]
.LBB254_192:
	s_or_b64 exec, exec, s[4:5]
                                        ; implicit-def: $vgpr15
.LBB254_193:
	s_andn2_saveexec_b64 s[2:3], s[2:3]
	s_cbranch_execz .LBB254_195
; %bb.194:
	v_lshlrev_b32_e32 v16, 2, v0
	ds_read_b32 v16, v16 offset:4096
	v_lshlrev_b32_e32 v15, 2, v15
	v_readfirstlane_b32 s4, v11
	v_readfirstlane_b32 s5, v12
	s_waitcnt lgkmcnt(0)
	s_nop 3
	global_store_dword v15, v16, s[4:5]
.LBB254_195:
	s_or_b64 exec, exec, s[2:3]
	v_or_b32_e32 v15, 0x500, v0
	v_cmp_ge_u32_e32 vcc, v15, v5
	s_and_saveexec_b64 s[2:3], vcc
	s_xor_b64 s[2:3], exec, s[2:3]
	s_cbranch_execz .LBB254_201
; %bb.196:
	v_cmp_ge_u32_e32 vcc, v15, v14
	s_and_saveexec_b64 s[4:5], vcc
	s_xor_b64 s[4:5], exec, s[4:5]
	s_cbranch_execz .LBB254_198
; %bb.197:
	v_add_co_u32_e32 v15, vcc, v7, v15
	v_lshlrev_b32_e32 v17, 2, v0
	v_addc_co_u32_e32 v16, vcc, 0, v13, vcc
	ds_read_b32 v17, v17 offset:5120
	v_lshlrev_b64 v[15:16], 2, v[15:16]
	v_mov_b32_e32 v18, s31
	v_sub_co_u32_e32 v15, vcc, s30, v15
	v_subb_co_u32_e32 v16, vcc, v18, v16, vcc
	s_waitcnt lgkmcnt(0)
	global_store_dword v[15:16], v17, off offset:-4
                                        ; implicit-def: $vgpr15
.LBB254_198:
	s_andn2_saveexec_b64 s[4:5], s[4:5]
	s_cbranch_execz .LBB254_200
; %bb.199:
	v_lshlrev_b32_e32 v16, 2, v0
	ds_read_b32 v16, v16 offset:5120
	v_lshlrev_b32_e32 v15, 2, v15
	v_readfirstlane_b32 s6, v9
	v_readfirstlane_b32 s7, v10
	s_waitcnt lgkmcnt(0)
	s_nop 3
	global_store_dword v15, v16, s[6:7]
.LBB254_200:
	s_or_b64 exec, exec, s[4:5]
                                        ; implicit-def: $vgpr15
.LBB254_201:
	s_andn2_saveexec_b64 s[2:3], s[2:3]
	s_cbranch_execz .LBB254_203
; %bb.202:
	v_lshlrev_b32_e32 v16, 2, v0
	ds_read_b32 v16, v16 offset:5120
	v_lshlrev_b32_e32 v15, 2, v15
	v_readfirstlane_b32 s4, v11
	v_readfirstlane_b32 s5, v12
	s_waitcnt lgkmcnt(0)
	s_nop 3
	global_store_dword v15, v16, s[4:5]
.LBB254_203:
	s_or_b64 exec, exec, s[2:3]
	v_or_b32_e32 v15, 0x600, v0
	v_cmp_ge_u32_e32 vcc, v15, v5
	s_and_saveexec_b64 s[2:3], vcc
	s_xor_b64 s[2:3], exec, s[2:3]
	s_cbranch_execz .LBB254_209
; %bb.204:
	v_cmp_ge_u32_e32 vcc, v15, v14
	s_and_saveexec_b64 s[4:5], vcc
	s_xor_b64 s[4:5], exec, s[4:5]
	s_cbranch_execz .LBB254_206
; %bb.205:
	v_add_co_u32_e32 v15, vcc, v7, v15
	v_lshlrev_b32_e32 v17, 2, v0
	v_addc_co_u32_e32 v16, vcc, 0, v13, vcc
	ds_read_b32 v17, v17 offset:6144
	v_lshlrev_b64 v[15:16], 2, v[15:16]
	v_mov_b32_e32 v18, s31
	v_sub_co_u32_e32 v15, vcc, s30, v15
	v_subb_co_u32_e32 v16, vcc, v18, v16, vcc
	s_waitcnt lgkmcnt(0)
	global_store_dword v[15:16], v17, off offset:-4
                                        ; implicit-def: $vgpr15
.LBB254_206:
	s_andn2_saveexec_b64 s[4:5], s[4:5]
	s_cbranch_execz .LBB254_208
; %bb.207:
	v_lshlrev_b32_e32 v16, 2, v0
	ds_read_b32 v16, v16 offset:6144
	v_lshlrev_b32_e32 v15, 2, v15
	v_readfirstlane_b32 s6, v9
	v_readfirstlane_b32 s7, v10
	s_waitcnt lgkmcnt(0)
	s_nop 3
	global_store_dword v15, v16, s[6:7]
.LBB254_208:
	s_or_b64 exec, exec, s[4:5]
                                        ; implicit-def: $vgpr15
.LBB254_209:
	;; [unrolled: 51-line block ×8, first 2 shown]
	s_andn2_saveexec_b64 s[2:3], s[2:3]
	s_cbranch_execz .LBB254_259
; %bb.258:
	v_lshlrev_b32_e32 v16, 2, v0
	ds_read_b32 v16, v16 offset:12288
	v_lshlrev_b32_e32 v15, 2, v15
	v_readfirstlane_b32 s4, v11
	v_readfirstlane_b32 s5, v12
	s_waitcnt lgkmcnt(0)
	s_nop 3
	global_store_dword v15, v16, s[4:5]
.LBB254_259:
	s_or_b64 exec, exec, s[2:3]
	s_branch .LBB254_153
.LBB254_260:
	v_cmp_gt_u32_e32 vcc, s16, v0
	s_and_saveexec_b64 s[2:3], vcc
	s_cbranch_execz .LBB254_269
; %bb.261:
	v_cmp_ge_u32_e32 vcc, v0, v5
	s_and_saveexec_b64 s[4:5], vcc
	s_xor_b64 s[4:5], exec, s[4:5]
	s_cbranch_execz .LBB254_267
; %bb.262:
	v_cmp_ge_u32_e32 vcc, v0, v14
	s_and_saveexec_b64 s[6:7], vcc
	s_xor_b64 s[6:7], exec, s[6:7]
	s_cbranch_execz .LBB254_264
; %bb.263:
	v_add_co_u32_e32 v15, vcc, v7, v0
	v_lshlrev_b32_e32 v17, 2, v0
	v_addc_co_u32_e32 v16, vcc, 0, v13, vcc
	ds_read_b32 v17, v17
	v_lshlrev_b64 v[15:16], 2, v[15:16]
	v_mov_b32_e32 v18, s31
	v_sub_co_u32_e32 v15, vcc, s30, v15
	v_subb_co_u32_e32 v16, vcc, v18, v16, vcc
	s_waitcnt lgkmcnt(0)
	global_store_dword v[15:16], v17, off offset:-4
.LBB254_264:
	s_andn2_saveexec_b64 s[6:7], s[6:7]
	s_cbranch_execz .LBB254_266
; %bb.265:
	v_lshlrev_b32_e32 v15, 2, v0
	ds_read_b32 v16, v15
	v_readfirstlane_b32 s8, v9
	v_readfirstlane_b32 s9, v10
	s_waitcnt lgkmcnt(0)
	s_nop 3
	global_store_dword v15, v16, s[8:9]
.LBB254_266:
	s_or_b64 exec, exec, s[6:7]
.LBB254_267:
	s_andn2_saveexec_b64 s[4:5], s[4:5]
	s_cbranch_execz .LBB254_269
; %bb.268:
	v_lshlrev_b32_e32 v15, 2, v0
	ds_read_b32 v16, v15
	v_readfirstlane_b32 s4, v11
	v_readfirstlane_b32 s5, v12
	s_waitcnt lgkmcnt(0)
	s_nop 3
	global_store_dword v15, v16, s[4:5]
.LBB254_269:
	s_or_b64 exec, exec, s[2:3]
	v_or_b32_e32 v15, 0x100, v0
	v_cmp_gt_u32_e32 vcc, s16, v15
	s_and_saveexec_b64 s[2:3], vcc
	s_cbranch_execz .LBB254_278
; %bb.270:
	v_cmp_ge_u32_e32 vcc, v15, v5
	s_and_saveexec_b64 s[4:5], vcc
	s_xor_b64 s[4:5], exec, s[4:5]
	s_cbranch_execz .LBB254_276
; %bb.271:
	v_cmp_ge_u32_e32 vcc, v15, v14
	s_and_saveexec_b64 s[6:7], vcc
	s_xor_b64 s[6:7], exec, s[6:7]
	s_cbranch_execz .LBB254_273
; %bb.272:
	v_lshlrev_b32_e32 v15, 2, v0
	ds_read_b32 v17, v15 offset:1024
	v_add_co_u32_e32 v15, vcc, v7, v0
	v_addc_co_u32_e32 v16, vcc, 0, v13, vcc
	v_lshlrev_b64 v[15:16], 2, v[15:16]
	v_mov_b32_e32 v18, s31
	v_sub_co_u32_e32 v15, vcc, s30, v15
	v_subb_co_u32_e32 v16, vcc, v18, v16, vcc
	s_waitcnt lgkmcnt(0)
	global_store_dword v[15:16], v17, off offset:-1028
.LBB254_273:
	s_andn2_saveexec_b64 s[6:7], s[6:7]
	s_cbranch_execz .LBB254_275
; %bb.274:
	v_lshlrev_b32_e32 v15, 2, v0
	ds_read_b32 v16, v15 offset:1024
	v_readfirstlane_b32 s8, v9
	v_readfirstlane_b32 s9, v10
	s_waitcnt lgkmcnt(0)
	s_nop 3
	global_store_dword v15, v16, s[8:9] offset:1024
.LBB254_275:
	s_or_b64 exec, exec, s[6:7]
.LBB254_276:
	s_andn2_saveexec_b64 s[4:5], s[4:5]
	s_cbranch_execz .LBB254_278
; %bb.277:
	v_lshlrev_b32_e32 v15, 2, v0
	ds_read_b32 v16, v15 offset:1024
	v_readfirstlane_b32 s4, v11
	v_readfirstlane_b32 s5, v12
	s_waitcnt lgkmcnt(0)
	s_nop 3
	global_store_dword v15, v16, s[4:5] offset:1024
.LBB254_278:
	s_or_b64 exec, exec, s[2:3]
	v_or_b32_e32 v15, 0x200, v0
	v_cmp_gt_u32_e32 vcc, s16, v15
	s_and_saveexec_b64 s[2:3], vcc
	s_cbranch_execz .LBB254_287
; %bb.279:
	v_cmp_ge_u32_e32 vcc, v15, v5
	s_and_saveexec_b64 s[4:5], vcc
	s_xor_b64 s[4:5], exec, s[4:5]
	s_cbranch_execz .LBB254_285
; %bb.280:
	v_cmp_ge_u32_e32 vcc, v15, v14
	s_and_saveexec_b64 s[6:7], vcc
	s_xor_b64 s[6:7], exec, s[6:7]
	s_cbranch_execz .LBB254_282
; %bb.281:
	v_lshlrev_b32_e32 v15, 2, v0
	ds_read_b32 v17, v15 offset:2048
	v_add_co_u32_e32 v15, vcc, v7, v0
	v_addc_co_u32_e32 v16, vcc, 0, v13, vcc
	v_lshlrev_b64 v[15:16], 2, v[15:16]
	v_mov_b32_e32 v18, s31
	v_sub_co_u32_e32 v15, vcc, s30, v15
	v_subb_co_u32_e32 v16, vcc, v18, v16, vcc
	s_waitcnt lgkmcnt(0)
	global_store_dword v[15:16], v17, off offset:-2052
.LBB254_282:
	s_andn2_saveexec_b64 s[6:7], s[6:7]
	s_cbranch_execz .LBB254_284
; %bb.283:
	v_lshlrev_b32_e32 v15, 2, v0
	ds_read_b32 v16, v15 offset:2048
	v_readfirstlane_b32 s8, v9
	v_readfirstlane_b32 s9, v10
	s_waitcnt lgkmcnt(0)
	s_nop 3
	global_store_dword v15, v16, s[8:9] offset:2048
.LBB254_284:
	s_or_b64 exec, exec, s[6:7]
.LBB254_285:
	s_andn2_saveexec_b64 s[4:5], s[4:5]
	s_cbranch_execz .LBB254_287
; %bb.286:
	v_lshlrev_b32_e32 v15, 2, v0
	ds_read_b32 v16, v15 offset:2048
	v_readfirstlane_b32 s4, v11
	v_readfirstlane_b32 s5, v12
	s_waitcnt lgkmcnt(0)
	s_nop 3
	global_store_dword v15, v16, s[4:5] offset:2048
.LBB254_287:
	;; [unrolled: 51-line block ×3, first 2 shown]
	s_or_b64 exec, exec, s[2:3]
	v_or_b32_e32 v15, 0x400, v0
	v_cmp_gt_u32_e32 vcc, s16, v15
	s_and_saveexec_b64 s[2:3], vcc
	s_cbranch_execz .LBB254_305
; %bb.297:
	v_cmp_ge_u32_e32 vcc, v15, v5
	s_and_saveexec_b64 s[4:5], vcc
	s_xor_b64 s[4:5], exec, s[4:5]
	s_cbranch_execz .LBB254_303
; %bb.298:
	v_cmp_ge_u32_e32 vcc, v15, v14
	s_and_saveexec_b64 s[6:7], vcc
	s_xor_b64 s[6:7], exec, s[6:7]
	s_cbranch_execz .LBB254_300
; %bb.299:
	v_lshlrev_b32_e32 v15, 2, v0
	ds_read_b32 v17, v15 offset:4096
	v_add_co_u32_e32 v15, vcc, v7, v0
	v_addc_co_u32_e32 v16, vcc, 0, v13, vcc
	v_lshlrev_b64 v[15:16], 2, v[15:16]
	v_mov_b32_e32 v18, s31
	v_sub_co_u32_e32 v15, vcc, s30, v15
	v_subb_co_u32_e32 v16, vcc, v18, v16, vcc
	v_add_co_u32_e32 v15, vcc, 0xfffff000, v15
	v_addc_co_u32_e32 v16, vcc, -1, v16, vcc
	s_waitcnt lgkmcnt(0)
	global_store_dword v[15:16], v17, off offset:-4
                                        ; implicit-def: $vgpr15
.LBB254_300:
	s_andn2_saveexec_b64 s[6:7], s[6:7]
	s_cbranch_execz .LBB254_302
; %bb.301:
	v_lshlrev_b32_e32 v16, 2, v0
	ds_read_b32 v16, v16 offset:4096
	v_lshlrev_b32_e32 v15, 2, v15
	v_readfirstlane_b32 s8, v9
	v_readfirstlane_b32 s9, v10
	s_waitcnt lgkmcnt(0)
	s_nop 3
	global_store_dword v15, v16, s[8:9]
.LBB254_302:
	s_or_b64 exec, exec, s[6:7]
                                        ; implicit-def: $vgpr15
.LBB254_303:
	s_andn2_saveexec_b64 s[4:5], s[4:5]
	s_cbranch_execz .LBB254_305
; %bb.304:
	v_lshlrev_b32_e32 v16, 2, v0
	ds_read_b32 v16, v16 offset:4096
	v_lshlrev_b32_e32 v15, 2, v15
	v_readfirstlane_b32 s4, v11
	v_readfirstlane_b32 s5, v12
	s_waitcnt lgkmcnt(0)
	s_nop 3
	global_store_dword v15, v16, s[4:5]
.LBB254_305:
	s_or_b64 exec, exec, s[2:3]
	v_or_b32_e32 v15, 0x500, v0
	v_cmp_gt_u32_e32 vcc, s16, v15
	s_and_saveexec_b64 s[2:3], vcc
	s_cbranch_execz .LBB254_314
; %bb.306:
	v_cmp_ge_u32_e32 vcc, v15, v5
	s_and_saveexec_b64 s[4:5], vcc
	s_xor_b64 s[4:5], exec, s[4:5]
	s_cbranch_execz .LBB254_312
; %bb.307:
	v_cmp_ge_u32_e32 vcc, v15, v14
	s_and_saveexec_b64 s[6:7], vcc
	s_xor_b64 s[6:7], exec, s[6:7]
	s_cbranch_execz .LBB254_309
; %bb.308:
	v_add_co_u32_e32 v15, vcc, v7, v15
	v_lshlrev_b32_e32 v17, 2, v0
	v_addc_co_u32_e32 v16, vcc, 0, v13, vcc
	ds_read_b32 v17, v17 offset:5120
	v_lshlrev_b64 v[15:16], 2, v[15:16]
	v_mov_b32_e32 v18, s31
	v_sub_co_u32_e32 v15, vcc, s30, v15
	v_subb_co_u32_e32 v16, vcc, v18, v16, vcc
	s_waitcnt lgkmcnt(0)
	global_store_dword v[15:16], v17, off offset:-4
                                        ; implicit-def: $vgpr15
.LBB254_309:
	s_andn2_saveexec_b64 s[6:7], s[6:7]
	s_cbranch_execz .LBB254_311
; %bb.310:
	v_lshlrev_b32_e32 v16, 2, v0
	ds_read_b32 v16, v16 offset:5120
	v_lshlrev_b32_e32 v15, 2, v15
	v_readfirstlane_b32 s8, v9
	v_readfirstlane_b32 s9, v10
	s_waitcnt lgkmcnt(0)
	s_nop 3
	global_store_dword v15, v16, s[8:9]
.LBB254_311:
	s_or_b64 exec, exec, s[6:7]
                                        ; implicit-def: $vgpr15
.LBB254_312:
	s_andn2_saveexec_b64 s[4:5], s[4:5]
	s_cbranch_execz .LBB254_314
; %bb.313:
	v_lshlrev_b32_e32 v16, 2, v0
	ds_read_b32 v16, v16 offset:5120
	v_lshlrev_b32_e32 v15, 2, v15
	v_readfirstlane_b32 s4, v11
	v_readfirstlane_b32 s5, v12
	s_waitcnt lgkmcnt(0)
	s_nop 3
	global_store_dword v15, v16, s[4:5]
.LBB254_314:
	s_or_b64 exec, exec, s[2:3]
	v_or_b32_e32 v15, 0x600, v0
	v_cmp_gt_u32_e32 vcc, s16, v15
	s_and_saveexec_b64 s[2:3], vcc
	s_cbranch_execz .LBB254_323
; %bb.315:
	v_cmp_ge_u32_e32 vcc, v15, v5
	s_and_saveexec_b64 s[4:5], vcc
	s_xor_b64 s[4:5], exec, s[4:5]
	s_cbranch_execz .LBB254_321
; %bb.316:
	v_cmp_ge_u32_e32 vcc, v15, v14
	s_and_saveexec_b64 s[6:7], vcc
	s_xor_b64 s[6:7], exec, s[6:7]
	s_cbranch_execz .LBB254_318
; %bb.317:
	v_add_co_u32_e32 v15, vcc, v7, v15
	v_lshlrev_b32_e32 v17, 2, v0
	v_addc_co_u32_e32 v16, vcc, 0, v13, vcc
	ds_read_b32 v17, v17 offset:6144
	v_lshlrev_b64 v[15:16], 2, v[15:16]
	v_mov_b32_e32 v18, s31
	v_sub_co_u32_e32 v15, vcc, s30, v15
	v_subb_co_u32_e32 v16, vcc, v18, v16, vcc
	s_waitcnt lgkmcnt(0)
	global_store_dword v[15:16], v17, off offset:-4
                                        ; implicit-def: $vgpr15
.LBB254_318:
	s_andn2_saveexec_b64 s[6:7], s[6:7]
	s_cbranch_execz .LBB254_320
; %bb.319:
	v_lshlrev_b32_e32 v16, 2, v0
	ds_read_b32 v16, v16 offset:6144
	v_lshlrev_b32_e32 v15, 2, v15
	v_readfirstlane_b32 s8, v9
	v_readfirstlane_b32 s9, v10
	s_waitcnt lgkmcnt(0)
	s_nop 3
	global_store_dword v15, v16, s[8:9]
.LBB254_320:
	s_or_b64 exec, exec, s[6:7]
                                        ; implicit-def: $vgpr15
.LBB254_321:
	s_andn2_saveexec_b64 s[4:5], s[4:5]
	s_cbranch_execz .LBB254_323
; %bb.322:
	v_lshlrev_b32_e32 v16, 2, v0
	ds_read_b32 v16, v16 offset:6144
	v_lshlrev_b32_e32 v15, 2, v15
	v_readfirstlane_b32 s4, v11
	v_readfirstlane_b32 s5, v12
	s_waitcnt lgkmcnt(0)
	s_nop 3
	global_store_dword v15, v16, s[4:5]
.LBB254_323:
	;; [unrolled: 55-line block ×7, first 2 shown]
	s_or_b64 exec, exec, s[2:3]
	v_or_b32_e32 v15, 0xc00, v0
	v_cmp_gt_u32_e32 vcc, s16, v15
	s_and_saveexec_b64 s[2:3], vcc
	s_cbranch_execz .LBB254_377
; %bb.369:
	v_cmp_ge_u32_e32 vcc, v15, v5
	s_and_saveexec_b64 s[4:5], vcc
	s_xor_b64 s[4:5], exec, s[4:5]
	s_cbranch_execz .LBB254_375
; %bb.370:
	v_cmp_ge_u32_e32 vcc, v15, v14
	s_and_saveexec_b64 s[6:7], vcc
	s_xor_b64 s[6:7], exec, s[6:7]
	s_cbranch_execz .LBB254_372
; %bb.371:
	v_add_co_u32_e32 v9, vcc, v7, v15
	v_lshlrev_b32_e32 v0, 2, v0
	v_addc_co_u32_e32 v10, vcc, 0, v13, vcc
	ds_read_b32 v0, v0 offset:12288
	v_lshlrev_b64 v[9:10], 2, v[9:10]
	v_mov_b32_e32 v7, s31
	v_sub_co_u32_e32 v9, vcc, s30, v9
	v_subb_co_u32_e32 v10, vcc, v7, v10, vcc
	s_waitcnt lgkmcnt(0)
	global_store_dword v[9:10], v0, off offset:-4
                                        ; implicit-def: $vgpr0
                                        ; implicit-def: $vgpr15
                                        ; implicit-def: $vgpr9_vgpr10
.LBB254_372:
	s_andn2_saveexec_b64 s[6:7], s[6:7]
	s_cbranch_execz .LBB254_374
; %bb.373:
	v_lshlrev_b32_e32 v0, 2, v0
	ds_read_b32 v0, v0 offset:12288
	v_lshlrev_b32_e32 v7, 2, v15
	v_readfirstlane_b32 s8, v9
	v_readfirstlane_b32 s9, v10
	s_waitcnt lgkmcnt(0)
	s_nop 3
	global_store_dword v7, v0, s[8:9]
.LBB254_374:
	s_or_b64 exec, exec, s[6:7]
                                        ; implicit-def: $vgpr0
                                        ; implicit-def: $vgpr15
                                        ; implicit-def: $vgpr11_vgpr12
.LBB254_375:
	s_andn2_saveexec_b64 s[4:5], s[4:5]
	s_cbranch_execz .LBB254_377
; %bb.376:
	v_lshlrev_b32_e32 v0, 2, v0
	ds_read_b32 v0, v0 offset:12288
	v_lshlrev_b32_e32 v7, 2, v15
	v_readfirstlane_b32 s4, v11
	v_readfirstlane_b32 s5, v12
	s_waitcnt lgkmcnt(0)
	s_nop 3
	global_store_dword v7, v0, s[4:5]
.LBB254_377:
	s_or_b64 exec, exec, s[2:3]
	s_and_b64 s[0:1], s[0:1], s[34:35]
	s_and_saveexec_b64 s[2:3], s[0:1]
	s_cbranch_execz .LBB254_154
.LBB254_378:
	v_add_co_u32_e32 v3, vcc, v3, v6
	v_addc_co_u32_e32 v4, vcc, 0, v4, vcc
	v_add_co_u32_e32 v3, vcc, v3, v8
	v_addc_co_u32_e32 v4, vcc, 0, v4, vcc
	v_add_co_u32_e32 v1, vcc, v1, v5
	v_mov_b32_e32 v0, 0
	v_addc_co_u32_e32 v2, vcc, 0, v2, vcc
	global_store_dwordx4 v0, v[1:4], s[44:45]
	s_endpgm
.LBB254_379:
	s_add_i32 s14, s33, 64
	s_mov_b32 s15, 0
	s_lshl_b64 s[14:15], s[14:15], 4
	s_add_u32 s14, s54, s14
	s_addc_u32 s15, s55, s15
	v_mov_b32_e32 v28, s15
	v_add_u32_e32 v10, v8, v6
	v_add_u32_e32 v9, v7, v5
	v_mov_b32_e32 v11, 2
	v_mov_b32_e32 v12, 0
	;; [unrolled: 1-line block ×3, first 2 shown]
	;;#ASMSTART
	global_store_dwordx4 v[27:28], v[9:12] off	
s_waitcnt vmcnt(0)
	;;#ASMEND
	s_or_b64 exec, exec, s[12:13]
	s_and_saveexec_b64 s[12:13], s[8:9]
	s_cbranch_execz .LBB254_139
.LBB254_380:
	v_mov_b32_e32 v9, 0
	ds_write_b128 v9, v[5:8] offset:13312
	s_or_b64 exec, exec, s[12:13]
	s_and_b64 exec, exec, s[0:1]
	s_cbranch_execnz .LBB254_140
	s_branch .LBB254_141
	.section	.rodata,"a",@progbits
	.p2align	6, 0x0
	.amdhsa_kernel _ZN7rocprim17ROCPRIM_400000_NS6detail17trampoline_kernelINS0_13select_configILj256ELj13ELNS0_17block_load_methodE3ELS4_3ELS4_3ELNS0_20block_scan_algorithmE0ELj4294967295EEENS1_25partition_config_selectorILNS1_17partition_subalgoE4EjNS0_10empty_typeEbEEZZNS1_14partition_implILS8_4ELb0ES6_15HIP_vector_typeIjLj2EENS0_17counting_iteratorIjlEEPS9_SG_NS0_5tupleIJPjSI_NS0_16reverse_iteratorISI_EEEEENSH_IJSG_SG_SG_EEES9_SI_JZNS1_25segmented_radix_sort_implINS0_14default_configELb1EPKaPaPKlPlN2at6native12_GLOBAL__N_18offset_tEEE10hipError_tPvRmT1_PNSt15iterator_traitsIS12_E10value_typeET2_T3_PNS13_IS18_E10value_typeET4_jRbjT5_S1E_jjP12ihipStream_tbEUljE_ZNSN_ISO_Lb1ESQ_SR_ST_SU_SY_EESZ_S10_S11_S12_S16_S17_S18_S1B_S1C_jS1D_jS1E_S1E_jjS1G_bEUljE0_EEESZ_S10_S11_S18_S1C_S1E_T6_T7_T9_mT8_S1G_bDpT10_ENKUlT_T0_E_clISt17integral_constantIbLb0EES1T_IbLb1EEEEDaS1P_S1Q_EUlS1P_E_NS1_11comp_targetILNS1_3genE2ELNS1_11target_archE906ELNS1_3gpuE6ELNS1_3repE0EEENS1_30default_config_static_selectorELNS0_4arch9wavefront6targetE1EEEvS12_
		.amdhsa_group_segment_fixed_size 13328
		.amdhsa_private_segment_fixed_size 0
		.amdhsa_kernarg_size 184
		.amdhsa_user_sgpr_count 6
		.amdhsa_user_sgpr_private_segment_buffer 1
		.amdhsa_user_sgpr_dispatch_ptr 0
		.amdhsa_user_sgpr_queue_ptr 0
		.amdhsa_user_sgpr_kernarg_segment_ptr 1
		.amdhsa_user_sgpr_dispatch_id 0
		.amdhsa_user_sgpr_flat_scratch_init 0
		.amdhsa_user_sgpr_private_segment_size 0
		.amdhsa_uses_dynamic_stack 0
		.amdhsa_system_sgpr_private_segment_wavefront_offset 0
		.amdhsa_system_sgpr_workgroup_id_x 1
		.amdhsa_system_sgpr_workgroup_id_y 0
		.amdhsa_system_sgpr_workgroup_id_z 0
		.amdhsa_system_sgpr_workgroup_info 0
		.amdhsa_system_vgpr_workitem_id 0
		.amdhsa_next_free_vgpr 91
		.amdhsa_next_free_sgpr 98
		.amdhsa_reserve_vcc 1
		.amdhsa_reserve_flat_scratch 0
		.amdhsa_float_round_mode_32 0
		.amdhsa_float_round_mode_16_64 0
		.amdhsa_float_denorm_mode_32 3
		.amdhsa_float_denorm_mode_16_64 3
		.amdhsa_dx10_clamp 1
		.amdhsa_ieee_mode 1
		.amdhsa_fp16_overflow 0
		.amdhsa_exception_fp_ieee_invalid_op 0
		.amdhsa_exception_fp_denorm_src 0
		.amdhsa_exception_fp_ieee_div_zero 0
		.amdhsa_exception_fp_ieee_overflow 0
		.amdhsa_exception_fp_ieee_underflow 0
		.amdhsa_exception_fp_ieee_inexact 0
		.amdhsa_exception_int_div_zero 0
	.end_amdhsa_kernel
	.section	.text._ZN7rocprim17ROCPRIM_400000_NS6detail17trampoline_kernelINS0_13select_configILj256ELj13ELNS0_17block_load_methodE3ELS4_3ELS4_3ELNS0_20block_scan_algorithmE0ELj4294967295EEENS1_25partition_config_selectorILNS1_17partition_subalgoE4EjNS0_10empty_typeEbEEZZNS1_14partition_implILS8_4ELb0ES6_15HIP_vector_typeIjLj2EENS0_17counting_iteratorIjlEEPS9_SG_NS0_5tupleIJPjSI_NS0_16reverse_iteratorISI_EEEEENSH_IJSG_SG_SG_EEES9_SI_JZNS1_25segmented_radix_sort_implINS0_14default_configELb1EPKaPaPKlPlN2at6native12_GLOBAL__N_18offset_tEEE10hipError_tPvRmT1_PNSt15iterator_traitsIS12_E10value_typeET2_T3_PNS13_IS18_E10value_typeET4_jRbjT5_S1E_jjP12ihipStream_tbEUljE_ZNSN_ISO_Lb1ESQ_SR_ST_SU_SY_EESZ_S10_S11_S12_S16_S17_S18_S1B_S1C_jS1D_jS1E_S1E_jjS1G_bEUljE0_EEESZ_S10_S11_S18_S1C_S1E_T6_T7_T9_mT8_S1G_bDpT10_ENKUlT_T0_E_clISt17integral_constantIbLb0EES1T_IbLb1EEEEDaS1P_S1Q_EUlS1P_E_NS1_11comp_targetILNS1_3genE2ELNS1_11target_archE906ELNS1_3gpuE6ELNS1_3repE0EEENS1_30default_config_static_selectorELNS0_4arch9wavefront6targetE1EEEvS12_,"axG",@progbits,_ZN7rocprim17ROCPRIM_400000_NS6detail17trampoline_kernelINS0_13select_configILj256ELj13ELNS0_17block_load_methodE3ELS4_3ELS4_3ELNS0_20block_scan_algorithmE0ELj4294967295EEENS1_25partition_config_selectorILNS1_17partition_subalgoE4EjNS0_10empty_typeEbEEZZNS1_14partition_implILS8_4ELb0ES6_15HIP_vector_typeIjLj2EENS0_17counting_iteratorIjlEEPS9_SG_NS0_5tupleIJPjSI_NS0_16reverse_iteratorISI_EEEEENSH_IJSG_SG_SG_EEES9_SI_JZNS1_25segmented_radix_sort_implINS0_14default_configELb1EPKaPaPKlPlN2at6native12_GLOBAL__N_18offset_tEEE10hipError_tPvRmT1_PNSt15iterator_traitsIS12_E10value_typeET2_T3_PNS13_IS18_E10value_typeET4_jRbjT5_S1E_jjP12ihipStream_tbEUljE_ZNSN_ISO_Lb1ESQ_SR_ST_SU_SY_EESZ_S10_S11_S12_S16_S17_S18_S1B_S1C_jS1D_jS1E_S1E_jjS1G_bEUljE0_EEESZ_S10_S11_S18_S1C_S1E_T6_T7_T9_mT8_S1G_bDpT10_ENKUlT_T0_E_clISt17integral_constantIbLb0EES1T_IbLb1EEEEDaS1P_S1Q_EUlS1P_E_NS1_11comp_targetILNS1_3genE2ELNS1_11target_archE906ELNS1_3gpuE6ELNS1_3repE0EEENS1_30default_config_static_selectorELNS0_4arch9wavefront6targetE1EEEvS12_,comdat
.Lfunc_end254:
	.size	_ZN7rocprim17ROCPRIM_400000_NS6detail17trampoline_kernelINS0_13select_configILj256ELj13ELNS0_17block_load_methodE3ELS4_3ELS4_3ELNS0_20block_scan_algorithmE0ELj4294967295EEENS1_25partition_config_selectorILNS1_17partition_subalgoE4EjNS0_10empty_typeEbEEZZNS1_14partition_implILS8_4ELb0ES6_15HIP_vector_typeIjLj2EENS0_17counting_iteratorIjlEEPS9_SG_NS0_5tupleIJPjSI_NS0_16reverse_iteratorISI_EEEEENSH_IJSG_SG_SG_EEES9_SI_JZNS1_25segmented_radix_sort_implINS0_14default_configELb1EPKaPaPKlPlN2at6native12_GLOBAL__N_18offset_tEEE10hipError_tPvRmT1_PNSt15iterator_traitsIS12_E10value_typeET2_T3_PNS13_IS18_E10value_typeET4_jRbjT5_S1E_jjP12ihipStream_tbEUljE_ZNSN_ISO_Lb1ESQ_SR_ST_SU_SY_EESZ_S10_S11_S12_S16_S17_S18_S1B_S1C_jS1D_jS1E_S1E_jjS1G_bEUljE0_EEESZ_S10_S11_S18_S1C_S1E_T6_T7_T9_mT8_S1G_bDpT10_ENKUlT_T0_E_clISt17integral_constantIbLb0EES1T_IbLb1EEEEDaS1P_S1Q_EUlS1P_E_NS1_11comp_targetILNS1_3genE2ELNS1_11target_archE906ELNS1_3gpuE6ELNS1_3repE0EEENS1_30default_config_static_selectorELNS0_4arch9wavefront6targetE1EEEvS12_, .Lfunc_end254-_ZN7rocprim17ROCPRIM_400000_NS6detail17trampoline_kernelINS0_13select_configILj256ELj13ELNS0_17block_load_methodE3ELS4_3ELS4_3ELNS0_20block_scan_algorithmE0ELj4294967295EEENS1_25partition_config_selectorILNS1_17partition_subalgoE4EjNS0_10empty_typeEbEEZZNS1_14partition_implILS8_4ELb0ES6_15HIP_vector_typeIjLj2EENS0_17counting_iteratorIjlEEPS9_SG_NS0_5tupleIJPjSI_NS0_16reverse_iteratorISI_EEEEENSH_IJSG_SG_SG_EEES9_SI_JZNS1_25segmented_radix_sort_implINS0_14default_configELb1EPKaPaPKlPlN2at6native12_GLOBAL__N_18offset_tEEE10hipError_tPvRmT1_PNSt15iterator_traitsIS12_E10value_typeET2_T3_PNS13_IS18_E10value_typeET4_jRbjT5_S1E_jjP12ihipStream_tbEUljE_ZNSN_ISO_Lb1ESQ_SR_ST_SU_SY_EESZ_S10_S11_S12_S16_S17_S18_S1B_S1C_jS1D_jS1E_S1E_jjS1G_bEUljE0_EEESZ_S10_S11_S18_S1C_S1E_T6_T7_T9_mT8_S1G_bDpT10_ENKUlT_T0_E_clISt17integral_constantIbLb0EES1T_IbLb1EEEEDaS1P_S1Q_EUlS1P_E_NS1_11comp_targetILNS1_3genE2ELNS1_11target_archE906ELNS1_3gpuE6ELNS1_3repE0EEENS1_30default_config_static_selectorELNS0_4arch9wavefront6targetE1EEEvS12_
                                        ; -- End function
	.set _ZN7rocprim17ROCPRIM_400000_NS6detail17trampoline_kernelINS0_13select_configILj256ELj13ELNS0_17block_load_methodE3ELS4_3ELS4_3ELNS0_20block_scan_algorithmE0ELj4294967295EEENS1_25partition_config_selectorILNS1_17partition_subalgoE4EjNS0_10empty_typeEbEEZZNS1_14partition_implILS8_4ELb0ES6_15HIP_vector_typeIjLj2EENS0_17counting_iteratorIjlEEPS9_SG_NS0_5tupleIJPjSI_NS0_16reverse_iteratorISI_EEEEENSH_IJSG_SG_SG_EEES9_SI_JZNS1_25segmented_radix_sort_implINS0_14default_configELb1EPKaPaPKlPlN2at6native12_GLOBAL__N_18offset_tEEE10hipError_tPvRmT1_PNSt15iterator_traitsIS12_E10value_typeET2_T3_PNS13_IS18_E10value_typeET4_jRbjT5_S1E_jjP12ihipStream_tbEUljE_ZNSN_ISO_Lb1ESQ_SR_ST_SU_SY_EESZ_S10_S11_S12_S16_S17_S18_S1B_S1C_jS1D_jS1E_S1E_jjS1G_bEUljE0_EEESZ_S10_S11_S18_S1C_S1E_T6_T7_T9_mT8_S1G_bDpT10_ENKUlT_T0_E_clISt17integral_constantIbLb0EES1T_IbLb1EEEEDaS1P_S1Q_EUlS1P_E_NS1_11comp_targetILNS1_3genE2ELNS1_11target_archE906ELNS1_3gpuE6ELNS1_3repE0EEENS1_30default_config_static_selectorELNS0_4arch9wavefront6targetE1EEEvS12_.num_vgpr, 91
	.set _ZN7rocprim17ROCPRIM_400000_NS6detail17trampoline_kernelINS0_13select_configILj256ELj13ELNS0_17block_load_methodE3ELS4_3ELS4_3ELNS0_20block_scan_algorithmE0ELj4294967295EEENS1_25partition_config_selectorILNS1_17partition_subalgoE4EjNS0_10empty_typeEbEEZZNS1_14partition_implILS8_4ELb0ES6_15HIP_vector_typeIjLj2EENS0_17counting_iteratorIjlEEPS9_SG_NS0_5tupleIJPjSI_NS0_16reverse_iteratorISI_EEEEENSH_IJSG_SG_SG_EEES9_SI_JZNS1_25segmented_radix_sort_implINS0_14default_configELb1EPKaPaPKlPlN2at6native12_GLOBAL__N_18offset_tEEE10hipError_tPvRmT1_PNSt15iterator_traitsIS12_E10value_typeET2_T3_PNS13_IS18_E10value_typeET4_jRbjT5_S1E_jjP12ihipStream_tbEUljE_ZNSN_ISO_Lb1ESQ_SR_ST_SU_SY_EESZ_S10_S11_S12_S16_S17_S18_S1B_S1C_jS1D_jS1E_S1E_jjS1G_bEUljE0_EEESZ_S10_S11_S18_S1C_S1E_T6_T7_T9_mT8_S1G_bDpT10_ENKUlT_T0_E_clISt17integral_constantIbLb0EES1T_IbLb1EEEEDaS1P_S1Q_EUlS1P_E_NS1_11comp_targetILNS1_3genE2ELNS1_11target_archE906ELNS1_3gpuE6ELNS1_3repE0EEENS1_30default_config_static_selectorELNS0_4arch9wavefront6targetE1EEEvS12_.num_agpr, 0
	.set _ZN7rocprim17ROCPRIM_400000_NS6detail17trampoline_kernelINS0_13select_configILj256ELj13ELNS0_17block_load_methodE3ELS4_3ELS4_3ELNS0_20block_scan_algorithmE0ELj4294967295EEENS1_25partition_config_selectorILNS1_17partition_subalgoE4EjNS0_10empty_typeEbEEZZNS1_14partition_implILS8_4ELb0ES6_15HIP_vector_typeIjLj2EENS0_17counting_iteratorIjlEEPS9_SG_NS0_5tupleIJPjSI_NS0_16reverse_iteratorISI_EEEEENSH_IJSG_SG_SG_EEES9_SI_JZNS1_25segmented_radix_sort_implINS0_14default_configELb1EPKaPaPKlPlN2at6native12_GLOBAL__N_18offset_tEEE10hipError_tPvRmT1_PNSt15iterator_traitsIS12_E10value_typeET2_T3_PNS13_IS18_E10value_typeET4_jRbjT5_S1E_jjP12ihipStream_tbEUljE_ZNSN_ISO_Lb1ESQ_SR_ST_SU_SY_EESZ_S10_S11_S12_S16_S17_S18_S1B_S1C_jS1D_jS1E_S1E_jjS1G_bEUljE0_EEESZ_S10_S11_S18_S1C_S1E_T6_T7_T9_mT8_S1G_bDpT10_ENKUlT_T0_E_clISt17integral_constantIbLb0EES1T_IbLb1EEEEDaS1P_S1Q_EUlS1P_E_NS1_11comp_targetILNS1_3genE2ELNS1_11target_archE906ELNS1_3gpuE6ELNS1_3repE0EEENS1_30default_config_static_selectorELNS0_4arch9wavefront6targetE1EEEvS12_.numbered_sgpr, 87
	.set _ZN7rocprim17ROCPRIM_400000_NS6detail17trampoline_kernelINS0_13select_configILj256ELj13ELNS0_17block_load_methodE3ELS4_3ELS4_3ELNS0_20block_scan_algorithmE0ELj4294967295EEENS1_25partition_config_selectorILNS1_17partition_subalgoE4EjNS0_10empty_typeEbEEZZNS1_14partition_implILS8_4ELb0ES6_15HIP_vector_typeIjLj2EENS0_17counting_iteratorIjlEEPS9_SG_NS0_5tupleIJPjSI_NS0_16reverse_iteratorISI_EEEEENSH_IJSG_SG_SG_EEES9_SI_JZNS1_25segmented_radix_sort_implINS0_14default_configELb1EPKaPaPKlPlN2at6native12_GLOBAL__N_18offset_tEEE10hipError_tPvRmT1_PNSt15iterator_traitsIS12_E10value_typeET2_T3_PNS13_IS18_E10value_typeET4_jRbjT5_S1E_jjP12ihipStream_tbEUljE_ZNSN_ISO_Lb1ESQ_SR_ST_SU_SY_EESZ_S10_S11_S12_S16_S17_S18_S1B_S1C_jS1D_jS1E_S1E_jjS1G_bEUljE0_EEESZ_S10_S11_S18_S1C_S1E_T6_T7_T9_mT8_S1G_bDpT10_ENKUlT_T0_E_clISt17integral_constantIbLb0EES1T_IbLb1EEEEDaS1P_S1Q_EUlS1P_E_NS1_11comp_targetILNS1_3genE2ELNS1_11target_archE906ELNS1_3gpuE6ELNS1_3repE0EEENS1_30default_config_static_selectorELNS0_4arch9wavefront6targetE1EEEvS12_.num_named_barrier, 0
	.set _ZN7rocprim17ROCPRIM_400000_NS6detail17trampoline_kernelINS0_13select_configILj256ELj13ELNS0_17block_load_methodE3ELS4_3ELS4_3ELNS0_20block_scan_algorithmE0ELj4294967295EEENS1_25partition_config_selectorILNS1_17partition_subalgoE4EjNS0_10empty_typeEbEEZZNS1_14partition_implILS8_4ELb0ES6_15HIP_vector_typeIjLj2EENS0_17counting_iteratorIjlEEPS9_SG_NS0_5tupleIJPjSI_NS0_16reverse_iteratorISI_EEEEENSH_IJSG_SG_SG_EEES9_SI_JZNS1_25segmented_radix_sort_implINS0_14default_configELb1EPKaPaPKlPlN2at6native12_GLOBAL__N_18offset_tEEE10hipError_tPvRmT1_PNSt15iterator_traitsIS12_E10value_typeET2_T3_PNS13_IS18_E10value_typeET4_jRbjT5_S1E_jjP12ihipStream_tbEUljE_ZNSN_ISO_Lb1ESQ_SR_ST_SU_SY_EESZ_S10_S11_S12_S16_S17_S18_S1B_S1C_jS1D_jS1E_S1E_jjS1G_bEUljE0_EEESZ_S10_S11_S18_S1C_S1E_T6_T7_T9_mT8_S1G_bDpT10_ENKUlT_T0_E_clISt17integral_constantIbLb0EES1T_IbLb1EEEEDaS1P_S1Q_EUlS1P_E_NS1_11comp_targetILNS1_3genE2ELNS1_11target_archE906ELNS1_3gpuE6ELNS1_3repE0EEENS1_30default_config_static_selectorELNS0_4arch9wavefront6targetE1EEEvS12_.private_seg_size, 0
	.set _ZN7rocprim17ROCPRIM_400000_NS6detail17trampoline_kernelINS0_13select_configILj256ELj13ELNS0_17block_load_methodE3ELS4_3ELS4_3ELNS0_20block_scan_algorithmE0ELj4294967295EEENS1_25partition_config_selectorILNS1_17partition_subalgoE4EjNS0_10empty_typeEbEEZZNS1_14partition_implILS8_4ELb0ES6_15HIP_vector_typeIjLj2EENS0_17counting_iteratorIjlEEPS9_SG_NS0_5tupleIJPjSI_NS0_16reverse_iteratorISI_EEEEENSH_IJSG_SG_SG_EEES9_SI_JZNS1_25segmented_radix_sort_implINS0_14default_configELb1EPKaPaPKlPlN2at6native12_GLOBAL__N_18offset_tEEE10hipError_tPvRmT1_PNSt15iterator_traitsIS12_E10value_typeET2_T3_PNS13_IS18_E10value_typeET4_jRbjT5_S1E_jjP12ihipStream_tbEUljE_ZNSN_ISO_Lb1ESQ_SR_ST_SU_SY_EESZ_S10_S11_S12_S16_S17_S18_S1B_S1C_jS1D_jS1E_S1E_jjS1G_bEUljE0_EEESZ_S10_S11_S18_S1C_S1E_T6_T7_T9_mT8_S1G_bDpT10_ENKUlT_T0_E_clISt17integral_constantIbLb0EES1T_IbLb1EEEEDaS1P_S1Q_EUlS1P_E_NS1_11comp_targetILNS1_3genE2ELNS1_11target_archE906ELNS1_3gpuE6ELNS1_3repE0EEENS1_30default_config_static_selectorELNS0_4arch9wavefront6targetE1EEEvS12_.uses_vcc, 1
	.set _ZN7rocprim17ROCPRIM_400000_NS6detail17trampoline_kernelINS0_13select_configILj256ELj13ELNS0_17block_load_methodE3ELS4_3ELS4_3ELNS0_20block_scan_algorithmE0ELj4294967295EEENS1_25partition_config_selectorILNS1_17partition_subalgoE4EjNS0_10empty_typeEbEEZZNS1_14partition_implILS8_4ELb0ES6_15HIP_vector_typeIjLj2EENS0_17counting_iteratorIjlEEPS9_SG_NS0_5tupleIJPjSI_NS0_16reverse_iteratorISI_EEEEENSH_IJSG_SG_SG_EEES9_SI_JZNS1_25segmented_radix_sort_implINS0_14default_configELb1EPKaPaPKlPlN2at6native12_GLOBAL__N_18offset_tEEE10hipError_tPvRmT1_PNSt15iterator_traitsIS12_E10value_typeET2_T3_PNS13_IS18_E10value_typeET4_jRbjT5_S1E_jjP12ihipStream_tbEUljE_ZNSN_ISO_Lb1ESQ_SR_ST_SU_SY_EESZ_S10_S11_S12_S16_S17_S18_S1B_S1C_jS1D_jS1E_S1E_jjS1G_bEUljE0_EEESZ_S10_S11_S18_S1C_S1E_T6_T7_T9_mT8_S1G_bDpT10_ENKUlT_T0_E_clISt17integral_constantIbLb0EES1T_IbLb1EEEEDaS1P_S1Q_EUlS1P_E_NS1_11comp_targetILNS1_3genE2ELNS1_11target_archE906ELNS1_3gpuE6ELNS1_3repE0EEENS1_30default_config_static_selectorELNS0_4arch9wavefront6targetE1EEEvS12_.uses_flat_scratch, 0
	.set _ZN7rocprim17ROCPRIM_400000_NS6detail17trampoline_kernelINS0_13select_configILj256ELj13ELNS0_17block_load_methodE3ELS4_3ELS4_3ELNS0_20block_scan_algorithmE0ELj4294967295EEENS1_25partition_config_selectorILNS1_17partition_subalgoE4EjNS0_10empty_typeEbEEZZNS1_14partition_implILS8_4ELb0ES6_15HIP_vector_typeIjLj2EENS0_17counting_iteratorIjlEEPS9_SG_NS0_5tupleIJPjSI_NS0_16reverse_iteratorISI_EEEEENSH_IJSG_SG_SG_EEES9_SI_JZNS1_25segmented_radix_sort_implINS0_14default_configELb1EPKaPaPKlPlN2at6native12_GLOBAL__N_18offset_tEEE10hipError_tPvRmT1_PNSt15iterator_traitsIS12_E10value_typeET2_T3_PNS13_IS18_E10value_typeET4_jRbjT5_S1E_jjP12ihipStream_tbEUljE_ZNSN_ISO_Lb1ESQ_SR_ST_SU_SY_EESZ_S10_S11_S12_S16_S17_S18_S1B_S1C_jS1D_jS1E_S1E_jjS1G_bEUljE0_EEESZ_S10_S11_S18_S1C_S1E_T6_T7_T9_mT8_S1G_bDpT10_ENKUlT_T0_E_clISt17integral_constantIbLb0EES1T_IbLb1EEEEDaS1P_S1Q_EUlS1P_E_NS1_11comp_targetILNS1_3genE2ELNS1_11target_archE906ELNS1_3gpuE6ELNS1_3repE0EEENS1_30default_config_static_selectorELNS0_4arch9wavefront6targetE1EEEvS12_.has_dyn_sized_stack, 0
	.set _ZN7rocprim17ROCPRIM_400000_NS6detail17trampoline_kernelINS0_13select_configILj256ELj13ELNS0_17block_load_methodE3ELS4_3ELS4_3ELNS0_20block_scan_algorithmE0ELj4294967295EEENS1_25partition_config_selectorILNS1_17partition_subalgoE4EjNS0_10empty_typeEbEEZZNS1_14partition_implILS8_4ELb0ES6_15HIP_vector_typeIjLj2EENS0_17counting_iteratorIjlEEPS9_SG_NS0_5tupleIJPjSI_NS0_16reverse_iteratorISI_EEEEENSH_IJSG_SG_SG_EEES9_SI_JZNS1_25segmented_radix_sort_implINS0_14default_configELb1EPKaPaPKlPlN2at6native12_GLOBAL__N_18offset_tEEE10hipError_tPvRmT1_PNSt15iterator_traitsIS12_E10value_typeET2_T3_PNS13_IS18_E10value_typeET4_jRbjT5_S1E_jjP12ihipStream_tbEUljE_ZNSN_ISO_Lb1ESQ_SR_ST_SU_SY_EESZ_S10_S11_S12_S16_S17_S18_S1B_S1C_jS1D_jS1E_S1E_jjS1G_bEUljE0_EEESZ_S10_S11_S18_S1C_S1E_T6_T7_T9_mT8_S1G_bDpT10_ENKUlT_T0_E_clISt17integral_constantIbLb0EES1T_IbLb1EEEEDaS1P_S1Q_EUlS1P_E_NS1_11comp_targetILNS1_3genE2ELNS1_11target_archE906ELNS1_3gpuE6ELNS1_3repE0EEENS1_30default_config_static_selectorELNS0_4arch9wavefront6targetE1EEEvS12_.has_recursion, 0
	.set _ZN7rocprim17ROCPRIM_400000_NS6detail17trampoline_kernelINS0_13select_configILj256ELj13ELNS0_17block_load_methodE3ELS4_3ELS4_3ELNS0_20block_scan_algorithmE0ELj4294967295EEENS1_25partition_config_selectorILNS1_17partition_subalgoE4EjNS0_10empty_typeEbEEZZNS1_14partition_implILS8_4ELb0ES6_15HIP_vector_typeIjLj2EENS0_17counting_iteratorIjlEEPS9_SG_NS0_5tupleIJPjSI_NS0_16reverse_iteratorISI_EEEEENSH_IJSG_SG_SG_EEES9_SI_JZNS1_25segmented_radix_sort_implINS0_14default_configELb1EPKaPaPKlPlN2at6native12_GLOBAL__N_18offset_tEEE10hipError_tPvRmT1_PNSt15iterator_traitsIS12_E10value_typeET2_T3_PNS13_IS18_E10value_typeET4_jRbjT5_S1E_jjP12ihipStream_tbEUljE_ZNSN_ISO_Lb1ESQ_SR_ST_SU_SY_EESZ_S10_S11_S12_S16_S17_S18_S1B_S1C_jS1D_jS1E_S1E_jjS1G_bEUljE0_EEESZ_S10_S11_S18_S1C_S1E_T6_T7_T9_mT8_S1G_bDpT10_ENKUlT_T0_E_clISt17integral_constantIbLb0EES1T_IbLb1EEEEDaS1P_S1Q_EUlS1P_E_NS1_11comp_targetILNS1_3genE2ELNS1_11target_archE906ELNS1_3gpuE6ELNS1_3repE0EEENS1_30default_config_static_selectorELNS0_4arch9wavefront6targetE1EEEvS12_.has_indirect_call, 0
	.section	.AMDGPU.csdata,"",@progbits
; Kernel info:
; codeLenInByte = 15580
; TotalNumSgprs: 91
; NumVgprs: 91
; ScratchSize: 0
; MemoryBound: 0
; FloatMode: 240
; IeeeMode: 1
; LDSByteSize: 13328 bytes/workgroup (compile time only)
; SGPRBlocks: 12
; VGPRBlocks: 22
; NumSGPRsForWavesPerEU: 102
; NumVGPRsForWavesPerEU: 91
; Occupancy: 2
; WaveLimiterHint : 1
; COMPUTE_PGM_RSRC2:SCRATCH_EN: 0
; COMPUTE_PGM_RSRC2:USER_SGPR: 6
; COMPUTE_PGM_RSRC2:TRAP_HANDLER: 0
; COMPUTE_PGM_RSRC2:TGID_X_EN: 1
; COMPUTE_PGM_RSRC2:TGID_Y_EN: 0
; COMPUTE_PGM_RSRC2:TGID_Z_EN: 0
; COMPUTE_PGM_RSRC2:TIDIG_COMP_CNT: 0
	.section	.text._ZN7rocprim17ROCPRIM_400000_NS6detail17trampoline_kernelINS0_13select_configILj256ELj13ELNS0_17block_load_methodE3ELS4_3ELS4_3ELNS0_20block_scan_algorithmE0ELj4294967295EEENS1_25partition_config_selectorILNS1_17partition_subalgoE4EjNS0_10empty_typeEbEEZZNS1_14partition_implILS8_4ELb0ES6_15HIP_vector_typeIjLj2EENS0_17counting_iteratorIjlEEPS9_SG_NS0_5tupleIJPjSI_NS0_16reverse_iteratorISI_EEEEENSH_IJSG_SG_SG_EEES9_SI_JZNS1_25segmented_radix_sort_implINS0_14default_configELb1EPKaPaPKlPlN2at6native12_GLOBAL__N_18offset_tEEE10hipError_tPvRmT1_PNSt15iterator_traitsIS12_E10value_typeET2_T3_PNS13_IS18_E10value_typeET4_jRbjT5_S1E_jjP12ihipStream_tbEUljE_ZNSN_ISO_Lb1ESQ_SR_ST_SU_SY_EESZ_S10_S11_S12_S16_S17_S18_S1B_S1C_jS1D_jS1E_S1E_jjS1G_bEUljE0_EEESZ_S10_S11_S18_S1C_S1E_T6_T7_T9_mT8_S1G_bDpT10_ENKUlT_T0_E_clISt17integral_constantIbLb0EES1T_IbLb1EEEEDaS1P_S1Q_EUlS1P_E_NS1_11comp_targetILNS1_3genE10ELNS1_11target_archE1200ELNS1_3gpuE4ELNS1_3repE0EEENS1_30default_config_static_selectorELNS0_4arch9wavefront6targetE1EEEvS12_,"axG",@progbits,_ZN7rocprim17ROCPRIM_400000_NS6detail17trampoline_kernelINS0_13select_configILj256ELj13ELNS0_17block_load_methodE3ELS4_3ELS4_3ELNS0_20block_scan_algorithmE0ELj4294967295EEENS1_25partition_config_selectorILNS1_17partition_subalgoE4EjNS0_10empty_typeEbEEZZNS1_14partition_implILS8_4ELb0ES6_15HIP_vector_typeIjLj2EENS0_17counting_iteratorIjlEEPS9_SG_NS0_5tupleIJPjSI_NS0_16reverse_iteratorISI_EEEEENSH_IJSG_SG_SG_EEES9_SI_JZNS1_25segmented_radix_sort_implINS0_14default_configELb1EPKaPaPKlPlN2at6native12_GLOBAL__N_18offset_tEEE10hipError_tPvRmT1_PNSt15iterator_traitsIS12_E10value_typeET2_T3_PNS13_IS18_E10value_typeET4_jRbjT5_S1E_jjP12ihipStream_tbEUljE_ZNSN_ISO_Lb1ESQ_SR_ST_SU_SY_EESZ_S10_S11_S12_S16_S17_S18_S1B_S1C_jS1D_jS1E_S1E_jjS1G_bEUljE0_EEESZ_S10_S11_S18_S1C_S1E_T6_T7_T9_mT8_S1G_bDpT10_ENKUlT_T0_E_clISt17integral_constantIbLb0EES1T_IbLb1EEEEDaS1P_S1Q_EUlS1P_E_NS1_11comp_targetILNS1_3genE10ELNS1_11target_archE1200ELNS1_3gpuE4ELNS1_3repE0EEENS1_30default_config_static_selectorELNS0_4arch9wavefront6targetE1EEEvS12_,comdat
	.globl	_ZN7rocprim17ROCPRIM_400000_NS6detail17trampoline_kernelINS0_13select_configILj256ELj13ELNS0_17block_load_methodE3ELS4_3ELS4_3ELNS0_20block_scan_algorithmE0ELj4294967295EEENS1_25partition_config_selectorILNS1_17partition_subalgoE4EjNS0_10empty_typeEbEEZZNS1_14partition_implILS8_4ELb0ES6_15HIP_vector_typeIjLj2EENS0_17counting_iteratorIjlEEPS9_SG_NS0_5tupleIJPjSI_NS0_16reverse_iteratorISI_EEEEENSH_IJSG_SG_SG_EEES9_SI_JZNS1_25segmented_radix_sort_implINS0_14default_configELb1EPKaPaPKlPlN2at6native12_GLOBAL__N_18offset_tEEE10hipError_tPvRmT1_PNSt15iterator_traitsIS12_E10value_typeET2_T3_PNS13_IS18_E10value_typeET4_jRbjT5_S1E_jjP12ihipStream_tbEUljE_ZNSN_ISO_Lb1ESQ_SR_ST_SU_SY_EESZ_S10_S11_S12_S16_S17_S18_S1B_S1C_jS1D_jS1E_S1E_jjS1G_bEUljE0_EEESZ_S10_S11_S18_S1C_S1E_T6_T7_T9_mT8_S1G_bDpT10_ENKUlT_T0_E_clISt17integral_constantIbLb0EES1T_IbLb1EEEEDaS1P_S1Q_EUlS1P_E_NS1_11comp_targetILNS1_3genE10ELNS1_11target_archE1200ELNS1_3gpuE4ELNS1_3repE0EEENS1_30default_config_static_selectorELNS0_4arch9wavefront6targetE1EEEvS12_ ; -- Begin function _ZN7rocprim17ROCPRIM_400000_NS6detail17trampoline_kernelINS0_13select_configILj256ELj13ELNS0_17block_load_methodE3ELS4_3ELS4_3ELNS0_20block_scan_algorithmE0ELj4294967295EEENS1_25partition_config_selectorILNS1_17partition_subalgoE4EjNS0_10empty_typeEbEEZZNS1_14partition_implILS8_4ELb0ES6_15HIP_vector_typeIjLj2EENS0_17counting_iteratorIjlEEPS9_SG_NS0_5tupleIJPjSI_NS0_16reverse_iteratorISI_EEEEENSH_IJSG_SG_SG_EEES9_SI_JZNS1_25segmented_radix_sort_implINS0_14default_configELb1EPKaPaPKlPlN2at6native12_GLOBAL__N_18offset_tEEE10hipError_tPvRmT1_PNSt15iterator_traitsIS12_E10value_typeET2_T3_PNS13_IS18_E10value_typeET4_jRbjT5_S1E_jjP12ihipStream_tbEUljE_ZNSN_ISO_Lb1ESQ_SR_ST_SU_SY_EESZ_S10_S11_S12_S16_S17_S18_S1B_S1C_jS1D_jS1E_S1E_jjS1G_bEUljE0_EEESZ_S10_S11_S18_S1C_S1E_T6_T7_T9_mT8_S1G_bDpT10_ENKUlT_T0_E_clISt17integral_constantIbLb0EES1T_IbLb1EEEEDaS1P_S1Q_EUlS1P_E_NS1_11comp_targetILNS1_3genE10ELNS1_11target_archE1200ELNS1_3gpuE4ELNS1_3repE0EEENS1_30default_config_static_selectorELNS0_4arch9wavefront6targetE1EEEvS12_
	.p2align	8
	.type	_ZN7rocprim17ROCPRIM_400000_NS6detail17trampoline_kernelINS0_13select_configILj256ELj13ELNS0_17block_load_methodE3ELS4_3ELS4_3ELNS0_20block_scan_algorithmE0ELj4294967295EEENS1_25partition_config_selectorILNS1_17partition_subalgoE4EjNS0_10empty_typeEbEEZZNS1_14partition_implILS8_4ELb0ES6_15HIP_vector_typeIjLj2EENS0_17counting_iteratorIjlEEPS9_SG_NS0_5tupleIJPjSI_NS0_16reverse_iteratorISI_EEEEENSH_IJSG_SG_SG_EEES9_SI_JZNS1_25segmented_radix_sort_implINS0_14default_configELb1EPKaPaPKlPlN2at6native12_GLOBAL__N_18offset_tEEE10hipError_tPvRmT1_PNSt15iterator_traitsIS12_E10value_typeET2_T3_PNS13_IS18_E10value_typeET4_jRbjT5_S1E_jjP12ihipStream_tbEUljE_ZNSN_ISO_Lb1ESQ_SR_ST_SU_SY_EESZ_S10_S11_S12_S16_S17_S18_S1B_S1C_jS1D_jS1E_S1E_jjS1G_bEUljE0_EEESZ_S10_S11_S18_S1C_S1E_T6_T7_T9_mT8_S1G_bDpT10_ENKUlT_T0_E_clISt17integral_constantIbLb0EES1T_IbLb1EEEEDaS1P_S1Q_EUlS1P_E_NS1_11comp_targetILNS1_3genE10ELNS1_11target_archE1200ELNS1_3gpuE4ELNS1_3repE0EEENS1_30default_config_static_selectorELNS0_4arch9wavefront6targetE1EEEvS12_,@function
_ZN7rocprim17ROCPRIM_400000_NS6detail17trampoline_kernelINS0_13select_configILj256ELj13ELNS0_17block_load_methodE3ELS4_3ELS4_3ELNS0_20block_scan_algorithmE0ELj4294967295EEENS1_25partition_config_selectorILNS1_17partition_subalgoE4EjNS0_10empty_typeEbEEZZNS1_14partition_implILS8_4ELb0ES6_15HIP_vector_typeIjLj2EENS0_17counting_iteratorIjlEEPS9_SG_NS0_5tupleIJPjSI_NS0_16reverse_iteratorISI_EEEEENSH_IJSG_SG_SG_EEES9_SI_JZNS1_25segmented_radix_sort_implINS0_14default_configELb1EPKaPaPKlPlN2at6native12_GLOBAL__N_18offset_tEEE10hipError_tPvRmT1_PNSt15iterator_traitsIS12_E10value_typeET2_T3_PNS13_IS18_E10value_typeET4_jRbjT5_S1E_jjP12ihipStream_tbEUljE_ZNSN_ISO_Lb1ESQ_SR_ST_SU_SY_EESZ_S10_S11_S12_S16_S17_S18_S1B_S1C_jS1D_jS1E_S1E_jjS1G_bEUljE0_EEESZ_S10_S11_S18_S1C_S1E_T6_T7_T9_mT8_S1G_bDpT10_ENKUlT_T0_E_clISt17integral_constantIbLb0EES1T_IbLb1EEEEDaS1P_S1Q_EUlS1P_E_NS1_11comp_targetILNS1_3genE10ELNS1_11target_archE1200ELNS1_3gpuE4ELNS1_3repE0EEENS1_30default_config_static_selectorELNS0_4arch9wavefront6targetE1EEEvS12_: ; @_ZN7rocprim17ROCPRIM_400000_NS6detail17trampoline_kernelINS0_13select_configILj256ELj13ELNS0_17block_load_methodE3ELS4_3ELS4_3ELNS0_20block_scan_algorithmE0ELj4294967295EEENS1_25partition_config_selectorILNS1_17partition_subalgoE4EjNS0_10empty_typeEbEEZZNS1_14partition_implILS8_4ELb0ES6_15HIP_vector_typeIjLj2EENS0_17counting_iteratorIjlEEPS9_SG_NS0_5tupleIJPjSI_NS0_16reverse_iteratorISI_EEEEENSH_IJSG_SG_SG_EEES9_SI_JZNS1_25segmented_radix_sort_implINS0_14default_configELb1EPKaPaPKlPlN2at6native12_GLOBAL__N_18offset_tEEE10hipError_tPvRmT1_PNSt15iterator_traitsIS12_E10value_typeET2_T3_PNS13_IS18_E10value_typeET4_jRbjT5_S1E_jjP12ihipStream_tbEUljE_ZNSN_ISO_Lb1ESQ_SR_ST_SU_SY_EESZ_S10_S11_S12_S16_S17_S18_S1B_S1C_jS1D_jS1E_S1E_jjS1G_bEUljE0_EEESZ_S10_S11_S18_S1C_S1E_T6_T7_T9_mT8_S1G_bDpT10_ENKUlT_T0_E_clISt17integral_constantIbLb0EES1T_IbLb1EEEEDaS1P_S1Q_EUlS1P_E_NS1_11comp_targetILNS1_3genE10ELNS1_11target_archE1200ELNS1_3gpuE4ELNS1_3repE0EEENS1_30default_config_static_selectorELNS0_4arch9wavefront6targetE1EEEvS12_
; %bb.0:
	.section	.rodata,"a",@progbits
	.p2align	6, 0x0
	.amdhsa_kernel _ZN7rocprim17ROCPRIM_400000_NS6detail17trampoline_kernelINS0_13select_configILj256ELj13ELNS0_17block_load_methodE3ELS4_3ELS4_3ELNS0_20block_scan_algorithmE0ELj4294967295EEENS1_25partition_config_selectorILNS1_17partition_subalgoE4EjNS0_10empty_typeEbEEZZNS1_14partition_implILS8_4ELb0ES6_15HIP_vector_typeIjLj2EENS0_17counting_iteratorIjlEEPS9_SG_NS0_5tupleIJPjSI_NS0_16reverse_iteratorISI_EEEEENSH_IJSG_SG_SG_EEES9_SI_JZNS1_25segmented_radix_sort_implINS0_14default_configELb1EPKaPaPKlPlN2at6native12_GLOBAL__N_18offset_tEEE10hipError_tPvRmT1_PNSt15iterator_traitsIS12_E10value_typeET2_T3_PNS13_IS18_E10value_typeET4_jRbjT5_S1E_jjP12ihipStream_tbEUljE_ZNSN_ISO_Lb1ESQ_SR_ST_SU_SY_EESZ_S10_S11_S12_S16_S17_S18_S1B_S1C_jS1D_jS1E_S1E_jjS1G_bEUljE0_EEESZ_S10_S11_S18_S1C_S1E_T6_T7_T9_mT8_S1G_bDpT10_ENKUlT_T0_E_clISt17integral_constantIbLb0EES1T_IbLb1EEEEDaS1P_S1Q_EUlS1P_E_NS1_11comp_targetILNS1_3genE10ELNS1_11target_archE1200ELNS1_3gpuE4ELNS1_3repE0EEENS1_30default_config_static_selectorELNS0_4arch9wavefront6targetE1EEEvS12_
		.amdhsa_group_segment_fixed_size 0
		.amdhsa_private_segment_fixed_size 0
		.amdhsa_kernarg_size 184
		.amdhsa_user_sgpr_count 6
		.amdhsa_user_sgpr_private_segment_buffer 1
		.amdhsa_user_sgpr_dispatch_ptr 0
		.amdhsa_user_sgpr_queue_ptr 0
		.amdhsa_user_sgpr_kernarg_segment_ptr 1
		.amdhsa_user_sgpr_dispatch_id 0
		.amdhsa_user_sgpr_flat_scratch_init 0
		.amdhsa_user_sgpr_private_segment_size 0
		.amdhsa_uses_dynamic_stack 0
		.amdhsa_system_sgpr_private_segment_wavefront_offset 0
		.amdhsa_system_sgpr_workgroup_id_x 1
		.amdhsa_system_sgpr_workgroup_id_y 0
		.amdhsa_system_sgpr_workgroup_id_z 0
		.amdhsa_system_sgpr_workgroup_info 0
		.amdhsa_system_vgpr_workitem_id 0
		.amdhsa_next_free_vgpr 1
		.amdhsa_next_free_sgpr 0
		.amdhsa_reserve_vcc 0
		.amdhsa_reserve_flat_scratch 0
		.amdhsa_float_round_mode_32 0
		.amdhsa_float_round_mode_16_64 0
		.amdhsa_float_denorm_mode_32 3
		.amdhsa_float_denorm_mode_16_64 3
		.amdhsa_dx10_clamp 1
		.amdhsa_ieee_mode 1
		.amdhsa_fp16_overflow 0
		.amdhsa_exception_fp_ieee_invalid_op 0
		.amdhsa_exception_fp_denorm_src 0
		.amdhsa_exception_fp_ieee_div_zero 0
		.amdhsa_exception_fp_ieee_overflow 0
		.amdhsa_exception_fp_ieee_underflow 0
		.amdhsa_exception_fp_ieee_inexact 0
		.amdhsa_exception_int_div_zero 0
	.end_amdhsa_kernel
	.section	.text._ZN7rocprim17ROCPRIM_400000_NS6detail17trampoline_kernelINS0_13select_configILj256ELj13ELNS0_17block_load_methodE3ELS4_3ELS4_3ELNS0_20block_scan_algorithmE0ELj4294967295EEENS1_25partition_config_selectorILNS1_17partition_subalgoE4EjNS0_10empty_typeEbEEZZNS1_14partition_implILS8_4ELb0ES6_15HIP_vector_typeIjLj2EENS0_17counting_iteratorIjlEEPS9_SG_NS0_5tupleIJPjSI_NS0_16reverse_iteratorISI_EEEEENSH_IJSG_SG_SG_EEES9_SI_JZNS1_25segmented_radix_sort_implINS0_14default_configELb1EPKaPaPKlPlN2at6native12_GLOBAL__N_18offset_tEEE10hipError_tPvRmT1_PNSt15iterator_traitsIS12_E10value_typeET2_T3_PNS13_IS18_E10value_typeET4_jRbjT5_S1E_jjP12ihipStream_tbEUljE_ZNSN_ISO_Lb1ESQ_SR_ST_SU_SY_EESZ_S10_S11_S12_S16_S17_S18_S1B_S1C_jS1D_jS1E_S1E_jjS1G_bEUljE0_EEESZ_S10_S11_S18_S1C_S1E_T6_T7_T9_mT8_S1G_bDpT10_ENKUlT_T0_E_clISt17integral_constantIbLb0EES1T_IbLb1EEEEDaS1P_S1Q_EUlS1P_E_NS1_11comp_targetILNS1_3genE10ELNS1_11target_archE1200ELNS1_3gpuE4ELNS1_3repE0EEENS1_30default_config_static_selectorELNS0_4arch9wavefront6targetE1EEEvS12_,"axG",@progbits,_ZN7rocprim17ROCPRIM_400000_NS6detail17trampoline_kernelINS0_13select_configILj256ELj13ELNS0_17block_load_methodE3ELS4_3ELS4_3ELNS0_20block_scan_algorithmE0ELj4294967295EEENS1_25partition_config_selectorILNS1_17partition_subalgoE4EjNS0_10empty_typeEbEEZZNS1_14partition_implILS8_4ELb0ES6_15HIP_vector_typeIjLj2EENS0_17counting_iteratorIjlEEPS9_SG_NS0_5tupleIJPjSI_NS0_16reverse_iteratorISI_EEEEENSH_IJSG_SG_SG_EEES9_SI_JZNS1_25segmented_radix_sort_implINS0_14default_configELb1EPKaPaPKlPlN2at6native12_GLOBAL__N_18offset_tEEE10hipError_tPvRmT1_PNSt15iterator_traitsIS12_E10value_typeET2_T3_PNS13_IS18_E10value_typeET4_jRbjT5_S1E_jjP12ihipStream_tbEUljE_ZNSN_ISO_Lb1ESQ_SR_ST_SU_SY_EESZ_S10_S11_S12_S16_S17_S18_S1B_S1C_jS1D_jS1E_S1E_jjS1G_bEUljE0_EEESZ_S10_S11_S18_S1C_S1E_T6_T7_T9_mT8_S1G_bDpT10_ENKUlT_T0_E_clISt17integral_constantIbLb0EES1T_IbLb1EEEEDaS1P_S1Q_EUlS1P_E_NS1_11comp_targetILNS1_3genE10ELNS1_11target_archE1200ELNS1_3gpuE4ELNS1_3repE0EEENS1_30default_config_static_selectorELNS0_4arch9wavefront6targetE1EEEvS12_,comdat
.Lfunc_end255:
	.size	_ZN7rocprim17ROCPRIM_400000_NS6detail17trampoline_kernelINS0_13select_configILj256ELj13ELNS0_17block_load_methodE3ELS4_3ELS4_3ELNS0_20block_scan_algorithmE0ELj4294967295EEENS1_25partition_config_selectorILNS1_17partition_subalgoE4EjNS0_10empty_typeEbEEZZNS1_14partition_implILS8_4ELb0ES6_15HIP_vector_typeIjLj2EENS0_17counting_iteratorIjlEEPS9_SG_NS0_5tupleIJPjSI_NS0_16reverse_iteratorISI_EEEEENSH_IJSG_SG_SG_EEES9_SI_JZNS1_25segmented_radix_sort_implINS0_14default_configELb1EPKaPaPKlPlN2at6native12_GLOBAL__N_18offset_tEEE10hipError_tPvRmT1_PNSt15iterator_traitsIS12_E10value_typeET2_T3_PNS13_IS18_E10value_typeET4_jRbjT5_S1E_jjP12ihipStream_tbEUljE_ZNSN_ISO_Lb1ESQ_SR_ST_SU_SY_EESZ_S10_S11_S12_S16_S17_S18_S1B_S1C_jS1D_jS1E_S1E_jjS1G_bEUljE0_EEESZ_S10_S11_S18_S1C_S1E_T6_T7_T9_mT8_S1G_bDpT10_ENKUlT_T0_E_clISt17integral_constantIbLb0EES1T_IbLb1EEEEDaS1P_S1Q_EUlS1P_E_NS1_11comp_targetILNS1_3genE10ELNS1_11target_archE1200ELNS1_3gpuE4ELNS1_3repE0EEENS1_30default_config_static_selectorELNS0_4arch9wavefront6targetE1EEEvS12_, .Lfunc_end255-_ZN7rocprim17ROCPRIM_400000_NS6detail17trampoline_kernelINS0_13select_configILj256ELj13ELNS0_17block_load_methodE3ELS4_3ELS4_3ELNS0_20block_scan_algorithmE0ELj4294967295EEENS1_25partition_config_selectorILNS1_17partition_subalgoE4EjNS0_10empty_typeEbEEZZNS1_14partition_implILS8_4ELb0ES6_15HIP_vector_typeIjLj2EENS0_17counting_iteratorIjlEEPS9_SG_NS0_5tupleIJPjSI_NS0_16reverse_iteratorISI_EEEEENSH_IJSG_SG_SG_EEES9_SI_JZNS1_25segmented_radix_sort_implINS0_14default_configELb1EPKaPaPKlPlN2at6native12_GLOBAL__N_18offset_tEEE10hipError_tPvRmT1_PNSt15iterator_traitsIS12_E10value_typeET2_T3_PNS13_IS18_E10value_typeET4_jRbjT5_S1E_jjP12ihipStream_tbEUljE_ZNSN_ISO_Lb1ESQ_SR_ST_SU_SY_EESZ_S10_S11_S12_S16_S17_S18_S1B_S1C_jS1D_jS1E_S1E_jjS1G_bEUljE0_EEESZ_S10_S11_S18_S1C_S1E_T6_T7_T9_mT8_S1G_bDpT10_ENKUlT_T0_E_clISt17integral_constantIbLb0EES1T_IbLb1EEEEDaS1P_S1Q_EUlS1P_E_NS1_11comp_targetILNS1_3genE10ELNS1_11target_archE1200ELNS1_3gpuE4ELNS1_3repE0EEENS1_30default_config_static_selectorELNS0_4arch9wavefront6targetE1EEEvS12_
                                        ; -- End function
	.set _ZN7rocprim17ROCPRIM_400000_NS6detail17trampoline_kernelINS0_13select_configILj256ELj13ELNS0_17block_load_methodE3ELS4_3ELS4_3ELNS0_20block_scan_algorithmE0ELj4294967295EEENS1_25partition_config_selectorILNS1_17partition_subalgoE4EjNS0_10empty_typeEbEEZZNS1_14partition_implILS8_4ELb0ES6_15HIP_vector_typeIjLj2EENS0_17counting_iteratorIjlEEPS9_SG_NS0_5tupleIJPjSI_NS0_16reverse_iteratorISI_EEEEENSH_IJSG_SG_SG_EEES9_SI_JZNS1_25segmented_radix_sort_implINS0_14default_configELb1EPKaPaPKlPlN2at6native12_GLOBAL__N_18offset_tEEE10hipError_tPvRmT1_PNSt15iterator_traitsIS12_E10value_typeET2_T3_PNS13_IS18_E10value_typeET4_jRbjT5_S1E_jjP12ihipStream_tbEUljE_ZNSN_ISO_Lb1ESQ_SR_ST_SU_SY_EESZ_S10_S11_S12_S16_S17_S18_S1B_S1C_jS1D_jS1E_S1E_jjS1G_bEUljE0_EEESZ_S10_S11_S18_S1C_S1E_T6_T7_T9_mT8_S1G_bDpT10_ENKUlT_T0_E_clISt17integral_constantIbLb0EES1T_IbLb1EEEEDaS1P_S1Q_EUlS1P_E_NS1_11comp_targetILNS1_3genE10ELNS1_11target_archE1200ELNS1_3gpuE4ELNS1_3repE0EEENS1_30default_config_static_selectorELNS0_4arch9wavefront6targetE1EEEvS12_.num_vgpr, 0
	.set _ZN7rocprim17ROCPRIM_400000_NS6detail17trampoline_kernelINS0_13select_configILj256ELj13ELNS0_17block_load_methodE3ELS4_3ELS4_3ELNS0_20block_scan_algorithmE0ELj4294967295EEENS1_25partition_config_selectorILNS1_17partition_subalgoE4EjNS0_10empty_typeEbEEZZNS1_14partition_implILS8_4ELb0ES6_15HIP_vector_typeIjLj2EENS0_17counting_iteratorIjlEEPS9_SG_NS0_5tupleIJPjSI_NS0_16reverse_iteratorISI_EEEEENSH_IJSG_SG_SG_EEES9_SI_JZNS1_25segmented_radix_sort_implINS0_14default_configELb1EPKaPaPKlPlN2at6native12_GLOBAL__N_18offset_tEEE10hipError_tPvRmT1_PNSt15iterator_traitsIS12_E10value_typeET2_T3_PNS13_IS18_E10value_typeET4_jRbjT5_S1E_jjP12ihipStream_tbEUljE_ZNSN_ISO_Lb1ESQ_SR_ST_SU_SY_EESZ_S10_S11_S12_S16_S17_S18_S1B_S1C_jS1D_jS1E_S1E_jjS1G_bEUljE0_EEESZ_S10_S11_S18_S1C_S1E_T6_T7_T9_mT8_S1G_bDpT10_ENKUlT_T0_E_clISt17integral_constantIbLb0EES1T_IbLb1EEEEDaS1P_S1Q_EUlS1P_E_NS1_11comp_targetILNS1_3genE10ELNS1_11target_archE1200ELNS1_3gpuE4ELNS1_3repE0EEENS1_30default_config_static_selectorELNS0_4arch9wavefront6targetE1EEEvS12_.num_agpr, 0
	.set _ZN7rocprim17ROCPRIM_400000_NS6detail17trampoline_kernelINS0_13select_configILj256ELj13ELNS0_17block_load_methodE3ELS4_3ELS4_3ELNS0_20block_scan_algorithmE0ELj4294967295EEENS1_25partition_config_selectorILNS1_17partition_subalgoE4EjNS0_10empty_typeEbEEZZNS1_14partition_implILS8_4ELb0ES6_15HIP_vector_typeIjLj2EENS0_17counting_iteratorIjlEEPS9_SG_NS0_5tupleIJPjSI_NS0_16reverse_iteratorISI_EEEEENSH_IJSG_SG_SG_EEES9_SI_JZNS1_25segmented_radix_sort_implINS0_14default_configELb1EPKaPaPKlPlN2at6native12_GLOBAL__N_18offset_tEEE10hipError_tPvRmT1_PNSt15iterator_traitsIS12_E10value_typeET2_T3_PNS13_IS18_E10value_typeET4_jRbjT5_S1E_jjP12ihipStream_tbEUljE_ZNSN_ISO_Lb1ESQ_SR_ST_SU_SY_EESZ_S10_S11_S12_S16_S17_S18_S1B_S1C_jS1D_jS1E_S1E_jjS1G_bEUljE0_EEESZ_S10_S11_S18_S1C_S1E_T6_T7_T9_mT8_S1G_bDpT10_ENKUlT_T0_E_clISt17integral_constantIbLb0EES1T_IbLb1EEEEDaS1P_S1Q_EUlS1P_E_NS1_11comp_targetILNS1_3genE10ELNS1_11target_archE1200ELNS1_3gpuE4ELNS1_3repE0EEENS1_30default_config_static_selectorELNS0_4arch9wavefront6targetE1EEEvS12_.numbered_sgpr, 0
	.set _ZN7rocprim17ROCPRIM_400000_NS6detail17trampoline_kernelINS0_13select_configILj256ELj13ELNS0_17block_load_methodE3ELS4_3ELS4_3ELNS0_20block_scan_algorithmE0ELj4294967295EEENS1_25partition_config_selectorILNS1_17partition_subalgoE4EjNS0_10empty_typeEbEEZZNS1_14partition_implILS8_4ELb0ES6_15HIP_vector_typeIjLj2EENS0_17counting_iteratorIjlEEPS9_SG_NS0_5tupleIJPjSI_NS0_16reverse_iteratorISI_EEEEENSH_IJSG_SG_SG_EEES9_SI_JZNS1_25segmented_radix_sort_implINS0_14default_configELb1EPKaPaPKlPlN2at6native12_GLOBAL__N_18offset_tEEE10hipError_tPvRmT1_PNSt15iterator_traitsIS12_E10value_typeET2_T3_PNS13_IS18_E10value_typeET4_jRbjT5_S1E_jjP12ihipStream_tbEUljE_ZNSN_ISO_Lb1ESQ_SR_ST_SU_SY_EESZ_S10_S11_S12_S16_S17_S18_S1B_S1C_jS1D_jS1E_S1E_jjS1G_bEUljE0_EEESZ_S10_S11_S18_S1C_S1E_T6_T7_T9_mT8_S1G_bDpT10_ENKUlT_T0_E_clISt17integral_constantIbLb0EES1T_IbLb1EEEEDaS1P_S1Q_EUlS1P_E_NS1_11comp_targetILNS1_3genE10ELNS1_11target_archE1200ELNS1_3gpuE4ELNS1_3repE0EEENS1_30default_config_static_selectorELNS0_4arch9wavefront6targetE1EEEvS12_.num_named_barrier, 0
	.set _ZN7rocprim17ROCPRIM_400000_NS6detail17trampoline_kernelINS0_13select_configILj256ELj13ELNS0_17block_load_methodE3ELS4_3ELS4_3ELNS0_20block_scan_algorithmE0ELj4294967295EEENS1_25partition_config_selectorILNS1_17partition_subalgoE4EjNS0_10empty_typeEbEEZZNS1_14partition_implILS8_4ELb0ES6_15HIP_vector_typeIjLj2EENS0_17counting_iteratorIjlEEPS9_SG_NS0_5tupleIJPjSI_NS0_16reverse_iteratorISI_EEEEENSH_IJSG_SG_SG_EEES9_SI_JZNS1_25segmented_radix_sort_implINS0_14default_configELb1EPKaPaPKlPlN2at6native12_GLOBAL__N_18offset_tEEE10hipError_tPvRmT1_PNSt15iterator_traitsIS12_E10value_typeET2_T3_PNS13_IS18_E10value_typeET4_jRbjT5_S1E_jjP12ihipStream_tbEUljE_ZNSN_ISO_Lb1ESQ_SR_ST_SU_SY_EESZ_S10_S11_S12_S16_S17_S18_S1B_S1C_jS1D_jS1E_S1E_jjS1G_bEUljE0_EEESZ_S10_S11_S18_S1C_S1E_T6_T7_T9_mT8_S1G_bDpT10_ENKUlT_T0_E_clISt17integral_constantIbLb0EES1T_IbLb1EEEEDaS1P_S1Q_EUlS1P_E_NS1_11comp_targetILNS1_3genE10ELNS1_11target_archE1200ELNS1_3gpuE4ELNS1_3repE0EEENS1_30default_config_static_selectorELNS0_4arch9wavefront6targetE1EEEvS12_.private_seg_size, 0
	.set _ZN7rocprim17ROCPRIM_400000_NS6detail17trampoline_kernelINS0_13select_configILj256ELj13ELNS0_17block_load_methodE3ELS4_3ELS4_3ELNS0_20block_scan_algorithmE0ELj4294967295EEENS1_25partition_config_selectorILNS1_17partition_subalgoE4EjNS0_10empty_typeEbEEZZNS1_14partition_implILS8_4ELb0ES6_15HIP_vector_typeIjLj2EENS0_17counting_iteratorIjlEEPS9_SG_NS0_5tupleIJPjSI_NS0_16reverse_iteratorISI_EEEEENSH_IJSG_SG_SG_EEES9_SI_JZNS1_25segmented_radix_sort_implINS0_14default_configELb1EPKaPaPKlPlN2at6native12_GLOBAL__N_18offset_tEEE10hipError_tPvRmT1_PNSt15iterator_traitsIS12_E10value_typeET2_T3_PNS13_IS18_E10value_typeET4_jRbjT5_S1E_jjP12ihipStream_tbEUljE_ZNSN_ISO_Lb1ESQ_SR_ST_SU_SY_EESZ_S10_S11_S12_S16_S17_S18_S1B_S1C_jS1D_jS1E_S1E_jjS1G_bEUljE0_EEESZ_S10_S11_S18_S1C_S1E_T6_T7_T9_mT8_S1G_bDpT10_ENKUlT_T0_E_clISt17integral_constantIbLb0EES1T_IbLb1EEEEDaS1P_S1Q_EUlS1P_E_NS1_11comp_targetILNS1_3genE10ELNS1_11target_archE1200ELNS1_3gpuE4ELNS1_3repE0EEENS1_30default_config_static_selectorELNS0_4arch9wavefront6targetE1EEEvS12_.uses_vcc, 0
	.set _ZN7rocprim17ROCPRIM_400000_NS6detail17trampoline_kernelINS0_13select_configILj256ELj13ELNS0_17block_load_methodE3ELS4_3ELS4_3ELNS0_20block_scan_algorithmE0ELj4294967295EEENS1_25partition_config_selectorILNS1_17partition_subalgoE4EjNS0_10empty_typeEbEEZZNS1_14partition_implILS8_4ELb0ES6_15HIP_vector_typeIjLj2EENS0_17counting_iteratorIjlEEPS9_SG_NS0_5tupleIJPjSI_NS0_16reverse_iteratorISI_EEEEENSH_IJSG_SG_SG_EEES9_SI_JZNS1_25segmented_radix_sort_implINS0_14default_configELb1EPKaPaPKlPlN2at6native12_GLOBAL__N_18offset_tEEE10hipError_tPvRmT1_PNSt15iterator_traitsIS12_E10value_typeET2_T3_PNS13_IS18_E10value_typeET4_jRbjT5_S1E_jjP12ihipStream_tbEUljE_ZNSN_ISO_Lb1ESQ_SR_ST_SU_SY_EESZ_S10_S11_S12_S16_S17_S18_S1B_S1C_jS1D_jS1E_S1E_jjS1G_bEUljE0_EEESZ_S10_S11_S18_S1C_S1E_T6_T7_T9_mT8_S1G_bDpT10_ENKUlT_T0_E_clISt17integral_constantIbLb0EES1T_IbLb1EEEEDaS1P_S1Q_EUlS1P_E_NS1_11comp_targetILNS1_3genE10ELNS1_11target_archE1200ELNS1_3gpuE4ELNS1_3repE0EEENS1_30default_config_static_selectorELNS0_4arch9wavefront6targetE1EEEvS12_.uses_flat_scratch, 0
	.set _ZN7rocprim17ROCPRIM_400000_NS6detail17trampoline_kernelINS0_13select_configILj256ELj13ELNS0_17block_load_methodE3ELS4_3ELS4_3ELNS0_20block_scan_algorithmE0ELj4294967295EEENS1_25partition_config_selectorILNS1_17partition_subalgoE4EjNS0_10empty_typeEbEEZZNS1_14partition_implILS8_4ELb0ES6_15HIP_vector_typeIjLj2EENS0_17counting_iteratorIjlEEPS9_SG_NS0_5tupleIJPjSI_NS0_16reverse_iteratorISI_EEEEENSH_IJSG_SG_SG_EEES9_SI_JZNS1_25segmented_radix_sort_implINS0_14default_configELb1EPKaPaPKlPlN2at6native12_GLOBAL__N_18offset_tEEE10hipError_tPvRmT1_PNSt15iterator_traitsIS12_E10value_typeET2_T3_PNS13_IS18_E10value_typeET4_jRbjT5_S1E_jjP12ihipStream_tbEUljE_ZNSN_ISO_Lb1ESQ_SR_ST_SU_SY_EESZ_S10_S11_S12_S16_S17_S18_S1B_S1C_jS1D_jS1E_S1E_jjS1G_bEUljE0_EEESZ_S10_S11_S18_S1C_S1E_T6_T7_T9_mT8_S1G_bDpT10_ENKUlT_T0_E_clISt17integral_constantIbLb0EES1T_IbLb1EEEEDaS1P_S1Q_EUlS1P_E_NS1_11comp_targetILNS1_3genE10ELNS1_11target_archE1200ELNS1_3gpuE4ELNS1_3repE0EEENS1_30default_config_static_selectorELNS0_4arch9wavefront6targetE1EEEvS12_.has_dyn_sized_stack, 0
	.set _ZN7rocprim17ROCPRIM_400000_NS6detail17trampoline_kernelINS0_13select_configILj256ELj13ELNS0_17block_load_methodE3ELS4_3ELS4_3ELNS0_20block_scan_algorithmE0ELj4294967295EEENS1_25partition_config_selectorILNS1_17partition_subalgoE4EjNS0_10empty_typeEbEEZZNS1_14partition_implILS8_4ELb0ES6_15HIP_vector_typeIjLj2EENS0_17counting_iteratorIjlEEPS9_SG_NS0_5tupleIJPjSI_NS0_16reverse_iteratorISI_EEEEENSH_IJSG_SG_SG_EEES9_SI_JZNS1_25segmented_radix_sort_implINS0_14default_configELb1EPKaPaPKlPlN2at6native12_GLOBAL__N_18offset_tEEE10hipError_tPvRmT1_PNSt15iterator_traitsIS12_E10value_typeET2_T3_PNS13_IS18_E10value_typeET4_jRbjT5_S1E_jjP12ihipStream_tbEUljE_ZNSN_ISO_Lb1ESQ_SR_ST_SU_SY_EESZ_S10_S11_S12_S16_S17_S18_S1B_S1C_jS1D_jS1E_S1E_jjS1G_bEUljE0_EEESZ_S10_S11_S18_S1C_S1E_T6_T7_T9_mT8_S1G_bDpT10_ENKUlT_T0_E_clISt17integral_constantIbLb0EES1T_IbLb1EEEEDaS1P_S1Q_EUlS1P_E_NS1_11comp_targetILNS1_3genE10ELNS1_11target_archE1200ELNS1_3gpuE4ELNS1_3repE0EEENS1_30default_config_static_selectorELNS0_4arch9wavefront6targetE1EEEvS12_.has_recursion, 0
	.set _ZN7rocprim17ROCPRIM_400000_NS6detail17trampoline_kernelINS0_13select_configILj256ELj13ELNS0_17block_load_methodE3ELS4_3ELS4_3ELNS0_20block_scan_algorithmE0ELj4294967295EEENS1_25partition_config_selectorILNS1_17partition_subalgoE4EjNS0_10empty_typeEbEEZZNS1_14partition_implILS8_4ELb0ES6_15HIP_vector_typeIjLj2EENS0_17counting_iteratorIjlEEPS9_SG_NS0_5tupleIJPjSI_NS0_16reverse_iteratorISI_EEEEENSH_IJSG_SG_SG_EEES9_SI_JZNS1_25segmented_radix_sort_implINS0_14default_configELb1EPKaPaPKlPlN2at6native12_GLOBAL__N_18offset_tEEE10hipError_tPvRmT1_PNSt15iterator_traitsIS12_E10value_typeET2_T3_PNS13_IS18_E10value_typeET4_jRbjT5_S1E_jjP12ihipStream_tbEUljE_ZNSN_ISO_Lb1ESQ_SR_ST_SU_SY_EESZ_S10_S11_S12_S16_S17_S18_S1B_S1C_jS1D_jS1E_S1E_jjS1G_bEUljE0_EEESZ_S10_S11_S18_S1C_S1E_T6_T7_T9_mT8_S1G_bDpT10_ENKUlT_T0_E_clISt17integral_constantIbLb0EES1T_IbLb1EEEEDaS1P_S1Q_EUlS1P_E_NS1_11comp_targetILNS1_3genE10ELNS1_11target_archE1200ELNS1_3gpuE4ELNS1_3repE0EEENS1_30default_config_static_selectorELNS0_4arch9wavefront6targetE1EEEvS12_.has_indirect_call, 0
	.section	.AMDGPU.csdata,"",@progbits
; Kernel info:
; codeLenInByte = 0
; TotalNumSgprs: 4
; NumVgprs: 0
; ScratchSize: 0
; MemoryBound: 0
; FloatMode: 240
; IeeeMode: 1
; LDSByteSize: 0 bytes/workgroup (compile time only)
; SGPRBlocks: 0
; VGPRBlocks: 0
; NumSGPRsForWavesPerEU: 4
; NumVGPRsForWavesPerEU: 1
; Occupancy: 10
; WaveLimiterHint : 0
; COMPUTE_PGM_RSRC2:SCRATCH_EN: 0
; COMPUTE_PGM_RSRC2:USER_SGPR: 6
; COMPUTE_PGM_RSRC2:TRAP_HANDLER: 0
; COMPUTE_PGM_RSRC2:TGID_X_EN: 1
; COMPUTE_PGM_RSRC2:TGID_Y_EN: 0
; COMPUTE_PGM_RSRC2:TGID_Z_EN: 0
; COMPUTE_PGM_RSRC2:TIDIG_COMP_CNT: 0
	.section	.text._ZN7rocprim17ROCPRIM_400000_NS6detail17trampoline_kernelINS0_13select_configILj256ELj13ELNS0_17block_load_methodE3ELS4_3ELS4_3ELNS0_20block_scan_algorithmE0ELj4294967295EEENS1_25partition_config_selectorILNS1_17partition_subalgoE4EjNS0_10empty_typeEbEEZZNS1_14partition_implILS8_4ELb0ES6_15HIP_vector_typeIjLj2EENS0_17counting_iteratorIjlEEPS9_SG_NS0_5tupleIJPjSI_NS0_16reverse_iteratorISI_EEEEENSH_IJSG_SG_SG_EEES9_SI_JZNS1_25segmented_radix_sort_implINS0_14default_configELb1EPKaPaPKlPlN2at6native12_GLOBAL__N_18offset_tEEE10hipError_tPvRmT1_PNSt15iterator_traitsIS12_E10value_typeET2_T3_PNS13_IS18_E10value_typeET4_jRbjT5_S1E_jjP12ihipStream_tbEUljE_ZNSN_ISO_Lb1ESQ_SR_ST_SU_SY_EESZ_S10_S11_S12_S16_S17_S18_S1B_S1C_jS1D_jS1E_S1E_jjS1G_bEUljE0_EEESZ_S10_S11_S18_S1C_S1E_T6_T7_T9_mT8_S1G_bDpT10_ENKUlT_T0_E_clISt17integral_constantIbLb0EES1T_IbLb1EEEEDaS1P_S1Q_EUlS1P_E_NS1_11comp_targetILNS1_3genE9ELNS1_11target_archE1100ELNS1_3gpuE3ELNS1_3repE0EEENS1_30default_config_static_selectorELNS0_4arch9wavefront6targetE1EEEvS12_,"axG",@progbits,_ZN7rocprim17ROCPRIM_400000_NS6detail17trampoline_kernelINS0_13select_configILj256ELj13ELNS0_17block_load_methodE3ELS4_3ELS4_3ELNS0_20block_scan_algorithmE0ELj4294967295EEENS1_25partition_config_selectorILNS1_17partition_subalgoE4EjNS0_10empty_typeEbEEZZNS1_14partition_implILS8_4ELb0ES6_15HIP_vector_typeIjLj2EENS0_17counting_iteratorIjlEEPS9_SG_NS0_5tupleIJPjSI_NS0_16reverse_iteratorISI_EEEEENSH_IJSG_SG_SG_EEES9_SI_JZNS1_25segmented_radix_sort_implINS0_14default_configELb1EPKaPaPKlPlN2at6native12_GLOBAL__N_18offset_tEEE10hipError_tPvRmT1_PNSt15iterator_traitsIS12_E10value_typeET2_T3_PNS13_IS18_E10value_typeET4_jRbjT5_S1E_jjP12ihipStream_tbEUljE_ZNSN_ISO_Lb1ESQ_SR_ST_SU_SY_EESZ_S10_S11_S12_S16_S17_S18_S1B_S1C_jS1D_jS1E_S1E_jjS1G_bEUljE0_EEESZ_S10_S11_S18_S1C_S1E_T6_T7_T9_mT8_S1G_bDpT10_ENKUlT_T0_E_clISt17integral_constantIbLb0EES1T_IbLb1EEEEDaS1P_S1Q_EUlS1P_E_NS1_11comp_targetILNS1_3genE9ELNS1_11target_archE1100ELNS1_3gpuE3ELNS1_3repE0EEENS1_30default_config_static_selectorELNS0_4arch9wavefront6targetE1EEEvS12_,comdat
	.globl	_ZN7rocprim17ROCPRIM_400000_NS6detail17trampoline_kernelINS0_13select_configILj256ELj13ELNS0_17block_load_methodE3ELS4_3ELS4_3ELNS0_20block_scan_algorithmE0ELj4294967295EEENS1_25partition_config_selectorILNS1_17partition_subalgoE4EjNS0_10empty_typeEbEEZZNS1_14partition_implILS8_4ELb0ES6_15HIP_vector_typeIjLj2EENS0_17counting_iteratorIjlEEPS9_SG_NS0_5tupleIJPjSI_NS0_16reverse_iteratorISI_EEEEENSH_IJSG_SG_SG_EEES9_SI_JZNS1_25segmented_radix_sort_implINS0_14default_configELb1EPKaPaPKlPlN2at6native12_GLOBAL__N_18offset_tEEE10hipError_tPvRmT1_PNSt15iterator_traitsIS12_E10value_typeET2_T3_PNS13_IS18_E10value_typeET4_jRbjT5_S1E_jjP12ihipStream_tbEUljE_ZNSN_ISO_Lb1ESQ_SR_ST_SU_SY_EESZ_S10_S11_S12_S16_S17_S18_S1B_S1C_jS1D_jS1E_S1E_jjS1G_bEUljE0_EEESZ_S10_S11_S18_S1C_S1E_T6_T7_T9_mT8_S1G_bDpT10_ENKUlT_T0_E_clISt17integral_constantIbLb0EES1T_IbLb1EEEEDaS1P_S1Q_EUlS1P_E_NS1_11comp_targetILNS1_3genE9ELNS1_11target_archE1100ELNS1_3gpuE3ELNS1_3repE0EEENS1_30default_config_static_selectorELNS0_4arch9wavefront6targetE1EEEvS12_ ; -- Begin function _ZN7rocprim17ROCPRIM_400000_NS6detail17trampoline_kernelINS0_13select_configILj256ELj13ELNS0_17block_load_methodE3ELS4_3ELS4_3ELNS0_20block_scan_algorithmE0ELj4294967295EEENS1_25partition_config_selectorILNS1_17partition_subalgoE4EjNS0_10empty_typeEbEEZZNS1_14partition_implILS8_4ELb0ES6_15HIP_vector_typeIjLj2EENS0_17counting_iteratorIjlEEPS9_SG_NS0_5tupleIJPjSI_NS0_16reverse_iteratorISI_EEEEENSH_IJSG_SG_SG_EEES9_SI_JZNS1_25segmented_radix_sort_implINS0_14default_configELb1EPKaPaPKlPlN2at6native12_GLOBAL__N_18offset_tEEE10hipError_tPvRmT1_PNSt15iterator_traitsIS12_E10value_typeET2_T3_PNS13_IS18_E10value_typeET4_jRbjT5_S1E_jjP12ihipStream_tbEUljE_ZNSN_ISO_Lb1ESQ_SR_ST_SU_SY_EESZ_S10_S11_S12_S16_S17_S18_S1B_S1C_jS1D_jS1E_S1E_jjS1G_bEUljE0_EEESZ_S10_S11_S18_S1C_S1E_T6_T7_T9_mT8_S1G_bDpT10_ENKUlT_T0_E_clISt17integral_constantIbLb0EES1T_IbLb1EEEEDaS1P_S1Q_EUlS1P_E_NS1_11comp_targetILNS1_3genE9ELNS1_11target_archE1100ELNS1_3gpuE3ELNS1_3repE0EEENS1_30default_config_static_selectorELNS0_4arch9wavefront6targetE1EEEvS12_
	.p2align	8
	.type	_ZN7rocprim17ROCPRIM_400000_NS6detail17trampoline_kernelINS0_13select_configILj256ELj13ELNS0_17block_load_methodE3ELS4_3ELS4_3ELNS0_20block_scan_algorithmE0ELj4294967295EEENS1_25partition_config_selectorILNS1_17partition_subalgoE4EjNS0_10empty_typeEbEEZZNS1_14partition_implILS8_4ELb0ES6_15HIP_vector_typeIjLj2EENS0_17counting_iteratorIjlEEPS9_SG_NS0_5tupleIJPjSI_NS0_16reverse_iteratorISI_EEEEENSH_IJSG_SG_SG_EEES9_SI_JZNS1_25segmented_radix_sort_implINS0_14default_configELb1EPKaPaPKlPlN2at6native12_GLOBAL__N_18offset_tEEE10hipError_tPvRmT1_PNSt15iterator_traitsIS12_E10value_typeET2_T3_PNS13_IS18_E10value_typeET4_jRbjT5_S1E_jjP12ihipStream_tbEUljE_ZNSN_ISO_Lb1ESQ_SR_ST_SU_SY_EESZ_S10_S11_S12_S16_S17_S18_S1B_S1C_jS1D_jS1E_S1E_jjS1G_bEUljE0_EEESZ_S10_S11_S18_S1C_S1E_T6_T7_T9_mT8_S1G_bDpT10_ENKUlT_T0_E_clISt17integral_constantIbLb0EES1T_IbLb1EEEEDaS1P_S1Q_EUlS1P_E_NS1_11comp_targetILNS1_3genE9ELNS1_11target_archE1100ELNS1_3gpuE3ELNS1_3repE0EEENS1_30default_config_static_selectorELNS0_4arch9wavefront6targetE1EEEvS12_,@function
_ZN7rocprim17ROCPRIM_400000_NS6detail17trampoline_kernelINS0_13select_configILj256ELj13ELNS0_17block_load_methodE3ELS4_3ELS4_3ELNS0_20block_scan_algorithmE0ELj4294967295EEENS1_25partition_config_selectorILNS1_17partition_subalgoE4EjNS0_10empty_typeEbEEZZNS1_14partition_implILS8_4ELb0ES6_15HIP_vector_typeIjLj2EENS0_17counting_iteratorIjlEEPS9_SG_NS0_5tupleIJPjSI_NS0_16reverse_iteratorISI_EEEEENSH_IJSG_SG_SG_EEES9_SI_JZNS1_25segmented_radix_sort_implINS0_14default_configELb1EPKaPaPKlPlN2at6native12_GLOBAL__N_18offset_tEEE10hipError_tPvRmT1_PNSt15iterator_traitsIS12_E10value_typeET2_T3_PNS13_IS18_E10value_typeET4_jRbjT5_S1E_jjP12ihipStream_tbEUljE_ZNSN_ISO_Lb1ESQ_SR_ST_SU_SY_EESZ_S10_S11_S12_S16_S17_S18_S1B_S1C_jS1D_jS1E_S1E_jjS1G_bEUljE0_EEESZ_S10_S11_S18_S1C_S1E_T6_T7_T9_mT8_S1G_bDpT10_ENKUlT_T0_E_clISt17integral_constantIbLb0EES1T_IbLb1EEEEDaS1P_S1Q_EUlS1P_E_NS1_11comp_targetILNS1_3genE9ELNS1_11target_archE1100ELNS1_3gpuE3ELNS1_3repE0EEENS1_30default_config_static_selectorELNS0_4arch9wavefront6targetE1EEEvS12_: ; @_ZN7rocprim17ROCPRIM_400000_NS6detail17trampoline_kernelINS0_13select_configILj256ELj13ELNS0_17block_load_methodE3ELS4_3ELS4_3ELNS0_20block_scan_algorithmE0ELj4294967295EEENS1_25partition_config_selectorILNS1_17partition_subalgoE4EjNS0_10empty_typeEbEEZZNS1_14partition_implILS8_4ELb0ES6_15HIP_vector_typeIjLj2EENS0_17counting_iteratorIjlEEPS9_SG_NS0_5tupleIJPjSI_NS0_16reverse_iteratorISI_EEEEENSH_IJSG_SG_SG_EEES9_SI_JZNS1_25segmented_radix_sort_implINS0_14default_configELb1EPKaPaPKlPlN2at6native12_GLOBAL__N_18offset_tEEE10hipError_tPvRmT1_PNSt15iterator_traitsIS12_E10value_typeET2_T3_PNS13_IS18_E10value_typeET4_jRbjT5_S1E_jjP12ihipStream_tbEUljE_ZNSN_ISO_Lb1ESQ_SR_ST_SU_SY_EESZ_S10_S11_S12_S16_S17_S18_S1B_S1C_jS1D_jS1E_S1E_jjS1G_bEUljE0_EEESZ_S10_S11_S18_S1C_S1E_T6_T7_T9_mT8_S1G_bDpT10_ENKUlT_T0_E_clISt17integral_constantIbLb0EES1T_IbLb1EEEEDaS1P_S1Q_EUlS1P_E_NS1_11comp_targetILNS1_3genE9ELNS1_11target_archE1100ELNS1_3gpuE3ELNS1_3repE0EEENS1_30default_config_static_selectorELNS0_4arch9wavefront6targetE1EEEvS12_
; %bb.0:
	.section	.rodata,"a",@progbits
	.p2align	6, 0x0
	.amdhsa_kernel _ZN7rocprim17ROCPRIM_400000_NS6detail17trampoline_kernelINS0_13select_configILj256ELj13ELNS0_17block_load_methodE3ELS4_3ELS4_3ELNS0_20block_scan_algorithmE0ELj4294967295EEENS1_25partition_config_selectorILNS1_17partition_subalgoE4EjNS0_10empty_typeEbEEZZNS1_14partition_implILS8_4ELb0ES6_15HIP_vector_typeIjLj2EENS0_17counting_iteratorIjlEEPS9_SG_NS0_5tupleIJPjSI_NS0_16reverse_iteratorISI_EEEEENSH_IJSG_SG_SG_EEES9_SI_JZNS1_25segmented_radix_sort_implINS0_14default_configELb1EPKaPaPKlPlN2at6native12_GLOBAL__N_18offset_tEEE10hipError_tPvRmT1_PNSt15iterator_traitsIS12_E10value_typeET2_T3_PNS13_IS18_E10value_typeET4_jRbjT5_S1E_jjP12ihipStream_tbEUljE_ZNSN_ISO_Lb1ESQ_SR_ST_SU_SY_EESZ_S10_S11_S12_S16_S17_S18_S1B_S1C_jS1D_jS1E_S1E_jjS1G_bEUljE0_EEESZ_S10_S11_S18_S1C_S1E_T6_T7_T9_mT8_S1G_bDpT10_ENKUlT_T0_E_clISt17integral_constantIbLb0EES1T_IbLb1EEEEDaS1P_S1Q_EUlS1P_E_NS1_11comp_targetILNS1_3genE9ELNS1_11target_archE1100ELNS1_3gpuE3ELNS1_3repE0EEENS1_30default_config_static_selectorELNS0_4arch9wavefront6targetE1EEEvS12_
		.amdhsa_group_segment_fixed_size 0
		.amdhsa_private_segment_fixed_size 0
		.amdhsa_kernarg_size 184
		.amdhsa_user_sgpr_count 6
		.amdhsa_user_sgpr_private_segment_buffer 1
		.amdhsa_user_sgpr_dispatch_ptr 0
		.amdhsa_user_sgpr_queue_ptr 0
		.amdhsa_user_sgpr_kernarg_segment_ptr 1
		.amdhsa_user_sgpr_dispatch_id 0
		.amdhsa_user_sgpr_flat_scratch_init 0
		.amdhsa_user_sgpr_private_segment_size 0
		.amdhsa_uses_dynamic_stack 0
		.amdhsa_system_sgpr_private_segment_wavefront_offset 0
		.amdhsa_system_sgpr_workgroup_id_x 1
		.amdhsa_system_sgpr_workgroup_id_y 0
		.amdhsa_system_sgpr_workgroup_id_z 0
		.amdhsa_system_sgpr_workgroup_info 0
		.amdhsa_system_vgpr_workitem_id 0
		.amdhsa_next_free_vgpr 1
		.amdhsa_next_free_sgpr 0
		.amdhsa_reserve_vcc 0
		.amdhsa_reserve_flat_scratch 0
		.amdhsa_float_round_mode_32 0
		.amdhsa_float_round_mode_16_64 0
		.amdhsa_float_denorm_mode_32 3
		.amdhsa_float_denorm_mode_16_64 3
		.amdhsa_dx10_clamp 1
		.amdhsa_ieee_mode 1
		.amdhsa_fp16_overflow 0
		.amdhsa_exception_fp_ieee_invalid_op 0
		.amdhsa_exception_fp_denorm_src 0
		.amdhsa_exception_fp_ieee_div_zero 0
		.amdhsa_exception_fp_ieee_overflow 0
		.amdhsa_exception_fp_ieee_underflow 0
		.amdhsa_exception_fp_ieee_inexact 0
		.amdhsa_exception_int_div_zero 0
	.end_amdhsa_kernel
	.section	.text._ZN7rocprim17ROCPRIM_400000_NS6detail17trampoline_kernelINS0_13select_configILj256ELj13ELNS0_17block_load_methodE3ELS4_3ELS4_3ELNS0_20block_scan_algorithmE0ELj4294967295EEENS1_25partition_config_selectorILNS1_17partition_subalgoE4EjNS0_10empty_typeEbEEZZNS1_14partition_implILS8_4ELb0ES6_15HIP_vector_typeIjLj2EENS0_17counting_iteratorIjlEEPS9_SG_NS0_5tupleIJPjSI_NS0_16reverse_iteratorISI_EEEEENSH_IJSG_SG_SG_EEES9_SI_JZNS1_25segmented_radix_sort_implINS0_14default_configELb1EPKaPaPKlPlN2at6native12_GLOBAL__N_18offset_tEEE10hipError_tPvRmT1_PNSt15iterator_traitsIS12_E10value_typeET2_T3_PNS13_IS18_E10value_typeET4_jRbjT5_S1E_jjP12ihipStream_tbEUljE_ZNSN_ISO_Lb1ESQ_SR_ST_SU_SY_EESZ_S10_S11_S12_S16_S17_S18_S1B_S1C_jS1D_jS1E_S1E_jjS1G_bEUljE0_EEESZ_S10_S11_S18_S1C_S1E_T6_T7_T9_mT8_S1G_bDpT10_ENKUlT_T0_E_clISt17integral_constantIbLb0EES1T_IbLb1EEEEDaS1P_S1Q_EUlS1P_E_NS1_11comp_targetILNS1_3genE9ELNS1_11target_archE1100ELNS1_3gpuE3ELNS1_3repE0EEENS1_30default_config_static_selectorELNS0_4arch9wavefront6targetE1EEEvS12_,"axG",@progbits,_ZN7rocprim17ROCPRIM_400000_NS6detail17trampoline_kernelINS0_13select_configILj256ELj13ELNS0_17block_load_methodE3ELS4_3ELS4_3ELNS0_20block_scan_algorithmE0ELj4294967295EEENS1_25partition_config_selectorILNS1_17partition_subalgoE4EjNS0_10empty_typeEbEEZZNS1_14partition_implILS8_4ELb0ES6_15HIP_vector_typeIjLj2EENS0_17counting_iteratorIjlEEPS9_SG_NS0_5tupleIJPjSI_NS0_16reverse_iteratorISI_EEEEENSH_IJSG_SG_SG_EEES9_SI_JZNS1_25segmented_radix_sort_implINS0_14default_configELb1EPKaPaPKlPlN2at6native12_GLOBAL__N_18offset_tEEE10hipError_tPvRmT1_PNSt15iterator_traitsIS12_E10value_typeET2_T3_PNS13_IS18_E10value_typeET4_jRbjT5_S1E_jjP12ihipStream_tbEUljE_ZNSN_ISO_Lb1ESQ_SR_ST_SU_SY_EESZ_S10_S11_S12_S16_S17_S18_S1B_S1C_jS1D_jS1E_S1E_jjS1G_bEUljE0_EEESZ_S10_S11_S18_S1C_S1E_T6_T7_T9_mT8_S1G_bDpT10_ENKUlT_T0_E_clISt17integral_constantIbLb0EES1T_IbLb1EEEEDaS1P_S1Q_EUlS1P_E_NS1_11comp_targetILNS1_3genE9ELNS1_11target_archE1100ELNS1_3gpuE3ELNS1_3repE0EEENS1_30default_config_static_selectorELNS0_4arch9wavefront6targetE1EEEvS12_,comdat
.Lfunc_end256:
	.size	_ZN7rocprim17ROCPRIM_400000_NS6detail17trampoline_kernelINS0_13select_configILj256ELj13ELNS0_17block_load_methodE3ELS4_3ELS4_3ELNS0_20block_scan_algorithmE0ELj4294967295EEENS1_25partition_config_selectorILNS1_17partition_subalgoE4EjNS0_10empty_typeEbEEZZNS1_14partition_implILS8_4ELb0ES6_15HIP_vector_typeIjLj2EENS0_17counting_iteratorIjlEEPS9_SG_NS0_5tupleIJPjSI_NS0_16reverse_iteratorISI_EEEEENSH_IJSG_SG_SG_EEES9_SI_JZNS1_25segmented_radix_sort_implINS0_14default_configELb1EPKaPaPKlPlN2at6native12_GLOBAL__N_18offset_tEEE10hipError_tPvRmT1_PNSt15iterator_traitsIS12_E10value_typeET2_T3_PNS13_IS18_E10value_typeET4_jRbjT5_S1E_jjP12ihipStream_tbEUljE_ZNSN_ISO_Lb1ESQ_SR_ST_SU_SY_EESZ_S10_S11_S12_S16_S17_S18_S1B_S1C_jS1D_jS1E_S1E_jjS1G_bEUljE0_EEESZ_S10_S11_S18_S1C_S1E_T6_T7_T9_mT8_S1G_bDpT10_ENKUlT_T0_E_clISt17integral_constantIbLb0EES1T_IbLb1EEEEDaS1P_S1Q_EUlS1P_E_NS1_11comp_targetILNS1_3genE9ELNS1_11target_archE1100ELNS1_3gpuE3ELNS1_3repE0EEENS1_30default_config_static_selectorELNS0_4arch9wavefront6targetE1EEEvS12_, .Lfunc_end256-_ZN7rocprim17ROCPRIM_400000_NS6detail17trampoline_kernelINS0_13select_configILj256ELj13ELNS0_17block_load_methodE3ELS4_3ELS4_3ELNS0_20block_scan_algorithmE0ELj4294967295EEENS1_25partition_config_selectorILNS1_17partition_subalgoE4EjNS0_10empty_typeEbEEZZNS1_14partition_implILS8_4ELb0ES6_15HIP_vector_typeIjLj2EENS0_17counting_iteratorIjlEEPS9_SG_NS0_5tupleIJPjSI_NS0_16reverse_iteratorISI_EEEEENSH_IJSG_SG_SG_EEES9_SI_JZNS1_25segmented_radix_sort_implINS0_14default_configELb1EPKaPaPKlPlN2at6native12_GLOBAL__N_18offset_tEEE10hipError_tPvRmT1_PNSt15iterator_traitsIS12_E10value_typeET2_T3_PNS13_IS18_E10value_typeET4_jRbjT5_S1E_jjP12ihipStream_tbEUljE_ZNSN_ISO_Lb1ESQ_SR_ST_SU_SY_EESZ_S10_S11_S12_S16_S17_S18_S1B_S1C_jS1D_jS1E_S1E_jjS1G_bEUljE0_EEESZ_S10_S11_S18_S1C_S1E_T6_T7_T9_mT8_S1G_bDpT10_ENKUlT_T0_E_clISt17integral_constantIbLb0EES1T_IbLb1EEEEDaS1P_S1Q_EUlS1P_E_NS1_11comp_targetILNS1_3genE9ELNS1_11target_archE1100ELNS1_3gpuE3ELNS1_3repE0EEENS1_30default_config_static_selectorELNS0_4arch9wavefront6targetE1EEEvS12_
                                        ; -- End function
	.set _ZN7rocprim17ROCPRIM_400000_NS6detail17trampoline_kernelINS0_13select_configILj256ELj13ELNS0_17block_load_methodE3ELS4_3ELS4_3ELNS0_20block_scan_algorithmE0ELj4294967295EEENS1_25partition_config_selectorILNS1_17partition_subalgoE4EjNS0_10empty_typeEbEEZZNS1_14partition_implILS8_4ELb0ES6_15HIP_vector_typeIjLj2EENS0_17counting_iteratorIjlEEPS9_SG_NS0_5tupleIJPjSI_NS0_16reverse_iteratorISI_EEEEENSH_IJSG_SG_SG_EEES9_SI_JZNS1_25segmented_radix_sort_implINS0_14default_configELb1EPKaPaPKlPlN2at6native12_GLOBAL__N_18offset_tEEE10hipError_tPvRmT1_PNSt15iterator_traitsIS12_E10value_typeET2_T3_PNS13_IS18_E10value_typeET4_jRbjT5_S1E_jjP12ihipStream_tbEUljE_ZNSN_ISO_Lb1ESQ_SR_ST_SU_SY_EESZ_S10_S11_S12_S16_S17_S18_S1B_S1C_jS1D_jS1E_S1E_jjS1G_bEUljE0_EEESZ_S10_S11_S18_S1C_S1E_T6_T7_T9_mT8_S1G_bDpT10_ENKUlT_T0_E_clISt17integral_constantIbLb0EES1T_IbLb1EEEEDaS1P_S1Q_EUlS1P_E_NS1_11comp_targetILNS1_3genE9ELNS1_11target_archE1100ELNS1_3gpuE3ELNS1_3repE0EEENS1_30default_config_static_selectorELNS0_4arch9wavefront6targetE1EEEvS12_.num_vgpr, 0
	.set _ZN7rocprim17ROCPRIM_400000_NS6detail17trampoline_kernelINS0_13select_configILj256ELj13ELNS0_17block_load_methodE3ELS4_3ELS4_3ELNS0_20block_scan_algorithmE0ELj4294967295EEENS1_25partition_config_selectorILNS1_17partition_subalgoE4EjNS0_10empty_typeEbEEZZNS1_14partition_implILS8_4ELb0ES6_15HIP_vector_typeIjLj2EENS0_17counting_iteratorIjlEEPS9_SG_NS0_5tupleIJPjSI_NS0_16reverse_iteratorISI_EEEEENSH_IJSG_SG_SG_EEES9_SI_JZNS1_25segmented_radix_sort_implINS0_14default_configELb1EPKaPaPKlPlN2at6native12_GLOBAL__N_18offset_tEEE10hipError_tPvRmT1_PNSt15iterator_traitsIS12_E10value_typeET2_T3_PNS13_IS18_E10value_typeET4_jRbjT5_S1E_jjP12ihipStream_tbEUljE_ZNSN_ISO_Lb1ESQ_SR_ST_SU_SY_EESZ_S10_S11_S12_S16_S17_S18_S1B_S1C_jS1D_jS1E_S1E_jjS1G_bEUljE0_EEESZ_S10_S11_S18_S1C_S1E_T6_T7_T9_mT8_S1G_bDpT10_ENKUlT_T0_E_clISt17integral_constantIbLb0EES1T_IbLb1EEEEDaS1P_S1Q_EUlS1P_E_NS1_11comp_targetILNS1_3genE9ELNS1_11target_archE1100ELNS1_3gpuE3ELNS1_3repE0EEENS1_30default_config_static_selectorELNS0_4arch9wavefront6targetE1EEEvS12_.num_agpr, 0
	.set _ZN7rocprim17ROCPRIM_400000_NS6detail17trampoline_kernelINS0_13select_configILj256ELj13ELNS0_17block_load_methodE3ELS4_3ELS4_3ELNS0_20block_scan_algorithmE0ELj4294967295EEENS1_25partition_config_selectorILNS1_17partition_subalgoE4EjNS0_10empty_typeEbEEZZNS1_14partition_implILS8_4ELb0ES6_15HIP_vector_typeIjLj2EENS0_17counting_iteratorIjlEEPS9_SG_NS0_5tupleIJPjSI_NS0_16reverse_iteratorISI_EEEEENSH_IJSG_SG_SG_EEES9_SI_JZNS1_25segmented_radix_sort_implINS0_14default_configELb1EPKaPaPKlPlN2at6native12_GLOBAL__N_18offset_tEEE10hipError_tPvRmT1_PNSt15iterator_traitsIS12_E10value_typeET2_T3_PNS13_IS18_E10value_typeET4_jRbjT5_S1E_jjP12ihipStream_tbEUljE_ZNSN_ISO_Lb1ESQ_SR_ST_SU_SY_EESZ_S10_S11_S12_S16_S17_S18_S1B_S1C_jS1D_jS1E_S1E_jjS1G_bEUljE0_EEESZ_S10_S11_S18_S1C_S1E_T6_T7_T9_mT8_S1G_bDpT10_ENKUlT_T0_E_clISt17integral_constantIbLb0EES1T_IbLb1EEEEDaS1P_S1Q_EUlS1P_E_NS1_11comp_targetILNS1_3genE9ELNS1_11target_archE1100ELNS1_3gpuE3ELNS1_3repE0EEENS1_30default_config_static_selectorELNS0_4arch9wavefront6targetE1EEEvS12_.numbered_sgpr, 0
	.set _ZN7rocprim17ROCPRIM_400000_NS6detail17trampoline_kernelINS0_13select_configILj256ELj13ELNS0_17block_load_methodE3ELS4_3ELS4_3ELNS0_20block_scan_algorithmE0ELj4294967295EEENS1_25partition_config_selectorILNS1_17partition_subalgoE4EjNS0_10empty_typeEbEEZZNS1_14partition_implILS8_4ELb0ES6_15HIP_vector_typeIjLj2EENS0_17counting_iteratorIjlEEPS9_SG_NS0_5tupleIJPjSI_NS0_16reverse_iteratorISI_EEEEENSH_IJSG_SG_SG_EEES9_SI_JZNS1_25segmented_radix_sort_implINS0_14default_configELb1EPKaPaPKlPlN2at6native12_GLOBAL__N_18offset_tEEE10hipError_tPvRmT1_PNSt15iterator_traitsIS12_E10value_typeET2_T3_PNS13_IS18_E10value_typeET4_jRbjT5_S1E_jjP12ihipStream_tbEUljE_ZNSN_ISO_Lb1ESQ_SR_ST_SU_SY_EESZ_S10_S11_S12_S16_S17_S18_S1B_S1C_jS1D_jS1E_S1E_jjS1G_bEUljE0_EEESZ_S10_S11_S18_S1C_S1E_T6_T7_T9_mT8_S1G_bDpT10_ENKUlT_T0_E_clISt17integral_constantIbLb0EES1T_IbLb1EEEEDaS1P_S1Q_EUlS1P_E_NS1_11comp_targetILNS1_3genE9ELNS1_11target_archE1100ELNS1_3gpuE3ELNS1_3repE0EEENS1_30default_config_static_selectorELNS0_4arch9wavefront6targetE1EEEvS12_.num_named_barrier, 0
	.set _ZN7rocprim17ROCPRIM_400000_NS6detail17trampoline_kernelINS0_13select_configILj256ELj13ELNS0_17block_load_methodE3ELS4_3ELS4_3ELNS0_20block_scan_algorithmE0ELj4294967295EEENS1_25partition_config_selectorILNS1_17partition_subalgoE4EjNS0_10empty_typeEbEEZZNS1_14partition_implILS8_4ELb0ES6_15HIP_vector_typeIjLj2EENS0_17counting_iteratorIjlEEPS9_SG_NS0_5tupleIJPjSI_NS0_16reverse_iteratorISI_EEEEENSH_IJSG_SG_SG_EEES9_SI_JZNS1_25segmented_radix_sort_implINS0_14default_configELb1EPKaPaPKlPlN2at6native12_GLOBAL__N_18offset_tEEE10hipError_tPvRmT1_PNSt15iterator_traitsIS12_E10value_typeET2_T3_PNS13_IS18_E10value_typeET4_jRbjT5_S1E_jjP12ihipStream_tbEUljE_ZNSN_ISO_Lb1ESQ_SR_ST_SU_SY_EESZ_S10_S11_S12_S16_S17_S18_S1B_S1C_jS1D_jS1E_S1E_jjS1G_bEUljE0_EEESZ_S10_S11_S18_S1C_S1E_T6_T7_T9_mT8_S1G_bDpT10_ENKUlT_T0_E_clISt17integral_constantIbLb0EES1T_IbLb1EEEEDaS1P_S1Q_EUlS1P_E_NS1_11comp_targetILNS1_3genE9ELNS1_11target_archE1100ELNS1_3gpuE3ELNS1_3repE0EEENS1_30default_config_static_selectorELNS0_4arch9wavefront6targetE1EEEvS12_.private_seg_size, 0
	.set _ZN7rocprim17ROCPRIM_400000_NS6detail17trampoline_kernelINS0_13select_configILj256ELj13ELNS0_17block_load_methodE3ELS4_3ELS4_3ELNS0_20block_scan_algorithmE0ELj4294967295EEENS1_25partition_config_selectorILNS1_17partition_subalgoE4EjNS0_10empty_typeEbEEZZNS1_14partition_implILS8_4ELb0ES6_15HIP_vector_typeIjLj2EENS0_17counting_iteratorIjlEEPS9_SG_NS0_5tupleIJPjSI_NS0_16reverse_iteratorISI_EEEEENSH_IJSG_SG_SG_EEES9_SI_JZNS1_25segmented_radix_sort_implINS0_14default_configELb1EPKaPaPKlPlN2at6native12_GLOBAL__N_18offset_tEEE10hipError_tPvRmT1_PNSt15iterator_traitsIS12_E10value_typeET2_T3_PNS13_IS18_E10value_typeET4_jRbjT5_S1E_jjP12ihipStream_tbEUljE_ZNSN_ISO_Lb1ESQ_SR_ST_SU_SY_EESZ_S10_S11_S12_S16_S17_S18_S1B_S1C_jS1D_jS1E_S1E_jjS1G_bEUljE0_EEESZ_S10_S11_S18_S1C_S1E_T6_T7_T9_mT8_S1G_bDpT10_ENKUlT_T0_E_clISt17integral_constantIbLb0EES1T_IbLb1EEEEDaS1P_S1Q_EUlS1P_E_NS1_11comp_targetILNS1_3genE9ELNS1_11target_archE1100ELNS1_3gpuE3ELNS1_3repE0EEENS1_30default_config_static_selectorELNS0_4arch9wavefront6targetE1EEEvS12_.uses_vcc, 0
	.set _ZN7rocprim17ROCPRIM_400000_NS6detail17trampoline_kernelINS0_13select_configILj256ELj13ELNS0_17block_load_methodE3ELS4_3ELS4_3ELNS0_20block_scan_algorithmE0ELj4294967295EEENS1_25partition_config_selectorILNS1_17partition_subalgoE4EjNS0_10empty_typeEbEEZZNS1_14partition_implILS8_4ELb0ES6_15HIP_vector_typeIjLj2EENS0_17counting_iteratorIjlEEPS9_SG_NS0_5tupleIJPjSI_NS0_16reverse_iteratorISI_EEEEENSH_IJSG_SG_SG_EEES9_SI_JZNS1_25segmented_radix_sort_implINS0_14default_configELb1EPKaPaPKlPlN2at6native12_GLOBAL__N_18offset_tEEE10hipError_tPvRmT1_PNSt15iterator_traitsIS12_E10value_typeET2_T3_PNS13_IS18_E10value_typeET4_jRbjT5_S1E_jjP12ihipStream_tbEUljE_ZNSN_ISO_Lb1ESQ_SR_ST_SU_SY_EESZ_S10_S11_S12_S16_S17_S18_S1B_S1C_jS1D_jS1E_S1E_jjS1G_bEUljE0_EEESZ_S10_S11_S18_S1C_S1E_T6_T7_T9_mT8_S1G_bDpT10_ENKUlT_T0_E_clISt17integral_constantIbLb0EES1T_IbLb1EEEEDaS1P_S1Q_EUlS1P_E_NS1_11comp_targetILNS1_3genE9ELNS1_11target_archE1100ELNS1_3gpuE3ELNS1_3repE0EEENS1_30default_config_static_selectorELNS0_4arch9wavefront6targetE1EEEvS12_.uses_flat_scratch, 0
	.set _ZN7rocprim17ROCPRIM_400000_NS6detail17trampoline_kernelINS0_13select_configILj256ELj13ELNS0_17block_load_methodE3ELS4_3ELS4_3ELNS0_20block_scan_algorithmE0ELj4294967295EEENS1_25partition_config_selectorILNS1_17partition_subalgoE4EjNS0_10empty_typeEbEEZZNS1_14partition_implILS8_4ELb0ES6_15HIP_vector_typeIjLj2EENS0_17counting_iteratorIjlEEPS9_SG_NS0_5tupleIJPjSI_NS0_16reverse_iteratorISI_EEEEENSH_IJSG_SG_SG_EEES9_SI_JZNS1_25segmented_radix_sort_implINS0_14default_configELb1EPKaPaPKlPlN2at6native12_GLOBAL__N_18offset_tEEE10hipError_tPvRmT1_PNSt15iterator_traitsIS12_E10value_typeET2_T3_PNS13_IS18_E10value_typeET4_jRbjT5_S1E_jjP12ihipStream_tbEUljE_ZNSN_ISO_Lb1ESQ_SR_ST_SU_SY_EESZ_S10_S11_S12_S16_S17_S18_S1B_S1C_jS1D_jS1E_S1E_jjS1G_bEUljE0_EEESZ_S10_S11_S18_S1C_S1E_T6_T7_T9_mT8_S1G_bDpT10_ENKUlT_T0_E_clISt17integral_constantIbLb0EES1T_IbLb1EEEEDaS1P_S1Q_EUlS1P_E_NS1_11comp_targetILNS1_3genE9ELNS1_11target_archE1100ELNS1_3gpuE3ELNS1_3repE0EEENS1_30default_config_static_selectorELNS0_4arch9wavefront6targetE1EEEvS12_.has_dyn_sized_stack, 0
	.set _ZN7rocprim17ROCPRIM_400000_NS6detail17trampoline_kernelINS0_13select_configILj256ELj13ELNS0_17block_load_methodE3ELS4_3ELS4_3ELNS0_20block_scan_algorithmE0ELj4294967295EEENS1_25partition_config_selectorILNS1_17partition_subalgoE4EjNS0_10empty_typeEbEEZZNS1_14partition_implILS8_4ELb0ES6_15HIP_vector_typeIjLj2EENS0_17counting_iteratorIjlEEPS9_SG_NS0_5tupleIJPjSI_NS0_16reverse_iteratorISI_EEEEENSH_IJSG_SG_SG_EEES9_SI_JZNS1_25segmented_radix_sort_implINS0_14default_configELb1EPKaPaPKlPlN2at6native12_GLOBAL__N_18offset_tEEE10hipError_tPvRmT1_PNSt15iterator_traitsIS12_E10value_typeET2_T3_PNS13_IS18_E10value_typeET4_jRbjT5_S1E_jjP12ihipStream_tbEUljE_ZNSN_ISO_Lb1ESQ_SR_ST_SU_SY_EESZ_S10_S11_S12_S16_S17_S18_S1B_S1C_jS1D_jS1E_S1E_jjS1G_bEUljE0_EEESZ_S10_S11_S18_S1C_S1E_T6_T7_T9_mT8_S1G_bDpT10_ENKUlT_T0_E_clISt17integral_constantIbLb0EES1T_IbLb1EEEEDaS1P_S1Q_EUlS1P_E_NS1_11comp_targetILNS1_3genE9ELNS1_11target_archE1100ELNS1_3gpuE3ELNS1_3repE0EEENS1_30default_config_static_selectorELNS0_4arch9wavefront6targetE1EEEvS12_.has_recursion, 0
	.set _ZN7rocprim17ROCPRIM_400000_NS6detail17trampoline_kernelINS0_13select_configILj256ELj13ELNS0_17block_load_methodE3ELS4_3ELS4_3ELNS0_20block_scan_algorithmE0ELj4294967295EEENS1_25partition_config_selectorILNS1_17partition_subalgoE4EjNS0_10empty_typeEbEEZZNS1_14partition_implILS8_4ELb0ES6_15HIP_vector_typeIjLj2EENS0_17counting_iteratorIjlEEPS9_SG_NS0_5tupleIJPjSI_NS0_16reverse_iteratorISI_EEEEENSH_IJSG_SG_SG_EEES9_SI_JZNS1_25segmented_radix_sort_implINS0_14default_configELb1EPKaPaPKlPlN2at6native12_GLOBAL__N_18offset_tEEE10hipError_tPvRmT1_PNSt15iterator_traitsIS12_E10value_typeET2_T3_PNS13_IS18_E10value_typeET4_jRbjT5_S1E_jjP12ihipStream_tbEUljE_ZNSN_ISO_Lb1ESQ_SR_ST_SU_SY_EESZ_S10_S11_S12_S16_S17_S18_S1B_S1C_jS1D_jS1E_S1E_jjS1G_bEUljE0_EEESZ_S10_S11_S18_S1C_S1E_T6_T7_T9_mT8_S1G_bDpT10_ENKUlT_T0_E_clISt17integral_constantIbLb0EES1T_IbLb1EEEEDaS1P_S1Q_EUlS1P_E_NS1_11comp_targetILNS1_3genE9ELNS1_11target_archE1100ELNS1_3gpuE3ELNS1_3repE0EEENS1_30default_config_static_selectorELNS0_4arch9wavefront6targetE1EEEvS12_.has_indirect_call, 0
	.section	.AMDGPU.csdata,"",@progbits
; Kernel info:
; codeLenInByte = 0
; TotalNumSgprs: 4
; NumVgprs: 0
; ScratchSize: 0
; MemoryBound: 0
; FloatMode: 240
; IeeeMode: 1
; LDSByteSize: 0 bytes/workgroup (compile time only)
; SGPRBlocks: 0
; VGPRBlocks: 0
; NumSGPRsForWavesPerEU: 4
; NumVGPRsForWavesPerEU: 1
; Occupancy: 10
; WaveLimiterHint : 0
; COMPUTE_PGM_RSRC2:SCRATCH_EN: 0
; COMPUTE_PGM_RSRC2:USER_SGPR: 6
; COMPUTE_PGM_RSRC2:TRAP_HANDLER: 0
; COMPUTE_PGM_RSRC2:TGID_X_EN: 1
; COMPUTE_PGM_RSRC2:TGID_Y_EN: 0
; COMPUTE_PGM_RSRC2:TGID_Z_EN: 0
; COMPUTE_PGM_RSRC2:TIDIG_COMP_CNT: 0
	.section	.text._ZN7rocprim17ROCPRIM_400000_NS6detail17trampoline_kernelINS0_13select_configILj256ELj13ELNS0_17block_load_methodE3ELS4_3ELS4_3ELNS0_20block_scan_algorithmE0ELj4294967295EEENS1_25partition_config_selectorILNS1_17partition_subalgoE4EjNS0_10empty_typeEbEEZZNS1_14partition_implILS8_4ELb0ES6_15HIP_vector_typeIjLj2EENS0_17counting_iteratorIjlEEPS9_SG_NS0_5tupleIJPjSI_NS0_16reverse_iteratorISI_EEEEENSH_IJSG_SG_SG_EEES9_SI_JZNS1_25segmented_radix_sort_implINS0_14default_configELb1EPKaPaPKlPlN2at6native12_GLOBAL__N_18offset_tEEE10hipError_tPvRmT1_PNSt15iterator_traitsIS12_E10value_typeET2_T3_PNS13_IS18_E10value_typeET4_jRbjT5_S1E_jjP12ihipStream_tbEUljE_ZNSN_ISO_Lb1ESQ_SR_ST_SU_SY_EESZ_S10_S11_S12_S16_S17_S18_S1B_S1C_jS1D_jS1E_S1E_jjS1G_bEUljE0_EEESZ_S10_S11_S18_S1C_S1E_T6_T7_T9_mT8_S1G_bDpT10_ENKUlT_T0_E_clISt17integral_constantIbLb0EES1T_IbLb1EEEEDaS1P_S1Q_EUlS1P_E_NS1_11comp_targetILNS1_3genE8ELNS1_11target_archE1030ELNS1_3gpuE2ELNS1_3repE0EEENS1_30default_config_static_selectorELNS0_4arch9wavefront6targetE1EEEvS12_,"axG",@progbits,_ZN7rocprim17ROCPRIM_400000_NS6detail17trampoline_kernelINS0_13select_configILj256ELj13ELNS0_17block_load_methodE3ELS4_3ELS4_3ELNS0_20block_scan_algorithmE0ELj4294967295EEENS1_25partition_config_selectorILNS1_17partition_subalgoE4EjNS0_10empty_typeEbEEZZNS1_14partition_implILS8_4ELb0ES6_15HIP_vector_typeIjLj2EENS0_17counting_iteratorIjlEEPS9_SG_NS0_5tupleIJPjSI_NS0_16reverse_iteratorISI_EEEEENSH_IJSG_SG_SG_EEES9_SI_JZNS1_25segmented_radix_sort_implINS0_14default_configELb1EPKaPaPKlPlN2at6native12_GLOBAL__N_18offset_tEEE10hipError_tPvRmT1_PNSt15iterator_traitsIS12_E10value_typeET2_T3_PNS13_IS18_E10value_typeET4_jRbjT5_S1E_jjP12ihipStream_tbEUljE_ZNSN_ISO_Lb1ESQ_SR_ST_SU_SY_EESZ_S10_S11_S12_S16_S17_S18_S1B_S1C_jS1D_jS1E_S1E_jjS1G_bEUljE0_EEESZ_S10_S11_S18_S1C_S1E_T6_T7_T9_mT8_S1G_bDpT10_ENKUlT_T0_E_clISt17integral_constantIbLb0EES1T_IbLb1EEEEDaS1P_S1Q_EUlS1P_E_NS1_11comp_targetILNS1_3genE8ELNS1_11target_archE1030ELNS1_3gpuE2ELNS1_3repE0EEENS1_30default_config_static_selectorELNS0_4arch9wavefront6targetE1EEEvS12_,comdat
	.globl	_ZN7rocprim17ROCPRIM_400000_NS6detail17trampoline_kernelINS0_13select_configILj256ELj13ELNS0_17block_load_methodE3ELS4_3ELS4_3ELNS0_20block_scan_algorithmE0ELj4294967295EEENS1_25partition_config_selectorILNS1_17partition_subalgoE4EjNS0_10empty_typeEbEEZZNS1_14partition_implILS8_4ELb0ES6_15HIP_vector_typeIjLj2EENS0_17counting_iteratorIjlEEPS9_SG_NS0_5tupleIJPjSI_NS0_16reverse_iteratorISI_EEEEENSH_IJSG_SG_SG_EEES9_SI_JZNS1_25segmented_radix_sort_implINS0_14default_configELb1EPKaPaPKlPlN2at6native12_GLOBAL__N_18offset_tEEE10hipError_tPvRmT1_PNSt15iterator_traitsIS12_E10value_typeET2_T3_PNS13_IS18_E10value_typeET4_jRbjT5_S1E_jjP12ihipStream_tbEUljE_ZNSN_ISO_Lb1ESQ_SR_ST_SU_SY_EESZ_S10_S11_S12_S16_S17_S18_S1B_S1C_jS1D_jS1E_S1E_jjS1G_bEUljE0_EEESZ_S10_S11_S18_S1C_S1E_T6_T7_T9_mT8_S1G_bDpT10_ENKUlT_T0_E_clISt17integral_constantIbLb0EES1T_IbLb1EEEEDaS1P_S1Q_EUlS1P_E_NS1_11comp_targetILNS1_3genE8ELNS1_11target_archE1030ELNS1_3gpuE2ELNS1_3repE0EEENS1_30default_config_static_selectorELNS0_4arch9wavefront6targetE1EEEvS12_ ; -- Begin function _ZN7rocprim17ROCPRIM_400000_NS6detail17trampoline_kernelINS0_13select_configILj256ELj13ELNS0_17block_load_methodE3ELS4_3ELS4_3ELNS0_20block_scan_algorithmE0ELj4294967295EEENS1_25partition_config_selectorILNS1_17partition_subalgoE4EjNS0_10empty_typeEbEEZZNS1_14partition_implILS8_4ELb0ES6_15HIP_vector_typeIjLj2EENS0_17counting_iteratorIjlEEPS9_SG_NS0_5tupleIJPjSI_NS0_16reverse_iteratorISI_EEEEENSH_IJSG_SG_SG_EEES9_SI_JZNS1_25segmented_radix_sort_implINS0_14default_configELb1EPKaPaPKlPlN2at6native12_GLOBAL__N_18offset_tEEE10hipError_tPvRmT1_PNSt15iterator_traitsIS12_E10value_typeET2_T3_PNS13_IS18_E10value_typeET4_jRbjT5_S1E_jjP12ihipStream_tbEUljE_ZNSN_ISO_Lb1ESQ_SR_ST_SU_SY_EESZ_S10_S11_S12_S16_S17_S18_S1B_S1C_jS1D_jS1E_S1E_jjS1G_bEUljE0_EEESZ_S10_S11_S18_S1C_S1E_T6_T7_T9_mT8_S1G_bDpT10_ENKUlT_T0_E_clISt17integral_constantIbLb0EES1T_IbLb1EEEEDaS1P_S1Q_EUlS1P_E_NS1_11comp_targetILNS1_3genE8ELNS1_11target_archE1030ELNS1_3gpuE2ELNS1_3repE0EEENS1_30default_config_static_selectorELNS0_4arch9wavefront6targetE1EEEvS12_
	.p2align	8
	.type	_ZN7rocprim17ROCPRIM_400000_NS6detail17trampoline_kernelINS0_13select_configILj256ELj13ELNS0_17block_load_methodE3ELS4_3ELS4_3ELNS0_20block_scan_algorithmE0ELj4294967295EEENS1_25partition_config_selectorILNS1_17partition_subalgoE4EjNS0_10empty_typeEbEEZZNS1_14partition_implILS8_4ELb0ES6_15HIP_vector_typeIjLj2EENS0_17counting_iteratorIjlEEPS9_SG_NS0_5tupleIJPjSI_NS0_16reverse_iteratorISI_EEEEENSH_IJSG_SG_SG_EEES9_SI_JZNS1_25segmented_radix_sort_implINS0_14default_configELb1EPKaPaPKlPlN2at6native12_GLOBAL__N_18offset_tEEE10hipError_tPvRmT1_PNSt15iterator_traitsIS12_E10value_typeET2_T3_PNS13_IS18_E10value_typeET4_jRbjT5_S1E_jjP12ihipStream_tbEUljE_ZNSN_ISO_Lb1ESQ_SR_ST_SU_SY_EESZ_S10_S11_S12_S16_S17_S18_S1B_S1C_jS1D_jS1E_S1E_jjS1G_bEUljE0_EEESZ_S10_S11_S18_S1C_S1E_T6_T7_T9_mT8_S1G_bDpT10_ENKUlT_T0_E_clISt17integral_constantIbLb0EES1T_IbLb1EEEEDaS1P_S1Q_EUlS1P_E_NS1_11comp_targetILNS1_3genE8ELNS1_11target_archE1030ELNS1_3gpuE2ELNS1_3repE0EEENS1_30default_config_static_selectorELNS0_4arch9wavefront6targetE1EEEvS12_,@function
_ZN7rocprim17ROCPRIM_400000_NS6detail17trampoline_kernelINS0_13select_configILj256ELj13ELNS0_17block_load_methodE3ELS4_3ELS4_3ELNS0_20block_scan_algorithmE0ELj4294967295EEENS1_25partition_config_selectorILNS1_17partition_subalgoE4EjNS0_10empty_typeEbEEZZNS1_14partition_implILS8_4ELb0ES6_15HIP_vector_typeIjLj2EENS0_17counting_iteratorIjlEEPS9_SG_NS0_5tupleIJPjSI_NS0_16reverse_iteratorISI_EEEEENSH_IJSG_SG_SG_EEES9_SI_JZNS1_25segmented_radix_sort_implINS0_14default_configELb1EPKaPaPKlPlN2at6native12_GLOBAL__N_18offset_tEEE10hipError_tPvRmT1_PNSt15iterator_traitsIS12_E10value_typeET2_T3_PNS13_IS18_E10value_typeET4_jRbjT5_S1E_jjP12ihipStream_tbEUljE_ZNSN_ISO_Lb1ESQ_SR_ST_SU_SY_EESZ_S10_S11_S12_S16_S17_S18_S1B_S1C_jS1D_jS1E_S1E_jjS1G_bEUljE0_EEESZ_S10_S11_S18_S1C_S1E_T6_T7_T9_mT8_S1G_bDpT10_ENKUlT_T0_E_clISt17integral_constantIbLb0EES1T_IbLb1EEEEDaS1P_S1Q_EUlS1P_E_NS1_11comp_targetILNS1_3genE8ELNS1_11target_archE1030ELNS1_3gpuE2ELNS1_3repE0EEENS1_30default_config_static_selectorELNS0_4arch9wavefront6targetE1EEEvS12_: ; @_ZN7rocprim17ROCPRIM_400000_NS6detail17trampoline_kernelINS0_13select_configILj256ELj13ELNS0_17block_load_methodE3ELS4_3ELS4_3ELNS0_20block_scan_algorithmE0ELj4294967295EEENS1_25partition_config_selectorILNS1_17partition_subalgoE4EjNS0_10empty_typeEbEEZZNS1_14partition_implILS8_4ELb0ES6_15HIP_vector_typeIjLj2EENS0_17counting_iteratorIjlEEPS9_SG_NS0_5tupleIJPjSI_NS0_16reverse_iteratorISI_EEEEENSH_IJSG_SG_SG_EEES9_SI_JZNS1_25segmented_radix_sort_implINS0_14default_configELb1EPKaPaPKlPlN2at6native12_GLOBAL__N_18offset_tEEE10hipError_tPvRmT1_PNSt15iterator_traitsIS12_E10value_typeET2_T3_PNS13_IS18_E10value_typeET4_jRbjT5_S1E_jjP12ihipStream_tbEUljE_ZNSN_ISO_Lb1ESQ_SR_ST_SU_SY_EESZ_S10_S11_S12_S16_S17_S18_S1B_S1C_jS1D_jS1E_S1E_jjS1G_bEUljE0_EEESZ_S10_S11_S18_S1C_S1E_T6_T7_T9_mT8_S1G_bDpT10_ENKUlT_T0_E_clISt17integral_constantIbLb0EES1T_IbLb1EEEEDaS1P_S1Q_EUlS1P_E_NS1_11comp_targetILNS1_3genE8ELNS1_11target_archE1030ELNS1_3gpuE2ELNS1_3repE0EEENS1_30default_config_static_selectorELNS0_4arch9wavefront6targetE1EEEvS12_
; %bb.0:
	.section	.rodata,"a",@progbits
	.p2align	6, 0x0
	.amdhsa_kernel _ZN7rocprim17ROCPRIM_400000_NS6detail17trampoline_kernelINS0_13select_configILj256ELj13ELNS0_17block_load_methodE3ELS4_3ELS4_3ELNS0_20block_scan_algorithmE0ELj4294967295EEENS1_25partition_config_selectorILNS1_17partition_subalgoE4EjNS0_10empty_typeEbEEZZNS1_14partition_implILS8_4ELb0ES6_15HIP_vector_typeIjLj2EENS0_17counting_iteratorIjlEEPS9_SG_NS0_5tupleIJPjSI_NS0_16reverse_iteratorISI_EEEEENSH_IJSG_SG_SG_EEES9_SI_JZNS1_25segmented_radix_sort_implINS0_14default_configELb1EPKaPaPKlPlN2at6native12_GLOBAL__N_18offset_tEEE10hipError_tPvRmT1_PNSt15iterator_traitsIS12_E10value_typeET2_T3_PNS13_IS18_E10value_typeET4_jRbjT5_S1E_jjP12ihipStream_tbEUljE_ZNSN_ISO_Lb1ESQ_SR_ST_SU_SY_EESZ_S10_S11_S12_S16_S17_S18_S1B_S1C_jS1D_jS1E_S1E_jjS1G_bEUljE0_EEESZ_S10_S11_S18_S1C_S1E_T6_T7_T9_mT8_S1G_bDpT10_ENKUlT_T0_E_clISt17integral_constantIbLb0EES1T_IbLb1EEEEDaS1P_S1Q_EUlS1P_E_NS1_11comp_targetILNS1_3genE8ELNS1_11target_archE1030ELNS1_3gpuE2ELNS1_3repE0EEENS1_30default_config_static_selectorELNS0_4arch9wavefront6targetE1EEEvS12_
		.amdhsa_group_segment_fixed_size 0
		.amdhsa_private_segment_fixed_size 0
		.amdhsa_kernarg_size 184
		.amdhsa_user_sgpr_count 6
		.amdhsa_user_sgpr_private_segment_buffer 1
		.amdhsa_user_sgpr_dispatch_ptr 0
		.amdhsa_user_sgpr_queue_ptr 0
		.amdhsa_user_sgpr_kernarg_segment_ptr 1
		.amdhsa_user_sgpr_dispatch_id 0
		.amdhsa_user_sgpr_flat_scratch_init 0
		.amdhsa_user_sgpr_private_segment_size 0
		.amdhsa_uses_dynamic_stack 0
		.amdhsa_system_sgpr_private_segment_wavefront_offset 0
		.amdhsa_system_sgpr_workgroup_id_x 1
		.amdhsa_system_sgpr_workgroup_id_y 0
		.amdhsa_system_sgpr_workgroup_id_z 0
		.amdhsa_system_sgpr_workgroup_info 0
		.amdhsa_system_vgpr_workitem_id 0
		.amdhsa_next_free_vgpr 1
		.amdhsa_next_free_sgpr 0
		.amdhsa_reserve_vcc 0
		.amdhsa_reserve_flat_scratch 0
		.amdhsa_float_round_mode_32 0
		.amdhsa_float_round_mode_16_64 0
		.amdhsa_float_denorm_mode_32 3
		.amdhsa_float_denorm_mode_16_64 3
		.amdhsa_dx10_clamp 1
		.amdhsa_ieee_mode 1
		.amdhsa_fp16_overflow 0
		.amdhsa_exception_fp_ieee_invalid_op 0
		.amdhsa_exception_fp_denorm_src 0
		.amdhsa_exception_fp_ieee_div_zero 0
		.amdhsa_exception_fp_ieee_overflow 0
		.amdhsa_exception_fp_ieee_underflow 0
		.amdhsa_exception_fp_ieee_inexact 0
		.amdhsa_exception_int_div_zero 0
	.end_amdhsa_kernel
	.section	.text._ZN7rocprim17ROCPRIM_400000_NS6detail17trampoline_kernelINS0_13select_configILj256ELj13ELNS0_17block_load_methodE3ELS4_3ELS4_3ELNS0_20block_scan_algorithmE0ELj4294967295EEENS1_25partition_config_selectorILNS1_17partition_subalgoE4EjNS0_10empty_typeEbEEZZNS1_14partition_implILS8_4ELb0ES6_15HIP_vector_typeIjLj2EENS0_17counting_iteratorIjlEEPS9_SG_NS0_5tupleIJPjSI_NS0_16reverse_iteratorISI_EEEEENSH_IJSG_SG_SG_EEES9_SI_JZNS1_25segmented_radix_sort_implINS0_14default_configELb1EPKaPaPKlPlN2at6native12_GLOBAL__N_18offset_tEEE10hipError_tPvRmT1_PNSt15iterator_traitsIS12_E10value_typeET2_T3_PNS13_IS18_E10value_typeET4_jRbjT5_S1E_jjP12ihipStream_tbEUljE_ZNSN_ISO_Lb1ESQ_SR_ST_SU_SY_EESZ_S10_S11_S12_S16_S17_S18_S1B_S1C_jS1D_jS1E_S1E_jjS1G_bEUljE0_EEESZ_S10_S11_S18_S1C_S1E_T6_T7_T9_mT8_S1G_bDpT10_ENKUlT_T0_E_clISt17integral_constantIbLb0EES1T_IbLb1EEEEDaS1P_S1Q_EUlS1P_E_NS1_11comp_targetILNS1_3genE8ELNS1_11target_archE1030ELNS1_3gpuE2ELNS1_3repE0EEENS1_30default_config_static_selectorELNS0_4arch9wavefront6targetE1EEEvS12_,"axG",@progbits,_ZN7rocprim17ROCPRIM_400000_NS6detail17trampoline_kernelINS0_13select_configILj256ELj13ELNS0_17block_load_methodE3ELS4_3ELS4_3ELNS0_20block_scan_algorithmE0ELj4294967295EEENS1_25partition_config_selectorILNS1_17partition_subalgoE4EjNS0_10empty_typeEbEEZZNS1_14partition_implILS8_4ELb0ES6_15HIP_vector_typeIjLj2EENS0_17counting_iteratorIjlEEPS9_SG_NS0_5tupleIJPjSI_NS0_16reverse_iteratorISI_EEEEENSH_IJSG_SG_SG_EEES9_SI_JZNS1_25segmented_radix_sort_implINS0_14default_configELb1EPKaPaPKlPlN2at6native12_GLOBAL__N_18offset_tEEE10hipError_tPvRmT1_PNSt15iterator_traitsIS12_E10value_typeET2_T3_PNS13_IS18_E10value_typeET4_jRbjT5_S1E_jjP12ihipStream_tbEUljE_ZNSN_ISO_Lb1ESQ_SR_ST_SU_SY_EESZ_S10_S11_S12_S16_S17_S18_S1B_S1C_jS1D_jS1E_S1E_jjS1G_bEUljE0_EEESZ_S10_S11_S18_S1C_S1E_T6_T7_T9_mT8_S1G_bDpT10_ENKUlT_T0_E_clISt17integral_constantIbLb0EES1T_IbLb1EEEEDaS1P_S1Q_EUlS1P_E_NS1_11comp_targetILNS1_3genE8ELNS1_11target_archE1030ELNS1_3gpuE2ELNS1_3repE0EEENS1_30default_config_static_selectorELNS0_4arch9wavefront6targetE1EEEvS12_,comdat
.Lfunc_end257:
	.size	_ZN7rocprim17ROCPRIM_400000_NS6detail17trampoline_kernelINS0_13select_configILj256ELj13ELNS0_17block_load_methodE3ELS4_3ELS4_3ELNS0_20block_scan_algorithmE0ELj4294967295EEENS1_25partition_config_selectorILNS1_17partition_subalgoE4EjNS0_10empty_typeEbEEZZNS1_14partition_implILS8_4ELb0ES6_15HIP_vector_typeIjLj2EENS0_17counting_iteratorIjlEEPS9_SG_NS0_5tupleIJPjSI_NS0_16reverse_iteratorISI_EEEEENSH_IJSG_SG_SG_EEES9_SI_JZNS1_25segmented_radix_sort_implINS0_14default_configELb1EPKaPaPKlPlN2at6native12_GLOBAL__N_18offset_tEEE10hipError_tPvRmT1_PNSt15iterator_traitsIS12_E10value_typeET2_T3_PNS13_IS18_E10value_typeET4_jRbjT5_S1E_jjP12ihipStream_tbEUljE_ZNSN_ISO_Lb1ESQ_SR_ST_SU_SY_EESZ_S10_S11_S12_S16_S17_S18_S1B_S1C_jS1D_jS1E_S1E_jjS1G_bEUljE0_EEESZ_S10_S11_S18_S1C_S1E_T6_T7_T9_mT8_S1G_bDpT10_ENKUlT_T0_E_clISt17integral_constantIbLb0EES1T_IbLb1EEEEDaS1P_S1Q_EUlS1P_E_NS1_11comp_targetILNS1_3genE8ELNS1_11target_archE1030ELNS1_3gpuE2ELNS1_3repE0EEENS1_30default_config_static_selectorELNS0_4arch9wavefront6targetE1EEEvS12_, .Lfunc_end257-_ZN7rocprim17ROCPRIM_400000_NS6detail17trampoline_kernelINS0_13select_configILj256ELj13ELNS0_17block_load_methodE3ELS4_3ELS4_3ELNS0_20block_scan_algorithmE0ELj4294967295EEENS1_25partition_config_selectorILNS1_17partition_subalgoE4EjNS0_10empty_typeEbEEZZNS1_14partition_implILS8_4ELb0ES6_15HIP_vector_typeIjLj2EENS0_17counting_iteratorIjlEEPS9_SG_NS0_5tupleIJPjSI_NS0_16reverse_iteratorISI_EEEEENSH_IJSG_SG_SG_EEES9_SI_JZNS1_25segmented_radix_sort_implINS0_14default_configELb1EPKaPaPKlPlN2at6native12_GLOBAL__N_18offset_tEEE10hipError_tPvRmT1_PNSt15iterator_traitsIS12_E10value_typeET2_T3_PNS13_IS18_E10value_typeET4_jRbjT5_S1E_jjP12ihipStream_tbEUljE_ZNSN_ISO_Lb1ESQ_SR_ST_SU_SY_EESZ_S10_S11_S12_S16_S17_S18_S1B_S1C_jS1D_jS1E_S1E_jjS1G_bEUljE0_EEESZ_S10_S11_S18_S1C_S1E_T6_T7_T9_mT8_S1G_bDpT10_ENKUlT_T0_E_clISt17integral_constantIbLb0EES1T_IbLb1EEEEDaS1P_S1Q_EUlS1P_E_NS1_11comp_targetILNS1_3genE8ELNS1_11target_archE1030ELNS1_3gpuE2ELNS1_3repE0EEENS1_30default_config_static_selectorELNS0_4arch9wavefront6targetE1EEEvS12_
                                        ; -- End function
	.set _ZN7rocprim17ROCPRIM_400000_NS6detail17trampoline_kernelINS0_13select_configILj256ELj13ELNS0_17block_load_methodE3ELS4_3ELS4_3ELNS0_20block_scan_algorithmE0ELj4294967295EEENS1_25partition_config_selectorILNS1_17partition_subalgoE4EjNS0_10empty_typeEbEEZZNS1_14partition_implILS8_4ELb0ES6_15HIP_vector_typeIjLj2EENS0_17counting_iteratorIjlEEPS9_SG_NS0_5tupleIJPjSI_NS0_16reverse_iteratorISI_EEEEENSH_IJSG_SG_SG_EEES9_SI_JZNS1_25segmented_radix_sort_implINS0_14default_configELb1EPKaPaPKlPlN2at6native12_GLOBAL__N_18offset_tEEE10hipError_tPvRmT1_PNSt15iterator_traitsIS12_E10value_typeET2_T3_PNS13_IS18_E10value_typeET4_jRbjT5_S1E_jjP12ihipStream_tbEUljE_ZNSN_ISO_Lb1ESQ_SR_ST_SU_SY_EESZ_S10_S11_S12_S16_S17_S18_S1B_S1C_jS1D_jS1E_S1E_jjS1G_bEUljE0_EEESZ_S10_S11_S18_S1C_S1E_T6_T7_T9_mT8_S1G_bDpT10_ENKUlT_T0_E_clISt17integral_constantIbLb0EES1T_IbLb1EEEEDaS1P_S1Q_EUlS1P_E_NS1_11comp_targetILNS1_3genE8ELNS1_11target_archE1030ELNS1_3gpuE2ELNS1_3repE0EEENS1_30default_config_static_selectorELNS0_4arch9wavefront6targetE1EEEvS12_.num_vgpr, 0
	.set _ZN7rocprim17ROCPRIM_400000_NS6detail17trampoline_kernelINS0_13select_configILj256ELj13ELNS0_17block_load_methodE3ELS4_3ELS4_3ELNS0_20block_scan_algorithmE0ELj4294967295EEENS1_25partition_config_selectorILNS1_17partition_subalgoE4EjNS0_10empty_typeEbEEZZNS1_14partition_implILS8_4ELb0ES6_15HIP_vector_typeIjLj2EENS0_17counting_iteratorIjlEEPS9_SG_NS0_5tupleIJPjSI_NS0_16reverse_iteratorISI_EEEEENSH_IJSG_SG_SG_EEES9_SI_JZNS1_25segmented_radix_sort_implINS0_14default_configELb1EPKaPaPKlPlN2at6native12_GLOBAL__N_18offset_tEEE10hipError_tPvRmT1_PNSt15iterator_traitsIS12_E10value_typeET2_T3_PNS13_IS18_E10value_typeET4_jRbjT5_S1E_jjP12ihipStream_tbEUljE_ZNSN_ISO_Lb1ESQ_SR_ST_SU_SY_EESZ_S10_S11_S12_S16_S17_S18_S1B_S1C_jS1D_jS1E_S1E_jjS1G_bEUljE0_EEESZ_S10_S11_S18_S1C_S1E_T6_T7_T9_mT8_S1G_bDpT10_ENKUlT_T0_E_clISt17integral_constantIbLb0EES1T_IbLb1EEEEDaS1P_S1Q_EUlS1P_E_NS1_11comp_targetILNS1_3genE8ELNS1_11target_archE1030ELNS1_3gpuE2ELNS1_3repE0EEENS1_30default_config_static_selectorELNS0_4arch9wavefront6targetE1EEEvS12_.num_agpr, 0
	.set _ZN7rocprim17ROCPRIM_400000_NS6detail17trampoline_kernelINS0_13select_configILj256ELj13ELNS0_17block_load_methodE3ELS4_3ELS4_3ELNS0_20block_scan_algorithmE0ELj4294967295EEENS1_25partition_config_selectorILNS1_17partition_subalgoE4EjNS0_10empty_typeEbEEZZNS1_14partition_implILS8_4ELb0ES6_15HIP_vector_typeIjLj2EENS0_17counting_iteratorIjlEEPS9_SG_NS0_5tupleIJPjSI_NS0_16reverse_iteratorISI_EEEEENSH_IJSG_SG_SG_EEES9_SI_JZNS1_25segmented_radix_sort_implINS0_14default_configELb1EPKaPaPKlPlN2at6native12_GLOBAL__N_18offset_tEEE10hipError_tPvRmT1_PNSt15iterator_traitsIS12_E10value_typeET2_T3_PNS13_IS18_E10value_typeET4_jRbjT5_S1E_jjP12ihipStream_tbEUljE_ZNSN_ISO_Lb1ESQ_SR_ST_SU_SY_EESZ_S10_S11_S12_S16_S17_S18_S1B_S1C_jS1D_jS1E_S1E_jjS1G_bEUljE0_EEESZ_S10_S11_S18_S1C_S1E_T6_T7_T9_mT8_S1G_bDpT10_ENKUlT_T0_E_clISt17integral_constantIbLb0EES1T_IbLb1EEEEDaS1P_S1Q_EUlS1P_E_NS1_11comp_targetILNS1_3genE8ELNS1_11target_archE1030ELNS1_3gpuE2ELNS1_3repE0EEENS1_30default_config_static_selectorELNS0_4arch9wavefront6targetE1EEEvS12_.numbered_sgpr, 0
	.set _ZN7rocprim17ROCPRIM_400000_NS6detail17trampoline_kernelINS0_13select_configILj256ELj13ELNS0_17block_load_methodE3ELS4_3ELS4_3ELNS0_20block_scan_algorithmE0ELj4294967295EEENS1_25partition_config_selectorILNS1_17partition_subalgoE4EjNS0_10empty_typeEbEEZZNS1_14partition_implILS8_4ELb0ES6_15HIP_vector_typeIjLj2EENS0_17counting_iteratorIjlEEPS9_SG_NS0_5tupleIJPjSI_NS0_16reverse_iteratorISI_EEEEENSH_IJSG_SG_SG_EEES9_SI_JZNS1_25segmented_radix_sort_implINS0_14default_configELb1EPKaPaPKlPlN2at6native12_GLOBAL__N_18offset_tEEE10hipError_tPvRmT1_PNSt15iterator_traitsIS12_E10value_typeET2_T3_PNS13_IS18_E10value_typeET4_jRbjT5_S1E_jjP12ihipStream_tbEUljE_ZNSN_ISO_Lb1ESQ_SR_ST_SU_SY_EESZ_S10_S11_S12_S16_S17_S18_S1B_S1C_jS1D_jS1E_S1E_jjS1G_bEUljE0_EEESZ_S10_S11_S18_S1C_S1E_T6_T7_T9_mT8_S1G_bDpT10_ENKUlT_T0_E_clISt17integral_constantIbLb0EES1T_IbLb1EEEEDaS1P_S1Q_EUlS1P_E_NS1_11comp_targetILNS1_3genE8ELNS1_11target_archE1030ELNS1_3gpuE2ELNS1_3repE0EEENS1_30default_config_static_selectorELNS0_4arch9wavefront6targetE1EEEvS12_.num_named_barrier, 0
	.set _ZN7rocprim17ROCPRIM_400000_NS6detail17trampoline_kernelINS0_13select_configILj256ELj13ELNS0_17block_load_methodE3ELS4_3ELS4_3ELNS0_20block_scan_algorithmE0ELj4294967295EEENS1_25partition_config_selectorILNS1_17partition_subalgoE4EjNS0_10empty_typeEbEEZZNS1_14partition_implILS8_4ELb0ES6_15HIP_vector_typeIjLj2EENS0_17counting_iteratorIjlEEPS9_SG_NS0_5tupleIJPjSI_NS0_16reverse_iteratorISI_EEEEENSH_IJSG_SG_SG_EEES9_SI_JZNS1_25segmented_radix_sort_implINS0_14default_configELb1EPKaPaPKlPlN2at6native12_GLOBAL__N_18offset_tEEE10hipError_tPvRmT1_PNSt15iterator_traitsIS12_E10value_typeET2_T3_PNS13_IS18_E10value_typeET4_jRbjT5_S1E_jjP12ihipStream_tbEUljE_ZNSN_ISO_Lb1ESQ_SR_ST_SU_SY_EESZ_S10_S11_S12_S16_S17_S18_S1B_S1C_jS1D_jS1E_S1E_jjS1G_bEUljE0_EEESZ_S10_S11_S18_S1C_S1E_T6_T7_T9_mT8_S1G_bDpT10_ENKUlT_T0_E_clISt17integral_constantIbLb0EES1T_IbLb1EEEEDaS1P_S1Q_EUlS1P_E_NS1_11comp_targetILNS1_3genE8ELNS1_11target_archE1030ELNS1_3gpuE2ELNS1_3repE0EEENS1_30default_config_static_selectorELNS0_4arch9wavefront6targetE1EEEvS12_.private_seg_size, 0
	.set _ZN7rocprim17ROCPRIM_400000_NS6detail17trampoline_kernelINS0_13select_configILj256ELj13ELNS0_17block_load_methodE3ELS4_3ELS4_3ELNS0_20block_scan_algorithmE0ELj4294967295EEENS1_25partition_config_selectorILNS1_17partition_subalgoE4EjNS0_10empty_typeEbEEZZNS1_14partition_implILS8_4ELb0ES6_15HIP_vector_typeIjLj2EENS0_17counting_iteratorIjlEEPS9_SG_NS0_5tupleIJPjSI_NS0_16reverse_iteratorISI_EEEEENSH_IJSG_SG_SG_EEES9_SI_JZNS1_25segmented_radix_sort_implINS0_14default_configELb1EPKaPaPKlPlN2at6native12_GLOBAL__N_18offset_tEEE10hipError_tPvRmT1_PNSt15iterator_traitsIS12_E10value_typeET2_T3_PNS13_IS18_E10value_typeET4_jRbjT5_S1E_jjP12ihipStream_tbEUljE_ZNSN_ISO_Lb1ESQ_SR_ST_SU_SY_EESZ_S10_S11_S12_S16_S17_S18_S1B_S1C_jS1D_jS1E_S1E_jjS1G_bEUljE0_EEESZ_S10_S11_S18_S1C_S1E_T6_T7_T9_mT8_S1G_bDpT10_ENKUlT_T0_E_clISt17integral_constantIbLb0EES1T_IbLb1EEEEDaS1P_S1Q_EUlS1P_E_NS1_11comp_targetILNS1_3genE8ELNS1_11target_archE1030ELNS1_3gpuE2ELNS1_3repE0EEENS1_30default_config_static_selectorELNS0_4arch9wavefront6targetE1EEEvS12_.uses_vcc, 0
	.set _ZN7rocprim17ROCPRIM_400000_NS6detail17trampoline_kernelINS0_13select_configILj256ELj13ELNS0_17block_load_methodE3ELS4_3ELS4_3ELNS0_20block_scan_algorithmE0ELj4294967295EEENS1_25partition_config_selectorILNS1_17partition_subalgoE4EjNS0_10empty_typeEbEEZZNS1_14partition_implILS8_4ELb0ES6_15HIP_vector_typeIjLj2EENS0_17counting_iteratorIjlEEPS9_SG_NS0_5tupleIJPjSI_NS0_16reverse_iteratorISI_EEEEENSH_IJSG_SG_SG_EEES9_SI_JZNS1_25segmented_radix_sort_implINS0_14default_configELb1EPKaPaPKlPlN2at6native12_GLOBAL__N_18offset_tEEE10hipError_tPvRmT1_PNSt15iterator_traitsIS12_E10value_typeET2_T3_PNS13_IS18_E10value_typeET4_jRbjT5_S1E_jjP12ihipStream_tbEUljE_ZNSN_ISO_Lb1ESQ_SR_ST_SU_SY_EESZ_S10_S11_S12_S16_S17_S18_S1B_S1C_jS1D_jS1E_S1E_jjS1G_bEUljE0_EEESZ_S10_S11_S18_S1C_S1E_T6_T7_T9_mT8_S1G_bDpT10_ENKUlT_T0_E_clISt17integral_constantIbLb0EES1T_IbLb1EEEEDaS1P_S1Q_EUlS1P_E_NS1_11comp_targetILNS1_3genE8ELNS1_11target_archE1030ELNS1_3gpuE2ELNS1_3repE0EEENS1_30default_config_static_selectorELNS0_4arch9wavefront6targetE1EEEvS12_.uses_flat_scratch, 0
	.set _ZN7rocprim17ROCPRIM_400000_NS6detail17trampoline_kernelINS0_13select_configILj256ELj13ELNS0_17block_load_methodE3ELS4_3ELS4_3ELNS0_20block_scan_algorithmE0ELj4294967295EEENS1_25partition_config_selectorILNS1_17partition_subalgoE4EjNS0_10empty_typeEbEEZZNS1_14partition_implILS8_4ELb0ES6_15HIP_vector_typeIjLj2EENS0_17counting_iteratorIjlEEPS9_SG_NS0_5tupleIJPjSI_NS0_16reverse_iteratorISI_EEEEENSH_IJSG_SG_SG_EEES9_SI_JZNS1_25segmented_radix_sort_implINS0_14default_configELb1EPKaPaPKlPlN2at6native12_GLOBAL__N_18offset_tEEE10hipError_tPvRmT1_PNSt15iterator_traitsIS12_E10value_typeET2_T3_PNS13_IS18_E10value_typeET4_jRbjT5_S1E_jjP12ihipStream_tbEUljE_ZNSN_ISO_Lb1ESQ_SR_ST_SU_SY_EESZ_S10_S11_S12_S16_S17_S18_S1B_S1C_jS1D_jS1E_S1E_jjS1G_bEUljE0_EEESZ_S10_S11_S18_S1C_S1E_T6_T7_T9_mT8_S1G_bDpT10_ENKUlT_T0_E_clISt17integral_constantIbLb0EES1T_IbLb1EEEEDaS1P_S1Q_EUlS1P_E_NS1_11comp_targetILNS1_3genE8ELNS1_11target_archE1030ELNS1_3gpuE2ELNS1_3repE0EEENS1_30default_config_static_selectorELNS0_4arch9wavefront6targetE1EEEvS12_.has_dyn_sized_stack, 0
	.set _ZN7rocprim17ROCPRIM_400000_NS6detail17trampoline_kernelINS0_13select_configILj256ELj13ELNS0_17block_load_methodE3ELS4_3ELS4_3ELNS0_20block_scan_algorithmE0ELj4294967295EEENS1_25partition_config_selectorILNS1_17partition_subalgoE4EjNS0_10empty_typeEbEEZZNS1_14partition_implILS8_4ELb0ES6_15HIP_vector_typeIjLj2EENS0_17counting_iteratorIjlEEPS9_SG_NS0_5tupleIJPjSI_NS0_16reverse_iteratorISI_EEEEENSH_IJSG_SG_SG_EEES9_SI_JZNS1_25segmented_radix_sort_implINS0_14default_configELb1EPKaPaPKlPlN2at6native12_GLOBAL__N_18offset_tEEE10hipError_tPvRmT1_PNSt15iterator_traitsIS12_E10value_typeET2_T3_PNS13_IS18_E10value_typeET4_jRbjT5_S1E_jjP12ihipStream_tbEUljE_ZNSN_ISO_Lb1ESQ_SR_ST_SU_SY_EESZ_S10_S11_S12_S16_S17_S18_S1B_S1C_jS1D_jS1E_S1E_jjS1G_bEUljE0_EEESZ_S10_S11_S18_S1C_S1E_T6_T7_T9_mT8_S1G_bDpT10_ENKUlT_T0_E_clISt17integral_constantIbLb0EES1T_IbLb1EEEEDaS1P_S1Q_EUlS1P_E_NS1_11comp_targetILNS1_3genE8ELNS1_11target_archE1030ELNS1_3gpuE2ELNS1_3repE0EEENS1_30default_config_static_selectorELNS0_4arch9wavefront6targetE1EEEvS12_.has_recursion, 0
	.set _ZN7rocprim17ROCPRIM_400000_NS6detail17trampoline_kernelINS0_13select_configILj256ELj13ELNS0_17block_load_methodE3ELS4_3ELS4_3ELNS0_20block_scan_algorithmE0ELj4294967295EEENS1_25partition_config_selectorILNS1_17partition_subalgoE4EjNS0_10empty_typeEbEEZZNS1_14partition_implILS8_4ELb0ES6_15HIP_vector_typeIjLj2EENS0_17counting_iteratorIjlEEPS9_SG_NS0_5tupleIJPjSI_NS0_16reverse_iteratorISI_EEEEENSH_IJSG_SG_SG_EEES9_SI_JZNS1_25segmented_radix_sort_implINS0_14default_configELb1EPKaPaPKlPlN2at6native12_GLOBAL__N_18offset_tEEE10hipError_tPvRmT1_PNSt15iterator_traitsIS12_E10value_typeET2_T3_PNS13_IS18_E10value_typeET4_jRbjT5_S1E_jjP12ihipStream_tbEUljE_ZNSN_ISO_Lb1ESQ_SR_ST_SU_SY_EESZ_S10_S11_S12_S16_S17_S18_S1B_S1C_jS1D_jS1E_S1E_jjS1G_bEUljE0_EEESZ_S10_S11_S18_S1C_S1E_T6_T7_T9_mT8_S1G_bDpT10_ENKUlT_T0_E_clISt17integral_constantIbLb0EES1T_IbLb1EEEEDaS1P_S1Q_EUlS1P_E_NS1_11comp_targetILNS1_3genE8ELNS1_11target_archE1030ELNS1_3gpuE2ELNS1_3repE0EEENS1_30default_config_static_selectorELNS0_4arch9wavefront6targetE1EEEvS12_.has_indirect_call, 0
	.section	.AMDGPU.csdata,"",@progbits
; Kernel info:
; codeLenInByte = 0
; TotalNumSgprs: 4
; NumVgprs: 0
; ScratchSize: 0
; MemoryBound: 0
; FloatMode: 240
; IeeeMode: 1
; LDSByteSize: 0 bytes/workgroup (compile time only)
; SGPRBlocks: 0
; VGPRBlocks: 0
; NumSGPRsForWavesPerEU: 4
; NumVGPRsForWavesPerEU: 1
; Occupancy: 10
; WaveLimiterHint : 0
; COMPUTE_PGM_RSRC2:SCRATCH_EN: 0
; COMPUTE_PGM_RSRC2:USER_SGPR: 6
; COMPUTE_PGM_RSRC2:TRAP_HANDLER: 0
; COMPUTE_PGM_RSRC2:TGID_X_EN: 1
; COMPUTE_PGM_RSRC2:TGID_Y_EN: 0
; COMPUTE_PGM_RSRC2:TGID_Z_EN: 0
; COMPUTE_PGM_RSRC2:TIDIG_COMP_CNT: 0
	.section	.text._ZN7rocprim17ROCPRIM_400000_NS6detail17trampoline_kernelINS0_13select_configILj256ELj13ELNS0_17block_load_methodE3ELS4_3ELS4_3ELNS0_20block_scan_algorithmE0ELj4294967295EEENS1_25partition_config_selectorILNS1_17partition_subalgoE3EjNS0_10empty_typeEbEEZZNS1_14partition_implILS8_3ELb0ES6_jNS0_17counting_iteratorIjlEEPS9_SE_NS0_5tupleIJPjSE_EEENSF_IJSE_SE_EEES9_SG_JZNS1_25segmented_radix_sort_implINS0_14default_configELb1EPKaPaPKlPlN2at6native12_GLOBAL__N_18offset_tEEE10hipError_tPvRmT1_PNSt15iterator_traitsISY_E10value_typeET2_T3_PNSZ_IS14_E10value_typeET4_jRbjT5_S1A_jjP12ihipStream_tbEUljE_EEESV_SW_SX_S14_S18_S1A_T6_T7_T9_mT8_S1C_bDpT10_ENKUlT_T0_E_clISt17integral_constantIbLb0EES1P_EEDaS1K_S1L_EUlS1K_E_NS1_11comp_targetILNS1_3genE0ELNS1_11target_archE4294967295ELNS1_3gpuE0ELNS1_3repE0EEENS1_30default_config_static_selectorELNS0_4arch9wavefront6targetE1EEEvSY_,"axG",@progbits,_ZN7rocprim17ROCPRIM_400000_NS6detail17trampoline_kernelINS0_13select_configILj256ELj13ELNS0_17block_load_methodE3ELS4_3ELS4_3ELNS0_20block_scan_algorithmE0ELj4294967295EEENS1_25partition_config_selectorILNS1_17partition_subalgoE3EjNS0_10empty_typeEbEEZZNS1_14partition_implILS8_3ELb0ES6_jNS0_17counting_iteratorIjlEEPS9_SE_NS0_5tupleIJPjSE_EEENSF_IJSE_SE_EEES9_SG_JZNS1_25segmented_radix_sort_implINS0_14default_configELb1EPKaPaPKlPlN2at6native12_GLOBAL__N_18offset_tEEE10hipError_tPvRmT1_PNSt15iterator_traitsISY_E10value_typeET2_T3_PNSZ_IS14_E10value_typeET4_jRbjT5_S1A_jjP12ihipStream_tbEUljE_EEESV_SW_SX_S14_S18_S1A_T6_T7_T9_mT8_S1C_bDpT10_ENKUlT_T0_E_clISt17integral_constantIbLb0EES1P_EEDaS1K_S1L_EUlS1K_E_NS1_11comp_targetILNS1_3genE0ELNS1_11target_archE4294967295ELNS1_3gpuE0ELNS1_3repE0EEENS1_30default_config_static_selectorELNS0_4arch9wavefront6targetE1EEEvSY_,comdat
	.globl	_ZN7rocprim17ROCPRIM_400000_NS6detail17trampoline_kernelINS0_13select_configILj256ELj13ELNS0_17block_load_methodE3ELS4_3ELS4_3ELNS0_20block_scan_algorithmE0ELj4294967295EEENS1_25partition_config_selectorILNS1_17partition_subalgoE3EjNS0_10empty_typeEbEEZZNS1_14partition_implILS8_3ELb0ES6_jNS0_17counting_iteratorIjlEEPS9_SE_NS0_5tupleIJPjSE_EEENSF_IJSE_SE_EEES9_SG_JZNS1_25segmented_radix_sort_implINS0_14default_configELb1EPKaPaPKlPlN2at6native12_GLOBAL__N_18offset_tEEE10hipError_tPvRmT1_PNSt15iterator_traitsISY_E10value_typeET2_T3_PNSZ_IS14_E10value_typeET4_jRbjT5_S1A_jjP12ihipStream_tbEUljE_EEESV_SW_SX_S14_S18_S1A_T6_T7_T9_mT8_S1C_bDpT10_ENKUlT_T0_E_clISt17integral_constantIbLb0EES1P_EEDaS1K_S1L_EUlS1K_E_NS1_11comp_targetILNS1_3genE0ELNS1_11target_archE4294967295ELNS1_3gpuE0ELNS1_3repE0EEENS1_30default_config_static_selectorELNS0_4arch9wavefront6targetE1EEEvSY_ ; -- Begin function _ZN7rocprim17ROCPRIM_400000_NS6detail17trampoline_kernelINS0_13select_configILj256ELj13ELNS0_17block_load_methodE3ELS4_3ELS4_3ELNS0_20block_scan_algorithmE0ELj4294967295EEENS1_25partition_config_selectorILNS1_17partition_subalgoE3EjNS0_10empty_typeEbEEZZNS1_14partition_implILS8_3ELb0ES6_jNS0_17counting_iteratorIjlEEPS9_SE_NS0_5tupleIJPjSE_EEENSF_IJSE_SE_EEES9_SG_JZNS1_25segmented_radix_sort_implINS0_14default_configELb1EPKaPaPKlPlN2at6native12_GLOBAL__N_18offset_tEEE10hipError_tPvRmT1_PNSt15iterator_traitsISY_E10value_typeET2_T3_PNSZ_IS14_E10value_typeET4_jRbjT5_S1A_jjP12ihipStream_tbEUljE_EEESV_SW_SX_S14_S18_S1A_T6_T7_T9_mT8_S1C_bDpT10_ENKUlT_T0_E_clISt17integral_constantIbLb0EES1P_EEDaS1K_S1L_EUlS1K_E_NS1_11comp_targetILNS1_3genE0ELNS1_11target_archE4294967295ELNS1_3gpuE0ELNS1_3repE0EEENS1_30default_config_static_selectorELNS0_4arch9wavefront6targetE1EEEvSY_
	.p2align	8
	.type	_ZN7rocprim17ROCPRIM_400000_NS6detail17trampoline_kernelINS0_13select_configILj256ELj13ELNS0_17block_load_methodE3ELS4_3ELS4_3ELNS0_20block_scan_algorithmE0ELj4294967295EEENS1_25partition_config_selectorILNS1_17partition_subalgoE3EjNS0_10empty_typeEbEEZZNS1_14partition_implILS8_3ELb0ES6_jNS0_17counting_iteratorIjlEEPS9_SE_NS0_5tupleIJPjSE_EEENSF_IJSE_SE_EEES9_SG_JZNS1_25segmented_radix_sort_implINS0_14default_configELb1EPKaPaPKlPlN2at6native12_GLOBAL__N_18offset_tEEE10hipError_tPvRmT1_PNSt15iterator_traitsISY_E10value_typeET2_T3_PNSZ_IS14_E10value_typeET4_jRbjT5_S1A_jjP12ihipStream_tbEUljE_EEESV_SW_SX_S14_S18_S1A_T6_T7_T9_mT8_S1C_bDpT10_ENKUlT_T0_E_clISt17integral_constantIbLb0EES1P_EEDaS1K_S1L_EUlS1K_E_NS1_11comp_targetILNS1_3genE0ELNS1_11target_archE4294967295ELNS1_3gpuE0ELNS1_3repE0EEENS1_30default_config_static_selectorELNS0_4arch9wavefront6targetE1EEEvSY_,@function
_ZN7rocprim17ROCPRIM_400000_NS6detail17trampoline_kernelINS0_13select_configILj256ELj13ELNS0_17block_load_methodE3ELS4_3ELS4_3ELNS0_20block_scan_algorithmE0ELj4294967295EEENS1_25partition_config_selectorILNS1_17partition_subalgoE3EjNS0_10empty_typeEbEEZZNS1_14partition_implILS8_3ELb0ES6_jNS0_17counting_iteratorIjlEEPS9_SE_NS0_5tupleIJPjSE_EEENSF_IJSE_SE_EEES9_SG_JZNS1_25segmented_radix_sort_implINS0_14default_configELb1EPKaPaPKlPlN2at6native12_GLOBAL__N_18offset_tEEE10hipError_tPvRmT1_PNSt15iterator_traitsISY_E10value_typeET2_T3_PNSZ_IS14_E10value_typeET4_jRbjT5_S1A_jjP12ihipStream_tbEUljE_EEESV_SW_SX_S14_S18_S1A_T6_T7_T9_mT8_S1C_bDpT10_ENKUlT_T0_E_clISt17integral_constantIbLb0EES1P_EEDaS1K_S1L_EUlS1K_E_NS1_11comp_targetILNS1_3genE0ELNS1_11target_archE4294967295ELNS1_3gpuE0ELNS1_3repE0EEENS1_30default_config_static_selectorELNS0_4arch9wavefront6targetE1EEEvSY_: ; @_ZN7rocprim17ROCPRIM_400000_NS6detail17trampoline_kernelINS0_13select_configILj256ELj13ELNS0_17block_load_methodE3ELS4_3ELS4_3ELNS0_20block_scan_algorithmE0ELj4294967295EEENS1_25partition_config_selectorILNS1_17partition_subalgoE3EjNS0_10empty_typeEbEEZZNS1_14partition_implILS8_3ELb0ES6_jNS0_17counting_iteratorIjlEEPS9_SE_NS0_5tupleIJPjSE_EEENSF_IJSE_SE_EEES9_SG_JZNS1_25segmented_radix_sort_implINS0_14default_configELb1EPKaPaPKlPlN2at6native12_GLOBAL__N_18offset_tEEE10hipError_tPvRmT1_PNSt15iterator_traitsISY_E10value_typeET2_T3_PNSZ_IS14_E10value_typeET4_jRbjT5_S1A_jjP12ihipStream_tbEUljE_EEESV_SW_SX_S14_S18_S1A_T6_T7_T9_mT8_S1C_bDpT10_ENKUlT_T0_E_clISt17integral_constantIbLb0EES1P_EEDaS1K_S1L_EUlS1K_E_NS1_11comp_targetILNS1_3genE0ELNS1_11target_archE4294967295ELNS1_3gpuE0ELNS1_3repE0EEENS1_30default_config_static_selectorELNS0_4arch9wavefront6targetE1EEEvSY_
; %bb.0:
	.section	.rodata,"a",@progbits
	.p2align	6, 0x0
	.amdhsa_kernel _ZN7rocprim17ROCPRIM_400000_NS6detail17trampoline_kernelINS0_13select_configILj256ELj13ELNS0_17block_load_methodE3ELS4_3ELS4_3ELNS0_20block_scan_algorithmE0ELj4294967295EEENS1_25partition_config_selectorILNS1_17partition_subalgoE3EjNS0_10empty_typeEbEEZZNS1_14partition_implILS8_3ELb0ES6_jNS0_17counting_iteratorIjlEEPS9_SE_NS0_5tupleIJPjSE_EEENSF_IJSE_SE_EEES9_SG_JZNS1_25segmented_radix_sort_implINS0_14default_configELb1EPKaPaPKlPlN2at6native12_GLOBAL__N_18offset_tEEE10hipError_tPvRmT1_PNSt15iterator_traitsISY_E10value_typeET2_T3_PNSZ_IS14_E10value_typeET4_jRbjT5_S1A_jjP12ihipStream_tbEUljE_EEESV_SW_SX_S14_S18_S1A_T6_T7_T9_mT8_S1C_bDpT10_ENKUlT_T0_E_clISt17integral_constantIbLb0EES1P_EEDaS1K_S1L_EUlS1K_E_NS1_11comp_targetILNS1_3genE0ELNS1_11target_archE4294967295ELNS1_3gpuE0ELNS1_3repE0EEENS1_30default_config_static_selectorELNS0_4arch9wavefront6targetE1EEEvSY_
		.amdhsa_group_segment_fixed_size 0
		.amdhsa_private_segment_fixed_size 0
		.amdhsa_kernarg_size 144
		.amdhsa_user_sgpr_count 6
		.amdhsa_user_sgpr_private_segment_buffer 1
		.amdhsa_user_sgpr_dispatch_ptr 0
		.amdhsa_user_sgpr_queue_ptr 0
		.amdhsa_user_sgpr_kernarg_segment_ptr 1
		.amdhsa_user_sgpr_dispatch_id 0
		.amdhsa_user_sgpr_flat_scratch_init 0
		.amdhsa_user_sgpr_private_segment_size 0
		.amdhsa_uses_dynamic_stack 0
		.amdhsa_system_sgpr_private_segment_wavefront_offset 0
		.amdhsa_system_sgpr_workgroup_id_x 1
		.amdhsa_system_sgpr_workgroup_id_y 0
		.amdhsa_system_sgpr_workgroup_id_z 0
		.amdhsa_system_sgpr_workgroup_info 0
		.amdhsa_system_vgpr_workitem_id 0
		.amdhsa_next_free_vgpr 1
		.amdhsa_next_free_sgpr 0
		.amdhsa_reserve_vcc 0
		.amdhsa_reserve_flat_scratch 0
		.amdhsa_float_round_mode_32 0
		.amdhsa_float_round_mode_16_64 0
		.amdhsa_float_denorm_mode_32 3
		.amdhsa_float_denorm_mode_16_64 3
		.amdhsa_dx10_clamp 1
		.amdhsa_ieee_mode 1
		.amdhsa_fp16_overflow 0
		.amdhsa_exception_fp_ieee_invalid_op 0
		.amdhsa_exception_fp_denorm_src 0
		.amdhsa_exception_fp_ieee_div_zero 0
		.amdhsa_exception_fp_ieee_overflow 0
		.amdhsa_exception_fp_ieee_underflow 0
		.amdhsa_exception_fp_ieee_inexact 0
		.amdhsa_exception_int_div_zero 0
	.end_amdhsa_kernel
	.section	.text._ZN7rocprim17ROCPRIM_400000_NS6detail17trampoline_kernelINS0_13select_configILj256ELj13ELNS0_17block_load_methodE3ELS4_3ELS4_3ELNS0_20block_scan_algorithmE0ELj4294967295EEENS1_25partition_config_selectorILNS1_17partition_subalgoE3EjNS0_10empty_typeEbEEZZNS1_14partition_implILS8_3ELb0ES6_jNS0_17counting_iteratorIjlEEPS9_SE_NS0_5tupleIJPjSE_EEENSF_IJSE_SE_EEES9_SG_JZNS1_25segmented_radix_sort_implINS0_14default_configELb1EPKaPaPKlPlN2at6native12_GLOBAL__N_18offset_tEEE10hipError_tPvRmT1_PNSt15iterator_traitsISY_E10value_typeET2_T3_PNSZ_IS14_E10value_typeET4_jRbjT5_S1A_jjP12ihipStream_tbEUljE_EEESV_SW_SX_S14_S18_S1A_T6_T7_T9_mT8_S1C_bDpT10_ENKUlT_T0_E_clISt17integral_constantIbLb0EES1P_EEDaS1K_S1L_EUlS1K_E_NS1_11comp_targetILNS1_3genE0ELNS1_11target_archE4294967295ELNS1_3gpuE0ELNS1_3repE0EEENS1_30default_config_static_selectorELNS0_4arch9wavefront6targetE1EEEvSY_,"axG",@progbits,_ZN7rocprim17ROCPRIM_400000_NS6detail17trampoline_kernelINS0_13select_configILj256ELj13ELNS0_17block_load_methodE3ELS4_3ELS4_3ELNS0_20block_scan_algorithmE0ELj4294967295EEENS1_25partition_config_selectorILNS1_17partition_subalgoE3EjNS0_10empty_typeEbEEZZNS1_14partition_implILS8_3ELb0ES6_jNS0_17counting_iteratorIjlEEPS9_SE_NS0_5tupleIJPjSE_EEENSF_IJSE_SE_EEES9_SG_JZNS1_25segmented_radix_sort_implINS0_14default_configELb1EPKaPaPKlPlN2at6native12_GLOBAL__N_18offset_tEEE10hipError_tPvRmT1_PNSt15iterator_traitsISY_E10value_typeET2_T3_PNSZ_IS14_E10value_typeET4_jRbjT5_S1A_jjP12ihipStream_tbEUljE_EEESV_SW_SX_S14_S18_S1A_T6_T7_T9_mT8_S1C_bDpT10_ENKUlT_T0_E_clISt17integral_constantIbLb0EES1P_EEDaS1K_S1L_EUlS1K_E_NS1_11comp_targetILNS1_3genE0ELNS1_11target_archE4294967295ELNS1_3gpuE0ELNS1_3repE0EEENS1_30default_config_static_selectorELNS0_4arch9wavefront6targetE1EEEvSY_,comdat
.Lfunc_end258:
	.size	_ZN7rocprim17ROCPRIM_400000_NS6detail17trampoline_kernelINS0_13select_configILj256ELj13ELNS0_17block_load_methodE3ELS4_3ELS4_3ELNS0_20block_scan_algorithmE0ELj4294967295EEENS1_25partition_config_selectorILNS1_17partition_subalgoE3EjNS0_10empty_typeEbEEZZNS1_14partition_implILS8_3ELb0ES6_jNS0_17counting_iteratorIjlEEPS9_SE_NS0_5tupleIJPjSE_EEENSF_IJSE_SE_EEES9_SG_JZNS1_25segmented_radix_sort_implINS0_14default_configELb1EPKaPaPKlPlN2at6native12_GLOBAL__N_18offset_tEEE10hipError_tPvRmT1_PNSt15iterator_traitsISY_E10value_typeET2_T3_PNSZ_IS14_E10value_typeET4_jRbjT5_S1A_jjP12ihipStream_tbEUljE_EEESV_SW_SX_S14_S18_S1A_T6_T7_T9_mT8_S1C_bDpT10_ENKUlT_T0_E_clISt17integral_constantIbLb0EES1P_EEDaS1K_S1L_EUlS1K_E_NS1_11comp_targetILNS1_3genE0ELNS1_11target_archE4294967295ELNS1_3gpuE0ELNS1_3repE0EEENS1_30default_config_static_selectorELNS0_4arch9wavefront6targetE1EEEvSY_, .Lfunc_end258-_ZN7rocprim17ROCPRIM_400000_NS6detail17trampoline_kernelINS0_13select_configILj256ELj13ELNS0_17block_load_methodE3ELS4_3ELS4_3ELNS0_20block_scan_algorithmE0ELj4294967295EEENS1_25partition_config_selectorILNS1_17partition_subalgoE3EjNS0_10empty_typeEbEEZZNS1_14partition_implILS8_3ELb0ES6_jNS0_17counting_iteratorIjlEEPS9_SE_NS0_5tupleIJPjSE_EEENSF_IJSE_SE_EEES9_SG_JZNS1_25segmented_radix_sort_implINS0_14default_configELb1EPKaPaPKlPlN2at6native12_GLOBAL__N_18offset_tEEE10hipError_tPvRmT1_PNSt15iterator_traitsISY_E10value_typeET2_T3_PNSZ_IS14_E10value_typeET4_jRbjT5_S1A_jjP12ihipStream_tbEUljE_EEESV_SW_SX_S14_S18_S1A_T6_T7_T9_mT8_S1C_bDpT10_ENKUlT_T0_E_clISt17integral_constantIbLb0EES1P_EEDaS1K_S1L_EUlS1K_E_NS1_11comp_targetILNS1_3genE0ELNS1_11target_archE4294967295ELNS1_3gpuE0ELNS1_3repE0EEENS1_30default_config_static_selectorELNS0_4arch9wavefront6targetE1EEEvSY_
                                        ; -- End function
	.set _ZN7rocprim17ROCPRIM_400000_NS6detail17trampoline_kernelINS0_13select_configILj256ELj13ELNS0_17block_load_methodE3ELS4_3ELS4_3ELNS0_20block_scan_algorithmE0ELj4294967295EEENS1_25partition_config_selectorILNS1_17partition_subalgoE3EjNS0_10empty_typeEbEEZZNS1_14partition_implILS8_3ELb0ES6_jNS0_17counting_iteratorIjlEEPS9_SE_NS0_5tupleIJPjSE_EEENSF_IJSE_SE_EEES9_SG_JZNS1_25segmented_radix_sort_implINS0_14default_configELb1EPKaPaPKlPlN2at6native12_GLOBAL__N_18offset_tEEE10hipError_tPvRmT1_PNSt15iterator_traitsISY_E10value_typeET2_T3_PNSZ_IS14_E10value_typeET4_jRbjT5_S1A_jjP12ihipStream_tbEUljE_EEESV_SW_SX_S14_S18_S1A_T6_T7_T9_mT8_S1C_bDpT10_ENKUlT_T0_E_clISt17integral_constantIbLb0EES1P_EEDaS1K_S1L_EUlS1K_E_NS1_11comp_targetILNS1_3genE0ELNS1_11target_archE4294967295ELNS1_3gpuE0ELNS1_3repE0EEENS1_30default_config_static_selectorELNS0_4arch9wavefront6targetE1EEEvSY_.num_vgpr, 0
	.set _ZN7rocprim17ROCPRIM_400000_NS6detail17trampoline_kernelINS0_13select_configILj256ELj13ELNS0_17block_load_methodE3ELS4_3ELS4_3ELNS0_20block_scan_algorithmE0ELj4294967295EEENS1_25partition_config_selectorILNS1_17partition_subalgoE3EjNS0_10empty_typeEbEEZZNS1_14partition_implILS8_3ELb0ES6_jNS0_17counting_iteratorIjlEEPS9_SE_NS0_5tupleIJPjSE_EEENSF_IJSE_SE_EEES9_SG_JZNS1_25segmented_radix_sort_implINS0_14default_configELb1EPKaPaPKlPlN2at6native12_GLOBAL__N_18offset_tEEE10hipError_tPvRmT1_PNSt15iterator_traitsISY_E10value_typeET2_T3_PNSZ_IS14_E10value_typeET4_jRbjT5_S1A_jjP12ihipStream_tbEUljE_EEESV_SW_SX_S14_S18_S1A_T6_T7_T9_mT8_S1C_bDpT10_ENKUlT_T0_E_clISt17integral_constantIbLb0EES1P_EEDaS1K_S1L_EUlS1K_E_NS1_11comp_targetILNS1_3genE0ELNS1_11target_archE4294967295ELNS1_3gpuE0ELNS1_3repE0EEENS1_30default_config_static_selectorELNS0_4arch9wavefront6targetE1EEEvSY_.num_agpr, 0
	.set _ZN7rocprim17ROCPRIM_400000_NS6detail17trampoline_kernelINS0_13select_configILj256ELj13ELNS0_17block_load_methodE3ELS4_3ELS4_3ELNS0_20block_scan_algorithmE0ELj4294967295EEENS1_25partition_config_selectorILNS1_17partition_subalgoE3EjNS0_10empty_typeEbEEZZNS1_14partition_implILS8_3ELb0ES6_jNS0_17counting_iteratorIjlEEPS9_SE_NS0_5tupleIJPjSE_EEENSF_IJSE_SE_EEES9_SG_JZNS1_25segmented_radix_sort_implINS0_14default_configELb1EPKaPaPKlPlN2at6native12_GLOBAL__N_18offset_tEEE10hipError_tPvRmT1_PNSt15iterator_traitsISY_E10value_typeET2_T3_PNSZ_IS14_E10value_typeET4_jRbjT5_S1A_jjP12ihipStream_tbEUljE_EEESV_SW_SX_S14_S18_S1A_T6_T7_T9_mT8_S1C_bDpT10_ENKUlT_T0_E_clISt17integral_constantIbLb0EES1P_EEDaS1K_S1L_EUlS1K_E_NS1_11comp_targetILNS1_3genE0ELNS1_11target_archE4294967295ELNS1_3gpuE0ELNS1_3repE0EEENS1_30default_config_static_selectorELNS0_4arch9wavefront6targetE1EEEvSY_.numbered_sgpr, 0
	.set _ZN7rocprim17ROCPRIM_400000_NS6detail17trampoline_kernelINS0_13select_configILj256ELj13ELNS0_17block_load_methodE3ELS4_3ELS4_3ELNS0_20block_scan_algorithmE0ELj4294967295EEENS1_25partition_config_selectorILNS1_17partition_subalgoE3EjNS0_10empty_typeEbEEZZNS1_14partition_implILS8_3ELb0ES6_jNS0_17counting_iteratorIjlEEPS9_SE_NS0_5tupleIJPjSE_EEENSF_IJSE_SE_EEES9_SG_JZNS1_25segmented_radix_sort_implINS0_14default_configELb1EPKaPaPKlPlN2at6native12_GLOBAL__N_18offset_tEEE10hipError_tPvRmT1_PNSt15iterator_traitsISY_E10value_typeET2_T3_PNSZ_IS14_E10value_typeET4_jRbjT5_S1A_jjP12ihipStream_tbEUljE_EEESV_SW_SX_S14_S18_S1A_T6_T7_T9_mT8_S1C_bDpT10_ENKUlT_T0_E_clISt17integral_constantIbLb0EES1P_EEDaS1K_S1L_EUlS1K_E_NS1_11comp_targetILNS1_3genE0ELNS1_11target_archE4294967295ELNS1_3gpuE0ELNS1_3repE0EEENS1_30default_config_static_selectorELNS0_4arch9wavefront6targetE1EEEvSY_.num_named_barrier, 0
	.set _ZN7rocprim17ROCPRIM_400000_NS6detail17trampoline_kernelINS0_13select_configILj256ELj13ELNS0_17block_load_methodE3ELS4_3ELS4_3ELNS0_20block_scan_algorithmE0ELj4294967295EEENS1_25partition_config_selectorILNS1_17partition_subalgoE3EjNS0_10empty_typeEbEEZZNS1_14partition_implILS8_3ELb0ES6_jNS0_17counting_iteratorIjlEEPS9_SE_NS0_5tupleIJPjSE_EEENSF_IJSE_SE_EEES9_SG_JZNS1_25segmented_radix_sort_implINS0_14default_configELb1EPKaPaPKlPlN2at6native12_GLOBAL__N_18offset_tEEE10hipError_tPvRmT1_PNSt15iterator_traitsISY_E10value_typeET2_T3_PNSZ_IS14_E10value_typeET4_jRbjT5_S1A_jjP12ihipStream_tbEUljE_EEESV_SW_SX_S14_S18_S1A_T6_T7_T9_mT8_S1C_bDpT10_ENKUlT_T0_E_clISt17integral_constantIbLb0EES1P_EEDaS1K_S1L_EUlS1K_E_NS1_11comp_targetILNS1_3genE0ELNS1_11target_archE4294967295ELNS1_3gpuE0ELNS1_3repE0EEENS1_30default_config_static_selectorELNS0_4arch9wavefront6targetE1EEEvSY_.private_seg_size, 0
	.set _ZN7rocprim17ROCPRIM_400000_NS6detail17trampoline_kernelINS0_13select_configILj256ELj13ELNS0_17block_load_methodE3ELS4_3ELS4_3ELNS0_20block_scan_algorithmE0ELj4294967295EEENS1_25partition_config_selectorILNS1_17partition_subalgoE3EjNS0_10empty_typeEbEEZZNS1_14partition_implILS8_3ELb0ES6_jNS0_17counting_iteratorIjlEEPS9_SE_NS0_5tupleIJPjSE_EEENSF_IJSE_SE_EEES9_SG_JZNS1_25segmented_radix_sort_implINS0_14default_configELb1EPKaPaPKlPlN2at6native12_GLOBAL__N_18offset_tEEE10hipError_tPvRmT1_PNSt15iterator_traitsISY_E10value_typeET2_T3_PNSZ_IS14_E10value_typeET4_jRbjT5_S1A_jjP12ihipStream_tbEUljE_EEESV_SW_SX_S14_S18_S1A_T6_T7_T9_mT8_S1C_bDpT10_ENKUlT_T0_E_clISt17integral_constantIbLb0EES1P_EEDaS1K_S1L_EUlS1K_E_NS1_11comp_targetILNS1_3genE0ELNS1_11target_archE4294967295ELNS1_3gpuE0ELNS1_3repE0EEENS1_30default_config_static_selectorELNS0_4arch9wavefront6targetE1EEEvSY_.uses_vcc, 0
	.set _ZN7rocprim17ROCPRIM_400000_NS6detail17trampoline_kernelINS0_13select_configILj256ELj13ELNS0_17block_load_methodE3ELS4_3ELS4_3ELNS0_20block_scan_algorithmE0ELj4294967295EEENS1_25partition_config_selectorILNS1_17partition_subalgoE3EjNS0_10empty_typeEbEEZZNS1_14partition_implILS8_3ELb0ES6_jNS0_17counting_iteratorIjlEEPS9_SE_NS0_5tupleIJPjSE_EEENSF_IJSE_SE_EEES9_SG_JZNS1_25segmented_radix_sort_implINS0_14default_configELb1EPKaPaPKlPlN2at6native12_GLOBAL__N_18offset_tEEE10hipError_tPvRmT1_PNSt15iterator_traitsISY_E10value_typeET2_T3_PNSZ_IS14_E10value_typeET4_jRbjT5_S1A_jjP12ihipStream_tbEUljE_EEESV_SW_SX_S14_S18_S1A_T6_T7_T9_mT8_S1C_bDpT10_ENKUlT_T0_E_clISt17integral_constantIbLb0EES1P_EEDaS1K_S1L_EUlS1K_E_NS1_11comp_targetILNS1_3genE0ELNS1_11target_archE4294967295ELNS1_3gpuE0ELNS1_3repE0EEENS1_30default_config_static_selectorELNS0_4arch9wavefront6targetE1EEEvSY_.uses_flat_scratch, 0
	.set _ZN7rocprim17ROCPRIM_400000_NS6detail17trampoline_kernelINS0_13select_configILj256ELj13ELNS0_17block_load_methodE3ELS4_3ELS4_3ELNS0_20block_scan_algorithmE0ELj4294967295EEENS1_25partition_config_selectorILNS1_17partition_subalgoE3EjNS0_10empty_typeEbEEZZNS1_14partition_implILS8_3ELb0ES6_jNS0_17counting_iteratorIjlEEPS9_SE_NS0_5tupleIJPjSE_EEENSF_IJSE_SE_EEES9_SG_JZNS1_25segmented_radix_sort_implINS0_14default_configELb1EPKaPaPKlPlN2at6native12_GLOBAL__N_18offset_tEEE10hipError_tPvRmT1_PNSt15iterator_traitsISY_E10value_typeET2_T3_PNSZ_IS14_E10value_typeET4_jRbjT5_S1A_jjP12ihipStream_tbEUljE_EEESV_SW_SX_S14_S18_S1A_T6_T7_T9_mT8_S1C_bDpT10_ENKUlT_T0_E_clISt17integral_constantIbLb0EES1P_EEDaS1K_S1L_EUlS1K_E_NS1_11comp_targetILNS1_3genE0ELNS1_11target_archE4294967295ELNS1_3gpuE0ELNS1_3repE0EEENS1_30default_config_static_selectorELNS0_4arch9wavefront6targetE1EEEvSY_.has_dyn_sized_stack, 0
	.set _ZN7rocprim17ROCPRIM_400000_NS6detail17trampoline_kernelINS0_13select_configILj256ELj13ELNS0_17block_load_methodE3ELS4_3ELS4_3ELNS0_20block_scan_algorithmE0ELj4294967295EEENS1_25partition_config_selectorILNS1_17partition_subalgoE3EjNS0_10empty_typeEbEEZZNS1_14partition_implILS8_3ELb0ES6_jNS0_17counting_iteratorIjlEEPS9_SE_NS0_5tupleIJPjSE_EEENSF_IJSE_SE_EEES9_SG_JZNS1_25segmented_radix_sort_implINS0_14default_configELb1EPKaPaPKlPlN2at6native12_GLOBAL__N_18offset_tEEE10hipError_tPvRmT1_PNSt15iterator_traitsISY_E10value_typeET2_T3_PNSZ_IS14_E10value_typeET4_jRbjT5_S1A_jjP12ihipStream_tbEUljE_EEESV_SW_SX_S14_S18_S1A_T6_T7_T9_mT8_S1C_bDpT10_ENKUlT_T0_E_clISt17integral_constantIbLb0EES1P_EEDaS1K_S1L_EUlS1K_E_NS1_11comp_targetILNS1_3genE0ELNS1_11target_archE4294967295ELNS1_3gpuE0ELNS1_3repE0EEENS1_30default_config_static_selectorELNS0_4arch9wavefront6targetE1EEEvSY_.has_recursion, 0
	.set _ZN7rocprim17ROCPRIM_400000_NS6detail17trampoline_kernelINS0_13select_configILj256ELj13ELNS0_17block_load_methodE3ELS4_3ELS4_3ELNS0_20block_scan_algorithmE0ELj4294967295EEENS1_25partition_config_selectorILNS1_17partition_subalgoE3EjNS0_10empty_typeEbEEZZNS1_14partition_implILS8_3ELb0ES6_jNS0_17counting_iteratorIjlEEPS9_SE_NS0_5tupleIJPjSE_EEENSF_IJSE_SE_EEES9_SG_JZNS1_25segmented_radix_sort_implINS0_14default_configELb1EPKaPaPKlPlN2at6native12_GLOBAL__N_18offset_tEEE10hipError_tPvRmT1_PNSt15iterator_traitsISY_E10value_typeET2_T3_PNSZ_IS14_E10value_typeET4_jRbjT5_S1A_jjP12ihipStream_tbEUljE_EEESV_SW_SX_S14_S18_S1A_T6_T7_T9_mT8_S1C_bDpT10_ENKUlT_T0_E_clISt17integral_constantIbLb0EES1P_EEDaS1K_S1L_EUlS1K_E_NS1_11comp_targetILNS1_3genE0ELNS1_11target_archE4294967295ELNS1_3gpuE0ELNS1_3repE0EEENS1_30default_config_static_selectorELNS0_4arch9wavefront6targetE1EEEvSY_.has_indirect_call, 0
	.section	.AMDGPU.csdata,"",@progbits
; Kernel info:
; codeLenInByte = 0
; TotalNumSgprs: 4
; NumVgprs: 0
; ScratchSize: 0
; MemoryBound: 0
; FloatMode: 240
; IeeeMode: 1
; LDSByteSize: 0 bytes/workgroup (compile time only)
; SGPRBlocks: 0
; VGPRBlocks: 0
; NumSGPRsForWavesPerEU: 4
; NumVGPRsForWavesPerEU: 1
; Occupancy: 10
; WaveLimiterHint : 0
; COMPUTE_PGM_RSRC2:SCRATCH_EN: 0
; COMPUTE_PGM_RSRC2:USER_SGPR: 6
; COMPUTE_PGM_RSRC2:TRAP_HANDLER: 0
; COMPUTE_PGM_RSRC2:TGID_X_EN: 1
; COMPUTE_PGM_RSRC2:TGID_Y_EN: 0
; COMPUTE_PGM_RSRC2:TGID_Z_EN: 0
; COMPUTE_PGM_RSRC2:TIDIG_COMP_CNT: 0
	.section	.text._ZN7rocprim17ROCPRIM_400000_NS6detail17trampoline_kernelINS0_13select_configILj256ELj13ELNS0_17block_load_methodE3ELS4_3ELS4_3ELNS0_20block_scan_algorithmE0ELj4294967295EEENS1_25partition_config_selectorILNS1_17partition_subalgoE3EjNS0_10empty_typeEbEEZZNS1_14partition_implILS8_3ELb0ES6_jNS0_17counting_iteratorIjlEEPS9_SE_NS0_5tupleIJPjSE_EEENSF_IJSE_SE_EEES9_SG_JZNS1_25segmented_radix_sort_implINS0_14default_configELb1EPKaPaPKlPlN2at6native12_GLOBAL__N_18offset_tEEE10hipError_tPvRmT1_PNSt15iterator_traitsISY_E10value_typeET2_T3_PNSZ_IS14_E10value_typeET4_jRbjT5_S1A_jjP12ihipStream_tbEUljE_EEESV_SW_SX_S14_S18_S1A_T6_T7_T9_mT8_S1C_bDpT10_ENKUlT_T0_E_clISt17integral_constantIbLb0EES1P_EEDaS1K_S1L_EUlS1K_E_NS1_11comp_targetILNS1_3genE5ELNS1_11target_archE942ELNS1_3gpuE9ELNS1_3repE0EEENS1_30default_config_static_selectorELNS0_4arch9wavefront6targetE1EEEvSY_,"axG",@progbits,_ZN7rocprim17ROCPRIM_400000_NS6detail17trampoline_kernelINS0_13select_configILj256ELj13ELNS0_17block_load_methodE3ELS4_3ELS4_3ELNS0_20block_scan_algorithmE0ELj4294967295EEENS1_25partition_config_selectorILNS1_17partition_subalgoE3EjNS0_10empty_typeEbEEZZNS1_14partition_implILS8_3ELb0ES6_jNS0_17counting_iteratorIjlEEPS9_SE_NS0_5tupleIJPjSE_EEENSF_IJSE_SE_EEES9_SG_JZNS1_25segmented_radix_sort_implINS0_14default_configELb1EPKaPaPKlPlN2at6native12_GLOBAL__N_18offset_tEEE10hipError_tPvRmT1_PNSt15iterator_traitsISY_E10value_typeET2_T3_PNSZ_IS14_E10value_typeET4_jRbjT5_S1A_jjP12ihipStream_tbEUljE_EEESV_SW_SX_S14_S18_S1A_T6_T7_T9_mT8_S1C_bDpT10_ENKUlT_T0_E_clISt17integral_constantIbLb0EES1P_EEDaS1K_S1L_EUlS1K_E_NS1_11comp_targetILNS1_3genE5ELNS1_11target_archE942ELNS1_3gpuE9ELNS1_3repE0EEENS1_30default_config_static_selectorELNS0_4arch9wavefront6targetE1EEEvSY_,comdat
	.globl	_ZN7rocprim17ROCPRIM_400000_NS6detail17trampoline_kernelINS0_13select_configILj256ELj13ELNS0_17block_load_methodE3ELS4_3ELS4_3ELNS0_20block_scan_algorithmE0ELj4294967295EEENS1_25partition_config_selectorILNS1_17partition_subalgoE3EjNS0_10empty_typeEbEEZZNS1_14partition_implILS8_3ELb0ES6_jNS0_17counting_iteratorIjlEEPS9_SE_NS0_5tupleIJPjSE_EEENSF_IJSE_SE_EEES9_SG_JZNS1_25segmented_radix_sort_implINS0_14default_configELb1EPKaPaPKlPlN2at6native12_GLOBAL__N_18offset_tEEE10hipError_tPvRmT1_PNSt15iterator_traitsISY_E10value_typeET2_T3_PNSZ_IS14_E10value_typeET4_jRbjT5_S1A_jjP12ihipStream_tbEUljE_EEESV_SW_SX_S14_S18_S1A_T6_T7_T9_mT8_S1C_bDpT10_ENKUlT_T0_E_clISt17integral_constantIbLb0EES1P_EEDaS1K_S1L_EUlS1K_E_NS1_11comp_targetILNS1_3genE5ELNS1_11target_archE942ELNS1_3gpuE9ELNS1_3repE0EEENS1_30default_config_static_selectorELNS0_4arch9wavefront6targetE1EEEvSY_ ; -- Begin function _ZN7rocprim17ROCPRIM_400000_NS6detail17trampoline_kernelINS0_13select_configILj256ELj13ELNS0_17block_load_methodE3ELS4_3ELS4_3ELNS0_20block_scan_algorithmE0ELj4294967295EEENS1_25partition_config_selectorILNS1_17partition_subalgoE3EjNS0_10empty_typeEbEEZZNS1_14partition_implILS8_3ELb0ES6_jNS0_17counting_iteratorIjlEEPS9_SE_NS0_5tupleIJPjSE_EEENSF_IJSE_SE_EEES9_SG_JZNS1_25segmented_radix_sort_implINS0_14default_configELb1EPKaPaPKlPlN2at6native12_GLOBAL__N_18offset_tEEE10hipError_tPvRmT1_PNSt15iterator_traitsISY_E10value_typeET2_T3_PNSZ_IS14_E10value_typeET4_jRbjT5_S1A_jjP12ihipStream_tbEUljE_EEESV_SW_SX_S14_S18_S1A_T6_T7_T9_mT8_S1C_bDpT10_ENKUlT_T0_E_clISt17integral_constantIbLb0EES1P_EEDaS1K_S1L_EUlS1K_E_NS1_11comp_targetILNS1_3genE5ELNS1_11target_archE942ELNS1_3gpuE9ELNS1_3repE0EEENS1_30default_config_static_selectorELNS0_4arch9wavefront6targetE1EEEvSY_
	.p2align	8
	.type	_ZN7rocprim17ROCPRIM_400000_NS6detail17trampoline_kernelINS0_13select_configILj256ELj13ELNS0_17block_load_methodE3ELS4_3ELS4_3ELNS0_20block_scan_algorithmE0ELj4294967295EEENS1_25partition_config_selectorILNS1_17partition_subalgoE3EjNS0_10empty_typeEbEEZZNS1_14partition_implILS8_3ELb0ES6_jNS0_17counting_iteratorIjlEEPS9_SE_NS0_5tupleIJPjSE_EEENSF_IJSE_SE_EEES9_SG_JZNS1_25segmented_radix_sort_implINS0_14default_configELb1EPKaPaPKlPlN2at6native12_GLOBAL__N_18offset_tEEE10hipError_tPvRmT1_PNSt15iterator_traitsISY_E10value_typeET2_T3_PNSZ_IS14_E10value_typeET4_jRbjT5_S1A_jjP12ihipStream_tbEUljE_EEESV_SW_SX_S14_S18_S1A_T6_T7_T9_mT8_S1C_bDpT10_ENKUlT_T0_E_clISt17integral_constantIbLb0EES1P_EEDaS1K_S1L_EUlS1K_E_NS1_11comp_targetILNS1_3genE5ELNS1_11target_archE942ELNS1_3gpuE9ELNS1_3repE0EEENS1_30default_config_static_selectorELNS0_4arch9wavefront6targetE1EEEvSY_,@function
_ZN7rocprim17ROCPRIM_400000_NS6detail17trampoline_kernelINS0_13select_configILj256ELj13ELNS0_17block_load_methodE3ELS4_3ELS4_3ELNS0_20block_scan_algorithmE0ELj4294967295EEENS1_25partition_config_selectorILNS1_17partition_subalgoE3EjNS0_10empty_typeEbEEZZNS1_14partition_implILS8_3ELb0ES6_jNS0_17counting_iteratorIjlEEPS9_SE_NS0_5tupleIJPjSE_EEENSF_IJSE_SE_EEES9_SG_JZNS1_25segmented_radix_sort_implINS0_14default_configELb1EPKaPaPKlPlN2at6native12_GLOBAL__N_18offset_tEEE10hipError_tPvRmT1_PNSt15iterator_traitsISY_E10value_typeET2_T3_PNSZ_IS14_E10value_typeET4_jRbjT5_S1A_jjP12ihipStream_tbEUljE_EEESV_SW_SX_S14_S18_S1A_T6_T7_T9_mT8_S1C_bDpT10_ENKUlT_T0_E_clISt17integral_constantIbLb0EES1P_EEDaS1K_S1L_EUlS1K_E_NS1_11comp_targetILNS1_3genE5ELNS1_11target_archE942ELNS1_3gpuE9ELNS1_3repE0EEENS1_30default_config_static_selectorELNS0_4arch9wavefront6targetE1EEEvSY_: ; @_ZN7rocprim17ROCPRIM_400000_NS6detail17trampoline_kernelINS0_13select_configILj256ELj13ELNS0_17block_load_methodE3ELS4_3ELS4_3ELNS0_20block_scan_algorithmE0ELj4294967295EEENS1_25partition_config_selectorILNS1_17partition_subalgoE3EjNS0_10empty_typeEbEEZZNS1_14partition_implILS8_3ELb0ES6_jNS0_17counting_iteratorIjlEEPS9_SE_NS0_5tupleIJPjSE_EEENSF_IJSE_SE_EEES9_SG_JZNS1_25segmented_radix_sort_implINS0_14default_configELb1EPKaPaPKlPlN2at6native12_GLOBAL__N_18offset_tEEE10hipError_tPvRmT1_PNSt15iterator_traitsISY_E10value_typeET2_T3_PNSZ_IS14_E10value_typeET4_jRbjT5_S1A_jjP12ihipStream_tbEUljE_EEESV_SW_SX_S14_S18_S1A_T6_T7_T9_mT8_S1C_bDpT10_ENKUlT_T0_E_clISt17integral_constantIbLb0EES1P_EEDaS1K_S1L_EUlS1K_E_NS1_11comp_targetILNS1_3genE5ELNS1_11target_archE942ELNS1_3gpuE9ELNS1_3repE0EEENS1_30default_config_static_selectorELNS0_4arch9wavefront6targetE1EEEvSY_
; %bb.0:
	.section	.rodata,"a",@progbits
	.p2align	6, 0x0
	.amdhsa_kernel _ZN7rocprim17ROCPRIM_400000_NS6detail17trampoline_kernelINS0_13select_configILj256ELj13ELNS0_17block_load_methodE3ELS4_3ELS4_3ELNS0_20block_scan_algorithmE0ELj4294967295EEENS1_25partition_config_selectorILNS1_17partition_subalgoE3EjNS0_10empty_typeEbEEZZNS1_14partition_implILS8_3ELb0ES6_jNS0_17counting_iteratorIjlEEPS9_SE_NS0_5tupleIJPjSE_EEENSF_IJSE_SE_EEES9_SG_JZNS1_25segmented_radix_sort_implINS0_14default_configELb1EPKaPaPKlPlN2at6native12_GLOBAL__N_18offset_tEEE10hipError_tPvRmT1_PNSt15iterator_traitsISY_E10value_typeET2_T3_PNSZ_IS14_E10value_typeET4_jRbjT5_S1A_jjP12ihipStream_tbEUljE_EEESV_SW_SX_S14_S18_S1A_T6_T7_T9_mT8_S1C_bDpT10_ENKUlT_T0_E_clISt17integral_constantIbLb0EES1P_EEDaS1K_S1L_EUlS1K_E_NS1_11comp_targetILNS1_3genE5ELNS1_11target_archE942ELNS1_3gpuE9ELNS1_3repE0EEENS1_30default_config_static_selectorELNS0_4arch9wavefront6targetE1EEEvSY_
		.amdhsa_group_segment_fixed_size 0
		.amdhsa_private_segment_fixed_size 0
		.amdhsa_kernarg_size 144
		.amdhsa_user_sgpr_count 6
		.amdhsa_user_sgpr_private_segment_buffer 1
		.amdhsa_user_sgpr_dispatch_ptr 0
		.amdhsa_user_sgpr_queue_ptr 0
		.amdhsa_user_sgpr_kernarg_segment_ptr 1
		.amdhsa_user_sgpr_dispatch_id 0
		.amdhsa_user_sgpr_flat_scratch_init 0
		.amdhsa_user_sgpr_private_segment_size 0
		.amdhsa_uses_dynamic_stack 0
		.amdhsa_system_sgpr_private_segment_wavefront_offset 0
		.amdhsa_system_sgpr_workgroup_id_x 1
		.amdhsa_system_sgpr_workgroup_id_y 0
		.amdhsa_system_sgpr_workgroup_id_z 0
		.amdhsa_system_sgpr_workgroup_info 0
		.amdhsa_system_vgpr_workitem_id 0
		.amdhsa_next_free_vgpr 1
		.amdhsa_next_free_sgpr 0
		.amdhsa_reserve_vcc 0
		.amdhsa_reserve_flat_scratch 0
		.amdhsa_float_round_mode_32 0
		.amdhsa_float_round_mode_16_64 0
		.amdhsa_float_denorm_mode_32 3
		.amdhsa_float_denorm_mode_16_64 3
		.amdhsa_dx10_clamp 1
		.amdhsa_ieee_mode 1
		.amdhsa_fp16_overflow 0
		.amdhsa_exception_fp_ieee_invalid_op 0
		.amdhsa_exception_fp_denorm_src 0
		.amdhsa_exception_fp_ieee_div_zero 0
		.amdhsa_exception_fp_ieee_overflow 0
		.amdhsa_exception_fp_ieee_underflow 0
		.amdhsa_exception_fp_ieee_inexact 0
		.amdhsa_exception_int_div_zero 0
	.end_amdhsa_kernel
	.section	.text._ZN7rocprim17ROCPRIM_400000_NS6detail17trampoline_kernelINS0_13select_configILj256ELj13ELNS0_17block_load_methodE3ELS4_3ELS4_3ELNS0_20block_scan_algorithmE0ELj4294967295EEENS1_25partition_config_selectorILNS1_17partition_subalgoE3EjNS0_10empty_typeEbEEZZNS1_14partition_implILS8_3ELb0ES6_jNS0_17counting_iteratorIjlEEPS9_SE_NS0_5tupleIJPjSE_EEENSF_IJSE_SE_EEES9_SG_JZNS1_25segmented_radix_sort_implINS0_14default_configELb1EPKaPaPKlPlN2at6native12_GLOBAL__N_18offset_tEEE10hipError_tPvRmT1_PNSt15iterator_traitsISY_E10value_typeET2_T3_PNSZ_IS14_E10value_typeET4_jRbjT5_S1A_jjP12ihipStream_tbEUljE_EEESV_SW_SX_S14_S18_S1A_T6_T7_T9_mT8_S1C_bDpT10_ENKUlT_T0_E_clISt17integral_constantIbLb0EES1P_EEDaS1K_S1L_EUlS1K_E_NS1_11comp_targetILNS1_3genE5ELNS1_11target_archE942ELNS1_3gpuE9ELNS1_3repE0EEENS1_30default_config_static_selectorELNS0_4arch9wavefront6targetE1EEEvSY_,"axG",@progbits,_ZN7rocprim17ROCPRIM_400000_NS6detail17trampoline_kernelINS0_13select_configILj256ELj13ELNS0_17block_load_methodE3ELS4_3ELS4_3ELNS0_20block_scan_algorithmE0ELj4294967295EEENS1_25partition_config_selectorILNS1_17partition_subalgoE3EjNS0_10empty_typeEbEEZZNS1_14partition_implILS8_3ELb0ES6_jNS0_17counting_iteratorIjlEEPS9_SE_NS0_5tupleIJPjSE_EEENSF_IJSE_SE_EEES9_SG_JZNS1_25segmented_radix_sort_implINS0_14default_configELb1EPKaPaPKlPlN2at6native12_GLOBAL__N_18offset_tEEE10hipError_tPvRmT1_PNSt15iterator_traitsISY_E10value_typeET2_T3_PNSZ_IS14_E10value_typeET4_jRbjT5_S1A_jjP12ihipStream_tbEUljE_EEESV_SW_SX_S14_S18_S1A_T6_T7_T9_mT8_S1C_bDpT10_ENKUlT_T0_E_clISt17integral_constantIbLb0EES1P_EEDaS1K_S1L_EUlS1K_E_NS1_11comp_targetILNS1_3genE5ELNS1_11target_archE942ELNS1_3gpuE9ELNS1_3repE0EEENS1_30default_config_static_selectorELNS0_4arch9wavefront6targetE1EEEvSY_,comdat
.Lfunc_end259:
	.size	_ZN7rocprim17ROCPRIM_400000_NS6detail17trampoline_kernelINS0_13select_configILj256ELj13ELNS0_17block_load_methodE3ELS4_3ELS4_3ELNS0_20block_scan_algorithmE0ELj4294967295EEENS1_25partition_config_selectorILNS1_17partition_subalgoE3EjNS0_10empty_typeEbEEZZNS1_14partition_implILS8_3ELb0ES6_jNS0_17counting_iteratorIjlEEPS9_SE_NS0_5tupleIJPjSE_EEENSF_IJSE_SE_EEES9_SG_JZNS1_25segmented_radix_sort_implINS0_14default_configELb1EPKaPaPKlPlN2at6native12_GLOBAL__N_18offset_tEEE10hipError_tPvRmT1_PNSt15iterator_traitsISY_E10value_typeET2_T3_PNSZ_IS14_E10value_typeET4_jRbjT5_S1A_jjP12ihipStream_tbEUljE_EEESV_SW_SX_S14_S18_S1A_T6_T7_T9_mT8_S1C_bDpT10_ENKUlT_T0_E_clISt17integral_constantIbLb0EES1P_EEDaS1K_S1L_EUlS1K_E_NS1_11comp_targetILNS1_3genE5ELNS1_11target_archE942ELNS1_3gpuE9ELNS1_3repE0EEENS1_30default_config_static_selectorELNS0_4arch9wavefront6targetE1EEEvSY_, .Lfunc_end259-_ZN7rocprim17ROCPRIM_400000_NS6detail17trampoline_kernelINS0_13select_configILj256ELj13ELNS0_17block_load_methodE3ELS4_3ELS4_3ELNS0_20block_scan_algorithmE0ELj4294967295EEENS1_25partition_config_selectorILNS1_17partition_subalgoE3EjNS0_10empty_typeEbEEZZNS1_14partition_implILS8_3ELb0ES6_jNS0_17counting_iteratorIjlEEPS9_SE_NS0_5tupleIJPjSE_EEENSF_IJSE_SE_EEES9_SG_JZNS1_25segmented_radix_sort_implINS0_14default_configELb1EPKaPaPKlPlN2at6native12_GLOBAL__N_18offset_tEEE10hipError_tPvRmT1_PNSt15iterator_traitsISY_E10value_typeET2_T3_PNSZ_IS14_E10value_typeET4_jRbjT5_S1A_jjP12ihipStream_tbEUljE_EEESV_SW_SX_S14_S18_S1A_T6_T7_T9_mT8_S1C_bDpT10_ENKUlT_T0_E_clISt17integral_constantIbLb0EES1P_EEDaS1K_S1L_EUlS1K_E_NS1_11comp_targetILNS1_3genE5ELNS1_11target_archE942ELNS1_3gpuE9ELNS1_3repE0EEENS1_30default_config_static_selectorELNS0_4arch9wavefront6targetE1EEEvSY_
                                        ; -- End function
	.set _ZN7rocprim17ROCPRIM_400000_NS6detail17trampoline_kernelINS0_13select_configILj256ELj13ELNS0_17block_load_methodE3ELS4_3ELS4_3ELNS0_20block_scan_algorithmE0ELj4294967295EEENS1_25partition_config_selectorILNS1_17partition_subalgoE3EjNS0_10empty_typeEbEEZZNS1_14partition_implILS8_3ELb0ES6_jNS0_17counting_iteratorIjlEEPS9_SE_NS0_5tupleIJPjSE_EEENSF_IJSE_SE_EEES9_SG_JZNS1_25segmented_radix_sort_implINS0_14default_configELb1EPKaPaPKlPlN2at6native12_GLOBAL__N_18offset_tEEE10hipError_tPvRmT1_PNSt15iterator_traitsISY_E10value_typeET2_T3_PNSZ_IS14_E10value_typeET4_jRbjT5_S1A_jjP12ihipStream_tbEUljE_EEESV_SW_SX_S14_S18_S1A_T6_T7_T9_mT8_S1C_bDpT10_ENKUlT_T0_E_clISt17integral_constantIbLb0EES1P_EEDaS1K_S1L_EUlS1K_E_NS1_11comp_targetILNS1_3genE5ELNS1_11target_archE942ELNS1_3gpuE9ELNS1_3repE0EEENS1_30default_config_static_selectorELNS0_4arch9wavefront6targetE1EEEvSY_.num_vgpr, 0
	.set _ZN7rocprim17ROCPRIM_400000_NS6detail17trampoline_kernelINS0_13select_configILj256ELj13ELNS0_17block_load_methodE3ELS4_3ELS4_3ELNS0_20block_scan_algorithmE0ELj4294967295EEENS1_25partition_config_selectorILNS1_17partition_subalgoE3EjNS0_10empty_typeEbEEZZNS1_14partition_implILS8_3ELb0ES6_jNS0_17counting_iteratorIjlEEPS9_SE_NS0_5tupleIJPjSE_EEENSF_IJSE_SE_EEES9_SG_JZNS1_25segmented_radix_sort_implINS0_14default_configELb1EPKaPaPKlPlN2at6native12_GLOBAL__N_18offset_tEEE10hipError_tPvRmT1_PNSt15iterator_traitsISY_E10value_typeET2_T3_PNSZ_IS14_E10value_typeET4_jRbjT5_S1A_jjP12ihipStream_tbEUljE_EEESV_SW_SX_S14_S18_S1A_T6_T7_T9_mT8_S1C_bDpT10_ENKUlT_T0_E_clISt17integral_constantIbLb0EES1P_EEDaS1K_S1L_EUlS1K_E_NS1_11comp_targetILNS1_3genE5ELNS1_11target_archE942ELNS1_3gpuE9ELNS1_3repE0EEENS1_30default_config_static_selectorELNS0_4arch9wavefront6targetE1EEEvSY_.num_agpr, 0
	.set _ZN7rocprim17ROCPRIM_400000_NS6detail17trampoline_kernelINS0_13select_configILj256ELj13ELNS0_17block_load_methodE3ELS4_3ELS4_3ELNS0_20block_scan_algorithmE0ELj4294967295EEENS1_25partition_config_selectorILNS1_17partition_subalgoE3EjNS0_10empty_typeEbEEZZNS1_14partition_implILS8_3ELb0ES6_jNS0_17counting_iteratorIjlEEPS9_SE_NS0_5tupleIJPjSE_EEENSF_IJSE_SE_EEES9_SG_JZNS1_25segmented_radix_sort_implINS0_14default_configELb1EPKaPaPKlPlN2at6native12_GLOBAL__N_18offset_tEEE10hipError_tPvRmT1_PNSt15iterator_traitsISY_E10value_typeET2_T3_PNSZ_IS14_E10value_typeET4_jRbjT5_S1A_jjP12ihipStream_tbEUljE_EEESV_SW_SX_S14_S18_S1A_T6_T7_T9_mT8_S1C_bDpT10_ENKUlT_T0_E_clISt17integral_constantIbLb0EES1P_EEDaS1K_S1L_EUlS1K_E_NS1_11comp_targetILNS1_3genE5ELNS1_11target_archE942ELNS1_3gpuE9ELNS1_3repE0EEENS1_30default_config_static_selectorELNS0_4arch9wavefront6targetE1EEEvSY_.numbered_sgpr, 0
	.set _ZN7rocprim17ROCPRIM_400000_NS6detail17trampoline_kernelINS0_13select_configILj256ELj13ELNS0_17block_load_methodE3ELS4_3ELS4_3ELNS0_20block_scan_algorithmE0ELj4294967295EEENS1_25partition_config_selectorILNS1_17partition_subalgoE3EjNS0_10empty_typeEbEEZZNS1_14partition_implILS8_3ELb0ES6_jNS0_17counting_iteratorIjlEEPS9_SE_NS0_5tupleIJPjSE_EEENSF_IJSE_SE_EEES9_SG_JZNS1_25segmented_radix_sort_implINS0_14default_configELb1EPKaPaPKlPlN2at6native12_GLOBAL__N_18offset_tEEE10hipError_tPvRmT1_PNSt15iterator_traitsISY_E10value_typeET2_T3_PNSZ_IS14_E10value_typeET4_jRbjT5_S1A_jjP12ihipStream_tbEUljE_EEESV_SW_SX_S14_S18_S1A_T6_T7_T9_mT8_S1C_bDpT10_ENKUlT_T0_E_clISt17integral_constantIbLb0EES1P_EEDaS1K_S1L_EUlS1K_E_NS1_11comp_targetILNS1_3genE5ELNS1_11target_archE942ELNS1_3gpuE9ELNS1_3repE0EEENS1_30default_config_static_selectorELNS0_4arch9wavefront6targetE1EEEvSY_.num_named_barrier, 0
	.set _ZN7rocprim17ROCPRIM_400000_NS6detail17trampoline_kernelINS0_13select_configILj256ELj13ELNS0_17block_load_methodE3ELS4_3ELS4_3ELNS0_20block_scan_algorithmE0ELj4294967295EEENS1_25partition_config_selectorILNS1_17partition_subalgoE3EjNS0_10empty_typeEbEEZZNS1_14partition_implILS8_3ELb0ES6_jNS0_17counting_iteratorIjlEEPS9_SE_NS0_5tupleIJPjSE_EEENSF_IJSE_SE_EEES9_SG_JZNS1_25segmented_radix_sort_implINS0_14default_configELb1EPKaPaPKlPlN2at6native12_GLOBAL__N_18offset_tEEE10hipError_tPvRmT1_PNSt15iterator_traitsISY_E10value_typeET2_T3_PNSZ_IS14_E10value_typeET4_jRbjT5_S1A_jjP12ihipStream_tbEUljE_EEESV_SW_SX_S14_S18_S1A_T6_T7_T9_mT8_S1C_bDpT10_ENKUlT_T0_E_clISt17integral_constantIbLb0EES1P_EEDaS1K_S1L_EUlS1K_E_NS1_11comp_targetILNS1_3genE5ELNS1_11target_archE942ELNS1_3gpuE9ELNS1_3repE0EEENS1_30default_config_static_selectorELNS0_4arch9wavefront6targetE1EEEvSY_.private_seg_size, 0
	.set _ZN7rocprim17ROCPRIM_400000_NS6detail17trampoline_kernelINS0_13select_configILj256ELj13ELNS0_17block_load_methodE3ELS4_3ELS4_3ELNS0_20block_scan_algorithmE0ELj4294967295EEENS1_25partition_config_selectorILNS1_17partition_subalgoE3EjNS0_10empty_typeEbEEZZNS1_14partition_implILS8_3ELb0ES6_jNS0_17counting_iteratorIjlEEPS9_SE_NS0_5tupleIJPjSE_EEENSF_IJSE_SE_EEES9_SG_JZNS1_25segmented_radix_sort_implINS0_14default_configELb1EPKaPaPKlPlN2at6native12_GLOBAL__N_18offset_tEEE10hipError_tPvRmT1_PNSt15iterator_traitsISY_E10value_typeET2_T3_PNSZ_IS14_E10value_typeET4_jRbjT5_S1A_jjP12ihipStream_tbEUljE_EEESV_SW_SX_S14_S18_S1A_T6_T7_T9_mT8_S1C_bDpT10_ENKUlT_T0_E_clISt17integral_constantIbLb0EES1P_EEDaS1K_S1L_EUlS1K_E_NS1_11comp_targetILNS1_3genE5ELNS1_11target_archE942ELNS1_3gpuE9ELNS1_3repE0EEENS1_30default_config_static_selectorELNS0_4arch9wavefront6targetE1EEEvSY_.uses_vcc, 0
	.set _ZN7rocprim17ROCPRIM_400000_NS6detail17trampoline_kernelINS0_13select_configILj256ELj13ELNS0_17block_load_methodE3ELS4_3ELS4_3ELNS0_20block_scan_algorithmE0ELj4294967295EEENS1_25partition_config_selectorILNS1_17partition_subalgoE3EjNS0_10empty_typeEbEEZZNS1_14partition_implILS8_3ELb0ES6_jNS0_17counting_iteratorIjlEEPS9_SE_NS0_5tupleIJPjSE_EEENSF_IJSE_SE_EEES9_SG_JZNS1_25segmented_radix_sort_implINS0_14default_configELb1EPKaPaPKlPlN2at6native12_GLOBAL__N_18offset_tEEE10hipError_tPvRmT1_PNSt15iterator_traitsISY_E10value_typeET2_T3_PNSZ_IS14_E10value_typeET4_jRbjT5_S1A_jjP12ihipStream_tbEUljE_EEESV_SW_SX_S14_S18_S1A_T6_T7_T9_mT8_S1C_bDpT10_ENKUlT_T0_E_clISt17integral_constantIbLb0EES1P_EEDaS1K_S1L_EUlS1K_E_NS1_11comp_targetILNS1_3genE5ELNS1_11target_archE942ELNS1_3gpuE9ELNS1_3repE0EEENS1_30default_config_static_selectorELNS0_4arch9wavefront6targetE1EEEvSY_.uses_flat_scratch, 0
	.set _ZN7rocprim17ROCPRIM_400000_NS6detail17trampoline_kernelINS0_13select_configILj256ELj13ELNS0_17block_load_methodE3ELS4_3ELS4_3ELNS0_20block_scan_algorithmE0ELj4294967295EEENS1_25partition_config_selectorILNS1_17partition_subalgoE3EjNS0_10empty_typeEbEEZZNS1_14partition_implILS8_3ELb0ES6_jNS0_17counting_iteratorIjlEEPS9_SE_NS0_5tupleIJPjSE_EEENSF_IJSE_SE_EEES9_SG_JZNS1_25segmented_radix_sort_implINS0_14default_configELb1EPKaPaPKlPlN2at6native12_GLOBAL__N_18offset_tEEE10hipError_tPvRmT1_PNSt15iterator_traitsISY_E10value_typeET2_T3_PNSZ_IS14_E10value_typeET4_jRbjT5_S1A_jjP12ihipStream_tbEUljE_EEESV_SW_SX_S14_S18_S1A_T6_T7_T9_mT8_S1C_bDpT10_ENKUlT_T0_E_clISt17integral_constantIbLb0EES1P_EEDaS1K_S1L_EUlS1K_E_NS1_11comp_targetILNS1_3genE5ELNS1_11target_archE942ELNS1_3gpuE9ELNS1_3repE0EEENS1_30default_config_static_selectorELNS0_4arch9wavefront6targetE1EEEvSY_.has_dyn_sized_stack, 0
	.set _ZN7rocprim17ROCPRIM_400000_NS6detail17trampoline_kernelINS0_13select_configILj256ELj13ELNS0_17block_load_methodE3ELS4_3ELS4_3ELNS0_20block_scan_algorithmE0ELj4294967295EEENS1_25partition_config_selectorILNS1_17partition_subalgoE3EjNS0_10empty_typeEbEEZZNS1_14partition_implILS8_3ELb0ES6_jNS0_17counting_iteratorIjlEEPS9_SE_NS0_5tupleIJPjSE_EEENSF_IJSE_SE_EEES9_SG_JZNS1_25segmented_radix_sort_implINS0_14default_configELb1EPKaPaPKlPlN2at6native12_GLOBAL__N_18offset_tEEE10hipError_tPvRmT1_PNSt15iterator_traitsISY_E10value_typeET2_T3_PNSZ_IS14_E10value_typeET4_jRbjT5_S1A_jjP12ihipStream_tbEUljE_EEESV_SW_SX_S14_S18_S1A_T6_T7_T9_mT8_S1C_bDpT10_ENKUlT_T0_E_clISt17integral_constantIbLb0EES1P_EEDaS1K_S1L_EUlS1K_E_NS1_11comp_targetILNS1_3genE5ELNS1_11target_archE942ELNS1_3gpuE9ELNS1_3repE0EEENS1_30default_config_static_selectorELNS0_4arch9wavefront6targetE1EEEvSY_.has_recursion, 0
	.set _ZN7rocprim17ROCPRIM_400000_NS6detail17trampoline_kernelINS0_13select_configILj256ELj13ELNS0_17block_load_methodE3ELS4_3ELS4_3ELNS0_20block_scan_algorithmE0ELj4294967295EEENS1_25partition_config_selectorILNS1_17partition_subalgoE3EjNS0_10empty_typeEbEEZZNS1_14partition_implILS8_3ELb0ES6_jNS0_17counting_iteratorIjlEEPS9_SE_NS0_5tupleIJPjSE_EEENSF_IJSE_SE_EEES9_SG_JZNS1_25segmented_radix_sort_implINS0_14default_configELb1EPKaPaPKlPlN2at6native12_GLOBAL__N_18offset_tEEE10hipError_tPvRmT1_PNSt15iterator_traitsISY_E10value_typeET2_T3_PNSZ_IS14_E10value_typeET4_jRbjT5_S1A_jjP12ihipStream_tbEUljE_EEESV_SW_SX_S14_S18_S1A_T6_T7_T9_mT8_S1C_bDpT10_ENKUlT_T0_E_clISt17integral_constantIbLb0EES1P_EEDaS1K_S1L_EUlS1K_E_NS1_11comp_targetILNS1_3genE5ELNS1_11target_archE942ELNS1_3gpuE9ELNS1_3repE0EEENS1_30default_config_static_selectorELNS0_4arch9wavefront6targetE1EEEvSY_.has_indirect_call, 0
	.section	.AMDGPU.csdata,"",@progbits
; Kernel info:
; codeLenInByte = 0
; TotalNumSgprs: 4
; NumVgprs: 0
; ScratchSize: 0
; MemoryBound: 0
; FloatMode: 240
; IeeeMode: 1
; LDSByteSize: 0 bytes/workgroup (compile time only)
; SGPRBlocks: 0
; VGPRBlocks: 0
; NumSGPRsForWavesPerEU: 4
; NumVGPRsForWavesPerEU: 1
; Occupancy: 10
; WaveLimiterHint : 0
; COMPUTE_PGM_RSRC2:SCRATCH_EN: 0
; COMPUTE_PGM_RSRC2:USER_SGPR: 6
; COMPUTE_PGM_RSRC2:TRAP_HANDLER: 0
; COMPUTE_PGM_RSRC2:TGID_X_EN: 1
; COMPUTE_PGM_RSRC2:TGID_Y_EN: 0
; COMPUTE_PGM_RSRC2:TGID_Z_EN: 0
; COMPUTE_PGM_RSRC2:TIDIG_COMP_CNT: 0
	.section	.text._ZN7rocprim17ROCPRIM_400000_NS6detail17trampoline_kernelINS0_13select_configILj256ELj13ELNS0_17block_load_methodE3ELS4_3ELS4_3ELNS0_20block_scan_algorithmE0ELj4294967295EEENS1_25partition_config_selectorILNS1_17partition_subalgoE3EjNS0_10empty_typeEbEEZZNS1_14partition_implILS8_3ELb0ES6_jNS0_17counting_iteratorIjlEEPS9_SE_NS0_5tupleIJPjSE_EEENSF_IJSE_SE_EEES9_SG_JZNS1_25segmented_radix_sort_implINS0_14default_configELb1EPKaPaPKlPlN2at6native12_GLOBAL__N_18offset_tEEE10hipError_tPvRmT1_PNSt15iterator_traitsISY_E10value_typeET2_T3_PNSZ_IS14_E10value_typeET4_jRbjT5_S1A_jjP12ihipStream_tbEUljE_EEESV_SW_SX_S14_S18_S1A_T6_T7_T9_mT8_S1C_bDpT10_ENKUlT_T0_E_clISt17integral_constantIbLb0EES1P_EEDaS1K_S1L_EUlS1K_E_NS1_11comp_targetILNS1_3genE4ELNS1_11target_archE910ELNS1_3gpuE8ELNS1_3repE0EEENS1_30default_config_static_selectorELNS0_4arch9wavefront6targetE1EEEvSY_,"axG",@progbits,_ZN7rocprim17ROCPRIM_400000_NS6detail17trampoline_kernelINS0_13select_configILj256ELj13ELNS0_17block_load_methodE3ELS4_3ELS4_3ELNS0_20block_scan_algorithmE0ELj4294967295EEENS1_25partition_config_selectorILNS1_17partition_subalgoE3EjNS0_10empty_typeEbEEZZNS1_14partition_implILS8_3ELb0ES6_jNS0_17counting_iteratorIjlEEPS9_SE_NS0_5tupleIJPjSE_EEENSF_IJSE_SE_EEES9_SG_JZNS1_25segmented_radix_sort_implINS0_14default_configELb1EPKaPaPKlPlN2at6native12_GLOBAL__N_18offset_tEEE10hipError_tPvRmT1_PNSt15iterator_traitsISY_E10value_typeET2_T3_PNSZ_IS14_E10value_typeET4_jRbjT5_S1A_jjP12ihipStream_tbEUljE_EEESV_SW_SX_S14_S18_S1A_T6_T7_T9_mT8_S1C_bDpT10_ENKUlT_T0_E_clISt17integral_constantIbLb0EES1P_EEDaS1K_S1L_EUlS1K_E_NS1_11comp_targetILNS1_3genE4ELNS1_11target_archE910ELNS1_3gpuE8ELNS1_3repE0EEENS1_30default_config_static_selectorELNS0_4arch9wavefront6targetE1EEEvSY_,comdat
	.globl	_ZN7rocprim17ROCPRIM_400000_NS6detail17trampoline_kernelINS0_13select_configILj256ELj13ELNS0_17block_load_methodE3ELS4_3ELS4_3ELNS0_20block_scan_algorithmE0ELj4294967295EEENS1_25partition_config_selectorILNS1_17partition_subalgoE3EjNS0_10empty_typeEbEEZZNS1_14partition_implILS8_3ELb0ES6_jNS0_17counting_iteratorIjlEEPS9_SE_NS0_5tupleIJPjSE_EEENSF_IJSE_SE_EEES9_SG_JZNS1_25segmented_radix_sort_implINS0_14default_configELb1EPKaPaPKlPlN2at6native12_GLOBAL__N_18offset_tEEE10hipError_tPvRmT1_PNSt15iterator_traitsISY_E10value_typeET2_T3_PNSZ_IS14_E10value_typeET4_jRbjT5_S1A_jjP12ihipStream_tbEUljE_EEESV_SW_SX_S14_S18_S1A_T6_T7_T9_mT8_S1C_bDpT10_ENKUlT_T0_E_clISt17integral_constantIbLb0EES1P_EEDaS1K_S1L_EUlS1K_E_NS1_11comp_targetILNS1_3genE4ELNS1_11target_archE910ELNS1_3gpuE8ELNS1_3repE0EEENS1_30default_config_static_selectorELNS0_4arch9wavefront6targetE1EEEvSY_ ; -- Begin function _ZN7rocprim17ROCPRIM_400000_NS6detail17trampoline_kernelINS0_13select_configILj256ELj13ELNS0_17block_load_methodE3ELS4_3ELS4_3ELNS0_20block_scan_algorithmE0ELj4294967295EEENS1_25partition_config_selectorILNS1_17partition_subalgoE3EjNS0_10empty_typeEbEEZZNS1_14partition_implILS8_3ELb0ES6_jNS0_17counting_iteratorIjlEEPS9_SE_NS0_5tupleIJPjSE_EEENSF_IJSE_SE_EEES9_SG_JZNS1_25segmented_radix_sort_implINS0_14default_configELb1EPKaPaPKlPlN2at6native12_GLOBAL__N_18offset_tEEE10hipError_tPvRmT1_PNSt15iterator_traitsISY_E10value_typeET2_T3_PNSZ_IS14_E10value_typeET4_jRbjT5_S1A_jjP12ihipStream_tbEUljE_EEESV_SW_SX_S14_S18_S1A_T6_T7_T9_mT8_S1C_bDpT10_ENKUlT_T0_E_clISt17integral_constantIbLb0EES1P_EEDaS1K_S1L_EUlS1K_E_NS1_11comp_targetILNS1_3genE4ELNS1_11target_archE910ELNS1_3gpuE8ELNS1_3repE0EEENS1_30default_config_static_selectorELNS0_4arch9wavefront6targetE1EEEvSY_
	.p2align	8
	.type	_ZN7rocprim17ROCPRIM_400000_NS6detail17trampoline_kernelINS0_13select_configILj256ELj13ELNS0_17block_load_methodE3ELS4_3ELS4_3ELNS0_20block_scan_algorithmE0ELj4294967295EEENS1_25partition_config_selectorILNS1_17partition_subalgoE3EjNS0_10empty_typeEbEEZZNS1_14partition_implILS8_3ELb0ES6_jNS0_17counting_iteratorIjlEEPS9_SE_NS0_5tupleIJPjSE_EEENSF_IJSE_SE_EEES9_SG_JZNS1_25segmented_radix_sort_implINS0_14default_configELb1EPKaPaPKlPlN2at6native12_GLOBAL__N_18offset_tEEE10hipError_tPvRmT1_PNSt15iterator_traitsISY_E10value_typeET2_T3_PNSZ_IS14_E10value_typeET4_jRbjT5_S1A_jjP12ihipStream_tbEUljE_EEESV_SW_SX_S14_S18_S1A_T6_T7_T9_mT8_S1C_bDpT10_ENKUlT_T0_E_clISt17integral_constantIbLb0EES1P_EEDaS1K_S1L_EUlS1K_E_NS1_11comp_targetILNS1_3genE4ELNS1_11target_archE910ELNS1_3gpuE8ELNS1_3repE0EEENS1_30default_config_static_selectorELNS0_4arch9wavefront6targetE1EEEvSY_,@function
_ZN7rocprim17ROCPRIM_400000_NS6detail17trampoline_kernelINS0_13select_configILj256ELj13ELNS0_17block_load_methodE3ELS4_3ELS4_3ELNS0_20block_scan_algorithmE0ELj4294967295EEENS1_25partition_config_selectorILNS1_17partition_subalgoE3EjNS0_10empty_typeEbEEZZNS1_14partition_implILS8_3ELb0ES6_jNS0_17counting_iteratorIjlEEPS9_SE_NS0_5tupleIJPjSE_EEENSF_IJSE_SE_EEES9_SG_JZNS1_25segmented_radix_sort_implINS0_14default_configELb1EPKaPaPKlPlN2at6native12_GLOBAL__N_18offset_tEEE10hipError_tPvRmT1_PNSt15iterator_traitsISY_E10value_typeET2_T3_PNSZ_IS14_E10value_typeET4_jRbjT5_S1A_jjP12ihipStream_tbEUljE_EEESV_SW_SX_S14_S18_S1A_T6_T7_T9_mT8_S1C_bDpT10_ENKUlT_T0_E_clISt17integral_constantIbLb0EES1P_EEDaS1K_S1L_EUlS1K_E_NS1_11comp_targetILNS1_3genE4ELNS1_11target_archE910ELNS1_3gpuE8ELNS1_3repE0EEENS1_30default_config_static_selectorELNS0_4arch9wavefront6targetE1EEEvSY_: ; @_ZN7rocprim17ROCPRIM_400000_NS6detail17trampoline_kernelINS0_13select_configILj256ELj13ELNS0_17block_load_methodE3ELS4_3ELS4_3ELNS0_20block_scan_algorithmE0ELj4294967295EEENS1_25partition_config_selectorILNS1_17partition_subalgoE3EjNS0_10empty_typeEbEEZZNS1_14partition_implILS8_3ELb0ES6_jNS0_17counting_iteratorIjlEEPS9_SE_NS0_5tupleIJPjSE_EEENSF_IJSE_SE_EEES9_SG_JZNS1_25segmented_radix_sort_implINS0_14default_configELb1EPKaPaPKlPlN2at6native12_GLOBAL__N_18offset_tEEE10hipError_tPvRmT1_PNSt15iterator_traitsISY_E10value_typeET2_T3_PNSZ_IS14_E10value_typeET4_jRbjT5_S1A_jjP12ihipStream_tbEUljE_EEESV_SW_SX_S14_S18_S1A_T6_T7_T9_mT8_S1C_bDpT10_ENKUlT_T0_E_clISt17integral_constantIbLb0EES1P_EEDaS1K_S1L_EUlS1K_E_NS1_11comp_targetILNS1_3genE4ELNS1_11target_archE910ELNS1_3gpuE8ELNS1_3repE0EEENS1_30default_config_static_selectorELNS0_4arch9wavefront6targetE1EEEvSY_
; %bb.0:
	.section	.rodata,"a",@progbits
	.p2align	6, 0x0
	.amdhsa_kernel _ZN7rocprim17ROCPRIM_400000_NS6detail17trampoline_kernelINS0_13select_configILj256ELj13ELNS0_17block_load_methodE3ELS4_3ELS4_3ELNS0_20block_scan_algorithmE0ELj4294967295EEENS1_25partition_config_selectorILNS1_17partition_subalgoE3EjNS0_10empty_typeEbEEZZNS1_14partition_implILS8_3ELb0ES6_jNS0_17counting_iteratorIjlEEPS9_SE_NS0_5tupleIJPjSE_EEENSF_IJSE_SE_EEES9_SG_JZNS1_25segmented_radix_sort_implINS0_14default_configELb1EPKaPaPKlPlN2at6native12_GLOBAL__N_18offset_tEEE10hipError_tPvRmT1_PNSt15iterator_traitsISY_E10value_typeET2_T3_PNSZ_IS14_E10value_typeET4_jRbjT5_S1A_jjP12ihipStream_tbEUljE_EEESV_SW_SX_S14_S18_S1A_T6_T7_T9_mT8_S1C_bDpT10_ENKUlT_T0_E_clISt17integral_constantIbLb0EES1P_EEDaS1K_S1L_EUlS1K_E_NS1_11comp_targetILNS1_3genE4ELNS1_11target_archE910ELNS1_3gpuE8ELNS1_3repE0EEENS1_30default_config_static_selectorELNS0_4arch9wavefront6targetE1EEEvSY_
		.amdhsa_group_segment_fixed_size 0
		.amdhsa_private_segment_fixed_size 0
		.amdhsa_kernarg_size 144
		.amdhsa_user_sgpr_count 6
		.amdhsa_user_sgpr_private_segment_buffer 1
		.amdhsa_user_sgpr_dispatch_ptr 0
		.amdhsa_user_sgpr_queue_ptr 0
		.amdhsa_user_sgpr_kernarg_segment_ptr 1
		.amdhsa_user_sgpr_dispatch_id 0
		.amdhsa_user_sgpr_flat_scratch_init 0
		.amdhsa_user_sgpr_private_segment_size 0
		.amdhsa_uses_dynamic_stack 0
		.amdhsa_system_sgpr_private_segment_wavefront_offset 0
		.amdhsa_system_sgpr_workgroup_id_x 1
		.amdhsa_system_sgpr_workgroup_id_y 0
		.amdhsa_system_sgpr_workgroup_id_z 0
		.amdhsa_system_sgpr_workgroup_info 0
		.amdhsa_system_vgpr_workitem_id 0
		.amdhsa_next_free_vgpr 1
		.amdhsa_next_free_sgpr 0
		.amdhsa_reserve_vcc 0
		.amdhsa_reserve_flat_scratch 0
		.amdhsa_float_round_mode_32 0
		.amdhsa_float_round_mode_16_64 0
		.amdhsa_float_denorm_mode_32 3
		.amdhsa_float_denorm_mode_16_64 3
		.amdhsa_dx10_clamp 1
		.amdhsa_ieee_mode 1
		.amdhsa_fp16_overflow 0
		.amdhsa_exception_fp_ieee_invalid_op 0
		.amdhsa_exception_fp_denorm_src 0
		.amdhsa_exception_fp_ieee_div_zero 0
		.amdhsa_exception_fp_ieee_overflow 0
		.amdhsa_exception_fp_ieee_underflow 0
		.amdhsa_exception_fp_ieee_inexact 0
		.amdhsa_exception_int_div_zero 0
	.end_amdhsa_kernel
	.section	.text._ZN7rocprim17ROCPRIM_400000_NS6detail17trampoline_kernelINS0_13select_configILj256ELj13ELNS0_17block_load_methodE3ELS4_3ELS4_3ELNS0_20block_scan_algorithmE0ELj4294967295EEENS1_25partition_config_selectorILNS1_17partition_subalgoE3EjNS0_10empty_typeEbEEZZNS1_14partition_implILS8_3ELb0ES6_jNS0_17counting_iteratorIjlEEPS9_SE_NS0_5tupleIJPjSE_EEENSF_IJSE_SE_EEES9_SG_JZNS1_25segmented_radix_sort_implINS0_14default_configELb1EPKaPaPKlPlN2at6native12_GLOBAL__N_18offset_tEEE10hipError_tPvRmT1_PNSt15iterator_traitsISY_E10value_typeET2_T3_PNSZ_IS14_E10value_typeET4_jRbjT5_S1A_jjP12ihipStream_tbEUljE_EEESV_SW_SX_S14_S18_S1A_T6_T7_T9_mT8_S1C_bDpT10_ENKUlT_T0_E_clISt17integral_constantIbLb0EES1P_EEDaS1K_S1L_EUlS1K_E_NS1_11comp_targetILNS1_3genE4ELNS1_11target_archE910ELNS1_3gpuE8ELNS1_3repE0EEENS1_30default_config_static_selectorELNS0_4arch9wavefront6targetE1EEEvSY_,"axG",@progbits,_ZN7rocprim17ROCPRIM_400000_NS6detail17trampoline_kernelINS0_13select_configILj256ELj13ELNS0_17block_load_methodE3ELS4_3ELS4_3ELNS0_20block_scan_algorithmE0ELj4294967295EEENS1_25partition_config_selectorILNS1_17partition_subalgoE3EjNS0_10empty_typeEbEEZZNS1_14partition_implILS8_3ELb0ES6_jNS0_17counting_iteratorIjlEEPS9_SE_NS0_5tupleIJPjSE_EEENSF_IJSE_SE_EEES9_SG_JZNS1_25segmented_radix_sort_implINS0_14default_configELb1EPKaPaPKlPlN2at6native12_GLOBAL__N_18offset_tEEE10hipError_tPvRmT1_PNSt15iterator_traitsISY_E10value_typeET2_T3_PNSZ_IS14_E10value_typeET4_jRbjT5_S1A_jjP12ihipStream_tbEUljE_EEESV_SW_SX_S14_S18_S1A_T6_T7_T9_mT8_S1C_bDpT10_ENKUlT_T0_E_clISt17integral_constantIbLb0EES1P_EEDaS1K_S1L_EUlS1K_E_NS1_11comp_targetILNS1_3genE4ELNS1_11target_archE910ELNS1_3gpuE8ELNS1_3repE0EEENS1_30default_config_static_selectorELNS0_4arch9wavefront6targetE1EEEvSY_,comdat
.Lfunc_end260:
	.size	_ZN7rocprim17ROCPRIM_400000_NS6detail17trampoline_kernelINS0_13select_configILj256ELj13ELNS0_17block_load_methodE3ELS4_3ELS4_3ELNS0_20block_scan_algorithmE0ELj4294967295EEENS1_25partition_config_selectorILNS1_17partition_subalgoE3EjNS0_10empty_typeEbEEZZNS1_14partition_implILS8_3ELb0ES6_jNS0_17counting_iteratorIjlEEPS9_SE_NS0_5tupleIJPjSE_EEENSF_IJSE_SE_EEES9_SG_JZNS1_25segmented_radix_sort_implINS0_14default_configELb1EPKaPaPKlPlN2at6native12_GLOBAL__N_18offset_tEEE10hipError_tPvRmT1_PNSt15iterator_traitsISY_E10value_typeET2_T3_PNSZ_IS14_E10value_typeET4_jRbjT5_S1A_jjP12ihipStream_tbEUljE_EEESV_SW_SX_S14_S18_S1A_T6_T7_T9_mT8_S1C_bDpT10_ENKUlT_T0_E_clISt17integral_constantIbLb0EES1P_EEDaS1K_S1L_EUlS1K_E_NS1_11comp_targetILNS1_3genE4ELNS1_11target_archE910ELNS1_3gpuE8ELNS1_3repE0EEENS1_30default_config_static_selectorELNS0_4arch9wavefront6targetE1EEEvSY_, .Lfunc_end260-_ZN7rocprim17ROCPRIM_400000_NS6detail17trampoline_kernelINS0_13select_configILj256ELj13ELNS0_17block_load_methodE3ELS4_3ELS4_3ELNS0_20block_scan_algorithmE0ELj4294967295EEENS1_25partition_config_selectorILNS1_17partition_subalgoE3EjNS0_10empty_typeEbEEZZNS1_14partition_implILS8_3ELb0ES6_jNS0_17counting_iteratorIjlEEPS9_SE_NS0_5tupleIJPjSE_EEENSF_IJSE_SE_EEES9_SG_JZNS1_25segmented_radix_sort_implINS0_14default_configELb1EPKaPaPKlPlN2at6native12_GLOBAL__N_18offset_tEEE10hipError_tPvRmT1_PNSt15iterator_traitsISY_E10value_typeET2_T3_PNSZ_IS14_E10value_typeET4_jRbjT5_S1A_jjP12ihipStream_tbEUljE_EEESV_SW_SX_S14_S18_S1A_T6_T7_T9_mT8_S1C_bDpT10_ENKUlT_T0_E_clISt17integral_constantIbLb0EES1P_EEDaS1K_S1L_EUlS1K_E_NS1_11comp_targetILNS1_3genE4ELNS1_11target_archE910ELNS1_3gpuE8ELNS1_3repE0EEENS1_30default_config_static_selectorELNS0_4arch9wavefront6targetE1EEEvSY_
                                        ; -- End function
	.set _ZN7rocprim17ROCPRIM_400000_NS6detail17trampoline_kernelINS0_13select_configILj256ELj13ELNS0_17block_load_methodE3ELS4_3ELS4_3ELNS0_20block_scan_algorithmE0ELj4294967295EEENS1_25partition_config_selectorILNS1_17partition_subalgoE3EjNS0_10empty_typeEbEEZZNS1_14partition_implILS8_3ELb0ES6_jNS0_17counting_iteratorIjlEEPS9_SE_NS0_5tupleIJPjSE_EEENSF_IJSE_SE_EEES9_SG_JZNS1_25segmented_radix_sort_implINS0_14default_configELb1EPKaPaPKlPlN2at6native12_GLOBAL__N_18offset_tEEE10hipError_tPvRmT1_PNSt15iterator_traitsISY_E10value_typeET2_T3_PNSZ_IS14_E10value_typeET4_jRbjT5_S1A_jjP12ihipStream_tbEUljE_EEESV_SW_SX_S14_S18_S1A_T6_T7_T9_mT8_S1C_bDpT10_ENKUlT_T0_E_clISt17integral_constantIbLb0EES1P_EEDaS1K_S1L_EUlS1K_E_NS1_11comp_targetILNS1_3genE4ELNS1_11target_archE910ELNS1_3gpuE8ELNS1_3repE0EEENS1_30default_config_static_selectorELNS0_4arch9wavefront6targetE1EEEvSY_.num_vgpr, 0
	.set _ZN7rocprim17ROCPRIM_400000_NS6detail17trampoline_kernelINS0_13select_configILj256ELj13ELNS0_17block_load_methodE3ELS4_3ELS4_3ELNS0_20block_scan_algorithmE0ELj4294967295EEENS1_25partition_config_selectorILNS1_17partition_subalgoE3EjNS0_10empty_typeEbEEZZNS1_14partition_implILS8_3ELb0ES6_jNS0_17counting_iteratorIjlEEPS9_SE_NS0_5tupleIJPjSE_EEENSF_IJSE_SE_EEES9_SG_JZNS1_25segmented_radix_sort_implINS0_14default_configELb1EPKaPaPKlPlN2at6native12_GLOBAL__N_18offset_tEEE10hipError_tPvRmT1_PNSt15iterator_traitsISY_E10value_typeET2_T3_PNSZ_IS14_E10value_typeET4_jRbjT5_S1A_jjP12ihipStream_tbEUljE_EEESV_SW_SX_S14_S18_S1A_T6_T7_T9_mT8_S1C_bDpT10_ENKUlT_T0_E_clISt17integral_constantIbLb0EES1P_EEDaS1K_S1L_EUlS1K_E_NS1_11comp_targetILNS1_3genE4ELNS1_11target_archE910ELNS1_3gpuE8ELNS1_3repE0EEENS1_30default_config_static_selectorELNS0_4arch9wavefront6targetE1EEEvSY_.num_agpr, 0
	.set _ZN7rocprim17ROCPRIM_400000_NS6detail17trampoline_kernelINS0_13select_configILj256ELj13ELNS0_17block_load_methodE3ELS4_3ELS4_3ELNS0_20block_scan_algorithmE0ELj4294967295EEENS1_25partition_config_selectorILNS1_17partition_subalgoE3EjNS0_10empty_typeEbEEZZNS1_14partition_implILS8_3ELb0ES6_jNS0_17counting_iteratorIjlEEPS9_SE_NS0_5tupleIJPjSE_EEENSF_IJSE_SE_EEES9_SG_JZNS1_25segmented_radix_sort_implINS0_14default_configELb1EPKaPaPKlPlN2at6native12_GLOBAL__N_18offset_tEEE10hipError_tPvRmT1_PNSt15iterator_traitsISY_E10value_typeET2_T3_PNSZ_IS14_E10value_typeET4_jRbjT5_S1A_jjP12ihipStream_tbEUljE_EEESV_SW_SX_S14_S18_S1A_T6_T7_T9_mT8_S1C_bDpT10_ENKUlT_T0_E_clISt17integral_constantIbLb0EES1P_EEDaS1K_S1L_EUlS1K_E_NS1_11comp_targetILNS1_3genE4ELNS1_11target_archE910ELNS1_3gpuE8ELNS1_3repE0EEENS1_30default_config_static_selectorELNS0_4arch9wavefront6targetE1EEEvSY_.numbered_sgpr, 0
	.set _ZN7rocprim17ROCPRIM_400000_NS6detail17trampoline_kernelINS0_13select_configILj256ELj13ELNS0_17block_load_methodE3ELS4_3ELS4_3ELNS0_20block_scan_algorithmE0ELj4294967295EEENS1_25partition_config_selectorILNS1_17partition_subalgoE3EjNS0_10empty_typeEbEEZZNS1_14partition_implILS8_3ELb0ES6_jNS0_17counting_iteratorIjlEEPS9_SE_NS0_5tupleIJPjSE_EEENSF_IJSE_SE_EEES9_SG_JZNS1_25segmented_radix_sort_implINS0_14default_configELb1EPKaPaPKlPlN2at6native12_GLOBAL__N_18offset_tEEE10hipError_tPvRmT1_PNSt15iterator_traitsISY_E10value_typeET2_T3_PNSZ_IS14_E10value_typeET4_jRbjT5_S1A_jjP12ihipStream_tbEUljE_EEESV_SW_SX_S14_S18_S1A_T6_T7_T9_mT8_S1C_bDpT10_ENKUlT_T0_E_clISt17integral_constantIbLb0EES1P_EEDaS1K_S1L_EUlS1K_E_NS1_11comp_targetILNS1_3genE4ELNS1_11target_archE910ELNS1_3gpuE8ELNS1_3repE0EEENS1_30default_config_static_selectorELNS0_4arch9wavefront6targetE1EEEvSY_.num_named_barrier, 0
	.set _ZN7rocprim17ROCPRIM_400000_NS6detail17trampoline_kernelINS0_13select_configILj256ELj13ELNS0_17block_load_methodE3ELS4_3ELS4_3ELNS0_20block_scan_algorithmE0ELj4294967295EEENS1_25partition_config_selectorILNS1_17partition_subalgoE3EjNS0_10empty_typeEbEEZZNS1_14partition_implILS8_3ELb0ES6_jNS0_17counting_iteratorIjlEEPS9_SE_NS0_5tupleIJPjSE_EEENSF_IJSE_SE_EEES9_SG_JZNS1_25segmented_radix_sort_implINS0_14default_configELb1EPKaPaPKlPlN2at6native12_GLOBAL__N_18offset_tEEE10hipError_tPvRmT1_PNSt15iterator_traitsISY_E10value_typeET2_T3_PNSZ_IS14_E10value_typeET4_jRbjT5_S1A_jjP12ihipStream_tbEUljE_EEESV_SW_SX_S14_S18_S1A_T6_T7_T9_mT8_S1C_bDpT10_ENKUlT_T0_E_clISt17integral_constantIbLb0EES1P_EEDaS1K_S1L_EUlS1K_E_NS1_11comp_targetILNS1_3genE4ELNS1_11target_archE910ELNS1_3gpuE8ELNS1_3repE0EEENS1_30default_config_static_selectorELNS0_4arch9wavefront6targetE1EEEvSY_.private_seg_size, 0
	.set _ZN7rocprim17ROCPRIM_400000_NS6detail17trampoline_kernelINS0_13select_configILj256ELj13ELNS0_17block_load_methodE3ELS4_3ELS4_3ELNS0_20block_scan_algorithmE0ELj4294967295EEENS1_25partition_config_selectorILNS1_17partition_subalgoE3EjNS0_10empty_typeEbEEZZNS1_14partition_implILS8_3ELb0ES6_jNS0_17counting_iteratorIjlEEPS9_SE_NS0_5tupleIJPjSE_EEENSF_IJSE_SE_EEES9_SG_JZNS1_25segmented_radix_sort_implINS0_14default_configELb1EPKaPaPKlPlN2at6native12_GLOBAL__N_18offset_tEEE10hipError_tPvRmT1_PNSt15iterator_traitsISY_E10value_typeET2_T3_PNSZ_IS14_E10value_typeET4_jRbjT5_S1A_jjP12ihipStream_tbEUljE_EEESV_SW_SX_S14_S18_S1A_T6_T7_T9_mT8_S1C_bDpT10_ENKUlT_T0_E_clISt17integral_constantIbLb0EES1P_EEDaS1K_S1L_EUlS1K_E_NS1_11comp_targetILNS1_3genE4ELNS1_11target_archE910ELNS1_3gpuE8ELNS1_3repE0EEENS1_30default_config_static_selectorELNS0_4arch9wavefront6targetE1EEEvSY_.uses_vcc, 0
	.set _ZN7rocprim17ROCPRIM_400000_NS6detail17trampoline_kernelINS0_13select_configILj256ELj13ELNS0_17block_load_methodE3ELS4_3ELS4_3ELNS0_20block_scan_algorithmE0ELj4294967295EEENS1_25partition_config_selectorILNS1_17partition_subalgoE3EjNS0_10empty_typeEbEEZZNS1_14partition_implILS8_3ELb0ES6_jNS0_17counting_iteratorIjlEEPS9_SE_NS0_5tupleIJPjSE_EEENSF_IJSE_SE_EEES9_SG_JZNS1_25segmented_radix_sort_implINS0_14default_configELb1EPKaPaPKlPlN2at6native12_GLOBAL__N_18offset_tEEE10hipError_tPvRmT1_PNSt15iterator_traitsISY_E10value_typeET2_T3_PNSZ_IS14_E10value_typeET4_jRbjT5_S1A_jjP12ihipStream_tbEUljE_EEESV_SW_SX_S14_S18_S1A_T6_T7_T9_mT8_S1C_bDpT10_ENKUlT_T0_E_clISt17integral_constantIbLb0EES1P_EEDaS1K_S1L_EUlS1K_E_NS1_11comp_targetILNS1_3genE4ELNS1_11target_archE910ELNS1_3gpuE8ELNS1_3repE0EEENS1_30default_config_static_selectorELNS0_4arch9wavefront6targetE1EEEvSY_.uses_flat_scratch, 0
	.set _ZN7rocprim17ROCPRIM_400000_NS6detail17trampoline_kernelINS0_13select_configILj256ELj13ELNS0_17block_load_methodE3ELS4_3ELS4_3ELNS0_20block_scan_algorithmE0ELj4294967295EEENS1_25partition_config_selectorILNS1_17partition_subalgoE3EjNS0_10empty_typeEbEEZZNS1_14partition_implILS8_3ELb0ES6_jNS0_17counting_iteratorIjlEEPS9_SE_NS0_5tupleIJPjSE_EEENSF_IJSE_SE_EEES9_SG_JZNS1_25segmented_radix_sort_implINS0_14default_configELb1EPKaPaPKlPlN2at6native12_GLOBAL__N_18offset_tEEE10hipError_tPvRmT1_PNSt15iterator_traitsISY_E10value_typeET2_T3_PNSZ_IS14_E10value_typeET4_jRbjT5_S1A_jjP12ihipStream_tbEUljE_EEESV_SW_SX_S14_S18_S1A_T6_T7_T9_mT8_S1C_bDpT10_ENKUlT_T0_E_clISt17integral_constantIbLb0EES1P_EEDaS1K_S1L_EUlS1K_E_NS1_11comp_targetILNS1_3genE4ELNS1_11target_archE910ELNS1_3gpuE8ELNS1_3repE0EEENS1_30default_config_static_selectorELNS0_4arch9wavefront6targetE1EEEvSY_.has_dyn_sized_stack, 0
	.set _ZN7rocprim17ROCPRIM_400000_NS6detail17trampoline_kernelINS0_13select_configILj256ELj13ELNS0_17block_load_methodE3ELS4_3ELS4_3ELNS0_20block_scan_algorithmE0ELj4294967295EEENS1_25partition_config_selectorILNS1_17partition_subalgoE3EjNS0_10empty_typeEbEEZZNS1_14partition_implILS8_3ELb0ES6_jNS0_17counting_iteratorIjlEEPS9_SE_NS0_5tupleIJPjSE_EEENSF_IJSE_SE_EEES9_SG_JZNS1_25segmented_radix_sort_implINS0_14default_configELb1EPKaPaPKlPlN2at6native12_GLOBAL__N_18offset_tEEE10hipError_tPvRmT1_PNSt15iterator_traitsISY_E10value_typeET2_T3_PNSZ_IS14_E10value_typeET4_jRbjT5_S1A_jjP12ihipStream_tbEUljE_EEESV_SW_SX_S14_S18_S1A_T6_T7_T9_mT8_S1C_bDpT10_ENKUlT_T0_E_clISt17integral_constantIbLb0EES1P_EEDaS1K_S1L_EUlS1K_E_NS1_11comp_targetILNS1_3genE4ELNS1_11target_archE910ELNS1_3gpuE8ELNS1_3repE0EEENS1_30default_config_static_selectorELNS0_4arch9wavefront6targetE1EEEvSY_.has_recursion, 0
	.set _ZN7rocprim17ROCPRIM_400000_NS6detail17trampoline_kernelINS0_13select_configILj256ELj13ELNS0_17block_load_methodE3ELS4_3ELS4_3ELNS0_20block_scan_algorithmE0ELj4294967295EEENS1_25partition_config_selectorILNS1_17partition_subalgoE3EjNS0_10empty_typeEbEEZZNS1_14partition_implILS8_3ELb0ES6_jNS0_17counting_iteratorIjlEEPS9_SE_NS0_5tupleIJPjSE_EEENSF_IJSE_SE_EEES9_SG_JZNS1_25segmented_radix_sort_implINS0_14default_configELb1EPKaPaPKlPlN2at6native12_GLOBAL__N_18offset_tEEE10hipError_tPvRmT1_PNSt15iterator_traitsISY_E10value_typeET2_T3_PNSZ_IS14_E10value_typeET4_jRbjT5_S1A_jjP12ihipStream_tbEUljE_EEESV_SW_SX_S14_S18_S1A_T6_T7_T9_mT8_S1C_bDpT10_ENKUlT_T0_E_clISt17integral_constantIbLb0EES1P_EEDaS1K_S1L_EUlS1K_E_NS1_11comp_targetILNS1_3genE4ELNS1_11target_archE910ELNS1_3gpuE8ELNS1_3repE0EEENS1_30default_config_static_selectorELNS0_4arch9wavefront6targetE1EEEvSY_.has_indirect_call, 0
	.section	.AMDGPU.csdata,"",@progbits
; Kernel info:
; codeLenInByte = 0
; TotalNumSgprs: 4
; NumVgprs: 0
; ScratchSize: 0
; MemoryBound: 0
; FloatMode: 240
; IeeeMode: 1
; LDSByteSize: 0 bytes/workgroup (compile time only)
; SGPRBlocks: 0
; VGPRBlocks: 0
; NumSGPRsForWavesPerEU: 4
; NumVGPRsForWavesPerEU: 1
; Occupancy: 10
; WaveLimiterHint : 0
; COMPUTE_PGM_RSRC2:SCRATCH_EN: 0
; COMPUTE_PGM_RSRC2:USER_SGPR: 6
; COMPUTE_PGM_RSRC2:TRAP_HANDLER: 0
; COMPUTE_PGM_RSRC2:TGID_X_EN: 1
; COMPUTE_PGM_RSRC2:TGID_Y_EN: 0
; COMPUTE_PGM_RSRC2:TGID_Z_EN: 0
; COMPUTE_PGM_RSRC2:TIDIG_COMP_CNT: 0
	.section	.text._ZN7rocprim17ROCPRIM_400000_NS6detail17trampoline_kernelINS0_13select_configILj256ELj13ELNS0_17block_load_methodE3ELS4_3ELS4_3ELNS0_20block_scan_algorithmE0ELj4294967295EEENS1_25partition_config_selectorILNS1_17partition_subalgoE3EjNS0_10empty_typeEbEEZZNS1_14partition_implILS8_3ELb0ES6_jNS0_17counting_iteratorIjlEEPS9_SE_NS0_5tupleIJPjSE_EEENSF_IJSE_SE_EEES9_SG_JZNS1_25segmented_radix_sort_implINS0_14default_configELb1EPKaPaPKlPlN2at6native12_GLOBAL__N_18offset_tEEE10hipError_tPvRmT1_PNSt15iterator_traitsISY_E10value_typeET2_T3_PNSZ_IS14_E10value_typeET4_jRbjT5_S1A_jjP12ihipStream_tbEUljE_EEESV_SW_SX_S14_S18_S1A_T6_T7_T9_mT8_S1C_bDpT10_ENKUlT_T0_E_clISt17integral_constantIbLb0EES1P_EEDaS1K_S1L_EUlS1K_E_NS1_11comp_targetILNS1_3genE3ELNS1_11target_archE908ELNS1_3gpuE7ELNS1_3repE0EEENS1_30default_config_static_selectorELNS0_4arch9wavefront6targetE1EEEvSY_,"axG",@progbits,_ZN7rocprim17ROCPRIM_400000_NS6detail17trampoline_kernelINS0_13select_configILj256ELj13ELNS0_17block_load_methodE3ELS4_3ELS4_3ELNS0_20block_scan_algorithmE0ELj4294967295EEENS1_25partition_config_selectorILNS1_17partition_subalgoE3EjNS0_10empty_typeEbEEZZNS1_14partition_implILS8_3ELb0ES6_jNS0_17counting_iteratorIjlEEPS9_SE_NS0_5tupleIJPjSE_EEENSF_IJSE_SE_EEES9_SG_JZNS1_25segmented_radix_sort_implINS0_14default_configELb1EPKaPaPKlPlN2at6native12_GLOBAL__N_18offset_tEEE10hipError_tPvRmT1_PNSt15iterator_traitsISY_E10value_typeET2_T3_PNSZ_IS14_E10value_typeET4_jRbjT5_S1A_jjP12ihipStream_tbEUljE_EEESV_SW_SX_S14_S18_S1A_T6_T7_T9_mT8_S1C_bDpT10_ENKUlT_T0_E_clISt17integral_constantIbLb0EES1P_EEDaS1K_S1L_EUlS1K_E_NS1_11comp_targetILNS1_3genE3ELNS1_11target_archE908ELNS1_3gpuE7ELNS1_3repE0EEENS1_30default_config_static_selectorELNS0_4arch9wavefront6targetE1EEEvSY_,comdat
	.globl	_ZN7rocprim17ROCPRIM_400000_NS6detail17trampoline_kernelINS0_13select_configILj256ELj13ELNS0_17block_load_methodE3ELS4_3ELS4_3ELNS0_20block_scan_algorithmE0ELj4294967295EEENS1_25partition_config_selectorILNS1_17partition_subalgoE3EjNS0_10empty_typeEbEEZZNS1_14partition_implILS8_3ELb0ES6_jNS0_17counting_iteratorIjlEEPS9_SE_NS0_5tupleIJPjSE_EEENSF_IJSE_SE_EEES9_SG_JZNS1_25segmented_radix_sort_implINS0_14default_configELb1EPKaPaPKlPlN2at6native12_GLOBAL__N_18offset_tEEE10hipError_tPvRmT1_PNSt15iterator_traitsISY_E10value_typeET2_T3_PNSZ_IS14_E10value_typeET4_jRbjT5_S1A_jjP12ihipStream_tbEUljE_EEESV_SW_SX_S14_S18_S1A_T6_T7_T9_mT8_S1C_bDpT10_ENKUlT_T0_E_clISt17integral_constantIbLb0EES1P_EEDaS1K_S1L_EUlS1K_E_NS1_11comp_targetILNS1_3genE3ELNS1_11target_archE908ELNS1_3gpuE7ELNS1_3repE0EEENS1_30default_config_static_selectorELNS0_4arch9wavefront6targetE1EEEvSY_ ; -- Begin function _ZN7rocprim17ROCPRIM_400000_NS6detail17trampoline_kernelINS0_13select_configILj256ELj13ELNS0_17block_load_methodE3ELS4_3ELS4_3ELNS0_20block_scan_algorithmE0ELj4294967295EEENS1_25partition_config_selectorILNS1_17partition_subalgoE3EjNS0_10empty_typeEbEEZZNS1_14partition_implILS8_3ELb0ES6_jNS0_17counting_iteratorIjlEEPS9_SE_NS0_5tupleIJPjSE_EEENSF_IJSE_SE_EEES9_SG_JZNS1_25segmented_radix_sort_implINS0_14default_configELb1EPKaPaPKlPlN2at6native12_GLOBAL__N_18offset_tEEE10hipError_tPvRmT1_PNSt15iterator_traitsISY_E10value_typeET2_T3_PNSZ_IS14_E10value_typeET4_jRbjT5_S1A_jjP12ihipStream_tbEUljE_EEESV_SW_SX_S14_S18_S1A_T6_T7_T9_mT8_S1C_bDpT10_ENKUlT_T0_E_clISt17integral_constantIbLb0EES1P_EEDaS1K_S1L_EUlS1K_E_NS1_11comp_targetILNS1_3genE3ELNS1_11target_archE908ELNS1_3gpuE7ELNS1_3repE0EEENS1_30default_config_static_selectorELNS0_4arch9wavefront6targetE1EEEvSY_
	.p2align	8
	.type	_ZN7rocprim17ROCPRIM_400000_NS6detail17trampoline_kernelINS0_13select_configILj256ELj13ELNS0_17block_load_methodE3ELS4_3ELS4_3ELNS0_20block_scan_algorithmE0ELj4294967295EEENS1_25partition_config_selectorILNS1_17partition_subalgoE3EjNS0_10empty_typeEbEEZZNS1_14partition_implILS8_3ELb0ES6_jNS0_17counting_iteratorIjlEEPS9_SE_NS0_5tupleIJPjSE_EEENSF_IJSE_SE_EEES9_SG_JZNS1_25segmented_radix_sort_implINS0_14default_configELb1EPKaPaPKlPlN2at6native12_GLOBAL__N_18offset_tEEE10hipError_tPvRmT1_PNSt15iterator_traitsISY_E10value_typeET2_T3_PNSZ_IS14_E10value_typeET4_jRbjT5_S1A_jjP12ihipStream_tbEUljE_EEESV_SW_SX_S14_S18_S1A_T6_T7_T9_mT8_S1C_bDpT10_ENKUlT_T0_E_clISt17integral_constantIbLb0EES1P_EEDaS1K_S1L_EUlS1K_E_NS1_11comp_targetILNS1_3genE3ELNS1_11target_archE908ELNS1_3gpuE7ELNS1_3repE0EEENS1_30default_config_static_selectorELNS0_4arch9wavefront6targetE1EEEvSY_,@function
_ZN7rocprim17ROCPRIM_400000_NS6detail17trampoline_kernelINS0_13select_configILj256ELj13ELNS0_17block_load_methodE3ELS4_3ELS4_3ELNS0_20block_scan_algorithmE0ELj4294967295EEENS1_25partition_config_selectorILNS1_17partition_subalgoE3EjNS0_10empty_typeEbEEZZNS1_14partition_implILS8_3ELb0ES6_jNS0_17counting_iteratorIjlEEPS9_SE_NS0_5tupleIJPjSE_EEENSF_IJSE_SE_EEES9_SG_JZNS1_25segmented_radix_sort_implINS0_14default_configELb1EPKaPaPKlPlN2at6native12_GLOBAL__N_18offset_tEEE10hipError_tPvRmT1_PNSt15iterator_traitsISY_E10value_typeET2_T3_PNSZ_IS14_E10value_typeET4_jRbjT5_S1A_jjP12ihipStream_tbEUljE_EEESV_SW_SX_S14_S18_S1A_T6_T7_T9_mT8_S1C_bDpT10_ENKUlT_T0_E_clISt17integral_constantIbLb0EES1P_EEDaS1K_S1L_EUlS1K_E_NS1_11comp_targetILNS1_3genE3ELNS1_11target_archE908ELNS1_3gpuE7ELNS1_3repE0EEENS1_30default_config_static_selectorELNS0_4arch9wavefront6targetE1EEEvSY_: ; @_ZN7rocprim17ROCPRIM_400000_NS6detail17trampoline_kernelINS0_13select_configILj256ELj13ELNS0_17block_load_methodE3ELS4_3ELS4_3ELNS0_20block_scan_algorithmE0ELj4294967295EEENS1_25partition_config_selectorILNS1_17partition_subalgoE3EjNS0_10empty_typeEbEEZZNS1_14partition_implILS8_3ELb0ES6_jNS0_17counting_iteratorIjlEEPS9_SE_NS0_5tupleIJPjSE_EEENSF_IJSE_SE_EEES9_SG_JZNS1_25segmented_radix_sort_implINS0_14default_configELb1EPKaPaPKlPlN2at6native12_GLOBAL__N_18offset_tEEE10hipError_tPvRmT1_PNSt15iterator_traitsISY_E10value_typeET2_T3_PNSZ_IS14_E10value_typeET4_jRbjT5_S1A_jjP12ihipStream_tbEUljE_EEESV_SW_SX_S14_S18_S1A_T6_T7_T9_mT8_S1C_bDpT10_ENKUlT_T0_E_clISt17integral_constantIbLb0EES1P_EEDaS1K_S1L_EUlS1K_E_NS1_11comp_targetILNS1_3genE3ELNS1_11target_archE908ELNS1_3gpuE7ELNS1_3repE0EEENS1_30default_config_static_selectorELNS0_4arch9wavefront6targetE1EEEvSY_
; %bb.0:
	.section	.rodata,"a",@progbits
	.p2align	6, 0x0
	.amdhsa_kernel _ZN7rocprim17ROCPRIM_400000_NS6detail17trampoline_kernelINS0_13select_configILj256ELj13ELNS0_17block_load_methodE3ELS4_3ELS4_3ELNS0_20block_scan_algorithmE0ELj4294967295EEENS1_25partition_config_selectorILNS1_17partition_subalgoE3EjNS0_10empty_typeEbEEZZNS1_14partition_implILS8_3ELb0ES6_jNS0_17counting_iteratorIjlEEPS9_SE_NS0_5tupleIJPjSE_EEENSF_IJSE_SE_EEES9_SG_JZNS1_25segmented_radix_sort_implINS0_14default_configELb1EPKaPaPKlPlN2at6native12_GLOBAL__N_18offset_tEEE10hipError_tPvRmT1_PNSt15iterator_traitsISY_E10value_typeET2_T3_PNSZ_IS14_E10value_typeET4_jRbjT5_S1A_jjP12ihipStream_tbEUljE_EEESV_SW_SX_S14_S18_S1A_T6_T7_T9_mT8_S1C_bDpT10_ENKUlT_T0_E_clISt17integral_constantIbLb0EES1P_EEDaS1K_S1L_EUlS1K_E_NS1_11comp_targetILNS1_3genE3ELNS1_11target_archE908ELNS1_3gpuE7ELNS1_3repE0EEENS1_30default_config_static_selectorELNS0_4arch9wavefront6targetE1EEEvSY_
		.amdhsa_group_segment_fixed_size 0
		.amdhsa_private_segment_fixed_size 0
		.amdhsa_kernarg_size 144
		.amdhsa_user_sgpr_count 6
		.amdhsa_user_sgpr_private_segment_buffer 1
		.amdhsa_user_sgpr_dispatch_ptr 0
		.amdhsa_user_sgpr_queue_ptr 0
		.amdhsa_user_sgpr_kernarg_segment_ptr 1
		.amdhsa_user_sgpr_dispatch_id 0
		.amdhsa_user_sgpr_flat_scratch_init 0
		.amdhsa_user_sgpr_private_segment_size 0
		.amdhsa_uses_dynamic_stack 0
		.amdhsa_system_sgpr_private_segment_wavefront_offset 0
		.amdhsa_system_sgpr_workgroup_id_x 1
		.amdhsa_system_sgpr_workgroup_id_y 0
		.amdhsa_system_sgpr_workgroup_id_z 0
		.amdhsa_system_sgpr_workgroup_info 0
		.amdhsa_system_vgpr_workitem_id 0
		.amdhsa_next_free_vgpr 1
		.amdhsa_next_free_sgpr 0
		.amdhsa_reserve_vcc 0
		.amdhsa_reserve_flat_scratch 0
		.amdhsa_float_round_mode_32 0
		.amdhsa_float_round_mode_16_64 0
		.amdhsa_float_denorm_mode_32 3
		.amdhsa_float_denorm_mode_16_64 3
		.amdhsa_dx10_clamp 1
		.amdhsa_ieee_mode 1
		.amdhsa_fp16_overflow 0
		.amdhsa_exception_fp_ieee_invalid_op 0
		.amdhsa_exception_fp_denorm_src 0
		.amdhsa_exception_fp_ieee_div_zero 0
		.amdhsa_exception_fp_ieee_overflow 0
		.amdhsa_exception_fp_ieee_underflow 0
		.amdhsa_exception_fp_ieee_inexact 0
		.amdhsa_exception_int_div_zero 0
	.end_amdhsa_kernel
	.section	.text._ZN7rocprim17ROCPRIM_400000_NS6detail17trampoline_kernelINS0_13select_configILj256ELj13ELNS0_17block_load_methodE3ELS4_3ELS4_3ELNS0_20block_scan_algorithmE0ELj4294967295EEENS1_25partition_config_selectorILNS1_17partition_subalgoE3EjNS0_10empty_typeEbEEZZNS1_14partition_implILS8_3ELb0ES6_jNS0_17counting_iteratorIjlEEPS9_SE_NS0_5tupleIJPjSE_EEENSF_IJSE_SE_EEES9_SG_JZNS1_25segmented_radix_sort_implINS0_14default_configELb1EPKaPaPKlPlN2at6native12_GLOBAL__N_18offset_tEEE10hipError_tPvRmT1_PNSt15iterator_traitsISY_E10value_typeET2_T3_PNSZ_IS14_E10value_typeET4_jRbjT5_S1A_jjP12ihipStream_tbEUljE_EEESV_SW_SX_S14_S18_S1A_T6_T7_T9_mT8_S1C_bDpT10_ENKUlT_T0_E_clISt17integral_constantIbLb0EES1P_EEDaS1K_S1L_EUlS1K_E_NS1_11comp_targetILNS1_3genE3ELNS1_11target_archE908ELNS1_3gpuE7ELNS1_3repE0EEENS1_30default_config_static_selectorELNS0_4arch9wavefront6targetE1EEEvSY_,"axG",@progbits,_ZN7rocprim17ROCPRIM_400000_NS6detail17trampoline_kernelINS0_13select_configILj256ELj13ELNS0_17block_load_methodE3ELS4_3ELS4_3ELNS0_20block_scan_algorithmE0ELj4294967295EEENS1_25partition_config_selectorILNS1_17partition_subalgoE3EjNS0_10empty_typeEbEEZZNS1_14partition_implILS8_3ELb0ES6_jNS0_17counting_iteratorIjlEEPS9_SE_NS0_5tupleIJPjSE_EEENSF_IJSE_SE_EEES9_SG_JZNS1_25segmented_radix_sort_implINS0_14default_configELb1EPKaPaPKlPlN2at6native12_GLOBAL__N_18offset_tEEE10hipError_tPvRmT1_PNSt15iterator_traitsISY_E10value_typeET2_T3_PNSZ_IS14_E10value_typeET4_jRbjT5_S1A_jjP12ihipStream_tbEUljE_EEESV_SW_SX_S14_S18_S1A_T6_T7_T9_mT8_S1C_bDpT10_ENKUlT_T0_E_clISt17integral_constantIbLb0EES1P_EEDaS1K_S1L_EUlS1K_E_NS1_11comp_targetILNS1_3genE3ELNS1_11target_archE908ELNS1_3gpuE7ELNS1_3repE0EEENS1_30default_config_static_selectorELNS0_4arch9wavefront6targetE1EEEvSY_,comdat
.Lfunc_end261:
	.size	_ZN7rocprim17ROCPRIM_400000_NS6detail17trampoline_kernelINS0_13select_configILj256ELj13ELNS0_17block_load_methodE3ELS4_3ELS4_3ELNS0_20block_scan_algorithmE0ELj4294967295EEENS1_25partition_config_selectorILNS1_17partition_subalgoE3EjNS0_10empty_typeEbEEZZNS1_14partition_implILS8_3ELb0ES6_jNS0_17counting_iteratorIjlEEPS9_SE_NS0_5tupleIJPjSE_EEENSF_IJSE_SE_EEES9_SG_JZNS1_25segmented_radix_sort_implINS0_14default_configELb1EPKaPaPKlPlN2at6native12_GLOBAL__N_18offset_tEEE10hipError_tPvRmT1_PNSt15iterator_traitsISY_E10value_typeET2_T3_PNSZ_IS14_E10value_typeET4_jRbjT5_S1A_jjP12ihipStream_tbEUljE_EEESV_SW_SX_S14_S18_S1A_T6_T7_T9_mT8_S1C_bDpT10_ENKUlT_T0_E_clISt17integral_constantIbLb0EES1P_EEDaS1K_S1L_EUlS1K_E_NS1_11comp_targetILNS1_3genE3ELNS1_11target_archE908ELNS1_3gpuE7ELNS1_3repE0EEENS1_30default_config_static_selectorELNS0_4arch9wavefront6targetE1EEEvSY_, .Lfunc_end261-_ZN7rocprim17ROCPRIM_400000_NS6detail17trampoline_kernelINS0_13select_configILj256ELj13ELNS0_17block_load_methodE3ELS4_3ELS4_3ELNS0_20block_scan_algorithmE0ELj4294967295EEENS1_25partition_config_selectorILNS1_17partition_subalgoE3EjNS0_10empty_typeEbEEZZNS1_14partition_implILS8_3ELb0ES6_jNS0_17counting_iteratorIjlEEPS9_SE_NS0_5tupleIJPjSE_EEENSF_IJSE_SE_EEES9_SG_JZNS1_25segmented_radix_sort_implINS0_14default_configELb1EPKaPaPKlPlN2at6native12_GLOBAL__N_18offset_tEEE10hipError_tPvRmT1_PNSt15iterator_traitsISY_E10value_typeET2_T3_PNSZ_IS14_E10value_typeET4_jRbjT5_S1A_jjP12ihipStream_tbEUljE_EEESV_SW_SX_S14_S18_S1A_T6_T7_T9_mT8_S1C_bDpT10_ENKUlT_T0_E_clISt17integral_constantIbLb0EES1P_EEDaS1K_S1L_EUlS1K_E_NS1_11comp_targetILNS1_3genE3ELNS1_11target_archE908ELNS1_3gpuE7ELNS1_3repE0EEENS1_30default_config_static_selectorELNS0_4arch9wavefront6targetE1EEEvSY_
                                        ; -- End function
	.set _ZN7rocprim17ROCPRIM_400000_NS6detail17trampoline_kernelINS0_13select_configILj256ELj13ELNS0_17block_load_methodE3ELS4_3ELS4_3ELNS0_20block_scan_algorithmE0ELj4294967295EEENS1_25partition_config_selectorILNS1_17partition_subalgoE3EjNS0_10empty_typeEbEEZZNS1_14partition_implILS8_3ELb0ES6_jNS0_17counting_iteratorIjlEEPS9_SE_NS0_5tupleIJPjSE_EEENSF_IJSE_SE_EEES9_SG_JZNS1_25segmented_radix_sort_implINS0_14default_configELb1EPKaPaPKlPlN2at6native12_GLOBAL__N_18offset_tEEE10hipError_tPvRmT1_PNSt15iterator_traitsISY_E10value_typeET2_T3_PNSZ_IS14_E10value_typeET4_jRbjT5_S1A_jjP12ihipStream_tbEUljE_EEESV_SW_SX_S14_S18_S1A_T6_T7_T9_mT8_S1C_bDpT10_ENKUlT_T0_E_clISt17integral_constantIbLb0EES1P_EEDaS1K_S1L_EUlS1K_E_NS1_11comp_targetILNS1_3genE3ELNS1_11target_archE908ELNS1_3gpuE7ELNS1_3repE0EEENS1_30default_config_static_selectorELNS0_4arch9wavefront6targetE1EEEvSY_.num_vgpr, 0
	.set _ZN7rocprim17ROCPRIM_400000_NS6detail17trampoline_kernelINS0_13select_configILj256ELj13ELNS0_17block_load_methodE3ELS4_3ELS4_3ELNS0_20block_scan_algorithmE0ELj4294967295EEENS1_25partition_config_selectorILNS1_17partition_subalgoE3EjNS0_10empty_typeEbEEZZNS1_14partition_implILS8_3ELb0ES6_jNS0_17counting_iteratorIjlEEPS9_SE_NS0_5tupleIJPjSE_EEENSF_IJSE_SE_EEES9_SG_JZNS1_25segmented_radix_sort_implINS0_14default_configELb1EPKaPaPKlPlN2at6native12_GLOBAL__N_18offset_tEEE10hipError_tPvRmT1_PNSt15iterator_traitsISY_E10value_typeET2_T3_PNSZ_IS14_E10value_typeET4_jRbjT5_S1A_jjP12ihipStream_tbEUljE_EEESV_SW_SX_S14_S18_S1A_T6_T7_T9_mT8_S1C_bDpT10_ENKUlT_T0_E_clISt17integral_constantIbLb0EES1P_EEDaS1K_S1L_EUlS1K_E_NS1_11comp_targetILNS1_3genE3ELNS1_11target_archE908ELNS1_3gpuE7ELNS1_3repE0EEENS1_30default_config_static_selectorELNS0_4arch9wavefront6targetE1EEEvSY_.num_agpr, 0
	.set _ZN7rocprim17ROCPRIM_400000_NS6detail17trampoline_kernelINS0_13select_configILj256ELj13ELNS0_17block_load_methodE3ELS4_3ELS4_3ELNS0_20block_scan_algorithmE0ELj4294967295EEENS1_25partition_config_selectorILNS1_17partition_subalgoE3EjNS0_10empty_typeEbEEZZNS1_14partition_implILS8_3ELb0ES6_jNS0_17counting_iteratorIjlEEPS9_SE_NS0_5tupleIJPjSE_EEENSF_IJSE_SE_EEES9_SG_JZNS1_25segmented_radix_sort_implINS0_14default_configELb1EPKaPaPKlPlN2at6native12_GLOBAL__N_18offset_tEEE10hipError_tPvRmT1_PNSt15iterator_traitsISY_E10value_typeET2_T3_PNSZ_IS14_E10value_typeET4_jRbjT5_S1A_jjP12ihipStream_tbEUljE_EEESV_SW_SX_S14_S18_S1A_T6_T7_T9_mT8_S1C_bDpT10_ENKUlT_T0_E_clISt17integral_constantIbLb0EES1P_EEDaS1K_S1L_EUlS1K_E_NS1_11comp_targetILNS1_3genE3ELNS1_11target_archE908ELNS1_3gpuE7ELNS1_3repE0EEENS1_30default_config_static_selectorELNS0_4arch9wavefront6targetE1EEEvSY_.numbered_sgpr, 0
	.set _ZN7rocprim17ROCPRIM_400000_NS6detail17trampoline_kernelINS0_13select_configILj256ELj13ELNS0_17block_load_methodE3ELS4_3ELS4_3ELNS0_20block_scan_algorithmE0ELj4294967295EEENS1_25partition_config_selectorILNS1_17partition_subalgoE3EjNS0_10empty_typeEbEEZZNS1_14partition_implILS8_3ELb0ES6_jNS0_17counting_iteratorIjlEEPS9_SE_NS0_5tupleIJPjSE_EEENSF_IJSE_SE_EEES9_SG_JZNS1_25segmented_radix_sort_implINS0_14default_configELb1EPKaPaPKlPlN2at6native12_GLOBAL__N_18offset_tEEE10hipError_tPvRmT1_PNSt15iterator_traitsISY_E10value_typeET2_T3_PNSZ_IS14_E10value_typeET4_jRbjT5_S1A_jjP12ihipStream_tbEUljE_EEESV_SW_SX_S14_S18_S1A_T6_T7_T9_mT8_S1C_bDpT10_ENKUlT_T0_E_clISt17integral_constantIbLb0EES1P_EEDaS1K_S1L_EUlS1K_E_NS1_11comp_targetILNS1_3genE3ELNS1_11target_archE908ELNS1_3gpuE7ELNS1_3repE0EEENS1_30default_config_static_selectorELNS0_4arch9wavefront6targetE1EEEvSY_.num_named_barrier, 0
	.set _ZN7rocprim17ROCPRIM_400000_NS6detail17trampoline_kernelINS0_13select_configILj256ELj13ELNS0_17block_load_methodE3ELS4_3ELS4_3ELNS0_20block_scan_algorithmE0ELj4294967295EEENS1_25partition_config_selectorILNS1_17partition_subalgoE3EjNS0_10empty_typeEbEEZZNS1_14partition_implILS8_3ELb0ES6_jNS0_17counting_iteratorIjlEEPS9_SE_NS0_5tupleIJPjSE_EEENSF_IJSE_SE_EEES9_SG_JZNS1_25segmented_radix_sort_implINS0_14default_configELb1EPKaPaPKlPlN2at6native12_GLOBAL__N_18offset_tEEE10hipError_tPvRmT1_PNSt15iterator_traitsISY_E10value_typeET2_T3_PNSZ_IS14_E10value_typeET4_jRbjT5_S1A_jjP12ihipStream_tbEUljE_EEESV_SW_SX_S14_S18_S1A_T6_T7_T9_mT8_S1C_bDpT10_ENKUlT_T0_E_clISt17integral_constantIbLb0EES1P_EEDaS1K_S1L_EUlS1K_E_NS1_11comp_targetILNS1_3genE3ELNS1_11target_archE908ELNS1_3gpuE7ELNS1_3repE0EEENS1_30default_config_static_selectorELNS0_4arch9wavefront6targetE1EEEvSY_.private_seg_size, 0
	.set _ZN7rocprim17ROCPRIM_400000_NS6detail17trampoline_kernelINS0_13select_configILj256ELj13ELNS0_17block_load_methodE3ELS4_3ELS4_3ELNS0_20block_scan_algorithmE0ELj4294967295EEENS1_25partition_config_selectorILNS1_17partition_subalgoE3EjNS0_10empty_typeEbEEZZNS1_14partition_implILS8_3ELb0ES6_jNS0_17counting_iteratorIjlEEPS9_SE_NS0_5tupleIJPjSE_EEENSF_IJSE_SE_EEES9_SG_JZNS1_25segmented_radix_sort_implINS0_14default_configELb1EPKaPaPKlPlN2at6native12_GLOBAL__N_18offset_tEEE10hipError_tPvRmT1_PNSt15iterator_traitsISY_E10value_typeET2_T3_PNSZ_IS14_E10value_typeET4_jRbjT5_S1A_jjP12ihipStream_tbEUljE_EEESV_SW_SX_S14_S18_S1A_T6_T7_T9_mT8_S1C_bDpT10_ENKUlT_T0_E_clISt17integral_constantIbLb0EES1P_EEDaS1K_S1L_EUlS1K_E_NS1_11comp_targetILNS1_3genE3ELNS1_11target_archE908ELNS1_3gpuE7ELNS1_3repE0EEENS1_30default_config_static_selectorELNS0_4arch9wavefront6targetE1EEEvSY_.uses_vcc, 0
	.set _ZN7rocprim17ROCPRIM_400000_NS6detail17trampoline_kernelINS0_13select_configILj256ELj13ELNS0_17block_load_methodE3ELS4_3ELS4_3ELNS0_20block_scan_algorithmE0ELj4294967295EEENS1_25partition_config_selectorILNS1_17partition_subalgoE3EjNS0_10empty_typeEbEEZZNS1_14partition_implILS8_3ELb0ES6_jNS0_17counting_iteratorIjlEEPS9_SE_NS0_5tupleIJPjSE_EEENSF_IJSE_SE_EEES9_SG_JZNS1_25segmented_radix_sort_implINS0_14default_configELb1EPKaPaPKlPlN2at6native12_GLOBAL__N_18offset_tEEE10hipError_tPvRmT1_PNSt15iterator_traitsISY_E10value_typeET2_T3_PNSZ_IS14_E10value_typeET4_jRbjT5_S1A_jjP12ihipStream_tbEUljE_EEESV_SW_SX_S14_S18_S1A_T6_T7_T9_mT8_S1C_bDpT10_ENKUlT_T0_E_clISt17integral_constantIbLb0EES1P_EEDaS1K_S1L_EUlS1K_E_NS1_11comp_targetILNS1_3genE3ELNS1_11target_archE908ELNS1_3gpuE7ELNS1_3repE0EEENS1_30default_config_static_selectorELNS0_4arch9wavefront6targetE1EEEvSY_.uses_flat_scratch, 0
	.set _ZN7rocprim17ROCPRIM_400000_NS6detail17trampoline_kernelINS0_13select_configILj256ELj13ELNS0_17block_load_methodE3ELS4_3ELS4_3ELNS0_20block_scan_algorithmE0ELj4294967295EEENS1_25partition_config_selectorILNS1_17partition_subalgoE3EjNS0_10empty_typeEbEEZZNS1_14partition_implILS8_3ELb0ES6_jNS0_17counting_iteratorIjlEEPS9_SE_NS0_5tupleIJPjSE_EEENSF_IJSE_SE_EEES9_SG_JZNS1_25segmented_radix_sort_implINS0_14default_configELb1EPKaPaPKlPlN2at6native12_GLOBAL__N_18offset_tEEE10hipError_tPvRmT1_PNSt15iterator_traitsISY_E10value_typeET2_T3_PNSZ_IS14_E10value_typeET4_jRbjT5_S1A_jjP12ihipStream_tbEUljE_EEESV_SW_SX_S14_S18_S1A_T6_T7_T9_mT8_S1C_bDpT10_ENKUlT_T0_E_clISt17integral_constantIbLb0EES1P_EEDaS1K_S1L_EUlS1K_E_NS1_11comp_targetILNS1_3genE3ELNS1_11target_archE908ELNS1_3gpuE7ELNS1_3repE0EEENS1_30default_config_static_selectorELNS0_4arch9wavefront6targetE1EEEvSY_.has_dyn_sized_stack, 0
	.set _ZN7rocprim17ROCPRIM_400000_NS6detail17trampoline_kernelINS0_13select_configILj256ELj13ELNS0_17block_load_methodE3ELS4_3ELS4_3ELNS0_20block_scan_algorithmE0ELj4294967295EEENS1_25partition_config_selectorILNS1_17partition_subalgoE3EjNS0_10empty_typeEbEEZZNS1_14partition_implILS8_3ELb0ES6_jNS0_17counting_iteratorIjlEEPS9_SE_NS0_5tupleIJPjSE_EEENSF_IJSE_SE_EEES9_SG_JZNS1_25segmented_radix_sort_implINS0_14default_configELb1EPKaPaPKlPlN2at6native12_GLOBAL__N_18offset_tEEE10hipError_tPvRmT1_PNSt15iterator_traitsISY_E10value_typeET2_T3_PNSZ_IS14_E10value_typeET4_jRbjT5_S1A_jjP12ihipStream_tbEUljE_EEESV_SW_SX_S14_S18_S1A_T6_T7_T9_mT8_S1C_bDpT10_ENKUlT_T0_E_clISt17integral_constantIbLb0EES1P_EEDaS1K_S1L_EUlS1K_E_NS1_11comp_targetILNS1_3genE3ELNS1_11target_archE908ELNS1_3gpuE7ELNS1_3repE0EEENS1_30default_config_static_selectorELNS0_4arch9wavefront6targetE1EEEvSY_.has_recursion, 0
	.set _ZN7rocprim17ROCPRIM_400000_NS6detail17trampoline_kernelINS0_13select_configILj256ELj13ELNS0_17block_load_methodE3ELS4_3ELS4_3ELNS0_20block_scan_algorithmE0ELj4294967295EEENS1_25partition_config_selectorILNS1_17partition_subalgoE3EjNS0_10empty_typeEbEEZZNS1_14partition_implILS8_3ELb0ES6_jNS0_17counting_iteratorIjlEEPS9_SE_NS0_5tupleIJPjSE_EEENSF_IJSE_SE_EEES9_SG_JZNS1_25segmented_radix_sort_implINS0_14default_configELb1EPKaPaPKlPlN2at6native12_GLOBAL__N_18offset_tEEE10hipError_tPvRmT1_PNSt15iterator_traitsISY_E10value_typeET2_T3_PNSZ_IS14_E10value_typeET4_jRbjT5_S1A_jjP12ihipStream_tbEUljE_EEESV_SW_SX_S14_S18_S1A_T6_T7_T9_mT8_S1C_bDpT10_ENKUlT_T0_E_clISt17integral_constantIbLb0EES1P_EEDaS1K_S1L_EUlS1K_E_NS1_11comp_targetILNS1_3genE3ELNS1_11target_archE908ELNS1_3gpuE7ELNS1_3repE0EEENS1_30default_config_static_selectorELNS0_4arch9wavefront6targetE1EEEvSY_.has_indirect_call, 0
	.section	.AMDGPU.csdata,"",@progbits
; Kernel info:
; codeLenInByte = 0
; TotalNumSgprs: 4
; NumVgprs: 0
; ScratchSize: 0
; MemoryBound: 0
; FloatMode: 240
; IeeeMode: 1
; LDSByteSize: 0 bytes/workgroup (compile time only)
; SGPRBlocks: 0
; VGPRBlocks: 0
; NumSGPRsForWavesPerEU: 4
; NumVGPRsForWavesPerEU: 1
; Occupancy: 10
; WaveLimiterHint : 0
; COMPUTE_PGM_RSRC2:SCRATCH_EN: 0
; COMPUTE_PGM_RSRC2:USER_SGPR: 6
; COMPUTE_PGM_RSRC2:TRAP_HANDLER: 0
; COMPUTE_PGM_RSRC2:TGID_X_EN: 1
; COMPUTE_PGM_RSRC2:TGID_Y_EN: 0
; COMPUTE_PGM_RSRC2:TGID_Z_EN: 0
; COMPUTE_PGM_RSRC2:TIDIG_COMP_CNT: 0
	.section	.text._ZN7rocprim17ROCPRIM_400000_NS6detail17trampoline_kernelINS0_13select_configILj256ELj13ELNS0_17block_load_methodE3ELS4_3ELS4_3ELNS0_20block_scan_algorithmE0ELj4294967295EEENS1_25partition_config_selectorILNS1_17partition_subalgoE3EjNS0_10empty_typeEbEEZZNS1_14partition_implILS8_3ELb0ES6_jNS0_17counting_iteratorIjlEEPS9_SE_NS0_5tupleIJPjSE_EEENSF_IJSE_SE_EEES9_SG_JZNS1_25segmented_radix_sort_implINS0_14default_configELb1EPKaPaPKlPlN2at6native12_GLOBAL__N_18offset_tEEE10hipError_tPvRmT1_PNSt15iterator_traitsISY_E10value_typeET2_T3_PNSZ_IS14_E10value_typeET4_jRbjT5_S1A_jjP12ihipStream_tbEUljE_EEESV_SW_SX_S14_S18_S1A_T6_T7_T9_mT8_S1C_bDpT10_ENKUlT_T0_E_clISt17integral_constantIbLb0EES1P_EEDaS1K_S1L_EUlS1K_E_NS1_11comp_targetILNS1_3genE2ELNS1_11target_archE906ELNS1_3gpuE6ELNS1_3repE0EEENS1_30default_config_static_selectorELNS0_4arch9wavefront6targetE1EEEvSY_,"axG",@progbits,_ZN7rocprim17ROCPRIM_400000_NS6detail17trampoline_kernelINS0_13select_configILj256ELj13ELNS0_17block_load_methodE3ELS4_3ELS4_3ELNS0_20block_scan_algorithmE0ELj4294967295EEENS1_25partition_config_selectorILNS1_17partition_subalgoE3EjNS0_10empty_typeEbEEZZNS1_14partition_implILS8_3ELb0ES6_jNS0_17counting_iteratorIjlEEPS9_SE_NS0_5tupleIJPjSE_EEENSF_IJSE_SE_EEES9_SG_JZNS1_25segmented_radix_sort_implINS0_14default_configELb1EPKaPaPKlPlN2at6native12_GLOBAL__N_18offset_tEEE10hipError_tPvRmT1_PNSt15iterator_traitsISY_E10value_typeET2_T3_PNSZ_IS14_E10value_typeET4_jRbjT5_S1A_jjP12ihipStream_tbEUljE_EEESV_SW_SX_S14_S18_S1A_T6_T7_T9_mT8_S1C_bDpT10_ENKUlT_T0_E_clISt17integral_constantIbLb0EES1P_EEDaS1K_S1L_EUlS1K_E_NS1_11comp_targetILNS1_3genE2ELNS1_11target_archE906ELNS1_3gpuE6ELNS1_3repE0EEENS1_30default_config_static_selectorELNS0_4arch9wavefront6targetE1EEEvSY_,comdat
	.globl	_ZN7rocprim17ROCPRIM_400000_NS6detail17trampoline_kernelINS0_13select_configILj256ELj13ELNS0_17block_load_methodE3ELS4_3ELS4_3ELNS0_20block_scan_algorithmE0ELj4294967295EEENS1_25partition_config_selectorILNS1_17partition_subalgoE3EjNS0_10empty_typeEbEEZZNS1_14partition_implILS8_3ELb0ES6_jNS0_17counting_iteratorIjlEEPS9_SE_NS0_5tupleIJPjSE_EEENSF_IJSE_SE_EEES9_SG_JZNS1_25segmented_radix_sort_implINS0_14default_configELb1EPKaPaPKlPlN2at6native12_GLOBAL__N_18offset_tEEE10hipError_tPvRmT1_PNSt15iterator_traitsISY_E10value_typeET2_T3_PNSZ_IS14_E10value_typeET4_jRbjT5_S1A_jjP12ihipStream_tbEUljE_EEESV_SW_SX_S14_S18_S1A_T6_T7_T9_mT8_S1C_bDpT10_ENKUlT_T0_E_clISt17integral_constantIbLb0EES1P_EEDaS1K_S1L_EUlS1K_E_NS1_11comp_targetILNS1_3genE2ELNS1_11target_archE906ELNS1_3gpuE6ELNS1_3repE0EEENS1_30default_config_static_selectorELNS0_4arch9wavefront6targetE1EEEvSY_ ; -- Begin function _ZN7rocprim17ROCPRIM_400000_NS6detail17trampoline_kernelINS0_13select_configILj256ELj13ELNS0_17block_load_methodE3ELS4_3ELS4_3ELNS0_20block_scan_algorithmE0ELj4294967295EEENS1_25partition_config_selectorILNS1_17partition_subalgoE3EjNS0_10empty_typeEbEEZZNS1_14partition_implILS8_3ELb0ES6_jNS0_17counting_iteratorIjlEEPS9_SE_NS0_5tupleIJPjSE_EEENSF_IJSE_SE_EEES9_SG_JZNS1_25segmented_radix_sort_implINS0_14default_configELb1EPKaPaPKlPlN2at6native12_GLOBAL__N_18offset_tEEE10hipError_tPvRmT1_PNSt15iterator_traitsISY_E10value_typeET2_T3_PNSZ_IS14_E10value_typeET4_jRbjT5_S1A_jjP12ihipStream_tbEUljE_EEESV_SW_SX_S14_S18_S1A_T6_T7_T9_mT8_S1C_bDpT10_ENKUlT_T0_E_clISt17integral_constantIbLb0EES1P_EEDaS1K_S1L_EUlS1K_E_NS1_11comp_targetILNS1_3genE2ELNS1_11target_archE906ELNS1_3gpuE6ELNS1_3repE0EEENS1_30default_config_static_selectorELNS0_4arch9wavefront6targetE1EEEvSY_
	.p2align	8
	.type	_ZN7rocprim17ROCPRIM_400000_NS6detail17trampoline_kernelINS0_13select_configILj256ELj13ELNS0_17block_load_methodE3ELS4_3ELS4_3ELNS0_20block_scan_algorithmE0ELj4294967295EEENS1_25partition_config_selectorILNS1_17partition_subalgoE3EjNS0_10empty_typeEbEEZZNS1_14partition_implILS8_3ELb0ES6_jNS0_17counting_iteratorIjlEEPS9_SE_NS0_5tupleIJPjSE_EEENSF_IJSE_SE_EEES9_SG_JZNS1_25segmented_radix_sort_implINS0_14default_configELb1EPKaPaPKlPlN2at6native12_GLOBAL__N_18offset_tEEE10hipError_tPvRmT1_PNSt15iterator_traitsISY_E10value_typeET2_T3_PNSZ_IS14_E10value_typeET4_jRbjT5_S1A_jjP12ihipStream_tbEUljE_EEESV_SW_SX_S14_S18_S1A_T6_T7_T9_mT8_S1C_bDpT10_ENKUlT_T0_E_clISt17integral_constantIbLb0EES1P_EEDaS1K_S1L_EUlS1K_E_NS1_11comp_targetILNS1_3genE2ELNS1_11target_archE906ELNS1_3gpuE6ELNS1_3repE0EEENS1_30default_config_static_selectorELNS0_4arch9wavefront6targetE1EEEvSY_,@function
_ZN7rocprim17ROCPRIM_400000_NS6detail17trampoline_kernelINS0_13select_configILj256ELj13ELNS0_17block_load_methodE3ELS4_3ELS4_3ELNS0_20block_scan_algorithmE0ELj4294967295EEENS1_25partition_config_selectorILNS1_17partition_subalgoE3EjNS0_10empty_typeEbEEZZNS1_14partition_implILS8_3ELb0ES6_jNS0_17counting_iteratorIjlEEPS9_SE_NS0_5tupleIJPjSE_EEENSF_IJSE_SE_EEES9_SG_JZNS1_25segmented_radix_sort_implINS0_14default_configELb1EPKaPaPKlPlN2at6native12_GLOBAL__N_18offset_tEEE10hipError_tPvRmT1_PNSt15iterator_traitsISY_E10value_typeET2_T3_PNSZ_IS14_E10value_typeET4_jRbjT5_S1A_jjP12ihipStream_tbEUljE_EEESV_SW_SX_S14_S18_S1A_T6_T7_T9_mT8_S1C_bDpT10_ENKUlT_T0_E_clISt17integral_constantIbLb0EES1P_EEDaS1K_S1L_EUlS1K_E_NS1_11comp_targetILNS1_3genE2ELNS1_11target_archE906ELNS1_3gpuE6ELNS1_3repE0EEENS1_30default_config_static_selectorELNS0_4arch9wavefront6targetE1EEEvSY_: ; @_ZN7rocprim17ROCPRIM_400000_NS6detail17trampoline_kernelINS0_13select_configILj256ELj13ELNS0_17block_load_methodE3ELS4_3ELS4_3ELNS0_20block_scan_algorithmE0ELj4294967295EEENS1_25partition_config_selectorILNS1_17partition_subalgoE3EjNS0_10empty_typeEbEEZZNS1_14partition_implILS8_3ELb0ES6_jNS0_17counting_iteratorIjlEEPS9_SE_NS0_5tupleIJPjSE_EEENSF_IJSE_SE_EEES9_SG_JZNS1_25segmented_radix_sort_implINS0_14default_configELb1EPKaPaPKlPlN2at6native12_GLOBAL__N_18offset_tEEE10hipError_tPvRmT1_PNSt15iterator_traitsISY_E10value_typeET2_T3_PNSZ_IS14_E10value_typeET4_jRbjT5_S1A_jjP12ihipStream_tbEUljE_EEESV_SW_SX_S14_S18_S1A_T6_T7_T9_mT8_S1C_bDpT10_ENKUlT_T0_E_clISt17integral_constantIbLb0EES1P_EEDaS1K_S1L_EUlS1K_E_NS1_11comp_targetILNS1_3genE2ELNS1_11target_archE906ELNS1_3gpuE6ELNS1_3repE0EEENS1_30default_config_static_selectorELNS0_4arch9wavefront6targetE1EEEvSY_
; %bb.0:
	s_load_dwordx2 s[28:29], s[4:5], 0x58
	s_load_dwordx4 s[24:27], s[4:5], 0x48
	s_load_dword s12, s[4:5], 0x8
	s_load_dwordx2 s[30:31], s[4:5], 0x10
	s_load_dword s0, s[4:5], 0x70
	s_load_dword s7, s[4:5], 0x88
	s_load_dwordx4 s[8:11], s[4:5], 0x78
	s_waitcnt lgkmcnt(0)
	s_load_dwordx2 s[34:35], s[26:27], 0x0
	s_mul_i32 s44, s6, 0xd00
	s_add_i32 s2, s0, -1
	s_mulk_i32 s0, 0xd00
	s_add_i32 s1, s0, s30
	s_sub_i32 s33, s28, s1
	s_addk_i32 s33, 0xd00
	s_add_u32 s0, s30, s0
	s_addc_u32 s1, s31, 0
	v_mov_b32_e32 v2, s1
	v_mov_b32_e32 v1, s0
	s_cmp_eq_u32 s6, s2
	v_cmp_gt_u64_e32 vcc, s[28:29], v[1:2]
	s_cselect_b64 s[22:23], -1, 0
	s_cmp_lg_u32 s6, s2
	s_cselect_b64 s[0:1], -1, 0
	s_add_i32 s12, s12, s44
	s_or_b64 s[2:3], s[0:1], vcc
	s_add_i32 s12, s12, s30
	s_mov_b64 s[0:1], -1
	s_and_b64 vcc, exec, s[2:3]
	v_add_u32_e32 v1, s12, v0
	v_lshlrev_b32_e32 v23, 2, v0
	s_cbranch_vccz .LBB262_2
; %bb.1:
	v_add_u32_e32 v2, 0x100, v1
	v_add_u32_e32 v3, 0x200, v1
	;; [unrolled: 1-line block ×12, first 2 shown]
	ds_write2st64_b32 v23, v1, v2 offset1:4
	ds_write2st64_b32 v23, v3, v4 offset0:8 offset1:12
	ds_write2st64_b32 v23, v5, v6 offset0:16 offset1:20
	;; [unrolled: 1-line block ×5, first 2 shown]
	ds_write_b32 v23, v13 offset:12288
	s_waitcnt lgkmcnt(0)
	s_barrier
	s_mov_b64 s[0:1], 0
.LBB262_2:
	s_andn2_b64 vcc, exec, s[0:1]
	v_cmp_gt_u32_e64 s[0:1], s33, v0
	s_cbranch_vccnz .LBB262_4
; %bb.3:
	v_or_b32_e32 v2, 0x100, v0
	v_add_u32_e32 v3, s12, v2
	v_cmp_gt_u32_e32 vcc, s33, v2
	v_cndmask_b32_e32 v2, 0, v3, vcc
	v_or_b32_e32 v3, 0x200, v0
	v_add_u32_e32 v4, s12, v3
	v_cmp_gt_u32_e32 vcc, s33, v3
	v_cndmask_b32_e32 v3, 0, v4, vcc
	;; [unrolled: 4-line block ×11, first 2 shown]
	v_or_b32_e32 v13, 0xc00, v0
	v_cndmask_b32_e64 v1, 0, v1, s[0:1]
	v_add_u32_e32 v14, s12, v13
	v_cmp_gt_u32_e32 vcc, s33, v13
	v_cndmask_b32_e32 v13, 0, v14, vcc
	ds_write2st64_b32 v23, v1, v2 offset1:4
	ds_write2st64_b32 v23, v3, v4 offset0:8 offset1:12
	ds_write2st64_b32 v23, v5, v6 offset0:16 offset1:20
	;; [unrolled: 1-line block ×5, first 2 shown]
	ds_write_b32 v23, v13 offset:12288
	s_waitcnt lgkmcnt(0)
	s_barrier
.LBB262_4:
	v_mul_u32_u24_e32 v25, 13, v0
	v_lshlrev_b32_e32 v1, 2, v25
	s_waitcnt lgkmcnt(0)
	ds_read2_b32 v[13:14], v1 offset1:1
	ds_read2_b32 v[11:12], v1 offset0:2 offset1:3
	ds_read2_b32 v[9:10], v1 offset0:4 offset1:5
	;; [unrolled: 1-line block ×5, first 2 shown]
	ds_read_b32 v24, v1 offset:48
	v_cndmask_b32_e64 v1, 0, 1, s[2:3]
	v_cmp_ne_u32_e64 s[0:1], 1, v1
	s_andn2_b64 vcc, exec, s[2:3]
	s_waitcnt lgkmcnt(0)
	s_barrier
	s_cbranch_vccnz .LBB262_6
; %bb.5:
	v_add_u32_e32 v1, s9, v13
	v_add_u32_e32 v2, s11, v13
	v_mul_lo_u32 v1, v1, s8
	v_mul_lo_u32 v2, v2, s10
	v_add_u32_e32 v15, s9, v11
	v_add_u32_e32 v16, s11, v11
	v_mul_lo_u32 v15, v15, s8
	v_sub_u32_e32 v1, v1, v2
	v_cmp_lt_u32_e32 vcc, s7, v1
	v_add_u32_e32 v1, s9, v14
	v_add_u32_e32 v2, s11, v14
	v_mul_lo_u32 v1, v1, s8
	v_mul_lo_u32 v2, v2, s10
	;; [unrolled: 1-line block ×3, first 2 shown]
	v_cndmask_b32_e64 v26, 0, 1, vcc
	v_sub_u32_e32 v1, v1, v2
	v_cmp_lt_u32_e32 vcc, s7, v1
	v_sub_u32_e32 v1, v15, v16
	v_cndmask_b32_e64 v27, 0, 1, vcc
	v_cmp_lt_u32_e32 vcc, s7, v1
	v_add_u32_e32 v1, s9, v12
	v_add_u32_e32 v2, s11, v12
	v_mul_lo_u32 v1, v1, s8
	v_mul_lo_u32 v2, v2, s10
	v_add_u32_e32 v15, s9, v9
	v_add_u32_e32 v16, s11, v9
	v_mul_lo_u32 v15, v15, s8
	v_mul_lo_u32 v16, v16, s10
	v_sub_u32_e32 v1, v1, v2
	v_cndmask_b32_e64 v28, 0, 1, vcc
	v_cmp_lt_u32_e32 vcc, s7, v1
	v_sub_u32_e32 v1, v15, v16
	v_cndmask_b32_e64 v29, 0, 1, vcc
	v_cmp_lt_u32_e32 vcc, s7, v1
	v_add_u32_e32 v1, s9, v10
	v_add_u32_e32 v2, s11, v10
	v_mul_lo_u32 v1, v1, s8
	v_mul_lo_u32 v2, v2, s10
	v_add_u32_e32 v15, s9, v7
	v_add_u32_e32 v16, s11, v7
	v_mul_lo_u32 v15, v15, s8
	v_mul_lo_u32 v16, v16, s10
	v_sub_u32_e32 v1, v1, v2
	v_cndmask_b32_e64 v30, 0, 1, vcc
	;; [unrolled: 14-line block ×5, first 2 shown]
	v_cmp_lt_u32_e32 vcc, s7, v1
	v_sub_u32_e32 v1, v15, v16
	v_cndmask_b32_e64 v37, 0, 1, vcc
	v_cmp_lt_u32_e64 s[38:39], s7, v1
	s_load_dwordx2 s[26:27], s[4:5], 0x28
	s_load_dwordx2 s[36:37], s[4:5], 0x68
	s_cbranch_execz .LBB262_7
	s_branch .LBB262_34
.LBB262_6:
                                        ; implicit-def: $sgpr38_sgpr39
                                        ; implicit-def: $vgpr37
                                        ; implicit-def: $vgpr36
                                        ; implicit-def: $vgpr35
                                        ; implicit-def: $vgpr34
                                        ; implicit-def: $vgpr33
                                        ; implicit-def: $vgpr32
                                        ; implicit-def: $vgpr31
                                        ; implicit-def: $vgpr30
                                        ; implicit-def: $vgpr26
                                        ; implicit-def: $vgpr27
                                        ; implicit-def: $vgpr28
                                        ; implicit-def: $vgpr29
	s_load_dwordx2 s[26:27], s[4:5], 0x28
	s_load_dwordx2 s[36:37], s[4:5], 0x68
.LBB262_7:
	v_cmp_gt_u32_e32 vcc, s33, v25
	v_mov_b32_e32 v27, 0
	v_mov_b32_e32 v26, 0
	s_and_saveexec_b64 s[2:3], vcc
	s_cbranch_execz .LBB262_9
; %bb.8:
	v_add_u32_e32 v1, s9, v13
	v_add_u32_e32 v2, s11, v13
	v_mul_lo_u32 v1, v1, s8
	v_mul_lo_u32 v2, v2, s10
	v_sub_u32_e32 v1, v1, v2
	v_cmp_lt_u32_e32 vcc, s7, v1
	v_cndmask_b32_e64 v26, 0, 1, vcc
.LBB262_9:
	s_or_b64 exec, exec, s[2:3]
	v_add_u32_e32 v1, 1, v25
	v_cmp_gt_u32_e32 vcc, s33, v1
	s_and_saveexec_b64 s[2:3], vcc
	s_cbranch_execz .LBB262_11
; %bb.10:
	v_add_u32_e32 v1, s9, v14
	v_add_u32_e32 v2, s11, v14
	v_mul_lo_u32 v1, v1, s8
	v_mul_lo_u32 v2, v2, s10
	v_sub_u32_e32 v1, v1, v2
	v_cmp_lt_u32_e32 vcc, s7, v1
	v_cndmask_b32_e64 v27, 0, 1, vcc
.LBB262_11:
	s_or_b64 exec, exec, s[2:3]
	v_add_u32_e32 v1, 2, v25
	v_cmp_gt_u32_e32 vcc, s33, v1
	v_mov_b32_e32 v29, 0
	v_mov_b32_e32 v28, 0
	s_and_saveexec_b64 s[2:3], vcc
	s_cbranch_execz .LBB262_13
; %bb.12:
	v_add_u32_e32 v1, s9, v11
	v_add_u32_e32 v2, s11, v11
	v_mul_lo_u32 v1, v1, s8
	v_mul_lo_u32 v2, v2, s10
	v_sub_u32_e32 v1, v1, v2
	v_cmp_lt_u32_e32 vcc, s7, v1
	v_cndmask_b32_e64 v28, 0, 1, vcc
.LBB262_13:
	s_or_b64 exec, exec, s[2:3]
	v_add_u32_e32 v1, 3, v25
	v_cmp_gt_u32_e32 vcc, s33, v1
	s_and_saveexec_b64 s[2:3], vcc
	s_cbranch_execz .LBB262_15
; %bb.14:
	v_add_u32_e32 v1, s9, v12
	v_add_u32_e32 v2, s11, v12
	v_mul_lo_u32 v1, v1, s8
	v_mul_lo_u32 v2, v2, s10
	v_sub_u32_e32 v1, v1, v2
	v_cmp_lt_u32_e32 vcc, s7, v1
	v_cndmask_b32_e64 v29, 0, 1, vcc
.LBB262_15:
	s_or_b64 exec, exec, s[2:3]
	v_add_u32_e32 v1, 4, v25
	v_cmp_gt_u32_e32 vcc, s33, v1
	v_mov_b32_e32 v31, 0
	v_mov_b32_e32 v30, 0
	s_and_saveexec_b64 s[2:3], vcc
	s_cbranch_execz .LBB262_17
; %bb.16:
	v_add_u32_e32 v1, s9, v9
	v_add_u32_e32 v2, s11, v9
	v_mul_lo_u32 v1, v1, s8
	v_mul_lo_u32 v2, v2, s10
	v_sub_u32_e32 v1, v1, v2
	v_cmp_lt_u32_e32 vcc, s7, v1
	v_cndmask_b32_e64 v30, 0, 1, vcc
.LBB262_17:
	s_or_b64 exec, exec, s[2:3]
	v_add_u32_e32 v1, 5, v25
	v_cmp_gt_u32_e32 vcc, s33, v1
	s_and_saveexec_b64 s[2:3], vcc
	s_cbranch_execz .LBB262_19
; %bb.18:
	v_add_u32_e32 v1, s9, v10
	v_add_u32_e32 v2, s11, v10
	v_mul_lo_u32 v1, v1, s8
	v_mul_lo_u32 v2, v2, s10
	v_sub_u32_e32 v1, v1, v2
	v_cmp_lt_u32_e32 vcc, s7, v1
	v_cndmask_b32_e64 v31, 0, 1, vcc
.LBB262_19:
	s_or_b64 exec, exec, s[2:3]
	v_add_u32_e32 v1, 6, v25
	v_cmp_gt_u32_e32 vcc, s33, v1
	v_mov_b32_e32 v33, 0
	v_mov_b32_e32 v32, 0
	s_and_saveexec_b64 s[2:3], vcc
	s_cbranch_execz .LBB262_21
; %bb.20:
	v_add_u32_e32 v1, s9, v7
	v_add_u32_e32 v2, s11, v7
	v_mul_lo_u32 v1, v1, s8
	v_mul_lo_u32 v2, v2, s10
	v_sub_u32_e32 v1, v1, v2
	v_cmp_lt_u32_e32 vcc, s7, v1
	v_cndmask_b32_e64 v32, 0, 1, vcc
.LBB262_21:
	s_or_b64 exec, exec, s[2:3]
	v_add_u32_e32 v1, 7, v25
	v_cmp_gt_u32_e32 vcc, s33, v1
	s_and_saveexec_b64 s[2:3], vcc
	s_cbranch_execz .LBB262_23
; %bb.22:
	v_add_u32_e32 v1, s9, v8
	v_add_u32_e32 v2, s11, v8
	v_mul_lo_u32 v1, v1, s8
	v_mul_lo_u32 v2, v2, s10
	v_sub_u32_e32 v1, v1, v2
	v_cmp_lt_u32_e32 vcc, s7, v1
	v_cndmask_b32_e64 v33, 0, 1, vcc
.LBB262_23:
	s_or_b64 exec, exec, s[2:3]
	v_add_u32_e32 v1, 8, v25
	v_cmp_gt_u32_e32 vcc, s33, v1
	v_mov_b32_e32 v35, 0
	v_mov_b32_e32 v34, 0
	s_and_saveexec_b64 s[2:3], vcc
	s_cbranch_execz .LBB262_25
; %bb.24:
	v_add_u32_e32 v1, s9, v5
	v_add_u32_e32 v2, s11, v5
	v_mul_lo_u32 v1, v1, s8
	v_mul_lo_u32 v2, v2, s10
	v_sub_u32_e32 v1, v1, v2
	v_cmp_lt_u32_e32 vcc, s7, v1
	v_cndmask_b32_e64 v34, 0, 1, vcc
.LBB262_25:
	s_or_b64 exec, exec, s[2:3]
	v_add_u32_e32 v1, 9, v25
	v_cmp_gt_u32_e32 vcc, s33, v1
	s_and_saveexec_b64 s[2:3], vcc
	s_cbranch_execz .LBB262_27
; %bb.26:
	v_add_u32_e32 v1, s9, v6
	v_add_u32_e32 v2, s11, v6
	v_mul_lo_u32 v1, v1, s8
	v_mul_lo_u32 v2, v2, s10
	v_sub_u32_e32 v1, v1, v2
	v_cmp_lt_u32_e32 vcc, s7, v1
	v_cndmask_b32_e64 v35, 0, 1, vcc
.LBB262_27:
	s_or_b64 exec, exec, s[2:3]
	v_add_u32_e32 v1, 10, v25
	v_cmp_gt_u32_e32 vcc, s33, v1
	v_mov_b32_e32 v37, 0
	v_mov_b32_e32 v36, 0
	s_and_saveexec_b64 s[2:3], vcc
	s_cbranch_execz .LBB262_29
; %bb.28:
	v_add_u32_e32 v1, s9, v3
	v_add_u32_e32 v2, s11, v3
	v_mul_lo_u32 v1, v1, s8
	v_mul_lo_u32 v2, v2, s10
	v_sub_u32_e32 v1, v1, v2
	v_cmp_lt_u32_e32 vcc, s7, v1
	v_cndmask_b32_e64 v36, 0, 1, vcc
.LBB262_29:
	s_or_b64 exec, exec, s[2:3]
	v_add_u32_e32 v1, 11, v25
	v_cmp_gt_u32_e32 vcc, s33, v1
	s_and_saveexec_b64 s[2:3], vcc
	s_cbranch_execz .LBB262_31
; %bb.30:
	v_add_u32_e32 v1, s9, v4
	v_add_u32_e32 v2, s11, v4
	v_mul_lo_u32 v2, v2, s10
	v_mul_lo_u32 v1, v1, s8
	v_sub_u32_e32 v1, v1, v2
	v_cmp_lt_u32_e32 vcc, s7, v1
	v_cndmask_b32_e64 v37, 0, 1, vcc
.LBB262_31:
	s_or_b64 exec, exec, s[2:3]
	v_add_u32_e32 v1, 12, v25
	v_cmp_gt_u32_e32 vcc, s33, v1
	s_mov_b64 s[38:39], 0
	s_and_saveexec_b64 s[2:3], vcc
	s_cbranch_execz .LBB262_33
; %bb.32:
	v_add_u32_e32 v1, s9, v24
	v_add_u32_e32 v2, s11, v24
	v_mul_lo_u32 v1, v1, s8
	v_mul_lo_u32 v2, v2, s10
	v_sub_u32_e32 v1, v1, v2
	v_cmp_lt_u32_e32 vcc, s7, v1
	s_and_b64 s[38:39], vcc, exec
.LBB262_33:
	s_or_b64 exec, exec, s[2:3]
.LBB262_34:
	v_and_b32_e32 v40, 0xff, v27
	v_and_b32_e32 v41, 0xff, v28
	;; [unrolled: 1-line block ×5, first 2 shown]
	v_add3_u32 v2, v41, v42, v40
	v_and_b32_e32 v44, 0xff, v31
	v_and_b32_e32 v45, 0xff, v32
	v_add3_u32 v2, v2, v39, v43
	v_and_b32_e32 v46, 0xff, v33
	v_and_b32_e32 v47, 0xff, v34
	;; [unrolled: 3-line block ×3, first 2 shown]
	v_add3_u32 v2, v2, v46, v47
	v_and_b32_e32 v38, 0xff, v37
	v_cndmask_b32_e64 v1, 0, 1, s[38:39]
	v_add3_u32 v2, v2, v48, v49
	v_add3_u32 v52, v2, v38, v1
	v_mbcnt_lo_u32_b32 v1, -1, 0
	v_mbcnt_hi_u32_b32 v50, -1, v1
	v_and_b32_e32 v1, 15, v50
	v_cmp_eq_u32_e64 s[14:15], 0, v1
	v_cmp_lt_u32_e64 s[12:13], 1, v1
	v_cmp_lt_u32_e64 s[10:11], 3, v1
	;; [unrolled: 1-line block ×3, first 2 shown]
	v_and_b32_e32 v1, 16, v50
	v_cmp_eq_u32_e64 s[18:19], 0, v1
	v_or_b32_e32 v1, 63, v0
	s_cmp_lg_u32 s6, 0
	v_cmp_lt_u32_e64 s[2:3], 31, v50
	v_lshrrev_b32_e32 v51, 6, v0
	v_cmp_eq_u32_e64 s[4:5], v0, v1
	s_cbranch_scc0 .LBB262_56
; %bb.35:
	v_mov_b32_dpp v1, v52 row_shr:1 row_mask:0xf bank_mask:0xf
	v_cndmask_b32_e64 v1, v1, 0, s[14:15]
	v_add_u32_e32 v1, v1, v52
	s_nop 1
	v_mov_b32_dpp v2, v1 row_shr:2 row_mask:0xf bank_mask:0xf
	v_cndmask_b32_e64 v2, 0, v2, s[12:13]
	v_add_u32_e32 v1, v1, v2
	s_nop 1
	;; [unrolled: 4-line block ×4, first 2 shown]
	v_mov_b32_dpp v2, v1 row_bcast:15 row_mask:0xf bank_mask:0xf
	v_cndmask_b32_e64 v2, v2, 0, s[18:19]
	v_add_u32_e32 v1, v1, v2
	s_nop 1
	v_mov_b32_dpp v2, v1 row_bcast:31 row_mask:0xf bank_mask:0xf
	v_cndmask_b32_e64 v2, 0, v2, s[2:3]
	v_add_u32_e32 v1, v1, v2
	s_and_saveexec_b64 s[16:17], s[4:5]
; %bb.36:
	v_lshlrev_b32_e32 v2, 2, v51
	ds_write_b32 v2, v1
; %bb.37:
	s_or_b64 exec, exec, s[16:17]
	v_cmp_gt_u32_e32 vcc, 4, v0
	s_waitcnt lgkmcnt(0)
	s_barrier
	s_and_saveexec_b64 s[16:17], vcc
	s_cbranch_execz .LBB262_39
; %bb.38:
	ds_read_b32 v2, v23
	v_and_b32_e32 v15, 3, v50
	v_cmp_ne_u32_e32 vcc, 0, v15
	s_waitcnt lgkmcnt(0)
	v_mov_b32_dpp v16, v2 row_shr:1 row_mask:0xf bank_mask:0xf
	v_cndmask_b32_e32 v16, 0, v16, vcc
	v_add_u32_e32 v2, v16, v2
	v_cmp_lt_u32_e32 vcc, 1, v15
	s_nop 0
	v_mov_b32_dpp v16, v2 row_shr:2 row_mask:0xf bank_mask:0xf
	v_cndmask_b32_e32 v15, 0, v16, vcc
	v_add_u32_e32 v2, v2, v15
	ds_write_b32 v23, v2
.LBB262_39:
	s_or_b64 exec, exec, s[16:17]
	v_cmp_gt_u32_e32 vcc, 64, v0
	v_cmp_lt_u32_e64 s[16:17], 63, v0
	s_waitcnt lgkmcnt(0)
	s_barrier
                                        ; implicit-def: $vgpr53
	s_and_saveexec_b64 s[20:21], s[16:17]
	s_cbranch_execz .LBB262_41
; %bb.40:
	v_lshl_add_u32 v2, v51, 2, -4
	ds_read_b32 v53, v2
	s_waitcnt lgkmcnt(0)
	v_add_u32_e32 v1, v53, v1
.LBB262_41:
	s_or_b64 exec, exec, s[20:21]
	v_subrev_co_u32_e64 v2, s[16:17], 1, v50
	v_and_b32_e32 v15, 64, v50
	v_cmp_lt_i32_e64 s[20:21], v2, v15
	v_cndmask_b32_e64 v2, v2, v50, s[20:21]
	v_lshlrev_b32_e32 v2, 2, v2
	ds_bpermute_b32 v54, v2, v1
	s_and_saveexec_b64 s[20:21], vcc
	s_cbranch_execz .LBB262_61
; %bb.42:
	v_mov_b32_e32 v19, 0
	ds_read_b32 v1, v19 offset:12
	s_and_saveexec_b64 s[40:41], s[16:17]
	s_cbranch_execz .LBB262_44
; %bb.43:
	s_add_i32 s42, s6, 64
	s_mov_b32 s43, 0
	s_lshl_b64 s[42:43], s[42:43], 3
	s_add_u32 s42, s36, s42
	v_mov_b32_e32 v2, 1
	s_addc_u32 s43, s37, s43
	s_waitcnt lgkmcnt(0)
	global_store_dwordx2 v19, v[1:2], s[42:43]
.LBB262_44:
	s_or_b64 exec, exec, s[40:41]
	v_xad_u32 v15, v50, -1, s6
	v_add_u32_e32 v18, 64, v15
	v_lshlrev_b64 v[16:17], 3, v[18:19]
	v_mov_b32_e32 v2, s37
	v_add_co_u32_e32 v20, vcc, s36, v16
	v_addc_co_u32_e32 v21, vcc, v2, v17, vcc
	global_load_dwordx2 v[17:18], v[20:21], off glc
	s_waitcnt vmcnt(0)
	v_cmp_eq_u16_sdwa s[42:43], v18, v19 src0_sel:BYTE_0 src1_sel:DWORD
	s_and_saveexec_b64 s[40:41], s[42:43]
	s_cbranch_execz .LBB262_48
; %bb.45:
	s_mov_b64 s[42:43], 0
	v_mov_b32_e32 v2, 0
.LBB262_46:                             ; =>This Inner Loop Header: Depth=1
	global_load_dwordx2 v[17:18], v[20:21], off glc
	s_waitcnt vmcnt(0)
	v_cmp_ne_u16_sdwa s[46:47], v18, v2 src0_sel:BYTE_0 src1_sel:DWORD
	s_or_b64 s[42:43], s[46:47], s[42:43]
	s_andn2_b64 exec, exec, s[42:43]
	s_cbranch_execnz .LBB262_46
; %bb.47:
	s_or_b64 exec, exec, s[42:43]
.LBB262_48:
	s_or_b64 exec, exec, s[40:41]
	v_and_b32_e32 v56, 63, v50
	v_mov_b32_e32 v55, 2
	v_lshlrev_b64 v[19:20], v50, -1
	v_cmp_ne_u32_e32 vcc, 63, v56
	v_cmp_eq_u16_sdwa s[40:41], v18, v55 src0_sel:BYTE_0 src1_sel:DWORD
	v_addc_co_u32_e32 v21, vcc, 0, v50, vcc
	v_and_b32_e32 v2, s41, v20
	v_lshlrev_b32_e32 v57, 2, v21
	v_or_b32_e32 v2, 0x80000000, v2
	ds_bpermute_b32 v21, v57, v17
	v_and_b32_e32 v16, s40, v19
	v_ffbl_b32_e32 v2, v2
	v_add_u32_e32 v2, 32, v2
	v_ffbl_b32_e32 v16, v16
	v_min_u32_e32 v2, v16, v2
	v_cmp_lt_u32_e32 vcc, v56, v2
	s_waitcnt lgkmcnt(0)
	v_cndmask_b32_e32 v16, 0, v21, vcc
	v_cmp_gt_u32_e32 vcc, 62, v56
	v_add_u32_e32 v16, v16, v17
	v_cndmask_b32_e64 v17, 0, 2, vcc
	v_add_lshl_u32 v58, v17, v50, 2
	ds_bpermute_b32 v17, v58, v16
	v_add_u32_e32 v59, 2, v56
	v_cmp_le_u32_e32 vcc, v59, v2
	v_add_u32_e32 v61, 4, v56
	v_add_u32_e32 v63, 8, v56
	s_waitcnt lgkmcnt(0)
	v_cndmask_b32_e32 v17, 0, v17, vcc
	v_cmp_gt_u32_e32 vcc, 60, v56
	v_add_u32_e32 v16, v16, v17
	v_cndmask_b32_e64 v17, 0, 4, vcc
	v_add_lshl_u32 v60, v17, v50, 2
	ds_bpermute_b32 v17, v60, v16
	v_cmp_le_u32_e32 vcc, v61, v2
	v_add_u32_e32 v65, 16, v56
	v_add_u32_e32 v67, 32, v56
	s_waitcnt lgkmcnt(0)
	v_cndmask_b32_e32 v17, 0, v17, vcc
	v_cmp_gt_u32_e32 vcc, 56, v56
	v_add_u32_e32 v16, v16, v17
	v_cndmask_b32_e64 v17, 0, 8, vcc
	v_add_lshl_u32 v62, v17, v50, 2
	ds_bpermute_b32 v17, v62, v16
	v_cmp_le_u32_e32 vcc, v63, v2
	s_waitcnt lgkmcnt(0)
	v_cndmask_b32_e32 v17, 0, v17, vcc
	v_cmp_gt_u32_e32 vcc, 48, v56
	v_add_u32_e32 v16, v16, v17
	v_cndmask_b32_e64 v17, 0, 16, vcc
	v_add_lshl_u32 v64, v17, v50, 2
	ds_bpermute_b32 v17, v64, v16
	v_cmp_le_u32_e32 vcc, v65, v2
	s_waitcnt lgkmcnt(0)
	v_cndmask_b32_e32 v17, 0, v17, vcc
	v_add_u32_e32 v16, v16, v17
	v_mov_b32_e32 v17, 0x80
	v_lshl_or_b32 v66, v50, 2, v17
	ds_bpermute_b32 v17, v66, v16
	v_cmp_le_u32_e32 vcc, v67, v2
	s_waitcnt lgkmcnt(0)
	v_cndmask_b32_e32 v2, 0, v17, vcc
	v_add_u32_e32 v17, v16, v2
	v_mov_b32_e32 v16, 0
	s_branch .LBB262_52
.LBB262_49:                             ;   in Loop: Header=BB262_52 Depth=1
	s_or_b64 exec, exec, s[42:43]
.LBB262_50:                             ;   in Loop: Header=BB262_52 Depth=1
	s_or_b64 exec, exec, s[40:41]
	v_cmp_eq_u16_sdwa s[40:41], v18, v55 src0_sel:BYTE_0 src1_sel:DWORD
	v_and_b32_e32 v21, s41, v20
	v_or_b32_e32 v21, 0x80000000, v21
	ds_bpermute_b32 v68, v57, v17
	v_and_b32_e32 v22, s40, v19
	v_ffbl_b32_e32 v21, v21
	v_add_u32_e32 v21, 32, v21
	v_ffbl_b32_e32 v22, v22
	v_min_u32_e32 v21, v22, v21
	v_cmp_lt_u32_e32 vcc, v56, v21
	s_waitcnt lgkmcnt(0)
	v_cndmask_b32_e32 v22, 0, v68, vcc
	v_add_u32_e32 v17, v22, v17
	ds_bpermute_b32 v22, v58, v17
	v_cmp_le_u32_e32 vcc, v59, v21
	v_subrev_u32_e32 v15, 64, v15
	s_mov_b64 s[40:41], 0
	s_waitcnt lgkmcnt(0)
	v_cndmask_b32_e32 v22, 0, v22, vcc
	v_add_u32_e32 v17, v17, v22
	ds_bpermute_b32 v22, v60, v17
	v_cmp_le_u32_e32 vcc, v61, v21
	s_waitcnt lgkmcnt(0)
	v_cndmask_b32_e32 v22, 0, v22, vcc
	v_add_u32_e32 v17, v17, v22
	ds_bpermute_b32 v22, v62, v17
	v_cmp_le_u32_e32 vcc, v63, v21
	;; [unrolled: 5-line block ×4, first 2 shown]
	s_waitcnt lgkmcnt(0)
	v_cndmask_b32_e32 v21, 0, v22, vcc
	v_add3_u32 v17, v21, v2, v17
.LBB262_51:                             ;   in Loop: Header=BB262_52 Depth=1
	s_and_b64 vcc, exec, s[40:41]
	s_cbranch_vccnz .LBB262_57
.LBB262_52:                             ; =>This Loop Header: Depth=1
                                        ;     Child Loop BB262_55 Depth 2
	v_cmp_ne_u16_sdwa s[40:41], v18, v55 src0_sel:BYTE_0 src1_sel:DWORD
	v_mov_b32_e32 v2, v17
	s_cmp_lg_u64 s[40:41], exec
	s_mov_b64 s[40:41], -1
                                        ; implicit-def: $vgpr17
                                        ; implicit-def: $vgpr18
	s_cbranch_scc1 .LBB262_51
; %bb.53:                               ;   in Loop: Header=BB262_52 Depth=1
	v_lshlrev_b64 v[17:18], 3, v[15:16]
	v_mov_b32_e32 v22, s37
	v_add_co_u32_e32 v21, vcc, s36, v17
	v_addc_co_u32_e32 v22, vcc, v22, v18, vcc
	global_load_dwordx2 v[17:18], v[21:22], off glc
	s_waitcnt vmcnt(0)
	v_cmp_eq_u16_sdwa s[42:43], v18, v16 src0_sel:BYTE_0 src1_sel:DWORD
	s_and_saveexec_b64 s[40:41], s[42:43]
	s_cbranch_execz .LBB262_50
; %bb.54:                               ;   in Loop: Header=BB262_52 Depth=1
	s_mov_b64 s[42:43], 0
.LBB262_55:                             ;   Parent Loop BB262_52 Depth=1
                                        ; =>  This Inner Loop Header: Depth=2
	global_load_dwordx2 v[17:18], v[21:22], off glc
	s_waitcnt vmcnt(0)
	v_cmp_ne_u16_sdwa s[46:47], v18, v16 src0_sel:BYTE_0 src1_sel:DWORD
	s_or_b64 s[42:43], s[46:47], s[42:43]
	s_andn2_b64 exec, exec, s[42:43]
	s_cbranch_execnz .LBB262_55
	s_branch .LBB262_49
.LBB262_56:
                                        ; implicit-def: $vgpr2
                                        ; implicit-def: $vgpr15
	s_cbranch_execnz .LBB262_62
	s_branch .LBB262_71
.LBB262_57:
	s_and_saveexec_b64 s[40:41], s[16:17]
	s_cbranch_execz .LBB262_59
; %bb.58:
	s_add_i32 s6, s6, 64
	s_mov_b32 s7, 0
	s_lshl_b64 s[6:7], s[6:7], 3
	s_add_u32 s6, s36, s6
	v_add_u32_e32 v15, v2, v1
	v_mov_b32_e32 v16, 2
	s_addc_u32 s7, s37, s7
	v_mov_b32_e32 v17, 0
	global_store_dwordx2 v17, v[15:16], s[6:7]
	ds_write_b64 v17, v[1:2] offset:13312
.LBB262_59:
	s_or_b64 exec, exec, s[40:41]
	v_cmp_eq_u32_e32 vcc, 0, v0
	s_and_b64 exec, exec, vcc
; %bb.60:
	v_mov_b32_e32 v1, 0
	ds_write_b32 v1, v2 offset:12
.LBB262_61:
	s_or_b64 exec, exec, s[20:21]
	v_mov_b32_e32 v1, 0
	s_waitcnt vmcnt(0) lgkmcnt(0)
	s_barrier
	ds_read_b32 v16, v1 offset:12
	s_waitcnt lgkmcnt(0)
	s_barrier
	ds_read_b64 v[1:2], v1 offset:13312
	v_cndmask_b32_e64 v15, v54, v53, s[16:17]
	v_cmp_ne_u32_e32 vcc, 0, v0
	v_cndmask_b32_e32 v15, 0, v15, vcc
	v_add_u32_e32 v15, v16, v15
	s_branch .LBB262_71
.LBB262_62:
	s_waitcnt lgkmcnt(0)
	v_mov_b32_dpp v1, v52 row_shr:1 row_mask:0xf bank_mask:0xf
	v_cndmask_b32_e64 v1, v1, 0, s[14:15]
	v_add_u32_e32 v1, v1, v52
	s_nop 1
	v_mov_b32_dpp v2, v1 row_shr:2 row_mask:0xf bank_mask:0xf
	v_cndmask_b32_e64 v2, 0, v2, s[12:13]
	v_add_u32_e32 v1, v1, v2
	s_nop 1
	;; [unrolled: 4-line block ×4, first 2 shown]
	v_mov_b32_dpp v2, v1 row_bcast:15 row_mask:0xf bank_mask:0xf
	v_cndmask_b32_e64 v2, v2, 0, s[18:19]
	v_add_u32_e32 v1, v1, v2
	s_nop 1
	v_mov_b32_dpp v2, v1 row_bcast:31 row_mask:0xf bank_mask:0xf
	v_cndmask_b32_e64 v2, 0, v2, s[2:3]
	v_add_u32_e32 v1, v1, v2
	s_and_saveexec_b64 s[2:3], s[4:5]
; %bb.63:
	v_lshlrev_b32_e32 v2, 2, v51
	ds_write_b32 v2, v1
; %bb.64:
	s_or_b64 exec, exec, s[2:3]
	v_cmp_gt_u32_e32 vcc, 4, v0
	s_waitcnt lgkmcnt(0)
	s_barrier
	s_and_saveexec_b64 s[2:3], vcc
	s_cbranch_execz .LBB262_66
; %bb.65:
	ds_read_b32 v2, v23
	v_and_b32_e32 v15, 3, v50
	v_cmp_ne_u32_e32 vcc, 0, v15
	s_waitcnt lgkmcnt(0)
	v_mov_b32_dpp v16, v2 row_shr:1 row_mask:0xf bank_mask:0xf
	v_cndmask_b32_e32 v16, 0, v16, vcc
	v_add_u32_e32 v2, v16, v2
	v_cmp_lt_u32_e32 vcc, 1, v15
	s_nop 0
	v_mov_b32_dpp v16, v2 row_shr:2 row_mask:0xf bank_mask:0xf
	v_cndmask_b32_e32 v15, 0, v16, vcc
	v_add_u32_e32 v2, v2, v15
	ds_write_b32 v23, v2
.LBB262_66:
	s_or_b64 exec, exec, s[2:3]
	v_cmp_lt_u32_e32 vcc, 63, v0
	v_mov_b32_e32 v2, 0
	v_mov_b32_e32 v15, 0
	s_waitcnt lgkmcnt(0)
	s_barrier
	s_and_saveexec_b64 s[2:3], vcc
; %bb.67:
	v_lshl_add_u32 v15, v51, 2, -4
	ds_read_b32 v15, v15
; %bb.68:
	s_or_b64 exec, exec, s[2:3]
	v_subrev_co_u32_e32 v16, vcc, 1, v50
	v_and_b32_e32 v17, 64, v50
	v_cmp_lt_i32_e64 s[2:3], v16, v17
	v_cndmask_b32_e64 v16, v16, v50, s[2:3]
	s_waitcnt lgkmcnt(0)
	v_add_u32_e32 v1, v15, v1
	v_lshlrev_b32_e32 v16, 2, v16
	ds_bpermute_b32 v16, v16, v1
	ds_read_b32 v1, v2 offset:12
	v_cmp_eq_u32_e64 s[2:3], 0, v0
	s_and_saveexec_b64 s[4:5], s[2:3]
	s_cbranch_execz .LBB262_70
; %bb.69:
	v_mov_b32_e32 v17, 0
	v_mov_b32_e32 v2, 2
	s_waitcnt lgkmcnt(0)
	global_store_dwordx2 v17, v[1:2], s[36:37] offset:512
.LBB262_70:
	s_or_b64 exec, exec, s[4:5]
	s_waitcnt lgkmcnt(1)
	v_cndmask_b32_e32 v2, v16, v15, vcc
	v_cndmask_b32_e64 v15, v2, 0, s[2:3]
	s_waitcnt vmcnt(0) lgkmcnt(0)
	s_barrier
	v_mov_b32_e32 v2, 0
.LBB262_71:
	v_add_u32_e32 v16, v15, v39
	v_add_u32_e32 v17, v16, v40
	;; [unrolled: 1-line block ×4, first 2 shown]
	s_waitcnt lgkmcnt(0)
	v_add_u32_e32 v25, v1, v25
	v_sub_u32_e32 v15, v15, v2
	v_and_b32_e32 v26, 1, v26
	v_add_u32_e32 v20, v19, v43
	v_sub_u32_e32 v43, v25, v15
	v_cmp_eq_u32_e32 vcc, 1, v26
	v_cndmask_b32_e32 v15, v43, v15, vcc
	v_lshlrev_b32_e32 v15, 2, v15
	ds_write_b32 v15, v13
	v_sub_u32_e32 v13, v16, v2
	v_sub_u32_e32 v15, v25, v13
	v_and_b32_e32 v16, 1, v27
	v_add_u32_e32 v15, 1, v15
	v_cmp_eq_u32_e32 vcc, 1, v16
	v_cndmask_b32_e32 v13, v15, v13, vcc
	v_lshlrev_b32_e32 v13, 2, v13
	ds_write_b32 v13, v14
	v_sub_u32_e32 v13, v17, v2
	v_sub_u32_e32 v14, v25, v13
	v_and_b32_e32 v15, 1, v28
	v_add_u32_e32 v14, 2, v14
	;; [unrolled: 8-line block ×5, first 2 shown]
	v_cmp_eq_u32_e32 vcc, 1, v12
	v_cndmask_b32_e32 v9, v11, v9, vcc
	v_add_u32_e32 v21, v20, v44
	v_lshlrev_b32_e32 v9, 2, v9
	ds_write_b32 v9, v10
	v_sub_u32_e32 v9, v21, v2
	v_sub_u32_e32 v10, v25, v9
	v_and_b32_e32 v11, 1, v32
	v_add_u32_e32 v10, 6, v10
	v_cmp_eq_u32_e32 vcc, 1, v11
	v_cndmask_b32_e32 v9, v10, v9, vcc
	v_add_u32_e32 v22, v21, v45
	v_lshlrev_b32_e32 v9, 2, v9
	ds_write_b32 v9, v7
	v_sub_u32_e32 v7, v22, v2
	v_sub_u32_e32 v9, v25, v7
	v_and_b32_e32 v10, 1, v33
	v_add_u32_e32 v9, 7, v9
	;; [unrolled: 9-line block ×6, first 2 shown]
	v_cmp_eq_u32_e32 vcc, 1, v6
	v_cndmask_b32_e32 v3, v5, v3, vcc
	v_lshlrev_b32_e32 v3, 2, v3
	ds_write_b32 v3, v4
	v_sub_u32_e32 v3, v38, v2
	v_add_u32_e32 v3, v42, v3
	v_sub_u32_e32 v4, v25, v3
	v_add_u32_e32 v4, 12, v4
	v_cndmask_b32_e64 v3, v4, v3, s[38:39]
	v_lshlrev_b32_e32 v3, 2, v3
	ds_write_b32 v3, v24
	s_waitcnt lgkmcnt(0)
	s_barrier
	ds_read2st64_b32 v[13:14], v23 offset1:4
	ds_read2st64_b32 v[11:12], v23 offset0:8 offset1:12
	ds_read2st64_b32 v[9:10], v23 offset0:16 offset1:20
	;; [unrolled: 1-line block ×5, first 2 shown]
	ds_read_b32 v19, v23 offset:12288
	v_mov_b32_e32 v15, s35
	s_and_b64 vcc, exec, s[0:1]
	v_add_co_u32_e64 v17, s[0:1], s34, v2
	v_or_b32_e32 v33, 0x100, v0
	v_or_b32_e32 v31, 0x200, v0
	;; [unrolled: 1-line block ×12, first 2 shown]
	v_addc_co_u32_e64 v18, s[0:1], 0, v15, s[0:1]
	s_cbranch_vccnz .LBB262_125
; %bb.72:
	v_mov_b32_e32 v2, s31
	v_subrev_co_u32_e32 v15, vcc, s30, v17
	s_sub_u32 s0, s28, s44
	v_subb_co_u32_e32 v16, vcc, v18, v2, vcc
	s_subb_u32 s1, s29, 0
	v_mov_b32_e32 v2, s1
	v_add_co_u32_e32 v23, vcc, s0, v1
	v_addc_co_u32_e32 v32, vcc, 0, v2, vcc
	v_add_co_u32_e32 v2, vcc, v23, v15
	v_addc_co_u32_e32 v23, vcc, v32, v16, vcc
	v_cmp_ge_u32_e32 vcc, v0, v1
                                        ; implicit-def: $vgpr15_vgpr16
	s_and_saveexec_b64 s[0:1], vcc
	s_xor_b64 s[0:1], exec, s[0:1]
; %bb.73:
	v_not_b32_e32 v15, v0
	v_ashrrev_i32_e32 v16, 31, v15
	v_add_co_u32_e32 v15, vcc, v2, v15
	v_addc_co_u32_e32 v16, vcc, v23, v16, vcc
; %bb.74:
	s_andn2_saveexec_b64 s[0:1], s[0:1]
; %bb.75:
	v_add_co_u32_e32 v15, vcc, v17, v0
	v_addc_co_u32_e32 v16, vcc, 0, v18, vcc
; %bb.76:
	s_or_b64 exec, exec, s[0:1]
	v_lshlrev_b64 v[15:16], 2, v[15:16]
	v_mov_b32_e32 v32, s27
	v_add_co_u32_e32 v15, vcc, s26, v15
	v_addc_co_u32_e32 v16, vcc, v32, v16, vcc
	v_cmp_ge_u32_e32 vcc, v33, v1
	s_waitcnt lgkmcnt(6)
	global_store_dword v[15:16], v13, off
                                        ; implicit-def: $vgpr15_vgpr16
	s_and_saveexec_b64 s[0:1], vcc
	s_xor_b64 s[0:1], exec, s[0:1]
; %bb.77:
	v_xor_b32_e32 v15, 0xfffffeff, v0
	v_ashrrev_i32_e32 v16, 31, v15
	v_add_co_u32_e32 v15, vcc, v2, v15
	v_addc_co_u32_e32 v16, vcc, v23, v16, vcc
; %bb.78:
	s_andn2_saveexec_b64 s[0:1], s[0:1]
; %bb.79:
	v_add_co_u32_e32 v15, vcc, v17, v33
	v_addc_co_u32_e32 v16, vcc, 0, v18, vcc
; %bb.80:
	s_or_b64 exec, exec, s[0:1]
	v_lshlrev_b64 v[15:16], 2, v[15:16]
	v_mov_b32_e32 v32, s27
	v_add_co_u32_e32 v15, vcc, s26, v15
	v_addc_co_u32_e32 v16, vcc, v32, v16, vcc
	v_cmp_ge_u32_e32 vcc, v31, v1
	global_store_dword v[15:16], v14, off
                                        ; implicit-def: $vgpr15_vgpr16
	s_and_saveexec_b64 s[0:1], vcc
	s_xor_b64 s[0:1], exec, s[0:1]
; %bb.81:
	v_xor_b32_e32 v15, 0xfffffdff, v0
	v_ashrrev_i32_e32 v16, 31, v15
	v_add_co_u32_e32 v15, vcc, v2, v15
	v_addc_co_u32_e32 v16, vcc, v23, v16, vcc
; %bb.82:
	s_andn2_saveexec_b64 s[0:1], s[0:1]
; %bb.83:
	v_add_co_u32_e32 v15, vcc, v17, v31
	v_addc_co_u32_e32 v16, vcc, 0, v18, vcc
; %bb.84:
	s_or_b64 exec, exec, s[0:1]
	v_lshlrev_b64 v[15:16], 2, v[15:16]
	v_mov_b32_e32 v32, s27
	v_add_co_u32_e32 v15, vcc, s26, v15
	v_addc_co_u32_e32 v16, vcc, v32, v16, vcc
	v_cmp_ge_u32_e32 vcc, v30, v1
	s_waitcnt lgkmcnt(5)
	global_store_dword v[15:16], v11, off
                                        ; implicit-def: $vgpr15_vgpr16
	s_and_saveexec_b64 s[0:1], vcc
	s_xor_b64 s[0:1], exec, s[0:1]
; %bb.85:
	v_xor_b32_e32 v15, 0xfffffcff, v0
	v_ashrrev_i32_e32 v16, 31, v15
	v_add_co_u32_e32 v15, vcc, v2, v15
	v_addc_co_u32_e32 v16, vcc, v23, v16, vcc
; %bb.86:
	s_andn2_saveexec_b64 s[0:1], s[0:1]
; %bb.87:
	v_add_co_u32_e32 v15, vcc, v17, v30
	v_addc_co_u32_e32 v16, vcc, 0, v18, vcc
; %bb.88:
	s_or_b64 exec, exec, s[0:1]
	v_lshlrev_b64 v[15:16], 2, v[15:16]
	v_mov_b32_e32 v32, s27
	v_add_co_u32_e32 v15, vcc, s26, v15
	v_addc_co_u32_e32 v16, vcc, v32, v16, vcc
	v_cmp_ge_u32_e32 vcc, v29, v1
	global_store_dword v[15:16], v12, off
                                        ; implicit-def: $vgpr15_vgpr16
	s_and_saveexec_b64 s[0:1], vcc
	s_xor_b64 s[0:1], exec, s[0:1]
; %bb.89:
	v_xor_b32_e32 v15, 0xfffffbff, v0
	;; [unrolled: 43-line block ×6, first 2 shown]
	v_ashrrev_i32_e32 v16, 31, v15
	v_add_co_u32_e32 v15, vcc, v2, v15
	v_addc_co_u32_e32 v16, vcc, v23, v16, vcc
; %bb.122:
	s_andn2_saveexec_b64 s[0:1], s[0:1]
; %bb.123:
	v_add_co_u32_e32 v15, vcc, v17, v20
	v_addc_co_u32_e32 v16, vcc, 0, v18, vcc
; %bb.124:
	s_or_b64 exec, exec, s[0:1]
	s_mov_b64 s[0:1], -1
	s_branch .LBB262_205
.LBB262_125:
	s_mov_b64 s[0:1], 0
                                        ; implicit-def: $vgpr15_vgpr16
	s_cbranch_execz .LBB262_205
; %bb.126:
	s_add_u32 s2, s30, s44
	s_addc_u32 s3, s31, 0
	s_sub_u32 s2, s28, s2
	s_subb_u32 s3, s29, s3
	v_mov_b32_e32 v2, s3
	v_add_co_u32_e32 v15, vcc, s2, v1
	v_addc_co_u32_e32 v2, vcc, 0, v2, vcc
	v_add_co_u32_e32 v23, vcc, v15, v17
	v_addc_co_u32_e32 v32, vcc, v2, v18, vcc
	v_cmp_gt_u32_e32 vcc, s33, v0
	s_and_saveexec_b64 s[2:3], vcc
	s_cbranch_execz .LBB262_162
; %bb.127:
	v_cmp_ge_u32_e32 vcc, v0, v1
                                        ; implicit-def: $vgpr15_vgpr16
	s_and_saveexec_b64 s[4:5], vcc
	s_xor_b64 s[4:5], exec, s[4:5]
; %bb.128:
	v_not_b32_e32 v2, v0
	v_ashrrev_i32_e32 v16, 31, v2
	v_add_co_u32_e32 v15, vcc, v23, v2
	v_addc_co_u32_e32 v16, vcc, v32, v16, vcc
; %bb.129:
	s_andn2_saveexec_b64 s[4:5], s[4:5]
; %bb.130:
	v_add_co_u32_e32 v15, vcc, v17, v0
	v_addc_co_u32_e32 v16, vcc, 0, v18, vcc
; %bb.131:
	s_or_b64 exec, exec, s[4:5]
	v_lshlrev_b64 v[15:16], 2, v[15:16]
	v_mov_b32_e32 v2, s27
	v_add_co_u32_e32 v15, vcc, s26, v15
	v_addc_co_u32_e32 v16, vcc, v2, v16, vcc
	s_waitcnt lgkmcnt(6)
	global_store_dword v[15:16], v13, off
	s_or_b64 exec, exec, s[2:3]
	v_cmp_gt_u32_e32 vcc, s33, v33
	s_and_saveexec_b64 s[2:3], vcc
	s_cbranch_execnz .LBB262_163
.LBB262_132:
	s_or_b64 exec, exec, s[2:3]
	v_cmp_gt_u32_e32 vcc, s33, v31
	s_and_saveexec_b64 s[2:3], vcc
	s_cbranch_execz .LBB262_168
.LBB262_133:
	v_cmp_ge_u32_e32 vcc, v31, v1
                                        ; implicit-def: $vgpr13_vgpr14
	s_and_saveexec_b64 s[4:5], vcc
	s_xor_b64 s[4:5], exec, s[4:5]
	s_cbranch_execz .LBB262_135
; %bb.134:
	v_xor_b32_e32 v2, 0xfffffdff, v0
	s_waitcnt lgkmcnt(6)
	v_ashrrev_i32_e32 v14, 31, v2
	v_add_co_u32_e32 v13, vcc, v23, v2
	v_addc_co_u32_e32 v14, vcc, v32, v14, vcc
                                        ; implicit-def: $vgpr31
.LBB262_135:
	s_andn2_saveexec_b64 s[4:5], s[4:5]
	s_cbranch_execz .LBB262_137
; %bb.136:
	s_waitcnt lgkmcnt(6)
	v_add_co_u32_e32 v13, vcc, v17, v31
	v_addc_co_u32_e32 v14, vcc, 0, v18, vcc
.LBB262_137:
	s_or_b64 exec, exec, s[4:5]
	s_waitcnt lgkmcnt(6)
	v_lshlrev_b64 v[13:14], 2, v[13:14]
	v_mov_b32_e32 v2, s27
	v_add_co_u32_e32 v13, vcc, s26, v13
	v_addc_co_u32_e32 v14, vcc, v2, v14, vcc
	s_waitcnt lgkmcnt(5)
	global_store_dword v[13:14], v11, off
	s_or_b64 exec, exec, s[2:3]
	v_cmp_gt_u32_e32 vcc, s33, v30
	s_and_saveexec_b64 s[2:3], vcc
	s_cbranch_execnz .LBB262_169
.LBB262_138:
	s_or_b64 exec, exec, s[2:3]
	v_cmp_gt_u32_e32 vcc, s33, v29
	s_and_saveexec_b64 s[2:3], vcc
	s_cbranch_execz .LBB262_174
.LBB262_139:
	v_cmp_ge_u32_e32 vcc, v29, v1
                                        ; implicit-def: $vgpr11_vgpr12
	s_and_saveexec_b64 s[4:5], vcc
	s_xor_b64 s[4:5], exec, s[4:5]
	s_cbranch_execz .LBB262_141
; %bb.140:
	v_xor_b32_e32 v2, 0xfffffbff, v0
	s_waitcnt lgkmcnt(5)
	v_ashrrev_i32_e32 v12, 31, v2
	v_add_co_u32_e32 v11, vcc, v23, v2
	v_addc_co_u32_e32 v12, vcc, v32, v12, vcc
                                        ; implicit-def: $vgpr29
.LBB262_141:
	s_andn2_saveexec_b64 s[4:5], s[4:5]
	s_cbranch_execz .LBB262_143
; %bb.142:
	s_waitcnt lgkmcnt(5)
	v_add_co_u32_e32 v11, vcc, v17, v29
	v_addc_co_u32_e32 v12, vcc, 0, v18, vcc
.LBB262_143:
	s_or_b64 exec, exec, s[4:5]
	s_waitcnt lgkmcnt(5)
	v_lshlrev_b64 v[11:12], 2, v[11:12]
	v_mov_b32_e32 v2, s27
	v_add_co_u32_e32 v11, vcc, s26, v11
	v_addc_co_u32_e32 v12, vcc, v2, v12, vcc
	s_waitcnt lgkmcnt(4)
	global_store_dword v[11:12], v9, off
	s_or_b64 exec, exec, s[2:3]
	v_cmp_gt_u32_e32 vcc, s33, v28
	s_and_saveexec_b64 s[2:3], vcc
	s_cbranch_execnz .LBB262_175
.LBB262_144:
	s_or_b64 exec, exec, s[2:3]
	v_cmp_gt_u32_e32 vcc, s33, v27
	s_and_saveexec_b64 s[2:3], vcc
	s_cbranch_execz .LBB262_180
.LBB262_145:
	v_cmp_ge_u32_e32 vcc, v27, v1
                                        ; implicit-def: $vgpr9_vgpr10
	s_and_saveexec_b64 s[4:5], vcc
	s_xor_b64 s[4:5], exec, s[4:5]
	s_cbranch_execz .LBB262_147
; %bb.146:
	v_xor_b32_e32 v2, 0xfffff9ff, v0
	s_waitcnt lgkmcnt(4)
	v_ashrrev_i32_e32 v10, 31, v2
	v_add_co_u32_e32 v9, vcc, v23, v2
	v_addc_co_u32_e32 v10, vcc, v32, v10, vcc
                                        ; implicit-def: $vgpr27
.LBB262_147:
	s_andn2_saveexec_b64 s[4:5], s[4:5]
	s_cbranch_execz .LBB262_149
; %bb.148:
	s_waitcnt lgkmcnt(4)
	v_add_co_u32_e32 v9, vcc, v17, v27
	v_addc_co_u32_e32 v10, vcc, 0, v18, vcc
.LBB262_149:
	s_or_b64 exec, exec, s[4:5]
	s_waitcnt lgkmcnt(4)
	v_lshlrev_b64 v[9:10], 2, v[9:10]
	v_mov_b32_e32 v2, s27
	v_add_co_u32_e32 v9, vcc, s26, v9
	v_addc_co_u32_e32 v10, vcc, v2, v10, vcc
	s_waitcnt lgkmcnt(3)
	global_store_dword v[9:10], v7, off
	s_or_b64 exec, exec, s[2:3]
	v_cmp_gt_u32_e32 vcc, s33, v26
	s_and_saveexec_b64 s[2:3], vcc
	s_cbranch_execnz .LBB262_181
.LBB262_150:
	s_or_b64 exec, exec, s[2:3]
	v_cmp_gt_u32_e32 vcc, s33, v25
	s_and_saveexec_b64 s[2:3], vcc
	s_cbranch_execz .LBB262_186
.LBB262_151:
	v_cmp_ge_u32_e32 vcc, v25, v1
                                        ; implicit-def: $vgpr7_vgpr8
	s_and_saveexec_b64 s[4:5], vcc
	s_xor_b64 s[4:5], exec, s[4:5]
	s_cbranch_execz .LBB262_153
; %bb.152:
	v_xor_b32_e32 v2, 0xfffff7ff, v0
	s_waitcnt lgkmcnt(3)
	v_ashrrev_i32_e32 v8, 31, v2
	v_add_co_u32_e32 v7, vcc, v23, v2
	v_addc_co_u32_e32 v8, vcc, v32, v8, vcc
                                        ; implicit-def: $vgpr25
.LBB262_153:
	s_andn2_saveexec_b64 s[4:5], s[4:5]
	s_cbranch_execz .LBB262_155
; %bb.154:
	s_waitcnt lgkmcnt(3)
	v_add_co_u32_e32 v7, vcc, v17, v25
	v_addc_co_u32_e32 v8, vcc, 0, v18, vcc
.LBB262_155:
	s_or_b64 exec, exec, s[4:5]
	s_waitcnt lgkmcnt(3)
	v_lshlrev_b64 v[7:8], 2, v[7:8]
	v_mov_b32_e32 v2, s27
	v_add_co_u32_e32 v7, vcc, s26, v7
	v_addc_co_u32_e32 v8, vcc, v2, v8, vcc
	s_waitcnt lgkmcnt(2)
	global_store_dword v[7:8], v5, off
	s_or_b64 exec, exec, s[2:3]
	v_cmp_gt_u32_e32 vcc, s33, v24
	s_and_saveexec_b64 s[2:3], vcc
	s_cbranch_execnz .LBB262_187
.LBB262_156:
	s_or_b64 exec, exec, s[2:3]
	v_cmp_gt_u32_e32 vcc, s33, v22
	s_and_saveexec_b64 s[2:3], vcc
	s_cbranch_execz .LBB262_192
.LBB262_157:
	v_cmp_ge_u32_e32 vcc, v22, v1
                                        ; implicit-def: $vgpr5_vgpr6
	s_and_saveexec_b64 s[4:5], vcc
	s_xor_b64 s[4:5], exec, s[4:5]
	s_cbranch_execz .LBB262_159
; %bb.158:
	v_xor_b32_e32 v2, 0xfffff5ff, v0
	s_waitcnt lgkmcnt(2)
	v_ashrrev_i32_e32 v6, 31, v2
	v_add_co_u32_e32 v5, vcc, v23, v2
	v_addc_co_u32_e32 v6, vcc, v32, v6, vcc
                                        ; implicit-def: $vgpr22
.LBB262_159:
	s_andn2_saveexec_b64 s[4:5], s[4:5]
	s_cbranch_execz .LBB262_161
; %bb.160:
	s_waitcnt lgkmcnt(2)
	v_add_co_u32_e32 v5, vcc, v17, v22
	v_addc_co_u32_e32 v6, vcc, 0, v18, vcc
.LBB262_161:
	s_or_b64 exec, exec, s[4:5]
	s_waitcnt lgkmcnt(2)
	v_lshlrev_b64 v[5:6], 2, v[5:6]
	v_mov_b32_e32 v2, s27
	v_add_co_u32_e32 v5, vcc, s26, v5
	v_addc_co_u32_e32 v6, vcc, v2, v6, vcc
	s_waitcnt lgkmcnt(1)
	global_store_dword v[5:6], v3, off
	s_or_b64 exec, exec, s[2:3]
	v_cmp_gt_u32_e32 vcc, s33, v21
	s_and_saveexec_b64 s[2:3], vcc
	s_cbranch_execz .LBB262_198
	s_branch .LBB262_193
.LBB262_162:
	s_or_b64 exec, exec, s[2:3]
	v_cmp_gt_u32_e32 vcc, s33, v33
	s_and_saveexec_b64 s[2:3], vcc
	s_cbranch_execz .LBB262_132
.LBB262_163:
	v_cmp_ge_u32_e32 vcc, v33, v1
                                        ; implicit-def: $vgpr15_vgpr16
	s_and_saveexec_b64 s[4:5], vcc
	s_xor_b64 s[4:5], exec, s[4:5]
	s_cbranch_execz .LBB262_165
; %bb.164:
	v_xor_b32_e32 v2, 0xfffffeff, v0
	s_waitcnt lgkmcnt(6)
	v_ashrrev_i32_e32 v13, 31, v2
	v_add_co_u32_e32 v15, vcc, v23, v2
	v_addc_co_u32_e32 v16, vcc, v32, v13, vcc
                                        ; implicit-def: $vgpr33
.LBB262_165:
	s_andn2_saveexec_b64 s[4:5], s[4:5]
; %bb.166:
	v_add_co_u32_e32 v15, vcc, v17, v33
	v_addc_co_u32_e32 v16, vcc, 0, v18, vcc
; %bb.167:
	s_or_b64 exec, exec, s[4:5]
	v_lshlrev_b64 v[15:16], 2, v[15:16]
	v_mov_b32_e32 v2, s27
	v_add_co_u32_e32 v15, vcc, s26, v15
	v_addc_co_u32_e32 v16, vcc, v2, v16, vcc
	s_waitcnt lgkmcnt(6)
	global_store_dword v[15:16], v14, off
	s_or_b64 exec, exec, s[2:3]
	v_cmp_gt_u32_e32 vcc, s33, v31
	s_and_saveexec_b64 s[2:3], vcc
	s_cbranch_execnz .LBB262_133
.LBB262_168:
	s_or_b64 exec, exec, s[2:3]
	v_cmp_gt_u32_e32 vcc, s33, v30
	s_and_saveexec_b64 s[2:3], vcc
	s_cbranch_execz .LBB262_138
.LBB262_169:
	v_cmp_ge_u32_e32 vcc, v30, v1
                                        ; implicit-def: $vgpr13_vgpr14
	s_and_saveexec_b64 s[4:5], vcc
	s_xor_b64 s[4:5], exec, s[4:5]
	s_cbranch_execz .LBB262_171
; %bb.170:
	v_xor_b32_e32 v2, 0xfffffcff, v0
	s_waitcnt lgkmcnt(5)
	v_ashrrev_i32_e32 v11, 31, v2
	v_add_co_u32_e32 v13, vcc, v23, v2
	v_addc_co_u32_e32 v14, vcc, v32, v11, vcc
                                        ; implicit-def: $vgpr30
.LBB262_171:
	s_andn2_saveexec_b64 s[4:5], s[4:5]
	s_cbranch_execz .LBB262_173
; %bb.172:
	s_waitcnt lgkmcnt(6)
	v_add_co_u32_e32 v13, vcc, v17, v30
	v_addc_co_u32_e32 v14, vcc, 0, v18, vcc
.LBB262_173:
	s_or_b64 exec, exec, s[4:5]
	s_waitcnt lgkmcnt(6)
	v_lshlrev_b64 v[13:14], 2, v[13:14]
	v_mov_b32_e32 v2, s27
	v_add_co_u32_e32 v13, vcc, s26, v13
	v_addc_co_u32_e32 v14, vcc, v2, v14, vcc
	s_waitcnt lgkmcnt(5)
	global_store_dword v[13:14], v12, off
	s_or_b64 exec, exec, s[2:3]
	v_cmp_gt_u32_e32 vcc, s33, v29
	s_and_saveexec_b64 s[2:3], vcc
	s_cbranch_execnz .LBB262_139
.LBB262_174:
	s_or_b64 exec, exec, s[2:3]
	v_cmp_gt_u32_e32 vcc, s33, v28
	s_and_saveexec_b64 s[2:3], vcc
	s_cbranch_execz .LBB262_144
.LBB262_175:
	v_cmp_ge_u32_e32 vcc, v28, v1
                                        ; implicit-def: $vgpr11_vgpr12
	s_and_saveexec_b64 s[4:5], vcc
	s_xor_b64 s[4:5], exec, s[4:5]
	s_cbranch_execz .LBB262_177
; %bb.176:
	v_xor_b32_e32 v2, 0xfffffaff, v0
	s_waitcnt lgkmcnt(4)
	v_ashrrev_i32_e32 v9, 31, v2
	v_add_co_u32_e32 v11, vcc, v23, v2
	v_addc_co_u32_e32 v12, vcc, v32, v9, vcc
                                        ; implicit-def: $vgpr28
.LBB262_177:
	s_andn2_saveexec_b64 s[4:5], s[4:5]
	s_cbranch_execz .LBB262_179
; %bb.178:
	s_waitcnt lgkmcnt(5)
	v_add_co_u32_e32 v11, vcc, v17, v28
	v_addc_co_u32_e32 v12, vcc, 0, v18, vcc
.LBB262_179:
	s_or_b64 exec, exec, s[4:5]
	s_waitcnt lgkmcnt(5)
	v_lshlrev_b64 v[11:12], 2, v[11:12]
	v_mov_b32_e32 v2, s27
	v_add_co_u32_e32 v11, vcc, s26, v11
	v_addc_co_u32_e32 v12, vcc, v2, v12, vcc
	s_waitcnt lgkmcnt(4)
	global_store_dword v[11:12], v10, off
	s_or_b64 exec, exec, s[2:3]
	v_cmp_gt_u32_e32 vcc, s33, v27
	s_and_saveexec_b64 s[2:3], vcc
	s_cbranch_execnz .LBB262_145
.LBB262_180:
	s_or_b64 exec, exec, s[2:3]
	v_cmp_gt_u32_e32 vcc, s33, v26
	s_and_saveexec_b64 s[2:3], vcc
	s_cbranch_execz .LBB262_150
.LBB262_181:
	v_cmp_ge_u32_e32 vcc, v26, v1
                                        ; implicit-def: $vgpr9_vgpr10
	s_and_saveexec_b64 s[4:5], vcc
	s_xor_b64 s[4:5], exec, s[4:5]
	s_cbranch_execz .LBB262_183
; %bb.182:
	v_xor_b32_e32 v2, 0xfffff8ff, v0
	s_waitcnt lgkmcnt(3)
	v_ashrrev_i32_e32 v7, 31, v2
	v_add_co_u32_e32 v9, vcc, v23, v2
	v_addc_co_u32_e32 v10, vcc, v32, v7, vcc
                                        ; implicit-def: $vgpr26
.LBB262_183:
	s_andn2_saveexec_b64 s[4:5], s[4:5]
	s_cbranch_execz .LBB262_185
; %bb.184:
	s_waitcnt lgkmcnt(4)
	v_add_co_u32_e32 v9, vcc, v17, v26
	v_addc_co_u32_e32 v10, vcc, 0, v18, vcc
.LBB262_185:
	s_or_b64 exec, exec, s[4:5]
	s_waitcnt lgkmcnt(4)
	v_lshlrev_b64 v[9:10], 2, v[9:10]
	v_mov_b32_e32 v2, s27
	v_add_co_u32_e32 v9, vcc, s26, v9
	v_addc_co_u32_e32 v10, vcc, v2, v10, vcc
	s_waitcnt lgkmcnt(3)
	global_store_dword v[9:10], v8, off
	s_or_b64 exec, exec, s[2:3]
	v_cmp_gt_u32_e32 vcc, s33, v25
	s_and_saveexec_b64 s[2:3], vcc
	s_cbranch_execnz .LBB262_151
.LBB262_186:
	s_or_b64 exec, exec, s[2:3]
	v_cmp_gt_u32_e32 vcc, s33, v24
	s_and_saveexec_b64 s[2:3], vcc
	s_cbranch_execz .LBB262_156
.LBB262_187:
	v_cmp_ge_u32_e32 vcc, v24, v1
                                        ; implicit-def: $vgpr7_vgpr8
	s_and_saveexec_b64 s[4:5], vcc
	s_xor_b64 s[4:5], exec, s[4:5]
	s_cbranch_execz .LBB262_189
; %bb.188:
	v_xor_b32_e32 v2, 0xfffff6ff, v0
	s_waitcnt lgkmcnt(2)
	v_ashrrev_i32_e32 v5, 31, v2
	v_add_co_u32_e32 v7, vcc, v23, v2
	v_addc_co_u32_e32 v8, vcc, v32, v5, vcc
                                        ; implicit-def: $vgpr24
.LBB262_189:
	s_andn2_saveexec_b64 s[4:5], s[4:5]
	s_cbranch_execz .LBB262_191
; %bb.190:
	s_waitcnt lgkmcnt(3)
	v_add_co_u32_e32 v7, vcc, v17, v24
	v_addc_co_u32_e32 v8, vcc, 0, v18, vcc
.LBB262_191:
	s_or_b64 exec, exec, s[4:5]
	s_waitcnt lgkmcnt(3)
	v_lshlrev_b64 v[7:8], 2, v[7:8]
	v_mov_b32_e32 v2, s27
	v_add_co_u32_e32 v7, vcc, s26, v7
	v_addc_co_u32_e32 v8, vcc, v2, v8, vcc
	s_waitcnt lgkmcnt(2)
	global_store_dword v[7:8], v6, off
	s_or_b64 exec, exec, s[2:3]
	v_cmp_gt_u32_e32 vcc, s33, v22
	s_and_saveexec_b64 s[2:3], vcc
	s_cbranch_execnz .LBB262_157
.LBB262_192:
	s_or_b64 exec, exec, s[2:3]
	v_cmp_gt_u32_e32 vcc, s33, v21
	s_and_saveexec_b64 s[2:3], vcc
	s_cbranch_execz .LBB262_198
.LBB262_193:
	v_cmp_ge_u32_e32 vcc, v21, v1
                                        ; implicit-def: $vgpr2_vgpr3
	s_and_saveexec_b64 s[4:5], vcc
	s_xor_b64 s[4:5], exec, s[4:5]
	s_cbranch_execz .LBB262_195
; %bb.194:
	v_xor_b32_e32 v2, 0xfffff4ff, v0
	s_waitcnt lgkmcnt(1)
	v_ashrrev_i32_e32 v3, 31, v2
	v_add_co_u32_e32 v2, vcc, v23, v2
	v_addc_co_u32_e32 v3, vcc, v32, v3, vcc
                                        ; implicit-def: $vgpr21
.LBB262_195:
	s_andn2_saveexec_b64 s[4:5], s[4:5]
	s_cbranch_execz .LBB262_197
; %bb.196:
	v_add_co_u32_e32 v2, vcc, v17, v21
	s_waitcnt lgkmcnt(1)
	v_addc_co_u32_e32 v3, vcc, 0, v18, vcc
.LBB262_197:
	s_or_b64 exec, exec, s[4:5]
	s_waitcnt lgkmcnt(1)
	v_lshlrev_b64 v[2:3], 2, v[2:3]
	v_mov_b32_e32 v5, s27
	v_add_co_u32_e32 v2, vcc, s26, v2
	v_addc_co_u32_e32 v3, vcc, v5, v3, vcc
	global_store_dword v[2:3], v4, off
.LBB262_198:
	s_or_b64 exec, exec, s[2:3]
	v_cmp_gt_u32_e32 vcc, s33, v20
                                        ; implicit-def: $vgpr15_vgpr16
	s_and_saveexec_b64 s[2:3], vcc
	s_cbranch_execz .LBB262_204
; %bb.199:
	v_cmp_ge_u32_e32 vcc, v20, v1
                                        ; implicit-def: $vgpr15_vgpr16
	s_and_saveexec_b64 s[4:5], vcc
	s_xor_b64 s[4:5], exec, s[4:5]
	s_cbranch_execz .LBB262_201
; %bb.200:
	v_xor_b32_e32 v2, 0xfffff3ff, v0
	s_waitcnt lgkmcnt(1)
	v_ashrrev_i32_e32 v3, 31, v2
	v_add_co_u32_e32 v15, vcc, v23, v2
	v_addc_co_u32_e32 v16, vcc, v32, v3, vcc
                                        ; implicit-def: $vgpr20
.LBB262_201:
	s_andn2_saveexec_b64 s[4:5], s[4:5]
; %bb.202:
	v_add_co_u32_e32 v15, vcc, v17, v20
	v_addc_co_u32_e32 v16, vcc, 0, v18, vcc
; %bb.203:
	s_or_b64 exec, exec, s[4:5]
	s_or_b64 s[0:1], s[0:1], exec
.LBB262_204:
	s_or_b64 exec, exec, s[2:3]
.LBB262_205:
	s_and_saveexec_b64 s[2:3], s[0:1]
	s_cbranch_execz .LBB262_207
; %bb.206:
	s_waitcnt lgkmcnt(1)
	v_lshlrev_b64 v[2:3], 2, v[15:16]
	v_mov_b32_e32 v4, s27
	v_add_co_u32_e32 v2, vcc, s26, v2
	v_addc_co_u32_e32 v3, vcc, v4, v3, vcc
	s_waitcnt lgkmcnt(0)
	global_store_dword v[2:3], v19, off
.LBB262_207:
	s_or_b64 exec, exec, s[2:3]
	v_cmp_eq_u32_e32 vcc, 0, v0
	s_and_b64 s[0:1], vcc, s[22:23]
	s_and_saveexec_b64 s[2:3], s[0:1]
	s_cbranch_execz .LBB262_209
; %bb.208:
	v_add_co_u32_e32 v0, vcc, v17, v1
	v_mov_b32_e32 v2, 0
	v_addc_co_u32_e32 v1, vcc, 0, v18, vcc
	global_store_dwordx2 v2, v[0:1], s[24:25]
.LBB262_209:
	s_endpgm
	.section	.rodata,"a",@progbits
	.p2align	6, 0x0
	.amdhsa_kernel _ZN7rocprim17ROCPRIM_400000_NS6detail17trampoline_kernelINS0_13select_configILj256ELj13ELNS0_17block_load_methodE3ELS4_3ELS4_3ELNS0_20block_scan_algorithmE0ELj4294967295EEENS1_25partition_config_selectorILNS1_17partition_subalgoE3EjNS0_10empty_typeEbEEZZNS1_14partition_implILS8_3ELb0ES6_jNS0_17counting_iteratorIjlEEPS9_SE_NS0_5tupleIJPjSE_EEENSF_IJSE_SE_EEES9_SG_JZNS1_25segmented_radix_sort_implINS0_14default_configELb1EPKaPaPKlPlN2at6native12_GLOBAL__N_18offset_tEEE10hipError_tPvRmT1_PNSt15iterator_traitsISY_E10value_typeET2_T3_PNSZ_IS14_E10value_typeET4_jRbjT5_S1A_jjP12ihipStream_tbEUljE_EEESV_SW_SX_S14_S18_S1A_T6_T7_T9_mT8_S1C_bDpT10_ENKUlT_T0_E_clISt17integral_constantIbLb0EES1P_EEDaS1K_S1L_EUlS1K_E_NS1_11comp_targetILNS1_3genE2ELNS1_11target_archE906ELNS1_3gpuE6ELNS1_3repE0EEENS1_30default_config_static_selectorELNS0_4arch9wavefront6targetE1EEEvSY_
		.amdhsa_group_segment_fixed_size 13320
		.amdhsa_private_segment_fixed_size 0
		.amdhsa_kernarg_size 144
		.amdhsa_user_sgpr_count 6
		.amdhsa_user_sgpr_private_segment_buffer 1
		.amdhsa_user_sgpr_dispatch_ptr 0
		.amdhsa_user_sgpr_queue_ptr 0
		.amdhsa_user_sgpr_kernarg_segment_ptr 1
		.amdhsa_user_sgpr_dispatch_id 0
		.amdhsa_user_sgpr_flat_scratch_init 0
		.amdhsa_user_sgpr_private_segment_size 0
		.amdhsa_uses_dynamic_stack 0
		.amdhsa_system_sgpr_private_segment_wavefront_offset 0
		.amdhsa_system_sgpr_workgroup_id_x 1
		.amdhsa_system_sgpr_workgroup_id_y 0
		.amdhsa_system_sgpr_workgroup_id_z 0
		.amdhsa_system_sgpr_workgroup_info 0
		.amdhsa_system_vgpr_workitem_id 0
		.amdhsa_next_free_vgpr 69
		.amdhsa_next_free_sgpr 98
		.amdhsa_reserve_vcc 1
		.amdhsa_reserve_flat_scratch 0
		.amdhsa_float_round_mode_32 0
		.amdhsa_float_round_mode_16_64 0
		.amdhsa_float_denorm_mode_32 3
		.amdhsa_float_denorm_mode_16_64 3
		.amdhsa_dx10_clamp 1
		.amdhsa_ieee_mode 1
		.amdhsa_fp16_overflow 0
		.amdhsa_exception_fp_ieee_invalid_op 0
		.amdhsa_exception_fp_denorm_src 0
		.amdhsa_exception_fp_ieee_div_zero 0
		.amdhsa_exception_fp_ieee_overflow 0
		.amdhsa_exception_fp_ieee_underflow 0
		.amdhsa_exception_fp_ieee_inexact 0
		.amdhsa_exception_int_div_zero 0
	.end_amdhsa_kernel
	.section	.text._ZN7rocprim17ROCPRIM_400000_NS6detail17trampoline_kernelINS0_13select_configILj256ELj13ELNS0_17block_load_methodE3ELS4_3ELS4_3ELNS0_20block_scan_algorithmE0ELj4294967295EEENS1_25partition_config_selectorILNS1_17partition_subalgoE3EjNS0_10empty_typeEbEEZZNS1_14partition_implILS8_3ELb0ES6_jNS0_17counting_iteratorIjlEEPS9_SE_NS0_5tupleIJPjSE_EEENSF_IJSE_SE_EEES9_SG_JZNS1_25segmented_radix_sort_implINS0_14default_configELb1EPKaPaPKlPlN2at6native12_GLOBAL__N_18offset_tEEE10hipError_tPvRmT1_PNSt15iterator_traitsISY_E10value_typeET2_T3_PNSZ_IS14_E10value_typeET4_jRbjT5_S1A_jjP12ihipStream_tbEUljE_EEESV_SW_SX_S14_S18_S1A_T6_T7_T9_mT8_S1C_bDpT10_ENKUlT_T0_E_clISt17integral_constantIbLb0EES1P_EEDaS1K_S1L_EUlS1K_E_NS1_11comp_targetILNS1_3genE2ELNS1_11target_archE906ELNS1_3gpuE6ELNS1_3repE0EEENS1_30default_config_static_selectorELNS0_4arch9wavefront6targetE1EEEvSY_,"axG",@progbits,_ZN7rocprim17ROCPRIM_400000_NS6detail17trampoline_kernelINS0_13select_configILj256ELj13ELNS0_17block_load_methodE3ELS4_3ELS4_3ELNS0_20block_scan_algorithmE0ELj4294967295EEENS1_25partition_config_selectorILNS1_17partition_subalgoE3EjNS0_10empty_typeEbEEZZNS1_14partition_implILS8_3ELb0ES6_jNS0_17counting_iteratorIjlEEPS9_SE_NS0_5tupleIJPjSE_EEENSF_IJSE_SE_EEES9_SG_JZNS1_25segmented_radix_sort_implINS0_14default_configELb1EPKaPaPKlPlN2at6native12_GLOBAL__N_18offset_tEEE10hipError_tPvRmT1_PNSt15iterator_traitsISY_E10value_typeET2_T3_PNSZ_IS14_E10value_typeET4_jRbjT5_S1A_jjP12ihipStream_tbEUljE_EEESV_SW_SX_S14_S18_S1A_T6_T7_T9_mT8_S1C_bDpT10_ENKUlT_T0_E_clISt17integral_constantIbLb0EES1P_EEDaS1K_S1L_EUlS1K_E_NS1_11comp_targetILNS1_3genE2ELNS1_11target_archE906ELNS1_3gpuE6ELNS1_3repE0EEENS1_30default_config_static_selectorELNS0_4arch9wavefront6targetE1EEEvSY_,comdat
.Lfunc_end262:
	.size	_ZN7rocprim17ROCPRIM_400000_NS6detail17trampoline_kernelINS0_13select_configILj256ELj13ELNS0_17block_load_methodE3ELS4_3ELS4_3ELNS0_20block_scan_algorithmE0ELj4294967295EEENS1_25partition_config_selectorILNS1_17partition_subalgoE3EjNS0_10empty_typeEbEEZZNS1_14partition_implILS8_3ELb0ES6_jNS0_17counting_iteratorIjlEEPS9_SE_NS0_5tupleIJPjSE_EEENSF_IJSE_SE_EEES9_SG_JZNS1_25segmented_radix_sort_implINS0_14default_configELb1EPKaPaPKlPlN2at6native12_GLOBAL__N_18offset_tEEE10hipError_tPvRmT1_PNSt15iterator_traitsISY_E10value_typeET2_T3_PNSZ_IS14_E10value_typeET4_jRbjT5_S1A_jjP12ihipStream_tbEUljE_EEESV_SW_SX_S14_S18_S1A_T6_T7_T9_mT8_S1C_bDpT10_ENKUlT_T0_E_clISt17integral_constantIbLb0EES1P_EEDaS1K_S1L_EUlS1K_E_NS1_11comp_targetILNS1_3genE2ELNS1_11target_archE906ELNS1_3gpuE6ELNS1_3repE0EEENS1_30default_config_static_selectorELNS0_4arch9wavefront6targetE1EEEvSY_, .Lfunc_end262-_ZN7rocprim17ROCPRIM_400000_NS6detail17trampoline_kernelINS0_13select_configILj256ELj13ELNS0_17block_load_methodE3ELS4_3ELS4_3ELNS0_20block_scan_algorithmE0ELj4294967295EEENS1_25partition_config_selectorILNS1_17partition_subalgoE3EjNS0_10empty_typeEbEEZZNS1_14partition_implILS8_3ELb0ES6_jNS0_17counting_iteratorIjlEEPS9_SE_NS0_5tupleIJPjSE_EEENSF_IJSE_SE_EEES9_SG_JZNS1_25segmented_radix_sort_implINS0_14default_configELb1EPKaPaPKlPlN2at6native12_GLOBAL__N_18offset_tEEE10hipError_tPvRmT1_PNSt15iterator_traitsISY_E10value_typeET2_T3_PNSZ_IS14_E10value_typeET4_jRbjT5_S1A_jjP12ihipStream_tbEUljE_EEESV_SW_SX_S14_S18_S1A_T6_T7_T9_mT8_S1C_bDpT10_ENKUlT_T0_E_clISt17integral_constantIbLb0EES1P_EEDaS1K_S1L_EUlS1K_E_NS1_11comp_targetILNS1_3genE2ELNS1_11target_archE906ELNS1_3gpuE6ELNS1_3repE0EEENS1_30default_config_static_selectorELNS0_4arch9wavefront6targetE1EEEvSY_
                                        ; -- End function
	.set _ZN7rocprim17ROCPRIM_400000_NS6detail17trampoline_kernelINS0_13select_configILj256ELj13ELNS0_17block_load_methodE3ELS4_3ELS4_3ELNS0_20block_scan_algorithmE0ELj4294967295EEENS1_25partition_config_selectorILNS1_17partition_subalgoE3EjNS0_10empty_typeEbEEZZNS1_14partition_implILS8_3ELb0ES6_jNS0_17counting_iteratorIjlEEPS9_SE_NS0_5tupleIJPjSE_EEENSF_IJSE_SE_EEES9_SG_JZNS1_25segmented_radix_sort_implINS0_14default_configELb1EPKaPaPKlPlN2at6native12_GLOBAL__N_18offset_tEEE10hipError_tPvRmT1_PNSt15iterator_traitsISY_E10value_typeET2_T3_PNSZ_IS14_E10value_typeET4_jRbjT5_S1A_jjP12ihipStream_tbEUljE_EEESV_SW_SX_S14_S18_S1A_T6_T7_T9_mT8_S1C_bDpT10_ENKUlT_T0_E_clISt17integral_constantIbLb0EES1P_EEDaS1K_S1L_EUlS1K_E_NS1_11comp_targetILNS1_3genE2ELNS1_11target_archE906ELNS1_3gpuE6ELNS1_3repE0EEENS1_30default_config_static_selectorELNS0_4arch9wavefront6targetE1EEEvSY_.num_vgpr, 69
	.set _ZN7rocprim17ROCPRIM_400000_NS6detail17trampoline_kernelINS0_13select_configILj256ELj13ELNS0_17block_load_methodE3ELS4_3ELS4_3ELNS0_20block_scan_algorithmE0ELj4294967295EEENS1_25partition_config_selectorILNS1_17partition_subalgoE3EjNS0_10empty_typeEbEEZZNS1_14partition_implILS8_3ELb0ES6_jNS0_17counting_iteratorIjlEEPS9_SE_NS0_5tupleIJPjSE_EEENSF_IJSE_SE_EEES9_SG_JZNS1_25segmented_radix_sort_implINS0_14default_configELb1EPKaPaPKlPlN2at6native12_GLOBAL__N_18offset_tEEE10hipError_tPvRmT1_PNSt15iterator_traitsISY_E10value_typeET2_T3_PNSZ_IS14_E10value_typeET4_jRbjT5_S1A_jjP12ihipStream_tbEUljE_EEESV_SW_SX_S14_S18_S1A_T6_T7_T9_mT8_S1C_bDpT10_ENKUlT_T0_E_clISt17integral_constantIbLb0EES1P_EEDaS1K_S1L_EUlS1K_E_NS1_11comp_targetILNS1_3genE2ELNS1_11target_archE906ELNS1_3gpuE6ELNS1_3repE0EEENS1_30default_config_static_selectorELNS0_4arch9wavefront6targetE1EEEvSY_.num_agpr, 0
	.set _ZN7rocprim17ROCPRIM_400000_NS6detail17trampoline_kernelINS0_13select_configILj256ELj13ELNS0_17block_load_methodE3ELS4_3ELS4_3ELNS0_20block_scan_algorithmE0ELj4294967295EEENS1_25partition_config_selectorILNS1_17partition_subalgoE3EjNS0_10empty_typeEbEEZZNS1_14partition_implILS8_3ELb0ES6_jNS0_17counting_iteratorIjlEEPS9_SE_NS0_5tupleIJPjSE_EEENSF_IJSE_SE_EEES9_SG_JZNS1_25segmented_radix_sort_implINS0_14default_configELb1EPKaPaPKlPlN2at6native12_GLOBAL__N_18offset_tEEE10hipError_tPvRmT1_PNSt15iterator_traitsISY_E10value_typeET2_T3_PNSZ_IS14_E10value_typeET4_jRbjT5_S1A_jjP12ihipStream_tbEUljE_EEESV_SW_SX_S14_S18_S1A_T6_T7_T9_mT8_S1C_bDpT10_ENKUlT_T0_E_clISt17integral_constantIbLb0EES1P_EEDaS1K_S1L_EUlS1K_E_NS1_11comp_targetILNS1_3genE2ELNS1_11target_archE906ELNS1_3gpuE6ELNS1_3repE0EEENS1_30default_config_static_selectorELNS0_4arch9wavefront6targetE1EEEvSY_.numbered_sgpr, 48
	.set _ZN7rocprim17ROCPRIM_400000_NS6detail17trampoline_kernelINS0_13select_configILj256ELj13ELNS0_17block_load_methodE3ELS4_3ELS4_3ELNS0_20block_scan_algorithmE0ELj4294967295EEENS1_25partition_config_selectorILNS1_17partition_subalgoE3EjNS0_10empty_typeEbEEZZNS1_14partition_implILS8_3ELb0ES6_jNS0_17counting_iteratorIjlEEPS9_SE_NS0_5tupleIJPjSE_EEENSF_IJSE_SE_EEES9_SG_JZNS1_25segmented_radix_sort_implINS0_14default_configELb1EPKaPaPKlPlN2at6native12_GLOBAL__N_18offset_tEEE10hipError_tPvRmT1_PNSt15iterator_traitsISY_E10value_typeET2_T3_PNSZ_IS14_E10value_typeET4_jRbjT5_S1A_jjP12ihipStream_tbEUljE_EEESV_SW_SX_S14_S18_S1A_T6_T7_T9_mT8_S1C_bDpT10_ENKUlT_T0_E_clISt17integral_constantIbLb0EES1P_EEDaS1K_S1L_EUlS1K_E_NS1_11comp_targetILNS1_3genE2ELNS1_11target_archE906ELNS1_3gpuE6ELNS1_3repE0EEENS1_30default_config_static_selectorELNS0_4arch9wavefront6targetE1EEEvSY_.num_named_barrier, 0
	.set _ZN7rocprim17ROCPRIM_400000_NS6detail17trampoline_kernelINS0_13select_configILj256ELj13ELNS0_17block_load_methodE3ELS4_3ELS4_3ELNS0_20block_scan_algorithmE0ELj4294967295EEENS1_25partition_config_selectorILNS1_17partition_subalgoE3EjNS0_10empty_typeEbEEZZNS1_14partition_implILS8_3ELb0ES6_jNS0_17counting_iteratorIjlEEPS9_SE_NS0_5tupleIJPjSE_EEENSF_IJSE_SE_EEES9_SG_JZNS1_25segmented_radix_sort_implINS0_14default_configELb1EPKaPaPKlPlN2at6native12_GLOBAL__N_18offset_tEEE10hipError_tPvRmT1_PNSt15iterator_traitsISY_E10value_typeET2_T3_PNSZ_IS14_E10value_typeET4_jRbjT5_S1A_jjP12ihipStream_tbEUljE_EEESV_SW_SX_S14_S18_S1A_T6_T7_T9_mT8_S1C_bDpT10_ENKUlT_T0_E_clISt17integral_constantIbLb0EES1P_EEDaS1K_S1L_EUlS1K_E_NS1_11comp_targetILNS1_3genE2ELNS1_11target_archE906ELNS1_3gpuE6ELNS1_3repE0EEENS1_30default_config_static_selectorELNS0_4arch9wavefront6targetE1EEEvSY_.private_seg_size, 0
	.set _ZN7rocprim17ROCPRIM_400000_NS6detail17trampoline_kernelINS0_13select_configILj256ELj13ELNS0_17block_load_methodE3ELS4_3ELS4_3ELNS0_20block_scan_algorithmE0ELj4294967295EEENS1_25partition_config_selectorILNS1_17partition_subalgoE3EjNS0_10empty_typeEbEEZZNS1_14partition_implILS8_3ELb0ES6_jNS0_17counting_iteratorIjlEEPS9_SE_NS0_5tupleIJPjSE_EEENSF_IJSE_SE_EEES9_SG_JZNS1_25segmented_radix_sort_implINS0_14default_configELb1EPKaPaPKlPlN2at6native12_GLOBAL__N_18offset_tEEE10hipError_tPvRmT1_PNSt15iterator_traitsISY_E10value_typeET2_T3_PNSZ_IS14_E10value_typeET4_jRbjT5_S1A_jjP12ihipStream_tbEUljE_EEESV_SW_SX_S14_S18_S1A_T6_T7_T9_mT8_S1C_bDpT10_ENKUlT_T0_E_clISt17integral_constantIbLb0EES1P_EEDaS1K_S1L_EUlS1K_E_NS1_11comp_targetILNS1_3genE2ELNS1_11target_archE906ELNS1_3gpuE6ELNS1_3repE0EEENS1_30default_config_static_selectorELNS0_4arch9wavefront6targetE1EEEvSY_.uses_vcc, 1
	.set _ZN7rocprim17ROCPRIM_400000_NS6detail17trampoline_kernelINS0_13select_configILj256ELj13ELNS0_17block_load_methodE3ELS4_3ELS4_3ELNS0_20block_scan_algorithmE0ELj4294967295EEENS1_25partition_config_selectorILNS1_17partition_subalgoE3EjNS0_10empty_typeEbEEZZNS1_14partition_implILS8_3ELb0ES6_jNS0_17counting_iteratorIjlEEPS9_SE_NS0_5tupleIJPjSE_EEENSF_IJSE_SE_EEES9_SG_JZNS1_25segmented_radix_sort_implINS0_14default_configELb1EPKaPaPKlPlN2at6native12_GLOBAL__N_18offset_tEEE10hipError_tPvRmT1_PNSt15iterator_traitsISY_E10value_typeET2_T3_PNSZ_IS14_E10value_typeET4_jRbjT5_S1A_jjP12ihipStream_tbEUljE_EEESV_SW_SX_S14_S18_S1A_T6_T7_T9_mT8_S1C_bDpT10_ENKUlT_T0_E_clISt17integral_constantIbLb0EES1P_EEDaS1K_S1L_EUlS1K_E_NS1_11comp_targetILNS1_3genE2ELNS1_11target_archE906ELNS1_3gpuE6ELNS1_3repE0EEENS1_30default_config_static_selectorELNS0_4arch9wavefront6targetE1EEEvSY_.uses_flat_scratch, 0
	.set _ZN7rocprim17ROCPRIM_400000_NS6detail17trampoline_kernelINS0_13select_configILj256ELj13ELNS0_17block_load_methodE3ELS4_3ELS4_3ELNS0_20block_scan_algorithmE0ELj4294967295EEENS1_25partition_config_selectorILNS1_17partition_subalgoE3EjNS0_10empty_typeEbEEZZNS1_14partition_implILS8_3ELb0ES6_jNS0_17counting_iteratorIjlEEPS9_SE_NS0_5tupleIJPjSE_EEENSF_IJSE_SE_EEES9_SG_JZNS1_25segmented_radix_sort_implINS0_14default_configELb1EPKaPaPKlPlN2at6native12_GLOBAL__N_18offset_tEEE10hipError_tPvRmT1_PNSt15iterator_traitsISY_E10value_typeET2_T3_PNSZ_IS14_E10value_typeET4_jRbjT5_S1A_jjP12ihipStream_tbEUljE_EEESV_SW_SX_S14_S18_S1A_T6_T7_T9_mT8_S1C_bDpT10_ENKUlT_T0_E_clISt17integral_constantIbLb0EES1P_EEDaS1K_S1L_EUlS1K_E_NS1_11comp_targetILNS1_3genE2ELNS1_11target_archE906ELNS1_3gpuE6ELNS1_3repE0EEENS1_30default_config_static_selectorELNS0_4arch9wavefront6targetE1EEEvSY_.has_dyn_sized_stack, 0
	.set _ZN7rocprim17ROCPRIM_400000_NS6detail17trampoline_kernelINS0_13select_configILj256ELj13ELNS0_17block_load_methodE3ELS4_3ELS4_3ELNS0_20block_scan_algorithmE0ELj4294967295EEENS1_25partition_config_selectorILNS1_17partition_subalgoE3EjNS0_10empty_typeEbEEZZNS1_14partition_implILS8_3ELb0ES6_jNS0_17counting_iteratorIjlEEPS9_SE_NS0_5tupleIJPjSE_EEENSF_IJSE_SE_EEES9_SG_JZNS1_25segmented_radix_sort_implINS0_14default_configELb1EPKaPaPKlPlN2at6native12_GLOBAL__N_18offset_tEEE10hipError_tPvRmT1_PNSt15iterator_traitsISY_E10value_typeET2_T3_PNSZ_IS14_E10value_typeET4_jRbjT5_S1A_jjP12ihipStream_tbEUljE_EEESV_SW_SX_S14_S18_S1A_T6_T7_T9_mT8_S1C_bDpT10_ENKUlT_T0_E_clISt17integral_constantIbLb0EES1P_EEDaS1K_S1L_EUlS1K_E_NS1_11comp_targetILNS1_3genE2ELNS1_11target_archE906ELNS1_3gpuE6ELNS1_3repE0EEENS1_30default_config_static_selectorELNS0_4arch9wavefront6targetE1EEEvSY_.has_recursion, 0
	.set _ZN7rocprim17ROCPRIM_400000_NS6detail17trampoline_kernelINS0_13select_configILj256ELj13ELNS0_17block_load_methodE3ELS4_3ELS4_3ELNS0_20block_scan_algorithmE0ELj4294967295EEENS1_25partition_config_selectorILNS1_17partition_subalgoE3EjNS0_10empty_typeEbEEZZNS1_14partition_implILS8_3ELb0ES6_jNS0_17counting_iteratorIjlEEPS9_SE_NS0_5tupleIJPjSE_EEENSF_IJSE_SE_EEES9_SG_JZNS1_25segmented_radix_sort_implINS0_14default_configELb1EPKaPaPKlPlN2at6native12_GLOBAL__N_18offset_tEEE10hipError_tPvRmT1_PNSt15iterator_traitsISY_E10value_typeET2_T3_PNSZ_IS14_E10value_typeET4_jRbjT5_S1A_jjP12ihipStream_tbEUljE_EEESV_SW_SX_S14_S18_S1A_T6_T7_T9_mT8_S1C_bDpT10_ENKUlT_T0_E_clISt17integral_constantIbLb0EES1P_EEDaS1K_S1L_EUlS1K_E_NS1_11comp_targetILNS1_3genE2ELNS1_11target_archE906ELNS1_3gpuE6ELNS1_3repE0EEENS1_30default_config_static_selectorELNS0_4arch9wavefront6targetE1EEEvSY_.has_indirect_call, 0
	.section	.AMDGPU.csdata,"",@progbits
; Kernel info:
; codeLenInByte = 7612
; TotalNumSgprs: 52
; NumVgprs: 69
; ScratchSize: 0
; MemoryBound: 0
; FloatMode: 240
; IeeeMode: 1
; LDSByteSize: 13320 bytes/workgroup (compile time only)
; SGPRBlocks: 12
; VGPRBlocks: 17
; NumSGPRsForWavesPerEU: 102
; NumVGPRsForWavesPerEU: 69
; Occupancy: 3
; WaveLimiterHint : 0
; COMPUTE_PGM_RSRC2:SCRATCH_EN: 0
; COMPUTE_PGM_RSRC2:USER_SGPR: 6
; COMPUTE_PGM_RSRC2:TRAP_HANDLER: 0
; COMPUTE_PGM_RSRC2:TGID_X_EN: 1
; COMPUTE_PGM_RSRC2:TGID_Y_EN: 0
; COMPUTE_PGM_RSRC2:TGID_Z_EN: 0
; COMPUTE_PGM_RSRC2:TIDIG_COMP_CNT: 0
	.section	.text._ZN7rocprim17ROCPRIM_400000_NS6detail17trampoline_kernelINS0_13select_configILj256ELj13ELNS0_17block_load_methodE3ELS4_3ELS4_3ELNS0_20block_scan_algorithmE0ELj4294967295EEENS1_25partition_config_selectorILNS1_17partition_subalgoE3EjNS0_10empty_typeEbEEZZNS1_14partition_implILS8_3ELb0ES6_jNS0_17counting_iteratorIjlEEPS9_SE_NS0_5tupleIJPjSE_EEENSF_IJSE_SE_EEES9_SG_JZNS1_25segmented_radix_sort_implINS0_14default_configELb1EPKaPaPKlPlN2at6native12_GLOBAL__N_18offset_tEEE10hipError_tPvRmT1_PNSt15iterator_traitsISY_E10value_typeET2_T3_PNSZ_IS14_E10value_typeET4_jRbjT5_S1A_jjP12ihipStream_tbEUljE_EEESV_SW_SX_S14_S18_S1A_T6_T7_T9_mT8_S1C_bDpT10_ENKUlT_T0_E_clISt17integral_constantIbLb0EES1P_EEDaS1K_S1L_EUlS1K_E_NS1_11comp_targetILNS1_3genE10ELNS1_11target_archE1200ELNS1_3gpuE4ELNS1_3repE0EEENS1_30default_config_static_selectorELNS0_4arch9wavefront6targetE1EEEvSY_,"axG",@progbits,_ZN7rocprim17ROCPRIM_400000_NS6detail17trampoline_kernelINS0_13select_configILj256ELj13ELNS0_17block_load_methodE3ELS4_3ELS4_3ELNS0_20block_scan_algorithmE0ELj4294967295EEENS1_25partition_config_selectorILNS1_17partition_subalgoE3EjNS0_10empty_typeEbEEZZNS1_14partition_implILS8_3ELb0ES6_jNS0_17counting_iteratorIjlEEPS9_SE_NS0_5tupleIJPjSE_EEENSF_IJSE_SE_EEES9_SG_JZNS1_25segmented_radix_sort_implINS0_14default_configELb1EPKaPaPKlPlN2at6native12_GLOBAL__N_18offset_tEEE10hipError_tPvRmT1_PNSt15iterator_traitsISY_E10value_typeET2_T3_PNSZ_IS14_E10value_typeET4_jRbjT5_S1A_jjP12ihipStream_tbEUljE_EEESV_SW_SX_S14_S18_S1A_T6_T7_T9_mT8_S1C_bDpT10_ENKUlT_T0_E_clISt17integral_constantIbLb0EES1P_EEDaS1K_S1L_EUlS1K_E_NS1_11comp_targetILNS1_3genE10ELNS1_11target_archE1200ELNS1_3gpuE4ELNS1_3repE0EEENS1_30default_config_static_selectorELNS0_4arch9wavefront6targetE1EEEvSY_,comdat
	.globl	_ZN7rocprim17ROCPRIM_400000_NS6detail17trampoline_kernelINS0_13select_configILj256ELj13ELNS0_17block_load_methodE3ELS4_3ELS4_3ELNS0_20block_scan_algorithmE0ELj4294967295EEENS1_25partition_config_selectorILNS1_17partition_subalgoE3EjNS0_10empty_typeEbEEZZNS1_14partition_implILS8_3ELb0ES6_jNS0_17counting_iteratorIjlEEPS9_SE_NS0_5tupleIJPjSE_EEENSF_IJSE_SE_EEES9_SG_JZNS1_25segmented_radix_sort_implINS0_14default_configELb1EPKaPaPKlPlN2at6native12_GLOBAL__N_18offset_tEEE10hipError_tPvRmT1_PNSt15iterator_traitsISY_E10value_typeET2_T3_PNSZ_IS14_E10value_typeET4_jRbjT5_S1A_jjP12ihipStream_tbEUljE_EEESV_SW_SX_S14_S18_S1A_T6_T7_T9_mT8_S1C_bDpT10_ENKUlT_T0_E_clISt17integral_constantIbLb0EES1P_EEDaS1K_S1L_EUlS1K_E_NS1_11comp_targetILNS1_3genE10ELNS1_11target_archE1200ELNS1_3gpuE4ELNS1_3repE0EEENS1_30default_config_static_selectorELNS0_4arch9wavefront6targetE1EEEvSY_ ; -- Begin function _ZN7rocprim17ROCPRIM_400000_NS6detail17trampoline_kernelINS0_13select_configILj256ELj13ELNS0_17block_load_methodE3ELS4_3ELS4_3ELNS0_20block_scan_algorithmE0ELj4294967295EEENS1_25partition_config_selectorILNS1_17partition_subalgoE3EjNS0_10empty_typeEbEEZZNS1_14partition_implILS8_3ELb0ES6_jNS0_17counting_iteratorIjlEEPS9_SE_NS0_5tupleIJPjSE_EEENSF_IJSE_SE_EEES9_SG_JZNS1_25segmented_radix_sort_implINS0_14default_configELb1EPKaPaPKlPlN2at6native12_GLOBAL__N_18offset_tEEE10hipError_tPvRmT1_PNSt15iterator_traitsISY_E10value_typeET2_T3_PNSZ_IS14_E10value_typeET4_jRbjT5_S1A_jjP12ihipStream_tbEUljE_EEESV_SW_SX_S14_S18_S1A_T6_T7_T9_mT8_S1C_bDpT10_ENKUlT_T0_E_clISt17integral_constantIbLb0EES1P_EEDaS1K_S1L_EUlS1K_E_NS1_11comp_targetILNS1_3genE10ELNS1_11target_archE1200ELNS1_3gpuE4ELNS1_3repE0EEENS1_30default_config_static_selectorELNS0_4arch9wavefront6targetE1EEEvSY_
	.p2align	8
	.type	_ZN7rocprim17ROCPRIM_400000_NS6detail17trampoline_kernelINS0_13select_configILj256ELj13ELNS0_17block_load_methodE3ELS4_3ELS4_3ELNS0_20block_scan_algorithmE0ELj4294967295EEENS1_25partition_config_selectorILNS1_17partition_subalgoE3EjNS0_10empty_typeEbEEZZNS1_14partition_implILS8_3ELb0ES6_jNS0_17counting_iteratorIjlEEPS9_SE_NS0_5tupleIJPjSE_EEENSF_IJSE_SE_EEES9_SG_JZNS1_25segmented_radix_sort_implINS0_14default_configELb1EPKaPaPKlPlN2at6native12_GLOBAL__N_18offset_tEEE10hipError_tPvRmT1_PNSt15iterator_traitsISY_E10value_typeET2_T3_PNSZ_IS14_E10value_typeET4_jRbjT5_S1A_jjP12ihipStream_tbEUljE_EEESV_SW_SX_S14_S18_S1A_T6_T7_T9_mT8_S1C_bDpT10_ENKUlT_T0_E_clISt17integral_constantIbLb0EES1P_EEDaS1K_S1L_EUlS1K_E_NS1_11comp_targetILNS1_3genE10ELNS1_11target_archE1200ELNS1_3gpuE4ELNS1_3repE0EEENS1_30default_config_static_selectorELNS0_4arch9wavefront6targetE1EEEvSY_,@function
_ZN7rocprim17ROCPRIM_400000_NS6detail17trampoline_kernelINS0_13select_configILj256ELj13ELNS0_17block_load_methodE3ELS4_3ELS4_3ELNS0_20block_scan_algorithmE0ELj4294967295EEENS1_25partition_config_selectorILNS1_17partition_subalgoE3EjNS0_10empty_typeEbEEZZNS1_14partition_implILS8_3ELb0ES6_jNS0_17counting_iteratorIjlEEPS9_SE_NS0_5tupleIJPjSE_EEENSF_IJSE_SE_EEES9_SG_JZNS1_25segmented_radix_sort_implINS0_14default_configELb1EPKaPaPKlPlN2at6native12_GLOBAL__N_18offset_tEEE10hipError_tPvRmT1_PNSt15iterator_traitsISY_E10value_typeET2_T3_PNSZ_IS14_E10value_typeET4_jRbjT5_S1A_jjP12ihipStream_tbEUljE_EEESV_SW_SX_S14_S18_S1A_T6_T7_T9_mT8_S1C_bDpT10_ENKUlT_T0_E_clISt17integral_constantIbLb0EES1P_EEDaS1K_S1L_EUlS1K_E_NS1_11comp_targetILNS1_3genE10ELNS1_11target_archE1200ELNS1_3gpuE4ELNS1_3repE0EEENS1_30default_config_static_selectorELNS0_4arch9wavefront6targetE1EEEvSY_: ; @_ZN7rocprim17ROCPRIM_400000_NS6detail17trampoline_kernelINS0_13select_configILj256ELj13ELNS0_17block_load_methodE3ELS4_3ELS4_3ELNS0_20block_scan_algorithmE0ELj4294967295EEENS1_25partition_config_selectorILNS1_17partition_subalgoE3EjNS0_10empty_typeEbEEZZNS1_14partition_implILS8_3ELb0ES6_jNS0_17counting_iteratorIjlEEPS9_SE_NS0_5tupleIJPjSE_EEENSF_IJSE_SE_EEES9_SG_JZNS1_25segmented_radix_sort_implINS0_14default_configELb1EPKaPaPKlPlN2at6native12_GLOBAL__N_18offset_tEEE10hipError_tPvRmT1_PNSt15iterator_traitsISY_E10value_typeET2_T3_PNSZ_IS14_E10value_typeET4_jRbjT5_S1A_jjP12ihipStream_tbEUljE_EEESV_SW_SX_S14_S18_S1A_T6_T7_T9_mT8_S1C_bDpT10_ENKUlT_T0_E_clISt17integral_constantIbLb0EES1P_EEDaS1K_S1L_EUlS1K_E_NS1_11comp_targetILNS1_3genE10ELNS1_11target_archE1200ELNS1_3gpuE4ELNS1_3repE0EEENS1_30default_config_static_selectorELNS0_4arch9wavefront6targetE1EEEvSY_
; %bb.0:
	.section	.rodata,"a",@progbits
	.p2align	6, 0x0
	.amdhsa_kernel _ZN7rocprim17ROCPRIM_400000_NS6detail17trampoline_kernelINS0_13select_configILj256ELj13ELNS0_17block_load_methodE3ELS4_3ELS4_3ELNS0_20block_scan_algorithmE0ELj4294967295EEENS1_25partition_config_selectorILNS1_17partition_subalgoE3EjNS0_10empty_typeEbEEZZNS1_14partition_implILS8_3ELb0ES6_jNS0_17counting_iteratorIjlEEPS9_SE_NS0_5tupleIJPjSE_EEENSF_IJSE_SE_EEES9_SG_JZNS1_25segmented_radix_sort_implINS0_14default_configELb1EPKaPaPKlPlN2at6native12_GLOBAL__N_18offset_tEEE10hipError_tPvRmT1_PNSt15iterator_traitsISY_E10value_typeET2_T3_PNSZ_IS14_E10value_typeET4_jRbjT5_S1A_jjP12ihipStream_tbEUljE_EEESV_SW_SX_S14_S18_S1A_T6_T7_T9_mT8_S1C_bDpT10_ENKUlT_T0_E_clISt17integral_constantIbLb0EES1P_EEDaS1K_S1L_EUlS1K_E_NS1_11comp_targetILNS1_3genE10ELNS1_11target_archE1200ELNS1_3gpuE4ELNS1_3repE0EEENS1_30default_config_static_selectorELNS0_4arch9wavefront6targetE1EEEvSY_
		.amdhsa_group_segment_fixed_size 0
		.amdhsa_private_segment_fixed_size 0
		.amdhsa_kernarg_size 144
		.amdhsa_user_sgpr_count 6
		.amdhsa_user_sgpr_private_segment_buffer 1
		.amdhsa_user_sgpr_dispatch_ptr 0
		.amdhsa_user_sgpr_queue_ptr 0
		.amdhsa_user_sgpr_kernarg_segment_ptr 1
		.amdhsa_user_sgpr_dispatch_id 0
		.amdhsa_user_sgpr_flat_scratch_init 0
		.amdhsa_user_sgpr_private_segment_size 0
		.amdhsa_uses_dynamic_stack 0
		.amdhsa_system_sgpr_private_segment_wavefront_offset 0
		.amdhsa_system_sgpr_workgroup_id_x 1
		.amdhsa_system_sgpr_workgroup_id_y 0
		.amdhsa_system_sgpr_workgroup_id_z 0
		.amdhsa_system_sgpr_workgroup_info 0
		.amdhsa_system_vgpr_workitem_id 0
		.amdhsa_next_free_vgpr 1
		.amdhsa_next_free_sgpr 0
		.amdhsa_reserve_vcc 0
		.amdhsa_reserve_flat_scratch 0
		.amdhsa_float_round_mode_32 0
		.amdhsa_float_round_mode_16_64 0
		.amdhsa_float_denorm_mode_32 3
		.amdhsa_float_denorm_mode_16_64 3
		.amdhsa_dx10_clamp 1
		.amdhsa_ieee_mode 1
		.amdhsa_fp16_overflow 0
		.amdhsa_exception_fp_ieee_invalid_op 0
		.amdhsa_exception_fp_denorm_src 0
		.amdhsa_exception_fp_ieee_div_zero 0
		.amdhsa_exception_fp_ieee_overflow 0
		.amdhsa_exception_fp_ieee_underflow 0
		.amdhsa_exception_fp_ieee_inexact 0
		.amdhsa_exception_int_div_zero 0
	.end_amdhsa_kernel
	.section	.text._ZN7rocprim17ROCPRIM_400000_NS6detail17trampoline_kernelINS0_13select_configILj256ELj13ELNS0_17block_load_methodE3ELS4_3ELS4_3ELNS0_20block_scan_algorithmE0ELj4294967295EEENS1_25partition_config_selectorILNS1_17partition_subalgoE3EjNS0_10empty_typeEbEEZZNS1_14partition_implILS8_3ELb0ES6_jNS0_17counting_iteratorIjlEEPS9_SE_NS0_5tupleIJPjSE_EEENSF_IJSE_SE_EEES9_SG_JZNS1_25segmented_radix_sort_implINS0_14default_configELb1EPKaPaPKlPlN2at6native12_GLOBAL__N_18offset_tEEE10hipError_tPvRmT1_PNSt15iterator_traitsISY_E10value_typeET2_T3_PNSZ_IS14_E10value_typeET4_jRbjT5_S1A_jjP12ihipStream_tbEUljE_EEESV_SW_SX_S14_S18_S1A_T6_T7_T9_mT8_S1C_bDpT10_ENKUlT_T0_E_clISt17integral_constantIbLb0EES1P_EEDaS1K_S1L_EUlS1K_E_NS1_11comp_targetILNS1_3genE10ELNS1_11target_archE1200ELNS1_3gpuE4ELNS1_3repE0EEENS1_30default_config_static_selectorELNS0_4arch9wavefront6targetE1EEEvSY_,"axG",@progbits,_ZN7rocprim17ROCPRIM_400000_NS6detail17trampoline_kernelINS0_13select_configILj256ELj13ELNS0_17block_load_methodE3ELS4_3ELS4_3ELNS0_20block_scan_algorithmE0ELj4294967295EEENS1_25partition_config_selectorILNS1_17partition_subalgoE3EjNS0_10empty_typeEbEEZZNS1_14partition_implILS8_3ELb0ES6_jNS0_17counting_iteratorIjlEEPS9_SE_NS0_5tupleIJPjSE_EEENSF_IJSE_SE_EEES9_SG_JZNS1_25segmented_radix_sort_implINS0_14default_configELb1EPKaPaPKlPlN2at6native12_GLOBAL__N_18offset_tEEE10hipError_tPvRmT1_PNSt15iterator_traitsISY_E10value_typeET2_T3_PNSZ_IS14_E10value_typeET4_jRbjT5_S1A_jjP12ihipStream_tbEUljE_EEESV_SW_SX_S14_S18_S1A_T6_T7_T9_mT8_S1C_bDpT10_ENKUlT_T0_E_clISt17integral_constantIbLb0EES1P_EEDaS1K_S1L_EUlS1K_E_NS1_11comp_targetILNS1_3genE10ELNS1_11target_archE1200ELNS1_3gpuE4ELNS1_3repE0EEENS1_30default_config_static_selectorELNS0_4arch9wavefront6targetE1EEEvSY_,comdat
.Lfunc_end263:
	.size	_ZN7rocprim17ROCPRIM_400000_NS6detail17trampoline_kernelINS0_13select_configILj256ELj13ELNS0_17block_load_methodE3ELS4_3ELS4_3ELNS0_20block_scan_algorithmE0ELj4294967295EEENS1_25partition_config_selectorILNS1_17partition_subalgoE3EjNS0_10empty_typeEbEEZZNS1_14partition_implILS8_3ELb0ES6_jNS0_17counting_iteratorIjlEEPS9_SE_NS0_5tupleIJPjSE_EEENSF_IJSE_SE_EEES9_SG_JZNS1_25segmented_radix_sort_implINS0_14default_configELb1EPKaPaPKlPlN2at6native12_GLOBAL__N_18offset_tEEE10hipError_tPvRmT1_PNSt15iterator_traitsISY_E10value_typeET2_T3_PNSZ_IS14_E10value_typeET4_jRbjT5_S1A_jjP12ihipStream_tbEUljE_EEESV_SW_SX_S14_S18_S1A_T6_T7_T9_mT8_S1C_bDpT10_ENKUlT_T0_E_clISt17integral_constantIbLb0EES1P_EEDaS1K_S1L_EUlS1K_E_NS1_11comp_targetILNS1_3genE10ELNS1_11target_archE1200ELNS1_3gpuE4ELNS1_3repE0EEENS1_30default_config_static_selectorELNS0_4arch9wavefront6targetE1EEEvSY_, .Lfunc_end263-_ZN7rocprim17ROCPRIM_400000_NS6detail17trampoline_kernelINS0_13select_configILj256ELj13ELNS0_17block_load_methodE3ELS4_3ELS4_3ELNS0_20block_scan_algorithmE0ELj4294967295EEENS1_25partition_config_selectorILNS1_17partition_subalgoE3EjNS0_10empty_typeEbEEZZNS1_14partition_implILS8_3ELb0ES6_jNS0_17counting_iteratorIjlEEPS9_SE_NS0_5tupleIJPjSE_EEENSF_IJSE_SE_EEES9_SG_JZNS1_25segmented_radix_sort_implINS0_14default_configELb1EPKaPaPKlPlN2at6native12_GLOBAL__N_18offset_tEEE10hipError_tPvRmT1_PNSt15iterator_traitsISY_E10value_typeET2_T3_PNSZ_IS14_E10value_typeET4_jRbjT5_S1A_jjP12ihipStream_tbEUljE_EEESV_SW_SX_S14_S18_S1A_T6_T7_T9_mT8_S1C_bDpT10_ENKUlT_T0_E_clISt17integral_constantIbLb0EES1P_EEDaS1K_S1L_EUlS1K_E_NS1_11comp_targetILNS1_3genE10ELNS1_11target_archE1200ELNS1_3gpuE4ELNS1_3repE0EEENS1_30default_config_static_selectorELNS0_4arch9wavefront6targetE1EEEvSY_
                                        ; -- End function
	.set _ZN7rocprim17ROCPRIM_400000_NS6detail17trampoline_kernelINS0_13select_configILj256ELj13ELNS0_17block_load_methodE3ELS4_3ELS4_3ELNS0_20block_scan_algorithmE0ELj4294967295EEENS1_25partition_config_selectorILNS1_17partition_subalgoE3EjNS0_10empty_typeEbEEZZNS1_14partition_implILS8_3ELb0ES6_jNS0_17counting_iteratorIjlEEPS9_SE_NS0_5tupleIJPjSE_EEENSF_IJSE_SE_EEES9_SG_JZNS1_25segmented_radix_sort_implINS0_14default_configELb1EPKaPaPKlPlN2at6native12_GLOBAL__N_18offset_tEEE10hipError_tPvRmT1_PNSt15iterator_traitsISY_E10value_typeET2_T3_PNSZ_IS14_E10value_typeET4_jRbjT5_S1A_jjP12ihipStream_tbEUljE_EEESV_SW_SX_S14_S18_S1A_T6_T7_T9_mT8_S1C_bDpT10_ENKUlT_T0_E_clISt17integral_constantIbLb0EES1P_EEDaS1K_S1L_EUlS1K_E_NS1_11comp_targetILNS1_3genE10ELNS1_11target_archE1200ELNS1_3gpuE4ELNS1_3repE0EEENS1_30default_config_static_selectorELNS0_4arch9wavefront6targetE1EEEvSY_.num_vgpr, 0
	.set _ZN7rocprim17ROCPRIM_400000_NS6detail17trampoline_kernelINS0_13select_configILj256ELj13ELNS0_17block_load_methodE3ELS4_3ELS4_3ELNS0_20block_scan_algorithmE0ELj4294967295EEENS1_25partition_config_selectorILNS1_17partition_subalgoE3EjNS0_10empty_typeEbEEZZNS1_14partition_implILS8_3ELb0ES6_jNS0_17counting_iteratorIjlEEPS9_SE_NS0_5tupleIJPjSE_EEENSF_IJSE_SE_EEES9_SG_JZNS1_25segmented_radix_sort_implINS0_14default_configELb1EPKaPaPKlPlN2at6native12_GLOBAL__N_18offset_tEEE10hipError_tPvRmT1_PNSt15iterator_traitsISY_E10value_typeET2_T3_PNSZ_IS14_E10value_typeET4_jRbjT5_S1A_jjP12ihipStream_tbEUljE_EEESV_SW_SX_S14_S18_S1A_T6_T7_T9_mT8_S1C_bDpT10_ENKUlT_T0_E_clISt17integral_constantIbLb0EES1P_EEDaS1K_S1L_EUlS1K_E_NS1_11comp_targetILNS1_3genE10ELNS1_11target_archE1200ELNS1_3gpuE4ELNS1_3repE0EEENS1_30default_config_static_selectorELNS0_4arch9wavefront6targetE1EEEvSY_.num_agpr, 0
	.set _ZN7rocprim17ROCPRIM_400000_NS6detail17trampoline_kernelINS0_13select_configILj256ELj13ELNS0_17block_load_methodE3ELS4_3ELS4_3ELNS0_20block_scan_algorithmE0ELj4294967295EEENS1_25partition_config_selectorILNS1_17partition_subalgoE3EjNS0_10empty_typeEbEEZZNS1_14partition_implILS8_3ELb0ES6_jNS0_17counting_iteratorIjlEEPS9_SE_NS0_5tupleIJPjSE_EEENSF_IJSE_SE_EEES9_SG_JZNS1_25segmented_radix_sort_implINS0_14default_configELb1EPKaPaPKlPlN2at6native12_GLOBAL__N_18offset_tEEE10hipError_tPvRmT1_PNSt15iterator_traitsISY_E10value_typeET2_T3_PNSZ_IS14_E10value_typeET4_jRbjT5_S1A_jjP12ihipStream_tbEUljE_EEESV_SW_SX_S14_S18_S1A_T6_T7_T9_mT8_S1C_bDpT10_ENKUlT_T0_E_clISt17integral_constantIbLb0EES1P_EEDaS1K_S1L_EUlS1K_E_NS1_11comp_targetILNS1_3genE10ELNS1_11target_archE1200ELNS1_3gpuE4ELNS1_3repE0EEENS1_30default_config_static_selectorELNS0_4arch9wavefront6targetE1EEEvSY_.numbered_sgpr, 0
	.set _ZN7rocprim17ROCPRIM_400000_NS6detail17trampoline_kernelINS0_13select_configILj256ELj13ELNS0_17block_load_methodE3ELS4_3ELS4_3ELNS0_20block_scan_algorithmE0ELj4294967295EEENS1_25partition_config_selectorILNS1_17partition_subalgoE3EjNS0_10empty_typeEbEEZZNS1_14partition_implILS8_3ELb0ES6_jNS0_17counting_iteratorIjlEEPS9_SE_NS0_5tupleIJPjSE_EEENSF_IJSE_SE_EEES9_SG_JZNS1_25segmented_radix_sort_implINS0_14default_configELb1EPKaPaPKlPlN2at6native12_GLOBAL__N_18offset_tEEE10hipError_tPvRmT1_PNSt15iterator_traitsISY_E10value_typeET2_T3_PNSZ_IS14_E10value_typeET4_jRbjT5_S1A_jjP12ihipStream_tbEUljE_EEESV_SW_SX_S14_S18_S1A_T6_T7_T9_mT8_S1C_bDpT10_ENKUlT_T0_E_clISt17integral_constantIbLb0EES1P_EEDaS1K_S1L_EUlS1K_E_NS1_11comp_targetILNS1_3genE10ELNS1_11target_archE1200ELNS1_3gpuE4ELNS1_3repE0EEENS1_30default_config_static_selectorELNS0_4arch9wavefront6targetE1EEEvSY_.num_named_barrier, 0
	.set _ZN7rocprim17ROCPRIM_400000_NS6detail17trampoline_kernelINS0_13select_configILj256ELj13ELNS0_17block_load_methodE3ELS4_3ELS4_3ELNS0_20block_scan_algorithmE0ELj4294967295EEENS1_25partition_config_selectorILNS1_17partition_subalgoE3EjNS0_10empty_typeEbEEZZNS1_14partition_implILS8_3ELb0ES6_jNS0_17counting_iteratorIjlEEPS9_SE_NS0_5tupleIJPjSE_EEENSF_IJSE_SE_EEES9_SG_JZNS1_25segmented_radix_sort_implINS0_14default_configELb1EPKaPaPKlPlN2at6native12_GLOBAL__N_18offset_tEEE10hipError_tPvRmT1_PNSt15iterator_traitsISY_E10value_typeET2_T3_PNSZ_IS14_E10value_typeET4_jRbjT5_S1A_jjP12ihipStream_tbEUljE_EEESV_SW_SX_S14_S18_S1A_T6_T7_T9_mT8_S1C_bDpT10_ENKUlT_T0_E_clISt17integral_constantIbLb0EES1P_EEDaS1K_S1L_EUlS1K_E_NS1_11comp_targetILNS1_3genE10ELNS1_11target_archE1200ELNS1_3gpuE4ELNS1_3repE0EEENS1_30default_config_static_selectorELNS0_4arch9wavefront6targetE1EEEvSY_.private_seg_size, 0
	.set _ZN7rocprim17ROCPRIM_400000_NS6detail17trampoline_kernelINS0_13select_configILj256ELj13ELNS0_17block_load_methodE3ELS4_3ELS4_3ELNS0_20block_scan_algorithmE0ELj4294967295EEENS1_25partition_config_selectorILNS1_17partition_subalgoE3EjNS0_10empty_typeEbEEZZNS1_14partition_implILS8_3ELb0ES6_jNS0_17counting_iteratorIjlEEPS9_SE_NS0_5tupleIJPjSE_EEENSF_IJSE_SE_EEES9_SG_JZNS1_25segmented_radix_sort_implINS0_14default_configELb1EPKaPaPKlPlN2at6native12_GLOBAL__N_18offset_tEEE10hipError_tPvRmT1_PNSt15iterator_traitsISY_E10value_typeET2_T3_PNSZ_IS14_E10value_typeET4_jRbjT5_S1A_jjP12ihipStream_tbEUljE_EEESV_SW_SX_S14_S18_S1A_T6_T7_T9_mT8_S1C_bDpT10_ENKUlT_T0_E_clISt17integral_constantIbLb0EES1P_EEDaS1K_S1L_EUlS1K_E_NS1_11comp_targetILNS1_3genE10ELNS1_11target_archE1200ELNS1_3gpuE4ELNS1_3repE0EEENS1_30default_config_static_selectorELNS0_4arch9wavefront6targetE1EEEvSY_.uses_vcc, 0
	.set _ZN7rocprim17ROCPRIM_400000_NS6detail17trampoline_kernelINS0_13select_configILj256ELj13ELNS0_17block_load_methodE3ELS4_3ELS4_3ELNS0_20block_scan_algorithmE0ELj4294967295EEENS1_25partition_config_selectorILNS1_17partition_subalgoE3EjNS0_10empty_typeEbEEZZNS1_14partition_implILS8_3ELb0ES6_jNS0_17counting_iteratorIjlEEPS9_SE_NS0_5tupleIJPjSE_EEENSF_IJSE_SE_EEES9_SG_JZNS1_25segmented_radix_sort_implINS0_14default_configELb1EPKaPaPKlPlN2at6native12_GLOBAL__N_18offset_tEEE10hipError_tPvRmT1_PNSt15iterator_traitsISY_E10value_typeET2_T3_PNSZ_IS14_E10value_typeET4_jRbjT5_S1A_jjP12ihipStream_tbEUljE_EEESV_SW_SX_S14_S18_S1A_T6_T7_T9_mT8_S1C_bDpT10_ENKUlT_T0_E_clISt17integral_constantIbLb0EES1P_EEDaS1K_S1L_EUlS1K_E_NS1_11comp_targetILNS1_3genE10ELNS1_11target_archE1200ELNS1_3gpuE4ELNS1_3repE0EEENS1_30default_config_static_selectorELNS0_4arch9wavefront6targetE1EEEvSY_.uses_flat_scratch, 0
	.set _ZN7rocprim17ROCPRIM_400000_NS6detail17trampoline_kernelINS0_13select_configILj256ELj13ELNS0_17block_load_methodE3ELS4_3ELS4_3ELNS0_20block_scan_algorithmE0ELj4294967295EEENS1_25partition_config_selectorILNS1_17partition_subalgoE3EjNS0_10empty_typeEbEEZZNS1_14partition_implILS8_3ELb0ES6_jNS0_17counting_iteratorIjlEEPS9_SE_NS0_5tupleIJPjSE_EEENSF_IJSE_SE_EEES9_SG_JZNS1_25segmented_radix_sort_implINS0_14default_configELb1EPKaPaPKlPlN2at6native12_GLOBAL__N_18offset_tEEE10hipError_tPvRmT1_PNSt15iterator_traitsISY_E10value_typeET2_T3_PNSZ_IS14_E10value_typeET4_jRbjT5_S1A_jjP12ihipStream_tbEUljE_EEESV_SW_SX_S14_S18_S1A_T6_T7_T9_mT8_S1C_bDpT10_ENKUlT_T0_E_clISt17integral_constantIbLb0EES1P_EEDaS1K_S1L_EUlS1K_E_NS1_11comp_targetILNS1_3genE10ELNS1_11target_archE1200ELNS1_3gpuE4ELNS1_3repE0EEENS1_30default_config_static_selectorELNS0_4arch9wavefront6targetE1EEEvSY_.has_dyn_sized_stack, 0
	.set _ZN7rocprim17ROCPRIM_400000_NS6detail17trampoline_kernelINS0_13select_configILj256ELj13ELNS0_17block_load_methodE3ELS4_3ELS4_3ELNS0_20block_scan_algorithmE0ELj4294967295EEENS1_25partition_config_selectorILNS1_17partition_subalgoE3EjNS0_10empty_typeEbEEZZNS1_14partition_implILS8_3ELb0ES6_jNS0_17counting_iteratorIjlEEPS9_SE_NS0_5tupleIJPjSE_EEENSF_IJSE_SE_EEES9_SG_JZNS1_25segmented_radix_sort_implINS0_14default_configELb1EPKaPaPKlPlN2at6native12_GLOBAL__N_18offset_tEEE10hipError_tPvRmT1_PNSt15iterator_traitsISY_E10value_typeET2_T3_PNSZ_IS14_E10value_typeET4_jRbjT5_S1A_jjP12ihipStream_tbEUljE_EEESV_SW_SX_S14_S18_S1A_T6_T7_T9_mT8_S1C_bDpT10_ENKUlT_T0_E_clISt17integral_constantIbLb0EES1P_EEDaS1K_S1L_EUlS1K_E_NS1_11comp_targetILNS1_3genE10ELNS1_11target_archE1200ELNS1_3gpuE4ELNS1_3repE0EEENS1_30default_config_static_selectorELNS0_4arch9wavefront6targetE1EEEvSY_.has_recursion, 0
	.set _ZN7rocprim17ROCPRIM_400000_NS6detail17trampoline_kernelINS0_13select_configILj256ELj13ELNS0_17block_load_methodE3ELS4_3ELS4_3ELNS0_20block_scan_algorithmE0ELj4294967295EEENS1_25partition_config_selectorILNS1_17partition_subalgoE3EjNS0_10empty_typeEbEEZZNS1_14partition_implILS8_3ELb0ES6_jNS0_17counting_iteratorIjlEEPS9_SE_NS0_5tupleIJPjSE_EEENSF_IJSE_SE_EEES9_SG_JZNS1_25segmented_radix_sort_implINS0_14default_configELb1EPKaPaPKlPlN2at6native12_GLOBAL__N_18offset_tEEE10hipError_tPvRmT1_PNSt15iterator_traitsISY_E10value_typeET2_T3_PNSZ_IS14_E10value_typeET4_jRbjT5_S1A_jjP12ihipStream_tbEUljE_EEESV_SW_SX_S14_S18_S1A_T6_T7_T9_mT8_S1C_bDpT10_ENKUlT_T0_E_clISt17integral_constantIbLb0EES1P_EEDaS1K_S1L_EUlS1K_E_NS1_11comp_targetILNS1_3genE10ELNS1_11target_archE1200ELNS1_3gpuE4ELNS1_3repE0EEENS1_30default_config_static_selectorELNS0_4arch9wavefront6targetE1EEEvSY_.has_indirect_call, 0
	.section	.AMDGPU.csdata,"",@progbits
; Kernel info:
; codeLenInByte = 0
; TotalNumSgprs: 4
; NumVgprs: 0
; ScratchSize: 0
; MemoryBound: 0
; FloatMode: 240
; IeeeMode: 1
; LDSByteSize: 0 bytes/workgroup (compile time only)
; SGPRBlocks: 0
; VGPRBlocks: 0
; NumSGPRsForWavesPerEU: 4
; NumVGPRsForWavesPerEU: 1
; Occupancy: 10
; WaveLimiterHint : 0
; COMPUTE_PGM_RSRC2:SCRATCH_EN: 0
; COMPUTE_PGM_RSRC2:USER_SGPR: 6
; COMPUTE_PGM_RSRC2:TRAP_HANDLER: 0
; COMPUTE_PGM_RSRC2:TGID_X_EN: 1
; COMPUTE_PGM_RSRC2:TGID_Y_EN: 0
; COMPUTE_PGM_RSRC2:TGID_Z_EN: 0
; COMPUTE_PGM_RSRC2:TIDIG_COMP_CNT: 0
	.section	.text._ZN7rocprim17ROCPRIM_400000_NS6detail17trampoline_kernelINS0_13select_configILj256ELj13ELNS0_17block_load_methodE3ELS4_3ELS4_3ELNS0_20block_scan_algorithmE0ELj4294967295EEENS1_25partition_config_selectorILNS1_17partition_subalgoE3EjNS0_10empty_typeEbEEZZNS1_14partition_implILS8_3ELb0ES6_jNS0_17counting_iteratorIjlEEPS9_SE_NS0_5tupleIJPjSE_EEENSF_IJSE_SE_EEES9_SG_JZNS1_25segmented_radix_sort_implINS0_14default_configELb1EPKaPaPKlPlN2at6native12_GLOBAL__N_18offset_tEEE10hipError_tPvRmT1_PNSt15iterator_traitsISY_E10value_typeET2_T3_PNSZ_IS14_E10value_typeET4_jRbjT5_S1A_jjP12ihipStream_tbEUljE_EEESV_SW_SX_S14_S18_S1A_T6_T7_T9_mT8_S1C_bDpT10_ENKUlT_T0_E_clISt17integral_constantIbLb0EES1P_EEDaS1K_S1L_EUlS1K_E_NS1_11comp_targetILNS1_3genE9ELNS1_11target_archE1100ELNS1_3gpuE3ELNS1_3repE0EEENS1_30default_config_static_selectorELNS0_4arch9wavefront6targetE1EEEvSY_,"axG",@progbits,_ZN7rocprim17ROCPRIM_400000_NS6detail17trampoline_kernelINS0_13select_configILj256ELj13ELNS0_17block_load_methodE3ELS4_3ELS4_3ELNS0_20block_scan_algorithmE0ELj4294967295EEENS1_25partition_config_selectorILNS1_17partition_subalgoE3EjNS0_10empty_typeEbEEZZNS1_14partition_implILS8_3ELb0ES6_jNS0_17counting_iteratorIjlEEPS9_SE_NS0_5tupleIJPjSE_EEENSF_IJSE_SE_EEES9_SG_JZNS1_25segmented_radix_sort_implINS0_14default_configELb1EPKaPaPKlPlN2at6native12_GLOBAL__N_18offset_tEEE10hipError_tPvRmT1_PNSt15iterator_traitsISY_E10value_typeET2_T3_PNSZ_IS14_E10value_typeET4_jRbjT5_S1A_jjP12ihipStream_tbEUljE_EEESV_SW_SX_S14_S18_S1A_T6_T7_T9_mT8_S1C_bDpT10_ENKUlT_T0_E_clISt17integral_constantIbLb0EES1P_EEDaS1K_S1L_EUlS1K_E_NS1_11comp_targetILNS1_3genE9ELNS1_11target_archE1100ELNS1_3gpuE3ELNS1_3repE0EEENS1_30default_config_static_selectorELNS0_4arch9wavefront6targetE1EEEvSY_,comdat
	.globl	_ZN7rocprim17ROCPRIM_400000_NS6detail17trampoline_kernelINS0_13select_configILj256ELj13ELNS0_17block_load_methodE3ELS4_3ELS4_3ELNS0_20block_scan_algorithmE0ELj4294967295EEENS1_25partition_config_selectorILNS1_17partition_subalgoE3EjNS0_10empty_typeEbEEZZNS1_14partition_implILS8_3ELb0ES6_jNS0_17counting_iteratorIjlEEPS9_SE_NS0_5tupleIJPjSE_EEENSF_IJSE_SE_EEES9_SG_JZNS1_25segmented_radix_sort_implINS0_14default_configELb1EPKaPaPKlPlN2at6native12_GLOBAL__N_18offset_tEEE10hipError_tPvRmT1_PNSt15iterator_traitsISY_E10value_typeET2_T3_PNSZ_IS14_E10value_typeET4_jRbjT5_S1A_jjP12ihipStream_tbEUljE_EEESV_SW_SX_S14_S18_S1A_T6_T7_T9_mT8_S1C_bDpT10_ENKUlT_T0_E_clISt17integral_constantIbLb0EES1P_EEDaS1K_S1L_EUlS1K_E_NS1_11comp_targetILNS1_3genE9ELNS1_11target_archE1100ELNS1_3gpuE3ELNS1_3repE0EEENS1_30default_config_static_selectorELNS0_4arch9wavefront6targetE1EEEvSY_ ; -- Begin function _ZN7rocprim17ROCPRIM_400000_NS6detail17trampoline_kernelINS0_13select_configILj256ELj13ELNS0_17block_load_methodE3ELS4_3ELS4_3ELNS0_20block_scan_algorithmE0ELj4294967295EEENS1_25partition_config_selectorILNS1_17partition_subalgoE3EjNS0_10empty_typeEbEEZZNS1_14partition_implILS8_3ELb0ES6_jNS0_17counting_iteratorIjlEEPS9_SE_NS0_5tupleIJPjSE_EEENSF_IJSE_SE_EEES9_SG_JZNS1_25segmented_radix_sort_implINS0_14default_configELb1EPKaPaPKlPlN2at6native12_GLOBAL__N_18offset_tEEE10hipError_tPvRmT1_PNSt15iterator_traitsISY_E10value_typeET2_T3_PNSZ_IS14_E10value_typeET4_jRbjT5_S1A_jjP12ihipStream_tbEUljE_EEESV_SW_SX_S14_S18_S1A_T6_T7_T9_mT8_S1C_bDpT10_ENKUlT_T0_E_clISt17integral_constantIbLb0EES1P_EEDaS1K_S1L_EUlS1K_E_NS1_11comp_targetILNS1_3genE9ELNS1_11target_archE1100ELNS1_3gpuE3ELNS1_3repE0EEENS1_30default_config_static_selectorELNS0_4arch9wavefront6targetE1EEEvSY_
	.p2align	8
	.type	_ZN7rocprim17ROCPRIM_400000_NS6detail17trampoline_kernelINS0_13select_configILj256ELj13ELNS0_17block_load_methodE3ELS4_3ELS4_3ELNS0_20block_scan_algorithmE0ELj4294967295EEENS1_25partition_config_selectorILNS1_17partition_subalgoE3EjNS0_10empty_typeEbEEZZNS1_14partition_implILS8_3ELb0ES6_jNS0_17counting_iteratorIjlEEPS9_SE_NS0_5tupleIJPjSE_EEENSF_IJSE_SE_EEES9_SG_JZNS1_25segmented_radix_sort_implINS0_14default_configELb1EPKaPaPKlPlN2at6native12_GLOBAL__N_18offset_tEEE10hipError_tPvRmT1_PNSt15iterator_traitsISY_E10value_typeET2_T3_PNSZ_IS14_E10value_typeET4_jRbjT5_S1A_jjP12ihipStream_tbEUljE_EEESV_SW_SX_S14_S18_S1A_T6_T7_T9_mT8_S1C_bDpT10_ENKUlT_T0_E_clISt17integral_constantIbLb0EES1P_EEDaS1K_S1L_EUlS1K_E_NS1_11comp_targetILNS1_3genE9ELNS1_11target_archE1100ELNS1_3gpuE3ELNS1_3repE0EEENS1_30default_config_static_selectorELNS0_4arch9wavefront6targetE1EEEvSY_,@function
_ZN7rocprim17ROCPRIM_400000_NS6detail17trampoline_kernelINS0_13select_configILj256ELj13ELNS0_17block_load_methodE3ELS4_3ELS4_3ELNS0_20block_scan_algorithmE0ELj4294967295EEENS1_25partition_config_selectorILNS1_17partition_subalgoE3EjNS0_10empty_typeEbEEZZNS1_14partition_implILS8_3ELb0ES6_jNS0_17counting_iteratorIjlEEPS9_SE_NS0_5tupleIJPjSE_EEENSF_IJSE_SE_EEES9_SG_JZNS1_25segmented_radix_sort_implINS0_14default_configELb1EPKaPaPKlPlN2at6native12_GLOBAL__N_18offset_tEEE10hipError_tPvRmT1_PNSt15iterator_traitsISY_E10value_typeET2_T3_PNSZ_IS14_E10value_typeET4_jRbjT5_S1A_jjP12ihipStream_tbEUljE_EEESV_SW_SX_S14_S18_S1A_T6_T7_T9_mT8_S1C_bDpT10_ENKUlT_T0_E_clISt17integral_constantIbLb0EES1P_EEDaS1K_S1L_EUlS1K_E_NS1_11comp_targetILNS1_3genE9ELNS1_11target_archE1100ELNS1_3gpuE3ELNS1_3repE0EEENS1_30default_config_static_selectorELNS0_4arch9wavefront6targetE1EEEvSY_: ; @_ZN7rocprim17ROCPRIM_400000_NS6detail17trampoline_kernelINS0_13select_configILj256ELj13ELNS0_17block_load_methodE3ELS4_3ELS4_3ELNS0_20block_scan_algorithmE0ELj4294967295EEENS1_25partition_config_selectorILNS1_17partition_subalgoE3EjNS0_10empty_typeEbEEZZNS1_14partition_implILS8_3ELb0ES6_jNS0_17counting_iteratorIjlEEPS9_SE_NS0_5tupleIJPjSE_EEENSF_IJSE_SE_EEES9_SG_JZNS1_25segmented_radix_sort_implINS0_14default_configELb1EPKaPaPKlPlN2at6native12_GLOBAL__N_18offset_tEEE10hipError_tPvRmT1_PNSt15iterator_traitsISY_E10value_typeET2_T3_PNSZ_IS14_E10value_typeET4_jRbjT5_S1A_jjP12ihipStream_tbEUljE_EEESV_SW_SX_S14_S18_S1A_T6_T7_T9_mT8_S1C_bDpT10_ENKUlT_T0_E_clISt17integral_constantIbLb0EES1P_EEDaS1K_S1L_EUlS1K_E_NS1_11comp_targetILNS1_3genE9ELNS1_11target_archE1100ELNS1_3gpuE3ELNS1_3repE0EEENS1_30default_config_static_selectorELNS0_4arch9wavefront6targetE1EEEvSY_
; %bb.0:
	.section	.rodata,"a",@progbits
	.p2align	6, 0x0
	.amdhsa_kernel _ZN7rocprim17ROCPRIM_400000_NS6detail17trampoline_kernelINS0_13select_configILj256ELj13ELNS0_17block_load_methodE3ELS4_3ELS4_3ELNS0_20block_scan_algorithmE0ELj4294967295EEENS1_25partition_config_selectorILNS1_17partition_subalgoE3EjNS0_10empty_typeEbEEZZNS1_14partition_implILS8_3ELb0ES6_jNS0_17counting_iteratorIjlEEPS9_SE_NS0_5tupleIJPjSE_EEENSF_IJSE_SE_EEES9_SG_JZNS1_25segmented_radix_sort_implINS0_14default_configELb1EPKaPaPKlPlN2at6native12_GLOBAL__N_18offset_tEEE10hipError_tPvRmT1_PNSt15iterator_traitsISY_E10value_typeET2_T3_PNSZ_IS14_E10value_typeET4_jRbjT5_S1A_jjP12ihipStream_tbEUljE_EEESV_SW_SX_S14_S18_S1A_T6_T7_T9_mT8_S1C_bDpT10_ENKUlT_T0_E_clISt17integral_constantIbLb0EES1P_EEDaS1K_S1L_EUlS1K_E_NS1_11comp_targetILNS1_3genE9ELNS1_11target_archE1100ELNS1_3gpuE3ELNS1_3repE0EEENS1_30default_config_static_selectorELNS0_4arch9wavefront6targetE1EEEvSY_
		.amdhsa_group_segment_fixed_size 0
		.amdhsa_private_segment_fixed_size 0
		.amdhsa_kernarg_size 144
		.amdhsa_user_sgpr_count 6
		.amdhsa_user_sgpr_private_segment_buffer 1
		.amdhsa_user_sgpr_dispatch_ptr 0
		.amdhsa_user_sgpr_queue_ptr 0
		.amdhsa_user_sgpr_kernarg_segment_ptr 1
		.amdhsa_user_sgpr_dispatch_id 0
		.amdhsa_user_sgpr_flat_scratch_init 0
		.amdhsa_user_sgpr_private_segment_size 0
		.amdhsa_uses_dynamic_stack 0
		.amdhsa_system_sgpr_private_segment_wavefront_offset 0
		.amdhsa_system_sgpr_workgroup_id_x 1
		.amdhsa_system_sgpr_workgroup_id_y 0
		.amdhsa_system_sgpr_workgroup_id_z 0
		.amdhsa_system_sgpr_workgroup_info 0
		.amdhsa_system_vgpr_workitem_id 0
		.amdhsa_next_free_vgpr 1
		.amdhsa_next_free_sgpr 0
		.amdhsa_reserve_vcc 0
		.amdhsa_reserve_flat_scratch 0
		.amdhsa_float_round_mode_32 0
		.amdhsa_float_round_mode_16_64 0
		.amdhsa_float_denorm_mode_32 3
		.amdhsa_float_denorm_mode_16_64 3
		.amdhsa_dx10_clamp 1
		.amdhsa_ieee_mode 1
		.amdhsa_fp16_overflow 0
		.amdhsa_exception_fp_ieee_invalid_op 0
		.amdhsa_exception_fp_denorm_src 0
		.amdhsa_exception_fp_ieee_div_zero 0
		.amdhsa_exception_fp_ieee_overflow 0
		.amdhsa_exception_fp_ieee_underflow 0
		.amdhsa_exception_fp_ieee_inexact 0
		.amdhsa_exception_int_div_zero 0
	.end_amdhsa_kernel
	.section	.text._ZN7rocprim17ROCPRIM_400000_NS6detail17trampoline_kernelINS0_13select_configILj256ELj13ELNS0_17block_load_methodE3ELS4_3ELS4_3ELNS0_20block_scan_algorithmE0ELj4294967295EEENS1_25partition_config_selectorILNS1_17partition_subalgoE3EjNS0_10empty_typeEbEEZZNS1_14partition_implILS8_3ELb0ES6_jNS0_17counting_iteratorIjlEEPS9_SE_NS0_5tupleIJPjSE_EEENSF_IJSE_SE_EEES9_SG_JZNS1_25segmented_radix_sort_implINS0_14default_configELb1EPKaPaPKlPlN2at6native12_GLOBAL__N_18offset_tEEE10hipError_tPvRmT1_PNSt15iterator_traitsISY_E10value_typeET2_T3_PNSZ_IS14_E10value_typeET4_jRbjT5_S1A_jjP12ihipStream_tbEUljE_EEESV_SW_SX_S14_S18_S1A_T6_T7_T9_mT8_S1C_bDpT10_ENKUlT_T0_E_clISt17integral_constantIbLb0EES1P_EEDaS1K_S1L_EUlS1K_E_NS1_11comp_targetILNS1_3genE9ELNS1_11target_archE1100ELNS1_3gpuE3ELNS1_3repE0EEENS1_30default_config_static_selectorELNS0_4arch9wavefront6targetE1EEEvSY_,"axG",@progbits,_ZN7rocprim17ROCPRIM_400000_NS6detail17trampoline_kernelINS0_13select_configILj256ELj13ELNS0_17block_load_methodE3ELS4_3ELS4_3ELNS0_20block_scan_algorithmE0ELj4294967295EEENS1_25partition_config_selectorILNS1_17partition_subalgoE3EjNS0_10empty_typeEbEEZZNS1_14partition_implILS8_3ELb0ES6_jNS0_17counting_iteratorIjlEEPS9_SE_NS0_5tupleIJPjSE_EEENSF_IJSE_SE_EEES9_SG_JZNS1_25segmented_radix_sort_implINS0_14default_configELb1EPKaPaPKlPlN2at6native12_GLOBAL__N_18offset_tEEE10hipError_tPvRmT1_PNSt15iterator_traitsISY_E10value_typeET2_T3_PNSZ_IS14_E10value_typeET4_jRbjT5_S1A_jjP12ihipStream_tbEUljE_EEESV_SW_SX_S14_S18_S1A_T6_T7_T9_mT8_S1C_bDpT10_ENKUlT_T0_E_clISt17integral_constantIbLb0EES1P_EEDaS1K_S1L_EUlS1K_E_NS1_11comp_targetILNS1_3genE9ELNS1_11target_archE1100ELNS1_3gpuE3ELNS1_3repE0EEENS1_30default_config_static_selectorELNS0_4arch9wavefront6targetE1EEEvSY_,comdat
.Lfunc_end264:
	.size	_ZN7rocprim17ROCPRIM_400000_NS6detail17trampoline_kernelINS0_13select_configILj256ELj13ELNS0_17block_load_methodE3ELS4_3ELS4_3ELNS0_20block_scan_algorithmE0ELj4294967295EEENS1_25partition_config_selectorILNS1_17partition_subalgoE3EjNS0_10empty_typeEbEEZZNS1_14partition_implILS8_3ELb0ES6_jNS0_17counting_iteratorIjlEEPS9_SE_NS0_5tupleIJPjSE_EEENSF_IJSE_SE_EEES9_SG_JZNS1_25segmented_radix_sort_implINS0_14default_configELb1EPKaPaPKlPlN2at6native12_GLOBAL__N_18offset_tEEE10hipError_tPvRmT1_PNSt15iterator_traitsISY_E10value_typeET2_T3_PNSZ_IS14_E10value_typeET4_jRbjT5_S1A_jjP12ihipStream_tbEUljE_EEESV_SW_SX_S14_S18_S1A_T6_T7_T9_mT8_S1C_bDpT10_ENKUlT_T0_E_clISt17integral_constantIbLb0EES1P_EEDaS1K_S1L_EUlS1K_E_NS1_11comp_targetILNS1_3genE9ELNS1_11target_archE1100ELNS1_3gpuE3ELNS1_3repE0EEENS1_30default_config_static_selectorELNS0_4arch9wavefront6targetE1EEEvSY_, .Lfunc_end264-_ZN7rocprim17ROCPRIM_400000_NS6detail17trampoline_kernelINS0_13select_configILj256ELj13ELNS0_17block_load_methodE3ELS4_3ELS4_3ELNS0_20block_scan_algorithmE0ELj4294967295EEENS1_25partition_config_selectorILNS1_17partition_subalgoE3EjNS0_10empty_typeEbEEZZNS1_14partition_implILS8_3ELb0ES6_jNS0_17counting_iteratorIjlEEPS9_SE_NS0_5tupleIJPjSE_EEENSF_IJSE_SE_EEES9_SG_JZNS1_25segmented_radix_sort_implINS0_14default_configELb1EPKaPaPKlPlN2at6native12_GLOBAL__N_18offset_tEEE10hipError_tPvRmT1_PNSt15iterator_traitsISY_E10value_typeET2_T3_PNSZ_IS14_E10value_typeET4_jRbjT5_S1A_jjP12ihipStream_tbEUljE_EEESV_SW_SX_S14_S18_S1A_T6_T7_T9_mT8_S1C_bDpT10_ENKUlT_T0_E_clISt17integral_constantIbLb0EES1P_EEDaS1K_S1L_EUlS1K_E_NS1_11comp_targetILNS1_3genE9ELNS1_11target_archE1100ELNS1_3gpuE3ELNS1_3repE0EEENS1_30default_config_static_selectorELNS0_4arch9wavefront6targetE1EEEvSY_
                                        ; -- End function
	.set _ZN7rocprim17ROCPRIM_400000_NS6detail17trampoline_kernelINS0_13select_configILj256ELj13ELNS0_17block_load_methodE3ELS4_3ELS4_3ELNS0_20block_scan_algorithmE0ELj4294967295EEENS1_25partition_config_selectorILNS1_17partition_subalgoE3EjNS0_10empty_typeEbEEZZNS1_14partition_implILS8_3ELb0ES6_jNS0_17counting_iteratorIjlEEPS9_SE_NS0_5tupleIJPjSE_EEENSF_IJSE_SE_EEES9_SG_JZNS1_25segmented_radix_sort_implINS0_14default_configELb1EPKaPaPKlPlN2at6native12_GLOBAL__N_18offset_tEEE10hipError_tPvRmT1_PNSt15iterator_traitsISY_E10value_typeET2_T3_PNSZ_IS14_E10value_typeET4_jRbjT5_S1A_jjP12ihipStream_tbEUljE_EEESV_SW_SX_S14_S18_S1A_T6_T7_T9_mT8_S1C_bDpT10_ENKUlT_T0_E_clISt17integral_constantIbLb0EES1P_EEDaS1K_S1L_EUlS1K_E_NS1_11comp_targetILNS1_3genE9ELNS1_11target_archE1100ELNS1_3gpuE3ELNS1_3repE0EEENS1_30default_config_static_selectorELNS0_4arch9wavefront6targetE1EEEvSY_.num_vgpr, 0
	.set _ZN7rocprim17ROCPRIM_400000_NS6detail17trampoline_kernelINS0_13select_configILj256ELj13ELNS0_17block_load_methodE3ELS4_3ELS4_3ELNS0_20block_scan_algorithmE0ELj4294967295EEENS1_25partition_config_selectorILNS1_17partition_subalgoE3EjNS0_10empty_typeEbEEZZNS1_14partition_implILS8_3ELb0ES6_jNS0_17counting_iteratorIjlEEPS9_SE_NS0_5tupleIJPjSE_EEENSF_IJSE_SE_EEES9_SG_JZNS1_25segmented_radix_sort_implINS0_14default_configELb1EPKaPaPKlPlN2at6native12_GLOBAL__N_18offset_tEEE10hipError_tPvRmT1_PNSt15iterator_traitsISY_E10value_typeET2_T3_PNSZ_IS14_E10value_typeET4_jRbjT5_S1A_jjP12ihipStream_tbEUljE_EEESV_SW_SX_S14_S18_S1A_T6_T7_T9_mT8_S1C_bDpT10_ENKUlT_T0_E_clISt17integral_constantIbLb0EES1P_EEDaS1K_S1L_EUlS1K_E_NS1_11comp_targetILNS1_3genE9ELNS1_11target_archE1100ELNS1_3gpuE3ELNS1_3repE0EEENS1_30default_config_static_selectorELNS0_4arch9wavefront6targetE1EEEvSY_.num_agpr, 0
	.set _ZN7rocprim17ROCPRIM_400000_NS6detail17trampoline_kernelINS0_13select_configILj256ELj13ELNS0_17block_load_methodE3ELS4_3ELS4_3ELNS0_20block_scan_algorithmE0ELj4294967295EEENS1_25partition_config_selectorILNS1_17partition_subalgoE3EjNS0_10empty_typeEbEEZZNS1_14partition_implILS8_3ELb0ES6_jNS0_17counting_iteratorIjlEEPS9_SE_NS0_5tupleIJPjSE_EEENSF_IJSE_SE_EEES9_SG_JZNS1_25segmented_radix_sort_implINS0_14default_configELb1EPKaPaPKlPlN2at6native12_GLOBAL__N_18offset_tEEE10hipError_tPvRmT1_PNSt15iterator_traitsISY_E10value_typeET2_T3_PNSZ_IS14_E10value_typeET4_jRbjT5_S1A_jjP12ihipStream_tbEUljE_EEESV_SW_SX_S14_S18_S1A_T6_T7_T9_mT8_S1C_bDpT10_ENKUlT_T0_E_clISt17integral_constantIbLb0EES1P_EEDaS1K_S1L_EUlS1K_E_NS1_11comp_targetILNS1_3genE9ELNS1_11target_archE1100ELNS1_3gpuE3ELNS1_3repE0EEENS1_30default_config_static_selectorELNS0_4arch9wavefront6targetE1EEEvSY_.numbered_sgpr, 0
	.set _ZN7rocprim17ROCPRIM_400000_NS6detail17trampoline_kernelINS0_13select_configILj256ELj13ELNS0_17block_load_methodE3ELS4_3ELS4_3ELNS0_20block_scan_algorithmE0ELj4294967295EEENS1_25partition_config_selectorILNS1_17partition_subalgoE3EjNS0_10empty_typeEbEEZZNS1_14partition_implILS8_3ELb0ES6_jNS0_17counting_iteratorIjlEEPS9_SE_NS0_5tupleIJPjSE_EEENSF_IJSE_SE_EEES9_SG_JZNS1_25segmented_radix_sort_implINS0_14default_configELb1EPKaPaPKlPlN2at6native12_GLOBAL__N_18offset_tEEE10hipError_tPvRmT1_PNSt15iterator_traitsISY_E10value_typeET2_T3_PNSZ_IS14_E10value_typeET4_jRbjT5_S1A_jjP12ihipStream_tbEUljE_EEESV_SW_SX_S14_S18_S1A_T6_T7_T9_mT8_S1C_bDpT10_ENKUlT_T0_E_clISt17integral_constantIbLb0EES1P_EEDaS1K_S1L_EUlS1K_E_NS1_11comp_targetILNS1_3genE9ELNS1_11target_archE1100ELNS1_3gpuE3ELNS1_3repE0EEENS1_30default_config_static_selectorELNS0_4arch9wavefront6targetE1EEEvSY_.num_named_barrier, 0
	.set _ZN7rocprim17ROCPRIM_400000_NS6detail17trampoline_kernelINS0_13select_configILj256ELj13ELNS0_17block_load_methodE3ELS4_3ELS4_3ELNS0_20block_scan_algorithmE0ELj4294967295EEENS1_25partition_config_selectorILNS1_17partition_subalgoE3EjNS0_10empty_typeEbEEZZNS1_14partition_implILS8_3ELb0ES6_jNS0_17counting_iteratorIjlEEPS9_SE_NS0_5tupleIJPjSE_EEENSF_IJSE_SE_EEES9_SG_JZNS1_25segmented_radix_sort_implINS0_14default_configELb1EPKaPaPKlPlN2at6native12_GLOBAL__N_18offset_tEEE10hipError_tPvRmT1_PNSt15iterator_traitsISY_E10value_typeET2_T3_PNSZ_IS14_E10value_typeET4_jRbjT5_S1A_jjP12ihipStream_tbEUljE_EEESV_SW_SX_S14_S18_S1A_T6_T7_T9_mT8_S1C_bDpT10_ENKUlT_T0_E_clISt17integral_constantIbLb0EES1P_EEDaS1K_S1L_EUlS1K_E_NS1_11comp_targetILNS1_3genE9ELNS1_11target_archE1100ELNS1_3gpuE3ELNS1_3repE0EEENS1_30default_config_static_selectorELNS0_4arch9wavefront6targetE1EEEvSY_.private_seg_size, 0
	.set _ZN7rocprim17ROCPRIM_400000_NS6detail17trampoline_kernelINS0_13select_configILj256ELj13ELNS0_17block_load_methodE3ELS4_3ELS4_3ELNS0_20block_scan_algorithmE0ELj4294967295EEENS1_25partition_config_selectorILNS1_17partition_subalgoE3EjNS0_10empty_typeEbEEZZNS1_14partition_implILS8_3ELb0ES6_jNS0_17counting_iteratorIjlEEPS9_SE_NS0_5tupleIJPjSE_EEENSF_IJSE_SE_EEES9_SG_JZNS1_25segmented_radix_sort_implINS0_14default_configELb1EPKaPaPKlPlN2at6native12_GLOBAL__N_18offset_tEEE10hipError_tPvRmT1_PNSt15iterator_traitsISY_E10value_typeET2_T3_PNSZ_IS14_E10value_typeET4_jRbjT5_S1A_jjP12ihipStream_tbEUljE_EEESV_SW_SX_S14_S18_S1A_T6_T7_T9_mT8_S1C_bDpT10_ENKUlT_T0_E_clISt17integral_constantIbLb0EES1P_EEDaS1K_S1L_EUlS1K_E_NS1_11comp_targetILNS1_3genE9ELNS1_11target_archE1100ELNS1_3gpuE3ELNS1_3repE0EEENS1_30default_config_static_selectorELNS0_4arch9wavefront6targetE1EEEvSY_.uses_vcc, 0
	.set _ZN7rocprim17ROCPRIM_400000_NS6detail17trampoline_kernelINS0_13select_configILj256ELj13ELNS0_17block_load_methodE3ELS4_3ELS4_3ELNS0_20block_scan_algorithmE0ELj4294967295EEENS1_25partition_config_selectorILNS1_17partition_subalgoE3EjNS0_10empty_typeEbEEZZNS1_14partition_implILS8_3ELb0ES6_jNS0_17counting_iteratorIjlEEPS9_SE_NS0_5tupleIJPjSE_EEENSF_IJSE_SE_EEES9_SG_JZNS1_25segmented_radix_sort_implINS0_14default_configELb1EPKaPaPKlPlN2at6native12_GLOBAL__N_18offset_tEEE10hipError_tPvRmT1_PNSt15iterator_traitsISY_E10value_typeET2_T3_PNSZ_IS14_E10value_typeET4_jRbjT5_S1A_jjP12ihipStream_tbEUljE_EEESV_SW_SX_S14_S18_S1A_T6_T7_T9_mT8_S1C_bDpT10_ENKUlT_T0_E_clISt17integral_constantIbLb0EES1P_EEDaS1K_S1L_EUlS1K_E_NS1_11comp_targetILNS1_3genE9ELNS1_11target_archE1100ELNS1_3gpuE3ELNS1_3repE0EEENS1_30default_config_static_selectorELNS0_4arch9wavefront6targetE1EEEvSY_.uses_flat_scratch, 0
	.set _ZN7rocprim17ROCPRIM_400000_NS6detail17trampoline_kernelINS0_13select_configILj256ELj13ELNS0_17block_load_methodE3ELS4_3ELS4_3ELNS0_20block_scan_algorithmE0ELj4294967295EEENS1_25partition_config_selectorILNS1_17partition_subalgoE3EjNS0_10empty_typeEbEEZZNS1_14partition_implILS8_3ELb0ES6_jNS0_17counting_iteratorIjlEEPS9_SE_NS0_5tupleIJPjSE_EEENSF_IJSE_SE_EEES9_SG_JZNS1_25segmented_radix_sort_implINS0_14default_configELb1EPKaPaPKlPlN2at6native12_GLOBAL__N_18offset_tEEE10hipError_tPvRmT1_PNSt15iterator_traitsISY_E10value_typeET2_T3_PNSZ_IS14_E10value_typeET4_jRbjT5_S1A_jjP12ihipStream_tbEUljE_EEESV_SW_SX_S14_S18_S1A_T6_T7_T9_mT8_S1C_bDpT10_ENKUlT_T0_E_clISt17integral_constantIbLb0EES1P_EEDaS1K_S1L_EUlS1K_E_NS1_11comp_targetILNS1_3genE9ELNS1_11target_archE1100ELNS1_3gpuE3ELNS1_3repE0EEENS1_30default_config_static_selectorELNS0_4arch9wavefront6targetE1EEEvSY_.has_dyn_sized_stack, 0
	.set _ZN7rocprim17ROCPRIM_400000_NS6detail17trampoline_kernelINS0_13select_configILj256ELj13ELNS0_17block_load_methodE3ELS4_3ELS4_3ELNS0_20block_scan_algorithmE0ELj4294967295EEENS1_25partition_config_selectorILNS1_17partition_subalgoE3EjNS0_10empty_typeEbEEZZNS1_14partition_implILS8_3ELb0ES6_jNS0_17counting_iteratorIjlEEPS9_SE_NS0_5tupleIJPjSE_EEENSF_IJSE_SE_EEES9_SG_JZNS1_25segmented_radix_sort_implINS0_14default_configELb1EPKaPaPKlPlN2at6native12_GLOBAL__N_18offset_tEEE10hipError_tPvRmT1_PNSt15iterator_traitsISY_E10value_typeET2_T3_PNSZ_IS14_E10value_typeET4_jRbjT5_S1A_jjP12ihipStream_tbEUljE_EEESV_SW_SX_S14_S18_S1A_T6_T7_T9_mT8_S1C_bDpT10_ENKUlT_T0_E_clISt17integral_constantIbLb0EES1P_EEDaS1K_S1L_EUlS1K_E_NS1_11comp_targetILNS1_3genE9ELNS1_11target_archE1100ELNS1_3gpuE3ELNS1_3repE0EEENS1_30default_config_static_selectorELNS0_4arch9wavefront6targetE1EEEvSY_.has_recursion, 0
	.set _ZN7rocprim17ROCPRIM_400000_NS6detail17trampoline_kernelINS0_13select_configILj256ELj13ELNS0_17block_load_methodE3ELS4_3ELS4_3ELNS0_20block_scan_algorithmE0ELj4294967295EEENS1_25partition_config_selectorILNS1_17partition_subalgoE3EjNS0_10empty_typeEbEEZZNS1_14partition_implILS8_3ELb0ES6_jNS0_17counting_iteratorIjlEEPS9_SE_NS0_5tupleIJPjSE_EEENSF_IJSE_SE_EEES9_SG_JZNS1_25segmented_radix_sort_implINS0_14default_configELb1EPKaPaPKlPlN2at6native12_GLOBAL__N_18offset_tEEE10hipError_tPvRmT1_PNSt15iterator_traitsISY_E10value_typeET2_T3_PNSZ_IS14_E10value_typeET4_jRbjT5_S1A_jjP12ihipStream_tbEUljE_EEESV_SW_SX_S14_S18_S1A_T6_T7_T9_mT8_S1C_bDpT10_ENKUlT_T0_E_clISt17integral_constantIbLb0EES1P_EEDaS1K_S1L_EUlS1K_E_NS1_11comp_targetILNS1_3genE9ELNS1_11target_archE1100ELNS1_3gpuE3ELNS1_3repE0EEENS1_30default_config_static_selectorELNS0_4arch9wavefront6targetE1EEEvSY_.has_indirect_call, 0
	.section	.AMDGPU.csdata,"",@progbits
; Kernel info:
; codeLenInByte = 0
; TotalNumSgprs: 4
; NumVgprs: 0
; ScratchSize: 0
; MemoryBound: 0
; FloatMode: 240
; IeeeMode: 1
; LDSByteSize: 0 bytes/workgroup (compile time only)
; SGPRBlocks: 0
; VGPRBlocks: 0
; NumSGPRsForWavesPerEU: 4
; NumVGPRsForWavesPerEU: 1
; Occupancy: 10
; WaveLimiterHint : 0
; COMPUTE_PGM_RSRC2:SCRATCH_EN: 0
; COMPUTE_PGM_RSRC2:USER_SGPR: 6
; COMPUTE_PGM_RSRC2:TRAP_HANDLER: 0
; COMPUTE_PGM_RSRC2:TGID_X_EN: 1
; COMPUTE_PGM_RSRC2:TGID_Y_EN: 0
; COMPUTE_PGM_RSRC2:TGID_Z_EN: 0
; COMPUTE_PGM_RSRC2:TIDIG_COMP_CNT: 0
	.section	.text._ZN7rocprim17ROCPRIM_400000_NS6detail17trampoline_kernelINS0_13select_configILj256ELj13ELNS0_17block_load_methodE3ELS4_3ELS4_3ELNS0_20block_scan_algorithmE0ELj4294967295EEENS1_25partition_config_selectorILNS1_17partition_subalgoE3EjNS0_10empty_typeEbEEZZNS1_14partition_implILS8_3ELb0ES6_jNS0_17counting_iteratorIjlEEPS9_SE_NS0_5tupleIJPjSE_EEENSF_IJSE_SE_EEES9_SG_JZNS1_25segmented_radix_sort_implINS0_14default_configELb1EPKaPaPKlPlN2at6native12_GLOBAL__N_18offset_tEEE10hipError_tPvRmT1_PNSt15iterator_traitsISY_E10value_typeET2_T3_PNSZ_IS14_E10value_typeET4_jRbjT5_S1A_jjP12ihipStream_tbEUljE_EEESV_SW_SX_S14_S18_S1A_T6_T7_T9_mT8_S1C_bDpT10_ENKUlT_T0_E_clISt17integral_constantIbLb0EES1P_EEDaS1K_S1L_EUlS1K_E_NS1_11comp_targetILNS1_3genE8ELNS1_11target_archE1030ELNS1_3gpuE2ELNS1_3repE0EEENS1_30default_config_static_selectorELNS0_4arch9wavefront6targetE1EEEvSY_,"axG",@progbits,_ZN7rocprim17ROCPRIM_400000_NS6detail17trampoline_kernelINS0_13select_configILj256ELj13ELNS0_17block_load_methodE3ELS4_3ELS4_3ELNS0_20block_scan_algorithmE0ELj4294967295EEENS1_25partition_config_selectorILNS1_17partition_subalgoE3EjNS0_10empty_typeEbEEZZNS1_14partition_implILS8_3ELb0ES6_jNS0_17counting_iteratorIjlEEPS9_SE_NS0_5tupleIJPjSE_EEENSF_IJSE_SE_EEES9_SG_JZNS1_25segmented_radix_sort_implINS0_14default_configELb1EPKaPaPKlPlN2at6native12_GLOBAL__N_18offset_tEEE10hipError_tPvRmT1_PNSt15iterator_traitsISY_E10value_typeET2_T3_PNSZ_IS14_E10value_typeET4_jRbjT5_S1A_jjP12ihipStream_tbEUljE_EEESV_SW_SX_S14_S18_S1A_T6_T7_T9_mT8_S1C_bDpT10_ENKUlT_T0_E_clISt17integral_constantIbLb0EES1P_EEDaS1K_S1L_EUlS1K_E_NS1_11comp_targetILNS1_3genE8ELNS1_11target_archE1030ELNS1_3gpuE2ELNS1_3repE0EEENS1_30default_config_static_selectorELNS0_4arch9wavefront6targetE1EEEvSY_,comdat
	.globl	_ZN7rocprim17ROCPRIM_400000_NS6detail17trampoline_kernelINS0_13select_configILj256ELj13ELNS0_17block_load_methodE3ELS4_3ELS4_3ELNS0_20block_scan_algorithmE0ELj4294967295EEENS1_25partition_config_selectorILNS1_17partition_subalgoE3EjNS0_10empty_typeEbEEZZNS1_14partition_implILS8_3ELb0ES6_jNS0_17counting_iteratorIjlEEPS9_SE_NS0_5tupleIJPjSE_EEENSF_IJSE_SE_EEES9_SG_JZNS1_25segmented_radix_sort_implINS0_14default_configELb1EPKaPaPKlPlN2at6native12_GLOBAL__N_18offset_tEEE10hipError_tPvRmT1_PNSt15iterator_traitsISY_E10value_typeET2_T3_PNSZ_IS14_E10value_typeET4_jRbjT5_S1A_jjP12ihipStream_tbEUljE_EEESV_SW_SX_S14_S18_S1A_T6_T7_T9_mT8_S1C_bDpT10_ENKUlT_T0_E_clISt17integral_constantIbLb0EES1P_EEDaS1K_S1L_EUlS1K_E_NS1_11comp_targetILNS1_3genE8ELNS1_11target_archE1030ELNS1_3gpuE2ELNS1_3repE0EEENS1_30default_config_static_selectorELNS0_4arch9wavefront6targetE1EEEvSY_ ; -- Begin function _ZN7rocprim17ROCPRIM_400000_NS6detail17trampoline_kernelINS0_13select_configILj256ELj13ELNS0_17block_load_methodE3ELS4_3ELS4_3ELNS0_20block_scan_algorithmE0ELj4294967295EEENS1_25partition_config_selectorILNS1_17partition_subalgoE3EjNS0_10empty_typeEbEEZZNS1_14partition_implILS8_3ELb0ES6_jNS0_17counting_iteratorIjlEEPS9_SE_NS0_5tupleIJPjSE_EEENSF_IJSE_SE_EEES9_SG_JZNS1_25segmented_radix_sort_implINS0_14default_configELb1EPKaPaPKlPlN2at6native12_GLOBAL__N_18offset_tEEE10hipError_tPvRmT1_PNSt15iterator_traitsISY_E10value_typeET2_T3_PNSZ_IS14_E10value_typeET4_jRbjT5_S1A_jjP12ihipStream_tbEUljE_EEESV_SW_SX_S14_S18_S1A_T6_T7_T9_mT8_S1C_bDpT10_ENKUlT_T0_E_clISt17integral_constantIbLb0EES1P_EEDaS1K_S1L_EUlS1K_E_NS1_11comp_targetILNS1_3genE8ELNS1_11target_archE1030ELNS1_3gpuE2ELNS1_3repE0EEENS1_30default_config_static_selectorELNS0_4arch9wavefront6targetE1EEEvSY_
	.p2align	8
	.type	_ZN7rocprim17ROCPRIM_400000_NS6detail17trampoline_kernelINS0_13select_configILj256ELj13ELNS0_17block_load_methodE3ELS4_3ELS4_3ELNS0_20block_scan_algorithmE0ELj4294967295EEENS1_25partition_config_selectorILNS1_17partition_subalgoE3EjNS0_10empty_typeEbEEZZNS1_14partition_implILS8_3ELb0ES6_jNS0_17counting_iteratorIjlEEPS9_SE_NS0_5tupleIJPjSE_EEENSF_IJSE_SE_EEES9_SG_JZNS1_25segmented_radix_sort_implINS0_14default_configELb1EPKaPaPKlPlN2at6native12_GLOBAL__N_18offset_tEEE10hipError_tPvRmT1_PNSt15iterator_traitsISY_E10value_typeET2_T3_PNSZ_IS14_E10value_typeET4_jRbjT5_S1A_jjP12ihipStream_tbEUljE_EEESV_SW_SX_S14_S18_S1A_T6_T7_T9_mT8_S1C_bDpT10_ENKUlT_T0_E_clISt17integral_constantIbLb0EES1P_EEDaS1K_S1L_EUlS1K_E_NS1_11comp_targetILNS1_3genE8ELNS1_11target_archE1030ELNS1_3gpuE2ELNS1_3repE0EEENS1_30default_config_static_selectorELNS0_4arch9wavefront6targetE1EEEvSY_,@function
_ZN7rocprim17ROCPRIM_400000_NS6detail17trampoline_kernelINS0_13select_configILj256ELj13ELNS0_17block_load_methodE3ELS4_3ELS4_3ELNS0_20block_scan_algorithmE0ELj4294967295EEENS1_25partition_config_selectorILNS1_17partition_subalgoE3EjNS0_10empty_typeEbEEZZNS1_14partition_implILS8_3ELb0ES6_jNS0_17counting_iteratorIjlEEPS9_SE_NS0_5tupleIJPjSE_EEENSF_IJSE_SE_EEES9_SG_JZNS1_25segmented_radix_sort_implINS0_14default_configELb1EPKaPaPKlPlN2at6native12_GLOBAL__N_18offset_tEEE10hipError_tPvRmT1_PNSt15iterator_traitsISY_E10value_typeET2_T3_PNSZ_IS14_E10value_typeET4_jRbjT5_S1A_jjP12ihipStream_tbEUljE_EEESV_SW_SX_S14_S18_S1A_T6_T7_T9_mT8_S1C_bDpT10_ENKUlT_T0_E_clISt17integral_constantIbLb0EES1P_EEDaS1K_S1L_EUlS1K_E_NS1_11comp_targetILNS1_3genE8ELNS1_11target_archE1030ELNS1_3gpuE2ELNS1_3repE0EEENS1_30default_config_static_selectorELNS0_4arch9wavefront6targetE1EEEvSY_: ; @_ZN7rocprim17ROCPRIM_400000_NS6detail17trampoline_kernelINS0_13select_configILj256ELj13ELNS0_17block_load_methodE3ELS4_3ELS4_3ELNS0_20block_scan_algorithmE0ELj4294967295EEENS1_25partition_config_selectorILNS1_17partition_subalgoE3EjNS0_10empty_typeEbEEZZNS1_14partition_implILS8_3ELb0ES6_jNS0_17counting_iteratorIjlEEPS9_SE_NS0_5tupleIJPjSE_EEENSF_IJSE_SE_EEES9_SG_JZNS1_25segmented_radix_sort_implINS0_14default_configELb1EPKaPaPKlPlN2at6native12_GLOBAL__N_18offset_tEEE10hipError_tPvRmT1_PNSt15iterator_traitsISY_E10value_typeET2_T3_PNSZ_IS14_E10value_typeET4_jRbjT5_S1A_jjP12ihipStream_tbEUljE_EEESV_SW_SX_S14_S18_S1A_T6_T7_T9_mT8_S1C_bDpT10_ENKUlT_T0_E_clISt17integral_constantIbLb0EES1P_EEDaS1K_S1L_EUlS1K_E_NS1_11comp_targetILNS1_3genE8ELNS1_11target_archE1030ELNS1_3gpuE2ELNS1_3repE0EEENS1_30default_config_static_selectorELNS0_4arch9wavefront6targetE1EEEvSY_
; %bb.0:
	.section	.rodata,"a",@progbits
	.p2align	6, 0x0
	.amdhsa_kernel _ZN7rocprim17ROCPRIM_400000_NS6detail17trampoline_kernelINS0_13select_configILj256ELj13ELNS0_17block_load_methodE3ELS4_3ELS4_3ELNS0_20block_scan_algorithmE0ELj4294967295EEENS1_25partition_config_selectorILNS1_17partition_subalgoE3EjNS0_10empty_typeEbEEZZNS1_14partition_implILS8_3ELb0ES6_jNS0_17counting_iteratorIjlEEPS9_SE_NS0_5tupleIJPjSE_EEENSF_IJSE_SE_EEES9_SG_JZNS1_25segmented_radix_sort_implINS0_14default_configELb1EPKaPaPKlPlN2at6native12_GLOBAL__N_18offset_tEEE10hipError_tPvRmT1_PNSt15iterator_traitsISY_E10value_typeET2_T3_PNSZ_IS14_E10value_typeET4_jRbjT5_S1A_jjP12ihipStream_tbEUljE_EEESV_SW_SX_S14_S18_S1A_T6_T7_T9_mT8_S1C_bDpT10_ENKUlT_T0_E_clISt17integral_constantIbLb0EES1P_EEDaS1K_S1L_EUlS1K_E_NS1_11comp_targetILNS1_3genE8ELNS1_11target_archE1030ELNS1_3gpuE2ELNS1_3repE0EEENS1_30default_config_static_selectorELNS0_4arch9wavefront6targetE1EEEvSY_
		.amdhsa_group_segment_fixed_size 0
		.amdhsa_private_segment_fixed_size 0
		.amdhsa_kernarg_size 144
		.amdhsa_user_sgpr_count 6
		.amdhsa_user_sgpr_private_segment_buffer 1
		.amdhsa_user_sgpr_dispatch_ptr 0
		.amdhsa_user_sgpr_queue_ptr 0
		.amdhsa_user_sgpr_kernarg_segment_ptr 1
		.amdhsa_user_sgpr_dispatch_id 0
		.amdhsa_user_sgpr_flat_scratch_init 0
		.amdhsa_user_sgpr_private_segment_size 0
		.amdhsa_uses_dynamic_stack 0
		.amdhsa_system_sgpr_private_segment_wavefront_offset 0
		.amdhsa_system_sgpr_workgroup_id_x 1
		.amdhsa_system_sgpr_workgroup_id_y 0
		.amdhsa_system_sgpr_workgroup_id_z 0
		.amdhsa_system_sgpr_workgroup_info 0
		.amdhsa_system_vgpr_workitem_id 0
		.amdhsa_next_free_vgpr 1
		.amdhsa_next_free_sgpr 0
		.amdhsa_reserve_vcc 0
		.amdhsa_reserve_flat_scratch 0
		.amdhsa_float_round_mode_32 0
		.amdhsa_float_round_mode_16_64 0
		.amdhsa_float_denorm_mode_32 3
		.amdhsa_float_denorm_mode_16_64 3
		.amdhsa_dx10_clamp 1
		.amdhsa_ieee_mode 1
		.amdhsa_fp16_overflow 0
		.amdhsa_exception_fp_ieee_invalid_op 0
		.amdhsa_exception_fp_denorm_src 0
		.amdhsa_exception_fp_ieee_div_zero 0
		.amdhsa_exception_fp_ieee_overflow 0
		.amdhsa_exception_fp_ieee_underflow 0
		.amdhsa_exception_fp_ieee_inexact 0
		.amdhsa_exception_int_div_zero 0
	.end_amdhsa_kernel
	.section	.text._ZN7rocprim17ROCPRIM_400000_NS6detail17trampoline_kernelINS0_13select_configILj256ELj13ELNS0_17block_load_methodE3ELS4_3ELS4_3ELNS0_20block_scan_algorithmE0ELj4294967295EEENS1_25partition_config_selectorILNS1_17partition_subalgoE3EjNS0_10empty_typeEbEEZZNS1_14partition_implILS8_3ELb0ES6_jNS0_17counting_iteratorIjlEEPS9_SE_NS0_5tupleIJPjSE_EEENSF_IJSE_SE_EEES9_SG_JZNS1_25segmented_radix_sort_implINS0_14default_configELb1EPKaPaPKlPlN2at6native12_GLOBAL__N_18offset_tEEE10hipError_tPvRmT1_PNSt15iterator_traitsISY_E10value_typeET2_T3_PNSZ_IS14_E10value_typeET4_jRbjT5_S1A_jjP12ihipStream_tbEUljE_EEESV_SW_SX_S14_S18_S1A_T6_T7_T9_mT8_S1C_bDpT10_ENKUlT_T0_E_clISt17integral_constantIbLb0EES1P_EEDaS1K_S1L_EUlS1K_E_NS1_11comp_targetILNS1_3genE8ELNS1_11target_archE1030ELNS1_3gpuE2ELNS1_3repE0EEENS1_30default_config_static_selectorELNS0_4arch9wavefront6targetE1EEEvSY_,"axG",@progbits,_ZN7rocprim17ROCPRIM_400000_NS6detail17trampoline_kernelINS0_13select_configILj256ELj13ELNS0_17block_load_methodE3ELS4_3ELS4_3ELNS0_20block_scan_algorithmE0ELj4294967295EEENS1_25partition_config_selectorILNS1_17partition_subalgoE3EjNS0_10empty_typeEbEEZZNS1_14partition_implILS8_3ELb0ES6_jNS0_17counting_iteratorIjlEEPS9_SE_NS0_5tupleIJPjSE_EEENSF_IJSE_SE_EEES9_SG_JZNS1_25segmented_radix_sort_implINS0_14default_configELb1EPKaPaPKlPlN2at6native12_GLOBAL__N_18offset_tEEE10hipError_tPvRmT1_PNSt15iterator_traitsISY_E10value_typeET2_T3_PNSZ_IS14_E10value_typeET4_jRbjT5_S1A_jjP12ihipStream_tbEUljE_EEESV_SW_SX_S14_S18_S1A_T6_T7_T9_mT8_S1C_bDpT10_ENKUlT_T0_E_clISt17integral_constantIbLb0EES1P_EEDaS1K_S1L_EUlS1K_E_NS1_11comp_targetILNS1_3genE8ELNS1_11target_archE1030ELNS1_3gpuE2ELNS1_3repE0EEENS1_30default_config_static_selectorELNS0_4arch9wavefront6targetE1EEEvSY_,comdat
.Lfunc_end265:
	.size	_ZN7rocprim17ROCPRIM_400000_NS6detail17trampoline_kernelINS0_13select_configILj256ELj13ELNS0_17block_load_methodE3ELS4_3ELS4_3ELNS0_20block_scan_algorithmE0ELj4294967295EEENS1_25partition_config_selectorILNS1_17partition_subalgoE3EjNS0_10empty_typeEbEEZZNS1_14partition_implILS8_3ELb0ES6_jNS0_17counting_iteratorIjlEEPS9_SE_NS0_5tupleIJPjSE_EEENSF_IJSE_SE_EEES9_SG_JZNS1_25segmented_radix_sort_implINS0_14default_configELb1EPKaPaPKlPlN2at6native12_GLOBAL__N_18offset_tEEE10hipError_tPvRmT1_PNSt15iterator_traitsISY_E10value_typeET2_T3_PNSZ_IS14_E10value_typeET4_jRbjT5_S1A_jjP12ihipStream_tbEUljE_EEESV_SW_SX_S14_S18_S1A_T6_T7_T9_mT8_S1C_bDpT10_ENKUlT_T0_E_clISt17integral_constantIbLb0EES1P_EEDaS1K_S1L_EUlS1K_E_NS1_11comp_targetILNS1_3genE8ELNS1_11target_archE1030ELNS1_3gpuE2ELNS1_3repE0EEENS1_30default_config_static_selectorELNS0_4arch9wavefront6targetE1EEEvSY_, .Lfunc_end265-_ZN7rocprim17ROCPRIM_400000_NS6detail17trampoline_kernelINS0_13select_configILj256ELj13ELNS0_17block_load_methodE3ELS4_3ELS4_3ELNS0_20block_scan_algorithmE0ELj4294967295EEENS1_25partition_config_selectorILNS1_17partition_subalgoE3EjNS0_10empty_typeEbEEZZNS1_14partition_implILS8_3ELb0ES6_jNS0_17counting_iteratorIjlEEPS9_SE_NS0_5tupleIJPjSE_EEENSF_IJSE_SE_EEES9_SG_JZNS1_25segmented_radix_sort_implINS0_14default_configELb1EPKaPaPKlPlN2at6native12_GLOBAL__N_18offset_tEEE10hipError_tPvRmT1_PNSt15iterator_traitsISY_E10value_typeET2_T3_PNSZ_IS14_E10value_typeET4_jRbjT5_S1A_jjP12ihipStream_tbEUljE_EEESV_SW_SX_S14_S18_S1A_T6_T7_T9_mT8_S1C_bDpT10_ENKUlT_T0_E_clISt17integral_constantIbLb0EES1P_EEDaS1K_S1L_EUlS1K_E_NS1_11comp_targetILNS1_3genE8ELNS1_11target_archE1030ELNS1_3gpuE2ELNS1_3repE0EEENS1_30default_config_static_selectorELNS0_4arch9wavefront6targetE1EEEvSY_
                                        ; -- End function
	.set _ZN7rocprim17ROCPRIM_400000_NS6detail17trampoline_kernelINS0_13select_configILj256ELj13ELNS0_17block_load_methodE3ELS4_3ELS4_3ELNS0_20block_scan_algorithmE0ELj4294967295EEENS1_25partition_config_selectorILNS1_17partition_subalgoE3EjNS0_10empty_typeEbEEZZNS1_14partition_implILS8_3ELb0ES6_jNS0_17counting_iteratorIjlEEPS9_SE_NS0_5tupleIJPjSE_EEENSF_IJSE_SE_EEES9_SG_JZNS1_25segmented_radix_sort_implINS0_14default_configELb1EPKaPaPKlPlN2at6native12_GLOBAL__N_18offset_tEEE10hipError_tPvRmT1_PNSt15iterator_traitsISY_E10value_typeET2_T3_PNSZ_IS14_E10value_typeET4_jRbjT5_S1A_jjP12ihipStream_tbEUljE_EEESV_SW_SX_S14_S18_S1A_T6_T7_T9_mT8_S1C_bDpT10_ENKUlT_T0_E_clISt17integral_constantIbLb0EES1P_EEDaS1K_S1L_EUlS1K_E_NS1_11comp_targetILNS1_3genE8ELNS1_11target_archE1030ELNS1_3gpuE2ELNS1_3repE0EEENS1_30default_config_static_selectorELNS0_4arch9wavefront6targetE1EEEvSY_.num_vgpr, 0
	.set _ZN7rocprim17ROCPRIM_400000_NS6detail17trampoline_kernelINS0_13select_configILj256ELj13ELNS0_17block_load_methodE3ELS4_3ELS4_3ELNS0_20block_scan_algorithmE0ELj4294967295EEENS1_25partition_config_selectorILNS1_17partition_subalgoE3EjNS0_10empty_typeEbEEZZNS1_14partition_implILS8_3ELb0ES6_jNS0_17counting_iteratorIjlEEPS9_SE_NS0_5tupleIJPjSE_EEENSF_IJSE_SE_EEES9_SG_JZNS1_25segmented_radix_sort_implINS0_14default_configELb1EPKaPaPKlPlN2at6native12_GLOBAL__N_18offset_tEEE10hipError_tPvRmT1_PNSt15iterator_traitsISY_E10value_typeET2_T3_PNSZ_IS14_E10value_typeET4_jRbjT5_S1A_jjP12ihipStream_tbEUljE_EEESV_SW_SX_S14_S18_S1A_T6_T7_T9_mT8_S1C_bDpT10_ENKUlT_T0_E_clISt17integral_constantIbLb0EES1P_EEDaS1K_S1L_EUlS1K_E_NS1_11comp_targetILNS1_3genE8ELNS1_11target_archE1030ELNS1_3gpuE2ELNS1_3repE0EEENS1_30default_config_static_selectorELNS0_4arch9wavefront6targetE1EEEvSY_.num_agpr, 0
	.set _ZN7rocprim17ROCPRIM_400000_NS6detail17trampoline_kernelINS0_13select_configILj256ELj13ELNS0_17block_load_methodE3ELS4_3ELS4_3ELNS0_20block_scan_algorithmE0ELj4294967295EEENS1_25partition_config_selectorILNS1_17partition_subalgoE3EjNS0_10empty_typeEbEEZZNS1_14partition_implILS8_3ELb0ES6_jNS0_17counting_iteratorIjlEEPS9_SE_NS0_5tupleIJPjSE_EEENSF_IJSE_SE_EEES9_SG_JZNS1_25segmented_radix_sort_implINS0_14default_configELb1EPKaPaPKlPlN2at6native12_GLOBAL__N_18offset_tEEE10hipError_tPvRmT1_PNSt15iterator_traitsISY_E10value_typeET2_T3_PNSZ_IS14_E10value_typeET4_jRbjT5_S1A_jjP12ihipStream_tbEUljE_EEESV_SW_SX_S14_S18_S1A_T6_T7_T9_mT8_S1C_bDpT10_ENKUlT_T0_E_clISt17integral_constantIbLb0EES1P_EEDaS1K_S1L_EUlS1K_E_NS1_11comp_targetILNS1_3genE8ELNS1_11target_archE1030ELNS1_3gpuE2ELNS1_3repE0EEENS1_30default_config_static_selectorELNS0_4arch9wavefront6targetE1EEEvSY_.numbered_sgpr, 0
	.set _ZN7rocprim17ROCPRIM_400000_NS6detail17trampoline_kernelINS0_13select_configILj256ELj13ELNS0_17block_load_methodE3ELS4_3ELS4_3ELNS0_20block_scan_algorithmE0ELj4294967295EEENS1_25partition_config_selectorILNS1_17partition_subalgoE3EjNS0_10empty_typeEbEEZZNS1_14partition_implILS8_3ELb0ES6_jNS0_17counting_iteratorIjlEEPS9_SE_NS0_5tupleIJPjSE_EEENSF_IJSE_SE_EEES9_SG_JZNS1_25segmented_radix_sort_implINS0_14default_configELb1EPKaPaPKlPlN2at6native12_GLOBAL__N_18offset_tEEE10hipError_tPvRmT1_PNSt15iterator_traitsISY_E10value_typeET2_T3_PNSZ_IS14_E10value_typeET4_jRbjT5_S1A_jjP12ihipStream_tbEUljE_EEESV_SW_SX_S14_S18_S1A_T6_T7_T9_mT8_S1C_bDpT10_ENKUlT_T0_E_clISt17integral_constantIbLb0EES1P_EEDaS1K_S1L_EUlS1K_E_NS1_11comp_targetILNS1_3genE8ELNS1_11target_archE1030ELNS1_3gpuE2ELNS1_3repE0EEENS1_30default_config_static_selectorELNS0_4arch9wavefront6targetE1EEEvSY_.num_named_barrier, 0
	.set _ZN7rocprim17ROCPRIM_400000_NS6detail17trampoline_kernelINS0_13select_configILj256ELj13ELNS0_17block_load_methodE3ELS4_3ELS4_3ELNS0_20block_scan_algorithmE0ELj4294967295EEENS1_25partition_config_selectorILNS1_17partition_subalgoE3EjNS0_10empty_typeEbEEZZNS1_14partition_implILS8_3ELb0ES6_jNS0_17counting_iteratorIjlEEPS9_SE_NS0_5tupleIJPjSE_EEENSF_IJSE_SE_EEES9_SG_JZNS1_25segmented_radix_sort_implINS0_14default_configELb1EPKaPaPKlPlN2at6native12_GLOBAL__N_18offset_tEEE10hipError_tPvRmT1_PNSt15iterator_traitsISY_E10value_typeET2_T3_PNSZ_IS14_E10value_typeET4_jRbjT5_S1A_jjP12ihipStream_tbEUljE_EEESV_SW_SX_S14_S18_S1A_T6_T7_T9_mT8_S1C_bDpT10_ENKUlT_T0_E_clISt17integral_constantIbLb0EES1P_EEDaS1K_S1L_EUlS1K_E_NS1_11comp_targetILNS1_3genE8ELNS1_11target_archE1030ELNS1_3gpuE2ELNS1_3repE0EEENS1_30default_config_static_selectorELNS0_4arch9wavefront6targetE1EEEvSY_.private_seg_size, 0
	.set _ZN7rocprim17ROCPRIM_400000_NS6detail17trampoline_kernelINS0_13select_configILj256ELj13ELNS0_17block_load_methodE3ELS4_3ELS4_3ELNS0_20block_scan_algorithmE0ELj4294967295EEENS1_25partition_config_selectorILNS1_17partition_subalgoE3EjNS0_10empty_typeEbEEZZNS1_14partition_implILS8_3ELb0ES6_jNS0_17counting_iteratorIjlEEPS9_SE_NS0_5tupleIJPjSE_EEENSF_IJSE_SE_EEES9_SG_JZNS1_25segmented_radix_sort_implINS0_14default_configELb1EPKaPaPKlPlN2at6native12_GLOBAL__N_18offset_tEEE10hipError_tPvRmT1_PNSt15iterator_traitsISY_E10value_typeET2_T3_PNSZ_IS14_E10value_typeET4_jRbjT5_S1A_jjP12ihipStream_tbEUljE_EEESV_SW_SX_S14_S18_S1A_T6_T7_T9_mT8_S1C_bDpT10_ENKUlT_T0_E_clISt17integral_constantIbLb0EES1P_EEDaS1K_S1L_EUlS1K_E_NS1_11comp_targetILNS1_3genE8ELNS1_11target_archE1030ELNS1_3gpuE2ELNS1_3repE0EEENS1_30default_config_static_selectorELNS0_4arch9wavefront6targetE1EEEvSY_.uses_vcc, 0
	.set _ZN7rocprim17ROCPRIM_400000_NS6detail17trampoline_kernelINS0_13select_configILj256ELj13ELNS0_17block_load_methodE3ELS4_3ELS4_3ELNS0_20block_scan_algorithmE0ELj4294967295EEENS1_25partition_config_selectorILNS1_17partition_subalgoE3EjNS0_10empty_typeEbEEZZNS1_14partition_implILS8_3ELb0ES6_jNS0_17counting_iteratorIjlEEPS9_SE_NS0_5tupleIJPjSE_EEENSF_IJSE_SE_EEES9_SG_JZNS1_25segmented_radix_sort_implINS0_14default_configELb1EPKaPaPKlPlN2at6native12_GLOBAL__N_18offset_tEEE10hipError_tPvRmT1_PNSt15iterator_traitsISY_E10value_typeET2_T3_PNSZ_IS14_E10value_typeET4_jRbjT5_S1A_jjP12ihipStream_tbEUljE_EEESV_SW_SX_S14_S18_S1A_T6_T7_T9_mT8_S1C_bDpT10_ENKUlT_T0_E_clISt17integral_constantIbLb0EES1P_EEDaS1K_S1L_EUlS1K_E_NS1_11comp_targetILNS1_3genE8ELNS1_11target_archE1030ELNS1_3gpuE2ELNS1_3repE0EEENS1_30default_config_static_selectorELNS0_4arch9wavefront6targetE1EEEvSY_.uses_flat_scratch, 0
	.set _ZN7rocprim17ROCPRIM_400000_NS6detail17trampoline_kernelINS0_13select_configILj256ELj13ELNS0_17block_load_methodE3ELS4_3ELS4_3ELNS0_20block_scan_algorithmE0ELj4294967295EEENS1_25partition_config_selectorILNS1_17partition_subalgoE3EjNS0_10empty_typeEbEEZZNS1_14partition_implILS8_3ELb0ES6_jNS0_17counting_iteratorIjlEEPS9_SE_NS0_5tupleIJPjSE_EEENSF_IJSE_SE_EEES9_SG_JZNS1_25segmented_radix_sort_implINS0_14default_configELb1EPKaPaPKlPlN2at6native12_GLOBAL__N_18offset_tEEE10hipError_tPvRmT1_PNSt15iterator_traitsISY_E10value_typeET2_T3_PNSZ_IS14_E10value_typeET4_jRbjT5_S1A_jjP12ihipStream_tbEUljE_EEESV_SW_SX_S14_S18_S1A_T6_T7_T9_mT8_S1C_bDpT10_ENKUlT_T0_E_clISt17integral_constantIbLb0EES1P_EEDaS1K_S1L_EUlS1K_E_NS1_11comp_targetILNS1_3genE8ELNS1_11target_archE1030ELNS1_3gpuE2ELNS1_3repE0EEENS1_30default_config_static_selectorELNS0_4arch9wavefront6targetE1EEEvSY_.has_dyn_sized_stack, 0
	.set _ZN7rocprim17ROCPRIM_400000_NS6detail17trampoline_kernelINS0_13select_configILj256ELj13ELNS0_17block_load_methodE3ELS4_3ELS4_3ELNS0_20block_scan_algorithmE0ELj4294967295EEENS1_25partition_config_selectorILNS1_17partition_subalgoE3EjNS0_10empty_typeEbEEZZNS1_14partition_implILS8_3ELb0ES6_jNS0_17counting_iteratorIjlEEPS9_SE_NS0_5tupleIJPjSE_EEENSF_IJSE_SE_EEES9_SG_JZNS1_25segmented_radix_sort_implINS0_14default_configELb1EPKaPaPKlPlN2at6native12_GLOBAL__N_18offset_tEEE10hipError_tPvRmT1_PNSt15iterator_traitsISY_E10value_typeET2_T3_PNSZ_IS14_E10value_typeET4_jRbjT5_S1A_jjP12ihipStream_tbEUljE_EEESV_SW_SX_S14_S18_S1A_T6_T7_T9_mT8_S1C_bDpT10_ENKUlT_T0_E_clISt17integral_constantIbLb0EES1P_EEDaS1K_S1L_EUlS1K_E_NS1_11comp_targetILNS1_3genE8ELNS1_11target_archE1030ELNS1_3gpuE2ELNS1_3repE0EEENS1_30default_config_static_selectorELNS0_4arch9wavefront6targetE1EEEvSY_.has_recursion, 0
	.set _ZN7rocprim17ROCPRIM_400000_NS6detail17trampoline_kernelINS0_13select_configILj256ELj13ELNS0_17block_load_methodE3ELS4_3ELS4_3ELNS0_20block_scan_algorithmE0ELj4294967295EEENS1_25partition_config_selectorILNS1_17partition_subalgoE3EjNS0_10empty_typeEbEEZZNS1_14partition_implILS8_3ELb0ES6_jNS0_17counting_iteratorIjlEEPS9_SE_NS0_5tupleIJPjSE_EEENSF_IJSE_SE_EEES9_SG_JZNS1_25segmented_radix_sort_implINS0_14default_configELb1EPKaPaPKlPlN2at6native12_GLOBAL__N_18offset_tEEE10hipError_tPvRmT1_PNSt15iterator_traitsISY_E10value_typeET2_T3_PNSZ_IS14_E10value_typeET4_jRbjT5_S1A_jjP12ihipStream_tbEUljE_EEESV_SW_SX_S14_S18_S1A_T6_T7_T9_mT8_S1C_bDpT10_ENKUlT_T0_E_clISt17integral_constantIbLb0EES1P_EEDaS1K_S1L_EUlS1K_E_NS1_11comp_targetILNS1_3genE8ELNS1_11target_archE1030ELNS1_3gpuE2ELNS1_3repE0EEENS1_30default_config_static_selectorELNS0_4arch9wavefront6targetE1EEEvSY_.has_indirect_call, 0
	.section	.AMDGPU.csdata,"",@progbits
; Kernel info:
; codeLenInByte = 0
; TotalNumSgprs: 4
; NumVgprs: 0
; ScratchSize: 0
; MemoryBound: 0
; FloatMode: 240
; IeeeMode: 1
; LDSByteSize: 0 bytes/workgroup (compile time only)
; SGPRBlocks: 0
; VGPRBlocks: 0
; NumSGPRsForWavesPerEU: 4
; NumVGPRsForWavesPerEU: 1
; Occupancy: 10
; WaveLimiterHint : 0
; COMPUTE_PGM_RSRC2:SCRATCH_EN: 0
; COMPUTE_PGM_RSRC2:USER_SGPR: 6
; COMPUTE_PGM_RSRC2:TRAP_HANDLER: 0
; COMPUTE_PGM_RSRC2:TGID_X_EN: 1
; COMPUTE_PGM_RSRC2:TGID_Y_EN: 0
; COMPUTE_PGM_RSRC2:TGID_Z_EN: 0
; COMPUTE_PGM_RSRC2:TIDIG_COMP_CNT: 0
	.section	.text._ZN7rocprim17ROCPRIM_400000_NS6detail17trampoline_kernelINS0_13select_configILj256ELj13ELNS0_17block_load_methodE3ELS4_3ELS4_3ELNS0_20block_scan_algorithmE0ELj4294967295EEENS1_25partition_config_selectorILNS1_17partition_subalgoE3EjNS0_10empty_typeEbEEZZNS1_14partition_implILS8_3ELb0ES6_jNS0_17counting_iteratorIjlEEPS9_SE_NS0_5tupleIJPjSE_EEENSF_IJSE_SE_EEES9_SG_JZNS1_25segmented_radix_sort_implINS0_14default_configELb1EPKaPaPKlPlN2at6native12_GLOBAL__N_18offset_tEEE10hipError_tPvRmT1_PNSt15iterator_traitsISY_E10value_typeET2_T3_PNSZ_IS14_E10value_typeET4_jRbjT5_S1A_jjP12ihipStream_tbEUljE_EEESV_SW_SX_S14_S18_S1A_T6_T7_T9_mT8_S1C_bDpT10_ENKUlT_T0_E_clISt17integral_constantIbLb1EES1P_EEDaS1K_S1L_EUlS1K_E_NS1_11comp_targetILNS1_3genE0ELNS1_11target_archE4294967295ELNS1_3gpuE0ELNS1_3repE0EEENS1_30default_config_static_selectorELNS0_4arch9wavefront6targetE1EEEvSY_,"axG",@progbits,_ZN7rocprim17ROCPRIM_400000_NS6detail17trampoline_kernelINS0_13select_configILj256ELj13ELNS0_17block_load_methodE3ELS4_3ELS4_3ELNS0_20block_scan_algorithmE0ELj4294967295EEENS1_25partition_config_selectorILNS1_17partition_subalgoE3EjNS0_10empty_typeEbEEZZNS1_14partition_implILS8_3ELb0ES6_jNS0_17counting_iteratorIjlEEPS9_SE_NS0_5tupleIJPjSE_EEENSF_IJSE_SE_EEES9_SG_JZNS1_25segmented_radix_sort_implINS0_14default_configELb1EPKaPaPKlPlN2at6native12_GLOBAL__N_18offset_tEEE10hipError_tPvRmT1_PNSt15iterator_traitsISY_E10value_typeET2_T3_PNSZ_IS14_E10value_typeET4_jRbjT5_S1A_jjP12ihipStream_tbEUljE_EEESV_SW_SX_S14_S18_S1A_T6_T7_T9_mT8_S1C_bDpT10_ENKUlT_T0_E_clISt17integral_constantIbLb1EES1P_EEDaS1K_S1L_EUlS1K_E_NS1_11comp_targetILNS1_3genE0ELNS1_11target_archE4294967295ELNS1_3gpuE0ELNS1_3repE0EEENS1_30default_config_static_selectorELNS0_4arch9wavefront6targetE1EEEvSY_,comdat
	.globl	_ZN7rocprim17ROCPRIM_400000_NS6detail17trampoline_kernelINS0_13select_configILj256ELj13ELNS0_17block_load_methodE3ELS4_3ELS4_3ELNS0_20block_scan_algorithmE0ELj4294967295EEENS1_25partition_config_selectorILNS1_17partition_subalgoE3EjNS0_10empty_typeEbEEZZNS1_14partition_implILS8_3ELb0ES6_jNS0_17counting_iteratorIjlEEPS9_SE_NS0_5tupleIJPjSE_EEENSF_IJSE_SE_EEES9_SG_JZNS1_25segmented_radix_sort_implINS0_14default_configELb1EPKaPaPKlPlN2at6native12_GLOBAL__N_18offset_tEEE10hipError_tPvRmT1_PNSt15iterator_traitsISY_E10value_typeET2_T3_PNSZ_IS14_E10value_typeET4_jRbjT5_S1A_jjP12ihipStream_tbEUljE_EEESV_SW_SX_S14_S18_S1A_T6_T7_T9_mT8_S1C_bDpT10_ENKUlT_T0_E_clISt17integral_constantIbLb1EES1P_EEDaS1K_S1L_EUlS1K_E_NS1_11comp_targetILNS1_3genE0ELNS1_11target_archE4294967295ELNS1_3gpuE0ELNS1_3repE0EEENS1_30default_config_static_selectorELNS0_4arch9wavefront6targetE1EEEvSY_ ; -- Begin function _ZN7rocprim17ROCPRIM_400000_NS6detail17trampoline_kernelINS0_13select_configILj256ELj13ELNS0_17block_load_methodE3ELS4_3ELS4_3ELNS0_20block_scan_algorithmE0ELj4294967295EEENS1_25partition_config_selectorILNS1_17partition_subalgoE3EjNS0_10empty_typeEbEEZZNS1_14partition_implILS8_3ELb0ES6_jNS0_17counting_iteratorIjlEEPS9_SE_NS0_5tupleIJPjSE_EEENSF_IJSE_SE_EEES9_SG_JZNS1_25segmented_radix_sort_implINS0_14default_configELb1EPKaPaPKlPlN2at6native12_GLOBAL__N_18offset_tEEE10hipError_tPvRmT1_PNSt15iterator_traitsISY_E10value_typeET2_T3_PNSZ_IS14_E10value_typeET4_jRbjT5_S1A_jjP12ihipStream_tbEUljE_EEESV_SW_SX_S14_S18_S1A_T6_T7_T9_mT8_S1C_bDpT10_ENKUlT_T0_E_clISt17integral_constantIbLb1EES1P_EEDaS1K_S1L_EUlS1K_E_NS1_11comp_targetILNS1_3genE0ELNS1_11target_archE4294967295ELNS1_3gpuE0ELNS1_3repE0EEENS1_30default_config_static_selectorELNS0_4arch9wavefront6targetE1EEEvSY_
	.p2align	8
	.type	_ZN7rocprim17ROCPRIM_400000_NS6detail17trampoline_kernelINS0_13select_configILj256ELj13ELNS0_17block_load_methodE3ELS4_3ELS4_3ELNS0_20block_scan_algorithmE0ELj4294967295EEENS1_25partition_config_selectorILNS1_17partition_subalgoE3EjNS0_10empty_typeEbEEZZNS1_14partition_implILS8_3ELb0ES6_jNS0_17counting_iteratorIjlEEPS9_SE_NS0_5tupleIJPjSE_EEENSF_IJSE_SE_EEES9_SG_JZNS1_25segmented_radix_sort_implINS0_14default_configELb1EPKaPaPKlPlN2at6native12_GLOBAL__N_18offset_tEEE10hipError_tPvRmT1_PNSt15iterator_traitsISY_E10value_typeET2_T3_PNSZ_IS14_E10value_typeET4_jRbjT5_S1A_jjP12ihipStream_tbEUljE_EEESV_SW_SX_S14_S18_S1A_T6_T7_T9_mT8_S1C_bDpT10_ENKUlT_T0_E_clISt17integral_constantIbLb1EES1P_EEDaS1K_S1L_EUlS1K_E_NS1_11comp_targetILNS1_3genE0ELNS1_11target_archE4294967295ELNS1_3gpuE0ELNS1_3repE0EEENS1_30default_config_static_selectorELNS0_4arch9wavefront6targetE1EEEvSY_,@function
_ZN7rocprim17ROCPRIM_400000_NS6detail17trampoline_kernelINS0_13select_configILj256ELj13ELNS0_17block_load_methodE3ELS4_3ELS4_3ELNS0_20block_scan_algorithmE0ELj4294967295EEENS1_25partition_config_selectorILNS1_17partition_subalgoE3EjNS0_10empty_typeEbEEZZNS1_14partition_implILS8_3ELb0ES6_jNS0_17counting_iteratorIjlEEPS9_SE_NS0_5tupleIJPjSE_EEENSF_IJSE_SE_EEES9_SG_JZNS1_25segmented_radix_sort_implINS0_14default_configELb1EPKaPaPKlPlN2at6native12_GLOBAL__N_18offset_tEEE10hipError_tPvRmT1_PNSt15iterator_traitsISY_E10value_typeET2_T3_PNSZ_IS14_E10value_typeET4_jRbjT5_S1A_jjP12ihipStream_tbEUljE_EEESV_SW_SX_S14_S18_S1A_T6_T7_T9_mT8_S1C_bDpT10_ENKUlT_T0_E_clISt17integral_constantIbLb1EES1P_EEDaS1K_S1L_EUlS1K_E_NS1_11comp_targetILNS1_3genE0ELNS1_11target_archE4294967295ELNS1_3gpuE0ELNS1_3repE0EEENS1_30default_config_static_selectorELNS0_4arch9wavefront6targetE1EEEvSY_: ; @_ZN7rocprim17ROCPRIM_400000_NS6detail17trampoline_kernelINS0_13select_configILj256ELj13ELNS0_17block_load_methodE3ELS4_3ELS4_3ELNS0_20block_scan_algorithmE0ELj4294967295EEENS1_25partition_config_selectorILNS1_17partition_subalgoE3EjNS0_10empty_typeEbEEZZNS1_14partition_implILS8_3ELb0ES6_jNS0_17counting_iteratorIjlEEPS9_SE_NS0_5tupleIJPjSE_EEENSF_IJSE_SE_EEES9_SG_JZNS1_25segmented_radix_sort_implINS0_14default_configELb1EPKaPaPKlPlN2at6native12_GLOBAL__N_18offset_tEEE10hipError_tPvRmT1_PNSt15iterator_traitsISY_E10value_typeET2_T3_PNSZ_IS14_E10value_typeET4_jRbjT5_S1A_jjP12ihipStream_tbEUljE_EEESV_SW_SX_S14_S18_S1A_T6_T7_T9_mT8_S1C_bDpT10_ENKUlT_T0_E_clISt17integral_constantIbLb1EES1P_EEDaS1K_S1L_EUlS1K_E_NS1_11comp_targetILNS1_3genE0ELNS1_11target_archE4294967295ELNS1_3gpuE0ELNS1_3repE0EEENS1_30default_config_static_selectorELNS0_4arch9wavefront6targetE1EEEvSY_
; %bb.0:
	.section	.rodata,"a",@progbits
	.p2align	6, 0x0
	.amdhsa_kernel _ZN7rocprim17ROCPRIM_400000_NS6detail17trampoline_kernelINS0_13select_configILj256ELj13ELNS0_17block_load_methodE3ELS4_3ELS4_3ELNS0_20block_scan_algorithmE0ELj4294967295EEENS1_25partition_config_selectorILNS1_17partition_subalgoE3EjNS0_10empty_typeEbEEZZNS1_14partition_implILS8_3ELb0ES6_jNS0_17counting_iteratorIjlEEPS9_SE_NS0_5tupleIJPjSE_EEENSF_IJSE_SE_EEES9_SG_JZNS1_25segmented_radix_sort_implINS0_14default_configELb1EPKaPaPKlPlN2at6native12_GLOBAL__N_18offset_tEEE10hipError_tPvRmT1_PNSt15iterator_traitsISY_E10value_typeET2_T3_PNSZ_IS14_E10value_typeET4_jRbjT5_S1A_jjP12ihipStream_tbEUljE_EEESV_SW_SX_S14_S18_S1A_T6_T7_T9_mT8_S1C_bDpT10_ENKUlT_T0_E_clISt17integral_constantIbLb1EES1P_EEDaS1K_S1L_EUlS1K_E_NS1_11comp_targetILNS1_3genE0ELNS1_11target_archE4294967295ELNS1_3gpuE0ELNS1_3repE0EEENS1_30default_config_static_selectorELNS0_4arch9wavefront6targetE1EEEvSY_
		.amdhsa_group_segment_fixed_size 0
		.amdhsa_private_segment_fixed_size 0
		.amdhsa_kernarg_size 152
		.amdhsa_user_sgpr_count 6
		.amdhsa_user_sgpr_private_segment_buffer 1
		.amdhsa_user_sgpr_dispatch_ptr 0
		.amdhsa_user_sgpr_queue_ptr 0
		.amdhsa_user_sgpr_kernarg_segment_ptr 1
		.amdhsa_user_sgpr_dispatch_id 0
		.amdhsa_user_sgpr_flat_scratch_init 0
		.amdhsa_user_sgpr_private_segment_size 0
		.amdhsa_uses_dynamic_stack 0
		.amdhsa_system_sgpr_private_segment_wavefront_offset 0
		.amdhsa_system_sgpr_workgroup_id_x 1
		.amdhsa_system_sgpr_workgroup_id_y 0
		.amdhsa_system_sgpr_workgroup_id_z 0
		.amdhsa_system_sgpr_workgroup_info 0
		.amdhsa_system_vgpr_workitem_id 0
		.amdhsa_next_free_vgpr 1
		.amdhsa_next_free_sgpr 0
		.amdhsa_reserve_vcc 0
		.amdhsa_reserve_flat_scratch 0
		.amdhsa_float_round_mode_32 0
		.amdhsa_float_round_mode_16_64 0
		.amdhsa_float_denorm_mode_32 3
		.amdhsa_float_denorm_mode_16_64 3
		.amdhsa_dx10_clamp 1
		.amdhsa_ieee_mode 1
		.amdhsa_fp16_overflow 0
		.amdhsa_exception_fp_ieee_invalid_op 0
		.amdhsa_exception_fp_denorm_src 0
		.amdhsa_exception_fp_ieee_div_zero 0
		.amdhsa_exception_fp_ieee_overflow 0
		.amdhsa_exception_fp_ieee_underflow 0
		.amdhsa_exception_fp_ieee_inexact 0
		.amdhsa_exception_int_div_zero 0
	.end_amdhsa_kernel
	.section	.text._ZN7rocprim17ROCPRIM_400000_NS6detail17trampoline_kernelINS0_13select_configILj256ELj13ELNS0_17block_load_methodE3ELS4_3ELS4_3ELNS0_20block_scan_algorithmE0ELj4294967295EEENS1_25partition_config_selectorILNS1_17partition_subalgoE3EjNS0_10empty_typeEbEEZZNS1_14partition_implILS8_3ELb0ES6_jNS0_17counting_iteratorIjlEEPS9_SE_NS0_5tupleIJPjSE_EEENSF_IJSE_SE_EEES9_SG_JZNS1_25segmented_radix_sort_implINS0_14default_configELb1EPKaPaPKlPlN2at6native12_GLOBAL__N_18offset_tEEE10hipError_tPvRmT1_PNSt15iterator_traitsISY_E10value_typeET2_T3_PNSZ_IS14_E10value_typeET4_jRbjT5_S1A_jjP12ihipStream_tbEUljE_EEESV_SW_SX_S14_S18_S1A_T6_T7_T9_mT8_S1C_bDpT10_ENKUlT_T0_E_clISt17integral_constantIbLb1EES1P_EEDaS1K_S1L_EUlS1K_E_NS1_11comp_targetILNS1_3genE0ELNS1_11target_archE4294967295ELNS1_3gpuE0ELNS1_3repE0EEENS1_30default_config_static_selectorELNS0_4arch9wavefront6targetE1EEEvSY_,"axG",@progbits,_ZN7rocprim17ROCPRIM_400000_NS6detail17trampoline_kernelINS0_13select_configILj256ELj13ELNS0_17block_load_methodE3ELS4_3ELS4_3ELNS0_20block_scan_algorithmE0ELj4294967295EEENS1_25partition_config_selectorILNS1_17partition_subalgoE3EjNS0_10empty_typeEbEEZZNS1_14partition_implILS8_3ELb0ES6_jNS0_17counting_iteratorIjlEEPS9_SE_NS0_5tupleIJPjSE_EEENSF_IJSE_SE_EEES9_SG_JZNS1_25segmented_radix_sort_implINS0_14default_configELb1EPKaPaPKlPlN2at6native12_GLOBAL__N_18offset_tEEE10hipError_tPvRmT1_PNSt15iterator_traitsISY_E10value_typeET2_T3_PNSZ_IS14_E10value_typeET4_jRbjT5_S1A_jjP12ihipStream_tbEUljE_EEESV_SW_SX_S14_S18_S1A_T6_T7_T9_mT8_S1C_bDpT10_ENKUlT_T0_E_clISt17integral_constantIbLb1EES1P_EEDaS1K_S1L_EUlS1K_E_NS1_11comp_targetILNS1_3genE0ELNS1_11target_archE4294967295ELNS1_3gpuE0ELNS1_3repE0EEENS1_30default_config_static_selectorELNS0_4arch9wavefront6targetE1EEEvSY_,comdat
.Lfunc_end266:
	.size	_ZN7rocprim17ROCPRIM_400000_NS6detail17trampoline_kernelINS0_13select_configILj256ELj13ELNS0_17block_load_methodE3ELS4_3ELS4_3ELNS0_20block_scan_algorithmE0ELj4294967295EEENS1_25partition_config_selectorILNS1_17partition_subalgoE3EjNS0_10empty_typeEbEEZZNS1_14partition_implILS8_3ELb0ES6_jNS0_17counting_iteratorIjlEEPS9_SE_NS0_5tupleIJPjSE_EEENSF_IJSE_SE_EEES9_SG_JZNS1_25segmented_radix_sort_implINS0_14default_configELb1EPKaPaPKlPlN2at6native12_GLOBAL__N_18offset_tEEE10hipError_tPvRmT1_PNSt15iterator_traitsISY_E10value_typeET2_T3_PNSZ_IS14_E10value_typeET4_jRbjT5_S1A_jjP12ihipStream_tbEUljE_EEESV_SW_SX_S14_S18_S1A_T6_T7_T9_mT8_S1C_bDpT10_ENKUlT_T0_E_clISt17integral_constantIbLb1EES1P_EEDaS1K_S1L_EUlS1K_E_NS1_11comp_targetILNS1_3genE0ELNS1_11target_archE4294967295ELNS1_3gpuE0ELNS1_3repE0EEENS1_30default_config_static_selectorELNS0_4arch9wavefront6targetE1EEEvSY_, .Lfunc_end266-_ZN7rocprim17ROCPRIM_400000_NS6detail17trampoline_kernelINS0_13select_configILj256ELj13ELNS0_17block_load_methodE3ELS4_3ELS4_3ELNS0_20block_scan_algorithmE0ELj4294967295EEENS1_25partition_config_selectorILNS1_17partition_subalgoE3EjNS0_10empty_typeEbEEZZNS1_14partition_implILS8_3ELb0ES6_jNS0_17counting_iteratorIjlEEPS9_SE_NS0_5tupleIJPjSE_EEENSF_IJSE_SE_EEES9_SG_JZNS1_25segmented_radix_sort_implINS0_14default_configELb1EPKaPaPKlPlN2at6native12_GLOBAL__N_18offset_tEEE10hipError_tPvRmT1_PNSt15iterator_traitsISY_E10value_typeET2_T3_PNSZ_IS14_E10value_typeET4_jRbjT5_S1A_jjP12ihipStream_tbEUljE_EEESV_SW_SX_S14_S18_S1A_T6_T7_T9_mT8_S1C_bDpT10_ENKUlT_T0_E_clISt17integral_constantIbLb1EES1P_EEDaS1K_S1L_EUlS1K_E_NS1_11comp_targetILNS1_3genE0ELNS1_11target_archE4294967295ELNS1_3gpuE0ELNS1_3repE0EEENS1_30default_config_static_selectorELNS0_4arch9wavefront6targetE1EEEvSY_
                                        ; -- End function
	.set _ZN7rocprim17ROCPRIM_400000_NS6detail17trampoline_kernelINS0_13select_configILj256ELj13ELNS0_17block_load_methodE3ELS4_3ELS4_3ELNS0_20block_scan_algorithmE0ELj4294967295EEENS1_25partition_config_selectorILNS1_17partition_subalgoE3EjNS0_10empty_typeEbEEZZNS1_14partition_implILS8_3ELb0ES6_jNS0_17counting_iteratorIjlEEPS9_SE_NS0_5tupleIJPjSE_EEENSF_IJSE_SE_EEES9_SG_JZNS1_25segmented_radix_sort_implINS0_14default_configELb1EPKaPaPKlPlN2at6native12_GLOBAL__N_18offset_tEEE10hipError_tPvRmT1_PNSt15iterator_traitsISY_E10value_typeET2_T3_PNSZ_IS14_E10value_typeET4_jRbjT5_S1A_jjP12ihipStream_tbEUljE_EEESV_SW_SX_S14_S18_S1A_T6_T7_T9_mT8_S1C_bDpT10_ENKUlT_T0_E_clISt17integral_constantIbLb1EES1P_EEDaS1K_S1L_EUlS1K_E_NS1_11comp_targetILNS1_3genE0ELNS1_11target_archE4294967295ELNS1_3gpuE0ELNS1_3repE0EEENS1_30default_config_static_selectorELNS0_4arch9wavefront6targetE1EEEvSY_.num_vgpr, 0
	.set _ZN7rocprim17ROCPRIM_400000_NS6detail17trampoline_kernelINS0_13select_configILj256ELj13ELNS0_17block_load_methodE3ELS4_3ELS4_3ELNS0_20block_scan_algorithmE0ELj4294967295EEENS1_25partition_config_selectorILNS1_17partition_subalgoE3EjNS0_10empty_typeEbEEZZNS1_14partition_implILS8_3ELb0ES6_jNS0_17counting_iteratorIjlEEPS9_SE_NS0_5tupleIJPjSE_EEENSF_IJSE_SE_EEES9_SG_JZNS1_25segmented_radix_sort_implINS0_14default_configELb1EPKaPaPKlPlN2at6native12_GLOBAL__N_18offset_tEEE10hipError_tPvRmT1_PNSt15iterator_traitsISY_E10value_typeET2_T3_PNSZ_IS14_E10value_typeET4_jRbjT5_S1A_jjP12ihipStream_tbEUljE_EEESV_SW_SX_S14_S18_S1A_T6_T7_T9_mT8_S1C_bDpT10_ENKUlT_T0_E_clISt17integral_constantIbLb1EES1P_EEDaS1K_S1L_EUlS1K_E_NS1_11comp_targetILNS1_3genE0ELNS1_11target_archE4294967295ELNS1_3gpuE0ELNS1_3repE0EEENS1_30default_config_static_selectorELNS0_4arch9wavefront6targetE1EEEvSY_.num_agpr, 0
	.set _ZN7rocprim17ROCPRIM_400000_NS6detail17trampoline_kernelINS0_13select_configILj256ELj13ELNS0_17block_load_methodE3ELS4_3ELS4_3ELNS0_20block_scan_algorithmE0ELj4294967295EEENS1_25partition_config_selectorILNS1_17partition_subalgoE3EjNS0_10empty_typeEbEEZZNS1_14partition_implILS8_3ELb0ES6_jNS0_17counting_iteratorIjlEEPS9_SE_NS0_5tupleIJPjSE_EEENSF_IJSE_SE_EEES9_SG_JZNS1_25segmented_radix_sort_implINS0_14default_configELb1EPKaPaPKlPlN2at6native12_GLOBAL__N_18offset_tEEE10hipError_tPvRmT1_PNSt15iterator_traitsISY_E10value_typeET2_T3_PNSZ_IS14_E10value_typeET4_jRbjT5_S1A_jjP12ihipStream_tbEUljE_EEESV_SW_SX_S14_S18_S1A_T6_T7_T9_mT8_S1C_bDpT10_ENKUlT_T0_E_clISt17integral_constantIbLb1EES1P_EEDaS1K_S1L_EUlS1K_E_NS1_11comp_targetILNS1_3genE0ELNS1_11target_archE4294967295ELNS1_3gpuE0ELNS1_3repE0EEENS1_30default_config_static_selectorELNS0_4arch9wavefront6targetE1EEEvSY_.numbered_sgpr, 0
	.set _ZN7rocprim17ROCPRIM_400000_NS6detail17trampoline_kernelINS0_13select_configILj256ELj13ELNS0_17block_load_methodE3ELS4_3ELS4_3ELNS0_20block_scan_algorithmE0ELj4294967295EEENS1_25partition_config_selectorILNS1_17partition_subalgoE3EjNS0_10empty_typeEbEEZZNS1_14partition_implILS8_3ELb0ES6_jNS0_17counting_iteratorIjlEEPS9_SE_NS0_5tupleIJPjSE_EEENSF_IJSE_SE_EEES9_SG_JZNS1_25segmented_radix_sort_implINS0_14default_configELb1EPKaPaPKlPlN2at6native12_GLOBAL__N_18offset_tEEE10hipError_tPvRmT1_PNSt15iterator_traitsISY_E10value_typeET2_T3_PNSZ_IS14_E10value_typeET4_jRbjT5_S1A_jjP12ihipStream_tbEUljE_EEESV_SW_SX_S14_S18_S1A_T6_T7_T9_mT8_S1C_bDpT10_ENKUlT_T0_E_clISt17integral_constantIbLb1EES1P_EEDaS1K_S1L_EUlS1K_E_NS1_11comp_targetILNS1_3genE0ELNS1_11target_archE4294967295ELNS1_3gpuE0ELNS1_3repE0EEENS1_30default_config_static_selectorELNS0_4arch9wavefront6targetE1EEEvSY_.num_named_barrier, 0
	.set _ZN7rocprim17ROCPRIM_400000_NS6detail17trampoline_kernelINS0_13select_configILj256ELj13ELNS0_17block_load_methodE3ELS4_3ELS4_3ELNS0_20block_scan_algorithmE0ELj4294967295EEENS1_25partition_config_selectorILNS1_17partition_subalgoE3EjNS0_10empty_typeEbEEZZNS1_14partition_implILS8_3ELb0ES6_jNS0_17counting_iteratorIjlEEPS9_SE_NS0_5tupleIJPjSE_EEENSF_IJSE_SE_EEES9_SG_JZNS1_25segmented_radix_sort_implINS0_14default_configELb1EPKaPaPKlPlN2at6native12_GLOBAL__N_18offset_tEEE10hipError_tPvRmT1_PNSt15iterator_traitsISY_E10value_typeET2_T3_PNSZ_IS14_E10value_typeET4_jRbjT5_S1A_jjP12ihipStream_tbEUljE_EEESV_SW_SX_S14_S18_S1A_T6_T7_T9_mT8_S1C_bDpT10_ENKUlT_T0_E_clISt17integral_constantIbLb1EES1P_EEDaS1K_S1L_EUlS1K_E_NS1_11comp_targetILNS1_3genE0ELNS1_11target_archE4294967295ELNS1_3gpuE0ELNS1_3repE0EEENS1_30default_config_static_selectorELNS0_4arch9wavefront6targetE1EEEvSY_.private_seg_size, 0
	.set _ZN7rocprim17ROCPRIM_400000_NS6detail17trampoline_kernelINS0_13select_configILj256ELj13ELNS0_17block_load_methodE3ELS4_3ELS4_3ELNS0_20block_scan_algorithmE0ELj4294967295EEENS1_25partition_config_selectorILNS1_17partition_subalgoE3EjNS0_10empty_typeEbEEZZNS1_14partition_implILS8_3ELb0ES6_jNS0_17counting_iteratorIjlEEPS9_SE_NS0_5tupleIJPjSE_EEENSF_IJSE_SE_EEES9_SG_JZNS1_25segmented_radix_sort_implINS0_14default_configELb1EPKaPaPKlPlN2at6native12_GLOBAL__N_18offset_tEEE10hipError_tPvRmT1_PNSt15iterator_traitsISY_E10value_typeET2_T3_PNSZ_IS14_E10value_typeET4_jRbjT5_S1A_jjP12ihipStream_tbEUljE_EEESV_SW_SX_S14_S18_S1A_T6_T7_T9_mT8_S1C_bDpT10_ENKUlT_T0_E_clISt17integral_constantIbLb1EES1P_EEDaS1K_S1L_EUlS1K_E_NS1_11comp_targetILNS1_3genE0ELNS1_11target_archE4294967295ELNS1_3gpuE0ELNS1_3repE0EEENS1_30default_config_static_selectorELNS0_4arch9wavefront6targetE1EEEvSY_.uses_vcc, 0
	.set _ZN7rocprim17ROCPRIM_400000_NS6detail17trampoline_kernelINS0_13select_configILj256ELj13ELNS0_17block_load_methodE3ELS4_3ELS4_3ELNS0_20block_scan_algorithmE0ELj4294967295EEENS1_25partition_config_selectorILNS1_17partition_subalgoE3EjNS0_10empty_typeEbEEZZNS1_14partition_implILS8_3ELb0ES6_jNS0_17counting_iteratorIjlEEPS9_SE_NS0_5tupleIJPjSE_EEENSF_IJSE_SE_EEES9_SG_JZNS1_25segmented_radix_sort_implINS0_14default_configELb1EPKaPaPKlPlN2at6native12_GLOBAL__N_18offset_tEEE10hipError_tPvRmT1_PNSt15iterator_traitsISY_E10value_typeET2_T3_PNSZ_IS14_E10value_typeET4_jRbjT5_S1A_jjP12ihipStream_tbEUljE_EEESV_SW_SX_S14_S18_S1A_T6_T7_T9_mT8_S1C_bDpT10_ENKUlT_T0_E_clISt17integral_constantIbLb1EES1P_EEDaS1K_S1L_EUlS1K_E_NS1_11comp_targetILNS1_3genE0ELNS1_11target_archE4294967295ELNS1_3gpuE0ELNS1_3repE0EEENS1_30default_config_static_selectorELNS0_4arch9wavefront6targetE1EEEvSY_.uses_flat_scratch, 0
	.set _ZN7rocprim17ROCPRIM_400000_NS6detail17trampoline_kernelINS0_13select_configILj256ELj13ELNS0_17block_load_methodE3ELS4_3ELS4_3ELNS0_20block_scan_algorithmE0ELj4294967295EEENS1_25partition_config_selectorILNS1_17partition_subalgoE3EjNS0_10empty_typeEbEEZZNS1_14partition_implILS8_3ELb0ES6_jNS0_17counting_iteratorIjlEEPS9_SE_NS0_5tupleIJPjSE_EEENSF_IJSE_SE_EEES9_SG_JZNS1_25segmented_radix_sort_implINS0_14default_configELb1EPKaPaPKlPlN2at6native12_GLOBAL__N_18offset_tEEE10hipError_tPvRmT1_PNSt15iterator_traitsISY_E10value_typeET2_T3_PNSZ_IS14_E10value_typeET4_jRbjT5_S1A_jjP12ihipStream_tbEUljE_EEESV_SW_SX_S14_S18_S1A_T6_T7_T9_mT8_S1C_bDpT10_ENKUlT_T0_E_clISt17integral_constantIbLb1EES1P_EEDaS1K_S1L_EUlS1K_E_NS1_11comp_targetILNS1_3genE0ELNS1_11target_archE4294967295ELNS1_3gpuE0ELNS1_3repE0EEENS1_30default_config_static_selectorELNS0_4arch9wavefront6targetE1EEEvSY_.has_dyn_sized_stack, 0
	.set _ZN7rocprim17ROCPRIM_400000_NS6detail17trampoline_kernelINS0_13select_configILj256ELj13ELNS0_17block_load_methodE3ELS4_3ELS4_3ELNS0_20block_scan_algorithmE0ELj4294967295EEENS1_25partition_config_selectorILNS1_17partition_subalgoE3EjNS0_10empty_typeEbEEZZNS1_14partition_implILS8_3ELb0ES6_jNS0_17counting_iteratorIjlEEPS9_SE_NS0_5tupleIJPjSE_EEENSF_IJSE_SE_EEES9_SG_JZNS1_25segmented_radix_sort_implINS0_14default_configELb1EPKaPaPKlPlN2at6native12_GLOBAL__N_18offset_tEEE10hipError_tPvRmT1_PNSt15iterator_traitsISY_E10value_typeET2_T3_PNSZ_IS14_E10value_typeET4_jRbjT5_S1A_jjP12ihipStream_tbEUljE_EEESV_SW_SX_S14_S18_S1A_T6_T7_T9_mT8_S1C_bDpT10_ENKUlT_T0_E_clISt17integral_constantIbLb1EES1P_EEDaS1K_S1L_EUlS1K_E_NS1_11comp_targetILNS1_3genE0ELNS1_11target_archE4294967295ELNS1_3gpuE0ELNS1_3repE0EEENS1_30default_config_static_selectorELNS0_4arch9wavefront6targetE1EEEvSY_.has_recursion, 0
	.set _ZN7rocprim17ROCPRIM_400000_NS6detail17trampoline_kernelINS0_13select_configILj256ELj13ELNS0_17block_load_methodE3ELS4_3ELS4_3ELNS0_20block_scan_algorithmE0ELj4294967295EEENS1_25partition_config_selectorILNS1_17partition_subalgoE3EjNS0_10empty_typeEbEEZZNS1_14partition_implILS8_3ELb0ES6_jNS0_17counting_iteratorIjlEEPS9_SE_NS0_5tupleIJPjSE_EEENSF_IJSE_SE_EEES9_SG_JZNS1_25segmented_radix_sort_implINS0_14default_configELb1EPKaPaPKlPlN2at6native12_GLOBAL__N_18offset_tEEE10hipError_tPvRmT1_PNSt15iterator_traitsISY_E10value_typeET2_T3_PNSZ_IS14_E10value_typeET4_jRbjT5_S1A_jjP12ihipStream_tbEUljE_EEESV_SW_SX_S14_S18_S1A_T6_T7_T9_mT8_S1C_bDpT10_ENKUlT_T0_E_clISt17integral_constantIbLb1EES1P_EEDaS1K_S1L_EUlS1K_E_NS1_11comp_targetILNS1_3genE0ELNS1_11target_archE4294967295ELNS1_3gpuE0ELNS1_3repE0EEENS1_30default_config_static_selectorELNS0_4arch9wavefront6targetE1EEEvSY_.has_indirect_call, 0
	.section	.AMDGPU.csdata,"",@progbits
; Kernel info:
; codeLenInByte = 0
; TotalNumSgprs: 4
; NumVgprs: 0
; ScratchSize: 0
; MemoryBound: 0
; FloatMode: 240
; IeeeMode: 1
; LDSByteSize: 0 bytes/workgroup (compile time only)
; SGPRBlocks: 0
; VGPRBlocks: 0
; NumSGPRsForWavesPerEU: 4
; NumVGPRsForWavesPerEU: 1
; Occupancy: 10
; WaveLimiterHint : 0
; COMPUTE_PGM_RSRC2:SCRATCH_EN: 0
; COMPUTE_PGM_RSRC2:USER_SGPR: 6
; COMPUTE_PGM_RSRC2:TRAP_HANDLER: 0
; COMPUTE_PGM_RSRC2:TGID_X_EN: 1
; COMPUTE_PGM_RSRC2:TGID_Y_EN: 0
; COMPUTE_PGM_RSRC2:TGID_Z_EN: 0
; COMPUTE_PGM_RSRC2:TIDIG_COMP_CNT: 0
	.section	.text._ZN7rocprim17ROCPRIM_400000_NS6detail17trampoline_kernelINS0_13select_configILj256ELj13ELNS0_17block_load_methodE3ELS4_3ELS4_3ELNS0_20block_scan_algorithmE0ELj4294967295EEENS1_25partition_config_selectorILNS1_17partition_subalgoE3EjNS0_10empty_typeEbEEZZNS1_14partition_implILS8_3ELb0ES6_jNS0_17counting_iteratorIjlEEPS9_SE_NS0_5tupleIJPjSE_EEENSF_IJSE_SE_EEES9_SG_JZNS1_25segmented_radix_sort_implINS0_14default_configELb1EPKaPaPKlPlN2at6native12_GLOBAL__N_18offset_tEEE10hipError_tPvRmT1_PNSt15iterator_traitsISY_E10value_typeET2_T3_PNSZ_IS14_E10value_typeET4_jRbjT5_S1A_jjP12ihipStream_tbEUljE_EEESV_SW_SX_S14_S18_S1A_T6_T7_T9_mT8_S1C_bDpT10_ENKUlT_T0_E_clISt17integral_constantIbLb1EES1P_EEDaS1K_S1L_EUlS1K_E_NS1_11comp_targetILNS1_3genE5ELNS1_11target_archE942ELNS1_3gpuE9ELNS1_3repE0EEENS1_30default_config_static_selectorELNS0_4arch9wavefront6targetE1EEEvSY_,"axG",@progbits,_ZN7rocprim17ROCPRIM_400000_NS6detail17trampoline_kernelINS0_13select_configILj256ELj13ELNS0_17block_load_methodE3ELS4_3ELS4_3ELNS0_20block_scan_algorithmE0ELj4294967295EEENS1_25partition_config_selectorILNS1_17partition_subalgoE3EjNS0_10empty_typeEbEEZZNS1_14partition_implILS8_3ELb0ES6_jNS0_17counting_iteratorIjlEEPS9_SE_NS0_5tupleIJPjSE_EEENSF_IJSE_SE_EEES9_SG_JZNS1_25segmented_radix_sort_implINS0_14default_configELb1EPKaPaPKlPlN2at6native12_GLOBAL__N_18offset_tEEE10hipError_tPvRmT1_PNSt15iterator_traitsISY_E10value_typeET2_T3_PNSZ_IS14_E10value_typeET4_jRbjT5_S1A_jjP12ihipStream_tbEUljE_EEESV_SW_SX_S14_S18_S1A_T6_T7_T9_mT8_S1C_bDpT10_ENKUlT_T0_E_clISt17integral_constantIbLb1EES1P_EEDaS1K_S1L_EUlS1K_E_NS1_11comp_targetILNS1_3genE5ELNS1_11target_archE942ELNS1_3gpuE9ELNS1_3repE0EEENS1_30default_config_static_selectorELNS0_4arch9wavefront6targetE1EEEvSY_,comdat
	.globl	_ZN7rocprim17ROCPRIM_400000_NS6detail17trampoline_kernelINS0_13select_configILj256ELj13ELNS0_17block_load_methodE3ELS4_3ELS4_3ELNS0_20block_scan_algorithmE0ELj4294967295EEENS1_25partition_config_selectorILNS1_17partition_subalgoE3EjNS0_10empty_typeEbEEZZNS1_14partition_implILS8_3ELb0ES6_jNS0_17counting_iteratorIjlEEPS9_SE_NS0_5tupleIJPjSE_EEENSF_IJSE_SE_EEES9_SG_JZNS1_25segmented_radix_sort_implINS0_14default_configELb1EPKaPaPKlPlN2at6native12_GLOBAL__N_18offset_tEEE10hipError_tPvRmT1_PNSt15iterator_traitsISY_E10value_typeET2_T3_PNSZ_IS14_E10value_typeET4_jRbjT5_S1A_jjP12ihipStream_tbEUljE_EEESV_SW_SX_S14_S18_S1A_T6_T7_T9_mT8_S1C_bDpT10_ENKUlT_T0_E_clISt17integral_constantIbLb1EES1P_EEDaS1K_S1L_EUlS1K_E_NS1_11comp_targetILNS1_3genE5ELNS1_11target_archE942ELNS1_3gpuE9ELNS1_3repE0EEENS1_30default_config_static_selectorELNS0_4arch9wavefront6targetE1EEEvSY_ ; -- Begin function _ZN7rocprim17ROCPRIM_400000_NS6detail17trampoline_kernelINS0_13select_configILj256ELj13ELNS0_17block_load_methodE3ELS4_3ELS4_3ELNS0_20block_scan_algorithmE0ELj4294967295EEENS1_25partition_config_selectorILNS1_17partition_subalgoE3EjNS0_10empty_typeEbEEZZNS1_14partition_implILS8_3ELb0ES6_jNS0_17counting_iteratorIjlEEPS9_SE_NS0_5tupleIJPjSE_EEENSF_IJSE_SE_EEES9_SG_JZNS1_25segmented_radix_sort_implINS0_14default_configELb1EPKaPaPKlPlN2at6native12_GLOBAL__N_18offset_tEEE10hipError_tPvRmT1_PNSt15iterator_traitsISY_E10value_typeET2_T3_PNSZ_IS14_E10value_typeET4_jRbjT5_S1A_jjP12ihipStream_tbEUljE_EEESV_SW_SX_S14_S18_S1A_T6_T7_T9_mT8_S1C_bDpT10_ENKUlT_T0_E_clISt17integral_constantIbLb1EES1P_EEDaS1K_S1L_EUlS1K_E_NS1_11comp_targetILNS1_3genE5ELNS1_11target_archE942ELNS1_3gpuE9ELNS1_3repE0EEENS1_30default_config_static_selectorELNS0_4arch9wavefront6targetE1EEEvSY_
	.p2align	8
	.type	_ZN7rocprim17ROCPRIM_400000_NS6detail17trampoline_kernelINS0_13select_configILj256ELj13ELNS0_17block_load_methodE3ELS4_3ELS4_3ELNS0_20block_scan_algorithmE0ELj4294967295EEENS1_25partition_config_selectorILNS1_17partition_subalgoE3EjNS0_10empty_typeEbEEZZNS1_14partition_implILS8_3ELb0ES6_jNS0_17counting_iteratorIjlEEPS9_SE_NS0_5tupleIJPjSE_EEENSF_IJSE_SE_EEES9_SG_JZNS1_25segmented_radix_sort_implINS0_14default_configELb1EPKaPaPKlPlN2at6native12_GLOBAL__N_18offset_tEEE10hipError_tPvRmT1_PNSt15iterator_traitsISY_E10value_typeET2_T3_PNSZ_IS14_E10value_typeET4_jRbjT5_S1A_jjP12ihipStream_tbEUljE_EEESV_SW_SX_S14_S18_S1A_T6_T7_T9_mT8_S1C_bDpT10_ENKUlT_T0_E_clISt17integral_constantIbLb1EES1P_EEDaS1K_S1L_EUlS1K_E_NS1_11comp_targetILNS1_3genE5ELNS1_11target_archE942ELNS1_3gpuE9ELNS1_3repE0EEENS1_30default_config_static_selectorELNS0_4arch9wavefront6targetE1EEEvSY_,@function
_ZN7rocprim17ROCPRIM_400000_NS6detail17trampoline_kernelINS0_13select_configILj256ELj13ELNS0_17block_load_methodE3ELS4_3ELS4_3ELNS0_20block_scan_algorithmE0ELj4294967295EEENS1_25partition_config_selectorILNS1_17partition_subalgoE3EjNS0_10empty_typeEbEEZZNS1_14partition_implILS8_3ELb0ES6_jNS0_17counting_iteratorIjlEEPS9_SE_NS0_5tupleIJPjSE_EEENSF_IJSE_SE_EEES9_SG_JZNS1_25segmented_radix_sort_implINS0_14default_configELb1EPKaPaPKlPlN2at6native12_GLOBAL__N_18offset_tEEE10hipError_tPvRmT1_PNSt15iterator_traitsISY_E10value_typeET2_T3_PNSZ_IS14_E10value_typeET4_jRbjT5_S1A_jjP12ihipStream_tbEUljE_EEESV_SW_SX_S14_S18_S1A_T6_T7_T9_mT8_S1C_bDpT10_ENKUlT_T0_E_clISt17integral_constantIbLb1EES1P_EEDaS1K_S1L_EUlS1K_E_NS1_11comp_targetILNS1_3genE5ELNS1_11target_archE942ELNS1_3gpuE9ELNS1_3repE0EEENS1_30default_config_static_selectorELNS0_4arch9wavefront6targetE1EEEvSY_: ; @_ZN7rocprim17ROCPRIM_400000_NS6detail17trampoline_kernelINS0_13select_configILj256ELj13ELNS0_17block_load_methodE3ELS4_3ELS4_3ELNS0_20block_scan_algorithmE0ELj4294967295EEENS1_25partition_config_selectorILNS1_17partition_subalgoE3EjNS0_10empty_typeEbEEZZNS1_14partition_implILS8_3ELb0ES6_jNS0_17counting_iteratorIjlEEPS9_SE_NS0_5tupleIJPjSE_EEENSF_IJSE_SE_EEES9_SG_JZNS1_25segmented_radix_sort_implINS0_14default_configELb1EPKaPaPKlPlN2at6native12_GLOBAL__N_18offset_tEEE10hipError_tPvRmT1_PNSt15iterator_traitsISY_E10value_typeET2_T3_PNSZ_IS14_E10value_typeET4_jRbjT5_S1A_jjP12ihipStream_tbEUljE_EEESV_SW_SX_S14_S18_S1A_T6_T7_T9_mT8_S1C_bDpT10_ENKUlT_T0_E_clISt17integral_constantIbLb1EES1P_EEDaS1K_S1L_EUlS1K_E_NS1_11comp_targetILNS1_3genE5ELNS1_11target_archE942ELNS1_3gpuE9ELNS1_3repE0EEENS1_30default_config_static_selectorELNS0_4arch9wavefront6targetE1EEEvSY_
; %bb.0:
	.section	.rodata,"a",@progbits
	.p2align	6, 0x0
	.amdhsa_kernel _ZN7rocprim17ROCPRIM_400000_NS6detail17trampoline_kernelINS0_13select_configILj256ELj13ELNS0_17block_load_methodE3ELS4_3ELS4_3ELNS0_20block_scan_algorithmE0ELj4294967295EEENS1_25partition_config_selectorILNS1_17partition_subalgoE3EjNS0_10empty_typeEbEEZZNS1_14partition_implILS8_3ELb0ES6_jNS0_17counting_iteratorIjlEEPS9_SE_NS0_5tupleIJPjSE_EEENSF_IJSE_SE_EEES9_SG_JZNS1_25segmented_radix_sort_implINS0_14default_configELb1EPKaPaPKlPlN2at6native12_GLOBAL__N_18offset_tEEE10hipError_tPvRmT1_PNSt15iterator_traitsISY_E10value_typeET2_T3_PNSZ_IS14_E10value_typeET4_jRbjT5_S1A_jjP12ihipStream_tbEUljE_EEESV_SW_SX_S14_S18_S1A_T6_T7_T9_mT8_S1C_bDpT10_ENKUlT_T0_E_clISt17integral_constantIbLb1EES1P_EEDaS1K_S1L_EUlS1K_E_NS1_11comp_targetILNS1_3genE5ELNS1_11target_archE942ELNS1_3gpuE9ELNS1_3repE0EEENS1_30default_config_static_selectorELNS0_4arch9wavefront6targetE1EEEvSY_
		.amdhsa_group_segment_fixed_size 0
		.amdhsa_private_segment_fixed_size 0
		.amdhsa_kernarg_size 152
		.amdhsa_user_sgpr_count 6
		.amdhsa_user_sgpr_private_segment_buffer 1
		.amdhsa_user_sgpr_dispatch_ptr 0
		.amdhsa_user_sgpr_queue_ptr 0
		.amdhsa_user_sgpr_kernarg_segment_ptr 1
		.amdhsa_user_sgpr_dispatch_id 0
		.amdhsa_user_sgpr_flat_scratch_init 0
		.amdhsa_user_sgpr_private_segment_size 0
		.amdhsa_uses_dynamic_stack 0
		.amdhsa_system_sgpr_private_segment_wavefront_offset 0
		.amdhsa_system_sgpr_workgroup_id_x 1
		.amdhsa_system_sgpr_workgroup_id_y 0
		.amdhsa_system_sgpr_workgroup_id_z 0
		.amdhsa_system_sgpr_workgroup_info 0
		.amdhsa_system_vgpr_workitem_id 0
		.amdhsa_next_free_vgpr 1
		.amdhsa_next_free_sgpr 0
		.amdhsa_reserve_vcc 0
		.amdhsa_reserve_flat_scratch 0
		.amdhsa_float_round_mode_32 0
		.amdhsa_float_round_mode_16_64 0
		.amdhsa_float_denorm_mode_32 3
		.amdhsa_float_denorm_mode_16_64 3
		.amdhsa_dx10_clamp 1
		.amdhsa_ieee_mode 1
		.amdhsa_fp16_overflow 0
		.amdhsa_exception_fp_ieee_invalid_op 0
		.amdhsa_exception_fp_denorm_src 0
		.amdhsa_exception_fp_ieee_div_zero 0
		.amdhsa_exception_fp_ieee_overflow 0
		.amdhsa_exception_fp_ieee_underflow 0
		.amdhsa_exception_fp_ieee_inexact 0
		.amdhsa_exception_int_div_zero 0
	.end_amdhsa_kernel
	.section	.text._ZN7rocprim17ROCPRIM_400000_NS6detail17trampoline_kernelINS0_13select_configILj256ELj13ELNS0_17block_load_methodE3ELS4_3ELS4_3ELNS0_20block_scan_algorithmE0ELj4294967295EEENS1_25partition_config_selectorILNS1_17partition_subalgoE3EjNS0_10empty_typeEbEEZZNS1_14partition_implILS8_3ELb0ES6_jNS0_17counting_iteratorIjlEEPS9_SE_NS0_5tupleIJPjSE_EEENSF_IJSE_SE_EEES9_SG_JZNS1_25segmented_radix_sort_implINS0_14default_configELb1EPKaPaPKlPlN2at6native12_GLOBAL__N_18offset_tEEE10hipError_tPvRmT1_PNSt15iterator_traitsISY_E10value_typeET2_T3_PNSZ_IS14_E10value_typeET4_jRbjT5_S1A_jjP12ihipStream_tbEUljE_EEESV_SW_SX_S14_S18_S1A_T6_T7_T9_mT8_S1C_bDpT10_ENKUlT_T0_E_clISt17integral_constantIbLb1EES1P_EEDaS1K_S1L_EUlS1K_E_NS1_11comp_targetILNS1_3genE5ELNS1_11target_archE942ELNS1_3gpuE9ELNS1_3repE0EEENS1_30default_config_static_selectorELNS0_4arch9wavefront6targetE1EEEvSY_,"axG",@progbits,_ZN7rocprim17ROCPRIM_400000_NS6detail17trampoline_kernelINS0_13select_configILj256ELj13ELNS0_17block_load_methodE3ELS4_3ELS4_3ELNS0_20block_scan_algorithmE0ELj4294967295EEENS1_25partition_config_selectorILNS1_17partition_subalgoE3EjNS0_10empty_typeEbEEZZNS1_14partition_implILS8_3ELb0ES6_jNS0_17counting_iteratorIjlEEPS9_SE_NS0_5tupleIJPjSE_EEENSF_IJSE_SE_EEES9_SG_JZNS1_25segmented_radix_sort_implINS0_14default_configELb1EPKaPaPKlPlN2at6native12_GLOBAL__N_18offset_tEEE10hipError_tPvRmT1_PNSt15iterator_traitsISY_E10value_typeET2_T3_PNSZ_IS14_E10value_typeET4_jRbjT5_S1A_jjP12ihipStream_tbEUljE_EEESV_SW_SX_S14_S18_S1A_T6_T7_T9_mT8_S1C_bDpT10_ENKUlT_T0_E_clISt17integral_constantIbLb1EES1P_EEDaS1K_S1L_EUlS1K_E_NS1_11comp_targetILNS1_3genE5ELNS1_11target_archE942ELNS1_3gpuE9ELNS1_3repE0EEENS1_30default_config_static_selectorELNS0_4arch9wavefront6targetE1EEEvSY_,comdat
.Lfunc_end267:
	.size	_ZN7rocprim17ROCPRIM_400000_NS6detail17trampoline_kernelINS0_13select_configILj256ELj13ELNS0_17block_load_methodE3ELS4_3ELS4_3ELNS0_20block_scan_algorithmE0ELj4294967295EEENS1_25partition_config_selectorILNS1_17partition_subalgoE3EjNS0_10empty_typeEbEEZZNS1_14partition_implILS8_3ELb0ES6_jNS0_17counting_iteratorIjlEEPS9_SE_NS0_5tupleIJPjSE_EEENSF_IJSE_SE_EEES9_SG_JZNS1_25segmented_radix_sort_implINS0_14default_configELb1EPKaPaPKlPlN2at6native12_GLOBAL__N_18offset_tEEE10hipError_tPvRmT1_PNSt15iterator_traitsISY_E10value_typeET2_T3_PNSZ_IS14_E10value_typeET4_jRbjT5_S1A_jjP12ihipStream_tbEUljE_EEESV_SW_SX_S14_S18_S1A_T6_T7_T9_mT8_S1C_bDpT10_ENKUlT_T0_E_clISt17integral_constantIbLb1EES1P_EEDaS1K_S1L_EUlS1K_E_NS1_11comp_targetILNS1_3genE5ELNS1_11target_archE942ELNS1_3gpuE9ELNS1_3repE0EEENS1_30default_config_static_selectorELNS0_4arch9wavefront6targetE1EEEvSY_, .Lfunc_end267-_ZN7rocprim17ROCPRIM_400000_NS6detail17trampoline_kernelINS0_13select_configILj256ELj13ELNS0_17block_load_methodE3ELS4_3ELS4_3ELNS0_20block_scan_algorithmE0ELj4294967295EEENS1_25partition_config_selectorILNS1_17partition_subalgoE3EjNS0_10empty_typeEbEEZZNS1_14partition_implILS8_3ELb0ES6_jNS0_17counting_iteratorIjlEEPS9_SE_NS0_5tupleIJPjSE_EEENSF_IJSE_SE_EEES9_SG_JZNS1_25segmented_radix_sort_implINS0_14default_configELb1EPKaPaPKlPlN2at6native12_GLOBAL__N_18offset_tEEE10hipError_tPvRmT1_PNSt15iterator_traitsISY_E10value_typeET2_T3_PNSZ_IS14_E10value_typeET4_jRbjT5_S1A_jjP12ihipStream_tbEUljE_EEESV_SW_SX_S14_S18_S1A_T6_T7_T9_mT8_S1C_bDpT10_ENKUlT_T0_E_clISt17integral_constantIbLb1EES1P_EEDaS1K_S1L_EUlS1K_E_NS1_11comp_targetILNS1_3genE5ELNS1_11target_archE942ELNS1_3gpuE9ELNS1_3repE0EEENS1_30default_config_static_selectorELNS0_4arch9wavefront6targetE1EEEvSY_
                                        ; -- End function
	.set _ZN7rocprim17ROCPRIM_400000_NS6detail17trampoline_kernelINS0_13select_configILj256ELj13ELNS0_17block_load_methodE3ELS4_3ELS4_3ELNS0_20block_scan_algorithmE0ELj4294967295EEENS1_25partition_config_selectorILNS1_17partition_subalgoE3EjNS0_10empty_typeEbEEZZNS1_14partition_implILS8_3ELb0ES6_jNS0_17counting_iteratorIjlEEPS9_SE_NS0_5tupleIJPjSE_EEENSF_IJSE_SE_EEES9_SG_JZNS1_25segmented_radix_sort_implINS0_14default_configELb1EPKaPaPKlPlN2at6native12_GLOBAL__N_18offset_tEEE10hipError_tPvRmT1_PNSt15iterator_traitsISY_E10value_typeET2_T3_PNSZ_IS14_E10value_typeET4_jRbjT5_S1A_jjP12ihipStream_tbEUljE_EEESV_SW_SX_S14_S18_S1A_T6_T7_T9_mT8_S1C_bDpT10_ENKUlT_T0_E_clISt17integral_constantIbLb1EES1P_EEDaS1K_S1L_EUlS1K_E_NS1_11comp_targetILNS1_3genE5ELNS1_11target_archE942ELNS1_3gpuE9ELNS1_3repE0EEENS1_30default_config_static_selectorELNS0_4arch9wavefront6targetE1EEEvSY_.num_vgpr, 0
	.set _ZN7rocprim17ROCPRIM_400000_NS6detail17trampoline_kernelINS0_13select_configILj256ELj13ELNS0_17block_load_methodE3ELS4_3ELS4_3ELNS0_20block_scan_algorithmE0ELj4294967295EEENS1_25partition_config_selectorILNS1_17partition_subalgoE3EjNS0_10empty_typeEbEEZZNS1_14partition_implILS8_3ELb0ES6_jNS0_17counting_iteratorIjlEEPS9_SE_NS0_5tupleIJPjSE_EEENSF_IJSE_SE_EEES9_SG_JZNS1_25segmented_radix_sort_implINS0_14default_configELb1EPKaPaPKlPlN2at6native12_GLOBAL__N_18offset_tEEE10hipError_tPvRmT1_PNSt15iterator_traitsISY_E10value_typeET2_T3_PNSZ_IS14_E10value_typeET4_jRbjT5_S1A_jjP12ihipStream_tbEUljE_EEESV_SW_SX_S14_S18_S1A_T6_T7_T9_mT8_S1C_bDpT10_ENKUlT_T0_E_clISt17integral_constantIbLb1EES1P_EEDaS1K_S1L_EUlS1K_E_NS1_11comp_targetILNS1_3genE5ELNS1_11target_archE942ELNS1_3gpuE9ELNS1_3repE0EEENS1_30default_config_static_selectorELNS0_4arch9wavefront6targetE1EEEvSY_.num_agpr, 0
	.set _ZN7rocprim17ROCPRIM_400000_NS6detail17trampoline_kernelINS0_13select_configILj256ELj13ELNS0_17block_load_methodE3ELS4_3ELS4_3ELNS0_20block_scan_algorithmE0ELj4294967295EEENS1_25partition_config_selectorILNS1_17partition_subalgoE3EjNS0_10empty_typeEbEEZZNS1_14partition_implILS8_3ELb0ES6_jNS0_17counting_iteratorIjlEEPS9_SE_NS0_5tupleIJPjSE_EEENSF_IJSE_SE_EEES9_SG_JZNS1_25segmented_radix_sort_implINS0_14default_configELb1EPKaPaPKlPlN2at6native12_GLOBAL__N_18offset_tEEE10hipError_tPvRmT1_PNSt15iterator_traitsISY_E10value_typeET2_T3_PNSZ_IS14_E10value_typeET4_jRbjT5_S1A_jjP12ihipStream_tbEUljE_EEESV_SW_SX_S14_S18_S1A_T6_T7_T9_mT8_S1C_bDpT10_ENKUlT_T0_E_clISt17integral_constantIbLb1EES1P_EEDaS1K_S1L_EUlS1K_E_NS1_11comp_targetILNS1_3genE5ELNS1_11target_archE942ELNS1_3gpuE9ELNS1_3repE0EEENS1_30default_config_static_selectorELNS0_4arch9wavefront6targetE1EEEvSY_.numbered_sgpr, 0
	.set _ZN7rocprim17ROCPRIM_400000_NS6detail17trampoline_kernelINS0_13select_configILj256ELj13ELNS0_17block_load_methodE3ELS4_3ELS4_3ELNS0_20block_scan_algorithmE0ELj4294967295EEENS1_25partition_config_selectorILNS1_17partition_subalgoE3EjNS0_10empty_typeEbEEZZNS1_14partition_implILS8_3ELb0ES6_jNS0_17counting_iteratorIjlEEPS9_SE_NS0_5tupleIJPjSE_EEENSF_IJSE_SE_EEES9_SG_JZNS1_25segmented_radix_sort_implINS0_14default_configELb1EPKaPaPKlPlN2at6native12_GLOBAL__N_18offset_tEEE10hipError_tPvRmT1_PNSt15iterator_traitsISY_E10value_typeET2_T3_PNSZ_IS14_E10value_typeET4_jRbjT5_S1A_jjP12ihipStream_tbEUljE_EEESV_SW_SX_S14_S18_S1A_T6_T7_T9_mT8_S1C_bDpT10_ENKUlT_T0_E_clISt17integral_constantIbLb1EES1P_EEDaS1K_S1L_EUlS1K_E_NS1_11comp_targetILNS1_3genE5ELNS1_11target_archE942ELNS1_3gpuE9ELNS1_3repE0EEENS1_30default_config_static_selectorELNS0_4arch9wavefront6targetE1EEEvSY_.num_named_barrier, 0
	.set _ZN7rocprim17ROCPRIM_400000_NS6detail17trampoline_kernelINS0_13select_configILj256ELj13ELNS0_17block_load_methodE3ELS4_3ELS4_3ELNS0_20block_scan_algorithmE0ELj4294967295EEENS1_25partition_config_selectorILNS1_17partition_subalgoE3EjNS0_10empty_typeEbEEZZNS1_14partition_implILS8_3ELb0ES6_jNS0_17counting_iteratorIjlEEPS9_SE_NS0_5tupleIJPjSE_EEENSF_IJSE_SE_EEES9_SG_JZNS1_25segmented_radix_sort_implINS0_14default_configELb1EPKaPaPKlPlN2at6native12_GLOBAL__N_18offset_tEEE10hipError_tPvRmT1_PNSt15iterator_traitsISY_E10value_typeET2_T3_PNSZ_IS14_E10value_typeET4_jRbjT5_S1A_jjP12ihipStream_tbEUljE_EEESV_SW_SX_S14_S18_S1A_T6_T7_T9_mT8_S1C_bDpT10_ENKUlT_T0_E_clISt17integral_constantIbLb1EES1P_EEDaS1K_S1L_EUlS1K_E_NS1_11comp_targetILNS1_3genE5ELNS1_11target_archE942ELNS1_3gpuE9ELNS1_3repE0EEENS1_30default_config_static_selectorELNS0_4arch9wavefront6targetE1EEEvSY_.private_seg_size, 0
	.set _ZN7rocprim17ROCPRIM_400000_NS6detail17trampoline_kernelINS0_13select_configILj256ELj13ELNS0_17block_load_methodE3ELS4_3ELS4_3ELNS0_20block_scan_algorithmE0ELj4294967295EEENS1_25partition_config_selectorILNS1_17partition_subalgoE3EjNS0_10empty_typeEbEEZZNS1_14partition_implILS8_3ELb0ES6_jNS0_17counting_iteratorIjlEEPS9_SE_NS0_5tupleIJPjSE_EEENSF_IJSE_SE_EEES9_SG_JZNS1_25segmented_radix_sort_implINS0_14default_configELb1EPKaPaPKlPlN2at6native12_GLOBAL__N_18offset_tEEE10hipError_tPvRmT1_PNSt15iterator_traitsISY_E10value_typeET2_T3_PNSZ_IS14_E10value_typeET4_jRbjT5_S1A_jjP12ihipStream_tbEUljE_EEESV_SW_SX_S14_S18_S1A_T6_T7_T9_mT8_S1C_bDpT10_ENKUlT_T0_E_clISt17integral_constantIbLb1EES1P_EEDaS1K_S1L_EUlS1K_E_NS1_11comp_targetILNS1_3genE5ELNS1_11target_archE942ELNS1_3gpuE9ELNS1_3repE0EEENS1_30default_config_static_selectorELNS0_4arch9wavefront6targetE1EEEvSY_.uses_vcc, 0
	.set _ZN7rocprim17ROCPRIM_400000_NS6detail17trampoline_kernelINS0_13select_configILj256ELj13ELNS0_17block_load_methodE3ELS4_3ELS4_3ELNS0_20block_scan_algorithmE0ELj4294967295EEENS1_25partition_config_selectorILNS1_17partition_subalgoE3EjNS0_10empty_typeEbEEZZNS1_14partition_implILS8_3ELb0ES6_jNS0_17counting_iteratorIjlEEPS9_SE_NS0_5tupleIJPjSE_EEENSF_IJSE_SE_EEES9_SG_JZNS1_25segmented_radix_sort_implINS0_14default_configELb1EPKaPaPKlPlN2at6native12_GLOBAL__N_18offset_tEEE10hipError_tPvRmT1_PNSt15iterator_traitsISY_E10value_typeET2_T3_PNSZ_IS14_E10value_typeET4_jRbjT5_S1A_jjP12ihipStream_tbEUljE_EEESV_SW_SX_S14_S18_S1A_T6_T7_T9_mT8_S1C_bDpT10_ENKUlT_T0_E_clISt17integral_constantIbLb1EES1P_EEDaS1K_S1L_EUlS1K_E_NS1_11comp_targetILNS1_3genE5ELNS1_11target_archE942ELNS1_3gpuE9ELNS1_3repE0EEENS1_30default_config_static_selectorELNS0_4arch9wavefront6targetE1EEEvSY_.uses_flat_scratch, 0
	.set _ZN7rocprim17ROCPRIM_400000_NS6detail17trampoline_kernelINS0_13select_configILj256ELj13ELNS0_17block_load_methodE3ELS4_3ELS4_3ELNS0_20block_scan_algorithmE0ELj4294967295EEENS1_25partition_config_selectorILNS1_17partition_subalgoE3EjNS0_10empty_typeEbEEZZNS1_14partition_implILS8_3ELb0ES6_jNS0_17counting_iteratorIjlEEPS9_SE_NS0_5tupleIJPjSE_EEENSF_IJSE_SE_EEES9_SG_JZNS1_25segmented_radix_sort_implINS0_14default_configELb1EPKaPaPKlPlN2at6native12_GLOBAL__N_18offset_tEEE10hipError_tPvRmT1_PNSt15iterator_traitsISY_E10value_typeET2_T3_PNSZ_IS14_E10value_typeET4_jRbjT5_S1A_jjP12ihipStream_tbEUljE_EEESV_SW_SX_S14_S18_S1A_T6_T7_T9_mT8_S1C_bDpT10_ENKUlT_T0_E_clISt17integral_constantIbLb1EES1P_EEDaS1K_S1L_EUlS1K_E_NS1_11comp_targetILNS1_3genE5ELNS1_11target_archE942ELNS1_3gpuE9ELNS1_3repE0EEENS1_30default_config_static_selectorELNS0_4arch9wavefront6targetE1EEEvSY_.has_dyn_sized_stack, 0
	.set _ZN7rocprim17ROCPRIM_400000_NS6detail17trampoline_kernelINS0_13select_configILj256ELj13ELNS0_17block_load_methodE3ELS4_3ELS4_3ELNS0_20block_scan_algorithmE0ELj4294967295EEENS1_25partition_config_selectorILNS1_17partition_subalgoE3EjNS0_10empty_typeEbEEZZNS1_14partition_implILS8_3ELb0ES6_jNS0_17counting_iteratorIjlEEPS9_SE_NS0_5tupleIJPjSE_EEENSF_IJSE_SE_EEES9_SG_JZNS1_25segmented_radix_sort_implINS0_14default_configELb1EPKaPaPKlPlN2at6native12_GLOBAL__N_18offset_tEEE10hipError_tPvRmT1_PNSt15iterator_traitsISY_E10value_typeET2_T3_PNSZ_IS14_E10value_typeET4_jRbjT5_S1A_jjP12ihipStream_tbEUljE_EEESV_SW_SX_S14_S18_S1A_T6_T7_T9_mT8_S1C_bDpT10_ENKUlT_T0_E_clISt17integral_constantIbLb1EES1P_EEDaS1K_S1L_EUlS1K_E_NS1_11comp_targetILNS1_3genE5ELNS1_11target_archE942ELNS1_3gpuE9ELNS1_3repE0EEENS1_30default_config_static_selectorELNS0_4arch9wavefront6targetE1EEEvSY_.has_recursion, 0
	.set _ZN7rocprim17ROCPRIM_400000_NS6detail17trampoline_kernelINS0_13select_configILj256ELj13ELNS0_17block_load_methodE3ELS4_3ELS4_3ELNS0_20block_scan_algorithmE0ELj4294967295EEENS1_25partition_config_selectorILNS1_17partition_subalgoE3EjNS0_10empty_typeEbEEZZNS1_14partition_implILS8_3ELb0ES6_jNS0_17counting_iteratorIjlEEPS9_SE_NS0_5tupleIJPjSE_EEENSF_IJSE_SE_EEES9_SG_JZNS1_25segmented_radix_sort_implINS0_14default_configELb1EPKaPaPKlPlN2at6native12_GLOBAL__N_18offset_tEEE10hipError_tPvRmT1_PNSt15iterator_traitsISY_E10value_typeET2_T3_PNSZ_IS14_E10value_typeET4_jRbjT5_S1A_jjP12ihipStream_tbEUljE_EEESV_SW_SX_S14_S18_S1A_T6_T7_T9_mT8_S1C_bDpT10_ENKUlT_T0_E_clISt17integral_constantIbLb1EES1P_EEDaS1K_S1L_EUlS1K_E_NS1_11comp_targetILNS1_3genE5ELNS1_11target_archE942ELNS1_3gpuE9ELNS1_3repE0EEENS1_30default_config_static_selectorELNS0_4arch9wavefront6targetE1EEEvSY_.has_indirect_call, 0
	.section	.AMDGPU.csdata,"",@progbits
; Kernel info:
; codeLenInByte = 0
; TotalNumSgprs: 4
; NumVgprs: 0
; ScratchSize: 0
; MemoryBound: 0
; FloatMode: 240
; IeeeMode: 1
; LDSByteSize: 0 bytes/workgroup (compile time only)
; SGPRBlocks: 0
; VGPRBlocks: 0
; NumSGPRsForWavesPerEU: 4
; NumVGPRsForWavesPerEU: 1
; Occupancy: 10
; WaveLimiterHint : 0
; COMPUTE_PGM_RSRC2:SCRATCH_EN: 0
; COMPUTE_PGM_RSRC2:USER_SGPR: 6
; COMPUTE_PGM_RSRC2:TRAP_HANDLER: 0
; COMPUTE_PGM_RSRC2:TGID_X_EN: 1
; COMPUTE_PGM_RSRC2:TGID_Y_EN: 0
; COMPUTE_PGM_RSRC2:TGID_Z_EN: 0
; COMPUTE_PGM_RSRC2:TIDIG_COMP_CNT: 0
	.section	.text._ZN7rocprim17ROCPRIM_400000_NS6detail17trampoline_kernelINS0_13select_configILj256ELj13ELNS0_17block_load_methodE3ELS4_3ELS4_3ELNS0_20block_scan_algorithmE0ELj4294967295EEENS1_25partition_config_selectorILNS1_17partition_subalgoE3EjNS0_10empty_typeEbEEZZNS1_14partition_implILS8_3ELb0ES6_jNS0_17counting_iteratorIjlEEPS9_SE_NS0_5tupleIJPjSE_EEENSF_IJSE_SE_EEES9_SG_JZNS1_25segmented_radix_sort_implINS0_14default_configELb1EPKaPaPKlPlN2at6native12_GLOBAL__N_18offset_tEEE10hipError_tPvRmT1_PNSt15iterator_traitsISY_E10value_typeET2_T3_PNSZ_IS14_E10value_typeET4_jRbjT5_S1A_jjP12ihipStream_tbEUljE_EEESV_SW_SX_S14_S18_S1A_T6_T7_T9_mT8_S1C_bDpT10_ENKUlT_T0_E_clISt17integral_constantIbLb1EES1P_EEDaS1K_S1L_EUlS1K_E_NS1_11comp_targetILNS1_3genE4ELNS1_11target_archE910ELNS1_3gpuE8ELNS1_3repE0EEENS1_30default_config_static_selectorELNS0_4arch9wavefront6targetE1EEEvSY_,"axG",@progbits,_ZN7rocprim17ROCPRIM_400000_NS6detail17trampoline_kernelINS0_13select_configILj256ELj13ELNS0_17block_load_methodE3ELS4_3ELS4_3ELNS0_20block_scan_algorithmE0ELj4294967295EEENS1_25partition_config_selectorILNS1_17partition_subalgoE3EjNS0_10empty_typeEbEEZZNS1_14partition_implILS8_3ELb0ES6_jNS0_17counting_iteratorIjlEEPS9_SE_NS0_5tupleIJPjSE_EEENSF_IJSE_SE_EEES9_SG_JZNS1_25segmented_radix_sort_implINS0_14default_configELb1EPKaPaPKlPlN2at6native12_GLOBAL__N_18offset_tEEE10hipError_tPvRmT1_PNSt15iterator_traitsISY_E10value_typeET2_T3_PNSZ_IS14_E10value_typeET4_jRbjT5_S1A_jjP12ihipStream_tbEUljE_EEESV_SW_SX_S14_S18_S1A_T6_T7_T9_mT8_S1C_bDpT10_ENKUlT_T0_E_clISt17integral_constantIbLb1EES1P_EEDaS1K_S1L_EUlS1K_E_NS1_11comp_targetILNS1_3genE4ELNS1_11target_archE910ELNS1_3gpuE8ELNS1_3repE0EEENS1_30default_config_static_selectorELNS0_4arch9wavefront6targetE1EEEvSY_,comdat
	.globl	_ZN7rocprim17ROCPRIM_400000_NS6detail17trampoline_kernelINS0_13select_configILj256ELj13ELNS0_17block_load_methodE3ELS4_3ELS4_3ELNS0_20block_scan_algorithmE0ELj4294967295EEENS1_25partition_config_selectorILNS1_17partition_subalgoE3EjNS0_10empty_typeEbEEZZNS1_14partition_implILS8_3ELb0ES6_jNS0_17counting_iteratorIjlEEPS9_SE_NS0_5tupleIJPjSE_EEENSF_IJSE_SE_EEES9_SG_JZNS1_25segmented_radix_sort_implINS0_14default_configELb1EPKaPaPKlPlN2at6native12_GLOBAL__N_18offset_tEEE10hipError_tPvRmT1_PNSt15iterator_traitsISY_E10value_typeET2_T3_PNSZ_IS14_E10value_typeET4_jRbjT5_S1A_jjP12ihipStream_tbEUljE_EEESV_SW_SX_S14_S18_S1A_T6_T7_T9_mT8_S1C_bDpT10_ENKUlT_T0_E_clISt17integral_constantIbLb1EES1P_EEDaS1K_S1L_EUlS1K_E_NS1_11comp_targetILNS1_3genE4ELNS1_11target_archE910ELNS1_3gpuE8ELNS1_3repE0EEENS1_30default_config_static_selectorELNS0_4arch9wavefront6targetE1EEEvSY_ ; -- Begin function _ZN7rocprim17ROCPRIM_400000_NS6detail17trampoline_kernelINS0_13select_configILj256ELj13ELNS0_17block_load_methodE3ELS4_3ELS4_3ELNS0_20block_scan_algorithmE0ELj4294967295EEENS1_25partition_config_selectorILNS1_17partition_subalgoE3EjNS0_10empty_typeEbEEZZNS1_14partition_implILS8_3ELb0ES6_jNS0_17counting_iteratorIjlEEPS9_SE_NS0_5tupleIJPjSE_EEENSF_IJSE_SE_EEES9_SG_JZNS1_25segmented_radix_sort_implINS0_14default_configELb1EPKaPaPKlPlN2at6native12_GLOBAL__N_18offset_tEEE10hipError_tPvRmT1_PNSt15iterator_traitsISY_E10value_typeET2_T3_PNSZ_IS14_E10value_typeET4_jRbjT5_S1A_jjP12ihipStream_tbEUljE_EEESV_SW_SX_S14_S18_S1A_T6_T7_T9_mT8_S1C_bDpT10_ENKUlT_T0_E_clISt17integral_constantIbLb1EES1P_EEDaS1K_S1L_EUlS1K_E_NS1_11comp_targetILNS1_3genE4ELNS1_11target_archE910ELNS1_3gpuE8ELNS1_3repE0EEENS1_30default_config_static_selectorELNS0_4arch9wavefront6targetE1EEEvSY_
	.p2align	8
	.type	_ZN7rocprim17ROCPRIM_400000_NS6detail17trampoline_kernelINS0_13select_configILj256ELj13ELNS0_17block_load_methodE3ELS4_3ELS4_3ELNS0_20block_scan_algorithmE0ELj4294967295EEENS1_25partition_config_selectorILNS1_17partition_subalgoE3EjNS0_10empty_typeEbEEZZNS1_14partition_implILS8_3ELb0ES6_jNS0_17counting_iteratorIjlEEPS9_SE_NS0_5tupleIJPjSE_EEENSF_IJSE_SE_EEES9_SG_JZNS1_25segmented_radix_sort_implINS0_14default_configELb1EPKaPaPKlPlN2at6native12_GLOBAL__N_18offset_tEEE10hipError_tPvRmT1_PNSt15iterator_traitsISY_E10value_typeET2_T3_PNSZ_IS14_E10value_typeET4_jRbjT5_S1A_jjP12ihipStream_tbEUljE_EEESV_SW_SX_S14_S18_S1A_T6_T7_T9_mT8_S1C_bDpT10_ENKUlT_T0_E_clISt17integral_constantIbLb1EES1P_EEDaS1K_S1L_EUlS1K_E_NS1_11comp_targetILNS1_3genE4ELNS1_11target_archE910ELNS1_3gpuE8ELNS1_3repE0EEENS1_30default_config_static_selectorELNS0_4arch9wavefront6targetE1EEEvSY_,@function
_ZN7rocprim17ROCPRIM_400000_NS6detail17trampoline_kernelINS0_13select_configILj256ELj13ELNS0_17block_load_methodE3ELS4_3ELS4_3ELNS0_20block_scan_algorithmE0ELj4294967295EEENS1_25partition_config_selectorILNS1_17partition_subalgoE3EjNS0_10empty_typeEbEEZZNS1_14partition_implILS8_3ELb0ES6_jNS0_17counting_iteratorIjlEEPS9_SE_NS0_5tupleIJPjSE_EEENSF_IJSE_SE_EEES9_SG_JZNS1_25segmented_radix_sort_implINS0_14default_configELb1EPKaPaPKlPlN2at6native12_GLOBAL__N_18offset_tEEE10hipError_tPvRmT1_PNSt15iterator_traitsISY_E10value_typeET2_T3_PNSZ_IS14_E10value_typeET4_jRbjT5_S1A_jjP12ihipStream_tbEUljE_EEESV_SW_SX_S14_S18_S1A_T6_T7_T9_mT8_S1C_bDpT10_ENKUlT_T0_E_clISt17integral_constantIbLb1EES1P_EEDaS1K_S1L_EUlS1K_E_NS1_11comp_targetILNS1_3genE4ELNS1_11target_archE910ELNS1_3gpuE8ELNS1_3repE0EEENS1_30default_config_static_selectorELNS0_4arch9wavefront6targetE1EEEvSY_: ; @_ZN7rocprim17ROCPRIM_400000_NS6detail17trampoline_kernelINS0_13select_configILj256ELj13ELNS0_17block_load_methodE3ELS4_3ELS4_3ELNS0_20block_scan_algorithmE0ELj4294967295EEENS1_25partition_config_selectorILNS1_17partition_subalgoE3EjNS0_10empty_typeEbEEZZNS1_14partition_implILS8_3ELb0ES6_jNS0_17counting_iteratorIjlEEPS9_SE_NS0_5tupleIJPjSE_EEENSF_IJSE_SE_EEES9_SG_JZNS1_25segmented_radix_sort_implINS0_14default_configELb1EPKaPaPKlPlN2at6native12_GLOBAL__N_18offset_tEEE10hipError_tPvRmT1_PNSt15iterator_traitsISY_E10value_typeET2_T3_PNSZ_IS14_E10value_typeET4_jRbjT5_S1A_jjP12ihipStream_tbEUljE_EEESV_SW_SX_S14_S18_S1A_T6_T7_T9_mT8_S1C_bDpT10_ENKUlT_T0_E_clISt17integral_constantIbLb1EES1P_EEDaS1K_S1L_EUlS1K_E_NS1_11comp_targetILNS1_3genE4ELNS1_11target_archE910ELNS1_3gpuE8ELNS1_3repE0EEENS1_30default_config_static_selectorELNS0_4arch9wavefront6targetE1EEEvSY_
; %bb.0:
	.section	.rodata,"a",@progbits
	.p2align	6, 0x0
	.amdhsa_kernel _ZN7rocprim17ROCPRIM_400000_NS6detail17trampoline_kernelINS0_13select_configILj256ELj13ELNS0_17block_load_methodE3ELS4_3ELS4_3ELNS0_20block_scan_algorithmE0ELj4294967295EEENS1_25partition_config_selectorILNS1_17partition_subalgoE3EjNS0_10empty_typeEbEEZZNS1_14partition_implILS8_3ELb0ES6_jNS0_17counting_iteratorIjlEEPS9_SE_NS0_5tupleIJPjSE_EEENSF_IJSE_SE_EEES9_SG_JZNS1_25segmented_radix_sort_implINS0_14default_configELb1EPKaPaPKlPlN2at6native12_GLOBAL__N_18offset_tEEE10hipError_tPvRmT1_PNSt15iterator_traitsISY_E10value_typeET2_T3_PNSZ_IS14_E10value_typeET4_jRbjT5_S1A_jjP12ihipStream_tbEUljE_EEESV_SW_SX_S14_S18_S1A_T6_T7_T9_mT8_S1C_bDpT10_ENKUlT_T0_E_clISt17integral_constantIbLb1EES1P_EEDaS1K_S1L_EUlS1K_E_NS1_11comp_targetILNS1_3genE4ELNS1_11target_archE910ELNS1_3gpuE8ELNS1_3repE0EEENS1_30default_config_static_selectorELNS0_4arch9wavefront6targetE1EEEvSY_
		.amdhsa_group_segment_fixed_size 0
		.amdhsa_private_segment_fixed_size 0
		.amdhsa_kernarg_size 152
		.amdhsa_user_sgpr_count 6
		.amdhsa_user_sgpr_private_segment_buffer 1
		.amdhsa_user_sgpr_dispatch_ptr 0
		.amdhsa_user_sgpr_queue_ptr 0
		.amdhsa_user_sgpr_kernarg_segment_ptr 1
		.amdhsa_user_sgpr_dispatch_id 0
		.amdhsa_user_sgpr_flat_scratch_init 0
		.amdhsa_user_sgpr_private_segment_size 0
		.amdhsa_uses_dynamic_stack 0
		.amdhsa_system_sgpr_private_segment_wavefront_offset 0
		.amdhsa_system_sgpr_workgroup_id_x 1
		.amdhsa_system_sgpr_workgroup_id_y 0
		.amdhsa_system_sgpr_workgroup_id_z 0
		.amdhsa_system_sgpr_workgroup_info 0
		.amdhsa_system_vgpr_workitem_id 0
		.amdhsa_next_free_vgpr 1
		.amdhsa_next_free_sgpr 0
		.amdhsa_reserve_vcc 0
		.amdhsa_reserve_flat_scratch 0
		.amdhsa_float_round_mode_32 0
		.amdhsa_float_round_mode_16_64 0
		.amdhsa_float_denorm_mode_32 3
		.amdhsa_float_denorm_mode_16_64 3
		.amdhsa_dx10_clamp 1
		.amdhsa_ieee_mode 1
		.amdhsa_fp16_overflow 0
		.amdhsa_exception_fp_ieee_invalid_op 0
		.amdhsa_exception_fp_denorm_src 0
		.amdhsa_exception_fp_ieee_div_zero 0
		.amdhsa_exception_fp_ieee_overflow 0
		.amdhsa_exception_fp_ieee_underflow 0
		.amdhsa_exception_fp_ieee_inexact 0
		.amdhsa_exception_int_div_zero 0
	.end_amdhsa_kernel
	.section	.text._ZN7rocprim17ROCPRIM_400000_NS6detail17trampoline_kernelINS0_13select_configILj256ELj13ELNS0_17block_load_methodE3ELS4_3ELS4_3ELNS0_20block_scan_algorithmE0ELj4294967295EEENS1_25partition_config_selectorILNS1_17partition_subalgoE3EjNS0_10empty_typeEbEEZZNS1_14partition_implILS8_3ELb0ES6_jNS0_17counting_iteratorIjlEEPS9_SE_NS0_5tupleIJPjSE_EEENSF_IJSE_SE_EEES9_SG_JZNS1_25segmented_radix_sort_implINS0_14default_configELb1EPKaPaPKlPlN2at6native12_GLOBAL__N_18offset_tEEE10hipError_tPvRmT1_PNSt15iterator_traitsISY_E10value_typeET2_T3_PNSZ_IS14_E10value_typeET4_jRbjT5_S1A_jjP12ihipStream_tbEUljE_EEESV_SW_SX_S14_S18_S1A_T6_T7_T9_mT8_S1C_bDpT10_ENKUlT_T0_E_clISt17integral_constantIbLb1EES1P_EEDaS1K_S1L_EUlS1K_E_NS1_11comp_targetILNS1_3genE4ELNS1_11target_archE910ELNS1_3gpuE8ELNS1_3repE0EEENS1_30default_config_static_selectorELNS0_4arch9wavefront6targetE1EEEvSY_,"axG",@progbits,_ZN7rocprim17ROCPRIM_400000_NS6detail17trampoline_kernelINS0_13select_configILj256ELj13ELNS0_17block_load_methodE3ELS4_3ELS4_3ELNS0_20block_scan_algorithmE0ELj4294967295EEENS1_25partition_config_selectorILNS1_17partition_subalgoE3EjNS0_10empty_typeEbEEZZNS1_14partition_implILS8_3ELb0ES6_jNS0_17counting_iteratorIjlEEPS9_SE_NS0_5tupleIJPjSE_EEENSF_IJSE_SE_EEES9_SG_JZNS1_25segmented_radix_sort_implINS0_14default_configELb1EPKaPaPKlPlN2at6native12_GLOBAL__N_18offset_tEEE10hipError_tPvRmT1_PNSt15iterator_traitsISY_E10value_typeET2_T3_PNSZ_IS14_E10value_typeET4_jRbjT5_S1A_jjP12ihipStream_tbEUljE_EEESV_SW_SX_S14_S18_S1A_T6_T7_T9_mT8_S1C_bDpT10_ENKUlT_T0_E_clISt17integral_constantIbLb1EES1P_EEDaS1K_S1L_EUlS1K_E_NS1_11comp_targetILNS1_3genE4ELNS1_11target_archE910ELNS1_3gpuE8ELNS1_3repE0EEENS1_30default_config_static_selectorELNS0_4arch9wavefront6targetE1EEEvSY_,comdat
.Lfunc_end268:
	.size	_ZN7rocprim17ROCPRIM_400000_NS6detail17trampoline_kernelINS0_13select_configILj256ELj13ELNS0_17block_load_methodE3ELS4_3ELS4_3ELNS0_20block_scan_algorithmE0ELj4294967295EEENS1_25partition_config_selectorILNS1_17partition_subalgoE3EjNS0_10empty_typeEbEEZZNS1_14partition_implILS8_3ELb0ES6_jNS0_17counting_iteratorIjlEEPS9_SE_NS0_5tupleIJPjSE_EEENSF_IJSE_SE_EEES9_SG_JZNS1_25segmented_radix_sort_implINS0_14default_configELb1EPKaPaPKlPlN2at6native12_GLOBAL__N_18offset_tEEE10hipError_tPvRmT1_PNSt15iterator_traitsISY_E10value_typeET2_T3_PNSZ_IS14_E10value_typeET4_jRbjT5_S1A_jjP12ihipStream_tbEUljE_EEESV_SW_SX_S14_S18_S1A_T6_T7_T9_mT8_S1C_bDpT10_ENKUlT_T0_E_clISt17integral_constantIbLb1EES1P_EEDaS1K_S1L_EUlS1K_E_NS1_11comp_targetILNS1_3genE4ELNS1_11target_archE910ELNS1_3gpuE8ELNS1_3repE0EEENS1_30default_config_static_selectorELNS0_4arch9wavefront6targetE1EEEvSY_, .Lfunc_end268-_ZN7rocprim17ROCPRIM_400000_NS6detail17trampoline_kernelINS0_13select_configILj256ELj13ELNS0_17block_load_methodE3ELS4_3ELS4_3ELNS0_20block_scan_algorithmE0ELj4294967295EEENS1_25partition_config_selectorILNS1_17partition_subalgoE3EjNS0_10empty_typeEbEEZZNS1_14partition_implILS8_3ELb0ES6_jNS0_17counting_iteratorIjlEEPS9_SE_NS0_5tupleIJPjSE_EEENSF_IJSE_SE_EEES9_SG_JZNS1_25segmented_radix_sort_implINS0_14default_configELb1EPKaPaPKlPlN2at6native12_GLOBAL__N_18offset_tEEE10hipError_tPvRmT1_PNSt15iterator_traitsISY_E10value_typeET2_T3_PNSZ_IS14_E10value_typeET4_jRbjT5_S1A_jjP12ihipStream_tbEUljE_EEESV_SW_SX_S14_S18_S1A_T6_T7_T9_mT8_S1C_bDpT10_ENKUlT_T0_E_clISt17integral_constantIbLb1EES1P_EEDaS1K_S1L_EUlS1K_E_NS1_11comp_targetILNS1_3genE4ELNS1_11target_archE910ELNS1_3gpuE8ELNS1_3repE0EEENS1_30default_config_static_selectorELNS0_4arch9wavefront6targetE1EEEvSY_
                                        ; -- End function
	.set _ZN7rocprim17ROCPRIM_400000_NS6detail17trampoline_kernelINS0_13select_configILj256ELj13ELNS0_17block_load_methodE3ELS4_3ELS4_3ELNS0_20block_scan_algorithmE0ELj4294967295EEENS1_25partition_config_selectorILNS1_17partition_subalgoE3EjNS0_10empty_typeEbEEZZNS1_14partition_implILS8_3ELb0ES6_jNS0_17counting_iteratorIjlEEPS9_SE_NS0_5tupleIJPjSE_EEENSF_IJSE_SE_EEES9_SG_JZNS1_25segmented_radix_sort_implINS0_14default_configELb1EPKaPaPKlPlN2at6native12_GLOBAL__N_18offset_tEEE10hipError_tPvRmT1_PNSt15iterator_traitsISY_E10value_typeET2_T3_PNSZ_IS14_E10value_typeET4_jRbjT5_S1A_jjP12ihipStream_tbEUljE_EEESV_SW_SX_S14_S18_S1A_T6_T7_T9_mT8_S1C_bDpT10_ENKUlT_T0_E_clISt17integral_constantIbLb1EES1P_EEDaS1K_S1L_EUlS1K_E_NS1_11comp_targetILNS1_3genE4ELNS1_11target_archE910ELNS1_3gpuE8ELNS1_3repE0EEENS1_30default_config_static_selectorELNS0_4arch9wavefront6targetE1EEEvSY_.num_vgpr, 0
	.set _ZN7rocprim17ROCPRIM_400000_NS6detail17trampoline_kernelINS0_13select_configILj256ELj13ELNS0_17block_load_methodE3ELS4_3ELS4_3ELNS0_20block_scan_algorithmE0ELj4294967295EEENS1_25partition_config_selectorILNS1_17partition_subalgoE3EjNS0_10empty_typeEbEEZZNS1_14partition_implILS8_3ELb0ES6_jNS0_17counting_iteratorIjlEEPS9_SE_NS0_5tupleIJPjSE_EEENSF_IJSE_SE_EEES9_SG_JZNS1_25segmented_radix_sort_implINS0_14default_configELb1EPKaPaPKlPlN2at6native12_GLOBAL__N_18offset_tEEE10hipError_tPvRmT1_PNSt15iterator_traitsISY_E10value_typeET2_T3_PNSZ_IS14_E10value_typeET4_jRbjT5_S1A_jjP12ihipStream_tbEUljE_EEESV_SW_SX_S14_S18_S1A_T6_T7_T9_mT8_S1C_bDpT10_ENKUlT_T0_E_clISt17integral_constantIbLb1EES1P_EEDaS1K_S1L_EUlS1K_E_NS1_11comp_targetILNS1_3genE4ELNS1_11target_archE910ELNS1_3gpuE8ELNS1_3repE0EEENS1_30default_config_static_selectorELNS0_4arch9wavefront6targetE1EEEvSY_.num_agpr, 0
	.set _ZN7rocprim17ROCPRIM_400000_NS6detail17trampoline_kernelINS0_13select_configILj256ELj13ELNS0_17block_load_methodE3ELS4_3ELS4_3ELNS0_20block_scan_algorithmE0ELj4294967295EEENS1_25partition_config_selectorILNS1_17partition_subalgoE3EjNS0_10empty_typeEbEEZZNS1_14partition_implILS8_3ELb0ES6_jNS0_17counting_iteratorIjlEEPS9_SE_NS0_5tupleIJPjSE_EEENSF_IJSE_SE_EEES9_SG_JZNS1_25segmented_radix_sort_implINS0_14default_configELb1EPKaPaPKlPlN2at6native12_GLOBAL__N_18offset_tEEE10hipError_tPvRmT1_PNSt15iterator_traitsISY_E10value_typeET2_T3_PNSZ_IS14_E10value_typeET4_jRbjT5_S1A_jjP12ihipStream_tbEUljE_EEESV_SW_SX_S14_S18_S1A_T6_T7_T9_mT8_S1C_bDpT10_ENKUlT_T0_E_clISt17integral_constantIbLb1EES1P_EEDaS1K_S1L_EUlS1K_E_NS1_11comp_targetILNS1_3genE4ELNS1_11target_archE910ELNS1_3gpuE8ELNS1_3repE0EEENS1_30default_config_static_selectorELNS0_4arch9wavefront6targetE1EEEvSY_.numbered_sgpr, 0
	.set _ZN7rocprim17ROCPRIM_400000_NS6detail17trampoline_kernelINS0_13select_configILj256ELj13ELNS0_17block_load_methodE3ELS4_3ELS4_3ELNS0_20block_scan_algorithmE0ELj4294967295EEENS1_25partition_config_selectorILNS1_17partition_subalgoE3EjNS0_10empty_typeEbEEZZNS1_14partition_implILS8_3ELb0ES6_jNS0_17counting_iteratorIjlEEPS9_SE_NS0_5tupleIJPjSE_EEENSF_IJSE_SE_EEES9_SG_JZNS1_25segmented_radix_sort_implINS0_14default_configELb1EPKaPaPKlPlN2at6native12_GLOBAL__N_18offset_tEEE10hipError_tPvRmT1_PNSt15iterator_traitsISY_E10value_typeET2_T3_PNSZ_IS14_E10value_typeET4_jRbjT5_S1A_jjP12ihipStream_tbEUljE_EEESV_SW_SX_S14_S18_S1A_T6_T7_T9_mT8_S1C_bDpT10_ENKUlT_T0_E_clISt17integral_constantIbLb1EES1P_EEDaS1K_S1L_EUlS1K_E_NS1_11comp_targetILNS1_3genE4ELNS1_11target_archE910ELNS1_3gpuE8ELNS1_3repE0EEENS1_30default_config_static_selectorELNS0_4arch9wavefront6targetE1EEEvSY_.num_named_barrier, 0
	.set _ZN7rocprim17ROCPRIM_400000_NS6detail17trampoline_kernelINS0_13select_configILj256ELj13ELNS0_17block_load_methodE3ELS4_3ELS4_3ELNS0_20block_scan_algorithmE0ELj4294967295EEENS1_25partition_config_selectorILNS1_17partition_subalgoE3EjNS0_10empty_typeEbEEZZNS1_14partition_implILS8_3ELb0ES6_jNS0_17counting_iteratorIjlEEPS9_SE_NS0_5tupleIJPjSE_EEENSF_IJSE_SE_EEES9_SG_JZNS1_25segmented_radix_sort_implINS0_14default_configELb1EPKaPaPKlPlN2at6native12_GLOBAL__N_18offset_tEEE10hipError_tPvRmT1_PNSt15iterator_traitsISY_E10value_typeET2_T3_PNSZ_IS14_E10value_typeET4_jRbjT5_S1A_jjP12ihipStream_tbEUljE_EEESV_SW_SX_S14_S18_S1A_T6_T7_T9_mT8_S1C_bDpT10_ENKUlT_T0_E_clISt17integral_constantIbLb1EES1P_EEDaS1K_S1L_EUlS1K_E_NS1_11comp_targetILNS1_3genE4ELNS1_11target_archE910ELNS1_3gpuE8ELNS1_3repE0EEENS1_30default_config_static_selectorELNS0_4arch9wavefront6targetE1EEEvSY_.private_seg_size, 0
	.set _ZN7rocprim17ROCPRIM_400000_NS6detail17trampoline_kernelINS0_13select_configILj256ELj13ELNS0_17block_load_methodE3ELS4_3ELS4_3ELNS0_20block_scan_algorithmE0ELj4294967295EEENS1_25partition_config_selectorILNS1_17partition_subalgoE3EjNS0_10empty_typeEbEEZZNS1_14partition_implILS8_3ELb0ES6_jNS0_17counting_iteratorIjlEEPS9_SE_NS0_5tupleIJPjSE_EEENSF_IJSE_SE_EEES9_SG_JZNS1_25segmented_radix_sort_implINS0_14default_configELb1EPKaPaPKlPlN2at6native12_GLOBAL__N_18offset_tEEE10hipError_tPvRmT1_PNSt15iterator_traitsISY_E10value_typeET2_T3_PNSZ_IS14_E10value_typeET4_jRbjT5_S1A_jjP12ihipStream_tbEUljE_EEESV_SW_SX_S14_S18_S1A_T6_T7_T9_mT8_S1C_bDpT10_ENKUlT_T0_E_clISt17integral_constantIbLb1EES1P_EEDaS1K_S1L_EUlS1K_E_NS1_11comp_targetILNS1_3genE4ELNS1_11target_archE910ELNS1_3gpuE8ELNS1_3repE0EEENS1_30default_config_static_selectorELNS0_4arch9wavefront6targetE1EEEvSY_.uses_vcc, 0
	.set _ZN7rocprim17ROCPRIM_400000_NS6detail17trampoline_kernelINS0_13select_configILj256ELj13ELNS0_17block_load_methodE3ELS4_3ELS4_3ELNS0_20block_scan_algorithmE0ELj4294967295EEENS1_25partition_config_selectorILNS1_17partition_subalgoE3EjNS0_10empty_typeEbEEZZNS1_14partition_implILS8_3ELb0ES6_jNS0_17counting_iteratorIjlEEPS9_SE_NS0_5tupleIJPjSE_EEENSF_IJSE_SE_EEES9_SG_JZNS1_25segmented_radix_sort_implINS0_14default_configELb1EPKaPaPKlPlN2at6native12_GLOBAL__N_18offset_tEEE10hipError_tPvRmT1_PNSt15iterator_traitsISY_E10value_typeET2_T3_PNSZ_IS14_E10value_typeET4_jRbjT5_S1A_jjP12ihipStream_tbEUljE_EEESV_SW_SX_S14_S18_S1A_T6_T7_T9_mT8_S1C_bDpT10_ENKUlT_T0_E_clISt17integral_constantIbLb1EES1P_EEDaS1K_S1L_EUlS1K_E_NS1_11comp_targetILNS1_3genE4ELNS1_11target_archE910ELNS1_3gpuE8ELNS1_3repE0EEENS1_30default_config_static_selectorELNS0_4arch9wavefront6targetE1EEEvSY_.uses_flat_scratch, 0
	.set _ZN7rocprim17ROCPRIM_400000_NS6detail17trampoline_kernelINS0_13select_configILj256ELj13ELNS0_17block_load_methodE3ELS4_3ELS4_3ELNS0_20block_scan_algorithmE0ELj4294967295EEENS1_25partition_config_selectorILNS1_17partition_subalgoE3EjNS0_10empty_typeEbEEZZNS1_14partition_implILS8_3ELb0ES6_jNS0_17counting_iteratorIjlEEPS9_SE_NS0_5tupleIJPjSE_EEENSF_IJSE_SE_EEES9_SG_JZNS1_25segmented_radix_sort_implINS0_14default_configELb1EPKaPaPKlPlN2at6native12_GLOBAL__N_18offset_tEEE10hipError_tPvRmT1_PNSt15iterator_traitsISY_E10value_typeET2_T3_PNSZ_IS14_E10value_typeET4_jRbjT5_S1A_jjP12ihipStream_tbEUljE_EEESV_SW_SX_S14_S18_S1A_T6_T7_T9_mT8_S1C_bDpT10_ENKUlT_T0_E_clISt17integral_constantIbLb1EES1P_EEDaS1K_S1L_EUlS1K_E_NS1_11comp_targetILNS1_3genE4ELNS1_11target_archE910ELNS1_3gpuE8ELNS1_3repE0EEENS1_30default_config_static_selectorELNS0_4arch9wavefront6targetE1EEEvSY_.has_dyn_sized_stack, 0
	.set _ZN7rocprim17ROCPRIM_400000_NS6detail17trampoline_kernelINS0_13select_configILj256ELj13ELNS0_17block_load_methodE3ELS4_3ELS4_3ELNS0_20block_scan_algorithmE0ELj4294967295EEENS1_25partition_config_selectorILNS1_17partition_subalgoE3EjNS0_10empty_typeEbEEZZNS1_14partition_implILS8_3ELb0ES6_jNS0_17counting_iteratorIjlEEPS9_SE_NS0_5tupleIJPjSE_EEENSF_IJSE_SE_EEES9_SG_JZNS1_25segmented_radix_sort_implINS0_14default_configELb1EPKaPaPKlPlN2at6native12_GLOBAL__N_18offset_tEEE10hipError_tPvRmT1_PNSt15iterator_traitsISY_E10value_typeET2_T3_PNSZ_IS14_E10value_typeET4_jRbjT5_S1A_jjP12ihipStream_tbEUljE_EEESV_SW_SX_S14_S18_S1A_T6_T7_T9_mT8_S1C_bDpT10_ENKUlT_T0_E_clISt17integral_constantIbLb1EES1P_EEDaS1K_S1L_EUlS1K_E_NS1_11comp_targetILNS1_3genE4ELNS1_11target_archE910ELNS1_3gpuE8ELNS1_3repE0EEENS1_30default_config_static_selectorELNS0_4arch9wavefront6targetE1EEEvSY_.has_recursion, 0
	.set _ZN7rocprim17ROCPRIM_400000_NS6detail17trampoline_kernelINS0_13select_configILj256ELj13ELNS0_17block_load_methodE3ELS4_3ELS4_3ELNS0_20block_scan_algorithmE0ELj4294967295EEENS1_25partition_config_selectorILNS1_17partition_subalgoE3EjNS0_10empty_typeEbEEZZNS1_14partition_implILS8_3ELb0ES6_jNS0_17counting_iteratorIjlEEPS9_SE_NS0_5tupleIJPjSE_EEENSF_IJSE_SE_EEES9_SG_JZNS1_25segmented_radix_sort_implINS0_14default_configELb1EPKaPaPKlPlN2at6native12_GLOBAL__N_18offset_tEEE10hipError_tPvRmT1_PNSt15iterator_traitsISY_E10value_typeET2_T3_PNSZ_IS14_E10value_typeET4_jRbjT5_S1A_jjP12ihipStream_tbEUljE_EEESV_SW_SX_S14_S18_S1A_T6_T7_T9_mT8_S1C_bDpT10_ENKUlT_T0_E_clISt17integral_constantIbLb1EES1P_EEDaS1K_S1L_EUlS1K_E_NS1_11comp_targetILNS1_3genE4ELNS1_11target_archE910ELNS1_3gpuE8ELNS1_3repE0EEENS1_30default_config_static_selectorELNS0_4arch9wavefront6targetE1EEEvSY_.has_indirect_call, 0
	.section	.AMDGPU.csdata,"",@progbits
; Kernel info:
; codeLenInByte = 0
; TotalNumSgprs: 4
; NumVgprs: 0
; ScratchSize: 0
; MemoryBound: 0
; FloatMode: 240
; IeeeMode: 1
; LDSByteSize: 0 bytes/workgroup (compile time only)
; SGPRBlocks: 0
; VGPRBlocks: 0
; NumSGPRsForWavesPerEU: 4
; NumVGPRsForWavesPerEU: 1
; Occupancy: 10
; WaveLimiterHint : 0
; COMPUTE_PGM_RSRC2:SCRATCH_EN: 0
; COMPUTE_PGM_RSRC2:USER_SGPR: 6
; COMPUTE_PGM_RSRC2:TRAP_HANDLER: 0
; COMPUTE_PGM_RSRC2:TGID_X_EN: 1
; COMPUTE_PGM_RSRC2:TGID_Y_EN: 0
; COMPUTE_PGM_RSRC2:TGID_Z_EN: 0
; COMPUTE_PGM_RSRC2:TIDIG_COMP_CNT: 0
	.section	.text._ZN7rocprim17ROCPRIM_400000_NS6detail17trampoline_kernelINS0_13select_configILj256ELj13ELNS0_17block_load_methodE3ELS4_3ELS4_3ELNS0_20block_scan_algorithmE0ELj4294967295EEENS1_25partition_config_selectorILNS1_17partition_subalgoE3EjNS0_10empty_typeEbEEZZNS1_14partition_implILS8_3ELb0ES6_jNS0_17counting_iteratorIjlEEPS9_SE_NS0_5tupleIJPjSE_EEENSF_IJSE_SE_EEES9_SG_JZNS1_25segmented_radix_sort_implINS0_14default_configELb1EPKaPaPKlPlN2at6native12_GLOBAL__N_18offset_tEEE10hipError_tPvRmT1_PNSt15iterator_traitsISY_E10value_typeET2_T3_PNSZ_IS14_E10value_typeET4_jRbjT5_S1A_jjP12ihipStream_tbEUljE_EEESV_SW_SX_S14_S18_S1A_T6_T7_T9_mT8_S1C_bDpT10_ENKUlT_T0_E_clISt17integral_constantIbLb1EES1P_EEDaS1K_S1L_EUlS1K_E_NS1_11comp_targetILNS1_3genE3ELNS1_11target_archE908ELNS1_3gpuE7ELNS1_3repE0EEENS1_30default_config_static_selectorELNS0_4arch9wavefront6targetE1EEEvSY_,"axG",@progbits,_ZN7rocprim17ROCPRIM_400000_NS6detail17trampoline_kernelINS0_13select_configILj256ELj13ELNS0_17block_load_methodE3ELS4_3ELS4_3ELNS0_20block_scan_algorithmE0ELj4294967295EEENS1_25partition_config_selectorILNS1_17partition_subalgoE3EjNS0_10empty_typeEbEEZZNS1_14partition_implILS8_3ELb0ES6_jNS0_17counting_iteratorIjlEEPS9_SE_NS0_5tupleIJPjSE_EEENSF_IJSE_SE_EEES9_SG_JZNS1_25segmented_radix_sort_implINS0_14default_configELb1EPKaPaPKlPlN2at6native12_GLOBAL__N_18offset_tEEE10hipError_tPvRmT1_PNSt15iterator_traitsISY_E10value_typeET2_T3_PNSZ_IS14_E10value_typeET4_jRbjT5_S1A_jjP12ihipStream_tbEUljE_EEESV_SW_SX_S14_S18_S1A_T6_T7_T9_mT8_S1C_bDpT10_ENKUlT_T0_E_clISt17integral_constantIbLb1EES1P_EEDaS1K_S1L_EUlS1K_E_NS1_11comp_targetILNS1_3genE3ELNS1_11target_archE908ELNS1_3gpuE7ELNS1_3repE0EEENS1_30default_config_static_selectorELNS0_4arch9wavefront6targetE1EEEvSY_,comdat
	.globl	_ZN7rocprim17ROCPRIM_400000_NS6detail17trampoline_kernelINS0_13select_configILj256ELj13ELNS0_17block_load_methodE3ELS4_3ELS4_3ELNS0_20block_scan_algorithmE0ELj4294967295EEENS1_25partition_config_selectorILNS1_17partition_subalgoE3EjNS0_10empty_typeEbEEZZNS1_14partition_implILS8_3ELb0ES6_jNS0_17counting_iteratorIjlEEPS9_SE_NS0_5tupleIJPjSE_EEENSF_IJSE_SE_EEES9_SG_JZNS1_25segmented_radix_sort_implINS0_14default_configELb1EPKaPaPKlPlN2at6native12_GLOBAL__N_18offset_tEEE10hipError_tPvRmT1_PNSt15iterator_traitsISY_E10value_typeET2_T3_PNSZ_IS14_E10value_typeET4_jRbjT5_S1A_jjP12ihipStream_tbEUljE_EEESV_SW_SX_S14_S18_S1A_T6_T7_T9_mT8_S1C_bDpT10_ENKUlT_T0_E_clISt17integral_constantIbLb1EES1P_EEDaS1K_S1L_EUlS1K_E_NS1_11comp_targetILNS1_3genE3ELNS1_11target_archE908ELNS1_3gpuE7ELNS1_3repE0EEENS1_30default_config_static_selectorELNS0_4arch9wavefront6targetE1EEEvSY_ ; -- Begin function _ZN7rocprim17ROCPRIM_400000_NS6detail17trampoline_kernelINS0_13select_configILj256ELj13ELNS0_17block_load_methodE3ELS4_3ELS4_3ELNS0_20block_scan_algorithmE0ELj4294967295EEENS1_25partition_config_selectorILNS1_17partition_subalgoE3EjNS0_10empty_typeEbEEZZNS1_14partition_implILS8_3ELb0ES6_jNS0_17counting_iteratorIjlEEPS9_SE_NS0_5tupleIJPjSE_EEENSF_IJSE_SE_EEES9_SG_JZNS1_25segmented_radix_sort_implINS0_14default_configELb1EPKaPaPKlPlN2at6native12_GLOBAL__N_18offset_tEEE10hipError_tPvRmT1_PNSt15iterator_traitsISY_E10value_typeET2_T3_PNSZ_IS14_E10value_typeET4_jRbjT5_S1A_jjP12ihipStream_tbEUljE_EEESV_SW_SX_S14_S18_S1A_T6_T7_T9_mT8_S1C_bDpT10_ENKUlT_T0_E_clISt17integral_constantIbLb1EES1P_EEDaS1K_S1L_EUlS1K_E_NS1_11comp_targetILNS1_3genE3ELNS1_11target_archE908ELNS1_3gpuE7ELNS1_3repE0EEENS1_30default_config_static_selectorELNS0_4arch9wavefront6targetE1EEEvSY_
	.p2align	8
	.type	_ZN7rocprim17ROCPRIM_400000_NS6detail17trampoline_kernelINS0_13select_configILj256ELj13ELNS0_17block_load_methodE3ELS4_3ELS4_3ELNS0_20block_scan_algorithmE0ELj4294967295EEENS1_25partition_config_selectorILNS1_17partition_subalgoE3EjNS0_10empty_typeEbEEZZNS1_14partition_implILS8_3ELb0ES6_jNS0_17counting_iteratorIjlEEPS9_SE_NS0_5tupleIJPjSE_EEENSF_IJSE_SE_EEES9_SG_JZNS1_25segmented_radix_sort_implINS0_14default_configELb1EPKaPaPKlPlN2at6native12_GLOBAL__N_18offset_tEEE10hipError_tPvRmT1_PNSt15iterator_traitsISY_E10value_typeET2_T3_PNSZ_IS14_E10value_typeET4_jRbjT5_S1A_jjP12ihipStream_tbEUljE_EEESV_SW_SX_S14_S18_S1A_T6_T7_T9_mT8_S1C_bDpT10_ENKUlT_T0_E_clISt17integral_constantIbLb1EES1P_EEDaS1K_S1L_EUlS1K_E_NS1_11comp_targetILNS1_3genE3ELNS1_11target_archE908ELNS1_3gpuE7ELNS1_3repE0EEENS1_30default_config_static_selectorELNS0_4arch9wavefront6targetE1EEEvSY_,@function
_ZN7rocprim17ROCPRIM_400000_NS6detail17trampoline_kernelINS0_13select_configILj256ELj13ELNS0_17block_load_methodE3ELS4_3ELS4_3ELNS0_20block_scan_algorithmE0ELj4294967295EEENS1_25partition_config_selectorILNS1_17partition_subalgoE3EjNS0_10empty_typeEbEEZZNS1_14partition_implILS8_3ELb0ES6_jNS0_17counting_iteratorIjlEEPS9_SE_NS0_5tupleIJPjSE_EEENSF_IJSE_SE_EEES9_SG_JZNS1_25segmented_radix_sort_implINS0_14default_configELb1EPKaPaPKlPlN2at6native12_GLOBAL__N_18offset_tEEE10hipError_tPvRmT1_PNSt15iterator_traitsISY_E10value_typeET2_T3_PNSZ_IS14_E10value_typeET4_jRbjT5_S1A_jjP12ihipStream_tbEUljE_EEESV_SW_SX_S14_S18_S1A_T6_T7_T9_mT8_S1C_bDpT10_ENKUlT_T0_E_clISt17integral_constantIbLb1EES1P_EEDaS1K_S1L_EUlS1K_E_NS1_11comp_targetILNS1_3genE3ELNS1_11target_archE908ELNS1_3gpuE7ELNS1_3repE0EEENS1_30default_config_static_selectorELNS0_4arch9wavefront6targetE1EEEvSY_: ; @_ZN7rocprim17ROCPRIM_400000_NS6detail17trampoline_kernelINS0_13select_configILj256ELj13ELNS0_17block_load_methodE3ELS4_3ELS4_3ELNS0_20block_scan_algorithmE0ELj4294967295EEENS1_25partition_config_selectorILNS1_17partition_subalgoE3EjNS0_10empty_typeEbEEZZNS1_14partition_implILS8_3ELb0ES6_jNS0_17counting_iteratorIjlEEPS9_SE_NS0_5tupleIJPjSE_EEENSF_IJSE_SE_EEES9_SG_JZNS1_25segmented_radix_sort_implINS0_14default_configELb1EPKaPaPKlPlN2at6native12_GLOBAL__N_18offset_tEEE10hipError_tPvRmT1_PNSt15iterator_traitsISY_E10value_typeET2_T3_PNSZ_IS14_E10value_typeET4_jRbjT5_S1A_jjP12ihipStream_tbEUljE_EEESV_SW_SX_S14_S18_S1A_T6_T7_T9_mT8_S1C_bDpT10_ENKUlT_T0_E_clISt17integral_constantIbLb1EES1P_EEDaS1K_S1L_EUlS1K_E_NS1_11comp_targetILNS1_3genE3ELNS1_11target_archE908ELNS1_3gpuE7ELNS1_3repE0EEENS1_30default_config_static_selectorELNS0_4arch9wavefront6targetE1EEEvSY_
; %bb.0:
	.section	.rodata,"a",@progbits
	.p2align	6, 0x0
	.amdhsa_kernel _ZN7rocprim17ROCPRIM_400000_NS6detail17trampoline_kernelINS0_13select_configILj256ELj13ELNS0_17block_load_methodE3ELS4_3ELS4_3ELNS0_20block_scan_algorithmE0ELj4294967295EEENS1_25partition_config_selectorILNS1_17partition_subalgoE3EjNS0_10empty_typeEbEEZZNS1_14partition_implILS8_3ELb0ES6_jNS0_17counting_iteratorIjlEEPS9_SE_NS0_5tupleIJPjSE_EEENSF_IJSE_SE_EEES9_SG_JZNS1_25segmented_radix_sort_implINS0_14default_configELb1EPKaPaPKlPlN2at6native12_GLOBAL__N_18offset_tEEE10hipError_tPvRmT1_PNSt15iterator_traitsISY_E10value_typeET2_T3_PNSZ_IS14_E10value_typeET4_jRbjT5_S1A_jjP12ihipStream_tbEUljE_EEESV_SW_SX_S14_S18_S1A_T6_T7_T9_mT8_S1C_bDpT10_ENKUlT_T0_E_clISt17integral_constantIbLb1EES1P_EEDaS1K_S1L_EUlS1K_E_NS1_11comp_targetILNS1_3genE3ELNS1_11target_archE908ELNS1_3gpuE7ELNS1_3repE0EEENS1_30default_config_static_selectorELNS0_4arch9wavefront6targetE1EEEvSY_
		.amdhsa_group_segment_fixed_size 0
		.amdhsa_private_segment_fixed_size 0
		.amdhsa_kernarg_size 152
		.amdhsa_user_sgpr_count 6
		.amdhsa_user_sgpr_private_segment_buffer 1
		.amdhsa_user_sgpr_dispatch_ptr 0
		.amdhsa_user_sgpr_queue_ptr 0
		.amdhsa_user_sgpr_kernarg_segment_ptr 1
		.amdhsa_user_sgpr_dispatch_id 0
		.amdhsa_user_sgpr_flat_scratch_init 0
		.amdhsa_user_sgpr_private_segment_size 0
		.amdhsa_uses_dynamic_stack 0
		.amdhsa_system_sgpr_private_segment_wavefront_offset 0
		.amdhsa_system_sgpr_workgroup_id_x 1
		.amdhsa_system_sgpr_workgroup_id_y 0
		.amdhsa_system_sgpr_workgroup_id_z 0
		.amdhsa_system_sgpr_workgroup_info 0
		.amdhsa_system_vgpr_workitem_id 0
		.amdhsa_next_free_vgpr 1
		.amdhsa_next_free_sgpr 0
		.amdhsa_reserve_vcc 0
		.amdhsa_reserve_flat_scratch 0
		.amdhsa_float_round_mode_32 0
		.amdhsa_float_round_mode_16_64 0
		.amdhsa_float_denorm_mode_32 3
		.amdhsa_float_denorm_mode_16_64 3
		.amdhsa_dx10_clamp 1
		.amdhsa_ieee_mode 1
		.amdhsa_fp16_overflow 0
		.amdhsa_exception_fp_ieee_invalid_op 0
		.amdhsa_exception_fp_denorm_src 0
		.amdhsa_exception_fp_ieee_div_zero 0
		.amdhsa_exception_fp_ieee_overflow 0
		.amdhsa_exception_fp_ieee_underflow 0
		.amdhsa_exception_fp_ieee_inexact 0
		.amdhsa_exception_int_div_zero 0
	.end_amdhsa_kernel
	.section	.text._ZN7rocprim17ROCPRIM_400000_NS6detail17trampoline_kernelINS0_13select_configILj256ELj13ELNS0_17block_load_methodE3ELS4_3ELS4_3ELNS0_20block_scan_algorithmE0ELj4294967295EEENS1_25partition_config_selectorILNS1_17partition_subalgoE3EjNS0_10empty_typeEbEEZZNS1_14partition_implILS8_3ELb0ES6_jNS0_17counting_iteratorIjlEEPS9_SE_NS0_5tupleIJPjSE_EEENSF_IJSE_SE_EEES9_SG_JZNS1_25segmented_radix_sort_implINS0_14default_configELb1EPKaPaPKlPlN2at6native12_GLOBAL__N_18offset_tEEE10hipError_tPvRmT1_PNSt15iterator_traitsISY_E10value_typeET2_T3_PNSZ_IS14_E10value_typeET4_jRbjT5_S1A_jjP12ihipStream_tbEUljE_EEESV_SW_SX_S14_S18_S1A_T6_T7_T9_mT8_S1C_bDpT10_ENKUlT_T0_E_clISt17integral_constantIbLb1EES1P_EEDaS1K_S1L_EUlS1K_E_NS1_11comp_targetILNS1_3genE3ELNS1_11target_archE908ELNS1_3gpuE7ELNS1_3repE0EEENS1_30default_config_static_selectorELNS0_4arch9wavefront6targetE1EEEvSY_,"axG",@progbits,_ZN7rocprim17ROCPRIM_400000_NS6detail17trampoline_kernelINS0_13select_configILj256ELj13ELNS0_17block_load_methodE3ELS4_3ELS4_3ELNS0_20block_scan_algorithmE0ELj4294967295EEENS1_25partition_config_selectorILNS1_17partition_subalgoE3EjNS0_10empty_typeEbEEZZNS1_14partition_implILS8_3ELb0ES6_jNS0_17counting_iteratorIjlEEPS9_SE_NS0_5tupleIJPjSE_EEENSF_IJSE_SE_EEES9_SG_JZNS1_25segmented_radix_sort_implINS0_14default_configELb1EPKaPaPKlPlN2at6native12_GLOBAL__N_18offset_tEEE10hipError_tPvRmT1_PNSt15iterator_traitsISY_E10value_typeET2_T3_PNSZ_IS14_E10value_typeET4_jRbjT5_S1A_jjP12ihipStream_tbEUljE_EEESV_SW_SX_S14_S18_S1A_T6_T7_T9_mT8_S1C_bDpT10_ENKUlT_T0_E_clISt17integral_constantIbLb1EES1P_EEDaS1K_S1L_EUlS1K_E_NS1_11comp_targetILNS1_3genE3ELNS1_11target_archE908ELNS1_3gpuE7ELNS1_3repE0EEENS1_30default_config_static_selectorELNS0_4arch9wavefront6targetE1EEEvSY_,comdat
.Lfunc_end269:
	.size	_ZN7rocprim17ROCPRIM_400000_NS6detail17trampoline_kernelINS0_13select_configILj256ELj13ELNS0_17block_load_methodE3ELS4_3ELS4_3ELNS0_20block_scan_algorithmE0ELj4294967295EEENS1_25partition_config_selectorILNS1_17partition_subalgoE3EjNS0_10empty_typeEbEEZZNS1_14partition_implILS8_3ELb0ES6_jNS0_17counting_iteratorIjlEEPS9_SE_NS0_5tupleIJPjSE_EEENSF_IJSE_SE_EEES9_SG_JZNS1_25segmented_radix_sort_implINS0_14default_configELb1EPKaPaPKlPlN2at6native12_GLOBAL__N_18offset_tEEE10hipError_tPvRmT1_PNSt15iterator_traitsISY_E10value_typeET2_T3_PNSZ_IS14_E10value_typeET4_jRbjT5_S1A_jjP12ihipStream_tbEUljE_EEESV_SW_SX_S14_S18_S1A_T6_T7_T9_mT8_S1C_bDpT10_ENKUlT_T0_E_clISt17integral_constantIbLb1EES1P_EEDaS1K_S1L_EUlS1K_E_NS1_11comp_targetILNS1_3genE3ELNS1_11target_archE908ELNS1_3gpuE7ELNS1_3repE0EEENS1_30default_config_static_selectorELNS0_4arch9wavefront6targetE1EEEvSY_, .Lfunc_end269-_ZN7rocprim17ROCPRIM_400000_NS6detail17trampoline_kernelINS0_13select_configILj256ELj13ELNS0_17block_load_methodE3ELS4_3ELS4_3ELNS0_20block_scan_algorithmE0ELj4294967295EEENS1_25partition_config_selectorILNS1_17partition_subalgoE3EjNS0_10empty_typeEbEEZZNS1_14partition_implILS8_3ELb0ES6_jNS0_17counting_iteratorIjlEEPS9_SE_NS0_5tupleIJPjSE_EEENSF_IJSE_SE_EEES9_SG_JZNS1_25segmented_radix_sort_implINS0_14default_configELb1EPKaPaPKlPlN2at6native12_GLOBAL__N_18offset_tEEE10hipError_tPvRmT1_PNSt15iterator_traitsISY_E10value_typeET2_T3_PNSZ_IS14_E10value_typeET4_jRbjT5_S1A_jjP12ihipStream_tbEUljE_EEESV_SW_SX_S14_S18_S1A_T6_T7_T9_mT8_S1C_bDpT10_ENKUlT_T0_E_clISt17integral_constantIbLb1EES1P_EEDaS1K_S1L_EUlS1K_E_NS1_11comp_targetILNS1_3genE3ELNS1_11target_archE908ELNS1_3gpuE7ELNS1_3repE0EEENS1_30default_config_static_selectorELNS0_4arch9wavefront6targetE1EEEvSY_
                                        ; -- End function
	.set _ZN7rocprim17ROCPRIM_400000_NS6detail17trampoline_kernelINS0_13select_configILj256ELj13ELNS0_17block_load_methodE3ELS4_3ELS4_3ELNS0_20block_scan_algorithmE0ELj4294967295EEENS1_25partition_config_selectorILNS1_17partition_subalgoE3EjNS0_10empty_typeEbEEZZNS1_14partition_implILS8_3ELb0ES6_jNS0_17counting_iteratorIjlEEPS9_SE_NS0_5tupleIJPjSE_EEENSF_IJSE_SE_EEES9_SG_JZNS1_25segmented_radix_sort_implINS0_14default_configELb1EPKaPaPKlPlN2at6native12_GLOBAL__N_18offset_tEEE10hipError_tPvRmT1_PNSt15iterator_traitsISY_E10value_typeET2_T3_PNSZ_IS14_E10value_typeET4_jRbjT5_S1A_jjP12ihipStream_tbEUljE_EEESV_SW_SX_S14_S18_S1A_T6_T7_T9_mT8_S1C_bDpT10_ENKUlT_T0_E_clISt17integral_constantIbLb1EES1P_EEDaS1K_S1L_EUlS1K_E_NS1_11comp_targetILNS1_3genE3ELNS1_11target_archE908ELNS1_3gpuE7ELNS1_3repE0EEENS1_30default_config_static_selectorELNS0_4arch9wavefront6targetE1EEEvSY_.num_vgpr, 0
	.set _ZN7rocprim17ROCPRIM_400000_NS6detail17trampoline_kernelINS0_13select_configILj256ELj13ELNS0_17block_load_methodE3ELS4_3ELS4_3ELNS0_20block_scan_algorithmE0ELj4294967295EEENS1_25partition_config_selectorILNS1_17partition_subalgoE3EjNS0_10empty_typeEbEEZZNS1_14partition_implILS8_3ELb0ES6_jNS0_17counting_iteratorIjlEEPS9_SE_NS0_5tupleIJPjSE_EEENSF_IJSE_SE_EEES9_SG_JZNS1_25segmented_radix_sort_implINS0_14default_configELb1EPKaPaPKlPlN2at6native12_GLOBAL__N_18offset_tEEE10hipError_tPvRmT1_PNSt15iterator_traitsISY_E10value_typeET2_T3_PNSZ_IS14_E10value_typeET4_jRbjT5_S1A_jjP12ihipStream_tbEUljE_EEESV_SW_SX_S14_S18_S1A_T6_T7_T9_mT8_S1C_bDpT10_ENKUlT_T0_E_clISt17integral_constantIbLb1EES1P_EEDaS1K_S1L_EUlS1K_E_NS1_11comp_targetILNS1_3genE3ELNS1_11target_archE908ELNS1_3gpuE7ELNS1_3repE0EEENS1_30default_config_static_selectorELNS0_4arch9wavefront6targetE1EEEvSY_.num_agpr, 0
	.set _ZN7rocprim17ROCPRIM_400000_NS6detail17trampoline_kernelINS0_13select_configILj256ELj13ELNS0_17block_load_methodE3ELS4_3ELS4_3ELNS0_20block_scan_algorithmE0ELj4294967295EEENS1_25partition_config_selectorILNS1_17partition_subalgoE3EjNS0_10empty_typeEbEEZZNS1_14partition_implILS8_3ELb0ES6_jNS0_17counting_iteratorIjlEEPS9_SE_NS0_5tupleIJPjSE_EEENSF_IJSE_SE_EEES9_SG_JZNS1_25segmented_radix_sort_implINS0_14default_configELb1EPKaPaPKlPlN2at6native12_GLOBAL__N_18offset_tEEE10hipError_tPvRmT1_PNSt15iterator_traitsISY_E10value_typeET2_T3_PNSZ_IS14_E10value_typeET4_jRbjT5_S1A_jjP12ihipStream_tbEUljE_EEESV_SW_SX_S14_S18_S1A_T6_T7_T9_mT8_S1C_bDpT10_ENKUlT_T0_E_clISt17integral_constantIbLb1EES1P_EEDaS1K_S1L_EUlS1K_E_NS1_11comp_targetILNS1_3genE3ELNS1_11target_archE908ELNS1_3gpuE7ELNS1_3repE0EEENS1_30default_config_static_selectorELNS0_4arch9wavefront6targetE1EEEvSY_.numbered_sgpr, 0
	.set _ZN7rocprim17ROCPRIM_400000_NS6detail17trampoline_kernelINS0_13select_configILj256ELj13ELNS0_17block_load_methodE3ELS4_3ELS4_3ELNS0_20block_scan_algorithmE0ELj4294967295EEENS1_25partition_config_selectorILNS1_17partition_subalgoE3EjNS0_10empty_typeEbEEZZNS1_14partition_implILS8_3ELb0ES6_jNS0_17counting_iteratorIjlEEPS9_SE_NS0_5tupleIJPjSE_EEENSF_IJSE_SE_EEES9_SG_JZNS1_25segmented_radix_sort_implINS0_14default_configELb1EPKaPaPKlPlN2at6native12_GLOBAL__N_18offset_tEEE10hipError_tPvRmT1_PNSt15iterator_traitsISY_E10value_typeET2_T3_PNSZ_IS14_E10value_typeET4_jRbjT5_S1A_jjP12ihipStream_tbEUljE_EEESV_SW_SX_S14_S18_S1A_T6_T7_T9_mT8_S1C_bDpT10_ENKUlT_T0_E_clISt17integral_constantIbLb1EES1P_EEDaS1K_S1L_EUlS1K_E_NS1_11comp_targetILNS1_3genE3ELNS1_11target_archE908ELNS1_3gpuE7ELNS1_3repE0EEENS1_30default_config_static_selectorELNS0_4arch9wavefront6targetE1EEEvSY_.num_named_barrier, 0
	.set _ZN7rocprim17ROCPRIM_400000_NS6detail17trampoline_kernelINS0_13select_configILj256ELj13ELNS0_17block_load_methodE3ELS4_3ELS4_3ELNS0_20block_scan_algorithmE0ELj4294967295EEENS1_25partition_config_selectorILNS1_17partition_subalgoE3EjNS0_10empty_typeEbEEZZNS1_14partition_implILS8_3ELb0ES6_jNS0_17counting_iteratorIjlEEPS9_SE_NS0_5tupleIJPjSE_EEENSF_IJSE_SE_EEES9_SG_JZNS1_25segmented_radix_sort_implINS0_14default_configELb1EPKaPaPKlPlN2at6native12_GLOBAL__N_18offset_tEEE10hipError_tPvRmT1_PNSt15iterator_traitsISY_E10value_typeET2_T3_PNSZ_IS14_E10value_typeET4_jRbjT5_S1A_jjP12ihipStream_tbEUljE_EEESV_SW_SX_S14_S18_S1A_T6_T7_T9_mT8_S1C_bDpT10_ENKUlT_T0_E_clISt17integral_constantIbLb1EES1P_EEDaS1K_S1L_EUlS1K_E_NS1_11comp_targetILNS1_3genE3ELNS1_11target_archE908ELNS1_3gpuE7ELNS1_3repE0EEENS1_30default_config_static_selectorELNS0_4arch9wavefront6targetE1EEEvSY_.private_seg_size, 0
	.set _ZN7rocprim17ROCPRIM_400000_NS6detail17trampoline_kernelINS0_13select_configILj256ELj13ELNS0_17block_load_methodE3ELS4_3ELS4_3ELNS0_20block_scan_algorithmE0ELj4294967295EEENS1_25partition_config_selectorILNS1_17partition_subalgoE3EjNS0_10empty_typeEbEEZZNS1_14partition_implILS8_3ELb0ES6_jNS0_17counting_iteratorIjlEEPS9_SE_NS0_5tupleIJPjSE_EEENSF_IJSE_SE_EEES9_SG_JZNS1_25segmented_radix_sort_implINS0_14default_configELb1EPKaPaPKlPlN2at6native12_GLOBAL__N_18offset_tEEE10hipError_tPvRmT1_PNSt15iterator_traitsISY_E10value_typeET2_T3_PNSZ_IS14_E10value_typeET4_jRbjT5_S1A_jjP12ihipStream_tbEUljE_EEESV_SW_SX_S14_S18_S1A_T6_T7_T9_mT8_S1C_bDpT10_ENKUlT_T0_E_clISt17integral_constantIbLb1EES1P_EEDaS1K_S1L_EUlS1K_E_NS1_11comp_targetILNS1_3genE3ELNS1_11target_archE908ELNS1_3gpuE7ELNS1_3repE0EEENS1_30default_config_static_selectorELNS0_4arch9wavefront6targetE1EEEvSY_.uses_vcc, 0
	.set _ZN7rocprim17ROCPRIM_400000_NS6detail17trampoline_kernelINS0_13select_configILj256ELj13ELNS0_17block_load_methodE3ELS4_3ELS4_3ELNS0_20block_scan_algorithmE0ELj4294967295EEENS1_25partition_config_selectorILNS1_17partition_subalgoE3EjNS0_10empty_typeEbEEZZNS1_14partition_implILS8_3ELb0ES6_jNS0_17counting_iteratorIjlEEPS9_SE_NS0_5tupleIJPjSE_EEENSF_IJSE_SE_EEES9_SG_JZNS1_25segmented_radix_sort_implINS0_14default_configELb1EPKaPaPKlPlN2at6native12_GLOBAL__N_18offset_tEEE10hipError_tPvRmT1_PNSt15iterator_traitsISY_E10value_typeET2_T3_PNSZ_IS14_E10value_typeET4_jRbjT5_S1A_jjP12ihipStream_tbEUljE_EEESV_SW_SX_S14_S18_S1A_T6_T7_T9_mT8_S1C_bDpT10_ENKUlT_T0_E_clISt17integral_constantIbLb1EES1P_EEDaS1K_S1L_EUlS1K_E_NS1_11comp_targetILNS1_3genE3ELNS1_11target_archE908ELNS1_3gpuE7ELNS1_3repE0EEENS1_30default_config_static_selectorELNS0_4arch9wavefront6targetE1EEEvSY_.uses_flat_scratch, 0
	.set _ZN7rocprim17ROCPRIM_400000_NS6detail17trampoline_kernelINS0_13select_configILj256ELj13ELNS0_17block_load_methodE3ELS4_3ELS4_3ELNS0_20block_scan_algorithmE0ELj4294967295EEENS1_25partition_config_selectorILNS1_17partition_subalgoE3EjNS0_10empty_typeEbEEZZNS1_14partition_implILS8_3ELb0ES6_jNS0_17counting_iteratorIjlEEPS9_SE_NS0_5tupleIJPjSE_EEENSF_IJSE_SE_EEES9_SG_JZNS1_25segmented_radix_sort_implINS0_14default_configELb1EPKaPaPKlPlN2at6native12_GLOBAL__N_18offset_tEEE10hipError_tPvRmT1_PNSt15iterator_traitsISY_E10value_typeET2_T3_PNSZ_IS14_E10value_typeET4_jRbjT5_S1A_jjP12ihipStream_tbEUljE_EEESV_SW_SX_S14_S18_S1A_T6_T7_T9_mT8_S1C_bDpT10_ENKUlT_T0_E_clISt17integral_constantIbLb1EES1P_EEDaS1K_S1L_EUlS1K_E_NS1_11comp_targetILNS1_3genE3ELNS1_11target_archE908ELNS1_3gpuE7ELNS1_3repE0EEENS1_30default_config_static_selectorELNS0_4arch9wavefront6targetE1EEEvSY_.has_dyn_sized_stack, 0
	.set _ZN7rocprim17ROCPRIM_400000_NS6detail17trampoline_kernelINS0_13select_configILj256ELj13ELNS0_17block_load_methodE3ELS4_3ELS4_3ELNS0_20block_scan_algorithmE0ELj4294967295EEENS1_25partition_config_selectorILNS1_17partition_subalgoE3EjNS0_10empty_typeEbEEZZNS1_14partition_implILS8_3ELb0ES6_jNS0_17counting_iteratorIjlEEPS9_SE_NS0_5tupleIJPjSE_EEENSF_IJSE_SE_EEES9_SG_JZNS1_25segmented_radix_sort_implINS0_14default_configELb1EPKaPaPKlPlN2at6native12_GLOBAL__N_18offset_tEEE10hipError_tPvRmT1_PNSt15iterator_traitsISY_E10value_typeET2_T3_PNSZ_IS14_E10value_typeET4_jRbjT5_S1A_jjP12ihipStream_tbEUljE_EEESV_SW_SX_S14_S18_S1A_T6_T7_T9_mT8_S1C_bDpT10_ENKUlT_T0_E_clISt17integral_constantIbLb1EES1P_EEDaS1K_S1L_EUlS1K_E_NS1_11comp_targetILNS1_3genE3ELNS1_11target_archE908ELNS1_3gpuE7ELNS1_3repE0EEENS1_30default_config_static_selectorELNS0_4arch9wavefront6targetE1EEEvSY_.has_recursion, 0
	.set _ZN7rocprim17ROCPRIM_400000_NS6detail17trampoline_kernelINS0_13select_configILj256ELj13ELNS0_17block_load_methodE3ELS4_3ELS4_3ELNS0_20block_scan_algorithmE0ELj4294967295EEENS1_25partition_config_selectorILNS1_17partition_subalgoE3EjNS0_10empty_typeEbEEZZNS1_14partition_implILS8_3ELb0ES6_jNS0_17counting_iteratorIjlEEPS9_SE_NS0_5tupleIJPjSE_EEENSF_IJSE_SE_EEES9_SG_JZNS1_25segmented_radix_sort_implINS0_14default_configELb1EPKaPaPKlPlN2at6native12_GLOBAL__N_18offset_tEEE10hipError_tPvRmT1_PNSt15iterator_traitsISY_E10value_typeET2_T3_PNSZ_IS14_E10value_typeET4_jRbjT5_S1A_jjP12ihipStream_tbEUljE_EEESV_SW_SX_S14_S18_S1A_T6_T7_T9_mT8_S1C_bDpT10_ENKUlT_T0_E_clISt17integral_constantIbLb1EES1P_EEDaS1K_S1L_EUlS1K_E_NS1_11comp_targetILNS1_3genE3ELNS1_11target_archE908ELNS1_3gpuE7ELNS1_3repE0EEENS1_30default_config_static_selectorELNS0_4arch9wavefront6targetE1EEEvSY_.has_indirect_call, 0
	.section	.AMDGPU.csdata,"",@progbits
; Kernel info:
; codeLenInByte = 0
; TotalNumSgprs: 4
; NumVgprs: 0
; ScratchSize: 0
; MemoryBound: 0
; FloatMode: 240
; IeeeMode: 1
; LDSByteSize: 0 bytes/workgroup (compile time only)
; SGPRBlocks: 0
; VGPRBlocks: 0
; NumSGPRsForWavesPerEU: 4
; NumVGPRsForWavesPerEU: 1
; Occupancy: 10
; WaveLimiterHint : 0
; COMPUTE_PGM_RSRC2:SCRATCH_EN: 0
; COMPUTE_PGM_RSRC2:USER_SGPR: 6
; COMPUTE_PGM_RSRC2:TRAP_HANDLER: 0
; COMPUTE_PGM_RSRC2:TGID_X_EN: 1
; COMPUTE_PGM_RSRC2:TGID_Y_EN: 0
; COMPUTE_PGM_RSRC2:TGID_Z_EN: 0
; COMPUTE_PGM_RSRC2:TIDIG_COMP_CNT: 0
	.section	.text._ZN7rocprim17ROCPRIM_400000_NS6detail17trampoline_kernelINS0_13select_configILj256ELj13ELNS0_17block_load_methodE3ELS4_3ELS4_3ELNS0_20block_scan_algorithmE0ELj4294967295EEENS1_25partition_config_selectorILNS1_17partition_subalgoE3EjNS0_10empty_typeEbEEZZNS1_14partition_implILS8_3ELb0ES6_jNS0_17counting_iteratorIjlEEPS9_SE_NS0_5tupleIJPjSE_EEENSF_IJSE_SE_EEES9_SG_JZNS1_25segmented_radix_sort_implINS0_14default_configELb1EPKaPaPKlPlN2at6native12_GLOBAL__N_18offset_tEEE10hipError_tPvRmT1_PNSt15iterator_traitsISY_E10value_typeET2_T3_PNSZ_IS14_E10value_typeET4_jRbjT5_S1A_jjP12ihipStream_tbEUljE_EEESV_SW_SX_S14_S18_S1A_T6_T7_T9_mT8_S1C_bDpT10_ENKUlT_T0_E_clISt17integral_constantIbLb1EES1P_EEDaS1K_S1L_EUlS1K_E_NS1_11comp_targetILNS1_3genE2ELNS1_11target_archE906ELNS1_3gpuE6ELNS1_3repE0EEENS1_30default_config_static_selectorELNS0_4arch9wavefront6targetE1EEEvSY_,"axG",@progbits,_ZN7rocprim17ROCPRIM_400000_NS6detail17trampoline_kernelINS0_13select_configILj256ELj13ELNS0_17block_load_methodE3ELS4_3ELS4_3ELNS0_20block_scan_algorithmE0ELj4294967295EEENS1_25partition_config_selectorILNS1_17partition_subalgoE3EjNS0_10empty_typeEbEEZZNS1_14partition_implILS8_3ELb0ES6_jNS0_17counting_iteratorIjlEEPS9_SE_NS0_5tupleIJPjSE_EEENSF_IJSE_SE_EEES9_SG_JZNS1_25segmented_radix_sort_implINS0_14default_configELb1EPKaPaPKlPlN2at6native12_GLOBAL__N_18offset_tEEE10hipError_tPvRmT1_PNSt15iterator_traitsISY_E10value_typeET2_T3_PNSZ_IS14_E10value_typeET4_jRbjT5_S1A_jjP12ihipStream_tbEUljE_EEESV_SW_SX_S14_S18_S1A_T6_T7_T9_mT8_S1C_bDpT10_ENKUlT_T0_E_clISt17integral_constantIbLb1EES1P_EEDaS1K_S1L_EUlS1K_E_NS1_11comp_targetILNS1_3genE2ELNS1_11target_archE906ELNS1_3gpuE6ELNS1_3repE0EEENS1_30default_config_static_selectorELNS0_4arch9wavefront6targetE1EEEvSY_,comdat
	.globl	_ZN7rocprim17ROCPRIM_400000_NS6detail17trampoline_kernelINS0_13select_configILj256ELj13ELNS0_17block_load_methodE3ELS4_3ELS4_3ELNS0_20block_scan_algorithmE0ELj4294967295EEENS1_25partition_config_selectorILNS1_17partition_subalgoE3EjNS0_10empty_typeEbEEZZNS1_14partition_implILS8_3ELb0ES6_jNS0_17counting_iteratorIjlEEPS9_SE_NS0_5tupleIJPjSE_EEENSF_IJSE_SE_EEES9_SG_JZNS1_25segmented_radix_sort_implINS0_14default_configELb1EPKaPaPKlPlN2at6native12_GLOBAL__N_18offset_tEEE10hipError_tPvRmT1_PNSt15iterator_traitsISY_E10value_typeET2_T3_PNSZ_IS14_E10value_typeET4_jRbjT5_S1A_jjP12ihipStream_tbEUljE_EEESV_SW_SX_S14_S18_S1A_T6_T7_T9_mT8_S1C_bDpT10_ENKUlT_T0_E_clISt17integral_constantIbLb1EES1P_EEDaS1K_S1L_EUlS1K_E_NS1_11comp_targetILNS1_3genE2ELNS1_11target_archE906ELNS1_3gpuE6ELNS1_3repE0EEENS1_30default_config_static_selectorELNS0_4arch9wavefront6targetE1EEEvSY_ ; -- Begin function _ZN7rocprim17ROCPRIM_400000_NS6detail17trampoline_kernelINS0_13select_configILj256ELj13ELNS0_17block_load_methodE3ELS4_3ELS4_3ELNS0_20block_scan_algorithmE0ELj4294967295EEENS1_25partition_config_selectorILNS1_17partition_subalgoE3EjNS0_10empty_typeEbEEZZNS1_14partition_implILS8_3ELb0ES6_jNS0_17counting_iteratorIjlEEPS9_SE_NS0_5tupleIJPjSE_EEENSF_IJSE_SE_EEES9_SG_JZNS1_25segmented_radix_sort_implINS0_14default_configELb1EPKaPaPKlPlN2at6native12_GLOBAL__N_18offset_tEEE10hipError_tPvRmT1_PNSt15iterator_traitsISY_E10value_typeET2_T3_PNSZ_IS14_E10value_typeET4_jRbjT5_S1A_jjP12ihipStream_tbEUljE_EEESV_SW_SX_S14_S18_S1A_T6_T7_T9_mT8_S1C_bDpT10_ENKUlT_T0_E_clISt17integral_constantIbLb1EES1P_EEDaS1K_S1L_EUlS1K_E_NS1_11comp_targetILNS1_3genE2ELNS1_11target_archE906ELNS1_3gpuE6ELNS1_3repE0EEENS1_30default_config_static_selectorELNS0_4arch9wavefront6targetE1EEEvSY_
	.p2align	8
	.type	_ZN7rocprim17ROCPRIM_400000_NS6detail17trampoline_kernelINS0_13select_configILj256ELj13ELNS0_17block_load_methodE3ELS4_3ELS4_3ELNS0_20block_scan_algorithmE0ELj4294967295EEENS1_25partition_config_selectorILNS1_17partition_subalgoE3EjNS0_10empty_typeEbEEZZNS1_14partition_implILS8_3ELb0ES6_jNS0_17counting_iteratorIjlEEPS9_SE_NS0_5tupleIJPjSE_EEENSF_IJSE_SE_EEES9_SG_JZNS1_25segmented_radix_sort_implINS0_14default_configELb1EPKaPaPKlPlN2at6native12_GLOBAL__N_18offset_tEEE10hipError_tPvRmT1_PNSt15iterator_traitsISY_E10value_typeET2_T3_PNSZ_IS14_E10value_typeET4_jRbjT5_S1A_jjP12ihipStream_tbEUljE_EEESV_SW_SX_S14_S18_S1A_T6_T7_T9_mT8_S1C_bDpT10_ENKUlT_T0_E_clISt17integral_constantIbLb1EES1P_EEDaS1K_S1L_EUlS1K_E_NS1_11comp_targetILNS1_3genE2ELNS1_11target_archE906ELNS1_3gpuE6ELNS1_3repE0EEENS1_30default_config_static_selectorELNS0_4arch9wavefront6targetE1EEEvSY_,@function
_ZN7rocprim17ROCPRIM_400000_NS6detail17trampoline_kernelINS0_13select_configILj256ELj13ELNS0_17block_load_methodE3ELS4_3ELS4_3ELNS0_20block_scan_algorithmE0ELj4294967295EEENS1_25partition_config_selectorILNS1_17partition_subalgoE3EjNS0_10empty_typeEbEEZZNS1_14partition_implILS8_3ELb0ES6_jNS0_17counting_iteratorIjlEEPS9_SE_NS0_5tupleIJPjSE_EEENSF_IJSE_SE_EEES9_SG_JZNS1_25segmented_radix_sort_implINS0_14default_configELb1EPKaPaPKlPlN2at6native12_GLOBAL__N_18offset_tEEE10hipError_tPvRmT1_PNSt15iterator_traitsISY_E10value_typeET2_T3_PNSZ_IS14_E10value_typeET4_jRbjT5_S1A_jjP12ihipStream_tbEUljE_EEESV_SW_SX_S14_S18_S1A_T6_T7_T9_mT8_S1C_bDpT10_ENKUlT_T0_E_clISt17integral_constantIbLb1EES1P_EEDaS1K_S1L_EUlS1K_E_NS1_11comp_targetILNS1_3genE2ELNS1_11target_archE906ELNS1_3gpuE6ELNS1_3repE0EEENS1_30default_config_static_selectorELNS0_4arch9wavefront6targetE1EEEvSY_: ; @_ZN7rocprim17ROCPRIM_400000_NS6detail17trampoline_kernelINS0_13select_configILj256ELj13ELNS0_17block_load_methodE3ELS4_3ELS4_3ELNS0_20block_scan_algorithmE0ELj4294967295EEENS1_25partition_config_selectorILNS1_17partition_subalgoE3EjNS0_10empty_typeEbEEZZNS1_14partition_implILS8_3ELb0ES6_jNS0_17counting_iteratorIjlEEPS9_SE_NS0_5tupleIJPjSE_EEENSF_IJSE_SE_EEES9_SG_JZNS1_25segmented_radix_sort_implINS0_14default_configELb1EPKaPaPKlPlN2at6native12_GLOBAL__N_18offset_tEEE10hipError_tPvRmT1_PNSt15iterator_traitsISY_E10value_typeET2_T3_PNSZ_IS14_E10value_typeET4_jRbjT5_S1A_jjP12ihipStream_tbEUljE_EEESV_SW_SX_S14_S18_S1A_T6_T7_T9_mT8_S1C_bDpT10_ENKUlT_T0_E_clISt17integral_constantIbLb1EES1P_EEDaS1K_S1L_EUlS1K_E_NS1_11comp_targetILNS1_3genE2ELNS1_11target_archE906ELNS1_3gpuE6ELNS1_3repE0EEENS1_30default_config_static_selectorELNS0_4arch9wavefront6targetE1EEEvSY_
; %bb.0:
	s_endpgm
	.section	.rodata,"a",@progbits
	.p2align	6, 0x0
	.amdhsa_kernel _ZN7rocprim17ROCPRIM_400000_NS6detail17trampoline_kernelINS0_13select_configILj256ELj13ELNS0_17block_load_methodE3ELS4_3ELS4_3ELNS0_20block_scan_algorithmE0ELj4294967295EEENS1_25partition_config_selectorILNS1_17partition_subalgoE3EjNS0_10empty_typeEbEEZZNS1_14partition_implILS8_3ELb0ES6_jNS0_17counting_iteratorIjlEEPS9_SE_NS0_5tupleIJPjSE_EEENSF_IJSE_SE_EEES9_SG_JZNS1_25segmented_radix_sort_implINS0_14default_configELb1EPKaPaPKlPlN2at6native12_GLOBAL__N_18offset_tEEE10hipError_tPvRmT1_PNSt15iterator_traitsISY_E10value_typeET2_T3_PNSZ_IS14_E10value_typeET4_jRbjT5_S1A_jjP12ihipStream_tbEUljE_EEESV_SW_SX_S14_S18_S1A_T6_T7_T9_mT8_S1C_bDpT10_ENKUlT_T0_E_clISt17integral_constantIbLb1EES1P_EEDaS1K_S1L_EUlS1K_E_NS1_11comp_targetILNS1_3genE2ELNS1_11target_archE906ELNS1_3gpuE6ELNS1_3repE0EEENS1_30default_config_static_selectorELNS0_4arch9wavefront6targetE1EEEvSY_
		.amdhsa_group_segment_fixed_size 0
		.amdhsa_private_segment_fixed_size 0
		.amdhsa_kernarg_size 152
		.amdhsa_user_sgpr_count 6
		.amdhsa_user_sgpr_private_segment_buffer 1
		.amdhsa_user_sgpr_dispatch_ptr 0
		.amdhsa_user_sgpr_queue_ptr 0
		.amdhsa_user_sgpr_kernarg_segment_ptr 1
		.amdhsa_user_sgpr_dispatch_id 0
		.amdhsa_user_sgpr_flat_scratch_init 0
		.amdhsa_user_sgpr_private_segment_size 0
		.amdhsa_uses_dynamic_stack 0
		.amdhsa_system_sgpr_private_segment_wavefront_offset 0
		.amdhsa_system_sgpr_workgroup_id_x 1
		.amdhsa_system_sgpr_workgroup_id_y 0
		.amdhsa_system_sgpr_workgroup_id_z 0
		.amdhsa_system_sgpr_workgroup_info 0
		.amdhsa_system_vgpr_workitem_id 0
		.amdhsa_next_free_vgpr 1
		.amdhsa_next_free_sgpr 0
		.amdhsa_reserve_vcc 0
		.amdhsa_reserve_flat_scratch 0
		.amdhsa_float_round_mode_32 0
		.amdhsa_float_round_mode_16_64 0
		.amdhsa_float_denorm_mode_32 3
		.amdhsa_float_denorm_mode_16_64 3
		.amdhsa_dx10_clamp 1
		.amdhsa_ieee_mode 1
		.amdhsa_fp16_overflow 0
		.amdhsa_exception_fp_ieee_invalid_op 0
		.amdhsa_exception_fp_denorm_src 0
		.amdhsa_exception_fp_ieee_div_zero 0
		.amdhsa_exception_fp_ieee_overflow 0
		.amdhsa_exception_fp_ieee_underflow 0
		.amdhsa_exception_fp_ieee_inexact 0
		.amdhsa_exception_int_div_zero 0
	.end_amdhsa_kernel
	.section	.text._ZN7rocprim17ROCPRIM_400000_NS6detail17trampoline_kernelINS0_13select_configILj256ELj13ELNS0_17block_load_methodE3ELS4_3ELS4_3ELNS0_20block_scan_algorithmE0ELj4294967295EEENS1_25partition_config_selectorILNS1_17partition_subalgoE3EjNS0_10empty_typeEbEEZZNS1_14partition_implILS8_3ELb0ES6_jNS0_17counting_iteratorIjlEEPS9_SE_NS0_5tupleIJPjSE_EEENSF_IJSE_SE_EEES9_SG_JZNS1_25segmented_radix_sort_implINS0_14default_configELb1EPKaPaPKlPlN2at6native12_GLOBAL__N_18offset_tEEE10hipError_tPvRmT1_PNSt15iterator_traitsISY_E10value_typeET2_T3_PNSZ_IS14_E10value_typeET4_jRbjT5_S1A_jjP12ihipStream_tbEUljE_EEESV_SW_SX_S14_S18_S1A_T6_T7_T9_mT8_S1C_bDpT10_ENKUlT_T0_E_clISt17integral_constantIbLb1EES1P_EEDaS1K_S1L_EUlS1K_E_NS1_11comp_targetILNS1_3genE2ELNS1_11target_archE906ELNS1_3gpuE6ELNS1_3repE0EEENS1_30default_config_static_selectorELNS0_4arch9wavefront6targetE1EEEvSY_,"axG",@progbits,_ZN7rocprim17ROCPRIM_400000_NS6detail17trampoline_kernelINS0_13select_configILj256ELj13ELNS0_17block_load_methodE3ELS4_3ELS4_3ELNS0_20block_scan_algorithmE0ELj4294967295EEENS1_25partition_config_selectorILNS1_17partition_subalgoE3EjNS0_10empty_typeEbEEZZNS1_14partition_implILS8_3ELb0ES6_jNS0_17counting_iteratorIjlEEPS9_SE_NS0_5tupleIJPjSE_EEENSF_IJSE_SE_EEES9_SG_JZNS1_25segmented_radix_sort_implINS0_14default_configELb1EPKaPaPKlPlN2at6native12_GLOBAL__N_18offset_tEEE10hipError_tPvRmT1_PNSt15iterator_traitsISY_E10value_typeET2_T3_PNSZ_IS14_E10value_typeET4_jRbjT5_S1A_jjP12ihipStream_tbEUljE_EEESV_SW_SX_S14_S18_S1A_T6_T7_T9_mT8_S1C_bDpT10_ENKUlT_T0_E_clISt17integral_constantIbLb1EES1P_EEDaS1K_S1L_EUlS1K_E_NS1_11comp_targetILNS1_3genE2ELNS1_11target_archE906ELNS1_3gpuE6ELNS1_3repE0EEENS1_30default_config_static_selectorELNS0_4arch9wavefront6targetE1EEEvSY_,comdat
.Lfunc_end270:
	.size	_ZN7rocprim17ROCPRIM_400000_NS6detail17trampoline_kernelINS0_13select_configILj256ELj13ELNS0_17block_load_methodE3ELS4_3ELS4_3ELNS0_20block_scan_algorithmE0ELj4294967295EEENS1_25partition_config_selectorILNS1_17partition_subalgoE3EjNS0_10empty_typeEbEEZZNS1_14partition_implILS8_3ELb0ES6_jNS0_17counting_iteratorIjlEEPS9_SE_NS0_5tupleIJPjSE_EEENSF_IJSE_SE_EEES9_SG_JZNS1_25segmented_radix_sort_implINS0_14default_configELb1EPKaPaPKlPlN2at6native12_GLOBAL__N_18offset_tEEE10hipError_tPvRmT1_PNSt15iterator_traitsISY_E10value_typeET2_T3_PNSZ_IS14_E10value_typeET4_jRbjT5_S1A_jjP12ihipStream_tbEUljE_EEESV_SW_SX_S14_S18_S1A_T6_T7_T9_mT8_S1C_bDpT10_ENKUlT_T0_E_clISt17integral_constantIbLb1EES1P_EEDaS1K_S1L_EUlS1K_E_NS1_11comp_targetILNS1_3genE2ELNS1_11target_archE906ELNS1_3gpuE6ELNS1_3repE0EEENS1_30default_config_static_selectorELNS0_4arch9wavefront6targetE1EEEvSY_, .Lfunc_end270-_ZN7rocprim17ROCPRIM_400000_NS6detail17trampoline_kernelINS0_13select_configILj256ELj13ELNS0_17block_load_methodE3ELS4_3ELS4_3ELNS0_20block_scan_algorithmE0ELj4294967295EEENS1_25partition_config_selectorILNS1_17partition_subalgoE3EjNS0_10empty_typeEbEEZZNS1_14partition_implILS8_3ELb0ES6_jNS0_17counting_iteratorIjlEEPS9_SE_NS0_5tupleIJPjSE_EEENSF_IJSE_SE_EEES9_SG_JZNS1_25segmented_radix_sort_implINS0_14default_configELb1EPKaPaPKlPlN2at6native12_GLOBAL__N_18offset_tEEE10hipError_tPvRmT1_PNSt15iterator_traitsISY_E10value_typeET2_T3_PNSZ_IS14_E10value_typeET4_jRbjT5_S1A_jjP12ihipStream_tbEUljE_EEESV_SW_SX_S14_S18_S1A_T6_T7_T9_mT8_S1C_bDpT10_ENKUlT_T0_E_clISt17integral_constantIbLb1EES1P_EEDaS1K_S1L_EUlS1K_E_NS1_11comp_targetILNS1_3genE2ELNS1_11target_archE906ELNS1_3gpuE6ELNS1_3repE0EEENS1_30default_config_static_selectorELNS0_4arch9wavefront6targetE1EEEvSY_
                                        ; -- End function
	.set _ZN7rocprim17ROCPRIM_400000_NS6detail17trampoline_kernelINS0_13select_configILj256ELj13ELNS0_17block_load_methodE3ELS4_3ELS4_3ELNS0_20block_scan_algorithmE0ELj4294967295EEENS1_25partition_config_selectorILNS1_17partition_subalgoE3EjNS0_10empty_typeEbEEZZNS1_14partition_implILS8_3ELb0ES6_jNS0_17counting_iteratorIjlEEPS9_SE_NS0_5tupleIJPjSE_EEENSF_IJSE_SE_EEES9_SG_JZNS1_25segmented_radix_sort_implINS0_14default_configELb1EPKaPaPKlPlN2at6native12_GLOBAL__N_18offset_tEEE10hipError_tPvRmT1_PNSt15iterator_traitsISY_E10value_typeET2_T3_PNSZ_IS14_E10value_typeET4_jRbjT5_S1A_jjP12ihipStream_tbEUljE_EEESV_SW_SX_S14_S18_S1A_T6_T7_T9_mT8_S1C_bDpT10_ENKUlT_T0_E_clISt17integral_constantIbLb1EES1P_EEDaS1K_S1L_EUlS1K_E_NS1_11comp_targetILNS1_3genE2ELNS1_11target_archE906ELNS1_3gpuE6ELNS1_3repE0EEENS1_30default_config_static_selectorELNS0_4arch9wavefront6targetE1EEEvSY_.num_vgpr, 0
	.set _ZN7rocprim17ROCPRIM_400000_NS6detail17trampoline_kernelINS0_13select_configILj256ELj13ELNS0_17block_load_methodE3ELS4_3ELS4_3ELNS0_20block_scan_algorithmE0ELj4294967295EEENS1_25partition_config_selectorILNS1_17partition_subalgoE3EjNS0_10empty_typeEbEEZZNS1_14partition_implILS8_3ELb0ES6_jNS0_17counting_iteratorIjlEEPS9_SE_NS0_5tupleIJPjSE_EEENSF_IJSE_SE_EEES9_SG_JZNS1_25segmented_radix_sort_implINS0_14default_configELb1EPKaPaPKlPlN2at6native12_GLOBAL__N_18offset_tEEE10hipError_tPvRmT1_PNSt15iterator_traitsISY_E10value_typeET2_T3_PNSZ_IS14_E10value_typeET4_jRbjT5_S1A_jjP12ihipStream_tbEUljE_EEESV_SW_SX_S14_S18_S1A_T6_T7_T9_mT8_S1C_bDpT10_ENKUlT_T0_E_clISt17integral_constantIbLb1EES1P_EEDaS1K_S1L_EUlS1K_E_NS1_11comp_targetILNS1_3genE2ELNS1_11target_archE906ELNS1_3gpuE6ELNS1_3repE0EEENS1_30default_config_static_selectorELNS0_4arch9wavefront6targetE1EEEvSY_.num_agpr, 0
	.set _ZN7rocprim17ROCPRIM_400000_NS6detail17trampoline_kernelINS0_13select_configILj256ELj13ELNS0_17block_load_methodE3ELS4_3ELS4_3ELNS0_20block_scan_algorithmE0ELj4294967295EEENS1_25partition_config_selectorILNS1_17partition_subalgoE3EjNS0_10empty_typeEbEEZZNS1_14partition_implILS8_3ELb0ES6_jNS0_17counting_iteratorIjlEEPS9_SE_NS0_5tupleIJPjSE_EEENSF_IJSE_SE_EEES9_SG_JZNS1_25segmented_radix_sort_implINS0_14default_configELb1EPKaPaPKlPlN2at6native12_GLOBAL__N_18offset_tEEE10hipError_tPvRmT1_PNSt15iterator_traitsISY_E10value_typeET2_T3_PNSZ_IS14_E10value_typeET4_jRbjT5_S1A_jjP12ihipStream_tbEUljE_EEESV_SW_SX_S14_S18_S1A_T6_T7_T9_mT8_S1C_bDpT10_ENKUlT_T0_E_clISt17integral_constantIbLb1EES1P_EEDaS1K_S1L_EUlS1K_E_NS1_11comp_targetILNS1_3genE2ELNS1_11target_archE906ELNS1_3gpuE6ELNS1_3repE0EEENS1_30default_config_static_selectorELNS0_4arch9wavefront6targetE1EEEvSY_.numbered_sgpr, 0
	.set _ZN7rocprim17ROCPRIM_400000_NS6detail17trampoline_kernelINS0_13select_configILj256ELj13ELNS0_17block_load_methodE3ELS4_3ELS4_3ELNS0_20block_scan_algorithmE0ELj4294967295EEENS1_25partition_config_selectorILNS1_17partition_subalgoE3EjNS0_10empty_typeEbEEZZNS1_14partition_implILS8_3ELb0ES6_jNS0_17counting_iteratorIjlEEPS9_SE_NS0_5tupleIJPjSE_EEENSF_IJSE_SE_EEES9_SG_JZNS1_25segmented_radix_sort_implINS0_14default_configELb1EPKaPaPKlPlN2at6native12_GLOBAL__N_18offset_tEEE10hipError_tPvRmT1_PNSt15iterator_traitsISY_E10value_typeET2_T3_PNSZ_IS14_E10value_typeET4_jRbjT5_S1A_jjP12ihipStream_tbEUljE_EEESV_SW_SX_S14_S18_S1A_T6_T7_T9_mT8_S1C_bDpT10_ENKUlT_T0_E_clISt17integral_constantIbLb1EES1P_EEDaS1K_S1L_EUlS1K_E_NS1_11comp_targetILNS1_3genE2ELNS1_11target_archE906ELNS1_3gpuE6ELNS1_3repE0EEENS1_30default_config_static_selectorELNS0_4arch9wavefront6targetE1EEEvSY_.num_named_barrier, 0
	.set _ZN7rocprim17ROCPRIM_400000_NS6detail17trampoline_kernelINS0_13select_configILj256ELj13ELNS0_17block_load_methodE3ELS4_3ELS4_3ELNS0_20block_scan_algorithmE0ELj4294967295EEENS1_25partition_config_selectorILNS1_17partition_subalgoE3EjNS0_10empty_typeEbEEZZNS1_14partition_implILS8_3ELb0ES6_jNS0_17counting_iteratorIjlEEPS9_SE_NS0_5tupleIJPjSE_EEENSF_IJSE_SE_EEES9_SG_JZNS1_25segmented_radix_sort_implINS0_14default_configELb1EPKaPaPKlPlN2at6native12_GLOBAL__N_18offset_tEEE10hipError_tPvRmT1_PNSt15iterator_traitsISY_E10value_typeET2_T3_PNSZ_IS14_E10value_typeET4_jRbjT5_S1A_jjP12ihipStream_tbEUljE_EEESV_SW_SX_S14_S18_S1A_T6_T7_T9_mT8_S1C_bDpT10_ENKUlT_T0_E_clISt17integral_constantIbLb1EES1P_EEDaS1K_S1L_EUlS1K_E_NS1_11comp_targetILNS1_3genE2ELNS1_11target_archE906ELNS1_3gpuE6ELNS1_3repE0EEENS1_30default_config_static_selectorELNS0_4arch9wavefront6targetE1EEEvSY_.private_seg_size, 0
	.set _ZN7rocprim17ROCPRIM_400000_NS6detail17trampoline_kernelINS0_13select_configILj256ELj13ELNS0_17block_load_methodE3ELS4_3ELS4_3ELNS0_20block_scan_algorithmE0ELj4294967295EEENS1_25partition_config_selectorILNS1_17partition_subalgoE3EjNS0_10empty_typeEbEEZZNS1_14partition_implILS8_3ELb0ES6_jNS0_17counting_iteratorIjlEEPS9_SE_NS0_5tupleIJPjSE_EEENSF_IJSE_SE_EEES9_SG_JZNS1_25segmented_radix_sort_implINS0_14default_configELb1EPKaPaPKlPlN2at6native12_GLOBAL__N_18offset_tEEE10hipError_tPvRmT1_PNSt15iterator_traitsISY_E10value_typeET2_T3_PNSZ_IS14_E10value_typeET4_jRbjT5_S1A_jjP12ihipStream_tbEUljE_EEESV_SW_SX_S14_S18_S1A_T6_T7_T9_mT8_S1C_bDpT10_ENKUlT_T0_E_clISt17integral_constantIbLb1EES1P_EEDaS1K_S1L_EUlS1K_E_NS1_11comp_targetILNS1_3genE2ELNS1_11target_archE906ELNS1_3gpuE6ELNS1_3repE0EEENS1_30default_config_static_selectorELNS0_4arch9wavefront6targetE1EEEvSY_.uses_vcc, 0
	.set _ZN7rocprim17ROCPRIM_400000_NS6detail17trampoline_kernelINS0_13select_configILj256ELj13ELNS0_17block_load_methodE3ELS4_3ELS4_3ELNS0_20block_scan_algorithmE0ELj4294967295EEENS1_25partition_config_selectorILNS1_17partition_subalgoE3EjNS0_10empty_typeEbEEZZNS1_14partition_implILS8_3ELb0ES6_jNS0_17counting_iteratorIjlEEPS9_SE_NS0_5tupleIJPjSE_EEENSF_IJSE_SE_EEES9_SG_JZNS1_25segmented_radix_sort_implINS0_14default_configELb1EPKaPaPKlPlN2at6native12_GLOBAL__N_18offset_tEEE10hipError_tPvRmT1_PNSt15iterator_traitsISY_E10value_typeET2_T3_PNSZ_IS14_E10value_typeET4_jRbjT5_S1A_jjP12ihipStream_tbEUljE_EEESV_SW_SX_S14_S18_S1A_T6_T7_T9_mT8_S1C_bDpT10_ENKUlT_T0_E_clISt17integral_constantIbLb1EES1P_EEDaS1K_S1L_EUlS1K_E_NS1_11comp_targetILNS1_3genE2ELNS1_11target_archE906ELNS1_3gpuE6ELNS1_3repE0EEENS1_30default_config_static_selectorELNS0_4arch9wavefront6targetE1EEEvSY_.uses_flat_scratch, 0
	.set _ZN7rocprim17ROCPRIM_400000_NS6detail17trampoline_kernelINS0_13select_configILj256ELj13ELNS0_17block_load_methodE3ELS4_3ELS4_3ELNS0_20block_scan_algorithmE0ELj4294967295EEENS1_25partition_config_selectorILNS1_17partition_subalgoE3EjNS0_10empty_typeEbEEZZNS1_14partition_implILS8_3ELb0ES6_jNS0_17counting_iteratorIjlEEPS9_SE_NS0_5tupleIJPjSE_EEENSF_IJSE_SE_EEES9_SG_JZNS1_25segmented_radix_sort_implINS0_14default_configELb1EPKaPaPKlPlN2at6native12_GLOBAL__N_18offset_tEEE10hipError_tPvRmT1_PNSt15iterator_traitsISY_E10value_typeET2_T3_PNSZ_IS14_E10value_typeET4_jRbjT5_S1A_jjP12ihipStream_tbEUljE_EEESV_SW_SX_S14_S18_S1A_T6_T7_T9_mT8_S1C_bDpT10_ENKUlT_T0_E_clISt17integral_constantIbLb1EES1P_EEDaS1K_S1L_EUlS1K_E_NS1_11comp_targetILNS1_3genE2ELNS1_11target_archE906ELNS1_3gpuE6ELNS1_3repE0EEENS1_30default_config_static_selectorELNS0_4arch9wavefront6targetE1EEEvSY_.has_dyn_sized_stack, 0
	.set _ZN7rocprim17ROCPRIM_400000_NS6detail17trampoline_kernelINS0_13select_configILj256ELj13ELNS0_17block_load_methodE3ELS4_3ELS4_3ELNS0_20block_scan_algorithmE0ELj4294967295EEENS1_25partition_config_selectorILNS1_17partition_subalgoE3EjNS0_10empty_typeEbEEZZNS1_14partition_implILS8_3ELb0ES6_jNS0_17counting_iteratorIjlEEPS9_SE_NS0_5tupleIJPjSE_EEENSF_IJSE_SE_EEES9_SG_JZNS1_25segmented_radix_sort_implINS0_14default_configELb1EPKaPaPKlPlN2at6native12_GLOBAL__N_18offset_tEEE10hipError_tPvRmT1_PNSt15iterator_traitsISY_E10value_typeET2_T3_PNSZ_IS14_E10value_typeET4_jRbjT5_S1A_jjP12ihipStream_tbEUljE_EEESV_SW_SX_S14_S18_S1A_T6_T7_T9_mT8_S1C_bDpT10_ENKUlT_T0_E_clISt17integral_constantIbLb1EES1P_EEDaS1K_S1L_EUlS1K_E_NS1_11comp_targetILNS1_3genE2ELNS1_11target_archE906ELNS1_3gpuE6ELNS1_3repE0EEENS1_30default_config_static_selectorELNS0_4arch9wavefront6targetE1EEEvSY_.has_recursion, 0
	.set _ZN7rocprim17ROCPRIM_400000_NS6detail17trampoline_kernelINS0_13select_configILj256ELj13ELNS0_17block_load_methodE3ELS4_3ELS4_3ELNS0_20block_scan_algorithmE0ELj4294967295EEENS1_25partition_config_selectorILNS1_17partition_subalgoE3EjNS0_10empty_typeEbEEZZNS1_14partition_implILS8_3ELb0ES6_jNS0_17counting_iteratorIjlEEPS9_SE_NS0_5tupleIJPjSE_EEENSF_IJSE_SE_EEES9_SG_JZNS1_25segmented_radix_sort_implINS0_14default_configELb1EPKaPaPKlPlN2at6native12_GLOBAL__N_18offset_tEEE10hipError_tPvRmT1_PNSt15iterator_traitsISY_E10value_typeET2_T3_PNSZ_IS14_E10value_typeET4_jRbjT5_S1A_jjP12ihipStream_tbEUljE_EEESV_SW_SX_S14_S18_S1A_T6_T7_T9_mT8_S1C_bDpT10_ENKUlT_T0_E_clISt17integral_constantIbLb1EES1P_EEDaS1K_S1L_EUlS1K_E_NS1_11comp_targetILNS1_3genE2ELNS1_11target_archE906ELNS1_3gpuE6ELNS1_3repE0EEENS1_30default_config_static_selectorELNS0_4arch9wavefront6targetE1EEEvSY_.has_indirect_call, 0
	.section	.AMDGPU.csdata,"",@progbits
; Kernel info:
; codeLenInByte = 4
; TotalNumSgprs: 4
; NumVgprs: 0
; ScratchSize: 0
; MemoryBound: 0
; FloatMode: 240
; IeeeMode: 1
; LDSByteSize: 0 bytes/workgroup (compile time only)
; SGPRBlocks: 0
; VGPRBlocks: 0
; NumSGPRsForWavesPerEU: 4
; NumVGPRsForWavesPerEU: 1
; Occupancy: 10
; WaveLimiterHint : 0
; COMPUTE_PGM_RSRC2:SCRATCH_EN: 0
; COMPUTE_PGM_RSRC2:USER_SGPR: 6
; COMPUTE_PGM_RSRC2:TRAP_HANDLER: 0
; COMPUTE_PGM_RSRC2:TGID_X_EN: 1
; COMPUTE_PGM_RSRC2:TGID_Y_EN: 0
; COMPUTE_PGM_RSRC2:TGID_Z_EN: 0
; COMPUTE_PGM_RSRC2:TIDIG_COMP_CNT: 0
	.section	.text._ZN7rocprim17ROCPRIM_400000_NS6detail17trampoline_kernelINS0_13select_configILj256ELj13ELNS0_17block_load_methodE3ELS4_3ELS4_3ELNS0_20block_scan_algorithmE0ELj4294967295EEENS1_25partition_config_selectorILNS1_17partition_subalgoE3EjNS0_10empty_typeEbEEZZNS1_14partition_implILS8_3ELb0ES6_jNS0_17counting_iteratorIjlEEPS9_SE_NS0_5tupleIJPjSE_EEENSF_IJSE_SE_EEES9_SG_JZNS1_25segmented_radix_sort_implINS0_14default_configELb1EPKaPaPKlPlN2at6native12_GLOBAL__N_18offset_tEEE10hipError_tPvRmT1_PNSt15iterator_traitsISY_E10value_typeET2_T3_PNSZ_IS14_E10value_typeET4_jRbjT5_S1A_jjP12ihipStream_tbEUljE_EEESV_SW_SX_S14_S18_S1A_T6_T7_T9_mT8_S1C_bDpT10_ENKUlT_T0_E_clISt17integral_constantIbLb1EES1P_EEDaS1K_S1L_EUlS1K_E_NS1_11comp_targetILNS1_3genE10ELNS1_11target_archE1200ELNS1_3gpuE4ELNS1_3repE0EEENS1_30default_config_static_selectorELNS0_4arch9wavefront6targetE1EEEvSY_,"axG",@progbits,_ZN7rocprim17ROCPRIM_400000_NS6detail17trampoline_kernelINS0_13select_configILj256ELj13ELNS0_17block_load_methodE3ELS4_3ELS4_3ELNS0_20block_scan_algorithmE0ELj4294967295EEENS1_25partition_config_selectorILNS1_17partition_subalgoE3EjNS0_10empty_typeEbEEZZNS1_14partition_implILS8_3ELb0ES6_jNS0_17counting_iteratorIjlEEPS9_SE_NS0_5tupleIJPjSE_EEENSF_IJSE_SE_EEES9_SG_JZNS1_25segmented_radix_sort_implINS0_14default_configELb1EPKaPaPKlPlN2at6native12_GLOBAL__N_18offset_tEEE10hipError_tPvRmT1_PNSt15iterator_traitsISY_E10value_typeET2_T3_PNSZ_IS14_E10value_typeET4_jRbjT5_S1A_jjP12ihipStream_tbEUljE_EEESV_SW_SX_S14_S18_S1A_T6_T7_T9_mT8_S1C_bDpT10_ENKUlT_T0_E_clISt17integral_constantIbLb1EES1P_EEDaS1K_S1L_EUlS1K_E_NS1_11comp_targetILNS1_3genE10ELNS1_11target_archE1200ELNS1_3gpuE4ELNS1_3repE0EEENS1_30default_config_static_selectorELNS0_4arch9wavefront6targetE1EEEvSY_,comdat
	.globl	_ZN7rocprim17ROCPRIM_400000_NS6detail17trampoline_kernelINS0_13select_configILj256ELj13ELNS0_17block_load_methodE3ELS4_3ELS4_3ELNS0_20block_scan_algorithmE0ELj4294967295EEENS1_25partition_config_selectorILNS1_17partition_subalgoE3EjNS0_10empty_typeEbEEZZNS1_14partition_implILS8_3ELb0ES6_jNS0_17counting_iteratorIjlEEPS9_SE_NS0_5tupleIJPjSE_EEENSF_IJSE_SE_EEES9_SG_JZNS1_25segmented_radix_sort_implINS0_14default_configELb1EPKaPaPKlPlN2at6native12_GLOBAL__N_18offset_tEEE10hipError_tPvRmT1_PNSt15iterator_traitsISY_E10value_typeET2_T3_PNSZ_IS14_E10value_typeET4_jRbjT5_S1A_jjP12ihipStream_tbEUljE_EEESV_SW_SX_S14_S18_S1A_T6_T7_T9_mT8_S1C_bDpT10_ENKUlT_T0_E_clISt17integral_constantIbLb1EES1P_EEDaS1K_S1L_EUlS1K_E_NS1_11comp_targetILNS1_3genE10ELNS1_11target_archE1200ELNS1_3gpuE4ELNS1_3repE0EEENS1_30default_config_static_selectorELNS0_4arch9wavefront6targetE1EEEvSY_ ; -- Begin function _ZN7rocprim17ROCPRIM_400000_NS6detail17trampoline_kernelINS0_13select_configILj256ELj13ELNS0_17block_load_methodE3ELS4_3ELS4_3ELNS0_20block_scan_algorithmE0ELj4294967295EEENS1_25partition_config_selectorILNS1_17partition_subalgoE3EjNS0_10empty_typeEbEEZZNS1_14partition_implILS8_3ELb0ES6_jNS0_17counting_iteratorIjlEEPS9_SE_NS0_5tupleIJPjSE_EEENSF_IJSE_SE_EEES9_SG_JZNS1_25segmented_radix_sort_implINS0_14default_configELb1EPKaPaPKlPlN2at6native12_GLOBAL__N_18offset_tEEE10hipError_tPvRmT1_PNSt15iterator_traitsISY_E10value_typeET2_T3_PNSZ_IS14_E10value_typeET4_jRbjT5_S1A_jjP12ihipStream_tbEUljE_EEESV_SW_SX_S14_S18_S1A_T6_T7_T9_mT8_S1C_bDpT10_ENKUlT_T0_E_clISt17integral_constantIbLb1EES1P_EEDaS1K_S1L_EUlS1K_E_NS1_11comp_targetILNS1_3genE10ELNS1_11target_archE1200ELNS1_3gpuE4ELNS1_3repE0EEENS1_30default_config_static_selectorELNS0_4arch9wavefront6targetE1EEEvSY_
	.p2align	8
	.type	_ZN7rocprim17ROCPRIM_400000_NS6detail17trampoline_kernelINS0_13select_configILj256ELj13ELNS0_17block_load_methodE3ELS4_3ELS4_3ELNS0_20block_scan_algorithmE0ELj4294967295EEENS1_25partition_config_selectorILNS1_17partition_subalgoE3EjNS0_10empty_typeEbEEZZNS1_14partition_implILS8_3ELb0ES6_jNS0_17counting_iteratorIjlEEPS9_SE_NS0_5tupleIJPjSE_EEENSF_IJSE_SE_EEES9_SG_JZNS1_25segmented_radix_sort_implINS0_14default_configELb1EPKaPaPKlPlN2at6native12_GLOBAL__N_18offset_tEEE10hipError_tPvRmT1_PNSt15iterator_traitsISY_E10value_typeET2_T3_PNSZ_IS14_E10value_typeET4_jRbjT5_S1A_jjP12ihipStream_tbEUljE_EEESV_SW_SX_S14_S18_S1A_T6_T7_T9_mT8_S1C_bDpT10_ENKUlT_T0_E_clISt17integral_constantIbLb1EES1P_EEDaS1K_S1L_EUlS1K_E_NS1_11comp_targetILNS1_3genE10ELNS1_11target_archE1200ELNS1_3gpuE4ELNS1_3repE0EEENS1_30default_config_static_selectorELNS0_4arch9wavefront6targetE1EEEvSY_,@function
_ZN7rocprim17ROCPRIM_400000_NS6detail17trampoline_kernelINS0_13select_configILj256ELj13ELNS0_17block_load_methodE3ELS4_3ELS4_3ELNS0_20block_scan_algorithmE0ELj4294967295EEENS1_25partition_config_selectorILNS1_17partition_subalgoE3EjNS0_10empty_typeEbEEZZNS1_14partition_implILS8_3ELb0ES6_jNS0_17counting_iteratorIjlEEPS9_SE_NS0_5tupleIJPjSE_EEENSF_IJSE_SE_EEES9_SG_JZNS1_25segmented_radix_sort_implINS0_14default_configELb1EPKaPaPKlPlN2at6native12_GLOBAL__N_18offset_tEEE10hipError_tPvRmT1_PNSt15iterator_traitsISY_E10value_typeET2_T3_PNSZ_IS14_E10value_typeET4_jRbjT5_S1A_jjP12ihipStream_tbEUljE_EEESV_SW_SX_S14_S18_S1A_T6_T7_T9_mT8_S1C_bDpT10_ENKUlT_T0_E_clISt17integral_constantIbLb1EES1P_EEDaS1K_S1L_EUlS1K_E_NS1_11comp_targetILNS1_3genE10ELNS1_11target_archE1200ELNS1_3gpuE4ELNS1_3repE0EEENS1_30default_config_static_selectorELNS0_4arch9wavefront6targetE1EEEvSY_: ; @_ZN7rocprim17ROCPRIM_400000_NS6detail17trampoline_kernelINS0_13select_configILj256ELj13ELNS0_17block_load_methodE3ELS4_3ELS4_3ELNS0_20block_scan_algorithmE0ELj4294967295EEENS1_25partition_config_selectorILNS1_17partition_subalgoE3EjNS0_10empty_typeEbEEZZNS1_14partition_implILS8_3ELb0ES6_jNS0_17counting_iteratorIjlEEPS9_SE_NS0_5tupleIJPjSE_EEENSF_IJSE_SE_EEES9_SG_JZNS1_25segmented_radix_sort_implINS0_14default_configELb1EPKaPaPKlPlN2at6native12_GLOBAL__N_18offset_tEEE10hipError_tPvRmT1_PNSt15iterator_traitsISY_E10value_typeET2_T3_PNSZ_IS14_E10value_typeET4_jRbjT5_S1A_jjP12ihipStream_tbEUljE_EEESV_SW_SX_S14_S18_S1A_T6_T7_T9_mT8_S1C_bDpT10_ENKUlT_T0_E_clISt17integral_constantIbLb1EES1P_EEDaS1K_S1L_EUlS1K_E_NS1_11comp_targetILNS1_3genE10ELNS1_11target_archE1200ELNS1_3gpuE4ELNS1_3repE0EEENS1_30default_config_static_selectorELNS0_4arch9wavefront6targetE1EEEvSY_
; %bb.0:
	.section	.rodata,"a",@progbits
	.p2align	6, 0x0
	.amdhsa_kernel _ZN7rocprim17ROCPRIM_400000_NS6detail17trampoline_kernelINS0_13select_configILj256ELj13ELNS0_17block_load_methodE3ELS4_3ELS4_3ELNS0_20block_scan_algorithmE0ELj4294967295EEENS1_25partition_config_selectorILNS1_17partition_subalgoE3EjNS0_10empty_typeEbEEZZNS1_14partition_implILS8_3ELb0ES6_jNS0_17counting_iteratorIjlEEPS9_SE_NS0_5tupleIJPjSE_EEENSF_IJSE_SE_EEES9_SG_JZNS1_25segmented_radix_sort_implINS0_14default_configELb1EPKaPaPKlPlN2at6native12_GLOBAL__N_18offset_tEEE10hipError_tPvRmT1_PNSt15iterator_traitsISY_E10value_typeET2_T3_PNSZ_IS14_E10value_typeET4_jRbjT5_S1A_jjP12ihipStream_tbEUljE_EEESV_SW_SX_S14_S18_S1A_T6_T7_T9_mT8_S1C_bDpT10_ENKUlT_T0_E_clISt17integral_constantIbLb1EES1P_EEDaS1K_S1L_EUlS1K_E_NS1_11comp_targetILNS1_3genE10ELNS1_11target_archE1200ELNS1_3gpuE4ELNS1_3repE0EEENS1_30default_config_static_selectorELNS0_4arch9wavefront6targetE1EEEvSY_
		.amdhsa_group_segment_fixed_size 0
		.amdhsa_private_segment_fixed_size 0
		.amdhsa_kernarg_size 152
		.amdhsa_user_sgpr_count 6
		.amdhsa_user_sgpr_private_segment_buffer 1
		.amdhsa_user_sgpr_dispatch_ptr 0
		.amdhsa_user_sgpr_queue_ptr 0
		.amdhsa_user_sgpr_kernarg_segment_ptr 1
		.amdhsa_user_sgpr_dispatch_id 0
		.amdhsa_user_sgpr_flat_scratch_init 0
		.amdhsa_user_sgpr_private_segment_size 0
		.amdhsa_uses_dynamic_stack 0
		.amdhsa_system_sgpr_private_segment_wavefront_offset 0
		.amdhsa_system_sgpr_workgroup_id_x 1
		.amdhsa_system_sgpr_workgroup_id_y 0
		.amdhsa_system_sgpr_workgroup_id_z 0
		.amdhsa_system_sgpr_workgroup_info 0
		.amdhsa_system_vgpr_workitem_id 0
		.amdhsa_next_free_vgpr 1
		.amdhsa_next_free_sgpr 0
		.amdhsa_reserve_vcc 0
		.amdhsa_reserve_flat_scratch 0
		.amdhsa_float_round_mode_32 0
		.amdhsa_float_round_mode_16_64 0
		.amdhsa_float_denorm_mode_32 3
		.amdhsa_float_denorm_mode_16_64 3
		.amdhsa_dx10_clamp 1
		.amdhsa_ieee_mode 1
		.amdhsa_fp16_overflow 0
		.amdhsa_exception_fp_ieee_invalid_op 0
		.amdhsa_exception_fp_denorm_src 0
		.amdhsa_exception_fp_ieee_div_zero 0
		.amdhsa_exception_fp_ieee_overflow 0
		.amdhsa_exception_fp_ieee_underflow 0
		.amdhsa_exception_fp_ieee_inexact 0
		.amdhsa_exception_int_div_zero 0
	.end_amdhsa_kernel
	.section	.text._ZN7rocprim17ROCPRIM_400000_NS6detail17trampoline_kernelINS0_13select_configILj256ELj13ELNS0_17block_load_methodE3ELS4_3ELS4_3ELNS0_20block_scan_algorithmE0ELj4294967295EEENS1_25partition_config_selectorILNS1_17partition_subalgoE3EjNS0_10empty_typeEbEEZZNS1_14partition_implILS8_3ELb0ES6_jNS0_17counting_iteratorIjlEEPS9_SE_NS0_5tupleIJPjSE_EEENSF_IJSE_SE_EEES9_SG_JZNS1_25segmented_radix_sort_implINS0_14default_configELb1EPKaPaPKlPlN2at6native12_GLOBAL__N_18offset_tEEE10hipError_tPvRmT1_PNSt15iterator_traitsISY_E10value_typeET2_T3_PNSZ_IS14_E10value_typeET4_jRbjT5_S1A_jjP12ihipStream_tbEUljE_EEESV_SW_SX_S14_S18_S1A_T6_T7_T9_mT8_S1C_bDpT10_ENKUlT_T0_E_clISt17integral_constantIbLb1EES1P_EEDaS1K_S1L_EUlS1K_E_NS1_11comp_targetILNS1_3genE10ELNS1_11target_archE1200ELNS1_3gpuE4ELNS1_3repE0EEENS1_30default_config_static_selectorELNS0_4arch9wavefront6targetE1EEEvSY_,"axG",@progbits,_ZN7rocprim17ROCPRIM_400000_NS6detail17trampoline_kernelINS0_13select_configILj256ELj13ELNS0_17block_load_methodE3ELS4_3ELS4_3ELNS0_20block_scan_algorithmE0ELj4294967295EEENS1_25partition_config_selectorILNS1_17partition_subalgoE3EjNS0_10empty_typeEbEEZZNS1_14partition_implILS8_3ELb0ES6_jNS0_17counting_iteratorIjlEEPS9_SE_NS0_5tupleIJPjSE_EEENSF_IJSE_SE_EEES9_SG_JZNS1_25segmented_radix_sort_implINS0_14default_configELb1EPKaPaPKlPlN2at6native12_GLOBAL__N_18offset_tEEE10hipError_tPvRmT1_PNSt15iterator_traitsISY_E10value_typeET2_T3_PNSZ_IS14_E10value_typeET4_jRbjT5_S1A_jjP12ihipStream_tbEUljE_EEESV_SW_SX_S14_S18_S1A_T6_T7_T9_mT8_S1C_bDpT10_ENKUlT_T0_E_clISt17integral_constantIbLb1EES1P_EEDaS1K_S1L_EUlS1K_E_NS1_11comp_targetILNS1_3genE10ELNS1_11target_archE1200ELNS1_3gpuE4ELNS1_3repE0EEENS1_30default_config_static_selectorELNS0_4arch9wavefront6targetE1EEEvSY_,comdat
.Lfunc_end271:
	.size	_ZN7rocprim17ROCPRIM_400000_NS6detail17trampoline_kernelINS0_13select_configILj256ELj13ELNS0_17block_load_methodE3ELS4_3ELS4_3ELNS0_20block_scan_algorithmE0ELj4294967295EEENS1_25partition_config_selectorILNS1_17partition_subalgoE3EjNS0_10empty_typeEbEEZZNS1_14partition_implILS8_3ELb0ES6_jNS0_17counting_iteratorIjlEEPS9_SE_NS0_5tupleIJPjSE_EEENSF_IJSE_SE_EEES9_SG_JZNS1_25segmented_radix_sort_implINS0_14default_configELb1EPKaPaPKlPlN2at6native12_GLOBAL__N_18offset_tEEE10hipError_tPvRmT1_PNSt15iterator_traitsISY_E10value_typeET2_T3_PNSZ_IS14_E10value_typeET4_jRbjT5_S1A_jjP12ihipStream_tbEUljE_EEESV_SW_SX_S14_S18_S1A_T6_T7_T9_mT8_S1C_bDpT10_ENKUlT_T0_E_clISt17integral_constantIbLb1EES1P_EEDaS1K_S1L_EUlS1K_E_NS1_11comp_targetILNS1_3genE10ELNS1_11target_archE1200ELNS1_3gpuE4ELNS1_3repE0EEENS1_30default_config_static_selectorELNS0_4arch9wavefront6targetE1EEEvSY_, .Lfunc_end271-_ZN7rocprim17ROCPRIM_400000_NS6detail17trampoline_kernelINS0_13select_configILj256ELj13ELNS0_17block_load_methodE3ELS4_3ELS4_3ELNS0_20block_scan_algorithmE0ELj4294967295EEENS1_25partition_config_selectorILNS1_17partition_subalgoE3EjNS0_10empty_typeEbEEZZNS1_14partition_implILS8_3ELb0ES6_jNS0_17counting_iteratorIjlEEPS9_SE_NS0_5tupleIJPjSE_EEENSF_IJSE_SE_EEES9_SG_JZNS1_25segmented_radix_sort_implINS0_14default_configELb1EPKaPaPKlPlN2at6native12_GLOBAL__N_18offset_tEEE10hipError_tPvRmT1_PNSt15iterator_traitsISY_E10value_typeET2_T3_PNSZ_IS14_E10value_typeET4_jRbjT5_S1A_jjP12ihipStream_tbEUljE_EEESV_SW_SX_S14_S18_S1A_T6_T7_T9_mT8_S1C_bDpT10_ENKUlT_T0_E_clISt17integral_constantIbLb1EES1P_EEDaS1K_S1L_EUlS1K_E_NS1_11comp_targetILNS1_3genE10ELNS1_11target_archE1200ELNS1_3gpuE4ELNS1_3repE0EEENS1_30default_config_static_selectorELNS0_4arch9wavefront6targetE1EEEvSY_
                                        ; -- End function
	.set _ZN7rocprim17ROCPRIM_400000_NS6detail17trampoline_kernelINS0_13select_configILj256ELj13ELNS0_17block_load_methodE3ELS4_3ELS4_3ELNS0_20block_scan_algorithmE0ELj4294967295EEENS1_25partition_config_selectorILNS1_17partition_subalgoE3EjNS0_10empty_typeEbEEZZNS1_14partition_implILS8_3ELb0ES6_jNS0_17counting_iteratorIjlEEPS9_SE_NS0_5tupleIJPjSE_EEENSF_IJSE_SE_EEES9_SG_JZNS1_25segmented_radix_sort_implINS0_14default_configELb1EPKaPaPKlPlN2at6native12_GLOBAL__N_18offset_tEEE10hipError_tPvRmT1_PNSt15iterator_traitsISY_E10value_typeET2_T3_PNSZ_IS14_E10value_typeET4_jRbjT5_S1A_jjP12ihipStream_tbEUljE_EEESV_SW_SX_S14_S18_S1A_T6_T7_T9_mT8_S1C_bDpT10_ENKUlT_T0_E_clISt17integral_constantIbLb1EES1P_EEDaS1K_S1L_EUlS1K_E_NS1_11comp_targetILNS1_3genE10ELNS1_11target_archE1200ELNS1_3gpuE4ELNS1_3repE0EEENS1_30default_config_static_selectorELNS0_4arch9wavefront6targetE1EEEvSY_.num_vgpr, 0
	.set _ZN7rocprim17ROCPRIM_400000_NS6detail17trampoline_kernelINS0_13select_configILj256ELj13ELNS0_17block_load_methodE3ELS4_3ELS4_3ELNS0_20block_scan_algorithmE0ELj4294967295EEENS1_25partition_config_selectorILNS1_17partition_subalgoE3EjNS0_10empty_typeEbEEZZNS1_14partition_implILS8_3ELb0ES6_jNS0_17counting_iteratorIjlEEPS9_SE_NS0_5tupleIJPjSE_EEENSF_IJSE_SE_EEES9_SG_JZNS1_25segmented_radix_sort_implINS0_14default_configELb1EPKaPaPKlPlN2at6native12_GLOBAL__N_18offset_tEEE10hipError_tPvRmT1_PNSt15iterator_traitsISY_E10value_typeET2_T3_PNSZ_IS14_E10value_typeET4_jRbjT5_S1A_jjP12ihipStream_tbEUljE_EEESV_SW_SX_S14_S18_S1A_T6_T7_T9_mT8_S1C_bDpT10_ENKUlT_T0_E_clISt17integral_constantIbLb1EES1P_EEDaS1K_S1L_EUlS1K_E_NS1_11comp_targetILNS1_3genE10ELNS1_11target_archE1200ELNS1_3gpuE4ELNS1_3repE0EEENS1_30default_config_static_selectorELNS0_4arch9wavefront6targetE1EEEvSY_.num_agpr, 0
	.set _ZN7rocprim17ROCPRIM_400000_NS6detail17trampoline_kernelINS0_13select_configILj256ELj13ELNS0_17block_load_methodE3ELS4_3ELS4_3ELNS0_20block_scan_algorithmE0ELj4294967295EEENS1_25partition_config_selectorILNS1_17partition_subalgoE3EjNS0_10empty_typeEbEEZZNS1_14partition_implILS8_3ELb0ES6_jNS0_17counting_iteratorIjlEEPS9_SE_NS0_5tupleIJPjSE_EEENSF_IJSE_SE_EEES9_SG_JZNS1_25segmented_radix_sort_implINS0_14default_configELb1EPKaPaPKlPlN2at6native12_GLOBAL__N_18offset_tEEE10hipError_tPvRmT1_PNSt15iterator_traitsISY_E10value_typeET2_T3_PNSZ_IS14_E10value_typeET4_jRbjT5_S1A_jjP12ihipStream_tbEUljE_EEESV_SW_SX_S14_S18_S1A_T6_T7_T9_mT8_S1C_bDpT10_ENKUlT_T0_E_clISt17integral_constantIbLb1EES1P_EEDaS1K_S1L_EUlS1K_E_NS1_11comp_targetILNS1_3genE10ELNS1_11target_archE1200ELNS1_3gpuE4ELNS1_3repE0EEENS1_30default_config_static_selectorELNS0_4arch9wavefront6targetE1EEEvSY_.numbered_sgpr, 0
	.set _ZN7rocprim17ROCPRIM_400000_NS6detail17trampoline_kernelINS0_13select_configILj256ELj13ELNS0_17block_load_methodE3ELS4_3ELS4_3ELNS0_20block_scan_algorithmE0ELj4294967295EEENS1_25partition_config_selectorILNS1_17partition_subalgoE3EjNS0_10empty_typeEbEEZZNS1_14partition_implILS8_3ELb0ES6_jNS0_17counting_iteratorIjlEEPS9_SE_NS0_5tupleIJPjSE_EEENSF_IJSE_SE_EEES9_SG_JZNS1_25segmented_radix_sort_implINS0_14default_configELb1EPKaPaPKlPlN2at6native12_GLOBAL__N_18offset_tEEE10hipError_tPvRmT1_PNSt15iterator_traitsISY_E10value_typeET2_T3_PNSZ_IS14_E10value_typeET4_jRbjT5_S1A_jjP12ihipStream_tbEUljE_EEESV_SW_SX_S14_S18_S1A_T6_T7_T9_mT8_S1C_bDpT10_ENKUlT_T0_E_clISt17integral_constantIbLb1EES1P_EEDaS1K_S1L_EUlS1K_E_NS1_11comp_targetILNS1_3genE10ELNS1_11target_archE1200ELNS1_3gpuE4ELNS1_3repE0EEENS1_30default_config_static_selectorELNS0_4arch9wavefront6targetE1EEEvSY_.num_named_barrier, 0
	.set _ZN7rocprim17ROCPRIM_400000_NS6detail17trampoline_kernelINS0_13select_configILj256ELj13ELNS0_17block_load_methodE3ELS4_3ELS4_3ELNS0_20block_scan_algorithmE0ELj4294967295EEENS1_25partition_config_selectorILNS1_17partition_subalgoE3EjNS0_10empty_typeEbEEZZNS1_14partition_implILS8_3ELb0ES6_jNS0_17counting_iteratorIjlEEPS9_SE_NS0_5tupleIJPjSE_EEENSF_IJSE_SE_EEES9_SG_JZNS1_25segmented_radix_sort_implINS0_14default_configELb1EPKaPaPKlPlN2at6native12_GLOBAL__N_18offset_tEEE10hipError_tPvRmT1_PNSt15iterator_traitsISY_E10value_typeET2_T3_PNSZ_IS14_E10value_typeET4_jRbjT5_S1A_jjP12ihipStream_tbEUljE_EEESV_SW_SX_S14_S18_S1A_T6_T7_T9_mT8_S1C_bDpT10_ENKUlT_T0_E_clISt17integral_constantIbLb1EES1P_EEDaS1K_S1L_EUlS1K_E_NS1_11comp_targetILNS1_3genE10ELNS1_11target_archE1200ELNS1_3gpuE4ELNS1_3repE0EEENS1_30default_config_static_selectorELNS0_4arch9wavefront6targetE1EEEvSY_.private_seg_size, 0
	.set _ZN7rocprim17ROCPRIM_400000_NS6detail17trampoline_kernelINS0_13select_configILj256ELj13ELNS0_17block_load_methodE3ELS4_3ELS4_3ELNS0_20block_scan_algorithmE0ELj4294967295EEENS1_25partition_config_selectorILNS1_17partition_subalgoE3EjNS0_10empty_typeEbEEZZNS1_14partition_implILS8_3ELb0ES6_jNS0_17counting_iteratorIjlEEPS9_SE_NS0_5tupleIJPjSE_EEENSF_IJSE_SE_EEES9_SG_JZNS1_25segmented_radix_sort_implINS0_14default_configELb1EPKaPaPKlPlN2at6native12_GLOBAL__N_18offset_tEEE10hipError_tPvRmT1_PNSt15iterator_traitsISY_E10value_typeET2_T3_PNSZ_IS14_E10value_typeET4_jRbjT5_S1A_jjP12ihipStream_tbEUljE_EEESV_SW_SX_S14_S18_S1A_T6_T7_T9_mT8_S1C_bDpT10_ENKUlT_T0_E_clISt17integral_constantIbLb1EES1P_EEDaS1K_S1L_EUlS1K_E_NS1_11comp_targetILNS1_3genE10ELNS1_11target_archE1200ELNS1_3gpuE4ELNS1_3repE0EEENS1_30default_config_static_selectorELNS0_4arch9wavefront6targetE1EEEvSY_.uses_vcc, 0
	.set _ZN7rocprim17ROCPRIM_400000_NS6detail17trampoline_kernelINS0_13select_configILj256ELj13ELNS0_17block_load_methodE3ELS4_3ELS4_3ELNS0_20block_scan_algorithmE0ELj4294967295EEENS1_25partition_config_selectorILNS1_17partition_subalgoE3EjNS0_10empty_typeEbEEZZNS1_14partition_implILS8_3ELb0ES6_jNS0_17counting_iteratorIjlEEPS9_SE_NS0_5tupleIJPjSE_EEENSF_IJSE_SE_EEES9_SG_JZNS1_25segmented_radix_sort_implINS0_14default_configELb1EPKaPaPKlPlN2at6native12_GLOBAL__N_18offset_tEEE10hipError_tPvRmT1_PNSt15iterator_traitsISY_E10value_typeET2_T3_PNSZ_IS14_E10value_typeET4_jRbjT5_S1A_jjP12ihipStream_tbEUljE_EEESV_SW_SX_S14_S18_S1A_T6_T7_T9_mT8_S1C_bDpT10_ENKUlT_T0_E_clISt17integral_constantIbLb1EES1P_EEDaS1K_S1L_EUlS1K_E_NS1_11comp_targetILNS1_3genE10ELNS1_11target_archE1200ELNS1_3gpuE4ELNS1_3repE0EEENS1_30default_config_static_selectorELNS0_4arch9wavefront6targetE1EEEvSY_.uses_flat_scratch, 0
	.set _ZN7rocprim17ROCPRIM_400000_NS6detail17trampoline_kernelINS0_13select_configILj256ELj13ELNS0_17block_load_methodE3ELS4_3ELS4_3ELNS0_20block_scan_algorithmE0ELj4294967295EEENS1_25partition_config_selectorILNS1_17partition_subalgoE3EjNS0_10empty_typeEbEEZZNS1_14partition_implILS8_3ELb0ES6_jNS0_17counting_iteratorIjlEEPS9_SE_NS0_5tupleIJPjSE_EEENSF_IJSE_SE_EEES9_SG_JZNS1_25segmented_radix_sort_implINS0_14default_configELb1EPKaPaPKlPlN2at6native12_GLOBAL__N_18offset_tEEE10hipError_tPvRmT1_PNSt15iterator_traitsISY_E10value_typeET2_T3_PNSZ_IS14_E10value_typeET4_jRbjT5_S1A_jjP12ihipStream_tbEUljE_EEESV_SW_SX_S14_S18_S1A_T6_T7_T9_mT8_S1C_bDpT10_ENKUlT_T0_E_clISt17integral_constantIbLb1EES1P_EEDaS1K_S1L_EUlS1K_E_NS1_11comp_targetILNS1_3genE10ELNS1_11target_archE1200ELNS1_3gpuE4ELNS1_3repE0EEENS1_30default_config_static_selectorELNS0_4arch9wavefront6targetE1EEEvSY_.has_dyn_sized_stack, 0
	.set _ZN7rocprim17ROCPRIM_400000_NS6detail17trampoline_kernelINS0_13select_configILj256ELj13ELNS0_17block_load_methodE3ELS4_3ELS4_3ELNS0_20block_scan_algorithmE0ELj4294967295EEENS1_25partition_config_selectorILNS1_17partition_subalgoE3EjNS0_10empty_typeEbEEZZNS1_14partition_implILS8_3ELb0ES6_jNS0_17counting_iteratorIjlEEPS9_SE_NS0_5tupleIJPjSE_EEENSF_IJSE_SE_EEES9_SG_JZNS1_25segmented_radix_sort_implINS0_14default_configELb1EPKaPaPKlPlN2at6native12_GLOBAL__N_18offset_tEEE10hipError_tPvRmT1_PNSt15iterator_traitsISY_E10value_typeET2_T3_PNSZ_IS14_E10value_typeET4_jRbjT5_S1A_jjP12ihipStream_tbEUljE_EEESV_SW_SX_S14_S18_S1A_T6_T7_T9_mT8_S1C_bDpT10_ENKUlT_T0_E_clISt17integral_constantIbLb1EES1P_EEDaS1K_S1L_EUlS1K_E_NS1_11comp_targetILNS1_3genE10ELNS1_11target_archE1200ELNS1_3gpuE4ELNS1_3repE0EEENS1_30default_config_static_selectorELNS0_4arch9wavefront6targetE1EEEvSY_.has_recursion, 0
	.set _ZN7rocprim17ROCPRIM_400000_NS6detail17trampoline_kernelINS0_13select_configILj256ELj13ELNS0_17block_load_methodE3ELS4_3ELS4_3ELNS0_20block_scan_algorithmE0ELj4294967295EEENS1_25partition_config_selectorILNS1_17partition_subalgoE3EjNS0_10empty_typeEbEEZZNS1_14partition_implILS8_3ELb0ES6_jNS0_17counting_iteratorIjlEEPS9_SE_NS0_5tupleIJPjSE_EEENSF_IJSE_SE_EEES9_SG_JZNS1_25segmented_radix_sort_implINS0_14default_configELb1EPKaPaPKlPlN2at6native12_GLOBAL__N_18offset_tEEE10hipError_tPvRmT1_PNSt15iterator_traitsISY_E10value_typeET2_T3_PNSZ_IS14_E10value_typeET4_jRbjT5_S1A_jjP12ihipStream_tbEUljE_EEESV_SW_SX_S14_S18_S1A_T6_T7_T9_mT8_S1C_bDpT10_ENKUlT_T0_E_clISt17integral_constantIbLb1EES1P_EEDaS1K_S1L_EUlS1K_E_NS1_11comp_targetILNS1_3genE10ELNS1_11target_archE1200ELNS1_3gpuE4ELNS1_3repE0EEENS1_30default_config_static_selectorELNS0_4arch9wavefront6targetE1EEEvSY_.has_indirect_call, 0
	.section	.AMDGPU.csdata,"",@progbits
; Kernel info:
; codeLenInByte = 0
; TotalNumSgprs: 4
; NumVgprs: 0
; ScratchSize: 0
; MemoryBound: 0
; FloatMode: 240
; IeeeMode: 1
; LDSByteSize: 0 bytes/workgroup (compile time only)
; SGPRBlocks: 0
; VGPRBlocks: 0
; NumSGPRsForWavesPerEU: 4
; NumVGPRsForWavesPerEU: 1
; Occupancy: 10
; WaveLimiterHint : 0
; COMPUTE_PGM_RSRC2:SCRATCH_EN: 0
; COMPUTE_PGM_RSRC2:USER_SGPR: 6
; COMPUTE_PGM_RSRC2:TRAP_HANDLER: 0
; COMPUTE_PGM_RSRC2:TGID_X_EN: 1
; COMPUTE_PGM_RSRC2:TGID_Y_EN: 0
; COMPUTE_PGM_RSRC2:TGID_Z_EN: 0
; COMPUTE_PGM_RSRC2:TIDIG_COMP_CNT: 0
	.section	.text._ZN7rocprim17ROCPRIM_400000_NS6detail17trampoline_kernelINS0_13select_configILj256ELj13ELNS0_17block_load_methodE3ELS4_3ELS4_3ELNS0_20block_scan_algorithmE0ELj4294967295EEENS1_25partition_config_selectorILNS1_17partition_subalgoE3EjNS0_10empty_typeEbEEZZNS1_14partition_implILS8_3ELb0ES6_jNS0_17counting_iteratorIjlEEPS9_SE_NS0_5tupleIJPjSE_EEENSF_IJSE_SE_EEES9_SG_JZNS1_25segmented_radix_sort_implINS0_14default_configELb1EPKaPaPKlPlN2at6native12_GLOBAL__N_18offset_tEEE10hipError_tPvRmT1_PNSt15iterator_traitsISY_E10value_typeET2_T3_PNSZ_IS14_E10value_typeET4_jRbjT5_S1A_jjP12ihipStream_tbEUljE_EEESV_SW_SX_S14_S18_S1A_T6_T7_T9_mT8_S1C_bDpT10_ENKUlT_T0_E_clISt17integral_constantIbLb1EES1P_EEDaS1K_S1L_EUlS1K_E_NS1_11comp_targetILNS1_3genE9ELNS1_11target_archE1100ELNS1_3gpuE3ELNS1_3repE0EEENS1_30default_config_static_selectorELNS0_4arch9wavefront6targetE1EEEvSY_,"axG",@progbits,_ZN7rocprim17ROCPRIM_400000_NS6detail17trampoline_kernelINS0_13select_configILj256ELj13ELNS0_17block_load_methodE3ELS4_3ELS4_3ELNS0_20block_scan_algorithmE0ELj4294967295EEENS1_25partition_config_selectorILNS1_17partition_subalgoE3EjNS0_10empty_typeEbEEZZNS1_14partition_implILS8_3ELb0ES6_jNS0_17counting_iteratorIjlEEPS9_SE_NS0_5tupleIJPjSE_EEENSF_IJSE_SE_EEES9_SG_JZNS1_25segmented_radix_sort_implINS0_14default_configELb1EPKaPaPKlPlN2at6native12_GLOBAL__N_18offset_tEEE10hipError_tPvRmT1_PNSt15iterator_traitsISY_E10value_typeET2_T3_PNSZ_IS14_E10value_typeET4_jRbjT5_S1A_jjP12ihipStream_tbEUljE_EEESV_SW_SX_S14_S18_S1A_T6_T7_T9_mT8_S1C_bDpT10_ENKUlT_T0_E_clISt17integral_constantIbLb1EES1P_EEDaS1K_S1L_EUlS1K_E_NS1_11comp_targetILNS1_3genE9ELNS1_11target_archE1100ELNS1_3gpuE3ELNS1_3repE0EEENS1_30default_config_static_selectorELNS0_4arch9wavefront6targetE1EEEvSY_,comdat
	.globl	_ZN7rocprim17ROCPRIM_400000_NS6detail17trampoline_kernelINS0_13select_configILj256ELj13ELNS0_17block_load_methodE3ELS4_3ELS4_3ELNS0_20block_scan_algorithmE0ELj4294967295EEENS1_25partition_config_selectorILNS1_17partition_subalgoE3EjNS0_10empty_typeEbEEZZNS1_14partition_implILS8_3ELb0ES6_jNS0_17counting_iteratorIjlEEPS9_SE_NS0_5tupleIJPjSE_EEENSF_IJSE_SE_EEES9_SG_JZNS1_25segmented_radix_sort_implINS0_14default_configELb1EPKaPaPKlPlN2at6native12_GLOBAL__N_18offset_tEEE10hipError_tPvRmT1_PNSt15iterator_traitsISY_E10value_typeET2_T3_PNSZ_IS14_E10value_typeET4_jRbjT5_S1A_jjP12ihipStream_tbEUljE_EEESV_SW_SX_S14_S18_S1A_T6_T7_T9_mT8_S1C_bDpT10_ENKUlT_T0_E_clISt17integral_constantIbLb1EES1P_EEDaS1K_S1L_EUlS1K_E_NS1_11comp_targetILNS1_3genE9ELNS1_11target_archE1100ELNS1_3gpuE3ELNS1_3repE0EEENS1_30default_config_static_selectorELNS0_4arch9wavefront6targetE1EEEvSY_ ; -- Begin function _ZN7rocprim17ROCPRIM_400000_NS6detail17trampoline_kernelINS0_13select_configILj256ELj13ELNS0_17block_load_methodE3ELS4_3ELS4_3ELNS0_20block_scan_algorithmE0ELj4294967295EEENS1_25partition_config_selectorILNS1_17partition_subalgoE3EjNS0_10empty_typeEbEEZZNS1_14partition_implILS8_3ELb0ES6_jNS0_17counting_iteratorIjlEEPS9_SE_NS0_5tupleIJPjSE_EEENSF_IJSE_SE_EEES9_SG_JZNS1_25segmented_radix_sort_implINS0_14default_configELb1EPKaPaPKlPlN2at6native12_GLOBAL__N_18offset_tEEE10hipError_tPvRmT1_PNSt15iterator_traitsISY_E10value_typeET2_T3_PNSZ_IS14_E10value_typeET4_jRbjT5_S1A_jjP12ihipStream_tbEUljE_EEESV_SW_SX_S14_S18_S1A_T6_T7_T9_mT8_S1C_bDpT10_ENKUlT_T0_E_clISt17integral_constantIbLb1EES1P_EEDaS1K_S1L_EUlS1K_E_NS1_11comp_targetILNS1_3genE9ELNS1_11target_archE1100ELNS1_3gpuE3ELNS1_3repE0EEENS1_30default_config_static_selectorELNS0_4arch9wavefront6targetE1EEEvSY_
	.p2align	8
	.type	_ZN7rocprim17ROCPRIM_400000_NS6detail17trampoline_kernelINS0_13select_configILj256ELj13ELNS0_17block_load_methodE3ELS4_3ELS4_3ELNS0_20block_scan_algorithmE0ELj4294967295EEENS1_25partition_config_selectorILNS1_17partition_subalgoE3EjNS0_10empty_typeEbEEZZNS1_14partition_implILS8_3ELb0ES6_jNS0_17counting_iteratorIjlEEPS9_SE_NS0_5tupleIJPjSE_EEENSF_IJSE_SE_EEES9_SG_JZNS1_25segmented_radix_sort_implINS0_14default_configELb1EPKaPaPKlPlN2at6native12_GLOBAL__N_18offset_tEEE10hipError_tPvRmT1_PNSt15iterator_traitsISY_E10value_typeET2_T3_PNSZ_IS14_E10value_typeET4_jRbjT5_S1A_jjP12ihipStream_tbEUljE_EEESV_SW_SX_S14_S18_S1A_T6_T7_T9_mT8_S1C_bDpT10_ENKUlT_T0_E_clISt17integral_constantIbLb1EES1P_EEDaS1K_S1L_EUlS1K_E_NS1_11comp_targetILNS1_3genE9ELNS1_11target_archE1100ELNS1_3gpuE3ELNS1_3repE0EEENS1_30default_config_static_selectorELNS0_4arch9wavefront6targetE1EEEvSY_,@function
_ZN7rocprim17ROCPRIM_400000_NS6detail17trampoline_kernelINS0_13select_configILj256ELj13ELNS0_17block_load_methodE3ELS4_3ELS4_3ELNS0_20block_scan_algorithmE0ELj4294967295EEENS1_25partition_config_selectorILNS1_17partition_subalgoE3EjNS0_10empty_typeEbEEZZNS1_14partition_implILS8_3ELb0ES6_jNS0_17counting_iteratorIjlEEPS9_SE_NS0_5tupleIJPjSE_EEENSF_IJSE_SE_EEES9_SG_JZNS1_25segmented_radix_sort_implINS0_14default_configELb1EPKaPaPKlPlN2at6native12_GLOBAL__N_18offset_tEEE10hipError_tPvRmT1_PNSt15iterator_traitsISY_E10value_typeET2_T3_PNSZ_IS14_E10value_typeET4_jRbjT5_S1A_jjP12ihipStream_tbEUljE_EEESV_SW_SX_S14_S18_S1A_T6_T7_T9_mT8_S1C_bDpT10_ENKUlT_T0_E_clISt17integral_constantIbLb1EES1P_EEDaS1K_S1L_EUlS1K_E_NS1_11comp_targetILNS1_3genE9ELNS1_11target_archE1100ELNS1_3gpuE3ELNS1_3repE0EEENS1_30default_config_static_selectorELNS0_4arch9wavefront6targetE1EEEvSY_: ; @_ZN7rocprim17ROCPRIM_400000_NS6detail17trampoline_kernelINS0_13select_configILj256ELj13ELNS0_17block_load_methodE3ELS4_3ELS4_3ELNS0_20block_scan_algorithmE0ELj4294967295EEENS1_25partition_config_selectorILNS1_17partition_subalgoE3EjNS0_10empty_typeEbEEZZNS1_14partition_implILS8_3ELb0ES6_jNS0_17counting_iteratorIjlEEPS9_SE_NS0_5tupleIJPjSE_EEENSF_IJSE_SE_EEES9_SG_JZNS1_25segmented_radix_sort_implINS0_14default_configELb1EPKaPaPKlPlN2at6native12_GLOBAL__N_18offset_tEEE10hipError_tPvRmT1_PNSt15iterator_traitsISY_E10value_typeET2_T3_PNSZ_IS14_E10value_typeET4_jRbjT5_S1A_jjP12ihipStream_tbEUljE_EEESV_SW_SX_S14_S18_S1A_T6_T7_T9_mT8_S1C_bDpT10_ENKUlT_T0_E_clISt17integral_constantIbLb1EES1P_EEDaS1K_S1L_EUlS1K_E_NS1_11comp_targetILNS1_3genE9ELNS1_11target_archE1100ELNS1_3gpuE3ELNS1_3repE0EEENS1_30default_config_static_selectorELNS0_4arch9wavefront6targetE1EEEvSY_
; %bb.0:
	.section	.rodata,"a",@progbits
	.p2align	6, 0x0
	.amdhsa_kernel _ZN7rocprim17ROCPRIM_400000_NS6detail17trampoline_kernelINS0_13select_configILj256ELj13ELNS0_17block_load_methodE3ELS4_3ELS4_3ELNS0_20block_scan_algorithmE0ELj4294967295EEENS1_25partition_config_selectorILNS1_17partition_subalgoE3EjNS0_10empty_typeEbEEZZNS1_14partition_implILS8_3ELb0ES6_jNS0_17counting_iteratorIjlEEPS9_SE_NS0_5tupleIJPjSE_EEENSF_IJSE_SE_EEES9_SG_JZNS1_25segmented_radix_sort_implINS0_14default_configELb1EPKaPaPKlPlN2at6native12_GLOBAL__N_18offset_tEEE10hipError_tPvRmT1_PNSt15iterator_traitsISY_E10value_typeET2_T3_PNSZ_IS14_E10value_typeET4_jRbjT5_S1A_jjP12ihipStream_tbEUljE_EEESV_SW_SX_S14_S18_S1A_T6_T7_T9_mT8_S1C_bDpT10_ENKUlT_T0_E_clISt17integral_constantIbLb1EES1P_EEDaS1K_S1L_EUlS1K_E_NS1_11comp_targetILNS1_3genE9ELNS1_11target_archE1100ELNS1_3gpuE3ELNS1_3repE0EEENS1_30default_config_static_selectorELNS0_4arch9wavefront6targetE1EEEvSY_
		.amdhsa_group_segment_fixed_size 0
		.amdhsa_private_segment_fixed_size 0
		.amdhsa_kernarg_size 152
		.amdhsa_user_sgpr_count 6
		.amdhsa_user_sgpr_private_segment_buffer 1
		.amdhsa_user_sgpr_dispatch_ptr 0
		.amdhsa_user_sgpr_queue_ptr 0
		.amdhsa_user_sgpr_kernarg_segment_ptr 1
		.amdhsa_user_sgpr_dispatch_id 0
		.amdhsa_user_sgpr_flat_scratch_init 0
		.amdhsa_user_sgpr_private_segment_size 0
		.amdhsa_uses_dynamic_stack 0
		.amdhsa_system_sgpr_private_segment_wavefront_offset 0
		.amdhsa_system_sgpr_workgroup_id_x 1
		.amdhsa_system_sgpr_workgroup_id_y 0
		.amdhsa_system_sgpr_workgroup_id_z 0
		.amdhsa_system_sgpr_workgroup_info 0
		.amdhsa_system_vgpr_workitem_id 0
		.amdhsa_next_free_vgpr 1
		.amdhsa_next_free_sgpr 0
		.amdhsa_reserve_vcc 0
		.amdhsa_reserve_flat_scratch 0
		.amdhsa_float_round_mode_32 0
		.amdhsa_float_round_mode_16_64 0
		.amdhsa_float_denorm_mode_32 3
		.amdhsa_float_denorm_mode_16_64 3
		.amdhsa_dx10_clamp 1
		.amdhsa_ieee_mode 1
		.amdhsa_fp16_overflow 0
		.amdhsa_exception_fp_ieee_invalid_op 0
		.amdhsa_exception_fp_denorm_src 0
		.amdhsa_exception_fp_ieee_div_zero 0
		.amdhsa_exception_fp_ieee_overflow 0
		.amdhsa_exception_fp_ieee_underflow 0
		.amdhsa_exception_fp_ieee_inexact 0
		.amdhsa_exception_int_div_zero 0
	.end_amdhsa_kernel
	.section	.text._ZN7rocprim17ROCPRIM_400000_NS6detail17trampoline_kernelINS0_13select_configILj256ELj13ELNS0_17block_load_methodE3ELS4_3ELS4_3ELNS0_20block_scan_algorithmE0ELj4294967295EEENS1_25partition_config_selectorILNS1_17partition_subalgoE3EjNS0_10empty_typeEbEEZZNS1_14partition_implILS8_3ELb0ES6_jNS0_17counting_iteratorIjlEEPS9_SE_NS0_5tupleIJPjSE_EEENSF_IJSE_SE_EEES9_SG_JZNS1_25segmented_radix_sort_implINS0_14default_configELb1EPKaPaPKlPlN2at6native12_GLOBAL__N_18offset_tEEE10hipError_tPvRmT1_PNSt15iterator_traitsISY_E10value_typeET2_T3_PNSZ_IS14_E10value_typeET4_jRbjT5_S1A_jjP12ihipStream_tbEUljE_EEESV_SW_SX_S14_S18_S1A_T6_T7_T9_mT8_S1C_bDpT10_ENKUlT_T0_E_clISt17integral_constantIbLb1EES1P_EEDaS1K_S1L_EUlS1K_E_NS1_11comp_targetILNS1_3genE9ELNS1_11target_archE1100ELNS1_3gpuE3ELNS1_3repE0EEENS1_30default_config_static_selectorELNS0_4arch9wavefront6targetE1EEEvSY_,"axG",@progbits,_ZN7rocprim17ROCPRIM_400000_NS6detail17trampoline_kernelINS0_13select_configILj256ELj13ELNS0_17block_load_methodE3ELS4_3ELS4_3ELNS0_20block_scan_algorithmE0ELj4294967295EEENS1_25partition_config_selectorILNS1_17partition_subalgoE3EjNS0_10empty_typeEbEEZZNS1_14partition_implILS8_3ELb0ES6_jNS0_17counting_iteratorIjlEEPS9_SE_NS0_5tupleIJPjSE_EEENSF_IJSE_SE_EEES9_SG_JZNS1_25segmented_radix_sort_implINS0_14default_configELb1EPKaPaPKlPlN2at6native12_GLOBAL__N_18offset_tEEE10hipError_tPvRmT1_PNSt15iterator_traitsISY_E10value_typeET2_T3_PNSZ_IS14_E10value_typeET4_jRbjT5_S1A_jjP12ihipStream_tbEUljE_EEESV_SW_SX_S14_S18_S1A_T6_T7_T9_mT8_S1C_bDpT10_ENKUlT_T0_E_clISt17integral_constantIbLb1EES1P_EEDaS1K_S1L_EUlS1K_E_NS1_11comp_targetILNS1_3genE9ELNS1_11target_archE1100ELNS1_3gpuE3ELNS1_3repE0EEENS1_30default_config_static_selectorELNS0_4arch9wavefront6targetE1EEEvSY_,comdat
.Lfunc_end272:
	.size	_ZN7rocprim17ROCPRIM_400000_NS6detail17trampoline_kernelINS0_13select_configILj256ELj13ELNS0_17block_load_methodE3ELS4_3ELS4_3ELNS0_20block_scan_algorithmE0ELj4294967295EEENS1_25partition_config_selectorILNS1_17partition_subalgoE3EjNS0_10empty_typeEbEEZZNS1_14partition_implILS8_3ELb0ES6_jNS0_17counting_iteratorIjlEEPS9_SE_NS0_5tupleIJPjSE_EEENSF_IJSE_SE_EEES9_SG_JZNS1_25segmented_radix_sort_implINS0_14default_configELb1EPKaPaPKlPlN2at6native12_GLOBAL__N_18offset_tEEE10hipError_tPvRmT1_PNSt15iterator_traitsISY_E10value_typeET2_T3_PNSZ_IS14_E10value_typeET4_jRbjT5_S1A_jjP12ihipStream_tbEUljE_EEESV_SW_SX_S14_S18_S1A_T6_T7_T9_mT8_S1C_bDpT10_ENKUlT_T0_E_clISt17integral_constantIbLb1EES1P_EEDaS1K_S1L_EUlS1K_E_NS1_11comp_targetILNS1_3genE9ELNS1_11target_archE1100ELNS1_3gpuE3ELNS1_3repE0EEENS1_30default_config_static_selectorELNS0_4arch9wavefront6targetE1EEEvSY_, .Lfunc_end272-_ZN7rocprim17ROCPRIM_400000_NS6detail17trampoline_kernelINS0_13select_configILj256ELj13ELNS0_17block_load_methodE3ELS4_3ELS4_3ELNS0_20block_scan_algorithmE0ELj4294967295EEENS1_25partition_config_selectorILNS1_17partition_subalgoE3EjNS0_10empty_typeEbEEZZNS1_14partition_implILS8_3ELb0ES6_jNS0_17counting_iteratorIjlEEPS9_SE_NS0_5tupleIJPjSE_EEENSF_IJSE_SE_EEES9_SG_JZNS1_25segmented_radix_sort_implINS0_14default_configELb1EPKaPaPKlPlN2at6native12_GLOBAL__N_18offset_tEEE10hipError_tPvRmT1_PNSt15iterator_traitsISY_E10value_typeET2_T3_PNSZ_IS14_E10value_typeET4_jRbjT5_S1A_jjP12ihipStream_tbEUljE_EEESV_SW_SX_S14_S18_S1A_T6_T7_T9_mT8_S1C_bDpT10_ENKUlT_T0_E_clISt17integral_constantIbLb1EES1P_EEDaS1K_S1L_EUlS1K_E_NS1_11comp_targetILNS1_3genE9ELNS1_11target_archE1100ELNS1_3gpuE3ELNS1_3repE0EEENS1_30default_config_static_selectorELNS0_4arch9wavefront6targetE1EEEvSY_
                                        ; -- End function
	.set _ZN7rocprim17ROCPRIM_400000_NS6detail17trampoline_kernelINS0_13select_configILj256ELj13ELNS0_17block_load_methodE3ELS4_3ELS4_3ELNS0_20block_scan_algorithmE0ELj4294967295EEENS1_25partition_config_selectorILNS1_17partition_subalgoE3EjNS0_10empty_typeEbEEZZNS1_14partition_implILS8_3ELb0ES6_jNS0_17counting_iteratorIjlEEPS9_SE_NS0_5tupleIJPjSE_EEENSF_IJSE_SE_EEES9_SG_JZNS1_25segmented_radix_sort_implINS0_14default_configELb1EPKaPaPKlPlN2at6native12_GLOBAL__N_18offset_tEEE10hipError_tPvRmT1_PNSt15iterator_traitsISY_E10value_typeET2_T3_PNSZ_IS14_E10value_typeET4_jRbjT5_S1A_jjP12ihipStream_tbEUljE_EEESV_SW_SX_S14_S18_S1A_T6_T7_T9_mT8_S1C_bDpT10_ENKUlT_T0_E_clISt17integral_constantIbLb1EES1P_EEDaS1K_S1L_EUlS1K_E_NS1_11comp_targetILNS1_3genE9ELNS1_11target_archE1100ELNS1_3gpuE3ELNS1_3repE0EEENS1_30default_config_static_selectorELNS0_4arch9wavefront6targetE1EEEvSY_.num_vgpr, 0
	.set _ZN7rocprim17ROCPRIM_400000_NS6detail17trampoline_kernelINS0_13select_configILj256ELj13ELNS0_17block_load_methodE3ELS4_3ELS4_3ELNS0_20block_scan_algorithmE0ELj4294967295EEENS1_25partition_config_selectorILNS1_17partition_subalgoE3EjNS0_10empty_typeEbEEZZNS1_14partition_implILS8_3ELb0ES6_jNS0_17counting_iteratorIjlEEPS9_SE_NS0_5tupleIJPjSE_EEENSF_IJSE_SE_EEES9_SG_JZNS1_25segmented_radix_sort_implINS0_14default_configELb1EPKaPaPKlPlN2at6native12_GLOBAL__N_18offset_tEEE10hipError_tPvRmT1_PNSt15iterator_traitsISY_E10value_typeET2_T3_PNSZ_IS14_E10value_typeET4_jRbjT5_S1A_jjP12ihipStream_tbEUljE_EEESV_SW_SX_S14_S18_S1A_T6_T7_T9_mT8_S1C_bDpT10_ENKUlT_T0_E_clISt17integral_constantIbLb1EES1P_EEDaS1K_S1L_EUlS1K_E_NS1_11comp_targetILNS1_3genE9ELNS1_11target_archE1100ELNS1_3gpuE3ELNS1_3repE0EEENS1_30default_config_static_selectorELNS0_4arch9wavefront6targetE1EEEvSY_.num_agpr, 0
	.set _ZN7rocprim17ROCPRIM_400000_NS6detail17trampoline_kernelINS0_13select_configILj256ELj13ELNS0_17block_load_methodE3ELS4_3ELS4_3ELNS0_20block_scan_algorithmE0ELj4294967295EEENS1_25partition_config_selectorILNS1_17partition_subalgoE3EjNS0_10empty_typeEbEEZZNS1_14partition_implILS8_3ELb0ES6_jNS0_17counting_iteratorIjlEEPS9_SE_NS0_5tupleIJPjSE_EEENSF_IJSE_SE_EEES9_SG_JZNS1_25segmented_radix_sort_implINS0_14default_configELb1EPKaPaPKlPlN2at6native12_GLOBAL__N_18offset_tEEE10hipError_tPvRmT1_PNSt15iterator_traitsISY_E10value_typeET2_T3_PNSZ_IS14_E10value_typeET4_jRbjT5_S1A_jjP12ihipStream_tbEUljE_EEESV_SW_SX_S14_S18_S1A_T6_T7_T9_mT8_S1C_bDpT10_ENKUlT_T0_E_clISt17integral_constantIbLb1EES1P_EEDaS1K_S1L_EUlS1K_E_NS1_11comp_targetILNS1_3genE9ELNS1_11target_archE1100ELNS1_3gpuE3ELNS1_3repE0EEENS1_30default_config_static_selectorELNS0_4arch9wavefront6targetE1EEEvSY_.numbered_sgpr, 0
	.set _ZN7rocprim17ROCPRIM_400000_NS6detail17trampoline_kernelINS0_13select_configILj256ELj13ELNS0_17block_load_methodE3ELS4_3ELS4_3ELNS0_20block_scan_algorithmE0ELj4294967295EEENS1_25partition_config_selectorILNS1_17partition_subalgoE3EjNS0_10empty_typeEbEEZZNS1_14partition_implILS8_3ELb0ES6_jNS0_17counting_iteratorIjlEEPS9_SE_NS0_5tupleIJPjSE_EEENSF_IJSE_SE_EEES9_SG_JZNS1_25segmented_radix_sort_implINS0_14default_configELb1EPKaPaPKlPlN2at6native12_GLOBAL__N_18offset_tEEE10hipError_tPvRmT1_PNSt15iterator_traitsISY_E10value_typeET2_T3_PNSZ_IS14_E10value_typeET4_jRbjT5_S1A_jjP12ihipStream_tbEUljE_EEESV_SW_SX_S14_S18_S1A_T6_T7_T9_mT8_S1C_bDpT10_ENKUlT_T0_E_clISt17integral_constantIbLb1EES1P_EEDaS1K_S1L_EUlS1K_E_NS1_11comp_targetILNS1_3genE9ELNS1_11target_archE1100ELNS1_3gpuE3ELNS1_3repE0EEENS1_30default_config_static_selectorELNS0_4arch9wavefront6targetE1EEEvSY_.num_named_barrier, 0
	.set _ZN7rocprim17ROCPRIM_400000_NS6detail17trampoline_kernelINS0_13select_configILj256ELj13ELNS0_17block_load_methodE3ELS4_3ELS4_3ELNS0_20block_scan_algorithmE0ELj4294967295EEENS1_25partition_config_selectorILNS1_17partition_subalgoE3EjNS0_10empty_typeEbEEZZNS1_14partition_implILS8_3ELb0ES6_jNS0_17counting_iteratorIjlEEPS9_SE_NS0_5tupleIJPjSE_EEENSF_IJSE_SE_EEES9_SG_JZNS1_25segmented_radix_sort_implINS0_14default_configELb1EPKaPaPKlPlN2at6native12_GLOBAL__N_18offset_tEEE10hipError_tPvRmT1_PNSt15iterator_traitsISY_E10value_typeET2_T3_PNSZ_IS14_E10value_typeET4_jRbjT5_S1A_jjP12ihipStream_tbEUljE_EEESV_SW_SX_S14_S18_S1A_T6_T7_T9_mT8_S1C_bDpT10_ENKUlT_T0_E_clISt17integral_constantIbLb1EES1P_EEDaS1K_S1L_EUlS1K_E_NS1_11comp_targetILNS1_3genE9ELNS1_11target_archE1100ELNS1_3gpuE3ELNS1_3repE0EEENS1_30default_config_static_selectorELNS0_4arch9wavefront6targetE1EEEvSY_.private_seg_size, 0
	.set _ZN7rocprim17ROCPRIM_400000_NS6detail17trampoline_kernelINS0_13select_configILj256ELj13ELNS0_17block_load_methodE3ELS4_3ELS4_3ELNS0_20block_scan_algorithmE0ELj4294967295EEENS1_25partition_config_selectorILNS1_17partition_subalgoE3EjNS0_10empty_typeEbEEZZNS1_14partition_implILS8_3ELb0ES6_jNS0_17counting_iteratorIjlEEPS9_SE_NS0_5tupleIJPjSE_EEENSF_IJSE_SE_EEES9_SG_JZNS1_25segmented_radix_sort_implINS0_14default_configELb1EPKaPaPKlPlN2at6native12_GLOBAL__N_18offset_tEEE10hipError_tPvRmT1_PNSt15iterator_traitsISY_E10value_typeET2_T3_PNSZ_IS14_E10value_typeET4_jRbjT5_S1A_jjP12ihipStream_tbEUljE_EEESV_SW_SX_S14_S18_S1A_T6_T7_T9_mT8_S1C_bDpT10_ENKUlT_T0_E_clISt17integral_constantIbLb1EES1P_EEDaS1K_S1L_EUlS1K_E_NS1_11comp_targetILNS1_3genE9ELNS1_11target_archE1100ELNS1_3gpuE3ELNS1_3repE0EEENS1_30default_config_static_selectorELNS0_4arch9wavefront6targetE1EEEvSY_.uses_vcc, 0
	.set _ZN7rocprim17ROCPRIM_400000_NS6detail17trampoline_kernelINS0_13select_configILj256ELj13ELNS0_17block_load_methodE3ELS4_3ELS4_3ELNS0_20block_scan_algorithmE0ELj4294967295EEENS1_25partition_config_selectorILNS1_17partition_subalgoE3EjNS0_10empty_typeEbEEZZNS1_14partition_implILS8_3ELb0ES6_jNS0_17counting_iteratorIjlEEPS9_SE_NS0_5tupleIJPjSE_EEENSF_IJSE_SE_EEES9_SG_JZNS1_25segmented_radix_sort_implINS0_14default_configELb1EPKaPaPKlPlN2at6native12_GLOBAL__N_18offset_tEEE10hipError_tPvRmT1_PNSt15iterator_traitsISY_E10value_typeET2_T3_PNSZ_IS14_E10value_typeET4_jRbjT5_S1A_jjP12ihipStream_tbEUljE_EEESV_SW_SX_S14_S18_S1A_T6_T7_T9_mT8_S1C_bDpT10_ENKUlT_T0_E_clISt17integral_constantIbLb1EES1P_EEDaS1K_S1L_EUlS1K_E_NS1_11comp_targetILNS1_3genE9ELNS1_11target_archE1100ELNS1_3gpuE3ELNS1_3repE0EEENS1_30default_config_static_selectorELNS0_4arch9wavefront6targetE1EEEvSY_.uses_flat_scratch, 0
	.set _ZN7rocprim17ROCPRIM_400000_NS6detail17trampoline_kernelINS0_13select_configILj256ELj13ELNS0_17block_load_methodE3ELS4_3ELS4_3ELNS0_20block_scan_algorithmE0ELj4294967295EEENS1_25partition_config_selectorILNS1_17partition_subalgoE3EjNS0_10empty_typeEbEEZZNS1_14partition_implILS8_3ELb0ES6_jNS0_17counting_iteratorIjlEEPS9_SE_NS0_5tupleIJPjSE_EEENSF_IJSE_SE_EEES9_SG_JZNS1_25segmented_radix_sort_implINS0_14default_configELb1EPKaPaPKlPlN2at6native12_GLOBAL__N_18offset_tEEE10hipError_tPvRmT1_PNSt15iterator_traitsISY_E10value_typeET2_T3_PNSZ_IS14_E10value_typeET4_jRbjT5_S1A_jjP12ihipStream_tbEUljE_EEESV_SW_SX_S14_S18_S1A_T6_T7_T9_mT8_S1C_bDpT10_ENKUlT_T0_E_clISt17integral_constantIbLb1EES1P_EEDaS1K_S1L_EUlS1K_E_NS1_11comp_targetILNS1_3genE9ELNS1_11target_archE1100ELNS1_3gpuE3ELNS1_3repE0EEENS1_30default_config_static_selectorELNS0_4arch9wavefront6targetE1EEEvSY_.has_dyn_sized_stack, 0
	.set _ZN7rocprim17ROCPRIM_400000_NS6detail17trampoline_kernelINS0_13select_configILj256ELj13ELNS0_17block_load_methodE3ELS4_3ELS4_3ELNS0_20block_scan_algorithmE0ELj4294967295EEENS1_25partition_config_selectorILNS1_17partition_subalgoE3EjNS0_10empty_typeEbEEZZNS1_14partition_implILS8_3ELb0ES6_jNS0_17counting_iteratorIjlEEPS9_SE_NS0_5tupleIJPjSE_EEENSF_IJSE_SE_EEES9_SG_JZNS1_25segmented_radix_sort_implINS0_14default_configELb1EPKaPaPKlPlN2at6native12_GLOBAL__N_18offset_tEEE10hipError_tPvRmT1_PNSt15iterator_traitsISY_E10value_typeET2_T3_PNSZ_IS14_E10value_typeET4_jRbjT5_S1A_jjP12ihipStream_tbEUljE_EEESV_SW_SX_S14_S18_S1A_T6_T7_T9_mT8_S1C_bDpT10_ENKUlT_T0_E_clISt17integral_constantIbLb1EES1P_EEDaS1K_S1L_EUlS1K_E_NS1_11comp_targetILNS1_3genE9ELNS1_11target_archE1100ELNS1_3gpuE3ELNS1_3repE0EEENS1_30default_config_static_selectorELNS0_4arch9wavefront6targetE1EEEvSY_.has_recursion, 0
	.set _ZN7rocprim17ROCPRIM_400000_NS6detail17trampoline_kernelINS0_13select_configILj256ELj13ELNS0_17block_load_methodE3ELS4_3ELS4_3ELNS0_20block_scan_algorithmE0ELj4294967295EEENS1_25partition_config_selectorILNS1_17partition_subalgoE3EjNS0_10empty_typeEbEEZZNS1_14partition_implILS8_3ELb0ES6_jNS0_17counting_iteratorIjlEEPS9_SE_NS0_5tupleIJPjSE_EEENSF_IJSE_SE_EEES9_SG_JZNS1_25segmented_radix_sort_implINS0_14default_configELb1EPKaPaPKlPlN2at6native12_GLOBAL__N_18offset_tEEE10hipError_tPvRmT1_PNSt15iterator_traitsISY_E10value_typeET2_T3_PNSZ_IS14_E10value_typeET4_jRbjT5_S1A_jjP12ihipStream_tbEUljE_EEESV_SW_SX_S14_S18_S1A_T6_T7_T9_mT8_S1C_bDpT10_ENKUlT_T0_E_clISt17integral_constantIbLb1EES1P_EEDaS1K_S1L_EUlS1K_E_NS1_11comp_targetILNS1_3genE9ELNS1_11target_archE1100ELNS1_3gpuE3ELNS1_3repE0EEENS1_30default_config_static_selectorELNS0_4arch9wavefront6targetE1EEEvSY_.has_indirect_call, 0
	.section	.AMDGPU.csdata,"",@progbits
; Kernel info:
; codeLenInByte = 0
; TotalNumSgprs: 4
; NumVgprs: 0
; ScratchSize: 0
; MemoryBound: 0
; FloatMode: 240
; IeeeMode: 1
; LDSByteSize: 0 bytes/workgroup (compile time only)
; SGPRBlocks: 0
; VGPRBlocks: 0
; NumSGPRsForWavesPerEU: 4
; NumVGPRsForWavesPerEU: 1
; Occupancy: 10
; WaveLimiterHint : 0
; COMPUTE_PGM_RSRC2:SCRATCH_EN: 0
; COMPUTE_PGM_RSRC2:USER_SGPR: 6
; COMPUTE_PGM_RSRC2:TRAP_HANDLER: 0
; COMPUTE_PGM_RSRC2:TGID_X_EN: 1
; COMPUTE_PGM_RSRC2:TGID_Y_EN: 0
; COMPUTE_PGM_RSRC2:TGID_Z_EN: 0
; COMPUTE_PGM_RSRC2:TIDIG_COMP_CNT: 0
	.section	.text._ZN7rocprim17ROCPRIM_400000_NS6detail17trampoline_kernelINS0_13select_configILj256ELj13ELNS0_17block_load_methodE3ELS4_3ELS4_3ELNS0_20block_scan_algorithmE0ELj4294967295EEENS1_25partition_config_selectorILNS1_17partition_subalgoE3EjNS0_10empty_typeEbEEZZNS1_14partition_implILS8_3ELb0ES6_jNS0_17counting_iteratorIjlEEPS9_SE_NS0_5tupleIJPjSE_EEENSF_IJSE_SE_EEES9_SG_JZNS1_25segmented_radix_sort_implINS0_14default_configELb1EPKaPaPKlPlN2at6native12_GLOBAL__N_18offset_tEEE10hipError_tPvRmT1_PNSt15iterator_traitsISY_E10value_typeET2_T3_PNSZ_IS14_E10value_typeET4_jRbjT5_S1A_jjP12ihipStream_tbEUljE_EEESV_SW_SX_S14_S18_S1A_T6_T7_T9_mT8_S1C_bDpT10_ENKUlT_T0_E_clISt17integral_constantIbLb1EES1P_EEDaS1K_S1L_EUlS1K_E_NS1_11comp_targetILNS1_3genE8ELNS1_11target_archE1030ELNS1_3gpuE2ELNS1_3repE0EEENS1_30default_config_static_selectorELNS0_4arch9wavefront6targetE1EEEvSY_,"axG",@progbits,_ZN7rocprim17ROCPRIM_400000_NS6detail17trampoline_kernelINS0_13select_configILj256ELj13ELNS0_17block_load_methodE3ELS4_3ELS4_3ELNS0_20block_scan_algorithmE0ELj4294967295EEENS1_25partition_config_selectorILNS1_17partition_subalgoE3EjNS0_10empty_typeEbEEZZNS1_14partition_implILS8_3ELb0ES6_jNS0_17counting_iteratorIjlEEPS9_SE_NS0_5tupleIJPjSE_EEENSF_IJSE_SE_EEES9_SG_JZNS1_25segmented_radix_sort_implINS0_14default_configELb1EPKaPaPKlPlN2at6native12_GLOBAL__N_18offset_tEEE10hipError_tPvRmT1_PNSt15iterator_traitsISY_E10value_typeET2_T3_PNSZ_IS14_E10value_typeET4_jRbjT5_S1A_jjP12ihipStream_tbEUljE_EEESV_SW_SX_S14_S18_S1A_T6_T7_T9_mT8_S1C_bDpT10_ENKUlT_T0_E_clISt17integral_constantIbLb1EES1P_EEDaS1K_S1L_EUlS1K_E_NS1_11comp_targetILNS1_3genE8ELNS1_11target_archE1030ELNS1_3gpuE2ELNS1_3repE0EEENS1_30default_config_static_selectorELNS0_4arch9wavefront6targetE1EEEvSY_,comdat
	.globl	_ZN7rocprim17ROCPRIM_400000_NS6detail17trampoline_kernelINS0_13select_configILj256ELj13ELNS0_17block_load_methodE3ELS4_3ELS4_3ELNS0_20block_scan_algorithmE0ELj4294967295EEENS1_25partition_config_selectorILNS1_17partition_subalgoE3EjNS0_10empty_typeEbEEZZNS1_14partition_implILS8_3ELb0ES6_jNS0_17counting_iteratorIjlEEPS9_SE_NS0_5tupleIJPjSE_EEENSF_IJSE_SE_EEES9_SG_JZNS1_25segmented_radix_sort_implINS0_14default_configELb1EPKaPaPKlPlN2at6native12_GLOBAL__N_18offset_tEEE10hipError_tPvRmT1_PNSt15iterator_traitsISY_E10value_typeET2_T3_PNSZ_IS14_E10value_typeET4_jRbjT5_S1A_jjP12ihipStream_tbEUljE_EEESV_SW_SX_S14_S18_S1A_T6_T7_T9_mT8_S1C_bDpT10_ENKUlT_T0_E_clISt17integral_constantIbLb1EES1P_EEDaS1K_S1L_EUlS1K_E_NS1_11comp_targetILNS1_3genE8ELNS1_11target_archE1030ELNS1_3gpuE2ELNS1_3repE0EEENS1_30default_config_static_selectorELNS0_4arch9wavefront6targetE1EEEvSY_ ; -- Begin function _ZN7rocprim17ROCPRIM_400000_NS6detail17trampoline_kernelINS0_13select_configILj256ELj13ELNS0_17block_load_methodE3ELS4_3ELS4_3ELNS0_20block_scan_algorithmE0ELj4294967295EEENS1_25partition_config_selectorILNS1_17partition_subalgoE3EjNS0_10empty_typeEbEEZZNS1_14partition_implILS8_3ELb0ES6_jNS0_17counting_iteratorIjlEEPS9_SE_NS0_5tupleIJPjSE_EEENSF_IJSE_SE_EEES9_SG_JZNS1_25segmented_radix_sort_implINS0_14default_configELb1EPKaPaPKlPlN2at6native12_GLOBAL__N_18offset_tEEE10hipError_tPvRmT1_PNSt15iterator_traitsISY_E10value_typeET2_T3_PNSZ_IS14_E10value_typeET4_jRbjT5_S1A_jjP12ihipStream_tbEUljE_EEESV_SW_SX_S14_S18_S1A_T6_T7_T9_mT8_S1C_bDpT10_ENKUlT_T0_E_clISt17integral_constantIbLb1EES1P_EEDaS1K_S1L_EUlS1K_E_NS1_11comp_targetILNS1_3genE8ELNS1_11target_archE1030ELNS1_3gpuE2ELNS1_3repE0EEENS1_30default_config_static_selectorELNS0_4arch9wavefront6targetE1EEEvSY_
	.p2align	8
	.type	_ZN7rocprim17ROCPRIM_400000_NS6detail17trampoline_kernelINS0_13select_configILj256ELj13ELNS0_17block_load_methodE3ELS4_3ELS4_3ELNS0_20block_scan_algorithmE0ELj4294967295EEENS1_25partition_config_selectorILNS1_17partition_subalgoE3EjNS0_10empty_typeEbEEZZNS1_14partition_implILS8_3ELb0ES6_jNS0_17counting_iteratorIjlEEPS9_SE_NS0_5tupleIJPjSE_EEENSF_IJSE_SE_EEES9_SG_JZNS1_25segmented_radix_sort_implINS0_14default_configELb1EPKaPaPKlPlN2at6native12_GLOBAL__N_18offset_tEEE10hipError_tPvRmT1_PNSt15iterator_traitsISY_E10value_typeET2_T3_PNSZ_IS14_E10value_typeET4_jRbjT5_S1A_jjP12ihipStream_tbEUljE_EEESV_SW_SX_S14_S18_S1A_T6_T7_T9_mT8_S1C_bDpT10_ENKUlT_T0_E_clISt17integral_constantIbLb1EES1P_EEDaS1K_S1L_EUlS1K_E_NS1_11comp_targetILNS1_3genE8ELNS1_11target_archE1030ELNS1_3gpuE2ELNS1_3repE0EEENS1_30default_config_static_selectorELNS0_4arch9wavefront6targetE1EEEvSY_,@function
_ZN7rocprim17ROCPRIM_400000_NS6detail17trampoline_kernelINS0_13select_configILj256ELj13ELNS0_17block_load_methodE3ELS4_3ELS4_3ELNS0_20block_scan_algorithmE0ELj4294967295EEENS1_25partition_config_selectorILNS1_17partition_subalgoE3EjNS0_10empty_typeEbEEZZNS1_14partition_implILS8_3ELb0ES6_jNS0_17counting_iteratorIjlEEPS9_SE_NS0_5tupleIJPjSE_EEENSF_IJSE_SE_EEES9_SG_JZNS1_25segmented_radix_sort_implINS0_14default_configELb1EPKaPaPKlPlN2at6native12_GLOBAL__N_18offset_tEEE10hipError_tPvRmT1_PNSt15iterator_traitsISY_E10value_typeET2_T3_PNSZ_IS14_E10value_typeET4_jRbjT5_S1A_jjP12ihipStream_tbEUljE_EEESV_SW_SX_S14_S18_S1A_T6_T7_T9_mT8_S1C_bDpT10_ENKUlT_T0_E_clISt17integral_constantIbLb1EES1P_EEDaS1K_S1L_EUlS1K_E_NS1_11comp_targetILNS1_3genE8ELNS1_11target_archE1030ELNS1_3gpuE2ELNS1_3repE0EEENS1_30default_config_static_selectorELNS0_4arch9wavefront6targetE1EEEvSY_: ; @_ZN7rocprim17ROCPRIM_400000_NS6detail17trampoline_kernelINS0_13select_configILj256ELj13ELNS0_17block_load_methodE3ELS4_3ELS4_3ELNS0_20block_scan_algorithmE0ELj4294967295EEENS1_25partition_config_selectorILNS1_17partition_subalgoE3EjNS0_10empty_typeEbEEZZNS1_14partition_implILS8_3ELb0ES6_jNS0_17counting_iteratorIjlEEPS9_SE_NS0_5tupleIJPjSE_EEENSF_IJSE_SE_EEES9_SG_JZNS1_25segmented_radix_sort_implINS0_14default_configELb1EPKaPaPKlPlN2at6native12_GLOBAL__N_18offset_tEEE10hipError_tPvRmT1_PNSt15iterator_traitsISY_E10value_typeET2_T3_PNSZ_IS14_E10value_typeET4_jRbjT5_S1A_jjP12ihipStream_tbEUljE_EEESV_SW_SX_S14_S18_S1A_T6_T7_T9_mT8_S1C_bDpT10_ENKUlT_T0_E_clISt17integral_constantIbLb1EES1P_EEDaS1K_S1L_EUlS1K_E_NS1_11comp_targetILNS1_3genE8ELNS1_11target_archE1030ELNS1_3gpuE2ELNS1_3repE0EEENS1_30default_config_static_selectorELNS0_4arch9wavefront6targetE1EEEvSY_
; %bb.0:
	.section	.rodata,"a",@progbits
	.p2align	6, 0x0
	.amdhsa_kernel _ZN7rocprim17ROCPRIM_400000_NS6detail17trampoline_kernelINS0_13select_configILj256ELj13ELNS0_17block_load_methodE3ELS4_3ELS4_3ELNS0_20block_scan_algorithmE0ELj4294967295EEENS1_25partition_config_selectorILNS1_17partition_subalgoE3EjNS0_10empty_typeEbEEZZNS1_14partition_implILS8_3ELb0ES6_jNS0_17counting_iteratorIjlEEPS9_SE_NS0_5tupleIJPjSE_EEENSF_IJSE_SE_EEES9_SG_JZNS1_25segmented_radix_sort_implINS0_14default_configELb1EPKaPaPKlPlN2at6native12_GLOBAL__N_18offset_tEEE10hipError_tPvRmT1_PNSt15iterator_traitsISY_E10value_typeET2_T3_PNSZ_IS14_E10value_typeET4_jRbjT5_S1A_jjP12ihipStream_tbEUljE_EEESV_SW_SX_S14_S18_S1A_T6_T7_T9_mT8_S1C_bDpT10_ENKUlT_T0_E_clISt17integral_constantIbLb1EES1P_EEDaS1K_S1L_EUlS1K_E_NS1_11comp_targetILNS1_3genE8ELNS1_11target_archE1030ELNS1_3gpuE2ELNS1_3repE0EEENS1_30default_config_static_selectorELNS0_4arch9wavefront6targetE1EEEvSY_
		.amdhsa_group_segment_fixed_size 0
		.amdhsa_private_segment_fixed_size 0
		.amdhsa_kernarg_size 152
		.amdhsa_user_sgpr_count 6
		.amdhsa_user_sgpr_private_segment_buffer 1
		.amdhsa_user_sgpr_dispatch_ptr 0
		.amdhsa_user_sgpr_queue_ptr 0
		.amdhsa_user_sgpr_kernarg_segment_ptr 1
		.amdhsa_user_sgpr_dispatch_id 0
		.amdhsa_user_sgpr_flat_scratch_init 0
		.amdhsa_user_sgpr_private_segment_size 0
		.amdhsa_uses_dynamic_stack 0
		.amdhsa_system_sgpr_private_segment_wavefront_offset 0
		.amdhsa_system_sgpr_workgroup_id_x 1
		.amdhsa_system_sgpr_workgroup_id_y 0
		.amdhsa_system_sgpr_workgroup_id_z 0
		.amdhsa_system_sgpr_workgroup_info 0
		.amdhsa_system_vgpr_workitem_id 0
		.amdhsa_next_free_vgpr 1
		.amdhsa_next_free_sgpr 0
		.amdhsa_reserve_vcc 0
		.amdhsa_reserve_flat_scratch 0
		.amdhsa_float_round_mode_32 0
		.amdhsa_float_round_mode_16_64 0
		.amdhsa_float_denorm_mode_32 3
		.amdhsa_float_denorm_mode_16_64 3
		.amdhsa_dx10_clamp 1
		.amdhsa_ieee_mode 1
		.amdhsa_fp16_overflow 0
		.amdhsa_exception_fp_ieee_invalid_op 0
		.amdhsa_exception_fp_denorm_src 0
		.amdhsa_exception_fp_ieee_div_zero 0
		.amdhsa_exception_fp_ieee_overflow 0
		.amdhsa_exception_fp_ieee_underflow 0
		.amdhsa_exception_fp_ieee_inexact 0
		.amdhsa_exception_int_div_zero 0
	.end_amdhsa_kernel
	.section	.text._ZN7rocprim17ROCPRIM_400000_NS6detail17trampoline_kernelINS0_13select_configILj256ELj13ELNS0_17block_load_methodE3ELS4_3ELS4_3ELNS0_20block_scan_algorithmE0ELj4294967295EEENS1_25partition_config_selectorILNS1_17partition_subalgoE3EjNS0_10empty_typeEbEEZZNS1_14partition_implILS8_3ELb0ES6_jNS0_17counting_iteratorIjlEEPS9_SE_NS0_5tupleIJPjSE_EEENSF_IJSE_SE_EEES9_SG_JZNS1_25segmented_radix_sort_implINS0_14default_configELb1EPKaPaPKlPlN2at6native12_GLOBAL__N_18offset_tEEE10hipError_tPvRmT1_PNSt15iterator_traitsISY_E10value_typeET2_T3_PNSZ_IS14_E10value_typeET4_jRbjT5_S1A_jjP12ihipStream_tbEUljE_EEESV_SW_SX_S14_S18_S1A_T6_T7_T9_mT8_S1C_bDpT10_ENKUlT_T0_E_clISt17integral_constantIbLb1EES1P_EEDaS1K_S1L_EUlS1K_E_NS1_11comp_targetILNS1_3genE8ELNS1_11target_archE1030ELNS1_3gpuE2ELNS1_3repE0EEENS1_30default_config_static_selectorELNS0_4arch9wavefront6targetE1EEEvSY_,"axG",@progbits,_ZN7rocprim17ROCPRIM_400000_NS6detail17trampoline_kernelINS0_13select_configILj256ELj13ELNS0_17block_load_methodE3ELS4_3ELS4_3ELNS0_20block_scan_algorithmE0ELj4294967295EEENS1_25partition_config_selectorILNS1_17partition_subalgoE3EjNS0_10empty_typeEbEEZZNS1_14partition_implILS8_3ELb0ES6_jNS0_17counting_iteratorIjlEEPS9_SE_NS0_5tupleIJPjSE_EEENSF_IJSE_SE_EEES9_SG_JZNS1_25segmented_radix_sort_implINS0_14default_configELb1EPKaPaPKlPlN2at6native12_GLOBAL__N_18offset_tEEE10hipError_tPvRmT1_PNSt15iterator_traitsISY_E10value_typeET2_T3_PNSZ_IS14_E10value_typeET4_jRbjT5_S1A_jjP12ihipStream_tbEUljE_EEESV_SW_SX_S14_S18_S1A_T6_T7_T9_mT8_S1C_bDpT10_ENKUlT_T0_E_clISt17integral_constantIbLb1EES1P_EEDaS1K_S1L_EUlS1K_E_NS1_11comp_targetILNS1_3genE8ELNS1_11target_archE1030ELNS1_3gpuE2ELNS1_3repE0EEENS1_30default_config_static_selectorELNS0_4arch9wavefront6targetE1EEEvSY_,comdat
.Lfunc_end273:
	.size	_ZN7rocprim17ROCPRIM_400000_NS6detail17trampoline_kernelINS0_13select_configILj256ELj13ELNS0_17block_load_methodE3ELS4_3ELS4_3ELNS0_20block_scan_algorithmE0ELj4294967295EEENS1_25partition_config_selectorILNS1_17partition_subalgoE3EjNS0_10empty_typeEbEEZZNS1_14partition_implILS8_3ELb0ES6_jNS0_17counting_iteratorIjlEEPS9_SE_NS0_5tupleIJPjSE_EEENSF_IJSE_SE_EEES9_SG_JZNS1_25segmented_radix_sort_implINS0_14default_configELb1EPKaPaPKlPlN2at6native12_GLOBAL__N_18offset_tEEE10hipError_tPvRmT1_PNSt15iterator_traitsISY_E10value_typeET2_T3_PNSZ_IS14_E10value_typeET4_jRbjT5_S1A_jjP12ihipStream_tbEUljE_EEESV_SW_SX_S14_S18_S1A_T6_T7_T9_mT8_S1C_bDpT10_ENKUlT_T0_E_clISt17integral_constantIbLb1EES1P_EEDaS1K_S1L_EUlS1K_E_NS1_11comp_targetILNS1_3genE8ELNS1_11target_archE1030ELNS1_3gpuE2ELNS1_3repE0EEENS1_30default_config_static_selectorELNS0_4arch9wavefront6targetE1EEEvSY_, .Lfunc_end273-_ZN7rocprim17ROCPRIM_400000_NS6detail17trampoline_kernelINS0_13select_configILj256ELj13ELNS0_17block_load_methodE3ELS4_3ELS4_3ELNS0_20block_scan_algorithmE0ELj4294967295EEENS1_25partition_config_selectorILNS1_17partition_subalgoE3EjNS0_10empty_typeEbEEZZNS1_14partition_implILS8_3ELb0ES6_jNS0_17counting_iteratorIjlEEPS9_SE_NS0_5tupleIJPjSE_EEENSF_IJSE_SE_EEES9_SG_JZNS1_25segmented_radix_sort_implINS0_14default_configELb1EPKaPaPKlPlN2at6native12_GLOBAL__N_18offset_tEEE10hipError_tPvRmT1_PNSt15iterator_traitsISY_E10value_typeET2_T3_PNSZ_IS14_E10value_typeET4_jRbjT5_S1A_jjP12ihipStream_tbEUljE_EEESV_SW_SX_S14_S18_S1A_T6_T7_T9_mT8_S1C_bDpT10_ENKUlT_T0_E_clISt17integral_constantIbLb1EES1P_EEDaS1K_S1L_EUlS1K_E_NS1_11comp_targetILNS1_3genE8ELNS1_11target_archE1030ELNS1_3gpuE2ELNS1_3repE0EEENS1_30default_config_static_selectorELNS0_4arch9wavefront6targetE1EEEvSY_
                                        ; -- End function
	.set _ZN7rocprim17ROCPRIM_400000_NS6detail17trampoline_kernelINS0_13select_configILj256ELj13ELNS0_17block_load_methodE3ELS4_3ELS4_3ELNS0_20block_scan_algorithmE0ELj4294967295EEENS1_25partition_config_selectorILNS1_17partition_subalgoE3EjNS0_10empty_typeEbEEZZNS1_14partition_implILS8_3ELb0ES6_jNS0_17counting_iteratorIjlEEPS9_SE_NS0_5tupleIJPjSE_EEENSF_IJSE_SE_EEES9_SG_JZNS1_25segmented_radix_sort_implINS0_14default_configELb1EPKaPaPKlPlN2at6native12_GLOBAL__N_18offset_tEEE10hipError_tPvRmT1_PNSt15iterator_traitsISY_E10value_typeET2_T3_PNSZ_IS14_E10value_typeET4_jRbjT5_S1A_jjP12ihipStream_tbEUljE_EEESV_SW_SX_S14_S18_S1A_T6_T7_T9_mT8_S1C_bDpT10_ENKUlT_T0_E_clISt17integral_constantIbLb1EES1P_EEDaS1K_S1L_EUlS1K_E_NS1_11comp_targetILNS1_3genE8ELNS1_11target_archE1030ELNS1_3gpuE2ELNS1_3repE0EEENS1_30default_config_static_selectorELNS0_4arch9wavefront6targetE1EEEvSY_.num_vgpr, 0
	.set _ZN7rocprim17ROCPRIM_400000_NS6detail17trampoline_kernelINS0_13select_configILj256ELj13ELNS0_17block_load_methodE3ELS4_3ELS4_3ELNS0_20block_scan_algorithmE0ELj4294967295EEENS1_25partition_config_selectorILNS1_17partition_subalgoE3EjNS0_10empty_typeEbEEZZNS1_14partition_implILS8_3ELb0ES6_jNS0_17counting_iteratorIjlEEPS9_SE_NS0_5tupleIJPjSE_EEENSF_IJSE_SE_EEES9_SG_JZNS1_25segmented_radix_sort_implINS0_14default_configELb1EPKaPaPKlPlN2at6native12_GLOBAL__N_18offset_tEEE10hipError_tPvRmT1_PNSt15iterator_traitsISY_E10value_typeET2_T3_PNSZ_IS14_E10value_typeET4_jRbjT5_S1A_jjP12ihipStream_tbEUljE_EEESV_SW_SX_S14_S18_S1A_T6_T7_T9_mT8_S1C_bDpT10_ENKUlT_T0_E_clISt17integral_constantIbLb1EES1P_EEDaS1K_S1L_EUlS1K_E_NS1_11comp_targetILNS1_3genE8ELNS1_11target_archE1030ELNS1_3gpuE2ELNS1_3repE0EEENS1_30default_config_static_selectorELNS0_4arch9wavefront6targetE1EEEvSY_.num_agpr, 0
	.set _ZN7rocprim17ROCPRIM_400000_NS6detail17trampoline_kernelINS0_13select_configILj256ELj13ELNS0_17block_load_methodE3ELS4_3ELS4_3ELNS0_20block_scan_algorithmE0ELj4294967295EEENS1_25partition_config_selectorILNS1_17partition_subalgoE3EjNS0_10empty_typeEbEEZZNS1_14partition_implILS8_3ELb0ES6_jNS0_17counting_iteratorIjlEEPS9_SE_NS0_5tupleIJPjSE_EEENSF_IJSE_SE_EEES9_SG_JZNS1_25segmented_radix_sort_implINS0_14default_configELb1EPKaPaPKlPlN2at6native12_GLOBAL__N_18offset_tEEE10hipError_tPvRmT1_PNSt15iterator_traitsISY_E10value_typeET2_T3_PNSZ_IS14_E10value_typeET4_jRbjT5_S1A_jjP12ihipStream_tbEUljE_EEESV_SW_SX_S14_S18_S1A_T6_T7_T9_mT8_S1C_bDpT10_ENKUlT_T0_E_clISt17integral_constantIbLb1EES1P_EEDaS1K_S1L_EUlS1K_E_NS1_11comp_targetILNS1_3genE8ELNS1_11target_archE1030ELNS1_3gpuE2ELNS1_3repE0EEENS1_30default_config_static_selectorELNS0_4arch9wavefront6targetE1EEEvSY_.numbered_sgpr, 0
	.set _ZN7rocprim17ROCPRIM_400000_NS6detail17trampoline_kernelINS0_13select_configILj256ELj13ELNS0_17block_load_methodE3ELS4_3ELS4_3ELNS0_20block_scan_algorithmE0ELj4294967295EEENS1_25partition_config_selectorILNS1_17partition_subalgoE3EjNS0_10empty_typeEbEEZZNS1_14partition_implILS8_3ELb0ES6_jNS0_17counting_iteratorIjlEEPS9_SE_NS0_5tupleIJPjSE_EEENSF_IJSE_SE_EEES9_SG_JZNS1_25segmented_radix_sort_implINS0_14default_configELb1EPKaPaPKlPlN2at6native12_GLOBAL__N_18offset_tEEE10hipError_tPvRmT1_PNSt15iterator_traitsISY_E10value_typeET2_T3_PNSZ_IS14_E10value_typeET4_jRbjT5_S1A_jjP12ihipStream_tbEUljE_EEESV_SW_SX_S14_S18_S1A_T6_T7_T9_mT8_S1C_bDpT10_ENKUlT_T0_E_clISt17integral_constantIbLb1EES1P_EEDaS1K_S1L_EUlS1K_E_NS1_11comp_targetILNS1_3genE8ELNS1_11target_archE1030ELNS1_3gpuE2ELNS1_3repE0EEENS1_30default_config_static_selectorELNS0_4arch9wavefront6targetE1EEEvSY_.num_named_barrier, 0
	.set _ZN7rocprim17ROCPRIM_400000_NS6detail17trampoline_kernelINS0_13select_configILj256ELj13ELNS0_17block_load_methodE3ELS4_3ELS4_3ELNS0_20block_scan_algorithmE0ELj4294967295EEENS1_25partition_config_selectorILNS1_17partition_subalgoE3EjNS0_10empty_typeEbEEZZNS1_14partition_implILS8_3ELb0ES6_jNS0_17counting_iteratorIjlEEPS9_SE_NS0_5tupleIJPjSE_EEENSF_IJSE_SE_EEES9_SG_JZNS1_25segmented_radix_sort_implINS0_14default_configELb1EPKaPaPKlPlN2at6native12_GLOBAL__N_18offset_tEEE10hipError_tPvRmT1_PNSt15iterator_traitsISY_E10value_typeET2_T3_PNSZ_IS14_E10value_typeET4_jRbjT5_S1A_jjP12ihipStream_tbEUljE_EEESV_SW_SX_S14_S18_S1A_T6_T7_T9_mT8_S1C_bDpT10_ENKUlT_T0_E_clISt17integral_constantIbLb1EES1P_EEDaS1K_S1L_EUlS1K_E_NS1_11comp_targetILNS1_3genE8ELNS1_11target_archE1030ELNS1_3gpuE2ELNS1_3repE0EEENS1_30default_config_static_selectorELNS0_4arch9wavefront6targetE1EEEvSY_.private_seg_size, 0
	.set _ZN7rocprim17ROCPRIM_400000_NS6detail17trampoline_kernelINS0_13select_configILj256ELj13ELNS0_17block_load_methodE3ELS4_3ELS4_3ELNS0_20block_scan_algorithmE0ELj4294967295EEENS1_25partition_config_selectorILNS1_17partition_subalgoE3EjNS0_10empty_typeEbEEZZNS1_14partition_implILS8_3ELb0ES6_jNS0_17counting_iteratorIjlEEPS9_SE_NS0_5tupleIJPjSE_EEENSF_IJSE_SE_EEES9_SG_JZNS1_25segmented_radix_sort_implINS0_14default_configELb1EPKaPaPKlPlN2at6native12_GLOBAL__N_18offset_tEEE10hipError_tPvRmT1_PNSt15iterator_traitsISY_E10value_typeET2_T3_PNSZ_IS14_E10value_typeET4_jRbjT5_S1A_jjP12ihipStream_tbEUljE_EEESV_SW_SX_S14_S18_S1A_T6_T7_T9_mT8_S1C_bDpT10_ENKUlT_T0_E_clISt17integral_constantIbLb1EES1P_EEDaS1K_S1L_EUlS1K_E_NS1_11comp_targetILNS1_3genE8ELNS1_11target_archE1030ELNS1_3gpuE2ELNS1_3repE0EEENS1_30default_config_static_selectorELNS0_4arch9wavefront6targetE1EEEvSY_.uses_vcc, 0
	.set _ZN7rocprim17ROCPRIM_400000_NS6detail17trampoline_kernelINS0_13select_configILj256ELj13ELNS0_17block_load_methodE3ELS4_3ELS4_3ELNS0_20block_scan_algorithmE0ELj4294967295EEENS1_25partition_config_selectorILNS1_17partition_subalgoE3EjNS0_10empty_typeEbEEZZNS1_14partition_implILS8_3ELb0ES6_jNS0_17counting_iteratorIjlEEPS9_SE_NS0_5tupleIJPjSE_EEENSF_IJSE_SE_EEES9_SG_JZNS1_25segmented_radix_sort_implINS0_14default_configELb1EPKaPaPKlPlN2at6native12_GLOBAL__N_18offset_tEEE10hipError_tPvRmT1_PNSt15iterator_traitsISY_E10value_typeET2_T3_PNSZ_IS14_E10value_typeET4_jRbjT5_S1A_jjP12ihipStream_tbEUljE_EEESV_SW_SX_S14_S18_S1A_T6_T7_T9_mT8_S1C_bDpT10_ENKUlT_T0_E_clISt17integral_constantIbLb1EES1P_EEDaS1K_S1L_EUlS1K_E_NS1_11comp_targetILNS1_3genE8ELNS1_11target_archE1030ELNS1_3gpuE2ELNS1_3repE0EEENS1_30default_config_static_selectorELNS0_4arch9wavefront6targetE1EEEvSY_.uses_flat_scratch, 0
	.set _ZN7rocprim17ROCPRIM_400000_NS6detail17trampoline_kernelINS0_13select_configILj256ELj13ELNS0_17block_load_methodE3ELS4_3ELS4_3ELNS0_20block_scan_algorithmE0ELj4294967295EEENS1_25partition_config_selectorILNS1_17partition_subalgoE3EjNS0_10empty_typeEbEEZZNS1_14partition_implILS8_3ELb0ES6_jNS0_17counting_iteratorIjlEEPS9_SE_NS0_5tupleIJPjSE_EEENSF_IJSE_SE_EEES9_SG_JZNS1_25segmented_radix_sort_implINS0_14default_configELb1EPKaPaPKlPlN2at6native12_GLOBAL__N_18offset_tEEE10hipError_tPvRmT1_PNSt15iterator_traitsISY_E10value_typeET2_T3_PNSZ_IS14_E10value_typeET4_jRbjT5_S1A_jjP12ihipStream_tbEUljE_EEESV_SW_SX_S14_S18_S1A_T6_T7_T9_mT8_S1C_bDpT10_ENKUlT_T0_E_clISt17integral_constantIbLb1EES1P_EEDaS1K_S1L_EUlS1K_E_NS1_11comp_targetILNS1_3genE8ELNS1_11target_archE1030ELNS1_3gpuE2ELNS1_3repE0EEENS1_30default_config_static_selectorELNS0_4arch9wavefront6targetE1EEEvSY_.has_dyn_sized_stack, 0
	.set _ZN7rocprim17ROCPRIM_400000_NS6detail17trampoline_kernelINS0_13select_configILj256ELj13ELNS0_17block_load_methodE3ELS4_3ELS4_3ELNS0_20block_scan_algorithmE0ELj4294967295EEENS1_25partition_config_selectorILNS1_17partition_subalgoE3EjNS0_10empty_typeEbEEZZNS1_14partition_implILS8_3ELb0ES6_jNS0_17counting_iteratorIjlEEPS9_SE_NS0_5tupleIJPjSE_EEENSF_IJSE_SE_EEES9_SG_JZNS1_25segmented_radix_sort_implINS0_14default_configELb1EPKaPaPKlPlN2at6native12_GLOBAL__N_18offset_tEEE10hipError_tPvRmT1_PNSt15iterator_traitsISY_E10value_typeET2_T3_PNSZ_IS14_E10value_typeET4_jRbjT5_S1A_jjP12ihipStream_tbEUljE_EEESV_SW_SX_S14_S18_S1A_T6_T7_T9_mT8_S1C_bDpT10_ENKUlT_T0_E_clISt17integral_constantIbLb1EES1P_EEDaS1K_S1L_EUlS1K_E_NS1_11comp_targetILNS1_3genE8ELNS1_11target_archE1030ELNS1_3gpuE2ELNS1_3repE0EEENS1_30default_config_static_selectorELNS0_4arch9wavefront6targetE1EEEvSY_.has_recursion, 0
	.set _ZN7rocprim17ROCPRIM_400000_NS6detail17trampoline_kernelINS0_13select_configILj256ELj13ELNS0_17block_load_methodE3ELS4_3ELS4_3ELNS0_20block_scan_algorithmE0ELj4294967295EEENS1_25partition_config_selectorILNS1_17partition_subalgoE3EjNS0_10empty_typeEbEEZZNS1_14partition_implILS8_3ELb0ES6_jNS0_17counting_iteratorIjlEEPS9_SE_NS0_5tupleIJPjSE_EEENSF_IJSE_SE_EEES9_SG_JZNS1_25segmented_radix_sort_implINS0_14default_configELb1EPKaPaPKlPlN2at6native12_GLOBAL__N_18offset_tEEE10hipError_tPvRmT1_PNSt15iterator_traitsISY_E10value_typeET2_T3_PNSZ_IS14_E10value_typeET4_jRbjT5_S1A_jjP12ihipStream_tbEUljE_EEESV_SW_SX_S14_S18_S1A_T6_T7_T9_mT8_S1C_bDpT10_ENKUlT_T0_E_clISt17integral_constantIbLb1EES1P_EEDaS1K_S1L_EUlS1K_E_NS1_11comp_targetILNS1_3genE8ELNS1_11target_archE1030ELNS1_3gpuE2ELNS1_3repE0EEENS1_30default_config_static_selectorELNS0_4arch9wavefront6targetE1EEEvSY_.has_indirect_call, 0
	.section	.AMDGPU.csdata,"",@progbits
; Kernel info:
; codeLenInByte = 0
; TotalNumSgprs: 4
; NumVgprs: 0
; ScratchSize: 0
; MemoryBound: 0
; FloatMode: 240
; IeeeMode: 1
; LDSByteSize: 0 bytes/workgroup (compile time only)
; SGPRBlocks: 0
; VGPRBlocks: 0
; NumSGPRsForWavesPerEU: 4
; NumVGPRsForWavesPerEU: 1
; Occupancy: 10
; WaveLimiterHint : 0
; COMPUTE_PGM_RSRC2:SCRATCH_EN: 0
; COMPUTE_PGM_RSRC2:USER_SGPR: 6
; COMPUTE_PGM_RSRC2:TRAP_HANDLER: 0
; COMPUTE_PGM_RSRC2:TGID_X_EN: 1
; COMPUTE_PGM_RSRC2:TGID_Y_EN: 0
; COMPUTE_PGM_RSRC2:TGID_Z_EN: 0
; COMPUTE_PGM_RSRC2:TIDIG_COMP_CNT: 0
	.section	.text._ZN7rocprim17ROCPRIM_400000_NS6detail17trampoline_kernelINS0_13select_configILj256ELj13ELNS0_17block_load_methodE3ELS4_3ELS4_3ELNS0_20block_scan_algorithmE0ELj4294967295EEENS1_25partition_config_selectorILNS1_17partition_subalgoE3EjNS0_10empty_typeEbEEZZNS1_14partition_implILS8_3ELb0ES6_jNS0_17counting_iteratorIjlEEPS9_SE_NS0_5tupleIJPjSE_EEENSF_IJSE_SE_EEES9_SG_JZNS1_25segmented_radix_sort_implINS0_14default_configELb1EPKaPaPKlPlN2at6native12_GLOBAL__N_18offset_tEEE10hipError_tPvRmT1_PNSt15iterator_traitsISY_E10value_typeET2_T3_PNSZ_IS14_E10value_typeET4_jRbjT5_S1A_jjP12ihipStream_tbEUljE_EEESV_SW_SX_S14_S18_S1A_T6_T7_T9_mT8_S1C_bDpT10_ENKUlT_T0_E_clISt17integral_constantIbLb1EES1O_IbLb0EEEEDaS1K_S1L_EUlS1K_E_NS1_11comp_targetILNS1_3genE0ELNS1_11target_archE4294967295ELNS1_3gpuE0ELNS1_3repE0EEENS1_30default_config_static_selectorELNS0_4arch9wavefront6targetE1EEEvSY_,"axG",@progbits,_ZN7rocprim17ROCPRIM_400000_NS6detail17trampoline_kernelINS0_13select_configILj256ELj13ELNS0_17block_load_methodE3ELS4_3ELS4_3ELNS0_20block_scan_algorithmE0ELj4294967295EEENS1_25partition_config_selectorILNS1_17partition_subalgoE3EjNS0_10empty_typeEbEEZZNS1_14partition_implILS8_3ELb0ES6_jNS0_17counting_iteratorIjlEEPS9_SE_NS0_5tupleIJPjSE_EEENSF_IJSE_SE_EEES9_SG_JZNS1_25segmented_radix_sort_implINS0_14default_configELb1EPKaPaPKlPlN2at6native12_GLOBAL__N_18offset_tEEE10hipError_tPvRmT1_PNSt15iterator_traitsISY_E10value_typeET2_T3_PNSZ_IS14_E10value_typeET4_jRbjT5_S1A_jjP12ihipStream_tbEUljE_EEESV_SW_SX_S14_S18_S1A_T6_T7_T9_mT8_S1C_bDpT10_ENKUlT_T0_E_clISt17integral_constantIbLb1EES1O_IbLb0EEEEDaS1K_S1L_EUlS1K_E_NS1_11comp_targetILNS1_3genE0ELNS1_11target_archE4294967295ELNS1_3gpuE0ELNS1_3repE0EEENS1_30default_config_static_selectorELNS0_4arch9wavefront6targetE1EEEvSY_,comdat
	.globl	_ZN7rocprim17ROCPRIM_400000_NS6detail17trampoline_kernelINS0_13select_configILj256ELj13ELNS0_17block_load_methodE3ELS4_3ELS4_3ELNS0_20block_scan_algorithmE0ELj4294967295EEENS1_25partition_config_selectorILNS1_17partition_subalgoE3EjNS0_10empty_typeEbEEZZNS1_14partition_implILS8_3ELb0ES6_jNS0_17counting_iteratorIjlEEPS9_SE_NS0_5tupleIJPjSE_EEENSF_IJSE_SE_EEES9_SG_JZNS1_25segmented_radix_sort_implINS0_14default_configELb1EPKaPaPKlPlN2at6native12_GLOBAL__N_18offset_tEEE10hipError_tPvRmT1_PNSt15iterator_traitsISY_E10value_typeET2_T3_PNSZ_IS14_E10value_typeET4_jRbjT5_S1A_jjP12ihipStream_tbEUljE_EEESV_SW_SX_S14_S18_S1A_T6_T7_T9_mT8_S1C_bDpT10_ENKUlT_T0_E_clISt17integral_constantIbLb1EES1O_IbLb0EEEEDaS1K_S1L_EUlS1K_E_NS1_11comp_targetILNS1_3genE0ELNS1_11target_archE4294967295ELNS1_3gpuE0ELNS1_3repE0EEENS1_30default_config_static_selectorELNS0_4arch9wavefront6targetE1EEEvSY_ ; -- Begin function _ZN7rocprim17ROCPRIM_400000_NS6detail17trampoline_kernelINS0_13select_configILj256ELj13ELNS0_17block_load_methodE3ELS4_3ELS4_3ELNS0_20block_scan_algorithmE0ELj4294967295EEENS1_25partition_config_selectorILNS1_17partition_subalgoE3EjNS0_10empty_typeEbEEZZNS1_14partition_implILS8_3ELb0ES6_jNS0_17counting_iteratorIjlEEPS9_SE_NS0_5tupleIJPjSE_EEENSF_IJSE_SE_EEES9_SG_JZNS1_25segmented_radix_sort_implINS0_14default_configELb1EPKaPaPKlPlN2at6native12_GLOBAL__N_18offset_tEEE10hipError_tPvRmT1_PNSt15iterator_traitsISY_E10value_typeET2_T3_PNSZ_IS14_E10value_typeET4_jRbjT5_S1A_jjP12ihipStream_tbEUljE_EEESV_SW_SX_S14_S18_S1A_T6_T7_T9_mT8_S1C_bDpT10_ENKUlT_T0_E_clISt17integral_constantIbLb1EES1O_IbLb0EEEEDaS1K_S1L_EUlS1K_E_NS1_11comp_targetILNS1_3genE0ELNS1_11target_archE4294967295ELNS1_3gpuE0ELNS1_3repE0EEENS1_30default_config_static_selectorELNS0_4arch9wavefront6targetE1EEEvSY_
	.p2align	8
	.type	_ZN7rocprim17ROCPRIM_400000_NS6detail17trampoline_kernelINS0_13select_configILj256ELj13ELNS0_17block_load_methodE3ELS4_3ELS4_3ELNS0_20block_scan_algorithmE0ELj4294967295EEENS1_25partition_config_selectorILNS1_17partition_subalgoE3EjNS0_10empty_typeEbEEZZNS1_14partition_implILS8_3ELb0ES6_jNS0_17counting_iteratorIjlEEPS9_SE_NS0_5tupleIJPjSE_EEENSF_IJSE_SE_EEES9_SG_JZNS1_25segmented_radix_sort_implINS0_14default_configELb1EPKaPaPKlPlN2at6native12_GLOBAL__N_18offset_tEEE10hipError_tPvRmT1_PNSt15iterator_traitsISY_E10value_typeET2_T3_PNSZ_IS14_E10value_typeET4_jRbjT5_S1A_jjP12ihipStream_tbEUljE_EEESV_SW_SX_S14_S18_S1A_T6_T7_T9_mT8_S1C_bDpT10_ENKUlT_T0_E_clISt17integral_constantIbLb1EES1O_IbLb0EEEEDaS1K_S1L_EUlS1K_E_NS1_11comp_targetILNS1_3genE0ELNS1_11target_archE4294967295ELNS1_3gpuE0ELNS1_3repE0EEENS1_30default_config_static_selectorELNS0_4arch9wavefront6targetE1EEEvSY_,@function
_ZN7rocprim17ROCPRIM_400000_NS6detail17trampoline_kernelINS0_13select_configILj256ELj13ELNS0_17block_load_methodE3ELS4_3ELS4_3ELNS0_20block_scan_algorithmE0ELj4294967295EEENS1_25partition_config_selectorILNS1_17partition_subalgoE3EjNS0_10empty_typeEbEEZZNS1_14partition_implILS8_3ELb0ES6_jNS0_17counting_iteratorIjlEEPS9_SE_NS0_5tupleIJPjSE_EEENSF_IJSE_SE_EEES9_SG_JZNS1_25segmented_radix_sort_implINS0_14default_configELb1EPKaPaPKlPlN2at6native12_GLOBAL__N_18offset_tEEE10hipError_tPvRmT1_PNSt15iterator_traitsISY_E10value_typeET2_T3_PNSZ_IS14_E10value_typeET4_jRbjT5_S1A_jjP12ihipStream_tbEUljE_EEESV_SW_SX_S14_S18_S1A_T6_T7_T9_mT8_S1C_bDpT10_ENKUlT_T0_E_clISt17integral_constantIbLb1EES1O_IbLb0EEEEDaS1K_S1L_EUlS1K_E_NS1_11comp_targetILNS1_3genE0ELNS1_11target_archE4294967295ELNS1_3gpuE0ELNS1_3repE0EEENS1_30default_config_static_selectorELNS0_4arch9wavefront6targetE1EEEvSY_: ; @_ZN7rocprim17ROCPRIM_400000_NS6detail17trampoline_kernelINS0_13select_configILj256ELj13ELNS0_17block_load_methodE3ELS4_3ELS4_3ELNS0_20block_scan_algorithmE0ELj4294967295EEENS1_25partition_config_selectorILNS1_17partition_subalgoE3EjNS0_10empty_typeEbEEZZNS1_14partition_implILS8_3ELb0ES6_jNS0_17counting_iteratorIjlEEPS9_SE_NS0_5tupleIJPjSE_EEENSF_IJSE_SE_EEES9_SG_JZNS1_25segmented_radix_sort_implINS0_14default_configELb1EPKaPaPKlPlN2at6native12_GLOBAL__N_18offset_tEEE10hipError_tPvRmT1_PNSt15iterator_traitsISY_E10value_typeET2_T3_PNSZ_IS14_E10value_typeET4_jRbjT5_S1A_jjP12ihipStream_tbEUljE_EEESV_SW_SX_S14_S18_S1A_T6_T7_T9_mT8_S1C_bDpT10_ENKUlT_T0_E_clISt17integral_constantIbLb1EES1O_IbLb0EEEEDaS1K_S1L_EUlS1K_E_NS1_11comp_targetILNS1_3genE0ELNS1_11target_archE4294967295ELNS1_3gpuE0ELNS1_3repE0EEENS1_30default_config_static_selectorELNS0_4arch9wavefront6targetE1EEEvSY_
; %bb.0:
	.section	.rodata,"a",@progbits
	.p2align	6, 0x0
	.amdhsa_kernel _ZN7rocprim17ROCPRIM_400000_NS6detail17trampoline_kernelINS0_13select_configILj256ELj13ELNS0_17block_load_methodE3ELS4_3ELS4_3ELNS0_20block_scan_algorithmE0ELj4294967295EEENS1_25partition_config_selectorILNS1_17partition_subalgoE3EjNS0_10empty_typeEbEEZZNS1_14partition_implILS8_3ELb0ES6_jNS0_17counting_iteratorIjlEEPS9_SE_NS0_5tupleIJPjSE_EEENSF_IJSE_SE_EEES9_SG_JZNS1_25segmented_radix_sort_implINS0_14default_configELb1EPKaPaPKlPlN2at6native12_GLOBAL__N_18offset_tEEE10hipError_tPvRmT1_PNSt15iterator_traitsISY_E10value_typeET2_T3_PNSZ_IS14_E10value_typeET4_jRbjT5_S1A_jjP12ihipStream_tbEUljE_EEESV_SW_SX_S14_S18_S1A_T6_T7_T9_mT8_S1C_bDpT10_ENKUlT_T0_E_clISt17integral_constantIbLb1EES1O_IbLb0EEEEDaS1K_S1L_EUlS1K_E_NS1_11comp_targetILNS1_3genE0ELNS1_11target_archE4294967295ELNS1_3gpuE0ELNS1_3repE0EEENS1_30default_config_static_selectorELNS0_4arch9wavefront6targetE1EEEvSY_
		.amdhsa_group_segment_fixed_size 0
		.amdhsa_private_segment_fixed_size 0
		.amdhsa_kernarg_size 144
		.amdhsa_user_sgpr_count 6
		.amdhsa_user_sgpr_private_segment_buffer 1
		.amdhsa_user_sgpr_dispatch_ptr 0
		.amdhsa_user_sgpr_queue_ptr 0
		.amdhsa_user_sgpr_kernarg_segment_ptr 1
		.amdhsa_user_sgpr_dispatch_id 0
		.amdhsa_user_sgpr_flat_scratch_init 0
		.amdhsa_user_sgpr_private_segment_size 0
		.amdhsa_uses_dynamic_stack 0
		.amdhsa_system_sgpr_private_segment_wavefront_offset 0
		.amdhsa_system_sgpr_workgroup_id_x 1
		.amdhsa_system_sgpr_workgroup_id_y 0
		.amdhsa_system_sgpr_workgroup_id_z 0
		.amdhsa_system_sgpr_workgroup_info 0
		.amdhsa_system_vgpr_workitem_id 0
		.amdhsa_next_free_vgpr 1
		.amdhsa_next_free_sgpr 0
		.amdhsa_reserve_vcc 0
		.amdhsa_reserve_flat_scratch 0
		.amdhsa_float_round_mode_32 0
		.amdhsa_float_round_mode_16_64 0
		.amdhsa_float_denorm_mode_32 3
		.amdhsa_float_denorm_mode_16_64 3
		.amdhsa_dx10_clamp 1
		.amdhsa_ieee_mode 1
		.amdhsa_fp16_overflow 0
		.amdhsa_exception_fp_ieee_invalid_op 0
		.amdhsa_exception_fp_denorm_src 0
		.amdhsa_exception_fp_ieee_div_zero 0
		.amdhsa_exception_fp_ieee_overflow 0
		.amdhsa_exception_fp_ieee_underflow 0
		.amdhsa_exception_fp_ieee_inexact 0
		.amdhsa_exception_int_div_zero 0
	.end_amdhsa_kernel
	.section	.text._ZN7rocprim17ROCPRIM_400000_NS6detail17trampoline_kernelINS0_13select_configILj256ELj13ELNS0_17block_load_methodE3ELS4_3ELS4_3ELNS0_20block_scan_algorithmE0ELj4294967295EEENS1_25partition_config_selectorILNS1_17partition_subalgoE3EjNS0_10empty_typeEbEEZZNS1_14partition_implILS8_3ELb0ES6_jNS0_17counting_iteratorIjlEEPS9_SE_NS0_5tupleIJPjSE_EEENSF_IJSE_SE_EEES9_SG_JZNS1_25segmented_radix_sort_implINS0_14default_configELb1EPKaPaPKlPlN2at6native12_GLOBAL__N_18offset_tEEE10hipError_tPvRmT1_PNSt15iterator_traitsISY_E10value_typeET2_T3_PNSZ_IS14_E10value_typeET4_jRbjT5_S1A_jjP12ihipStream_tbEUljE_EEESV_SW_SX_S14_S18_S1A_T6_T7_T9_mT8_S1C_bDpT10_ENKUlT_T0_E_clISt17integral_constantIbLb1EES1O_IbLb0EEEEDaS1K_S1L_EUlS1K_E_NS1_11comp_targetILNS1_3genE0ELNS1_11target_archE4294967295ELNS1_3gpuE0ELNS1_3repE0EEENS1_30default_config_static_selectorELNS0_4arch9wavefront6targetE1EEEvSY_,"axG",@progbits,_ZN7rocprim17ROCPRIM_400000_NS6detail17trampoline_kernelINS0_13select_configILj256ELj13ELNS0_17block_load_methodE3ELS4_3ELS4_3ELNS0_20block_scan_algorithmE0ELj4294967295EEENS1_25partition_config_selectorILNS1_17partition_subalgoE3EjNS0_10empty_typeEbEEZZNS1_14partition_implILS8_3ELb0ES6_jNS0_17counting_iteratorIjlEEPS9_SE_NS0_5tupleIJPjSE_EEENSF_IJSE_SE_EEES9_SG_JZNS1_25segmented_radix_sort_implINS0_14default_configELb1EPKaPaPKlPlN2at6native12_GLOBAL__N_18offset_tEEE10hipError_tPvRmT1_PNSt15iterator_traitsISY_E10value_typeET2_T3_PNSZ_IS14_E10value_typeET4_jRbjT5_S1A_jjP12ihipStream_tbEUljE_EEESV_SW_SX_S14_S18_S1A_T6_T7_T9_mT8_S1C_bDpT10_ENKUlT_T0_E_clISt17integral_constantIbLb1EES1O_IbLb0EEEEDaS1K_S1L_EUlS1K_E_NS1_11comp_targetILNS1_3genE0ELNS1_11target_archE4294967295ELNS1_3gpuE0ELNS1_3repE0EEENS1_30default_config_static_selectorELNS0_4arch9wavefront6targetE1EEEvSY_,comdat
.Lfunc_end274:
	.size	_ZN7rocprim17ROCPRIM_400000_NS6detail17trampoline_kernelINS0_13select_configILj256ELj13ELNS0_17block_load_methodE3ELS4_3ELS4_3ELNS0_20block_scan_algorithmE0ELj4294967295EEENS1_25partition_config_selectorILNS1_17partition_subalgoE3EjNS0_10empty_typeEbEEZZNS1_14partition_implILS8_3ELb0ES6_jNS0_17counting_iteratorIjlEEPS9_SE_NS0_5tupleIJPjSE_EEENSF_IJSE_SE_EEES9_SG_JZNS1_25segmented_radix_sort_implINS0_14default_configELb1EPKaPaPKlPlN2at6native12_GLOBAL__N_18offset_tEEE10hipError_tPvRmT1_PNSt15iterator_traitsISY_E10value_typeET2_T3_PNSZ_IS14_E10value_typeET4_jRbjT5_S1A_jjP12ihipStream_tbEUljE_EEESV_SW_SX_S14_S18_S1A_T6_T7_T9_mT8_S1C_bDpT10_ENKUlT_T0_E_clISt17integral_constantIbLb1EES1O_IbLb0EEEEDaS1K_S1L_EUlS1K_E_NS1_11comp_targetILNS1_3genE0ELNS1_11target_archE4294967295ELNS1_3gpuE0ELNS1_3repE0EEENS1_30default_config_static_selectorELNS0_4arch9wavefront6targetE1EEEvSY_, .Lfunc_end274-_ZN7rocprim17ROCPRIM_400000_NS6detail17trampoline_kernelINS0_13select_configILj256ELj13ELNS0_17block_load_methodE3ELS4_3ELS4_3ELNS0_20block_scan_algorithmE0ELj4294967295EEENS1_25partition_config_selectorILNS1_17partition_subalgoE3EjNS0_10empty_typeEbEEZZNS1_14partition_implILS8_3ELb0ES6_jNS0_17counting_iteratorIjlEEPS9_SE_NS0_5tupleIJPjSE_EEENSF_IJSE_SE_EEES9_SG_JZNS1_25segmented_radix_sort_implINS0_14default_configELb1EPKaPaPKlPlN2at6native12_GLOBAL__N_18offset_tEEE10hipError_tPvRmT1_PNSt15iterator_traitsISY_E10value_typeET2_T3_PNSZ_IS14_E10value_typeET4_jRbjT5_S1A_jjP12ihipStream_tbEUljE_EEESV_SW_SX_S14_S18_S1A_T6_T7_T9_mT8_S1C_bDpT10_ENKUlT_T0_E_clISt17integral_constantIbLb1EES1O_IbLb0EEEEDaS1K_S1L_EUlS1K_E_NS1_11comp_targetILNS1_3genE0ELNS1_11target_archE4294967295ELNS1_3gpuE0ELNS1_3repE0EEENS1_30default_config_static_selectorELNS0_4arch9wavefront6targetE1EEEvSY_
                                        ; -- End function
	.set _ZN7rocprim17ROCPRIM_400000_NS6detail17trampoline_kernelINS0_13select_configILj256ELj13ELNS0_17block_load_methodE3ELS4_3ELS4_3ELNS0_20block_scan_algorithmE0ELj4294967295EEENS1_25partition_config_selectorILNS1_17partition_subalgoE3EjNS0_10empty_typeEbEEZZNS1_14partition_implILS8_3ELb0ES6_jNS0_17counting_iteratorIjlEEPS9_SE_NS0_5tupleIJPjSE_EEENSF_IJSE_SE_EEES9_SG_JZNS1_25segmented_radix_sort_implINS0_14default_configELb1EPKaPaPKlPlN2at6native12_GLOBAL__N_18offset_tEEE10hipError_tPvRmT1_PNSt15iterator_traitsISY_E10value_typeET2_T3_PNSZ_IS14_E10value_typeET4_jRbjT5_S1A_jjP12ihipStream_tbEUljE_EEESV_SW_SX_S14_S18_S1A_T6_T7_T9_mT8_S1C_bDpT10_ENKUlT_T0_E_clISt17integral_constantIbLb1EES1O_IbLb0EEEEDaS1K_S1L_EUlS1K_E_NS1_11comp_targetILNS1_3genE0ELNS1_11target_archE4294967295ELNS1_3gpuE0ELNS1_3repE0EEENS1_30default_config_static_selectorELNS0_4arch9wavefront6targetE1EEEvSY_.num_vgpr, 0
	.set _ZN7rocprim17ROCPRIM_400000_NS6detail17trampoline_kernelINS0_13select_configILj256ELj13ELNS0_17block_load_methodE3ELS4_3ELS4_3ELNS0_20block_scan_algorithmE0ELj4294967295EEENS1_25partition_config_selectorILNS1_17partition_subalgoE3EjNS0_10empty_typeEbEEZZNS1_14partition_implILS8_3ELb0ES6_jNS0_17counting_iteratorIjlEEPS9_SE_NS0_5tupleIJPjSE_EEENSF_IJSE_SE_EEES9_SG_JZNS1_25segmented_radix_sort_implINS0_14default_configELb1EPKaPaPKlPlN2at6native12_GLOBAL__N_18offset_tEEE10hipError_tPvRmT1_PNSt15iterator_traitsISY_E10value_typeET2_T3_PNSZ_IS14_E10value_typeET4_jRbjT5_S1A_jjP12ihipStream_tbEUljE_EEESV_SW_SX_S14_S18_S1A_T6_T7_T9_mT8_S1C_bDpT10_ENKUlT_T0_E_clISt17integral_constantIbLb1EES1O_IbLb0EEEEDaS1K_S1L_EUlS1K_E_NS1_11comp_targetILNS1_3genE0ELNS1_11target_archE4294967295ELNS1_3gpuE0ELNS1_3repE0EEENS1_30default_config_static_selectorELNS0_4arch9wavefront6targetE1EEEvSY_.num_agpr, 0
	.set _ZN7rocprim17ROCPRIM_400000_NS6detail17trampoline_kernelINS0_13select_configILj256ELj13ELNS0_17block_load_methodE3ELS4_3ELS4_3ELNS0_20block_scan_algorithmE0ELj4294967295EEENS1_25partition_config_selectorILNS1_17partition_subalgoE3EjNS0_10empty_typeEbEEZZNS1_14partition_implILS8_3ELb0ES6_jNS0_17counting_iteratorIjlEEPS9_SE_NS0_5tupleIJPjSE_EEENSF_IJSE_SE_EEES9_SG_JZNS1_25segmented_radix_sort_implINS0_14default_configELb1EPKaPaPKlPlN2at6native12_GLOBAL__N_18offset_tEEE10hipError_tPvRmT1_PNSt15iterator_traitsISY_E10value_typeET2_T3_PNSZ_IS14_E10value_typeET4_jRbjT5_S1A_jjP12ihipStream_tbEUljE_EEESV_SW_SX_S14_S18_S1A_T6_T7_T9_mT8_S1C_bDpT10_ENKUlT_T0_E_clISt17integral_constantIbLb1EES1O_IbLb0EEEEDaS1K_S1L_EUlS1K_E_NS1_11comp_targetILNS1_3genE0ELNS1_11target_archE4294967295ELNS1_3gpuE0ELNS1_3repE0EEENS1_30default_config_static_selectorELNS0_4arch9wavefront6targetE1EEEvSY_.numbered_sgpr, 0
	.set _ZN7rocprim17ROCPRIM_400000_NS6detail17trampoline_kernelINS0_13select_configILj256ELj13ELNS0_17block_load_methodE3ELS4_3ELS4_3ELNS0_20block_scan_algorithmE0ELj4294967295EEENS1_25partition_config_selectorILNS1_17partition_subalgoE3EjNS0_10empty_typeEbEEZZNS1_14partition_implILS8_3ELb0ES6_jNS0_17counting_iteratorIjlEEPS9_SE_NS0_5tupleIJPjSE_EEENSF_IJSE_SE_EEES9_SG_JZNS1_25segmented_radix_sort_implINS0_14default_configELb1EPKaPaPKlPlN2at6native12_GLOBAL__N_18offset_tEEE10hipError_tPvRmT1_PNSt15iterator_traitsISY_E10value_typeET2_T3_PNSZ_IS14_E10value_typeET4_jRbjT5_S1A_jjP12ihipStream_tbEUljE_EEESV_SW_SX_S14_S18_S1A_T6_T7_T9_mT8_S1C_bDpT10_ENKUlT_T0_E_clISt17integral_constantIbLb1EES1O_IbLb0EEEEDaS1K_S1L_EUlS1K_E_NS1_11comp_targetILNS1_3genE0ELNS1_11target_archE4294967295ELNS1_3gpuE0ELNS1_3repE0EEENS1_30default_config_static_selectorELNS0_4arch9wavefront6targetE1EEEvSY_.num_named_barrier, 0
	.set _ZN7rocprim17ROCPRIM_400000_NS6detail17trampoline_kernelINS0_13select_configILj256ELj13ELNS0_17block_load_methodE3ELS4_3ELS4_3ELNS0_20block_scan_algorithmE0ELj4294967295EEENS1_25partition_config_selectorILNS1_17partition_subalgoE3EjNS0_10empty_typeEbEEZZNS1_14partition_implILS8_3ELb0ES6_jNS0_17counting_iteratorIjlEEPS9_SE_NS0_5tupleIJPjSE_EEENSF_IJSE_SE_EEES9_SG_JZNS1_25segmented_radix_sort_implINS0_14default_configELb1EPKaPaPKlPlN2at6native12_GLOBAL__N_18offset_tEEE10hipError_tPvRmT1_PNSt15iterator_traitsISY_E10value_typeET2_T3_PNSZ_IS14_E10value_typeET4_jRbjT5_S1A_jjP12ihipStream_tbEUljE_EEESV_SW_SX_S14_S18_S1A_T6_T7_T9_mT8_S1C_bDpT10_ENKUlT_T0_E_clISt17integral_constantIbLb1EES1O_IbLb0EEEEDaS1K_S1L_EUlS1K_E_NS1_11comp_targetILNS1_3genE0ELNS1_11target_archE4294967295ELNS1_3gpuE0ELNS1_3repE0EEENS1_30default_config_static_selectorELNS0_4arch9wavefront6targetE1EEEvSY_.private_seg_size, 0
	.set _ZN7rocprim17ROCPRIM_400000_NS6detail17trampoline_kernelINS0_13select_configILj256ELj13ELNS0_17block_load_methodE3ELS4_3ELS4_3ELNS0_20block_scan_algorithmE0ELj4294967295EEENS1_25partition_config_selectorILNS1_17partition_subalgoE3EjNS0_10empty_typeEbEEZZNS1_14partition_implILS8_3ELb0ES6_jNS0_17counting_iteratorIjlEEPS9_SE_NS0_5tupleIJPjSE_EEENSF_IJSE_SE_EEES9_SG_JZNS1_25segmented_radix_sort_implINS0_14default_configELb1EPKaPaPKlPlN2at6native12_GLOBAL__N_18offset_tEEE10hipError_tPvRmT1_PNSt15iterator_traitsISY_E10value_typeET2_T3_PNSZ_IS14_E10value_typeET4_jRbjT5_S1A_jjP12ihipStream_tbEUljE_EEESV_SW_SX_S14_S18_S1A_T6_T7_T9_mT8_S1C_bDpT10_ENKUlT_T0_E_clISt17integral_constantIbLb1EES1O_IbLb0EEEEDaS1K_S1L_EUlS1K_E_NS1_11comp_targetILNS1_3genE0ELNS1_11target_archE4294967295ELNS1_3gpuE0ELNS1_3repE0EEENS1_30default_config_static_selectorELNS0_4arch9wavefront6targetE1EEEvSY_.uses_vcc, 0
	.set _ZN7rocprim17ROCPRIM_400000_NS6detail17trampoline_kernelINS0_13select_configILj256ELj13ELNS0_17block_load_methodE3ELS4_3ELS4_3ELNS0_20block_scan_algorithmE0ELj4294967295EEENS1_25partition_config_selectorILNS1_17partition_subalgoE3EjNS0_10empty_typeEbEEZZNS1_14partition_implILS8_3ELb0ES6_jNS0_17counting_iteratorIjlEEPS9_SE_NS0_5tupleIJPjSE_EEENSF_IJSE_SE_EEES9_SG_JZNS1_25segmented_radix_sort_implINS0_14default_configELb1EPKaPaPKlPlN2at6native12_GLOBAL__N_18offset_tEEE10hipError_tPvRmT1_PNSt15iterator_traitsISY_E10value_typeET2_T3_PNSZ_IS14_E10value_typeET4_jRbjT5_S1A_jjP12ihipStream_tbEUljE_EEESV_SW_SX_S14_S18_S1A_T6_T7_T9_mT8_S1C_bDpT10_ENKUlT_T0_E_clISt17integral_constantIbLb1EES1O_IbLb0EEEEDaS1K_S1L_EUlS1K_E_NS1_11comp_targetILNS1_3genE0ELNS1_11target_archE4294967295ELNS1_3gpuE0ELNS1_3repE0EEENS1_30default_config_static_selectorELNS0_4arch9wavefront6targetE1EEEvSY_.uses_flat_scratch, 0
	.set _ZN7rocprim17ROCPRIM_400000_NS6detail17trampoline_kernelINS0_13select_configILj256ELj13ELNS0_17block_load_methodE3ELS4_3ELS4_3ELNS0_20block_scan_algorithmE0ELj4294967295EEENS1_25partition_config_selectorILNS1_17partition_subalgoE3EjNS0_10empty_typeEbEEZZNS1_14partition_implILS8_3ELb0ES6_jNS0_17counting_iteratorIjlEEPS9_SE_NS0_5tupleIJPjSE_EEENSF_IJSE_SE_EEES9_SG_JZNS1_25segmented_radix_sort_implINS0_14default_configELb1EPKaPaPKlPlN2at6native12_GLOBAL__N_18offset_tEEE10hipError_tPvRmT1_PNSt15iterator_traitsISY_E10value_typeET2_T3_PNSZ_IS14_E10value_typeET4_jRbjT5_S1A_jjP12ihipStream_tbEUljE_EEESV_SW_SX_S14_S18_S1A_T6_T7_T9_mT8_S1C_bDpT10_ENKUlT_T0_E_clISt17integral_constantIbLb1EES1O_IbLb0EEEEDaS1K_S1L_EUlS1K_E_NS1_11comp_targetILNS1_3genE0ELNS1_11target_archE4294967295ELNS1_3gpuE0ELNS1_3repE0EEENS1_30default_config_static_selectorELNS0_4arch9wavefront6targetE1EEEvSY_.has_dyn_sized_stack, 0
	.set _ZN7rocprim17ROCPRIM_400000_NS6detail17trampoline_kernelINS0_13select_configILj256ELj13ELNS0_17block_load_methodE3ELS4_3ELS4_3ELNS0_20block_scan_algorithmE0ELj4294967295EEENS1_25partition_config_selectorILNS1_17partition_subalgoE3EjNS0_10empty_typeEbEEZZNS1_14partition_implILS8_3ELb0ES6_jNS0_17counting_iteratorIjlEEPS9_SE_NS0_5tupleIJPjSE_EEENSF_IJSE_SE_EEES9_SG_JZNS1_25segmented_radix_sort_implINS0_14default_configELb1EPKaPaPKlPlN2at6native12_GLOBAL__N_18offset_tEEE10hipError_tPvRmT1_PNSt15iterator_traitsISY_E10value_typeET2_T3_PNSZ_IS14_E10value_typeET4_jRbjT5_S1A_jjP12ihipStream_tbEUljE_EEESV_SW_SX_S14_S18_S1A_T6_T7_T9_mT8_S1C_bDpT10_ENKUlT_T0_E_clISt17integral_constantIbLb1EES1O_IbLb0EEEEDaS1K_S1L_EUlS1K_E_NS1_11comp_targetILNS1_3genE0ELNS1_11target_archE4294967295ELNS1_3gpuE0ELNS1_3repE0EEENS1_30default_config_static_selectorELNS0_4arch9wavefront6targetE1EEEvSY_.has_recursion, 0
	.set _ZN7rocprim17ROCPRIM_400000_NS6detail17trampoline_kernelINS0_13select_configILj256ELj13ELNS0_17block_load_methodE3ELS4_3ELS4_3ELNS0_20block_scan_algorithmE0ELj4294967295EEENS1_25partition_config_selectorILNS1_17partition_subalgoE3EjNS0_10empty_typeEbEEZZNS1_14partition_implILS8_3ELb0ES6_jNS0_17counting_iteratorIjlEEPS9_SE_NS0_5tupleIJPjSE_EEENSF_IJSE_SE_EEES9_SG_JZNS1_25segmented_radix_sort_implINS0_14default_configELb1EPKaPaPKlPlN2at6native12_GLOBAL__N_18offset_tEEE10hipError_tPvRmT1_PNSt15iterator_traitsISY_E10value_typeET2_T3_PNSZ_IS14_E10value_typeET4_jRbjT5_S1A_jjP12ihipStream_tbEUljE_EEESV_SW_SX_S14_S18_S1A_T6_T7_T9_mT8_S1C_bDpT10_ENKUlT_T0_E_clISt17integral_constantIbLb1EES1O_IbLb0EEEEDaS1K_S1L_EUlS1K_E_NS1_11comp_targetILNS1_3genE0ELNS1_11target_archE4294967295ELNS1_3gpuE0ELNS1_3repE0EEENS1_30default_config_static_selectorELNS0_4arch9wavefront6targetE1EEEvSY_.has_indirect_call, 0
	.section	.AMDGPU.csdata,"",@progbits
; Kernel info:
; codeLenInByte = 0
; TotalNumSgprs: 4
; NumVgprs: 0
; ScratchSize: 0
; MemoryBound: 0
; FloatMode: 240
; IeeeMode: 1
; LDSByteSize: 0 bytes/workgroup (compile time only)
; SGPRBlocks: 0
; VGPRBlocks: 0
; NumSGPRsForWavesPerEU: 4
; NumVGPRsForWavesPerEU: 1
; Occupancy: 10
; WaveLimiterHint : 0
; COMPUTE_PGM_RSRC2:SCRATCH_EN: 0
; COMPUTE_PGM_RSRC2:USER_SGPR: 6
; COMPUTE_PGM_RSRC2:TRAP_HANDLER: 0
; COMPUTE_PGM_RSRC2:TGID_X_EN: 1
; COMPUTE_PGM_RSRC2:TGID_Y_EN: 0
; COMPUTE_PGM_RSRC2:TGID_Z_EN: 0
; COMPUTE_PGM_RSRC2:TIDIG_COMP_CNT: 0
	.section	.text._ZN7rocprim17ROCPRIM_400000_NS6detail17trampoline_kernelINS0_13select_configILj256ELj13ELNS0_17block_load_methodE3ELS4_3ELS4_3ELNS0_20block_scan_algorithmE0ELj4294967295EEENS1_25partition_config_selectorILNS1_17partition_subalgoE3EjNS0_10empty_typeEbEEZZNS1_14partition_implILS8_3ELb0ES6_jNS0_17counting_iteratorIjlEEPS9_SE_NS0_5tupleIJPjSE_EEENSF_IJSE_SE_EEES9_SG_JZNS1_25segmented_radix_sort_implINS0_14default_configELb1EPKaPaPKlPlN2at6native12_GLOBAL__N_18offset_tEEE10hipError_tPvRmT1_PNSt15iterator_traitsISY_E10value_typeET2_T3_PNSZ_IS14_E10value_typeET4_jRbjT5_S1A_jjP12ihipStream_tbEUljE_EEESV_SW_SX_S14_S18_S1A_T6_T7_T9_mT8_S1C_bDpT10_ENKUlT_T0_E_clISt17integral_constantIbLb1EES1O_IbLb0EEEEDaS1K_S1L_EUlS1K_E_NS1_11comp_targetILNS1_3genE5ELNS1_11target_archE942ELNS1_3gpuE9ELNS1_3repE0EEENS1_30default_config_static_selectorELNS0_4arch9wavefront6targetE1EEEvSY_,"axG",@progbits,_ZN7rocprim17ROCPRIM_400000_NS6detail17trampoline_kernelINS0_13select_configILj256ELj13ELNS0_17block_load_methodE3ELS4_3ELS4_3ELNS0_20block_scan_algorithmE0ELj4294967295EEENS1_25partition_config_selectorILNS1_17partition_subalgoE3EjNS0_10empty_typeEbEEZZNS1_14partition_implILS8_3ELb0ES6_jNS0_17counting_iteratorIjlEEPS9_SE_NS0_5tupleIJPjSE_EEENSF_IJSE_SE_EEES9_SG_JZNS1_25segmented_radix_sort_implINS0_14default_configELb1EPKaPaPKlPlN2at6native12_GLOBAL__N_18offset_tEEE10hipError_tPvRmT1_PNSt15iterator_traitsISY_E10value_typeET2_T3_PNSZ_IS14_E10value_typeET4_jRbjT5_S1A_jjP12ihipStream_tbEUljE_EEESV_SW_SX_S14_S18_S1A_T6_T7_T9_mT8_S1C_bDpT10_ENKUlT_T0_E_clISt17integral_constantIbLb1EES1O_IbLb0EEEEDaS1K_S1L_EUlS1K_E_NS1_11comp_targetILNS1_3genE5ELNS1_11target_archE942ELNS1_3gpuE9ELNS1_3repE0EEENS1_30default_config_static_selectorELNS0_4arch9wavefront6targetE1EEEvSY_,comdat
	.globl	_ZN7rocprim17ROCPRIM_400000_NS6detail17trampoline_kernelINS0_13select_configILj256ELj13ELNS0_17block_load_methodE3ELS4_3ELS4_3ELNS0_20block_scan_algorithmE0ELj4294967295EEENS1_25partition_config_selectorILNS1_17partition_subalgoE3EjNS0_10empty_typeEbEEZZNS1_14partition_implILS8_3ELb0ES6_jNS0_17counting_iteratorIjlEEPS9_SE_NS0_5tupleIJPjSE_EEENSF_IJSE_SE_EEES9_SG_JZNS1_25segmented_radix_sort_implINS0_14default_configELb1EPKaPaPKlPlN2at6native12_GLOBAL__N_18offset_tEEE10hipError_tPvRmT1_PNSt15iterator_traitsISY_E10value_typeET2_T3_PNSZ_IS14_E10value_typeET4_jRbjT5_S1A_jjP12ihipStream_tbEUljE_EEESV_SW_SX_S14_S18_S1A_T6_T7_T9_mT8_S1C_bDpT10_ENKUlT_T0_E_clISt17integral_constantIbLb1EES1O_IbLb0EEEEDaS1K_S1L_EUlS1K_E_NS1_11comp_targetILNS1_3genE5ELNS1_11target_archE942ELNS1_3gpuE9ELNS1_3repE0EEENS1_30default_config_static_selectorELNS0_4arch9wavefront6targetE1EEEvSY_ ; -- Begin function _ZN7rocprim17ROCPRIM_400000_NS6detail17trampoline_kernelINS0_13select_configILj256ELj13ELNS0_17block_load_methodE3ELS4_3ELS4_3ELNS0_20block_scan_algorithmE0ELj4294967295EEENS1_25partition_config_selectorILNS1_17partition_subalgoE3EjNS0_10empty_typeEbEEZZNS1_14partition_implILS8_3ELb0ES6_jNS0_17counting_iteratorIjlEEPS9_SE_NS0_5tupleIJPjSE_EEENSF_IJSE_SE_EEES9_SG_JZNS1_25segmented_radix_sort_implINS0_14default_configELb1EPKaPaPKlPlN2at6native12_GLOBAL__N_18offset_tEEE10hipError_tPvRmT1_PNSt15iterator_traitsISY_E10value_typeET2_T3_PNSZ_IS14_E10value_typeET4_jRbjT5_S1A_jjP12ihipStream_tbEUljE_EEESV_SW_SX_S14_S18_S1A_T6_T7_T9_mT8_S1C_bDpT10_ENKUlT_T0_E_clISt17integral_constantIbLb1EES1O_IbLb0EEEEDaS1K_S1L_EUlS1K_E_NS1_11comp_targetILNS1_3genE5ELNS1_11target_archE942ELNS1_3gpuE9ELNS1_3repE0EEENS1_30default_config_static_selectorELNS0_4arch9wavefront6targetE1EEEvSY_
	.p2align	8
	.type	_ZN7rocprim17ROCPRIM_400000_NS6detail17trampoline_kernelINS0_13select_configILj256ELj13ELNS0_17block_load_methodE3ELS4_3ELS4_3ELNS0_20block_scan_algorithmE0ELj4294967295EEENS1_25partition_config_selectorILNS1_17partition_subalgoE3EjNS0_10empty_typeEbEEZZNS1_14partition_implILS8_3ELb0ES6_jNS0_17counting_iteratorIjlEEPS9_SE_NS0_5tupleIJPjSE_EEENSF_IJSE_SE_EEES9_SG_JZNS1_25segmented_radix_sort_implINS0_14default_configELb1EPKaPaPKlPlN2at6native12_GLOBAL__N_18offset_tEEE10hipError_tPvRmT1_PNSt15iterator_traitsISY_E10value_typeET2_T3_PNSZ_IS14_E10value_typeET4_jRbjT5_S1A_jjP12ihipStream_tbEUljE_EEESV_SW_SX_S14_S18_S1A_T6_T7_T9_mT8_S1C_bDpT10_ENKUlT_T0_E_clISt17integral_constantIbLb1EES1O_IbLb0EEEEDaS1K_S1L_EUlS1K_E_NS1_11comp_targetILNS1_3genE5ELNS1_11target_archE942ELNS1_3gpuE9ELNS1_3repE0EEENS1_30default_config_static_selectorELNS0_4arch9wavefront6targetE1EEEvSY_,@function
_ZN7rocprim17ROCPRIM_400000_NS6detail17trampoline_kernelINS0_13select_configILj256ELj13ELNS0_17block_load_methodE3ELS4_3ELS4_3ELNS0_20block_scan_algorithmE0ELj4294967295EEENS1_25partition_config_selectorILNS1_17partition_subalgoE3EjNS0_10empty_typeEbEEZZNS1_14partition_implILS8_3ELb0ES6_jNS0_17counting_iteratorIjlEEPS9_SE_NS0_5tupleIJPjSE_EEENSF_IJSE_SE_EEES9_SG_JZNS1_25segmented_radix_sort_implINS0_14default_configELb1EPKaPaPKlPlN2at6native12_GLOBAL__N_18offset_tEEE10hipError_tPvRmT1_PNSt15iterator_traitsISY_E10value_typeET2_T3_PNSZ_IS14_E10value_typeET4_jRbjT5_S1A_jjP12ihipStream_tbEUljE_EEESV_SW_SX_S14_S18_S1A_T6_T7_T9_mT8_S1C_bDpT10_ENKUlT_T0_E_clISt17integral_constantIbLb1EES1O_IbLb0EEEEDaS1K_S1L_EUlS1K_E_NS1_11comp_targetILNS1_3genE5ELNS1_11target_archE942ELNS1_3gpuE9ELNS1_3repE0EEENS1_30default_config_static_selectorELNS0_4arch9wavefront6targetE1EEEvSY_: ; @_ZN7rocprim17ROCPRIM_400000_NS6detail17trampoline_kernelINS0_13select_configILj256ELj13ELNS0_17block_load_methodE3ELS4_3ELS4_3ELNS0_20block_scan_algorithmE0ELj4294967295EEENS1_25partition_config_selectorILNS1_17partition_subalgoE3EjNS0_10empty_typeEbEEZZNS1_14partition_implILS8_3ELb0ES6_jNS0_17counting_iteratorIjlEEPS9_SE_NS0_5tupleIJPjSE_EEENSF_IJSE_SE_EEES9_SG_JZNS1_25segmented_radix_sort_implINS0_14default_configELb1EPKaPaPKlPlN2at6native12_GLOBAL__N_18offset_tEEE10hipError_tPvRmT1_PNSt15iterator_traitsISY_E10value_typeET2_T3_PNSZ_IS14_E10value_typeET4_jRbjT5_S1A_jjP12ihipStream_tbEUljE_EEESV_SW_SX_S14_S18_S1A_T6_T7_T9_mT8_S1C_bDpT10_ENKUlT_T0_E_clISt17integral_constantIbLb1EES1O_IbLb0EEEEDaS1K_S1L_EUlS1K_E_NS1_11comp_targetILNS1_3genE5ELNS1_11target_archE942ELNS1_3gpuE9ELNS1_3repE0EEENS1_30default_config_static_selectorELNS0_4arch9wavefront6targetE1EEEvSY_
; %bb.0:
	.section	.rodata,"a",@progbits
	.p2align	6, 0x0
	.amdhsa_kernel _ZN7rocprim17ROCPRIM_400000_NS6detail17trampoline_kernelINS0_13select_configILj256ELj13ELNS0_17block_load_methodE3ELS4_3ELS4_3ELNS0_20block_scan_algorithmE0ELj4294967295EEENS1_25partition_config_selectorILNS1_17partition_subalgoE3EjNS0_10empty_typeEbEEZZNS1_14partition_implILS8_3ELb0ES6_jNS0_17counting_iteratorIjlEEPS9_SE_NS0_5tupleIJPjSE_EEENSF_IJSE_SE_EEES9_SG_JZNS1_25segmented_radix_sort_implINS0_14default_configELb1EPKaPaPKlPlN2at6native12_GLOBAL__N_18offset_tEEE10hipError_tPvRmT1_PNSt15iterator_traitsISY_E10value_typeET2_T3_PNSZ_IS14_E10value_typeET4_jRbjT5_S1A_jjP12ihipStream_tbEUljE_EEESV_SW_SX_S14_S18_S1A_T6_T7_T9_mT8_S1C_bDpT10_ENKUlT_T0_E_clISt17integral_constantIbLb1EES1O_IbLb0EEEEDaS1K_S1L_EUlS1K_E_NS1_11comp_targetILNS1_3genE5ELNS1_11target_archE942ELNS1_3gpuE9ELNS1_3repE0EEENS1_30default_config_static_selectorELNS0_4arch9wavefront6targetE1EEEvSY_
		.amdhsa_group_segment_fixed_size 0
		.amdhsa_private_segment_fixed_size 0
		.amdhsa_kernarg_size 144
		.amdhsa_user_sgpr_count 6
		.amdhsa_user_sgpr_private_segment_buffer 1
		.amdhsa_user_sgpr_dispatch_ptr 0
		.amdhsa_user_sgpr_queue_ptr 0
		.amdhsa_user_sgpr_kernarg_segment_ptr 1
		.amdhsa_user_sgpr_dispatch_id 0
		.amdhsa_user_sgpr_flat_scratch_init 0
		.amdhsa_user_sgpr_private_segment_size 0
		.amdhsa_uses_dynamic_stack 0
		.amdhsa_system_sgpr_private_segment_wavefront_offset 0
		.amdhsa_system_sgpr_workgroup_id_x 1
		.amdhsa_system_sgpr_workgroup_id_y 0
		.amdhsa_system_sgpr_workgroup_id_z 0
		.amdhsa_system_sgpr_workgroup_info 0
		.amdhsa_system_vgpr_workitem_id 0
		.amdhsa_next_free_vgpr 1
		.amdhsa_next_free_sgpr 0
		.amdhsa_reserve_vcc 0
		.amdhsa_reserve_flat_scratch 0
		.amdhsa_float_round_mode_32 0
		.amdhsa_float_round_mode_16_64 0
		.amdhsa_float_denorm_mode_32 3
		.amdhsa_float_denorm_mode_16_64 3
		.amdhsa_dx10_clamp 1
		.amdhsa_ieee_mode 1
		.amdhsa_fp16_overflow 0
		.amdhsa_exception_fp_ieee_invalid_op 0
		.amdhsa_exception_fp_denorm_src 0
		.amdhsa_exception_fp_ieee_div_zero 0
		.amdhsa_exception_fp_ieee_overflow 0
		.amdhsa_exception_fp_ieee_underflow 0
		.amdhsa_exception_fp_ieee_inexact 0
		.amdhsa_exception_int_div_zero 0
	.end_amdhsa_kernel
	.section	.text._ZN7rocprim17ROCPRIM_400000_NS6detail17trampoline_kernelINS0_13select_configILj256ELj13ELNS0_17block_load_methodE3ELS4_3ELS4_3ELNS0_20block_scan_algorithmE0ELj4294967295EEENS1_25partition_config_selectorILNS1_17partition_subalgoE3EjNS0_10empty_typeEbEEZZNS1_14partition_implILS8_3ELb0ES6_jNS0_17counting_iteratorIjlEEPS9_SE_NS0_5tupleIJPjSE_EEENSF_IJSE_SE_EEES9_SG_JZNS1_25segmented_radix_sort_implINS0_14default_configELb1EPKaPaPKlPlN2at6native12_GLOBAL__N_18offset_tEEE10hipError_tPvRmT1_PNSt15iterator_traitsISY_E10value_typeET2_T3_PNSZ_IS14_E10value_typeET4_jRbjT5_S1A_jjP12ihipStream_tbEUljE_EEESV_SW_SX_S14_S18_S1A_T6_T7_T9_mT8_S1C_bDpT10_ENKUlT_T0_E_clISt17integral_constantIbLb1EES1O_IbLb0EEEEDaS1K_S1L_EUlS1K_E_NS1_11comp_targetILNS1_3genE5ELNS1_11target_archE942ELNS1_3gpuE9ELNS1_3repE0EEENS1_30default_config_static_selectorELNS0_4arch9wavefront6targetE1EEEvSY_,"axG",@progbits,_ZN7rocprim17ROCPRIM_400000_NS6detail17trampoline_kernelINS0_13select_configILj256ELj13ELNS0_17block_load_methodE3ELS4_3ELS4_3ELNS0_20block_scan_algorithmE0ELj4294967295EEENS1_25partition_config_selectorILNS1_17partition_subalgoE3EjNS0_10empty_typeEbEEZZNS1_14partition_implILS8_3ELb0ES6_jNS0_17counting_iteratorIjlEEPS9_SE_NS0_5tupleIJPjSE_EEENSF_IJSE_SE_EEES9_SG_JZNS1_25segmented_radix_sort_implINS0_14default_configELb1EPKaPaPKlPlN2at6native12_GLOBAL__N_18offset_tEEE10hipError_tPvRmT1_PNSt15iterator_traitsISY_E10value_typeET2_T3_PNSZ_IS14_E10value_typeET4_jRbjT5_S1A_jjP12ihipStream_tbEUljE_EEESV_SW_SX_S14_S18_S1A_T6_T7_T9_mT8_S1C_bDpT10_ENKUlT_T0_E_clISt17integral_constantIbLb1EES1O_IbLb0EEEEDaS1K_S1L_EUlS1K_E_NS1_11comp_targetILNS1_3genE5ELNS1_11target_archE942ELNS1_3gpuE9ELNS1_3repE0EEENS1_30default_config_static_selectorELNS0_4arch9wavefront6targetE1EEEvSY_,comdat
.Lfunc_end275:
	.size	_ZN7rocprim17ROCPRIM_400000_NS6detail17trampoline_kernelINS0_13select_configILj256ELj13ELNS0_17block_load_methodE3ELS4_3ELS4_3ELNS0_20block_scan_algorithmE0ELj4294967295EEENS1_25partition_config_selectorILNS1_17partition_subalgoE3EjNS0_10empty_typeEbEEZZNS1_14partition_implILS8_3ELb0ES6_jNS0_17counting_iteratorIjlEEPS9_SE_NS0_5tupleIJPjSE_EEENSF_IJSE_SE_EEES9_SG_JZNS1_25segmented_radix_sort_implINS0_14default_configELb1EPKaPaPKlPlN2at6native12_GLOBAL__N_18offset_tEEE10hipError_tPvRmT1_PNSt15iterator_traitsISY_E10value_typeET2_T3_PNSZ_IS14_E10value_typeET4_jRbjT5_S1A_jjP12ihipStream_tbEUljE_EEESV_SW_SX_S14_S18_S1A_T6_T7_T9_mT8_S1C_bDpT10_ENKUlT_T0_E_clISt17integral_constantIbLb1EES1O_IbLb0EEEEDaS1K_S1L_EUlS1K_E_NS1_11comp_targetILNS1_3genE5ELNS1_11target_archE942ELNS1_3gpuE9ELNS1_3repE0EEENS1_30default_config_static_selectorELNS0_4arch9wavefront6targetE1EEEvSY_, .Lfunc_end275-_ZN7rocprim17ROCPRIM_400000_NS6detail17trampoline_kernelINS0_13select_configILj256ELj13ELNS0_17block_load_methodE3ELS4_3ELS4_3ELNS0_20block_scan_algorithmE0ELj4294967295EEENS1_25partition_config_selectorILNS1_17partition_subalgoE3EjNS0_10empty_typeEbEEZZNS1_14partition_implILS8_3ELb0ES6_jNS0_17counting_iteratorIjlEEPS9_SE_NS0_5tupleIJPjSE_EEENSF_IJSE_SE_EEES9_SG_JZNS1_25segmented_radix_sort_implINS0_14default_configELb1EPKaPaPKlPlN2at6native12_GLOBAL__N_18offset_tEEE10hipError_tPvRmT1_PNSt15iterator_traitsISY_E10value_typeET2_T3_PNSZ_IS14_E10value_typeET4_jRbjT5_S1A_jjP12ihipStream_tbEUljE_EEESV_SW_SX_S14_S18_S1A_T6_T7_T9_mT8_S1C_bDpT10_ENKUlT_T0_E_clISt17integral_constantIbLb1EES1O_IbLb0EEEEDaS1K_S1L_EUlS1K_E_NS1_11comp_targetILNS1_3genE5ELNS1_11target_archE942ELNS1_3gpuE9ELNS1_3repE0EEENS1_30default_config_static_selectorELNS0_4arch9wavefront6targetE1EEEvSY_
                                        ; -- End function
	.set _ZN7rocprim17ROCPRIM_400000_NS6detail17trampoline_kernelINS0_13select_configILj256ELj13ELNS0_17block_load_methodE3ELS4_3ELS4_3ELNS0_20block_scan_algorithmE0ELj4294967295EEENS1_25partition_config_selectorILNS1_17partition_subalgoE3EjNS0_10empty_typeEbEEZZNS1_14partition_implILS8_3ELb0ES6_jNS0_17counting_iteratorIjlEEPS9_SE_NS0_5tupleIJPjSE_EEENSF_IJSE_SE_EEES9_SG_JZNS1_25segmented_radix_sort_implINS0_14default_configELb1EPKaPaPKlPlN2at6native12_GLOBAL__N_18offset_tEEE10hipError_tPvRmT1_PNSt15iterator_traitsISY_E10value_typeET2_T3_PNSZ_IS14_E10value_typeET4_jRbjT5_S1A_jjP12ihipStream_tbEUljE_EEESV_SW_SX_S14_S18_S1A_T6_T7_T9_mT8_S1C_bDpT10_ENKUlT_T0_E_clISt17integral_constantIbLb1EES1O_IbLb0EEEEDaS1K_S1L_EUlS1K_E_NS1_11comp_targetILNS1_3genE5ELNS1_11target_archE942ELNS1_3gpuE9ELNS1_3repE0EEENS1_30default_config_static_selectorELNS0_4arch9wavefront6targetE1EEEvSY_.num_vgpr, 0
	.set _ZN7rocprim17ROCPRIM_400000_NS6detail17trampoline_kernelINS0_13select_configILj256ELj13ELNS0_17block_load_methodE3ELS4_3ELS4_3ELNS0_20block_scan_algorithmE0ELj4294967295EEENS1_25partition_config_selectorILNS1_17partition_subalgoE3EjNS0_10empty_typeEbEEZZNS1_14partition_implILS8_3ELb0ES6_jNS0_17counting_iteratorIjlEEPS9_SE_NS0_5tupleIJPjSE_EEENSF_IJSE_SE_EEES9_SG_JZNS1_25segmented_radix_sort_implINS0_14default_configELb1EPKaPaPKlPlN2at6native12_GLOBAL__N_18offset_tEEE10hipError_tPvRmT1_PNSt15iterator_traitsISY_E10value_typeET2_T3_PNSZ_IS14_E10value_typeET4_jRbjT5_S1A_jjP12ihipStream_tbEUljE_EEESV_SW_SX_S14_S18_S1A_T6_T7_T9_mT8_S1C_bDpT10_ENKUlT_T0_E_clISt17integral_constantIbLb1EES1O_IbLb0EEEEDaS1K_S1L_EUlS1K_E_NS1_11comp_targetILNS1_3genE5ELNS1_11target_archE942ELNS1_3gpuE9ELNS1_3repE0EEENS1_30default_config_static_selectorELNS0_4arch9wavefront6targetE1EEEvSY_.num_agpr, 0
	.set _ZN7rocprim17ROCPRIM_400000_NS6detail17trampoline_kernelINS0_13select_configILj256ELj13ELNS0_17block_load_methodE3ELS4_3ELS4_3ELNS0_20block_scan_algorithmE0ELj4294967295EEENS1_25partition_config_selectorILNS1_17partition_subalgoE3EjNS0_10empty_typeEbEEZZNS1_14partition_implILS8_3ELb0ES6_jNS0_17counting_iteratorIjlEEPS9_SE_NS0_5tupleIJPjSE_EEENSF_IJSE_SE_EEES9_SG_JZNS1_25segmented_radix_sort_implINS0_14default_configELb1EPKaPaPKlPlN2at6native12_GLOBAL__N_18offset_tEEE10hipError_tPvRmT1_PNSt15iterator_traitsISY_E10value_typeET2_T3_PNSZ_IS14_E10value_typeET4_jRbjT5_S1A_jjP12ihipStream_tbEUljE_EEESV_SW_SX_S14_S18_S1A_T6_T7_T9_mT8_S1C_bDpT10_ENKUlT_T0_E_clISt17integral_constantIbLb1EES1O_IbLb0EEEEDaS1K_S1L_EUlS1K_E_NS1_11comp_targetILNS1_3genE5ELNS1_11target_archE942ELNS1_3gpuE9ELNS1_3repE0EEENS1_30default_config_static_selectorELNS0_4arch9wavefront6targetE1EEEvSY_.numbered_sgpr, 0
	.set _ZN7rocprim17ROCPRIM_400000_NS6detail17trampoline_kernelINS0_13select_configILj256ELj13ELNS0_17block_load_methodE3ELS4_3ELS4_3ELNS0_20block_scan_algorithmE0ELj4294967295EEENS1_25partition_config_selectorILNS1_17partition_subalgoE3EjNS0_10empty_typeEbEEZZNS1_14partition_implILS8_3ELb0ES6_jNS0_17counting_iteratorIjlEEPS9_SE_NS0_5tupleIJPjSE_EEENSF_IJSE_SE_EEES9_SG_JZNS1_25segmented_radix_sort_implINS0_14default_configELb1EPKaPaPKlPlN2at6native12_GLOBAL__N_18offset_tEEE10hipError_tPvRmT1_PNSt15iterator_traitsISY_E10value_typeET2_T3_PNSZ_IS14_E10value_typeET4_jRbjT5_S1A_jjP12ihipStream_tbEUljE_EEESV_SW_SX_S14_S18_S1A_T6_T7_T9_mT8_S1C_bDpT10_ENKUlT_T0_E_clISt17integral_constantIbLb1EES1O_IbLb0EEEEDaS1K_S1L_EUlS1K_E_NS1_11comp_targetILNS1_3genE5ELNS1_11target_archE942ELNS1_3gpuE9ELNS1_3repE0EEENS1_30default_config_static_selectorELNS0_4arch9wavefront6targetE1EEEvSY_.num_named_barrier, 0
	.set _ZN7rocprim17ROCPRIM_400000_NS6detail17trampoline_kernelINS0_13select_configILj256ELj13ELNS0_17block_load_methodE3ELS4_3ELS4_3ELNS0_20block_scan_algorithmE0ELj4294967295EEENS1_25partition_config_selectorILNS1_17partition_subalgoE3EjNS0_10empty_typeEbEEZZNS1_14partition_implILS8_3ELb0ES6_jNS0_17counting_iteratorIjlEEPS9_SE_NS0_5tupleIJPjSE_EEENSF_IJSE_SE_EEES9_SG_JZNS1_25segmented_radix_sort_implINS0_14default_configELb1EPKaPaPKlPlN2at6native12_GLOBAL__N_18offset_tEEE10hipError_tPvRmT1_PNSt15iterator_traitsISY_E10value_typeET2_T3_PNSZ_IS14_E10value_typeET4_jRbjT5_S1A_jjP12ihipStream_tbEUljE_EEESV_SW_SX_S14_S18_S1A_T6_T7_T9_mT8_S1C_bDpT10_ENKUlT_T0_E_clISt17integral_constantIbLb1EES1O_IbLb0EEEEDaS1K_S1L_EUlS1K_E_NS1_11comp_targetILNS1_3genE5ELNS1_11target_archE942ELNS1_3gpuE9ELNS1_3repE0EEENS1_30default_config_static_selectorELNS0_4arch9wavefront6targetE1EEEvSY_.private_seg_size, 0
	.set _ZN7rocprim17ROCPRIM_400000_NS6detail17trampoline_kernelINS0_13select_configILj256ELj13ELNS0_17block_load_methodE3ELS4_3ELS4_3ELNS0_20block_scan_algorithmE0ELj4294967295EEENS1_25partition_config_selectorILNS1_17partition_subalgoE3EjNS0_10empty_typeEbEEZZNS1_14partition_implILS8_3ELb0ES6_jNS0_17counting_iteratorIjlEEPS9_SE_NS0_5tupleIJPjSE_EEENSF_IJSE_SE_EEES9_SG_JZNS1_25segmented_radix_sort_implINS0_14default_configELb1EPKaPaPKlPlN2at6native12_GLOBAL__N_18offset_tEEE10hipError_tPvRmT1_PNSt15iterator_traitsISY_E10value_typeET2_T3_PNSZ_IS14_E10value_typeET4_jRbjT5_S1A_jjP12ihipStream_tbEUljE_EEESV_SW_SX_S14_S18_S1A_T6_T7_T9_mT8_S1C_bDpT10_ENKUlT_T0_E_clISt17integral_constantIbLb1EES1O_IbLb0EEEEDaS1K_S1L_EUlS1K_E_NS1_11comp_targetILNS1_3genE5ELNS1_11target_archE942ELNS1_3gpuE9ELNS1_3repE0EEENS1_30default_config_static_selectorELNS0_4arch9wavefront6targetE1EEEvSY_.uses_vcc, 0
	.set _ZN7rocprim17ROCPRIM_400000_NS6detail17trampoline_kernelINS0_13select_configILj256ELj13ELNS0_17block_load_methodE3ELS4_3ELS4_3ELNS0_20block_scan_algorithmE0ELj4294967295EEENS1_25partition_config_selectorILNS1_17partition_subalgoE3EjNS0_10empty_typeEbEEZZNS1_14partition_implILS8_3ELb0ES6_jNS0_17counting_iteratorIjlEEPS9_SE_NS0_5tupleIJPjSE_EEENSF_IJSE_SE_EEES9_SG_JZNS1_25segmented_radix_sort_implINS0_14default_configELb1EPKaPaPKlPlN2at6native12_GLOBAL__N_18offset_tEEE10hipError_tPvRmT1_PNSt15iterator_traitsISY_E10value_typeET2_T3_PNSZ_IS14_E10value_typeET4_jRbjT5_S1A_jjP12ihipStream_tbEUljE_EEESV_SW_SX_S14_S18_S1A_T6_T7_T9_mT8_S1C_bDpT10_ENKUlT_T0_E_clISt17integral_constantIbLb1EES1O_IbLb0EEEEDaS1K_S1L_EUlS1K_E_NS1_11comp_targetILNS1_3genE5ELNS1_11target_archE942ELNS1_3gpuE9ELNS1_3repE0EEENS1_30default_config_static_selectorELNS0_4arch9wavefront6targetE1EEEvSY_.uses_flat_scratch, 0
	.set _ZN7rocprim17ROCPRIM_400000_NS6detail17trampoline_kernelINS0_13select_configILj256ELj13ELNS0_17block_load_methodE3ELS4_3ELS4_3ELNS0_20block_scan_algorithmE0ELj4294967295EEENS1_25partition_config_selectorILNS1_17partition_subalgoE3EjNS0_10empty_typeEbEEZZNS1_14partition_implILS8_3ELb0ES6_jNS0_17counting_iteratorIjlEEPS9_SE_NS0_5tupleIJPjSE_EEENSF_IJSE_SE_EEES9_SG_JZNS1_25segmented_radix_sort_implINS0_14default_configELb1EPKaPaPKlPlN2at6native12_GLOBAL__N_18offset_tEEE10hipError_tPvRmT1_PNSt15iterator_traitsISY_E10value_typeET2_T3_PNSZ_IS14_E10value_typeET4_jRbjT5_S1A_jjP12ihipStream_tbEUljE_EEESV_SW_SX_S14_S18_S1A_T6_T7_T9_mT8_S1C_bDpT10_ENKUlT_T0_E_clISt17integral_constantIbLb1EES1O_IbLb0EEEEDaS1K_S1L_EUlS1K_E_NS1_11comp_targetILNS1_3genE5ELNS1_11target_archE942ELNS1_3gpuE9ELNS1_3repE0EEENS1_30default_config_static_selectorELNS0_4arch9wavefront6targetE1EEEvSY_.has_dyn_sized_stack, 0
	.set _ZN7rocprim17ROCPRIM_400000_NS6detail17trampoline_kernelINS0_13select_configILj256ELj13ELNS0_17block_load_methodE3ELS4_3ELS4_3ELNS0_20block_scan_algorithmE0ELj4294967295EEENS1_25partition_config_selectorILNS1_17partition_subalgoE3EjNS0_10empty_typeEbEEZZNS1_14partition_implILS8_3ELb0ES6_jNS0_17counting_iteratorIjlEEPS9_SE_NS0_5tupleIJPjSE_EEENSF_IJSE_SE_EEES9_SG_JZNS1_25segmented_radix_sort_implINS0_14default_configELb1EPKaPaPKlPlN2at6native12_GLOBAL__N_18offset_tEEE10hipError_tPvRmT1_PNSt15iterator_traitsISY_E10value_typeET2_T3_PNSZ_IS14_E10value_typeET4_jRbjT5_S1A_jjP12ihipStream_tbEUljE_EEESV_SW_SX_S14_S18_S1A_T6_T7_T9_mT8_S1C_bDpT10_ENKUlT_T0_E_clISt17integral_constantIbLb1EES1O_IbLb0EEEEDaS1K_S1L_EUlS1K_E_NS1_11comp_targetILNS1_3genE5ELNS1_11target_archE942ELNS1_3gpuE9ELNS1_3repE0EEENS1_30default_config_static_selectorELNS0_4arch9wavefront6targetE1EEEvSY_.has_recursion, 0
	.set _ZN7rocprim17ROCPRIM_400000_NS6detail17trampoline_kernelINS0_13select_configILj256ELj13ELNS0_17block_load_methodE3ELS4_3ELS4_3ELNS0_20block_scan_algorithmE0ELj4294967295EEENS1_25partition_config_selectorILNS1_17partition_subalgoE3EjNS0_10empty_typeEbEEZZNS1_14partition_implILS8_3ELb0ES6_jNS0_17counting_iteratorIjlEEPS9_SE_NS0_5tupleIJPjSE_EEENSF_IJSE_SE_EEES9_SG_JZNS1_25segmented_radix_sort_implINS0_14default_configELb1EPKaPaPKlPlN2at6native12_GLOBAL__N_18offset_tEEE10hipError_tPvRmT1_PNSt15iterator_traitsISY_E10value_typeET2_T3_PNSZ_IS14_E10value_typeET4_jRbjT5_S1A_jjP12ihipStream_tbEUljE_EEESV_SW_SX_S14_S18_S1A_T6_T7_T9_mT8_S1C_bDpT10_ENKUlT_T0_E_clISt17integral_constantIbLb1EES1O_IbLb0EEEEDaS1K_S1L_EUlS1K_E_NS1_11comp_targetILNS1_3genE5ELNS1_11target_archE942ELNS1_3gpuE9ELNS1_3repE0EEENS1_30default_config_static_selectorELNS0_4arch9wavefront6targetE1EEEvSY_.has_indirect_call, 0
	.section	.AMDGPU.csdata,"",@progbits
; Kernel info:
; codeLenInByte = 0
; TotalNumSgprs: 4
; NumVgprs: 0
; ScratchSize: 0
; MemoryBound: 0
; FloatMode: 240
; IeeeMode: 1
; LDSByteSize: 0 bytes/workgroup (compile time only)
; SGPRBlocks: 0
; VGPRBlocks: 0
; NumSGPRsForWavesPerEU: 4
; NumVGPRsForWavesPerEU: 1
; Occupancy: 10
; WaveLimiterHint : 0
; COMPUTE_PGM_RSRC2:SCRATCH_EN: 0
; COMPUTE_PGM_RSRC2:USER_SGPR: 6
; COMPUTE_PGM_RSRC2:TRAP_HANDLER: 0
; COMPUTE_PGM_RSRC2:TGID_X_EN: 1
; COMPUTE_PGM_RSRC2:TGID_Y_EN: 0
; COMPUTE_PGM_RSRC2:TGID_Z_EN: 0
; COMPUTE_PGM_RSRC2:TIDIG_COMP_CNT: 0
	.section	.text._ZN7rocprim17ROCPRIM_400000_NS6detail17trampoline_kernelINS0_13select_configILj256ELj13ELNS0_17block_load_methodE3ELS4_3ELS4_3ELNS0_20block_scan_algorithmE0ELj4294967295EEENS1_25partition_config_selectorILNS1_17partition_subalgoE3EjNS0_10empty_typeEbEEZZNS1_14partition_implILS8_3ELb0ES6_jNS0_17counting_iteratorIjlEEPS9_SE_NS0_5tupleIJPjSE_EEENSF_IJSE_SE_EEES9_SG_JZNS1_25segmented_radix_sort_implINS0_14default_configELb1EPKaPaPKlPlN2at6native12_GLOBAL__N_18offset_tEEE10hipError_tPvRmT1_PNSt15iterator_traitsISY_E10value_typeET2_T3_PNSZ_IS14_E10value_typeET4_jRbjT5_S1A_jjP12ihipStream_tbEUljE_EEESV_SW_SX_S14_S18_S1A_T6_T7_T9_mT8_S1C_bDpT10_ENKUlT_T0_E_clISt17integral_constantIbLb1EES1O_IbLb0EEEEDaS1K_S1L_EUlS1K_E_NS1_11comp_targetILNS1_3genE4ELNS1_11target_archE910ELNS1_3gpuE8ELNS1_3repE0EEENS1_30default_config_static_selectorELNS0_4arch9wavefront6targetE1EEEvSY_,"axG",@progbits,_ZN7rocprim17ROCPRIM_400000_NS6detail17trampoline_kernelINS0_13select_configILj256ELj13ELNS0_17block_load_methodE3ELS4_3ELS4_3ELNS0_20block_scan_algorithmE0ELj4294967295EEENS1_25partition_config_selectorILNS1_17partition_subalgoE3EjNS0_10empty_typeEbEEZZNS1_14partition_implILS8_3ELb0ES6_jNS0_17counting_iteratorIjlEEPS9_SE_NS0_5tupleIJPjSE_EEENSF_IJSE_SE_EEES9_SG_JZNS1_25segmented_radix_sort_implINS0_14default_configELb1EPKaPaPKlPlN2at6native12_GLOBAL__N_18offset_tEEE10hipError_tPvRmT1_PNSt15iterator_traitsISY_E10value_typeET2_T3_PNSZ_IS14_E10value_typeET4_jRbjT5_S1A_jjP12ihipStream_tbEUljE_EEESV_SW_SX_S14_S18_S1A_T6_T7_T9_mT8_S1C_bDpT10_ENKUlT_T0_E_clISt17integral_constantIbLb1EES1O_IbLb0EEEEDaS1K_S1L_EUlS1K_E_NS1_11comp_targetILNS1_3genE4ELNS1_11target_archE910ELNS1_3gpuE8ELNS1_3repE0EEENS1_30default_config_static_selectorELNS0_4arch9wavefront6targetE1EEEvSY_,comdat
	.globl	_ZN7rocprim17ROCPRIM_400000_NS6detail17trampoline_kernelINS0_13select_configILj256ELj13ELNS0_17block_load_methodE3ELS4_3ELS4_3ELNS0_20block_scan_algorithmE0ELj4294967295EEENS1_25partition_config_selectorILNS1_17partition_subalgoE3EjNS0_10empty_typeEbEEZZNS1_14partition_implILS8_3ELb0ES6_jNS0_17counting_iteratorIjlEEPS9_SE_NS0_5tupleIJPjSE_EEENSF_IJSE_SE_EEES9_SG_JZNS1_25segmented_radix_sort_implINS0_14default_configELb1EPKaPaPKlPlN2at6native12_GLOBAL__N_18offset_tEEE10hipError_tPvRmT1_PNSt15iterator_traitsISY_E10value_typeET2_T3_PNSZ_IS14_E10value_typeET4_jRbjT5_S1A_jjP12ihipStream_tbEUljE_EEESV_SW_SX_S14_S18_S1A_T6_T7_T9_mT8_S1C_bDpT10_ENKUlT_T0_E_clISt17integral_constantIbLb1EES1O_IbLb0EEEEDaS1K_S1L_EUlS1K_E_NS1_11comp_targetILNS1_3genE4ELNS1_11target_archE910ELNS1_3gpuE8ELNS1_3repE0EEENS1_30default_config_static_selectorELNS0_4arch9wavefront6targetE1EEEvSY_ ; -- Begin function _ZN7rocprim17ROCPRIM_400000_NS6detail17trampoline_kernelINS0_13select_configILj256ELj13ELNS0_17block_load_methodE3ELS4_3ELS4_3ELNS0_20block_scan_algorithmE0ELj4294967295EEENS1_25partition_config_selectorILNS1_17partition_subalgoE3EjNS0_10empty_typeEbEEZZNS1_14partition_implILS8_3ELb0ES6_jNS0_17counting_iteratorIjlEEPS9_SE_NS0_5tupleIJPjSE_EEENSF_IJSE_SE_EEES9_SG_JZNS1_25segmented_radix_sort_implINS0_14default_configELb1EPKaPaPKlPlN2at6native12_GLOBAL__N_18offset_tEEE10hipError_tPvRmT1_PNSt15iterator_traitsISY_E10value_typeET2_T3_PNSZ_IS14_E10value_typeET4_jRbjT5_S1A_jjP12ihipStream_tbEUljE_EEESV_SW_SX_S14_S18_S1A_T6_T7_T9_mT8_S1C_bDpT10_ENKUlT_T0_E_clISt17integral_constantIbLb1EES1O_IbLb0EEEEDaS1K_S1L_EUlS1K_E_NS1_11comp_targetILNS1_3genE4ELNS1_11target_archE910ELNS1_3gpuE8ELNS1_3repE0EEENS1_30default_config_static_selectorELNS0_4arch9wavefront6targetE1EEEvSY_
	.p2align	8
	.type	_ZN7rocprim17ROCPRIM_400000_NS6detail17trampoline_kernelINS0_13select_configILj256ELj13ELNS0_17block_load_methodE3ELS4_3ELS4_3ELNS0_20block_scan_algorithmE0ELj4294967295EEENS1_25partition_config_selectorILNS1_17partition_subalgoE3EjNS0_10empty_typeEbEEZZNS1_14partition_implILS8_3ELb0ES6_jNS0_17counting_iteratorIjlEEPS9_SE_NS0_5tupleIJPjSE_EEENSF_IJSE_SE_EEES9_SG_JZNS1_25segmented_radix_sort_implINS0_14default_configELb1EPKaPaPKlPlN2at6native12_GLOBAL__N_18offset_tEEE10hipError_tPvRmT1_PNSt15iterator_traitsISY_E10value_typeET2_T3_PNSZ_IS14_E10value_typeET4_jRbjT5_S1A_jjP12ihipStream_tbEUljE_EEESV_SW_SX_S14_S18_S1A_T6_T7_T9_mT8_S1C_bDpT10_ENKUlT_T0_E_clISt17integral_constantIbLb1EES1O_IbLb0EEEEDaS1K_S1L_EUlS1K_E_NS1_11comp_targetILNS1_3genE4ELNS1_11target_archE910ELNS1_3gpuE8ELNS1_3repE0EEENS1_30default_config_static_selectorELNS0_4arch9wavefront6targetE1EEEvSY_,@function
_ZN7rocprim17ROCPRIM_400000_NS6detail17trampoline_kernelINS0_13select_configILj256ELj13ELNS0_17block_load_methodE3ELS4_3ELS4_3ELNS0_20block_scan_algorithmE0ELj4294967295EEENS1_25partition_config_selectorILNS1_17partition_subalgoE3EjNS0_10empty_typeEbEEZZNS1_14partition_implILS8_3ELb0ES6_jNS0_17counting_iteratorIjlEEPS9_SE_NS0_5tupleIJPjSE_EEENSF_IJSE_SE_EEES9_SG_JZNS1_25segmented_radix_sort_implINS0_14default_configELb1EPKaPaPKlPlN2at6native12_GLOBAL__N_18offset_tEEE10hipError_tPvRmT1_PNSt15iterator_traitsISY_E10value_typeET2_T3_PNSZ_IS14_E10value_typeET4_jRbjT5_S1A_jjP12ihipStream_tbEUljE_EEESV_SW_SX_S14_S18_S1A_T6_T7_T9_mT8_S1C_bDpT10_ENKUlT_T0_E_clISt17integral_constantIbLb1EES1O_IbLb0EEEEDaS1K_S1L_EUlS1K_E_NS1_11comp_targetILNS1_3genE4ELNS1_11target_archE910ELNS1_3gpuE8ELNS1_3repE0EEENS1_30default_config_static_selectorELNS0_4arch9wavefront6targetE1EEEvSY_: ; @_ZN7rocprim17ROCPRIM_400000_NS6detail17trampoline_kernelINS0_13select_configILj256ELj13ELNS0_17block_load_methodE3ELS4_3ELS4_3ELNS0_20block_scan_algorithmE0ELj4294967295EEENS1_25partition_config_selectorILNS1_17partition_subalgoE3EjNS0_10empty_typeEbEEZZNS1_14partition_implILS8_3ELb0ES6_jNS0_17counting_iteratorIjlEEPS9_SE_NS0_5tupleIJPjSE_EEENSF_IJSE_SE_EEES9_SG_JZNS1_25segmented_radix_sort_implINS0_14default_configELb1EPKaPaPKlPlN2at6native12_GLOBAL__N_18offset_tEEE10hipError_tPvRmT1_PNSt15iterator_traitsISY_E10value_typeET2_T3_PNSZ_IS14_E10value_typeET4_jRbjT5_S1A_jjP12ihipStream_tbEUljE_EEESV_SW_SX_S14_S18_S1A_T6_T7_T9_mT8_S1C_bDpT10_ENKUlT_T0_E_clISt17integral_constantIbLb1EES1O_IbLb0EEEEDaS1K_S1L_EUlS1K_E_NS1_11comp_targetILNS1_3genE4ELNS1_11target_archE910ELNS1_3gpuE8ELNS1_3repE0EEENS1_30default_config_static_selectorELNS0_4arch9wavefront6targetE1EEEvSY_
; %bb.0:
	.section	.rodata,"a",@progbits
	.p2align	6, 0x0
	.amdhsa_kernel _ZN7rocprim17ROCPRIM_400000_NS6detail17trampoline_kernelINS0_13select_configILj256ELj13ELNS0_17block_load_methodE3ELS4_3ELS4_3ELNS0_20block_scan_algorithmE0ELj4294967295EEENS1_25partition_config_selectorILNS1_17partition_subalgoE3EjNS0_10empty_typeEbEEZZNS1_14partition_implILS8_3ELb0ES6_jNS0_17counting_iteratorIjlEEPS9_SE_NS0_5tupleIJPjSE_EEENSF_IJSE_SE_EEES9_SG_JZNS1_25segmented_radix_sort_implINS0_14default_configELb1EPKaPaPKlPlN2at6native12_GLOBAL__N_18offset_tEEE10hipError_tPvRmT1_PNSt15iterator_traitsISY_E10value_typeET2_T3_PNSZ_IS14_E10value_typeET4_jRbjT5_S1A_jjP12ihipStream_tbEUljE_EEESV_SW_SX_S14_S18_S1A_T6_T7_T9_mT8_S1C_bDpT10_ENKUlT_T0_E_clISt17integral_constantIbLb1EES1O_IbLb0EEEEDaS1K_S1L_EUlS1K_E_NS1_11comp_targetILNS1_3genE4ELNS1_11target_archE910ELNS1_3gpuE8ELNS1_3repE0EEENS1_30default_config_static_selectorELNS0_4arch9wavefront6targetE1EEEvSY_
		.amdhsa_group_segment_fixed_size 0
		.amdhsa_private_segment_fixed_size 0
		.amdhsa_kernarg_size 144
		.amdhsa_user_sgpr_count 6
		.amdhsa_user_sgpr_private_segment_buffer 1
		.amdhsa_user_sgpr_dispatch_ptr 0
		.amdhsa_user_sgpr_queue_ptr 0
		.amdhsa_user_sgpr_kernarg_segment_ptr 1
		.amdhsa_user_sgpr_dispatch_id 0
		.amdhsa_user_sgpr_flat_scratch_init 0
		.amdhsa_user_sgpr_private_segment_size 0
		.amdhsa_uses_dynamic_stack 0
		.amdhsa_system_sgpr_private_segment_wavefront_offset 0
		.amdhsa_system_sgpr_workgroup_id_x 1
		.amdhsa_system_sgpr_workgroup_id_y 0
		.amdhsa_system_sgpr_workgroup_id_z 0
		.amdhsa_system_sgpr_workgroup_info 0
		.amdhsa_system_vgpr_workitem_id 0
		.amdhsa_next_free_vgpr 1
		.amdhsa_next_free_sgpr 0
		.amdhsa_reserve_vcc 0
		.amdhsa_reserve_flat_scratch 0
		.amdhsa_float_round_mode_32 0
		.amdhsa_float_round_mode_16_64 0
		.amdhsa_float_denorm_mode_32 3
		.amdhsa_float_denorm_mode_16_64 3
		.amdhsa_dx10_clamp 1
		.amdhsa_ieee_mode 1
		.amdhsa_fp16_overflow 0
		.amdhsa_exception_fp_ieee_invalid_op 0
		.amdhsa_exception_fp_denorm_src 0
		.amdhsa_exception_fp_ieee_div_zero 0
		.amdhsa_exception_fp_ieee_overflow 0
		.amdhsa_exception_fp_ieee_underflow 0
		.amdhsa_exception_fp_ieee_inexact 0
		.amdhsa_exception_int_div_zero 0
	.end_amdhsa_kernel
	.section	.text._ZN7rocprim17ROCPRIM_400000_NS6detail17trampoline_kernelINS0_13select_configILj256ELj13ELNS0_17block_load_methodE3ELS4_3ELS4_3ELNS0_20block_scan_algorithmE0ELj4294967295EEENS1_25partition_config_selectorILNS1_17partition_subalgoE3EjNS0_10empty_typeEbEEZZNS1_14partition_implILS8_3ELb0ES6_jNS0_17counting_iteratorIjlEEPS9_SE_NS0_5tupleIJPjSE_EEENSF_IJSE_SE_EEES9_SG_JZNS1_25segmented_radix_sort_implINS0_14default_configELb1EPKaPaPKlPlN2at6native12_GLOBAL__N_18offset_tEEE10hipError_tPvRmT1_PNSt15iterator_traitsISY_E10value_typeET2_T3_PNSZ_IS14_E10value_typeET4_jRbjT5_S1A_jjP12ihipStream_tbEUljE_EEESV_SW_SX_S14_S18_S1A_T6_T7_T9_mT8_S1C_bDpT10_ENKUlT_T0_E_clISt17integral_constantIbLb1EES1O_IbLb0EEEEDaS1K_S1L_EUlS1K_E_NS1_11comp_targetILNS1_3genE4ELNS1_11target_archE910ELNS1_3gpuE8ELNS1_3repE0EEENS1_30default_config_static_selectorELNS0_4arch9wavefront6targetE1EEEvSY_,"axG",@progbits,_ZN7rocprim17ROCPRIM_400000_NS6detail17trampoline_kernelINS0_13select_configILj256ELj13ELNS0_17block_load_methodE3ELS4_3ELS4_3ELNS0_20block_scan_algorithmE0ELj4294967295EEENS1_25partition_config_selectorILNS1_17partition_subalgoE3EjNS0_10empty_typeEbEEZZNS1_14partition_implILS8_3ELb0ES6_jNS0_17counting_iteratorIjlEEPS9_SE_NS0_5tupleIJPjSE_EEENSF_IJSE_SE_EEES9_SG_JZNS1_25segmented_radix_sort_implINS0_14default_configELb1EPKaPaPKlPlN2at6native12_GLOBAL__N_18offset_tEEE10hipError_tPvRmT1_PNSt15iterator_traitsISY_E10value_typeET2_T3_PNSZ_IS14_E10value_typeET4_jRbjT5_S1A_jjP12ihipStream_tbEUljE_EEESV_SW_SX_S14_S18_S1A_T6_T7_T9_mT8_S1C_bDpT10_ENKUlT_T0_E_clISt17integral_constantIbLb1EES1O_IbLb0EEEEDaS1K_S1L_EUlS1K_E_NS1_11comp_targetILNS1_3genE4ELNS1_11target_archE910ELNS1_3gpuE8ELNS1_3repE0EEENS1_30default_config_static_selectorELNS0_4arch9wavefront6targetE1EEEvSY_,comdat
.Lfunc_end276:
	.size	_ZN7rocprim17ROCPRIM_400000_NS6detail17trampoline_kernelINS0_13select_configILj256ELj13ELNS0_17block_load_methodE3ELS4_3ELS4_3ELNS0_20block_scan_algorithmE0ELj4294967295EEENS1_25partition_config_selectorILNS1_17partition_subalgoE3EjNS0_10empty_typeEbEEZZNS1_14partition_implILS8_3ELb0ES6_jNS0_17counting_iteratorIjlEEPS9_SE_NS0_5tupleIJPjSE_EEENSF_IJSE_SE_EEES9_SG_JZNS1_25segmented_radix_sort_implINS0_14default_configELb1EPKaPaPKlPlN2at6native12_GLOBAL__N_18offset_tEEE10hipError_tPvRmT1_PNSt15iterator_traitsISY_E10value_typeET2_T3_PNSZ_IS14_E10value_typeET4_jRbjT5_S1A_jjP12ihipStream_tbEUljE_EEESV_SW_SX_S14_S18_S1A_T6_T7_T9_mT8_S1C_bDpT10_ENKUlT_T0_E_clISt17integral_constantIbLb1EES1O_IbLb0EEEEDaS1K_S1L_EUlS1K_E_NS1_11comp_targetILNS1_3genE4ELNS1_11target_archE910ELNS1_3gpuE8ELNS1_3repE0EEENS1_30default_config_static_selectorELNS0_4arch9wavefront6targetE1EEEvSY_, .Lfunc_end276-_ZN7rocprim17ROCPRIM_400000_NS6detail17trampoline_kernelINS0_13select_configILj256ELj13ELNS0_17block_load_methodE3ELS4_3ELS4_3ELNS0_20block_scan_algorithmE0ELj4294967295EEENS1_25partition_config_selectorILNS1_17partition_subalgoE3EjNS0_10empty_typeEbEEZZNS1_14partition_implILS8_3ELb0ES6_jNS0_17counting_iteratorIjlEEPS9_SE_NS0_5tupleIJPjSE_EEENSF_IJSE_SE_EEES9_SG_JZNS1_25segmented_radix_sort_implINS0_14default_configELb1EPKaPaPKlPlN2at6native12_GLOBAL__N_18offset_tEEE10hipError_tPvRmT1_PNSt15iterator_traitsISY_E10value_typeET2_T3_PNSZ_IS14_E10value_typeET4_jRbjT5_S1A_jjP12ihipStream_tbEUljE_EEESV_SW_SX_S14_S18_S1A_T6_T7_T9_mT8_S1C_bDpT10_ENKUlT_T0_E_clISt17integral_constantIbLb1EES1O_IbLb0EEEEDaS1K_S1L_EUlS1K_E_NS1_11comp_targetILNS1_3genE4ELNS1_11target_archE910ELNS1_3gpuE8ELNS1_3repE0EEENS1_30default_config_static_selectorELNS0_4arch9wavefront6targetE1EEEvSY_
                                        ; -- End function
	.set _ZN7rocprim17ROCPRIM_400000_NS6detail17trampoline_kernelINS0_13select_configILj256ELj13ELNS0_17block_load_methodE3ELS4_3ELS4_3ELNS0_20block_scan_algorithmE0ELj4294967295EEENS1_25partition_config_selectorILNS1_17partition_subalgoE3EjNS0_10empty_typeEbEEZZNS1_14partition_implILS8_3ELb0ES6_jNS0_17counting_iteratorIjlEEPS9_SE_NS0_5tupleIJPjSE_EEENSF_IJSE_SE_EEES9_SG_JZNS1_25segmented_radix_sort_implINS0_14default_configELb1EPKaPaPKlPlN2at6native12_GLOBAL__N_18offset_tEEE10hipError_tPvRmT1_PNSt15iterator_traitsISY_E10value_typeET2_T3_PNSZ_IS14_E10value_typeET4_jRbjT5_S1A_jjP12ihipStream_tbEUljE_EEESV_SW_SX_S14_S18_S1A_T6_T7_T9_mT8_S1C_bDpT10_ENKUlT_T0_E_clISt17integral_constantIbLb1EES1O_IbLb0EEEEDaS1K_S1L_EUlS1K_E_NS1_11comp_targetILNS1_3genE4ELNS1_11target_archE910ELNS1_3gpuE8ELNS1_3repE0EEENS1_30default_config_static_selectorELNS0_4arch9wavefront6targetE1EEEvSY_.num_vgpr, 0
	.set _ZN7rocprim17ROCPRIM_400000_NS6detail17trampoline_kernelINS0_13select_configILj256ELj13ELNS0_17block_load_methodE3ELS4_3ELS4_3ELNS0_20block_scan_algorithmE0ELj4294967295EEENS1_25partition_config_selectorILNS1_17partition_subalgoE3EjNS0_10empty_typeEbEEZZNS1_14partition_implILS8_3ELb0ES6_jNS0_17counting_iteratorIjlEEPS9_SE_NS0_5tupleIJPjSE_EEENSF_IJSE_SE_EEES9_SG_JZNS1_25segmented_radix_sort_implINS0_14default_configELb1EPKaPaPKlPlN2at6native12_GLOBAL__N_18offset_tEEE10hipError_tPvRmT1_PNSt15iterator_traitsISY_E10value_typeET2_T3_PNSZ_IS14_E10value_typeET4_jRbjT5_S1A_jjP12ihipStream_tbEUljE_EEESV_SW_SX_S14_S18_S1A_T6_T7_T9_mT8_S1C_bDpT10_ENKUlT_T0_E_clISt17integral_constantIbLb1EES1O_IbLb0EEEEDaS1K_S1L_EUlS1K_E_NS1_11comp_targetILNS1_3genE4ELNS1_11target_archE910ELNS1_3gpuE8ELNS1_3repE0EEENS1_30default_config_static_selectorELNS0_4arch9wavefront6targetE1EEEvSY_.num_agpr, 0
	.set _ZN7rocprim17ROCPRIM_400000_NS6detail17trampoline_kernelINS0_13select_configILj256ELj13ELNS0_17block_load_methodE3ELS4_3ELS4_3ELNS0_20block_scan_algorithmE0ELj4294967295EEENS1_25partition_config_selectorILNS1_17partition_subalgoE3EjNS0_10empty_typeEbEEZZNS1_14partition_implILS8_3ELb0ES6_jNS0_17counting_iteratorIjlEEPS9_SE_NS0_5tupleIJPjSE_EEENSF_IJSE_SE_EEES9_SG_JZNS1_25segmented_radix_sort_implINS0_14default_configELb1EPKaPaPKlPlN2at6native12_GLOBAL__N_18offset_tEEE10hipError_tPvRmT1_PNSt15iterator_traitsISY_E10value_typeET2_T3_PNSZ_IS14_E10value_typeET4_jRbjT5_S1A_jjP12ihipStream_tbEUljE_EEESV_SW_SX_S14_S18_S1A_T6_T7_T9_mT8_S1C_bDpT10_ENKUlT_T0_E_clISt17integral_constantIbLb1EES1O_IbLb0EEEEDaS1K_S1L_EUlS1K_E_NS1_11comp_targetILNS1_3genE4ELNS1_11target_archE910ELNS1_3gpuE8ELNS1_3repE0EEENS1_30default_config_static_selectorELNS0_4arch9wavefront6targetE1EEEvSY_.numbered_sgpr, 0
	.set _ZN7rocprim17ROCPRIM_400000_NS6detail17trampoline_kernelINS0_13select_configILj256ELj13ELNS0_17block_load_methodE3ELS4_3ELS4_3ELNS0_20block_scan_algorithmE0ELj4294967295EEENS1_25partition_config_selectorILNS1_17partition_subalgoE3EjNS0_10empty_typeEbEEZZNS1_14partition_implILS8_3ELb0ES6_jNS0_17counting_iteratorIjlEEPS9_SE_NS0_5tupleIJPjSE_EEENSF_IJSE_SE_EEES9_SG_JZNS1_25segmented_radix_sort_implINS0_14default_configELb1EPKaPaPKlPlN2at6native12_GLOBAL__N_18offset_tEEE10hipError_tPvRmT1_PNSt15iterator_traitsISY_E10value_typeET2_T3_PNSZ_IS14_E10value_typeET4_jRbjT5_S1A_jjP12ihipStream_tbEUljE_EEESV_SW_SX_S14_S18_S1A_T6_T7_T9_mT8_S1C_bDpT10_ENKUlT_T0_E_clISt17integral_constantIbLb1EES1O_IbLb0EEEEDaS1K_S1L_EUlS1K_E_NS1_11comp_targetILNS1_3genE4ELNS1_11target_archE910ELNS1_3gpuE8ELNS1_3repE0EEENS1_30default_config_static_selectorELNS0_4arch9wavefront6targetE1EEEvSY_.num_named_barrier, 0
	.set _ZN7rocprim17ROCPRIM_400000_NS6detail17trampoline_kernelINS0_13select_configILj256ELj13ELNS0_17block_load_methodE3ELS4_3ELS4_3ELNS0_20block_scan_algorithmE0ELj4294967295EEENS1_25partition_config_selectorILNS1_17partition_subalgoE3EjNS0_10empty_typeEbEEZZNS1_14partition_implILS8_3ELb0ES6_jNS0_17counting_iteratorIjlEEPS9_SE_NS0_5tupleIJPjSE_EEENSF_IJSE_SE_EEES9_SG_JZNS1_25segmented_radix_sort_implINS0_14default_configELb1EPKaPaPKlPlN2at6native12_GLOBAL__N_18offset_tEEE10hipError_tPvRmT1_PNSt15iterator_traitsISY_E10value_typeET2_T3_PNSZ_IS14_E10value_typeET4_jRbjT5_S1A_jjP12ihipStream_tbEUljE_EEESV_SW_SX_S14_S18_S1A_T6_T7_T9_mT8_S1C_bDpT10_ENKUlT_T0_E_clISt17integral_constantIbLb1EES1O_IbLb0EEEEDaS1K_S1L_EUlS1K_E_NS1_11comp_targetILNS1_3genE4ELNS1_11target_archE910ELNS1_3gpuE8ELNS1_3repE0EEENS1_30default_config_static_selectorELNS0_4arch9wavefront6targetE1EEEvSY_.private_seg_size, 0
	.set _ZN7rocprim17ROCPRIM_400000_NS6detail17trampoline_kernelINS0_13select_configILj256ELj13ELNS0_17block_load_methodE3ELS4_3ELS4_3ELNS0_20block_scan_algorithmE0ELj4294967295EEENS1_25partition_config_selectorILNS1_17partition_subalgoE3EjNS0_10empty_typeEbEEZZNS1_14partition_implILS8_3ELb0ES6_jNS0_17counting_iteratorIjlEEPS9_SE_NS0_5tupleIJPjSE_EEENSF_IJSE_SE_EEES9_SG_JZNS1_25segmented_radix_sort_implINS0_14default_configELb1EPKaPaPKlPlN2at6native12_GLOBAL__N_18offset_tEEE10hipError_tPvRmT1_PNSt15iterator_traitsISY_E10value_typeET2_T3_PNSZ_IS14_E10value_typeET4_jRbjT5_S1A_jjP12ihipStream_tbEUljE_EEESV_SW_SX_S14_S18_S1A_T6_T7_T9_mT8_S1C_bDpT10_ENKUlT_T0_E_clISt17integral_constantIbLb1EES1O_IbLb0EEEEDaS1K_S1L_EUlS1K_E_NS1_11comp_targetILNS1_3genE4ELNS1_11target_archE910ELNS1_3gpuE8ELNS1_3repE0EEENS1_30default_config_static_selectorELNS0_4arch9wavefront6targetE1EEEvSY_.uses_vcc, 0
	.set _ZN7rocprim17ROCPRIM_400000_NS6detail17trampoline_kernelINS0_13select_configILj256ELj13ELNS0_17block_load_methodE3ELS4_3ELS4_3ELNS0_20block_scan_algorithmE0ELj4294967295EEENS1_25partition_config_selectorILNS1_17partition_subalgoE3EjNS0_10empty_typeEbEEZZNS1_14partition_implILS8_3ELb0ES6_jNS0_17counting_iteratorIjlEEPS9_SE_NS0_5tupleIJPjSE_EEENSF_IJSE_SE_EEES9_SG_JZNS1_25segmented_radix_sort_implINS0_14default_configELb1EPKaPaPKlPlN2at6native12_GLOBAL__N_18offset_tEEE10hipError_tPvRmT1_PNSt15iterator_traitsISY_E10value_typeET2_T3_PNSZ_IS14_E10value_typeET4_jRbjT5_S1A_jjP12ihipStream_tbEUljE_EEESV_SW_SX_S14_S18_S1A_T6_T7_T9_mT8_S1C_bDpT10_ENKUlT_T0_E_clISt17integral_constantIbLb1EES1O_IbLb0EEEEDaS1K_S1L_EUlS1K_E_NS1_11comp_targetILNS1_3genE4ELNS1_11target_archE910ELNS1_3gpuE8ELNS1_3repE0EEENS1_30default_config_static_selectorELNS0_4arch9wavefront6targetE1EEEvSY_.uses_flat_scratch, 0
	.set _ZN7rocprim17ROCPRIM_400000_NS6detail17trampoline_kernelINS0_13select_configILj256ELj13ELNS0_17block_load_methodE3ELS4_3ELS4_3ELNS0_20block_scan_algorithmE0ELj4294967295EEENS1_25partition_config_selectorILNS1_17partition_subalgoE3EjNS0_10empty_typeEbEEZZNS1_14partition_implILS8_3ELb0ES6_jNS0_17counting_iteratorIjlEEPS9_SE_NS0_5tupleIJPjSE_EEENSF_IJSE_SE_EEES9_SG_JZNS1_25segmented_radix_sort_implINS0_14default_configELb1EPKaPaPKlPlN2at6native12_GLOBAL__N_18offset_tEEE10hipError_tPvRmT1_PNSt15iterator_traitsISY_E10value_typeET2_T3_PNSZ_IS14_E10value_typeET4_jRbjT5_S1A_jjP12ihipStream_tbEUljE_EEESV_SW_SX_S14_S18_S1A_T6_T7_T9_mT8_S1C_bDpT10_ENKUlT_T0_E_clISt17integral_constantIbLb1EES1O_IbLb0EEEEDaS1K_S1L_EUlS1K_E_NS1_11comp_targetILNS1_3genE4ELNS1_11target_archE910ELNS1_3gpuE8ELNS1_3repE0EEENS1_30default_config_static_selectorELNS0_4arch9wavefront6targetE1EEEvSY_.has_dyn_sized_stack, 0
	.set _ZN7rocprim17ROCPRIM_400000_NS6detail17trampoline_kernelINS0_13select_configILj256ELj13ELNS0_17block_load_methodE3ELS4_3ELS4_3ELNS0_20block_scan_algorithmE0ELj4294967295EEENS1_25partition_config_selectorILNS1_17partition_subalgoE3EjNS0_10empty_typeEbEEZZNS1_14partition_implILS8_3ELb0ES6_jNS0_17counting_iteratorIjlEEPS9_SE_NS0_5tupleIJPjSE_EEENSF_IJSE_SE_EEES9_SG_JZNS1_25segmented_radix_sort_implINS0_14default_configELb1EPKaPaPKlPlN2at6native12_GLOBAL__N_18offset_tEEE10hipError_tPvRmT1_PNSt15iterator_traitsISY_E10value_typeET2_T3_PNSZ_IS14_E10value_typeET4_jRbjT5_S1A_jjP12ihipStream_tbEUljE_EEESV_SW_SX_S14_S18_S1A_T6_T7_T9_mT8_S1C_bDpT10_ENKUlT_T0_E_clISt17integral_constantIbLb1EES1O_IbLb0EEEEDaS1K_S1L_EUlS1K_E_NS1_11comp_targetILNS1_3genE4ELNS1_11target_archE910ELNS1_3gpuE8ELNS1_3repE0EEENS1_30default_config_static_selectorELNS0_4arch9wavefront6targetE1EEEvSY_.has_recursion, 0
	.set _ZN7rocprim17ROCPRIM_400000_NS6detail17trampoline_kernelINS0_13select_configILj256ELj13ELNS0_17block_load_methodE3ELS4_3ELS4_3ELNS0_20block_scan_algorithmE0ELj4294967295EEENS1_25partition_config_selectorILNS1_17partition_subalgoE3EjNS0_10empty_typeEbEEZZNS1_14partition_implILS8_3ELb0ES6_jNS0_17counting_iteratorIjlEEPS9_SE_NS0_5tupleIJPjSE_EEENSF_IJSE_SE_EEES9_SG_JZNS1_25segmented_radix_sort_implINS0_14default_configELb1EPKaPaPKlPlN2at6native12_GLOBAL__N_18offset_tEEE10hipError_tPvRmT1_PNSt15iterator_traitsISY_E10value_typeET2_T3_PNSZ_IS14_E10value_typeET4_jRbjT5_S1A_jjP12ihipStream_tbEUljE_EEESV_SW_SX_S14_S18_S1A_T6_T7_T9_mT8_S1C_bDpT10_ENKUlT_T0_E_clISt17integral_constantIbLb1EES1O_IbLb0EEEEDaS1K_S1L_EUlS1K_E_NS1_11comp_targetILNS1_3genE4ELNS1_11target_archE910ELNS1_3gpuE8ELNS1_3repE0EEENS1_30default_config_static_selectorELNS0_4arch9wavefront6targetE1EEEvSY_.has_indirect_call, 0
	.section	.AMDGPU.csdata,"",@progbits
; Kernel info:
; codeLenInByte = 0
; TotalNumSgprs: 4
; NumVgprs: 0
; ScratchSize: 0
; MemoryBound: 0
; FloatMode: 240
; IeeeMode: 1
; LDSByteSize: 0 bytes/workgroup (compile time only)
; SGPRBlocks: 0
; VGPRBlocks: 0
; NumSGPRsForWavesPerEU: 4
; NumVGPRsForWavesPerEU: 1
; Occupancy: 10
; WaveLimiterHint : 0
; COMPUTE_PGM_RSRC2:SCRATCH_EN: 0
; COMPUTE_PGM_RSRC2:USER_SGPR: 6
; COMPUTE_PGM_RSRC2:TRAP_HANDLER: 0
; COMPUTE_PGM_RSRC2:TGID_X_EN: 1
; COMPUTE_PGM_RSRC2:TGID_Y_EN: 0
; COMPUTE_PGM_RSRC2:TGID_Z_EN: 0
; COMPUTE_PGM_RSRC2:TIDIG_COMP_CNT: 0
	.section	.text._ZN7rocprim17ROCPRIM_400000_NS6detail17trampoline_kernelINS0_13select_configILj256ELj13ELNS0_17block_load_methodE3ELS4_3ELS4_3ELNS0_20block_scan_algorithmE0ELj4294967295EEENS1_25partition_config_selectorILNS1_17partition_subalgoE3EjNS0_10empty_typeEbEEZZNS1_14partition_implILS8_3ELb0ES6_jNS0_17counting_iteratorIjlEEPS9_SE_NS0_5tupleIJPjSE_EEENSF_IJSE_SE_EEES9_SG_JZNS1_25segmented_radix_sort_implINS0_14default_configELb1EPKaPaPKlPlN2at6native12_GLOBAL__N_18offset_tEEE10hipError_tPvRmT1_PNSt15iterator_traitsISY_E10value_typeET2_T3_PNSZ_IS14_E10value_typeET4_jRbjT5_S1A_jjP12ihipStream_tbEUljE_EEESV_SW_SX_S14_S18_S1A_T6_T7_T9_mT8_S1C_bDpT10_ENKUlT_T0_E_clISt17integral_constantIbLb1EES1O_IbLb0EEEEDaS1K_S1L_EUlS1K_E_NS1_11comp_targetILNS1_3genE3ELNS1_11target_archE908ELNS1_3gpuE7ELNS1_3repE0EEENS1_30default_config_static_selectorELNS0_4arch9wavefront6targetE1EEEvSY_,"axG",@progbits,_ZN7rocprim17ROCPRIM_400000_NS6detail17trampoline_kernelINS0_13select_configILj256ELj13ELNS0_17block_load_methodE3ELS4_3ELS4_3ELNS0_20block_scan_algorithmE0ELj4294967295EEENS1_25partition_config_selectorILNS1_17partition_subalgoE3EjNS0_10empty_typeEbEEZZNS1_14partition_implILS8_3ELb0ES6_jNS0_17counting_iteratorIjlEEPS9_SE_NS0_5tupleIJPjSE_EEENSF_IJSE_SE_EEES9_SG_JZNS1_25segmented_radix_sort_implINS0_14default_configELb1EPKaPaPKlPlN2at6native12_GLOBAL__N_18offset_tEEE10hipError_tPvRmT1_PNSt15iterator_traitsISY_E10value_typeET2_T3_PNSZ_IS14_E10value_typeET4_jRbjT5_S1A_jjP12ihipStream_tbEUljE_EEESV_SW_SX_S14_S18_S1A_T6_T7_T9_mT8_S1C_bDpT10_ENKUlT_T0_E_clISt17integral_constantIbLb1EES1O_IbLb0EEEEDaS1K_S1L_EUlS1K_E_NS1_11comp_targetILNS1_3genE3ELNS1_11target_archE908ELNS1_3gpuE7ELNS1_3repE0EEENS1_30default_config_static_selectorELNS0_4arch9wavefront6targetE1EEEvSY_,comdat
	.globl	_ZN7rocprim17ROCPRIM_400000_NS6detail17trampoline_kernelINS0_13select_configILj256ELj13ELNS0_17block_load_methodE3ELS4_3ELS4_3ELNS0_20block_scan_algorithmE0ELj4294967295EEENS1_25partition_config_selectorILNS1_17partition_subalgoE3EjNS0_10empty_typeEbEEZZNS1_14partition_implILS8_3ELb0ES6_jNS0_17counting_iteratorIjlEEPS9_SE_NS0_5tupleIJPjSE_EEENSF_IJSE_SE_EEES9_SG_JZNS1_25segmented_radix_sort_implINS0_14default_configELb1EPKaPaPKlPlN2at6native12_GLOBAL__N_18offset_tEEE10hipError_tPvRmT1_PNSt15iterator_traitsISY_E10value_typeET2_T3_PNSZ_IS14_E10value_typeET4_jRbjT5_S1A_jjP12ihipStream_tbEUljE_EEESV_SW_SX_S14_S18_S1A_T6_T7_T9_mT8_S1C_bDpT10_ENKUlT_T0_E_clISt17integral_constantIbLb1EES1O_IbLb0EEEEDaS1K_S1L_EUlS1K_E_NS1_11comp_targetILNS1_3genE3ELNS1_11target_archE908ELNS1_3gpuE7ELNS1_3repE0EEENS1_30default_config_static_selectorELNS0_4arch9wavefront6targetE1EEEvSY_ ; -- Begin function _ZN7rocprim17ROCPRIM_400000_NS6detail17trampoline_kernelINS0_13select_configILj256ELj13ELNS0_17block_load_methodE3ELS4_3ELS4_3ELNS0_20block_scan_algorithmE0ELj4294967295EEENS1_25partition_config_selectorILNS1_17partition_subalgoE3EjNS0_10empty_typeEbEEZZNS1_14partition_implILS8_3ELb0ES6_jNS0_17counting_iteratorIjlEEPS9_SE_NS0_5tupleIJPjSE_EEENSF_IJSE_SE_EEES9_SG_JZNS1_25segmented_radix_sort_implINS0_14default_configELb1EPKaPaPKlPlN2at6native12_GLOBAL__N_18offset_tEEE10hipError_tPvRmT1_PNSt15iterator_traitsISY_E10value_typeET2_T3_PNSZ_IS14_E10value_typeET4_jRbjT5_S1A_jjP12ihipStream_tbEUljE_EEESV_SW_SX_S14_S18_S1A_T6_T7_T9_mT8_S1C_bDpT10_ENKUlT_T0_E_clISt17integral_constantIbLb1EES1O_IbLb0EEEEDaS1K_S1L_EUlS1K_E_NS1_11comp_targetILNS1_3genE3ELNS1_11target_archE908ELNS1_3gpuE7ELNS1_3repE0EEENS1_30default_config_static_selectorELNS0_4arch9wavefront6targetE1EEEvSY_
	.p2align	8
	.type	_ZN7rocprim17ROCPRIM_400000_NS6detail17trampoline_kernelINS0_13select_configILj256ELj13ELNS0_17block_load_methodE3ELS4_3ELS4_3ELNS0_20block_scan_algorithmE0ELj4294967295EEENS1_25partition_config_selectorILNS1_17partition_subalgoE3EjNS0_10empty_typeEbEEZZNS1_14partition_implILS8_3ELb0ES6_jNS0_17counting_iteratorIjlEEPS9_SE_NS0_5tupleIJPjSE_EEENSF_IJSE_SE_EEES9_SG_JZNS1_25segmented_radix_sort_implINS0_14default_configELb1EPKaPaPKlPlN2at6native12_GLOBAL__N_18offset_tEEE10hipError_tPvRmT1_PNSt15iterator_traitsISY_E10value_typeET2_T3_PNSZ_IS14_E10value_typeET4_jRbjT5_S1A_jjP12ihipStream_tbEUljE_EEESV_SW_SX_S14_S18_S1A_T6_T7_T9_mT8_S1C_bDpT10_ENKUlT_T0_E_clISt17integral_constantIbLb1EES1O_IbLb0EEEEDaS1K_S1L_EUlS1K_E_NS1_11comp_targetILNS1_3genE3ELNS1_11target_archE908ELNS1_3gpuE7ELNS1_3repE0EEENS1_30default_config_static_selectorELNS0_4arch9wavefront6targetE1EEEvSY_,@function
_ZN7rocprim17ROCPRIM_400000_NS6detail17trampoline_kernelINS0_13select_configILj256ELj13ELNS0_17block_load_methodE3ELS4_3ELS4_3ELNS0_20block_scan_algorithmE0ELj4294967295EEENS1_25partition_config_selectorILNS1_17partition_subalgoE3EjNS0_10empty_typeEbEEZZNS1_14partition_implILS8_3ELb0ES6_jNS0_17counting_iteratorIjlEEPS9_SE_NS0_5tupleIJPjSE_EEENSF_IJSE_SE_EEES9_SG_JZNS1_25segmented_radix_sort_implINS0_14default_configELb1EPKaPaPKlPlN2at6native12_GLOBAL__N_18offset_tEEE10hipError_tPvRmT1_PNSt15iterator_traitsISY_E10value_typeET2_T3_PNSZ_IS14_E10value_typeET4_jRbjT5_S1A_jjP12ihipStream_tbEUljE_EEESV_SW_SX_S14_S18_S1A_T6_T7_T9_mT8_S1C_bDpT10_ENKUlT_T0_E_clISt17integral_constantIbLb1EES1O_IbLb0EEEEDaS1K_S1L_EUlS1K_E_NS1_11comp_targetILNS1_3genE3ELNS1_11target_archE908ELNS1_3gpuE7ELNS1_3repE0EEENS1_30default_config_static_selectorELNS0_4arch9wavefront6targetE1EEEvSY_: ; @_ZN7rocprim17ROCPRIM_400000_NS6detail17trampoline_kernelINS0_13select_configILj256ELj13ELNS0_17block_load_methodE3ELS4_3ELS4_3ELNS0_20block_scan_algorithmE0ELj4294967295EEENS1_25partition_config_selectorILNS1_17partition_subalgoE3EjNS0_10empty_typeEbEEZZNS1_14partition_implILS8_3ELb0ES6_jNS0_17counting_iteratorIjlEEPS9_SE_NS0_5tupleIJPjSE_EEENSF_IJSE_SE_EEES9_SG_JZNS1_25segmented_radix_sort_implINS0_14default_configELb1EPKaPaPKlPlN2at6native12_GLOBAL__N_18offset_tEEE10hipError_tPvRmT1_PNSt15iterator_traitsISY_E10value_typeET2_T3_PNSZ_IS14_E10value_typeET4_jRbjT5_S1A_jjP12ihipStream_tbEUljE_EEESV_SW_SX_S14_S18_S1A_T6_T7_T9_mT8_S1C_bDpT10_ENKUlT_T0_E_clISt17integral_constantIbLb1EES1O_IbLb0EEEEDaS1K_S1L_EUlS1K_E_NS1_11comp_targetILNS1_3genE3ELNS1_11target_archE908ELNS1_3gpuE7ELNS1_3repE0EEENS1_30default_config_static_selectorELNS0_4arch9wavefront6targetE1EEEvSY_
; %bb.0:
	.section	.rodata,"a",@progbits
	.p2align	6, 0x0
	.amdhsa_kernel _ZN7rocprim17ROCPRIM_400000_NS6detail17trampoline_kernelINS0_13select_configILj256ELj13ELNS0_17block_load_methodE3ELS4_3ELS4_3ELNS0_20block_scan_algorithmE0ELj4294967295EEENS1_25partition_config_selectorILNS1_17partition_subalgoE3EjNS0_10empty_typeEbEEZZNS1_14partition_implILS8_3ELb0ES6_jNS0_17counting_iteratorIjlEEPS9_SE_NS0_5tupleIJPjSE_EEENSF_IJSE_SE_EEES9_SG_JZNS1_25segmented_radix_sort_implINS0_14default_configELb1EPKaPaPKlPlN2at6native12_GLOBAL__N_18offset_tEEE10hipError_tPvRmT1_PNSt15iterator_traitsISY_E10value_typeET2_T3_PNSZ_IS14_E10value_typeET4_jRbjT5_S1A_jjP12ihipStream_tbEUljE_EEESV_SW_SX_S14_S18_S1A_T6_T7_T9_mT8_S1C_bDpT10_ENKUlT_T0_E_clISt17integral_constantIbLb1EES1O_IbLb0EEEEDaS1K_S1L_EUlS1K_E_NS1_11comp_targetILNS1_3genE3ELNS1_11target_archE908ELNS1_3gpuE7ELNS1_3repE0EEENS1_30default_config_static_selectorELNS0_4arch9wavefront6targetE1EEEvSY_
		.amdhsa_group_segment_fixed_size 0
		.amdhsa_private_segment_fixed_size 0
		.amdhsa_kernarg_size 144
		.amdhsa_user_sgpr_count 6
		.amdhsa_user_sgpr_private_segment_buffer 1
		.amdhsa_user_sgpr_dispatch_ptr 0
		.amdhsa_user_sgpr_queue_ptr 0
		.amdhsa_user_sgpr_kernarg_segment_ptr 1
		.amdhsa_user_sgpr_dispatch_id 0
		.amdhsa_user_sgpr_flat_scratch_init 0
		.amdhsa_user_sgpr_private_segment_size 0
		.amdhsa_uses_dynamic_stack 0
		.amdhsa_system_sgpr_private_segment_wavefront_offset 0
		.amdhsa_system_sgpr_workgroup_id_x 1
		.amdhsa_system_sgpr_workgroup_id_y 0
		.amdhsa_system_sgpr_workgroup_id_z 0
		.amdhsa_system_sgpr_workgroup_info 0
		.amdhsa_system_vgpr_workitem_id 0
		.amdhsa_next_free_vgpr 1
		.amdhsa_next_free_sgpr 0
		.amdhsa_reserve_vcc 0
		.amdhsa_reserve_flat_scratch 0
		.amdhsa_float_round_mode_32 0
		.amdhsa_float_round_mode_16_64 0
		.amdhsa_float_denorm_mode_32 3
		.amdhsa_float_denorm_mode_16_64 3
		.amdhsa_dx10_clamp 1
		.amdhsa_ieee_mode 1
		.amdhsa_fp16_overflow 0
		.amdhsa_exception_fp_ieee_invalid_op 0
		.amdhsa_exception_fp_denorm_src 0
		.amdhsa_exception_fp_ieee_div_zero 0
		.amdhsa_exception_fp_ieee_overflow 0
		.amdhsa_exception_fp_ieee_underflow 0
		.amdhsa_exception_fp_ieee_inexact 0
		.amdhsa_exception_int_div_zero 0
	.end_amdhsa_kernel
	.section	.text._ZN7rocprim17ROCPRIM_400000_NS6detail17trampoline_kernelINS0_13select_configILj256ELj13ELNS0_17block_load_methodE3ELS4_3ELS4_3ELNS0_20block_scan_algorithmE0ELj4294967295EEENS1_25partition_config_selectorILNS1_17partition_subalgoE3EjNS0_10empty_typeEbEEZZNS1_14partition_implILS8_3ELb0ES6_jNS0_17counting_iteratorIjlEEPS9_SE_NS0_5tupleIJPjSE_EEENSF_IJSE_SE_EEES9_SG_JZNS1_25segmented_radix_sort_implINS0_14default_configELb1EPKaPaPKlPlN2at6native12_GLOBAL__N_18offset_tEEE10hipError_tPvRmT1_PNSt15iterator_traitsISY_E10value_typeET2_T3_PNSZ_IS14_E10value_typeET4_jRbjT5_S1A_jjP12ihipStream_tbEUljE_EEESV_SW_SX_S14_S18_S1A_T6_T7_T9_mT8_S1C_bDpT10_ENKUlT_T0_E_clISt17integral_constantIbLb1EES1O_IbLb0EEEEDaS1K_S1L_EUlS1K_E_NS1_11comp_targetILNS1_3genE3ELNS1_11target_archE908ELNS1_3gpuE7ELNS1_3repE0EEENS1_30default_config_static_selectorELNS0_4arch9wavefront6targetE1EEEvSY_,"axG",@progbits,_ZN7rocprim17ROCPRIM_400000_NS6detail17trampoline_kernelINS0_13select_configILj256ELj13ELNS0_17block_load_methodE3ELS4_3ELS4_3ELNS0_20block_scan_algorithmE0ELj4294967295EEENS1_25partition_config_selectorILNS1_17partition_subalgoE3EjNS0_10empty_typeEbEEZZNS1_14partition_implILS8_3ELb0ES6_jNS0_17counting_iteratorIjlEEPS9_SE_NS0_5tupleIJPjSE_EEENSF_IJSE_SE_EEES9_SG_JZNS1_25segmented_radix_sort_implINS0_14default_configELb1EPKaPaPKlPlN2at6native12_GLOBAL__N_18offset_tEEE10hipError_tPvRmT1_PNSt15iterator_traitsISY_E10value_typeET2_T3_PNSZ_IS14_E10value_typeET4_jRbjT5_S1A_jjP12ihipStream_tbEUljE_EEESV_SW_SX_S14_S18_S1A_T6_T7_T9_mT8_S1C_bDpT10_ENKUlT_T0_E_clISt17integral_constantIbLb1EES1O_IbLb0EEEEDaS1K_S1L_EUlS1K_E_NS1_11comp_targetILNS1_3genE3ELNS1_11target_archE908ELNS1_3gpuE7ELNS1_3repE0EEENS1_30default_config_static_selectorELNS0_4arch9wavefront6targetE1EEEvSY_,comdat
.Lfunc_end277:
	.size	_ZN7rocprim17ROCPRIM_400000_NS6detail17trampoline_kernelINS0_13select_configILj256ELj13ELNS0_17block_load_methodE3ELS4_3ELS4_3ELNS0_20block_scan_algorithmE0ELj4294967295EEENS1_25partition_config_selectorILNS1_17partition_subalgoE3EjNS0_10empty_typeEbEEZZNS1_14partition_implILS8_3ELb0ES6_jNS0_17counting_iteratorIjlEEPS9_SE_NS0_5tupleIJPjSE_EEENSF_IJSE_SE_EEES9_SG_JZNS1_25segmented_radix_sort_implINS0_14default_configELb1EPKaPaPKlPlN2at6native12_GLOBAL__N_18offset_tEEE10hipError_tPvRmT1_PNSt15iterator_traitsISY_E10value_typeET2_T3_PNSZ_IS14_E10value_typeET4_jRbjT5_S1A_jjP12ihipStream_tbEUljE_EEESV_SW_SX_S14_S18_S1A_T6_T7_T9_mT8_S1C_bDpT10_ENKUlT_T0_E_clISt17integral_constantIbLb1EES1O_IbLb0EEEEDaS1K_S1L_EUlS1K_E_NS1_11comp_targetILNS1_3genE3ELNS1_11target_archE908ELNS1_3gpuE7ELNS1_3repE0EEENS1_30default_config_static_selectorELNS0_4arch9wavefront6targetE1EEEvSY_, .Lfunc_end277-_ZN7rocprim17ROCPRIM_400000_NS6detail17trampoline_kernelINS0_13select_configILj256ELj13ELNS0_17block_load_methodE3ELS4_3ELS4_3ELNS0_20block_scan_algorithmE0ELj4294967295EEENS1_25partition_config_selectorILNS1_17partition_subalgoE3EjNS0_10empty_typeEbEEZZNS1_14partition_implILS8_3ELb0ES6_jNS0_17counting_iteratorIjlEEPS9_SE_NS0_5tupleIJPjSE_EEENSF_IJSE_SE_EEES9_SG_JZNS1_25segmented_radix_sort_implINS0_14default_configELb1EPKaPaPKlPlN2at6native12_GLOBAL__N_18offset_tEEE10hipError_tPvRmT1_PNSt15iterator_traitsISY_E10value_typeET2_T3_PNSZ_IS14_E10value_typeET4_jRbjT5_S1A_jjP12ihipStream_tbEUljE_EEESV_SW_SX_S14_S18_S1A_T6_T7_T9_mT8_S1C_bDpT10_ENKUlT_T0_E_clISt17integral_constantIbLb1EES1O_IbLb0EEEEDaS1K_S1L_EUlS1K_E_NS1_11comp_targetILNS1_3genE3ELNS1_11target_archE908ELNS1_3gpuE7ELNS1_3repE0EEENS1_30default_config_static_selectorELNS0_4arch9wavefront6targetE1EEEvSY_
                                        ; -- End function
	.set _ZN7rocprim17ROCPRIM_400000_NS6detail17trampoline_kernelINS0_13select_configILj256ELj13ELNS0_17block_load_methodE3ELS4_3ELS4_3ELNS0_20block_scan_algorithmE0ELj4294967295EEENS1_25partition_config_selectorILNS1_17partition_subalgoE3EjNS0_10empty_typeEbEEZZNS1_14partition_implILS8_3ELb0ES6_jNS0_17counting_iteratorIjlEEPS9_SE_NS0_5tupleIJPjSE_EEENSF_IJSE_SE_EEES9_SG_JZNS1_25segmented_radix_sort_implINS0_14default_configELb1EPKaPaPKlPlN2at6native12_GLOBAL__N_18offset_tEEE10hipError_tPvRmT1_PNSt15iterator_traitsISY_E10value_typeET2_T3_PNSZ_IS14_E10value_typeET4_jRbjT5_S1A_jjP12ihipStream_tbEUljE_EEESV_SW_SX_S14_S18_S1A_T6_T7_T9_mT8_S1C_bDpT10_ENKUlT_T0_E_clISt17integral_constantIbLb1EES1O_IbLb0EEEEDaS1K_S1L_EUlS1K_E_NS1_11comp_targetILNS1_3genE3ELNS1_11target_archE908ELNS1_3gpuE7ELNS1_3repE0EEENS1_30default_config_static_selectorELNS0_4arch9wavefront6targetE1EEEvSY_.num_vgpr, 0
	.set _ZN7rocprim17ROCPRIM_400000_NS6detail17trampoline_kernelINS0_13select_configILj256ELj13ELNS0_17block_load_methodE3ELS4_3ELS4_3ELNS0_20block_scan_algorithmE0ELj4294967295EEENS1_25partition_config_selectorILNS1_17partition_subalgoE3EjNS0_10empty_typeEbEEZZNS1_14partition_implILS8_3ELb0ES6_jNS0_17counting_iteratorIjlEEPS9_SE_NS0_5tupleIJPjSE_EEENSF_IJSE_SE_EEES9_SG_JZNS1_25segmented_radix_sort_implINS0_14default_configELb1EPKaPaPKlPlN2at6native12_GLOBAL__N_18offset_tEEE10hipError_tPvRmT1_PNSt15iterator_traitsISY_E10value_typeET2_T3_PNSZ_IS14_E10value_typeET4_jRbjT5_S1A_jjP12ihipStream_tbEUljE_EEESV_SW_SX_S14_S18_S1A_T6_T7_T9_mT8_S1C_bDpT10_ENKUlT_T0_E_clISt17integral_constantIbLb1EES1O_IbLb0EEEEDaS1K_S1L_EUlS1K_E_NS1_11comp_targetILNS1_3genE3ELNS1_11target_archE908ELNS1_3gpuE7ELNS1_3repE0EEENS1_30default_config_static_selectorELNS0_4arch9wavefront6targetE1EEEvSY_.num_agpr, 0
	.set _ZN7rocprim17ROCPRIM_400000_NS6detail17trampoline_kernelINS0_13select_configILj256ELj13ELNS0_17block_load_methodE3ELS4_3ELS4_3ELNS0_20block_scan_algorithmE0ELj4294967295EEENS1_25partition_config_selectorILNS1_17partition_subalgoE3EjNS0_10empty_typeEbEEZZNS1_14partition_implILS8_3ELb0ES6_jNS0_17counting_iteratorIjlEEPS9_SE_NS0_5tupleIJPjSE_EEENSF_IJSE_SE_EEES9_SG_JZNS1_25segmented_radix_sort_implINS0_14default_configELb1EPKaPaPKlPlN2at6native12_GLOBAL__N_18offset_tEEE10hipError_tPvRmT1_PNSt15iterator_traitsISY_E10value_typeET2_T3_PNSZ_IS14_E10value_typeET4_jRbjT5_S1A_jjP12ihipStream_tbEUljE_EEESV_SW_SX_S14_S18_S1A_T6_T7_T9_mT8_S1C_bDpT10_ENKUlT_T0_E_clISt17integral_constantIbLb1EES1O_IbLb0EEEEDaS1K_S1L_EUlS1K_E_NS1_11comp_targetILNS1_3genE3ELNS1_11target_archE908ELNS1_3gpuE7ELNS1_3repE0EEENS1_30default_config_static_selectorELNS0_4arch9wavefront6targetE1EEEvSY_.numbered_sgpr, 0
	.set _ZN7rocprim17ROCPRIM_400000_NS6detail17trampoline_kernelINS0_13select_configILj256ELj13ELNS0_17block_load_methodE3ELS4_3ELS4_3ELNS0_20block_scan_algorithmE0ELj4294967295EEENS1_25partition_config_selectorILNS1_17partition_subalgoE3EjNS0_10empty_typeEbEEZZNS1_14partition_implILS8_3ELb0ES6_jNS0_17counting_iteratorIjlEEPS9_SE_NS0_5tupleIJPjSE_EEENSF_IJSE_SE_EEES9_SG_JZNS1_25segmented_radix_sort_implINS0_14default_configELb1EPKaPaPKlPlN2at6native12_GLOBAL__N_18offset_tEEE10hipError_tPvRmT1_PNSt15iterator_traitsISY_E10value_typeET2_T3_PNSZ_IS14_E10value_typeET4_jRbjT5_S1A_jjP12ihipStream_tbEUljE_EEESV_SW_SX_S14_S18_S1A_T6_T7_T9_mT8_S1C_bDpT10_ENKUlT_T0_E_clISt17integral_constantIbLb1EES1O_IbLb0EEEEDaS1K_S1L_EUlS1K_E_NS1_11comp_targetILNS1_3genE3ELNS1_11target_archE908ELNS1_3gpuE7ELNS1_3repE0EEENS1_30default_config_static_selectorELNS0_4arch9wavefront6targetE1EEEvSY_.num_named_barrier, 0
	.set _ZN7rocprim17ROCPRIM_400000_NS6detail17trampoline_kernelINS0_13select_configILj256ELj13ELNS0_17block_load_methodE3ELS4_3ELS4_3ELNS0_20block_scan_algorithmE0ELj4294967295EEENS1_25partition_config_selectorILNS1_17partition_subalgoE3EjNS0_10empty_typeEbEEZZNS1_14partition_implILS8_3ELb0ES6_jNS0_17counting_iteratorIjlEEPS9_SE_NS0_5tupleIJPjSE_EEENSF_IJSE_SE_EEES9_SG_JZNS1_25segmented_radix_sort_implINS0_14default_configELb1EPKaPaPKlPlN2at6native12_GLOBAL__N_18offset_tEEE10hipError_tPvRmT1_PNSt15iterator_traitsISY_E10value_typeET2_T3_PNSZ_IS14_E10value_typeET4_jRbjT5_S1A_jjP12ihipStream_tbEUljE_EEESV_SW_SX_S14_S18_S1A_T6_T7_T9_mT8_S1C_bDpT10_ENKUlT_T0_E_clISt17integral_constantIbLb1EES1O_IbLb0EEEEDaS1K_S1L_EUlS1K_E_NS1_11comp_targetILNS1_3genE3ELNS1_11target_archE908ELNS1_3gpuE7ELNS1_3repE0EEENS1_30default_config_static_selectorELNS0_4arch9wavefront6targetE1EEEvSY_.private_seg_size, 0
	.set _ZN7rocprim17ROCPRIM_400000_NS6detail17trampoline_kernelINS0_13select_configILj256ELj13ELNS0_17block_load_methodE3ELS4_3ELS4_3ELNS0_20block_scan_algorithmE0ELj4294967295EEENS1_25partition_config_selectorILNS1_17partition_subalgoE3EjNS0_10empty_typeEbEEZZNS1_14partition_implILS8_3ELb0ES6_jNS0_17counting_iteratorIjlEEPS9_SE_NS0_5tupleIJPjSE_EEENSF_IJSE_SE_EEES9_SG_JZNS1_25segmented_radix_sort_implINS0_14default_configELb1EPKaPaPKlPlN2at6native12_GLOBAL__N_18offset_tEEE10hipError_tPvRmT1_PNSt15iterator_traitsISY_E10value_typeET2_T3_PNSZ_IS14_E10value_typeET4_jRbjT5_S1A_jjP12ihipStream_tbEUljE_EEESV_SW_SX_S14_S18_S1A_T6_T7_T9_mT8_S1C_bDpT10_ENKUlT_T0_E_clISt17integral_constantIbLb1EES1O_IbLb0EEEEDaS1K_S1L_EUlS1K_E_NS1_11comp_targetILNS1_3genE3ELNS1_11target_archE908ELNS1_3gpuE7ELNS1_3repE0EEENS1_30default_config_static_selectorELNS0_4arch9wavefront6targetE1EEEvSY_.uses_vcc, 0
	.set _ZN7rocprim17ROCPRIM_400000_NS6detail17trampoline_kernelINS0_13select_configILj256ELj13ELNS0_17block_load_methodE3ELS4_3ELS4_3ELNS0_20block_scan_algorithmE0ELj4294967295EEENS1_25partition_config_selectorILNS1_17partition_subalgoE3EjNS0_10empty_typeEbEEZZNS1_14partition_implILS8_3ELb0ES6_jNS0_17counting_iteratorIjlEEPS9_SE_NS0_5tupleIJPjSE_EEENSF_IJSE_SE_EEES9_SG_JZNS1_25segmented_radix_sort_implINS0_14default_configELb1EPKaPaPKlPlN2at6native12_GLOBAL__N_18offset_tEEE10hipError_tPvRmT1_PNSt15iterator_traitsISY_E10value_typeET2_T3_PNSZ_IS14_E10value_typeET4_jRbjT5_S1A_jjP12ihipStream_tbEUljE_EEESV_SW_SX_S14_S18_S1A_T6_T7_T9_mT8_S1C_bDpT10_ENKUlT_T0_E_clISt17integral_constantIbLb1EES1O_IbLb0EEEEDaS1K_S1L_EUlS1K_E_NS1_11comp_targetILNS1_3genE3ELNS1_11target_archE908ELNS1_3gpuE7ELNS1_3repE0EEENS1_30default_config_static_selectorELNS0_4arch9wavefront6targetE1EEEvSY_.uses_flat_scratch, 0
	.set _ZN7rocprim17ROCPRIM_400000_NS6detail17trampoline_kernelINS0_13select_configILj256ELj13ELNS0_17block_load_methodE3ELS4_3ELS4_3ELNS0_20block_scan_algorithmE0ELj4294967295EEENS1_25partition_config_selectorILNS1_17partition_subalgoE3EjNS0_10empty_typeEbEEZZNS1_14partition_implILS8_3ELb0ES6_jNS0_17counting_iteratorIjlEEPS9_SE_NS0_5tupleIJPjSE_EEENSF_IJSE_SE_EEES9_SG_JZNS1_25segmented_radix_sort_implINS0_14default_configELb1EPKaPaPKlPlN2at6native12_GLOBAL__N_18offset_tEEE10hipError_tPvRmT1_PNSt15iterator_traitsISY_E10value_typeET2_T3_PNSZ_IS14_E10value_typeET4_jRbjT5_S1A_jjP12ihipStream_tbEUljE_EEESV_SW_SX_S14_S18_S1A_T6_T7_T9_mT8_S1C_bDpT10_ENKUlT_T0_E_clISt17integral_constantIbLb1EES1O_IbLb0EEEEDaS1K_S1L_EUlS1K_E_NS1_11comp_targetILNS1_3genE3ELNS1_11target_archE908ELNS1_3gpuE7ELNS1_3repE0EEENS1_30default_config_static_selectorELNS0_4arch9wavefront6targetE1EEEvSY_.has_dyn_sized_stack, 0
	.set _ZN7rocprim17ROCPRIM_400000_NS6detail17trampoline_kernelINS0_13select_configILj256ELj13ELNS0_17block_load_methodE3ELS4_3ELS4_3ELNS0_20block_scan_algorithmE0ELj4294967295EEENS1_25partition_config_selectorILNS1_17partition_subalgoE3EjNS0_10empty_typeEbEEZZNS1_14partition_implILS8_3ELb0ES6_jNS0_17counting_iteratorIjlEEPS9_SE_NS0_5tupleIJPjSE_EEENSF_IJSE_SE_EEES9_SG_JZNS1_25segmented_radix_sort_implINS0_14default_configELb1EPKaPaPKlPlN2at6native12_GLOBAL__N_18offset_tEEE10hipError_tPvRmT1_PNSt15iterator_traitsISY_E10value_typeET2_T3_PNSZ_IS14_E10value_typeET4_jRbjT5_S1A_jjP12ihipStream_tbEUljE_EEESV_SW_SX_S14_S18_S1A_T6_T7_T9_mT8_S1C_bDpT10_ENKUlT_T0_E_clISt17integral_constantIbLb1EES1O_IbLb0EEEEDaS1K_S1L_EUlS1K_E_NS1_11comp_targetILNS1_3genE3ELNS1_11target_archE908ELNS1_3gpuE7ELNS1_3repE0EEENS1_30default_config_static_selectorELNS0_4arch9wavefront6targetE1EEEvSY_.has_recursion, 0
	.set _ZN7rocprim17ROCPRIM_400000_NS6detail17trampoline_kernelINS0_13select_configILj256ELj13ELNS0_17block_load_methodE3ELS4_3ELS4_3ELNS0_20block_scan_algorithmE0ELj4294967295EEENS1_25partition_config_selectorILNS1_17partition_subalgoE3EjNS0_10empty_typeEbEEZZNS1_14partition_implILS8_3ELb0ES6_jNS0_17counting_iteratorIjlEEPS9_SE_NS0_5tupleIJPjSE_EEENSF_IJSE_SE_EEES9_SG_JZNS1_25segmented_radix_sort_implINS0_14default_configELb1EPKaPaPKlPlN2at6native12_GLOBAL__N_18offset_tEEE10hipError_tPvRmT1_PNSt15iterator_traitsISY_E10value_typeET2_T3_PNSZ_IS14_E10value_typeET4_jRbjT5_S1A_jjP12ihipStream_tbEUljE_EEESV_SW_SX_S14_S18_S1A_T6_T7_T9_mT8_S1C_bDpT10_ENKUlT_T0_E_clISt17integral_constantIbLb1EES1O_IbLb0EEEEDaS1K_S1L_EUlS1K_E_NS1_11comp_targetILNS1_3genE3ELNS1_11target_archE908ELNS1_3gpuE7ELNS1_3repE0EEENS1_30default_config_static_selectorELNS0_4arch9wavefront6targetE1EEEvSY_.has_indirect_call, 0
	.section	.AMDGPU.csdata,"",@progbits
; Kernel info:
; codeLenInByte = 0
; TotalNumSgprs: 4
; NumVgprs: 0
; ScratchSize: 0
; MemoryBound: 0
; FloatMode: 240
; IeeeMode: 1
; LDSByteSize: 0 bytes/workgroup (compile time only)
; SGPRBlocks: 0
; VGPRBlocks: 0
; NumSGPRsForWavesPerEU: 4
; NumVGPRsForWavesPerEU: 1
; Occupancy: 10
; WaveLimiterHint : 0
; COMPUTE_PGM_RSRC2:SCRATCH_EN: 0
; COMPUTE_PGM_RSRC2:USER_SGPR: 6
; COMPUTE_PGM_RSRC2:TRAP_HANDLER: 0
; COMPUTE_PGM_RSRC2:TGID_X_EN: 1
; COMPUTE_PGM_RSRC2:TGID_Y_EN: 0
; COMPUTE_PGM_RSRC2:TGID_Z_EN: 0
; COMPUTE_PGM_RSRC2:TIDIG_COMP_CNT: 0
	.section	.text._ZN7rocprim17ROCPRIM_400000_NS6detail17trampoline_kernelINS0_13select_configILj256ELj13ELNS0_17block_load_methodE3ELS4_3ELS4_3ELNS0_20block_scan_algorithmE0ELj4294967295EEENS1_25partition_config_selectorILNS1_17partition_subalgoE3EjNS0_10empty_typeEbEEZZNS1_14partition_implILS8_3ELb0ES6_jNS0_17counting_iteratorIjlEEPS9_SE_NS0_5tupleIJPjSE_EEENSF_IJSE_SE_EEES9_SG_JZNS1_25segmented_radix_sort_implINS0_14default_configELb1EPKaPaPKlPlN2at6native12_GLOBAL__N_18offset_tEEE10hipError_tPvRmT1_PNSt15iterator_traitsISY_E10value_typeET2_T3_PNSZ_IS14_E10value_typeET4_jRbjT5_S1A_jjP12ihipStream_tbEUljE_EEESV_SW_SX_S14_S18_S1A_T6_T7_T9_mT8_S1C_bDpT10_ENKUlT_T0_E_clISt17integral_constantIbLb1EES1O_IbLb0EEEEDaS1K_S1L_EUlS1K_E_NS1_11comp_targetILNS1_3genE2ELNS1_11target_archE906ELNS1_3gpuE6ELNS1_3repE0EEENS1_30default_config_static_selectorELNS0_4arch9wavefront6targetE1EEEvSY_,"axG",@progbits,_ZN7rocprim17ROCPRIM_400000_NS6detail17trampoline_kernelINS0_13select_configILj256ELj13ELNS0_17block_load_methodE3ELS4_3ELS4_3ELNS0_20block_scan_algorithmE0ELj4294967295EEENS1_25partition_config_selectorILNS1_17partition_subalgoE3EjNS0_10empty_typeEbEEZZNS1_14partition_implILS8_3ELb0ES6_jNS0_17counting_iteratorIjlEEPS9_SE_NS0_5tupleIJPjSE_EEENSF_IJSE_SE_EEES9_SG_JZNS1_25segmented_radix_sort_implINS0_14default_configELb1EPKaPaPKlPlN2at6native12_GLOBAL__N_18offset_tEEE10hipError_tPvRmT1_PNSt15iterator_traitsISY_E10value_typeET2_T3_PNSZ_IS14_E10value_typeET4_jRbjT5_S1A_jjP12ihipStream_tbEUljE_EEESV_SW_SX_S14_S18_S1A_T6_T7_T9_mT8_S1C_bDpT10_ENKUlT_T0_E_clISt17integral_constantIbLb1EES1O_IbLb0EEEEDaS1K_S1L_EUlS1K_E_NS1_11comp_targetILNS1_3genE2ELNS1_11target_archE906ELNS1_3gpuE6ELNS1_3repE0EEENS1_30default_config_static_selectorELNS0_4arch9wavefront6targetE1EEEvSY_,comdat
	.globl	_ZN7rocprim17ROCPRIM_400000_NS6detail17trampoline_kernelINS0_13select_configILj256ELj13ELNS0_17block_load_methodE3ELS4_3ELS4_3ELNS0_20block_scan_algorithmE0ELj4294967295EEENS1_25partition_config_selectorILNS1_17partition_subalgoE3EjNS0_10empty_typeEbEEZZNS1_14partition_implILS8_3ELb0ES6_jNS0_17counting_iteratorIjlEEPS9_SE_NS0_5tupleIJPjSE_EEENSF_IJSE_SE_EEES9_SG_JZNS1_25segmented_radix_sort_implINS0_14default_configELb1EPKaPaPKlPlN2at6native12_GLOBAL__N_18offset_tEEE10hipError_tPvRmT1_PNSt15iterator_traitsISY_E10value_typeET2_T3_PNSZ_IS14_E10value_typeET4_jRbjT5_S1A_jjP12ihipStream_tbEUljE_EEESV_SW_SX_S14_S18_S1A_T6_T7_T9_mT8_S1C_bDpT10_ENKUlT_T0_E_clISt17integral_constantIbLb1EES1O_IbLb0EEEEDaS1K_S1L_EUlS1K_E_NS1_11comp_targetILNS1_3genE2ELNS1_11target_archE906ELNS1_3gpuE6ELNS1_3repE0EEENS1_30default_config_static_selectorELNS0_4arch9wavefront6targetE1EEEvSY_ ; -- Begin function _ZN7rocprim17ROCPRIM_400000_NS6detail17trampoline_kernelINS0_13select_configILj256ELj13ELNS0_17block_load_methodE3ELS4_3ELS4_3ELNS0_20block_scan_algorithmE0ELj4294967295EEENS1_25partition_config_selectorILNS1_17partition_subalgoE3EjNS0_10empty_typeEbEEZZNS1_14partition_implILS8_3ELb0ES6_jNS0_17counting_iteratorIjlEEPS9_SE_NS0_5tupleIJPjSE_EEENSF_IJSE_SE_EEES9_SG_JZNS1_25segmented_radix_sort_implINS0_14default_configELb1EPKaPaPKlPlN2at6native12_GLOBAL__N_18offset_tEEE10hipError_tPvRmT1_PNSt15iterator_traitsISY_E10value_typeET2_T3_PNSZ_IS14_E10value_typeET4_jRbjT5_S1A_jjP12ihipStream_tbEUljE_EEESV_SW_SX_S14_S18_S1A_T6_T7_T9_mT8_S1C_bDpT10_ENKUlT_T0_E_clISt17integral_constantIbLb1EES1O_IbLb0EEEEDaS1K_S1L_EUlS1K_E_NS1_11comp_targetILNS1_3genE2ELNS1_11target_archE906ELNS1_3gpuE6ELNS1_3repE0EEENS1_30default_config_static_selectorELNS0_4arch9wavefront6targetE1EEEvSY_
	.p2align	8
	.type	_ZN7rocprim17ROCPRIM_400000_NS6detail17trampoline_kernelINS0_13select_configILj256ELj13ELNS0_17block_load_methodE3ELS4_3ELS4_3ELNS0_20block_scan_algorithmE0ELj4294967295EEENS1_25partition_config_selectorILNS1_17partition_subalgoE3EjNS0_10empty_typeEbEEZZNS1_14partition_implILS8_3ELb0ES6_jNS0_17counting_iteratorIjlEEPS9_SE_NS0_5tupleIJPjSE_EEENSF_IJSE_SE_EEES9_SG_JZNS1_25segmented_radix_sort_implINS0_14default_configELb1EPKaPaPKlPlN2at6native12_GLOBAL__N_18offset_tEEE10hipError_tPvRmT1_PNSt15iterator_traitsISY_E10value_typeET2_T3_PNSZ_IS14_E10value_typeET4_jRbjT5_S1A_jjP12ihipStream_tbEUljE_EEESV_SW_SX_S14_S18_S1A_T6_T7_T9_mT8_S1C_bDpT10_ENKUlT_T0_E_clISt17integral_constantIbLb1EES1O_IbLb0EEEEDaS1K_S1L_EUlS1K_E_NS1_11comp_targetILNS1_3genE2ELNS1_11target_archE906ELNS1_3gpuE6ELNS1_3repE0EEENS1_30default_config_static_selectorELNS0_4arch9wavefront6targetE1EEEvSY_,@function
_ZN7rocprim17ROCPRIM_400000_NS6detail17trampoline_kernelINS0_13select_configILj256ELj13ELNS0_17block_load_methodE3ELS4_3ELS4_3ELNS0_20block_scan_algorithmE0ELj4294967295EEENS1_25partition_config_selectorILNS1_17partition_subalgoE3EjNS0_10empty_typeEbEEZZNS1_14partition_implILS8_3ELb0ES6_jNS0_17counting_iteratorIjlEEPS9_SE_NS0_5tupleIJPjSE_EEENSF_IJSE_SE_EEES9_SG_JZNS1_25segmented_radix_sort_implINS0_14default_configELb1EPKaPaPKlPlN2at6native12_GLOBAL__N_18offset_tEEE10hipError_tPvRmT1_PNSt15iterator_traitsISY_E10value_typeET2_T3_PNSZ_IS14_E10value_typeET4_jRbjT5_S1A_jjP12ihipStream_tbEUljE_EEESV_SW_SX_S14_S18_S1A_T6_T7_T9_mT8_S1C_bDpT10_ENKUlT_T0_E_clISt17integral_constantIbLb1EES1O_IbLb0EEEEDaS1K_S1L_EUlS1K_E_NS1_11comp_targetILNS1_3genE2ELNS1_11target_archE906ELNS1_3gpuE6ELNS1_3repE0EEENS1_30default_config_static_selectorELNS0_4arch9wavefront6targetE1EEEvSY_: ; @_ZN7rocprim17ROCPRIM_400000_NS6detail17trampoline_kernelINS0_13select_configILj256ELj13ELNS0_17block_load_methodE3ELS4_3ELS4_3ELNS0_20block_scan_algorithmE0ELj4294967295EEENS1_25partition_config_selectorILNS1_17partition_subalgoE3EjNS0_10empty_typeEbEEZZNS1_14partition_implILS8_3ELb0ES6_jNS0_17counting_iteratorIjlEEPS9_SE_NS0_5tupleIJPjSE_EEENSF_IJSE_SE_EEES9_SG_JZNS1_25segmented_radix_sort_implINS0_14default_configELb1EPKaPaPKlPlN2at6native12_GLOBAL__N_18offset_tEEE10hipError_tPvRmT1_PNSt15iterator_traitsISY_E10value_typeET2_T3_PNSZ_IS14_E10value_typeET4_jRbjT5_S1A_jjP12ihipStream_tbEUljE_EEESV_SW_SX_S14_S18_S1A_T6_T7_T9_mT8_S1C_bDpT10_ENKUlT_T0_E_clISt17integral_constantIbLb1EES1O_IbLb0EEEEDaS1K_S1L_EUlS1K_E_NS1_11comp_targetILNS1_3genE2ELNS1_11target_archE906ELNS1_3gpuE6ELNS1_3repE0EEENS1_30default_config_static_selectorELNS0_4arch9wavefront6targetE1EEEvSY_
; %bb.0:
	s_endpgm
	.section	.rodata,"a",@progbits
	.p2align	6, 0x0
	.amdhsa_kernel _ZN7rocprim17ROCPRIM_400000_NS6detail17trampoline_kernelINS0_13select_configILj256ELj13ELNS0_17block_load_methodE3ELS4_3ELS4_3ELNS0_20block_scan_algorithmE0ELj4294967295EEENS1_25partition_config_selectorILNS1_17partition_subalgoE3EjNS0_10empty_typeEbEEZZNS1_14partition_implILS8_3ELb0ES6_jNS0_17counting_iteratorIjlEEPS9_SE_NS0_5tupleIJPjSE_EEENSF_IJSE_SE_EEES9_SG_JZNS1_25segmented_radix_sort_implINS0_14default_configELb1EPKaPaPKlPlN2at6native12_GLOBAL__N_18offset_tEEE10hipError_tPvRmT1_PNSt15iterator_traitsISY_E10value_typeET2_T3_PNSZ_IS14_E10value_typeET4_jRbjT5_S1A_jjP12ihipStream_tbEUljE_EEESV_SW_SX_S14_S18_S1A_T6_T7_T9_mT8_S1C_bDpT10_ENKUlT_T0_E_clISt17integral_constantIbLb1EES1O_IbLb0EEEEDaS1K_S1L_EUlS1K_E_NS1_11comp_targetILNS1_3genE2ELNS1_11target_archE906ELNS1_3gpuE6ELNS1_3repE0EEENS1_30default_config_static_selectorELNS0_4arch9wavefront6targetE1EEEvSY_
		.amdhsa_group_segment_fixed_size 0
		.amdhsa_private_segment_fixed_size 0
		.amdhsa_kernarg_size 144
		.amdhsa_user_sgpr_count 6
		.amdhsa_user_sgpr_private_segment_buffer 1
		.amdhsa_user_sgpr_dispatch_ptr 0
		.amdhsa_user_sgpr_queue_ptr 0
		.amdhsa_user_sgpr_kernarg_segment_ptr 1
		.amdhsa_user_sgpr_dispatch_id 0
		.amdhsa_user_sgpr_flat_scratch_init 0
		.amdhsa_user_sgpr_private_segment_size 0
		.amdhsa_uses_dynamic_stack 0
		.amdhsa_system_sgpr_private_segment_wavefront_offset 0
		.amdhsa_system_sgpr_workgroup_id_x 1
		.amdhsa_system_sgpr_workgroup_id_y 0
		.amdhsa_system_sgpr_workgroup_id_z 0
		.amdhsa_system_sgpr_workgroup_info 0
		.amdhsa_system_vgpr_workitem_id 0
		.amdhsa_next_free_vgpr 1
		.amdhsa_next_free_sgpr 0
		.amdhsa_reserve_vcc 0
		.amdhsa_reserve_flat_scratch 0
		.amdhsa_float_round_mode_32 0
		.amdhsa_float_round_mode_16_64 0
		.amdhsa_float_denorm_mode_32 3
		.amdhsa_float_denorm_mode_16_64 3
		.amdhsa_dx10_clamp 1
		.amdhsa_ieee_mode 1
		.amdhsa_fp16_overflow 0
		.amdhsa_exception_fp_ieee_invalid_op 0
		.amdhsa_exception_fp_denorm_src 0
		.amdhsa_exception_fp_ieee_div_zero 0
		.amdhsa_exception_fp_ieee_overflow 0
		.amdhsa_exception_fp_ieee_underflow 0
		.amdhsa_exception_fp_ieee_inexact 0
		.amdhsa_exception_int_div_zero 0
	.end_amdhsa_kernel
	.section	.text._ZN7rocprim17ROCPRIM_400000_NS6detail17trampoline_kernelINS0_13select_configILj256ELj13ELNS0_17block_load_methodE3ELS4_3ELS4_3ELNS0_20block_scan_algorithmE0ELj4294967295EEENS1_25partition_config_selectorILNS1_17partition_subalgoE3EjNS0_10empty_typeEbEEZZNS1_14partition_implILS8_3ELb0ES6_jNS0_17counting_iteratorIjlEEPS9_SE_NS0_5tupleIJPjSE_EEENSF_IJSE_SE_EEES9_SG_JZNS1_25segmented_radix_sort_implINS0_14default_configELb1EPKaPaPKlPlN2at6native12_GLOBAL__N_18offset_tEEE10hipError_tPvRmT1_PNSt15iterator_traitsISY_E10value_typeET2_T3_PNSZ_IS14_E10value_typeET4_jRbjT5_S1A_jjP12ihipStream_tbEUljE_EEESV_SW_SX_S14_S18_S1A_T6_T7_T9_mT8_S1C_bDpT10_ENKUlT_T0_E_clISt17integral_constantIbLb1EES1O_IbLb0EEEEDaS1K_S1L_EUlS1K_E_NS1_11comp_targetILNS1_3genE2ELNS1_11target_archE906ELNS1_3gpuE6ELNS1_3repE0EEENS1_30default_config_static_selectorELNS0_4arch9wavefront6targetE1EEEvSY_,"axG",@progbits,_ZN7rocprim17ROCPRIM_400000_NS6detail17trampoline_kernelINS0_13select_configILj256ELj13ELNS0_17block_load_methodE3ELS4_3ELS4_3ELNS0_20block_scan_algorithmE0ELj4294967295EEENS1_25partition_config_selectorILNS1_17partition_subalgoE3EjNS0_10empty_typeEbEEZZNS1_14partition_implILS8_3ELb0ES6_jNS0_17counting_iteratorIjlEEPS9_SE_NS0_5tupleIJPjSE_EEENSF_IJSE_SE_EEES9_SG_JZNS1_25segmented_radix_sort_implINS0_14default_configELb1EPKaPaPKlPlN2at6native12_GLOBAL__N_18offset_tEEE10hipError_tPvRmT1_PNSt15iterator_traitsISY_E10value_typeET2_T3_PNSZ_IS14_E10value_typeET4_jRbjT5_S1A_jjP12ihipStream_tbEUljE_EEESV_SW_SX_S14_S18_S1A_T6_T7_T9_mT8_S1C_bDpT10_ENKUlT_T0_E_clISt17integral_constantIbLb1EES1O_IbLb0EEEEDaS1K_S1L_EUlS1K_E_NS1_11comp_targetILNS1_3genE2ELNS1_11target_archE906ELNS1_3gpuE6ELNS1_3repE0EEENS1_30default_config_static_selectorELNS0_4arch9wavefront6targetE1EEEvSY_,comdat
.Lfunc_end278:
	.size	_ZN7rocprim17ROCPRIM_400000_NS6detail17trampoline_kernelINS0_13select_configILj256ELj13ELNS0_17block_load_methodE3ELS4_3ELS4_3ELNS0_20block_scan_algorithmE0ELj4294967295EEENS1_25partition_config_selectorILNS1_17partition_subalgoE3EjNS0_10empty_typeEbEEZZNS1_14partition_implILS8_3ELb0ES6_jNS0_17counting_iteratorIjlEEPS9_SE_NS0_5tupleIJPjSE_EEENSF_IJSE_SE_EEES9_SG_JZNS1_25segmented_radix_sort_implINS0_14default_configELb1EPKaPaPKlPlN2at6native12_GLOBAL__N_18offset_tEEE10hipError_tPvRmT1_PNSt15iterator_traitsISY_E10value_typeET2_T3_PNSZ_IS14_E10value_typeET4_jRbjT5_S1A_jjP12ihipStream_tbEUljE_EEESV_SW_SX_S14_S18_S1A_T6_T7_T9_mT8_S1C_bDpT10_ENKUlT_T0_E_clISt17integral_constantIbLb1EES1O_IbLb0EEEEDaS1K_S1L_EUlS1K_E_NS1_11comp_targetILNS1_3genE2ELNS1_11target_archE906ELNS1_3gpuE6ELNS1_3repE0EEENS1_30default_config_static_selectorELNS0_4arch9wavefront6targetE1EEEvSY_, .Lfunc_end278-_ZN7rocprim17ROCPRIM_400000_NS6detail17trampoline_kernelINS0_13select_configILj256ELj13ELNS0_17block_load_methodE3ELS4_3ELS4_3ELNS0_20block_scan_algorithmE0ELj4294967295EEENS1_25partition_config_selectorILNS1_17partition_subalgoE3EjNS0_10empty_typeEbEEZZNS1_14partition_implILS8_3ELb0ES6_jNS0_17counting_iteratorIjlEEPS9_SE_NS0_5tupleIJPjSE_EEENSF_IJSE_SE_EEES9_SG_JZNS1_25segmented_radix_sort_implINS0_14default_configELb1EPKaPaPKlPlN2at6native12_GLOBAL__N_18offset_tEEE10hipError_tPvRmT1_PNSt15iterator_traitsISY_E10value_typeET2_T3_PNSZ_IS14_E10value_typeET4_jRbjT5_S1A_jjP12ihipStream_tbEUljE_EEESV_SW_SX_S14_S18_S1A_T6_T7_T9_mT8_S1C_bDpT10_ENKUlT_T0_E_clISt17integral_constantIbLb1EES1O_IbLb0EEEEDaS1K_S1L_EUlS1K_E_NS1_11comp_targetILNS1_3genE2ELNS1_11target_archE906ELNS1_3gpuE6ELNS1_3repE0EEENS1_30default_config_static_selectorELNS0_4arch9wavefront6targetE1EEEvSY_
                                        ; -- End function
	.set _ZN7rocprim17ROCPRIM_400000_NS6detail17trampoline_kernelINS0_13select_configILj256ELj13ELNS0_17block_load_methodE3ELS4_3ELS4_3ELNS0_20block_scan_algorithmE0ELj4294967295EEENS1_25partition_config_selectorILNS1_17partition_subalgoE3EjNS0_10empty_typeEbEEZZNS1_14partition_implILS8_3ELb0ES6_jNS0_17counting_iteratorIjlEEPS9_SE_NS0_5tupleIJPjSE_EEENSF_IJSE_SE_EEES9_SG_JZNS1_25segmented_radix_sort_implINS0_14default_configELb1EPKaPaPKlPlN2at6native12_GLOBAL__N_18offset_tEEE10hipError_tPvRmT1_PNSt15iterator_traitsISY_E10value_typeET2_T3_PNSZ_IS14_E10value_typeET4_jRbjT5_S1A_jjP12ihipStream_tbEUljE_EEESV_SW_SX_S14_S18_S1A_T6_T7_T9_mT8_S1C_bDpT10_ENKUlT_T0_E_clISt17integral_constantIbLb1EES1O_IbLb0EEEEDaS1K_S1L_EUlS1K_E_NS1_11comp_targetILNS1_3genE2ELNS1_11target_archE906ELNS1_3gpuE6ELNS1_3repE0EEENS1_30default_config_static_selectorELNS0_4arch9wavefront6targetE1EEEvSY_.num_vgpr, 0
	.set _ZN7rocprim17ROCPRIM_400000_NS6detail17trampoline_kernelINS0_13select_configILj256ELj13ELNS0_17block_load_methodE3ELS4_3ELS4_3ELNS0_20block_scan_algorithmE0ELj4294967295EEENS1_25partition_config_selectorILNS1_17partition_subalgoE3EjNS0_10empty_typeEbEEZZNS1_14partition_implILS8_3ELb0ES6_jNS0_17counting_iteratorIjlEEPS9_SE_NS0_5tupleIJPjSE_EEENSF_IJSE_SE_EEES9_SG_JZNS1_25segmented_radix_sort_implINS0_14default_configELb1EPKaPaPKlPlN2at6native12_GLOBAL__N_18offset_tEEE10hipError_tPvRmT1_PNSt15iterator_traitsISY_E10value_typeET2_T3_PNSZ_IS14_E10value_typeET4_jRbjT5_S1A_jjP12ihipStream_tbEUljE_EEESV_SW_SX_S14_S18_S1A_T6_T7_T9_mT8_S1C_bDpT10_ENKUlT_T0_E_clISt17integral_constantIbLb1EES1O_IbLb0EEEEDaS1K_S1L_EUlS1K_E_NS1_11comp_targetILNS1_3genE2ELNS1_11target_archE906ELNS1_3gpuE6ELNS1_3repE0EEENS1_30default_config_static_selectorELNS0_4arch9wavefront6targetE1EEEvSY_.num_agpr, 0
	.set _ZN7rocprim17ROCPRIM_400000_NS6detail17trampoline_kernelINS0_13select_configILj256ELj13ELNS0_17block_load_methodE3ELS4_3ELS4_3ELNS0_20block_scan_algorithmE0ELj4294967295EEENS1_25partition_config_selectorILNS1_17partition_subalgoE3EjNS0_10empty_typeEbEEZZNS1_14partition_implILS8_3ELb0ES6_jNS0_17counting_iteratorIjlEEPS9_SE_NS0_5tupleIJPjSE_EEENSF_IJSE_SE_EEES9_SG_JZNS1_25segmented_radix_sort_implINS0_14default_configELb1EPKaPaPKlPlN2at6native12_GLOBAL__N_18offset_tEEE10hipError_tPvRmT1_PNSt15iterator_traitsISY_E10value_typeET2_T3_PNSZ_IS14_E10value_typeET4_jRbjT5_S1A_jjP12ihipStream_tbEUljE_EEESV_SW_SX_S14_S18_S1A_T6_T7_T9_mT8_S1C_bDpT10_ENKUlT_T0_E_clISt17integral_constantIbLb1EES1O_IbLb0EEEEDaS1K_S1L_EUlS1K_E_NS1_11comp_targetILNS1_3genE2ELNS1_11target_archE906ELNS1_3gpuE6ELNS1_3repE0EEENS1_30default_config_static_selectorELNS0_4arch9wavefront6targetE1EEEvSY_.numbered_sgpr, 0
	.set _ZN7rocprim17ROCPRIM_400000_NS6detail17trampoline_kernelINS0_13select_configILj256ELj13ELNS0_17block_load_methodE3ELS4_3ELS4_3ELNS0_20block_scan_algorithmE0ELj4294967295EEENS1_25partition_config_selectorILNS1_17partition_subalgoE3EjNS0_10empty_typeEbEEZZNS1_14partition_implILS8_3ELb0ES6_jNS0_17counting_iteratorIjlEEPS9_SE_NS0_5tupleIJPjSE_EEENSF_IJSE_SE_EEES9_SG_JZNS1_25segmented_radix_sort_implINS0_14default_configELb1EPKaPaPKlPlN2at6native12_GLOBAL__N_18offset_tEEE10hipError_tPvRmT1_PNSt15iterator_traitsISY_E10value_typeET2_T3_PNSZ_IS14_E10value_typeET4_jRbjT5_S1A_jjP12ihipStream_tbEUljE_EEESV_SW_SX_S14_S18_S1A_T6_T7_T9_mT8_S1C_bDpT10_ENKUlT_T0_E_clISt17integral_constantIbLb1EES1O_IbLb0EEEEDaS1K_S1L_EUlS1K_E_NS1_11comp_targetILNS1_3genE2ELNS1_11target_archE906ELNS1_3gpuE6ELNS1_3repE0EEENS1_30default_config_static_selectorELNS0_4arch9wavefront6targetE1EEEvSY_.num_named_barrier, 0
	.set _ZN7rocprim17ROCPRIM_400000_NS6detail17trampoline_kernelINS0_13select_configILj256ELj13ELNS0_17block_load_methodE3ELS4_3ELS4_3ELNS0_20block_scan_algorithmE0ELj4294967295EEENS1_25partition_config_selectorILNS1_17partition_subalgoE3EjNS0_10empty_typeEbEEZZNS1_14partition_implILS8_3ELb0ES6_jNS0_17counting_iteratorIjlEEPS9_SE_NS0_5tupleIJPjSE_EEENSF_IJSE_SE_EEES9_SG_JZNS1_25segmented_radix_sort_implINS0_14default_configELb1EPKaPaPKlPlN2at6native12_GLOBAL__N_18offset_tEEE10hipError_tPvRmT1_PNSt15iterator_traitsISY_E10value_typeET2_T3_PNSZ_IS14_E10value_typeET4_jRbjT5_S1A_jjP12ihipStream_tbEUljE_EEESV_SW_SX_S14_S18_S1A_T6_T7_T9_mT8_S1C_bDpT10_ENKUlT_T0_E_clISt17integral_constantIbLb1EES1O_IbLb0EEEEDaS1K_S1L_EUlS1K_E_NS1_11comp_targetILNS1_3genE2ELNS1_11target_archE906ELNS1_3gpuE6ELNS1_3repE0EEENS1_30default_config_static_selectorELNS0_4arch9wavefront6targetE1EEEvSY_.private_seg_size, 0
	.set _ZN7rocprim17ROCPRIM_400000_NS6detail17trampoline_kernelINS0_13select_configILj256ELj13ELNS0_17block_load_methodE3ELS4_3ELS4_3ELNS0_20block_scan_algorithmE0ELj4294967295EEENS1_25partition_config_selectorILNS1_17partition_subalgoE3EjNS0_10empty_typeEbEEZZNS1_14partition_implILS8_3ELb0ES6_jNS0_17counting_iteratorIjlEEPS9_SE_NS0_5tupleIJPjSE_EEENSF_IJSE_SE_EEES9_SG_JZNS1_25segmented_radix_sort_implINS0_14default_configELb1EPKaPaPKlPlN2at6native12_GLOBAL__N_18offset_tEEE10hipError_tPvRmT1_PNSt15iterator_traitsISY_E10value_typeET2_T3_PNSZ_IS14_E10value_typeET4_jRbjT5_S1A_jjP12ihipStream_tbEUljE_EEESV_SW_SX_S14_S18_S1A_T6_T7_T9_mT8_S1C_bDpT10_ENKUlT_T0_E_clISt17integral_constantIbLb1EES1O_IbLb0EEEEDaS1K_S1L_EUlS1K_E_NS1_11comp_targetILNS1_3genE2ELNS1_11target_archE906ELNS1_3gpuE6ELNS1_3repE0EEENS1_30default_config_static_selectorELNS0_4arch9wavefront6targetE1EEEvSY_.uses_vcc, 0
	.set _ZN7rocprim17ROCPRIM_400000_NS6detail17trampoline_kernelINS0_13select_configILj256ELj13ELNS0_17block_load_methodE3ELS4_3ELS4_3ELNS0_20block_scan_algorithmE0ELj4294967295EEENS1_25partition_config_selectorILNS1_17partition_subalgoE3EjNS0_10empty_typeEbEEZZNS1_14partition_implILS8_3ELb0ES6_jNS0_17counting_iteratorIjlEEPS9_SE_NS0_5tupleIJPjSE_EEENSF_IJSE_SE_EEES9_SG_JZNS1_25segmented_radix_sort_implINS0_14default_configELb1EPKaPaPKlPlN2at6native12_GLOBAL__N_18offset_tEEE10hipError_tPvRmT1_PNSt15iterator_traitsISY_E10value_typeET2_T3_PNSZ_IS14_E10value_typeET4_jRbjT5_S1A_jjP12ihipStream_tbEUljE_EEESV_SW_SX_S14_S18_S1A_T6_T7_T9_mT8_S1C_bDpT10_ENKUlT_T0_E_clISt17integral_constantIbLb1EES1O_IbLb0EEEEDaS1K_S1L_EUlS1K_E_NS1_11comp_targetILNS1_3genE2ELNS1_11target_archE906ELNS1_3gpuE6ELNS1_3repE0EEENS1_30default_config_static_selectorELNS0_4arch9wavefront6targetE1EEEvSY_.uses_flat_scratch, 0
	.set _ZN7rocprim17ROCPRIM_400000_NS6detail17trampoline_kernelINS0_13select_configILj256ELj13ELNS0_17block_load_methodE3ELS4_3ELS4_3ELNS0_20block_scan_algorithmE0ELj4294967295EEENS1_25partition_config_selectorILNS1_17partition_subalgoE3EjNS0_10empty_typeEbEEZZNS1_14partition_implILS8_3ELb0ES6_jNS0_17counting_iteratorIjlEEPS9_SE_NS0_5tupleIJPjSE_EEENSF_IJSE_SE_EEES9_SG_JZNS1_25segmented_radix_sort_implINS0_14default_configELb1EPKaPaPKlPlN2at6native12_GLOBAL__N_18offset_tEEE10hipError_tPvRmT1_PNSt15iterator_traitsISY_E10value_typeET2_T3_PNSZ_IS14_E10value_typeET4_jRbjT5_S1A_jjP12ihipStream_tbEUljE_EEESV_SW_SX_S14_S18_S1A_T6_T7_T9_mT8_S1C_bDpT10_ENKUlT_T0_E_clISt17integral_constantIbLb1EES1O_IbLb0EEEEDaS1K_S1L_EUlS1K_E_NS1_11comp_targetILNS1_3genE2ELNS1_11target_archE906ELNS1_3gpuE6ELNS1_3repE0EEENS1_30default_config_static_selectorELNS0_4arch9wavefront6targetE1EEEvSY_.has_dyn_sized_stack, 0
	.set _ZN7rocprim17ROCPRIM_400000_NS6detail17trampoline_kernelINS0_13select_configILj256ELj13ELNS0_17block_load_methodE3ELS4_3ELS4_3ELNS0_20block_scan_algorithmE0ELj4294967295EEENS1_25partition_config_selectorILNS1_17partition_subalgoE3EjNS0_10empty_typeEbEEZZNS1_14partition_implILS8_3ELb0ES6_jNS0_17counting_iteratorIjlEEPS9_SE_NS0_5tupleIJPjSE_EEENSF_IJSE_SE_EEES9_SG_JZNS1_25segmented_radix_sort_implINS0_14default_configELb1EPKaPaPKlPlN2at6native12_GLOBAL__N_18offset_tEEE10hipError_tPvRmT1_PNSt15iterator_traitsISY_E10value_typeET2_T3_PNSZ_IS14_E10value_typeET4_jRbjT5_S1A_jjP12ihipStream_tbEUljE_EEESV_SW_SX_S14_S18_S1A_T6_T7_T9_mT8_S1C_bDpT10_ENKUlT_T0_E_clISt17integral_constantIbLb1EES1O_IbLb0EEEEDaS1K_S1L_EUlS1K_E_NS1_11comp_targetILNS1_3genE2ELNS1_11target_archE906ELNS1_3gpuE6ELNS1_3repE0EEENS1_30default_config_static_selectorELNS0_4arch9wavefront6targetE1EEEvSY_.has_recursion, 0
	.set _ZN7rocprim17ROCPRIM_400000_NS6detail17trampoline_kernelINS0_13select_configILj256ELj13ELNS0_17block_load_methodE3ELS4_3ELS4_3ELNS0_20block_scan_algorithmE0ELj4294967295EEENS1_25partition_config_selectorILNS1_17partition_subalgoE3EjNS0_10empty_typeEbEEZZNS1_14partition_implILS8_3ELb0ES6_jNS0_17counting_iteratorIjlEEPS9_SE_NS0_5tupleIJPjSE_EEENSF_IJSE_SE_EEES9_SG_JZNS1_25segmented_radix_sort_implINS0_14default_configELb1EPKaPaPKlPlN2at6native12_GLOBAL__N_18offset_tEEE10hipError_tPvRmT1_PNSt15iterator_traitsISY_E10value_typeET2_T3_PNSZ_IS14_E10value_typeET4_jRbjT5_S1A_jjP12ihipStream_tbEUljE_EEESV_SW_SX_S14_S18_S1A_T6_T7_T9_mT8_S1C_bDpT10_ENKUlT_T0_E_clISt17integral_constantIbLb1EES1O_IbLb0EEEEDaS1K_S1L_EUlS1K_E_NS1_11comp_targetILNS1_3genE2ELNS1_11target_archE906ELNS1_3gpuE6ELNS1_3repE0EEENS1_30default_config_static_selectorELNS0_4arch9wavefront6targetE1EEEvSY_.has_indirect_call, 0
	.section	.AMDGPU.csdata,"",@progbits
; Kernel info:
; codeLenInByte = 4
; TotalNumSgprs: 4
; NumVgprs: 0
; ScratchSize: 0
; MemoryBound: 0
; FloatMode: 240
; IeeeMode: 1
; LDSByteSize: 0 bytes/workgroup (compile time only)
; SGPRBlocks: 0
; VGPRBlocks: 0
; NumSGPRsForWavesPerEU: 4
; NumVGPRsForWavesPerEU: 1
; Occupancy: 10
; WaveLimiterHint : 0
; COMPUTE_PGM_RSRC2:SCRATCH_EN: 0
; COMPUTE_PGM_RSRC2:USER_SGPR: 6
; COMPUTE_PGM_RSRC2:TRAP_HANDLER: 0
; COMPUTE_PGM_RSRC2:TGID_X_EN: 1
; COMPUTE_PGM_RSRC2:TGID_Y_EN: 0
; COMPUTE_PGM_RSRC2:TGID_Z_EN: 0
; COMPUTE_PGM_RSRC2:TIDIG_COMP_CNT: 0
	.section	.text._ZN7rocprim17ROCPRIM_400000_NS6detail17trampoline_kernelINS0_13select_configILj256ELj13ELNS0_17block_load_methodE3ELS4_3ELS4_3ELNS0_20block_scan_algorithmE0ELj4294967295EEENS1_25partition_config_selectorILNS1_17partition_subalgoE3EjNS0_10empty_typeEbEEZZNS1_14partition_implILS8_3ELb0ES6_jNS0_17counting_iteratorIjlEEPS9_SE_NS0_5tupleIJPjSE_EEENSF_IJSE_SE_EEES9_SG_JZNS1_25segmented_radix_sort_implINS0_14default_configELb1EPKaPaPKlPlN2at6native12_GLOBAL__N_18offset_tEEE10hipError_tPvRmT1_PNSt15iterator_traitsISY_E10value_typeET2_T3_PNSZ_IS14_E10value_typeET4_jRbjT5_S1A_jjP12ihipStream_tbEUljE_EEESV_SW_SX_S14_S18_S1A_T6_T7_T9_mT8_S1C_bDpT10_ENKUlT_T0_E_clISt17integral_constantIbLb1EES1O_IbLb0EEEEDaS1K_S1L_EUlS1K_E_NS1_11comp_targetILNS1_3genE10ELNS1_11target_archE1200ELNS1_3gpuE4ELNS1_3repE0EEENS1_30default_config_static_selectorELNS0_4arch9wavefront6targetE1EEEvSY_,"axG",@progbits,_ZN7rocprim17ROCPRIM_400000_NS6detail17trampoline_kernelINS0_13select_configILj256ELj13ELNS0_17block_load_methodE3ELS4_3ELS4_3ELNS0_20block_scan_algorithmE0ELj4294967295EEENS1_25partition_config_selectorILNS1_17partition_subalgoE3EjNS0_10empty_typeEbEEZZNS1_14partition_implILS8_3ELb0ES6_jNS0_17counting_iteratorIjlEEPS9_SE_NS0_5tupleIJPjSE_EEENSF_IJSE_SE_EEES9_SG_JZNS1_25segmented_radix_sort_implINS0_14default_configELb1EPKaPaPKlPlN2at6native12_GLOBAL__N_18offset_tEEE10hipError_tPvRmT1_PNSt15iterator_traitsISY_E10value_typeET2_T3_PNSZ_IS14_E10value_typeET4_jRbjT5_S1A_jjP12ihipStream_tbEUljE_EEESV_SW_SX_S14_S18_S1A_T6_T7_T9_mT8_S1C_bDpT10_ENKUlT_T0_E_clISt17integral_constantIbLb1EES1O_IbLb0EEEEDaS1K_S1L_EUlS1K_E_NS1_11comp_targetILNS1_3genE10ELNS1_11target_archE1200ELNS1_3gpuE4ELNS1_3repE0EEENS1_30default_config_static_selectorELNS0_4arch9wavefront6targetE1EEEvSY_,comdat
	.globl	_ZN7rocprim17ROCPRIM_400000_NS6detail17trampoline_kernelINS0_13select_configILj256ELj13ELNS0_17block_load_methodE3ELS4_3ELS4_3ELNS0_20block_scan_algorithmE0ELj4294967295EEENS1_25partition_config_selectorILNS1_17partition_subalgoE3EjNS0_10empty_typeEbEEZZNS1_14partition_implILS8_3ELb0ES6_jNS0_17counting_iteratorIjlEEPS9_SE_NS0_5tupleIJPjSE_EEENSF_IJSE_SE_EEES9_SG_JZNS1_25segmented_radix_sort_implINS0_14default_configELb1EPKaPaPKlPlN2at6native12_GLOBAL__N_18offset_tEEE10hipError_tPvRmT1_PNSt15iterator_traitsISY_E10value_typeET2_T3_PNSZ_IS14_E10value_typeET4_jRbjT5_S1A_jjP12ihipStream_tbEUljE_EEESV_SW_SX_S14_S18_S1A_T6_T7_T9_mT8_S1C_bDpT10_ENKUlT_T0_E_clISt17integral_constantIbLb1EES1O_IbLb0EEEEDaS1K_S1L_EUlS1K_E_NS1_11comp_targetILNS1_3genE10ELNS1_11target_archE1200ELNS1_3gpuE4ELNS1_3repE0EEENS1_30default_config_static_selectorELNS0_4arch9wavefront6targetE1EEEvSY_ ; -- Begin function _ZN7rocprim17ROCPRIM_400000_NS6detail17trampoline_kernelINS0_13select_configILj256ELj13ELNS0_17block_load_methodE3ELS4_3ELS4_3ELNS0_20block_scan_algorithmE0ELj4294967295EEENS1_25partition_config_selectorILNS1_17partition_subalgoE3EjNS0_10empty_typeEbEEZZNS1_14partition_implILS8_3ELb0ES6_jNS0_17counting_iteratorIjlEEPS9_SE_NS0_5tupleIJPjSE_EEENSF_IJSE_SE_EEES9_SG_JZNS1_25segmented_radix_sort_implINS0_14default_configELb1EPKaPaPKlPlN2at6native12_GLOBAL__N_18offset_tEEE10hipError_tPvRmT1_PNSt15iterator_traitsISY_E10value_typeET2_T3_PNSZ_IS14_E10value_typeET4_jRbjT5_S1A_jjP12ihipStream_tbEUljE_EEESV_SW_SX_S14_S18_S1A_T6_T7_T9_mT8_S1C_bDpT10_ENKUlT_T0_E_clISt17integral_constantIbLb1EES1O_IbLb0EEEEDaS1K_S1L_EUlS1K_E_NS1_11comp_targetILNS1_3genE10ELNS1_11target_archE1200ELNS1_3gpuE4ELNS1_3repE0EEENS1_30default_config_static_selectorELNS0_4arch9wavefront6targetE1EEEvSY_
	.p2align	8
	.type	_ZN7rocprim17ROCPRIM_400000_NS6detail17trampoline_kernelINS0_13select_configILj256ELj13ELNS0_17block_load_methodE3ELS4_3ELS4_3ELNS0_20block_scan_algorithmE0ELj4294967295EEENS1_25partition_config_selectorILNS1_17partition_subalgoE3EjNS0_10empty_typeEbEEZZNS1_14partition_implILS8_3ELb0ES6_jNS0_17counting_iteratorIjlEEPS9_SE_NS0_5tupleIJPjSE_EEENSF_IJSE_SE_EEES9_SG_JZNS1_25segmented_radix_sort_implINS0_14default_configELb1EPKaPaPKlPlN2at6native12_GLOBAL__N_18offset_tEEE10hipError_tPvRmT1_PNSt15iterator_traitsISY_E10value_typeET2_T3_PNSZ_IS14_E10value_typeET4_jRbjT5_S1A_jjP12ihipStream_tbEUljE_EEESV_SW_SX_S14_S18_S1A_T6_T7_T9_mT8_S1C_bDpT10_ENKUlT_T0_E_clISt17integral_constantIbLb1EES1O_IbLb0EEEEDaS1K_S1L_EUlS1K_E_NS1_11comp_targetILNS1_3genE10ELNS1_11target_archE1200ELNS1_3gpuE4ELNS1_3repE0EEENS1_30default_config_static_selectorELNS0_4arch9wavefront6targetE1EEEvSY_,@function
_ZN7rocprim17ROCPRIM_400000_NS6detail17trampoline_kernelINS0_13select_configILj256ELj13ELNS0_17block_load_methodE3ELS4_3ELS4_3ELNS0_20block_scan_algorithmE0ELj4294967295EEENS1_25partition_config_selectorILNS1_17partition_subalgoE3EjNS0_10empty_typeEbEEZZNS1_14partition_implILS8_3ELb0ES6_jNS0_17counting_iteratorIjlEEPS9_SE_NS0_5tupleIJPjSE_EEENSF_IJSE_SE_EEES9_SG_JZNS1_25segmented_radix_sort_implINS0_14default_configELb1EPKaPaPKlPlN2at6native12_GLOBAL__N_18offset_tEEE10hipError_tPvRmT1_PNSt15iterator_traitsISY_E10value_typeET2_T3_PNSZ_IS14_E10value_typeET4_jRbjT5_S1A_jjP12ihipStream_tbEUljE_EEESV_SW_SX_S14_S18_S1A_T6_T7_T9_mT8_S1C_bDpT10_ENKUlT_T0_E_clISt17integral_constantIbLb1EES1O_IbLb0EEEEDaS1K_S1L_EUlS1K_E_NS1_11comp_targetILNS1_3genE10ELNS1_11target_archE1200ELNS1_3gpuE4ELNS1_3repE0EEENS1_30default_config_static_selectorELNS0_4arch9wavefront6targetE1EEEvSY_: ; @_ZN7rocprim17ROCPRIM_400000_NS6detail17trampoline_kernelINS0_13select_configILj256ELj13ELNS0_17block_load_methodE3ELS4_3ELS4_3ELNS0_20block_scan_algorithmE0ELj4294967295EEENS1_25partition_config_selectorILNS1_17partition_subalgoE3EjNS0_10empty_typeEbEEZZNS1_14partition_implILS8_3ELb0ES6_jNS0_17counting_iteratorIjlEEPS9_SE_NS0_5tupleIJPjSE_EEENSF_IJSE_SE_EEES9_SG_JZNS1_25segmented_radix_sort_implINS0_14default_configELb1EPKaPaPKlPlN2at6native12_GLOBAL__N_18offset_tEEE10hipError_tPvRmT1_PNSt15iterator_traitsISY_E10value_typeET2_T3_PNSZ_IS14_E10value_typeET4_jRbjT5_S1A_jjP12ihipStream_tbEUljE_EEESV_SW_SX_S14_S18_S1A_T6_T7_T9_mT8_S1C_bDpT10_ENKUlT_T0_E_clISt17integral_constantIbLb1EES1O_IbLb0EEEEDaS1K_S1L_EUlS1K_E_NS1_11comp_targetILNS1_3genE10ELNS1_11target_archE1200ELNS1_3gpuE4ELNS1_3repE0EEENS1_30default_config_static_selectorELNS0_4arch9wavefront6targetE1EEEvSY_
; %bb.0:
	.section	.rodata,"a",@progbits
	.p2align	6, 0x0
	.amdhsa_kernel _ZN7rocprim17ROCPRIM_400000_NS6detail17trampoline_kernelINS0_13select_configILj256ELj13ELNS0_17block_load_methodE3ELS4_3ELS4_3ELNS0_20block_scan_algorithmE0ELj4294967295EEENS1_25partition_config_selectorILNS1_17partition_subalgoE3EjNS0_10empty_typeEbEEZZNS1_14partition_implILS8_3ELb0ES6_jNS0_17counting_iteratorIjlEEPS9_SE_NS0_5tupleIJPjSE_EEENSF_IJSE_SE_EEES9_SG_JZNS1_25segmented_radix_sort_implINS0_14default_configELb1EPKaPaPKlPlN2at6native12_GLOBAL__N_18offset_tEEE10hipError_tPvRmT1_PNSt15iterator_traitsISY_E10value_typeET2_T3_PNSZ_IS14_E10value_typeET4_jRbjT5_S1A_jjP12ihipStream_tbEUljE_EEESV_SW_SX_S14_S18_S1A_T6_T7_T9_mT8_S1C_bDpT10_ENKUlT_T0_E_clISt17integral_constantIbLb1EES1O_IbLb0EEEEDaS1K_S1L_EUlS1K_E_NS1_11comp_targetILNS1_3genE10ELNS1_11target_archE1200ELNS1_3gpuE4ELNS1_3repE0EEENS1_30default_config_static_selectorELNS0_4arch9wavefront6targetE1EEEvSY_
		.amdhsa_group_segment_fixed_size 0
		.amdhsa_private_segment_fixed_size 0
		.amdhsa_kernarg_size 144
		.amdhsa_user_sgpr_count 6
		.amdhsa_user_sgpr_private_segment_buffer 1
		.amdhsa_user_sgpr_dispatch_ptr 0
		.amdhsa_user_sgpr_queue_ptr 0
		.amdhsa_user_sgpr_kernarg_segment_ptr 1
		.amdhsa_user_sgpr_dispatch_id 0
		.amdhsa_user_sgpr_flat_scratch_init 0
		.amdhsa_user_sgpr_private_segment_size 0
		.amdhsa_uses_dynamic_stack 0
		.amdhsa_system_sgpr_private_segment_wavefront_offset 0
		.amdhsa_system_sgpr_workgroup_id_x 1
		.amdhsa_system_sgpr_workgroup_id_y 0
		.amdhsa_system_sgpr_workgroup_id_z 0
		.amdhsa_system_sgpr_workgroup_info 0
		.amdhsa_system_vgpr_workitem_id 0
		.amdhsa_next_free_vgpr 1
		.amdhsa_next_free_sgpr 0
		.amdhsa_reserve_vcc 0
		.amdhsa_reserve_flat_scratch 0
		.amdhsa_float_round_mode_32 0
		.amdhsa_float_round_mode_16_64 0
		.amdhsa_float_denorm_mode_32 3
		.amdhsa_float_denorm_mode_16_64 3
		.amdhsa_dx10_clamp 1
		.amdhsa_ieee_mode 1
		.amdhsa_fp16_overflow 0
		.amdhsa_exception_fp_ieee_invalid_op 0
		.amdhsa_exception_fp_denorm_src 0
		.amdhsa_exception_fp_ieee_div_zero 0
		.amdhsa_exception_fp_ieee_overflow 0
		.amdhsa_exception_fp_ieee_underflow 0
		.amdhsa_exception_fp_ieee_inexact 0
		.amdhsa_exception_int_div_zero 0
	.end_amdhsa_kernel
	.section	.text._ZN7rocprim17ROCPRIM_400000_NS6detail17trampoline_kernelINS0_13select_configILj256ELj13ELNS0_17block_load_methodE3ELS4_3ELS4_3ELNS0_20block_scan_algorithmE0ELj4294967295EEENS1_25partition_config_selectorILNS1_17partition_subalgoE3EjNS0_10empty_typeEbEEZZNS1_14partition_implILS8_3ELb0ES6_jNS0_17counting_iteratorIjlEEPS9_SE_NS0_5tupleIJPjSE_EEENSF_IJSE_SE_EEES9_SG_JZNS1_25segmented_radix_sort_implINS0_14default_configELb1EPKaPaPKlPlN2at6native12_GLOBAL__N_18offset_tEEE10hipError_tPvRmT1_PNSt15iterator_traitsISY_E10value_typeET2_T3_PNSZ_IS14_E10value_typeET4_jRbjT5_S1A_jjP12ihipStream_tbEUljE_EEESV_SW_SX_S14_S18_S1A_T6_T7_T9_mT8_S1C_bDpT10_ENKUlT_T0_E_clISt17integral_constantIbLb1EES1O_IbLb0EEEEDaS1K_S1L_EUlS1K_E_NS1_11comp_targetILNS1_3genE10ELNS1_11target_archE1200ELNS1_3gpuE4ELNS1_3repE0EEENS1_30default_config_static_selectorELNS0_4arch9wavefront6targetE1EEEvSY_,"axG",@progbits,_ZN7rocprim17ROCPRIM_400000_NS6detail17trampoline_kernelINS0_13select_configILj256ELj13ELNS0_17block_load_methodE3ELS4_3ELS4_3ELNS0_20block_scan_algorithmE0ELj4294967295EEENS1_25partition_config_selectorILNS1_17partition_subalgoE3EjNS0_10empty_typeEbEEZZNS1_14partition_implILS8_3ELb0ES6_jNS0_17counting_iteratorIjlEEPS9_SE_NS0_5tupleIJPjSE_EEENSF_IJSE_SE_EEES9_SG_JZNS1_25segmented_radix_sort_implINS0_14default_configELb1EPKaPaPKlPlN2at6native12_GLOBAL__N_18offset_tEEE10hipError_tPvRmT1_PNSt15iterator_traitsISY_E10value_typeET2_T3_PNSZ_IS14_E10value_typeET4_jRbjT5_S1A_jjP12ihipStream_tbEUljE_EEESV_SW_SX_S14_S18_S1A_T6_T7_T9_mT8_S1C_bDpT10_ENKUlT_T0_E_clISt17integral_constantIbLb1EES1O_IbLb0EEEEDaS1K_S1L_EUlS1K_E_NS1_11comp_targetILNS1_3genE10ELNS1_11target_archE1200ELNS1_3gpuE4ELNS1_3repE0EEENS1_30default_config_static_selectorELNS0_4arch9wavefront6targetE1EEEvSY_,comdat
.Lfunc_end279:
	.size	_ZN7rocprim17ROCPRIM_400000_NS6detail17trampoline_kernelINS0_13select_configILj256ELj13ELNS0_17block_load_methodE3ELS4_3ELS4_3ELNS0_20block_scan_algorithmE0ELj4294967295EEENS1_25partition_config_selectorILNS1_17partition_subalgoE3EjNS0_10empty_typeEbEEZZNS1_14partition_implILS8_3ELb0ES6_jNS0_17counting_iteratorIjlEEPS9_SE_NS0_5tupleIJPjSE_EEENSF_IJSE_SE_EEES9_SG_JZNS1_25segmented_radix_sort_implINS0_14default_configELb1EPKaPaPKlPlN2at6native12_GLOBAL__N_18offset_tEEE10hipError_tPvRmT1_PNSt15iterator_traitsISY_E10value_typeET2_T3_PNSZ_IS14_E10value_typeET4_jRbjT5_S1A_jjP12ihipStream_tbEUljE_EEESV_SW_SX_S14_S18_S1A_T6_T7_T9_mT8_S1C_bDpT10_ENKUlT_T0_E_clISt17integral_constantIbLb1EES1O_IbLb0EEEEDaS1K_S1L_EUlS1K_E_NS1_11comp_targetILNS1_3genE10ELNS1_11target_archE1200ELNS1_3gpuE4ELNS1_3repE0EEENS1_30default_config_static_selectorELNS0_4arch9wavefront6targetE1EEEvSY_, .Lfunc_end279-_ZN7rocprim17ROCPRIM_400000_NS6detail17trampoline_kernelINS0_13select_configILj256ELj13ELNS0_17block_load_methodE3ELS4_3ELS4_3ELNS0_20block_scan_algorithmE0ELj4294967295EEENS1_25partition_config_selectorILNS1_17partition_subalgoE3EjNS0_10empty_typeEbEEZZNS1_14partition_implILS8_3ELb0ES6_jNS0_17counting_iteratorIjlEEPS9_SE_NS0_5tupleIJPjSE_EEENSF_IJSE_SE_EEES9_SG_JZNS1_25segmented_radix_sort_implINS0_14default_configELb1EPKaPaPKlPlN2at6native12_GLOBAL__N_18offset_tEEE10hipError_tPvRmT1_PNSt15iterator_traitsISY_E10value_typeET2_T3_PNSZ_IS14_E10value_typeET4_jRbjT5_S1A_jjP12ihipStream_tbEUljE_EEESV_SW_SX_S14_S18_S1A_T6_T7_T9_mT8_S1C_bDpT10_ENKUlT_T0_E_clISt17integral_constantIbLb1EES1O_IbLb0EEEEDaS1K_S1L_EUlS1K_E_NS1_11comp_targetILNS1_3genE10ELNS1_11target_archE1200ELNS1_3gpuE4ELNS1_3repE0EEENS1_30default_config_static_selectorELNS0_4arch9wavefront6targetE1EEEvSY_
                                        ; -- End function
	.set _ZN7rocprim17ROCPRIM_400000_NS6detail17trampoline_kernelINS0_13select_configILj256ELj13ELNS0_17block_load_methodE3ELS4_3ELS4_3ELNS0_20block_scan_algorithmE0ELj4294967295EEENS1_25partition_config_selectorILNS1_17partition_subalgoE3EjNS0_10empty_typeEbEEZZNS1_14partition_implILS8_3ELb0ES6_jNS0_17counting_iteratorIjlEEPS9_SE_NS0_5tupleIJPjSE_EEENSF_IJSE_SE_EEES9_SG_JZNS1_25segmented_radix_sort_implINS0_14default_configELb1EPKaPaPKlPlN2at6native12_GLOBAL__N_18offset_tEEE10hipError_tPvRmT1_PNSt15iterator_traitsISY_E10value_typeET2_T3_PNSZ_IS14_E10value_typeET4_jRbjT5_S1A_jjP12ihipStream_tbEUljE_EEESV_SW_SX_S14_S18_S1A_T6_T7_T9_mT8_S1C_bDpT10_ENKUlT_T0_E_clISt17integral_constantIbLb1EES1O_IbLb0EEEEDaS1K_S1L_EUlS1K_E_NS1_11comp_targetILNS1_3genE10ELNS1_11target_archE1200ELNS1_3gpuE4ELNS1_3repE0EEENS1_30default_config_static_selectorELNS0_4arch9wavefront6targetE1EEEvSY_.num_vgpr, 0
	.set _ZN7rocprim17ROCPRIM_400000_NS6detail17trampoline_kernelINS0_13select_configILj256ELj13ELNS0_17block_load_methodE3ELS4_3ELS4_3ELNS0_20block_scan_algorithmE0ELj4294967295EEENS1_25partition_config_selectorILNS1_17partition_subalgoE3EjNS0_10empty_typeEbEEZZNS1_14partition_implILS8_3ELb0ES6_jNS0_17counting_iteratorIjlEEPS9_SE_NS0_5tupleIJPjSE_EEENSF_IJSE_SE_EEES9_SG_JZNS1_25segmented_radix_sort_implINS0_14default_configELb1EPKaPaPKlPlN2at6native12_GLOBAL__N_18offset_tEEE10hipError_tPvRmT1_PNSt15iterator_traitsISY_E10value_typeET2_T3_PNSZ_IS14_E10value_typeET4_jRbjT5_S1A_jjP12ihipStream_tbEUljE_EEESV_SW_SX_S14_S18_S1A_T6_T7_T9_mT8_S1C_bDpT10_ENKUlT_T0_E_clISt17integral_constantIbLb1EES1O_IbLb0EEEEDaS1K_S1L_EUlS1K_E_NS1_11comp_targetILNS1_3genE10ELNS1_11target_archE1200ELNS1_3gpuE4ELNS1_3repE0EEENS1_30default_config_static_selectorELNS0_4arch9wavefront6targetE1EEEvSY_.num_agpr, 0
	.set _ZN7rocprim17ROCPRIM_400000_NS6detail17trampoline_kernelINS0_13select_configILj256ELj13ELNS0_17block_load_methodE3ELS4_3ELS4_3ELNS0_20block_scan_algorithmE0ELj4294967295EEENS1_25partition_config_selectorILNS1_17partition_subalgoE3EjNS0_10empty_typeEbEEZZNS1_14partition_implILS8_3ELb0ES6_jNS0_17counting_iteratorIjlEEPS9_SE_NS0_5tupleIJPjSE_EEENSF_IJSE_SE_EEES9_SG_JZNS1_25segmented_radix_sort_implINS0_14default_configELb1EPKaPaPKlPlN2at6native12_GLOBAL__N_18offset_tEEE10hipError_tPvRmT1_PNSt15iterator_traitsISY_E10value_typeET2_T3_PNSZ_IS14_E10value_typeET4_jRbjT5_S1A_jjP12ihipStream_tbEUljE_EEESV_SW_SX_S14_S18_S1A_T6_T7_T9_mT8_S1C_bDpT10_ENKUlT_T0_E_clISt17integral_constantIbLb1EES1O_IbLb0EEEEDaS1K_S1L_EUlS1K_E_NS1_11comp_targetILNS1_3genE10ELNS1_11target_archE1200ELNS1_3gpuE4ELNS1_3repE0EEENS1_30default_config_static_selectorELNS0_4arch9wavefront6targetE1EEEvSY_.numbered_sgpr, 0
	.set _ZN7rocprim17ROCPRIM_400000_NS6detail17trampoline_kernelINS0_13select_configILj256ELj13ELNS0_17block_load_methodE3ELS4_3ELS4_3ELNS0_20block_scan_algorithmE0ELj4294967295EEENS1_25partition_config_selectorILNS1_17partition_subalgoE3EjNS0_10empty_typeEbEEZZNS1_14partition_implILS8_3ELb0ES6_jNS0_17counting_iteratorIjlEEPS9_SE_NS0_5tupleIJPjSE_EEENSF_IJSE_SE_EEES9_SG_JZNS1_25segmented_radix_sort_implINS0_14default_configELb1EPKaPaPKlPlN2at6native12_GLOBAL__N_18offset_tEEE10hipError_tPvRmT1_PNSt15iterator_traitsISY_E10value_typeET2_T3_PNSZ_IS14_E10value_typeET4_jRbjT5_S1A_jjP12ihipStream_tbEUljE_EEESV_SW_SX_S14_S18_S1A_T6_T7_T9_mT8_S1C_bDpT10_ENKUlT_T0_E_clISt17integral_constantIbLb1EES1O_IbLb0EEEEDaS1K_S1L_EUlS1K_E_NS1_11comp_targetILNS1_3genE10ELNS1_11target_archE1200ELNS1_3gpuE4ELNS1_3repE0EEENS1_30default_config_static_selectorELNS0_4arch9wavefront6targetE1EEEvSY_.num_named_barrier, 0
	.set _ZN7rocprim17ROCPRIM_400000_NS6detail17trampoline_kernelINS0_13select_configILj256ELj13ELNS0_17block_load_methodE3ELS4_3ELS4_3ELNS0_20block_scan_algorithmE0ELj4294967295EEENS1_25partition_config_selectorILNS1_17partition_subalgoE3EjNS0_10empty_typeEbEEZZNS1_14partition_implILS8_3ELb0ES6_jNS0_17counting_iteratorIjlEEPS9_SE_NS0_5tupleIJPjSE_EEENSF_IJSE_SE_EEES9_SG_JZNS1_25segmented_radix_sort_implINS0_14default_configELb1EPKaPaPKlPlN2at6native12_GLOBAL__N_18offset_tEEE10hipError_tPvRmT1_PNSt15iterator_traitsISY_E10value_typeET2_T3_PNSZ_IS14_E10value_typeET4_jRbjT5_S1A_jjP12ihipStream_tbEUljE_EEESV_SW_SX_S14_S18_S1A_T6_T7_T9_mT8_S1C_bDpT10_ENKUlT_T0_E_clISt17integral_constantIbLb1EES1O_IbLb0EEEEDaS1K_S1L_EUlS1K_E_NS1_11comp_targetILNS1_3genE10ELNS1_11target_archE1200ELNS1_3gpuE4ELNS1_3repE0EEENS1_30default_config_static_selectorELNS0_4arch9wavefront6targetE1EEEvSY_.private_seg_size, 0
	.set _ZN7rocprim17ROCPRIM_400000_NS6detail17trampoline_kernelINS0_13select_configILj256ELj13ELNS0_17block_load_methodE3ELS4_3ELS4_3ELNS0_20block_scan_algorithmE0ELj4294967295EEENS1_25partition_config_selectorILNS1_17partition_subalgoE3EjNS0_10empty_typeEbEEZZNS1_14partition_implILS8_3ELb0ES6_jNS0_17counting_iteratorIjlEEPS9_SE_NS0_5tupleIJPjSE_EEENSF_IJSE_SE_EEES9_SG_JZNS1_25segmented_radix_sort_implINS0_14default_configELb1EPKaPaPKlPlN2at6native12_GLOBAL__N_18offset_tEEE10hipError_tPvRmT1_PNSt15iterator_traitsISY_E10value_typeET2_T3_PNSZ_IS14_E10value_typeET4_jRbjT5_S1A_jjP12ihipStream_tbEUljE_EEESV_SW_SX_S14_S18_S1A_T6_T7_T9_mT8_S1C_bDpT10_ENKUlT_T0_E_clISt17integral_constantIbLb1EES1O_IbLb0EEEEDaS1K_S1L_EUlS1K_E_NS1_11comp_targetILNS1_3genE10ELNS1_11target_archE1200ELNS1_3gpuE4ELNS1_3repE0EEENS1_30default_config_static_selectorELNS0_4arch9wavefront6targetE1EEEvSY_.uses_vcc, 0
	.set _ZN7rocprim17ROCPRIM_400000_NS6detail17trampoline_kernelINS0_13select_configILj256ELj13ELNS0_17block_load_methodE3ELS4_3ELS4_3ELNS0_20block_scan_algorithmE0ELj4294967295EEENS1_25partition_config_selectorILNS1_17partition_subalgoE3EjNS0_10empty_typeEbEEZZNS1_14partition_implILS8_3ELb0ES6_jNS0_17counting_iteratorIjlEEPS9_SE_NS0_5tupleIJPjSE_EEENSF_IJSE_SE_EEES9_SG_JZNS1_25segmented_radix_sort_implINS0_14default_configELb1EPKaPaPKlPlN2at6native12_GLOBAL__N_18offset_tEEE10hipError_tPvRmT1_PNSt15iterator_traitsISY_E10value_typeET2_T3_PNSZ_IS14_E10value_typeET4_jRbjT5_S1A_jjP12ihipStream_tbEUljE_EEESV_SW_SX_S14_S18_S1A_T6_T7_T9_mT8_S1C_bDpT10_ENKUlT_T0_E_clISt17integral_constantIbLb1EES1O_IbLb0EEEEDaS1K_S1L_EUlS1K_E_NS1_11comp_targetILNS1_3genE10ELNS1_11target_archE1200ELNS1_3gpuE4ELNS1_3repE0EEENS1_30default_config_static_selectorELNS0_4arch9wavefront6targetE1EEEvSY_.uses_flat_scratch, 0
	.set _ZN7rocprim17ROCPRIM_400000_NS6detail17trampoline_kernelINS0_13select_configILj256ELj13ELNS0_17block_load_methodE3ELS4_3ELS4_3ELNS0_20block_scan_algorithmE0ELj4294967295EEENS1_25partition_config_selectorILNS1_17partition_subalgoE3EjNS0_10empty_typeEbEEZZNS1_14partition_implILS8_3ELb0ES6_jNS0_17counting_iteratorIjlEEPS9_SE_NS0_5tupleIJPjSE_EEENSF_IJSE_SE_EEES9_SG_JZNS1_25segmented_radix_sort_implINS0_14default_configELb1EPKaPaPKlPlN2at6native12_GLOBAL__N_18offset_tEEE10hipError_tPvRmT1_PNSt15iterator_traitsISY_E10value_typeET2_T3_PNSZ_IS14_E10value_typeET4_jRbjT5_S1A_jjP12ihipStream_tbEUljE_EEESV_SW_SX_S14_S18_S1A_T6_T7_T9_mT8_S1C_bDpT10_ENKUlT_T0_E_clISt17integral_constantIbLb1EES1O_IbLb0EEEEDaS1K_S1L_EUlS1K_E_NS1_11comp_targetILNS1_3genE10ELNS1_11target_archE1200ELNS1_3gpuE4ELNS1_3repE0EEENS1_30default_config_static_selectorELNS0_4arch9wavefront6targetE1EEEvSY_.has_dyn_sized_stack, 0
	.set _ZN7rocprim17ROCPRIM_400000_NS6detail17trampoline_kernelINS0_13select_configILj256ELj13ELNS0_17block_load_methodE3ELS4_3ELS4_3ELNS0_20block_scan_algorithmE0ELj4294967295EEENS1_25partition_config_selectorILNS1_17partition_subalgoE3EjNS0_10empty_typeEbEEZZNS1_14partition_implILS8_3ELb0ES6_jNS0_17counting_iteratorIjlEEPS9_SE_NS0_5tupleIJPjSE_EEENSF_IJSE_SE_EEES9_SG_JZNS1_25segmented_radix_sort_implINS0_14default_configELb1EPKaPaPKlPlN2at6native12_GLOBAL__N_18offset_tEEE10hipError_tPvRmT1_PNSt15iterator_traitsISY_E10value_typeET2_T3_PNSZ_IS14_E10value_typeET4_jRbjT5_S1A_jjP12ihipStream_tbEUljE_EEESV_SW_SX_S14_S18_S1A_T6_T7_T9_mT8_S1C_bDpT10_ENKUlT_T0_E_clISt17integral_constantIbLb1EES1O_IbLb0EEEEDaS1K_S1L_EUlS1K_E_NS1_11comp_targetILNS1_3genE10ELNS1_11target_archE1200ELNS1_3gpuE4ELNS1_3repE0EEENS1_30default_config_static_selectorELNS0_4arch9wavefront6targetE1EEEvSY_.has_recursion, 0
	.set _ZN7rocprim17ROCPRIM_400000_NS6detail17trampoline_kernelINS0_13select_configILj256ELj13ELNS0_17block_load_methodE3ELS4_3ELS4_3ELNS0_20block_scan_algorithmE0ELj4294967295EEENS1_25partition_config_selectorILNS1_17partition_subalgoE3EjNS0_10empty_typeEbEEZZNS1_14partition_implILS8_3ELb0ES6_jNS0_17counting_iteratorIjlEEPS9_SE_NS0_5tupleIJPjSE_EEENSF_IJSE_SE_EEES9_SG_JZNS1_25segmented_radix_sort_implINS0_14default_configELb1EPKaPaPKlPlN2at6native12_GLOBAL__N_18offset_tEEE10hipError_tPvRmT1_PNSt15iterator_traitsISY_E10value_typeET2_T3_PNSZ_IS14_E10value_typeET4_jRbjT5_S1A_jjP12ihipStream_tbEUljE_EEESV_SW_SX_S14_S18_S1A_T6_T7_T9_mT8_S1C_bDpT10_ENKUlT_T0_E_clISt17integral_constantIbLb1EES1O_IbLb0EEEEDaS1K_S1L_EUlS1K_E_NS1_11comp_targetILNS1_3genE10ELNS1_11target_archE1200ELNS1_3gpuE4ELNS1_3repE0EEENS1_30default_config_static_selectorELNS0_4arch9wavefront6targetE1EEEvSY_.has_indirect_call, 0
	.section	.AMDGPU.csdata,"",@progbits
; Kernel info:
; codeLenInByte = 0
; TotalNumSgprs: 4
; NumVgprs: 0
; ScratchSize: 0
; MemoryBound: 0
; FloatMode: 240
; IeeeMode: 1
; LDSByteSize: 0 bytes/workgroup (compile time only)
; SGPRBlocks: 0
; VGPRBlocks: 0
; NumSGPRsForWavesPerEU: 4
; NumVGPRsForWavesPerEU: 1
; Occupancy: 10
; WaveLimiterHint : 0
; COMPUTE_PGM_RSRC2:SCRATCH_EN: 0
; COMPUTE_PGM_RSRC2:USER_SGPR: 6
; COMPUTE_PGM_RSRC2:TRAP_HANDLER: 0
; COMPUTE_PGM_RSRC2:TGID_X_EN: 1
; COMPUTE_PGM_RSRC2:TGID_Y_EN: 0
; COMPUTE_PGM_RSRC2:TGID_Z_EN: 0
; COMPUTE_PGM_RSRC2:TIDIG_COMP_CNT: 0
	.section	.text._ZN7rocprim17ROCPRIM_400000_NS6detail17trampoline_kernelINS0_13select_configILj256ELj13ELNS0_17block_load_methodE3ELS4_3ELS4_3ELNS0_20block_scan_algorithmE0ELj4294967295EEENS1_25partition_config_selectorILNS1_17partition_subalgoE3EjNS0_10empty_typeEbEEZZNS1_14partition_implILS8_3ELb0ES6_jNS0_17counting_iteratorIjlEEPS9_SE_NS0_5tupleIJPjSE_EEENSF_IJSE_SE_EEES9_SG_JZNS1_25segmented_radix_sort_implINS0_14default_configELb1EPKaPaPKlPlN2at6native12_GLOBAL__N_18offset_tEEE10hipError_tPvRmT1_PNSt15iterator_traitsISY_E10value_typeET2_T3_PNSZ_IS14_E10value_typeET4_jRbjT5_S1A_jjP12ihipStream_tbEUljE_EEESV_SW_SX_S14_S18_S1A_T6_T7_T9_mT8_S1C_bDpT10_ENKUlT_T0_E_clISt17integral_constantIbLb1EES1O_IbLb0EEEEDaS1K_S1L_EUlS1K_E_NS1_11comp_targetILNS1_3genE9ELNS1_11target_archE1100ELNS1_3gpuE3ELNS1_3repE0EEENS1_30default_config_static_selectorELNS0_4arch9wavefront6targetE1EEEvSY_,"axG",@progbits,_ZN7rocprim17ROCPRIM_400000_NS6detail17trampoline_kernelINS0_13select_configILj256ELj13ELNS0_17block_load_methodE3ELS4_3ELS4_3ELNS0_20block_scan_algorithmE0ELj4294967295EEENS1_25partition_config_selectorILNS1_17partition_subalgoE3EjNS0_10empty_typeEbEEZZNS1_14partition_implILS8_3ELb0ES6_jNS0_17counting_iteratorIjlEEPS9_SE_NS0_5tupleIJPjSE_EEENSF_IJSE_SE_EEES9_SG_JZNS1_25segmented_radix_sort_implINS0_14default_configELb1EPKaPaPKlPlN2at6native12_GLOBAL__N_18offset_tEEE10hipError_tPvRmT1_PNSt15iterator_traitsISY_E10value_typeET2_T3_PNSZ_IS14_E10value_typeET4_jRbjT5_S1A_jjP12ihipStream_tbEUljE_EEESV_SW_SX_S14_S18_S1A_T6_T7_T9_mT8_S1C_bDpT10_ENKUlT_T0_E_clISt17integral_constantIbLb1EES1O_IbLb0EEEEDaS1K_S1L_EUlS1K_E_NS1_11comp_targetILNS1_3genE9ELNS1_11target_archE1100ELNS1_3gpuE3ELNS1_3repE0EEENS1_30default_config_static_selectorELNS0_4arch9wavefront6targetE1EEEvSY_,comdat
	.globl	_ZN7rocprim17ROCPRIM_400000_NS6detail17trampoline_kernelINS0_13select_configILj256ELj13ELNS0_17block_load_methodE3ELS4_3ELS4_3ELNS0_20block_scan_algorithmE0ELj4294967295EEENS1_25partition_config_selectorILNS1_17partition_subalgoE3EjNS0_10empty_typeEbEEZZNS1_14partition_implILS8_3ELb0ES6_jNS0_17counting_iteratorIjlEEPS9_SE_NS0_5tupleIJPjSE_EEENSF_IJSE_SE_EEES9_SG_JZNS1_25segmented_radix_sort_implINS0_14default_configELb1EPKaPaPKlPlN2at6native12_GLOBAL__N_18offset_tEEE10hipError_tPvRmT1_PNSt15iterator_traitsISY_E10value_typeET2_T3_PNSZ_IS14_E10value_typeET4_jRbjT5_S1A_jjP12ihipStream_tbEUljE_EEESV_SW_SX_S14_S18_S1A_T6_T7_T9_mT8_S1C_bDpT10_ENKUlT_T0_E_clISt17integral_constantIbLb1EES1O_IbLb0EEEEDaS1K_S1L_EUlS1K_E_NS1_11comp_targetILNS1_3genE9ELNS1_11target_archE1100ELNS1_3gpuE3ELNS1_3repE0EEENS1_30default_config_static_selectorELNS0_4arch9wavefront6targetE1EEEvSY_ ; -- Begin function _ZN7rocprim17ROCPRIM_400000_NS6detail17trampoline_kernelINS0_13select_configILj256ELj13ELNS0_17block_load_methodE3ELS4_3ELS4_3ELNS0_20block_scan_algorithmE0ELj4294967295EEENS1_25partition_config_selectorILNS1_17partition_subalgoE3EjNS0_10empty_typeEbEEZZNS1_14partition_implILS8_3ELb0ES6_jNS0_17counting_iteratorIjlEEPS9_SE_NS0_5tupleIJPjSE_EEENSF_IJSE_SE_EEES9_SG_JZNS1_25segmented_radix_sort_implINS0_14default_configELb1EPKaPaPKlPlN2at6native12_GLOBAL__N_18offset_tEEE10hipError_tPvRmT1_PNSt15iterator_traitsISY_E10value_typeET2_T3_PNSZ_IS14_E10value_typeET4_jRbjT5_S1A_jjP12ihipStream_tbEUljE_EEESV_SW_SX_S14_S18_S1A_T6_T7_T9_mT8_S1C_bDpT10_ENKUlT_T0_E_clISt17integral_constantIbLb1EES1O_IbLb0EEEEDaS1K_S1L_EUlS1K_E_NS1_11comp_targetILNS1_3genE9ELNS1_11target_archE1100ELNS1_3gpuE3ELNS1_3repE0EEENS1_30default_config_static_selectorELNS0_4arch9wavefront6targetE1EEEvSY_
	.p2align	8
	.type	_ZN7rocprim17ROCPRIM_400000_NS6detail17trampoline_kernelINS0_13select_configILj256ELj13ELNS0_17block_load_methodE3ELS4_3ELS4_3ELNS0_20block_scan_algorithmE0ELj4294967295EEENS1_25partition_config_selectorILNS1_17partition_subalgoE3EjNS0_10empty_typeEbEEZZNS1_14partition_implILS8_3ELb0ES6_jNS0_17counting_iteratorIjlEEPS9_SE_NS0_5tupleIJPjSE_EEENSF_IJSE_SE_EEES9_SG_JZNS1_25segmented_radix_sort_implINS0_14default_configELb1EPKaPaPKlPlN2at6native12_GLOBAL__N_18offset_tEEE10hipError_tPvRmT1_PNSt15iterator_traitsISY_E10value_typeET2_T3_PNSZ_IS14_E10value_typeET4_jRbjT5_S1A_jjP12ihipStream_tbEUljE_EEESV_SW_SX_S14_S18_S1A_T6_T7_T9_mT8_S1C_bDpT10_ENKUlT_T0_E_clISt17integral_constantIbLb1EES1O_IbLb0EEEEDaS1K_S1L_EUlS1K_E_NS1_11comp_targetILNS1_3genE9ELNS1_11target_archE1100ELNS1_3gpuE3ELNS1_3repE0EEENS1_30default_config_static_selectorELNS0_4arch9wavefront6targetE1EEEvSY_,@function
_ZN7rocprim17ROCPRIM_400000_NS6detail17trampoline_kernelINS0_13select_configILj256ELj13ELNS0_17block_load_methodE3ELS4_3ELS4_3ELNS0_20block_scan_algorithmE0ELj4294967295EEENS1_25partition_config_selectorILNS1_17partition_subalgoE3EjNS0_10empty_typeEbEEZZNS1_14partition_implILS8_3ELb0ES6_jNS0_17counting_iteratorIjlEEPS9_SE_NS0_5tupleIJPjSE_EEENSF_IJSE_SE_EEES9_SG_JZNS1_25segmented_radix_sort_implINS0_14default_configELb1EPKaPaPKlPlN2at6native12_GLOBAL__N_18offset_tEEE10hipError_tPvRmT1_PNSt15iterator_traitsISY_E10value_typeET2_T3_PNSZ_IS14_E10value_typeET4_jRbjT5_S1A_jjP12ihipStream_tbEUljE_EEESV_SW_SX_S14_S18_S1A_T6_T7_T9_mT8_S1C_bDpT10_ENKUlT_T0_E_clISt17integral_constantIbLb1EES1O_IbLb0EEEEDaS1K_S1L_EUlS1K_E_NS1_11comp_targetILNS1_3genE9ELNS1_11target_archE1100ELNS1_3gpuE3ELNS1_3repE0EEENS1_30default_config_static_selectorELNS0_4arch9wavefront6targetE1EEEvSY_: ; @_ZN7rocprim17ROCPRIM_400000_NS6detail17trampoline_kernelINS0_13select_configILj256ELj13ELNS0_17block_load_methodE3ELS4_3ELS4_3ELNS0_20block_scan_algorithmE0ELj4294967295EEENS1_25partition_config_selectorILNS1_17partition_subalgoE3EjNS0_10empty_typeEbEEZZNS1_14partition_implILS8_3ELb0ES6_jNS0_17counting_iteratorIjlEEPS9_SE_NS0_5tupleIJPjSE_EEENSF_IJSE_SE_EEES9_SG_JZNS1_25segmented_radix_sort_implINS0_14default_configELb1EPKaPaPKlPlN2at6native12_GLOBAL__N_18offset_tEEE10hipError_tPvRmT1_PNSt15iterator_traitsISY_E10value_typeET2_T3_PNSZ_IS14_E10value_typeET4_jRbjT5_S1A_jjP12ihipStream_tbEUljE_EEESV_SW_SX_S14_S18_S1A_T6_T7_T9_mT8_S1C_bDpT10_ENKUlT_T0_E_clISt17integral_constantIbLb1EES1O_IbLb0EEEEDaS1K_S1L_EUlS1K_E_NS1_11comp_targetILNS1_3genE9ELNS1_11target_archE1100ELNS1_3gpuE3ELNS1_3repE0EEENS1_30default_config_static_selectorELNS0_4arch9wavefront6targetE1EEEvSY_
; %bb.0:
	.section	.rodata,"a",@progbits
	.p2align	6, 0x0
	.amdhsa_kernel _ZN7rocprim17ROCPRIM_400000_NS6detail17trampoline_kernelINS0_13select_configILj256ELj13ELNS0_17block_load_methodE3ELS4_3ELS4_3ELNS0_20block_scan_algorithmE0ELj4294967295EEENS1_25partition_config_selectorILNS1_17partition_subalgoE3EjNS0_10empty_typeEbEEZZNS1_14partition_implILS8_3ELb0ES6_jNS0_17counting_iteratorIjlEEPS9_SE_NS0_5tupleIJPjSE_EEENSF_IJSE_SE_EEES9_SG_JZNS1_25segmented_radix_sort_implINS0_14default_configELb1EPKaPaPKlPlN2at6native12_GLOBAL__N_18offset_tEEE10hipError_tPvRmT1_PNSt15iterator_traitsISY_E10value_typeET2_T3_PNSZ_IS14_E10value_typeET4_jRbjT5_S1A_jjP12ihipStream_tbEUljE_EEESV_SW_SX_S14_S18_S1A_T6_T7_T9_mT8_S1C_bDpT10_ENKUlT_T0_E_clISt17integral_constantIbLb1EES1O_IbLb0EEEEDaS1K_S1L_EUlS1K_E_NS1_11comp_targetILNS1_3genE9ELNS1_11target_archE1100ELNS1_3gpuE3ELNS1_3repE0EEENS1_30default_config_static_selectorELNS0_4arch9wavefront6targetE1EEEvSY_
		.amdhsa_group_segment_fixed_size 0
		.amdhsa_private_segment_fixed_size 0
		.amdhsa_kernarg_size 144
		.amdhsa_user_sgpr_count 6
		.amdhsa_user_sgpr_private_segment_buffer 1
		.amdhsa_user_sgpr_dispatch_ptr 0
		.amdhsa_user_sgpr_queue_ptr 0
		.amdhsa_user_sgpr_kernarg_segment_ptr 1
		.amdhsa_user_sgpr_dispatch_id 0
		.amdhsa_user_sgpr_flat_scratch_init 0
		.amdhsa_user_sgpr_private_segment_size 0
		.amdhsa_uses_dynamic_stack 0
		.amdhsa_system_sgpr_private_segment_wavefront_offset 0
		.amdhsa_system_sgpr_workgroup_id_x 1
		.amdhsa_system_sgpr_workgroup_id_y 0
		.amdhsa_system_sgpr_workgroup_id_z 0
		.amdhsa_system_sgpr_workgroup_info 0
		.amdhsa_system_vgpr_workitem_id 0
		.amdhsa_next_free_vgpr 1
		.amdhsa_next_free_sgpr 0
		.amdhsa_reserve_vcc 0
		.amdhsa_reserve_flat_scratch 0
		.amdhsa_float_round_mode_32 0
		.amdhsa_float_round_mode_16_64 0
		.amdhsa_float_denorm_mode_32 3
		.amdhsa_float_denorm_mode_16_64 3
		.amdhsa_dx10_clamp 1
		.amdhsa_ieee_mode 1
		.amdhsa_fp16_overflow 0
		.amdhsa_exception_fp_ieee_invalid_op 0
		.amdhsa_exception_fp_denorm_src 0
		.amdhsa_exception_fp_ieee_div_zero 0
		.amdhsa_exception_fp_ieee_overflow 0
		.amdhsa_exception_fp_ieee_underflow 0
		.amdhsa_exception_fp_ieee_inexact 0
		.amdhsa_exception_int_div_zero 0
	.end_amdhsa_kernel
	.section	.text._ZN7rocprim17ROCPRIM_400000_NS6detail17trampoline_kernelINS0_13select_configILj256ELj13ELNS0_17block_load_methodE3ELS4_3ELS4_3ELNS0_20block_scan_algorithmE0ELj4294967295EEENS1_25partition_config_selectorILNS1_17partition_subalgoE3EjNS0_10empty_typeEbEEZZNS1_14partition_implILS8_3ELb0ES6_jNS0_17counting_iteratorIjlEEPS9_SE_NS0_5tupleIJPjSE_EEENSF_IJSE_SE_EEES9_SG_JZNS1_25segmented_radix_sort_implINS0_14default_configELb1EPKaPaPKlPlN2at6native12_GLOBAL__N_18offset_tEEE10hipError_tPvRmT1_PNSt15iterator_traitsISY_E10value_typeET2_T3_PNSZ_IS14_E10value_typeET4_jRbjT5_S1A_jjP12ihipStream_tbEUljE_EEESV_SW_SX_S14_S18_S1A_T6_T7_T9_mT8_S1C_bDpT10_ENKUlT_T0_E_clISt17integral_constantIbLb1EES1O_IbLb0EEEEDaS1K_S1L_EUlS1K_E_NS1_11comp_targetILNS1_3genE9ELNS1_11target_archE1100ELNS1_3gpuE3ELNS1_3repE0EEENS1_30default_config_static_selectorELNS0_4arch9wavefront6targetE1EEEvSY_,"axG",@progbits,_ZN7rocprim17ROCPRIM_400000_NS6detail17trampoline_kernelINS0_13select_configILj256ELj13ELNS0_17block_load_methodE3ELS4_3ELS4_3ELNS0_20block_scan_algorithmE0ELj4294967295EEENS1_25partition_config_selectorILNS1_17partition_subalgoE3EjNS0_10empty_typeEbEEZZNS1_14partition_implILS8_3ELb0ES6_jNS0_17counting_iteratorIjlEEPS9_SE_NS0_5tupleIJPjSE_EEENSF_IJSE_SE_EEES9_SG_JZNS1_25segmented_radix_sort_implINS0_14default_configELb1EPKaPaPKlPlN2at6native12_GLOBAL__N_18offset_tEEE10hipError_tPvRmT1_PNSt15iterator_traitsISY_E10value_typeET2_T3_PNSZ_IS14_E10value_typeET4_jRbjT5_S1A_jjP12ihipStream_tbEUljE_EEESV_SW_SX_S14_S18_S1A_T6_T7_T9_mT8_S1C_bDpT10_ENKUlT_T0_E_clISt17integral_constantIbLb1EES1O_IbLb0EEEEDaS1K_S1L_EUlS1K_E_NS1_11comp_targetILNS1_3genE9ELNS1_11target_archE1100ELNS1_3gpuE3ELNS1_3repE0EEENS1_30default_config_static_selectorELNS0_4arch9wavefront6targetE1EEEvSY_,comdat
.Lfunc_end280:
	.size	_ZN7rocprim17ROCPRIM_400000_NS6detail17trampoline_kernelINS0_13select_configILj256ELj13ELNS0_17block_load_methodE3ELS4_3ELS4_3ELNS0_20block_scan_algorithmE0ELj4294967295EEENS1_25partition_config_selectorILNS1_17partition_subalgoE3EjNS0_10empty_typeEbEEZZNS1_14partition_implILS8_3ELb0ES6_jNS0_17counting_iteratorIjlEEPS9_SE_NS0_5tupleIJPjSE_EEENSF_IJSE_SE_EEES9_SG_JZNS1_25segmented_radix_sort_implINS0_14default_configELb1EPKaPaPKlPlN2at6native12_GLOBAL__N_18offset_tEEE10hipError_tPvRmT1_PNSt15iterator_traitsISY_E10value_typeET2_T3_PNSZ_IS14_E10value_typeET4_jRbjT5_S1A_jjP12ihipStream_tbEUljE_EEESV_SW_SX_S14_S18_S1A_T6_T7_T9_mT8_S1C_bDpT10_ENKUlT_T0_E_clISt17integral_constantIbLb1EES1O_IbLb0EEEEDaS1K_S1L_EUlS1K_E_NS1_11comp_targetILNS1_3genE9ELNS1_11target_archE1100ELNS1_3gpuE3ELNS1_3repE0EEENS1_30default_config_static_selectorELNS0_4arch9wavefront6targetE1EEEvSY_, .Lfunc_end280-_ZN7rocprim17ROCPRIM_400000_NS6detail17trampoline_kernelINS0_13select_configILj256ELj13ELNS0_17block_load_methodE3ELS4_3ELS4_3ELNS0_20block_scan_algorithmE0ELj4294967295EEENS1_25partition_config_selectorILNS1_17partition_subalgoE3EjNS0_10empty_typeEbEEZZNS1_14partition_implILS8_3ELb0ES6_jNS0_17counting_iteratorIjlEEPS9_SE_NS0_5tupleIJPjSE_EEENSF_IJSE_SE_EEES9_SG_JZNS1_25segmented_radix_sort_implINS0_14default_configELb1EPKaPaPKlPlN2at6native12_GLOBAL__N_18offset_tEEE10hipError_tPvRmT1_PNSt15iterator_traitsISY_E10value_typeET2_T3_PNSZ_IS14_E10value_typeET4_jRbjT5_S1A_jjP12ihipStream_tbEUljE_EEESV_SW_SX_S14_S18_S1A_T6_T7_T9_mT8_S1C_bDpT10_ENKUlT_T0_E_clISt17integral_constantIbLb1EES1O_IbLb0EEEEDaS1K_S1L_EUlS1K_E_NS1_11comp_targetILNS1_3genE9ELNS1_11target_archE1100ELNS1_3gpuE3ELNS1_3repE0EEENS1_30default_config_static_selectorELNS0_4arch9wavefront6targetE1EEEvSY_
                                        ; -- End function
	.set _ZN7rocprim17ROCPRIM_400000_NS6detail17trampoline_kernelINS0_13select_configILj256ELj13ELNS0_17block_load_methodE3ELS4_3ELS4_3ELNS0_20block_scan_algorithmE0ELj4294967295EEENS1_25partition_config_selectorILNS1_17partition_subalgoE3EjNS0_10empty_typeEbEEZZNS1_14partition_implILS8_3ELb0ES6_jNS0_17counting_iteratorIjlEEPS9_SE_NS0_5tupleIJPjSE_EEENSF_IJSE_SE_EEES9_SG_JZNS1_25segmented_radix_sort_implINS0_14default_configELb1EPKaPaPKlPlN2at6native12_GLOBAL__N_18offset_tEEE10hipError_tPvRmT1_PNSt15iterator_traitsISY_E10value_typeET2_T3_PNSZ_IS14_E10value_typeET4_jRbjT5_S1A_jjP12ihipStream_tbEUljE_EEESV_SW_SX_S14_S18_S1A_T6_T7_T9_mT8_S1C_bDpT10_ENKUlT_T0_E_clISt17integral_constantIbLb1EES1O_IbLb0EEEEDaS1K_S1L_EUlS1K_E_NS1_11comp_targetILNS1_3genE9ELNS1_11target_archE1100ELNS1_3gpuE3ELNS1_3repE0EEENS1_30default_config_static_selectorELNS0_4arch9wavefront6targetE1EEEvSY_.num_vgpr, 0
	.set _ZN7rocprim17ROCPRIM_400000_NS6detail17trampoline_kernelINS0_13select_configILj256ELj13ELNS0_17block_load_methodE3ELS4_3ELS4_3ELNS0_20block_scan_algorithmE0ELj4294967295EEENS1_25partition_config_selectorILNS1_17partition_subalgoE3EjNS0_10empty_typeEbEEZZNS1_14partition_implILS8_3ELb0ES6_jNS0_17counting_iteratorIjlEEPS9_SE_NS0_5tupleIJPjSE_EEENSF_IJSE_SE_EEES9_SG_JZNS1_25segmented_radix_sort_implINS0_14default_configELb1EPKaPaPKlPlN2at6native12_GLOBAL__N_18offset_tEEE10hipError_tPvRmT1_PNSt15iterator_traitsISY_E10value_typeET2_T3_PNSZ_IS14_E10value_typeET4_jRbjT5_S1A_jjP12ihipStream_tbEUljE_EEESV_SW_SX_S14_S18_S1A_T6_T7_T9_mT8_S1C_bDpT10_ENKUlT_T0_E_clISt17integral_constantIbLb1EES1O_IbLb0EEEEDaS1K_S1L_EUlS1K_E_NS1_11comp_targetILNS1_3genE9ELNS1_11target_archE1100ELNS1_3gpuE3ELNS1_3repE0EEENS1_30default_config_static_selectorELNS0_4arch9wavefront6targetE1EEEvSY_.num_agpr, 0
	.set _ZN7rocprim17ROCPRIM_400000_NS6detail17trampoline_kernelINS0_13select_configILj256ELj13ELNS0_17block_load_methodE3ELS4_3ELS4_3ELNS0_20block_scan_algorithmE0ELj4294967295EEENS1_25partition_config_selectorILNS1_17partition_subalgoE3EjNS0_10empty_typeEbEEZZNS1_14partition_implILS8_3ELb0ES6_jNS0_17counting_iteratorIjlEEPS9_SE_NS0_5tupleIJPjSE_EEENSF_IJSE_SE_EEES9_SG_JZNS1_25segmented_radix_sort_implINS0_14default_configELb1EPKaPaPKlPlN2at6native12_GLOBAL__N_18offset_tEEE10hipError_tPvRmT1_PNSt15iterator_traitsISY_E10value_typeET2_T3_PNSZ_IS14_E10value_typeET4_jRbjT5_S1A_jjP12ihipStream_tbEUljE_EEESV_SW_SX_S14_S18_S1A_T6_T7_T9_mT8_S1C_bDpT10_ENKUlT_T0_E_clISt17integral_constantIbLb1EES1O_IbLb0EEEEDaS1K_S1L_EUlS1K_E_NS1_11comp_targetILNS1_3genE9ELNS1_11target_archE1100ELNS1_3gpuE3ELNS1_3repE0EEENS1_30default_config_static_selectorELNS0_4arch9wavefront6targetE1EEEvSY_.numbered_sgpr, 0
	.set _ZN7rocprim17ROCPRIM_400000_NS6detail17trampoline_kernelINS0_13select_configILj256ELj13ELNS0_17block_load_methodE3ELS4_3ELS4_3ELNS0_20block_scan_algorithmE0ELj4294967295EEENS1_25partition_config_selectorILNS1_17partition_subalgoE3EjNS0_10empty_typeEbEEZZNS1_14partition_implILS8_3ELb0ES6_jNS0_17counting_iteratorIjlEEPS9_SE_NS0_5tupleIJPjSE_EEENSF_IJSE_SE_EEES9_SG_JZNS1_25segmented_radix_sort_implINS0_14default_configELb1EPKaPaPKlPlN2at6native12_GLOBAL__N_18offset_tEEE10hipError_tPvRmT1_PNSt15iterator_traitsISY_E10value_typeET2_T3_PNSZ_IS14_E10value_typeET4_jRbjT5_S1A_jjP12ihipStream_tbEUljE_EEESV_SW_SX_S14_S18_S1A_T6_T7_T9_mT8_S1C_bDpT10_ENKUlT_T0_E_clISt17integral_constantIbLb1EES1O_IbLb0EEEEDaS1K_S1L_EUlS1K_E_NS1_11comp_targetILNS1_3genE9ELNS1_11target_archE1100ELNS1_3gpuE3ELNS1_3repE0EEENS1_30default_config_static_selectorELNS0_4arch9wavefront6targetE1EEEvSY_.num_named_barrier, 0
	.set _ZN7rocprim17ROCPRIM_400000_NS6detail17trampoline_kernelINS0_13select_configILj256ELj13ELNS0_17block_load_methodE3ELS4_3ELS4_3ELNS0_20block_scan_algorithmE0ELj4294967295EEENS1_25partition_config_selectorILNS1_17partition_subalgoE3EjNS0_10empty_typeEbEEZZNS1_14partition_implILS8_3ELb0ES6_jNS0_17counting_iteratorIjlEEPS9_SE_NS0_5tupleIJPjSE_EEENSF_IJSE_SE_EEES9_SG_JZNS1_25segmented_radix_sort_implINS0_14default_configELb1EPKaPaPKlPlN2at6native12_GLOBAL__N_18offset_tEEE10hipError_tPvRmT1_PNSt15iterator_traitsISY_E10value_typeET2_T3_PNSZ_IS14_E10value_typeET4_jRbjT5_S1A_jjP12ihipStream_tbEUljE_EEESV_SW_SX_S14_S18_S1A_T6_T7_T9_mT8_S1C_bDpT10_ENKUlT_T0_E_clISt17integral_constantIbLb1EES1O_IbLb0EEEEDaS1K_S1L_EUlS1K_E_NS1_11comp_targetILNS1_3genE9ELNS1_11target_archE1100ELNS1_3gpuE3ELNS1_3repE0EEENS1_30default_config_static_selectorELNS0_4arch9wavefront6targetE1EEEvSY_.private_seg_size, 0
	.set _ZN7rocprim17ROCPRIM_400000_NS6detail17trampoline_kernelINS0_13select_configILj256ELj13ELNS0_17block_load_methodE3ELS4_3ELS4_3ELNS0_20block_scan_algorithmE0ELj4294967295EEENS1_25partition_config_selectorILNS1_17partition_subalgoE3EjNS0_10empty_typeEbEEZZNS1_14partition_implILS8_3ELb0ES6_jNS0_17counting_iteratorIjlEEPS9_SE_NS0_5tupleIJPjSE_EEENSF_IJSE_SE_EEES9_SG_JZNS1_25segmented_radix_sort_implINS0_14default_configELb1EPKaPaPKlPlN2at6native12_GLOBAL__N_18offset_tEEE10hipError_tPvRmT1_PNSt15iterator_traitsISY_E10value_typeET2_T3_PNSZ_IS14_E10value_typeET4_jRbjT5_S1A_jjP12ihipStream_tbEUljE_EEESV_SW_SX_S14_S18_S1A_T6_T7_T9_mT8_S1C_bDpT10_ENKUlT_T0_E_clISt17integral_constantIbLb1EES1O_IbLb0EEEEDaS1K_S1L_EUlS1K_E_NS1_11comp_targetILNS1_3genE9ELNS1_11target_archE1100ELNS1_3gpuE3ELNS1_3repE0EEENS1_30default_config_static_selectorELNS0_4arch9wavefront6targetE1EEEvSY_.uses_vcc, 0
	.set _ZN7rocprim17ROCPRIM_400000_NS6detail17trampoline_kernelINS0_13select_configILj256ELj13ELNS0_17block_load_methodE3ELS4_3ELS4_3ELNS0_20block_scan_algorithmE0ELj4294967295EEENS1_25partition_config_selectorILNS1_17partition_subalgoE3EjNS0_10empty_typeEbEEZZNS1_14partition_implILS8_3ELb0ES6_jNS0_17counting_iteratorIjlEEPS9_SE_NS0_5tupleIJPjSE_EEENSF_IJSE_SE_EEES9_SG_JZNS1_25segmented_radix_sort_implINS0_14default_configELb1EPKaPaPKlPlN2at6native12_GLOBAL__N_18offset_tEEE10hipError_tPvRmT1_PNSt15iterator_traitsISY_E10value_typeET2_T3_PNSZ_IS14_E10value_typeET4_jRbjT5_S1A_jjP12ihipStream_tbEUljE_EEESV_SW_SX_S14_S18_S1A_T6_T7_T9_mT8_S1C_bDpT10_ENKUlT_T0_E_clISt17integral_constantIbLb1EES1O_IbLb0EEEEDaS1K_S1L_EUlS1K_E_NS1_11comp_targetILNS1_3genE9ELNS1_11target_archE1100ELNS1_3gpuE3ELNS1_3repE0EEENS1_30default_config_static_selectorELNS0_4arch9wavefront6targetE1EEEvSY_.uses_flat_scratch, 0
	.set _ZN7rocprim17ROCPRIM_400000_NS6detail17trampoline_kernelINS0_13select_configILj256ELj13ELNS0_17block_load_methodE3ELS4_3ELS4_3ELNS0_20block_scan_algorithmE0ELj4294967295EEENS1_25partition_config_selectorILNS1_17partition_subalgoE3EjNS0_10empty_typeEbEEZZNS1_14partition_implILS8_3ELb0ES6_jNS0_17counting_iteratorIjlEEPS9_SE_NS0_5tupleIJPjSE_EEENSF_IJSE_SE_EEES9_SG_JZNS1_25segmented_radix_sort_implINS0_14default_configELb1EPKaPaPKlPlN2at6native12_GLOBAL__N_18offset_tEEE10hipError_tPvRmT1_PNSt15iterator_traitsISY_E10value_typeET2_T3_PNSZ_IS14_E10value_typeET4_jRbjT5_S1A_jjP12ihipStream_tbEUljE_EEESV_SW_SX_S14_S18_S1A_T6_T7_T9_mT8_S1C_bDpT10_ENKUlT_T0_E_clISt17integral_constantIbLb1EES1O_IbLb0EEEEDaS1K_S1L_EUlS1K_E_NS1_11comp_targetILNS1_3genE9ELNS1_11target_archE1100ELNS1_3gpuE3ELNS1_3repE0EEENS1_30default_config_static_selectorELNS0_4arch9wavefront6targetE1EEEvSY_.has_dyn_sized_stack, 0
	.set _ZN7rocprim17ROCPRIM_400000_NS6detail17trampoline_kernelINS0_13select_configILj256ELj13ELNS0_17block_load_methodE3ELS4_3ELS4_3ELNS0_20block_scan_algorithmE0ELj4294967295EEENS1_25partition_config_selectorILNS1_17partition_subalgoE3EjNS0_10empty_typeEbEEZZNS1_14partition_implILS8_3ELb0ES6_jNS0_17counting_iteratorIjlEEPS9_SE_NS0_5tupleIJPjSE_EEENSF_IJSE_SE_EEES9_SG_JZNS1_25segmented_radix_sort_implINS0_14default_configELb1EPKaPaPKlPlN2at6native12_GLOBAL__N_18offset_tEEE10hipError_tPvRmT1_PNSt15iterator_traitsISY_E10value_typeET2_T3_PNSZ_IS14_E10value_typeET4_jRbjT5_S1A_jjP12ihipStream_tbEUljE_EEESV_SW_SX_S14_S18_S1A_T6_T7_T9_mT8_S1C_bDpT10_ENKUlT_T0_E_clISt17integral_constantIbLb1EES1O_IbLb0EEEEDaS1K_S1L_EUlS1K_E_NS1_11comp_targetILNS1_3genE9ELNS1_11target_archE1100ELNS1_3gpuE3ELNS1_3repE0EEENS1_30default_config_static_selectorELNS0_4arch9wavefront6targetE1EEEvSY_.has_recursion, 0
	.set _ZN7rocprim17ROCPRIM_400000_NS6detail17trampoline_kernelINS0_13select_configILj256ELj13ELNS0_17block_load_methodE3ELS4_3ELS4_3ELNS0_20block_scan_algorithmE0ELj4294967295EEENS1_25partition_config_selectorILNS1_17partition_subalgoE3EjNS0_10empty_typeEbEEZZNS1_14partition_implILS8_3ELb0ES6_jNS0_17counting_iteratorIjlEEPS9_SE_NS0_5tupleIJPjSE_EEENSF_IJSE_SE_EEES9_SG_JZNS1_25segmented_radix_sort_implINS0_14default_configELb1EPKaPaPKlPlN2at6native12_GLOBAL__N_18offset_tEEE10hipError_tPvRmT1_PNSt15iterator_traitsISY_E10value_typeET2_T3_PNSZ_IS14_E10value_typeET4_jRbjT5_S1A_jjP12ihipStream_tbEUljE_EEESV_SW_SX_S14_S18_S1A_T6_T7_T9_mT8_S1C_bDpT10_ENKUlT_T0_E_clISt17integral_constantIbLb1EES1O_IbLb0EEEEDaS1K_S1L_EUlS1K_E_NS1_11comp_targetILNS1_3genE9ELNS1_11target_archE1100ELNS1_3gpuE3ELNS1_3repE0EEENS1_30default_config_static_selectorELNS0_4arch9wavefront6targetE1EEEvSY_.has_indirect_call, 0
	.section	.AMDGPU.csdata,"",@progbits
; Kernel info:
; codeLenInByte = 0
; TotalNumSgprs: 4
; NumVgprs: 0
; ScratchSize: 0
; MemoryBound: 0
; FloatMode: 240
; IeeeMode: 1
; LDSByteSize: 0 bytes/workgroup (compile time only)
; SGPRBlocks: 0
; VGPRBlocks: 0
; NumSGPRsForWavesPerEU: 4
; NumVGPRsForWavesPerEU: 1
; Occupancy: 10
; WaveLimiterHint : 0
; COMPUTE_PGM_RSRC2:SCRATCH_EN: 0
; COMPUTE_PGM_RSRC2:USER_SGPR: 6
; COMPUTE_PGM_RSRC2:TRAP_HANDLER: 0
; COMPUTE_PGM_RSRC2:TGID_X_EN: 1
; COMPUTE_PGM_RSRC2:TGID_Y_EN: 0
; COMPUTE_PGM_RSRC2:TGID_Z_EN: 0
; COMPUTE_PGM_RSRC2:TIDIG_COMP_CNT: 0
	.section	.text._ZN7rocprim17ROCPRIM_400000_NS6detail17trampoline_kernelINS0_13select_configILj256ELj13ELNS0_17block_load_methodE3ELS4_3ELS4_3ELNS0_20block_scan_algorithmE0ELj4294967295EEENS1_25partition_config_selectorILNS1_17partition_subalgoE3EjNS0_10empty_typeEbEEZZNS1_14partition_implILS8_3ELb0ES6_jNS0_17counting_iteratorIjlEEPS9_SE_NS0_5tupleIJPjSE_EEENSF_IJSE_SE_EEES9_SG_JZNS1_25segmented_radix_sort_implINS0_14default_configELb1EPKaPaPKlPlN2at6native12_GLOBAL__N_18offset_tEEE10hipError_tPvRmT1_PNSt15iterator_traitsISY_E10value_typeET2_T3_PNSZ_IS14_E10value_typeET4_jRbjT5_S1A_jjP12ihipStream_tbEUljE_EEESV_SW_SX_S14_S18_S1A_T6_T7_T9_mT8_S1C_bDpT10_ENKUlT_T0_E_clISt17integral_constantIbLb1EES1O_IbLb0EEEEDaS1K_S1L_EUlS1K_E_NS1_11comp_targetILNS1_3genE8ELNS1_11target_archE1030ELNS1_3gpuE2ELNS1_3repE0EEENS1_30default_config_static_selectorELNS0_4arch9wavefront6targetE1EEEvSY_,"axG",@progbits,_ZN7rocprim17ROCPRIM_400000_NS6detail17trampoline_kernelINS0_13select_configILj256ELj13ELNS0_17block_load_methodE3ELS4_3ELS4_3ELNS0_20block_scan_algorithmE0ELj4294967295EEENS1_25partition_config_selectorILNS1_17partition_subalgoE3EjNS0_10empty_typeEbEEZZNS1_14partition_implILS8_3ELb0ES6_jNS0_17counting_iteratorIjlEEPS9_SE_NS0_5tupleIJPjSE_EEENSF_IJSE_SE_EEES9_SG_JZNS1_25segmented_radix_sort_implINS0_14default_configELb1EPKaPaPKlPlN2at6native12_GLOBAL__N_18offset_tEEE10hipError_tPvRmT1_PNSt15iterator_traitsISY_E10value_typeET2_T3_PNSZ_IS14_E10value_typeET4_jRbjT5_S1A_jjP12ihipStream_tbEUljE_EEESV_SW_SX_S14_S18_S1A_T6_T7_T9_mT8_S1C_bDpT10_ENKUlT_T0_E_clISt17integral_constantIbLb1EES1O_IbLb0EEEEDaS1K_S1L_EUlS1K_E_NS1_11comp_targetILNS1_3genE8ELNS1_11target_archE1030ELNS1_3gpuE2ELNS1_3repE0EEENS1_30default_config_static_selectorELNS0_4arch9wavefront6targetE1EEEvSY_,comdat
	.globl	_ZN7rocprim17ROCPRIM_400000_NS6detail17trampoline_kernelINS0_13select_configILj256ELj13ELNS0_17block_load_methodE3ELS4_3ELS4_3ELNS0_20block_scan_algorithmE0ELj4294967295EEENS1_25partition_config_selectorILNS1_17partition_subalgoE3EjNS0_10empty_typeEbEEZZNS1_14partition_implILS8_3ELb0ES6_jNS0_17counting_iteratorIjlEEPS9_SE_NS0_5tupleIJPjSE_EEENSF_IJSE_SE_EEES9_SG_JZNS1_25segmented_radix_sort_implINS0_14default_configELb1EPKaPaPKlPlN2at6native12_GLOBAL__N_18offset_tEEE10hipError_tPvRmT1_PNSt15iterator_traitsISY_E10value_typeET2_T3_PNSZ_IS14_E10value_typeET4_jRbjT5_S1A_jjP12ihipStream_tbEUljE_EEESV_SW_SX_S14_S18_S1A_T6_T7_T9_mT8_S1C_bDpT10_ENKUlT_T0_E_clISt17integral_constantIbLb1EES1O_IbLb0EEEEDaS1K_S1L_EUlS1K_E_NS1_11comp_targetILNS1_3genE8ELNS1_11target_archE1030ELNS1_3gpuE2ELNS1_3repE0EEENS1_30default_config_static_selectorELNS0_4arch9wavefront6targetE1EEEvSY_ ; -- Begin function _ZN7rocprim17ROCPRIM_400000_NS6detail17trampoline_kernelINS0_13select_configILj256ELj13ELNS0_17block_load_methodE3ELS4_3ELS4_3ELNS0_20block_scan_algorithmE0ELj4294967295EEENS1_25partition_config_selectorILNS1_17partition_subalgoE3EjNS0_10empty_typeEbEEZZNS1_14partition_implILS8_3ELb0ES6_jNS0_17counting_iteratorIjlEEPS9_SE_NS0_5tupleIJPjSE_EEENSF_IJSE_SE_EEES9_SG_JZNS1_25segmented_radix_sort_implINS0_14default_configELb1EPKaPaPKlPlN2at6native12_GLOBAL__N_18offset_tEEE10hipError_tPvRmT1_PNSt15iterator_traitsISY_E10value_typeET2_T3_PNSZ_IS14_E10value_typeET4_jRbjT5_S1A_jjP12ihipStream_tbEUljE_EEESV_SW_SX_S14_S18_S1A_T6_T7_T9_mT8_S1C_bDpT10_ENKUlT_T0_E_clISt17integral_constantIbLb1EES1O_IbLb0EEEEDaS1K_S1L_EUlS1K_E_NS1_11comp_targetILNS1_3genE8ELNS1_11target_archE1030ELNS1_3gpuE2ELNS1_3repE0EEENS1_30default_config_static_selectorELNS0_4arch9wavefront6targetE1EEEvSY_
	.p2align	8
	.type	_ZN7rocprim17ROCPRIM_400000_NS6detail17trampoline_kernelINS0_13select_configILj256ELj13ELNS0_17block_load_methodE3ELS4_3ELS4_3ELNS0_20block_scan_algorithmE0ELj4294967295EEENS1_25partition_config_selectorILNS1_17partition_subalgoE3EjNS0_10empty_typeEbEEZZNS1_14partition_implILS8_3ELb0ES6_jNS0_17counting_iteratorIjlEEPS9_SE_NS0_5tupleIJPjSE_EEENSF_IJSE_SE_EEES9_SG_JZNS1_25segmented_radix_sort_implINS0_14default_configELb1EPKaPaPKlPlN2at6native12_GLOBAL__N_18offset_tEEE10hipError_tPvRmT1_PNSt15iterator_traitsISY_E10value_typeET2_T3_PNSZ_IS14_E10value_typeET4_jRbjT5_S1A_jjP12ihipStream_tbEUljE_EEESV_SW_SX_S14_S18_S1A_T6_T7_T9_mT8_S1C_bDpT10_ENKUlT_T0_E_clISt17integral_constantIbLb1EES1O_IbLb0EEEEDaS1K_S1L_EUlS1K_E_NS1_11comp_targetILNS1_3genE8ELNS1_11target_archE1030ELNS1_3gpuE2ELNS1_3repE0EEENS1_30default_config_static_selectorELNS0_4arch9wavefront6targetE1EEEvSY_,@function
_ZN7rocprim17ROCPRIM_400000_NS6detail17trampoline_kernelINS0_13select_configILj256ELj13ELNS0_17block_load_methodE3ELS4_3ELS4_3ELNS0_20block_scan_algorithmE0ELj4294967295EEENS1_25partition_config_selectorILNS1_17partition_subalgoE3EjNS0_10empty_typeEbEEZZNS1_14partition_implILS8_3ELb0ES6_jNS0_17counting_iteratorIjlEEPS9_SE_NS0_5tupleIJPjSE_EEENSF_IJSE_SE_EEES9_SG_JZNS1_25segmented_radix_sort_implINS0_14default_configELb1EPKaPaPKlPlN2at6native12_GLOBAL__N_18offset_tEEE10hipError_tPvRmT1_PNSt15iterator_traitsISY_E10value_typeET2_T3_PNSZ_IS14_E10value_typeET4_jRbjT5_S1A_jjP12ihipStream_tbEUljE_EEESV_SW_SX_S14_S18_S1A_T6_T7_T9_mT8_S1C_bDpT10_ENKUlT_T0_E_clISt17integral_constantIbLb1EES1O_IbLb0EEEEDaS1K_S1L_EUlS1K_E_NS1_11comp_targetILNS1_3genE8ELNS1_11target_archE1030ELNS1_3gpuE2ELNS1_3repE0EEENS1_30default_config_static_selectorELNS0_4arch9wavefront6targetE1EEEvSY_: ; @_ZN7rocprim17ROCPRIM_400000_NS6detail17trampoline_kernelINS0_13select_configILj256ELj13ELNS0_17block_load_methodE3ELS4_3ELS4_3ELNS0_20block_scan_algorithmE0ELj4294967295EEENS1_25partition_config_selectorILNS1_17partition_subalgoE3EjNS0_10empty_typeEbEEZZNS1_14partition_implILS8_3ELb0ES6_jNS0_17counting_iteratorIjlEEPS9_SE_NS0_5tupleIJPjSE_EEENSF_IJSE_SE_EEES9_SG_JZNS1_25segmented_radix_sort_implINS0_14default_configELb1EPKaPaPKlPlN2at6native12_GLOBAL__N_18offset_tEEE10hipError_tPvRmT1_PNSt15iterator_traitsISY_E10value_typeET2_T3_PNSZ_IS14_E10value_typeET4_jRbjT5_S1A_jjP12ihipStream_tbEUljE_EEESV_SW_SX_S14_S18_S1A_T6_T7_T9_mT8_S1C_bDpT10_ENKUlT_T0_E_clISt17integral_constantIbLb1EES1O_IbLb0EEEEDaS1K_S1L_EUlS1K_E_NS1_11comp_targetILNS1_3genE8ELNS1_11target_archE1030ELNS1_3gpuE2ELNS1_3repE0EEENS1_30default_config_static_selectorELNS0_4arch9wavefront6targetE1EEEvSY_
; %bb.0:
	.section	.rodata,"a",@progbits
	.p2align	6, 0x0
	.amdhsa_kernel _ZN7rocprim17ROCPRIM_400000_NS6detail17trampoline_kernelINS0_13select_configILj256ELj13ELNS0_17block_load_methodE3ELS4_3ELS4_3ELNS0_20block_scan_algorithmE0ELj4294967295EEENS1_25partition_config_selectorILNS1_17partition_subalgoE3EjNS0_10empty_typeEbEEZZNS1_14partition_implILS8_3ELb0ES6_jNS0_17counting_iteratorIjlEEPS9_SE_NS0_5tupleIJPjSE_EEENSF_IJSE_SE_EEES9_SG_JZNS1_25segmented_radix_sort_implINS0_14default_configELb1EPKaPaPKlPlN2at6native12_GLOBAL__N_18offset_tEEE10hipError_tPvRmT1_PNSt15iterator_traitsISY_E10value_typeET2_T3_PNSZ_IS14_E10value_typeET4_jRbjT5_S1A_jjP12ihipStream_tbEUljE_EEESV_SW_SX_S14_S18_S1A_T6_T7_T9_mT8_S1C_bDpT10_ENKUlT_T0_E_clISt17integral_constantIbLb1EES1O_IbLb0EEEEDaS1K_S1L_EUlS1K_E_NS1_11comp_targetILNS1_3genE8ELNS1_11target_archE1030ELNS1_3gpuE2ELNS1_3repE0EEENS1_30default_config_static_selectorELNS0_4arch9wavefront6targetE1EEEvSY_
		.amdhsa_group_segment_fixed_size 0
		.amdhsa_private_segment_fixed_size 0
		.amdhsa_kernarg_size 144
		.amdhsa_user_sgpr_count 6
		.amdhsa_user_sgpr_private_segment_buffer 1
		.amdhsa_user_sgpr_dispatch_ptr 0
		.amdhsa_user_sgpr_queue_ptr 0
		.amdhsa_user_sgpr_kernarg_segment_ptr 1
		.amdhsa_user_sgpr_dispatch_id 0
		.amdhsa_user_sgpr_flat_scratch_init 0
		.amdhsa_user_sgpr_private_segment_size 0
		.amdhsa_uses_dynamic_stack 0
		.amdhsa_system_sgpr_private_segment_wavefront_offset 0
		.amdhsa_system_sgpr_workgroup_id_x 1
		.amdhsa_system_sgpr_workgroup_id_y 0
		.amdhsa_system_sgpr_workgroup_id_z 0
		.amdhsa_system_sgpr_workgroup_info 0
		.amdhsa_system_vgpr_workitem_id 0
		.amdhsa_next_free_vgpr 1
		.amdhsa_next_free_sgpr 0
		.amdhsa_reserve_vcc 0
		.amdhsa_reserve_flat_scratch 0
		.amdhsa_float_round_mode_32 0
		.amdhsa_float_round_mode_16_64 0
		.amdhsa_float_denorm_mode_32 3
		.amdhsa_float_denorm_mode_16_64 3
		.amdhsa_dx10_clamp 1
		.amdhsa_ieee_mode 1
		.amdhsa_fp16_overflow 0
		.amdhsa_exception_fp_ieee_invalid_op 0
		.amdhsa_exception_fp_denorm_src 0
		.amdhsa_exception_fp_ieee_div_zero 0
		.amdhsa_exception_fp_ieee_overflow 0
		.amdhsa_exception_fp_ieee_underflow 0
		.amdhsa_exception_fp_ieee_inexact 0
		.amdhsa_exception_int_div_zero 0
	.end_amdhsa_kernel
	.section	.text._ZN7rocprim17ROCPRIM_400000_NS6detail17trampoline_kernelINS0_13select_configILj256ELj13ELNS0_17block_load_methodE3ELS4_3ELS4_3ELNS0_20block_scan_algorithmE0ELj4294967295EEENS1_25partition_config_selectorILNS1_17partition_subalgoE3EjNS0_10empty_typeEbEEZZNS1_14partition_implILS8_3ELb0ES6_jNS0_17counting_iteratorIjlEEPS9_SE_NS0_5tupleIJPjSE_EEENSF_IJSE_SE_EEES9_SG_JZNS1_25segmented_radix_sort_implINS0_14default_configELb1EPKaPaPKlPlN2at6native12_GLOBAL__N_18offset_tEEE10hipError_tPvRmT1_PNSt15iterator_traitsISY_E10value_typeET2_T3_PNSZ_IS14_E10value_typeET4_jRbjT5_S1A_jjP12ihipStream_tbEUljE_EEESV_SW_SX_S14_S18_S1A_T6_T7_T9_mT8_S1C_bDpT10_ENKUlT_T0_E_clISt17integral_constantIbLb1EES1O_IbLb0EEEEDaS1K_S1L_EUlS1K_E_NS1_11comp_targetILNS1_3genE8ELNS1_11target_archE1030ELNS1_3gpuE2ELNS1_3repE0EEENS1_30default_config_static_selectorELNS0_4arch9wavefront6targetE1EEEvSY_,"axG",@progbits,_ZN7rocprim17ROCPRIM_400000_NS6detail17trampoline_kernelINS0_13select_configILj256ELj13ELNS0_17block_load_methodE3ELS4_3ELS4_3ELNS0_20block_scan_algorithmE0ELj4294967295EEENS1_25partition_config_selectorILNS1_17partition_subalgoE3EjNS0_10empty_typeEbEEZZNS1_14partition_implILS8_3ELb0ES6_jNS0_17counting_iteratorIjlEEPS9_SE_NS0_5tupleIJPjSE_EEENSF_IJSE_SE_EEES9_SG_JZNS1_25segmented_radix_sort_implINS0_14default_configELb1EPKaPaPKlPlN2at6native12_GLOBAL__N_18offset_tEEE10hipError_tPvRmT1_PNSt15iterator_traitsISY_E10value_typeET2_T3_PNSZ_IS14_E10value_typeET4_jRbjT5_S1A_jjP12ihipStream_tbEUljE_EEESV_SW_SX_S14_S18_S1A_T6_T7_T9_mT8_S1C_bDpT10_ENKUlT_T0_E_clISt17integral_constantIbLb1EES1O_IbLb0EEEEDaS1K_S1L_EUlS1K_E_NS1_11comp_targetILNS1_3genE8ELNS1_11target_archE1030ELNS1_3gpuE2ELNS1_3repE0EEENS1_30default_config_static_selectorELNS0_4arch9wavefront6targetE1EEEvSY_,comdat
.Lfunc_end281:
	.size	_ZN7rocprim17ROCPRIM_400000_NS6detail17trampoline_kernelINS0_13select_configILj256ELj13ELNS0_17block_load_methodE3ELS4_3ELS4_3ELNS0_20block_scan_algorithmE0ELj4294967295EEENS1_25partition_config_selectorILNS1_17partition_subalgoE3EjNS0_10empty_typeEbEEZZNS1_14partition_implILS8_3ELb0ES6_jNS0_17counting_iteratorIjlEEPS9_SE_NS0_5tupleIJPjSE_EEENSF_IJSE_SE_EEES9_SG_JZNS1_25segmented_radix_sort_implINS0_14default_configELb1EPKaPaPKlPlN2at6native12_GLOBAL__N_18offset_tEEE10hipError_tPvRmT1_PNSt15iterator_traitsISY_E10value_typeET2_T3_PNSZ_IS14_E10value_typeET4_jRbjT5_S1A_jjP12ihipStream_tbEUljE_EEESV_SW_SX_S14_S18_S1A_T6_T7_T9_mT8_S1C_bDpT10_ENKUlT_T0_E_clISt17integral_constantIbLb1EES1O_IbLb0EEEEDaS1K_S1L_EUlS1K_E_NS1_11comp_targetILNS1_3genE8ELNS1_11target_archE1030ELNS1_3gpuE2ELNS1_3repE0EEENS1_30default_config_static_selectorELNS0_4arch9wavefront6targetE1EEEvSY_, .Lfunc_end281-_ZN7rocprim17ROCPRIM_400000_NS6detail17trampoline_kernelINS0_13select_configILj256ELj13ELNS0_17block_load_methodE3ELS4_3ELS4_3ELNS0_20block_scan_algorithmE0ELj4294967295EEENS1_25partition_config_selectorILNS1_17partition_subalgoE3EjNS0_10empty_typeEbEEZZNS1_14partition_implILS8_3ELb0ES6_jNS0_17counting_iteratorIjlEEPS9_SE_NS0_5tupleIJPjSE_EEENSF_IJSE_SE_EEES9_SG_JZNS1_25segmented_radix_sort_implINS0_14default_configELb1EPKaPaPKlPlN2at6native12_GLOBAL__N_18offset_tEEE10hipError_tPvRmT1_PNSt15iterator_traitsISY_E10value_typeET2_T3_PNSZ_IS14_E10value_typeET4_jRbjT5_S1A_jjP12ihipStream_tbEUljE_EEESV_SW_SX_S14_S18_S1A_T6_T7_T9_mT8_S1C_bDpT10_ENKUlT_T0_E_clISt17integral_constantIbLb1EES1O_IbLb0EEEEDaS1K_S1L_EUlS1K_E_NS1_11comp_targetILNS1_3genE8ELNS1_11target_archE1030ELNS1_3gpuE2ELNS1_3repE0EEENS1_30default_config_static_selectorELNS0_4arch9wavefront6targetE1EEEvSY_
                                        ; -- End function
	.set _ZN7rocprim17ROCPRIM_400000_NS6detail17trampoline_kernelINS0_13select_configILj256ELj13ELNS0_17block_load_methodE3ELS4_3ELS4_3ELNS0_20block_scan_algorithmE0ELj4294967295EEENS1_25partition_config_selectorILNS1_17partition_subalgoE3EjNS0_10empty_typeEbEEZZNS1_14partition_implILS8_3ELb0ES6_jNS0_17counting_iteratorIjlEEPS9_SE_NS0_5tupleIJPjSE_EEENSF_IJSE_SE_EEES9_SG_JZNS1_25segmented_radix_sort_implINS0_14default_configELb1EPKaPaPKlPlN2at6native12_GLOBAL__N_18offset_tEEE10hipError_tPvRmT1_PNSt15iterator_traitsISY_E10value_typeET2_T3_PNSZ_IS14_E10value_typeET4_jRbjT5_S1A_jjP12ihipStream_tbEUljE_EEESV_SW_SX_S14_S18_S1A_T6_T7_T9_mT8_S1C_bDpT10_ENKUlT_T0_E_clISt17integral_constantIbLb1EES1O_IbLb0EEEEDaS1K_S1L_EUlS1K_E_NS1_11comp_targetILNS1_3genE8ELNS1_11target_archE1030ELNS1_3gpuE2ELNS1_3repE0EEENS1_30default_config_static_selectorELNS0_4arch9wavefront6targetE1EEEvSY_.num_vgpr, 0
	.set _ZN7rocprim17ROCPRIM_400000_NS6detail17trampoline_kernelINS0_13select_configILj256ELj13ELNS0_17block_load_methodE3ELS4_3ELS4_3ELNS0_20block_scan_algorithmE0ELj4294967295EEENS1_25partition_config_selectorILNS1_17partition_subalgoE3EjNS0_10empty_typeEbEEZZNS1_14partition_implILS8_3ELb0ES6_jNS0_17counting_iteratorIjlEEPS9_SE_NS0_5tupleIJPjSE_EEENSF_IJSE_SE_EEES9_SG_JZNS1_25segmented_radix_sort_implINS0_14default_configELb1EPKaPaPKlPlN2at6native12_GLOBAL__N_18offset_tEEE10hipError_tPvRmT1_PNSt15iterator_traitsISY_E10value_typeET2_T3_PNSZ_IS14_E10value_typeET4_jRbjT5_S1A_jjP12ihipStream_tbEUljE_EEESV_SW_SX_S14_S18_S1A_T6_T7_T9_mT8_S1C_bDpT10_ENKUlT_T0_E_clISt17integral_constantIbLb1EES1O_IbLb0EEEEDaS1K_S1L_EUlS1K_E_NS1_11comp_targetILNS1_3genE8ELNS1_11target_archE1030ELNS1_3gpuE2ELNS1_3repE0EEENS1_30default_config_static_selectorELNS0_4arch9wavefront6targetE1EEEvSY_.num_agpr, 0
	.set _ZN7rocprim17ROCPRIM_400000_NS6detail17trampoline_kernelINS0_13select_configILj256ELj13ELNS0_17block_load_methodE3ELS4_3ELS4_3ELNS0_20block_scan_algorithmE0ELj4294967295EEENS1_25partition_config_selectorILNS1_17partition_subalgoE3EjNS0_10empty_typeEbEEZZNS1_14partition_implILS8_3ELb0ES6_jNS0_17counting_iteratorIjlEEPS9_SE_NS0_5tupleIJPjSE_EEENSF_IJSE_SE_EEES9_SG_JZNS1_25segmented_radix_sort_implINS0_14default_configELb1EPKaPaPKlPlN2at6native12_GLOBAL__N_18offset_tEEE10hipError_tPvRmT1_PNSt15iterator_traitsISY_E10value_typeET2_T3_PNSZ_IS14_E10value_typeET4_jRbjT5_S1A_jjP12ihipStream_tbEUljE_EEESV_SW_SX_S14_S18_S1A_T6_T7_T9_mT8_S1C_bDpT10_ENKUlT_T0_E_clISt17integral_constantIbLb1EES1O_IbLb0EEEEDaS1K_S1L_EUlS1K_E_NS1_11comp_targetILNS1_3genE8ELNS1_11target_archE1030ELNS1_3gpuE2ELNS1_3repE0EEENS1_30default_config_static_selectorELNS0_4arch9wavefront6targetE1EEEvSY_.numbered_sgpr, 0
	.set _ZN7rocprim17ROCPRIM_400000_NS6detail17trampoline_kernelINS0_13select_configILj256ELj13ELNS0_17block_load_methodE3ELS4_3ELS4_3ELNS0_20block_scan_algorithmE0ELj4294967295EEENS1_25partition_config_selectorILNS1_17partition_subalgoE3EjNS0_10empty_typeEbEEZZNS1_14partition_implILS8_3ELb0ES6_jNS0_17counting_iteratorIjlEEPS9_SE_NS0_5tupleIJPjSE_EEENSF_IJSE_SE_EEES9_SG_JZNS1_25segmented_radix_sort_implINS0_14default_configELb1EPKaPaPKlPlN2at6native12_GLOBAL__N_18offset_tEEE10hipError_tPvRmT1_PNSt15iterator_traitsISY_E10value_typeET2_T3_PNSZ_IS14_E10value_typeET4_jRbjT5_S1A_jjP12ihipStream_tbEUljE_EEESV_SW_SX_S14_S18_S1A_T6_T7_T9_mT8_S1C_bDpT10_ENKUlT_T0_E_clISt17integral_constantIbLb1EES1O_IbLb0EEEEDaS1K_S1L_EUlS1K_E_NS1_11comp_targetILNS1_3genE8ELNS1_11target_archE1030ELNS1_3gpuE2ELNS1_3repE0EEENS1_30default_config_static_selectorELNS0_4arch9wavefront6targetE1EEEvSY_.num_named_barrier, 0
	.set _ZN7rocprim17ROCPRIM_400000_NS6detail17trampoline_kernelINS0_13select_configILj256ELj13ELNS0_17block_load_methodE3ELS4_3ELS4_3ELNS0_20block_scan_algorithmE0ELj4294967295EEENS1_25partition_config_selectorILNS1_17partition_subalgoE3EjNS0_10empty_typeEbEEZZNS1_14partition_implILS8_3ELb0ES6_jNS0_17counting_iteratorIjlEEPS9_SE_NS0_5tupleIJPjSE_EEENSF_IJSE_SE_EEES9_SG_JZNS1_25segmented_radix_sort_implINS0_14default_configELb1EPKaPaPKlPlN2at6native12_GLOBAL__N_18offset_tEEE10hipError_tPvRmT1_PNSt15iterator_traitsISY_E10value_typeET2_T3_PNSZ_IS14_E10value_typeET4_jRbjT5_S1A_jjP12ihipStream_tbEUljE_EEESV_SW_SX_S14_S18_S1A_T6_T7_T9_mT8_S1C_bDpT10_ENKUlT_T0_E_clISt17integral_constantIbLb1EES1O_IbLb0EEEEDaS1K_S1L_EUlS1K_E_NS1_11comp_targetILNS1_3genE8ELNS1_11target_archE1030ELNS1_3gpuE2ELNS1_3repE0EEENS1_30default_config_static_selectorELNS0_4arch9wavefront6targetE1EEEvSY_.private_seg_size, 0
	.set _ZN7rocprim17ROCPRIM_400000_NS6detail17trampoline_kernelINS0_13select_configILj256ELj13ELNS0_17block_load_methodE3ELS4_3ELS4_3ELNS0_20block_scan_algorithmE0ELj4294967295EEENS1_25partition_config_selectorILNS1_17partition_subalgoE3EjNS0_10empty_typeEbEEZZNS1_14partition_implILS8_3ELb0ES6_jNS0_17counting_iteratorIjlEEPS9_SE_NS0_5tupleIJPjSE_EEENSF_IJSE_SE_EEES9_SG_JZNS1_25segmented_radix_sort_implINS0_14default_configELb1EPKaPaPKlPlN2at6native12_GLOBAL__N_18offset_tEEE10hipError_tPvRmT1_PNSt15iterator_traitsISY_E10value_typeET2_T3_PNSZ_IS14_E10value_typeET4_jRbjT5_S1A_jjP12ihipStream_tbEUljE_EEESV_SW_SX_S14_S18_S1A_T6_T7_T9_mT8_S1C_bDpT10_ENKUlT_T0_E_clISt17integral_constantIbLb1EES1O_IbLb0EEEEDaS1K_S1L_EUlS1K_E_NS1_11comp_targetILNS1_3genE8ELNS1_11target_archE1030ELNS1_3gpuE2ELNS1_3repE0EEENS1_30default_config_static_selectorELNS0_4arch9wavefront6targetE1EEEvSY_.uses_vcc, 0
	.set _ZN7rocprim17ROCPRIM_400000_NS6detail17trampoline_kernelINS0_13select_configILj256ELj13ELNS0_17block_load_methodE3ELS4_3ELS4_3ELNS0_20block_scan_algorithmE0ELj4294967295EEENS1_25partition_config_selectorILNS1_17partition_subalgoE3EjNS0_10empty_typeEbEEZZNS1_14partition_implILS8_3ELb0ES6_jNS0_17counting_iteratorIjlEEPS9_SE_NS0_5tupleIJPjSE_EEENSF_IJSE_SE_EEES9_SG_JZNS1_25segmented_radix_sort_implINS0_14default_configELb1EPKaPaPKlPlN2at6native12_GLOBAL__N_18offset_tEEE10hipError_tPvRmT1_PNSt15iterator_traitsISY_E10value_typeET2_T3_PNSZ_IS14_E10value_typeET4_jRbjT5_S1A_jjP12ihipStream_tbEUljE_EEESV_SW_SX_S14_S18_S1A_T6_T7_T9_mT8_S1C_bDpT10_ENKUlT_T0_E_clISt17integral_constantIbLb1EES1O_IbLb0EEEEDaS1K_S1L_EUlS1K_E_NS1_11comp_targetILNS1_3genE8ELNS1_11target_archE1030ELNS1_3gpuE2ELNS1_3repE0EEENS1_30default_config_static_selectorELNS0_4arch9wavefront6targetE1EEEvSY_.uses_flat_scratch, 0
	.set _ZN7rocprim17ROCPRIM_400000_NS6detail17trampoline_kernelINS0_13select_configILj256ELj13ELNS0_17block_load_methodE3ELS4_3ELS4_3ELNS0_20block_scan_algorithmE0ELj4294967295EEENS1_25partition_config_selectorILNS1_17partition_subalgoE3EjNS0_10empty_typeEbEEZZNS1_14partition_implILS8_3ELb0ES6_jNS0_17counting_iteratorIjlEEPS9_SE_NS0_5tupleIJPjSE_EEENSF_IJSE_SE_EEES9_SG_JZNS1_25segmented_radix_sort_implINS0_14default_configELb1EPKaPaPKlPlN2at6native12_GLOBAL__N_18offset_tEEE10hipError_tPvRmT1_PNSt15iterator_traitsISY_E10value_typeET2_T3_PNSZ_IS14_E10value_typeET4_jRbjT5_S1A_jjP12ihipStream_tbEUljE_EEESV_SW_SX_S14_S18_S1A_T6_T7_T9_mT8_S1C_bDpT10_ENKUlT_T0_E_clISt17integral_constantIbLb1EES1O_IbLb0EEEEDaS1K_S1L_EUlS1K_E_NS1_11comp_targetILNS1_3genE8ELNS1_11target_archE1030ELNS1_3gpuE2ELNS1_3repE0EEENS1_30default_config_static_selectorELNS0_4arch9wavefront6targetE1EEEvSY_.has_dyn_sized_stack, 0
	.set _ZN7rocprim17ROCPRIM_400000_NS6detail17trampoline_kernelINS0_13select_configILj256ELj13ELNS0_17block_load_methodE3ELS4_3ELS4_3ELNS0_20block_scan_algorithmE0ELj4294967295EEENS1_25partition_config_selectorILNS1_17partition_subalgoE3EjNS0_10empty_typeEbEEZZNS1_14partition_implILS8_3ELb0ES6_jNS0_17counting_iteratorIjlEEPS9_SE_NS0_5tupleIJPjSE_EEENSF_IJSE_SE_EEES9_SG_JZNS1_25segmented_radix_sort_implINS0_14default_configELb1EPKaPaPKlPlN2at6native12_GLOBAL__N_18offset_tEEE10hipError_tPvRmT1_PNSt15iterator_traitsISY_E10value_typeET2_T3_PNSZ_IS14_E10value_typeET4_jRbjT5_S1A_jjP12ihipStream_tbEUljE_EEESV_SW_SX_S14_S18_S1A_T6_T7_T9_mT8_S1C_bDpT10_ENKUlT_T0_E_clISt17integral_constantIbLb1EES1O_IbLb0EEEEDaS1K_S1L_EUlS1K_E_NS1_11comp_targetILNS1_3genE8ELNS1_11target_archE1030ELNS1_3gpuE2ELNS1_3repE0EEENS1_30default_config_static_selectorELNS0_4arch9wavefront6targetE1EEEvSY_.has_recursion, 0
	.set _ZN7rocprim17ROCPRIM_400000_NS6detail17trampoline_kernelINS0_13select_configILj256ELj13ELNS0_17block_load_methodE3ELS4_3ELS4_3ELNS0_20block_scan_algorithmE0ELj4294967295EEENS1_25partition_config_selectorILNS1_17partition_subalgoE3EjNS0_10empty_typeEbEEZZNS1_14partition_implILS8_3ELb0ES6_jNS0_17counting_iteratorIjlEEPS9_SE_NS0_5tupleIJPjSE_EEENSF_IJSE_SE_EEES9_SG_JZNS1_25segmented_radix_sort_implINS0_14default_configELb1EPKaPaPKlPlN2at6native12_GLOBAL__N_18offset_tEEE10hipError_tPvRmT1_PNSt15iterator_traitsISY_E10value_typeET2_T3_PNSZ_IS14_E10value_typeET4_jRbjT5_S1A_jjP12ihipStream_tbEUljE_EEESV_SW_SX_S14_S18_S1A_T6_T7_T9_mT8_S1C_bDpT10_ENKUlT_T0_E_clISt17integral_constantIbLb1EES1O_IbLb0EEEEDaS1K_S1L_EUlS1K_E_NS1_11comp_targetILNS1_3genE8ELNS1_11target_archE1030ELNS1_3gpuE2ELNS1_3repE0EEENS1_30default_config_static_selectorELNS0_4arch9wavefront6targetE1EEEvSY_.has_indirect_call, 0
	.section	.AMDGPU.csdata,"",@progbits
; Kernel info:
; codeLenInByte = 0
; TotalNumSgprs: 4
; NumVgprs: 0
; ScratchSize: 0
; MemoryBound: 0
; FloatMode: 240
; IeeeMode: 1
; LDSByteSize: 0 bytes/workgroup (compile time only)
; SGPRBlocks: 0
; VGPRBlocks: 0
; NumSGPRsForWavesPerEU: 4
; NumVGPRsForWavesPerEU: 1
; Occupancy: 10
; WaveLimiterHint : 0
; COMPUTE_PGM_RSRC2:SCRATCH_EN: 0
; COMPUTE_PGM_RSRC2:USER_SGPR: 6
; COMPUTE_PGM_RSRC2:TRAP_HANDLER: 0
; COMPUTE_PGM_RSRC2:TGID_X_EN: 1
; COMPUTE_PGM_RSRC2:TGID_Y_EN: 0
; COMPUTE_PGM_RSRC2:TGID_Z_EN: 0
; COMPUTE_PGM_RSRC2:TIDIG_COMP_CNT: 0
	.section	.text._ZN7rocprim17ROCPRIM_400000_NS6detail17trampoline_kernelINS0_13select_configILj256ELj13ELNS0_17block_load_methodE3ELS4_3ELS4_3ELNS0_20block_scan_algorithmE0ELj4294967295EEENS1_25partition_config_selectorILNS1_17partition_subalgoE3EjNS0_10empty_typeEbEEZZNS1_14partition_implILS8_3ELb0ES6_jNS0_17counting_iteratorIjlEEPS9_SE_NS0_5tupleIJPjSE_EEENSF_IJSE_SE_EEES9_SG_JZNS1_25segmented_radix_sort_implINS0_14default_configELb1EPKaPaPKlPlN2at6native12_GLOBAL__N_18offset_tEEE10hipError_tPvRmT1_PNSt15iterator_traitsISY_E10value_typeET2_T3_PNSZ_IS14_E10value_typeET4_jRbjT5_S1A_jjP12ihipStream_tbEUljE_EEESV_SW_SX_S14_S18_S1A_T6_T7_T9_mT8_S1C_bDpT10_ENKUlT_T0_E_clISt17integral_constantIbLb0EES1O_IbLb1EEEEDaS1K_S1L_EUlS1K_E_NS1_11comp_targetILNS1_3genE0ELNS1_11target_archE4294967295ELNS1_3gpuE0ELNS1_3repE0EEENS1_30default_config_static_selectorELNS0_4arch9wavefront6targetE1EEEvSY_,"axG",@progbits,_ZN7rocprim17ROCPRIM_400000_NS6detail17trampoline_kernelINS0_13select_configILj256ELj13ELNS0_17block_load_methodE3ELS4_3ELS4_3ELNS0_20block_scan_algorithmE0ELj4294967295EEENS1_25partition_config_selectorILNS1_17partition_subalgoE3EjNS0_10empty_typeEbEEZZNS1_14partition_implILS8_3ELb0ES6_jNS0_17counting_iteratorIjlEEPS9_SE_NS0_5tupleIJPjSE_EEENSF_IJSE_SE_EEES9_SG_JZNS1_25segmented_radix_sort_implINS0_14default_configELb1EPKaPaPKlPlN2at6native12_GLOBAL__N_18offset_tEEE10hipError_tPvRmT1_PNSt15iterator_traitsISY_E10value_typeET2_T3_PNSZ_IS14_E10value_typeET4_jRbjT5_S1A_jjP12ihipStream_tbEUljE_EEESV_SW_SX_S14_S18_S1A_T6_T7_T9_mT8_S1C_bDpT10_ENKUlT_T0_E_clISt17integral_constantIbLb0EES1O_IbLb1EEEEDaS1K_S1L_EUlS1K_E_NS1_11comp_targetILNS1_3genE0ELNS1_11target_archE4294967295ELNS1_3gpuE0ELNS1_3repE0EEENS1_30default_config_static_selectorELNS0_4arch9wavefront6targetE1EEEvSY_,comdat
	.globl	_ZN7rocprim17ROCPRIM_400000_NS6detail17trampoline_kernelINS0_13select_configILj256ELj13ELNS0_17block_load_methodE3ELS4_3ELS4_3ELNS0_20block_scan_algorithmE0ELj4294967295EEENS1_25partition_config_selectorILNS1_17partition_subalgoE3EjNS0_10empty_typeEbEEZZNS1_14partition_implILS8_3ELb0ES6_jNS0_17counting_iteratorIjlEEPS9_SE_NS0_5tupleIJPjSE_EEENSF_IJSE_SE_EEES9_SG_JZNS1_25segmented_radix_sort_implINS0_14default_configELb1EPKaPaPKlPlN2at6native12_GLOBAL__N_18offset_tEEE10hipError_tPvRmT1_PNSt15iterator_traitsISY_E10value_typeET2_T3_PNSZ_IS14_E10value_typeET4_jRbjT5_S1A_jjP12ihipStream_tbEUljE_EEESV_SW_SX_S14_S18_S1A_T6_T7_T9_mT8_S1C_bDpT10_ENKUlT_T0_E_clISt17integral_constantIbLb0EES1O_IbLb1EEEEDaS1K_S1L_EUlS1K_E_NS1_11comp_targetILNS1_3genE0ELNS1_11target_archE4294967295ELNS1_3gpuE0ELNS1_3repE0EEENS1_30default_config_static_selectorELNS0_4arch9wavefront6targetE1EEEvSY_ ; -- Begin function _ZN7rocprim17ROCPRIM_400000_NS6detail17trampoline_kernelINS0_13select_configILj256ELj13ELNS0_17block_load_methodE3ELS4_3ELS4_3ELNS0_20block_scan_algorithmE0ELj4294967295EEENS1_25partition_config_selectorILNS1_17partition_subalgoE3EjNS0_10empty_typeEbEEZZNS1_14partition_implILS8_3ELb0ES6_jNS0_17counting_iteratorIjlEEPS9_SE_NS0_5tupleIJPjSE_EEENSF_IJSE_SE_EEES9_SG_JZNS1_25segmented_radix_sort_implINS0_14default_configELb1EPKaPaPKlPlN2at6native12_GLOBAL__N_18offset_tEEE10hipError_tPvRmT1_PNSt15iterator_traitsISY_E10value_typeET2_T3_PNSZ_IS14_E10value_typeET4_jRbjT5_S1A_jjP12ihipStream_tbEUljE_EEESV_SW_SX_S14_S18_S1A_T6_T7_T9_mT8_S1C_bDpT10_ENKUlT_T0_E_clISt17integral_constantIbLb0EES1O_IbLb1EEEEDaS1K_S1L_EUlS1K_E_NS1_11comp_targetILNS1_3genE0ELNS1_11target_archE4294967295ELNS1_3gpuE0ELNS1_3repE0EEENS1_30default_config_static_selectorELNS0_4arch9wavefront6targetE1EEEvSY_
	.p2align	8
	.type	_ZN7rocprim17ROCPRIM_400000_NS6detail17trampoline_kernelINS0_13select_configILj256ELj13ELNS0_17block_load_methodE3ELS4_3ELS4_3ELNS0_20block_scan_algorithmE0ELj4294967295EEENS1_25partition_config_selectorILNS1_17partition_subalgoE3EjNS0_10empty_typeEbEEZZNS1_14partition_implILS8_3ELb0ES6_jNS0_17counting_iteratorIjlEEPS9_SE_NS0_5tupleIJPjSE_EEENSF_IJSE_SE_EEES9_SG_JZNS1_25segmented_radix_sort_implINS0_14default_configELb1EPKaPaPKlPlN2at6native12_GLOBAL__N_18offset_tEEE10hipError_tPvRmT1_PNSt15iterator_traitsISY_E10value_typeET2_T3_PNSZ_IS14_E10value_typeET4_jRbjT5_S1A_jjP12ihipStream_tbEUljE_EEESV_SW_SX_S14_S18_S1A_T6_T7_T9_mT8_S1C_bDpT10_ENKUlT_T0_E_clISt17integral_constantIbLb0EES1O_IbLb1EEEEDaS1K_S1L_EUlS1K_E_NS1_11comp_targetILNS1_3genE0ELNS1_11target_archE4294967295ELNS1_3gpuE0ELNS1_3repE0EEENS1_30default_config_static_selectorELNS0_4arch9wavefront6targetE1EEEvSY_,@function
_ZN7rocprim17ROCPRIM_400000_NS6detail17trampoline_kernelINS0_13select_configILj256ELj13ELNS0_17block_load_methodE3ELS4_3ELS4_3ELNS0_20block_scan_algorithmE0ELj4294967295EEENS1_25partition_config_selectorILNS1_17partition_subalgoE3EjNS0_10empty_typeEbEEZZNS1_14partition_implILS8_3ELb0ES6_jNS0_17counting_iteratorIjlEEPS9_SE_NS0_5tupleIJPjSE_EEENSF_IJSE_SE_EEES9_SG_JZNS1_25segmented_radix_sort_implINS0_14default_configELb1EPKaPaPKlPlN2at6native12_GLOBAL__N_18offset_tEEE10hipError_tPvRmT1_PNSt15iterator_traitsISY_E10value_typeET2_T3_PNSZ_IS14_E10value_typeET4_jRbjT5_S1A_jjP12ihipStream_tbEUljE_EEESV_SW_SX_S14_S18_S1A_T6_T7_T9_mT8_S1C_bDpT10_ENKUlT_T0_E_clISt17integral_constantIbLb0EES1O_IbLb1EEEEDaS1K_S1L_EUlS1K_E_NS1_11comp_targetILNS1_3genE0ELNS1_11target_archE4294967295ELNS1_3gpuE0ELNS1_3repE0EEENS1_30default_config_static_selectorELNS0_4arch9wavefront6targetE1EEEvSY_: ; @_ZN7rocprim17ROCPRIM_400000_NS6detail17trampoline_kernelINS0_13select_configILj256ELj13ELNS0_17block_load_methodE3ELS4_3ELS4_3ELNS0_20block_scan_algorithmE0ELj4294967295EEENS1_25partition_config_selectorILNS1_17partition_subalgoE3EjNS0_10empty_typeEbEEZZNS1_14partition_implILS8_3ELb0ES6_jNS0_17counting_iteratorIjlEEPS9_SE_NS0_5tupleIJPjSE_EEENSF_IJSE_SE_EEES9_SG_JZNS1_25segmented_radix_sort_implINS0_14default_configELb1EPKaPaPKlPlN2at6native12_GLOBAL__N_18offset_tEEE10hipError_tPvRmT1_PNSt15iterator_traitsISY_E10value_typeET2_T3_PNSZ_IS14_E10value_typeET4_jRbjT5_S1A_jjP12ihipStream_tbEUljE_EEESV_SW_SX_S14_S18_S1A_T6_T7_T9_mT8_S1C_bDpT10_ENKUlT_T0_E_clISt17integral_constantIbLb0EES1O_IbLb1EEEEDaS1K_S1L_EUlS1K_E_NS1_11comp_targetILNS1_3genE0ELNS1_11target_archE4294967295ELNS1_3gpuE0ELNS1_3repE0EEENS1_30default_config_static_selectorELNS0_4arch9wavefront6targetE1EEEvSY_
; %bb.0:
	.section	.rodata,"a",@progbits
	.p2align	6, 0x0
	.amdhsa_kernel _ZN7rocprim17ROCPRIM_400000_NS6detail17trampoline_kernelINS0_13select_configILj256ELj13ELNS0_17block_load_methodE3ELS4_3ELS4_3ELNS0_20block_scan_algorithmE0ELj4294967295EEENS1_25partition_config_selectorILNS1_17partition_subalgoE3EjNS0_10empty_typeEbEEZZNS1_14partition_implILS8_3ELb0ES6_jNS0_17counting_iteratorIjlEEPS9_SE_NS0_5tupleIJPjSE_EEENSF_IJSE_SE_EEES9_SG_JZNS1_25segmented_radix_sort_implINS0_14default_configELb1EPKaPaPKlPlN2at6native12_GLOBAL__N_18offset_tEEE10hipError_tPvRmT1_PNSt15iterator_traitsISY_E10value_typeET2_T3_PNSZ_IS14_E10value_typeET4_jRbjT5_S1A_jjP12ihipStream_tbEUljE_EEESV_SW_SX_S14_S18_S1A_T6_T7_T9_mT8_S1C_bDpT10_ENKUlT_T0_E_clISt17integral_constantIbLb0EES1O_IbLb1EEEEDaS1K_S1L_EUlS1K_E_NS1_11comp_targetILNS1_3genE0ELNS1_11target_archE4294967295ELNS1_3gpuE0ELNS1_3repE0EEENS1_30default_config_static_selectorELNS0_4arch9wavefront6targetE1EEEvSY_
		.amdhsa_group_segment_fixed_size 0
		.amdhsa_private_segment_fixed_size 0
		.amdhsa_kernarg_size 152
		.amdhsa_user_sgpr_count 6
		.amdhsa_user_sgpr_private_segment_buffer 1
		.amdhsa_user_sgpr_dispatch_ptr 0
		.amdhsa_user_sgpr_queue_ptr 0
		.amdhsa_user_sgpr_kernarg_segment_ptr 1
		.amdhsa_user_sgpr_dispatch_id 0
		.amdhsa_user_sgpr_flat_scratch_init 0
		.amdhsa_user_sgpr_private_segment_size 0
		.amdhsa_uses_dynamic_stack 0
		.amdhsa_system_sgpr_private_segment_wavefront_offset 0
		.amdhsa_system_sgpr_workgroup_id_x 1
		.amdhsa_system_sgpr_workgroup_id_y 0
		.amdhsa_system_sgpr_workgroup_id_z 0
		.amdhsa_system_sgpr_workgroup_info 0
		.amdhsa_system_vgpr_workitem_id 0
		.amdhsa_next_free_vgpr 1
		.amdhsa_next_free_sgpr 0
		.amdhsa_reserve_vcc 0
		.amdhsa_reserve_flat_scratch 0
		.amdhsa_float_round_mode_32 0
		.amdhsa_float_round_mode_16_64 0
		.amdhsa_float_denorm_mode_32 3
		.amdhsa_float_denorm_mode_16_64 3
		.amdhsa_dx10_clamp 1
		.amdhsa_ieee_mode 1
		.amdhsa_fp16_overflow 0
		.amdhsa_exception_fp_ieee_invalid_op 0
		.amdhsa_exception_fp_denorm_src 0
		.amdhsa_exception_fp_ieee_div_zero 0
		.amdhsa_exception_fp_ieee_overflow 0
		.amdhsa_exception_fp_ieee_underflow 0
		.amdhsa_exception_fp_ieee_inexact 0
		.amdhsa_exception_int_div_zero 0
	.end_amdhsa_kernel
	.section	.text._ZN7rocprim17ROCPRIM_400000_NS6detail17trampoline_kernelINS0_13select_configILj256ELj13ELNS0_17block_load_methodE3ELS4_3ELS4_3ELNS0_20block_scan_algorithmE0ELj4294967295EEENS1_25partition_config_selectorILNS1_17partition_subalgoE3EjNS0_10empty_typeEbEEZZNS1_14partition_implILS8_3ELb0ES6_jNS0_17counting_iteratorIjlEEPS9_SE_NS0_5tupleIJPjSE_EEENSF_IJSE_SE_EEES9_SG_JZNS1_25segmented_radix_sort_implINS0_14default_configELb1EPKaPaPKlPlN2at6native12_GLOBAL__N_18offset_tEEE10hipError_tPvRmT1_PNSt15iterator_traitsISY_E10value_typeET2_T3_PNSZ_IS14_E10value_typeET4_jRbjT5_S1A_jjP12ihipStream_tbEUljE_EEESV_SW_SX_S14_S18_S1A_T6_T7_T9_mT8_S1C_bDpT10_ENKUlT_T0_E_clISt17integral_constantIbLb0EES1O_IbLb1EEEEDaS1K_S1L_EUlS1K_E_NS1_11comp_targetILNS1_3genE0ELNS1_11target_archE4294967295ELNS1_3gpuE0ELNS1_3repE0EEENS1_30default_config_static_selectorELNS0_4arch9wavefront6targetE1EEEvSY_,"axG",@progbits,_ZN7rocprim17ROCPRIM_400000_NS6detail17trampoline_kernelINS0_13select_configILj256ELj13ELNS0_17block_load_methodE3ELS4_3ELS4_3ELNS0_20block_scan_algorithmE0ELj4294967295EEENS1_25partition_config_selectorILNS1_17partition_subalgoE3EjNS0_10empty_typeEbEEZZNS1_14partition_implILS8_3ELb0ES6_jNS0_17counting_iteratorIjlEEPS9_SE_NS0_5tupleIJPjSE_EEENSF_IJSE_SE_EEES9_SG_JZNS1_25segmented_radix_sort_implINS0_14default_configELb1EPKaPaPKlPlN2at6native12_GLOBAL__N_18offset_tEEE10hipError_tPvRmT1_PNSt15iterator_traitsISY_E10value_typeET2_T3_PNSZ_IS14_E10value_typeET4_jRbjT5_S1A_jjP12ihipStream_tbEUljE_EEESV_SW_SX_S14_S18_S1A_T6_T7_T9_mT8_S1C_bDpT10_ENKUlT_T0_E_clISt17integral_constantIbLb0EES1O_IbLb1EEEEDaS1K_S1L_EUlS1K_E_NS1_11comp_targetILNS1_3genE0ELNS1_11target_archE4294967295ELNS1_3gpuE0ELNS1_3repE0EEENS1_30default_config_static_selectorELNS0_4arch9wavefront6targetE1EEEvSY_,comdat
.Lfunc_end282:
	.size	_ZN7rocprim17ROCPRIM_400000_NS6detail17trampoline_kernelINS0_13select_configILj256ELj13ELNS0_17block_load_methodE3ELS4_3ELS4_3ELNS0_20block_scan_algorithmE0ELj4294967295EEENS1_25partition_config_selectorILNS1_17partition_subalgoE3EjNS0_10empty_typeEbEEZZNS1_14partition_implILS8_3ELb0ES6_jNS0_17counting_iteratorIjlEEPS9_SE_NS0_5tupleIJPjSE_EEENSF_IJSE_SE_EEES9_SG_JZNS1_25segmented_radix_sort_implINS0_14default_configELb1EPKaPaPKlPlN2at6native12_GLOBAL__N_18offset_tEEE10hipError_tPvRmT1_PNSt15iterator_traitsISY_E10value_typeET2_T3_PNSZ_IS14_E10value_typeET4_jRbjT5_S1A_jjP12ihipStream_tbEUljE_EEESV_SW_SX_S14_S18_S1A_T6_T7_T9_mT8_S1C_bDpT10_ENKUlT_T0_E_clISt17integral_constantIbLb0EES1O_IbLb1EEEEDaS1K_S1L_EUlS1K_E_NS1_11comp_targetILNS1_3genE0ELNS1_11target_archE4294967295ELNS1_3gpuE0ELNS1_3repE0EEENS1_30default_config_static_selectorELNS0_4arch9wavefront6targetE1EEEvSY_, .Lfunc_end282-_ZN7rocprim17ROCPRIM_400000_NS6detail17trampoline_kernelINS0_13select_configILj256ELj13ELNS0_17block_load_methodE3ELS4_3ELS4_3ELNS0_20block_scan_algorithmE0ELj4294967295EEENS1_25partition_config_selectorILNS1_17partition_subalgoE3EjNS0_10empty_typeEbEEZZNS1_14partition_implILS8_3ELb0ES6_jNS0_17counting_iteratorIjlEEPS9_SE_NS0_5tupleIJPjSE_EEENSF_IJSE_SE_EEES9_SG_JZNS1_25segmented_radix_sort_implINS0_14default_configELb1EPKaPaPKlPlN2at6native12_GLOBAL__N_18offset_tEEE10hipError_tPvRmT1_PNSt15iterator_traitsISY_E10value_typeET2_T3_PNSZ_IS14_E10value_typeET4_jRbjT5_S1A_jjP12ihipStream_tbEUljE_EEESV_SW_SX_S14_S18_S1A_T6_T7_T9_mT8_S1C_bDpT10_ENKUlT_T0_E_clISt17integral_constantIbLb0EES1O_IbLb1EEEEDaS1K_S1L_EUlS1K_E_NS1_11comp_targetILNS1_3genE0ELNS1_11target_archE4294967295ELNS1_3gpuE0ELNS1_3repE0EEENS1_30default_config_static_selectorELNS0_4arch9wavefront6targetE1EEEvSY_
                                        ; -- End function
	.set _ZN7rocprim17ROCPRIM_400000_NS6detail17trampoline_kernelINS0_13select_configILj256ELj13ELNS0_17block_load_methodE3ELS4_3ELS4_3ELNS0_20block_scan_algorithmE0ELj4294967295EEENS1_25partition_config_selectorILNS1_17partition_subalgoE3EjNS0_10empty_typeEbEEZZNS1_14partition_implILS8_3ELb0ES6_jNS0_17counting_iteratorIjlEEPS9_SE_NS0_5tupleIJPjSE_EEENSF_IJSE_SE_EEES9_SG_JZNS1_25segmented_radix_sort_implINS0_14default_configELb1EPKaPaPKlPlN2at6native12_GLOBAL__N_18offset_tEEE10hipError_tPvRmT1_PNSt15iterator_traitsISY_E10value_typeET2_T3_PNSZ_IS14_E10value_typeET4_jRbjT5_S1A_jjP12ihipStream_tbEUljE_EEESV_SW_SX_S14_S18_S1A_T6_T7_T9_mT8_S1C_bDpT10_ENKUlT_T0_E_clISt17integral_constantIbLb0EES1O_IbLb1EEEEDaS1K_S1L_EUlS1K_E_NS1_11comp_targetILNS1_3genE0ELNS1_11target_archE4294967295ELNS1_3gpuE0ELNS1_3repE0EEENS1_30default_config_static_selectorELNS0_4arch9wavefront6targetE1EEEvSY_.num_vgpr, 0
	.set _ZN7rocprim17ROCPRIM_400000_NS6detail17trampoline_kernelINS0_13select_configILj256ELj13ELNS0_17block_load_methodE3ELS4_3ELS4_3ELNS0_20block_scan_algorithmE0ELj4294967295EEENS1_25partition_config_selectorILNS1_17partition_subalgoE3EjNS0_10empty_typeEbEEZZNS1_14partition_implILS8_3ELb0ES6_jNS0_17counting_iteratorIjlEEPS9_SE_NS0_5tupleIJPjSE_EEENSF_IJSE_SE_EEES9_SG_JZNS1_25segmented_radix_sort_implINS0_14default_configELb1EPKaPaPKlPlN2at6native12_GLOBAL__N_18offset_tEEE10hipError_tPvRmT1_PNSt15iterator_traitsISY_E10value_typeET2_T3_PNSZ_IS14_E10value_typeET4_jRbjT5_S1A_jjP12ihipStream_tbEUljE_EEESV_SW_SX_S14_S18_S1A_T6_T7_T9_mT8_S1C_bDpT10_ENKUlT_T0_E_clISt17integral_constantIbLb0EES1O_IbLb1EEEEDaS1K_S1L_EUlS1K_E_NS1_11comp_targetILNS1_3genE0ELNS1_11target_archE4294967295ELNS1_3gpuE0ELNS1_3repE0EEENS1_30default_config_static_selectorELNS0_4arch9wavefront6targetE1EEEvSY_.num_agpr, 0
	.set _ZN7rocprim17ROCPRIM_400000_NS6detail17trampoline_kernelINS0_13select_configILj256ELj13ELNS0_17block_load_methodE3ELS4_3ELS4_3ELNS0_20block_scan_algorithmE0ELj4294967295EEENS1_25partition_config_selectorILNS1_17partition_subalgoE3EjNS0_10empty_typeEbEEZZNS1_14partition_implILS8_3ELb0ES6_jNS0_17counting_iteratorIjlEEPS9_SE_NS0_5tupleIJPjSE_EEENSF_IJSE_SE_EEES9_SG_JZNS1_25segmented_radix_sort_implINS0_14default_configELb1EPKaPaPKlPlN2at6native12_GLOBAL__N_18offset_tEEE10hipError_tPvRmT1_PNSt15iterator_traitsISY_E10value_typeET2_T3_PNSZ_IS14_E10value_typeET4_jRbjT5_S1A_jjP12ihipStream_tbEUljE_EEESV_SW_SX_S14_S18_S1A_T6_T7_T9_mT8_S1C_bDpT10_ENKUlT_T0_E_clISt17integral_constantIbLb0EES1O_IbLb1EEEEDaS1K_S1L_EUlS1K_E_NS1_11comp_targetILNS1_3genE0ELNS1_11target_archE4294967295ELNS1_3gpuE0ELNS1_3repE0EEENS1_30default_config_static_selectorELNS0_4arch9wavefront6targetE1EEEvSY_.numbered_sgpr, 0
	.set _ZN7rocprim17ROCPRIM_400000_NS6detail17trampoline_kernelINS0_13select_configILj256ELj13ELNS0_17block_load_methodE3ELS4_3ELS4_3ELNS0_20block_scan_algorithmE0ELj4294967295EEENS1_25partition_config_selectorILNS1_17partition_subalgoE3EjNS0_10empty_typeEbEEZZNS1_14partition_implILS8_3ELb0ES6_jNS0_17counting_iteratorIjlEEPS9_SE_NS0_5tupleIJPjSE_EEENSF_IJSE_SE_EEES9_SG_JZNS1_25segmented_radix_sort_implINS0_14default_configELb1EPKaPaPKlPlN2at6native12_GLOBAL__N_18offset_tEEE10hipError_tPvRmT1_PNSt15iterator_traitsISY_E10value_typeET2_T3_PNSZ_IS14_E10value_typeET4_jRbjT5_S1A_jjP12ihipStream_tbEUljE_EEESV_SW_SX_S14_S18_S1A_T6_T7_T9_mT8_S1C_bDpT10_ENKUlT_T0_E_clISt17integral_constantIbLb0EES1O_IbLb1EEEEDaS1K_S1L_EUlS1K_E_NS1_11comp_targetILNS1_3genE0ELNS1_11target_archE4294967295ELNS1_3gpuE0ELNS1_3repE0EEENS1_30default_config_static_selectorELNS0_4arch9wavefront6targetE1EEEvSY_.num_named_barrier, 0
	.set _ZN7rocprim17ROCPRIM_400000_NS6detail17trampoline_kernelINS0_13select_configILj256ELj13ELNS0_17block_load_methodE3ELS4_3ELS4_3ELNS0_20block_scan_algorithmE0ELj4294967295EEENS1_25partition_config_selectorILNS1_17partition_subalgoE3EjNS0_10empty_typeEbEEZZNS1_14partition_implILS8_3ELb0ES6_jNS0_17counting_iteratorIjlEEPS9_SE_NS0_5tupleIJPjSE_EEENSF_IJSE_SE_EEES9_SG_JZNS1_25segmented_radix_sort_implINS0_14default_configELb1EPKaPaPKlPlN2at6native12_GLOBAL__N_18offset_tEEE10hipError_tPvRmT1_PNSt15iterator_traitsISY_E10value_typeET2_T3_PNSZ_IS14_E10value_typeET4_jRbjT5_S1A_jjP12ihipStream_tbEUljE_EEESV_SW_SX_S14_S18_S1A_T6_T7_T9_mT8_S1C_bDpT10_ENKUlT_T0_E_clISt17integral_constantIbLb0EES1O_IbLb1EEEEDaS1K_S1L_EUlS1K_E_NS1_11comp_targetILNS1_3genE0ELNS1_11target_archE4294967295ELNS1_3gpuE0ELNS1_3repE0EEENS1_30default_config_static_selectorELNS0_4arch9wavefront6targetE1EEEvSY_.private_seg_size, 0
	.set _ZN7rocprim17ROCPRIM_400000_NS6detail17trampoline_kernelINS0_13select_configILj256ELj13ELNS0_17block_load_methodE3ELS4_3ELS4_3ELNS0_20block_scan_algorithmE0ELj4294967295EEENS1_25partition_config_selectorILNS1_17partition_subalgoE3EjNS0_10empty_typeEbEEZZNS1_14partition_implILS8_3ELb0ES6_jNS0_17counting_iteratorIjlEEPS9_SE_NS0_5tupleIJPjSE_EEENSF_IJSE_SE_EEES9_SG_JZNS1_25segmented_radix_sort_implINS0_14default_configELb1EPKaPaPKlPlN2at6native12_GLOBAL__N_18offset_tEEE10hipError_tPvRmT1_PNSt15iterator_traitsISY_E10value_typeET2_T3_PNSZ_IS14_E10value_typeET4_jRbjT5_S1A_jjP12ihipStream_tbEUljE_EEESV_SW_SX_S14_S18_S1A_T6_T7_T9_mT8_S1C_bDpT10_ENKUlT_T0_E_clISt17integral_constantIbLb0EES1O_IbLb1EEEEDaS1K_S1L_EUlS1K_E_NS1_11comp_targetILNS1_3genE0ELNS1_11target_archE4294967295ELNS1_3gpuE0ELNS1_3repE0EEENS1_30default_config_static_selectorELNS0_4arch9wavefront6targetE1EEEvSY_.uses_vcc, 0
	.set _ZN7rocprim17ROCPRIM_400000_NS6detail17trampoline_kernelINS0_13select_configILj256ELj13ELNS0_17block_load_methodE3ELS4_3ELS4_3ELNS0_20block_scan_algorithmE0ELj4294967295EEENS1_25partition_config_selectorILNS1_17partition_subalgoE3EjNS0_10empty_typeEbEEZZNS1_14partition_implILS8_3ELb0ES6_jNS0_17counting_iteratorIjlEEPS9_SE_NS0_5tupleIJPjSE_EEENSF_IJSE_SE_EEES9_SG_JZNS1_25segmented_radix_sort_implINS0_14default_configELb1EPKaPaPKlPlN2at6native12_GLOBAL__N_18offset_tEEE10hipError_tPvRmT1_PNSt15iterator_traitsISY_E10value_typeET2_T3_PNSZ_IS14_E10value_typeET4_jRbjT5_S1A_jjP12ihipStream_tbEUljE_EEESV_SW_SX_S14_S18_S1A_T6_T7_T9_mT8_S1C_bDpT10_ENKUlT_T0_E_clISt17integral_constantIbLb0EES1O_IbLb1EEEEDaS1K_S1L_EUlS1K_E_NS1_11comp_targetILNS1_3genE0ELNS1_11target_archE4294967295ELNS1_3gpuE0ELNS1_3repE0EEENS1_30default_config_static_selectorELNS0_4arch9wavefront6targetE1EEEvSY_.uses_flat_scratch, 0
	.set _ZN7rocprim17ROCPRIM_400000_NS6detail17trampoline_kernelINS0_13select_configILj256ELj13ELNS0_17block_load_methodE3ELS4_3ELS4_3ELNS0_20block_scan_algorithmE0ELj4294967295EEENS1_25partition_config_selectorILNS1_17partition_subalgoE3EjNS0_10empty_typeEbEEZZNS1_14partition_implILS8_3ELb0ES6_jNS0_17counting_iteratorIjlEEPS9_SE_NS0_5tupleIJPjSE_EEENSF_IJSE_SE_EEES9_SG_JZNS1_25segmented_radix_sort_implINS0_14default_configELb1EPKaPaPKlPlN2at6native12_GLOBAL__N_18offset_tEEE10hipError_tPvRmT1_PNSt15iterator_traitsISY_E10value_typeET2_T3_PNSZ_IS14_E10value_typeET4_jRbjT5_S1A_jjP12ihipStream_tbEUljE_EEESV_SW_SX_S14_S18_S1A_T6_T7_T9_mT8_S1C_bDpT10_ENKUlT_T0_E_clISt17integral_constantIbLb0EES1O_IbLb1EEEEDaS1K_S1L_EUlS1K_E_NS1_11comp_targetILNS1_3genE0ELNS1_11target_archE4294967295ELNS1_3gpuE0ELNS1_3repE0EEENS1_30default_config_static_selectorELNS0_4arch9wavefront6targetE1EEEvSY_.has_dyn_sized_stack, 0
	.set _ZN7rocprim17ROCPRIM_400000_NS6detail17trampoline_kernelINS0_13select_configILj256ELj13ELNS0_17block_load_methodE3ELS4_3ELS4_3ELNS0_20block_scan_algorithmE0ELj4294967295EEENS1_25partition_config_selectorILNS1_17partition_subalgoE3EjNS0_10empty_typeEbEEZZNS1_14partition_implILS8_3ELb0ES6_jNS0_17counting_iteratorIjlEEPS9_SE_NS0_5tupleIJPjSE_EEENSF_IJSE_SE_EEES9_SG_JZNS1_25segmented_radix_sort_implINS0_14default_configELb1EPKaPaPKlPlN2at6native12_GLOBAL__N_18offset_tEEE10hipError_tPvRmT1_PNSt15iterator_traitsISY_E10value_typeET2_T3_PNSZ_IS14_E10value_typeET4_jRbjT5_S1A_jjP12ihipStream_tbEUljE_EEESV_SW_SX_S14_S18_S1A_T6_T7_T9_mT8_S1C_bDpT10_ENKUlT_T0_E_clISt17integral_constantIbLb0EES1O_IbLb1EEEEDaS1K_S1L_EUlS1K_E_NS1_11comp_targetILNS1_3genE0ELNS1_11target_archE4294967295ELNS1_3gpuE0ELNS1_3repE0EEENS1_30default_config_static_selectorELNS0_4arch9wavefront6targetE1EEEvSY_.has_recursion, 0
	.set _ZN7rocprim17ROCPRIM_400000_NS6detail17trampoline_kernelINS0_13select_configILj256ELj13ELNS0_17block_load_methodE3ELS4_3ELS4_3ELNS0_20block_scan_algorithmE0ELj4294967295EEENS1_25partition_config_selectorILNS1_17partition_subalgoE3EjNS0_10empty_typeEbEEZZNS1_14partition_implILS8_3ELb0ES6_jNS0_17counting_iteratorIjlEEPS9_SE_NS0_5tupleIJPjSE_EEENSF_IJSE_SE_EEES9_SG_JZNS1_25segmented_radix_sort_implINS0_14default_configELb1EPKaPaPKlPlN2at6native12_GLOBAL__N_18offset_tEEE10hipError_tPvRmT1_PNSt15iterator_traitsISY_E10value_typeET2_T3_PNSZ_IS14_E10value_typeET4_jRbjT5_S1A_jjP12ihipStream_tbEUljE_EEESV_SW_SX_S14_S18_S1A_T6_T7_T9_mT8_S1C_bDpT10_ENKUlT_T0_E_clISt17integral_constantIbLb0EES1O_IbLb1EEEEDaS1K_S1L_EUlS1K_E_NS1_11comp_targetILNS1_3genE0ELNS1_11target_archE4294967295ELNS1_3gpuE0ELNS1_3repE0EEENS1_30default_config_static_selectorELNS0_4arch9wavefront6targetE1EEEvSY_.has_indirect_call, 0
	.section	.AMDGPU.csdata,"",@progbits
; Kernel info:
; codeLenInByte = 0
; TotalNumSgprs: 4
; NumVgprs: 0
; ScratchSize: 0
; MemoryBound: 0
; FloatMode: 240
; IeeeMode: 1
; LDSByteSize: 0 bytes/workgroup (compile time only)
; SGPRBlocks: 0
; VGPRBlocks: 0
; NumSGPRsForWavesPerEU: 4
; NumVGPRsForWavesPerEU: 1
; Occupancy: 10
; WaveLimiterHint : 0
; COMPUTE_PGM_RSRC2:SCRATCH_EN: 0
; COMPUTE_PGM_RSRC2:USER_SGPR: 6
; COMPUTE_PGM_RSRC2:TRAP_HANDLER: 0
; COMPUTE_PGM_RSRC2:TGID_X_EN: 1
; COMPUTE_PGM_RSRC2:TGID_Y_EN: 0
; COMPUTE_PGM_RSRC2:TGID_Z_EN: 0
; COMPUTE_PGM_RSRC2:TIDIG_COMP_CNT: 0
	.section	.text._ZN7rocprim17ROCPRIM_400000_NS6detail17trampoline_kernelINS0_13select_configILj256ELj13ELNS0_17block_load_methodE3ELS4_3ELS4_3ELNS0_20block_scan_algorithmE0ELj4294967295EEENS1_25partition_config_selectorILNS1_17partition_subalgoE3EjNS0_10empty_typeEbEEZZNS1_14partition_implILS8_3ELb0ES6_jNS0_17counting_iteratorIjlEEPS9_SE_NS0_5tupleIJPjSE_EEENSF_IJSE_SE_EEES9_SG_JZNS1_25segmented_radix_sort_implINS0_14default_configELb1EPKaPaPKlPlN2at6native12_GLOBAL__N_18offset_tEEE10hipError_tPvRmT1_PNSt15iterator_traitsISY_E10value_typeET2_T3_PNSZ_IS14_E10value_typeET4_jRbjT5_S1A_jjP12ihipStream_tbEUljE_EEESV_SW_SX_S14_S18_S1A_T6_T7_T9_mT8_S1C_bDpT10_ENKUlT_T0_E_clISt17integral_constantIbLb0EES1O_IbLb1EEEEDaS1K_S1L_EUlS1K_E_NS1_11comp_targetILNS1_3genE5ELNS1_11target_archE942ELNS1_3gpuE9ELNS1_3repE0EEENS1_30default_config_static_selectorELNS0_4arch9wavefront6targetE1EEEvSY_,"axG",@progbits,_ZN7rocprim17ROCPRIM_400000_NS6detail17trampoline_kernelINS0_13select_configILj256ELj13ELNS0_17block_load_methodE3ELS4_3ELS4_3ELNS0_20block_scan_algorithmE0ELj4294967295EEENS1_25partition_config_selectorILNS1_17partition_subalgoE3EjNS0_10empty_typeEbEEZZNS1_14partition_implILS8_3ELb0ES6_jNS0_17counting_iteratorIjlEEPS9_SE_NS0_5tupleIJPjSE_EEENSF_IJSE_SE_EEES9_SG_JZNS1_25segmented_radix_sort_implINS0_14default_configELb1EPKaPaPKlPlN2at6native12_GLOBAL__N_18offset_tEEE10hipError_tPvRmT1_PNSt15iterator_traitsISY_E10value_typeET2_T3_PNSZ_IS14_E10value_typeET4_jRbjT5_S1A_jjP12ihipStream_tbEUljE_EEESV_SW_SX_S14_S18_S1A_T6_T7_T9_mT8_S1C_bDpT10_ENKUlT_T0_E_clISt17integral_constantIbLb0EES1O_IbLb1EEEEDaS1K_S1L_EUlS1K_E_NS1_11comp_targetILNS1_3genE5ELNS1_11target_archE942ELNS1_3gpuE9ELNS1_3repE0EEENS1_30default_config_static_selectorELNS0_4arch9wavefront6targetE1EEEvSY_,comdat
	.globl	_ZN7rocprim17ROCPRIM_400000_NS6detail17trampoline_kernelINS0_13select_configILj256ELj13ELNS0_17block_load_methodE3ELS4_3ELS4_3ELNS0_20block_scan_algorithmE0ELj4294967295EEENS1_25partition_config_selectorILNS1_17partition_subalgoE3EjNS0_10empty_typeEbEEZZNS1_14partition_implILS8_3ELb0ES6_jNS0_17counting_iteratorIjlEEPS9_SE_NS0_5tupleIJPjSE_EEENSF_IJSE_SE_EEES9_SG_JZNS1_25segmented_radix_sort_implINS0_14default_configELb1EPKaPaPKlPlN2at6native12_GLOBAL__N_18offset_tEEE10hipError_tPvRmT1_PNSt15iterator_traitsISY_E10value_typeET2_T3_PNSZ_IS14_E10value_typeET4_jRbjT5_S1A_jjP12ihipStream_tbEUljE_EEESV_SW_SX_S14_S18_S1A_T6_T7_T9_mT8_S1C_bDpT10_ENKUlT_T0_E_clISt17integral_constantIbLb0EES1O_IbLb1EEEEDaS1K_S1L_EUlS1K_E_NS1_11comp_targetILNS1_3genE5ELNS1_11target_archE942ELNS1_3gpuE9ELNS1_3repE0EEENS1_30default_config_static_selectorELNS0_4arch9wavefront6targetE1EEEvSY_ ; -- Begin function _ZN7rocprim17ROCPRIM_400000_NS6detail17trampoline_kernelINS0_13select_configILj256ELj13ELNS0_17block_load_methodE3ELS4_3ELS4_3ELNS0_20block_scan_algorithmE0ELj4294967295EEENS1_25partition_config_selectorILNS1_17partition_subalgoE3EjNS0_10empty_typeEbEEZZNS1_14partition_implILS8_3ELb0ES6_jNS0_17counting_iteratorIjlEEPS9_SE_NS0_5tupleIJPjSE_EEENSF_IJSE_SE_EEES9_SG_JZNS1_25segmented_radix_sort_implINS0_14default_configELb1EPKaPaPKlPlN2at6native12_GLOBAL__N_18offset_tEEE10hipError_tPvRmT1_PNSt15iterator_traitsISY_E10value_typeET2_T3_PNSZ_IS14_E10value_typeET4_jRbjT5_S1A_jjP12ihipStream_tbEUljE_EEESV_SW_SX_S14_S18_S1A_T6_T7_T9_mT8_S1C_bDpT10_ENKUlT_T0_E_clISt17integral_constantIbLb0EES1O_IbLb1EEEEDaS1K_S1L_EUlS1K_E_NS1_11comp_targetILNS1_3genE5ELNS1_11target_archE942ELNS1_3gpuE9ELNS1_3repE0EEENS1_30default_config_static_selectorELNS0_4arch9wavefront6targetE1EEEvSY_
	.p2align	8
	.type	_ZN7rocprim17ROCPRIM_400000_NS6detail17trampoline_kernelINS0_13select_configILj256ELj13ELNS0_17block_load_methodE3ELS4_3ELS4_3ELNS0_20block_scan_algorithmE0ELj4294967295EEENS1_25partition_config_selectorILNS1_17partition_subalgoE3EjNS0_10empty_typeEbEEZZNS1_14partition_implILS8_3ELb0ES6_jNS0_17counting_iteratorIjlEEPS9_SE_NS0_5tupleIJPjSE_EEENSF_IJSE_SE_EEES9_SG_JZNS1_25segmented_radix_sort_implINS0_14default_configELb1EPKaPaPKlPlN2at6native12_GLOBAL__N_18offset_tEEE10hipError_tPvRmT1_PNSt15iterator_traitsISY_E10value_typeET2_T3_PNSZ_IS14_E10value_typeET4_jRbjT5_S1A_jjP12ihipStream_tbEUljE_EEESV_SW_SX_S14_S18_S1A_T6_T7_T9_mT8_S1C_bDpT10_ENKUlT_T0_E_clISt17integral_constantIbLb0EES1O_IbLb1EEEEDaS1K_S1L_EUlS1K_E_NS1_11comp_targetILNS1_3genE5ELNS1_11target_archE942ELNS1_3gpuE9ELNS1_3repE0EEENS1_30default_config_static_selectorELNS0_4arch9wavefront6targetE1EEEvSY_,@function
_ZN7rocprim17ROCPRIM_400000_NS6detail17trampoline_kernelINS0_13select_configILj256ELj13ELNS0_17block_load_methodE3ELS4_3ELS4_3ELNS0_20block_scan_algorithmE0ELj4294967295EEENS1_25partition_config_selectorILNS1_17partition_subalgoE3EjNS0_10empty_typeEbEEZZNS1_14partition_implILS8_3ELb0ES6_jNS0_17counting_iteratorIjlEEPS9_SE_NS0_5tupleIJPjSE_EEENSF_IJSE_SE_EEES9_SG_JZNS1_25segmented_radix_sort_implINS0_14default_configELb1EPKaPaPKlPlN2at6native12_GLOBAL__N_18offset_tEEE10hipError_tPvRmT1_PNSt15iterator_traitsISY_E10value_typeET2_T3_PNSZ_IS14_E10value_typeET4_jRbjT5_S1A_jjP12ihipStream_tbEUljE_EEESV_SW_SX_S14_S18_S1A_T6_T7_T9_mT8_S1C_bDpT10_ENKUlT_T0_E_clISt17integral_constantIbLb0EES1O_IbLb1EEEEDaS1K_S1L_EUlS1K_E_NS1_11comp_targetILNS1_3genE5ELNS1_11target_archE942ELNS1_3gpuE9ELNS1_3repE0EEENS1_30default_config_static_selectorELNS0_4arch9wavefront6targetE1EEEvSY_: ; @_ZN7rocprim17ROCPRIM_400000_NS6detail17trampoline_kernelINS0_13select_configILj256ELj13ELNS0_17block_load_methodE3ELS4_3ELS4_3ELNS0_20block_scan_algorithmE0ELj4294967295EEENS1_25partition_config_selectorILNS1_17partition_subalgoE3EjNS0_10empty_typeEbEEZZNS1_14partition_implILS8_3ELb0ES6_jNS0_17counting_iteratorIjlEEPS9_SE_NS0_5tupleIJPjSE_EEENSF_IJSE_SE_EEES9_SG_JZNS1_25segmented_radix_sort_implINS0_14default_configELb1EPKaPaPKlPlN2at6native12_GLOBAL__N_18offset_tEEE10hipError_tPvRmT1_PNSt15iterator_traitsISY_E10value_typeET2_T3_PNSZ_IS14_E10value_typeET4_jRbjT5_S1A_jjP12ihipStream_tbEUljE_EEESV_SW_SX_S14_S18_S1A_T6_T7_T9_mT8_S1C_bDpT10_ENKUlT_T0_E_clISt17integral_constantIbLb0EES1O_IbLb1EEEEDaS1K_S1L_EUlS1K_E_NS1_11comp_targetILNS1_3genE5ELNS1_11target_archE942ELNS1_3gpuE9ELNS1_3repE0EEENS1_30default_config_static_selectorELNS0_4arch9wavefront6targetE1EEEvSY_
; %bb.0:
	.section	.rodata,"a",@progbits
	.p2align	6, 0x0
	.amdhsa_kernel _ZN7rocprim17ROCPRIM_400000_NS6detail17trampoline_kernelINS0_13select_configILj256ELj13ELNS0_17block_load_methodE3ELS4_3ELS4_3ELNS0_20block_scan_algorithmE0ELj4294967295EEENS1_25partition_config_selectorILNS1_17partition_subalgoE3EjNS0_10empty_typeEbEEZZNS1_14partition_implILS8_3ELb0ES6_jNS0_17counting_iteratorIjlEEPS9_SE_NS0_5tupleIJPjSE_EEENSF_IJSE_SE_EEES9_SG_JZNS1_25segmented_radix_sort_implINS0_14default_configELb1EPKaPaPKlPlN2at6native12_GLOBAL__N_18offset_tEEE10hipError_tPvRmT1_PNSt15iterator_traitsISY_E10value_typeET2_T3_PNSZ_IS14_E10value_typeET4_jRbjT5_S1A_jjP12ihipStream_tbEUljE_EEESV_SW_SX_S14_S18_S1A_T6_T7_T9_mT8_S1C_bDpT10_ENKUlT_T0_E_clISt17integral_constantIbLb0EES1O_IbLb1EEEEDaS1K_S1L_EUlS1K_E_NS1_11comp_targetILNS1_3genE5ELNS1_11target_archE942ELNS1_3gpuE9ELNS1_3repE0EEENS1_30default_config_static_selectorELNS0_4arch9wavefront6targetE1EEEvSY_
		.amdhsa_group_segment_fixed_size 0
		.amdhsa_private_segment_fixed_size 0
		.amdhsa_kernarg_size 152
		.amdhsa_user_sgpr_count 6
		.amdhsa_user_sgpr_private_segment_buffer 1
		.amdhsa_user_sgpr_dispatch_ptr 0
		.amdhsa_user_sgpr_queue_ptr 0
		.amdhsa_user_sgpr_kernarg_segment_ptr 1
		.amdhsa_user_sgpr_dispatch_id 0
		.amdhsa_user_sgpr_flat_scratch_init 0
		.amdhsa_user_sgpr_private_segment_size 0
		.amdhsa_uses_dynamic_stack 0
		.amdhsa_system_sgpr_private_segment_wavefront_offset 0
		.amdhsa_system_sgpr_workgroup_id_x 1
		.amdhsa_system_sgpr_workgroup_id_y 0
		.amdhsa_system_sgpr_workgroup_id_z 0
		.amdhsa_system_sgpr_workgroup_info 0
		.amdhsa_system_vgpr_workitem_id 0
		.amdhsa_next_free_vgpr 1
		.amdhsa_next_free_sgpr 0
		.amdhsa_reserve_vcc 0
		.amdhsa_reserve_flat_scratch 0
		.amdhsa_float_round_mode_32 0
		.amdhsa_float_round_mode_16_64 0
		.amdhsa_float_denorm_mode_32 3
		.amdhsa_float_denorm_mode_16_64 3
		.amdhsa_dx10_clamp 1
		.amdhsa_ieee_mode 1
		.amdhsa_fp16_overflow 0
		.amdhsa_exception_fp_ieee_invalid_op 0
		.amdhsa_exception_fp_denorm_src 0
		.amdhsa_exception_fp_ieee_div_zero 0
		.amdhsa_exception_fp_ieee_overflow 0
		.amdhsa_exception_fp_ieee_underflow 0
		.amdhsa_exception_fp_ieee_inexact 0
		.amdhsa_exception_int_div_zero 0
	.end_amdhsa_kernel
	.section	.text._ZN7rocprim17ROCPRIM_400000_NS6detail17trampoline_kernelINS0_13select_configILj256ELj13ELNS0_17block_load_methodE3ELS4_3ELS4_3ELNS0_20block_scan_algorithmE0ELj4294967295EEENS1_25partition_config_selectorILNS1_17partition_subalgoE3EjNS0_10empty_typeEbEEZZNS1_14partition_implILS8_3ELb0ES6_jNS0_17counting_iteratorIjlEEPS9_SE_NS0_5tupleIJPjSE_EEENSF_IJSE_SE_EEES9_SG_JZNS1_25segmented_radix_sort_implINS0_14default_configELb1EPKaPaPKlPlN2at6native12_GLOBAL__N_18offset_tEEE10hipError_tPvRmT1_PNSt15iterator_traitsISY_E10value_typeET2_T3_PNSZ_IS14_E10value_typeET4_jRbjT5_S1A_jjP12ihipStream_tbEUljE_EEESV_SW_SX_S14_S18_S1A_T6_T7_T9_mT8_S1C_bDpT10_ENKUlT_T0_E_clISt17integral_constantIbLb0EES1O_IbLb1EEEEDaS1K_S1L_EUlS1K_E_NS1_11comp_targetILNS1_3genE5ELNS1_11target_archE942ELNS1_3gpuE9ELNS1_3repE0EEENS1_30default_config_static_selectorELNS0_4arch9wavefront6targetE1EEEvSY_,"axG",@progbits,_ZN7rocprim17ROCPRIM_400000_NS6detail17trampoline_kernelINS0_13select_configILj256ELj13ELNS0_17block_load_methodE3ELS4_3ELS4_3ELNS0_20block_scan_algorithmE0ELj4294967295EEENS1_25partition_config_selectorILNS1_17partition_subalgoE3EjNS0_10empty_typeEbEEZZNS1_14partition_implILS8_3ELb0ES6_jNS0_17counting_iteratorIjlEEPS9_SE_NS0_5tupleIJPjSE_EEENSF_IJSE_SE_EEES9_SG_JZNS1_25segmented_radix_sort_implINS0_14default_configELb1EPKaPaPKlPlN2at6native12_GLOBAL__N_18offset_tEEE10hipError_tPvRmT1_PNSt15iterator_traitsISY_E10value_typeET2_T3_PNSZ_IS14_E10value_typeET4_jRbjT5_S1A_jjP12ihipStream_tbEUljE_EEESV_SW_SX_S14_S18_S1A_T6_T7_T9_mT8_S1C_bDpT10_ENKUlT_T0_E_clISt17integral_constantIbLb0EES1O_IbLb1EEEEDaS1K_S1L_EUlS1K_E_NS1_11comp_targetILNS1_3genE5ELNS1_11target_archE942ELNS1_3gpuE9ELNS1_3repE0EEENS1_30default_config_static_selectorELNS0_4arch9wavefront6targetE1EEEvSY_,comdat
.Lfunc_end283:
	.size	_ZN7rocprim17ROCPRIM_400000_NS6detail17trampoline_kernelINS0_13select_configILj256ELj13ELNS0_17block_load_methodE3ELS4_3ELS4_3ELNS0_20block_scan_algorithmE0ELj4294967295EEENS1_25partition_config_selectorILNS1_17partition_subalgoE3EjNS0_10empty_typeEbEEZZNS1_14partition_implILS8_3ELb0ES6_jNS0_17counting_iteratorIjlEEPS9_SE_NS0_5tupleIJPjSE_EEENSF_IJSE_SE_EEES9_SG_JZNS1_25segmented_radix_sort_implINS0_14default_configELb1EPKaPaPKlPlN2at6native12_GLOBAL__N_18offset_tEEE10hipError_tPvRmT1_PNSt15iterator_traitsISY_E10value_typeET2_T3_PNSZ_IS14_E10value_typeET4_jRbjT5_S1A_jjP12ihipStream_tbEUljE_EEESV_SW_SX_S14_S18_S1A_T6_T7_T9_mT8_S1C_bDpT10_ENKUlT_T0_E_clISt17integral_constantIbLb0EES1O_IbLb1EEEEDaS1K_S1L_EUlS1K_E_NS1_11comp_targetILNS1_3genE5ELNS1_11target_archE942ELNS1_3gpuE9ELNS1_3repE0EEENS1_30default_config_static_selectorELNS0_4arch9wavefront6targetE1EEEvSY_, .Lfunc_end283-_ZN7rocprim17ROCPRIM_400000_NS6detail17trampoline_kernelINS0_13select_configILj256ELj13ELNS0_17block_load_methodE3ELS4_3ELS4_3ELNS0_20block_scan_algorithmE0ELj4294967295EEENS1_25partition_config_selectorILNS1_17partition_subalgoE3EjNS0_10empty_typeEbEEZZNS1_14partition_implILS8_3ELb0ES6_jNS0_17counting_iteratorIjlEEPS9_SE_NS0_5tupleIJPjSE_EEENSF_IJSE_SE_EEES9_SG_JZNS1_25segmented_radix_sort_implINS0_14default_configELb1EPKaPaPKlPlN2at6native12_GLOBAL__N_18offset_tEEE10hipError_tPvRmT1_PNSt15iterator_traitsISY_E10value_typeET2_T3_PNSZ_IS14_E10value_typeET4_jRbjT5_S1A_jjP12ihipStream_tbEUljE_EEESV_SW_SX_S14_S18_S1A_T6_T7_T9_mT8_S1C_bDpT10_ENKUlT_T0_E_clISt17integral_constantIbLb0EES1O_IbLb1EEEEDaS1K_S1L_EUlS1K_E_NS1_11comp_targetILNS1_3genE5ELNS1_11target_archE942ELNS1_3gpuE9ELNS1_3repE0EEENS1_30default_config_static_selectorELNS0_4arch9wavefront6targetE1EEEvSY_
                                        ; -- End function
	.set _ZN7rocprim17ROCPRIM_400000_NS6detail17trampoline_kernelINS0_13select_configILj256ELj13ELNS0_17block_load_methodE3ELS4_3ELS4_3ELNS0_20block_scan_algorithmE0ELj4294967295EEENS1_25partition_config_selectorILNS1_17partition_subalgoE3EjNS0_10empty_typeEbEEZZNS1_14partition_implILS8_3ELb0ES6_jNS0_17counting_iteratorIjlEEPS9_SE_NS0_5tupleIJPjSE_EEENSF_IJSE_SE_EEES9_SG_JZNS1_25segmented_radix_sort_implINS0_14default_configELb1EPKaPaPKlPlN2at6native12_GLOBAL__N_18offset_tEEE10hipError_tPvRmT1_PNSt15iterator_traitsISY_E10value_typeET2_T3_PNSZ_IS14_E10value_typeET4_jRbjT5_S1A_jjP12ihipStream_tbEUljE_EEESV_SW_SX_S14_S18_S1A_T6_T7_T9_mT8_S1C_bDpT10_ENKUlT_T0_E_clISt17integral_constantIbLb0EES1O_IbLb1EEEEDaS1K_S1L_EUlS1K_E_NS1_11comp_targetILNS1_3genE5ELNS1_11target_archE942ELNS1_3gpuE9ELNS1_3repE0EEENS1_30default_config_static_selectorELNS0_4arch9wavefront6targetE1EEEvSY_.num_vgpr, 0
	.set _ZN7rocprim17ROCPRIM_400000_NS6detail17trampoline_kernelINS0_13select_configILj256ELj13ELNS0_17block_load_methodE3ELS4_3ELS4_3ELNS0_20block_scan_algorithmE0ELj4294967295EEENS1_25partition_config_selectorILNS1_17partition_subalgoE3EjNS0_10empty_typeEbEEZZNS1_14partition_implILS8_3ELb0ES6_jNS0_17counting_iteratorIjlEEPS9_SE_NS0_5tupleIJPjSE_EEENSF_IJSE_SE_EEES9_SG_JZNS1_25segmented_radix_sort_implINS0_14default_configELb1EPKaPaPKlPlN2at6native12_GLOBAL__N_18offset_tEEE10hipError_tPvRmT1_PNSt15iterator_traitsISY_E10value_typeET2_T3_PNSZ_IS14_E10value_typeET4_jRbjT5_S1A_jjP12ihipStream_tbEUljE_EEESV_SW_SX_S14_S18_S1A_T6_T7_T9_mT8_S1C_bDpT10_ENKUlT_T0_E_clISt17integral_constantIbLb0EES1O_IbLb1EEEEDaS1K_S1L_EUlS1K_E_NS1_11comp_targetILNS1_3genE5ELNS1_11target_archE942ELNS1_3gpuE9ELNS1_3repE0EEENS1_30default_config_static_selectorELNS0_4arch9wavefront6targetE1EEEvSY_.num_agpr, 0
	.set _ZN7rocprim17ROCPRIM_400000_NS6detail17trampoline_kernelINS0_13select_configILj256ELj13ELNS0_17block_load_methodE3ELS4_3ELS4_3ELNS0_20block_scan_algorithmE0ELj4294967295EEENS1_25partition_config_selectorILNS1_17partition_subalgoE3EjNS0_10empty_typeEbEEZZNS1_14partition_implILS8_3ELb0ES6_jNS0_17counting_iteratorIjlEEPS9_SE_NS0_5tupleIJPjSE_EEENSF_IJSE_SE_EEES9_SG_JZNS1_25segmented_radix_sort_implINS0_14default_configELb1EPKaPaPKlPlN2at6native12_GLOBAL__N_18offset_tEEE10hipError_tPvRmT1_PNSt15iterator_traitsISY_E10value_typeET2_T3_PNSZ_IS14_E10value_typeET4_jRbjT5_S1A_jjP12ihipStream_tbEUljE_EEESV_SW_SX_S14_S18_S1A_T6_T7_T9_mT8_S1C_bDpT10_ENKUlT_T0_E_clISt17integral_constantIbLb0EES1O_IbLb1EEEEDaS1K_S1L_EUlS1K_E_NS1_11comp_targetILNS1_3genE5ELNS1_11target_archE942ELNS1_3gpuE9ELNS1_3repE0EEENS1_30default_config_static_selectorELNS0_4arch9wavefront6targetE1EEEvSY_.numbered_sgpr, 0
	.set _ZN7rocprim17ROCPRIM_400000_NS6detail17trampoline_kernelINS0_13select_configILj256ELj13ELNS0_17block_load_methodE3ELS4_3ELS4_3ELNS0_20block_scan_algorithmE0ELj4294967295EEENS1_25partition_config_selectorILNS1_17partition_subalgoE3EjNS0_10empty_typeEbEEZZNS1_14partition_implILS8_3ELb0ES6_jNS0_17counting_iteratorIjlEEPS9_SE_NS0_5tupleIJPjSE_EEENSF_IJSE_SE_EEES9_SG_JZNS1_25segmented_radix_sort_implINS0_14default_configELb1EPKaPaPKlPlN2at6native12_GLOBAL__N_18offset_tEEE10hipError_tPvRmT1_PNSt15iterator_traitsISY_E10value_typeET2_T3_PNSZ_IS14_E10value_typeET4_jRbjT5_S1A_jjP12ihipStream_tbEUljE_EEESV_SW_SX_S14_S18_S1A_T6_T7_T9_mT8_S1C_bDpT10_ENKUlT_T0_E_clISt17integral_constantIbLb0EES1O_IbLb1EEEEDaS1K_S1L_EUlS1K_E_NS1_11comp_targetILNS1_3genE5ELNS1_11target_archE942ELNS1_3gpuE9ELNS1_3repE0EEENS1_30default_config_static_selectorELNS0_4arch9wavefront6targetE1EEEvSY_.num_named_barrier, 0
	.set _ZN7rocprim17ROCPRIM_400000_NS6detail17trampoline_kernelINS0_13select_configILj256ELj13ELNS0_17block_load_methodE3ELS4_3ELS4_3ELNS0_20block_scan_algorithmE0ELj4294967295EEENS1_25partition_config_selectorILNS1_17partition_subalgoE3EjNS0_10empty_typeEbEEZZNS1_14partition_implILS8_3ELb0ES6_jNS0_17counting_iteratorIjlEEPS9_SE_NS0_5tupleIJPjSE_EEENSF_IJSE_SE_EEES9_SG_JZNS1_25segmented_radix_sort_implINS0_14default_configELb1EPKaPaPKlPlN2at6native12_GLOBAL__N_18offset_tEEE10hipError_tPvRmT1_PNSt15iterator_traitsISY_E10value_typeET2_T3_PNSZ_IS14_E10value_typeET4_jRbjT5_S1A_jjP12ihipStream_tbEUljE_EEESV_SW_SX_S14_S18_S1A_T6_T7_T9_mT8_S1C_bDpT10_ENKUlT_T0_E_clISt17integral_constantIbLb0EES1O_IbLb1EEEEDaS1K_S1L_EUlS1K_E_NS1_11comp_targetILNS1_3genE5ELNS1_11target_archE942ELNS1_3gpuE9ELNS1_3repE0EEENS1_30default_config_static_selectorELNS0_4arch9wavefront6targetE1EEEvSY_.private_seg_size, 0
	.set _ZN7rocprim17ROCPRIM_400000_NS6detail17trampoline_kernelINS0_13select_configILj256ELj13ELNS0_17block_load_methodE3ELS4_3ELS4_3ELNS0_20block_scan_algorithmE0ELj4294967295EEENS1_25partition_config_selectorILNS1_17partition_subalgoE3EjNS0_10empty_typeEbEEZZNS1_14partition_implILS8_3ELb0ES6_jNS0_17counting_iteratorIjlEEPS9_SE_NS0_5tupleIJPjSE_EEENSF_IJSE_SE_EEES9_SG_JZNS1_25segmented_radix_sort_implINS0_14default_configELb1EPKaPaPKlPlN2at6native12_GLOBAL__N_18offset_tEEE10hipError_tPvRmT1_PNSt15iterator_traitsISY_E10value_typeET2_T3_PNSZ_IS14_E10value_typeET4_jRbjT5_S1A_jjP12ihipStream_tbEUljE_EEESV_SW_SX_S14_S18_S1A_T6_T7_T9_mT8_S1C_bDpT10_ENKUlT_T0_E_clISt17integral_constantIbLb0EES1O_IbLb1EEEEDaS1K_S1L_EUlS1K_E_NS1_11comp_targetILNS1_3genE5ELNS1_11target_archE942ELNS1_3gpuE9ELNS1_3repE0EEENS1_30default_config_static_selectorELNS0_4arch9wavefront6targetE1EEEvSY_.uses_vcc, 0
	.set _ZN7rocprim17ROCPRIM_400000_NS6detail17trampoline_kernelINS0_13select_configILj256ELj13ELNS0_17block_load_methodE3ELS4_3ELS4_3ELNS0_20block_scan_algorithmE0ELj4294967295EEENS1_25partition_config_selectorILNS1_17partition_subalgoE3EjNS0_10empty_typeEbEEZZNS1_14partition_implILS8_3ELb0ES6_jNS0_17counting_iteratorIjlEEPS9_SE_NS0_5tupleIJPjSE_EEENSF_IJSE_SE_EEES9_SG_JZNS1_25segmented_radix_sort_implINS0_14default_configELb1EPKaPaPKlPlN2at6native12_GLOBAL__N_18offset_tEEE10hipError_tPvRmT1_PNSt15iterator_traitsISY_E10value_typeET2_T3_PNSZ_IS14_E10value_typeET4_jRbjT5_S1A_jjP12ihipStream_tbEUljE_EEESV_SW_SX_S14_S18_S1A_T6_T7_T9_mT8_S1C_bDpT10_ENKUlT_T0_E_clISt17integral_constantIbLb0EES1O_IbLb1EEEEDaS1K_S1L_EUlS1K_E_NS1_11comp_targetILNS1_3genE5ELNS1_11target_archE942ELNS1_3gpuE9ELNS1_3repE0EEENS1_30default_config_static_selectorELNS0_4arch9wavefront6targetE1EEEvSY_.uses_flat_scratch, 0
	.set _ZN7rocprim17ROCPRIM_400000_NS6detail17trampoline_kernelINS0_13select_configILj256ELj13ELNS0_17block_load_methodE3ELS4_3ELS4_3ELNS0_20block_scan_algorithmE0ELj4294967295EEENS1_25partition_config_selectorILNS1_17partition_subalgoE3EjNS0_10empty_typeEbEEZZNS1_14partition_implILS8_3ELb0ES6_jNS0_17counting_iteratorIjlEEPS9_SE_NS0_5tupleIJPjSE_EEENSF_IJSE_SE_EEES9_SG_JZNS1_25segmented_radix_sort_implINS0_14default_configELb1EPKaPaPKlPlN2at6native12_GLOBAL__N_18offset_tEEE10hipError_tPvRmT1_PNSt15iterator_traitsISY_E10value_typeET2_T3_PNSZ_IS14_E10value_typeET4_jRbjT5_S1A_jjP12ihipStream_tbEUljE_EEESV_SW_SX_S14_S18_S1A_T6_T7_T9_mT8_S1C_bDpT10_ENKUlT_T0_E_clISt17integral_constantIbLb0EES1O_IbLb1EEEEDaS1K_S1L_EUlS1K_E_NS1_11comp_targetILNS1_3genE5ELNS1_11target_archE942ELNS1_3gpuE9ELNS1_3repE0EEENS1_30default_config_static_selectorELNS0_4arch9wavefront6targetE1EEEvSY_.has_dyn_sized_stack, 0
	.set _ZN7rocprim17ROCPRIM_400000_NS6detail17trampoline_kernelINS0_13select_configILj256ELj13ELNS0_17block_load_methodE3ELS4_3ELS4_3ELNS0_20block_scan_algorithmE0ELj4294967295EEENS1_25partition_config_selectorILNS1_17partition_subalgoE3EjNS0_10empty_typeEbEEZZNS1_14partition_implILS8_3ELb0ES6_jNS0_17counting_iteratorIjlEEPS9_SE_NS0_5tupleIJPjSE_EEENSF_IJSE_SE_EEES9_SG_JZNS1_25segmented_radix_sort_implINS0_14default_configELb1EPKaPaPKlPlN2at6native12_GLOBAL__N_18offset_tEEE10hipError_tPvRmT1_PNSt15iterator_traitsISY_E10value_typeET2_T3_PNSZ_IS14_E10value_typeET4_jRbjT5_S1A_jjP12ihipStream_tbEUljE_EEESV_SW_SX_S14_S18_S1A_T6_T7_T9_mT8_S1C_bDpT10_ENKUlT_T0_E_clISt17integral_constantIbLb0EES1O_IbLb1EEEEDaS1K_S1L_EUlS1K_E_NS1_11comp_targetILNS1_3genE5ELNS1_11target_archE942ELNS1_3gpuE9ELNS1_3repE0EEENS1_30default_config_static_selectorELNS0_4arch9wavefront6targetE1EEEvSY_.has_recursion, 0
	.set _ZN7rocprim17ROCPRIM_400000_NS6detail17trampoline_kernelINS0_13select_configILj256ELj13ELNS0_17block_load_methodE3ELS4_3ELS4_3ELNS0_20block_scan_algorithmE0ELj4294967295EEENS1_25partition_config_selectorILNS1_17partition_subalgoE3EjNS0_10empty_typeEbEEZZNS1_14partition_implILS8_3ELb0ES6_jNS0_17counting_iteratorIjlEEPS9_SE_NS0_5tupleIJPjSE_EEENSF_IJSE_SE_EEES9_SG_JZNS1_25segmented_radix_sort_implINS0_14default_configELb1EPKaPaPKlPlN2at6native12_GLOBAL__N_18offset_tEEE10hipError_tPvRmT1_PNSt15iterator_traitsISY_E10value_typeET2_T3_PNSZ_IS14_E10value_typeET4_jRbjT5_S1A_jjP12ihipStream_tbEUljE_EEESV_SW_SX_S14_S18_S1A_T6_T7_T9_mT8_S1C_bDpT10_ENKUlT_T0_E_clISt17integral_constantIbLb0EES1O_IbLb1EEEEDaS1K_S1L_EUlS1K_E_NS1_11comp_targetILNS1_3genE5ELNS1_11target_archE942ELNS1_3gpuE9ELNS1_3repE0EEENS1_30default_config_static_selectorELNS0_4arch9wavefront6targetE1EEEvSY_.has_indirect_call, 0
	.section	.AMDGPU.csdata,"",@progbits
; Kernel info:
; codeLenInByte = 0
; TotalNumSgprs: 4
; NumVgprs: 0
; ScratchSize: 0
; MemoryBound: 0
; FloatMode: 240
; IeeeMode: 1
; LDSByteSize: 0 bytes/workgroup (compile time only)
; SGPRBlocks: 0
; VGPRBlocks: 0
; NumSGPRsForWavesPerEU: 4
; NumVGPRsForWavesPerEU: 1
; Occupancy: 10
; WaveLimiterHint : 0
; COMPUTE_PGM_RSRC2:SCRATCH_EN: 0
; COMPUTE_PGM_RSRC2:USER_SGPR: 6
; COMPUTE_PGM_RSRC2:TRAP_HANDLER: 0
; COMPUTE_PGM_RSRC2:TGID_X_EN: 1
; COMPUTE_PGM_RSRC2:TGID_Y_EN: 0
; COMPUTE_PGM_RSRC2:TGID_Z_EN: 0
; COMPUTE_PGM_RSRC2:TIDIG_COMP_CNT: 0
	.section	.text._ZN7rocprim17ROCPRIM_400000_NS6detail17trampoline_kernelINS0_13select_configILj256ELj13ELNS0_17block_load_methodE3ELS4_3ELS4_3ELNS0_20block_scan_algorithmE0ELj4294967295EEENS1_25partition_config_selectorILNS1_17partition_subalgoE3EjNS0_10empty_typeEbEEZZNS1_14partition_implILS8_3ELb0ES6_jNS0_17counting_iteratorIjlEEPS9_SE_NS0_5tupleIJPjSE_EEENSF_IJSE_SE_EEES9_SG_JZNS1_25segmented_radix_sort_implINS0_14default_configELb1EPKaPaPKlPlN2at6native12_GLOBAL__N_18offset_tEEE10hipError_tPvRmT1_PNSt15iterator_traitsISY_E10value_typeET2_T3_PNSZ_IS14_E10value_typeET4_jRbjT5_S1A_jjP12ihipStream_tbEUljE_EEESV_SW_SX_S14_S18_S1A_T6_T7_T9_mT8_S1C_bDpT10_ENKUlT_T0_E_clISt17integral_constantIbLb0EES1O_IbLb1EEEEDaS1K_S1L_EUlS1K_E_NS1_11comp_targetILNS1_3genE4ELNS1_11target_archE910ELNS1_3gpuE8ELNS1_3repE0EEENS1_30default_config_static_selectorELNS0_4arch9wavefront6targetE1EEEvSY_,"axG",@progbits,_ZN7rocprim17ROCPRIM_400000_NS6detail17trampoline_kernelINS0_13select_configILj256ELj13ELNS0_17block_load_methodE3ELS4_3ELS4_3ELNS0_20block_scan_algorithmE0ELj4294967295EEENS1_25partition_config_selectorILNS1_17partition_subalgoE3EjNS0_10empty_typeEbEEZZNS1_14partition_implILS8_3ELb0ES6_jNS0_17counting_iteratorIjlEEPS9_SE_NS0_5tupleIJPjSE_EEENSF_IJSE_SE_EEES9_SG_JZNS1_25segmented_radix_sort_implINS0_14default_configELb1EPKaPaPKlPlN2at6native12_GLOBAL__N_18offset_tEEE10hipError_tPvRmT1_PNSt15iterator_traitsISY_E10value_typeET2_T3_PNSZ_IS14_E10value_typeET4_jRbjT5_S1A_jjP12ihipStream_tbEUljE_EEESV_SW_SX_S14_S18_S1A_T6_T7_T9_mT8_S1C_bDpT10_ENKUlT_T0_E_clISt17integral_constantIbLb0EES1O_IbLb1EEEEDaS1K_S1L_EUlS1K_E_NS1_11comp_targetILNS1_3genE4ELNS1_11target_archE910ELNS1_3gpuE8ELNS1_3repE0EEENS1_30default_config_static_selectorELNS0_4arch9wavefront6targetE1EEEvSY_,comdat
	.globl	_ZN7rocprim17ROCPRIM_400000_NS6detail17trampoline_kernelINS0_13select_configILj256ELj13ELNS0_17block_load_methodE3ELS4_3ELS4_3ELNS0_20block_scan_algorithmE0ELj4294967295EEENS1_25partition_config_selectorILNS1_17partition_subalgoE3EjNS0_10empty_typeEbEEZZNS1_14partition_implILS8_3ELb0ES6_jNS0_17counting_iteratorIjlEEPS9_SE_NS0_5tupleIJPjSE_EEENSF_IJSE_SE_EEES9_SG_JZNS1_25segmented_radix_sort_implINS0_14default_configELb1EPKaPaPKlPlN2at6native12_GLOBAL__N_18offset_tEEE10hipError_tPvRmT1_PNSt15iterator_traitsISY_E10value_typeET2_T3_PNSZ_IS14_E10value_typeET4_jRbjT5_S1A_jjP12ihipStream_tbEUljE_EEESV_SW_SX_S14_S18_S1A_T6_T7_T9_mT8_S1C_bDpT10_ENKUlT_T0_E_clISt17integral_constantIbLb0EES1O_IbLb1EEEEDaS1K_S1L_EUlS1K_E_NS1_11comp_targetILNS1_3genE4ELNS1_11target_archE910ELNS1_3gpuE8ELNS1_3repE0EEENS1_30default_config_static_selectorELNS0_4arch9wavefront6targetE1EEEvSY_ ; -- Begin function _ZN7rocprim17ROCPRIM_400000_NS6detail17trampoline_kernelINS0_13select_configILj256ELj13ELNS0_17block_load_methodE3ELS4_3ELS4_3ELNS0_20block_scan_algorithmE0ELj4294967295EEENS1_25partition_config_selectorILNS1_17partition_subalgoE3EjNS0_10empty_typeEbEEZZNS1_14partition_implILS8_3ELb0ES6_jNS0_17counting_iteratorIjlEEPS9_SE_NS0_5tupleIJPjSE_EEENSF_IJSE_SE_EEES9_SG_JZNS1_25segmented_radix_sort_implINS0_14default_configELb1EPKaPaPKlPlN2at6native12_GLOBAL__N_18offset_tEEE10hipError_tPvRmT1_PNSt15iterator_traitsISY_E10value_typeET2_T3_PNSZ_IS14_E10value_typeET4_jRbjT5_S1A_jjP12ihipStream_tbEUljE_EEESV_SW_SX_S14_S18_S1A_T6_T7_T9_mT8_S1C_bDpT10_ENKUlT_T0_E_clISt17integral_constantIbLb0EES1O_IbLb1EEEEDaS1K_S1L_EUlS1K_E_NS1_11comp_targetILNS1_3genE4ELNS1_11target_archE910ELNS1_3gpuE8ELNS1_3repE0EEENS1_30default_config_static_selectorELNS0_4arch9wavefront6targetE1EEEvSY_
	.p2align	8
	.type	_ZN7rocprim17ROCPRIM_400000_NS6detail17trampoline_kernelINS0_13select_configILj256ELj13ELNS0_17block_load_methodE3ELS4_3ELS4_3ELNS0_20block_scan_algorithmE0ELj4294967295EEENS1_25partition_config_selectorILNS1_17partition_subalgoE3EjNS0_10empty_typeEbEEZZNS1_14partition_implILS8_3ELb0ES6_jNS0_17counting_iteratorIjlEEPS9_SE_NS0_5tupleIJPjSE_EEENSF_IJSE_SE_EEES9_SG_JZNS1_25segmented_radix_sort_implINS0_14default_configELb1EPKaPaPKlPlN2at6native12_GLOBAL__N_18offset_tEEE10hipError_tPvRmT1_PNSt15iterator_traitsISY_E10value_typeET2_T3_PNSZ_IS14_E10value_typeET4_jRbjT5_S1A_jjP12ihipStream_tbEUljE_EEESV_SW_SX_S14_S18_S1A_T6_T7_T9_mT8_S1C_bDpT10_ENKUlT_T0_E_clISt17integral_constantIbLb0EES1O_IbLb1EEEEDaS1K_S1L_EUlS1K_E_NS1_11comp_targetILNS1_3genE4ELNS1_11target_archE910ELNS1_3gpuE8ELNS1_3repE0EEENS1_30default_config_static_selectorELNS0_4arch9wavefront6targetE1EEEvSY_,@function
_ZN7rocprim17ROCPRIM_400000_NS6detail17trampoline_kernelINS0_13select_configILj256ELj13ELNS0_17block_load_methodE3ELS4_3ELS4_3ELNS0_20block_scan_algorithmE0ELj4294967295EEENS1_25partition_config_selectorILNS1_17partition_subalgoE3EjNS0_10empty_typeEbEEZZNS1_14partition_implILS8_3ELb0ES6_jNS0_17counting_iteratorIjlEEPS9_SE_NS0_5tupleIJPjSE_EEENSF_IJSE_SE_EEES9_SG_JZNS1_25segmented_radix_sort_implINS0_14default_configELb1EPKaPaPKlPlN2at6native12_GLOBAL__N_18offset_tEEE10hipError_tPvRmT1_PNSt15iterator_traitsISY_E10value_typeET2_T3_PNSZ_IS14_E10value_typeET4_jRbjT5_S1A_jjP12ihipStream_tbEUljE_EEESV_SW_SX_S14_S18_S1A_T6_T7_T9_mT8_S1C_bDpT10_ENKUlT_T0_E_clISt17integral_constantIbLb0EES1O_IbLb1EEEEDaS1K_S1L_EUlS1K_E_NS1_11comp_targetILNS1_3genE4ELNS1_11target_archE910ELNS1_3gpuE8ELNS1_3repE0EEENS1_30default_config_static_selectorELNS0_4arch9wavefront6targetE1EEEvSY_: ; @_ZN7rocprim17ROCPRIM_400000_NS6detail17trampoline_kernelINS0_13select_configILj256ELj13ELNS0_17block_load_methodE3ELS4_3ELS4_3ELNS0_20block_scan_algorithmE0ELj4294967295EEENS1_25partition_config_selectorILNS1_17partition_subalgoE3EjNS0_10empty_typeEbEEZZNS1_14partition_implILS8_3ELb0ES6_jNS0_17counting_iteratorIjlEEPS9_SE_NS0_5tupleIJPjSE_EEENSF_IJSE_SE_EEES9_SG_JZNS1_25segmented_radix_sort_implINS0_14default_configELb1EPKaPaPKlPlN2at6native12_GLOBAL__N_18offset_tEEE10hipError_tPvRmT1_PNSt15iterator_traitsISY_E10value_typeET2_T3_PNSZ_IS14_E10value_typeET4_jRbjT5_S1A_jjP12ihipStream_tbEUljE_EEESV_SW_SX_S14_S18_S1A_T6_T7_T9_mT8_S1C_bDpT10_ENKUlT_T0_E_clISt17integral_constantIbLb0EES1O_IbLb1EEEEDaS1K_S1L_EUlS1K_E_NS1_11comp_targetILNS1_3genE4ELNS1_11target_archE910ELNS1_3gpuE8ELNS1_3repE0EEENS1_30default_config_static_selectorELNS0_4arch9wavefront6targetE1EEEvSY_
; %bb.0:
	.section	.rodata,"a",@progbits
	.p2align	6, 0x0
	.amdhsa_kernel _ZN7rocprim17ROCPRIM_400000_NS6detail17trampoline_kernelINS0_13select_configILj256ELj13ELNS0_17block_load_methodE3ELS4_3ELS4_3ELNS0_20block_scan_algorithmE0ELj4294967295EEENS1_25partition_config_selectorILNS1_17partition_subalgoE3EjNS0_10empty_typeEbEEZZNS1_14partition_implILS8_3ELb0ES6_jNS0_17counting_iteratorIjlEEPS9_SE_NS0_5tupleIJPjSE_EEENSF_IJSE_SE_EEES9_SG_JZNS1_25segmented_radix_sort_implINS0_14default_configELb1EPKaPaPKlPlN2at6native12_GLOBAL__N_18offset_tEEE10hipError_tPvRmT1_PNSt15iterator_traitsISY_E10value_typeET2_T3_PNSZ_IS14_E10value_typeET4_jRbjT5_S1A_jjP12ihipStream_tbEUljE_EEESV_SW_SX_S14_S18_S1A_T6_T7_T9_mT8_S1C_bDpT10_ENKUlT_T0_E_clISt17integral_constantIbLb0EES1O_IbLb1EEEEDaS1K_S1L_EUlS1K_E_NS1_11comp_targetILNS1_3genE4ELNS1_11target_archE910ELNS1_3gpuE8ELNS1_3repE0EEENS1_30default_config_static_selectorELNS0_4arch9wavefront6targetE1EEEvSY_
		.amdhsa_group_segment_fixed_size 0
		.amdhsa_private_segment_fixed_size 0
		.amdhsa_kernarg_size 152
		.amdhsa_user_sgpr_count 6
		.amdhsa_user_sgpr_private_segment_buffer 1
		.amdhsa_user_sgpr_dispatch_ptr 0
		.amdhsa_user_sgpr_queue_ptr 0
		.amdhsa_user_sgpr_kernarg_segment_ptr 1
		.amdhsa_user_sgpr_dispatch_id 0
		.amdhsa_user_sgpr_flat_scratch_init 0
		.amdhsa_user_sgpr_private_segment_size 0
		.amdhsa_uses_dynamic_stack 0
		.amdhsa_system_sgpr_private_segment_wavefront_offset 0
		.amdhsa_system_sgpr_workgroup_id_x 1
		.amdhsa_system_sgpr_workgroup_id_y 0
		.amdhsa_system_sgpr_workgroup_id_z 0
		.amdhsa_system_sgpr_workgroup_info 0
		.amdhsa_system_vgpr_workitem_id 0
		.amdhsa_next_free_vgpr 1
		.amdhsa_next_free_sgpr 0
		.amdhsa_reserve_vcc 0
		.amdhsa_reserve_flat_scratch 0
		.amdhsa_float_round_mode_32 0
		.amdhsa_float_round_mode_16_64 0
		.amdhsa_float_denorm_mode_32 3
		.amdhsa_float_denorm_mode_16_64 3
		.amdhsa_dx10_clamp 1
		.amdhsa_ieee_mode 1
		.amdhsa_fp16_overflow 0
		.amdhsa_exception_fp_ieee_invalid_op 0
		.amdhsa_exception_fp_denorm_src 0
		.amdhsa_exception_fp_ieee_div_zero 0
		.amdhsa_exception_fp_ieee_overflow 0
		.amdhsa_exception_fp_ieee_underflow 0
		.amdhsa_exception_fp_ieee_inexact 0
		.amdhsa_exception_int_div_zero 0
	.end_amdhsa_kernel
	.section	.text._ZN7rocprim17ROCPRIM_400000_NS6detail17trampoline_kernelINS0_13select_configILj256ELj13ELNS0_17block_load_methodE3ELS4_3ELS4_3ELNS0_20block_scan_algorithmE0ELj4294967295EEENS1_25partition_config_selectorILNS1_17partition_subalgoE3EjNS0_10empty_typeEbEEZZNS1_14partition_implILS8_3ELb0ES6_jNS0_17counting_iteratorIjlEEPS9_SE_NS0_5tupleIJPjSE_EEENSF_IJSE_SE_EEES9_SG_JZNS1_25segmented_radix_sort_implINS0_14default_configELb1EPKaPaPKlPlN2at6native12_GLOBAL__N_18offset_tEEE10hipError_tPvRmT1_PNSt15iterator_traitsISY_E10value_typeET2_T3_PNSZ_IS14_E10value_typeET4_jRbjT5_S1A_jjP12ihipStream_tbEUljE_EEESV_SW_SX_S14_S18_S1A_T6_T7_T9_mT8_S1C_bDpT10_ENKUlT_T0_E_clISt17integral_constantIbLb0EES1O_IbLb1EEEEDaS1K_S1L_EUlS1K_E_NS1_11comp_targetILNS1_3genE4ELNS1_11target_archE910ELNS1_3gpuE8ELNS1_3repE0EEENS1_30default_config_static_selectorELNS0_4arch9wavefront6targetE1EEEvSY_,"axG",@progbits,_ZN7rocprim17ROCPRIM_400000_NS6detail17trampoline_kernelINS0_13select_configILj256ELj13ELNS0_17block_load_methodE3ELS4_3ELS4_3ELNS0_20block_scan_algorithmE0ELj4294967295EEENS1_25partition_config_selectorILNS1_17partition_subalgoE3EjNS0_10empty_typeEbEEZZNS1_14partition_implILS8_3ELb0ES6_jNS0_17counting_iteratorIjlEEPS9_SE_NS0_5tupleIJPjSE_EEENSF_IJSE_SE_EEES9_SG_JZNS1_25segmented_radix_sort_implINS0_14default_configELb1EPKaPaPKlPlN2at6native12_GLOBAL__N_18offset_tEEE10hipError_tPvRmT1_PNSt15iterator_traitsISY_E10value_typeET2_T3_PNSZ_IS14_E10value_typeET4_jRbjT5_S1A_jjP12ihipStream_tbEUljE_EEESV_SW_SX_S14_S18_S1A_T6_T7_T9_mT8_S1C_bDpT10_ENKUlT_T0_E_clISt17integral_constantIbLb0EES1O_IbLb1EEEEDaS1K_S1L_EUlS1K_E_NS1_11comp_targetILNS1_3genE4ELNS1_11target_archE910ELNS1_3gpuE8ELNS1_3repE0EEENS1_30default_config_static_selectorELNS0_4arch9wavefront6targetE1EEEvSY_,comdat
.Lfunc_end284:
	.size	_ZN7rocprim17ROCPRIM_400000_NS6detail17trampoline_kernelINS0_13select_configILj256ELj13ELNS0_17block_load_methodE3ELS4_3ELS4_3ELNS0_20block_scan_algorithmE0ELj4294967295EEENS1_25partition_config_selectorILNS1_17partition_subalgoE3EjNS0_10empty_typeEbEEZZNS1_14partition_implILS8_3ELb0ES6_jNS0_17counting_iteratorIjlEEPS9_SE_NS0_5tupleIJPjSE_EEENSF_IJSE_SE_EEES9_SG_JZNS1_25segmented_radix_sort_implINS0_14default_configELb1EPKaPaPKlPlN2at6native12_GLOBAL__N_18offset_tEEE10hipError_tPvRmT1_PNSt15iterator_traitsISY_E10value_typeET2_T3_PNSZ_IS14_E10value_typeET4_jRbjT5_S1A_jjP12ihipStream_tbEUljE_EEESV_SW_SX_S14_S18_S1A_T6_T7_T9_mT8_S1C_bDpT10_ENKUlT_T0_E_clISt17integral_constantIbLb0EES1O_IbLb1EEEEDaS1K_S1L_EUlS1K_E_NS1_11comp_targetILNS1_3genE4ELNS1_11target_archE910ELNS1_3gpuE8ELNS1_3repE0EEENS1_30default_config_static_selectorELNS0_4arch9wavefront6targetE1EEEvSY_, .Lfunc_end284-_ZN7rocprim17ROCPRIM_400000_NS6detail17trampoline_kernelINS0_13select_configILj256ELj13ELNS0_17block_load_methodE3ELS4_3ELS4_3ELNS0_20block_scan_algorithmE0ELj4294967295EEENS1_25partition_config_selectorILNS1_17partition_subalgoE3EjNS0_10empty_typeEbEEZZNS1_14partition_implILS8_3ELb0ES6_jNS0_17counting_iteratorIjlEEPS9_SE_NS0_5tupleIJPjSE_EEENSF_IJSE_SE_EEES9_SG_JZNS1_25segmented_radix_sort_implINS0_14default_configELb1EPKaPaPKlPlN2at6native12_GLOBAL__N_18offset_tEEE10hipError_tPvRmT1_PNSt15iterator_traitsISY_E10value_typeET2_T3_PNSZ_IS14_E10value_typeET4_jRbjT5_S1A_jjP12ihipStream_tbEUljE_EEESV_SW_SX_S14_S18_S1A_T6_T7_T9_mT8_S1C_bDpT10_ENKUlT_T0_E_clISt17integral_constantIbLb0EES1O_IbLb1EEEEDaS1K_S1L_EUlS1K_E_NS1_11comp_targetILNS1_3genE4ELNS1_11target_archE910ELNS1_3gpuE8ELNS1_3repE0EEENS1_30default_config_static_selectorELNS0_4arch9wavefront6targetE1EEEvSY_
                                        ; -- End function
	.set _ZN7rocprim17ROCPRIM_400000_NS6detail17trampoline_kernelINS0_13select_configILj256ELj13ELNS0_17block_load_methodE3ELS4_3ELS4_3ELNS0_20block_scan_algorithmE0ELj4294967295EEENS1_25partition_config_selectorILNS1_17partition_subalgoE3EjNS0_10empty_typeEbEEZZNS1_14partition_implILS8_3ELb0ES6_jNS0_17counting_iteratorIjlEEPS9_SE_NS0_5tupleIJPjSE_EEENSF_IJSE_SE_EEES9_SG_JZNS1_25segmented_radix_sort_implINS0_14default_configELb1EPKaPaPKlPlN2at6native12_GLOBAL__N_18offset_tEEE10hipError_tPvRmT1_PNSt15iterator_traitsISY_E10value_typeET2_T3_PNSZ_IS14_E10value_typeET4_jRbjT5_S1A_jjP12ihipStream_tbEUljE_EEESV_SW_SX_S14_S18_S1A_T6_T7_T9_mT8_S1C_bDpT10_ENKUlT_T0_E_clISt17integral_constantIbLb0EES1O_IbLb1EEEEDaS1K_S1L_EUlS1K_E_NS1_11comp_targetILNS1_3genE4ELNS1_11target_archE910ELNS1_3gpuE8ELNS1_3repE0EEENS1_30default_config_static_selectorELNS0_4arch9wavefront6targetE1EEEvSY_.num_vgpr, 0
	.set _ZN7rocprim17ROCPRIM_400000_NS6detail17trampoline_kernelINS0_13select_configILj256ELj13ELNS0_17block_load_methodE3ELS4_3ELS4_3ELNS0_20block_scan_algorithmE0ELj4294967295EEENS1_25partition_config_selectorILNS1_17partition_subalgoE3EjNS0_10empty_typeEbEEZZNS1_14partition_implILS8_3ELb0ES6_jNS0_17counting_iteratorIjlEEPS9_SE_NS0_5tupleIJPjSE_EEENSF_IJSE_SE_EEES9_SG_JZNS1_25segmented_radix_sort_implINS0_14default_configELb1EPKaPaPKlPlN2at6native12_GLOBAL__N_18offset_tEEE10hipError_tPvRmT1_PNSt15iterator_traitsISY_E10value_typeET2_T3_PNSZ_IS14_E10value_typeET4_jRbjT5_S1A_jjP12ihipStream_tbEUljE_EEESV_SW_SX_S14_S18_S1A_T6_T7_T9_mT8_S1C_bDpT10_ENKUlT_T0_E_clISt17integral_constantIbLb0EES1O_IbLb1EEEEDaS1K_S1L_EUlS1K_E_NS1_11comp_targetILNS1_3genE4ELNS1_11target_archE910ELNS1_3gpuE8ELNS1_3repE0EEENS1_30default_config_static_selectorELNS0_4arch9wavefront6targetE1EEEvSY_.num_agpr, 0
	.set _ZN7rocprim17ROCPRIM_400000_NS6detail17trampoline_kernelINS0_13select_configILj256ELj13ELNS0_17block_load_methodE3ELS4_3ELS4_3ELNS0_20block_scan_algorithmE0ELj4294967295EEENS1_25partition_config_selectorILNS1_17partition_subalgoE3EjNS0_10empty_typeEbEEZZNS1_14partition_implILS8_3ELb0ES6_jNS0_17counting_iteratorIjlEEPS9_SE_NS0_5tupleIJPjSE_EEENSF_IJSE_SE_EEES9_SG_JZNS1_25segmented_radix_sort_implINS0_14default_configELb1EPKaPaPKlPlN2at6native12_GLOBAL__N_18offset_tEEE10hipError_tPvRmT1_PNSt15iterator_traitsISY_E10value_typeET2_T3_PNSZ_IS14_E10value_typeET4_jRbjT5_S1A_jjP12ihipStream_tbEUljE_EEESV_SW_SX_S14_S18_S1A_T6_T7_T9_mT8_S1C_bDpT10_ENKUlT_T0_E_clISt17integral_constantIbLb0EES1O_IbLb1EEEEDaS1K_S1L_EUlS1K_E_NS1_11comp_targetILNS1_3genE4ELNS1_11target_archE910ELNS1_3gpuE8ELNS1_3repE0EEENS1_30default_config_static_selectorELNS0_4arch9wavefront6targetE1EEEvSY_.numbered_sgpr, 0
	.set _ZN7rocprim17ROCPRIM_400000_NS6detail17trampoline_kernelINS0_13select_configILj256ELj13ELNS0_17block_load_methodE3ELS4_3ELS4_3ELNS0_20block_scan_algorithmE0ELj4294967295EEENS1_25partition_config_selectorILNS1_17partition_subalgoE3EjNS0_10empty_typeEbEEZZNS1_14partition_implILS8_3ELb0ES6_jNS0_17counting_iteratorIjlEEPS9_SE_NS0_5tupleIJPjSE_EEENSF_IJSE_SE_EEES9_SG_JZNS1_25segmented_radix_sort_implINS0_14default_configELb1EPKaPaPKlPlN2at6native12_GLOBAL__N_18offset_tEEE10hipError_tPvRmT1_PNSt15iterator_traitsISY_E10value_typeET2_T3_PNSZ_IS14_E10value_typeET4_jRbjT5_S1A_jjP12ihipStream_tbEUljE_EEESV_SW_SX_S14_S18_S1A_T6_T7_T9_mT8_S1C_bDpT10_ENKUlT_T0_E_clISt17integral_constantIbLb0EES1O_IbLb1EEEEDaS1K_S1L_EUlS1K_E_NS1_11comp_targetILNS1_3genE4ELNS1_11target_archE910ELNS1_3gpuE8ELNS1_3repE0EEENS1_30default_config_static_selectorELNS0_4arch9wavefront6targetE1EEEvSY_.num_named_barrier, 0
	.set _ZN7rocprim17ROCPRIM_400000_NS6detail17trampoline_kernelINS0_13select_configILj256ELj13ELNS0_17block_load_methodE3ELS4_3ELS4_3ELNS0_20block_scan_algorithmE0ELj4294967295EEENS1_25partition_config_selectorILNS1_17partition_subalgoE3EjNS0_10empty_typeEbEEZZNS1_14partition_implILS8_3ELb0ES6_jNS0_17counting_iteratorIjlEEPS9_SE_NS0_5tupleIJPjSE_EEENSF_IJSE_SE_EEES9_SG_JZNS1_25segmented_radix_sort_implINS0_14default_configELb1EPKaPaPKlPlN2at6native12_GLOBAL__N_18offset_tEEE10hipError_tPvRmT1_PNSt15iterator_traitsISY_E10value_typeET2_T3_PNSZ_IS14_E10value_typeET4_jRbjT5_S1A_jjP12ihipStream_tbEUljE_EEESV_SW_SX_S14_S18_S1A_T6_T7_T9_mT8_S1C_bDpT10_ENKUlT_T0_E_clISt17integral_constantIbLb0EES1O_IbLb1EEEEDaS1K_S1L_EUlS1K_E_NS1_11comp_targetILNS1_3genE4ELNS1_11target_archE910ELNS1_3gpuE8ELNS1_3repE0EEENS1_30default_config_static_selectorELNS0_4arch9wavefront6targetE1EEEvSY_.private_seg_size, 0
	.set _ZN7rocprim17ROCPRIM_400000_NS6detail17trampoline_kernelINS0_13select_configILj256ELj13ELNS0_17block_load_methodE3ELS4_3ELS4_3ELNS0_20block_scan_algorithmE0ELj4294967295EEENS1_25partition_config_selectorILNS1_17partition_subalgoE3EjNS0_10empty_typeEbEEZZNS1_14partition_implILS8_3ELb0ES6_jNS0_17counting_iteratorIjlEEPS9_SE_NS0_5tupleIJPjSE_EEENSF_IJSE_SE_EEES9_SG_JZNS1_25segmented_radix_sort_implINS0_14default_configELb1EPKaPaPKlPlN2at6native12_GLOBAL__N_18offset_tEEE10hipError_tPvRmT1_PNSt15iterator_traitsISY_E10value_typeET2_T3_PNSZ_IS14_E10value_typeET4_jRbjT5_S1A_jjP12ihipStream_tbEUljE_EEESV_SW_SX_S14_S18_S1A_T6_T7_T9_mT8_S1C_bDpT10_ENKUlT_T0_E_clISt17integral_constantIbLb0EES1O_IbLb1EEEEDaS1K_S1L_EUlS1K_E_NS1_11comp_targetILNS1_3genE4ELNS1_11target_archE910ELNS1_3gpuE8ELNS1_3repE0EEENS1_30default_config_static_selectorELNS0_4arch9wavefront6targetE1EEEvSY_.uses_vcc, 0
	.set _ZN7rocprim17ROCPRIM_400000_NS6detail17trampoline_kernelINS0_13select_configILj256ELj13ELNS0_17block_load_methodE3ELS4_3ELS4_3ELNS0_20block_scan_algorithmE0ELj4294967295EEENS1_25partition_config_selectorILNS1_17partition_subalgoE3EjNS0_10empty_typeEbEEZZNS1_14partition_implILS8_3ELb0ES6_jNS0_17counting_iteratorIjlEEPS9_SE_NS0_5tupleIJPjSE_EEENSF_IJSE_SE_EEES9_SG_JZNS1_25segmented_radix_sort_implINS0_14default_configELb1EPKaPaPKlPlN2at6native12_GLOBAL__N_18offset_tEEE10hipError_tPvRmT1_PNSt15iterator_traitsISY_E10value_typeET2_T3_PNSZ_IS14_E10value_typeET4_jRbjT5_S1A_jjP12ihipStream_tbEUljE_EEESV_SW_SX_S14_S18_S1A_T6_T7_T9_mT8_S1C_bDpT10_ENKUlT_T0_E_clISt17integral_constantIbLb0EES1O_IbLb1EEEEDaS1K_S1L_EUlS1K_E_NS1_11comp_targetILNS1_3genE4ELNS1_11target_archE910ELNS1_3gpuE8ELNS1_3repE0EEENS1_30default_config_static_selectorELNS0_4arch9wavefront6targetE1EEEvSY_.uses_flat_scratch, 0
	.set _ZN7rocprim17ROCPRIM_400000_NS6detail17trampoline_kernelINS0_13select_configILj256ELj13ELNS0_17block_load_methodE3ELS4_3ELS4_3ELNS0_20block_scan_algorithmE0ELj4294967295EEENS1_25partition_config_selectorILNS1_17partition_subalgoE3EjNS0_10empty_typeEbEEZZNS1_14partition_implILS8_3ELb0ES6_jNS0_17counting_iteratorIjlEEPS9_SE_NS0_5tupleIJPjSE_EEENSF_IJSE_SE_EEES9_SG_JZNS1_25segmented_radix_sort_implINS0_14default_configELb1EPKaPaPKlPlN2at6native12_GLOBAL__N_18offset_tEEE10hipError_tPvRmT1_PNSt15iterator_traitsISY_E10value_typeET2_T3_PNSZ_IS14_E10value_typeET4_jRbjT5_S1A_jjP12ihipStream_tbEUljE_EEESV_SW_SX_S14_S18_S1A_T6_T7_T9_mT8_S1C_bDpT10_ENKUlT_T0_E_clISt17integral_constantIbLb0EES1O_IbLb1EEEEDaS1K_S1L_EUlS1K_E_NS1_11comp_targetILNS1_3genE4ELNS1_11target_archE910ELNS1_3gpuE8ELNS1_3repE0EEENS1_30default_config_static_selectorELNS0_4arch9wavefront6targetE1EEEvSY_.has_dyn_sized_stack, 0
	.set _ZN7rocprim17ROCPRIM_400000_NS6detail17trampoline_kernelINS0_13select_configILj256ELj13ELNS0_17block_load_methodE3ELS4_3ELS4_3ELNS0_20block_scan_algorithmE0ELj4294967295EEENS1_25partition_config_selectorILNS1_17partition_subalgoE3EjNS0_10empty_typeEbEEZZNS1_14partition_implILS8_3ELb0ES6_jNS0_17counting_iteratorIjlEEPS9_SE_NS0_5tupleIJPjSE_EEENSF_IJSE_SE_EEES9_SG_JZNS1_25segmented_radix_sort_implINS0_14default_configELb1EPKaPaPKlPlN2at6native12_GLOBAL__N_18offset_tEEE10hipError_tPvRmT1_PNSt15iterator_traitsISY_E10value_typeET2_T3_PNSZ_IS14_E10value_typeET4_jRbjT5_S1A_jjP12ihipStream_tbEUljE_EEESV_SW_SX_S14_S18_S1A_T6_T7_T9_mT8_S1C_bDpT10_ENKUlT_T0_E_clISt17integral_constantIbLb0EES1O_IbLb1EEEEDaS1K_S1L_EUlS1K_E_NS1_11comp_targetILNS1_3genE4ELNS1_11target_archE910ELNS1_3gpuE8ELNS1_3repE0EEENS1_30default_config_static_selectorELNS0_4arch9wavefront6targetE1EEEvSY_.has_recursion, 0
	.set _ZN7rocprim17ROCPRIM_400000_NS6detail17trampoline_kernelINS0_13select_configILj256ELj13ELNS0_17block_load_methodE3ELS4_3ELS4_3ELNS0_20block_scan_algorithmE0ELj4294967295EEENS1_25partition_config_selectorILNS1_17partition_subalgoE3EjNS0_10empty_typeEbEEZZNS1_14partition_implILS8_3ELb0ES6_jNS0_17counting_iteratorIjlEEPS9_SE_NS0_5tupleIJPjSE_EEENSF_IJSE_SE_EEES9_SG_JZNS1_25segmented_radix_sort_implINS0_14default_configELb1EPKaPaPKlPlN2at6native12_GLOBAL__N_18offset_tEEE10hipError_tPvRmT1_PNSt15iterator_traitsISY_E10value_typeET2_T3_PNSZ_IS14_E10value_typeET4_jRbjT5_S1A_jjP12ihipStream_tbEUljE_EEESV_SW_SX_S14_S18_S1A_T6_T7_T9_mT8_S1C_bDpT10_ENKUlT_T0_E_clISt17integral_constantIbLb0EES1O_IbLb1EEEEDaS1K_S1L_EUlS1K_E_NS1_11comp_targetILNS1_3genE4ELNS1_11target_archE910ELNS1_3gpuE8ELNS1_3repE0EEENS1_30default_config_static_selectorELNS0_4arch9wavefront6targetE1EEEvSY_.has_indirect_call, 0
	.section	.AMDGPU.csdata,"",@progbits
; Kernel info:
; codeLenInByte = 0
; TotalNumSgprs: 4
; NumVgprs: 0
; ScratchSize: 0
; MemoryBound: 0
; FloatMode: 240
; IeeeMode: 1
; LDSByteSize: 0 bytes/workgroup (compile time only)
; SGPRBlocks: 0
; VGPRBlocks: 0
; NumSGPRsForWavesPerEU: 4
; NumVGPRsForWavesPerEU: 1
; Occupancy: 10
; WaveLimiterHint : 0
; COMPUTE_PGM_RSRC2:SCRATCH_EN: 0
; COMPUTE_PGM_RSRC2:USER_SGPR: 6
; COMPUTE_PGM_RSRC2:TRAP_HANDLER: 0
; COMPUTE_PGM_RSRC2:TGID_X_EN: 1
; COMPUTE_PGM_RSRC2:TGID_Y_EN: 0
; COMPUTE_PGM_RSRC2:TGID_Z_EN: 0
; COMPUTE_PGM_RSRC2:TIDIG_COMP_CNT: 0
	.section	.text._ZN7rocprim17ROCPRIM_400000_NS6detail17trampoline_kernelINS0_13select_configILj256ELj13ELNS0_17block_load_methodE3ELS4_3ELS4_3ELNS0_20block_scan_algorithmE0ELj4294967295EEENS1_25partition_config_selectorILNS1_17partition_subalgoE3EjNS0_10empty_typeEbEEZZNS1_14partition_implILS8_3ELb0ES6_jNS0_17counting_iteratorIjlEEPS9_SE_NS0_5tupleIJPjSE_EEENSF_IJSE_SE_EEES9_SG_JZNS1_25segmented_radix_sort_implINS0_14default_configELb1EPKaPaPKlPlN2at6native12_GLOBAL__N_18offset_tEEE10hipError_tPvRmT1_PNSt15iterator_traitsISY_E10value_typeET2_T3_PNSZ_IS14_E10value_typeET4_jRbjT5_S1A_jjP12ihipStream_tbEUljE_EEESV_SW_SX_S14_S18_S1A_T6_T7_T9_mT8_S1C_bDpT10_ENKUlT_T0_E_clISt17integral_constantIbLb0EES1O_IbLb1EEEEDaS1K_S1L_EUlS1K_E_NS1_11comp_targetILNS1_3genE3ELNS1_11target_archE908ELNS1_3gpuE7ELNS1_3repE0EEENS1_30default_config_static_selectorELNS0_4arch9wavefront6targetE1EEEvSY_,"axG",@progbits,_ZN7rocprim17ROCPRIM_400000_NS6detail17trampoline_kernelINS0_13select_configILj256ELj13ELNS0_17block_load_methodE3ELS4_3ELS4_3ELNS0_20block_scan_algorithmE0ELj4294967295EEENS1_25partition_config_selectorILNS1_17partition_subalgoE3EjNS0_10empty_typeEbEEZZNS1_14partition_implILS8_3ELb0ES6_jNS0_17counting_iteratorIjlEEPS9_SE_NS0_5tupleIJPjSE_EEENSF_IJSE_SE_EEES9_SG_JZNS1_25segmented_radix_sort_implINS0_14default_configELb1EPKaPaPKlPlN2at6native12_GLOBAL__N_18offset_tEEE10hipError_tPvRmT1_PNSt15iterator_traitsISY_E10value_typeET2_T3_PNSZ_IS14_E10value_typeET4_jRbjT5_S1A_jjP12ihipStream_tbEUljE_EEESV_SW_SX_S14_S18_S1A_T6_T7_T9_mT8_S1C_bDpT10_ENKUlT_T0_E_clISt17integral_constantIbLb0EES1O_IbLb1EEEEDaS1K_S1L_EUlS1K_E_NS1_11comp_targetILNS1_3genE3ELNS1_11target_archE908ELNS1_3gpuE7ELNS1_3repE0EEENS1_30default_config_static_selectorELNS0_4arch9wavefront6targetE1EEEvSY_,comdat
	.globl	_ZN7rocprim17ROCPRIM_400000_NS6detail17trampoline_kernelINS0_13select_configILj256ELj13ELNS0_17block_load_methodE3ELS4_3ELS4_3ELNS0_20block_scan_algorithmE0ELj4294967295EEENS1_25partition_config_selectorILNS1_17partition_subalgoE3EjNS0_10empty_typeEbEEZZNS1_14partition_implILS8_3ELb0ES6_jNS0_17counting_iteratorIjlEEPS9_SE_NS0_5tupleIJPjSE_EEENSF_IJSE_SE_EEES9_SG_JZNS1_25segmented_radix_sort_implINS0_14default_configELb1EPKaPaPKlPlN2at6native12_GLOBAL__N_18offset_tEEE10hipError_tPvRmT1_PNSt15iterator_traitsISY_E10value_typeET2_T3_PNSZ_IS14_E10value_typeET4_jRbjT5_S1A_jjP12ihipStream_tbEUljE_EEESV_SW_SX_S14_S18_S1A_T6_T7_T9_mT8_S1C_bDpT10_ENKUlT_T0_E_clISt17integral_constantIbLb0EES1O_IbLb1EEEEDaS1K_S1L_EUlS1K_E_NS1_11comp_targetILNS1_3genE3ELNS1_11target_archE908ELNS1_3gpuE7ELNS1_3repE0EEENS1_30default_config_static_selectorELNS0_4arch9wavefront6targetE1EEEvSY_ ; -- Begin function _ZN7rocprim17ROCPRIM_400000_NS6detail17trampoline_kernelINS0_13select_configILj256ELj13ELNS0_17block_load_methodE3ELS4_3ELS4_3ELNS0_20block_scan_algorithmE0ELj4294967295EEENS1_25partition_config_selectorILNS1_17partition_subalgoE3EjNS0_10empty_typeEbEEZZNS1_14partition_implILS8_3ELb0ES6_jNS0_17counting_iteratorIjlEEPS9_SE_NS0_5tupleIJPjSE_EEENSF_IJSE_SE_EEES9_SG_JZNS1_25segmented_radix_sort_implINS0_14default_configELb1EPKaPaPKlPlN2at6native12_GLOBAL__N_18offset_tEEE10hipError_tPvRmT1_PNSt15iterator_traitsISY_E10value_typeET2_T3_PNSZ_IS14_E10value_typeET4_jRbjT5_S1A_jjP12ihipStream_tbEUljE_EEESV_SW_SX_S14_S18_S1A_T6_T7_T9_mT8_S1C_bDpT10_ENKUlT_T0_E_clISt17integral_constantIbLb0EES1O_IbLb1EEEEDaS1K_S1L_EUlS1K_E_NS1_11comp_targetILNS1_3genE3ELNS1_11target_archE908ELNS1_3gpuE7ELNS1_3repE0EEENS1_30default_config_static_selectorELNS0_4arch9wavefront6targetE1EEEvSY_
	.p2align	8
	.type	_ZN7rocprim17ROCPRIM_400000_NS6detail17trampoline_kernelINS0_13select_configILj256ELj13ELNS0_17block_load_methodE3ELS4_3ELS4_3ELNS0_20block_scan_algorithmE0ELj4294967295EEENS1_25partition_config_selectorILNS1_17partition_subalgoE3EjNS0_10empty_typeEbEEZZNS1_14partition_implILS8_3ELb0ES6_jNS0_17counting_iteratorIjlEEPS9_SE_NS0_5tupleIJPjSE_EEENSF_IJSE_SE_EEES9_SG_JZNS1_25segmented_radix_sort_implINS0_14default_configELb1EPKaPaPKlPlN2at6native12_GLOBAL__N_18offset_tEEE10hipError_tPvRmT1_PNSt15iterator_traitsISY_E10value_typeET2_T3_PNSZ_IS14_E10value_typeET4_jRbjT5_S1A_jjP12ihipStream_tbEUljE_EEESV_SW_SX_S14_S18_S1A_T6_T7_T9_mT8_S1C_bDpT10_ENKUlT_T0_E_clISt17integral_constantIbLb0EES1O_IbLb1EEEEDaS1K_S1L_EUlS1K_E_NS1_11comp_targetILNS1_3genE3ELNS1_11target_archE908ELNS1_3gpuE7ELNS1_3repE0EEENS1_30default_config_static_selectorELNS0_4arch9wavefront6targetE1EEEvSY_,@function
_ZN7rocprim17ROCPRIM_400000_NS6detail17trampoline_kernelINS0_13select_configILj256ELj13ELNS0_17block_load_methodE3ELS4_3ELS4_3ELNS0_20block_scan_algorithmE0ELj4294967295EEENS1_25partition_config_selectorILNS1_17partition_subalgoE3EjNS0_10empty_typeEbEEZZNS1_14partition_implILS8_3ELb0ES6_jNS0_17counting_iteratorIjlEEPS9_SE_NS0_5tupleIJPjSE_EEENSF_IJSE_SE_EEES9_SG_JZNS1_25segmented_radix_sort_implINS0_14default_configELb1EPKaPaPKlPlN2at6native12_GLOBAL__N_18offset_tEEE10hipError_tPvRmT1_PNSt15iterator_traitsISY_E10value_typeET2_T3_PNSZ_IS14_E10value_typeET4_jRbjT5_S1A_jjP12ihipStream_tbEUljE_EEESV_SW_SX_S14_S18_S1A_T6_T7_T9_mT8_S1C_bDpT10_ENKUlT_T0_E_clISt17integral_constantIbLb0EES1O_IbLb1EEEEDaS1K_S1L_EUlS1K_E_NS1_11comp_targetILNS1_3genE3ELNS1_11target_archE908ELNS1_3gpuE7ELNS1_3repE0EEENS1_30default_config_static_selectorELNS0_4arch9wavefront6targetE1EEEvSY_: ; @_ZN7rocprim17ROCPRIM_400000_NS6detail17trampoline_kernelINS0_13select_configILj256ELj13ELNS0_17block_load_methodE3ELS4_3ELS4_3ELNS0_20block_scan_algorithmE0ELj4294967295EEENS1_25partition_config_selectorILNS1_17partition_subalgoE3EjNS0_10empty_typeEbEEZZNS1_14partition_implILS8_3ELb0ES6_jNS0_17counting_iteratorIjlEEPS9_SE_NS0_5tupleIJPjSE_EEENSF_IJSE_SE_EEES9_SG_JZNS1_25segmented_radix_sort_implINS0_14default_configELb1EPKaPaPKlPlN2at6native12_GLOBAL__N_18offset_tEEE10hipError_tPvRmT1_PNSt15iterator_traitsISY_E10value_typeET2_T3_PNSZ_IS14_E10value_typeET4_jRbjT5_S1A_jjP12ihipStream_tbEUljE_EEESV_SW_SX_S14_S18_S1A_T6_T7_T9_mT8_S1C_bDpT10_ENKUlT_T0_E_clISt17integral_constantIbLb0EES1O_IbLb1EEEEDaS1K_S1L_EUlS1K_E_NS1_11comp_targetILNS1_3genE3ELNS1_11target_archE908ELNS1_3gpuE7ELNS1_3repE0EEENS1_30default_config_static_selectorELNS0_4arch9wavefront6targetE1EEEvSY_
; %bb.0:
	.section	.rodata,"a",@progbits
	.p2align	6, 0x0
	.amdhsa_kernel _ZN7rocprim17ROCPRIM_400000_NS6detail17trampoline_kernelINS0_13select_configILj256ELj13ELNS0_17block_load_methodE3ELS4_3ELS4_3ELNS0_20block_scan_algorithmE0ELj4294967295EEENS1_25partition_config_selectorILNS1_17partition_subalgoE3EjNS0_10empty_typeEbEEZZNS1_14partition_implILS8_3ELb0ES6_jNS0_17counting_iteratorIjlEEPS9_SE_NS0_5tupleIJPjSE_EEENSF_IJSE_SE_EEES9_SG_JZNS1_25segmented_radix_sort_implINS0_14default_configELb1EPKaPaPKlPlN2at6native12_GLOBAL__N_18offset_tEEE10hipError_tPvRmT1_PNSt15iterator_traitsISY_E10value_typeET2_T3_PNSZ_IS14_E10value_typeET4_jRbjT5_S1A_jjP12ihipStream_tbEUljE_EEESV_SW_SX_S14_S18_S1A_T6_T7_T9_mT8_S1C_bDpT10_ENKUlT_T0_E_clISt17integral_constantIbLb0EES1O_IbLb1EEEEDaS1K_S1L_EUlS1K_E_NS1_11comp_targetILNS1_3genE3ELNS1_11target_archE908ELNS1_3gpuE7ELNS1_3repE0EEENS1_30default_config_static_selectorELNS0_4arch9wavefront6targetE1EEEvSY_
		.amdhsa_group_segment_fixed_size 0
		.amdhsa_private_segment_fixed_size 0
		.amdhsa_kernarg_size 152
		.amdhsa_user_sgpr_count 6
		.amdhsa_user_sgpr_private_segment_buffer 1
		.amdhsa_user_sgpr_dispatch_ptr 0
		.amdhsa_user_sgpr_queue_ptr 0
		.amdhsa_user_sgpr_kernarg_segment_ptr 1
		.amdhsa_user_sgpr_dispatch_id 0
		.amdhsa_user_sgpr_flat_scratch_init 0
		.amdhsa_user_sgpr_private_segment_size 0
		.amdhsa_uses_dynamic_stack 0
		.amdhsa_system_sgpr_private_segment_wavefront_offset 0
		.amdhsa_system_sgpr_workgroup_id_x 1
		.amdhsa_system_sgpr_workgroup_id_y 0
		.amdhsa_system_sgpr_workgroup_id_z 0
		.amdhsa_system_sgpr_workgroup_info 0
		.amdhsa_system_vgpr_workitem_id 0
		.amdhsa_next_free_vgpr 1
		.amdhsa_next_free_sgpr 0
		.amdhsa_reserve_vcc 0
		.amdhsa_reserve_flat_scratch 0
		.amdhsa_float_round_mode_32 0
		.amdhsa_float_round_mode_16_64 0
		.amdhsa_float_denorm_mode_32 3
		.amdhsa_float_denorm_mode_16_64 3
		.amdhsa_dx10_clamp 1
		.amdhsa_ieee_mode 1
		.amdhsa_fp16_overflow 0
		.amdhsa_exception_fp_ieee_invalid_op 0
		.amdhsa_exception_fp_denorm_src 0
		.amdhsa_exception_fp_ieee_div_zero 0
		.amdhsa_exception_fp_ieee_overflow 0
		.amdhsa_exception_fp_ieee_underflow 0
		.amdhsa_exception_fp_ieee_inexact 0
		.amdhsa_exception_int_div_zero 0
	.end_amdhsa_kernel
	.section	.text._ZN7rocprim17ROCPRIM_400000_NS6detail17trampoline_kernelINS0_13select_configILj256ELj13ELNS0_17block_load_methodE3ELS4_3ELS4_3ELNS0_20block_scan_algorithmE0ELj4294967295EEENS1_25partition_config_selectorILNS1_17partition_subalgoE3EjNS0_10empty_typeEbEEZZNS1_14partition_implILS8_3ELb0ES6_jNS0_17counting_iteratorIjlEEPS9_SE_NS0_5tupleIJPjSE_EEENSF_IJSE_SE_EEES9_SG_JZNS1_25segmented_radix_sort_implINS0_14default_configELb1EPKaPaPKlPlN2at6native12_GLOBAL__N_18offset_tEEE10hipError_tPvRmT1_PNSt15iterator_traitsISY_E10value_typeET2_T3_PNSZ_IS14_E10value_typeET4_jRbjT5_S1A_jjP12ihipStream_tbEUljE_EEESV_SW_SX_S14_S18_S1A_T6_T7_T9_mT8_S1C_bDpT10_ENKUlT_T0_E_clISt17integral_constantIbLb0EES1O_IbLb1EEEEDaS1K_S1L_EUlS1K_E_NS1_11comp_targetILNS1_3genE3ELNS1_11target_archE908ELNS1_3gpuE7ELNS1_3repE0EEENS1_30default_config_static_selectorELNS0_4arch9wavefront6targetE1EEEvSY_,"axG",@progbits,_ZN7rocprim17ROCPRIM_400000_NS6detail17trampoline_kernelINS0_13select_configILj256ELj13ELNS0_17block_load_methodE3ELS4_3ELS4_3ELNS0_20block_scan_algorithmE0ELj4294967295EEENS1_25partition_config_selectorILNS1_17partition_subalgoE3EjNS0_10empty_typeEbEEZZNS1_14partition_implILS8_3ELb0ES6_jNS0_17counting_iteratorIjlEEPS9_SE_NS0_5tupleIJPjSE_EEENSF_IJSE_SE_EEES9_SG_JZNS1_25segmented_radix_sort_implINS0_14default_configELb1EPKaPaPKlPlN2at6native12_GLOBAL__N_18offset_tEEE10hipError_tPvRmT1_PNSt15iterator_traitsISY_E10value_typeET2_T3_PNSZ_IS14_E10value_typeET4_jRbjT5_S1A_jjP12ihipStream_tbEUljE_EEESV_SW_SX_S14_S18_S1A_T6_T7_T9_mT8_S1C_bDpT10_ENKUlT_T0_E_clISt17integral_constantIbLb0EES1O_IbLb1EEEEDaS1K_S1L_EUlS1K_E_NS1_11comp_targetILNS1_3genE3ELNS1_11target_archE908ELNS1_3gpuE7ELNS1_3repE0EEENS1_30default_config_static_selectorELNS0_4arch9wavefront6targetE1EEEvSY_,comdat
.Lfunc_end285:
	.size	_ZN7rocprim17ROCPRIM_400000_NS6detail17trampoline_kernelINS0_13select_configILj256ELj13ELNS0_17block_load_methodE3ELS4_3ELS4_3ELNS0_20block_scan_algorithmE0ELj4294967295EEENS1_25partition_config_selectorILNS1_17partition_subalgoE3EjNS0_10empty_typeEbEEZZNS1_14partition_implILS8_3ELb0ES6_jNS0_17counting_iteratorIjlEEPS9_SE_NS0_5tupleIJPjSE_EEENSF_IJSE_SE_EEES9_SG_JZNS1_25segmented_radix_sort_implINS0_14default_configELb1EPKaPaPKlPlN2at6native12_GLOBAL__N_18offset_tEEE10hipError_tPvRmT1_PNSt15iterator_traitsISY_E10value_typeET2_T3_PNSZ_IS14_E10value_typeET4_jRbjT5_S1A_jjP12ihipStream_tbEUljE_EEESV_SW_SX_S14_S18_S1A_T6_T7_T9_mT8_S1C_bDpT10_ENKUlT_T0_E_clISt17integral_constantIbLb0EES1O_IbLb1EEEEDaS1K_S1L_EUlS1K_E_NS1_11comp_targetILNS1_3genE3ELNS1_11target_archE908ELNS1_3gpuE7ELNS1_3repE0EEENS1_30default_config_static_selectorELNS0_4arch9wavefront6targetE1EEEvSY_, .Lfunc_end285-_ZN7rocprim17ROCPRIM_400000_NS6detail17trampoline_kernelINS0_13select_configILj256ELj13ELNS0_17block_load_methodE3ELS4_3ELS4_3ELNS0_20block_scan_algorithmE0ELj4294967295EEENS1_25partition_config_selectorILNS1_17partition_subalgoE3EjNS0_10empty_typeEbEEZZNS1_14partition_implILS8_3ELb0ES6_jNS0_17counting_iteratorIjlEEPS9_SE_NS0_5tupleIJPjSE_EEENSF_IJSE_SE_EEES9_SG_JZNS1_25segmented_radix_sort_implINS0_14default_configELb1EPKaPaPKlPlN2at6native12_GLOBAL__N_18offset_tEEE10hipError_tPvRmT1_PNSt15iterator_traitsISY_E10value_typeET2_T3_PNSZ_IS14_E10value_typeET4_jRbjT5_S1A_jjP12ihipStream_tbEUljE_EEESV_SW_SX_S14_S18_S1A_T6_T7_T9_mT8_S1C_bDpT10_ENKUlT_T0_E_clISt17integral_constantIbLb0EES1O_IbLb1EEEEDaS1K_S1L_EUlS1K_E_NS1_11comp_targetILNS1_3genE3ELNS1_11target_archE908ELNS1_3gpuE7ELNS1_3repE0EEENS1_30default_config_static_selectorELNS0_4arch9wavefront6targetE1EEEvSY_
                                        ; -- End function
	.set _ZN7rocprim17ROCPRIM_400000_NS6detail17trampoline_kernelINS0_13select_configILj256ELj13ELNS0_17block_load_methodE3ELS4_3ELS4_3ELNS0_20block_scan_algorithmE0ELj4294967295EEENS1_25partition_config_selectorILNS1_17partition_subalgoE3EjNS0_10empty_typeEbEEZZNS1_14partition_implILS8_3ELb0ES6_jNS0_17counting_iteratorIjlEEPS9_SE_NS0_5tupleIJPjSE_EEENSF_IJSE_SE_EEES9_SG_JZNS1_25segmented_radix_sort_implINS0_14default_configELb1EPKaPaPKlPlN2at6native12_GLOBAL__N_18offset_tEEE10hipError_tPvRmT1_PNSt15iterator_traitsISY_E10value_typeET2_T3_PNSZ_IS14_E10value_typeET4_jRbjT5_S1A_jjP12ihipStream_tbEUljE_EEESV_SW_SX_S14_S18_S1A_T6_T7_T9_mT8_S1C_bDpT10_ENKUlT_T0_E_clISt17integral_constantIbLb0EES1O_IbLb1EEEEDaS1K_S1L_EUlS1K_E_NS1_11comp_targetILNS1_3genE3ELNS1_11target_archE908ELNS1_3gpuE7ELNS1_3repE0EEENS1_30default_config_static_selectorELNS0_4arch9wavefront6targetE1EEEvSY_.num_vgpr, 0
	.set _ZN7rocprim17ROCPRIM_400000_NS6detail17trampoline_kernelINS0_13select_configILj256ELj13ELNS0_17block_load_methodE3ELS4_3ELS4_3ELNS0_20block_scan_algorithmE0ELj4294967295EEENS1_25partition_config_selectorILNS1_17partition_subalgoE3EjNS0_10empty_typeEbEEZZNS1_14partition_implILS8_3ELb0ES6_jNS0_17counting_iteratorIjlEEPS9_SE_NS0_5tupleIJPjSE_EEENSF_IJSE_SE_EEES9_SG_JZNS1_25segmented_radix_sort_implINS0_14default_configELb1EPKaPaPKlPlN2at6native12_GLOBAL__N_18offset_tEEE10hipError_tPvRmT1_PNSt15iterator_traitsISY_E10value_typeET2_T3_PNSZ_IS14_E10value_typeET4_jRbjT5_S1A_jjP12ihipStream_tbEUljE_EEESV_SW_SX_S14_S18_S1A_T6_T7_T9_mT8_S1C_bDpT10_ENKUlT_T0_E_clISt17integral_constantIbLb0EES1O_IbLb1EEEEDaS1K_S1L_EUlS1K_E_NS1_11comp_targetILNS1_3genE3ELNS1_11target_archE908ELNS1_3gpuE7ELNS1_3repE0EEENS1_30default_config_static_selectorELNS0_4arch9wavefront6targetE1EEEvSY_.num_agpr, 0
	.set _ZN7rocprim17ROCPRIM_400000_NS6detail17trampoline_kernelINS0_13select_configILj256ELj13ELNS0_17block_load_methodE3ELS4_3ELS4_3ELNS0_20block_scan_algorithmE0ELj4294967295EEENS1_25partition_config_selectorILNS1_17partition_subalgoE3EjNS0_10empty_typeEbEEZZNS1_14partition_implILS8_3ELb0ES6_jNS0_17counting_iteratorIjlEEPS9_SE_NS0_5tupleIJPjSE_EEENSF_IJSE_SE_EEES9_SG_JZNS1_25segmented_radix_sort_implINS0_14default_configELb1EPKaPaPKlPlN2at6native12_GLOBAL__N_18offset_tEEE10hipError_tPvRmT1_PNSt15iterator_traitsISY_E10value_typeET2_T3_PNSZ_IS14_E10value_typeET4_jRbjT5_S1A_jjP12ihipStream_tbEUljE_EEESV_SW_SX_S14_S18_S1A_T6_T7_T9_mT8_S1C_bDpT10_ENKUlT_T0_E_clISt17integral_constantIbLb0EES1O_IbLb1EEEEDaS1K_S1L_EUlS1K_E_NS1_11comp_targetILNS1_3genE3ELNS1_11target_archE908ELNS1_3gpuE7ELNS1_3repE0EEENS1_30default_config_static_selectorELNS0_4arch9wavefront6targetE1EEEvSY_.numbered_sgpr, 0
	.set _ZN7rocprim17ROCPRIM_400000_NS6detail17trampoline_kernelINS0_13select_configILj256ELj13ELNS0_17block_load_methodE3ELS4_3ELS4_3ELNS0_20block_scan_algorithmE0ELj4294967295EEENS1_25partition_config_selectorILNS1_17partition_subalgoE3EjNS0_10empty_typeEbEEZZNS1_14partition_implILS8_3ELb0ES6_jNS0_17counting_iteratorIjlEEPS9_SE_NS0_5tupleIJPjSE_EEENSF_IJSE_SE_EEES9_SG_JZNS1_25segmented_radix_sort_implINS0_14default_configELb1EPKaPaPKlPlN2at6native12_GLOBAL__N_18offset_tEEE10hipError_tPvRmT1_PNSt15iterator_traitsISY_E10value_typeET2_T3_PNSZ_IS14_E10value_typeET4_jRbjT5_S1A_jjP12ihipStream_tbEUljE_EEESV_SW_SX_S14_S18_S1A_T6_T7_T9_mT8_S1C_bDpT10_ENKUlT_T0_E_clISt17integral_constantIbLb0EES1O_IbLb1EEEEDaS1K_S1L_EUlS1K_E_NS1_11comp_targetILNS1_3genE3ELNS1_11target_archE908ELNS1_3gpuE7ELNS1_3repE0EEENS1_30default_config_static_selectorELNS0_4arch9wavefront6targetE1EEEvSY_.num_named_barrier, 0
	.set _ZN7rocprim17ROCPRIM_400000_NS6detail17trampoline_kernelINS0_13select_configILj256ELj13ELNS0_17block_load_methodE3ELS4_3ELS4_3ELNS0_20block_scan_algorithmE0ELj4294967295EEENS1_25partition_config_selectorILNS1_17partition_subalgoE3EjNS0_10empty_typeEbEEZZNS1_14partition_implILS8_3ELb0ES6_jNS0_17counting_iteratorIjlEEPS9_SE_NS0_5tupleIJPjSE_EEENSF_IJSE_SE_EEES9_SG_JZNS1_25segmented_radix_sort_implINS0_14default_configELb1EPKaPaPKlPlN2at6native12_GLOBAL__N_18offset_tEEE10hipError_tPvRmT1_PNSt15iterator_traitsISY_E10value_typeET2_T3_PNSZ_IS14_E10value_typeET4_jRbjT5_S1A_jjP12ihipStream_tbEUljE_EEESV_SW_SX_S14_S18_S1A_T6_T7_T9_mT8_S1C_bDpT10_ENKUlT_T0_E_clISt17integral_constantIbLb0EES1O_IbLb1EEEEDaS1K_S1L_EUlS1K_E_NS1_11comp_targetILNS1_3genE3ELNS1_11target_archE908ELNS1_3gpuE7ELNS1_3repE0EEENS1_30default_config_static_selectorELNS0_4arch9wavefront6targetE1EEEvSY_.private_seg_size, 0
	.set _ZN7rocprim17ROCPRIM_400000_NS6detail17trampoline_kernelINS0_13select_configILj256ELj13ELNS0_17block_load_methodE3ELS4_3ELS4_3ELNS0_20block_scan_algorithmE0ELj4294967295EEENS1_25partition_config_selectorILNS1_17partition_subalgoE3EjNS0_10empty_typeEbEEZZNS1_14partition_implILS8_3ELb0ES6_jNS0_17counting_iteratorIjlEEPS9_SE_NS0_5tupleIJPjSE_EEENSF_IJSE_SE_EEES9_SG_JZNS1_25segmented_radix_sort_implINS0_14default_configELb1EPKaPaPKlPlN2at6native12_GLOBAL__N_18offset_tEEE10hipError_tPvRmT1_PNSt15iterator_traitsISY_E10value_typeET2_T3_PNSZ_IS14_E10value_typeET4_jRbjT5_S1A_jjP12ihipStream_tbEUljE_EEESV_SW_SX_S14_S18_S1A_T6_T7_T9_mT8_S1C_bDpT10_ENKUlT_T0_E_clISt17integral_constantIbLb0EES1O_IbLb1EEEEDaS1K_S1L_EUlS1K_E_NS1_11comp_targetILNS1_3genE3ELNS1_11target_archE908ELNS1_3gpuE7ELNS1_3repE0EEENS1_30default_config_static_selectorELNS0_4arch9wavefront6targetE1EEEvSY_.uses_vcc, 0
	.set _ZN7rocprim17ROCPRIM_400000_NS6detail17trampoline_kernelINS0_13select_configILj256ELj13ELNS0_17block_load_methodE3ELS4_3ELS4_3ELNS0_20block_scan_algorithmE0ELj4294967295EEENS1_25partition_config_selectorILNS1_17partition_subalgoE3EjNS0_10empty_typeEbEEZZNS1_14partition_implILS8_3ELb0ES6_jNS0_17counting_iteratorIjlEEPS9_SE_NS0_5tupleIJPjSE_EEENSF_IJSE_SE_EEES9_SG_JZNS1_25segmented_radix_sort_implINS0_14default_configELb1EPKaPaPKlPlN2at6native12_GLOBAL__N_18offset_tEEE10hipError_tPvRmT1_PNSt15iterator_traitsISY_E10value_typeET2_T3_PNSZ_IS14_E10value_typeET4_jRbjT5_S1A_jjP12ihipStream_tbEUljE_EEESV_SW_SX_S14_S18_S1A_T6_T7_T9_mT8_S1C_bDpT10_ENKUlT_T0_E_clISt17integral_constantIbLb0EES1O_IbLb1EEEEDaS1K_S1L_EUlS1K_E_NS1_11comp_targetILNS1_3genE3ELNS1_11target_archE908ELNS1_3gpuE7ELNS1_3repE0EEENS1_30default_config_static_selectorELNS0_4arch9wavefront6targetE1EEEvSY_.uses_flat_scratch, 0
	.set _ZN7rocprim17ROCPRIM_400000_NS6detail17trampoline_kernelINS0_13select_configILj256ELj13ELNS0_17block_load_methodE3ELS4_3ELS4_3ELNS0_20block_scan_algorithmE0ELj4294967295EEENS1_25partition_config_selectorILNS1_17partition_subalgoE3EjNS0_10empty_typeEbEEZZNS1_14partition_implILS8_3ELb0ES6_jNS0_17counting_iteratorIjlEEPS9_SE_NS0_5tupleIJPjSE_EEENSF_IJSE_SE_EEES9_SG_JZNS1_25segmented_radix_sort_implINS0_14default_configELb1EPKaPaPKlPlN2at6native12_GLOBAL__N_18offset_tEEE10hipError_tPvRmT1_PNSt15iterator_traitsISY_E10value_typeET2_T3_PNSZ_IS14_E10value_typeET4_jRbjT5_S1A_jjP12ihipStream_tbEUljE_EEESV_SW_SX_S14_S18_S1A_T6_T7_T9_mT8_S1C_bDpT10_ENKUlT_T0_E_clISt17integral_constantIbLb0EES1O_IbLb1EEEEDaS1K_S1L_EUlS1K_E_NS1_11comp_targetILNS1_3genE3ELNS1_11target_archE908ELNS1_3gpuE7ELNS1_3repE0EEENS1_30default_config_static_selectorELNS0_4arch9wavefront6targetE1EEEvSY_.has_dyn_sized_stack, 0
	.set _ZN7rocprim17ROCPRIM_400000_NS6detail17trampoline_kernelINS0_13select_configILj256ELj13ELNS0_17block_load_methodE3ELS4_3ELS4_3ELNS0_20block_scan_algorithmE0ELj4294967295EEENS1_25partition_config_selectorILNS1_17partition_subalgoE3EjNS0_10empty_typeEbEEZZNS1_14partition_implILS8_3ELb0ES6_jNS0_17counting_iteratorIjlEEPS9_SE_NS0_5tupleIJPjSE_EEENSF_IJSE_SE_EEES9_SG_JZNS1_25segmented_radix_sort_implINS0_14default_configELb1EPKaPaPKlPlN2at6native12_GLOBAL__N_18offset_tEEE10hipError_tPvRmT1_PNSt15iterator_traitsISY_E10value_typeET2_T3_PNSZ_IS14_E10value_typeET4_jRbjT5_S1A_jjP12ihipStream_tbEUljE_EEESV_SW_SX_S14_S18_S1A_T6_T7_T9_mT8_S1C_bDpT10_ENKUlT_T0_E_clISt17integral_constantIbLb0EES1O_IbLb1EEEEDaS1K_S1L_EUlS1K_E_NS1_11comp_targetILNS1_3genE3ELNS1_11target_archE908ELNS1_3gpuE7ELNS1_3repE0EEENS1_30default_config_static_selectorELNS0_4arch9wavefront6targetE1EEEvSY_.has_recursion, 0
	.set _ZN7rocprim17ROCPRIM_400000_NS6detail17trampoline_kernelINS0_13select_configILj256ELj13ELNS0_17block_load_methodE3ELS4_3ELS4_3ELNS0_20block_scan_algorithmE0ELj4294967295EEENS1_25partition_config_selectorILNS1_17partition_subalgoE3EjNS0_10empty_typeEbEEZZNS1_14partition_implILS8_3ELb0ES6_jNS0_17counting_iteratorIjlEEPS9_SE_NS0_5tupleIJPjSE_EEENSF_IJSE_SE_EEES9_SG_JZNS1_25segmented_radix_sort_implINS0_14default_configELb1EPKaPaPKlPlN2at6native12_GLOBAL__N_18offset_tEEE10hipError_tPvRmT1_PNSt15iterator_traitsISY_E10value_typeET2_T3_PNSZ_IS14_E10value_typeET4_jRbjT5_S1A_jjP12ihipStream_tbEUljE_EEESV_SW_SX_S14_S18_S1A_T6_T7_T9_mT8_S1C_bDpT10_ENKUlT_T0_E_clISt17integral_constantIbLb0EES1O_IbLb1EEEEDaS1K_S1L_EUlS1K_E_NS1_11comp_targetILNS1_3genE3ELNS1_11target_archE908ELNS1_3gpuE7ELNS1_3repE0EEENS1_30default_config_static_selectorELNS0_4arch9wavefront6targetE1EEEvSY_.has_indirect_call, 0
	.section	.AMDGPU.csdata,"",@progbits
; Kernel info:
; codeLenInByte = 0
; TotalNumSgprs: 4
; NumVgprs: 0
; ScratchSize: 0
; MemoryBound: 0
; FloatMode: 240
; IeeeMode: 1
; LDSByteSize: 0 bytes/workgroup (compile time only)
; SGPRBlocks: 0
; VGPRBlocks: 0
; NumSGPRsForWavesPerEU: 4
; NumVGPRsForWavesPerEU: 1
; Occupancy: 10
; WaveLimiterHint : 0
; COMPUTE_PGM_RSRC2:SCRATCH_EN: 0
; COMPUTE_PGM_RSRC2:USER_SGPR: 6
; COMPUTE_PGM_RSRC2:TRAP_HANDLER: 0
; COMPUTE_PGM_RSRC2:TGID_X_EN: 1
; COMPUTE_PGM_RSRC2:TGID_Y_EN: 0
; COMPUTE_PGM_RSRC2:TGID_Z_EN: 0
; COMPUTE_PGM_RSRC2:TIDIG_COMP_CNT: 0
	.section	.text._ZN7rocprim17ROCPRIM_400000_NS6detail17trampoline_kernelINS0_13select_configILj256ELj13ELNS0_17block_load_methodE3ELS4_3ELS4_3ELNS0_20block_scan_algorithmE0ELj4294967295EEENS1_25partition_config_selectorILNS1_17partition_subalgoE3EjNS0_10empty_typeEbEEZZNS1_14partition_implILS8_3ELb0ES6_jNS0_17counting_iteratorIjlEEPS9_SE_NS0_5tupleIJPjSE_EEENSF_IJSE_SE_EEES9_SG_JZNS1_25segmented_radix_sort_implINS0_14default_configELb1EPKaPaPKlPlN2at6native12_GLOBAL__N_18offset_tEEE10hipError_tPvRmT1_PNSt15iterator_traitsISY_E10value_typeET2_T3_PNSZ_IS14_E10value_typeET4_jRbjT5_S1A_jjP12ihipStream_tbEUljE_EEESV_SW_SX_S14_S18_S1A_T6_T7_T9_mT8_S1C_bDpT10_ENKUlT_T0_E_clISt17integral_constantIbLb0EES1O_IbLb1EEEEDaS1K_S1L_EUlS1K_E_NS1_11comp_targetILNS1_3genE2ELNS1_11target_archE906ELNS1_3gpuE6ELNS1_3repE0EEENS1_30default_config_static_selectorELNS0_4arch9wavefront6targetE1EEEvSY_,"axG",@progbits,_ZN7rocprim17ROCPRIM_400000_NS6detail17trampoline_kernelINS0_13select_configILj256ELj13ELNS0_17block_load_methodE3ELS4_3ELS4_3ELNS0_20block_scan_algorithmE0ELj4294967295EEENS1_25partition_config_selectorILNS1_17partition_subalgoE3EjNS0_10empty_typeEbEEZZNS1_14partition_implILS8_3ELb0ES6_jNS0_17counting_iteratorIjlEEPS9_SE_NS0_5tupleIJPjSE_EEENSF_IJSE_SE_EEES9_SG_JZNS1_25segmented_radix_sort_implINS0_14default_configELb1EPKaPaPKlPlN2at6native12_GLOBAL__N_18offset_tEEE10hipError_tPvRmT1_PNSt15iterator_traitsISY_E10value_typeET2_T3_PNSZ_IS14_E10value_typeET4_jRbjT5_S1A_jjP12ihipStream_tbEUljE_EEESV_SW_SX_S14_S18_S1A_T6_T7_T9_mT8_S1C_bDpT10_ENKUlT_T0_E_clISt17integral_constantIbLb0EES1O_IbLb1EEEEDaS1K_S1L_EUlS1K_E_NS1_11comp_targetILNS1_3genE2ELNS1_11target_archE906ELNS1_3gpuE6ELNS1_3repE0EEENS1_30default_config_static_selectorELNS0_4arch9wavefront6targetE1EEEvSY_,comdat
	.globl	_ZN7rocprim17ROCPRIM_400000_NS6detail17trampoline_kernelINS0_13select_configILj256ELj13ELNS0_17block_load_methodE3ELS4_3ELS4_3ELNS0_20block_scan_algorithmE0ELj4294967295EEENS1_25partition_config_selectorILNS1_17partition_subalgoE3EjNS0_10empty_typeEbEEZZNS1_14partition_implILS8_3ELb0ES6_jNS0_17counting_iteratorIjlEEPS9_SE_NS0_5tupleIJPjSE_EEENSF_IJSE_SE_EEES9_SG_JZNS1_25segmented_radix_sort_implINS0_14default_configELb1EPKaPaPKlPlN2at6native12_GLOBAL__N_18offset_tEEE10hipError_tPvRmT1_PNSt15iterator_traitsISY_E10value_typeET2_T3_PNSZ_IS14_E10value_typeET4_jRbjT5_S1A_jjP12ihipStream_tbEUljE_EEESV_SW_SX_S14_S18_S1A_T6_T7_T9_mT8_S1C_bDpT10_ENKUlT_T0_E_clISt17integral_constantIbLb0EES1O_IbLb1EEEEDaS1K_S1L_EUlS1K_E_NS1_11comp_targetILNS1_3genE2ELNS1_11target_archE906ELNS1_3gpuE6ELNS1_3repE0EEENS1_30default_config_static_selectorELNS0_4arch9wavefront6targetE1EEEvSY_ ; -- Begin function _ZN7rocprim17ROCPRIM_400000_NS6detail17trampoline_kernelINS0_13select_configILj256ELj13ELNS0_17block_load_methodE3ELS4_3ELS4_3ELNS0_20block_scan_algorithmE0ELj4294967295EEENS1_25partition_config_selectorILNS1_17partition_subalgoE3EjNS0_10empty_typeEbEEZZNS1_14partition_implILS8_3ELb0ES6_jNS0_17counting_iteratorIjlEEPS9_SE_NS0_5tupleIJPjSE_EEENSF_IJSE_SE_EEES9_SG_JZNS1_25segmented_radix_sort_implINS0_14default_configELb1EPKaPaPKlPlN2at6native12_GLOBAL__N_18offset_tEEE10hipError_tPvRmT1_PNSt15iterator_traitsISY_E10value_typeET2_T3_PNSZ_IS14_E10value_typeET4_jRbjT5_S1A_jjP12ihipStream_tbEUljE_EEESV_SW_SX_S14_S18_S1A_T6_T7_T9_mT8_S1C_bDpT10_ENKUlT_T0_E_clISt17integral_constantIbLb0EES1O_IbLb1EEEEDaS1K_S1L_EUlS1K_E_NS1_11comp_targetILNS1_3genE2ELNS1_11target_archE906ELNS1_3gpuE6ELNS1_3repE0EEENS1_30default_config_static_selectorELNS0_4arch9wavefront6targetE1EEEvSY_
	.p2align	8
	.type	_ZN7rocprim17ROCPRIM_400000_NS6detail17trampoline_kernelINS0_13select_configILj256ELj13ELNS0_17block_load_methodE3ELS4_3ELS4_3ELNS0_20block_scan_algorithmE0ELj4294967295EEENS1_25partition_config_selectorILNS1_17partition_subalgoE3EjNS0_10empty_typeEbEEZZNS1_14partition_implILS8_3ELb0ES6_jNS0_17counting_iteratorIjlEEPS9_SE_NS0_5tupleIJPjSE_EEENSF_IJSE_SE_EEES9_SG_JZNS1_25segmented_radix_sort_implINS0_14default_configELb1EPKaPaPKlPlN2at6native12_GLOBAL__N_18offset_tEEE10hipError_tPvRmT1_PNSt15iterator_traitsISY_E10value_typeET2_T3_PNSZ_IS14_E10value_typeET4_jRbjT5_S1A_jjP12ihipStream_tbEUljE_EEESV_SW_SX_S14_S18_S1A_T6_T7_T9_mT8_S1C_bDpT10_ENKUlT_T0_E_clISt17integral_constantIbLb0EES1O_IbLb1EEEEDaS1K_S1L_EUlS1K_E_NS1_11comp_targetILNS1_3genE2ELNS1_11target_archE906ELNS1_3gpuE6ELNS1_3repE0EEENS1_30default_config_static_selectorELNS0_4arch9wavefront6targetE1EEEvSY_,@function
_ZN7rocprim17ROCPRIM_400000_NS6detail17trampoline_kernelINS0_13select_configILj256ELj13ELNS0_17block_load_methodE3ELS4_3ELS4_3ELNS0_20block_scan_algorithmE0ELj4294967295EEENS1_25partition_config_selectorILNS1_17partition_subalgoE3EjNS0_10empty_typeEbEEZZNS1_14partition_implILS8_3ELb0ES6_jNS0_17counting_iteratorIjlEEPS9_SE_NS0_5tupleIJPjSE_EEENSF_IJSE_SE_EEES9_SG_JZNS1_25segmented_radix_sort_implINS0_14default_configELb1EPKaPaPKlPlN2at6native12_GLOBAL__N_18offset_tEEE10hipError_tPvRmT1_PNSt15iterator_traitsISY_E10value_typeET2_T3_PNSZ_IS14_E10value_typeET4_jRbjT5_S1A_jjP12ihipStream_tbEUljE_EEESV_SW_SX_S14_S18_S1A_T6_T7_T9_mT8_S1C_bDpT10_ENKUlT_T0_E_clISt17integral_constantIbLb0EES1O_IbLb1EEEEDaS1K_S1L_EUlS1K_E_NS1_11comp_targetILNS1_3genE2ELNS1_11target_archE906ELNS1_3gpuE6ELNS1_3repE0EEENS1_30default_config_static_selectorELNS0_4arch9wavefront6targetE1EEEvSY_: ; @_ZN7rocprim17ROCPRIM_400000_NS6detail17trampoline_kernelINS0_13select_configILj256ELj13ELNS0_17block_load_methodE3ELS4_3ELS4_3ELNS0_20block_scan_algorithmE0ELj4294967295EEENS1_25partition_config_selectorILNS1_17partition_subalgoE3EjNS0_10empty_typeEbEEZZNS1_14partition_implILS8_3ELb0ES6_jNS0_17counting_iteratorIjlEEPS9_SE_NS0_5tupleIJPjSE_EEENSF_IJSE_SE_EEES9_SG_JZNS1_25segmented_radix_sort_implINS0_14default_configELb1EPKaPaPKlPlN2at6native12_GLOBAL__N_18offset_tEEE10hipError_tPvRmT1_PNSt15iterator_traitsISY_E10value_typeET2_T3_PNSZ_IS14_E10value_typeET4_jRbjT5_S1A_jjP12ihipStream_tbEUljE_EEESV_SW_SX_S14_S18_S1A_T6_T7_T9_mT8_S1C_bDpT10_ENKUlT_T0_E_clISt17integral_constantIbLb0EES1O_IbLb1EEEEDaS1K_S1L_EUlS1K_E_NS1_11comp_targetILNS1_3genE2ELNS1_11target_archE906ELNS1_3gpuE6ELNS1_3repE0EEENS1_30default_config_static_selectorELNS0_4arch9wavefront6targetE1EEEvSY_
; %bb.0:
	s_load_dwordx2 s[28:29], s[4:5], 0x10
	s_load_dwordx2 s[22:23], s[4:5], 0x28
	;; [unrolled: 1-line block ×3, first 2 shown]
	s_load_dwordx4 s[24:27], s[4:5], 0x48
	s_load_dword s14, s[4:5], 0x90
	s_load_dwordx2 s[34:35], s[4:5], 0x68
	s_load_dwordx4 s[8:11], s[4:5], 0x80
	v_cmp_eq_u32_e64 s[0:1], 0, v0
	s_and_saveexec_b64 s[2:3], s[0:1]
	s_cbranch_execz .LBB286_4
; %bb.1:
	s_mov_b64 s[12:13], exec
	v_mbcnt_lo_u32_b32 v1, s12, 0
	v_mbcnt_hi_u32_b32 v1, s13, v1
	v_cmp_eq_u32_e32 vcc, 0, v1
                                        ; implicit-def: $vgpr2
	s_and_saveexec_b64 s[6:7], vcc
	s_cbranch_execz .LBB286_3
; %bb.2:
	s_load_dwordx2 s[16:17], s[4:5], 0x78
	s_bcnt1_i32_b64 s12, s[12:13]
	v_mov_b32_e32 v2, 0
	v_mov_b32_e32 v3, s12
	s_waitcnt lgkmcnt(0)
	global_atomic_add v2, v2, v3, s[16:17] glc
.LBB286_3:
	s_or_b64 exec, exec, s[6:7]
	s_waitcnt vmcnt(0)
	v_readfirstlane_b32 s6, v2
	v_add_u32_e32 v1, s6, v1
	v_mov_b32_e32 v2, 0
	ds_write_b32 v2, v1
.LBB286_4:
	s_or_b64 exec, exec, s[2:3]
	v_mov_b32_e32 v1, 0
	s_load_dword s6, s[4:5], 0x8
	s_load_dword s2, s[4:5], 0x70
	s_waitcnt lgkmcnt(0)
	s_barrier
	ds_read_b32 v5, v1
	s_waitcnt lgkmcnt(0)
	s_barrier
	global_load_dwordx2 v[3:4], v1, s[26:27]
	s_add_i32 s4, s2, -1
	s_mulk_i32 s2, 0xd00
	s_add_i32 s3, s2, s28
	s_sub_i32 s33, s30, s3
	s_add_i32 s6, s6, s28
	s_addk_i32 s33, 0xd00
	s_add_u32 s2, s28, s2
	s_addc_u32 s3, s29, 0
	v_mov_b32_e32 v1, s2
	v_mov_b32_e32 v2, s3
	v_readfirstlane_b32 s43, v5
	v_cmp_gt_u64_e32 vcc, s[30:31], v[1:2]
	s_cmp_eq_u32 s43, s4
	v_cmp_ne_u32_e64 s[2:3], s4, v5
	s_cselect_b64 s[26:27], -1, 0
	s_or_b64 s[4:5], vcc, s[2:3]
	s_mul_i32 s42, s43, 0xd00
	s_mov_b64 s[2:3], -1
	s_and_b64 vcc, exec, s[4:5]
	v_lshlrev_b32_e32 v25, 2, v0
	s_cbranch_vccz .LBB286_6
; %bb.5:
	s_add_i32 s2, s42, s6
	v_add_u32_e32 v1, s2, v0
	v_add_u32_e32 v2, 0x100, v1
	;; [unrolled: 1-line block ×13, first 2 shown]
	ds_write2st64_b32 v25, v1, v2 offset1:4
	ds_write2st64_b32 v25, v5, v6 offset0:8 offset1:12
	ds_write2st64_b32 v25, v7, v8 offset0:16 offset1:20
	;; [unrolled: 1-line block ×5, first 2 shown]
	ds_write_b32 v25, v15 offset:12288
	s_waitcnt vmcnt(0) lgkmcnt(0)
	s_barrier
	s_mov_b64 s[2:3], 0
.LBB286_6:
	s_andn2_b64 vcc, exec, s[2:3]
	v_cmp_gt_u32_e64 s[2:3], s33, v0
	s_cbranch_vccnz .LBB286_8
; %bb.7:
	s_add_i32 s6, s42, s6
	v_or_b32_e32 v2, 0x100, v0
	v_add_u32_e32 v5, s6, v2
	v_cmp_gt_u32_e32 vcc, s33, v2
	v_cndmask_b32_e32 v2, 0, v5, vcc
	v_or_b32_e32 v5, 0x200, v0
	v_add_u32_e32 v6, s6, v5
	v_cmp_gt_u32_e32 vcc, s33, v5
	v_cndmask_b32_e32 v5, 0, v6, vcc
	;; [unrolled: 4-line block ×10, first 2 shown]
	v_or_b32_e32 v14, 0xb00, v0
	v_add_u32_e32 v15, s6, v14
	v_cmp_gt_u32_e32 vcc, s33, v14
	v_add_u32_e32 v1, s6, v0
	v_cndmask_b32_e32 v14, 0, v15, vcc
	v_or_b32_e32 v15, 0xc00, v0
	v_cndmask_b32_e64 v1, 0, v1, s[2:3]
	v_add_u32_e32 v16, s6, v15
	v_cmp_gt_u32_e32 vcc, s33, v15
	v_cndmask_b32_e32 v15, 0, v16, vcc
	ds_write2st64_b32 v25, v1, v2 offset1:4
	ds_write2st64_b32 v25, v5, v6 offset0:8 offset1:12
	ds_write2st64_b32 v25, v7, v8 offset0:16 offset1:20
	;; [unrolled: 1-line block ×5, first 2 shown]
	ds_write_b32 v25, v15 offset:12288
	s_waitcnt vmcnt(0) lgkmcnt(0)
	s_barrier
.LBB286_8:
	v_mul_u32_u24_e32 v27, 13, v0
	v_lshlrev_b32_e32 v1, 2, v27
	ds_read2_b32 v[15:16], v1 offset1:1
	ds_read2_b32 v[13:14], v1 offset0:2 offset1:3
	ds_read2_b32 v[11:12], v1 offset0:4 offset1:5
	;; [unrolled: 1-line block ×5, first 2 shown]
	ds_read_b32 v26, v1 offset:48
	v_cndmask_b32_e64 v1, 0, 1, s[4:5]
	v_cmp_ne_u32_e64 s[2:3], 1, v1
	s_andn2_b64 vcc, exec, s[4:5]
	s_waitcnt vmcnt(0) lgkmcnt(0)
	s_barrier
	s_cbranch_vccnz .LBB286_10
; %bb.9:
	v_add_u32_e32 v1, s9, v15
	v_add_u32_e32 v2, s11, v15
	v_mul_lo_u32 v1, v1, s8
	v_mul_lo_u32 v2, v2, s10
	v_add_u32_e32 v17, s9, v13
	v_add_u32_e32 v18, s11, v13
	v_mul_lo_u32 v17, v17, s8
	v_sub_u32_e32 v1, v1, v2
	v_cmp_lt_u32_e32 vcc, s14, v1
	v_add_u32_e32 v1, s9, v16
	v_add_u32_e32 v2, s11, v16
	v_mul_lo_u32 v1, v1, s8
	v_mul_lo_u32 v2, v2, s10
	;; [unrolled: 1-line block ×3, first 2 shown]
	v_cndmask_b32_e64 v28, 0, 1, vcc
	v_sub_u32_e32 v1, v1, v2
	v_cmp_lt_u32_e32 vcc, s14, v1
	v_sub_u32_e32 v1, v17, v18
	v_cndmask_b32_e64 v29, 0, 1, vcc
	v_cmp_lt_u32_e32 vcc, s14, v1
	v_add_u32_e32 v1, s9, v14
	v_add_u32_e32 v2, s11, v14
	v_mul_lo_u32 v1, v1, s8
	v_mul_lo_u32 v2, v2, s10
	v_add_u32_e32 v17, s9, v11
	v_add_u32_e32 v18, s11, v11
	v_mul_lo_u32 v17, v17, s8
	v_mul_lo_u32 v18, v18, s10
	v_sub_u32_e32 v1, v1, v2
	v_cndmask_b32_e64 v30, 0, 1, vcc
	v_cmp_lt_u32_e32 vcc, s14, v1
	v_sub_u32_e32 v1, v17, v18
	v_cndmask_b32_e64 v31, 0, 1, vcc
	v_cmp_lt_u32_e32 vcc, s14, v1
	v_add_u32_e32 v1, s9, v12
	v_add_u32_e32 v2, s11, v12
	v_mul_lo_u32 v1, v1, s8
	v_mul_lo_u32 v2, v2, s10
	v_add_u32_e32 v17, s9, v9
	v_add_u32_e32 v18, s11, v9
	v_mul_lo_u32 v17, v17, s8
	v_mul_lo_u32 v18, v18, s10
	v_sub_u32_e32 v1, v1, v2
	v_cndmask_b32_e64 v32, 0, 1, vcc
	v_cmp_lt_u32_e32 vcc, s14, v1
	v_sub_u32_e32 v1, v17, v18
	v_cndmask_b32_e64 v33, 0, 1, vcc
	v_cmp_lt_u32_e32 vcc, s14, v1
	v_add_u32_e32 v1, s9, v10
	v_add_u32_e32 v2, s11, v10
	v_mul_lo_u32 v1, v1, s8
	v_mul_lo_u32 v2, v2, s10
	v_add_u32_e32 v17, s9, v7
	v_add_u32_e32 v18, s11, v7
	v_mul_lo_u32 v17, v17, s8
	v_mul_lo_u32 v18, v18, s10
	v_sub_u32_e32 v1, v1, v2
	v_cndmask_b32_e64 v34, 0, 1, vcc
	v_cmp_lt_u32_e32 vcc, s14, v1
	v_sub_u32_e32 v1, v17, v18
	v_cndmask_b32_e64 v35, 0, 1, vcc
	v_cmp_lt_u32_e32 vcc, s14, v1
	v_add_u32_e32 v1, s9, v8
	v_add_u32_e32 v2, s11, v8
	v_mul_lo_u32 v1, v1, s8
	v_mul_lo_u32 v2, v2, s10
	v_add_u32_e32 v17, s9, v5
	v_add_u32_e32 v18, s11, v5
	v_mul_lo_u32 v17, v17, s8
	v_mul_lo_u32 v18, v18, s10
	v_sub_u32_e32 v1, v1, v2
	v_cndmask_b32_e64 v36, 0, 1, vcc
	v_cmp_lt_u32_e32 vcc, s14, v1
	v_sub_u32_e32 v1, v17, v18
	v_cndmask_b32_e64 v37, 0, 1, vcc
	v_cmp_lt_u32_e32 vcc, s14, v1
	v_add_u32_e32 v1, s9, v6
	v_add_u32_e32 v2, s11, v6
	v_mul_lo_u32 v1, v1, s8
	v_mul_lo_u32 v2, v2, s10
	v_add_u32_e32 v17, s9, v26
	v_add_u32_e32 v18, s11, v26
	v_mul_lo_u32 v17, v17, s8
	v_mul_lo_u32 v18, v18, s10
	v_sub_u32_e32 v1, v1, v2
	v_cndmask_b32_e64 v38, 0, 1, vcc
	v_cmp_lt_u32_e32 vcc, s14, v1
	v_sub_u32_e32 v1, v17, v18
	v_cndmask_b32_e64 v39, 0, 1, vcc
	v_cmp_lt_u32_e64 s[36:37], s14, v1
	s_cbranch_execz .LBB286_11
	s_branch .LBB286_38
.LBB286_10:
                                        ; implicit-def: $sgpr36_sgpr37
                                        ; implicit-def: $vgpr39
                                        ; implicit-def: $vgpr38
                                        ; implicit-def: $vgpr37
                                        ; implicit-def: $vgpr36
                                        ; implicit-def: $vgpr35
                                        ; implicit-def: $vgpr34
                                        ; implicit-def: $vgpr33
                                        ; implicit-def: $vgpr32
                                        ; implicit-def: $vgpr28
                                        ; implicit-def: $vgpr29
                                        ; implicit-def: $vgpr30
                                        ; implicit-def: $vgpr31
.LBB286_11:
	v_cmp_gt_u32_e32 vcc, s33, v27
	v_mov_b32_e32 v29, 0
	v_mov_b32_e32 v28, 0
	s_and_saveexec_b64 s[4:5], vcc
	s_cbranch_execz .LBB286_13
; %bb.12:
	v_add_u32_e32 v1, s9, v15
	v_add_u32_e32 v2, s11, v15
	v_mul_lo_u32 v1, v1, s8
	v_mul_lo_u32 v2, v2, s10
	v_sub_u32_e32 v1, v1, v2
	v_cmp_lt_u32_e32 vcc, s14, v1
	v_cndmask_b32_e64 v28, 0, 1, vcc
.LBB286_13:
	s_or_b64 exec, exec, s[4:5]
	v_add_u32_e32 v1, 1, v27
	v_cmp_gt_u32_e32 vcc, s33, v1
	s_and_saveexec_b64 s[4:5], vcc
	s_cbranch_execz .LBB286_15
; %bb.14:
	v_add_u32_e32 v1, s9, v16
	v_add_u32_e32 v2, s11, v16
	v_mul_lo_u32 v1, v1, s8
	v_mul_lo_u32 v2, v2, s10
	v_sub_u32_e32 v1, v1, v2
	v_cmp_lt_u32_e32 vcc, s14, v1
	v_cndmask_b32_e64 v29, 0, 1, vcc
.LBB286_15:
	s_or_b64 exec, exec, s[4:5]
	v_add_u32_e32 v1, 2, v27
	v_cmp_gt_u32_e32 vcc, s33, v1
	v_mov_b32_e32 v31, 0
	v_mov_b32_e32 v30, 0
	s_and_saveexec_b64 s[4:5], vcc
	s_cbranch_execz .LBB286_17
; %bb.16:
	v_add_u32_e32 v1, s9, v13
	v_add_u32_e32 v2, s11, v13
	v_mul_lo_u32 v1, v1, s8
	v_mul_lo_u32 v2, v2, s10
	v_sub_u32_e32 v1, v1, v2
	v_cmp_lt_u32_e32 vcc, s14, v1
	v_cndmask_b32_e64 v30, 0, 1, vcc
.LBB286_17:
	s_or_b64 exec, exec, s[4:5]
	v_add_u32_e32 v1, 3, v27
	v_cmp_gt_u32_e32 vcc, s33, v1
	s_and_saveexec_b64 s[4:5], vcc
	s_cbranch_execz .LBB286_19
; %bb.18:
	v_add_u32_e32 v1, s9, v14
	v_add_u32_e32 v2, s11, v14
	v_mul_lo_u32 v1, v1, s8
	v_mul_lo_u32 v2, v2, s10
	v_sub_u32_e32 v1, v1, v2
	v_cmp_lt_u32_e32 vcc, s14, v1
	v_cndmask_b32_e64 v31, 0, 1, vcc
.LBB286_19:
	s_or_b64 exec, exec, s[4:5]
	v_add_u32_e32 v1, 4, v27
	;; [unrolled: 30-line block ×6, first 2 shown]
	v_cmp_gt_u32_e32 vcc, s33, v1
	s_mov_b64 s[36:37], 0
	s_and_saveexec_b64 s[4:5], vcc
	s_cbranch_execz .LBB286_37
; %bb.36:
	v_add_u32_e32 v1, s9, v26
	v_add_u32_e32 v2, s11, v26
	v_mul_lo_u32 v1, v1, s8
	v_mul_lo_u32 v2, v2, s10
	v_sub_u32_e32 v1, v1, v2
	v_cmp_lt_u32_e32 vcc, s14, v1
	s_and_b64 s[36:37], vcc, exec
.LBB286_37:
	s_or_b64 exec, exec, s[4:5]
.LBB286_38:
	v_and_b32_e32 v42, 0xff, v29
	v_and_b32_e32 v43, 0xff, v30
	;; [unrolled: 1-line block ×5, first 2 shown]
	v_add3_u32 v2, v43, v44, v42
	v_and_b32_e32 v46, 0xff, v33
	v_and_b32_e32 v47, 0xff, v34
	v_add3_u32 v2, v2, v41, v45
	v_and_b32_e32 v48, 0xff, v35
	v_and_b32_e32 v49, 0xff, v36
	;; [unrolled: 3-line block ×3, first 2 shown]
	v_add3_u32 v2, v2, v48, v49
	v_and_b32_e32 v40, 0xff, v39
	v_cndmask_b32_e64 v1, 0, 1, s[36:37]
	v_add3_u32 v2, v2, v50, v51
	v_add3_u32 v54, v2, v40, v1
	v_mbcnt_lo_u32_b32 v1, -1, 0
	v_mbcnt_hi_u32_b32 v52, -1, v1
	v_and_b32_e32 v1, 15, v52
	v_cmp_eq_u32_e64 s[16:17], 0, v1
	v_cmp_lt_u32_e64 s[14:15], 1, v1
	v_cmp_lt_u32_e64 s[12:13], 3, v1
	;; [unrolled: 1-line block ×3, first 2 shown]
	v_and_b32_e32 v1, 16, v52
	v_cmp_eq_u32_e64 s[8:9], 0, v1
	v_or_b32_e32 v1, 63, v0
	s_cmp_lg_u32 s43, 0
	v_cmp_lt_u32_e64 s[4:5], 31, v52
	v_lshrrev_b32_e32 v53, 6, v0
	v_cmp_eq_u32_e64 s[6:7], v0, v1
	s_cbranch_scc0 .LBB286_60
; %bb.39:
	v_mov_b32_dpp v1, v54 row_shr:1 row_mask:0xf bank_mask:0xf
	v_cndmask_b32_e64 v1, v1, 0, s[16:17]
	v_add_u32_e32 v1, v1, v54
	s_nop 1
	v_mov_b32_dpp v2, v1 row_shr:2 row_mask:0xf bank_mask:0xf
	v_cndmask_b32_e64 v2, 0, v2, s[14:15]
	v_add_u32_e32 v1, v1, v2
	s_nop 1
	;; [unrolled: 4-line block ×4, first 2 shown]
	v_mov_b32_dpp v2, v1 row_bcast:15 row_mask:0xf bank_mask:0xf
	v_cndmask_b32_e64 v2, v2, 0, s[8:9]
	v_add_u32_e32 v1, v1, v2
	s_nop 1
	v_mov_b32_dpp v2, v1 row_bcast:31 row_mask:0xf bank_mask:0xf
	v_cndmask_b32_e64 v2, 0, v2, s[4:5]
	v_add_u32_e32 v1, v1, v2
	s_and_saveexec_b64 s[18:19], s[6:7]
; %bb.40:
	v_lshlrev_b32_e32 v2, 2, v53
	ds_write_b32 v2, v1
; %bb.41:
	s_or_b64 exec, exec, s[18:19]
	v_cmp_gt_u32_e32 vcc, 4, v0
	s_waitcnt lgkmcnt(0)
	s_barrier
	s_and_saveexec_b64 s[18:19], vcc
	s_cbranch_execz .LBB286_43
; %bb.42:
	ds_read_b32 v2, v25
	v_and_b32_e32 v17, 3, v52
	v_cmp_ne_u32_e32 vcc, 0, v17
	s_waitcnt lgkmcnt(0)
	v_mov_b32_dpp v18, v2 row_shr:1 row_mask:0xf bank_mask:0xf
	v_cndmask_b32_e32 v18, 0, v18, vcc
	v_add_u32_e32 v2, v18, v2
	v_cmp_lt_u32_e32 vcc, 1, v17
	s_nop 0
	v_mov_b32_dpp v18, v2 row_shr:2 row_mask:0xf bank_mask:0xf
	v_cndmask_b32_e32 v17, 0, v18, vcc
	v_add_u32_e32 v2, v2, v17
	ds_write_b32 v25, v2
.LBB286_43:
	s_or_b64 exec, exec, s[18:19]
	v_cmp_gt_u32_e32 vcc, 64, v0
	v_cmp_lt_u32_e64 s[18:19], 63, v0
	s_waitcnt lgkmcnt(0)
	s_barrier
                                        ; implicit-def: $vgpr55
	s_and_saveexec_b64 s[20:21], s[18:19]
	s_cbranch_execz .LBB286_45
; %bb.44:
	v_lshl_add_u32 v2, v53, 2, -4
	ds_read_b32 v55, v2
	s_waitcnt lgkmcnt(0)
	v_add_u32_e32 v1, v55, v1
.LBB286_45:
	s_or_b64 exec, exec, s[20:21]
	v_subrev_co_u32_e64 v2, s[18:19], 1, v52
	v_and_b32_e32 v17, 64, v52
	v_cmp_lt_i32_e64 s[20:21], v2, v17
	v_cndmask_b32_e64 v2, v2, v52, s[20:21]
	v_lshlrev_b32_e32 v2, 2, v2
	ds_bpermute_b32 v56, v2, v1
	s_and_saveexec_b64 s[20:21], vcc
	s_cbranch_execz .LBB286_65
; %bb.46:
	v_mov_b32_e32 v21, 0
	ds_read_b32 v1, v21 offset:12
	s_and_saveexec_b64 s[38:39], s[18:19]
	s_cbranch_execz .LBB286_48
; %bb.47:
	s_add_i32 s40, s43, 64
	s_mov_b32 s41, 0
	s_lshl_b64 s[40:41], s[40:41], 3
	s_add_u32 s40, s34, s40
	v_mov_b32_e32 v2, 1
	s_addc_u32 s41, s35, s41
	s_waitcnt lgkmcnt(0)
	global_store_dwordx2 v21, v[1:2], s[40:41]
.LBB286_48:
	s_or_b64 exec, exec, s[38:39]
	v_xad_u32 v17, v52, -1, s43
	v_add_u32_e32 v20, 64, v17
	v_lshlrev_b64 v[18:19], 3, v[20:21]
	v_mov_b32_e32 v2, s35
	v_add_co_u32_e32 v22, vcc, s34, v18
	v_addc_co_u32_e32 v23, vcc, v2, v19, vcc
	global_load_dwordx2 v[19:20], v[22:23], off glc
	s_waitcnt vmcnt(0)
	v_cmp_eq_u16_sdwa s[40:41], v20, v21 src0_sel:BYTE_0 src1_sel:DWORD
	s_and_saveexec_b64 s[38:39], s[40:41]
	s_cbranch_execz .LBB286_52
; %bb.49:
	s_mov_b64 s[40:41], 0
	v_mov_b32_e32 v2, 0
.LBB286_50:                             ; =>This Inner Loop Header: Depth=1
	global_load_dwordx2 v[19:20], v[22:23], off glc
	s_waitcnt vmcnt(0)
	v_cmp_ne_u16_sdwa s[44:45], v20, v2 src0_sel:BYTE_0 src1_sel:DWORD
	s_or_b64 s[40:41], s[44:45], s[40:41]
	s_andn2_b64 exec, exec, s[40:41]
	s_cbranch_execnz .LBB286_50
; %bb.51:
	s_or_b64 exec, exec, s[40:41]
.LBB286_52:
	s_or_b64 exec, exec, s[38:39]
	v_and_b32_e32 v58, 63, v52
	v_mov_b32_e32 v57, 2
	v_lshlrev_b64 v[21:22], v52, -1
	v_cmp_ne_u32_e32 vcc, 63, v58
	v_cmp_eq_u16_sdwa s[38:39], v20, v57 src0_sel:BYTE_0 src1_sel:DWORD
	v_addc_co_u32_e32 v23, vcc, 0, v52, vcc
	v_and_b32_e32 v2, s39, v22
	v_lshlrev_b32_e32 v59, 2, v23
	v_or_b32_e32 v2, 0x80000000, v2
	ds_bpermute_b32 v23, v59, v19
	v_and_b32_e32 v18, s38, v21
	v_ffbl_b32_e32 v2, v2
	v_add_u32_e32 v2, 32, v2
	v_ffbl_b32_e32 v18, v18
	v_min_u32_e32 v2, v18, v2
	v_cmp_lt_u32_e32 vcc, v58, v2
	s_waitcnt lgkmcnt(0)
	v_cndmask_b32_e32 v18, 0, v23, vcc
	v_cmp_gt_u32_e32 vcc, 62, v58
	v_add_u32_e32 v18, v18, v19
	v_cndmask_b32_e64 v19, 0, 2, vcc
	v_add_lshl_u32 v60, v19, v52, 2
	ds_bpermute_b32 v19, v60, v18
	v_add_u32_e32 v61, 2, v58
	v_cmp_le_u32_e32 vcc, v61, v2
	v_add_u32_e32 v63, 4, v58
	v_add_u32_e32 v65, 8, v58
	s_waitcnt lgkmcnt(0)
	v_cndmask_b32_e32 v19, 0, v19, vcc
	v_cmp_gt_u32_e32 vcc, 60, v58
	v_add_u32_e32 v18, v18, v19
	v_cndmask_b32_e64 v19, 0, 4, vcc
	v_add_lshl_u32 v62, v19, v52, 2
	ds_bpermute_b32 v19, v62, v18
	v_cmp_le_u32_e32 vcc, v63, v2
	v_add_u32_e32 v67, 16, v58
	v_add_u32_e32 v69, 32, v58
	s_waitcnt lgkmcnt(0)
	v_cndmask_b32_e32 v19, 0, v19, vcc
	v_cmp_gt_u32_e32 vcc, 56, v58
	v_add_u32_e32 v18, v18, v19
	v_cndmask_b32_e64 v19, 0, 8, vcc
	v_add_lshl_u32 v64, v19, v52, 2
	ds_bpermute_b32 v19, v64, v18
	v_cmp_le_u32_e32 vcc, v65, v2
	s_waitcnt lgkmcnt(0)
	v_cndmask_b32_e32 v19, 0, v19, vcc
	v_cmp_gt_u32_e32 vcc, 48, v58
	v_add_u32_e32 v18, v18, v19
	v_cndmask_b32_e64 v19, 0, 16, vcc
	v_add_lshl_u32 v66, v19, v52, 2
	ds_bpermute_b32 v19, v66, v18
	v_cmp_le_u32_e32 vcc, v67, v2
	s_waitcnt lgkmcnt(0)
	v_cndmask_b32_e32 v19, 0, v19, vcc
	v_add_u32_e32 v18, v18, v19
	v_mov_b32_e32 v19, 0x80
	v_lshl_or_b32 v68, v52, 2, v19
	ds_bpermute_b32 v19, v68, v18
	v_cmp_le_u32_e32 vcc, v69, v2
	s_waitcnt lgkmcnt(0)
	v_cndmask_b32_e32 v2, 0, v19, vcc
	v_add_u32_e32 v19, v18, v2
	v_mov_b32_e32 v18, 0
	s_branch .LBB286_56
.LBB286_53:                             ;   in Loop: Header=BB286_56 Depth=1
	s_or_b64 exec, exec, s[40:41]
.LBB286_54:                             ;   in Loop: Header=BB286_56 Depth=1
	s_or_b64 exec, exec, s[38:39]
	v_cmp_eq_u16_sdwa s[38:39], v20, v57 src0_sel:BYTE_0 src1_sel:DWORD
	v_and_b32_e32 v23, s39, v22
	v_or_b32_e32 v23, 0x80000000, v23
	ds_bpermute_b32 v70, v59, v19
	v_and_b32_e32 v24, s38, v21
	v_ffbl_b32_e32 v23, v23
	v_add_u32_e32 v23, 32, v23
	v_ffbl_b32_e32 v24, v24
	v_min_u32_e32 v23, v24, v23
	v_cmp_lt_u32_e32 vcc, v58, v23
	s_waitcnt lgkmcnt(0)
	v_cndmask_b32_e32 v24, 0, v70, vcc
	v_add_u32_e32 v19, v24, v19
	ds_bpermute_b32 v24, v60, v19
	v_cmp_le_u32_e32 vcc, v61, v23
	v_subrev_u32_e32 v17, 64, v17
	s_mov_b64 s[38:39], 0
	s_waitcnt lgkmcnt(0)
	v_cndmask_b32_e32 v24, 0, v24, vcc
	v_add_u32_e32 v19, v19, v24
	ds_bpermute_b32 v24, v62, v19
	v_cmp_le_u32_e32 vcc, v63, v23
	s_waitcnt lgkmcnt(0)
	v_cndmask_b32_e32 v24, 0, v24, vcc
	v_add_u32_e32 v19, v19, v24
	ds_bpermute_b32 v24, v64, v19
	v_cmp_le_u32_e32 vcc, v65, v23
	;; [unrolled: 5-line block ×4, first 2 shown]
	s_waitcnt lgkmcnt(0)
	v_cndmask_b32_e32 v23, 0, v24, vcc
	v_add3_u32 v19, v23, v2, v19
.LBB286_55:                             ;   in Loop: Header=BB286_56 Depth=1
	s_and_b64 vcc, exec, s[38:39]
	s_cbranch_vccnz .LBB286_61
.LBB286_56:                             ; =>This Loop Header: Depth=1
                                        ;     Child Loop BB286_59 Depth 2
	v_cmp_ne_u16_sdwa s[38:39], v20, v57 src0_sel:BYTE_0 src1_sel:DWORD
	v_mov_b32_e32 v2, v19
	s_cmp_lg_u64 s[38:39], exec
	s_mov_b64 s[38:39], -1
                                        ; implicit-def: $vgpr19
                                        ; implicit-def: $vgpr20
	s_cbranch_scc1 .LBB286_55
; %bb.57:                               ;   in Loop: Header=BB286_56 Depth=1
	v_lshlrev_b64 v[19:20], 3, v[17:18]
	v_mov_b32_e32 v24, s35
	v_add_co_u32_e32 v23, vcc, s34, v19
	v_addc_co_u32_e32 v24, vcc, v24, v20, vcc
	global_load_dwordx2 v[19:20], v[23:24], off glc
	s_waitcnt vmcnt(0)
	v_cmp_eq_u16_sdwa s[40:41], v20, v18 src0_sel:BYTE_0 src1_sel:DWORD
	s_and_saveexec_b64 s[38:39], s[40:41]
	s_cbranch_execz .LBB286_54
; %bb.58:                               ;   in Loop: Header=BB286_56 Depth=1
	s_mov_b64 s[40:41], 0
.LBB286_59:                             ;   Parent Loop BB286_56 Depth=1
                                        ; =>  This Inner Loop Header: Depth=2
	global_load_dwordx2 v[19:20], v[23:24], off glc
	s_waitcnt vmcnt(0)
	v_cmp_ne_u16_sdwa s[44:45], v20, v18 src0_sel:BYTE_0 src1_sel:DWORD
	s_or_b64 s[40:41], s[44:45], s[40:41]
	s_andn2_b64 exec, exec, s[40:41]
	s_cbranch_execnz .LBB286_59
	s_branch .LBB286_53
.LBB286_60:
                                        ; implicit-def: $vgpr2
                                        ; implicit-def: $vgpr17
	s_cbranch_execnz .LBB286_66
	s_branch .LBB286_75
.LBB286_61:
	s_and_saveexec_b64 s[38:39], s[18:19]
	s_cbranch_execz .LBB286_63
; %bb.62:
	s_add_i32 s40, s43, 64
	s_mov_b32 s41, 0
	s_lshl_b64 s[40:41], s[40:41], 3
	s_add_u32 s40, s34, s40
	v_add_u32_e32 v17, v2, v1
	v_mov_b32_e32 v18, 2
	s_addc_u32 s41, s35, s41
	v_mov_b32_e32 v19, 0
	global_store_dwordx2 v19, v[17:18], s[40:41]
	ds_write_b64 v19, v[1:2] offset:13312
.LBB286_63:
	s_or_b64 exec, exec, s[38:39]
	s_and_b64 exec, exec, s[0:1]
; %bb.64:
	v_mov_b32_e32 v1, 0
	ds_write_b32 v1, v2 offset:12
.LBB286_65:
	s_or_b64 exec, exec, s[20:21]
	v_mov_b32_e32 v1, 0
	s_waitcnt vmcnt(0) lgkmcnt(0)
	s_barrier
	ds_read_b32 v17, v1 offset:12
	s_waitcnt lgkmcnt(0)
	s_barrier
	ds_read_b64 v[1:2], v1 offset:13312
	v_cndmask_b32_e64 v18, v56, v55, s[18:19]
	v_cndmask_b32_e64 v18, v18, 0, s[0:1]
	v_add_u32_e32 v17, v17, v18
	s_branch .LBB286_75
.LBB286_66:
	s_waitcnt lgkmcnt(0)
	v_mov_b32_dpp v1, v54 row_shr:1 row_mask:0xf bank_mask:0xf
	v_cndmask_b32_e64 v1, v1, 0, s[16:17]
	v_add_u32_e32 v1, v1, v54
	s_nop 1
	v_mov_b32_dpp v2, v1 row_shr:2 row_mask:0xf bank_mask:0xf
	v_cndmask_b32_e64 v2, 0, v2, s[14:15]
	v_add_u32_e32 v1, v1, v2
	s_nop 1
	;; [unrolled: 4-line block ×4, first 2 shown]
	v_mov_b32_dpp v2, v1 row_bcast:15 row_mask:0xf bank_mask:0xf
	v_cndmask_b32_e64 v2, v2, 0, s[8:9]
	v_add_u32_e32 v1, v1, v2
	s_nop 1
	v_mov_b32_dpp v2, v1 row_bcast:31 row_mask:0xf bank_mask:0xf
	v_cndmask_b32_e64 v2, 0, v2, s[4:5]
	v_add_u32_e32 v1, v1, v2
	s_and_saveexec_b64 s[4:5], s[6:7]
; %bb.67:
	v_lshlrev_b32_e32 v2, 2, v53
	ds_write_b32 v2, v1
; %bb.68:
	s_or_b64 exec, exec, s[4:5]
	v_cmp_gt_u32_e32 vcc, 4, v0
	s_waitcnt lgkmcnt(0)
	s_barrier
	s_and_saveexec_b64 s[4:5], vcc
	s_cbranch_execz .LBB286_70
; %bb.69:
	ds_read_b32 v2, v25
	v_and_b32_e32 v17, 3, v52
	v_cmp_ne_u32_e32 vcc, 0, v17
	s_waitcnt lgkmcnt(0)
	v_mov_b32_dpp v18, v2 row_shr:1 row_mask:0xf bank_mask:0xf
	v_cndmask_b32_e32 v18, 0, v18, vcc
	v_add_u32_e32 v2, v18, v2
	v_cmp_lt_u32_e32 vcc, 1, v17
	s_nop 0
	v_mov_b32_dpp v18, v2 row_shr:2 row_mask:0xf bank_mask:0xf
	v_cndmask_b32_e32 v17, 0, v18, vcc
	v_add_u32_e32 v2, v2, v17
	ds_write_b32 v25, v2
.LBB286_70:
	s_or_b64 exec, exec, s[4:5]
	v_cmp_lt_u32_e32 vcc, 63, v0
	v_mov_b32_e32 v2, 0
	v_mov_b32_e32 v17, 0
	s_waitcnt lgkmcnt(0)
	s_barrier
	s_and_saveexec_b64 s[4:5], vcc
; %bb.71:
	v_lshl_add_u32 v17, v53, 2, -4
	ds_read_b32 v17, v17
; %bb.72:
	s_or_b64 exec, exec, s[4:5]
	v_subrev_co_u32_e32 v18, vcc, 1, v52
	v_and_b32_e32 v19, 64, v52
	v_cmp_lt_i32_e64 s[4:5], v18, v19
	v_cndmask_b32_e64 v18, v18, v52, s[4:5]
	s_waitcnt lgkmcnt(0)
	v_add_u32_e32 v1, v17, v1
	v_lshlrev_b32_e32 v18, 2, v18
	ds_bpermute_b32 v18, v18, v1
	ds_read_b32 v1, v2 offset:12
	s_and_saveexec_b64 s[4:5], s[0:1]
	s_cbranch_execz .LBB286_74
; %bb.73:
	v_mov_b32_e32 v19, 0
	v_mov_b32_e32 v2, 2
	s_waitcnt lgkmcnt(0)
	global_store_dwordx2 v19, v[1:2], s[34:35] offset:512
.LBB286_74:
	s_or_b64 exec, exec, s[4:5]
	s_waitcnt lgkmcnt(1)
	v_cndmask_b32_e32 v2, v18, v17, vcc
	v_cndmask_b32_e64 v17, v2, 0, s[0:1]
	s_waitcnt vmcnt(0) lgkmcnt(0)
	s_barrier
	v_mov_b32_e32 v2, 0
.LBB286_75:
	v_add_u32_e32 v18, v17, v41
	v_add_u32_e32 v19, v18, v42
	;; [unrolled: 1-line block ×4, first 2 shown]
	s_waitcnt lgkmcnt(0)
	v_add_u32_e32 v27, v1, v27
	v_sub_u32_e32 v17, v17, v2
	v_and_b32_e32 v28, 1, v28
	v_add_u32_e32 v22, v21, v45
	v_sub_u32_e32 v45, v27, v17
	v_cmp_eq_u32_e32 vcc, 1, v28
	v_cndmask_b32_e32 v17, v45, v17, vcc
	v_lshlrev_b32_e32 v17, 2, v17
	ds_write_b32 v17, v15
	v_sub_u32_e32 v15, v18, v2
	v_sub_u32_e32 v17, v27, v15
	v_and_b32_e32 v18, 1, v29
	v_add_u32_e32 v17, 1, v17
	v_cmp_eq_u32_e32 vcc, 1, v18
	v_cndmask_b32_e32 v15, v17, v15, vcc
	v_lshlrev_b32_e32 v15, 2, v15
	ds_write_b32 v15, v16
	v_sub_u32_e32 v15, v19, v2
	v_sub_u32_e32 v16, v27, v15
	v_and_b32_e32 v17, 1, v30
	v_add_u32_e32 v16, 2, v16
	;; [unrolled: 8-line block ×5, first 2 shown]
	v_cmp_eq_u32_e32 vcc, 1, v14
	v_cndmask_b32_e32 v11, v13, v11, vcc
	v_add_u32_e32 v23, v22, v46
	v_lshlrev_b32_e32 v11, 2, v11
	ds_write_b32 v11, v12
	v_sub_u32_e32 v11, v23, v2
	v_sub_u32_e32 v12, v27, v11
	v_and_b32_e32 v13, 1, v34
	v_add_u32_e32 v12, 6, v12
	v_cmp_eq_u32_e32 vcc, 1, v13
	v_cndmask_b32_e32 v11, v12, v11, vcc
	v_add_u32_e32 v24, v23, v47
	v_lshlrev_b32_e32 v11, 2, v11
	ds_write_b32 v11, v9
	v_sub_u32_e32 v9, v24, v2
	v_sub_u32_e32 v11, v27, v9
	v_and_b32_e32 v12, 1, v35
	v_add_u32_e32 v11, 7, v11
	;; [unrolled: 9-line block ×6, first 2 shown]
	v_cmp_eq_u32_e32 vcc, 1, v8
	v_cndmask_b32_e32 v5, v7, v5, vcc
	v_lshlrev_b32_e32 v5, 2, v5
	ds_write_b32 v5, v6
	v_sub_u32_e32 v5, v40, v2
	v_add_u32_e32 v5, v44, v5
	v_sub_u32_e32 v6, v27, v5
	v_add_u32_e32 v6, 12, v6
	v_cndmask_b32_e64 v5, v6, v5, s[36:37]
	v_lshlrev_b32_e32 v5, 2, v5
	ds_write_b32 v5, v26
	s_waitcnt lgkmcnt(0)
	s_barrier
	ds_read2st64_b32 v[15:16], v25 offset1:4
	ds_read2st64_b32 v[13:14], v25 offset0:8 offset1:12
	ds_read2st64_b32 v[11:12], v25 offset0:16 offset1:20
	ds_read2st64_b32 v[9:10], v25 offset0:24 offset1:28
	ds_read2st64_b32 v[7:8], v25 offset0:32 offset1:36
	ds_read2st64_b32 v[5:6], v25 offset0:40 offset1:44
	ds_read_b32 v18, v25 offset:12288
	s_and_b64 vcc, exec, s[2:3]
	v_add_co_u32_e64 v17, s[2:3], v3, v2
	v_or_b32_e32 v32, 0x100, v0
	v_or_b32_e32 v30, 0x200, v0
	;; [unrolled: 1-line block ×12, first 2 shown]
	v_addc_co_u32_e64 v4, s[2:3], 0, v4, s[2:3]
	s_cbranch_vccnz .LBB286_132
; %bb.76:
	v_mov_b32_e32 v2, s29
	v_subrev_co_u32_e32 v3, vcc, s28, v17
	s_sub_u32 s2, s30, s42
	v_subb_co_u32_e32 v2, vcc, v4, v2, vcc
	s_subb_u32 s3, s31, 0
	v_mov_b32_e32 v25, s3
	v_add_co_u32_e32 v31, vcc, s2, v1
	v_addc_co_u32_e32 v33, vcc, 0, v25, vcc
	v_add_co_u32_e32 v25, vcc, v31, v3
	v_addc_co_u32_e32 v31, vcc, v33, v2, vcc
	v_cmp_ge_u32_e32 vcc, v0, v1
                                        ; implicit-def: $vgpr2_vgpr3
	s_and_saveexec_b64 s[2:3], vcc
	s_xor_b64 s[2:3], exec, s[2:3]
; %bb.77:
	v_not_b32_e32 v2, v0
	v_ashrrev_i32_e32 v3, 31, v2
	v_add_co_u32_e32 v2, vcc, v25, v2
	v_addc_co_u32_e32 v3, vcc, v31, v3, vcc
; %bb.78:
	s_andn2_saveexec_b64 s[2:3], s[2:3]
; %bb.79:
	v_add_co_u32_e32 v2, vcc, v17, v0
	v_addc_co_u32_e32 v3, vcc, 0, v4, vcc
; %bb.80:
	s_or_b64 exec, exec, s[2:3]
	v_lshlrev_b64 v[2:3], 2, v[2:3]
	v_mov_b32_e32 v33, s23
	v_add_co_u32_e32 v2, vcc, s22, v2
	v_addc_co_u32_e32 v3, vcc, v33, v3, vcc
	v_cmp_ge_u32_e32 vcc, v32, v1
	s_waitcnt lgkmcnt(6)
	global_store_dword v[2:3], v15, off
                                        ; implicit-def: $vgpr2_vgpr3
	s_and_saveexec_b64 s[2:3], vcc
	s_xor_b64 s[2:3], exec, s[2:3]
; %bb.81:
	v_xor_b32_e32 v2, 0xfffffeff, v0
	v_ashrrev_i32_e32 v3, 31, v2
	v_add_co_u32_e32 v2, vcc, v25, v2
	v_addc_co_u32_e32 v3, vcc, v31, v3, vcc
; %bb.82:
	s_andn2_saveexec_b64 s[2:3], s[2:3]
; %bb.83:
	v_add_co_u32_e32 v2, vcc, v17, v32
	v_addc_co_u32_e32 v3, vcc, 0, v4, vcc
; %bb.84:
	s_or_b64 exec, exec, s[2:3]
	v_lshlrev_b64 v[2:3], 2, v[2:3]
	v_mov_b32_e32 v33, s23
	v_add_co_u32_e32 v2, vcc, s22, v2
	v_addc_co_u32_e32 v3, vcc, v33, v3, vcc
	v_cmp_ge_u32_e32 vcc, v30, v1
	global_store_dword v[2:3], v16, off
                                        ; implicit-def: $vgpr2_vgpr3
	s_and_saveexec_b64 s[2:3], vcc
	s_xor_b64 s[2:3], exec, s[2:3]
; %bb.85:
	v_xor_b32_e32 v2, 0xfffffdff, v0
	v_ashrrev_i32_e32 v3, 31, v2
	v_add_co_u32_e32 v2, vcc, v25, v2
	v_addc_co_u32_e32 v3, vcc, v31, v3, vcc
; %bb.86:
	s_andn2_saveexec_b64 s[2:3], s[2:3]
; %bb.87:
	v_add_co_u32_e32 v2, vcc, v17, v30
	v_addc_co_u32_e32 v3, vcc, 0, v4, vcc
; %bb.88:
	s_or_b64 exec, exec, s[2:3]
	v_lshlrev_b64 v[2:3], 2, v[2:3]
	v_mov_b32_e32 v33, s23
	v_add_co_u32_e32 v2, vcc, s22, v2
	v_addc_co_u32_e32 v3, vcc, v33, v3, vcc
	v_cmp_ge_u32_e32 vcc, v29, v1
	s_waitcnt lgkmcnt(5)
	global_store_dword v[2:3], v13, off
                                        ; implicit-def: $vgpr2_vgpr3
	s_and_saveexec_b64 s[2:3], vcc
	s_xor_b64 s[2:3], exec, s[2:3]
; %bb.89:
	v_xor_b32_e32 v2, 0xfffffcff, v0
	v_ashrrev_i32_e32 v3, 31, v2
	v_add_co_u32_e32 v2, vcc, v25, v2
	v_addc_co_u32_e32 v3, vcc, v31, v3, vcc
; %bb.90:
	s_andn2_saveexec_b64 s[2:3], s[2:3]
; %bb.91:
	v_add_co_u32_e32 v2, vcc, v17, v29
	v_addc_co_u32_e32 v3, vcc, 0, v4, vcc
; %bb.92:
	s_or_b64 exec, exec, s[2:3]
	v_lshlrev_b64 v[2:3], 2, v[2:3]
	v_mov_b32_e32 v33, s23
	v_add_co_u32_e32 v2, vcc, s22, v2
	v_addc_co_u32_e32 v3, vcc, v33, v3, vcc
	v_cmp_ge_u32_e32 vcc, v28, v1
	global_store_dword v[2:3], v14, off
                                        ; implicit-def: $vgpr2_vgpr3
	s_and_saveexec_b64 s[2:3], vcc
	s_xor_b64 s[2:3], exec, s[2:3]
; %bb.93:
	v_xor_b32_e32 v2, 0xfffffbff, v0
	;; [unrolled: 43-line block ×6, first 2 shown]
	v_ashrrev_i32_e32 v3, 31, v2
	v_add_co_u32_e32 v2, vcc, v25, v2
	v_addc_co_u32_e32 v3, vcc, v31, v3, vcc
; %bb.126:
	s_andn2_saveexec_b64 s[2:3], s[2:3]
; %bb.127:
	v_add_co_u32_e32 v2, vcc, v17, v19
	v_addc_co_u32_e32 v3, vcc, 0, v4, vcc
; %bb.128:
	s_or_b64 exec, exec, s[2:3]
	s_mov_b64 s[2:3], -1
.LBB286_129:
	s_and_saveexec_b64 s[4:5], s[2:3]
	s_cbranch_execz .LBB286_212
.LBB286_130:
	v_lshlrev_b64 v[2:3], 2, v[2:3]
	v_mov_b32_e32 v0, s23
	v_add_co_u32_e32 v2, vcc, s22, v2
	v_addc_co_u32_e32 v3, vcc, v0, v3, vcc
	s_waitcnt lgkmcnt(0)
	global_store_dword v[2:3], v18, off
	s_or_b64 exec, exec, s[4:5]
	s_and_b64 s[0:1], s[0:1], s[26:27]
	s_and_saveexec_b64 s[2:3], s[0:1]
	s_cbranch_execnz .LBB286_213
.LBB286_131:
	s_endpgm
.LBB286_132:
	s_mov_b64 s[2:3], 0
                                        ; implicit-def: $vgpr2_vgpr3
	s_cbranch_execz .LBB286_129
; %bb.133:
	s_add_u32 s4, s28, s42
	s_addc_u32 s5, s29, 0
	s_sub_u32 s4, s30, s4
	s_subb_u32 s5, s31, s5
	v_mov_b32_e32 v2, s5
	v_add_co_u32_e32 v3, vcc, s4, v1
	v_addc_co_u32_e32 v2, vcc, 0, v2, vcc
	v_add_co_u32_e32 v25, vcc, v3, v17
	v_addc_co_u32_e32 v31, vcc, v2, v4, vcc
	v_cmp_gt_u32_e32 vcc, s33, v0
	s_and_saveexec_b64 s[4:5], vcc
	s_cbranch_execz .LBB286_169
; %bb.134:
	v_cmp_ge_u32_e32 vcc, v0, v1
                                        ; implicit-def: $vgpr2_vgpr3
	s_and_saveexec_b64 s[6:7], vcc
	s_xor_b64 s[6:7], exec, s[6:7]
; %bb.135:
	v_not_b32_e32 v2, v0
	v_ashrrev_i32_e32 v3, 31, v2
	v_add_co_u32_e32 v2, vcc, v25, v2
	v_addc_co_u32_e32 v3, vcc, v31, v3, vcc
; %bb.136:
	s_andn2_saveexec_b64 s[6:7], s[6:7]
; %bb.137:
	v_add_co_u32_e32 v2, vcc, v17, v0
	v_addc_co_u32_e32 v3, vcc, 0, v4, vcc
; %bb.138:
	s_or_b64 exec, exec, s[6:7]
	v_lshlrev_b64 v[2:3], 2, v[2:3]
	v_mov_b32_e32 v33, s23
	v_add_co_u32_e32 v2, vcc, s22, v2
	v_addc_co_u32_e32 v3, vcc, v33, v3, vcc
	s_waitcnt lgkmcnt(6)
	global_store_dword v[2:3], v15, off
	s_or_b64 exec, exec, s[4:5]
	v_cmp_gt_u32_e32 vcc, s33, v32
	s_and_saveexec_b64 s[4:5], vcc
	s_cbranch_execnz .LBB286_170
.LBB286_139:
	s_or_b64 exec, exec, s[4:5]
	v_cmp_gt_u32_e32 vcc, s33, v30
	s_and_saveexec_b64 s[4:5], vcc
	s_cbranch_execz .LBB286_175
.LBB286_140:
	v_cmp_ge_u32_e32 vcc, v30, v1
                                        ; implicit-def: $vgpr2_vgpr3
	s_and_saveexec_b64 s[6:7], vcc
	s_xor_b64 s[6:7], exec, s[6:7]
; %bb.141:
	v_xor_b32_e32 v2, 0xfffffdff, v0
	v_ashrrev_i32_e32 v3, 31, v2
	v_add_co_u32_e32 v2, vcc, v25, v2
	v_addc_co_u32_e32 v3, vcc, v31, v3, vcc
                                        ; implicit-def: $vgpr30
; %bb.142:
	s_andn2_saveexec_b64 s[6:7], s[6:7]
; %bb.143:
	v_add_co_u32_e32 v2, vcc, v17, v30
	v_addc_co_u32_e32 v3, vcc, 0, v4, vcc
; %bb.144:
	s_or_b64 exec, exec, s[6:7]
	v_lshlrev_b64 v[2:3], 2, v[2:3]
	s_waitcnt lgkmcnt(6)
	v_mov_b32_e32 v15, s23
	v_add_co_u32_e32 v2, vcc, s22, v2
	v_addc_co_u32_e32 v3, vcc, v15, v3, vcc
	s_waitcnt lgkmcnt(5)
	global_store_dword v[2:3], v13, off
	s_or_b64 exec, exec, s[4:5]
	v_cmp_gt_u32_e32 vcc, s33, v29
	s_and_saveexec_b64 s[4:5], vcc
	s_cbranch_execnz .LBB286_176
.LBB286_145:
	s_or_b64 exec, exec, s[4:5]
	v_cmp_gt_u32_e32 vcc, s33, v28
	s_and_saveexec_b64 s[4:5], vcc
	s_cbranch_execz .LBB286_181
.LBB286_146:
	v_cmp_ge_u32_e32 vcc, v28, v1
                                        ; implicit-def: $vgpr2_vgpr3
	s_and_saveexec_b64 s[6:7], vcc
	s_xor_b64 s[6:7], exec, s[6:7]
; %bb.147:
	v_xor_b32_e32 v2, 0xfffffbff, v0
	v_ashrrev_i32_e32 v3, 31, v2
	v_add_co_u32_e32 v2, vcc, v25, v2
	v_addc_co_u32_e32 v3, vcc, v31, v3, vcc
                                        ; implicit-def: $vgpr28
; %bb.148:
	s_andn2_saveexec_b64 s[6:7], s[6:7]
; %bb.149:
	v_add_co_u32_e32 v2, vcc, v17, v28
	v_addc_co_u32_e32 v3, vcc, 0, v4, vcc
; %bb.150:
	s_or_b64 exec, exec, s[6:7]
	v_lshlrev_b64 v[2:3], 2, v[2:3]
	s_waitcnt lgkmcnt(5)
	v_mov_b32_e32 v13, s23
	v_add_co_u32_e32 v2, vcc, s22, v2
	v_addc_co_u32_e32 v3, vcc, v13, v3, vcc
	s_waitcnt lgkmcnt(4)
	global_store_dword v[2:3], v11, off
	s_or_b64 exec, exec, s[4:5]
	v_cmp_gt_u32_e32 vcc, s33, v27
	s_and_saveexec_b64 s[4:5], vcc
	s_cbranch_execnz .LBB286_182
.LBB286_151:
	s_or_b64 exec, exec, s[4:5]
	v_cmp_gt_u32_e32 vcc, s33, v26
	s_and_saveexec_b64 s[4:5], vcc
	s_cbranch_execz .LBB286_187
.LBB286_152:
	v_cmp_ge_u32_e32 vcc, v26, v1
                                        ; implicit-def: $vgpr2_vgpr3
	s_and_saveexec_b64 s[6:7], vcc
	s_xor_b64 s[6:7], exec, s[6:7]
; %bb.153:
	v_xor_b32_e32 v2, 0xfffff9ff, v0
	v_ashrrev_i32_e32 v3, 31, v2
	v_add_co_u32_e32 v2, vcc, v25, v2
	v_addc_co_u32_e32 v3, vcc, v31, v3, vcc
                                        ; implicit-def: $vgpr26
; %bb.154:
	s_andn2_saveexec_b64 s[6:7], s[6:7]
; %bb.155:
	v_add_co_u32_e32 v2, vcc, v17, v26
	v_addc_co_u32_e32 v3, vcc, 0, v4, vcc
; %bb.156:
	s_or_b64 exec, exec, s[6:7]
	v_lshlrev_b64 v[2:3], 2, v[2:3]
	s_waitcnt lgkmcnt(4)
	v_mov_b32_e32 v11, s23
	v_add_co_u32_e32 v2, vcc, s22, v2
	v_addc_co_u32_e32 v3, vcc, v11, v3, vcc
	s_waitcnt lgkmcnt(3)
	global_store_dword v[2:3], v9, off
	s_or_b64 exec, exec, s[4:5]
	v_cmp_gt_u32_e32 vcc, s33, v24
	s_and_saveexec_b64 s[4:5], vcc
	s_cbranch_execnz .LBB286_188
.LBB286_157:
	s_or_b64 exec, exec, s[4:5]
	v_cmp_gt_u32_e32 vcc, s33, v23
	s_and_saveexec_b64 s[4:5], vcc
	s_cbranch_execz .LBB286_193
.LBB286_158:
	v_cmp_ge_u32_e32 vcc, v23, v1
                                        ; implicit-def: $vgpr2_vgpr3
	s_and_saveexec_b64 s[6:7], vcc
	s_xor_b64 s[6:7], exec, s[6:7]
; %bb.159:
	v_xor_b32_e32 v2, 0xfffff7ff, v0
	v_ashrrev_i32_e32 v3, 31, v2
	v_add_co_u32_e32 v2, vcc, v25, v2
	v_addc_co_u32_e32 v3, vcc, v31, v3, vcc
                                        ; implicit-def: $vgpr23
; %bb.160:
	s_andn2_saveexec_b64 s[6:7], s[6:7]
; %bb.161:
	v_add_co_u32_e32 v2, vcc, v17, v23
	v_addc_co_u32_e32 v3, vcc, 0, v4, vcc
; %bb.162:
	s_or_b64 exec, exec, s[6:7]
	v_lshlrev_b64 v[2:3], 2, v[2:3]
	s_waitcnt lgkmcnt(3)
	v_mov_b32_e32 v9, s23
	v_add_co_u32_e32 v2, vcc, s22, v2
	v_addc_co_u32_e32 v3, vcc, v9, v3, vcc
	s_waitcnt lgkmcnt(2)
	global_store_dword v[2:3], v7, off
	s_or_b64 exec, exec, s[4:5]
	v_cmp_gt_u32_e32 vcc, s33, v22
	s_and_saveexec_b64 s[4:5], vcc
	s_cbranch_execnz .LBB286_194
.LBB286_163:
	s_or_b64 exec, exec, s[4:5]
	v_cmp_gt_u32_e32 vcc, s33, v21
	s_and_saveexec_b64 s[4:5], vcc
	s_cbranch_execz .LBB286_199
.LBB286_164:
	v_cmp_ge_u32_e32 vcc, v21, v1
                                        ; implicit-def: $vgpr2_vgpr3
	s_and_saveexec_b64 s[6:7], vcc
	s_xor_b64 s[6:7], exec, s[6:7]
; %bb.165:
	v_xor_b32_e32 v2, 0xfffff5ff, v0
	v_ashrrev_i32_e32 v3, 31, v2
	v_add_co_u32_e32 v2, vcc, v25, v2
	v_addc_co_u32_e32 v3, vcc, v31, v3, vcc
                                        ; implicit-def: $vgpr21
; %bb.166:
	s_andn2_saveexec_b64 s[6:7], s[6:7]
; %bb.167:
	v_add_co_u32_e32 v2, vcc, v17, v21
	v_addc_co_u32_e32 v3, vcc, 0, v4, vcc
; %bb.168:
	s_or_b64 exec, exec, s[6:7]
	v_lshlrev_b64 v[2:3], 2, v[2:3]
	s_waitcnt lgkmcnt(2)
	v_mov_b32_e32 v7, s23
	v_add_co_u32_e32 v2, vcc, s22, v2
	v_addc_co_u32_e32 v3, vcc, v7, v3, vcc
	s_waitcnt lgkmcnt(1)
	global_store_dword v[2:3], v5, off
	s_or_b64 exec, exec, s[4:5]
	v_cmp_gt_u32_e32 vcc, s33, v20
	s_and_saveexec_b64 s[4:5], vcc
	s_cbranch_execz .LBB286_205
	s_branch .LBB286_200
.LBB286_169:
	s_or_b64 exec, exec, s[4:5]
	v_cmp_gt_u32_e32 vcc, s33, v32
	s_and_saveexec_b64 s[4:5], vcc
	s_cbranch_execz .LBB286_139
.LBB286_170:
	v_cmp_ge_u32_e32 vcc, v32, v1
                                        ; implicit-def: $vgpr2_vgpr3
	s_and_saveexec_b64 s[6:7], vcc
	s_xor_b64 s[6:7], exec, s[6:7]
; %bb.171:
	v_xor_b32_e32 v2, 0xfffffeff, v0
	v_ashrrev_i32_e32 v3, 31, v2
	v_add_co_u32_e32 v2, vcc, v25, v2
	v_addc_co_u32_e32 v3, vcc, v31, v3, vcc
                                        ; implicit-def: $vgpr32
; %bb.172:
	s_andn2_saveexec_b64 s[6:7], s[6:7]
; %bb.173:
	v_add_co_u32_e32 v2, vcc, v17, v32
	v_addc_co_u32_e32 v3, vcc, 0, v4, vcc
; %bb.174:
	s_or_b64 exec, exec, s[6:7]
	v_lshlrev_b64 v[2:3], 2, v[2:3]
	s_waitcnt lgkmcnt(6)
	v_mov_b32_e32 v15, s23
	v_add_co_u32_e32 v2, vcc, s22, v2
	v_addc_co_u32_e32 v3, vcc, v15, v3, vcc
	global_store_dword v[2:3], v16, off
	s_or_b64 exec, exec, s[4:5]
	v_cmp_gt_u32_e32 vcc, s33, v30
	s_and_saveexec_b64 s[4:5], vcc
	s_cbranch_execnz .LBB286_140
.LBB286_175:
	s_or_b64 exec, exec, s[4:5]
	v_cmp_gt_u32_e32 vcc, s33, v29
	s_and_saveexec_b64 s[4:5], vcc
	s_cbranch_execz .LBB286_145
.LBB286_176:
	v_cmp_ge_u32_e32 vcc, v29, v1
                                        ; implicit-def: $vgpr2_vgpr3
	s_and_saveexec_b64 s[6:7], vcc
	s_xor_b64 s[6:7], exec, s[6:7]
; %bb.177:
	v_xor_b32_e32 v2, 0xfffffcff, v0
	v_ashrrev_i32_e32 v3, 31, v2
	v_add_co_u32_e32 v2, vcc, v25, v2
	v_addc_co_u32_e32 v3, vcc, v31, v3, vcc
                                        ; implicit-def: $vgpr29
; %bb.178:
	s_andn2_saveexec_b64 s[6:7], s[6:7]
; %bb.179:
	v_add_co_u32_e32 v2, vcc, v17, v29
	v_addc_co_u32_e32 v3, vcc, 0, v4, vcc
; %bb.180:
	s_or_b64 exec, exec, s[6:7]
	v_lshlrev_b64 v[2:3], 2, v[2:3]
	s_waitcnt lgkmcnt(5)
	v_mov_b32_e32 v13, s23
	v_add_co_u32_e32 v2, vcc, s22, v2
	v_addc_co_u32_e32 v3, vcc, v13, v3, vcc
	global_store_dword v[2:3], v14, off
	s_or_b64 exec, exec, s[4:5]
	v_cmp_gt_u32_e32 vcc, s33, v28
	s_and_saveexec_b64 s[4:5], vcc
	s_cbranch_execnz .LBB286_146
.LBB286_181:
	s_or_b64 exec, exec, s[4:5]
	v_cmp_gt_u32_e32 vcc, s33, v27
	s_and_saveexec_b64 s[4:5], vcc
	s_cbranch_execz .LBB286_151
.LBB286_182:
	v_cmp_ge_u32_e32 vcc, v27, v1
                                        ; implicit-def: $vgpr2_vgpr3
	s_and_saveexec_b64 s[6:7], vcc
	s_xor_b64 s[6:7], exec, s[6:7]
; %bb.183:
	v_xor_b32_e32 v2, 0xfffffaff, v0
	v_ashrrev_i32_e32 v3, 31, v2
	v_add_co_u32_e32 v2, vcc, v25, v2
	v_addc_co_u32_e32 v3, vcc, v31, v3, vcc
                                        ; implicit-def: $vgpr27
; %bb.184:
	s_andn2_saveexec_b64 s[6:7], s[6:7]
; %bb.185:
	v_add_co_u32_e32 v2, vcc, v17, v27
	v_addc_co_u32_e32 v3, vcc, 0, v4, vcc
; %bb.186:
	s_or_b64 exec, exec, s[6:7]
	v_lshlrev_b64 v[2:3], 2, v[2:3]
	s_waitcnt lgkmcnt(4)
	v_mov_b32_e32 v11, s23
	v_add_co_u32_e32 v2, vcc, s22, v2
	v_addc_co_u32_e32 v3, vcc, v11, v3, vcc
	global_store_dword v[2:3], v12, off
	s_or_b64 exec, exec, s[4:5]
	v_cmp_gt_u32_e32 vcc, s33, v26
	s_and_saveexec_b64 s[4:5], vcc
	s_cbranch_execnz .LBB286_152
.LBB286_187:
	s_or_b64 exec, exec, s[4:5]
	v_cmp_gt_u32_e32 vcc, s33, v24
	s_and_saveexec_b64 s[4:5], vcc
	s_cbranch_execz .LBB286_157
.LBB286_188:
	v_cmp_ge_u32_e32 vcc, v24, v1
                                        ; implicit-def: $vgpr2_vgpr3
	s_and_saveexec_b64 s[6:7], vcc
	s_xor_b64 s[6:7], exec, s[6:7]
; %bb.189:
	v_xor_b32_e32 v2, 0xfffff8ff, v0
	v_ashrrev_i32_e32 v3, 31, v2
	v_add_co_u32_e32 v2, vcc, v25, v2
	v_addc_co_u32_e32 v3, vcc, v31, v3, vcc
                                        ; implicit-def: $vgpr24
; %bb.190:
	s_andn2_saveexec_b64 s[6:7], s[6:7]
; %bb.191:
	v_add_co_u32_e32 v2, vcc, v17, v24
	v_addc_co_u32_e32 v3, vcc, 0, v4, vcc
; %bb.192:
	s_or_b64 exec, exec, s[6:7]
	v_lshlrev_b64 v[2:3], 2, v[2:3]
	s_waitcnt lgkmcnt(3)
	v_mov_b32_e32 v9, s23
	v_add_co_u32_e32 v2, vcc, s22, v2
	v_addc_co_u32_e32 v3, vcc, v9, v3, vcc
	global_store_dword v[2:3], v10, off
	s_or_b64 exec, exec, s[4:5]
	v_cmp_gt_u32_e32 vcc, s33, v23
	s_and_saveexec_b64 s[4:5], vcc
	s_cbranch_execnz .LBB286_158
.LBB286_193:
	s_or_b64 exec, exec, s[4:5]
	v_cmp_gt_u32_e32 vcc, s33, v22
	s_and_saveexec_b64 s[4:5], vcc
	s_cbranch_execz .LBB286_163
.LBB286_194:
	v_cmp_ge_u32_e32 vcc, v22, v1
                                        ; implicit-def: $vgpr2_vgpr3
	s_and_saveexec_b64 s[6:7], vcc
	s_xor_b64 s[6:7], exec, s[6:7]
; %bb.195:
	v_xor_b32_e32 v2, 0xfffff6ff, v0
	v_ashrrev_i32_e32 v3, 31, v2
	v_add_co_u32_e32 v2, vcc, v25, v2
	v_addc_co_u32_e32 v3, vcc, v31, v3, vcc
                                        ; implicit-def: $vgpr22
; %bb.196:
	s_andn2_saveexec_b64 s[6:7], s[6:7]
; %bb.197:
	v_add_co_u32_e32 v2, vcc, v17, v22
	v_addc_co_u32_e32 v3, vcc, 0, v4, vcc
; %bb.198:
	s_or_b64 exec, exec, s[6:7]
	v_lshlrev_b64 v[2:3], 2, v[2:3]
	s_waitcnt lgkmcnt(2)
	v_mov_b32_e32 v7, s23
	v_add_co_u32_e32 v2, vcc, s22, v2
	v_addc_co_u32_e32 v3, vcc, v7, v3, vcc
	global_store_dword v[2:3], v8, off
	s_or_b64 exec, exec, s[4:5]
	v_cmp_gt_u32_e32 vcc, s33, v21
	s_and_saveexec_b64 s[4:5], vcc
	s_cbranch_execnz .LBB286_164
.LBB286_199:
	s_or_b64 exec, exec, s[4:5]
	v_cmp_gt_u32_e32 vcc, s33, v20
	s_and_saveexec_b64 s[4:5], vcc
	s_cbranch_execz .LBB286_205
.LBB286_200:
	v_cmp_ge_u32_e32 vcc, v20, v1
                                        ; implicit-def: $vgpr2_vgpr3
	s_and_saveexec_b64 s[6:7], vcc
	s_xor_b64 s[6:7], exec, s[6:7]
; %bb.201:
	v_xor_b32_e32 v2, 0xfffff4ff, v0
	v_ashrrev_i32_e32 v3, 31, v2
	v_add_co_u32_e32 v2, vcc, v25, v2
	v_addc_co_u32_e32 v3, vcc, v31, v3, vcc
                                        ; implicit-def: $vgpr20
; %bb.202:
	s_andn2_saveexec_b64 s[6:7], s[6:7]
; %bb.203:
	v_add_co_u32_e32 v2, vcc, v17, v20
	v_addc_co_u32_e32 v3, vcc, 0, v4, vcc
; %bb.204:
	s_or_b64 exec, exec, s[6:7]
	v_lshlrev_b64 v[2:3], 2, v[2:3]
	s_waitcnt lgkmcnt(1)
	v_mov_b32_e32 v5, s23
	v_add_co_u32_e32 v2, vcc, s22, v2
	v_addc_co_u32_e32 v3, vcc, v5, v3, vcc
	global_store_dword v[2:3], v6, off
.LBB286_205:
	s_or_b64 exec, exec, s[4:5]
	v_cmp_gt_u32_e32 vcc, s33, v19
                                        ; implicit-def: $vgpr2_vgpr3
	s_and_saveexec_b64 s[4:5], vcc
	s_cbranch_execz .LBB286_211
; %bb.206:
	v_cmp_ge_u32_e32 vcc, v19, v1
                                        ; implicit-def: $vgpr2_vgpr3
	s_and_saveexec_b64 s[6:7], vcc
	s_xor_b64 s[6:7], exec, s[6:7]
; %bb.207:
	v_xor_b32_e32 v0, 0xfffff3ff, v0
	v_ashrrev_i32_e32 v3, 31, v0
	v_add_co_u32_e32 v2, vcc, v25, v0
	v_addc_co_u32_e32 v3, vcc, v31, v3, vcc
                                        ; implicit-def: $vgpr19
; %bb.208:
	s_andn2_saveexec_b64 s[6:7], s[6:7]
; %bb.209:
	v_add_co_u32_e32 v2, vcc, v17, v19
	v_addc_co_u32_e32 v3, vcc, 0, v4, vcc
; %bb.210:
	s_or_b64 exec, exec, s[6:7]
	s_or_b64 s[2:3], s[2:3], exec
.LBB286_211:
	s_or_b64 exec, exec, s[4:5]
	s_and_saveexec_b64 s[4:5], s[2:3]
	s_cbranch_execnz .LBB286_130
.LBB286_212:
	s_or_b64 exec, exec, s[4:5]
	s_and_b64 s[0:1], s[0:1], s[26:27]
	s_and_saveexec_b64 s[2:3], s[0:1]
	s_cbranch_execz .LBB286_131
.LBB286_213:
	v_add_co_u32_e32 v0, vcc, v17, v1
	v_mov_b32_e32 v2, 0
	v_addc_co_u32_e32 v1, vcc, 0, v4, vcc
	global_store_dwordx2 v2, v[0:1], s[24:25]
	s_endpgm
	.section	.rodata,"a",@progbits
	.p2align	6, 0x0
	.amdhsa_kernel _ZN7rocprim17ROCPRIM_400000_NS6detail17trampoline_kernelINS0_13select_configILj256ELj13ELNS0_17block_load_methodE3ELS4_3ELS4_3ELNS0_20block_scan_algorithmE0ELj4294967295EEENS1_25partition_config_selectorILNS1_17partition_subalgoE3EjNS0_10empty_typeEbEEZZNS1_14partition_implILS8_3ELb0ES6_jNS0_17counting_iteratorIjlEEPS9_SE_NS0_5tupleIJPjSE_EEENSF_IJSE_SE_EEES9_SG_JZNS1_25segmented_radix_sort_implINS0_14default_configELb1EPKaPaPKlPlN2at6native12_GLOBAL__N_18offset_tEEE10hipError_tPvRmT1_PNSt15iterator_traitsISY_E10value_typeET2_T3_PNSZ_IS14_E10value_typeET4_jRbjT5_S1A_jjP12ihipStream_tbEUljE_EEESV_SW_SX_S14_S18_S1A_T6_T7_T9_mT8_S1C_bDpT10_ENKUlT_T0_E_clISt17integral_constantIbLb0EES1O_IbLb1EEEEDaS1K_S1L_EUlS1K_E_NS1_11comp_targetILNS1_3genE2ELNS1_11target_archE906ELNS1_3gpuE6ELNS1_3repE0EEENS1_30default_config_static_selectorELNS0_4arch9wavefront6targetE1EEEvSY_
		.amdhsa_group_segment_fixed_size 13320
		.amdhsa_private_segment_fixed_size 0
		.amdhsa_kernarg_size 152
		.amdhsa_user_sgpr_count 6
		.amdhsa_user_sgpr_private_segment_buffer 1
		.amdhsa_user_sgpr_dispatch_ptr 0
		.amdhsa_user_sgpr_queue_ptr 0
		.amdhsa_user_sgpr_kernarg_segment_ptr 1
		.amdhsa_user_sgpr_dispatch_id 0
		.amdhsa_user_sgpr_flat_scratch_init 0
		.amdhsa_user_sgpr_private_segment_size 0
		.amdhsa_uses_dynamic_stack 0
		.amdhsa_system_sgpr_private_segment_wavefront_offset 0
		.amdhsa_system_sgpr_workgroup_id_x 1
		.amdhsa_system_sgpr_workgroup_id_y 0
		.amdhsa_system_sgpr_workgroup_id_z 0
		.amdhsa_system_sgpr_workgroup_info 0
		.amdhsa_system_vgpr_workitem_id 0
		.amdhsa_next_free_vgpr 71
		.amdhsa_next_free_sgpr 98
		.amdhsa_reserve_vcc 1
		.amdhsa_reserve_flat_scratch 0
		.amdhsa_float_round_mode_32 0
		.amdhsa_float_round_mode_16_64 0
		.amdhsa_float_denorm_mode_32 3
		.amdhsa_float_denorm_mode_16_64 3
		.amdhsa_dx10_clamp 1
		.amdhsa_ieee_mode 1
		.amdhsa_fp16_overflow 0
		.amdhsa_exception_fp_ieee_invalid_op 0
		.amdhsa_exception_fp_denorm_src 0
		.amdhsa_exception_fp_ieee_div_zero 0
		.amdhsa_exception_fp_ieee_overflow 0
		.amdhsa_exception_fp_ieee_underflow 0
		.amdhsa_exception_fp_ieee_inexact 0
		.amdhsa_exception_int_div_zero 0
	.end_amdhsa_kernel
	.section	.text._ZN7rocprim17ROCPRIM_400000_NS6detail17trampoline_kernelINS0_13select_configILj256ELj13ELNS0_17block_load_methodE3ELS4_3ELS4_3ELNS0_20block_scan_algorithmE0ELj4294967295EEENS1_25partition_config_selectorILNS1_17partition_subalgoE3EjNS0_10empty_typeEbEEZZNS1_14partition_implILS8_3ELb0ES6_jNS0_17counting_iteratorIjlEEPS9_SE_NS0_5tupleIJPjSE_EEENSF_IJSE_SE_EEES9_SG_JZNS1_25segmented_radix_sort_implINS0_14default_configELb1EPKaPaPKlPlN2at6native12_GLOBAL__N_18offset_tEEE10hipError_tPvRmT1_PNSt15iterator_traitsISY_E10value_typeET2_T3_PNSZ_IS14_E10value_typeET4_jRbjT5_S1A_jjP12ihipStream_tbEUljE_EEESV_SW_SX_S14_S18_S1A_T6_T7_T9_mT8_S1C_bDpT10_ENKUlT_T0_E_clISt17integral_constantIbLb0EES1O_IbLb1EEEEDaS1K_S1L_EUlS1K_E_NS1_11comp_targetILNS1_3genE2ELNS1_11target_archE906ELNS1_3gpuE6ELNS1_3repE0EEENS1_30default_config_static_selectorELNS0_4arch9wavefront6targetE1EEEvSY_,"axG",@progbits,_ZN7rocprim17ROCPRIM_400000_NS6detail17trampoline_kernelINS0_13select_configILj256ELj13ELNS0_17block_load_methodE3ELS4_3ELS4_3ELNS0_20block_scan_algorithmE0ELj4294967295EEENS1_25partition_config_selectorILNS1_17partition_subalgoE3EjNS0_10empty_typeEbEEZZNS1_14partition_implILS8_3ELb0ES6_jNS0_17counting_iteratorIjlEEPS9_SE_NS0_5tupleIJPjSE_EEENSF_IJSE_SE_EEES9_SG_JZNS1_25segmented_radix_sort_implINS0_14default_configELb1EPKaPaPKlPlN2at6native12_GLOBAL__N_18offset_tEEE10hipError_tPvRmT1_PNSt15iterator_traitsISY_E10value_typeET2_T3_PNSZ_IS14_E10value_typeET4_jRbjT5_S1A_jjP12ihipStream_tbEUljE_EEESV_SW_SX_S14_S18_S1A_T6_T7_T9_mT8_S1C_bDpT10_ENKUlT_T0_E_clISt17integral_constantIbLb0EES1O_IbLb1EEEEDaS1K_S1L_EUlS1K_E_NS1_11comp_targetILNS1_3genE2ELNS1_11target_archE906ELNS1_3gpuE6ELNS1_3repE0EEENS1_30default_config_static_selectorELNS0_4arch9wavefront6targetE1EEEvSY_,comdat
.Lfunc_end286:
	.size	_ZN7rocprim17ROCPRIM_400000_NS6detail17trampoline_kernelINS0_13select_configILj256ELj13ELNS0_17block_load_methodE3ELS4_3ELS4_3ELNS0_20block_scan_algorithmE0ELj4294967295EEENS1_25partition_config_selectorILNS1_17partition_subalgoE3EjNS0_10empty_typeEbEEZZNS1_14partition_implILS8_3ELb0ES6_jNS0_17counting_iteratorIjlEEPS9_SE_NS0_5tupleIJPjSE_EEENSF_IJSE_SE_EEES9_SG_JZNS1_25segmented_radix_sort_implINS0_14default_configELb1EPKaPaPKlPlN2at6native12_GLOBAL__N_18offset_tEEE10hipError_tPvRmT1_PNSt15iterator_traitsISY_E10value_typeET2_T3_PNSZ_IS14_E10value_typeET4_jRbjT5_S1A_jjP12ihipStream_tbEUljE_EEESV_SW_SX_S14_S18_S1A_T6_T7_T9_mT8_S1C_bDpT10_ENKUlT_T0_E_clISt17integral_constantIbLb0EES1O_IbLb1EEEEDaS1K_S1L_EUlS1K_E_NS1_11comp_targetILNS1_3genE2ELNS1_11target_archE906ELNS1_3gpuE6ELNS1_3repE0EEENS1_30default_config_static_selectorELNS0_4arch9wavefront6targetE1EEEvSY_, .Lfunc_end286-_ZN7rocprim17ROCPRIM_400000_NS6detail17trampoline_kernelINS0_13select_configILj256ELj13ELNS0_17block_load_methodE3ELS4_3ELS4_3ELNS0_20block_scan_algorithmE0ELj4294967295EEENS1_25partition_config_selectorILNS1_17partition_subalgoE3EjNS0_10empty_typeEbEEZZNS1_14partition_implILS8_3ELb0ES6_jNS0_17counting_iteratorIjlEEPS9_SE_NS0_5tupleIJPjSE_EEENSF_IJSE_SE_EEES9_SG_JZNS1_25segmented_radix_sort_implINS0_14default_configELb1EPKaPaPKlPlN2at6native12_GLOBAL__N_18offset_tEEE10hipError_tPvRmT1_PNSt15iterator_traitsISY_E10value_typeET2_T3_PNSZ_IS14_E10value_typeET4_jRbjT5_S1A_jjP12ihipStream_tbEUljE_EEESV_SW_SX_S14_S18_S1A_T6_T7_T9_mT8_S1C_bDpT10_ENKUlT_T0_E_clISt17integral_constantIbLb0EES1O_IbLb1EEEEDaS1K_S1L_EUlS1K_E_NS1_11comp_targetILNS1_3genE2ELNS1_11target_archE906ELNS1_3gpuE6ELNS1_3repE0EEENS1_30default_config_static_selectorELNS0_4arch9wavefront6targetE1EEEvSY_
                                        ; -- End function
	.set _ZN7rocprim17ROCPRIM_400000_NS6detail17trampoline_kernelINS0_13select_configILj256ELj13ELNS0_17block_load_methodE3ELS4_3ELS4_3ELNS0_20block_scan_algorithmE0ELj4294967295EEENS1_25partition_config_selectorILNS1_17partition_subalgoE3EjNS0_10empty_typeEbEEZZNS1_14partition_implILS8_3ELb0ES6_jNS0_17counting_iteratorIjlEEPS9_SE_NS0_5tupleIJPjSE_EEENSF_IJSE_SE_EEES9_SG_JZNS1_25segmented_radix_sort_implINS0_14default_configELb1EPKaPaPKlPlN2at6native12_GLOBAL__N_18offset_tEEE10hipError_tPvRmT1_PNSt15iterator_traitsISY_E10value_typeET2_T3_PNSZ_IS14_E10value_typeET4_jRbjT5_S1A_jjP12ihipStream_tbEUljE_EEESV_SW_SX_S14_S18_S1A_T6_T7_T9_mT8_S1C_bDpT10_ENKUlT_T0_E_clISt17integral_constantIbLb0EES1O_IbLb1EEEEDaS1K_S1L_EUlS1K_E_NS1_11comp_targetILNS1_3genE2ELNS1_11target_archE906ELNS1_3gpuE6ELNS1_3repE0EEENS1_30default_config_static_selectorELNS0_4arch9wavefront6targetE1EEEvSY_.num_vgpr, 71
	.set _ZN7rocprim17ROCPRIM_400000_NS6detail17trampoline_kernelINS0_13select_configILj256ELj13ELNS0_17block_load_methodE3ELS4_3ELS4_3ELNS0_20block_scan_algorithmE0ELj4294967295EEENS1_25partition_config_selectorILNS1_17partition_subalgoE3EjNS0_10empty_typeEbEEZZNS1_14partition_implILS8_3ELb0ES6_jNS0_17counting_iteratorIjlEEPS9_SE_NS0_5tupleIJPjSE_EEENSF_IJSE_SE_EEES9_SG_JZNS1_25segmented_radix_sort_implINS0_14default_configELb1EPKaPaPKlPlN2at6native12_GLOBAL__N_18offset_tEEE10hipError_tPvRmT1_PNSt15iterator_traitsISY_E10value_typeET2_T3_PNSZ_IS14_E10value_typeET4_jRbjT5_S1A_jjP12ihipStream_tbEUljE_EEESV_SW_SX_S14_S18_S1A_T6_T7_T9_mT8_S1C_bDpT10_ENKUlT_T0_E_clISt17integral_constantIbLb0EES1O_IbLb1EEEEDaS1K_S1L_EUlS1K_E_NS1_11comp_targetILNS1_3genE2ELNS1_11target_archE906ELNS1_3gpuE6ELNS1_3repE0EEENS1_30default_config_static_selectorELNS0_4arch9wavefront6targetE1EEEvSY_.num_agpr, 0
	.set _ZN7rocprim17ROCPRIM_400000_NS6detail17trampoline_kernelINS0_13select_configILj256ELj13ELNS0_17block_load_methodE3ELS4_3ELS4_3ELNS0_20block_scan_algorithmE0ELj4294967295EEENS1_25partition_config_selectorILNS1_17partition_subalgoE3EjNS0_10empty_typeEbEEZZNS1_14partition_implILS8_3ELb0ES6_jNS0_17counting_iteratorIjlEEPS9_SE_NS0_5tupleIJPjSE_EEENSF_IJSE_SE_EEES9_SG_JZNS1_25segmented_radix_sort_implINS0_14default_configELb1EPKaPaPKlPlN2at6native12_GLOBAL__N_18offset_tEEE10hipError_tPvRmT1_PNSt15iterator_traitsISY_E10value_typeET2_T3_PNSZ_IS14_E10value_typeET4_jRbjT5_S1A_jjP12ihipStream_tbEUljE_EEESV_SW_SX_S14_S18_S1A_T6_T7_T9_mT8_S1C_bDpT10_ENKUlT_T0_E_clISt17integral_constantIbLb0EES1O_IbLb1EEEEDaS1K_S1L_EUlS1K_E_NS1_11comp_targetILNS1_3genE2ELNS1_11target_archE906ELNS1_3gpuE6ELNS1_3repE0EEENS1_30default_config_static_selectorELNS0_4arch9wavefront6targetE1EEEvSY_.numbered_sgpr, 46
	.set _ZN7rocprim17ROCPRIM_400000_NS6detail17trampoline_kernelINS0_13select_configILj256ELj13ELNS0_17block_load_methodE3ELS4_3ELS4_3ELNS0_20block_scan_algorithmE0ELj4294967295EEENS1_25partition_config_selectorILNS1_17partition_subalgoE3EjNS0_10empty_typeEbEEZZNS1_14partition_implILS8_3ELb0ES6_jNS0_17counting_iteratorIjlEEPS9_SE_NS0_5tupleIJPjSE_EEENSF_IJSE_SE_EEES9_SG_JZNS1_25segmented_radix_sort_implINS0_14default_configELb1EPKaPaPKlPlN2at6native12_GLOBAL__N_18offset_tEEE10hipError_tPvRmT1_PNSt15iterator_traitsISY_E10value_typeET2_T3_PNSZ_IS14_E10value_typeET4_jRbjT5_S1A_jjP12ihipStream_tbEUljE_EEESV_SW_SX_S14_S18_S1A_T6_T7_T9_mT8_S1C_bDpT10_ENKUlT_T0_E_clISt17integral_constantIbLb0EES1O_IbLb1EEEEDaS1K_S1L_EUlS1K_E_NS1_11comp_targetILNS1_3genE2ELNS1_11target_archE906ELNS1_3gpuE6ELNS1_3repE0EEENS1_30default_config_static_selectorELNS0_4arch9wavefront6targetE1EEEvSY_.num_named_barrier, 0
	.set _ZN7rocprim17ROCPRIM_400000_NS6detail17trampoline_kernelINS0_13select_configILj256ELj13ELNS0_17block_load_methodE3ELS4_3ELS4_3ELNS0_20block_scan_algorithmE0ELj4294967295EEENS1_25partition_config_selectorILNS1_17partition_subalgoE3EjNS0_10empty_typeEbEEZZNS1_14partition_implILS8_3ELb0ES6_jNS0_17counting_iteratorIjlEEPS9_SE_NS0_5tupleIJPjSE_EEENSF_IJSE_SE_EEES9_SG_JZNS1_25segmented_radix_sort_implINS0_14default_configELb1EPKaPaPKlPlN2at6native12_GLOBAL__N_18offset_tEEE10hipError_tPvRmT1_PNSt15iterator_traitsISY_E10value_typeET2_T3_PNSZ_IS14_E10value_typeET4_jRbjT5_S1A_jjP12ihipStream_tbEUljE_EEESV_SW_SX_S14_S18_S1A_T6_T7_T9_mT8_S1C_bDpT10_ENKUlT_T0_E_clISt17integral_constantIbLb0EES1O_IbLb1EEEEDaS1K_S1L_EUlS1K_E_NS1_11comp_targetILNS1_3genE2ELNS1_11target_archE906ELNS1_3gpuE6ELNS1_3repE0EEENS1_30default_config_static_selectorELNS0_4arch9wavefront6targetE1EEEvSY_.private_seg_size, 0
	.set _ZN7rocprim17ROCPRIM_400000_NS6detail17trampoline_kernelINS0_13select_configILj256ELj13ELNS0_17block_load_methodE3ELS4_3ELS4_3ELNS0_20block_scan_algorithmE0ELj4294967295EEENS1_25partition_config_selectorILNS1_17partition_subalgoE3EjNS0_10empty_typeEbEEZZNS1_14partition_implILS8_3ELb0ES6_jNS0_17counting_iteratorIjlEEPS9_SE_NS0_5tupleIJPjSE_EEENSF_IJSE_SE_EEES9_SG_JZNS1_25segmented_radix_sort_implINS0_14default_configELb1EPKaPaPKlPlN2at6native12_GLOBAL__N_18offset_tEEE10hipError_tPvRmT1_PNSt15iterator_traitsISY_E10value_typeET2_T3_PNSZ_IS14_E10value_typeET4_jRbjT5_S1A_jjP12ihipStream_tbEUljE_EEESV_SW_SX_S14_S18_S1A_T6_T7_T9_mT8_S1C_bDpT10_ENKUlT_T0_E_clISt17integral_constantIbLb0EES1O_IbLb1EEEEDaS1K_S1L_EUlS1K_E_NS1_11comp_targetILNS1_3genE2ELNS1_11target_archE906ELNS1_3gpuE6ELNS1_3repE0EEENS1_30default_config_static_selectorELNS0_4arch9wavefront6targetE1EEEvSY_.uses_vcc, 1
	.set _ZN7rocprim17ROCPRIM_400000_NS6detail17trampoline_kernelINS0_13select_configILj256ELj13ELNS0_17block_load_methodE3ELS4_3ELS4_3ELNS0_20block_scan_algorithmE0ELj4294967295EEENS1_25partition_config_selectorILNS1_17partition_subalgoE3EjNS0_10empty_typeEbEEZZNS1_14partition_implILS8_3ELb0ES6_jNS0_17counting_iteratorIjlEEPS9_SE_NS0_5tupleIJPjSE_EEENSF_IJSE_SE_EEES9_SG_JZNS1_25segmented_radix_sort_implINS0_14default_configELb1EPKaPaPKlPlN2at6native12_GLOBAL__N_18offset_tEEE10hipError_tPvRmT1_PNSt15iterator_traitsISY_E10value_typeET2_T3_PNSZ_IS14_E10value_typeET4_jRbjT5_S1A_jjP12ihipStream_tbEUljE_EEESV_SW_SX_S14_S18_S1A_T6_T7_T9_mT8_S1C_bDpT10_ENKUlT_T0_E_clISt17integral_constantIbLb0EES1O_IbLb1EEEEDaS1K_S1L_EUlS1K_E_NS1_11comp_targetILNS1_3genE2ELNS1_11target_archE906ELNS1_3gpuE6ELNS1_3repE0EEENS1_30default_config_static_selectorELNS0_4arch9wavefront6targetE1EEEvSY_.uses_flat_scratch, 0
	.set _ZN7rocprim17ROCPRIM_400000_NS6detail17trampoline_kernelINS0_13select_configILj256ELj13ELNS0_17block_load_methodE3ELS4_3ELS4_3ELNS0_20block_scan_algorithmE0ELj4294967295EEENS1_25partition_config_selectorILNS1_17partition_subalgoE3EjNS0_10empty_typeEbEEZZNS1_14partition_implILS8_3ELb0ES6_jNS0_17counting_iteratorIjlEEPS9_SE_NS0_5tupleIJPjSE_EEENSF_IJSE_SE_EEES9_SG_JZNS1_25segmented_radix_sort_implINS0_14default_configELb1EPKaPaPKlPlN2at6native12_GLOBAL__N_18offset_tEEE10hipError_tPvRmT1_PNSt15iterator_traitsISY_E10value_typeET2_T3_PNSZ_IS14_E10value_typeET4_jRbjT5_S1A_jjP12ihipStream_tbEUljE_EEESV_SW_SX_S14_S18_S1A_T6_T7_T9_mT8_S1C_bDpT10_ENKUlT_T0_E_clISt17integral_constantIbLb0EES1O_IbLb1EEEEDaS1K_S1L_EUlS1K_E_NS1_11comp_targetILNS1_3genE2ELNS1_11target_archE906ELNS1_3gpuE6ELNS1_3repE0EEENS1_30default_config_static_selectorELNS0_4arch9wavefront6targetE1EEEvSY_.has_dyn_sized_stack, 0
	.set _ZN7rocprim17ROCPRIM_400000_NS6detail17trampoline_kernelINS0_13select_configILj256ELj13ELNS0_17block_load_methodE3ELS4_3ELS4_3ELNS0_20block_scan_algorithmE0ELj4294967295EEENS1_25partition_config_selectorILNS1_17partition_subalgoE3EjNS0_10empty_typeEbEEZZNS1_14partition_implILS8_3ELb0ES6_jNS0_17counting_iteratorIjlEEPS9_SE_NS0_5tupleIJPjSE_EEENSF_IJSE_SE_EEES9_SG_JZNS1_25segmented_radix_sort_implINS0_14default_configELb1EPKaPaPKlPlN2at6native12_GLOBAL__N_18offset_tEEE10hipError_tPvRmT1_PNSt15iterator_traitsISY_E10value_typeET2_T3_PNSZ_IS14_E10value_typeET4_jRbjT5_S1A_jjP12ihipStream_tbEUljE_EEESV_SW_SX_S14_S18_S1A_T6_T7_T9_mT8_S1C_bDpT10_ENKUlT_T0_E_clISt17integral_constantIbLb0EES1O_IbLb1EEEEDaS1K_S1L_EUlS1K_E_NS1_11comp_targetILNS1_3genE2ELNS1_11target_archE906ELNS1_3gpuE6ELNS1_3repE0EEENS1_30default_config_static_selectorELNS0_4arch9wavefront6targetE1EEEvSY_.has_recursion, 0
	.set _ZN7rocprim17ROCPRIM_400000_NS6detail17trampoline_kernelINS0_13select_configILj256ELj13ELNS0_17block_load_methodE3ELS4_3ELS4_3ELNS0_20block_scan_algorithmE0ELj4294967295EEENS1_25partition_config_selectorILNS1_17partition_subalgoE3EjNS0_10empty_typeEbEEZZNS1_14partition_implILS8_3ELb0ES6_jNS0_17counting_iteratorIjlEEPS9_SE_NS0_5tupleIJPjSE_EEENSF_IJSE_SE_EEES9_SG_JZNS1_25segmented_radix_sort_implINS0_14default_configELb1EPKaPaPKlPlN2at6native12_GLOBAL__N_18offset_tEEE10hipError_tPvRmT1_PNSt15iterator_traitsISY_E10value_typeET2_T3_PNSZ_IS14_E10value_typeET4_jRbjT5_S1A_jjP12ihipStream_tbEUljE_EEESV_SW_SX_S14_S18_S1A_T6_T7_T9_mT8_S1C_bDpT10_ENKUlT_T0_E_clISt17integral_constantIbLb0EES1O_IbLb1EEEEDaS1K_S1L_EUlS1K_E_NS1_11comp_targetILNS1_3genE2ELNS1_11target_archE906ELNS1_3gpuE6ELNS1_3repE0EEENS1_30default_config_static_selectorELNS0_4arch9wavefront6targetE1EEEvSY_.has_indirect_call, 0
	.section	.AMDGPU.csdata,"",@progbits
; Kernel info:
; codeLenInByte = 7548
; TotalNumSgprs: 50
; NumVgprs: 71
; ScratchSize: 0
; MemoryBound: 0
; FloatMode: 240
; IeeeMode: 1
; LDSByteSize: 13320 bytes/workgroup (compile time only)
; SGPRBlocks: 12
; VGPRBlocks: 17
; NumSGPRsForWavesPerEU: 102
; NumVGPRsForWavesPerEU: 71
; Occupancy: 3
; WaveLimiterHint : 0
; COMPUTE_PGM_RSRC2:SCRATCH_EN: 0
; COMPUTE_PGM_RSRC2:USER_SGPR: 6
; COMPUTE_PGM_RSRC2:TRAP_HANDLER: 0
; COMPUTE_PGM_RSRC2:TGID_X_EN: 1
; COMPUTE_PGM_RSRC2:TGID_Y_EN: 0
; COMPUTE_PGM_RSRC2:TGID_Z_EN: 0
; COMPUTE_PGM_RSRC2:TIDIG_COMP_CNT: 0
	.section	.text._ZN7rocprim17ROCPRIM_400000_NS6detail17trampoline_kernelINS0_13select_configILj256ELj13ELNS0_17block_load_methodE3ELS4_3ELS4_3ELNS0_20block_scan_algorithmE0ELj4294967295EEENS1_25partition_config_selectorILNS1_17partition_subalgoE3EjNS0_10empty_typeEbEEZZNS1_14partition_implILS8_3ELb0ES6_jNS0_17counting_iteratorIjlEEPS9_SE_NS0_5tupleIJPjSE_EEENSF_IJSE_SE_EEES9_SG_JZNS1_25segmented_radix_sort_implINS0_14default_configELb1EPKaPaPKlPlN2at6native12_GLOBAL__N_18offset_tEEE10hipError_tPvRmT1_PNSt15iterator_traitsISY_E10value_typeET2_T3_PNSZ_IS14_E10value_typeET4_jRbjT5_S1A_jjP12ihipStream_tbEUljE_EEESV_SW_SX_S14_S18_S1A_T6_T7_T9_mT8_S1C_bDpT10_ENKUlT_T0_E_clISt17integral_constantIbLb0EES1O_IbLb1EEEEDaS1K_S1L_EUlS1K_E_NS1_11comp_targetILNS1_3genE10ELNS1_11target_archE1200ELNS1_3gpuE4ELNS1_3repE0EEENS1_30default_config_static_selectorELNS0_4arch9wavefront6targetE1EEEvSY_,"axG",@progbits,_ZN7rocprim17ROCPRIM_400000_NS6detail17trampoline_kernelINS0_13select_configILj256ELj13ELNS0_17block_load_methodE3ELS4_3ELS4_3ELNS0_20block_scan_algorithmE0ELj4294967295EEENS1_25partition_config_selectorILNS1_17partition_subalgoE3EjNS0_10empty_typeEbEEZZNS1_14partition_implILS8_3ELb0ES6_jNS0_17counting_iteratorIjlEEPS9_SE_NS0_5tupleIJPjSE_EEENSF_IJSE_SE_EEES9_SG_JZNS1_25segmented_radix_sort_implINS0_14default_configELb1EPKaPaPKlPlN2at6native12_GLOBAL__N_18offset_tEEE10hipError_tPvRmT1_PNSt15iterator_traitsISY_E10value_typeET2_T3_PNSZ_IS14_E10value_typeET4_jRbjT5_S1A_jjP12ihipStream_tbEUljE_EEESV_SW_SX_S14_S18_S1A_T6_T7_T9_mT8_S1C_bDpT10_ENKUlT_T0_E_clISt17integral_constantIbLb0EES1O_IbLb1EEEEDaS1K_S1L_EUlS1K_E_NS1_11comp_targetILNS1_3genE10ELNS1_11target_archE1200ELNS1_3gpuE4ELNS1_3repE0EEENS1_30default_config_static_selectorELNS0_4arch9wavefront6targetE1EEEvSY_,comdat
	.globl	_ZN7rocprim17ROCPRIM_400000_NS6detail17trampoline_kernelINS0_13select_configILj256ELj13ELNS0_17block_load_methodE3ELS4_3ELS4_3ELNS0_20block_scan_algorithmE0ELj4294967295EEENS1_25partition_config_selectorILNS1_17partition_subalgoE3EjNS0_10empty_typeEbEEZZNS1_14partition_implILS8_3ELb0ES6_jNS0_17counting_iteratorIjlEEPS9_SE_NS0_5tupleIJPjSE_EEENSF_IJSE_SE_EEES9_SG_JZNS1_25segmented_radix_sort_implINS0_14default_configELb1EPKaPaPKlPlN2at6native12_GLOBAL__N_18offset_tEEE10hipError_tPvRmT1_PNSt15iterator_traitsISY_E10value_typeET2_T3_PNSZ_IS14_E10value_typeET4_jRbjT5_S1A_jjP12ihipStream_tbEUljE_EEESV_SW_SX_S14_S18_S1A_T6_T7_T9_mT8_S1C_bDpT10_ENKUlT_T0_E_clISt17integral_constantIbLb0EES1O_IbLb1EEEEDaS1K_S1L_EUlS1K_E_NS1_11comp_targetILNS1_3genE10ELNS1_11target_archE1200ELNS1_3gpuE4ELNS1_3repE0EEENS1_30default_config_static_selectorELNS0_4arch9wavefront6targetE1EEEvSY_ ; -- Begin function _ZN7rocprim17ROCPRIM_400000_NS6detail17trampoline_kernelINS0_13select_configILj256ELj13ELNS0_17block_load_methodE3ELS4_3ELS4_3ELNS0_20block_scan_algorithmE0ELj4294967295EEENS1_25partition_config_selectorILNS1_17partition_subalgoE3EjNS0_10empty_typeEbEEZZNS1_14partition_implILS8_3ELb0ES6_jNS0_17counting_iteratorIjlEEPS9_SE_NS0_5tupleIJPjSE_EEENSF_IJSE_SE_EEES9_SG_JZNS1_25segmented_radix_sort_implINS0_14default_configELb1EPKaPaPKlPlN2at6native12_GLOBAL__N_18offset_tEEE10hipError_tPvRmT1_PNSt15iterator_traitsISY_E10value_typeET2_T3_PNSZ_IS14_E10value_typeET4_jRbjT5_S1A_jjP12ihipStream_tbEUljE_EEESV_SW_SX_S14_S18_S1A_T6_T7_T9_mT8_S1C_bDpT10_ENKUlT_T0_E_clISt17integral_constantIbLb0EES1O_IbLb1EEEEDaS1K_S1L_EUlS1K_E_NS1_11comp_targetILNS1_3genE10ELNS1_11target_archE1200ELNS1_3gpuE4ELNS1_3repE0EEENS1_30default_config_static_selectorELNS0_4arch9wavefront6targetE1EEEvSY_
	.p2align	8
	.type	_ZN7rocprim17ROCPRIM_400000_NS6detail17trampoline_kernelINS0_13select_configILj256ELj13ELNS0_17block_load_methodE3ELS4_3ELS4_3ELNS0_20block_scan_algorithmE0ELj4294967295EEENS1_25partition_config_selectorILNS1_17partition_subalgoE3EjNS0_10empty_typeEbEEZZNS1_14partition_implILS8_3ELb0ES6_jNS0_17counting_iteratorIjlEEPS9_SE_NS0_5tupleIJPjSE_EEENSF_IJSE_SE_EEES9_SG_JZNS1_25segmented_radix_sort_implINS0_14default_configELb1EPKaPaPKlPlN2at6native12_GLOBAL__N_18offset_tEEE10hipError_tPvRmT1_PNSt15iterator_traitsISY_E10value_typeET2_T3_PNSZ_IS14_E10value_typeET4_jRbjT5_S1A_jjP12ihipStream_tbEUljE_EEESV_SW_SX_S14_S18_S1A_T6_T7_T9_mT8_S1C_bDpT10_ENKUlT_T0_E_clISt17integral_constantIbLb0EES1O_IbLb1EEEEDaS1K_S1L_EUlS1K_E_NS1_11comp_targetILNS1_3genE10ELNS1_11target_archE1200ELNS1_3gpuE4ELNS1_3repE0EEENS1_30default_config_static_selectorELNS0_4arch9wavefront6targetE1EEEvSY_,@function
_ZN7rocprim17ROCPRIM_400000_NS6detail17trampoline_kernelINS0_13select_configILj256ELj13ELNS0_17block_load_methodE3ELS4_3ELS4_3ELNS0_20block_scan_algorithmE0ELj4294967295EEENS1_25partition_config_selectorILNS1_17partition_subalgoE3EjNS0_10empty_typeEbEEZZNS1_14partition_implILS8_3ELb0ES6_jNS0_17counting_iteratorIjlEEPS9_SE_NS0_5tupleIJPjSE_EEENSF_IJSE_SE_EEES9_SG_JZNS1_25segmented_radix_sort_implINS0_14default_configELb1EPKaPaPKlPlN2at6native12_GLOBAL__N_18offset_tEEE10hipError_tPvRmT1_PNSt15iterator_traitsISY_E10value_typeET2_T3_PNSZ_IS14_E10value_typeET4_jRbjT5_S1A_jjP12ihipStream_tbEUljE_EEESV_SW_SX_S14_S18_S1A_T6_T7_T9_mT8_S1C_bDpT10_ENKUlT_T0_E_clISt17integral_constantIbLb0EES1O_IbLb1EEEEDaS1K_S1L_EUlS1K_E_NS1_11comp_targetILNS1_3genE10ELNS1_11target_archE1200ELNS1_3gpuE4ELNS1_3repE0EEENS1_30default_config_static_selectorELNS0_4arch9wavefront6targetE1EEEvSY_: ; @_ZN7rocprim17ROCPRIM_400000_NS6detail17trampoline_kernelINS0_13select_configILj256ELj13ELNS0_17block_load_methodE3ELS4_3ELS4_3ELNS0_20block_scan_algorithmE0ELj4294967295EEENS1_25partition_config_selectorILNS1_17partition_subalgoE3EjNS0_10empty_typeEbEEZZNS1_14partition_implILS8_3ELb0ES6_jNS0_17counting_iteratorIjlEEPS9_SE_NS0_5tupleIJPjSE_EEENSF_IJSE_SE_EEES9_SG_JZNS1_25segmented_radix_sort_implINS0_14default_configELb1EPKaPaPKlPlN2at6native12_GLOBAL__N_18offset_tEEE10hipError_tPvRmT1_PNSt15iterator_traitsISY_E10value_typeET2_T3_PNSZ_IS14_E10value_typeET4_jRbjT5_S1A_jjP12ihipStream_tbEUljE_EEESV_SW_SX_S14_S18_S1A_T6_T7_T9_mT8_S1C_bDpT10_ENKUlT_T0_E_clISt17integral_constantIbLb0EES1O_IbLb1EEEEDaS1K_S1L_EUlS1K_E_NS1_11comp_targetILNS1_3genE10ELNS1_11target_archE1200ELNS1_3gpuE4ELNS1_3repE0EEENS1_30default_config_static_selectorELNS0_4arch9wavefront6targetE1EEEvSY_
; %bb.0:
	.section	.rodata,"a",@progbits
	.p2align	6, 0x0
	.amdhsa_kernel _ZN7rocprim17ROCPRIM_400000_NS6detail17trampoline_kernelINS0_13select_configILj256ELj13ELNS0_17block_load_methodE3ELS4_3ELS4_3ELNS0_20block_scan_algorithmE0ELj4294967295EEENS1_25partition_config_selectorILNS1_17partition_subalgoE3EjNS0_10empty_typeEbEEZZNS1_14partition_implILS8_3ELb0ES6_jNS0_17counting_iteratorIjlEEPS9_SE_NS0_5tupleIJPjSE_EEENSF_IJSE_SE_EEES9_SG_JZNS1_25segmented_radix_sort_implINS0_14default_configELb1EPKaPaPKlPlN2at6native12_GLOBAL__N_18offset_tEEE10hipError_tPvRmT1_PNSt15iterator_traitsISY_E10value_typeET2_T3_PNSZ_IS14_E10value_typeET4_jRbjT5_S1A_jjP12ihipStream_tbEUljE_EEESV_SW_SX_S14_S18_S1A_T6_T7_T9_mT8_S1C_bDpT10_ENKUlT_T0_E_clISt17integral_constantIbLb0EES1O_IbLb1EEEEDaS1K_S1L_EUlS1K_E_NS1_11comp_targetILNS1_3genE10ELNS1_11target_archE1200ELNS1_3gpuE4ELNS1_3repE0EEENS1_30default_config_static_selectorELNS0_4arch9wavefront6targetE1EEEvSY_
		.amdhsa_group_segment_fixed_size 0
		.amdhsa_private_segment_fixed_size 0
		.amdhsa_kernarg_size 152
		.amdhsa_user_sgpr_count 6
		.amdhsa_user_sgpr_private_segment_buffer 1
		.amdhsa_user_sgpr_dispatch_ptr 0
		.amdhsa_user_sgpr_queue_ptr 0
		.amdhsa_user_sgpr_kernarg_segment_ptr 1
		.amdhsa_user_sgpr_dispatch_id 0
		.amdhsa_user_sgpr_flat_scratch_init 0
		.amdhsa_user_sgpr_private_segment_size 0
		.amdhsa_uses_dynamic_stack 0
		.amdhsa_system_sgpr_private_segment_wavefront_offset 0
		.amdhsa_system_sgpr_workgroup_id_x 1
		.amdhsa_system_sgpr_workgroup_id_y 0
		.amdhsa_system_sgpr_workgroup_id_z 0
		.amdhsa_system_sgpr_workgroup_info 0
		.amdhsa_system_vgpr_workitem_id 0
		.amdhsa_next_free_vgpr 1
		.amdhsa_next_free_sgpr 0
		.amdhsa_reserve_vcc 0
		.amdhsa_reserve_flat_scratch 0
		.amdhsa_float_round_mode_32 0
		.amdhsa_float_round_mode_16_64 0
		.amdhsa_float_denorm_mode_32 3
		.amdhsa_float_denorm_mode_16_64 3
		.amdhsa_dx10_clamp 1
		.amdhsa_ieee_mode 1
		.amdhsa_fp16_overflow 0
		.amdhsa_exception_fp_ieee_invalid_op 0
		.amdhsa_exception_fp_denorm_src 0
		.amdhsa_exception_fp_ieee_div_zero 0
		.amdhsa_exception_fp_ieee_overflow 0
		.amdhsa_exception_fp_ieee_underflow 0
		.amdhsa_exception_fp_ieee_inexact 0
		.amdhsa_exception_int_div_zero 0
	.end_amdhsa_kernel
	.section	.text._ZN7rocprim17ROCPRIM_400000_NS6detail17trampoline_kernelINS0_13select_configILj256ELj13ELNS0_17block_load_methodE3ELS4_3ELS4_3ELNS0_20block_scan_algorithmE0ELj4294967295EEENS1_25partition_config_selectorILNS1_17partition_subalgoE3EjNS0_10empty_typeEbEEZZNS1_14partition_implILS8_3ELb0ES6_jNS0_17counting_iteratorIjlEEPS9_SE_NS0_5tupleIJPjSE_EEENSF_IJSE_SE_EEES9_SG_JZNS1_25segmented_radix_sort_implINS0_14default_configELb1EPKaPaPKlPlN2at6native12_GLOBAL__N_18offset_tEEE10hipError_tPvRmT1_PNSt15iterator_traitsISY_E10value_typeET2_T3_PNSZ_IS14_E10value_typeET4_jRbjT5_S1A_jjP12ihipStream_tbEUljE_EEESV_SW_SX_S14_S18_S1A_T6_T7_T9_mT8_S1C_bDpT10_ENKUlT_T0_E_clISt17integral_constantIbLb0EES1O_IbLb1EEEEDaS1K_S1L_EUlS1K_E_NS1_11comp_targetILNS1_3genE10ELNS1_11target_archE1200ELNS1_3gpuE4ELNS1_3repE0EEENS1_30default_config_static_selectorELNS0_4arch9wavefront6targetE1EEEvSY_,"axG",@progbits,_ZN7rocprim17ROCPRIM_400000_NS6detail17trampoline_kernelINS0_13select_configILj256ELj13ELNS0_17block_load_methodE3ELS4_3ELS4_3ELNS0_20block_scan_algorithmE0ELj4294967295EEENS1_25partition_config_selectorILNS1_17partition_subalgoE3EjNS0_10empty_typeEbEEZZNS1_14partition_implILS8_3ELb0ES6_jNS0_17counting_iteratorIjlEEPS9_SE_NS0_5tupleIJPjSE_EEENSF_IJSE_SE_EEES9_SG_JZNS1_25segmented_radix_sort_implINS0_14default_configELb1EPKaPaPKlPlN2at6native12_GLOBAL__N_18offset_tEEE10hipError_tPvRmT1_PNSt15iterator_traitsISY_E10value_typeET2_T3_PNSZ_IS14_E10value_typeET4_jRbjT5_S1A_jjP12ihipStream_tbEUljE_EEESV_SW_SX_S14_S18_S1A_T6_T7_T9_mT8_S1C_bDpT10_ENKUlT_T0_E_clISt17integral_constantIbLb0EES1O_IbLb1EEEEDaS1K_S1L_EUlS1K_E_NS1_11comp_targetILNS1_3genE10ELNS1_11target_archE1200ELNS1_3gpuE4ELNS1_3repE0EEENS1_30default_config_static_selectorELNS0_4arch9wavefront6targetE1EEEvSY_,comdat
.Lfunc_end287:
	.size	_ZN7rocprim17ROCPRIM_400000_NS6detail17trampoline_kernelINS0_13select_configILj256ELj13ELNS0_17block_load_methodE3ELS4_3ELS4_3ELNS0_20block_scan_algorithmE0ELj4294967295EEENS1_25partition_config_selectorILNS1_17partition_subalgoE3EjNS0_10empty_typeEbEEZZNS1_14partition_implILS8_3ELb0ES6_jNS0_17counting_iteratorIjlEEPS9_SE_NS0_5tupleIJPjSE_EEENSF_IJSE_SE_EEES9_SG_JZNS1_25segmented_radix_sort_implINS0_14default_configELb1EPKaPaPKlPlN2at6native12_GLOBAL__N_18offset_tEEE10hipError_tPvRmT1_PNSt15iterator_traitsISY_E10value_typeET2_T3_PNSZ_IS14_E10value_typeET4_jRbjT5_S1A_jjP12ihipStream_tbEUljE_EEESV_SW_SX_S14_S18_S1A_T6_T7_T9_mT8_S1C_bDpT10_ENKUlT_T0_E_clISt17integral_constantIbLb0EES1O_IbLb1EEEEDaS1K_S1L_EUlS1K_E_NS1_11comp_targetILNS1_3genE10ELNS1_11target_archE1200ELNS1_3gpuE4ELNS1_3repE0EEENS1_30default_config_static_selectorELNS0_4arch9wavefront6targetE1EEEvSY_, .Lfunc_end287-_ZN7rocprim17ROCPRIM_400000_NS6detail17trampoline_kernelINS0_13select_configILj256ELj13ELNS0_17block_load_methodE3ELS4_3ELS4_3ELNS0_20block_scan_algorithmE0ELj4294967295EEENS1_25partition_config_selectorILNS1_17partition_subalgoE3EjNS0_10empty_typeEbEEZZNS1_14partition_implILS8_3ELb0ES6_jNS0_17counting_iteratorIjlEEPS9_SE_NS0_5tupleIJPjSE_EEENSF_IJSE_SE_EEES9_SG_JZNS1_25segmented_radix_sort_implINS0_14default_configELb1EPKaPaPKlPlN2at6native12_GLOBAL__N_18offset_tEEE10hipError_tPvRmT1_PNSt15iterator_traitsISY_E10value_typeET2_T3_PNSZ_IS14_E10value_typeET4_jRbjT5_S1A_jjP12ihipStream_tbEUljE_EEESV_SW_SX_S14_S18_S1A_T6_T7_T9_mT8_S1C_bDpT10_ENKUlT_T0_E_clISt17integral_constantIbLb0EES1O_IbLb1EEEEDaS1K_S1L_EUlS1K_E_NS1_11comp_targetILNS1_3genE10ELNS1_11target_archE1200ELNS1_3gpuE4ELNS1_3repE0EEENS1_30default_config_static_selectorELNS0_4arch9wavefront6targetE1EEEvSY_
                                        ; -- End function
	.set _ZN7rocprim17ROCPRIM_400000_NS6detail17trampoline_kernelINS0_13select_configILj256ELj13ELNS0_17block_load_methodE3ELS4_3ELS4_3ELNS0_20block_scan_algorithmE0ELj4294967295EEENS1_25partition_config_selectorILNS1_17partition_subalgoE3EjNS0_10empty_typeEbEEZZNS1_14partition_implILS8_3ELb0ES6_jNS0_17counting_iteratorIjlEEPS9_SE_NS0_5tupleIJPjSE_EEENSF_IJSE_SE_EEES9_SG_JZNS1_25segmented_radix_sort_implINS0_14default_configELb1EPKaPaPKlPlN2at6native12_GLOBAL__N_18offset_tEEE10hipError_tPvRmT1_PNSt15iterator_traitsISY_E10value_typeET2_T3_PNSZ_IS14_E10value_typeET4_jRbjT5_S1A_jjP12ihipStream_tbEUljE_EEESV_SW_SX_S14_S18_S1A_T6_T7_T9_mT8_S1C_bDpT10_ENKUlT_T0_E_clISt17integral_constantIbLb0EES1O_IbLb1EEEEDaS1K_S1L_EUlS1K_E_NS1_11comp_targetILNS1_3genE10ELNS1_11target_archE1200ELNS1_3gpuE4ELNS1_3repE0EEENS1_30default_config_static_selectorELNS0_4arch9wavefront6targetE1EEEvSY_.num_vgpr, 0
	.set _ZN7rocprim17ROCPRIM_400000_NS6detail17trampoline_kernelINS0_13select_configILj256ELj13ELNS0_17block_load_methodE3ELS4_3ELS4_3ELNS0_20block_scan_algorithmE0ELj4294967295EEENS1_25partition_config_selectorILNS1_17partition_subalgoE3EjNS0_10empty_typeEbEEZZNS1_14partition_implILS8_3ELb0ES6_jNS0_17counting_iteratorIjlEEPS9_SE_NS0_5tupleIJPjSE_EEENSF_IJSE_SE_EEES9_SG_JZNS1_25segmented_radix_sort_implINS0_14default_configELb1EPKaPaPKlPlN2at6native12_GLOBAL__N_18offset_tEEE10hipError_tPvRmT1_PNSt15iterator_traitsISY_E10value_typeET2_T3_PNSZ_IS14_E10value_typeET4_jRbjT5_S1A_jjP12ihipStream_tbEUljE_EEESV_SW_SX_S14_S18_S1A_T6_T7_T9_mT8_S1C_bDpT10_ENKUlT_T0_E_clISt17integral_constantIbLb0EES1O_IbLb1EEEEDaS1K_S1L_EUlS1K_E_NS1_11comp_targetILNS1_3genE10ELNS1_11target_archE1200ELNS1_3gpuE4ELNS1_3repE0EEENS1_30default_config_static_selectorELNS0_4arch9wavefront6targetE1EEEvSY_.num_agpr, 0
	.set _ZN7rocprim17ROCPRIM_400000_NS6detail17trampoline_kernelINS0_13select_configILj256ELj13ELNS0_17block_load_methodE3ELS4_3ELS4_3ELNS0_20block_scan_algorithmE0ELj4294967295EEENS1_25partition_config_selectorILNS1_17partition_subalgoE3EjNS0_10empty_typeEbEEZZNS1_14partition_implILS8_3ELb0ES6_jNS0_17counting_iteratorIjlEEPS9_SE_NS0_5tupleIJPjSE_EEENSF_IJSE_SE_EEES9_SG_JZNS1_25segmented_radix_sort_implINS0_14default_configELb1EPKaPaPKlPlN2at6native12_GLOBAL__N_18offset_tEEE10hipError_tPvRmT1_PNSt15iterator_traitsISY_E10value_typeET2_T3_PNSZ_IS14_E10value_typeET4_jRbjT5_S1A_jjP12ihipStream_tbEUljE_EEESV_SW_SX_S14_S18_S1A_T6_T7_T9_mT8_S1C_bDpT10_ENKUlT_T0_E_clISt17integral_constantIbLb0EES1O_IbLb1EEEEDaS1K_S1L_EUlS1K_E_NS1_11comp_targetILNS1_3genE10ELNS1_11target_archE1200ELNS1_3gpuE4ELNS1_3repE0EEENS1_30default_config_static_selectorELNS0_4arch9wavefront6targetE1EEEvSY_.numbered_sgpr, 0
	.set _ZN7rocprim17ROCPRIM_400000_NS6detail17trampoline_kernelINS0_13select_configILj256ELj13ELNS0_17block_load_methodE3ELS4_3ELS4_3ELNS0_20block_scan_algorithmE0ELj4294967295EEENS1_25partition_config_selectorILNS1_17partition_subalgoE3EjNS0_10empty_typeEbEEZZNS1_14partition_implILS8_3ELb0ES6_jNS0_17counting_iteratorIjlEEPS9_SE_NS0_5tupleIJPjSE_EEENSF_IJSE_SE_EEES9_SG_JZNS1_25segmented_radix_sort_implINS0_14default_configELb1EPKaPaPKlPlN2at6native12_GLOBAL__N_18offset_tEEE10hipError_tPvRmT1_PNSt15iterator_traitsISY_E10value_typeET2_T3_PNSZ_IS14_E10value_typeET4_jRbjT5_S1A_jjP12ihipStream_tbEUljE_EEESV_SW_SX_S14_S18_S1A_T6_T7_T9_mT8_S1C_bDpT10_ENKUlT_T0_E_clISt17integral_constantIbLb0EES1O_IbLb1EEEEDaS1K_S1L_EUlS1K_E_NS1_11comp_targetILNS1_3genE10ELNS1_11target_archE1200ELNS1_3gpuE4ELNS1_3repE0EEENS1_30default_config_static_selectorELNS0_4arch9wavefront6targetE1EEEvSY_.num_named_barrier, 0
	.set _ZN7rocprim17ROCPRIM_400000_NS6detail17trampoline_kernelINS0_13select_configILj256ELj13ELNS0_17block_load_methodE3ELS4_3ELS4_3ELNS0_20block_scan_algorithmE0ELj4294967295EEENS1_25partition_config_selectorILNS1_17partition_subalgoE3EjNS0_10empty_typeEbEEZZNS1_14partition_implILS8_3ELb0ES6_jNS0_17counting_iteratorIjlEEPS9_SE_NS0_5tupleIJPjSE_EEENSF_IJSE_SE_EEES9_SG_JZNS1_25segmented_radix_sort_implINS0_14default_configELb1EPKaPaPKlPlN2at6native12_GLOBAL__N_18offset_tEEE10hipError_tPvRmT1_PNSt15iterator_traitsISY_E10value_typeET2_T3_PNSZ_IS14_E10value_typeET4_jRbjT5_S1A_jjP12ihipStream_tbEUljE_EEESV_SW_SX_S14_S18_S1A_T6_T7_T9_mT8_S1C_bDpT10_ENKUlT_T0_E_clISt17integral_constantIbLb0EES1O_IbLb1EEEEDaS1K_S1L_EUlS1K_E_NS1_11comp_targetILNS1_3genE10ELNS1_11target_archE1200ELNS1_3gpuE4ELNS1_3repE0EEENS1_30default_config_static_selectorELNS0_4arch9wavefront6targetE1EEEvSY_.private_seg_size, 0
	.set _ZN7rocprim17ROCPRIM_400000_NS6detail17trampoline_kernelINS0_13select_configILj256ELj13ELNS0_17block_load_methodE3ELS4_3ELS4_3ELNS0_20block_scan_algorithmE0ELj4294967295EEENS1_25partition_config_selectorILNS1_17partition_subalgoE3EjNS0_10empty_typeEbEEZZNS1_14partition_implILS8_3ELb0ES6_jNS0_17counting_iteratorIjlEEPS9_SE_NS0_5tupleIJPjSE_EEENSF_IJSE_SE_EEES9_SG_JZNS1_25segmented_radix_sort_implINS0_14default_configELb1EPKaPaPKlPlN2at6native12_GLOBAL__N_18offset_tEEE10hipError_tPvRmT1_PNSt15iterator_traitsISY_E10value_typeET2_T3_PNSZ_IS14_E10value_typeET4_jRbjT5_S1A_jjP12ihipStream_tbEUljE_EEESV_SW_SX_S14_S18_S1A_T6_T7_T9_mT8_S1C_bDpT10_ENKUlT_T0_E_clISt17integral_constantIbLb0EES1O_IbLb1EEEEDaS1K_S1L_EUlS1K_E_NS1_11comp_targetILNS1_3genE10ELNS1_11target_archE1200ELNS1_3gpuE4ELNS1_3repE0EEENS1_30default_config_static_selectorELNS0_4arch9wavefront6targetE1EEEvSY_.uses_vcc, 0
	.set _ZN7rocprim17ROCPRIM_400000_NS6detail17trampoline_kernelINS0_13select_configILj256ELj13ELNS0_17block_load_methodE3ELS4_3ELS4_3ELNS0_20block_scan_algorithmE0ELj4294967295EEENS1_25partition_config_selectorILNS1_17partition_subalgoE3EjNS0_10empty_typeEbEEZZNS1_14partition_implILS8_3ELb0ES6_jNS0_17counting_iteratorIjlEEPS9_SE_NS0_5tupleIJPjSE_EEENSF_IJSE_SE_EEES9_SG_JZNS1_25segmented_radix_sort_implINS0_14default_configELb1EPKaPaPKlPlN2at6native12_GLOBAL__N_18offset_tEEE10hipError_tPvRmT1_PNSt15iterator_traitsISY_E10value_typeET2_T3_PNSZ_IS14_E10value_typeET4_jRbjT5_S1A_jjP12ihipStream_tbEUljE_EEESV_SW_SX_S14_S18_S1A_T6_T7_T9_mT8_S1C_bDpT10_ENKUlT_T0_E_clISt17integral_constantIbLb0EES1O_IbLb1EEEEDaS1K_S1L_EUlS1K_E_NS1_11comp_targetILNS1_3genE10ELNS1_11target_archE1200ELNS1_3gpuE4ELNS1_3repE0EEENS1_30default_config_static_selectorELNS0_4arch9wavefront6targetE1EEEvSY_.uses_flat_scratch, 0
	.set _ZN7rocprim17ROCPRIM_400000_NS6detail17trampoline_kernelINS0_13select_configILj256ELj13ELNS0_17block_load_methodE3ELS4_3ELS4_3ELNS0_20block_scan_algorithmE0ELj4294967295EEENS1_25partition_config_selectorILNS1_17partition_subalgoE3EjNS0_10empty_typeEbEEZZNS1_14partition_implILS8_3ELb0ES6_jNS0_17counting_iteratorIjlEEPS9_SE_NS0_5tupleIJPjSE_EEENSF_IJSE_SE_EEES9_SG_JZNS1_25segmented_radix_sort_implINS0_14default_configELb1EPKaPaPKlPlN2at6native12_GLOBAL__N_18offset_tEEE10hipError_tPvRmT1_PNSt15iterator_traitsISY_E10value_typeET2_T3_PNSZ_IS14_E10value_typeET4_jRbjT5_S1A_jjP12ihipStream_tbEUljE_EEESV_SW_SX_S14_S18_S1A_T6_T7_T9_mT8_S1C_bDpT10_ENKUlT_T0_E_clISt17integral_constantIbLb0EES1O_IbLb1EEEEDaS1K_S1L_EUlS1K_E_NS1_11comp_targetILNS1_3genE10ELNS1_11target_archE1200ELNS1_3gpuE4ELNS1_3repE0EEENS1_30default_config_static_selectorELNS0_4arch9wavefront6targetE1EEEvSY_.has_dyn_sized_stack, 0
	.set _ZN7rocprim17ROCPRIM_400000_NS6detail17trampoline_kernelINS0_13select_configILj256ELj13ELNS0_17block_load_methodE3ELS4_3ELS4_3ELNS0_20block_scan_algorithmE0ELj4294967295EEENS1_25partition_config_selectorILNS1_17partition_subalgoE3EjNS0_10empty_typeEbEEZZNS1_14partition_implILS8_3ELb0ES6_jNS0_17counting_iteratorIjlEEPS9_SE_NS0_5tupleIJPjSE_EEENSF_IJSE_SE_EEES9_SG_JZNS1_25segmented_radix_sort_implINS0_14default_configELb1EPKaPaPKlPlN2at6native12_GLOBAL__N_18offset_tEEE10hipError_tPvRmT1_PNSt15iterator_traitsISY_E10value_typeET2_T3_PNSZ_IS14_E10value_typeET4_jRbjT5_S1A_jjP12ihipStream_tbEUljE_EEESV_SW_SX_S14_S18_S1A_T6_T7_T9_mT8_S1C_bDpT10_ENKUlT_T0_E_clISt17integral_constantIbLb0EES1O_IbLb1EEEEDaS1K_S1L_EUlS1K_E_NS1_11comp_targetILNS1_3genE10ELNS1_11target_archE1200ELNS1_3gpuE4ELNS1_3repE0EEENS1_30default_config_static_selectorELNS0_4arch9wavefront6targetE1EEEvSY_.has_recursion, 0
	.set _ZN7rocprim17ROCPRIM_400000_NS6detail17trampoline_kernelINS0_13select_configILj256ELj13ELNS0_17block_load_methodE3ELS4_3ELS4_3ELNS0_20block_scan_algorithmE0ELj4294967295EEENS1_25partition_config_selectorILNS1_17partition_subalgoE3EjNS0_10empty_typeEbEEZZNS1_14partition_implILS8_3ELb0ES6_jNS0_17counting_iteratorIjlEEPS9_SE_NS0_5tupleIJPjSE_EEENSF_IJSE_SE_EEES9_SG_JZNS1_25segmented_radix_sort_implINS0_14default_configELb1EPKaPaPKlPlN2at6native12_GLOBAL__N_18offset_tEEE10hipError_tPvRmT1_PNSt15iterator_traitsISY_E10value_typeET2_T3_PNSZ_IS14_E10value_typeET4_jRbjT5_S1A_jjP12ihipStream_tbEUljE_EEESV_SW_SX_S14_S18_S1A_T6_T7_T9_mT8_S1C_bDpT10_ENKUlT_T0_E_clISt17integral_constantIbLb0EES1O_IbLb1EEEEDaS1K_S1L_EUlS1K_E_NS1_11comp_targetILNS1_3genE10ELNS1_11target_archE1200ELNS1_3gpuE4ELNS1_3repE0EEENS1_30default_config_static_selectorELNS0_4arch9wavefront6targetE1EEEvSY_.has_indirect_call, 0
	.section	.AMDGPU.csdata,"",@progbits
; Kernel info:
; codeLenInByte = 0
; TotalNumSgprs: 4
; NumVgprs: 0
; ScratchSize: 0
; MemoryBound: 0
; FloatMode: 240
; IeeeMode: 1
; LDSByteSize: 0 bytes/workgroup (compile time only)
; SGPRBlocks: 0
; VGPRBlocks: 0
; NumSGPRsForWavesPerEU: 4
; NumVGPRsForWavesPerEU: 1
; Occupancy: 10
; WaveLimiterHint : 0
; COMPUTE_PGM_RSRC2:SCRATCH_EN: 0
; COMPUTE_PGM_RSRC2:USER_SGPR: 6
; COMPUTE_PGM_RSRC2:TRAP_HANDLER: 0
; COMPUTE_PGM_RSRC2:TGID_X_EN: 1
; COMPUTE_PGM_RSRC2:TGID_Y_EN: 0
; COMPUTE_PGM_RSRC2:TGID_Z_EN: 0
; COMPUTE_PGM_RSRC2:TIDIG_COMP_CNT: 0
	.section	.text._ZN7rocprim17ROCPRIM_400000_NS6detail17trampoline_kernelINS0_13select_configILj256ELj13ELNS0_17block_load_methodE3ELS4_3ELS4_3ELNS0_20block_scan_algorithmE0ELj4294967295EEENS1_25partition_config_selectorILNS1_17partition_subalgoE3EjNS0_10empty_typeEbEEZZNS1_14partition_implILS8_3ELb0ES6_jNS0_17counting_iteratorIjlEEPS9_SE_NS0_5tupleIJPjSE_EEENSF_IJSE_SE_EEES9_SG_JZNS1_25segmented_radix_sort_implINS0_14default_configELb1EPKaPaPKlPlN2at6native12_GLOBAL__N_18offset_tEEE10hipError_tPvRmT1_PNSt15iterator_traitsISY_E10value_typeET2_T3_PNSZ_IS14_E10value_typeET4_jRbjT5_S1A_jjP12ihipStream_tbEUljE_EEESV_SW_SX_S14_S18_S1A_T6_T7_T9_mT8_S1C_bDpT10_ENKUlT_T0_E_clISt17integral_constantIbLb0EES1O_IbLb1EEEEDaS1K_S1L_EUlS1K_E_NS1_11comp_targetILNS1_3genE9ELNS1_11target_archE1100ELNS1_3gpuE3ELNS1_3repE0EEENS1_30default_config_static_selectorELNS0_4arch9wavefront6targetE1EEEvSY_,"axG",@progbits,_ZN7rocprim17ROCPRIM_400000_NS6detail17trampoline_kernelINS0_13select_configILj256ELj13ELNS0_17block_load_methodE3ELS4_3ELS4_3ELNS0_20block_scan_algorithmE0ELj4294967295EEENS1_25partition_config_selectorILNS1_17partition_subalgoE3EjNS0_10empty_typeEbEEZZNS1_14partition_implILS8_3ELb0ES6_jNS0_17counting_iteratorIjlEEPS9_SE_NS0_5tupleIJPjSE_EEENSF_IJSE_SE_EEES9_SG_JZNS1_25segmented_radix_sort_implINS0_14default_configELb1EPKaPaPKlPlN2at6native12_GLOBAL__N_18offset_tEEE10hipError_tPvRmT1_PNSt15iterator_traitsISY_E10value_typeET2_T3_PNSZ_IS14_E10value_typeET4_jRbjT5_S1A_jjP12ihipStream_tbEUljE_EEESV_SW_SX_S14_S18_S1A_T6_T7_T9_mT8_S1C_bDpT10_ENKUlT_T0_E_clISt17integral_constantIbLb0EES1O_IbLb1EEEEDaS1K_S1L_EUlS1K_E_NS1_11comp_targetILNS1_3genE9ELNS1_11target_archE1100ELNS1_3gpuE3ELNS1_3repE0EEENS1_30default_config_static_selectorELNS0_4arch9wavefront6targetE1EEEvSY_,comdat
	.globl	_ZN7rocprim17ROCPRIM_400000_NS6detail17trampoline_kernelINS0_13select_configILj256ELj13ELNS0_17block_load_methodE3ELS4_3ELS4_3ELNS0_20block_scan_algorithmE0ELj4294967295EEENS1_25partition_config_selectorILNS1_17partition_subalgoE3EjNS0_10empty_typeEbEEZZNS1_14partition_implILS8_3ELb0ES6_jNS0_17counting_iteratorIjlEEPS9_SE_NS0_5tupleIJPjSE_EEENSF_IJSE_SE_EEES9_SG_JZNS1_25segmented_radix_sort_implINS0_14default_configELb1EPKaPaPKlPlN2at6native12_GLOBAL__N_18offset_tEEE10hipError_tPvRmT1_PNSt15iterator_traitsISY_E10value_typeET2_T3_PNSZ_IS14_E10value_typeET4_jRbjT5_S1A_jjP12ihipStream_tbEUljE_EEESV_SW_SX_S14_S18_S1A_T6_T7_T9_mT8_S1C_bDpT10_ENKUlT_T0_E_clISt17integral_constantIbLb0EES1O_IbLb1EEEEDaS1K_S1L_EUlS1K_E_NS1_11comp_targetILNS1_3genE9ELNS1_11target_archE1100ELNS1_3gpuE3ELNS1_3repE0EEENS1_30default_config_static_selectorELNS0_4arch9wavefront6targetE1EEEvSY_ ; -- Begin function _ZN7rocprim17ROCPRIM_400000_NS6detail17trampoline_kernelINS0_13select_configILj256ELj13ELNS0_17block_load_methodE3ELS4_3ELS4_3ELNS0_20block_scan_algorithmE0ELj4294967295EEENS1_25partition_config_selectorILNS1_17partition_subalgoE3EjNS0_10empty_typeEbEEZZNS1_14partition_implILS8_3ELb0ES6_jNS0_17counting_iteratorIjlEEPS9_SE_NS0_5tupleIJPjSE_EEENSF_IJSE_SE_EEES9_SG_JZNS1_25segmented_radix_sort_implINS0_14default_configELb1EPKaPaPKlPlN2at6native12_GLOBAL__N_18offset_tEEE10hipError_tPvRmT1_PNSt15iterator_traitsISY_E10value_typeET2_T3_PNSZ_IS14_E10value_typeET4_jRbjT5_S1A_jjP12ihipStream_tbEUljE_EEESV_SW_SX_S14_S18_S1A_T6_T7_T9_mT8_S1C_bDpT10_ENKUlT_T0_E_clISt17integral_constantIbLb0EES1O_IbLb1EEEEDaS1K_S1L_EUlS1K_E_NS1_11comp_targetILNS1_3genE9ELNS1_11target_archE1100ELNS1_3gpuE3ELNS1_3repE0EEENS1_30default_config_static_selectorELNS0_4arch9wavefront6targetE1EEEvSY_
	.p2align	8
	.type	_ZN7rocprim17ROCPRIM_400000_NS6detail17trampoline_kernelINS0_13select_configILj256ELj13ELNS0_17block_load_methodE3ELS4_3ELS4_3ELNS0_20block_scan_algorithmE0ELj4294967295EEENS1_25partition_config_selectorILNS1_17partition_subalgoE3EjNS0_10empty_typeEbEEZZNS1_14partition_implILS8_3ELb0ES6_jNS0_17counting_iteratorIjlEEPS9_SE_NS0_5tupleIJPjSE_EEENSF_IJSE_SE_EEES9_SG_JZNS1_25segmented_radix_sort_implINS0_14default_configELb1EPKaPaPKlPlN2at6native12_GLOBAL__N_18offset_tEEE10hipError_tPvRmT1_PNSt15iterator_traitsISY_E10value_typeET2_T3_PNSZ_IS14_E10value_typeET4_jRbjT5_S1A_jjP12ihipStream_tbEUljE_EEESV_SW_SX_S14_S18_S1A_T6_T7_T9_mT8_S1C_bDpT10_ENKUlT_T0_E_clISt17integral_constantIbLb0EES1O_IbLb1EEEEDaS1K_S1L_EUlS1K_E_NS1_11comp_targetILNS1_3genE9ELNS1_11target_archE1100ELNS1_3gpuE3ELNS1_3repE0EEENS1_30default_config_static_selectorELNS0_4arch9wavefront6targetE1EEEvSY_,@function
_ZN7rocprim17ROCPRIM_400000_NS6detail17trampoline_kernelINS0_13select_configILj256ELj13ELNS0_17block_load_methodE3ELS4_3ELS4_3ELNS0_20block_scan_algorithmE0ELj4294967295EEENS1_25partition_config_selectorILNS1_17partition_subalgoE3EjNS0_10empty_typeEbEEZZNS1_14partition_implILS8_3ELb0ES6_jNS0_17counting_iteratorIjlEEPS9_SE_NS0_5tupleIJPjSE_EEENSF_IJSE_SE_EEES9_SG_JZNS1_25segmented_radix_sort_implINS0_14default_configELb1EPKaPaPKlPlN2at6native12_GLOBAL__N_18offset_tEEE10hipError_tPvRmT1_PNSt15iterator_traitsISY_E10value_typeET2_T3_PNSZ_IS14_E10value_typeET4_jRbjT5_S1A_jjP12ihipStream_tbEUljE_EEESV_SW_SX_S14_S18_S1A_T6_T7_T9_mT8_S1C_bDpT10_ENKUlT_T0_E_clISt17integral_constantIbLb0EES1O_IbLb1EEEEDaS1K_S1L_EUlS1K_E_NS1_11comp_targetILNS1_3genE9ELNS1_11target_archE1100ELNS1_3gpuE3ELNS1_3repE0EEENS1_30default_config_static_selectorELNS0_4arch9wavefront6targetE1EEEvSY_: ; @_ZN7rocprim17ROCPRIM_400000_NS6detail17trampoline_kernelINS0_13select_configILj256ELj13ELNS0_17block_load_methodE3ELS4_3ELS4_3ELNS0_20block_scan_algorithmE0ELj4294967295EEENS1_25partition_config_selectorILNS1_17partition_subalgoE3EjNS0_10empty_typeEbEEZZNS1_14partition_implILS8_3ELb0ES6_jNS0_17counting_iteratorIjlEEPS9_SE_NS0_5tupleIJPjSE_EEENSF_IJSE_SE_EEES9_SG_JZNS1_25segmented_radix_sort_implINS0_14default_configELb1EPKaPaPKlPlN2at6native12_GLOBAL__N_18offset_tEEE10hipError_tPvRmT1_PNSt15iterator_traitsISY_E10value_typeET2_T3_PNSZ_IS14_E10value_typeET4_jRbjT5_S1A_jjP12ihipStream_tbEUljE_EEESV_SW_SX_S14_S18_S1A_T6_T7_T9_mT8_S1C_bDpT10_ENKUlT_T0_E_clISt17integral_constantIbLb0EES1O_IbLb1EEEEDaS1K_S1L_EUlS1K_E_NS1_11comp_targetILNS1_3genE9ELNS1_11target_archE1100ELNS1_3gpuE3ELNS1_3repE0EEENS1_30default_config_static_selectorELNS0_4arch9wavefront6targetE1EEEvSY_
; %bb.0:
	.section	.rodata,"a",@progbits
	.p2align	6, 0x0
	.amdhsa_kernel _ZN7rocprim17ROCPRIM_400000_NS6detail17trampoline_kernelINS0_13select_configILj256ELj13ELNS0_17block_load_methodE3ELS4_3ELS4_3ELNS0_20block_scan_algorithmE0ELj4294967295EEENS1_25partition_config_selectorILNS1_17partition_subalgoE3EjNS0_10empty_typeEbEEZZNS1_14partition_implILS8_3ELb0ES6_jNS0_17counting_iteratorIjlEEPS9_SE_NS0_5tupleIJPjSE_EEENSF_IJSE_SE_EEES9_SG_JZNS1_25segmented_radix_sort_implINS0_14default_configELb1EPKaPaPKlPlN2at6native12_GLOBAL__N_18offset_tEEE10hipError_tPvRmT1_PNSt15iterator_traitsISY_E10value_typeET2_T3_PNSZ_IS14_E10value_typeET4_jRbjT5_S1A_jjP12ihipStream_tbEUljE_EEESV_SW_SX_S14_S18_S1A_T6_T7_T9_mT8_S1C_bDpT10_ENKUlT_T0_E_clISt17integral_constantIbLb0EES1O_IbLb1EEEEDaS1K_S1L_EUlS1K_E_NS1_11comp_targetILNS1_3genE9ELNS1_11target_archE1100ELNS1_3gpuE3ELNS1_3repE0EEENS1_30default_config_static_selectorELNS0_4arch9wavefront6targetE1EEEvSY_
		.amdhsa_group_segment_fixed_size 0
		.amdhsa_private_segment_fixed_size 0
		.amdhsa_kernarg_size 152
		.amdhsa_user_sgpr_count 6
		.amdhsa_user_sgpr_private_segment_buffer 1
		.amdhsa_user_sgpr_dispatch_ptr 0
		.amdhsa_user_sgpr_queue_ptr 0
		.amdhsa_user_sgpr_kernarg_segment_ptr 1
		.amdhsa_user_sgpr_dispatch_id 0
		.amdhsa_user_sgpr_flat_scratch_init 0
		.amdhsa_user_sgpr_private_segment_size 0
		.amdhsa_uses_dynamic_stack 0
		.amdhsa_system_sgpr_private_segment_wavefront_offset 0
		.amdhsa_system_sgpr_workgroup_id_x 1
		.amdhsa_system_sgpr_workgroup_id_y 0
		.amdhsa_system_sgpr_workgroup_id_z 0
		.amdhsa_system_sgpr_workgroup_info 0
		.amdhsa_system_vgpr_workitem_id 0
		.amdhsa_next_free_vgpr 1
		.amdhsa_next_free_sgpr 0
		.amdhsa_reserve_vcc 0
		.amdhsa_reserve_flat_scratch 0
		.amdhsa_float_round_mode_32 0
		.amdhsa_float_round_mode_16_64 0
		.amdhsa_float_denorm_mode_32 3
		.amdhsa_float_denorm_mode_16_64 3
		.amdhsa_dx10_clamp 1
		.amdhsa_ieee_mode 1
		.amdhsa_fp16_overflow 0
		.amdhsa_exception_fp_ieee_invalid_op 0
		.amdhsa_exception_fp_denorm_src 0
		.amdhsa_exception_fp_ieee_div_zero 0
		.amdhsa_exception_fp_ieee_overflow 0
		.amdhsa_exception_fp_ieee_underflow 0
		.amdhsa_exception_fp_ieee_inexact 0
		.amdhsa_exception_int_div_zero 0
	.end_amdhsa_kernel
	.section	.text._ZN7rocprim17ROCPRIM_400000_NS6detail17trampoline_kernelINS0_13select_configILj256ELj13ELNS0_17block_load_methodE3ELS4_3ELS4_3ELNS0_20block_scan_algorithmE0ELj4294967295EEENS1_25partition_config_selectorILNS1_17partition_subalgoE3EjNS0_10empty_typeEbEEZZNS1_14partition_implILS8_3ELb0ES6_jNS0_17counting_iteratorIjlEEPS9_SE_NS0_5tupleIJPjSE_EEENSF_IJSE_SE_EEES9_SG_JZNS1_25segmented_radix_sort_implINS0_14default_configELb1EPKaPaPKlPlN2at6native12_GLOBAL__N_18offset_tEEE10hipError_tPvRmT1_PNSt15iterator_traitsISY_E10value_typeET2_T3_PNSZ_IS14_E10value_typeET4_jRbjT5_S1A_jjP12ihipStream_tbEUljE_EEESV_SW_SX_S14_S18_S1A_T6_T7_T9_mT8_S1C_bDpT10_ENKUlT_T0_E_clISt17integral_constantIbLb0EES1O_IbLb1EEEEDaS1K_S1L_EUlS1K_E_NS1_11comp_targetILNS1_3genE9ELNS1_11target_archE1100ELNS1_3gpuE3ELNS1_3repE0EEENS1_30default_config_static_selectorELNS0_4arch9wavefront6targetE1EEEvSY_,"axG",@progbits,_ZN7rocprim17ROCPRIM_400000_NS6detail17trampoline_kernelINS0_13select_configILj256ELj13ELNS0_17block_load_methodE3ELS4_3ELS4_3ELNS0_20block_scan_algorithmE0ELj4294967295EEENS1_25partition_config_selectorILNS1_17partition_subalgoE3EjNS0_10empty_typeEbEEZZNS1_14partition_implILS8_3ELb0ES6_jNS0_17counting_iteratorIjlEEPS9_SE_NS0_5tupleIJPjSE_EEENSF_IJSE_SE_EEES9_SG_JZNS1_25segmented_radix_sort_implINS0_14default_configELb1EPKaPaPKlPlN2at6native12_GLOBAL__N_18offset_tEEE10hipError_tPvRmT1_PNSt15iterator_traitsISY_E10value_typeET2_T3_PNSZ_IS14_E10value_typeET4_jRbjT5_S1A_jjP12ihipStream_tbEUljE_EEESV_SW_SX_S14_S18_S1A_T6_T7_T9_mT8_S1C_bDpT10_ENKUlT_T0_E_clISt17integral_constantIbLb0EES1O_IbLb1EEEEDaS1K_S1L_EUlS1K_E_NS1_11comp_targetILNS1_3genE9ELNS1_11target_archE1100ELNS1_3gpuE3ELNS1_3repE0EEENS1_30default_config_static_selectorELNS0_4arch9wavefront6targetE1EEEvSY_,comdat
.Lfunc_end288:
	.size	_ZN7rocprim17ROCPRIM_400000_NS6detail17trampoline_kernelINS0_13select_configILj256ELj13ELNS0_17block_load_methodE3ELS4_3ELS4_3ELNS0_20block_scan_algorithmE0ELj4294967295EEENS1_25partition_config_selectorILNS1_17partition_subalgoE3EjNS0_10empty_typeEbEEZZNS1_14partition_implILS8_3ELb0ES6_jNS0_17counting_iteratorIjlEEPS9_SE_NS0_5tupleIJPjSE_EEENSF_IJSE_SE_EEES9_SG_JZNS1_25segmented_radix_sort_implINS0_14default_configELb1EPKaPaPKlPlN2at6native12_GLOBAL__N_18offset_tEEE10hipError_tPvRmT1_PNSt15iterator_traitsISY_E10value_typeET2_T3_PNSZ_IS14_E10value_typeET4_jRbjT5_S1A_jjP12ihipStream_tbEUljE_EEESV_SW_SX_S14_S18_S1A_T6_T7_T9_mT8_S1C_bDpT10_ENKUlT_T0_E_clISt17integral_constantIbLb0EES1O_IbLb1EEEEDaS1K_S1L_EUlS1K_E_NS1_11comp_targetILNS1_3genE9ELNS1_11target_archE1100ELNS1_3gpuE3ELNS1_3repE0EEENS1_30default_config_static_selectorELNS0_4arch9wavefront6targetE1EEEvSY_, .Lfunc_end288-_ZN7rocprim17ROCPRIM_400000_NS6detail17trampoline_kernelINS0_13select_configILj256ELj13ELNS0_17block_load_methodE3ELS4_3ELS4_3ELNS0_20block_scan_algorithmE0ELj4294967295EEENS1_25partition_config_selectorILNS1_17partition_subalgoE3EjNS0_10empty_typeEbEEZZNS1_14partition_implILS8_3ELb0ES6_jNS0_17counting_iteratorIjlEEPS9_SE_NS0_5tupleIJPjSE_EEENSF_IJSE_SE_EEES9_SG_JZNS1_25segmented_radix_sort_implINS0_14default_configELb1EPKaPaPKlPlN2at6native12_GLOBAL__N_18offset_tEEE10hipError_tPvRmT1_PNSt15iterator_traitsISY_E10value_typeET2_T3_PNSZ_IS14_E10value_typeET4_jRbjT5_S1A_jjP12ihipStream_tbEUljE_EEESV_SW_SX_S14_S18_S1A_T6_T7_T9_mT8_S1C_bDpT10_ENKUlT_T0_E_clISt17integral_constantIbLb0EES1O_IbLb1EEEEDaS1K_S1L_EUlS1K_E_NS1_11comp_targetILNS1_3genE9ELNS1_11target_archE1100ELNS1_3gpuE3ELNS1_3repE0EEENS1_30default_config_static_selectorELNS0_4arch9wavefront6targetE1EEEvSY_
                                        ; -- End function
	.set _ZN7rocprim17ROCPRIM_400000_NS6detail17trampoline_kernelINS0_13select_configILj256ELj13ELNS0_17block_load_methodE3ELS4_3ELS4_3ELNS0_20block_scan_algorithmE0ELj4294967295EEENS1_25partition_config_selectorILNS1_17partition_subalgoE3EjNS0_10empty_typeEbEEZZNS1_14partition_implILS8_3ELb0ES6_jNS0_17counting_iteratorIjlEEPS9_SE_NS0_5tupleIJPjSE_EEENSF_IJSE_SE_EEES9_SG_JZNS1_25segmented_radix_sort_implINS0_14default_configELb1EPKaPaPKlPlN2at6native12_GLOBAL__N_18offset_tEEE10hipError_tPvRmT1_PNSt15iterator_traitsISY_E10value_typeET2_T3_PNSZ_IS14_E10value_typeET4_jRbjT5_S1A_jjP12ihipStream_tbEUljE_EEESV_SW_SX_S14_S18_S1A_T6_T7_T9_mT8_S1C_bDpT10_ENKUlT_T0_E_clISt17integral_constantIbLb0EES1O_IbLb1EEEEDaS1K_S1L_EUlS1K_E_NS1_11comp_targetILNS1_3genE9ELNS1_11target_archE1100ELNS1_3gpuE3ELNS1_3repE0EEENS1_30default_config_static_selectorELNS0_4arch9wavefront6targetE1EEEvSY_.num_vgpr, 0
	.set _ZN7rocprim17ROCPRIM_400000_NS6detail17trampoline_kernelINS0_13select_configILj256ELj13ELNS0_17block_load_methodE3ELS4_3ELS4_3ELNS0_20block_scan_algorithmE0ELj4294967295EEENS1_25partition_config_selectorILNS1_17partition_subalgoE3EjNS0_10empty_typeEbEEZZNS1_14partition_implILS8_3ELb0ES6_jNS0_17counting_iteratorIjlEEPS9_SE_NS0_5tupleIJPjSE_EEENSF_IJSE_SE_EEES9_SG_JZNS1_25segmented_radix_sort_implINS0_14default_configELb1EPKaPaPKlPlN2at6native12_GLOBAL__N_18offset_tEEE10hipError_tPvRmT1_PNSt15iterator_traitsISY_E10value_typeET2_T3_PNSZ_IS14_E10value_typeET4_jRbjT5_S1A_jjP12ihipStream_tbEUljE_EEESV_SW_SX_S14_S18_S1A_T6_T7_T9_mT8_S1C_bDpT10_ENKUlT_T0_E_clISt17integral_constantIbLb0EES1O_IbLb1EEEEDaS1K_S1L_EUlS1K_E_NS1_11comp_targetILNS1_3genE9ELNS1_11target_archE1100ELNS1_3gpuE3ELNS1_3repE0EEENS1_30default_config_static_selectorELNS0_4arch9wavefront6targetE1EEEvSY_.num_agpr, 0
	.set _ZN7rocprim17ROCPRIM_400000_NS6detail17trampoline_kernelINS0_13select_configILj256ELj13ELNS0_17block_load_methodE3ELS4_3ELS4_3ELNS0_20block_scan_algorithmE0ELj4294967295EEENS1_25partition_config_selectorILNS1_17partition_subalgoE3EjNS0_10empty_typeEbEEZZNS1_14partition_implILS8_3ELb0ES6_jNS0_17counting_iteratorIjlEEPS9_SE_NS0_5tupleIJPjSE_EEENSF_IJSE_SE_EEES9_SG_JZNS1_25segmented_radix_sort_implINS0_14default_configELb1EPKaPaPKlPlN2at6native12_GLOBAL__N_18offset_tEEE10hipError_tPvRmT1_PNSt15iterator_traitsISY_E10value_typeET2_T3_PNSZ_IS14_E10value_typeET4_jRbjT5_S1A_jjP12ihipStream_tbEUljE_EEESV_SW_SX_S14_S18_S1A_T6_T7_T9_mT8_S1C_bDpT10_ENKUlT_T0_E_clISt17integral_constantIbLb0EES1O_IbLb1EEEEDaS1K_S1L_EUlS1K_E_NS1_11comp_targetILNS1_3genE9ELNS1_11target_archE1100ELNS1_3gpuE3ELNS1_3repE0EEENS1_30default_config_static_selectorELNS0_4arch9wavefront6targetE1EEEvSY_.numbered_sgpr, 0
	.set _ZN7rocprim17ROCPRIM_400000_NS6detail17trampoline_kernelINS0_13select_configILj256ELj13ELNS0_17block_load_methodE3ELS4_3ELS4_3ELNS0_20block_scan_algorithmE0ELj4294967295EEENS1_25partition_config_selectorILNS1_17partition_subalgoE3EjNS0_10empty_typeEbEEZZNS1_14partition_implILS8_3ELb0ES6_jNS0_17counting_iteratorIjlEEPS9_SE_NS0_5tupleIJPjSE_EEENSF_IJSE_SE_EEES9_SG_JZNS1_25segmented_radix_sort_implINS0_14default_configELb1EPKaPaPKlPlN2at6native12_GLOBAL__N_18offset_tEEE10hipError_tPvRmT1_PNSt15iterator_traitsISY_E10value_typeET2_T3_PNSZ_IS14_E10value_typeET4_jRbjT5_S1A_jjP12ihipStream_tbEUljE_EEESV_SW_SX_S14_S18_S1A_T6_T7_T9_mT8_S1C_bDpT10_ENKUlT_T0_E_clISt17integral_constantIbLb0EES1O_IbLb1EEEEDaS1K_S1L_EUlS1K_E_NS1_11comp_targetILNS1_3genE9ELNS1_11target_archE1100ELNS1_3gpuE3ELNS1_3repE0EEENS1_30default_config_static_selectorELNS0_4arch9wavefront6targetE1EEEvSY_.num_named_barrier, 0
	.set _ZN7rocprim17ROCPRIM_400000_NS6detail17trampoline_kernelINS0_13select_configILj256ELj13ELNS0_17block_load_methodE3ELS4_3ELS4_3ELNS0_20block_scan_algorithmE0ELj4294967295EEENS1_25partition_config_selectorILNS1_17partition_subalgoE3EjNS0_10empty_typeEbEEZZNS1_14partition_implILS8_3ELb0ES6_jNS0_17counting_iteratorIjlEEPS9_SE_NS0_5tupleIJPjSE_EEENSF_IJSE_SE_EEES9_SG_JZNS1_25segmented_radix_sort_implINS0_14default_configELb1EPKaPaPKlPlN2at6native12_GLOBAL__N_18offset_tEEE10hipError_tPvRmT1_PNSt15iterator_traitsISY_E10value_typeET2_T3_PNSZ_IS14_E10value_typeET4_jRbjT5_S1A_jjP12ihipStream_tbEUljE_EEESV_SW_SX_S14_S18_S1A_T6_T7_T9_mT8_S1C_bDpT10_ENKUlT_T0_E_clISt17integral_constantIbLb0EES1O_IbLb1EEEEDaS1K_S1L_EUlS1K_E_NS1_11comp_targetILNS1_3genE9ELNS1_11target_archE1100ELNS1_3gpuE3ELNS1_3repE0EEENS1_30default_config_static_selectorELNS0_4arch9wavefront6targetE1EEEvSY_.private_seg_size, 0
	.set _ZN7rocprim17ROCPRIM_400000_NS6detail17trampoline_kernelINS0_13select_configILj256ELj13ELNS0_17block_load_methodE3ELS4_3ELS4_3ELNS0_20block_scan_algorithmE0ELj4294967295EEENS1_25partition_config_selectorILNS1_17partition_subalgoE3EjNS0_10empty_typeEbEEZZNS1_14partition_implILS8_3ELb0ES6_jNS0_17counting_iteratorIjlEEPS9_SE_NS0_5tupleIJPjSE_EEENSF_IJSE_SE_EEES9_SG_JZNS1_25segmented_radix_sort_implINS0_14default_configELb1EPKaPaPKlPlN2at6native12_GLOBAL__N_18offset_tEEE10hipError_tPvRmT1_PNSt15iterator_traitsISY_E10value_typeET2_T3_PNSZ_IS14_E10value_typeET4_jRbjT5_S1A_jjP12ihipStream_tbEUljE_EEESV_SW_SX_S14_S18_S1A_T6_T7_T9_mT8_S1C_bDpT10_ENKUlT_T0_E_clISt17integral_constantIbLb0EES1O_IbLb1EEEEDaS1K_S1L_EUlS1K_E_NS1_11comp_targetILNS1_3genE9ELNS1_11target_archE1100ELNS1_3gpuE3ELNS1_3repE0EEENS1_30default_config_static_selectorELNS0_4arch9wavefront6targetE1EEEvSY_.uses_vcc, 0
	.set _ZN7rocprim17ROCPRIM_400000_NS6detail17trampoline_kernelINS0_13select_configILj256ELj13ELNS0_17block_load_methodE3ELS4_3ELS4_3ELNS0_20block_scan_algorithmE0ELj4294967295EEENS1_25partition_config_selectorILNS1_17partition_subalgoE3EjNS0_10empty_typeEbEEZZNS1_14partition_implILS8_3ELb0ES6_jNS0_17counting_iteratorIjlEEPS9_SE_NS0_5tupleIJPjSE_EEENSF_IJSE_SE_EEES9_SG_JZNS1_25segmented_radix_sort_implINS0_14default_configELb1EPKaPaPKlPlN2at6native12_GLOBAL__N_18offset_tEEE10hipError_tPvRmT1_PNSt15iterator_traitsISY_E10value_typeET2_T3_PNSZ_IS14_E10value_typeET4_jRbjT5_S1A_jjP12ihipStream_tbEUljE_EEESV_SW_SX_S14_S18_S1A_T6_T7_T9_mT8_S1C_bDpT10_ENKUlT_T0_E_clISt17integral_constantIbLb0EES1O_IbLb1EEEEDaS1K_S1L_EUlS1K_E_NS1_11comp_targetILNS1_3genE9ELNS1_11target_archE1100ELNS1_3gpuE3ELNS1_3repE0EEENS1_30default_config_static_selectorELNS0_4arch9wavefront6targetE1EEEvSY_.uses_flat_scratch, 0
	.set _ZN7rocprim17ROCPRIM_400000_NS6detail17trampoline_kernelINS0_13select_configILj256ELj13ELNS0_17block_load_methodE3ELS4_3ELS4_3ELNS0_20block_scan_algorithmE0ELj4294967295EEENS1_25partition_config_selectorILNS1_17partition_subalgoE3EjNS0_10empty_typeEbEEZZNS1_14partition_implILS8_3ELb0ES6_jNS0_17counting_iteratorIjlEEPS9_SE_NS0_5tupleIJPjSE_EEENSF_IJSE_SE_EEES9_SG_JZNS1_25segmented_radix_sort_implINS0_14default_configELb1EPKaPaPKlPlN2at6native12_GLOBAL__N_18offset_tEEE10hipError_tPvRmT1_PNSt15iterator_traitsISY_E10value_typeET2_T3_PNSZ_IS14_E10value_typeET4_jRbjT5_S1A_jjP12ihipStream_tbEUljE_EEESV_SW_SX_S14_S18_S1A_T6_T7_T9_mT8_S1C_bDpT10_ENKUlT_T0_E_clISt17integral_constantIbLb0EES1O_IbLb1EEEEDaS1K_S1L_EUlS1K_E_NS1_11comp_targetILNS1_3genE9ELNS1_11target_archE1100ELNS1_3gpuE3ELNS1_3repE0EEENS1_30default_config_static_selectorELNS0_4arch9wavefront6targetE1EEEvSY_.has_dyn_sized_stack, 0
	.set _ZN7rocprim17ROCPRIM_400000_NS6detail17trampoline_kernelINS0_13select_configILj256ELj13ELNS0_17block_load_methodE3ELS4_3ELS4_3ELNS0_20block_scan_algorithmE0ELj4294967295EEENS1_25partition_config_selectorILNS1_17partition_subalgoE3EjNS0_10empty_typeEbEEZZNS1_14partition_implILS8_3ELb0ES6_jNS0_17counting_iteratorIjlEEPS9_SE_NS0_5tupleIJPjSE_EEENSF_IJSE_SE_EEES9_SG_JZNS1_25segmented_radix_sort_implINS0_14default_configELb1EPKaPaPKlPlN2at6native12_GLOBAL__N_18offset_tEEE10hipError_tPvRmT1_PNSt15iterator_traitsISY_E10value_typeET2_T3_PNSZ_IS14_E10value_typeET4_jRbjT5_S1A_jjP12ihipStream_tbEUljE_EEESV_SW_SX_S14_S18_S1A_T6_T7_T9_mT8_S1C_bDpT10_ENKUlT_T0_E_clISt17integral_constantIbLb0EES1O_IbLb1EEEEDaS1K_S1L_EUlS1K_E_NS1_11comp_targetILNS1_3genE9ELNS1_11target_archE1100ELNS1_3gpuE3ELNS1_3repE0EEENS1_30default_config_static_selectorELNS0_4arch9wavefront6targetE1EEEvSY_.has_recursion, 0
	.set _ZN7rocprim17ROCPRIM_400000_NS6detail17trampoline_kernelINS0_13select_configILj256ELj13ELNS0_17block_load_methodE3ELS4_3ELS4_3ELNS0_20block_scan_algorithmE0ELj4294967295EEENS1_25partition_config_selectorILNS1_17partition_subalgoE3EjNS0_10empty_typeEbEEZZNS1_14partition_implILS8_3ELb0ES6_jNS0_17counting_iteratorIjlEEPS9_SE_NS0_5tupleIJPjSE_EEENSF_IJSE_SE_EEES9_SG_JZNS1_25segmented_radix_sort_implINS0_14default_configELb1EPKaPaPKlPlN2at6native12_GLOBAL__N_18offset_tEEE10hipError_tPvRmT1_PNSt15iterator_traitsISY_E10value_typeET2_T3_PNSZ_IS14_E10value_typeET4_jRbjT5_S1A_jjP12ihipStream_tbEUljE_EEESV_SW_SX_S14_S18_S1A_T6_T7_T9_mT8_S1C_bDpT10_ENKUlT_T0_E_clISt17integral_constantIbLb0EES1O_IbLb1EEEEDaS1K_S1L_EUlS1K_E_NS1_11comp_targetILNS1_3genE9ELNS1_11target_archE1100ELNS1_3gpuE3ELNS1_3repE0EEENS1_30default_config_static_selectorELNS0_4arch9wavefront6targetE1EEEvSY_.has_indirect_call, 0
	.section	.AMDGPU.csdata,"",@progbits
; Kernel info:
; codeLenInByte = 0
; TotalNumSgprs: 4
; NumVgprs: 0
; ScratchSize: 0
; MemoryBound: 0
; FloatMode: 240
; IeeeMode: 1
; LDSByteSize: 0 bytes/workgroup (compile time only)
; SGPRBlocks: 0
; VGPRBlocks: 0
; NumSGPRsForWavesPerEU: 4
; NumVGPRsForWavesPerEU: 1
; Occupancy: 10
; WaveLimiterHint : 0
; COMPUTE_PGM_RSRC2:SCRATCH_EN: 0
; COMPUTE_PGM_RSRC2:USER_SGPR: 6
; COMPUTE_PGM_RSRC2:TRAP_HANDLER: 0
; COMPUTE_PGM_RSRC2:TGID_X_EN: 1
; COMPUTE_PGM_RSRC2:TGID_Y_EN: 0
; COMPUTE_PGM_RSRC2:TGID_Z_EN: 0
; COMPUTE_PGM_RSRC2:TIDIG_COMP_CNT: 0
	.section	.text._ZN7rocprim17ROCPRIM_400000_NS6detail17trampoline_kernelINS0_13select_configILj256ELj13ELNS0_17block_load_methodE3ELS4_3ELS4_3ELNS0_20block_scan_algorithmE0ELj4294967295EEENS1_25partition_config_selectorILNS1_17partition_subalgoE3EjNS0_10empty_typeEbEEZZNS1_14partition_implILS8_3ELb0ES6_jNS0_17counting_iteratorIjlEEPS9_SE_NS0_5tupleIJPjSE_EEENSF_IJSE_SE_EEES9_SG_JZNS1_25segmented_radix_sort_implINS0_14default_configELb1EPKaPaPKlPlN2at6native12_GLOBAL__N_18offset_tEEE10hipError_tPvRmT1_PNSt15iterator_traitsISY_E10value_typeET2_T3_PNSZ_IS14_E10value_typeET4_jRbjT5_S1A_jjP12ihipStream_tbEUljE_EEESV_SW_SX_S14_S18_S1A_T6_T7_T9_mT8_S1C_bDpT10_ENKUlT_T0_E_clISt17integral_constantIbLb0EES1O_IbLb1EEEEDaS1K_S1L_EUlS1K_E_NS1_11comp_targetILNS1_3genE8ELNS1_11target_archE1030ELNS1_3gpuE2ELNS1_3repE0EEENS1_30default_config_static_selectorELNS0_4arch9wavefront6targetE1EEEvSY_,"axG",@progbits,_ZN7rocprim17ROCPRIM_400000_NS6detail17trampoline_kernelINS0_13select_configILj256ELj13ELNS0_17block_load_methodE3ELS4_3ELS4_3ELNS0_20block_scan_algorithmE0ELj4294967295EEENS1_25partition_config_selectorILNS1_17partition_subalgoE3EjNS0_10empty_typeEbEEZZNS1_14partition_implILS8_3ELb0ES6_jNS0_17counting_iteratorIjlEEPS9_SE_NS0_5tupleIJPjSE_EEENSF_IJSE_SE_EEES9_SG_JZNS1_25segmented_radix_sort_implINS0_14default_configELb1EPKaPaPKlPlN2at6native12_GLOBAL__N_18offset_tEEE10hipError_tPvRmT1_PNSt15iterator_traitsISY_E10value_typeET2_T3_PNSZ_IS14_E10value_typeET4_jRbjT5_S1A_jjP12ihipStream_tbEUljE_EEESV_SW_SX_S14_S18_S1A_T6_T7_T9_mT8_S1C_bDpT10_ENKUlT_T0_E_clISt17integral_constantIbLb0EES1O_IbLb1EEEEDaS1K_S1L_EUlS1K_E_NS1_11comp_targetILNS1_3genE8ELNS1_11target_archE1030ELNS1_3gpuE2ELNS1_3repE0EEENS1_30default_config_static_selectorELNS0_4arch9wavefront6targetE1EEEvSY_,comdat
	.globl	_ZN7rocprim17ROCPRIM_400000_NS6detail17trampoline_kernelINS0_13select_configILj256ELj13ELNS0_17block_load_methodE3ELS4_3ELS4_3ELNS0_20block_scan_algorithmE0ELj4294967295EEENS1_25partition_config_selectorILNS1_17partition_subalgoE3EjNS0_10empty_typeEbEEZZNS1_14partition_implILS8_3ELb0ES6_jNS0_17counting_iteratorIjlEEPS9_SE_NS0_5tupleIJPjSE_EEENSF_IJSE_SE_EEES9_SG_JZNS1_25segmented_radix_sort_implINS0_14default_configELb1EPKaPaPKlPlN2at6native12_GLOBAL__N_18offset_tEEE10hipError_tPvRmT1_PNSt15iterator_traitsISY_E10value_typeET2_T3_PNSZ_IS14_E10value_typeET4_jRbjT5_S1A_jjP12ihipStream_tbEUljE_EEESV_SW_SX_S14_S18_S1A_T6_T7_T9_mT8_S1C_bDpT10_ENKUlT_T0_E_clISt17integral_constantIbLb0EES1O_IbLb1EEEEDaS1K_S1L_EUlS1K_E_NS1_11comp_targetILNS1_3genE8ELNS1_11target_archE1030ELNS1_3gpuE2ELNS1_3repE0EEENS1_30default_config_static_selectorELNS0_4arch9wavefront6targetE1EEEvSY_ ; -- Begin function _ZN7rocprim17ROCPRIM_400000_NS6detail17trampoline_kernelINS0_13select_configILj256ELj13ELNS0_17block_load_methodE3ELS4_3ELS4_3ELNS0_20block_scan_algorithmE0ELj4294967295EEENS1_25partition_config_selectorILNS1_17partition_subalgoE3EjNS0_10empty_typeEbEEZZNS1_14partition_implILS8_3ELb0ES6_jNS0_17counting_iteratorIjlEEPS9_SE_NS0_5tupleIJPjSE_EEENSF_IJSE_SE_EEES9_SG_JZNS1_25segmented_radix_sort_implINS0_14default_configELb1EPKaPaPKlPlN2at6native12_GLOBAL__N_18offset_tEEE10hipError_tPvRmT1_PNSt15iterator_traitsISY_E10value_typeET2_T3_PNSZ_IS14_E10value_typeET4_jRbjT5_S1A_jjP12ihipStream_tbEUljE_EEESV_SW_SX_S14_S18_S1A_T6_T7_T9_mT8_S1C_bDpT10_ENKUlT_T0_E_clISt17integral_constantIbLb0EES1O_IbLb1EEEEDaS1K_S1L_EUlS1K_E_NS1_11comp_targetILNS1_3genE8ELNS1_11target_archE1030ELNS1_3gpuE2ELNS1_3repE0EEENS1_30default_config_static_selectorELNS0_4arch9wavefront6targetE1EEEvSY_
	.p2align	8
	.type	_ZN7rocprim17ROCPRIM_400000_NS6detail17trampoline_kernelINS0_13select_configILj256ELj13ELNS0_17block_load_methodE3ELS4_3ELS4_3ELNS0_20block_scan_algorithmE0ELj4294967295EEENS1_25partition_config_selectorILNS1_17partition_subalgoE3EjNS0_10empty_typeEbEEZZNS1_14partition_implILS8_3ELb0ES6_jNS0_17counting_iteratorIjlEEPS9_SE_NS0_5tupleIJPjSE_EEENSF_IJSE_SE_EEES9_SG_JZNS1_25segmented_radix_sort_implINS0_14default_configELb1EPKaPaPKlPlN2at6native12_GLOBAL__N_18offset_tEEE10hipError_tPvRmT1_PNSt15iterator_traitsISY_E10value_typeET2_T3_PNSZ_IS14_E10value_typeET4_jRbjT5_S1A_jjP12ihipStream_tbEUljE_EEESV_SW_SX_S14_S18_S1A_T6_T7_T9_mT8_S1C_bDpT10_ENKUlT_T0_E_clISt17integral_constantIbLb0EES1O_IbLb1EEEEDaS1K_S1L_EUlS1K_E_NS1_11comp_targetILNS1_3genE8ELNS1_11target_archE1030ELNS1_3gpuE2ELNS1_3repE0EEENS1_30default_config_static_selectorELNS0_4arch9wavefront6targetE1EEEvSY_,@function
_ZN7rocprim17ROCPRIM_400000_NS6detail17trampoline_kernelINS0_13select_configILj256ELj13ELNS0_17block_load_methodE3ELS4_3ELS4_3ELNS0_20block_scan_algorithmE0ELj4294967295EEENS1_25partition_config_selectorILNS1_17partition_subalgoE3EjNS0_10empty_typeEbEEZZNS1_14partition_implILS8_3ELb0ES6_jNS0_17counting_iteratorIjlEEPS9_SE_NS0_5tupleIJPjSE_EEENSF_IJSE_SE_EEES9_SG_JZNS1_25segmented_radix_sort_implINS0_14default_configELb1EPKaPaPKlPlN2at6native12_GLOBAL__N_18offset_tEEE10hipError_tPvRmT1_PNSt15iterator_traitsISY_E10value_typeET2_T3_PNSZ_IS14_E10value_typeET4_jRbjT5_S1A_jjP12ihipStream_tbEUljE_EEESV_SW_SX_S14_S18_S1A_T6_T7_T9_mT8_S1C_bDpT10_ENKUlT_T0_E_clISt17integral_constantIbLb0EES1O_IbLb1EEEEDaS1K_S1L_EUlS1K_E_NS1_11comp_targetILNS1_3genE8ELNS1_11target_archE1030ELNS1_3gpuE2ELNS1_3repE0EEENS1_30default_config_static_selectorELNS0_4arch9wavefront6targetE1EEEvSY_: ; @_ZN7rocprim17ROCPRIM_400000_NS6detail17trampoline_kernelINS0_13select_configILj256ELj13ELNS0_17block_load_methodE3ELS4_3ELS4_3ELNS0_20block_scan_algorithmE0ELj4294967295EEENS1_25partition_config_selectorILNS1_17partition_subalgoE3EjNS0_10empty_typeEbEEZZNS1_14partition_implILS8_3ELb0ES6_jNS0_17counting_iteratorIjlEEPS9_SE_NS0_5tupleIJPjSE_EEENSF_IJSE_SE_EEES9_SG_JZNS1_25segmented_radix_sort_implINS0_14default_configELb1EPKaPaPKlPlN2at6native12_GLOBAL__N_18offset_tEEE10hipError_tPvRmT1_PNSt15iterator_traitsISY_E10value_typeET2_T3_PNSZ_IS14_E10value_typeET4_jRbjT5_S1A_jjP12ihipStream_tbEUljE_EEESV_SW_SX_S14_S18_S1A_T6_T7_T9_mT8_S1C_bDpT10_ENKUlT_T0_E_clISt17integral_constantIbLb0EES1O_IbLb1EEEEDaS1K_S1L_EUlS1K_E_NS1_11comp_targetILNS1_3genE8ELNS1_11target_archE1030ELNS1_3gpuE2ELNS1_3repE0EEENS1_30default_config_static_selectorELNS0_4arch9wavefront6targetE1EEEvSY_
; %bb.0:
	.section	.rodata,"a",@progbits
	.p2align	6, 0x0
	.amdhsa_kernel _ZN7rocprim17ROCPRIM_400000_NS6detail17trampoline_kernelINS0_13select_configILj256ELj13ELNS0_17block_load_methodE3ELS4_3ELS4_3ELNS0_20block_scan_algorithmE0ELj4294967295EEENS1_25partition_config_selectorILNS1_17partition_subalgoE3EjNS0_10empty_typeEbEEZZNS1_14partition_implILS8_3ELb0ES6_jNS0_17counting_iteratorIjlEEPS9_SE_NS0_5tupleIJPjSE_EEENSF_IJSE_SE_EEES9_SG_JZNS1_25segmented_radix_sort_implINS0_14default_configELb1EPKaPaPKlPlN2at6native12_GLOBAL__N_18offset_tEEE10hipError_tPvRmT1_PNSt15iterator_traitsISY_E10value_typeET2_T3_PNSZ_IS14_E10value_typeET4_jRbjT5_S1A_jjP12ihipStream_tbEUljE_EEESV_SW_SX_S14_S18_S1A_T6_T7_T9_mT8_S1C_bDpT10_ENKUlT_T0_E_clISt17integral_constantIbLb0EES1O_IbLb1EEEEDaS1K_S1L_EUlS1K_E_NS1_11comp_targetILNS1_3genE8ELNS1_11target_archE1030ELNS1_3gpuE2ELNS1_3repE0EEENS1_30default_config_static_selectorELNS0_4arch9wavefront6targetE1EEEvSY_
		.amdhsa_group_segment_fixed_size 0
		.amdhsa_private_segment_fixed_size 0
		.amdhsa_kernarg_size 152
		.amdhsa_user_sgpr_count 6
		.amdhsa_user_sgpr_private_segment_buffer 1
		.amdhsa_user_sgpr_dispatch_ptr 0
		.amdhsa_user_sgpr_queue_ptr 0
		.amdhsa_user_sgpr_kernarg_segment_ptr 1
		.amdhsa_user_sgpr_dispatch_id 0
		.amdhsa_user_sgpr_flat_scratch_init 0
		.amdhsa_user_sgpr_private_segment_size 0
		.amdhsa_uses_dynamic_stack 0
		.amdhsa_system_sgpr_private_segment_wavefront_offset 0
		.amdhsa_system_sgpr_workgroup_id_x 1
		.amdhsa_system_sgpr_workgroup_id_y 0
		.amdhsa_system_sgpr_workgroup_id_z 0
		.amdhsa_system_sgpr_workgroup_info 0
		.amdhsa_system_vgpr_workitem_id 0
		.amdhsa_next_free_vgpr 1
		.amdhsa_next_free_sgpr 0
		.amdhsa_reserve_vcc 0
		.amdhsa_reserve_flat_scratch 0
		.amdhsa_float_round_mode_32 0
		.amdhsa_float_round_mode_16_64 0
		.amdhsa_float_denorm_mode_32 3
		.amdhsa_float_denorm_mode_16_64 3
		.amdhsa_dx10_clamp 1
		.amdhsa_ieee_mode 1
		.amdhsa_fp16_overflow 0
		.amdhsa_exception_fp_ieee_invalid_op 0
		.amdhsa_exception_fp_denorm_src 0
		.amdhsa_exception_fp_ieee_div_zero 0
		.amdhsa_exception_fp_ieee_overflow 0
		.amdhsa_exception_fp_ieee_underflow 0
		.amdhsa_exception_fp_ieee_inexact 0
		.amdhsa_exception_int_div_zero 0
	.end_amdhsa_kernel
	.section	.text._ZN7rocprim17ROCPRIM_400000_NS6detail17trampoline_kernelINS0_13select_configILj256ELj13ELNS0_17block_load_methodE3ELS4_3ELS4_3ELNS0_20block_scan_algorithmE0ELj4294967295EEENS1_25partition_config_selectorILNS1_17partition_subalgoE3EjNS0_10empty_typeEbEEZZNS1_14partition_implILS8_3ELb0ES6_jNS0_17counting_iteratorIjlEEPS9_SE_NS0_5tupleIJPjSE_EEENSF_IJSE_SE_EEES9_SG_JZNS1_25segmented_radix_sort_implINS0_14default_configELb1EPKaPaPKlPlN2at6native12_GLOBAL__N_18offset_tEEE10hipError_tPvRmT1_PNSt15iterator_traitsISY_E10value_typeET2_T3_PNSZ_IS14_E10value_typeET4_jRbjT5_S1A_jjP12ihipStream_tbEUljE_EEESV_SW_SX_S14_S18_S1A_T6_T7_T9_mT8_S1C_bDpT10_ENKUlT_T0_E_clISt17integral_constantIbLb0EES1O_IbLb1EEEEDaS1K_S1L_EUlS1K_E_NS1_11comp_targetILNS1_3genE8ELNS1_11target_archE1030ELNS1_3gpuE2ELNS1_3repE0EEENS1_30default_config_static_selectorELNS0_4arch9wavefront6targetE1EEEvSY_,"axG",@progbits,_ZN7rocprim17ROCPRIM_400000_NS6detail17trampoline_kernelINS0_13select_configILj256ELj13ELNS0_17block_load_methodE3ELS4_3ELS4_3ELNS0_20block_scan_algorithmE0ELj4294967295EEENS1_25partition_config_selectorILNS1_17partition_subalgoE3EjNS0_10empty_typeEbEEZZNS1_14partition_implILS8_3ELb0ES6_jNS0_17counting_iteratorIjlEEPS9_SE_NS0_5tupleIJPjSE_EEENSF_IJSE_SE_EEES9_SG_JZNS1_25segmented_radix_sort_implINS0_14default_configELb1EPKaPaPKlPlN2at6native12_GLOBAL__N_18offset_tEEE10hipError_tPvRmT1_PNSt15iterator_traitsISY_E10value_typeET2_T3_PNSZ_IS14_E10value_typeET4_jRbjT5_S1A_jjP12ihipStream_tbEUljE_EEESV_SW_SX_S14_S18_S1A_T6_T7_T9_mT8_S1C_bDpT10_ENKUlT_T0_E_clISt17integral_constantIbLb0EES1O_IbLb1EEEEDaS1K_S1L_EUlS1K_E_NS1_11comp_targetILNS1_3genE8ELNS1_11target_archE1030ELNS1_3gpuE2ELNS1_3repE0EEENS1_30default_config_static_selectorELNS0_4arch9wavefront6targetE1EEEvSY_,comdat
.Lfunc_end289:
	.size	_ZN7rocprim17ROCPRIM_400000_NS6detail17trampoline_kernelINS0_13select_configILj256ELj13ELNS0_17block_load_methodE3ELS4_3ELS4_3ELNS0_20block_scan_algorithmE0ELj4294967295EEENS1_25partition_config_selectorILNS1_17partition_subalgoE3EjNS0_10empty_typeEbEEZZNS1_14partition_implILS8_3ELb0ES6_jNS0_17counting_iteratorIjlEEPS9_SE_NS0_5tupleIJPjSE_EEENSF_IJSE_SE_EEES9_SG_JZNS1_25segmented_radix_sort_implINS0_14default_configELb1EPKaPaPKlPlN2at6native12_GLOBAL__N_18offset_tEEE10hipError_tPvRmT1_PNSt15iterator_traitsISY_E10value_typeET2_T3_PNSZ_IS14_E10value_typeET4_jRbjT5_S1A_jjP12ihipStream_tbEUljE_EEESV_SW_SX_S14_S18_S1A_T6_T7_T9_mT8_S1C_bDpT10_ENKUlT_T0_E_clISt17integral_constantIbLb0EES1O_IbLb1EEEEDaS1K_S1L_EUlS1K_E_NS1_11comp_targetILNS1_3genE8ELNS1_11target_archE1030ELNS1_3gpuE2ELNS1_3repE0EEENS1_30default_config_static_selectorELNS0_4arch9wavefront6targetE1EEEvSY_, .Lfunc_end289-_ZN7rocprim17ROCPRIM_400000_NS6detail17trampoline_kernelINS0_13select_configILj256ELj13ELNS0_17block_load_methodE3ELS4_3ELS4_3ELNS0_20block_scan_algorithmE0ELj4294967295EEENS1_25partition_config_selectorILNS1_17partition_subalgoE3EjNS0_10empty_typeEbEEZZNS1_14partition_implILS8_3ELb0ES6_jNS0_17counting_iteratorIjlEEPS9_SE_NS0_5tupleIJPjSE_EEENSF_IJSE_SE_EEES9_SG_JZNS1_25segmented_radix_sort_implINS0_14default_configELb1EPKaPaPKlPlN2at6native12_GLOBAL__N_18offset_tEEE10hipError_tPvRmT1_PNSt15iterator_traitsISY_E10value_typeET2_T3_PNSZ_IS14_E10value_typeET4_jRbjT5_S1A_jjP12ihipStream_tbEUljE_EEESV_SW_SX_S14_S18_S1A_T6_T7_T9_mT8_S1C_bDpT10_ENKUlT_T0_E_clISt17integral_constantIbLb0EES1O_IbLb1EEEEDaS1K_S1L_EUlS1K_E_NS1_11comp_targetILNS1_3genE8ELNS1_11target_archE1030ELNS1_3gpuE2ELNS1_3repE0EEENS1_30default_config_static_selectorELNS0_4arch9wavefront6targetE1EEEvSY_
                                        ; -- End function
	.set _ZN7rocprim17ROCPRIM_400000_NS6detail17trampoline_kernelINS0_13select_configILj256ELj13ELNS0_17block_load_methodE3ELS4_3ELS4_3ELNS0_20block_scan_algorithmE0ELj4294967295EEENS1_25partition_config_selectorILNS1_17partition_subalgoE3EjNS0_10empty_typeEbEEZZNS1_14partition_implILS8_3ELb0ES6_jNS0_17counting_iteratorIjlEEPS9_SE_NS0_5tupleIJPjSE_EEENSF_IJSE_SE_EEES9_SG_JZNS1_25segmented_radix_sort_implINS0_14default_configELb1EPKaPaPKlPlN2at6native12_GLOBAL__N_18offset_tEEE10hipError_tPvRmT1_PNSt15iterator_traitsISY_E10value_typeET2_T3_PNSZ_IS14_E10value_typeET4_jRbjT5_S1A_jjP12ihipStream_tbEUljE_EEESV_SW_SX_S14_S18_S1A_T6_T7_T9_mT8_S1C_bDpT10_ENKUlT_T0_E_clISt17integral_constantIbLb0EES1O_IbLb1EEEEDaS1K_S1L_EUlS1K_E_NS1_11comp_targetILNS1_3genE8ELNS1_11target_archE1030ELNS1_3gpuE2ELNS1_3repE0EEENS1_30default_config_static_selectorELNS0_4arch9wavefront6targetE1EEEvSY_.num_vgpr, 0
	.set _ZN7rocprim17ROCPRIM_400000_NS6detail17trampoline_kernelINS0_13select_configILj256ELj13ELNS0_17block_load_methodE3ELS4_3ELS4_3ELNS0_20block_scan_algorithmE0ELj4294967295EEENS1_25partition_config_selectorILNS1_17partition_subalgoE3EjNS0_10empty_typeEbEEZZNS1_14partition_implILS8_3ELb0ES6_jNS0_17counting_iteratorIjlEEPS9_SE_NS0_5tupleIJPjSE_EEENSF_IJSE_SE_EEES9_SG_JZNS1_25segmented_radix_sort_implINS0_14default_configELb1EPKaPaPKlPlN2at6native12_GLOBAL__N_18offset_tEEE10hipError_tPvRmT1_PNSt15iterator_traitsISY_E10value_typeET2_T3_PNSZ_IS14_E10value_typeET4_jRbjT5_S1A_jjP12ihipStream_tbEUljE_EEESV_SW_SX_S14_S18_S1A_T6_T7_T9_mT8_S1C_bDpT10_ENKUlT_T0_E_clISt17integral_constantIbLb0EES1O_IbLb1EEEEDaS1K_S1L_EUlS1K_E_NS1_11comp_targetILNS1_3genE8ELNS1_11target_archE1030ELNS1_3gpuE2ELNS1_3repE0EEENS1_30default_config_static_selectorELNS0_4arch9wavefront6targetE1EEEvSY_.num_agpr, 0
	.set _ZN7rocprim17ROCPRIM_400000_NS6detail17trampoline_kernelINS0_13select_configILj256ELj13ELNS0_17block_load_methodE3ELS4_3ELS4_3ELNS0_20block_scan_algorithmE0ELj4294967295EEENS1_25partition_config_selectorILNS1_17partition_subalgoE3EjNS0_10empty_typeEbEEZZNS1_14partition_implILS8_3ELb0ES6_jNS0_17counting_iteratorIjlEEPS9_SE_NS0_5tupleIJPjSE_EEENSF_IJSE_SE_EEES9_SG_JZNS1_25segmented_radix_sort_implINS0_14default_configELb1EPKaPaPKlPlN2at6native12_GLOBAL__N_18offset_tEEE10hipError_tPvRmT1_PNSt15iterator_traitsISY_E10value_typeET2_T3_PNSZ_IS14_E10value_typeET4_jRbjT5_S1A_jjP12ihipStream_tbEUljE_EEESV_SW_SX_S14_S18_S1A_T6_T7_T9_mT8_S1C_bDpT10_ENKUlT_T0_E_clISt17integral_constantIbLb0EES1O_IbLb1EEEEDaS1K_S1L_EUlS1K_E_NS1_11comp_targetILNS1_3genE8ELNS1_11target_archE1030ELNS1_3gpuE2ELNS1_3repE0EEENS1_30default_config_static_selectorELNS0_4arch9wavefront6targetE1EEEvSY_.numbered_sgpr, 0
	.set _ZN7rocprim17ROCPRIM_400000_NS6detail17trampoline_kernelINS0_13select_configILj256ELj13ELNS0_17block_load_methodE3ELS4_3ELS4_3ELNS0_20block_scan_algorithmE0ELj4294967295EEENS1_25partition_config_selectorILNS1_17partition_subalgoE3EjNS0_10empty_typeEbEEZZNS1_14partition_implILS8_3ELb0ES6_jNS0_17counting_iteratorIjlEEPS9_SE_NS0_5tupleIJPjSE_EEENSF_IJSE_SE_EEES9_SG_JZNS1_25segmented_radix_sort_implINS0_14default_configELb1EPKaPaPKlPlN2at6native12_GLOBAL__N_18offset_tEEE10hipError_tPvRmT1_PNSt15iterator_traitsISY_E10value_typeET2_T3_PNSZ_IS14_E10value_typeET4_jRbjT5_S1A_jjP12ihipStream_tbEUljE_EEESV_SW_SX_S14_S18_S1A_T6_T7_T9_mT8_S1C_bDpT10_ENKUlT_T0_E_clISt17integral_constantIbLb0EES1O_IbLb1EEEEDaS1K_S1L_EUlS1K_E_NS1_11comp_targetILNS1_3genE8ELNS1_11target_archE1030ELNS1_3gpuE2ELNS1_3repE0EEENS1_30default_config_static_selectorELNS0_4arch9wavefront6targetE1EEEvSY_.num_named_barrier, 0
	.set _ZN7rocprim17ROCPRIM_400000_NS6detail17trampoline_kernelINS0_13select_configILj256ELj13ELNS0_17block_load_methodE3ELS4_3ELS4_3ELNS0_20block_scan_algorithmE0ELj4294967295EEENS1_25partition_config_selectorILNS1_17partition_subalgoE3EjNS0_10empty_typeEbEEZZNS1_14partition_implILS8_3ELb0ES6_jNS0_17counting_iteratorIjlEEPS9_SE_NS0_5tupleIJPjSE_EEENSF_IJSE_SE_EEES9_SG_JZNS1_25segmented_radix_sort_implINS0_14default_configELb1EPKaPaPKlPlN2at6native12_GLOBAL__N_18offset_tEEE10hipError_tPvRmT1_PNSt15iterator_traitsISY_E10value_typeET2_T3_PNSZ_IS14_E10value_typeET4_jRbjT5_S1A_jjP12ihipStream_tbEUljE_EEESV_SW_SX_S14_S18_S1A_T6_T7_T9_mT8_S1C_bDpT10_ENKUlT_T0_E_clISt17integral_constantIbLb0EES1O_IbLb1EEEEDaS1K_S1L_EUlS1K_E_NS1_11comp_targetILNS1_3genE8ELNS1_11target_archE1030ELNS1_3gpuE2ELNS1_3repE0EEENS1_30default_config_static_selectorELNS0_4arch9wavefront6targetE1EEEvSY_.private_seg_size, 0
	.set _ZN7rocprim17ROCPRIM_400000_NS6detail17trampoline_kernelINS0_13select_configILj256ELj13ELNS0_17block_load_methodE3ELS4_3ELS4_3ELNS0_20block_scan_algorithmE0ELj4294967295EEENS1_25partition_config_selectorILNS1_17partition_subalgoE3EjNS0_10empty_typeEbEEZZNS1_14partition_implILS8_3ELb0ES6_jNS0_17counting_iteratorIjlEEPS9_SE_NS0_5tupleIJPjSE_EEENSF_IJSE_SE_EEES9_SG_JZNS1_25segmented_radix_sort_implINS0_14default_configELb1EPKaPaPKlPlN2at6native12_GLOBAL__N_18offset_tEEE10hipError_tPvRmT1_PNSt15iterator_traitsISY_E10value_typeET2_T3_PNSZ_IS14_E10value_typeET4_jRbjT5_S1A_jjP12ihipStream_tbEUljE_EEESV_SW_SX_S14_S18_S1A_T6_T7_T9_mT8_S1C_bDpT10_ENKUlT_T0_E_clISt17integral_constantIbLb0EES1O_IbLb1EEEEDaS1K_S1L_EUlS1K_E_NS1_11comp_targetILNS1_3genE8ELNS1_11target_archE1030ELNS1_3gpuE2ELNS1_3repE0EEENS1_30default_config_static_selectorELNS0_4arch9wavefront6targetE1EEEvSY_.uses_vcc, 0
	.set _ZN7rocprim17ROCPRIM_400000_NS6detail17trampoline_kernelINS0_13select_configILj256ELj13ELNS0_17block_load_methodE3ELS4_3ELS4_3ELNS0_20block_scan_algorithmE0ELj4294967295EEENS1_25partition_config_selectorILNS1_17partition_subalgoE3EjNS0_10empty_typeEbEEZZNS1_14partition_implILS8_3ELb0ES6_jNS0_17counting_iteratorIjlEEPS9_SE_NS0_5tupleIJPjSE_EEENSF_IJSE_SE_EEES9_SG_JZNS1_25segmented_radix_sort_implINS0_14default_configELb1EPKaPaPKlPlN2at6native12_GLOBAL__N_18offset_tEEE10hipError_tPvRmT1_PNSt15iterator_traitsISY_E10value_typeET2_T3_PNSZ_IS14_E10value_typeET4_jRbjT5_S1A_jjP12ihipStream_tbEUljE_EEESV_SW_SX_S14_S18_S1A_T6_T7_T9_mT8_S1C_bDpT10_ENKUlT_T0_E_clISt17integral_constantIbLb0EES1O_IbLb1EEEEDaS1K_S1L_EUlS1K_E_NS1_11comp_targetILNS1_3genE8ELNS1_11target_archE1030ELNS1_3gpuE2ELNS1_3repE0EEENS1_30default_config_static_selectorELNS0_4arch9wavefront6targetE1EEEvSY_.uses_flat_scratch, 0
	.set _ZN7rocprim17ROCPRIM_400000_NS6detail17trampoline_kernelINS0_13select_configILj256ELj13ELNS0_17block_load_methodE3ELS4_3ELS4_3ELNS0_20block_scan_algorithmE0ELj4294967295EEENS1_25partition_config_selectorILNS1_17partition_subalgoE3EjNS0_10empty_typeEbEEZZNS1_14partition_implILS8_3ELb0ES6_jNS0_17counting_iteratorIjlEEPS9_SE_NS0_5tupleIJPjSE_EEENSF_IJSE_SE_EEES9_SG_JZNS1_25segmented_radix_sort_implINS0_14default_configELb1EPKaPaPKlPlN2at6native12_GLOBAL__N_18offset_tEEE10hipError_tPvRmT1_PNSt15iterator_traitsISY_E10value_typeET2_T3_PNSZ_IS14_E10value_typeET4_jRbjT5_S1A_jjP12ihipStream_tbEUljE_EEESV_SW_SX_S14_S18_S1A_T6_T7_T9_mT8_S1C_bDpT10_ENKUlT_T0_E_clISt17integral_constantIbLb0EES1O_IbLb1EEEEDaS1K_S1L_EUlS1K_E_NS1_11comp_targetILNS1_3genE8ELNS1_11target_archE1030ELNS1_3gpuE2ELNS1_3repE0EEENS1_30default_config_static_selectorELNS0_4arch9wavefront6targetE1EEEvSY_.has_dyn_sized_stack, 0
	.set _ZN7rocprim17ROCPRIM_400000_NS6detail17trampoline_kernelINS0_13select_configILj256ELj13ELNS0_17block_load_methodE3ELS4_3ELS4_3ELNS0_20block_scan_algorithmE0ELj4294967295EEENS1_25partition_config_selectorILNS1_17partition_subalgoE3EjNS0_10empty_typeEbEEZZNS1_14partition_implILS8_3ELb0ES6_jNS0_17counting_iteratorIjlEEPS9_SE_NS0_5tupleIJPjSE_EEENSF_IJSE_SE_EEES9_SG_JZNS1_25segmented_radix_sort_implINS0_14default_configELb1EPKaPaPKlPlN2at6native12_GLOBAL__N_18offset_tEEE10hipError_tPvRmT1_PNSt15iterator_traitsISY_E10value_typeET2_T3_PNSZ_IS14_E10value_typeET4_jRbjT5_S1A_jjP12ihipStream_tbEUljE_EEESV_SW_SX_S14_S18_S1A_T6_T7_T9_mT8_S1C_bDpT10_ENKUlT_T0_E_clISt17integral_constantIbLb0EES1O_IbLb1EEEEDaS1K_S1L_EUlS1K_E_NS1_11comp_targetILNS1_3genE8ELNS1_11target_archE1030ELNS1_3gpuE2ELNS1_3repE0EEENS1_30default_config_static_selectorELNS0_4arch9wavefront6targetE1EEEvSY_.has_recursion, 0
	.set _ZN7rocprim17ROCPRIM_400000_NS6detail17trampoline_kernelINS0_13select_configILj256ELj13ELNS0_17block_load_methodE3ELS4_3ELS4_3ELNS0_20block_scan_algorithmE0ELj4294967295EEENS1_25partition_config_selectorILNS1_17partition_subalgoE3EjNS0_10empty_typeEbEEZZNS1_14partition_implILS8_3ELb0ES6_jNS0_17counting_iteratorIjlEEPS9_SE_NS0_5tupleIJPjSE_EEENSF_IJSE_SE_EEES9_SG_JZNS1_25segmented_radix_sort_implINS0_14default_configELb1EPKaPaPKlPlN2at6native12_GLOBAL__N_18offset_tEEE10hipError_tPvRmT1_PNSt15iterator_traitsISY_E10value_typeET2_T3_PNSZ_IS14_E10value_typeET4_jRbjT5_S1A_jjP12ihipStream_tbEUljE_EEESV_SW_SX_S14_S18_S1A_T6_T7_T9_mT8_S1C_bDpT10_ENKUlT_T0_E_clISt17integral_constantIbLb0EES1O_IbLb1EEEEDaS1K_S1L_EUlS1K_E_NS1_11comp_targetILNS1_3genE8ELNS1_11target_archE1030ELNS1_3gpuE2ELNS1_3repE0EEENS1_30default_config_static_selectorELNS0_4arch9wavefront6targetE1EEEvSY_.has_indirect_call, 0
	.section	.AMDGPU.csdata,"",@progbits
; Kernel info:
; codeLenInByte = 0
; TotalNumSgprs: 4
; NumVgprs: 0
; ScratchSize: 0
; MemoryBound: 0
; FloatMode: 240
; IeeeMode: 1
; LDSByteSize: 0 bytes/workgroup (compile time only)
; SGPRBlocks: 0
; VGPRBlocks: 0
; NumSGPRsForWavesPerEU: 4
; NumVGPRsForWavesPerEU: 1
; Occupancy: 10
; WaveLimiterHint : 0
; COMPUTE_PGM_RSRC2:SCRATCH_EN: 0
; COMPUTE_PGM_RSRC2:USER_SGPR: 6
; COMPUTE_PGM_RSRC2:TRAP_HANDLER: 0
; COMPUTE_PGM_RSRC2:TGID_X_EN: 1
; COMPUTE_PGM_RSRC2:TGID_Y_EN: 0
; COMPUTE_PGM_RSRC2:TGID_Z_EN: 0
; COMPUTE_PGM_RSRC2:TIDIG_COMP_CNT: 0
	.section	.text._ZN7rocprim17ROCPRIM_400000_NS6detail17trampoline_kernelINS0_14default_configENS1_36segmented_radix_sort_config_selectorIalEEZNS1_25segmented_radix_sort_implIS3_Lb1EPKaPaPKlPlN2at6native12_GLOBAL__N_18offset_tEEE10hipError_tPvRmT1_PNSt15iterator_traitsISK_E10value_typeET2_T3_PNSL_ISQ_E10value_typeET4_jRbjT5_SW_jjP12ihipStream_tbEUlT_E_NS1_11comp_targetILNS1_3genE0ELNS1_11target_archE4294967295ELNS1_3gpuE0ELNS1_3repE0EEENS1_30default_config_static_selectorELNS0_4arch9wavefront6targetE1EEEvSK_,"axG",@progbits,_ZN7rocprim17ROCPRIM_400000_NS6detail17trampoline_kernelINS0_14default_configENS1_36segmented_radix_sort_config_selectorIalEEZNS1_25segmented_radix_sort_implIS3_Lb1EPKaPaPKlPlN2at6native12_GLOBAL__N_18offset_tEEE10hipError_tPvRmT1_PNSt15iterator_traitsISK_E10value_typeET2_T3_PNSL_ISQ_E10value_typeET4_jRbjT5_SW_jjP12ihipStream_tbEUlT_E_NS1_11comp_targetILNS1_3genE0ELNS1_11target_archE4294967295ELNS1_3gpuE0ELNS1_3repE0EEENS1_30default_config_static_selectorELNS0_4arch9wavefront6targetE1EEEvSK_,comdat
	.globl	_ZN7rocprim17ROCPRIM_400000_NS6detail17trampoline_kernelINS0_14default_configENS1_36segmented_radix_sort_config_selectorIalEEZNS1_25segmented_radix_sort_implIS3_Lb1EPKaPaPKlPlN2at6native12_GLOBAL__N_18offset_tEEE10hipError_tPvRmT1_PNSt15iterator_traitsISK_E10value_typeET2_T3_PNSL_ISQ_E10value_typeET4_jRbjT5_SW_jjP12ihipStream_tbEUlT_E_NS1_11comp_targetILNS1_3genE0ELNS1_11target_archE4294967295ELNS1_3gpuE0ELNS1_3repE0EEENS1_30default_config_static_selectorELNS0_4arch9wavefront6targetE1EEEvSK_ ; -- Begin function _ZN7rocprim17ROCPRIM_400000_NS6detail17trampoline_kernelINS0_14default_configENS1_36segmented_radix_sort_config_selectorIalEEZNS1_25segmented_radix_sort_implIS3_Lb1EPKaPaPKlPlN2at6native12_GLOBAL__N_18offset_tEEE10hipError_tPvRmT1_PNSt15iterator_traitsISK_E10value_typeET2_T3_PNSL_ISQ_E10value_typeET4_jRbjT5_SW_jjP12ihipStream_tbEUlT_E_NS1_11comp_targetILNS1_3genE0ELNS1_11target_archE4294967295ELNS1_3gpuE0ELNS1_3repE0EEENS1_30default_config_static_selectorELNS0_4arch9wavefront6targetE1EEEvSK_
	.p2align	8
	.type	_ZN7rocprim17ROCPRIM_400000_NS6detail17trampoline_kernelINS0_14default_configENS1_36segmented_radix_sort_config_selectorIalEEZNS1_25segmented_radix_sort_implIS3_Lb1EPKaPaPKlPlN2at6native12_GLOBAL__N_18offset_tEEE10hipError_tPvRmT1_PNSt15iterator_traitsISK_E10value_typeET2_T3_PNSL_ISQ_E10value_typeET4_jRbjT5_SW_jjP12ihipStream_tbEUlT_E_NS1_11comp_targetILNS1_3genE0ELNS1_11target_archE4294967295ELNS1_3gpuE0ELNS1_3repE0EEENS1_30default_config_static_selectorELNS0_4arch9wavefront6targetE1EEEvSK_,@function
_ZN7rocprim17ROCPRIM_400000_NS6detail17trampoline_kernelINS0_14default_configENS1_36segmented_radix_sort_config_selectorIalEEZNS1_25segmented_radix_sort_implIS3_Lb1EPKaPaPKlPlN2at6native12_GLOBAL__N_18offset_tEEE10hipError_tPvRmT1_PNSt15iterator_traitsISK_E10value_typeET2_T3_PNSL_ISQ_E10value_typeET4_jRbjT5_SW_jjP12ihipStream_tbEUlT_E_NS1_11comp_targetILNS1_3genE0ELNS1_11target_archE4294967295ELNS1_3gpuE0ELNS1_3repE0EEENS1_30default_config_static_selectorELNS0_4arch9wavefront6targetE1EEEvSK_: ; @_ZN7rocprim17ROCPRIM_400000_NS6detail17trampoline_kernelINS0_14default_configENS1_36segmented_radix_sort_config_selectorIalEEZNS1_25segmented_radix_sort_implIS3_Lb1EPKaPaPKlPlN2at6native12_GLOBAL__N_18offset_tEEE10hipError_tPvRmT1_PNSt15iterator_traitsISK_E10value_typeET2_T3_PNSL_ISQ_E10value_typeET4_jRbjT5_SW_jjP12ihipStream_tbEUlT_E_NS1_11comp_targetILNS1_3genE0ELNS1_11target_archE4294967295ELNS1_3gpuE0ELNS1_3repE0EEENS1_30default_config_static_selectorELNS0_4arch9wavefront6targetE1EEEvSK_
; %bb.0:
	.section	.rodata,"a",@progbits
	.p2align	6, 0x0
	.amdhsa_kernel _ZN7rocprim17ROCPRIM_400000_NS6detail17trampoline_kernelINS0_14default_configENS1_36segmented_radix_sort_config_selectorIalEEZNS1_25segmented_radix_sort_implIS3_Lb1EPKaPaPKlPlN2at6native12_GLOBAL__N_18offset_tEEE10hipError_tPvRmT1_PNSt15iterator_traitsISK_E10value_typeET2_T3_PNSL_ISQ_E10value_typeET4_jRbjT5_SW_jjP12ihipStream_tbEUlT_E_NS1_11comp_targetILNS1_3genE0ELNS1_11target_archE4294967295ELNS1_3gpuE0ELNS1_3repE0EEENS1_30default_config_static_selectorELNS0_4arch9wavefront6targetE1EEEvSK_
		.amdhsa_group_segment_fixed_size 0
		.amdhsa_private_segment_fixed_size 0
		.amdhsa_kernarg_size 96
		.amdhsa_user_sgpr_count 6
		.amdhsa_user_sgpr_private_segment_buffer 1
		.amdhsa_user_sgpr_dispatch_ptr 0
		.amdhsa_user_sgpr_queue_ptr 0
		.amdhsa_user_sgpr_kernarg_segment_ptr 1
		.amdhsa_user_sgpr_dispatch_id 0
		.amdhsa_user_sgpr_flat_scratch_init 0
		.amdhsa_user_sgpr_private_segment_size 0
		.amdhsa_uses_dynamic_stack 0
		.amdhsa_system_sgpr_private_segment_wavefront_offset 0
		.amdhsa_system_sgpr_workgroup_id_x 1
		.amdhsa_system_sgpr_workgroup_id_y 0
		.amdhsa_system_sgpr_workgroup_id_z 0
		.amdhsa_system_sgpr_workgroup_info 0
		.amdhsa_system_vgpr_workitem_id 0
		.amdhsa_next_free_vgpr 1
		.amdhsa_next_free_sgpr 0
		.amdhsa_reserve_vcc 0
		.amdhsa_reserve_flat_scratch 0
		.amdhsa_float_round_mode_32 0
		.amdhsa_float_round_mode_16_64 0
		.amdhsa_float_denorm_mode_32 3
		.amdhsa_float_denorm_mode_16_64 3
		.amdhsa_dx10_clamp 1
		.amdhsa_ieee_mode 1
		.amdhsa_fp16_overflow 0
		.amdhsa_exception_fp_ieee_invalid_op 0
		.amdhsa_exception_fp_denorm_src 0
		.amdhsa_exception_fp_ieee_div_zero 0
		.amdhsa_exception_fp_ieee_overflow 0
		.amdhsa_exception_fp_ieee_underflow 0
		.amdhsa_exception_fp_ieee_inexact 0
		.amdhsa_exception_int_div_zero 0
	.end_amdhsa_kernel
	.section	.text._ZN7rocprim17ROCPRIM_400000_NS6detail17trampoline_kernelINS0_14default_configENS1_36segmented_radix_sort_config_selectorIalEEZNS1_25segmented_radix_sort_implIS3_Lb1EPKaPaPKlPlN2at6native12_GLOBAL__N_18offset_tEEE10hipError_tPvRmT1_PNSt15iterator_traitsISK_E10value_typeET2_T3_PNSL_ISQ_E10value_typeET4_jRbjT5_SW_jjP12ihipStream_tbEUlT_E_NS1_11comp_targetILNS1_3genE0ELNS1_11target_archE4294967295ELNS1_3gpuE0ELNS1_3repE0EEENS1_30default_config_static_selectorELNS0_4arch9wavefront6targetE1EEEvSK_,"axG",@progbits,_ZN7rocprim17ROCPRIM_400000_NS6detail17trampoline_kernelINS0_14default_configENS1_36segmented_radix_sort_config_selectorIalEEZNS1_25segmented_radix_sort_implIS3_Lb1EPKaPaPKlPlN2at6native12_GLOBAL__N_18offset_tEEE10hipError_tPvRmT1_PNSt15iterator_traitsISK_E10value_typeET2_T3_PNSL_ISQ_E10value_typeET4_jRbjT5_SW_jjP12ihipStream_tbEUlT_E_NS1_11comp_targetILNS1_3genE0ELNS1_11target_archE4294967295ELNS1_3gpuE0ELNS1_3repE0EEENS1_30default_config_static_selectorELNS0_4arch9wavefront6targetE1EEEvSK_,comdat
.Lfunc_end290:
	.size	_ZN7rocprim17ROCPRIM_400000_NS6detail17trampoline_kernelINS0_14default_configENS1_36segmented_radix_sort_config_selectorIalEEZNS1_25segmented_radix_sort_implIS3_Lb1EPKaPaPKlPlN2at6native12_GLOBAL__N_18offset_tEEE10hipError_tPvRmT1_PNSt15iterator_traitsISK_E10value_typeET2_T3_PNSL_ISQ_E10value_typeET4_jRbjT5_SW_jjP12ihipStream_tbEUlT_E_NS1_11comp_targetILNS1_3genE0ELNS1_11target_archE4294967295ELNS1_3gpuE0ELNS1_3repE0EEENS1_30default_config_static_selectorELNS0_4arch9wavefront6targetE1EEEvSK_, .Lfunc_end290-_ZN7rocprim17ROCPRIM_400000_NS6detail17trampoline_kernelINS0_14default_configENS1_36segmented_radix_sort_config_selectorIalEEZNS1_25segmented_radix_sort_implIS3_Lb1EPKaPaPKlPlN2at6native12_GLOBAL__N_18offset_tEEE10hipError_tPvRmT1_PNSt15iterator_traitsISK_E10value_typeET2_T3_PNSL_ISQ_E10value_typeET4_jRbjT5_SW_jjP12ihipStream_tbEUlT_E_NS1_11comp_targetILNS1_3genE0ELNS1_11target_archE4294967295ELNS1_3gpuE0ELNS1_3repE0EEENS1_30default_config_static_selectorELNS0_4arch9wavefront6targetE1EEEvSK_
                                        ; -- End function
	.set _ZN7rocprim17ROCPRIM_400000_NS6detail17trampoline_kernelINS0_14default_configENS1_36segmented_radix_sort_config_selectorIalEEZNS1_25segmented_radix_sort_implIS3_Lb1EPKaPaPKlPlN2at6native12_GLOBAL__N_18offset_tEEE10hipError_tPvRmT1_PNSt15iterator_traitsISK_E10value_typeET2_T3_PNSL_ISQ_E10value_typeET4_jRbjT5_SW_jjP12ihipStream_tbEUlT_E_NS1_11comp_targetILNS1_3genE0ELNS1_11target_archE4294967295ELNS1_3gpuE0ELNS1_3repE0EEENS1_30default_config_static_selectorELNS0_4arch9wavefront6targetE1EEEvSK_.num_vgpr, 0
	.set _ZN7rocprim17ROCPRIM_400000_NS6detail17trampoline_kernelINS0_14default_configENS1_36segmented_radix_sort_config_selectorIalEEZNS1_25segmented_radix_sort_implIS3_Lb1EPKaPaPKlPlN2at6native12_GLOBAL__N_18offset_tEEE10hipError_tPvRmT1_PNSt15iterator_traitsISK_E10value_typeET2_T3_PNSL_ISQ_E10value_typeET4_jRbjT5_SW_jjP12ihipStream_tbEUlT_E_NS1_11comp_targetILNS1_3genE0ELNS1_11target_archE4294967295ELNS1_3gpuE0ELNS1_3repE0EEENS1_30default_config_static_selectorELNS0_4arch9wavefront6targetE1EEEvSK_.num_agpr, 0
	.set _ZN7rocprim17ROCPRIM_400000_NS6detail17trampoline_kernelINS0_14default_configENS1_36segmented_radix_sort_config_selectorIalEEZNS1_25segmented_radix_sort_implIS3_Lb1EPKaPaPKlPlN2at6native12_GLOBAL__N_18offset_tEEE10hipError_tPvRmT1_PNSt15iterator_traitsISK_E10value_typeET2_T3_PNSL_ISQ_E10value_typeET4_jRbjT5_SW_jjP12ihipStream_tbEUlT_E_NS1_11comp_targetILNS1_3genE0ELNS1_11target_archE4294967295ELNS1_3gpuE0ELNS1_3repE0EEENS1_30default_config_static_selectorELNS0_4arch9wavefront6targetE1EEEvSK_.numbered_sgpr, 0
	.set _ZN7rocprim17ROCPRIM_400000_NS6detail17trampoline_kernelINS0_14default_configENS1_36segmented_radix_sort_config_selectorIalEEZNS1_25segmented_radix_sort_implIS3_Lb1EPKaPaPKlPlN2at6native12_GLOBAL__N_18offset_tEEE10hipError_tPvRmT1_PNSt15iterator_traitsISK_E10value_typeET2_T3_PNSL_ISQ_E10value_typeET4_jRbjT5_SW_jjP12ihipStream_tbEUlT_E_NS1_11comp_targetILNS1_3genE0ELNS1_11target_archE4294967295ELNS1_3gpuE0ELNS1_3repE0EEENS1_30default_config_static_selectorELNS0_4arch9wavefront6targetE1EEEvSK_.num_named_barrier, 0
	.set _ZN7rocprim17ROCPRIM_400000_NS6detail17trampoline_kernelINS0_14default_configENS1_36segmented_radix_sort_config_selectorIalEEZNS1_25segmented_radix_sort_implIS3_Lb1EPKaPaPKlPlN2at6native12_GLOBAL__N_18offset_tEEE10hipError_tPvRmT1_PNSt15iterator_traitsISK_E10value_typeET2_T3_PNSL_ISQ_E10value_typeET4_jRbjT5_SW_jjP12ihipStream_tbEUlT_E_NS1_11comp_targetILNS1_3genE0ELNS1_11target_archE4294967295ELNS1_3gpuE0ELNS1_3repE0EEENS1_30default_config_static_selectorELNS0_4arch9wavefront6targetE1EEEvSK_.private_seg_size, 0
	.set _ZN7rocprim17ROCPRIM_400000_NS6detail17trampoline_kernelINS0_14default_configENS1_36segmented_radix_sort_config_selectorIalEEZNS1_25segmented_radix_sort_implIS3_Lb1EPKaPaPKlPlN2at6native12_GLOBAL__N_18offset_tEEE10hipError_tPvRmT1_PNSt15iterator_traitsISK_E10value_typeET2_T3_PNSL_ISQ_E10value_typeET4_jRbjT5_SW_jjP12ihipStream_tbEUlT_E_NS1_11comp_targetILNS1_3genE0ELNS1_11target_archE4294967295ELNS1_3gpuE0ELNS1_3repE0EEENS1_30default_config_static_selectorELNS0_4arch9wavefront6targetE1EEEvSK_.uses_vcc, 0
	.set _ZN7rocprim17ROCPRIM_400000_NS6detail17trampoline_kernelINS0_14default_configENS1_36segmented_radix_sort_config_selectorIalEEZNS1_25segmented_radix_sort_implIS3_Lb1EPKaPaPKlPlN2at6native12_GLOBAL__N_18offset_tEEE10hipError_tPvRmT1_PNSt15iterator_traitsISK_E10value_typeET2_T3_PNSL_ISQ_E10value_typeET4_jRbjT5_SW_jjP12ihipStream_tbEUlT_E_NS1_11comp_targetILNS1_3genE0ELNS1_11target_archE4294967295ELNS1_3gpuE0ELNS1_3repE0EEENS1_30default_config_static_selectorELNS0_4arch9wavefront6targetE1EEEvSK_.uses_flat_scratch, 0
	.set _ZN7rocprim17ROCPRIM_400000_NS6detail17trampoline_kernelINS0_14default_configENS1_36segmented_radix_sort_config_selectorIalEEZNS1_25segmented_radix_sort_implIS3_Lb1EPKaPaPKlPlN2at6native12_GLOBAL__N_18offset_tEEE10hipError_tPvRmT1_PNSt15iterator_traitsISK_E10value_typeET2_T3_PNSL_ISQ_E10value_typeET4_jRbjT5_SW_jjP12ihipStream_tbEUlT_E_NS1_11comp_targetILNS1_3genE0ELNS1_11target_archE4294967295ELNS1_3gpuE0ELNS1_3repE0EEENS1_30default_config_static_selectorELNS0_4arch9wavefront6targetE1EEEvSK_.has_dyn_sized_stack, 0
	.set _ZN7rocprim17ROCPRIM_400000_NS6detail17trampoline_kernelINS0_14default_configENS1_36segmented_radix_sort_config_selectorIalEEZNS1_25segmented_radix_sort_implIS3_Lb1EPKaPaPKlPlN2at6native12_GLOBAL__N_18offset_tEEE10hipError_tPvRmT1_PNSt15iterator_traitsISK_E10value_typeET2_T3_PNSL_ISQ_E10value_typeET4_jRbjT5_SW_jjP12ihipStream_tbEUlT_E_NS1_11comp_targetILNS1_3genE0ELNS1_11target_archE4294967295ELNS1_3gpuE0ELNS1_3repE0EEENS1_30default_config_static_selectorELNS0_4arch9wavefront6targetE1EEEvSK_.has_recursion, 0
	.set _ZN7rocprim17ROCPRIM_400000_NS6detail17trampoline_kernelINS0_14default_configENS1_36segmented_radix_sort_config_selectorIalEEZNS1_25segmented_radix_sort_implIS3_Lb1EPKaPaPKlPlN2at6native12_GLOBAL__N_18offset_tEEE10hipError_tPvRmT1_PNSt15iterator_traitsISK_E10value_typeET2_T3_PNSL_ISQ_E10value_typeET4_jRbjT5_SW_jjP12ihipStream_tbEUlT_E_NS1_11comp_targetILNS1_3genE0ELNS1_11target_archE4294967295ELNS1_3gpuE0ELNS1_3repE0EEENS1_30default_config_static_selectorELNS0_4arch9wavefront6targetE1EEEvSK_.has_indirect_call, 0
	.section	.AMDGPU.csdata,"",@progbits
; Kernel info:
; codeLenInByte = 0
; TotalNumSgprs: 4
; NumVgprs: 0
; ScratchSize: 0
; MemoryBound: 0
; FloatMode: 240
; IeeeMode: 1
; LDSByteSize: 0 bytes/workgroup (compile time only)
; SGPRBlocks: 0
; VGPRBlocks: 0
; NumSGPRsForWavesPerEU: 4
; NumVGPRsForWavesPerEU: 1
; Occupancy: 10
; WaveLimiterHint : 0
; COMPUTE_PGM_RSRC2:SCRATCH_EN: 0
; COMPUTE_PGM_RSRC2:USER_SGPR: 6
; COMPUTE_PGM_RSRC2:TRAP_HANDLER: 0
; COMPUTE_PGM_RSRC2:TGID_X_EN: 1
; COMPUTE_PGM_RSRC2:TGID_Y_EN: 0
; COMPUTE_PGM_RSRC2:TGID_Z_EN: 0
; COMPUTE_PGM_RSRC2:TIDIG_COMP_CNT: 0
	.section	.text._ZN7rocprim17ROCPRIM_400000_NS6detail17trampoline_kernelINS0_14default_configENS1_36segmented_radix_sort_config_selectorIalEEZNS1_25segmented_radix_sort_implIS3_Lb1EPKaPaPKlPlN2at6native12_GLOBAL__N_18offset_tEEE10hipError_tPvRmT1_PNSt15iterator_traitsISK_E10value_typeET2_T3_PNSL_ISQ_E10value_typeET4_jRbjT5_SW_jjP12ihipStream_tbEUlT_E_NS1_11comp_targetILNS1_3genE5ELNS1_11target_archE942ELNS1_3gpuE9ELNS1_3repE0EEENS1_30default_config_static_selectorELNS0_4arch9wavefront6targetE1EEEvSK_,"axG",@progbits,_ZN7rocprim17ROCPRIM_400000_NS6detail17trampoline_kernelINS0_14default_configENS1_36segmented_radix_sort_config_selectorIalEEZNS1_25segmented_radix_sort_implIS3_Lb1EPKaPaPKlPlN2at6native12_GLOBAL__N_18offset_tEEE10hipError_tPvRmT1_PNSt15iterator_traitsISK_E10value_typeET2_T3_PNSL_ISQ_E10value_typeET4_jRbjT5_SW_jjP12ihipStream_tbEUlT_E_NS1_11comp_targetILNS1_3genE5ELNS1_11target_archE942ELNS1_3gpuE9ELNS1_3repE0EEENS1_30default_config_static_selectorELNS0_4arch9wavefront6targetE1EEEvSK_,comdat
	.globl	_ZN7rocprim17ROCPRIM_400000_NS6detail17trampoline_kernelINS0_14default_configENS1_36segmented_radix_sort_config_selectorIalEEZNS1_25segmented_radix_sort_implIS3_Lb1EPKaPaPKlPlN2at6native12_GLOBAL__N_18offset_tEEE10hipError_tPvRmT1_PNSt15iterator_traitsISK_E10value_typeET2_T3_PNSL_ISQ_E10value_typeET4_jRbjT5_SW_jjP12ihipStream_tbEUlT_E_NS1_11comp_targetILNS1_3genE5ELNS1_11target_archE942ELNS1_3gpuE9ELNS1_3repE0EEENS1_30default_config_static_selectorELNS0_4arch9wavefront6targetE1EEEvSK_ ; -- Begin function _ZN7rocprim17ROCPRIM_400000_NS6detail17trampoline_kernelINS0_14default_configENS1_36segmented_radix_sort_config_selectorIalEEZNS1_25segmented_radix_sort_implIS3_Lb1EPKaPaPKlPlN2at6native12_GLOBAL__N_18offset_tEEE10hipError_tPvRmT1_PNSt15iterator_traitsISK_E10value_typeET2_T3_PNSL_ISQ_E10value_typeET4_jRbjT5_SW_jjP12ihipStream_tbEUlT_E_NS1_11comp_targetILNS1_3genE5ELNS1_11target_archE942ELNS1_3gpuE9ELNS1_3repE0EEENS1_30default_config_static_selectorELNS0_4arch9wavefront6targetE1EEEvSK_
	.p2align	8
	.type	_ZN7rocprim17ROCPRIM_400000_NS6detail17trampoline_kernelINS0_14default_configENS1_36segmented_radix_sort_config_selectorIalEEZNS1_25segmented_radix_sort_implIS3_Lb1EPKaPaPKlPlN2at6native12_GLOBAL__N_18offset_tEEE10hipError_tPvRmT1_PNSt15iterator_traitsISK_E10value_typeET2_T3_PNSL_ISQ_E10value_typeET4_jRbjT5_SW_jjP12ihipStream_tbEUlT_E_NS1_11comp_targetILNS1_3genE5ELNS1_11target_archE942ELNS1_3gpuE9ELNS1_3repE0EEENS1_30default_config_static_selectorELNS0_4arch9wavefront6targetE1EEEvSK_,@function
_ZN7rocprim17ROCPRIM_400000_NS6detail17trampoline_kernelINS0_14default_configENS1_36segmented_radix_sort_config_selectorIalEEZNS1_25segmented_radix_sort_implIS3_Lb1EPKaPaPKlPlN2at6native12_GLOBAL__N_18offset_tEEE10hipError_tPvRmT1_PNSt15iterator_traitsISK_E10value_typeET2_T3_PNSL_ISQ_E10value_typeET4_jRbjT5_SW_jjP12ihipStream_tbEUlT_E_NS1_11comp_targetILNS1_3genE5ELNS1_11target_archE942ELNS1_3gpuE9ELNS1_3repE0EEENS1_30default_config_static_selectorELNS0_4arch9wavefront6targetE1EEEvSK_: ; @_ZN7rocprim17ROCPRIM_400000_NS6detail17trampoline_kernelINS0_14default_configENS1_36segmented_radix_sort_config_selectorIalEEZNS1_25segmented_radix_sort_implIS3_Lb1EPKaPaPKlPlN2at6native12_GLOBAL__N_18offset_tEEE10hipError_tPvRmT1_PNSt15iterator_traitsISK_E10value_typeET2_T3_PNSL_ISQ_E10value_typeET4_jRbjT5_SW_jjP12ihipStream_tbEUlT_E_NS1_11comp_targetILNS1_3genE5ELNS1_11target_archE942ELNS1_3gpuE9ELNS1_3repE0EEENS1_30default_config_static_selectorELNS0_4arch9wavefront6targetE1EEEvSK_
; %bb.0:
	.section	.rodata,"a",@progbits
	.p2align	6, 0x0
	.amdhsa_kernel _ZN7rocprim17ROCPRIM_400000_NS6detail17trampoline_kernelINS0_14default_configENS1_36segmented_radix_sort_config_selectorIalEEZNS1_25segmented_radix_sort_implIS3_Lb1EPKaPaPKlPlN2at6native12_GLOBAL__N_18offset_tEEE10hipError_tPvRmT1_PNSt15iterator_traitsISK_E10value_typeET2_T3_PNSL_ISQ_E10value_typeET4_jRbjT5_SW_jjP12ihipStream_tbEUlT_E_NS1_11comp_targetILNS1_3genE5ELNS1_11target_archE942ELNS1_3gpuE9ELNS1_3repE0EEENS1_30default_config_static_selectorELNS0_4arch9wavefront6targetE1EEEvSK_
		.amdhsa_group_segment_fixed_size 0
		.amdhsa_private_segment_fixed_size 0
		.amdhsa_kernarg_size 96
		.amdhsa_user_sgpr_count 6
		.amdhsa_user_sgpr_private_segment_buffer 1
		.amdhsa_user_sgpr_dispatch_ptr 0
		.amdhsa_user_sgpr_queue_ptr 0
		.amdhsa_user_sgpr_kernarg_segment_ptr 1
		.amdhsa_user_sgpr_dispatch_id 0
		.amdhsa_user_sgpr_flat_scratch_init 0
		.amdhsa_user_sgpr_private_segment_size 0
		.amdhsa_uses_dynamic_stack 0
		.amdhsa_system_sgpr_private_segment_wavefront_offset 0
		.amdhsa_system_sgpr_workgroup_id_x 1
		.amdhsa_system_sgpr_workgroup_id_y 0
		.amdhsa_system_sgpr_workgroup_id_z 0
		.amdhsa_system_sgpr_workgroup_info 0
		.amdhsa_system_vgpr_workitem_id 0
		.amdhsa_next_free_vgpr 1
		.amdhsa_next_free_sgpr 0
		.amdhsa_reserve_vcc 0
		.amdhsa_reserve_flat_scratch 0
		.amdhsa_float_round_mode_32 0
		.amdhsa_float_round_mode_16_64 0
		.amdhsa_float_denorm_mode_32 3
		.amdhsa_float_denorm_mode_16_64 3
		.amdhsa_dx10_clamp 1
		.amdhsa_ieee_mode 1
		.amdhsa_fp16_overflow 0
		.amdhsa_exception_fp_ieee_invalid_op 0
		.amdhsa_exception_fp_denorm_src 0
		.amdhsa_exception_fp_ieee_div_zero 0
		.amdhsa_exception_fp_ieee_overflow 0
		.amdhsa_exception_fp_ieee_underflow 0
		.amdhsa_exception_fp_ieee_inexact 0
		.amdhsa_exception_int_div_zero 0
	.end_amdhsa_kernel
	.section	.text._ZN7rocprim17ROCPRIM_400000_NS6detail17trampoline_kernelINS0_14default_configENS1_36segmented_radix_sort_config_selectorIalEEZNS1_25segmented_radix_sort_implIS3_Lb1EPKaPaPKlPlN2at6native12_GLOBAL__N_18offset_tEEE10hipError_tPvRmT1_PNSt15iterator_traitsISK_E10value_typeET2_T3_PNSL_ISQ_E10value_typeET4_jRbjT5_SW_jjP12ihipStream_tbEUlT_E_NS1_11comp_targetILNS1_3genE5ELNS1_11target_archE942ELNS1_3gpuE9ELNS1_3repE0EEENS1_30default_config_static_selectorELNS0_4arch9wavefront6targetE1EEEvSK_,"axG",@progbits,_ZN7rocprim17ROCPRIM_400000_NS6detail17trampoline_kernelINS0_14default_configENS1_36segmented_radix_sort_config_selectorIalEEZNS1_25segmented_radix_sort_implIS3_Lb1EPKaPaPKlPlN2at6native12_GLOBAL__N_18offset_tEEE10hipError_tPvRmT1_PNSt15iterator_traitsISK_E10value_typeET2_T3_PNSL_ISQ_E10value_typeET4_jRbjT5_SW_jjP12ihipStream_tbEUlT_E_NS1_11comp_targetILNS1_3genE5ELNS1_11target_archE942ELNS1_3gpuE9ELNS1_3repE0EEENS1_30default_config_static_selectorELNS0_4arch9wavefront6targetE1EEEvSK_,comdat
.Lfunc_end291:
	.size	_ZN7rocprim17ROCPRIM_400000_NS6detail17trampoline_kernelINS0_14default_configENS1_36segmented_radix_sort_config_selectorIalEEZNS1_25segmented_radix_sort_implIS3_Lb1EPKaPaPKlPlN2at6native12_GLOBAL__N_18offset_tEEE10hipError_tPvRmT1_PNSt15iterator_traitsISK_E10value_typeET2_T3_PNSL_ISQ_E10value_typeET4_jRbjT5_SW_jjP12ihipStream_tbEUlT_E_NS1_11comp_targetILNS1_3genE5ELNS1_11target_archE942ELNS1_3gpuE9ELNS1_3repE0EEENS1_30default_config_static_selectorELNS0_4arch9wavefront6targetE1EEEvSK_, .Lfunc_end291-_ZN7rocprim17ROCPRIM_400000_NS6detail17trampoline_kernelINS0_14default_configENS1_36segmented_radix_sort_config_selectorIalEEZNS1_25segmented_radix_sort_implIS3_Lb1EPKaPaPKlPlN2at6native12_GLOBAL__N_18offset_tEEE10hipError_tPvRmT1_PNSt15iterator_traitsISK_E10value_typeET2_T3_PNSL_ISQ_E10value_typeET4_jRbjT5_SW_jjP12ihipStream_tbEUlT_E_NS1_11comp_targetILNS1_3genE5ELNS1_11target_archE942ELNS1_3gpuE9ELNS1_3repE0EEENS1_30default_config_static_selectorELNS0_4arch9wavefront6targetE1EEEvSK_
                                        ; -- End function
	.set _ZN7rocprim17ROCPRIM_400000_NS6detail17trampoline_kernelINS0_14default_configENS1_36segmented_radix_sort_config_selectorIalEEZNS1_25segmented_radix_sort_implIS3_Lb1EPKaPaPKlPlN2at6native12_GLOBAL__N_18offset_tEEE10hipError_tPvRmT1_PNSt15iterator_traitsISK_E10value_typeET2_T3_PNSL_ISQ_E10value_typeET4_jRbjT5_SW_jjP12ihipStream_tbEUlT_E_NS1_11comp_targetILNS1_3genE5ELNS1_11target_archE942ELNS1_3gpuE9ELNS1_3repE0EEENS1_30default_config_static_selectorELNS0_4arch9wavefront6targetE1EEEvSK_.num_vgpr, 0
	.set _ZN7rocprim17ROCPRIM_400000_NS6detail17trampoline_kernelINS0_14default_configENS1_36segmented_radix_sort_config_selectorIalEEZNS1_25segmented_radix_sort_implIS3_Lb1EPKaPaPKlPlN2at6native12_GLOBAL__N_18offset_tEEE10hipError_tPvRmT1_PNSt15iterator_traitsISK_E10value_typeET2_T3_PNSL_ISQ_E10value_typeET4_jRbjT5_SW_jjP12ihipStream_tbEUlT_E_NS1_11comp_targetILNS1_3genE5ELNS1_11target_archE942ELNS1_3gpuE9ELNS1_3repE0EEENS1_30default_config_static_selectorELNS0_4arch9wavefront6targetE1EEEvSK_.num_agpr, 0
	.set _ZN7rocprim17ROCPRIM_400000_NS6detail17trampoline_kernelINS0_14default_configENS1_36segmented_radix_sort_config_selectorIalEEZNS1_25segmented_radix_sort_implIS3_Lb1EPKaPaPKlPlN2at6native12_GLOBAL__N_18offset_tEEE10hipError_tPvRmT1_PNSt15iterator_traitsISK_E10value_typeET2_T3_PNSL_ISQ_E10value_typeET4_jRbjT5_SW_jjP12ihipStream_tbEUlT_E_NS1_11comp_targetILNS1_3genE5ELNS1_11target_archE942ELNS1_3gpuE9ELNS1_3repE0EEENS1_30default_config_static_selectorELNS0_4arch9wavefront6targetE1EEEvSK_.numbered_sgpr, 0
	.set _ZN7rocprim17ROCPRIM_400000_NS6detail17trampoline_kernelINS0_14default_configENS1_36segmented_radix_sort_config_selectorIalEEZNS1_25segmented_radix_sort_implIS3_Lb1EPKaPaPKlPlN2at6native12_GLOBAL__N_18offset_tEEE10hipError_tPvRmT1_PNSt15iterator_traitsISK_E10value_typeET2_T3_PNSL_ISQ_E10value_typeET4_jRbjT5_SW_jjP12ihipStream_tbEUlT_E_NS1_11comp_targetILNS1_3genE5ELNS1_11target_archE942ELNS1_3gpuE9ELNS1_3repE0EEENS1_30default_config_static_selectorELNS0_4arch9wavefront6targetE1EEEvSK_.num_named_barrier, 0
	.set _ZN7rocprim17ROCPRIM_400000_NS6detail17trampoline_kernelINS0_14default_configENS1_36segmented_radix_sort_config_selectorIalEEZNS1_25segmented_radix_sort_implIS3_Lb1EPKaPaPKlPlN2at6native12_GLOBAL__N_18offset_tEEE10hipError_tPvRmT1_PNSt15iterator_traitsISK_E10value_typeET2_T3_PNSL_ISQ_E10value_typeET4_jRbjT5_SW_jjP12ihipStream_tbEUlT_E_NS1_11comp_targetILNS1_3genE5ELNS1_11target_archE942ELNS1_3gpuE9ELNS1_3repE0EEENS1_30default_config_static_selectorELNS0_4arch9wavefront6targetE1EEEvSK_.private_seg_size, 0
	.set _ZN7rocprim17ROCPRIM_400000_NS6detail17trampoline_kernelINS0_14default_configENS1_36segmented_radix_sort_config_selectorIalEEZNS1_25segmented_radix_sort_implIS3_Lb1EPKaPaPKlPlN2at6native12_GLOBAL__N_18offset_tEEE10hipError_tPvRmT1_PNSt15iterator_traitsISK_E10value_typeET2_T3_PNSL_ISQ_E10value_typeET4_jRbjT5_SW_jjP12ihipStream_tbEUlT_E_NS1_11comp_targetILNS1_3genE5ELNS1_11target_archE942ELNS1_3gpuE9ELNS1_3repE0EEENS1_30default_config_static_selectorELNS0_4arch9wavefront6targetE1EEEvSK_.uses_vcc, 0
	.set _ZN7rocprim17ROCPRIM_400000_NS6detail17trampoline_kernelINS0_14default_configENS1_36segmented_radix_sort_config_selectorIalEEZNS1_25segmented_radix_sort_implIS3_Lb1EPKaPaPKlPlN2at6native12_GLOBAL__N_18offset_tEEE10hipError_tPvRmT1_PNSt15iterator_traitsISK_E10value_typeET2_T3_PNSL_ISQ_E10value_typeET4_jRbjT5_SW_jjP12ihipStream_tbEUlT_E_NS1_11comp_targetILNS1_3genE5ELNS1_11target_archE942ELNS1_3gpuE9ELNS1_3repE0EEENS1_30default_config_static_selectorELNS0_4arch9wavefront6targetE1EEEvSK_.uses_flat_scratch, 0
	.set _ZN7rocprim17ROCPRIM_400000_NS6detail17trampoline_kernelINS0_14default_configENS1_36segmented_radix_sort_config_selectorIalEEZNS1_25segmented_radix_sort_implIS3_Lb1EPKaPaPKlPlN2at6native12_GLOBAL__N_18offset_tEEE10hipError_tPvRmT1_PNSt15iterator_traitsISK_E10value_typeET2_T3_PNSL_ISQ_E10value_typeET4_jRbjT5_SW_jjP12ihipStream_tbEUlT_E_NS1_11comp_targetILNS1_3genE5ELNS1_11target_archE942ELNS1_3gpuE9ELNS1_3repE0EEENS1_30default_config_static_selectorELNS0_4arch9wavefront6targetE1EEEvSK_.has_dyn_sized_stack, 0
	.set _ZN7rocprim17ROCPRIM_400000_NS6detail17trampoline_kernelINS0_14default_configENS1_36segmented_radix_sort_config_selectorIalEEZNS1_25segmented_radix_sort_implIS3_Lb1EPKaPaPKlPlN2at6native12_GLOBAL__N_18offset_tEEE10hipError_tPvRmT1_PNSt15iterator_traitsISK_E10value_typeET2_T3_PNSL_ISQ_E10value_typeET4_jRbjT5_SW_jjP12ihipStream_tbEUlT_E_NS1_11comp_targetILNS1_3genE5ELNS1_11target_archE942ELNS1_3gpuE9ELNS1_3repE0EEENS1_30default_config_static_selectorELNS0_4arch9wavefront6targetE1EEEvSK_.has_recursion, 0
	.set _ZN7rocprim17ROCPRIM_400000_NS6detail17trampoline_kernelINS0_14default_configENS1_36segmented_radix_sort_config_selectorIalEEZNS1_25segmented_radix_sort_implIS3_Lb1EPKaPaPKlPlN2at6native12_GLOBAL__N_18offset_tEEE10hipError_tPvRmT1_PNSt15iterator_traitsISK_E10value_typeET2_T3_PNSL_ISQ_E10value_typeET4_jRbjT5_SW_jjP12ihipStream_tbEUlT_E_NS1_11comp_targetILNS1_3genE5ELNS1_11target_archE942ELNS1_3gpuE9ELNS1_3repE0EEENS1_30default_config_static_selectorELNS0_4arch9wavefront6targetE1EEEvSK_.has_indirect_call, 0
	.section	.AMDGPU.csdata,"",@progbits
; Kernel info:
; codeLenInByte = 0
; TotalNumSgprs: 4
; NumVgprs: 0
; ScratchSize: 0
; MemoryBound: 0
; FloatMode: 240
; IeeeMode: 1
; LDSByteSize: 0 bytes/workgroup (compile time only)
; SGPRBlocks: 0
; VGPRBlocks: 0
; NumSGPRsForWavesPerEU: 4
; NumVGPRsForWavesPerEU: 1
; Occupancy: 10
; WaveLimiterHint : 0
; COMPUTE_PGM_RSRC2:SCRATCH_EN: 0
; COMPUTE_PGM_RSRC2:USER_SGPR: 6
; COMPUTE_PGM_RSRC2:TRAP_HANDLER: 0
; COMPUTE_PGM_RSRC2:TGID_X_EN: 1
; COMPUTE_PGM_RSRC2:TGID_Y_EN: 0
; COMPUTE_PGM_RSRC2:TGID_Z_EN: 0
; COMPUTE_PGM_RSRC2:TIDIG_COMP_CNT: 0
	.section	.text._ZN7rocprim17ROCPRIM_400000_NS6detail17trampoline_kernelINS0_14default_configENS1_36segmented_radix_sort_config_selectorIalEEZNS1_25segmented_radix_sort_implIS3_Lb1EPKaPaPKlPlN2at6native12_GLOBAL__N_18offset_tEEE10hipError_tPvRmT1_PNSt15iterator_traitsISK_E10value_typeET2_T3_PNSL_ISQ_E10value_typeET4_jRbjT5_SW_jjP12ihipStream_tbEUlT_E_NS1_11comp_targetILNS1_3genE4ELNS1_11target_archE910ELNS1_3gpuE8ELNS1_3repE0EEENS1_30default_config_static_selectorELNS0_4arch9wavefront6targetE1EEEvSK_,"axG",@progbits,_ZN7rocprim17ROCPRIM_400000_NS6detail17trampoline_kernelINS0_14default_configENS1_36segmented_radix_sort_config_selectorIalEEZNS1_25segmented_radix_sort_implIS3_Lb1EPKaPaPKlPlN2at6native12_GLOBAL__N_18offset_tEEE10hipError_tPvRmT1_PNSt15iterator_traitsISK_E10value_typeET2_T3_PNSL_ISQ_E10value_typeET4_jRbjT5_SW_jjP12ihipStream_tbEUlT_E_NS1_11comp_targetILNS1_3genE4ELNS1_11target_archE910ELNS1_3gpuE8ELNS1_3repE0EEENS1_30default_config_static_selectorELNS0_4arch9wavefront6targetE1EEEvSK_,comdat
	.globl	_ZN7rocprim17ROCPRIM_400000_NS6detail17trampoline_kernelINS0_14default_configENS1_36segmented_radix_sort_config_selectorIalEEZNS1_25segmented_radix_sort_implIS3_Lb1EPKaPaPKlPlN2at6native12_GLOBAL__N_18offset_tEEE10hipError_tPvRmT1_PNSt15iterator_traitsISK_E10value_typeET2_T3_PNSL_ISQ_E10value_typeET4_jRbjT5_SW_jjP12ihipStream_tbEUlT_E_NS1_11comp_targetILNS1_3genE4ELNS1_11target_archE910ELNS1_3gpuE8ELNS1_3repE0EEENS1_30default_config_static_selectorELNS0_4arch9wavefront6targetE1EEEvSK_ ; -- Begin function _ZN7rocprim17ROCPRIM_400000_NS6detail17trampoline_kernelINS0_14default_configENS1_36segmented_radix_sort_config_selectorIalEEZNS1_25segmented_radix_sort_implIS3_Lb1EPKaPaPKlPlN2at6native12_GLOBAL__N_18offset_tEEE10hipError_tPvRmT1_PNSt15iterator_traitsISK_E10value_typeET2_T3_PNSL_ISQ_E10value_typeET4_jRbjT5_SW_jjP12ihipStream_tbEUlT_E_NS1_11comp_targetILNS1_3genE4ELNS1_11target_archE910ELNS1_3gpuE8ELNS1_3repE0EEENS1_30default_config_static_selectorELNS0_4arch9wavefront6targetE1EEEvSK_
	.p2align	8
	.type	_ZN7rocprim17ROCPRIM_400000_NS6detail17trampoline_kernelINS0_14default_configENS1_36segmented_radix_sort_config_selectorIalEEZNS1_25segmented_radix_sort_implIS3_Lb1EPKaPaPKlPlN2at6native12_GLOBAL__N_18offset_tEEE10hipError_tPvRmT1_PNSt15iterator_traitsISK_E10value_typeET2_T3_PNSL_ISQ_E10value_typeET4_jRbjT5_SW_jjP12ihipStream_tbEUlT_E_NS1_11comp_targetILNS1_3genE4ELNS1_11target_archE910ELNS1_3gpuE8ELNS1_3repE0EEENS1_30default_config_static_selectorELNS0_4arch9wavefront6targetE1EEEvSK_,@function
_ZN7rocprim17ROCPRIM_400000_NS6detail17trampoline_kernelINS0_14default_configENS1_36segmented_radix_sort_config_selectorIalEEZNS1_25segmented_radix_sort_implIS3_Lb1EPKaPaPKlPlN2at6native12_GLOBAL__N_18offset_tEEE10hipError_tPvRmT1_PNSt15iterator_traitsISK_E10value_typeET2_T3_PNSL_ISQ_E10value_typeET4_jRbjT5_SW_jjP12ihipStream_tbEUlT_E_NS1_11comp_targetILNS1_3genE4ELNS1_11target_archE910ELNS1_3gpuE8ELNS1_3repE0EEENS1_30default_config_static_selectorELNS0_4arch9wavefront6targetE1EEEvSK_: ; @_ZN7rocprim17ROCPRIM_400000_NS6detail17trampoline_kernelINS0_14default_configENS1_36segmented_radix_sort_config_selectorIalEEZNS1_25segmented_radix_sort_implIS3_Lb1EPKaPaPKlPlN2at6native12_GLOBAL__N_18offset_tEEE10hipError_tPvRmT1_PNSt15iterator_traitsISK_E10value_typeET2_T3_PNSL_ISQ_E10value_typeET4_jRbjT5_SW_jjP12ihipStream_tbEUlT_E_NS1_11comp_targetILNS1_3genE4ELNS1_11target_archE910ELNS1_3gpuE8ELNS1_3repE0EEENS1_30default_config_static_selectorELNS0_4arch9wavefront6targetE1EEEvSK_
; %bb.0:
	.section	.rodata,"a",@progbits
	.p2align	6, 0x0
	.amdhsa_kernel _ZN7rocprim17ROCPRIM_400000_NS6detail17trampoline_kernelINS0_14default_configENS1_36segmented_radix_sort_config_selectorIalEEZNS1_25segmented_radix_sort_implIS3_Lb1EPKaPaPKlPlN2at6native12_GLOBAL__N_18offset_tEEE10hipError_tPvRmT1_PNSt15iterator_traitsISK_E10value_typeET2_T3_PNSL_ISQ_E10value_typeET4_jRbjT5_SW_jjP12ihipStream_tbEUlT_E_NS1_11comp_targetILNS1_3genE4ELNS1_11target_archE910ELNS1_3gpuE8ELNS1_3repE0EEENS1_30default_config_static_selectorELNS0_4arch9wavefront6targetE1EEEvSK_
		.amdhsa_group_segment_fixed_size 0
		.amdhsa_private_segment_fixed_size 0
		.amdhsa_kernarg_size 96
		.amdhsa_user_sgpr_count 6
		.amdhsa_user_sgpr_private_segment_buffer 1
		.amdhsa_user_sgpr_dispatch_ptr 0
		.amdhsa_user_sgpr_queue_ptr 0
		.amdhsa_user_sgpr_kernarg_segment_ptr 1
		.amdhsa_user_sgpr_dispatch_id 0
		.amdhsa_user_sgpr_flat_scratch_init 0
		.amdhsa_user_sgpr_private_segment_size 0
		.amdhsa_uses_dynamic_stack 0
		.amdhsa_system_sgpr_private_segment_wavefront_offset 0
		.amdhsa_system_sgpr_workgroup_id_x 1
		.amdhsa_system_sgpr_workgroup_id_y 0
		.amdhsa_system_sgpr_workgroup_id_z 0
		.amdhsa_system_sgpr_workgroup_info 0
		.amdhsa_system_vgpr_workitem_id 0
		.amdhsa_next_free_vgpr 1
		.amdhsa_next_free_sgpr 0
		.amdhsa_reserve_vcc 0
		.amdhsa_reserve_flat_scratch 0
		.amdhsa_float_round_mode_32 0
		.amdhsa_float_round_mode_16_64 0
		.amdhsa_float_denorm_mode_32 3
		.amdhsa_float_denorm_mode_16_64 3
		.amdhsa_dx10_clamp 1
		.amdhsa_ieee_mode 1
		.amdhsa_fp16_overflow 0
		.amdhsa_exception_fp_ieee_invalid_op 0
		.amdhsa_exception_fp_denorm_src 0
		.amdhsa_exception_fp_ieee_div_zero 0
		.amdhsa_exception_fp_ieee_overflow 0
		.amdhsa_exception_fp_ieee_underflow 0
		.amdhsa_exception_fp_ieee_inexact 0
		.amdhsa_exception_int_div_zero 0
	.end_amdhsa_kernel
	.section	.text._ZN7rocprim17ROCPRIM_400000_NS6detail17trampoline_kernelINS0_14default_configENS1_36segmented_radix_sort_config_selectorIalEEZNS1_25segmented_radix_sort_implIS3_Lb1EPKaPaPKlPlN2at6native12_GLOBAL__N_18offset_tEEE10hipError_tPvRmT1_PNSt15iterator_traitsISK_E10value_typeET2_T3_PNSL_ISQ_E10value_typeET4_jRbjT5_SW_jjP12ihipStream_tbEUlT_E_NS1_11comp_targetILNS1_3genE4ELNS1_11target_archE910ELNS1_3gpuE8ELNS1_3repE0EEENS1_30default_config_static_selectorELNS0_4arch9wavefront6targetE1EEEvSK_,"axG",@progbits,_ZN7rocprim17ROCPRIM_400000_NS6detail17trampoline_kernelINS0_14default_configENS1_36segmented_radix_sort_config_selectorIalEEZNS1_25segmented_radix_sort_implIS3_Lb1EPKaPaPKlPlN2at6native12_GLOBAL__N_18offset_tEEE10hipError_tPvRmT1_PNSt15iterator_traitsISK_E10value_typeET2_T3_PNSL_ISQ_E10value_typeET4_jRbjT5_SW_jjP12ihipStream_tbEUlT_E_NS1_11comp_targetILNS1_3genE4ELNS1_11target_archE910ELNS1_3gpuE8ELNS1_3repE0EEENS1_30default_config_static_selectorELNS0_4arch9wavefront6targetE1EEEvSK_,comdat
.Lfunc_end292:
	.size	_ZN7rocprim17ROCPRIM_400000_NS6detail17trampoline_kernelINS0_14default_configENS1_36segmented_radix_sort_config_selectorIalEEZNS1_25segmented_radix_sort_implIS3_Lb1EPKaPaPKlPlN2at6native12_GLOBAL__N_18offset_tEEE10hipError_tPvRmT1_PNSt15iterator_traitsISK_E10value_typeET2_T3_PNSL_ISQ_E10value_typeET4_jRbjT5_SW_jjP12ihipStream_tbEUlT_E_NS1_11comp_targetILNS1_3genE4ELNS1_11target_archE910ELNS1_3gpuE8ELNS1_3repE0EEENS1_30default_config_static_selectorELNS0_4arch9wavefront6targetE1EEEvSK_, .Lfunc_end292-_ZN7rocprim17ROCPRIM_400000_NS6detail17trampoline_kernelINS0_14default_configENS1_36segmented_radix_sort_config_selectorIalEEZNS1_25segmented_radix_sort_implIS3_Lb1EPKaPaPKlPlN2at6native12_GLOBAL__N_18offset_tEEE10hipError_tPvRmT1_PNSt15iterator_traitsISK_E10value_typeET2_T3_PNSL_ISQ_E10value_typeET4_jRbjT5_SW_jjP12ihipStream_tbEUlT_E_NS1_11comp_targetILNS1_3genE4ELNS1_11target_archE910ELNS1_3gpuE8ELNS1_3repE0EEENS1_30default_config_static_selectorELNS0_4arch9wavefront6targetE1EEEvSK_
                                        ; -- End function
	.set _ZN7rocprim17ROCPRIM_400000_NS6detail17trampoline_kernelINS0_14default_configENS1_36segmented_radix_sort_config_selectorIalEEZNS1_25segmented_radix_sort_implIS3_Lb1EPKaPaPKlPlN2at6native12_GLOBAL__N_18offset_tEEE10hipError_tPvRmT1_PNSt15iterator_traitsISK_E10value_typeET2_T3_PNSL_ISQ_E10value_typeET4_jRbjT5_SW_jjP12ihipStream_tbEUlT_E_NS1_11comp_targetILNS1_3genE4ELNS1_11target_archE910ELNS1_3gpuE8ELNS1_3repE0EEENS1_30default_config_static_selectorELNS0_4arch9wavefront6targetE1EEEvSK_.num_vgpr, 0
	.set _ZN7rocprim17ROCPRIM_400000_NS6detail17trampoline_kernelINS0_14default_configENS1_36segmented_radix_sort_config_selectorIalEEZNS1_25segmented_radix_sort_implIS3_Lb1EPKaPaPKlPlN2at6native12_GLOBAL__N_18offset_tEEE10hipError_tPvRmT1_PNSt15iterator_traitsISK_E10value_typeET2_T3_PNSL_ISQ_E10value_typeET4_jRbjT5_SW_jjP12ihipStream_tbEUlT_E_NS1_11comp_targetILNS1_3genE4ELNS1_11target_archE910ELNS1_3gpuE8ELNS1_3repE0EEENS1_30default_config_static_selectorELNS0_4arch9wavefront6targetE1EEEvSK_.num_agpr, 0
	.set _ZN7rocprim17ROCPRIM_400000_NS6detail17trampoline_kernelINS0_14default_configENS1_36segmented_radix_sort_config_selectorIalEEZNS1_25segmented_radix_sort_implIS3_Lb1EPKaPaPKlPlN2at6native12_GLOBAL__N_18offset_tEEE10hipError_tPvRmT1_PNSt15iterator_traitsISK_E10value_typeET2_T3_PNSL_ISQ_E10value_typeET4_jRbjT5_SW_jjP12ihipStream_tbEUlT_E_NS1_11comp_targetILNS1_3genE4ELNS1_11target_archE910ELNS1_3gpuE8ELNS1_3repE0EEENS1_30default_config_static_selectorELNS0_4arch9wavefront6targetE1EEEvSK_.numbered_sgpr, 0
	.set _ZN7rocprim17ROCPRIM_400000_NS6detail17trampoline_kernelINS0_14default_configENS1_36segmented_radix_sort_config_selectorIalEEZNS1_25segmented_radix_sort_implIS3_Lb1EPKaPaPKlPlN2at6native12_GLOBAL__N_18offset_tEEE10hipError_tPvRmT1_PNSt15iterator_traitsISK_E10value_typeET2_T3_PNSL_ISQ_E10value_typeET4_jRbjT5_SW_jjP12ihipStream_tbEUlT_E_NS1_11comp_targetILNS1_3genE4ELNS1_11target_archE910ELNS1_3gpuE8ELNS1_3repE0EEENS1_30default_config_static_selectorELNS0_4arch9wavefront6targetE1EEEvSK_.num_named_barrier, 0
	.set _ZN7rocprim17ROCPRIM_400000_NS6detail17trampoline_kernelINS0_14default_configENS1_36segmented_radix_sort_config_selectorIalEEZNS1_25segmented_radix_sort_implIS3_Lb1EPKaPaPKlPlN2at6native12_GLOBAL__N_18offset_tEEE10hipError_tPvRmT1_PNSt15iterator_traitsISK_E10value_typeET2_T3_PNSL_ISQ_E10value_typeET4_jRbjT5_SW_jjP12ihipStream_tbEUlT_E_NS1_11comp_targetILNS1_3genE4ELNS1_11target_archE910ELNS1_3gpuE8ELNS1_3repE0EEENS1_30default_config_static_selectorELNS0_4arch9wavefront6targetE1EEEvSK_.private_seg_size, 0
	.set _ZN7rocprim17ROCPRIM_400000_NS6detail17trampoline_kernelINS0_14default_configENS1_36segmented_radix_sort_config_selectorIalEEZNS1_25segmented_radix_sort_implIS3_Lb1EPKaPaPKlPlN2at6native12_GLOBAL__N_18offset_tEEE10hipError_tPvRmT1_PNSt15iterator_traitsISK_E10value_typeET2_T3_PNSL_ISQ_E10value_typeET4_jRbjT5_SW_jjP12ihipStream_tbEUlT_E_NS1_11comp_targetILNS1_3genE4ELNS1_11target_archE910ELNS1_3gpuE8ELNS1_3repE0EEENS1_30default_config_static_selectorELNS0_4arch9wavefront6targetE1EEEvSK_.uses_vcc, 0
	.set _ZN7rocprim17ROCPRIM_400000_NS6detail17trampoline_kernelINS0_14default_configENS1_36segmented_radix_sort_config_selectorIalEEZNS1_25segmented_radix_sort_implIS3_Lb1EPKaPaPKlPlN2at6native12_GLOBAL__N_18offset_tEEE10hipError_tPvRmT1_PNSt15iterator_traitsISK_E10value_typeET2_T3_PNSL_ISQ_E10value_typeET4_jRbjT5_SW_jjP12ihipStream_tbEUlT_E_NS1_11comp_targetILNS1_3genE4ELNS1_11target_archE910ELNS1_3gpuE8ELNS1_3repE0EEENS1_30default_config_static_selectorELNS0_4arch9wavefront6targetE1EEEvSK_.uses_flat_scratch, 0
	.set _ZN7rocprim17ROCPRIM_400000_NS6detail17trampoline_kernelINS0_14default_configENS1_36segmented_radix_sort_config_selectorIalEEZNS1_25segmented_radix_sort_implIS3_Lb1EPKaPaPKlPlN2at6native12_GLOBAL__N_18offset_tEEE10hipError_tPvRmT1_PNSt15iterator_traitsISK_E10value_typeET2_T3_PNSL_ISQ_E10value_typeET4_jRbjT5_SW_jjP12ihipStream_tbEUlT_E_NS1_11comp_targetILNS1_3genE4ELNS1_11target_archE910ELNS1_3gpuE8ELNS1_3repE0EEENS1_30default_config_static_selectorELNS0_4arch9wavefront6targetE1EEEvSK_.has_dyn_sized_stack, 0
	.set _ZN7rocprim17ROCPRIM_400000_NS6detail17trampoline_kernelINS0_14default_configENS1_36segmented_radix_sort_config_selectorIalEEZNS1_25segmented_radix_sort_implIS3_Lb1EPKaPaPKlPlN2at6native12_GLOBAL__N_18offset_tEEE10hipError_tPvRmT1_PNSt15iterator_traitsISK_E10value_typeET2_T3_PNSL_ISQ_E10value_typeET4_jRbjT5_SW_jjP12ihipStream_tbEUlT_E_NS1_11comp_targetILNS1_3genE4ELNS1_11target_archE910ELNS1_3gpuE8ELNS1_3repE0EEENS1_30default_config_static_selectorELNS0_4arch9wavefront6targetE1EEEvSK_.has_recursion, 0
	.set _ZN7rocprim17ROCPRIM_400000_NS6detail17trampoline_kernelINS0_14default_configENS1_36segmented_radix_sort_config_selectorIalEEZNS1_25segmented_radix_sort_implIS3_Lb1EPKaPaPKlPlN2at6native12_GLOBAL__N_18offset_tEEE10hipError_tPvRmT1_PNSt15iterator_traitsISK_E10value_typeET2_T3_PNSL_ISQ_E10value_typeET4_jRbjT5_SW_jjP12ihipStream_tbEUlT_E_NS1_11comp_targetILNS1_3genE4ELNS1_11target_archE910ELNS1_3gpuE8ELNS1_3repE0EEENS1_30default_config_static_selectorELNS0_4arch9wavefront6targetE1EEEvSK_.has_indirect_call, 0
	.section	.AMDGPU.csdata,"",@progbits
; Kernel info:
; codeLenInByte = 0
; TotalNumSgprs: 4
; NumVgprs: 0
; ScratchSize: 0
; MemoryBound: 0
; FloatMode: 240
; IeeeMode: 1
; LDSByteSize: 0 bytes/workgroup (compile time only)
; SGPRBlocks: 0
; VGPRBlocks: 0
; NumSGPRsForWavesPerEU: 4
; NumVGPRsForWavesPerEU: 1
; Occupancy: 10
; WaveLimiterHint : 0
; COMPUTE_PGM_RSRC2:SCRATCH_EN: 0
; COMPUTE_PGM_RSRC2:USER_SGPR: 6
; COMPUTE_PGM_RSRC2:TRAP_HANDLER: 0
; COMPUTE_PGM_RSRC2:TGID_X_EN: 1
; COMPUTE_PGM_RSRC2:TGID_Y_EN: 0
; COMPUTE_PGM_RSRC2:TGID_Z_EN: 0
; COMPUTE_PGM_RSRC2:TIDIG_COMP_CNT: 0
	.section	.text._ZN7rocprim17ROCPRIM_400000_NS6detail17trampoline_kernelINS0_14default_configENS1_36segmented_radix_sort_config_selectorIalEEZNS1_25segmented_radix_sort_implIS3_Lb1EPKaPaPKlPlN2at6native12_GLOBAL__N_18offset_tEEE10hipError_tPvRmT1_PNSt15iterator_traitsISK_E10value_typeET2_T3_PNSL_ISQ_E10value_typeET4_jRbjT5_SW_jjP12ihipStream_tbEUlT_E_NS1_11comp_targetILNS1_3genE3ELNS1_11target_archE908ELNS1_3gpuE7ELNS1_3repE0EEENS1_30default_config_static_selectorELNS0_4arch9wavefront6targetE1EEEvSK_,"axG",@progbits,_ZN7rocprim17ROCPRIM_400000_NS6detail17trampoline_kernelINS0_14default_configENS1_36segmented_radix_sort_config_selectorIalEEZNS1_25segmented_radix_sort_implIS3_Lb1EPKaPaPKlPlN2at6native12_GLOBAL__N_18offset_tEEE10hipError_tPvRmT1_PNSt15iterator_traitsISK_E10value_typeET2_T3_PNSL_ISQ_E10value_typeET4_jRbjT5_SW_jjP12ihipStream_tbEUlT_E_NS1_11comp_targetILNS1_3genE3ELNS1_11target_archE908ELNS1_3gpuE7ELNS1_3repE0EEENS1_30default_config_static_selectorELNS0_4arch9wavefront6targetE1EEEvSK_,comdat
	.globl	_ZN7rocprim17ROCPRIM_400000_NS6detail17trampoline_kernelINS0_14default_configENS1_36segmented_radix_sort_config_selectorIalEEZNS1_25segmented_radix_sort_implIS3_Lb1EPKaPaPKlPlN2at6native12_GLOBAL__N_18offset_tEEE10hipError_tPvRmT1_PNSt15iterator_traitsISK_E10value_typeET2_T3_PNSL_ISQ_E10value_typeET4_jRbjT5_SW_jjP12ihipStream_tbEUlT_E_NS1_11comp_targetILNS1_3genE3ELNS1_11target_archE908ELNS1_3gpuE7ELNS1_3repE0EEENS1_30default_config_static_selectorELNS0_4arch9wavefront6targetE1EEEvSK_ ; -- Begin function _ZN7rocprim17ROCPRIM_400000_NS6detail17trampoline_kernelINS0_14default_configENS1_36segmented_radix_sort_config_selectorIalEEZNS1_25segmented_radix_sort_implIS3_Lb1EPKaPaPKlPlN2at6native12_GLOBAL__N_18offset_tEEE10hipError_tPvRmT1_PNSt15iterator_traitsISK_E10value_typeET2_T3_PNSL_ISQ_E10value_typeET4_jRbjT5_SW_jjP12ihipStream_tbEUlT_E_NS1_11comp_targetILNS1_3genE3ELNS1_11target_archE908ELNS1_3gpuE7ELNS1_3repE0EEENS1_30default_config_static_selectorELNS0_4arch9wavefront6targetE1EEEvSK_
	.p2align	8
	.type	_ZN7rocprim17ROCPRIM_400000_NS6detail17trampoline_kernelINS0_14default_configENS1_36segmented_radix_sort_config_selectorIalEEZNS1_25segmented_radix_sort_implIS3_Lb1EPKaPaPKlPlN2at6native12_GLOBAL__N_18offset_tEEE10hipError_tPvRmT1_PNSt15iterator_traitsISK_E10value_typeET2_T3_PNSL_ISQ_E10value_typeET4_jRbjT5_SW_jjP12ihipStream_tbEUlT_E_NS1_11comp_targetILNS1_3genE3ELNS1_11target_archE908ELNS1_3gpuE7ELNS1_3repE0EEENS1_30default_config_static_selectorELNS0_4arch9wavefront6targetE1EEEvSK_,@function
_ZN7rocprim17ROCPRIM_400000_NS6detail17trampoline_kernelINS0_14default_configENS1_36segmented_radix_sort_config_selectorIalEEZNS1_25segmented_radix_sort_implIS3_Lb1EPKaPaPKlPlN2at6native12_GLOBAL__N_18offset_tEEE10hipError_tPvRmT1_PNSt15iterator_traitsISK_E10value_typeET2_T3_PNSL_ISQ_E10value_typeET4_jRbjT5_SW_jjP12ihipStream_tbEUlT_E_NS1_11comp_targetILNS1_3genE3ELNS1_11target_archE908ELNS1_3gpuE7ELNS1_3repE0EEENS1_30default_config_static_selectorELNS0_4arch9wavefront6targetE1EEEvSK_: ; @_ZN7rocprim17ROCPRIM_400000_NS6detail17trampoline_kernelINS0_14default_configENS1_36segmented_radix_sort_config_selectorIalEEZNS1_25segmented_radix_sort_implIS3_Lb1EPKaPaPKlPlN2at6native12_GLOBAL__N_18offset_tEEE10hipError_tPvRmT1_PNSt15iterator_traitsISK_E10value_typeET2_T3_PNSL_ISQ_E10value_typeET4_jRbjT5_SW_jjP12ihipStream_tbEUlT_E_NS1_11comp_targetILNS1_3genE3ELNS1_11target_archE908ELNS1_3gpuE7ELNS1_3repE0EEENS1_30default_config_static_selectorELNS0_4arch9wavefront6targetE1EEEvSK_
; %bb.0:
	.section	.rodata,"a",@progbits
	.p2align	6, 0x0
	.amdhsa_kernel _ZN7rocprim17ROCPRIM_400000_NS6detail17trampoline_kernelINS0_14default_configENS1_36segmented_radix_sort_config_selectorIalEEZNS1_25segmented_radix_sort_implIS3_Lb1EPKaPaPKlPlN2at6native12_GLOBAL__N_18offset_tEEE10hipError_tPvRmT1_PNSt15iterator_traitsISK_E10value_typeET2_T3_PNSL_ISQ_E10value_typeET4_jRbjT5_SW_jjP12ihipStream_tbEUlT_E_NS1_11comp_targetILNS1_3genE3ELNS1_11target_archE908ELNS1_3gpuE7ELNS1_3repE0EEENS1_30default_config_static_selectorELNS0_4arch9wavefront6targetE1EEEvSK_
		.amdhsa_group_segment_fixed_size 0
		.amdhsa_private_segment_fixed_size 0
		.amdhsa_kernarg_size 96
		.amdhsa_user_sgpr_count 6
		.amdhsa_user_sgpr_private_segment_buffer 1
		.amdhsa_user_sgpr_dispatch_ptr 0
		.amdhsa_user_sgpr_queue_ptr 0
		.amdhsa_user_sgpr_kernarg_segment_ptr 1
		.amdhsa_user_sgpr_dispatch_id 0
		.amdhsa_user_sgpr_flat_scratch_init 0
		.amdhsa_user_sgpr_private_segment_size 0
		.amdhsa_uses_dynamic_stack 0
		.amdhsa_system_sgpr_private_segment_wavefront_offset 0
		.amdhsa_system_sgpr_workgroup_id_x 1
		.amdhsa_system_sgpr_workgroup_id_y 0
		.amdhsa_system_sgpr_workgroup_id_z 0
		.amdhsa_system_sgpr_workgroup_info 0
		.amdhsa_system_vgpr_workitem_id 0
		.amdhsa_next_free_vgpr 1
		.amdhsa_next_free_sgpr 0
		.amdhsa_reserve_vcc 0
		.amdhsa_reserve_flat_scratch 0
		.amdhsa_float_round_mode_32 0
		.amdhsa_float_round_mode_16_64 0
		.amdhsa_float_denorm_mode_32 3
		.amdhsa_float_denorm_mode_16_64 3
		.amdhsa_dx10_clamp 1
		.amdhsa_ieee_mode 1
		.amdhsa_fp16_overflow 0
		.amdhsa_exception_fp_ieee_invalid_op 0
		.amdhsa_exception_fp_denorm_src 0
		.amdhsa_exception_fp_ieee_div_zero 0
		.amdhsa_exception_fp_ieee_overflow 0
		.amdhsa_exception_fp_ieee_underflow 0
		.amdhsa_exception_fp_ieee_inexact 0
		.amdhsa_exception_int_div_zero 0
	.end_amdhsa_kernel
	.section	.text._ZN7rocprim17ROCPRIM_400000_NS6detail17trampoline_kernelINS0_14default_configENS1_36segmented_radix_sort_config_selectorIalEEZNS1_25segmented_radix_sort_implIS3_Lb1EPKaPaPKlPlN2at6native12_GLOBAL__N_18offset_tEEE10hipError_tPvRmT1_PNSt15iterator_traitsISK_E10value_typeET2_T3_PNSL_ISQ_E10value_typeET4_jRbjT5_SW_jjP12ihipStream_tbEUlT_E_NS1_11comp_targetILNS1_3genE3ELNS1_11target_archE908ELNS1_3gpuE7ELNS1_3repE0EEENS1_30default_config_static_selectorELNS0_4arch9wavefront6targetE1EEEvSK_,"axG",@progbits,_ZN7rocprim17ROCPRIM_400000_NS6detail17trampoline_kernelINS0_14default_configENS1_36segmented_radix_sort_config_selectorIalEEZNS1_25segmented_radix_sort_implIS3_Lb1EPKaPaPKlPlN2at6native12_GLOBAL__N_18offset_tEEE10hipError_tPvRmT1_PNSt15iterator_traitsISK_E10value_typeET2_T3_PNSL_ISQ_E10value_typeET4_jRbjT5_SW_jjP12ihipStream_tbEUlT_E_NS1_11comp_targetILNS1_3genE3ELNS1_11target_archE908ELNS1_3gpuE7ELNS1_3repE0EEENS1_30default_config_static_selectorELNS0_4arch9wavefront6targetE1EEEvSK_,comdat
.Lfunc_end293:
	.size	_ZN7rocprim17ROCPRIM_400000_NS6detail17trampoline_kernelINS0_14default_configENS1_36segmented_radix_sort_config_selectorIalEEZNS1_25segmented_radix_sort_implIS3_Lb1EPKaPaPKlPlN2at6native12_GLOBAL__N_18offset_tEEE10hipError_tPvRmT1_PNSt15iterator_traitsISK_E10value_typeET2_T3_PNSL_ISQ_E10value_typeET4_jRbjT5_SW_jjP12ihipStream_tbEUlT_E_NS1_11comp_targetILNS1_3genE3ELNS1_11target_archE908ELNS1_3gpuE7ELNS1_3repE0EEENS1_30default_config_static_selectorELNS0_4arch9wavefront6targetE1EEEvSK_, .Lfunc_end293-_ZN7rocprim17ROCPRIM_400000_NS6detail17trampoline_kernelINS0_14default_configENS1_36segmented_radix_sort_config_selectorIalEEZNS1_25segmented_radix_sort_implIS3_Lb1EPKaPaPKlPlN2at6native12_GLOBAL__N_18offset_tEEE10hipError_tPvRmT1_PNSt15iterator_traitsISK_E10value_typeET2_T3_PNSL_ISQ_E10value_typeET4_jRbjT5_SW_jjP12ihipStream_tbEUlT_E_NS1_11comp_targetILNS1_3genE3ELNS1_11target_archE908ELNS1_3gpuE7ELNS1_3repE0EEENS1_30default_config_static_selectorELNS0_4arch9wavefront6targetE1EEEvSK_
                                        ; -- End function
	.set _ZN7rocprim17ROCPRIM_400000_NS6detail17trampoline_kernelINS0_14default_configENS1_36segmented_radix_sort_config_selectorIalEEZNS1_25segmented_radix_sort_implIS3_Lb1EPKaPaPKlPlN2at6native12_GLOBAL__N_18offset_tEEE10hipError_tPvRmT1_PNSt15iterator_traitsISK_E10value_typeET2_T3_PNSL_ISQ_E10value_typeET4_jRbjT5_SW_jjP12ihipStream_tbEUlT_E_NS1_11comp_targetILNS1_3genE3ELNS1_11target_archE908ELNS1_3gpuE7ELNS1_3repE0EEENS1_30default_config_static_selectorELNS0_4arch9wavefront6targetE1EEEvSK_.num_vgpr, 0
	.set _ZN7rocprim17ROCPRIM_400000_NS6detail17trampoline_kernelINS0_14default_configENS1_36segmented_radix_sort_config_selectorIalEEZNS1_25segmented_radix_sort_implIS3_Lb1EPKaPaPKlPlN2at6native12_GLOBAL__N_18offset_tEEE10hipError_tPvRmT1_PNSt15iterator_traitsISK_E10value_typeET2_T3_PNSL_ISQ_E10value_typeET4_jRbjT5_SW_jjP12ihipStream_tbEUlT_E_NS1_11comp_targetILNS1_3genE3ELNS1_11target_archE908ELNS1_3gpuE7ELNS1_3repE0EEENS1_30default_config_static_selectorELNS0_4arch9wavefront6targetE1EEEvSK_.num_agpr, 0
	.set _ZN7rocprim17ROCPRIM_400000_NS6detail17trampoline_kernelINS0_14default_configENS1_36segmented_radix_sort_config_selectorIalEEZNS1_25segmented_radix_sort_implIS3_Lb1EPKaPaPKlPlN2at6native12_GLOBAL__N_18offset_tEEE10hipError_tPvRmT1_PNSt15iterator_traitsISK_E10value_typeET2_T3_PNSL_ISQ_E10value_typeET4_jRbjT5_SW_jjP12ihipStream_tbEUlT_E_NS1_11comp_targetILNS1_3genE3ELNS1_11target_archE908ELNS1_3gpuE7ELNS1_3repE0EEENS1_30default_config_static_selectorELNS0_4arch9wavefront6targetE1EEEvSK_.numbered_sgpr, 0
	.set _ZN7rocprim17ROCPRIM_400000_NS6detail17trampoline_kernelINS0_14default_configENS1_36segmented_radix_sort_config_selectorIalEEZNS1_25segmented_radix_sort_implIS3_Lb1EPKaPaPKlPlN2at6native12_GLOBAL__N_18offset_tEEE10hipError_tPvRmT1_PNSt15iterator_traitsISK_E10value_typeET2_T3_PNSL_ISQ_E10value_typeET4_jRbjT5_SW_jjP12ihipStream_tbEUlT_E_NS1_11comp_targetILNS1_3genE3ELNS1_11target_archE908ELNS1_3gpuE7ELNS1_3repE0EEENS1_30default_config_static_selectorELNS0_4arch9wavefront6targetE1EEEvSK_.num_named_barrier, 0
	.set _ZN7rocprim17ROCPRIM_400000_NS6detail17trampoline_kernelINS0_14default_configENS1_36segmented_radix_sort_config_selectorIalEEZNS1_25segmented_radix_sort_implIS3_Lb1EPKaPaPKlPlN2at6native12_GLOBAL__N_18offset_tEEE10hipError_tPvRmT1_PNSt15iterator_traitsISK_E10value_typeET2_T3_PNSL_ISQ_E10value_typeET4_jRbjT5_SW_jjP12ihipStream_tbEUlT_E_NS1_11comp_targetILNS1_3genE3ELNS1_11target_archE908ELNS1_3gpuE7ELNS1_3repE0EEENS1_30default_config_static_selectorELNS0_4arch9wavefront6targetE1EEEvSK_.private_seg_size, 0
	.set _ZN7rocprim17ROCPRIM_400000_NS6detail17trampoline_kernelINS0_14default_configENS1_36segmented_radix_sort_config_selectorIalEEZNS1_25segmented_radix_sort_implIS3_Lb1EPKaPaPKlPlN2at6native12_GLOBAL__N_18offset_tEEE10hipError_tPvRmT1_PNSt15iterator_traitsISK_E10value_typeET2_T3_PNSL_ISQ_E10value_typeET4_jRbjT5_SW_jjP12ihipStream_tbEUlT_E_NS1_11comp_targetILNS1_3genE3ELNS1_11target_archE908ELNS1_3gpuE7ELNS1_3repE0EEENS1_30default_config_static_selectorELNS0_4arch9wavefront6targetE1EEEvSK_.uses_vcc, 0
	.set _ZN7rocprim17ROCPRIM_400000_NS6detail17trampoline_kernelINS0_14default_configENS1_36segmented_radix_sort_config_selectorIalEEZNS1_25segmented_radix_sort_implIS3_Lb1EPKaPaPKlPlN2at6native12_GLOBAL__N_18offset_tEEE10hipError_tPvRmT1_PNSt15iterator_traitsISK_E10value_typeET2_T3_PNSL_ISQ_E10value_typeET4_jRbjT5_SW_jjP12ihipStream_tbEUlT_E_NS1_11comp_targetILNS1_3genE3ELNS1_11target_archE908ELNS1_3gpuE7ELNS1_3repE0EEENS1_30default_config_static_selectorELNS0_4arch9wavefront6targetE1EEEvSK_.uses_flat_scratch, 0
	.set _ZN7rocprim17ROCPRIM_400000_NS6detail17trampoline_kernelINS0_14default_configENS1_36segmented_radix_sort_config_selectorIalEEZNS1_25segmented_radix_sort_implIS3_Lb1EPKaPaPKlPlN2at6native12_GLOBAL__N_18offset_tEEE10hipError_tPvRmT1_PNSt15iterator_traitsISK_E10value_typeET2_T3_PNSL_ISQ_E10value_typeET4_jRbjT5_SW_jjP12ihipStream_tbEUlT_E_NS1_11comp_targetILNS1_3genE3ELNS1_11target_archE908ELNS1_3gpuE7ELNS1_3repE0EEENS1_30default_config_static_selectorELNS0_4arch9wavefront6targetE1EEEvSK_.has_dyn_sized_stack, 0
	.set _ZN7rocprim17ROCPRIM_400000_NS6detail17trampoline_kernelINS0_14default_configENS1_36segmented_radix_sort_config_selectorIalEEZNS1_25segmented_radix_sort_implIS3_Lb1EPKaPaPKlPlN2at6native12_GLOBAL__N_18offset_tEEE10hipError_tPvRmT1_PNSt15iterator_traitsISK_E10value_typeET2_T3_PNSL_ISQ_E10value_typeET4_jRbjT5_SW_jjP12ihipStream_tbEUlT_E_NS1_11comp_targetILNS1_3genE3ELNS1_11target_archE908ELNS1_3gpuE7ELNS1_3repE0EEENS1_30default_config_static_selectorELNS0_4arch9wavefront6targetE1EEEvSK_.has_recursion, 0
	.set _ZN7rocprim17ROCPRIM_400000_NS6detail17trampoline_kernelINS0_14default_configENS1_36segmented_radix_sort_config_selectorIalEEZNS1_25segmented_radix_sort_implIS3_Lb1EPKaPaPKlPlN2at6native12_GLOBAL__N_18offset_tEEE10hipError_tPvRmT1_PNSt15iterator_traitsISK_E10value_typeET2_T3_PNSL_ISQ_E10value_typeET4_jRbjT5_SW_jjP12ihipStream_tbEUlT_E_NS1_11comp_targetILNS1_3genE3ELNS1_11target_archE908ELNS1_3gpuE7ELNS1_3repE0EEENS1_30default_config_static_selectorELNS0_4arch9wavefront6targetE1EEEvSK_.has_indirect_call, 0
	.section	.AMDGPU.csdata,"",@progbits
; Kernel info:
; codeLenInByte = 0
; TotalNumSgprs: 4
; NumVgprs: 0
; ScratchSize: 0
; MemoryBound: 0
; FloatMode: 240
; IeeeMode: 1
; LDSByteSize: 0 bytes/workgroup (compile time only)
; SGPRBlocks: 0
; VGPRBlocks: 0
; NumSGPRsForWavesPerEU: 4
; NumVGPRsForWavesPerEU: 1
; Occupancy: 10
; WaveLimiterHint : 0
; COMPUTE_PGM_RSRC2:SCRATCH_EN: 0
; COMPUTE_PGM_RSRC2:USER_SGPR: 6
; COMPUTE_PGM_RSRC2:TRAP_HANDLER: 0
; COMPUTE_PGM_RSRC2:TGID_X_EN: 1
; COMPUTE_PGM_RSRC2:TGID_Y_EN: 0
; COMPUTE_PGM_RSRC2:TGID_Z_EN: 0
; COMPUTE_PGM_RSRC2:TIDIG_COMP_CNT: 0
	.text
	.p2align	2                               ; -- Begin function _ZN7rocprim17ROCPRIM_400000_NS6detail40segmented_radix_sort_single_block_helperIalLj256ELj4ELb1EE4sortIPKaPaPKlPlEEbT_T0_T1_T2_jjjjRNS3_12storage_typeE
	.type	_ZN7rocprim17ROCPRIM_400000_NS6detail40segmented_radix_sort_single_block_helperIalLj256ELj4ELb1EE4sortIPKaPaPKlPlEEbT_T0_T1_T2_jjjjRNS3_12storage_typeE,@function
_ZN7rocprim17ROCPRIM_400000_NS6detail40segmented_radix_sort_single_block_helperIalLj256ELj4ELb1EE4sortIPKaPaPKlPlEEbT_T0_T1_T2_jjjjRNS3_12storage_typeE: ; @_ZN7rocprim17ROCPRIM_400000_NS6detail40segmented_radix_sort_single_block_helperIalLj256ELj4ELb1EE4sortIPKaPaPKlPlEEbT_T0_T1_T2_jjjjRNS3_12storage_typeE
; %bb.0:
	s_waitcnt vmcnt(0) expcnt(0) lgkmcnt(0)
	v_sub_u32_e32 v50, v9, v8
	s_movk_i32 s4, 0x401
	v_cmp_gt_u32_e32 vcc, s4, v50
	s_and_saveexec_b64 s[46:47], vcc
	s_cbranch_execz .LBB294_106
; %bb.1:
	s_movk_i32 s4, 0x200
	v_cmp_lt_u32_e32 vcc, s4, v50
	v_bfe_u32 v15, v31, 10, 10
	v_bfe_u32 v18, v31, 20, 10
	v_mbcnt_lo_u32_b32 v17, -1, 0
	s_and_saveexec_b64 s[4:5], vcc
	s_xor_b64 s[56:57], exec, s[4:5]
	s_cbranch_execz .LBB294_47
; %bb.2:
	s_load_dwordx2 s[4:5], s[8:9], 0x0
	v_mov_b32_e32 v9, 0
	v_and_b32_e32 v14, 0x3ff, v31
	v_add_co_u32_e32 v26, vcc, v0, v8
	s_waitcnt lgkmcnt(0)
	s_cmp_lt_u32 s13, s5
	s_cselect_b32 s5, 14, 20
	s_add_u32 s6, s8, s5
	s_addc_u32 s7, s9, 0
	s_cmp_lt_u32 s12, s4
	s_cselect_b32 s4, 12, 18
	s_add_u32 s4, s8, s4
	global_load_ushort v24, v9, s[6:7]
	s_addc_u32 s5, s9, 0
	global_load_ushort v25, v9, s[4:5]
	v_addc_co_u32_e32 v27, vcc, 0, v1, vcc
	v_mbcnt_hi_u32_b32 v19, -1, v17
	v_and_b32_e32 v20, 63, v19
	v_mov_b32_e32 v21, 0x80
	v_mov_b32_e32 v22, 0x80
	;; [unrolled: 1-line block ×4, first 2 shown]
	s_waitcnt vmcnt(1)
	v_mad_u32_u24 v0, v18, v24, v15
	s_waitcnt vmcnt(0)
	v_mad_u64_u32 v[0:1], s[4:5], v0, v25, v[14:15]
	v_add_co_u32_e32 v1, vcc, v26, v20
	v_lshlrev_b32_e32 v15, 2, v0
	v_addc_co_u32_e32 v18, vcc, 0, v27, vcc
	v_and_b32_e32 v15, 0xffffff00, v15
	v_add_co_u32_e32 v17, vcc, v1, v15
	v_addc_co_u32_e32 v18, vcc, 0, v18, vcc
	v_or_b32_e32 v24, v15, v20
	v_cmp_lt_u32_e32 vcc, v24, v50
	v_mov_b32_e32 v1, 0x80
	s_and_saveexec_b64 s[4:5], vcc
	s_cbranch_execz .LBB294_4
; %bb.3:
	flat_load_ubyte v22, v[17:18]
	v_mov_b32_e32 v21, 0x80
	v_mov_b32_e32 v23, 0x80
	;; [unrolled: 1-line block ×3, first 2 shown]
.LBB294_4:
	s_or_b64 exec, exec, s[4:5]
	v_or_b32_e32 v25, 64, v24
	v_cmp_lt_u32_e64 s[4:5], v25, v50
	s_and_saveexec_b64 s[6:7], s[4:5]
	s_cbranch_execz .LBB294_6
; %bb.5:
	flat_load_ubyte v23, v[17:18] offset:64
.LBB294_6:
	s_or_b64 exec, exec, s[6:7]
	v_or_b32_e32 v25, 0x80, v24
	v_cmp_lt_u32_e64 s[6:7], v25, v50
	s_and_saveexec_b64 s[10:11], s[6:7]
	s_cbranch_execz .LBB294_8
; %bb.7:
	flat_load_ubyte v1, v[17:18] offset:128
.LBB294_8:
	;; [unrolled: 8-line block ×3, first 2 shown]
	s_or_b64 exec, exec, s[14:15]
	v_lshlrev_b64 v[17:18], 3, v[8:9]
	v_lshlrev_b32_e32 v9, 3, v20
	v_add_co_u32_e64 v4, s[14:15], v4, v17
	v_addc_co_u32_e64 v5, s[14:15], v5, v18, s[14:15]
	v_add_co_u32_e64 v9, s[14:15], v4, v9
	v_addc_co_u32_e64 v24, s[14:15], 0, v5, s[14:15]
	v_lshlrev_b64 v[4:5], 3, v[15:16]
                                        ; implicit-def: $vgpr25_vgpr26
	v_add_co_u32_e64 v4, s[14:15], v9, v4
	v_addc_co_u32_e64 v5, s[14:15], v24, v5, s[14:15]
	s_and_saveexec_b64 s[14:15], vcc
	s_cbranch_execnz .LBB294_71
; %bb.11:
	s_or_b64 exec, exec, s[14:15]
                                        ; implicit-def: $vgpr27_vgpr28
	s_and_saveexec_b64 s[14:15], s[4:5]
	s_cbranch_execnz .LBB294_72
.LBB294_12:
	s_or_b64 exec, exec, s[14:15]
                                        ; implicit-def: $vgpr29_vgpr30
	s_and_saveexec_b64 s[4:5], s[6:7]
	s_cbranch_execnz .LBB294_73
.LBB294_13:
	s_or_b64 exec, exec, s[4:5]
                                        ; implicit-def: $vgpr31_vgpr32
	s_and_saveexec_b64 s[4:5], s[10:11]
	s_cbranch_execz .LBB294_15
.LBB294_14:
	flat_load_dwordx2 v[31:32], v[4:5] offset:1536
.LBB294_15:
	s_or_b64 exec, exec, s[4:5]
	s_movk_i32 s4, 0x7f
	s_waitcnt vmcnt(0) lgkmcnt(0)
	v_xor_b32_e32 v4, 0x7f, v22
	v_xor_b32_sdwa v5, v23, s4 dst_sel:BYTE_1 dst_unused:UNUSED_PAD src0_sel:DWORD src1_sel:DWORD
	v_or_b32_sdwa v4, v4, v5 dst_sel:DWORD dst_unused:UNUSED_PAD src0_sel:BYTE_0 src1_sel:DWORD
	v_xor_b32_e32 v1, 0x7f, v1
	v_xor_b32_sdwa v5, v21, s4 dst_sel:BYTE_1 dst_unused:UNUSED_PAD src0_sel:DWORD src1_sel:DWORD
	v_or_b32_sdwa v1, v1, v5 dst_sel:WORD_1 dst_unused:UNUSED_PAD src0_sel:BYTE_0 src1_sel:DWORD
	v_or_b32_sdwa v54, v4, v1 dst_sel:DWORD dst_unused:UNUSED_PAD src0_sel:WORD_0 src1_sel:DWORD
	v_lshl_add_u32 v4, v14, 4, v12
	s_getpc_b64 s[4:5]
	s_add_u32 s4, s4, _ZN7rocprim17ROCPRIM_400000_NS16block_radix_sortIaLj256ELj4ElLj1ELj1ELj8ELNS0_26block_radix_rank_algorithmE2ELNS0_18block_padding_hintE2ELNS0_4arch9wavefront6targetE1EE19radix_bits_per_passE@rel32@lo+4
	s_addc_u32 s5, s5, _ZN7rocprim17ROCPRIM_400000_NS16block_radix_sortIaLj256ELj4ElLj1ELj1ELj8ELNS0_26block_radix_rank_algorithmE2ELNS0_18block_padding_hintE2ELNS0_4arch9wavefront6targetE1EE19radix_bits_per_passE@rel32@hi+12
	v_add_u32_e32 v1, 16, v4
	v_add_u32_e32 v9, 20, v4
	;; [unrolled: 1-line block ×4, first 2 shown]
	v_and_b32_e32 v4, 15, v19
	s_load_dword s62, s[4:5], 0x0
	v_cmp_eq_u32_e32 vcc, 0, v4
	v_cmp_lt_u32_e64 s[4:5], 1, v4
	v_cmp_lt_u32_e64 s[6:7], 3, v4
	;; [unrolled: 1-line block ×3, first 2 shown]
	v_and_b32_e32 v4, 16, v19
	v_cmp_eq_u32_e64 s[40:41], 0, v4
	v_and_b32_e32 v4, 0x3c0, v14
	v_min_u32_e32 v4, 0xc0, v4
	v_or_b32_e32 v4, 63, v4
	v_cmp_eq_u32_e64 s[16:17], v14, v4
	v_subrev_co_u32_e64 v4, s[22:23], 1, v19
	v_and_b32_e32 v15, 64, v19
	v_lshlrev_b32_e32 v5, 2, v14
	v_cmp_lt_i32_e64 s[24:25], v4, v15
	s_movk_i32 s42, 0xf00
	v_cndmask_b32_e64 v4, v4, v19, s[24:25]
	v_add_u32_e32 v65, v12, v5
	v_and_or_b32 v5, v5, s42, v20
	v_lshlrev_b32_e32 v55, 2, v4
	v_lshrrev_b32_e32 v4, 4, v14
	v_add_u32_e32 v66, v12, v5
	v_mul_u32_u24_e32 v5, 7, v5
	v_and_b32_e32 v4, 60, v4
	v_and_b32_e32 v15, 3, v19
	v_add_u32_e32 v70, v66, v5
	v_lshrrev_b32_e32 v53, 6, v0
	v_cmp_lt_u32_e64 s[14:15], 31, v19
	v_cmp_gt_u32_e64 s[18:19], 4, v14
	v_cmp_lt_u32_e64 s[20:21], 63, v14
	v_cmp_eq_u32_e64 s[24:25], 0, v14
	v_add_u32_e32 v64, v12, v4
	v_mov_b32_e32 v4, 0
	v_cmp_eq_u32_e64 s[26:27], 0, v15
	v_cmp_lt_u32_e64 s[28:29], 1, v15
	v_add_u32_e32 v67, 64, v66
	v_add_u32_e32 v68, 0x80, v66
	v_add_u32_e32 v69, 0xc0, v66
	v_add_u32_e32 v71, 0x200, v70
	v_add_u32_e32 v80, 0x400, v70
	v_add_u32_e32 v81, 0x600, v70
	v_sub_u32_e32 v82, v11, v10
	s_mov_b64 s[58:59], 0
	s_mov_b32 s63, 0xc0c0004
	s_waitcnt lgkmcnt(0)
	s_barrier
	s_branch .LBB294_17
.LBB294_16:                             ;   in Loop: Header=BB294_17 Depth=1
	s_or_b64 exec, exec, s[44:45]
	s_and_b64 s[42:43], exec, s[60:61]
	s_or_b64 s[58:59], s[42:43], s[58:59]
	s_andn2_b64 exec, exec, s[58:59]
	s_cbranch_execz .LBB294_33
.LBB294_17:                             ; =>This Inner Loop Header: Depth=1
	v_min_u32_e32 v5, s62, v82
	v_mov_b32_e32 v15, v31
	v_lshlrev_b32_e64 v5, v5, -1
	v_mov_b32_e32 v23, v25
	v_mov_b32_e32 v16, v32
	v_not_b32_e32 v32, v5
	v_lshrrev_b32_sdwa v5, v10, v54 dst_sel:DWORD dst_unused:UNUSED_PAD src0_sel:DWORD src1_sel:BYTE_0
	v_mov_b32_e32 v24, v26
	v_and_b32_e32 v25, v5, v32
	v_lshlrev_b32_e32 v5, 2, v25
	v_add_lshl_u32 v5, v5, v53, 2
	v_mov_b32_e32 v21, v27
	v_add_co_u32_e64 v5, s[42:43], v12, v5
	v_mov_b32_e32 v22, v28
	v_add_co_u32_e64 v27, s[42:43], 16, v5
	v_and_b32_e32 v5, 1, v25
	v_add_co_u32_e64 v26, s[42:43], -1, v5
	v_addc_co_u32_e64 v28, s[42:43], 0, -1, s[42:43]
	v_cmp_ne_u32_e64 s[42:43], 0, v5
	v_xor_b32_e32 v5, s43, v28
	v_and_b32_e32 v28, exec_hi, v5
	v_lshlrev_b32_e32 v5, 30, v25
	v_xor_b32_e32 v26, s42, v26
	v_cmp_gt_i64_e64 s[42:43], 0, v[4:5]
	v_not_b32_e32 v5, v5
	v_mov_b32_e32 v19, v29
	v_ashrrev_i32_e32 v5, 31, v5
	v_mov_b32_e32 v20, v30
	v_and_b32_e32 v26, exec_lo, v26
	v_xor_b32_e32 v29, s43, v5
	v_xor_b32_e32 v5, s42, v5
	v_and_b32_e32 v26, v26, v5
	v_lshlrev_b32_e32 v5, 29, v25
	v_cmp_gt_i64_e64 s[42:43], 0, v[4:5]
	v_not_b32_e32 v5, v5
	v_ashrrev_i32_e32 v5, 31, v5
	v_and_b32_e32 v28, v28, v29
	v_xor_b32_e32 v29, s43, v5
	v_xor_b32_e32 v5, s42, v5
	v_and_b32_e32 v26, v26, v5
	v_lshlrev_b32_e32 v5, 28, v25
	v_cmp_gt_i64_e64 s[42:43], 0, v[4:5]
	v_not_b32_e32 v5, v5
	v_ashrrev_i32_e32 v5, 31, v5
	v_and_b32_e32 v28, v28, v29
	;; [unrolled: 8-line block ×5, first 2 shown]
	v_xor_b32_e32 v29, s43, v5
	v_xor_b32_e32 v5, s42, v5
	v_and_b32_e32 v28, v28, v29
	v_and_b32_e32 v29, v26, v5
	v_lshlrev_b32_e32 v5, 24, v25
	v_cmp_gt_i64_e64 s[42:43], 0, v[4:5]
	v_not_b32_e32 v5, v5
	v_ashrrev_i32_e32 v5, 31, v5
	v_xor_b32_e32 v25, s43, v5
	v_xor_b32_e32 v5, s42, v5
	v_and_b32_e32 v26, v28, v25
	v_and_b32_e32 v25, v29, v5
	v_mbcnt_lo_u32_b32 v5, v25, 0
	v_mbcnt_hi_u32_b32 v28, v26, v5
	v_cmp_ne_u64_e64 s[42:43], 0, v[25:26]
	v_cmp_eq_u32_e64 s[44:45], 0, v28
	s_and_b64 s[44:45], s[42:43], s[44:45]
	ds_write_b32 v1, v4
	ds_write_b32 v9, v4
	;; [unrolled: 1-line block ×4, first 2 shown]
	s_waitcnt lgkmcnt(0)
	s_barrier
	; wave barrier
	s_and_saveexec_b64 s[42:43], s[44:45]
; %bb.18:                               ;   in Loop: Header=BB294_17 Depth=1
	v_bcnt_u32_b32 v5, v25, 0
	v_bcnt_u32_b32 v5, v26, v5
	ds_write_b32 v27, v5
; %bb.19:                               ;   in Loop: Header=BB294_17 Depth=1
	s_or_b64 exec, exec, s[42:43]
	v_lshrrev_b32_sdwa v5, v10, v54 dst_sel:DWORD dst_unused:UNUSED_PAD src0_sel:DWORD src1_sel:BYTE_1
	v_and_b32_e32 v25, v5, v32
	v_lshl_add_u32 v5, v25, 2, v53
	v_lshl_add_u32 v5, v5, 2, v12
	; wave barrier
	v_add_u32_e32 v30, 16, v5
	ds_read_b32 v29, v5 offset:16
	v_and_b32_e32 v5, 1, v25
	v_add_co_u32_e64 v26, s[42:43], -1, v5
	v_addc_co_u32_e64 v31, s[42:43], 0, -1, s[42:43]
	v_cmp_ne_u32_e64 s[42:43], 0, v5
	v_xor_b32_e32 v5, s43, v31
	v_and_b32_e32 v31, exec_hi, v5
	v_lshlrev_b32_e32 v5, 30, v25
	v_xor_b32_e32 v26, s42, v26
	v_cmp_gt_i64_e64 s[42:43], 0, v[4:5]
	v_not_b32_e32 v5, v5
	v_ashrrev_i32_e32 v5, 31, v5
	v_and_b32_e32 v26, exec_lo, v26
	v_xor_b32_e32 v33, s43, v5
	v_xor_b32_e32 v5, s42, v5
	v_and_b32_e32 v26, v26, v5
	v_lshlrev_b32_e32 v5, 29, v25
	v_cmp_gt_i64_e64 s[42:43], 0, v[4:5]
	v_not_b32_e32 v5, v5
	v_ashrrev_i32_e32 v5, 31, v5
	v_and_b32_e32 v31, v31, v33
	v_xor_b32_e32 v33, s43, v5
	v_xor_b32_e32 v5, s42, v5
	v_and_b32_e32 v26, v26, v5
	v_lshlrev_b32_e32 v5, 28, v25
	v_cmp_gt_i64_e64 s[42:43], 0, v[4:5]
	v_not_b32_e32 v5, v5
	v_ashrrev_i32_e32 v5, 31, v5
	v_and_b32_e32 v31, v31, v33
	;; [unrolled: 8-line block ×5, first 2 shown]
	v_xor_b32_e32 v33, s43, v5
	v_xor_b32_e32 v5, s42, v5
	v_and_b32_e32 v31, v31, v33
	v_and_b32_e32 v33, v26, v5
	v_lshlrev_b32_e32 v5, 24, v25
	v_cmp_gt_i64_e64 s[42:43], 0, v[4:5]
	v_not_b32_e32 v5, v5
	v_ashrrev_i32_e32 v5, 31, v5
	v_xor_b32_e32 v25, s43, v5
	v_xor_b32_e32 v5, s42, v5
	v_and_b32_e32 v26, v31, v25
	v_and_b32_e32 v25, v33, v5
	v_mbcnt_lo_u32_b32 v5, v25, 0
	v_mbcnt_hi_u32_b32 v31, v26, v5
	v_cmp_ne_u64_e64 s[42:43], 0, v[25:26]
	v_cmp_eq_u32_e64 s[44:45], 0, v31
	s_and_b64 s[44:45], s[42:43], s[44:45]
	; wave barrier
	s_and_saveexec_b64 s[42:43], s[44:45]
	s_cbranch_execz .LBB294_21
; %bb.20:                               ;   in Loop: Header=BB294_17 Depth=1
	v_bcnt_u32_b32 v5, v25, 0
	v_bcnt_u32_b32 v5, v26, v5
	s_waitcnt lgkmcnt(0)
	v_add_u32_e32 v5, v29, v5
	ds_write_b32 v30, v5
.LBB294_21:                             ;   in Loop: Header=BB294_17 Depth=1
	s_or_b64 exec, exec, s[42:43]
	v_lshrrev_b32_sdwa v5, v10, v54 dst_sel:DWORD dst_unused:UNUSED_PAD src0_sel:DWORD src1_sel:BYTE_2
	v_and_b32_e32 v25, v5, v32
	v_lshl_add_u32 v5, v25, 2, v53
	v_lshl_add_u32 v5, v5, 2, v12
	; wave barrier
	v_add_u32_e32 v34, 16, v5
	ds_read_b32 v33, v5 offset:16
	v_and_b32_e32 v5, 1, v25
	v_add_co_u32_e64 v26, s[42:43], -1, v5
	v_addc_co_u32_e64 v35, s[42:43], 0, -1, s[42:43]
	v_cmp_ne_u32_e64 s[42:43], 0, v5
	v_xor_b32_e32 v5, s43, v35
	v_and_b32_e32 v35, exec_hi, v5
	v_lshlrev_b32_e32 v5, 30, v25
	v_xor_b32_e32 v26, s42, v26
	v_cmp_gt_i64_e64 s[42:43], 0, v[4:5]
	v_not_b32_e32 v5, v5
	v_ashrrev_i32_e32 v5, 31, v5
	v_and_b32_e32 v26, exec_lo, v26
	v_xor_b32_e32 v36, s43, v5
	v_xor_b32_e32 v5, s42, v5
	v_and_b32_e32 v26, v26, v5
	v_lshlrev_b32_e32 v5, 29, v25
	v_cmp_gt_i64_e64 s[42:43], 0, v[4:5]
	v_not_b32_e32 v5, v5
	v_ashrrev_i32_e32 v5, 31, v5
	v_and_b32_e32 v35, v35, v36
	v_xor_b32_e32 v36, s43, v5
	v_xor_b32_e32 v5, s42, v5
	v_and_b32_e32 v26, v26, v5
	v_lshlrev_b32_e32 v5, 28, v25
	v_cmp_gt_i64_e64 s[42:43], 0, v[4:5]
	v_not_b32_e32 v5, v5
	v_ashrrev_i32_e32 v5, 31, v5
	v_and_b32_e32 v35, v35, v36
	;; [unrolled: 8-line block ×5, first 2 shown]
	v_xor_b32_e32 v36, s43, v5
	v_xor_b32_e32 v5, s42, v5
	v_and_b32_e32 v35, v35, v36
	v_and_b32_e32 v36, v26, v5
	v_lshlrev_b32_e32 v5, 24, v25
	v_cmp_gt_i64_e64 s[42:43], 0, v[4:5]
	v_not_b32_e32 v5, v5
	v_ashrrev_i32_e32 v5, 31, v5
	v_xor_b32_e32 v25, s43, v5
	v_xor_b32_e32 v5, s42, v5
	v_and_b32_e32 v26, v35, v25
	v_and_b32_e32 v25, v36, v5
	v_mbcnt_lo_u32_b32 v5, v25, 0
	v_mbcnt_hi_u32_b32 v35, v26, v5
	v_cmp_ne_u64_e64 s[42:43], 0, v[25:26]
	v_cmp_eq_u32_e64 s[44:45], 0, v35
	s_and_b64 s[44:45], s[42:43], s[44:45]
	; wave barrier
	s_and_saveexec_b64 s[42:43], s[44:45]
	s_cbranch_execz .LBB294_23
; %bb.22:                               ;   in Loop: Header=BB294_17 Depth=1
	v_bcnt_u32_b32 v5, v25, 0
	v_bcnt_u32_b32 v5, v26, v5
	s_waitcnt lgkmcnt(0)
	v_add_u32_e32 v5, v33, v5
	ds_write_b32 v34, v5
.LBB294_23:                             ;   in Loop: Header=BB294_17 Depth=1
	s_or_b64 exec, exec, s[42:43]
	v_lshrrev_b32_e32 v83, 24, v54
	v_lshrrev_b32_e32 v5, v10, v83
	v_and_b32_e32 v25, v5, v32
	v_lshl_add_u32 v5, v25, 2, v53
	v_lshl_add_u32 v5, v5, 2, v12
	; wave barrier
	v_add_u32_e32 v36, 16, v5
	ds_read_b32 v32, v5 offset:16
	v_and_b32_e32 v5, 1, v25
	v_add_co_u32_e64 v26, s[42:43], -1, v5
	v_addc_co_u32_e64 v37, s[42:43], 0, -1, s[42:43]
	v_cmp_ne_u32_e64 s[42:43], 0, v5
	v_xor_b32_e32 v5, s43, v37
	v_and_b32_e32 v37, exec_hi, v5
	v_lshlrev_b32_e32 v5, 30, v25
	v_xor_b32_e32 v26, s42, v26
	v_cmp_gt_i64_e64 s[42:43], 0, v[4:5]
	v_not_b32_e32 v5, v5
	v_ashrrev_i32_e32 v5, 31, v5
	v_and_b32_e32 v26, exec_lo, v26
	v_xor_b32_e32 v38, s43, v5
	v_xor_b32_e32 v5, s42, v5
	v_and_b32_e32 v26, v26, v5
	v_lshlrev_b32_e32 v5, 29, v25
	v_cmp_gt_i64_e64 s[42:43], 0, v[4:5]
	v_not_b32_e32 v5, v5
	v_ashrrev_i32_e32 v5, 31, v5
	v_and_b32_e32 v37, v37, v38
	v_xor_b32_e32 v38, s43, v5
	v_xor_b32_e32 v5, s42, v5
	v_and_b32_e32 v26, v26, v5
	v_lshlrev_b32_e32 v5, 28, v25
	v_cmp_gt_i64_e64 s[42:43], 0, v[4:5]
	v_not_b32_e32 v5, v5
	v_ashrrev_i32_e32 v5, 31, v5
	v_and_b32_e32 v37, v37, v38
	;; [unrolled: 8-line block ×5, first 2 shown]
	v_xor_b32_e32 v38, s43, v5
	v_xor_b32_e32 v5, s42, v5
	v_and_b32_e32 v37, v37, v38
	v_and_b32_e32 v38, v26, v5
	v_lshlrev_b32_e32 v5, 24, v25
	v_cmp_gt_i64_e64 s[42:43], 0, v[4:5]
	v_not_b32_e32 v5, v5
	v_ashrrev_i32_e32 v5, 31, v5
	v_xor_b32_e32 v25, s43, v5
	v_xor_b32_e32 v5, s42, v5
	v_and_b32_e32 v26, v37, v25
	v_and_b32_e32 v25, v38, v5
	v_mbcnt_lo_u32_b32 v5, v25, 0
	v_mbcnt_hi_u32_b32 v37, v26, v5
	v_cmp_ne_u64_e64 s[42:43], 0, v[25:26]
	v_cmp_eq_u32_e64 s[44:45], 0, v37
	s_and_b64 s[44:45], s[42:43], s[44:45]
	; wave barrier
	s_and_saveexec_b64 s[42:43], s[44:45]
	s_cbranch_execz .LBB294_25
; %bb.24:                               ;   in Loop: Header=BB294_17 Depth=1
	v_bcnt_u32_b32 v5, v25, 0
	v_bcnt_u32_b32 v5, v26, v5
	s_waitcnt lgkmcnt(0)
	v_add_u32_e32 v5, v32, v5
	ds_write_b32 v36, v5
.LBB294_25:                             ;   in Loop: Header=BB294_17 Depth=1
	s_or_b64 exec, exec, s[42:43]
	; wave barrier
	s_waitcnt lgkmcnt(0)
	s_barrier
	ds_read_b32 v38, v1
	ds_read_b32 v26, v9
	;; [unrolled: 1-line block ×4, first 2 shown]
	s_waitcnt lgkmcnt(2)
	v_add_u32_e32 v39, v26, v38
	s_waitcnt lgkmcnt(0)
	v_add3_u32 v5, v39, v25, v5
	s_nop 1
	v_mov_b32_dpp v39, v5 row_shr:1 row_mask:0xf bank_mask:0xf
	v_cndmask_b32_e64 v39, v39, 0, vcc
	v_add_u32_e32 v5, v39, v5
	s_nop 1
	v_mov_b32_dpp v39, v5 row_shr:2 row_mask:0xf bank_mask:0xf
	v_cndmask_b32_e64 v39, 0, v39, s[4:5]
	v_add_u32_e32 v5, v5, v39
	s_nop 1
	v_mov_b32_dpp v39, v5 row_shr:4 row_mask:0xf bank_mask:0xf
	v_cndmask_b32_e64 v39, 0, v39, s[6:7]
	;; [unrolled: 4-line block ×3, first 2 shown]
	v_add_u32_e32 v5, v5, v39
	s_nop 1
	v_mov_b32_dpp v39, v5 row_bcast:15 row_mask:0xf bank_mask:0xf
	v_cndmask_b32_e64 v39, v39, 0, s[40:41]
	v_add_u32_e32 v5, v5, v39
	s_nop 1
	v_mov_b32_dpp v39, v5 row_bcast:31 row_mask:0xf bank_mask:0xf
	v_cndmask_b32_e64 v39, 0, v39, s[14:15]
	v_add_u32_e32 v5, v5, v39
	s_and_saveexec_b64 s[42:43], s[16:17]
; %bb.26:                               ;   in Loop: Header=BB294_17 Depth=1
	ds_write_b32 v64, v5
; %bb.27:                               ;   in Loop: Header=BB294_17 Depth=1
	s_or_b64 exec, exec, s[42:43]
	s_waitcnt lgkmcnt(0)
	s_barrier
	s_and_saveexec_b64 s[42:43], s[18:19]
	s_cbranch_execz .LBB294_29
; %bb.28:                               ;   in Loop: Header=BB294_17 Depth=1
	ds_read_b32 v39, v65
	s_waitcnt lgkmcnt(0)
	s_nop 0
	v_mov_b32_dpp v48, v39 row_shr:1 row_mask:0xf bank_mask:0xf
	v_cndmask_b32_e64 v48, v48, 0, s[26:27]
	v_add_u32_e32 v39, v48, v39
	s_nop 1
	v_mov_b32_dpp v48, v39 row_shr:2 row_mask:0xf bank_mask:0xf
	v_cndmask_b32_e64 v48, 0, v48, s[28:29]
	v_add_u32_e32 v39, v39, v48
	ds_write_b32 v65, v39
.LBB294_29:                             ;   in Loop: Header=BB294_17 Depth=1
	s_or_b64 exec, exec, s[42:43]
	v_mov_b32_e32 v39, 0
	s_waitcnt lgkmcnt(0)
	s_barrier
	s_and_saveexec_b64 s[42:43], s[20:21]
; %bb.30:                               ;   in Loop: Header=BB294_17 Depth=1
	v_add_u32_e32 v39, -4, v64
	ds_read_b32 v39, v39
; %bb.31:                               ;   in Loop: Header=BB294_17 Depth=1
	s_or_b64 exec, exec, s[42:43]
	s_waitcnt lgkmcnt(0)
	v_add_u32_e32 v5, v39, v5
	ds_bpermute_b32 v48, v55, v5
	v_add_u32_e32 v10, 8, v10
	v_mov_b32_e32 v5, v54
	v_lshrrev_b32_e32 v84, 8, v54
	v_lshrrev_b32_e32 v96, 16, v54
	s_waitcnt lgkmcnt(0)
	v_cndmask_b32_e64 v39, v48, v39, s[22:23]
	v_cndmask_b32_e64 v39, v39, 0, s[24:25]
	v_add_u32_e32 v38, v39, v38
	v_add_u32_e32 v26, v38, v26
	;; [unrolled: 1-line block ×3, first 2 shown]
	ds_write_b32 v1, v39
	ds_write_b32 v9, v38
	;; [unrolled: 1-line block ×4, first 2 shown]
	s_waitcnt lgkmcnt(0)
	s_barrier
	ds_read_b32 v25, v27
	ds_read_b32 v26, v30
	;; [unrolled: 1-line block ×4, first 2 shown]
	v_cmp_lt_u32_e64 s[42:43], v10, v11
	s_waitcnt lgkmcnt(3)
	v_add_u32_e32 v25, v25, v28
	v_add_co_u32_e64 v48, s[44:45], v12, v25
	s_waitcnt lgkmcnt(2)
	v_add3_u32 v87, v31, v29, v26
	v_addc_co_u32_e64 v49, s[44:45], 0, v13, s[44:45]
	s_waitcnt lgkmcnt(1)
	v_add3_u32 v86, v35, v33, v27
	v_add_co_u32_e64 v33, s[44:45], v12, v87
	v_addc_co_u32_e64 v34, s[44:45], 0, v13, s[44:45]
	v_add_co_u32_e64 v35, s[44:45], v12, v86
	s_waitcnt lgkmcnt(0)
	v_add3_u32 v85, v37, v32, v30
	v_addc_co_u32_e64 v36, s[44:45], 0, v13, s[44:45]
	v_mad_u64_u32 v[37:38], s[44:45], v25, 7, v[48:49]
	v_add_co_u32_e64 v38, s[44:45], v12, v85
	v_addc_co_u32_e64 v39, s[44:45], 0, v13, s[44:45]
	s_mov_b64 s[60:61], -1
                                        ; implicit-def: $vgpr25_vgpr26
                                        ; implicit-def: $vgpr27_vgpr28
                                        ; implicit-def: $vgpr29_vgpr30
                                        ; implicit-def: $vgpr31_vgpr32
	s_and_saveexec_b64 s[44:45], s[42:43]
	s_cbranch_execz .LBB294_16
; %bb.32:                               ;   in Loop: Header=BB294_17 Depth=1
	s_barrier
	ds_write_b8 v48, v54
	ds_write_b8 v33, v84
	;; [unrolled: 1-line block ×4, first 2 shown]
	s_waitcnt lgkmcnt(0)
	s_barrier
	ds_read_u8 v25, v67
	ds_read_u8 v26, v66
	;; [unrolled: 1-line block ×4, first 2 shown]
	s_waitcnt lgkmcnt(0)
	s_barrier
	v_perm_b32 v25, v26, v25, s63
	v_perm_b32 v26, v28, v27, s63
	v_lshl_or_b32 v54, v26, 16, v25
	v_mad_u64_u32 v[25:26], s[42:43], v87, 7, v[33:34]
	v_mad_u64_u32 v[26:27], s[42:43], v86, 7, v[35:36]
	;; [unrolled: 1-line block ×3, first 2 shown]
	ds_write_b64 v37, v[23:24]
	ds_write_b64 v25, v[21:22]
	ds_write_b64 v26, v[19:20]
	ds_write_b64 v27, v[15:16]
	s_waitcnt lgkmcnt(0)
	s_barrier
	ds_read_b64 v[25:26], v70
	ds_read_b64 v[27:28], v71
	;; [unrolled: 1-line block ×4, first 2 shown]
	v_add_u32_e32 v82, -8, v82
	s_xor_b64 s[60:61], exec, -1
	s_waitcnt lgkmcnt(0)
	s_barrier
	s_branch .LBB294_16
.LBB294_33:
	s_or_b64 exec, exec, s[58:59]
	v_mad_u64_u32 v[9:10], s[4:5], v87, 7, v[33:34]
	v_mad_u64_u32 v[10:11], s[4:5], v86, 7, v[35:36]
	v_add_u32_e32 v1, v12, v14
	v_mad_u64_u32 v[11:12], s[4:5], v85, 7, v[38:39]
	s_barrier
	ds_write_b8 v48, v5
	ds_write_b8 v33, v84
	;; [unrolled: 1-line block ×4, first 2 shown]
	s_waitcnt lgkmcnt(0)
	s_barrier
	ds_read_u8 v26, v1
	ds_read_u8 v25, v1 offset:256
	ds_read_u8 v5, v1 offset:512
	;; [unrolled: 1-line block ×3, first 2 shown]
	s_waitcnt lgkmcnt(0)
	s_barrier
	ds_write_b64 v37, v[23:24]
	ds_write_b64 v9, v[21:22]
	;; [unrolled: 1-line block ×4, first 2 shown]
	v_mul_u32_u24_e32 v9, 7, v14
	v_add_u32_e32 v1, v1, v9
	s_waitcnt lgkmcnt(0)
	s_barrier
	ds_read2st64_b64 v[13:16], v1 offset1:4
	ds_read2st64_b64 v[9:12], v1 offset0:8 offset1:12
	v_add_co_u32_e32 v2, vcc, v2, v8
	v_addc_co_u32_e32 v3, vcc, 0, v3, vcc
	v_add_co_u32_e32 v2, vcc, v2, v0
	v_addc_co_u32_e32 v3, vcc, 0, v3, vcc
	v_mov_b32_e32 v1, 0
	v_cmp_lt_u32_e32 vcc, v0, v50
	s_waitcnt lgkmcnt(0)
	s_barrier
	s_and_saveexec_b64 s[4:5], vcc
	s_cbranch_execz .LBB294_35
; %bb.34:
	v_xor_b32_e32 v8, 0x7f, v26
	flat_store_byte v[2:3], v8
.LBB294_35:
	s_or_b64 exec, exec, s[4:5]
	v_add_u32_e32 v8, 0x100, v0
	v_cmp_lt_u32_e64 s[4:5], v8, v50
	s_and_saveexec_b64 s[6:7], s[4:5]
	s_cbranch_execz .LBB294_37
; %bb.36:
	v_xor_b32_e32 v8, 0x7f, v25
	flat_store_byte v[2:3], v8 offset:256
.LBB294_37:
	s_or_b64 exec, exec, s[6:7]
	v_add_u32_e32 v8, 0x200, v0
	v_cmp_lt_u32_e64 s[10:11], v8, v50
	s_and_saveexec_b64 s[6:7], s[10:11]
	s_cbranch_execz .LBB294_39
; %bb.38:
	v_xor_b32_e32 v5, 0x7f, v5
	flat_store_byte v[2:3], v5 offset:512
.LBB294_39:
	;; [unrolled: 9-line block ×3, first 2 shown]
	s_or_b64 exec, exec, s[14:15]
	v_add_co_u32_e64 v2, s[14:15], v6, v17
	v_lshlrev_b64 v[0:1], 3, v[0:1]
	v_addc_co_u32_e64 v3, s[14:15], v7, v18, s[14:15]
	v_add_co_u32_e64 v0, s[14:15], v2, v0
	v_addc_co_u32_e64 v1, s[14:15], v3, v1, s[14:15]
	s_and_saveexec_b64 s[14:15], vcc
	s_cbranch_execnz .LBB294_74
; %bb.42:
	s_or_b64 exec, exec, s[14:15]
	s_and_saveexec_b64 s[14:15], s[4:5]
	s_cbranch_execnz .LBB294_75
.LBB294_43:
	s_or_b64 exec, exec, s[14:15]
	s_and_saveexec_b64 s[4:5], s[10:11]
	s_cbranch_execnz .LBB294_76
.LBB294_44:
	s_or_b64 exec, exec, s[4:5]
	s_and_saveexec_b64 s[4:5], s[6:7]
	s_cbranch_execz .LBB294_46
.LBB294_45:
	v_add_co_u32_e32 v0, vcc, 0x1000, v0
	v_addc_co_u32_e32 v1, vcc, 0, v1, vcc
	flat_store_dwordx2 v[0:1], v[11:12] offset:2048
.LBB294_46:
	s_or_b64 exec, exec, s[4:5]
                                        ; implicit-def: $vgpr50
                                        ; implicit-def: $vgpr0
                                        ; implicit-def: $vgpr1
                                        ; implicit-def: $vgpr2
                                        ; implicit-def: $vgpr3
                                        ; implicit-def: $vgpr4
                                        ; implicit-def: $vgpr5
                                        ; implicit-def: $vgpr6
                                        ; implicit-def: $vgpr7
                                        ; implicit-def: $vgpr8
                                        ; implicit-def: $vgpr10
                                        ; implicit-def: $vgpr11
                                        ; implicit-def: $vgpr12
                                        ; implicit-def: $vgpr13
                                        ; implicit-def: $vgpr31
                                        ; implicit-def: $vgpr15
                                        ; implicit-def: $vgpr18
                                        ; implicit-def: $vgpr17
.LBB294_47:
	s_andn2_saveexec_b64 s[4:5], s[56:57]
	s_cbranch_execz .LBB294_106
; %bb.48:
	s_load_dwordx2 s[4:5], s[8:9], 0x0
	v_mov_b32_e32 v9, 0
	v_and_b32_e32 v16, 0x3ff, v31
	s_waitcnt lgkmcnt(0)
	s_cmp_lt_u32 s13, s5
	s_cselect_b32 s5, 14, 20
	s_add_u32 s6, s8, s5
	s_addc_u32 s7, s9, 0
	s_cmp_lt_u32 s12, s4
	s_cselect_b32 s4, 12, 18
	s_add_u32 s4, s8, s4
	global_load_ushort v14, v9, s[6:7]
	s_addc_u32 s5, s9, 0
	global_load_ushort v19, v9, s[4:5]
	s_waitcnt vmcnt(0)
	v_mad_u32_u24 v14, v18, v14, v15
	v_mad_u64_u32 v[14:15], s[4:5], v14, v19, v[16:17]
	s_movk_i32 s4, 0x100
	v_cmp_lt_u32_e32 vcc, s4, v50
	s_and_saveexec_b64 s[4:5], vcc
	s_xor_b64 s[42:43], exec, s[4:5]
	s_cbranch_execz .LBB294_86
; %bb.49:
	v_add_co_u32_e32 v0, vcc, v0, v8
	v_mbcnt_hi_u32_b32 v20, -1, v17
	v_addc_co_u32_e32 v1, vcc, 0, v1, vcc
	v_and_b32_e32 v19, 63, v20
	v_lshlrev_b32_e32 v15, 1, v14
	v_add_co_u32_e32 v0, vcc, v0, v19
	v_and_b32_e32 v17, 0xffffff80, v15
	v_addc_co_u32_e32 v1, vcc, 0, v1, vcc
	v_add_co_u32_e32 v0, vcc, v0, v17
	v_addc_co_u32_e32 v1, vcc, 0, v1, vcc
	v_or_b32_e32 v21, v19, v17
	v_mov_b32_e32 v18, v9
	v_cmp_lt_u32_e32 vcc, v21, v50
	v_mov_b32_e32 v15, 0x80
	v_mov_b32_e32 v25, 0x80
	s_and_saveexec_b64 s[4:5], vcc
	s_cbranch_execz .LBB294_51
; %bb.50:
	flat_load_ubyte v25, v[0:1]
.LBB294_51:
	s_or_b64 exec, exec, s[4:5]
	v_or_b32_e32 v21, 64, v21
	v_cmp_lt_u32_e64 s[4:5], v21, v50
	s_and_saveexec_b64 s[6:7], s[4:5]
	s_cbranch_execz .LBB294_53
; %bb.52:
	flat_load_ubyte v15, v[0:1] offset:64
.LBB294_53:
	s_or_b64 exec, exec, s[6:7]
	v_lshlrev_b64 v[0:1], 3, v[8:9]
	v_lshlrev_b32_e32 v9, 3, v19
	v_add_co_u32_e64 v4, s[6:7], v4, v0
	v_addc_co_u32_e64 v5, s[6:7], v5, v1, s[6:7]
	v_add_co_u32_e64 v9, s[6:7], v4, v9
	v_addc_co_u32_e64 v26, s[6:7], 0, v5, s[6:7]
	v_lshlrev_b64 v[4:5], 3, v[17:18]
	v_mov_b32_e32 v23, 0
	v_mov_b32_e32 v21, 0
	v_add_co_u32_e64 v4, s[6:7], v9, v4
	v_mov_b32_e32 v24, 0
	v_mov_b32_e32 v22, 0
	v_addc_co_u32_e64 v5, s[6:7], v26, v5, s[6:7]
	s_and_saveexec_b64 s[6:7], vcc
	s_cbranch_execz .LBB294_55
; %bb.54:
	flat_load_dwordx2 v[21:22], v[4:5]
.LBB294_55:
	s_or_b64 exec, exec, s[6:7]
	s_and_saveexec_b64 s[6:7], s[4:5]
	s_cbranch_execz .LBB294_57
; %bb.56:
	flat_load_dwordx2 v[23:24], v[4:5] offset:512
.LBB294_57:
	s_or_b64 exec, exec, s[6:7]
	s_movk_i32 s4, 0x7f
	s_waitcnt vmcnt(0) lgkmcnt(0)
	v_xor_b32_e32 v4, 0x7f, v25
	v_xor_b32_sdwa v5, v15, s4 dst_sel:BYTE_1 dst_unused:UNUSED_PAD src0_sel:DWORD src1_sel:DWORD
	v_or_b32_sdwa v4, v4, v5 dst_sel:DWORD dst_unused:UNUSED_PAD src0_sel:BYTE_0 src1_sel:DWORD
	v_and_b32_e32 v34, 0xffff, v4
	v_lshl_add_u32 v4, v16, 4, v12
	s_getpc_b64 s[4:5]
	s_add_u32 s4, s4, _ZN7rocprim17ROCPRIM_400000_NS16block_radix_sortIaLj256ELj2ElLj1ELj1ELj8ELNS0_26block_radix_rank_algorithmE2ELNS0_18block_padding_hintE2ELNS0_4arch9wavefront6targetE1EE19radix_bits_per_passE@rel32@lo+4
	s_addc_u32 s5, s5, _ZN7rocprim17ROCPRIM_400000_NS16block_radix_sortIaLj256ELj2ElLj1ELj1ELj8ELNS0_26block_radix_rank_algorithmE2ELNS0_18block_padding_hintE2ELNS0_4arch9wavefront6targetE1EE19radix_bits_per_passE@rel32@hi+12
	v_add_u32_e32 v9, 16, v4
	v_add_u32_e32 v15, 20, v4
	;; [unrolled: 1-line block ×4, first 2 shown]
	v_and_b32_e32 v4, 15, v20
	s_load_dword s58, s[4:5], 0x0
	v_cmp_eq_u32_e32 vcc, 0, v4
	v_cmp_lt_u32_e64 s[4:5], 1, v4
	v_cmp_lt_u32_e64 s[6:7], 3, v4
	;; [unrolled: 1-line block ×3, first 2 shown]
	v_and_b32_e32 v4, 16, v20
	v_cmp_eq_u32_e64 s[10:11], 0, v4
	v_and_b32_e32 v4, 0x3c0, v16
	v_min_u32_e32 v4, 0xc0, v4
	v_or_b32_e32 v4, 63, v4
	v_cmp_eq_u32_e64 s[14:15], v16, v4
	v_subrev_co_u32_e64 v4, s[20:21], 1, v20
	v_and_b32_e32 v5, 64, v20
	v_cmp_lt_i32_e64 s[22:23], v4, v5
	v_and_b32_e32 v5, 3, v20
	v_cndmask_b32_e64 v4, v4, v20, s[22:23]
	v_cmp_eq_u32_e64 s[24:25], 0, v5
	v_cmp_lt_u32_e64 s[26:27], 1, v5
	v_lshlrev_b32_e32 v5, 1, v16
	s_movk_i32 s28, 0x780
	v_lshlrev_b32_e32 v36, 2, v4
	v_lshrrev_b32_e32 v4, 4, v16
	v_and_or_b32 v5, v5, s28, v19
	v_and_b32_e32 v4, 60, v4
	v_add_u32_e32 v48, v12, v5
	v_mul_u32_u24_e32 v5, 7, v5
	v_add_u32_e32 v37, v12, v4
	v_add_u32_e32 v51, v48, v5
	v_lshrrev_b32_e32 v35, 6, v14
	v_cmp_lt_u32_e64 s[12:13], 31, v20
	v_cmp_gt_u32_e64 s[16:17], 4, v16
	v_cmp_lt_u32_e64 s[18:19], 63, v16
	v_cmp_eq_u32_e64 s[22:23], 0, v16
	v_mov_b32_e32 v4, 0
	v_lshl_add_u32 v38, v16, 2, v12
	v_add_u32_e32 v39, -4, v37
	v_add_u32_e32 v49, 64, v48
	v_add_u32_e32 v52, 0x200, v51
	v_sub_u32_e32 v53, v11, v10
	s_mov_b64 s[44:45], 0
	s_mov_b32 s59, 0xc0c0004
	s_waitcnt lgkmcnt(0)
	s_barrier
	s_branch .LBB294_59
.LBB294_58:                             ;   in Loop: Header=BB294_59 Depth=1
	s_or_b64 exec, exec, s[40:41]
	s_and_b64 s[28:29], exec, s[56:57]
	s_or_b64 s[44:45], s[28:29], s[44:45]
	s_andn2_b64 exec, exec, s[44:45]
	s_cbranch_execz .LBB294_77
.LBB294_59:                             ; =>This Inner Loop Header: Depth=1
	v_min_u32_e32 v5, s58, v53
	v_lshlrev_b32_e64 v5, v5, -1
	v_mov_b32_e32 v19, v21
	v_not_b32_e32 v25, v5
	v_lshrrev_b32_sdwa v5, v10, v34 dst_sel:DWORD dst_unused:UNUSED_PAD src0_sel:DWORD src1_sel:BYTE_0
	v_mov_b32_e32 v20, v22
	v_and_b32_e32 v21, v5, v25
	v_lshlrev_b32_e32 v5, 2, v21
	v_add_lshl_u32 v5, v5, v35, 2
	v_mov_b32_e32 v17, v23
	v_add_co_u32_e64 v5, s[28:29], v12, v5
	v_mov_b32_e32 v18, v24
	v_add_co_u32_e64 v23, s[28:29], 16, v5
	v_and_b32_e32 v5, 1, v21
	v_add_co_u32_e64 v22, s[28:29], -1, v5
	v_addc_co_u32_e64 v24, s[28:29], 0, -1, s[28:29]
	v_cmp_ne_u32_e64 s[28:29], 0, v5
	v_xor_b32_e32 v5, s29, v24
	v_and_b32_e32 v24, exec_hi, v5
	v_lshlrev_b32_e32 v5, 30, v21
	v_xor_b32_e32 v22, s28, v22
	v_cmp_gt_i64_e64 s[28:29], 0, v[4:5]
	v_not_b32_e32 v5, v5
	v_ashrrev_i32_e32 v5, 31, v5
	v_and_b32_e32 v22, exec_lo, v22
	v_xor_b32_e32 v26, s29, v5
	v_xor_b32_e32 v5, s28, v5
	v_and_b32_e32 v22, v22, v5
	v_lshlrev_b32_e32 v5, 29, v21
	v_cmp_gt_i64_e64 s[28:29], 0, v[4:5]
	v_not_b32_e32 v5, v5
	v_ashrrev_i32_e32 v5, 31, v5
	v_and_b32_e32 v24, v24, v26
	v_xor_b32_e32 v26, s29, v5
	v_xor_b32_e32 v5, s28, v5
	v_and_b32_e32 v22, v22, v5
	v_lshlrev_b32_e32 v5, 28, v21
	v_cmp_gt_i64_e64 s[28:29], 0, v[4:5]
	v_not_b32_e32 v5, v5
	v_ashrrev_i32_e32 v5, 31, v5
	v_and_b32_e32 v24, v24, v26
	;; [unrolled: 8-line block ×5, first 2 shown]
	v_xor_b32_e32 v26, s29, v5
	v_xor_b32_e32 v5, s28, v5
	v_and_b32_e32 v24, v24, v26
	v_and_b32_e32 v26, v22, v5
	v_lshlrev_b32_e32 v5, 24, v21
	v_cmp_gt_i64_e64 s[28:29], 0, v[4:5]
	v_not_b32_e32 v5, v5
	v_ashrrev_i32_e32 v5, 31, v5
	v_xor_b32_e32 v21, s29, v5
	v_xor_b32_e32 v5, s28, v5
	v_and_b32_e32 v22, v24, v21
	v_and_b32_e32 v21, v26, v5
	v_mbcnt_lo_u32_b32 v5, v21, 0
	v_mbcnt_hi_u32_b32 v24, v22, v5
	v_cmp_ne_u64_e64 s[28:29], 0, v[21:22]
	v_cmp_eq_u32_e64 s[40:41], 0, v24
	s_and_b64 s[40:41], s[28:29], s[40:41]
	ds_write_b32 v9, v4
	ds_write_b32 v15, v4
	;; [unrolled: 1-line block ×4, first 2 shown]
	s_waitcnt lgkmcnt(0)
	s_barrier
	; wave barrier
	s_and_saveexec_b64 s[28:29], s[40:41]
; %bb.60:                               ;   in Loop: Header=BB294_59 Depth=1
	v_bcnt_u32_b32 v5, v21, 0
	v_bcnt_u32_b32 v5, v22, v5
	ds_write_b32 v23, v5
; %bb.61:                               ;   in Loop: Header=BB294_59 Depth=1
	s_or_b64 exec, exec, s[28:29]
	v_lshrrev_b16_e32 v54, 8, v34
	v_lshrrev_b32_e32 v5, v10, v54
	v_and_b32_e32 v21, v5, v25
	v_lshl_add_u32 v5, v21, 2, v35
	v_lshl_add_u32 v5, v5, 2, v12
	; wave barrier
	v_add_u32_e32 v26, 16, v5
	ds_read_b32 v25, v5 offset:16
	v_and_b32_e32 v5, 1, v21
	v_add_co_u32_e64 v22, s[28:29], -1, v5
	v_addc_co_u32_e64 v27, s[28:29], 0, -1, s[28:29]
	v_cmp_ne_u32_e64 s[28:29], 0, v5
	v_xor_b32_e32 v5, s29, v27
	v_and_b32_e32 v27, exec_hi, v5
	v_lshlrev_b32_e32 v5, 30, v21
	v_xor_b32_e32 v22, s28, v22
	v_cmp_gt_i64_e64 s[28:29], 0, v[4:5]
	v_not_b32_e32 v5, v5
	v_ashrrev_i32_e32 v5, 31, v5
	v_and_b32_e32 v22, exec_lo, v22
	v_xor_b32_e32 v28, s29, v5
	v_xor_b32_e32 v5, s28, v5
	v_and_b32_e32 v22, v22, v5
	v_lshlrev_b32_e32 v5, 29, v21
	v_cmp_gt_i64_e64 s[28:29], 0, v[4:5]
	v_not_b32_e32 v5, v5
	v_ashrrev_i32_e32 v5, 31, v5
	v_and_b32_e32 v27, v27, v28
	v_xor_b32_e32 v28, s29, v5
	v_xor_b32_e32 v5, s28, v5
	v_and_b32_e32 v22, v22, v5
	v_lshlrev_b32_e32 v5, 28, v21
	v_cmp_gt_i64_e64 s[28:29], 0, v[4:5]
	v_not_b32_e32 v5, v5
	v_ashrrev_i32_e32 v5, 31, v5
	v_and_b32_e32 v27, v27, v28
	;; [unrolled: 8-line block ×5, first 2 shown]
	v_xor_b32_e32 v28, s29, v5
	v_xor_b32_e32 v5, s28, v5
	v_and_b32_e32 v27, v27, v28
	v_and_b32_e32 v28, v22, v5
	v_lshlrev_b32_e32 v5, 24, v21
	v_cmp_gt_i64_e64 s[28:29], 0, v[4:5]
	v_not_b32_e32 v5, v5
	v_ashrrev_i32_e32 v5, 31, v5
	v_xor_b32_e32 v21, s29, v5
	v_xor_b32_e32 v5, s28, v5
	v_and_b32_e32 v22, v27, v21
	v_and_b32_e32 v21, v28, v5
	v_mbcnt_lo_u32_b32 v5, v21, 0
	v_mbcnt_hi_u32_b32 v5, v22, v5
	v_cmp_ne_u64_e64 s[28:29], 0, v[21:22]
	v_cmp_eq_u32_e64 s[40:41], 0, v5
	s_and_b64 s[40:41], s[28:29], s[40:41]
	; wave barrier
	s_and_saveexec_b64 s[28:29], s[40:41]
	s_cbranch_execz .LBB294_63
; %bb.62:                               ;   in Loop: Header=BB294_59 Depth=1
	v_bcnt_u32_b32 v21, v21, 0
	v_bcnt_u32_b32 v21, v22, v21
	s_waitcnt lgkmcnt(0)
	v_add_u32_e32 v21, v25, v21
	ds_write_b32 v26, v21
.LBB294_63:                             ;   in Loop: Header=BB294_59 Depth=1
	s_or_b64 exec, exec, s[28:29]
	; wave barrier
	s_waitcnt lgkmcnt(0)
	s_barrier
	ds_read_b32 v27, v9
	ds_read_b32 v22, v15
	;; [unrolled: 1-line block ×4, first 2 shown]
	s_waitcnt lgkmcnt(2)
	v_add_u32_e32 v29, v22, v27
	s_waitcnt lgkmcnt(0)
	v_add3_u32 v28, v29, v21, v28
	s_nop 1
	v_mov_b32_dpp v29, v28 row_shr:1 row_mask:0xf bank_mask:0xf
	v_cndmask_b32_e64 v29, v29, 0, vcc
	v_add_u32_e32 v28, v29, v28
	s_nop 1
	v_mov_b32_dpp v29, v28 row_shr:2 row_mask:0xf bank_mask:0xf
	v_cndmask_b32_e64 v29, 0, v29, s[4:5]
	v_add_u32_e32 v28, v28, v29
	s_nop 1
	v_mov_b32_dpp v29, v28 row_shr:4 row_mask:0xf bank_mask:0xf
	v_cndmask_b32_e64 v29, 0, v29, s[6:7]
	;; [unrolled: 4-line block ×3, first 2 shown]
	v_add_u32_e32 v28, v28, v29
	s_nop 1
	v_mov_b32_dpp v29, v28 row_bcast:15 row_mask:0xf bank_mask:0xf
	v_cndmask_b32_e64 v29, v29, 0, s[10:11]
	v_add_u32_e32 v28, v28, v29
	s_nop 1
	v_mov_b32_dpp v29, v28 row_bcast:31 row_mask:0xf bank_mask:0xf
	v_cndmask_b32_e64 v29, 0, v29, s[12:13]
	v_add_u32_e32 v28, v28, v29
	s_and_saveexec_b64 s[28:29], s[14:15]
; %bb.64:                               ;   in Loop: Header=BB294_59 Depth=1
	ds_write_b32 v37, v28
; %bb.65:                               ;   in Loop: Header=BB294_59 Depth=1
	s_or_b64 exec, exec, s[28:29]
	s_waitcnt lgkmcnt(0)
	s_barrier
	s_and_saveexec_b64 s[28:29], s[16:17]
	s_cbranch_execz .LBB294_67
; %bb.66:                               ;   in Loop: Header=BB294_59 Depth=1
	ds_read_b32 v29, v38
	s_waitcnt lgkmcnt(0)
	s_nop 0
	v_mov_b32_dpp v30, v29 row_shr:1 row_mask:0xf bank_mask:0xf
	v_cndmask_b32_e64 v30, v30, 0, s[24:25]
	v_add_u32_e32 v29, v30, v29
	s_nop 1
	v_mov_b32_dpp v30, v29 row_shr:2 row_mask:0xf bank_mask:0xf
	v_cndmask_b32_e64 v30, 0, v30, s[26:27]
	v_add_u32_e32 v29, v29, v30
	ds_write_b32 v38, v29
.LBB294_67:                             ;   in Loop: Header=BB294_59 Depth=1
	s_or_b64 exec, exec, s[28:29]
	v_mov_b32_e32 v29, 0
	s_waitcnt lgkmcnt(0)
	s_barrier
	s_and_saveexec_b64 s[28:29], s[18:19]
; %bb.68:                               ;   in Loop: Header=BB294_59 Depth=1
	ds_read_b32 v29, v39
; %bb.69:                               ;   in Loop: Header=BB294_59 Depth=1
	s_or_b64 exec, exec, s[28:29]
	s_waitcnt lgkmcnt(0)
	v_add_u32_e32 v28, v29, v28
	ds_bpermute_b32 v28, v36, v28
	v_add_u32_e32 v10, 8, v10
	v_mov_b32_e32 v55, v34
	s_mov_b64 s[56:57], -1
	s_waitcnt lgkmcnt(0)
	v_cndmask_b32_e64 v28, v28, v29, s[20:21]
	v_cndmask_b32_e64 v28, v28, 0, s[22:23]
	v_add_u32_e32 v27, v28, v27
	v_add_u32_e32 v22, v27, v22
	;; [unrolled: 1-line block ×3, first 2 shown]
	ds_write_b32 v9, v28
	ds_write_b32 v15, v27
	;; [unrolled: 1-line block ×4, first 2 shown]
	s_waitcnt lgkmcnt(0)
	s_barrier
	ds_read_b32 v21, v23
	ds_read_b32 v22, v26
	s_waitcnt lgkmcnt(0)
	v_add_u32_e32 v21, v21, v24
	v_add_co_u32_e64 v28, s[28:29], v12, v21
	v_add3_u32 v5, v5, v25, v22
	v_addc_co_u32_e64 v29, s[28:29], 0, v13, s[28:29]
	v_add_co_u32_e64 v30, s[28:29], v12, v5
	v_addc_co_u32_e64 v31, s[28:29], 0, v13, s[28:29]
	v_mad_u64_u32 v[25:26], s[28:29], v21, 7, v[28:29]
	v_mad_u64_u32 v[26:27], s[28:29], v5, 7, v[30:31]
	v_cmp_lt_u32_e64 s[28:29], v10, v11
                                        ; implicit-def: $vgpr23_vgpr24
                                        ; implicit-def: $vgpr21_vgpr22
	s_and_saveexec_b64 s[40:41], s[28:29]
	s_cbranch_execz .LBB294_58
; %bb.70:                               ;   in Loop: Header=BB294_59 Depth=1
	s_barrier
	ds_write_b8 v28, v34
	ds_write_b8 v30, v54
	s_waitcnt lgkmcnt(0)
	s_barrier
	ds_read_u8 v5, v49
	ds_read_u8 v21, v48
	s_waitcnt lgkmcnt(0)
	s_barrier
	ds_write_b64 v25, v[19:20]
	ds_write_b64 v26, v[17:18]
	v_perm_b32 v34, v21, v5, s59
	s_waitcnt lgkmcnt(0)
	s_barrier
	ds_read_b64 v[21:22], v51
	ds_read_b64 v[23:24], v52
	v_add_u32_e32 v53, -8, v53
	s_xor_b64 s[56:57], exec, -1
	s_waitcnt lgkmcnt(0)
	s_barrier
	s_branch .LBB294_58
.LBB294_71:
	flat_load_dwordx2 v[25:26], v[4:5]
	s_or_b64 exec, exec, s[14:15]
                                        ; implicit-def: $vgpr27_vgpr28
	s_and_saveexec_b64 s[14:15], s[4:5]
	s_cbranch_execz .LBB294_12
.LBB294_72:
	flat_load_dwordx2 v[27:28], v[4:5] offset:512
	s_or_b64 exec, exec, s[14:15]
                                        ; implicit-def: $vgpr29_vgpr30
	s_and_saveexec_b64 s[4:5], s[6:7]
	s_cbranch_execz .LBB294_13
.LBB294_73:
	flat_load_dwordx2 v[29:30], v[4:5] offset:1024
	s_or_b64 exec, exec, s[4:5]
                                        ; implicit-def: $vgpr31_vgpr32
	s_and_saveexec_b64 s[4:5], s[10:11]
	s_cbranch_execnz .LBB294_14
	s_branch .LBB294_15
.LBB294_74:
	flat_store_dwordx2 v[0:1], v[13:14]
	s_or_b64 exec, exec, s[14:15]
	s_and_saveexec_b64 s[14:15], s[4:5]
	s_cbranch_execz .LBB294_43
.LBB294_75:
	flat_store_dwordx2 v[0:1], v[15:16] offset:2048
	s_or_b64 exec, exec, s[14:15]
	s_and_saveexec_b64 s[4:5], s[10:11]
	s_cbranch_execz .LBB294_44
.LBB294_76:
	v_add_co_u32_e32 v2, vcc, 0x1000, v0
	v_addc_co_u32_e32 v3, vcc, 0, v1, vcc
	flat_store_dwordx2 v[2:3], v[9:10]
	s_or_b64 exec, exec, s[4:5]
	s_and_saveexec_b64 s[4:5], s[6:7]
	s_cbranch_execnz .LBB294_45
	s_branch .LBB294_46
.LBB294_77:
	s_or_b64 exec, exec, s[44:45]
	v_add_u32_e32 v9, v12, v16
	v_mul_u32_u24_e32 v10, 7, v16
	s_barrier
	ds_write_b8 v28, v55
	ds_write_b8 v30, v54
	s_waitcnt lgkmcnt(0)
	s_barrier
	ds_read_u8 v5, v9
	ds_read_u8 v4, v9 offset:256
	v_add_u32_e32 v9, v9, v10
	s_waitcnt lgkmcnt(0)
	s_barrier
	ds_write_b64 v25, v[19:20]
	ds_write_b64 v26, v[17:18]
	s_waitcnt lgkmcnt(0)
	s_barrier
	ds_read2st64_b64 v[9:12], v9 offset1:4
	v_add_co_u32_e32 v2, vcc, v2, v8
	v_addc_co_u32_e32 v3, vcc, 0, v3, vcc
	v_add_co_u32_e32 v2, vcc, v2, v14
	v_addc_co_u32_e32 v3, vcc, 0, v3, vcc
	v_mov_b32_e32 v15, 0
	v_cmp_lt_u32_e32 vcc, v14, v50
	s_waitcnt lgkmcnt(0)
	s_barrier
	s_and_saveexec_b64 s[4:5], vcc
	s_cbranch_execz .LBB294_79
; %bb.78:
	v_xor_b32_e32 v5, 0x7f, v5
	flat_store_byte v[2:3], v5
.LBB294_79:
	s_or_b64 exec, exec, s[4:5]
	v_add_u32_e32 v5, 0x100, v14
	v_cmp_lt_u32_e64 s[4:5], v5, v50
	s_and_saveexec_b64 s[6:7], s[4:5]
	s_cbranch_execz .LBB294_81
; %bb.80:
	v_xor_b32_e32 v4, 0x7f, v4
	flat_store_byte v[2:3], v4 offset:256
.LBB294_81:
	s_or_b64 exec, exec, s[6:7]
	v_add_co_u32_e64 v2, s[6:7], v6, v0
	v_addc_co_u32_e64 v3, s[6:7], v7, v1, s[6:7]
	v_lshlrev_b64 v[0:1], 3, v[14:15]
	v_add_co_u32_e64 v0, s[6:7], v2, v0
	v_addc_co_u32_e64 v1, s[6:7], v3, v1, s[6:7]
	s_and_saveexec_b64 s[6:7], vcc
	s_cbranch_execz .LBB294_83
; %bb.82:
	flat_store_dwordx2 v[0:1], v[9:10]
.LBB294_83:
	s_or_b64 exec, exec, s[6:7]
	s_and_saveexec_b64 s[6:7], s[4:5]
	s_cbranch_execz .LBB294_85
; %bb.84:
	flat_store_dwordx2 v[0:1], v[11:12] offset:2048
.LBB294_85:
	s_or_b64 exec, exec, s[6:7]
                                        ; implicit-def: $vgpr16
                                        ; implicit-def: $vgpr14_vgpr15
                                        ; implicit-def: $vgpr8_vgpr9
                                        ; implicit-def: $vgpr50
                                        ; implicit-def: $vgpr0
                                        ; implicit-def: $vgpr1
                                        ; implicit-def: $vgpr2
                                        ; implicit-def: $vgpr3
                                        ; implicit-def: $vgpr4
                                        ; implicit-def: $vgpr5
                                        ; implicit-def: $vgpr6
                                        ; implicit-def: $vgpr7
                                        ; implicit-def: $vgpr10
                                        ; implicit-def: $vgpr11
                                        ; implicit-def: $vgpr12
                                        ; implicit-def: $vgpr13
                                        ; implicit-def: $vgpr17
.LBB294_86:
	s_andn2_saveexec_b64 s[4:5], s[42:43]
	s_cbranch_execz .LBB294_106
; %bb.87:
	v_mbcnt_hi_u32_b32 v22, -1, v17
	v_bfi_b32 v15, 63, v22, v14
	v_and_b32_e32 v21, 63, v22
	v_and_b32_e32 v17, 0xffffffc0, v14
	v_cmp_lt_u32_e32 vcc, v15, v50
	v_mov_b32_e32 v34, 0xff
	s_and_saveexec_b64 s[6:7], vcc
	s_cbranch_execz .LBB294_89
; %bb.88:
	v_add_co_u32_e64 v0, s[4:5], v0, v8
	v_addc_co_u32_e64 v1, s[4:5], 0, v1, s[4:5]
	v_add_co_u32_e64 v0, s[4:5], v0, v21
	v_addc_co_u32_e64 v1, s[4:5], 0, v1, s[4:5]
	;; [unrolled: 2-line block ×3, first 2 shown]
	flat_load_ubyte v0, v[0:1]
	s_waitcnt vmcnt(0) lgkmcnt(0)
	v_xor_b32_e32 v34, 0x7f, v0
.LBB294_89:
	s_or_b64 exec, exec, s[6:7]
	v_lshlrev_b64 v[0:1], 3, v[8:9]
                                        ; implicit-def: $vgpr19_vgpr20
	s_and_saveexec_b64 s[4:5], vcc
	s_cbranch_execz .LBB294_91
; %bb.90:
	v_add_co_u32_e32 v4, vcc, v4, v0
	v_addc_co_u32_e32 v5, vcc, v5, v1, vcc
	v_lshlrev_b32_e32 v9, 3, v21
	v_mov_b32_e32 v18, 0
	v_add_co_u32_e32 v9, vcc, v4, v9
	v_addc_co_u32_e32 v15, vcc, 0, v5, vcc
	v_lshlrev_b64 v[4:5], 3, v[17:18]
	v_add_co_u32_e32 v4, vcc, v9, v4
	v_addc_co_u32_e32 v5, vcc, v15, v5, vcc
	flat_load_dwordx2 v[19:20], v[4:5]
.LBB294_91:
	s_or_b64 exec, exec, s[4:5]
	v_lshl_add_u32 v4, v16, 4, v12
	s_getpc_b64 s[4:5]
	s_add_u32 s4, s4, _ZN7rocprim17ROCPRIM_400000_NS16block_radix_sortIaLj256ELj1ElLj1ELj1ELj8ELNS0_26block_radix_rank_algorithmE2ELNS0_18block_padding_hintE2ELNS0_4arch9wavefront6targetE1EE19radix_bits_per_passE@rel32@lo+4
	s_addc_u32 s5, s5, _ZN7rocprim17ROCPRIM_400000_NS16block_radix_sortIaLj256ELj1ElLj1ELj1ELj8ELNS0_26block_radix_rank_algorithmE2ELNS0_18block_padding_hintE2ELNS0_4arch9wavefront6targetE1EE19radix_bits_per_passE@rel32@hi+12
	v_add_u32_e32 v9, 16, v4
	v_add_u32_e32 v15, 20, v4
	;; [unrolled: 1-line block ×4, first 2 shown]
	v_and_b32_e32 v4, 15, v22
	s_load_dword s56, s[4:5], 0x0
	v_cmp_eq_u32_e32 vcc, 0, v4
	v_cmp_lt_u32_e64 s[4:5], 1, v4
	v_cmp_lt_u32_e64 s[6:7], 3, v4
	;; [unrolled: 1-line block ×3, first 2 shown]
	v_and_b32_e32 v4, 16, v22
	v_and_b32_e32 v5, 0x3c0, v16
	v_cmp_eq_u32_e64 s[10:11], 0, v4
	v_min_u32_e32 v4, 0xc0, v5
	v_or_b32_e32 v4, 63, v4
	v_cmp_eq_u32_e64 s[14:15], v16, v4
	v_subrev_co_u32_e64 v4, s[20:21], 1, v22
	v_and_b32_e32 v17, 64, v22
	v_cmp_lt_i32_e64 s[22:23], v4, v17
	v_cndmask_b32_e64 v4, v4, v22, s[22:23]
	v_lshlrev_b32_e32 v26, 2, v4
	v_lshrrev_b32_e32 v4, 4, v16
	v_and_b32_e32 v4, 60, v4
	v_or_b32_e32 v5, v21, v5
	v_add_u32_e32 v27, v12, v4
	v_and_b32_e32 v17, 3, v22
	v_add_u32_e32 v30, v12, v5
	v_mul_u32_u24_e32 v5, 7, v5
	v_lshrrev_b32_e32 v25, 6, v14
	v_cmp_lt_u32_e64 s[12:13], 31, v22
	v_cmp_gt_u32_e64 s[16:17], 4, v16
	v_cmp_lt_u32_e64 s[18:19], 63, v16
	v_cmp_eq_u32_e64 s[22:23], 0, v16
	v_mov_b32_e32 v4, 0
	v_lshl_add_u32 v28, v16, 2, v12
	v_cmp_eq_u32_e64 s[24:25], 0, v17
	v_cmp_lt_u32_e64 s[26:27], 1, v17
	v_add_u32_e32 v29, -4, v27
	v_add_u32_e32 v31, v30, v5
	s_mov_b64 s[42:43], 0
	v_sub_u32_e32 v32, v11, v10
	s_waitcnt vmcnt(0) lgkmcnt(0)
	s_barrier
	s_branch .LBB294_93
.LBB294_92:                             ;   in Loop: Header=BB294_93 Depth=1
	s_or_b64 exec, exec, s[40:41]
	s_and_b64 s[28:29], exec, s[44:45]
	s_or_b64 s[42:43], s[28:29], s[42:43]
	s_andn2_b64 exec, exec, s[42:43]
	s_cbranch_execz .LBB294_103
.LBB294_93:                             ; =>This Inner Loop Header: Depth=1
	v_mov_b32_e32 v17, v19
	v_mov_b32_e32 v33, v34
	;; [unrolled: 1-line block ×3, first 2 shown]
	v_min_u32_e32 v5, s56, v32
	v_lshrrev_b32_sdwa v19, v10, v33 dst_sel:DWORD dst_unused:UNUSED_PAD src0_sel:DWORD src1_sel:BYTE_0
	v_bfe_u32 v19, v19, 0, v5
	v_lshlrev_b32_e32 v5, 2, v19
	v_add_lshl_u32 v5, v5, v25, 2
	v_add_co_u32_e64 v5, s[28:29], v12, v5
	v_add_co_u32_e64 v21, s[28:29], 16, v5
	v_and_b32_e32 v5, 1, v19
	v_add_co_u32_e64 v20, s[28:29], -1, v5
	v_addc_co_u32_e64 v22, s[28:29], 0, -1, s[28:29]
	v_cmp_ne_u32_e64 s[28:29], 0, v5
	v_xor_b32_e32 v5, s29, v22
	v_and_b32_e32 v22, exec_hi, v5
	v_lshlrev_b32_e32 v5, 30, v19
	v_xor_b32_e32 v20, s28, v20
	v_cmp_gt_i64_e64 s[28:29], 0, v[4:5]
	v_not_b32_e32 v5, v5
	v_ashrrev_i32_e32 v5, 31, v5
	v_and_b32_e32 v20, exec_lo, v20
	v_xor_b32_e32 v34, s29, v5
	v_xor_b32_e32 v5, s28, v5
	v_and_b32_e32 v20, v20, v5
	v_lshlrev_b32_e32 v5, 29, v19
	v_cmp_gt_i64_e64 s[28:29], 0, v[4:5]
	v_not_b32_e32 v5, v5
	v_ashrrev_i32_e32 v5, 31, v5
	v_and_b32_e32 v22, v22, v34
	v_xor_b32_e32 v34, s29, v5
	v_xor_b32_e32 v5, s28, v5
	v_and_b32_e32 v20, v20, v5
	v_lshlrev_b32_e32 v5, 28, v19
	v_cmp_gt_i64_e64 s[28:29], 0, v[4:5]
	v_not_b32_e32 v5, v5
	v_ashrrev_i32_e32 v5, 31, v5
	v_and_b32_e32 v22, v22, v34
	;; [unrolled: 8-line block ×5, first 2 shown]
	v_xor_b32_e32 v34, s29, v5
	v_xor_b32_e32 v5, s28, v5
	v_and_b32_e32 v22, v22, v34
	v_and_b32_e32 v34, v20, v5
	v_lshlrev_b32_e32 v5, 24, v19
	v_cmp_gt_i64_e64 s[28:29], 0, v[4:5]
	v_not_b32_e32 v5, v5
	v_ashrrev_i32_e32 v5, 31, v5
	v_xor_b32_e32 v19, s29, v5
	v_xor_b32_e32 v5, s28, v5
	v_and_b32_e32 v20, v22, v19
	v_and_b32_e32 v19, v34, v5
	v_mbcnt_lo_u32_b32 v5, v19, 0
	v_mbcnt_hi_u32_b32 v5, v20, v5
	v_cmp_ne_u64_e64 s[28:29], 0, v[19:20]
	v_cmp_eq_u32_e64 s[40:41], 0, v5
	s_and_b64 s[40:41], s[28:29], s[40:41]
	ds_write_b32 v9, v4
	ds_write_b32 v15, v4
	;; [unrolled: 1-line block ×4, first 2 shown]
	s_waitcnt lgkmcnt(0)
	s_barrier
	; wave barrier
	s_and_saveexec_b64 s[28:29], s[40:41]
; %bb.94:                               ;   in Loop: Header=BB294_93 Depth=1
	v_bcnt_u32_b32 v19, v19, 0
	v_bcnt_u32_b32 v19, v20, v19
	ds_write_b32 v21, v19
; %bb.95:                               ;   in Loop: Header=BB294_93 Depth=1
	s_or_b64 exec, exec, s[28:29]
	; wave barrier
	s_waitcnt lgkmcnt(0)
	s_barrier
	ds_read_b32 v22, v9
	ds_read_b32 v20, v15
	;; [unrolled: 1-line block ×4, first 2 shown]
	s_waitcnt lgkmcnt(2)
	v_add_u32_e32 v35, v20, v22
	s_waitcnt lgkmcnt(0)
	v_add3_u32 v34, v35, v19, v34
	s_nop 1
	v_mov_b32_dpp v35, v34 row_shr:1 row_mask:0xf bank_mask:0xf
	v_cndmask_b32_e64 v35, v35, 0, vcc
	v_add_u32_e32 v34, v35, v34
	s_nop 1
	v_mov_b32_dpp v35, v34 row_shr:2 row_mask:0xf bank_mask:0xf
	v_cndmask_b32_e64 v35, 0, v35, s[4:5]
	v_add_u32_e32 v34, v34, v35
	s_nop 1
	v_mov_b32_dpp v35, v34 row_shr:4 row_mask:0xf bank_mask:0xf
	v_cndmask_b32_e64 v35, 0, v35, s[6:7]
	;; [unrolled: 4-line block ×3, first 2 shown]
	v_add_u32_e32 v34, v34, v35
	s_nop 1
	v_mov_b32_dpp v35, v34 row_bcast:15 row_mask:0xf bank_mask:0xf
	v_cndmask_b32_e64 v35, v35, 0, s[10:11]
	v_add_u32_e32 v34, v34, v35
	s_nop 1
	v_mov_b32_dpp v35, v34 row_bcast:31 row_mask:0xf bank_mask:0xf
	v_cndmask_b32_e64 v35, 0, v35, s[12:13]
	v_add_u32_e32 v34, v34, v35
	s_and_saveexec_b64 s[28:29], s[14:15]
; %bb.96:                               ;   in Loop: Header=BB294_93 Depth=1
	ds_write_b32 v27, v34
; %bb.97:                               ;   in Loop: Header=BB294_93 Depth=1
	s_or_b64 exec, exec, s[28:29]
	s_waitcnt lgkmcnt(0)
	s_barrier
	s_and_saveexec_b64 s[28:29], s[16:17]
	s_cbranch_execz .LBB294_99
; %bb.98:                               ;   in Loop: Header=BB294_93 Depth=1
	ds_read_b32 v35, v28
	s_waitcnt lgkmcnt(0)
	s_nop 0
	v_mov_b32_dpp v36, v35 row_shr:1 row_mask:0xf bank_mask:0xf
	v_cndmask_b32_e64 v36, v36, 0, s[24:25]
	v_add_u32_e32 v35, v36, v35
	s_nop 1
	v_mov_b32_dpp v36, v35 row_shr:2 row_mask:0xf bank_mask:0xf
	v_cndmask_b32_e64 v36, 0, v36, s[26:27]
	v_add_u32_e32 v35, v35, v36
	ds_write_b32 v28, v35
.LBB294_99:                             ;   in Loop: Header=BB294_93 Depth=1
	s_or_b64 exec, exec, s[28:29]
	v_mov_b32_e32 v35, 0
	s_waitcnt lgkmcnt(0)
	s_barrier
	s_and_saveexec_b64 s[28:29], s[18:19]
; %bb.100:                              ;   in Loop: Header=BB294_93 Depth=1
	ds_read_b32 v35, v29
; %bb.101:                              ;   in Loop: Header=BB294_93 Depth=1
	s_or_b64 exec, exec, s[28:29]
	s_waitcnt lgkmcnt(0)
	v_add_u32_e32 v34, v35, v34
	ds_bpermute_b32 v34, v26, v34
	v_add_u32_e32 v10, 8, v10
	v_cmp_lt_u32_e64 s[28:29], v10, v11
	s_mov_b64 s[44:45], -1
	s_waitcnt lgkmcnt(0)
	v_cndmask_b32_e64 v34, v34, v35, s[20:21]
	v_cndmask_b32_e64 v34, v34, 0, s[22:23]
	v_add_u32_e32 v22, v34, v22
	v_add_u32_e32 v20, v22, v20
	;; [unrolled: 1-line block ×3, first 2 shown]
	ds_write_b32 v9, v34
	ds_write_b32 v15, v22
	;; [unrolled: 1-line block ×4, first 2 shown]
	s_waitcnt lgkmcnt(0)
	s_barrier
	ds_read_b32 v19, v21
	s_waitcnt lgkmcnt(0)
                                        ; implicit-def: $vgpr34
	v_add_u32_e32 v5, v19, v5
	v_add_co_u32_e64 v21, s[40:41], v12, v5
	v_addc_co_u32_e64 v22, s[40:41], 0, v13, s[40:41]
                                        ; implicit-def: $vgpr19_vgpr20
	s_and_saveexec_b64 s[40:41], s[28:29]
	s_cbranch_execz .LBB294_92
; %bb.102:                              ;   in Loop: Header=BB294_93 Depth=1
	v_mad_u64_u32 v[19:20], s[28:29], v5, 7, v[21:22]
	s_barrier
	ds_write_b8 v21, v33
	s_waitcnt lgkmcnt(0)
	s_barrier
	ds_read_u8 v34, v30
	s_waitcnt lgkmcnt(0)
	s_barrier
	ds_write_b64 v19, v[17:18]
	s_waitcnt lgkmcnt(0)
	s_barrier
	ds_read_b64 v[19:20], v31
	v_add_u32_e32 v32, -8, v32
	s_xor_b64 s[44:45], exec, -1
	s_waitcnt lgkmcnt(0)
	s_barrier
	s_branch .LBB294_92
.LBB294_103:
	s_or_b64 exec, exec, s[42:43]
	v_mad_u64_u32 v[4:5], s[4:5], v5, 7, v[21:22]
	v_add_u32_e32 v10, v12, v16
	s_barrier
	ds_write_b8 v21, v33
	s_waitcnt lgkmcnt(0)
	s_barrier
	ds_read_u8 v9, v10
	s_waitcnt lgkmcnt(0)
	s_barrier
	ds_write_b64 v4, v[17:18]
	v_mul_u32_u24_e32 v4, 7, v16
	v_add_u32_e32 v4, v10, v4
	s_waitcnt lgkmcnt(0)
	s_barrier
	ds_read_b64 v[4:5], v4
	v_cmp_lt_u32_e32 vcc, v14, v50
	s_waitcnt lgkmcnt(0)
	s_barrier
	s_and_saveexec_b64 s[4:5], vcc
	s_cbranch_execz .LBB294_105
; %bb.104:
	v_add_co_u32_e32 v2, vcc, v2, v8
	v_addc_co_u32_e32 v3, vcc, 0, v3, vcc
	v_add_co_u32_e32 v2, vcc, v2, v14
	v_addc_co_u32_e32 v3, vcc, 0, v3, vcc
	v_mov_b32_e32 v15, 0
	v_add_co_u32_e32 v6, vcc, v6, v0
	v_addc_co_u32_e32 v7, vcc, v7, v1, vcc
	v_lshlrev_b64 v[0:1], 3, v[14:15]
	v_xor_b32_e32 v8, 0x7f, v9
	v_add_co_u32_e32 v0, vcc, v6, v0
	v_addc_co_u32_e32 v1, vcc, v7, v1, vcc
	flat_store_byte v[2:3], v8
	flat_store_dwordx2 v[0:1], v[4:5]
.LBB294_105:
	s_or_b64 exec, exec, s[4:5]
.LBB294_106:
	s_or_b64 exec, exec, s[46:47]
	s_waitcnt vmcnt(0) lgkmcnt(0)
	s_setpc_b64 s[30:31]
.Lfunc_end294:
	.size	_ZN7rocprim17ROCPRIM_400000_NS6detail40segmented_radix_sort_single_block_helperIalLj256ELj4ELb1EE4sortIPKaPaPKlPlEEbT_T0_T1_T2_jjjjRNS3_12storage_typeE, .Lfunc_end294-_ZN7rocprim17ROCPRIM_400000_NS6detail40segmented_radix_sort_single_block_helperIalLj256ELj4ELb1EE4sortIPKaPaPKlPlEEbT_T0_T1_T2_jjjjRNS3_12storage_typeE
                                        ; -- End function
	.set .L_ZN7rocprim17ROCPRIM_400000_NS6detail40segmented_radix_sort_single_block_helperIalLj256ELj4ELb1EE4sortIPKaPaPKlPlEEbT_T0_T1_T2_jjjjRNS3_12storage_typeE.num_vgpr, 97
	.set .L_ZN7rocprim17ROCPRIM_400000_NS6detail40segmented_radix_sort_single_block_helperIalLj256ELj4ELb1EE4sortIPKaPaPKlPlEEbT_T0_T1_T2_jjjjRNS3_12storage_typeE.num_agpr, 0
	.set .L_ZN7rocprim17ROCPRIM_400000_NS6detail40segmented_radix_sort_single_block_helperIalLj256ELj4ELb1EE4sortIPKaPaPKlPlEEbT_T0_T1_T2_jjjjRNS3_12storage_typeE.numbered_sgpr, 64
	.set .L_ZN7rocprim17ROCPRIM_400000_NS6detail40segmented_radix_sort_single_block_helperIalLj256ELj4ELb1EE4sortIPKaPaPKlPlEEbT_T0_T1_T2_jjjjRNS3_12storage_typeE.num_named_barrier, 0
	.set .L_ZN7rocprim17ROCPRIM_400000_NS6detail40segmented_radix_sort_single_block_helperIalLj256ELj4ELb1EE4sortIPKaPaPKlPlEEbT_T0_T1_T2_jjjjRNS3_12storage_typeE.private_seg_size, 0
	.set .L_ZN7rocprim17ROCPRIM_400000_NS6detail40segmented_radix_sort_single_block_helperIalLj256ELj4ELb1EE4sortIPKaPaPKlPlEEbT_T0_T1_T2_jjjjRNS3_12storage_typeE.uses_vcc, 1
	.set .L_ZN7rocprim17ROCPRIM_400000_NS6detail40segmented_radix_sort_single_block_helperIalLj256ELj4ELb1EE4sortIPKaPaPKlPlEEbT_T0_T1_T2_jjjjRNS3_12storage_typeE.uses_flat_scratch, 0
	.set .L_ZN7rocprim17ROCPRIM_400000_NS6detail40segmented_radix_sort_single_block_helperIalLj256ELj4ELb1EE4sortIPKaPaPKlPlEEbT_T0_T1_T2_jjjjRNS3_12storage_typeE.has_dyn_sized_stack, 0
	.set .L_ZN7rocprim17ROCPRIM_400000_NS6detail40segmented_radix_sort_single_block_helperIalLj256ELj4ELb1EE4sortIPKaPaPKlPlEEbT_T0_T1_T2_jjjjRNS3_12storage_typeE.has_recursion, 0
	.set .L_ZN7rocprim17ROCPRIM_400000_NS6detail40segmented_radix_sort_single_block_helperIalLj256ELj4ELb1EE4sortIPKaPaPKlPlEEbT_T0_T1_T2_jjjjRNS3_12storage_typeE.has_indirect_call, 0
	.section	.AMDGPU.csdata,"",@progbits
; Function info:
; codeLenInByte = 8420
; TotalNumSgprs: 68
; NumVgprs: 97
; ScratchSize: 0
; MemoryBound: 1
	.section	.text._ZN7rocprim17ROCPRIM_400000_NS6detail17trampoline_kernelINS0_14default_configENS1_36segmented_radix_sort_config_selectorIalEEZNS1_25segmented_radix_sort_implIS3_Lb1EPKaPaPKlPlN2at6native12_GLOBAL__N_18offset_tEEE10hipError_tPvRmT1_PNSt15iterator_traitsISK_E10value_typeET2_T3_PNSL_ISQ_E10value_typeET4_jRbjT5_SW_jjP12ihipStream_tbEUlT_E_NS1_11comp_targetILNS1_3genE2ELNS1_11target_archE906ELNS1_3gpuE6ELNS1_3repE0EEENS1_30default_config_static_selectorELNS0_4arch9wavefront6targetE1EEEvSK_,"axG",@progbits,_ZN7rocprim17ROCPRIM_400000_NS6detail17trampoline_kernelINS0_14default_configENS1_36segmented_radix_sort_config_selectorIalEEZNS1_25segmented_radix_sort_implIS3_Lb1EPKaPaPKlPlN2at6native12_GLOBAL__N_18offset_tEEE10hipError_tPvRmT1_PNSt15iterator_traitsISK_E10value_typeET2_T3_PNSL_ISQ_E10value_typeET4_jRbjT5_SW_jjP12ihipStream_tbEUlT_E_NS1_11comp_targetILNS1_3genE2ELNS1_11target_archE906ELNS1_3gpuE6ELNS1_3repE0EEENS1_30default_config_static_selectorELNS0_4arch9wavefront6targetE1EEEvSK_,comdat
	.globl	_ZN7rocprim17ROCPRIM_400000_NS6detail17trampoline_kernelINS0_14default_configENS1_36segmented_radix_sort_config_selectorIalEEZNS1_25segmented_radix_sort_implIS3_Lb1EPKaPaPKlPlN2at6native12_GLOBAL__N_18offset_tEEE10hipError_tPvRmT1_PNSt15iterator_traitsISK_E10value_typeET2_T3_PNSL_ISQ_E10value_typeET4_jRbjT5_SW_jjP12ihipStream_tbEUlT_E_NS1_11comp_targetILNS1_3genE2ELNS1_11target_archE906ELNS1_3gpuE6ELNS1_3repE0EEENS1_30default_config_static_selectorELNS0_4arch9wavefront6targetE1EEEvSK_ ; -- Begin function _ZN7rocprim17ROCPRIM_400000_NS6detail17trampoline_kernelINS0_14default_configENS1_36segmented_radix_sort_config_selectorIalEEZNS1_25segmented_radix_sort_implIS3_Lb1EPKaPaPKlPlN2at6native12_GLOBAL__N_18offset_tEEE10hipError_tPvRmT1_PNSt15iterator_traitsISK_E10value_typeET2_T3_PNSL_ISQ_E10value_typeET4_jRbjT5_SW_jjP12ihipStream_tbEUlT_E_NS1_11comp_targetILNS1_3genE2ELNS1_11target_archE906ELNS1_3gpuE6ELNS1_3repE0EEENS1_30default_config_static_selectorELNS0_4arch9wavefront6targetE1EEEvSK_
	.p2align	8
	.type	_ZN7rocprim17ROCPRIM_400000_NS6detail17trampoline_kernelINS0_14default_configENS1_36segmented_radix_sort_config_selectorIalEEZNS1_25segmented_radix_sort_implIS3_Lb1EPKaPaPKlPlN2at6native12_GLOBAL__N_18offset_tEEE10hipError_tPvRmT1_PNSt15iterator_traitsISK_E10value_typeET2_T3_PNSL_ISQ_E10value_typeET4_jRbjT5_SW_jjP12ihipStream_tbEUlT_E_NS1_11comp_targetILNS1_3genE2ELNS1_11target_archE906ELNS1_3gpuE6ELNS1_3repE0EEENS1_30default_config_static_selectorELNS0_4arch9wavefront6targetE1EEEvSK_,@function
_ZN7rocprim17ROCPRIM_400000_NS6detail17trampoline_kernelINS0_14default_configENS1_36segmented_radix_sort_config_selectorIalEEZNS1_25segmented_radix_sort_implIS3_Lb1EPKaPaPKlPlN2at6native12_GLOBAL__N_18offset_tEEE10hipError_tPvRmT1_PNSt15iterator_traitsISK_E10value_typeET2_T3_PNSL_ISQ_E10value_typeET4_jRbjT5_SW_jjP12ihipStream_tbEUlT_E_NS1_11comp_targetILNS1_3genE2ELNS1_11target_archE906ELNS1_3gpuE6ELNS1_3repE0EEENS1_30default_config_static_selectorELNS0_4arch9wavefront6targetE1EEEvSK_: ; @_ZN7rocprim17ROCPRIM_400000_NS6detail17trampoline_kernelINS0_14default_configENS1_36segmented_radix_sort_config_selectorIalEEZNS1_25segmented_radix_sort_implIS3_Lb1EPKaPaPKlPlN2at6native12_GLOBAL__N_18offset_tEEE10hipError_tPvRmT1_PNSt15iterator_traitsISK_E10value_typeET2_T3_PNSL_ISQ_E10value_typeET4_jRbjT5_SW_jjP12ihipStream_tbEUlT_E_NS1_11comp_targetILNS1_3genE2ELNS1_11target_archE906ELNS1_3gpuE6ELNS1_3repE0EEENS1_30default_config_static_selectorELNS0_4arch9wavefront6targetE1EEEvSK_
; %bb.0:
	s_add_u32 s0, s0, s8
	s_mov_b64 s[34:35], s[4:5]
	s_load_dwordx2 s[4:5], s[4:5], 0x38
	s_nop 0
	s_load_dwordx4 s[8:11], s[34:35], 0x40
	s_mov_b32 s33, s7
	s_mov_b32 s7, 0
	s_addc_u32 s1, s1, 0
	s_lshl_b64 s[12:13], s[6:7], 2
	s_waitcnt lgkmcnt(0)
	s_add_u32 s4, s4, s12
	s_addc_u32 s5, s5, s13
	s_load_dword s4, s[4:5], 0x0
	s_mov_b32 s32, 0
	s_waitcnt lgkmcnt(0)
	s_add_i32 s74, s4, s9
	s_add_i32 s75, s4, s11
	s_mul_i32 s74, s74, s8
	s_mul_i32 s75, s75, s10
	s_cmp_le_u32 s75, s74
	s_cbranch_scc1 .LBB295_414
; %bb.1:
	s_load_dword s4, s[34:35], 0x30
	s_load_dwordx4 s[64:67], s[34:35], 0x20
	s_load_dwordx4 s[68:71], s[34:35], 0x50
	s_load_dwordx8 s[48:55], s[34:35], 0x0
	s_waitcnt lgkmcnt(0)
	s_bitcmp1_b32 s4, 0
	s_cselect_b64 s[72:73], -1, 0
	s_sub_i32 s71, s75, s74
	s_cmpk_lt_u32 s71, 0x401
	s_mov_b64 s[4:5], -1
	s_cbranch_scc0 .LBB295_7
; %bb.2:
	s_and_b32 s4, s68, 1
	v_cndmask_b32_e64 v3, 0, 1, s[72:73]
	v_cmp_ne_u32_e32 vcc, s4, v3
	s_mov_b64 s[4:5], -1
	v_lshlrev_b32_e32 v41, 20, v2
	v_lshlrev_b32_e32 v42, 10, v1
	s_cbranch_vccnz .LBB295_4
; %bb.3:
	s_add_u32 s8, s34, 0x60
	s_mov_b64 s[4:5], src_shared_base
	s_addc_u32 s9, s35, 0
	s_getpc_b64 s[10:11]
	s_add_u32 s10, s10, _ZN7rocprim17ROCPRIM_400000_NS6detail40segmented_radix_sort_single_block_helperIalLj256ELj4ELb1EE4sortIPKaPaPKlPlEEbT_T0_T1_T2_jjjjRNS3_12storage_typeE@rel32@lo+4
	s_addc_u32 s11, s11, _ZN7rocprim17ROCPRIM_400000_NS6detail40segmented_radix_sort_single_block_helperIalLj256ELj4ELb1EE4sortIPKaPaPKlPlEEbT_T0_T1_T2_jjjjRNS3_12storage_typeE@rel32@hi+12
	v_or3_b32 v31, v0, v42, v41
	s_mov_b32 s12, s6
	s_mov_b32 s13, s33
	v_mov_b32_e32 v40, v0
	v_mov_b32_e32 v0, s48
	;; [unrolled: 1-line block ×17, first 2 shown]
	s_mov_b32 s36, s6
	s_swappc_b64 s[30:31], s[10:11]
	v_mov_b32_e32 v1, v43
	v_mov_b32_e32 v2, v44
	v_mov_b32_e32 v0, v40
	s_mov_b32 s6, s36
	s_mov_b64 s[4:5], 0
.LBB295_4:
	s_andn2_b64 vcc, exec, s[4:5]
	s_cbranch_vccnz .LBB295_6
; %bb.5:
	s_add_u32 s8, s34, 0x60
	s_mov_b64 s[4:5], src_shared_base
	s_addc_u32 s9, s35, 0
	s_getpc_b64 s[10:11]
	s_add_u32 s10, s10, _ZN7rocprim17ROCPRIM_400000_NS6detail40segmented_radix_sort_single_block_helperIalLj256ELj4ELb1EE4sortIPKaPaPKlPlEEbT_T0_T1_T2_jjjjRNS3_12storage_typeE@rel32@lo+4
	s_addc_u32 s11, s11, _ZN7rocprim17ROCPRIM_400000_NS6detail40segmented_radix_sort_single_block_helperIalLj256ELj4ELb1EE4sortIPKaPaPKlPlEEbT_T0_T1_T2_jjjjRNS3_12storage_typeE@rel32@hi+12
	v_or3_b32 v31, v0, v42, v41
	s_mov_b32 s12, s6
	s_mov_b32 s13, s33
	v_mov_b32_e32 v40, v0
	v_mov_b32_e32 v0, s48
	;; [unrolled: 1-line block ×17, first 2 shown]
	s_mov_b32 s36, s6
	s_swappc_b64 s[30:31], s[10:11]
	v_mov_b32_e32 v1, v41
	v_mov_b32_e32 v2, v42
	v_mov_b32_e32 v0, v40
	s_mov_b32 s6, s36
.LBB295_6:
	s_mov_b64 s[4:5], 0
.LBB295_7:
	s_andn2_b64 vcc, exec, s[4:5]
	s_cbranch_vccnz .LBB295_414
; %bb.8:
	s_cmp_ge_u32 s69, s70
	s_cbranch_scc1 .LBB295_414
; %bb.9:
	v_and_b32_e32 v3, 3, v0
	v_lshlrev_b32_e32 v24, 2, v3
	v_or_b32_e32 v3, 63, v0
	v_lshlrev_b32_e32 v18, 2, v0
	v_mov_b32_e32 v4, s53
	v_add_co_u32_e32 v22, vcc, s52, v0
	v_cmp_eq_u32_e64 s[8:9], v0, v3
	v_lshrrev_b32_e32 v3, 4, v0
	v_addc_co_u32_e32 v23, vcc, 0, v4, vcc
	v_and_b32_e32 v26, 12, v3
	v_and_b32_e32 v3, 0x300, v18
	v_lshlrev_b32_e32 v4, 4, v0
	v_sub_u32_e32 v28, 0, v4
	v_lshlrev_b32_e32 v4, 3, v3
	v_mov_b32_e32 v5, s67
	v_add_co_u32_e32 v29, vcc, s66, v4
	v_addc_co_u32_e32 v30, vcc, 0, v5, vcc
	v_mov_b32_e32 v5, s53
	v_add_co_u32_e32 v31, vcc, s52, v3
	v_addc_co_u32_e32 v32, vcc, 0, v5, vcc
	;; [unrolled: 3-line block ×8, first 2 shown]
	v_mbcnt_lo_u32_b32 v4, -1, 0
	v_mbcnt_hi_u32_b32 v45, -1, v4
	v_mad_u32_u24 v25, v0, 12, v18
	v_and_b32_e32 v46, 63, v45
	s_movk_i32 s4, 0x100
	s_add_u32 s46, s34, 0x60
	s_movk_i32 s7, 0xff
	v_or_b32_e32 v47, v46, v3
	v_add_u32_e32 v50, v25, v18
	v_or_b32_e32 v19, 0x100, v0
	v_or_b32_e32 v20, 0x200, v0
	;; [unrolled: 1-line block ×3, first 2 shown]
	v_cmp_gt_u32_e64 s[4:5], s4, v0
	v_or_b32_e32 v27, 0x2400, v26
	v_cmp_gt_u32_e64 s[10:11], 4, v0
	v_cmp_lt_u32_e64 s[12:13], 63, v0
	s_addc_u32 s47, s35, 0
	s_mov_b32 s57, 0
	v_cmp_eq_u32_e64 s[14:15], 0, v0
	v_cmp_ne_u32_e64 s[16:17], s7, v0
	s_mov_b32 s7, s69
	v_or_b32_e32 v48, 0x2400, v18
	v_add_u32_e32 v49, 0x23fc, v26
	v_mul_u32_u24_e32 v51, 7, v0
	v_mov_b32_e32 v52, 1
	v_add_u32_e32 v53, 0x410, v50
	v_add_u32_e32 v54, 0x418, v50
	v_and_b32_e32 v55, 15, v45
	v_bfe_i32 v56, v45, 4, 1
	v_and_b32_e32 v57, 16, v45
	v_and_b32_e32 v58, 3, v45
	v_and_b32_e32 v59, 64, v45
	v_lshlrev_b32_e32 v60, 3, v46
	v_or_b32_e32 v61, 64, v47
	v_or_b32_e32 v62, 0x80, v47
	;; [unrolled: 1-line block ×3, first 2 shown]
	v_mov_b32_e32 v3, 0
	s_branch .LBB295_12
.LBB295_10:                             ;   in Loop: Header=BB295_12 Depth=1
	s_waitcnt lgkmcnt(0)
	s_barrier
.LBB295_11:                             ;   in Loop: Header=BB295_12 Depth=1
	s_add_i32 s7, s7, 8
	s_cmp_ge_u32 s7, s70
	s_cbranch_scc1 .LBB295_414
.LBB295_12:                             ; =>This Loop Header: Depth=1
                                        ;     Child Loop BB295_16 Depth 2
                                        ;     Child Loop BB295_48 Depth 2
	;; [unrolled: 1-line block ×8, first 2 shown]
	s_sub_i32 s18, s70, s7
	s_min_u32 s18, s18, 8
	s_lshl_b32 s18, -1, s18
	s_xor_b64 s[72:73], s[72:73], -1
	s_not_b32 s58, s18
	s_cmp_lg_u32 s7, s69
	s_mov_b64 s[18:19], -1
	ds_write2st64_b32 v18, v3, v3 offset1:4
	ds_write2st64_b32 v18, v3, v3 offset0:8 offset1:12
	s_waitcnt lgkmcnt(0)
	s_cbranch_scc0 .LBB295_214
; %bb.13:                               ;   in Loop: Header=BB295_12 Depth=1
	s_and_b64 vcc, exec, s[72:73]
	s_cbranch_vccz .LBB295_113
; %bb.14:                               ;   in Loop: Header=BB295_12 Depth=1
	v_mov_b32_e32 v4, 0
	s_mov_b32 s20, s71
	s_mov_b32 s22, s74
	v_mov_b32_e32 v7, 0
	v_mov_b32_e32 v6, 0
	;; [unrolled: 1-line block ×3, first 2 shown]
	s_barrier
	s_branch .LBB295_16
.LBB295_15:                             ;   in Loop: Header=BB295_16 Depth=2
	s_or_b64 exec, exec, s[18:19]
	s_addk_i32 s20, 0xfc00
	s_cmp_ge_u32 s21, s75
	s_mov_b32 s22, s21
	s_cbranch_scc1 .LBB295_36
.LBB295_16:                             ;   Parent Loop BB295_12 Depth=1
                                        ; =>  This Inner Loop Header: Depth=2
	s_add_i32 s21, s22, 0x400
	s_cmp_gt_u32 s21, s75
	s_mov_b64 s[18:19], -1
                                        ; implicit-def: $vgpr8
                                        ; implicit-def: $vgpr9
                                        ; implicit-def: $vgpr10
                                        ; implicit-def: $vgpr11
	s_cbranch_scc1 .LBB295_18
; %bb.17:                               ;   in Loop: Header=BB295_16 Depth=2
	v_add_co_u32_e32 v12, vcc, s22, v22
	v_addc_co_u32_e32 v13, vcc, 0, v23, vcc
	global_load_ubyte v11, v[12:13], off offset:768
	global_load_ubyte v10, v[12:13], off offset:512
	;; [unrolled: 1-line block ×3, first 2 shown]
	global_load_ubyte v8, v[12:13], off
	s_mov_b64 s[18:19], 0
.LBB295_18:                             ;   in Loop: Header=BB295_16 Depth=2
	s_andn2_b64 vcc, exec, s[18:19]
	s_movk_i32 s23, 0x400
	s_cbranch_vccnz .LBB295_25
; %bb.19:                               ;   in Loop: Header=BB295_16 Depth=2
	s_add_u32 s22, s52, s22
	s_addc_u32 s23, s53, 0
	v_cmp_gt_u32_e32 vcc, s20, v0
	s_and_saveexec_b64 s[18:19], vcc
	s_cbranch_execnz .LBB295_33
; %bb.20:                               ;   in Loop: Header=BB295_16 Depth=2
	s_or_b64 exec, exec, s[18:19]
	v_cmp_gt_u32_e32 vcc, s20, v19
	s_and_saveexec_b64 s[18:19], vcc
	s_cbranch_execnz .LBB295_34
.LBB295_21:                             ;   in Loop: Header=BB295_16 Depth=2
	s_or_b64 exec, exec, s[18:19]
	v_cmp_gt_u32_e32 vcc, s20, v20
	s_and_saveexec_b64 s[18:19], vcc
	s_cbranch_execnz .LBB295_35
.LBB295_22:                             ;   in Loop: Header=BB295_16 Depth=2
	s_or_b64 exec, exec, s[18:19]
	v_cmp_gt_u32_e32 vcc, s20, v21
	s_and_saveexec_b64 s[18:19], vcc
	s_cbranch_execz .LBB295_24
.LBB295_23:                             ;   in Loop: Header=BB295_16 Depth=2
	v_mov_b32_e32 v5, s23
	s_waitcnt vmcnt(0)
	v_add_co_u32_e32 v8, vcc, s22, v0
	v_addc_co_u32_e32 v9, vcc, 0, v5, vcc
	global_load_ubyte v5, v[8:9], off offset:768
.LBB295_24:                             ;   in Loop: Header=BB295_16 Depth=2
	s_or_b64 exec, exec, s[18:19]
	s_mov_b32 s23, s20
	s_waitcnt vmcnt(0)
	v_mov_b32_e32 v8, v4
	v_mov_b32_e32 v9, v7
	v_mov_b32_e32 v10, v6
	v_mov_b32_e32 v11, v5
.LBB295_25:                             ;   in Loop: Header=BB295_16 Depth=2
	s_waitcnt vmcnt(3)
	v_mov_b32_e32 v5, v11
	s_waitcnt vmcnt(2)
	v_mov_b32_e32 v6, v10
	;; [unrolled: 2-line block ×4, first 2 shown]
	v_cmp_gt_u32_e32 vcc, s23, v0
	s_and_saveexec_b64 s[18:19], vcc
	s_cbranch_execnz .LBB295_29
; %bb.26:                               ;   in Loop: Header=BB295_16 Depth=2
	s_or_b64 exec, exec, s[18:19]
	v_cmp_gt_u32_e32 vcc, s23, v19
	s_and_saveexec_b64 s[18:19], vcc
	s_cbranch_execnz .LBB295_30
.LBB295_27:                             ;   in Loop: Header=BB295_16 Depth=2
	s_or_b64 exec, exec, s[18:19]
	v_cmp_gt_u32_e32 vcc, s23, v20
	s_and_saveexec_b64 s[18:19], vcc
	s_cbranch_execnz .LBB295_31
.LBB295_28:                             ;   in Loop: Header=BB295_16 Depth=2
	s_or_b64 exec, exec, s[18:19]
	v_cmp_gt_u32_e32 vcc, s23, v21
	s_and_saveexec_b64 s[18:19], vcc
	s_cbranch_execz .LBB295_15
	s_branch .LBB295_32
.LBB295_29:                             ;   in Loop: Header=BB295_16 Depth=2
	v_xor_b32_e32 v8, 0x7f, v4
	v_lshrrev_b32_sdwa v8, s7, v8 dst_sel:DWORD dst_unused:UNUSED_PAD src0_sel:DWORD src1_sel:BYTE_0
	v_and_b32_e32 v8, s58, v8
	v_lshl_or_b32 v8, v8, 4, v24
	ds_add_u32 v8, v52
	s_or_b64 exec, exec, s[18:19]
	v_cmp_gt_u32_e32 vcc, s23, v19
	s_and_saveexec_b64 s[18:19], vcc
	s_cbranch_execz .LBB295_27
.LBB295_30:                             ;   in Loop: Header=BB295_16 Depth=2
	v_xor_b32_e32 v8, 0x7f, v7
	v_lshrrev_b32_sdwa v8, s7, v8 dst_sel:DWORD dst_unused:UNUSED_PAD src0_sel:DWORD src1_sel:BYTE_0
	v_and_b32_e32 v8, s58, v8
	v_lshl_or_b32 v8, v8, 4, v24
	ds_add_u32 v8, v52
	s_or_b64 exec, exec, s[18:19]
	v_cmp_gt_u32_e32 vcc, s23, v20
	s_and_saveexec_b64 s[18:19], vcc
	s_cbranch_execz .LBB295_28
.LBB295_31:                             ;   in Loop: Header=BB295_16 Depth=2
	v_xor_b32_e32 v8, 0x7f, v6
	v_lshrrev_b32_sdwa v8, s7, v8 dst_sel:DWORD dst_unused:UNUSED_PAD src0_sel:DWORD src1_sel:BYTE_0
	v_and_b32_e32 v8, s58, v8
	v_lshl_or_b32 v8, v8, 4, v24
	ds_add_u32 v8, v52
	s_or_b64 exec, exec, s[18:19]
	v_cmp_gt_u32_e32 vcc, s23, v21
	s_and_saveexec_b64 s[18:19], vcc
	s_cbranch_execz .LBB295_15
.LBB295_32:                             ;   in Loop: Header=BB295_16 Depth=2
	v_xor_b32_e32 v8, 0x7f, v5
	v_lshrrev_b32_sdwa v8, s7, v8 dst_sel:DWORD dst_unused:UNUSED_PAD src0_sel:DWORD src1_sel:BYTE_0
	v_and_b32_e32 v8, s58, v8
	v_lshl_or_b32 v8, v8, 4, v24
	ds_add_u32 v8, v52
	s_branch .LBB295_15
.LBB295_33:                             ;   in Loop: Header=BB295_16 Depth=2
	v_mov_b32_e32 v4, s23
	s_waitcnt vmcnt(0)
	v_add_co_u32_e32 v8, vcc, s22, v0
	v_addc_co_u32_e32 v9, vcc, 0, v4, vcc
	global_load_ubyte v4, v[8:9], off
	s_or_b64 exec, exec, s[18:19]
	v_cmp_gt_u32_e32 vcc, s20, v19
	s_and_saveexec_b64 s[18:19], vcc
	s_cbranch_execz .LBB295_21
.LBB295_34:                             ;   in Loop: Header=BB295_16 Depth=2
	s_waitcnt vmcnt(0)
	v_mov_b32_e32 v8, s23
	v_add_co_u32_e32 v7, vcc, s22, v0
	v_addc_co_u32_e32 v8, vcc, 0, v8, vcc
	global_load_ubyte v7, v[7:8], off offset:256
	s_or_b64 exec, exec, s[18:19]
	v_cmp_gt_u32_e32 vcc, s20, v20
	s_and_saveexec_b64 s[18:19], vcc
	s_cbranch_execz .LBB295_22
.LBB295_35:                             ;   in Loop: Header=BB295_16 Depth=2
	v_mov_b32_e32 v6, s23
	s_waitcnt vmcnt(0)
	v_add_co_u32_e32 v8, vcc, s22, v0
	v_addc_co_u32_e32 v9, vcc, 0, v6, vcc
	global_load_ubyte v6, v[8:9], off offset:512
	s_or_b64 exec, exec, s[18:19]
	v_cmp_gt_u32_e32 vcc, s20, v21
	s_and_saveexec_b64 s[18:19], vcc
	s_cbranch_execnz .LBB295_23
	s_branch .LBB295_24
.LBB295_36:                             ;   in Loop: Header=BB295_12 Depth=1
	v_mov_b32_e32 v4, 0
	s_waitcnt lgkmcnt(0)
	s_barrier
	s_and_saveexec_b64 s[18:19], s[4:5]
	s_cbranch_execz .LBB295_38
; %bb.37:                               ;   in Loop: Header=BB295_12 Depth=1
	ds_read2_b64 v[4:7], v25 offset1:1
	s_waitcnt lgkmcnt(0)
	v_add_u32_e32 v4, v5, v4
	v_add3_u32 v4, v4, v6, v7
.LBB295_38:                             ;   in Loop: Header=BB295_12 Depth=1
	s_or_b64 exec, exec, s[18:19]
	s_nop 0
	v_mov_b32_dpp v5, v4 row_shr:1 row_mask:0xf bank_mask:0xf
	v_cmp_eq_u32_e64 s[18:19], 0, v55
	v_cndmask_b32_e64 v5, v5, 0, s[18:19]
	v_add_u32_e32 v4, v5, v4
	v_cmp_lt_u32_e64 s[20:21], 1, v55
	v_cmp_lt_u32_e64 s[22:23], 3, v55
	v_mov_b32_dpp v5, v4 row_shr:2 row_mask:0xf bank_mask:0xf
	v_cndmask_b32_e64 v5, 0, v5, s[20:21]
	v_add_u32_e32 v4, v4, v5
	v_cmp_lt_u32_e64 s[24:25], 7, v55
	v_cmp_lt_u32_e64 s[28:29], 31, v45
	v_mov_b32_dpp v5, v4 row_shr:4 row_mask:0xf bank_mask:0xf
	v_cndmask_b32_e64 v5, 0, v5, s[22:23]
	v_add_u32_e32 v4, v4, v5
	v_cmp_eq_u32_e64 s[26:27], 0, v57
	s_nop 0
	v_mov_b32_dpp v5, v4 row_shr:8 row_mask:0xf bank_mask:0xf
	v_cndmask_b32_e64 v5, 0, v5, s[24:25]
	v_add_u32_e32 v4, v4, v5
	s_nop 1
	v_mov_b32_dpp v5, v4 row_bcast:15 row_mask:0xf bank_mask:0xf
	v_and_b32_e32 v5, v56, v5
	v_add_u32_e32 v4, v4, v5
	s_nop 1
	v_mov_b32_dpp v5, v4 row_bcast:31 row_mask:0xf bank_mask:0xf
	v_cndmask_b32_e64 v5, 0, v5, s[28:29]
	v_add_u32_e32 v4, v4, v5
	s_and_saveexec_b64 s[30:31], s[8:9]
; %bb.39:                               ;   in Loop: Header=BB295_12 Depth=1
	ds_write_b32 v27, v4
; %bb.40:                               ;   in Loop: Header=BB295_12 Depth=1
	s_or_b64 exec, exec, s[30:31]
	s_waitcnt lgkmcnt(0)
	s_barrier
	s_and_saveexec_b64 s[30:31], s[10:11]
	s_cbranch_execz .LBB295_42
; %bb.41:                               ;   in Loop: Header=BB295_12 Depth=1
	ds_read_b32 v5, v48
	v_cmp_ne_u32_e32 vcc, 0, v58
	s_waitcnt lgkmcnt(0)
	v_mov_b32_dpp v6, v5 row_shr:1 row_mask:0xf bank_mask:0xf
	v_cndmask_b32_e32 v6, 0, v6, vcc
	v_add_u32_e32 v5, v6, v5
	v_cmp_lt_u32_e32 vcc, 1, v58
	s_nop 0
	v_mov_b32_dpp v6, v5 row_shr:2 row_mask:0xf bank_mask:0xf
	v_cndmask_b32_e32 v6, 0, v6, vcc
	v_add_u32_e32 v5, v5, v6
	ds_write_b32 v48, v5
.LBB295_42:                             ;   in Loop: Header=BB295_12 Depth=1
	s_or_b64 exec, exec, s[30:31]
	v_mov_b32_e32 v5, 0
	s_waitcnt lgkmcnt(0)
	s_barrier
	s_and_saveexec_b64 s[30:31], s[12:13]
; %bb.43:                               ;   in Loop: Header=BB295_12 Depth=1
	ds_read_b32 v5, v49
; %bb.44:                               ;   in Loop: Header=BB295_12 Depth=1
	s_or_b64 exec, exec, s[30:31]
	v_subrev_co_u32_e64 v6, s[30:31], 1, v45
	v_cmp_lt_i32_e32 vcc, v6, v59
	v_cndmask_b32_e32 v6, v6, v45, vcc
	s_waitcnt lgkmcnt(0)
	v_add_u32_e32 v4, v5, v4
	v_lshlrev_b32_e32 v64, 2, v6
	ds_bpermute_b32 v4, v64, v4
	s_waitcnt lgkmcnt(0)
	s_barrier
	s_and_saveexec_b64 s[34:35], s[4:5]
; %bb.45:                               ;   in Loop: Header=BB295_12 Depth=1
	v_cndmask_b32_e64 v4, v4, v5, s[30:31]
	v_add_u32_e32 v4, s74, v4
	ds_write_b32 v18, v4
; %bb.46:                               ;   in Loop: Header=BB295_12 Depth=1
	s_or_b64 exec, exec, s[34:35]
	s_load_dword s34, s[46:47], 0x4
	s_load_dword s38, s[46:47], 0xc
	v_add_co_u32_e32 v65, vcc, v29, v60
	v_addc_co_u32_e32 v66, vcc, 0, v30, vcc
	s_waitcnt lgkmcnt(0)
	s_cmp_lt_u32 s33, s34
	s_cselect_b32 s34, 14, 20
	s_add_u32 s34, s46, s34
	s_addc_u32 s35, s47, 0
	global_load_ushort v4, v3, s[34:35]
	s_and_b32 s38, s38, 0xffff
	v_add_co_u32_e32 v67, vcc, v31, v46
	v_cmp_eq_u32_e64 s[34:35], 0, v58
	v_cmp_lt_u32_e64 s[36:37], 1, v58
	v_addc_co_u32_e32 v68, vcc, 0, v32, vcc
	s_mov_b32 s59, s71
	s_mov_b32 s56, s74
                                        ; implicit-def: $vgpr7_vgpr8
                                        ; implicit-def: $vgpr9_vgpr10
                                        ; implicit-def: $vgpr11_vgpr12
                                        ; implicit-def: $vgpr69
                                        ; implicit-def: $vgpr70
                                        ; implicit-def: $vgpr72
                                        ; implicit-def: $vgpr73
	s_waitcnt vmcnt(0)
	v_mad_u32_u24 v4, v2, v4, v1
	v_mad_u64_u32 v[4:5], s[38:39], v4, s38, v[0:1]
                                        ; implicit-def: $vgpr5_vgpr6
	v_lshrrev_b32_e32 v4, 4, v4
	v_and_b32_e32 v71, 0xffffffc, v4
	s_branch .LBB295_48
.LBB295_47:                             ;   in Loop: Header=BB295_48 Depth=2
	s_or_b64 exec, exec, s[38:39]
	s_addk_i32 s59, 0xfc00
	s_cmp_lt_u32 s60, s75
	s_mov_b32 s56, s60
	s_cbranch_scc0 .LBB295_112
.LBB295_48:                             ;   Parent Loop BB295_12 Depth=1
                                        ; =>  This Inner Loop Header: Depth=2
	s_add_i32 s60, s56, 0x400
	s_cmp_gt_u32 s60, s75
	s_cbranch_scc1 .LBB295_50
; %bb.49:                               ;   in Loop: Header=BB295_48 Depth=2
	v_add_co_u32_e32 v13, vcc, s56, v67
	v_addc_co_u32_e32 v14, vcc, 0, v68, vcc
	global_load_ubyte v16, v[13:14], off offset:128
	global_load_ubyte v76, v[13:14], off offset:64
	global_load_ubyte v4, v[13:14], off
	s_mov_b64 s[38:39], -1
	s_movk_i32 s42, 0x400
                                        ; implicit-def: $vgpr15
	s_cbranch_execz .LBB295_51
	s_branch .LBB295_56
.LBB295_50:                             ;   in Loop: Header=BB295_48 Depth=2
	s_mov_b64 s[38:39], 0
                                        ; implicit-def: $vgpr4
                                        ; implicit-def: $vgpr76
                                        ; implicit-def: $vgpr16
	s_movk_i32 s42, 0x400
                                        ; implicit-def: $vgpr15
.LBB295_51:                             ;   in Loop: Header=BB295_48 Depth=2
	v_add_co_u32_e32 v13, vcc, s56, v67
	v_addc_co_u32_e32 v14, vcc, 0, v68, vcc
	v_cmp_gt_u32_e32 vcc, s59, v47
	v_mov_b32_e32 v15, 0x80
	s_waitcnt vmcnt(0)
	v_mov_b32_e32 v4, 0x80
	v_mov_b32_e32 v76, 0x80
	;; [unrolled: 1-line block ×3, first 2 shown]
	s_and_saveexec_b64 s[38:39], vcc
	s_cbranch_execnz .LBB295_110
; %bb.52:                               ;   in Loop: Header=BB295_48 Depth=2
	s_or_b64 exec, exec, s[38:39]
	v_cmp_gt_u32_e32 vcc, s59, v61
	s_and_saveexec_b64 s[38:39], vcc
	s_cbranch_execnz .LBB295_111
.LBB295_53:                             ;   in Loop: Header=BB295_48 Depth=2
	s_or_b64 exec, exec, s[38:39]
	v_cmp_gt_u32_e32 vcc, s59, v62
	s_and_saveexec_b64 s[38:39], vcc
	s_cbranch_execz .LBB295_55
.LBB295_54:                             ;   in Loop: Header=BB295_48 Depth=2
	global_load_ubyte v16, v[13:14], off offset:128
.LBB295_55:                             ;   in Loop: Header=BB295_48 Depth=2
	s_or_b64 exec, exec, s[38:39]
	s_sub_i32 s42, s75, s56
	v_cmp_gt_u32_e64 s[38:39], s59, v63
.LBB295_56:                             ;   in Loop: Header=BB295_48 Depth=2
	v_mov_b32_e32 v74, s59
	s_and_saveexec_b64 s[40:41], s[38:39]
	s_cbranch_execz .LBB295_58
; %bb.57:                               ;   in Loop: Header=BB295_48 Depth=2
	v_mov_b32_e32 v14, s57
	v_add_co_u32_e32 v13, vcc, s56, v67
	v_addc_co_u32_e32 v14, vcc, v68, v14, vcc
	global_load_ubyte v15, v[13:14], off offset:192
	v_mov_b32_e32 v74, s42
.LBB295_58:                             ;   in Loop: Header=BB295_48 Depth=2
	s_or_b64 exec, exec, s[40:41]
	s_waitcnt vmcnt(0)
	v_xor_b32_e32 v17, 0x7f, v4
	v_lshrrev_b32_sdwa v4, s7, v17 dst_sel:DWORD dst_unused:UNUSED_PAD src0_sel:DWORD src1_sel:BYTE_0
	v_and_b32_e32 v13, s58, v4
	v_and_b32_e32 v4, 1, v13
	v_add_co_u32_e32 v14, vcc, -1, v4
	v_addc_co_u32_e64 v75, s[38:39], 0, -1, vcc
	v_cmp_ne_u32_e32 vcc, 0, v4
	v_xor_b32_e32 v4, vcc_hi, v75
	v_and_b32_e32 v75, exec_hi, v4
	v_lshlrev_b32_e32 v4, 30, v13
	v_xor_b32_e32 v14, vcc_lo, v14
	v_cmp_gt_i64_e32 vcc, 0, v[3:4]
	v_not_b32_e32 v4, v4
	v_ashrrev_i32_e32 v4, 31, v4
	v_and_b32_e32 v14, exec_lo, v14
	v_xor_b32_e32 v78, vcc_hi, v4
	v_xor_b32_e32 v4, vcc_lo, v4
	v_and_b32_e32 v14, v14, v4
	v_lshlrev_b32_e32 v4, 29, v13
	v_cmp_gt_i64_e32 vcc, 0, v[3:4]
	v_not_b32_e32 v4, v4
	v_ashrrev_i32_e32 v4, 31, v4
	v_and_b32_e32 v75, v75, v78
	v_xor_b32_e32 v78, vcc_hi, v4
	v_xor_b32_e32 v4, vcc_lo, v4
	v_and_b32_e32 v14, v14, v4
	v_lshlrev_b32_e32 v4, 28, v13
	v_cmp_gt_i64_e32 vcc, 0, v[3:4]
	v_not_b32_e32 v4, v4
	v_ashrrev_i32_e32 v4, 31, v4
	v_and_b32_e32 v75, v75, v78
	;; [unrolled: 8-line block ×5, first 2 shown]
	v_xor_b32_e32 v78, vcc_hi, v4
	v_xor_b32_e32 v4, vcc_lo, v4
	v_and_b32_e32 v75, v75, v78
	v_and_b32_e32 v78, v14, v4
	v_lshlrev_b32_e32 v4, 24, v13
	v_cmp_gt_i64_e32 vcc, 0, v[3:4]
	v_not_b32_e32 v4, v4
	v_ashrrev_i32_e32 v4, 31, v4
	v_mul_u32_u24_e32 v77, 20, v13
	v_xor_b32_e32 v13, vcc_hi, v4
	v_xor_b32_e32 v4, vcc_lo, v4
	v_and_b32_e32 v14, v75, v13
	v_and_b32_e32 v13, v78, v4
	v_mbcnt_lo_u32_b32 v4, v13, 0
	v_mbcnt_hi_u32_b32 v75, v14, v4
	v_cmp_ne_u64_e32 vcc, 0, v[13:14]
	v_cmp_eq_u32_e64 s[38:39], 0, v75
	s_and_b64 s[40:41], vcc, s[38:39]
	v_add_u32_e32 v78, v71, v77
	ds_write2_b32 v53, v3, v3 offset1:1
	ds_write2_b32 v54, v3, v3 offset1:1
	ds_write_b32 v50, v3 offset:1056
	s_waitcnt lgkmcnt(0)
	s_barrier
	; wave barrier
	s_and_saveexec_b64 s[38:39], s[40:41]
; %bb.59:                               ;   in Loop: Header=BB295_48 Depth=2
	v_bcnt_u32_b32 v4, v13, 0
	v_bcnt_u32_b32 v4, v14, v4
	ds_write_b32 v78, v4 offset:1040
; %bb.60:                               ;   in Loop: Header=BB295_48 Depth=2
	s_or_b64 exec, exec, s[38:39]
	v_xor_b32_e32 v76, 0x7f, v76
	v_lshrrev_b32_sdwa v4, s7, v76 dst_sel:DWORD dst_unused:UNUSED_PAD src0_sel:DWORD src1_sel:BYTE_0
	v_and_b32_e32 v13, s58, v4
	v_mad_u32_u24 v4, v13, 20, v71
	; wave barrier
	ds_read_b32 v77, v4 offset:1040
	v_and_b32_e32 v4, 1, v13
	v_add_co_u32_e32 v14, vcc, -1, v4
	v_addc_co_u32_e64 v79, s[38:39], 0, -1, vcc
	v_cmp_ne_u32_e32 vcc, 0, v4
	v_xor_b32_e32 v4, vcc_hi, v79
	v_and_b32_e32 v79, exec_hi, v4
	v_lshlrev_b32_e32 v4, 30, v13
	v_xor_b32_e32 v14, vcc_lo, v14
	v_cmp_gt_i64_e32 vcc, 0, v[3:4]
	v_not_b32_e32 v4, v4
	v_ashrrev_i32_e32 v4, 31, v4
	v_and_b32_e32 v14, exec_lo, v14
	v_xor_b32_e32 v81, vcc_hi, v4
	v_xor_b32_e32 v4, vcc_lo, v4
	v_and_b32_e32 v14, v14, v4
	v_lshlrev_b32_e32 v4, 29, v13
	v_cmp_gt_i64_e32 vcc, 0, v[3:4]
	v_not_b32_e32 v4, v4
	v_ashrrev_i32_e32 v4, 31, v4
	v_and_b32_e32 v79, v79, v81
	v_xor_b32_e32 v81, vcc_hi, v4
	v_xor_b32_e32 v4, vcc_lo, v4
	v_and_b32_e32 v14, v14, v4
	v_lshlrev_b32_e32 v4, 28, v13
	v_cmp_gt_i64_e32 vcc, 0, v[3:4]
	v_not_b32_e32 v4, v4
	v_ashrrev_i32_e32 v4, 31, v4
	v_and_b32_e32 v79, v79, v81
	v_xor_b32_e32 v81, vcc_hi, v4
	v_xor_b32_e32 v4, vcc_lo, v4
	v_and_b32_e32 v14, v14, v4
	v_lshlrev_b32_e32 v4, 27, v13
	v_cmp_gt_i64_e32 vcc, 0, v[3:4]
	v_not_b32_e32 v4, v4
	v_ashrrev_i32_e32 v4, 31, v4
	v_and_b32_e32 v79, v79, v81
	v_xor_b32_e32 v81, vcc_hi, v4
	v_xor_b32_e32 v4, vcc_lo, v4
	v_and_b32_e32 v14, v14, v4
	v_lshlrev_b32_e32 v4, 26, v13
	v_cmp_gt_i64_e32 vcc, 0, v[3:4]
	v_not_b32_e32 v4, v4
	v_ashrrev_i32_e32 v4, 31, v4
	v_and_b32_e32 v79, v79, v81
	v_xor_b32_e32 v81, vcc_hi, v4
	v_xor_b32_e32 v4, vcc_lo, v4
	v_and_b32_e32 v14, v14, v4
	v_lshlrev_b32_e32 v4, 25, v13
	v_cmp_gt_i64_e32 vcc, 0, v[3:4]
	v_not_b32_e32 v4, v4
	v_ashrrev_i32_e32 v4, 31, v4
	v_and_b32_e32 v79, v79, v81
	v_xor_b32_e32 v81, vcc_hi, v4
	v_xor_b32_e32 v4, vcc_lo, v4
	v_and_b32_e32 v79, v79, v81
	v_and_b32_e32 v81, v14, v4
	v_lshlrev_b32_e32 v4, 24, v13
	v_cmp_gt_i64_e32 vcc, 0, v[3:4]
	v_not_b32_e32 v4, v4
	v_ashrrev_i32_e32 v4, 31, v4
	v_mul_u32_u24_e32 v80, 20, v13
	v_xor_b32_e32 v13, vcc_hi, v4
	v_xor_b32_e32 v4, vcc_lo, v4
	v_and_b32_e32 v14, v79, v13
	v_and_b32_e32 v13, v81, v4
	v_mbcnt_lo_u32_b32 v4, v13, 0
	v_mbcnt_hi_u32_b32 v79, v14, v4
	v_cmp_ne_u64_e32 vcc, 0, v[13:14]
	v_cmp_eq_u32_e64 s[38:39], 0, v79
	s_and_b64 s[40:41], vcc, s[38:39]
	v_add_u32_e32 v82, v71, v80
	; wave barrier
	s_and_saveexec_b64 s[38:39], s[40:41]
	s_cbranch_execz .LBB295_62
; %bb.61:                               ;   in Loop: Header=BB295_48 Depth=2
	v_bcnt_u32_b32 v4, v13, 0
	v_bcnt_u32_b32 v4, v14, v4
	s_waitcnt lgkmcnt(0)
	v_add_u32_e32 v4, v77, v4
	ds_write_b32 v82, v4 offset:1040
.LBB295_62:                             ;   in Loop: Header=BB295_48 Depth=2
	s_or_b64 exec, exec, s[38:39]
	v_xor_b32_e32 v80, 0x7f, v16
	v_lshrrev_b32_sdwa v4, s7, v80 dst_sel:DWORD dst_unused:UNUSED_PAD src0_sel:DWORD src1_sel:BYTE_0
	v_and_b32_e32 v13, s58, v4
	v_mad_u32_u24 v4, v13, 20, v71
	; wave barrier
	ds_read_b32 v81, v4 offset:1040
	v_and_b32_e32 v4, 1, v13
	v_add_co_u32_e32 v14, vcc, -1, v4
	v_addc_co_u32_e64 v83, s[38:39], 0, -1, vcc
	v_cmp_ne_u32_e32 vcc, 0, v4
	v_xor_b32_e32 v4, vcc_hi, v83
	v_and_b32_e32 v83, exec_hi, v4
	v_lshlrev_b32_e32 v4, 30, v13
	v_xor_b32_e32 v14, vcc_lo, v14
	v_cmp_gt_i64_e32 vcc, 0, v[3:4]
	v_not_b32_e32 v4, v4
	v_ashrrev_i32_e32 v4, 31, v4
	v_and_b32_e32 v14, exec_lo, v14
	v_xor_b32_e32 v84, vcc_hi, v4
	v_xor_b32_e32 v4, vcc_lo, v4
	v_and_b32_e32 v14, v14, v4
	v_lshlrev_b32_e32 v4, 29, v13
	v_cmp_gt_i64_e32 vcc, 0, v[3:4]
	v_not_b32_e32 v4, v4
	v_ashrrev_i32_e32 v4, 31, v4
	v_and_b32_e32 v83, v83, v84
	v_xor_b32_e32 v84, vcc_hi, v4
	v_xor_b32_e32 v4, vcc_lo, v4
	v_and_b32_e32 v14, v14, v4
	v_lshlrev_b32_e32 v4, 28, v13
	v_cmp_gt_i64_e32 vcc, 0, v[3:4]
	v_not_b32_e32 v4, v4
	v_ashrrev_i32_e32 v4, 31, v4
	v_and_b32_e32 v83, v83, v84
	;; [unrolled: 8-line block ×5, first 2 shown]
	v_xor_b32_e32 v84, vcc_hi, v4
	v_xor_b32_e32 v4, vcc_lo, v4
	v_and_b32_e32 v83, v83, v84
	v_and_b32_e32 v84, v14, v4
	v_lshlrev_b32_e32 v4, 24, v13
	v_cmp_gt_i64_e32 vcc, 0, v[3:4]
	v_not_b32_e32 v4, v4
	v_ashrrev_i32_e32 v4, 31, v4
	v_mul_u32_u24_e32 v16, 20, v13
	v_xor_b32_e32 v13, vcc_hi, v4
	v_xor_b32_e32 v4, vcc_lo, v4
	v_and_b32_e32 v14, v83, v13
	v_and_b32_e32 v13, v84, v4
	v_mbcnt_lo_u32_b32 v4, v13, 0
	v_mbcnt_hi_u32_b32 v83, v14, v4
	v_cmp_ne_u64_e32 vcc, 0, v[13:14]
	v_cmp_eq_u32_e64 s[38:39], 0, v83
	s_and_b64 s[40:41], vcc, s[38:39]
	v_add_u32_e32 v86, v71, v16
	; wave barrier
	s_and_saveexec_b64 s[38:39], s[40:41]
	s_cbranch_execz .LBB295_64
; %bb.63:                               ;   in Loop: Header=BB295_48 Depth=2
	v_bcnt_u32_b32 v4, v13, 0
	v_bcnt_u32_b32 v4, v14, v4
	s_waitcnt lgkmcnt(0)
	v_add_u32_e32 v4, v81, v4
	ds_write_b32 v86, v4 offset:1040
.LBB295_64:                             ;   in Loop: Header=BB295_48 Depth=2
	s_or_b64 exec, exec, s[38:39]
	v_xor_b32_e32 v84, 0x7f, v15
	v_lshrrev_b32_sdwa v4, s7, v84 dst_sel:DWORD dst_unused:UNUSED_PAD src0_sel:DWORD src1_sel:BYTE_0
	v_and_b32_e32 v13, s58, v4
	v_mad_u32_u24 v4, v13, 20, v71
	; wave barrier
	ds_read_b32 v85, v4 offset:1040
	v_and_b32_e32 v4, 1, v13
	v_add_co_u32_e32 v14, vcc, -1, v4
	v_addc_co_u32_e64 v16, s[38:39], 0, -1, vcc
	v_cmp_ne_u32_e32 vcc, 0, v4
	v_xor_b32_e32 v4, vcc_hi, v16
	v_and_b32_e32 v16, exec_hi, v4
	v_lshlrev_b32_e32 v4, 30, v13
	v_xor_b32_e32 v14, vcc_lo, v14
	v_cmp_gt_i64_e32 vcc, 0, v[3:4]
	v_not_b32_e32 v4, v4
	v_ashrrev_i32_e32 v4, 31, v4
	v_and_b32_e32 v14, exec_lo, v14
	v_xor_b32_e32 v87, vcc_hi, v4
	v_xor_b32_e32 v4, vcc_lo, v4
	v_and_b32_e32 v14, v14, v4
	v_lshlrev_b32_e32 v4, 29, v13
	v_cmp_gt_i64_e32 vcc, 0, v[3:4]
	v_not_b32_e32 v4, v4
	v_ashrrev_i32_e32 v4, 31, v4
	v_and_b32_e32 v16, v16, v87
	v_xor_b32_e32 v87, vcc_hi, v4
	v_xor_b32_e32 v4, vcc_lo, v4
	v_and_b32_e32 v14, v14, v4
	v_lshlrev_b32_e32 v4, 28, v13
	v_cmp_gt_i64_e32 vcc, 0, v[3:4]
	v_not_b32_e32 v4, v4
	v_ashrrev_i32_e32 v4, 31, v4
	v_and_b32_e32 v16, v16, v87
	v_xor_b32_e32 v87, vcc_hi, v4
	v_xor_b32_e32 v4, vcc_lo, v4
	v_and_b32_e32 v14, v14, v4
	v_lshlrev_b32_e32 v4, 27, v13
	v_cmp_gt_i64_e32 vcc, 0, v[3:4]
	v_not_b32_e32 v4, v4
	v_ashrrev_i32_e32 v4, 31, v4
	v_and_b32_e32 v16, v16, v87
	v_xor_b32_e32 v87, vcc_hi, v4
	v_xor_b32_e32 v4, vcc_lo, v4
	v_and_b32_e32 v14, v14, v4
	v_lshlrev_b32_e32 v4, 26, v13
	v_cmp_gt_i64_e32 vcc, 0, v[3:4]
	v_not_b32_e32 v4, v4
	v_ashrrev_i32_e32 v4, 31, v4
	v_and_b32_e32 v16, v16, v87
	v_xor_b32_e32 v87, vcc_hi, v4
	v_xor_b32_e32 v4, vcc_lo, v4
	v_and_b32_e32 v14, v14, v4
	v_lshlrev_b32_e32 v4, 25, v13
	v_cmp_gt_i64_e32 vcc, 0, v[3:4]
	v_not_b32_e32 v4, v4
	v_ashrrev_i32_e32 v4, 31, v4
	v_and_b32_e32 v16, v16, v87
	v_xor_b32_e32 v87, vcc_hi, v4
	v_xor_b32_e32 v4, vcc_lo, v4
	v_and_b32_e32 v16, v16, v87
	v_and_b32_e32 v87, v14, v4
	v_lshlrev_b32_e32 v4, 24, v13
	v_cmp_gt_i64_e32 vcc, 0, v[3:4]
	v_not_b32_e32 v4, v4
	v_ashrrev_i32_e32 v4, 31, v4
	v_mul_u32_u24_e32 v15, 20, v13
	v_xor_b32_e32 v13, vcc_hi, v4
	v_xor_b32_e32 v4, vcc_lo, v4
	v_and_b32_e32 v14, v16, v13
	v_and_b32_e32 v13, v87, v4
	v_mbcnt_lo_u32_b32 v4, v13, 0
	v_mbcnt_hi_u32_b32 v4, v14, v4
	v_cmp_ne_u64_e32 vcc, 0, v[13:14]
	v_cmp_eq_u32_e64 s[38:39], 0, v4
	s_and_b64 s[40:41], vcc, s[38:39]
	v_add_u32_e32 v87, v71, v15
	; wave barrier
	s_and_saveexec_b64 s[38:39], s[40:41]
	s_cbranch_execz .LBB295_66
; %bb.65:                               ;   in Loop: Header=BB295_48 Depth=2
	v_bcnt_u32_b32 v13, v13, 0
	v_bcnt_u32_b32 v13, v14, v13
	s_waitcnt lgkmcnt(0)
	v_add_u32_e32 v13, v85, v13
	ds_write_b32 v87, v13 offset:1040
.LBB295_66:                             ;   in Loop: Header=BB295_48 Depth=2
	s_or_b64 exec, exec, s[38:39]
	; wave barrier
	s_waitcnt lgkmcnt(0)
	s_barrier
	ds_read2_b32 v[15:16], v53 offset1:1
	ds_read2_b32 v[13:14], v54 offset1:1
	ds_read_b32 v88, v50 offset:1056
	s_waitcnt lgkmcnt(1)
	v_add3_u32 v89, v16, v15, v13
	s_waitcnt lgkmcnt(0)
	v_add3_u32 v88, v89, v14, v88
	s_nop 1
	v_mov_b32_dpp v89, v88 row_shr:1 row_mask:0xf bank_mask:0xf
	v_cndmask_b32_e64 v89, v89, 0, s[18:19]
	v_add_u32_e32 v88, v89, v88
	s_nop 1
	v_mov_b32_dpp v89, v88 row_shr:2 row_mask:0xf bank_mask:0xf
	v_cndmask_b32_e64 v89, 0, v89, s[20:21]
	v_add_u32_e32 v88, v88, v89
	;; [unrolled: 4-line block ×4, first 2 shown]
	s_nop 1
	v_mov_b32_dpp v89, v88 row_bcast:15 row_mask:0xf bank_mask:0xf
	v_cndmask_b32_e64 v89, v89, 0, s[26:27]
	v_add_u32_e32 v88, v88, v89
	s_nop 1
	v_mov_b32_dpp v89, v88 row_bcast:31 row_mask:0xf bank_mask:0xf
	v_cndmask_b32_e64 v89, 0, v89, s[28:29]
	v_add_u32_e32 v88, v88, v89
	s_and_saveexec_b64 s[38:39], s[8:9]
; %bb.67:                               ;   in Loop: Header=BB295_48 Depth=2
	ds_write_b32 v26, v88 offset:1024
; %bb.68:                               ;   in Loop: Header=BB295_48 Depth=2
	s_or_b64 exec, exec, s[38:39]
	s_waitcnt lgkmcnt(0)
	s_barrier
	s_and_saveexec_b64 s[38:39], s[10:11]
	s_cbranch_execz .LBB295_70
; %bb.69:                               ;   in Loop: Header=BB295_48 Depth=2
	v_add_u32_e32 v89, v50, v28
	ds_read_b32 v90, v89 offset:1024
	s_waitcnt lgkmcnt(0)
	s_nop 0
	v_mov_b32_dpp v91, v90 row_shr:1 row_mask:0xf bank_mask:0xf
	v_cndmask_b32_e64 v91, v91, 0, s[34:35]
	v_add_u32_e32 v90, v91, v90
	s_nop 1
	v_mov_b32_dpp v91, v90 row_shr:2 row_mask:0xf bank_mask:0xf
	v_cndmask_b32_e64 v91, 0, v91, s[36:37]
	v_add_u32_e32 v90, v90, v91
	ds_write_b32 v89, v90 offset:1024
.LBB295_70:                             ;   in Loop: Header=BB295_48 Depth=2
	s_or_b64 exec, exec, s[38:39]
	v_mov_b32_e32 v89, 0
	s_waitcnt lgkmcnt(0)
	s_barrier
	s_and_saveexec_b64 s[38:39], s[12:13]
; %bb.71:                               ;   in Loop: Header=BB295_48 Depth=2
	ds_read_b32 v89, v26 offset:1020
; %bb.72:                               ;   in Loop: Header=BB295_48 Depth=2
	s_or_b64 exec, exec, s[38:39]
	s_waitcnt lgkmcnt(0)
	v_add_u32_e32 v88, v89, v88
	ds_bpermute_b32 v88, v64, v88
	s_waitcnt lgkmcnt(0)
	v_cndmask_b32_e64 v88, v88, v89, s[30:31]
	v_cndmask_b32_e64 v88, v88, 0, s[14:15]
	v_add_u32_e32 v15, v88, v15
	v_add_u32_e32 v16, v15, v16
	;; [unrolled: 1-line block ×4, first 2 shown]
	ds_write2_b32 v53, v88, v15 offset1:1
	ds_write2_b32 v54, v16, v13 offset1:1
	ds_write_b32 v50, v14 offset:1056
	s_waitcnt lgkmcnt(0)
	s_barrier
	ds_read_b32 v13, v78 offset:1040
	ds_read_b32 v14, v82 offset:1040
	ds_read_b32 v16, v86 offset:1040
	ds_read_b32 v82, v87 offset:1040
	ds_read_b32 v15, v50 offset:1040
	v_mov_b32_e32 v78, 0x400
	s_and_saveexec_b64 s[38:39], s[16:17]
; %bb.73:                               ;   in Loop: Header=BB295_48 Depth=2
	ds_read_b32 v78, v50 offset:1060
; %bb.74:                               ;   in Loop: Header=BB295_48 Depth=2
	s_or_b64 exec, exec, s[38:39]
	s_waitcnt lgkmcnt(0)
	s_barrier
	s_and_saveexec_b64 s[38:39], s[4:5]
	s_cbranch_execz .LBB295_76
; %bb.75:                               ;   in Loop: Header=BB295_48 Depth=2
	ds_read_b32 v86, v18
	s_waitcnt lgkmcnt(0)
	v_sub_u32_e32 v15, v86, v15
	ds_write_b32 v18, v15
.LBB295_76:                             ;   in Loop: Header=BB295_48 Depth=2
	s_or_b64 exec, exec, s[38:39]
	v_add_u32_e32 v15, v13, v75
	v_add3_u32 v14, v79, v77, v14
	v_add3_u32 v13, v83, v81, v16
	;; [unrolled: 1-line block ×3, first 2 shown]
	v_cmp_lt_u32_e64 s[42:43], v0, v74
	ds_write_b8 v15, v17 offset:1024
	ds_write_b8 v14, v76 offset:1024
	ds_write_b8 v13, v80 offset:1024
	ds_write_b8 v4, v84 offset:1024
	s_waitcnt lgkmcnt(0)
	s_barrier
	s_and_saveexec_b64 s[38:39], s[42:43]
	s_cbranch_execnz .LBB295_97
; %bb.77:                               ;   in Loop: Header=BB295_48 Depth=2
	s_or_b64 exec, exec, s[38:39]
	v_cmp_lt_u32_e64 s[40:41], v19, v74
	s_and_saveexec_b64 s[38:39], s[40:41]
	s_cbranch_execnz .LBB295_98
.LBB295_78:                             ;   in Loop: Header=BB295_48 Depth=2
	s_or_b64 exec, exec, s[38:39]
	v_cmp_lt_u32_e64 s[38:39], v20, v74
	s_and_saveexec_b64 s[44:45], s[38:39]
	s_cbranch_execnz .LBB295_99
.LBB295_79:                             ;   in Loop: Header=BB295_48 Depth=2
	s_or_b64 exec, exec, s[44:45]
	v_cmp_lt_u32_e32 vcc, v21, v74
	s_and_saveexec_b64 s[44:45], vcc
	s_cbranch_execz .LBB295_81
.LBB295_80:                             ;   in Loop: Header=BB295_48 Depth=2
	ds_read_u8 v16, v0 offset:1792
	s_waitcnt lgkmcnt(0)
	v_lshrrev_b32_sdwa v17, s7, v16 dst_sel:DWORD dst_unused:UNUSED_PAD src0_sel:DWORD src1_sel:BYTE_0
	v_and_b32_e32 v17, s58, v17
	v_lshlrev_b32_e32 v17, 2, v17
	ds_read_b32 v17, v17
	v_xor_b32_e32 v16, 0x7f, v16
	s_waitcnt lgkmcnt(0)
	v_add_u32_e32 v17, v17, v21
	global_store_byte v17, v16, s[50:51]
.LBB295_81:                             ;   in Loop: Header=BB295_48 Depth=2
	s_or_b64 exec, exec, s[44:45]
	s_lshl_b64 s[44:45], s[56:57], 3
	v_mov_b32_e32 v17, s45
	v_add_co_u32_e64 v16, s[44:45], s44, v65
	v_addc_co_u32_e64 v17, s[44:45], v66, v17, s[44:45]
	v_cmp_lt_u32_e64 s[44:45], v47, v74
	s_and_saveexec_b64 s[54:55], s[44:45]
	s_xor_b64 s[44:45], exec, s[54:55]
	s_cbranch_execnz .LBB295_100
; %bb.82:                               ;   in Loop: Header=BB295_48 Depth=2
	s_or_b64 exec, exec, s[44:45]
	v_cmp_lt_u32_e64 s[44:45], v61, v74
	s_and_saveexec_b64 s[54:55], s[44:45]
	s_cbranch_execnz .LBB295_101
.LBB295_83:                             ;   in Loop: Header=BB295_48 Depth=2
	s_or_b64 exec, exec, s[54:55]
	v_cmp_lt_u32_e64 s[44:45], v62, v74
	s_and_saveexec_b64 s[54:55], s[44:45]
	s_cbranch_execnz .LBB295_102
.LBB295_84:                             ;   in Loop: Header=BB295_48 Depth=2
	s_or_b64 exec, exec, s[54:55]
	v_cmp_lt_u32_e64 s[44:45], v63, v74
	s_and_saveexec_b64 s[54:55], s[44:45]
	s_cbranch_execnz .LBB295_103
.LBB295_85:                             ;   in Loop: Header=BB295_48 Depth=2
	s_or_b64 exec, exec, s[54:55]
	s_and_saveexec_b64 s[44:45], s[42:43]
	s_cbranch_execnz .LBB295_104
.LBB295_86:                             ;   in Loop: Header=BB295_48 Depth=2
	s_or_b64 exec, exec, s[44:45]
	s_and_saveexec_b64 s[44:45], s[40:41]
	s_cbranch_execnz .LBB295_105
.LBB295_87:                             ;   in Loop: Header=BB295_48 Depth=2
	s_or_b64 exec, exec, s[44:45]
	s_and_saveexec_b64 s[44:45], s[38:39]
	s_cbranch_execnz .LBB295_106
.LBB295_88:                             ;   in Loop: Header=BB295_48 Depth=2
	s_or_b64 exec, exec, s[44:45]
	s_and_saveexec_b64 s[44:45], vcc
	s_cbranch_execz .LBB295_90
.LBB295_89:                             ;   in Loop: Header=BB295_48 Depth=2
	ds_read_u8 v16, v0 offset:1792
	s_waitcnt lgkmcnt(0)
	v_lshrrev_b32_e32 v16, s7, v16
	v_and_b32_e32 v69, s58, v16
.LBB295_90:                             ;   in Loop: Header=BB295_48 Depth=2
	s_or_b64 exec, exec, s[44:45]
	v_mad_u64_u32 v[15:16], s[44:45], v15, 7, v[15:16]
	s_waitcnt vmcnt(0)
	v_mad_u64_u32 v[74:75], s[44:45], v4, 7, v[4:5]
	v_mad_u64_u32 v[16:17], s[44:45], v14, 7, v[14:15]
	;; [unrolled: 1-line block ×3, first 2 shown]
	s_barrier
	ds_write_b64 v15, v[11:12] offset:1024
	ds_write_b64 v16, v[9:10] offset:1024
	;; [unrolled: 1-line block ×4, first 2 shown]
	s_waitcnt lgkmcnt(0)
	s_barrier
	s_and_saveexec_b64 s[44:45], s[42:43]
	s_cbranch_execnz .LBB295_107
; %bb.91:                               ;   in Loop: Header=BB295_48 Depth=2
	s_or_b64 exec, exec, s[44:45]
	s_and_saveexec_b64 s[42:43], s[40:41]
	s_cbranch_execnz .LBB295_108
.LBB295_92:                             ;   in Loop: Header=BB295_48 Depth=2
	s_or_b64 exec, exec, s[42:43]
	s_and_saveexec_b64 s[40:41], s[38:39]
	s_cbranch_execnz .LBB295_109
.LBB295_93:                             ;   in Loop: Header=BB295_48 Depth=2
	s_or_b64 exec, exec, s[40:41]
	s_and_saveexec_b64 s[38:39], vcc
	s_cbranch_execz .LBB295_95
.LBB295_94:                             ;   in Loop: Header=BB295_48 Depth=2
	v_lshlrev_b32_e32 v4, 2, v69
	ds_read_b32 v4, v4
	v_add_u32_e32 v13, v0, v51
	ds_read_b64 v[13:14], v13 offset:7168
	v_mov_b32_e32 v16, v3
	v_mov_b32_e32 v17, s65
	s_waitcnt lgkmcnt(1)
	v_add_u32_e32 v15, v4, v21
	v_lshlrev_b64 v[15:16], 3, v[15:16]
	v_add_co_u32_e32 v15, vcc, s64, v15
	v_addc_co_u32_e32 v16, vcc, v17, v16, vcc
	s_waitcnt lgkmcnt(0)
	global_store_dwordx2 v[15:16], v[13:14], off
.LBB295_95:                             ;   in Loop: Header=BB295_48 Depth=2
	s_or_b64 exec, exec, s[38:39]
	s_waitcnt vmcnt(0)
	s_barrier
	s_and_saveexec_b64 s[38:39], s[4:5]
	s_cbranch_execz .LBB295_47
; %bb.96:                               ;   in Loop: Header=BB295_48 Depth=2
	ds_read_b32 v4, v18
	s_waitcnt lgkmcnt(0)
	v_add_u32_e32 v4, v4, v78
	ds_write_b32 v18, v4
	s_branch .LBB295_47
.LBB295_97:                             ;   in Loop: Header=BB295_48 Depth=2
	ds_read_u8 v16, v0 offset:1024
	s_waitcnt lgkmcnt(0)
	v_lshrrev_b32_sdwa v17, s7, v16 dst_sel:DWORD dst_unused:UNUSED_PAD src0_sel:DWORD src1_sel:BYTE_0
	v_and_b32_e32 v17, s58, v17
	v_lshlrev_b32_e32 v17, 2, v17
	ds_read_b32 v17, v17
	v_xor_b32_e32 v16, 0x7f, v16
	s_waitcnt lgkmcnt(0)
	v_add_u32_e32 v17, v17, v0
	global_store_byte v17, v16, s[50:51]
	s_or_b64 exec, exec, s[38:39]
	v_cmp_lt_u32_e64 s[40:41], v19, v74
	s_and_saveexec_b64 s[38:39], s[40:41]
	s_cbranch_execz .LBB295_78
.LBB295_98:                             ;   in Loop: Header=BB295_48 Depth=2
	ds_read_u8 v16, v0 offset:1280
	s_waitcnt lgkmcnt(0)
	v_lshrrev_b32_sdwa v17, s7, v16 dst_sel:DWORD dst_unused:UNUSED_PAD src0_sel:DWORD src1_sel:BYTE_0
	v_and_b32_e32 v17, s58, v17
	v_lshlrev_b32_e32 v17, 2, v17
	ds_read_b32 v17, v17
	v_xor_b32_e32 v16, 0x7f, v16
	s_waitcnt lgkmcnt(0)
	v_add_u32_e32 v17, v17, v19
	global_store_byte v17, v16, s[50:51]
	s_or_b64 exec, exec, s[38:39]
	v_cmp_lt_u32_e64 s[38:39], v20, v74
	s_and_saveexec_b64 s[44:45], s[38:39]
	s_cbranch_execz .LBB295_79
.LBB295_99:                             ;   in Loop: Header=BB295_48 Depth=2
	ds_read_u8 v16, v0 offset:1536
	s_waitcnt lgkmcnt(0)
	v_lshrrev_b32_sdwa v17, s7, v16 dst_sel:DWORD dst_unused:UNUSED_PAD src0_sel:DWORD src1_sel:BYTE_0
	v_and_b32_e32 v17, s58, v17
	v_lshlrev_b32_e32 v17, 2, v17
	ds_read_b32 v17, v17
	v_xor_b32_e32 v16, 0x7f, v16
	s_waitcnt lgkmcnt(0)
	v_add_u32_e32 v17, v17, v20
	global_store_byte v17, v16, s[50:51]
	s_or_b64 exec, exec, s[44:45]
	v_cmp_lt_u32_e32 vcc, v21, v74
	s_and_saveexec_b64 s[44:45], vcc
	s_cbranch_execnz .LBB295_80
	s_branch .LBB295_81
.LBB295_100:                            ;   in Loop: Header=BB295_48 Depth=2
	global_load_dwordx2 v[11:12], v[16:17], off
	s_or_b64 exec, exec, s[44:45]
	v_cmp_lt_u32_e64 s[44:45], v61, v74
	s_and_saveexec_b64 s[54:55], s[44:45]
	s_cbranch_execz .LBB295_83
.LBB295_101:                            ;   in Loop: Header=BB295_48 Depth=2
	global_load_dwordx2 v[9:10], v[16:17], off offset:512
	s_or_b64 exec, exec, s[54:55]
	v_cmp_lt_u32_e64 s[44:45], v62, v74
	s_and_saveexec_b64 s[54:55], s[44:45]
	s_cbranch_execz .LBB295_84
.LBB295_102:                            ;   in Loop: Header=BB295_48 Depth=2
	global_load_dwordx2 v[7:8], v[16:17], off offset:1024
	s_or_b64 exec, exec, s[54:55]
	v_cmp_lt_u32_e64 s[44:45], v63, v74
	s_and_saveexec_b64 s[54:55], s[44:45]
	s_cbranch_execz .LBB295_85
.LBB295_103:                            ;   in Loop: Header=BB295_48 Depth=2
	global_load_dwordx2 v[5:6], v[16:17], off offset:1536
	s_or_b64 exec, exec, s[54:55]
	s_and_saveexec_b64 s[44:45], s[42:43]
	s_cbranch_execz .LBB295_86
.LBB295_104:                            ;   in Loop: Header=BB295_48 Depth=2
	ds_read_u8 v16, v0 offset:1024
	s_waitcnt lgkmcnt(0)
	v_lshrrev_b32_e32 v16, s7, v16
	v_and_b32_e32 v73, s58, v16
	s_or_b64 exec, exec, s[44:45]
	s_and_saveexec_b64 s[44:45], s[40:41]
	s_cbranch_execz .LBB295_87
.LBB295_105:                            ;   in Loop: Header=BB295_48 Depth=2
	ds_read_u8 v16, v0 offset:1280
	s_waitcnt lgkmcnt(0)
	v_lshrrev_b32_e32 v16, s7, v16
	v_and_b32_e32 v72, s58, v16
	s_or_b64 exec, exec, s[44:45]
	s_and_saveexec_b64 s[44:45], s[38:39]
	s_cbranch_execz .LBB295_88
.LBB295_106:                            ;   in Loop: Header=BB295_48 Depth=2
	ds_read_u8 v16, v0 offset:1536
	s_waitcnt lgkmcnt(0)
	v_lshrrev_b32_e32 v16, s7, v16
	v_and_b32_e32 v70, s58, v16
	s_or_b64 exec, exec, s[44:45]
	s_and_saveexec_b64 s[44:45], vcc
	s_cbranch_execnz .LBB295_89
	s_branch .LBB295_90
.LBB295_107:                            ;   in Loop: Header=BB295_48 Depth=2
	v_lshlrev_b32_e32 v4, 2, v73
	ds_read_b32 v4, v4
	v_add_u32_e32 v13, v0, v51
	ds_read_b64 v[13:14], v13 offset:1024
	v_mov_b32_e32 v16, v3
	v_mov_b32_e32 v17, s65
	s_waitcnt lgkmcnt(1)
	v_add_u32_e32 v15, v4, v0
	v_lshlrev_b64 v[15:16], 3, v[15:16]
	v_add_co_u32_e64 v15, s[42:43], s64, v15
	v_addc_co_u32_e64 v16, s[42:43], v17, v16, s[42:43]
	s_waitcnt lgkmcnt(0)
	global_store_dwordx2 v[15:16], v[13:14], off
	s_or_b64 exec, exec, s[44:45]
	s_and_saveexec_b64 s[42:43], s[40:41]
	s_cbranch_execz .LBB295_92
.LBB295_108:                            ;   in Loop: Header=BB295_48 Depth=2
	v_lshlrev_b32_e32 v4, 2, v72
	ds_read_b32 v4, v4
	v_add_u32_e32 v13, v0, v51
	ds_read_b64 v[13:14], v13 offset:3072
	v_mov_b32_e32 v16, v3
	v_mov_b32_e32 v17, s65
	s_waitcnt lgkmcnt(1)
	v_add_u32_e32 v15, v4, v19
	v_lshlrev_b64 v[15:16], 3, v[15:16]
	v_add_co_u32_e64 v15, s[40:41], s64, v15
	v_addc_co_u32_e64 v16, s[40:41], v17, v16, s[40:41]
	s_waitcnt lgkmcnt(0)
	global_store_dwordx2 v[15:16], v[13:14], off
	s_or_b64 exec, exec, s[42:43]
	s_and_saveexec_b64 s[40:41], s[38:39]
	s_cbranch_execz .LBB295_93
.LBB295_109:                            ;   in Loop: Header=BB295_48 Depth=2
	v_lshlrev_b32_e32 v4, 2, v70
	ds_read_b32 v4, v4
	v_add_u32_e32 v13, v0, v51
	ds_read_b64 v[13:14], v13 offset:5120
	v_mov_b32_e32 v16, v3
	v_mov_b32_e32 v17, s65
	s_waitcnt lgkmcnt(1)
	v_add_u32_e32 v15, v4, v20
	v_lshlrev_b64 v[15:16], 3, v[15:16]
	v_add_co_u32_e64 v15, s[38:39], s64, v15
	v_addc_co_u32_e64 v16, s[38:39], v17, v16, s[38:39]
	s_waitcnt lgkmcnt(0)
	global_store_dwordx2 v[15:16], v[13:14], off
	s_or_b64 exec, exec, s[40:41]
	s_and_saveexec_b64 s[38:39], vcc
	s_cbranch_execnz .LBB295_94
	s_branch .LBB295_95
.LBB295_110:                            ;   in Loop: Header=BB295_48 Depth=2
	global_load_ubyte v4, v[13:14], off
	v_mov_b32_e32 v15, 0x80
	v_mov_b32_e32 v76, 0x80
	;; [unrolled: 1-line block ×3, first 2 shown]
	s_or_b64 exec, exec, s[38:39]
	v_cmp_gt_u32_e32 vcc, s59, v61
	s_and_saveexec_b64 s[38:39], vcc
	s_cbranch_execz .LBB295_53
.LBB295_111:                            ;   in Loop: Header=BB295_48 Depth=2
	global_load_ubyte v76, v[13:14], off offset:64
	s_or_b64 exec, exec, s[38:39]
	v_cmp_gt_u32_e32 vcc, s59, v62
	s_and_saveexec_b64 s[38:39], vcc
	s_cbranch_execnz .LBB295_54
	s_branch .LBB295_55
.LBB295_112:                            ;   in Loop: Header=BB295_12 Depth=1
	s_waitcnt lgkmcnt(0)
	s_barrier
	s_mov_b64 s[18:19], 0
.LBB295_113:                            ;   in Loop: Header=BB295_12 Depth=1
	s_and_b64 vcc, exec, s[18:19]
	s_cbranch_vccz .LBB295_213
; %bb.114:                              ;   in Loop: Header=BB295_12 Depth=1
	v_mov_b32_e32 v4, 0
	s_mov_b32 s20, s71
	s_mov_b32 s22, s74
	v_mov_b32_e32 v7, 0
	v_mov_b32_e32 v6, 0
	;; [unrolled: 1-line block ×3, first 2 shown]
	s_barrier
	s_branch .LBB295_116
.LBB295_115:                            ;   in Loop: Header=BB295_116 Depth=2
	s_or_b64 exec, exec, s[18:19]
	s_addk_i32 s20, 0xfc00
	s_cmp_ge_u32 s21, s75
	s_mov_b32 s22, s21
	s_cbranch_scc1 .LBB295_136
.LBB295_116:                            ;   Parent Loop BB295_12 Depth=1
                                        ; =>  This Inner Loop Header: Depth=2
	s_add_i32 s21, s22, 0x400
	s_cmp_gt_u32 s21, s75
	s_mov_b64 s[18:19], -1
                                        ; implicit-def: $vgpr8
                                        ; implicit-def: $vgpr9
                                        ; implicit-def: $vgpr10
                                        ; implicit-def: $vgpr11
	s_cbranch_scc1 .LBB295_118
; %bb.117:                              ;   in Loop: Header=BB295_116 Depth=2
	v_add_co_u32_e32 v12, vcc, s22, v33
	v_addc_co_u32_e32 v13, vcc, 0, v34, vcc
	global_load_ubyte v11, v[12:13], off offset:768
	global_load_ubyte v10, v[12:13], off offset:512
	;; [unrolled: 1-line block ×3, first 2 shown]
	global_load_ubyte v8, v[12:13], off
	s_mov_b64 s[18:19], 0
.LBB295_118:                            ;   in Loop: Header=BB295_116 Depth=2
	s_andn2_b64 vcc, exec, s[18:19]
	s_movk_i32 s23, 0x400
	s_cbranch_vccnz .LBB295_125
; %bb.119:                              ;   in Loop: Header=BB295_116 Depth=2
	s_add_u32 s22, s50, s22
	s_addc_u32 s23, s51, 0
	v_cmp_gt_u32_e32 vcc, s20, v0
	s_and_saveexec_b64 s[18:19], vcc
	s_cbranch_execnz .LBB295_133
; %bb.120:                              ;   in Loop: Header=BB295_116 Depth=2
	s_or_b64 exec, exec, s[18:19]
	v_cmp_gt_u32_e32 vcc, s20, v19
	s_and_saveexec_b64 s[18:19], vcc
	s_cbranch_execnz .LBB295_134
.LBB295_121:                            ;   in Loop: Header=BB295_116 Depth=2
	s_or_b64 exec, exec, s[18:19]
	v_cmp_gt_u32_e32 vcc, s20, v20
	s_and_saveexec_b64 s[18:19], vcc
	s_cbranch_execnz .LBB295_135
.LBB295_122:                            ;   in Loop: Header=BB295_116 Depth=2
	s_or_b64 exec, exec, s[18:19]
	v_cmp_gt_u32_e32 vcc, s20, v21
	s_and_saveexec_b64 s[18:19], vcc
	s_cbranch_execz .LBB295_124
.LBB295_123:                            ;   in Loop: Header=BB295_116 Depth=2
	v_mov_b32_e32 v5, s23
	s_waitcnt vmcnt(0)
	v_add_co_u32_e32 v8, vcc, s22, v0
	v_addc_co_u32_e32 v9, vcc, 0, v5, vcc
	global_load_ubyte v5, v[8:9], off offset:768
.LBB295_124:                            ;   in Loop: Header=BB295_116 Depth=2
	s_or_b64 exec, exec, s[18:19]
	s_mov_b32 s23, s20
	s_waitcnt vmcnt(0)
	v_mov_b32_e32 v8, v4
	v_mov_b32_e32 v9, v7
	;; [unrolled: 1-line block ×4, first 2 shown]
.LBB295_125:                            ;   in Loop: Header=BB295_116 Depth=2
	s_waitcnt vmcnt(3)
	v_mov_b32_e32 v5, v11
	s_waitcnt vmcnt(2)
	v_mov_b32_e32 v6, v10
	;; [unrolled: 2-line block ×4, first 2 shown]
	v_cmp_gt_u32_e32 vcc, s23, v0
	s_and_saveexec_b64 s[18:19], vcc
	s_cbranch_execnz .LBB295_129
; %bb.126:                              ;   in Loop: Header=BB295_116 Depth=2
	s_or_b64 exec, exec, s[18:19]
	v_cmp_gt_u32_e32 vcc, s23, v19
	s_and_saveexec_b64 s[18:19], vcc
	s_cbranch_execnz .LBB295_130
.LBB295_127:                            ;   in Loop: Header=BB295_116 Depth=2
	s_or_b64 exec, exec, s[18:19]
	v_cmp_gt_u32_e32 vcc, s23, v20
	s_and_saveexec_b64 s[18:19], vcc
	s_cbranch_execnz .LBB295_131
.LBB295_128:                            ;   in Loop: Header=BB295_116 Depth=2
	s_or_b64 exec, exec, s[18:19]
	v_cmp_gt_u32_e32 vcc, s23, v21
	s_and_saveexec_b64 s[18:19], vcc
	s_cbranch_execz .LBB295_115
	s_branch .LBB295_132
.LBB295_129:                            ;   in Loop: Header=BB295_116 Depth=2
	v_xor_b32_e32 v8, 0x7f, v4
	v_lshrrev_b32_sdwa v8, s7, v8 dst_sel:DWORD dst_unused:UNUSED_PAD src0_sel:DWORD src1_sel:BYTE_0
	v_and_b32_e32 v8, s58, v8
	v_lshl_or_b32 v8, v8, 4, v24
	ds_add_u32 v8, v52
	s_or_b64 exec, exec, s[18:19]
	v_cmp_gt_u32_e32 vcc, s23, v19
	s_and_saveexec_b64 s[18:19], vcc
	s_cbranch_execz .LBB295_127
.LBB295_130:                            ;   in Loop: Header=BB295_116 Depth=2
	v_xor_b32_e32 v8, 0x7f, v7
	v_lshrrev_b32_sdwa v8, s7, v8 dst_sel:DWORD dst_unused:UNUSED_PAD src0_sel:DWORD src1_sel:BYTE_0
	v_and_b32_e32 v8, s58, v8
	v_lshl_or_b32 v8, v8, 4, v24
	ds_add_u32 v8, v52
	s_or_b64 exec, exec, s[18:19]
	v_cmp_gt_u32_e32 vcc, s23, v20
	s_and_saveexec_b64 s[18:19], vcc
	s_cbranch_execz .LBB295_128
.LBB295_131:                            ;   in Loop: Header=BB295_116 Depth=2
	v_xor_b32_e32 v8, 0x7f, v6
	v_lshrrev_b32_sdwa v8, s7, v8 dst_sel:DWORD dst_unused:UNUSED_PAD src0_sel:DWORD src1_sel:BYTE_0
	v_and_b32_e32 v8, s58, v8
	v_lshl_or_b32 v8, v8, 4, v24
	ds_add_u32 v8, v52
	s_or_b64 exec, exec, s[18:19]
	v_cmp_gt_u32_e32 vcc, s23, v21
	s_and_saveexec_b64 s[18:19], vcc
	s_cbranch_execz .LBB295_115
.LBB295_132:                            ;   in Loop: Header=BB295_116 Depth=2
	v_xor_b32_e32 v8, 0x7f, v5
	v_lshrrev_b32_sdwa v8, s7, v8 dst_sel:DWORD dst_unused:UNUSED_PAD src0_sel:DWORD src1_sel:BYTE_0
	v_and_b32_e32 v8, s58, v8
	v_lshl_or_b32 v8, v8, 4, v24
	ds_add_u32 v8, v52
	s_branch .LBB295_115
.LBB295_133:                            ;   in Loop: Header=BB295_116 Depth=2
	v_mov_b32_e32 v4, s23
	s_waitcnt vmcnt(0)
	v_add_co_u32_e32 v8, vcc, s22, v0
	v_addc_co_u32_e32 v9, vcc, 0, v4, vcc
	global_load_ubyte v4, v[8:9], off
	s_or_b64 exec, exec, s[18:19]
	v_cmp_gt_u32_e32 vcc, s20, v19
	s_and_saveexec_b64 s[18:19], vcc
	s_cbranch_execz .LBB295_121
.LBB295_134:                            ;   in Loop: Header=BB295_116 Depth=2
	s_waitcnt vmcnt(0)
	v_mov_b32_e32 v8, s23
	v_add_co_u32_e32 v7, vcc, s22, v0
	v_addc_co_u32_e32 v8, vcc, 0, v8, vcc
	global_load_ubyte v7, v[7:8], off offset:256
	s_or_b64 exec, exec, s[18:19]
	v_cmp_gt_u32_e32 vcc, s20, v20
	s_and_saveexec_b64 s[18:19], vcc
	s_cbranch_execz .LBB295_122
.LBB295_135:                            ;   in Loop: Header=BB295_116 Depth=2
	v_mov_b32_e32 v6, s23
	s_waitcnt vmcnt(0)
	v_add_co_u32_e32 v8, vcc, s22, v0
	v_addc_co_u32_e32 v9, vcc, 0, v6, vcc
	global_load_ubyte v6, v[8:9], off offset:512
	s_or_b64 exec, exec, s[18:19]
	v_cmp_gt_u32_e32 vcc, s20, v21
	s_and_saveexec_b64 s[18:19], vcc
	s_cbranch_execnz .LBB295_123
	s_branch .LBB295_124
.LBB295_136:                            ;   in Loop: Header=BB295_12 Depth=1
	v_mov_b32_e32 v4, 0
	s_waitcnt lgkmcnt(0)
	s_barrier
	s_and_saveexec_b64 s[18:19], s[4:5]
	s_cbranch_execz .LBB295_138
; %bb.137:                              ;   in Loop: Header=BB295_12 Depth=1
	ds_read2_b64 v[4:7], v25 offset1:1
	s_waitcnt lgkmcnt(0)
	v_add_u32_e32 v4, v5, v4
	v_add3_u32 v4, v4, v6, v7
.LBB295_138:                            ;   in Loop: Header=BB295_12 Depth=1
	s_or_b64 exec, exec, s[18:19]
	s_nop 0
	v_mov_b32_dpp v5, v4 row_shr:1 row_mask:0xf bank_mask:0xf
	v_cmp_eq_u32_e64 s[18:19], 0, v55
	v_cndmask_b32_e64 v5, v5, 0, s[18:19]
	v_add_u32_e32 v4, v5, v4
	v_cmp_lt_u32_e64 s[20:21], 1, v55
	v_cmp_lt_u32_e64 s[22:23], 3, v55
	v_mov_b32_dpp v5, v4 row_shr:2 row_mask:0xf bank_mask:0xf
	v_cndmask_b32_e64 v5, 0, v5, s[20:21]
	v_add_u32_e32 v4, v4, v5
	v_cmp_lt_u32_e64 s[24:25], 7, v55
	v_cmp_lt_u32_e64 s[28:29], 31, v45
	v_mov_b32_dpp v5, v4 row_shr:4 row_mask:0xf bank_mask:0xf
	v_cndmask_b32_e64 v5, 0, v5, s[22:23]
	v_add_u32_e32 v4, v4, v5
	v_cmp_eq_u32_e64 s[26:27], 0, v57
	s_nop 0
	v_mov_b32_dpp v5, v4 row_shr:8 row_mask:0xf bank_mask:0xf
	v_cndmask_b32_e64 v5, 0, v5, s[24:25]
	v_add_u32_e32 v4, v4, v5
	s_nop 1
	v_mov_b32_dpp v5, v4 row_bcast:15 row_mask:0xf bank_mask:0xf
	v_and_b32_e32 v5, v56, v5
	v_add_u32_e32 v4, v4, v5
	s_nop 1
	v_mov_b32_dpp v5, v4 row_bcast:31 row_mask:0xf bank_mask:0xf
	v_cndmask_b32_e64 v5, 0, v5, s[28:29]
	v_add_u32_e32 v4, v4, v5
	s_and_saveexec_b64 s[30:31], s[8:9]
; %bb.139:                              ;   in Loop: Header=BB295_12 Depth=1
	ds_write_b32 v27, v4
; %bb.140:                              ;   in Loop: Header=BB295_12 Depth=1
	s_or_b64 exec, exec, s[30:31]
	s_waitcnt lgkmcnt(0)
	s_barrier
	s_and_saveexec_b64 s[30:31], s[10:11]
	s_cbranch_execz .LBB295_142
; %bb.141:                              ;   in Loop: Header=BB295_12 Depth=1
	ds_read_b32 v5, v48
	v_cmp_ne_u32_e32 vcc, 0, v58
	s_waitcnt lgkmcnt(0)
	v_mov_b32_dpp v6, v5 row_shr:1 row_mask:0xf bank_mask:0xf
	v_cndmask_b32_e32 v6, 0, v6, vcc
	v_add_u32_e32 v5, v6, v5
	v_cmp_lt_u32_e32 vcc, 1, v58
	s_nop 0
	v_mov_b32_dpp v6, v5 row_shr:2 row_mask:0xf bank_mask:0xf
	v_cndmask_b32_e32 v6, 0, v6, vcc
	v_add_u32_e32 v5, v5, v6
	ds_write_b32 v48, v5
.LBB295_142:                            ;   in Loop: Header=BB295_12 Depth=1
	s_or_b64 exec, exec, s[30:31]
	v_mov_b32_e32 v5, 0
	s_waitcnt lgkmcnt(0)
	s_barrier
	s_and_saveexec_b64 s[30:31], s[12:13]
; %bb.143:                              ;   in Loop: Header=BB295_12 Depth=1
	ds_read_b32 v5, v49
; %bb.144:                              ;   in Loop: Header=BB295_12 Depth=1
	s_or_b64 exec, exec, s[30:31]
	v_subrev_co_u32_e64 v6, s[30:31], 1, v45
	v_cmp_lt_i32_e32 vcc, v6, v59
	v_cndmask_b32_e32 v6, v6, v45, vcc
	s_waitcnt lgkmcnt(0)
	v_add_u32_e32 v4, v5, v4
	v_lshlrev_b32_e32 v64, 2, v6
	ds_bpermute_b32 v4, v64, v4
	s_waitcnt lgkmcnt(0)
	s_barrier
	s_and_saveexec_b64 s[34:35], s[4:5]
; %bb.145:                              ;   in Loop: Header=BB295_12 Depth=1
	v_cndmask_b32_e64 v4, v4, v5, s[30:31]
	v_add_u32_e32 v4, s74, v4
	ds_write_b32 v18, v4
; %bb.146:                              ;   in Loop: Header=BB295_12 Depth=1
	s_or_b64 exec, exec, s[34:35]
	s_load_dwordx2 s[34:35], s[46:47], 0x0
	v_add_co_u32_e32 v65, vcc, v35, v60
	v_addc_co_u32_e32 v66, vcc, 0, v36, vcc
	s_waitcnt lgkmcnt(0)
	s_cmp_lt_u32 s33, s35
	s_cselect_b32 s35, 14, 20
	s_add_u32 s36, s46, s35
	s_addc_u32 s37, s47, 0
	s_cmp_lt_u32 s6, s34
	s_cselect_b32 s34, 12, 18
	s_add_u32 s34, s46, s34
	global_load_ushort v4, v3, s[36:37]
	s_addc_u32 s35, s47, 0
	global_load_ushort v5, v3, s[34:35]
	v_add_co_u32_e32 v67, vcc, v37, v46
	v_cmp_eq_u32_e64 s[34:35], 0, v58
	v_cmp_lt_u32_e64 s[36:37], 1, v58
	v_addc_co_u32_e32 v68, vcc, 0, v38, vcc
	s_mov_b32 s59, s71
	s_mov_b32 s56, s74
                                        ; implicit-def: $vgpr7_vgpr8
                                        ; implicit-def: $vgpr9_vgpr10
                                        ; implicit-def: $vgpr11_vgpr12
                                        ; implicit-def: $vgpr69
                                        ; implicit-def: $vgpr70
                                        ; implicit-def: $vgpr72
                                        ; implicit-def: $vgpr73
	s_waitcnt vmcnt(1)
	v_mad_u32_u24 v4, v2, v4, v1
	s_waitcnt vmcnt(0)
	v_mad_u64_u32 v[4:5], s[38:39], v4, v5, v[0:1]
                                        ; implicit-def: $vgpr5_vgpr6
	v_lshrrev_b32_e32 v4, 4, v4
	v_and_b32_e32 v71, 0xffffffc, v4
	s_branch .LBB295_148
.LBB295_147:                            ;   in Loop: Header=BB295_148 Depth=2
	s_or_b64 exec, exec, s[38:39]
	s_addk_i32 s59, 0xfc00
	s_cmp_lt_u32 s60, s75
	s_mov_b32 s56, s60
	s_cbranch_scc0 .LBB295_212
.LBB295_148:                            ;   Parent Loop BB295_12 Depth=1
                                        ; =>  This Inner Loop Header: Depth=2
	s_add_i32 s60, s56, 0x400
	s_cmp_gt_u32 s60, s75
	s_cbranch_scc1 .LBB295_150
; %bb.149:                              ;   in Loop: Header=BB295_148 Depth=2
	v_add_co_u32_e32 v13, vcc, s56, v67
	v_addc_co_u32_e32 v14, vcc, 0, v68, vcc
	global_load_ubyte v16, v[13:14], off offset:128
	global_load_ubyte v76, v[13:14], off offset:64
	global_load_ubyte v4, v[13:14], off
	s_mov_b64 s[38:39], -1
	s_movk_i32 s42, 0x400
                                        ; implicit-def: $vgpr15
	s_cbranch_execz .LBB295_151
	s_branch .LBB295_156
.LBB295_150:                            ;   in Loop: Header=BB295_148 Depth=2
	s_mov_b64 s[38:39], 0
                                        ; implicit-def: $vgpr4
                                        ; implicit-def: $vgpr76
                                        ; implicit-def: $vgpr16
	s_movk_i32 s42, 0x400
                                        ; implicit-def: $vgpr15
.LBB295_151:                            ;   in Loop: Header=BB295_148 Depth=2
	v_add_co_u32_e32 v13, vcc, s56, v67
	v_addc_co_u32_e32 v14, vcc, 0, v68, vcc
	v_cmp_gt_u32_e32 vcc, s59, v47
	v_mov_b32_e32 v15, 0x80
	s_waitcnt vmcnt(0)
	v_mov_b32_e32 v4, 0x80
	v_mov_b32_e32 v76, 0x80
	;; [unrolled: 1-line block ×3, first 2 shown]
	s_and_saveexec_b64 s[38:39], vcc
	s_cbranch_execnz .LBB295_210
; %bb.152:                              ;   in Loop: Header=BB295_148 Depth=2
	s_or_b64 exec, exec, s[38:39]
	v_cmp_gt_u32_e32 vcc, s59, v61
	s_and_saveexec_b64 s[38:39], vcc
	s_cbranch_execnz .LBB295_211
.LBB295_153:                            ;   in Loop: Header=BB295_148 Depth=2
	s_or_b64 exec, exec, s[38:39]
	v_cmp_gt_u32_e32 vcc, s59, v62
	s_and_saveexec_b64 s[38:39], vcc
	s_cbranch_execz .LBB295_155
.LBB295_154:                            ;   in Loop: Header=BB295_148 Depth=2
	global_load_ubyte v16, v[13:14], off offset:128
.LBB295_155:                            ;   in Loop: Header=BB295_148 Depth=2
	s_or_b64 exec, exec, s[38:39]
	s_sub_i32 s42, s75, s56
	v_cmp_gt_u32_e64 s[38:39], s59, v63
.LBB295_156:                            ;   in Loop: Header=BB295_148 Depth=2
	v_mov_b32_e32 v74, s59
	s_and_saveexec_b64 s[40:41], s[38:39]
	s_cbranch_execz .LBB295_158
; %bb.157:                              ;   in Loop: Header=BB295_148 Depth=2
	v_mov_b32_e32 v14, s57
	v_add_co_u32_e32 v13, vcc, s56, v67
	v_addc_co_u32_e32 v14, vcc, v68, v14, vcc
	global_load_ubyte v15, v[13:14], off offset:192
	v_mov_b32_e32 v74, s42
.LBB295_158:                            ;   in Loop: Header=BB295_148 Depth=2
	s_or_b64 exec, exec, s[40:41]
	s_waitcnt vmcnt(0)
	v_xor_b32_e32 v17, 0x7f, v4
	v_lshrrev_b32_sdwa v4, s7, v17 dst_sel:DWORD dst_unused:UNUSED_PAD src0_sel:DWORD src1_sel:BYTE_0
	v_and_b32_e32 v13, s58, v4
	v_and_b32_e32 v4, 1, v13
	v_add_co_u32_e32 v14, vcc, -1, v4
	v_addc_co_u32_e64 v75, s[38:39], 0, -1, vcc
	v_cmp_ne_u32_e32 vcc, 0, v4
	v_xor_b32_e32 v4, vcc_hi, v75
	v_and_b32_e32 v75, exec_hi, v4
	v_lshlrev_b32_e32 v4, 30, v13
	v_xor_b32_e32 v14, vcc_lo, v14
	v_cmp_gt_i64_e32 vcc, 0, v[3:4]
	v_not_b32_e32 v4, v4
	v_ashrrev_i32_e32 v4, 31, v4
	v_and_b32_e32 v14, exec_lo, v14
	v_xor_b32_e32 v78, vcc_hi, v4
	v_xor_b32_e32 v4, vcc_lo, v4
	v_and_b32_e32 v14, v14, v4
	v_lshlrev_b32_e32 v4, 29, v13
	v_cmp_gt_i64_e32 vcc, 0, v[3:4]
	v_not_b32_e32 v4, v4
	v_ashrrev_i32_e32 v4, 31, v4
	v_and_b32_e32 v75, v75, v78
	v_xor_b32_e32 v78, vcc_hi, v4
	v_xor_b32_e32 v4, vcc_lo, v4
	v_and_b32_e32 v14, v14, v4
	v_lshlrev_b32_e32 v4, 28, v13
	v_cmp_gt_i64_e32 vcc, 0, v[3:4]
	v_not_b32_e32 v4, v4
	v_ashrrev_i32_e32 v4, 31, v4
	v_and_b32_e32 v75, v75, v78
	;; [unrolled: 8-line block ×5, first 2 shown]
	v_xor_b32_e32 v78, vcc_hi, v4
	v_xor_b32_e32 v4, vcc_lo, v4
	v_and_b32_e32 v75, v75, v78
	v_and_b32_e32 v78, v14, v4
	v_lshlrev_b32_e32 v4, 24, v13
	v_cmp_gt_i64_e32 vcc, 0, v[3:4]
	v_not_b32_e32 v4, v4
	v_ashrrev_i32_e32 v4, 31, v4
	v_mul_u32_u24_e32 v77, 20, v13
	v_xor_b32_e32 v13, vcc_hi, v4
	v_xor_b32_e32 v4, vcc_lo, v4
	v_and_b32_e32 v14, v75, v13
	v_and_b32_e32 v13, v78, v4
	v_mbcnt_lo_u32_b32 v4, v13, 0
	v_mbcnt_hi_u32_b32 v75, v14, v4
	v_cmp_ne_u64_e32 vcc, 0, v[13:14]
	v_cmp_eq_u32_e64 s[38:39], 0, v75
	s_and_b64 s[40:41], vcc, s[38:39]
	v_add_u32_e32 v78, v71, v77
	ds_write2_b32 v53, v3, v3 offset1:1
	ds_write2_b32 v54, v3, v3 offset1:1
	ds_write_b32 v50, v3 offset:1056
	s_waitcnt lgkmcnt(0)
	s_barrier
	; wave barrier
	s_and_saveexec_b64 s[38:39], s[40:41]
; %bb.159:                              ;   in Loop: Header=BB295_148 Depth=2
	v_bcnt_u32_b32 v4, v13, 0
	v_bcnt_u32_b32 v4, v14, v4
	ds_write_b32 v78, v4 offset:1040
; %bb.160:                              ;   in Loop: Header=BB295_148 Depth=2
	s_or_b64 exec, exec, s[38:39]
	v_xor_b32_e32 v76, 0x7f, v76
	v_lshrrev_b32_sdwa v4, s7, v76 dst_sel:DWORD dst_unused:UNUSED_PAD src0_sel:DWORD src1_sel:BYTE_0
	v_and_b32_e32 v13, s58, v4
	v_mad_u32_u24 v4, v13, 20, v71
	; wave barrier
	ds_read_b32 v77, v4 offset:1040
	v_and_b32_e32 v4, 1, v13
	v_add_co_u32_e32 v14, vcc, -1, v4
	v_addc_co_u32_e64 v79, s[38:39], 0, -1, vcc
	v_cmp_ne_u32_e32 vcc, 0, v4
	v_xor_b32_e32 v4, vcc_hi, v79
	v_and_b32_e32 v79, exec_hi, v4
	v_lshlrev_b32_e32 v4, 30, v13
	v_xor_b32_e32 v14, vcc_lo, v14
	v_cmp_gt_i64_e32 vcc, 0, v[3:4]
	v_not_b32_e32 v4, v4
	v_ashrrev_i32_e32 v4, 31, v4
	v_and_b32_e32 v14, exec_lo, v14
	v_xor_b32_e32 v81, vcc_hi, v4
	v_xor_b32_e32 v4, vcc_lo, v4
	v_and_b32_e32 v14, v14, v4
	v_lshlrev_b32_e32 v4, 29, v13
	v_cmp_gt_i64_e32 vcc, 0, v[3:4]
	v_not_b32_e32 v4, v4
	v_ashrrev_i32_e32 v4, 31, v4
	v_and_b32_e32 v79, v79, v81
	v_xor_b32_e32 v81, vcc_hi, v4
	v_xor_b32_e32 v4, vcc_lo, v4
	v_and_b32_e32 v14, v14, v4
	v_lshlrev_b32_e32 v4, 28, v13
	v_cmp_gt_i64_e32 vcc, 0, v[3:4]
	v_not_b32_e32 v4, v4
	v_ashrrev_i32_e32 v4, 31, v4
	v_and_b32_e32 v79, v79, v81
	;; [unrolled: 8-line block ×5, first 2 shown]
	v_xor_b32_e32 v81, vcc_hi, v4
	v_xor_b32_e32 v4, vcc_lo, v4
	v_and_b32_e32 v79, v79, v81
	v_and_b32_e32 v81, v14, v4
	v_lshlrev_b32_e32 v4, 24, v13
	v_cmp_gt_i64_e32 vcc, 0, v[3:4]
	v_not_b32_e32 v4, v4
	v_ashrrev_i32_e32 v4, 31, v4
	v_mul_u32_u24_e32 v80, 20, v13
	v_xor_b32_e32 v13, vcc_hi, v4
	v_xor_b32_e32 v4, vcc_lo, v4
	v_and_b32_e32 v14, v79, v13
	v_and_b32_e32 v13, v81, v4
	v_mbcnt_lo_u32_b32 v4, v13, 0
	v_mbcnt_hi_u32_b32 v79, v14, v4
	v_cmp_ne_u64_e32 vcc, 0, v[13:14]
	v_cmp_eq_u32_e64 s[38:39], 0, v79
	s_and_b64 s[40:41], vcc, s[38:39]
	v_add_u32_e32 v82, v71, v80
	; wave barrier
	s_and_saveexec_b64 s[38:39], s[40:41]
	s_cbranch_execz .LBB295_162
; %bb.161:                              ;   in Loop: Header=BB295_148 Depth=2
	v_bcnt_u32_b32 v4, v13, 0
	v_bcnt_u32_b32 v4, v14, v4
	s_waitcnt lgkmcnt(0)
	v_add_u32_e32 v4, v77, v4
	ds_write_b32 v82, v4 offset:1040
.LBB295_162:                            ;   in Loop: Header=BB295_148 Depth=2
	s_or_b64 exec, exec, s[38:39]
	v_xor_b32_e32 v80, 0x7f, v16
	v_lshrrev_b32_sdwa v4, s7, v80 dst_sel:DWORD dst_unused:UNUSED_PAD src0_sel:DWORD src1_sel:BYTE_0
	v_and_b32_e32 v13, s58, v4
	v_mad_u32_u24 v4, v13, 20, v71
	; wave barrier
	ds_read_b32 v81, v4 offset:1040
	v_and_b32_e32 v4, 1, v13
	v_add_co_u32_e32 v14, vcc, -1, v4
	v_addc_co_u32_e64 v83, s[38:39], 0, -1, vcc
	v_cmp_ne_u32_e32 vcc, 0, v4
	v_xor_b32_e32 v4, vcc_hi, v83
	v_and_b32_e32 v83, exec_hi, v4
	v_lshlrev_b32_e32 v4, 30, v13
	v_xor_b32_e32 v14, vcc_lo, v14
	v_cmp_gt_i64_e32 vcc, 0, v[3:4]
	v_not_b32_e32 v4, v4
	v_ashrrev_i32_e32 v4, 31, v4
	v_and_b32_e32 v14, exec_lo, v14
	v_xor_b32_e32 v84, vcc_hi, v4
	v_xor_b32_e32 v4, vcc_lo, v4
	v_and_b32_e32 v14, v14, v4
	v_lshlrev_b32_e32 v4, 29, v13
	v_cmp_gt_i64_e32 vcc, 0, v[3:4]
	v_not_b32_e32 v4, v4
	v_ashrrev_i32_e32 v4, 31, v4
	v_and_b32_e32 v83, v83, v84
	v_xor_b32_e32 v84, vcc_hi, v4
	v_xor_b32_e32 v4, vcc_lo, v4
	v_and_b32_e32 v14, v14, v4
	v_lshlrev_b32_e32 v4, 28, v13
	v_cmp_gt_i64_e32 vcc, 0, v[3:4]
	v_not_b32_e32 v4, v4
	v_ashrrev_i32_e32 v4, 31, v4
	v_and_b32_e32 v83, v83, v84
	;; [unrolled: 8-line block ×5, first 2 shown]
	v_xor_b32_e32 v84, vcc_hi, v4
	v_xor_b32_e32 v4, vcc_lo, v4
	v_and_b32_e32 v83, v83, v84
	v_and_b32_e32 v84, v14, v4
	v_lshlrev_b32_e32 v4, 24, v13
	v_cmp_gt_i64_e32 vcc, 0, v[3:4]
	v_not_b32_e32 v4, v4
	v_ashrrev_i32_e32 v4, 31, v4
	v_mul_u32_u24_e32 v16, 20, v13
	v_xor_b32_e32 v13, vcc_hi, v4
	v_xor_b32_e32 v4, vcc_lo, v4
	v_and_b32_e32 v14, v83, v13
	v_and_b32_e32 v13, v84, v4
	v_mbcnt_lo_u32_b32 v4, v13, 0
	v_mbcnt_hi_u32_b32 v83, v14, v4
	v_cmp_ne_u64_e32 vcc, 0, v[13:14]
	v_cmp_eq_u32_e64 s[38:39], 0, v83
	s_and_b64 s[40:41], vcc, s[38:39]
	v_add_u32_e32 v86, v71, v16
	; wave barrier
	s_and_saveexec_b64 s[38:39], s[40:41]
	s_cbranch_execz .LBB295_164
; %bb.163:                              ;   in Loop: Header=BB295_148 Depth=2
	v_bcnt_u32_b32 v4, v13, 0
	v_bcnt_u32_b32 v4, v14, v4
	s_waitcnt lgkmcnt(0)
	v_add_u32_e32 v4, v81, v4
	ds_write_b32 v86, v4 offset:1040
.LBB295_164:                            ;   in Loop: Header=BB295_148 Depth=2
	s_or_b64 exec, exec, s[38:39]
	v_xor_b32_e32 v84, 0x7f, v15
	v_lshrrev_b32_sdwa v4, s7, v84 dst_sel:DWORD dst_unused:UNUSED_PAD src0_sel:DWORD src1_sel:BYTE_0
	v_and_b32_e32 v13, s58, v4
	v_mad_u32_u24 v4, v13, 20, v71
	; wave barrier
	ds_read_b32 v85, v4 offset:1040
	v_and_b32_e32 v4, 1, v13
	v_add_co_u32_e32 v14, vcc, -1, v4
	v_addc_co_u32_e64 v16, s[38:39], 0, -1, vcc
	v_cmp_ne_u32_e32 vcc, 0, v4
	v_xor_b32_e32 v4, vcc_hi, v16
	v_and_b32_e32 v16, exec_hi, v4
	v_lshlrev_b32_e32 v4, 30, v13
	v_xor_b32_e32 v14, vcc_lo, v14
	v_cmp_gt_i64_e32 vcc, 0, v[3:4]
	v_not_b32_e32 v4, v4
	v_ashrrev_i32_e32 v4, 31, v4
	v_and_b32_e32 v14, exec_lo, v14
	v_xor_b32_e32 v87, vcc_hi, v4
	v_xor_b32_e32 v4, vcc_lo, v4
	v_and_b32_e32 v14, v14, v4
	v_lshlrev_b32_e32 v4, 29, v13
	v_cmp_gt_i64_e32 vcc, 0, v[3:4]
	v_not_b32_e32 v4, v4
	v_ashrrev_i32_e32 v4, 31, v4
	v_and_b32_e32 v16, v16, v87
	v_xor_b32_e32 v87, vcc_hi, v4
	v_xor_b32_e32 v4, vcc_lo, v4
	v_and_b32_e32 v14, v14, v4
	v_lshlrev_b32_e32 v4, 28, v13
	v_cmp_gt_i64_e32 vcc, 0, v[3:4]
	v_not_b32_e32 v4, v4
	v_ashrrev_i32_e32 v4, 31, v4
	v_and_b32_e32 v16, v16, v87
	;; [unrolled: 8-line block ×5, first 2 shown]
	v_xor_b32_e32 v87, vcc_hi, v4
	v_xor_b32_e32 v4, vcc_lo, v4
	v_and_b32_e32 v16, v16, v87
	v_and_b32_e32 v87, v14, v4
	v_lshlrev_b32_e32 v4, 24, v13
	v_cmp_gt_i64_e32 vcc, 0, v[3:4]
	v_not_b32_e32 v4, v4
	v_ashrrev_i32_e32 v4, 31, v4
	v_mul_u32_u24_e32 v15, 20, v13
	v_xor_b32_e32 v13, vcc_hi, v4
	v_xor_b32_e32 v4, vcc_lo, v4
	v_and_b32_e32 v14, v16, v13
	v_and_b32_e32 v13, v87, v4
	v_mbcnt_lo_u32_b32 v4, v13, 0
	v_mbcnt_hi_u32_b32 v4, v14, v4
	v_cmp_ne_u64_e32 vcc, 0, v[13:14]
	v_cmp_eq_u32_e64 s[38:39], 0, v4
	s_and_b64 s[40:41], vcc, s[38:39]
	v_add_u32_e32 v87, v71, v15
	; wave barrier
	s_and_saveexec_b64 s[38:39], s[40:41]
	s_cbranch_execz .LBB295_166
; %bb.165:                              ;   in Loop: Header=BB295_148 Depth=2
	v_bcnt_u32_b32 v13, v13, 0
	v_bcnt_u32_b32 v13, v14, v13
	s_waitcnt lgkmcnt(0)
	v_add_u32_e32 v13, v85, v13
	ds_write_b32 v87, v13 offset:1040
.LBB295_166:                            ;   in Loop: Header=BB295_148 Depth=2
	s_or_b64 exec, exec, s[38:39]
	; wave barrier
	s_waitcnt lgkmcnt(0)
	s_barrier
	ds_read2_b32 v[15:16], v53 offset1:1
	ds_read2_b32 v[13:14], v54 offset1:1
	ds_read_b32 v88, v50 offset:1056
	s_waitcnt lgkmcnt(1)
	v_add3_u32 v89, v16, v15, v13
	s_waitcnt lgkmcnt(0)
	v_add3_u32 v88, v89, v14, v88
	s_nop 1
	v_mov_b32_dpp v89, v88 row_shr:1 row_mask:0xf bank_mask:0xf
	v_cndmask_b32_e64 v89, v89, 0, s[18:19]
	v_add_u32_e32 v88, v89, v88
	s_nop 1
	v_mov_b32_dpp v89, v88 row_shr:2 row_mask:0xf bank_mask:0xf
	v_cndmask_b32_e64 v89, 0, v89, s[20:21]
	v_add_u32_e32 v88, v88, v89
	;; [unrolled: 4-line block ×4, first 2 shown]
	s_nop 1
	v_mov_b32_dpp v89, v88 row_bcast:15 row_mask:0xf bank_mask:0xf
	v_cndmask_b32_e64 v89, v89, 0, s[26:27]
	v_add_u32_e32 v88, v88, v89
	s_nop 1
	v_mov_b32_dpp v89, v88 row_bcast:31 row_mask:0xf bank_mask:0xf
	v_cndmask_b32_e64 v89, 0, v89, s[28:29]
	v_add_u32_e32 v88, v88, v89
	s_and_saveexec_b64 s[38:39], s[8:9]
; %bb.167:                              ;   in Loop: Header=BB295_148 Depth=2
	ds_write_b32 v26, v88 offset:1024
; %bb.168:                              ;   in Loop: Header=BB295_148 Depth=2
	s_or_b64 exec, exec, s[38:39]
	s_waitcnt lgkmcnt(0)
	s_barrier
	s_and_saveexec_b64 s[38:39], s[10:11]
	s_cbranch_execz .LBB295_170
; %bb.169:                              ;   in Loop: Header=BB295_148 Depth=2
	v_add_u32_e32 v89, v50, v28
	ds_read_b32 v90, v89 offset:1024
	s_waitcnt lgkmcnt(0)
	s_nop 0
	v_mov_b32_dpp v91, v90 row_shr:1 row_mask:0xf bank_mask:0xf
	v_cndmask_b32_e64 v91, v91, 0, s[34:35]
	v_add_u32_e32 v90, v91, v90
	s_nop 1
	v_mov_b32_dpp v91, v90 row_shr:2 row_mask:0xf bank_mask:0xf
	v_cndmask_b32_e64 v91, 0, v91, s[36:37]
	v_add_u32_e32 v90, v90, v91
	ds_write_b32 v89, v90 offset:1024
.LBB295_170:                            ;   in Loop: Header=BB295_148 Depth=2
	s_or_b64 exec, exec, s[38:39]
	v_mov_b32_e32 v89, 0
	s_waitcnt lgkmcnt(0)
	s_barrier
	s_and_saveexec_b64 s[38:39], s[12:13]
; %bb.171:                              ;   in Loop: Header=BB295_148 Depth=2
	ds_read_b32 v89, v26 offset:1020
; %bb.172:                              ;   in Loop: Header=BB295_148 Depth=2
	s_or_b64 exec, exec, s[38:39]
	s_waitcnt lgkmcnt(0)
	v_add_u32_e32 v88, v89, v88
	ds_bpermute_b32 v88, v64, v88
	s_waitcnt lgkmcnt(0)
	v_cndmask_b32_e64 v88, v88, v89, s[30:31]
	v_cndmask_b32_e64 v88, v88, 0, s[14:15]
	v_add_u32_e32 v15, v88, v15
	v_add_u32_e32 v16, v15, v16
	;; [unrolled: 1-line block ×4, first 2 shown]
	ds_write2_b32 v53, v88, v15 offset1:1
	ds_write2_b32 v54, v16, v13 offset1:1
	ds_write_b32 v50, v14 offset:1056
	s_waitcnt lgkmcnt(0)
	s_barrier
	ds_read_b32 v13, v78 offset:1040
	ds_read_b32 v14, v82 offset:1040
	;; [unrolled: 1-line block ×5, first 2 shown]
	v_mov_b32_e32 v78, 0x400
	s_and_saveexec_b64 s[38:39], s[16:17]
; %bb.173:                              ;   in Loop: Header=BB295_148 Depth=2
	ds_read_b32 v78, v50 offset:1060
; %bb.174:                              ;   in Loop: Header=BB295_148 Depth=2
	s_or_b64 exec, exec, s[38:39]
	s_waitcnt lgkmcnt(0)
	s_barrier
	s_and_saveexec_b64 s[38:39], s[4:5]
	s_cbranch_execz .LBB295_176
; %bb.175:                              ;   in Loop: Header=BB295_148 Depth=2
	ds_read_b32 v86, v18
	s_waitcnt lgkmcnt(0)
	v_sub_u32_e32 v15, v86, v15
	ds_write_b32 v18, v15
.LBB295_176:                            ;   in Loop: Header=BB295_148 Depth=2
	s_or_b64 exec, exec, s[38:39]
	v_add_u32_e32 v15, v13, v75
	v_add3_u32 v14, v79, v77, v14
	v_add3_u32 v13, v83, v81, v16
	;; [unrolled: 1-line block ×3, first 2 shown]
	v_cmp_lt_u32_e64 s[42:43], v0, v74
	ds_write_b8 v15, v17 offset:1024
	ds_write_b8 v14, v76 offset:1024
	;; [unrolled: 1-line block ×4, first 2 shown]
	s_waitcnt lgkmcnt(0)
	s_barrier
	s_and_saveexec_b64 s[38:39], s[42:43]
	s_cbranch_execnz .LBB295_197
; %bb.177:                              ;   in Loop: Header=BB295_148 Depth=2
	s_or_b64 exec, exec, s[38:39]
	v_cmp_lt_u32_e64 s[40:41], v19, v74
	s_and_saveexec_b64 s[38:39], s[40:41]
	s_cbranch_execnz .LBB295_198
.LBB295_178:                            ;   in Loop: Header=BB295_148 Depth=2
	s_or_b64 exec, exec, s[38:39]
	v_cmp_lt_u32_e64 s[38:39], v20, v74
	s_and_saveexec_b64 s[44:45], s[38:39]
	s_cbranch_execnz .LBB295_199
.LBB295_179:                            ;   in Loop: Header=BB295_148 Depth=2
	s_or_b64 exec, exec, s[44:45]
	v_cmp_lt_u32_e32 vcc, v21, v74
	s_and_saveexec_b64 s[44:45], vcc
	s_cbranch_execz .LBB295_181
.LBB295_180:                            ;   in Loop: Header=BB295_148 Depth=2
	ds_read_u8 v16, v0 offset:1792
	s_waitcnt lgkmcnt(0)
	v_lshrrev_b32_sdwa v17, s7, v16 dst_sel:DWORD dst_unused:UNUSED_PAD src0_sel:DWORD src1_sel:BYTE_0
	v_and_b32_e32 v17, s58, v17
	v_lshlrev_b32_e32 v17, 2, v17
	ds_read_b32 v17, v17
	v_xor_b32_e32 v16, 0x7f, v16
	s_waitcnt lgkmcnt(0)
	v_add_u32_e32 v17, v17, v21
	global_store_byte v17, v16, s[52:53]
.LBB295_181:                            ;   in Loop: Header=BB295_148 Depth=2
	s_or_b64 exec, exec, s[44:45]
	s_lshl_b64 s[44:45], s[56:57], 3
	v_mov_b32_e32 v17, s45
	v_add_co_u32_e64 v16, s[44:45], s44, v65
	v_addc_co_u32_e64 v17, s[44:45], v66, v17, s[44:45]
	v_cmp_lt_u32_e64 s[44:45], v47, v74
	s_and_saveexec_b64 s[54:55], s[44:45]
	s_xor_b64 s[44:45], exec, s[54:55]
	s_cbranch_execnz .LBB295_200
; %bb.182:                              ;   in Loop: Header=BB295_148 Depth=2
	s_or_b64 exec, exec, s[44:45]
	v_cmp_lt_u32_e64 s[44:45], v61, v74
	s_and_saveexec_b64 s[54:55], s[44:45]
	s_cbranch_execnz .LBB295_201
.LBB295_183:                            ;   in Loop: Header=BB295_148 Depth=2
	s_or_b64 exec, exec, s[54:55]
	v_cmp_lt_u32_e64 s[44:45], v62, v74
	s_and_saveexec_b64 s[54:55], s[44:45]
	s_cbranch_execnz .LBB295_202
.LBB295_184:                            ;   in Loop: Header=BB295_148 Depth=2
	s_or_b64 exec, exec, s[54:55]
	v_cmp_lt_u32_e64 s[44:45], v63, v74
	s_and_saveexec_b64 s[54:55], s[44:45]
	s_cbranch_execnz .LBB295_203
.LBB295_185:                            ;   in Loop: Header=BB295_148 Depth=2
	s_or_b64 exec, exec, s[54:55]
	s_and_saveexec_b64 s[44:45], s[42:43]
	s_cbranch_execnz .LBB295_204
.LBB295_186:                            ;   in Loop: Header=BB295_148 Depth=2
	s_or_b64 exec, exec, s[44:45]
	s_and_saveexec_b64 s[44:45], s[40:41]
	s_cbranch_execnz .LBB295_205
.LBB295_187:                            ;   in Loop: Header=BB295_148 Depth=2
	s_or_b64 exec, exec, s[44:45]
	s_and_saveexec_b64 s[44:45], s[38:39]
	s_cbranch_execnz .LBB295_206
.LBB295_188:                            ;   in Loop: Header=BB295_148 Depth=2
	s_or_b64 exec, exec, s[44:45]
	s_and_saveexec_b64 s[44:45], vcc
	s_cbranch_execz .LBB295_190
.LBB295_189:                            ;   in Loop: Header=BB295_148 Depth=2
	ds_read_u8 v16, v0 offset:1792
	s_waitcnt lgkmcnt(0)
	v_lshrrev_b32_e32 v16, s7, v16
	v_and_b32_e32 v69, s58, v16
.LBB295_190:                            ;   in Loop: Header=BB295_148 Depth=2
	s_or_b64 exec, exec, s[44:45]
	v_mad_u64_u32 v[15:16], s[44:45], v15, 7, v[15:16]
	s_waitcnt vmcnt(0)
	v_mad_u64_u32 v[74:75], s[44:45], v4, 7, v[4:5]
	v_mad_u64_u32 v[16:17], s[44:45], v14, 7, v[14:15]
	;; [unrolled: 1-line block ×3, first 2 shown]
	s_barrier
	ds_write_b64 v15, v[11:12] offset:1024
	ds_write_b64 v16, v[9:10] offset:1024
	ds_write_b64 v13, v[7:8] offset:1024
	ds_write_b64 v74, v[5:6] offset:1024
	s_waitcnt lgkmcnt(0)
	s_barrier
	s_and_saveexec_b64 s[44:45], s[42:43]
	s_cbranch_execnz .LBB295_207
; %bb.191:                              ;   in Loop: Header=BB295_148 Depth=2
	s_or_b64 exec, exec, s[44:45]
	s_and_saveexec_b64 s[42:43], s[40:41]
	s_cbranch_execnz .LBB295_208
.LBB295_192:                            ;   in Loop: Header=BB295_148 Depth=2
	s_or_b64 exec, exec, s[42:43]
	s_and_saveexec_b64 s[40:41], s[38:39]
	s_cbranch_execnz .LBB295_209
.LBB295_193:                            ;   in Loop: Header=BB295_148 Depth=2
	s_or_b64 exec, exec, s[40:41]
	s_and_saveexec_b64 s[38:39], vcc
	s_cbranch_execz .LBB295_195
.LBB295_194:                            ;   in Loop: Header=BB295_148 Depth=2
	v_lshlrev_b32_e32 v4, 2, v69
	ds_read_b32 v4, v4
	v_add_u32_e32 v13, v0, v51
	ds_read_b64 v[13:14], v13 offset:7168
	v_mov_b32_e32 v16, v3
	v_mov_b32_e32 v17, s67
	s_waitcnt lgkmcnt(1)
	v_add_u32_e32 v15, v4, v21
	v_lshlrev_b64 v[15:16], 3, v[15:16]
	v_add_co_u32_e32 v15, vcc, s66, v15
	v_addc_co_u32_e32 v16, vcc, v17, v16, vcc
	s_waitcnt lgkmcnt(0)
	global_store_dwordx2 v[15:16], v[13:14], off
.LBB295_195:                            ;   in Loop: Header=BB295_148 Depth=2
	s_or_b64 exec, exec, s[38:39]
	s_waitcnt vmcnt(0)
	s_barrier
	s_and_saveexec_b64 s[38:39], s[4:5]
	s_cbranch_execz .LBB295_147
; %bb.196:                              ;   in Loop: Header=BB295_148 Depth=2
	ds_read_b32 v4, v18
	s_waitcnt lgkmcnt(0)
	v_add_u32_e32 v4, v4, v78
	ds_write_b32 v18, v4
	s_branch .LBB295_147
.LBB295_197:                            ;   in Loop: Header=BB295_148 Depth=2
	ds_read_u8 v16, v0 offset:1024
	s_waitcnt lgkmcnt(0)
	v_lshrrev_b32_sdwa v17, s7, v16 dst_sel:DWORD dst_unused:UNUSED_PAD src0_sel:DWORD src1_sel:BYTE_0
	v_and_b32_e32 v17, s58, v17
	v_lshlrev_b32_e32 v17, 2, v17
	ds_read_b32 v17, v17
	v_xor_b32_e32 v16, 0x7f, v16
	s_waitcnt lgkmcnt(0)
	v_add_u32_e32 v17, v17, v0
	global_store_byte v17, v16, s[52:53]
	s_or_b64 exec, exec, s[38:39]
	v_cmp_lt_u32_e64 s[40:41], v19, v74
	s_and_saveexec_b64 s[38:39], s[40:41]
	s_cbranch_execz .LBB295_178
.LBB295_198:                            ;   in Loop: Header=BB295_148 Depth=2
	ds_read_u8 v16, v0 offset:1280
	s_waitcnt lgkmcnt(0)
	v_lshrrev_b32_sdwa v17, s7, v16 dst_sel:DWORD dst_unused:UNUSED_PAD src0_sel:DWORD src1_sel:BYTE_0
	v_and_b32_e32 v17, s58, v17
	v_lshlrev_b32_e32 v17, 2, v17
	ds_read_b32 v17, v17
	v_xor_b32_e32 v16, 0x7f, v16
	s_waitcnt lgkmcnt(0)
	v_add_u32_e32 v17, v17, v19
	global_store_byte v17, v16, s[52:53]
	s_or_b64 exec, exec, s[38:39]
	v_cmp_lt_u32_e64 s[38:39], v20, v74
	s_and_saveexec_b64 s[44:45], s[38:39]
	s_cbranch_execz .LBB295_179
.LBB295_199:                            ;   in Loop: Header=BB295_148 Depth=2
	ds_read_u8 v16, v0 offset:1536
	s_waitcnt lgkmcnt(0)
	v_lshrrev_b32_sdwa v17, s7, v16 dst_sel:DWORD dst_unused:UNUSED_PAD src0_sel:DWORD src1_sel:BYTE_0
	v_and_b32_e32 v17, s58, v17
	v_lshlrev_b32_e32 v17, 2, v17
	ds_read_b32 v17, v17
	v_xor_b32_e32 v16, 0x7f, v16
	s_waitcnt lgkmcnt(0)
	v_add_u32_e32 v17, v17, v20
	global_store_byte v17, v16, s[52:53]
	s_or_b64 exec, exec, s[44:45]
	v_cmp_lt_u32_e32 vcc, v21, v74
	s_and_saveexec_b64 s[44:45], vcc
	s_cbranch_execnz .LBB295_180
	s_branch .LBB295_181
.LBB295_200:                            ;   in Loop: Header=BB295_148 Depth=2
	global_load_dwordx2 v[11:12], v[16:17], off
	s_or_b64 exec, exec, s[44:45]
	v_cmp_lt_u32_e64 s[44:45], v61, v74
	s_and_saveexec_b64 s[54:55], s[44:45]
	s_cbranch_execz .LBB295_183
.LBB295_201:                            ;   in Loop: Header=BB295_148 Depth=2
	global_load_dwordx2 v[9:10], v[16:17], off offset:512
	s_or_b64 exec, exec, s[54:55]
	v_cmp_lt_u32_e64 s[44:45], v62, v74
	s_and_saveexec_b64 s[54:55], s[44:45]
	s_cbranch_execz .LBB295_184
.LBB295_202:                            ;   in Loop: Header=BB295_148 Depth=2
	global_load_dwordx2 v[7:8], v[16:17], off offset:1024
	s_or_b64 exec, exec, s[54:55]
	v_cmp_lt_u32_e64 s[44:45], v63, v74
	s_and_saveexec_b64 s[54:55], s[44:45]
	s_cbranch_execz .LBB295_185
.LBB295_203:                            ;   in Loop: Header=BB295_148 Depth=2
	global_load_dwordx2 v[5:6], v[16:17], off offset:1536
	s_or_b64 exec, exec, s[54:55]
	s_and_saveexec_b64 s[44:45], s[42:43]
	s_cbranch_execz .LBB295_186
.LBB295_204:                            ;   in Loop: Header=BB295_148 Depth=2
	ds_read_u8 v16, v0 offset:1024
	s_waitcnt lgkmcnt(0)
	v_lshrrev_b32_e32 v16, s7, v16
	v_and_b32_e32 v73, s58, v16
	s_or_b64 exec, exec, s[44:45]
	s_and_saveexec_b64 s[44:45], s[40:41]
	s_cbranch_execz .LBB295_187
.LBB295_205:                            ;   in Loop: Header=BB295_148 Depth=2
	ds_read_u8 v16, v0 offset:1280
	s_waitcnt lgkmcnt(0)
	v_lshrrev_b32_e32 v16, s7, v16
	v_and_b32_e32 v72, s58, v16
	s_or_b64 exec, exec, s[44:45]
	s_and_saveexec_b64 s[44:45], s[38:39]
	s_cbranch_execz .LBB295_188
.LBB295_206:                            ;   in Loop: Header=BB295_148 Depth=2
	ds_read_u8 v16, v0 offset:1536
	s_waitcnt lgkmcnt(0)
	v_lshrrev_b32_e32 v16, s7, v16
	v_and_b32_e32 v70, s58, v16
	s_or_b64 exec, exec, s[44:45]
	s_and_saveexec_b64 s[44:45], vcc
	s_cbranch_execnz .LBB295_189
	s_branch .LBB295_190
.LBB295_207:                            ;   in Loop: Header=BB295_148 Depth=2
	v_lshlrev_b32_e32 v4, 2, v73
	ds_read_b32 v4, v4
	v_add_u32_e32 v13, v0, v51
	ds_read_b64 v[13:14], v13 offset:1024
	v_mov_b32_e32 v16, v3
	v_mov_b32_e32 v17, s67
	s_waitcnt lgkmcnt(1)
	v_add_u32_e32 v15, v4, v0
	v_lshlrev_b64 v[15:16], 3, v[15:16]
	v_add_co_u32_e64 v15, s[42:43], s66, v15
	v_addc_co_u32_e64 v16, s[42:43], v17, v16, s[42:43]
	s_waitcnt lgkmcnt(0)
	global_store_dwordx2 v[15:16], v[13:14], off
	s_or_b64 exec, exec, s[44:45]
	s_and_saveexec_b64 s[42:43], s[40:41]
	s_cbranch_execz .LBB295_192
.LBB295_208:                            ;   in Loop: Header=BB295_148 Depth=2
	v_lshlrev_b32_e32 v4, 2, v72
	ds_read_b32 v4, v4
	v_add_u32_e32 v13, v0, v51
	ds_read_b64 v[13:14], v13 offset:3072
	v_mov_b32_e32 v16, v3
	v_mov_b32_e32 v17, s67
	s_waitcnt lgkmcnt(1)
	v_add_u32_e32 v15, v4, v19
	v_lshlrev_b64 v[15:16], 3, v[15:16]
	v_add_co_u32_e64 v15, s[40:41], s66, v15
	v_addc_co_u32_e64 v16, s[40:41], v17, v16, s[40:41]
	s_waitcnt lgkmcnt(0)
	global_store_dwordx2 v[15:16], v[13:14], off
	s_or_b64 exec, exec, s[42:43]
	s_and_saveexec_b64 s[40:41], s[38:39]
	s_cbranch_execz .LBB295_193
.LBB295_209:                            ;   in Loop: Header=BB295_148 Depth=2
	v_lshlrev_b32_e32 v4, 2, v70
	ds_read_b32 v4, v4
	v_add_u32_e32 v13, v0, v51
	ds_read_b64 v[13:14], v13 offset:5120
	v_mov_b32_e32 v16, v3
	v_mov_b32_e32 v17, s67
	s_waitcnt lgkmcnt(1)
	v_add_u32_e32 v15, v4, v20
	v_lshlrev_b64 v[15:16], 3, v[15:16]
	v_add_co_u32_e64 v15, s[38:39], s66, v15
	v_addc_co_u32_e64 v16, s[38:39], v17, v16, s[38:39]
	s_waitcnt lgkmcnt(0)
	global_store_dwordx2 v[15:16], v[13:14], off
	s_or_b64 exec, exec, s[40:41]
	s_and_saveexec_b64 s[38:39], vcc
	s_cbranch_execnz .LBB295_194
	s_branch .LBB295_195
.LBB295_210:                            ;   in Loop: Header=BB295_148 Depth=2
	global_load_ubyte v4, v[13:14], off
	v_mov_b32_e32 v15, 0x80
	v_mov_b32_e32 v76, 0x80
	;; [unrolled: 1-line block ×3, first 2 shown]
	s_or_b64 exec, exec, s[38:39]
	v_cmp_gt_u32_e32 vcc, s59, v61
	s_and_saveexec_b64 s[38:39], vcc
	s_cbranch_execz .LBB295_153
.LBB295_211:                            ;   in Loop: Header=BB295_148 Depth=2
	global_load_ubyte v76, v[13:14], off offset:64
	s_or_b64 exec, exec, s[38:39]
	v_cmp_gt_u32_e32 vcc, s59, v62
	s_and_saveexec_b64 s[38:39], vcc
	s_cbranch_execnz .LBB295_154
	s_branch .LBB295_155
.LBB295_212:                            ;   in Loop: Header=BB295_12 Depth=1
	s_waitcnt lgkmcnt(0)
	s_barrier
.LBB295_213:                            ;   in Loop: Header=BB295_12 Depth=1
	s_mov_b64 s[18:19], 0
.LBB295_214:                            ;   in Loop: Header=BB295_12 Depth=1
	s_andn2_b64 vcc, exec, s[18:19]
	s_cbranch_vccnz .LBB295_11
; %bb.215:                              ;   in Loop: Header=BB295_12 Depth=1
	s_mov_b64 s[18:19], -1
	s_and_b64 vcc, exec, s[72:73]
	s_cbranch_vccz .LBB295_315
; %bb.216:                              ;   in Loop: Header=BB295_12 Depth=1
	v_mov_b32_e32 v4, 0
	s_mov_b32 s20, s71
	s_mov_b32 s22, s74
	v_mov_b32_e32 v7, 0
	v_mov_b32_e32 v6, 0
	;; [unrolled: 1-line block ×3, first 2 shown]
	s_barrier
	s_branch .LBB295_218
.LBB295_217:                            ;   in Loop: Header=BB295_218 Depth=2
	s_or_b64 exec, exec, s[18:19]
	s_addk_i32 s20, 0xfc00
	s_cmp_ge_u32 s21, s75
	s_mov_b32 s22, s21
	s_cbranch_scc1 .LBB295_238
.LBB295_218:                            ;   Parent Loop BB295_12 Depth=1
                                        ; =>  This Inner Loop Header: Depth=2
	s_add_i32 s21, s22, 0x400
	s_cmp_gt_u32 s21, s75
	s_mov_b64 s[18:19], -1
                                        ; implicit-def: $vgpr8
                                        ; implicit-def: $vgpr9
                                        ; implicit-def: $vgpr10
                                        ; implicit-def: $vgpr11
	s_cbranch_scc1 .LBB295_220
; %bb.219:                              ;   in Loop: Header=BB295_218 Depth=2
	v_add_co_u32_e32 v12, vcc, s22, v39
	v_addc_co_u32_e32 v13, vcc, 0, v40, vcc
	global_load_ubyte v11, v[12:13], off offset:768
	global_load_ubyte v10, v[12:13], off offset:512
	;; [unrolled: 1-line block ×3, first 2 shown]
	global_load_ubyte v8, v[12:13], off
	s_mov_b64 s[18:19], 0
.LBB295_220:                            ;   in Loop: Header=BB295_218 Depth=2
	s_andn2_b64 vcc, exec, s[18:19]
	s_movk_i32 s23, 0x400
	s_cbranch_vccnz .LBB295_227
; %bb.221:                              ;   in Loop: Header=BB295_218 Depth=2
	s_add_u32 s22, s48, s22
	s_addc_u32 s23, s49, 0
	v_cmp_gt_u32_e32 vcc, s20, v0
	s_and_saveexec_b64 s[18:19], vcc
	s_cbranch_execnz .LBB295_235
; %bb.222:                              ;   in Loop: Header=BB295_218 Depth=2
	s_or_b64 exec, exec, s[18:19]
	v_cmp_gt_u32_e32 vcc, s20, v19
	s_and_saveexec_b64 s[18:19], vcc
	s_cbranch_execnz .LBB295_236
.LBB295_223:                            ;   in Loop: Header=BB295_218 Depth=2
	s_or_b64 exec, exec, s[18:19]
	v_cmp_gt_u32_e32 vcc, s20, v20
	s_and_saveexec_b64 s[18:19], vcc
	s_cbranch_execnz .LBB295_237
.LBB295_224:                            ;   in Loop: Header=BB295_218 Depth=2
	s_or_b64 exec, exec, s[18:19]
	v_cmp_gt_u32_e32 vcc, s20, v21
	s_and_saveexec_b64 s[18:19], vcc
	s_cbranch_execz .LBB295_226
.LBB295_225:                            ;   in Loop: Header=BB295_218 Depth=2
	v_mov_b32_e32 v5, s23
	s_waitcnt vmcnt(0)
	v_add_co_u32_e32 v8, vcc, s22, v0
	v_addc_co_u32_e32 v9, vcc, 0, v5, vcc
	global_load_ubyte v5, v[8:9], off offset:768
.LBB295_226:                            ;   in Loop: Header=BB295_218 Depth=2
	s_or_b64 exec, exec, s[18:19]
	s_mov_b32 s23, s20
	s_waitcnt vmcnt(0)
	v_mov_b32_e32 v8, v4
	v_mov_b32_e32 v9, v7
	;; [unrolled: 1-line block ×4, first 2 shown]
.LBB295_227:                            ;   in Loop: Header=BB295_218 Depth=2
	s_waitcnt vmcnt(3)
	v_mov_b32_e32 v5, v11
	s_waitcnt vmcnt(2)
	v_mov_b32_e32 v6, v10
	;; [unrolled: 2-line block ×4, first 2 shown]
	v_cmp_gt_u32_e32 vcc, s23, v0
	s_and_saveexec_b64 s[18:19], vcc
	s_cbranch_execnz .LBB295_231
; %bb.228:                              ;   in Loop: Header=BB295_218 Depth=2
	s_or_b64 exec, exec, s[18:19]
	v_cmp_gt_u32_e32 vcc, s23, v19
	s_and_saveexec_b64 s[18:19], vcc
	s_cbranch_execnz .LBB295_232
.LBB295_229:                            ;   in Loop: Header=BB295_218 Depth=2
	s_or_b64 exec, exec, s[18:19]
	v_cmp_gt_u32_e32 vcc, s23, v20
	s_and_saveexec_b64 s[18:19], vcc
	s_cbranch_execnz .LBB295_233
.LBB295_230:                            ;   in Loop: Header=BB295_218 Depth=2
	s_or_b64 exec, exec, s[18:19]
	v_cmp_gt_u32_e32 vcc, s23, v21
	s_and_saveexec_b64 s[18:19], vcc
	s_cbranch_execz .LBB295_217
	s_branch .LBB295_234
.LBB295_231:                            ;   in Loop: Header=BB295_218 Depth=2
	v_xor_b32_e32 v8, 0x7f, v4
	v_lshrrev_b32_sdwa v8, s69, v8 dst_sel:DWORD dst_unused:UNUSED_PAD src0_sel:DWORD src1_sel:BYTE_0
	v_and_b32_e32 v8, s58, v8
	v_lshl_or_b32 v8, v8, 4, v24
	ds_add_u32 v8, v52
	s_or_b64 exec, exec, s[18:19]
	v_cmp_gt_u32_e32 vcc, s23, v19
	s_and_saveexec_b64 s[18:19], vcc
	s_cbranch_execz .LBB295_229
.LBB295_232:                            ;   in Loop: Header=BB295_218 Depth=2
	v_xor_b32_e32 v8, 0x7f, v7
	v_lshrrev_b32_sdwa v8, s69, v8 dst_sel:DWORD dst_unused:UNUSED_PAD src0_sel:DWORD src1_sel:BYTE_0
	v_and_b32_e32 v8, s58, v8
	v_lshl_or_b32 v8, v8, 4, v24
	ds_add_u32 v8, v52
	s_or_b64 exec, exec, s[18:19]
	v_cmp_gt_u32_e32 vcc, s23, v20
	s_and_saveexec_b64 s[18:19], vcc
	s_cbranch_execz .LBB295_230
.LBB295_233:                            ;   in Loop: Header=BB295_218 Depth=2
	v_xor_b32_e32 v8, 0x7f, v6
	v_lshrrev_b32_sdwa v8, s69, v8 dst_sel:DWORD dst_unused:UNUSED_PAD src0_sel:DWORD src1_sel:BYTE_0
	v_and_b32_e32 v8, s58, v8
	v_lshl_or_b32 v8, v8, 4, v24
	ds_add_u32 v8, v52
	s_or_b64 exec, exec, s[18:19]
	v_cmp_gt_u32_e32 vcc, s23, v21
	s_and_saveexec_b64 s[18:19], vcc
	s_cbranch_execz .LBB295_217
.LBB295_234:                            ;   in Loop: Header=BB295_218 Depth=2
	v_xor_b32_e32 v8, 0x7f, v5
	v_lshrrev_b32_sdwa v8, s69, v8 dst_sel:DWORD dst_unused:UNUSED_PAD src0_sel:DWORD src1_sel:BYTE_0
	v_and_b32_e32 v8, s58, v8
	v_lshl_or_b32 v8, v8, 4, v24
	ds_add_u32 v8, v52
	s_branch .LBB295_217
.LBB295_235:                            ;   in Loop: Header=BB295_218 Depth=2
	v_mov_b32_e32 v4, s23
	s_waitcnt vmcnt(0)
	v_add_co_u32_e32 v8, vcc, s22, v0
	v_addc_co_u32_e32 v9, vcc, 0, v4, vcc
	global_load_ubyte v4, v[8:9], off
	s_or_b64 exec, exec, s[18:19]
	v_cmp_gt_u32_e32 vcc, s20, v19
	s_and_saveexec_b64 s[18:19], vcc
	s_cbranch_execz .LBB295_223
.LBB295_236:                            ;   in Loop: Header=BB295_218 Depth=2
	s_waitcnt vmcnt(0)
	v_mov_b32_e32 v8, s23
	v_add_co_u32_e32 v7, vcc, s22, v0
	v_addc_co_u32_e32 v8, vcc, 0, v8, vcc
	global_load_ubyte v7, v[7:8], off offset:256
	s_or_b64 exec, exec, s[18:19]
	v_cmp_gt_u32_e32 vcc, s20, v20
	s_and_saveexec_b64 s[18:19], vcc
	s_cbranch_execz .LBB295_224
.LBB295_237:                            ;   in Loop: Header=BB295_218 Depth=2
	v_mov_b32_e32 v6, s23
	s_waitcnt vmcnt(0)
	v_add_co_u32_e32 v8, vcc, s22, v0
	v_addc_co_u32_e32 v9, vcc, 0, v6, vcc
	global_load_ubyte v6, v[8:9], off offset:512
	s_or_b64 exec, exec, s[18:19]
	v_cmp_gt_u32_e32 vcc, s20, v21
	s_and_saveexec_b64 s[18:19], vcc
	s_cbranch_execnz .LBB295_225
	s_branch .LBB295_226
.LBB295_238:                            ;   in Loop: Header=BB295_12 Depth=1
	v_mov_b32_e32 v4, 0
	s_waitcnt lgkmcnt(0)
	s_barrier
	s_and_saveexec_b64 s[18:19], s[4:5]
	s_cbranch_execz .LBB295_240
; %bb.239:                              ;   in Loop: Header=BB295_12 Depth=1
	ds_read2_b64 v[4:7], v25 offset1:1
	s_waitcnt lgkmcnt(0)
	v_add_u32_e32 v4, v5, v4
	v_add3_u32 v4, v4, v6, v7
.LBB295_240:                            ;   in Loop: Header=BB295_12 Depth=1
	s_or_b64 exec, exec, s[18:19]
	s_nop 0
	v_mov_b32_dpp v5, v4 row_shr:1 row_mask:0xf bank_mask:0xf
	v_cmp_eq_u32_e64 s[18:19], 0, v55
	v_cndmask_b32_e64 v5, v5, 0, s[18:19]
	v_add_u32_e32 v4, v5, v4
	v_cmp_lt_u32_e64 s[20:21], 1, v55
	v_cmp_lt_u32_e64 s[22:23], 3, v55
	v_mov_b32_dpp v5, v4 row_shr:2 row_mask:0xf bank_mask:0xf
	v_cndmask_b32_e64 v5, 0, v5, s[20:21]
	v_add_u32_e32 v4, v4, v5
	v_cmp_lt_u32_e64 s[24:25], 7, v55
	v_cmp_lt_u32_e64 s[28:29], 31, v45
	v_mov_b32_dpp v5, v4 row_shr:4 row_mask:0xf bank_mask:0xf
	v_cndmask_b32_e64 v5, 0, v5, s[22:23]
	v_add_u32_e32 v4, v4, v5
	v_cmp_eq_u32_e64 s[26:27], 0, v57
	s_nop 0
	v_mov_b32_dpp v5, v4 row_shr:8 row_mask:0xf bank_mask:0xf
	v_cndmask_b32_e64 v5, 0, v5, s[24:25]
	v_add_u32_e32 v4, v4, v5
	s_nop 1
	v_mov_b32_dpp v5, v4 row_bcast:15 row_mask:0xf bank_mask:0xf
	v_and_b32_e32 v5, v56, v5
	v_add_u32_e32 v4, v4, v5
	s_nop 1
	v_mov_b32_dpp v5, v4 row_bcast:31 row_mask:0xf bank_mask:0xf
	v_cndmask_b32_e64 v5, 0, v5, s[28:29]
	v_add_u32_e32 v4, v4, v5
	s_and_saveexec_b64 s[30:31], s[8:9]
; %bb.241:                              ;   in Loop: Header=BB295_12 Depth=1
	ds_write_b32 v27, v4
; %bb.242:                              ;   in Loop: Header=BB295_12 Depth=1
	s_or_b64 exec, exec, s[30:31]
	s_waitcnt lgkmcnt(0)
	s_barrier
	s_and_saveexec_b64 s[30:31], s[10:11]
	s_cbranch_execz .LBB295_244
; %bb.243:                              ;   in Loop: Header=BB295_12 Depth=1
	ds_read_b32 v5, v48
	v_cmp_ne_u32_e32 vcc, 0, v58
	s_waitcnt lgkmcnt(0)
	v_mov_b32_dpp v6, v5 row_shr:1 row_mask:0xf bank_mask:0xf
	v_cndmask_b32_e32 v6, 0, v6, vcc
	v_add_u32_e32 v5, v6, v5
	v_cmp_lt_u32_e32 vcc, 1, v58
	s_nop 0
	v_mov_b32_dpp v6, v5 row_shr:2 row_mask:0xf bank_mask:0xf
	v_cndmask_b32_e32 v6, 0, v6, vcc
	v_add_u32_e32 v5, v5, v6
	ds_write_b32 v48, v5
.LBB295_244:                            ;   in Loop: Header=BB295_12 Depth=1
	s_or_b64 exec, exec, s[30:31]
	v_mov_b32_e32 v5, 0
	s_waitcnt lgkmcnt(0)
	s_barrier
	s_and_saveexec_b64 s[30:31], s[12:13]
; %bb.245:                              ;   in Loop: Header=BB295_12 Depth=1
	ds_read_b32 v5, v49
; %bb.246:                              ;   in Loop: Header=BB295_12 Depth=1
	s_or_b64 exec, exec, s[30:31]
	v_subrev_co_u32_e64 v6, s[30:31], 1, v45
	v_cmp_lt_i32_e32 vcc, v6, v59
	v_cndmask_b32_e32 v6, v6, v45, vcc
	s_waitcnt lgkmcnt(0)
	v_add_u32_e32 v4, v5, v4
	v_lshlrev_b32_e32 v64, 2, v6
	ds_bpermute_b32 v4, v64, v4
	s_waitcnt lgkmcnt(0)
	s_barrier
	s_and_saveexec_b64 s[34:35], s[4:5]
; %bb.247:                              ;   in Loop: Header=BB295_12 Depth=1
	v_cndmask_b32_e64 v4, v4, v5, s[30:31]
	v_add_u32_e32 v4, s74, v4
	ds_write_b32 v18, v4
; %bb.248:                              ;   in Loop: Header=BB295_12 Depth=1
	s_or_b64 exec, exec, s[34:35]
	s_load_dwordx2 s[34:35], s[46:47], 0x0
	v_add_co_u32_e32 v65, vcc, v41, v60
	v_addc_co_u32_e32 v66, vcc, 0, v42, vcc
	s_waitcnt lgkmcnt(0)
	s_cmp_lt_u32 s33, s35
	s_cselect_b32 s35, 14, 20
	s_add_u32 s36, s46, s35
	s_addc_u32 s37, s47, 0
	s_cmp_lt_u32 s6, s34
	s_cselect_b32 s34, 12, 18
	s_add_u32 s34, s46, s34
	global_load_ushort v4, v3, s[36:37]
	s_addc_u32 s35, s47, 0
	global_load_ushort v5, v3, s[34:35]
	v_add_co_u32_e32 v67, vcc, v43, v46
	v_cmp_eq_u32_e64 s[34:35], 0, v58
	v_cmp_lt_u32_e64 s[36:37], 1, v58
	v_addc_co_u32_e32 v68, vcc, 0, v44, vcc
	s_mov_b32 s59, s71
	s_mov_b32 s56, s74
                                        ; implicit-def: $vgpr7_vgpr8
                                        ; implicit-def: $vgpr9_vgpr10
                                        ; implicit-def: $vgpr11_vgpr12
                                        ; implicit-def: $vgpr69
                                        ; implicit-def: $vgpr70
                                        ; implicit-def: $vgpr72
                                        ; implicit-def: $vgpr73
	s_waitcnt vmcnt(1)
	v_mad_u32_u24 v4, v2, v4, v1
	s_waitcnt vmcnt(0)
	v_mad_u64_u32 v[4:5], s[38:39], v4, v5, v[0:1]
                                        ; implicit-def: $vgpr5_vgpr6
	v_lshrrev_b32_e32 v4, 4, v4
	v_and_b32_e32 v71, 0xffffffc, v4
	s_branch .LBB295_250
.LBB295_249:                            ;   in Loop: Header=BB295_250 Depth=2
	s_or_b64 exec, exec, s[38:39]
	s_addk_i32 s59, 0xfc00
	s_cmp_lt_u32 s60, s75
	s_mov_b32 s56, s60
	s_cbranch_scc0 .LBB295_314
.LBB295_250:                            ;   Parent Loop BB295_12 Depth=1
                                        ; =>  This Inner Loop Header: Depth=2
	s_add_i32 s60, s56, 0x400
	s_cmp_gt_u32 s60, s75
	s_cbranch_scc1 .LBB295_252
; %bb.251:                              ;   in Loop: Header=BB295_250 Depth=2
	v_add_co_u32_e32 v13, vcc, s56, v67
	v_addc_co_u32_e32 v14, vcc, 0, v68, vcc
	global_load_ubyte v16, v[13:14], off offset:128
	global_load_ubyte v76, v[13:14], off offset:64
	global_load_ubyte v4, v[13:14], off
	s_mov_b64 s[38:39], -1
	s_movk_i32 s42, 0x400
                                        ; implicit-def: $vgpr15
	s_cbranch_execz .LBB295_253
	s_branch .LBB295_258
.LBB295_252:                            ;   in Loop: Header=BB295_250 Depth=2
	s_mov_b64 s[38:39], 0
                                        ; implicit-def: $vgpr4
                                        ; implicit-def: $vgpr76
                                        ; implicit-def: $vgpr16
	s_movk_i32 s42, 0x400
                                        ; implicit-def: $vgpr15
.LBB295_253:                            ;   in Loop: Header=BB295_250 Depth=2
	v_add_co_u32_e32 v13, vcc, s56, v67
	v_addc_co_u32_e32 v14, vcc, 0, v68, vcc
	v_cmp_gt_u32_e32 vcc, s59, v47
	v_mov_b32_e32 v15, 0x80
	s_waitcnt vmcnt(0)
	v_mov_b32_e32 v4, 0x80
	v_mov_b32_e32 v76, 0x80
	;; [unrolled: 1-line block ×3, first 2 shown]
	s_and_saveexec_b64 s[38:39], vcc
	s_cbranch_execnz .LBB295_312
; %bb.254:                              ;   in Loop: Header=BB295_250 Depth=2
	s_or_b64 exec, exec, s[38:39]
	v_cmp_gt_u32_e32 vcc, s59, v61
	s_and_saveexec_b64 s[38:39], vcc
	s_cbranch_execnz .LBB295_313
.LBB295_255:                            ;   in Loop: Header=BB295_250 Depth=2
	s_or_b64 exec, exec, s[38:39]
	v_cmp_gt_u32_e32 vcc, s59, v62
	s_and_saveexec_b64 s[38:39], vcc
	s_cbranch_execz .LBB295_257
.LBB295_256:                            ;   in Loop: Header=BB295_250 Depth=2
	global_load_ubyte v16, v[13:14], off offset:128
.LBB295_257:                            ;   in Loop: Header=BB295_250 Depth=2
	s_or_b64 exec, exec, s[38:39]
	s_sub_i32 s42, s75, s56
	v_cmp_gt_u32_e64 s[38:39], s59, v63
.LBB295_258:                            ;   in Loop: Header=BB295_250 Depth=2
	v_mov_b32_e32 v74, s59
	s_and_saveexec_b64 s[40:41], s[38:39]
	s_cbranch_execz .LBB295_260
; %bb.259:                              ;   in Loop: Header=BB295_250 Depth=2
	v_mov_b32_e32 v14, s57
	v_add_co_u32_e32 v13, vcc, s56, v67
	v_addc_co_u32_e32 v14, vcc, v68, v14, vcc
	global_load_ubyte v15, v[13:14], off offset:192
	v_mov_b32_e32 v74, s42
.LBB295_260:                            ;   in Loop: Header=BB295_250 Depth=2
	s_or_b64 exec, exec, s[40:41]
	s_waitcnt vmcnt(0)
	v_xor_b32_e32 v17, 0x7f, v4
	v_lshrrev_b32_sdwa v4, s69, v17 dst_sel:DWORD dst_unused:UNUSED_PAD src0_sel:DWORD src1_sel:BYTE_0
	v_and_b32_e32 v13, s58, v4
	v_and_b32_e32 v4, 1, v13
	v_add_co_u32_e32 v14, vcc, -1, v4
	v_addc_co_u32_e64 v75, s[38:39], 0, -1, vcc
	v_cmp_ne_u32_e32 vcc, 0, v4
	v_xor_b32_e32 v4, vcc_hi, v75
	v_and_b32_e32 v75, exec_hi, v4
	v_lshlrev_b32_e32 v4, 30, v13
	v_xor_b32_e32 v14, vcc_lo, v14
	v_cmp_gt_i64_e32 vcc, 0, v[3:4]
	v_not_b32_e32 v4, v4
	v_ashrrev_i32_e32 v4, 31, v4
	v_and_b32_e32 v14, exec_lo, v14
	v_xor_b32_e32 v78, vcc_hi, v4
	v_xor_b32_e32 v4, vcc_lo, v4
	v_and_b32_e32 v14, v14, v4
	v_lshlrev_b32_e32 v4, 29, v13
	v_cmp_gt_i64_e32 vcc, 0, v[3:4]
	v_not_b32_e32 v4, v4
	v_ashrrev_i32_e32 v4, 31, v4
	v_and_b32_e32 v75, v75, v78
	v_xor_b32_e32 v78, vcc_hi, v4
	v_xor_b32_e32 v4, vcc_lo, v4
	v_and_b32_e32 v14, v14, v4
	v_lshlrev_b32_e32 v4, 28, v13
	v_cmp_gt_i64_e32 vcc, 0, v[3:4]
	v_not_b32_e32 v4, v4
	v_ashrrev_i32_e32 v4, 31, v4
	v_and_b32_e32 v75, v75, v78
	;; [unrolled: 8-line block ×5, first 2 shown]
	v_xor_b32_e32 v78, vcc_hi, v4
	v_xor_b32_e32 v4, vcc_lo, v4
	v_and_b32_e32 v75, v75, v78
	v_and_b32_e32 v78, v14, v4
	v_lshlrev_b32_e32 v4, 24, v13
	v_cmp_gt_i64_e32 vcc, 0, v[3:4]
	v_not_b32_e32 v4, v4
	v_ashrrev_i32_e32 v4, 31, v4
	v_mul_u32_u24_e32 v77, 20, v13
	v_xor_b32_e32 v13, vcc_hi, v4
	v_xor_b32_e32 v4, vcc_lo, v4
	v_and_b32_e32 v14, v75, v13
	v_and_b32_e32 v13, v78, v4
	v_mbcnt_lo_u32_b32 v4, v13, 0
	v_mbcnt_hi_u32_b32 v75, v14, v4
	v_cmp_ne_u64_e32 vcc, 0, v[13:14]
	v_cmp_eq_u32_e64 s[38:39], 0, v75
	s_and_b64 s[40:41], vcc, s[38:39]
	v_add_u32_e32 v78, v71, v77
	ds_write2_b32 v53, v3, v3 offset1:1
	ds_write2_b32 v54, v3, v3 offset1:1
	ds_write_b32 v50, v3 offset:1056
	s_waitcnt lgkmcnt(0)
	s_barrier
	; wave barrier
	s_and_saveexec_b64 s[38:39], s[40:41]
; %bb.261:                              ;   in Loop: Header=BB295_250 Depth=2
	v_bcnt_u32_b32 v4, v13, 0
	v_bcnt_u32_b32 v4, v14, v4
	ds_write_b32 v78, v4 offset:1040
; %bb.262:                              ;   in Loop: Header=BB295_250 Depth=2
	s_or_b64 exec, exec, s[38:39]
	v_xor_b32_e32 v76, 0x7f, v76
	v_lshrrev_b32_sdwa v4, s69, v76 dst_sel:DWORD dst_unused:UNUSED_PAD src0_sel:DWORD src1_sel:BYTE_0
	v_and_b32_e32 v13, s58, v4
	v_mad_u32_u24 v4, v13, 20, v71
	; wave barrier
	ds_read_b32 v77, v4 offset:1040
	v_and_b32_e32 v4, 1, v13
	v_add_co_u32_e32 v14, vcc, -1, v4
	v_addc_co_u32_e64 v79, s[38:39], 0, -1, vcc
	v_cmp_ne_u32_e32 vcc, 0, v4
	v_xor_b32_e32 v4, vcc_hi, v79
	v_and_b32_e32 v79, exec_hi, v4
	v_lshlrev_b32_e32 v4, 30, v13
	v_xor_b32_e32 v14, vcc_lo, v14
	v_cmp_gt_i64_e32 vcc, 0, v[3:4]
	v_not_b32_e32 v4, v4
	v_ashrrev_i32_e32 v4, 31, v4
	v_and_b32_e32 v14, exec_lo, v14
	v_xor_b32_e32 v81, vcc_hi, v4
	v_xor_b32_e32 v4, vcc_lo, v4
	v_and_b32_e32 v14, v14, v4
	v_lshlrev_b32_e32 v4, 29, v13
	v_cmp_gt_i64_e32 vcc, 0, v[3:4]
	v_not_b32_e32 v4, v4
	v_ashrrev_i32_e32 v4, 31, v4
	v_and_b32_e32 v79, v79, v81
	v_xor_b32_e32 v81, vcc_hi, v4
	v_xor_b32_e32 v4, vcc_lo, v4
	v_and_b32_e32 v14, v14, v4
	v_lshlrev_b32_e32 v4, 28, v13
	v_cmp_gt_i64_e32 vcc, 0, v[3:4]
	v_not_b32_e32 v4, v4
	v_ashrrev_i32_e32 v4, 31, v4
	v_and_b32_e32 v79, v79, v81
	;; [unrolled: 8-line block ×5, first 2 shown]
	v_xor_b32_e32 v81, vcc_hi, v4
	v_xor_b32_e32 v4, vcc_lo, v4
	v_and_b32_e32 v79, v79, v81
	v_and_b32_e32 v81, v14, v4
	v_lshlrev_b32_e32 v4, 24, v13
	v_cmp_gt_i64_e32 vcc, 0, v[3:4]
	v_not_b32_e32 v4, v4
	v_ashrrev_i32_e32 v4, 31, v4
	v_mul_u32_u24_e32 v80, 20, v13
	v_xor_b32_e32 v13, vcc_hi, v4
	v_xor_b32_e32 v4, vcc_lo, v4
	v_and_b32_e32 v14, v79, v13
	v_and_b32_e32 v13, v81, v4
	v_mbcnt_lo_u32_b32 v4, v13, 0
	v_mbcnt_hi_u32_b32 v79, v14, v4
	v_cmp_ne_u64_e32 vcc, 0, v[13:14]
	v_cmp_eq_u32_e64 s[38:39], 0, v79
	s_and_b64 s[40:41], vcc, s[38:39]
	v_add_u32_e32 v82, v71, v80
	; wave barrier
	s_and_saveexec_b64 s[38:39], s[40:41]
	s_cbranch_execz .LBB295_264
; %bb.263:                              ;   in Loop: Header=BB295_250 Depth=2
	v_bcnt_u32_b32 v4, v13, 0
	v_bcnt_u32_b32 v4, v14, v4
	s_waitcnt lgkmcnt(0)
	v_add_u32_e32 v4, v77, v4
	ds_write_b32 v82, v4 offset:1040
.LBB295_264:                            ;   in Loop: Header=BB295_250 Depth=2
	s_or_b64 exec, exec, s[38:39]
	v_xor_b32_e32 v80, 0x7f, v16
	v_lshrrev_b32_sdwa v4, s69, v80 dst_sel:DWORD dst_unused:UNUSED_PAD src0_sel:DWORD src1_sel:BYTE_0
	v_and_b32_e32 v13, s58, v4
	v_mad_u32_u24 v4, v13, 20, v71
	; wave barrier
	ds_read_b32 v81, v4 offset:1040
	v_and_b32_e32 v4, 1, v13
	v_add_co_u32_e32 v14, vcc, -1, v4
	v_addc_co_u32_e64 v83, s[38:39], 0, -1, vcc
	v_cmp_ne_u32_e32 vcc, 0, v4
	v_xor_b32_e32 v4, vcc_hi, v83
	v_and_b32_e32 v83, exec_hi, v4
	v_lshlrev_b32_e32 v4, 30, v13
	v_xor_b32_e32 v14, vcc_lo, v14
	v_cmp_gt_i64_e32 vcc, 0, v[3:4]
	v_not_b32_e32 v4, v4
	v_ashrrev_i32_e32 v4, 31, v4
	v_and_b32_e32 v14, exec_lo, v14
	v_xor_b32_e32 v84, vcc_hi, v4
	v_xor_b32_e32 v4, vcc_lo, v4
	v_and_b32_e32 v14, v14, v4
	v_lshlrev_b32_e32 v4, 29, v13
	v_cmp_gt_i64_e32 vcc, 0, v[3:4]
	v_not_b32_e32 v4, v4
	v_ashrrev_i32_e32 v4, 31, v4
	v_and_b32_e32 v83, v83, v84
	v_xor_b32_e32 v84, vcc_hi, v4
	v_xor_b32_e32 v4, vcc_lo, v4
	v_and_b32_e32 v14, v14, v4
	v_lshlrev_b32_e32 v4, 28, v13
	v_cmp_gt_i64_e32 vcc, 0, v[3:4]
	v_not_b32_e32 v4, v4
	v_ashrrev_i32_e32 v4, 31, v4
	v_and_b32_e32 v83, v83, v84
	;; [unrolled: 8-line block ×5, first 2 shown]
	v_xor_b32_e32 v84, vcc_hi, v4
	v_xor_b32_e32 v4, vcc_lo, v4
	v_and_b32_e32 v83, v83, v84
	v_and_b32_e32 v84, v14, v4
	v_lshlrev_b32_e32 v4, 24, v13
	v_cmp_gt_i64_e32 vcc, 0, v[3:4]
	v_not_b32_e32 v4, v4
	v_ashrrev_i32_e32 v4, 31, v4
	v_mul_u32_u24_e32 v16, 20, v13
	v_xor_b32_e32 v13, vcc_hi, v4
	v_xor_b32_e32 v4, vcc_lo, v4
	v_and_b32_e32 v14, v83, v13
	v_and_b32_e32 v13, v84, v4
	v_mbcnt_lo_u32_b32 v4, v13, 0
	v_mbcnt_hi_u32_b32 v83, v14, v4
	v_cmp_ne_u64_e32 vcc, 0, v[13:14]
	v_cmp_eq_u32_e64 s[38:39], 0, v83
	s_and_b64 s[40:41], vcc, s[38:39]
	v_add_u32_e32 v86, v71, v16
	; wave barrier
	s_and_saveexec_b64 s[38:39], s[40:41]
	s_cbranch_execz .LBB295_266
; %bb.265:                              ;   in Loop: Header=BB295_250 Depth=2
	v_bcnt_u32_b32 v4, v13, 0
	v_bcnt_u32_b32 v4, v14, v4
	s_waitcnt lgkmcnt(0)
	v_add_u32_e32 v4, v81, v4
	ds_write_b32 v86, v4 offset:1040
.LBB295_266:                            ;   in Loop: Header=BB295_250 Depth=2
	s_or_b64 exec, exec, s[38:39]
	v_xor_b32_e32 v84, 0x7f, v15
	v_lshrrev_b32_sdwa v4, s69, v84 dst_sel:DWORD dst_unused:UNUSED_PAD src0_sel:DWORD src1_sel:BYTE_0
	v_and_b32_e32 v13, s58, v4
	v_mad_u32_u24 v4, v13, 20, v71
	; wave barrier
	ds_read_b32 v85, v4 offset:1040
	v_and_b32_e32 v4, 1, v13
	v_add_co_u32_e32 v14, vcc, -1, v4
	v_addc_co_u32_e64 v16, s[38:39], 0, -1, vcc
	v_cmp_ne_u32_e32 vcc, 0, v4
	v_xor_b32_e32 v4, vcc_hi, v16
	v_and_b32_e32 v16, exec_hi, v4
	v_lshlrev_b32_e32 v4, 30, v13
	v_xor_b32_e32 v14, vcc_lo, v14
	v_cmp_gt_i64_e32 vcc, 0, v[3:4]
	v_not_b32_e32 v4, v4
	v_ashrrev_i32_e32 v4, 31, v4
	v_and_b32_e32 v14, exec_lo, v14
	v_xor_b32_e32 v87, vcc_hi, v4
	v_xor_b32_e32 v4, vcc_lo, v4
	v_and_b32_e32 v14, v14, v4
	v_lshlrev_b32_e32 v4, 29, v13
	v_cmp_gt_i64_e32 vcc, 0, v[3:4]
	v_not_b32_e32 v4, v4
	v_ashrrev_i32_e32 v4, 31, v4
	v_and_b32_e32 v16, v16, v87
	v_xor_b32_e32 v87, vcc_hi, v4
	v_xor_b32_e32 v4, vcc_lo, v4
	v_and_b32_e32 v14, v14, v4
	v_lshlrev_b32_e32 v4, 28, v13
	v_cmp_gt_i64_e32 vcc, 0, v[3:4]
	v_not_b32_e32 v4, v4
	v_ashrrev_i32_e32 v4, 31, v4
	v_and_b32_e32 v16, v16, v87
	;; [unrolled: 8-line block ×5, first 2 shown]
	v_xor_b32_e32 v87, vcc_hi, v4
	v_xor_b32_e32 v4, vcc_lo, v4
	v_and_b32_e32 v16, v16, v87
	v_and_b32_e32 v87, v14, v4
	v_lshlrev_b32_e32 v4, 24, v13
	v_cmp_gt_i64_e32 vcc, 0, v[3:4]
	v_not_b32_e32 v4, v4
	v_ashrrev_i32_e32 v4, 31, v4
	v_mul_u32_u24_e32 v15, 20, v13
	v_xor_b32_e32 v13, vcc_hi, v4
	v_xor_b32_e32 v4, vcc_lo, v4
	v_and_b32_e32 v14, v16, v13
	v_and_b32_e32 v13, v87, v4
	v_mbcnt_lo_u32_b32 v4, v13, 0
	v_mbcnt_hi_u32_b32 v4, v14, v4
	v_cmp_ne_u64_e32 vcc, 0, v[13:14]
	v_cmp_eq_u32_e64 s[38:39], 0, v4
	s_and_b64 s[40:41], vcc, s[38:39]
	v_add_u32_e32 v87, v71, v15
	; wave barrier
	s_and_saveexec_b64 s[38:39], s[40:41]
	s_cbranch_execz .LBB295_268
; %bb.267:                              ;   in Loop: Header=BB295_250 Depth=2
	v_bcnt_u32_b32 v13, v13, 0
	v_bcnt_u32_b32 v13, v14, v13
	s_waitcnt lgkmcnt(0)
	v_add_u32_e32 v13, v85, v13
	ds_write_b32 v87, v13 offset:1040
.LBB295_268:                            ;   in Loop: Header=BB295_250 Depth=2
	s_or_b64 exec, exec, s[38:39]
	; wave barrier
	s_waitcnt lgkmcnt(0)
	s_barrier
	ds_read2_b32 v[15:16], v53 offset1:1
	ds_read2_b32 v[13:14], v54 offset1:1
	ds_read_b32 v88, v50 offset:1056
	s_waitcnt lgkmcnt(1)
	v_add3_u32 v89, v16, v15, v13
	s_waitcnt lgkmcnt(0)
	v_add3_u32 v88, v89, v14, v88
	s_nop 1
	v_mov_b32_dpp v89, v88 row_shr:1 row_mask:0xf bank_mask:0xf
	v_cndmask_b32_e64 v89, v89, 0, s[18:19]
	v_add_u32_e32 v88, v89, v88
	s_nop 1
	v_mov_b32_dpp v89, v88 row_shr:2 row_mask:0xf bank_mask:0xf
	v_cndmask_b32_e64 v89, 0, v89, s[20:21]
	v_add_u32_e32 v88, v88, v89
	;; [unrolled: 4-line block ×4, first 2 shown]
	s_nop 1
	v_mov_b32_dpp v89, v88 row_bcast:15 row_mask:0xf bank_mask:0xf
	v_cndmask_b32_e64 v89, v89, 0, s[26:27]
	v_add_u32_e32 v88, v88, v89
	s_nop 1
	v_mov_b32_dpp v89, v88 row_bcast:31 row_mask:0xf bank_mask:0xf
	v_cndmask_b32_e64 v89, 0, v89, s[28:29]
	v_add_u32_e32 v88, v88, v89
	s_and_saveexec_b64 s[38:39], s[8:9]
; %bb.269:                              ;   in Loop: Header=BB295_250 Depth=2
	ds_write_b32 v26, v88 offset:1024
; %bb.270:                              ;   in Loop: Header=BB295_250 Depth=2
	s_or_b64 exec, exec, s[38:39]
	s_waitcnt lgkmcnt(0)
	s_barrier
	s_and_saveexec_b64 s[38:39], s[10:11]
	s_cbranch_execz .LBB295_272
; %bb.271:                              ;   in Loop: Header=BB295_250 Depth=2
	v_add_u32_e32 v89, v50, v28
	ds_read_b32 v90, v89 offset:1024
	s_waitcnt lgkmcnt(0)
	s_nop 0
	v_mov_b32_dpp v91, v90 row_shr:1 row_mask:0xf bank_mask:0xf
	v_cndmask_b32_e64 v91, v91, 0, s[34:35]
	v_add_u32_e32 v90, v91, v90
	s_nop 1
	v_mov_b32_dpp v91, v90 row_shr:2 row_mask:0xf bank_mask:0xf
	v_cndmask_b32_e64 v91, 0, v91, s[36:37]
	v_add_u32_e32 v90, v90, v91
	ds_write_b32 v89, v90 offset:1024
.LBB295_272:                            ;   in Loop: Header=BB295_250 Depth=2
	s_or_b64 exec, exec, s[38:39]
	v_mov_b32_e32 v89, 0
	s_waitcnt lgkmcnt(0)
	s_barrier
	s_and_saveexec_b64 s[38:39], s[12:13]
; %bb.273:                              ;   in Loop: Header=BB295_250 Depth=2
	ds_read_b32 v89, v26 offset:1020
; %bb.274:                              ;   in Loop: Header=BB295_250 Depth=2
	s_or_b64 exec, exec, s[38:39]
	s_waitcnt lgkmcnt(0)
	v_add_u32_e32 v88, v89, v88
	ds_bpermute_b32 v88, v64, v88
	s_waitcnt lgkmcnt(0)
	v_cndmask_b32_e64 v88, v88, v89, s[30:31]
	v_cndmask_b32_e64 v88, v88, 0, s[14:15]
	v_add_u32_e32 v15, v88, v15
	v_add_u32_e32 v16, v15, v16
	;; [unrolled: 1-line block ×4, first 2 shown]
	ds_write2_b32 v53, v88, v15 offset1:1
	ds_write2_b32 v54, v16, v13 offset1:1
	ds_write_b32 v50, v14 offset:1056
	s_waitcnt lgkmcnt(0)
	s_barrier
	ds_read_b32 v13, v78 offset:1040
	ds_read_b32 v14, v82 offset:1040
	;; [unrolled: 1-line block ×5, first 2 shown]
	v_mov_b32_e32 v78, 0x400
	s_and_saveexec_b64 s[38:39], s[16:17]
; %bb.275:                              ;   in Loop: Header=BB295_250 Depth=2
	ds_read_b32 v78, v50 offset:1060
; %bb.276:                              ;   in Loop: Header=BB295_250 Depth=2
	s_or_b64 exec, exec, s[38:39]
	s_waitcnt lgkmcnt(0)
	s_barrier
	s_and_saveexec_b64 s[38:39], s[4:5]
	s_cbranch_execz .LBB295_278
; %bb.277:                              ;   in Loop: Header=BB295_250 Depth=2
	ds_read_b32 v86, v18
	s_waitcnt lgkmcnt(0)
	v_sub_u32_e32 v15, v86, v15
	ds_write_b32 v18, v15
.LBB295_278:                            ;   in Loop: Header=BB295_250 Depth=2
	s_or_b64 exec, exec, s[38:39]
	v_add_u32_e32 v15, v13, v75
	v_add3_u32 v14, v79, v77, v14
	v_add3_u32 v13, v83, v81, v16
	;; [unrolled: 1-line block ×3, first 2 shown]
	v_cmp_lt_u32_e64 s[42:43], v0, v74
	ds_write_b8 v15, v17 offset:1024
	ds_write_b8 v14, v76 offset:1024
	;; [unrolled: 1-line block ×4, first 2 shown]
	s_waitcnt lgkmcnt(0)
	s_barrier
	s_and_saveexec_b64 s[38:39], s[42:43]
	s_cbranch_execnz .LBB295_299
; %bb.279:                              ;   in Loop: Header=BB295_250 Depth=2
	s_or_b64 exec, exec, s[38:39]
	v_cmp_lt_u32_e64 s[40:41], v19, v74
	s_and_saveexec_b64 s[38:39], s[40:41]
	s_cbranch_execnz .LBB295_300
.LBB295_280:                            ;   in Loop: Header=BB295_250 Depth=2
	s_or_b64 exec, exec, s[38:39]
	v_cmp_lt_u32_e64 s[38:39], v20, v74
	s_and_saveexec_b64 s[44:45], s[38:39]
	s_cbranch_execnz .LBB295_301
.LBB295_281:                            ;   in Loop: Header=BB295_250 Depth=2
	s_or_b64 exec, exec, s[44:45]
	v_cmp_lt_u32_e32 vcc, v21, v74
	s_and_saveexec_b64 s[44:45], vcc
	s_cbranch_execz .LBB295_283
.LBB295_282:                            ;   in Loop: Header=BB295_250 Depth=2
	ds_read_u8 v16, v0 offset:1792
	s_waitcnt lgkmcnt(0)
	v_lshrrev_b32_sdwa v17, s69, v16 dst_sel:DWORD dst_unused:UNUSED_PAD src0_sel:DWORD src1_sel:BYTE_0
	v_and_b32_e32 v17, s58, v17
	v_lshlrev_b32_e32 v17, 2, v17
	ds_read_b32 v17, v17
	v_xor_b32_e32 v16, 0x7f, v16
	s_waitcnt lgkmcnt(0)
	v_add_u32_e32 v17, v17, v21
	global_store_byte v17, v16, s[50:51]
.LBB295_283:                            ;   in Loop: Header=BB295_250 Depth=2
	s_or_b64 exec, exec, s[44:45]
	s_lshl_b64 s[44:45], s[56:57], 3
	v_mov_b32_e32 v17, s45
	v_add_co_u32_e64 v16, s[44:45], s44, v65
	v_addc_co_u32_e64 v17, s[44:45], v66, v17, s[44:45]
	v_cmp_lt_u32_e64 s[44:45], v47, v74
	s_and_saveexec_b64 s[54:55], s[44:45]
	s_xor_b64 s[44:45], exec, s[54:55]
	s_cbranch_execnz .LBB295_302
; %bb.284:                              ;   in Loop: Header=BB295_250 Depth=2
	s_or_b64 exec, exec, s[44:45]
	v_cmp_lt_u32_e64 s[44:45], v61, v74
	s_and_saveexec_b64 s[54:55], s[44:45]
	s_cbranch_execnz .LBB295_303
.LBB295_285:                            ;   in Loop: Header=BB295_250 Depth=2
	s_or_b64 exec, exec, s[54:55]
	v_cmp_lt_u32_e64 s[44:45], v62, v74
	s_and_saveexec_b64 s[54:55], s[44:45]
	s_cbranch_execnz .LBB295_304
.LBB295_286:                            ;   in Loop: Header=BB295_250 Depth=2
	s_or_b64 exec, exec, s[54:55]
	v_cmp_lt_u32_e64 s[44:45], v63, v74
	s_and_saveexec_b64 s[54:55], s[44:45]
	s_cbranch_execnz .LBB295_305
.LBB295_287:                            ;   in Loop: Header=BB295_250 Depth=2
	s_or_b64 exec, exec, s[54:55]
	s_and_saveexec_b64 s[44:45], s[42:43]
	s_cbranch_execnz .LBB295_306
.LBB295_288:                            ;   in Loop: Header=BB295_250 Depth=2
	s_or_b64 exec, exec, s[44:45]
	s_and_saveexec_b64 s[44:45], s[40:41]
	s_cbranch_execnz .LBB295_307
.LBB295_289:                            ;   in Loop: Header=BB295_250 Depth=2
	s_or_b64 exec, exec, s[44:45]
	s_and_saveexec_b64 s[44:45], s[38:39]
	s_cbranch_execnz .LBB295_308
.LBB295_290:                            ;   in Loop: Header=BB295_250 Depth=2
	s_or_b64 exec, exec, s[44:45]
	s_and_saveexec_b64 s[44:45], vcc
	s_cbranch_execz .LBB295_292
.LBB295_291:                            ;   in Loop: Header=BB295_250 Depth=2
	ds_read_u8 v16, v0 offset:1792
	s_waitcnt lgkmcnt(0)
	v_lshrrev_b32_e32 v16, s69, v16
	v_and_b32_e32 v69, s58, v16
.LBB295_292:                            ;   in Loop: Header=BB295_250 Depth=2
	s_or_b64 exec, exec, s[44:45]
	v_mad_u64_u32 v[15:16], s[44:45], v15, 7, v[15:16]
	s_waitcnt vmcnt(0)
	v_mad_u64_u32 v[74:75], s[44:45], v4, 7, v[4:5]
	v_mad_u64_u32 v[16:17], s[44:45], v14, 7, v[14:15]
	;; [unrolled: 1-line block ×3, first 2 shown]
	s_barrier
	ds_write_b64 v15, v[11:12] offset:1024
	ds_write_b64 v16, v[9:10] offset:1024
	;; [unrolled: 1-line block ×4, first 2 shown]
	s_waitcnt lgkmcnt(0)
	s_barrier
	s_and_saveexec_b64 s[44:45], s[42:43]
	s_cbranch_execnz .LBB295_309
; %bb.293:                              ;   in Loop: Header=BB295_250 Depth=2
	s_or_b64 exec, exec, s[44:45]
	s_and_saveexec_b64 s[42:43], s[40:41]
	s_cbranch_execnz .LBB295_310
.LBB295_294:                            ;   in Loop: Header=BB295_250 Depth=2
	s_or_b64 exec, exec, s[42:43]
	s_and_saveexec_b64 s[40:41], s[38:39]
	s_cbranch_execnz .LBB295_311
.LBB295_295:                            ;   in Loop: Header=BB295_250 Depth=2
	s_or_b64 exec, exec, s[40:41]
	s_and_saveexec_b64 s[38:39], vcc
	s_cbranch_execz .LBB295_297
.LBB295_296:                            ;   in Loop: Header=BB295_250 Depth=2
	v_lshlrev_b32_e32 v4, 2, v69
	ds_read_b32 v4, v4
	v_add_u32_e32 v13, v0, v51
	ds_read_b64 v[13:14], v13 offset:7168
	v_mov_b32_e32 v16, v3
	v_mov_b32_e32 v17, s65
	s_waitcnt lgkmcnt(1)
	v_add_u32_e32 v15, v4, v21
	v_lshlrev_b64 v[15:16], 3, v[15:16]
	v_add_co_u32_e32 v15, vcc, s64, v15
	v_addc_co_u32_e32 v16, vcc, v17, v16, vcc
	s_waitcnt lgkmcnt(0)
	global_store_dwordx2 v[15:16], v[13:14], off
.LBB295_297:                            ;   in Loop: Header=BB295_250 Depth=2
	s_or_b64 exec, exec, s[38:39]
	s_waitcnt vmcnt(0)
	s_barrier
	s_and_saveexec_b64 s[38:39], s[4:5]
	s_cbranch_execz .LBB295_249
; %bb.298:                              ;   in Loop: Header=BB295_250 Depth=2
	ds_read_b32 v4, v18
	s_waitcnt lgkmcnt(0)
	v_add_u32_e32 v4, v4, v78
	ds_write_b32 v18, v4
	s_branch .LBB295_249
.LBB295_299:                            ;   in Loop: Header=BB295_250 Depth=2
	ds_read_u8 v16, v0 offset:1024
	s_waitcnt lgkmcnt(0)
	v_lshrrev_b32_sdwa v17, s69, v16 dst_sel:DWORD dst_unused:UNUSED_PAD src0_sel:DWORD src1_sel:BYTE_0
	v_and_b32_e32 v17, s58, v17
	v_lshlrev_b32_e32 v17, 2, v17
	ds_read_b32 v17, v17
	v_xor_b32_e32 v16, 0x7f, v16
	s_waitcnt lgkmcnt(0)
	v_add_u32_e32 v17, v17, v0
	global_store_byte v17, v16, s[50:51]
	s_or_b64 exec, exec, s[38:39]
	v_cmp_lt_u32_e64 s[40:41], v19, v74
	s_and_saveexec_b64 s[38:39], s[40:41]
	s_cbranch_execz .LBB295_280
.LBB295_300:                            ;   in Loop: Header=BB295_250 Depth=2
	ds_read_u8 v16, v0 offset:1280
	s_waitcnt lgkmcnt(0)
	v_lshrrev_b32_sdwa v17, s69, v16 dst_sel:DWORD dst_unused:UNUSED_PAD src0_sel:DWORD src1_sel:BYTE_0
	v_and_b32_e32 v17, s58, v17
	v_lshlrev_b32_e32 v17, 2, v17
	ds_read_b32 v17, v17
	v_xor_b32_e32 v16, 0x7f, v16
	s_waitcnt lgkmcnt(0)
	v_add_u32_e32 v17, v17, v19
	global_store_byte v17, v16, s[50:51]
	s_or_b64 exec, exec, s[38:39]
	v_cmp_lt_u32_e64 s[38:39], v20, v74
	s_and_saveexec_b64 s[44:45], s[38:39]
	s_cbranch_execz .LBB295_281
.LBB295_301:                            ;   in Loop: Header=BB295_250 Depth=2
	ds_read_u8 v16, v0 offset:1536
	s_waitcnt lgkmcnt(0)
	v_lshrrev_b32_sdwa v17, s69, v16 dst_sel:DWORD dst_unused:UNUSED_PAD src0_sel:DWORD src1_sel:BYTE_0
	v_and_b32_e32 v17, s58, v17
	v_lshlrev_b32_e32 v17, 2, v17
	ds_read_b32 v17, v17
	v_xor_b32_e32 v16, 0x7f, v16
	s_waitcnt lgkmcnt(0)
	v_add_u32_e32 v17, v17, v20
	global_store_byte v17, v16, s[50:51]
	s_or_b64 exec, exec, s[44:45]
	v_cmp_lt_u32_e32 vcc, v21, v74
	s_and_saveexec_b64 s[44:45], vcc
	s_cbranch_execnz .LBB295_282
	s_branch .LBB295_283
.LBB295_302:                            ;   in Loop: Header=BB295_250 Depth=2
	global_load_dwordx2 v[11:12], v[16:17], off
	s_or_b64 exec, exec, s[44:45]
	v_cmp_lt_u32_e64 s[44:45], v61, v74
	s_and_saveexec_b64 s[54:55], s[44:45]
	s_cbranch_execz .LBB295_285
.LBB295_303:                            ;   in Loop: Header=BB295_250 Depth=2
	global_load_dwordx2 v[9:10], v[16:17], off offset:512
	s_or_b64 exec, exec, s[54:55]
	v_cmp_lt_u32_e64 s[44:45], v62, v74
	s_and_saveexec_b64 s[54:55], s[44:45]
	s_cbranch_execz .LBB295_286
.LBB295_304:                            ;   in Loop: Header=BB295_250 Depth=2
	global_load_dwordx2 v[7:8], v[16:17], off offset:1024
	s_or_b64 exec, exec, s[54:55]
	v_cmp_lt_u32_e64 s[44:45], v63, v74
	s_and_saveexec_b64 s[54:55], s[44:45]
	s_cbranch_execz .LBB295_287
.LBB295_305:                            ;   in Loop: Header=BB295_250 Depth=2
	global_load_dwordx2 v[5:6], v[16:17], off offset:1536
	s_or_b64 exec, exec, s[54:55]
	s_and_saveexec_b64 s[44:45], s[42:43]
	s_cbranch_execz .LBB295_288
.LBB295_306:                            ;   in Loop: Header=BB295_250 Depth=2
	ds_read_u8 v16, v0 offset:1024
	s_waitcnt lgkmcnt(0)
	v_lshrrev_b32_e32 v16, s69, v16
	v_and_b32_e32 v73, s58, v16
	s_or_b64 exec, exec, s[44:45]
	s_and_saveexec_b64 s[44:45], s[40:41]
	s_cbranch_execz .LBB295_289
.LBB295_307:                            ;   in Loop: Header=BB295_250 Depth=2
	ds_read_u8 v16, v0 offset:1280
	s_waitcnt lgkmcnt(0)
	v_lshrrev_b32_e32 v16, s69, v16
	v_and_b32_e32 v72, s58, v16
	s_or_b64 exec, exec, s[44:45]
	s_and_saveexec_b64 s[44:45], s[38:39]
	s_cbranch_execz .LBB295_290
.LBB295_308:                            ;   in Loop: Header=BB295_250 Depth=2
	ds_read_u8 v16, v0 offset:1536
	s_waitcnt lgkmcnt(0)
	v_lshrrev_b32_e32 v16, s69, v16
	v_and_b32_e32 v70, s58, v16
	s_or_b64 exec, exec, s[44:45]
	s_and_saveexec_b64 s[44:45], vcc
	s_cbranch_execnz .LBB295_291
	s_branch .LBB295_292
.LBB295_309:                            ;   in Loop: Header=BB295_250 Depth=2
	v_lshlrev_b32_e32 v4, 2, v73
	ds_read_b32 v4, v4
	v_add_u32_e32 v13, v0, v51
	ds_read_b64 v[13:14], v13 offset:1024
	v_mov_b32_e32 v16, v3
	v_mov_b32_e32 v17, s65
	s_waitcnt lgkmcnt(1)
	v_add_u32_e32 v15, v4, v0
	v_lshlrev_b64 v[15:16], 3, v[15:16]
	v_add_co_u32_e64 v15, s[42:43], s64, v15
	v_addc_co_u32_e64 v16, s[42:43], v17, v16, s[42:43]
	s_waitcnt lgkmcnt(0)
	global_store_dwordx2 v[15:16], v[13:14], off
	s_or_b64 exec, exec, s[44:45]
	s_and_saveexec_b64 s[42:43], s[40:41]
	s_cbranch_execz .LBB295_294
.LBB295_310:                            ;   in Loop: Header=BB295_250 Depth=2
	v_lshlrev_b32_e32 v4, 2, v72
	ds_read_b32 v4, v4
	v_add_u32_e32 v13, v0, v51
	ds_read_b64 v[13:14], v13 offset:3072
	v_mov_b32_e32 v16, v3
	v_mov_b32_e32 v17, s65
	s_waitcnt lgkmcnt(1)
	v_add_u32_e32 v15, v4, v19
	v_lshlrev_b64 v[15:16], 3, v[15:16]
	v_add_co_u32_e64 v15, s[40:41], s64, v15
	v_addc_co_u32_e64 v16, s[40:41], v17, v16, s[40:41]
	s_waitcnt lgkmcnt(0)
	global_store_dwordx2 v[15:16], v[13:14], off
	s_or_b64 exec, exec, s[42:43]
	s_and_saveexec_b64 s[40:41], s[38:39]
	s_cbranch_execz .LBB295_295
.LBB295_311:                            ;   in Loop: Header=BB295_250 Depth=2
	v_lshlrev_b32_e32 v4, 2, v70
	ds_read_b32 v4, v4
	v_add_u32_e32 v13, v0, v51
	ds_read_b64 v[13:14], v13 offset:5120
	v_mov_b32_e32 v16, v3
	v_mov_b32_e32 v17, s65
	s_waitcnt lgkmcnt(1)
	v_add_u32_e32 v15, v4, v20
	v_lshlrev_b64 v[15:16], 3, v[15:16]
	v_add_co_u32_e64 v15, s[38:39], s64, v15
	v_addc_co_u32_e64 v16, s[38:39], v17, v16, s[38:39]
	s_waitcnt lgkmcnt(0)
	global_store_dwordx2 v[15:16], v[13:14], off
	s_or_b64 exec, exec, s[40:41]
	s_and_saveexec_b64 s[38:39], vcc
	s_cbranch_execnz .LBB295_296
	s_branch .LBB295_297
.LBB295_312:                            ;   in Loop: Header=BB295_250 Depth=2
	global_load_ubyte v4, v[13:14], off
	v_mov_b32_e32 v15, 0x80
	v_mov_b32_e32 v76, 0x80
	;; [unrolled: 1-line block ×3, first 2 shown]
	s_or_b64 exec, exec, s[38:39]
	v_cmp_gt_u32_e32 vcc, s59, v61
	s_and_saveexec_b64 s[38:39], vcc
	s_cbranch_execz .LBB295_255
.LBB295_313:                            ;   in Loop: Header=BB295_250 Depth=2
	global_load_ubyte v76, v[13:14], off offset:64
	s_or_b64 exec, exec, s[38:39]
	v_cmp_gt_u32_e32 vcc, s59, v62
	s_and_saveexec_b64 s[38:39], vcc
	s_cbranch_execnz .LBB295_256
	s_branch .LBB295_257
.LBB295_314:                            ;   in Loop: Header=BB295_12 Depth=1
	s_waitcnt lgkmcnt(0)
	s_barrier
	s_mov_b64 s[18:19], 0
.LBB295_315:                            ;   in Loop: Header=BB295_12 Depth=1
	s_and_b64 vcc, exec, s[18:19]
	s_cbranch_vccz .LBB295_11
; %bb.316:                              ;   in Loop: Header=BB295_12 Depth=1
	v_mov_b32_e32 v4, 0
	s_mov_b32 s20, s71
	s_mov_b32 s22, s74
	v_mov_b32_e32 v7, 0
	v_mov_b32_e32 v6, 0
	;; [unrolled: 1-line block ×3, first 2 shown]
	s_barrier
	s_branch .LBB295_318
.LBB295_317:                            ;   in Loop: Header=BB295_318 Depth=2
	s_or_b64 exec, exec, s[18:19]
	s_addk_i32 s20, 0xfc00
	s_cmp_ge_u32 s21, s75
	s_mov_b32 s22, s21
	s_cbranch_scc1 .LBB295_338
.LBB295_318:                            ;   Parent Loop BB295_12 Depth=1
                                        ; =>  This Inner Loop Header: Depth=2
	s_add_i32 s21, s22, 0x400
	s_cmp_gt_u32 s21, s75
	s_mov_b64 s[18:19], -1
                                        ; implicit-def: $vgpr8
                                        ; implicit-def: $vgpr9
                                        ; implicit-def: $vgpr10
                                        ; implicit-def: $vgpr11
	s_cbranch_scc1 .LBB295_320
; %bb.319:                              ;   in Loop: Header=BB295_318 Depth=2
	v_add_co_u32_e32 v12, vcc, s22, v39
	v_addc_co_u32_e32 v13, vcc, 0, v40, vcc
	global_load_ubyte v11, v[12:13], off offset:768
	global_load_ubyte v10, v[12:13], off offset:512
	;; [unrolled: 1-line block ×3, first 2 shown]
	global_load_ubyte v8, v[12:13], off
	s_mov_b64 s[18:19], 0
.LBB295_320:                            ;   in Loop: Header=BB295_318 Depth=2
	s_andn2_b64 vcc, exec, s[18:19]
	s_movk_i32 s23, 0x400
	s_cbranch_vccnz .LBB295_327
; %bb.321:                              ;   in Loop: Header=BB295_318 Depth=2
	s_add_u32 s22, s48, s22
	s_addc_u32 s23, s49, 0
	v_cmp_gt_u32_e32 vcc, s20, v0
	s_and_saveexec_b64 s[18:19], vcc
	s_cbranch_execnz .LBB295_335
; %bb.322:                              ;   in Loop: Header=BB295_318 Depth=2
	s_or_b64 exec, exec, s[18:19]
	v_cmp_gt_u32_e32 vcc, s20, v19
	s_and_saveexec_b64 s[18:19], vcc
	s_cbranch_execnz .LBB295_336
.LBB295_323:                            ;   in Loop: Header=BB295_318 Depth=2
	s_or_b64 exec, exec, s[18:19]
	v_cmp_gt_u32_e32 vcc, s20, v20
	s_and_saveexec_b64 s[18:19], vcc
	s_cbranch_execnz .LBB295_337
.LBB295_324:                            ;   in Loop: Header=BB295_318 Depth=2
	s_or_b64 exec, exec, s[18:19]
	v_cmp_gt_u32_e32 vcc, s20, v21
	s_and_saveexec_b64 s[18:19], vcc
	s_cbranch_execz .LBB295_326
.LBB295_325:                            ;   in Loop: Header=BB295_318 Depth=2
	v_mov_b32_e32 v5, s23
	s_waitcnt vmcnt(0)
	v_add_co_u32_e32 v8, vcc, s22, v0
	v_addc_co_u32_e32 v9, vcc, 0, v5, vcc
	global_load_ubyte v5, v[8:9], off offset:768
.LBB295_326:                            ;   in Loop: Header=BB295_318 Depth=2
	s_or_b64 exec, exec, s[18:19]
	s_mov_b32 s23, s20
	s_waitcnt vmcnt(0)
	v_mov_b32_e32 v8, v4
	v_mov_b32_e32 v9, v7
	;; [unrolled: 1-line block ×4, first 2 shown]
.LBB295_327:                            ;   in Loop: Header=BB295_318 Depth=2
	s_waitcnt vmcnt(3)
	v_mov_b32_e32 v5, v11
	s_waitcnt vmcnt(2)
	v_mov_b32_e32 v6, v10
	;; [unrolled: 2-line block ×4, first 2 shown]
	v_cmp_gt_u32_e32 vcc, s23, v0
	s_and_saveexec_b64 s[18:19], vcc
	s_cbranch_execnz .LBB295_331
; %bb.328:                              ;   in Loop: Header=BB295_318 Depth=2
	s_or_b64 exec, exec, s[18:19]
	v_cmp_gt_u32_e32 vcc, s23, v19
	s_and_saveexec_b64 s[18:19], vcc
	s_cbranch_execnz .LBB295_332
.LBB295_329:                            ;   in Loop: Header=BB295_318 Depth=2
	s_or_b64 exec, exec, s[18:19]
	v_cmp_gt_u32_e32 vcc, s23, v20
	s_and_saveexec_b64 s[18:19], vcc
	s_cbranch_execnz .LBB295_333
.LBB295_330:                            ;   in Loop: Header=BB295_318 Depth=2
	s_or_b64 exec, exec, s[18:19]
	v_cmp_gt_u32_e32 vcc, s23, v21
	s_and_saveexec_b64 s[18:19], vcc
	s_cbranch_execz .LBB295_317
	s_branch .LBB295_334
.LBB295_331:                            ;   in Loop: Header=BB295_318 Depth=2
	v_xor_b32_e32 v8, 0x7f, v4
	v_lshrrev_b32_sdwa v8, s69, v8 dst_sel:DWORD dst_unused:UNUSED_PAD src0_sel:DWORD src1_sel:BYTE_0
	v_and_b32_e32 v8, s58, v8
	v_lshl_or_b32 v8, v8, 4, v24
	ds_add_u32 v8, v52
	s_or_b64 exec, exec, s[18:19]
	v_cmp_gt_u32_e32 vcc, s23, v19
	s_and_saveexec_b64 s[18:19], vcc
	s_cbranch_execz .LBB295_329
.LBB295_332:                            ;   in Loop: Header=BB295_318 Depth=2
	v_xor_b32_e32 v8, 0x7f, v7
	v_lshrrev_b32_sdwa v8, s69, v8 dst_sel:DWORD dst_unused:UNUSED_PAD src0_sel:DWORD src1_sel:BYTE_0
	v_and_b32_e32 v8, s58, v8
	v_lshl_or_b32 v8, v8, 4, v24
	ds_add_u32 v8, v52
	s_or_b64 exec, exec, s[18:19]
	v_cmp_gt_u32_e32 vcc, s23, v20
	s_and_saveexec_b64 s[18:19], vcc
	s_cbranch_execz .LBB295_330
.LBB295_333:                            ;   in Loop: Header=BB295_318 Depth=2
	v_xor_b32_e32 v8, 0x7f, v6
	v_lshrrev_b32_sdwa v8, s69, v8 dst_sel:DWORD dst_unused:UNUSED_PAD src0_sel:DWORD src1_sel:BYTE_0
	v_and_b32_e32 v8, s58, v8
	v_lshl_or_b32 v8, v8, 4, v24
	ds_add_u32 v8, v52
	s_or_b64 exec, exec, s[18:19]
	v_cmp_gt_u32_e32 vcc, s23, v21
	s_and_saveexec_b64 s[18:19], vcc
	s_cbranch_execz .LBB295_317
.LBB295_334:                            ;   in Loop: Header=BB295_318 Depth=2
	v_xor_b32_e32 v8, 0x7f, v5
	v_lshrrev_b32_sdwa v8, s69, v8 dst_sel:DWORD dst_unused:UNUSED_PAD src0_sel:DWORD src1_sel:BYTE_0
	v_and_b32_e32 v8, s58, v8
	v_lshl_or_b32 v8, v8, 4, v24
	ds_add_u32 v8, v52
	s_branch .LBB295_317
.LBB295_335:                            ;   in Loop: Header=BB295_318 Depth=2
	v_mov_b32_e32 v4, s23
	s_waitcnt vmcnt(0)
	v_add_co_u32_e32 v8, vcc, s22, v0
	v_addc_co_u32_e32 v9, vcc, 0, v4, vcc
	global_load_ubyte v4, v[8:9], off
	s_or_b64 exec, exec, s[18:19]
	v_cmp_gt_u32_e32 vcc, s20, v19
	s_and_saveexec_b64 s[18:19], vcc
	s_cbranch_execz .LBB295_323
.LBB295_336:                            ;   in Loop: Header=BB295_318 Depth=2
	s_waitcnt vmcnt(0)
	v_mov_b32_e32 v8, s23
	v_add_co_u32_e32 v7, vcc, s22, v0
	v_addc_co_u32_e32 v8, vcc, 0, v8, vcc
	global_load_ubyte v7, v[7:8], off offset:256
	s_or_b64 exec, exec, s[18:19]
	v_cmp_gt_u32_e32 vcc, s20, v20
	s_and_saveexec_b64 s[18:19], vcc
	s_cbranch_execz .LBB295_324
.LBB295_337:                            ;   in Loop: Header=BB295_318 Depth=2
	v_mov_b32_e32 v6, s23
	s_waitcnt vmcnt(0)
	v_add_co_u32_e32 v8, vcc, s22, v0
	v_addc_co_u32_e32 v9, vcc, 0, v6, vcc
	global_load_ubyte v6, v[8:9], off offset:512
	s_or_b64 exec, exec, s[18:19]
	v_cmp_gt_u32_e32 vcc, s20, v21
	s_and_saveexec_b64 s[18:19], vcc
	s_cbranch_execnz .LBB295_325
	s_branch .LBB295_326
.LBB295_338:                            ;   in Loop: Header=BB295_12 Depth=1
	v_mov_b32_e32 v4, 0
	s_waitcnt lgkmcnt(0)
	s_barrier
	s_and_saveexec_b64 s[18:19], s[4:5]
	s_cbranch_execz .LBB295_340
; %bb.339:                              ;   in Loop: Header=BB295_12 Depth=1
	ds_read2_b64 v[4:7], v25 offset1:1
	s_waitcnt lgkmcnt(0)
	v_add_u32_e32 v4, v5, v4
	v_add3_u32 v4, v4, v6, v7
.LBB295_340:                            ;   in Loop: Header=BB295_12 Depth=1
	s_or_b64 exec, exec, s[18:19]
	s_nop 0
	v_mov_b32_dpp v5, v4 row_shr:1 row_mask:0xf bank_mask:0xf
	v_cmp_eq_u32_e64 s[18:19], 0, v55
	v_cndmask_b32_e64 v5, v5, 0, s[18:19]
	v_add_u32_e32 v4, v5, v4
	v_cmp_lt_u32_e64 s[20:21], 1, v55
	v_cmp_lt_u32_e64 s[22:23], 3, v55
	v_mov_b32_dpp v5, v4 row_shr:2 row_mask:0xf bank_mask:0xf
	v_cndmask_b32_e64 v5, 0, v5, s[20:21]
	v_add_u32_e32 v4, v4, v5
	v_cmp_lt_u32_e64 s[24:25], 7, v55
	v_cmp_lt_u32_e64 s[28:29], 31, v45
	v_mov_b32_dpp v5, v4 row_shr:4 row_mask:0xf bank_mask:0xf
	v_cndmask_b32_e64 v5, 0, v5, s[22:23]
	v_add_u32_e32 v4, v4, v5
	v_cmp_eq_u32_e64 s[26:27], 0, v57
	s_nop 0
	v_mov_b32_dpp v5, v4 row_shr:8 row_mask:0xf bank_mask:0xf
	v_cndmask_b32_e64 v5, 0, v5, s[24:25]
	v_add_u32_e32 v4, v4, v5
	s_nop 1
	v_mov_b32_dpp v5, v4 row_bcast:15 row_mask:0xf bank_mask:0xf
	v_and_b32_e32 v5, v56, v5
	v_add_u32_e32 v4, v4, v5
	s_nop 1
	v_mov_b32_dpp v5, v4 row_bcast:31 row_mask:0xf bank_mask:0xf
	v_cndmask_b32_e64 v5, 0, v5, s[28:29]
	v_add_u32_e32 v4, v4, v5
	s_and_saveexec_b64 s[30:31], s[8:9]
; %bb.341:                              ;   in Loop: Header=BB295_12 Depth=1
	ds_write_b32 v27, v4
; %bb.342:                              ;   in Loop: Header=BB295_12 Depth=1
	s_or_b64 exec, exec, s[30:31]
	s_waitcnt lgkmcnt(0)
	s_barrier
	s_and_saveexec_b64 s[30:31], s[10:11]
	s_cbranch_execz .LBB295_344
; %bb.343:                              ;   in Loop: Header=BB295_12 Depth=1
	ds_read_b32 v5, v48
	v_cmp_ne_u32_e32 vcc, 0, v58
	s_waitcnt lgkmcnt(0)
	v_mov_b32_dpp v6, v5 row_shr:1 row_mask:0xf bank_mask:0xf
	v_cndmask_b32_e32 v6, 0, v6, vcc
	v_add_u32_e32 v5, v6, v5
	v_cmp_lt_u32_e32 vcc, 1, v58
	s_nop 0
	v_mov_b32_dpp v6, v5 row_shr:2 row_mask:0xf bank_mask:0xf
	v_cndmask_b32_e32 v6, 0, v6, vcc
	v_add_u32_e32 v5, v5, v6
	ds_write_b32 v48, v5
.LBB295_344:                            ;   in Loop: Header=BB295_12 Depth=1
	s_or_b64 exec, exec, s[30:31]
	v_mov_b32_e32 v5, 0
	s_waitcnt lgkmcnt(0)
	s_barrier
	s_and_saveexec_b64 s[30:31], s[12:13]
; %bb.345:                              ;   in Loop: Header=BB295_12 Depth=1
	ds_read_b32 v5, v49
; %bb.346:                              ;   in Loop: Header=BB295_12 Depth=1
	s_or_b64 exec, exec, s[30:31]
	v_subrev_co_u32_e64 v6, s[30:31], 1, v45
	v_cmp_lt_i32_e32 vcc, v6, v59
	v_cndmask_b32_e32 v6, v6, v45, vcc
	s_waitcnt lgkmcnt(0)
	v_add_u32_e32 v4, v5, v4
	v_lshlrev_b32_e32 v64, 2, v6
	ds_bpermute_b32 v4, v64, v4
	s_waitcnt lgkmcnt(0)
	s_barrier
	s_and_saveexec_b64 s[34:35], s[4:5]
; %bb.347:                              ;   in Loop: Header=BB295_12 Depth=1
	v_cndmask_b32_e64 v4, v4, v5, s[30:31]
	v_add_u32_e32 v4, s74, v4
	ds_write_b32 v18, v4
; %bb.348:                              ;   in Loop: Header=BB295_12 Depth=1
	s_or_b64 exec, exec, s[34:35]
	s_load_dwordx2 s[34:35], s[46:47], 0x0
	v_add_co_u32_e32 v65, vcc, v41, v60
	v_addc_co_u32_e32 v66, vcc, 0, v42, vcc
	s_waitcnt lgkmcnt(0)
	s_cmp_lt_u32 s33, s35
	s_cselect_b32 s35, 14, 20
	s_add_u32 s36, s46, s35
	s_addc_u32 s37, s47, 0
	s_cmp_lt_u32 s6, s34
	s_cselect_b32 s34, 12, 18
	s_add_u32 s34, s46, s34
	global_load_ushort v4, v3, s[36:37]
	s_addc_u32 s35, s47, 0
	global_load_ushort v5, v3, s[34:35]
	v_add_co_u32_e32 v67, vcc, v43, v46
	v_cmp_eq_u32_e64 s[34:35], 0, v58
	v_cmp_lt_u32_e64 s[36:37], 1, v58
	v_addc_co_u32_e32 v68, vcc, 0, v44, vcc
	s_mov_b32 s59, s71
	s_mov_b32 s56, s74
                                        ; implicit-def: $vgpr7_vgpr8
                                        ; implicit-def: $vgpr9_vgpr10
                                        ; implicit-def: $vgpr11_vgpr12
                                        ; implicit-def: $vgpr69
                                        ; implicit-def: $vgpr70
                                        ; implicit-def: $vgpr72
                                        ; implicit-def: $vgpr73
	s_waitcnt vmcnt(1)
	v_mad_u32_u24 v4, v2, v4, v1
	s_waitcnt vmcnt(0)
	v_mad_u64_u32 v[4:5], s[38:39], v4, v5, v[0:1]
                                        ; implicit-def: $vgpr5_vgpr6
	v_lshrrev_b32_e32 v4, 4, v4
	v_and_b32_e32 v71, 0xffffffc, v4
	s_branch .LBB295_350
.LBB295_349:                            ;   in Loop: Header=BB295_350 Depth=2
	s_or_b64 exec, exec, s[38:39]
	s_addk_i32 s59, 0xfc00
	s_cmp_lt_u32 s60, s75
	s_mov_b32 s56, s60
	s_cbranch_scc0 .LBB295_10
.LBB295_350:                            ;   Parent Loop BB295_12 Depth=1
                                        ; =>  This Inner Loop Header: Depth=2
	s_add_i32 s60, s56, 0x400
	s_cmp_gt_u32 s60, s75
	s_cbranch_scc1 .LBB295_352
; %bb.351:                              ;   in Loop: Header=BB295_350 Depth=2
	v_add_co_u32_e32 v13, vcc, s56, v67
	v_addc_co_u32_e32 v14, vcc, 0, v68, vcc
	global_load_ubyte v16, v[13:14], off offset:128
	global_load_ubyte v76, v[13:14], off offset:64
	global_load_ubyte v4, v[13:14], off
	s_mov_b64 s[38:39], -1
	s_movk_i32 s42, 0x400
                                        ; implicit-def: $vgpr15
	s_cbranch_execz .LBB295_353
	s_branch .LBB295_358
.LBB295_352:                            ;   in Loop: Header=BB295_350 Depth=2
	s_mov_b64 s[38:39], 0
                                        ; implicit-def: $vgpr4
                                        ; implicit-def: $vgpr76
                                        ; implicit-def: $vgpr16
	s_movk_i32 s42, 0x400
                                        ; implicit-def: $vgpr15
.LBB295_353:                            ;   in Loop: Header=BB295_350 Depth=2
	v_add_co_u32_e32 v13, vcc, s56, v67
	v_addc_co_u32_e32 v14, vcc, 0, v68, vcc
	v_cmp_gt_u32_e32 vcc, s59, v47
	v_mov_b32_e32 v15, 0x80
	s_waitcnt vmcnt(0)
	v_mov_b32_e32 v4, 0x80
	v_mov_b32_e32 v76, 0x80
	v_mov_b32_e32 v16, 0x80
	s_and_saveexec_b64 s[38:39], vcc
	s_cbranch_execnz .LBB295_412
; %bb.354:                              ;   in Loop: Header=BB295_350 Depth=2
	s_or_b64 exec, exec, s[38:39]
	v_cmp_gt_u32_e32 vcc, s59, v61
	s_and_saveexec_b64 s[38:39], vcc
	s_cbranch_execnz .LBB295_413
.LBB295_355:                            ;   in Loop: Header=BB295_350 Depth=2
	s_or_b64 exec, exec, s[38:39]
	v_cmp_gt_u32_e32 vcc, s59, v62
	s_and_saveexec_b64 s[38:39], vcc
	s_cbranch_execz .LBB295_357
.LBB295_356:                            ;   in Loop: Header=BB295_350 Depth=2
	global_load_ubyte v16, v[13:14], off offset:128
.LBB295_357:                            ;   in Loop: Header=BB295_350 Depth=2
	s_or_b64 exec, exec, s[38:39]
	s_sub_i32 s42, s75, s56
	v_cmp_gt_u32_e64 s[38:39], s59, v63
.LBB295_358:                            ;   in Loop: Header=BB295_350 Depth=2
	v_mov_b32_e32 v74, s59
	s_and_saveexec_b64 s[40:41], s[38:39]
	s_cbranch_execz .LBB295_360
; %bb.359:                              ;   in Loop: Header=BB295_350 Depth=2
	v_mov_b32_e32 v14, s57
	v_add_co_u32_e32 v13, vcc, s56, v67
	v_addc_co_u32_e32 v14, vcc, v68, v14, vcc
	global_load_ubyte v15, v[13:14], off offset:192
	v_mov_b32_e32 v74, s42
.LBB295_360:                            ;   in Loop: Header=BB295_350 Depth=2
	s_or_b64 exec, exec, s[40:41]
	s_waitcnt vmcnt(0)
	v_xor_b32_e32 v17, 0x7f, v4
	v_lshrrev_b32_sdwa v4, s69, v17 dst_sel:DWORD dst_unused:UNUSED_PAD src0_sel:DWORD src1_sel:BYTE_0
	v_and_b32_e32 v13, s58, v4
	v_and_b32_e32 v4, 1, v13
	v_add_co_u32_e32 v14, vcc, -1, v4
	v_addc_co_u32_e64 v75, s[38:39], 0, -1, vcc
	v_cmp_ne_u32_e32 vcc, 0, v4
	v_xor_b32_e32 v4, vcc_hi, v75
	v_and_b32_e32 v75, exec_hi, v4
	v_lshlrev_b32_e32 v4, 30, v13
	v_xor_b32_e32 v14, vcc_lo, v14
	v_cmp_gt_i64_e32 vcc, 0, v[3:4]
	v_not_b32_e32 v4, v4
	v_ashrrev_i32_e32 v4, 31, v4
	v_and_b32_e32 v14, exec_lo, v14
	v_xor_b32_e32 v78, vcc_hi, v4
	v_xor_b32_e32 v4, vcc_lo, v4
	v_and_b32_e32 v14, v14, v4
	v_lshlrev_b32_e32 v4, 29, v13
	v_cmp_gt_i64_e32 vcc, 0, v[3:4]
	v_not_b32_e32 v4, v4
	v_ashrrev_i32_e32 v4, 31, v4
	v_and_b32_e32 v75, v75, v78
	v_xor_b32_e32 v78, vcc_hi, v4
	v_xor_b32_e32 v4, vcc_lo, v4
	v_and_b32_e32 v14, v14, v4
	v_lshlrev_b32_e32 v4, 28, v13
	v_cmp_gt_i64_e32 vcc, 0, v[3:4]
	v_not_b32_e32 v4, v4
	v_ashrrev_i32_e32 v4, 31, v4
	v_and_b32_e32 v75, v75, v78
	;; [unrolled: 8-line block ×5, first 2 shown]
	v_xor_b32_e32 v78, vcc_hi, v4
	v_xor_b32_e32 v4, vcc_lo, v4
	v_and_b32_e32 v75, v75, v78
	v_and_b32_e32 v78, v14, v4
	v_lshlrev_b32_e32 v4, 24, v13
	v_cmp_gt_i64_e32 vcc, 0, v[3:4]
	v_not_b32_e32 v4, v4
	v_ashrrev_i32_e32 v4, 31, v4
	v_mul_u32_u24_e32 v77, 20, v13
	v_xor_b32_e32 v13, vcc_hi, v4
	v_xor_b32_e32 v4, vcc_lo, v4
	v_and_b32_e32 v14, v75, v13
	v_and_b32_e32 v13, v78, v4
	v_mbcnt_lo_u32_b32 v4, v13, 0
	v_mbcnt_hi_u32_b32 v75, v14, v4
	v_cmp_ne_u64_e32 vcc, 0, v[13:14]
	v_cmp_eq_u32_e64 s[38:39], 0, v75
	s_and_b64 s[40:41], vcc, s[38:39]
	v_add_u32_e32 v78, v71, v77
	ds_write2_b32 v53, v3, v3 offset1:1
	ds_write2_b32 v54, v3, v3 offset1:1
	ds_write_b32 v50, v3 offset:1056
	s_waitcnt lgkmcnt(0)
	s_barrier
	; wave barrier
	s_and_saveexec_b64 s[38:39], s[40:41]
; %bb.361:                              ;   in Loop: Header=BB295_350 Depth=2
	v_bcnt_u32_b32 v4, v13, 0
	v_bcnt_u32_b32 v4, v14, v4
	ds_write_b32 v78, v4 offset:1040
; %bb.362:                              ;   in Loop: Header=BB295_350 Depth=2
	s_or_b64 exec, exec, s[38:39]
	v_xor_b32_e32 v76, 0x7f, v76
	v_lshrrev_b32_sdwa v4, s69, v76 dst_sel:DWORD dst_unused:UNUSED_PAD src0_sel:DWORD src1_sel:BYTE_0
	v_and_b32_e32 v13, s58, v4
	v_mad_u32_u24 v4, v13, 20, v71
	; wave barrier
	ds_read_b32 v77, v4 offset:1040
	v_and_b32_e32 v4, 1, v13
	v_add_co_u32_e32 v14, vcc, -1, v4
	v_addc_co_u32_e64 v79, s[38:39], 0, -1, vcc
	v_cmp_ne_u32_e32 vcc, 0, v4
	v_xor_b32_e32 v4, vcc_hi, v79
	v_and_b32_e32 v79, exec_hi, v4
	v_lshlrev_b32_e32 v4, 30, v13
	v_xor_b32_e32 v14, vcc_lo, v14
	v_cmp_gt_i64_e32 vcc, 0, v[3:4]
	v_not_b32_e32 v4, v4
	v_ashrrev_i32_e32 v4, 31, v4
	v_and_b32_e32 v14, exec_lo, v14
	v_xor_b32_e32 v81, vcc_hi, v4
	v_xor_b32_e32 v4, vcc_lo, v4
	v_and_b32_e32 v14, v14, v4
	v_lshlrev_b32_e32 v4, 29, v13
	v_cmp_gt_i64_e32 vcc, 0, v[3:4]
	v_not_b32_e32 v4, v4
	v_ashrrev_i32_e32 v4, 31, v4
	v_and_b32_e32 v79, v79, v81
	v_xor_b32_e32 v81, vcc_hi, v4
	v_xor_b32_e32 v4, vcc_lo, v4
	v_and_b32_e32 v14, v14, v4
	v_lshlrev_b32_e32 v4, 28, v13
	v_cmp_gt_i64_e32 vcc, 0, v[3:4]
	v_not_b32_e32 v4, v4
	v_ashrrev_i32_e32 v4, 31, v4
	v_and_b32_e32 v79, v79, v81
	;; [unrolled: 8-line block ×5, first 2 shown]
	v_xor_b32_e32 v81, vcc_hi, v4
	v_xor_b32_e32 v4, vcc_lo, v4
	v_and_b32_e32 v79, v79, v81
	v_and_b32_e32 v81, v14, v4
	v_lshlrev_b32_e32 v4, 24, v13
	v_cmp_gt_i64_e32 vcc, 0, v[3:4]
	v_not_b32_e32 v4, v4
	v_ashrrev_i32_e32 v4, 31, v4
	v_mul_u32_u24_e32 v80, 20, v13
	v_xor_b32_e32 v13, vcc_hi, v4
	v_xor_b32_e32 v4, vcc_lo, v4
	v_and_b32_e32 v14, v79, v13
	v_and_b32_e32 v13, v81, v4
	v_mbcnt_lo_u32_b32 v4, v13, 0
	v_mbcnt_hi_u32_b32 v79, v14, v4
	v_cmp_ne_u64_e32 vcc, 0, v[13:14]
	v_cmp_eq_u32_e64 s[38:39], 0, v79
	s_and_b64 s[40:41], vcc, s[38:39]
	v_add_u32_e32 v82, v71, v80
	; wave barrier
	s_and_saveexec_b64 s[38:39], s[40:41]
	s_cbranch_execz .LBB295_364
; %bb.363:                              ;   in Loop: Header=BB295_350 Depth=2
	v_bcnt_u32_b32 v4, v13, 0
	v_bcnt_u32_b32 v4, v14, v4
	s_waitcnt lgkmcnt(0)
	v_add_u32_e32 v4, v77, v4
	ds_write_b32 v82, v4 offset:1040
.LBB295_364:                            ;   in Loop: Header=BB295_350 Depth=2
	s_or_b64 exec, exec, s[38:39]
	v_xor_b32_e32 v80, 0x7f, v16
	v_lshrrev_b32_sdwa v4, s69, v80 dst_sel:DWORD dst_unused:UNUSED_PAD src0_sel:DWORD src1_sel:BYTE_0
	v_and_b32_e32 v13, s58, v4
	v_mad_u32_u24 v4, v13, 20, v71
	; wave barrier
	ds_read_b32 v81, v4 offset:1040
	v_and_b32_e32 v4, 1, v13
	v_add_co_u32_e32 v14, vcc, -1, v4
	v_addc_co_u32_e64 v83, s[38:39], 0, -1, vcc
	v_cmp_ne_u32_e32 vcc, 0, v4
	v_xor_b32_e32 v4, vcc_hi, v83
	v_and_b32_e32 v83, exec_hi, v4
	v_lshlrev_b32_e32 v4, 30, v13
	v_xor_b32_e32 v14, vcc_lo, v14
	v_cmp_gt_i64_e32 vcc, 0, v[3:4]
	v_not_b32_e32 v4, v4
	v_ashrrev_i32_e32 v4, 31, v4
	v_and_b32_e32 v14, exec_lo, v14
	v_xor_b32_e32 v84, vcc_hi, v4
	v_xor_b32_e32 v4, vcc_lo, v4
	v_and_b32_e32 v14, v14, v4
	v_lshlrev_b32_e32 v4, 29, v13
	v_cmp_gt_i64_e32 vcc, 0, v[3:4]
	v_not_b32_e32 v4, v4
	v_ashrrev_i32_e32 v4, 31, v4
	v_and_b32_e32 v83, v83, v84
	v_xor_b32_e32 v84, vcc_hi, v4
	v_xor_b32_e32 v4, vcc_lo, v4
	v_and_b32_e32 v14, v14, v4
	v_lshlrev_b32_e32 v4, 28, v13
	v_cmp_gt_i64_e32 vcc, 0, v[3:4]
	v_not_b32_e32 v4, v4
	v_ashrrev_i32_e32 v4, 31, v4
	v_and_b32_e32 v83, v83, v84
	;; [unrolled: 8-line block ×5, first 2 shown]
	v_xor_b32_e32 v84, vcc_hi, v4
	v_xor_b32_e32 v4, vcc_lo, v4
	v_and_b32_e32 v83, v83, v84
	v_and_b32_e32 v84, v14, v4
	v_lshlrev_b32_e32 v4, 24, v13
	v_cmp_gt_i64_e32 vcc, 0, v[3:4]
	v_not_b32_e32 v4, v4
	v_ashrrev_i32_e32 v4, 31, v4
	v_mul_u32_u24_e32 v16, 20, v13
	v_xor_b32_e32 v13, vcc_hi, v4
	v_xor_b32_e32 v4, vcc_lo, v4
	v_and_b32_e32 v14, v83, v13
	v_and_b32_e32 v13, v84, v4
	v_mbcnt_lo_u32_b32 v4, v13, 0
	v_mbcnt_hi_u32_b32 v83, v14, v4
	v_cmp_ne_u64_e32 vcc, 0, v[13:14]
	v_cmp_eq_u32_e64 s[38:39], 0, v83
	s_and_b64 s[40:41], vcc, s[38:39]
	v_add_u32_e32 v86, v71, v16
	; wave barrier
	s_and_saveexec_b64 s[38:39], s[40:41]
	s_cbranch_execz .LBB295_366
; %bb.365:                              ;   in Loop: Header=BB295_350 Depth=2
	v_bcnt_u32_b32 v4, v13, 0
	v_bcnt_u32_b32 v4, v14, v4
	s_waitcnt lgkmcnt(0)
	v_add_u32_e32 v4, v81, v4
	ds_write_b32 v86, v4 offset:1040
.LBB295_366:                            ;   in Loop: Header=BB295_350 Depth=2
	s_or_b64 exec, exec, s[38:39]
	v_xor_b32_e32 v84, 0x7f, v15
	v_lshrrev_b32_sdwa v4, s69, v84 dst_sel:DWORD dst_unused:UNUSED_PAD src0_sel:DWORD src1_sel:BYTE_0
	v_and_b32_e32 v13, s58, v4
	v_mad_u32_u24 v4, v13, 20, v71
	; wave barrier
	ds_read_b32 v85, v4 offset:1040
	v_and_b32_e32 v4, 1, v13
	v_add_co_u32_e32 v14, vcc, -1, v4
	v_addc_co_u32_e64 v16, s[38:39], 0, -1, vcc
	v_cmp_ne_u32_e32 vcc, 0, v4
	v_xor_b32_e32 v4, vcc_hi, v16
	v_and_b32_e32 v16, exec_hi, v4
	v_lshlrev_b32_e32 v4, 30, v13
	v_xor_b32_e32 v14, vcc_lo, v14
	v_cmp_gt_i64_e32 vcc, 0, v[3:4]
	v_not_b32_e32 v4, v4
	v_ashrrev_i32_e32 v4, 31, v4
	v_and_b32_e32 v14, exec_lo, v14
	v_xor_b32_e32 v87, vcc_hi, v4
	v_xor_b32_e32 v4, vcc_lo, v4
	v_and_b32_e32 v14, v14, v4
	v_lshlrev_b32_e32 v4, 29, v13
	v_cmp_gt_i64_e32 vcc, 0, v[3:4]
	v_not_b32_e32 v4, v4
	v_ashrrev_i32_e32 v4, 31, v4
	v_and_b32_e32 v16, v16, v87
	v_xor_b32_e32 v87, vcc_hi, v4
	v_xor_b32_e32 v4, vcc_lo, v4
	v_and_b32_e32 v14, v14, v4
	v_lshlrev_b32_e32 v4, 28, v13
	v_cmp_gt_i64_e32 vcc, 0, v[3:4]
	v_not_b32_e32 v4, v4
	v_ashrrev_i32_e32 v4, 31, v4
	v_and_b32_e32 v16, v16, v87
	;; [unrolled: 8-line block ×5, first 2 shown]
	v_xor_b32_e32 v87, vcc_hi, v4
	v_xor_b32_e32 v4, vcc_lo, v4
	v_and_b32_e32 v16, v16, v87
	v_and_b32_e32 v87, v14, v4
	v_lshlrev_b32_e32 v4, 24, v13
	v_cmp_gt_i64_e32 vcc, 0, v[3:4]
	v_not_b32_e32 v4, v4
	v_ashrrev_i32_e32 v4, 31, v4
	v_mul_u32_u24_e32 v15, 20, v13
	v_xor_b32_e32 v13, vcc_hi, v4
	v_xor_b32_e32 v4, vcc_lo, v4
	v_and_b32_e32 v14, v16, v13
	v_and_b32_e32 v13, v87, v4
	v_mbcnt_lo_u32_b32 v4, v13, 0
	v_mbcnt_hi_u32_b32 v4, v14, v4
	v_cmp_ne_u64_e32 vcc, 0, v[13:14]
	v_cmp_eq_u32_e64 s[38:39], 0, v4
	s_and_b64 s[40:41], vcc, s[38:39]
	v_add_u32_e32 v87, v71, v15
	; wave barrier
	s_and_saveexec_b64 s[38:39], s[40:41]
	s_cbranch_execz .LBB295_368
; %bb.367:                              ;   in Loop: Header=BB295_350 Depth=2
	v_bcnt_u32_b32 v13, v13, 0
	v_bcnt_u32_b32 v13, v14, v13
	s_waitcnt lgkmcnt(0)
	v_add_u32_e32 v13, v85, v13
	ds_write_b32 v87, v13 offset:1040
.LBB295_368:                            ;   in Loop: Header=BB295_350 Depth=2
	s_or_b64 exec, exec, s[38:39]
	; wave barrier
	s_waitcnt lgkmcnt(0)
	s_barrier
	ds_read2_b32 v[15:16], v53 offset1:1
	ds_read2_b32 v[13:14], v54 offset1:1
	ds_read_b32 v88, v50 offset:1056
	s_waitcnt lgkmcnt(1)
	v_add3_u32 v89, v16, v15, v13
	s_waitcnt lgkmcnt(0)
	v_add3_u32 v88, v89, v14, v88
	s_nop 1
	v_mov_b32_dpp v89, v88 row_shr:1 row_mask:0xf bank_mask:0xf
	v_cndmask_b32_e64 v89, v89, 0, s[18:19]
	v_add_u32_e32 v88, v89, v88
	s_nop 1
	v_mov_b32_dpp v89, v88 row_shr:2 row_mask:0xf bank_mask:0xf
	v_cndmask_b32_e64 v89, 0, v89, s[20:21]
	v_add_u32_e32 v88, v88, v89
	;; [unrolled: 4-line block ×4, first 2 shown]
	s_nop 1
	v_mov_b32_dpp v89, v88 row_bcast:15 row_mask:0xf bank_mask:0xf
	v_cndmask_b32_e64 v89, v89, 0, s[26:27]
	v_add_u32_e32 v88, v88, v89
	s_nop 1
	v_mov_b32_dpp v89, v88 row_bcast:31 row_mask:0xf bank_mask:0xf
	v_cndmask_b32_e64 v89, 0, v89, s[28:29]
	v_add_u32_e32 v88, v88, v89
	s_and_saveexec_b64 s[38:39], s[8:9]
; %bb.369:                              ;   in Loop: Header=BB295_350 Depth=2
	ds_write_b32 v26, v88 offset:1024
; %bb.370:                              ;   in Loop: Header=BB295_350 Depth=2
	s_or_b64 exec, exec, s[38:39]
	s_waitcnt lgkmcnt(0)
	s_barrier
	s_and_saveexec_b64 s[38:39], s[10:11]
	s_cbranch_execz .LBB295_372
; %bb.371:                              ;   in Loop: Header=BB295_350 Depth=2
	v_add_u32_e32 v89, v50, v28
	ds_read_b32 v90, v89 offset:1024
	s_waitcnt lgkmcnt(0)
	s_nop 0
	v_mov_b32_dpp v91, v90 row_shr:1 row_mask:0xf bank_mask:0xf
	v_cndmask_b32_e64 v91, v91, 0, s[34:35]
	v_add_u32_e32 v90, v91, v90
	s_nop 1
	v_mov_b32_dpp v91, v90 row_shr:2 row_mask:0xf bank_mask:0xf
	v_cndmask_b32_e64 v91, 0, v91, s[36:37]
	v_add_u32_e32 v90, v90, v91
	ds_write_b32 v89, v90 offset:1024
.LBB295_372:                            ;   in Loop: Header=BB295_350 Depth=2
	s_or_b64 exec, exec, s[38:39]
	v_mov_b32_e32 v89, 0
	s_waitcnt lgkmcnt(0)
	s_barrier
	s_and_saveexec_b64 s[38:39], s[12:13]
; %bb.373:                              ;   in Loop: Header=BB295_350 Depth=2
	ds_read_b32 v89, v26 offset:1020
; %bb.374:                              ;   in Loop: Header=BB295_350 Depth=2
	s_or_b64 exec, exec, s[38:39]
	s_waitcnt lgkmcnt(0)
	v_add_u32_e32 v88, v89, v88
	ds_bpermute_b32 v88, v64, v88
	s_waitcnt lgkmcnt(0)
	v_cndmask_b32_e64 v88, v88, v89, s[30:31]
	v_cndmask_b32_e64 v88, v88, 0, s[14:15]
	v_add_u32_e32 v15, v88, v15
	v_add_u32_e32 v16, v15, v16
	;; [unrolled: 1-line block ×4, first 2 shown]
	ds_write2_b32 v53, v88, v15 offset1:1
	ds_write2_b32 v54, v16, v13 offset1:1
	ds_write_b32 v50, v14 offset:1056
	s_waitcnt lgkmcnt(0)
	s_barrier
	ds_read_b32 v13, v78 offset:1040
	ds_read_b32 v14, v82 offset:1040
	;; [unrolled: 1-line block ×5, first 2 shown]
	v_mov_b32_e32 v78, 0x400
	s_and_saveexec_b64 s[38:39], s[16:17]
; %bb.375:                              ;   in Loop: Header=BB295_350 Depth=2
	ds_read_b32 v78, v50 offset:1060
; %bb.376:                              ;   in Loop: Header=BB295_350 Depth=2
	s_or_b64 exec, exec, s[38:39]
	s_waitcnt lgkmcnt(0)
	s_barrier
	s_and_saveexec_b64 s[38:39], s[4:5]
	s_cbranch_execz .LBB295_378
; %bb.377:                              ;   in Loop: Header=BB295_350 Depth=2
	ds_read_b32 v86, v18
	s_waitcnt lgkmcnt(0)
	v_sub_u32_e32 v15, v86, v15
	ds_write_b32 v18, v15
.LBB295_378:                            ;   in Loop: Header=BB295_350 Depth=2
	s_or_b64 exec, exec, s[38:39]
	v_add_u32_e32 v15, v13, v75
	v_add3_u32 v14, v79, v77, v14
	v_add3_u32 v13, v83, v81, v16
	;; [unrolled: 1-line block ×3, first 2 shown]
	v_cmp_lt_u32_e64 s[42:43], v0, v74
	ds_write_b8 v15, v17 offset:1024
	ds_write_b8 v14, v76 offset:1024
	;; [unrolled: 1-line block ×4, first 2 shown]
	s_waitcnt lgkmcnt(0)
	s_barrier
	s_and_saveexec_b64 s[38:39], s[42:43]
	s_cbranch_execnz .LBB295_399
; %bb.379:                              ;   in Loop: Header=BB295_350 Depth=2
	s_or_b64 exec, exec, s[38:39]
	v_cmp_lt_u32_e64 s[40:41], v19, v74
	s_and_saveexec_b64 s[38:39], s[40:41]
	s_cbranch_execnz .LBB295_400
.LBB295_380:                            ;   in Loop: Header=BB295_350 Depth=2
	s_or_b64 exec, exec, s[38:39]
	v_cmp_lt_u32_e64 s[38:39], v20, v74
	s_and_saveexec_b64 s[44:45], s[38:39]
	s_cbranch_execnz .LBB295_401
.LBB295_381:                            ;   in Loop: Header=BB295_350 Depth=2
	s_or_b64 exec, exec, s[44:45]
	v_cmp_lt_u32_e32 vcc, v21, v74
	s_and_saveexec_b64 s[44:45], vcc
	s_cbranch_execz .LBB295_383
.LBB295_382:                            ;   in Loop: Header=BB295_350 Depth=2
	ds_read_u8 v16, v0 offset:1792
	s_waitcnt lgkmcnt(0)
	v_lshrrev_b32_sdwa v17, s69, v16 dst_sel:DWORD dst_unused:UNUSED_PAD src0_sel:DWORD src1_sel:BYTE_0
	v_and_b32_e32 v17, s58, v17
	v_lshlrev_b32_e32 v17, 2, v17
	ds_read_b32 v17, v17
	v_xor_b32_e32 v16, 0x7f, v16
	s_waitcnt lgkmcnt(0)
	v_add_u32_e32 v17, v17, v21
	global_store_byte v17, v16, s[52:53]
.LBB295_383:                            ;   in Loop: Header=BB295_350 Depth=2
	s_or_b64 exec, exec, s[44:45]
	s_lshl_b64 s[44:45], s[56:57], 3
	v_mov_b32_e32 v17, s45
	v_add_co_u32_e64 v16, s[44:45], s44, v65
	v_addc_co_u32_e64 v17, s[44:45], v66, v17, s[44:45]
	v_cmp_lt_u32_e64 s[44:45], v47, v74
	s_and_saveexec_b64 s[54:55], s[44:45]
	s_xor_b64 s[44:45], exec, s[54:55]
	s_cbranch_execnz .LBB295_402
; %bb.384:                              ;   in Loop: Header=BB295_350 Depth=2
	s_or_b64 exec, exec, s[44:45]
	v_cmp_lt_u32_e64 s[44:45], v61, v74
	s_and_saveexec_b64 s[54:55], s[44:45]
	s_cbranch_execnz .LBB295_403
.LBB295_385:                            ;   in Loop: Header=BB295_350 Depth=2
	s_or_b64 exec, exec, s[54:55]
	v_cmp_lt_u32_e64 s[44:45], v62, v74
	s_and_saveexec_b64 s[54:55], s[44:45]
	s_cbranch_execnz .LBB295_404
.LBB295_386:                            ;   in Loop: Header=BB295_350 Depth=2
	s_or_b64 exec, exec, s[54:55]
	v_cmp_lt_u32_e64 s[44:45], v63, v74
	s_and_saveexec_b64 s[54:55], s[44:45]
	s_cbranch_execnz .LBB295_405
.LBB295_387:                            ;   in Loop: Header=BB295_350 Depth=2
	s_or_b64 exec, exec, s[54:55]
	s_and_saveexec_b64 s[44:45], s[42:43]
	s_cbranch_execnz .LBB295_406
.LBB295_388:                            ;   in Loop: Header=BB295_350 Depth=2
	s_or_b64 exec, exec, s[44:45]
	s_and_saveexec_b64 s[44:45], s[40:41]
	s_cbranch_execnz .LBB295_407
.LBB295_389:                            ;   in Loop: Header=BB295_350 Depth=2
	s_or_b64 exec, exec, s[44:45]
	s_and_saveexec_b64 s[44:45], s[38:39]
	s_cbranch_execnz .LBB295_408
.LBB295_390:                            ;   in Loop: Header=BB295_350 Depth=2
	s_or_b64 exec, exec, s[44:45]
	s_and_saveexec_b64 s[44:45], vcc
	s_cbranch_execz .LBB295_392
.LBB295_391:                            ;   in Loop: Header=BB295_350 Depth=2
	ds_read_u8 v16, v0 offset:1792
	s_waitcnt lgkmcnt(0)
	v_lshrrev_b32_e32 v16, s69, v16
	v_and_b32_e32 v69, s58, v16
.LBB295_392:                            ;   in Loop: Header=BB295_350 Depth=2
	s_or_b64 exec, exec, s[44:45]
	v_mad_u64_u32 v[15:16], s[44:45], v15, 7, v[15:16]
	s_waitcnt vmcnt(0)
	v_mad_u64_u32 v[74:75], s[44:45], v4, 7, v[4:5]
	v_mad_u64_u32 v[16:17], s[44:45], v14, 7, v[14:15]
	;; [unrolled: 1-line block ×3, first 2 shown]
	v_add_u32_e32 v4, v0, v51
	s_barrier
	ds_write_b64 v15, v[11:12] offset:1024
	ds_write_b64 v16, v[9:10] offset:1024
	;; [unrolled: 1-line block ×4, first 2 shown]
	s_waitcnt lgkmcnt(0)
	s_barrier
	s_and_saveexec_b64 s[44:45], s[42:43]
	s_cbranch_execnz .LBB295_409
; %bb.393:                              ;   in Loop: Header=BB295_350 Depth=2
	s_or_b64 exec, exec, s[44:45]
	s_and_saveexec_b64 s[42:43], s[40:41]
	s_cbranch_execnz .LBB295_410
.LBB295_394:                            ;   in Loop: Header=BB295_350 Depth=2
	s_or_b64 exec, exec, s[42:43]
	s_and_saveexec_b64 s[40:41], s[38:39]
	s_cbranch_execnz .LBB295_411
.LBB295_395:                            ;   in Loop: Header=BB295_350 Depth=2
	s_or_b64 exec, exec, s[40:41]
	s_and_saveexec_b64 s[38:39], vcc
	s_cbranch_execz .LBB295_397
.LBB295_396:                            ;   in Loop: Header=BB295_350 Depth=2
	v_lshlrev_b32_e32 v13, 2, v69
	ds_read_b32 v15, v13
	ds_read_b64 v[13:14], v4 offset:7168
	v_mov_b32_e32 v16, v3
	v_mov_b32_e32 v4, s67
	s_waitcnt lgkmcnt(1)
	v_add_u32_e32 v15, v15, v21
	v_lshlrev_b64 v[15:16], 3, v[15:16]
	v_add_co_u32_e32 v15, vcc, s66, v15
	v_addc_co_u32_e32 v16, vcc, v4, v16, vcc
	s_waitcnt lgkmcnt(0)
	global_store_dwordx2 v[15:16], v[13:14], off
.LBB295_397:                            ;   in Loop: Header=BB295_350 Depth=2
	s_or_b64 exec, exec, s[38:39]
	s_waitcnt vmcnt(0)
	s_barrier
	s_and_saveexec_b64 s[38:39], s[4:5]
	s_cbranch_execz .LBB295_349
; %bb.398:                              ;   in Loop: Header=BB295_350 Depth=2
	ds_read_b32 v4, v18
	s_waitcnt lgkmcnt(0)
	v_add_u32_e32 v4, v4, v78
	ds_write_b32 v18, v4
	s_branch .LBB295_349
.LBB295_399:                            ;   in Loop: Header=BB295_350 Depth=2
	ds_read_u8 v16, v0 offset:1024
	s_waitcnt lgkmcnt(0)
	v_lshrrev_b32_sdwa v17, s69, v16 dst_sel:DWORD dst_unused:UNUSED_PAD src0_sel:DWORD src1_sel:BYTE_0
	v_and_b32_e32 v17, s58, v17
	v_lshlrev_b32_e32 v17, 2, v17
	ds_read_b32 v17, v17
	v_xor_b32_e32 v16, 0x7f, v16
	s_waitcnt lgkmcnt(0)
	v_add_u32_e32 v17, v17, v0
	global_store_byte v17, v16, s[52:53]
	s_or_b64 exec, exec, s[38:39]
	v_cmp_lt_u32_e64 s[40:41], v19, v74
	s_and_saveexec_b64 s[38:39], s[40:41]
	s_cbranch_execz .LBB295_380
.LBB295_400:                            ;   in Loop: Header=BB295_350 Depth=2
	ds_read_u8 v16, v0 offset:1280
	s_waitcnt lgkmcnt(0)
	v_lshrrev_b32_sdwa v17, s69, v16 dst_sel:DWORD dst_unused:UNUSED_PAD src0_sel:DWORD src1_sel:BYTE_0
	v_and_b32_e32 v17, s58, v17
	v_lshlrev_b32_e32 v17, 2, v17
	ds_read_b32 v17, v17
	v_xor_b32_e32 v16, 0x7f, v16
	s_waitcnt lgkmcnt(0)
	v_add_u32_e32 v17, v17, v19
	global_store_byte v17, v16, s[52:53]
	s_or_b64 exec, exec, s[38:39]
	v_cmp_lt_u32_e64 s[38:39], v20, v74
	s_and_saveexec_b64 s[44:45], s[38:39]
	s_cbranch_execz .LBB295_381
.LBB295_401:                            ;   in Loop: Header=BB295_350 Depth=2
	ds_read_u8 v16, v0 offset:1536
	s_waitcnt lgkmcnt(0)
	v_lshrrev_b32_sdwa v17, s69, v16 dst_sel:DWORD dst_unused:UNUSED_PAD src0_sel:DWORD src1_sel:BYTE_0
	v_and_b32_e32 v17, s58, v17
	v_lshlrev_b32_e32 v17, 2, v17
	ds_read_b32 v17, v17
	v_xor_b32_e32 v16, 0x7f, v16
	s_waitcnt lgkmcnt(0)
	v_add_u32_e32 v17, v17, v20
	global_store_byte v17, v16, s[52:53]
	s_or_b64 exec, exec, s[44:45]
	v_cmp_lt_u32_e32 vcc, v21, v74
	s_and_saveexec_b64 s[44:45], vcc
	s_cbranch_execnz .LBB295_382
	s_branch .LBB295_383
.LBB295_402:                            ;   in Loop: Header=BB295_350 Depth=2
	global_load_dwordx2 v[11:12], v[16:17], off
	s_or_b64 exec, exec, s[44:45]
	v_cmp_lt_u32_e64 s[44:45], v61, v74
	s_and_saveexec_b64 s[54:55], s[44:45]
	s_cbranch_execz .LBB295_385
.LBB295_403:                            ;   in Loop: Header=BB295_350 Depth=2
	global_load_dwordx2 v[9:10], v[16:17], off offset:512
	s_or_b64 exec, exec, s[54:55]
	v_cmp_lt_u32_e64 s[44:45], v62, v74
	s_and_saveexec_b64 s[54:55], s[44:45]
	s_cbranch_execz .LBB295_386
.LBB295_404:                            ;   in Loop: Header=BB295_350 Depth=2
	global_load_dwordx2 v[7:8], v[16:17], off offset:1024
	s_or_b64 exec, exec, s[54:55]
	v_cmp_lt_u32_e64 s[44:45], v63, v74
	s_and_saveexec_b64 s[54:55], s[44:45]
	s_cbranch_execz .LBB295_387
.LBB295_405:                            ;   in Loop: Header=BB295_350 Depth=2
	global_load_dwordx2 v[5:6], v[16:17], off offset:1536
	s_or_b64 exec, exec, s[54:55]
	s_and_saveexec_b64 s[44:45], s[42:43]
	s_cbranch_execz .LBB295_388
.LBB295_406:                            ;   in Loop: Header=BB295_350 Depth=2
	ds_read_u8 v16, v0 offset:1024
	s_waitcnt lgkmcnt(0)
	v_lshrrev_b32_e32 v16, s69, v16
	v_and_b32_e32 v73, s58, v16
	s_or_b64 exec, exec, s[44:45]
	s_and_saveexec_b64 s[44:45], s[40:41]
	s_cbranch_execz .LBB295_389
.LBB295_407:                            ;   in Loop: Header=BB295_350 Depth=2
	ds_read_u8 v16, v0 offset:1280
	s_waitcnt lgkmcnt(0)
	v_lshrrev_b32_e32 v16, s69, v16
	v_and_b32_e32 v72, s58, v16
	s_or_b64 exec, exec, s[44:45]
	s_and_saveexec_b64 s[44:45], s[38:39]
	s_cbranch_execz .LBB295_390
.LBB295_408:                            ;   in Loop: Header=BB295_350 Depth=2
	ds_read_u8 v16, v0 offset:1536
	s_waitcnt lgkmcnt(0)
	v_lshrrev_b32_e32 v16, s69, v16
	v_and_b32_e32 v70, s58, v16
	s_or_b64 exec, exec, s[44:45]
	s_and_saveexec_b64 s[44:45], vcc
	s_cbranch_execnz .LBB295_391
	s_branch .LBB295_392
.LBB295_409:                            ;   in Loop: Header=BB295_350 Depth=2
	v_lshlrev_b32_e32 v13, 2, v73
	ds_read_b32 v15, v13
	ds_read_b64 v[13:14], v4 offset:1024
	v_mov_b32_e32 v16, v3
	v_mov_b32_e32 v17, s67
	s_waitcnt lgkmcnt(1)
	v_add_u32_e32 v15, v15, v0
	v_lshlrev_b64 v[15:16], 3, v[15:16]
	v_add_co_u32_e64 v15, s[42:43], s66, v15
	v_addc_co_u32_e64 v16, s[42:43], v17, v16, s[42:43]
	s_waitcnt lgkmcnt(0)
	global_store_dwordx2 v[15:16], v[13:14], off
	s_or_b64 exec, exec, s[44:45]
	s_and_saveexec_b64 s[42:43], s[40:41]
	s_cbranch_execz .LBB295_394
.LBB295_410:                            ;   in Loop: Header=BB295_350 Depth=2
	v_lshlrev_b32_e32 v13, 2, v72
	ds_read_b32 v15, v13
	ds_read_b64 v[13:14], v4 offset:3072
	v_mov_b32_e32 v16, v3
	v_mov_b32_e32 v17, s67
	s_waitcnt lgkmcnt(1)
	v_add_u32_e32 v15, v15, v19
	v_lshlrev_b64 v[15:16], 3, v[15:16]
	v_add_co_u32_e64 v15, s[40:41], s66, v15
	v_addc_co_u32_e64 v16, s[40:41], v17, v16, s[40:41]
	s_waitcnt lgkmcnt(0)
	global_store_dwordx2 v[15:16], v[13:14], off
	s_or_b64 exec, exec, s[42:43]
	s_and_saveexec_b64 s[40:41], s[38:39]
	s_cbranch_execz .LBB295_395
.LBB295_411:                            ;   in Loop: Header=BB295_350 Depth=2
	v_lshlrev_b32_e32 v13, 2, v70
	ds_read_b32 v15, v13
	ds_read_b64 v[13:14], v4 offset:5120
	v_mov_b32_e32 v16, v3
	v_mov_b32_e32 v17, s67
	s_waitcnt lgkmcnt(1)
	v_add_u32_e32 v15, v15, v20
	v_lshlrev_b64 v[15:16], 3, v[15:16]
	v_add_co_u32_e64 v15, s[38:39], s66, v15
	v_addc_co_u32_e64 v16, s[38:39], v17, v16, s[38:39]
	s_waitcnt lgkmcnt(0)
	global_store_dwordx2 v[15:16], v[13:14], off
	s_or_b64 exec, exec, s[40:41]
	s_and_saveexec_b64 s[38:39], vcc
	s_cbranch_execnz .LBB295_396
	s_branch .LBB295_397
.LBB295_412:                            ;   in Loop: Header=BB295_350 Depth=2
	global_load_ubyte v4, v[13:14], off
	v_mov_b32_e32 v15, 0x80
	v_mov_b32_e32 v76, 0x80
	;; [unrolled: 1-line block ×3, first 2 shown]
	s_or_b64 exec, exec, s[38:39]
	v_cmp_gt_u32_e32 vcc, s59, v61
	s_and_saveexec_b64 s[38:39], vcc
	s_cbranch_execz .LBB295_355
.LBB295_413:                            ;   in Loop: Header=BB295_350 Depth=2
	global_load_ubyte v76, v[13:14], off offset:64
	s_or_b64 exec, exec, s[38:39]
	v_cmp_gt_u32_e32 vcc, s59, v62
	s_and_saveexec_b64 s[38:39], vcc
	s_cbranch_execnz .LBB295_356
	s_branch .LBB295_357
.LBB295_414:
	s_endpgm
	.section	.rodata,"a",@progbits
	.p2align	6, 0x0
	.amdhsa_kernel _ZN7rocprim17ROCPRIM_400000_NS6detail17trampoline_kernelINS0_14default_configENS1_36segmented_radix_sort_config_selectorIalEEZNS1_25segmented_radix_sort_implIS3_Lb1EPKaPaPKlPlN2at6native12_GLOBAL__N_18offset_tEEE10hipError_tPvRmT1_PNSt15iterator_traitsISK_E10value_typeET2_T3_PNSL_ISQ_E10value_typeET4_jRbjT5_SW_jjP12ihipStream_tbEUlT_E_NS1_11comp_targetILNS1_3genE2ELNS1_11target_archE906ELNS1_3gpuE6ELNS1_3repE0EEENS1_30default_config_static_selectorELNS0_4arch9wavefront6targetE1EEEvSK_
		.amdhsa_group_segment_fixed_size 9232
		.amdhsa_private_segment_fixed_size 0
		.amdhsa_kernarg_size 352
		.amdhsa_user_sgpr_count 6
		.amdhsa_user_sgpr_private_segment_buffer 1
		.amdhsa_user_sgpr_dispatch_ptr 0
		.amdhsa_user_sgpr_queue_ptr 0
		.amdhsa_user_sgpr_kernarg_segment_ptr 1
		.amdhsa_user_sgpr_dispatch_id 0
		.amdhsa_user_sgpr_flat_scratch_init 0
		.amdhsa_user_sgpr_private_segment_size 0
		.amdhsa_uses_dynamic_stack 0
		.amdhsa_system_sgpr_private_segment_wavefront_offset 0
		.amdhsa_system_sgpr_workgroup_id_x 1
		.amdhsa_system_sgpr_workgroup_id_y 1
		.amdhsa_system_sgpr_workgroup_id_z 0
		.amdhsa_system_sgpr_workgroup_info 0
		.amdhsa_system_vgpr_workitem_id 2
		.amdhsa_next_free_vgpr 97
		.amdhsa_next_free_sgpr 77
		.amdhsa_reserve_vcc 1
		.amdhsa_reserve_flat_scratch 0
		.amdhsa_float_round_mode_32 0
		.amdhsa_float_round_mode_16_64 0
		.amdhsa_float_denorm_mode_32 3
		.amdhsa_float_denorm_mode_16_64 3
		.amdhsa_dx10_clamp 1
		.amdhsa_ieee_mode 1
		.amdhsa_fp16_overflow 0
		.amdhsa_exception_fp_ieee_invalid_op 0
		.amdhsa_exception_fp_denorm_src 0
		.amdhsa_exception_fp_ieee_div_zero 0
		.amdhsa_exception_fp_ieee_overflow 0
		.amdhsa_exception_fp_ieee_underflow 0
		.amdhsa_exception_fp_ieee_inexact 0
		.amdhsa_exception_int_div_zero 0
	.end_amdhsa_kernel
	.section	.text._ZN7rocprim17ROCPRIM_400000_NS6detail17trampoline_kernelINS0_14default_configENS1_36segmented_radix_sort_config_selectorIalEEZNS1_25segmented_radix_sort_implIS3_Lb1EPKaPaPKlPlN2at6native12_GLOBAL__N_18offset_tEEE10hipError_tPvRmT1_PNSt15iterator_traitsISK_E10value_typeET2_T3_PNSL_ISQ_E10value_typeET4_jRbjT5_SW_jjP12ihipStream_tbEUlT_E_NS1_11comp_targetILNS1_3genE2ELNS1_11target_archE906ELNS1_3gpuE6ELNS1_3repE0EEENS1_30default_config_static_selectorELNS0_4arch9wavefront6targetE1EEEvSK_,"axG",@progbits,_ZN7rocprim17ROCPRIM_400000_NS6detail17trampoline_kernelINS0_14default_configENS1_36segmented_radix_sort_config_selectorIalEEZNS1_25segmented_radix_sort_implIS3_Lb1EPKaPaPKlPlN2at6native12_GLOBAL__N_18offset_tEEE10hipError_tPvRmT1_PNSt15iterator_traitsISK_E10value_typeET2_T3_PNSL_ISQ_E10value_typeET4_jRbjT5_SW_jjP12ihipStream_tbEUlT_E_NS1_11comp_targetILNS1_3genE2ELNS1_11target_archE906ELNS1_3gpuE6ELNS1_3repE0EEENS1_30default_config_static_selectorELNS0_4arch9wavefront6targetE1EEEvSK_,comdat
.Lfunc_end295:
	.size	_ZN7rocprim17ROCPRIM_400000_NS6detail17trampoline_kernelINS0_14default_configENS1_36segmented_radix_sort_config_selectorIalEEZNS1_25segmented_radix_sort_implIS3_Lb1EPKaPaPKlPlN2at6native12_GLOBAL__N_18offset_tEEE10hipError_tPvRmT1_PNSt15iterator_traitsISK_E10value_typeET2_T3_PNSL_ISQ_E10value_typeET4_jRbjT5_SW_jjP12ihipStream_tbEUlT_E_NS1_11comp_targetILNS1_3genE2ELNS1_11target_archE906ELNS1_3gpuE6ELNS1_3repE0EEENS1_30default_config_static_selectorELNS0_4arch9wavefront6targetE1EEEvSK_, .Lfunc_end295-_ZN7rocprim17ROCPRIM_400000_NS6detail17trampoline_kernelINS0_14default_configENS1_36segmented_radix_sort_config_selectorIalEEZNS1_25segmented_radix_sort_implIS3_Lb1EPKaPaPKlPlN2at6native12_GLOBAL__N_18offset_tEEE10hipError_tPvRmT1_PNSt15iterator_traitsISK_E10value_typeET2_T3_PNSL_ISQ_E10value_typeET4_jRbjT5_SW_jjP12ihipStream_tbEUlT_E_NS1_11comp_targetILNS1_3genE2ELNS1_11target_archE906ELNS1_3gpuE6ELNS1_3repE0EEENS1_30default_config_static_selectorELNS0_4arch9wavefront6targetE1EEEvSK_
                                        ; -- End function
	.set _ZN7rocprim17ROCPRIM_400000_NS6detail17trampoline_kernelINS0_14default_configENS1_36segmented_radix_sort_config_selectorIalEEZNS1_25segmented_radix_sort_implIS3_Lb1EPKaPaPKlPlN2at6native12_GLOBAL__N_18offset_tEEE10hipError_tPvRmT1_PNSt15iterator_traitsISK_E10value_typeET2_T3_PNSL_ISQ_E10value_typeET4_jRbjT5_SW_jjP12ihipStream_tbEUlT_E_NS1_11comp_targetILNS1_3genE2ELNS1_11target_archE906ELNS1_3gpuE6ELNS1_3repE0EEENS1_30default_config_static_selectorELNS0_4arch9wavefront6targetE1EEEvSK_.num_vgpr, max(92, .L_ZN7rocprim17ROCPRIM_400000_NS6detail40segmented_radix_sort_single_block_helperIalLj256ELj4ELb1EE4sortIPKaPaPKlPlEEbT_T0_T1_T2_jjjjRNS3_12storage_typeE.num_vgpr)
	.set _ZN7rocprim17ROCPRIM_400000_NS6detail17trampoline_kernelINS0_14default_configENS1_36segmented_radix_sort_config_selectorIalEEZNS1_25segmented_radix_sort_implIS3_Lb1EPKaPaPKlPlN2at6native12_GLOBAL__N_18offset_tEEE10hipError_tPvRmT1_PNSt15iterator_traitsISK_E10value_typeET2_T3_PNSL_ISQ_E10value_typeET4_jRbjT5_SW_jjP12ihipStream_tbEUlT_E_NS1_11comp_targetILNS1_3genE2ELNS1_11target_archE906ELNS1_3gpuE6ELNS1_3repE0EEENS1_30default_config_static_selectorELNS0_4arch9wavefront6targetE1EEEvSK_.num_agpr, max(0, .L_ZN7rocprim17ROCPRIM_400000_NS6detail40segmented_radix_sort_single_block_helperIalLj256ELj4ELb1EE4sortIPKaPaPKlPlEEbT_T0_T1_T2_jjjjRNS3_12storage_typeE.num_agpr)
	.set _ZN7rocprim17ROCPRIM_400000_NS6detail17trampoline_kernelINS0_14default_configENS1_36segmented_radix_sort_config_selectorIalEEZNS1_25segmented_radix_sort_implIS3_Lb1EPKaPaPKlPlN2at6native12_GLOBAL__N_18offset_tEEE10hipError_tPvRmT1_PNSt15iterator_traitsISK_E10value_typeET2_T3_PNSL_ISQ_E10value_typeET4_jRbjT5_SW_jjP12ihipStream_tbEUlT_E_NS1_11comp_targetILNS1_3genE2ELNS1_11target_archE906ELNS1_3gpuE6ELNS1_3repE0EEENS1_30default_config_static_selectorELNS0_4arch9wavefront6targetE1EEEvSK_.numbered_sgpr, max(76, .L_ZN7rocprim17ROCPRIM_400000_NS6detail40segmented_radix_sort_single_block_helperIalLj256ELj4ELb1EE4sortIPKaPaPKlPlEEbT_T0_T1_T2_jjjjRNS3_12storage_typeE.numbered_sgpr)
	.set _ZN7rocprim17ROCPRIM_400000_NS6detail17trampoline_kernelINS0_14default_configENS1_36segmented_radix_sort_config_selectorIalEEZNS1_25segmented_radix_sort_implIS3_Lb1EPKaPaPKlPlN2at6native12_GLOBAL__N_18offset_tEEE10hipError_tPvRmT1_PNSt15iterator_traitsISK_E10value_typeET2_T3_PNSL_ISQ_E10value_typeET4_jRbjT5_SW_jjP12ihipStream_tbEUlT_E_NS1_11comp_targetILNS1_3genE2ELNS1_11target_archE906ELNS1_3gpuE6ELNS1_3repE0EEENS1_30default_config_static_selectorELNS0_4arch9wavefront6targetE1EEEvSK_.num_named_barrier, max(0, .L_ZN7rocprim17ROCPRIM_400000_NS6detail40segmented_radix_sort_single_block_helperIalLj256ELj4ELb1EE4sortIPKaPaPKlPlEEbT_T0_T1_T2_jjjjRNS3_12storage_typeE.num_named_barrier)
	.set _ZN7rocprim17ROCPRIM_400000_NS6detail17trampoline_kernelINS0_14default_configENS1_36segmented_radix_sort_config_selectorIalEEZNS1_25segmented_radix_sort_implIS3_Lb1EPKaPaPKlPlN2at6native12_GLOBAL__N_18offset_tEEE10hipError_tPvRmT1_PNSt15iterator_traitsISK_E10value_typeET2_T3_PNSL_ISQ_E10value_typeET4_jRbjT5_SW_jjP12ihipStream_tbEUlT_E_NS1_11comp_targetILNS1_3genE2ELNS1_11target_archE906ELNS1_3gpuE6ELNS1_3repE0EEENS1_30default_config_static_selectorELNS0_4arch9wavefront6targetE1EEEvSK_.private_seg_size, 0+max(.L_ZN7rocprim17ROCPRIM_400000_NS6detail40segmented_radix_sort_single_block_helperIalLj256ELj4ELb1EE4sortIPKaPaPKlPlEEbT_T0_T1_T2_jjjjRNS3_12storage_typeE.private_seg_size)
	.set _ZN7rocprim17ROCPRIM_400000_NS6detail17trampoline_kernelINS0_14default_configENS1_36segmented_radix_sort_config_selectorIalEEZNS1_25segmented_radix_sort_implIS3_Lb1EPKaPaPKlPlN2at6native12_GLOBAL__N_18offset_tEEE10hipError_tPvRmT1_PNSt15iterator_traitsISK_E10value_typeET2_T3_PNSL_ISQ_E10value_typeET4_jRbjT5_SW_jjP12ihipStream_tbEUlT_E_NS1_11comp_targetILNS1_3genE2ELNS1_11target_archE906ELNS1_3gpuE6ELNS1_3repE0EEENS1_30default_config_static_selectorELNS0_4arch9wavefront6targetE1EEEvSK_.uses_vcc, or(1, .L_ZN7rocprim17ROCPRIM_400000_NS6detail40segmented_radix_sort_single_block_helperIalLj256ELj4ELb1EE4sortIPKaPaPKlPlEEbT_T0_T1_T2_jjjjRNS3_12storage_typeE.uses_vcc)
	.set _ZN7rocprim17ROCPRIM_400000_NS6detail17trampoline_kernelINS0_14default_configENS1_36segmented_radix_sort_config_selectorIalEEZNS1_25segmented_radix_sort_implIS3_Lb1EPKaPaPKlPlN2at6native12_GLOBAL__N_18offset_tEEE10hipError_tPvRmT1_PNSt15iterator_traitsISK_E10value_typeET2_T3_PNSL_ISQ_E10value_typeET4_jRbjT5_SW_jjP12ihipStream_tbEUlT_E_NS1_11comp_targetILNS1_3genE2ELNS1_11target_archE906ELNS1_3gpuE6ELNS1_3repE0EEENS1_30default_config_static_selectorELNS0_4arch9wavefront6targetE1EEEvSK_.uses_flat_scratch, or(0, .L_ZN7rocprim17ROCPRIM_400000_NS6detail40segmented_radix_sort_single_block_helperIalLj256ELj4ELb1EE4sortIPKaPaPKlPlEEbT_T0_T1_T2_jjjjRNS3_12storage_typeE.uses_flat_scratch)
	.set _ZN7rocprim17ROCPRIM_400000_NS6detail17trampoline_kernelINS0_14default_configENS1_36segmented_radix_sort_config_selectorIalEEZNS1_25segmented_radix_sort_implIS3_Lb1EPKaPaPKlPlN2at6native12_GLOBAL__N_18offset_tEEE10hipError_tPvRmT1_PNSt15iterator_traitsISK_E10value_typeET2_T3_PNSL_ISQ_E10value_typeET4_jRbjT5_SW_jjP12ihipStream_tbEUlT_E_NS1_11comp_targetILNS1_3genE2ELNS1_11target_archE906ELNS1_3gpuE6ELNS1_3repE0EEENS1_30default_config_static_selectorELNS0_4arch9wavefront6targetE1EEEvSK_.has_dyn_sized_stack, or(0, .L_ZN7rocprim17ROCPRIM_400000_NS6detail40segmented_radix_sort_single_block_helperIalLj256ELj4ELb1EE4sortIPKaPaPKlPlEEbT_T0_T1_T2_jjjjRNS3_12storage_typeE.has_dyn_sized_stack)
	.set _ZN7rocprim17ROCPRIM_400000_NS6detail17trampoline_kernelINS0_14default_configENS1_36segmented_radix_sort_config_selectorIalEEZNS1_25segmented_radix_sort_implIS3_Lb1EPKaPaPKlPlN2at6native12_GLOBAL__N_18offset_tEEE10hipError_tPvRmT1_PNSt15iterator_traitsISK_E10value_typeET2_T3_PNSL_ISQ_E10value_typeET4_jRbjT5_SW_jjP12ihipStream_tbEUlT_E_NS1_11comp_targetILNS1_3genE2ELNS1_11target_archE906ELNS1_3gpuE6ELNS1_3repE0EEENS1_30default_config_static_selectorELNS0_4arch9wavefront6targetE1EEEvSK_.has_recursion, or(0, .L_ZN7rocprim17ROCPRIM_400000_NS6detail40segmented_radix_sort_single_block_helperIalLj256ELj4ELb1EE4sortIPKaPaPKlPlEEbT_T0_T1_T2_jjjjRNS3_12storage_typeE.has_recursion)
	.set _ZN7rocprim17ROCPRIM_400000_NS6detail17trampoline_kernelINS0_14default_configENS1_36segmented_radix_sort_config_selectorIalEEZNS1_25segmented_radix_sort_implIS3_Lb1EPKaPaPKlPlN2at6native12_GLOBAL__N_18offset_tEEE10hipError_tPvRmT1_PNSt15iterator_traitsISK_E10value_typeET2_T3_PNSL_ISQ_E10value_typeET4_jRbjT5_SW_jjP12ihipStream_tbEUlT_E_NS1_11comp_targetILNS1_3genE2ELNS1_11target_archE906ELNS1_3gpuE6ELNS1_3repE0EEENS1_30default_config_static_selectorELNS0_4arch9wavefront6targetE1EEEvSK_.has_indirect_call, or(0, .L_ZN7rocprim17ROCPRIM_400000_NS6detail40segmented_radix_sort_single_block_helperIalLj256ELj4ELb1EE4sortIPKaPaPKlPlEEbT_T0_T1_T2_jjjjRNS3_12storage_typeE.has_indirect_call)
	.section	.AMDGPU.csdata,"",@progbits
; Kernel info:
; codeLenInByte = 20792
; TotalNumSgprs: 80
; NumVgprs: 97
; ScratchSize: 0
; MemoryBound: 0
; FloatMode: 240
; IeeeMode: 1
; LDSByteSize: 9232 bytes/workgroup (compile time only)
; SGPRBlocks: 10
; VGPRBlocks: 24
; NumSGPRsForWavesPerEU: 81
; NumVGPRsForWavesPerEU: 97
; Occupancy: 2
; WaveLimiterHint : 1
; COMPUTE_PGM_RSRC2:SCRATCH_EN: 0
; COMPUTE_PGM_RSRC2:USER_SGPR: 6
; COMPUTE_PGM_RSRC2:TRAP_HANDLER: 0
; COMPUTE_PGM_RSRC2:TGID_X_EN: 1
; COMPUTE_PGM_RSRC2:TGID_Y_EN: 1
; COMPUTE_PGM_RSRC2:TGID_Z_EN: 0
; COMPUTE_PGM_RSRC2:TIDIG_COMP_CNT: 2
	.section	.text._ZN7rocprim17ROCPRIM_400000_NS6detail17trampoline_kernelINS0_14default_configENS1_36segmented_radix_sort_config_selectorIalEEZNS1_25segmented_radix_sort_implIS3_Lb1EPKaPaPKlPlN2at6native12_GLOBAL__N_18offset_tEEE10hipError_tPvRmT1_PNSt15iterator_traitsISK_E10value_typeET2_T3_PNSL_ISQ_E10value_typeET4_jRbjT5_SW_jjP12ihipStream_tbEUlT_E_NS1_11comp_targetILNS1_3genE10ELNS1_11target_archE1201ELNS1_3gpuE5ELNS1_3repE0EEENS1_30default_config_static_selectorELNS0_4arch9wavefront6targetE1EEEvSK_,"axG",@progbits,_ZN7rocprim17ROCPRIM_400000_NS6detail17trampoline_kernelINS0_14default_configENS1_36segmented_radix_sort_config_selectorIalEEZNS1_25segmented_radix_sort_implIS3_Lb1EPKaPaPKlPlN2at6native12_GLOBAL__N_18offset_tEEE10hipError_tPvRmT1_PNSt15iterator_traitsISK_E10value_typeET2_T3_PNSL_ISQ_E10value_typeET4_jRbjT5_SW_jjP12ihipStream_tbEUlT_E_NS1_11comp_targetILNS1_3genE10ELNS1_11target_archE1201ELNS1_3gpuE5ELNS1_3repE0EEENS1_30default_config_static_selectorELNS0_4arch9wavefront6targetE1EEEvSK_,comdat
	.globl	_ZN7rocprim17ROCPRIM_400000_NS6detail17trampoline_kernelINS0_14default_configENS1_36segmented_radix_sort_config_selectorIalEEZNS1_25segmented_radix_sort_implIS3_Lb1EPKaPaPKlPlN2at6native12_GLOBAL__N_18offset_tEEE10hipError_tPvRmT1_PNSt15iterator_traitsISK_E10value_typeET2_T3_PNSL_ISQ_E10value_typeET4_jRbjT5_SW_jjP12ihipStream_tbEUlT_E_NS1_11comp_targetILNS1_3genE10ELNS1_11target_archE1201ELNS1_3gpuE5ELNS1_3repE0EEENS1_30default_config_static_selectorELNS0_4arch9wavefront6targetE1EEEvSK_ ; -- Begin function _ZN7rocprim17ROCPRIM_400000_NS6detail17trampoline_kernelINS0_14default_configENS1_36segmented_radix_sort_config_selectorIalEEZNS1_25segmented_radix_sort_implIS3_Lb1EPKaPaPKlPlN2at6native12_GLOBAL__N_18offset_tEEE10hipError_tPvRmT1_PNSt15iterator_traitsISK_E10value_typeET2_T3_PNSL_ISQ_E10value_typeET4_jRbjT5_SW_jjP12ihipStream_tbEUlT_E_NS1_11comp_targetILNS1_3genE10ELNS1_11target_archE1201ELNS1_3gpuE5ELNS1_3repE0EEENS1_30default_config_static_selectorELNS0_4arch9wavefront6targetE1EEEvSK_
	.p2align	8
	.type	_ZN7rocprim17ROCPRIM_400000_NS6detail17trampoline_kernelINS0_14default_configENS1_36segmented_radix_sort_config_selectorIalEEZNS1_25segmented_radix_sort_implIS3_Lb1EPKaPaPKlPlN2at6native12_GLOBAL__N_18offset_tEEE10hipError_tPvRmT1_PNSt15iterator_traitsISK_E10value_typeET2_T3_PNSL_ISQ_E10value_typeET4_jRbjT5_SW_jjP12ihipStream_tbEUlT_E_NS1_11comp_targetILNS1_3genE10ELNS1_11target_archE1201ELNS1_3gpuE5ELNS1_3repE0EEENS1_30default_config_static_selectorELNS0_4arch9wavefront6targetE1EEEvSK_,@function
_ZN7rocprim17ROCPRIM_400000_NS6detail17trampoline_kernelINS0_14default_configENS1_36segmented_radix_sort_config_selectorIalEEZNS1_25segmented_radix_sort_implIS3_Lb1EPKaPaPKlPlN2at6native12_GLOBAL__N_18offset_tEEE10hipError_tPvRmT1_PNSt15iterator_traitsISK_E10value_typeET2_T3_PNSL_ISQ_E10value_typeET4_jRbjT5_SW_jjP12ihipStream_tbEUlT_E_NS1_11comp_targetILNS1_3genE10ELNS1_11target_archE1201ELNS1_3gpuE5ELNS1_3repE0EEENS1_30default_config_static_selectorELNS0_4arch9wavefront6targetE1EEEvSK_: ; @_ZN7rocprim17ROCPRIM_400000_NS6detail17trampoline_kernelINS0_14default_configENS1_36segmented_radix_sort_config_selectorIalEEZNS1_25segmented_radix_sort_implIS3_Lb1EPKaPaPKlPlN2at6native12_GLOBAL__N_18offset_tEEE10hipError_tPvRmT1_PNSt15iterator_traitsISK_E10value_typeET2_T3_PNSL_ISQ_E10value_typeET4_jRbjT5_SW_jjP12ihipStream_tbEUlT_E_NS1_11comp_targetILNS1_3genE10ELNS1_11target_archE1201ELNS1_3gpuE5ELNS1_3repE0EEENS1_30default_config_static_selectorELNS0_4arch9wavefront6targetE1EEEvSK_
; %bb.0:
	.section	.rodata,"a",@progbits
	.p2align	6, 0x0
	.amdhsa_kernel _ZN7rocprim17ROCPRIM_400000_NS6detail17trampoline_kernelINS0_14default_configENS1_36segmented_radix_sort_config_selectorIalEEZNS1_25segmented_radix_sort_implIS3_Lb1EPKaPaPKlPlN2at6native12_GLOBAL__N_18offset_tEEE10hipError_tPvRmT1_PNSt15iterator_traitsISK_E10value_typeET2_T3_PNSL_ISQ_E10value_typeET4_jRbjT5_SW_jjP12ihipStream_tbEUlT_E_NS1_11comp_targetILNS1_3genE10ELNS1_11target_archE1201ELNS1_3gpuE5ELNS1_3repE0EEENS1_30default_config_static_selectorELNS0_4arch9wavefront6targetE1EEEvSK_
		.amdhsa_group_segment_fixed_size 0
		.amdhsa_private_segment_fixed_size 0
		.amdhsa_kernarg_size 96
		.amdhsa_user_sgpr_count 6
		.amdhsa_user_sgpr_private_segment_buffer 1
		.amdhsa_user_sgpr_dispatch_ptr 0
		.amdhsa_user_sgpr_queue_ptr 0
		.amdhsa_user_sgpr_kernarg_segment_ptr 1
		.amdhsa_user_sgpr_dispatch_id 0
		.amdhsa_user_sgpr_flat_scratch_init 0
		.amdhsa_user_sgpr_private_segment_size 0
		.amdhsa_uses_dynamic_stack 0
		.amdhsa_system_sgpr_private_segment_wavefront_offset 0
		.amdhsa_system_sgpr_workgroup_id_x 1
		.amdhsa_system_sgpr_workgroup_id_y 0
		.amdhsa_system_sgpr_workgroup_id_z 0
		.amdhsa_system_sgpr_workgroup_info 0
		.amdhsa_system_vgpr_workitem_id 0
		.amdhsa_next_free_vgpr 1
		.amdhsa_next_free_sgpr 0
		.amdhsa_reserve_vcc 0
		.amdhsa_reserve_flat_scratch 0
		.amdhsa_float_round_mode_32 0
		.amdhsa_float_round_mode_16_64 0
		.amdhsa_float_denorm_mode_32 3
		.amdhsa_float_denorm_mode_16_64 3
		.amdhsa_dx10_clamp 1
		.amdhsa_ieee_mode 1
		.amdhsa_fp16_overflow 0
		.amdhsa_exception_fp_ieee_invalid_op 0
		.amdhsa_exception_fp_denorm_src 0
		.amdhsa_exception_fp_ieee_div_zero 0
		.amdhsa_exception_fp_ieee_overflow 0
		.amdhsa_exception_fp_ieee_underflow 0
		.amdhsa_exception_fp_ieee_inexact 0
		.amdhsa_exception_int_div_zero 0
	.end_amdhsa_kernel
	.section	.text._ZN7rocprim17ROCPRIM_400000_NS6detail17trampoline_kernelINS0_14default_configENS1_36segmented_radix_sort_config_selectorIalEEZNS1_25segmented_radix_sort_implIS3_Lb1EPKaPaPKlPlN2at6native12_GLOBAL__N_18offset_tEEE10hipError_tPvRmT1_PNSt15iterator_traitsISK_E10value_typeET2_T3_PNSL_ISQ_E10value_typeET4_jRbjT5_SW_jjP12ihipStream_tbEUlT_E_NS1_11comp_targetILNS1_3genE10ELNS1_11target_archE1201ELNS1_3gpuE5ELNS1_3repE0EEENS1_30default_config_static_selectorELNS0_4arch9wavefront6targetE1EEEvSK_,"axG",@progbits,_ZN7rocprim17ROCPRIM_400000_NS6detail17trampoline_kernelINS0_14default_configENS1_36segmented_radix_sort_config_selectorIalEEZNS1_25segmented_radix_sort_implIS3_Lb1EPKaPaPKlPlN2at6native12_GLOBAL__N_18offset_tEEE10hipError_tPvRmT1_PNSt15iterator_traitsISK_E10value_typeET2_T3_PNSL_ISQ_E10value_typeET4_jRbjT5_SW_jjP12ihipStream_tbEUlT_E_NS1_11comp_targetILNS1_3genE10ELNS1_11target_archE1201ELNS1_3gpuE5ELNS1_3repE0EEENS1_30default_config_static_selectorELNS0_4arch9wavefront6targetE1EEEvSK_,comdat
.Lfunc_end296:
	.size	_ZN7rocprim17ROCPRIM_400000_NS6detail17trampoline_kernelINS0_14default_configENS1_36segmented_radix_sort_config_selectorIalEEZNS1_25segmented_radix_sort_implIS3_Lb1EPKaPaPKlPlN2at6native12_GLOBAL__N_18offset_tEEE10hipError_tPvRmT1_PNSt15iterator_traitsISK_E10value_typeET2_T3_PNSL_ISQ_E10value_typeET4_jRbjT5_SW_jjP12ihipStream_tbEUlT_E_NS1_11comp_targetILNS1_3genE10ELNS1_11target_archE1201ELNS1_3gpuE5ELNS1_3repE0EEENS1_30default_config_static_selectorELNS0_4arch9wavefront6targetE1EEEvSK_, .Lfunc_end296-_ZN7rocprim17ROCPRIM_400000_NS6detail17trampoline_kernelINS0_14default_configENS1_36segmented_radix_sort_config_selectorIalEEZNS1_25segmented_radix_sort_implIS3_Lb1EPKaPaPKlPlN2at6native12_GLOBAL__N_18offset_tEEE10hipError_tPvRmT1_PNSt15iterator_traitsISK_E10value_typeET2_T3_PNSL_ISQ_E10value_typeET4_jRbjT5_SW_jjP12ihipStream_tbEUlT_E_NS1_11comp_targetILNS1_3genE10ELNS1_11target_archE1201ELNS1_3gpuE5ELNS1_3repE0EEENS1_30default_config_static_selectorELNS0_4arch9wavefront6targetE1EEEvSK_
                                        ; -- End function
	.set _ZN7rocprim17ROCPRIM_400000_NS6detail17trampoline_kernelINS0_14default_configENS1_36segmented_radix_sort_config_selectorIalEEZNS1_25segmented_radix_sort_implIS3_Lb1EPKaPaPKlPlN2at6native12_GLOBAL__N_18offset_tEEE10hipError_tPvRmT1_PNSt15iterator_traitsISK_E10value_typeET2_T3_PNSL_ISQ_E10value_typeET4_jRbjT5_SW_jjP12ihipStream_tbEUlT_E_NS1_11comp_targetILNS1_3genE10ELNS1_11target_archE1201ELNS1_3gpuE5ELNS1_3repE0EEENS1_30default_config_static_selectorELNS0_4arch9wavefront6targetE1EEEvSK_.num_vgpr, 0
	.set _ZN7rocprim17ROCPRIM_400000_NS6detail17trampoline_kernelINS0_14default_configENS1_36segmented_radix_sort_config_selectorIalEEZNS1_25segmented_radix_sort_implIS3_Lb1EPKaPaPKlPlN2at6native12_GLOBAL__N_18offset_tEEE10hipError_tPvRmT1_PNSt15iterator_traitsISK_E10value_typeET2_T3_PNSL_ISQ_E10value_typeET4_jRbjT5_SW_jjP12ihipStream_tbEUlT_E_NS1_11comp_targetILNS1_3genE10ELNS1_11target_archE1201ELNS1_3gpuE5ELNS1_3repE0EEENS1_30default_config_static_selectorELNS0_4arch9wavefront6targetE1EEEvSK_.num_agpr, 0
	.set _ZN7rocprim17ROCPRIM_400000_NS6detail17trampoline_kernelINS0_14default_configENS1_36segmented_radix_sort_config_selectorIalEEZNS1_25segmented_radix_sort_implIS3_Lb1EPKaPaPKlPlN2at6native12_GLOBAL__N_18offset_tEEE10hipError_tPvRmT1_PNSt15iterator_traitsISK_E10value_typeET2_T3_PNSL_ISQ_E10value_typeET4_jRbjT5_SW_jjP12ihipStream_tbEUlT_E_NS1_11comp_targetILNS1_3genE10ELNS1_11target_archE1201ELNS1_3gpuE5ELNS1_3repE0EEENS1_30default_config_static_selectorELNS0_4arch9wavefront6targetE1EEEvSK_.numbered_sgpr, 0
	.set _ZN7rocprim17ROCPRIM_400000_NS6detail17trampoline_kernelINS0_14default_configENS1_36segmented_radix_sort_config_selectorIalEEZNS1_25segmented_radix_sort_implIS3_Lb1EPKaPaPKlPlN2at6native12_GLOBAL__N_18offset_tEEE10hipError_tPvRmT1_PNSt15iterator_traitsISK_E10value_typeET2_T3_PNSL_ISQ_E10value_typeET4_jRbjT5_SW_jjP12ihipStream_tbEUlT_E_NS1_11comp_targetILNS1_3genE10ELNS1_11target_archE1201ELNS1_3gpuE5ELNS1_3repE0EEENS1_30default_config_static_selectorELNS0_4arch9wavefront6targetE1EEEvSK_.num_named_barrier, 0
	.set _ZN7rocprim17ROCPRIM_400000_NS6detail17trampoline_kernelINS0_14default_configENS1_36segmented_radix_sort_config_selectorIalEEZNS1_25segmented_radix_sort_implIS3_Lb1EPKaPaPKlPlN2at6native12_GLOBAL__N_18offset_tEEE10hipError_tPvRmT1_PNSt15iterator_traitsISK_E10value_typeET2_T3_PNSL_ISQ_E10value_typeET4_jRbjT5_SW_jjP12ihipStream_tbEUlT_E_NS1_11comp_targetILNS1_3genE10ELNS1_11target_archE1201ELNS1_3gpuE5ELNS1_3repE0EEENS1_30default_config_static_selectorELNS0_4arch9wavefront6targetE1EEEvSK_.private_seg_size, 0
	.set _ZN7rocprim17ROCPRIM_400000_NS6detail17trampoline_kernelINS0_14default_configENS1_36segmented_radix_sort_config_selectorIalEEZNS1_25segmented_radix_sort_implIS3_Lb1EPKaPaPKlPlN2at6native12_GLOBAL__N_18offset_tEEE10hipError_tPvRmT1_PNSt15iterator_traitsISK_E10value_typeET2_T3_PNSL_ISQ_E10value_typeET4_jRbjT5_SW_jjP12ihipStream_tbEUlT_E_NS1_11comp_targetILNS1_3genE10ELNS1_11target_archE1201ELNS1_3gpuE5ELNS1_3repE0EEENS1_30default_config_static_selectorELNS0_4arch9wavefront6targetE1EEEvSK_.uses_vcc, 0
	.set _ZN7rocprim17ROCPRIM_400000_NS6detail17trampoline_kernelINS0_14default_configENS1_36segmented_radix_sort_config_selectorIalEEZNS1_25segmented_radix_sort_implIS3_Lb1EPKaPaPKlPlN2at6native12_GLOBAL__N_18offset_tEEE10hipError_tPvRmT1_PNSt15iterator_traitsISK_E10value_typeET2_T3_PNSL_ISQ_E10value_typeET4_jRbjT5_SW_jjP12ihipStream_tbEUlT_E_NS1_11comp_targetILNS1_3genE10ELNS1_11target_archE1201ELNS1_3gpuE5ELNS1_3repE0EEENS1_30default_config_static_selectorELNS0_4arch9wavefront6targetE1EEEvSK_.uses_flat_scratch, 0
	.set _ZN7rocprim17ROCPRIM_400000_NS6detail17trampoline_kernelINS0_14default_configENS1_36segmented_radix_sort_config_selectorIalEEZNS1_25segmented_radix_sort_implIS3_Lb1EPKaPaPKlPlN2at6native12_GLOBAL__N_18offset_tEEE10hipError_tPvRmT1_PNSt15iterator_traitsISK_E10value_typeET2_T3_PNSL_ISQ_E10value_typeET4_jRbjT5_SW_jjP12ihipStream_tbEUlT_E_NS1_11comp_targetILNS1_3genE10ELNS1_11target_archE1201ELNS1_3gpuE5ELNS1_3repE0EEENS1_30default_config_static_selectorELNS0_4arch9wavefront6targetE1EEEvSK_.has_dyn_sized_stack, 0
	.set _ZN7rocprim17ROCPRIM_400000_NS6detail17trampoline_kernelINS0_14default_configENS1_36segmented_radix_sort_config_selectorIalEEZNS1_25segmented_radix_sort_implIS3_Lb1EPKaPaPKlPlN2at6native12_GLOBAL__N_18offset_tEEE10hipError_tPvRmT1_PNSt15iterator_traitsISK_E10value_typeET2_T3_PNSL_ISQ_E10value_typeET4_jRbjT5_SW_jjP12ihipStream_tbEUlT_E_NS1_11comp_targetILNS1_3genE10ELNS1_11target_archE1201ELNS1_3gpuE5ELNS1_3repE0EEENS1_30default_config_static_selectorELNS0_4arch9wavefront6targetE1EEEvSK_.has_recursion, 0
	.set _ZN7rocprim17ROCPRIM_400000_NS6detail17trampoline_kernelINS0_14default_configENS1_36segmented_radix_sort_config_selectorIalEEZNS1_25segmented_radix_sort_implIS3_Lb1EPKaPaPKlPlN2at6native12_GLOBAL__N_18offset_tEEE10hipError_tPvRmT1_PNSt15iterator_traitsISK_E10value_typeET2_T3_PNSL_ISQ_E10value_typeET4_jRbjT5_SW_jjP12ihipStream_tbEUlT_E_NS1_11comp_targetILNS1_3genE10ELNS1_11target_archE1201ELNS1_3gpuE5ELNS1_3repE0EEENS1_30default_config_static_selectorELNS0_4arch9wavefront6targetE1EEEvSK_.has_indirect_call, 0
	.section	.AMDGPU.csdata,"",@progbits
; Kernel info:
; codeLenInByte = 0
; TotalNumSgprs: 4
; NumVgprs: 0
; ScratchSize: 0
; MemoryBound: 0
; FloatMode: 240
; IeeeMode: 1
; LDSByteSize: 0 bytes/workgroup (compile time only)
; SGPRBlocks: 0
; VGPRBlocks: 0
; NumSGPRsForWavesPerEU: 4
; NumVGPRsForWavesPerEU: 1
; Occupancy: 10
; WaveLimiterHint : 0
; COMPUTE_PGM_RSRC2:SCRATCH_EN: 0
; COMPUTE_PGM_RSRC2:USER_SGPR: 6
; COMPUTE_PGM_RSRC2:TRAP_HANDLER: 0
; COMPUTE_PGM_RSRC2:TGID_X_EN: 1
; COMPUTE_PGM_RSRC2:TGID_Y_EN: 0
; COMPUTE_PGM_RSRC2:TGID_Z_EN: 0
; COMPUTE_PGM_RSRC2:TIDIG_COMP_CNT: 0
	.section	.text._ZN7rocprim17ROCPRIM_400000_NS6detail17trampoline_kernelINS0_14default_configENS1_36segmented_radix_sort_config_selectorIalEEZNS1_25segmented_radix_sort_implIS3_Lb1EPKaPaPKlPlN2at6native12_GLOBAL__N_18offset_tEEE10hipError_tPvRmT1_PNSt15iterator_traitsISK_E10value_typeET2_T3_PNSL_ISQ_E10value_typeET4_jRbjT5_SW_jjP12ihipStream_tbEUlT_E_NS1_11comp_targetILNS1_3genE10ELNS1_11target_archE1200ELNS1_3gpuE4ELNS1_3repE0EEENS1_30default_config_static_selectorELNS0_4arch9wavefront6targetE1EEEvSK_,"axG",@progbits,_ZN7rocprim17ROCPRIM_400000_NS6detail17trampoline_kernelINS0_14default_configENS1_36segmented_radix_sort_config_selectorIalEEZNS1_25segmented_radix_sort_implIS3_Lb1EPKaPaPKlPlN2at6native12_GLOBAL__N_18offset_tEEE10hipError_tPvRmT1_PNSt15iterator_traitsISK_E10value_typeET2_T3_PNSL_ISQ_E10value_typeET4_jRbjT5_SW_jjP12ihipStream_tbEUlT_E_NS1_11comp_targetILNS1_3genE10ELNS1_11target_archE1200ELNS1_3gpuE4ELNS1_3repE0EEENS1_30default_config_static_selectorELNS0_4arch9wavefront6targetE1EEEvSK_,comdat
	.globl	_ZN7rocprim17ROCPRIM_400000_NS6detail17trampoline_kernelINS0_14default_configENS1_36segmented_radix_sort_config_selectorIalEEZNS1_25segmented_radix_sort_implIS3_Lb1EPKaPaPKlPlN2at6native12_GLOBAL__N_18offset_tEEE10hipError_tPvRmT1_PNSt15iterator_traitsISK_E10value_typeET2_T3_PNSL_ISQ_E10value_typeET4_jRbjT5_SW_jjP12ihipStream_tbEUlT_E_NS1_11comp_targetILNS1_3genE10ELNS1_11target_archE1200ELNS1_3gpuE4ELNS1_3repE0EEENS1_30default_config_static_selectorELNS0_4arch9wavefront6targetE1EEEvSK_ ; -- Begin function _ZN7rocprim17ROCPRIM_400000_NS6detail17trampoline_kernelINS0_14default_configENS1_36segmented_radix_sort_config_selectorIalEEZNS1_25segmented_radix_sort_implIS3_Lb1EPKaPaPKlPlN2at6native12_GLOBAL__N_18offset_tEEE10hipError_tPvRmT1_PNSt15iterator_traitsISK_E10value_typeET2_T3_PNSL_ISQ_E10value_typeET4_jRbjT5_SW_jjP12ihipStream_tbEUlT_E_NS1_11comp_targetILNS1_3genE10ELNS1_11target_archE1200ELNS1_3gpuE4ELNS1_3repE0EEENS1_30default_config_static_selectorELNS0_4arch9wavefront6targetE1EEEvSK_
	.p2align	8
	.type	_ZN7rocprim17ROCPRIM_400000_NS6detail17trampoline_kernelINS0_14default_configENS1_36segmented_radix_sort_config_selectorIalEEZNS1_25segmented_radix_sort_implIS3_Lb1EPKaPaPKlPlN2at6native12_GLOBAL__N_18offset_tEEE10hipError_tPvRmT1_PNSt15iterator_traitsISK_E10value_typeET2_T3_PNSL_ISQ_E10value_typeET4_jRbjT5_SW_jjP12ihipStream_tbEUlT_E_NS1_11comp_targetILNS1_3genE10ELNS1_11target_archE1200ELNS1_3gpuE4ELNS1_3repE0EEENS1_30default_config_static_selectorELNS0_4arch9wavefront6targetE1EEEvSK_,@function
_ZN7rocprim17ROCPRIM_400000_NS6detail17trampoline_kernelINS0_14default_configENS1_36segmented_radix_sort_config_selectorIalEEZNS1_25segmented_radix_sort_implIS3_Lb1EPKaPaPKlPlN2at6native12_GLOBAL__N_18offset_tEEE10hipError_tPvRmT1_PNSt15iterator_traitsISK_E10value_typeET2_T3_PNSL_ISQ_E10value_typeET4_jRbjT5_SW_jjP12ihipStream_tbEUlT_E_NS1_11comp_targetILNS1_3genE10ELNS1_11target_archE1200ELNS1_3gpuE4ELNS1_3repE0EEENS1_30default_config_static_selectorELNS0_4arch9wavefront6targetE1EEEvSK_: ; @_ZN7rocprim17ROCPRIM_400000_NS6detail17trampoline_kernelINS0_14default_configENS1_36segmented_radix_sort_config_selectorIalEEZNS1_25segmented_radix_sort_implIS3_Lb1EPKaPaPKlPlN2at6native12_GLOBAL__N_18offset_tEEE10hipError_tPvRmT1_PNSt15iterator_traitsISK_E10value_typeET2_T3_PNSL_ISQ_E10value_typeET4_jRbjT5_SW_jjP12ihipStream_tbEUlT_E_NS1_11comp_targetILNS1_3genE10ELNS1_11target_archE1200ELNS1_3gpuE4ELNS1_3repE0EEENS1_30default_config_static_selectorELNS0_4arch9wavefront6targetE1EEEvSK_
; %bb.0:
	.section	.rodata,"a",@progbits
	.p2align	6, 0x0
	.amdhsa_kernel _ZN7rocprim17ROCPRIM_400000_NS6detail17trampoline_kernelINS0_14default_configENS1_36segmented_radix_sort_config_selectorIalEEZNS1_25segmented_radix_sort_implIS3_Lb1EPKaPaPKlPlN2at6native12_GLOBAL__N_18offset_tEEE10hipError_tPvRmT1_PNSt15iterator_traitsISK_E10value_typeET2_T3_PNSL_ISQ_E10value_typeET4_jRbjT5_SW_jjP12ihipStream_tbEUlT_E_NS1_11comp_targetILNS1_3genE10ELNS1_11target_archE1200ELNS1_3gpuE4ELNS1_3repE0EEENS1_30default_config_static_selectorELNS0_4arch9wavefront6targetE1EEEvSK_
		.amdhsa_group_segment_fixed_size 0
		.amdhsa_private_segment_fixed_size 0
		.amdhsa_kernarg_size 96
		.amdhsa_user_sgpr_count 6
		.amdhsa_user_sgpr_private_segment_buffer 1
		.amdhsa_user_sgpr_dispatch_ptr 0
		.amdhsa_user_sgpr_queue_ptr 0
		.amdhsa_user_sgpr_kernarg_segment_ptr 1
		.amdhsa_user_sgpr_dispatch_id 0
		.amdhsa_user_sgpr_flat_scratch_init 0
		.amdhsa_user_sgpr_private_segment_size 0
		.amdhsa_uses_dynamic_stack 0
		.amdhsa_system_sgpr_private_segment_wavefront_offset 0
		.amdhsa_system_sgpr_workgroup_id_x 1
		.amdhsa_system_sgpr_workgroup_id_y 0
		.amdhsa_system_sgpr_workgroup_id_z 0
		.amdhsa_system_sgpr_workgroup_info 0
		.amdhsa_system_vgpr_workitem_id 0
		.amdhsa_next_free_vgpr 1
		.amdhsa_next_free_sgpr 0
		.amdhsa_reserve_vcc 0
		.amdhsa_reserve_flat_scratch 0
		.amdhsa_float_round_mode_32 0
		.amdhsa_float_round_mode_16_64 0
		.amdhsa_float_denorm_mode_32 3
		.amdhsa_float_denorm_mode_16_64 3
		.amdhsa_dx10_clamp 1
		.amdhsa_ieee_mode 1
		.amdhsa_fp16_overflow 0
		.amdhsa_exception_fp_ieee_invalid_op 0
		.amdhsa_exception_fp_denorm_src 0
		.amdhsa_exception_fp_ieee_div_zero 0
		.amdhsa_exception_fp_ieee_overflow 0
		.amdhsa_exception_fp_ieee_underflow 0
		.amdhsa_exception_fp_ieee_inexact 0
		.amdhsa_exception_int_div_zero 0
	.end_amdhsa_kernel
	.section	.text._ZN7rocprim17ROCPRIM_400000_NS6detail17trampoline_kernelINS0_14default_configENS1_36segmented_radix_sort_config_selectorIalEEZNS1_25segmented_radix_sort_implIS3_Lb1EPKaPaPKlPlN2at6native12_GLOBAL__N_18offset_tEEE10hipError_tPvRmT1_PNSt15iterator_traitsISK_E10value_typeET2_T3_PNSL_ISQ_E10value_typeET4_jRbjT5_SW_jjP12ihipStream_tbEUlT_E_NS1_11comp_targetILNS1_3genE10ELNS1_11target_archE1200ELNS1_3gpuE4ELNS1_3repE0EEENS1_30default_config_static_selectorELNS0_4arch9wavefront6targetE1EEEvSK_,"axG",@progbits,_ZN7rocprim17ROCPRIM_400000_NS6detail17trampoline_kernelINS0_14default_configENS1_36segmented_radix_sort_config_selectorIalEEZNS1_25segmented_radix_sort_implIS3_Lb1EPKaPaPKlPlN2at6native12_GLOBAL__N_18offset_tEEE10hipError_tPvRmT1_PNSt15iterator_traitsISK_E10value_typeET2_T3_PNSL_ISQ_E10value_typeET4_jRbjT5_SW_jjP12ihipStream_tbEUlT_E_NS1_11comp_targetILNS1_3genE10ELNS1_11target_archE1200ELNS1_3gpuE4ELNS1_3repE0EEENS1_30default_config_static_selectorELNS0_4arch9wavefront6targetE1EEEvSK_,comdat
.Lfunc_end297:
	.size	_ZN7rocprim17ROCPRIM_400000_NS6detail17trampoline_kernelINS0_14default_configENS1_36segmented_radix_sort_config_selectorIalEEZNS1_25segmented_radix_sort_implIS3_Lb1EPKaPaPKlPlN2at6native12_GLOBAL__N_18offset_tEEE10hipError_tPvRmT1_PNSt15iterator_traitsISK_E10value_typeET2_T3_PNSL_ISQ_E10value_typeET4_jRbjT5_SW_jjP12ihipStream_tbEUlT_E_NS1_11comp_targetILNS1_3genE10ELNS1_11target_archE1200ELNS1_3gpuE4ELNS1_3repE0EEENS1_30default_config_static_selectorELNS0_4arch9wavefront6targetE1EEEvSK_, .Lfunc_end297-_ZN7rocprim17ROCPRIM_400000_NS6detail17trampoline_kernelINS0_14default_configENS1_36segmented_radix_sort_config_selectorIalEEZNS1_25segmented_radix_sort_implIS3_Lb1EPKaPaPKlPlN2at6native12_GLOBAL__N_18offset_tEEE10hipError_tPvRmT1_PNSt15iterator_traitsISK_E10value_typeET2_T3_PNSL_ISQ_E10value_typeET4_jRbjT5_SW_jjP12ihipStream_tbEUlT_E_NS1_11comp_targetILNS1_3genE10ELNS1_11target_archE1200ELNS1_3gpuE4ELNS1_3repE0EEENS1_30default_config_static_selectorELNS0_4arch9wavefront6targetE1EEEvSK_
                                        ; -- End function
	.set _ZN7rocprim17ROCPRIM_400000_NS6detail17trampoline_kernelINS0_14default_configENS1_36segmented_radix_sort_config_selectorIalEEZNS1_25segmented_radix_sort_implIS3_Lb1EPKaPaPKlPlN2at6native12_GLOBAL__N_18offset_tEEE10hipError_tPvRmT1_PNSt15iterator_traitsISK_E10value_typeET2_T3_PNSL_ISQ_E10value_typeET4_jRbjT5_SW_jjP12ihipStream_tbEUlT_E_NS1_11comp_targetILNS1_3genE10ELNS1_11target_archE1200ELNS1_3gpuE4ELNS1_3repE0EEENS1_30default_config_static_selectorELNS0_4arch9wavefront6targetE1EEEvSK_.num_vgpr, 0
	.set _ZN7rocprim17ROCPRIM_400000_NS6detail17trampoline_kernelINS0_14default_configENS1_36segmented_radix_sort_config_selectorIalEEZNS1_25segmented_radix_sort_implIS3_Lb1EPKaPaPKlPlN2at6native12_GLOBAL__N_18offset_tEEE10hipError_tPvRmT1_PNSt15iterator_traitsISK_E10value_typeET2_T3_PNSL_ISQ_E10value_typeET4_jRbjT5_SW_jjP12ihipStream_tbEUlT_E_NS1_11comp_targetILNS1_3genE10ELNS1_11target_archE1200ELNS1_3gpuE4ELNS1_3repE0EEENS1_30default_config_static_selectorELNS0_4arch9wavefront6targetE1EEEvSK_.num_agpr, 0
	.set _ZN7rocprim17ROCPRIM_400000_NS6detail17trampoline_kernelINS0_14default_configENS1_36segmented_radix_sort_config_selectorIalEEZNS1_25segmented_radix_sort_implIS3_Lb1EPKaPaPKlPlN2at6native12_GLOBAL__N_18offset_tEEE10hipError_tPvRmT1_PNSt15iterator_traitsISK_E10value_typeET2_T3_PNSL_ISQ_E10value_typeET4_jRbjT5_SW_jjP12ihipStream_tbEUlT_E_NS1_11comp_targetILNS1_3genE10ELNS1_11target_archE1200ELNS1_3gpuE4ELNS1_3repE0EEENS1_30default_config_static_selectorELNS0_4arch9wavefront6targetE1EEEvSK_.numbered_sgpr, 0
	.set _ZN7rocprim17ROCPRIM_400000_NS6detail17trampoline_kernelINS0_14default_configENS1_36segmented_radix_sort_config_selectorIalEEZNS1_25segmented_radix_sort_implIS3_Lb1EPKaPaPKlPlN2at6native12_GLOBAL__N_18offset_tEEE10hipError_tPvRmT1_PNSt15iterator_traitsISK_E10value_typeET2_T3_PNSL_ISQ_E10value_typeET4_jRbjT5_SW_jjP12ihipStream_tbEUlT_E_NS1_11comp_targetILNS1_3genE10ELNS1_11target_archE1200ELNS1_3gpuE4ELNS1_3repE0EEENS1_30default_config_static_selectorELNS0_4arch9wavefront6targetE1EEEvSK_.num_named_barrier, 0
	.set _ZN7rocprim17ROCPRIM_400000_NS6detail17trampoline_kernelINS0_14default_configENS1_36segmented_radix_sort_config_selectorIalEEZNS1_25segmented_radix_sort_implIS3_Lb1EPKaPaPKlPlN2at6native12_GLOBAL__N_18offset_tEEE10hipError_tPvRmT1_PNSt15iterator_traitsISK_E10value_typeET2_T3_PNSL_ISQ_E10value_typeET4_jRbjT5_SW_jjP12ihipStream_tbEUlT_E_NS1_11comp_targetILNS1_3genE10ELNS1_11target_archE1200ELNS1_3gpuE4ELNS1_3repE0EEENS1_30default_config_static_selectorELNS0_4arch9wavefront6targetE1EEEvSK_.private_seg_size, 0
	.set _ZN7rocprim17ROCPRIM_400000_NS6detail17trampoline_kernelINS0_14default_configENS1_36segmented_radix_sort_config_selectorIalEEZNS1_25segmented_radix_sort_implIS3_Lb1EPKaPaPKlPlN2at6native12_GLOBAL__N_18offset_tEEE10hipError_tPvRmT1_PNSt15iterator_traitsISK_E10value_typeET2_T3_PNSL_ISQ_E10value_typeET4_jRbjT5_SW_jjP12ihipStream_tbEUlT_E_NS1_11comp_targetILNS1_3genE10ELNS1_11target_archE1200ELNS1_3gpuE4ELNS1_3repE0EEENS1_30default_config_static_selectorELNS0_4arch9wavefront6targetE1EEEvSK_.uses_vcc, 0
	.set _ZN7rocprim17ROCPRIM_400000_NS6detail17trampoline_kernelINS0_14default_configENS1_36segmented_radix_sort_config_selectorIalEEZNS1_25segmented_radix_sort_implIS3_Lb1EPKaPaPKlPlN2at6native12_GLOBAL__N_18offset_tEEE10hipError_tPvRmT1_PNSt15iterator_traitsISK_E10value_typeET2_T3_PNSL_ISQ_E10value_typeET4_jRbjT5_SW_jjP12ihipStream_tbEUlT_E_NS1_11comp_targetILNS1_3genE10ELNS1_11target_archE1200ELNS1_3gpuE4ELNS1_3repE0EEENS1_30default_config_static_selectorELNS0_4arch9wavefront6targetE1EEEvSK_.uses_flat_scratch, 0
	.set _ZN7rocprim17ROCPRIM_400000_NS6detail17trampoline_kernelINS0_14default_configENS1_36segmented_radix_sort_config_selectorIalEEZNS1_25segmented_radix_sort_implIS3_Lb1EPKaPaPKlPlN2at6native12_GLOBAL__N_18offset_tEEE10hipError_tPvRmT1_PNSt15iterator_traitsISK_E10value_typeET2_T3_PNSL_ISQ_E10value_typeET4_jRbjT5_SW_jjP12ihipStream_tbEUlT_E_NS1_11comp_targetILNS1_3genE10ELNS1_11target_archE1200ELNS1_3gpuE4ELNS1_3repE0EEENS1_30default_config_static_selectorELNS0_4arch9wavefront6targetE1EEEvSK_.has_dyn_sized_stack, 0
	.set _ZN7rocprim17ROCPRIM_400000_NS6detail17trampoline_kernelINS0_14default_configENS1_36segmented_radix_sort_config_selectorIalEEZNS1_25segmented_radix_sort_implIS3_Lb1EPKaPaPKlPlN2at6native12_GLOBAL__N_18offset_tEEE10hipError_tPvRmT1_PNSt15iterator_traitsISK_E10value_typeET2_T3_PNSL_ISQ_E10value_typeET4_jRbjT5_SW_jjP12ihipStream_tbEUlT_E_NS1_11comp_targetILNS1_3genE10ELNS1_11target_archE1200ELNS1_3gpuE4ELNS1_3repE0EEENS1_30default_config_static_selectorELNS0_4arch9wavefront6targetE1EEEvSK_.has_recursion, 0
	.set _ZN7rocprim17ROCPRIM_400000_NS6detail17trampoline_kernelINS0_14default_configENS1_36segmented_radix_sort_config_selectorIalEEZNS1_25segmented_radix_sort_implIS3_Lb1EPKaPaPKlPlN2at6native12_GLOBAL__N_18offset_tEEE10hipError_tPvRmT1_PNSt15iterator_traitsISK_E10value_typeET2_T3_PNSL_ISQ_E10value_typeET4_jRbjT5_SW_jjP12ihipStream_tbEUlT_E_NS1_11comp_targetILNS1_3genE10ELNS1_11target_archE1200ELNS1_3gpuE4ELNS1_3repE0EEENS1_30default_config_static_selectorELNS0_4arch9wavefront6targetE1EEEvSK_.has_indirect_call, 0
	.section	.AMDGPU.csdata,"",@progbits
; Kernel info:
; codeLenInByte = 0
; TotalNumSgprs: 4
; NumVgprs: 0
; ScratchSize: 0
; MemoryBound: 0
; FloatMode: 240
; IeeeMode: 1
; LDSByteSize: 0 bytes/workgroup (compile time only)
; SGPRBlocks: 0
; VGPRBlocks: 0
; NumSGPRsForWavesPerEU: 4
; NumVGPRsForWavesPerEU: 1
; Occupancy: 10
; WaveLimiterHint : 0
; COMPUTE_PGM_RSRC2:SCRATCH_EN: 0
; COMPUTE_PGM_RSRC2:USER_SGPR: 6
; COMPUTE_PGM_RSRC2:TRAP_HANDLER: 0
; COMPUTE_PGM_RSRC2:TGID_X_EN: 1
; COMPUTE_PGM_RSRC2:TGID_Y_EN: 0
; COMPUTE_PGM_RSRC2:TGID_Z_EN: 0
; COMPUTE_PGM_RSRC2:TIDIG_COMP_CNT: 0
	.section	.text._ZN7rocprim17ROCPRIM_400000_NS6detail17trampoline_kernelINS0_14default_configENS1_36segmented_radix_sort_config_selectorIalEEZNS1_25segmented_radix_sort_implIS3_Lb1EPKaPaPKlPlN2at6native12_GLOBAL__N_18offset_tEEE10hipError_tPvRmT1_PNSt15iterator_traitsISK_E10value_typeET2_T3_PNSL_ISQ_E10value_typeET4_jRbjT5_SW_jjP12ihipStream_tbEUlT_E_NS1_11comp_targetILNS1_3genE9ELNS1_11target_archE1100ELNS1_3gpuE3ELNS1_3repE0EEENS1_30default_config_static_selectorELNS0_4arch9wavefront6targetE1EEEvSK_,"axG",@progbits,_ZN7rocprim17ROCPRIM_400000_NS6detail17trampoline_kernelINS0_14default_configENS1_36segmented_radix_sort_config_selectorIalEEZNS1_25segmented_radix_sort_implIS3_Lb1EPKaPaPKlPlN2at6native12_GLOBAL__N_18offset_tEEE10hipError_tPvRmT1_PNSt15iterator_traitsISK_E10value_typeET2_T3_PNSL_ISQ_E10value_typeET4_jRbjT5_SW_jjP12ihipStream_tbEUlT_E_NS1_11comp_targetILNS1_3genE9ELNS1_11target_archE1100ELNS1_3gpuE3ELNS1_3repE0EEENS1_30default_config_static_selectorELNS0_4arch9wavefront6targetE1EEEvSK_,comdat
	.globl	_ZN7rocprim17ROCPRIM_400000_NS6detail17trampoline_kernelINS0_14default_configENS1_36segmented_radix_sort_config_selectorIalEEZNS1_25segmented_radix_sort_implIS3_Lb1EPKaPaPKlPlN2at6native12_GLOBAL__N_18offset_tEEE10hipError_tPvRmT1_PNSt15iterator_traitsISK_E10value_typeET2_T3_PNSL_ISQ_E10value_typeET4_jRbjT5_SW_jjP12ihipStream_tbEUlT_E_NS1_11comp_targetILNS1_3genE9ELNS1_11target_archE1100ELNS1_3gpuE3ELNS1_3repE0EEENS1_30default_config_static_selectorELNS0_4arch9wavefront6targetE1EEEvSK_ ; -- Begin function _ZN7rocprim17ROCPRIM_400000_NS6detail17trampoline_kernelINS0_14default_configENS1_36segmented_radix_sort_config_selectorIalEEZNS1_25segmented_radix_sort_implIS3_Lb1EPKaPaPKlPlN2at6native12_GLOBAL__N_18offset_tEEE10hipError_tPvRmT1_PNSt15iterator_traitsISK_E10value_typeET2_T3_PNSL_ISQ_E10value_typeET4_jRbjT5_SW_jjP12ihipStream_tbEUlT_E_NS1_11comp_targetILNS1_3genE9ELNS1_11target_archE1100ELNS1_3gpuE3ELNS1_3repE0EEENS1_30default_config_static_selectorELNS0_4arch9wavefront6targetE1EEEvSK_
	.p2align	8
	.type	_ZN7rocprim17ROCPRIM_400000_NS6detail17trampoline_kernelINS0_14default_configENS1_36segmented_radix_sort_config_selectorIalEEZNS1_25segmented_radix_sort_implIS3_Lb1EPKaPaPKlPlN2at6native12_GLOBAL__N_18offset_tEEE10hipError_tPvRmT1_PNSt15iterator_traitsISK_E10value_typeET2_T3_PNSL_ISQ_E10value_typeET4_jRbjT5_SW_jjP12ihipStream_tbEUlT_E_NS1_11comp_targetILNS1_3genE9ELNS1_11target_archE1100ELNS1_3gpuE3ELNS1_3repE0EEENS1_30default_config_static_selectorELNS0_4arch9wavefront6targetE1EEEvSK_,@function
_ZN7rocprim17ROCPRIM_400000_NS6detail17trampoline_kernelINS0_14default_configENS1_36segmented_radix_sort_config_selectorIalEEZNS1_25segmented_radix_sort_implIS3_Lb1EPKaPaPKlPlN2at6native12_GLOBAL__N_18offset_tEEE10hipError_tPvRmT1_PNSt15iterator_traitsISK_E10value_typeET2_T3_PNSL_ISQ_E10value_typeET4_jRbjT5_SW_jjP12ihipStream_tbEUlT_E_NS1_11comp_targetILNS1_3genE9ELNS1_11target_archE1100ELNS1_3gpuE3ELNS1_3repE0EEENS1_30default_config_static_selectorELNS0_4arch9wavefront6targetE1EEEvSK_: ; @_ZN7rocprim17ROCPRIM_400000_NS6detail17trampoline_kernelINS0_14default_configENS1_36segmented_radix_sort_config_selectorIalEEZNS1_25segmented_radix_sort_implIS3_Lb1EPKaPaPKlPlN2at6native12_GLOBAL__N_18offset_tEEE10hipError_tPvRmT1_PNSt15iterator_traitsISK_E10value_typeET2_T3_PNSL_ISQ_E10value_typeET4_jRbjT5_SW_jjP12ihipStream_tbEUlT_E_NS1_11comp_targetILNS1_3genE9ELNS1_11target_archE1100ELNS1_3gpuE3ELNS1_3repE0EEENS1_30default_config_static_selectorELNS0_4arch9wavefront6targetE1EEEvSK_
; %bb.0:
	.section	.rodata,"a",@progbits
	.p2align	6, 0x0
	.amdhsa_kernel _ZN7rocprim17ROCPRIM_400000_NS6detail17trampoline_kernelINS0_14default_configENS1_36segmented_radix_sort_config_selectorIalEEZNS1_25segmented_radix_sort_implIS3_Lb1EPKaPaPKlPlN2at6native12_GLOBAL__N_18offset_tEEE10hipError_tPvRmT1_PNSt15iterator_traitsISK_E10value_typeET2_T3_PNSL_ISQ_E10value_typeET4_jRbjT5_SW_jjP12ihipStream_tbEUlT_E_NS1_11comp_targetILNS1_3genE9ELNS1_11target_archE1100ELNS1_3gpuE3ELNS1_3repE0EEENS1_30default_config_static_selectorELNS0_4arch9wavefront6targetE1EEEvSK_
		.amdhsa_group_segment_fixed_size 0
		.amdhsa_private_segment_fixed_size 0
		.amdhsa_kernarg_size 96
		.amdhsa_user_sgpr_count 6
		.amdhsa_user_sgpr_private_segment_buffer 1
		.amdhsa_user_sgpr_dispatch_ptr 0
		.amdhsa_user_sgpr_queue_ptr 0
		.amdhsa_user_sgpr_kernarg_segment_ptr 1
		.amdhsa_user_sgpr_dispatch_id 0
		.amdhsa_user_sgpr_flat_scratch_init 0
		.amdhsa_user_sgpr_private_segment_size 0
		.amdhsa_uses_dynamic_stack 0
		.amdhsa_system_sgpr_private_segment_wavefront_offset 0
		.amdhsa_system_sgpr_workgroup_id_x 1
		.amdhsa_system_sgpr_workgroup_id_y 0
		.amdhsa_system_sgpr_workgroup_id_z 0
		.amdhsa_system_sgpr_workgroup_info 0
		.amdhsa_system_vgpr_workitem_id 0
		.amdhsa_next_free_vgpr 1
		.amdhsa_next_free_sgpr 0
		.amdhsa_reserve_vcc 0
		.amdhsa_reserve_flat_scratch 0
		.amdhsa_float_round_mode_32 0
		.amdhsa_float_round_mode_16_64 0
		.amdhsa_float_denorm_mode_32 3
		.amdhsa_float_denorm_mode_16_64 3
		.amdhsa_dx10_clamp 1
		.amdhsa_ieee_mode 1
		.amdhsa_fp16_overflow 0
		.amdhsa_exception_fp_ieee_invalid_op 0
		.amdhsa_exception_fp_denorm_src 0
		.amdhsa_exception_fp_ieee_div_zero 0
		.amdhsa_exception_fp_ieee_overflow 0
		.amdhsa_exception_fp_ieee_underflow 0
		.amdhsa_exception_fp_ieee_inexact 0
		.amdhsa_exception_int_div_zero 0
	.end_amdhsa_kernel
	.section	.text._ZN7rocprim17ROCPRIM_400000_NS6detail17trampoline_kernelINS0_14default_configENS1_36segmented_radix_sort_config_selectorIalEEZNS1_25segmented_radix_sort_implIS3_Lb1EPKaPaPKlPlN2at6native12_GLOBAL__N_18offset_tEEE10hipError_tPvRmT1_PNSt15iterator_traitsISK_E10value_typeET2_T3_PNSL_ISQ_E10value_typeET4_jRbjT5_SW_jjP12ihipStream_tbEUlT_E_NS1_11comp_targetILNS1_3genE9ELNS1_11target_archE1100ELNS1_3gpuE3ELNS1_3repE0EEENS1_30default_config_static_selectorELNS0_4arch9wavefront6targetE1EEEvSK_,"axG",@progbits,_ZN7rocprim17ROCPRIM_400000_NS6detail17trampoline_kernelINS0_14default_configENS1_36segmented_radix_sort_config_selectorIalEEZNS1_25segmented_radix_sort_implIS3_Lb1EPKaPaPKlPlN2at6native12_GLOBAL__N_18offset_tEEE10hipError_tPvRmT1_PNSt15iterator_traitsISK_E10value_typeET2_T3_PNSL_ISQ_E10value_typeET4_jRbjT5_SW_jjP12ihipStream_tbEUlT_E_NS1_11comp_targetILNS1_3genE9ELNS1_11target_archE1100ELNS1_3gpuE3ELNS1_3repE0EEENS1_30default_config_static_selectorELNS0_4arch9wavefront6targetE1EEEvSK_,comdat
.Lfunc_end298:
	.size	_ZN7rocprim17ROCPRIM_400000_NS6detail17trampoline_kernelINS0_14default_configENS1_36segmented_radix_sort_config_selectorIalEEZNS1_25segmented_radix_sort_implIS3_Lb1EPKaPaPKlPlN2at6native12_GLOBAL__N_18offset_tEEE10hipError_tPvRmT1_PNSt15iterator_traitsISK_E10value_typeET2_T3_PNSL_ISQ_E10value_typeET4_jRbjT5_SW_jjP12ihipStream_tbEUlT_E_NS1_11comp_targetILNS1_3genE9ELNS1_11target_archE1100ELNS1_3gpuE3ELNS1_3repE0EEENS1_30default_config_static_selectorELNS0_4arch9wavefront6targetE1EEEvSK_, .Lfunc_end298-_ZN7rocprim17ROCPRIM_400000_NS6detail17trampoline_kernelINS0_14default_configENS1_36segmented_radix_sort_config_selectorIalEEZNS1_25segmented_radix_sort_implIS3_Lb1EPKaPaPKlPlN2at6native12_GLOBAL__N_18offset_tEEE10hipError_tPvRmT1_PNSt15iterator_traitsISK_E10value_typeET2_T3_PNSL_ISQ_E10value_typeET4_jRbjT5_SW_jjP12ihipStream_tbEUlT_E_NS1_11comp_targetILNS1_3genE9ELNS1_11target_archE1100ELNS1_3gpuE3ELNS1_3repE0EEENS1_30default_config_static_selectorELNS0_4arch9wavefront6targetE1EEEvSK_
                                        ; -- End function
	.set _ZN7rocprim17ROCPRIM_400000_NS6detail17trampoline_kernelINS0_14default_configENS1_36segmented_radix_sort_config_selectorIalEEZNS1_25segmented_radix_sort_implIS3_Lb1EPKaPaPKlPlN2at6native12_GLOBAL__N_18offset_tEEE10hipError_tPvRmT1_PNSt15iterator_traitsISK_E10value_typeET2_T3_PNSL_ISQ_E10value_typeET4_jRbjT5_SW_jjP12ihipStream_tbEUlT_E_NS1_11comp_targetILNS1_3genE9ELNS1_11target_archE1100ELNS1_3gpuE3ELNS1_3repE0EEENS1_30default_config_static_selectorELNS0_4arch9wavefront6targetE1EEEvSK_.num_vgpr, 0
	.set _ZN7rocprim17ROCPRIM_400000_NS6detail17trampoline_kernelINS0_14default_configENS1_36segmented_radix_sort_config_selectorIalEEZNS1_25segmented_radix_sort_implIS3_Lb1EPKaPaPKlPlN2at6native12_GLOBAL__N_18offset_tEEE10hipError_tPvRmT1_PNSt15iterator_traitsISK_E10value_typeET2_T3_PNSL_ISQ_E10value_typeET4_jRbjT5_SW_jjP12ihipStream_tbEUlT_E_NS1_11comp_targetILNS1_3genE9ELNS1_11target_archE1100ELNS1_3gpuE3ELNS1_3repE0EEENS1_30default_config_static_selectorELNS0_4arch9wavefront6targetE1EEEvSK_.num_agpr, 0
	.set _ZN7rocprim17ROCPRIM_400000_NS6detail17trampoline_kernelINS0_14default_configENS1_36segmented_radix_sort_config_selectorIalEEZNS1_25segmented_radix_sort_implIS3_Lb1EPKaPaPKlPlN2at6native12_GLOBAL__N_18offset_tEEE10hipError_tPvRmT1_PNSt15iterator_traitsISK_E10value_typeET2_T3_PNSL_ISQ_E10value_typeET4_jRbjT5_SW_jjP12ihipStream_tbEUlT_E_NS1_11comp_targetILNS1_3genE9ELNS1_11target_archE1100ELNS1_3gpuE3ELNS1_3repE0EEENS1_30default_config_static_selectorELNS0_4arch9wavefront6targetE1EEEvSK_.numbered_sgpr, 0
	.set _ZN7rocprim17ROCPRIM_400000_NS6detail17trampoline_kernelINS0_14default_configENS1_36segmented_radix_sort_config_selectorIalEEZNS1_25segmented_radix_sort_implIS3_Lb1EPKaPaPKlPlN2at6native12_GLOBAL__N_18offset_tEEE10hipError_tPvRmT1_PNSt15iterator_traitsISK_E10value_typeET2_T3_PNSL_ISQ_E10value_typeET4_jRbjT5_SW_jjP12ihipStream_tbEUlT_E_NS1_11comp_targetILNS1_3genE9ELNS1_11target_archE1100ELNS1_3gpuE3ELNS1_3repE0EEENS1_30default_config_static_selectorELNS0_4arch9wavefront6targetE1EEEvSK_.num_named_barrier, 0
	.set _ZN7rocprim17ROCPRIM_400000_NS6detail17trampoline_kernelINS0_14default_configENS1_36segmented_radix_sort_config_selectorIalEEZNS1_25segmented_radix_sort_implIS3_Lb1EPKaPaPKlPlN2at6native12_GLOBAL__N_18offset_tEEE10hipError_tPvRmT1_PNSt15iterator_traitsISK_E10value_typeET2_T3_PNSL_ISQ_E10value_typeET4_jRbjT5_SW_jjP12ihipStream_tbEUlT_E_NS1_11comp_targetILNS1_3genE9ELNS1_11target_archE1100ELNS1_3gpuE3ELNS1_3repE0EEENS1_30default_config_static_selectorELNS0_4arch9wavefront6targetE1EEEvSK_.private_seg_size, 0
	.set _ZN7rocprim17ROCPRIM_400000_NS6detail17trampoline_kernelINS0_14default_configENS1_36segmented_radix_sort_config_selectorIalEEZNS1_25segmented_radix_sort_implIS3_Lb1EPKaPaPKlPlN2at6native12_GLOBAL__N_18offset_tEEE10hipError_tPvRmT1_PNSt15iterator_traitsISK_E10value_typeET2_T3_PNSL_ISQ_E10value_typeET4_jRbjT5_SW_jjP12ihipStream_tbEUlT_E_NS1_11comp_targetILNS1_3genE9ELNS1_11target_archE1100ELNS1_3gpuE3ELNS1_3repE0EEENS1_30default_config_static_selectorELNS0_4arch9wavefront6targetE1EEEvSK_.uses_vcc, 0
	.set _ZN7rocprim17ROCPRIM_400000_NS6detail17trampoline_kernelINS0_14default_configENS1_36segmented_radix_sort_config_selectorIalEEZNS1_25segmented_radix_sort_implIS3_Lb1EPKaPaPKlPlN2at6native12_GLOBAL__N_18offset_tEEE10hipError_tPvRmT1_PNSt15iterator_traitsISK_E10value_typeET2_T3_PNSL_ISQ_E10value_typeET4_jRbjT5_SW_jjP12ihipStream_tbEUlT_E_NS1_11comp_targetILNS1_3genE9ELNS1_11target_archE1100ELNS1_3gpuE3ELNS1_3repE0EEENS1_30default_config_static_selectorELNS0_4arch9wavefront6targetE1EEEvSK_.uses_flat_scratch, 0
	.set _ZN7rocprim17ROCPRIM_400000_NS6detail17trampoline_kernelINS0_14default_configENS1_36segmented_radix_sort_config_selectorIalEEZNS1_25segmented_radix_sort_implIS3_Lb1EPKaPaPKlPlN2at6native12_GLOBAL__N_18offset_tEEE10hipError_tPvRmT1_PNSt15iterator_traitsISK_E10value_typeET2_T3_PNSL_ISQ_E10value_typeET4_jRbjT5_SW_jjP12ihipStream_tbEUlT_E_NS1_11comp_targetILNS1_3genE9ELNS1_11target_archE1100ELNS1_3gpuE3ELNS1_3repE0EEENS1_30default_config_static_selectorELNS0_4arch9wavefront6targetE1EEEvSK_.has_dyn_sized_stack, 0
	.set _ZN7rocprim17ROCPRIM_400000_NS6detail17trampoline_kernelINS0_14default_configENS1_36segmented_radix_sort_config_selectorIalEEZNS1_25segmented_radix_sort_implIS3_Lb1EPKaPaPKlPlN2at6native12_GLOBAL__N_18offset_tEEE10hipError_tPvRmT1_PNSt15iterator_traitsISK_E10value_typeET2_T3_PNSL_ISQ_E10value_typeET4_jRbjT5_SW_jjP12ihipStream_tbEUlT_E_NS1_11comp_targetILNS1_3genE9ELNS1_11target_archE1100ELNS1_3gpuE3ELNS1_3repE0EEENS1_30default_config_static_selectorELNS0_4arch9wavefront6targetE1EEEvSK_.has_recursion, 0
	.set _ZN7rocprim17ROCPRIM_400000_NS6detail17trampoline_kernelINS0_14default_configENS1_36segmented_radix_sort_config_selectorIalEEZNS1_25segmented_radix_sort_implIS3_Lb1EPKaPaPKlPlN2at6native12_GLOBAL__N_18offset_tEEE10hipError_tPvRmT1_PNSt15iterator_traitsISK_E10value_typeET2_T3_PNSL_ISQ_E10value_typeET4_jRbjT5_SW_jjP12ihipStream_tbEUlT_E_NS1_11comp_targetILNS1_3genE9ELNS1_11target_archE1100ELNS1_3gpuE3ELNS1_3repE0EEENS1_30default_config_static_selectorELNS0_4arch9wavefront6targetE1EEEvSK_.has_indirect_call, 0
	.section	.AMDGPU.csdata,"",@progbits
; Kernel info:
; codeLenInByte = 0
; TotalNumSgprs: 4
; NumVgprs: 0
; ScratchSize: 0
; MemoryBound: 0
; FloatMode: 240
; IeeeMode: 1
; LDSByteSize: 0 bytes/workgroup (compile time only)
; SGPRBlocks: 0
; VGPRBlocks: 0
; NumSGPRsForWavesPerEU: 4
; NumVGPRsForWavesPerEU: 1
; Occupancy: 10
; WaveLimiterHint : 0
; COMPUTE_PGM_RSRC2:SCRATCH_EN: 0
; COMPUTE_PGM_RSRC2:USER_SGPR: 6
; COMPUTE_PGM_RSRC2:TRAP_HANDLER: 0
; COMPUTE_PGM_RSRC2:TGID_X_EN: 1
; COMPUTE_PGM_RSRC2:TGID_Y_EN: 0
; COMPUTE_PGM_RSRC2:TGID_Z_EN: 0
; COMPUTE_PGM_RSRC2:TIDIG_COMP_CNT: 0
	.section	.text._ZN7rocprim17ROCPRIM_400000_NS6detail17trampoline_kernelINS0_14default_configENS1_36segmented_radix_sort_config_selectorIalEEZNS1_25segmented_radix_sort_implIS3_Lb1EPKaPaPKlPlN2at6native12_GLOBAL__N_18offset_tEEE10hipError_tPvRmT1_PNSt15iterator_traitsISK_E10value_typeET2_T3_PNSL_ISQ_E10value_typeET4_jRbjT5_SW_jjP12ihipStream_tbEUlT_E_NS1_11comp_targetILNS1_3genE8ELNS1_11target_archE1030ELNS1_3gpuE2ELNS1_3repE0EEENS1_30default_config_static_selectorELNS0_4arch9wavefront6targetE1EEEvSK_,"axG",@progbits,_ZN7rocprim17ROCPRIM_400000_NS6detail17trampoline_kernelINS0_14default_configENS1_36segmented_radix_sort_config_selectorIalEEZNS1_25segmented_radix_sort_implIS3_Lb1EPKaPaPKlPlN2at6native12_GLOBAL__N_18offset_tEEE10hipError_tPvRmT1_PNSt15iterator_traitsISK_E10value_typeET2_T3_PNSL_ISQ_E10value_typeET4_jRbjT5_SW_jjP12ihipStream_tbEUlT_E_NS1_11comp_targetILNS1_3genE8ELNS1_11target_archE1030ELNS1_3gpuE2ELNS1_3repE0EEENS1_30default_config_static_selectorELNS0_4arch9wavefront6targetE1EEEvSK_,comdat
	.globl	_ZN7rocprim17ROCPRIM_400000_NS6detail17trampoline_kernelINS0_14default_configENS1_36segmented_radix_sort_config_selectorIalEEZNS1_25segmented_radix_sort_implIS3_Lb1EPKaPaPKlPlN2at6native12_GLOBAL__N_18offset_tEEE10hipError_tPvRmT1_PNSt15iterator_traitsISK_E10value_typeET2_T3_PNSL_ISQ_E10value_typeET4_jRbjT5_SW_jjP12ihipStream_tbEUlT_E_NS1_11comp_targetILNS1_3genE8ELNS1_11target_archE1030ELNS1_3gpuE2ELNS1_3repE0EEENS1_30default_config_static_selectorELNS0_4arch9wavefront6targetE1EEEvSK_ ; -- Begin function _ZN7rocprim17ROCPRIM_400000_NS6detail17trampoline_kernelINS0_14default_configENS1_36segmented_radix_sort_config_selectorIalEEZNS1_25segmented_radix_sort_implIS3_Lb1EPKaPaPKlPlN2at6native12_GLOBAL__N_18offset_tEEE10hipError_tPvRmT1_PNSt15iterator_traitsISK_E10value_typeET2_T3_PNSL_ISQ_E10value_typeET4_jRbjT5_SW_jjP12ihipStream_tbEUlT_E_NS1_11comp_targetILNS1_3genE8ELNS1_11target_archE1030ELNS1_3gpuE2ELNS1_3repE0EEENS1_30default_config_static_selectorELNS0_4arch9wavefront6targetE1EEEvSK_
	.p2align	8
	.type	_ZN7rocprim17ROCPRIM_400000_NS6detail17trampoline_kernelINS0_14default_configENS1_36segmented_radix_sort_config_selectorIalEEZNS1_25segmented_radix_sort_implIS3_Lb1EPKaPaPKlPlN2at6native12_GLOBAL__N_18offset_tEEE10hipError_tPvRmT1_PNSt15iterator_traitsISK_E10value_typeET2_T3_PNSL_ISQ_E10value_typeET4_jRbjT5_SW_jjP12ihipStream_tbEUlT_E_NS1_11comp_targetILNS1_3genE8ELNS1_11target_archE1030ELNS1_3gpuE2ELNS1_3repE0EEENS1_30default_config_static_selectorELNS0_4arch9wavefront6targetE1EEEvSK_,@function
_ZN7rocprim17ROCPRIM_400000_NS6detail17trampoline_kernelINS0_14default_configENS1_36segmented_radix_sort_config_selectorIalEEZNS1_25segmented_radix_sort_implIS3_Lb1EPKaPaPKlPlN2at6native12_GLOBAL__N_18offset_tEEE10hipError_tPvRmT1_PNSt15iterator_traitsISK_E10value_typeET2_T3_PNSL_ISQ_E10value_typeET4_jRbjT5_SW_jjP12ihipStream_tbEUlT_E_NS1_11comp_targetILNS1_3genE8ELNS1_11target_archE1030ELNS1_3gpuE2ELNS1_3repE0EEENS1_30default_config_static_selectorELNS0_4arch9wavefront6targetE1EEEvSK_: ; @_ZN7rocprim17ROCPRIM_400000_NS6detail17trampoline_kernelINS0_14default_configENS1_36segmented_radix_sort_config_selectorIalEEZNS1_25segmented_radix_sort_implIS3_Lb1EPKaPaPKlPlN2at6native12_GLOBAL__N_18offset_tEEE10hipError_tPvRmT1_PNSt15iterator_traitsISK_E10value_typeET2_T3_PNSL_ISQ_E10value_typeET4_jRbjT5_SW_jjP12ihipStream_tbEUlT_E_NS1_11comp_targetILNS1_3genE8ELNS1_11target_archE1030ELNS1_3gpuE2ELNS1_3repE0EEENS1_30default_config_static_selectorELNS0_4arch9wavefront6targetE1EEEvSK_
; %bb.0:
	.section	.rodata,"a",@progbits
	.p2align	6, 0x0
	.amdhsa_kernel _ZN7rocprim17ROCPRIM_400000_NS6detail17trampoline_kernelINS0_14default_configENS1_36segmented_radix_sort_config_selectorIalEEZNS1_25segmented_radix_sort_implIS3_Lb1EPKaPaPKlPlN2at6native12_GLOBAL__N_18offset_tEEE10hipError_tPvRmT1_PNSt15iterator_traitsISK_E10value_typeET2_T3_PNSL_ISQ_E10value_typeET4_jRbjT5_SW_jjP12ihipStream_tbEUlT_E_NS1_11comp_targetILNS1_3genE8ELNS1_11target_archE1030ELNS1_3gpuE2ELNS1_3repE0EEENS1_30default_config_static_selectorELNS0_4arch9wavefront6targetE1EEEvSK_
		.amdhsa_group_segment_fixed_size 0
		.amdhsa_private_segment_fixed_size 0
		.amdhsa_kernarg_size 96
		.amdhsa_user_sgpr_count 6
		.amdhsa_user_sgpr_private_segment_buffer 1
		.amdhsa_user_sgpr_dispatch_ptr 0
		.amdhsa_user_sgpr_queue_ptr 0
		.amdhsa_user_sgpr_kernarg_segment_ptr 1
		.amdhsa_user_sgpr_dispatch_id 0
		.amdhsa_user_sgpr_flat_scratch_init 0
		.amdhsa_user_sgpr_private_segment_size 0
		.amdhsa_uses_dynamic_stack 0
		.amdhsa_system_sgpr_private_segment_wavefront_offset 0
		.amdhsa_system_sgpr_workgroup_id_x 1
		.amdhsa_system_sgpr_workgroup_id_y 0
		.amdhsa_system_sgpr_workgroup_id_z 0
		.amdhsa_system_sgpr_workgroup_info 0
		.amdhsa_system_vgpr_workitem_id 0
		.amdhsa_next_free_vgpr 1
		.amdhsa_next_free_sgpr 0
		.amdhsa_reserve_vcc 0
		.amdhsa_reserve_flat_scratch 0
		.amdhsa_float_round_mode_32 0
		.amdhsa_float_round_mode_16_64 0
		.amdhsa_float_denorm_mode_32 3
		.amdhsa_float_denorm_mode_16_64 3
		.amdhsa_dx10_clamp 1
		.amdhsa_ieee_mode 1
		.amdhsa_fp16_overflow 0
		.amdhsa_exception_fp_ieee_invalid_op 0
		.amdhsa_exception_fp_denorm_src 0
		.amdhsa_exception_fp_ieee_div_zero 0
		.amdhsa_exception_fp_ieee_overflow 0
		.amdhsa_exception_fp_ieee_underflow 0
		.amdhsa_exception_fp_ieee_inexact 0
		.amdhsa_exception_int_div_zero 0
	.end_amdhsa_kernel
	.section	.text._ZN7rocprim17ROCPRIM_400000_NS6detail17trampoline_kernelINS0_14default_configENS1_36segmented_radix_sort_config_selectorIalEEZNS1_25segmented_radix_sort_implIS3_Lb1EPKaPaPKlPlN2at6native12_GLOBAL__N_18offset_tEEE10hipError_tPvRmT1_PNSt15iterator_traitsISK_E10value_typeET2_T3_PNSL_ISQ_E10value_typeET4_jRbjT5_SW_jjP12ihipStream_tbEUlT_E_NS1_11comp_targetILNS1_3genE8ELNS1_11target_archE1030ELNS1_3gpuE2ELNS1_3repE0EEENS1_30default_config_static_selectorELNS0_4arch9wavefront6targetE1EEEvSK_,"axG",@progbits,_ZN7rocprim17ROCPRIM_400000_NS6detail17trampoline_kernelINS0_14default_configENS1_36segmented_radix_sort_config_selectorIalEEZNS1_25segmented_radix_sort_implIS3_Lb1EPKaPaPKlPlN2at6native12_GLOBAL__N_18offset_tEEE10hipError_tPvRmT1_PNSt15iterator_traitsISK_E10value_typeET2_T3_PNSL_ISQ_E10value_typeET4_jRbjT5_SW_jjP12ihipStream_tbEUlT_E_NS1_11comp_targetILNS1_3genE8ELNS1_11target_archE1030ELNS1_3gpuE2ELNS1_3repE0EEENS1_30default_config_static_selectorELNS0_4arch9wavefront6targetE1EEEvSK_,comdat
.Lfunc_end299:
	.size	_ZN7rocprim17ROCPRIM_400000_NS6detail17trampoline_kernelINS0_14default_configENS1_36segmented_radix_sort_config_selectorIalEEZNS1_25segmented_radix_sort_implIS3_Lb1EPKaPaPKlPlN2at6native12_GLOBAL__N_18offset_tEEE10hipError_tPvRmT1_PNSt15iterator_traitsISK_E10value_typeET2_T3_PNSL_ISQ_E10value_typeET4_jRbjT5_SW_jjP12ihipStream_tbEUlT_E_NS1_11comp_targetILNS1_3genE8ELNS1_11target_archE1030ELNS1_3gpuE2ELNS1_3repE0EEENS1_30default_config_static_selectorELNS0_4arch9wavefront6targetE1EEEvSK_, .Lfunc_end299-_ZN7rocprim17ROCPRIM_400000_NS6detail17trampoline_kernelINS0_14default_configENS1_36segmented_radix_sort_config_selectorIalEEZNS1_25segmented_radix_sort_implIS3_Lb1EPKaPaPKlPlN2at6native12_GLOBAL__N_18offset_tEEE10hipError_tPvRmT1_PNSt15iterator_traitsISK_E10value_typeET2_T3_PNSL_ISQ_E10value_typeET4_jRbjT5_SW_jjP12ihipStream_tbEUlT_E_NS1_11comp_targetILNS1_3genE8ELNS1_11target_archE1030ELNS1_3gpuE2ELNS1_3repE0EEENS1_30default_config_static_selectorELNS0_4arch9wavefront6targetE1EEEvSK_
                                        ; -- End function
	.set _ZN7rocprim17ROCPRIM_400000_NS6detail17trampoline_kernelINS0_14default_configENS1_36segmented_radix_sort_config_selectorIalEEZNS1_25segmented_radix_sort_implIS3_Lb1EPKaPaPKlPlN2at6native12_GLOBAL__N_18offset_tEEE10hipError_tPvRmT1_PNSt15iterator_traitsISK_E10value_typeET2_T3_PNSL_ISQ_E10value_typeET4_jRbjT5_SW_jjP12ihipStream_tbEUlT_E_NS1_11comp_targetILNS1_3genE8ELNS1_11target_archE1030ELNS1_3gpuE2ELNS1_3repE0EEENS1_30default_config_static_selectorELNS0_4arch9wavefront6targetE1EEEvSK_.num_vgpr, 0
	.set _ZN7rocprim17ROCPRIM_400000_NS6detail17trampoline_kernelINS0_14default_configENS1_36segmented_radix_sort_config_selectorIalEEZNS1_25segmented_radix_sort_implIS3_Lb1EPKaPaPKlPlN2at6native12_GLOBAL__N_18offset_tEEE10hipError_tPvRmT1_PNSt15iterator_traitsISK_E10value_typeET2_T3_PNSL_ISQ_E10value_typeET4_jRbjT5_SW_jjP12ihipStream_tbEUlT_E_NS1_11comp_targetILNS1_3genE8ELNS1_11target_archE1030ELNS1_3gpuE2ELNS1_3repE0EEENS1_30default_config_static_selectorELNS0_4arch9wavefront6targetE1EEEvSK_.num_agpr, 0
	.set _ZN7rocprim17ROCPRIM_400000_NS6detail17trampoline_kernelINS0_14default_configENS1_36segmented_radix_sort_config_selectorIalEEZNS1_25segmented_radix_sort_implIS3_Lb1EPKaPaPKlPlN2at6native12_GLOBAL__N_18offset_tEEE10hipError_tPvRmT1_PNSt15iterator_traitsISK_E10value_typeET2_T3_PNSL_ISQ_E10value_typeET4_jRbjT5_SW_jjP12ihipStream_tbEUlT_E_NS1_11comp_targetILNS1_3genE8ELNS1_11target_archE1030ELNS1_3gpuE2ELNS1_3repE0EEENS1_30default_config_static_selectorELNS0_4arch9wavefront6targetE1EEEvSK_.numbered_sgpr, 0
	.set _ZN7rocprim17ROCPRIM_400000_NS6detail17trampoline_kernelINS0_14default_configENS1_36segmented_radix_sort_config_selectorIalEEZNS1_25segmented_radix_sort_implIS3_Lb1EPKaPaPKlPlN2at6native12_GLOBAL__N_18offset_tEEE10hipError_tPvRmT1_PNSt15iterator_traitsISK_E10value_typeET2_T3_PNSL_ISQ_E10value_typeET4_jRbjT5_SW_jjP12ihipStream_tbEUlT_E_NS1_11comp_targetILNS1_3genE8ELNS1_11target_archE1030ELNS1_3gpuE2ELNS1_3repE0EEENS1_30default_config_static_selectorELNS0_4arch9wavefront6targetE1EEEvSK_.num_named_barrier, 0
	.set _ZN7rocprim17ROCPRIM_400000_NS6detail17trampoline_kernelINS0_14default_configENS1_36segmented_radix_sort_config_selectorIalEEZNS1_25segmented_radix_sort_implIS3_Lb1EPKaPaPKlPlN2at6native12_GLOBAL__N_18offset_tEEE10hipError_tPvRmT1_PNSt15iterator_traitsISK_E10value_typeET2_T3_PNSL_ISQ_E10value_typeET4_jRbjT5_SW_jjP12ihipStream_tbEUlT_E_NS1_11comp_targetILNS1_3genE8ELNS1_11target_archE1030ELNS1_3gpuE2ELNS1_3repE0EEENS1_30default_config_static_selectorELNS0_4arch9wavefront6targetE1EEEvSK_.private_seg_size, 0
	.set _ZN7rocprim17ROCPRIM_400000_NS6detail17trampoline_kernelINS0_14default_configENS1_36segmented_radix_sort_config_selectorIalEEZNS1_25segmented_radix_sort_implIS3_Lb1EPKaPaPKlPlN2at6native12_GLOBAL__N_18offset_tEEE10hipError_tPvRmT1_PNSt15iterator_traitsISK_E10value_typeET2_T3_PNSL_ISQ_E10value_typeET4_jRbjT5_SW_jjP12ihipStream_tbEUlT_E_NS1_11comp_targetILNS1_3genE8ELNS1_11target_archE1030ELNS1_3gpuE2ELNS1_3repE0EEENS1_30default_config_static_selectorELNS0_4arch9wavefront6targetE1EEEvSK_.uses_vcc, 0
	.set _ZN7rocprim17ROCPRIM_400000_NS6detail17trampoline_kernelINS0_14default_configENS1_36segmented_radix_sort_config_selectorIalEEZNS1_25segmented_radix_sort_implIS3_Lb1EPKaPaPKlPlN2at6native12_GLOBAL__N_18offset_tEEE10hipError_tPvRmT1_PNSt15iterator_traitsISK_E10value_typeET2_T3_PNSL_ISQ_E10value_typeET4_jRbjT5_SW_jjP12ihipStream_tbEUlT_E_NS1_11comp_targetILNS1_3genE8ELNS1_11target_archE1030ELNS1_3gpuE2ELNS1_3repE0EEENS1_30default_config_static_selectorELNS0_4arch9wavefront6targetE1EEEvSK_.uses_flat_scratch, 0
	.set _ZN7rocprim17ROCPRIM_400000_NS6detail17trampoline_kernelINS0_14default_configENS1_36segmented_radix_sort_config_selectorIalEEZNS1_25segmented_radix_sort_implIS3_Lb1EPKaPaPKlPlN2at6native12_GLOBAL__N_18offset_tEEE10hipError_tPvRmT1_PNSt15iterator_traitsISK_E10value_typeET2_T3_PNSL_ISQ_E10value_typeET4_jRbjT5_SW_jjP12ihipStream_tbEUlT_E_NS1_11comp_targetILNS1_3genE8ELNS1_11target_archE1030ELNS1_3gpuE2ELNS1_3repE0EEENS1_30default_config_static_selectorELNS0_4arch9wavefront6targetE1EEEvSK_.has_dyn_sized_stack, 0
	.set _ZN7rocprim17ROCPRIM_400000_NS6detail17trampoline_kernelINS0_14default_configENS1_36segmented_radix_sort_config_selectorIalEEZNS1_25segmented_radix_sort_implIS3_Lb1EPKaPaPKlPlN2at6native12_GLOBAL__N_18offset_tEEE10hipError_tPvRmT1_PNSt15iterator_traitsISK_E10value_typeET2_T3_PNSL_ISQ_E10value_typeET4_jRbjT5_SW_jjP12ihipStream_tbEUlT_E_NS1_11comp_targetILNS1_3genE8ELNS1_11target_archE1030ELNS1_3gpuE2ELNS1_3repE0EEENS1_30default_config_static_selectorELNS0_4arch9wavefront6targetE1EEEvSK_.has_recursion, 0
	.set _ZN7rocprim17ROCPRIM_400000_NS6detail17trampoline_kernelINS0_14default_configENS1_36segmented_radix_sort_config_selectorIalEEZNS1_25segmented_radix_sort_implIS3_Lb1EPKaPaPKlPlN2at6native12_GLOBAL__N_18offset_tEEE10hipError_tPvRmT1_PNSt15iterator_traitsISK_E10value_typeET2_T3_PNSL_ISQ_E10value_typeET4_jRbjT5_SW_jjP12ihipStream_tbEUlT_E_NS1_11comp_targetILNS1_3genE8ELNS1_11target_archE1030ELNS1_3gpuE2ELNS1_3repE0EEENS1_30default_config_static_selectorELNS0_4arch9wavefront6targetE1EEEvSK_.has_indirect_call, 0
	.section	.AMDGPU.csdata,"",@progbits
; Kernel info:
; codeLenInByte = 0
; TotalNumSgprs: 4
; NumVgprs: 0
; ScratchSize: 0
; MemoryBound: 0
; FloatMode: 240
; IeeeMode: 1
; LDSByteSize: 0 bytes/workgroup (compile time only)
; SGPRBlocks: 0
; VGPRBlocks: 0
; NumSGPRsForWavesPerEU: 4
; NumVGPRsForWavesPerEU: 1
; Occupancy: 10
; WaveLimiterHint : 0
; COMPUTE_PGM_RSRC2:SCRATCH_EN: 0
; COMPUTE_PGM_RSRC2:USER_SGPR: 6
; COMPUTE_PGM_RSRC2:TRAP_HANDLER: 0
; COMPUTE_PGM_RSRC2:TGID_X_EN: 1
; COMPUTE_PGM_RSRC2:TGID_Y_EN: 0
; COMPUTE_PGM_RSRC2:TGID_Z_EN: 0
; COMPUTE_PGM_RSRC2:TIDIG_COMP_CNT: 0
	.section	.text._ZN7rocprim17ROCPRIM_400000_NS6detail17trampoline_kernelINS0_14default_configENS1_36segmented_radix_sort_config_selectorIalEEZNS1_25segmented_radix_sort_implIS3_Lb1EPKaPaPKlPlN2at6native12_GLOBAL__N_18offset_tEEE10hipError_tPvRmT1_PNSt15iterator_traitsISK_E10value_typeET2_T3_PNSL_ISQ_E10value_typeET4_jRbjT5_SW_jjP12ihipStream_tbEUlT_E0_NS1_11comp_targetILNS1_3genE0ELNS1_11target_archE4294967295ELNS1_3gpuE0ELNS1_3repE0EEENS1_60segmented_radix_sort_warp_sort_medium_config_static_selectorELNS0_4arch9wavefront6targetE1EEEvSK_,"axG",@progbits,_ZN7rocprim17ROCPRIM_400000_NS6detail17trampoline_kernelINS0_14default_configENS1_36segmented_radix_sort_config_selectorIalEEZNS1_25segmented_radix_sort_implIS3_Lb1EPKaPaPKlPlN2at6native12_GLOBAL__N_18offset_tEEE10hipError_tPvRmT1_PNSt15iterator_traitsISK_E10value_typeET2_T3_PNSL_ISQ_E10value_typeET4_jRbjT5_SW_jjP12ihipStream_tbEUlT_E0_NS1_11comp_targetILNS1_3genE0ELNS1_11target_archE4294967295ELNS1_3gpuE0ELNS1_3repE0EEENS1_60segmented_radix_sort_warp_sort_medium_config_static_selectorELNS0_4arch9wavefront6targetE1EEEvSK_,comdat
	.globl	_ZN7rocprim17ROCPRIM_400000_NS6detail17trampoline_kernelINS0_14default_configENS1_36segmented_radix_sort_config_selectorIalEEZNS1_25segmented_radix_sort_implIS3_Lb1EPKaPaPKlPlN2at6native12_GLOBAL__N_18offset_tEEE10hipError_tPvRmT1_PNSt15iterator_traitsISK_E10value_typeET2_T3_PNSL_ISQ_E10value_typeET4_jRbjT5_SW_jjP12ihipStream_tbEUlT_E0_NS1_11comp_targetILNS1_3genE0ELNS1_11target_archE4294967295ELNS1_3gpuE0ELNS1_3repE0EEENS1_60segmented_radix_sort_warp_sort_medium_config_static_selectorELNS0_4arch9wavefront6targetE1EEEvSK_ ; -- Begin function _ZN7rocprim17ROCPRIM_400000_NS6detail17trampoline_kernelINS0_14default_configENS1_36segmented_radix_sort_config_selectorIalEEZNS1_25segmented_radix_sort_implIS3_Lb1EPKaPaPKlPlN2at6native12_GLOBAL__N_18offset_tEEE10hipError_tPvRmT1_PNSt15iterator_traitsISK_E10value_typeET2_T3_PNSL_ISQ_E10value_typeET4_jRbjT5_SW_jjP12ihipStream_tbEUlT_E0_NS1_11comp_targetILNS1_3genE0ELNS1_11target_archE4294967295ELNS1_3gpuE0ELNS1_3repE0EEENS1_60segmented_radix_sort_warp_sort_medium_config_static_selectorELNS0_4arch9wavefront6targetE1EEEvSK_
	.p2align	8
	.type	_ZN7rocprim17ROCPRIM_400000_NS6detail17trampoline_kernelINS0_14default_configENS1_36segmented_radix_sort_config_selectorIalEEZNS1_25segmented_radix_sort_implIS3_Lb1EPKaPaPKlPlN2at6native12_GLOBAL__N_18offset_tEEE10hipError_tPvRmT1_PNSt15iterator_traitsISK_E10value_typeET2_T3_PNSL_ISQ_E10value_typeET4_jRbjT5_SW_jjP12ihipStream_tbEUlT_E0_NS1_11comp_targetILNS1_3genE0ELNS1_11target_archE4294967295ELNS1_3gpuE0ELNS1_3repE0EEENS1_60segmented_radix_sort_warp_sort_medium_config_static_selectorELNS0_4arch9wavefront6targetE1EEEvSK_,@function
_ZN7rocprim17ROCPRIM_400000_NS6detail17trampoline_kernelINS0_14default_configENS1_36segmented_radix_sort_config_selectorIalEEZNS1_25segmented_radix_sort_implIS3_Lb1EPKaPaPKlPlN2at6native12_GLOBAL__N_18offset_tEEE10hipError_tPvRmT1_PNSt15iterator_traitsISK_E10value_typeET2_T3_PNSL_ISQ_E10value_typeET4_jRbjT5_SW_jjP12ihipStream_tbEUlT_E0_NS1_11comp_targetILNS1_3genE0ELNS1_11target_archE4294967295ELNS1_3gpuE0ELNS1_3repE0EEENS1_60segmented_radix_sort_warp_sort_medium_config_static_selectorELNS0_4arch9wavefront6targetE1EEEvSK_: ; @_ZN7rocprim17ROCPRIM_400000_NS6detail17trampoline_kernelINS0_14default_configENS1_36segmented_radix_sort_config_selectorIalEEZNS1_25segmented_radix_sort_implIS3_Lb1EPKaPaPKlPlN2at6native12_GLOBAL__N_18offset_tEEE10hipError_tPvRmT1_PNSt15iterator_traitsISK_E10value_typeET2_T3_PNSL_ISQ_E10value_typeET4_jRbjT5_SW_jjP12ihipStream_tbEUlT_E0_NS1_11comp_targetILNS1_3genE0ELNS1_11target_archE4294967295ELNS1_3gpuE0ELNS1_3repE0EEENS1_60segmented_radix_sort_warp_sort_medium_config_static_selectorELNS0_4arch9wavefront6targetE1EEEvSK_
; %bb.0:
	.section	.rodata,"a",@progbits
	.p2align	6, 0x0
	.amdhsa_kernel _ZN7rocprim17ROCPRIM_400000_NS6detail17trampoline_kernelINS0_14default_configENS1_36segmented_radix_sort_config_selectorIalEEZNS1_25segmented_radix_sort_implIS3_Lb1EPKaPaPKlPlN2at6native12_GLOBAL__N_18offset_tEEE10hipError_tPvRmT1_PNSt15iterator_traitsISK_E10value_typeET2_T3_PNSL_ISQ_E10value_typeET4_jRbjT5_SW_jjP12ihipStream_tbEUlT_E0_NS1_11comp_targetILNS1_3genE0ELNS1_11target_archE4294967295ELNS1_3gpuE0ELNS1_3repE0EEENS1_60segmented_radix_sort_warp_sort_medium_config_static_selectorELNS0_4arch9wavefront6targetE1EEEvSK_
		.amdhsa_group_segment_fixed_size 0
		.amdhsa_private_segment_fixed_size 0
		.amdhsa_kernarg_size 88
		.amdhsa_user_sgpr_count 6
		.amdhsa_user_sgpr_private_segment_buffer 1
		.amdhsa_user_sgpr_dispatch_ptr 0
		.amdhsa_user_sgpr_queue_ptr 0
		.amdhsa_user_sgpr_kernarg_segment_ptr 1
		.amdhsa_user_sgpr_dispatch_id 0
		.amdhsa_user_sgpr_flat_scratch_init 0
		.amdhsa_user_sgpr_private_segment_size 0
		.amdhsa_uses_dynamic_stack 0
		.amdhsa_system_sgpr_private_segment_wavefront_offset 0
		.amdhsa_system_sgpr_workgroup_id_x 1
		.amdhsa_system_sgpr_workgroup_id_y 0
		.amdhsa_system_sgpr_workgroup_id_z 0
		.amdhsa_system_sgpr_workgroup_info 0
		.amdhsa_system_vgpr_workitem_id 0
		.amdhsa_next_free_vgpr 1
		.amdhsa_next_free_sgpr 0
		.amdhsa_reserve_vcc 0
		.amdhsa_reserve_flat_scratch 0
		.amdhsa_float_round_mode_32 0
		.amdhsa_float_round_mode_16_64 0
		.amdhsa_float_denorm_mode_32 3
		.amdhsa_float_denorm_mode_16_64 3
		.amdhsa_dx10_clamp 1
		.amdhsa_ieee_mode 1
		.amdhsa_fp16_overflow 0
		.amdhsa_exception_fp_ieee_invalid_op 0
		.amdhsa_exception_fp_denorm_src 0
		.amdhsa_exception_fp_ieee_div_zero 0
		.amdhsa_exception_fp_ieee_overflow 0
		.amdhsa_exception_fp_ieee_underflow 0
		.amdhsa_exception_fp_ieee_inexact 0
		.amdhsa_exception_int_div_zero 0
	.end_amdhsa_kernel
	.section	.text._ZN7rocprim17ROCPRIM_400000_NS6detail17trampoline_kernelINS0_14default_configENS1_36segmented_radix_sort_config_selectorIalEEZNS1_25segmented_radix_sort_implIS3_Lb1EPKaPaPKlPlN2at6native12_GLOBAL__N_18offset_tEEE10hipError_tPvRmT1_PNSt15iterator_traitsISK_E10value_typeET2_T3_PNSL_ISQ_E10value_typeET4_jRbjT5_SW_jjP12ihipStream_tbEUlT_E0_NS1_11comp_targetILNS1_3genE0ELNS1_11target_archE4294967295ELNS1_3gpuE0ELNS1_3repE0EEENS1_60segmented_radix_sort_warp_sort_medium_config_static_selectorELNS0_4arch9wavefront6targetE1EEEvSK_,"axG",@progbits,_ZN7rocprim17ROCPRIM_400000_NS6detail17trampoline_kernelINS0_14default_configENS1_36segmented_radix_sort_config_selectorIalEEZNS1_25segmented_radix_sort_implIS3_Lb1EPKaPaPKlPlN2at6native12_GLOBAL__N_18offset_tEEE10hipError_tPvRmT1_PNSt15iterator_traitsISK_E10value_typeET2_T3_PNSL_ISQ_E10value_typeET4_jRbjT5_SW_jjP12ihipStream_tbEUlT_E0_NS1_11comp_targetILNS1_3genE0ELNS1_11target_archE4294967295ELNS1_3gpuE0ELNS1_3repE0EEENS1_60segmented_radix_sort_warp_sort_medium_config_static_selectorELNS0_4arch9wavefront6targetE1EEEvSK_,comdat
.Lfunc_end300:
	.size	_ZN7rocprim17ROCPRIM_400000_NS6detail17trampoline_kernelINS0_14default_configENS1_36segmented_radix_sort_config_selectorIalEEZNS1_25segmented_radix_sort_implIS3_Lb1EPKaPaPKlPlN2at6native12_GLOBAL__N_18offset_tEEE10hipError_tPvRmT1_PNSt15iterator_traitsISK_E10value_typeET2_T3_PNSL_ISQ_E10value_typeET4_jRbjT5_SW_jjP12ihipStream_tbEUlT_E0_NS1_11comp_targetILNS1_3genE0ELNS1_11target_archE4294967295ELNS1_3gpuE0ELNS1_3repE0EEENS1_60segmented_radix_sort_warp_sort_medium_config_static_selectorELNS0_4arch9wavefront6targetE1EEEvSK_, .Lfunc_end300-_ZN7rocprim17ROCPRIM_400000_NS6detail17trampoline_kernelINS0_14default_configENS1_36segmented_radix_sort_config_selectorIalEEZNS1_25segmented_radix_sort_implIS3_Lb1EPKaPaPKlPlN2at6native12_GLOBAL__N_18offset_tEEE10hipError_tPvRmT1_PNSt15iterator_traitsISK_E10value_typeET2_T3_PNSL_ISQ_E10value_typeET4_jRbjT5_SW_jjP12ihipStream_tbEUlT_E0_NS1_11comp_targetILNS1_3genE0ELNS1_11target_archE4294967295ELNS1_3gpuE0ELNS1_3repE0EEENS1_60segmented_radix_sort_warp_sort_medium_config_static_selectorELNS0_4arch9wavefront6targetE1EEEvSK_
                                        ; -- End function
	.set _ZN7rocprim17ROCPRIM_400000_NS6detail17trampoline_kernelINS0_14default_configENS1_36segmented_radix_sort_config_selectorIalEEZNS1_25segmented_radix_sort_implIS3_Lb1EPKaPaPKlPlN2at6native12_GLOBAL__N_18offset_tEEE10hipError_tPvRmT1_PNSt15iterator_traitsISK_E10value_typeET2_T3_PNSL_ISQ_E10value_typeET4_jRbjT5_SW_jjP12ihipStream_tbEUlT_E0_NS1_11comp_targetILNS1_3genE0ELNS1_11target_archE4294967295ELNS1_3gpuE0ELNS1_3repE0EEENS1_60segmented_radix_sort_warp_sort_medium_config_static_selectorELNS0_4arch9wavefront6targetE1EEEvSK_.num_vgpr, 0
	.set _ZN7rocprim17ROCPRIM_400000_NS6detail17trampoline_kernelINS0_14default_configENS1_36segmented_radix_sort_config_selectorIalEEZNS1_25segmented_radix_sort_implIS3_Lb1EPKaPaPKlPlN2at6native12_GLOBAL__N_18offset_tEEE10hipError_tPvRmT1_PNSt15iterator_traitsISK_E10value_typeET2_T3_PNSL_ISQ_E10value_typeET4_jRbjT5_SW_jjP12ihipStream_tbEUlT_E0_NS1_11comp_targetILNS1_3genE0ELNS1_11target_archE4294967295ELNS1_3gpuE0ELNS1_3repE0EEENS1_60segmented_radix_sort_warp_sort_medium_config_static_selectorELNS0_4arch9wavefront6targetE1EEEvSK_.num_agpr, 0
	.set _ZN7rocprim17ROCPRIM_400000_NS6detail17trampoline_kernelINS0_14default_configENS1_36segmented_radix_sort_config_selectorIalEEZNS1_25segmented_radix_sort_implIS3_Lb1EPKaPaPKlPlN2at6native12_GLOBAL__N_18offset_tEEE10hipError_tPvRmT1_PNSt15iterator_traitsISK_E10value_typeET2_T3_PNSL_ISQ_E10value_typeET4_jRbjT5_SW_jjP12ihipStream_tbEUlT_E0_NS1_11comp_targetILNS1_3genE0ELNS1_11target_archE4294967295ELNS1_3gpuE0ELNS1_3repE0EEENS1_60segmented_radix_sort_warp_sort_medium_config_static_selectorELNS0_4arch9wavefront6targetE1EEEvSK_.numbered_sgpr, 0
	.set _ZN7rocprim17ROCPRIM_400000_NS6detail17trampoline_kernelINS0_14default_configENS1_36segmented_radix_sort_config_selectorIalEEZNS1_25segmented_radix_sort_implIS3_Lb1EPKaPaPKlPlN2at6native12_GLOBAL__N_18offset_tEEE10hipError_tPvRmT1_PNSt15iterator_traitsISK_E10value_typeET2_T3_PNSL_ISQ_E10value_typeET4_jRbjT5_SW_jjP12ihipStream_tbEUlT_E0_NS1_11comp_targetILNS1_3genE0ELNS1_11target_archE4294967295ELNS1_3gpuE0ELNS1_3repE0EEENS1_60segmented_radix_sort_warp_sort_medium_config_static_selectorELNS0_4arch9wavefront6targetE1EEEvSK_.num_named_barrier, 0
	.set _ZN7rocprim17ROCPRIM_400000_NS6detail17trampoline_kernelINS0_14default_configENS1_36segmented_radix_sort_config_selectorIalEEZNS1_25segmented_radix_sort_implIS3_Lb1EPKaPaPKlPlN2at6native12_GLOBAL__N_18offset_tEEE10hipError_tPvRmT1_PNSt15iterator_traitsISK_E10value_typeET2_T3_PNSL_ISQ_E10value_typeET4_jRbjT5_SW_jjP12ihipStream_tbEUlT_E0_NS1_11comp_targetILNS1_3genE0ELNS1_11target_archE4294967295ELNS1_3gpuE0ELNS1_3repE0EEENS1_60segmented_radix_sort_warp_sort_medium_config_static_selectorELNS0_4arch9wavefront6targetE1EEEvSK_.private_seg_size, 0
	.set _ZN7rocprim17ROCPRIM_400000_NS6detail17trampoline_kernelINS0_14default_configENS1_36segmented_radix_sort_config_selectorIalEEZNS1_25segmented_radix_sort_implIS3_Lb1EPKaPaPKlPlN2at6native12_GLOBAL__N_18offset_tEEE10hipError_tPvRmT1_PNSt15iterator_traitsISK_E10value_typeET2_T3_PNSL_ISQ_E10value_typeET4_jRbjT5_SW_jjP12ihipStream_tbEUlT_E0_NS1_11comp_targetILNS1_3genE0ELNS1_11target_archE4294967295ELNS1_3gpuE0ELNS1_3repE0EEENS1_60segmented_radix_sort_warp_sort_medium_config_static_selectorELNS0_4arch9wavefront6targetE1EEEvSK_.uses_vcc, 0
	.set _ZN7rocprim17ROCPRIM_400000_NS6detail17trampoline_kernelINS0_14default_configENS1_36segmented_radix_sort_config_selectorIalEEZNS1_25segmented_radix_sort_implIS3_Lb1EPKaPaPKlPlN2at6native12_GLOBAL__N_18offset_tEEE10hipError_tPvRmT1_PNSt15iterator_traitsISK_E10value_typeET2_T3_PNSL_ISQ_E10value_typeET4_jRbjT5_SW_jjP12ihipStream_tbEUlT_E0_NS1_11comp_targetILNS1_3genE0ELNS1_11target_archE4294967295ELNS1_3gpuE0ELNS1_3repE0EEENS1_60segmented_radix_sort_warp_sort_medium_config_static_selectorELNS0_4arch9wavefront6targetE1EEEvSK_.uses_flat_scratch, 0
	.set _ZN7rocprim17ROCPRIM_400000_NS6detail17trampoline_kernelINS0_14default_configENS1_36segmented_radix_sort_config_selectorIalEEZNS1_25segmented_radix_sort_implIS3_Lb1EPKaPaPKlPlN2at6native12_GLOBAL__N_18offset_tEEE10hipError_tPvRmT1_PNSt15iterator_traitsISK_E10value_typeET2_T3_PNSL_ISQ_E10value_typeET4_jRbjT5_SW_jjP12ihipStream_tbEUlT_E0_NS1_11comp_targetILNS1_3genE0ELNS1_11target_archE4294967295ELNS1_3gpuE0ELNS1_3repE0EEENS1_60segmented_radix_sort_warp_sort_medium_config_static_selectorELNS0_4arch9wavefront6targetE1EEEvSK_.has_dyn_sized_stack, 0
	.set _ZN7rocprim17ROCPRIM_400000_NS6detail17trampoline_kernelINS0_14default_configENS1_36segmented_radix_sort_config_selectorIalEEZNS1_25segmented_radix_sort_implIS3_Lb1EPKaPaPKlPlN2at6native12_GLOBAL__N_18offset_tEEE10hipError_tPvRmT1_PNSt15iterator_traitsISK_E10value_typeET2_T3_PNSL_ISQ_E10value_typeET4_jRbjT5_SW_jjP12ihipStream_tbEUlT_E0_NS1_11comp_targetILNS1_3genE0ELNS1_11target_archE4294967295ELNS1_3gpuE0ELNS1_3repE0EEENS1_60segmented_radix_sort_warp_sort_medium_config_static_selectorELNS0_4arch9wavefront6targetE1EEEvSK_.has_recursion, 0
	.set _ZN7rocprim17ROCPRIM_400000_NS6detail17trampoline_kernelINS0_14default_configENS1_36segmented_radix_sort_config_selectorIalEEZNS1_25segmented_radix_sort_implIS3_Lb1EPKaPaPKlPlN2at6native12_GLOBAL__N_18offset_tEEE10hipError_tPvRmT1_PNSt15iterator_traitsISK_E10value_typeET2_T3_PNSL_ISQ_E10value_typeET4_jRbjT5_SW_jjP12ihipStream_tbEUlT_E0_NS1_11comp_targetILNS1_3genE0ELNS1_11target_archE4294967295ELNS1_3gpuE0ELNS1_3repE0EEENS1_60segmented_radix_sort_warp_sort_medium_config_static_selectorELNS0_4arch9wavefront6targetE1EEEvSK_.has_indirect_call, 0
	.section	.AMDGPU.csdata,"",@progbits
; Kernel info:
; codeLenInByte = 0
; TotalNumSgprs: 4
; NumVgprs: 0
; ScratchSize: 0
; MemoryBound: 0
; FloatMode: 240
; IeeeMode: 1
; LDSByteSize: 0 bytes/workgroup (compile time only)
; SGPRBlocks: 0
; VGPRBlocks: 0
; NumSGPRsForWavesPerEU: 4
; NumVGPRsForWavesPerEU: 1
; Occupancy: 10
; WaveLimiterHint : 0
; COMPUTE_PGM_RSRC2:SCRATCH_EN: 0
; COMPUTE_PGM_RSRC2:USER_SGPR: 6
; COMPUTE_PGM_RSRC2:TRAP_HANDLER: 0
; COMPUTE_PGM_RSRC2:TGID_X_EN: 1
; COMPUTE_PGM_RSRC2:TGID_Y_EN: 0
; COMPUTE_PGM_RSRC2:TGID_Z_EN: 0
; COMPUTE_PGM_RSRC2:TIDIG_COMP_CNT: 0
	.section	.text._ZN7rocprim17ROCPRIM_400000_NS6detail17trampoline_kernelINS0_14default_configENS1_36segmented_radix_sort_config_selectorIalEEZNS1_25segmented_radix_sort_implIS3_Lb1EPKaPaPKlPlN2at6native12_GLOBAL__N_18offset_tEEE10hipError_tPvRmT1_PNSt15iterator_traitsISK_E10value_typeET2_T3_PNSL_ISQ_E10value_typeET4_jRbjT5_SW_jjP12ihipStream_tbEUlT_E0_NS1_11comp_targetILNS1_3genE5ELNS1_11target_archE942ELNS1_3gpuE9ELNS1_3repE0EEENS1_60segmented_radix_sort_warp_sort_medium_config_static_selectorELNS0_4arch9wavefront6targetE1EEEvSK_,"axG",@progbits,_ZN7rocprim17ROCPRIM_400000_NS6detail17trampoline_kernelINS0_14default_configENS1_36segmented_radix_sort_config_selectorIalEEZNS1_25segmented_radix_sort_implIS3_Lb1EPKaPaPKlPlN2at6native12_GLOBAL__N_18offset_tEEE10hipError_tPvRmT1_PNSt15iterator_traitsISK_E10value_typeET2_T3_PNSL_ISQ_E10value_typeET4_jRbjT5_SW_jjP12ihipStream_tbEUlT_E0_NS1_11comp_targetILNS1_3genE5ELNS1_11target_archE942ELNS1_3gpuE9ELNS1_3repE0EEENS1_60segmented_radix_sort_warp_sort_medium_config_static_selectorELNS0_4arch9wavefront6targetE1EEEvSK_,comdat
	.globl	_ZN7rocprim17ROCPRIM_400000_NS6detail17trampoline_kernelINS0_14default_configENS1_36segmented_radix_sort_config_selectorIalEEZNS1_25segmented_radix_sort_implIS3_Lb1EPKaPaPKlPlN2at6native12_GLOBAL__N_18offset_tEEE10hipError_tPvRmT1_PNSt15iterator_traitsISK_E10value_typeET2_T3_PNSL_ISQ_E10value_typeET4_jRbjT5_SW_jjP12ihipStream_tbEUlT_E0_NS1_11comp_targetILNS1_3genE5ELNS1_11target_archE942ELNS1_3gpuE9ELNS1_3repE0EEENS1_60segmented_radix_sort_warp_sort_medium_config_static_selectorELNS0_4arch9wavefront6targetE1EEEvSK_ ; -- Begin function _ZN7rocprim17ROCPRIM_400000_NS6detail17trampoline_kernelINS0_14default_configENS1_36segmented_radix_sort_config_selectorIalEEZNS1_25segmented_radix_sort_implIS3_Lb1EPKaPaPKlPlN2at6native12_GLOBAL__N_18offset_tEEE10hipError_tPvRmT1_PNSt15iterator_traitsISK_E10value_typeET2_T3_PNSL_ISQ_E10value_typeET4_jRbjT5_SW_jjP12ihipStream_tbEUlT_E0_NS1_11comp_targetILNS1_3genE5ELNS1_11target_archE942ELNS1_3gpuE9ELNS1_3repE0EEENS1_60segmented_radix_sort_warp_sort_medium_config_static_selectorELNS0_4arch9wavefront6targetE1EEEvSK_
	.p2align	8
	.type	_ZN7rocprim17ROCPRIM_400000_NS6detail17trampoline_kernelINS0_14default_configENS1_36segmented_radix_sort_config_selectorIalEEZNS1_25segmented_radix_sort_implIS3_Lb1EPKaPaPKlPlN2at6native12_GLOBAL__N_18offset_tEEE10hipError_tPvRmT1_PNSt15iterator_traitsISK_E10value_typeET2_T3_PNSL_ISQ_E10value_typeET4_jRbjT5_SW_jjP12ihipStream_tbEUlT_E0_NS1_11comp_targetILNS1_3genE5ELNS1_11target_archE942ELNS1_3gpuE9ELNS1_3repE0EEENS1_60segmented_radix_sort_warp_sort_medium_config_static_selectorELNS0_4arch9wavefront6targetE1EEEvSK_,@function
_ZN7rocprim17ROCPRIM_400000_NS6detail17trampoline_kernelINS0_14default_configENS1_36segmented_radix_sort_config_selectorIalEEZNS1_25segmented_radix_sort_implIS3_Lb1EPKaPaPKlPlN2at6native12_GLOBAL__N_18offset_tEEE10hipError_tPvRmT1_PNSt15iterator_traitsISK_E10value_typeET2_T3_PNSL_ISQ_E10value_typeET4_jRbjT5_SW_jjP12ihipStream_tbEUlT_E0_NS1_11comp_targetILNS1_3genE5ELNS1_11target_archE942ELNS1_3gpuE9ELNS1_3repE0EEENS1_60segmented_radix_sort_warp_sort_medium_config_static_selectorELNS0_4arch9wavefront6targetE1EEEvSK_: ; @_ZN7rocprim17ROCPRIM_400000_NS6detail17trampoline_kernelINS0_14default_configENS1_36segmented_radix_sort_config_selectorIalEEZNS1_25segmented_radix_sort_implIS3_Lb1EPKaPaPKlPlN2at6native12_GLOBAL__N_18offset_tEEE10hipError_tPvRmT1_PNSt15iterator_traitsISK_E10value_typeET2_T3_PNSL_ISQ_E10value_typeET4_jRbjT5_SW_jjP12ihipStream_tbEUlT_E0_NS1_11comp_targetILNS1_3genE5ELNS1_11target_archE942ELNS1_3gpuE9ELNS1_3repE0EEENS1_60segmented_radix_sort_warp_sort_medium_config_static_selectorELNS0_4arch9wavefront6targetE1EEEvSK_
; %bb.0:
	.section	.rodata,"a",@progbits
	.p2align	6, 0x0
	.amdhsa_kernel _ZN7rocprim17ROCPRIM_400000_NS6detail17trampoline_kernelINS0_14default_configENS1_36segmented_radix_sort_config_selectorIalEEZNS1_25segmented_radix_sort_implIS3_Lb1EPKaPaPKlPlN2at6native12_GLOBAL__N_18offset_tEEE10hipError_tPvRmT1_PNSt15iterator_traitsISK_E10value_typeET2_T3_PNSL_ISQ_E10value_typeET4_jRbjT5_SW_jjP12ihipStream_tbEUlT_E0_NS1_11comp_targetILNS1_3genE5ELNS1_11target_archE942ELNS1_3gpuE9ELNS1_3repE0EEENS1_60segmented_radix_sort_warp_sort_medium_config_static_selectorELNS0_4arch9wavefront6targetE1EEEvSK_
		.amdhsa_group_segment_fixed_size 0
		.amdhsa_private_segment_fixed_size 0
		.amdhsa_kernarg_size 88
		.amdhsa_user_sgpr_count 6
		.amdhsa_user_sgpr_private_segment_buffer 1
		.amdhsa_user_sgpr_dispatch_ptr 0
		.amdhsa_user_sgpr_queue_ptr 0
		.amdhsa_user_sgpr_kernarg_segment_ptr 1
		.amdhsa_user_sgpr_dispatch_id 0
		.amdhsa_user_sgpr_flat_scratch_init 0
		.amdhsa_user_sgpr_private_segment_size 0
		.amdhsa_uses_dynamic_stack 0
		.amdhsa_system_sgpr_private_segment_wavefront_offset 0
		.amdhsa_system_sgpr_workgroup_id_x 1
		.amdhsa_system_sgpr_workgroup_id_y 0
		.amdhsa_system_sgpr_workgroup_id_z 0
		.amdhsa_system_sgpr_workgroup_info 0
		.amdhsa_system_vgpr_workitem_id 0
		.amdhsa_next_free_vgpr 1
		.amdhsa_next_free_sgpr 0
		.amdhsa_reserve_vcc 0
		.amdhsa_reserve_flat_scratch 0
		.amdhsa_float_round_mode_32 0
		.amdhsa_float_round_mode_16_64 0
		.amdhsa_float_denorm_mode_32 3
		.amdhsa_float_denorm_mode_16_64 3
		.amdhsa_dx10_clamp 1
		.amdhsa_ieee_mode 1
		.amdhsa_fp16_overflow 0
		.amdhsa_exception_fp_ieee_invalid_op 0
		.amdhsa_exception_fp_denorm_src 0
		.amdhsa_exception_fp_ieee_div_zero 0
		.amdhsa_exception_fp_ieee_overflow 0
		.amdhsa_exception_fp_ieee_underflow 0
		.amdhsa_exception_fp_ieee_inexact 0
		.amdhsa_exception_int_div_zero 0
	.end_amdhsa_kernel
	.section	.text._ZN7rocprim17ROCPRIM_400000_NS6detail17trampoline_kernelINS0_14default_configENS1_36segmented_radix_sort_config_selectorIalEEZNS1_25segmented_radix_sort_implIS3_Lb1EPKaPaPKlPlN2at6native12_GLOBAL__N_18offset_tEEE10hipError_tPvRmT1_PNSt15iterator_traitsISK_E10value_typeET2_T3_PNSL_ISQ_E10value_typeET4_jRbjT5_SW_jjP12ihipStream_tbEUlT_E0_NS1_11comp_targetILNS1_3genE5ELNS1_11target_archE942ELNS1_3gpuE9ELNS1_3repE0EEENS1_60segmented_radix_sort_warp_sort_medium_config_static_selectorELNS0_4arch9wavefront6targetE1EEEvSK_,"axG",@progbits,_ZN7rocprim17ROCPRIM_400000_NS6detail17trampoline_kernelINS0_14default_configENS1_36segmented_radix_sort_config_selectorIalEEZNS1_25segmented_radix_sort_implIS3_Lb1EPKaPaPKlPlN2at6native12_GLOBAL__N_18offset_tEEE10hipError_tPvRmT1_PNSt15iterator_traitsISK_E10value_typeET2_T3_PNSL_ISQ_E10value_typeET4_jRbjT5_SW_jjP12ihipStream_tbEUlT_E0_NS1_11comp_targetILNS1_3genE5ELNS1_11target_archE942ELNS1_3gpuE9ELNS1_3repE0EEENS1_60segmented_radix_sort_warp_sort_medium_config_static_selectorELNS0_4arch9wavefront6targetE1EEEvSK_,comdat
.Lfunc_end301:
	.size	_ZN7rocprim17ROCPRIM_400000_NS6detail17trampoline_kernelINS0_14default_configENS1_36segmented_radix_sort_config_selectorIalEEZNS1_25segmented_radix_sort_implIS3_Lb1EPKaPaPKlPlN2at6native12_GLOBAL__N_18offset_tEEE10hipError_tPvRmT1_PNSt15iterator_traitsISK_E10value_typeET2_T3_PNSL_ISQ_E10value_typeET4_jRbjT5_SW_jjP12ihipStream_tbEUlT_E0_NS1_11comp_targetILNS1_3genE5ELNS1_11target_archE942ELNS1_3gpuE9ELNS1_3repE0EEENS1_60segmented_radix_sort_warp_sort_medium_config_static_selectorELNS0_4arch9wavefront6targetE1EEEvSK_, .Lfunc_end301-_ZN7rocprim17ROCPRIM_400000_NS6detail17trampoline_kernelINS0_14default_configENS1_36segmented_radix_sort_config_selectorIalEEZNS1_25segmented_radix_sort_implIS3_Lb1EPKaPaPKlPlN2at6native12_GLOBAL__N_18offset_tEEE10hipError_tPvRmT1_PNSt15iterator_traitsISK_E10value_typeET2_T3_PNSL_ISQ_E10value_typeET4_jRbjT5_SW_jjP12ihipStream_tbEUlT_E0_NS1_11comp_targetILNS1_3genE5ELNS1_11target_archE942ELNS1_3gpuE9ELNS1_3repE0EEENS1_60segmented_radix_sort_warp_sort_medium_config_static_selectorELNS0_4arch9wavefront6targetE1EEEvSK_
                                        ; -- End function
	.set _ZN7rocprim17ROCPRIM_400000_NS6detail17trampoline_kernelINS0_14default_configENS1_36segmented_radix_sort_config_selectorIalEEZNS1_25segmented_radix_sort_implIS3_Lb1EPKaPaPKlPlN2at6native12_GLOBAL__N_18offset_tEEE10hipError_tPvRmT1_PNSt15iterator_traitsISK_E10value_typeET2_T3_PNSL_ISQ_E10value_typeET4_jRbjT5_SW_jjP12ihipStream_tbEUlT_E0_NS1_11comp_targetILNS1_3genE5ELNS1_11target_archE942ELNS1_3gpuE9ELNS1_3repE0EEENS1_60segmented_radix_sort_warp_sort_medium_config_static_selectorELNS0_4arch9wavefront6targetE1EEEvSK_.num_vgpr, 0
	.set _ZN7rocprim17ROCPRIM_400000_NS6detail17trampoline_kernelINS0_14default_configENS1_36segmented_radix_sort_config_selectorIalEEZNS1_25segmented_radix_sort_implIS3_Lb1EPKaPaPKlPlN2at6native12_GLOBAL__N_18offset_tEEE10hipError_tPvRmT1_PNSt15iterator_traitsISK_E10value_typeET2_T3_PNSL_ISQ_E10value_typeET4_jRbjT5_SW_jjP12ihipStream_tbEUlT_E0_NS1_11comp_targetILNS1_3genE5ELNS1_11target_archE942ELNS1_3gpuE9ELNS1_3repE0EEENS1_60segmented_radix_sort_warp_sort_medium_config_static_selectorELNS0_4arch9wavefront6targetE1EEEvSK_.num_agpr, 0
	.set _ZN7rocprim17ROCPRIM_400000_NS6detail17trampoline_kernelINS0_14default_configENS1_36segmented_radix_sort_config_selectorIalEEZNS1_25segmented_radix_sort_implIS3_Lb1EPKaPaPKlPlN2at6native12_GLOBAL__N_18offset_tEEE10hipError_tPvRmT1_PNSt15iterator_traitsISK_E10value_typeET2_T3_PNSL_ISQ_E10value_typeET4_jRbjT5_SW_jjP12ihipStream_tbEUlT_E0_NS1_11comp_targetILNS1_3genE5ELNS1_11target_archE942ELNS1_3gpuE9ELNS1_3repE0EEENS1_60segmented_radix_sort_warp_sort_medium_config_static_selectorELNS0_4arch9wavefront6targetE1EEEvSK_.numbered_sgpr, 0
	.set _ZN7rocprim17ROCPRIM_400000_NS6detail17trampoline_kernelINS0_14default_configENS1_36segmented_radix_sort_config_selectorIalEEZNS1_25segmented_radix_sort_implIS3_Lb1EPKaPaPKlPlN2at6native12_GLOBAL__N_18offset_tEEE10hipError_tPvRmT1_PNSt15iterator_traitsISK_E10value_typeET2_T3_PNSL_ISQ_E10value_typeET4_jRbjT5_SW_jjP12ihipStream_tbEUlT_E0_NS1_11comp_targetILNS1_3genE5ELNS1_11target_archE942ELNS1_3gpuE9ELNS1_3repE0EEENS1_60segmented_radix_sort_warp_sort_medium_config_static_selectorELNS0_4arch9wavefront6targetE1EEEvSK_.num_named_barrier, 0
	.set _ZN7rocprim17ROCPRIM_400000_NS6detail17trampoline_kernelINS0_14default_configENS1_36segmented_radix_sort_config_selectorIalEEZNS1_25segmented_radix_sort_implIS3_Lb1EPKaPaPKlPlN2at6native12_GLOBAL__N_18offset_tEEE10hipError_tPvRmT1_PNSt15iterator_traitsISK_E10value_typeET2_T3_PNSL_ISQ_E10value_typeET4_jRbjT5_SW_jjP12ihipStream_tbEUlT_E0_NS1_11comp_targetILNS1_3genE5ELNS1_11target_archE942ELNS1_3gpuE9ELNS1_3repE0EEENS1_60segmented_radix_sort_warp_sort_medium_config_static_selectorELNS0_4arch9wavefront6targetE1EEEvSK_.private_seg_size, 0
	.set _ZN7rocprim17ROCPRIM_400000_NS6detail17trampoline_kernelINS0_14default_configENS1_36segmented_radix_sort_config_selectorIalEEZNS1_25segmented_radix_sort_implIS3_Lb1EPKaPaPKlPlN2at6native12_GLOBAL__N_18offset_tEEE10hipError_tPvRmT1_PNSt15iterator_traitsISK_E10value_typeET2_T3_PNSL_ISQ_E10value_typeET4_jRbjT5_SW_jjP12ihipStream_tbEUlT_E0_NS1_11comp_targetILNS1_3genE5ELNS1_11target_archE942ELNS1_3gpuE9ELNS1_3repE0EEENS1_60segmented_radix_sort_warp_sort_medium_config_static_selectorELNS0_4arch9wavefront6targetE1EEEvSK_.uses_vcc, 0
	.set _ZN7rocprim17ROCPRIM_400000_NS6detail17trampoline_kernelINS0_14default_configENS1_36segmented_radix_sort_config_selectorIalEEZNS1_25segmented_radix_sort_implIS3_Lb1EPKaPaPKlPlN2at6native12_GLOBAL__N_18offset_tEEE10hipError_tPvRmT1_PNSt15iterator_traitsISK_E10value_typeET2_T3_PNSL_ISQ_E10value_typeET4_jRbjT5_SW_jjP12ihipStream_tbEUlT_E0_NS1_11comp_targetILNS1_3genE5ELNS1_11target_archE942ELNS1_3gpuE9ELNS1_3repE0EEENS1_60segmented_radix_sort_warp_sort_medium_config_static_selectorELNS0_4arch9wavefront6targetE1EEEvSK_.uses_flat_scratch, 0
	.set _ZN7rocprim17ROCPRIM_400000_NS6detail17trampoline_kernelINS0_14default_configENS1_36segmented_radix_sort_config_selectorIalEEZNS1_25segmented_radix_sort_implIS3_Lb1EPKaPaPKlPlN2at6native12_GLOBAL__N_18offset_tEEE10hipError_tPvRmT1_PNSt15iterator_traitsISK_E10value_typeET2_T3_PNSL_ISQ_E10value_typeET4_jRbjT5_SW_jjP12ihipStream_tbEUlT_E0_NS1_11comp_targetILNS1_3genE5ELNS1_11target_archE942ELNS1_3gpuE9ELNS1_3repE0EEENS1_60segmented_radix_sort_warp_sort_medium_config_static_selectorELNS0_4arch9wavefront6targetE1EEEvSK_.has_dyn_sized_stack, 0
	.set _ZN7rocprim17ROCPRIM_400000_NS6detail17trampoline_kernelINS0_14default_configENS1_36segmented_radix_sort_config_selectorIalEEZNS1_25segmented_radix_sort_implIS3_Lb1EPKaPaPKlPlN2at6native12_GLOBAL__N_18offset_tEEE10hipError_tPvRmT1_PNSt15iterator_traitsISK_E10value_typeET2_T3_PNSL_ISQ_E10value_typeET4_jRbjT5_SW_jjP12ihipStream_tbEUlT_E0_NS1_11comp_targetILNS1_3genE5ELNS1_11target_archE942ELNS1_3gpuE9ELNS1_3repE0EEENS1_60segmented_radix_sort_warp_sort_medium_config_static_selectorELNS0_4arch9wavefront6targetE1EEEvSK_.has_recursion, 0
	.set _ZN7rocprim17ROCPRIM_400000_NS6detail17trampoline_kernelINS0_14default_configENS1_36segmented_radix_sort_config_selectorIalEEZNS1_25segmented_radix_sort_implIS3_Lb1EPKaPaPKlPlN2at6native12_GLOBAL__N_18offset_tEEE10hipError_tPvRmT1_PNSt15iterator_traitsISK_E10value_typeET2_T3_PNSL_ISQ_E10value_typeET4_jRbjT5_SW_jjP12ihipStream_tbEUlT_E0_NS1_11comp_targetILNS1_3genE5ELNS1_11target_archE942ELNS1_3gpuE9ELNS1_3repE0EEENS1_60segmented_radix_sort_warp_sort_medium_config_static_selectorELNS0_4arch9wavefront6targetE1EEEvSK_.has_indirect_call, 0
	.section	.AMDGPU.csdata,"",@progbits
; Kernel info:
; codeLenInByte = 0
; TotalNumSgprs: 4
; NumVgprs: 0
; ScratchSize: 0
; MemoryBound: 0
; FloatMode: 240
; IeeeMode: 1
; LDSByteSize: 0 bytes/workgroup (compile time only)
; SGPRBlocks: 0
; VGPRBlocks: 0
; NumSGPRsForWavesPerEU: 4
; NumVGPRsForWavesPerEU: 1
; Occupancy: 10
; WaveLimiterHint : 0
; COMPUTE_PGM_RSRC2:SCRATCH_EN: 0
; COMPUTE_PGM_RSRC2:USER_SGPR: 6
; COMPUTE_PGM_RSRC2:TRAP_HANDLER: 0
; COMPUTE_PGM_RSRC2:TGID_X_EN: 1
; COMPUTE_PGM_RSRC2:TGID_Y_EN: 0
; COMPUTE_PGM_RSRC2:TGID_Z_EN: 0
; COMPUTE_PGM_RSRC2:TIDIG_COMP_CNT: 0
	.section	.text._ZN7rocprim17ROCPRIM_400000_NS6detail17trampoline_kernelINS0_14default_configENS1_36segmented_radix_sort_config_selectorIalEEZNS1_25segmented_radix_sort_implIS3_Lb1EPKaPaPKlPlN2at6native12_GLOBAL__N_18offset_tEEE10hipError_tPvRmT1_PNSt15iterator_traitsISK_E10value_typeET2_T3_PNSL_ISQ_E10value_typeET4_jRbjT5_SW_jjP12ihipStream_tbEUlT_E0_NS1_11comp_targetILNS1_3genE4ELNS1_11target_archE910ELNS1_3gpuE8ELNS1_3repE0EEENS1_60segmented_radix_sort_warp_sort_medium_config_static_selectorELNS0_4arch9wavefront6targetE1EEEvSK_,"axG",@progbits,_ZN7rocprim17ROCPRIM_400000_NS6detail17trampoline_kernelINS0_14default_configENS1_36segmented_radix_sort_config_selectorIalEEZNS1_25segmented_radix_sort_implIS3_Lb1EPKaPaPKlPlN2at6native12_GLOBAL__N_18offset_tEEE10hipError_tPvRmT1_PNSt15iterator_traitsISK_E10value_typeET2_T3_PNSL_ISQ_E10value_typeET4_jRbjT5_SW_jjP12ihipStream_tbEUlT_E0_NS1_11comp_targetILNS1_3genE4ELNS1_11target_archE910ELNS1_3gpuE8ELNS1_3repE0EEENS1_60segmented_radix_sort_warp_sort_medium_config_static_selectorELNS0_4arch9wavefront6targetE1EEEvSK_,comdat
	.globl	_ZN7rocprim17ROCPRIM_400000_NS6detail17trampoline_kernelINS0_14default_configENS1_36segmented_radix_sort_config_selectorIalEEZNS1_25segmented_radix_sort_implIS3_Lb1EPKaPaPKlPlN2at6native12_GLOBAL__N_18offset_tEEE10hipError_tPvRmT1_PNSt15iterator_traitsISK_E10value_typeET2_T3_PNSL_ISQ_E10value_typeET4_jRbjT5_SW_jjP12ihipStream_tbEUlT_E0_NS1_11comp_targetILNS1_3genE4ELNS1_11target_archE910ELNS1_3gpuE8ELNS1_3repE0EEENS1_60segmented_radix_sort_warp_sort_medium_config_static_selectorELNS0_4arch9wavefront6targetE1EEEvSK_ ; -- Begin function _ZN7rocprim17ROCPRIM_400000_NS6detail17trampoline_kernelINS0_14default_configENS1_36segmented_radix_sort_config_selectorIalEEZNS1_25segmented_radix_sort_implIS3_Lb1EPKaPaPKlPlN2at6native12_GLOBAL__N_18offset_tEEE10hipError_tPvRmT1_PNSt15iterator_traitsISK_E10value_typeET2_T3_PNSL_ISQ_E10value_typeET4_jRbjT5_SW_jjP12ihipStream_tbEUlT_E0_NS1_11comp_targetILNS1_3genE4ELNS1_11target_archE910ELNS1_3gpuE8ELNS1_3repE0EEENS1_60segmented_radix_sort_warp_sort_medium_config_static_selectorELNS0_4arch9wavefront6targetE1EEEvSK_
	.p2align	8
	.type	_ZN7rocprim17ROCPRIM_400000_NS6detail17trampoline_kernelINS0_14default_configENS1_36segmented_radix_sort_config_selectorIalEEZNS1_25segmented_radix_sort_implIS3_Lb1EPKaPaPKlPlN2at6native12_GLOBAL__N_18offset_tEEE10hipError_tPvRmT1_PNSt15iterator_traitsISK_E10value_typeET2_T3_PNSL_ISQ_E10value_typeET4_jRbjT5_SW_jjP12ihipStream_tbEUlT_E0_NS1_11comp_targetILNS1_3genE4ELNS1_11target_archE910ELNS1_3gpuE8ELNS1_3repE0EEENS1_60segmented_radix_sort_warp_sort_medium_config_static_selectorELNS0_4arch9wavefront6targetE1EEEvSK_,@function
_ZN7rocprim17ROCPRIM_400000_NS6detail17trampoline_kernelINS0_14default_configENS1_36segmented_radix_sort_config_selectorIalEEZNS1_25segmented_radix_sort_implIS3_Lb1EPKaPaPKlPlN2at6native12_GLOBAL__N_18offset_tEEE10hipError_tPvRmT1_PNSt15iterator_traitsISK_E10value_typeET2_T3_PNSL_ISQ_E10value_typeET4_jRbjT5_SW_jjP12ihipStream_tbEUlT_E0_NS1_11comp_targetILNS1_3genE4ELNS1_11target_archE910ELNS1_3gpuE8ELNS1_3repE0EEENS1_60segmented_radix_sort_warp_sort_medium_config_static_selectorELNS0_4arch9wavefront6targetE1EEEvSK_: ; @_ZN7rocprim17ROCPRIM_400000_NS6detail17trampoline_kernelINS0_14default_configENS1_36segmented_radix_sort_config_selectorIalEEZNS1_25segmented_radix_sort_implIS3_Lb1EPKaPaPKlPlN2at6native12_GLOBAL__N_18offset_tEEE10hipError_tPvRmT1_PNSt15iterator_traitsISK_E10value_typeET2_T3_PNSL_ISQ_E10value_typeET4_jRbjT5_SW_jjP12ihipStream_tbEUlT_E0_NS1_11comp_targetILNS1_3genE4ELNS1_11target_archE910ELNS1_3gpuE8ELNS1_3repE0EEENS1_60segmented_radix_sort_warp_sort_medium_config_static_selectorELNS0_4arch9wavefront6targetE1EEEvSK_
; %bb.0:
	.section	.rodata,"a",@progbits
	.p2align	6, 0x0
	.amdhsa_kernel _ZN7rocprim17ROCPRIM_400000_NS6detail17trampoline_kernelINS0_14default_configENS1_36segmented_radix_sort_config_selectorIalEEZNS1_25segmented_radix_sort_implIS3_Lb1EPKaPaPKlPlN2at6native12_GLOBAL__N_18offset_tEEE10hipError_tPvRmT1_PNSt15iterator_traitsISK_E10value_typeET2_T3_PNSL_ISQ_E10value_typeET4_jRbjT5_SW_jjP12ihipStream_tbEUlT_E0_NS1_11comp_targetILNS1_3genE4ELNS1_11target_archE910ELNS1_3gpuE8ELNS1_3repE0EEENS1_60segmented_radix_sort_warp_sort_medium_config_static_selectorELNS0_4arch9wavefront6targetE1EEEvSK_
		.amdhsa_group_segment_fixed_size 0
		.amdhsa_private_segment_fixed_size 0
		.amdhsa_kernarg_size 88
		.amdhsa_user_sgpr_count 6
		.amdhsa_user_sgpr_private_segment_buffer 1
		.amdhsa_user_sgpr_dispatch_ptr 0
		.amdhsa_user_sgpr_queue_ptr 0
		.amdhsa_user_sgpr_kernarg_segment_ptr 1
		.amdhsa_user_sgpr_dispatch_id 0
		.amdhsa_user_sgpr_flat_scratch_init 0
		.amdhsa_user_sgpr_private_segment_size 0
		.amdhsa_uses_dynamic_stack 0
		.amdhsa_system_sgpr_private_segment_wavefront_offset 0
		.amdhsa_system_sgpr_workgroup_id_x 1
		.amdhsa_system_sgpr_workgroup_id_y 0
		.amdhsa_system_sgpr_workgroup_id_z 0
		.amdhsa_system_sgpr_workgroup_info 0
		.amdhsa_system_vgpr_workitem_id 0
		.amdhsa_next_free_vgpr 1
		.amdhsa_next_free_sgpr 0
		.amdhsa_reserve_vcc 0
		.amdhsa_reserve_flat_scratch 0
		.amdhsa_float_round_mode_32 0
		.amdhsa_float_round_mode_16_64 0
		.amdhsa_float_denorm_mode_32 3
		.amdhsa_float_denorm_mode_16_64 3
		.amdhsa_dx10_clamp 1
		.amdhsa_ieee_mode 1
		.amdhsa_fp16_overflow 0
		.amdhsa_exception_fp_ieee_invalid_op 0
		.amdhsa_exception_fp_denorm_src 0
		.amdhsa_exception_fp_ieee_div_zero 0
		.amdhsa_exception_fp_ieee_overflow 0
		.amdhsa_exception_fp_ieee_underflow 0
		.amdhsa_exception_fp_ieee_inexact 0
		.amdhsa_exception_int_div_zero 0
	.end_amdhsa_kernel
	.section	.text._ZN7rocprim17ROCPRIM_400000_NS6detail17trampoline_kernelINS0_14default_configENS1_36segmented_radix_sort_config_selectorIalEEZNS1_25segmented_radix_sort_implIS3_Lb1EPKaPaPKlPlN2at6native12_GLOBAL__N_18offset_tEEE10hipError_tPvRmT1_PNSt15iterator_traitsISK_E10value_typeET2_T3_PNSL_ISQ_E10value_typeET4_jRbjT5_SW_jjP12ihipStream_tbEUlT_E0_NS1_11comp_targetILNS1_3genE4ELNS1_11target_archE910ELNS1_3gpuE8ELNS1_3repE0EEENS1_60segmented_radix_sort_warp_sort_medium_config_static_selectorELNS0_4arch9wavefront6targetE1EEEvSK_,"axG",@progbits,_ZN7rocprim17ROCPRIM_400000_NS6detail17trampoline_kernelINS0_14default_configENS1_36segmented_radix_sort_config_selectorIalEEZNS1_25segmented_radix_sort_implIS3_Lb1EPKaPaPKlPlN2at6native12_GLOBAL__N_18offset_tEEE10hipError_tPvRmT1_PNSt15iterator_traitsISK_E10value_typeET2_T3_PNSL_ISQ_E10value_typeET4_jRbjT5_SW_jjP12ihipStream_tbEUlT_E0_NS1_11comp_targetILNS1_3genE4ELNS1_11target_archE910ELNS1_3gpuE8ELNS1_3repE0EEENS1_60segmented_radix_sort_warp_sort_medium_config_static_selectorELNS0_4arch9wavefront6targetE1EEEvSK_,comdat
.Lfunc_end302:
	.size	_ZN7rocprim17ROCPRIM_400000_NS6detail17trampoline_kernelINS0_14default_configENS1_36segmented_radix_sort_config_selectorIalEEZNS1_25segmented_radix_sort_implIS3_Lb1EPKaPaPKlPlN2at6native12_GLOBAL__N_18offset_tEEE10hipError_tPvRmT1_PNSt15iterator_traitsISK_E10value_typeET2_T3_PNSL_ISQ_E10value_typeET4_jRbjT5_SW_jjP12ihipStream_tbEUlT_E0_NS1_11comp_targetILNS1_3genE4ELNS1_11target_archE910ELNS1_3gpuE8ELNS1_3repE0EEENS1_60segmented_radix_sort_warp_sort_medium_config_static_selectorELNS0_4arch9wavefront6targetE1EEEvSK_, .Lfunc_end302-_ZN7rocprim17ROCPRIM_400000_NS6detail17trampoline_kernelINS0_14default_configENS1_36segmented_radix_sort_config_selectorIalEEZNS1_25segmented_radix_sort_implIS3_Lb1EPKaPaPKlPlN2at6native12_GLOBAL__N_18offset_tEEE10hipError_tPvRmT1_PNSt15iterator_traitsISK_E10value_typeET2_T3_PNSL_ISQ_E10value_typeET4_jRbjT5_SW_jjP12ihipStream_tbEUlT_E0_NS1_11comp_targetILNS1_3genE4ELNS1_11target_archE910ELNS1_3gpuE8ELNS1_3repE0EEENS1_60segmented_radix_sort_warp_sort_medium_config_static_selectorELNS0_4arch9wavefront6targetE1EEEvSK_
                                        ; -- End function
	.set _ZN7rocprim17ROCPRIM_400000_NS6detail17trampoline_kernelINS0_14default_configENS1_36segmented_radix_sort_config_selectorIalEEZNS1_25segmented_radix_sort_implIS3_Lb1EPKaPaPKlPlN2at6native12_GLOBAL__N_18offset_tEEE10hipError_tPvRmT1_PNSt15iterator_traitsISK_E10value_typeET2_T3_PNSL_ISQ_E10value_typeET4_jRbjT5_SW_jjP12ihipStream_tbEUlT_E0_NS1_11comp_targetILNS1_3genE4ELNS1_11target_archE910ELNS1_3gpuE8ELNS1_3repE0EEENS1_60segmented_radix_sort_warp_sort_medium_config_static_selectorELNS0_4arch9wavefront6targetE1EEEvSK_.num_vgpr, 0
	.set _ZN7rocprim17ROCPRIM_400000_NS6detail17trampoline_kernelINS0_14default_configENS1_36segmented_radix_sort_config_selectorIalEEZNS1_25segmented_radix_sort_implIS3_Lb1EPKaPaPKlPlN2at6native12_GLOBAL__N_18offset_tEEE10hipError_tPvRmT1_PNSt15iterator_traitsISK_E10value_typeET2_T3_PNSL_ISQ_E10value_typeET4_jRbjT5_SW_jjP12ihipStream_tbEUlT_E0_NS1_11comp_targetILNS1_3genE4ELNS1_11target_archE910ELNS1_3gpuE8ELNS1_3repE0EEENS1_60segmented_radix_sort_warp_sort_medium_config_static_selectorELNS0_4arch9wavefront6targetE1EEEvSK_.num_agpr, 0
	.set _ZN7rocprim17ROCPRIM_400000_NS6detail17trampoline_kernelINS0_14default_configENS1_36segmented_radix_sort_config_selectorIalEEZNS1_25segmented_radix_sort_implIS3_Lb1EPKaPaPKlPlN2at6native12_GLOBAL__N_18offset_tEEE10hipError_tPvRmT1_PNSt15iterator_traitsISK_E10value_typeET2_T3_PNSL_ISQ_E10value_typeET4_jRbjT5_SW_jjP12ihipStream_tbEUlT_E0_NS1_11comp_targetILNS1_3genE4ELNS1_11target_archE910ELNS1_3gpuE8ELNS1_3repE0EEENS1_60segmented_radix_sort_warp_sort_medium_config_static_selectorELNS0_4arch9wavefront6targetE1EEEvSK_.numbered_sgpr, 0
	.set _ZN7rocprim17ROCPRIM_400000_NS6detail17trampoline_kernelINS0_14default_configENS1_36segmented_radix_sort_config_selectorIalEEZNS1_25segmented_radix_sort_implIS3_Lb1EPKaPaPKlPlN2at6native12_GLOBAL__N_18offset_tEEE10hipError_tPvRmT1_PNSt15iterator_traitsISK_E10value_typeET2_T3_PNSL_ISQ_E10value_typeET4_jRbjT5_SW_jjP12ihipStream_tbEUlT_E0_NS1_11comp_targetILNS1_3genE4ELNS1_11target_archE910ELNS1_3gpuE8ELNS1_3repE0EEENS1_60segmented_radix_sort_warp_sort_medium_config_static_selectorELNS0_4arch9wavefront6targetE1EEEvSK_.num_named_barrier, 0
	.set _ZN7rocprim17ROCPRIM_400000_NS6detail17trampoline_kernelINS0_14default_configENS1_36segmented_radix_sort_config_selectorIalEEZNS1_25segmented_radix_sort_implIS3_Lb1EPKaPaPKlPlN2at6native12_GLOBAL__N_18offset_tEEE10hipError_tPvRmT1_PNSt15iterator_traitsISK_E10value_typeET2_T3_PNSL_ISQ_E10value_typeET4_jRbjT5_SW_jjP12ihipStream_tbEUlT_E0_NS1_11comp_targetILNS1_3genE4ELNS1_11target_archE910ELNS1_3gpuE8ELNS1_3repE0EEENS1_60segmented_radix_sort_warp_sort_medium_config_static_selectorELNS0_4arch9wavefront6targetE1EEEvSK_.private_seg_size, 0
	.set _ZN7rocprim17ROCPRIM_400000_NS6detail17trampoline_kernelINS0_14default_configENS1_36segmented_radix_sort_config_selectorIalEEZNS1_25segmented_radix_sort_implIS3_Lb1EPKaPaPKlPlN2at6native12_GLOBAL__N_18offset_tEEE10hipError_tPvRmT1_PNSt15iterator_traitsISK_E10value_typeET2_T3_PNSL_ISQ_E10value_typeET4_jRbjT5_SW_jjP12ihipStream_tbEUlT_E0_NS1_11comp_targetILNS1_3genE4ELNS1_11target_archE910ELNS1_3gpuE8ELNS1_3repE0EEENS1_60segmented_radix_sort_warp_sort_medium_config_static_selectorELNS0_4arch9wavefront6targetE1EEEvSK_.uses_vcc, 0
	.set _ZN7rocprim17ROCPRIM_400000_NS6detail17trampoline_kernelINS0_14default_configENS1_36segmented_radix_sort_config_selectorIalEEZNS1_25segmented_radix_sort_implIS3_Lb1EPKaPaPKlPlN2at6native12_GLOBAL__N_18offset_tEEE10hipError_tPvRmT1_PNSt15iterator_traitsISK_E10value_typeET2_T3_PNSL_ISQ_E10value_typeET4_jRbjT5_SW_jjP12ihipStream_tbEUlT_E0_NS1_11comp_targetILNS1_3genE4ELNS1_11target_archE910ELNS1_3gpuE8ELNS1_3repE0EEENS1_60segmented_radix_sort_warp_sort_medium_config_static_selectorELNS0_4arch9wavefront6targetE1EEEvSK_.uses_flat_scratch, 0
	.set _ZN7rocprim17ROCPRIM_400000_NS6detail17trampoline_kernelINS0_14default_configENS1_36segmented_radix_sort_config_selectorIalEEZNS1_25segmented_radix_sort_implIS3_Lb1EPKaPaPKlPlN2at6native12_GLOBAL__N_18offset_tEEE10hipError_tPvRmT1_PNSt15iterator_traitsISK_E10value_typeET2_T3_PNSL_ISQ_E10value_typeET4_jRbjT5_SW_jjP12ihipStream_tbEUlT_E0_NS1_11comp_targetILNS1_3genE4ELNS1_11target_archE910ELNS1_3gpuE8ELNS1_3repE0EEENS1_60segmented_radix_sort_warp_sort_medium_config_static_selectorELNS0_4arch9wavefront6targetE1EEEvSK_.has_dyn_sized_stack, 0
	.set _ZN7rocprim17ROCPRIM_400000_NS6detail17trampoline_kernelINS0_14default_configENS1_36segmented_radix_sort_config_selectorIalEEZNS1_25segmented_radix_sort_implIS3_Lb1EPKaPaPKlPlN2at6native12_GLOBAL__N_18offset_tEEE10hipError_tPvRmT1_PNSt15iterator_traitsISK_E10value_typeET2_T3_PNSL_ISQ_E10value_typeET4_jRbjT5_SW_jjP12ihipStream_tbEUlT_E0_NS1_11comp_targetILNS1_3genE4ELNS1_11target_archE910ELNS1_3gpuE8ELNS1_3repE0EEENS1_60segmented_radix_sort_warp_sort_medium_config_static_selectorELNS0_4arch9wavefront6targetE1EEEvSK_.has_recursion, 0
	.set _ZN7rocprim17ROCPRIM_400000_NS6detail17trampoline_kernelINS0_14default_configENS1_36segmented_radix_sort_config_selectorIalEEZNS1_25segmented_radix_sort_implIS3_Lb1EPKaPaPKlPlN2at6native12_GLOBAL__N_18offset_tEEE10hipError_tPvRmT1_PNSt15iterator_traitsISK_E10value_typeET2_T3_PNSL_ISQ_E10value_typeET4_jRbjT5_SW_jjP12ihipStream_tbEUlT_E0_NS1_11comp_targetILNS1_3genE4ELNS1_11target_archE910ELNS1_3gpuE8ELNS1_3repE0EEENS1_60segmented_radix_sort_warp_sort_medium_config_static_selectorELNS0_4arch9wavefront6targetE1EEEvSK_.has_indirect_call, 0
	.section	.AMDGPU.csdata,"",@progbits
; Kernel info:
; codeLenInByte = 0
; TotalNumSgprs: 4
; NumVgprs: 0
; ScratchSize: 0
; MemoryBound: 0
; FloatMode: 240
; IeeeMode: 1
; LDSByteSize: 0 bytes/workgroup (compile time only)
; SGPRBlocks: 0
; VGPRBlocks: 0
; NumSGPRsForWavesPerEU: 4
; NumVGPRsForWavesPerEU: 1
; Occupancy: 10
; WaveLimiterHint : 0
; COMPUTE_PGM_RSRC2:SCRATCH_EN: 0
; COMPUTE_PGM_RSRC2:USER_SGPR: 6
; COMPUTE_PGM_RSRC2:TRAP_HANDLER: 0
; COMPUTE_PGM_RSRC2:TGID_X_EN: 1
; COMPUTE_PGM_RSRC2:TGID_Y_EN: 0
; COMPUTE_PGM_RSRC2:TGID_Z_EN: 0
; COMPUTE_PGM_RSRC2:TIDIG_COMP_CNT: 0
	.section	.text._ZN7rocprim17ROCPRIM_400000_NS6detail17trampoline_kernelINS0_14default_configENS1_36segmented_radix_sort_config_selectorIalEEZNS1_25segmented_radix_sort_implIS3_Lb1EPKaPaPKlPlN2at6native12_GLOBAL__N_18offset_tEEE10hipError_tPvRmT1_PNSt15iterator_traitsISK_E10value_typeET2_T3_PNSL_ISQ_E10value_typeET4_jRbjT5_SW_jjP12ihipStream_tbEUlT_E0_NS1_11comp_targetILNS1_3genE3ELNS1_11target_archE908ELNS1_3gpuE7ELNS1_3repE0EEENS1_60segmented_radix_sort_warp_sort_medium_config_static_selectorELNS0_4arch9wavefront6targetE1EEEvSK_,"axG",@progbits,_ZN7rocprim17ROCPRIM_400000_NS6detail17trampoline_kernelINS0_14default_configENS1_36segmented_radix_sort_config_selectorIalEEZNS1_25segmented_radix_sort_implIS3_Lb1EPKaPaPKlPlN2at6native12_GLOBAL__N_18offset_tEEE10hipError_tPvRmT1_PNSt15iterator_traitsISK_E10value_typeET2_T3_PNSL_ISQ_E10value_typeET4_jRbjT5_SW_jjP12ihipStream_tbEUlT_E0_NS1_11comp_targetILNS1_3genE3ELNS1_11target_archE908ELNS1_3gpuE7ELNS1_3repE0EEENS1_60segmented_radix_sort_warp_sort_medium_config_static_selectorELNS0_4arch9wavefront6targetE1EEEvSK_,comdat
	.globl	_ZN7rocprim17ROCPRIM_400000_NS6detail17trampoline_kernelINS0_14default_configENS1_36segmented_radix_sort_config_selectorIalEEZNS1_25segmented_radix_sort_implIS3_Lb1EPKaPaPKlPlN2at6native12_GLOBAL__N_18offset_tEEE10hipError_tPvRmT1_PNSt15iterator_traitsISK_E10value_typeET2_T3_PNSL_ISQ_E10value_typeET4_jRbjT5_SW_jjP12ihipStream_tbEUlT_E0_NS1_11comp_targetILNS1_3genE3ELNS1_11target_archE908ELNS1_3gpuE7ELNS1_3repE0EEENS1_60segmented_radix_sort_warp_sort_medium_config_static_selectorELNS0_4arch9wavefront6targetE1EEEvSK_ ; -- Begin function _ZN7rocprim17ROCPRIM_400000_NS6detail17trampoline_kernelINS0_14default_configENS1_36segmented_radix_sort_config_selectorIalEEZNS1_25segmented_radix_sort_implIS3_Lb1EPKaPaPKlPlN2at6native12_GLOBAL__N_18offset_tEEE10hipError_tPvRmT1_PNSt15iterator_traitsISK_E10value_typeET2_T3_PNSL_ISQ_E10value_typeET4_jRbjT5_SW_jjP12ihipStream_tbEUlT_E0_NS1_11comp_targetILNS1_3genE3ELNS1_11target_archE908ELNS1_3gpuE7ELNS1_3repE0EEENS1_60segmented_radix_sort_warp_sort_medium_config_static_selectorELNS0_4arch9wavefront6targetE1EEEvSK_
	.p2align	8
	.type	_ZN7rocprim17ROCPRIM_400000_NS6detail17trampoline_kernelINS0_14default_configENS1_36segmented_radix_sort_config_selectorIalEEZNS1_25segmented_radix_sort_implIS3_Lb1EPKaPaPKlPlN2at6native12_GLOBAL__N_18offset_tEEE10hipError_tPvRmT1_PNSt15iterator_traitsISK_E10value_typeET2_T3_PNSL_ISQ_E10value_typeET4_jRbjT5_SW_jjP12ihipStream_tbEUlT_E0_NS1_11comp_targetILNS1_3genE3ELNS1_11target_archE908ELNS1_3gpuE7ELNS1_3repE0EEENS1_60segmented_radix_sort_warp_sort_medium_config_static_selectorELNS0_4arch9wavefront6targetE1EEEvSK_,@function
_ZN7rocprim17ROCPRIM_400000_NS6detail17trampoline_kernelINS0_14default_configENS1_36segmented_radix_sort_config_selectorIalEEZNS1_25segmented_radix_sort_implIS3_Lb1EPKaPaPKlPlN2at6native12_GLOBAL__N_18offset_tEEE10hipError_tPvRmT1_PNSt15iterator_traitsISK_E10value_typeET2_T3_PNSL_ISQ_E10value_typeET4_jRbjT5_SW_jjP12ihipStream_tbEUlT_E0_NS1_11comp_targetILNS1_3genE3ELNS1_11target_archE908ELNS1_3gpuE7ELNS1_3repE0EEENS1_60segmented_radix_sort_warp_sort_medium_config_static_selectorELNS0_4arch9wavefront6targetE1EEEvSK_: ; @_ZN7rocprim17ROCPRIM_400000_NS6detail17trampoline_kernelINS0_14default_configENS1_36segmented_radix_sort_config_selectorIalEEZNS1_25segmented_radix_sort_implIS3_Lb1EPKaPaPKlPlN2at6native12_GLOBAL__N_18offset_tEEE10hipError_tPvRmT1_PNSt15iterator_traitsISK_E10value_typeET2_T3_PNSL_ISQ_E10value_typeET4_jRbjT5_SW_jjP12ihipStream_tbEUlT_E0_NS1_11comp_targetILNS1_3genE3ELNS1_11target_archE908ELNS1_3gpuE7ELNS1_3repE0EEENS1_60segmented_radix_sort_warp_sort_medium_config_static_selectorELNS0_4arch9wavefront6targetE1EEEvSK_
; %bb.0:
	.section	.rodata,"a",@progbits
	.p2align	6, 0x0
	.amdhsa_kernel _ZN7rocprim17ROCPRIM_400000_NS6detail17trampoline_kernelINS0_14default_configENS1_36segmented_radix_sort_config_selectorIalEEZNS1_25segmented_radix_sort_implIS3_Lb1EPKaPaPKlPlN2at6native12_GLOBAL__N_18offset_tEEE10hipError_tPvRmT1_PNSt15iterator_traitsISK_E10value_typeET2_T3_PNSL_ISQ_E10value_typeET4_jRbjT5_SW_jjP12ihipStream_tbEUlT_E0_NS1_11comp_targetILNS1_3genE3ELNS1_11target_archE908ELNS1_3gpuE7ELNS1_3repE0EEENS1_60segmented_radix_sort_warp_sort_medium_config_static_selectorELNS0_4arch9wavefront6targetE1EEEvSK_
		.amdhsa_group_segment_fixed_size 0
		.amdhsa_private_segment_fixed_size 0
		.amdhsa_kernarg_size 88
		.amdhsa_user_sgpr_count 6
		.amdhsa_user_sgpr_private_segment_buffer 1
		.amdhsa_user_sgpr_dispatch_ptr 0
		.amdhsa_user_sgpr_queue_ptr 0
		.amdhsa_user_sgpr_kernarg_segment_ptr 1
		.amdhsa_user_sgpr_dispatch_id 0
		.amdhsa_user_sgpr_flat_scratch_init 0
		.amdhsa_user_sgpr_private_segment_size 0
		.amdhsa_uses_dynamic_stack 0
		.amdhsa_system_sgpr_private_segment_wavefront_offset 0
		.amdhsa_system_sgpr_workgroup_id_x 1
		.amdhsa_system_sgpr_workgroup_id_y 0
		.amdhsa_system_sgpr_workgroup_id_z 0
		.amdhsa_system_sgpr_workgroup_info 0
		.amdhsa_system_vgpr_workitem_id 0
		.amdhsa_next_free_vgpr 1
		.amdhsa_next_free_sgpr 0
		.amdhsa_reserve_vcc 0
		.amdhsa_reserve_flat_scratch 0
		.amdhsa_float_round_mode_32 0
		.amdhsa_float_round_mode_16_64 0
		.amdhsa_float_denorm_mode_32 3
		.amdhsa_float_denorm_mode_16_64 3
		.amdhsa_dx10_clamp 1
		.amdhsa_ieee_mode 1
		.amdhsa_fp16_overflow 0
		.amdhsa_exception_fp_ieee_invalid_op 0
		.amdhsa_exception_fp_denorm_src 0
		.amdhsa_exception_fp_ieee_div_zero 0
		.amdhsa_exception_fp_ieee_overflow 0
		.amdhsa_exception_fp_ieee_underflow 0
		.amdhsa_exception_fp_ieee_inexact 0
		.amdhsa_exception_int_div_zero 0
	.end_amdhsa_kernel
	.section	.text._ZN7rocprim17ROCPRIM_400000_NS6detail17trampoline_kernelINS0_14default_configENS1_36segmented_radix_sort_config_selectorIalEEZNS1_25segmented_radix_sort_implIS3_Lb1EPKaPaPKlPlN2at6native12_GLOBAL__N_18offset_tEEE10hipError_tPvRmT1_PNSt15iterator_traitsISK_E10value_typeET2_T3_PNSL_ISQ_E10value_typeET4_jRbjT5_SW_jjP12ihipStream_tbEUlT_E0_NS1_11comp_targetILNS1_3genE3ELNS1_11target_archE908ELNS1_3gpuE7ELNS1_3repE0EEENS1_60segmented_radix_sort_warp_sort_medium_config_static_selectorELNS0_4arch9wavefront6targetE1EEEvSK_,"axG",@progbits,_ZN7rocprim17ROCPRIM_400000_NS6detail17trampoline_kernelINS0_14default_configENS1_36segmented_radix_sort_config_selectorIalEEZNS1_25segmented_radix_sort_implIS3_Lb1EPKaPaPKlPlN2at6native12_GLOBAL__N_18offset_tEEE10hipError_tPvRmT1_PNSt15iterator_traitsISK_E10value_typeET2_T3_PNSL_ISQ_E10value_typeET4_jRbjT5_SW_jjP12ihipStream_tbEUlT_E0_NS1_11comp_targetILNS1_3genE3ELNS1_11target_archE908ELNS1_3gpuE7ELNS1_3repE0EEENS1_60segmented_radix_sort_warp_sort_medium_config_static_selectorELNS0_4arch9wavefront6targetE1EEEvSK_,comdat
.Lfunc_end303:
	.size	_ZN7rocprim17ROCPRIM_400000_NS6detail17trampoline_kernelINS0_14default_configENS1_36segmented_radix_sort_config_selectorIalEEZNS1_25segmented_radix_sort_implIS3_Lb1EPKaPaPKlPlN2at6native12_GLOBAL__N_18offset_tEEE10hipError_tPvRmT1_PNSt15iterator_traitsISK_E10value_typeET2_T3_PNSL_ISQ_E10value_typeET4_jRbjT5_SW_jjP12ihipStream_tbEUlT_E0_NS1_11comp_targetILNS1_3genE3ELNS1_11target_archE908ELNS1_3gpuE7ELNS1_3repE0EEENS1_60segmented_radix_sort_warp_sort_medium_config_static_selectorELNS0_4arch9wavefront6targetE1EEEvSK_, .Lfunc_end303-_ZN7rocprim17ROCPRIM_400000_NS6detail17trampoline_kernelINS0_14default_configENS1_36segmented_radix_sort_config_selectorIalEEZNS1_25segmented_radix_sort_implIS3_Lb1EPKaPaPKlPlN2at6native12_GLOBAL__N_18offset_tEEE10hipError_tPvRmT1_PNSt15iterator_traitsISK_E10value_typeET2_T3_PNSL_ISQ_E10value_typeET4_jRbjT5_SW_jjP12ihipStream_tbEUlT_E0_NS1_11comp_targetILNS1_3genE3ELNS1_11target_archE908ELNS1_3gpuE7ELNS1_3repE0EEENS1_60segmented_radix_sort_warp_sort_medium_config_static_selectorELNS0_4arch9wavefront6targetE1EEEvSK_
                                        ; -- End function
	.set _ZN7rocprim17ROCPRIM_400000_NS6detail17trampoline_kernelINS0_14default_configENS1_36segmented_radix_sort_config_selectorIalEEZNS1_25segmented_radix_sort_implIS3_Lb1EPKaPaPKlPlN2at6native12_GLOBAL__N_18offset_tEEE10hipError_tPvRmT1_PNSt15iterator_traitsISK_E10value_typeET2_T3_PNSL_ISQ_E10value_typeET4_jRbjT5_SW_jjP12ihipStream_tbEUlT_E0_NS1_11comp_targetILNS1_3genE3ELNS1_11target_archE908ELNS1_3gpuE7ELNS1_3repE0EEENS1_60segmented_radix_sort_warp_sort_medium_config_static_selectorELNS0_4arch9wavefront6targetE1EEEvSK_.num_vgpr, 0
	.set _ZN7rocprim17ROCPRIM_400000_NS6detail17trampoline_kernelINS0_14default_configENS1_36segmented_radix_sort_config_selectorIalEEZNS1_25segmented_radix_sort_implIS3_Lb1EPKaPaPKlPlN2at6native12_GLOBAL__N_18offset_tEEE10hipError_tPvRmT1_PNSt15iterator_traitsISK_E10value_typeET2_T3_PNSL_ISQ_E10value_typeET4_jRbjT5_SW_jjP12ihipStream_tbEUlT_E0_NS1_11comp_targetILNS1_3genE3ELNS1_11target_archE908ELNS1_3gpuE7ELNS1_3repE0EEENS1_60segmented_radix_sort_warp_sort_medium_config_static_selectorELNS0_4arch9wavefront6targetE1EEEvSK_.num_agpr, 0
	.set _ZN7rocprim17ROCPRIM_400000_NS6detail17trampoline_kernelINS0_14default_configENS1_36segmented_radix_sort_config_selectorIalEEZNS1_25segmented_radix_sort_implIS3_Lb1EPKaPaPKlPlN2at6native12_GLOBAL__N_18offset_tEEE10hipError_tPvRmT1_PNSt15iterator_traitsISK_E10value_typeET2_T3_PNSL_ISQ_E10value_typeET4_jRbjT5_SW_jjP12ihipStream_tbEUlT_E0_NS1_11comp_targetILNS1_3genE3ELNS1_11target_archE908ELNS1_3gpuE7ELNS1_3repE0EEENS1_60segmented_radix_sort_warp_sort_medium_config_static_selectorELNS0_4arch9wavefront6targetE1EEEvSK_.numbered_sgpr, 0
	.set _ZN7rocprim17ROCPRIM_400000_NS6detail17trampoline_kernelINS0_14default_configENS1_36segmented_radix_sort_config_selectorIalEEZNS1_25segmented_radix_sort_implIS3_Lb1EPKaPaPKlPlN2at6native12_GLOBAL__N_18offset_tEEE10hipError_tPvRmT1_PNSt15iterator_traitsISK_E10value_typeET2_T3_PNSL_ISQ_E10value_typeET4_jRbjT5_SW_jjP12ihipStream_tbEUlT_E0_NS1_11comp_targetILNS1_3genE3ELNS1_11target_archE908ELNS1_3gpuE7ELNS1_3repE0EEENS1_60segmented_radix_sort_warp_sort_medium_config_static_selectorELNS0_4arch9wavefront6targetE1EEEvSK_.num_named_barrier, 0
	.set _ZN7rocprim17ROCPRIM_400000_NS6detail17trampoline_kernelINS0_14default_configENS1_36segmented_radix_sort_config_selectorIalEEZNS1_25segmented_radix_sort_implIS3_Lb1EPKaPaPKlPlN2at6native12_GLOBAL__N_18offset_tEEE10hipError_tPvRmT1_PNSt15iterator_traitsISK_E10value_typeET2_T3_PNSL_ISQ_E10value_typeET4_jRbjT5_SW_jjP12ihipStream_tbEUlT_E0_NS1_11comp_targetILNS1_3genE3ELNS1_11target_archE908ELNS1_3gpuE7ELNS1_3repE0EEENS1_60segmented_radix_sort_warp_sort_medium_config_static_selectorELNS0_4arch9wavefront6targetE1EEEvSK_.private_seg_size, 0
	.set _ZN7rocprim17ROCPRIM_400000_NS6detail17trampoline_kernelINS0_14default_configENS1_36segmented_radix_sort_config_selectorIalEEZNS1_25segmented_radix_sort_implIS3_Lb1EPKaPaPKlPlN2at6native12_GLOBAL__N_18offset_tEEE10hipError_tPvRmT1_PNSt15iterator_traitsISK_E10value_typeET2_T3_PNSL_ISQ_E10value_typeET4_jRbjT5_SW_jjP12ihipStream_tbEUlT_E0_NS1_11comp_targetILNS1_3genE3ELNS1_11target_archE908ELNS1_3gpuE7ELNS1_3repE0EEENS1_60segmented_radix_sort_warp_sort_medium_config_static_selectorELNS0_4arch9wavefront6targetE1EEEvSK_.uses_vcc, 0
	.set _ZN7rocprim17ROCPRIM_400000_NS6detail17trampoline_kernelINS0_14default_configENS1_36segmented_radix_sort_config_selectorIalEEZNS1_25segmented_radix_sort_implIS3_Lb1EPKaPaPKlPlN2at6native12_GLOBAL__N_18offset_tEEE10hipError_tPvRmT1_PNSt15iterator_traitsISK_E10value_typeET2_T3_PNSL_ISQ_E10value_typeET4_jRbjT5_SW_jjP12ihipStream_tbEUlT_E0_NS1_11comp_targetILNS1_3genE3ELNS1_11target_archE908ELNS1_3gpuE7ELNS1_3repE0EEENS1_60segmented_radix_sort_warp_sort_medium_config_static_selectorELNS0_4arch9wavefront6targetE1EEEvSK_.uses_flat_scratch, 0
	.set _ZN7rocprim17ROCPRIM_400000_NS6detail17trampoline_kernelINS0_14default_configENS1_36segmented_radix_sort_config_selectorIalEEZNS1_25segmented_radix_sort_implIS3_Lb1EPKaPaPKlPlN2at6native12_GLOBAL__N_18offset_tEEE10hipError_tPvRmT1_PNSt15iterator_traitsISK_E10value_typeET2_T3_PNSL_ISQ_E10value_typeET4_jRbjT5_SW_jjP12ihipStream_tbEUlT_E0_NS1_11comp_targetILNS1_3genE3ELNS1_11target_archE908ELNS1_3gpuE7ELNS1_3repE0EEENS1_60segmented_radix_sort_warp_sort_medium_config_static_selectorELNS0_4arch9wavefront6targetE1EEEvSK_.has_dyn_sized_stack, 0
	.set _ZN7rocprim17ROCPRIM_400000_NS6detail17trampoline_kernelINS0_14default_configENS1_36segmented_radix_sort_config_selectorIalEEZNS1_25segmented_radix_sort_implIS3_Lb1EPKaPaPKlPlN2at6native12_GLOBAL__N_18offset_tEEE10hipError_tPvRmT1_PNSt15iterator_traitsISK_E10value_typeET2_T3_PNSL_ISQ_E10value_typeET4_jRbjT5_SW_jjP12ihipStream_tbEUlT_E0_NS1_11comp_targetILNS1_3genE3ELNS1_11target_archE908ELNS1_3gpuE7ELNS1_3repE0EEENS1_60segmented_radix_sort_warp_sort_medium_config_static_selectorELNS0_4arch9wavefront6targetE1EEEvSK_.has_recursion, 0
	.set _ZN7rocprim17ROCPRIM_400000_NS6detail17trampoline_kernelINS0_14default_configENS1_36segmented_radix_sort_config_selectorIalEEZNS1_25segmented_radix_sort_implIS3_Lb1EPKaPaPKlPlN2at6native12_GLOBAL__N_18offset_tEEE10hipError_tPvRmT1_PNSt15iterator_traitsISK_E10value_typeET2_T3_PNSL_ISQ_E10value_typeET4_jRbjT5_SW_jjP12ihipStream_tbEUlT_E0_NS1_11comp_targetILNS1_3genE3ELNS1_11target_archE908ELNS1_3gpuE7ELNS1_3repE0EEENS1_60segmented_radix_sort_warp_sort_medium_config_static_selectorELNS0_4arch9wavefront6targetE1EEEvSK_.has_indirect_call, 0
	.section	.AMDGPU.csdata,"",@progbits
; Kernel info:
; codeLenInByte = 0
; TotalNumSgprs: 4
; NumVgprs: 0
; ScratchSize: 0
; MemoryBound: 0
; FloatMode: 240
; IeeeMode: 1
; LDSByteSize: 0 bytes/workgroup (compile time only)
; SGPRBlocks: 0
; VGPRBlocks: 0
; NumSGPRsForWavesPerEU: 4
; NumVGPRsForWavesPerEU: 1
; Occupancy: 10
; WaveLimiterHint : 0
; COMPUTE_PGM_RSRC2:SCRATCH_EN: 0
; COMPUTE_PGM_RSRC2:USER_SGPR: 6
; COMPUTE_PGM_RSRC2:TRAP_HANDLER: 0
; COMPUTE_PGM_RSRC2:TGID_X_EN: 1
; COMPUTE_PGM_RSRC2:TGID_Y_EN: 0
; COMPUTE_PGM_RSRC2:TGID_Z_EN: 0
; COMPUTE_PGM_RSRC2:TIDIG_COMP_CNT: 0
	.text
	.p2align	2                               ; -- Begin function _ZN7rocprim17ROCPRIM_400000_NS6detail26segmented_warp_sort_helperINS1_20WarpSortHelperConfigILj16ELj8ELj256EEEalLi256ELb1EvE4sortIPKaPaPKlPlEEvT_T0_T1_T2_jjjjRNS5_12storage_typeE
	.type	_ZN7rocprim17ROCPRIM_400000_NS6detail26segmented_warp_sort_helperINS1_20WarpSortHelperConfigILj16ELj8ELj256EEEalLi256ELb1EvE4sortIPKaPaPKlPlEEvT_T0_T1_T2_jjjjRNS5_12storage_typeE,@function
_ZN7rocprim17ROCPRIM_400000_NS6detail26segmented_warp_sort_helperINS1_20WarpSortHelperConfigILj16ELj8ELj256EEEalLi256ELb1EvE4sortIPKaPaPKlPlEEvT_T0_T1_T2_jjjjRNS5_12storage_typeE: ; @_ZN7rocprim17ROCPRIM_400000_NS6detail26segmented_warp_sort_helperINS1_20WarpSortHelperConfigILj16ELj8ELj256EEEalLi256ELb1EvE4sortIPKaPaPKlPlEEvT_T0_T1_T2_jjjjRNS5_12storage_typeE
; %bb.0:
	s_waitcnt vmcnt(0) expcnt(0) lgkmcnt(0)
	v_mbcnt_lo_u32_b32 v13, -1, 0
	v_mbcnt_hi_u32_b32 v13, -1, v13
	v_add_co_u32_e32 v0, vcc, v0, v8
	v_lshlrev_b32_e32 v34, 3, v13
	v_addc_co_u32_e32 v1, vcc, 0, v1, vcc
	v_and_b32_e32 v32, 0x78, v34
	v_add_co_u32_e32 v0, vcc, v0, v32
	v_sub_u32_e32 v12, v9, v8
	v_addc_co_u32_e32 v1, vcc, 0, v1, vcc
	v_mov_b32_e32 v20, 0x80
	v_mov_b32_e32 v9, 0
	v_cmp_lt_u32_e32 vcc, v32, v12
	v_mov_b32_e32 v37, 0x80
	v_mov_b32_e32 v35, 0x80
	;; [unrolled: 1-line block ×7, first 2 shown]
	s_and_saveexec_b64 s[4:5], vcc
	s_cbranch_execz .LBB304_2
; %bb.1:
	flat_load_ubyte v20, v[0:1]
	v_mov_b32_e32 v35, 0x80
	v_mov_b32_e32 v37, 0x80
	;; [unrolled: 1-line block ×7, first 2 shown]
.LBB304_2:
	s_or_b64 exec, exec, s[4:5]
	v_or_b32_e32 v13, 1, v32
	v_cmp_lt_u32_e64 s[4:5], v13, v12
	s_and_saveexec_b64 s[6:7], s[4:5]
	s_cbranch_execz .LBB304_4
; %bb.3:
	flat_load_ubyte v35, v[0:1] offset:1
.LBB304_4:
	s_or_b64 exec, exec, s[6:7]
	v_or_b32_e32 v13, 2, v32
	v_cmp_lt_u32_e64 s[6:7], v13, v12
	s_and_saveexec_b64 s[10:11], s[6:7]
	s_cbranch_execz .LBB304_6
; %bb.5:
	flat_load_ubyte v36, v[0:1] offset:2
.LBB304_6:
	s_or_b64 exec, exec, s[10:11]
	v_or_b32_e32 v13, 3, v32
	v_cmp_lt_u32_e64 s[18:19], v13, v12
	s_and_saveexec_b64 s[10:11], s[18:19]
	s_cbranch_execz .LBB304_8
; %bb.7:
	flat_load_ubyte v24, v[0:1] offset:3
.LBB304_8:
	s_or_b64 exec, exec, s[10:11]
	v_or_b32_e32 v13, 4, v32
	v_cmp_lt_u32_e64 s[10:11], v13, v12
	s_and_saveexec_b64 s[14:15], s[10:11]
	s_cbranch_execz .LBB304_10
; %bb.9:
	flat_load_ubyte v21, v[0:1] offset:4
.LBB304_10:
	s_or_b64 exec, exec, s[14:15]
	v_or_b32_e32 v13, 5, v32
	v_cmp_lt_u32_e64 s[26:27], v13, v12
	s_and_saveexec_b64 s[14:15], s[26:27]
	s_cbranch_execz .LBB304_12
; %bb.11:
	flat_load_ubyte v39, v[0:1] offset:5
.LBB304_12:
	s_or_b64 exec, exec, s[14:15]
	v_or_b32_e32 v13, 6, v32
	v_cmp_lt_u32_e64 s[14:15], v13, v12
	s_and_saveexec_b64 s[16:17], s[14:15]
	s_cbranch_execz .LBB304_14
; %bb.13:
	flat_load_ubyte v38, v[0:1] offset:6
.LBB304_14:
	s_or_b64 exec, exec, s[16:17]
	v_or_b32_e32 v13, 7, v32
	v_cmp_lt_u32_e64 s[16:17], v13, v12
	s_and_saveexec_b64 s[20:21], s[16:17]
	s_cbranch_execz .LBB304_16
; %bb.15:
	flat_load_ubyte v37, v[0:1] offset:7
.LBB304_16:
	s_or_b64 exec, exec, s[20:21]
	v_lshlrev_b64 v[0:1], 3, v[8:9]
	v_lshlrev_b32_e32 v33, 3, v32
	v_add_co_u32_e64 v4, s[20:21], v4, v0
	v_addc_co_u32_e64 v5, s[20:21], v5, v1, s[20:21]
	v_add_co_u32_e64 v29, s[20:21], v4, v33
	v_addc_co_u32_e64 v30, s[20:21], 0, v5, s[20:21]
	; wave barrier
                                        ; implicit-def: $vgpr4_vgpr5
	s_and_saveexec_b64 s[20:21], vcc
	s_cbranch_execnz .LBB304_135
; %bb.17:
	s_or_b64 exec, exec, s[20:21]
                                        ; implicit-def: $vgpr12_vgpr13
	s_and_saveexec_b64 s[20:21], s[4:5]
	s_cbranch_execnz .LBB304_136
.LBB304_18:
	s_or_b64 exec, exec, s[20:21]
                                        ; implicit-def: $vgpr14_vgpr15
	s_and_saveexec_b64 s[20:21], s[6:7]
	s_cbranch_execnz .LBB304_137
.LBB304_19:
	s_or_b64 exec, exec, s[20:21]
                                        ; implicit-def: $vgpr16_vgpr17
	s_and_saveexec_b64 s[20:21], s[18:19]
	s_cbranch_execnz .LBB304_138
.LBB304_20:
	s_or_b64 exec, exec, s[20:21]
                                        ; implicit-def: $vgpr22_vgpr23
	s_and_saveexec_b64 s[20:21], s[10:11]
	s_cbranch_execnz .LBB304_139
.LBB304_21:
	s_or_b64 exec, exec, s[20:21]
                                        ; implicit-def: $vgpr18_vgpr19
	s_and_saveexec_b64 s[20:21], s[26:27]
	s_cbranch_execnz .LBB304_140
.LBB304_22:
	s_or_b64 exec, exec, s[20:21]
                                        ; implicit-def: $vgpr25_vgpr26
	s_and_saveexec_b64 s[20:21], s[14:15]
	s_cbranch_execnz .LBB304_141
.LBB304_23:
	s_or_b64 exec, exec, s[20:21]
                                        ; implicit-def: $vgpr27_vgpr28
	s_and_saveexec_b64 s[20:21], s[16:17]
	s_cbranch_execz .LBB304_25
.LBB304_24:
	flat_load_dwordx2 v[27:28], v[29:30] offset:56
.LBB304_25:
	s_or_b64 exec, exec, s[20:21]
	v_cmp_ne_u32_e64 s[20:21], 0, v10
	v_cmp_ne_u32_e64 s[22:23], 8, v11
	s_or_b64 s[20:21], s[20:21], s[22:23]
	v_bfe_u32 v9, v31, 10, 10
	v_bfe_u32 v29, v31, 20, 10
	; wave barrier
	s_and_saveexec_b64 s[22:23], s[20:21]
	s_xor_b64 s[56:57], exec, s[22:23]
	s_cbranch_execz .LBB304_71
; %bb.26:
	s_load_dwordx2 s[20:21], s[8:9], 0x0
	v_mov_b32_e32 v30, 0
	v_lshlrev_b32_e64 v11, v11, -1
	v_lshlrev_b32_e64 v10, v10, -1
	s_movk_i32 s24, 0x800
	s_waitcnt lgkmcnt(0)
	s_cmp_lt_u32 s13, s21
	s_cselect_b32 s21, 14, 20
	s_add_u32 s22, s8, s21
	s_addc_u32 s23, s9, 0
	s_cmp_lt_u32 s12, s20
	s_cselect_b32 s20, 12, 18
	s_add_u32 s20, s8, s20
	s_addc_u32 s21, s9, 0
	global_load_ushort v48, v30, s[22:23]
	global_load_ushort v49, v30, s[20:21]
	v_xor_b32_e32 v11, v11, v10
	s_waitcnt vmcnt(0)
	v_mad_u32_u24 v9, v29, v48, v9
	v_mul_lo_u32 v9, v9, v49
	v_and_b32_e32 v29, 0x3ff, v31
	v_add_lshl_u32 v29, v9, v29, 3
	v_cmp_gt_u32_e64 s[20:21], s24, v29
	s_and_saveexec_b64 s[22:23], s[20:21]
	s_cbranch_execz .LBB304_30
; %bb.27:
	s_mov_b32 s20, 0xc0c0004
	v_perm_b32 v9, v21, v39, s20
	v_perm_b32 v10, v38, v37, s20
	;; [unrolled: 1-line block ×3, first 2 shown]
	v_lshl_or_b32 v9, v10, 16, v9
	v_perm_b32 v10, v20, v35, s20
	v_and_b32_e32 v21, v35, v11
	v_and_b32_e32 v30, v20, v11
	v_perm_b32 v20, v35, v20, s20
	v_lshlrev_b32_e32 v24, 16, v24
	v_or_b32_e32 v20, v20, v24
	v_or_b32_e32 v10, v10, v24
	v_cmp_gt_i16_sdwa s[20:21], sext(v21), sext(v30) src0_sel:BYTE_0 src1_sel:BYTE_0
	v_cndmask_b32_e64 v10, v10, v20, s[20:21]
	v_cndmask_b32_e64 v21, v12, v4, s[20:21]
	;; [unrolled: 1-line block ×3, first 2 shown]
	v_lshrrev_b32_e32 v12, 16, v10
	s_mov_b32 s28, 0xc0c0001
	v_cndmask_b32_e64 v24, v13, v5, s[20:21]
	v_cndmask_b32_e64 v5, v5, v13, s[20:21]
	v_perm_b32 v13, 0, v12, s28
	v_and_b32_sdwa v20, v10, v11 dst_sel:DWORD dst_unused:UNUSED_PAD src0_sel:BYTE_3 src1_sel:DWORD
	v_and_b32_e32 v12, v12, v11
	v_cmp_gt_i16_sdwa s[20:21], sext(v20), sext(v12) src0_sel:BYTE_0 src1_sel:BYTE_0
	v_lshlrev_b32_e32 v13, 16, v13
	s_mov_b32 s25, 0xffff
	v_cndmask_b32_e64 v12, v16, v14, s[20:21]
	v_cndmask_b32_e64 v14, v14, v16, s[20:21]
	v_lshrrev_b32_e32 v16, 8, v9
	v_and_or_b32 v13, v10, s25, v13
	v_cndmask_b32_e64 v20, v17, v15, s[20:21]
	v_cndmask_b32_e64 v15, v15, v17, s[20:21]
	s_mov_b32 s42, 0x7060405
	v_and_b32_e32 v16, v16, v11
	v_and_b32_e32 v17, v9, v11
	v_cndmask_b32_e64 v10, v10, v13, s[20:21]
	v_perm_b32 v13, v9, v9, s42
	v_cmp_gt_i16_sdwa s[20:21], sext(v16), sext(v17) src0_sel:BYTE_0 src1_sel:BYTE_0
	v_cndmask_b32_e64 v9, v9, v13, s[20:21]
	v_cndmask_b32_e64 v16, v22, v18, s[20:21]
	;; [unrolled: 1-line block ×3, first 2 shown]
	v_and_b32_sdwa v13, v9, v11 dst_sel:DWORD dst_unused:UNUSED_PAD src0_sel:BYTE_3 src1_sel:DWORD
	v_and_b32_sdwa v22, v9, v11 dst_sel:DWORD dst_unused:UNUSED_PAD src0_sel:WORD_1 src1_sel:DWORD
	s_mov_b32 s40, 0x6070504
	v_cndmask_b32_e64 v17, v23, v19, s[20:21]
	v_cndmask_b32_e64 v19, v19, v23, s[20:21]
	v_perm_b32 v23, v9, v9, s40
	v_cmp_gt_i16_sdwa s[20:21], sext(v13), sext(v22) src0_sel:BYTE_0 src1_sel:BYTE_0
	v_cndmask_b32_e64 v9, v9, v23, s[20:21]
	v_lshrrev_b32_e32 v23, 8, v10
	v_cndmask_b32_e64 v13, v25, v27, s[20:21]
	v_cndmask_b32_e64 v25, v27, v25, s[20:21]
	v_and_b32_sdwa v27, v10, v11 dst_sel:DWORD dst_unused:UNUSED_PAD src0_sel:WORD_1 src1_sel:DWORD
	v_and_b32_e32 v23, v23, v11
	s_mov_b32 s29, 0x7050604
	v_cndmask_b32_e64 v22, v26, v28, s[20:21]
	v_cndmask_b32_e64 v26, v28, v26, s[20:21]
	v_perm_b32 v28, v10, v10, s29
	v_cmp_gt_i16_sdwa s[20:21], sext(v27), sext(v23) src0_sel:BYTE_0 src1_sel:BYTE_0
	v_cndmask_b32_e64 v10, v10, v28, s[20:21]
	s_movk_i32 s43, 0xff
	v_cndmask_b32_e64 v23, v15, v24, s[20:21]
	v_cndmask_b32_e64 v15, v24, v15, s[20:21]
	v_and_b32_sdwa v24, v10, s43 dst_sel:DWORD dst_unused:UNUSED_PAD src0_sel:WORD_1 src1_sel:DWORD
	v_lshlrev_b16_e32 v28, 8, v9
	s_mov_b32 s41, 0x3020107
	v_or_b32_sdwa v24, v24, v28 dst_sel:WORD_1 dst_unused:UNUSED_PAD src0_sel:DWORD src1_sel:DWORD
	v_and_b32_e32 v28, v9, v11
	v_and_b32_sdwa v30, v10, v11 dst_sel:DWORD dst_unused:UNUSED_PAD src0_sel:BYTE_3 src1_sel:DWORD
	v_cndmask_b32_e64 v27, v14, v21, s[20:21]
	v_cndmask_b32_e64 v14, v21, v14, s[20:21]
	v_perm_b32 v21, v10, v9, s41
	v_cmp_gt_i16_sdwa s[20:21], sext(v28), sext(v30) src0_sel:BYTE_0 src1_sel:BYTE_0
	v_cndmask_b32_e64 v9, v9, v21, s[20:21]
	v_cndmask_b32_e64 v30, v12, v16, s[20:21]
	;; [unrolled: 1-line block ×3, first 2 shown]
	v_lshrrev_b32_e32 v16, 8, v9
	v_and_or_b32 v24, v10, s25, v24
	v_cndmask_b32_e64 v28, v20, v17, s[20:21]
	v_cndmask_b32_e64 v17, v17, v20, s[20:21]
	v_and_b32_sdwa v20, v9, v11 dst_sel:DWORD dst_unused:UNUSED_PAD src0_sel:WORD_1 src1_sel:DWORD
	v_and_b32_e32 v16, v16, v11
	v_cndmask_b32_e64 v10, v10, v24, s[20:21]
	v_perm_b32 v21, v9, v9, s29
	v_cmp_gt_i16_sdwa s[20:21], sext(v20), sext(v16) src0_sel:BYTE_0 src1_sel:BYTE_0
	v_cndmask_b32_e64 v9, v9, v21, s[20:21]
	v_lshrrev_b32_e32 v21, 8, v10
	v_cndmask_b32_e64 v16, v19, v22, s[20:21]
	v_cndmask_b32_e64 v20, v18, v13, s[20:21]
	v_cndmask_b32_e64 v19, v22, v19, s[20:21]
	v_cndmask_b32_e64 v13, v13, v18, s[20:21]
	v_perm_b32 v18, 0, v10, s28
	s_mov_b32 s44, 0xffff0000
	v_and_b32_e32 v21, v21, v11
	v_and_b32_e32 v22, v10, v11
	v_and_or_b32 v18, v10, s44, v18
	v_cmp_gt_i16_sdwa s[20:21], sext(v21), sext(v22) src0_sel:BYTE_0 src1_sel:BYTE_0
	v_cndmask_b32_e64 v10, v10, v18, s[20:21]
	v_cndmask_b32_e64 v21, v14, v4, s[20:21]
	;; [unrolled: 1-line block ×3, first 2 shown]
	v_lshrrev_b32_e32 v14, 16, v10
	v_cndmask_b32_e64 v22, v15, v5, s[20:21]
	v_cndmask_b32_e64 v5, v5, v15, s[20:21]
	v_perm_b32 v15, 0, v14, s28
	v_and_b32_sdwa v18, v10, v11 dst_sel:DWORD dst_unused:UNUSED_PAD src0_sel:BYTE_3 src1_sel:DWORD
	v_and_b32_e32 v14, v14, v11
	v_cmp_gt_i16_sdwa s[20:21], sext(v18), sext(v14) src0_sel:BYTE_0 src1_sel:BYTE_0
	v_lshlrev_b32_e32 v15, 16, v15
	v_cndmask_b32_e64 v14, v30, v27, s[20:21]
	v_cndmask_b32_e64 v24, v27, v30, s[20:21]
	v_lshrrev_b32_e32 v27, 8, v9
	v_and_or_b32 v15, v10, s25, v15
	v_cndmask_b32_e64 v18, v28, v23, s[20:21]
	v_cndmask_b32_e64 v23, v23, v28, s[20:21]
	v_and_b32_e32 v27, v27, v11
	v_and_b32_e32 v28, v9, v11
	v_cndmask_b32_e64 v10, v10, v15, s[20:21]
	v_perm_b32 v15, v9, v9, s42
	v_cmp_gt_i16_sdwa s[20:21], sext(v27), sext(v28) src0_sel:BYTE_0 src1_sel:BYTE_0
	v_cndmask_b32_e64 v9, v9, v15, s[20:21]
	v_cndmask_b32_e64 v28, v17, v16, s[20:21]
	;; [unrolled: 1-line block ×3, first 2 shown]
	v_and_b32_sdwa v15, v9, v11 dst_sel:DWORD dst_unused:UNUSED_PAD src0_sel:BYTE_3 src1_sel:DWORD
	v_and_b32_sdwa v17, v9, v11 dst_sel:DWORD dst_unused:UNUSED_PAD src0_sel:WORD_1 src1_sel:DWORD
	v_cndmask_b32_e64 v27, v12, v20, s[20:21]
	v_cndmask_b32_e64 v12, v20, v12, s[20:21]
	v_perm_b32 v20, v9, v9, s40
	v_cmp_gt_i16_sdwa s[20:21], sext(v15), sext(v17) src0_sel:BYTE_0 src1_sel:BYTE_0
	v_cndmask_b32_e64 v9, v9, v20, s[20:21]
	v_lshrrev_b32_e32 v20, 8, v10
	v_cndmask_b32_e64 v15, v13, v25, s[20:21]
	v_cndmask_b32_e64 v13, v25, v13, s[20:21]
	v_and_b32_sdwa v25, v10, v11 dst_sel:DWORD dst_unused:UNUSED_PAD src0_sel:WORD_1 src1_sel:DWORD
	v_and_b32_e32 v20, v20, v11
	v_cndmask_b32_e64 v17, v19, v26, s[20:21]
	v_cndmask_b32_e64 v19, v26, v19, s[20:21]
	v_perm_b32 v26, v10, v10, s29
	v_cmp_gt_i16_sdwa s[20:21], sext(v25), sext(v20) src0_sel:BYTE_0 src1_sel:BYTE_0
	v_cndmask_b32_e64 v10, v10, v26, s[20:21]
	v_cndmask_b32_e64 v25, v24, v21, s[20:21]
	;; [unrolled: 1-line block ×3, first 2 shown]
	v_and_b32_sdwa v24, v10, s43 dst_sel:DWORD dst_unused:UNUSED_PAD src0_sel:WORD_1 src1_sel:DWORD
	v_lshlrev_b16_e32 v26, 8, v9
	v_or_b32_sdwa v24, v24, v26 dst_sel:WORD_1 dst_unused:UNUSED_PAD src0_sel:DWORD src1_sel:DWORD
	v_and_b32_e32 v26, v9, v11
	v_and_b32_sdwa v30, v10, v11 dst_sel:DWORD dst_unused:UNUSED_PAD src0_sel:BYTE_3 src1_sel:DWORD
	v_cndmask_b32_e64 v20, v23, v22, s[20:21]
	v_cndmask_b32_e64 v22, v22, v23, s[20:21]
	v_perm_b32 v23, v10, v9, s41
	v_cmp_gt_i16_sdwa s[20:21], sext(v26), sext(v30) src0_sel:BYTE_0 src1_sel:BYTE_0
	v_cndmask_b32_e64 v9, v9, v23, s[20:21]
	v_and_or_b32 v24, v10, s25, v24
	v_lshrrev_b32_e32 v23, 8, v9
	v_cndmask_b32_e64 v10, v10, v24, s[20:21]
	v_and_b32_sdwa v24, v9, v11 dst_sel:DWORD dst_unused:UNUSED_PAD src0_sel:WORD_1 src1_sel:DWORD
	v_and_b32_e32 v23, v23, v11
	v_cndmask_b32_e64 v26, v18, v28, s[20:21]
	v_cndmask_b32_e64 v30, v14, v27, s[20:21]
	;; [unrolled: 1-line block ×4, first 2 shown]
	v_cmp_gt_i16_sdwa s[20:21], sext(v24), sext(v23) src0_sel:BYTE_0 src1_sel:BYTE_0
	v_perm_b32 v27, v9, v9, s29
	v_cndmask_b32_e64 v23, v16, v17, s[20:21]
	v_cndmask_b32_e64 v16, v17, v16, s[20:21]
	v_lshrrev_b32_e32 v17, 8, v10
	v_cndmask_b32_e64 v24, v12, v15, s[20:21]
	v_cndmask_b32_e64 v12, v15, v12, s[20:21]
	;; [unrolled: 1-line block ×3, first 2 shown]
	v_perm_b32 v15, 0, v10, s28
	v_and_b32_e32 v17, v17, v11
	v_and_b32_e32 v27, v10, v11
	v_and_or_b32 v15, v10, s44, v15
	v_cmp_gt_i16_sdwa s[20:21], sext(v17), sext(v27) src0_sel:BYTE_0 src1_sel:BYTE_0
	v_cndmask_b32_e64 v10, v10, v15, s[20:21]
	v_lshrrev_b32_e32 v15, 16, v10
	v_cndmask_b32_e64 v17, v21, v4, s[20:21]
	v_cndmask_b32_e64 v27, v22, v5, s[20:21]
	v_cndmask_b32_e64 v5, v5, v22, s[20:21]
	v_cndmask_b32_e64 v4, v4, v21, s[20:21]
	v_perm_b32 v21, 0, v15, s28
	v_and_b32_sdwa v22, v10, v11 dst_sel:DWORD dst_unused:UNUSED_PAD src0_sel:BYTE_3 src1_sel:DWORD
	v_and_b32_e32 v15, v15, v11
	v_cmp_gt_i16_sdwa s[20:21], sext(v22), sext(v15) src0_sel:BYTE_0 src1_sel:BYTE_0
	v_lshlrev_b32_e32 v21, 16, v21
	v_cndmask_b32_e64 v22, v26, v20, s[20:21]
	v_cndmask_b32_e64 v20, v20, v26, s[20:21]
	v_lshrrev_b32_e32 v26, 8, v9
	v_and_or_b32 v21, v10, s25, v21
	v_and_b32_e32 v26, v26, v11
	v_and_b32_e32 v28, v9, v11
	v_cndmask_b32_e64 v15, v30, v25, s[20:21]
	v_cndmask_b32_e64 v25, v25, v30, s[20:21]
	;; [unrolled: 1-line block ×3, first 2 shown]
	v_perm_b32 v21, v9, v9, s42
	v_cmp_gt_i16_sdwa s[20:21], sext(v26), sext(v28) src0_sel:BYTE_0 src1_sel:BYTE_0
	v_cndmask_b32_e64 v9, v9, v21, s[20:21]
	v_cndmask_b32_e64 v28, v18, v23, s[20:21]
	;; [unrolled: 1-line block ×3, first 2 shown]
	v_and_b32_sdwa v21, v9, v11 dst_sel:DWORD dst_unused:UNUSED_PAD src0_sel:BYTE_3 src1_sel:DWORD
	v_and_b32_sdwa v23, v9, v11 dst_sel:DWORD dst_unused:UNUSED_PAD src0_sel:WORD_1 src1_sel:DWORD
	v_cndmask_b32_e64 v26, v14, v24, s[20:21]
	v_cndmask_b32_e64 v14, v24, v14, s[20:21]
	v_cmp_gt_i16_sdwa s[20:21], sext(v21), sext(v23) src0_sel:BYTE_0 src1_sel:BYTE_0
	v_cndmask_b32_e64 v21, v12, v13, s[20:21]
	v_cndmask_b32_e64 v23, v16, v19, s[20:21]
	;; [unrolled: 1-line block ×4, first 2 shown]
	v_lshrrev_b32_e32 v16, 8, v10
	v_perm_b32 v24, v9, v9, s40
	v_and_b32_sdwa v19, v10, v11 dst_sel:DWORD dst_unused:UNUSED_PAD src0_sel:WORD_1 src1_sel:DWORD
	v_and_b32_e32 v16, v16, v11
	v_cndmask_b32_e64 v9, v9, v24, s[20:21]
	v_perm_b32 v24, v10, v10, s29
	v_cmp_gt_i16_sdwa s[20:21], sext(v19), sext(v16) src0_sel:BYTE_0 src1_sel:BYTE_0
	v_cndmask_b32_e64 v10, v10, v24, s[20:21]
	v_cndmask_b32_e64 v16, v20, v27, s[20:21]
	;; [unrolled: 1-line block ×5, first 2 shown]
	v_and_b32_sdwa v25, v10, s43 dst_sel:DWORD dst_unused:UNUSED_PAD src0_sel:WORD_1 src1_sel:DWORD
	v_lshlrev_b16_e32 v27, 8, v9
	v_or_b32_sdwa v25, v25, v27 dst_sel:WORD_1 dst_unused:UNUSED_PAD src0_sel:DWORD src1_sel:DWORD
	v_and_b32_e32 v27, v9, v11
	v_and_b32_sdwa v30, v10, v11 dst_sel:DWORD dst_unused:UNUSED_PAD src0_sel:BYTE_3 src1_sel:DWORD
	v_perm_b32 v24, v10, v9, s41
	v_cmp_gt_i16_sdwa s[20:21], sext(v27), sext(v30) src0_sel:BYTE_0 src1_sel:BYTE_0
	v_cndmask_b32_e64 v9, v9, v24, s[20:21]
	v_and_or_b32 v25, v10, s25, v25
	v_lshrrev_b32_e32 v24, 8, v9
	v_cndmask_b32_e64 v10, v10, v25, s[20:21]
	v_and_b32_sdwa v25, v9, v11 dst_sel:DWORD dst_unused:UNUSED_PAD src0_sel:WORD_1 src1_sel:DWORD
	v_and_b32_e32 v24, v24, v11
	v_cndmask_b32_e64 v27, v22, v28, s[20:21]
	v_cndmask_b32_e64 v30, v15, v26, s[20:21]
	;; [unrolled: 1-line block ×4, first 2 shown]
	v_cmp_gt_i16_sdwa s[20:21], sext(v25), sext(v24) src0_sel:BYTE_0 src1_sel:BYTE_0
	v_perm_b32 v26, v9, v9, s29
	v_cndmask_b32_e64 v24, v18, v23, s[20:21]
	v_cndmask_b32_e64 v25, v14, v21, s[20:21]
	;; [unrolled: 1-line block ×4, first 2 shown]
	v_lshrrev_b32_e32 v23, 8, v10
	v_cndmask_b32_e64 v9, v9, v26, s[20:21]
	v_perm_b32 v18, 0, v10, s28
	v_and_b32_e32 v23, v23, v11
	v_and_b32_e32 v26, v10, v11
	v_and_or_b32 v18, v10, s44, v18
	v_cmp_gt_i16_sdwa s[20:21], sext(v23), sext(v26) src0_sel:BYTE_0 src1_sel:BYTE_0
	v_cndmask_b32_e64 v10, v10, v18, s[20:21]
	v_cndmask_b32_e64 v23, v17, v4, s[20:21]
	;; [unrolled: 1-line block ×3, first 2 shown]
	v_lshrrev_b32_e32 v17, 16, v10
	v_perm_b32 v18, 0, v17, s28
	v_cndmask_b32_e64 v26, v20, v5, s[20:21]
	v_cndmask_b32_e64 v5, v5, v20, s[20:21]
	v_and_b32_sdwa v20, v10, v11 dst_sel:DWORD dst_unused:UNUSED_PAD src0_sel:BYTE_3 src1_sel:DWORD
	v_and_b32_e32 v17, v17, v11
	v_lshlrev_b32_e32 v18, 16, v18
	v_and_or_b32 v18, v10, s25, v18
	v_cmp_gt_i16_sdwa s[20:21], sext(v20), sext(v17) src0_sel:BYTE_0 src1_sel:BYTE_0
	v_cndmask_b32_e64 v20, v30, v19, s[20:21]
	v_cndmask_b32_e64 v17, v19, v30, s[20:21]
	;; [unrolled: 1-line block ×3, first 2 shown]
	v_lshrrev_b32_e32 v18, 8, v9
	v_and_b32_e32 v18, v18, v11
	v_and_b32_e32 v19, v9, v11
	v_cndmask_b32_e64 v31, v27, v16, s[20:21]
	v_cndmask_b32_e64 v16, v16, v27, s[20:21]
	v_perm_b32 v10, v9, v9, s42
	v_cmp_gt_i16_sdwa s[20:21], sext(v18), sext(v19) src0_sel:BYTE_0 src1_sel:BYTE_0
	v_cndmask_b32_e64 v35, v15, v25, s[20:21]
	v_cndmask_b32_e64 v18, v25, v15, s[20:21]
	;; [unrolled: 1-line block ×3, first 2 shown]
	v_and_b32_sdwa v9, v15, v11 dst_sel:DWORD dst_unused:UNUSED_PAD src0_sel:BYTE_3 src1_sel:DWORD
	v_and_b32_sdwa v10, v15, v11 dst_sel:DWORD dst_unused:UNUSED_PAD src0_sel:WORD_1 src1_sel:DWORD
	v_cndmask_b32_e64 v36, v22, v24, s[20:21]
	v_cndmask_b32_e64 v19, v24, v22, s[20:21]
	v_cmp_gt_i16_sdwa s[20:21], sext(v9), sext(v10) src0_sel:BYTE_0 src1_sel:BYTE_0
	v_cndmask_b32_e64 v9, v14, v12, s[20:21]
	v_cndmask_b32_e64 v27, v12, v14, s[20:21]
	v_lshrrev_b32_e32 v12, 8, v30
	v_perm_b32 v22, v15, v15, s40
	v_cndmask_b32_e64 v10, v21, v13, s[20:21]
	v_cndmask_b32_e64 v28, v13, v21, s[20:21]
	v_and_b32_sdwa v13, v30, v11 dst_sel:DWORD dst_unused:UNUSED_PAD src0_sel:WORD_1 src1_sel:DWORD
	v_and_b32_e32 v12, v12, v11
	v_cndmask_b32_e64 v21, v15, v22, s[20:21]
	v_perm_b32 v22, v30, v30, s29
	v_cmp_gt_i16_sdwa s[20:21], sext(v13), sext(v12) src0_sel:BYTE_0 src1_sel:BYTE_0
	v_cndmask_b32_e64 v24, v30, v22, s[20:21]
	v_cndmask_b32_e64 v15, v16, v26, s[20:21]
	v_cndmask_b32_e64 v14, v17, v23, s[20:21]
	v_cndmask_b32_e64 v13, v26, v16, s[20:21]
	v_cndmask_b32_e64 v12, v23, v17, s[20:21]
	v_and_b32_sdwa v16, v24, s43 dst_sel:DWORD dst_unused:UNUSED_PAD src0_sel:WORD_1 src1_sel:DWORD
	v_lshlrev_b16_e32 v17, 8, v21
	v_or_b32_sdwa v16, v16, v17 dst_sel:WORD_1 dst_unused:UNUSED_PAD src0_sel:DWORD src1_sel:DWORD
	v_and_b32_e32 v17, v21, v11
	v_and_b32_sdwa v22, v24, v11 dst_sel:DWORD dst_unused:UNUSED_PAD src0_sel:BYTE_3 src1_sel:DWORD
	v_perm_b32 v25, v24, v21, s41
	v_and_or_b32 v26, v24, s25, v16
	v_cmp_gt_i16_sdwa s[20:21], sext(v17), sext(v22) src0_sel:BYTE_0 src1_sel:BYTE_0
	v_cndmask_b32_e64 v16, v20, v35, s[20:21]
	v_cndmask_b32_e64 v22, v35, v20, s[20:21]
	;; [unrolled: 1-line block ×4, first 2 shown]
	v_lshrrev_b64 v[24:25], 24, v[20:21]
	v_lshrrev_b32_e32 v39, 8, v21
	v_lshrrev_b32_e32 v38, 16, v21
	v_and_b32_e32 v25, v38, v11
	v_and_b32_e32 v26, v39, v11
	v_cmp_gt_i16_sdwa s[28:29], sext(v25), sext(v26) src0_sel:BYTE_0 src1_sel:BYTE_0
	v_mov_b32_e32 v26, v10
	v_cndmask_b32_e64 v17, v31, v36, s[20:21]
	v_cndmask_b32_e64 v23, v36, v31, s[20:21]
	v_lshrrev_b32_e32 v37, 24, v21
	v_lshrrev_b32_e32 v36, 16, v20
	;; [unrolled: 1-line block ×3, first 2 shown]
	v_mov_b32_e32 v25, v9
	s_and_saveexec_b64 s[20:21], s[28:29]
; %bb.28:
	v_mov_b32_e32 v25, v39
	v_mov_b32_e32 v26, v19
	v_swap_b32 v39, v38
	v_mov_b32_e32 v25, v18
	v_mov_b32_e32 v19, v10
	;; [unrolled: 1-line block ×3, first 2 shown]
; %bb.29:
	s_or_b64 exec, exec, s[20:21]
.LBB304_30:
	s_or_b64 exec, exec, s[22:23]
	v_and_b32_e32 v10, 0xfffffe00, v29
	v_sub_u32_e64 v29, s24, v10 clamp
	v_or_b32_e32 v48, 8, v34
	v_min_u32_e32 v48, v29, v48
	v_add_u32_e32 v49, 8, v48
	v_and_b32_e32 v50, 0x3f0, v34
	v_min_u32_e32 v49, v29, v49
	v_and_b32_e32 v51, 8, v34
	v_min_u32_e32 v51, v29, v51
	v_sub_u32_e32 v53, v48, v50
	v_sub_u32_e32 v52, v49, v48
	v_lshlrev_b32_e32 v9, 3, v10
	v_sub_u32_e64 v52, v51, v52 clamp
	v_min_u32_e32 v53, v51, v53
	v_add_u32_e32 v30, v10, v34
	v_lshl_add_u32 v31, v34, 3, v9
	v_cmp_lt_u32_e64 s[20:21], v52, v53
	ds_write_b8 v30, v20
	ds_write_b64 v31, v[4:5] offset:2048
	ds_write_b8 v30, v35 offset:1
	ds_write_b64 v31, v[12:13] offset:2056
	ds_write_b8 v30, v36 offset:2
	;; [unrolled: 2-line block ×7, first 2 shown]
	ds_write_b64 v31, v[27:28] offset:2104
	; wave barrier
	s_and_saveexec_b64 s[22:23], s[20:21]
	s_cbranch_execz .LBB304_34
; %bb.31:
	v_add_u32_e32 v54, v10, v50
	v_add3_u32 v55, v10, v48, v51
	s_mov_b64 s[24:25], 0
.LBB304_32:                             ; =>This Inner Loop Header: Depth=1
	v_add_u32_e32 v64, v53, v52
	v_lshrrev_b32_e32 v64, 1, v64
	v_add_u32_e32 v65, v54, v64
	v_xad_u32 v66, v64, -1, v55
	ds_read_u8 v66, v66
	ds_read_u8 v65, v65
	v_add_u32_e32 v67, 1, v64
	s_waitcnt lgkmcnt(1)
	v_and_b32_e32 v66, v66, v11
	s_waitcnt lgkmcnt(0)
	v_and_b32_e32 v65, v65, v11
	v_cmp_gt_i16_sdwa s[20:21], sext(v66), sext(v65) src0_sel:BYTE_0 src1_sel:BYTE_0
	v_cndmask_b32_e64 v53, v53, v64, s[20:21]
	v_cndmask_b32_e64 v52, v67, v52, s[20:21]
	v_cmp_ge_u32_e64 s[20:21], v52, v53
	s_or_b64 s[24:25], s[20:21], s[24:25]
	s_andn2_b64 exec, exec, s[24:25]
	s_cbranch_execnz .LBB304_32
; %bb.33:
	s_or_b64 exec, exec, s[24:25]
.LBB304_34:
	s_or_b64 exec, exec, s[22:23]
	v_add_u32_e32 v51, v48, v51
	v_add_u32_e32 v50, v52, v50
	v_sub_u32_e32 v51, v51, v52
	v_cmp_le_u32_e64 s[20:21], v50, v48
	v_cmp_le_u32_e64 s[22:23], v51, v49
	s_or_b64 s[20:21], s[20:21], s[22:23]
	s_and_saveexec_b64 s[58:59], s[20:21]
	s_cbranch_execz .LBB304_40
; %bb.35:
	v_cmp_lt_u32_e64 s[20:21], v50, v48
                                        ; implicit-def: $vgpr20
	s_and_saveexec_b64 s[22:23], s[20:21]
; %bb.36:
	v_add_u32_e32 v4, v10, v50
	ds_read_u8 v20, v4
; %bb.37:
	s_or_b64 exec, exec, s[22:23]
	v_cmp_ge_u32_e64 s[22:23], v51, v49
	v_cmp_lt_u32_e64 s[24:25], v51, v49
                                        ; implicit-def: $vgpr21
	s_and_saveexec_b64 s[28:29], s[24:25]
; %bb.38:
	v_add_u32_e32 v4, v10, v51
	ds_read_u8 v21, v4
; %bb.39:
	s_or_b64 exec, exec, s[28:29]
	s_waitcnt lgkmcnt(0)
	v_and_b32_e32 v4, v21, v11
	v_and_b32_e32 v5, v20, v11
	v_cmp_le_i16_sdwa s[24:25], sext(v4), sext(v5) src0_sel:BYTE_0 src1_sel:BYTE_0
	s_and_b64 s[20:21], s[20:21], s[24:25]
	s_or_b64 s[20:21], s[22:23], s[20:21]
	v_cndmask_b32_e64 v4, v51, v50, s[20:21]
	v_cndmask_b32_e64 v5, v49, v48, s[20:21]
	v_add_u32_e32 v12, 1, v4
	v_add_u32_e32 v5, -1, v5
	v_min_u32_e32 v5, v12, v5
	v_add_u32_e32 v5, v10, v5
	ds_read_u8 v5, v5
	v_lshl_add_u32 v4, v4, 3, v9
	s_waitcnt lgkmcnt(0)
	v_cndmask_b32_e64 v24, v5, v21, s[20:21]
	v_cndmask_b32_e64 v27, v20, v5, s[20:21]
	;; [unrolled: 1-line block ×4, first 2 shown]
	v_and_b32_e32 v13, v24, v11
	v_and_b32_e32 v14, v27, v11
	v_cmp_lt_u32_e64 s[24:25], v12, v48
	v_cmp_le_i16_sdwa s[28:29], sext(v13), sext(v14) src0_sel:BYTE_0 src1_sel:BYTE_0
	v_cmp_ge_u32_e64 s[22:23], v5, v49
	s_and_b64 s[24:25], s[24:25], s[28:29]
	s_or_b64 s[22:23], s[22:23], s[24:25]
	v_cndmask_b32_e64 v13, v5, v12, s[22:23]
	v_cndmask_b32_e64 v14, v49, v48, s[22:23]
	v_add_u32_e32 v15, 1, v13
	v_add_u32_e32 v14, -1, v14
	v_min_u32_e32 v14, v15, v14
	v_add_u32_e32 v14, v10, v14
	ds_read_u8 v14, v14
	v_cndmask_b32_e64 v5, v15, v5, s[22:23]
	v_cndmask_b32_e64 v12, v12, v15, s[22:23]
	v_cmp_lt_u32_e64 s[28:29], v12, v48
	v_cmp_ge_u32_e64 s[24:25], v5, v49
	s_waitcnt lgkmcnt(0)
	v_cndmask_b32_e64 v28, v14, v24, s[22:23]
	v_cndmask_b32_e64 v36, v27, v14, s[22:23]
	v_and_b32_e32 v14, v28, v11
	v_and_b32_e32 v15, v36, v11
	v_cmp_le_i16_sdwa s[40:41], sext(v14), sext(v15) src0_sel:BYTE_0 src1_sel:BYTE_0
	s_and_b64 s[28:29], s[28:29], s[40:41]
	s_or_b64 s[24:25], s[24:25], s[28:29]
	v_cndmask_b32_e64 v14, v5, v12, s[24:25]
	v_cndmask_b32_e64 v15, v49, v48, s[24:25]
	v_add_u32_e32 v16, 1, v14
	v_add_u32_e32 v15, -1, v15
	v_min_u32_e32 v15, v16, v15
	v_add_u32_e32 v15, v10, v15
	ds_read_u8 v15, v15
	v_lshl_add_u32 v14, v14, 3, v9
	v_cndmask_b32_e64 v20, v21, v20, s[20:21]
	s_waitcnt lgkmcnt(0)
	v_cndmask_b32_e64 v37, v15, v28, s[24:25]
	v_cndmask_b32_e64 v38, v36, v15, s[24:25]
	;; [unrolled: 1-line block ×4, first 2 shown]
	v_and_b32_e32 v5, v37, v11
	v_and_b32_e32 v12, v38, v11
	v_cmp_lt_u32_e64 s[40:41], v16, v48
	v_cmp_le_i16_sdwa s[42:43], sext(v5), sext(v12) src0_sel:BYTE_0 src1_sel:BYTE_0
	v_cmp_ge_u32_e64 s[28:29], v15, v49
	s_and_b64 s[40:41], s[40:41], s[42:43]
	s_or_b64 s[28:29], s[28:29], s[40:41]
	v_cndmask_b32_e64 v17, v15, v16, s[28:29]
	v_cndmask_b32_e64 v5, v49, v48, s[28:29]
	v_add_u32_e32 v18, 1, v17
	v_add_u32_e32 v5, -1, v5
	v_min_u32_e32 v5, v18, v5
	v_add_u32_e32 v5, v10, v5
	ds_read_u8 v19, v5
	v_lshl_add_u32 v12, v13, 3, v9
	ds_read_b64 v[4:5], v4 offset:2048
	ds_read_b64 v[12:13], v12 offset:2048
	v_cndmask_b32_e64 v36, v28, v36, s[24:25]
	s_waitcnt lgkmcnt(2)
	v_cndmask_b32_e64 v39, v19, v37, s[28:29]
	v_cndmask_b32_e64 v50, v38, v19, s[28:29]
	;; [unrolled: 1-line block ×4, first 2 shown]
	v_and_b32_e32 v15, v39, v11
	v_and_b32_e32 v16, v50, v11
	v_cmp_lt_u32_e64 s[42:43], v18, v48
	v_cmp_le_i16_sdwa s[44:45], sext(v15), sext(v16) src0_sel:BYTE_0 src1_sel:BYTE_0
	v_cmp_ge_u32_e64 s[40:41], v19, v49
	s_and_b64 s[42:43], s[42:43], s[44:45]
	s_or_b64 s[40:41], s[40:41], s[42:43]
	v_cndmask_b32_e64 v22, v19, v18, s[40:41]
	v_cndmask_b32_e64 v15, v49, v48, s[40:41]
	v_add_u32_e32 v23, 1, v22
	v_add_u32_e32 v15, -1, v15
	v_min_u32_e32 v15, v23, v15
	v_add_u32_e32 v15, v10, v15
	ds_read_u8 v25, v15
	v_cndmask_b32_e64 v26, v18, v23, s[40:41]
	v_cmp_lt_u32_e64 s[44:45], v26, v48
	v_lshl_add_u32 v16, v17, 3, v9
	ds_read_b64 v[14:15], v14 offset:2048
	ds_read_b64 v[16:17], v16 offset:2048
	s_waitcnt lgkmcnt(2)
	v_cndmask_b32_e64 v51, v25, v39, s[40:41]
	v_cndmask_b32_e64 v52, v50, v25, s[40:41]
	;; [unrolled: 1-line block ×3, first 2 shown]
	v_and_b32_e32 v18, v51, v11
	v_and_b32_e32 v19, v52, v11
	v_cmp_le_i16_sdwa s[46:47], sext(v18), sext(v19) src0_sel:BYTE_0 src1_sel:BYTE_0
	v_cmp_ge_u32_e64 s[42:43], v25, v49
	s_and_b64 s[44:45], s[44:45], s[46:47]
	s_or_b64 s[42:43], s[42:43], s[44:45]
	v_cndmask_b32_e64 v18, v25, v26, s[42:43]
	v_cndmask_b32_e64 v19, v49, v48, s[42:43]
	v_add_u32_e32 v35, 1, v18
	v_add_u32_e32 v19, -1, v19
	v_min_u32_e32 v19, v35, v19
	v_add_u32_e32 v19, v10, v19
	ds_read_u8 v53, v19
	v_cndmask_b32_e64 v55, v35, v25, s[42:43]
	v_cndmask_b32_e64 v64, v26, v35, s[42:43]
	v_cmp_lt_u32_e64 s[46:47], v64, v48
	v_cmp_ge_u32_e64 s[44:45], v55, v49
	s_waitcnt lgkmcnt(0)
	v_cndmask_b32_e64 v54, v53, v51, s[42:43]
	v_cndmask_b32_e64 v53, v52, v53, s[42:43]
	v_and_b32_e32 v25, v54, v11
	v_and_b32_e32 v26, v53, v11
	v_cmp_le_i16_sdwa s[60:61], sext(v25), sext(v26) src0_sel:BYTE_0 src1_sel:BYTE_0
	s_and_b64 s[46:47], s[46:47], s[60:61]
	s_or_b64 s[44:45], s[44:45], s[46:47]
	v_cndmask_b32_e64 v25, v55, v64, s[44:45]
	v_cndmask_b32_e64 v26, v49, v48, s[44:45]
	v_lshl_add_u32 v35, v25, 3, v9
	v_add_u32_e32 v65, 1, v25
	v_add_u32_e32 v25, -1, v26
	v_min_u32_e32 v25, v65, v25
	v_lshl_add_u32 v19, v22, 3, v9
	v_lshl_add_u32 v18, v18, 3, v9
	v_add_u32_e32 v66, v10, v25
	ds_read_b64 v[22:23], v19 offset:2048
	ds_read_b64 v[18:19], v18 offset:2048
	;; [unrolled: 1-line block ×3, first 2 shown]
	ds_read_u8 v66, v66
	v_cndmask_b32_e64 v35, v24, v27, s[22:23]
	v_cndmask_b32_e64 v24, v37, v38, s[28:29]
	v_cndmask_b32_e64 v27, v64, v65, s[44:45]
	v_cndmask_b32_e64 v21, v65, v55, s[44:45]
	s_waitcnt lgkmcnt(0)
	v_cndmask_b32_e64 v37, v66, v54, s[44:45]
	v_cndmask_b32_e64 v66, v53, v66, s[44:45]
	v_and_b32_e32 v28, v37, v11
	v_and_b32_e32 v38, v66, v11
	v_cmp_lt_u32_e64 s[22:23], v27, v48
	v_cmp_le_i16_sdwa s[24:25], sext(v28), sext(v38) src0_sel:BYTE_0 src1_sel:BYTE_0
	v_cmp_ge_u32_e64 s[20:21], v21, v49
	s_and_b64 s[22:23], s[22:23], s[24:25]
	s_or_b64 s[20:21], s[20:21], s[22:23]
	v_cndmask_b32_e64 v21, v21, v27, s[20:21]
	v_lshl_add_u32 v21, v21, 3, v9
	ds_read_b64 v[27:28], v21 offset:2048
	v_cndmask_b32_e64 v21, v39, v50, s[40:41]
	v_cndmask_b32_e64 v39, v51, v52, s[42:43]
	;; [unrolled: 1-line block ×4, first 2 shown]
.LBB304_40:
	s_or_b64 exec, exec, s[58:59]
	v_and_b32_e32 v50, 0x3e0, v34
	v_or_b32_e32 v48, 16, v50
	v_min_u32_e32 v48, v29, v48
	v_add_u32_e32 v49, 16, v48
	v_min_u32_e32 v49, v29, v49
	v_and_b32_e32 v51, 24, v34
	v_min_u32_e32 v51, v29, v51
	v_sub_u32_e32 v53, v48, v50
	v_sub_u32_e32 v52, v49, v48
	v_sub_u32_e64 v52, v51, v52 clamp
	v_min_u32_e32 v53, v51, v53
	v_cmp_lt_u32_e64 s[20:21], v52, v53
	; wave barrier
	ds_write_b8 v30, v20
	ds_write_b64 v31, v[4:5] offset:2048
	ds_write_b8 v30, v35 offset:1
	ds_write_b64 v31, v[12:13] offset:2056
	ds_write_b8 v30, v36 offset:2
	;; [unrolled: 2-line block ×7, first 2 shown]
	s_waitcnt lgkmcnt(14)
	ds_write_b64 v31, v[27:28] offset:2104
	; wave barrier
	s_and_saveexec_b64 s[22:23], s[20:21]
	s_cbranch_execz .LBB304_44
; %bb.41:
	v_add_u32_e32 v54, v10, v50
	v_add3_u32 v55, v10, v48, v51
	s_mov_b64 s[24:25], 0
.LBB304_42:                             ; =>This Inner Loop Header: Depth=1
	v_add_u32_e32 v64, v53, v52
	v_lshrrev_b32_e32 v64, 1, v64
	v_add_u32_e32 v65, v54, v64
	v_xad_u32 v66, v64, -1, v55
	ds_read_u8 v66, v66
	ds_read_u8 v65, v65
	v_add_u32_e32 v67, 1, v64
	s_waitcnt lgkmcnt(1)
	v_and_b32_e32 v66, v66, v11
	s_waitcnt lgkmcnt(0)
	v_and_b32_e32 v65, v65, v11
	v_cmp_gt_i16_sdwa s[20:21], sext(v66), sext(v65) src0_sel:BYTE_0 src1_sel:BYTE_0
	v_cndmask_b32_e64 v53, v53, v64, s[20:21]
	v_cndmask_b32_e64 v52, v67, v52, s[20:21]
	v_cmp_ge_u32_e64 s[20:21], v52, v53
	s_or_b64 s[24:25], s[20:21], s[24:25]
	s_andn2_b64 exec, exec, s[24:25]
	s_cbranch_execnz .LBB304_42
; %bb.43:
	s_or_b64 exec, exec, s[24:25]
.LBB304_44:
	s_or_b64 exec, exec, s[22:23]
	v_add_u32_e32 v51, v48, v51
	v_add_u32_e32 v50, v52, v50
	v_sub_u32_e32 v51, v51, v52
	v_cmp_le_u32_e64 s[20:21], v50, v48
	v_cmp_le_u32_e64 s[22:23], v51, v49
	s_or_b64 s[20:21], s[20:21], s[22:23]
	s_and_saveexec_b64 s[58:59], s[20:21]
	s_cbranch_execz .LBB304_50
; %bb.45:
	v_cmp_lt_u32_e64 s[20:21], v50, v48
                                        ; implicit-def: $vgpr20
	s_and_saveexec_b64 s[22:23], s[20:21]
; %bb.46:
	v_add_u32_e32 v4, v10, v50
	ds_read_u8 v20, v4
; %bb.47:
	s_or_b64 exec, exec, s[22:23]
	v_cmp_ge_u32_e64 s[22:23], v51, v49
	v_cmp_lt_u32_e64 s[24:25], v51, v49
                                        ; implicit-def: $vgpr21
	s_and_saveexec_b64 s[28:29], s[24:25]
; %bb.48:
	v_add_u32_e32 v4, v10, v51
	ds_read_u8 v21, v4
; %bb.49:
	s_or_b64 exec, exec, s[28:29]
	s_waitcnt lgkmcnt(0)
	v_and_b32_e32 v4, v21, v11
	v_and_b32_e32 v5, v20, v11
	v_cmp_le_i16_sdwa s[24:25], sext(v4), sext(v5) src0_sel:BYTE_0 src1_sel:BYTE_0
	s_and_b64 s[20:21], s[20:21], s[24:25]
	s_or_b64 s[20:21], s[22:23], s[20:21]
	v_cndmask_b32_e64 v4, v51, v50, s[20:21]
	v_cndmask_b32_e64 v5, v49, v48, s[20:21]
	v_add_u32_e32 v12, 1, v4
	v_add_u32_e32 v5, -1, v5
	v_min_u32_e32 v5, v12, v5
	v_add_u32_e32 v5, v10, v5
	ds_read_u8 v5, v5
	v_lshl_add_u32 v4, v4, 3, v9
	s_waitcnt lgkmcnt(0)
	v_cndmask_b32_e64 v24, v5, v21, s[20:21]
	v_cndmask_b32_e64 v27, v20, v5, s[20:21]
	;; [unrolled: 1-line block ×4, first 2 shown]
	v_and_b32_e32 v13, v24, v11
	v_and_b32_e32 v14, v27, v11
	v_cmp_lt_u32_e64 s[24:25], v12, v48
	v_cmp_le_i16_sdwa s[28:29], sext(v13), sext(v14) src0_sel:BYTE_0 src1_sel:BYTE_0
	v_cmp_ge_u32_e64 s[22:23], v5, v49
	s_and_b64 s[24:25], s[24:25], s[28:29]
	s_or_b64 s[22:23], s[22:23], s[24:25]
	v_cndmask_b32_e64 v13, v5, v12, s[22:23]
	v_cndmask_b32_e64 v14, v49, v48, s[22:23]
	v_add_u32_e32 v15, 1, v13
	v_add_u32_e32 v14, -1, v14
	v_min_u32_e32 v14, v15, v14
	v_add_u32_e32 v14, v10, v14
	ds_read_u8 v14, v14
	v_cndmask_b32_e64 v5, v15, v5, s[22:23]
	v_cndmask_b32_e64 v12, v12, v15, s[22:23]
	v_cmp_lt_u32_e64 s[28:29], v12, v48
	v_cmp_ge_u32_e64 s[24:25], v5, v49
	s_waitcnt lgkmcnt(0)
	v_cndmask_b32_e64 v28, v14, v24, s[22:23]
	v_cndmask_b32_e64 v36, v27, v14, s[22:23]
	v_and_b32_e32 v14, v28, v11
	v_and_b32_e32 v15, v36, v11
	v_cmp_le_i16_sdwa s[40:41], sext(v14), sext(v15) src0_sel:BYTE_0 src1_sel:BYTE_0
	s_and_b64 s[28:29], s[28:29], s[40:41]
	s_or_b64 s[24:25], s[24:25], s[28:29]
	v_cndmask_b32_e64 v14, v5, v12, s[24:25]
	v_cndmask_b32_e64 v15, v49, v48, s[24:25]
	v_add_u32_e32 v16, 1, v14
	v_add_u32_e32 v15, -1, v15
	v_min_u32_e32 v15, v16, v15
	v_add_u32_e32 v15, v10, v15
	ds_read_u8 v15, v15
	v_lshl_add_u32 v14, v14, 3, v9
	v_cndmask_b32_e64 v20, v21, v20, s[20:21]
	s_waitcnt lgkmcnt(0)
	v_cndmask_b32_e64 v37, v15, v28, s[24:25]
	v_cndmask_b32_e64 v38, v36, v15, s[24:25]
	v_cndmask_b32_e64 v15, v16, v5, s[24:25]
	v_cndmask_b32_e64 v16, v12, v16, s[24:25]
	v_and_b32_e32 v5, v37, v11
	v_and_b32_e32 v12, v38, v11
	v_cmp_lt_u32_e64 s[40:41], v16, v48
	v_cmp_le_i16_sdwa s[42:43], sext(v5), sext(v12) src0_sel:BYTE_0 src1_sel:BYTE_0
	v_cmp_ge_u32_e64 s[28:29], v15, v49
	s_and_b64 s[40:41], s[40:41], s[42:43]
	s_or_b64 s[28:29], s[28:29], s[40:41]
	v_cndmask_b32_e64 v17, v15, v16, s[28:29]
	v_cndmask_b32_e64 v5, v49, v48, s[28:29]
	v_add_u32_e32 v18, 1, v17
	v_add_u32_e32 v5, -1, v5
	v_min_u32_e32 v5, v18, v5
	v_add_u32_e32 v5, v10, v5
	ds_read_u8 v19, v5
	v_lshl_add_u32 v12, v13, 3, v9
	ds_read_b64 v[4:5], v4 offset:2048
	ds_read_b64 v[12:13], v12 offset:2048
	v_cndmask_b32_e64 v36, v28, v36, s[24:25]
	s_waitcnt lgkmcnt(2)
	v_cndmask_b32_e64 v39, v19, v37, s[28:29]
	v_cndmask_b32_e64 v50, v38, v19, s[28:29]
	;; [unrolled: 1-line block ×4, first 2 shown]
	v_and_b32_e32 v15, v39, v11
	v_and_b32_e32 v16, v50, v11
	v_cmp_lt_u32_e64 s[42:43], v18, v48
	v_cmp_le_i16_sdwa s[44:45], sext(v15), sext(v16) src0_sel:BYTE_0 src1_sel:BYTE_0
	v_cmp_ge_u32_e64 s[40:41], v19, v49
	s_and_b64 s[42:43], s[42:43], s[44:45]
	s_or_b64 s[40:41], s[40:41], s[42:43]
	v_cndmask_b32_e64 v22, v19, v18, s[40:41]
	v_cndmask_b32_e64 v15, v49, v48, s[40:41]
	v_add_u32_e32 v23, 1, v22
	v_add_u32_e32 v15, -1, v15
	v_min_u32_e32 v15, v23, v15
	v_add_u32_e32 v15, v10, v15
	ds_read_u8 v25, v15
	v_cndmask_b32_e64 v26, v18, v23, s[40:41]
	v_cmp_lt_u32_e64 s[44:45], v26, v48
	v_lshl_add_u32 v16, v17, 3, v9
	ds_read_b64 v[14:15], v14 offset:2048
	ds_read_b64 v[16:17], v16 offset:2048
	s_waitcnt lgkmcnt(2)
	v_cndmask_b32_e64 v51, v25, v39, s[40:41]
	v_cndmask_b32_e64 v52, v50, v25, s[40:41]
	;; [unrolled: 1-line block ×3, first 2 shown]
	v_and_b32_e32 v18, v51, v11
	v_and_b32_e32 v19, v52, v11
	v_cmp_le_i16_sdwa s[46:47], sext(v18), sext(v19) src0_sel:BYTE_0 src1_sel:BYTE_0
	v_cmp_ge_u32_e64 s[42:43], v25, v49
	s_and_b64 s[44:45], s[44:45], s[46:47]
	s_or_b64 s[42:43], s[42:43], s[44:45]
	v_cndmask_b32_e64 v18, v25, v26, s[42:43]
	v_cndmask_b32_e64 v19, v49, v48, s[42:43]
	v_add_u32_e32 v35, 1, v18
	v_add_u32_e32 v19, -1, v19
	v_min_u32_e32 v19, v35, v19
	v_add_u32_e32 v19, v10, v19
	ds_read_u8 v53, v19
	v_cndmask_b32_e64 v55, v35, v25, s[42:43]
	v_cndmask_b32_e64 v64, v26, v35, s[42:43]
	v_cmp_lt_u32_e64 s[46:47], v64, v48
	v_cmp_ge_u32_e64 s[44:45], v55, v49
	s_waitcnt lgkmcnt(0)
	v_cndmask_b32_e64 v54, v53, v51, s[42:43]
	v_cndmask_b32_e64 v53, v52, v53, s[42:43]
	v_and_b32_e32 v25, v54, v11
	v_and_b32_e32 v26, v53, v11
	v_cmp_le_i16_sdwa s[60:61], sext(v25), sext(v26) src0_sel:BYTE_0 src1_sel:BYTE_0
	s_and_b64 s[46:47], s[46:47], s[60:61]
	s_or_b64 s[44:45], s[44:45], s[46:47]
	v_cndmask_b32_e64 v25, v55, v64, s[44:45]
	v_cndmask_b32_e64 v26, v49, v48, s[44:45]
	v_lshl_add_u32 v35, v25, 3, v9
	v_add_u32_e32 v65, 1, v25
	v_add_u32_e32 v25, -1, v26
	v_min_u32_e32 v25, v65, v25
	v_lshl_add_u32 v19, v22, 3, v9
	v_lshl_add_u32 v18, v18, 3, v9
	v_add_u32_e32 v66, v10, v25
	ds_read_b64 v[22:23], v19 offset:2048
	ds_read_b64 v[18:19], v18 offset:2048
	;; [unrolled: 1-line block ×3, first 2 shown]
	ds_read_u8 v66, v66
	v_cndmask_b32_e64 v35, v24, v27, s[22:23]
	v_cndmask_b32_e64 v24, v37, v38, s[28:29]
	v_cndmask_b32_e64 v27, v64, v65, s[44:45]
	v_cndmask_b32_e64 v21, v65, v55, s[44:45]
	s_waitcnt lgkmcnt(0)
	v_cndmask_b32_e64 v37, v66, v54, s[44:45]
	v_cndmask_b32_e64 v66, v53, v66, s[44:45]
	v_and_b32_e32 v28, v37, v11
	v_and_b32_e32 v38, v66, v11
	v_cmp_lt_u32_e64 s[22:23], v27, v48
	v_cmp_le_i16_sdwa s[24:25], sext(v28), sext(v38) src0_sel:BYTE_0 src1_sel:BYTE_0
	v_cmp_ge_u32_e64 s[20:21], v21, v49
	s_and_b64 s[22:23], s[22:23], s[24:25]
	s_or_b64 s[20:21], s[20:21], s[22:23]
	v_cndmask_b32_e64 v21, v21, v27, s[20:21]
	v_lshl_add_u32 v21, v21, 3, v9
	ds_read_b64 v[27:28], v21 offset:2048
	v_cndmask_b32_e64 v21, v39, v50, s[40:41]
	v_cndmask_b32_e64 v39, v51, v52, s[42:43]
	;; [unrolled: 1-line block ×4, first 2 shown]
.LBB304_50:
	s_or_b64 exec, exec, s[58:59]
	v_and_b32_e32 v50, 0x3c0, v34
	v_or_b32_e32 v48, 32, v50
	v_min_u32_e32 v48, v29, v48
	v_add_u32_e32 v49, 32, v48
	v_min_u32_e32 v49, v29, v49
	v_and_b32_e32 v51, 56, v34
	v_min_u32_e32 v51, v29, v51
	v_sub_u32_e32 v53, v48, v50
	v_sub_u32_e32 v52, v49, v48
	v_sub_u32_e64 v52, v51, v52 clamp
	v_min_u32_e32 v53, v51, v53
	v_cmp_lt_u32_e64 s[20:21], v52, v53
	; wave barrier
	ds_write_b8 v30, v20
	ds_write_b64 v31, v[4:5] offset:2048
	ds_write_b8 v30, v35 offset:1
	ds_write_b64 v31, v[12:13] offset:2056
	ds_write_b8 v30, v36 offset:2
	;; [unrolled: 2-line block ×7, first 2 shown]
	s_waitcnt lgkmcnt(14)
	ds_write_b64 v31, v[27:28] offset:2104
	; wave barrier
	s_and_saveexec_b64 s[22:23], s[20:21]
	s_cbranch_execz .LBB304_54
; %bb.51:
	v_add_u32_e32 v54, v10, v50
	v_add3_u32 v55, v10, v48, v51
	s_mov_b64 s[24:25], 0
.LBB304_52:                             ; =>This Inner Loop Header: Depth=1
	v_add_u32_e32 v64, v53, v52
	v_lshrrev_b32_e32 v64, 1, v64
	v_add_u32_e32 v65, v54, v64
	v_xad_u32 v66, v64, -1, v55
	ds_read_u8 v66, v66
	ds_read_u8 v65, v65
	v_add_u32_e32 v67, 1, v64
	s_waitcnt lgkmcnt(1)
	v_and_b32_e32 v66, v66, v11
	s_waitcnt lgkmcnt(0)
	v_and_b32_e32 v65, v65, v11
	v_cmp_gt_i16_sdwa s[20:21], sext(v66), sext(v65) src0_sel:BYTE_0 src1_sel:BYTE_0
	v_cndmask_b32_e64 v53, v53, v64, s[20:21]
	v_cndmask_b32_e64 v52, v67, v52, s[20:21]
	v_cmp_ge_u32_e64 s[20:21], v52, v53
	s_or_b64 s[24:25], s[20:21], s[24:25]
	s_andn2_b64 exec, exec, s[24:25]
	s_cbranch_execnz .LBB304_52
; %bb.53:
	s_or_b64 exec, exec, s[24:25]
.LBB304_54:
	s_or_b64 exec, exec, s[22:23]
	v_add_u32_e32 v51, v48, v51
	v_add_u32_e32 v50, v52, v50
	v_sub_u32_e32 v51, v51, v52
	v_cmp_le_u32_e64 s[20:21], v50, v48
	v_cmp_le_u32_e64 s[22:23], v51, v49
	s_or_b64 s[20:21], s[20:21], s[22:23]
	s_and_saveexec_b64 s[58:59], s[20:21]
	s_cbranch_execz .LBB304_60
; %bb.55:
	v_cmp_lt_u32_e64 s[20:21], v50, v48
                                        ; implicit-def: $vgpr20
	s_and_saveexec_b64 s[22:23], s[20:21]
; %bb.56:
	v_add_u32_e32 v4, v10, v50
	ds_read_u8 v20, v4
; %bb.57:
	s_or_b64 exec, exec, s[22:23]
	v_cmp_ge_u32_e64 s[22:23], v51, v49
	v_cmp_lt_u32_e64 s[24:25], v51, v49
                                        ; implicit-def: $vgpr21
	s_and_saveexec_b64 s[28:29], s[24:25]
; %bb.58:
	v_add_u32_e32 v4, v10, v51
	ds_read_u8 v21, v4
; %bb.59:
	s_or_b64 exec, exec, s[28:29]
	s_waitcnt lgkmcnt(0)
	v_and_b32_e32 v4, v21, v11
	v_and_b32_e32 v5, v20, v11
	v_cmp_le_i16_sdwa s[24:25], sext(v4), sext(v5) src0_sel:BYTE_0 src1_sel:BYTE_0
	s_and_b64 s[20:21], s[20:21], s[24:25]
	s_or_b64 s[20:21], s[22:23], s[20:21]
	v_cndmask_b32_e64 v4, v51, v50, s[20:21]
	v_cndmask_b32_e64 v5, v49, v48, s[20:21]
	v_add_u32_e32 v12, 1, v4
	v_add_u32_e32 v5, -1, v5
	v_min_u32_e32 v5, v12, v5
	v_add_u32_e32 v5, v10, v5
	ds_read_u8 v5, v5
	v_lshl_add_u32 v4, v4, 3, v9
	s_waitcnt lgkmcnt(0)
	v_cndmask_b32_e64 v24, v5, v21, s[20:21]
	v_cndmask_b32_e64 v27, v20, v5, s[20:21]
	;; [unrolled: 1-line block ×4, first 2 shown]
	v_and_b32_e32 v13, v24, v11
	v_and_b32_e32 v14, v27, v11
	v_cmp_lt_u32_e64 s[24:25], v12, v48
	v_cmp_le_i16_sdwa s[28:29], sext(v13), sext(v14) src0_sel:BYTE_0 src1_sel:BYTE_0
	v_cmp_ge_u32_e64 s[22:23], v5, v49
	s_and_b64 s[24:25], s[24:25], s[28:29]
	s_or_b64 s[22:23], s[22:23], s[24:25]
	v_cndmask_b32_e64 v13, v5, v12, s[22:23]
	v_cndmask_b32_e64 v14, v49, v48, s[22:23]
	v_add_u32_e32 v15, 1, v13
	v_add_u32_e32 v14, -1, v14
	v_min_u32_e32 v14, v15, v14
	v_add_u32_e32 v14, v10, v14
	ds_read_u8 v14, v14
	v_cndmask_b32_e64 v5, v15, v5, s[22:23]
	v_cndmask_b32_e64 v12, v12, v15, s[22:23]
	v_cmp_lt_u32_e64 s[28:29], v12, v48
	v_cmp_ge_u32_e64 s[24:25], v5, v49
	s_waitcnt lgkmcnt(0)
	v_cndmask_b32_e64 v28, v14, v24, s[22:23]
	v_cndmask_b32_e64 v36, v27, v14, s[22:23]
	v_and_b32_e32 v14, v28, v11
	v_and_b32_e32 v15, v36, v11
	v_cmp_le_i16_sdwa s[40:41], sext(v14), sext(v15) src0_sel:BYTE_0 src1_sel:BYTE_0
	s_and_b64 s[28:29], s[28:29], s[40:41]
	s_or_b64 s[24:25], s[24:25], s[28:29]
	v_cndmask_b32_e64 v14, v5, v12, s[24:25]
	v_cndmask_b32_e64 v15, v49, v48, s[24:25]
	v_add_u32_e32 v16, 1, v14
	v_add_u32_e32 v15, -1, v15
	v_min_u32_e32 v15, v16, v15
	v_add_u32_e32 v15, v10, v15
	ds_read_u8 v15, v15
	v_lshl_add_u32 v14, v14, 3, v9
	v_cndmask_b32_e64 v20, v21, v20, s[20:21]
	s_waitcnt lgkmcnt(0)
	v_cndmask_b32_e64 v37, v15, v28, s[24:25]
	v_cndmask_b32_e64 v38, v36, v15, s[24:25]
	;; [unrolled: 1-line block ×4, first 2 shown]
	v_and_b32_e32 v5, v37, v11
	v_and_b32_e32 v12, v38, v11
	v_cmp_lt_u32_e64 s[40:41], v16, v48
	v_cmp_le_i16_sdwa s[42:43], sext(v5), sext(v12) src0_sel:BYTE_0 src1_sel:BYTE_0
	v_cmp_ge_u32_e64 s[28:29], v15, v49
	s_and_b64 s[40:41], s[40:41], s[42:43]
	s_or_b64 s[28:29], s[28:29], s[40:41]
	v_cndmask_b32_e64 v17, v15, v16, s[28:29]
	v_cndmask_b32_e64 v5, v49, v48, s[28:29]
	v_add_u32_e32 v18, 1, v17
	v_add_u32_e32 v5, -1, v5
	v_min_u32_e32 v5, v18, v5
	v_add_u32_e32 v5, v10, v5
	ds_read_u8 v19, v5
	v_lshl_add_u32 v12, v13, 3, v9
	ds_read_b64 v[4:5], v4 offset:2048
	ds_read_b64 v[12:13], v12 offset:2048
	v_cndmask_b32_e64 v36, v28, v36, s[24:25]
	s_waitcnt lgkmcnt(2)
	v_cndmask_b32_e64 v39, v19, v37, s[28:29]
	v_cndmask_b32_e64 v50, v38, v19, s[28:29]
	;; [unrolled: 1-line block ×4, first 2 shown]
	v_and_b32_e32 v15, v39, v11
	v_and_b32_e32 v16, v50, v11
	v_cmp_lt_u32_e64 s[42:43], v18, v48
	v_cmp_le_i16_sdwa s[44:45], sext(v15), sext(v16) src0_sel:BYTE_0 src1_sel:BYTE_0
	v_cmp_ge_u32_e64 s[40:41], v19, v49
	s_and_b64 s[42:43], s[42:43], s[44:45]
	s_or_b64 s[40:41], s[40:41], s[42:43]
	v_cndmask_b32_e64 v22, v19, v18, s[40:41]
	v_cndmask_b32_e64 v15, v49, v48, s[40:41]
	v_add_u32_e32 v23, 1, v22
	v_add_u32_e32 v15, -1, v15
	v_min_u32_e32 v15, v23, v15
	v_add_u32_e32 v15, v10, v15
	ds_read_u8 v25, v15
	v_cndmask_b32_e64 v26, v18, v23, s[40:41]
	v_cmp_lt_u32_e64 s[44:45], v26, v48
	v_lshl_add_u32 v16, v17, 3, v9
	ds_read_b64 v[14:15], v14 offset:2048
	ds_read_b64 v[16:17], v16 offset:2048
	s_waitcnt lgkmcnt(2)
	v_cndmask_b32_e64 v51, v25, v39, s[40:41]
	v_cndmask_b32_e64 v52, v50, v25, s[40:41]
	;; [unrolled: 1-line block ×3, first 2 shown]
	v_and_b32_e32 v18, v51, v11
	v_and_b32_e32 v19, v52, v11
	v_cmp_le_i16_sdwa s[46:47], sext(v18), sext(v19) src0_sel:BYTE_0 src1_sel:BYTE_0
	v_cmp_ge_u32_e64 s[42:43], v25, v49
	s_and_b64 s[44:45], s[44:45], s[46:47]
	s_or_b64 s[42:43], s[42:43], s[44:45]
	v_cndmask_b32_e64 v18, v25, v26, s[42:43]
	v_cndmask_b32_e64 v19, v49, v48, s[42:43]
	v_add_u32_e32 v35, 1, v18
	v_add_u32_e32 v19, -1, v19
	v_min_u32_e32 v19, v35, v19
	v_add_u32_e32 v19, v10, v19
	ds_read_u8 v53, v19
	v_cndmask_b32_e64 v55, v35, v25, s[42:43]
	v_cndmask_b32_e64 v64, v26, v35, s[42:43]
	v_cmp_lt_u32_e64 s[46:47], v64, v48
	v_cmp_ge_u32_e64 s[44:45], v55, v49
	s_waitcnt lgkmcnt(0)
	v_cndmask_b32_e64 v54, v53, v51, s[42:43]
	v_cndmask_b32_e64 v53, v52, v53, s[42:43]
	v_and_b32_e32 v25, v54, v11
	v_and_b32_e32 v26, v53, v11
	v_cmp_le_i16_sdwa s[60:61], sext(v25), sext(v26) src0_sel:BYTE_0 src1_sel:BYTE_0
	s_and_b64 s[46:47], s[46:47], s[60:61]
	s_or_b64 s[44:45], s[44:45], s[46:47]
	v_cndmask_b32_e64 v25, v55, v64, s[44:45]
	v_cndmask_b32_e64 v26, v49, v48, s[44:45]
	v_lshl_add_u32 v35, v25, 3, v9
	v_add_u32_e32 v65, 1, v25
	v_add_u32_e32 v25, -1, v26
	v_min_u32_e32 v25, v65, v25
	v_lshl_add_u32 v19, v22, 3, v9
	v_lshl_add_u32 v18, v18, 3, v9
	v_add_u32_e32 v66, v10, v25
	ds_read_b64 v[22:23], v19 offset:2048
	ds_read_b64 v[18:19], v18 offset:2048
	;; [unrolled: 1-line block ×3, first 2 shown]
	ds_read_u8 v66, v66
	v_cndmask_b32_e64 v35, v24, v27, s[22:23]
	v_cndmask_b32_e64 v24, v37, v38, s[28:29]
	;; [unrolled: 1-line block ×4, first 2 shown]
	s_waitcnt lgkmcnt(0)
	v_cndmask_b32_e64 v37, v66, v54, s[44:45]
	v_cndmask_b32_e64 v66, v53, v66, s[44:45]
	v_and_b32_e32 v28, v37, v11
	v_and_b32_e32 v38, v66, v11
	v_cmp_lt_u32_e64 s[22:23], v27, v48
	v_cmp_le_i16_sdwa s[24:25], sext(v28), sext(v38) src0_sel:BYTE_0 src1_sel:BYTE_0
	v_cmp_ge_u32_e64 s[20:21], v21, v49
	s_and_b64 s[22:23], s[22:23], s[24:25]
	s_or_b64 s[20:21], s[20:21], s[22:23]
	v_cndmask_b32_e64 v21, v21, v27, s[20:21]
	v_lshl_add_u32 v21, v21, 3, v9
	ds_read_b64 v[27:28], v21 offset:2048
	v_cndmask_b32_e64 v21, v39, v50, s[40:41]
	v_cndmask_b32_e64 v39, v51, v52, s[42:43]
	;; [unrolled: 1-line block ×4, first 2 shown]
.LBB304_60:
	s_or_b64 exec, exec, s[58:59]
	v_and_b32_e32 v34, 0x380, v34
	; wave barrier
	ds_write_b8 v30, v20
	ds_write_b64 v31, v[4:5] offset:2048
	ds_write_b8 v30, v35 offset:1
	ds_write_b64 v31, v[12:13] offset:2056
	ds_write_b8 v30, v36 offset:2
	;; [unrolled: 2-line block ×7, first 2 shown]
	s_waitcnt lgkmcnt(14)
	ds_write_b64 v31, v[27:28] offset:2104
	v_or_b32_e32 v30, 64, v34
	v_min_u32_e32 v30, v29, v30
	v_add_u32_e32 v31, 64, v30
	v_min_u32_e32 v31, v29, v31
	v_min_u32_e32 v48, v29, v32
	v_sub_u32_e32 v29, v30, v34
	v_sub_u32_e32 v49, v31, v30
	v_sub_u32_e64 v49, v48, v49 clamp
	v_min_u32_e32 v29, v48, v29
	v_cmp_lt_u32_e64 s[20:21], v49, v29
	; wave barrier
	s_and_saveexec_b64 s[22:23], s[20:21]
	s_cbranch_execz .LBB304_64
; %bb.61:
	v_add_u32_e32 v50, v10, v34
	v_add3_u32 v51, v10, v30, v48
	s_mov_b64 s[24:25], 0
.LBB304_62:                             ; =>This Inner Loop Header: Depth=1
	v_add_u32_e32 v52, v29, v49
	v_lshrrev_b32_e32 v52, 1, v52
	v_add_u32_e32 v53, v50, v52
	v_xad_u32 v54, v52, -1, v51
	ds_read_u8 v54, v54
	ds_read_u8 v53, v53
	v_add_u32_e32 v55, 1, v52
	s_waitcnt lgkmcnt(1)
	v_and_b32_e32 v54, v54, v11
	s_waitcnt lgkmcnt(0)
	v_and_b32_e32 v53, v53, v11
	v_cmp_gt_i16_sdwa s[20:21], sext(v54), sext(v53) src0_sel:BYTE_0 src1_sel:BYTE_0
	v_cndmask_b32_e64 v29, v29, v52, s[20:21]
	v_cndmask_b32_e64 v49, v55, v49, s[20:21]
	v_cmp_ge_u32_e64 s[20:21], v49, v29
	s_or_b64 s[24:25], s[20:21], s[24:25]
	s_andn2_b64 exec, exec, s[24:25]
	s_cbranch_execnz .LBB304_62
; %bb.63:
	s_or_b64 exec, exec, s[24:25]
.LBB304_64:
	s_or_b64 exec, exec, s[22:23]
	v_add_u32_e32 v29, v49, v34
	v_add_u32_e32 v34, v30, v48
	v_sub_u32_e32 v34, v34, v49
	v_cmp_le_u32_e64 s[20:21], v29, v30
	v_cmp_le_u32_e64 s[22:23], v34, v31
	s_or_b64 s[20:21], s[20:21], s[22:23]
	s_and_saveexec_b64 s[58:59], s[20:21]
	s_cbranch_execz .LBB304_70
; %bb.65:
	v_cmp_lt_u32_e64 s[20:21], v29, v30
                                        ; implicit-def: $vgpr20
	s_and_saveexec_b64 s[22:23], s[20:21]
; %bb.66:
	v_add_u32_e32 v4, v10, v29
	ds_read_u8 v20, v4
; %bb.67:
	s_or_b64 exec, exec, s[22:23]
	v_cmp_ge_u32_e64 s[22:23], v34, v31
	v_cmp_lt_u32_e64 s[24:25], v34, v31
                                        ; implicit-def: $vgpr21
	s_and_saveexec_b64 s[28:29], s[24:25]
; %bb.68:
	v_add_u32_e32 v4, v10, v34
	ds_read_u8 v21, v4
; %bb.69:
	s_or_b64 exec, exec, s[28:29]
	s_waitcnt lgkmcnt(0)
	v_and_b32_e32 v4, v21, v11
	v_and_b32_e32 v5, v20, v11
	v_cmp_le_i16_sdwa s[24:25], sext(v4), sext(v5) src0_sel:BYTE_0 src1_sel:BYTE_0
	s_and_b64 s[20:21], s[20:21], s[24:25]
	s_or_b64 s[20:21], s[22:23], s[20:21]
	v_cndmask_b32_e64 v4, v34, v29, s[20:21]
	v_cndmask_b32_e64 v5, v31, v30, s[20:21]
	v_add_u32_e32 v12, 1, v4
	v_add_u32_e32 v5, -1, v5
	v_min_u32_e32 v5, v12, v5
	v_add_u32_e32 v5, v10, v5
	ds_read_u8 v5, v5
	v_lshl_add_u32 v4, v4, 3, v9
	s_waitcnt lgkmcnt(0)
	v_cndmask_b32_e64 v24, v5, v21, s[20:21]
	v_cndmask_b32_e64 v27, v20, v5, s[20:21]
	;; [unrolled: 1-line block ×4, first 2 shown]
	v_and_b32_e32 v13, v24, v11
	v_and_b32_e32 v14, v27, v11
	v_cmp_lt_u32_e64 s[24:25], v12, v30
	v_cmp_le_i16_sdwa s[28:29], sext(v13), sext(v14) src0_sel:BYTE_0 src1_sel:BYTE_0
	v_cmp_ge_u32_e64 s[22:23], v5, v31
	s_and_b64 s[24:25], s[24:25], s[28:29]
	s_or_b64 s[22:23], s[22:23], s[24:25]
	v_cndmask_b32_e64 v13, v5, v12, s[22:23]
	v_cndmask_b32_e64 v14, v31, v30, s[22:23]
	v_add_u32_e32 v15, 1, v13
	v_add_u32_e32 v14, -1, v14
	v_min_u32_e32 v14, v15, v14
	v_add_u32_e32 v14, v10, v14
	ds_read_u8 v14, v14
	v_cndmask_b32_e64 v5, v15, v5, s[22:23]
	v_cndmask_b32_e64 v12, v12, v15, s[22:23]
	v_cmp_lt_u32_e64 s[28:29], v12, v30
	v_cmp_ge_u32_e64 s[24:25], v5, v31
	s_waitcnt lgkmcnt(0)
	v_cndmask_b32_e64 v28, v14, v24, s[22:23]
	v_cndmask_b32_e64 v29, v27, v14, s[22:23]
	v_and_b32_e32 v14, v28, v11
	v_and_b32_e32 v15, v29, v11
	v_cmp_le_i16_sdwa s[40:41], sext(v14), sext(v15) src0_sel:BYTE_0 src1_sel:BYTE_0
	s_and_b64 s[28:29], s[28:29], s[40:41]
	s_or_b64 s[24:25], s[24:25], s[28:29]
	v_cndmask_b32_e64 v14, v5, v12, s[24:25]
	v_cndmask_b32_e64 v15, v31, v30, s[24:25]
	v_add_u32_e32 v16, 1, v14
	v_add_u32_e32 v15, -1, v15
	v_min_u32_e32 v15, v16, v15
	v_add_u32_e32 v15, v10, v15
	ds_read_u8 v15, v15
	v_lshl_add_u32 v14, v14, 3, v9
	v_cndmask_b32_e64 v20, v21, v20, s[20:21]
	s_waitcnt lgkmcnt(0)
	v_cndmask_b32_e64 v34, v15, v28, s[24:25]
	v_cndmask_b32_e64 v37, v29, v15, s[24:25]
	;; [unrolled: 1-line block ×4, first 2 shown]
	v_and_b32_e32 v5, v34, v11
	v_and_b32_e32 v12, v37, v11
	v_cmp_lt_u32_e64 s[40:41], v16, v30
	v_cmp_le_i16_sdwa s[42:43], sext(v5), sext(v12) src0_sel:BYTE_0 src1_sel:BYTE_0
	v_cmp_ge_u32_e64 s[28:29], v15, v31
	s_and_b64 s[40:41], s[40:41], s[42:43]
	s_or_b64 s[28:29], s[28:29], s[40:41]
	v_cndmask_b32_e64 v17, v15, v16, s[28:29]
	v_cndmask_b32_e64 v5, v31, v30, s[28:29]
	v_add_u32_e32 v18, 1, v17
	v_add_u32_e32 v5, -1, v5
	v_min_u32_e32 v5, v18, v5
	v_add_u32_e32 v5, v10, v5
	ds_read_u8 v19, v5
	v_lshl_add_u32 v12, v13, 3, v9
	ds_read_b64 v[4:5], v4 offset:2048
	ds_read_b64 v[12:13], v12 offset:2048
	s_waitcnt lgkmcnt(2)
	v_cndmask_b32_e64 v38, v19, v34, s[28:29]
	v_cndmask_b32_e64 v39, v37, v19, s[28:29]
	;; [unrolled: 1-line block ×4, first 2 shown]
	v_and_b32_e32 v15, v38, v11
	v_and_b32_e32 v16, v39, v11
	v_cmp_lt_u32_e64 s[42:43], v18, v30
	v_cmp_le_i16_sdwa s[44:45], sext(v15), sext(v16) src0_sel:BYTE_0 src1_sel:BYTE_0
	v_cmp_ge_u32_e64 s[40:41], v19, v31
	s_and_b64 s[42:43], s[42:43], s[44:45]
	s_or_b64 s[40:41], s[40:41], s[42:43]
	v_cndmask_b32_e64 v22, v19, v18, s[40:41]
	v_cndmask_b32_e64 v15, v31, v30, s[40:41]
	v_add_u32_e32 v23, 1, v22
	v_add_u32_e32 v15, -1, v15
	v_min_u32_e32 v15, v23, v15
	v_add_u32_e32 v15, v10, v15
	ds_read_u8 v25, v15
	v_cndmask_b32_e64 v26, v18, v23, s[40:41]
	v_cmp_lt_u32_e64 s[44:45], v26, v30
	v_lshl_add_u32 v16, v17, 3, v9
	ds_read_b64 v[14:15], v14 offset:2048
	ds_read_b64 v[16:17], v16 offset:2048
	s_waitcnt lgkmcnt(2)
	v_cndmask_b32_e64 v48, v25, v38, s[40:41]
	v_cndmask_b32_e64 v49, v39, v25, s[40:41]
	;; [unrolled: 1-line block ×3, first 2 shown]
	v_and_b32_e32 v18, v48, v11
	v_and_b32_e32 v19, v49, v11
	v_cmp_le_i16_sdwa s[46:47], sext(v18), sext(v19) src0_sel:BYTE_0 src1_sel:BYTE_0
	v_cmp_ge_u32_e64 s[42:43], v25, v31
	s_and_b64 s[44:45], s[44:45], s[46:47]
	s_or_b64 s[42:43], s[42:43], s[44:45]
	v_cndmask_b32_e64 v18, v25, v26, s[42:43]
	v_cndmask_b32_e64 v19, v31, v30, s[42:43]
	v_add_u32_e32 v35, 1, v18
	v_add_u32_e32 v19, -1, v19
	v_min_u32_e32 v19, v35, v19
	v_add_u32_e32 v19, v10, v19
	ds_read_u8 v36, v19
	v_cndmask_b32_e64 v52, v35, v25, s[42:43]
	v_cndmask_b32_e64 v53, v26, v35, s[42:43]
	v_cmp_lt_u32_e64 s[46:47], v53, v30
	v_cmp_ge_u32_e64 s[44:45], v52, v31
	s_waitcnt lgkmcnt(0)
	v_cndmask_b32_e64 v50, v36, v48, s[42:43]
	v_cndmask_b32_e64 v51, v49, v36, s[42:43]
	v_and_b32_e32 v25, v50, v11
	v_and_b32_e32 v26, v51, v11
	v_cmp_le_i16_sdwa s[60:61], sext(v25), sext(v26) src0_sel:BYTE_0 src1_sel:BYTE_0
	s_and_b64 s[46:47], s[46:47], s[60:61]
	s_or_b64 s[44:45], s[44:45], s[46:47]
	v_cndmask_b32_e64 v25, v52, v53, s[44:45]
	v_cndmask_b32_e64 v26, v31, v30, s[44:45]
	v_lshl_add_u32 v35, v25, 3, v9
	v_add_u32_e32 v54, 1, v25
	v_add_u32_e32 v25, -1, v26
	v_min_u32_e32 v25, v54, v25
	v_lshl_add_u32 v19, v22, 3, v9
	v_lshl_add_u32 v18, v18, 3, v9
	v_add_u32_e32 v10, v10, v25
	ds_read_b64 v[22:23], v19 offset:2048
	ds_read_b64 v[18:19], v18 offset:2048
	;; [unrolled: 1-line block ×3, first 2 shown]
	ds_read_u8 v10, v10
	v_cndmask_b32_e64 v36, v28, v29, s[24:25]
	v_cndmask_b32_e64 v35, v24, v27, s[22:23]
	;; [unrolled: 1-line block ×4, first 2 shown]
	s_waitcnt lgkmcnt(0)
	v_cndmask_b32_e64 v29, v10, v50, s[44:45]
	v_cndmask_b32_e64 v10, v51, v10, s[44:45]
	v_and_b32_e32 v28, v29, v11
	v_and_b32_e32 v11, v10, v11
	v_cmp_lt_u32_e64 s[22:23], v27, v30
	v_cmp_le_i16_sdwa s[24:25], sext(v28), sext(v11) src0_sel:BYTE_0 src1_sel:BYTE_0
	v_cmp_ge_u32_e64 s[20:21], v21, v31
	s_and_b64 s[22:23], s[22:23], s[24:25]
	s_or_b64 s[20:21], s[20:21], s[22:23]
	v_cndmask_b32_e64 v11, v21, v27, s[20:21]
	v_lshl_add_u32 v9, v11, 3, v9
	ds_read_b64 v[27:28], v9 offset:2048
	v_cndmask_b32_e64 v24, v34, v37, s[28:29]
	v_cndmask_b32_e64 v21, v38, v39, s[40:41]
	;; [unrolled: 1-line block ×5, first 2 shown]
.LBB304_70:
	s_or_b64 exec, exec, s[58:59]
	; wave barrier
	s_waitcnt lgkmcnt(0)
	s_barrier
                                        ; implicit-def: $vgpr34
                                        ; implicit-def: $vgpr31
                                        ; implicit-def: $vgpr9
                                        ; implicit-def: $vgpr29
.LBB304_71:
	s_andn2_saveexec_b64 s[44:45], s[56:57]
	s_cbranch_execz .LBB304_117
; %bb.72:
	s_load_dwordx2 s[20:21], s[8:9], 0x0
	v_mov_b32_e32 v10, 0
	s_waitcnt lgkmcnt(0)
	s_cmp_lt_u32 s13, s21
	s_cselect_b32 s13, 14, 20
	s_add_u32 s22, s8, s13
	s_addc_u32 s23, s9, 0
	s_cmp_lt_u32 s12, s20
	s_cselect_b32 s12, 12, 18
	s_add_u32 s8, s8, s12
	s_addc_u32 s9, s9, 0
	global_load_ushort v11, v10, s[22:23]
	global_load_ushort v30, v10, s[8:9]
	v_and_b32_e32 v10, 0x3ff, v31
	s_movk_i32 s20, 0x800
	s_waitcnt vmcnt(0)
	v_mad_u32_u24 v9, v29, v11, v9
	v_mul_lo_u32 v9, v9, v30
	v_add_lshl_u32 v11, v9, v10, 3
	v_cmp_gt_u32_e64 s[8:9], s20, v11
	s_and_saveexec_b64 s[12:13], s[8:9]
	s_cbranch_execz .LBB304_76
; %bb.73:
	s_mov_b32 s8, 0xc0c0004
	v_perm_b32 v9, v21, v39, s8
	v_perm_b32 v10, v38, v37, s8
	;; [unrolled: 1-line block ×3, first 2 shown]
	v_lshl_or_b32 v9, v10, 16, v9
	v_perm_b32 v10, v20, v35, s8
	v_perm_b32 v21, v35, v20, s8
	v_lshlrev_b32_e32 v24, 16, v24
	v_or_b32_e32 v21, v21, v24
	v_or_b32_e32 v10, v10, v24
	v_cmp_gt_i16_sdwa s[8:9], sext(v35), sext(v20) src0_sel:BYTE_0 src1_sel:BYTE_0
	v_cndmask_b32_e64 v10, v10, v21, s[8:9]
	v_cndmask_b32_e64 v20, v12, v4, s[8:9]
	;; [unrolled: 1-line block ×3, first 2 shown]
	v_lshrrev_b32_e32 v12, 16, v10
	s_mov_b32 s22, 0xc0c0001
	v_cndmask_b32_e64 v24, v13, v5, s[8:9]
	v_cndmask_b32_e64 v5, v5, v13, s[8:9]
	v_perm_b32 v13, 0, v12, s22
	v_lshrrev_b32_e32 v21, 24, v10
	v_lshlrev_b32_e32 v13, 16, v13
	s_mov_b32 s21, 0xffff
	v_cmp_gt_i16_sdwa s[8:9], sext(v21), sext(v12) src0_sel:BYTE_0 src1_sel:BYTE_0
	v_and_or_b32 v13, v10, s21, v13
	v_cndmask_b32_e64 v12, v16, v14, s[8:9]
	v_cndmask_b32_e64 v14, v14, v16, s[8:9]
	s_mov_b32 s28, 0x7060405
	v_lshrrev_b32_e32 v16, 8, v9
	v_cndmask_b32_e64 v21, v17, v15, s[8:9]
	v_cndmask_b32_e64 v15, v15, v17, s[8:9]
	;; [unrolled: 1-line block ×3, first 2 shown]
	v_perm_b32 v13, v9, v9, s28
	v_cmp_gt_i16_sdwa s[8:9], sext(v16), sext(v9) src0_sel:BYTE_0 src1_sel:BYTE_0
	v_cndmask_b32_e64 v9, v9, v13, s[8:9]
	v_cndmask_b32_e64 v16, v22, v18, s[8:9]
	;; [unrolled: 1-line block ×3, first 2 shown]
	v_lshrrev_b32_e32 v13, 24, v9
	v_lshrrev_b32_e32 v22, 16, v9
	s_mov_b32 s24, 0x6070504
	v_cndmask_b32_e64 v17, v23, v19, s[8:9]
	v_cndmask_b32_e64 v19, v19, v23, s[8:9]
	v_perm_b32 v23, v9, v9, s24
	v_cmp_gt_i16_sdwa s[8:9], sext(v13), sext(v22) src0_sel:BYTE_0 src1_sel:BYTE_0
	v_cndmask_b32_e64 v13, v25, v27, s[8:9]
	v_cndmask_b32_e64 v25, v27, v25, s[8:9]
	v_cndmask_b32_e64 v9, v9, v23, s[8:9]
	v_lshrrev_b32_e32 v23, 16, v10
	v_lshrrev_b32_e32 v27, 8, v10
	s_mov_b32 s23, 0x7050604
	v_cndmask_b32_e64 v22, v26, v28, s[8:9]
	v_cndmask_b32_e64 v26, v28, v26, s[8:9]
	v_perm_b32 v28, v10, v10, s23
	v_cmp_gt_i16_sdwa s[8:9], sext(v23), sext(v27) src0_sel:BYTE_0 src1_sel:BYTE_0
	v_cndmask_b32_e64 v10, v10, v28, s[8:9]
	s_movk_i32 s29, 0xff
	v_cndmask_b32_e64 v23, v15, v24, s[8:9]
	v_cndmask_b32_e64 v15, v24, v15, s[8:9]
	v_and_b32_sdwa v24, v10, s29 dst_sel:DWORD dst_unused:UNUSED_PAD src0_sel:WORD_1 src1_sel:DWORD
	v_lshlrev_b16_e32 v28, 8, v9
	s_mov_b32 s25, 0x3020107
	v_or_b32_sdwa v24, v24, v28 dst_sel:WORD_1 dst_unused:UNUSED_PAD src0_sel:DWORD src1_sel:DWORD
	v_lshrrev_b32_e32 v28, 24, v10
	v_cndmask_b32_e64 v27, v14, v20, s[8:9]
	v_cndmask_b32_e64 v14, v20, v14, s[8:9]
	v_perm_b32 v20, v10, v9, s25
	v_cmp_gt_i16_sdwa s[8:9], sext(v9), sext(v28) src0_sel:BYTE_0 src1_sel:BYTE_0
	v_cndmask_b32_e64 v9, v9, v20, s[8:9]
	v_and_or_b32 v24, v10, s21, v24
	v_cndmask_b32_e64 v29, v12, v16, s[8:9]
	v_cndmask_b32_e64 v12, v16, v12, s[8:9]
	v_lshrrev_b32_e32 v16, 16, v9
	v_lshrrev_b32_e32 v20, 8, v9
	v_cndmask_b32_e64 v28, v21, v17, s[8:9]
	v_cndmask_b32_e64 v17, v17, v21, s[8:9]
	;; [unrolled: 1-line block ×3, first 2 shown]
	v_perm_b32 v21, v9, v9, s23
	v_cmp_gt_i16_sdwa s[8:9], sext(v16), sext(v20) src0_sel:BYTE_0 src1_sel:BYTE_0
	v_cndmask_b32_e64 v20, v18, v13, s[8:9]
	v_cndmask_b32_e64 v13, v13, v18, s[8:9]
	;; [unrolled: 1-line block ×3, first 2 shown]
	v_perm_b32 v18, 0, v10, s22
	s_mov_b32 s40, 0xffff0000
	v_lshrrev_b32_e32 v21, 8, v10
	v_cndmask_b32_e64 v16, v19, v22, s[8:9]
	v_cndmask_b32_e64 v19, v22, v19, s[8:9]
	v_and_or_b32 v18, v10, s40, v18
	v_cmp_gt_i16_sdwa s[8:9], sext(v21), sext(v10) src0_sel:BYTE_0 src1_sel:BYTE_0
	v_cndmask_b32_e64 v10, v10, v18, s[8:9]
	v_cndmask_b32_e64 v21, v14, v4, s[8:9]
	;; [unrolled: 1-line block ×3, first 2 shown]
	v_lshrrev_b32_e32 v14, 16, v10
	v_cndmask_b32_e64 v22, v15, v5, s[8:9]
	v_cndmask_b32_e64 v5, v5, v15, s[8:9]
	v_perm_b32 v15, 0, v14, s22
	v_lshrrev_b32_e32 v18, 24, v10
	v_lshlrev_b32_e32 v15, 16, v15
	v_cmp_gt_i16_sdwa s[8:9], sext(v18), sext(v14) src0_sel:BYTE_0 src1_sel:BYTE_0
	v_and_or_b32 v15, v10, s21, v15
	v_cndmask_b32_e64 v14, v29, v27, s[8:9]
	v_cndmask_b32_e64 v24, v27, v29, s[8:9]
	v_lshrrev_b32_e32 v27, 8, v9
	v_cndmask_b32_e64 v18, v28, v23, s[8:9]
	v_cndmask_b32_e64 v23, v23, v28, s[8:9]
	;; [unrolled: 1-line block ×3, first 2 shown]
	v_perm_b32 v15, v9, v9, s28
	v_cmp_gt_i16_sdwa s[8:9], sext(v27), sext(v9) src0_sel:BYTE_0 src1_sel:BYTE_0
	v_cndmask_b32_e64 v9, v9, v15, s[8:9]
	v_cndmask_b32_e64 v28, v17, v16, s[8:9]
	v_cndmask_b32_e64 v16, v16, v17, s[8:9]
	v_lshrrev_b32_e32 v15, 24, v9
	v_lshrrev_b32_e32 v17, 16, v9
	v_cndmask_b32_e64 v27, v12, v20, s[8:9]
	v_cndmask_b32_e64 v12, v20, v12, s[8:9]
	v_perm_b32 v20, v9, v9, s24
	v_cmp_gt_i16_sdwa s[8:9], sext(v15), sext(v17) src0_sel:BYTE_0 src1_sel:BYTE_0
	v_cndmask_b32_e64 v15, v13, v25, s[8:9]
	v_cndmask_b32_e64 v13, v25, v13, s[8:9]
	;; [unrolled: 1-line block ×3, first 2 shown]
	v_lshrrev_b32_e32 v20, 16, v10
	v_lshrrev_b32_e32 v25, 8, v10
	v_cndmask_b32_e64 v17, v19, v26, s[8:9]
	v_cndmask_b32_e64 v19, v26, v19, s[8:9]
	v_perm_b32 v26, v10, v10, s23
	v_cmp_gt_i16_sdwa s[8:9], sext(v20), sext(v25) src0_sel:BYTE_0 src1_sel:BYTE_0
	v_cndmask_b32_e64 v10, v10, v26, s[8:9]
	v_cndmask_b32_e64 v25, v24, v21, s[8:9]
	;; [unrolled: 1-line block ×3, first 2 shown]
	v_and_b32_sdwa v24, v10, s29 dst_sel:DWORD dst_unused:UNUSED_PAD src0_sel:WORD_1 src1_sel:DWORD
	v_lshlrev_b16_e32 v26, 8, v9
	v_or_b32_sdwa v24, v24, v26 dst_sel:WORD_1 dst_unused:UNUSED_PAD src0_sel:DWORD src1_sel:DWORD
	v_lshrrev_b32_e32 v26, 24, v10
	v_cndmask_b32_e64 v20, v23, v22, s[8:9]
	v_cndmask_b32_e64 v22, v22, v23, s[8:9]
	v_perm_b32 v23, v10, v9, s25
	v_cmp_gt_i16_sdwa s[8:9], sext(v9), sext(v26) src0_sel:BYTE_0 src1_sel:BYTE_0
	v_and_or_b32 v24, v10, s21, v24
	v_cndmask_b32_e64 v9, v9, v23, s[8:9]
	v_cndmask_b32_e64 v10, v10, v24, s[8:9]
	v_lshrrev_b32_e32 v23, 16, v9
	v_lshrrev_b32_e32 v24, 8, v9
	v_cndmask_b32_e64 v26, v18, v28, s[8:9]
	v_cndmask_b32_e64 v29, v14, v27, s[8:9]
	;; [unrolled: 1-line block ×4, first 2 shown]
	v_cmp_gt_i16_sdwa s[8:9], sext(v23), sext(v24) src0_sel:BYTE_0 src1_sel:BYTE_0
	v_perm_b32 v27, v9, v9, s23
	v_cndmask_b32_e64 v23, v16, v17, s[8:9]
	v_cndmask_b32_e64 v24, v12, v15, s[8:9]
	;; [unrolled: 1-line block ×4, first 2 shown]
	v_perm_b32 v15, 0, v10, s22
	v_lshrrev_b32_e32 v17, 8, v10
	v_cndmask_b32_e64 v9, v9, v27, s[8:9]
	v_and_or_b32 v15, v10, s40, v15
	v_cmp_gt_i16_sdwa s[8:9], sext(v17), sext(v10) src0_sel:BYTE_0 src1_sel:BYTE_0
	v_cndmask_b32_e64 v10, v10, v15, s[8:9]
	v_lshrrev_b32_e32 v15, 16, v10
	v_cndmask_b32_e64 v17, v21, v4, s[8:9]
	v_cndmask_b32_e64 v27, v22, v5, s[8:9]
	;; [unrolled: 1-line block ×4, first 2 shown]
	v_perm_b32 v21, 0, v15, s22
	v_lshrrev_b32_e32 v22, 24, v10
	v_lshlrev_b32_e32 v21, 16, v21
	v_cmp_gt_i16_sdwa s[8:9], sext(v22), sext(v15) src0_sel:BYTE_0 src1_sel:BYTE_0
	v_and_or_b32 v21, v10, s21, v21
	v_cndmask_b32_e64 v22, v26, v20, s[8:9]
	v_cndmask_b32_e64 v20, v20, v26, s[8:9]
	v_lshrrev_b32_e32 v26, 8, v9
	v_cndmask_b32_e64 v15, v29, v25, s[8:9]
	v_cndmask_b32_e64 v25, v25, v29, s[8:9]
	v_cndmask_b32_e64 v10, v10, v21, s[8:9]
	v_perm_b32 v21, v9, v9, s28
	v_cmp_gt_i16_sdwa s[8:9], sext(v26), sext(v9) src0_sel:BYTE_0 src1_sel:BYTE_0
	v_cndmask_b32_e64 v9, v9, v21, s[8:9]
	v_cndmask_b32_e64 v28, v18, v23, s[8:9]
	;; [unrolled: 1-line block ×3, first 2 shown]
	v_lshrrev_b32_e32 v21, 24, v9
	v_lshrrev_b32_e32 v23, 16, v9
	v_cndmask_b32_e64 v26, v14, v24, s[8:9]
	v_cndmask_b32_e64 v14, v24, v14, s[8:9]
	v_cmp_gt_i16_sdwa s[8:9], sext(v21), sext(v23) src0_sel:BYTE_0 src1_sel:BYTE_0
	v_perm_b32 v24, v9, v9, s24
	v_cndmask_b32_e64 v21, v12, v13, s[8:9]
	v_cndmask_b32_e64 v23, v16, v19, s[8:9]
	;; [unrolled: 1-line block ×4, first 2 shown]
	v_lshrrev_b32_e32 v16, 16, v10
	v_lshrrev_b32_e32 v19, 8, v10
	v_cndmask_b32_e64 v9, v9, v24, s[8:9]
	v_perm_b32 v24, v10, v10, s23
	v_cmp_gt_i16_sdwa s[8:9], sext(v16), sext(v19) src0_sel:BYTE_0 src1_sel:BYTE_0
	v_cndmask_b32_e64 v10, v10, v24, s[8:9]
	v_cndmask_b32_e64 v16, v20, v27, s[8:9]
	;; [unrolled: 1-line block ×5, first 2 shown]
	v_and_b32_sdwa v25, v10, s29 dst_sel:DWORD dst_unused:UNUSED_PAD src0_sel:WORD_1 src1_sel:DWORD
	v_lshlrev_b16_e32 v27, 8, v9
	v_or_b32_sdwa v25, v25, v27 dst_sel:WORD_1 dst_unused:UNUSED_PAD src0_sel:DWORD src1_sel:DWORD
	v_lshrrev_b32_e32 v27, 24, v10
	v_perm_b32 v24, v10, v9, s25
	v_cmp_gt_i16_sdwa s[8:9], sext(v9), sext(v27) src0_sel:BYTE_0 src1_sel:BYTE_0
	v_and_or_b32 v25, v10, s21, v25
	v_cndmask_b32_e64 v9, v9, v24, s[8:9]
	v_cndmask_b32_e64 v10, v10, v25, s[8:9]
	v_lshrrev_b32_e32 v24, 16, v9
	v_lshrrev_b32_e32 v25, 8, v9
	v_cndmask_b32_e64 v27, v22, v28, s[8:9]
	v_cndmask_b32_e64 v29, v15, v26, s[8:9]
	;; [unrolled: 1-line block ×4, first 2 shown]
	v_cmp_gt_i16_sdwa s[8:9], sext(v24), sext(v25) src0_sel:BYTE_0 src1_sel:BYTE_0
	v_perm_b32 v26, v9, v9, s23
	v_cndmask_b32_e64 v24, v18, v23, s[8:9]
	v_cndmask_b32_e64 v25, v14, v21, s[8:9]
	;; [unrolled: 1-line block ×4, first 2 shown]
	v_perm_b32 v18, 0, v10, s22
	v_lshrrev_b32_e32 v23, 8, v10
	v_cndmask_b32_e64 v9, v9, v26, s[8:9]
	v_and_or_b32 v18, v10, s40, v18
	v_cmp_gt_i16_sdwa s[8:9], sext(v23), sext(v10) src0_sel:BYTE_0 src1_sel:BYTE_0
	v_cndmask_b32_e64 v10, v10, v18, s[8:9]
	v_cndmask_b32_e64 v23, v17, v4, s[8:9]
	;; [unrolled: 1-line block ×3, first 2 shown]
	v_lshrrev_b32_e32 v17, 16, v10
	v_perm_b32 v18, 0, v17, s22
	v_cndmask_b32_e64 v26, v20, v5, s[8:9]
	v_cndmask_b32_e64 v5, v5, v20, s[8:9]
	v_lshrrev_b32_e32 v20, 24, v10
	v_lshlrev_b32_e32 v18, 16, v18
	v_and_or_b32 v18, v10, s21, v18
	v_cmp_gt_i16_sdwa s[8:9], sext(v20), sext(v17) src0_sel:BYTE_0 src1_sel:BYTE_0
	v_cndmask_b32_e64 v20, v29, v19, s[8:9]
	v_cndmask_b32_e64 v17, v19, v29, s[8:9]
	;; [unrolled: 1-line block ×3, first 2 shown]
	v_lshrrev_b32_e32 v18, 8, v9
	v_cndmask_b32_e64 v30, v27, v16, s[8:9]
	v_cndmask_b32_e64 v16, v16, v27, s[8:9]
	v_perm_b32 v10, v9, v9, s28
	v_cmp_gt_i16_sdwa s[8:9], sext(v18), sext(v9) src0_sel:BYTE_0 src1_sel:BYTE_0
	v_cndmask_b32_e64 v31, v15, v25, s[8:9]
	v_cndmask_b32_e64 v18, v25, v15, s[8:9]
	;; [unrolled: 1-line block ×3, first 2 shown]
	v_lshrrev_b32_e32 v9, 24, v15
	v_lshrrev_b32_e32 v10, 16, v15
	v_cndmask_b32_e64 v35, v22, v24, s[8:9]
	v_cndmask_b32_e64 v19, v24, v22, s[8:9]
	v_cmp_gt_i16_sdwa s[8:9], sext(v9), sext(v10) src0_sel:BYTE_0 src1_sel:BYTE_0
	v_perm_b32 v22, v15, v15, s24
	v_cndmask_b32_e64 v10, v21, v13, s[8:9]
	v_cndmask_b32_e64 v9, v14, v12, s[8:9]
	;; [unrolled: 1-line block ×4, first 2 shown]
	v_lshrrev_b32_e32 v12, 16, v29
	v_lshrrev_b32_e32 v13, 8, v29
	v_cndmask_b32_e64 v21, v15, v22, s[8:9]
	v_perm_b32 v22, v29, v29, s23
	v_cmp_gt_i16_sdwa s[8:9], sext(v12), sext(v13) src0_sel:BYTE_0 src1_sel:BYTE_0
	v_cndmask_b32_e64 v24, v29, v22, s[8:9]
	v_cndmask_b32_e64 v15, v16, v26, s[8:9]
	;; [unrolled: 1-line block ×5, first 2 shown]
	v_and_b32_sdwa v16, v24, s29 dst_sel:DWORD dst_unused:UNUSED_PAD src0_sel:WORD_1 src1_sel:DWORD
	v_lshlrev_b16_e32 v17, 8, v21
	v_or_b32_sdwa v16, v16, v17 dst_sel:WORD_1 dst_unused:UNUSED_PAD src0_sel:DWORD src1_sel:DWORD
	v_lshrrev_b32_e32 v17, 24, v24
	v_perm_b32 v25, v24, v21, s25
	v_and_or_b32 v26, v24, s21, v16
	v_cmp_gt_i16_sdwa s[8:9], sext(v21), sext(v17) src0_sel:BYTE_0 src1_sel:BYTE_0
	v_cndmask_b32_e64 v16, v20, v31, s[8:9]
	v_cndmask_b32_e64 v22, v31, v20, s[8:9]
	;; [unrolled: 1-line block ×4, first 2 shown]
	v_lshrrev_b64 v[24:25], 24, v[20:21]
	v_lshrrev_b32_e32 v39, 8, v21
	v_lshrrev_b32_e32 v38, 16, v21
	v_mov_b32_e32 v26, v10
	v_cndmask_b32_e64 v17, v30, v35, s[8:9]
	v_cndmask_b32_e64 v23, v35, v30, s[8:9]
	v_lshrrev_b32_e32 v37, 24, v21
	v_lshrrev_b32_e32 v36, 16, v20
	;; [unrolled: 1-line block ×3, first 2 shown]
	v_cmp_gt_i16_sdwa s[22:23], sext(v38), sext(v39) src0_sel:BYTE_0 src1_sel:BYTE_0
	v_mov_b32_e32 v25, v9
	s_and_saveexec_b64 s[8:9], s[22:23]
; %bb.74:
	v_mov_b32_e32 v25, v39
	v_mov_b32_e32 v26, v19
	v_swap_b32 v39, v38
	v_mov_b32_e32 v25, v18
	v_mov_b32_e32 v19, v10
	;; [unrolled: 1-line block ×3, first 2 shown]
; %bb.75:
	s_or_b64 exec, exec, s[8:9]
.LBB304_76:
	s_or_b64 exec, exec, s[12:13]
	v_and_b32_e32 v10, 0xfffffe00, v11
	v_sub_u32_e64 v11, s20, v10 clamp
	v_or_b32_e32 v31, 8, v34
	v_min_u32_e32 v31, v11, v31
	v_add_u32_e32 v48, 8, v31
	v_and_b32_e32 v49, 0x3f0, v34
	v_min_u32_e32 v48, v11, v48
	v_and_b32_e32 v50, 8, v34
	v_min_u32_e32 v50, v11, v50
	v_sub_u32_e32 v51, v48, v31
	v_sub_u32_e32 v52, v31, v49
	v_lshlrev_b32_e32 v9, 3, v10
	v_sub_u32_e64 v51, v50, v51 clamp
	v_min_u32_e32 v52, v50, v52
	v_add_u32_e32 v29, v10, v34
	v_lshl_add_u32 v30, v34, 3, v9
	v_cmp_lt_u32_e64 s[8:9], v51, v52
	ds_write_b8 v29, v20
	ds_write_b64 v30, v[4:5] offset:2048
	ds_write_b8 v29, v35 offset:1
	ds_write_b64 v30, v[12:13] offset:2056
	ds_write_b8 v29, v36 offset:2
	;; [unrolled: 2-line block ×7, first 2 shown]
	ds_write_b64 v30, v[27:28] offset:2104
	; wave barrier
	s_and_saveexec_b64 s[12:13], s[8:9]
	s_cbranch_execz .LBB304_80
; %bb.77:
	v_add_u32_e32 v53, v10, v49
	v_add3_u32 v54, v10, v31, v50
	s_mov_b64 s[20:21], 0
.LBB304_78:                             ; =>This Inner Loop Header: Depth=1
	v_add_u32_e32 v55, v52, v51
	v_lshrrev_b32_e32 v55, 1, v55
	v_add_u32_e32 v64, v53, v55
	v_xad_u32 v65, v55, -1, v54
	ds_read_i8 v64, v64
	ds_read_i8 v65, v65
	v_add_u32_e32 v66, 1, v55
	s_waitcnt lgkmcnt(0)
	v_cmp_gt_i16_e64 s[8:9], v65, v64
	v_cndmask_b32_e64 v52, v52, v55, s[8:9]
	v_cndmask_b32_e64 v51, v66, v51, s[8:9]
	v_cmp_ge_u32_e64 s[8:9], v51, v52
	s_or_b64 s[20:21], s[8:9], s[20:21]
	s_andn2_b64 exec, exec, s[20:21]
	s_cbranch_execnz .LBB304_78
; %bb.79:
	s_or_b64 exec, exec, s[20:21]
.LBB304_80:
	s_or_b64 exec, exec, s[12:13]
	v_add_u32_e32 v50, v31, v50
	v_add_u32_e32 v49, v51, v49
	v_sub_u32_e32 v50, v50, v51
	v_cmp_le_u32_e64 s[8:9], v49, v31
	v_cmp_le_u32_e64 s[12:13], v50, v48
	s_or_b64 s[8:9], s[8:9], s[12:13]
	s_and_saveexec_b64 s[46:47], s[8:9]
	s_cbranch_execz .LBB304_86
; %bb.81:
	v_cmp_lt_u32_e64 s[8:9], v49, v31
                                        ; implicit-def: $vgpr20
	s_and_saveexec_b64 s[12:13], s[8:9]
; %bb.82:
	v_add_u32_e32 v4, v10, v49
	ds_read_u8 v20, v4
; %bb.83:
	s_or_b64 exec, exec, s[12:13]
	v_cmp_ge_u32_e64 s[20:21], v50, v48
	v_cmp_lt_u32_e64 s[12:13], v50, v48
                                        ; implicit-def: $vgpr21
	s_and_saveexec_b64 s[22:23], s[12:13]
; %bb.84:
	v_add_u32_e32 v4, v10, v50
	ds_read_u8 v21, v4
; %bb.85:
	s_or_b64 exec, exec, s[22:23]
	s_waitcnt lgkmcnt(0)
	v_cmp_le_i16_sdwa s[12:13], sext(v21), sext(v20) src0_sel:BYTE_0 src1_sel:BYTE_0
	s_and_b64 s[8:9], s[8:9], s[12:13]
	s_or_b64 s[8:9], s[20:21], s[8:9]
	v_cndmask_b32_e64 v4, v50, v49, s[8:9]
	v_cndmask_b32_e64 v5, v48, v31, s[8:9]
	v_add_u32_e32 v12, 1, v4
	v_add_u32_e32 v5, -1, v5
	v_min_u32_e32 v5, v12, v5
	v_add_u32_e32 v5, v10, v5
	ds_read_u8 v5, v5
	v_cndmask_b32_e64 v13, v12, v50, s[8:9]
	v_cmp_ge_u32_e64 s[12:13], v13, v48
	v_lshl_add_u32 v4, v4, 3, v9
	s_waitcnt lgkmcnt(0)
	v_cndmask_b32_e64 v24, v5, v21, s[8:9]
	v_cndmask_b32_e64 v27, v20, v5, s[8:9]
	;; [unrolled: 1-line block ×3, first 2 shown]
	v_cmp_lt_u32_e64 s[20:21], v5, v31
	v_cmp_le_i16_sdwa s[22:23], sext(v24), sext(v27) src0_sel:BYTE_0 src1_sel:BYTE_0
	s_and_b64 s[20:21], s[20:21], s[22:23]
	s_or_b64 s[20:21], s[12:13], s[20:21]
	v_cndmask_b32_e64 v12, v13, v5, s[20:21]
	v_cndmask_b32_e64 v14, v48, v31, s[20:21]
	v_add_u32_e32 v15, 1, v12
	v_add_u32_e32 v14, -1, v14
	v_min_u32_e32 v14, v15, v14
	v_add_u32_e32 v14, v10, v14
	ds_read_u8 v14, v14
	v_cndmask_b32_e64 v5, v5, v15, s[20:21]
	v_cndmask_b32_e64 v13, v15, v13, s[20:21]
	v_cmp_lt_u32_e64 s[22:23], v5, v31
	v_cmp_ge_u32_e64 s[12:13], v13, v48
	s_waitcnt lgkmcnt(0)
	v_cndmask_b32_e64 v28, v14, v24, s[20:21]
	v_cndmask_b32_e64 v36, v27, v14, s[20:21]
	v_cmp_le_i16_sdwa s[24:25], sext(v28), sext(v36) src0_sel:BYTE_0 src1_sel:BYTE_0
	s_and_b64 s[22:23], s[22:23], s[24:25]
	s_or_b64 s[22:23], s[12:13], s[22:23]
	v_cndmask_b32_e64 v14, v13, v5, s[22:23]
	v_cndmask_b32_e64 v15, v48, v31, s[22:23]
	v_add_u32_e32 v16, 1, v14
	v_add_u32_e32 v15, -1, v15
	v_min_u32_e32 v15, v16, v15
	v_add_u32_e32 v15, v10, v15
	ds_read_u8 v15, v15
	v_lshl_add_u32 v12, v12, 3, v9
	v_lshl_add_u32 v14, v14, 3, v9
	v_cndmask_b32_e64 v20, v21, v20, s[8:9]
	s_waitcnt lgkmcnt(0)
	v_cndmask_b32_e64 v37, v15, v28, s[22:23]
	v_cndmask_b32_e64 v38, v36, v15, s[22:23]
	;; [unrolled: 1-line block ×4, first 2 shown]
	v_cmp_lt_u32_e64 s[24:25], v16, v31
	v_cmp_le_i16_sdwa s[28:29], sext(v37), sext(v38) src0_sel:BYTE_0 src1_sel:BYTE_0
	v_cmp_ge_u32_e64 s[12:13], v15, v48
	s_and_b64 s[24:25], s[24:25], s[28:29]
	s_or_b64 s[12:13], s[12:13], s[24:25]
	v_cndmask_b32_e64 v17, v15, v16, s[12:13]
	v_cndmask_b32_e64 v5, v48, v31, s[12:13]
	v_add_u32_e32 v18, 1, v17
	v_add_u32_e32 v5, -1, v5
	v_min_u32_e32 v5, v18, v5
	v_add_u32_e32 v5, v10, v5
	ds_read_u8 v19, v5
	ds_read_b64 v[4:5], v4 offset:2048
	ds_read_b64 v[12:13], v12 offset:2048
	v_cndmask_b32_e64 v36, v28, v36, s[22:23]
	s_waitcnt lgkmcnt(2)
	v_cndmask_b32_e64 v39, v19, v37, s[12:13]
	v_cndmask_b32_e64 v49, v38, v19, s[12:13]
	;; [unrolled: 1-line block ×4, first 2 shown]
	v_cmp_lt_u32_e64 s[28:29], v18, v31
	v_cmp_le_i16_sdwa s[40:41], sext(v39), sext(v49) src0_sel:BYTE_0 src1_sel:BYTE_0
	v_cmp_ge_u32_e64 s[24:25], v19, v48
	s_and_b64 s[28:29], s[28:29], s[40:41]
	s_or_b64 s[24:25], s[24:25], s[28:29]
	v_cndmask_b32_e64 v22, v19, v18, s[24:25]
	v_cndmask_b32_e64 v15, v48, v31, s[24:25]
	v_add_u32_e32 v23, 1, v22
	v_add_u32_e32 v15, -1, v15
	v_min_u32_e32 v15, v23, v15
	v_add_u32_e32 v15, v10, v15
	ds_read_u8 v25, v15
	v_cndmask_b32_e64 v26, v18, v23, s[24:25]
	v_cmp_lt_u32_e64 s[40:41], v26, v31
	v_lshl_add_u32 v16, v17, 3, v9
	ds_read_b64 v[14:15], v14 offset:2048
	ds_read_b64 v[16:17], v16 offset:2048
	s_waitcnt lgkmcnt(2)
	v_cndmask_b32_e64 v50, v25, v39, s[24:25]
	v_cndmask_b32_e64 v51, v49, v25, s[24:25]
	;; [unrolled: 1-line block ×3, first 2 shown]
	v_cmp_le_i16_sdwa s[42:43], sext(v50), sext(v51) src0_sel:BYTE_0 src1_sel:BYTE_0
	v_cmp_ge_u32_e64 s[28:29], v25, v48
	s_and_b64 s[40:41], s[40:41], s[42:43]
	s_or_b64 s[28:29], s[28:29], s[40:41]
	v_cndmask_b32_e64 v18, v25, v26, s[28:29]
	v_cndmask_b32_e64 v19, v48, v31, s[28:29]
	v_add_u32_e32 v35, 1, v18
	v_add_u32_e32 v19, -1, v19
	v_min_u32_e32 v19, v35, v19
	v_add_u32_e32 v19, v10, v19
	ds_read_u8 v52, v19
	v_cndmask_b32_e64 v55, v26, v35, s[28:29]
	v_cndmask_b32_e64 v54, v35, v25, s[28:29]
	v_cmp_lt_u32_e64 s[42:43], v55, v31
	v_cmp_ge_u32_e64 s[40:41], v54, v48
	s_waitcnt lgkmcnt(0)
	v_cndmask_b32_e64 v53, v52, v50, s[28:29]
	v_cndmask_b32_e64 v52, v51, v52, s[28:29]
	v_cmp_le_i16_sdwa s[56:57], sext(v53), sext(v52) src0_sel:BYTE_0 src1_sel:BYTE_0
	s_and_b64 s[42:43], s[42:43], s[56:57]
	s_or_b64 s[40:41], s[40:41], s[42:43]
	v_cndmask_b32_e64 v25, v54, v55, s[40:41]
	v_cndmask_b32_e64 v26, v48, v31, s[40:41]
	v_lshl_add_u32 v35, v25, 3, v9
	v_add_u32_e32 v64, 1, v25
	v_add_u32_e32 v25, -1, v26
	v_min_u32_e32 v25, v64, v25
	v_lshl_add_u32 v19, v22, 3, v9
	v_lshl_add_u32 v18, v18, 3, v9
	v_add_u32_e32 v65, v10, v25
	ds_read_b64 v[22:23], v19 offset:2048
	ds_read_b64 v[18:19], v18 offset:2048
	;; [unrolled: 1-line block ×3, first 2 shown]
	ds_read_u8 v65, v65
	v_cndmask_b32_e64 v35, v24, v27, s[20:21]
	v_cndmask_b32_e64 v24, v37, v38, s[12:13]
	;; [unrolled: 1-line block ×4, first 2 shown]
	s_waitcnt lgkmcnt(0)
	v_cndmask_b32_e64 v37, v65, v53, s[40:41]
	v_cndmask_b32_e64 v65, v52, v65, s[40:41]
	v_cmp_lt_u32_e64 s[12:13], v27, v31
	v_cmp_le_i16_sdwa s[20:21], sext(v37), sext(v65) src0_sel:BYTE_0 src1_sel:BYTE_0
	v_cmp_ge_u32_e64 s[8:9], v21, v48
	s_and_b64 s[12:13], s[12:13], s[20:21]
	s_or_b64 s[8:9], s[8:9], s[12:13]
	v_cndmask_b32_e64 v21, v21, v27, s[8:9]
	v_lshl_add_u32 v21, v21, 3, v9
	ds_read_b64 v[27:28], v21 offset:2048
	v_cndmask_b32_e64 v21, v39, v49, s[24:25]
	v_cndmask_b32_e64 v39, v50, v51, s[28:29]
	;; [unrolled: 1-line block ×4, first 2 shown]
.LBB304_86:
	s_or_b64 exec, exec, s[46:47]
	v_and_b32_e32 v49, 0x3e0, v34
	v_or_b32_e32 v31, 16, v49
	v_min_u32_e32 v31, v11, v31
	v_add_u32_e32 v48, 16, v31
	v_min_u32_e32 v48, v11, v48
	v_and_b32_e32 v50, 24, v34
	v_min_u32_e32 v50, v11, v50
	v_sub_u32_e32 v52, v31, v49
	v_sub_u32_e32 v51, v48, v31
	v_sub_u32_e64 v51, v50, v51 clamp
	v_min_u32_e32 v52, v50, v52
	v_cmp_lt_u32_e64 s[8:9], v51, v52
	; wave barrier
	ds_write_b8 v29, v20
	ds_write_b64 v30, v[4:5] offset:2048
	ds_write_b8 v29, v35 offset:1
	ds_write_b64 v30, v[12:13] offset:2056
	ds_write_b8 v29, v36 offset:2
	;; [unrolled: 2-line block ×7, first 2 shown]
	s_waitcnt lgkmcnt(14)
	ds_write_b64 v30, v[27:28] offset:2104
	; wave barrier
	s_and_saveexec_b64 s[12:13], s[8:9]
	s_cbranch_execz .LBB304_90
; %bb.87:
	v_add_u32_e32 v53, v10, v49
	v_add3_u32 v54, v10, v31, v50
	s_mov_b64 s[20:21], 0
.LBB304_88:                             ; =>This Inner Loop Header: Depth=1
	v_add_u32_e32 v55, v52, v51
	v_lshrrev_b32_e32 v55, 1, v55
	v_add_u32_e32 v64, v53, v55
	v_xad_u32 v65, v55, -1, v54
	ds_read_i8 v64, v64
	ds_read_i8 v65, v65
	v_add_u32_e32 v66, 1, v55
	s_waitcnt lgkmcnt(0)
	v_cmp_gt_i16_e64 s[8:9], v65, v64
	v_cndmask_b32_e64 v52, v52, v55, s[8:9]
	v_cndmask_b32_e64 v51, v66, v51, s[8:9]
	v_cmp_ge_u32_e64 s[8:9], v51, v52
	s_or_b64 s[20:21], s[8:9], s[20:21]
	s_andn2_b64 exec, exec, s[20:21]
	s_cbranch_execnz .LBB304_88
; %bb.89:
	s_or_b64 exec, exec, s[20:21]
.LBB304_90:
	s_or_b64 exec, exec, s[12:13]
	v_add_u32_e32 v50, v31, v50
	v_add_u32_e32 v49, v51, v49
	v_sub_u32_e32 v50, v50, v51
	v_cmp_le_u32_e64 s[8:9], v49, v31
	v_cmp_le_u32_e64 s[12:13], v50, v48
	s_or_b64 s[8:9], s[8:9], s[12:13]
	s_and_saveexec_b64 s[46:47], s[8:9]
	s_cbranch_execz .LBB304_96
; %bb.91:
	v_cmp_lt_u32_e64 s[8:9], v49, v31
                                        ; implicit-def: $vgpr20
	s_and_saveexec_b64 s[12:13], s[8:9]
; %bb.92:
	v_add_u32_e32 v4, v10, v49
	ds_read_u8 v20, v4
; %bb.93:
	s_or_b64 exec, exec, s[12:13]
	v_cmp_ge_u32_e64 s[20:21], v50, v48
	v_cmp_lt_u32_e64 s[12:13], v50, v48
                                        ; implicit-def: $vgpr21
	s_and_saveexec_b64 s[22:23], s[12:13]
; %bb.94:
	v_add_u32_e32 v4, v10, v50
	ds_read_u8 v21, v4
; %bb.95:
	s_or_b64 exec, exec, s[22:23]
	s_waitcnt lgkmcnt(0)
	v_cmp_le_i16_sdwa s[12:13], sext(v21), sext(v20) src0_sel:BYTE_0 src1_sel:BYTE_0
	s_and_b64 s[8:9], s[8:9], s[12:13]
	s_or_b64 s[8:9], s[20:21], s[8:9]
	v_cndmask_b32_e64 v4, v50, v49, s[8:9]
	v_cndmask_b32_e64 v5, v48, v31, s[8:9]
	v_add_u32_e32 v12, 1, v4
	v_add_u32_e32 v5, -1, v5
	v_min_u32_e32 v5, v12, v5
	v_add_u32_e32 v5, v10, v5
	ds_read_u8 v5, v5
	v_cndmask_b32_e64 v13, v12, v50, s[8:9]
	v_cmp_ge_u32_e64 s[12:13], v13, v48
	v_lshl_add_u32 v4, v4, 3, v9
	s_waitcnt lgkmcnt(0)
	v_cndmask_b32_e64 v24, v5, v21, s[8:9]
	v_cndmask_b32_e64 v27, v20, v5, s[8:9]
	;; [unrolled: 1-line block ×3, first 2 shown]
	v_cmp_lt_u32_e64 s[20:21], v5, v31
	v_cmp_le_i16_sdwa s[22:23], sext(v24), sext(v27) src0_sel:BYTE_0 src1_sel:BYTE_0
	s_and_b64 s[20:21], s[20:21], s[22:23]
	s_or_b64 s[20:21], s[12:13], s[20:21]
	v_cndmask_b32_e64 v12, v13, v5, s[20:21]
	v_cndmask_b32_e64 v14, v48, v31, s[20:21]
	v_add_u32_e32 v15, 1, v12
	v_add_u32_e32 v14, -1, v14
	v_min_u32_e32 v14, v15, v14
	v_add_u32_e32 v14, v10, v14
	ds_read_u8 v14, v14
	v_cndmask_b32_e64 v5, v5, v15, s[20:21]
	v_cndmask_b32_e64 v13, v15, v13, s[20:21]
	v_cmp_lt_u32_e64 s[22:23], v5, v31
	v_cmp_ge_u32_e64 s[12:13], v13, v48
	s_waitcnt lgkmcnt(0)
	v_cndmask_b32_e64 v28, v14, v24, s[20:21]
	v_cndmask_b32_e64 v36, v27, v14, s[20:21]
	v_cmp_le_i16_sdwa s[24:25], sext(v28), sext(v36) src0_sel:BYTE_0 src1_sel:BYTE_0
	s_and_b64 s[22:23], s[22:23], s[24:25]
	s_or_b64 s[22:23], s[12:13], s[22:23]
	v_cndmask_b32_e64 v14, v13, v5, s[22:23]
	v_cndmask_b32_e64 v15, v48, v31, s[22:23]
	v_add_u32_e32 v16, 1, v14
	v_add_u32_e32 v15, -1, v15
	v_min_u32_e32 v15, v16, v15
	v_add_u32_e32 v15, v10, v15
	ds_read_u8 v15, v15
	v_lshl_add_u32 v12, v12, 3, v9
	v_lshl_add_u32 v14, v14, 3, v9
	v_cndmask_b32_e64 v20, v21, v20, s[8:9]
	s_waitcnt lgkmcnt(0)
	v_cndmask_b32_e64 v37, v15, v28, s[22:23]
	v_cndmask_b32_e64 v38, v36, v15, s[22:23]
	;; [unrolled: 1-line block ×4, first 2 shown]
	v_cmp_lt_u32_e64 s[24:25], v16, v31
	v_cmp_le_i16_sdwa s[28:29], sext(v37), sext(v38) src0_sel:BYTE_0 src1_sel:BYTE_0
	v_cmp_ge_u32_e64 s[12:13], v15, v48
	s_and_b64 s[24:25], s[24:25], s[28:29]
	s_or_b64 s[12:13], s[12:13], s[24:25]
	v_cndmask_b32_e64 v17, v15, v16, s[12:13]
	v_cndmask_b32_e64 v5, v48, v31, s[12:13]
	v_add_u32_e32 v18, 1, v17
	v_add_u32_e32 v5, -1, v5
	v_min_u32_e32 v5, v18, v5
	v_add_u32_e32 v5, v10, v5
	ds_read_u8 v19, v5
	ds_read_b64 v[4:5], v4 offset:2048
	ds_read_b64 v[12:13], v12 offset:2048
	v_cndmask_b32_e64 v36, v28, v36, s[22:23]
	s_waitcnt lgkmcnt(2)
	v_cndmask_b32_e64 v39, v19, v37, s[12:13]
	v_cndmask_b32_e64 v49, v38, v19, s[12:13]
	;; [unrolled: 1-line block ×4, first 2 shown]
	v_cmp_lt_u32_e64 s[28:29], v18, v31
	v_cmp_le_i16_sdwa s[40:41], sext(v39), sext(v49) src0_sel:BYTE_0 src1_sel:BYTE_0
	v_cmp_ge_u32_e64 s[24:25], v19, v48
	s_and_b64 s[28:29], s[28:29], s[40:41]
	s_or_b64 s[24:25], s[24:25], s[28:29]
	v_cndmask_b32_e64 v22, v19, v18, s[24:25]
	v_cndmask_b32_e64 v15, v48, v31, s[24:25]
	v_add_u32_e32 v23, 1, v22
	v_add_u32_e32 v15, -1, v15
	v_min_u32_e32 v15, v23, v15
	v_add_u32_e32 v15, v10, v15
	ds_read_u8 v25, v15
	v_cndmask_b32_e64 v26, v18, v23, s[24:25]
	v_cmp_lt_u32_e64 s[40:41], v26, v31
	v_lshl_add_u32 v16, v17, 3, v9
	ds_read_b64 v[14:15], v14 offset:2048
	ds_read_b64 v[16:17], v16 offset:2048
	s_waitcnt lgkmcnt(2)
	v_cndmask_b32_e64 v50, v25, v39, s[24:25]
	v_cndmask_b32_e64 v51, v49, v25, s[24:25]
	;; [unrolled: 1-line block ×3, first 2 shown]
	v_cmp_le_i16_sdwa s[42:43], sext(v50), sext(v51) src0_sel:BYTE_0 src1_sel:BYTE_0
	v_cmp_ge_u32_e64 s[28:29], v25, v48
	s_and_b64 s[40:41], s[40:41], s[42:43]
	s_or_b64 s[28:29], s[28:29], s[40:41]
	v_cndmask_b32_e64 v18, v25, v26, s[28:29]
	v_cndmask_b32_e64 v19, v48, v31, s[28:29]
	v_add_u32_e32 v35, 1, v18
	v_add_u32_e32 v19, -1, v19
	v_min_u32_e32 v19, v35, v19
	v_add_u32_e32 v19, v10, v19
	ds_read_u8 v52, v19
	v_cndmask_b32_e64 v55, v26, v35, s[28:29]
	v_cndmask_b32_e64 v54, v35, v25, s[28:29]
	v_cmp_lt_u32_e64 s[42:43], v55, v31
	v_cmp_ge_u32_e64 s[40:41], v54, v48
	s_waitcnt lgkmcnt(0)
	v_cndmask_b32_e64 v53, v52, v50, s[28:29]
	v_cndmask_b32_e64 v52, v51, v52, s[28:29]
	v_cmp_le_i16_sdwa s[56:57], sext(v53), sext(v52) src0_sel:BYTE_0 src1_sel:BYTE_0
	s_and_b64 s[42:43], s[42:43], s[56:57]
	s_or_b64 s[40:41], s[40:41], s[42:43]
	v_cndmask_b32_e64 v25, v54, v55, s[40:41]
	v_cndmask_b32_e64 v26, v48, v31, s[40:41]
	v_lshl_add_u32 v35, v25, 3, v9
	v_add_u32_e32 v64, 1, v25
	v_add_u32_e32 v25, -1, v26
	v_min_u32_e32 v25, v64, v25
	v_lshl_add_u32 v19, v22, 3, v9
	v_lshl_add_u32 v18, v18, 3, v9
	v_add_u32_e32 v65, v10, v25
	ds_read_b64 v[22:23], v19 offset:2048
	ds_read_b64 v[18:19], v18 offset:2048
	;; [unrolled: 1-line block ×3, first 2 shown]
	ds_read_u8 v65, v65
	v_cndmask_b32_e64 v35, v24, v27, s[20:21]
	v_cndmask_b32_e64 v24, v37, v38, s[12:13]
	;; [unrolled: 1-line block ×4, first 2 shown]
	s_waitcnt lgkmcnt(0)
	v_cndmask_b32_e64 v37, v65, v53, s[40:41]
	v_cndmask_b32_e64 v65, v52, v65, s[40:41]
	v_cmp_lt_u32_e64 s[12:13], v27, v31
	v_cmp_le_i16_sdwa s[20:21], sext(v37), sext(v65) src0_sel:BYTE_0 src1_sel:BYTE_0
	v_cmp_ge_u32_e64 s[8:9], v21, v48
	s_and_b64 s[12:13], s[12:13], s[20:21]
	s_or_b64 s[8:9], s[8:9], s[12:13]
	v_cndmask_b32_e64 v21, v21, v27, s[8:9]
	v_lshl_add_u32 v21, v21, 3, v9
	ds_read_b64 v[27:28], v21 offset:2048
	v_cndmask_b32_e64 v21, v39, v49, s[24:25]
	v_cndmask_b32_e64 v39, v50, v51, s[28:29]
	;; [unrolled: 1-line block ×4, first 2 shown]
.LBB304_96:
	s_or_b64 exec, exec, s[46:47]
	v_and_b32_e32 v49, 0x3c0, v34
	v_or_b32_e32 v31, 32, v49
	v_min_u32_e32 v31, v11, v31
	v_add_u32_e32 v48, 32, v31
	v_min_u32_e32 v48, v11, v48
	v_and_b32_e32 v50, 56, v34
	v_min_u32_e32 v50, v11, v50
	v_sub_u32_e32 v52, v31, v49
	v_sub_u32_e32 v51, v48, v31
	v_sub_u32_e64 v51, v50, v51 clamp
	v_min_u32_e32 v52, v50, v52
	v_cmp_lt_u32_e64 s[8:9], v51, v52
	; wave barrier
	ds_write_b8 v29, v20
	ds_write_b64 v30, v[4:5] offset:2048
	ds_write_b8 v29, v35 offset:1
	ds_write_b64 v30, v[12:13] offset:2056
	ds_write_b8 v29, v36 offset:2
	;; [unrolled: 2-line block ×7, first 2 shown]
	s_waitcnt lgkmcnt(14)
	ds_write_b64 v30, v[27:28] offset:2104
	; wave barrier
	s_and_saveexec_b64 s[12:13], s[8:9]
	s_cbranch_execz .LBB304_100
; %bb.97:
	v_add_u32_e32 v53, v10, v49
	v_add3_u32 v54, v10, v31, v50
	s_mov_b64 s[20:21], 0
.LBB304_98:                             ; =>This Inner Loop Header: Depth=1
	v_add_u32_e32 v55, v52, v51
	v_lshrrev_b32_e32 v55, 1, v55
	v_add_u32_e32 v64, v53, v55
	v_xad_u32 v65, v55, -1, v54
	ds_read_i8 v64, v64
	ds_read_i8 v65, v65
	v_add_u32_e32 v66, 1, v55
	s_waitcnt lgkmcnt(0)
	v_cmp_gt_i16_e64 s[8:9], v65, v64
	v_cndmask_b32_e64 v52, v52, v55, s[8:9]
	v_cndmask_b32_e64 v51, v66, v51, s[8:9]
	v_cmp_ge_u32_e64 s[8:9], v51, v52
	s_or_b64 s[20:21], s[8:9], s[20:21]
	s_andn2_b64 exec, exec, s[20:21]
	s_cbranch_execnz .LBB304_98
; %bb.99:
	s_or_b64 exec, exec, s[20:21]
.LBB304_100:
	s_or_b64 exec, exec, s[12:13]
	v_add_u32_e32 v50, v31, v50
	v_add_u32_e32 v49, v51, v49
	v_sub_u32_e32 v50, v50, v51
	v_cmp_le_u32_e64 s[8:9], v49, v31
	v_cmp_le_u32_e64 s[12:13], v50, v48
	s_or_b64 s[8:9], s[8:9], s[12:13]
	s_and_saveexec_b64 s[46:47], s[8:9]
	s_cbranch_execz .LBB304_106
; %bb.101:
	v_cmp_lt_u32_e64 s[8:9], v49, v31
                                        ; implicit-def: $vgpr20
	s_and_saveexec_b64 s[12:13], s[8:9]
; %bb.102:
	v_add_u32_e32 v4, v10, v49
	ds_read_u8 v20, v4
; %bb.103:
	s_or_b64 exec, exec, s[12:13]
	v_cmp_ge_u32_e64 s[20:21], v50, v48
	v_cmp_lt_u32_e64 s[12:13], v50, v48
                                        ; implicit-def: $vgpr21
	s_and_saveexec_b64 s[22:23], s[12:13]
; %bb.104:
	v_add_u32_e32 v4, v10, v50
	ds_read_u8 v21, v4
; %bb.105:
	s_or_b64 exec, exec, s[22:23]
	s_waitcnt lgkmcnt(0)
	v_cmp_le_i16_sdwa s[12:13], sext(v21), sext(v20) src0_sel:BYTE_0 src1_sel:BYTE_0
	s_and_b64 s[8:9], s[8:9], s[12:13]
	s_or_b64 s[8:9], s[20:21], s[8:9]
	v_cndmask_b32_e64 v4, v50, v49, s[8:9]
	v_cndmask_b32_e64 v5, v48, v31, s[8:9]
	v_add_u32_e32 v12, 1, v4
	v_add_u32_e32 v5, -1, v5
	v_min_u32_e32 v5, v12, v5
	v_add_u32_e32 v5, v10, v5
	ds_read_u8 v5, v5
	v_cndmask_b32_e64 v13, v12, v50, s[8:9]
	v_cmp_ge_u32_e64 s[12:13], v13, v48
	v_lshl_add_u32 v4, v4, 3, v9
	s_waitcnt lgkmcnt(0)
	v_cndmask_b32_e64 v24, v5, v21, s[8:9]
	v_cndmask_b32_e64 v27, v20, v5, s[8:9]
	v_cndmask_b32_e64 v5, v49, v12, s[8:9]
	v_cmp_lt_u32_e64 s[20:21], v5, v31
	v_cmp_le_i16_sdwa s[22:23], sext(v24), sext(v27) src0_sel:BYTE_0 src1_sel:BYTE_0
	s_and_b64 s[20:21], s[20:21], s[22:23]
	s_or_b64 s[20:21], s[12:13], s[20:21]
	v_cndmask_b32_e64 v12, v13, v5, s[20:21]
	v_cndmask_b32_e64 v14, v48, v31, s[20:21]
	v_add_u32_e32 v15, 1, v12
	v_add_u32_e32 v14, -1, v14
	v_min_u32_e32 v14, v15, v14
	v_add_u32_e32 v14, v10, v14
	ds_read_u8 v14, v14
	v_cndmask_b32_e64 v5, v5, v15, s[20:21]
	v_cndmask_b32_e64 v13, v15, v13, s[20:21]
	v_cmp_lt_u32_e64 s[22:23], v5, v31
	v_cmp_ge_u32_e64 s[12:13], v13, v48
	s_waitcnt lgkmcnt(0)
	v_cndmask_b32_e64 v28, v14, v24, s[20:21]
	v_cndmask_b32_e64 v36, v27, v14, s[20:21]
	v_cmp_le_i16_sdwa s[24:25], sext(v28), sext(v36) src0_sel:BYTE_0 src1_sel:BYTE_0
	s_and_b64 s[22:23], s[22:23], s[24:25]
	s_or_b64 s[22:23], s[12:13], s[22:23]
	v_cndmask_b32_e64 v14, v13, v5, s[22:23]
	v_cndmask_b32_e64 v15, v48, v31, s[22:23]
	v_add_u32_e32 v16, 1, v14
	v_add_u32_e32 v15, -1, v15
	v_min_u32_e32 v15, v16, v15
	v_add_u32_e32 v15, v10, v15
	ds_read_u8 v15, v15
	v_lshl_add_u32 v12, v12, 3, v9
	v_lshl_add_u32 v14, v14, 3, v9
	v_cndmask_b32_e64 v20, v21, v20, s[8:9]
	s_waitcnt lgkmcnt(0)
	v_cndmask_b32_e64 v37, v15, v28, s[22:23]
	v_cndmask_b32_e64 v38, v36, v15, s[22:23]
	v_cndmask_b32_e64 v15, v16, v13, s[22:23]
	v_cndmask_b32_e64 v16, v5, v16, s[22:23]
	v_cmp_lt_u32_e64 s[24:25], v16, v31
	v_cmp_le_i16_sdwa s[28:29], sext(v37), sext(v38) src0_sel:BYTE_0 src1_sel:BYTE_0
	v_cmp_ge_u32_e64 s[12:13], v15, v48
	s_and_b64 s[24:25], s[24:25], s[28:29]
	s_or_b64 s[12:13], s[12:13], s[24:25]
	v_cndmask_b32_e64 v17, v15, v16, s[12:13]
	v_cndmask_b32_e64 v5, v48, v31, s[12:13]
	v_add_u32_e32 v18, 1, v17
	v_add_u32_e32 v5, -1, v5
	v_min_u32_e32 v5, v18, v5
	v_add_u32_e32 v5, v10, v5
	ds_read_u8 v19, v5
	ds_read_b64 v[4:5], v4 offset:2048
	ds_read_b64 v[12:13], v12 offset:2048
	v_cndmask_b32_e64 v36, v28, v36, s[22:23]
	s_waitcnt lgkmcnt(2)
	v_cndmask_b32_e64 v39, v19, v37, s[12:13]
	v_cndmask_b32_e64 v49, v38, v19, s[12:13]
	;; [unrolled: 1-line block ×4, first 2 shown]
	v_cmp_lt_u32_e64 s[28:29], v18, v31
	v_cmp_le_i16_sdwa s[40:41], sext(v39), sext(v49) src0_sel:BYTE_0 src1_sel:BYTE_0
	v_cmp_ge_u32_e64 s[24:25], v19, v48
	s_and_b64 s[28:29], s[28:29], s[40:41]
	s_or_b64 s[24:25], s[24:25], s[28:29]
	v_cndmask_b32_e64 v22, v19, v18, s[24:25]
	v_cndmask_b32_e64 v15, v48, v31, s[24:25]
	v_add_u32_e32 v23, 1, v22
	v_add_u32_e32 v15, -1, v15
	v_min_u32_e32 v15, v23, v15
	v_add_u32_e32 v15, v10, v15
	ds_read_u8 v25, v15
	v_cndmask_b32_e64 v26, v18, v23, s[24:25]
	v_cmp_lt_u32_e64 s[40:41], v26, v31
	v_lshl_add_u32 v16, v17, 3, v9
	ds_read_b64 v[14:15], v14 offset:2048
	ds_read_b64 v[16:17], v16 offset:2048
	s_waitcnt lgkmcnt(2)
	v_cndmask_b32_e64 v50, v25, v39, s[24:25]
	v_cndmask_b32_e64 v51, v49, v25, s[24:25]
	;; [unrolled: 1-line block ×3, first 2 shown]
	v_cmp_le_i16_sdwa s[42:43], sext(v50), sext(v51) src0_sel:BYTE_0 src1_sel:BYTE_0
	v_cmp_ge_u32_e64 s[28:29], v25, v48
	s_and_b64 s[40:41], s[40:41], s[42:43]
	s_or_b64 s[28:29], s[28:29], s[40:41]
	v_cndmask_b32_e64 v18, v25, v26, s[28:29]
	v_cndmask_b32_e64 v19, v48, v31, s[28:29]
	v_add_u32_e32 v35, 1, v18
	v_add_u32_e32 v19, -1, v19
	v_min_u32_e32 v19, v35, v19
	v_add_u32_e32 v19, v10, v19
	ds_read_u8 v52, v19
	v_cndmask_b32_e64 v55, v26, v35, s[28:29]
	v_cndmask_b32_e64 v54, v35, v25, s[28:29]
	v_cmp_lt_u32_e64 s[42:43], v55, v31
	v_cmp_ge_u32_e64 s[40:41], v54, v48
	s_waitcnt lgkmcnt(0)
	v_cndmask_b32_e64 v53, v52, v50, s[28:29]
	v_cndmask_b32_e64 v52, v51, v52, s[28:29]
	v_cmp_le_i16_sdwa s[56:57], sext(v53), sext(v52) src0_sel:BYTE_0 src1_sel:BYTE_0
	s_and_b64 s[42:43], s[42:43], s[56:57]
	s_or_b64 s[40:41], s[40:41], s[42:43]
	v_cndmask_b32_e64 v25, v54, v55, s[40:41]
	v_cndmask_b32_e64 v26, v48, v31, s[40:41]
	v_lshl_add_u32 v35, v25, 3, v9
	v_add_u32_e32 v64, 1, v25
	v_add_u32_e32 v25, -1, v26
	v_min_u32_e32 v25, v64, v25
	v_lshl_add_u32 v19, v22, 3, v9
	v_lshl_add_u32 v18, v18, 3, v9
	v_add_u32_e32 v65, v10, v25
	ds_read_b64 v[22:23], v19 offset:2048
	ds_read_b64 v[18:19], v18 offset:2048
	;; [unrolled: 1-line block ×3, first 2 shown]
	ds_read_u8 v65, v65
	v_cndmask_b32_e64 v35, v24, v27, s[20:21]
	v_cndmask_b32_e64 v24, v37, v38, s[12:13]
	v_cndmask_b32_e64 v27, v55, v64, s[40:41]
	v_cndmask_b32_e64 v21, v64, v54, s[40:41]
	s_waitcnt lgkmcnt(0)
	v_cndmask_b32_e64 v37, v65, v53, s[40:41]
	v_cndmask_b32_e64 v65, v52, v65, s[40:41]
	v_cmp_lt_u32_e64 s[12:13], v27, v31
	v_cmp_le_i16_sdwa s[20:21], sext(v37), sext(v65) src0_sel:BYTE_0 src1_sel:BYTE_0
	v_cmp_ge_u32_e64 s[8:9], v21, v48
	s_and_b64 s[12:13], s[12:13], s[20:21]
	s_or_b64 s[8:9], s[8:9], s[12:13]
	v_cndmask_b32_e64 v21, v21, v27, s[8:9]
	v_lshl_add_u32 v21, v21, 3, v9
	ds_read_b64 v[27:28], v21 offset:2048
	v_cndmask_b32_e64 v21, v39, v49, s[24:25]
	v_cndmask_b32_e64 v39, v50, v51, s[28:29]
	;; [unrolled: 1-line block ×4, first 2 shown]
.LBB304_106:
	s_or_b64 exec, exec, s[46:47]
	v_and_b32_e32 v31, 0x380, v34
	; wave barrier
	ds_write_b8 v29, v20
	ds_write_b64 v30, v[4:5] offset:2048
	ds_write_b8 v29, v35 offset:1
	ds_write_b64 v30, v[12:13] offset:2056
	ds_write_b8 v29, v36 offset:2
	;; [unrolled: 2-line block ×7, first 2 shown]
	s_waitcnt lgkmcnt(14)
	ds_write_b64 v30, v[27:28] offset:2104
	v_or_b32_e32 v29, 64, v31
	v_min_u32_e32 v29, v11, v29
	v_add_u32_e32 v30, 64, v29
	v_min_u32_e32 v30, v11, v30
	v_min_u32_e32 v11, v11, v32
	v_sub_u32_e32 v48, v29, v31
	v_sub_u32_e32 v34, v30, v29
	v_sub_u32_e64 v34, v11, v34 clamp
	v_min_u32_e32 v48, v11, v48
	v_cmp_lt_u32_e64 s[8:9], v34, v48
	; wave barrier
	s_and_saveexec_b64 s[12:13], s[8:9]
	s_cbranch_execz .LBB304_110
; %bb.107:
	v_add_u32_e32 v49, v10, v31
	v_add3_u32 v50, v10, v29, v11
	s_mov_b64 s[20:21], 0
.LBB304_108:                            ; =>This Inner Loop Header: Depth=1
	v_add_u32_e32 v51, v48, v34
	v_lshrrev_b32_e32 v51, 1, v51
	v_add_u32_e32 v52, v49, v51
	v_xad_u32 v53, v51, -1, v50
	ds_read_i8 v52, v52
	ds_read_i8 v53, v53
	v_add_u32_e32 v54, 1, v51
	s_waitcnt lgkmcnt(0)
	v_cmp_gt_i16_e64 s[8:9], v53, v52
	v_cndmask_b32_e64 v48, v48, v51, s[8:9]
	v_cndmask_b32_e64 v34, v54, v34, s[8:9]
	v_cmp_ge_u32_e64 s[8:9], v34, v48
	s_or_b64 s[20:21], s[8:9], s[20:21]
	s_andn2_b64 exec, exec, s[20:21]
	s_cbranch_execnz .LBB304_108
; %bb.109:
	s_or_b64 exec, exec, s[20:21]
.LBB304_110:
	s_or_b64 exec, exec, s[12:13]
	v_add_u32_e32 v11, v29, v11
	v_add_u32_e32 v31, v34, v31
	v_sub_u32_e32 v34, v11, v34
	v_cmp_le_u32_e64 s[8:9], v31, v29
	v_cmp_le_u32_e64 s[12:13], v34, v30
	s_or_b64 s[8:9], s[8:9], s[12:13]
	s_and_saveexec_b64 s[46:47], s[8:9]
	s_cbranch_execz .LBB304_116
; %bb.111:
	v_cmp_lt_u32_e64 s[8:9], v31, v29
                                        ; implicit-def: $vgpr11
	s_and_saveexec_b64 s[12:13], s[8:9]
; %bb.112:
	v_add_u32_e32 v4, v10, v31
	ds_read_u8 v11, v4
; %bb.113:
	s_or_b64 exec, exec, s[12:13]
	v_cmp_ge_u32_e64 s[20:21], v34, v30
	v_cmp_lt_u32_e64 s[12:13], v34, v30
                                        ; implicit-def: $vgpr20
	s_and_saveexec_b64 s[22:23], s[12:13]
; %bb.114:
	v_add_u32_e32 v4, v10, v34
	ds_read_u8 v20, v4
; %bb.115:
	s_or_b64 exec, exec, s[22:23]
	s_waitcnt lgkmcnt(0)
	v_cmp_le_i16_sdwa s[12:13], sext(v20), sext(v11) src0_sel:BYTE_0 src1_sel:BYTE_0
	s_and_b64 s[8:9], s[8:9], s[12:13]
	s_or_b64 s[8:9], s[20:21], s[8:9]
	v_cndmask_b32_e64 v4, v34, v31, s[8:9]
	v_cndmask_b32_e64 v5, v30, v29, s[8:9]
	v_add_u32_e32 v12, 1, v4
	v_add_u32_e32 v5, -1, v5
	v_min_u32_e32 v5, v12, v5
	v_add_u32_e32 v5, v10, v5
	ds_read_u8 v5, v5
	v_cndmask_b32_e64 v13, v12, v34, s[8:9]
	v_cmp_ge_u32_e64 s[12:13], v13, v30
	v_lshl_add_u32 v4, v4, 3, v9
	s_waitcnt lgkmcnt(0)
	v_cndmask_b32_e64 v21, v5, v20, s[8:9]
	v_cndmask_b32_e64 v24, v11, v5, s[8:9]
	;; [unrolled: 1-line block ×3, first 2 shown]
	v_cmp_lt_u32_e64 s[20:21], v5, v29
	v_cmp_le_i16_sdwa s[22:23], sext(v21), sext(v24) src0_sel:BYTE_0 src1_sel:BYTE_0
	s_and_b64 s[20:21], s[20:21], s[22:23]
	s_or_b64 s[20:21], s[12:13], s[20:21]
	v_cndmask_b32_e64 v12, v13, v5, s[20:21]
	v_cndmask_b32_e64 v14, v30, v29, s[20:21]
	v_add_u32_e32 v15, 1, v12
	v_add_u32_e32 v14, -1, v14
	v_min_u32_e32 v14, v15, v14
	v_add_u32_e32 v14, v10, v14
	ds_read_u8 v14, v14
	v_cndmask_b32_e64 v5, v5, v15, s[20:21]
	v_cndmask_b32_e64 v13, v15, v13, s[20:21]
	v_cmp_lt_u32_e64 s[22:23], v5, v29
	v_cmp_ge_u32_e64 s[12:13], v13, v30
	s_waitcnt lgkmcnt(0)
	v_cndmask_b32_e64 v27, v14, v21, s[20:21]
	v_cndmask_b32_e64 v28, v24, v14, s[20:21]
	v_cmp_le_i16_sdwa s[24:25], sext(v27), sext(v28) src0_sel:BYTE_0 src1_sel:BYTE_0
	s_and_b64 s[22:23], s[22:23], s[24:25]
	s_or_b64 s[22:23], s[12:13], s[22:23]
	v_cndmask_b32_e64 v14, v13, v5, s[22:23]
	v_cndmask_b32_e64 v15, v30, v29, s[22:23]
	v_add_u32_e32 v16, 1, v14
	v_add_u32_e32 v15, -1, v15
	v_min_u32_e32 v15, v16, v15
	v_add_u32_e32 v15, v10, v15
	ds_read_u8 v15, v15
	v_lshl_add_u32 v12, v12, 3, v9
	v_lshl_add_u32 v14, v14, 3, v9
	v_cndmask_b32_e64 v20, v20, v11, s[8:9]
	s_waitcnt lgkmcnt(0)
	v_cndmask_b32_e64 v31, v15, v27, s[22:23]
	v_cndmask_b32_e64 v34, v28, v15, s[22:23]
	v_cndmask_b32_e64 v15, v16, v13, s[22:23]
	v_cndmask_b32_e64 v16, v5, v16, s[22:23]
	v_cmp_lt_u32_e64 s[24:25], v16, v29
	v_cmp_le_i16_sdwa s[28:29], sext(v31), sext(v34) src0_sel:BYTE_0 src1_sel:BYTE_0
	v_cmp_ge_u32_e64 s[12:13], v15, v30
	s_and_b64 s[24:25], s[24:25], s[28:29]
	s_or_b64 s[12:13], s[12:13], s[24:25]
	v_cndmask_b32_e64 v17, v15, v16, s[12:13]
	v_cndmask_b32_e64 v5, v30, v29, s[12:13]
	v_add_u32_e32 v18, 1, v17
	v_add_u32_e32 v5, -1, v5
	v_min_u32_e32 v5, v18, v5
	v_add_u32_e32 v5, v10, v5
	ds_read_u8 v19, v5
	ds_read_b64 v[4:5], v4 offset:2048
	ds_read_b64 v[12:13], v12 offset:2048
	s_waitcnt lgkmcnt(2)
	v_cndmask_b32_e64 v37, v19, v31, s[12:13]
	v_cndmask_b32_e64 v38, v34, v19, s[12:13]
	;; [unrolled: 1-line block ×4, first 2 shown]
	v_cmp_lt_u32_e64 s[28:29], v18, v29
	v_cmp_le_i16_sdwa s[40:41], sext(v37), sext(v38) src0_sel:BYTE_0 src1_sel:BYTE_0
	v_cmp_ge_u32_e64 s[24:25], v19, v30
	s_and_b64 s[28:29], s[28:29], s[40:41]
	s_or_b64 s[24:25], s[24:25], s[28:29]
	v_cndmask_b32_e64 v22, v19, v18, s[24:25]
	v_cndmask_b32_e64 v15, v30, v29, s[24:25]
	v_add_u32_e32 v23, 1, v22
	v_add_u32_e32 v15, -1, v15
	v_min_u32_e32 v15, v23, v15
	v_add_u32_e32 v15, v10, v15
	ds_read_u8 v25, v15
	v_cndmask_b32_e64 v26, v18, v23, s[24:25]
	v_cmp_lt_u32_e64 s[40:41], v26, v29
	v_lshl_add_u32 v16, v17, 3, v9
	ds_read_b64 v[14:15], v14 offset:2048
	ds_read_b64 v[16:17], v16 offset:2048
	s_waitcnt lgkmcnt(2)
	v_cndmask_b32_e64 v39, v25, v37, s[24:25]
	v_cndmask_b32_e64 v48, v38, v25, s[24:25]
	v_cndmask_b32_e64 v25, v23, v19, s[24:25]
	v_cmp_le_i16_sdwa s[42:43], sext(v39), sext(v48) src0_sel:BYTE_0 src1_sel:BYTE_0
	v_cmp_ge_u32_e64 s[28:29], v25, v30
	s_and_b64 s[40:41], s[40:41], s[42:43]
	s_or_b64 s[28:29], s[28:29], s[40:41]
	v_cndmask_b32_e64 v18, v25, v26, s[28:29]
	v_cndmask_b32_e64 v19, v30, v29, s[28:29]
	v_add_u32_e32 v35, 1, v18
	v_add_u32_e32 v19, -1, v19
	v_min_u32_e32 v19, v35, v19
	v_add_u32_e32 v19, v10, v19
	ds_read_u8 v36, v19
	v_cndmask_b32_e64 v52, v26, v35, s[28:29]
	v_cndmask_b32_e64 v51, v35, v25, s[28:29]
	v_cmp_lt_u32_e64 s[42:43], v52, v29
	v_cmp_ge_u32_e64 s[40:41], v51, v30
	s_waitcnt lgkmcnt(0)
	v_cndmask_b32_e64 v49, v36, v39, s[28:29]
	v_cndmask_b32_e64 v50, v48, v36, s[28:29]
	v_cmp_le_i16_sdwa s[56:57], sext(v49), sext(v50) src0_sel:BYTE_0 src1_sel:BYTE_0
	s_and_b64 s[42:43], s[42:43], s[56:57]
	s_or_b64 s[40:41], s[40:41], s[42:43]
	v_cndmask_b32_e64 v25, v51, v52, s[40:41]
	v_cndmask_b32_e64 v26, v30, v29, s[40:41]
	v_lshl_add_u32 v35, v25, 3, v9
	v_add_u32_e32 v53, 1, v25
	v_add_u32_e32 v25, -1, v26
	v_min_u32_e32 v25, v53, v25
	v_lshl_add_u32 v19, v22, 3, v9
	v_lshl_add_u32 v18, v18, 3, v9
	v_add_u32_e32 v10, v10, v25
	ds_read_b64 v[22:23], v19 offset:2048
	ds_read_b64 v[18:19], v18 offset:2048
	;; [unrolled: 1-line block ×3, first 2 shown]
	ds_read_u8 v10, v10
	v_cndmask_b32_e64 v36, v27, v28, s[22:23]
	v_cndmask_b32_e64 v27, v52, v53, s[40:41]
	;; [unrolled: 1-line block ×4, first 2 shown]
	s_waitcnt lgkmcnt(0)
	v_cndmask_b32_e64 v11, v10, v49, s[40:41]
	v_cndmask_b32_e64 v10, v50, v10, s[40:41]
	;; [unrolled: 1-line block ×3, first 2 shown]
	v_cmp_lt_u32_e64 s[12:13], v27, v29
	v_cmp_le_i16_sdwa s[20:21], sext(v11), sext(v10) src0_sel:BYTE_0 src1_sel:BYTE_0
	v_cmp_ge_u32_e64 s[8:9], v21, v30
	s_and_b64 s[12:13], s[12:13], s[20:21]
	s_or_b64 s[8:9], s[8:9], s[12:13]
	v_cndmask_b32_e64 v21, v21, v27, s[8:9]
	v_lshl_add_u32 v9, v21, 3, v9
	ds_read_b64 v[27:28], v9 offset:2048
	v_cndmask_b32_e64 v21, v37, v38, s[24:25]
	v_cndmask_b32_e64 v39, v39, v48, s[28:29]
	;; [unrolled: 1-line block ×4, first 2 shown]
.LBB304_116:
	s_or_b64 exec, exec, s[46:47]
	; wave barrier
	s_waitcnt lgkmcnt(0)
	s_barrier
.LBB304_117:
	s_or_b64 exec, exec, s[44:45]
	v_add_co_u32_e64 v2, s[8:9], v2, v8
	v_addc_co_u32_e64 v3, s[8:9], 0, v3, s[8:9]
	v_add_co_u32_e64 v2, s[8:9], v2, v32
	v_addc_co_u32_e64 v3, s[8:9], 0, v3, s[8:9]
	s_waitcnt lgkmcnt(0)
	; wave barrier
	s_and_saveexec_b64 s[8:9], vcc
	s_cbranch_execnz .LBB304_142
; %bb.118:
	s_or_b64 exec, exec, s[8:9]
	s_and_saveexec_b64 s[8:9], s[4:5]
	s_cbranch_execnz .LBB304_143
.LBB304_119:
	s_or_b64 exec, exec, s[8:9]
	s_and_saveexec_b64 s[8:9], s[6:7]
	s_cbranch_execnz .LBB304_144
.LBB304_120:
	s_or_b64 exec, exec, s[8:9]
	s_and_saveexec_b64 s[8:9], s[18:19]
	s_cbranch_execnz .LBB304_145
.LBB304_121:
	s_or_b64 exec, exec, s[8:9]
	s_and_saveexec_b64 s[8:9], s[10:11]
	s_cbranch_execnz .LBB304_146
.LBB304_122:
	s_or_b64 exec, exec, s[8:9]
	s_and_saveexec_b64 s[8:9], s[26:27]
	s_cbranch_execnz .LBB304_147
.LBB304_123:
	s_or_b64 exec, exec, s[8:9]
	s_and_saveexec_b64 s[8:9], s[14:15]
	s_cbranch_execnz .LBB304_148
.LBB304_124:
	s_or_b64 exec, exec, s[8:9]
	s_and_saveexec_b64 s[8:9], s[16:17]
	s_cbranch_execz .LBB304_126
.LBB304_125:
	s_waitcnt vmcnt(0)
	flat_store_byte v[2:3], v37 offset:7
.LBB304_126:
	s_or_b64 exec, exec, s[8:9]
	v_add_co_u32_e64 v0, s[8:9], v6, v0
	v_addc_co_u32_e64 v1, s[8:9], v7, v1, s[8:9]
	v_add_co_u32_e64 v0, s[8:9], v0, v33
	v_addc_co_u32_e64 v1, s[8:9], 0, v1, s[8:9]
	; wave barrier
	s_and_saveexec_b64 s[8:9], vcc
	s_cbranch_execnz .LBB304_149
; %bb.127:
	s_or_b64 exec, exec, s[8:9]
	s_and_saveexec_b64 s[8:9], s[4:5]
	s_cbranch_execnz .LBB304_150
.LBB304_128:
	s_or_b64 exec, exec, s[8:9]
	s_and_saveexec_b64 s[4:5], s[6:7]
	s_cbranch_execnz .LBB304_151
.LBB304_129:
	s_or_b64 exec, exec, s[4:5]
	s_and_saveexec_b64 s[4:5], s[18:19]
	s_cbranch_execnz .LBB304_152
.LBB304_130:
	s_or_b64 exec, exec, s[4:5]
	s_and_saveexec_b64 s[4:5], s[10:11]
	s_cbranch_execnz .LBB304_153
.LBB304_131:
	s_or_b64 exec, exec, s[4:5]
	s_and_saveexec_b64 s[4:5], s[26:27]
	s_cbranch_execnz .LBB304_154
.LBB304_132:
	s_or_b64 exec, exec, s[4:5]
	s_and_saveexec_b64 s[4:5], s[14:15]
	s_cbranch_execnz .LBB304_155
.LBB304_133:
	s_or_b64 exec, exec, s[4:5]
	s_and_saveexec_b64 s[4:5], s[16:17]
	s_cbranch_execnz .LBB304_156
.LBB304_134:
	s_or_b64 exec, exec, s[4:5]
	s_waitcnt vmcnt(0) lgkmcnt(0)
	s_setpc_b64 s[30:31]
.LBB304_135:
	flat_load_dwordx2 v[4:5], v[29:30]
	s_or_b64 exec, exec, s[20:21]
                                        ; implicit-def: $vgpr12_vgpr13
	s_and_saveexec_b64 s[20:21], s[4:5]
	s_cbranch_execz .LBB304_18
.LBB304_136:
	flat_load_dwordx2 v[12:13], v[29:30] offset:8
	s_or_b64 exec, exec, s[20:21]
                                        ; implicit-def: $vgpr14_vgpr15
	s_and_saveexec_b64 s[20:21], s[6:7]
	s_cbranch_execz .LBB304_19
.LBB304_137:
	flat_load_dwordx2 v[14:15], v[29:30] offset:16
	s_or_b64 exec, exec, s[20:21]
                                        ; implicit-def: $vgpr16_vgpr17
	s_and_saveexec_b64 s[20:21], s[18:19]
	s_cbranch_execz .LBB304_20
.LBB304_138:
	flat_load_dwordx2 v[16:17], v[29:30] offset:24
	s_or_b64 exec, exec, s[20:21]
                                        ; implicit-def: $vgpr22_vgpr23
	s_and_saveexec_b64 s[20:21], s[10:11]
	s_cbranch_execz .LBB304_21
.LBB304_139:
	flat_load_dwordx2 v[22:23], v[29:30] offset:32
	s_or_b64 exec, exec, s[20:21]
                                        ; implicit-def: $vgpr18_vgpr19
	s_and_saveexec_b64 s[20:21], s[26:27]
	s_cbranch_execz .LBB304_22
.LBB304_140:
	flat_load_dwordx2 v[18:19], v[29:30] offset:40
	s_or_b64 exec, exec, s[20:21]
                                        ; implicit-def: $vgpr25_vgpr26
	s_and_saveexec_b64 s[20:21], s[14:15]
	s_cbranch_execz .LBB304_23
.LBB304_141:
	flat_load_dwordx2 v[25:26], v[29:30] offset:48
	s_or_b64 exec, exec, s[20:21]
                                        ; implicit-def: $vgpr27_vgpr28
	s_and_saveexec_b64 s[20:21], s[16:17]
	s_cbranch_execnz .LBB304_24
	s_branch .LBB304_25
.LBB304_142:
	s_waitcnt vmcnt(0)
	flat_store_byte v[2:3], v20
	s_or_b64 exec, exec, s[8:9]
	s_and_saveexec_b64 s[8:9], s[4:5]
	s_cbranch_execz .LBB304_119
.LBB304_143:
	s_waitcnt vmcnt(0)
	flat_store_byte v[2:3], v35 offset:1
	s_or_b64 exec, exec, s[8:9]
	s_and_saveexec_b64 s[8:9], s[6:7]
	s_cbranch_execz .LBB304_120
.LBB304_144:
	s_waitcnt vmcnt(0)
	flat_store_byte v[2:3], v36 offset:2
	s_or_b64 exec, exec, s[8:9]
	s_and_saveexec_b64 s[8:9], s[18:19]
	s_cbranch_execz .LBB304_121
.LBB304_145:
	s_waitcnt vmcnt(0)
	flat_store_byte v[2:3], v24 offset:3
	s_or_b64 exec, exec, s[8:9]
	s_and_saveexec_b64 s[8:9], s[10:11]
	s_cbranch_execz .LBB304_122
.LBB304_146:
	s_waitcnt vmcnt(0)
	flat_store_byte v[2:3], v21 offset:4
	s_or_b64 exec, exec, s[8:9]
	s_and_saveexec_b64 s[8:9], s[26:27]
	s_cbranch_execz .LBB304_123
.LBB304_147:
	s_waitcnt vmcnt(0)
	flat_store_byte v[2:3], v39 offset:5
	s_or_b64 exec, exec, s[8:9]
	s_and_saveexec_b64 s[8:9], s[14:15]
	s_cbranch_execz .LBB304_124
.LBB304_148:
	s_waitcnt vmcnt(0)
	flat_store_byte v[2:3], v38 offset:6
	s_or_b64 exec, exec, s[8:9]
	s_and_saveexec_b64 s[8:9], s[16:17]
	s_cbranch_execnz .LBB304_125
	s_branch .LBB304_126
.LBB304_149:
	s_waitcnt vmcnt(0)
	flat_store_dwordx2 v[0:1], v[4:5]
	s_or_b64 exec, exec, s[8:9]
	s_and_saveexec_b64 s[8:9], s[4:5]
	s_cbranch_execz .LBB304_128
.LBB304_150:
	s_waitcnt vmcnt(0)
	flat_store_dwordx2 v[0:1], v[12:13] offset:8
	s_or_b64 exec, exec, s[8:9]
	s_and_saveexec_b64 s[4:5], s[6:7]
	s_cbranch_execz .LBB304_129
.LBB304_151:
	s_waitcnt vmcnt(0)
	flat_store_dwordx2 v[0:1], v[14:15] offset:16
	s_or_b64 exec, exec, s[4:5]
	s_and_saveexec_b64 s[4:5], s[18:19]
	s_cbranch_execz .LBB304_130
.LBB304_152:
	s_waitcnt vmcnt(0)
	flat_store_dwordx2 v[0:1], v[16:17] offset:24
	s_or_b64 exec, exec, s[4:5]
	s_and_saveexec_b64 s[4:5], s[10:11]
	s_cbranch_execz .LBB304_131
.LBB304_153:
	s_waitcnt vmcnt(0)
	flat_store_dwordx2 v[0:1], v[22:23] offset:32
	s_or_b64 exec, exec, s[4:5]
	s_and_saveexec_b64 s[4:5], s[26:27]
	s_cbranch_execz .LBB304_132
.LBB304_154:
	s_waitcnt vmcnt(0)
	flat_store_dwordx2 v[0:1], v[18:19] offset:40
	s_or_b64 exec, exec, s[4:5]
	s_and_saveexec_b64 s[4:5], s[14:15]
	s_cbranch_execz .LBB304_133
.LBB304_155:
	s_waitcnt vmcnt(0)
	flat_store_dwordx2 v[0:1], v[25:26] offset:48
	s_or_b64 exec, exec, s[4:5]
	s_and_saveexec_b64 s[4:5], s[16:17]
	s_cbranch_execz .LBB304_134
.LBB304_156:
	s_waitcnt vmcnt(0)
	flat_store_dwordx2 v[0:1], v[27:28] offset:56
	s_or_b64 exec, exec, s[4:5]
	s_waitcnt vmcnt(0) lgkmcnt(0)
	s_setpc_b64 s[30:31]
.Lfunc_end304:
	.size	_ZN7rocprim17ROCPRIM_400000_NS6detail26segmented_warp_sort_helperINS1_20WarpSortHelperConfigILj16ELj8ELj256EEEalLi256ELb1EvE4sortIPKaPaPKlPlEEvT_T0_T1_T2_jjjjRNS5_12storage_typeE, .Lfunc_end304-_ZN7rocprim17ROCPRIM_400000_NS6detail26segmented_warp_sort_helperINS1_20WarpSortHelperConfigILj16ELj8ELj256EEEalLi256ELb1EvE4sortIPKaPaPKlPlEEvT_T0_T1_T2_jjjjRNS5_12storage_typeE
                                        ; -- End function
	.set .L_ZN7rocprim17ROCPRIM_400000_NS6detail26segmented_warp_sort_helperINS1_20WarpSortHelperConfigILj16ELj8ELj256EEEalLi256ELb1EvE4sortIPKaPaPKlPlEEvT_T0_T1_T2_jjjjRNS5_12storage_typeE.num_vgpr, 68
	.set .L_ZN7rocprim17ROCPRIM_400000_NS6detail26segmented_warp_sort_helperINS1_20WarpSortHelperConfigILj16ELj8ELj256EEEalLi256ELb1EvE4sortIPKaPaPKlPlEEvT_T0_T1_T2_jjjjRNS5_12storage_typeE.num_agpr, 0
	.set .L_ZN7rocprim17ROCPRIM_400000_NS6detail26segmented_warp_sort_helperINS1_20WarpSortHelperConfigILj16ELj8ELj256EEEalLi256ELb1EvE4sortIPKaPaPKlPlEEvT_T0_T1_T2_jjjjRNS5_12storage_typeE.numbered_sgpr, 62
	.set .L_ZN7rocprim17ROCPRIM_400000_NS6detail26segmented_warp_sort_helperINS1_20WarpSortHelperConfigILj16ELj8ELj256EEEalLi256ELb1EvE4sortIPKaPaPKlPlEEvT_T0_T1_T2_jjjjRNS5_12storage_typeE.num_named_barrier, 0
	.set .L_ZN7rocprim17ROCPRIM_400000_NS6detail26segmented_warp_sort_helperINS1_20WarpSortHelperConfigILj16ELj8ELj256EEEalLi256ELb1EvE4sortIPKaPaPKlPlEEvT_T0_T1_T2_jjjjRNS5_12storage_typeE.private_seg_size, 0
	.set .L_ZN7rocprim17ROCPRIM_400000_NS6detail26segmented_warp_sort_helperINS1_20WarpSortHelperConfigILj16ELj8ELj256EEEalLi256ELb1EvE4sortIPKaPaPKlPlEEvT_T0_T1_T2_jjjjRNS5_12storage_typeE.uses_vcc, 1
	.set .L_ZN7rocprim17ROCPRIM_400000_NS6detail26segmented_warp_sort_helperINS1_20WarpSortHelperConfigILj16ELj8ELj256EEEalLi256ELb1EvE4sortIPKaPaPKlPlEEvT_T0_T1_T2_jjjjRNS5_12storage_typeE.uses_flat_scratch, 0
	.set .L_ZN7rocprim17ROCPRIM_400000_NS6detail26segmented_warp_sort_helperINS1_20WarpSortHelperConfigILj16ELj8ELj256EEEalLi256ELb1EvE4sortIPKaPaPKlPlEEvT_T0_T1_T2_jjjjRNS5_12storage_typeE.has_dyn_sized_stack, 0
	.set .L_ZN7rocprim17ROCPRIM_400000_NS6detail26segmented_warp_sort_helperINS1_20WarpSortHelperConfigILj16ELj8ELj256EEEalLi256ELb1EvE4sortIPKaPaPKlPlEEvT_T0_T1_T2_jjjjRNS5_12storage_typeE.has_recursion, 0
	.set .L_ZN7rocprim17ROCPRIM_400000_NS6detail26segmented_warp_sort_helperINS1_20WarpSortHelperConfigILj16ELj8ELj256EEEalLi256ELb1EvE4sortIPKaPaPKlPlEEvT_T0_T1_T2_jjjjRNS5_12storage_typeE.has_indirect_call, 0
	.section	.AMDGPU.csdata,"",@progbits
; Function info:
; codeLenInByte = 17608
; TotalNumSgprs: 66
; NumVgprs: 68
; ScratchSize: 0
; MemoryBound: 0
	.section	.text._ZN7rocprim17ROCPRIM_400000_NS6detail17trampoline_kernelINS0_14default_configENS1_36segmented_radix_sort_config_selectorIalEEZNS1_25segmented_radix_sort_implIS3_Lb1EPKaPaPKlPlN2at6native12_GLOBAL__N_18offset_tEEE10hipError_tPvRmT1_PNSt15iterator_traitsISK_E10value_typeET2_T3_PNSL_ISQ_E10value_typeET4_jRbjT5_SW_jjP12ihipStream_tbEUlT_E0_NS1_11comp_targetILNS1_3genE2ELNS1_11target_archE906ELNS1_3gpuE6ELNS1_3repE0EEENS1_60segmented_radix_sort_warp_sort_medium_config_static_selectorELNS0_4arch9wavefront6targetE1EEEvSK_,"axG",@progbits,_ZN7rocprim17ROCPRIM_400000_NS6detail17trampoline_kernelINS0_14default_configENS1_36segmented_radix_sort_config_selectorIalEEZNS1_25segmented_radix_sort_implIS3_Lb1EPKaPaPKlPlN2at6native12_GLOBAL__N_18offset_tEEE10hipError_tPvRmT1_PNSt15iterator_traitsISK_E10value_typeET2_T3_PNSL_ISQ_E10value_typeET4_jRbjT5_SW_jjP12ihipStream_tbEUlT_E0_NS1_11comp_targetILNS1_3genE2ELNS1_11target_archE906ELNS1_3gpuE6ELNS1_3repE0EEENS1_60segmented_radix_sort_warp_sort_medium_config_static_selectorELNS0_4arch9wavefront6targetE1EEEvSK_,comdat
	.globl	_ZN7rocprim17ROCPRIM_400000_NS6detail17trampoline_kernelINS0_14default_configENS1_36segmented_radix_sort_config_selectorIalEEZNS1_25segmented_radix_sort_implIS3_Lb1EPKaPaPKlPlN2at6native12_GLOBAL__N_18offset_tEEE10hipError_tPvRmT1_PNSt15iterator_traitsISK_E10value_typeET2_T3_PNSL_ISQ_E10value_typeET4_jRbjT5_SW_jjP12ihipStream_tbEUlT_E0_NS1_11comp_targetILNS1_3genE2ELNS1_11target_archE906ELNS1_3gpuE6ELNS1_3repE0EEENS1_60segmented_radix_sort_warp_sort_medium_config_static_selectorELNS0_4arch9wavefront6targetE1EEEvSK_ ; -- Begin function _ZN7rocprim17ROCPRIM_400000_NS6detail17trampoline_kernelINS0_14default_configENS1_36segmented_radix_sort_config_selectorIalEEZNS1_25segmented_radix_sort_implIS3_Lb1EPKaPaPKlPlN2at6native12_GLOBAL__N_18offset_tEEE10hipError_tPvRmT1_PNSt15iterator_traitsISK_E10value_typeET2_T3_PNSL_ISQ_E10value_typeET4_jRbjT5_SW_jjP12ihipStream_tbEUlT_E0_NS1_11comp_targetILNS1_3genE2ELNS1_11target_archE906ELNS1_3gpuE6ELNS1_3repE0EEENS1_60segmented_radix_sort_warp_sort_medium_config_static_selectorELNS0_4arch9wavefront6targetE1EEEvSK_
	.p2align	8
	.type	_ZN7rocprim17ROCPRIM_400000_NS6detail17trampoline_kernelINS0_14default_configENS1_36segmented_radix_sort_config_selectorIalEEZNS1_25segmented_radix_sort_implIS3_Lb1EPKaPaPKlPlN2at6native12_GLOBAL__N_18offset_tEEE10hipError_tPvRmT1_PNSt15iterator_traitsISK_E10value_typeET2_T3_PNSL_ISQ_E10value_typeET4_jRbjT5_SW_jjP12ihipStream_tbEUlT_E0_NS1_11comp_targetILNS1_3genE2ELNS1_11target_archE906ELNS1_3gpuE6ELNS1_3repE0EEENS1_60segmented_radix_sort_warp_sort_medium_config_static_selectorELNS0_4arch9wavefront6targetE1EEEvSK_,@function
_ZN7rocprim17ROCPRIM_400000_NS6detail17trampoline_kernelINS0_14default_configENS1_36segmented_radix_sort_config_selectorIalEEZNS1_25segmented_radix_sort_implIS3_Lb1EPKaPaPKlPlN2at6native12_GLOBAL__N_18offset_tEEE10hipError_tPvRmT1_PNSt15iterator_traitsISK_E10value_typeET2_T3_PNSL_ISQ_E10value_typeET4_jRbjT5_SW_jjP12ihipStream_tbEUlT_E0_NS1_11comp_targetILNS1_3genE2ELNS1_11target_archE906ELNS1_3gpuE6ELNS1_3repE0EEENS1_60segmented_radix_sort_warp_sort_medium_config_static_selectorELNS0_4arch9wavefront6targetE1EEEvSK_: ; @_ZN7rocprim17ROCPRIM_400000_NS6detail17trampoline_kernelINS0_14default_configENS1_36segmented_radix_sort_config_selectorIalEEZNS1_25segmented_radix_sort_implIS3_Lb1EPKaPaPKlPlN2at6native12_GLOBAL__N_18offset_tEEE10hipError_tPvRmT1_PNSt15iterator_traitsISK_E10value_typeET2_T3_PNSL_ISQ_E10value_typeET4_jRbjT5_SW_jjP12ihipStream_tbEUlT_E0_NS1_11comp_targetILNS1_3genE2ELNS1_11target_archE906ELNS1_3gpuE6ELNS1_3repE0EEENS1_60segmented_radix_sort_warp_sort_medium_config_static_selectorELNS0_4arch9wavefront6targetE1EEEvSK_
; %bb.0:
	s_add_u32 s0, s0, s8
	s_load_dword s8, s[4:5], 0x64
	s_addc_u32 s1, s1, 0
	s_mov_b32 s32, 0
	s_waitcnt lgkmcnt(0)
	s_lshr_b32 s9, s8, 16
	s_and_b32 s8, s8, 0xffff
	v_mad_u32_u24 v3, v2, s9, v1
	v_mad_u64_u32 v[3:4], s[8:9], v3, s8, v[0:1]
	s_load_dword s8, s[4:5], 0x34
	v_lshrrev_b32_e32 v3, 4, v3
	v_lshl_add_u32 v3, s6, 4, v3
	s_waitcnt lgkmcnt(0)
	v_cmp_gt_u32_e32 vcc, s8, v3
	s_and_saveexec_b64 s[8:9], vcc
	s_cbranch_execz .LBB305_6
; %bb.1:
	s_load_dwordx2 s[12:13], s[4:5], 0x38
	s_load_dwordx4 s[8:11], s[4:5], 0x40
	v_mov_b32_e32 v4, 0
	v_lshlrev_b64 v[3:4], 2, v[3:4]
	s_waitcnt lgkmcnt(0)
	v_mov_b32_e32 v5, s13
	v_add_co_u32_e32 v3, vcc, s12, v3
	v_addc_co_u32_e32 v4, vcc, v5, v4, vcc
	global_load_dword v3, v[3:4], off
	s_waitcnt vmcnt(0)
	v_add_u32_e32 v4, s9, v3
	v_add_u32_e32 v3, s11, v3
	v_mul_lo_u32 v8, v4, s8
	v_mul_lo_u32 v40, v3, s10
	v_cmp_gt_u32_e32 vcc, v40, v8
	s_and_b64 exec, exec, vcc
	s_cbranch_execz .LBB305_6
; %bb.2:
	s_load_dword s10, s[4:5], 0x30
	s_load_dwordx4 s[36:39], s[4:5], 0x20
	s_load_dwordx8 s[48:55], s[4:5], 0x0
	s_load_dwordx2 s[34:35], s[4:5], 0x50
	s_mov_b64 s[8:9], -1
	s_waitcnt lgkmcnt(0)
	s_bitcmp0_b32 s10, 0
	v_lshlrev_b32_e32 v42, 20, v2
	v_lshlrev_b32_e32 v43, 10, v1
	s_cbranch_scc0 .LBB305_4
; %bb.3:
	s_add_u32 s8, s4, 0x58
	s_addc_u32 s9, s5, 0
	s_getpc_b64 s[10:11]
	s_add_u32 s10, s10, _ZN7rocprim17ROCPRIM_400000_NS6detail26segmented_warp_sort_helperINS1_20WarpSortHelperConfigILj16ELj8ELj256EEEalLi256ELb1EvE4sortIPKaPaPKlPlEEvT_T0_T1_T2_jjjjRNS5_12storage_typeE@rel32@lo+4
	s_addc_u32 s11, s11, _ZN7rocprim17ROCPRIM_400000_NS6detail26segmented_warp_sort_helperINS1_20WarpSortHelperConfigILj16ELj8ELj256EEEalLi256ELb1EvE4sortIPKaPaPKlPlEEvT_T0_T1_T2_jjjjRNS5_12storage_typeE@rel32@hi+12
	v_or3_b32 v31, v0, v43, v42
	s_mov_b32 s12, s6
	s_mov_b32 s13, s7
	v_mov_b32_e32 v41, v0
	v_mov_b32_e32 v0, s48
	;; [unrolled: 1-line block ×12, first 2 shown]
	s_mov_b64 s[36:37], s[4:5]
	s_mov_b32 s50, s7
	s_mov_b32 s33, s6
	s_swappc_b64 s[30:31], s[10:11]
	v_mov_b32_e32 v0, v41
	s_mov_b32 s6, s33
	s_mov_b32 s7, s50
	s_mov_b64 s[4:5], s[36:37]
	s_mov_b64 s[8:9], 0
.LBB305_4:
	s_andn2_b64 vcc, exec, s[8:9]
	s_cbranch_vccnz .LBB305_6
; %bb.5:
	s_add_u32 s8, s4, 0x58
	s_addc_u32 s9, s5, 0
	s_getpc_b64 s[4:5]
	s_add_u32 s4, s4, _ZN7rocprim17ROCPRIM_400000_NS6detail26segmented_warp_sort_helperINS1_20WarpSortHelperConfigILj16ELj8ELj256EEEalLi256ELb1EvE4sortIPKaPaPKlPlEEvT_T0_T1_T2_jjjjRNS5_12storage_typeE@rel32@lo+4
	s_addc_u32 s5, s5, _ZN7rocprim17ROCPRIM_400000_NS6detail26segmented_warp_sort_helperINS1_20WarpSortHelperConfigILj16ELj8ELj256EEEalLi256ELb1EvE4sortIPKaPaPKlPlEEvT_T0_T1_T2_jjjjRNS5_12storage_typeE@rel32@hi+12
	v_or3_b32 v31, v0, v43, v42
	s_mov_b32 s12, s6
	s_mov_b32 s13, s7
	v_mov_b32_e32 v0, s48
	v_mov_b32_e32 v1, s49
	;; [unrolled: 1-line block ×11, first 2 shown]
	s_swappc_b64 s[30:31], s[4:5]
.LBB305_6:
	s_endpgm
	.section	.rodata,"a",@progbits
	.p2align	6, 0x0
	.amdhsa_kernel _ZN7rocprim17ROCPRIM_400000_NS6detail17trampoline_kernelINS0_14default_configENS1_36segmented_radix_sort_config_selectorIalEEZNS1_25segmented_radix_sort_implIS3_Lb1EPKaPaPKlPlN2at6native12_GLOBAL__N_18offset_tEEE10hipError_tPvRmT1_PNSt15iterator_traitsISK_E10value_typeET2_T3_PNSL_ISQ_E10value_typeET4_jRbjT5_SW_jjP12ihipStream_tbEUlT_E0_NS1_11comp_targetILNS1_3genE2ELNS1_11target_archE906ELNS1_3gpuE6ELNS1_3repE0EEENS1_60segmented_radix_sort_warp_sort_medium_config_static_selectorELNS0_4arch9wavefront6targetE1EEEvSK_
		.amdhsa_group_segment_fixed_size 18432
		.amdhsa_private_segment_fixed_size 0
		.amdhsa_kernarg_size 344
		.amdhsa_user_sgpr_count 6
		.amdhsa_user_sgpr_private_segment_buffer 1
		.amdhsa_user_sgpr_dispatch_ptr 0
		.amdhsa_user_sgpr_queue_ptr 0
		.amdhsa_user_sgpr_kernarg_segment_ptr 1
		.amdhsa_user_sgpr_dispatch_id 0
		.amdhsa_user_sgpr_flat_scratch_init 0
		.amdhsa_user_sgpr_private_segment_size 0
		.amdhsa_uses_dynamic_stack 0
		.amdhsa_system_sgpr_private_segment_wavefront_offset 0
		.amdhsa_system_sgpr_workgroup_id_x 1
		.amdhsa_system_sgpr_workgroup_id_y 1
		.amdhsa_system_sgpr_workgroup_id_z 0
		.amdhsa_system_sgpr_workgroup_info 0
		.amdhsa_system_vgpr_workitem_id 2
		.amdhsa_next_free_vgpr 68
		.amdhsa_next_free_sgpr 98
		.amdhsa_reserve_vcc 1
		.amdhsa_reserve_flat_scratch 0
		.amdhsa_float_round_mode_32 0
		.amdhsa_float_round_mode_16_64 0
		.amdhsa_float_denorm_mode_32 3
		.amdhsa_float_denorm_mode_16_64 3
		.amdhsa_dx10_clamp 1
		.amdhsa_ieee_mode 1
		.amdhsa_fp16_overflow 0
		.amdhsa_exception_fp_ieee_invalid_op 0
		.amdhsa_exception_fp_denorm_src 0
		.amdhsa_exception_fp_ieee_div_zero 0
		.amdhsa_exception_fp_ieee_overflow 0
		.amdhsa_exception_fp_ieee_underflow 0
		.amdhsa_exception_fp_ieee_inexact 0
		.amdhsa_exception_int_div_zero 0
	.end_amdhsa_kernel
	.section	.text._ZN7rocprim17ROCPRIM_400000_NS6detail17trampoline_kernelINS0_14default_configENS1_36segmented_radix_sort_config_selectorIalEEZNS1_25segmented_radix_sort_implIS3_Lb1EPKaPaPKlPlN2at6native12_GLOBAL__N_18offset_tEEE10hipError_tPvRmT1_PNSt15iterator_traitsISK_E10value_typeET2_T3_PNSL_ISQ_E10value_typeET4_jRbjT5_SW_jjP12ihipStream_tbEUlT_E0_NS1_11comp_targetILNS1_3genE2ELNS1_11target_archE906ELNS1_3gpuE6ELNS1_3repE0EEENS1_60segmented_radix_sort_warp_sort_medium_config_static_selectorELNS0_4arch9wavefront6targetE1EEEvSK_,"axG",@progbits,_ZN7rocprim17ROCPRIM_400000_NS6detail17trampoline_kernelINS0_14default_configENS1_36segmented_radix_sort_config_selectorIalEEZNS1_25segmented_radix_sort_implIS3_Lb1EPKaPaPKlPlN2at6native12_GLOBAL__N_18offset_tEEE10hipError_tPvRmT1_PNSt15iterator_traitsISK_E10value_typeET2_T3_PNSL_ISQ_E10value_typeET4_jRbjT5_SW_jjP12ihipStream_tbEUlT_E0_NS1_11comp_targetILNS1_3genE2ELNS1_11target_archE906ELNS1_3gpuE6ELNS1_3repE0EEENS1_60segmented_radix_sort_warp_sort_medium_config_static_selectorELNS0_4arch9wavefront6targetE1EEEvSK_,comdat
.Lfunc_end305:
	.size	_ZN7rocprim17ROCPRIM_400000_NS6detail17trampoline_kernelINS0_14default_configENS1_36segmented_radix_sort_config_selectorIalEEZNS1_25segmented_radix_sort_implIS3_Lb1EPKaPaPKlPlN2at6native12_GLOBAL__N_18offset_tEEE10hipError_tPvRmT1_PNSt15iterator_traitsISK_E10value_typeET2_T3_PNSL_ISQ_E10value_typeET4_jRbjT5_SW_jjP12ihipStream_tbEUlT_E0_NS1_11comp_targetILNS1_3genE2ELNS1_11target_archE906ELNS1_3gpuE6ELNS1_3repE0EEENS1_60segmented_radix_sort_warp_sort_medium_config_static_selectorELNS0_4arch9wavefront6targetE1EEEvSK_, .Lfunc_end305-_ZN7rocprim17ROCPRIM_400000_NS6detail17trampoline_kernelINS0_14default_configENS1_36segmented_radix_sort_config_selectorIalEEZNS1_25segmented_radix_sort_implIS3_Lb1EPKaPaPKlPlN2at6native12_GLOBAL__N_18offset_tEEE10hipError_tPvRmT1_PNSt15iterator_traitsISK_E10value_typeET2_T3_PNSL_ISQ_E10value_typeET4_jRbjT5_SW_jjP12ihipStream_tbEUlT_E0_NS1_11comp_targetILNS1_3genE2ELNS1_11target_archE906ELNS1_3gpuE6ELNS1_3repE0EEENS1_60segmented_radix_sort_warp_sort_medium_config_static_selectorELNS0_4arch9wavefront6targetE1EEEvSK_
                                        ; -- End function
	.set _ZN7rocprim17ROCPRIM_400000_NS6detail17trampoline_kernelINS0_14default_configENS1_36segmented_radix_sort_config_selectorIalEEZNS1_25segmented_radix_sort_implIS3_Lb1EPKaPaPKlPlN2at6native12_GLOBAL__N_18offset_tEEE10hipError_tPvRmT1_PNSt15iterator_traitsISK_E10value_typeET2_T3_PNSL_ISQ_E10value_typeET4_jRbjT5_SW_jjP12ihipStream_tbEUlT_E0_NS1_11comp_targetILNS1_3genE2ELNS1_11target_archE906ELNS1_3gpuE6ELNS1_3repE0EEENS1_60segmented_radix_sort_warp_sort_medium_config_static_selectorELNS0_4arch9wavefront6targetE1EEEvSK_.num_vgpr, max(44, .L_ZN7rocprim17ROCPRIM_400000_NS6detail26segmented_warp_sort_helperINS1_20WarpSortHelperConfigILj16ELj8ELj256EEEalLi256ELb1EvE4sortIPKaPaPKlPlEEvT_T0_T1_T2_jjjjRNS5_12storage_typeE.num_vgpr)
	.set _ZN7rocprim17ROCPRIM_400000_NS6detail17trampoline_kernelINS0_14default_configENS1_36segmented_radix_sort_config_selectorIalEEZNS1_25segmented_radix_sort_implIS3_Lb1EPKaPaPKlPlN2at6native12_GLOBAL__N_18offset_tEEE10hipError_tPvRmT1_PNSt15iterator_traitsISK_E10value_typeET2_T3_PNSL_ISQ_E10value_typeET4_jRbjT5_SW_jjP12ihipStream_tbEUlT_E0_NS1_11comp_targetILNS1_3genE2ELNS1_11target_archE906ELNS1_3gpuE6ELNS1_3repE0EEENS1_60segmented_radix_sort_warp_sort_medium_config_static_selectorELNS0_4arch9wavefront6targetE1EEEvSK_.num_agpr, max(0, .L_ZN7rocprim17ROCPRIM_400000_NS6detail26segmented_warp_sort_helperINS1_20WarpSortHelperConfigILj16ELj8ELj256EEEalLi256ELb1EvE4sortIPKaPaPKlPlEEvT_T0_T1_T2_jjjjRNS5_12storage_typeE.num_agpr)
	.set _ZN7rocprim17ROCPRIM_400000_NS6detail17trampoline_kernelINS0_14default_configENS1_36segmented_radix_sort_config_selectorIalEEZNS1_25segmented_radix_sort_implIS3_Lb1EPKaPaPKlPlN2at6native12_GLOBAL__N_18offset_tEEE10hipError_tPvRmT1_PNSt15iterator_traitsISK_E10value_typeET2_T3_PNSL_ISQ_E10value_typeET4_jRbjT5_SW_jjP12ihipStream_tbEUlT_E0_NS1_11comp_targetILNS1_3genE2ELNS1_11target_archE906ELNS1_3gpuE6ELNS1_3repE0EEENS1_60segmented_radix_sort_warp_sort_medium_config_static_selectorELNS0_4arch9wavefront6targetE1EEEvSK_.numbered_sgpr, max(56, .L_ZN7rocprim17ROCPRIM_400000_NS6detail26segmented_warp_sort_helperINS1_20WarpSortHelperConfigILj16ELj8ELj256EEEalLi256ELb1EvE4sortIPKaPaPKlPlEEvT_T0_T1_T2_jjjjRNS5_12storage_typeE.numbered_sgpr)
	.set _ZN7rocprim17ROCPRIM_400000_NS6detail17trampoline_kernelINS0_14default_configENS1_36segmented_radix_sort_config_selectorIalEEZNS1_25segmented_radix_sort_implIS3_Lb1EPKaPaPKlPlN2at6native12_GLOBAL__N_18offset_tEEE10hipError_tPvRmT1_PNSt15iterator_traitsISK_E10value_typeET2_T3_PNSL_ISQ_E10value_typeET4_jRbjT5_SW_jjP12ihipStream_tbEUlT_E0_NS1_11comp_targetILNS1_3genE2ELNS1_11target_archE906ELNS1_3gpuE6ELNS1_3repE0EEENS1_60segmented_radix_sort_warp_sort_medium_config_static_selectorELNS0_4arch9wavefront6targetE1EEEvSK_.num_named_barrier, max(0, .L_ZN7rocprim17ROCPRIM_400000_NS6detail26segmented_warp_sort_helperINS1_20WarpSortHelperConfigILj16ELj8ELj256EEEalLi256ELb1EvE4sortIPKaPaPKlPlEEvT_T0_T1_T2_jjjjRNS5_12storage_typeE.num_named_barrier)
	.set _ZN7rocprim17ROCPRIM_400000_NS6detail17trampoline_kernelINS0_14default_configENS1_36segmented_radix_sort_config_selectorIalEEZNS1_25segmented_radix_sort_implIS3_Lb1EPKaPaPKlPlN2at6native12_GLOBAL__N_18offset_tEEE10hipError_tPvRmT1_PNSt15iterator_traitsISK_E10value_typeET2_T3_PNSL_ISQ_E10value_typeET4_jRbjT5_SW_jjP12ihipStream_tbEUlT_E0_NS1_11comp_targetILNS1_3genE2ELNS1_11target_archE906ELNS1_3gpuE6ELNS1_3repE0EEENS1_60segmented_radix_sort_warp_sort_medium_config_static_selectorELNS0_4arch9wavefront6targetE1EEEvSK_.private_seg_size, 0+max(.L_ZN7rocprim17ROCPRIM_400000_NS6detail26segmented_warp_sort_helperINS1_20WarpSortHelperConfigILj16ELj8ELj256EEEalLi256ELb1EvE4sortIPKaPaPKlPlEEvT_T0_T1_T2_jjjjRNS5_12storage_typeE.private_seg_size)
	.set _ZN7rocprim17ROCPRIM_400000_NS6detail17trampoline_kernelINS0_14default_configENS1_36segmented_radix_sort_config_selectorIalEEZNS1_25segmented_radix_sort_implIS3_Lb1EPKaPaPKlPlN2at6native12_GLOBAL__N_18offset_tEEE10hipError_tPvRmT1_PNSt15iterator_traitsISK_E10value_typeET2_T3_PNSL_ISQ_E10value_typeET4_jRbjT5_SW_jjP12ihipStream_tbEUlT_E0_NS1_11comp_targetILNS1_3genE2ELNS1_11target_archE906ELNS1_3gpuE6ELNS1_3repE0EEENS1_60segmented_radix_sort_warp_sort_medium_config_static_selectorELNS0_4arch9wavefront6targetE1EEEvSK_.uses_vcc, or(1, .L_ZN7rocprim17ROCPRIM_400000_NS6detail26segmented_warp_sort_helperINS1_20WarpSortHelperConfigILj16ELj8ELj256EEEalLi256ELb1EvE4sortIPKaPaPKlPlEEvT_T0_T1_T2_jjjjRNS5_12storage_typeE.uses_vcc)
	.set _ZN7rocprim17ROCPRIM_400000_NS6detail17trampoline_kernelINS0_14default_configENS1_36segmented_radix_sort_config_selectorIalEEZNS1_25segmented_radix_sort_implIS3_Lb1EPKaPaPKlPlN2at6native12_GLOBAL__N_18offset_tEEE10hipError_tPvRmT1_PNSt15iterator_traitsISK_E10value_typeET2_T3_PNSL_ISQ_E10value_typeET4_jRbjT5_SW_jjP12ihipStream_tbEUlT_E0_NS1_11comp_targetILNS1_3genE2ELNS1_11target_archE906ELNS1_3gpuE6ELNS1_3repE0EEENS1_60segmented_radix_sort_warp_sort_medium_config_static_selectorELNS0_4arch9wavefront6targetE1EEEvSK_.uses_flat_scratch, or(0, .L_ZN7rocprim17ROCPRIM_400000_NS6detail26segmented_warp_sort_helperINS1_20WarpSortHelperConfigILj16ELj8ELj256EEEalLi256ELb1EvE4sortIPKaPaPKlPlEEvT_T0_T1_T2_jjjjRNS5_12storage_typeE.uses_flat_scratch)
	.set _ZN7rocprim17ROCPRIM_400000_NS6detail17trampoline_kernelINS0_14default_configENS1_36segmented_radix_sort_config_selectorIalEEZNS1_25segmented_radix_sort_implIS3_Lb1EPKaPaPKlPlN2at6native12_GLOBAL__N_18offset_tEEE10hipError_tPvRmT1_PNSt15iterator_traitsISK_E10value_typeET2_T3_PNSL_ISQ_E10value_typeET4_jRbjT5_SW_jjP12ihipStream_tbEUlT_E0_NS1_11comp_targetILNS1_3genE2ELNS1_11target_archE906ELNS1_3gpuE6ELNS1_3repE0EEENS1_60segmented_radix_sort_warp_sort_medium_config_static_selectorELNS0_4arch9wavefront6targetE1EEEvSK_.has_dyn_sized_stack, or(0, .L_ZN7rocprim17ROCPRIM_400000_NS6detail26segmented_warp_sort_helperINS1_20WarpSortHelperConfigILj16ELj8ELj256EEEalLi256ELb1EvE4sortIPKaPaPKlPlEEvT_T0_T1_T2_jjjjRNS5_12storage_typeE.has_dyn_sized_stack)
	.set _ZN7rocprim17ROCPRIM_400000_NS6detail17trampoline_kernelINS0_14default_configENS1_36segmented_radix_sort_config_selectorIalEEZNS1_25segmented_radix_sort_implIS3_Lb1EPKaPaPKlPlN2at6native12_GLOBAL__N_18offset_tEEE10hipError_tPvRmT1_PNSt15iterator_traitsISK_E10value_typeET2_T3_PNSL_ISQ_E10value_typeET4_jRbjT5_SW_jjP12ihipStream_tbEUlT_E0_NS1_11comp_targetILNS1_3genE2ELNS1_11target_archE906ELNS1_3gpuE6ELNS1_3repE0EEENS1_60segmented_radix_sort_warp_sort_medium_config_static_selectorELNS0_4arch9wavefront6targetE1EEEvSK_.has_recursion, or(0, .L_ZN7rocprim17ROCPRIM_400000_NS6detail26segmented_warp_sort_helperINS1_20WarpSortHelperConfigILj16ELj8ELj256EEEalLi256ELb1EvE4sortIPKaPaPKlPlEEvT_T0_T1_T2_jjjjRNS5_12storage_typeE.has_recursion)
	.set _ZN7rocprim17ROCPRIM_400000_NS6detail17trampoline_kernelINS0_14default_configENS1_36segmented_radix_sort_config_selectorIalEEZNS1_25segmented_radix_sort_implIS3_Lb1EPKaPaPKlPlN2at6native12_GLOBAL__N_18offset_tEEE10hipError_tPvRmT1_PNSt15iterator_traitsISK_E10value_typeET2_T3_PNSL_ISQ_E10value_typeET4_jRbjT5_SW_jjP12ihipStream_tbEUlT_E0_NS1_11comp_targetILNS1_3genE2ELNS1_11target_archE906ELNS1_3gpuE6ELNS1_3repE0EEENS1_60segmented_radix_sort_warp_sort_medium_config_static_selectorELNS0_4arch9wavefront6targetE1EEEvSK_.has_indirect_call, or(0, .L_ZN7rocprim17ROCPRIM_400000_NS6detail26segmented_warp_sort_helperINS1_20WarpSortHelperConfigILj16ELj8ELj256EEEalLi256ELb1EvE4sortIPKaPaPKlPlEEvT_T0_T1_T2_jjjjRNS5_12storage_typeE.has_indirect_call)
	.section	.AMDGPU.csdata,"",@progbits
; Kernel info:
; codeLenInByte = 476
; TotalNumSgprs: 66
; NumVgprs: 68
; ScratchSize: 0
; MemoryBound: 0
; FloatMode: 240
; IeeeMode: 1
; LDSByteSize: 18432 bytes/workgroup (compile time only)
; SGPRBlocks: 12
; VGPRBlocks: 16
; NumSGPRsForWavesPerEU: 102
; NumVGPRsForWavesPerEU: 68
; Occupancy: 3
; WaveLimiterHint : 0
; COMPUTE_PGM_RSRC2:SCRATCH_EN: 0
; COMPUTE_PGM_RSRC2:USER_SGPR: 6
; COMPUTE_PGM_RSRC2:TRAP_HANDLER: 0
; COMPUTE_PGM_RSRC2:TGID_X_EN: 1
; COMPUTE_PGM_RSRC2:TGID_Y_EN: 1
; COMPUTE_PGM_RSRC2:TGID_Z_EN: 0
; COMPUTE_PGM_RSRC2:TIDIG_COMP_CNT: 2
	.section	.text._ZN7rocprim17ROCPRIM_400000_NS6detail17trampoline_kernelINS0_14default_configENS1_36segmented_radix_sort_config_selectorIalEEZNS1_25segmented_radix_sort_implIS3_Lb1EPKaPaPKlPlN2at6native12_GLOBAL__N_18offset_tEEE10hipError_tPvRmT1_PNSt15iterator_traitsISK_E10value_typeET2_T3_PNSL_ISQ_E10value_typeET4_jRbjT5_SW_jjP12ihipStream_tbEUlT_E0_NS1_11comp_targetILNS1_3genE10ELNS1_11target_archE1201ELNS1_3gpuE5ELNS1_3repE0EEENS1_60segmented_radix_sort_warp_sort_medium_config_static_selectorELNS0_4arch9wavefront6targetE1EEEvSK_,"axG",@progbits,_ZN7rocprim17ROCPRIM_400000_NS6detail17trampoline_kernelINS0_14default_configENS1_36segmented_radix_sort_config_selectorIalEEZNS1_25segmented_radix_sort_implIS3_Lb1EPKaPaPKlPlN2at6native12_GLOBAL__N_18offset_tEEE10hipError_tPvRmT1_PNSt15iterator_traitsISK_E10value_typeET2_T3_PNSL_ISQ_E10value_typeET4_jRbjT5_SW_jjP12ihipStream_tbEUlT_E0_NS1_11comp_targetILNS1_3genE10ELNS1_11target_archE1201ELNS1_3gpuE5ELNS1_3repE0EEENS1_60segmented_radix_sort_warp_sort_medium_config_static_selectorELNS0_4arch9wavefront6targetE1EEEvSK_,comdat
	.globl	_ZN7rocprim17ROCPRIM_400000_NS6detail17trampoline_kernelINS0_14default_configENS1_36segmented_radix_sort_config_selectorIalEEZNS1_25segmented_radix_sort_implIS3_Lb1EPKaPaPKlPlN2at6native12_GLOBAL__N_18offset_tEEE10hipError_tPvRmT1_PNSt15iterator_traitsISK_E10value_typeET2_T3_PNSL_ISQ_E10value_typeET4_jRbjT5_SW_jjP12ihipStream_tbEUlT_E0_NS1_11comp_targetILNS1_3genE10ELNS1_11target_archE1201ELNS1_3gpuE5ELNS1_3repE0EEENS1_60segmented_radix_sort_warp_sort_medium_config_static_selectorELNS0_4arch9wavefront6targetE1EEEvSK_ ; -- Begin function _ZN7rocprim17ROCPRIM_400000_NS6detail17trampoline_kernelINS0_14default_configENS1_36segmented_radix_sort_config_selectorIalEEZNS1_25segmented_radix_sort_implIS3_Lb1EPKaPaPKlPlN2at6native12_GLOBAL__N_18offset_tEEE10hipError_tPvRmT1_PNSt15iterator_traitsISK_E10value_typeET2_T3_PNSL_ISQ_E10value_typeET4_jRbjT5_SW_jjP12ihipStream_tbEUlT_E0_NS1_11comp_targetILNS1_3genE10ELNS1_11target_archE1201ELNS1_3gpuE5ELNS1_3repE0EEENS1_60segmented_radix_sort_warp_sort_medium_config_static_selectorELNS0_4arch9wavefront6targetE1EEEvSK_
	.p2align	8
	.type	_ZN7rocprim17ROCPRIM_400000_NS6detail17trampoline_kernelINS0_14default_configENS1_36segmented_radix_sort_config_selectorIalEEZNS1_25segmented_radix_sort_implIS3_Lb1EPKaPaPKlPlN2at6native12_GLOBAL__N_18offset_tEEE10hipError_tPvRmT1_PNSt15iterator_traitsISK_E10value_typeET2_T3_PNSL_ISQ_E10value_typeET4_jRbjT5_SW_jjP12ihipStream_tbEUlT_E0_NS1_11comp_targetILNS1_3genE10ELNS1_11target_archE1201ELNS1_3gpuE5ELNS1_3repE0EEENS1_60segmented_radix_sort_warp_sort_medium_config_static_selectorELNS0_4arch9wavefront6targetE1EEEvSK_,@function
_ZN7rocprim17ROCPRIM_400000_NS6detail17trampoline_kernelINS0_14default_configENS1_36segmented_radix_sort_config_selectorIalEEZNS1_25segmented_radix_sort_implIS3_Lb1EPKaPaPKlPlN2at6native12_GLOBAL__N_18offset_tEEE10hipError_tPvRmT1_PNSt15iterator_traitsISK_E10value_typeET2_T3_PNSL_ISQ_E10value_typeET4_jRbjT5_SW_jjP12ihipStream_tbEUlT_E0_NS1_11comp_targetILNS1_3genE10ELNS1_11target_archE1201ELNS1_3gpuE5ELNS1_3repE0EEENS1_60segmented_radix_sort_warp_sort_medium_config_static_selectorELNS0_4arch9wavefront6targetE1EEEvSK_: ; @_ZN7rocprim17ROCPRIM_400000_NS6detail17trampoline_kernelINS0_14default_configENS1_36segmented_radix_sort_config_selectorIalEEZNS1_25segmented_radix_sort_implIS3_Lb1EPKaPaPKlPlN2at6native12_GLOBAL__N_18offset_tEEE10hipError_tPvRmT1_PNSt15iterator_traitsISK_E10value_typeET2_T3_PNSL_ISQ_E10value_typeET4_jRbjT5_SW_jjP12ihipStream_tbEUlT_E0_NS1_11comp_targetILNS1_3genE10ELNS1_11target_archE1201ELNS1_3gpuE5ELNS1_3repE0EEENS1_60segmented_radix_sort_warp_sort_medium_config_static_selectorELNS0_4arch9wavefront6targetE1EEEvSK_
; %bb.0:
	.section	.rodata,"a",@progbits
	.p2align	6, 0x0
	.amdhsa_kernel _ZN7rocprim17ROCPRIM_400000_NS6detail17trampoline_kernelINS0_14default_configENS1_36segmented_radix_sort_config_selectorIalEEZNS1_25segmented_radix_sort_implIS3_Lb1EPKaPaPKlPlN2at6native12_GLOBAL__N_18offset_tEEE10hipError_tPvRmT1_PNSt15iterator_traitsISK_E10value_typeET2_T3_PNSL_ISQ_E10value_typeET4_jRbjT5_SW_jjP12ihipStream_tbEUlT_E0_NS1_11comp_targetILNS1_3genE10ELNS1_11target_archE1201ELNS1_3gpuE5ELNS1_3repE0EEENS1_60segmented_radix_sort_warp_sort_medium_config_static_selectorELNS0_4arch9wavefront6targetE1EEEvSK_
		.amdhsa_group_segment_fixed_size 0
		.amdhsa_private_segment_fixed_size 0
		.amdhsa_kernarg_size 88
		.amdhsa_user_sgpr_count 6
		.amdhsa_user_sgpr_private_segment_buffer 1
		.amdhsa_user_sgpr_dispatch_ptr 0
		.amdhsa_user_sgpr_queue_ptr 0
		.amdhsa_user_sgpr_kernarg_segment_ptr 1
		.amdhsa_user_sgpr_dispatch_id 0
		.amdhsa_user_sgpr_flat_scratch_init 0
		.amdhsa_user_sgpr_private_segment_size 0
		.amdhsa_uses_dynamic_stack 0
		.amdhsa_system_sgpr_private_segment_wavefront_offset 0
		.amdhsa_system_sgpr_workgroup_id_x 1
		.amdhsa_system_sgpr_workgroup_id_y 0
		.amdhsa_system_sgpr_workgroup_id_z 0
		.amdhsa_system_sgpr_workgroup_info 0
		.amdhsa_system_vgpr_workitem_id 0
		.amdhsa_next_free_vgpr 1
		.amdhsa_next_free_sgpr 0
		.amdhsa_reserve_vcc 0
		.amdhsa_reserve_flat_scratch 0
		.amdhsa_float_round_mode_32 0
		.amdhsa_float_round_mode_16_64 0
		.amdhsa_float_denorm_mode_32 3
		.amdhsa_float_denorm_mode_16_64 3
		.amdhsa_dx10_clamp 1
		.amdhsa_ieee_mode 1
		.amdhsa_fp16_overflow 0
		.amdhsa_exception_fp_ieee_invalid_op 0
		.amdhsa_exception_fp_denorm_src 0
		.amdhsa_exception_fp_ieee_div_zero 0
		.amdhsa_exception_fp_ieee_overflow 0
		.amdhsa_exception_fp_ieee_underflow 0
		.amdhsa_exception_fp_ieee_inexact 0
		.amdhsa_exception_int_div_zero 0
	.end_amdhsa_kernel
	.section	.text._ZN7rocprim17ROCPRIM_400000_NS6detail17trampoline_kernelINS0_14default_configENS1_36segmented_radix_sort_config_selectorIalEEZNS1_25segmented_radix_sort_implIS3_Lb1EPKaPaPKlPlN2at6native12_GLOBAL__N_18offset_tEEE10hipError_tPvRmT1_PNSt15iterator_traitsISK_E10value_typeET2_T3_PNSL_ISQ_E10value_typeET4_jRbjT5_SW_jjP12ihipStream_tbEUlT_E0_NS1_11comp_targetILNS1_3genE10ELNS1_11target_archE1201ELNS1_3gpuE5ELNS1_3repE0EEENS1_60segmented_radix_sort_warp_sort_medium_config_static_selectorELNS0_4arch9wavefront6targetE1EEEvSK_,"axG",@progbits,_ZN7rocprim17ROCPRIM_400000_NS6detail17trampoline_kernelINS0_14default_configENS1_36segmented_radix_sort_config_selectorIalEEZNS1_25segmented_radix_sort_implIS3_Lb1EPKaPaPKlPlN2at6native12_GLOBAL__N_18offset_tEEE10hipError_tPvRmT1_PNSt15iterator_traitsISK_E10value_typeET2_T3_PNSL_ISQ_E10value_typeET4_jRbjT5_SW_jjP12ihipStream_tbEUlT_E0_NS1_11comp_targetILNS1_3genE10ELNS1_11target_archE1201ELNS1_3gpuE5ELNS1_3repE0EEENS1_60segmented_radix_sort_warp_sort_medium_config_static_selectorELNS0_4arch9wavefront6targetE1EEEvSK_,comdat
.Lfunc_end306:
	.size	_ZN7rocprim17ROCPRIM_400000_NS6detail17trampoline_kernelINS0_14default_configENS1_36segmented_radix_sort_config_selectorIalEEZNS1_25segmented_radix_sort_implIS3_Lb1EPKaPaPKlPlN2at6native12_GLOBAL__N_18offset_tEEE10hipError_tPvRmT1_PNSt15iterator_traitsISK_E10value_typeET2_T3_PNSL_ISQ_E10value_typeET4_jRbjT5_SW_jjP12ihipStream_tbEUlT_E0_NS1_11comp_targetILNS1_3genE10ELNS1_11target_archE1201ELNS1_3gpuE5ELNS1_3repE0EEENS1_60segmented_radix_sort_warp_sort_medium_config_static_selectorELNS0_4arch9wavefront6targetE1EEEvSK_, .Lfunc_end306-_ZN7rocprim17ROCPRIM_400000_NS6detail17trampoline_kernelINS0_14default_configENS1_36segmented_radix_sort_config_selectorIalEEZNS1_25segmented_radix_sort_implIS3_Lb1EPKaPaPKlPlN2at6native12_GLOBAL__N_18offset_tEEE10hipError_tPvRmT1_PNSt15iterator_traitsISK_E10value_typeET2_T3_PNSL_ISQ_E10value_typeET4_jRbjT5_SW_jjP12ihipStream_tbEUlT_E0_NS1_11comp_targetILNS1_3genE10ELNS1_11target_archE1201ELNS1_3gpuE5ELNS1_3repE0EEENS1_60segmented_radix_sort_warp_sort_medium_config_static_selectorELNS0_4arch9wavefront6targetE1EEEvSK_
                                        ; -- End function
	.set _ZN7rocprim17ROCPRIM_400000_NS6detail17trampoline_kernelINS0_14default_configENS1_36segmented_radix_sort_config_selectorIalEEZNS1_25segmented_radix_sort_implIS3_Lb1EPKaPaPKlPlN2at6native12_GLOBAL__N_18offset_tEEE10hipError_tPvRmT1_PNSt15iterator_traitsISK_E10value_typeET2_T3_PNSL_ISQ_E10value_typeET4_jRbjT5_SW_jjP12ihipStream_tbEUlT_E0_NS1_11comp_targetILNS1_3genE10ELNS1_11target_archE1201ELNS1_3gpuE5ELNS1_3repE0EEENS1_60segmented_radix_sort_warp_sort_medium_config_static_selectorELNS0_4arch9wavefront6targetE1EEEvSK_.num_vgpr, 0
	.set _ZN7rocprim17ROCPRIM_400000_NS6detail17trampoline_kernelINS0_14default_configENS1_36segmented_radix_sort_config_selectorIalEEZNS1_25segmented_radix_sort_implIS3_Lb1EPKaPaPKlPlN2at6native12_GLOBAL__N_18offset_tEEE10hipError_tPvRmT1_PNSt15iterator_traitsISK_E10value_typeET2_T3_PNSL_ISQ_E10value_typeET4_jRbjT5_SW_jjP12ihipStream_tbEUlT_E0_NS1_11comp_targetILNS1_3genE10ELNS1_11target_archE1201ELNS1_3gpuE5ELNS1_3repE0EEENS1_60segmented_radix_sort_warp_sort_medium_config_static_selectorELNS0_4arch9wavefront6targetE1EEEvSK_.num_agpr, 0
	.set _ZN7rocprim17ROCPRIM_400000_NS6detail17trampoline_kernelINS0_14default_configENS1_36segmented_radix_sort_config_selectorIalEEZNS1_25segmented_radix_sort_implIS3_Lb1EPKaPaPKlPlN2at6native12_GLOBAL__N_18offset_tEEE10hipError_tPvRmT1_PNSt15iterator_traitsISK_E10value_typeET2_T3_PNSL_ISQ_E10value_typeET4_jRbjT5_SW_jjP12ihipStream_tbEUlT_E0_NS1_11comp_targetILNS1_3genE10ELNS1_11target_archE1201ELNS1_3gpuE5ELNS1_3repE0EEENS1_60segmented_radix_sort_warp_sort_medium_config_static_selectorELNS0_4arch9wavefront6targetE1EEEvSK_.numbered_sgpr, 0
	.set _ZN7rocprim17ROCPRIM_400000_NS6detail17trampoline_kernelINS0_14default_configENS1_36segmented_radix_sort_config_selectorIalEEZNS1_25segmented_radix_sort_implIS3_Lb1EPKaPaPKlPlN2at6native12_GLOBAL__N_18offset_tEEE10hipError_tPvRmT1_PNSt15iterator_traitsISK_E10value_typeET2_T3_PNSL_ISQ_E10value_typeET4_jRbjT5_SW_jjP12ihipStream_tbEUlT_E0_NS1_11comp_targetILNS1_3genE10ELNS1_11target_archE1201ELNS1_3gpuE5ELNS1_3repE0EEENS1_60segmented_radix_sort_warp_sort_medium_config_static_selectorELNS0_4arch9wavefront6targetE1EEEvSK_.num_named_barrier, 0
	.set _ZN7rocprim17ROCPRIM_400000_NS6detail17trampoline_kernelINS0_14default_configENS1_36segmented_radix_sort_config_selectorIalEEZNS1_25segmented_radix_sort_implIS3_Lb1EPKaPaPKlPlN2at6native12_GLOBAL__N_18offset_tEEE10hipError_tPvRmT1_PNSt15iterator_traitsISK_E10value_typeET2_T3_PNSL_ISQ_E10value_typeET4_jRbjT5_SW_jjP12ihipStream_tbEUlT_E0_NS1_11comp_targetILNS1_3genE10ELNS1_11target_archE1201ELNS1_3gpuE5ELNS1_3repE0EEENS1_60segmented_radix_sort_warp_sort_medium_config_static_selectorELNS0_4arch9wavefront6targetE1EEEvSK_.private_seg_size, 0
	.set _ZN7rocprim17ROCPRIM_400000_NS6detail17trampoline_kernelINS0_14default_configENS1_36segmented_radix_sort_config_selectorIalEEZNS1_25segmented_radix_sort_implIS3_Lb1EPKaPaPKlPlN2at6native12_GLOBAL__N_18offset_tEEE10hipError_tPvRmT1_PNSt15iterator_traitsISK_E10value_typeET2_T3_PNSL_ISQ_E10value_typeET4_jRbjT5_SW_jjP12ihipStream_tbEUlT_E0_NS1_11comp_targetILNS1_3genE10ELNS1_11target_archE1201ELNS1_3gpuE5ELNS1_3repE0EEENS1_60segmented_radix_sort_warp_sort_medium_config_static_selectorELNS0_4arch9wavefront6targetE1EEEvSK_.uses_vcc, 0
	.set _ZN7rocprim17ROCPRIM_400000_NS6detail17trampoline_kernelINS0_14default_configENS1_36segmented_radix_sort_config_selectorIalEEZNS1_25segmented_radix_sort_implIS3_Lb1EPKaPaPKlPlN2at6native12_GLOBAL__N_18offset_tEEE10hipError_tPvRmT1_PNSt15iterator_traitsISK_E10value_typeET2_T3_PNSL_ISQ_E10value_typeET4_jRbjT5_SW_jjP12ihipStream_tbEUlT_E0_NS1_11comp_targetILNS1_3genE10ELNS1_11target_archE1201ELNS1_3gpuE5ELNS1_3repE0EEENS1_60segmented_radix_sort_warp_sort_medium_config_static_selectorELNS0_4arch9wavefront6targetE1EEEvSK_.uses_flat_scratch, 0
	.set _ZN7rocprim17ROCPRIM_400000_NS6detail17trampoline_kernelINS0_14default_configENS1_36segmented_radix_sort_config_selectorIalEEZNS1_25segmented_radix_sort_implIS3_Lb1EPKaPaPKlPlN2at6native12_GLOBAL__N_18offset_tEEE10hipError_tPvRmT1_PNSt15iterator_traitsISK_E10value_typeET2_T3_PNSL_ISQ_E10value_typeET4_jRbjT5_SW_jjP12ihipStream_tbEUlT_E0_NS1_11comp_targetILNS1_3genE10ELNS1_11target_archE1201ELNS1_3gpuE5ELNS1_3repE0EEENS1_60segmented_radix_sort_warp_sort_medium_config_static_selectorELNS0_4arch9wavefront6targetE1EEEvSK_.has_dyn_sized_stack, 0
	.set _ZN7rocprim17ROCPRIM_400000_NS6detail17trampoline_kernelINS0_14default_configENS1_36segmented_radix_sort_config_selectorIalEEZNS1_25segmented_radix_sort_implIS3_Lb1EPKaPaPKlPlN2at6native12_GLOBAL__N_18offset_tEEE10hipError_tPvRmT1_PNSt15iterator_traitsISK_E10value_typeET2_T3_PNSL_ISQ_E10value_typeET4_jRbjT5_SW_jjP12ihipStream_tbEUlT_E0_NS1_11comp_targetILNS1_3genE10ELNS1_11target_archE1201ELNS1_3gpuE5ELNS1_3repE0EEENS1_60segmented_radix_sort_warp_sort_medium_config_static_selectorELNS0_4arch9wavefront6targetE1EEEvSK_.has_recursion, 0
	.set _ZN7rocprim17ROCPRIM_400000_NS6detail17trampoline_kernelINS0_14default_configENS1_36segmented_radix_sort_config_selectorIalEEZNS1_25segmented_radix_sort_implIS3_Lb1EPKaPaPKlPlN2at6native12_GLOBAL__N_18offset_tEEE10hipError_tPvRmT1_PNSt15iterator_traitsISK_E10value_typeET2_T3_PNSL_ISQ_E10value_typeET4_jRbjT5_SW_jjP12ihipStream_tbEUlT_E0_NS1_11comp_targetILNS1_3genE10ELNS1_11target_archE1201ELNS1_3gpuE5ELNS1_3repE0EEENS1_60segmented_radix_sort_warp_sort_medium_config_static_selectorELNS0_4arch9wavefront6targetE1EEEvSK_.has_indirect_call, 0
	.section	.AMDGPU.csdata,"",@progbits
; Kernel info:
; codeLenInByte = 0
; TotalNumSgprs: 4
; NumVgprs: 0
; ScratchSize: 0
; MemoryBound: 0
; FloatMode: 240
; IeeeMode: 1
; LDSByteSize: 0 bytes/workgroup (compile time only)
; SGPRBlocks: 0
; VGPRBlocks: 0
; NumSGPRsForWavesPerEU: 4
; NumVGPRsForWavesPerEU: 1
; Occupancy: 10
; WaveLimiterHint : 0
; COMPUTE_PGM_RSRC2:SCRATCH_EN: 0
; COMPUTE_PGM_RSRC2:USER_SGPR: 6
; COMPUTE_PGM_RSRC2:TRAP_HANDLER: 0
; COMPUTE_PGM_RSRC2:TGID_X_EN: 1
; COMPUTE_PGM_RSRC2:TGID_Y_EN: 0
; COMPUTE_PGM_RSRC2:TGID_Z_EN: 0
; COMPUTE_PGM_RSRC2:TIDIG_COMP_CNT: 0
	.section	.text._ZN7rocprim17ROCPRIM_400000_NS6detail17trampoline_kernelINS0_14default_configENS1_36segmented_radix_sort_config_selectorIalEEZNS1_25segmented_radix_sort_implIS3_Lb1EPKaPaPKlPlN2at6native12_GLOBAL__N_18offset_tEEE10hipError_tPvRmT1_PNSt15iterator_traitsISK_E10value_typeET2_T3_PNSL_ISQ_E10value_typeET4_jRbjT5_SW_jjP12ihipStream_tbEUlT_E0_NS1_11comp_targetILNS1_3genE10ELNS1_11target_archE1200ELNS1_3gpuE4ELNS1_3repE0EEENS1_60segmented_radix_sort_warp_sort_medium_config_static_selectorELNS0_4arch9wavefront6targetE1EEEvSK_,"axG",@progbits,_ZN7rocprim17ROCPRIM_400000_NS6detail17trampoline_kernelINS0_14default_configENS1_36segmented_radix_sort_config_selectorIalEEZNS1_25segmented_radix_sort_implIS3_Lb1EPKaPaPKlPlN2at6native12_GLOBAL__N_18offset_tEEE10hipError_tPvRmT1_PNSt15iterator_traitsISK_E10value_typeET2_T3_PNSL_ISQ_E10value_typeET4_jRbjT5_SW_jjP12ihipStream_tbEUlT_E0_NS1_11comp_targetILNS1_3genE10ELNS1_11target_archE1200ELNS1_3gpuE4ELNS1_3repE0EEENS1_60segmented_radix_sort_warp_sort_medium_config_static_selectorELNS0_4arch9wavefront6targetE1EEEvSK_,comdat
	.globl	_ZN7rocprim17ROCPRIM_400000_NS6detail17trampoline_kernelINS0_14default_configENS1_36segmented_radix_sort_config_selectorIalEEZNS1_25segmented_radix_sort_implIS3_Lb1EPKaPaPKlPlN2at6native12_GLOBAL__N_18offset_tEEE10hipError_tPvRmT1_PNSt15iterator_traitsISK_E10value_typeET2_T3_PNSL_ISQ_E10value_typeET4_jRbjT5_SW_jjP12ihipStream_tbEUlT_E0_NS1_11comp_targetILNS1_3genE10ELNS1_11target_archE1200ELNS1_3gpuE4ELNS1_3repE0EEENS1_60segmented_radix_sort_warp_sort_medium_config_static_selectorELNS0_4arch9wavefront6targetE1EEEvSK_ ; -- Begin function _ZN7rocprim17ROCPRIM_400000_NS6detail17trampoline_kernelINS0_14default_configENS1_36segmented_radix_sort_config_selectorIalEEZNS1_25segmented_radix_sort_implIS3_Lb1EPKaPaPKlPlN2at6native12_GLOBAL__N_18offset_tEEE10hipError_tPvRmT1_PNSt15iterator_traitsISK_E10value_typeET2_T3_PNSL_ISQ_E10value_typeET4_jRbjT5_SW_jjP12ihipStream_tbEUlT_E0_NS1_11comp_targetILNS1_3genE10ELNS1_11target_archE1200ELNS1_3gpuE4ELNS1_3repE0EEENS1_60segmented_radix_sort_warp_sort_medium_config_static_selectorELNS0_4arch9wavefront6targetE1EEEvSK_
	.p2align	8
	.type	_ZN7rocprim17ROCPRIM_400000_NS6detail17trampoline_kernelINS0_14default_configENS1_36segmented_radix_sort_config_selectorIalEEZNS1_25segmented_radix_sort_implIS3_Lb1EPKaPaPKlPlN2at6native12_GLOBAL__N_18offset_tEEE10hipError_tPvRmT1_PNSt15iterator_traitsISK_E10value_typeET2_T3_PNSL_ISQ_E10value_typeET4_jRbjT5_SW_jjP12ihipStream_tbEUlT_E0_NS1_11comp_targetILNS1_3genE10ELNS1_11target_archE1200ELNS1_3gpuE4ELNS1_3repE0EEENS1_60segmented_radix_sort_warp_sort_medium_config_static_selectorELNS0_4arch9wavefront6targetE1EEEvSK_,@function
_ZN7rocprim17ROCPRIM_400000_NS6detail17trampoline_kernelINS0_14default_configENS1_36segmented_radix_sort_config_selectorIalEEZNS1_25segmented_radix_sort_implIS3_Lb1EPKaPaPKlPlN2at6native12_GLOBAL__N_18offset_tEEE10hipError_tPvRmT1_PNSt15iterator_traitsISK_E10value_typeET2_T3_PNSL_ISQ_E10value_typeET4_jRbjT5_SW_jjP12ihipStream_tbEUlT_E0_NS1_11comp_targetILNS1_3genE10ELNS1_11target_archE1200ELNS1_3gpuE4ELNS1_3repE0EEENS1_60segmented_radix_sort_warp_sort_medium_config_static_selectorELNS0_4arch9wavefront6targetE1EEEvSK_: ; @_ZN7rocprim17ROCPRIM_400000_NS6detail17trampoline_kernelINS0_14default_configENS1_36segmented_radix_sort_config_selectorIalEEZNS1_25segmented_radix_sort_implIS3_Lb1EPKaPaPKlPlN2at6native12_GLOBAL__N_18offset_tEEE10hipError_tPvRmT1_PNSt15iterator_traitsISK_E10value_typeET2_T3_PNSL_ISQ_E10value_typeET4_jRbjT5_SW_jjP12ihipStream_tbEUlT_E0_NS1_11comp_targetILNS1_3genE10ELNS1_11target_archE1200ELNS1_3gpuE4ELNS1_3repE0EEENS1_60segmented_radix_sort_warp_sort_medium_config_static_selectorELNS0_4arch9wavefront6targetE1EEEvSK_
; %bb.0:
	.section	.rodata,"a",@progbits
	.p2align	6, 0x0
	.amdhsa_kernel _ZN7rocprim17ROCPRIM_400000_NS6detail17trampoline_kernelINS0_14default_configENS1_36segmented_radix_sort_config_selectorIalEEZNS1_25segmented_radix_sort_implIS3_Lb1EPKaPaPKlPlN2at6native12_GLOBAL__N_18offset_tEEE10hipError_tPvRmT1_PNSt15iterator_traitsISK_E10value_typeET2_T3_PNSL_ISQ_E10value_typeET4_jRbjT5_SW_jjP12ihipStream_tbEUlT_E0_NS1_11comp_targetILNS1_3genE10ELNS1_11target_archE1200ELNS1_3gpuE4ELNS1_3repE0EEENS1_60segmented_radix_sort_warp_sort_medium_config_static_selectorELNS0_4arch9wavefront6targetE1EEEvSK_
		.amdhsa_group_segment_fixed_size 0
		.amdhsa_private_segment_fixed_size 0
		.amdhsa_kernarg_size 88
		.amdhsa_user_sgpr_count 6
		.amdhsa_user_sgpr_private_segment_buffer 1
		.amdhsa_user_sgpr_dispatch_ptr 0
		.amdhsa_user_sgpr_queue_ptr 0
		.amdhsa_user_sgpr_kernarg_segment_ptr 1
		.amdhsa_user_sgpr_dispatch_id 0
		.amdhsa_user_sgpr_flat_scratch_init 0
		.amdhsa_user_sgpr_private_segment_size 0
		.amdhsa_uses_dynamic_stack 0
		.amdhsa_system_sgpr_private_segment_wavefront_offset 0
		.amdhsa_system_sgpr_workgroup_id_x 1
		.amdhsa_system_sgpr_workgroup_id_y 0
		.amdhsa_system_sgpr_workgroup_id_z 0
		.amdhsa_system_sgpr_workgroup_info 0
		.amdhsa_system_vgpr_workitem_id 0
		.amdhsa_next_free_vgpr 1
		.amdhsa_next_free_sgpr 0
		.amdhsa_reserve_vcc 0
		.amdhsa_reserve_flat_scratch 0
		.amdhsa_float_round_mode_32 0
		.amdhsa_float_round_mode_16_64 0
		.amdhsa_float_denorm_mode_32 3
		.amdhsa_float_denorm_mode_16_64 3
		.amdhsa_dx10_clamp 1
		.amdhsa_ieee_mode 1
		.amdhsa_fp16_overflow 0
		.amdhsa_exception_fp_ieee_invalid_op 0
		.amdhsa_exception_fp_denorm_src 0
		.amdhsa_exception_fp_ieee_div_zero 0
		.amdhsa_exception_fp_ieee_overflow 0
		.amdhsa_exception_fp_ieee_underflow 0
		.amdhsa_exception_fp_ieee_inexact 0
		.amdhsa_exception_int_div_zero 0
	.end_amdhsa_kernel
	.section	.text._ZN7rocprim17ROCPRIM_400000_NS6detail17trampoline_kernelINS0_14default_configENS1_36segmented_radix_sort_config_selectorIalEEZNS1_25segmented_radix_sort_implIS3_Lb1EPKaPaPKlPlN2at6native12_GLOBAL__N_18offset_tEEE10hipError_tPvRmT1_PNSt15iterator_traitsISK_E10value_typeET2_T3_PNSL_ISQ_E10value_typeET4_jRbjT5_SW_jjP12ihipStream_tbEUlT_E0_NS1_11comp_targetILNS1_3genE10ELNS1_11target_archE1200ELNS1_3gpuE4ELNS1_3repE0EEENS1_60segmented_radix_sort_warp_sort_medium_config_static_selectorELNS0_4arch9wavefront6targetE1EEEvSK_,"axG",@progbits,_ZN7rocprim17ROCPRIM_400000_NS6detail17trampoline_kernelINS0_14default_configENS1_36segmented_radix_sort_config_selectorIalEEZNS1_25segmented_radix_sort_implIS3_Lb1EPKaPaPKlPlN2at6native12_GLOBAL__N_18offset_tEEE10hipError_tPvRmT1_PNSt15iterator_traitsISK_E10value_typeET2_T3_PNSL_ISQ_E10value_typeET4_jRbjT5_SW_jjP12ihipStream_tbEUlT_E0_NS1_11comp_targetILNS1_3genE10ELNS1_11target_archE1200ELNS1_3gpuE4ELNS1_3repE0EEENS1_60segmented_radix_sort_warp_sort_medium_config_static_selectorELNS0_4arch9wavefront6targetE1EEEvSK_,comdat
.Lfunc_end307:
	.size	_ZN7rocprim17ROCPRIM_400000_NS6detail17trampoline_kernelINS0_14default_configENS1_36segmented_radix_sort_config_selectorIalEEZNS1_25segmented_radix_sort_implIS3_Lb1EPKaPaPKlPlN2at6native12_GLOBAL__N_18offset_tEEE10hipError_tPvRmT1_PNSt15iterator_traitsISK_E10value_typeET2_T3_PNSL_ISQ_E10value_typeET4_jRbjT5_SW_jjP12ihipStream_tbEUlT_E0_NS1_11comp_targetILNS1_3genE10ELNS1_11target_archE1200ELNS1_3gpuE4ELNS1_3repE0EEENS1_60segmented_radix_sort_warp_sort_medium_config_static_selectorELNS0_4arch9wavefront6targetE1EEEvSK_, .Lfunc_end307-_ZN7rocprim17ROCPRIM_400000_NS6detail17trampoline_kernelINS0_14default_configENS1_36segmented_radix_sort_config_selectorIalEEZNS1_25segmented_radix_sort_implIS3_Lb1EPKaPaPKlPlN2at6native12_GLOBAL__N_18offset_tEEE10hipError_tPvRmT1_PNSt15iterator_traitsISK_E10value_typeET2_T3_PNSL_ISQ_E10value_typeET4_jRbjT5_SW_jjP12ihipStream_tbEUlT_E0_NS1_11comp_targetILNS1_3genE10ELNS1_11target_archE1200ELNS1_3gpuE4ELNS1_3repE0EEENS1_60segmented_radix_sort_warp_sort_medium_config_static_selectorELNS0_4arch9wavefront6targetE1EEEvSK_
                                        ; -- End function
	.set _ZN7rocprim17ROCPRIM_400000_NS6detail17trampoline_kernelINS0_14default_configENS1_36segmented_radix_sort_config_selectorIalEEZNS1_25segmented_radix_sort_implIS3_Lb1EPKaPaPKlPlN2at6native12_GLOBAL__N_18offset_tEEE10hipError_tPvRmT1_PNSt15iterator_traitsISK_E10value_typeET2_T3_PNSL_ISQ_E10value_typeET4_jRbjT5_SW_jjP12ihipStream_tbEUlT_E0_NS1_11comp_targetILNS1_3genE10ELNS1_11target_archE1200ELNS1_3gpuE4ELNS1_3repE0EEENS1_60segmented_radix_sort_warp_sort_medium_config_static_selectorELNS0_4arch9wavefront6targetE1EEEvSK_.num_vgpr, 0
	.set _ZN7rocprim17ROCPRIM_400000_NS6detail17trampoline_kernelINS0_14default_configENS1_36segmented_radix_sort_config_selectorIalEEZNS1_25segmented_radix_sort_implIS3_Lb1EPKaPaPKlPlN2at6native12_GLOBAL__N_18offset_tEEE10hipError_tPvRmT1_PNSt15iterator_traitsISK_E10value_typeET2_T3_PNSL_ISQ_E10value_typeET4_jRbjT5_SW_jjP12ihipStream_tbEUlT_E0_NS1_11comp_targetILNS1_3genE10ELNS1_11target_archE1200ELNS1_3gpuE4ELNS1_3repE0EEENS1_60segmented_radix_sort_warp_sort_medium_config_static_selectorELNS0_4arch9wavefront6targetE1EEEvSK_.num_agpr, 0
	.set _ZN7rocprim17ROCPRIM_400000_NS6detail17trampoline_kernelINS0_14default_configENS1_36segmented_radix_sort_config_selectorIalEEZNS1_25segmented_radix_sort_implIS3_Lb1EPKaPaPKlPlN2at6native12_GLOBAL__N_18offset_tEEE10hipError_tPvRmT1_PNSt15iterator_traitsISK_E10value_typeET2_T3_PNSL_ISQ_E10value_typeET4_jRbjT5_SW_jjP12ihipStream_tbEUlT_E0_NS1_11comp_targetILNS1_3genE10ELNS1_11target_archE1200ELNS1_3gpuE4ELNS1_3repE0EEENS1_60segmented_radix_sort_warp_sort_medium_config_static_selectorELNS0_4arch9wavefront6targetE1EEEvSK_.numbered_sgpr, 0
	.set _ZN7rocprim17ROCPRIM_400000_NS6detail17trampoline_kernelINS0_14default_configENS1_36segmented_radix_sort_config_selectorIalEEZNS1_25segmented_radix_sort_implIS3_Lb1EPKaPaPKlPlN2at6native12_GLOBAL__N_18offset_tEEE10hipError_tPvRmT1_PNSt15iterator_traitsISK_E10value_typeET2_T3_PNSL_ISQ_E10value_typeET4_jRbjT5_SW_jjP12ihipStream_tbEUlT_E0_NS1_11comp_targetILNS1_3genE10ELNS1_11target_archE1200ELNS1_3gpuE4ELNS1_3repE0EEENS1_60segmented_radix_sort_warp_sort_medium_config_static_selectorELNS0_4arch9wavefront6targetE1EEEvSK_.num_named_barrier, 0
	.set _ZN7rocprim17ROCPRIM_400000_NS6detail17trampoline_kernelINS0_14default_configENS1_36segmented_radix_sort_config_selectorIalEEZNS1_25segmented_radix_sort_implIS3_Lb1EPKaPaPKlPlN2at6native12_GLOBAL__N_18offset_tEEE10hipError_tPvRmT1_PNSt15iterator_traitsISK_E10value_typeET2_T3_PNSL_ISQ_E10value_typeET4_jRbjT5_SW_jjP12ihipStream_tbEUlT_E0_NS1_11comp_targetILNS1_3genE10ELNS1_11target_archE1200ELNS1_3gpuE4ELNS1_3repE0EEENS1_60segmented_radix_sort_warp_sort_medium_config_static_selectorELNS0_4arch9wavefront6targetE1EEEvSK_.private_seg_size, 0
	.set _ZN7rocprim17ROCPRIM_400000_NS6detail17trampoline_kernelINS0_14default_configENS1_36segmented_radix_sort_config_selectorIalEEZNS1_25segmented_radix_sort_implIS3_Lb1EPKaPaPKlPlN2at6native12_GLOBAL__N_18offset_tEEE10hipError_tPvRmT1_PNSt15iterator_traitsISK_E10value_typeET2_T3_PNSL_ISQ_E10value_typeET4_jRbjT5_SW_jjP12ihipStream_tbEUlT_E0_NS1_11comp_targetILNS1_3genE10ELNS1_11target_archE1200ELNS1_3gpuE4ELNS1_3repE0EEENS1_60segmented_radix_sort_warp_sort_medium_config_static_selectorELNS0_4arch9wavefront6targetE1EEEvSK_.uses_vcc, 0
	.set _ZN7rocprim17ROCPRIM_400000_NS6detail17trampoline_kernelINS0_14default_configENS1_36segmented_radix_sort_config_selectorIalEEZNS1_25segmented_radix_sort_implIS3_Lb1EPKaPaPKlPlN2at6native12_GLOBAL__N_18offset_tEEE10hipError_tPvRmT1_PNSt15iterator_traitsISK_E10value_typeET2_T3_PNSL_ISQ_E10value_typeET4_jRbjT5_SW_jjP12ihipStream_tbEUlT_E0_NS1_11comp_targetILNS1_3genE10ELNS1_11target_archE1200ELNS1_3gpuE4ELNS1_3repE0EEENS1_60segmented_radix_sort_warp_sort_medium_config_static_selectorELNS0_4arch9wavefront6targetE1EEEvSK_.uses_flat_scratch, 0
	.set _ZN7rocprim17ROCPRIM_400000_NS6detail17trampoline_kernelINS0_14default_configENS1_36segmented_radix_sort_config_selectorIalEEZNS1_25segmented_radix_sort_implIS3_Lb1EPKaPaPKlPlN2at6native12_GLOBAL__N_18offset_tEEE10hipError_tPvRmT1_PNSt15iterator_traitsISK_E10value_typeET2_T3_PNSL_ISQ_E10value_typeET4_jRbjT5_SW_jjP12ihipStream_tbEUlT_E0_NS1_11comp_targetILNS1_3genE10ELNS1_11target_archE1200ELNS1_3gpuE4ELNS1_3repE0EEENS1_60segmented_radix_sort_warp_sort_medium_config_static_selectorELNS0_4arch9wavefront6targetE1EEEvSK_.has_dyn_sized_stack, 0
	.set _ZN7rocprim17ROCPRIM_400000_NS6detail17trampoline_kernelINS0_14default_configENS1_36segmented_radix_sort_config_selectorIalEEZNS1_25segmented_radix_sort_implIS3_Lb1EPKaPaPKlPlN2at6native12_GLOBAL__N_18offset_tEEE10hipError_tPvRmT1_PNSt15iterator_traitsISK_E10value_typeET2_T3_PNSL_ISQ_E10value_typeET4_jRbjT5_SW_jjP12ihipStream_tbEUlT_E0_NS1_11comp_targetILNS1_3genE10ELNS1_11target_archE1200ELNS1_3gpuE4ELNS1_3repE0EEENS1_60segmented_radix_sort_warp_sort_medium_config_static_selectorELNS0_4arch9wavefront6targetE1EEEvSK_.has_recursion, 0
	.set _ZN7rocprim17ROCPRIM_400000_NS6detail17trampoline_kernelINS0_14default_configENS1_36segmented_radix_sort_config_selectorIalEEZNS1_25segmented_radix_sort_implIS3_Lb1EPKaPaPKlPlN2at6native12_GLOBAL__N_18offset_tEEE10hipError_tPvRmT1_PNSt15iterator_traitsISK_E10value_typeET2_T3_PNSL_ISQ_E10value_typeET4_jRbjT5_SW_jjP12ihipStream_tbEUlT_E0_NS1_11comp_targetILNS1_3genE10ELNS1_11target_archE1200ELNS1_3gpuE4ELNS1_3repE0EEENS1_60segmented_radix_sort_warp_sort_medium_config_static_selectorELNS0_4arch9wavefront6targetE1EEEvSK_.has_indirect_call, 0
	.section	.AMDGPU.csdata,"",@progbits
; Kernel info:
; codeLenInByte = 0
; TotalNumSgprs: 4
; NumVgprs: 0
; ScratchSize: 0
; MemoryBound: 0
; FloatMode: 240
; IeeeMode: 1
; LDSByteSize: 0 bytes/workgroup (compile time only)
; SGPRBlocks: 0
; VGPRBlocks: 0
; NumSGPRsForWavesPerEU: 4
; NumVGPRsForWavesPerEU: 1
; Occupancy: 10
; WaveLimiterHint : 0
; COMPUTE_PGM_RSRC2:SCRATCH_EN: 0
; COMPUTE_PGM_RSRC2:USER_SGPR: 6
; COMPUTE_PGM_RSRC2:TRAP_HANDLER: 0
; COMPUTE_PGM_RSRC2:TGID_X_EN: 1
; COMPUTE_PGM_RSRC2:TGID_Y_EN: 0
; COMPUTE_PGM_RSRC2:TGID_Z_EN: 0
; COMPUTE_PGM_RSRC2:TIDIG_COMP_CNT: 0
	.section	.text._ZN7rocprim17ROCPRIM_400000_NS6detail17trampoline_kernelINS0_14default_configENS1_36segmented_radix_sort_config_selectorIalEEZNS1_25segmented_radix_sort_implIS3_Lb1EPKaPaPKlPlN2at6native12_GLOBAL__N_18offset_tEEE10hipError_tPvRmT1_PNSt15iterator_traitsISK_E10value_typeET2_T3_PNSL_ISQ_E10value_typeET4_jRbjT5_SW_jjP12ihipStream_tbEUlT_E0_NS1_11comp_targetILNS1_3genE9ELNS1_11target_archE1100ELNS1_3gpuE3ELNS1_3repE0EEENS1_60segmented_radix_sort_warp_sort_medium_config_static_selectorELNS0_4arch9wavefront6targetE1EEEvSK_,"axG",@progbits,_ZN7rocprim17ROCPRIM_400000_NS6detail17trampoline_kernelINS0_14default_configENS1_36segmented_radix_sort_config_selectorIalEEZNS1_25segmented_radix_sort_implIS3_Lb1EPKaPaPKlPlN2at6native12_GLOBAL__N_18offset_tEEE10hipError_tPvRmT1_PNSt15iterator_traitsISK_E10value_typeET2_T3_PNSL_ISQ_E10value_typeET4_jRbjT5_SW_jjP12ihipStream_tbEUlT_E0_NS1_11comp_targetILNS1_3genE9ELNS1_11target_archE1100ELNS1_3gpuE3ELNS1_3repE0EEENS1_60segmented_radix_sort_warp_sort_medium_config_static_selectorELNS0_4arch9wavefront6targetE1EEEvSK_,comdat
	.globl	_ZN7rocprim17ROCPRIM_400000_NS6detail17trampoline_kernelINS0_14default_configENS1_36segmented_radix_sort_config_selectorIalEEZNS1_25segmented_radix_sort_implIS3_Lb1EPKaPaPKlPlN2at6native12_GLOBAL__N_18offset_tEEE10hipError_tPvRmT1_PNSt15iterator_traitsISK_E10value_typeET2_T3_PNSL_ISQ_E10value_typeET4_jRbjT5_SW_jjP12ihipStream_tbEUlT_E0_NS1_11comp_targetILNS1_3genE9ELNS1_11target_archE1100ELNS1_3gpuE3ELNS1_3repE0EEENS1_60segmented_radix_sort_warp_sort_medium_config_static_selectorELNS0_4arch9wavefront6targetE1EEEvSK_ ; -- Begin function _ZN7rocprim17ROCPRIM_400000_NS6detail17trampoline_kernelINS0_14default_configENS1_36segmented_radix_sort_config_selectorIalEEZNS1_25segmented_radix_sort_implIS3_Lb1EPKaPaPKlPlN2at6native12_GLOBAL__N_18offset_tEEE10hipError_tPvRmT1_PNSt15iterator_traitsISK_E10value_typeET2_T3_PNSL_ISQ_E10value_typeET4_jRbjT5_SW_jjP12ihipStream_tbEUlT_E0_NS1_11comp_targetILNS1_3genE9ELNS1_11target_archE1100ELNS1_3gpuE3ELNS1_3repE0EEENS1_60segmented_radix_sort_warp_sort_medium_config_static_selectorELNS0_4arch9wavefront6targetE1EEEvSK_
	.p2align	8
	.type	_ZN7rocprim17ROCPRIM_400000_NS6detail17trampoline_kernelINS0_14default_configENS1_36segmented_radix_sort_config_selectorIalEEZNS1_25segmented_radix_sort_implIS3_Lb1EPKaPaPKlPlN2at6native12_GLOBAL__N_18offset_tEEE10hipError_tPvRmT1_PNSt15iterator_traitsISK_E10value_typeET2_T3_PNSL_ISQ_E10value_typeET4_jRbjT5_SW_jjP12ihipStream_tbEUlT_E0_NS1_11comp_targetILNS1_3genE9ELNS1_11target_archE1100ELNS1_3gpuE3ELNS1_3repE0EEENS1_60segmented_radix_sort_warp_sort_medium_config_static_selectorELNS0_4arch9wavefront6targetE1EEEvSK_,@function
_ZN7rocprim17ROCPRIM_400000_NS6detail17trampoline_kernelINS0_14default_configENS1_36segmented_radix_sort_config_selectorIalEEZNS1_25segmented_radix_sort_implIS3_Lb1EPKaPaPKlPlN2at6native12_GLOBAL__N_18offset_tEEE10hipError_tPvRmT1_PNSt15iterator_traitsISK_E10value_typeET2_T3_PNSL_ISQ_E10value_typeET4_jRbjT5_SW_jjP12ihipStream_tbEUlT_E0_NS1_11comp_targetILNS1_3genE9ELNS1_11target_archE1100ELNS1_3gpuE3ELNS1_3repE0EEENS1_60segmented_radix_sort_warp_sort_medium_config_static_selectorELNS0_4arch9wavefront6targetE1EEEvSK_: ; @_ZN7rocprim17ROCPRIM_400000_NS6detail17trampoline_kernelINS0_14default_configENS1_36segmented_radix_sort_config_selectorIalEEZNS1_25segmented_radix_sort_implIS3_Lb1EPKaPaPKlPlN2at6native12_GLOBAL__N_18offset_tEEE10hipError_tPvRmT1_PNSt15iterator_traitsISK_E10value_typeET2_T3_PNSL_ISQ_E10value_typeET4_jRbjT5_SW_jjP12ihipStream_tbEUlT_E0_NS1_11comp_targetILNS1_3genE9ELNS1_11target_archE1100ELNS1_3gpuE3ELNS1_3repE0EEENS1_60segmented_radix_sort_warp_sort_medium_config_static_selectorELNS0_4arch9wavefront6targetE1EEEvSK_
; %bb.0:
	.section	.rodata,"a",@progbits
	.p2align	6, 0x0
	.amdhsa_kernel _ZN7rocprim17ROCPRIM_400000_NS6detail17trampoline_kernelINS0_14default_configENS1_36segmented_radix_sort_config_selectorIalEEZNS1_25segmented_radix_sort_implIS3_Lb1EPKaPaPKlPlN2at6native12_GLOBAL__N_18offset_tEEE10hipError_tPvRmT1_PNSt15iterator_traitsISK_E10value_typeET2_T3_PNSL_ISQ_E10value_typeET4_jRbjT5_SW_jjP12ihipStream_tbEUlT_E0_NS1_11comp_targetILNS1_3genE9ELNS1_11target_archE1100ELNS1_3gpuE3ELNS1_3repE0EEENS1_60segmented_radix_sort_warp_sort_medium_config_static_selectorELNS0_4arch9wavefront6targetE1EEEvSK_
		.amdhsa_group_segment_fixed_size 0
		.amdhsa_private_segment_fixed_size 0
		.amdhsa_kernarg_size 88
		.amdhsa_user_sgpr_count 6
		.amdhsa_user_sgpr_private_segment_buffer 1
		.amdhsa_user_sgpr_dispatch_ptr 0
		.amdhsa_user_sgpr_queue_ptr 0
		.amdhsa_user_sgpr_kernarg_segment_ptr 1
		.amdhsa_user_sgpr_dispatch_id 0
		.amdhsa_user_sgpr_flat_scratch_init 0
		.amdhsa_user_sgpr_private_segment_size 0
		.amdhsa_uses_dynamic_stack 0
		.amdhsa_system_sgpr_private_segment_wavefront_offset 0
		.amdhsa_system_sgpr_workgroup_id_x 1
		.amdhsa_system_sgpr_workgroup_id_y 0
		.amdhsa_system_sgpr_workgroup_id_z 0
		.amdhsa_system_sgpr_workgroup_info 0
		.amdhsa_system_vgpr_workitem_id 0
		.amdhsa_next_free_vgpr 1
		.amdhsa_next_free_sgpr 0
		.amdhsa_reserve_vcc 0
		.amdhsa_reserve_flat_scratch 0
		.amdhsa_float_round_mode_32 0
		.amdhsa_float_round_mode_16_64 0
		.amdhsa_float_denorm_mode_32 3
		.amdhsa_float_denorm_mode_16_64 3
		.amdhsa_dx10_clamp 1
		.amdhsa_ieee_mode 1
		.amdhsa_fp16_overflow 0
		.amdhsa_exception_fp_ieee_invalid_op 0
		.amdhsa_exception_fp_denorm_src 0
		.amdhsa_exception_fp_ieee_div_zero 0
		.amdhsa_exception_fp_ieee_overflow 0
		.amdhsa_exception_fp_ieee_underflow 0
		.amdhsa_exception_fp_ieee_inexact 0
		.amdhsa_exception_int_div_zero 0
	.end_amdhsa_kernel
	.section	.text._ZN7rocprim17ROCPRIM_400000_NS6detail17trampoline_kernelINS0_14default_configENS1_36segmented_radix_sort_config_selectorIalEEZNS1_25segmented_radix_sort_implIS3_Lb1EPKaPaPKlPlN2at6native12_GLOBAL__N_18offset_tEEE10hipError_tPvRmT1_PNSt15iterator_traitsISK_E10value_typeET2_T3_PNSL_ISQ_E10value_typeET4_jRbjT5_SW_jjP12ihipStream_tbEUlT_E0_NS1_11comp_targetILNS1_3genE9ELNS1_11target_archE1100ELNS1_3gpuE3ELNS1_3repE0EEENS1_60segmented_radix_sort_warp_sort_medium_config_static_selectorELNS0_4arch9wavefront6targetE1EEEvSK_,"axG",@progbits,_ZN7rocprim17ROCPRIM_400000_NS6detail17trampoline_kernelINS0_14default_configENS1_36segmented_radix_sort_config_selectorIalEEZNS1_25segmented_radix_sort_implIS3_Lb1EPKaPaPKlPlN2at6native12_GLOBAL__N_18offset_tEEE10hipError_tPvRmT1_PNSt15iterator_traitsISK_E10value_typeET2_T3_PNSL_ISQ_E10value_typeET4_jRbjT5_SW_jjP12ihipStream_tbEUlT_E0_NS1_11comp_targetILNS1_3genE9ELNS1_11target_archE1100ELNS1_3gpuE3ELNS1_3repE0EEENS1_60segmented_radix_sort_warp_sort_medium_config_static_selectorELNS0_4arch9wavefront6targetE1EEEvSK_,comdat
.Lfunc_end308:
	.size	_ZN7rocprim17ROCPRIM_400000_NS6detail17trampoline_kernelINS0_14default_configENS1_36segmented_radix_sort_config_selectorIalEEZNS1_25segmented_radix_sort_implIS3_Lb1EPKaPaPKlPlN2at6native12_GLOBAL__N_18offset_tEEE10hipError_tPvRmT1_PNSt15iterator_traitsISK_E10value_typeET2_T3_PNSL_ISQ_E10value_typeET4_jRbjT5_SW_jjP12ihipStream_tbEUlT_E0_NS1_11comp_targetILNS1_3genE9ELNS1_11target_archE1100ELNS1_3gpuE3ELNS1_3repE0EEENS1_60segmented_radix_sort_warp_sort_medium_config_static_selectorELNS0_4arch9wavefront6targetE1EEEvSK_, .Lfunc_end308-_ZN7rocprim17ROCPRIM_400000_NS6detail17trampoline_kernelINS0_14default_configENS1_36segmented_radix_sort_config_selectorIalEEZNS1_25segmented_radix_sort_implIS3_Lb1EPKaPaPKlPlN2at6native12_GLOBAL__N_18offset_tEEE10hipError_tPvRmT1_PNSt15iterator_traitsISK_E10value_typeET2_T3_PNSL_ISQ_E10value_typeET4_jRbjT5_SW_jjP12ihipStream_tbEUlT_E0_NS1_11comp_targetILNS1_3genE9ELNS1_11target_archE1100ELNS1_3gpuE3ELNS1_3repE0EEENS1_60segmented_radix_sort_warp_sort_medium_config_static_selectorELNS0_4arch9wavefront6targetE1EEEvSK_
                                        ; -- End function
	.set _ZN7rocprim17ROCPRIM_400000_NS6detail17trampoline_kernelINS0_14default_configENS1_36segmented_radix_sort_config_selectorIalEEZNS1_25segmented_radix_sort_implIS3_Lb1EPKaPaPKlPlN2at6native12_GLOBAL__N_18offset_tEEE10hipError_tPvRmT1_PNSt15iterator_traitsISK_E10value_typeET2_T3_PNSL_ISQ_E10value_typeET4_jRbjT5_SW_jjP12ihipStream_tbEUlT_E0_NS1_11comp_targetILNS1_3genE9ELNS1_11target_archE1100ELNS1_3gpuE3ELNS1_3repE0EEENS1_60segmented_radix_sort_warp_sort_medium_config_static_selectorELNS0_4arch9wavefront6targetE1EEEvSK_.num_vgpr, 0
	.set _ZN7rocprim17ROCPRIM_400000_NS6detail17trampoline_kernelINS0_14default_configENS1_36segmented_radix_sort_config_selectorIalEEZNS1_25segmented_radix_sort_implIS3_Lb1EPKaPaPKlPlN2at6native12_GLOBAL__N_18offset_tEEE10hipError_tPvRmT1_PNSt15iterator_traitsISK_E10value_typeET2_T3_PNSL_ISQ_E10value_typeET4_jRbjT5_SW_jjP12ihipStream_tbEUlT_E0_NS1_11comp_targetILNS1_3genE9ELNS1_11target_archE1100ELNS1_3gpuE3ELNS1_3repE0EEENS1_60segmented_radix_sort_warp_sort_medium_config_static_selectorELNS0_4arch9wavefront6targetE1EEEvSK_.num_agpr, 0
	.set _ZN7rocprim17ROCPRIM_400000_NS6detail17trampoline_kernelINS0_14default_configENS1_36segmented_radix_sort_config_selectorIalEEZNS1_25segmented_radix_sort_implIS3_Lb1EPKaPaPKlPlN2at6native12_GLOBAL__N_18offset_tEEE10hipError_tPvRmT1_PNSt15iterator_traitsISK_E10value_typeET2_T3_PNSL_ISQ_E10value_typeET4_jRbjT5_SW_jjP12ihipStream_tbEUlT_E0_NS1_11comp_targetILNS1_3genE9ELNS1_11target_archE1100ELNS1_3gpuE3ELNS1_3repE0EEENS1_60segmented_radix_sort_warp_sort_medium_config_static_selectorELNS0_4arch9wavefront6targetE1EEEvSK_.numbered_sgpr, 0
	.set _ZN7rocprim17ROCPRIM_400000_NS6detail17trampoline_kernelINS0_14default_configENS1_36segmented_radix_sort_config_selectorIalEEZNS1_25segmented_radix_sort_implIS3_Lb1EPKaPaPKlPlN2at6native12_GLOBAL__N_18offset_tEEE10hipError_tPvRmT1_PNSt15iterator_traitsISK_E10value_typeET2_T3_PNSL_ISQ_E10value_typeET4_jRbjT5_SW_jjP12ihipStream_tbEUlT_E0_NS1_11comp_targetILNS1_3genE9ELNS1_11target_archE1100ELNS1_3gpuE3ELNS1_3repE0EEENS1_60segmented_radix_sort_warp_sort_medium_config_static_selectorELNS0_4arch9wavefront6targetE1EEEvSK_.num_named_barrier, 0
	.set _ZN7rocprim17ROCPRIM_400000_NS6detail17trampoline_kernelINS0_14default_configENS1_36segmented_radix_sort_config_selectorIalEEZNS1_25segmented_radix_sort_implIS3_Lb1EPKaPaPKlPlN2at6native12_GLOBAL__N_18offset_tEEE10hipError_tPvRmT1_PNSt15iterator_traitsISK_E10value_typeET2_T3_PNSL_ISQ_E10value_typeET4_jRbjT5_SW_jjP12ihipStream_tbEUlT_E0_NS1_11comp_targetILNS1_3genE9ELNS1_11target_archE1100ELNS1_3gpuE3ELNS1_3repE0EEENS1_60segmented_radix_sort_warp_sort_medium_config_static_selectorELNS0_4arch9wavefront6targetE1EEEvSK_.private_seg_size, 0
	.set _ZN7rocprim17ROCPRIM_400000_NS6detail17trampoline_kernelINS0_14default_configENS1_36segmented_radix_sort_config_selectorIalEEZNS1_25segmented_radix_sort_implIS3_Lb1EPKaPaPKlPlN2at6native12_GLOBAL__N_18offset_tEEE10hipError_tPvRmT1_PNSt15iterator_traitsISK_E10value_typeET2_T3_PNSL_ISQ_E10value_typeET4_jRbjT5_SW_jjP12ihipStream_tbEUlT_E0_NS1_11comp_targetILNS1_3genE9ELNS1_11target_archE1100ELNS1_3gpuE3ELNS1_3repE0EEENS1_60segmented_radix_sort_warp_sort_medium_config_static_selectorELNS0_4arch9wavefront6targetE1EEEvSK_.uses_vcc, 0
	.set _ZN7rocprim17ROCPRIM_400000_NS6detail17trampoline_kernelINS0_14default_configENS1_36segmented_radix_sort_config_selectorIalEEZNS1_25segmented_radix_sort_implIS3_Lb1EPKaPaPKlPlN2at6native12_GLOBAL__N_18offset_tEEE10hipError_tPvRmT1_PNSt15iterator_traitsISK_E10value_typeET2_T3_PNSL_ISQ_E10value_typeET4_jRbjT5_SW_jjP12ihipStream_tbEUlT_E0_NS1_11comp_targetILNS1_3genE9ELNS1_11target_archE1100ELNS1_3gpuE3ELNS1_3repE0EEENS1_60segmented_radix_sort_warp_sort_medium_config_static_selectorELNS0_4arch9wavefront6targetE1EEEvSK_.uses_flat_scratch, 0
	.set _ZN7rocprim17ROCPRIM_400000_NS6detail17trampoline_kernelINS0_14default_configENS1_36segmented_radix_sort_config_selectorIalEEZNS1_25segmented_radix_sort_implIS3_Lb1EPKaPaPKlPlN2at6native12_GLOBAL__N_18offset_tEEE10hipError_tPvRmT1_PNSt15iterator_traitsISK_E10value_typeET2_T3_PNSL_ISQ_E10value_typeET4_jRbjT5_SW_jjP12ihipStream_tbEUlT_E0_NS1_11comp_targetILNS1_3genE9ELNS1_11target_archE1100ELNS1_3gpuE3ELNS1_3repE0EEENS1_60segmented_radix_sort_warp_sort_medium_config_static_selectorELNS0_4arch9wavefront6targetE1EEEvSK_.has_dyn_sized_stack, 0
	.set _ZN7rocprim17ROCPRIM_400000_NS6detail17trampoline_kernelINS0_14default_configENS1_36segmented_radix_sort_config_selectorIalEEZNS1_25segmented_radix_sort_implIS3_Lb1EPKaPaPKlPlN2at6native12_GLOBAL__N_18offset_tEEE10hipError_tPvRmT1_PNSt15iterator_traitsISK_E10value_typeET2_T3_PNSL_ISQ_E10value_typeET4_jRbjT5_SW_jjP12ihipStream_tbEUlT_E0_NS1_11comp_targetILNS1_3genE9ELNS1_11target_archE1100ELNS1_3gpuE3ELNS1_3repE0EEENS1_60segmented_radix_sort_warp_sort_medium_config_static_selectorELNS0_4arch9wavefront6targetE1EEEvSK_.has_recursion, 0
	.set _ZN7rocprim17ROCPRIM_400000_NS6detail17trampoline_kernelINS0_14default_configENS1_36segmented_radix_sort_config_selectorIalEEZNS1_25segmented_radix_sort_implIS3_Lb1EPKaPaPKlPlN2at6native12_GLOBAL__N_18offset_tEEE10hipError_tPvRmT1_PNSt15iterator_traitsISK_E10value_typeET2_T3_PNSL_ISQ_E10value_typeET4_jRbjT5_SW_jjP12ihipStream_tbEUlT_E0_NS1_11comp_targetILNS1_3genE9ELNS1_11target_archE1100ELNS1_3gpuE3ELNS1_3repE0EEENS1_60segmented_radix_sort_warp_sort_medium_config_static_selectorELNS0_4arch9wavefront6targetE1EEEvSK_.has_indirect_call, 0
	.section	.AMDGPU.csdata,"",@progbits
; Kernel info:
; codeLenInByte = 0
; TotalNumSgprs: 4
; NumVgprs: 0
; ScratchSize: 0
; MemoryBound: 0
; FloatMode: 240
; IeeeMode: 1
; LDSByteSize: 0 bytes/workgroup (compile time only)
; SGPRBlocks: 0
; VGPRBlocks: 0
; NumSGPRsForWavesPerEU: 4
; NumVGPRsForWavesPerEU: 1
; Occupancy: 10
; WaveLimiterHint : 0
; COMPUTE_PGM_RSRC2:SCRATCH_EN: 0
; COMPUTE_PGM_RSRC2:USER_SGPR: 6
; COMPUTE_PGM_RSRC2:TRAP_HANDLER: 0
; COMPUTE_PGM_RSRC2:TGID_X_EN: 1
; COMPUTE_PGM_RSRC2:TGID_Y_EN: 0
; COMPUTE_PGM_RSRC2:TGID_Z_EN: 0
; COMPUTE_PGM_RSRC2:TIDIG_COMP_CNT: 0
	.section	.text._ZN7rocprim17ROCPRIM_400000_NS6detail17trampoline_kernelINS0_14default_configENS1_36segmented_radix_sort_config_selectorIalEEZNS1_25segmented_radix_sort_implIS3_Lb1EPKaPaPKlPlN2at6native12_GLOBAL__N_18offset_tEEE10hipError_tPvRmT1_PNSt15iterator_traitsISK_E10value_typeET2_T3_PNSL_ISQ_E10value_typeET4_jRbjT5_SW_jjP12ihipStream_tbEUlT_E0_NS1_11comp_targetILNS1_3genE8ELNS1_11target_archE1030ELNS1_3gpuE2ELNS1_3repE0EEENS1_60segmented_radix_sort_warp_sort_medium_config_static_selectorELNS0_4arch9wavefront6targetE1EEEvSK_,"axG",@progbits,_ZN7rocprim17ROCPRIM_400000_NS6detail17trampoline_kernelINS0_14default_configENS1_36segmented_radix_sort_config_selectorIalEEZNS1_25segmented_radix_sort_implIS3_Lb1EPKaPaPKlPlN2at6native12_GLOBAL__N_18offset_tEEE10hipError_tPvRmT1_PNSt15iterator_traitsISK_E10value_typeET2_T3_PNSL_ISQ_E10value_typeET4_jRbjT5_SW_jjP12ihipStream_tbEUlT_E0_NS1_11comp_targetILNS1_3genE8ELNS1_11target_archE1030ELNS1_3gpuE2ELNS1_3repE0EEENS1_60segmented_radix_sort_warp_sort_medium_config_static_selectorELNS0_4arch9wavefront6targetE1EEEvSK_,comdat
	.globl	_ZN7rocprim17ROCPRIM_400000_NS6detail17trampoline_kernelINS0_14default_configENS1_36segmented_radix_sort_config_selectorIalEEZNS1_25segmented_radix_sort_implIS3_Lb1EPKaPaPKlPlN2at6native12_GLOBAL__N_18offset_tEEE10hipError_tPvRmT1_PNSt15iterator_traitsISK_E10value_typeET2_T3_PNSL_ISQ_E10value_typeET4_jRbjT5_SW_jjP12ihipStream_tbEUlT_E0_NS1_11comp_targetILNS1_3genE8ELNS1_11target_archE1030ELNS1_3gpuE2ELNS1_3repE0EEENS1_60segmented_radix_sort_warp_sort_medium_config_static_selectorELNS0_4arch9wavefront6targetE1EEEvSK_ ; -- Begin function _ZN7rocprim17ROCPRIM_400000_NS6detail17trampoline_kernelINS0_14default_configENS1_36segmented_radix_sort_config_selectorIalEEZNS1_25segmented_radix_sort_implIS3_Lb1EPKaPaPKlPlN2at6native12_GLOBAL__N_18offset_tEEE10hipError_tPvRmT1_PNSt15iterator_traitsISK_E10value_typeET2_T3_PNSL_ISQ_E10value_typeET4_jRbjT5_SW_jjP12ihipStream_tbEUlT_E0_NS1_11comp_targetILNS1_3genE8ELNS1_11target_archE1030ELNS1_3gpuE2ELNS1_3repE0EEENS1_60segmented_radix_sort_warp_sort_medium_config_static_selectorELNS0_4arch9wavefront6targetE1EEEvSK_
	.p2align	8
	.type	_ZN7rocprim17ROCPRIM_400000_NS6detail17trampoline_kernelINS0_14default_configENS1_36segmented_radix_sort_config_selectorIalEEZNS1_25segmented_radix_sort_implIS3_Lb1EPKaPaPKlPlN2at6native12_GLOBAL__N_18offset_tEEE10hipError_tPvRmT1_PNSt15iterator_traitsISK_E10value_typeET2_T3_PNSL_ISQ_E10value_typeET4_jRbjT5_SW_jjP12ihipStream_tbEUlT_E0_NS1_11comp_targetILNS1_3genE8ELNS1_11target_archE1030ELNS1_3gpuE2ELNS1_3repE0EEENS1_60segmented_radix_sort_warp_sort_medium_config_static_selectorELNS0_4arch9wavefront6targetE1EEEvSK_,@function
_ZN7rocprim17ROCPRIM_400000_NS6detail17trampoline_kernelINS0_14default_configENS1_36segmented_radix_sort_config_selectorIalEEZNS1_25segmented_radix_sort_implIS3_Lb1EPKaPaPKlPlN2at6native12_GLOBAL__N_18offset_tEEE10hipError_tPvRmT1_PNSt15iterator_traitsISK_E10value_typeET2_T3_PNSL_ISQ_E10value_typeET4_jRbjT5_SW_jjP12ihipStream_tbEUlT_E0_NS1_11comp_targetILNS1_3genE8ELNS1_11target_archE1030ELNS1_3gpuE2ELNS1_3repE0EEENS1_60segmented_radix_sort_warp_sort_medium_config_static_selectorELNS0_4arch9wavefront6targetE1EEEvSK_: ; @_ZN7rocprim17ROCPRIM_400000_NS6detail17trampoline_kernelINS0_14default_configENS1_36segmented_radix_sort_config_selectorIalEEZNS1_25segmented_radix_sort_implIS3_Lb1EPKaPaPKlPlN2at6native12_GLOBAL__N_18offset_tEEE10hipError_tPvRmT1_PNSt15iterator_traitsISK_E10value_typeET2_T3_PNSL_ISQ_E10value_typeET4_jRbjT5_SW_jjP12ihipStream_tbEUlT_E0_NS1_11comp_targetILNS1_3genE8ELNS1_11target_archE1030ELNS1_3gpuE2ELNS1_3repE0EEENS1_60segmented_radix_sort_warp_sort_medium_config_static_selectorELNS0_4arch9wavefront6targetE1EEEvSK_
; %bb.0:
	.section	.rodata,"a",@progbits
	.p2align	6, 0x0
	.amdhsa_kernel _ZN7rocprim17ROCPRIM_400000_NS6detail17trampoline_kernelINS0_14default_configENS1_36segmented_radix_sort_config_selectorIalEEZNS1_25segmented_radix_sort_implIS3_Lb1EPKaPaPKlPlN2at6native12_GLOBAL__N_18offset_tEEE10hipError_tPvRmT1_PNSt15iterator_traitsISK_E10value_typeET2_T3_PNSL_ISQ_E10value_typeET4_jRbjT5_SW_jjP12ihipStream_tbEUlT_E0_NS1_11comp_targetILNS1_3genE8ELNS1_11target_archE1030ELNS1_3gpuE2ELNS1_3repE0EEENS1_60segmented_radix_sort_warp_sort_medium_config_static_selectorELNS0_4arch9wavefront6targetE1EEEvSK_
		.amdhsa_group_segment_fixed_size 0
		.amdhsa_private_segment_fixed_size 0
		.amdhsa_kernarg_size 88
		.amdhsa_user_sgpr_count 6
		.amdhsa_user_sgpr_private_segment_buffer 1
		.amdhsa_user_sgpr_dispatch_ptr 0
		.amdhsa_user_sgpr_queue_ptr 0
		.amdhsa_user_sgpr_kernarg_segment_ptr 1
		.amdhsa_user_sgpr_dispatch_id 0
		.amdhsa_user_sgpr_flat_scratch_init 0
		.amdhsa_user_sgpr_private_segment_size 0
		.amdhsa_uses_dynamic_stack 0
		.amdhsa_system_sgpr_private_segment_wavefront_offset 0
		.amdhsa_system_sgpr_workgroup_id_x 1
		.amdhsa_system_sgpr_workgroup_id_y 0
		.amdhsa_system_sgpr_workgroup_id_z 0
		.amdhsa_system_sgpr_workgroup_info 0
		.amdhsa_system_vgpr_workitem_id 0
		.amdhsa_next_free_vgpr 1
		.amdhsa_next_free_sgpr 0
		.amdhsa_reserve_vcc 0
		.amdhsa_reserve_flat_scratch 0
		.amdhsa_float_round_mode_32 0
		.amdhsa_float_round_mode_16_64 0
		.amdhsa_float_denorm_mode_32 3
		.amdhsa_float_denorm_mode_16_64 3
		.amdhsa_dx10_clamp 1
		.amdhsa_ieee_mode 1
		.amdhsa_fp16_overflow 0
		.amdhsa_exception_fp_ieee_invalid_op 0
		.amdhsa_exception_fp_denorm_src 0
		.amdhsa_exception_fp_ieee_div_zero 0
		.amdhsa_exception_fp_ieee_overflow 0
		.amdhsa_exception_fp_ieee_underflow 0
		.amdhsa_exception_fp_ieee_inexact 0
		.amdhsa_exception_int_div_zero 0
	.end_amdhsa_kernel
	.section	.text._ZN7rocprim17ROCPRIM_400000_NS6detail17trampoline_kernelINS0_14default_configENS1_36segmented_radix_sort_config_selectorIalEEZNS1_25segmented_radix_sort_implIS3_Lb1EPKaPaPKlPlN2at6native12_GLOBAL__N_18offset_tEEE10hipError_tPvRmT1_PNSt15iterator_traitsISK_E10value_typeET2_T3_PNSL_ISQ_E10value_typeET4_jRbjT5_SW_jjP12ihipStream_tbEUlT_E0_NS1_11comp_targetILNS1_3genE8ELNS1_11target_archE1030ELNS1_3gpuE2ELNS1_3repE0EEENS1_60segmented_radix_sort_warp_sort_medium_config_static_selectorELNS0_4arch9wavefront6targetE1EEEvSK_,"axG",@progbits,_ZN7rocprim17ROCPRIM_400000_NS6detail17trampoline_kernelINS0_14default_configENS1_36segmented_radix_sort_config_selectorIalEEZNS1_25segmented_radix_sort_implIS3_Lb1EPKaPaPKlPlN2at6native12_GLOBAL__N_18offset_tEEE10hipError_tPvRmT1_PNSt15iterator_traitsISK_E10value_typeET2_T3_PNSL_ISQ_E10value_typeET4_jRbjT5_SW_jjP12ihipStream_tbEUlT_E0_NS1_11comp_targetILNS1_3genE8ELNS1_11target_archE1030ELNS1_3gpuE2ELNS1_3repE0EEENS1_60segmented_radix_sort_warp_sort_medium_config_static_selectorELNS0_4arch9wavefront6targetE1EEEvSK_,comdat
.Lfunc_end309:
	.size	_ZN7rocprim17ROCPRIM_400000_NS6detail17trampoline_kernelINS0_14default_configENS1_36segmented_radix_sort_config_selectorIalEEZNS1_25segmented_radix_sort_implIS3_Lb1EPKaPaPKlPlN2at6native12_GLOBAL__N_18offset_tEEE10hipError_tPvRmT1_PNSt15iterator_traitsISK_E10value_typeET2_T3_PNSL_ISQ_E10value_typeET4_jRbjT5_SW_jjP12ihipStream_tbEUlT_E0_NS1_11comp_targetILNS1_3genE8ELNS1_11target_archE1030ELNS1_3gpuE2ELNS1_3repE0EEENS1_60segmented_radix_sort_warp_sort_medium_config_static_selectorELNS0_4arch9wavefront6targetE1EEEvSK_, .Lfunc_end309-_ZN7rocprim17ROCPRIM_400000_NS6detail17trampoline_kernelINS0_14default_configENS1_36segmented_radix_sort_config_selectorIalEEZNS1_25segmented_radix_sort_implIS3_Lb1EPKaPaPKlPlN2at6native12_GLOBAL__N_18offset_tEEE10hipError_tPvRmT1_PNSt15iterator_traitsISK_E10value_typeET2_T3_PNSL_ISQ_E10value_typeET4_jRbjT5_SW_jjP12ihipStream_tbEUlT_E0_NS1_11comp_targetILNS1_3genE8ELNS1_11target_archE1030ELNS1_3gpuE2ELNS1_3repE0EEENS1_60segmented_radix_sort_warp_sort_medium_config_static_selectorELNS0_4arch9wavefront6targetE1EEEvSK_
                                        ; -- End function
	.set _ZN7rocprim17ROCPRIM_400000_NS6detail17trampoline_kernelINS0_14default_configENS1_36segmented_radix_sort_config_selectorIalEEZNS1_25segmented_radix_sort_implIS3_Lb1EPKaPaPKlPlN2at6native12_GLOBAL__N_18offset_tEEE10hipError_tPvRmT1_PNSt15iterator_traitsISK_E10value_typeET2_T3_PNSL_ISQ_E10value_typeET4_jRbjT5_SW_jjP12ihipStream_tbEUlT_E0_NS1_11comp_targetILNS1_3genE8ELNS1_11target_archE1030ELNS1_3gpuE2ELNS1_3repE0EEENS1_60segmented_radix_sort_warp_sort_medium_config_static_selectorELNS0_4arch9wavefront6targetE1EEEvSK_.num_vgpr, 0
	.set _ZN7rocprim17ROCPRIM_400000_NS6detail17trampoline_kernelINS0_14default_configENS1_36segmented_radix_sort_config_selectorIalEEZNS1_25segmented_radix_sort_implIS3_Lb1EPKaPaPKlPlN2at6native12_GLOBAL__N_18offset_tEEE10hipError_tPvRmT1_PNSt15iterator_traitsISK_E10value_typeET2_T3_PNSL_ISQ_E10value_typeET4_jRbjT5_SW_jjP12ihipStream_tbEUlT_E0_NS1_11comp_targetILNS1_3genE8ELNS1_11target_archE1030ELNS1_3gpuE2ELNS1_3repE0EEENS1_60segmented_radix_sort_warp_sort_medium_config_static_selectorELNS0_4arch9wavefront6targetE1EEEvSK_.num_agpr, 0
	.set _ZN7rocprim17ROCPRIM_400000_NS6detail17trampoline_kernelINS0_14default_configENS1_36segmented_radix_sort_config_selectorIalEEZNS1_25segmented_radix_sort_implIS3_Lb1EPKaPaPKlPlN2at6native12_GLOBAL__N_18offset_tEEE10hipError_tPvRmT1_PNSt15iterator_traitsISK_E10value_typeET2_T3_PNSL_ISQ_E10value_typeET4_jRbjT5_SW_jjP12ihipStream_tbEUlT_E0_NS1_11comp_targetILNS1_3genE8ELNS1_11target_archE1030ELNS1_3gpuE2ELNS1_3repE0EEENS1_60segmented_radix_sort_warp_sort_medium_config_static_selectorELNS0_4arch9wavefront6targetE1EEEvSK_.numbered_sgpr, 0
	.set _ZN7rocprim17ROCPRIM_400000_NS6detail17trampoline_kernelINS0_14default_configENS1_36segmented_radix_sort_config_selectorIalEEZNS1_25segmented_radix_sort_implIS3_Lb1EPKaPaPKlPlN2at6native12_GLOBAL__N_18offset_tEEE10hipError_tPvRmT1_PNSt15iterator_traitsISK_E10value_typeET2_T3_PNSL_ISQ_E10value_typeET4_jRbjT5_SW_jjP12ihipStream_tbEUlT_E0_NS1_11comp_targetILNS1_3genE8ELNS1_11target_archE1030ELNS1_3gpuE2ELNS1_3repE0EEENS1_60segmented_radix_sort_warp_sort_medium_config_static_selectorELNS0_4arch9wavefront6targetE1EEEvSK_.num_named_barrier, 0
	.set _ZN7rocprim17ROCPRIM_400000_NS6detail17trampoline_kernelINS0_14default_configENS1_36segmented_radix_sort_config_selectorIalEEZNS1_25segmented_radix_sort_implIS3_Lb1EPKaPaPKlPlN2at6native12_GLOBAL__N_18offset_tEEE10hipError_tPvRmT1_PNSt15iterator_traitsISK_E10value_typeET2_T3_PNSL_ISQ_E10value_typeET4_jRbjT5_SW_jjP12ihipStream_tbEUlT_E0_NS1_11comp_targetILNS1_3genE8ELNS1_11target_archE1030ELNS1_3gpuE2ELNS1_3repE0EEENS1_60segmented_radix_sort_warp_sort_medium_config_static_selectorELNS0_4arch9wavefront6targetE1EEEvSK_.private_seg_size, 0
	.set _ZN7rocprim17ROCPRIM_400000_NS6detail17trampoline_kernelINS0_14default_configENS1_36segmented_radix_sort_config_selectorIalEEZNS1_25segmented_radix_sort_implIS3_Lb1EPKaPaPKlPlN2at6native12_GLOBAL__N_18offset_tEEE10hipError_tPvRmT1_PNSt15iterator_traitsISK_E10value_typeET2_T3_PNSL_ISQ_E10value_typeET4_jRbjT5_SW_jjP12ihipStream_tbEUlT_E0_NS1_11comp_targetILNS1_3genE8ELNS1_11target_archE1030ELNS1_3gpuE2ELNS1_3repE0EEENS1_60segmented_radix_sort_warp_sort_medium_config_static_selectorELNS0_4arch9wavefront6targetE1EEEvSK_.uses_vcc, 0
	.set _ZN7rocprim17ROCPRIM_400000_NS6detail17trampoline_kernelINS0_14default_configENS1_36segmented_radix_sort_config_selectorIalEEZNS1_25segmented_radix_sort_implIS3_Lb1EPKaPaPKlPlN2at6native12_GLOBAL__N_18offset_tEEE10hipError_tPvRmT1_PNSt15iterator_traitsISK_E10value_typeET2_T3_PNSL_ISQ_E10value_typeET4_jRbjT5_SW_jjP12ihipStream_tbEUlT_E0_NS1_11comp_targetILNS1_3genE8ELNS1_11target_archE1030ELNS1_3gpuE2ELNS1_3repE0EEENS1_60segmented_radix_sort_warp_sort_medium_config_static_selectorELNS0_4arch9wavefront6targetE1EEEvSK_.uses_flat_scratch, 0
	.set _ZN7rocprim17ROCPRIM_400000_NS6detail17trampoline_kernelINS0_14default_configENS1_36segmented_radix_sort_config_selectorIalEEZNS1_25segmented_radix_sort_implIS3_Lb1EPKaPaPKlPlN2at6native12_GLOBAL__N_18offset_tEEE10hipError_tPvRmT1_PNSt15iterator_traitsISK_E10value_typeET2_T3_PNSL_ISQ_E10value_typeET4_jRbjT5_SW_jjP12ihipStream_tbEUlT_E0_NS1_11comp_targetILNS1_3genE8ELNS1_11target_archE1030ELNS1_3gpuE2ELNS1_3repE0EEENS1_60segmented_radix_sort_warp_sort_medium_config_static_selectorELNS0_4arch9wavefront6targetE1EEEvSK_.has_dyn_sized_stack, 0
	.set _ZN7rocprim17ROCPRIM_400000_NS6detail17trampoline_kernelINS0_14default_configENS1_36segmented_radix_sort_config_selectorIalEEZNS1_25segmented_radix_sort_implIS3_Lb1EPKaPaPKlPlN2at6native12_GLOBAL__N_18offset_tEEE10hipError_tPvRmT1_PNSt15iterator_traitsISK_E10value_typeET2_T3_PNSL_ISQ_E10value_typeET4_jRbjT5_SW_jjP12ihipStream_tbEUlT_E0_NS1_11comp_targetILNS1_3genE8ELNS1_11target_archE1030ELNS1_3gpuE2ELNS1_3repE0EEENS1_60segmented_radix_sort_warp_sort_medium_config_static_selectorELNS0_4arch9wavefront6targetE1EEEvSK_.has_recursion, 0
	.set _ZN7rocprim17ROCPRIM_400000_NS6detail17trampoline_kernelINS0_14default_configENS1_36segmented_radix_sort_config_selectorIalEEZNS1_25segmented_radix_sort_implIS3_Lb1EPKaPaPKlPlN2at6native12_GLOBAL__N_18offset_tEEE10hipError_tPvRmT1_PNSt15iterator_traitsISK_E10value_typeET2_T3_PNSL_ISQ_E10value_typeET4_jRbjT5_SW_jjP12ihipStream_tbEUlT_E0_NS1_11comp_targetILNS1_3genE8ELNS1_11target_archE1030ELNS1_3gpuE2ELNS1_3repE0EEENS1_60segmented_radix_sort_warp_sort_medium_config_static_selectorELNS0_4arch9wavefront6targetE1EEEvSK_.has_indirect_call, 0
	.section	.AMDGPU.csdata,"",@progbits
; Kernel info:
; codeLenInByte = 0
; TotalNumSgprs: 4
; NumVgprs: 0
; ScratchSize: 0
; MemoryBound: 0
; FloatMode: 240
; IeeeMode: 1
; LDSByteSize: 0 bytes/workgroup (compile time only)
; SGPRBlocks: 0
; VGPRBlocks: 0
; NumSGPRsForWavesPerEU: 4
; NumVGPRsForWavesPerEU: 1
; Occupancy: 10
; WaveLimiterHint : 0
; COMPUTE_PGM_RSRC2:SCRATCH_EN: 0
; COMPUTE_PGM_RSRC2:USER_SGPR: 6
; COMPUTE_PGM_RSRC2:TRAP_HANDLER: 0
; COMPUTE_PGM_RSRC2:TGID_X_EN: 1
; COMPUTE_PGM_RSRC2:TGID_Y_EN: 0
; COMPUTE_PGM_RSRC2:TGID_Z_EN: 0
; COMPUTE_PGM_RSRC2:TIDIG_COMP_CNT: 0
	.section	.text._ZN7rocprim17ROCPRIM_400000_NS6detail17trampoline_kernelINS0_14default_configENS1_36segmented_radix_sort_config_selectorIalEEZNS1_25segmented_radix_sort_implIS3_Lb1EPKaPaPKlPlN2at6native12_GLOBAL__N_18offset_tEEE10hipError_tPvRmT1_PNSt15iterator_traitsISK_E10value_typeET2_T3_PNSL_ISQ_E10value_typeET4_jRbjT5_SW_jjP12ihipStream_tbEUlT_E1_NS1_11comp_targetILNS1_3genE0ELNS1_11target_archE4294967295ELNS1_3gpuE0ELNS1_3repE0EEENS1_59segmented_radix_sort_warp_sort_small_config_static_selectorELNS0_4arch9wavefront6targetE1EEEvSK_,"axG",@progbits,_ZN7rocprim17ROCPRIM_400000_NS6detail17trampoline_kernelINS0_14default_configENS1_36segmented_radix_sort_config_selectorIalEEZNS1_25segmented_radix_sort_implIS3_Lb1EPKaPaPKlPlN2at6native12_GLOBAL__N_18offset_tEEE10hipError_tPvRmT1_PNSt15iterator_traitsISK_E10value_typeET2_T3_PNSL_ISQ_E10value_typeET4_jRbjT5_SW_jjP12ihipStream_tbEUlT_E1_NS1_11comp_targetILNS1_3genE0ELNS1_11target_archE4294967295ELNS1_3gpuE0ELNS1_3repE0EEENS1_59segmented_radix_sort_warp_sort_small_config_static_selectorELNS0_4arch9wavefront6targetE1EEEvSK_,comdat
	.globl	_ZN7rocprim17ROCPRIM_400000_NS6detail17trampoline_kernelINS0_14default_configENS1_36segmented_radix_sort_config_selectorIalEEZNS1_25segmented_radix_sort_implIS3_Lb1EPKaPaPKlPlN2at6native12_GLOBAL__N_18offset_tEEE10hipError_tPvRmT1_PNSt15iterator_traitsISK_E10value_typeET2_T3_PNSL_ISQ_E10value_typeET4_jRbjT5_SW_jjP12ihipStream_tbEUlT_E1_NS1_11comp_targetILNS1_3genE0ELNS1_11target_archE4294967295ELNS1_3gpuE0ELNS1_3repE0EEENS1_59segmented_radix_sort_warp_sort_small_config_static_selectorELNS0_4arch9wavefront6targetE1EEEvSK_ ; -- Begin function _ZN7rocprim17ROCPRIM_400000_NS6detail17trampoline_kernelINS0_14default_configENS1_36segmented_radix_sort_config_selectorIalEEZNS1_25segmented_radix_sort_implIS3_Lb1EPKaPaPKlPlN2at6native12_GLOBAL__N_18offset_tEEE10hipError_tPvRmT1_PNSt15iterator_traitsISK_E10value_typeET2_T3_PNSL_ISQ_E10value_typeET4_jRbjT5_SW_jjP12ihipStream_tbEUlT_E1_NS1_11comp_targetILNS1_3genE0ELNS1_11target_archE4294967295ELNS1_3gpuE0ELNS1_3repE0EEENS1_59segmented_radix_sort_warp_sort_small_config_static_selectorELNS0_4arch9wavefront6targetE1EEEvSK_
	.p2align	8
	.type	_ZN7rocprim17ROCPRIM_400000_NS6detail17trampoline_kernelINS0_14default_configENS1_36segmented_radix_sort_config_selectorIalEEZNS1_25segmented_radix_sort_implIS3_Lb1EPKaPaPKlPlN2at6native12_GLOBAL__N_18offset_tEEE10hipError_tPvRmT1_PNSt15iterator_traitsISK_E10value_typeET2_T3_PNSL_ISQ_E10value_typeET4_jRbjT5_SW_jjP12ihipStream_tbEUlT_E1_NS1_11comp_targetILNS1_3genE0ELNS1_11target_archE4294967295ELNS1_3gpuE0ELNS1_3repE0EEENS1_59segmented_radix_sort_warp_sort_small_config_static_selectorELNS0_4arch9wavefront6targetE1EEEvSK_,@function
_ZN7rocprim17ROCPRIM_400000_NS6detail17trampoline_kernelINS0_14default_configENS1_36segmented_radix_sort_config_selectorIalEEZNS1_25segmented_radix_sort_implIS3_Lb1EPKaPaPKlPlN2at6native12_GLOBAL__N_18offset_tEEE10hipError_tPvRmT1_PNSt15iterator_traitsISK_E10value_typeET2_T3_PNSL_ISQ_E10value_typeET4_jRbjT5_SW_jjP12ihipStream_tbEUlT_E1_NS1_11comp_targetILNS1_3genE0ELNS1_11target_archE4294967295ELNS1_3gpuE0ELNS1_3repE0EEENS1_59segmented_radix_sort_warp_sort_small_config_static_selectorELNS0_4arch9wavefront6targetE1EEEvSK_: ; @_ZN7rocprim17ROCPRIM_400000_NS6detail17trampoline_kernelINS0_14default_configENS1_36segmented_radix_sort_config_selectorIalEEZNS1_25segmented_radix_sort_implIS3_Lb1EPKaPaPKlPlN2at6native12_GLOBAL__N_18offset_tEEE10hipError_tPvRmT1_PNSt15iterator_traitsISK_E10value_typeET2_T3_PNSL_ISQ_E10value_typeET4_jRbjT5_SW_jjP12ihipStream_tbEUlT_E1_NS1_11comp_targetILNS1_3genE0ELNS1_11target_archE4294967295ELNS1_3gpuE0ELNS1_3repE0EEENS1_59segmented_radix_sort_warp_sort_small_config_static_selectorELNS0_4arch9wavefront6targetE1EEEvSK_
; %bb.0:
	.section	.rodata,"a",@progbits
	.p2align	6, 0x0
	.amdhsa_kernel _ZN7rocprim17ROCPRIM_400000_NS6detail17trampoline_kernelINS0_14default_configENS1_36segmented_radix_sort_config_selectorIalEEZNS1_25segmented_radix_sort_implIS3_Lb1EPKaPaPKlPlN2at6native12_GLOBAL__N_18offset_tEEE10hipError_tPvRmT1_PNSt15iterator_traitsISK_E10value_typeET2_T3_PNSL_ISQ_E10value_typeET4_jRbjT5_SW_jjP12ihipStream_tbEUlT_E1_NS1_11comp_targetILNS1_3genE0ELNS1_11target_archE4294967295ELNS1_3gpuE0ELNS1_3repE0EEENS1_59segmented_radix_sort_warp_sort_small_config_static_selectorELNS0_4arch9wavefront6targetE1EEEvSK_
		.amdhsa_group_segment_fixed_size 0
		.amdhsa_private_segment_fixed_size 0
		.amdhsa_kernarg_size 88
		.amdhsa_user_sgpr_count 6
		.amdhsa_user_sgpr_private_segment_buffer 1
		.amdhsa_user_sgpr_dispatch_ptr 0
		.amdhsa_user_sgpr_queue_ptr 0
		.amdhsa_user_sgpr_kernarg_segment_ptr 1
		.amdhsa_user_sgpr_dispatch_id 0
		.amdhsa_user_sgpr_flat_scratch_init 0
		.amdhsa_user_sgpr_private_segment_size 0
		.amdhsa_uses_dynamic_stack 0
		.amdhsa_system_sgpr_private_segment_wavefront_offset 0
		.amdhsa_system_sgpr_workgroup_id_x 1
		.amdhsa_system_sgpr_workgroup_id_y 0
		.amdhsa_system_sgpr_workgroup_id_z 0
		.amdhsa_system_sgpr_workgroup_info 0
		.amdhsa_system_vgpr_workitem_id 0
		.amdhsa_next_free_vgpr 1
		.amdhsa_next_free_sgpr 0
		.amdhsa_reserve_vcc 0
		.amdhsa_reserve_flat_scratch 0
		.amdhsa_float_round_mode_32 0
		.amdhsa_float_round_mode_16_64 0
		.amdhsa_float_denorm_mode_32 3
		.amdhsa_float_denorm_mode_16_64 3
		.amdhsa_dx10_clamp 1
		.amdhsa_ieee_mode 1
		.amdhsa_fp16_overflow 0
		.amdhsa_exception_fp_ieee_invalid_op 0
		.amdhsa_exception_fp_denorm_src 0
		.amdhsa_exception_fp_ieee_div_zero 0
		.amdhsa_exception_fp_ieee_overflow 0
		.amdhsa_exception_fp_ieee_underflow 0
		.amdhsa_exception_fp_ieee_inexact 0
		.amdhsa_exception_int_div_zero 0
	.end_amdhsa_kernel
	.section	.text._ZN7rocprim17ROCPRIM_400000_NS6detail17trampoline_kernelINS0_14default_configENS1_36segmented_radix_sort_config_selectorIalEEZNS1_25segmented_radix_sort_implIS3_Lb1EPKaPaPKlPlN2at6native12_GLOBAL__N_18offset_tEEE10hipError_tPvRmT1_PNSt15iterator_traitsISK_E10value_typeET2_T3_PNSL_ISQ_E10value_typeET4_jRbjT5_SW_jjP12ihipStream_tbEUlT_E1_NS1_11comp_targetILNS1_3genE0ELNS1_11target_archE4294967295ELNS1_3gpuE0ELNS1_3repE0EEENS1_59segmented_radix_sort_warp_sort_small_config_static_selectorELNS0_4arch9wavefront6targetE1EEEvSK_,"axG",@progbits,_ZN7rocprim17ROCPRIM_400000_NS6detail17trampoline_kernelINS0_14default_configENS1_36segmented_radix_sort_config_selectorIalEEZNS1_25segmented_radix_sort_implIS3_Lb1EPKaPaPKlPlN2at6native12_GLOBAL__N_18offset_tEEE10hipError_tPvRmT1_PNSt15iterator_traitsISK_E10value_typeET2_T3_PNSL_ISQ_E10value_typeET4_jRbjT5_SW_jjP12ihipStream_tbEUlT_E1_NS1_11comp_targetILNS1_3genE0ELNS1_11target_archE4294967295ELNS1_3gpuE0ELNS1_3repE0EEENS1_59segmented_radix_sort_warp_sort_small_config_static_selectorELNS0_4arch9wavefront6targetE1EEEvSK_,comdat
.Lfunc_end310:
	.size	_ZN7rocprim17ROCPRIM_400000_NS6detail17trampoline_kernelINS0_14default_configENS1_36segmented_radix_sort_config_selectorIalEEZNS1_25segmented_radix_sort_implIS3_Lb1EPKaPaPKlPlN2at6native12_GLOBAL__N_18offset_tEEE10hipError_tPvRmT1_PNSt15iterator_traitsISK_E10value_typeET2_T3_PNSL_ISQ_E10value_typeET4_jRbjT5_SW_jjP12ihipStream_tbEUlT_E1_NS1_11comp_targetILNS1_3genE0ELNS1_11target_archE4294967295ELNS1_3gpuE0ELNS1_3repE0EEENS1_59segmented_radix_sort_warp_sort_small_config_static_selectorELNS0_4arch9wavefront6targetE1EEEvSK_, .Lfunc_end310-_ZN7rocprim17ROCPRIM_400000_NS6detail17trampoline_kernelINS0_14default_configENS1_36segmented_radix_sort_config_selectorIalEEZNS1_25segmented_radix_sort_implIS3_Lb1EPKaPaPKlPlN2at6native12_GLOBAL__N_18offset_tEEE10hipError_tPvRmT1_PNSt15iterator_traitsISK_E10value_typeET2_T3_PNSL_ISQ_E10value_typeET4_jRbjT5_SW_jjP12ihipStream_tbEUlT_E1_NS1_11comp_targetILNS1_3genE0ELNS1_11target_archE4294967295ELNS1_3gpuE0ELNS1_3repE0EEENS1_59segmented_radix_sort_warp_sort_small_config_static_selectorELNS0_4arch9wavefront6targetE1EEEvSK_
                                        ; -- End function
	.set _ZN7rocprim17ROCPRIM_400000_NS6detail17trampoline_kernelINS0_14default_configENS1_36segmented_radix_sort_config_selectorIalEEZNS1_25segmented_radix_sort_implIS3_Lb1EPKaPaPKlPlN2at6native12_GLOBAL__N_18offset_tEEE10hipError_tPvRmT1_PNSt15iterator_traitsISK_E10value_typeET2_T3_PNSL_ISQ_E10value_typeET4_jRbjT5_SW_jjP12ihipStream_tbEUlT_E1_NS1_11comp_targetILNS1_3genE0ELNS1_11target_archE4294967295ELNS1_3gpuE0ELNS1_3repE0EEENS1_59segmented_radix_sort_warp_sort_small_config_static_selectorELNS0_4arch9wavefront6targetE1EEEvSK_.num_vgpr, 0
	.set _ZN7rocprim17ROCPRIM_400000_NS6detail17trampoline_kernelINS0_14default_configENS1_36segmented_radix_sort_config_selectorIalEEZNS1_25segmented_radix_sort_implIS3_Lb1EPKaPaPKlPlN2at6native12_GLOBAL__N_18offset_tEEE10hipError_tPvRmT1_PNSt15iterator_traitsISK_E10value_typeET2_T3_PNSL_ISQ_E10value_typeET4_jRbjT5_SW_jjP12ihipStream_tbEUlT_E1_NS1_11comp_targetILNS1_3genE0ELNS1_11target_archE4294967295ELNS1_3gpuE0ELNS1_3repE0EEENS1_59segmented_radix_sort_warp_sort_small_config_static_selectorELNS0_4arch9wavefront6targetE1EEEvSK_.num_agpr, 0
	.set _ZN7rocprim17ROCPRIM_400000_NS6detail17trampoline_kernelINS0_14default_configENS1_36segmented_radix_sort_config_selectorIalEEZNS1_25segmented_radix_sort_implIS3_Lb1EPKaPaPKlPlN2at6native12_GLOBAL__N_18offset_tEEE10hipError_tPvRmT1_PNSt15iterator_traitsISK_E10value_typeET2_T3_PNSL_ISQ_E10value_typeET4_jRbjT5_SW_jjP12ihipStream_tbEUlT_E1_NS1_11comp_targetILNS1_3genE0ELNS1_11target_archE4294967295ELNS1_3gpuE0ELNS1_3repE0EEENS1_59segmented_radix_sort_warp_sort_small_config_static_selectorELNS0_4arch9wavefront6targetE1EEEvSK_.numbered_sgpr, 0
	.set _ZN7rocprim17ROCPRIM_400000_NS6detail17trampoline_kernelINS0_14default_configENS1_36segmented_radix_sort_config_selectorIalEEZNS1_25segmented_radix_sort_implIS3_Lb1EPKaPaPKlPlN2at6native12_GLOBAL__N_18offset_tEEE10hipError_tPvRmT1_PNSt15iterator_traitsISK_E10value_typeET2_T3_PNSL_ISQ_E10value_typeET4_jRbjT5_SW_jjP12ihipStream_tbEUlT_E1_NS1_11comp_targetILNS1_3genE0ELNS1_11target_archE4294967295ELNS1_3gpuE0ELNS1_3repE0EEENS1_59segmented_radix_sort_warp_sort_small_config_static_selectorELNS0_4arch9wavefront6targetE1EEEvSK_.num_named_barrier, 0
	.set _ZN7rocprim17ROCPRIM_400000_NS6detail17trampoline_kernelINS0_14default_configENS1_36segmented_radix_sort_config_selectorIalEEZNS1_25segmented_radix_sort_implIS3_Lb1EPKaPaPKlPlN2at6native12_GLOBAL__N_18offset_tEEE10hipError_tPvRmT1_PNSt15iterator_traitsISK_E10value_typeET2_T3_PNSL_ISQ_E10value_typeET4_jRbjT5_SW_jjP12ihipStream_tbEUlT_E1_NS1_11comp_targetILNS1_3genE0ELNS1_11target_archE4294967295ELNS1_3gpuE0ELNS1_3repE0EEENS1_59segmented_radix_sort_warp_sort_small_config_static_selectorELNS0_4arch9wavefront6targetE1EEEvSK_.private_seg_size, 0
	.set _ZN7rocprim17ROCPRIM_400000_NS6detail17trampoline_kernelINS0_14default_configENS1_36segmented_radix_sort_config_selectorIalEEZNS1_25segmented_radix_sort_implIS3_Lb1EPKaPaPKlPlN2at6native12_GLOBAL__N_18offset_tEEE10hipError_tPvRmT1_PNSt15iterator_traitsISK_E10value_typeET2_T3_PNSL_ISQ_E10value_typeET4_jRbjT5_SW_jjP12ihipStream_tbEUlT_E1_NS1_11comp_targetILNS1_3genE0ELNS1_11target_archE4294967295ELNS1_3gpuE0ELNS1_3repE0EEENS1_59segmented_radix_sort_warp_sort_small_config_static_selectorELNS0_4arch9wavefront6targetE1EEEvSK_.uses_vcc, 0
	.set _ZN7rocprim17ROCPRIM_400000_NS6detail17trampoline_kernelINS0_14default_configENS1_36segmented_radix_sort_config_selectorIalEEZNS1_25segmented_radix_sort_implIS3_Lb1EPKaPaPKlPlN2at6native12_GLOBAL__N_18offset_tEEE10hipError_tPvRmT1_PNSt15iterator_traitsISK_E10value_typeET2_T3_PNSL_ISQ_E10value_typeET4_jRbjT5_SW_jjP12ihipStream_tbEUlT_E1_NS1_11comp_targetILNS1_3genE0ELNS1_11target_archE4294967295ELNS1_3gpuE0ELNS1_3repE0EEENS1_59segmented_radix_sort_warp_sort_small_config_static_selectorELNS0_4arch9wavefront6targetE1EEEvSK_.uses_flat_scratch, 0
	.set _ZN7rocprim17ROCPRIM_400000_NS6detail17trampoline_kernelINS0_14default_configENS1_36segmented_radix_sort_config_selectorIalEEZNS1_25segmented_radix_sort_implIS3_Lb1EPKaPaPKlPlN2at6native12_GLOBAL__N_18offset_tEEE10hipError_tPvRmT1_PNSt15iterator_traitsISK_E10value_typeET2_T3_PNSL_ISQ_E10value_typeET4_jRbjT5_SW_jjP12ihipStream_tbEUlT_E1_NS1_11comp_targetILNS1_3genE0ELNS1_11target_archE4294967295ELNS1_3gpuE0ELNS1_3repE0EEENS1_59segmented_radix_sort_warp_sort_small_config_static_selectorELNS0_4arch9wavefront6targetE1EEEvSK_.has_dyn_sized_stack, 0
	.set _ZN7rocprim17ROCPRIM_400000_NS6detail17trampoline_kernelINS0_14default_configENS1_36segmented_radix_sort_config_selectorIalEEZNS1_25segmented_radix_sort_implIS3_Lb1EPKaPaPKlPlN2at6native12_GLOBAL__N_18offset_tEEE10hipError_tPvRmT1_PNSt15iterator_traitsISK_E10value_typeET2_T3_PNSL_ISQ_E10value_typeET4_jRbjT5_SW_jjP12ihipStream_tbEUlT_E1_NS1_11comp_targetILNS1_3genE0ELNS1_11target_archE4294967295ELNS1_3gpuE0ELNS1_3repE0EEENS1_59segmented_radix_sort_warp_sort_small_config_static_selectorELNS0_4arch9wavefront6targetE1EEEvSK_.has_recursion, 0
	.set _ZN7rocprim17ROCPRIM_400000_NS6detail17trampoline_kernelINS0_14default_configENS1_36segmented_radix_sort_config_selectorIalEEZNS1_25segmented_radix_sort_implIS3_Lb1EPKaPaPKlPlN2at6native12_GLOBAL__N_18offset_tEEE10hipError_tPvRmT1_PNSt15iterator_traitsISK_E10value_typeET2_T3_PNSL_ISQ_E10value_typeET4_jRbjT5_SW_jjP12ihipStream_tbEUlT_E1_NS1_11comp_targetILNS1_3genE0ELNS1_11target_archE4294967295ELNS1_3gpuE0ELNS1_3repE0EEENS1_59segmented_radix_sort_warp_sort_small_config_static_selectorELNS0_4arch9wavefront6targetE1EEEvSK_.has_indirect_call, 0
	.section	.AMDGPU.csdata,"",@progbits
; Kernel info:
; codeLenInByte = 0
; TotalNumSgprs: 4
; NumVgprs: 0
; ScratchSize: 0
; MemoryBound: 0
; FloatMode: 240
; IeeeMode: 1
; LDSByteSize: 0 bytes/workgroup (compile time only)
; SGPRBlocks: 0
; VGPRBlocks: 0
; NumSGPRsForWavesPerEU: 4
; NumVGPRsForWavesPerEU: 1
; Occupancy: 10
; WaveLimiterHint : 0
; COMPUTE_PGM_RSRC2:SCRATCH_EN: 0
; COMPUTE_PGM_RSRC2:USER_SGPR: 6
; COMPUTE_PGM_RSRC2:TRAP_HANDLER: 0
; COMPUTE_PGM_RSRC2:TGID_X_EN: 1
; COMPUTE_PGM_RSRC2:TGID_Y_EN: 0
; COMPUTE_PGM_RSRC2:TGID_Z_EN: 0
; COMPUTE_PGM_RSRC2:TIDIG_COMP_CNT: 0
	.section	.text._ZN7rocprim17ROCPRIM_400000_NS6detail17trampoline_kernelINS0_14default_configENS1_36segmented_radix_sort_config_selectorIalEEZNS1_25segmented_radix_sort_implIS3_Lb1EPKaPaPKlPlN2at6native12_GLOBAL__N_18offset_tEEE10hipError_tPvRmT1_PNSt15iterator_traitsISK_E10value_typeET2_T3_PNSL_ISQ_E10value_typeET4_jRbjT5_SW_jjP12ihipStream_tbEUlT_E1_NS1_11comp_targetILNS1_3genE5ELNS1_11target_archE942ELNS1_3gpuE9ELNS1_3repE0EEENS1_59segmented_radix_sort_warp_sort_small_config_static_selectorELNS0_4arch9wavefront6targetE1EEEvSK_,"axG",@progbits,_ZN7rocprim17ROCPRIM_400000_NS6detail17trampoline_kernelINS0_14default_configENS1_36segmented_radix_sort_config_selectorIalEEZNS1_25segmented_radix_sort_implIS3_Lb1EPKaPaPKlPlN2at6native12_GLOBAL__N_18offset_tEEE10hipError_tPvRmT1_PNSt15iterator_traitsISK_E10value_typeET2_T3_PNSL_ISQ_E10value_typeET4_jRbjT5_SW_jjP12ihipStream_tbEUlT_E1_NS1_11comp_targetILNS1_3genE5ELNS1_11target_archE942ELNS1_3gpuE9ELNS1_3repE0EEENS1_59segmented_radix_sort_warp_sort_small_config_static_selectorELNS0_4arch9wavefront6targetE1EEEvSK_,comdat
	.globl	_ZN7rocprim17ROCPRIM_400000_NS6detail17trampoline_kernelINS0_14default_configENS1_36segmented_radix_sort_config_selectorIalEEZNS1_25segmented_radix_sort_implIS3_Lb1EPKaPaPKlPlN2at6native12_GLOBAL__N_18offset_tEEE10hipError_tPvRmT1_PNSt15iterator_traitsISK_E10value_typeET2_T3_PNSL_ISQ_E10value_typeET4_jRbjT5_SW_jjP12ihipStream_tbEUlT_E1_NS1_11comp_targetILNS1_3genE5ELNS1_11target_archE942ELNS1_3gpuE9ELNS1_3repE0EEENS1_59segmented_radix_sort_warp_sort_small_config_static_selectorELNS0_4arch9wavefront6targetE1EEEvSK_ ; -- Begin function _ZN7rocprim17ROCPRIM_400000_NS6detail17trampoline_kernelINS0_14default_configENS1_36segmented_radix_sort_config_selectorIalEEZNS1_25segmented_radix_sort_implIS3_Lb1EPKaPaPKlPlN2at6native12_GLOBAL__N_18offset_tEEE10hipError_tPvRmT1_PNSt15iterator_traitsISK_E10value_typeET2_T3_PNSL_ISQ_E10value_typeET4_jRbjT5_SW_jjP12ihipStream_tbEUlT_E1_NS1_11comp_targetILNS1_3genE5ELNS1_11target_archE942ELNS1_3gpuE9ELNS1_3repE0EEENS1_59segmented_radix_sort_warp_sort_small_config_static_selectorELNS0_4arch9wavefront6targetE1EEEvSK_
	.p2align	8
	.type	_ZN7rocprim17ROCPRIM_400000_NS6detail17trampoline_kernelINS0_14default_configENS1_36segmented_radix_sort_config_selectorIalEEZNS1_25segmented_radix_sort_implIS3_Lb1EPKaPaPKlPlN2at6native12_GLOBAL__N_18offset_tEEE10hipError_tPvRmT1_PNSt15iterator_traitsISK_E10value_typeET2_T3_PNSL_ISQ_E10value_typeET4_jRbjT5_SW_jjP12ihipStream_tbEUlT_E1_NS1_11comp_targetILNS1_3genE5ELNS1_11target_archE942ELNS1_3gpuE9ELNS1_3repE0EEENS1_59segmented_radix_sort_warp_sort_small_config_static_selectorELNS0_4arch9wavefront6targetE1EEEvSK_,@function
_ZN7rocprim17ROCPRIM_400000_NS6detail17trampoline_kernelINS0_14default_configENS1_36segmented_radix_sort_config_selectorIalEEZNS1_25segmented_radix_sort_implIS3_Lb1EPKaPaPKlPlN2at6native12_GLOBAL__N_18offset_tEEE10hipError_tPvRmT1_PNSt15iterator_traitsISK_E10value_typeET2_T3_PNSL_ISQ_E10value_typeET4_jRbjT5_SW_jjP12ihipStream_tbEUlT_E1_NS1_11comp_targetILNS1_3genE5ELNS1_11target_archE942ELNS1_3gpuE9ELNS1_3repE0EEENS1_59segmented_radix_sort_warp_sort_small_config_static_selectorELNS0_4arch9wavefront6targetE1EEEvSK_: ; @_ZN7rocprim17ROCPRIM_400000_NS6detail17trampoline_kernelINS0_14default_configENS1_36segmented_radix_sort_config_selectorIalEEZNS1_25segmented_radix_sort_implIS3_Lb1EPKaPaPKlPlN2at6native12_GLOBAL__N_18offset_tEEE10hipError_tPvRmT1_PNSt15iterator_traitsISK_E10value_typeET2_T3_PNSL_ISQ_E10value_typeET4_jRbjT5_SW_jjP12ihipStream_tbEUlT_E1_NS1_11comp_targetILNS1_3genE5ELNS1_11target_archE942ELNS1_3gpuE9ELNS1_3repE0EEENS1_59segmented_radix_sort_warp_sort_small_config_static_selectorELNS0_4arch9wavefront6targetE1EEEvSK_
; %bb.0:
	.section	.rodata,"a",@progbits
	.p2align	6, 0x0
	.amdhsa_kernel _ZN7rocprim17ROCPRIM_400000_NS6detail17trampoline_kernelINS0_14default_configENS1_36segmented_radix_sort_config_selectorIalEEZNS1_25segmented_radix_sort_implIS3_Lb1EPKaPaPKlPlN2at6native12_GLOBAL__N_18offset_tEEE10hipError_tPvRmT1_PNSt15iterator_traitsISK_E10value_typeET2_T3_PNSL_ISQ_E10value_typeET4_jRbjT5_SW_jjP12ihipStream_tbEUlT_E1_NS1_11comp_targetILNS1_3genE5ELNS1_11target_archE942ELNS1_3gpuE9ELNS1_3repE0EEENS1_59segmented_radix_sort_warp_sort_small_config_static_selectorELNS0_4arch9wavefront6targetE1EEEvSK_
		.amdhsa_group_segment_fixed_size 0
		.amdhsa_private_segment_fixed_size 0
		.amdhsa_kernarg_size 88
		.amdhsa_user_sgpr_count 6
		.amdhsa_user_sgpr_private_segment_buffer 1
		.amdhsa_user_sgpr_dispatch_ptr 0
		.amdhsa_user_sgpr_queue_ptr 0
		.amdhsa_user_sgpr_kernarg_segment_ptr 1
		.amdhsa_user_sgpr_dispatch_id 0
		.amdhsa_user_sgpr_flat_scratch_init 0
		.amdhsa_user_sgpr_private_segment_size 0
		.amdhsa_uses_dynamic_stack 0
		.amdhsa_system_sgpr_private_segment_wavefront_offset 0
		.amdhsa_system_sgpr_workgroup_id_x 1
		.amdhsa_system_sgpr_workgroup_id_y 0
		.amdhsa_system_sgpr_workgroup_id_z 0
		.amdhsa_system_sgpr_workgroup_info 0
		.amdhsa_system_vgpr_workitem_id 0
		.amdhsa_next_free_vgpr 1
		.amdhsa_next_free_sgpr 0
		.amdhsa_reserve_vcc 0
		.amdhsa_reserve_flat_scratch 0
		.amdhsa_float_round_mode_32 0
		.amdhsa_float_round_mode_16_64 0
		.amdhsa_float_denorm_mode_32 3
		.amdhsa_float_denorm_mode_16_64 3
		.amdhsa_dx10_clamp 1
		.amdhsa_ieee_mode 1
		.amdhsa_fp16_overflow 0
		.amdhsa_exception_fp_ieee_invalid_op 0
		.amdhsa_exception_fp_denorm_src 0
		.amdhsa_exception_fp_ieee_div_zero 0
		.amdhsa_exception_fp_ieee_overflow 0
		.amdhsa_exception_fp_ieee_underflow 0
		.amdhsa_exception_fp_ieee_inexact 0
		.amdhsa_exception_int_div_zero 0
	.end_amdhsa_kernel
	.section	.text._ZN7rocprim17ROCPRIM_400000_NS6detail17trampoline_kernelINS0_14default_configENS1_36segmented_radix_sort_config_selectorIalEEZNS1_25segmented_radix_sort_implIS3_Lb1EPKaPaPKlPlN2at6native12_GLOBAL__N_18offset_tEEE10hipError_tPvRmT1_PNSt15iterator_traitsISK_E10value_typeET2_T3_PNSL_ISQ_E10value_typeET4_jRbjT5_SW_jjP12ihipStream_tbEUlT_E1_NS1_11comp_targetILNS1_3genE5ELNS1_11target_archE942ELNS1_3gpuE9ELNS1_3repE0EEENS1_59segmented_radix_sort_warp_sort_small_config_static_selectorELNS0_4arch9wavefront6targetE1EEEvSK_,"axG",@progbits,_ZN7rocprim17ROCPRIM_400000_NS6detail17trampoline_kernelINS0_14default_configENS1_36segmented_radix_sort_config_selectorIalEEZNS1_25segmented_radix_sort_implIS3_Lb1EPKaPaPKlPlN2at6native12_GLOBAL__N_18offset_tEEE10hipError_tPvRmT1_PNSt15iterator_traitsISK_E10value_typeET2_T3_PNSL_ISQ_E10value_typeET4_jRbjT5_SW_jjP12ihipStream_tbEUlT_E1_NS1_11comp_targetILNS1_3genE5ELNS1_11target_archE942ELNS1_3gpuE9ELNS1_3repE0EEENS1_59segmented_radix_sort_warp_sort_small_config_static_selectorELNS0_4arch9wavefront6targetE1EEEvSK_,comdat
.Lfunc_end311:
	.size	_ZN7rocprim17ROCPRIM_400000_NS6detail17trampoline_kernelINS0_14default_configENS1_36segmented_radix_sort_config_selectorIalEEZNS1_25segmented_radix_sort_implIS3_Lb1EPKaPaPKlPlN2at6native12_GLOBAL__N_18offset_tEEE10hipError_tPvRmT1_PNSt15iterator_traitsISK_E10value_typeET2_T3_PNSL_ISQ_E10value_typeET4_jRbjT5_SW_jjP12ihipStream_tbEUlT_E1_NS1_11comp_targetILNS1_3genE5ELNS1_11target_archE942ELNS1_3gpuE9ELNS1_3repE0EEENS1_59segmented_radix_sort_warp_sort_small_config_static_selectorELNS0_4arch9wavefront6targetE1EEEvSK_, .Lfunc_end311-_ZN7rocprim17ROCPRIM_400000_NS6detail17trampoline_kernelINS0_14default_configENS1_36segmented_radix_sort_config_selectorIalEEZNS1_25segmented_radix_sort_implIS3_Lb1EPKaPaPKlPlN2at6native12_GLOBAL__N_18offset_tEEE10hipError_tPvRmT1_PNSt15iterator_traitsISK_E10value_typeET2_T3_PNSL_ISQ_E10value_typeET4_jRbjT5_SW_jjP12ihipStream_tbEUlT_E1_NS1_11comp_targetILNS1_3genE5ELNS1_11target_archE942ELNS1_3gpuE9ELNS1_3repE0EEENS1_59segmented_radix_sort_warp_sort_small_config_static_selectorELNS0_4arch9wavefront6targetE1EEEvSK_
                                        ; -- End function
	.set _ZN7rocprim17ROCPRIM_400000_NS6detail17trampoline_kernelINS0_14default_configENS1_36segmented_radix_sort_config_selectorIalEEZNS1_25segmented_radix_sort_implIS3_Lb1EPKaPaPKlPlN2at6native12_GLOBAL__N_18offset_tEEE10hipError_tPvRmT1_PNSt15iterator_traitsISK_E10value_typeET2_T3_PNSL_ISQ_E10value_typeET4_jRbjT5_SW_jjP12ihipStream_tbEUlT_E1_NS1_11comp_targetILNS1_3genE5ELNS1_11target_archE942ELNS1_3gpuE9ELNS1_3repE0EEENS1_59segmented_radix_sort_warp_sort_small_config_static_selectorELNS0_4arch9wavefront6targetE1EEEvSK_.num_vgpr, 0
	.set _ZN7rocprim17ROCPRIM_400000_NS6detail17trampoline_kernelINS0_14default_configENS1_36segmented_radix_sort_config_selectorIalEEZNS1_25segmented_radix_sort_implIS3_Lb1EPKaPaPKlPlN2at6native12_GLOBAL__N_18offset_tEEE10hipError_tPvRmT1_PNSt15iterator_traitsISK_E10value_typeET2_T3_PNSL_ISQ_E10value_typeET4_jRbjT5_SW_jjP12ihipStream_tbEUlT_E1_NS1_11comp_targetILNS1_3genE5ELNS1_11target_archE942ELNS1_3gpuE9ELNS1_3repE0EEENS1_59segmented_radix_sort_warp_sort_small_config_static_selectorELNS0_4arch9wavefront6targetE1EEEvSK_.num_agpr, 0
	.set _ZN7rocprim17ROCPRIM_400000_NS6detail17trampoline_kernelINS0_14default_configENS1_36segmented_radix_sort_config_selectorIalEEZNS1_25segmented_radix_sort_implIS3_Lb1EPKaPaPKlPlN2at6native12_GLOBAL__N_18offset_tEEE10hipError_tPvRmT1_PNSt15iterator_traitsISK_E10value_typeET2_T3_PNSL_ISQ_E10value_typeET4_jRbjT5_SW_jjP12ihipStream_tbEUlT_E1_NS1_11comp_targetILNS1_3genE5ELNS1_11target_archE942ELNS1_3gpuE9ELNS1_3repE0EEENS1_59segmented_radix_sort_warp_sort_small_config_static_selectorELNS0_4arch9wavefront6targetE1EEEvSK_.numbered_sgpr, 0
	.set _ZN7rocprim17ROCPRIM_400000_NS6detail17trampoline_kernelINS0_14default_configENS1_36segmented_radix_sort_config_selectorIalEEZNS1_25segmented_radix_sort_implIS3_Lb1EPKaPaPKlPlN2at6native12_GLOBAL__N_18offset_tEEE10hipError_tPvRmT1_PNSt15iterator_traitsISK_E10value_typeET2_T3_PNSL_ISQ_E10value_typeET4_jRbjT5_SW_jjP12ihipStream_tbEUlT_E1_NS1_11comp_targetILNS1_3genE5ELNS1_11target_archE942ELNS1_3gpuE9ELNS1_3repE0EEENS1_59segmented_radix_sort_warp_sort_small_config_static_selectorELNS0_4arch9wavefront6targetE1EEEvSK_.num_named_barrier, 0
	.set _ZN7rocprim17ROCPRIM_400000_NS6detail17trampoline_kernelINS0_14default_configENS1_36segmented_radix_sort_config_selectorIalEEZNS1_25segmented_radix_sort_implIS3_Lb1EPKaPaPKlPlN2at6native12_GLOBAL__N_18offset_tEEE10hipError_tPvRmT1_PNSt15iterator_traitsISK_E10value_typeET2_T3_PNSL_ISQ_E10value_typeET4_jRbjT5_SW_jjP12ihipStream_tbEUlT_E1_NS1_11comp_targetILNS1_3genE5ELNS1_11target_archE942ELNS1_3gpuE9ELNS1_3repE0EEENS1_59segmented_radix_sort_warp_sort_small_config_static_selectorELNS0_4arch9wavefront6targetE1EEEvSK_.private_seg_size, 0
	.set _ZN7rocprim17ROCPRIM_400000_NS6detail17trampoline_kernelINS0_14default_configENS1_36segmented_radix_sort_config_selectorIalEEZNS1_25segmented_radix_sort_implIS3_Lb1EPKaPaPKlPlN2at6native12_GLOBAL__N_18offset_tEEE10hipError_tPvRmT1_PNSt15iterator_traitsISK_E10value_typeET2_T3_PNSL_ISQ_E10value_typeET4_jRbjT5_SW_jjP12ihipStream_tbEUlT_E1_NS1_11comp_targetILNS1_3genE5ELNS1_11target_archE942ELNS1_3gpuE9ELNS1_3repE0EEENS1_59segmented_radix_sort_warp_sort_small_config_static_selectorELNS0_4arch9wavefront6targetE1EEEvSK_.uses_vcc, 0
	.set _ZN7rocprim17ROCPRIM_400000_NS6detail17trampoline_kernelINS0_14default_configENS1_36segmented_radix_sort_config_selectorIalEEZNS1_25segmented_radix_sort_implIS3_Lb1EPKaPaPKlPlN2at6native12_GLOBAL__N_18offset_tEEE10hipError_tPvRmT1_PNSt15iterator_traitsISK_E10value_typeET2_T3_PNSL_ISQ_E10value_typeET4_jRbjT5_SW_jjP12ihipStream_tbEUlT_E1_NS1_11comp_targetILNS1_3genE5ELNS1_11target_archE942ELNS1_3gpuE9ELNS1_3repE0EEENS1_59segmented_radix_sort_warp_sort_small_config_static_selectorELNS0_4arch9wavefront6targetE1EEEvSK_.uses_flat_scratch, 0
	.set _ZN7rocprim17ROCPRIM_400000_NS6detail17trampoline_kernelINS0_14default_configENS1_36segmented_radix_sort_config_selectorIalEEZNS1_25segmented_radix_sort_implIS3_Lb1EPKaPaPKlPlN2at6native12_GLOBAL__N_18offset_tEEE10hipError_tPvRmT1_PNSt15iterator_traitsISK_E10value_typeET2_T3_PNSL_ISQ_E10value_typeET4_jRbjT5_SW_jjP12ihipStream_tbEUlT_E1_NS1_11comp_targetILNS1_3genE5ELNS1_11target_archE942ELNS1_3gpuE9ELNS1_3repE0EEENS1_59segmented_radix_sort_warp_sort_small_config_static_selectorELNS0_4arch9wavefront6targetE1EEEvSK_.has_dyn_sized_stack, 0
	.set _ZN7rocprim17ROCPRIM_400000_NS6detail17trampoline_kernelINS0_14default_configENS1_36segmented_radix_sort_config_selectorIalEEZNS1_25segmented_radix_sort_implIS3_Lb1EPKaPaPKlPlN2at6native12_GLOBAL__N_18offset_tEEE10hipError_tPvRmT1_PNSt15iterator_traitsISK_E10value_typeET2_T3_PNSL_ISQ_E10value_typeET4_jRbjT5_SW_jjP12ihipStream_tbEUlT_E1_NS1_11comp_targetILNS1_3genE5ELNS1_11target_archE942ELNS1_3gpuE9ELNS1_3repE0EEENS1_59segmented_radix_sort_warp_sort_small_config_static_selectorELNS0_4arch9wavefront6targetE1EEEvSK_.has_recursion, 0
	.set _ZN7rocprim17ROCPRIM_400000_NS6detail17trampoline_kernelINS0_14default_configENS1_36segmented_radix_sort_config_selectorIalEEZNS1_25segmented_radix_sort_implIS3_Lb1EPKaPaPKlPlN2at6native12_GLOBAL__N_18offset_tEEE10hipError_tPvRmT1_PNSt15iterator_traitsISK_E10value_typeET2_T3_PNSL_ISQ_E10value_typeET4_jRbjT5_SW_jjP12ihipStream_tbEUlT_E1_NS1_11comp_targetILNS1_3genE5ELNS1_11target_archE942ELNS1_3gpuE9ELNS1_3repE0EEENS1_59segmented_radix_sort_warp_sort_small_config_static_selectorELNS0_4arch9wavefront6targetE1EEEvSK_.has_indirect_call, 0
	.section	.AMDGPU.csdata,"",@progbits
; Kernel info:
; codeLenInByte = 0
; TotalNumSgprs: 4
; NumVgprs: 0
; ScratchSize: 0
; MemoryBound: 0
; FloatMode: 240
; IeeeMode: 1
; LDSByteSize: 0 bytes/workgroup (compile time only)
; SGPRBlocks: 0
; VGPRBlocks: 0
; NumSGPRsForWavesPerEU: 4
; NumVGPRsForWavesPerEU: 1
; Occupancy: 10
; WaveLimiterHint : 0
; COMPUTE_PGM_RSRC2:SCRATCH_EN: 0
; COMPUTE_PGM_RSRC2:USER_SGPR: 6
; COMPUTE_PGM_RSRC2:TRAP_HANDLER: 0
; COMPUTE_PGM_RSRC2:TGID_X_EN: 1
; COMPUTE_PGM_RSRC2:TGID_Y_EN: 0
; COMPUTE_PGM_RSRC2:TGID_Z_EN: 0
; COMPUTE_PGM_RSRC2:TIDIG_COMP_CNT: 0
	.section	.text._ZN7rocprim17ROCPRIM_400000_NS6detail17trampoline_kernelINS0_14default_configENS1_36segmented_radix_sort_config_selectorIalEEZNS1_25segmented_radix_sort_implIS3_Lb1EPKaPaPKlPlN2at6native12_GLOBAL__N_18offset_tEEE10hipError_tPvRmT1_PNSt15iterator_traitsISK_E10value_typeET2_T3_PNSL_ISQ_E10value_typeET4_jRbjT5_SW_jjP12ihipStream_tbEUlT_E1_NS1_11comp_targetILNS1_3genE4ELNS1_11target_archE910ELNS1_3gpuE8ELNS1_3repE0EEENS1_59segmented_radix_sort_warp_sort_small_config_static_selectorELNS0_4arch9wavefront6targetE1EEEvSK_,"axG",@progbits,_ZN7rocprim17ROCPRIM_400000_NS6detail17trampoline_kernelINS0_14default_configENS1_36segmented_radix_sort_config_selectorIalEEZNS1_25segmented_radix_sort_implIS3_Lb1EPKaPaPKlPlN2at6native12_GLOBAL__N_18offset_tEEE10hipError_tPvRmT1_PNSt15iterator_traitsISK_E10value_typeET2_T3_PNSL_ISQ_E10value_typeET4_jRbjT5_SW_jjP12ihipStream_tbEUlT_E1_NS1_11comp_targetILNS1_3genE4ELNS1_11target_archE910ELNS1_3gpuE8ELNS1_3repE0EEENS1_59segmented_radix_sort_warp_sort_small_config_static_selectorELNS0_4arch9wavefront6targetE1EEEvSK_,comdat
	.globl	_ZN7rocprim17ROCPRIM_400000_NS6detail17trampoline_kernelINS0_14default_configENS1_36segmented_radix_sort_config_selectorIalEEZNS1_25segmented_radix_sort_implIS3_Lb1EPKaPaPKlPlN2at6native12_GLOBAL__N_18offset_tEEE10hipError_tPvRmT1_PNSt15iterator_traitsISK_E10value_typeET2_T3_PNSL_ISQ_E10value_typeET4_jRbjT5_SW_jjP12ihipStream_tbEUlT_E1_NS1_11comp_targetILNS1_3genE4ELNS1_11target_archE910ELNS1_3gpuE8ELNS1_3repE0EEENS1_59segmented_radix_sort_warp_sort_small_config_static_selectorELNS0_4arch9wavefront6targetE1EEEvSK_ ; -- Begin function _ZN7rocprim17ROCPRIM_400000_NS6detail17trampoline_kernelINS0_14default_configENS1_36segmented_radix_sort_config_selectorIalEEZNS1_25segmented_radix_sort_implIS3_Lb1EPKaPaPKlPlN2at6native12_GLOBAL__N_18offset_tEEE10hipError_tPvRmT1_PNSt15iterator_traitsISK_E10value_typeET2_T3_PNSL_ISQ_E10value_typeET4_jRbjT5_SW_jjP12ihipStream_tbEUlT_E1_NS1_11comp_targetILNS1_3genE4ELNS1_11target_archE910ELNS1_3gpuE8ELNS1_3repE0EEENS1_59segmented_radix_sort_warp_sort_small_config_static_selectorELNS0_4arch9wavefront6targetE1EEEvSK_
	.p2align	8
	.type	_ZN7rocprim17ROCPRIM_400000_NS6detail17trampoline_kernelINS0_14default_configENS1_36segmented_radix_sort_config_selectorIalEEZNS1_25segmented_radix_sort_implIS3_Lb1EPKaPaPKlPlN2at6native12_GLOBAL__N_18offset_tEEE10hipError_tPvRmT1_PNSt15iterator_traitsISK_E10value_typeET2_T3_PNSL_ISQ_E10value_typeET4_jRbjT5_SW_jjP12ihipStream_tbEUlT_E1_NS1_11comp_targetILNS1_3genE4ELNS1_11target_archE910ELNS1_3gpuE8ELNS1_3repE0EEENS1_59segmented_radix_sort_warp_sort_small_config_static_selectorELNS0_4arch9wavefront6targetE1EEEvSK_,@function
_ZN7rocprim17ROCPRIM_400000_NS6detail17trampoline_kernelINS0_14default_configENS1_36segmented_radix_sort_config_selectorIalEEZNS1_25segmented_radix_sort_implIS3_Lb1EPKaPaPKlPlN2at6native12_GLOBAL__N_18offset_tEEE10hipError_tPvRmT1_PNSt15iterator_traitsISK_E10value_typeET2_T3_PNSL_ISQ_E10value_typeET4_jRbjT5_SW_jjP12ihipStream_tbEUlT_E1_NS1_11comp_targetILNS1_3genE4ELNS1_11target_archE910ELNS1_3gpuE8ELNS1_3repE0EEENS1_59segmented_radix_sort_warp_sort_small_config_static_selectorELNS0_4arch9wavefront6targetE1EEEvSK_: ; @_ZN7rocprim17ROCPRIM_400000_NS6detail17trampoline_kernelINS0_14default_configENS1_36segmented_radix_sort_config_selectorIalEEZNS1_25segmented_radix_sort_implIS3_Lb1EPKaPaPKlPlN2at6native12_GLOBAL__N_18offset_tEEE10hipError_tPvRmT1_PNSt15iterator_traitsISK_E10value_typeET2_T3_PNSL_ISQ_E10value_typeET4_jRbjT5_SW_jjP12ihipStream_tbEUlT_E1_NS1_11comp_targetILNS1_3genE4ELNS1_11target_archE910ELNS1_3gpuE8ELNS1_3repE0EEENS1_59segmented_radix_sort_warp_sort_small_config_static_selectorELNS0_4arch9wavefront6targetE1EEEvSK_
; %bb.0:
	.section	.rodata,"a",@progbits
	.p2align	6, 0x0
	.amdhsa_kernel _ZN7rocprim17ROCPRIM_400000_NS6detail17trampoline_kernelINS0_14default_configENS1_36segmented_radix_sort_config_selectorIalEEZNS1_25segmented_radix_sort_implIS3_Lb1EPKaPaPKlPlN2at6native12_GLOBAL__N_18offset_tEEE10hipError_tPvRmT1_PNSt15iterator_traitsISK_E10value_typeET2_T3_PNSL_ISQ_E10value_typeET4_jRbjT5_SW_jjP12ihipStream_tbEUlT_E1_NS1_11comp_targetILNS1_3genE4ELNS1_11target_archE910ELNS1_3gpuE8ELNS1_3repE0EEENS1_59segmented_radix_sort_warp_sort_small_config_static_selectorELNS0_4arch9wavefront6targetE1EEEvSK_
		.amdhsa_group_segment_fixed_size 0
		.amdhsa_private_segment_fixed_size 0
		.amdhsa_kernarg_size 88
		.amdhsa_user_sgpr_count 6
		.amdhsa_user_sgpr_private_segment_buffer 1
		.amdhsa_user_sgpr_dispatch_ptr 0
		.amdhsa_user_sgpr_queue_ptr 0
		.amdhsa_user_sgpr_kernarg_segment_ptr 1
		.amdhsa_user_sgpr_dispatch_id 0
		.amdhsa_user_sgpr_flat_scratch_init 0
		.amdhsa_user_sgpr_private_segment_size 0
		.amdhsa_uses_dynamic_stack 0
		.amdhsa_system_sgpr_private_segment_wavefront_offset 0
		.amdhsa_system_sgpr_workgroup_id_x 1
		.amdhsa_system_sgpr_workgroup_id_y 0
		.amdhsa_system_sgpr_workgroup_id_z 0
		.amdhsa_system_sgpr_workgroup_info 0
		.amdhsa_system_vgpr_workitem_id 0
		.amdhsa_next_free_vgpr 1
		.amdhsa_next_free_sgpr 0
		.amdhsa_reserve_vcc 0
		.amdhsa_reserve_flat_scratch 0
		.amdhsa_float_round_mode_32 0
		.amdhsa_float_round_mode_16_64 0
		.amdhsa_float_denorm_mode_32 3
		.amdhsa_float_denorm_mode_16_64 3
		.amdhsa_dx10_clamp 1
		.amdhsa_ieee_mode 1
		.amdhsa_fp16_overflow 0
		.amdhsa_exception_fp_ieee_invalid_op 0
		.amdhsa_exception_fp_denorm_src 0
		.amdhsa_exception_fp_ieee_div_zero 0
		.amdhsa_exception_fp_ieee_overflow 0
		.amdhsa_exception_fp_ieee_underflow 0
		.amdhsa_exception_fp_ieee_inexact 0
		.amdhsa_exception_int_div_zero 0
	.end_amdhsa_kernel
	.section	.text._ZN7rocprim17ROCPRIM_400000_NS6detail17trampoline_kernelINS0_14default_configENS1_36segmented_radix_sort_config_selectorIalEEZNS1_25segmented_radix_sort_implIS3_Lb1EPKaPaPKlPlN2at6native12_GLOBAL__N_18offset_tEEE10hipError_tPvRmT1_PNSt15iterator_traitsISK_E10value_typeET2_T3_PNSL_ISQ_E10value_typeET4_jRbjT5_SW_jjP12ihipStream_tbEUlT_E1_NS1_11comp_targetILNS1_3genE4ELNS1_11target_archE910ELNS1_3gpuE8ELNS1_3repE0EEENS1_59segmented_radix_sort_warp_sort_small_config_static_selectorELNS0_4arch9wavefront6targetE1EEEvSK_,"axG",@progbits,_ZN7rocprim17ROCPRIM_400000_NS6detail17trampoline_kernelINS0_14default_configENS1_36segmented_radix_sort_config_selectorIalEEZNS1_25segmented_radix_sort_implIS3_Lb1EPKaPaPKlPlN2at6native12_GLOBAL__N_18offset_tEEE10hipError_tPvRmT1_PNSt15iterator_traitsISK_E10value_typeET2_T3_PNSL_ISQ_E10value_typeET4_jRbjT5_SW_jjP12ihipStream_tbEUlT_E1_NS1_11comp_targetILNS1_3genE4ELNS1_11target_archE910ELNS1_3gpuE8ELNS1_3repE0EEENS1_59segmented_radix_sort_warp_sort_small_config_static_selectorELNS0_4arch9wavefront6targetE1EEEvSK_,comdat
.Lfunc_end312:
	.size	_ZN7rocprim17ROCPRIM_400000_NS6detail17trampoline_kernelINS0_14default_configENS1_36segmented_radix_sort_config_selectorIalEEZNS1_25segmented_radix_sort_implIS3_Lb1EPKaPaPKlPlN2at6native12_GLOBAL__N_18offset_tEEE10hipError_tPvRmT1_PNSt15iterator_traitsISK_E10value_typeET2_T3_PNSL_ISQ_E10value_typeET4_jRbjT5_SW_jjP12ihipStream_tbEUlT_E1_NS1_11comp_targetILNS1_3genE4ELNS1_11target_archE910ELNS1_3gpuE8ELNS1_3repE0EEENS1_59segmented_radix_sort_warp_sort_small_config_static_selectorELNS0_4arch9wavefront6targetE1EEEvSK_, .Lfunc_end312-_ZN7rocprim17ROCPRIM_400000_NS6detail17trampoline_kernelINS0_14default_configENS1_36segmented_radix_sort_config_selectorIalEEZNS1_25segmented_radix_sort_implIS3_Lb1EPKaPaPKlPlN2at6native12_GLOBAL__N_18offset_tEEE10hipError_tPvRmT1_PNSt15iterator_traitsISK_E10value_typeET2_T3_PNSL_ISQ_E10value_typeET4_jRbjT5_SW_jjP12ihipStream_tbEUlT_E1_NS1_11comp_targetILNS1_3genE4ELNS1_11target_archE910ELNS1_3gpuE8ELNS1_3repE0EEENS1_59segmented_radix_sort_warp_sort_small_config_static_selectorELNS0_4arch9wavefront6targetE1EEEvSK_
                                        ; -- End function
	.set _ZN7rocprim17ROCPRIM_400000_NS6detail17trampoline_kernelINS0_14default_configENS1_36segmented_radix_sort_config_selectorIalEEZNS1_25segmented_radix_sort_implIS3_Lb1EPKaPaPKlPlN2at6native12_GLOBAL__N_18offset_tEEE10hipError_tPvRmT1_PNSt15iterator_traitsISK_E10value_typeET2_T3_PNSL_ISQ_E10value_typeET4_jRbjT5_SW_jjP12ihipStream_tbEUlT_E1_NS1_11comp_targetILNS1_3genE4ELNS1_11target_archE910ELNS1_3gpuE8ELNS1_3repE0EEENS1_59segmented_radix_sort_warp_sort_small_config_static_selectorELNS0_4arch9wavefront6targetE1EEEvSK_.num_vgpr, 0
	.set _ZN7rocprim17ROCPRIM_400000_NS6detail17trampoline_kernelINS0_14default_configENS1_36segmented_radix_sort_config_selectorIalEEZNS1_25segmented_radix_sort_implIS3_Lb1EPKaPaPKlPlN2at6native12_GLOBAL__N_18offset_tEEE10hipError_tPvRmT1_PNSt15iterator_traitsISK_E10value_typeET2_T3_PNSL_ISQ_E10value_typeET4_jRbjT5_SW_jjP12ihipStream_tbEUlT_E1_NS1_11comp_targetILNS1_3genE4ELNS1_11target_archE910ELNS1_3gpuE8ELNS1_3repE0EEENS1_59segmented_radix_sort_warp_sort_small_config_static_selectorELNS0_4arch9wavefront6targetE1EEEvSK_.num_agpr, 0
	.set _ZN7rocprim17ROCPRIM_400000_NS6detail17trampoline_kernelINS0_14default_configENS1_36segmented_radix_sort_config_selectorIalEEZNS1_25segmented_radix_sort_implIS3_Lb1EPKaPaPKlPlN2at6native12_GLOBAL__N_18offset_tEEE10hipError_tPvRmT1_PNSt15iterator_traitsISK_E10value_typeET2_T3_PNSL_ISQ_E10value_typeET4_jRbjT5_SW_jjP12ihipStream_tbEUlT_E1_NS1_11comp_targetILNS1_3genE4ELNS1_11target_archE910ELNS1_3gpuE8ELNS1_3repE0EEENS1_59segmented_radix_sort_warp_sort_small_config_static_selectorELNS0_4arch9wavefront6targetE1EEEvSK_.numbered_sgpr, 0
	.set _ZN7rocprim17ROCPRIM_400000_NS6detail17trampoline_kernelINS0_14default_configENS1_36segmented_radix_sort_config_selectorIalEEZNS1_25segmented_radix_sort_implIS3_Lb1EPKaPaPKlPlN2at6native12_GLOBAL__N_18offset_tEEE10hipError_tPvRmT1_PNSt15iterator_traitsISK_E10value_typeET2_T3_PNSL_ISQ_E10value_typeET4_jRbjT5_SW_jjP12ihipStream_tbEUlT_E1_NS1_11comp_targetILNS1_3genE4ELNS1_11target_archE910ELNS1_3gpuE8ELNS1_3repE0EEENS1_59segmented_radix_sort_warp_sort_small_config_static_selectorELNS0_4arch9wavefront6targetE1EEEvSK_.num_named_barrier, 0
	.set _ZN7rocprim17ROCPRIM_400000_NS6detail17trampoline_kernelINS0_14default_configENS1_36segmented_radix_sort_config_selectorIalEEZNS1_25segmented_radix_sort_implIS3_Lb1EPKaPaPKlPlN2at6native12_GLOBAL__N_18offset_tEEE10hipError_tPvRmT1_PNSt15iterator_traitsISK_E10value_typeET2_T3_PNSL_ISQ_E10value_typeET4_jRbjT5_SW_jjP12ihipStream_tbEUlT_E1_NS1_11comp_targetILNS1_3genE4ELNS1_11target_archE910ELNS1_3gpuE8ELNS1_3repE0EEENS1_59segmented_radix_sort_warp_sort_small_config_static_selectorELNS0_4arch9wavefront6targetE1EEEvSK_.private_seg_size, 0
	.set _ZN7rocprim17ROCPRIM_400000_NS6detail17trampoline_kernelINS0_14default_configENS1_36segmented_radix_sort_config_selectorIalEEZNS1_25segmented_radix_sort_implIS3_Lb1EPKaPaPKlPlN2at6native12_GLOBAL__N_18offset_tEEE10hipError_tPvRmT1_PNSt15iterator_traitsISK_E10value_typeET2_T3_PNSL_ISQ_E10value_typeET4_jRbjT5_SW_jjP12ihipStream_tbEUlT_E1_NS1_11comp_targetILNS1_3genE4ELNS1_11target_archE910ELNS1_3gpuE8ELNS1_3repE0EEENS1_59segmented_radix_sort_warp_sort_small_config_static_selectorELNS0_4arch9wavefront6targetE1EEEvSK_.uses_vcc, 0
	.set _ZN7rocprim17ROCPRIM_400000_NS6detail17trampoline_kernelINS0_14default_configENS1_36segmented_radix_sort_config_selectorIalEEZNS1_25segmented_radix_sort_implIS3_Lb1EPKaPaPKlPlN2at6native12_GLOBAL__N_18offset_tEEE10hipError_tPvRmT1_PNSt15iterator_traitsISK_E10value_typeET2_T3_PNSL_ISQ_E10value_typeET4_jRbjT5_SW_jjP12ihipStream_tbEUlT_E1_NS1_11comp_targetILNS1_3genE4ELNS1_11target_archE910ELNS1_3gpuE8ELNS1_3repE0EEENS1_59segmented_radix_sort_warp_sort_small_config_static_selectorELNS0_4arch9wavefront6targetE1EEEvSK_.uses_flat_scratch, 0
	.set _ZN7rocprim17ROCPRIM_400000_NS6detail17trampoline_kernelINS0_14default_configENS1_36segmented_radix_sort_config_selectorIalEEZNS1_25segmented_radix_sort_implIS3_Lb1EPKaPaPKlPlN2at6native12_GLOBAL__N_18offset_tEEE10hipError_tPvRmT1_PNSt15iterator_traitsISK_E10value_typeET2_T3_PNSL_ISQ_E10value_typeET4_jRbjT5_SW_jjP12ihipStream_tbEUlT_E1_NS1_11comp_targetILNS1_3genE4ELNS1_11target_archE910ELNS1_3gpuE8ELNS1_3repE0EEENS1_59segmented_radix_sort_warp_sort_small_config_static_selectorELNS0_4arch9wavefront6targetE1EEEvSK_.has_dyn_sized_stack, 0
	.set _ZN7rocprim17ROCPRIM_400000_NS6detail17trampoline_kernelINS0_14default_configENS1_36segmented_radix_sort_config_selectorIalEEZNS1_25segmented_radix_sort_implIS3_Lb1EPKaPaPKlPlN2at6native12_GLOBAL__N_18offset_tEEE10hipError_tPvRmT1_PNSt15iterator_traitsISK_E10value_typeET2_T3_PNSL_ISQ_E10value_typeET4_jRbjT5_SW_jjP12ihipStream_tbEUlT_E1_NS1_11comp_targetILNS1_3genE4ELNS1_11target_archE910ELNS1_3gpuE8ELNS1_3repE0EEENS1_59segmented_radix_sort_warp_sort_small_config_static_selectorELNS0_4arch9wavefront6targetE1EEEvSK_.has_recursion, 0
	.set _ZN7rocprim17ROCPRIM_400000_NS6detail17trampoline_kernelINS0_14default_configENS1_36segmented_radix_sort_config_selectorIalEEZNS1_25segmented_radix_sort_implIS3_Lb1EPKaPaPKlPlN2at6native12_GLOBAL__N_18offset_tEEE10hipError_tPvRmT1_PNSt15iterator_traitsISK_E10value_typeET2_T3_PNSL_ISQ_E10value_typeET4_jRbjT5_SW_jjP12ihipStream_tbEUlT_E1_NS1_11comp_targetILNS1_3genE4ELNS1_11target_archE910ELNS1_3gpuE8ELNS1_3repE0EEENS1_59segmented_radix_sort_warp_sort_small_config_static_selectorELNS0_4arch9wavefront6targetE1EEEvSK_.has_indirect_call, 0
	.section	.AMDGPU.csdata,"",@progbits
; Kernel info:
; codeLenInByte = 0
; TotalNumSgprs: 4
; NumVgprs: 0
; ScratchSize: 0
; MemoryBound: 0
; FloatMode: 240
; IeeeMode: 1
; LDSByteSize: 0 bytes/workgroup (compile time only)
; SGPRBlocks: 0
; VGPRBlocks: 0
; NumSGPRsForWavesPerEU: 4
; NumVGPRsForWavesPerEU: 1
; Occupancy: 10
; WaveLimiterHint : 0
; COMPUTE_PGM_RSRC2:SCRATCH_EN: 0
; COMPUTE_PGM_RSRC2:USER_SGPR: 6
; COMPUTE_PGM_RSRC2:TRAP_HANDLER: 0
; COMPUTE_PGM_RSRC2:TGID_X_EN: 1
; COMPUTE_PGM_RSRC2:TGID_Y_EN: 0
; COMPUTE_PGM_RSRC2:TGID_Z_EN: 0
; COMPUTE_PGM_RSRC2:TIDIG_COMP_CNT: 0
	.section	.text._ZN7rocprim17ROCPRIM_400000_NS6detail17trampoline_kernelINS0_14default_configENS1_36segmented_radix_sort_config_selectorIalEEZNS1_25segmented_radix_sort_implIS3_Lb1EPKaPaPKlPlN2at6native12_GLOBAL__N_18offset_tEEE10hipError_tPvRmT1_PNSt15iterator_traitsISK_E10value_typeET2_T3_PNSL_ISQ_E10value_typeET4_jRbjT5_SW_jjP12ihipStream_tbEUlT_E1_NS1_11comp_targetILNS1_3genE3ELNS1_11target_archE908ELNS1_3gpuE7ELNS1_3repE0EEENS1_59segmented_radix_sort_warp_sort_small_config_static_selectorELNS0_4arch9wavefront6targetE1EEEvSK_,"axG",@progbits,_ZN7rocprim17ROCPRIM_400000_NS6detail17trampoline_kernelINS0_14default_configENS1_36segmented_radix_sort_config_selectorIalEEZNS1_25segmented_radix_sort_implIS3_Lb1EPKaPaPKlPlN2at6native12_GLOBAL__N_18offset_tEEE10hipError_tPvRmT1_PNSt15iterator_traitsISK_E10value_typeET2_T3_PNSL_ISQ_E10value_typeET4_jRbjT5_SW_jjP12ihipStream_tbEUlT_E1_NS1_11comp_targetILNS1_3genE3ELNS1_11target_archE908ELNS1_3gpuE7ELNS1_3repE0EEENS1_59segmented_radix_sort_warp_sort_small_config_static_selectorELNS0_4arch9wavefront6targetE1EEEvSK_,comdat
	.globl	_ZN7rocprim17ROCPRIM_400000_NS6detail17trampoline_kernelINS0_14default_configENS1_36segmented_radix_sort_config_selectorIalEEZNS1_25segmented_radix_sort_implIS3_Lb1EPKaPaPKlPlN2at6native12_GLOBAL__N_18offset_tEEE10hipError_tPvRmT1_PNSt15iterator_traitsISK_E10value_typeET2_T3_PNSL_ISQ_E10value_typeET4_jRbjT5_SW_jjP12ihipStream_tbEUlT_E1_NS1_11comp_targetILNS1_3genE3ELNS1_11target_archE908ELNS1_3gpuE7ELNS1_3repE0EEENS1_59segmented_radix_sort_warp_sort_small_config_static_selectorELNS0_4arch9wavefront6targetE1EEEvSK_ ; -- Begin function _ZN7rocprim17ROCPRIM_400000_NS6detail17trampoline_kernelINS0_14default_configENS1_36segmented_radix_sort_config_selectorIalEEZNS1_25segmented_radix_sort_implIS3_Lb1EPKaPaPKlPlN2at6native12_GLOBAL__N_18offset_tEEE10hipError_tPvRmT1_PNSt15iterator_traitsISK_E10value_typeET2_T3_PNSL_ISQ_E10value_typeET4_jRbjT5_SW_jjP12ihipStream_tbEUlT_E1_NS1_11comp_targetILNS1_3genE3ELNS1_11target_archE908ELNS1_3gpuE7ELNS1_3repE0EEENS1_59segmented_radix_sort_warp_sort_small_config_static_selectorELNS0_4arch9wavefront6targetE1EEEvSK_
	.p2align	8
	.type	_ZN7rocprim17ROCPRIM_400000_NS6detail17trampoline_kernelINS0_14default_configENS1_36segmented_radix_sort_config_selectorIalEEZNS1_25segmented_radix_sort_implIS3_Lb1EPKaPaPKlPlN2at6native12_GLOBAL__N_18offset_tEEE10hipError_tPvRmT1_PNSt15iterator_traitsISK_E10value_typeET2_T3_PNSL_ISQ_E10value_typeET4_jRbjT5_SW_jjP12ihipStream_tbEUlT_E1_NS1_11comp_targetILNS1_3genE3ELNS1_11target_archE908ELNS1_3gpuE7ELNS1_3repE0EEENS1_59segmented_radix_sort_warp_sort_small_config_static_selectorELNS0_4arch9wavefront6targetE1EEEvSK_,@function
_ZN7rocprim17ROCPRIM_400000_NS6detail17trampoline_kernelINS0_14default_configENS1_36segmented_radix_sort_config_selectorIalEEZNS1_25segmented_radix_sort_implIS3_Lb1EPKaPaPKlPlN2at6native12_GLOBAL__N_18offset_tEEE10hipError_tPvRmT1_PNSt15iterator_traitsISK_E10value_typeET2_T3_PNSL_ISQ_E10value_typeET4_jRbjT5_SW_jjP12ihipStream_tbEUlT_E1_NS1_11comp_targetILNS1_3genE3ELNS1_11target_archE908ELNS1_3gpuE7ELNS1_3repE0EEENS1_59segmented_radix_sort_warp_sort_small_config_static_selectorELNS0_4arch9wavefront6targetE1EEEvSK_: ; @_ZN7rocprim17ROCPRIM_400000_NS6detail17trampoline_kernelINS0_14default_configENS1_36segmented_radix_sort_config_selectorIalEEZNS1_25segmented_radix_sort_implIS3_Lb1EPKaPaPKlPlN2at6native12_GLOBAL__N_18offset_tEEE10hipError_tPvRmT1_PNSt15iterator_traitsISK_E10value_typeET2_T3_PNSL_ISQ_E10value_typeET4_jRbjT5_SW_jjP12ihipStream_tbEUlT_E1_NS1_11comp_targetILNS1_3genE3ELNS1_11target_archE908ELNS1_3gpuE7ELNS1_3repE0EEENS1_59segmented_radix_sort_warp_sort_small_config_static_selectorELNS0_4arch9wavefront6targetE1EEEvSK_
; %bb.0:
	.section	.rodata,"a",@progbits
	.p2align	6, 0x0
	.amdhsa_kernel _ZN7rocprim17ROCPRIM_400000_NS6detail17trampoline_kernelINS0_14default_configENS1_36segmented_radix_sort_config_selectorIalEEZNS1_25segmented_radix_sort_implIS3_Lb1EPKaPaPKlPlN2at6native12_GLOBAL__N_18offset_tEEE10hipError_tPvRmT1_PNSt15iterator_traitsISK_E10value_typeET2_T3_PNSL_ISQ_E10value_typeET4_jRbjT5_SW_jjP12ihipStream_tbEUlT_E1_NS1_11comp_targetILNS1_3genE3ELNS1_11target_archE908ELNS1_3gpuE7ELNS1_3repE0EEENS1_59segmented_radix_sort_warp_sort_small_config_static_selectorELNS0_4arch9wavefront6targetE1EEEvSK_
		.amdhsa_group_segment_fixed_size 0
		.amdhsa_private_segment_fixed_size 0
		.amdhsa_kernarg_size 88
		.amdhsa_user_sgpr_count 6
		.amdhsa_user_sgpr_private_segment_buffer 1
		.amdhsa_user_sgpr_dispatch_ptr 0
		.amdhsa_user_sgpr_queue_ptr 0
		.amdhsa_user_sgpr_kernarg_segment_ptr 1
		.amdhsa_user_sgpr_dispatch_id 0
		.amdhsa_user_sgpr_flat_scratch_init 0
		.amdhsa_user_sgpr_private_segment_size 0
		.amdhsa_uses_dynamic_stack 0
		.amdhsa_system_sgpr_private_segment_wavefront_offset 0
		.amdhsa_system_sgpr_workgroup_id_x 1
		.amdhsa_system_sgpr_workgroup_id_y 0
		.amdhsa_system_sgpr_workgroup_id_z 0
		.amdhsa_system_sgpr_workgroup_info 0
		.amdhsa_system_vgpr_workitem_id 0
		.amdhsa_next_free_vgpr 1
		.amdhsa_next_free_sgpr 0
		.amdhsa_reserve_vcc 0
		.amdhsa_reserve_flat_scratch 0
		.amdhsa_float_round_mode_32 0
		.amdhsa_float_round_mode_16_64 0
		.amdhsa_float_denorm_mode_32 3
		.amdhsa_float_denorm_mode_16_64 3
		.amdhsa_dx10_clamp 1
		.amdhsa_ieee_mode 1
		.amdhsa_fp16_overflow 0
		.amdhsa_exception_fp_ieee_invalid_op 0
		.amdhsa_exception_fp_denorm_src 0
		.amdhsa_exception_fp_ieee_div_zero 0
		.amdhsa_exception_fp_ieee_overflow 0
		.amdhsa_exception_fp_ieee_underflow 0
		.amdhsa_exception_fp_ieee_inexact 0
		.amdhsa_exception_int_div_zero 0
	.end_amdhsa_kernel
	.section	.text._ZN7rocprim17ROCPRIM_400000_NS6detail17trampoline_kernelINS0_14default_configENS1_36segmented_radix_sort_config_selectorIalEEZNS1_25segmented_radix_sort_implIS3_Lb1EPKaPaPKlPlN2at6native12_GLOBAL__N_18offset_tEEE10hipError_tPvRmT1_PNSt15iterator_traitsISK_E10value_typeET2_T3_PNSL_ISQ_E10value_typeET4_jRbjT5_SW_jjP12ihipStream_tbEUlT_E1_NS1_11comp_targetILNS1_3genE3ELNS1_11target_archE908ELNS1_3gpuE7ELNS1_3repE0EEENS1_59segmented_radix_sort_warp_sort_small_config_static_selectorELNS0_4arch9wavefront6targetE1EEEvSK_,"axG",@progbits,_ZN7rocprim17ROCPRIM_400000_NS6detail17trampoline_kernelINS0_14default_configENS1_36segmented_radix_sort_config_selectorIalEEZNS1_25segmented_radix_sort_implIS3_Lb1EPKaPaPKlPlN2at6native12_GLOBAL__N_18offset_tEEE10hipError_tPvRmT1_PNSt15iterator_traitsISK_E10value_typeET2_T3_PNSL_ISQ_E10value_typeET4_jRbjT5_SW_jjP12ihipStream_tbEUlT_E1_NS1_11comp_targetILNS1_3genE3ELNS1_11target_archE908ELNS1_3gpuE7ELNS1_3repE0EEENS1_59segmented_radix_sort_warp_sort_small_config_static_selectorELNS0_4arch9wavefront6targetE1EEEvSK_,comdat
.Lfunc_end313:
	.size	_ZN7rocprim17ROCPRIM_400000_NS6detail17trampoline_kernelINS0_14default_configENS1_36segmented_radix_sort_config_selectorIalEEZNS1_25segmented_radix_sort_implIS3_Lb1EPKaPaPKlPlN2at6native12_GLOBAL__N_18offset_tEEE10hipError_tPvRmT1_PNSt15iterator_traitsISK_E10value_typeET2_T3_PNSL_ISQ_E10value_typeET4_jRbjT5_SW_jjP12ihipStream_tbEUlT_E1_NS1_11comp_targetILNS1_3genE3ELNS1_11target_archE908ELNS1_3gpuE7ELNS1_3repE0EEENS1_59segmented_radix_sort_warp_sort_small_config_static_selectorELNS0_4arch9wavefront6targetE1EEEvSK_, .Lfunc_end313-_ZN7rocprim17ROCPRIM_400000_NS6detail17trampoline_kernelINS0_14default_configENS1_36segmented_radix_sort_config_selectorIalEEZNS1_25segmented_radix_sort_implIS3_Lb1EPKaPaPKlPlN2at6native12_GLOBAL__N_18offset_tEEE10hipError_tPvRmT1_PNSt15iterator_traitsISK_E10value_typeET2_T3_PNSL_ISQ_E10value_typeET4_jRbjT5_SW_jjP12ihipStream_tbEUlT_E1_NS1_11comp_targetILNS1_3genE3ELNS1_11target_archE908ELNS1_3gpuE7ELNS1_3repE0EEENS1_59segmented_radix_sort_warp_sort_small_config_static_selectorELNS0_4arch9wavefront6targetE1EEEvSK_
                                        ; -- End function
	.set _ZN7rocprim17ROCPRIM_400000_NS6detail17trampoline_kernelINS0_14default_configENS1_36segmented_radix_sort_config_selectorIalEEZNS1_25segmented_radix_sort_implIS3_Lb1EPKaPaPKlPlN2at6native12_GLOBAL__N_18offset_tEEE10hipError_tPvRmT1_PNSt15iterator_traitsISK_E10value_typeET2_T3_PNSL_ISQ_E10value_typeET4_jRbjT5_SW_jjP12ihipStream_tbEUlT_E1_NS1_11comp_targetILNS1_3genE3ELNS1_11target_archE908ELNS1_3gpuE7ELNS1_3repE0EEENS1_59segmented_radix_sort_warp_sort_small_config_static_selectorELNS0_4arch9wavefront6targetE1EEEvSK_.num_vgpr, 0
	.set _ZN7rocprim17ROCPRIM_400000_NS6detail17trampoline_kernelINS0_14default_configENS1_36segmented_radix_sort_config_selectorIalEEZNS1_25segmented_radix_sort_implIS3_Lb1EPKaPaPKlPlN2at6native12_GLOBAL__N_18offset_tEEE10hipError_tPvRmT1_PNSt15iterator_traitsISK_E10value_typeET2_T3_PNSL_ISQ_E10value_typeET4_jRbjT5_SW_jjP12ihipStream_tbEUlT_E1_NS1_11comp_targetILNS1_3genE3ELNS1_11target_archE908ELNS1_3gpuE7ELNS1_3repE0EEENS1_59segmented_radix_sort_warp_sort_small_config_static_selectorELNS0_4arch9wavefront6targetE1EEEvSK_.num_agpr, 0
	.set _ZN7rocprim17ROCPRIM_400000_NS6detail17trampoline_kernelINS0_14default_configENS1_36segmented_radix_sort_config_selectorIalEEZNS1_25segmented_radix_sort_implIS3_Lb1EPKaPaPKlPlN2at6native12_GLOBAL__N_18offset_tEEE10hipError_tPvRmT1_PNSt15iterator_traitsISK_E10value_typeET2_T3_PNSL_ISQ_E10value_typeET4_jRbjT5_SW_jjP12ihipStream_tbEUlT_E1_NS1_11comp_targetILNS1_3genE3ELNS1_11target_archE908ELNS1_3gpuE7ELNS1_3repE0EEENS1_59segmented_radix_sort_warp_sort_small_config_static_selectorELNS0_4arch9wavefront6targetE1EEEvSK_.numbered_sgpr, 0
	.set _ZN7rocprim17ROCPRIM_400000_NS6detail17trampoline_kernelINS0_14default_configENS1_36segmented_radix_sort_config_selectorIalEEZNS1_25segmented_radix_sort_implIS3_Lb1EPKaPaPKlPlN2at6native12_GLOBAL__N_18offset_tEEE10hipError_tPvRmT1_PNSt15iterator_traitsISK_E10value_typeET2_T3_PNSL_ISQ_E10value_typeET4_jRbjT5_SW_jjP12ihipStream_tbEUlT_E1_NS1_11comp_targetILNS1_3genE3ELNS1_11target_archE908ELNS1_3gpuE7ELNS1_3repE0EEENS1_59segmented_radix_sort_warp_sort_small_config_static_selectorELNS0_4arch9wavefront6targetE1EEEvSK_.num_named_barrier, 0
	.set _ZN7rocprim17ROCPRIM_400000_NS6detail17trampoline_kernelINS0_14default_configENS1_36segmented_radix_sort_config_selectorIalEEZNS1_25segmented_radix_sort_implIS3_Lb1EPKaPaPKlPlN2at6native12_GLOBAL__N_18offset_tEEE10hipError_tPvRmT1_PNSt15iterator_traitsISK_E10value_typeET2_T3_PNSL_ISQ_E10value_typeET4_jRbjT5_SW_jjP12ihipStream_tbEUlT_E1_NS1_11comp_targetILNS1_3genE3ELNS1_11target_archE908ELNS1_3gpuE7ELNS1_3repE0EEENS1_59segmented_radix_sort_warp_sort_small_config_static_selectorELNS0_4arch9wavefront6targetE1EEEvSK_.private_seg_size, 0
	.set _ZN7rocprim17ROCPRIM_400000_NS6detail17trampoline_kernelINS0_14default_configENS1_36segmented_radix_sort_config_selectorIalEEZNS1_25segmented_radix_sort_implIS3_Lb1EPKaPaPKlPlN2at6native12_GLOBAL__N_18offset_tEEE10hipError_tPvRmT1_PNSt15iterator_traitsISK_E10value_typeET2_T3_PNSL_ISQ_E10value_typeET4_jRbjT5_SW_jjP12ihipStream_tbEUlT_E1_NS1_11comp_targetILNS1_3genE3ELNS1_11target_archE908ELNS1_3gpuE7ELNS1_3repE0EEENS1_59segmented_radix_sort_warp_sort_small_config_static_selectorELNS0_4arch9wavefront6targetE1EEEvSK_.uses_vcc, 0
	.set _ZN7rocprim17ROCPRIM_400000_NS6detail17trampoline_kernelINS0_14default_configENS1_36segmented_radix_sort_config_selectorIalEEZNS1_25segmented_radix_sort_implIS3_Lb1EPKaPaPKlPlN2at6native12_GLOBAL__N_18offset_tEEE10hipError_tPvRmT1_PNSt15iterator_traitsISK_E10value_typeET2_T3_PNSL_ISQ_E10value_typeET4_jRbjT5_SW_jjP12ihipStream_tbEUlT_E1_NS1_11comp_targetILNS1_3genE3ELNS1_11target_archE908ELNS1_3gpuE7ELNS1_3repE0EEENS1_59segmented_radix_sort_warp_sort_small_config_static_selectorELNS0_4arch9wavefront6targetE1EEEvSK_.uses_flat_scratch, 0
	.set _ZN7rocprim17ROCPRIM_400000_NS6detail17trampoline_kernelINS0_14default_configENS1_36segmented_radix_sort_config_selectorIalEEZNS1_25segmented_radix_sort_implIS3_Lb1EPKaPaPKlPlN2at6native12_GLOBAL__N_18offset_tEEE10hipError_tPvRmT1_PNSt15iterator_traitsISK_E10value_typeET2_T3_PNSL_ISQ_E10value_typeET4_jRbjT5_SW_jjP12ihipStream_tbEUlT_E1_NS1_11comp_targetILNS1_3genE3ELNS1_11target_archE908ELNS1_3gpuE7ELNS1_3repE0EEENS1_59segmented_radix_sort_warp_sort_small_config_static_selectorELNS0_4arch9wavefront6targetE1EEEvSK_.has_dyn_sized_stack, 0
	.set _ZN7rocprim17ROCPRIM_400000_NS6detail17trampoline_kernelINS0_14default_configENS1_36segmented_radix_sort_config_selectorIalEEZNS1_25segmented_radix_sort_implIS3_Lb1EPKaPaPKlPlN2at6native12_GLOBAL__N_18offset_tEEE10hipError_tPvRmT1_PNSt15iterator_traitsISK_E10value_typeET2_T3_PNSL_ISQ_E10value_typeET4_jRbjT5_SW_jjP12ihipStream_tbEUlT_E1_NS1_11comp_targetILNS1_3genE3ELNS1_11target_archE908ELNS1_3gpuE7ELNS1_3repE0EEENS1_59segmented_radix_sort_warp_sort_small_config_static_selectorELNS0_4arch9wavefront6targetE1EEEvSK_.has_recursion, 0
	.set _ZN7rocprim17ROCPRIM_400000_NS6detail17trampoline_kernelINS0_14default_configENS1_36segmented_radix_sort_config_selectorIalEEZNS1_25segmented_radix_sort_implIS3_Lb1EPKaPaPKlPlN2at6native12_GLOBAL__N_18offset_tEEE10hipError_tPvRmT1_PNSt15iterator_traitsISK_E10value_typeET2_T3_PNSL_ISQ_E10value_typeET4_jRbjT5_SW_jjP12ihipStream_tbEUlT_E1_NS1_11comp_targetILNS1_3genE3ELNS1_11target_archE908ELNS1_3gpuE7ELNS1_3repE0EEENS1_59segmented_radix_sort_warp_sort_small_config_static_selectorELNS0_4arch9wavefront6targetE1EEEvSK_.has_indirect_call, 0
	.section	.AMDGPU.csdata,"",@progbits
; Kernel info:
; codeLenInByte = 0
; TotalNumSgprs: 4
; NumVgprs: 0
; ScratchSize: 0
; MemoryBound: 0
; FloatMode: 240
; IeeeMode: 1
; LDSByteSize: 0 bytes/workgroup (compile time only)
; SGPRBlocks: 0
; VGPRBlocks: 0
; NumSGPRsForWavesPerEU: 4
; NumVGPRsForWavesPerEU: 1
; Occupancy: 10
; WaveLimiterHint : 0
; COMPUTE_PGM_RSRC2:SCRATCH_EN: 0
; COMPUTE_PGM_RSRC2:USER_SGPR: 6
; COMPUTE_PGM_RSRC2:TRAP_HANDLER: 0
; COMPUTE_PGM_RSRC2:TGID_X_EN: 1
; COMPUTE_PGM_RSRC2:TGID_Y_EN: 0
; COMPUTE_PGM_RSRC2:TGID_Z_EN: 0
; COMPUTE_PGM_RSRC2:TIDIG_COMP_CNT: 0
	.text
	.p2align	2                               ; -- Begin function _ZN7rocprim17ROCPRIM_400000_NS6detail26segmented_warp_sort_helperINS1_20WarpSortHelperConfigILj8ELj4ELj256EEEalLi256ELb1EvE4sortIPKaPaPKlPlEEvT_T0_T1_T2_jjjjRNS5_12storage_typeE
	.type	_ZN7rocprim17ROCPRIM_400000_NS6detail26segmented_warp_sort_helperINS1_20WarpSortHelperConfigILj8ELj4ELj256EEEalLi256ELb1EvE4sortIPKaPaPKlPlEEvT_T0_T1_T2_jjjjRNS5_12storage_typeE,@function
_ZN7rocprim17ROCPRIM_400000_NS6detail26segmented_warp_sort_helperINS1_20WarpSortHelperConfigILj8ELj4ELj256EEEalLi256ELb1EvE4sortIPKaPaPKlPlEEvT_T0_T1_T2_jjjjRNS5_12storage_typeE: ; @_ZN7rocprim17ROCPRIM_400000_NS6detail26segmented_warp_sort_helperINS1_20WarpSortHelperConfigILj8ELj4ELj256EEEalLi256ELb1EvE4sortIPKaPaPKlPlEEvT_T0_T1_T2_jjjjRNS5_12storage_typeE
; %bb.0:
	s_waitcnt vmcnt(0) expcnt(0) lgkmcnt(0)
	v_mbcnt_lo_u32_b32 v15, -1, 0
	v_mbcnt_hi_u32_b32 v15, -1, v15
	v_add_co_u32_e32 v0, vcc, v0, v8
	v_lshlrev_b32_e32 v24, 2, v15
	v_addc_co_u32_e32 v1, vcc, 0, v1, vcc
	v_and_b32_e32 v22, 28, v24
	v_add_co_u32_e32 v0, vcc, v0, v22
	v_sub_u32_e32 v14, v9, v8
	v_addc_co_u32_e32 v1, vcc, 0, v1, vcc
	v_mov_b32_e32 v9, 0
	v_cmp_lt_u32_e32 vcc, v22, v14
	v_mov_b32_e32 v27, 0x80
	v_mov_b32_e32 v25, 0x80
	;; [unrolled: 1-line block ×4, first 2 shown]
	s_and_saveexec_b64 s[4:5], vcc
	s_cbranch_execz .LBB314_2
; %bb.1:
	flat_load_ubyte v25, v[0:1]
	v_mov_b32_e32 v27, 0x80
	v_mov_b32_e32 v26, 0x80
	;; [unrolled: 1-line block ×3, first 2 shown]
.LBB314_2:
	s_or_b64 exec, exec, s[4:5]
	v_or_b32_e32 v15, 1, v22
	v_cmp_lt_u32_e64 s[4:5], v15, v14
	s_and_saveexec_b64 s[6:7], s[4:5]
	s_cbranch_execz .LBB314_4
; %bb.3:
	flat_load_ubyte v26, v[0:1] offset:1
.LBB314_4:
	s_or_b64 exec, exec, s[6:7]
	v_or_b32_e32 v15, 2, v22
	v_cmp_lt_u32_e64 s[6:7], v15, v14
	s_and_saveexec_b64 s[10:11], s[6:7]
	s_cbranch_execz .LBB314_6
; %bb.5:
	flat_load_ubyte v28, v[0:1] offset:2
.LBB314_6:
	;; [unrolled: 8-line block ×3, first 2 shown]
	s_or_b64 exec, exec, s[14:15]
	v_lshlrev_b64 v[0:1], 3, v[8:9]
	v_lshlrev_b32_e32 v23, 3, v22
	v_add_co_u32_e64 v4, s[14:15], v4, v0
	v_addc_co_u32_e64 v5, s[14:15], v5, v1, s[14:15]
	v_add_co_u32_e64 v20, s[14:15], v4, v23
	v_addc_co_u32_e64 v21, s[14:15], 0, v5, s[14:15]
	; wave barrier
                                        ; implicit-def: $vgpr4_vgpr5
	s_and_saveexec_b64 s[14:15], vcc
	s_cbranch_execnz .LBB314_107
; %bb.9:
	s_or_b64 exec, exec, s[14:15]
                                        ; implicit-def: $vgpr14_vgpr15
	s_and_saveexec_b64 s[14:15], s[4:5]
	s_cbranch_execnz .LBB314_108
.LBB314_10:
	s_or_b64 exec, exec, s[14:15]
                                        ; implicit-def: $vgpr18_vgpr19
	s_and_saveexec_b64 s[14:15], s[6:7]
	s_cbranch_execnz .LBB314_109
.LBB314_11:
	s_or_b64 exec, exec, s[14:15]
                                        ; implicit-def: $vgpr16_vgpr17
	s_and_saveexec_b64 s[14:15], s[10:11]
	s_cbranch_execz .LBB314_13
.LBB314_12:
	flat_load_dwordx2 v[16:17], v[20:21] offset:24
.LBB314_13:
	s_or_b64 exec, exec, s[14:15]
	v_cmp_ne_u32_e64 s[14:15], 0, v10
	v_cmp_ne_u32_e64 s[16:17], 8, v11
	s_or_b64 s[14:15], s[14:15], s[16:17]
	v_bfe_u32 v9, v31, 10, 10
	v_bfe_u32 v20, v31, 20, 10
	; wave barrier
	s_and_saveexec_b64 s[16:17], s[14:15]
	s_xor_b64 s[24:25], exec, s[16:17]
	s_cbranch_execz .LBB314_55
; %bb.14:
	s_load_dwordx2 s[14:15], s[8:9], 0x0
	v_mov_b32_e32 v21, 0
	v_lshlrev_b32_e64 v11, v11, -1
	v_lshlrev_b32_e64 v10, v10, -1
	s_waitcnt lgkmcnt(0)
	s_cmp_lt_u32 s13, s15
	s_cselect_b32 s15, 14, 20
	s_add_u32 s16, s8, s15
	s_addc_u32 s17, s9, 0
	s_cmp_lt_u32 s12, s14
	s_cselect_b32 s14, 12, 18
	s_add_u32 s14, s8, s14
	s_addc_u32 s15, s9, 0
	global_load_ushort v29, v21, s[16:17]
	global_load_ushort v30, v21, s[14:15]
	s_movk_i32 s14, 0x400
	s_waitcnt vmcnt(0)
	v_mad_u32_u24 v9, v20, v29, v9
	v_mul_lo_u32 v9, v9, v30
	v_and_b32_e32 v20, 0x3ff, v31
	v_xor_b32_e32 v29, v11, v10
	v_add_lshl_u32 v11, v9, v20, 2
	v_cmp_gt_u32_e64 s[14:15], s14, v11
	s_and_saveexec_b64 s[20:21], s[14:15]
	s_cbranch_execz .LBB314_24
; %bb.15:
	s_mov_b32 s14, 0xc0c0004
	v_perm_b32 v9, v28, v27, s14
	v_lshlrev_b32_e32 v9, 16, v9
	v_perm_b32 v10, v26, v25, s14
	v_perm_b32 v20, v25, v26, s14
	v_or_b32_e32 v10, v10, v9
	v_or_b32_e32 v9, v20, v9
	v_and_b32_e32 v20, v26, v29
	v_and_b32_e32 v21, v25, v29
	v_cmp_gt_i16_sdwa s[16:17], sext(v20), sext(v21) src0_sel:BYTE_0 src1_sel:BYTE_0
	v_cndmask_b32_e64 v25, v9, v10, s[16:17]
	v_lshrrev_b32_e32 v20, 24, v25
	v_lshrrev_b32_e32 v27, 16, v25
	v_and_b32_e32 v9, v20, v29
	v_bfe_i32 v21, v9, 0, 8
	v_and_b32_e32 v9, v27, v29
	v_bfe_i32 v31, v9, 0, 8
	v_mov_b32_e32 v9, v18
	v_lshrrev_b32_e32 v26, 8, v25
	v_cmp_gt_i16_e64 s[14:15], v21, v31
	v_mov_b32_e32 v10, v19
	v_mov_b32_e32 v28, v20
	s_and_saveexec_b64 s[18:19], s[14:15]
; %bb.16:
	v_mov_b32_e32 v9, v16
	v_mov_b32_e32 v10, v17
	;; [unrolled: 1-line block ×7, first 2 shown]
; %bb.17:
	s_or_b64 exec, exec, s[18:19]
	v_cndmask_b32_e64 v20, v14, v4, s[16:17]
	v_and_b32_e32 v18, v26, v29
	v_cndmask_b32_e64 v21, v15, v5, s[16:17]
	v_bfe_i32 v30, v18, 0, 8
	v_mov_b32_e32 v18, v20
	v_cmp_gt_i16_e64 s[14:15], v31, v30
	v_mov_b32_e32 v19, v21
	s_and_saveexec_b64 s[18:19], s[14:15]
	s_xor_b64 s[14:15], exec, s[18:19]
; %bb.18:
	v_mov_b32_e32 v19, v10
	v_and_b32_e32 v30, v27, v29
	v_mov_b32_e32 v31, v26
	v_mov_b32_e32 v18, v9
	v_mov_b32_e32 v9, v20
	v_swap_b32 v26, v27
	v_mov_b32_e32 v10, v21
; %bb.19:
	s_or_b64 exec, exec, s[14:15]
	s_mov_b32 s14, 0xc0c0004
	v_perm_b32 v20, v27, v28, s14
	v_lshlrev_b32_e32 v20, 16, v20
	v_perm_b32 v21, v26, v25, s14
	v_perm_b32 v26, v25, v26, s14
	v_and_b32_e32 v25, v25, v29
	v_or_b32_e32 v21, v21, v20
	v_or_b32_e32 v20, v26, v20
	v_cmp_gt_i16_sdwa s[14:15], sext(v30), sext(v25) src0_sel:BYTE_0 src1_sel:BYTE_0
	v_cndmask_b32_e64 v25, v20, v21, s[14:15]
	v_lshrrev_b32_e32 v31, 24, v25
	v_lshrrev_b32_e32 v28, 16, v25
	v_and_b32_e32 v20, v31, v29
	v_bfe_i32 v32, v20, 0, 8
	v_and_b32_e32 v20, v28, v29
	v_bfe_i32 v30, v20, 0, 8
	v_mov_b32_e32 v21, v10
	v_lshrrev_b32_e32 v26, 8, v25
	v_cmp_gt_i16_e64 s[18:19], v32, v30
	v_mov_b32_e32 v20, v9
	v_mov_b32_e32 v27, v31
	s_and_saveexec_b64 s[22:23], s[18:19]
; %bb.20:
	v_mov_b32_e32 v21, v17
	v_mov_b32_e32 v20, v16
	v_mov_b32_e32 v17, v10
	v_mov_b32_e32 v27, v28
	v_mov_b32_e32 v16, v9
	v_mov_b32_e32 v28, v31
	v_mov_b32_e32 v30, v32
; %bb.21:
	s_or_b64 exec, exec, s[22:23]
	v_cndmask_b32_e64 v9, v4, v14, s[16:17]
	v_cndmask_b32_e64 v10, v5, v15, s[16:17]
	;; [unrolled: 1-line block ×6, first 2 shown]
	v_and_b32_e32 v9, v26, v29
	v_mov_b32_e32 v18, v20
	v_cmp_gt_i16_sdwa s[16:17], v30, sext(v9) src0_sel:DWORD src1_sel:BYTE_0
	v_mov_b32_e32 v19, v21
	s_and_saveexec_b64 s[14:15], s[16:17]
; %bb.22:
	v_mov_b32_e32 v19, v15
	v_mov_b32_e32 v9, v26
	v_swap_b32 v26, v28
	v_mov_b32_e32 v18, v14
	v_mov_b32_e32 v14, v20
	;; [unrolled: 1-line block ×3, first 2 shown]
; %bb.23:
	s_or_b64 exec, exec, s[14:15]
.LBB314_24:
	s_or_b64 exec, exec, s[20:21]
	v_and_b32_e32 v20, 0xffffff00, v11
	v_add_co_u32_e64 v11, s[14:15], v12, v20
	v_addc_co_u32_e64 v12, s[14:15], 0, v13, s[14:15]
	v_mad_u64_u32 v[9:10], s[14:15], v20, 7, v[11:12]
	v_add_co_u32_e64 v12, s[14:15], v11, v24
	s_movk_i32 s16, 0x400
	s_mov_b32 s14, 0xc0c0004
	v_sub_u32_e64 v10, s16, v20 clamp
	v_perm_b32 v20, v25, v26, s14
	v_perm_b32 v21, v28, v27, s14
	v_lshl_add_u32 v13, v24, 3, v9
	v_lshl_or_b32 v20, v21, 16, v20
	ds_write2_b64 v13, v[4:5], v[14:15] offset0:128 offset1:129
	ds_write_b64 v13, v[18:19] offset:1040
	ds_write_b32 v12, v20
	ds_write_b64 v13, v[16:17] offset:1048
	v_or_b32_e32 v20, 4, v24
	v_min_u32_e32 v31, v10, v20
	v_add_u32_e32 v20, 4, v31
	v_and_b32_e32 v33, 0x1f8, v24
	v_min_u32_e32 v32, v10, v20
	v_and_b32_e32 v20, 4, v24
	v_min_u32_e32 v34, v10, v20
	v_sub_u32_e32 v20, v31, v33
	v_sub_u32_e32 v21, v32, v31
	v_sub_u32_e64 v35, v34, v21 clamp
	v_min_u32_e32 v20, v34, v20
	v_cmp_lt_u32_e64 s[14:15], v35, v20
	; wave barrier
	s_and_saveexec_b64 s[16:17], s[14:15]
	s_cbranch_execz .LBB314_28
; %bb.25:
	v_add_co_u32_e64 v21, s[14:15], v11, v33
	v_add_co_u32_e64 v30, s[14:15], v11, v31
	s_mov_b64 s[18:19], 0
.LBB314_26:                             ; =>This Inner Loop Header: Depth=1
	v_add_u32_e32 v36, v20, v35
	v_lshrrev_b32_e32 v36, 1, v36
	v_not_b32_e32 v37, v36
	v_add_u32_e32 v38, v21, v36
	v_add3_u32 v37, v34, v37, v30
	ds_read_u8 v38, v38
	ds_read_u8 v37, v37
	v_add_u32_e32 v39, 1, v36
	s_waitcnt lgkmcnt(1)
	v_and_b32_e32 v38, v38, v29
	s_waitcnt lgkmcnt(0)
	v_and_b32_e32 v37, v37, v29
	v_cmp_gt_i16_sdwa s[14:15], sext(v37), sext(v38) src0_sel:BYTE_0 src1_sel:BYTE_0
	v_cndmask_b32_e64 v20, v20, v36, s[14:15]
	v_cndmask_b32_e64 v35, v39, v35, s[14:15]
	v_cmp_ge_u32_e64 s[14:15], v35, v20
	s_or_b64 s[18:19], s[14:15], s[18:19]
	s_andn2_b64 exec, exec, s[18:19]
	s_cbranch_execnz .LBB314_26
; %bb.27:
	s_or_b64 exec, exec, s[18:19]
.LBB314_28:
	s_or_b64 exec, exec, s[16:17]
	v_add_u32_e32 v34, v31, v34
	v_add_u32_e32 v33, v35, v33
	v_sub_u32_e32 v34, v34, v35
	v_cmp_le_u32_e64 s[14:15], v33, v31
	v_cmp_le_u32_e64 s[16:17], v34, v32
	v_add_u32_e32 v30, 0x400, v13
	v_add_u32_e32 v21, 0x408, v13
	;; [unrolled: 1-line block ×4, first 2 shown]
	s_or_b64 s[14:15], s[14:15], s[16:17]
	s_and_saveexec_b64 s[26:27], s[14:15]
	s_cbranch_execz .LBB314_34
; %bb.29:
	v_cmp_lt_u32_e64 s[16:17], v33, v31
                                        ; implicit-def: $vgpr25
	s_and_saveexec_b64 s[14:15], s[16:17]
; %bb.30:
	v_add_u32_e32 v4, v11, v33
	ds_read_u8 v25, v4
; %bb.31:
	s_or_b64 exec, exec, s[14:15]
	v_cmp_ge_u32_e64 s[14:15], v34, v32
	v_cmp_lt_u32_e64 s[18:19], v34, v32
                                        ; implicit-def: $vgpr26
	s_and_saveexec_b64 s[20:21], s[18:19]
; %bb.32:
	v_add_u32_e32 v4, v11, v34
	ds_read_u8 v26, v4
; %bb.33:
	s_or_b64 exec, exec, s[20:21]
	s_waitcnt lgkmcnt(0)
	v_and_b32_e32 v4, v26, v29
	v_and_b32_e32 v5, v25, v29
	v_cmp_le_i16_sdwa s[18:19], sext(v4), sext(v5) src0_sel:BYTE_0 src1_sel:BYTE_0
	s_and_b64 s[16:17], s[16:17], s[18:19]
	s_or_b64 s[14:15], s[14:15], s[16:17]
	v_cndmask_b32_e64 v4, v34, v33, s[14:15]
	v_cndmask_b32_e64 v5, v32, v31, s[14:15]
	v_add_u32_e32 v14, 1, v4
	v_add_u32_e32 v5, -1, v5
	v_min_u32_e32 v5, v14, v5
	v_add_u32_e32 v5, v11, v5
	ds_read_u8 v5, v5
	v_cndmask_b32_e64 v15, v14, v34, s[14:15]
	v_cndmask_b32_e64 v14, v33, v14, s[14:15]
	v_cmp_lt_u32_e64 s[18:19], v14, v31
	v_cmp_ge_u32_e64 s[16:17], v15, v32
	s_waitcnt lgkmcnt(0)
	v_cndmask_b32_e64 v27, v5, v26, s[14:15]
	v_cndmask_b32_e64 v28, v25, v5, s[14:15]
	v_and_b32_e32 v5, v27, v29
	v_and_b32_e32 v16, v28, v29
	v_cmp_le_i16_sdwa s[20:21], sext(v5), sext(v16) src0_sel:BYTE_0 src1_sel:BYTE_0
	s_and_b64 s[18:19], s[18:19], s[20:21]
	s_or_b64 s[16:17], s[16:17], s[18:19]
	v_cndmask_b32_e64 v16, v15, v14, s[16:17]
	v_cndmask_b32_e64 v5, v32, v31, s[16:17]
	v_add_u32_e32 v17, 1, v16
	v_add_u32_e32 v5, -1, v5
	v_min_u32_e32 v5, v17, v5
	v_add_u32_e32 v5, v11, v5
	ds_read_u8 v18, v5
	v_cndmask_b32_e64 v35, v17, v15, s[16:17]
	v_cndmask_b32_e64 v17, v14, v17, s[16:17]
	v_cmp_lt_u32_e64 s[20:21], v17, v31
	v_cmp_ge_u32_e64 s[18:19], v35, v32
	s_waitcnt lgkmcnt(0)
	v_cndmask_b32_e64 v33, v18, v27, s[16:17]
	v_cndmask_b32_e64 v34, v28, v18, s[16:17]
	v_and_b32_e32 v14, v33, v29
	v_and_b32_e32 v15, v34, v29
	v_cmp_le_i16_sdwa s[22:23], sext(v14), sext(v15) src0_sel:BYTE_0 src1_sel:BYTE_0
	s_and_b64 s[20:21], s[20:21], s[22:23]
	s_or_b64 s[18:19], s[18:19], s[20:21]
	v_cndmask_b32_e64 v18, v35, v17, s[18:19]
	v_cndmask_b32_e64 v14, v32, v31, s[18:19]
	v_add_u32_e32 v36, 1, v18
	v_add_u32_e32 v14, -1, v14
	v_min_u32_e32 v14, v36, v14
	v_add_u32_e32 v14, v11, v14
	ds_read_u8 v37, v14
	v_lshl_add_u32 v14, v16, 3, v9
	v_lshl_add_u32 v16, v18, 3, v9
	ds_read_b64 v[18:19], v16 offset:1024
	v_cndmask_b32_e64 v16, v36, v35, s[18:19]
	s_waitcnt lgkmcnt(1)
	v_cndmask_b32_e64 v38, v37, v33, s[18:19]
	v_cndmask_b32_e64 v37, v34, v37, s[18:19]
	;; [unrolled: 1-line block ×3, first 2 shown]
	v_cmp_ge_u32_e64 s[20:21], v16, v32
	v_cmp_lt_u32_e64 s[22:23], v17, v31
	v_and_b32_e32 v31, v38, v29
	v_and_b32_e32 v32, v37, v29
	v_cmp_le_i16_sdwa s[28:29], sext(v31), sext(v32) src0_sel:BYTE_0 src1_sel:BYTE_0
	s_and_b64 s[22:23], s[22:23], s[28:29]
	s_or_b64 s[20:21], s[20:21], s[22:23]
	v_cndmask_b32_e64 v16, v16, v17, s[20:21]
	v_lshl_add_u32 v4, v4, 3, v9
	v_lshl_add_u32 v16, v16, 3, v9
	ds_read_b64 v[4:5], v4 offset:1024
	ds_read_b64 v[14:15], v14 offset:1024
	;; [unrolled: 1-line block ×3, first 2 shown]
	v_cndmask_b32_e64 v25, v26, v25, s[14:15]
	v_cndmask_b32_e64 v26, v27, v28, s[16:17]
	;; [unrolled: 1-line block ×4, first 2 shown]
.LBB314_34:
	s_or_b64 exec, exec, s[26:27]
	v_and_b32_e32 v36, 0x1f0, v24
	v_or_b32_e32 v31, 8, v36
	v_min_u32_e32 v31, v10, v31
	v_add_u32_e32 v32, 8, v31
	v_min_u32_e32 v32, v10, v32
	v_and_b32_e32 v33, 12, v24
	v_min_u32_e32 v37, v10, v33
	v_sub_u32_e32 v33, v31, v36
	v_sub_u32_e32 v34, v32, v31
	v_sub_u32_e64 v38, v37, v34 clamp
	v_min_u32_e32 v33, v37, v33
	v_cmp_lt_u32_e64 s[14:15], v38, v33
	; wave barrier
	ds_write_b8 v12, v25
	s_waitcnt lgkmcnt(3)
	ds_write_b64 v30, v[4:5]
	ds_write_b8 v12, v26 offset:1
	s_waitcnt lgkmcnt(4)
	ds_write_b64 v21, v[14:15]
	ds_write_b8 v12, v28 offset:2
	ds_write_b64 v20, v[18:19]
	ds_write_b8 v12, v27 offset:3
	s_waitcnt lgkmcnt(7)
	ds_write_b64 v13, v[16:17]
	; wave barrier
	s_and_saveexec_b64 s[16:17], s[14:15]
	s_cbranch_execz .LBB314_38
; %bb.35:
	v_add_co_u32_e64 v34, s[14:15], v11, v36
	v_add_co_u32_e64 v35, s[14:15], v11, v31
	s_mov_b64 s[18:19], 0
.LBB314_36:                             ; =>This Inner Loop Header: Depth=1
	v_add_u32_e32 v39, v33, v38
	v_lshrrev_b32_e32 v39, 1, v39
	v_not_b32_e32 v48, v39
	v_add_u32_e32 v49, v34, v39
	v_add3_u32 v48, v37, v48, v35
	ds_read_u8 v49, v49
	ds_read_u8 v48, v48
	v_add_u32_e32 v50, 1, v39
	s_waitcnt lgkmcnt(1)
	v_and_b32_e32 v49, v49, v29
	s_waitcnt lgkmcnt(0)
	v_and_b32_e32 v48, v48, v29
	v_cmp_gt_i16_sdwa s[14:15], sext(v48), sext(v49) src0_sel:BYTE_0 src1_sel:BYTE_0
	v_cndmask_b32_e64 v33, v33, v39, s[14:15]
	v_cndmask_b32_e64 v38, v50, v38, s[14:15]
	v_cmp_ge_u32_e64 s[14:15], v38, v33
	s_or_b64 s[18:19], s[14:15], s[18:19]
	s_andn2_b64 exec, exec, s[18:19]
	s_cbranch_execnz .LBB314_36
; %bb.37:
	s_or_b64 exec, exec, s[18:19]
.LBB314_38:
	s_or_b64 exec, exec, s[16:17]
	v_add_u32_e32 v37, v31, v37
	v_add_u32_e32 v36, v38, v36
	v_sub_u32_e32 v37, v37, v38
	v_cmp_le_u32_e64 s[14:15], v36, v31
	v_cmp_le_u32_e64 s[16:17], v37, v32
	v_add_u32_e32 v35, 1, v12
	v_add_u32_e32 v34, 2, v12
	;; [unrolled: 1-line block ×3, first 2 shown]
	s_or_b64 s[14:15], s[14:15], s[16:17]
	s_and_saveexec_b64 s[26:27], s[14:15]
	s_cbranch_execz .LBB314_44
; %bb.39:
	v_cmp_lt_u32_e64 s[16:17], v36, v31
                                        ; implicit-def: $vgpr25
	s_and_saveexec_b64 s[14:15], s[16:17]
; %bb.40:
	v_add_u32_e32 v4, v11, v36
	ds_read_u8 v25, v4
; %bb.41:
	s_or_b64 exec, exec, s[14:15]
	v_cmp_ge_u32_e64 s[14:15], v37, v32
	v_cmp_lt_u32_e64 s[18:19], v37, v32
                                        ; implicit-def: $vgpr26
	s_and_saveexec_b64 s[20:21], s[18:19]
; %bb.42:
	v_add_u32_e32 v4, v11, v37
	ds_read_u8 v26, v4
; %bb.43:
	s_or_b64 exec, exec, s[20:21]
	s_waitcnt lgkmcnt(0)
	v_and_b32_e32 v4, v26, v29
	v_and_b32_e32 v5, v25, v29
	v_cmp_le_i16_sdwa s[18:19], sext(v4), sext(v5) src0_sel:BYTE_0 src1_sel:BYTE_0
	s_and_b64 s[16:17], s[16:17], s[18:19]
	s_or_b64 s[14:15], s[14:15], s[16:17]
	v_cndmask_b32_e64 v4, v37, v36, s[14:15]
	v_cndmask_b32_e64 v5, v32, v31, s[14:15]
	v_add_u32_e32 v14, 1, v4
	v_add_u32_e32 v5, -1, v5
	v_min_u32_e32 v5, v14, v5
	v_add_u32_e32 v5, v11, v5
	ds_read_u8 v5, v5
	v_cndmask_b32_e64 v15, v14, v37, s[14:15]
	v_cndmask_b32_e64 v14, v36, v14, s[14:15]
	v_cmp_lt_u32_e64 s[18:19], v14, v31
	v_cmp_ge_u32_e64 s[16:17], v15, v32
	s_waitcnt lgkmcnt(0)
	v_cndmask_b32_e64 v27, v5, v26, s[14:15]
	v_cndmask_b32_e64 v28, v25, v5, s[14:15]
	v_and_b32_e32 v5, v27, v29
	v_and_b32_e32 v16, v28, v29
	v_cmp_le_i16_sdwa s[20:21], sext(v5), sext(v16) src0_sel:BYTE_0 src1_sel:BYTE_0
	s_and_b64 s[18:19], s[18:19], s[20:21]
	s_or_b64 s[16:17], s[16:17], s[18:19]
	v_cndmask_b32_e64 v16, v15, v14, s[16:17]
	v_cndmask_b32_e64 v5, v32, v31, s[16:17]
	v_add_u32_e32 v17, 1, v16
	v_add_u32_e32 v5, -1, v5
	v_min_u32_e32 v5, v17, v5
	v_add_u32_e32 v5, v11, v5
	ds_read_u8 v18, v5
	v_cndmask_b32_e64 v38, v17, v15, s[16:17]
	v_cndmask_b32_e64 v17, v14, v17, s[16:17]
	v_cmp_lt_u32_e64 s[20:21], v17, v31
	v_cmp_ge_u32_e64 s[18:19], v38, v32
	s_waitcnt lgkmcnt(0)
	v_cndmask_b32_e64 v36, v18, v27, s[16:17]
	v_cndmask_b32_e64 v37, v28, v18, s[16:17]
	v_and_b32_e32 v14, v36, v29
	v_and_b32_e32 v15, v37, v29
	v_cmp_le_i16_sdwa s[22:23], sext(v14), sext(v15) src0_sel:BYTE_0 src1_sel:BYTE_0
	s_and_b64 s[20:21], s[20:21], s[22:23]
	s_or_b64 s[18:19], s[18:19], s[20:21]
	v_cndmask_b32_e64 v18, v38, v17, s[18:19]
	v_cndmask_b32_e64 v14, v32, v31, s[18:19]
	v_add_u32_e32 v39, 1, v18
	v_add_u32_e32 v14, -1, v14
	v_min_u32_e32 v14, v39, v14
	v_add_u32_e32 v14, v11, v14
	ds_read_u8 v48, v14
	v_lshl_add_u32 v14, v16, 3, v9
	v_lshl_add_u32 v16, v18, 3, v9
	ds_read_b64 v[18:19], v16 offset:1024
	v_cndmask_b32_e64 v16, v39, v38, s[18:19]
	s_waitcnt lgkmcnt(1)
	v_cndmask_b32_e64 v49, v48, v36, s[18:19]
	v_cndmask_b32_e64 v48, v37, v48, s[18:19]
	v_cndmask_b32_e64 v17, v17, v39, s[18:19]
	v_cmp_ge_u32_e64 s[20:21], v16, v32
	v_cmp_lt_u32_e64 s[22:23], v17, v31
	v_and_b32_e32 v31, v49, v29
	v_and_b32_e32 v32, v48, v29
	v_cmp_le_i16_sdwa s[28:29], sext(v31), sext(v32) src0_sel:BYTE_0 src1_sel:BYTE_0
	s_and_b64 s[22:23], s[22:23], s[28:29]
	s_or_b64 s[20:21], s[20:21], s[22:23]
	v_cndmask_b32_e64 v16, v16, v17, s[20:21]
	v_lshl_add_u32 v4, v4, 3, v9
	v_lshl_add_u32 v16, v16, 3, v9
	ds_read_b64 v[4:5], v4 offset:1024
	ds_read_b64 v[14:15], v14 offset:1024
	;; [unrolled: 1-line block ×3, first 2 shown]
	v_cndmask_b32_e64 v25, v26, v25, s[14:15]
	v_cndmask_b32_e64 v26, v27, v28, s[16:17]
	;; [unrolled: 1-line block ×4, first 2 shown]
.LBB314_44:
	s_or_b64 exec, exec, s[26:27]
	; wave barrier
	ds_write_b8 v12, v25
	s_waitcnt lgkmcnt(3)
	ds_write_b64 v30, v[4:5]
	ds_write_b8 v35, v26
	s_waitcnt lgkmcnt(4)
	ds_write_b64 v21, v[14:15]
	ds_write_b8 v34, v28
	ds_write_b64 v20, v[18:19]
	ds_write_b8 v33, v27
	s_waitcnt lgkmcnt(7)
	ds_write_b64 v13, v[16:17]
	v_and_b32_e32 v20, 0x1e0, v24
	v_or_b32_e32 v12, 16, v20
	v_min_u32_e32 v12, v10, v12
	v_add_u32_e32 v13, 16, v12
	v_min_u32_e32 v13, v10, v13
	v_min_u32_e32 v10, v10, v22
	v_sub_u32_e32 v21, v12, v20
	v_sub_u32_e32 v24, v13, v12
	v_sub_u32_e64 v24, v10, v24 clamp
	v_min_u32_e32 v21, v10, v21
	v_cmp_lt_u32_e64 s[14:15], v24, v21
	; wave barrier
	s_and_saveexec_b64 s[16:17], s[14:15]
	s_cbranch_execz .LBB314_48
; %bb.45:
	v_add_co_u32_e64 v30, s[14:15], v11, v20
	v_add_co_u32_e64 v31, s[14:15], v11, v12
	s_mov_b64 s[18:19], 0
.LBB314_46:                             ; =>This Inner Loop Header: Depth=1
	v_add_u32_e32 v32, v21, v24
	v_lshrrev_b32_e32 v32, 1, v32
	v_not_b32_e32 v33, v32
	v_add_u32_e32 v34, v30, v32
	v_add3_u32 v33, v10, v33, v31
	ds_read_u8 v34, v34
	ds_read_u8 v33, v33
	v_add_u32_e32 v35, 1, v32
	s_waitcnt lgkmcnt(1)
	v_and_b32_e32 v34, v34, v29
	s_waitcnt lgkmcnt(0)
	v_and_b32_e32 v33, v33, v29
	v_cmp_gt_i16_sdwa s[14:15], sext(v33), sext(v34) src0_sel:BYTE_0 src1_sel:BYTE_0
	v_cndmask_b32_e64 v21, v21, v32, s[14:15]
	v_cndmask_b32_e64 v24, v35, v24, s[14:15]
	v_cmp_ge_u32_e64 s[14:15], v24, v21
	s_or_b64 s[18:19], s[14:15], s[18:19]
	s_andn2_b64 exec, exec, s[18:19]
	s_cbranch_execnz .LBB314_46
; %bb.47:
	s_or_b64 exec, exec, s[18:19]
.LBB314_48:
	s_or_b64 exec, exec, s[16:17]
	v_add_u32_e32 v10, v12, v10
	v_add_u32_e32 v21, v24, v20
	v_sub_u32_e32 v24, v10, v24
	v_cmp_le_u32_e64 s[14:15], v21, v12
	v_cmp_le_u32_e64 s[16:17], v24, v13
	s_or_b64 s[14:15], s[14:15], s[16:17]
	s_and_saveexec_b64 s[26:27], s[14:15]
	s_cbranch_execz .LBB314_54
; %bb.49:
	v_cmp_lt_u32_e64 s[16:17], v21, v12
                                        ; implicit-def: $vgpr10
	s_and_saveexec_b64 s[14:15], s[16:17]
; %bb.50:
	v_add_u32_e32 v4, v11, v21
	ds_read_u8 v10, v4
; %bb.51:
	s_or_b64 exec, exec, s[14:15]
	v_cmp_ge_u32_e64 s[14:15], v24, v13
	v_cmp_lt_u32_e64 s[18:19], v24, v13
                                        ; implicit-def: $vgpr20
	s_and_saveexec_b64 s[20:21], s[18:19]
; %bb.52:
	v_add_u32_e32 v4, v11, v24
	ds_read_u8 v20, v4
; %bb.53:
	s_or_b64 exec, exec, s[20:21]
	s_waitcnt lgkmcnt(0)
	v_and_b32_e32 v4, v20, v29
	v_and_b32_e32 v5, v10, v29
	v_cmp_le_i16_sdwa s[18:19], sext(v4), sext(v5) src0_sel:BYTE_0 src1_sel:BYTE_0
	s_and_b64 s[16:17], s[16:17], s[18:19]
	s_or_b64 s[14:15], s[14:15], s[16:17]
	v_cndmask_b32_e64 v4, v24, v21, s[14:15]
	v_cndmask_b32_e64 v5, v13, v12, s[14:15]
	v_add_u32_e32 v14, 1, v4
	v_add_u32_e32 v5, -1, v5
	v_min_u32_e32 v5, v14, v5
	v_add_u32_e32 v5, v11, v5
	ds_read_u8 v5, v5
	v_cndmask_b32_e64 v15, v14, v24, s[14:15]
	v_cndmask_b32_e64 v14, v21, v14, s[14:15]
	v_cmp_lt_u32_e64 s[18:19], v14, v12
	v_cmp_ge_u32_e64 s[16:17], v15, v13
	s_waitcnt lgkmcnt(0)
	v_cndmask_b32_e64 v26, v5, v20, s[14:15]
	v_cndmask_b32_e64 v27, v10, v5, s[14:15]
	v_and_b32_e32 v5, v26, v29
	v_and_b32_e32 v16, v27, v29
	v_cmp_le_i16_sdwa s[20:21], sext(v5), sext(v16) src0_sel:BYTE_0 src1_sel:BYTE_0
	s_and_b64 s[18:19], s[18:19], s[20:21]
	s_or_b64 s[16:17], s[16:17], s[18:19]
	v_cndmask_b32_e64 v16, v15, v14, s[16:17]
	v_cndmask_b32_e64 v5, v13, v12, s[16:17]
	v_add_u32_e32 v17, 1, v16
	v_add_u32_e32 v5, -1, v5
	v_min_u32_e32 v5, v17, v5
	v_add_u32_e32 v5, v11, v5
	ds_read_u8 v18, v5
	v_cndmask_b32_e64 v25, v17, v15, s[16:17]
	v_cndmask_b32_e64 v17, v14, v17, s[16:17]
	v_cmp_lt_u32_e64 s[20:21], v17, v12
	v_cmp_ge_u32_e64 s[18:19], v25, v13
	s_waitcnt lgkmcnt(0)
	v_cndmask_b32_e64 v21, v18, v26, s[16:17]
	v_cndmask_b32_e64 v24, v27, v18, s[16:17]
	v_and_b32_e32 v14, v21, v29
	v_and_b32_e32 v15, v24, v29
	v_cmp_le_i16_sdwa s[22:23], sext(v14), sext(v15) src0_sel:BYTE_0 src1_sel:BYTE_0
	s_and_b64 s[20:21], s[20:21], s[22:23]
	s_or_b64 s[18:19], s[18:19], s[20:21]
	v_cndmask_b32_e64 v18, v25, v17, s[18:19]
	v_cndmask_b32_e64 v14, v13, v12, s[18:19]
	v_add_u32_e32 v28, 1, v18
	v_add_u32_e32 v14, -1, v14
	v_min_u32_e32 v14, v28, v14
	v_add_u32_e32 v11, v11, v14
	ds_read_u8 v11, v11
	v_lshl_add_u32 v14, v16, 3, v9
	v_lshl_add_u32 v16, v18, 3, v9
	ds_read_b64 v[18:19], v16 offset:1024
	v_cndmask_b32_e64 v16, v28, v25, s[18:19]
	s_waitcnt lgkmcnt(1)
	v_cndmask_b32_e64 v30, v11, v21, s[18:19]
	v_cndmask_b32_e64 v11, v24, v11, s[18:19]
	;; [unrolled: 1-line block ×3, first 2 shown]
	v_cmp_ge_u32_e64 s[20:21], v16, v13
	v_cmp_lt_u32_e64 s[22:23], v17, v12
	v_and_b32_e32 v12, v30, v29
	v_and_b32_e32 v13, v11, v29
	v_cmp_le_i16_sdwa s[28:29], sext(v12), sext(v13) src0_sel:BYTE_0 src1_sel:BYTE_0
	s_and_b64 s[22:23], s[22:23], s[28:29]
	s_or_b64 s[20:21], s[20:21], s[22:23]
	v_cndmask_b32_e64 v12, v16, v17, s[20:21]
	v_lshl_add_u32 v4, v4, 3, v9
	v_lshl_add_u32 v9, v12, 3, v9
	ds_read_b64 v[4:5], v4 offset:1024
	ds_read_b64 v[14:15], v14 offset:1024
	;; [unrolled: 1-line block ×3, first 2 shown]
	v_cndmask_b32_e64 v25, v20, v10, s[14:15]
	v_cndmask_b32_e64 v26, v26, v27, s[16:17]
	;; [unrolled: 1-line block ×4, first 2 shown]
.LBB314_54:
	s_or_b64 exec, exec, s[26:27]
	; wave barrier
	s_waitcnt lgkmcnt(0)
	s_barrier
                                        ; implicit-def: $vgpr24
                                        ; implicit-def: $vgpr12
                                        ; implicit-def: $vgpr13
                                        ; implicit-def: $vgpr31
                                        ; implicit-def: $vgpr9
                                        ; implicit-def: $vgpr20
.LBB314_55:
	s_andn2_saveexec_b64 s[20:21], s[24:25]
	s_cbranch_execz .LBB314_97
; %bb.56:
	s_load_dwordx2 s[14:15], s[8:9], 0x0
	v_mov_b32_e32 v10, 0
	s_waitcnt lgkmcnt(0)
	s_cmp_lt_u32 s13, s15
	s_cselect_b32 s13, 14, 20
	s_add_u32 s16, s8, s13
	s_addc_u32 s17, s9, 0
	s_cmp_lt_u32 s12, s14
	s_cselect_b32 s12, 12, 18
	s_add_u32 s8, s8, s12
	s_addc_u32 s9, s9, 0
	global_load_ushort v11, v10, s[16:17]
	global_load_ushort v21, v10, s[8:9]
	v_and_b32_e32 v10, 0x3ff, v31
	s_movk_i32 s8, 0x400
	s_waitcnt vmcnt(0)
	v_mad_u32_u24 v9, v20, v11, v9
	v_mul_lo_u32 v9, v9, v21
	v_add_lshl_u32 v11, v9, v10, 2
	v_cmp_gt_u32_e64 s[8:9], s8, v11
	s_and_saveexec_b64 s[16:17], s[8:9]
	s_cbranch_execz .LBB314_66
; %bb.57:
	s_mov_b32 s8, 0xc0c0004
	v_perm_b32 v9, v28, v27, s8
	v_lshlrev_b32_e32 v9, 16, v9
	v_perm_b32 v10, v26, v25, s8
	v_perm_b32 v20, v25, v26, s8
	v_or_b32_e32 v10, v10, v9
	v_or_b32_e32 v9, v20, v9
	v_cmp_gt_i16_sdwa s[8:9], sext(v26), sext(v25) src0_sel:BYTE_0 src1_sel:BYTE_0
	v_cndmask_b32_e64 v25, v9, v10, s[8:9]
	v_lshrrev_b32_e32 v28, 16, v25
	v_lshrrev_b32_e32 v27, 24, v25
	v_bfe_i32 v20, v27, 0, 8
	v_bfe_i32 v29, v28, 0, 8
	v_mov_b32_e32 v9, v18
	v_lshrrev_b32_e32 v26, 8, v25
	v_cmp_gt_i16_e64 s[12:13], v20, v29
	v_mov_b32_e32 v10, v19
	s_and_saveexec_b64 s[14:15], s[12:13]
; %bb.58:
	v_mov_b32_e32 v9, v16
	v_mov_b32_e32 v21, v28
	;; [unrolled: 1-line block ×4, first 2 shown]
	v_swap_b32 v28, v27
	v_mov_b32_e32 v17, v19
	v_mov_b32_e32 v29, v20
; %bb.59:
	s_or_b64 exec, exec, s[14:15]
	v_cndmask_b32_e64 v20, v14, v4, s[8:9]
	v_cndmask_b32_e64 v21, v15, v5, s[8:9]
	v_bfe_i32 v30, v26, 0, 8
	v_mov_b32_e32 v18, v20
	v_cmp_gt_i16_e64 s[12:13], v29, v30
	v_mov_b32_e32 v19, v21
	s_and_saveexec_b64 s[14:15], s[12:13]
	s_xor_b64 s[12:13], exec, s[14:15]
; %bb.60:
	v_mov_b32_e32 v19, v10
	v_mov_b32_e32 v18, v9
	;; [unrolled: 1-line block ×7, first 2 shown]
; %bb.61:
	s_or_b64 exec, exec, s[12:13]
	s_mov_b32 s12, 0xc0c0004
	v_perm_b32 v20, v28, v27, s12
	v_lshlrev_b32_e32 v20, 16, v20
	v_perm_b32 v21, v30, v25, s12
	v_perm_b32 v26, v25, v26, s12
	v_or_b32_e32 v21, v21, v20
	v_or_b32_e32 v20, v26, v20
	v_cmp_gt_i16_sdwa s[12:13], v30, sext(v25) src0_sel:DWORD src1_sel:BYTE_0
	v_cndmask_b32_e64 v25, v20, v21, s[12:13]
	v_lshrrev_b32_e32 v28, 16, v25
	v_lshrrev_b32_e32 v27, 24, v25
	v_bfe_i32 v30, v27, 0, 8
	v_bfe_i32 v29, v28, 0, 8
	v_mov_b32_e32 v21, v10
	v_lshrrev_b32_e32 v26, 8, v25
	v_cmp_gt_i16_e64 s[14:15], v30, v29
	v_mov_b32_e32 v20, v9
	s_and_saveexec_b64 s[18:19], s[14:15]
; %bb.62:
	v_mov_b32_e32 v21, v17
	v_mov_b32_e32 v29, v28
	;; [unrolled: 1-line block ×4, first 2 shown]
	v_swap_b32 v28, v27
	v_mov_b32_e32 v16, v9
	v_mov_b32_e32 v29, v30
; %bb.63:
	s_or_b64 exec, exec, s[18:19]
	v_cndmask_b32_e64 v9, v4, v14, s[8:9]
	v_cndmask_b32_e64 v10, v5, v15, s[8:9]
	;; [unrolled: 1-line block ×6, first 2 shown]
	v_mov_b32_e32 v18, v20
	v_cmp_gt_i16_sdwa s[12:13], v29, sext(v26) src0_sel:DWORD src1_sel:BYTE_0
	v_mov_b32_e32 v19, v21
	s_and_saveexec_b64 s[8:9], s[12:13]
; %bb.64:
	v_mov_b32_e32 v19, v15
	v_mov_b32_e32 v18, v14
	;; [unrolled: 1-line block ×6, first 2 shown]
; %bb.65:
	s_or_b64 exec, exec, s[8:9]
.LBB314_66:
	s_or_b64 exec, exec, s[16:17]
	v_and_b32_e32 v20, 0xffffff00, v11
	v_add_co_u32_e64 v11, s[8:9], v12, v20
	v_addc_co_u32_e64 v12, s[8:9], 0, v13, s[8:9]
	v_mad_u64_u32 v[9:10], s[8:9], v20, 7, v[11:12]
	v_add_co_u32_e64 v12, s[8:9], v11, v24
	s_movk_i32 s12, 0x400
	s_mov_b32 s8, 0xc0c0004
	v_sub_u32_e64 v10, s12, v20 clamp
	v_perm_b32 v20, v25, v26, s8
	v_perm_b32 v21, v28, v27, s8
	v_lshl_add_u32 v13, v24, 3, v9
	v_lshl_or_b32 v20, v21, 16, v20
	ds_write2_b64 v13, v[4:5], v[14:15] offset0:128 offset1:129
	ds_write_b64 v13, v[18:19] offset:1040
	ds_write_b32 v12, v20
	ds_write_b64 v13, v[16:17] offset:1048
	v_or_b32_e32 v20, 4, v24
	v_min_u32_e32 v30, v10, v20
	v_add_u32_e32 v20, 4, v30
	v_and_b32_e32 v32, 0x1f8, v24
	v_min_u32_e32 v31, v10, v20
	v_and_b32_e32 v20, 4, v24
	v_min_u32_e32 v33, v10, v20
	v_sub_u32_e32 v20, v30, v32
	v_sub_u32_e32 v21, v31, v30
	v_sub_u32_e64 v34, v33, v21 clamp
	v_min_u32_e32 v20, v33, v20
	v_cmp_lt_u32_e64 s[8:9], v34, v20
	; wave barrier
	s_and_saveexec_b64 s[12:13], s[8:9]
	s_cbranch_execz .LBB314_70
; %bb.67:
	v_add_co_u32_e64 v21, s[8:9], v11, v32
	v_add_co_u32_e64 v29, s[8:9], v11, v30
	s_mov_b64 s[14:15], 0
.LBB314_68:                             ; =>This Inner Loop Header: Depth=1
	v_add_u32_e32 v35, v20, v34
	v_lshrrev_b32_e32 v35, 1, v35
	v_not_b32_e32 v36, v35
	v_add_u32_e32 v37, v21, v35
	v_add3_u32 v36, v33, v36, v29
	ds_read_i8 v37, v37
	ds_read_i8 v36, v36
	v_add_u32_e32 v38, 1, v35
	s_waitcnt lgkmcnt(0)
	v_cmp_gt_i16_e64 s[8:9], v36, v37
	v_cndmask_b32_e64 v20, v20, v35, s[8:9]
	v_cndmask_b32_e64 v34, v38, v34, s[8:9]
	v_cmp_ge_u32_e64 s[8:9], v34, v20
	s_or_b64 s[14:15], s[8:9], s[14:15]
	s_andn2_b64 exec, exec, s[14:15]
	s_cbranch_execnz .LBB314_68
; %bb.69:
	s_or_b64 exec, exec, s[14:15]
.LBB314_70:
	s_or_b64 exec, exec, s[12:13]
	v_add_u32_e32 v33, v30, v33
	v_add_u32_e32 v32, v34, v32
	v_sub_u32_e32 v33, v33, v34
	v_cmp_le_u32_e64 s[8:9], v32, v30
	v_cmp_le_u32_e64 s[12:13], v33, v31
	v_add_u32_e32 v29, 0x400, v13
	v_add_u32_e32 v21, 0x408, v13
	;; [unrolled: 1-line block ×4, first 2 shown]
	s_or_b64 s[8:9], s[8:9], s[12:13]
	s_and_saveexec_b64 s[22:23], s[8:9]
	s_cbranch_execz .LBB314_76
; %bb.71:
	v_cmp_lt_u32_e64 s[8:9], v32, v30
                                        ; implicit-def: $vgpr25
	s_and_saveexec_b64 s[12:13], s[8:9]
; %bb.72:
	v_add_u32_e32 v4, v11, v32
	ds_read_u8 v25, v4
; %bb.73:
	s_or_b64 exec, exec, s[12:13]
	v_cmp_ge_u32_e64 s[12:13], v33, v31
	v_cmp_lt_u32_e64 s[14:15], v33, v31
                                        ; implicit-def: $vgpr26
	s_and_saveexec_b64 s[16:17], s[14:15]
; %bb.74:
	v_add_u32_e32 v4, v11, v33
	ds_read_u8 v26, v4
; %bb.75:
	s_or_b64 exec, exec, s[16:17]
	s_waitcnt lgkmcnt(0)
	v_cmp_le_i16_sdwa s[14:15], sext(v26), sext(v25) src0_sel:BYTE_0 src1_sel:BYTE_0
	s_and_b64 s[8:9], s[8:9], s[14:15]
	s_or_b64 s[8:9], s[12:13], s[8:9]
	v_cndmask_b32_e64 v4, v33, v32, s[8:9]
	v_cndmask_b32_e64 v5, v31, v30, s[8:9]
	v_add_u32_e32 v14, 1, v4
	v_add_u32_e32 v5, -1, v5
	v_min_u32_e32 v5, v14, v5
	v_add_u32_e32 v5, v11, v5
	ds_read_u8 v5, v5
	v_cndmask_b32_e64 v15, v14, v33, s[8:9]
	v_cndmask_b32_e64 v14, v32, v14, s[8:9]
	v_cmp_lt_u32_e64 s[14:15], v14, v30
	v_cmp_ge_u32_e64 s[12:13], v15, v31
	s_waitcnt lgkmcnt(0)
	v_cndmask_b32_e64 v27, v5, v26, s[8:9]
	v_cndmask_b32_e64 v28, v25, v5, s[8:9]
	v_cmp_le_i16_sdwa s[16:17], sext(v27), sext(v28) src0_sel:BYTE_0 src1_sel:BYTE_0
	s_and_b64 s[14:15], s[14:15], s[16:17]
	s_or_b64 s[12:13], s[12:13], s[14:15]
	v_cndmask_b32_e64 v16, v15, v14, s[12:13]
	v_cndmask_b32_e64 v5, v31, v30, s[12:13]
	v_add_u32_e32 v17, 1, v16
	v_add_u32_e32 v5, -1, v5
	v_min_u32_e32 v5, v17, v5
	v_add_u32_e32 v5, v11, v5
	ds_read_u8 v18, v5
	v_cndmask_b32_e64 v34, v17, v15, s[12:13]
	v_cndmask_b32_e64 v17, v14, v17, s[12:13]
	v_cmp_lt_u32_e64 s[16:17], v17, v30
	v_cmp_ge_u32_e64 s[14:15], v34, v31
	s_waitcnt lgkmcnt(0)
	v_cndmask_b32_e64 v32, v18, v27, s[12:13]
	v_cndmask_b32_e64 v33, v28, v18, s[12:13]
	v_cmp_le_i16_sdwa s[18:19], sext(v32), sext(v33) src0_sel:BYTE_0 src1_sel:BYTE_0
	s_and_b64 s[16:17], s[16:17], s[18:19]
	s_or_b64 s[14:15], s[14:15], s[16:17]
	v_cndmask_b32_e64 v18, v34, v17, s[14:15]
	v_cndmask_b32_e64 v14, v31, v30, s[14:15]
	v_add_u32_e32 v35, 1, v18
	v_add_u32_e32 v14, -1, v14
	v_min_u32_e32 v14, v35, v14
	v_add_u32_e32 v14, v11, v14
	ds_read_u8 v36, v14
	v_lshl_add_u32 v14, v16, 3, v9
	v_lshl_add_u32 v16, v18, 3, v9
	v_cndmask_b32_e64 v17, v17, v35, s[14:15]
	ds_read_b64 v[18:19], v16 offset:1024
	s_waitcnt lgkmcnt(1)
	v_cndmask_b32_e64 v37, v36, v32, s[14:15]
	v_cndmask_b32_e64 v36, v33, v36, s[14:15]
	;; [unrolled: 1-line block ×3, first 2 shown]
	v_cmp_lt_u32_e64 s[18:19], v17, v30
	v_cmp_le_i16_sdwa s[24:25], sext(v37), sext(v36) src0_sel:BYTE_0 src1_sel:BYTE_0
	v_cmp_ge_u32_e64 s[16:17], v16, v31
	s_and_b64 s[18:19], s[18:19], s[24:25]
	s_or_b64 s[16:17], s[16:17], s[18:19]
	v_cndmask_b32_e64 v16, v16, v17, s[16:17]
	v_lshl_add_u32 v4, v4, 3, v9
	v_lshl_add_u32 v16, v16, 3, v9
	ds_read_b64 v[4:5], v4 offset:1024
	ds_read_b64 v[14:15], v14 offset:1024
	;; [unrolled: 1-line block ×3, first 2 shown]
	v_cndmask_b32_e64 v25, v26, v25, s[8:9]
	v_cndmask_b32_e64 v26, v27, v28, s[12:13]
	;; [unrolled: 1-line block ×4, first 2 shown]
.LBB314_76:
	s_or_b64 exec, exec, s[22:23]
	v_and_b32_e32 v35, 0x1f0, v24
	v_or_b32_e32 v30, 8, v35
	v_min_u32_e32 v30, v10, v30
	v_add_u32_e32 v31, 8, v30
	v_min_u32_e32 v32, v10, v31
	v_and_b32_e32 v31, 12, v24
	v_min_u32_e32 v36, v10, v31
	v_sub_u32_e32 v31, v30, v35
	v_sub_u32_e32 v33, v32, v30
	v_sub_u32_e64 v37, v36, v33 clamp
	v_min_u32_e32 v31, v36, v31
	v_cmp_lt_u32_e64 s[8:9], v37, v31
	; wave barrier
	ds_write_b8 v12, v25
	s_waitcnt lgkmcnt(3)
	ds_write_b64 v29, v[4:5]
	ds_write_b8 v12, v26 offset:1
	s_waitcnt lgkmcnt(4)
	ds_write_b64 v21, v[14:15]
	ds_write_b8 v12, v28 offset:2
	ds_write_b64 v20, v[18:19]
	ds_write_b8 v12, v27 offset:3
	s_waitcnt lgkmcnt(7)
	ds_write_b64 v13, v[16:17]
	; wave barrier
	s_and_saveexec_b64 s[12:13], s[8:9]
	s_cbranch_execz .LBB314_80
; %bb.77:
	v_add_co_u32_e64 v33, s[8:9], v11, v35
	v_add_co_u32_e64 v34, s[8:9], v11, v30
	s_mov_b64 s[14:15], 0
.LBB314_78:                             ; =>This Inner Loop Header: Depth=1
	v_add_u32_e32 v38, v31, v37
	v_lshrrev_b32_e32 v38, 1, v38
	v_not_b32_e32 v39, v38
	v_add_u32_e32 v48, v33, v38
	v_add3_u32 v39, v36, v39, v34
	ds_read_i8 v48, v48
	ds_read_i8 v39, v39
	v_add_u32_e32 v49, 1, v38
	s_waitcnt lgkmcnt(0)
	v_cmp_gt_i16_e64 s[8:9], v39, v48
	v_cndmask_b32_e64 v31, v31, v38, s[8:9]
	v_cndmask_b32_e64 v37, v49, v37, s[8:9]
	v_cmp_ge_u32_e64 s[8:9], v37, v31
	s_or_b64 s[14:15], s[8:9], s[14:15]
	s_andn2_b64 exec, exec, s[14:15]
	s_cbranch_execnz .LBB314_78
; %bb.79:
	s_or_b64 exec, exec, s[14:15]
.LBB314_80:
	s_or_b64 exec, exec, s[12:13]
	v_add_u32_e32 v36, v30, v36
	v_add_u32_e32 v35, v37, v35
	v_sub_u32_e32 v36, v36, v37
	v_cmp_le_u32_e64 s[8:9], v35, v30
	v_cmp_le_u32_e64 s[12:13], v36, v32
	v_add_u32_e32 v34, 1, v12
	v_add_u32_e32 v33, 2, v12
	;; [unrolled: 1-line block ×3, first 2 shown]
	s_or_b64 s[8:9], s[8:9], s[12:13]
	s_and_saveexec_b64 s[22:23], s[8:9]
	s_cbranch_execz .LBB314_86
; %bb.81:
	v_cmp_lt_u32_e64 s[8:9], v35, v30
                                        ; implicit-def: $vgpr25
	s_and_saveexec_b64 s[12:13], s[8:9]
; %bb.82:
	v_add_u32_e32 v4, v11, v35
	ds_read_u8 v25, v4
; %bb.83:
	s_or_b64 exec, exec, s[12:13]
	v_cmp_ge_u32_e64 s[12:13], v36, v32
	v_cmp_lt_u32_e64 s[14:15], v36, v32
                                        ; implicit-def: $vgpr26
	s_and_saveexec_b64 s[16:17], s[14:15]
; %bb.84:
	v_add_u32_e32 v4, v11, v36
	ds_read_u8 v26, v4
; %bb.85:
	s_or_b64 exec, exec, s[16:17]
	s_waitcnt lgkmcnt(0)
	v_cmp_le_i16_sdwa s[14:15], sext(v26), sext(v25) src0_sel:BYTE_0 src1_sel:BYTE_0
	s_and_b64 s[8:9], s[8:9], s[14:15]
	s_or_b64 s[8:9], s[12:13], s[8:9]
	v_cndmask_b32_e64 v4, v36, v35, s[8:9]
	v_cndmask_b32_e64 v5, v32, v30, s[8:9]
	v_add_u32_e32 v14, 1, v4
	v_add_u32_e32 v5, -1, v5
	v_min_u32_e32 v5, v14, v5
	v_add_u32_e32 v5, v11, v5
	ds_read_u8 v5, v5
	v_cndmask_b32_e64 v15, v14, v36, s[8:9]
	v_cndmask_b32_e64 v14, v35, v14, s[8:9]
	v_cmp_lt_u32_e64 s[14:15], v14, v30
	v_cmp_ge_u32_e64 s[12:13], v15, v32
	s_waitcnt lgkmcnt(0)
	v_cndmask_b32_e64 v27, v5, v26, s[8:9]
	v_cndmask_b32_e64 v28, v25, v5, s[8:9]
	v_cmp_le_i16_sdwa s[16:17], sext(v27), sext(v28) src0_sel:BYTE_0 src1_sel:BYTE_0
	s_and_b64 s[14:15], s[14:15], s[16:17]
	s_or_b64 s[12:13], s[12:13], s[14:15]
	v_cndmask_b32_e64 v16, v15, v14, s[12:13]
	v_cndmask_b32_e64 v5, v32, v30, s[12:13]
	v_add_u32_e32 v17, 1, v16
	v_add_u32_e32 v5, -1, v5
	v_min_u32_e32 v5, v17, v5
	v_add_u32_e32 v5, v11, v5
	ds_read_u8 v18, v5
	v_cndmask_b32_e64 v37, v17, v15, s[12:13]
	v_cndmask_b32_e64 v17, v14, v17, s[12:13]
	v_cmp_lt_u32_e64 s[16:17], v17, v30
	v_cmp_ge_u32_e64 s[14:15], v37, v32
	s_waitcnt lgkmcnt(0)
	v_cndmask_b32_e64 v35, v18, v27, s[12:13]
	v_cndmask_b32_e64 v36, v28, v18, s[12:13]
	v_cmp_le_i16_sdwa s[18:19], sext(v35), sext(v36) src0_sel:BYTE_0 src1_sel:BYTE_0
	s_and_b64 s[16:17], s[16:17], s[18:19]
	s_or_b64 s[14:15], s[14:15], s[16:17]
	v_cndmask_b32_e64 v18, v37, v17, s[14:15]
	v_cndmask_b32_e64 v14, v32, v30, s[14:15]
	v_add_u32_e32 v38, 1, v18
	v_add_u32_e32 v14, -1, v14
	v_min_u32_e32 v14, v38, v14
	v_add_u32_e32 v14, v11, v14
	ds_read_u8 v39, v14
	v_lshl_add_u32 v14, v16, 3, v9
	v_lshl_add_u32 v16, v18, 3, v9
	v_cndmask_b32_e64 v17, v17, v38, s[14:15]
	ds_read_b64 v[18:19], v16 offset:1024
	s_waitcnt lgkmcnt(1)
	v_cndmask_b32_e64 v48, v39, v35, s[14:15]
	v_cndmask_b32_e64 v39, v36, v39, s[14:15]
	;; [unrolled: 1-line block ×3, first 2 shown]
	v_cmp_lt_u32_e64 s[18:19], v17, v30
	v_cmp_le_i16_sdwa s[24:25], sext(v48), sext(v39) src0_sel:BYTE_0 src1_sel:BYTE_0
	v_cmp_ge_u32_e64 s[16:17], v16, v32
	s_and_b64 s[18:19], s[18:19], s[24:25]
	s_or_b64 s[16:17], s[16:17], s[18:19]
	v_cndmask_b32_e64 v16, v16, v17, s[16:17]
	v_lshl_add_u32 v4, v4, 3, v9
	v_lshl_add_u32 v16, v16, 3, v9
	ds_read_b64 v[4:5], v4 offset:1024
	ds_read_b64 v[14:15], v14 offset:1024
	;; [unrolled: 1-line block ×3, first 2 shown]
	v_cndmask_b32_e64 v25, v26, v25, s[8:9]
	v_cndmask_b32_e64 v26, v27, v28, s[12:13]
	;; [unrolled: 1-line block ×4, first 2 shown]
.LBB314_86:
	s_or_b64 exec, exec, s[22:23]
	; wave barrier
	ds_write_b8 v12, v25
	s_waitcnt lgkmcnt(3)
	ds_write_b64 v29, v[4:5]
	ds_write_b8 v34, v26
	s_waitcnt lgkmcnt(4)
	ds_write_b64 v21, v[14:15]
	ds_write_b8 v33, v28
	ds_write_b64 v20, v[18:19]
	ds_write_b8 v31, v27
	s_waitcnt lgkmcnt(7)
	ds_write_b64 v13, v[16:17]
	v_and_b32_e32 v20, 0x1e0, v24
	v_or_b32_e32 v12, 16, v20
	v_min_u32_e32 v12, v10, v12
	v_add_u32_e32 v13, 16, v12
	v_min_u32_e32 v13, v10, v13
	v_min_u32_e32 v10, v10, v22
	v_sub_u32_e32 v21, v12, v20
	v_sub_u32_e32 v24, v13, v12
	v_sub_u32_e64 v24, v10, v24 clamp
	v_min_u32_e32 v21, v10, v21
	v_cmp_lt_u32_e64 s[8:9], v24, v21
	; wave barrier
	s_and_saveexec_b64 s[12:13], s[8:9]
	s_cbranch_execz .LBB314_90
; %bb.87:
	v_add_co_u32_e64 v29, s[8:9], v11, v20
	v_add_co_u32_e64 v30, s[8:9], v11, v12
	s_mov_b64 s[14:15], 0
.LBB314_88:                             ; =>This Inner Loop Header: Depth=1
	v_add_u32_e32 v31, v21, v24
	v_lshrrev_b32_e32 v31, 1, v31
	v_not_b32_e32 v32, v31
	v_add_u32_e32 v33, v29, v31
	v_add3_u32 v32, v10, v32, v30
	ds_read_i8 v33, v33
	ds_read_i8 v32, v32
	v_add_u32_e32 v34, 1, v31
	s_waitcnt lgkmcnt(0)
	v_cmp_gt_i16_e64 s[8:9], v32, v33
	v_cndmask_b32_e64 v21, v21, v31, s[8:9]
	v_cndmask_b32_e64 v24, v34, v24, s[8:9]
	v_cmp_ge_u32_e64 s[8:9], v24, v21
	s_or_b64 s[14:15], s[8:9], s[14:15]
	s_andn2_b64 exec, exec, s[14:15]
	s_cbranch_execnz .LBB314_88
; %bb.89:
	s_or_b64 exec, exec, s[14:15]
.LBB314_90:
	s_or_b64 exec, exec, s[12:13]
	v_add_u32_e32 v10, v12, v10
	v_add_u32_e32 v21, v24, v20
	v_sub_u32_e32 v24, v10, v24
	v_cmp_le_u32_e64 s[8:9], v21, v12
	v_cmp_le_u32_e64 s[12:13], v24, v13
	s_or_b64 s[8:9], s[8:9], s[12:13]
	s_and_saveexec_b64 s[22:23], s[8:9]
	s_cbranch_execz .LBB314_96
; %bb.91:
	v_cmp_lt_u32_e64 s[8:9], v21, v12
                                        ; implicit-def: $vgpr10
	s_and_saveexec_b64 s[12:13], s[8:9]
; %bb.92:
	v_add_u32_e32 v4, v11, v21
	ds_read_u8 v10, v4
; %bb.93:
	s_or_b64 exec, exec, s[12:13]
	v_cmp_ge_u32_e64 s[12:13], v24, v13
	v_cmp_lt_u32_e64 s[14:15], v24, v13
                                        ; implicit-def: $vgpr20
	s_and_saveexec_b64 s[16:17], s[14:15]
; %bb.94:
	v_add_u32_e32 v4, v11, v24
	ds_read_u8 v20, v4
; %bb.95:
	s_or_b64 exec, exec, s[16:17]
	s_waitcnt lgkmcnt(0)
	v_cmp_le_i16_sdwa s[14:15], sext(v20), sext(v10) src0_sel:BYTE_0 src1_sel:BYTE_0
	s_and_b64 s[8:9], s[8:9], s[14:15]
	s_or_b64 s[8:9], s[12:13], s[8:9]
	v_cndmask_b32_e64 v4, v24, v21, s[8:9]
	v_cndmask_b32_e64 v5, v13, v12, s[8:9]
	v_add_u32_e32 v14, 1, v4
	v_add_u32_e32 v5, -1, v5
	v_min_u32_e32 v5, v14, v5
	v_add_u32_e32 v5, v11, v5
	ds_read_u8 v5, v5
	v_cndmask_b32_e64 v15, v14, v24, s[8:9]
	v_cndmask_b32_e64 v14, v21, v14, s[8:9]
	v_cmp_lt_u32_e64 s[14:15], v14, v12
	v_cmp_ge_u32_e64 s[12:13], v15, v13
	s_waitcnt lgkmcnt(0)
	v_cndmask_b32_e64 v24, v5, v20, s[8:9]
	v_cndmask_b32_e64 v26, v10, v5, s[8:9]
	v_cmp_le_i16_sdwa s[16:17], sext(v24), sext(v26) src0_sel:BYTE_0 src1_sel:BYTE_0
	s_and_b64 s[14:15], s[14:15], s[16:17]
	s_or_b64 s[12:13], s[12:13], s[14:15]
	v_cndmask_b32_e64 v16, v15, v14, s[12:13]
	v_cndmask_b32_e64 v5, v13, v12, s[12:13]
	v_add_u32_e32 v17, 1, v16
	v_add_u32_e32 v5, -1, v5
	v_min_u32_e32 v5, v17, v5
	v_add_u32_e32 v5, v11, v5
	ds_read_u8 v18, v5
	v_cndmask_b32_e64 v25, v17, v15, s[12:13]
	v_cndmask_b32_e64 v17, v14, v17, s[12:13]
	v_cmp_lt_u32_e64 s[16:17], v17, v12
	v_cmp_ge_u32_e64 s[14:15], v25, v13
	s_waitcnt lgkmcnt(0)
	v_cndmask_b32_e64 v21, v18, v24, s[12:13]
	v_cndmask_b32_e64 v27, v26, v18, s[12:13]
	v_cmp_le_i16_sdwa s[18:19], sext(v21), sext(v27) src0_sel:BYTE_0 src1_sel:BYTE_0
	s_and_b64 s[16:17], s[16:17], s[18:19]
	s_or_b64 s[14:15], s[14:15], s[16:17]
	v_cndmask_b32_e64 v18, v25, v17, s[14:15]
	v_cndmask_b32_e64 v14, v13, v12, s[14:15]
	v_add_u32_e32 v28, 1, v18
	v_add_u32_e32 v14, -1, v14
	v_min_u32_e32 v14, v28, v14
	v_add_u32_e32 v11, v11, v14
	ds_read_u8 v11, v11
	v_lshl_add_u32 v14, v16, 3, v9
	v_lshl_add_u32 v16, v18, 3, v9
	v_cndmask_b32_e64 v17, v17, v28, s[14:15]
	ds_read_b64 v[18:19], v16 offset:1024
	s_waitcnt lgkmcnt(1)
	v_cndmask_b32_e64 v29, v11, v21, s[14:15]
	v_cndmask_b32_e64 v11, v27, v11, s[14:15]
	;; [unrolled: 1-line block ×3, first 2 shown]
	v_cmp_lt_u32_e64 s[18:19], v17, v12
	v_cmp_le_i16_sdwa s[24:25], sext(v29), sext(v11) src0_sel:BYTE_0 src1_sel:BYTE_0
	v_cmp_ge_u32_e64 s[16:17], v16, v13
	s_and_b64 s[18:19], s[18:19], s[24:25]
	s_or_b64 s[16:17], s[16:17], s[18:19]
	v_cndmask_b32_e64 v12, v16, v17, s[16:17]
	v_lshl_add_u32 v4, v4, 3, v9
	v_lshl_add_u32 v9, v12, 3, v9
	ds_read_b64 v[4:5], v4 offset:1024
	ds_read_b64 v[14:15], v14 offset:1024
	;; [unrolled: 1-line block ×3, first 2 shown]
	v_cndmask_b32_e64 v25, v20, v10, s[8:9]
	v_cndmask_b32_e64 v26, v24, v26, s[12:13]
	;; [unrolled: 1-line block ×4, first 2 shown]
.LBB314_96:
	s_or_b64 exec, exec, s[22:23]
	; wave barrier
	s_waitcnt lgkmcnt(0)
	s_barrier
.LBB314_97:
	s_or_b64 exec, exec, s[20:21]
	v_add_co_u32_e64 v2, s[8:9], v2, v8
	v_addc_co_u32_e64 v3, s[8:9], 0, v3, s[8:9]
	v_add_co_u32_e64 v2, s[8:9], v2, v22
	v_addc_co_u32_e64 v3, s[8:9], 0, v3, s[8:9]
	s_waitcnt lgkmcnt(0)
	; wave barrier
	s_and_saveexec_b64 s[8:9], vcc
	s_cbranch_execnz .LBB314_110
; %bb.98:
	s_or_b64 exec, exec, s[8:9]
	s_and_saveexec_b64 s[8:9], s[4:5]
	s_cbranch_execnz .LBB314_111
.LBB314_99:
	s_or_b64 exec, exec, s[8:9]
	s_and_saveexec_b64 s[8:9], s[6:7]
	s_cbranch_execnz .LBB314_112
.LBB314_100:
	s_or_b64 exec, exec, s[8:9]
	s_and_saveexec_b64 s[8:9], s[10:11]
	s_cbranch_execz .LBB314_102
.LBB314_101:
	s_waitcnt vmcnt(0)
	flat_store_byte v[2:3], v27 offset:3
.LBB314_102:
	s_or_b64 exec, exec, s[8:9]
	v_add_co_u32_e64 v0, s[8:9], v6, v0
	v_addc_co_u32_e64 v1, s[8:9], v7, v1, s[8:9]
	v_add_co_u32_e64 v0, s[8:9], v0, v23
	v_addc_co_u32_e64 v1, s[8:9], 0, v1, s[8:9]
	; wave barrier
	s_and_saveexec_b64 s[8:9], vcc
	s_cbranch_execnz .LBB314_113
; %bb.103:
	s_or_b64 exec, exec, s[8:9]
	s_and_saveexec_b64 s[8:9], s[4:5]
	s_cbranch_execnz .LBB314_114
.LBB314_104:
	s_or_b64 exec, exec, s[8:9]
	s_and_saveexec_b64 s[4:5], s[6:7]
	s_cbranch_execnz .LBB314_115
.LBB314_105:
	s_or_b64 exec, exec, s[4:5]
	s_and_saveexec_b64 s[4:5], s[10:11]
	s_cbranch_execnz .LBB314_116
.LBB314_106:
	s_or_b64 exec, exec, s[4:5]
	s_waitcnt vmcnt(0) lgkmcnt(0)
	s_setpc_b64 s[30:31]
.LBB314_107:
	flat_load_dwordx2 v[4:5], v[20:21]
	s_or_b64 exec, exec, s[14:15]
                                        ; implicit-def: $vgpr14_vgpr15
	s_and_saveexec_b64 s[14:15], s[4:5]
	s_cbranch_execz .LBB314_10
.LBB314_108:
	flat_load_dwordx2 v[14:15], v[20:21] offset:8
	s_or_b64 exec, exec, s[14:15]
                                        ; implicit-def: $vgpr18_vgpr19
	s_and_saveexec_b64 s[14:15], s[6:7]
	s_cbranch_execz .LBB314_11
.LBB314_109:
	flat_load_dwordx2 v[18:19], v[20:21] offset:16
	s_or_b64 exec, exec, s[14:15]
                                        ; implicit-def: $vgpr16_vgpr17
	s_and_saveexec_b64 s[14:15], s[10:11]
	s_cbranch_execnz .LBB314_12
	s_branch .LBB314_13
.LBB314_110:
	s_waitcnt vmcnt(0)
	flat_store_byte v[2:3], v25
	s_or_b64 exec, exec, s[8:9]
	s_and_saveexec_b64 s[8:9], s[4:5]
	s_cbranch_execz .LBB314_99
.LBB314_111:
	s_waitcnt vmcnt(0)
	flat_store_byte v[2:3], v26 offset:1
	s_or_b64 exec, exec, s[8:9]
	s_and_saveexec_b64 s[8:9], s[6:7]
	s_cbranch_execz .LBB314_100
.LBB314_112:
	s_waitcnt vmcnt(0)
	flat_store_byte v[2:3], v28 offset:2
	s_or_b64 exec, exec, s[8:9]
	s_and_saveexec_b64 s[8:9], s[10:11]
	s_cbranch_execnz .LBB314_101
	s_branch .LBB314_102
.LBB314_113:
	s_waitcnt vmcnt(0)
	flat_store_dwordx2 v[0:1], v[4:5]
	s_or_b64 exec, exec, s[8:9]
	s_and_saveexec_b64 s[8:9], s[4:5]
	s_cbranch_execz .LBB314_104
.LBB314_114:
	s_waitcnt vmcnt(0)
	flat_store_dwordx2 v[0:1], v[14:15] offset:8
	s_or_b64 exec, exec, s[8:9]
	s_and_saveexec_b64 s[4:5], s[6:7]
	s_cbranch_execz .LBB314_105
.LBB314_115:
	s_waitcnt vmcnt(0)
	flat_store_dwordx2 v[0:1], v[18:19] offset:16
	s_or_b64 exec, exec, s[4:5]
	s_and_saveexec_b64 s[4:5], s[10:11]
	s_cbranch_execz .LBB314_106
.LBB314_116:
	s_waitcnt vmcnt(0)
	flat_store_dwordx2 v[0:1], v[16:17] offset:24
	s_or_b64 exec, exec, s[4:5]
	s_waitcnt vmcnt(0) lgkmcnt(0)
	s_setpc_b64 s[30:31]
.Lfunc_end314:
	.size	_ZN7rocprim17ROCPRIM_400000_NS6detail26segmented_warp_sort_helperINS1_20WarpSortHelperConfigILj8ELj4ELj256EEEalLi256ELb1EvE4sortIPKaPaPKlPlEEvT_T0_T1_T2_jjjjRNS5_12storage_typeE, .Lfunc_end314-_ZN7rocprim17ROCPRIM_400000_NS6detail26segmented_warp_sort_helperINS1_20WarpSortHelperConfigILj8ELj4ELj256EEEalLi256ELb1EvE4sortIPKaPaPKlPlEEvT_T0_T1_T2_jjjjRNS5_12storage_typeE
                                        ; -- End function
	.set .L_ZN7rocprim17ROCPRIM_400000_NS6detail26segmented_warp_sort_helperINS1_20WarpSortHelperConfigILj8ELj4ELj256EEEalLi256ELb1EvE4sortIPKaPaPKlPlEEvT_T0_T1_T2_jjjjRNS5_12storage_typeE.num_vgpr, 51
	.set .L_ZN7rocprim17ROCPRIM_400000_NS6detail26segmented_warp_sort_helperINS1_20WarpSortHelperConfigILj8ELj4ELj256EEEalLi256ELb1EvE4sortIPKaPaPKlPlEEvT_T0_T1_T2_jjjjRNS5_12storage_typeE.num_agpr, 0
	.set .L_ZN7rocprim17ROCPRIM_400000_NS6detail26segmented_warp_sort_helperINS1_20WarpSortHelperConfigILj8ELj4ELj256EEEalLi256ELb1EvE4sortIPKaPaPKlPlEEvT_T0_T1_T2_jjjjRNS5_12storage_typeE.numbered_sgpr, 32
	.set .L_ZN7rocprim17ROCPRIM_400000_NS6detail26segmented_warp_sort_helperINS1_20WarpSortHelperConfigILj8ELj4ELj256EEEalLi256ELb1EvE4sortIPKaPaPKlPlEEvT_T0_T1_T2_jjjjRNS5_12storage_typeE.num_named_barrier, 0
	.set .L_ZN7rocprim17ROCPRIM_400000_NS6detail26segmented_warp_sort_helperINS1_20WarpSortHelperConfigILj8ELj4ELj256EEEalLi256ELb1EvE4sortIPKaPaPKlPlEEvT_T0_T1_T2_jjjjRNS5_12storage_typeE.private_seg_size, 0
	.set .L_ZN7rocprim17ROCPRIM_400000_NS6detail26segmented_warp_sort_helperINS1_20WarpSortHelperConfigILj8ELj4ELj256EEEalLi256ELb1EvE4sortIPKaPaPKlPlEEvT_T0_T1_T2_jjjjRNS5_12storage_typeE.uses_vcc, 1
	.set .L_ZN7rocprim17ROCPRIM_400000_NS6detail26segmented_warp_sort_helperINS1_20WarpSortHelperConfigILj8ELj4ELj256EEEalLi256ELb1EvE4sortIPKaPaPKlPlEEvT_T0_T1_T2_jjjjRNS5_12storage_typeE.uses_flat_scratch, 0
	.set .L_ZN7rocprim17ROCPRIM_400000_NS6detail26segmented_warp_sort_helperINS1_20WarpSortHelperConfigILj8ELj4ELj256EEEalLi256ELb1EvE4sortIPKaPaPKlPlEEvT_T0_T1_T2_jjjjRNS5_12storage_typeE.has_dyn_sized_stack, 0
	.set .L_ZN7rocprim17ROCPRIM_400000_NS6detail26segmented_warp_sort_helperINS1_20WarpSortHelperConfigILj8ELj4ELj256EEEalLi256ELb1EvE4sortIPKaPaPKlPlEEvT_T0_T1_T2_jjjjRNS5_12storage_typeE.has_recursion, 0
	.set .L_ZN7rocprim17ROCPRIM_400000_NS6detail26segmented_warp_sort_helperINS1_20WarpSortHelperConfigILj8ELj4ELj256EEEalLi256ELb1EvE4sortIPKaPaPKlPlEEvT_T0_T1_T2_jjjjRNS5_12storage_typeE.has_indirect_call, 0
	.section	.AMDGPU.csdata,"",@progbits
; Function info:
; codeLenInByte = 7276
; TotalNumSgprs: 36
; NumVgprs: 51
; ScratchSize: 0
; MemoryBound: 0
	.section	.text._ZN7rocprim17ROCPRIM_400000_NS6detail17trampoline_kernelINS0_14default_configENS1_36segmented_radix_sort_config_selectorIalEEZNS1_25segmented_radix_sort_implIS3_Lb1EPKaPaPKlPlN2at6native12_GLOBAL__N_18offset_tEEE10hipError_tPvRmT1_PNSt15iterator_traitsISK_E10value_typeET2_T3_PNSL_ISQ_E10value_typeET4_jRbjT5_SW_jjP12ihipStream_tbEUlT_E1_NS1_11comp_targetILNS1_3genE2ELNS1_11target_archE906ELNS1_3gpuE6ELNS1_3repE0EEENS1_59segmented_radix_sort_warp_sort_small_config_static_selectorELNS0_4arch9wavefront6targetE1EEEvSK_,"axG",@progbits,_ZN7rocprim17ROCPRIM_400000_NS6detail17trampoline_kernelINS0_14default_configENS1_36segmented_radix_sort_config_selectorIalEEZNS1_25segmented_radix_sort_implIS3_Lb1EPKaPaPKlPlN2at6native12_GLOBAL__N_18offset_tEEE10hipError_tPvRmT1_PNSt15iterator_traitsISK_E10value_typeET2_T3_PNSL_ISQ_E10value_typeET4_jRbjT5_SW_jjP12ihipStream_tbEUlT_E1_NS1_11comp_targetILNS1_3genE2ELNS1_11target_archE906ELNS1_3gpuE6ELNS1_3repE0EEENS1_59segmented_radix_sort_warp_sort_small_config_static_selectorELNS0_4arch9wavefront6targetE1EEEvSK_,comdat
	.globl	_ZN7rocprim17ROCPRIM_400000_NS6detail17trampoline_kernelINS0_14default_configENS1_36segmented_radix_sort_config_selectorIalEEZNS1_25segmented_radix_sort_implIS3_Lb1EPKaPaPKlPlN2at6native12_GLOBAL__N_18offset_tEEE10hipError_tPvRmT1_PNSt15iterator_traitsISK_E10value_typeET2_T3_PNSL_ISQ_E10value_typeET4_jRbjT5_SW_jjP12ihipStream_tbEUlT_E1_NS1_11comp_targetILNS1_3genE2ELNS1_11target_archE906ELNS1_3gpuE6ELNS1_3repE0EEENS1_59segmented_radix_sort_warp_sort_small_config_static_selectorELNS0_4arch9wavefront6targetE1EEEvSK_ ; -- Begin function _ZN7rocprim17ROCPRIM_400000_NS6detail17trampoline_kernelINS0_14default_configENS1_36segmented_radix_sort_config_selectorIalEEZNS1_25segmented_radix_sort_implIS3_Lb1EPKaPaPKlPlN2at6native12_GLOBAL__N_18offset_tEEE10hipError_tPvRmT1_PNSt15iterator_traitsISK_E10value_typeET2_T3_PNSL_ISQ_E10value_typeET4_jRbjT5_SW_jjP12ihipStream_tbEUlT_E1_NS1_11comp_targetILNS1_3genE2ELNS1_11target_archE906ELNS1_3gpuE6ELNS1_3repE0EEENS1_59segmented_radix_sort_warp_sort_small_config_static_selectorELNS0_4arch9wavefront6targetE1EEEvSK_
	.p2align	8
	.type	_ZN7rocprim17ROCPRIM_400000_NS6detail17trampoline_kernelINS0_14default_configENS1_36segmented_radix_sort_config_selectorIalEEZNS1_25segmented_radix_sort_implIS3_Lb1EPKaPaPKlPlN2at6native12_GLOBAL__N_18offset_tEEE10hipError_tPvRmT1_PNSt15iterator_traitsISK_E10value_typeET2_T3_PNSL_ISQ_E10value_typeET4_jRbjT5_SW_jjP12ihipStream_tbEUlT_E1_NS1_11comp_targetILNS1_3genE2ELNS1_11target_archE906ELNS1_3gpuE6ELNS1_3repE0EEENS1_59segmented_radix_sort_warp_sort_small_config_static_selectorELNS0_4arch9wavefront6targetE1EEEvSK_,@function
_ZN7rocprim17ROCPRIM_400000_NS6detail17trampoline_kernelINS0_14default_configENS1_36segmented_radix_sort_config_selectorIalEEZNS1_25segmented_radix_sort_implIS3_Lb1EPKaPaPKlPlN2at6native12_GLOBAL__N_18offset_tEEE10hipError_tPvRmT1_PNSt15iterator_traitsISK_E10value_typeET2_T3_PNSL_ISQ_E10value_typeET4_jRbjT5_SW_jjP12ihipStream_tbEUlT_E1_NS1_11comp_targetILNS1_3genE2ELNS1_11target_archE906ELNS1_3gpuE6ELNS1_3repE0EEENS1_59segmented_radix_sort_warp_sort_small_config_static_selectorELNS0_4arch9wavefront6targetE1EEEvSK_: ; @_ZN7rocprim17ROCPRIM_400000_NS6detail17trampoline_kernelINS0_14default_configENS1_36segmented_radix_sort_config_selectorIalEEZNS1_25segmented_radix_sort_implIS3_Lb1EPKaPaPKlPlN2at6native12_GLOBAL__N_18offset_tEEE10hipError_tPvRmT1_PNSt15iterator_traitsISK_E10value_typeET2_T3_PNSL_ISQ_E10value_typeET4_jRbjT5_SW_jjP12ihipStream_tbEUlT_E1_NS1_11comp_targetILNS1_3genE2ELNS1_11target_archE906ELNS1_3gpuE6ELNS1_3repE0EEENS1_59segmented_radix_sort_warp_sort_small_config_static_selectorELNS0_4arch9wavefront6targetE1EEEvSK_
; %bb.0:
	s_add_u32 s0, s0, s8
	s_load_dword s8, s[4:5], 0x64
	s_addc_u32 s1, s1, 0
	s_mov_b32 s32, 0
	s_waitcnt lgkmcnt(0)
	s_lshr_b32 s9, s8, 16
	s_and_b32 s8, s8, 0xffff
	v_mad_u32_u24 v3, v2, s9, v1
	v_mad_u64_u32 v[3:4], s[8:9], v3, s8, v[0:1]
	s_load_dword s8, s[4:5], 0x34
	v_lshrrev_b32_e32 v3, 3, v3
	v_lshl_add_u32 v3, s6, 5, v3
	s_waitcnt lgkmcnt(0)
	v_cmp_gt_u32_e32 vcc, s8, v3
	s_and_saveexec_b64 s[8:9], vcc
	s_cbranch_execz .LBB315_6
; %bb.1:
	s_load_dwordx2 s[12:13], s[4:5], 0x38
	s_load_dwordx4 s[8:11], s[4:5], 0x40
	v_mov_b32_e32 v4, 0
	v_lshlrev_b64 v[3:4], 2, v[3:4]
	s_waitcnt lgkmcnt(0)
	v_mov_b32_e32 v5, s13
	v_sub_co_u32_e32 v3, vcc, s12, v3
	v_subb_co_u32_e32 v4, vcc, v5, v4, vcc
	global_load_dword v3, v[3:4], off offset:-4
	s_waitcnt vmcnt(0)
	v_add_u32_e32 v4, s9, v3
	v_add_u32_e32 v3, s11, v3
	v_mul_lo_u32 v8, v4, s8
	v_mul_lo_u32 v40, v3, s10
	v_cmp_gt_u32_e32 vcc, v40, v8
	s_and_b64 exec, exec, vcc
	s_cbranch_execz .LBB315_6
; %bb.2:
	s_load_dword s10, s[4:5], 0x30
	s_load_dwordx4 s[44:47], s[4:5], 0x20
	s_load_dwordx8 s[36:43], s[4:5], 0x0
	s_load_dwordx2 s[34:35], s[4:5], 0x50
	s_mov_b64 s[8:9], -1
	s_waitcnt lgkmcnt(0)
	s_bitcmp0_b32 s10, 0
	v_lshlrev_b32_e32 v42, 20, v2
	v_lshlrev_b32_e32 v43, 10, v1
	s_cbranch_scc0 .LBB315_4
; %bb.3:
	s_add_u32 s8, s4, 0x58
	s_mov_b64 s[10:11], src_shared_base
	s_addc_u32 s9, s5, 0
	s_getpc_b64 s[14:15]
	s_add_u32 s14, s14, _ZN7rocprim17ROCPRIM_400000_NS6detail26segmented_warp_sort_helperINS1_20WarpSortHelperConfigILj8ELj4ELj256EEEalLi256ELb1EvE4sortIPKaPaPKlPlEEvT_T0_T1_T2_jjjjRNS5_12storage_typeE@rel32@lo+4
	s_addc_u32 s15, s15, _ZN7rocprim17ROCPRIM_400000_NS6detail26segmented_warp_sort_helperINS1_20WarpSortHelperConfigILj8ELj4ELj256EEEalLi256ELb1EvE4sortIPKaPaPKlPlEEvT_T0_T1_T2_jjjjRNS5_12storage_typeE@rel32@hi+12
	v_or3_b32 v31, v0, v43, v42
	s_mov_b32 s12, s6
	s_mov_b32 s13, s7
	v_mov_b32_e32 v41, v0
	v_mov_b32_e32 v0, s36
	;; [unrolled: 1-line block ×14, first 2 shown]
	s_mov_b64 s[38:39], s[4:5]
	s_mov_b32 s44, s7
	s_mov_b32 s33, s6
	s_swappc_b64 s[30:31], s[14:15]
	v_mov_b32_e32 v0, v41
	s_mov_b32 s6, s33
	s_mov_b32 s7, s44
	s_mov_b64 s[4:5], s[38:39]
	s_mov_b64 s[8:9], 0
.LBB315_4:
	s_andn2_b64 vcc, exec, s[8:9]
	s_cbranch_vccnz .LBB315_6
; %bb.5:
	s_add_u32 s8, s4, 0x58
	s_mov_b64 s[10:11], src_shared_base
	s_addc_u32 s9, s5, 0
	s_getpc_b64 s[4:5]
	s_add_u32 s4, s4, _ZN7rocprim17ROCPRIM_400000_NS6detail26segmented_warp_sort_helperINS1_20WarpSortHelperConfigILj8ELj4ELj256EEEalLi256ELb1EvE4sortIPKaPaPKlPlEEvT_T0_T1_T2_jjjjRNS5_12storage_typeE@rel32@lo+4
	s_addc_u32 s5, s5, _ZN7rocprim17ROCPRIM_400000_NS6detail26segmented_warp_sort_helperINS1_20WarpSortHelperConfigILj8ELj4ELj256EEEalLi256ELb1EvE4sortIPKaPaPKlPlEEvT_T0_T1_T2_jjjjRNS5_12storage_typeE@rel32@hi+12
	v_or3_b32 v31, v0, v43, v42
	s_mov_b32 s12, s6
	s_mov_b32 s13, s7
	v_mov_b32_e32 v0, s36
	v_mov_b32_e32 v1, s37
	v_mov_b32_e32 v2, s40
	v_mov_b32_e32 v3, s41
	v_mov_b32_e32 v4, s42
	v_mov_b32_e32 v5, s43
	v_mov_b32_e32 v6, s46
	v_mov_b32_e32 v7, s47
	v_mov_b32_e32 v9, v40
	v_mov_b32_e32 v10, s34
	v_mov_b32_e32 v11, s35
	v_mov_b32_e32 v12, 0
	v_mov_b32_e32 v13, s11
	s_swappc_b64 s[30:31], s[4:5]
.LBB315_6:
	s_endpgm
	.section	.rodata,"a",@progbits
	.p2align	6, 0x0
	.amdhsa_kernel _ZN7rocprim17ROCPRIM_400000_NS6detail17trampoline_kernelINS0_14default_configENS1_36segmented_radix_sort_config_selectorIalEEZNS1_25segmented_radix_sort_implIS3_Lb1EPKaPaPKlPlN2at6native12_GLOBAL__N_18offset_tEEE10hipError_tPvRmT1_PNSt15iterator_traitsISK_E10value_typeET2_T3_PNSL_ISQ_E10value_typeET4_jRbjT5_SW_jjP12ihipStream_tbEUlT_E1_NS1_11comp_targetILNS1_3genE2ELNS1_11target_archE906ELNS1_3gpuE6ELNS1_3repE0EEENS1_59segmented_radix_sort_warp_sort_small_config_static_selectorELNS0_4arch9wavefront6targetE1EEEvSK_
		.amdhsa_group_segment_fixed_size 9216
		.amdhsa_private_segment_fixed_size 0
		.amdhsa_kernarg_size 344
		.amdhsa_user_sgpr_count 6
		.amdhsa_user_sgpr_private_segment_buffer 1
		.amdhsa_user_sgpr_dispatch_ptr 0
		.amdhsa_user_sgpr_queue_ptr 0
		.amdhsa_user_sgpr_kernarg_segment_ptr 1
		.amdhsa_user_sgpr_dispatch_id 0
		.amdhsa_user_sgpr_flat_scratch_init 0
		.amdhsa_user_sgpr_private_segment_size 0
		.amdhsa_uses_dynamic_stack 0
		.amdhsa_system_sgpr_private_segment_wavefront_offset 0
		.amdhsa_system_sgpr_workgroup_id_x 1
		.amdhsa_system_sgpr_workgroup_id_y 1
		.amdhsa_system_sgpr_workgroup_id_z 0
		.amdhsa_system_sgpr_workgroup_info 0
		.amdhsa_system_vgpr_workitem_id 2
		.amdhsa_next_free_vgpr 51
		.amdhsa_next_free_sgpr 77
		.amdhsa_reserve_vcc 1
		.amdhsa_reserve_flat_scratch 0
		.amdhsa_float_round_mode_32 0
		.amdhsa_float_round_mode_16_64 0
		.amdhsa_float_denorm_mode_32 3
		.amdhsa_float_denorm_mode_16_64 3
		.amdhsa_dx10_clamp 1
		.amdhsa_ieee_mode 1
		.amdhsa_fp16_overflow 0
		.amdhsa_exception_fp_ieee_invalid_op 0
		.amdhsa_exception_fp_denorm_src 0
		.amdhsa_exception_fp_ieee_div_zero 0
		.amdhsa_exception_fp_ieee_overflow 0
		.amdhsa_exception_fp_ieee_underflow 0
		.amdhsa_exception_fp_ieee_inexact 0
		.amdhsa_exception_int_div_zero 0
	.end_amdhsa_kernel
	.section	.text._ZN7rocprim17ROCPRIM_400000_NS6detail17trampoline_kernelINS0_14default_configENS1_36segmented_radix_sort_config_selectorIalEEZNS1_25segmented_radix_sort_implIS3_Lb1EPKaPaPKlPlN2at6native12_GLOBAL__N_18offset_tEEE10hipError_tPvRmT1_PNSt15iterator_traitsISK_E10value_typeET2_T3_PNSL_ISQ_E10value_typeET4_jRbjT5_SW_jjP12ihipStream_tbEUlT_E1_NS1_11comp_targetILNS1_3genE2ELNS1_11target_archE906ELNS1_3gpuE6ELNS1_3repE0EEENS1_59segmented_radix_sort_warp_sort_small_config_static_selectorELNS0_4arch9wavefront6targetE1EEEvSK_,"axG",@progbits,_ZN7rocprim17ROCPRIM_400000_NS6detail17trampoline_kernelINS0_14default_configENS1_36segmented_radix_sort_config_selectorIalEEZNS1_25segmented_radix_sort_implIS3_Lb1EPKaPaPKlPlN2at6native12_GLOBAL__N_18offset_tEEE10hipError_tPvRmT1_PNSt15iterator_traitsISK_E10value_typeET2_T3_PNSL_ISQ_E10value_typeET4_jRbjT5_SW_jjP12ihipStream_tbEUlT_E1_NS1_11comp_targetILNS1_3genE2ELNS1_11target_archE906ELNS1_3gpuE6ELNS1_3repE0EEENS1_59segmented_radix_sort_warp_sort_small_config_static_selectorELNS0_4arch9wavefront6targetE1EEEvSK_,comdat
.Lfunc_end315:
	.size	_ZN7rocprim17ROCPRIM_400000_NS6detail17trampoline_kernelINS0_14default_configENS1_36segmented_radix_sort_config_selectorIalEEZNS1_25segmented_radix_sort_implIS3_Lb1EPKaPaPKlPlN2at6native12_GLOBAL__N_18offset_tEEE10hipError_tPvRmT1_PNSt15iterator_traitsISK_E10value_typeET2_T3_PNSL_ISQ_E10value_typeET4_jRbjT5_SW_jjP12ihipStream_tbEUlT_E1_NS1_11comp_targetILNS1_3genE2ELNS1_11target_archE906ELNS1_3gpuE6ELNS1_3repE0EEENS1_59segmented_radix_sort_warp_sort_small_config_static_selectorELNS0_4arch9wavefront6targetE1EEEvSK_, .Lfunc_end315-_ZN7rocprim17ROCPRIM_400000_NS6detail17trampoline_kernelINS0_14default_configENS1_36segmented_radix_sort_config_selectorIalEEZNS1_25segmented_radix_sort_implIS3_Lb1EPKaPaPKlPlN2at6native12_GLOBAL__N_18offset_tEEE10hipError_tPvRmT1_PNSt15iterator_traitsISK_E10value_typeET2_T3_PNSL_ISQ_E10value_typeET4_jRbjT5_SW_jjP12ihipStream_tbEUlT_E1_NS1_11comp_targetILNS1_3genE2ELNS1_11target_archE906ELNS1_3gpuE6ELNS1_3repE0EEENS1_59segmented_radix_sort_warp_sort_small_config_static_selectorELNS0_4arch9wavefront6targetE1EEEvSK_
                                        ; -- End function
	.set _ZN7rocprim17ROCPRIM_400000_NS6detail17trampoline_kernelINS0_14default_configENS1_36segmented_radix_sort_config_selectorIalEEZNS1_25segmented_radix_sort_implIS3_Lb1EPKaPaPKlPlN2at6native12_GLOBAL__N_18offset_tEEE10hipError_tPvRmT1_PNSt15iterator_traitsISK_E10value_typeET2_T3_PNSL_ISQ_E10value_typeET4_jRbjT5_SW_jjP12ihipStream_tbEUlT_E1_NS1_11comp_targetILNS1_3genE2ELNS1_11target_archE906ELNS1_3gpuE6ELNS1_3repE0EEENS1_59segmented_radix_sort_warp_sort_small_config_static_selectorELNS0_4arch9wavefront6targetE1EEEvSK_.num_vgpr, max(44, .L_ZN7rocprim17ROCPRIM_400000_NS6detail26segmented_warp_sort_helperINS1_20WarpSortHelperConfigILj8ELj4ELj256EEEalLi256ELb1EvE4sortIPKaPaPKlPlEEvT_T0_T1_T2_jjjjRNS5_12storage_typeE.num_vgpr)
	.set _ZN7rocprim17ROCPRIM_400000_NS6detail17trampoline_kernelINS0_14default_configENS1_36segmented_radix_sort_config_selectorIalEEZNS1_25segmented_radix_sort_implIS3_Lb1EPKaPaPKlPlN2at6native12_GLOBAL__N_18offset_tEEE10hipError_tPvRmT1_PNSt15iterator_traitsISK_E10value_typeET2_T3_PNSL_ISQ_E10value_typeET4_jRbjT5_SW_jjP12ihipStream_tbEUlT_E1_NS1_11comp_targetILNS1_3genE2ELNS1_11target_archE906ELNS1_3gpuE6ELNS1_3repE0EEENS1_59segmented_radix_sort_warp_sort_small_config_static_selectorELNS0_4arch9wavefront6targetE1EEEvSK_.num_agpr, max(0, .L_ZN7rocprim17ROCPRIM_400000_NS6detail26segmented_warp_sort_helperINS1_20WarpSortHelperConfigILj8ELj4ELj256EEEalLi256ELb1EvE4sortIPKaPaPKlPlEEvT_T0_T1_T2_jjjjRNS5_12storage_typeE.num_agpr)
	.set _ZN7rocprim17ROCPRIM_400000_NS6detail17trampoline_kernelINS0_14default_configENS1_36segmented_radix_sort_config_selectorIalEEZNS1_25segmented_radix_sort_implIS3_Lb1EPKaPaPKlPlN2at6native12_GLOBAL__N_18offset_tEEE10hipError_tPvRmT1_PNSt15iterator_traitsISK_E10value_typeET2_T3_PNSL_ISQ_E10value_typeET4_jRbjT5_SW_jjP12ihipStream_tbEUlT_E1_NS1_11comp_targetILNS1_3genE2ELNS1_11target_archE906ELNS1_3gpuE6ELNS1_3repE0EEENS1_59segmented_radix_sort_warp_sort_small_config_static_selectorELNS0_4arch9wavefront6targetE1EEEvSK_.numbered_sgpr, max(48, .L_ZN7rocprim17ROCPRIM_400000_NS6detail26segmented_warp_sort_helperINS1_20WarpSortHelperConfigILj8ELj4ELj256EEEalLi256ELb1EvE4sortIPKaPaPKlPlEEvT_T0_T1_T2_jjjjRNS5_12storage_typeE.numbered_sgpr)
	.set _ZN7rocprim17ROCPRIM_400000_NS6detail17trampoline_kernelINS0_14default_configENS1_36segmented_radix_sort_config_selectorIalEEZNS1_25segmented_radix_sort_implIS3_Lb1EPKaPaPKlPlN2at6native12_GLOBAL__N_18offset_tEEE10hipError_tPvRmT1_PNSt15iterator_traitsISK_E10value_typeET2_T3_PNSL_ISQ_E10value_typeET4_jRbjT5_SW_jjP12ihipStream_tbEUlT_E1_NS1_11comp_targetILNS1_3genE2ELNS1_11target_archE906ELNS1_3gpuE6ELNS1_3repE0EEENS1_59segmented_radix_sort_warp_sort_small_config_static_selectorELNS0_4arch9wavefront6targetE1EEEvSK_.num_named_barrier, max(0, .L_ZN7rocprim17ROCPRIM_400000_NS6detail26segmented_warp_sort_helperINS1_20WarpSortHelperConfigILj8ELj4ELj256EEEalLi256ELb1EvE4sortIPKaPaPKlPlEEvT_T0_T1_T2_jjjjRNS5_12storage_typeE.num_named_barrier)
	.set _ZN7rocprim17ROCPRIM_400000_NS6detail17trampoline_kernelINS0_14default_configENS1_36segmented_radix_sort_config_selectorIalEEZNS1_25segmented_radix_sort_implIS3_Lb1EPKaPaPKlPlN2at6native12_GLOBAL__N_18offset_tEEE10hipError_tPvRmT1_PNSt15iterator_traitsISK_E10value_typeET2_T3_PNSL_ISQ_E10value_typeET4_jRbjT5_SW_jjP12ihipStream_tbEUlT_E1_NS1_11comp_targetILNS1_3genE2ELNS1_11target_archE906ELNS1_3gpuE6ELNS1_3repE0EEENS1_59segmented_radix_sort_warp_sort_small_config_static_selectorELNS0_4arch9wavefront6targetE1EEEvSK_.private_seg_size, 0+max(.L_ZN7rocprim17ROCPRIM_400000_NS6detail26segmented_warp_sort_helperINS1_20WarpSortHelperConfigILj8ELj4ELj256EEEalLi256ELb1EvE4sortIPKaPaPKlPlEEvT_T0_T1_T2_jjjjRNS5_12storage_typeE.private_seg_size)
	.set _ZN7rocprim17ROCPRIM_400000_NS6detail17trampoline_kernelINS0_14default_configENS1_36segmented_radix_sort_config_selectorIalEEZNS1_25segmented_radix_sort_implIS3_Lb1EPKaPaPKlPlN2at6native12_GLOBAL__N_18offset_tEEE10hipError_tPvRmT1_PNSt15iterator_traitsISK_E10value_typeET2_T3_PNSL_ISQ_E10value_typeET4_jRbjT5_SW_jjP12ihipStream_tbEUlT_E1_NS1_11comp_targetILNS1_3genE2ELNS1_11target_archE906ELNS1_3gpuE6ELNS1_3repE0EEENS1_59segmented_radix_sort_warp_sort_small_config_static_selectorELNS0_4arch9wavefront6targetE1EEEvSK_.uses_vcc, or(1, .L_ZN7rocprim17ROCPRIM_400000_NS6detail26segmented_warp_sort_helperINS1_20WarpSortHelperConfigILj8ELj4ELj256EEEalLi256ELb1EvE4sortIPKaPaPKlPlEEvT_T0_T1_T2_jjjjRNS5_12storage_typeE.uses_vcc)
	.set _ZN7rocprim17ROCPRIM_400000_NS6detail17trampoline_kernelINS0_14default_configENS1_36segmented_radix_sort_config_selectorIalEEZNS1_25segmented_radix_sort_implIS3_Lb1EPKaPaPKlPlN2at6native12_GLOBAL__N_18offset_tEEE10hipError_tPvRmT1_PNSt15iterator_traitsISK_E10value_typeET2_T3_PNSL_ISQ_E10value_typeET4_jRbjT5_SW_jjP12ihipStream_tbEUlT_E1_NS1_11comp_targetILNS1_3genE2ELNS1_11target_archE906ELNS1_3gpuE6ELNS1_3repE0EEENS1_59segmented_radix_sort_warp_sort_small_config_static_selectorELNS0_4arch9wavefront6targetE1EEEvSK_.uses_flat_scratch, or(0, .L_ZN7rocprim17ROCPRIM_400000_NS6detail26segmented_warp_sort_helperINS1_20WarpSortHelperConfigILj8ELj4ELj256EEEalLi256ELb1EvE4sortIPKaPaPKlPlEEvT_T0_T1_T2_jjjjRNS5_12storage_typeE.uses_flat_scratch)
	.set _ZN7rocprim17ROCPRIM_400000_NS6detail17trampoline_kernelINS0_14default_configENS1_36segmented_radix_sort_config_selectorIalEEZNS1_25segmented_radix_sort_implIS3_Lb1EPKaPaPKlPlN2at6native12_GLOBAL__N_18offset_tEEE10hipError_tPvRmT1_PNSt15iterator_traitsISK_E10value_typeET2_T3_PNSL_ISQ_E10value_typeET4_jRbjT5_SW_jjP12ihipStream_tbEUlT_E1_NS1_11comp_targetILNS1_3genE2ELNS1_11target_archE906ELNS1_3gpuE6ELNS1_3repE0EEENS1_59segmented_radix_sort_warp_sort_small_config_static_selectorELNS0_4arch9wavefront6targetE1EEEvSK_.has_dyn_sized_stack, or(0, .L_ZN7rocprim17ROCPRIM_400000_NS6detail26segmented_warp_sort_helperINS1_20WarpSortHelperConfigILj8ELj4ELj256EEEalLi256ELb1EvE4sortIPKaPaPKlPlEEvT_T0_T1_T2_jjjjRNS5_12storage_typeE.has_dyn_sized_stack)
	.set _ZN7rocprim17ROCPRIM_400000_NS6detail17trampoline_kernelINS0_14default_configENS1_36segmented_radix_sort_config_selectorIalEEZNS1_25segmented_radix_sort_implIS3_Lb1EPKaPaPKlPlN2at6native12_GLOBAL__N_18offset_tEEE10hipError_tPvRmT1_PNSt15iterator_traitsISK_E10value_typeET2_T3_PNSL_ISQ_E10value_typeET4_jRbjT5_SW_jjP12ihipStream_tbEUlT_E1_NS1_11comp_targetILNS1_3genE2ELNS1_11target_archE906ELNS1_3gpuE6ELNS1_3repE0EEENS1_59segmented_radix_sort_warp_sort_small_config_static_selectorELNS0_4arch9wavefront6targetE1EEEvSK_.has_recursion, or(0, .L_ZN7rocprim17ROCPRIM_400000_NS6detail26segmented_warp_sort_helperINS1_20WarpSortHelperConfigILj8ELj4ELj256EEEalLi256ELb1EvE4sortIPKaPaPKlPlEEvT_T0_T1_T2_jjjjRNS5_12storage_typeE.has_recursion)
	.set _ZN7rocprim17ROCPRIM_400000_NS6detail17trampoline_kernelINS0_14default_configENS1_36segmented_radix_sort_config_selectorIalEEZNS1_25segmented_radix_sort_implIS3_Lb1EPKaPaPKlPlN2at6native12_GLOBAL__N_18offset_tEEE10hipError_tPvRmT1_PNSt15iterator_traitsISK_E10value_typeET2_T3_PNSL_ISQ_E10value_typeET4_jRbjT5_SW_jjP12ihipStream_tbEUlT_E1_NS1_11comp_targetILNS1_3genE2ELNS1_11target_archE906ELNS1_3gpuE6ELNS1_3repE0EEENS1_59segmented_radix_sort_warp_sort_small_config_static_selectorELNS0_4arch9wavefront6targetE1EEEvSK_.has_indirect_call, or(0, .L_ZN7rocprim17ROCPRIM_400000_NS6detail26segmented_warp_sort_helperINS1_20WarpSortHelperConfigILj8ELj4ELj256EEEalLi256ELb1EvE4sortIPKaPaPKlPlEEvT_T0_T1_T2_jjjjRNS5_12storage_typeE.has_indirect_call)
	.section	.AMDGPU.csdata,"",@progbits
; Kernel info:
; codeLenInByte = 500
; TotalNumSgprs: 52
; NumVgprs: 51
; ScratchSize: 0
; MemoryBound: 0
; FloatMode: 240
; IeeeMode: 1
; LDSByteSize: 9216 bytes/workgroup (compile time only)
; SGPRBlocks: 10
; VGPRBlocks: 12
; NumSGPRsForWavesPerEU: 81
; NumVGPRsForWavesPerEU: 51
; Occupancy: 4
; WaveLimiterHint : 0
; COMPUTE_PGM_RSRC2:SCRATCH_EN: 0
; COMPUTE_PGM_RSRC2:USER_SGPR: 6
; COMPUTE_PGM_RSRC2:TRAP_HANDLER: 0
; COMPUTE_PGM_RSRC2:TGID_X_EN: 1
; COMPUTE_PGM_RSRC2:TGID_Y_EN: 1
; COMPUTE_PGM_RSRC2:TGID_Z_EN: 0
; COMPUTE_PGM_RSRC2:TIDIG_COMP_CNT: 2
	.section	.text._ZN7rocprim17ROCPRIM_400000_NS6detail17trampoline_kernelINS0_14default_configENS1_36segmented_radix_sort_config_selectorIalEEZNS1_25segmented_radix_sort_implIS3_Lb1EPKaPaPKlPlN2at6native12_GLOBAL__N_18offset_tEEE10hipError_tPvRmT1_PNSt15iterator_traitsISK_E10value_typeET2_T3_PNSL_ISQ_E10value_typeET4_jRbjT5_SW_jjP12ihipStream_tbEUlT_E1_NS1_11comp_targetILNS1_3genE10ELNS1_11target_archE1201ELNS1_3gpuE5ELNS1_3repE0EEENS1_59segmented_radix_sort_warp_sort_small_config_static_selectorELNS0_4arch9wavefront6targetE1EEEvSK_,"axG",@progbits,_ZN7rocprim17ROCPRIM_400000_NS6detail17trampoline_kernelINS0_14default_configENS1_36segmented_radix_sort_config_selectorIalEEZNS1_25segmented_radix_sort_implIS3_Lb1EPKaPaPKlPlN2at6native12_GLOBAL__N_18offset_tEEE10hipError_tPvRmT1_PNSt15iterator_traitsISK_E10value_typeET2_T3_PNSL_ISQ_E10value_typeET4_jRbjT5_SW_jjP12ihipStream_tbEUlT_E1_NS1_11comp_targetILNS1_3genE10ELNS1_11target_archE1201ELNS1_3gpuE5ELNS1_3repE0EEENS1_59segmented_radix_sort_warp_sort_small_config_static_selectorELNS0_4arch9wavefront6targetE1EEEvSK_,comdat
	.globl	_ZN7rocprim17ROCPRIM_400000_NS6detail17trampoline_kernelINS0_14default_configENS1_36segmented_radix_sort_config_selectorIalEEZNS1_25segmented_radix_sort_implIS3_Lb1EPKaPaPKlPlN2at6native12_GLOBAL__N_18offset_tEEE10hipError_tPvRmT1_PNSt15iterator_traitsISK_E10value_typeET2_T3_PNSL_ISQ_E10value_typeET4_jRbjT5_SW_jjP12ihipStream_tbEUlT_E1_NS1_11comp_targetILNS1_3genE10ELNS1_11target_archE1201ELNS1_3gpuE5ELNS1_3repE0EEENS1_59segmented_radix_sort_warp_sort_small_config_static_selectorELNS0_4arch9wavefront6targetE1EEEvSK_ ; -- Begin function _ZN7rocprim17ROCPRIM_400000_NS6detail17trampoline_kernelINS0_14default_configENS1_36segmented_radix_sort_config_selectorIalEEZNS1_25segmented_radix_sort_implIS3_Lb1EPKaPaPKlPlN2at6native12_GLOBAL__N_18offset_tEEE10hipError_tPvRmT1_PNSt15iterator_traitsISK_E10value_typeET2_T3_PNSL_ISQ_E10value_typeET4_jRbjT5_SW_jjP12ihipStream_tbEUlT_E1_NS1_11comp_targetILNS1_3genE10ELNS1_11target_archE1201ELNS1_3gpuE5ELNS1_3repE0EEENS1_59segmented_radix_sort_warp_sort_small_config_static_selectorELNS0_4arch9wavefront6targetE1EEEvSK_
	.p2align	8
	.type	_ZN7rocprim17ROCPRIM_400000_NS6detail17trampoline_kernelINS0_14default_configENS1_36segmented_radix_sort_config_selectorIalEEZNS1_25segmented_radix_sort_implIS3_Lb1EPKaPaPKlPlN2at6native12_GLOBAL__N_18offset_tEEE10hipError_tPvRmT1_PNSt15iterator_traitsISK_E10value_typeET2_T3_PNSL_ISQ_E10value_typeET4_jRbjT5_SW_jjP12ihipStream_tbEUlT_E1_NS1_11comp_targetILNS1_3genE10ELNS1_11target_archE1201ELNS1_3gpuE5ELNS1_3repE0EEENS1_59segmented_radix_sort_warp_sort_small_config_static_selectorELNS0_4arch9wavefront6targetE1EEEvSK_,@function
_ZN7rocprim17ROCPRIM_400000_NS6detail17trampoline_kernelINS0_14default_configENS1_36segmented_radix_sort_config_selectorIalEEZNS1_25segmented_radix_sort_implIS3_Lb1EPKaPaPKlPlN2at6native12_GLOBAL__N_18offset_tEEE10hipError_tPvRmT1_PNSt15iterator_traitsISK_E10value_typeET2_T3_PNSL_ISQ_E10value_typeET4_jRbjT5_SW_jjP12ihipStream_tbEUlT_E1_NS1_11comp_targetILNS1_3genE10ELNS1_11target_archE1201ELNS1_3gpuE5ELNS1_3repE0EEENS1_59segmented_radix_sort_warp_sort_small_config_static_selectorELNS0_4arch9wavefront6targetE1EEEvSK_: ; @_ZN7rocprim17ROCPRIM_400000_NS6detail17trampoline_kernelINS0_14default_configENS1_36segmented_radix_sort_config_selectorIalEEZNS1_25segmented_radix_sort_implIS3_Lb1EPKaPaPKlPlN2at6native12_GLOBAL__N_18offset_tEEE10hipError_tPvRmT1_PNSt15iterator_traitsISK_E10value_typeET2_T3_PNSL_ISQ_E10value_typeET4_jRbjT5_SW_jjP12ihipStream_tbEUlT_E1_NS1_11comp_targetILNS1_3genE10ELNS1_11target_archE1201ELNS1_3gpuE5ELNS1_3repE0EEENS1_59segmented_radix_sort_warp_sort_small_config_static_selectorELNS0_4arch9wavefront6targetE1EEEvSK_
; %bb.0:
	.section	.rodata,"a",@progbits
	.p2align	6, 0x0
	.amdhsa_kernel _ZN7rocprim17ROCPRIM_400000_NS6detail17trampoline_kernelINS0_14default_configENS1_36segmented_radix_sort_config_selectorIalEEZNS1_25segmented_radix_sort_implIS3_Lb1EPKaPaPKlPlN2at6native12_GLOBAL__N_18offset_tEEE10hipError_tPvRmT1_PNSt15iterator_traitsISK_E10value_typeET2_T3_PNSL_ISQ_E10value_typeET4_jRbjT5_SW_jjP12ihipStream_tbEUlT_E1_NS1_11comp_targetILNS1_3genE10ELNS1_11target_archE1201ELNS1_3gpuE5ELNS1_3repE0EEENS1_59segmented_radix_sort_warp_sort_small_config_static_selectorELNS0_4arch9wavefront6targetE1EEEvSK_
		.amdhsa_group_segment_fixed_size 0
		.amdhsa_private_segment_fixed_size 0
		.amdhsa_kernarg_size 88
		.amdhsa_user_sgpr_count 6
		.amdhsa_user_sgpr_private_segment_buffer 1
		.amdhsa_user_sgpr_dispatch_ptr 0
		.amdhsa_user_sgpr_queue_ptr 0
		.amdhsa_user_sgpr_kernarg_segment_ptr 1
		.amdhsa_user_sgpr_dispatch_id 0
		.amdhsa_user_sgpr_flat_scratch_init 0
		.amdhsa_user_sgpr_private_segment_size 0
		.amdhsa_uses_dynamic_stack 0
		.amdhsa_system_sgpr_private_segment_wavefront_offset 0
		.amdhsa_system_sgpr_workgroup_id_x 1
		.amdhsa_system_sgpr_workgroup_id_y 0
		.amdhsa_system_sgpr_workgroup_id_z 0
		.amdhsa_system_sgpr_workgroup_info 0
		.amdhsa_system_vgpr_workitem_id 0
		.amdhsa_next_free_vgpr 1
		.amdhsa_next_free_sgpr 0
		.amdhsa_reserve_vcc 0
		.amdhsa_reserve_flat_scratch 0
		.amdhsa_float_round_mode_32 0
		.amdhsa_float_round_mode_16_64 0
		.amdhsa_float_denorm_mode_32 3
		.amdhsa_float_denorm_mode_16_64 3
		.amdhsa_dx10_clamp 1
		.amdhsa_ieee_mode 1
		.amdhsa_fp16_overflow 0
		.amdhsa_exception_fp_ieee_invalid_op 0
		.amdhsa_exception_fp_denorm_src 0
		.amdhsa_exception_fp_ieee_div_zero 0
		.amdhsa_exception_fp_ieee_overflow 0
		.amdhsa_exception_fp_ieee_underflow 0
		.amdhsa_exception_fp_ieee_inexact 0
		.amdhsa_exception_int_div_zero 0
	.end_amdhsa_kernel
	.section	.text._ZN7rocprim17ROCPRIM_400000_NS6detail17trampoline_kernelINS0_14default_configENS1_36segmented_radix_sort_config_selectorIalEEZNS1_25segmented_radix_sort_implIS3_Lb1EPKaPaPKlPlN2at6native12_GLOBAL__N_18offset_tEEE10hipError_tPvRmT1_PNSt15iterator_traitsISK_E10value_typeET2_T3_PNSL_ISQ_E10value_typeET4_jRbjT5_SW_jjP12ihipStream_tbEUlT_E1_NS1_11comp_targetILNS1_3genE10ELNS1_11target_archE1201ELNS1_3gpuE5ELNS1_3repE0EEENS1_59segmented_radix_sort_warp_sort_small_config_static_selectorELNS0_4arch9wavefront6targetE1EEEvSK_,"axG",@progbits,_ZN7rocprim17ROCPRIM_400000_NS6detail17trampoline_kernelINS0_14default_configENS1_36segmented_radix_sort_config_selectorIalEEZNS1_25segmented_radix_sort_implIS3_Lb1EPKaPaPKlPlN2at6native12_GLOBAL__N_18offset_tEEE10hipError_tPvRmT1_PNSt15iterator_traitsISK_E10value_typeET2_T3_PNSL_ISQ_E10value_typeET4_jRbjT5_SW_jjP12ihipStream_tbEUlT_E1_NS1_11comp_targetILNS1_3genE10ELNS1_11target_archE1201ELNS1_3gpuE5ELNS1_3repE0EEENS1_59segmented_radix_sort_warp_sort_small_config_static_selectorELNS0_4arch9wavefront6targetE1EEEvSK_,comdat
.Lfunc_end316:
	.size	_ZN7rocprim17ROCPRIM_400000_NS6detail17trampoline_kernelINS0_14default_configENS1_36segmented_radix_sort_config_selectorIalEEZNS1_25segmented_radix_sort_implIS3_Lb1EPKaPaPKlPlN2at6native12_GLOBAL__N_18offset_tEEE10hipError_tPvRmT1_PNSt15iterator_traitsISK_E10value_typeET2_T3_PNSL_ISQ_E10value_typeET4_jRbjT5_SW_jjP12ihipStream_tbEUlT_E1_NS1_11comp_targetILNS1_3genE10ELNS1_11target_archE1201ELNS1_3gpuE5ELNS1_3repE0EEENS1_59segmented_radix_sort_warp_sort_small_config_static_selectorELNS0_4arch9wavefront6targetE1EEEvSK_, .Lfunc_end316-_ZN7rocprim17ROCPRIM_400000_NS6detail17trampoline_kernelINS0_14default_configENS1_36segmented_radix_sort_config_selectorIalEEZNS1_25segmented_radix_sort_implIS3_Lb1EPKaPaPKlPlN2at6native12_GLOBAL__N_18offset_tEEE10hipError_tPvRmT1_PNSt15iterator_traitsISK_E10value_typeET2_T3_PNSL_ISQ_E10value_typeET4_jRbjT5_SW_jjP12ihipStream_tbEUlT_E1_NS1_11comp_targetILNS1_3genE10ELNS1_11target_archE1201ELNS1_3gpuE5ELNS1_3repE0EEENS1_59segmented_radix_sort_warp_sort_small_config_static_selectorELNS0_4arch9wavefront6targetE1EEEvSK_
                                        ; -- End function
	.set _ZN7rocprim17ROCPRIM_400000_NS6detail17trampoline_kernelINS0_14default_configENS1_36segmented_radix_sort_config_selectorIalEEZNS1_25segmented_radix_sort_implIS3_Lb1EPKaPaPKlPlN2at6native12_GLOBAL__N_18offset_tEEE10hipError_tPvRmT1_PNSt15iterator_traitsISK_E10value_typeET2_T3_PNSL_ISQ_E10value_typeET4_jRbjT5_SW_jjP12ihipStream_tbEUlT_E1_NS1_11comp_targetILNS1_3genE10ELNS1_11target_archE1201ELNS1_3gpuE5ELNS1_3repE0EEENS1_59segmented_radix_sort_warp_sort_small_config_static_selectorELNS0_4arch9wavefront6targetE1EEEvSK_.num_vgpr, 0
	.set _ZN7rocprim17ROCPRIM_400000_NS6detail17trampoline_kernelINS0_14default_configENS1_36segmented_radix_sort_config_selectorIalEEZNS1_25segmented_radix_sort_implIS3_Lb1EPKaPaPKlPlN2at6native12_GLOBAL__N_18offset_tEEE10hipError_tPvRmT1_PNSt15iterator_traitsISK_E10value_typeET2_T3_PNSL_ISQ_E10value_typeET4_jRbjT5_SW_jjP12ihipStream_tbEUlT_E1_NS1_11comp_targetILNS1_3genE10ELNS1_11target_archE1201ELNS1_3gpuE5ELNS1_3repE0EEENS1_59segmented_radix_sort_warp_sort_small_config_static_selectorELNS0_4arch9wavefront6targetE1EEEvSK_.num_agpr, 0
	.set _ZN7rocprim17ROCPRIM_400000_NS6detail17trampoline_kernelINS0_14default_configENS1_36segmented_radix_sort_config_selectorIalEEZNS1_25segmented_radix_sort_implIS3_Lb1EPKaPaPKlPlN2at6native12_GLOBAL__N_18offset_tEEE10hipError_tPvRmT1_PNSt15iterator_traitsISK_E10value_typeET2_T3_PNSL_ISQ_E10value_typeET4_jRbjT5_SW_jjP12ihipStream_tbEUlT_E1_NS1_11comp_targetILNS1_3genE10ELNS1_11target_archE1201ELNS1_3gpuE5ELNS1_3repE0EEENS1_59segmented_radix_sort_warp_sort_small_config_static_selectorELNS0_4arch9wavefront6targetE1EEEvSK_.numbered_sgpr, 0
	.set _ZN7rocprim17ROCPRIM_400000_NS6detail17trampoline_kernelINS0_14default_configENS1_36segmented_radix_sort_config_selectorIalEEZNS1_25segmented_radix_sort_implIS3_Lb1EPKaPaPKlPlN2at6native12_GLOBAL__N_18offset_tEEE10hipError_tPvRmT1_PNSt15iterator_traitsISK_E10value_typeET2_T3_PNSL_ISQ_E10value_typeET4_jRbjT5_SW_jjP12ihipStream_tbEUlT_E1_NS1_11comp_targetILNS1_3genE10ELNS1_11target_archE1201ELNS1_3gpuE5ELNS1_3repE0EEENS1_59segmented_radix_sort_warp_sort_small_config_static_selectorELNS0_4arch9wavefront6targetE1EEEvSK_.num_named_barrier, 0
	.set _ZN7rocprim17ROCPRIM_400000_NS6detail17trampoline_kernelINS0_14default_configENS1_36segmented_radix_sort_config_selectorIalEEZNS1_25segmented_radix_sort_implIS3_Lb1EPKaPaPKlPlN2at6native12_GLOBAL__N_18offset_tEEE10hipError_tPvRmT1_PNSt15iterator_traitsISK_E10value_typeET2_T3_PNSL_ISQ_E10value_typeET4_jRbjT5_SW_jjP12ihipStream_tbEUlT_E1_NS1_11comp_targetILNS1_3genE10ELNS1_11target_archE1201ELNS1_3gpuE5ELNS1_3repE0EEENS1_59segmented_radix_sort_warp_sort_small_config_static_selectorELNS0_4arch9wavefront6targetE1EEEvSK_.private_seg_size, 0
	.set _ZN7rocprim17ROCPRIM_400000_NS6detail17trampoline_kernelINS0_14default_configENS1_36segmented_radix_sort_config_selectorIalEEZNS1_25segmented_radix_sort_implIS3_Lb1EPKaPaPKlPlN2at6native12_GLOBAL__N_18offset_tEEE10hipError_tPvRmT1_PNSt15iterator_traitsISK_E10value_typeET2_T3_PNSL_ISQ_E10value_typeET4_jRbjT5_SW_jjP12ihipStream_tbEUlT_E1_NS1_11comp_targetILNS1_3genE10ELNS1_11target_archE1201ELNS1_3gpuE5ELNS1_3repE0EEENS1_59segmented_radix_sort_warp_sort_small_config_static_selectorELNS0_4arch9wavefront6targetE1EEEvSK_.uses_vcc, 0
	.set _ZN7rocprim17ROCPRIM_400000_NS6detail17trampoline_kernelINS0_14default_configENS1_36segmented_radix_sort_config_selectorIalEEZNS1_25segmented_radix_sort_implIS3_Lb1EPKaPaPKlPlN2at6native12_GLOBAL__N_18offset_tEEE10hipError_tPvRmT1_PNSt15iterator_traitsISK_E10value_typeET2_T3_PNSL_ISQ_E10value_typeET4_jRbjT5_SW_jjP12ihipStream_tbEUlT_E1_NS1_11comp_targetILNS1_3genE10ELNS1_11target_archE1201ELNS1_3gpuE5ELNS1_3repE0EEENS1_59segmented_radix_sort_warp_sort_small_config_static_selectorELNS0_4arch9wavefront6targetE1EEEvSK_.uses_flat_scratch, 0
	.set _ZN7rocprim17ROCPRIM_400000_NS6detail17trampoline_kernelINS0_14default_configENS1_36segmented_radix_sort_config_selectorIalEEZNS1_25segmented_radix_sort_implIS3_Lb1EPKaPaPKlPlN2at6native12_GLOBAL__N_18offset_tEEE10hipError_tPvRmT1_PNSt15iterator_traitsISK_E10value_typeET2_T3_PNSL_ISQ_E10value_typeET4_jRbjT5_SW_jjP12ihipStream_tbEUlT_E1_NS1_11comp_targetILNS1_3genE10ELNS1_11target_archE1201ELNS1_3gpuE5ELNS1_3repE0EEENS1_59segmented_radix_sort_warp_sort_small_config_static_selectorELNS0_4arch9wavefront6targetE1EEEvSK_.has_dyn_sized_stack, 0
	.set _ZN7rocprim17ROCPRIM_400000_NS6detail17trampoline_kernelINS0_14default_configENS1_36segmented_radix_sort_config_selectorIalEEZNS1_25segmented_radix_sort_implIS3_Lb1EPKaPaPKlPlN2at6native12_GLOBAL__N_18offset_tEEE10hipError_tPvRmT1_PNSt15iterator_traitsISK_E10value_typeET2_T3_PNSL_ISQ_E10value_typeET4_jRbjT5_SW_jjP12ihipStream_tbEUlT_E1_NS1_11comp_targetILNS1_3genE10ELNS1_11target_archE1201ELNS1_3gpuE5ELNS1_3repE0EEENS1_59segmented_radix_sort_warp_sort_small_config_static_selectorELNS0_4arch9wavefront6targetE1EEEvSK_.has_recursion, 0
	.set _ZN7rocprim17ROCPRIM_400000_NS6detail17trampoline_kernelINS0_14default_configENS1_36segmented_radix_sort_config_selectorIalEEZNS1_25segmented_radix_sort_implIS3_Lb1EPKaPaPKlPlN2at6native12_GLOBAL__N_18offset_tEEE10hipError_tPvRmT1_PNSt15iterator_traitsISK_E10value_typeET2_T3_PNSL_ISQ_E10value_typeET4_jRbjT5_SW_jjP12ihipStream_tbEUlT_E1_NS1_11comp_targetILNS1_3genE10ELNS1_11target_archE1201ELNS1_3gpuE5ELNS1_3repE0EEENS1_59segmented_radix_sort_warp_sort_small_config_static_selectorELNS0_4arch9wavefront6targetE1EEEvSK_.has_indirect_call, 0
	.section	.AMDGPU.csdata,"",@progbits
; Kernel info:
; codeLenInByte = 0
; TotalNumSgprs: 4
; NumVgprs: 0
; ScratchSize: 0
; MemoryBound: 0
; FloatMode: 240
; IeeeMode: 1
; LDSByteSize: 0 bytes/workgroup (compile time only)
; SGPRBlocks: 0
; VGPRBlocks: 0
; NumSGPRsForWavesPerEU: 4
; NumVGPRsForWavesPerEU: 1
; Occupancy: 10
; WaveLimiterHint : 0
; COMPUTE_PGM_RSRC2:SCRATCH_EN: 0
; COMPUTE_PGM_RSRC2:USER_SGPR: 6
; COMPUTE_PGM_RSRC2:TRAP_HANDLER: 0
; COMPUTE_PGM_RSRC2:TGID_X_EN: 1
; COMPUTE_PGM_RSRC2:TGID_Y_EN: 0
; COMPUTE_PGM_RSRC2:TGID_Z_EN: 0
; COMPUTE_PGM_RSRC2:TIDIG_COMP_CNT: 0
	.section	.text._ZN7rocprim17ROCPRIM_400000_NS6detail17trampoline_kernelINS0_14default_configENS1_36segmented_radix_sort_config_selectorIalEEZNS1_25segmented_radix_sort_implIS3_Lb1EPKaPaPKlPlN2at6native12_GLOBAL__N_18offset_tEEE10hipError_tPvRmT1_PNSt15iterator_traitsISK_E10value_typeET2_T3_PNSL_ISQ_E10value_typeET4_jRbjT5_SW_jjP12ihipStream_tbEUlT_E1_NS1_11comp_targetILNS1_3genE10ELNS1_11target_archE1200ELNS1_3gpuE4ELNS1_3repE0EEENS1_59segmented_radix_sort_warp_sort_small_config_static_selectorELNS0_4arch9wavefront6targetE1EEEvSK_,"axG",@progbits,_ZN7rocprim17ROCPRIM_400000_NS6detail17trampoline_kernelINS0_14default_configENS1_36segmented_radix_sort_config_selectorIalEEZNS1_25segmented_radix_sort_implIS3_Lb1EPKaPaPKlPlN2at6native12_GLOBAL__N_18offset_tEEE10hipError_tPvRmT1_PNSt15iterator_traitsISK_E10value_typeET2_T3_PNSL_ISQ_E10value_typeET4_jRbjT5_SW_jjP12ihipStream_tbEUlT_E1_NS1_11comp_targetILNS1_3genE10ELNS1_11target_archE1200ELNS1_3gpuE4ELNS1_3repE0EEENS1_59segmented_radix_sort_warp_sort_small_config_static_selectorELNS0_4arch9wavefront6targetE1EEEvSK_,comdat
	.globl	_ZN7rocprim17ROCPRIM_400000_NS6detail17trampoline_kernelINS0_14default_configENS1_36segmented_radix_sort_config_selectorIalEEZNS1_25segmented_radix_sort_implIS3_Lb1EPKaPaPKlPlN2at6native12_GLOBAL__N_18offset_tEEE10hipError_tPvRmT1_PNSt15iterator_traitsISK_E10value_typeET2_T3_PNSL_ISQ_E10value_typeET4_jRbjT5_SW_jjP12ihipStream_tbEUlT_E1_NS1_11comp_targetILNS1_3genE10ELNS1_11target_archE1200ELNS1_3gpuE4ELNS1_3repE0EEENS1_59segmented_radix_sort_warp_sort_small_config_static_selectorELNS0_4arch9wavefront6targetE1EEEvSK_ ; -- Begin function _ZN7rocprim17ROCPRIM_400000_NS6detail17trampoline_kernelINS0_14default_configENS1_36segmented_radix_sort_config_selectorIalEEZNS1_25segmented_radix_sort_implIS3_Lb1EPKaPaPKlPlN2at6native12_GLOBAL__N_18offset_tEEE10hipError_tPvRmT1_PNSt15iterator_traitsISK_E10value_typeET2_T3_PNSL_ISQ_E10value_typeET4_jRbjT5_SW_jjP12ihipStream_tbEUlT_E1_NS1_11comp_targetILNS1_3genE10ELNS1_11target_archE1200ELNS1_3gpuE4ELNS1_3repE0EEENS1_59segmented_radix_sort_warp_sort_small_config_static_selectorELNS0_4arch9wavefront6targetE1EEEvSK_
	.p2align	8
	.type	_ZN7rocprim17ROCPRIM_400000_NS6detail17trampoline_kernelINS0_14default_configENS1_36segmented_radix_sort_config_selectorIalEEZNS1_25segmented_radix_sort_implIS3_Lb1EPKaPaPKlPlN2at6native12_GLOBAL__N_18offset_tEEE10hipError_tPvRmT1_PNSt15iterator_traitsISK_E10value_typeET2_T3_PNSL_ISQ_E10value_typeET4_jRbjT5_SW_jjP12ihipStream_tbEUlT_E1_NS1_11comp_targetILNS1_3genE10ELNS1_11target_archE1200ELNS1_3gpuE4ELNS1_3repE0EEENS1_59segmented_radix_sort_warp_sort_small_config_static_selectorELNS0_4arch9wavefront6targetE1EEEvSK_,@function
_ZN7rocprim17ROCPRIM_400000_NS6detail17trampoline_kernelINS0_14default_configENS1_36segmented_radix_sort_config_selectorIalEEZNS1_25segmented_radix_sort_implIS3_Lb1EPKaPaPKlPlN2at6native12_GLOBAL__N_18offset_tEEE10hipError_tPvRmT1_PNSt15iterator_traitsISK_E10value_typeET2_T3_PNSL_ISQ_E10value_typeET4_jRbjT5_SW_jjP12ihipStream_tbEUlT_E1_NS1_11comp_targetILNS1_3genE10ELNS1_11target_archE1200ELNS1_3gpuE4ELNS1_3repE0EEENS1_59segmented_radix_sort_warp_sort_small_config_static_selectorELNS0_4arch9wavefront6targetE1EEEvSK_: ; @_ZN7rocprim17ROCPRIM_400000_NS6detail17trampoline_kernelINS0_14default_configENS1_36segmented_radix_sort_config_selectorIalEEZNS1_25segmented_radix_sort_implIS3_Lb1EPKaPaPKlPlN2at6native12_GLOBAL__N_18offset_tEEE10hipError_tPvRmT1_PNSt15iterator_traitsISK_E10value_typeET2_T3_PNSL_ISQ_E10value_typeET4_jRbjT5_SW_jjP12ihipStream_tbEUlT_E1_NS1_11comp_targetILNS1_3genE10ELNS1_11target_archE1200ELNS1_3gpuE4ELNS1_3repE0EEENS1_59segmented_radix_sort_warp_sort_small_config_static_selectorELNS0_4arch9wavefront6targetE1EEEvSK_
; %bb.0:
	.section	.rodata,"a",@progbits
	.p2align	6, 0x0
	.amdhsa_kernel _ZN7rocprim17ROCPRIM_400000_NS6detail17trampoline_kernelINS0_14default_configENS1_36segmented_radix_sort_config_selectorIalEEZNS1_25segmented_radix_sort_implIS3_Lb1EPKaPaPKlPlN2at6native12_GLOBAL__N_18offset_tEEE10hipError_tPvRmT1_PNSt15iterator_traitsISK_E10value_typeET2_T3_PNSL_ISQ_E10value_typeET4_jRbjT5_SW_jjP12ihipStream_tbEUlT_E1_NS1_11comp_targetILNS1_3genE10ELNS1_11target_archE1200ELNS1_3gpuE4ELNS1_3repE0EEENS1_59segmented_radix_sort_warp_sort_small_config_static_selectorELNS0_4arch9wavefront6targetE1EEEvSK_
		.amdhsa_group_segment_fixed_size 0
		.amdhsa_private_segment_fixed_size 0
		.amdhsa_kernarg_size 88
		.amdhsa_user_sgpr_count 6
		.amdhsa_user_sgpr_private_segment_buffer 1
		.amdhsa_user_sgpr_dispatch_ptr 0
		.amdhsa_user_sgpr_queue_ptr 0
		.amdhsa_user_sgpr_kernarg_segment_ptr 1
		.amdhsa_user_sgpr_dispatch_id 0
		.amdhsa_user_sgpr_flat_scratch_init 0
		.amdhsa_user_sgpr_private_segment_size 0
		.amdhsa_uses_dynamic_stack 0
		.amdhsa_system_sgpr_private_segment_wavefront_offset 0
		.amdhsa_system_sgpr_workgroup_id_x 1
		.amdhsa_system_sgpr_workgroup_id_y 0
		.amdhsa_system_sgpr_workgroup_id_z 0
		.amdhsa_system_sgpr_workgroup_info 0
		.amdhsa_system_vgpr_workitem_id 0
		.amdhsa_next_free_vgpr 1
		.amdhsa_next_free_sgpr 0
		.amdhsa_reserve_vcc 0
		.amdhsa_reserve_flat_scratch 0
		.amdhsa_float_round_mode_32 0
		.amdhsa_float_round_mode_16_64 0
		.amdhsa_float_denorm_mode_32 3
		.amdhsa_float_denorm_mode_16_64 3
		.amdhsa_dx10_clamp 1
		.amdhsa_ieee_mode 1
		.amdhsa_fp16_overflow 0
		.amdhsa_exception_fp_ieee_invalid_op 0
		.amdhsa_exception_fp_denorm_src 0
		.amdhsa_exception_fp_ieee_div_zero 0
		.amdhsa_exception_fp_ieee_overflow 0
		.amdhsa_exception_fp_ieee_underflow 0
		.amdhsa_exception_fp_ieee_inexact 0
		.amdhsa_exception_int_div_zero 0
	.end_amdhsa_kernel
	.section	.text._ZN7rocprim17ROCPRIM_400000_NS6detail17trampoline_kernelINS0_14default_configENS1_36segmented_radix_sort_config_selectorIalEEZNS1_25segmented_radix_sort_implIS3_Lb1EPKaPaPKlPlN2at6native12_GLOBAL__N_18offset_tEEE10hipError_tPvRmT1_PNSt15iterator_traitsISK_E10value_typeET2_T3_PNSL_ISQ_E10value_typeET4_jRbjT5_SW_jjP12ihipStream_tbEUlT_E1_NS1_11comp_targetILNS1_3genE10ELNS1_11target_archE1200ELNS1_3gpuE4ELNS1_3repE0EEENS1_59segmented_radix_sort_warp_sort_small_config_static_selectorELNS0_4arch9wavefront6targetE1EEEvSK_,"axG",@progbits,_ZN7rocprim17ROCPRIM_400000_NS6detail17trampoline_kernelINS0_14default_configENS1_36segmented_radix_sort_config_selectorIalEEZNS1_25segmented_radix_sort_implIS3_Lb1EPKaPaPKlPlN2at6native12_GLOBAL__N_18offset_tEEE10hipError_tPvRmT1_PNSt15iterator_traitsISK_E10value_typeET2_T3_PNSL_ISQ_E10value_typeET4_jRbjT5_SW_jjP12ihipStream_tbEUlT_E1_NS1_11comp_targetILNS1_3genE10ELNS1_11target_archE1200ELNS1_3gpuE4ELNS1_3repE0EEENS1_59segmented_radix_sort_warp_sort_small_config_static_selectorELNS0_4arch9wavefront6targetE1EEEvSK_,comdat
.Lfunc_end317:
	.size	_ZN7rocprim17ROCPRIM_400000_NS6detail17trampoline_kernelINS0_14default_configENS1_36segmented_radix_sort_config_selectorIalEEZNS1_25segmented_radix_sort_implIS3_Lb1EPKaPaPKlPlN2at6native12_GLOBAL__N_18offset_tEEE10hipError_tPvRmT1_PNSt15iterator_traitsISK_E10value_typeET2_T3_PNSL_ISQ_E10value_typeET4_jRbjT5_SW_jjP12ihipStream_tbEUlT_E1_NS1_11comp_targetILNS1_3genE10ELNS1_11target_archE1200ELNS1_3gpuE4ELNS1_3repE0EEENS1_59segmented_radix_sort_warp_sort_small_config_static_selectorELNS0_4arch9wavefront6targetE1EEEvSK_, .Lfunc_end317-_ZN7rocprim17ROCPRIM_400000_NS6detail17trampoline_kernelINS0_14default_configENS1_36segmented_radix_sort_config_selectorIalEEZNS1_25segmented_radix_sort_implIS3_Lb1EPKaPaPKlPlN2at6native12_GLOBAL__N_18offset_tEEE10hipError_tPvRmT1_PNSt15iterator_traitsISK_E10value_typeET2_T3_PNSL_ISQ_E10value_typeET4_jRbjT5_SW_jjP12ihipStream_tbEUlT_E1_NS1_11comp_targetILNS1_3genE10ELNS1_11target_archE1200ELNS1_3gpuE4ELNS1_3repE0EEENS1_59segmented_radix_sort_warp_sort_small_config_static_selectorELNS0_4arch9wavefront6targetE1EEEvSK_
                                        ; -- End function
	.set _ZN7rocprim17ROCPRIM_400000_NS6detail17trampoline_kernelINS0_14default_configENS1_36segmented_radix_sort_config_selectorIalEEZNS1_25segmented_radix_sort_implIS3_Lb1EPKaPaPKlPlN2at6native12_GLOBAL__N_18offset_tEEE10hipError_tPvRmT1_PNSt15iterator_traitsISK_E10value_typeET2_T3_PNSL_ISQ_E10value_typeET4_jRbjT5_SW_jjP12ihipStream_tbEUlT_E1_NS1_11comp_targetILNS1_3genE10ELNS1_11target_archE1200ELNS1_3gpuE4ELNS1_3repE0EEENS1_59segmented_radix_sort_warp_sort_small_config_static_selectorELNS0_4arch9wavefront6targetE1EEEvSK_.num_vgpr, 0
	.set _ZN7rocprim17ROCPRIM_400000_NS6detail17trampoline_kernelINS0_14default_configENS1_36segmented_radix_sort_config_selectorIalEEZNS1_25segmented_radix_sort_implIS3_Lb1EPKaPaPKlPlN2at6native12_GLOBAL__N_18offset_tEEE10hipError_tPvRmT1_PNSt15iterator_traitsISK_E10value_typeET2_T3_PNSL_ISQ_E10value_typeET4_jRbjT5_SW_jjP12ihipStream_tbEUlT_E1_NS1_11comp_targetILNS1_3genE10ELNS1_11target_archE1200ELNS1_3gpuE4ELNS1_3repE0EEENS1_59segmented_radix_sort_warp_sort_small_config_static_selectorELNS0_4arch9wavefront6targetE1EEEvSK_.num_agpr, 0
	.set _ZN7rocprim17ROCPRIM_400000_NS6detail17trampoline_kernelINS0_14default_configENS1_36segmented_radix_sort_config_selectorIalEEZNS1_25segmented_radix_sort_implIS3_Lb1EPKaPaPKlPlN2at6native12_GLOBAL__N_18offset_tEEE10hipError_tPvRmT1_PNSt15iterator_traitsISK_E10value_typeET2_T3_PNSL_ISQ_E10value_typeET4_jRbjT5_SW_jjP12ihipStream_tbEUlT_E1_NS1_11comp_targetILNS1_3genE10ELNS1_11target_archE1200ELNS1_3gpuE4ELNS1_3repE0EEENS1_59segmented_radix_sort_warp_sort_small_config_static_selectorELNS0_4arch9wavefront6targetE1EEEvSK_.numbered_sgpr, 0
	.set _ZN7rocprim17ROCPRIM_400000_NS6detail17trampoline_kernelINS0_14default_configENS1_36segmented_radix_sort_config_selectorIalEEZNS1_25segmented_radix_sort_implIS3_Lb1EPKaPaPKlPlN2at6native12_GLOBAL__N_18offset_tEEE10hipError_tPvRmT1_PNSt15iterator_traitsISK_E10value_typeET2_T3_PNSL_ISQ_E10value_typeET4_jRbjT5_SW_jjP12ihipStream_tbEUlT_E1_NS1_11comp_targetILNS1_3genE10ELNS1_11target_archE1200ELNS1_3gpuE4ELNS1_3repE0EEENS1_59segmented_radix_sort_warp_sort_small_config_static_selectorELNS0_4arch9wavefront6targetE1EEEvSK_.num_named_barrier, 0
	.set _ZN7rocprim17ROCPRIM_400000_NS6detail17trampoline_kernelINS0_14default_configENS1_36segmented_radix_sort_config_selectorIalEEZNS1_25segmented_radix_sort_implIS3_Lb1EPKaPaPKlPlN2at6native12_GLOBAL__N_18offset_tEEE10hipError_tPvRmT1_PNSt15iterator_traitsISK_E10value_typeET2_T3_PNSL_ISQ_E10value_typeET4_jRbjT5_SW_jjP12ihipStream_tbEUlT_E1_NS1_11comp_targetILNS1_3genE10ELNS1_11target_archE1200ELNS1_3gpuE4ELNS1_3repE0EEENS1_59segmented_radix_sort_warp_sort_small_config_static_selectorELNS0_4arch9wavefront6targetE1EEEvSK_.private_seg_size, 0
	.set _ZN7rocprim17ROCPRIM_400000_NS6detail17trampoline_kernelINS0_14default_configENS1_36segmented_radix_sort_config_selectorIalEEZNS1_25segmented_radix_sort_implIS3_Lb1EPKaPaPKlPlN2at6native12_GLOBAL__N_18offset_tEEE10hipError_tPvRmT1_PNSt15iterator_traitsISK_E10value_typeET2_T3_PNSL_ISQ_E10value_typeET4_jRbjT5_SW_jjP12ihipStream_tbEUlT_E1_NS1_11comp_targetILNS1_3genE10ELNS1_11target_archE1200ELNS1_3gpuE4ELNS1_3repE0EEENS1_59segmented_radix_sort_warp_sort_small_config_static_selectorELNS0_4arch9wavefront6targetE1EEEvSK_.uses_vcc, 0
	.set _ZN7rocprim17ROCPRIM_400000_NS6detail17trampoline_kernelINS0_14default_configENS1_36segmented_radix_sort_config_selectorIalEEZNS1_25segmented_radix_sort_implIS3_Lb1EPKaPaPKlPlN2at6native12_GLOBAL__N_18offset_tEEE10hipError_tPvRmT1_PNSt15iterator_traitsISK_E10value_typeET2_T3_PNSL_ISQ_E10value_typeET4_jRbjT5_SW_jjP12ihipStream_tbEUlT_E1_NS1_11comp_targetILNS1_3genE10ELNS1_11target_archE1200ELNS1_3gpuE4ELNS1_3repE0EEENS1_59segmented_radix_sort_warp_sort_small_config_static_selectorELNS0_4arch9wavefront6targetE1EEEvSK_.uses_flat_scratch, 0
	.set _ZN7rocprim17ROCPRIM_400000_NS6detail17trampoline_kernelINS0_14default_configENS1_36segmented_radix_sort_config_selectorIalEEZNS1_25segmented_radix_sort_implIS3_Lb1EPKaPaPKlPlN2at6native12_GLOBAL__N_18offset_tEEE10hipError_tPvRmT1_PNSt15iterator_traitsISK_E10value_typeET2_T3_PNSL_ISQ_E10value_typeET4_jRbjT5_SW_jjP12ihipStream_tbEUlT_E1_NS1_11comp_targetILNS1_3genE10ELNS1_11target_archE1200ELNS1_3gpuE4ELNS1_3repE0EEENS1_59segmented_radix_sort_warp_sort_small_config_static_selectorELNS0_4arch9wavefront6targetE1EEEvSK_.has_dyn_sized_stack, 0
	.set _ZN7rocprim17ROCPRIM_400000_NS6detail17trampoline_kernelINS0_14default_configENS1_36segmented_radix_sort_config_selectorIalEEZNS1_25segmented_radix_sort_implIS3_Lb1EPKaPaPKlPlN2at6native12_GLOBAL__N_18offset_tEEE10hipError_tPvRmT1_PNSt15iterator_traitsISK_E10value_typeET2_T3_PNSL_ISQ_E10value_typeET4_jRbjT5_SW_jjP12ihipStream_tbEUlT_E1_NS1_11comp_targetILNS1_3genE10ELNS1_11target_archE1200ELNS1_3gpuE4ELNS1_3repE0EEENS1_59segmented_radix_sort_warp_sort_small_config_static_selectorELNS0_4arch9wavefront6targetE1EEEvSK_.has_recursion, 0
	.set _ZN7rocprim17ROCPRIM_400000_NS6detail17trampoline_kernelINS0_14default_configENS1_36segmented_radix_sort_config_selectorIalEEZNS1_25segmented_radix_sort_implIS3_Lb1EPKaPaPKlPlN2at6native12_GLOBAL__N_18offset_tEEE10hipError_tPvRmT1_PNSt15iterator_traitsISK_E10value_typeET2_T3_PNSL_ISQ_E10value_typeET4_jRbjT5_SW_jjP12ihipStream_tbEUlT_E1_NS1_11comp_targetILNS1_3genE10ELNS1_11target_archE1200ELNS1_3gpuE4ELNS1_3repE0EEENS1_59segmented_radix_sort_warp_sort_small_config_static_selectorELNS0_4arch9wavefront6targetE1EEEvSK_.has_indirect_call, 0
	.section	.AMDGPU.csdata,"",@progbits
; Kernel info:
; codeLenInByte = 0
; TotalNumSgprs: 4
; NumVgprs: 0
; ScratchSize: 0
; MemoryBound: 0
; FloatMode: 240
; IeeeMode: 1
; LDSByteSize: 0 bytes/workgroup (compile time only)
; SGPRBlocks: 0
; VGPRBlocks: 0
; NumSGPRsForWavesPerEU: 4
; NumVGPRsForWavesPerEU: 1
; Occupancy: 10
; WaveLimiterHint : 0
; COMPUTE_PGM_RSRC2:SCRATCH_EN: 0
; COMPUTE_PGM_RSRC2:USER_SGPR: 6
; COMPUTE_PGM_RSRC2:TRAP_HANDLER: 0
; COMPUTE_PGM_RSRC2:TGID_X_EN: 1
; COMPUTE_PGM_RSRC2:TGID_Y_EN: 0
; COMPUTE_PGM_RSRC2:TGID_Z_EN: 0
; COMPUTE_PGM_RSRC2:TIDIG_COMP_CNT: 0
	.section	.text._ZN7rocprim17ROCPRIM_400000_NS6detail17trampoline_kernelINS0_14default_configENS1_36segmented_radix_sort_config_selectorIalEEZNS1_25segmented_radix_sort_implIS3_Lb1EPKaPaPKlPlN2at6native12_GLOBAL__N_18offset_tEEE10hipError_tPvRmT1_PNSt15iterator_traitsISK_E10value_typeET2_T3_PNSL_ISQ_E10value_typeET4_jRbjT5_SW_jjP12ihipStream_tbEUlT_E1_NS1_11comp_targetILNS1_3genE9ELNS1_11target_archE1100ELNS1_3gpuE3ELNS1_3repE0EEENS1_59segmented_radix_sort_warp_sort_small_config_static_selectorELNS0_4arch9wavefront6targetE1EEEvSK_,"axG",@progbits,_ZN7rocprim17ROCPRIM_400000_NS6detail17trampoline_kernelINS0_14default_configENS1_36segmented_radix_sort_config_selectorIalEEZNS1_25segmented_radix_sort_implIS3_Lb1EPKaPaPKlPlN2at6native12_GLOBAL__N_18offset_tEEE10hipError_tPvRmT1_PNSt15iterator_traitsISK_E10value_typeET2_T3_PNSL_ISQ_E10value_typeET4_jRbjT5_SW_jjP12ihipStream_tbEUlT_E1_NS1_11comp_targetILNS1_3genE9ELNS1_11target_archE1100ELNS1_3gpuE3ELNS1_3repE0EEENS1_59segmented_radix_sort_warp_sort_small_config_static_selectorELNS0_4arch9wavefront6targetE1EEEvSK_,comdat
	.globl	_ZN7rocprim17ROCPRIM_400000_NS6detail17trampoline_kernelINS0_14default_configENS1_36segmented_radix_sort_config_selectorIalEEZNS1_25segmented_radix_sort_implIS3_Lb1EPKaPaPKlPlN2at6native12_GLOBAL__N_18offset_tEEE10hipError_tPvRmT1_PNSt15iterator_traitsISK_E10value_typeET2_T3_PNSL_ISQ_E10value_typeET4_jRbjT5_SW_jjP12ihipStream_tbEUlT_E1_NS1_11comp_targetILNS1_3genE9ELNS1_11target_archE1100ELNS1_3gpuE3ELNS1_3repE0EEENS1_59segmented_radix_sort_warp_sort_small_config_static_selectorELNS0_4arch9wavefront6targetE1EEEvSK_ ; -- Begin function _ZN7rocprim17ROCPRIM_400000_NS6detail17trampoline_kernelINS0_14default_configENS1_36segmented_radix_sort_config_selectorIalEEZNS1_25segmented_radix_sort_implIS3_Lb1EPKaPaPKlPlN2at6native12_GLOBAL__N_18offset_tEEE10hipError_tPvRmT1_PNSt15iterator_traitsISK_E10value_typeET2_T3_PNSL_ISQ_E10value_typeET4_jRbjT5_SW_jjP12ihipStream_tbEUlT_E1_NS1_11comp_targetILNS1_3genE9ELNS1_11target_archE1100ELNS1_3gpuE3ELNS1_3repE0EEENS1_59segmented_radix_sort_warp_sort_small_config_static_selectorELNS0_4arch9wavefront6targetE1EEEvSK_
	.p2align	8
	.type	_ZN7rocprim17ROCPRIM_400000_NS6detail17trampoline_kernelINS0_14default_configENS1_36segmented_radix_sort_config_selectorIalEEZNS1_25segmented_radix_sort_implIS3_Lb1EPKaPaPKlPlN2at6native12_GLOBAL__N_18offset_tEEE10hipError_tPvRmT1_PNSt15iterator_traitsISK_E10value_typeET2_T3_PNSL_ISQ_E10value_typeET4_jRbjT5_SW_jjP12ihipStream_tbEUlT_E1_NS1_11comp_targetILNS1_3genE9ELNS1_11target_archE1100ELNS1_3gpuE3ELNS1_3repE0EEENS1_59segmented_radix_sort_warp_sort_small_config_static_selectorELNS0_4arch9wavefront6targetE1EEEvSK_,@function
_ZN7rocprim17ROCPRIM_400000_NS6detail17trampoline_kernelINS0_14default_configENS1_36segmented_radix_sort_config_selectorIalEEZNS1_25segmented_radix_sort_implIS3_Lb1EPKaPaPKlPlN2at6native12_GLOBAL__N_18offset_tEEE10hipError_tPvRmT1_PNSt15iterator_traitsISK_E10value_typeET2_T3_PNSL_ISQ_E10value_typeET4_jRbjT5_SW_jjP12ihipStream_tbEUlT_E1_NS1_11comp_targetILNS1_3genE9ELNS1_11target_archE1100ELNS1_3gpuE3ELNS1_3repE0EEENS1_59segmented_radix_sort_warp_sort_small_config_static_selectorELNS0_4arch9wavefront6targetE1EEEvSK_: ; @_ZN7rocprim17ROCPRIM_400000_NS6detail17trampoline_kernelINS0_14default_configENS1_36segmented_radix_sort_config_selectorIalEEZNS1_25segmented_radix_sort_implIS3_Lb1EPKaPaPKlPlN2at6native12_GLOBAL__N_18offset_tEEE10hipError_tPvRmT1_PNSt15iterator_traitsISK_E10value_typeET2_T3_PNSL_ISQ_E10value_typeET4_jRbjT5_SW_jjP12ihipStream_tbEUlT_E1_NS1_11comp_targetILNS1_3genE9ELNS1_11target_archE1100ELNS1_3gpuE3ELNS1_3repE0EEENS1_59segmented_radix_sort_warp_sort_small_config_static_selectorELNS0_4arch9wavefront6targetE1EEEvSK_
; %bb.0:
	.section	.rodata,"a",@progbits
	.p2align	6, 0x0
	.amdhsa_kernel _ZN7rocprim17ROCPRIM_400000_NS6detail17trampoline_kernelINS0_14default_configENS1_36segmented_radix_sort_config_selectorIalEEZNS1_25segmented_radix_sort_implIS3_Lb1EPKaPaPKlPlN2at6native12_GLOBAL__N_18offset_tEEE10hipError_tPvRmT1_PNSt15iterator_traitsISK_E10value_typeET2_T3_PNSL_ISQ_E10value_typeET4_jRbjT5_SW_jjP12ihipStream_tbEUlT_E1_NS1_11comp_targetILNS1_3genE9ELNS1_11target_archE1100ELNS1_3gpuE3ELNS1_3repE0EEENS1_59segmented_radix_sort_warp_sort_small_config_static_selectorELNS0_4arch9wavefront6targetE1EEEvSK_
		.amdhsa_group_segment_fixed_size 0
		.amdhsa_private_segment_fixed_size 0
		.amdhsa_kernarg_size 88
		.amdhsa_user_sgpr_count 6
		.amdhsa_user_sgpr_private_segment_buffer 1
		.amdhsa_user_sgpr_dispatch_ptr 0
		.amdhsa_user_sgpr_queue_ptr 0
		.amdhsa_user_sgpr_kernarg_segment_ptr 1
		.amdhsa_user_sgpr_dispatch_id 0
		.amdhsa_user_sgpr_flat_scratch_init 0
		.amdhsa_user_sgpr_private_segment_size 0
		.amdhsa_uses_dynamic_stack 0
		.amdhsa_system_sgpr_private_segment_wavefront_offset 0
		.amdhsa_system_sgpr_workgroup_id_x 1
		.amdhsa_system_sgpr_workgroup_id_y 0
		.amdhsa_system_sgpr_workgroup_id_z 0
		.amdhsa_system_sgpr_workgroup_info 0
		.amdhsa_system_vgpr_workitem_id 0
		.amdhsa_next_free_vgpr 1
		.amdhsa_next_free_sgpr 0
		.amdhsa_reserve_vcc 0
		.amdhsa_reserve_flat_scratch 0
		.amdhsa_float_round_mode_32 0
		.amdhsa_float_round_mode_16_64 0
		.amdhsa_float_denorm_mode_32 3
		.amdhsa_float_denorm_mode_16_64 3
		.amdhsa_dx10_clamp 1
		.amdhsa_ieee_mode 1
		.amdhsa_fp16_overflow 0
		.amdhsa_exception_fp_ieee_invalid_op 0
		.amdhsa_exception_fp_denorm_src 0
		.amdhsa_exception_fp_ieee_div_zero 0
		.amdhsa_exception_fp_ieee_overflow 0
		.amdhsa_exception_fp_ieee_underflow 0
		.amdhsa_exception_fp_ieee_inexact 0
		.amdhsa_exception_int_div_zero 0
	.end_amdhsa_kernel
	.section	.text._ZN7rocprim17ROCPRIM_400000_NS6detail17trampoline_kernelINS0_14default_configENS1_36segmented_radix_sort_config_selectorIalEEZNS1_25segmented_radix_sort_implIS3_Lb1EPKaPaPKlPlN2at6native12_GLOBAL__N_18offset_tEEE10hipError_tPvRmT1_PNSt15iterator_traitsISK_E10value_typeET2_T3_PNSL_ISQ_E10value_typeET4_jRbjT5_SW_jjP12ihipStream_tbEUlT_E1_NS1_11comp_targetILNS1_3genE9ELNS1_11target_archE1100ELNS1_3gpuE3ELNS1_3repE0EEENS1_59segmented_radix_sort_warp_sort_small_config_static_selectorELNS0_4arch9wavefront6targetE1EEEvSK_,"axG",@progbits,_ZN7rocprim17ROCPRIM_400000_NS6detail17trampoline_kernelINS0_14default_configENS1_36segmented_radix_sort_config_selectorIalEEZNS1_25segmented_radix_sort_implIS3_Lb1EPKaPaPKlPlN2at6native12_GLOBAL__N_18offset_tEEE10hipError_tPvRmT1_PNSt15iterator_traitsISK_E10value_typeET2_T3_PNSL_ISQ_E10value_typeET4_jRbjT5_SW_jjP12ihipStream_tbEUlT_E1_NS1_11comp_targetILNS1_3genE9ELNS1_11target_archE1100ELNS1_3gpuE3ELNS1_3repE0EEENS1_59segmented_radix_sort_warp_sort_small_config_static_selectorELNS0_4arch9wavefront6targetE1EEEvSK_,comdat
.Lfunc_end318:
	.size	_ZN7rocprim17ROCPRIM_400000_NS6detail17trampoline_kernelINS0_14default_configENS1_36segmented_radix_sort_config_selectorIalEEZNS1_25segmented_radix_sort_implIS3_Lb1EPKaPaPKlPlN2at6native12_GLOBAL__N_18offset_tEEE10hipError_tPvRmT1_PNSt15iterator_traitsISK_E10value_typeET2_T3_PNSL_ISQ_E10value_typeET4_jRbjT5_SW_jjP12ihipStream_tbEUlT_E1_NS1_11comp_targetILNS1_3genE9ELNS1_11target_archE1100ELNS1_3gpuE3ELNS1_3repE0EEENS1_59segmented_radix_sort_warp_sort_small_config_static_selectorELNS0_4arch9wavefront6targetE1EEEvSK_, .Lfunc_end318-_ZN7rocprim17ROCPRIM_400000_NS6detail17trampoline_kernelINS0_14default_configENS1_36segmented_radix_sort_config_selectorIalEEZNS1_25segmented_radix_sort_implIS3_Lb1EPKaPaPKlPlN2at6native12_GLOBAL__N_18offset_tEEE10hipError_tPvRmT1_PNSt15iterator_traitsISK_E10value_typeET2_T3_PNSL_ISQ_E10value_typeET4_jRbjT5_SW_jjP12ihipStream_tbEUlT_E1_NS1_11comp_targetILNS1_3genE9ELNS1_11target_archE1100ELNS1_3gpuE3ELNS1_3repE0EEENS1_59segmented_radix_sort_warp_sort_small_config_static_selectorELNS0_4arch9wavefront6targetE1EEEvSK_
                                        ; -- End function
	.set _ZN7rocprim17ROCPRIM_400000_NS6detail17trampoline_kernelINS0_14default_configENS1_36segmented_radix_sort_config_selectorIalEEZNS1_25segmented_radix_sort_implIS3_Lb1EPKaPaPKlPlN2at6native12_GLOBAL__N_18offset_tEEE10hipError_tPvRmT1_PNSt15iterator_traitsISK_E10value_typeET2_T3_PNSL_ISQ_E10value_typeET4_jRbjT5_SW_jjP12ihipStream_tbEUlT_E1_NS1_11comp_targetILNS1_3genE9ELNS1_11target_archE1100ELNS1_3gpuE3ELNS1_3repE0EEENS1_59segmented_radix_sort_warp_sort_small_config_static_selectorELNS0_4arch9wavefront6targetE1EEEvSK_.num_vgpr, 0
	.set _ZN7rocprim17ROCPRIM_400000_NS6detail17trampoline_kernelINS0_14default_configENS1_36segmented_radix_sort_config_selectorIalEEZNS1_25segmented_radix_sort_implIS3_Lb1EPKaPaPKlPlN2at6native12_GLOBAL__N_18offset_tEEE10hipError_tPvRmT1_PNSt15iterator_traitsISK_E10value_typeET2_T3_PNSL_ISQ_E10value_typeET4_jRbjT5_SW_jjP12ihipStream_tbEUlT_E1_NS1_11comp_targetILNS1_3genE9ELNS1_11target_archE1100ELNS1_3gpuE3ELNS1_3repE0EEENS1_59segmented_radix_sort_warp_sort_small_config_static_selectorELNS0_4arch9wavefront6targetE1EEEvSK_.num_agpr, 0
	.set _ZN7rocprim17ROCPRIM_400000_NS6detail17trampoline_kernelINS0_14default_configENS1_36segmented_radix_sort_config_selectorIalEEZNS1_25segmented_radix_sort_implIS3_Lb1EPKaPaPKlPlN2at6native12_GLOBAL__N_18offset_tEEE10hipError_tPvRmT1_PNSt15iterator_traitsISK_E10value_typeET2_T3_PNSL_ISQ_E10value_typeET4_jRbjT5_SW_jjP12ihipStream_tbEUlT_E1_NS1_11comp_targetILNS1_3genE9ELNS1_11target_archE1100ELNS1_3gpuE3ELNS1_3repE0EEENS1_59segmented_radix_sort_warp_sort_small_config_static_selectorELNS0_4arch9wavefront6targetE1EEEvSK_.numbered_sgpr, 0
	.set _ZN7rocprim17ROCPRIM_400000_NS6detail17trampoline_kernelINS0_14default_configENS1_36segmented_radix_sort_config_selectorIalEEZNS1_25segmented_radix_sort_implIS3_Lb1EPKaPaPKlPlN2at6native12_GLOBAL__N_18offset_tEEE10hipError_tPvRmT1_PNSt15iterator_traitsISK_E10value_typeET2_T3_PNSL_ISQ_E10value_typeET4_jRbjT5_SW_jjP12ihipStream_tbEUlT_E1_NS1_11comp_targetILNS1_3genE9ELNS1_11target_archE1100ELNS1_3gpuE3ELNS1_3repE0EEENS1_59segmented_radix_sort_warp_sort_small_config_static_selectorELNS0_4arch9wavefront6targetE1EEEvSK_.num_named_barrier, 0
	.set _ZN7rocprim17ROCPRIM_400000_NS6detail17trampoline_kernelINS0_14default_configENS1_36segmented_radix_sort_config_selectorIalEEZNS1_25segmented_radix_sort_implIS3_Lb1EPKaPaPKlPlN2at6native12_GLOBAL__N_18offset_tEEE10hipError_tPvRmT1_PNSt15iterator_traitsISK_E10value_typeET2_T3_PNSL_ISQ_E10value_typeET4_jRbjT5_SW_jjP12ihipStream_tbEUlT_E1_NS1_11comp_targetILNS1_3genE9ELNS1_11target_archE1100ELNS1_3gpuE3ELNS1_3repE0EEENS1_59segmented_radix_sort_warp_sort_small_config_static_selectorELNS0_4arch9wavefront6targetE1EEEvSK_.private_seg_size, 0
	.set _ZN7rocprim17ROCPRIM_400000_NS6detail17trampoline_kernelINS0_14default_configENS1_36segmented_radix_sort_config_selectorIalEEZNS1_25segmented_radix_sort_implIS3_Lb1EPKaPaPKlPlN2at6native12_GLOBAL__N_18offset_tEEE10hipError_tPvRmT1_PNSt15iterator_traitsISK_E10value_typeET2_T3_PNSL_ISQ_E10value_typeET4_jRbjT5_SW_jjP12ihipStream_tbEUlT_E1_NS1_11comp_targetILNS1_3genE9ELNS1_11target_archE1100ELNS1_3gpuE3ELNS1_3repE0EEENS1_59segmented_radix_sort_warp_sort_small_config_static_selectorELNS0_4arch9wavefront6targetE1EEEvSK_.uses_vcc, 0
	.set _ZN7rocprim17ROCPRIM_400000_NS6detail17trampoline_kernelINS0_14default_configENS1_36segmented_radix_sort_config_selectorIalEEZNS1_25segmented_radix_sort_implIS3_Lb1EPKaPaPKlPlN2at6native12_GLOBAL__N_18offset_tEEE10hipError_tPvRmT1_PNSt15iterator_traitsISK_E10value_typeET2_T3_PNSL_ISQ_E10value_typeET4_jRbjT5_SW_jjP12ihipStream_tbEUlT_E1_NS1_11comp_targetILNS1_3genE9ELNS1_11target_archE1100ELNS1_3gpuE3ELNS1_3repE0EEENS1_59segmented_radix_sort_warp_sort_small_config_static_selectorELNS0_4arch9wavefront6targetE1EEEvSK_.uses_flat_scratch, 0
	.set _ZN7rocprim17ROCPRIM_400000_NS6detail17trampoline_kernelINS0_14default_configENS1_36segmented_radix_sort_config_selectorIalEEZNS1_25segmented_radix_sort_implIS3_Lb1EPKaPaPKlPlN2at6native12_GLOBAL__N_18offset_tEEE10hipError_tPvRmT1_PNSt15iterator_traitsISK_E10value_typeET2_T3_PNSL_ISQ_E10value_typeET4_jRbjT5_SW_jjP12ihipStream_tbEUlT_E1_NS1_11comp_targetILNS1_3genE9ELNS1_11target_archE1100ELNS1_3gpuE3ELNS1_3repE0EEENS1_59segmented_radix_sort_warp_sort_small_config_static_selectorELNS0_4arch9wavefront6targetE1EEEvSK_.has_dyn_sized_stack, 0
	.set _ZN7rocprim17ROCPRIM_400000_NS6detail17trampoline_kernelINS0_14default_configENS1_36segmented_radix_sort_config_selectorIalEEZNS1_25segmented_radix_sort_implIS3_Lb1EPKaPaPKlPlN2at6native12_GLOBAL__N_18offset_tEEE10hipError_tPvRmT1_PNSt15iterator_traitsISK_E10value_typeET2_T3_PNSL_ISQ_E10value_typeET4_jRbjT5_SW_jjP12ihipStream_tbEUlT_E1_NS1_11comp_targetILNS1_3genE9ELNS1_11target_archE1100ELNS1_3gpuE3ELNS1_3repE0EEENS1_59segmented_radix_sort_warp_sort_small_config_static_selectorELNS0_4arch9wavefront6targetE1EEEvSK_.has_recursion, 0
	.set _ZN7rocprim17ROCPRIM_400000_NS6detail17trampoline_kernelINS0_14default_configENS1_36segmented_radix_sort_config_selectorIalEEZNS1_25segmented_radix_sort_implIS3_Lb1EPKaPaPKlPlN2at6native12_GLOBAL__N_18offset_tEEE10hipError_tPvRmT1_PNSt15iterator_traitsISK_E10value_typeET2_T3_PNSL_ISQ_E10value_typeET4_jRbjT5_SW_jjP12ihipStream_tbEUlT_E1_NS1_11comp_targetILNS1_3genE9ELNS1_11target_archE1100ELNS1_3gpuE3ELNS1_3repE0EEENS1_59segmented_radix_sort_warp_sort_small_config_static_selectorELNS0_4arch9wavefront6targetE1EEEvSK_.has_indirect_call, 0
	.section	.AMDGPU.csdata,"",@progbits
; Kernel info:
; codeLenInByte = 0
; TotalNumSgprs: 4
; NumVgprs: 0
; ScratchSize: 0
; MemoryBound: 0
; FloatMode: 240
; IeeeMode: 1
; LDSByteSize: 0 bytes/workgroup (compile time only)
; SGPRBlocks: 0
; VGPRBlocks: 0
; NumSGPRsForWavesPerEU: 4
; NumVGPRsForWavesPerEU: 1
; Occupancy: 10
; WaveLimiterHint : 0
; COMPUTE_PGM_RSRC2:SCRATCH_EN: 0
; COMPUTE_PGM_RSRC2:USER_SGPR: 6
; COMPUTE_PGM_RSRC2:TRAP_HANDLER: 0
; COMPUTE_PGM_RSRC2:TGID_X_EN: 1
; COMPUTE_PGM_RSRC2:TGID_Y_EN: 0
; COMPUTE_PGM_RSRC2:TGID_Z_EN: 0
; COMPUTE_PGM_RSRC2:TIDIG_COMP_CNT: 0
	.section	.text._ZN7rocprim17ROCPRIM_400000_NS6detail17trampoline_kernelINS0_14default_configENS1_36segmented_radix_sort_config_selectorIalEEZNS1_25segmented_radix_sort_implIS3_Lb1EPKaPaPKlPlN2at6native12_GLOBAL__N_18offset_tEEE10hipError_tPvRmT1_PNSt15iterator_traitsISK_E10value_typeET2_T3_PNSL_ISQ_E10value_typeET4_jRbjT5_SW_jjP12ihipStream_tbEUlT_E1_NS1_11comp_targetILNS1_3genE8ELNS1_11target_archE1030ELNS1_3gpuE2ELNS1_3repE0EEENS1_59segmented_radix_sort_warp_sort_small_config_static_selectorELNS0_4arch9wavefront6targetE1EEEvSK_,"axG",@progbits,_ZN7rocprim17ROCPRIM_400000_NS6detail17trampoline_kernelINS0_14default_configENS1_36segmented_radix_sort_config_selectorIalEEZNS1_25segmented_radix_sort_implIS3_Lb1EPKaPaPKlPlN2at6native12_GLOBAL__N_18offset_tEEE10hipError_tPvRmT1_PNSt15iterator_traitsISK_E10value_typeET2_T3_PNSL_ISQ_E10value_typeET4_jRbjT5_SW_jjP12ihipStream_tbEUlT_E1_NS1_11comp_targetILNS1_3genE8ELNS1_11target_archE1030ELNS1_3gpuE2ELNS1_3repE0EEENS1_59segmented_radix_sort_warp_sort_small_config_static_selectorELNS0_4arch9wavefront6targetE1EEEvSK_,comdat
	.globl	_ZN7rocprim17ROCPRIM_400000_NS6detail17trampoline_kernelINS0_14default_configENS1_36segmented_radix_sort_config_selectorIalEEZNS1_25segmented_radix_sort_implIS3_Lb1EPKaPaPKlPlN2at6native12_GLOBAL__N_18offset_tEEE10hipError_tPvRmT1_PNSt15iterator_traitsISK_E10value_typeET2_T3_PNSL_ISQ_E10value_typeET4_jRbjT5_SW_jjP12ihipStream_tbEUlT_E1_NS1_11comp_targetILNS1_3genE8ELNS1_11target_archE1030ELNS1_3gpuE2ELNS1_3repE0EEENS1_59segmented_radix_sort_warp_sort_small_config_static_selectorELNS0_4arch9wavefront6targetE1EEEvSK_ ; -- Begin function _ZN7rocprim17ROCPRIM_400000_NS6detail17trampoline_kernelINS0_14default_configENS1_36segmented_radix_sort_config_selectorIalEEZNS1_25segmented_radix_sort_implIS3_Lb1EPKaPaPKlPlN2at6native12_GLOBAL__N_18offset_tEEE10hipError_tPvRmT1_PNSt15iterator_traitsISK_E10value_typeET2_T3_PNSL_ISQ_E10value_typeET4_jRbjT5_SW_jjP12ihipStream_tbEUlT_E1_NS1_11comp_targetILNS1_3genE8ELNS1_11target_archE1030ELNS1_3gpuE2ELNS1_3repE0EEENS1_59segmented_radix_sort_warp_sort_small_config_static_selectorELNS0_4arch9wavefront6targetE1EEEvSK_
	.p2align	8
	.type	_ZN7rocprim17ROCPRIM_400000_NS6detail17trampoline_kernelINS0_14default_configENS1_36segmented_radix_sort_config_selectorIalEEZNS1_25segmented_radix_sort_implIS3_Lb1EPKaPaPKlPlN2at6native12_GLOBAL__N_18offset_tEEE10hipError_tPvRmT1_PNSt15iterator_traitsISK_E10value_typeET2_T3_PNSL_ISQ_E10value_typeET4_jRbjT5_SW_jjP12ihipStream_tbEUlT_E1_NS1_11comp_targetILNS1_3genE8ELNS1_11target_archE1030ELNS1_3gpuE2ELNS1_3repE0EEENS1_59segmented_radix_sort_warp_sort_small_config_static_selectorELNS0_4arch9wavefront6targetE1EEEvSK_,@function
_ZN7rocprim17ROCPRIM_400000_NS6detail17trampoline_kernelINS0_14default_configENS1_36segmented_radix_sort_config_selectorIalEEZNS1_25segmented_radix_sort_implIS3_Lb1EPKaPaPKlPlN2at6native12_GLOBAL__N_18offset_tEEE10hipError_tPvRmT1_PNSt15iterator_traitsISK_E10value_typeET2_T3_PNSL_ISQ_E10value_typeET4_jRbjT5_SW_jjP12ihipStream_tbEUlT_E1_NS1_11comp_targetILNS1_3genE8ELNS1_11target_archE1030ELNS1_3gpuE2ELNS1_3repE0EEENS1_59segmented_radix_sort_warp_sort_small_config_static_selectorELNS0_4arch9wavefront6targetE1EEEvSK_: ; @_ZN7rocprim17ROCPRIM_400000_NS6detail17trampoline_kernelINS0_14default_configENS1_36segmented_radix_sort_config_selectorIalEEZNS1_25segmented_radix_sort_implIS3_Lb1EPKaPaPKlPlN2at6native12_GLOBAL__N_18offset_tEEE10hipError_tPvRmT1_PNSt15iterator_traitsISK_E10value_typeET2_T3_PNSL_ISQ_E10value_typeET4_jRbjT5_SW_jjP12ihipStream_tbEUlT_E1_NS1_11comp_targetILNS1_3genE8ELNS1_11target_archE1030ELNS1_3gpuE2ELNS1_3repE0EEENS1_59segmented_radix_sort_warp_sort_small_config_static_selectorELNS0_4arch9wavefront6targetE1EEEvSK_
; %bb.0:
	.section	.rodata,"a",@progbits
	.p2align	6, 0x0
	.amdhsa_kernel _ZN7rocprim17ROCPRIM_400000_NS6detail17trampoline_kernelINS0_14default_configENS1_36segmented_radix_sort_config_selectorIalEEZNS1_25segmented_radix_sort_implIS3_Lb1EPKaPaPKlPlN2at6native12_GLOBAL__N_18offset_tEEE10hipError_tPvRmT1_PNSt15iterator_traitsISK_E10value_typeET2_T3_PNSL_ISQ_E10value_typeET4_jRbjT5_SW_jjP12ihipStream_tbEUlT_E1_NS1_11comp_targetILNS1_3genE8ELNS1_11target_archE1030ELNS1_3gpuE2ELNS1_3repE0EEENS1_59segmented_radix_sort_warp_sort_small_config_static_selectorELNS0_4arch9wavefront6targetE1EEEvSK_
		.amdhsa_group_segment_fixed_size 0
		.amdhsa_private_segment_fixed_size 0
		.amdhsa_kernarg_size 88
		.amdhsa_user_sgpr_count 6
		.amdhsa_user_sgpr_private_segment_buffer 1
		.amdhsa_user_sgpr_dispatch_ptr 0
		.amdhsa_user_sgpr_queue_ptr 0
		.amdhsa_user_sgpr_kernarg_segment_ptr 1
		.amdhsa_user_sgpr_dispatch_id 0
		.amdhsa_user_sgpr_flat_scratch_init 0
		.amdhsa_user_sgpr_private_segment_size 0
		.amdhsa_uses_dynamic_stack 0
		.amdhsa_system_sgpr_private_segment_wavefront_offset 0
		.amdhsa_system_sgpr_workgroup_id_x 1
		.amdhsa_system_sgpr_workgroup_id_y 0
		.amdhsa_system_sgpr_workgroup_id_z 0
		.amdhsa_system_sgpr_workgroup_info 0
		.amdhsa_system_vgpr_workitem_id 0
		.amdhsa_next_free_vgpr 1
		.amdhsa_next_free_sgpr 0
		.amdhsa_reserve_vcc 0
		.amdhsa_reserve_flat_scratch 0
		.amdhsa_float_round_mode_32 0
		.amdhsa_float_round_mode_16_64 0
		.amdhsa_float_denorm_mode_32 3
		.amdhsa_float_denorm_mode_16_64 3
		.amdhsa_dx10_clamp 1
		.amdhsa_ieee_mode 1
		.amdhsa_fp16_overflow 0
		.amdhsa_exception_fp_ieee_invalid_op 0
		.amdhsa_exception_fp_denorm_src 0
		.amdhsa_exception_fp_ieee_div_zero 0
		.amdhsa_exception_fp_ieee_overflow 0
		.amdhsa_exception_fp_ieee_underflow 0
		.amdhsa_exception_fp_ieee_inexact 0
		.amdhsa_exception_int_div_zero 0
	.end_amdhsa_kernel
	.section	.text._ZN7rocprim17ROCPRIM_400000_NS6detail17trampoline_kernelINS0_14default_configENS1_36segmented_radix_sort_config_selectorIalEEZNS1_25segmented_radix_sort_implIS3_Lb1EPKaPaPKlPlN2at6native12_GLOBAL__N_18offset_tEEE10hipError_tPvRmT1_PNSt15iterator_traitsISK_E10value_typeET2_T3_PNSL_ISQ_E10value_typeET4_jRbjT5_SW_jjP12ihipStream_tbEUlT_E1_NS1_11comp_targetILNS1_3genE8ELNS1_11target_archE1030ELNS1_3gpuE2ELNS1_3repE0EEENS1_59segmented_radix_sort_warp_sort_small_config_static_selectorELNS0_4arch9wavefront6targetE1EEEvSK_,"axG",@progbits,_ZN7rocprim17ROCPRIM_400000_NS6detail17trampoline_kernelINS0_14default_configENS1_36segmented_radix_sort_config_selectorIalEEZNS1_25segmented_radix_sort_implIS3_Lb1EPKaPaPKlPlN2at6native12_GLOBAL__N_18offset_tEEE10hipError_tPvRmT1_PNSt15iterator_traitsISK_E10value_typeET2_T3_PNSL_ISQ_E10value_typeET4_jRbjT5_SW_jjP12ihipStream_tbEUlT_E1_NS1_11comp_targetILNS1_3genE8ELNS1_11target_archE1030ELNS1_3gpuE2ELNS1_3repE0EEENS1_59segmented_radix_sort_warp_sort_small_config_static_selectorELNS0_4arch9wavefront6targetE1EEEvSK_,comdat
.Lfunc_end319:
	.size	_ZN7rocprim17ROCPRIM_400000_NS6detail17trampoline_kernelINS0_14default_configENS1_36segmented_radix_sort_config_selectorIalEEZNS1_25segmented_radix_sort_implIS3_Lb1EPKaPaPKlPlN2at6native12_GLOBAL__N_18offset_tEEE10hipError_tPvRmT1_PNSt15iterator_traitsISK_E10value_typeET2_T3_PNSL_ISQ_E10value_typeET4_jRbjT5_SW_jjP12ihipStream_tbEUlT_E1_NS1_11comp_targetILNS1_3genE8ELNS1_11target_archE1030ELNS1_3gpuE2ELNS1_3repE0EEENS1_59segmented_radix_sort_warp_sort_small_config_static_selectorELNS0_4arch9wavefront6targetE1EEEvSK_, .Lfunc_end319-_ZN7rocprim17ROCPRIM_400000_NS6detail17trampoline_kernelINS0_14default_configENS1_36segmented_radix_sort_config_selectorIalEEZNS1_25segmented_radix_sort_implIS3_Lb1EPKaPaPKlPlN2at6native12_GLOBAL__N_18offset_tEEE10hipError_tPvRmT1_PNSt15iterator_traitsISK_E10value_typeET2_T3_PNSL_ISQ_E10value_typeET4_jRbjT5_SW_jjP12ihipStream_tbEUlT_E1_NS1_11comp_targetILNS1_3genE8ELNS1_11target_archE1030ELNS1_3gpuE2ELNS1_3repE0EEENS1_59segmented_radix_sort_warp_sort_small_config_static_selectorELNS0_4arch9wavefront6targetE1EEEvSK_
                                        ; -- End function
	.set _ZN7rocprim17ROCPRIM_400000_NS6detail17trampoline_kernelINS0_14default_configENS1_36segmented_radix_sort_config_selectorIalEEZNS1_25segmented_radix_sort_implIS3_Lb1EPKaPaPKlPlN2at6native12_GLOBAL__N_18offset_tEEE10hipError_tPvRmT1_PNSt15iterator_traitsISK_E10value_typeET2_T3_PNSL_ISQ_E10value_typeET4_jRbjT5_SW_jjP12ihipStream_tbEUlT_E1_NS1_11comp_targetILNS1_3genE8ELNS1_11target_archE1030ELNS1_3gpuE2ELNS1_3repE0EEENS1_59segmented_radix_sort_warp_sort_small_config_static_selectorELNS0_4arch9wavefront6targetE1EEEvSK_.num_vgpr, 0
	.set _ZN7rocprim17ROCPRIM_400000_NS6detail17trampoline_kernelINS0_14default_configENS1_36segmented_radix_sort_config_selectorIalEEZNS1_25segmented_radix_sort_implIS3_Lb1EPKaPaPKlPlN2at6native12_GLOBAL__N_18offset_tEEE10hipError_tPvRmT1_PNSt15iterator_traitsISK_E10value_typeET2_T3_PNSL_ISQ_E10value_typeET4_jRbjT5_SW_jjP12ihipStream_tbEUlT_E1_NS1_11comp_targetILNS1_3genE8ELNS1_11target_archE1030ELNS1_3gpuE2ELNS1_3repE0EEENS1_59segmented_radix_sort_warp_sort_small_config_static_selectorELNS0_4arch9wavefront6targetE1EEEvSK_.num_agpr, 0
	.set _ZN7rocprim17ROCPRIM_400000_NS6detail17trampoline_kernelINS0_14default_configENS1_36segmented_radix_sort_config_selectorIalEEZNS1_25segmented_radix_sort_implIS3_Lb1EPKaPaPKlPlN2at6native12_GLOBAL__N_18offset_tEEE10hipError_tPvRmT1_PNSt15iterator_traitsISK_E10value_typeET2_T3_PNSL_ISQ_E10value_typeET4_jRbjT5_SW_jjP12ihipStream_tbEUlT_E1_NS1_11comp_targetILNS1_3genE8ELNS1_11target_archE1030ELNS1_3gpuE2ELNS1_3repE0EEENS1_59segmented_radix_sort_warp_sort_small_config_static_selectorELNS0_4arch9wavefront6targetE1EEEvSK_.numbered_sgpr, 0
	.set _ZN7rocprim17ROCPRIM_400000_NS6detail17trampoline_kernelINS0_14default_configENS1_36segmented_radix_sort_config_selectorIalEEZNS1_25segmented_radix_sort_implIS3_Lb1EPKaPaPKlPlN2at6native12_GLOBAL__N_18offset_tEEE10hipError_tPvRmT1_PNSt15iterator_traitsISK_E10value_typeET2_T3_PNSL_ISQ_E10value_typeET4_jRbjT5_SW_jjP12ihipStream_tbEUlT_E1_NS1_11comp_targetILNS1_3genE8ELNS1_11target_archE1030ELNS1_3gpuE2ELNS1_3repE0EEENS1_59segmented_radix_sort_warp_sort_small_config_static_selectorELNS0_4arch9wavefront6targetE1EEEvSK_.num_named_barrier, 0
	.set _ZN7rocprim17ROCPRIM_400000_NS6detail17trampoline_kernelINS0_14default_configENS1_36segmented_radix_sort_config_selectorIalEEZNS1_25segmented_radix_sort_implIS3_Lb1EPKaPaPKlPlN2at6native12_GLOBAL__N_18offset_tEEE10hipError_tPvRmT1_PNSt15iterator_traitsISK_E10value_typeET2_T3_PNSL_ISQ_E10value_typeET4_jRbjT5_SW_jjP12ihipStream_tbEUlT_E1_NS1_11comp_targetILNS1_3genE8ELNS1_11target_archE1030ELNS1_3gpuE2ELNS1_3repE0EEENS1_59segmented_radix_sort_warp_sort_small_config_static_selectorELNS0_4arch9wavefront6targetE1EEEvSK_.private_seg_size, 0
	.set _ZN7rocprim17ROCPRIM_400000_NS6detail17trampoline_kernelINS0_14default_configENS1_36segmented_radix_sort_config_selectorIalEEZNS1_25segmented_radix_sort_implIS3_Lb1EPKaPaPKlPlN2at6native12_GLOBAL__N_18offset_tEEE10hipError_tPvRmT1_PNSt15iterator_traitsISK_E10value_typeET2_T3_PNSL_ISQ_E10value_typeET4_jRbjT5_SW_jjP12ihipStream_tbEUlT_E1_NS1_11comp_targetILNS1_3genE8ELNS1_11target_archE1030ELNS1_3gpuE2ELNS1_3repE0EEENS1_59segmented_radix_sort_warp_sort_small_config_static_selectorELNS0_4arch9wavefront6targetE1EEEvSK_.uses_vcc, 0
	.set _ZN7rocprim17ROCPRIM_400000_NS6detail17trampoline_kernelINS0_14default_configENS1_36segmented_radix_sort_config_selectorIalEEZNS1_25segmented_radix_sort_implIS3_Lb1EPKaPaPKlPlN2at6native12_GLOBAL__N_18offset_tEEE10hipError_tPvRmT1_PNSt15iterator_traitsISK_E10value_typeET2_T3_PNSL_ISQ_E10value_typeET4_jRbjT5_SW_jjP12ihipStream_tbEUlT_E1_NS1_11comp_targetILNS1_3genE8ELNS1_11target_archE1030ELNS1_3gpuE2ELNS1_3repE0EEENS1_59segmented_radix_sort_warp_sort_small_config_static_selectorELNS0_4arch9wavefront6targetE1EEEvSK_.uses_flat_scratch, 0
	.set _ZN7rocprim17ROCPRIM_400000_NS6detail17trampoline_kernelINS0_14default_configENS1_36segmented_radix_sort_config_selectorIalEEZNS1_25segmented_radix_sort_implIS3_Lb1EPKaPaPKlPlN2at6native12_GLOBAL__N_18offset_tEEE10hipError_tPvRmT1_PNSt15iterator_traitsISK_E10value_typeET2_T3_PNSL_ISQ_E10value_typeET4_jRbjT5_SW_jjP12ihipStream_tbEUlT_E1_NS1_11comp_targetILNS1_3genE8ELNS1_11target_archE1030ELNS1_3gpuE2ELNS1_3repE0EEENS1_59segmented_radix_sort_warp_sort_small_config_static_selectorELNS0_4arch9wavefront6targetE1EEEvSK_.has_dyn_sized_stack, 0
	.set _ZN7rocprim17ROCPRIM_400000_NS6detail17trampoline_kernelINS0_14default_configENS1_36segmented_radix_sort_config_selectorIalEEZNS1_25segmented_radix_sort_implIS3_Lb1EPKaPaPKlPlN2at6native12_GLOBAL__N_18offset_tEEE10hipError_tPvRmT1_PNSt15iterator_traitsISK_E10value_typeET2_T3_PNSL_ISQ_E10value_typeET4_jRbjT5_SW_jjP12ihipStream_tbEUlT_E1_NS1_11comp_targetILNS1_3genE8ELNS1_11target_archE1030ELNS1_3gpuE2ELNS1_3repE0EEENS1_59segmented_radix_sort_warp_sort_small_config_static_selectorELNS0_4arch9wavefront6targetE1EEEvSK_.has_recursion, 0
	.set _ZN7rocprim17ROCPRIM_400000_NS6detail17trampoline_kernelINS0_14default_configENS1_36segmented_radix_sort_config_selectorIalEEZNS1_25segmented_radix_sort_implIS3_Lb1EPKaPaPKlPlN2at6native12_GLOBAL__N_18offset_tEEE10hipError_tPvRmT1_PNSt15iterator_traitsISK_E10value_typeET2_T3_PNSL_ISQ_E10value_typeET4_jRbjT5_SW_jjP12ihipStream_tbEUlT_E1_NS1_11comp_targetILNS1_3genE8ELNS1_11target_archE1030ELNS1_3gpuE2ELNS1_3repE0EEENS1_59segmented_radix_sort_warp_sort_small_config_static_selectorELNS0_4arch9wavefront6targetE1EEEvSK_.has_indirect_call, 0
	.section	.AMDGPU.csdata,"",@progbits
; Kernel info:
; codeLenInByte = 0
; TotalNumSgprs: 4
; NumVgprs: 0
; ScratchSize: 0
; MemoryBound: 0
; FloatMode: 240
; IeeeMode: 1
; LDSByteSize: 0 bytes/workgroup (compile time only)
; SGPRBlocks: 0
; VGPRBlocks: 0
; NumSGPRsForWavesPerEU: 4
; NumVGPRsForWavesPerEU: 1
; Occupancy: 10
; WaveLimiterHint : 0
; COMPUTE_PGM_RSRC2:SCRATCH_EN: 0
; COMPUTE_PGM_RSRC2:USER_SGPR: 6
; COMPUTE_PGM_RSRC2:TRAP_HANDLER: 0
; COMPUTE_PGM_RSRC2:TGID_X_EN: 1
; COMPUTE_PGM_RSRC2:TGID_Y_EN: 0
; COMPUTE_PGM_RSRC2:TGID_Z_EN: 0
; COMPUTE_PGM_RSRC2:TIDIG_COMP_CNT: 0
	.section	.text._ZN7rocprim17ROCPRIM_400000_NS6detail17trampoline_kernelINS0_14default_configENS1_36segmented_radix_sort_config_selectorIalEEZNS1_25segmented_radix_sort_implIS3_Lb1EPKaPaPKlPlN2at6native12_GLOBAL__N_18offset_tEEE10hipError_tPvRmT1_PNSt15iterator_traitsISK_E10value_typeET2_T3_PNSL_ISQ_E10value_typeET4_jRbjT5_SW_jjP12ihipStream_tbEUlT_E2_NS1_11comp_targetILNS1_3genE0ELNS1_11target_archE4294967295ELNS1_3gpuE0ELNS1_3repE0EEENS1_30default_config_static_selectorELNS0_4arch9wavefront6targetE1EEEvSK_,"axG",@progbits,_ZN7rocprim17ROCPRIM_400000_NS6detail17trampoline_kernelINS0_14default_configENS1_36segmented_radix_sort_config_selectorIalEEZNS1_25segmented_radix_sort_implIS3_Lb1EPKaPaPKlPlN2at6native12_GLOBAL__N_18offset_tEEE10hipError_tPvRmT1_PNSt15iterator_traitsISK_E10value_typeET2_T3_PNSL_ISQ_E10value_typeET4_jRbjT5_SW_jjP12ihipStream_tbEUlT_E2_NS1_11comp_targetILNS1_3genE0ELNS1_11target_archE4294967295ELNS1_3gpuE0ELNS1_3repE0EEENS1_30default_config_static_selectorELNS0_4arch9wavefront6targetE1EEEvSK_,comdat
	.globl	_ZN7rocprim17ROCPRIM_400000_NS6detail17trampoline_kernelINS0_14default_configENS1_36segmented_radix_sort_config_selectorIalEEZNS1_25segmented_radix_sort_implIS3_Lb1EPKaPaPKlPlN2at6native12_GLOBAL__N_18offset_tEEE10hipError_tPvRmT1_PNSt15iterator_traitsISK_E10value_typeET2_T3_PNSL_ISQ_E10value_typeET4_jRbjT5_SW_jjP12ihipStream_tbEUlT_E2_NS1_11comp_targetILNS1_3genE0ELNS1_11target_archE4294967295ELNS1_3gpuE0ELNS1_3repE0EEENS1_30default_config_static_selectorELNS0_4arch9wavefront6targetE1EEEvSK_ ; -- Begin function _ZN7rocprim17ROCPRIM_400000_NS6detail17trampoline_kernelINS0_14default_configENS1_36segmented_radix_sort_config_selectorIalEEZNS1_25segmented_radix_sort_implIS3_Lb1EPKaPaPKlPlN2at6native12_GLOBAL__N_18offset_tEEE10hipError_tPvRmT1_PNSt15iterator_traitsISK_E10value_typeET2_T3_PNSL_ISQ_E10value_typeET4_jRbjT5_SW_jjP12ihipStream_tbEUlT_E2_NS1_11comp_targetILNS1_3genE0ELNS1_11target_archE4294967295ELNS1_3gpuE0ELNS1_3repE0EEENS1_30default_config_static_selectorELNS0_4arch9wavefront6targetE1EEEvSK_
	.p2align	8
	.type	_ZN7rocprim17ROCPRIM_400000_NS6detail17trampoline_kernelINS0_14default_configENS1_36segmented_radix_sort_config_selectorIalEEZNS1_25segmented_radix_sort_implIS3_Lb1EPKaPaPKlPlN2at6native12_GLOBAL__N_18offset_tEEE10hipError_tPvRmT1_PNSt15iterator_traitsISK_E10value_typeET2_T3_PNSL_ISQ_E10value_typeET4_jRbjT5_SW_jjP12ihipStream_tbEUlT_E2_NS1_11comp_targetILNS1_3genE0ELNS1_11target_archE4294967295ELNS1_3gpuE0ELNS1_3repE0EEENS1_30default_config_static_selectorELNS0_4arch9wavefront6targetE1EEEvSK_,@function
_ZN7rocprim17ROCPRIM_400000_NS6detail17trampoline_kernelINS0_14default_configENS1_36segmented_radix_sort_config_selectorIalEEZNS1_25segmented_radix_sort_implIS3_Lb1EPKaPaPKlPlN2at6native12_GLOBAL__N_18offset_tEEE10hipError_tPvRmT1_PNSt15iterator_traitsISK_E10value_typeET2_T3_PNSL_ISQ_E10value_typeET4_jRbjT5_SW_jjP12ihipStream_tbEUlT_E2_NS1_11comp_targetILNS1_3genE0ELNS1_11target_archE4294967295ELNS1_3gpuE0ELNS1_3repE0EEENS1_30default_config_static_selectorELNS0_4arch9wavefront6targetE1EEEvSK_: ; @_ZN7rocprim17ROCPRIM_400000_NS6detail17trampoline_kernelINS0_14default_configENS1_36segmented_radix_sort_config_selectorIalEEZNS1_25segmented_radix_sort_implIS3_Lb1EPKaPaPKlPlN2at6native12_GLOBAL__N_18offset_tEEE10hipError_tPvRmT1_PNSt15iterator_traitsISK_E10value_typeET2_T3_PNSL_ISQ_E10value_typeET4_jRbjT5_SW_jjP12ihipStream_tbEUlT_E2_NS1_11comp_targetILNS1_3genE0ELNS1_11target_archE4294967295ELNS1_3gpuE0ELNS1_3repE0EEENS1_30default_config_static_selectorELNS0_4arch9wavefront6targetE1EEEvSK_
; %bb.0:
	.section	.rodata,"a",@progbits
	.p2align	6, 0x0
	.amdhsa_kernel _ZN7rocprim17ROCPRIM_400000_NS6detail17trampoline_kernelINS0_14default_configENS1_36segmented_radix_sort_config_selectorIalEEZNS1_25segmented_radix_sort_implIS3_Lb1EPKaPaPKlPlN2at6native12_GLOBAL__N_18offset_tEEE10hipError_tPvRmT1_PNSt15iterator_traitsISK_E10value_typeET2_T3_PNSL_ISQ_E10value_typeET4_jRbjT5_SW_jjP12ihipStream_tbEUlT_E2_NS1_11comp_targetILNS1_3genE0ELNS1_11target_archE4294967295ELNS1_3gpuE0ELNS1_3repE0EEENS1_30default_config_static_selectorELNS0_4arch9wavefront6targetE1EEEvSK_
		.amdhsa_group_segment_fixed_size 0
		.amdhsa_private_segment_fixed_size 0
		.amdhsa_kernarg_size 80
		.amdhsa_user_sgpr_count 6
		.amdhsa_user_sgpr_private_segment_buffer 1
		.amdhsa_user_sgpr_dispatch_ptr 0
		.amdhsa_user_sgpr_queue_ptr 0
		.amdhsa_user_sgpr_kernarg_segment_ptr 1
		.amdhsa_user_sgpr_dispatch_id 0
		.amdhsa_user_sgpr_flat_scratch_init 0
		.amdhsa_user_sgpr_private_segment_size 0
		.amdhsa_uses_dynamic_stack 0
		.amdhsa_system_sgpr_private_segment_wavefront_offset 0
		.amdhsa_system_sgpr_workgroup_id_x 1
		.amdhsa_system_sgpr_workgroup_id_y 0
		.amdhsa_system_sgpr_workgroup_id_z 0
		.amdhsa_system_sgpr_workgroup_info 0
		.amdhsa_system_vgpr_workitem_id 0
		.amdhsa_next_free_vgpr 1
		.amdhsa_next_free_sgpr 0
		.amdhsa_reserve_vcc 0
		.amdhsa_reserve_flat_scratch 0
		.amdhsa_float_round_mode_32 0
		.amdhsa_float_round_mode_16_64 0
		.amdhsa_float_denorm_mode_32 3
		.amdhsa_float_denorm_mode_16_64 3
		.amdhsa_dx10_clamp 1
		.amdhsa_ieee_mode 1
		.amdhsa_fp16_overflow 0
		.amdhsa_exception_fp_ieee_invalid_op 0
		.amdhsa_exception_fp_denorm_src 0
		.amdhsa_exception_fp_ieee_div_zero 0
		.amdhsa_exception_fp_ieee_overflow 0
		.amdhsa_exception_fp_ieee_underflow 0
		.amdhsa_exception_fp_ieee_inexact 0
		.amdhsa_exception_int_div_zero 0
	.end_amdhsa_kernel
	.section	.text._ZN7rocprim17ROCPRIM_400000_NS6detail17trampoline_kernelINS0_14default_configENS1_36segmented_radix_sort_config_selectorIalEEZNS1_25segmented_radix_sort_implIS3_Lb1EPKaPaPKlPlN2at6native12_GLOBAL__N_18offset_tEEE10hipError_tPvRmT1_PNSt15iterator_traitsISK_E10value_typeET2_T3_PNSL_ISQ_E10value_typeET4_jRbjT5_SW_jjP12ihipStream_tbEUlT_E2_NS1_11comp_targetILNS1_3genE0ELNS1_11target_archE4294967295ELNS1_3gpuE0ELNS1_3repE0EEENS1_30default_config_static_selectorELNS0_4arch9wavefront6targetE1EEEvSK_,"axG",@progbits,_ZN7rocprim17ROCPRIM_400000_NS6detail17trampoline_kernelINS0_14default_configENS1_36segmented_radix_sort_config_selectorIalEEZNS1_25segmented_radix_sort_implIS3_Lb1EPKaPaPKlPlN2at6native12_GLOBAL__N_18offset_tEEE10hipError_tPvRmT1_PNSt15iterator_traitsISK_E10value_typeET2_T3_PNSL_ISQ_E10value_typeET4_jRbjT5_SW_jjP12ihipStream_tbEUlT_E2_NS1_11comp_targetILNS1_3genE0ELNS1_11target_archE4294967295ELNS1_3gpuE0ELNS1_3repE0EEENS1_30default_config_static_selectorELNS0_4arch9wavefront6targetE1EEEvSK_,comdat
.Lfunc_end320:
	.size	_ZN7rocprim17ROCPRIM_400000_NS6detail17trampoline_kernelINS0_14default_configENS1_36segmented_radix_sort_config_selectorIalEEZNS1_25segmented_radix_sort_implIS3_Lb1EPKaPaPKlPlN2at6native12_GLOBAL__N_18offset_tEEE10hipError_tPvRmT1_PNSt15iterator_traitsISK_E10value_typeET2_T3_PNSL_ISQ_E10value_typeET4_jRbjT5_SW_jjP12ihipStream_tbEUlT_E2_NS1_11comp_targetILNS1_3genE0ELNS1_11target_archE4294967295ELNS1_3gpuE0ELNS1_3repE0EEENS1_30default_config_static_selectorELNS0_4arch9wavefront6targetE1EEEvSK_, .Lfunc_end320-_ZN7rocprim17ROCPRIM_400000_NS6detail17trampoline_kernelINS0_14default_configENS1_36segmented_radix_sort_config_selectorIalEEZNS1_25segmented_radix_sort_implIS3_Lb1EPKaPaPKlPlN2at6native12_GLOBAL__N_18offset_tEEE10hipError_tPvRmT1_PNSt15iterator_traitsISK_E10value_typeET2_T3_PNSL_ISQ_E10value_typeET4_jRbjT5_SW_jjP12ihipStream_tbEUlT_E2_NS1_11comp_targetILNS1_3genE0ELNS1_11target_archE4294967295ELNS1_3gpuE0ELNS1_3repE0EEENS1_30default_config_static_selectorELNS0_4arch9wavefront6targetE1EEEvSK_
                                        ; -- End function
	.set _ZN7rocprim17ROCPRIM_400000_NS6detail17trampoline_kernelINS0_14default_configENS1_36segmented_radix_sort_config_selectorIalEEZNS1_25segmented_radix_sort_implIS3_Lb1EPKaPaPKlPlN2at6native12_GLOBAL__N_18offset_tEEE10hipError_tPvRmT1_PNSt15iterator_traitsISK_E10value_typeET2_T3_PNSL_ISQ_E10value_typeET4_jRbjT5_SW_jjP12ihipStream_tbEUlT_E2_NS1_11comp_targetILNS1_3genE0ELNS1_11target_archE4294967295ELNS1_3gpuE0ELNS1_3repE0EEENS1_30default_config_static_selectorELNS0_4arch9wavefront6targetE1EEEvSK_.num_vgpr, 0
	.set _ZN7rocprim17ROCPRIM_400000_NS6detail17trampoline_kernelINS0_14default_configENS1_36segmented_radix_sort_config_selectorIalEEZNS1_25segmented_radix_sort_implIS3_Lb1EPKaPaPKlPlN2at6native12_GLOBAL__N_18offset_tEEE10hipError_tPvRmT1_PNSt15iterator_traitsISK_E10value_typeET2_T3_PNSL_ISQ_E10value_typeET4_jRbjT5_SW_jjP12ihipStream_tbEUlT_E2_NS1_11comp_targetILNS1_3genE0ELNS1_11target_archE4294967295ELNS1_3gpuE0ELNS1_3repE0EEENS1_30default_config_static_selectorELNS0_4arch9wavefront6targetE1EEEvSK_.num_agpr, 0
	.set _ZN7rocprim17ROCPRIM_400000_NS6detail17trampoline_kernelINS0_14default_configENS1_36segmented_radix_sort_config_selectorIalEEZNS1_25segmented_radix_sort_implIS3_Lb1EPKaPaPKlPlN2at6native12_GLOBAL__N_18offset_tEEE10hipError_tPvRmT1_PNSt15iterator_traitsISK_E10value_typeET2_T3_PNSL_ISQ_E10value_typeET4_jRbjT5_SW_jjP12ihipStream_tbEUlT_E2_NS1_11comp_targetILNS1_3genE0ELNS1_11target_archE4294967295ELNS1_3gpuE0ELNS1_3repE0EEENS1_30default_config_static_selectorELNS0_4arch9wavefront6targetE1EEEvSK_.numbered_sgpr, 0
	.set _ZN7rocprim17ROCPRIM_400000_NS6detail17trampoline_kernelINS0_14default_configENS1_36segmented_radix_sort_config_selectorIalEEZNS1_25segmented_radix_sort_implIS3_Lb1EPKaPaPKlPlN2at6native12_GLOBAL__N_18offset_tEEE10hipError_tPvRmT1_PNSt15iterator_traitsISK_E10value_typeET2_T3_PNSL_ISQ_E10value_typeET4_jRbjT5_SW_jjP12ihipStream_tbEUlT_E2_NS1_11comp_targetILNS1_3genE0ELNS1_11target_archE4294967295ELNS1_3gpuE0ELNS1_3repE0EEENS1_30default_config_static_selectorELNS0_4arch9wavefront6targetE1EEEvSK_.num_named_barrier, 0
	.set _ZN7rocprim17ROCPRIM_400000_NS6detail17trampoline_kernelINS0_14default_configENS1_36segmented_radix_sort_config_selectorIalEEZNS1_25segmented_radix_sort_implIS3_Lb1EPKaPaPKlPlN2at6native12_GLOBAL__N_18offset_tEEE10hipError_tPvRmT1_PNSt15iterator_traitsISK_E10value_typeET2_T3_PNSL_ISQ_E10value_typeET4_jRbjT5_SW_jjP12ihipStream_tbEUlT_E2_NS1_11comp_targetILNS1_3genE0ELNS1_11target_archE4294967295ELNS1_3gpuE0ELNS1_3repE0EEENS1_30default_config_static_selectorELNS0_4arch9wavefront6targetE1EEEvSK_.private_seg_size, 0
	.set _ZN7rocprim17ROCPRIM_400000_NS6detail17trampoline_kernelINS0_14default_configENS1_36segmented_radix_sort_config_selectorIalEEZNS1_25segmented_radix_sort_implIS3_Lb1EPKaPaPKlPlN2at6native12_GLOBAL__N_18offset_tEEE10hipError_tPvRmT1_PNSt15iterator_traitsISK_E10value_typeET2_T3_PNSL_ISQ_E10value_typeET4_jRbjT5_SW_jjP12ihipStream_tbEUlT_E2_NS1_11comp_targetILNS1_3genE0ELNS1_11target_archE4294967295ELNS1_3gpuE0ELNS1_3repE0EEENS1_30default_config_static_selectorELNS0_4arch9wavefront6targetE1EEEvSK_.uses_vcc, 0
	.set _ZN7rocprim17ROCPRIM_400000_NS6detail17trampoline_kernelINS0_14default_configENS1_36segmented_radix_sort_config_selectorIalEEZNS1_25segmented_radix_sort_implIS3_Lb1EPKaPaPKlPlN2at6native12_GLOBAL__N_18offset_tEEE10hipError_tPvRmT1_PNSt15iterator_traitsISK_E10value_typeET2_T3_PNSL_ISQ_E10value_typeET4_jRbjT5_SW_jjP12ihipStream_tbEUlT_E2_NS1_11comp_targetILNS1_3genE0ELNS1_11target_archE4294967295ELNS1_3gpuE0ELNS1_3repE0EEENS1_30default_config_static_selectorELNS0_4arch9wavefront6targetE1EEEvSK_.uses_flat_scratch, 0
	.set _ZN7rocprim17ROCPRIM_400000_NS6detail17trampoline_kernelINS0_14default_configENS1_36segmented_radix_sort_config_selectorIalEEZNS1_25segmented_radix_sort_implIS3_Lb1EPKaPaPKlPlN2at6native12_GLOBAL__N_18offset_tEEE10hipError_tPvRmT1_PNSt15iterator_traitsISK_E10value_typeET2_T3_PNSL_ISQ_E10value_typeET4_jRbjT5_SW_jjP12ihipStream_tbEUlT_E2_NS1_11comp_targetILNS1_3genE0ELNS1_11target_archE4294967295ELNS1_3gpuE0ELNS1_3repE0EEENS1_30default_config_static_selectorELNS0_4arch9wavefront6targetE1EEEvSK_.has_dyn_sized_stack, 0
	.set _ZN7rocprim17ROCPRIM_400000_NS6detail17trampoline_kernelINS0_14default_configENS1_36segmented_radix_sort_config_selectorIalEEZNS1_25segmented_radix_sort_implIS3_Lb1EPKaPaPKlPlN2at6native12_GLOBAL__N_18offset_tEEE10hipError_tPvRmT1_PNSt15iterator_traitsISK_E10value_typeET2_T3_PNSL_ISQ_E10value_typeET4_jRbjT5_SW_jjP12ihipStream_tbEUlT_E2_NS1_11comp_targetILNS1_3genE0ELNS1_11target_archE4294967295ELNS1_3gpuE0ELNS1_3repE0EEENS1_30default_config_static_selectorELNS0_4arch9wavefront6targetE1EEEvSK_.has_recursion, 0
	.set _ZN7rocprim17ROCPRIM_400000_NS6detail17trampoline_kernelINS0_14default_configENS1_36segmented_radix_sort_config_selectorIalEEZNS1_25segmented_radix_sort_implIS3_Lb1EPKaPaPKlPlN2at6native12_GLOBAL__N_18offset_tEEE10hipError_tPvRmT1_PNSt15iterator_traitsISK_E10value_typeET2_T3_PNSL_ISQ_E10value_typeET4_jRbjT5_SW_jjP12ihipStream_tbEUlT_E2_NS1_11comp_targetILNS1_3genE0ELNS1_11target_archE4294967295ELNS1_3gpuE0ELNS1_3repE0EEENS1_30default_config_static_selectorELNS0_4arch9wavefront6targetE1EEEvSK_.has_indirect_call, 0
	.section	.AMDGPU.csdata,"",@progbits
; Kernel info:
; codeLenInByte = 0
; TotalNumSgprs: 4
; NumVgprs: 0
; ScratchSize: 0
; MemoryBound: 0
; FloatMode: 240
; IeeeMode: 1
; LDSByteSize: 0 bytes/workgroup (compile time only)
; SGPRBlocks: 0
; VGPRBlocks: 0
; NumSGPRsForWavesPerEU: 4
; NumVGPRsForWavesPerEU: 1
; Occupancy: 10
; WaveLimiterHint : 0
; COMPUTE_PGM_RSRC2:SCRATCH_EN: 0
; COMPUTE_PGM_RSRC2:USER_SGPR: 6
; COMPUTE_PGM_RSRC2:TRAP_HANDLER: 0
; COMPUTE_PGM_RSRC2:TGID_X_EN: 1
; COMPUTE_PGM_RSRC2:TGID_Y_EN: 0
; COMPUTE_PGM_RSRC2:TGID_Z_EN: 0
; COMPUTE_PGM_RSRC2:TIDIG_COMP_CNT: 0
	.section	.text._ZN7rocprim17ROCPRIM_400000_NS6detail17trampoline_kernelINS0_14default_configENS1_36segmented_radix_sort_config_selectorIalEEZNS1_25segmented_radix_sort_implIS3_Lb1EPKaPaPKlPlN2at6native12_GLOBAL__N_18offset_tEEE10hipError_tPvRmT1_PNSt15iterator_traitsISK_E10value_typeET2_T3_PNSL_ISQ_E10value_typeET4_jRbjT5_SW_jjP12ihipStream_tbEUlT_E2_NS1_11comp_targetILNS1_3genE5ELNS1_11target_archE942ELNS1_3gpuE9ELNS1_3repE0EEENS1_30default_config_static_selectorELNS0_4arch9wavefront6targetE1EEEvSK_,"axG",@progbits,_ZN7rocprim17ROCPRIM_400000_NS6detail17trampoline_kernelINS0_14default_configENS1_36segmented_radix_sort_config_selectorIalEEZNS1_25segmented_radix_sort_implIS3_Lb1EPKaPaPKlPlN2at6native12_GLOBAL__N_18offset_tEEE10hipError_tPvRmT1_PNSt15iterator_traitsISK_E10value_typeET2_T3_PNSL_ISQ_E10value_typeET4_jRbjT5_SW_jjP12ihipStream_tbEUlT_E2_NS1_11comp_targetILNS1_3genE5ELNS1_11target_archE942ELNS1_3gpuE9ELNS1_3repE0EEENS1_30default_config_static_selectorELNS0_4arch9wavefront6targetE1EEEvSK_,comdat
	.globl	_ZN7rocprim17ROCPRIM_400000_NS6detail17trampoline_kernelINS0_14default_configENS1_36segmented_radix_sort_config_selectorIalEEZNS1_25segmented_radix_sort_implIS3_Lb1EPKaPaPKlPlN2at6native12_GLOBAL__N_18offset_tEEE10hipError_tPvRmT1_PNSt15iterator_traitsISK_E10value_typeET2_T3_PNSL_ISQ_E10value_typeET4_jRbjT5_SW_jjP12ihipStream_tbEUlT_E2_NS1_11comp_targetILNS1_3genE5ELNS1_11target_archE942ELNS1_3gpuE9ELNS1_3repE0EEENS1_30default_config_static_selectorELNS0_4arch9wavefront6targetE1EEEvSK_ ; -- Begin function _ZN7rocprim17ROCPRIM_400000_NS6detail17trampoline_kernelINS0_14default_configENS1_36segmented_radix_sort_config_selectorIalEEZNS1_25segmented_radix_sort_implIS3_Lb1EPKaPaPKlPlN2at6native12_GLOBAL__N_18offset_tEEE10hipError_tPvRmT1_PNSt15iterator_traitsISK_E10value_typeET2_T3_PNSL_ISQ_E10value_typeET4_jRbjT5_SW_jjP12ihipStream_tbEUlT_E2_NS1_11comp_targetILNS1_3genE5ELNS1_11target_archE942ELNS1_3gpuE9ELNS1_3repE0EEENS1_30default_config_static_selectorELNS0_4arch9wavefront6targetE1EEEvSK_
	.p2align	8
	.type	_ZN7rocprim17ROCPRIM_400000_NS6detail17trampoline_kernelINS0_14default_configENS1_36segmented_radix_sort_config_selectorIalEEZNS1_25segmented_radix_sort_implIS3_Lb1EPKaPaPKlPlN2at6native12_GLOBAL__N_18offset_tEEE10hipError_tPvRmT1_PNSt15iterator_traitsISK_E10value_typeET2_T3_PNSL_ISQ_E10value_typeET4_jRbjT5_SW_jjP12ihipStream_tbEUlT_E2_NS1_11comp_targetILNS1_3genE5ELNS1_11target_archE942ELNS1_3gpuE9ELNS1_3repE0EEENS1_30default_config_static_selectorELNS0_4arch9wavefront6targetE1EEEvSK_,@function
_ZN7rocprim17ROCPRIM_400000_NS6detail17trampoline_kernelINS0_14default_configENS1_36segmented_radix_sort_config_selectorIalEEZNS1_25segmented_radix_sort_implIS3_Lb1EPKaPaPKlPlN2at6native12_GLOBAL__N_18offset_tEEE10hipError_tPvRmT1_PNSt15iterator_traitsISK_E10value_typeET2_T3_PNSL_ISQ_E10value_typeET4_jRbjT5_SW_jjP12ihipStream_tbEUlT_E2_NS1_11comp_targetILNS1_3genE5ELNS1_11target_archE942ELNS1_3gpuE9ELNS1_3repE0EEENS1_30default_config_static_selectorELNS0_4arch9wavefront6targetE1EEEvSK_: ; @_ZN7rocprim17ROCPRIM_400000_NS6detail17trampoline_kernelINS0_14default_configENS1_36segmented_radix_sort_config_selectorIalEEZNS1_25segmented_radix_sort_implIS3_Lb1EPKaPaPKlPlN2at6native12_GLOBAL__N_18offset_tEEE10hipError_tPvRmT1_PNSt15iterator_traitsISK_E10value_typeET2_T3_PNSL_ISQ_E10value_typeET4_jRbjT5_SW_jjP12ihipStream_tbEUlT_E2_NS1_11comp_targetILNS1_3genE5ELNS1_11target_archE942ELNS1_3gpuE9ELNS1_3repE0EEENS1_30default_config_static_selectorELNS0_4arch9wavefront6targetE1EEEvSK_
; %bb.0:
	.section	.rodata,"a",@progbits
	.p2align	6, 0x0
	.amdhsa_kernel _ZN7rocprim17ROCPRIM_400000_NS6detail17trampoline_kernelINS0_14default_configENS1_36segmented_radix_sort_config_selectorIalEEZNS1_25segmented_radix_sort_implIS3_Lb1EPKaPaPKlPlN2at6native12_GLOBAL__N_18offset_tEEE10hipError_tPvRmT1_PNSt15iterator_traitsISK_E10value_typeET2_T3_PNSL_ISQ_E10value_typeET4_jRbjT5_SW_jjP12ihipStream_tbEUlT_E2_NS1_11comp_targetILNS1_3genE5ELNS1_11target_archE942ELNS1_3gpuE9ELNS1_3repE0EEENS1_30default_config_static_selectorELNS0_4arch9wavefront6targetE1EEEvSK_
		.amdhsa_group_segment_fixed_size 0
		.amdhsa_private_segment_fixed_size 0
		.amdhsa_kernarg_size 80
		.amdhsa_user_sgpr_count 6
		.amdhsa_user_sgpr_private_segment_buffer 1
		.amdhsa_user_sgpr_dispatch_ptr 0
		.amdhsa_user_sgpr_queue_ptr 0
		.amdhsa_user_sgpr_kernarg_segment_ptr 1
		.amdhsa_user_sgpr_dispatch_id 0
		.amdhsa_user_sgpr_flat_scratch_init 0
		.amdhsa_user_sgpr_private_segment_size 0
		.amdhsa_uses_dynamic_stack 0
		.amdhsa_system_sgpr_private_segment_wavefront_offset 0
		.amdhsa_system_sgpr_workgroup_id_x 1
		.amdhsa_system_sgpr_workgroup_id_y 0
		.amdhsa_system_sgpr_workgroup_id_z 0
		.amdhsa_system_sgpr_workgroup_info 0
		.amdhsa_system_vgpr_workitem_id 0
		.amdhsa_next_free_vgpr 1
		.amdhsa_next_free_sgpr 0
		.amdhsa_reserve_vcc 0
		.amdhsa_reserve_flat_scratch 0
		.amdhsa_float_round_mode_32 0
		.amdhsa_float_round_mode_16_64 0
		.amdhsa_float_denorm_mode_32 3
		.amdhsa_float_denorm_mode_16_64 3
		.amdhsa_dx10_clamp 1
		.amdhsa_ieee_mode 1
		.amdhsa_fp16_overflow 0
		.amdhsa_exception_fp_ieee_invalid_op 0
		.amdhsa_exception_fp_denorm_src 0
		.amdhsa_exception_fp_ieee_div_zero 0
		.amdhsa_exception_fp_ieee_overflow 0
		.amdhsa_exception_fp_ieee_underflow 0
		.amdhsa_exception_fp_ieee_inexact 0
		.amdhsa_exception_int_div_zero 0
	.end_amdhsa_kernel
	.section	.text._ZN7rocprim17ROCPRIM_400000_NS6detail17trampoline_kernelINS0_14default_configENS1_36segmented_radix_sort_config_selectorIalEEZNS1_25segmented_radix_sort_implIS3_Lb1EPKaPaPKlPlN2at6native12_GLOBAL__N_18offset_tEEE10hipError_tPvRmT1_PNSt15iterator_traitsISK_E10value_typeET2_T3_PNSL_ISQ_E10value_typeET4_jRbjT5_SW_jjP12ihipStream_tbEUlT_E2_NS1_11comp_targetILNS1_3genE5ELNS1_11target_archE942ELNS1_3gpuE9ELNS1_3repE0EEENS1_30default_config_static_selectorELNS0_4arch9wavefront6targetE1EEEvSK_,"axG",@progbits,_ZN7rocprim17ROCPRIM_400000_NS6detail17trampoline_kernelINS0_14default_configENS1_36segmented_radix_sort_config_selectorIalEEZNS1_25segmented_radix_sort_implIS3_Lb1EPKaPaPKlPlN2at6native12_GLOBAL__N_18offset_tEEE10hipError_tPvRmT1_PNSt15iterator_traitsISK_E10value_typeET2_T3_PNSL_ISQ_E10value_typeET4_jRbjT5_SW_jjP12ihipStream_tbEUlT_E2_NS1_11comp_targetILNS1_3genE5ELNS1_11target_archE942ELNS1_3gpuE9ELNS1_3repE0EEENS1_30default_config_static_selectorELNS0_4arch9wavefront6targetE1EEEvSK_,comdat
.Lfunc_end321:
	.size	_ZN7rocprim17ROCPRIM_400000_NS6detail17trampoline_kernelINS0_14default_configENS1_36segmented_radix_sort_config_selectorIalEEZNS1_25segmented_radix_sort_implIS3_Lb1EPKaPaPKlPlN2at6native12_GLOBAL__N_18offset_tEEE10hipError_tPvRmT1_PNSt15iterator_traitsISK_E10value_typeET2_T3_PNSL_ISQ_E10value_typeET4_jRbjT5_SW_jjP12ihipStream_tbEUlT_E2_NS1_11comp_targetILNS1_3genE5ELNS1_11target_archE942ELNS1_3gpuE9ELNS1_3repE0EEENS1_30default_config_static_selectorELNS0_4arch9wavefront6targetE1EEEvSK_, .Lfunc_end321-_ZN7rocprim17ROCPRIM_400000_NS6detail17trampoline_kernelINS0_14default_configENS1_36segmented_radix_sort_config_selectorIalEEZNS1_25segmented_radix_sort_implIS3_Lb1EPKaPaPKlPlN2at6native12_GLOBAL__N_18offset_tEEE10hipError_tPvRmT1_PNSt15iterator_traitsISK_E10value_typeET2_T3_PNSL_ISQ_E10value_typeET4_jRbjT5_SW_jjP12ihipStream_tbEUlT_E2_NS1_11comp_targetILNS1_3genE5ELNS1_11target_archE942ELNS1_3gpuE9ELNS1_3repE0EEENS1_30default_config_static_selectorELNS0_4arch9wavefront6targetE1EEEvSK_
                                        ; -- End function
	.set _ZN7rocprim17ROCPRIM_400000_NS6detail17trampoline_kernelINS0_14default_configENS1_36segmented_radix_sort_config_selectorIalEEZNS1_25segmented_radix_sort_implIS3_Lb1EPKaPaPKlPlN2at6native12_GLOBAL__N_18offset_tEEE10hipError_tPvRmT1_PNSt15iterator_traitsISK_E10value_typeET2_T3_PNSL_ISQ_E10value_typeET4_jRbjT5_SW_jjP12ihipStream_tbEUlT_E2_NS1_11comp_targetILNS1_3genE5ELNS1_11target_archE942ELNS1_3gpuE9ELNS1_3repE0EEENS1_30default_config_static_selectorELNS0_4arch9wavefront6targetE1EEEvSK_.num_vgpr, 0
	.set _ZN7rocprim17ROCPRIM_400000_NS6detail17trampoline_kernelINS0_14default_configENS1_36segmented_radix_sort_config_selectorIalEEZNS1_25segmented_radix_sort_implIS3_Lb1EPKaPaPKlPlN2at6native12_GLOBAL__N_18offset_tEEE10hipError_tPvRmT1_PNSt15iterator_traitsISK_E10value_typeET2_T3_PNSL_ISQ_E10value_typeET4_jRbjT5_SW_jjP12ihipStream_tbEUlT_E2_NS1_11comp_targetILNS1_3genE5ELNS1_11target_archE942ELNS1_3gpuE9ELNS1_3repE0EEENS1_30default_config_static_selectorELNS0_4arch9wavefront6targetE1EEEvSK_.num_agpr, 0
	.set _ZN7rocprim17ROCPRIM_400000_NS6detail17trampoline_kernelINS0_14default_configENS1_36segmented_radix_sort_config_selectorIalEEZNS1_25segmented_radix_sort_implIS3_Lb1EPKaPaPKlPlN2at6native12_GLOBAL__N_18offset_tEEE10hipError_tPvRmT1_PNSt15iterator_traitsISK_E10value_typeET2_T3_PNSL_ISQ_E10value_typeET4_jRbjT5_SW_jjP12ihipStream_tbEUlT_E2_NS1_11comp_targetILNS1_3genE5ELNS1_11target_archE942ELNS1_3gpuE9ELNS1_3repE0EEENS1_30default_config_static_selectorELNS0_4arch9wavefront6targetE1EEEvSK_.numbered_sgpr, 0
	.set _ZN7rocprim17ROCPRIM_400000_NS6detail17trampoline_kernelINS0_14default_configENS1_36segmented_radix_sort_config_selectorIalEEZNS1_25segmented_radix_sort_implIS3_Lb1EPKaPaPKlPlN2at6native12_GLOBAL__N_18offset_tEEE10hipError_tPvRmT1_PNSt15iterator_traitsISK_E10value_typeET2_T3_PNSL_ISQ_E10value_typeET4_jRbjT5_SW_jjP12ihipStream_tbEUlT_E2_NS1_11comp_targetILNS1_3genE5ELNS1_11target_archE942ELNS1_3gpuE9ELNS1_3repE0EEENS1_30default_config_static_selectorELNS0_4arch9wavefront6targetE1EEEvSK_.num_named_barrier, 0
	.set _ZN7rocprim17ROCPRIM_400000_NS6detail17trampoline_kernelINS0_14default_configENS1_36segmented_radix_sort_config_selectorIalEEZNS1_25segmented_radix_sort_implIS3_Lb1EPKaPaPKlPlN2at6native12_GLOBAL__N_18offset_tEEE10hipError_tPvRmT1_PNSt15iterator_traitsISK_E10value_typeET2_T3_PNSL_ISQ_E10value_typeET4_jRbjT5_SW_jjP12ihipStream_tbEUlT_E2_NS1_11comp_targetILNS1_3genE5ELNS1_11target_archE942ELNS1_3gpuE9ELNS1_3repE0EEENS1_30default_config_static_selectorELNS0_4arch9wavefront6targetE1EEEvSK_.private_seg_size, 0
	.set _ZN7rocprim17ROCPRIM_400000_NS6detail17trampoline_kernelINS0_14default_configENS1_36segmented_radix_sort_config_selectorIalEEZNS1_25segmented_radix_sort_implIS3_Lb1EPKaPaPKlPlN2at6native12_GLOBAL__N_18offset_tEEE10hipError_tPvRmT1_PNSt15iterator_traitsISK_E10value_typeET2_T3_PNSL_ISQ_E10value_typeET4_jRbjT5_SW_jjP12ihipStream_tbEUlT_E2_NS1_11comp_targetILNS1_3genE5ELNS1_11target_archE942ELNS1_3gpuE9ELNS1_3repE0EEENS1_30default_config_static_selectorELNS0_4arch9wavefront6targetE1EEEvSK_.uses_vcc, 0
	.set _ZN7rocprim17ROCPRIM_400000_NS6detail17trampoline_kernelINS0_14default_configENS1_36segmented_radix_sort_config_selectorIalEEZNS1_25segmented_radix_sort_implIS3_Lb1EPKaPaPKlPlN2at6native12_GLOBAL__N_18offset_tEEE10hipError_tPvRmT1_PNSt15iterator_traitsISK_E10value_typeET2_T3_PNSL_ISQ_E10value_typeET4_jRbjT5_SW_jjP12ihipStream_tbEUlT_E2_NS1_11comp_targetILNS1_3genE5ELNS1_11target_archE942ELNS1_3gpuE9ELNS1_3repE0EEENS1_30default_config_static_selectorELNS0_4arch9wavefront6targetE1EEEvSK_.uses_flat_scratch, 0
	.set _ZN7rocprim17ROCPRIM_400000_NS6detail17trampoline_kernelINS0_14default_configENS1_36segmented_radix_sort_config_selectorIalEEZNS1_25segmented_radix_sort_implIS3_Lb1EPKaPaPKlPlN2at6native12_GLOBAL__N_18offset_tEEE10hipError_tPvRmT1_PNSt15iterator_traitsISK_E10value_typeET2_T3_PNSL_ISQ_E10value_typeET4_jRbjT5_SW_jjP12ihipStream_tbEUlT_E2_NS1_11comp_targetILNS1_3genE5ELNS1_11target_archE942ELNS1_3gpuE9ELNS1_3repE0EEENS1_30default_config_static_selectorELNS0_4arch9wavefront6targetE1EEEvSK_.has_dyn_sized_stack, 0
	.set _ZN7rocprim17ROCPRIM_400000_NS6detail17trampoline_kernelINS0_14default_configENS1_36segmented_radix_sort_config_selectorIalEEZNS1_25segmented_radix_sort_implIS3_Lb1EPKaPaPKlPlN2at6native12_GLOBAL__N_18offset_tEEE10hipError_tPvRmT1_PNSt15iterator_traitsISK_E10value_typeET2_T3_PNSL_ISQ_E10value_typeET4_jRbjT5_SW_jjP12ihipStream_tbEUlT_E2_NS1_11comp_targetILNS1_3genE5ELNS1_11target_archE942ELNS1_3gpuE9ELNS1_3repE0EEENS1_30default_config_static_selectorELNS0_4arch9wavefront6targetE1EEEvSK_.has_recursion, 0
	.set _ZN7rocprim17ROCPRIM_400000_NS6detail17trampoline_kernelINS0_14default_configENS1_36segmented_radix_sort_config_selectorIalEEZNS1_25segmented_radix_sort_implIS3_Lb1EPKaPaPKlPlN2at6native12_GLOBAL__N_18offset_tEEE10hipError_tPvRmT1_PNSt15iterator_traitsISK_E10value_typeET2_T3_PNSL_ISQ_E10value_typeET4_jRbjT5_SW_jjP12ihipStream_tbEUlT_E2_NS1_11comp_targetILNS1_3genE5ELNS1_11target_archE942ELNS1_3gpuE9ELNS1_3repE0EEENS1_30default_config_static_selectorELNS0_4arch9wavefront6targetE1EEEvSK_.has_indirect_call, 0
	.section	.AMDGPU.csdata,"",@progbits
; Kernel info:
; codeLenInByte = 0
; TotalNumSgprs: 4
; NumVgprs: 0
; ScratchSize: 0
; MemoryBound: 0
; FloatMode: 240
; IeeeMode: 1
; LDSByteSize: 0 bytes/workgroup (compile time only)
; SGPRBlocks: 0
; VGPRBlocks: 0
; NumSGPRsForWavesPerEU: 4
; NumVGPRsForWavesPerEU: 1
; Occupancy: 10
; WaveLimiterHint : 0
; COMPUTE_PGM_RSRC2:SCRATCH_EN: 0
; COMPUTE_PGM_RSRC2:USER_SGPR: 6
; COMPUTE_PGM_RSRC2:TRAP_HANDLER: 0
; COMPUTE_PGM_RSRC2:TGID_X_EN: 1
; COMPUTE_PGM_RSRC2:TGID_Y_EN: 0
; COMPUTE_PGM_RSRC2:TGID_Z_EN: 0
; COMPUTE_PGM_RSRC2:TIDIG_COMP_CNT: 0
	.section	.text._ZN7rocprim17ROCPRIM_400000_NS6detail17trampoline_kernelINS0_14default_configENS1_36segmented_radix_sort_config_selectorIalEEZNS1_25segmented_radix_sort_implIS3_Lb1EPKaPaPKlPlN2at6native12_GLOBAL__N_18offset_tEEE10hipError_tPvRmT1_PNSt15iterator_traitsISK_E10value_typeET2_T3_PNSL_ISQ_E10value_typeET4_jRbjT5_SW_jjP12ihipStream_tbEUlT_E2_NS1_11comp_targetILNS1_3genE4ELNS1_11target_archE910ELNS1_3gpuE8ELNS1_3repE0EEENS1_30default_config_static_selectorELNS0_4arch9wavefront6targetE1EEEvSK_,"axG",@progbits,_ZN7rocprim17ROCPRIM_400000_NS6detail17trampoline_kernelINS0_14default_configENS1_36segmented_radix_sort_config_selectorIalEEZNS1_25segmented_radix_sort_implIS3_Lb1EPKaPaPKlPlN2at6native12_GLOBAL__N_18offset_tEEE10hipError_tPvRmT1_PNSt15iterator_traitsISK_E10value_typeET2_T3_PNSL_ISQ_E10value_typeET4_jRbjT5_SW_jjP12ihipStream_tbEUlT_E2_NS1_11comp_targetILNS1_3genE4ELNS1_11target_archE910ELNS1_3gpuE8ELNS1_3repE0EEENS1_30default_config_static_selectorELNS0_4arch9wavefront6targetE1EEEvSK_,comdat
	.globl	_ZN7rocprim17ROCPRIM_400000_NS6detail17trampoline_kernelINS0_14default_configENS1_36segmented_radix_sort_config_selectorIalEEZNS1_25segmented_radix_sort_implIS3_Lb1EPKaPaPKlPlN2at6native12_GLOBAL__N_18offset_tEEE10hipError_tPvRmT1_PNSt15iterator_traitsISK_E10value_typeET2_T3_PNSL_ISQ_E10value_typeET4_jRbjT5_SW_jjP12ihipStream_tbEUlT_E2_NS1_11comp_targetILNS1_3genE4ELNS1_11target_archE910ELNS1_3gpuE8ELNS1_3repE0EEENS1_30default_config_static_selectorELNS0_4arch9wavefront6targetE1EEEvSK_ ; -- Begin function _ZN7rocprim17ROCPRIM_400000_NS6detail17trampoline_kernelINS0_14default_configENS1_36segmented_radix_sort_config_selectorIalEEZNS1_25segmented_radix_sort_implIS3_Lb1EPKaPaPKlPlN2at6native12_GLOBAL__N_18offset_tEEE10hipError_tPvRmT1_PNSt15iterator_traitsISK_E10value_typeET2_T3_PNSL_ISQ_E10value_typeET4_jRbjT5_SW_jjP12ihipStream_tbEUlT_E2_NS1_11comp_targetILNS1_3genE4ELNS1_11target_archE910ELNS1_3gpuE8ELNS1_3repE0EEENS1_30default_config_static_selectorELNS0_4arch9wavefront6targetE1EEEvSK_
	.p2align	8
	.type	_ZN7rocprim17ROCPRIM_400000_NS6detail17trampoline_kernelINS0_14default_configENS1_36segmented_radix_sort_config_selectorIalEEZNS1_25segmented_radix_sort_implIS3_Lb1EPKaPaPKlPlN2at6native12_GLOBAL__N_18offset_tEEE10hipError_tPvRmT1_PNSt15iterator_traitsISK_E10value_typeET2_T3_PNSL_ISQ_E10value_typeET4_jRbjT5_SW_jjP12ihipStream_tbEUlT_E2_NS1_11comp_targetILNS1_3genE4ELNS1_11target_archE910ELNS1_3gpuE8ELNS1_3repE0EEENS1_30default_config_static_selectorELNS0_4arch9wavefront6targetE1EEEvSK_,@function
_ZN7rocprim17ROCPRIM_400000_NS6detail17trampoline_kernelINS0_14default_configENS1_36segmented_radix_sort_config_selectorIalEEZNS1_25segmented_radix_sort_implIS3_Lb1EPKaPaPKlPlN2at6native12_GLOBAL__N_18offset_tEEE10hipError_tPvRmT1_PNSt15iterator_traitsISK_E10value_typeET2_T3_PNSL_ISQ_E10value_typeET4_jRbjT5_SW_jjP12ihipStream_tbEUlT_E2_NS1_11comp_targetILNS1_3genE4ELNS1_11target_archE910ELNS1_3gpuE8ELNS1_3repE0EEENS1_30default_config_static_selectorELNS0_4arch9wavefront6targetE1EEEvSK_: ; @_ZN7rocprim17ROCPRIM_400000_NS6detail17trampoline_kernelINS0_14default_configENS1_36segmented_radix_sort_config_selectorIalEEZNS1_25segmented_radix_sort_implIS3_Lb1EPKaPaPKlPlN2at6native12_GLOBAL__N_18offset_tEEE10hipError_tPvRmT1_PNSt15iterator_traitsISK_E10value_typeET2_T3_PNSL_ISQ_E10value_typeET4_jRbjT5_SW_jjP12ihipStream_tbEUlT_E2_NS1_11comp_targetILNS1_3genE4ELNS1_11target_archE910ELNS1_3gpuE8ELNS1_3repE0EEENS1_30default_config_static_selectorELNS0_4arch9wavefront6targetE1EEEvSK_
; %bb.0:
	.section	.rodata,"a",@progbits
	.p2align	6, 0x0
	.amdhsa_kernel _ZN7rocprim17ROCPRIM_400000_NS6detail17trampoline_kernelINS0_14default_configENS1_36segmented_radix_sort_config_selectorIalEEZNS1_25segmented_radix_sort_implIS3_Lb1EPKaPaPKlPlN2at6native12_GLOBAL__N_18offset_tEEE10hipError_tPvRmT1_PNSt15iterator_traitsISK_E10value_typeET2_T3_PNSL_ISQ_E10value_typeET4_jRbjT5_SW_jjP12ihipStream_tbEUlT_E2_NS1_11comp_targetILNS1_3genE4ELNS1_11target_archE910ELNS1_3gpuE8ELNS1_3repE0EEENS1_30default_config_static_selectorELNS0_4arch9wavefront6targetE1EEEvSK_
		.amdhsa_group_segment_fixed_size 0
		.amdhsa_private_segment_fixed_size 0
		.amdhsa_kernarg_size 80
		.amdhsa_user_sgpr_count 6
		.amdhsa_user_sgpr_private_segment_buffer 1
		.amdhsa_user_sgpr_dispatch_ptr 0
		.amdhsa_user_sgpr_queue_ptr 0
		.amdhsa_user_sgpr_kernarg_segment_ptr 1
		.amdhsa_user_sgpr_dispatch_id 0
		.amdhsa_user_sgpr_flat_scratch_init 0
		.amdhsa_user_sgpr_private_segment_size 0
		.amdhsa_uses_dynamic_stack 0
		.amdhsa_system_sgpr_private_segment_wavefront_offset 0
		.amdhsa_system_sgpr_workgroup_id_x 1
		.amdhsa_system_sgpr_workgroup_id_y 0
		.amdhsa_system_sgpr_workgroup_id_z 0
		.amdhsa_system_sgpr_workgroup_info 0
		.amdhsa_system_vgpr_workitem_id 0
		.amdhsa_next_free_vgpr 1
		.amdhsa_next_free_sgpr 0
		.amdhsa_reserve_vcc 0
		.amdhsa_reserve_flat_scratch 0
		.amdhsa_float_round_mode_32 0
		.amdhsa_float_round_mode_16_64 0
		.amdhsa_float_denorm_mode_32 3
		.amdhsa_float_denorm_mode_16_64 3
		.amdhsa_dx10_clamp 1
		.amdhsa_ieee_mode 1
		.amdhsa_fp16_overflow 0
		.amdhsa_exception_fp_ieee_invalid_op 0
		.amdhsa_exception_fp_denorm_src 0
		.amdhsa_exception_fp_ieee_div_zero 0
		.amdhsa_exception_fp_ieee_overflow 0
		.amdhsa_exception_fp_ieee_underflow 0
		.amdhsa_exception_fp_ieee_inexact 0
		.amdhsa_exception_int_div_zero 0
	.end_amdhsa_kernel
	.section	.text._ZN7rocprim17ROCPRIM_400000_NS6detail17trampoline_kernelINS0_14default_configENS1_36segmented_radix_sort_config_selectorIalEEZNS1_25segmented_radix_sort_implIS3_Lb1EPKaPaPKlPlN2at6native12_GLOBAL__N_18offset_tEEE10hipError_tPvRmT1_PNSt15iterator_traitsISK_E10value_typeET2_T3_PNSL_ISQ_E10value_typeET4_jRbjT5_SW_jjP12ihipStream_tbEUlT_E2_NS1_11comp_targetILNS1_3genE4ELNS1_11target_archE910ELNS1_3gpuE8ELNS1_3repE0EEENS1_30default_config_static_selectorELNS0_4arch9wavefront6targetE1EEEvSK_,"axG",@progbits,_ZN7rocprim17ROCPRIM_400000_NS6detail17trampoline_kernelINS0_14default_configENS1_36segmented_radix_sort_config_selectorIalEEZNS1_25segmented_radix_sort_implIS3_Lb1EPKaPaPKlPlN2at6native12_GLOBAL__N_18offset_tEEE10hipError_tPvRmT1_PNSt15iterator_traitsISK_E10value_typeET2_T3_PNSL_ISQ_E10value_typeET4_jRbjT5_SW_jjP12ihipStream_tbEUlT_E2_NS1_11comp_targetILNS1_3genE4ELNS1_11target_archE910ELNS1_3gpuE8ELNS1_3repE0EEENS1_30default_config_static_selectorELNS0_4arch9wavefront6targetE1EEEvSK_,comdat
.Lfunc_end322:
	.size	_ZN7rocprim17ROCPRIM_400000_NS6detail17trampoline_kernelINS0_14default_configENS1_36segmented_radix_sort_config_selectorIalEEZNS1_25segmented_radix_sort_implIS3_Lb1EPKaPaPKlPlN2at6native12_GLOBAL__N_18offset_tEEE10hipError_tPvRmT1_PNSt15iterator_traitsISK_E10value_typeET2_T3_PNSL_ISQ_E10value_typeET4_jRbjT5_SW_jjP12ihipStream_tbEUlT_E2_NS1_11comp_targetILNS1_3genE4ELNS1_11target_archE910ELNS1_3gpuE8ELNS1_3repE0EEENS1_30default_config_static_selectorELNS0_4arch9wavefront6targetE1EEEvSK_, .Lfunc_end322-_ZN7rocprim17ROCPRIM_400000_NS6detail17trampoline_kernelINS0_14default_configENS1_36segmented_radix_sort_config_selectorIalEEZNS1_25segmented_radix_sort_implIS3_Lb1EPKaPaPKlPlN2at6native12_GLOBAL__N_18offset_tEEE10hipError_tPvRmT1_PNSt15iterator_traitsISK_E10value_typeET2_T3_PNSL_ISQ_E10value_typeET4_jRbjT5_SW_jjP12ihipStream_tbEUlT_E2_NS1_11comp_targetILNS1_3genE4ELNS1_11target_archE910ELNS1_3gpuE8ELNS1_3repE0EEENS1_30default_config_static_selectorELNS0_4arch9wavefront6targetE1EEEvSK_
                                        ; -- End function
	.set _ZN7rocprim17ROCPRIM_400000_NS6detail17trampoline_kernelINS0_14default_configENS1_36segmented_radix_sort_config_selectorIalEEZNS1_25segmented_radix_sort_implIS3_Lb1EPKaPaPKlPlN2at6native12_GLOBAL__N_18offset_tEEE10hipError_tPvRmT1_PNSt15iterator_traitsISK_E10value_typeET2_T3_PNSL_ISQ_E10value_typeET4_jRbjT5_SW_jjP12ihipStream_tbEUlT_E2_NS1_11comp_targetILNS1_3genE4ELNS1_11target_archE910ELNS1_3gpuE8ELNS1_3repE0EEENS1_30default_config_static_selectorELNS0_4arch9wavefront6targetE1EEEvSK_.num_vgpr, 0
	.set _ZN7rocprim17ROCPRIM_400000_NS6detail17trampoline_kernelINS0_14default_configENS1_36segmented_radix_sort_config_selectorIalEEZNS1_25segmented_radix_sort_implIS3_Lb1EPKaPaPKlPlN2at6native12_GLOBAL__N_18offset_tEEE10hipError_tPvRmT1_PNSt15iterator_traitsISK_E10value_typeET2_T3_PNSL_ISQ_E10value_typeET4_jRbjT5_SW_jjP12ihipStream_tbEUlT_E2_NS1_11comp_targetILNS1_3genE4ELNS1_11target_archE910ELNS1_3gpuE8ELNS1_3repE0EEENS1_30default_config_static_selectorELNS0_4arch9wavefront6targetE1EEEvSK_.num_agpr, 0
	.set _ZN7rocprim17ROCPRIM_400000_NS6detail17trampoline_kernelINS0_14default_configENS1_36segmented_radix_sort_config_selectorIalEEZNS1_25segmented_radix_sort_implIS3_Lb1EPKaPaPKlPlN2at6native12_GLOBAL__N_18offset_tEEE10hipError_tPvRmT1_PNSt15iterator_traitsISK_E10value_typeET2_T3_PNSL_ISQ_E10value_typeET4_jRbjT5_SW_jjP12ihipStream_tbEUlT_E2_NS1_11comp_targetILNS1_3genE4ELNS1_11target_archE910ELNS1_3gpuE8ELNS1_3repE0EEENS1_30default_config_static_selectorELNS0_4arch9wavefront6targetE1EEEvSK_.numbered_sgpr, 0
	.set _ZN7rocprim17ROCPRIM_400000_NS6detail17trampoline_kernelINS0_14default_configENS1_36segmented_radix_sort_config_selectorIalEEZNS1_25segmented_radix_sort_implIS3_Lb1EPKaPaPKlPlN2at6native12_GLOBAL__N_18offset_tEEE10hipError_tPvRmT1_PNSt15iterator_traitsISK_E10value_typeET2_T3_PNSL_ISQ_E10value_typeET4_jRbjT5_SW_jjP12ihipStream_tbEUlT_E2_NS1_11comp_targetILNS1_3genE4ELNS1_11target_archE910ELNS1_3gpuE8ELNS1_3repE0EEENS1_30default_config_static_selectorELNS0_4arch9wavefront6targetE1EEEvSK_.num_named_barrier, 0
	.set _ZN7rocprim17ROCPRIM_400000_NS6detail17trampoline_kernelINS0_14default_configENS1_36segmented_radix_sort_config_selectorIalEEZNS1_25segmented_radix_sort_implIS3_Lb1EPKaPaPKlPlN2at6native12_GLOBAL__N_18offset_tEEE10hipError_tPvRmT1_PNSt15iterator_traitsISK_E10value_typeET2_T3_PNSL_ISQ_E10value_typeET4_jRbjT5_SW_jjP12ihipStream_tbEUlT_E2_NS1_11comp_targetILNS1_3genE4ELNS1_11target_archE910ELNS1_3gpuE8ELNS1_3repE0EEENS1_30default_config_static_selectorELNS0_4arch9wavefront6targetE1EEEvSK_.private_seg_size, 0
	.set _ZN7rocprim17ROCPRIM_400000_NS6detail17trampoline_kernelINS0_14default_configENS1_36segmented_radix_sort_config_selectorIalEEZNS1_25segmented_radix_sort_implIS3_Lb1EPKaPaPKlPlN2at6native12_GLOBAL__N_18offset_tEEE10hipError_tPvRmT1_PNSt15iterator_traitsISK_E10value_typeET2_T3_PNSL_ISQ_E10value_typeET4_jRbjT5_SW_jjP12ihipStream_tbEUlT_E2_NS1_11comp_targetILNS1_3genE4ELNS1_11target_archE910ELNS1_3gpuE8ELNS1_3repE0EEENS1_30default_config_static_selectorELNS0_4arch9wavefront6targetE1EEEvSK_.uses_vcc, 0
	.set _ZN7rocprim17ROCPRIM_400000_NS6detail17trampoline_kernelINS0_14default_configENS1_36segmented_radix_sort_config_selectorIalEEZNS1_25segmented_radix_sort_implIS3_Lb1EPKaPaPKlPlN2at6native12_GLOBAL__N_18offset_tEEE10hipError_tPvRmT1_PNSt15iterator_traitsISK_E10value_typeET2_T3_PNSL_ISQ_E10value_typeET4_jRbjT5_SW_jjP12ihipStream_tbEUlT_E2_NS1_11comp_targetILNS1_3genE4ELNS1_11target_archE910ELNS1_3gpuE8ELNS1_3repE0EEENS1_30default_config_static_selectorELNS0_4arch9wavefront6targetE1EEEvSK_.uses_flat_scratch, 0
	.set _ZN7rocprim17ROCPRIM_400000_NS6detail17trampoline_kernelINS0_14default_configENS1_36segmented_radix_sort_config_selectorIalEEZNS1_25segmented_radix_sort_implIS3_Lb1EPKaPaPKlPlN2at6native12_GLOBAL__N_18offset_tEEE10hipError_tPvRmT1_PNSt15iterator_traitsISK_E10value_typeET2_T3_PNSL_ISQ_E10value_typeET4_jRbjT5_SW_jjP12ihipStream_tbEUlT_E2_NS1_11comp_targetILNS1_3genE4ELNS1_11target_archE910ELNS1_3gpuE8ELNS1_3repE0EEENS1_30default_config_static_selectorELNS0_4arch9wavefront6targetE1EEEvSK_.has_dyn_sized_stack, 0
	.set _ZN7rocprim17ROCPRIM_400000_NS6detail17trampoline_kernelINS0_14default_configENS1_36segmented_radix_sort_config_selectorIalEEZNS1_25segmented_radix_sort_implIS3_Lb1EPKaPaPKlPlN2at6native12_GLOBAL__N_18offset_tEEE10hipError_tPvRmT1_PNSt15iterator_traitsISK_E10value_typeET2_T3_PNSL_ISQ_E10value_typeET4_jRbjT5_SW_jjP12ihipStream_tbEUlT_E2_NS1_11comp_targetILNS1_3genE4ELNS1_11target_archE910ELNS1_3gpuE8ELNS1_3repE0EEENS1_30default_config_static_selectorELNS0_4arch9wavefront6targetE1EEEvSK_.has_recursion, 0
	.set _ZN7rocprim17ROCPRIM_400000_NS6detail17trampoline_kernelINS0_14default_configENS1_36segmented_radix_sort_config_selectorIalEEZNS1_25segmented_radix_sort_implIS3_Lb1EPKaPaPKlPlN2at6native12_GLOBAL__N_18offset_tEEE10hipError_tPvRmT1_PNSt15iterator_traitsISK_E10value_typeET2_T3_PNSL_ISQ_E10value_typeET4_jRbjT5_SW_jjP12ihipStream_tbEUlT_E2_NS1_11comp_targetILNS1_3genE4ELNS1_11target_archE910ELNS1_3gpuE8ELNS1_3repE0EEENS1_30default_config_static_selectorELNS0_4arch9wavefront6targetE1EEEvSK_.has_indirect_call, 0
	.section	.AMDGPU.csdata,"",@progbits
; Kernel info:
; codeLenInByte = 0
; TotalNumSgprs: 4
; NumVgprs: 0
; ScratchSize: 0
; MemoryBound: 0
; FloatMode: 240
; IeeeMode: 1
; LDSByteSize: 0 bytes/workgroup (compile time only)
; SGPRBlocks: 0
; VGPRBlocks: 0
; NumSGPRsForWavesPerEU: 4
; NumVGPRsForWavesPerEU: 1
; Occupancy: 10
; WaveLimiterHint : 0
; COMPUTE_PGM_RSRC2:SCRATCH_EN: 0
; COMPUTE_PGM_RSRC2:USER_SGPR: 6
; COMPUTE_PGM_RSRC2:TRAP_HANDLER: 0
; COMPUTE_PGM_RSRC2:TGID_X_EN: 1
; COMPUTE_PGM_RSRC2:TGID_Y_EN: 0
; COMPUTE_PGM_RSRC2:TGID_Z_EN: 0
; COMPUTE_PGM_RSRC2:TIDIG_COMP_CNT: 0
	.section	.text._ZN7rocprim17ROCPRIM_400000_NS6detail17trampoline_kernelINS0_14default_configENS1_36segmented_radix_sort_config_selectorIalEEZNS1_25segmented_radix_sort_implIS3_Lb1EPKaPaPKlPlN2at6native12_GLOBAL__N_18offset_tEEE10hipError_tPvRmT1_PNSt15iterator_traitsISK_E10value_typeET2_T3_PNSL_ISQ_E10value_typeET4_jRbjT5_SW_jjP12ihipStream_tbEUlT_E2_NS1_11comp_targetILNS1_3genE3ELNS1_11target_archE908ELNS1_3gpuE7ELNS1_3repE0EEENS1_30default_config_static_selectorELNS0_4arch9wavefront6targetE1EEEvSK_,"axG",@progbits,_ZN7rocprim17ROCPRIM_400000_NS6detail17trampoline_kernelINS0_14default_configENS1_36segmented_radix_sort_config_selectorIalEEZNS1_25segmented_radix_sort_implIS3_Lb1EPKaPaPKlPlN2at6native12_GLOBAL__N_18offset_tEEE10hipError_tPvRmT1_PNSt15iterator_traitsISK_E10value_typeET2_T3_PNSL_ISQ_E10value_typeET4_jRbjT5_SW_jjP12ihipStream_tbEUlT_E2_NS1_11comp_targetILNS1_3genE3ELNS1_11target_archE908ELNS1_3gpuE7ELNS1_3repE0EEENS1_30default_config_static_selectorELNS0_4arch9wavefront6targetE1EEEvSK_,comdat
	.globl	_ZN7rocprim17ROCPRIM_400000_NS6detail17trampoline_kernelINS0_14default_configENS1_36segmented_radix_sort_config_selectorIalEEZNS1_25segmented_radix_sort_implIS3_Lb1EPKaPaPKlPlN2at6native12_GLOBAL__N_18offset_tEEE10hipError_tPvRmT1_PNSt15iterator_traitsISK_E10value_typeET2_T3_PNSL_ISQ_E10value_typeET4_jRbjT5_SW_jjP12ihipStream_tbEUlT_E2_NS1_11comp_targetILNS1_3genE3ELNS1_11target_archE908ELNS1_3gpuE7ELNS1_3repE0EEENS1_30default_config_static_selectorELNS0_4arch9wavefront6targetE1EEEvSK_ ; -- Begin function _ZN7rocprim17ROCPRIM_400000_NS6detail17trampoline_kernelINS0_14default_configENS1_36segmented_radix_sort_config_selectorIalEEZNS1_25segmented_radix_sort_implIS3_Lb1EPKaPaPKlPlN2at6native12_GLOBAL__N_18offset_tEEE10hipError_tPvRmT1_PNSt15iterator_traitsISK_E10value_typeET2_T3_PNSL_ISQ_E10value_typeET4_jRbjT5_SW_jjP12ihipStream_tbEUlT_E2_NS1_11comp_targetILNS1_3genE3ELNS1_11target_archE908ELNS1_3gpuE7ELNS1_3repE0EEENS1_30default_config_static_selectorELNS0_4arch9wavefront6targetE1EEEvSK_
	.p2align	8
	.type	_ZN7rocprim17ROCPRIM_400000_NS6detail17trampoline_kernelINS0_14default_configENS1_36segmented_radix_sort_config_selectorIalEEZNS1_25segmented_radix_sort_implIS3_Lb1EPKaPaPKlPlN2at6native12_GLOBAL__N_18offset_tEEE10hipError_tPvRmT1_PNSt15iterator_traitsISK_E10value_typeET2_T3_PNSL_ISQ_E10value_typeET4_jRbjT5_SW_jjP12ihipStream_tbEUlT_E2_NS1_11comp_targetILNS1_3genE3ELNS1_11target_archE908ELNS1_3gpuE7ELNS1_3repE0EEENS1_30default_config_static_selectorELNS0_4arch9wavefront6targetE1EEEvSK_,@function
_ZN7rocprim17ROCPRIM_400000_NS6detail17trampoline_kernelINS0_14default_configENS1_36segmented_radix_sort_config_selectorIalEEZNS1_25segmented_radix_sort_implIS3_Lb1EPKaPaPKlPlN2at6native12_GLOBAL__N_18offset_tEEE10hipError_tPvRmT1_PNSt15iterator_traitsISK_E10value_typeET2_T3_PNSL_ISQ_E10value_typeET4_jRbjT5_SW_jjP12ihipStream_tbEUlT_E2_NS1_11comp_targetILNS1_3genE3ELNS1_11target_archE908ELNS1_3gpuE7ELNS1_3repE0EEENS1_30default_config_static_selectorELNS0_4arch9wavefront6targetE1EEEvSK_: ; @_ZN7rocprim17ROCPRIM_400000_NS6detail17trampoline_kernelINS0_14default_configENS1_36segmented_radix_sort_config_selectorIalEEZNS1_25segmented_radix_sort_implIS3_Lb1EPKaPaPKlPlN2at6native12_GLOBAL__N_18offset_tEEE10hipError_tPvRmT1_PNSt15iterator_traitsISK_E10value_typeET2_T3_PNSL_ISQ_E10value_typeET4_jRbjT5_SW_jjP12ihipStream_tbEUlT_E2_NS1_11comp_targetILNS1_3genE3ELNS1_11target_archE908ELNS1_3gpuE7ELNS1_3repE0EEENS1_30default_config_static_selectorELNS0_4arch9wavefront6targetE1EEEvSK_
; %bb.0:
	.section	.rodata,"a",@progbits
	.p2align	6, 0x0
	.amdhsa_kernel _ZN7rocprim17ROCPRIM_400000_NS6detail17trampoline_kernelINS0_14default_configENS1_36segmented_radix_sort_config_selectorIalEEZNS1_25segmented_radix_sort_implIS3_Lb1EPKaPaPKlPlN2at6native12_GLOBAL__N_18offset_tEEE10hipError_tPvRmT1_PNSt15iterator_traitsISK_E10value_typeET2_T3_PNSL_ISQ_E10value_typeET4_jRbjT5_SW_jjP12ihipStream_tbEUlT_E2_NS1_11comp_targetILNS1_3genE3ELNS1_11target_archE908ELNS1_3gpuE7ELNS1_3repE0EEENS1_30default_config_static_selectorELNS0_4arch9wavefront6targetE1EEEvSK_
		.amdhsa_group_segment_fixed_size 0
		.amdhsa_private_segment_fixed_size 0
		.amdhsa_kernarg_size 80
		.amdhsa_user_sgpr_count 6
		.amdhsa_user_sgpr_private_segment_buffer 1
		.amdhsa_user_sgpr_dispatch_ptr 0
		.amdhsa_user_sgpr_queue_ptr 0
		.amdhsa_user_sgpr_kernarg_segment_ptr 1
		.amdhsa_user_sgpr_dispatch_id 0
		.amdhsa_user_sgpr_flat_scratch_init 0
		.amdhsa_user_sgpr_private_segment_size 0
		.amdhsa_uses_dynamic_stack 0
		.amdhsa_system_sgpr_private_segment_wavefront_offset 0
		.amdhsa_system_sgpr_workgroup_id_x 1
		.amdhsa_system_sgpr_workgroup_id_y 0
		.amdhsa_system_sgpr_workgroup_id_z 0
		.amdhsa_system_sgpr_workgroup_info 0
		.amdhsa_system_vgpr_workitem_id 0
		.amdhsa_next_free_vgpr 1
		.amdhsa_next_free_sgpr 0
		.amdhsa_reserve_vcc 0
		.amdhsa_reserve_flat_scratch 0
		.amdhsa_float_round_mode_32 0
		.amdhsa_float_round_mode_16_64 0
		.amdhsa_float_denorm_mode_32 3
		.amdhsa_float_denorm_mode_16_64 3
		.amdhsa_dx10_clamp 1
		.amdhsa_ieee_mode 1
		.amdhsa_fp16_overflow 0
		.amdhsa_exception_fp_ieee_invalid_op 0
		.amdhsa_exception_fp_denorm_src 0
		.amdhsa_exception_fp_ieee_div_zero 0
		.amdhsa_exception_fp_ieee_overflow 0
		.amdhsa_exception_fp_ieee_underflow 0
		.amdhsa_exception_fp_ieee_inexact 0
		.amdhsa_exception_int_div_zero 0
	.end_amdhsa_kernel
	.section	.text._ZN7rocprim17ROCPRIM_400000_NS6detail17trampoline_kernelINS0_14default_configENS1_36segmented_radix_sort_config_selectorIalEEZNS1_25segmented_radix_sort_implIS3_Lb1EPKaPaPKlPlN2at6native12_GLOBAL__N_18offset_tEEE10hipError_tPvRmT1_PNSt15iterator_traitsISK_E10value_typeET2_T3_PNSL_ISQ_E10value_typeET4_jRbjT5_SW_jjP12ihipStream_tbEUlT_E2_NS1_11comp_targetILNS1_3genE3ELNS1_11target_archE908ELNS1_3gpuE7ELNS1_3repE0EEENS1_30default_config_static_selectorELNS0_4arch9wavefront6targetE1EEEvSK_,"axG",@progbits,_ZN7rocprim17ROCPRIM_400000_NS6detail17trampoline_kernelINS0_14default_configENS1_36segmented_radix_sort_config_selectorIalEEZNS1_25segmented_radix_sort_implIS3_Lb1EPKaPaPKlPlN2at6native12_GLOBAL__N_18offset_tEEE10hipError_tPvRmT1_PNSt15iterator_traitsISK_E10value_typeET2_T3_PNSL_ISQ_E10value_typeET4_jRbjT5_SW_jjP12ihipStream_tbEUlT_E2_NS1_11comp_targetILNS1_3genE3ELNS1_11target_archE908ELNS1_3gpuE7ELNS1_3repE0EEENS1_30default_config_static_selectorELNS0_4arch9wavefront6targetE1EEEvSK_,comdat
.Lfunc_end323:
	.size	_ZN7rocprim17ROCPRIM_400000_NS6detail17trampoline_kernelINS0_14default_configENS1_36segmented_radix_sort_config_selectorIalEEZNS1_25segmented_radix_sort_implIS3_Lb1EPKaPaPKlPlN2at6native12_GLOBAL__N_18offset_tEEE10hipError_tPvRmT1_PNSt15iterator_traitsISK_E10value_typeET2_T3_PNSL_ISQ_E10value_typeET4_jRbjT5_SW_jjP12ihipStream_tbEUlT_E2_NS1_11comp_targetILNS1_3genE3ELNS1_11target_archE908ELNS1_3gpuE7ELNS1_3repE0EEENS1_30default_config_static_selectorELNS0_4arch9wavefront6targetE1EEEvSK_, .Lfunc_end323-_ZN7rocprim17ROCPRIM_400000_NS6detail17trampoline_kernelINS0_14default_configENS1_36segmented_radix_sort_config_selectorIalEEZNS1_25segmented_radix_sort_implIS3_Lb1EPKaPaPKlPlN2at6native12_GLOBAL__N_18offset_tEEE10hipError_tPvRmT1_PNSt15iterator_traitsISK_E10value_typeET2_T3_PNSL_ISQ_E10value_typeET4_jRbjT5_SW_jjP12ihipStream_tbEUlT_E2_NS1_11comp_targetILNS1_3genE3ELNS1_11target_archE908ELNS1_3gpuE7ELNS1_3repE0EEENS1_30default_config_static_selectorELNS0_4arch9wavefront6targetE1EEEvSK_
                                        ; -- End function
	.set _ZN7rocprim17ROCPRIM_400000_NS6detail17trampoline_kernelINS0_14default_configENS1_36segmented_radix_sort_config_selectorIalEEZNS1_25segmented_radix_sort_implIS3_Lb1EPKaPaPKlPlN2at6native12_GLOBAL__N_18offset_tEEE10hipError_tPvRmT1_PNSt15iterator_traitsISK_E10value_typeET2_T3_PNSL_ISQ_E10value_typeET4_jRbjT5_SW_jjP12ihipStream_tbEUlT_E2_NS1_11comp_targetILNS1_3genE3ELNS1_11target_archE908ELNS1_3gpuE7ELNS1_3repE0EEENS1_30default_config_static_selectorELNS0_4arch9wavefront6targetE1EEEvSK_.num_vgpr, 0
	.set _ZN7rocprim17ROCPRIM_400000_NS6detail17trampoline_kernelINS0_14default_configENS1_36segmented_radix_sort_config_selectorIalEEZNS1_25segmented_radix_sort_implIS3_Lb1EPKaPaPKlPlN2at6native12_GLOBAL__N_18offset_tEEE10hipError_tPvRmT1_PNSt15iterator_traitsISK_E10value_typeET2_T3_PNSL_ISQ_E10value_typeET4_jRbjT5_SW_jjP12ihipStream_tbEUlT_E2_NS1_11comp_targetILNS1_3genE3ELNS1_11target_archE908ELNS1_3gpuE7ELNS1_3repE0EEENS1_30default_config_static_selectorELNS0_4arch9wavefront6targetE1EEEvSK_.num_agpr, 0
	.set _ZN7rocprim17ROCPRIM_400000_NS6detail17trampoline_kernelINS0_14default_configENS1_36segmented_radix_sort_config_selectorIalEEZNS1_25segmented_radix_sort_implIS3_Lb1EPKaPaPKlPlN2at6native12_GLOBAL__N_18offset_tEEE10hipError_tPvRmT1_PNSt15iterator_traitsISK_E10value_typeET2_T3_PNSL_ISQ_E10value_typeET4_jRbjT5_SW_jjP12ihipStream_tbEUlT_E2_NS1_11comp_targetILNS1_3genE3ELNS1_11target_archE908ELNS1_3gpuE7ELNS1_3repE0EEENS1_30default_config_static_selectorELNS0_4arch9wavefront6targetE1EEEvSK_.numbered_sgpr, 0
	.set _ZN7rocprim17ROCPRIM_400000_NS6detail17trampoline_kernelINS0_14default_configENS1_36segmented_radix_sort_config_selectorIalEEZNS1_25segmented_radix_sort_implIS3_Lb1EPKaPaPKlPlN2at6native12_GLOBAL__N_18offset_tEEE10hipError_tPvRmT1_PNSt15iterator_traitsISK_E10value_typeET2_T3_PNSL_ISQ_E10value_typeET4_jRbjT5_SW_jjP12ihipStream_tbEUlT_E2_NS1_11comp_targetILNS1_3genE3ELNS1_11target_archE908ELNS1_3gpuE7ELNS1_3repE0EEENS1_30default_config_static_selectorELNS0_4arch9wavefront6targetE1EEEvSK_.num_named_barrier, 0
	.set _ZN7rocprim17ROCPRIM_400000_NS6detail17trampoline_kernelINS0_14default_configENS1_36segmented_radix_sort_config_selectorIalEEZNS1_25segmented_radix_sort_implIS3_Lb1EPKaPaPKlPlN2at6native12_GLOBAL__N_18offset_tEEE10hipError_tPvRmT1_PNSt15iterator_traitsISK_E10value_typeET2_T3_PNSL_ISQ_E10value_typeET4_jRbjT5_SW_jjP12ihipStream_tbEUlT_E2_NS1_11comp_targetILNS1_3genE3ELNS1_11target_archE908ELNS1_3gpuE7ELNS1_3repE0EEENS1_30default_config_static_selectorELNS0_4arch9wavefront6targetE1EEEvSK_.private_seg_size, 0
	.set _ZN7rocprim17ROCPRIM_400000_NS6detail17trampoline_kernelINS0_14default_configENS1_36segmented_radix_sort_config_selectorIalEEZNS1_25segmented_radix_sort_implIS3_Lb1EPKaPaPKlPlN2at6native12_GLOBAL__N_18offset_tEEE10hipError_tPvRmT1_PNSt15iterator_traitsISK_E10value_typeET2_T3_PNSL_ISQ_E10value_typeET4_jRbjT5_SW_jjP12ihipStream_tbEUlT_E2_NS1_11comp_targetILNS1_3genE3ELNS1_11target_archE908ELNS1_3gpuE7ELNS1_3repE0EEENS1_30default_config_static_selectorELNS0_4arch9wavefront6targetE1EEEvSK_.uses_vcc, 0
	.set _ZN7rocprim17ROCPRIM_400000_NS6detail17trampoline_kernelINS0_14default_configENS1_36segmented_radix_sort_config_selectorIalEEZNS1_25segmented_radix_sort_implIS3_Lb1EPKaPaPKlPlN2at6native12_GLOBAL__N_18offset_tEEE10hipError_tPvRmT1_PNSt15iterator_traitsISK_E10value_typeET2_T3_PNSL_ISQ_E10value_typeET4_jRbjT5_SW_jjP12ihipStream_tbEUlT_E2_NS1_11comp_targetILNS1_3genE3ELNS1_11target_archE908ELNS1_3gpuE7ELNS1_3repE0EEENS1_30default_config_static_selectorELNS0_4arch9wavefront6targetE1EEEvSK_.uses_flat_scratch, 0
	.set _ZN7rocprim17ROCPRIM_400000_NS6detail17trampoline_kernelINS0_14default_configENS1_36segmented_radix_sort_config_selectorIalEEZNS1_25segmented_radix_sort_implIS3_Lb1EPKaPaPKlPlN2at6native12_GLOBAL__N_18offset_tEEE10hipError_tPvRmT1_PNSt15iterator_traitsISK_E10value_typeET2_T3_PNSL_ISQ_E10value_typeET4_jRbjT5_SW_jjP12ihipStream_tbEUlT_E2_NS1_11comp_targetILNS1_3genE3ELNS1_11target_archE908ELNS1_3gpuE7ELNS1_3repE0EEENS1_30default_config_static_selectorELNS0_4arch9wavefront6targetE1EEEvSK_.has_dyn_sized_stack, 0
	.set _ZN7rocprim17ROCPRIM_400000_NS6detail17trampoline_kernelINS0_14default_configENS1_36segmented_radix_sort_config_selectorIalEEZNS1_25segmented_radix_sort_implIS3_Lb1EPKaPaPKlPlN2at6native12_GLOBAL__N_18offset_tEEE10hipError_tPvRmT1_PNSt15iterator_traitsISK_E10value_typeET2_T3_PNSL_ISQ_E10value_typeET4_jRbjT5_SW_jjP12ihipStream_tbEUlT_E2_NS1_11comp_targetILNS1_3genE3ELNS1_11target_archE908ELNS1_3gpuE7ELNS1_3repE0EEENS1_30default_config_static_selectorELNS0_4arch9wavefront6targetE1EEEvSK_.has_recursion, 0
	.set _ZN7rocprim17ROCPRIM_400000_NS6detail17trampoline_kernelINS0_14default_configENS1_36segmented_radix_sort_config_selectorIalEEZNS1_25segmented_radix_sort_implIS3_Lb1EPKaPaPKlPlN2at6native12_GLOBAL__N_18offset_tEEE10hipError_tPvRmT1_PNSt15iterator_traitsISK_E10value_typeET2_T3_PNSL_ISQ_E10value_typeET4_jRbjT5_SW_jjP12ihipStream_tbEUlT_E2_NS1_11comp_targetILNS1_3genE3ELNS1_11target_archE908ELNS1_3gpuE7ELNS1_3repE0EEENS1_30default_config_static_selectorELNS0_4arch9wavefront6targetE1EEEvSK_.has_indirect_call, 0
	.section	.AMDGPU.csdata,"",@progbits
; Kernel info:
; codeLenInByte = 0
; TotalNumSgprs: 4
; NumVgprs: 0
; ScratchSize: 0
; MemoryBound: 0
; FloatMode: 240
; IeeeMode: 1
; LDSByteSize: 0 bytes/workgroup (compile time only)
; SGPRBlocks: 0
; VGPRBlocks: 0
; NumSGPRsForWavesPerEU: 4
; NumVGPRsForWavesPerEU: 1
; Occupancy: 10
; WaveLimiterHint : 0
; COMPUTE_PGM_RSRC2:SCRATCH_EN: 0
; COMPUTE_PGM_RSRC2:USER_SGPR: 6
; COMPUTE_PGM_RSRC2:TRAP_HANDLER: 0
; COMPUTE_PGM_RSRC2:TGID_X_EN: 1
; COMPUTE_PGM_RSRC2:TGID_Y_EN: 0
; COMPUTE_PGM_RSRC2:TGID_Z_EN: 0
; COMPUTE_PGM_RSRC2:TIDIG_COMP_CNT: 0
	.section	.text._ZN7rocprim17ROCPRIM_400000_NS6detail17trampoline_kernelINS0_14default_configENS1_36segmented_radix_sort_config_selectorIalEEZNS1_25segmented_radix_sort_implIS3_Lb1EPKaPaPKlPlN2at6native12_GLOBAL__N_18offset_tEEE10hipError_tPvRmT1_PNSt15iterator_traitsISK_E10value_typeET2_T3_PNSL_ISQ_E10value_typeET4_jRbjT5_SW_jjP12ihipStream_tbEUlT_E2_NS1_11comp_targetILNS1_3genE2ELNS1_11target_archE906ELNS1_3gpuE6ELNS1_3repE0EEENS1_30default_config_static_selectorELNS0_4arch9wavefront6targetE1EEEvSK_,"axG",@progbits,_ZN7rocprim17ROCPRIM_400000_NS6detail17trampoline_kernelINS0_14default_configENS1_36segmented_radix_sort_config_selectorIalEEZNS1_25segmented_radix_sort_implIS3_Lb1EPKaPaPKlPlN2at6native12_GLOBAL__N_18offset_tEEE10hipError_tPvRmT1_PNSt15iterator_traitsISK_E10value_typeET2_T3_PNSL_ISQ_E10value_typeET4_jRbjT5_SW_jjP12ihipStream_tbEUlT_E2_NS1_11comp_targetILNS1_3genE2ELNS1_11target_archE906ELNS1_3gpuE6ELNS1_3repE0EEENS1_30default_config_static_selectorELNS0_4arch9wavefront6targetE1EEEvSK_,comdat
	.globl	_ZN7rocprim17ROCPRIM_400000_NS6detail17trampoline_kernelINS0_14default_configENS1_36segmented_radix_sort_config_selectorIalEEZNS1_25segmented_radix_sort_implIS3_Lb1EPKaPaPKlPlN2at6native12_GLOBAL__N_18offset_tEEE10hipError_tPvRmT1_PNSt15iterator_traitsISK_E10value_typeET2_T3_PNSL_ISQ_E10value_typeET4_jRbjT5_SW_jjP12ihipStream_tbEUlT_E2_NS1_11comp_targetILNS1_3genE2ELNS1_11target_archE906ELNS1_3gpuE6ELNS1_3repE0EEENS1_30default_config_static_selectorELNS0_4arch9wavefront6targetE1EEEvSK_ ; -- Begin function _ZN7rocprim17ROCPRIM_400000_NS6detail17trampoline_kernelINS0_14default_configENS1_36segmented_radix_sort_config_selectorIalEEZNS1_25segmented_radix_sort_implIS3_Lb1EPKaPaPKlPlN2at6native12_GLOBAL__N_18offset_tEEE10hipError_tPvRmT1_PNSt15iterator_traitsISK_E10value_typeET2_T3_PNSL_ISQ_E10value_typeET4_jRbjT5_SW_jjP12ihipStream_tbEUlT_E2_NS1_11comp_targetILNS1_3genE2ELNS1_11target_archE906ELNS1_3gpuE6ELNS1_3repE0EEENS1_30default_config_static_selectorELNS0_4arch9wavefront6targetE1EEEvSK_
	.p2align	8
	.type	_ZN7rocprim17ROCPRIM_400000_NS6detail17trampoline_kernelINS0_14default_configENS1_36segmented_radix_sort_config_selectorIalEEZNS1_25segmented_radix_sort_implIS3_Lb1EPKaPaPKlPlN2at6native12_GLOBAL__N_18offset_tEEE10hipError_tPvRmT1_PNSt15iterator_traitsISK_E10value_typeET2_T3_PNSL_ISQ_E10value_typeET4_jRbjT5_SW_jjP12ihipStream_tbEUlT_E2_NS1_11comp_targetILNS1_3genE2ELNS1_11target_archE906ELNS1_3gpuE6ELNS1_3repE0EEENS1_30default_config_static_selectorELNS0_4arch9wavefront6targetE1EEEvSK_,@function
_ZN7rocprim17ROCPRIM_400000_NS6detail17trampoline_kernelINS0_14default_configENS1_36segmented_radix_sort_config_selectorIalEEZNS1_25segmented_radix_sort_implIS3_Lb1EPKaPaPKlPlN2at6native12_GLOBAL__N_18offset_tEEE10hipError_tPvRmT1_PNSt15iterator_traitsISK_E10value_typeET2_T3_PNSL_ISQ_E10value_typeET4_jRbjT5_SW_jjP12ihipStream_tbEUlT_E2_NS1_11comp_targetILNS1_3genE2ELNS1_11target_archE906ELNS1_3gpuE6ELNS1_3repE0EEENS1_30default_config_static_selectorELNS0_4arch9wavefront6targetE1EEEvSK_: ; @_ZN7rocprim17ROCPRIM_400000_NS6detail17trampoline_kernelINS0_14default_configENS1_36segmented_radix_sort_config_selectorIalEEZNS1_25segmented_radix_sort_implIS3_Lb1EPKaPaPKlPlN2at6native12_GLOBAL__N_18offset_tEEE10hipError_tPvRmT1_PNSt15iterator_traitsISK_E10value_typeET2_T3_PNSL_ISQ_E10value_typeET4_jRbjT5_SW_jjP12ihipStream_tbEUlT_E2_NS1_11comp_targetILNS1_3genE2ELNS1_11target_archE906ELNS1_3gpuE6ELNS1_3repE0EEENS1_30default_config_static_selectorELNS0_4arch9wavefront6targetE1EEEvSK_
; %bb.0:
	s_add_u32 s0, s0, s8
	s_load_dwordx4 s[8:11], s[4:5], 0x34
	s_addc_u32 s1, s1, 0
	s_mov_b32 s32, 0
	s_waitcnt lgkmcnt(0)
	s_add_i32 s49, s9, s6
	s_add_i32 s76, s11, s6
	s_mul_i32 s49, s49, s8
	s_mul_i32 s76, s76, s10
	s_cmp_le_u32 s76, s49
	s_cbranch_scc1 .LBB324_422
; %bb.1:
	s_mov_b32 s48, s6
	s_load_dword s6, s[4:5], 0x30
	s_load_dwordx4 s[52:55], s[4:5], 0x20
	s_load_dwordx4 s[72:75], s[4:5], 0x44
	s_load_dwordx8 s[64:71], s[4:5], 0x0
	s_mov_b32 s33, s7
	s_waitcnt lgkmcnt(0)
	s_bitcmp1_b32 s6, 0
	s_cselect_b64 s[50:51], -1, 0
	s_sub_i32 s75, s76, s49
	s_cmpk_lt_u32 s75, 0x401
	s_mov_b64 s[6:7], -1
	s_cbranch_scc0 .LBB324_15
; %bb.2:
	s_cmp_lt_u32 s75, 33
	s_cbranch_scc0 .LBB324_9
; %bb.3:
	s_load_dword s6, s[4:5], 0x5c
	s_waitcnt lgkmcnt(0)
	s_lshr_b32 s7, s6, 16
	s_and_b32 s6, s6, 0xffff
	v_mad_u32_u24 v3, v2, s7, v1
	v_mad_u64_u32 v[3:4], s[6:7], v3, s6, v[0:1]
	v_cmp_gt_u32_e32 vcc, 8, v3
	s_and_saveexec_b64 s[34:35], vcc
	s_cbranch_execz .LBB324_8
; %bb.4:
	s_and_b32 s6, s72, 1
	v_cndmask_b32_e64 v3, 0, 1, s[50:51]
	v_cmp_ne_u32_e32 vcc, s6, v3
	s_mov_b64 s[6:7], -1
	s_cbranch_vccnz .LBB324_6
; %bb.5:
	s_add_u32 s8, s4, 0x50
	s_mov_b64 s[6:7], src_shared_base
	s_addc_u32 s9, s5, 0
	v_lshlrev_b32_e32 v3, 20, v2
	v_lshlrev_b32_e32 v4, 10, v1
	s_getpc_b64 s[10:11]
	s_add_u32 s10, s10, _ZN7rocprim17ROCPRIM_400000_NS6detail26segmented_warp_sort_helperINS1_20WarpSortHelperConfigILj8ELj4ELj256EEEalLi256ELb1EvE4sortIPKaPaPKlPlEEvT_T0_T1_T2_jjjjRNS5_12storage_typeE@rel32@lo+4
	s_addc_u32 s11, s11, _ZN7rocprim17ROCPRIM_400000_NS6detail26segmented_warp_sort_helperINS1_20WarpSortHelperConfigILj8ELj4ELj256EEEalLi256ELb1EvE4sortIPKaPaPKlPlEEvT_T0_T1_T2_jjjjRNS5_12storage_typeE@rel32@hi+12
	v_or3_b32 v31, v0, v4, v3
	s_mov_b32 s12, s48
	s_mov_b32 s13, s33
	v_mov_b32_e32 v40, v0
	v_mov_b32_e32 v0, s64
	;; [unrolled: 1-line block ×17, first 2 shown]
	s_mov_b64 s[36:37], s[4:5]
	s_swappc_b64 s[30:31], s[10:11]
	v_mov_b32_e32 v1, v41
	v_mov_b32_e32 v2, v42
	;; [unrolled: 1-line block ×3, first 2 shown]
	s_mov_b64 s[4:5], s[36:37]
	s_mov_b64 s[6:7], 0
.LBB324_6:
	s_andn2_b64 vcc, exec, s[6:7]
	s_cbranch_vccnz .LBB324_8
; %bb.7:
	s_add_u32 s8, s4, 0x50
	s_mov_b64 s[6:7], src_shared_base
	s_addc_u32 s9, s5, 0
	v_lshlrev_b32_e32 v3, 20, v2
	v_lshlrev_b32_e32 v4, 10, v1
	s_getpc_b64 s[10:11]
	s_add_u32 s10, s10, _ZN7rocprim17ROCPRIM_400000_NS6detail26segmented_warp_sort_helperINS1_20WarpSortHelperConfigILj8ELj4ELj256EEEalLi256ELb1EvE4sortIPKaPaPKlPlEEvT_T0_T1_T2_jjjjRNS5_12storage_typeE@rel32@lo+4
	s_addc_u32 s11, s11, _ZN7rocprim17ROCPRIM_400000_NS6detail26segmented_warp_sort_helperINS1_20WarpSortHelperConfigILj8ELj4ELj256EEEalLi256ELb1EvE4sortIPKaPaPKlPlEEvT_T0_T1_T2_jjjjRNS5_12storage_typeE@rel32@hi+12
	v_or3_b32 v31, v0, v4, v3
	s_mov_b32 s12, s48
	s_mov_b32 s13, s33
	v_mov_b32_e32 v40, v0
	v_mov_b32_e32 v0, s64
	;; [unrolled: 1-line block ×17, first 2 shown]
	s_mov_b64 s[36:37], s[4:5]
	s_swappc_b64 s[30:31], s[10:11]
	v_mov_b32_e32 v1, v41
	v_mov_b32_e32 v2, v42
	;; [unrolled: 1-line block ×3, first 2 shown]
	s_mov_b64 s[4:5], s[36:37]
.LBB324_8:
	s_or_b64 exec, exec, s[34:35]
	s_mov_b64 s[6:7], 0
.LBB324_9:
	s_andn2_b64 vcc, exec, s[6:7]
	s_cbranch_vccnz .LBB324_14
; %bb.10:
	s_and_b32 s6, s72, 1
	v_cndmask_b32_e64 v3, 0, 1, s[50:51]
	v_cmp_ne_u32_e32 vcc, s6, v3
	s_mov_b64 s[6:7], -1
	v_lshlrev_b32_e32 v41, 20, v2
	v_lshlrev_b32_e32 v42, 10, v1
	s_cbranch_vccnz .LBB324_12
; %bb.11:
	s_add_u32 s8, s4, 0x50
	s_mov_b64 s[6:7], src_shared_base
	s_addc_u32 s9, s5, 0
	s_getpc_b64 s[10:11]
	s_add_u32 s10, s10, _ZN7rocprim17ROCPRIM_400000_NS6detail40segmented_radix_sort_single_block_helperIalLj256ELj4ELb1EE4sortIPKaPaPKlPlEEbT_T0_T1_T2_jjjjRNS3_12storage_typeE@rel32@lo+4
	s_addc_u32 s11, s11, _ZN7rocprim17ROCPRIM_400000_NS6detail40segmented_radix_sort_single_block_helperIalLj256ELj4ELb1EE4sortIPKaPaPKlPlEEbT_T0_T1_T2_jjjjRNS3_12storage_typeE@rel32@hi+12
	v_or3_b32 v31, v0, v42, v41
	s_mov_b32 s12, s48
	s_mov_b32 s13, s33
	v_mov_b32_e32 v40, v0
	v_mov_b32_e32 v0, s64
	;; [unrolled: 1-line block ×17, first 2 shown]
	s_mov_b64 s[34:35], s[4:5]
	s_swappc_b64 s[30:31], s[10:11]
	v_mov_b32_e32 v1, v43
	v_mov_b32_e32 v2, v44
	;; [unrolled: 1-line block ×3, first 2 shown]
	s_mov_b64 s[4:5], s[34:35]
	s_mov_b64 s[6:7], 0
.LBB324_12:
	s_andn2_b64 vcc, exec, s[6:7]
	s_cbranch_vccnz .LBB324_14
; %bb.13:
	s_add_u32 s8, s4, 0x50
	s_mov_b64 s[6:7], src_shared_base
	s_addc_u32 s9, s5, 0
	s_getpc_b64 s[10:11]
	s_add_u32 s10, s10, _ZN7rocprim17ROCPRIM_400000_NS6detail40segmented_radix_sort_single_block_helperIalLj256ELj4ELb1EE4sortIPKaPaPKlPlEEbT_T0_T1_T2_jjjjRNS3_12storage_typeE@rel32@lo+4
	s_addc_u32 s11, s11, _ZN7rocprim17ROCPRIM_400000_NS6detail40segmented_radix_sort_single_block_helperIalLj256ELj4ELb1EE4sortIPKaPaPKlPlEEbT_T0_T1_T2_jjjjRNS3_12storage_typeE@rel32@hi+12
	v_or3_b32 v31, v0, v42, v41
	s_mov_b32 s12, s48
	s_mov_b32 s13, s33
	v_mov_b32_e32 v40, v0
	v_mov_b32_e32 v0, s64
	;; [unrolled: 1-line block ×17, first 2 shown]
	s_mov_b64 s[34:35], s[4:5]
	s_swappc_b64 s[30:31], s[10:11]
	v_mov_b32_e32 v1, v41
	v_mov_b32_e32 v2, v42
	;; [unrolled: 1-line block ×3, first 2 shown]
	s_mov_b64 s[4:5], s[34:35]
.LBB324_14:
	s_mov_b64 s[6:7], 0
.LBB324_15:
	s_andn2_b64 vcc, exec, s[6:7]
	s_cbranch_vccnz .LBB324_422
; %bb.16:
	s_cmp_ge_u32 s73, s74
	s_cbranch_scc1 .LBB324_422
; %bb.17:
	v_and_b32_e32 v3, 3, v0
	s_movk_i32 s6, 0x100
	v_lshlrev_b32_e32 v24, 2, v3
	v_or_b32_e32 v3, 63, v0
	v_lshlrev_b32_e32 v18, 2, v0
	v_mov_b32_e32 v4, s69
	v_add_co_u32_e32 v22, vcc, s68, v0
	s_mov_b64 s[12:13], s[4:5]
	v_cmp_gt_u32_e64 s[4:5], s6, v0
	v_cmp_eq_u32_e64 s[6:7], v0, v3
	v_lshrrev_b32_e32 v3, 4, v0
	v_addc_co_u32_e32 v23, vcc, 0, v4, vcc
	v_and_b32_e32 v26, 12, v3
	v_and_b32_e32 v3, 0x300, v18
	v_lshlrev_b32_e32 v4, 4, v0
	v_sub_u32_e32 v28, 0, v4
	v_lshlrev_b32_e32 v4, 3, v3
	v_mov_b32_e32 v5, s55
	v_add_co_u32_e32 v29, vcc, s54, v4
	v_addc_co_u32_e32 v30, vcc, 0, v5, vcc
	v_mov_b32_e32 v5, s69
	v_add_co_u32_e32 v31, vcc, s68, v3
	v_addc_co_u32_e32 v32, vcc, 0, v5, vcc
	;; [unrolled: 3-line block ×8, first 2 shown]
	v_mbcnt_lo_u32_b32 v4, -1, 0
	v_mbcnt_hi_u32_b32 v45, -1, v4
	v_mad_u32_u24 v25, v0, 12, v18
	v_and_b32_e32 v46, 63, v45
	s_add_u32 s44, s12, 0x50
	s_movk_i32 s14, 0xff
	v_or_b32_e32 v47, v46, v3
	v_add_u32_e32 v50, v25, v18
	v_or_b32_e32 v19, 0x100, v0
	v_or_b32_e32 v20, 0x200, v0
	;; [unrolled: 1-line block ×4, first 2 shown]
	v_cmp_gt_u32_e64 s[8:9], 4, v0
	v_cmp_lt_u32_e64 s[10:11], 63, v0
	s_addc_u32 s45, s13, 0
	s_mov_b32 s47, 0
	v_cmp_eq_u32_e64 s[12:13], 0, v0
	v_cmp_ne_u32_e64 s[14:15], s14, v0
	s_mov_b32 s58, s73
	v_or_b32_e32 v48, 0x2400, v18
	v_add_u32_e32 v49, 0x23fc, v26
	v_mul_u32_u24_e32 v51, 7, v0
	v_mov_b32_e32 v52, 1
	v_add_u32_e32 v53, 0x410, v50
	v_add_u32_e32 v54, 0x418, v50
	v_and_b32_e32 v55, 15, v45
	v_bfe_i32 v56, v45, 4, 1
	v_and_b32_e32 v57, 16, v45
	v_and_b32_e32 v58, 3, v45
	;; [unrolled: 1-line block ×3, first 2 shown]
	v_lshlrev_b32_e32 v60, 3, v46
	v_or_b32_e32 v61, 64, v47
	v_or_b32_e32 v62, 0x80, v47
	;; [unrolled: 1-line block ×3, first 2 shown]
	v_mov_b32_e32 v3, 0
	s_branch .LBB324_20
.LBB324_18:                             ;   in Loop: Header=BB324_20 Depth=1
	s_waitcnt lgkmcnt(0)
	s_barrier
.LBB324_19:                             ;   in Loop: Header=BB324_20 Depth=1
	s_add_i32 s58, s58, 8
	s_cmp_ge_u32 s58, s74
	s_cbranch_scc1 .LBB324_422
.LBB324_20:                             ; =>This Loop Header: Depth=1
                                        ;     Child Loop BB324_24 Depth 2
                                        ;     Child Loop BB324_56 Depth 2
	;; [unrolled: 1-line block ×8, first 2 shown]
	s_sub_i32 s16, s74, s58
	s_min_u32 s16, s16, 8
	s_lshl_b32 s16, -1, s16
	s_xor_b64 s[50:51], s[50:51], -1
	s_not_b32 s59, s16
	s_cmp_lg_u32 s58, s73
	s_mov_b64 s[16:17], -1
	ds_write2st64_b32 v18, v3, v3 offset1:4
	ds_write2st64_b32 v18, v3, v3 offset0:8 offset1:12
	s_waitcnt lgkmcnt(0)
	s_cbranch_scc0 .LBB324_222
; %bb.21:                               ;   in Loop: Header=BB324_20 Depth=1
	s_and_b64 vcc, exec, s[50:51]
	s_cbranch_vccz .LBB324_121
; %bb.22:                               ;   in Loop: Header=BB324_20 Depth=1
	v_mov_b32_e32 v4, 0
	s_mov_b32 s18, s75
	s_mov_b32 s20, s49
	v_mov_b32_e32 v7, 0
	v_mov_b32_e32 v6, 0
	;; [unrolled: 1-line block ×3, first 2 shown]
	s_barrier
	s_branch .LBB324_24
.LBB324_23:                             ;   in Loop: Header=BB324_24 Depth=2
	s_or_b64 exec, exec, s[16:17]
	s_addk_i32 s18, 0xfc00
	s_cmp_ge_u32 s19, s76
	s_mov_b32 s20, s19
	s_cbranch_scc1 .LBB324_44
.LBB324_24:                             ;   Parent Loop BB324_20 Depth=1
                                        ; =>  This Inner Loop Header: Depth=2
	s_add_i32 s19, s20, 0x400
	s_cmp_gt_u32 s19, s76
	s_mov_b64 s[16:17], -1
                                        ; implicit-def: $vgpr8
                                        ; implicit-def: $vgpr9
                                        ; implicit-def: $vgpr10
                                        ; implicit-def: $vgpr11
	s_cbranch_scc1 .LBB324_26
; %bb.25:                               ;   in Loop: Header=BB324_24 Depth=2
	v_add_co_u32_e32 v12, vcc, s20, v22
	v_addc_co_u32_e32 v13, vcc, 0, v23, vcc
	global_load_ubyte v11, v[12:13], off offset:768
	global_load_ubyte v10, v[12:13], off offset:512
	;; [unrolled: 1-line block ×3, first 2 shown]
	global_load_ubyte v8, v[12:13], off
	s_mov_b64 s[16:17], 0
.LBB324_26:                             ;   in Loop: Header=BB324_24 Depth=2
	s_andn2_b64 vcc, exec, s[16:17]
	s_movk_i32 s21, 0x400
	s_cbranch_vccnz .LBB324_33
; %bb.27:                               ;   in Loop: Header=BB324_24 Depth=2
	s_add_u32 s20, s68, s20
	s_addc_u32 s21, s69, 0
	v_cmp_gt_u32_e32 vcc, s18, v0
	s_and_saveexec_b64 s[16:17], vcc
	s_cbranch_execnz .LBB324_41
; %bb.28:                               ;   in Loop: Header=BB324_24 Depth=2
	s_or_b64 exec, exec, s[16:17]
	v_cmp_gt_u32_e32 vcc, s18, v19
	s_and_saveexec_b64 s[16:17], vcc
	s_cbranch_execnz .LBB324_42
.LBB324_29:                             ;   in Loop: Header=BB324_24 Depth=2
	s_or_b64 exec, exec, s[16:17]
	v_cmp_gt_u32_e32 vcc, s18, v20
	s_and_saveexec_b64 s[16:17], vcc
	s_cbranch_execnz .LBB324_43
.LBB324_30:                             ;   in Loop: Header=BB324_24 Depth=2
	s_or_b64 exec, exec, s[16:17]
	v_cmp_gt_u32_e32 vcc, s18, v21
	s_and_saveexec_b64 s[16:17], vcc
	s_cbranch_execz .LBB324_32
.LBB324_31:                             ;   in Loop: Header=BB324_24 Depth=2
	v_mov_b32_e32 v5, s21
	s_waitcnt vmcnt(0)
	v_add_co_u32_e32 v8, vcc, s20, v0
	v_addc_co_u32_e32 v9, vcc, 0, v5, vcc
	global_load_ubyte v5, v[8:9], off offset:768
.LBB324_32:                             ;   in Loop: Header=BB324_24 Depth=2
	s_or_b64 exec, exec, s[16:17]
	s_mov_b32 s21, s18
	s_waitcnt vmcnt(0)
	v_mov_b32_e32 v8, v4
	v_mov_b32_e32 v9, v7
	;; [unrolled: 1-line block ×4, first 2 shown]
.LBB324_33:                             ;   in Loop: Header=BB324_24 Depth=2
	s_waitcnt vmcnt(3)
	v_mov_b32_e32 v5, v11
	s_waitcnt vmcnt(2)
	v_mov_b32_e32 v6, v10
	s_waitcnt vmcnt(1)
	v_mov_b32_e32 v7, v9
	s_waitcnt vmcnt(0)
	v_mov_b32_e32 v4, v8
	v_cmp_gt_u32_e32 vcc, s21, v0
	s_and_saveexec_b64 s[16:17], vcc
	s_cbranch_execnz .LBB324_37
; %bb.34:                               ;   in Loop: Header=BB324_24 Depth=2
	s_or_b64 exec, exec, s[16:17]
	v_cmp_gt_u32_e32 vcc, s21, v19
	s_and_saveexec_b64 s[16:17], vcc
	s_cbranch_execnz .LBB324_38
.LBB324_35:                             ;   in Loop: Header=BB324_24 Depth=2
	s_or_b64 exec, exec, s[16:17]
	v_cmp_gt_u32_e32 vcc, s21, v20
	s_and_saveexec_b64 s[16:17], vcc
	s_cbranch_execnz .LBB324_39
.LBB324_36:                             ;   in Loop: Header=BB324_24 Depth=2
	s_or_b64 exec, exec, s[16:17]
	v_cmp_gt_u32_e32 vcc, s21, v21
	s_and_saveexec_b64 s[16:17], vcc
	s_cbranch_execz .LBB324_23
	s_branch .LBB324_40
.LBB324_37:                             ;   in Loop: Header=BB324_24 Depth=2
	v_xor_b32_e32 v8, 0x7f, v4
	v_lshrrev_b32_sdwa v8, s58, v8 dst_sel:DWORD dst_unused:UNUSED_PAD src0_sel:DWORD src1_sel:BYTE_0
	v_and_b32_e32 v8, s59, v8
	v_lshl_or_b32 v8, v8, 4, v24
	ds_add_u32 v8, v52
	s_or_b64 exec, exec, s[16:17]
	v_cmp_gt_u32_e32 vcc, s21, v19
	s_and_saveexec_b64 s[16:17], vcc
	s_cbranch_execz .LBB324_35
.LBB324_38:                             ;   in Loop: Header=BB324_24 Depth=2
	v_xor_b32_e32 v8, 0x7f, v7
	v_lshrrev_b32_sdwa v8, s58, v8 dst_sel:DWORD dst_unused:UNUSED_PAD src0_sel:DWORD src1_sel:BYTE_0
	v_and_b32_e32 v8, s59, v8
	v_lshl_or_b32 v8, v8, 4, v24
	ds_add_u32 v8, v52
	s_or_b64 exec, exec, s[16:17]
	v_cmp_gt_u32_e32 vcc, s21, v20
	s_and_saveexec_b64 s[16:17], vcc
	s_cbranch_execz .LBB324_36
.LBB324_39:                             ;   in Loop: Header=BB324_24 Depth=2
	v_xor_b32_e32 v8, 0x7f, v6
	v_lshrrev_b32_sdwa v8, s58, v8 dst_sel:DWORD dst_unused:UNUSED_PAD src0_sel:DWORD src1_sel:BYTE_0
	v_and_b32_e32 v8, s59, v8
	v_lshl_or_b32 v8, v8, 4, v24
	ds_add_u32 v8, v52
	s_or_b64 exec, exec, s[16:17]
	v_cmp_gt_u32_e32 vcc, s21, v21
	s_and_saveexec_b64 s[16:17], vcc
	s_cbranch_execz .LBB324_23
.LBB324_40:                             ;   in Loop: Header=BB324_24 Depth=2
	v_xor_b32_e32 v8, 0x7f, v5
	v_lshrrev_b32_sdwa v8, s58, v8 dst_sel:DWORD dst_unused:UNUSED_PAD src0_sel:DWORD src1_sel:BYTE_0
	v_and_b32_e32 v8, s59, v8
	v_lshl_or_b32 v8, v8, 4, v24
	ds_add_u32 v8, v52
	s_branch .LBB324_23
.LBB324_41:                             ;   in Loop: Header=BB324_24 Depth=2
	v_mov_b32_e32 v4, s21
	s_waitcnt vmcnt(0)
	v_add_co_u32_e32 v8, vcc, s20, v0
	v_addc_co_u32_e32 v9, vcc, 0, v4, vcc
	global_load_ubyte v4, v[8:9], off
	s_or_b64 exec, exec, s[16:17]
	v_cmp_gt_u32_e32 vcc, s18, v19
	s_and_saveexec_b64 s[16:17], vcc
	s_cbranch_execz .LBB324_29
.LBB324_42:                             ;   in Loop: Header=BB324_24 Depth=2
	s_waitcnt vmcnt(0)
	v_mov_b32_e32 v8, s21
	v_add_co_u32_e32 v7, vcc, s20, v0
	v_addc_co_u32_e32 v8, vcc, 0, v8, vcc
	global_load_ubyte v7, v[7:8], off offset:256
	s_or_b64 exec, exec, s[16:17]
	v_cmp_gt_u32_e32 vcc, s18, v20
	s_and_saveexec_b64 s[16:17], vcc
	s_cbranch_execz .LBB324_30
.LBB324_43:                             ;   in Loop: Header=BB324_24 Depth=2
	v_mov_b32_e32 v6, s21
	s_waitcnt vmcnt(0)
	v_add_co_u32_e32 v8, vcc, s20, v0
	v_addc_co_u32_e32 v9, vcc, 0, v6, vcc
	global_load_ubyte v6, v[8:9], off offset:512
	s_or_b64 exec, exec, s[16:17]
	v_cmp_gt_u32_e32 vcc, s18, v21
	s_and_saveexec_b64 s[16:17], vcc
	s_cbranch_execnz .LBB324_31
	s_branch .LBB324_32
.LBB324_44:                             ;   in Loop: Header=BB324_20 Depth=1
	v_mov_b32_e32 v4, 0
	s_waitcnt lgkmcnt(0)
	s_barrier
	s_and_saveexec_b64 s[16:17], s[4:5]
	s_cbranch_execz .LBB324_46
; %bb.45:                               ;   in Loop: Header=BB324_20 Depth=1
	ds_read2_b64 v[4:7], v25 offset1:1
	s_waitcnt lgkmcnt(0)
	v_add_u32_e32 v4, v5, v4
	v_add3_u32 v4, v4, v6, v7
.LBB324_46:                             ;   in Loop: Header=BB324_20 Depth=1
	s_or_b64 exec, exec, s[16:17]
	s_nop 0
	v_mov_b32_dpp v5, v4 row_shr:1 row_mask:0xf bank_mask:0xf
	v_cmp_eq_u32_e64 s[16:17], 0, v55
	v_cndmask_b32_e64 v5, v5, 0, s[16:17]
	v_add_u32_e32 v4, v5, v4
	v_cmp_lt_u32_e64 s[18:19], 1, v55
	v_cmp_lt_u32_e64 s[20:21], 3, v55
	v_mov_b32_dpp v5, v4 row_shr:2 row_mask:0xf bank_mask:0xf
	v_cndmask_b32_e64 v5, 0, v5, s[18:19]
	v_add_u32_e32 v4, v4, v5
	v_cmp_lt_u32_e64 s[22:23], 7, v55
	v_cmp_lt_u32_e64 s[26:27], 31, v45
	v_mov_b32_dpp v5, v4 row_shr:4 row_mask:0xf bank_mask:0xf
	v_cndmask_b32_e64 v5, 0, v5, s[20:21]
	v_add_u32_e32 v4, v4, v5
	v_cmp_eq_u32_e64 s[24:25], 0, v57
	s_nop 0
	v_mov_b32_dpp v5, v4 row_shr:8 row_mask:0xf bank_mask:0xf
	v_cndmask_b32_e64 v5, 0, v5, s[22:23]
	v_add_u32_e32 v4, v4, v5
	s_nop 1
	v_mov_b32_dpp v5, v4 row_bcast:15 row_mask:0xf bank_mask:0xf
	v_and_b32_e32 v5, v56, v5
	v_add_u32_e32 v4, v4, v5
	s_nop 1
	v_mov_b32_dpp v5, v4 row_bcast:31 row_mask:0xf bank_mask:0xf
	v_cndmask_b32_e64 v5, 0, v5, s[26:27]
	v_add_u32_e32 v4, v4, v5
	s_and_saveexec_b64 s[28:29], s[6:7]
; %bb.47:                               ;   in Loop: Header=BB324_20 Depth=1
	ds_write_b32 v27, v4
; %bb.48:                               ;   in Loop: Header=BB324_20 Depth=1
	s_or_b64 exec, exec, s[28:29]
	s_waitcnt lgkmcnt(0)
	s_barrier
	s_and_saveexec_b64 s[28:29], s[8:9]
	s_cbranch_execz .LBB324_50
; %bb.49:                               ;   in Loop: Header=BB324_20 Depth=1
	ds_read_b32 v5, v48
	v_cmp_ne_u32_e32 vcc, 0, v58
	s_waitcnt lgkmcnt(0)
	v_mov_b32_dpp v6, v5 row_shr:1 row_mask:0xf bank_mask:0xf
	v_cndmask_b32_e32 v6, 0, v6, vcc
	v_add_u32_e32 v5, v6, v5
	v_cmp_lt_u32_e32 vcc, 1, v58
	s_nop 0
	v_mov_b32_dpp v6, v5 row_shr:2 row_mask:0xf bank_mask:0xf
	v_cndmask_b32_e32 v6, 0, v6, vcc
	v_add_u32_e32 v5, v5, v6
	ds_write_b32 v48, v5
.LBB324_50:                             ;   in Loop: Header=BB324_20 Depth=1
	s_or_b64 exec, exec, s[28:29]
	v_mov_b32_e32 v5, 0
	s_waitcnt lgkmcnt(0)
	s_barrier
	s_and_saveexec_b64 s[28:29], s[10:11]
; %bb.51:                               ;   in Loop: Header=BB324_20 Depth=1
	ds_read_b32 v5, v49
; %bb.52:                               ;   in Loop: Header=BB324_20 Depth=1
	s_or_b64 exec, exec, s[28:29]
	v_subrev_co_u32_e64 v6, s[28:29], 1, v45
	v_cmp_lt_i32_e32 vcc, v6, v59
	v_cndmask_b32_e32 v6, v6, v45, vcc
	s_waitcnt lgkmcnt(0)
	v_add_u32_e32 v4, v5, v4
	v_lshlrev_b32_e32 v64, 2, v6
	ds_bpermute_b32 v4, v64, v4
	s_waitcnt lgkmcnt(0)
	s_barrier
	s_and_saveexec_b64 s[30:31], s[4:5]
; %bb.53:                               ;   in Loop: Header=BB324_20 Depth=1
	v_cndmask_b32_e64 v4, v4, v5, s[28:29]
	v_add_u32_e32 v4, s49, v4
	ds_write_b32 v18, v4
; %bb.54:                               ;   in Loop: Header=BB324_20 Depth=1
	s_or_b64 exec, exec, s[30:31]
	s_load_dword s30, s[44:45], 0x4
	s_load_dword s36, s[44:45], 0xc
	v_add_co_u32_e32 v65, vcc, v29, v60
	v_addc_co_u32_e32 v66, vcc, 0, v30, vcc
	s_waitcnt lgkmcnt(0)
	s_cmp_lt_u32 s33, s30
	s_cselect_b32 s30, 14, 20
	s_add_u32 s30, s44, s30
	s_addc_u32 s31, s45, 0
	global_load_ushort v4, v3, s[30:31]
	s_and_b32 s36, s36, 0xffff
	v_add_co_u32_e32 v67, vcc, v31, v46
	v_cmp_eq_u32_e64 s[30:31], 0, v58
	v_cmp_lt_u32_e64 s[34:35], 1, v58
	v_addc_co_u32_e32 v68, vcc, 0, v32, vcc
	s_mov_b32 s60, s75
	s_mov_b32 s46, s49
                                        ; implicit-def: $vgpr7_vgpr8
                                        ; implicit-def: $vgpr9_vgpr10
                                        ; implicit-def: $vgpr11_vgpr12
                                        ; implicit-def: $vgpr69
                                        ; implicit-def: $vgpr70
                                        ; implicit-def: $vgpr72
                                        ; implicit-def: $vgpr73
	s_waitcnt vmcnt(0)
	v_mad_u32_u24 v4, v2, v4, v1
	v_mad_u64_u32 v[4:5], s[36:37], v4, s36, v[0:1]
                                        ; implicit-def: $vgpr5_vgpr6
	v_lshrrev_b32_e32 v4, 4, v4
	v_and_b32_e32 v71, 0xffffffc, v4
	s_branch .LBB324_56
.LBB324_55:                             ;   in Loop: Header=BB324_56 Depth=2
	s_or_b64 exec, exec, s[36:37]
	s_addk_i32 s60, 0xfc00
	s_cmp_lt_u32 s61, s76
	s_mov_b32 s46, s61
	s_cbranch_scc0 .LBB324_120
.LBB324_56:                             ;   Parent Loop BB324_20 Depth=1
                                        ; =>  This Inner Loop Header: Depth=2
	s_add_i32 s61, s46, 0x400
	s_cmp_gt_u32 s61, s76
	s_cbranch_scc1 .LBB324_58
; %bb.57:                               ;   in Loop: Header=BB324_56 Depth=2
	v_add_co_u32_e32 v13, vcc, s46, v67
	v_addc_co_u32_e32 v14, vcc, 0, v68, vcc
	global_load_ubyte v16, v[13:14], off offset:128
	global_load_ubyte v76, v[13:14], off offset:64
	global_load_ubyte v4, v[13:14], off
	s_mov_b64 s[36:37], -1
	s_movk_i32 s40, 0x400
                                        ; implicit-def: $vgpr15
	s_cbranch_execz .LBB324_59
	s_branch .LBB324_64
.LBB324_58:                             ;   in Loop: Header=BB324_56 Depth=2
	s_mov_b64 s[36:37], 0
                                        ; implicit-def: $vgpr4
                                        ; implicit-def: $vgpr76
                                        ; implicit-def: $vgpr16
	s_movk_i32 s40, 0x400
                                        ; implicit-def: $vgpr15
.LBB324_59:                             ;   in Loop: Header=BB324_56 Depth=2
	v_add_co_u32_e32 v13, vcc, s46, v67
	v_addc_co_u32_e32 v14, vcc, 0, v68, vcc
	v_cmp_gt_u32_e32 vcc, s60, v47
	v_mov_b32_e32 v15, 0x80
	s_waitcnt vmcnt(0)
	v_mov_b32_e32 v4, 0x80
	v_mov_b32_e32 v76, 0x80
	v_mov_b32_e32 v16, 0x80
	s_and_saveexec_b64 s[36:37], vcc
	s_cbranch_execnz .LBB324_118
; %bb.60:                               ;   in Loop: Header=BB324_56 Depth=2
	s_or_b64 exec, exec, s[36:37]
	v_cmp_gt_u32_e32 vcc, s60, v61
	s_and_saveexec_b64 s[36:37], vcc
	s_cbranch_execnz .LBB324_119
.LBB324_61:                             ;   in Loop: Header=BB324_56 Depth=2
	s_or_b64 exec, exec, s[36:37]
	v_cmp_gt_u32_e32 vcc, s60, v62
	s_and_saveexec_b64 s[36:37], vcc
	s_cbranch_execz .LBB324_63
.LBB324_62:                             ;   in Loop: Header=BB324_56 Depth=2
	global_load_ubyte v16, v[13:14], off offset:128
.LBB324_63:                             ;   in Loop: Header=BB324_56 Depth=2
	s_or_b64 exec, exec, s[36:37]
	s_sub_i32 s40, s76, s46
	v_cmp_gt_u32_e64 s[36:37], s60, v63
.LBB324_64:                             ;   in Loop: Header=BB324_56 Depth=2
	v_mov_b32_e32 v74, s60
	s_and_saveexec_b64 s[38:39], s[36:37]
	s_cbranch_execz .LBB324_66
; %bb.65:                               ;   in Loop: Header=BB324_56 Depth=2
	v_mov_b32_e32 v14, s47
	v_add_co_u32_e32 v13, vcc, s46, v67
	v_addc_co_u32_e32 v14, vcc, v68, v14, vcc
	global_load_ubyte v15, v[13:14], off offset:192
	v_mov_b32_e32 v74, s40
.LBB324_66:                             ;   in Loop: Header=BB324_56 Depth=2
	s_or_b64 exec, exec, s[38:39]
	s_waitcnt vmcnt(0)
	v_xor_b32_e32 v17, 0x7f, v4
	v_lshrrev_b32_sdwa v4, s58, v17 dst_sel:DWORD dst_unused:UNUSED_PAD src0_sel:DWORD src1_sel:BYTE_0
	v_and_b32_e32 v13, s59, v4
	v_and_b32_e32 v4, 1, v13
	v_add_co_u32_e32 v14, vcc, -1, v4
	v_addc_co_u32_e64 v75, s[36:37], 0, -1, vcc
	v_cmp_ne_u32_e32 vcc, 0, v4
	v_xor_b32_e32 v4, vcc_hi, v75
	v_and_b32_e32 v75, exec_hi, v4
	v_lshlrev_b32_e32 v4, 30, v13
	v_xor_b32_e32 v14, vcc_lo, v14
	v_cmp_gt_i64_e32 vcc, 0, v[3:4]
	v_not_b32_e32 v4, v4
	v_ashrrev_i32_e32 v4, 31, v4
	v_and_b32_e32 v14, exec_lo, v14
	v_xor_b32_e32 v78, vcc_hi, v4
	v_xor_b32_e32 v4, vcc_lo, v4
	v_and_b32_e32 v14, v14, v4
	v_lshlrev_b32_e32 v4, 29, v13
	v_cmp_gt_i64_e32 vcc, 0, v[3:4]
	v_not_b32_e32 v4, v4
	v_ashrrev_i32_e32 v4, 31, v4
	v_and_b32_e32 v75, v75, v78
	v_xor_b32_e32 v78, vcc_hi, v4
	v_xor_b32_e32 v4, vcc_lo, v4
	v_and_b32_e32 v14, v14, v4
	v_lshlrev_b32_e32 v4, 28, v13
	v_cmp_gt_i64_e32 vcc, 0, v[3:4]
	v_not_b32_e32 v4, v4
	v_ashrrev_i32_e32 v4, 31, v4
	v_and_b32_e32 v75, v75, v78
	;; [unrolled: 8-line block ×5, first 2 shown]
	v_xor_b32_e32 v78, vcc_hi, v4
	v_xor_b32_e32 v4, vcc_lo, v4
	v_and_b32_e32 v75, v75, v78
	v_and_b32_e32 v78, v14, v4
	v_lshlrev_b32_e32 v4, 24, v13
	v_cmp_gt_i64_e32 vcc, 0, v[3:4]
	v_not_b32_e32 v4, v4
	v_ashrrev_i32_e32 v4, 31, v4
	v_mul_u32_u24_e32 v77, 20, v13
	v_xor_b32_e32 v13, vcc_hi, v4
	v_xor_b32_e32 v4, vcc_lo, v4
	v_and_b32_e32 v14, v75, v13
	v_and_b32_e32 v13, v78, v4
	v_mbcnt_lo_u32_b32 v4, v13, 0
	v_mbcnt_hi_u32_b32 v75, v14, v4
	v_cmp_ne_u64_e32 vcc, 0, v[13:14]
	v_cmp_eq_u32_e64 s[36:37], 0, v75
	s_and_b64 s[38:39], vcc, s[36:37]
	v_add_u32_e32 v78, v71, v77
	ds_write2_b32 v53, v3, v3 offset1:1
	ds_write2_b32 v54, v3, v3 offset1:1
	ds_write_b32 v50, v3 offset:1056
	s_waitcnt lgkmcnt(0)
	s_barrier
	; wave barrier
	s_and_saveexec_b64 s[36:37], s[38:39]
; %bb.67:                               ;   in Loop: Header=BB324_56 Depth=2
	v_bcnt_u32_b32 v4, v13, 0
	v_bcnt_u32_b32 v4, v14, v4
	ds_write_b32 v78, v4 offset:1040
; %bb.68:                               ;   in Loop: Header=BB324_56 Depth=2
	s_or_b64 exec, exec, s[36:37]
	v_xor_b32_e32 v76, 0x7f, v76
	v_lshrrev_b32_sdwa v4, s58, v76 dst_sel:DWORD dst_unused:UNUSED_PAD src0_sel:DWORD src1_sel:BYTE_0
	v_and_b32_e32 v13, s59, v4
	v_mad_u32_u24 v4, v13, 20, v71
	; wave barrier
	ds_read_b32 v77, v4 offset:1040
	v_and_b32_e32 v4, 1, v13
	v_add_co_u32_e32 v14, vcc, -1, v4
	v_addc_co_u32_e64 v79, s[36:37], 0, -1, vcc
	v_cmp_ne_u32_e32 vcc, 0, v4
	v_xor_b32_e32 v4, vcc_hi, v79
	v_and_b32_e32 v79, exec_hi, v4
	v_lshlrev_b32_e32 v4, 30, v13
	v_xor_b32_e32 v14, vcc_lo, v14
	v_cmp_gt_i64_e32 vcc, 0, v[3:4]
	v_not_b32_e32 v4, v4
	v_ashrrev_i32_e32 v4, 31, v4
	v_and_b32_e32 v14, exec_lo, v14
	v_xor_b32_e32 v81, vcc_hi, v4
	v_xor_b32_e32 v4, vcc_lo, v4
	v_and_b32_e32 v14, v14, v4
	v_lshlrev_b32_e32 v4, 29, v13
	v_cmp_gt_i64_e32 vcc, 0, v[3:4]
	v_not_b32_e32 v4, v4
	v_ashrrev_i32_e32 v4, 31, v4
	v_and_b32_e32 v79, v79, v81
	v_xor_b32_e32 v81, vcc_hi, v4
	v_xor_b32_e32 v4, vcc_lo, v4
	v_and_b32_e32 v14, v14, v4
	v_lshlrev_b32_e32 v4, 28, v13
	v_cmp_gt_i64_e32 vcc, 0, v[3:4]
	v_not_b32_e32 v4, v4
	v_ashrrev_i32_e32 v4, 31, v4
	v_and_b32_e32 v79, v79, v81
	;; [unrolled: 8-line block ×5, first 2 shown]
	v_xor_b32_e32 v81, vcc_hi, v4
	v_xor_b32_e32 v4, vcc_lo, v4
	v_and_b32_e32 v79, v79, v81
	v_and_b32_e32 v81, v14, v4
	v_lshlrev_b32_e32 v4, 24, v13
	v_cmp_gt_i64_e32 vcc, 0, v[3:4]
	v_not_b32_e32 v4, v4
	v_ashrrev_i32_e32 v4, 31, v4
	v_mul_u32_u24_e32 v80, 20, v13
	v_xor_b32_e32 v13, vcc_hi, v4
	v_xor_b32_e32 v4, vcc_lo, v4
	v_and_b32_e32 v14, v79, v13
	v_and_b32_e32 v13, v81, v4
	v_mbcnt_lo_u32_b32 v4, v13, 0
	v_mbcnt_hi_u32_b32 v79, v14, v4
	v_cmp_ne_u64_e32 vcc, 0, v[13:14]
	v_cmp_eq_u32_e64 s[36:37], 0, v79
	s_and_b64 s[38:39], vcc, s[36:37]
	v_add_u32_e32 v82, v71, v80
	; wave barrier
	s_and_saveexec_b64 s[36:37], s[38:39]
	s_cbranch_execz .LBB324_70
; %bb.69:                               ;   in Loop: Header=BB324_56 Depth=2
	v_bcnt_u32_b32 v4, v13, 0
	v_bcnt_u32_b32 v4, v14, v4
	s_waitcnt lgkmcnt(0)
	v_add_u32_e32 v4, v77, v4
	ds_write_b32 v82, v4 offset:1040
.LBB324_70:                             ;   in Loop: Header=BB324_56 Depth=2
	s_or_b64 exec, exec, s[36:37]
	v_xor_b32_e32 v80, 0x7f, v16
	v_lshrrev_b32_sdwa v4, s58, v80 dst_sel:DWORD dst_unused:UNUSED_PAD src0_sel:DWORD src1_sel:BYTE_0
	v_and_b32_e32 v13, s59, v4
	v_mad_u32_u24 v4, v13, 20, v71
	; wave barrier
	ds_read_b32 v81, v4 offset:1040
	v_and_b32_e32 v4, 1, v13
	v_add_co_u32_e32 v14, vcc, -1, v4
	v_addc_co_u32_e64 v83, s[36:37], 0, -1, vcc
	v_cmp_ne_u32_e32 vcc, 0, v4
	v_xor_b32_e32 v4, vcc_hi, v83
	v_and_b32_e32 v83, exec_hi, v4
	v_lshlrev_b32_e32 v4, 30, v13
	v_xor_b32_e32 v14, vcc_lo, v14
	v_cmp_gt_i64_e32 vcc, 0, v[3:4]
	v_not_b32_e32 v4, v4
	v_ashrrev_i32_e32 v4, 31, v4
	v_and_b32_e32 v14, exec_lo, v14
	v_xor_b32_e32 v84, vcc_hi, v4
	v_xor_b32_e32 v4, vcc_lo, v4
	v_and_b32_e32 v14, v14, v4
	v_lshlrev_b32_e32 v4, 29, v13
	v_cmp_gt_i64_e32 vcc, 0, v[3:4]
	v_not_b32_e32 v4, v4
	v_ashrrev_i32_e32 v4, 31, v4
	v_and_b32_e32 v83, v83, v84
	v_xor_b32_e32 v84, vcc_hi, v4
	v_xor_b32_e32 v4, vcc_lo, v4
	v_and_b32_e32 v14, v14, v4
	v_lshlrev_b32_e32 v4, 28, v13
	v_cmp_gt_i64_e32 vcc, 0, v[3:4]
	v_not_b32_e32 v4, v4
	v_ashrrev_i32_e32 v4, 31, v4
	v_and_b32_e32 v83, v83, v84
	;; [unrolled: 8-line block ×5, first 2 shown]
	v_xor_b32_e32 v84, vcc_hi, v4
	v_xor_b32_e32 v4, vcc_lo, v4
	v_and_b32_e32 v83, v83, v84
	v_and_b32_e32 v84, v14, v4
	v_lshlrev_b32_e32 v4, 24, v13
	v_cmp_gt_i64_e32 vcc, 0, v[3:4]
	v_not_b32_e32 v4, v4
	v_ashrrev_i32_e32 v4, 31, v4
	v_mul_u32_u24_e32 v16, 20, v13
	v_xor_b32_e32 v13, vcc_hi, v4
	v_xor_b32_e32 v4, vcc_lo, v4
	v_and_b32_e32 v14, v83, v13
	v_and_b32_e32 v13, v84, v4
	v_mbcnt_lo_u32_b32 v4, v13, 0
	v_mbcnt_hi_u32_b32 v83, v14, v4
	v_cmp_ne_u64_e32 vcc, 0, v[13:14]
	v_cmp_eq_u32_e64 s[36:37], 0, v83
	s_and_b64 s[38:39], vcc, s[36:37]
	v_add_u32_e32 v86, v71, v16
	; wave barrier
	s_and_saveexec_b64 s[36:37], s[38:39]
	s_cbranch_execz .LBB324_72
; %bb.71:                               ;   in Loop: Header=BB324_56 Depth=2
	v_bcnt_u32_b32 v4, v13, 0
	v_bcnt_u32_b32 v4, v14, v4
	s_waitcnt lgkmcnt(0)
	v_add_u32_e32 v4, v81, v4
	ds_write_b32 v86, v4 offset:1040
.LBB324_72:                             ;   in Loop: Header=BB324_56 Depth=2
	s_or_b64 exec, exec, s[36:37]
	v_xor_b32_e32 v84, 0x7f, v15
	v_lshrrev_b32_sdwa v4, s58, v84 dst_sel:DWORD dst_unused:UNUSED_PAD src0_sel:DWORD src1_sel:BYTE_0
	v_and_b32_e32 v13, s59, v4
	v_mad_u32_u24 v4, v13, 20, v71
	; wave barrier
	ds_read_b32 v85, v4 offset:1040
	v_and_b32_e32 v4, 1, v13
	v_add_co_u32_e32 v14, vcc, -1, v4
	v_addc_co_u32_e64 v16, s[36:37], 0, -1, vcc
	v_cmp_ne_u32_e32 vcc, 0, v4
	v_xor_b32_e32 v4, vcc_hi, v16
	v_and_b32_e32 v16, exec_hi, v4
	v_lshlrev_b32_e32 v4, 30, v13
	v_xor_b32_e32 v14, vcc_lo, v14
	v_cmp_gt_i64_e32 vcc, 0, v[3:4]
	v_not_b32_e32 v4, v4
	v_ashrrev_i32_e32 v4, 31, v4
	v_and_b32_e32 v14, exec_lo, v14
	v_xor_b32_e32 v87, vcc_hi, v4
	v_xor_b32_e32 v4, vcc_lo, v4
	v_and_b32_e32 v14, v14, v4
	v_lshlrev_b32_e32 v4, 29, v13
	v_cmp_gt_i64_e32 vcc, 0, v[3:4]
	v_not_b32_e32 v4, v4
	v_ashrrev_i32_e32 v4, 31, v4
	v_and_b32_e32 v16, v16, v87
	v_xor_b32_e32 v87, vcc_hi, v4
	v_xor_b32_e32 v4, vcc_lo, v4
	v_and_b32_e32 v14, v14, v4
	v_lshlrev_b32_e32 v4, 28, v13
	v_cmp_gt_i64_e32 vcc, 0, v[3:4]
	v_not_b32_e32 v4, v4
	v_ashrrev_i32_e32 v4, 31, v4
	v_and_b32_e32 v16, v16, v87
	;; [unrolled: 8-line block ×5, first 2 shown]
	v_xor_b32_e32 v87, vcc_hi, v4
	v_xor_b32_e32 v4, vcc_lo, v4
	v_and_b32_e32 v16, v16, v87
	v_and_b32_e32 v87, v14, v4
	v_lshlrev_b32_e32 v4, 24, v13
	v_cmp_gt_i64_e32 vcc, 0, v[3:4]
	v_not_b32_e32 v4, v4
	v_ashrrev_i32_e32 v4, 31, v4
	v_mul_u32_u24_e32 v15, 20, v13
	v_xor_b32_e32 v13, vcc_hi, v4
	v_xor_b32_e32 v4, vcc_lo, v4
	v_and_b32_e32 v14, v16, v13
	v_and_b32_e32 v13, v87, v4
	v_mbcnt_lo_u32_b32 v4, v13, 0
	v_mbcnt_hi_u32_b32 v4, v14, v4
	v_cmp_ne_u64_e32 vcc, 0, v[13:14]
	v_cmp_eq_u32_e64 s[36:37], 0, v4
	s_and_b64 s[38:39], vcc, s[36:37]
	v_add_u32_e32 v87, v71, v15
	; wave barrier
	s_and_saveexec_b64 s[36:37], s[38:39]
	s_cbranch_execz .LBB324_74
; %bb.73:                               ;   in Loop: Header=BB324_56 Depth=2
	v_bcnt_u32_b32 v13, v13, 0
	v_bcnt_u32_b32 v13, v14, v13
	s_waitcnt lgkmcnt(0)
	v_add_u32_e32 v13, v85, v13
	ds_write_b32 v87, v13 offset:1040
.LBB324_74:                             ;   in Loop: Header=BB324_56 Depth=2
	s_or_b64 exec, exec, s[36:37]
	; wave barrier
	s_waitcnt lgkmcnt(0)
	s_barrier
	ds_read2_b32 v[15:16], v53 offset1:1
	ds_read2_b32 v[13:14], v54 offset1:1
	ds_read_b32 v88, v50 offset:1056
	s_waitcnt lgkmcnt(1)
	v_add3_u32 v89, v16, v15, v13
	s_waitcnt lgkmcnt(0)
	v_add3_u32 v88, v89, v14, v88
	s_nop 1
	v_mov_b32_dpp v89, v88 row_shr:1 row_mask:0xf bank_mask:0xf
	v_cndmask_b32_e64 v89, v89, 0, s[16:17]
	v_add_u32_e32 v88, v89, v88
	s_nop 1
	v_mov_b32_dpp v89, v88 row_shr:2 row_mask:0xf bank_mask:0xf
	v_cndmask_b32_e64 v89, 0, v89, s[18:19]
	v_add_u32_e32 v88, v88, v89
	;; [unrolled: 4-line block ×4, first 2 shown]
	s_nop 1
	v_mov_b32_dpp v89, v88 row_bcast:15 row_mask:0xf bank_mask:0xf
	v_cndmask_b32_e64 v89, v89, 0, s[24:25]
	v_add_u32_e32 v88, v88, v89
	s_nop 1
	v_mov_b32_dpp v89, v88 row_bcast:31 row_mask:0xf bank_mask:0xf
	v_cndmask_b32_e64 v89, 0, v89, s[26:27]
	v_add_u32_e32 v88, v88, v89
	s_and_saveexec_b64 s[36:37], s[6:7]
; %bb.75:                               ;   in Loop: Header=BB324_56 Depth=2
	ds_write_b32 v26, v88 offset:1024
; %bb.76:                               ;   in Loop: Header=BB324_56 Depth=2
	s_or_b64 exec, exec, s[36:37]
	s_waitcnt lgkmcnt(0)
	s_barrier
	s_and_saveexec_b64 s[36:37], s[8:9]
	s_cbranch_execz .LBB324_78
; %bb.77:                               ;   in Loop: Header=BB324_56 Depth=2
	v_add_u32_e32 v89, v50, v28
	ds_read_b32 v90, v89 offset:1024
	s_waitcnt lgkmcnt(0)
	s_nop 0
	v_mov_b32_dpp v91, v90 row_shr:1 row_mask:0xf bank_mask:0xf
	v_cndmask_b32_e64 v91, v91, 0, s[30:31]
	v_add_u32_e32 v90, v91, v90
	s_nop 1
	v_mov_b32_dpp v91, v90 row_shr:2 row_mask:0xf bank_mask:0xf
	v_cndmask_b32_e64 v91, 0, v91, s[34:35]
	v_add_u32_e32 v90, v90, v91
	ds_write_b32 v89, v90 offset:1024
.LBB324_78:                             ;   in Loop: Header=BB324_56 Depth=2
	s_or_b64 exec, exec, s[36:37]
	v_mov_b32_e32 v89, 0
	s_waitcnt lgkmcnt(0)
	s_barrier
	s_and_saveexec_b64 s[36:37], s[10:11]
; %bb.79:                               ;   in Loop: Header=BB324_56 Depth=2
	ds_read_b32 v89, v26 offset:1020
; %bb.80:                               ;   in Loop: Header=BB324_56 Depth=2
	s_or_b64 exec, exec, s[36:37]
	s_waitcnt lgkmcnt(0)
	v_add_u32_e32 v88, v89, v88
	ds_bpermute_b32 v88, v64, v88
	s_waitcnt lgkmcnt(0)
	v_cndmask_b32_e64 v88, v88, v89, s[28:29]
	v_cndmask_b32_e64 v88, v88, 0, s[12:13]
	v_add_u32_e32 v15, v88, v15
	v_add_u32_e32 v16, v15, v16
	;; [unrolled: 1-line block ×4, first 2 shown]
	ds_write2_b32 v53, v88, v15 offset1:1
	ds_write2_b32 v54, v16, v13 offset1:1
	ds_write_b32 v50, v14 offset:1056
	s_waitcnt lgkmcnt(0)
	s_barrier
	ds_read_b32 v13, v78 offset:1040
	ds_read_b32 v14, v82 offset:1040
	;; [unrolled: 1-line block ×5, first 2 shown]
	v_mov_b32_e32 v78, 0x400
	s_and_saveexec_b64 s[36:37], s[14:15]
; %bb.81:                               ;   in Loop: Header=BB324_56 Depth=2
	ds_read_b32 v78, v50 offset:1060
; %bb.82:                               ;   in Loop: Header=BB324_56 Depth=2
	s_or_b64 exec, exec, s[36:37]
	s_waitcnt lgkmcnt(0)
	s_barrier
	s_and_saveexec_b64 s[36:37], s[4:5]
	s_cbranch_execz .LBB324_84
; %bb.83:                               ;   in Loop: Header=BB324_56 Depth=2
	ds_read_b32 v86, v18
	s_waitcnt lgkmcnt(0)
	v_sub_u32_e32 v15, v86, v15
	ds_write_b32 v18, v15
.LBB324_84:                             ;   in Loop: Header=BB324_56 Depth=2
	s_or_b64 exec, exec, s[36:37]
	v_add_u32_e32 v15, v13, v75
	v_add3_u32 v14, v79, v77, v14
	v_add3_u32 v13, v83, v81, v16
	;; [unrolled: 1-line block ×3, first 2 shown]
	v_cmp_lt_u32_e64 s[40:41], v0, v74
	ds_write_b8 v15, v17 offset:1024
	ds_write_b8 v14, v76 offset:1024
	;; [unrolled: 1-line block ×4, first 2 shown]
	s_waitcnt lgkmcnt(0)
	s_barrier
	s_and_saveexec_b64 s[36:37], s[40:41]
	s_cbranch_execnz .LBB324_105
; %bb.85:                               ;   in Loop: Header=BB324_56 Depth=2
	s_or_b64 exec, exec, s[36:37]
	v_cmp_lt_u32_e64 s[38:39], v19, v74
	s_and_saveexec_b64 s[36:37], s[38:39]
	s_cbranch_execnz .LBB324_106
.LBB324_86:                             ;   in Loop: Header=BB324_56 Depth=2
	s_or_b64 exec, exec, s[36:37]
	v_cmp_lt_u32_e64 s[36:37], v20, v74
	s_and_saveexec_b64 s[42:43], s[36:37]
	s_cbranch_execnz .LBB324_107
.LBB324_87:                             ;   in Loop: Header=BB324_56 Depth=2
	s_or_b64 exec, exec, s[42:43]
	v_cmp_lt_u32_e32 vcc, v21, v74
	s_and_saveexec_b64 s[42:43], vcc
	s_cbranch_execz .LBB324_89
.LBB324_88:                             ;   in Loop: Header=BB324_56 Depth=2
	ds_read_u8 v16, v0 offset:1792
	s_waitcnt lgkmcnt(0)
	v_lshrrev_b32_sdwa v17, s58, v16 dst_sel:DWORD dst_unused:UNUSED_PAD src0_sel:DWORD src1_sel:BYTE_0
	v_and_b32_e32 v17, s59, v17
	v_lshlrev_b32_e32 v17, 2, v17
	ds_read_b32 v17, v17
	v_xor_b32_e32 v16, 0x7f, v16
	s_waitcnt lgkmcnt(0)
	v_add_u32_e32 v17, v17, v21
	global_store_byte v17, v16, s[66:67]
.LBB324_89:                             ;   in Loop: Header=BB324_56 Depth=2
	s_or_b64 exec, exec, s[42:43]
	s_lshl_b64 s[42:43], s[46:47], 3
	v_mov_b32_e32 v17, s43
	v_add_co_u32_e64 v16, s[42:43], s42, v65
	v_addc_co_u32_e64 v17, s[42:43], v66, v17, s[42:43]
	v_cmp_lt_u32_e64 s[42:43], v47, v74
	s_and_saveexec_b64 s[56:57], s[42:43]
	s_xor_b64 s[42:43], exec, s[56:57]
	s_cbranch_execnz .LBB324_108
; %bb.90:                               ;   in Loop: Header=BB324_56 Depth=2
	s_or_b64 exec, exec, s[42:43]
	v_cmp_lt_u32_e64 s[42:43], v61, v74
	s_and_saveexec_b64 s[56:57], s[42:43]
	s_cbranch_execnz .LBB324_109
.LBB324_91:                             ;   in Loop: Header=BB324_56 Depth=2
	s_or_b64 exec, exec, s[56:57]
	v_cmp_lt_u32_e64 s[42:43], v62, v74
	s_and_saveexec_b64 s[56:57], s[42:43]
	s_cbranch_execnz .LBB324_110
.LBB324_92:                             ;   in Loop: Header=BB324_56 Depth=2
	s_or_b64 exec, exec, s[56:57]
	v_cmp_lt_u32_e64 s[42:43], v63, v74
	s_and_saveexec_b64 s[56:57], s[42:43]
	s_cbranch_execnz .LBB324_111
.LBB324_93:                             ;   in Loop: Header=BB324_56 Depth=2
	s_or_b64 exec, exec, s[56:57]
	s_and_saveexec_b64 s[42:43], s[40:41]
	s_cbranch_execnz .LBB324_112
.LBB324_94:                             ;   in Loop: Header=BB324_56 Depth=2
	s_or_b64 exec, exec, s[42:43]
	s_and_saveexec_b64 s[42:43], s[38:39]
	s_cbranch_execnz .LBB324_113
.LBB324_95:                             ;   in Loop: Header=BB324_56 Depth=2
	s_or_b64 exec, exec, s[42:43]
	s_and_saveexec_b64 s[42:43], s[36:37]
	s_cbranch_execnz .LBB324_114
.LBB324_96:                             ;   in Loop: Header=BB324_56 Depth=2
	s_or_b64 exec, exec, s[42:43]
	s_and_saveexec_b64 s[42:43], vcc
	s_cbranch_execz .LBB324_98
.LBB324_97:                             ;   in Loop: Header=BB324_56 Depth=2
	ds_read_u8 v16, v0 offset:1792
	s_waitcnt lgkmcnt(0)
	v_lshrrev_b32_e32 v16, s58, v16
	v_and_b32_e32 v69, s59, v16
.LBB324_98:                             ;   in Loop: Header=BB324_56 Depth=2
	s_or_b64 exec, exec, s[42:43]
	v_mad_u64_u32 v[15:16], s[42:43], v15, 7, v[15:16]
	s_waitcnt vmcnt(0)
	v_mad_u64_u32 v[74:75], s[42:43], v4, 7, v[4:5]
	v_mad_u64_u32 v[16:17], s[42:43], v14, 7, v[14:15]
	;; [unrolled: 1-line block ×3, first 2 shown]
	s_barrier
	ds_write_b64 v15, v[11:12] offset:1024
	ds_write_b64 v16, v[9:10] offset:1024
	;; [unrolled: 1-line block ×4, first 2 shown]
	s_waitcnt lgkmcnt(0)
	s_barrier
	s_and_saveexec_b64 s[42:43], s[40:41]
	s_cbranch_execnz .LBB324_115
; %bb.99:                               ;   in Loop: Header=BB324_56 Depth=2
	s_or_b64 exec, exec, s[42:43]
	s_and_saveexec_b64 s[40:41], s[38:39]
	s_cbranch_execnz .LBB324_116
.LBB324_100:                            ;   in Loop: Header=BB324_56 Depth=2
	s_or_b64 exec, exec, s[40:41]
	s_and_saveexec_b64 s[38:39], s[36:37]
	s_cbranch_execnz .LBB324_117
.LBB324_101:                            ;   in Loop: Header=BB324_56 Depth=2
	s_or_b64 exec, exec, s[38:39]
	s_and_saveexec_b64 s[36:37], vcc
	s_cbranch_execz .LBB324_103
.LBB324_102:                            ;   in Loop: Header=BB324_56 Depth=2
	v_lshlrev_b32_e32 v4, 2, v69
	ds_read_b32 v4, v4
	v_add_u32_e32 v13, v0, v51
	ds_read_b64 v[13:14], v13 offset:7168
	v_mov_b32_e32 v16, v3
	v_mov_b32_e32 v17, s53
	s_waitcnt lgkmcnt(1)
	v_add_u32_e32 v15, v4, v21
	v_lshlrev_b64 v[15:16], 3, v[15:16]
	v_add_co_u32_e32 v15, vcc, s52, v15
	v_addc_co_u32_e32 v16, vcc, v17, v16, vcc
	s_waitcnt lgkmcnt(0)
	global_store_dwordx2 v[15:16], v[13:14], off
.LBB324_103:                            ;   in Loop: Header=BB324_56 Depth=2
	s_or_b64 exec, exec, s[36:37]
	s_waitcnt vmcnt(0)
	s_barrier
	s_and_saveexec_b64 s[36:37], s[4:5]
	s_cbranch_execz .LBB324_55
; %bb.104:                              ;   in Loop: Header=BB324_56 Depth=2
	ds_read_b32 v4, v18
	s_waitcnt lgkmcnt(0)
	v_add_u32_e32 v4, v4, v78
	ds_write_b32 v18, v4
	s_branch .LBB324_55
.LBB324_105:                            ;   in Loop: Header=BB324_56 Depth=2
	ds_read_u8 v16, v0 offset:1024
	s_waitcnt lgkmcnt(0)
	v_lshrrev_b32_sdwa v17, s58, v16 dst_sel:DWORD dst_unused:UNUSED_PAD src0_sel:DWORD src1_sel:BYTE_0
	v_and_b32_e32 v17, s59, v17
	v_lshlrev_b32_e32 v17, 2, v17
	ds_read_b32 v17, v17
	v_xor_b32_e32 v16, 0x7f, v16
	s_waitcnt lgkmcnt(0)
	v_add_u32_e32 v17, v17, v0
	global_store_byte v17, v16, s[66:67]
	s_or_b64 exec, exec, s[36:37]
	v_cmp_lt_u32_e64 s[38:39], v19, v74
	s_and_saveexec_b64 s[36:37], s[38:39]
	s_cbranch_execz .LBB324_86
.LBB324_106:                            ;   in Loop: Header=BB324_56 Depth=2
	ds_read_u8 v16, v0 offset:1280
	s_waitcnt lgkmcnt(0)
	v_lshrrev_b32_sdwa v17, s58, v16 dst_sel:DWORD dst_unused:UNUSED_PAD src0_sel:DWORD src1_sel:BYTE_0
	v_and_b32_e32 v17, s59, v17
	v_lshlrev_b32_e32 v17, 2, v17
	ds_read_b32 v17, v17
	v_xor_b32_e32 v16, 0x7f, v16
	s_waitcnt lgkmcnt(0)
	v_add_u32_e32 v17, v17, v19
	global_store_byte v17, v16, s[66:67]
	s_or_b64 exec, exec, s[36:37]
	v_cmp_lt_u32_e64 s[36:37], v20, v74
	s_and_saveexec_b64 s[42:43], s[36:37]
	s_cbranch_execz .LBB324_87
.LBB324_107:                            ;   in Loop: Header=BB324_56 Depth=2
	ds_read_u8 v16, v0 offset:1536
	s_waitcnt lgkmcnt(0)
	v_lshrrev_b32_sdwa v17, s58, v16 dst_sel:DWORD dst_unused:UNUSED_PAD src0_sel:DWORD src1_sel:BYTE_0
	v_and_b32_e32 v17, s59, v17
	v_lshlrev_b32_e32 v17, 2, v17
	ds_read_b32 v17, v17
	v_xor_b32_e32 v16, 0x7f, v16
	s_waitcnt lgkmcnt(0)
	v_add_u32_e32 v17, v17, v20
	global_store_byte v17, v16, s[66:67]
	s_or_b64 exec, exec, s[42:43]
	v_cmp_lt_u32_e32 vcc, v21, v74
	s_and_saveexec_b64 s[42:43], vcc
	s_cbranch_execnz .LBB324_88
	s_branch .LBB324_89
.LBB324_108:                            ;   in Loop: Header=BB324_56 Depth=2
	global_load_dwordx2 v[11:12], v[16:17], off
	s_or_b64 exec, exec, s[42:43]
	v_cmp_lt_u32_e64 s[42:43], v61, v74
	s_and_saveexec_b64 s[56:57], s[42:43]
	s_cbranch_execz .LBB324_91
.LBB324_109:                            ;   in Loop: Header=BB324_56 Depth=2
	global_load_dwordx2 v[9:10], v[16:17], off offset:512
	s_or_b64 exec, exec, s[56:57]
	v_cmp_lt_u32_e64 s[42:43], v62, v74
	s_and_saveexec_b64 s[56:57], s[42:43]
	s_cbranch_execz .LBB324_92
.LBB324_110:                            ;   in Loop: Header=BB324_56 Depth=2
	global_load_dwordx2 v[7:8], v[16:17], off offset:1024
	s_or_b64 exec, exec, s[56:57]
	v_cmp_lt_u32_e64 s[42:43], v63, v74
	s_and_saveexec_b64 s[56:57], s[42:43]
	s_cbranch_execz .LBB324_93
.LBB324_111:                            ;   in Loop: Header=BB324_56 Depth=2
	global_load_dwordx2 v[5:6], v[16:17], off offset:1536
	s_or_b64 exec, exec, s[56:57]
	s_and_saveexec_b64 s[42:43], s[40:41]
	s_cbranch_execz .LBB324_94
.LBB324_112:                            ;   in Loop: Header=BB324_56 Depth=2
	ds_read_u8 v16, v0 offset:1024
	s_waitcnt lgkmcnt(0)
	v_lshrrev_b32_e32 v16, s58, v16
	v_and_b32_e32 v73, s59, v16
	s_or_b64 exec, exec, s[42:43]
	s_and_saveexec_b64 s[42:43], s[38:39]
	s_cbranch_execz .LBB324_95
.LBB324_113:                            ;   in Loop: Header=BB324_56 Depth=2
	ds_read_u8 v16, v0 offset:1280
	s_waitcnt lgkmcnt(0)
	v_lshrrev_b32_e32 v16, s58, v16
	v_and_b32_e32 v72, s59, v16
	s_or_b64 exec, exec, s[42:43]
	s_and_saveexec_b64 s[42:43], s[36:37]
	s_cbranch_execz .LBB324_96
.LBB324_114:                            ;   in Loop: Header=BB324_56 Depth=2
	ds_read_u8 v16, v0 offset:1536
	s_waitcnt lgkmcnt(0)
	v_lshrrev_b32_e32 v16, s58, v16
	v_and_b32_e32 v70, s59, v16
	s_or_b64 exec, exec, s[42:43]
	s_and_saveexec_b64 s[42:43], vcc
	s_cbranch_execnz .LBB324_97
	s_branch .LBB324_98
.LBB324_115:                            ;   in Loop: Header=BB324_56 Depth=2
	v_lshlrev_b32_e32 v4, 2, v73
	ds_read_b32 v4, v4
	v_add_u32_e32 v13, v0, v51
	ds_read_b64 v[13:14], v13 offset:1024
	v_mov_b32_e32 v16, v3
	v_mov_b32_e32 v17, s53
	s_waitcnt lgkmcnt(1)
	v_add_u32_e32 v15, v4, v0
	v_lshlrev_b64 v[15:16], 3, v[15:16]
	v_add_co_u32_e64 v15, s[40:41], s52, v15
	v_addc_co_u32_e64 v16, s[40:41], v17, v16, s[40:41]
	s_waitcnt lgkmcnt(0)
	global_store_dwordx2 v[15:16], v[13:14], off
	s_or_b64 exec, exec, s[42:43]
	s_and_saveexec_b64 s[40:41], s[38:39]
	s_cbranch_execz .LBB324_100
.LBB324_116:                            ;   in Loop: Header=BB324_56 Depth=2
	v_lshlrev_b32_e32 v4, 2, v72
	ds_read_b32 v4, v4
	v_add_u32_e32 v13, v0, v51
	ds_read_b64 v[13:14], v13 offset:3072
	v_mov_b32_e32 v16, v3
	v_mov_b32_e32 v17, s53
	s_waitcnt lgkmcnt(1)
	v_add_u32_e32 v15, v4, v19
	v_lshlrev_b64 v[15:16], 3, v[15:16]
	v_add_co_u32_e64 v15, s[38:39], s52, v15
	v_addc_co_u32_e64 v16, s[38:39], v17, v16, s[38:39]
	s_waitcnt lgkmcnt(0)
	global_store_dwordx2 v[15:16], v[13:14], off
	s_or_b64 exec, exec, s[40:41]
	s_and_saveexec_b64 s[38:39], s[36:37]
	s_cbranch_execz .LBB324_101
.LBB324_117:                            ;   in Loop: Header=BB324_56 Depth=2
	v_lshlrev_b32_e32 v4, 2, v70
	ds_read_b32 v4, v4
	v_add_u32_e32 v13, v0, v51
	ds_read_b64 v[13:14], v13 offset:5120
	v_mov_b32_e32 v16, v3
	v_mov_b32_e32 v17, s53
	s_waitcnt lgkmcnt(1)
	v_add_u32_e32 v15, v4, v20
	v_lshlrev_b64 v[15:16], 3, v[15:16]
	v_add_co_u32_e64 v15, s[36:37], s52, v15
	v_addc_co_u32_e64 v16, s[36:37], v17, v16, s[36:37]
	s_waitcnt lgkmcnt(0)
	global_store_dwordx2 v[15:16], v[13:14], off
	s_or_b64 exec, exec, s[38:39]
	s_and_saveexec_b64 s[36:37], vcc
	s_cbranch_execnz .LBB324_102
	s_branch .LBB324_103
.LBB324_118:                            ;   in Loop: Header=BB324_56 Depth=2
	global_load_ubyte v4, v[13:14], off
	v_mov_b32_e32 v15, 0x80
	v_mov_b32_e32 v76, 0x80
	;; [unrolled: 1-line block ×3, first 2 shown]
	s_or_b64 exec, exec, s[36:37]
	v_cmp_gt_u32_e32 vcc, s60, v61
	s_and_saveexec_b64 s[36:37], vcc
	s_cbranch_execz .LBB324_61
.LBB324_119:                            ;   in Loop: Header=BB324_56 Depth=2
	global_load_ubyte v76, v[13:14], off offset:64
	s_or_b64 exec, exec, s[36:37]
	v_cmp_gt_u32_e32 vcc, s60, v62
	s_and_saveexec_b64 s[36:37], vcc
	s_cbranch_execnz .LBB324_62
	s_branch .LBB324_63
.LBB324_120:                            ;   in Loop: Header=BB324_20 Depth=1
	s_waitcnt lgkmcnt(0)
	s_barrier
	s_mov_b64 s[16:17], 0
.LBB324_121:                            ;   in Loop: Header=BB324_20 Depth=1
	s_and_b64 vcc, exec, s[16:17]
	s_cbranch_vccz .LBB324_221
; %bb.122:                              ;   in Loop: Header=BB324_20 Depth=1
	v_mov_b32_e32 v4, 0
	s_mov_b32 s18, s75
	s_mov_b32 s20, s49
	v_mov_b32_e32 v7, 0
	v_mov_b32_e32 v6, 0
	;; [unrolled: 1-line block ×3, first 2 shown]
	s_barrier
	s_branch .LBB324_124
.LBB324_123:                            ;   in Loop: Header=BB324_124 Depth=2
	s_or_b64 exec, exec, s[16:17]
	s_addk_i32 s18, 0xfc00
	s_cmp_ge_u32 s19, s76
	s_mov_b32 s20, s19
	s_cbranch_scc1 .LBB324_144
.LBB324_124:                            ;   Parent Loop BB324_20 Depth=1
                                        ; =>  This Inner Loop Header: Depth=2
	s_add_i32 s19, s20, 0x400
	s_cmp_gt_u32 s19, s76
	s_mov_b64 s[16:17], -1
                                        ; implicit-def: $vgpr8
                                        ; implicit-def: $vgpr9
                                        ; implicit-def: $vgpr10
                                        ; implicit-def: $vgpr11
	s_cbranch_scc1 .LBB324_126
; %bb.125:                              ;   in Loop: Header=BB324_124 Depth=2
	v_add_co_u32_e32 v12, vcc, s20, v33
	v_addc_co_u32_e32 v13, vcc, 0, v34, vcc
	global_load_ubyte v11, v[12:13], off offset:768
	global_load_ubyte v10, v[12:13], off offset:512
	;; [unrolled: 1-line block ×3, first 2 shown]
	global_load_ubyte v8, v[12:13], off
	s_mov_b64 s[16:17], 0
.LBB324_126:                            ;   in Loop: Header=BB324_124 Depth=2
	s_andn2_b64 vcc, exec, s[16:17]
	s_movk_i32 s21, 0x400
	s_cbranch_vccnz .LBB324_133
; %bb.127:                              ;   in Loop: Header=BB324_124 Depth=2
	s_add_u32 s20, s66, s20
	s_addc_u32 s21, s67, 0
	v_cmp_gt_u32_e32 vcc, s18, v0
	s_and_saveexec_b64 s[16:17], vcc
	s_cbranch_execnz .LBB324_141
; %bb.128:                              ;   in Loop: Header=BB324_124 Depth=2
	s_or_b64 exec, exec, s[16:17]
	v_cmp_gt_u32_e32 vcc, s18, v19
	s_and_saveexec_b64 s[16:17], vcc
	s_cbranch_execnz .LBB324_142
.LBB324_129:                            ;   in Loop: Header=BB324_124 Depth=2
	s_or_b64 exec, exec, s[16:17]
	v_cmp_gt_u32_e32 vcc, s18, v20
	s_and_saveexec_b64 s[16:17], vcc
	s_cbranch_execnz .LBB324_143
.LBB324_130:                            ;   in Loop: Header=BB324_124 Depth=2
	s_or_b64 exec, exec, s[16:17]
	v_cmp_gt_u32_e32 vcc, s18, v21
	s_and_saveexec_b64 s[16:17], vcc
	s_cbranch_execz .LBB324_132
.LBB324_131:                            ;   in Loop: Header=BB324_124 Depth=2
	v_mov_b32_e32 v5, s21
	s_waitcnt vmcnt(0)
	v_add_co_u32_e32 v8, vcc, s20, v0
	v_addc_co_u32_e32 v9, vcc, 0, v5, vcc
	global_load_ubyte v5, v[8:9], off offset:768
.LBB324_132:                            ;   in Loop: Header=BB324_124 Depth=2
	s_or_b64 exec, exec, s[16:17]
	s_mov_b32 s21, s18
	s_waitcnt vmcnt(0)
	v_mov_b32_e32 v8, v4
	v_mov_b32_e32 v9, v7
	;; [unrolled: 1-line block ×4, first 2 shown]
.LBB324_133:                            ;   in Loop: Header=BB324_124 Depth=2
	s_waitcnt vmcnt(3)
	v_mov_b32_e32 v5, v11
	s_waitcnt vmcnt(2)
	v_mov_b32_e32 v6, v10
	s_waitcnt vmcnt(1)
	v_mov_b32_e32 v7, v9
	s_waitcnt vmcnt(0)
	v_mov_b32_e32 v4, v8
	v_cmp_gt_u32_e32 vcc, s21, v0
	s_and_saveexec_b64 s[16:17], vcc
	s_cbranch_execnz .LBB324_137
; %bb.134:                              ;   in Loop: Header=BB324_124 Depth=2
	s_or_b64 exec, exec, s[16:17]
	v_cmp_gt_u32_e32 vcc, s21, v19
	s_and_saveexec_b64 s[16:17], vcc
	s_cbranch_execnz .LBB324_138
.LBB324_135:                            ;   in Loop: Header=BB324_124 Depth=2
	s_or_b64 exec, exec, s[16:17]
	v_cmp_gt_u32_e32 vcc, s21, v20
	s_and_saveexec_b64 s[16:17], vcc
	s_cbranch_execnz .LBB324_139
.LBB324_136:                            ;   in Loop: Header=BB324_124 Depth=2
	s_or_b64 exec, exec, s[16:17]
	v_cmp_gt_u32_e32 vcc, s21, v21
	s_and_saveexec_b64 s[16:17], vcc
	s_cbranch_execz .LBB324_123
	s_branch .LBB324_140
.LBB324_137:                            ;   in Loop: Header=BB324_124 Depth=2
	v_xor_b32_e32 v8, 0x7f, v4
	v_lshrrev_b32_sdwa v8, s58, v8 dst_sel:DWORD dst_unused:UNUSED_PAD src0_sel:DWORD src1_sel:BYTE_0
	v_and_b32_e32 v8, s59, v8
	v_lshl_or_b32 v8, v8, 4, v24
	ds_add_u32 v8, v52
	s_or_b64 exec, exec, s[16:17]
	v_cmp_gt_u32_e32 vcc, s21, v19
	s_and_saveexec_b64 s[16:17], vcc
	s_cbranch_execz .LBB324_135
.LBB324_138:                            ;   in Loop: Header=BB324_124 Depth=2
	v_xor_b32_e32 v8, 0x7f, v7
	v_lshrrev_b32_sdwa v8, s58, v8 dst_sel:DWORD dst_unused:UNUSED_PAD src0_sel:DWORD src1_sel:BYTE_0
	v_and_b32_e32 v8, s59, v8
	v_lshl_or_b32 v8, v8, 4, v24
	ds_add_u32 v8, v52
	s_or_b64 exec, exec, s[16:17]
	v_cmp_gt_u32_e32 vcc, s21, v20
	s_and_saveexec_b64 s[16:17], vcc
	s_cbranch_execz .LBB324_136
.LBB324_139:                            ;   in Loop: Header=BB324_124 Depth=2
	v_xor_b32_e32 v8, 0x7f, v6
	v_lshrrev_b32_sdwa v8, s58, v8 dst_sel:DWORD dst_unused:UNUSED_PAD src0_sel:DWORD src1_sel:BYTE_0
	v_and_b32_e32 v8, s59, v8
	v_lshl_or_b32 v8, v8, 4, v24
	ds_add_u32 v8, v52
	s_or_b64 exec, exec, s[16:17]
	v_cmp_gt_u32_e32 vcc, s21, v21
	s_and_saveexec_b64 s[16:17], vcc
	s_cbranch_execz .LBB324_123
.LBB324_140:                            ;   in Loop: Header=BB324_124 Depth=2
	v_xor_b32_e32 v8, 0x7f, v5
	v_lshrrev_b32_sdwa v8, s58, v8 dst_sel:DWORD dst_unused:UNUSED_PAD src0_sel:DWORD src1_sel:BYTE_0
	v_and_b32_e32 v8, s59, v8
	v_lshl_or_b32 v8, v8, 4, v24
	ds_add_u32 v8, v52
	s_branch .LBB324_123
.LBB324_141:                            ;   in Loop: Header=BB324_124 Depth=2
	v_mov_b32_e32 v4, s21
	s_waitcnt vmcnt(0)
	v_add_co_u32_e32 v8, vcc, s20, v0
	v_addc_co_u32_e32 v9, vcc, 0, v4, vcc
	global_load_ubyte v4, v[8:9], off
	s_or_b64 exec, exec, s[16:17]
	v_cmp_gt_u32_e32 vcc, s18, v19
	s_and_saveexec_b64 s[16:17], vcc
	s_cbranch_execz .LBB324_129
.LBB324_142:                            ;   in Loop: Header=BB324_124 Depth=2
	s_waitcnt vmcnt(0)
	v_mov_b32_e32 v8, s21
	v_add_co_u32_e32 v7, vcc, s20, v0
	v_addc_co_u32_e32 v8, vcc, 0, v8, vcc
	global_load_ubyte v7, v[7:8], off offset:256
	s_or_b64 exec, exec, s[16:17]
	v_cmp_gt_u32_e32 vcc, s18, v20
	s_and_saveexec_b64 s[16:17], vcc
	s_cbranch_execz .LBB324_130
.LBB324_143:                            ;   in Loop: Header=BB324_124 Depth=2
	v_mov_b32_e32 v6, s21
	s_waitcnt vmcnt(0)
	v_add_co_u32_e32 v8, vcc, s20, v0
	v_addc_co_u32_e32 v9, vcc, 0, v6, vcc
	global_load_ubyte v6, v[8:9], off offset:512
	s_or_b64 exec, exec, s[16:17]
	v_cmp_gt_u32_e32 vcc, s18, v21
	s_and_saveexec_b64 s[16:17], vcc
	s_cbranch_execnz .LBB324_131
	s_branch .LBB324_132
.LBB324_144:                            ;   in Loop: Header=BB324_20 Depth=1
	v_mov_b32_e32 v4, 0
	s_waitcnt lgkmcnt(0)
	s_barrier
	s_and_saveexec_b64 s[16:17], s[4:5]
	s_cbranch_execz .LBB324_146
; %bb.145:                              ;   in Loop: Header=BB324_20 Depth=1
	ds_read2_b64 v[4:7], v25 offset1:1
	s_waitcnt lgkmcnt(0)
	v_add_u32_e32 v4, v5, v4
	v_add3_u32 v4, v4, v6, v7
.LBB324_146:                            ;   in Loop: Header=BB324_20 Depth=1
	s_or_b64 exec, exec, s[16:17]
	s_nop 0
	v_mov_b32_dpp v5, v4 row_shr:1 row_mask:0xf bank_mask:0xf
	v_cmp_eq_u32_e64 s[16:17], 0, v55
	v_cndmask_b32_e64 v5, v5, 0, s[16:17]
	v_add_u32_e32 v4, v5, v4
	v_cmp_lt_u32_e64 s[18:19], 1, v55
	v_cmp_lt_u32_e64 s[20:21], 3, v55
	v_mov_b32_dpp v5, v4 row_shr:2 row_mask:0xf bank_mask:0xf
	v_cndmask_b32_e64 v5, 0, v5, s[18:19]
	v_add_u32_e32 v4, v4, v5
	v_cmp_lt_u32_e64 s[22:23], 7, v55
	v_cmp_lt_u32_e64 s[26:27], 31, v45
	v_mov_b32_dpp v5, v4 row_shr:4 row_mask:0xf bank_mask:0xf
	v_cndmask_b32_e64 v5, 0, v5, s[20:21]
	v_add_u32_e32 v4, v4, v5
	v_cmp_eq_u32_e64 s[24:25], 0, v57
	s_nop 0
	v_mov_b32_dpp v5, v4 row_shr:8 row_mask:0xf bank_mask:0xf
	v_cndmask_b32_e64 v5, 0, v5, s[22:23]
	v_add_u32_e32 v4, v4, v5
	s_nop 1
	v_mov_b32_dpp v5, v4 row_bcast:15 row_mask:0xf bank_mask:0xf
	v_and_b32_e32 v5, v56, v5
	v_add_u32_e32 v4, v4, v5
	s_nop 1
	v_mov_b32_dpp v5, v4 row_bcast:31 row_mask:0xf bank_mask:0xf
	v_cndmask_b32_e64 v5, 0, v5, s[26:27]
	v_add_u32_e32 v4, v4, v5
	s_and_saveexec_b64 s[28:29], s[6:7]
; %bb.147:                              ;   in Loop: Header=BB324_20 Depth=1
	ds_write_b32 v27, v4
; %bb.148:                              ;   in Loop: Header=BB324_20 Depth=1
	s_or_b64 exec, exec, s[28:29]
	s_waitcnt lgkmcnt(0)
	s_barrier
	s_and_saveexec_b64 s[28:29], s[8:9]
	s_cbranch_execz .LBB324_150
; %bb.149:                              ;   in Loop: Header=BB324_20 Depth=1
	ds_read_b32 v5, v48
	v_cmp_ne_u32_e32 vcc, 0, v58
	s_waitcnt lgkmcnt(0)
	v_mov_b32_dpp v6, v5 row_shr:1 row_mask:0xf bank_mask:0xf
	v_cndmask_b32_e32 v6, 0, v6, vcc
	v_add_u32_e32 v5, v6, v5
	v_cmp_lt_u32_e32 vcc, 1, v58
	s_nop 0
	v_mov_b32_dpp v6, v5 row_shr:2 row_mask:0xf bank_mask:0xf
	v_cndmask_b32_e32 v6, 0, v6, vcc
	v_add_u32_e32 v5, v5, v6
	ds_write_b32 v48, v5
.LBB324_150:                            ;   in Loop: Header=BB324_20 Depth=1
	s_or_b64 exec, exec, s[28:29]
	v_mov_b32_e32 v5, 0
	s_waitcnt lgkmcnt(0)
	s_barrier
	s_and_saveexec_b64 s[28:29], s[10:11]
; %bb.151:                              ;   in Loop: Header=BB324_20 Depth=1
	ds_read_b32 v5, v49
; %bb.152:                              ;   in Loop: Header=BB324_20 Depth=1
	s_or_b64 exec, exec, s[28:29]
	v_subrev_co_u32_e64 v6, s[28:29], 1, v45
	v_cmp_lt_i32_e32 vcc, v6, v59
	v_cndmask_b32_e32 v6, v6, v45, vcc
	s_waitcnt lgkmcnt(0)
	v_add_u32_e32 v4, v5, v4
	v_lshlrev_b32_e32 v64, 2, v6
	ds_bpermute_b32 v4, v64, v4
	s_waitcnt lgkmcnt(0)
	s_barrier
	s_and_saveexec_b64 s[30:31], s[4:5]
; %bb.153:                              ;   in Loop: Header=BB324_20 Depth=1
	v_cndmask_b32_e64 v4, v4, v5, s[28:29]
	v_add_u32_e32 v4, s49, v4
	ds_write_b32 v18, v4
; %bb.154:                              ;   in Loop: Header=BB324_20 Depth=1
	s_or_b64 exec, exec, s[30:31]
	s_load_dwordx2 s[30:31], s[44:45], 0x0
	v_add_co_u32_e32 v65, vcc, v35, v60
	v_addc_co_u32_e32 v66, vcc, 0, v36, vcc
	s_waitcnt lgkmcnt(0)
	s_cmp_lt_u32 s33, s31
	s_cselect_b32 s31, 14, 20
	s_add_u32 s34, s44, s31
	s_addc_u32 s35, s45, 0
	s_cmp_lt_u32 s48, s30
	s_cselect_b32 s30, 12, 18
	s_add_u32 s30, s44, s30
	global_load_ushort v4, v3, s[34:35]
	s_addc_u32 s31, s45, 0
	global_load_ushort v5, v3, s[30:31]
	v_add_co_u32_e32 v67, vcc, v37, v46
	v_cmp_eq_u32_e64 s[30:31], 0, v58
	v_cmp_lt_u32_e64 s[34:35], 1, v58
	v_addc_co_u32_e32 v68, vcc, 0, v38, vcc
	s_mov_b32 s60, s75
	s_mov_b32 s46, s49
                                        ; implicit-def: $vgpr7_vgpr8
                                        ; implicit-def: $vgpr9_vgpr10
                                        ; implicit-def: $vgpr11_vgpr12
                                        ; implicit-def: $vgpr69
                                        ; implicit-def: $vgpr70
                                        ; implicit-def: $vgpr72
                                        ; implicit-def: $vgpr73
	s_waitcnt vmcnt(1)
	v_mad_u32_u24 v4, v2, v4, v1
	s_waitcnt vmcnt(0)
	v_mad_u64_u32 v[4:5], s[36:37], v4, v5, v[0:1]
                                        ; implicit-def: $vgpr5_vgpr6
	v_lshrrev_b32_e32 v4, 4, v4
	v_and_b32_e32 v71, 0xffffffc, v4
	s_branch .LBB324_156
.LBB324_155:                            ;   in Loop: Header=BB324_156 Depth=2
	s_or_b64 exec, exec, s[36:37]
	s_addk_i32 s60, 0xfc00
	s_cmp_lt_u32 s61, s76
	s_mov_b32 s46, s61
	s_cbranch_scc0 .LBB324_220
.LBB324_156:                            ;   Parent Loop BB324_20 Depth=1
                                        ; =>  This Inner Loop Header: Depth=2
	s_add_i32 s61, s46, 0x400
	s_cmp_gt_u32 s61, s76
	s_cbranch_scc1 .LBB324_158
; %bb.157:                              ;   in Loop: Header=BB324_156 Depth=2
	v_add_co_u32_e32 v13, vcc, s46, v67
	v_addc_co_u32_e32 v14, vcc, 0, v68, vcc
	global_load_ubyte v16, v[13:14], off offset:128
	global_load_ubyte v76, v[13:14], off offset:64
	global_load_ubyte v4, v[13:14], off
	s_mov_b64 s[36:37], -1
	s_movk_i32 s40, 0x400
                                        ; implicit-def: $vgpr15
	s_cbranch_execz .LBB324_159
	s_branch .LBB324_164
.LBB324_158:                            ;   in Loop: Header=BB324_156 Depth=2
	s_mov_b64 s[36:37], 0
                                        ; implicit-def: $vgpr4
                                        ; implicit-def: $vgpr76
                                        ; implicit-def: $vgpr16
	s_movk_i32 s40, 0x400
                                        ; implicit-def: $vgpr15
.LBB324_159:                            ;   in Loop: Header=BB324_156 Depth=2
	v_add_co_u32_e32 v13, vcc, s46, v67
	v_addc_co_u32_e32 v14, vcc, 0, v68, vcc
	v_cmp_gt_u32_e32 vcc, s60, v47
	v_mov_b32_e32 v15, 0x80
	s_waitcnt vmcnt(0)
	v_mov_b32_e32 v4, 0x80
	v_mov_b32_e32 v76, 0x80
	;; [unrolled: 1-line block ×3, first 2 shown]
	s_and_saveexec_b64 s[36:37], vcc
	s_cbranch_execnz .LBB324_218
; %bb.160:                              ;   in Loop: Header=BB324_156 Depth=2
	s_or_b64 exec, exec, s[36:37]
	v_cmp_gt_u32_e32 vcc, s60, v61
	s_and_saveexec_b64 s[36:37], vcc
	s_cbranch_execnz .LBB324_219
.LBB324_161:                            ;   in Loop: Header=BB324_156 Depth=2
	s_or_b64 exec, exec, s[36:37]
	v_cmp_gt_u32_e32 vcc, s60, v62
	s_and_saveexec_b64 s[36:37], vcc
	s_cbranch_execz .LBB324_163
.LBB324_162:                            ;   in Loop: Header=BB324_156 Depth=2
	global_load_ubyte v16, v[13:14], off offset:128
.LBB324_163:                            ;   in Loop: Header=BB324_156 Depth=2
	s_or_b64 exec, exec, s[36:37]
	s_sub_i32 s40, s76, s46
	v_cmp_gt_u32_e64 s[36:37], s60, v63
.LBB324_164:                            ;   in Loop: Header=BB324_156 Depth=2
	v_mov_b32_e32 v74, s60
	s_and_saveexec_b64 s[38:39], s[36:37]
	s_cbranch_execz .LBB324_166
; %bb.165:                              ;   in Loop: Header=BB324_156 Depth=2
	v_mov_b32_e32 v14, s47
	v_add_co_u32_e32 v13, vcc, s46, v67
	v_addc_co_u32_e32 v14, vcc, v68, v14, vcc
	global_load_ubyte v15, v[13:14], off offset:192
	v_mov_b32_e32 v74, s40
.LBB324_166:                            ;   in Loop: Header=BB324_156 Depth=2
	s_or_b64 exec, exec, s[38:39]
	s_waitcnt vmcnt(0)
	v_xor_b32_e32 v17, 0x7f, v4
	v_lshrrev_b32_sdwa v4, s58, v17 dst_sel:DWORD dst_unused:UNUSED_PAD src0_sel:DWORD src1_sel:BYTE_0
	v_and_b32_e32 v13, s59, v4
	v_and_b32_e32 v4, 1, v13
	v_add_co_u32_e32 v14, vcc, -1, v4
	v_addc_co_u32_e64 v75, s[36:37], 0, -1, vcc
	v_cmp_ne_u32_e32 vcc, 0, v4
	v_xor_b32_e32 v4, vcc_hi, v75
	v_and_b32_e32 v75, exec_hi, v4
	v_lshlrev_b32_e32 v4, 30, v13
	v_xor_b32_e32 v14, vcc_lo, v14
	v_cmp_gt_i64_e32 vcc, 0, v[3:4]
	v_not_b32_e32 v4, v4
	v_ashrrev_i32_e32 v4, 31, v4
	v_and_b32_e32 v14, exec_lo, v14
	v_xor_b32_e32 v78, vcc_hi, v4
	v_xor_b32_e32 v4, vcc_lo, v4
	v_and_b32_e32 v14, v14, v4
	v_lshlrev_b32_e32 v4, 29, v13
	v_cmp_gt_i64_e32 vcc, 0, v[3:4]
	v_not_b32_e32 v4, v4
	v_ashrrev_i32_e32 v4, 31, v4
	v_and_b32_e32 v75, v75, v78
	v_xor_b32_e32 v78, vcc_hi, v4
	v_xor_b32_e32 v4, vcc_lo, v4
	v_and_b32_e32 v14, v14, v4
	v_lshlrev_b32_e32 v4, 28, v13
	v_cmp_gt_i64_e32 vcc, 0, v[3:4]
	v_not_b32_e32 v4, v4
	v_ashrrev_i32_e32 v4, 31, v4
	v_and_b32_e32 v75, v75, v78
	v_xor_b32_e32 v78, vcc_hi, v4
	v_xor_b32_e32 v4, vcc_lo, v4
	v_and_b32_e32 v14, v14, v4
	v_lshlrev_b32_e32 v4, 27, v13
	v_cmp_gt_i64_e32 vcc, 0, v[3:4]
	v_not_b32_e32 v4, v4
	v_ashrrev_i32_e32 v4, 31, v4
	v_and_b32_e32 v75, v75, v78
	v_xor_b32_e32 v78, vcc_hi, v4
	v_xor_b32_e32 v4, vcc_lo, v4
	v_and_b32_e32 v14, v14, v4
	v_lshlrev_b32_e32 v4, 26, v13
	v_cmp_gt_i64_e32 vcc, 0, v[3:4]
	v_not_b32_e32 v4, v4
	v_ashrrev_i32_e32 v4, 31, v4
	v_and_b32_e32 v75, v75, v78
	v_xor_b32_e32 v78, vcc_hi, v4
	v_xor_b32_e32 v4, vcc_lo, v4
	v_and_b32_e32 v14, v14, v4
	v_lshlrev_b32_e32 v4, 25, v13
	v_cmp_gt_i64_e32 vcc, 0, v[3:4]
	v_not_b32_e32 v4, v4
	v_ashrrev_i32_e32 v4, 31, v4
	v_and_b32_e32 v75, v75, v78
	v_xor_b32_e32 v78, vcc_hi, v4
	v_xor_b32_e32 v4, vcc_lo, v4
	v_and_b32_e32 v75, v75, v78
	v_and_b32_e32 v78, v14, v4
	v_lshlrev_b32_e32 v4, 24, v13
	v_cmp_gt_i64_e32 vcc, 0, v[3:4]
	v_not_b32_e32 v4, v4
	v_ashrrev_i32_e32 v4, 31, v4
	v_mul_u32_u24_e32 v77, 20, v13
	v_xor_b32_e32 v13, vcc_hi, v4
	v_xor_b32_e32 v4, vcc_lo, v4
	v_and_b32_e32 v14, v75, v13
	v_and_b32_e32 v13, v78, v4
	v_mbcnt_lo_u32_b32 v4, v13, 0
	v_mbcnt_hi_u32_b32 v75, v14, v4
	v_cmp_ne_u64_e32 vcc, 0, v[13:14]
	v_cmp_eq_u32_e64 s[36:37], 0, v75
	s_and_b64 s[38:39], vcc, s[36:37]
	v_add_u32_e32 v78, v71, v77
	ds_write2_b32 v53, v3, v3 offset1:1
	ds_write2_b32 v54, v3, v3 offset1:1
	ds_write_b32 v50, v3 offset:1056
	s_waitcnt lgkmcnt(0)
	s_barrier
	; wave barrier
	s_and_saveexec_b64 s[36:37], s[38:39]
; %bb.167:                              ;   in Loop: Header=BB324_156 Depth=2
	v_bcnt_u32_b32 v4, v13, 0
	v_bcnt_u32_b32 v4, v14, v4
	ds_write_b32 v78, v4 offset:1040
; %bb.168:                              ;   in Loop: Header=BB324_156 Depth=2
	s_or_b64 exec, exec, s[36:37]
	v_xor_b32_e32 v76, 0x7f, v76
	v_lshrrev_b32_sdwa v4, s58, v76 dst_sel:DWORD dst_unused:UNUSED_PAD src0_sel:DWORD src1_sel:BYTE_0
	v_and_b32_e32 v13, s59, v4
	v_mad_u32_u24 v4, v13, 20, v71
	; wave barrier
	ds_read_b32 v77, v4 offset:1040
	v_and_b32_e32 v4, 1, v13
	v_add_co_u32_e32 v14, vcc, -1, v4
	v_addc_co_u32_e64 v79, s[36:37], 0, -1, vcc
	v_cmp_ne_u32_e32 vcc, 0, v4
	v_xor_b32_e32 v4, vcc_hi, v79
	v_and_b32_e32 v79, exec_hi, v4
	v_lshlrev_b32_e32 v4, 30, v13
	v_xor_b32_e32 v14, vcc_lo, v14
	v_cmp_gt_i64_e32 vcc, 0, v[3:4]
	v_not_b32_e32 v4, v4
	v_ashrrev_i32_e32 v4, 31, v4
	v_and_b32_e32 v14, exec_lo, v14
	v_xor_b32_e32 v81, vcc_hi, v4
	v_xor_b32_e32 v4, vcc_lo, v4
	v_and_b32_e32 v14, v14, v4
	v_lshlrev_b32_e32 v4, 29, v13
	v_cmp_gt_i64_e32 vcc, 0, v[3:4]
	v_not_b32_e32 v4, v4
	v_ashrrev_i32_e32 v4, 31, v4
	v_and_b32_e32 v79, v79, v81
	v_xor_b32_e32 v81, vcc_hi, v4
	v_xor_b32_e32 v4, vcc_lo, v4
	v_and_b32_e32 v14, v14, v4
	v_lshlrev_b32_e32 v4, 28, v13
	v_cmp_gt_i64_e32 vcc, 0, v[3:4]
	v_not_b32_e32 v4, v4
	v_ashrrev_i32_e32 v4, 31, v4
	v_and_b32_e32 v79, v79, v81
	;; [unrolled: 8-line block ×5, first 2 shown]
	v_xor_b32_e32 v81, vcc_hi, v4
	v_xor_b32_e32 v4, vcc_lo, v4
	v_and_b32_e32 v79, v79, v81
	v_and_b32_e32 v81, v14, v4
	v_lshlrev_b32_e32 v4, 24, v13
	v_cmp_gt_i64_e32 vcc, 0, v[3:4]
	v_not_b32_e32 v4, v4
	v_ashrrev_i32_e32 v4, 31, v4
	v_mul_u32_u24_e32 v80, 20, v13
	v_xor_b32_e32 v13, vcc_hi, v4
	v_xor_b32_e32 v4, vcc_lo, v4
	v_and_b32_e32 v14, v79, v13
	v_and_b32_e32 v13, v81, v4
	v_mbcnt_lo_u32_b32 v4, v13, 0
	v_mbcnt_hi_u32_b32 v79, v14, v4
	v_cmp_ne_u64_e32 vcc, 0, v[13:14]
	v_cmp_eq_u32_e64 s[36:37], 0, v79
	s_and_b64 s[38:39], vcc, s[36:37]
	v_add_u32_e32 v82, v71, v80
	; wave barrier
	s_and_saveexec_b64 s[36:37], s[38:39]
	s_cbranch_execz .LBB324_170
; %bb.169:                              ;   in Loop: Header=BB324_156 Depth=2
	v_bcnt_u32_b32 v4, v13, 0
	v_bcnt_u32_b32 v4, v14, v4
	s_waitcnt lgkmcnt(0)
	v_add_u32_e32 v4, v77, v4
	ds_write_b32 v82, v4 offset:1040
.LBB324_170:                            ;   in Loop: Header=BB324_156 Depth=2
	s_or_b64 exec, exec, s[36:37]
	v_xor_b32_e32 v80, 0x7f, v16
	v_lshrrev_b32_sdwa v4, s58, v80 dst_sel:DWORD dst_unused:UNUSED_PAD src0_sel:DWORD src1_sel:BYTE_0
	v_and_b32_e32 v13, s59, v4
	v_mad_u32_u24 v4, v13, 20, v71
	; wave barrier
	ds_read_b32 v81, v4 offset:1040
	v_and_b32_e32 v4, 1, v13
	v_add_co_u32_e32 v14, vcc, -1, v4
	v_addc_co_u32_e64 v83, s[36:37], 0, -1, vcc
	v_cmp_ne_u32_e32 vcc, 0, v4
	v_xor_b32_e32 v4, vcc_hi, v83
	v_and_b32_e32 v83, exec_hi, v4
	v_lshlrev_b32_e32 v4, 30, v13
	v_xor_b32_e32 v14, vcc_lo, v14
	v_cmp_gt_i64_e32 vcc, 0, v[3:4]
	v_not_b32_e32 v4, v4
	v_ashrrev_i32_e32 v4, 31, v4
	v_and_b32_e32 v14, exec_lo, v14
	v_xor_b32_e32 v84, vcc_hi, v4
	v_xor_b32_e32 v4, vcc_lo, v4
	v_and_b32_e32 v14, v14, v4
	v_lshlrev_b32_e32 v4, 29, v13
	v_cmp_gt_i64_e32 vcc, 0, v[3:4]
	v_not_b32_e32 v4, v4
	v_ashrrev_i32_e32 v4, 31, v4
	v_and_b32_e32 v83, v83, v84
	v_xor_b32_e32 v84, vcc_hi, v4
	v_xor_b32_e32 v4, vcc_lo, v4
	v_and_b32_e32 v14, v14, v4
	v_lshlrev_b32_e32 v4, 28, v13
	v_cmp_gt_i64_e32 vcc, 0, v[3:4]
	v_not_b32_e32 v4, v4
	v_ashrrev_i32_e32 v4, 31, v4
	v_and_b32_e32 v83, v83, v84
	;; [unrolled: 8-line block ×5, first 2 shown]
	v_xor_b32_e32 v84, vcc_hi, v4
	v_xor_b32_e32 v4, vcc_lo, v4
	v_and_b32_e32 v83, v83, v84
	v_and_b32_e32 v84, v14, v4
	v_lshlrev_b32_e32 v4, 24, v13
	v_cmp_gt_i64_e32 vcc, 0, v[3:4]
	v_not_b32_e32 v4, v4
	v_ashrrev_i32_e32 v4, 31, v4
	v_mul_u32_u24_e32 v16, 20, v13
	v_xor_b32_e32 v13, vcc_hi, v4
	v_xor_b32_e32 v4, vcc_lo, v4
	v_and_b32_e32 v14, v83, v13
	v_and_b32_e32 v13, v84, v4
	v_mbcnt_lo_u32_b32 v4, v13, 0
	v_mbcnt_hi_u32_b32 v83, v14, v4
	v_cmp_ne_u64_e32 vcc, 0, v[13:14]
	v_cmp_eq_u32_e64 s[36:37], 0, v83
	s_and_b64 s[38:39], vcc, s[36:37]
	v_add_u32_e32 v86, v71, v16
	; wave barrier
	s_and_saveexec_b64 s[36:37], s[38:39]
	s_cbranch_execz .LBB324_172
; %bb.171:                              ;   in Loop: Header=BB324_156 Depth=2
	v_bcnt_u32_b32 v4, v13, 0
	v_bcnt_u32_b32 v4, v14, v4
	s_waitcnt lgkmcnt(0)
	v_add_u32_e32 v4, v81, v4
	ds_write_b32 v86, v4 offset:1040
.LBB324_172:                            ;   in Loop: Header=BB324_156 Depth=2
	s_or_b64 exec, exec, s[36:37]
	v_xor_b32_e32 v84, 0x7f, v15
	v_lshrrev_b32_sdwa v4, s58, v84 dst_sel:DWORD dst_unused:UNUSED_PAD src0_sel:DWORD src1_sel:BYTE_0
	v_and_b32_e32 v13, s59, v4
	v_mad_u32_u24 v4, v13, 20, v71
	; wave barrier
	ds_read_b32 v85, v4 offset:1040
	v_and_b32_e32 v4, 1, v13
	v_add_co_u32_e32 v14, vcc, -1, v4
	v_addc_co_u32_e64 v16, s[36:37], 0, -1, vcc
	v_cmp_ne_u32_e32 vcc, 0, v4
	v_xor_b32_e32 v4, vcc_hi, v16
	v_and_b32_e32 v16, exec_hi, v4
	v_lshlrev_b32_e32 v4, 30, v13
	v_xor_b32_e32 v14, vcc_lo, v14
	v_cmp_gt_i64_e32 vcc, 0, v[3:4]
	v_not_b32_e32 v4, v4
	v_ashrrev_i32_e32 v4, 31, v4
	v_and_b32_e32 v14, exec_lo, v14
	v_xor_b32_e32 v87, vcc_hi, v4
	v_xor_b32_e32 v4, vcc_lo, v4
	v_and_b32_e32 v14, v14, v4
	v_lshlrev_b32_e32 v4, 29, v13
	v_cmp_gt_i64_e32 vcc, 0, v[3:4]
	v_not_b32_e32 v4, v4
	v_ashrrev_i32_e32 v4, 31, v4
	v_and_b32_e32 v16, v16, v87
	v_xor_b32_e32 v87, vcc_hi, v4
	v_xor_b32_e32 v4, vcc_lo, v4
	v_and_b32_e32 v14, v14, v4
	v_lshlrev_b32_e32 v4, 28, v13
	v_cmp_gt_i64_e32 vcc, 0, v[3:4]
	v_not_b32_e32 v4, v4
	v_ashrrev_i32_e32 v4, 31, v4
	v_and_b32_e32 v16, v16, v87
	;; [unrolled: 8-line block ×5, first 2 shown]
	v_xor_b32_e32 v87, vcc_hi, v4
	v_xor_b32_e32 v4, vcc_lo, v4
	v_and_b32_e32 v16, v16, v87
	v_and_b32_e32 v87, v14, v4
	v_lshlrev_b32_e32 v4, 24, v13
	v_cmp_gt_i64_e32 vcc, 0, v[3:4]
	v_not_b32_e32 v4, v4
	v_ashrrev_i32_e32 v4, 31, v4
	v_mul_u32_u24_e32 v15, 20, v13
	v_xor_b32_e32 v13, vcc_hi, v4
	v_xor_b32_e32 v4, vcc_lo, v4
	v_and_b32_e32 v14, v16, v13
	v_and_b32_e32 v13, v87, v4
	v_mbcnt_lo_u32_b32 v4, v13, 0
	v_mbcnt_hi_u32_b32 v4, v14, v4
	v_cmp_ne_u64_e32 vcc, 0, v[13:14]
	v_cmp_eq_u32_e64 s[36:37], 0, v4
	s_and_b64 s[38:39], vcc, s[36:37]
	v_add_u32_e32 v87, v71, v15
	; wave barrier
	s_and_saveexec_b64 s[36:37], s[38:39]
	s_cbranch_execz .LBB324_174
; %bb.173:                              ;   in Loop: Header=BB324_156 Depth=2
	v_bcnt_u32_b32 v13, v13, 0
	v_bcnt_u32_b32 v13, v14, v13
	s_waitcnt lgkmcnt(0)
	v_add_u32_e32 v13, v85, v13
	ds_write_b32 v87, v13 offset:1040
.LBB324_174:                            ;   in Loop: Header=BB324_156 Depth=2
	s_or_b64 exec, exec, s[36:37]
	; wave barrier
	s_waitcnt lgkmcnt(0)
	s_barrier
	ds_read2_b32 v[15:16], v53 offset1:1
	ds_read2_b32 v[13:14], v54 offset1:1
	ds_read_b32 v88, v50 offset:1056
	s_waitcnt lgkmcnt(1)
	v_add3_u32 v89, v16, v15, v13
	s_waitcnt lgkmcnt(0)
	v_add3_u32 v88, v89, v14, v88
	s_nop 1
	v_mov_b32_dpp v89, v88 row_shr:1 row_mask:0xf bank_mask:0xf
	v_cndmask_b32_e64 v89, v89, 0, s[16:17]
	v_add_u32_e32 v88, v89, v88
	s_nop 1
	v_mov_b32_dpp v89, v88 row_shr:2 row_mask:0xf bank_mask:0xf
	v_cndmask_b32_e64 v89, 0, v89, s[18:19]
	v_add_u32_e32 v88, v88, v89
	s_nop 1
	v_mov_b32_dpp v89, v88 row_shr:4 row_mask:0xf bank_mask:0xf
	v_cndmask_b32_e64 v89, 0, v89, s[20:21]
	v_add_u32_e32 v88, v88, v89
	s_nop 1
	v_mov_b32_dpp v89, v88 row_shr:8 row_mask:0xf bank_mask:0xf
	v_cndmask_b32_e64 v89, 0, v89, s[22:23]
	v_add_u32_e32 v88, v88, v89
	s_nop 1
	v_mov_b32_dpp v89, v88 row_bcast:15 row_mask:0xf bank_mask:0xf
	v_cndmask_b32_e64 v89, v89, 0, s[24:25]
	v_add_u32_e32 v88, v88, v89
	s_nop 1
	v_mov_b32_dpp v89, v88 row_bcast:31 row_mask:0xf bank_mask:0xf
	v_cndmask_b32_e64 v89, 0, v89, s[26:27]
	v_add_u32_e32 v88, v88, v89
	s_and_saveexec_b64 s[36:37], s[6:7]
; %bb.175:                              ;   in Loop: Header=BB324_156 Depth=2
	ds_write_b32 v26, v88 offset:1024
; %bb.176:                              ;   in Loop: Header=BB324_156 Depth=2
	s_or_b64 exec, exec, s[36:37]
	s_waitcnt lgkmcnt(0)
	s_barrier
	s_and_saveexec_b64 s[36:37], s[8:9]
	s_cbranch_execz .LBB324_178
; %bb.177:                              ;   in Loop: Header=BB324_156 Depth=2
	v_add_u32_e32 v89, v50, v28
	ds_read_b32 v90, v89 offset:1024
	s_waitcnt lgkmcnt(0)
	s_nop 0
	v_mov_b32_dpp v91, v90 row_shr:1 row_mask:0xf bank_mask:0xf
	v_cndmask_b32_e64 v91, v91, 0, s[30:31]
	v_add_u32_e32 v90, v91, v90
	s_nop 1
	v_mov_b32_dpp v91, v90 row_shr:2 row_mask:0xf bank_mask:0xf
	v_cndmask_b32_e64 v91, 0, v91, s[34:35]
	v_add_u32_e32 v90, v90, v91
	ds_write_b32 v89, v90 offset:1024
.LBB324_178:                            ;   in Loop: Header=BB324_156 Depth=2
	s_or_b64 exec, exec, s[36:37]
	v_mov_b32_e32 v89, 0
	s_waitcnt lgkmcnt(0)
	s_barrier
	s_and_saveexec_b64 s[36:37], s[10:11]
; %bb.179:                              ;   in Loop: Header=BB324_156 Depth=2
	ds_read_b32 v89, v26 offset:1020
; %bb.180:                              ;   in Loop: Header=BB324_156 Depth=2
	s_or_b64 exec, exec, s[36:37]
	s_waitcnt lgkmcnt(0)
	v_add_u32_e32 v88, v89, v88
	ds_bpermute_b32 v88, v64, v88
	s_waitcnt lgkmcnt(0)
	v_cndmask_b32_e64 v88, v88, v89, s[28:29]
	v_cndmask_b32_e64 v88, v88, 0, s[12:13]
	v_add_u32_e32 v15, v88, v15
	v_add_u32_e32 v16, v15, v16
	;; [unrolled: 1-line block ×4, first 2 shown]
	ds_write2_b32 v53, v88, v15 offset1:1
	ds_write2_b32 v54, v16, v13 offset1:1
	ds_write_b32 v50, v14 offset:1056
	s_waitcnt lgkmcnt(0)
	s_barrier
	ds_read_b32 v13, v78 offset:1040
	ds_read_b32 v14, v82 offset:1040
	ds_read_b32 v16, v86 offset:1040
	ds_read_b32 v82, v87 offset:1040
	ds_read_b32 v15, v50 offset:1040
	v_mov_b32_e32 v78, 0x400
	s_and_saveexec_b64 s[36:37], s[14:15]
; %bb.181:                              ;   in Loop: Header=BB324_156 Depth=2
	ds_read_b32 v78, v50 offset:1060
; %bb.182:                              ;   in Loop: Header=BB324_156 Depth=2
	s_or_b64 exec, exec, s[36:37]
	s_waitcnt lgkmcnt(0)
	s_barrier
	s_and_saveexec_b64 s[36:37], s[4:5]
	s_cbranch_execz .LBB324_184
; %bb.183:                              ;   in Loop: Header=BB324_156 Depth=2
	ds_read_b32 v86, v18
	s_waitcnt lgkmcnt(0)
	v_sub_u32_e32 v15, v86, v15
	ds_write_b32 v18, v15
.LBB324_184:                            ;   in Loop: Header=BB324_156 Depth=2
	s_or_b64 exec, exec, s[36:37]
	v_add_u32_e32 v15, v13, v75
	v_add3_u32 v14, v79, v77, v14
	v_add3_u32 v13, v83, v81, v16
	;; [unrolled: 1-line block ×3, first 2 shown]
	v_cmp_lt_u32_e64 s[40:41], v0, v74
	ds_write_b8 v15, v17 offset:1024
	ds_write_b8 v14, v76 offset:1024
	;; [unrolled: 1-line block ×4, first 2 shown]
	s_waitcnt lgkmcnt(0)
	s_barrier
	s_and_saveexec_b64 s[36:37], s[40:41]
	s_cbranch_execnz .LBB324_205
; %bb.185:                              ;   in Loop: Header=BB324_156 Depth=2
	s_or_b64 exec, exec, s[36:37]
	v_cmp_lt_u32_e64 s[38:39], v19, v74
	s_and_saveexec_b64 s[36:37], s[38:39]
	s_cbranch_execnz .LBB324_206
.LBB324_186:                            ;   in Loop: Header=BB324_156 Depth=2
	s_or_b64 exec, exec, s[36:37]
	v_cmp_lt_u32_e64 s[36:37], v20, v74
	s_and_saveexec_b64 s[42:43], s[36:37]
	s_cbranch_execnz .LBB324_207
.LBB324_187:                            ;   in Loop: Header=BB324_156 Depth=2
	s_or_b64 exec, exec, s[42:43]
	v_cmp_lt_u32_e32 vcc, v21, v74
	s_and_saveexec_b64 s[42:43], vcc
	s_cbranch_execz .LBB324_189
.LBB324_188:                            ;   in Loop: Header=BB324_156 Depth=2
	ds_read_u8 v16, v0 offset:1792
	s_waitcnt lgkmcnt(0)
	v_lshrrev_b32_sdwa v17, s58, v16 dst_sel:DWORD dst_unused:UNUSED_PAD src0_sel:DWORD src1_sel:BYTE_0
	v_and_b32_e32 v17, s59, v17
	v_lshlrev_b32_e32 v17, 2, v17
	ds_read_b32 v17, v17
	v_xor_b32_e32 v16, 0x7f, v16
	s_waitcnt lgkmcnt(0)
	v_add_u32_e32 v17, v17, v21
	global_store_byte v17, v16, s[68:69]
.LBB324_189:                            ;   in Loop: Header=BB324_156 Depth=2
	s_or_b64 exec, exec, s[42:43]
	s_lshl_b64 s[42:43], s[46:47], 3
	v_mov_b32_e32 v17, s43
	v_add_co_u32_e64 v16, s[42:43], s42, v65
	v_addc_co_u32_e64 v17, s[42:43], v66, v17, s[42:43]
	v_cmp_lt_u32_e64 s[42:43], v47, v74
	s_and_saveexec_b64 s[56:57], s[42:43]
	s_xor_b64 s[42:43], exec, s[56:57]
	s_cbranch_execnz .LBB324_208
; %bb.190:                              ;   in Loop: Header=BB324_156 Depth=2
	s_or_b64 exec, exec, s[42:43]
	v_cmp_lt_u32_e64 s[42:43], v61, v74
	s_and_saveexec_b64 s[56:57], s[42:43]
	s_cbranch_execnz .LBB324_209
.LBB324_191:                            ;   in Loop: Header=BB324_156 Depth=2
	s_or_b64 exec, exec, s[56:57]
	v_cmp_lt_u32_e64 s[42:43], v62, v74
	s_and_saveexec_b64 s[56:57], s[42:43]
	s_cbranch_execnz .LBB324_210
.LBB324_192:                            ;   in Loop: Header=BB324_156 Depth=2
	s_or_b64 exec, exec, s[56:57]
	v_cmp_lt_u32_e64 s[42:43], v63, v74
	s_and_saveexec_b64 s[56:57], s[42:43]
	s_cbranch_execnz .LBB324_211
.LBB324_193:                            ;   in Loop: Header=BB324_156 Depth=2
	s_or_b64 exec, exec, s[56:57]
	s_and_saveexec_b64 s[42:43], s[40:41]
	s_cbranch_execnz .LBB324_212
.LBB324_194:                            ;   in Loop: Header=BB324_156 Depth=2
	s_or_b64 exec, exec, s[42:43]
	s_and_saveexec_b64 s[42:43], s[38:39]
	s_cbranch_execnz .LBB324_213
.LBB324_195:                            ;   in Loop: Header=BB324_156 Depth=2
	s_or_b64 exec, exec, s[42:43]
	s_and_saveexec_b64 s[42:43], s[36:37]
	s_cbranch_execnz .LBB324_214
.LBB324_196:                            ;   in Loop: Header=BB324_156 Depth=2
	s_or_b64 exec, exec, s[42:43]
	s_and_saveexec_b64 s[42:43], vcc
	s_cbranch_execz .LBB324_198
.LBB324_197:                            ;   in Loop: Header=BB324_156 Depth=2
	ds_read_u8 v16, v0 offset:1792
	s_waitcnt lgkmcnt(0)
	v_lshrrev_b32_e32 v16, s58, v16
	v_and_b32_e32 v69, s59, v16
.LBB324_198:                            ;   in Loop: Header=BB324_156 Depth=2
	s_or_b64 exec, exec, s[42:43]
	v_mad_u64_u32 v[15:16], s[42:43], v15, 7, v[15:16]
	s_waitcnt vmcnt(0)
	v_mad_u64_u32 v[74:75], s[42:43], v4, 7, v[4:5]
	v_mad_u64_u32 v[16:17], s[42:43], v14, 7, v[14:15]
	;; [unrolled: 1-line block ×3, first 2 shown]
	s_barrier
	ds_write_b64 v15, v[11:12] offset:1024
	ds_write_b64 v16, v[9:10] offset:1024
	;; [unrolled: 1-line block ×4, first 2 shown]
	s_waitcnt lgkmcnt(0)
	s_barrier
	s_and_saveexec_b64 s[42:43], s[40:41]
	s_cbranch_execnz .LBB324_215
; %bb.199:                              ;   in Loop: Header=BB324_156 Depth=2
	s_or_b64 exec, exec, s[42:43]
	s_and_saveexec_b64 s[40:41], s[38:39]
	s_cbranch_execnz .LBB324_216
.LBB324_200:                            ;   in Loop: Header=BB324_156 Depth=2
	s_or_b64 exec, exec, s[40:41]
	s_and_saveexec_b64 s[38:39], s[36:37]
	s_cbranch_execnz .LBB324_217
.LBB324_201:                            ;   in Loop: Header=BB324_156 Depth=2
	s_or_b64 exec, exec, s[38:39]
	s_and_saveexec_b64 s[36:37], vcc
	s_cbranch_execz .LBB324_203
.LBB324_202:                            ;   in Loop: Header=BB324_156 Depth=2
	v_lshlrev_b32_e32 v4, 2, v69
	ds_read_b32 v4, v4
	v_add_u32_e32 v13, v0, v51
	ds_read_b64 v[13:14], v13 offset:7168
	v_mov_b32_e32 v16, v3
	v_mov_b32_e32 v17, s55
	s_waitcnt lgkmcnt(1)
	v_add_u32_e32 v15, v4, v21
	v_lshlrev_b64 v[15:16], 3, v[15:16]
	v_add_co_u32_e32 v15, vcc, s54, v15
	v_addc_co_u32_e32 v16, vcc, v17, v16, vcc
	s_waitcnt lgkmcnt(0)
	global_store_dwordx2 v[15:16], v[13:14], off
.LBB324_203:                            ;   in Loop: Header=BB324_156 Depth=2
	s_or_b64 exec, exec, s[36:37]
	s_waitcnt vmcnt(0)
	s_barrier
	s_and_saveexec_b64 s[36:37], s[4:5]
	s_cbranch_execz .LBB324_155
; %bb.204:                              ;   in Loop: Header=BB324_156 Depth=2
	ds_read_b32 v4, v18
	s_waitcnt lgkmcnt(0)
	v_add_u32_e32 v4, v4, v78
	ds_write_b32 v18, v4
	s_branch .LBB324_155
.LBB324_205:                            ;   in Loop: Header=BB324_156 Depth=2
	ds_read_u8 v16, v0 offset:1024
	s_waitcnt lgkmcnt(0)
	v_lshrrev_b32_sdwa v17, s58, v16 dst_sel:DWORD dst_unused:UNUSED_PAD src0_sel:DWORD src1_sel:BYTE_0
	v_and_b32_e32 v17, s59, v17
	v_lshlrev_b32_e32 v17, 2, v17
	ds_read_b32 v17, v17
	v_xor_b32_e32 v16, 0x7f, v16
	s_waitcnt lgkmcnt(0)
	v_add_u32_e32 v17, v17, v0
	global_store_byte v17, v16, s[68:69]
	s_or_b64 exec, exec, s[36:37]
	v_cmp_lt_u32_e64 s[38:39], v19, v74
	s_and_saveexec_b64 s[36:37], s[38:39]
	s_cbranch_execz .LBB324_186
.LBB324_206:                            ;   in Loop: Header=BB324_156 Depth=2
	ds_read_u8 v16, v0 offset:1280
	s_waitcnt lgkmcnt(0)
	v_lshrrev_b32_sdwa v17, s58, v16 dst_sel:DWORD dst_unused:UNUSED_PAD src0_sel:DWORD src1_sel:BYTE_0
	v_and_b32_e32 v17, s59, v17
	v_lshlrev_b32_e32 v17, 2, v17
	ds_read_b32 v17, v17
	v_xor_b32_e32 v16, 0x7f, v16
	s_waitcnt lgkmcnt(0)
	v_add_u32_e32 v17, v17, v19
	global_store_byte v17, v16, s[68:69]
	s_or_b64 exec, exec, s[36:37]
	v_cmp_lt_u32_e64 s[36:37], v20, v74
	s_and_saveexec_b64 s[42:43], s[36:37]
	s_cbranch_execz .LBB324_187
.LBB324_207:                            ;   in Loop: Header=BB324_156 Depth=2
	ds_read_u8 v16, v0 offset:1536
	s_waitcnt lgkmcnt(0)
	v_lshrrev_b32_sdwa v17, s58, v16 dst_sel:DWORD dst_unused:UNUSED_PAD src0_sel:DWORD src1_sel:BYTE_0
	v_and_b32_e32 v17, s59, v17
	v_lshlrev_b32_e32 v17, 2, v17
	ds_read_b32 v17, v17
	v_xor_b32_e32 v16, 0x7f, v16
	s_waitcnt lgkmcnt(0)
	v_add_u32_e32 v17, v17, v20
	global_store_byte v17, v16, s[68:69]
	s_or_b64 exec, exec, s[42:43]
	v_cmp_lt_u32_e32 vcc, v21, v74
	s_and_saveexec_b64 s[42:43], vcc
	s_cbranch_execnz .LBB324_188
	s_branch .LBB324_189
.LBB324_208:                            ;   in Loop: Header=BB324_156 Depth=2
	global_load_dwordx2 v[11:12], v[16:17], off
	s_or_b64 exec, exec, s[42:43]
	v_cmp_lt_u32_e64 s[42:43], v61, v74
	s_and_saveexec_b64 s[56:57], s[42:43]
	s_cbranch_execz .LBB324_191
.LBB324_209:                            ;   in Loop: Header=BB324_156 Depth=2
	global_load_dwordx2 v[9:10], v[16:17], off offset:512
	s_or_b64 exec, exec, s[56:57]
	v_cmp_lt_u32_e64 s[42:43], v62, v74
	s_and_saveexec_b64 s[56:57], s[42:43]
	s_cbranch_execz .LBB324_192
.LBB324_210:                            ;   in Loop: Header=BB324_156 Depth=2
	global_load_dwordx2 v[7:8], v[16:17], off offset:1024
	s_or_b64 exec, exec, s[56:57]
	v_cmp_lt_u32_e64 s[42:43], v63, v74
	s_and_saveexec_b64 s[56:57], s[42:43]
	s_cbranch_execz .LBB324_193
.LBB324_211:                            ;   in Loop: Header=BB324_156 Depth=2
	global_load_dwordx2 v[5:6], v[16:17], off offset:1536
	s_or_b64 exec, exec, s[56:57]
	s_and_saveexec_b64 s[42:43], s[40:41]
	s_cbranch_execz .LBB324_194
.LBB324_212:                            ;   in Loop: Header=BB324_156 Depth=2
	ds_read_u8 v16, v0 offset:1024
	s_waitcnt lgkmcnt(0)
	v_lshrrev_b32_e32 v16, s58, v16
	v_and_b32_e32 v73, s59, v16
	s_or_b64 exec, exec, s[42:43]
	s_and_saveexec_b64 s[42:43], s[38:39]
	s_cbranch_execz .LBB324_195
.LBB324_213:                            ;   in Loop: Header=BB324_156 Depth=2
	ds_read_u8 v16, v0 offset:1280
	s_waitcnt lgkmcnt(0)
	v_lshrrev_b32_e32 v16, s58, v16
	v_and_b32_e32 v72, s59, v16
	s_or_b64 exec, exec, s[42:43]
	s_and_saveexec_b64 s[42:43], s[36:37]
	s_cbranch_execz .LBB324_196
.LBB324_214:                            ;   in Loop: Header=BB324_156 Depth=2
	ds_read_u8 v16, v0 offset:1536
	s_waitcnt lgkmcnt(0)
	v_lshrrev_b32_e32 v16, s58, v16
	v_and_b32_e32 v70, s59, v16
	s_or_b64 exec, exec, s[42:43]
	s_and_saveexec_b64 s[42:43], vcc
	s_cbranch_execnz .LBB324_197
	s_branch .LBB324_198
.LBB324_215:                            ;   in Loop: Header=BB324_156 Depth=2
	v_lshlrev_b32_e32 v4, 2, v73
	ds_read_b32 v4, v4
	v_add_u32_e32 v13, v0, v51
	ds_read_b64 v[13:14], v13 offset:1024
	v_mov_b32_e32 v16, v3
	v_mov_b32_e32 v17, s55
	s_waitcnt lgkmcnt(1)
	v_add_u32_e32 v15, v4, v0
	v_lshlrev_b64 v[15:16], 3, v[15:16]
	v_add_co_u32_e64 v15, s[40:41], s54, v15
	v_addc_co_u32_e64 v16, s[40:41], v17, v16, s[40:41]
	s_waitcnt lgkmcnt(0)
	global_store_dwordx2 v[15:16], v[13:14], off
	s_or_b64 exec, exec, s[42:43]
	s_and_saveexec_b64 s[40:41], s[38:39]
	s_cbranch_execz .LBB324_200
.LBB324_216:                            ;   in Loop: Header=BB324_156 Depth=2
	v_lshlrev_b32_e32 v4, 2, v72
	ds_read_b32 v4, v4
	v_add_u32_e32 v13, v0, v51
	ds_read_b64 v[13:14], v13 offset:3072
	v_mov_b32_e32 v16, v3
	v_mov_b32_e32 v17, s55
	s_waitcnt lgkmcnt(1)
	v_add_u32_e32 v15, v4, v19
	v_lshlrev_b64 v[15:16], 3, v[15:16]
	v_add_co_u32_e64 v15, s[38:39], s54, v15
	v_addc_co_u32_e64 v16, s[38:39], v17, v16, s[38:39]
	s_waitcnt lgkmcnt(0)
	global_store_dwordx2 v[15:16], v[13:14], off
	s_or_b64 exec, exec, s[40:41]
	s_and_saveexec_b64 s[38:39], s[36:37]
	s_cbranch_execz .LBB324_201
.LBB324_217:                            ;   in Loop: Header=BB324_156 Depth=2
	v_lshlrev_b32_e32 v4, 2, v70
	ds_read_b32 v4, v4
	v_add_u32_e32 v13, v0, v51
	ds_read_b64 v[13:14], v13 offset:5120
	v_mov_b32_e32 v16, v3
	v_mov_b32_e32 v17, s55
	s_waitcnt lgkmcnt(1)
	v_add_u32_e32 v15, v4, v20
	v_lshlrev_b64 v[15:16], 3, v[15:16]
	v_add_co_u32_e64 v15, s[36:37], s54, v15
	v_addc_co_u32_e64 v16, s[36:37], v17, v16, s[36:37]
	s_waitcnt lgkmcnt(0)
	global_store_dwordx2 v[15:16], v[13:14], off
	s_or_b64 exec, exec, s[38:39]
	s_and_saveexec_b64 s[36:37], vcc
	s_cbranch_execnz .LBB324_202
	s_branch .LBB324_203
.LBB324_218:                            ;   in Loop: Header=BB324_156 Depth=2
	global_load_ubyte v4, v[13:14], off
	v_mov_b32_e32 v15, 0x80
	v_mov_b32_e32 v76, 0x80
	;; [unrolled: 1-line block ×3, first 2 shown]
	s_or_b64 exec, exec, s[36:37]
	v_cmp_gt_u32_e32 vcc, s60, v61
	s_and_saveexec_b64 s[36:37], vcc
	s_cbranch_execz .LBB324_161
.LBB324_219:                            ;   in Loop: Header=BB324_156 Depth=2
	global_load_ubyte v76, v[13:14], off offset:64
	s_or_b64 exec, exec, s[36:37]
	v_cmp_gt_u32_e32 vcc, s60, v62
	s_and_saveexec_b64 s[36:37], vcc
	s_cbranch_execnz .LBB324_162
	s_branch .LBB324_163
.LBB324_220:                            ;   in Loop: Header=BB324_20 Depth=1
	s_waitcnt lgkmcnt(0)
	s_barrier
.LBB324_221:                            ;   in Loop: Header=BB324_20 Depth=1
	s_mov_b64 s[16:17], 0
.LBB324_222:                            ;   in Loop: Header=BB324_20 Depth=1
	s_andn2_b64 vcc, exec, s[16:17]
	s_cbranch_vccnz .LBB324_19
; %bb.223:                              ;   in Loop: Header=BB324_20 Depth=1
	s_mov_b64 s[16:17], -1
	s_and_b64 vcc, exec, s[50:51]
	s_cbranch_vccz .LBB324_323
; %bb.224:                              ;   in Loop: Header=BB324_20 Depth=1
	v_mov_b32_e32 v4, 0
	s_mov_b32 s18, s75
	s_mov_b32 s20, s49
	v_mov_b32_e32 v7, 0
	v_mov_b32_e32 v6, 0
	;; [unrolled: 1-line block ×3, first 2 shown]
	s_barrier
	s_branch .LBB324_226
.LBB324_225:                            ;   in Loop: Header=BB324_226 Depth=2
	s_or_b64 exec, exec, s[16:17]
	s_addk_i32 s18, 0xfc00
	s_cmp_ge_u32 s19, s76
	s_mov_b32 s20, s19
	s_cbranch_scc1 .LBB324_246
.LBB324_226:                            ;   Parent Loop BB324_20 Depth=1
                                        ; =>  This Inner Loop Header: Depth=2
	s_add_i32 s19, s20, 0x400
	s_cmp_gt_u32 s19, s76
	s_mov_b64 s[16:17], -1
                                        ; implicit-def: $vgpr8
                                        ; implicit-def: $vgpr9
                                        ; implicit-def: $vgpr10
                                        ; implicit-def: $vgpr11
	s_cbranch_scc1 .LBB324_228
; %bb.227:                              ;   in Loop: Header=BB324_226 Depth=2
	v_add_co_u32_e32 v12, vcc, s20, v39
	v_addc_co_u32_e32 v13, vcc, 0, v40, vcc
	global_load_ubyte v11, v[12:13], off offset:768
	global_load_ubyte v10, v[12:13], off offset:512
	;; [unrolled: 1-line block ×3, first 2 shown]
	global_load_ubyte v8, v[12:13], off
	s_mov_b64 s[16:17], 0
.LBB324_228:                            ;   in Loop: Header=BB324_226 Depth=2
	s_andn2_b64 vcc, exec, s[16:17]
	s_movk_i32 s21, 0x400
	s_cbranch_vccnz .LBB324_235
; %bb.229:                              ;   in Loop: Header=BB324_226 Depth=2
	s_add_u32 s20, s64, s20
	s_addc_u32 s21, s65, 0
	v_cmp_gt_u32_e32 vcc, s18, v0
	s_and_saveexec_b64 s[16:17], vcc
	s_cbranch_execnz .LBB324_243
; %bb.230:                              ;   in Loop: Header=BB324_226 Depth=2
	s_or_b64 exec, exec, s[16:17]
	v_cmp_gt_u32_e32 vcc, s18, v19
	s_and_saveexec_b64 s[16:17], vcc
	s_cbranch_execnz .LBB324_244
.LBB324_231:                            ;   in Loop: Header=BB324_226 Depth=2
	s_or_b64 exec, exec, s[16:17]
	v_cmp_gt_u32_e32 vcc, s18, v20
	s_and_saveexec_b64 s[16:17], vcc
	s_cbranch_execnz .LBB324_245
.LBB324_232:                            ;   in Loop: Header=BB324_226 Depth=2
	s_or_b64 exec, exec, s[16:17]
	v_cmp_gt_u32_e32 vcc, s18, v21
	s_and_saveexec_b64 s[16:17], vcc
	s_cbranch_execz .LBB324_234
.LBB324_233:                            ;   in Loop: Header=BB324_226 Depth=2
	v_mov_b32_e32 v5, s21
	s_waitcnt vmcnt(0)
	v_add_co_u32_e32 v8, vcc, s20, v0
	v_addc_co_u32_e32 v9, vcc, 0, v5, vcc
	global_load_ubyte v5, v[8:9], off offset:768
.LBB324_234:                            ;   in Loop: Header=BB324_226 Depth=2
	s_or_b64 exec, exec, s[16:17]
	s_mov_b32 s21, s18
	s_waitcnt vmcnt(0)
	v_mov_b32_e32 v8, v4
	v_mov_b32_e32 v9, v7
	;; [unrolled: 1-line block ×4, first 2 shown]
.LBB324_235:                            ;   in Loop: Header=BB324_226 Depth=2
	s_waitcnt vmcnt(3)
	v_mov_b32_e32 v5, v11
	s_waitcnt vmcnt(2)
	v_mov_b32_e32 v6, v10
	;; [unrolled: 2-line block ×4, first 2 shown]
	v_cmp_gt_u32_e32 vcc, s21, v0
	s_and_saveexec_b64 s[16:17], vcc
	s_cbranch_execnz .LBB324_239
; %bb.236:                              ;   in Loop: Header=BB324_226 Depth=2
	s_or_b64 exec, exec, s[16:17]
	v_cmp_gt_u32_e32 vcc, s21, v19
	s_and_saveexec_b64 s[16:17], vcc
	s_cbranch_execnz .LBB324_240
.LBB324_237:                            ;   in Loop: Header=BB324_226 Depth=2
	s_or_b64 exec, exec, s[16:17]
	v_cmp_gt_u32_e32 vcc, s21, v20
	s_and_saveexec_b64 s[16:17], vcc
	s_cbranch_execnz .LBB324_241
.LBB324_238:                            ;   in Loop: Header=BB324_226 Depth=2
	s_or_b64 exec, exec, s[16:17]
	v_cmp_gt_u32_e32 vcc, s21, v21
	s_and_saveexec_b64 s[16:17], vcc
	s_cbranch_execz .LBB324_225
	s_branch .LBB324_242
.LBB324_239:                            ;   in Loop: Header=BB324_226 Depth=2
	v_xor_b32_e32 v8, 0x7f, v4
	v_lshrrev_b32_sdwa v8, s73, v8 dst_sel:DWORD dst_unused:UNUSED_PAD src0_sel:DWORD src1_sel:BYTE_0
	v_and_b32_e32 v8, s59, v8
	v_lshl_or_b32 v8, v8, 4, v24
	ds_add_u32 v8, v52
	s_or_b64 exec, exec, s[16:17]
	v_cmp_gt_u32_e32 vcc, s21, v19
	s_and_saveexec_b64 s[16:17], vcc
	s_cbranch_execz .LBB324_237
.LBB324_240:                            ;   in Loop: Header=BB324_226 Depth=2
	v_xor_b32_e32 v8, 0x7f, v7
	v_lshrrev_b32_sdwa v8, s73, v8 dst_sel:DWORD dst_unused:UNUSED_PAD src0_sel:DWORD src1_sel:BYTE_0
	v_and_b32_e32 v8, s59, v8
	v_lshl_or_b32 v8, v8, 4, v24
	ds_add_u32 v8, v52
	s_or_b64 exec, exec, s[16:17]
	v_cmp_gt_u32_e32 vcc, s21, v20
	s_and_saveexec_b64 s[16:17], vcc
	s_cbranch_execz .LBB324_238
.LBB324_241:                            ;   in Loop: Header=BB324_226 Depth=2
	v_xor_b32_e32 v8, 0x7f, v6
	v_lshrrev_b32_sdwa v8, s73, v8 dst_sel:DWORD dst_unused:UNUSED_PAD src0_sel:DWORD src1_sel:BYTE_0
	v_and_b32_e32 v8, s59, v8
	v_lshl_or_b32 v8, v8, 4, v24
	ds_add_u32 v8, v52
	s_or_b64 exec, exec, s[16:17]
	v_cmp_gt_u32_e32 vcc, s21, v21
	s_and_saveexec_b64 s[16:17], vcc
	s_cbranch_execz .LBB324_225
.LBB324_242:                            ;   in Loop: Header=BB324_226 Depth=2
	v_xor_b32_e32 v8, 0x7f, v5
	v_lshrrev_b32_sdwa v8, s73, v8 dst_sel:DWORD dst_unused:UNUSED_PAD src0_sel:DWORD src1_sel:BYTE_0
	v_and_b32_e32 v8, s59, v8
	v_lshl_or_b32 v8, v8, 4, v24
	ds_add_u32 v8, v52
	s_branch .LBB324_225
.LBB324_243:                            ;   in Loop: Header=BB324_226 Depth=2
	v_mov_b32_e32 v4, s21
	s_waitcnt vmcnt(0)
	v_add_co_u32_e32 v8, vcc, s20, v0
	v_addc_co_u32_e32 v9, vcc, 0, v4, vcc
	global_load_ubyte v4, v[8:9], off
	s_or_b64 exec, exec, s[16:17]
	v_cmp_gt_u32_e32 vcc, s18, v19
	s_and_saveexec_b64 s[16:17], vcc
	s_cbranch_execz .LBB324_231
.LBB324_244:                            ;   in Loop: Header=BB324_226 Depth=2
	s_waitcnt vmcnt(0)
	v_mov_b32_e32 v8, s21
	v_add_co_u32_e32 v7, vcc, s20, v0
	v_addc_co_u32_e32 v8, vcc, 0, v8, vcc
	global_load_ubyte v7, v[7:8], off offset:256
	s_or_b64 exec, exec, s[16:17]
	v_cmp_gt_u32_e32 vcc, s18, v20
	s_and_saveexec_b64 s[16:17], vcc
	s_cbranch_execz .LBB324_232
.LBB324_245:                            ;   in Loop: Header=BB324_226 Depth=2
	v_mov_b32_e32 v6, s21
	s_waitcnt vmcnt(0)
	v_add_co_u32_e32 v8, vcc, s20, v0
	v_addc_co_u32_e32 v9, vcc, 0, v6, vcc
	global_load_ubyte v6, v[8:9], off offset:512
	s_or_b64 exec, exec, s[16:17]
	v_cmp_gt_u32_e32 vcc, s18, v21
	s_and_saveexec_b64 s[16:17], vcc
	s_cbranch_execnz .LBB324_233
	s_branch .LBB324_234
.LBB324_246:                            ;   in Loop: Header=BB324_20 Depth=1
	v_mov_b32_e32 v4, 0
	s_waitcnt lgkmcnt(0)
	s_barrier
	s_and_saveexec_b64 s[16:17], s[4:5]
	s_cbranch_execz .LBB324_248
; %bb.247:                              ;   in Loop: Header=BB324_20 Depth=1
	ds_read2_b64 v[4:7], v25 offset1:1
	s_waitcnt lgkmcnt(0)
	v_add_u32_e32 v4, v5, v4
	v_add3_u32 v4, v4, v6, v7
.LBB324_248:                            ;   in Loop: Header=BB324_20 Depth=1
	s_or_b64 exec, exec, s[16:17]
	s_nop 0
	v_mov_b32_dpp v5, v4 row_shr:1 row_mask:0xf bank_mask:0xf
	v_cmp_eq_u32_e64 s[16:17], 0, v55
	v_cndmask_b32_e64 v5, v5, 0, s[16:17]
	v_add_u32_e32 v4, v5, v4
	v_cmp_lt_u32_e64 s[18:19], 1, v55
	v_cmp_lt_u32_e64 s[20:21], 3, v55
	v_mov_b32_dpp v5, v4 row_shr:2 row_mask:0xf bank_mask:0xf
	v_cndmask_b32_e64 v5, 0, v5, s[18:19]
	v_add_u32_e32 v4, v4, v5
	v_cmp_lt_u32_e64 s[22:23], 7, v55
	v_cmp_lt_u32_e64 s[26:27], 31, v45
	v_mov_b32_dpp v5, v4 row_shr:4 row_mask:0xf bank_mask:0xf
	v_cndmask_b32_e64 v5, 0, v5, s[20:21]
	v_add_u32_e32 v4, v4, v5
	v_cmp_eq_u32_e64 s[24:25], 0, v57
	s_nop 0
	v_mov_b32_dpp v5, v4 row_shr:8 row_mask:0xf bank_mask:0xf
	v_cndmask_b32_e64 v5, 0, v5, s[22:23]
	v_add_u32_e32 v4, v4, v5
	s_nop 1
	v_mov_b32_dpp v5, v4 row_bcast:15 row_mask:0xf bank_mask:0xf
	v_and_b32_e32 v5, v56, v5
	v_add_u32_e32 v4, v4, v5
	s_nop 1
	v_mov_b32_dpp v5, v4 row_bcast:31 row_mask:0xf bank_mask:0xf
	v_cndmask_b32_e64 v5, 0, v5, s[26:27]
	v_add_u32_e32 v4, v4, v5
	s_and_saveexec_b64 s[28:29], s[6:7]
; %bb.249:                              ;   in Loop: Header=BB324_20 Depth=1
	ds_write_b32 v27, v4
; %bb.250:                              ;   in Loop: Header=BB324_20 Depth=1
	s_or_b64 exec, exec, s[28:29]
	s_waitcnt lgkmcnt(0)
	s_barrier
	s_and_saveexec_b64 s[28:29], s[8:9]
	s_cbranch_execz .LBB324_252
; %bb.251:                              ;   in Loop: Header=BB324_20 Depth=1
	ds_read_b32 v5, v48
	v_cmp_ne_u32_e32 vcc, 0, v58
	s_waitcnt lgkmcnt(0)
	v_mov_b32_dpp v6, v5 row_shr:1 row_mask:0xf bank_mask:0xf
	v_cndmask_b32_e32 v6, 0, v6, vcc
	v_add_u32_e32 v5, v6, v5
	v_cmp_lt_u32_e32 vcc, 1, v58
	s_nop 0
	v_mov_b32_dpp v6, v5 row_shr:2 row_mask:0xf bank_mask:0xf
	v_cndmask_b32_e32 v6, 0, v6, vcc
	v_add_u32_e32 v5, v5, v6
	ds_write_b32 v48, v5
.LBB324_252:                            ;   in Loop: Header=BB324_20 Depth=1
	s_or_b64 exec, exec, s[28:29]
	v_mov_b32_e32 v5, 0
	s_waitcnt lgkmcnt(0)
	s_barrier
	s_and_saveexec_b64 s[28:29], s[10:11]
; %bb.253:                              ;   in Loop: Header=BB324_20 Depth=1
	ds_read_b32 v5, v49
; %bb.254:                              ;   in Loop: Header=BB324_20 Depth=1
	s_or_b64 exec, exec, s[28:29]
	v_subrev_co_u32_e64 v6, s[28:29], 1, v45
	v_cmp_lt_i32_e32 vcc, v6, v59
	v_cndmask_b32_e32 v6, v6, v45, vcc
	s_waitcnt lgkmcnt(0)
	v_add_u32_e32 v4, v5, v4
	v_lshlrev_b32_e32 v64, 2, v6
	ds_bpermute_b32 v4, v64, v4
	s_waitcnt lgkmcnt(0)
	s_barrier
	s_and_saveexec_b64 s[30:31], s[4:5]
; %bb.255:                              ;   in Loop: Header=BB324_20 Depth=1
	v_cndmask_b32_e64 v4, v4, v5, s[28:29]
	v_add_u32_e32 v4, s49, v4
	ds_write_b32 v18, v4
; %bb.256:                              ;   in Loop: Header=BB324_20 Depth=1
	s_or_b64 exec, exec, s[30:31]
	s_load_dwordx2 s[30:31], s[44:45], 0x0
	v_add_co_u32_e32 v65, vcc, v41, v60
	v_addc_co_u32_e32 v66, vcc, 0, v42, vcc
	s_waitcnt lgkmcnt(0)
	s_cmp_lt_u32 s33, s31
	s_cselect_b32 s31, 14, 20
	s_add_u32 s34, s44, s31
	s_addc_u32 s35, s45, 0
	s_cmp_lt_u32 s48, s30
	s_cselect_b32 s30, 12, 18
	s_add_u32 s30, s44, s30
	global_load_ushort v4, v3, s[34:35]
	s_addc_u32 s31, s45, 0
	global_load_ushort v5, v3, s[30:31]
	v_add_co_u32_e32 v67, vcc, v43, v46
	v_cmp_eq_u32_e64 s[30:31], 0, v58
	v_cmp_lt_u32_e64 s[34:35], 1, v58
	v_addc_co_u32_e32 v68, vcc, 0, v44, vcc
	s_mov_b32 s60, s75
	s_mov_b32 s46, s49
                                        ; implicit-def: $vgpr7_vgpr8
                                        ; implicit-def: $vgpr9_vgpr10
                                        ; implicit-def: $vgpr11_vgpr12
                                        ; implicit-def: $vgpr69
                                        ; implicit-def: $vgpr70
                                        ; implicit-def: $vgpr72
                                        ; implicit-def: $vgpr73
	s_waitcnt vmcnt(1)
	v_mad_u32_u24 v4, v2, v4, v1
	s_waitcnt vmcnt(0)
	v_mad_u64_u32 v[4:5], s[36:37], v4, v5, v[0:1]
                                        ; implicit-def: $vgpr5_vgpr6
	v_lshrrev_b32_e32 v4, 4, v4
	v_and_b32_e32 v71, 0xffffffc, v4
	s_branch .LBB324_258
.LBB324_257:                            ;   in Loop: Header=BB324_258 Depth=2
	s_or_b64 exec, exec, s[36:37]
	s_addk_i32 s60, 0xfc00
	s_cmp_lt_u32 s61, s76
	s_mov_b32 s46, s61
	s_cbranch_scc0 .LBB324_322
.LBB324_258:                            ;   Parent Loop BB324_20 Depth=1
                                        ; =>  This Inner Loop Header: Depth=2
	s_add_i32 s61, s46, 0x400
	s_cmp_gt_u32 s61, s76
	s_cbranch_scc1 .LBB324_260
; %bb.259:                              ;   in Loop: Header=BB324_258 Depth=2
	v_add_co_u32_e32 v13, vcc, s46, v67
	v_addc_co_u32_e32 v14, vcc, 0, v68, vcc
	global_load_ubyte v16, v[13:14], off offset:128
	global_load_ubyte v76, v[13:14], off offset:64
	global_load_ubyte v4, v[13:14], off
	s_mov_b64 s[36:37], -1
	s_movk_i32 s40, 0x400
                                        ; implicit-def: $vgpr15
	s_cbranch_execz .LBB324_261
	s_branch .LBB324_266
.LBB324_260:                            ;   in Loop: Header=BB324_258 Depth=2
	s_mov_b64 s[36:37], 0
                                        ; implicit-def: $vgpr4
                                        ; implicit-def: $vgpr76
                                        ; implicit-def: $vgpr16
	s_movk_i32 s40, 0x400
                                        ; implicit-def: $vgpr15
.LBB324_261:                            ;   in Loop: Header=BB324_258 Depth=2
	v_add_co_u32_e32 v13, vcc, s46, v67
	v_addc_co_u32_e32 v14, vcc, 0, v68, vcc
	v_cmp_gt_u32_e32 vcc, s60, v47
	v_mov_b32_e32 v15, 0x80
	s_waitcnt vmcnt(0)
	v_mov_b32_e32 v4, 0x80
	v_mov_b32_e32 v76, 0x80
	;; [unrolled: 1-line block ×3, first 2 shown]
	s_and_saveexec_b64 s[36:37], vcc
	s_cbranch_execnz .LBB324_320
; %bb.262:                              ;   in Loop: Header=BB324_258 Depth=2
	s_or_b64 exec, exec, s[36:37]
	v_cmp_gt_u32_e32 vcc, s60, v61
	s_and_saveexec_b64 s[36:37], vcc
	s_cbranch_execnz .LBB324_321
.LBB324_263:                            ;   in Loop: Header=BB324_258 Depth=2
	s_or_b64 exec, exec, s[36:37]
	v_cmp_gt_u32_e32 vcc, s60, v62
	s_and_saveexec_b64 s[36:37], vcc
	s_cbranch_execz .LBB324_265
.LBB324_264:                            ;   in Loop: Header=BB324_258 Depth=2
	global_load_ubyte v16, v[13:14], off offset:128
.LBB324_265:                            ;   in Loop: Header=BB324_258 Depth=2
	s_or_b64 exec, exec, s[36:37]
	s_sub_i32 s40, s76, s46
	v_cmp_gt_u32_e64 s[36:37], s60, v63
.LBB324_266:                            ;   in Loop: Header=BB324_258 Depth=2
	v_mov_b32_e32 v74, s60
	s_and_saveexec_b64 s[38:39], s[36:37]
	s_cbranch_execz .LBB324_268
; %bb.267:                              ;   in Loop: Header=BB324_258 Depth=2
	v_mov_b32_e32 v14, s47
	v_add_co_u32_e32 v13, vcc, s46, v67
	v_addc_co_u32_e32 v14, vcc, v68, v14, vcc
	global_load_ubyte v15, v[13:14], off offset:192
	v_mov_b32_e32 v74, s40
.LBB324_268:                            ;   in Loop: Header=BB324_258 Depth=2
	s_or_b64 exec, exec, s[38:39]
	s_waitcnt vmcnt(0)
	v_xor_b32_e32 v17, 0x7f, v4
	v_lshrrev_b32_sdwa v4, s73, v17 dst_sel:DWORD dst_unused:UNUSED_PAD src0_sel:DWORD src1_sel:BYTE_0
	v_and_b32_e32 v13, s59, v4
	v_and_b32_e32 v4, 1, v13
	v_add_co_u32_e32 v14, vcc, -1, v4
	v_addc_co_u32_e64 v75, s[36:37], 0, -1, vcc
	v_cmp_ne_u32_e32 vcc, 0, v4
	v_xor_b32_e32 v4, vcc_hi, v75
	v_and_b32_e32 v75, exec_hi, v4
	v_lshlrev_b32_e32 v4, 30, v13
	v_xor_b32_e32 v14, vcc_lo, v14
	v_cmp_gt_i64_e32 vcc, 0, v[3:4]
	v_not_b32_e32 v4, v4
	v_ashrrev_i32_e32 v4, 31, v4
	v_and_b32_e32 v14, exec_lo, v14
	v_xor_b32_e32 v78, vcc_hi, v4
	v_xor_b32_e32 v4, vcc_lo, v4
	v_and_b32_e32 v14, v14, v4
	v_lshlrev_b32_e32 v4, 29, v13
	v_cmp_gt_i64_e32 vcc, 0, v[3:4]
	v_not_b32_e32 v4, v4
	v_ashrrev_i32_e32 v4, 31, v4
	v_and_b32_e32 v75, v75, v78
	v_xor_b32_e32 v78, vcc_hi, v4
	v_xor_b32_e32 v4, vcc_lo, v4
	v_and_b32_e32 v14, v14, v4
	v_lshlrev_b32_e32 v4, 28, v13
	v_cmp_gt_i64_e32 vcc, 0, v[3:4]
	v_not_b32_e32 v4, v4
	v_ashrrev_i32_e32 v4, 31, v4
	v_and_b32_e32 v75, v75, v78
	;; [unrolled: 8-line block ×5, first 2 shown]
	v_xor_b32_e32 v78, vcc_hi, v4
	v_xor_b32_e32 v4, vcc_lo, v4
	v_and_b32_e32 v75, v75, v78
	v_and_b32_e32 v78, v14, v4
	v_lshlrev_b32_e32 v4, 24, v13
	v_cmp_gt_i64_e32 vcc, 0, v[3:4]
	v_not_b32_e32 v4, v4
	v_ashrrev_i32_e32 v4, 31, v4
	v_mul_u32_u24_e32 v77, 20, v13
	v_xor_b32_e32 v13, vcc_hi, v4
	v_xor_b32_e32 v4, vcc_lo, v4
	v_and_b32_e32 v14, v75, v13
	v_and_b32_e32 v13, v78, v4
	v_mbcnt_lo_u32_b32 v4, v13, 0
	v_mbcnt_hi_u32_b32 v75, v14, v4
	v_cmp_ne_u64_e32 vcc, 0, v[13:14]
	v_cmp_eq_u32_e64 s[36:37], 0, v75
	s_and_b64 s[38:39], vcc, s[36:37]
	v_add_u32_e32 v78, v71, v77
	ds_write2_b32 v53, v3, v3 offset1:1
	ds_write2_b32 v54, v3, v3 offset1:1
	ds_write_b32 v50, v3 offset:1056
	s_waitcnt lgkmcnt(0)
	s_barrier
	; wave barrier
	s_and_saveexec_b64 s[36:37], s[38:39]
; %bb.269:                              ;   in Loop: Header=BB324_258 Depth=2
	v_bcnt_u32_b32 v4, v13, 0
	v_bcnt_u32_b32 v4, v14, v4
	ds_write_b32 v78, v4 offset:1040
; %bb.270:                              ;   in Loop: Header=BB324_258 Depth=2
	s_or_b64 exec, exec, s[36:37]
	v_xor_b32_e32 v76, 0x7f, v76
	v_lshrrev_b32_sdwa v4, s73, v76 dst_sel:DWORD dst_unused:UNUSED_PAD src0_sel:DWORD src1_sel:BYTE_0
	v_and_b32_e32 v13, s59, v4
	v_mad_u32_u24 v4, v13, 20, v71
	; wave barrier
	ds_read_b32 v77, v4 offset:1040
	v_and_b32_e32 v4, 1, v13
	v_add_co_u32_e32 v14, vcc, -1, v4
	v_addc_co_u32_e64 v79, s[36:37], 0, -1, vcc
	v_cmp_ne_u32_e32 vcc, 0, v4
	v_xor_b32_e32 v4, vcc_hi, v79
	v_and_b32_e32 v79, exec_hi, v4
	v_lshlrev_b32_e32 v4, 30, v13
	v_xor_b32_e32 v14, vcc_lo, v14
	v_cmp_gt_i64_e32 vcc, 0, v[3:4]
	v_not_b32_e32 v4, v4
	v_ashrrev_i32_e32 v4, 31, v4
	v_and_b32_e32 v14, exec_lo, v14
	v_xor_b32_e32 v81, vcc_hi, v4
	v_xor_b32_e32 v4, vcc_lo, v4
	v_and_b32_e32 v14, v14, v4
	v_lshlrev_b32_e32 v4, 29, v13
	v_cmp_gt_i64_e32 vcc, 0, v[3:4]
	v_not_b32_e32 v4, v4
	v_ashrrev_i32_e32 v4, 31, v4
	v_and_b32_e32 v79, v79, v81
	v_xor_b32_e32 v81, vcc_hi, v4
	v_xor_b32_e32 v4, vcc_lo, v4
	v_and_b32_e32 v14, v14, v4
	v_lshlrev_b32_e32 v4, 28, v13
	v_cmp_gt_i64_e32 vcc, 0, v[3:4]
	v_not_b32_e32 v4, v4
	v_ashrrev_i32_e32 v4, 31, v4
	v_and_b32_e32 v79, v79, v81
	;; [unrolled: 8-line block ×5, first 2 shown]
	v_xor_b32_e32 v81, vcc_hi, v4
	v_xor_b32_e32 v4, vcc_lo, v4
	v_and_b32_e32 v79, v79, v81
	v_and_b32_e32 v81, v14, v4
	v_lshlrev_b32_e32 v4, 24, v13
	v_cmp_gt_i64_e32 vcc, 0, v[3:4]
	v_not_b32_e32 v4, v4
	v_ashrrev_i32_e32 v4, 31, v4
	v_mul_u32_u24_e32 v80, 20, v13
	v_xor_b32_e32 v13, vcc_hi, v4
	v_xor_b32_e32 v4, vcc_lo, v4
	v_and_b32_e32 v14, v79, v13
	v_and_b32_e32 v13, v81, v4
	v_mbcnt_lo_u32_b32 v4, v13, 0
	v_mbcnt_hi_u32_b32 v79, v14, v4
	v_cmp_ne_u64_e32 vcc, 0, v[13:14]
	v_cmp_eq_u32_e64 s[36:37], 0, v79
	s_and_b64 s[38:39], vcc, s[36:37]
	v_add_u32_e32 v82, v71, v80
	; wave barrier
	s_and_saveexec_b64 s[36:37], s[38:39]
	s_cbranch_execz .LBB324_272
; %bb.271:                              ;   in Loop: Header=BB324_258 Depth=2
	v_bcnt_u32_b32 v4, v13, 0
	v_bcnt_u32_b32 v4, v14, v4
	s_waitcnt lgkmcnt(0)
	v_add_u32_e32 v4, v77, v4
	ds_write_b32 v82, v4 offset:1040
.LBB324_272:                            ;   in Loop: Header=BB324_258 Depth=2
	s_or_b64 exec, exec, s[36:37]
	v_xor_b32_e32 v80, 0x7f, v16
	v_lshrrev_b32_sdwa v4, s73, v80 dst_sel:DWORD dst_unused:UNUSED_PAD src0_sel:DWORD src1_sel:BYTE_0
	v_and_b32_e32 v13, s59, v4
	v_mad_u32_u24 v4, v13, 20, v71
	; wave barrier
	ds_read_b32 v81, v4 offset:1040
	v_and_b32_e32 v4, 1, v13
	v_add_co_u32_e32 v14, vcc, -1, v4
	v_addc_co_u32_e64 v83, s[36:37], 0, -1, vcc
	v_cmp_ne_u32_e32 vcc, 0, v4
	v_xor_b32_e32 v4, vcc_hi, v83
	v_and_b32_e32 v83, exec_hi, v4
	v_lshlrev_b32_e32 v4, 30, v13
	v_xor_b32_e32 v14, vcc_lo, v14
	v_cmp_gt_i64_e32 vcc, 0, v[3:4]
	v_not_b32_e32 v4, v4
	v_ashrrev_i32_e32 v4, 31, v4
	v_and_b32_e32 v14, exec_lo, v14
	v_xor_b32_e32 v84, vcc_hi, v4
	v_xor_b32_e32 v4, vcc_lo, v4
	v_and_b32_e32 v14, v14, v4
	v_lshlrev_b32_e32 v4, 29, v13
	v_cmp_gt_i64_e32 vcc, 0, v[3:4]
	v_not_b32_e32 v4, v4
	v_ashrrev_i32_e32 v4, 31, v4
	v_and_b32_e32 v83, v83, v84
	v_xor_b32_e32 v84, vcc_hi, v4
	v_xor_b32_e32 v4, vcc_lo, v4
	v_and_b32_e32 v14, v14, v4
	v_lshlrev_b32_e32 v4, 28, v13
	v_cmp_gt_i64_e32 vcc, 0, v[3:4]
	v_not_b32_e32 v4, v4
	v_ashrrev_i32_e32 v4, 31, v4
	v_and_b32_e32 v83, v83, v84
	;; [unrolled: 8-line block ×5, first 2 shown]
	v_xor_b32_e32 v84, vcc_hi, v4
	v_xor_b32_e32 v4, vcc_lo, v4
	v_and_b32_e32 v83, v83, v84
	v_and_b32_e32 v84, v14, v4
	v_lshlrev_b32_e32 v4, 24, v13
	v_cmp_gt_i64_e32 vcc, 0, v[3:4]
	v_not_b32_e32 v4, v4
	v_ashrrev_i32_e32 v4, 31, v4
	v_mul_u32_u24_e32 v16, 20, v13
	v_xor_b32_e32 v13, vcc_hi, v4
	v_xor_b32_e32 v4, vcc_lo, v4
	v_and_b32_e32 v14, v83, v13
	v_and_b32_e32 v13, v84, v4
	v_mbcnt_lo_u32_b32 v4, v13, 0
	v_mbcnt_hi_u32_b32 v83, v14, v4
	v_cmp_ne_u64_e32 vcc, 0, v[13:14]
	v_cmp_eq_u32_e64 s[36:37], 0, v83
	s_and_b64 s[38:39], vcc, s[36:37]
	v_add_u32_e32 v86, v71, v16
	; wave barrier
	s_and_saveexec_b64 s[36:37], s[38:39]
	s_cbranch_execz .LBB324_274
; %bb.273:                              ;   in Loop: Header=BB324_258 Depth=2
	v_bcnt_u32_b32 v4, v13, 0
	v_bcnt_u32_b32 v4, v14, v4
	s_waitcnt lgkmcnt(0)
	v_add_u32_e32 v4, v81, v4
	ds_write_b32 v86, v4 offset:1040
.LBB324_274:                            ;   in Loop: Header=BB324_258 Depth=2
	s_or_b64 exec, exec, s[36:37]
	v_xor_b32_e32 v84, 0x7f, v15
	v_lshrrev_b32_sdwa v4, s73, v84 dst_sel:DWORD dst_unused:UNUSED_PAD src0_sel:DWORD src1_sel:BYTE_0
	v_and_b32_e32 v13, s59, v4
	v_mad_u32_u24 v4, v13, 20, v71
	; wave barrier
	ds_read_b32 v85, v4 offset:1040
	v_and_b32_e32 v4, 1, v13
	v_add_co_u32_e32 v14, vcc, -1, v4
	v_addc_co_u32_e64 v16, s[36:37], 0, -1, vcc
	v_cmp_ne_u32_e32 vcc, 0, v4
	v_xor_b32_e32 v4, vcc_hi, v16
	v_and_b32_e32 v16, exec_hi, v4
	v_lshlrev_b32_e32 v4, 30, v13
	v_xor_b32_e32 v14, vcc_lo, v14
	v_cmp_gt_i64_e32 vcc, 0, v[3:4]
	v_not_b32_e32 v4, v4
	v_ashrrev_i32_e32 v4, 31, v4
	v_and_b32_e32 v14, exec_lo, v14
	v_xor_b32_e32 v87, vcc_hi, v4
	v_xor_b32_e32 v4, vcc_lo, v4
	v_and_b32_e32 v14, v14, v4
	v_lshlrev_b32_e32 v4, 29, v13
	v_cmp_gt_i64_e32 vcc, 0, v[3:4]
	v_not_b32_e32 v4, v4
	v_ashrrev_i32_e32 v4, 31, v4
	v_and_b32_e32 v16, v16, v87
	v_xor_b32_e32 v87, vcc_hi, v4
	v_xor_b32_e32 v4, vcc_lo, v4
	v_and_b32_e32 v14, v14, v4
	v_lshlrev_b32_e32 v4, 28, v13
	v_cmp_gt_i64_e32 vcc, 0, v[3:4]
	v_not_b32_e32 v4, v4
	v_ashrrev_i32_e32 v4, 31, v4
	v_and_b32_e32 v16, v16, v87
	;; [unrolled: 8-line block ×5, first 2 shown]
	v_xor_b32_e32 v87, vcc_hi, v4
	v_xor_b32_e32 v4, vcc_lo, v4
	v_and_b32_e32 v16, v16, v87
	v_and_b32_e32 v87, v14, v4
	v_lshlrev_b32_e32 v4, 24, v13
	v_cmp_gt_i64_e32 vcc, 0, v[3:4]
	v_not_b32_e32 v4, v4
	v_ashrrev_i32_e32 v4, 31, v4
	v_mul_u32_u24_e32 v15, 20, v13
	v_xor_b32_e32 v13, vcc_hi, v4
	v_xor_b32_e32 v4, vcc_lo, v4
	v_and_b32_e32 v14, v16, v13
	v_and_b32_e32 v13, v87, v4
	v_mbcnt_lo_u32_b32 v4, v13, 0
	v_mbcnt_hi_u32_b32 v4, v14, v4
	v_cmp_ne_u64_e32 vcc, 0, v[13:14]
	v_cmp_eq_u32_e64 s[36:37], 0, v4
	s_and_b64 s[38:39], vcc, s[36:37]
	v_add_u32_e32 v87, v71, v15
	; wave barrier
	s_and_saveexec_b64 s[36:37], s[38:39]
	s_cbranch_execz .LBB324_276
; %bb.275:                              ;   in Loop: Header=BB324_258 Depth=2
	v_bcnt_u32_b32 v13, v13, 0
	v_bcnt_u32_b32 v13, v14, v13
	s_waitcnt lgkmcnt(0)
	v_add_u32_e32 v13, v85, v13
	ds_write_b32 v87, v13 offset:1040
.LBB324_276:                            ;   in Loop: Header=BB324_258 Depth=2
	s_or_b64 exec, exec, s[36:37]
	; wave barrier
	s_waitcnt lgkmcnt(0)
	s_barrier
	ds_read2_b32 v[15:16], v53 offset1:1
	ds_read2_b32 v[13:14], v54 offset1:1
	ds_read_b32 v88, v50 offset:1056
	s_waitcnt lgkmcnt(1)
	v_add3_u32 v89, v16, v15, v13
	s_waitcnt lgkmcnt(0)
	v_add3_u32 v88, v89, v14, v88
	s_nop 1
	v_mov_b32_dpp v89, v88 row_shr:1 row_mask:0xf bank_mask:0xf
	v_cndmask_b32_e64 v89, v89, 0, s[16:17]
	v_add_u32_e32 v88, v89, v88
	s_nop 1
	v_mov_b32_dpp v89, v88 row_shr:2 row_mask:0xf bank_mask:0xf
	v_cndmask_b32_e64 v89, 0, v89, s[18:19]
	v_add_u32_e32 v88, v88, v89
	;; [unrolled: 4-line block ×4, first 2 shown]
	s_nop 1
	v_mov_b32_dpp v89, v88 row_bcast:15 row_mask:0xf bank_mask:0xf
	v_cndmask_b32_e64 v89, v89, 0, s[24:25]
	v_add_u32_e32 v88, v88, v89
	s_nop 1
	v_mov_b32_dpp v89, v88 row_bcast:31 row_mask:0xf bank_mask:0xf
	v_cndmask_b32_e64 v89, 0, v89, s[26:27]
	v_add_u32_e32 v88, v88, v89
	s_and_saveexec_b64 s[36:37], s[6:7]
; %bb.277:                              ;   in Loop: Header=BB324_258 Depth=2
	ds_write_b32 v26, v88 offset:1024
; %bb.278:                              ;   in Loop: Header=BB324_258 Depth=2
	s_or_b64 exec, exec, s[36:37]
	s_waitcnt lgkmcnt(0)
	s_barrier
	s_and_saveexec_b64 s[36:37], s[8:9]
	s_cbranch_execz .LBB324_280
; %bb.279:                              ;   in Loop: Header=BB324_258 Depth=2
	v_add_u32_e32 v89, v50, v28
	ds_read_b32 v90, v89 offset:1024
	s_waitcnt lgkmcnt(0)
	s_nop 0
	v_mov_b32_dpp v91, v90 row_shr:1 row_mask:0xf bank_mask:0xf
	v_cndmask_b32_e64 v91, v91, 0, s[30:31]
	v_add_u32_e32 v90, v91, v90
	s_nop 1
	v_mov_b32_dpp v91, v90 row_shr:2 row_mask:0xf bank_mask:0xf
	v_cndmask_b32_e64 v91, 0, v91, s[34:35]
	v_add_u32_e32 v90, v90, v91
	ds_write_b32 v89, v90 offset:1024
.LBB324_280:                            ;   in Loop: Header=BB324_258 Depth=2
	s_or_b64 exec, exec, s[36:37]
	v_mov_b32_e32 v89, 0
	s_waitcnt lgkmcnt(0)
	s_barrier
	s_and_saveexec_b64 s[36:37], s[10:11]
; %bb.281:                              ;   in Loop: Header=BB324_258 Depth=2
	ds_read_b32 v89, v26 offset:1020
; %bb.282:                              ;   in Loop: Header=BB324_258 Depth=2
	s_or_b64 exec, exec, s[36:37]
	s_waitcnt lgkmcnt(0)
	v_add_u32_e32 v88, v89, v88
	ds_bpermute_b32 v88, v64, v88
	s_waitcnt lgkmcnt(0)
	v_cndmask_b32_e64 v88, v88, v89, s[28:29]
	v_cndmask_b32_e64 v88, v88, 0, s[12:13]
	v_add_u32_e32 v15, v88, v15
	v_add_u32_e32 v16, v15, v16
	;; [unrolled: 1-line block ×4, first 2 shown]
	ds_write2_b32 v53, v88, v15 offset1:1
	ds_write2_b32 v54, v16, v13 offset1:1
	ds_write_b32 v50, v14 offset:1056
	s_waitcnt lgkmcnt(0)
	s_barrier
	ds_read_b32 v13, v78 offset:1040
	ds_read_b32 v14, v82 offset:1040
	;; [unrolled: 1-line block ×5, first 2 shown]
	v_mov_b32_e32 v78, 0x400
	s_and_saveexec_b64 s[36:37], s[14:15]
; %bb.283:                              ;   in Loop: Header=BB324_258 Depth=2
	ds_read_b32 v78, v50 offset:1060
; %bb.284:                              ;   in Loop: Header=BB324_258 Depth=2
	s_or_b64 exec, exec, s[36:37]
	s_waitcnt lgkmcnt(0)
	s_barrier
	s_and_saveexec_b64 s[36:37], s[4:5]
	s_cbranch_execz .LBB324_286
; %bb.285:                              ;   in Loop: Header=BB324_258 Depth=2
	ds_read_b32 v86, v18
	s_waitcnt lgkmcnt(0)
	v_sub_u32_e32 v15, v86, v15
	ds_write_b32 v18, v15
.LBB324_286:                            ;   in Loop: Header=BB324_258 Depth=2
	s_or_b64 exec, exec, s[36:37]
	v_add_u32_e32 v15, v13, v75
	v_add3_u32 v14, v79, v77, v14
	v_add3_u32 v13, v83, v81, v16
	;; [unrolled: 1-line block ×3, first 2 shown]
	v_cmp_lt_u32_e64 s[40:41], v0, v74
	ds_write_b8 v15, v17 offset:1024
	ds_write_b8 v14, v76 offset:1024
	;; [unrolled: 1-line block ×4, first 2 shown]
	s_waitcnt lgkmcnt(0)
	s_barrier
	s_and_saveexec_b64 s[36:37], s[40:41]
	s_cbranch_execnz .LBB324_307
; %bb.287:                              ;   in Loop: Header=BB324_258 Depth=2
	s_or_b64 exec, exec, s[36:37]
	v_cmp_lt_u32_e64 s[38:39], v19, v74
	s_and_saveexec_b64 s[36:37], s[38:39]
	s_cbranch_execnz .LBB324_308
.LBB324_288:                            ;   in Loop: Header=BB324_258 Depth=2
	s_or_b64 exec, exec, s[36:37]
	v_cmp_lt_u32_e64 s[36:37], v20, v74
	s_and_saveexec_b64 s[42:43], s[36:37]
	s_cbranch_execnz .LBB324_309
.LBB324_289:                            ;   in Loop: Header=BB324_258 Depth=2
	s_or_b64 exec, exec, s[42:43]
	v_cmp_lt_u32_e32 vcc, v21, v74
	s_and_saveexec_b64 s[42:43], vcc
	s_cbranch_execz .LBB324_291
.LBB324_290:                            ;   in Loop: Header=BB324_258 Depth=2
	ds_read_u8 v16, v0 offset:1792
	s_waitcnt lgkmcnt(0)
	v_lshrrev_b32_sdwa v17, s73, v16 dst_sel:DWORD dst_unused:UNUSED_PAD src0_sel:DWORD src1_sel:BYTE_0
	v_and_b32_e32 v17, s59, v17
	v_lshlrev_b32_e32 v17, 2, v17
	ds_read_b32 v17, v17
	v_xor_b32_e32 v16, 0x7f, v16
	s_waitcnt lgkmcnt(0)
	v_add_u32_e32 v17, v17, v21
	global_store_byte v17, v16, s[66:67]
.LBB324_291:                            ;   in Loop: Header=BB324_258 Depth=2
	s_or_b64 exec, exec, s[42:43]
	s_lshl_b64 s[42:43], s[46:47], 3
	v_mov_b32_e32 v17, s43
	v_add_co_u32_e64 v16, s[42:43], s42, v65
	v_addc_co_u32_e64 v17, s[42:43], v66, v17, s[42:43]
	v_cmp_lt_u32_e64 s[42:43], v47, v74
	s_and_saveexec_b64 s[56:57], s[42:43]
	s_xor_b64 s[42:43], exec, s[56:57]
	s_cbranch_execnz .LBB324_310
; %bb.292:                              ;   in Loop: Header=BB324_258 Depth=2
	s_or_b64 exec, exec, s[42:43]
	v_cmp_lt_u32_e64 s[42:43], v61, v74
	s_and_saveexec_b64 s[56:57], s[42:43]
	s_cbranch_execnz .LBB324_311
.LBB324_293:                            ;   in Loop: Header=BB324_258 Depth=2
	s_or_b64 exec, exec, s[56:57]
	v_cmp_lt_u32_e64 s[42:43], v62, v74
	s_and_saveexec_b64 s[56:57], s[42:43]
	s_cbranch_execnz .LBB324_312
.LBB324_294:                            ;   in Loop: Header=BB324_258 Depth=2
	s_or_b64 exec, exec, s[56:57]
	v_cmp_lt_u32_e64 s[42:43], v63, v74
	s_and_saveexec_b64 s[56:57], s[42:43]
	s_cbranch_execnz .LBB324_313
.LBB324_295:                            ;   in Loop: Header=BB324_258 Depth=2
	s_or_b64 exec, exec, s[56:57]
	s_and_saveexec_b64 s[42:43], s[40:41]
	s_cbranch_execnz .LBB324_314
.LBB324_296:                            ;   in Loop: Header=BB324_258 Depth=2
	s_or_b64 exec, exec, s[42:43]
	s_and_saveexec_b64 s[42:43], s[38:39]
	s_cbranch_execnz .LBB324_315
.LBB324_297:                            ;   in Loop: Header=BB324_258 Depth=2
	s_or_b64 exec, exec, s[42:43]
	s_and_saveexec_b64 s[42:43], s[36:37]
	s_cbranch_execnz .LBB324_316
.LBB324_298:                            ;   in Loop: Header=BB324_258 Depth=2
	s_or_b64 exec, exec, s[42:43]
	s_and_saveexec_b64 s[42:43], vcc
	s_cbranch_execz .LBB324_300
.LBB324_299:                            ;   in Loop: Header=BB324_258 Depth=2
	ds_read_u8 v16, v0 offset:1792
	s_waitcnt lgkmcnt(0)
	v_lshrrev_b32_e32 v16, s73, v16
	v_and_b32_e32 v69, s59, v16
.LBB324_300:                            ;   in Loop: Header=BB324_258 Depth=2
	s_or_b64 exec, exec, s[42:43]
	v_mad_u64_u32 v[15:16], s[42:43], v15, 7, v[15:16]
	s_waitcnt vmcnt(0)
	v_mad_u64_u32 v[74:75], s[42:43], v4, 7, v[4:5]
	v_mad_u64_u32 v[16:17], s[42:43], v14, 7, v[14:15]
	;; [unrolled: 1-line block ×3, first 2 shown]
	s_barrier
	ds_write_b64 v15, v[11:12] offset:1024
	ds_write_b64 v16, v[9:10] offset:1024
	;; [unrolled: 1-line block ×4, first 2 shown]
	s_waitcnt lgkmcnt(0)
	s_barrier
	s_and_saveexec_b64 s[42:43], s[40:41]
	s_cbranch_execnz .LBB324_317
; %bb.301:                              ;   in Loop: Header=BB324_258 Depth=2
	s_or_b64 exec, exec, s[42:43]
	s_and_saveexec_b64 s[40:41], s[38:39]
	s_cbranch_execnz .LBB324_318
.LBB324_302:                            ;   in Loop: Header=BB324_258 Depth=2
	s_or_b64 exec, exec, s[40:41]
	s_and_saveexec_b64 s[38:39], s[36:37]
	s_cbranch_execnz .LBB324_319
.LBB324_303:                            ;   in Loop: Header=BB324_258 Depth=2
	s_or_b64 exec, exec, s[38:39]
	s_and_saveexec_b64 s[36:37], vcc
	s_cbranch_execz .LBB324_305
.LBB324_304:                            ;   in Loop: Header=BB324_258 Depth=2
	v_lshlrev_b32_e32 v4, 2, v69
	ds_read_b32 v4, v4
	v_add_u32_e32 v13, v0, v51
	ds_read_b64 v[13:14], v13 offset:7168
	v_mov_b32_e32 v16, v3
	v_mov_b32_e32 v17, s53
	s_waitcnt lgkmcnt(1)
	v_add_u32_e32 v15, v4, v21
	v_lshlrev_b64 v[15:16], 3, v[15:16]
	v_add_co_u32_e32 v15, vcc, s52, v15
	v_addc_co_u32_e32 v16, vcc, v17, v16, vcc
	s_waitcnt lgkmcnt(0)
	global_store_dwordx2 v[15:16], v[13:14], off
.LBB324_305:                            ;   in Loop: Header=BB324_258 Depth=2
	s_or_b64 exec, exec, s[36:37]
	s_waitcnt vmcnt(0)
	s_barrier
	s_and_saveexec_b64 s[36:37], s[4:5]
	s_cbranch_execz .LBB324_257
; %bb.306:                              ;   in Loop: Header=BB324_258 Depth=2
	ds_read_b32 v4, v18
	s_waitcnt lgkmcnt(0)
	v_add_u32_e32 v4, v4, v78
	ds_write_b32 v18, v4
	s_branch .LBB324_257
.LBB324_307:                            ;   in Loop: Header=BB324_258 Depth=2
	ds_read_u8 v16, v0 offset:1024
	s_waitcnt lgkmcnt(0)
	v_lshrrev_b32_sdwa v17, s73, v16 dst_sel:DWORD dst_unused:UNUSED_PAD src0_sel:DWORD src1_sel:BYTE_0
	v_and_b32_e32 v17, s59, v17
	v_lshlrev_b32_e32 v17, 2, v17
	ds_read_b32 v17, v17
	v_xor_b32_e32 v16, 0x7f, v16
	s_waitcnt lgkmcnt(0)
	v_add_u32_e32 v17, v17, v0
	global_store_byte v17, v16, s[66:67]
	s_or_b64 exec, exec, s[36:37]
	v_cmp_lt_u32_e64 s[38:39], v19, v74
	s_and_saveexec_b64 s[36:37], s[38:39]
	s_cbranch_execz .LBB324_288
.LBB324_308:                            ;   in Loop: Header=BB324_258 Depth=2
	ds_read_u8 v16, v0 offset:1280
	s_waitcnt lgkmcnt(0)
	v_lshrrev_b32_sdwa v17, s73, v16 dst_sel:DWORD dst_unused:UNUSED_PAD src0_sel:DWORD src1_sel:BYTE_0
	v_and_b32_e32 v17, s59, v17
	v_lshlrev_b32_e32 v17, 2, v17
	ds_read_b32 v17, v17
	v_xor_b32_e32 v16, 0x7f, v16
	s_waitcnt lgkmcnt(0)
	v_add_u32_e32 v17, v17, v19
	global_store_byte v17, v16, s[66:67]
	s_or_b64 exec, exec, s[36:37]
	v_cmp_lt_u32_e64 s[36:37], v20, v74
	s_and_saveexec_b64 s[42:43], s[36:37]
	s_cbranch_execz .LBB324_289
.LBB324_309:                            ;   in Loop: Header=BB324_258 Depth=2
	ds_read_u8 v16, v0 offset:1536
	s_waitcnt lgkmcnt(0)
	v_lshrrev_b32_sdwa v17, s73, v16 dst_sel:DWORD dst_unused:UNUSED_PAD src0_sel:DWORD src1_sel:BYTE_0
	v_and_b32_e32 v17, s59, v17
	v_lshlrev_b32_e32 v17, 2, v17
	ds_read_b32 v17, v17
	v_xor_b32_e32 v16, 0x7f, v16
	s_waitcnt lgkmcnt(0)
	v_add_u32_e32 v17, v17, v20
	global_store_byte v17, v16, s[66:67]
	s_or_b64 exec, exec, s[42:43]
	v_cmp_lt_u32_e32 vcc, v21, v74
	s_and_saveexec_b64 s[42:43], vcc
	s_cbranch_execnz .LBB324_290
	s_branch .LBB324_291
.LBB324_310:                            ;   in Loop: Header=BB324_258 Depth=2
	global_load_dwordx2 v[11:12], v[16:17], off
	s_or_b64 exec, exec, s[42:43]
	v_cmp_lt_u32_e64 s[42:43], v61, v74
	s_and_saveexec_b64 s[56:57], s[42:43]
	s_cbranch_execz .LBB324_293
.LBB324_311:                            ;   in Loop: Header=BB324_258 Depth=2
	global_load_dwordx2 v[9:10], v[16:17], off offset:512
	s_or_b64 exec, exec, s[56:57]
	v_cmp_lt_u32_e64 s[42:43], v62, v74
	s_and_saveexec_b64 s[56:57], s[42:43]
	s_cbranch_execz .LBB324_294
.LBB324_312:                            ;   in Loop: Header=BB324_258 Depth=2
	global_load_dwordx2 v[7:8], v[16:17], off offset:1024
	s_or_b64 exec, exec, s[56:57]
	v_cmp_lt_u32_e64 s[42:43], v63, v74
	s_and_saveexec_b64 s[56:57], s[42:43]
	s_cbranch_execz .LBB324_295
.LBB324_313:                            ;   in Loop: Header=BB324_258 Depth=2
	global_load_dwordx2 v[5:6], v[16:17], off offset:1536
	s_or_b64 exec, exec, s[56:57]
	s_and_saveexec_b64 s[42:43], s[40:41]
	s_cbranch_execz .LBB324_296
.LBB324_314:                            ;   in Loop: Header=BB324_258 Depth=2
	ds_read_u8 v16, v0 offset:1024
	s_waitcnt lgkmcnt(0)
	v_lshrrev_b32_e32 v16, s73, v16
	v_and_b32_e32 v73, s59, v16
	s_or_b64 exec, exec, s[42:43]
	s_and_saveexec_b64 s[42:43], s[38:39]
	s_cbranch_execz .LBB324_297
.LBB324_315:                            ;   in Loop: Header=BB324_258 Depth=2
	ds_read_u8 v16, v0 offset:1280
	s_waitcnt lgkmcnt(0)
	v_lshrrev_b32_e32 v16, s73, v16
	v_and_b32_e32 v72, s59, v16
	s_or_b64 exec, exec, s[42:43]
	s_and_saveexec_b64 s[42:43], s[36:37]
	s_cbranch_execz .LBB324_298
.LBB324_316:                            ;   in Loop: Header=BB324_258 Depth=2
	ds_read_u8 v16, v0 offset:1536
	s_waitcnt lgkmcnt(0)
	v_lshrrev_b32_e32 v16, s73, v16
	v_and_b32_e32 v70, s59, v16
	s_or_b64 exec, exec, s[42:43]
	s_and_saveexec_b64 s[42:43], vcc
	s_cbranch_execnz .LBB324_299
	s_branch .LBB324_300
.LBB324_317:                            ;   in Loop: Header=BB324_258 Depth=2
	v_lshlrev_b32_e32 v4, 2, v73
	ds_read_b32 v4, v4
	v_add_u32_e32 v13, v0, v51
	ds_read_b64 v[13:14], v13 offset:1024
	v_mov_b32_e32 v16, v3
	v_mov_b32_e32 v17, s53
	s_waitcnt lgkmcnt(1)
	v_add_u32_e32 v15, v4, v0
	v_lshlrev_b64 v[15:16], 3, v[15:16]
	v_add_co_u32_e64 v15, s[40:41], s52, v15
	v_addc_co_u32_e64 v16, s[40:41], v17, v16, s[40:41]
	s_waitcnt lgkmcnt(0)
	global_store_dwordx2 v[15:16], v[13:14], off
	s_or_b64 exec, exec, s[42:43]
	s_and_saveexec_b64 s[40:41], s[38:39]
	s_cbranch_execz .LBB324_302
.LBB324_318:                            ;   in Loop: Header=BB324_258 Depth=2
	v_lshlrev_b32_e32 v4, 2, v72
	ds_read_b32 v4, v4
	v_add_u32_e32 v13, v0, v51
	ds_read_b64 v[13:14], v13 offset:3072
	v_mov_b32_e32 v16, v3
	v_mov_b32_e32 v17, s53
	s_waitcnt lgkmcnt(1)
	v_add_u32_e32 v15, v4, v19
	v_lshlrev_b64 v[15:16], 3, v[15:16]
	v_add_co_u32_e64 v15, s[38:39], s52, v15
	v_addc_co_u32_e64 v16, s[38:39], v17, v16, s[38:39]
	s_waitcnt lgkmcnt(0)
	global_store_dwordx2 v[15:16], v[13:14], off
	s_or_b64 exec, exec, s[40:41]
	s_and_saveexec_b64 s[38:39], s[36:37]
	s_cbranch_execz .LBB324_303
.LBB324_319:                            ;   in Loop: Header=BB324_258 Depth=2
	v_lshlrev_b32_e32 v4, 2, v70
	ds_read_b32 v4, v4
	v_add_u32_e32 v13, v0, v51
	ds_read_b64 v[13:14], v13 offset:5120
	v_mov_b32_e32 v16, v3
	v_mov_b32_e32 v17, s53
	s_waitcnt lgkmcnt(1)
	v_add_u32_e32 v15, v4, v20
	v_lshlrev_b64 v[15:16], 3, v[15:16]
	v_add_co_u32_e64 v15, s[36:37], s52, v15
	v_addc_co_u32_e64 v16, s[36:37], v17, v16, s[36:37]
	s_waitcnt lgkmcnt(0)
	global_store_dwordx2 v[15:16], v[13:14], off
	s_or_b64 exec, exec, s[38:39]
	s_and_saveexec_b64 s[36:37], vcc
	s_cbranch_execnz .LBB324_304
	s_branch .LBB324_305
.LBB324_320:                            ;   in Loop: Header=BB324_258 Depth=2
	global_load_ubyte v4, v[13:14], off
	v_mov_b32_e32 v15, 0x80
	v_mov_b32_e32 v76, 0x80
	;; [unrolled: 1-line block ×3, first 2 shown]
	s_or_b64 exec, exec, s[36:37]
	v_cmp_gt_u32_e32 vcc, s60, v61
	s_and_saveexec_b64 s[36:37], vcc
	s_cbranch_execz .LBB324_263
.LBB324_321:                            ;   in Loop: Header=BB324_258 Depth=2
	global_load_ubyte v76, v[13:14], off offset:64
	s_or_b64 exec, exec, s[36:37]
	v_cmp_gt_u32_e32 vcc, s60, v62
	s_and_saveexec_b64 s[36:37], vcc
	s_cbranch_execnz .LBB324_264
	s_branch .LBB324_265
.LBB324_322:                            ;   in Loop: Header=BB324_20 Depth=1
	s_waitcnt lgkmcnt(0)
	s_barrier
	s_mov_b64 s[16:17], 0
.LBB324_323:                            ;   in Loop: Header=BB324_20 Depth=1
	s_and_b64 vcc, exec, s[16:17]
	s_cbranch_vccz .LBB324_19
; %bb.324:                              ;   in Loop: Header=BB324_20 Depth=1
	v_mov_b32_e32 v4, 0
	s_mov_b32 s18, s75
	s_mov_b32 s20, s49
	v_mov_b32_e32 v7, 0
	v_mov_b32_e32 v6, 0
	;; [unrolled: 1-line block ×3, first 2 shown]
	s_barrier
	s_branch .LBB324_326
.LBB324_325:                            ;   in Loop: Header=BB324_326 Depth=2
	s_or_b64 exec, exec, s[16:17]
	s_addk_i32 s18, 0xfc00
	s_cmp_ge_u32 s19, s76
	s_mov_b32 s20, s19
	s_cbranch_scc1 .LBB324_346
.LBB324_326:                            ;   Parent Loop BB324_20 Depth=1
                                        ; =>  This Inner Loop Header: Depth=2
	s_add_i32 s19, s20, 0x400
	s_cmp_gt_u32 s19, s76
	s_mov_b64 s[16:17], -1
                                        ; implicit-def: $vgpr8
                                        ; implicit-def: $vgpr9
                                        ; implicit-def: $vgpr10
                                        ; implicit-def: $vgpr11
	s_cbranch_scc1 .LBB324_328
; %bb.327:                              ;   in Loop: Header=BB324_326 Depth=2
	v_add_co_u32_e32 v12, vcc, s20, v39
	v_addc_co_u32_e32 v13, vcc, 0, v40, vcc
	global_load_ubyte v11, v[12:13], off offset:768
	global_load_ubyte v10, v[12:13], off offset:512
	;; [unrolled: 1-line block ×3, first 2 shown]
	global_load_ubyte v8, v[12:13], off
	s_mov_b64 s[16:17], 0
.LBB324_328:                            ;   in Loop: Header=BB324_326 Depth=2
	s_andn2_b64 vcc, exec, s[16:17]
	s_movk_i32 s21, 0x400
	s_cbranch_vccnz .LBB324_335
; %bb.329:                              ;   in Loop: Header=BB324_326 Depth=2
	s_add_u32 s20, s64, s20
	s_addc_u32 s21, s65, 0
	v_cmp_gt_u32_e32 vcc, s18, v0
	s_and_saveexec_b64 s[16:17], vcc
	s_cbranch_execnz .LBB324_343
; %bb.330:                              ;   in Loop: Header=BB324_326 Depth=2
	s_or_b64 exec, exec, s[16:17]
	v_cmp_gt_u32_e32 vcc, s18, v19
	s_and_saveexec_b64 s[16:17], vcc
	s_cbranch_execnz .LBB324_344
.LBB324_331:                            ;   in Loop: Header=BB324_326 Depth=2
	s_or_b64 exec, exec, s[16:17]
	v_cmp_gt_u32_e32 vcc, s18, v20
	s_and_saveexec_b64 s[16:17], vcc
	s_cbranch_execnz .LBB324_345
.LBB324_332:                            ;   in Loop: Header=BB324_326 Depth=2
	s_or_b64 exec, exec, s[16:17]
	v_cmp_gt_u32_e32 vcc, s18, v21
	s_and_saveexec_b64 s[16:17], vcc
	s_cbranch_execz .LBB324_334
.LBB324_333:                            ;   in Loop: Header=BB324_326 Depth=2
	v_mov_b32_e32 v5, s21
	s_waitcnt vmcnt(0)
	v_add_co_u32_e32 v8, vcc, s20, v0
	v_addc_co_u32_e32 v9, vcc, 0, v5, vcc
	global_load_ubyte v5, v[8:9], off offset:768
.LBB324_334:                            ;   in Loop: Header=BB324_326 Depth=2
	s_or_b64 exec, exec, s[16:17]
	s_mov_b32 s21, s18
	s_waitcnt vmcnt(0)
	v_mov_b32_e32 v8, v4
	v_mov_b32_e32 v9, v7
	;; [unrolled: 1-line block ×4, first 2 shown]
.LBB324_335:                            ;   in Loop: Header=BB324_326 Depth=2
	s_waitcnt vmcnt(3)
	v_mov_b32_e32 v5, v11
	s_waitcnt vmcnt(2)
	v_mov_b32_e32 v6, v10
	s_waitcnt vmcnt(1)
	v_mov_b32_e32 v7, v9
	s_waitcnt vmcnt(0)
	v_mov_b32_e32 v4, v8
	v_cmp_gt_u32_e32 vcc, s21, v0
	s_and_saveexec_b64 s[16:17], vcc
	s_cbranch_execnz .LBB324_339
; %bb.336:                              ;   in Loop: Header=BB324_326 Depth=2
	s_or_b64 exec, exec, s[16:17]
	v_cmp_gt_u32_e32 vcc, s21, v19
	s_and_saveexec_b64 s[16:17], vcc
	s_cbranch_execnz .LBB324_340
.LBB324_337:                            ;   in Loop: Header=BB324_326 Depth=2
	s_or_b64 exec, exec, s[16:17]
	v_cmp_gt_u32_e32 vcc, s21, v20
	s_and_saveexec_b64 s[16:17], vcc
	s_cbranch_execnz .LBB324_341
.LBB324_338:                            ;   in Loop: Header=BB324_326 Depth=2
	s_or_b64 exec, exec, s[16:17]
	v_cmp_gt_u32_e32 vcc, s21, v21
	s_and_saveexec_b64 s[16:17], vcc
	s_cbranch_execz .LBB324_325
	s_branch .LBB324_342
.LBB324_339:                            ;   in Loop: Header=BB324_326 Depth=2
	v_xor_b32_e32 v8, 0x7f, v4
	v_lshrrev_b32_sdwa v8, s73, v8 dst_sel:DWORD dst_unused:UNUSED_PAD src0_sel:DWORD src1_sel:BYTE_0
	v_and_b32_e32 v8, s59, v8
	v_lshl_or_b32 v8, v8, 4, v24
	ds_add_u32 v8, v52
	s_or_b64 exec, exec, s[16:17]
	v_cmp_gt_u32_e32 vcc, s21, v19
	s_and_saveexec_b64 s[16:17], vcc
	s_cbranch_execz .LBB324_337
.LBB324_340:                            ;   in Loop: Header=BB324_326 Depth=2
	v_xor_b32_e32 v8, 0x7f, v7
	v_lshrrev_b32_sdwa v8, s73, v8 dst_sel:DWORD dst_unused:UNUSED_PAD src0_sel:DWORD src1_sel:BYTE_0
	v_and_b32_e32 v8, s59, v8
	v_lshl_or_b32 v8, v8, 4, v24
	ds_add_u32 v8, v52
	s_or_b64 exec, exec, s[16:17]
	v_cmp_gt_u32_e32 vcc, s21, v20
	s_and_saveexec_b64 s[16:17], vcc
	s_cbranch_execz .LBB324_338
.LBB324_341:                            ;   in Loop: Header=BB324_326 Depth=2
	v_xor_b32_e32 v8, 0x7f, v6
	v_lshrrev_b32_sdwa v8, s73, v8 dst_sel:DWORD dst_unused:UNUSED_PAD src0_sel:DWORD src1_sel:BYTE_0
	v_and_b32_e32 v8, s59, v8
	v_lshl_or_b32 v8, v8, 4, v24
	ds_add_u32 v8, v52
	s_or_b64 exec, exec, s[16:17]
	v_cmp_gt_u32_e32 vcc, s21, v21
	s_and_saveexec_b64 s[16:17], vcc
	s_cbranch_execz .LBB324_325
.LBB324_342:                            ;   in Loop: Header=BB324_326 Depth=2
	v_xor_b32_e32 v8, 0x7f, v5
	v_lshrrev_b32_sdwa v8, s73, v8 dst_sel:DWORD dst_unused:UNUSED_PAD src0_sel:DWORD src1_sel:BYTE_0
	v_and_b32_e32 v8, s59, v8
	v_lshl_or_b32 v8, v8, 4, v24
	ds_add_u32 v8, v52
	s_branch .LBB324_325
.LBB324_343:                            ;   in Loop: Header=BB324_326 Depth=2
	v_mov_b32_e32 v4, s21
	s_waitcnt vmcnt(0)
	v_add_co_u32_e32 v8, vcc, s20, v0
	v_addc_co_u32_e32 v9, vcc, 0, v4, vcc
	global_load_ubyte v4, v[8:9], off
	s_or_b64 exec, exec, s[16:17]
	v_cmp_gt_u32_e32 vcc, s18, v19
	s_and_saveexec_b64 s[16:17], vcc
	s_cbranch_execz .LBB324_331
.LBB324_344:                            ;   in Loop: Header=BB324_326 Depth=2
	s_waitcnt vmcnt(0)
	v_mov_b32_e32 v8, s21
	v_add_co_u32_e32 v7, vcc, s20, v0
	v_addc_co_u32_e32 v8, vcc, 0, v8, vcc
	global_load_ubyte v7, v[7:8], off offset:256
	s_or_b64 exec, exec, s[16:17]
	v_cmp_gt_u32_e32 vcc, s18, v20
	s_and_saveexec_b64 s[16:17], vcc
	s_cbranch_execz .LBB324_332
.LBB324_345:                            ;   in Loop: Header=BB324_326 Depth=2
	v_mov_b32_e32 v6, s21
	s_waitcnt vmcnt(0)
	v_add_co_u32_e32 v8, vcc, s20, v0
	v_addc_co_u32_e32 v9, vcc, 0, v6, vcc
	global_load_ubyte v6, v[8:9], off offset:512
	s_or_b64 exec, exec, s[16:17]
	v_cmp_gt_u32_e32 vcc, s18, v21
	s_and_saveexec_b64 s[16:17], vcc
	s_cbranch_execnz .LBB324_333
	s_branch .LBB324_334
.LBB324_346:                            ;   in Loop: Header=BB324_20 Depth=1
	v_mov_b32_e32 v4, 0
	s_waitcnt lgkmcnt(0)
	s_barrier
	s_and_saveexec_b64 s[16:17], s[4:5]
	s_cbranch_execz .LBB324_348
; %bb.347:                              ;   in Loop: Header=BB324_20 Depth=1
	ds_read2_b64 v[4:7], v25 offset1:1
	s_waitcnt lgkmcnt(0)
	v_add_u32_e32 v4, v5, v4
	v_add3_u32 v4, v4, v6, v7
.LBB324_348:                            ;   in Loop: Header=BB324_20 Depth=1
	s_or_b64 exec, exec, s[16:17]
	s_nop 0
	v_mov_b32_dpp v5, v4 row_shr:1 row_mask:0xf bank_mask:0xf
	v_cmp_eq_u32_e64 s[16:17], 0, v55
	v_cndmask_b32_e64 v5, v5, 0, s[16:17]
	v_add_u32_e32 v4, v5, v4
	v_cmp_lt_u32_e64 s[18:19], 1, v55
	v_cmp_lt_u32_e64 s[20:21], 3, v55
	v_mov_b32_dpp v5, v4 row_shr:2 row_mask:0xf bank_mask:0xf
	v_cndmask_b32_e64 v5, 0, v5, s[18:19]
	v_add_u32_e32 v4, v4, v5
	v_cmp_lt_u32_e64 s[22:23], 7, v55
	v_cmp_lt_u32_e64 s[26:27], 31, v45
	v_mov_b32_dpp v5, v4 row_shr:4 row_mask:0xf bank_mask:0xf
	v_cndmask_b32_e64 v5, 0, v5, s[20:21]
	v_add_u32_e32 v4, v4, v5
	v_cmp_eq_u32_e64 s[24:25], 0, v57
	s_nop 0
	v_mov_b32_dpp v5, v4 row_shr:8 row_mask:0xf bank_mask:0xf
	v_cndmask_b32_e64 v5, 0, v5, s[22:23]
	v_add_u32_e32 v4, v4, v5
	s_nop 1
	v_mov_b32_dpp v5, v4 row_bcast:15 row_mask:0xf bank_mask:0xf
	v_and_b32_e32 v5, v56, v5
	v_add_u32_e32 v4, v4, v5
	s_nop 1
	v_mov_b32_dpp v5, v4 row_bcast:31 row_mask:0xf bank_mask:0xf
	v_cndmask_b32_e64 v5, 0, v5, s[26:27]
	v_add_u32_e32 v4, v4, v5
	s_and_saveexec_b64 s[28:29], s[6:7]
; %bb.349:                              ;   in Loop: Header=BB324_20 Depth=1
	ds_write_b32 v27, v4
; %bb.350:                              ;   in Loop: Header=BB324_20 Depth=1
	s_or_b64 exec, exec, s[28:29]
	s_waitcnt lgkmcnt(0)
	s_barrier
	s_and_saveexec_b64 s[28:29], s[8:9]
	s_cbranch_execz .LBB324_352
; %bb.351:                              ;   in Loop: Header=BB324_20 Depth=1
	ds_read_b32 v5, v48
	v_cmp_ne_u32_e32 vcc, 0, v58
	s_waitcnt lgkmcnt(0)
	v_mov_b32_dpp v6, v5 row_shr:1 row_mask:0xf bank_mask:0xf
	v_cndmask_b32_e32 v6, 0, v6, vcc
	v_add_u32_e32 v5, v6, v5
	v_cmp_lt_u32_e32 vcc, 1, v58
	s_nop 0
	v_mov_b32_dpp v6, v5 row_shr:2 row_mask:0xf bank_mask:0xf
	v_cndmask_b32_e32 v6, 0, v6, vcc
	v_add_u32_e32 v5, v5, v6
	ds_write_b32 v48, v5
.LBB324_352:                            ;   in Loop: Header=BB324_20 Depth=1
	s_or_b64 exec, exec, s[28:29]
	v_mov_b32_e32 v5, 0
	s_waitcnt lgkmcnt(0)
	s_barrier
	s_and_saveexec_b64 s[28:29], s[10:11]
; %bb.353:                              ;   in Loop: Header=BB324_20 Depth=1
	ds_read_b32 v5, v49
; %bb.354:                              ;   in Loop: Header=BB324_20 Depth=1
	s_or_b64 exec, exec, s[28:29]
	v_subrev_co_u32_e64 v6, s[28:29], 1, v45
	v_cmp_lt_i32_e32 vcc, v6, v59
	v_cndmask_b32_e32 v6, v6, v45, vcc
	s_waitcnt lgkmcnt(0)
	v_add_u32_e32 v4, v5, v4
	v_lshlrev_b32_e32 v64, 2, v6
	ds_bpermute_b32 v4, v64, v4
	s_waitcnt lgkmcnt(0)
	s_barrier
	s_and_saveexec_b64 s[30:31], s[4:5]
; %bb.355:                              ;   in Loop: Header=BB324_20 Depth=1
	v_cndmask_b32_e64 v4, v4, v5, s[28:29]
	v_add_u32_e32 v4, s49, v4
	ds_write_b32 v18, v4
; %bb.356:                              ;   in Loop: Header=BB324_20 Depth=1
	s_or_b64 exec, exec, s[30:31]
	s_load_dwordx2 s[30:31], s[44:45], 0x0
	v_add_co_u32_e32 v65, vcc, v41, v60
	v_addc_co_u32_e32 v66, vcc, 0, v42, vcc
	s_waitcnt lgkmcnt(0)
	s_cmp_lt_u32 s33, s31
	s_cselect_b32 s31, 14, 20
	s_add_u32 s34, s44, s31
	s_addc_u32 s35, s45, 0
	s_cmp_lt_u32 s48, s30
	s_cselect_b32 s30, 12, 18
	s_add_u32 s30, s44, s30
	global_load_ushort v4, v3, s[34:35]
	s_addc_u32 s31, s45, 0
	global_load_ushort v5, v3, s[30:31]
	v_add_co_u32_e32 v67, vcc, v43, v46
	v_cmp_eq_u32_e64 s[30:31], 0, v58
	v_cmp_lt_u32_e64 s[34:35], 1, v58
	v_addc_co_u32_e32 v68, vcc, 0, v44, vcc
	s_mov_b32 s60, s75
	s_mov_b32 s46, s49
                                        ; implicit-def: $vgpr7_vgpr8
                                        ; implicit-def: $vgpr9_vgpr10
                                        ; implicit-def: $vgpr11_vgpr12
                                        ; implicit-def: $vgpr69
                                        ; implicit-def: $vgpr70
                                        ; implicit-def: $vgpr72
                                        ; implicit-def: $vgpr73
	s_waitcnt vmcnt(1)
	v_mad_u32_u24 v4, v2, v4, v1
	s_waitcnt vmcnt(0)
	v_mad_u64_u32 v[4:5], s[36:37], v4, v5, v[0:1]
                                        ; implicit-def: $vgpr5_vgpr6
	v_lshrrev_b32_e32 v4, 4, v4
	v_and_b32_e32 v71, 0xffffffc, v4
	s_branch .LBB324_358
.LBB324_357:                            ;   in Loop: Header=BB324_358 Depth=2
	s_or_b64 exec, exec, s[36:37]
	s_addk_i32 s60, 0xfc00
	s_cmp_lt_u32 s61, s76
	s_mov_b32 s46, s61
	s_cbranch_scc0 .LBB324_18
.LBB324_358:                            ;   Parent Loop BB324_20 Depth=1
                                        ; =>  This Inner Loop Header: Depth=2
	s_add_i32 s61, s46, 0x400
	s_cmp_gt_u32 s61, s76
	s_cbranch_scc1 .LBB324_360
; %bb.359:                              ;   in Loop: Header=BB324_358 Depth=2
	v_add_co_u32_e32 v13, vcc, s46, v67
	v_addc_co_u32_e32 v14, vcc, 0, v68, vcc
	global_load_ubyte v16, v[13:14], off offset:128
	global_load_ubyte v76, v[13:14], off offset:64
	global_load_ubyte v4, v[13:14], off
	s_mov_b64 s[36:37], -1
	s_movk_i32 s40, 0x400
                                        ; implicit-def: $vgpr15
	s_cbranch_execz .LBB324_361
	s_branch .LBB324_366
.LBB324_360:                            ;   in Loop: Header=BB324_358 Depth=2
	s_mov_b64 s[36:37], 0
                                        ; implicit-def: $vgpr4
                                        ; implicit-def: $vgpr76
                                        ; implicit-def: $vgpr16
	s_movk_i32 s40, 0x400
                                        ; implicit-def: $vgpr15
.LBB324_361:                            ;   in Loop: Header=BB324_358 Depth=2
	v_add_co_u32_e32 v13, vcc, s46, v67
	v_addc_co_u32_e32 v14, vcc, 0, v68, vcc
	v_cmp_gt_u32_e32 vcc, s60, v47
	v_mov_b32_e32 v15, 0x80
	s_waitcnt vmcnt(0)
	v_mov_b32_e32 v4, 0x80
	v_mov_b32_e32 v76, 0x80
	;; [unrolled: 1-line block ×3, first 2 shown]
	s_and_saveexec_b64 s[36:37], vcc
	s_cbranch_execnz .LBB324_420
; %bb.362:                              ;   in Loop: Header=BB324_358 Depth=2
	s_or_b64 exec, exec, s[36:37]
	v_cmp_gt_u32_e32 vcc, s60, v61
	s_and_saveexec_b64 s[36:37], vcc
	s_cbranch_execnz .LBB324_421
.LBB324_363:                            ;   in Loop: Header=BB324_358 Depth=2
	s_or_b64 exec, exec, s[36:37]
	v_cmp_gt_u32_e32 vcc, s60, v62
	s_and_saveexec_b64 s[36:37], vcc
	s_cbranch_execz .LBB324_365
.LBB324_364:                            ;   in Loop: Header=BB324_358 Depth=2
	global_load_ubyte v16, v[13:14], off offset:128
.LBB324_365:                            ;   in Loop: Header=BB324_358 Depth=2
	s_or_b64 exec, exec, s[36:37]
	s_sub_i32 s40, s76, s46
	v_cmp_gt_u32_e64 s[36:37], s60, v63
.LBB324_366:                            ;   in Loop: Header=BB324_358 Depth=2
	v_mov_b32_e32 v74, s60
	s_and_saveexec_b64 s[38:39], s[36:37]
	s_cbranch_execz .LBB324_368
; %bb.367:                              ;   in Loop: Header=BB324_358 Depth=2
	v_mov_b32_e32 v14, s47
	v_add_co_u32_e32 v13, vcc, s46, v67
	v_addc_co_u32_e32 v14, vcc, v68, v14, vcc
	global_load_ubyte v15, v[13:14], off offset:192
	v_mov_b32_e32 v74, s40
.LBB324_368:                            ;   in Loop: Header=BB324_358 Depth=2
	s_or_b64 exec, exec, s[38:39]
	s_waitcnt vmcnt(0)
	v_xor_b32_e32 v17, 0x7f, v4
	v_lshrrev_b32_sdwa v4, s73, v17 dst_sel:DWORD dst_unused:UNUSED_PAD src0_sel:DWORD src1_sel:BYTE_0
	v_and_b32_e32 v13, s59, v4
	v_and_b32_e32 v4, 1, v13
	v_add_co_u32_e32 v14, vcc, -1, v4
	v_addc_co_u32_e64 v75, s[36:37], 0, -1, vcc
	v_cmp_ne_u32_e32 vcc, 0, v4
	v_xor_b32_e32 v4, vcc_hi, v75
	v_and_b32_e32 v75, exec_hi, v4
	v_lshlrev_b32_e32 v4, 30, v13
	v_xor_b32_e32 v14, vcc_lo, v14
	v_cmp_gt_i64_e32 vcc, 0, v[3:4]
	v_not_b32_e32 v4, v4
	v_ashrrev_i32_e32 v4, 31, v4
	v_and_b32_e32 v14, exec_lo, v14
	v_xor_b32_e32 v78, vcc_hi, v4
	v_xor_b32_e32 v4, vcc_lo, v4
	v_and_b32_e32 v14, v14, v4
	v_lshlrev_b32_e32 v4, 29, v13
	v_cmp_gt_i64_e32 vcc, 0, v[3:4]
	v_not_b32_e32 v4, v4
	v_ashrrev_i32_e32 v4, 31, v4
	v_and_b32_e32 v75, v75, v78
	v_xor_b32_e32 v78, vcc_hi, v4
	v_xor_b32_e32 v4, vcc_lo, v4
	v_and_b32_e32 v14, v14, v4
	v_lshlrev_b32_e32 v4, 28, v13
	v_cmp_gt_i64_e32 vcc, 0, v[3:4]
	v_not_b32_e32 v4, v4
	v_ashrrev_i32_e32 v4, 31, v4
	v_and_b32_e32 v75, v75, v78
	;; [unrolled: 8-line block ×5, first 2 shown]
	v_xor_b32_e32 v78, vcc_hi, v4
	v_xor_b32_e32 v4, vcc_lo, v4
	v_and_b32_e32 v75, v75, v78
	v_and_b32_e32 v78, v14, v4
	v_lshlrev_b32_e32 v4, 24, v13
	v_cmp_gt_i64_e32 vcc, 0, v[3:4]
	v_not_b32_e32 v4, v4
	v_ashrrev_i32_e32 v4, 31, v4
	v_mul_u32_u24_e32 v77, 20, v13
	v_xor_b32_e32 v13, vcc_hi, v4
	v_xor_b32_e32 v4, vcc_lo, v4
	v_and_b32_e32 v14, v75, v13
	v_and_b32_e32 v13, v78, v4
	v_mbcnt_lo_u32_b32 v4, v13, 0
	v_mbcnt_hi_u32_b32 v75, v14, v4
	v_cmp_ne_u64_e32 vcc, 0, v[13:14]
	v_cmp_eq_u32_e64 s[36:37], 0, v75
	s_and_b64 s[38:39], vcc, s[36:37]
	v_add_u32_e32 v78, v71, v77
	ds_write2_b32 v53, v3, v3 offset1:1
	ds_write2_b32 v54, v3, v3 offset1:1
	ds_write_b32 v50, v3 offset:1056
	s_waitcnt lgkmcnt(0)
	s_barrier
	; wave barrier
	s_and_saveexec_b64 s[36:37], s[38:39]
; %bb.369:                              ;   in Loop: Header=BB324_358 Depth=2
	v_bcnt_u32_b32 v4, v13, 0
	v_bcnt_u32_b32 v4, v14, v4
	ds_write_b32 v78, v4 offset:1040
; %bb.370:                              ;   in Loop: Header=BB324_358 Depth=2
	s_or_b64 exec, exec, s[36:37]
	v_xor_b32_e32 v76, 0x7f, v76
	v_lshrrev_b32_sdwa v4, s73, v76 dst_sel:DWORD dst_unused:UNUSED_PAD src0_sel:DWORD src1_sel:BYTE_0
	v_and_b32_e32 v13, s59, v4
	v_mad_u32_u24 v4, v13, 20, v71
	; wave barrier
	ds_read_b32 v77, v4 offset:1040
	v_and_b32_e32 v4, 1, v13
	v_add_co_u32_e32 v14, vcc, -1, v4
	v_addc_co_u32_e64 v79, s[36:37], 0, -1, vcc
	v_cmp_ne_u32_e32 vcc, 0, v4
	v_xor_b32_e32 v4, vcc_hi, v79
	v_and_b32_e32 v79, exec_hi, v4
	v_lshlrev_b32_e32 v4, 30, v13
	v_xor_b32_e32 v14, vcc_lo, v14
	v_cmp_gt_i64_e32 vcc, 0, v[3:4]
	v_not_b32_e32 v4, v4
	v_ashrrev_i32_e32 v4, 31, v4
	v_and_b32_e32 v14, exec_lo, v14
	v_xor_b32_e32 v81, vcc_hi, v4
	v_xor_b32_e32 v4, vcc_lo, v4
	v_and_b32_e32 v14, v14, v4
	v_lshlrev_b32_e32 v4, 29, v13
	v_cmp_gt_i64_e32 vcc, 0, v[3:4]
	v_not_b32_e32 v4, v4
	v_ashrrev_i32_e32 v4, 31, v4
	v_and_b32_e32 v79, v79, v81
	v_xor_b32_e32 v81, vcc_hi, v4
	v_xor_b32_e32 v4, vcc_lo, v4
	v_and_b32_e32 v14, v14, v4
	v_lshlrev_b32_e32 v4, 28, v13
	v_cmp_gt_i64_e32 vcc, 0, v[3:4]
	v_not_b32_e32 v4, v4
	v_ashrrev_i32_e32 v4, 31, v4
	v_and_b32_e32 v79, v79, v81
	;; [unrolled: 8-line block ×5, first 2 shown]
	v_xor_b32_e32 v81, vcc_hi, v4
	v_xor_b32_e32 v4, vcc_lo, v4
	v_and_b32_e32 v79, v79, v81
	v_and_b32_e32 v81, v14, v4
	v_lshlrev_b32_e32 v4, 24, v13
	v_cmp_gt_i64_e32 vcc, 0, v[3:4]
	v_not_b32_e32 v4, v4
	v_ashrrev_i32_e32 v4, 31, v4
	v_mul_u32_u24_e32 v80, 20, v13
	v_xor_b32_e32 v13, vcc_hi, v4
	v_xor_b32_e32 v4, vcc_lo, v4
	v_and_b32_e32 v14, v79, v13
	v_and_b32_e32 v13, v81, v4
	v_mbcnt_lo_u32_b32 v4, v13, 0
	v_mbcnt_hi_u32_b32 v79, v14, v4
	v_cmp_ne_u64_e32 vcc, 0, v[13:14]
	v_cmp_eq_u32_e64 s[36:37], 0, v79
	s_and_b64 s[38:39], vcc, s[36:37]
	v_add_u32_e32 v82, v71, v80
	; wave barrier
	s_and_saveexec_b64 s[36:37], s[38:39]
	s_cbranch_execz .LBB324_372
; %bb.371:                              ;   in Loop: Header=BB324_358 Depth=2
	v_bcnt_u32_b32 v4, v13, 0
	v_bcnt_u32_b32 v4, v14, v4
	s_waitcnt lgkmcnt(0)
	v_add_u32_e32 v4, v77, v4
	ds_write_b32 v82, v4 offset:1040
.LBB324_372:                            ;   in Loop: Header=BB324_358 Depth=2
	s_or_b64 exec, exec, s[36:37]
	v_xor_b32_e32 v80, 0x7f, v16
	v_lshrrev_b32_sdwa v4, s73, v80 dst_sel:DWORD dst_unused:UNUSED_PAD src0_sel:DWORD src1_sel:BYTE_0
	v_and_b32_e32 v13, s59, v4
	v_mad_u32_u24 v4, v13, 20, v71
	; wave barrier
	ds_read_b32 v81, v4 offset:1040
	v_and_b32_e32 v4, 1, v13
	v_add_co_u32_e32 v14, vcc, -1, v4
	v_addc_co_u32_e64 v83, s[36:37], 0, -1, vcc
	v_cmp_ne_u32_e32 vcc, 0, v4
	v_xor_b32_e32 v4, vcc_hi, v83
	v_and_b32_e32 v83, exec_hi, v4
	v_lshlrev_b32_e32 v4, 30, v13
	v_xor_b32_e32 v14, vcc_lo, v14
	v_cmp_gt_i64_e32 vcc, 0, v[3:4]
	v_not_b32_e32 v4, v4
	v_ashrrev_i32_e32 v4, 31, v4
	v_and_b32_e32 v14, exec_lo, v14
	v_xor_b32_e32 v84, vcc_hi, v4
	v_xor_b32_e32 v4, vcc_lo, v4
	v_and_b32_e32 v14, v14, v4
	v_lshlrev_b32_e32 v4, 29, v13
	v_cmp_gt_i64_e32 vcc, 0, v[3:4]
	v_not_b32_e32 v4, v4
	v_ashrrev_i32_e32 v4, 31, v4
	v_and_b32_e32 v83, v83, v84
	v_xor_b32_e32 v84, vcc_hi, v4
	v_xor_b32_e32 v4, vcc_lo, v4
	v_and_b32_e32 v14, v14, v4
	v_lshlrev_b32_e32 v4, 28, v13
	v_cmp_gt_i64_e32 vcc, 0, v[3:4]
	v_not_b32_e32 v4, v4
	v_ashrrev_i32_e32 v4, 31, v4
	v_and_b32_e32 v83, v83, v84
	;; [unrolled: 8-line block ×5, first 2 shown]
	v_xor_b32_e32 v84, vcc_hi, v4
	v_xor_b32_e32 v4, vcc_lo, v4
	v_and_b32_e32 v83, v83, v84
	v_and_b32_e32 v84, v14, v4
	v_lshlrev_b32_e32 v4, 24, v13
	v_cmp_gt_i64_e32 vcc, 0, v[3:4]
	v_not_b32_e32 v4, v4
	v_ashrrev_i32_e32 v4, 31, v4
	v_mul_u32_u24_e32 v16, 20, v13
	v_xor_b32_e32 v13, vcc_hi, v4
	v_xor_b32_e32 v4, vcc_lo, v4
	v_and_b32_e32 v14, v83, v13
	v_and_b32_e32 v13, v84, v4
	v_mbcnt_lo_u32_b32 v4, v13, 0
	v_mbcnt_hi_u32_b32 v83, v14, v4
	v_cmp_ne_u64_e32 vcc, 0, v[13:14]
	v_cmp_eq_u32_e64 s[36:37], 0, v83
	s_and_b64 s[38:39], vcc, s[36:37]
	v_add_u32_e32 v86, v71, v16
	; wave barrier
	s_and_saveexec_b64 s[36:37], s[38:39]
	s_cbranch_execz .LBB324_374
; %bb.373:                              ;   in Loop: Header=BB324_358 Depth=2
	v_bcnt_u32_b32 v4, v13, 0
	v_bcnt_u32_b32 v4, v14, v4
	s_waitcnt lgkmcnt(0)
	v_add_u32_e32 v4, v81, v4
	ds_write_b32 v86, v4 offset:1040
.LBB324_374:                            ;   in Loop: Header=BB324_358 Depth=2
	s_or_b64 exec, exec, s[36:37]
	v_xor_b32_e32 v84, 0x7f, v15
	v_lshrrev_b32_sdwa v4, s73, v84 dst_sel:DWORD dst_unused:UNUSED_PAD src0_sel:DWORD src1_sel:BYTE_0
	v_and_b32_e32 v13, s59, v4
	v_mad_u32_u24 v4, v13, 20, v71
	; wave barrier
	ds_read_b32 v85, v4 offset:1040
	v_and_b32_e32 v4, 1, v13
	v_add_co_u32_e32 v14, vcc, -1, v4
	v_addc_co_u32_e64 v16, s[36:37], 0, -1, vcc
	v_cmp_ne_u32_e32 vcc, 0, v4
	v_xor_b32_e32 v4, vcc_hi, v16
	v_and_b32_e32 v16, exec_hi, v4
	v_lshlrev_b32_e32 v4, 30, v13
	v_xor_b32_e32 v14, vcc_lo, v14
	v_cmp_gt_i64_e32 vcc, 0, v[3:4]
	v_not_b32_e32 v4, v4
	v_ashrrev_i32_e32 v4, 31, v4
	v_and_b32_e32 v14, exec_lo, v14
	v_xor_b32_e32 v87, vcc_hi, v4
	v_xor_b32_e32 v4, vcc_lo, v4
	v_and_b32_e32 v14, v14, v4
	v_lshlrev_b32_e32 v4, 29, v13
	v_cmp_gt_i64_e32 vcc, 0, v[3:4]
	v_not_b32_e32 v4, v4
	v_ashrrev_i32_e32 v4, 31, v4
	v_and_b32_e32 v16, v16, v87
	v_xor_b32_e32 v87, vcc_hi, v4
	v_xor_b32_e32 v4, vcc_lo, v4
	v_and_b32_e32 v14, v14, v4
	v_lshlrev_b32_e32 v4, 28, v13
	v_cmp_gt_i64_e32 vcc, 0, v[3:4]
	v_not_b32_e32 v4, v4
	v_ashrrev_i32_e32 v4, 31, v4
	v_and_b32_e32 v16, v16, v87
	;; [unrolled: 8-line block ×5, first 2 shown]
	v_xor_b32_e32 v87, vcc_hi, v4
	v_xor_b32_e32 v4, vcc_lo, v4
	v_and_b32_e32 v16, v16, v87
	v_and_b32_e32 v87, v14, v4
	v_lshlrev_b32_e32 v4, 24, v13
	v_cmp_gt_i64_e32 vcc, 0, v[3:4]
	v_not_b32_e32 v4, v4
	v_ashrrev_i32_e32 v4, 31, v4
	v_mul_u32_u24_e32 v15, 20, v13
	v_xor_b32_e32 v13, vcc_hi, v4
	v_xor_b32_e32 v4, vcc_lo, v4
	v_and_b32_e32 v14, v16, v13
	v_and_b32_e32 v13, v87, v4
	v_mbcnt_lo_u32_b32 v4, v13, 0
	v_mbcnt_hi_u32_b32 v4, v14, v4
	v_cmp_ne_u64_e32 vcc, 0, v[13:14]
	v_cmp_eq_u32_e64 s[36:37], 0, v4
	s_and_b64 s[38:39], vcc, s[36:37]
	v_add_u32_e32 v87, v71, v15
	; wave barrier
	s_and_saveexec_b64 s[36:37], s[38:39]
	s_cbranch_execz .LBB324_376
; %bb.375:                              ;   in Loop: Header=BB324_358 Depth=2
	v_bcnt_u32_b32 v13, v13, 0
	v_bcnt_u32_b32 v13, v14, v13
	s_waitcnt lgkmcnt(0)
	v_add_u32_e32 v13, v85, v13
	ds_write_b32 v87, v13 offset:1040
.LBB324_376:                            ;   in Loop: Header=BB324_358 Depth=2
	s_or_b64 exec, exec, s[36:37]
	; wave barrier
	s_waitcnt lgkmcnt(0)
	s_barrier
	ds_read2_b32 v[15:16], v53 offset1:1
	ds_read2_b32 v[13:14], v54 offset1:1
	ds_read_b32 v88, v50 offset:1056
	s_waitcnt lgkmcnt(1)
	v_add3_u32 v89, v16, v15, v13
	s_waitcnt lgkmcnt(0)
	v_add3_u32 v88, v89, v14, v88
	s_nop 1
	v_mov_b32_dpp v89, v88 row_shr:1 row_mask:0xf bank_mask:0xf
	v_cndmask_b32_e64 v89, v89, 0, s[16:17]
	v_add_u32_e32 v88, v89, v88
	s_nop 1
	v_mov_b32_dpp v89, v88 row_shr:2 row_mask:0xf bank_mask:0xf
	v_cndmask_b32_e64 v89, 0, v89, s[18:19]
	v_add_u32_e32 v88, v88, v89
	;; [unrolled: 4-line block ×4, first 2 shown]
	s_nop 1
	v_mov_b32_dpp v89, v88 row_bcast:15 row_mask:0xf bank_mask:0xf
	v_cndmask_b32_e64 v89, v89, 0, s[24:25]
	v_add_u32_e32 v88, v88, v89
	s_nop 1
	v_mov_b32_dpp v89, v88 row_bcast:31 row_mask:0xf bank_mask:0xf
	v_cndmask_b32_e64 v89, 0, v89, s[26:27]
	v_add_u32_e32 v88, v88, v89
	s_and_saveexec_b64 s[36:37], s[6:7]
; %bb.377:                              ;   in Loop: Header=BB324_358 Depth=2
	ds_write_b32 v26, v88 offset:1024
; %bb.378:                              ;   in Loop: Header=BB324_358 Depth=2
	s_or_b64 exec, exec, s[36:37]
	s_waitcnt lgkmcnt(0)
	s_barrier
	s_and_saveexec_b64 s[36:37], s[8:9]
	s_cbranch_execz .LBB324_380
; %bb.379:                              ;   in Loop: Header=BB324_358 Depth=2
	v_add_u32_e32 v89, v50, v28
	ds_read_b32 v90, v89 offset:1024
	s_waitcnt lgkmcnt(0)
	s_nop 0
	v_mov_b32_dpp v91, v90 row_shr:1 row_mask:0xf bank_mask:0xf
	v_cndmask_b32_e64 v91, v91, 0, s[30:31]
	v_add_u32_e32 v90, v91, v90
	s_nop 1
	v_mov_b32_dpp v91, v90 row_shr:2 row_mask:0xf bank_mask:0xf
	v_cndmask_b32_e64 v91, 0, v91, s[34:35]
	v_add_u32_e32 v90, v90, v91
	ds_write_b32 v89, v90 offset:1024
.LBB324_380:                            ;   in Loop: Header=BB324_358 Depth=2
	s_or_b64 exec, exec, s[36:37]
	v_mov_b32_e32 v89, 0
	s_waitcnt lgkmcnt(0)
	s_barrier
	s_and_saveexec_b64 s[36:37], s[10:11]
; %bb.381:                              ;   in Loop: Header=BB324_358 Depth=2
	ds_read_b32 v89, v26 offset:1020
; %bb.382:                              ;   in Loop: Header=BB324_358 Depth=2
	s_or_b64 exec, exec, s[36:37]
	s_waitcnt lgkmcnt(0)
	v_add_u32_e32 v88, v89, v88
	ds_bpermute_b32 v88, v64, v88
	s_waitcnt lgkmcnt(0)
	v_cndmask_b32_e64 v88, v88, v89, s[28:29]
	v_cndmask_b32_e64 v88, v88, 0, s[12:13]
	v_add_u32_e32 v15, v88, v15
	v_add_u32_e32 v16, v15, v16
	;; [unrolled: 1-line block ×4, first 2 shown]
	ds_write2_b32 v53, v88, v15 offset1:1
	ds_write2_b32 v54, v16, v13 offset1:1
	ds_write_b32 v50, v14 offset:1056
	s_waitcnt lgkmcnt(0)
	s_barrier
	ds_read_b32 v13, v78 offset:1040
	ds_read_b32 v14, v82 offset:1040
	ds_read_b32 v16, v86 offset:1040
	ds_read_b32 v82, v87 offset:1040
	ds_read_b32 v15, v50 offset:1040
	v_mov_b32_e32 v78, 0x400
	s_and_saveexec_b64 s[36:37], s[14:15]
; %bb.383:                              ;   in Loop: Header=BB324_358 Depth=2
	ds_read_b32 v78, v50 offset:1060
; %bb.384:                              ;   in Loop: Header=BB324_358 Depth=2
	s_or_b64 exec, exec, s[36:37]
	s_waitcnt lgkmcnt(0)
	s_barrier
	s_and_saveexec_b64 s[36:37], s[4:5]
	s_cbranch_execz .LBB324_386
; %bb.385:                              ;   in Loop: Header=BB324_358 Depth=2
	ds_read_b32 v86, v18
	s_waitcnt lgkmcnt(0)
	v_sub_u32_e32 v15, v86, v15
	ds_write_b32 v18, v15
.LBB324_386:                            ;   in Loop: Header=BB324_358 Depth=2
	s_or_b64 exec, exec, s[36:37]
	v_add_u32_e32 v15, v13, v75
	v_add3_u32 v14, v79, v77, v14
	v_add3_u32 v13, v83, v81, v16
	;; [unrolled: 1-line block ×3, first 2 shown]
	v_cmp_lt_u32_e64 s[40:41], v0, v74
	ds_write_b8 v15, v17 offset:1024
	ds_write_b8 v14, v76 offset:1024
	;; [unrolled: 1-line block ×4, first 2 shown]
	s_waitcnt lgkmcnt(0)
	s_barrier
	s_and_saveexec_b64 s[36:37], s[40:41]
	s_cbranch_execnz .LBB324_407
; %bb.387:                              ;   in Loop: Header=BB324_358 Depth=2
	s_or_b64 exec, exec, s[36:37]
	v_cmp_lt_u32_e64 s[38:39], v19, v74
	s_and_saveexec_b64 s[36:37], s[38:39]
	s_cbranch_execnz .LBB324_408
.LBB324_388:                            ;   in Loop: Header=BB324_358 Depth=2
	s_or_b64 exec, exec, s[36:37]
	v_cmp_lt_u32_e64 s[36:37], v20, v74
	s_and_saveexec_b64 s[42:43], s[36:37]
	s_cbranch_execnz .LBB324_409
.LBB324_389:                            ;   in Loop: Header=BB324_358 Depth=2
	s_or_b64 exec, exec, s[42:43]
	v_cmp_lt_u32_e32 vcc, v21, v74
	s_and_saveexec_b64 s[42:43], vcc
	s_cbranch_execz .LBB324_391
.LBB324_390:                            ;   in Loop: Header=BB324_358 Depth=2
	ds_read_u8 v16, v0 offset:1792
	s_waitcnt lgkmcnt(0)
	v_lshrrev_b32_sdwa v17, s73, v16 dst_sel:DWORD dst_unused:UNUSED_PAD src0_sel:DWORD src1_sel:BYTE_0
	v_and_b32_e32 v17, s59, v17
	v_lshlrev_b32_e32 v17, 2, v17
	ds_read_b32 v17, v17
	v_xor_b32_e32 v16, 0x7f, v16
	s_waitcnt lgkmcnt(0)
	v_add_u32_e32 v17, v17, v21
	global_store_byte v17, v16, s[68:69]
.LBB324_391:                            ;   in Loop: Header=BB324_358 Depth=2
	s_or_b64 exec, exec, s[42:43]
	s_lshl_b64 s[42:43], s[46:47], 3
	v_mov_b32_e32 v17, s43
	v_add_co_u32_e64 v16, s[42:43], s42, v65
	v_addc_co_u32_e64 v17, s[42:43], v66, v17, s[42:43]
	v_cmp_lt_u32_e64 s[42:43], v47, v74
	s_and_saveexec_b64 s[56:57], s[42:43]
	s_xor_b64 s[42:43], exec, s[56:57]
	s_cbranch_execnz .LBB324_410
; %bb.392:                              ;   in Loop: Header=BB324_358 Depth=2
	s_or_b64 exec, exec, s[42:43]
	v_cmp_lt_u32_e64 s[42:43], v61, v74
	s_and_saveexec_b64 s[56:57], s[42:43]
	s_cbranch_execnz .LBB324_411
.LBB324_393:                            ;   in Loop: Header=BB324_358 Depth=2
	s_or_b64 exec, exec, s[56:57]
	v_cmp_lt_u32_e64 s[42:43], v62, v74
	s_and_saveexec_b64 s[56:57], s[42:43]
	s_cbranch_execnz .LBB324_412
.LBB324_394:                            ;   in Loop: Header=BB324_358 Depth=2
	s_or_b64 exec, exec, s[56:57]
	v_cmp_lt_u32_e64 s[42:43], v63, v74
	s_and_saveexec_b64 s[56:57], s[42:43]
	s_cbranch_execnz .LBB324_413
.LBB324_395:                            ;   in Loop: Header=BB324_358 Depth=2
	s_or_b64 exec, exec, s[56:57]
	s_and_saveexec_b64 s[42:43], s[40:41]
	s_cbranch_execnz .LBB324_414
.LBB324_396:                            ;   in Loop: Header=BB324_358 Depth=2
	s_or_b64 exec, exec, s[42:43]
	s_and_saveexec_b64 s[42:43], s[38:39]
	s_cbranch_execnz .LBB324_415
.LBB324_397:                            ;   in Loop: Header=BB324_358 Depth=2
	s_or_b64 exec, exec, s[42:43]
	s_and_saveexec_b64 s[42:43], s[36:37]
	s_cbranch_execnz .LBB324_416
.LBB324_398:                            ;   in Loop: Header=BB324_358 Depth=2
	s_or_b64 exec, exec, s[42:43]
	s_and_saveexec_b64 s[42:43], vcc
	s_cbranch_execz .LBB324_400
.LBB324_399:                            ;   in Loop: Header=BB324_358 Depth=2
	ds_read_u8 v16, v0 offset:1792
	s_waitcnt lgkmcnt(0)
	v_lshrrev_b32_e32 v16, s73, v16
	v_and_b32_e32 v69, s59, v16
.LBB324_400:                            ;   in Loop: Header=BB324_358 Depth=2
	s_or_b64 exec, exec, s[42:43]
	v_mad_u64_u32 v[15:16], s[42:43], v15, 7, v[15:16]
	s_waitcnt vmcnt(0)
	v_mad_u64_u32 v[74:75], s[42:43], v4, 7, v[4:5]
	v_mad_u64_u32 v[16:17], s[42:43], v14, 7, v[14:15]
	;; [unrolled: 1-line block ×3, first 2 shown]
	v_add_u32_e32 v4, v0, v51
	s_barrier
	ds_write_b64 v15, v[11:12] offset:1024
	ds_write_b64 v16, v[9:10] offset:1024
	;; [unrolled: 1-line block ×4, first 2 shown]
	s_waitcnt lgkmcnt(0)
	s_barrier
	s_and_saveexec_b64 s[42:43], s[40:41]
	s_cbranch_execnz .LBB324_417
; %bb.401:                              ;   in Loop: Header=BB324_358 Depth=2
	s_or_b64 exec, exec, s[42:43]
	s_and_saveexec_b64 s[40:41], s[38:39]
	s_cbranch_execnz .LBB324_418
.LBB324_402:                            ;   in Loop: Header=BB324_358 Depth=2
	s_or_b64 exec, exec, s[40:41]
	s_and_saveexec_b64 s[38:39], s[36:37]
	s_cbranch_execnz .LBB324_419
.LBB324_403:                            ;   in Loop: Header=BB324_358 Depth=2
	s_or_b64 exec, exec, s[38:39]
	s_and_saveexec_b64 s[36:37], vcc
	s_cbranch_execz .LBB324_405
.LBB324_404:                            ;   in Loop: Header=BB324_358 Depth=2
	v_lshlrev_b32_e32 v13, 2, v69
	ds_read_b32 v15, v13
	ds_read_b64 v[13:14], v4 offset:7168
	v_mov_b32_e32 v16, v3
	v_mov_b32_e32 v4, s55
	s_waitcnt lgkmcnt(1)
	v_add_u32_e32 v15, v15, v21
	v_lshlrev_b64 v[15:16], 3, v[15:16]
	v_add_co_u32_e32 v15, vcc, s54, v15
	v_addc_co_u32_e32 v16, vcc, v4, v16, vcc
	s_waitcnt lgkmcnt(0)
	global_store_dwordx2 v[15:16], v[13:14], off
.LBB324_405:                            ;   in Loop: Header=BB324_358 Depth=2
	s_or_b64 exec, exec, s[36:37]
	s_waitcnt vmcnt(0)
	s_barrier
	s_and_saveexec_b64 s[36:37], s[4:5]
	s_cbranch_execz .LBB324_357
; %bb.406:                              ;   in Loop: Header=BB324_358 Depth=2
	ds_read_b32 v4, v18
	s_waitcnt lgkmcnt(0)
	v_add_u32_e32 v4, v4, v78
	ds_write_b32 v18, v4
	s_branch .LBB324_357
.LBB324_407:                            ;   in Loop: Header=BB324_358 Depth=2
	ds_read_u8 v16, v0 offset:1024
	s_waitcnt lgkmcnt(0)
	v_lshrrev_b32_sdwa v17, s73, v16 dst_sel:DWORD dst_unused:UNUSED_PAD src0_sel:DWORD src1_sel:BYTE_0
	v_and_b32_e32 v17, s59, v17
	v_lshlrev_b32_e32 v17, 2, v17
	ds_read_b32 v17, v17
	v_xor_b32_e32 v16, 0x7f, v16
	s_waitcnt lgkmcnt(0)
	v_add_u32_e32 v17, v17, v0
	global_store_byte v17, v16, s[68:69]
	s_or_b64 exec, exec, s[36:37]
	v_cmp_lt_u32_e64 s[38:39], v19, v74
	s_and_saveexec_b64 s[36:37], s[38:39]
	s_cbranch_execz .LBB324_388
.LBB324_408:                            ;   in Loop: Header=BB324_358 Depth=2
	ds_read_u8 v16, v0 offset:1280
	s_waitcnt lgkmcnt(0)
	v_lshrrev_b32_sdwa v17, s73, v16 dst_sel:DWORD dst_unused:UNUSED_PAD src0_sel:DWORD src1_sel:BYTE_0
	v_and_b32_e32 v17, s59, v17
	v_lshlrev_b32_e32 v17, 2, v17
	ds_read_b32 v17, v17
	v_xor_b32_e32 v16, 0x7f, v16
	s_waitcnt lgkmcnt(0)
	v_add_u32_e32 v17, v17, v19
	global_store_byte v17, v16, s[68:69]
	s_or_b64 exec, exec, s[36:37]
	v_cmp_lt_u32_e64 s[36:37], v20, v74
	s_and_saveexec_b64 s[42:43], s[36:37]
	s_cbranch_execz .LBB324_389
.LBB324_409:                            ;   in Loop: Header=BB324_358 Depth=2
	ds_read_u8 v16, v0 offset:1536
	s_waitcnt lgkmcnt(0)
	v_lshrrev_b32_sdwa v17, s73, v16 dst_sel:DWORD dst_unused:UNUSED_PAD src0_sel:DWORD src1_sel:BYTE_0
	v_and_b32_e32 v17, s59, v17
	v_lshlrev_b32_e32 v17, 2, v17
	ds_read_b32 v17, v17
	v_xor_b32_e32 v16, 0x7f, v16
	s_waitcnt lgkmcnt(0)
	v_add_u32_e32 v17, v17, v20
	global_store_byte v17, v16, s[68:69]
	s_or_b64 exec, exec, s[42:43]
	v_cmp_lt_u32_e32 vcc, v21, v74
	s_and_saveexec_b64 s[42:43], vcc
	s_cbranch_execnz .LBB324_390
	s_branch .LBB324_391
.LBB324_410:                            ;   in Loop: Header=BB324_358 Depth=2
	global_load_dwordx2 v[11:12], v[16:17], off
	s_or_b64 exec, exec, s[42:43]
	v_cmp_lt_u32_e64 s[42:43], v61, v74
	s_and_saveexec_b64 s[56:57], s[42:43]
	s_cbranch_execz .LBB324_393
.LBB324_411:                            ;   in Loop: Header=BB324_358 Depth=2
	global_load_dwordx2 v[9:10], v[16:17], off offset:512
	s_or_b64 exec, exec, s[56:57]
	v_cmp_lt_u32_e64 s[42:43], v62, v74
	s_and_saveexec_b64 s[56:57], s[42:43]
	s_cbranch_execz .LBB324_394
.LBB324_412:                            ;   in Loop: Header=BB324_358 Depth=2
	global_load_dwordx2 v[7:8], v[16:17], off offset:1024
	s_or_b64 exec, exec, s[56:57]
	v_cmp_lt_u32_e64 s[42:43], v63, v74
	s_and_saveexec_b64 s[56:57], s[42:43]
	s_cbranch_execz .LBB324_395
.LBB324_413:                            ;   in Loop: Header=BB324_358 Depth=2
	global_load_dwordx2 v[5:6], v[16:17], off offset:1536
	s_or_b64 exec, exec, s[56:57]
	s_and_saveexec_b64 s[42:43], s[40:41]
	s_cbranch_execz .LBB324_396
.LBB324_414:                            ;   in Loop: Header=BB324_358 Depth=2
	ds_read_u8 v16, v0 offset:1024
	s_waitcnt lgkmcnt(0)
	v_lshrrev_b32_e32 v16, s73, v16
	v_and_b32_e32 v73, s59, v16
	s_or_b64 exec, exec, s[42:43]
	s_and_saveexec_b64 s[42:43], s[38:39]
	s_cbranch_execz .LBB324_397
.LBB324_415:                            ;   in Loop: Header=BB324_358 Depth=2
	ds_read_u8 v16, v0 offset:1280
	s_waitcnt lgkmcnt(0)
	v_lshrrev_b32_e32 v16, s73, v16
	v_and_b32_e32 v72, s59, v16
	s_or_b64 exec, exec, s[42:43]
	s_and_saveexec_b64 s[42:43], s[36:37]
	s_cbranch_execz .LBB324_398
.LBB324_416:                            ;   in Loop: Header=BB324_358 Depth=2
	ds_read_u8 v16, v0 offset:1536
	s_waitcnt lgkmcnt(0)
	v_lshrrev_b32_e32 v16, s73, v16
	v_and_b32_e32 v70, s59, v16
	s_or_b64 exec, exec, s[42:43]
	s_and_saveexec_b64 s[42:43], vcc
	s_cbranch_execnz .LBB324_399
	s_branch .LBB324_400
.LBB324_417:                            ;   in Loop: Header=BB324_358 Depth=2
	v_lshlrev_b32_e32 v13, 2, v73
	ds_read_b32 v15, v13
	ds_read_b64 v[13:14], v4 offset:1024
	v_mov_b32_e32 v16, v3
	v_mov_b32_e32 v17, s55
	s_waitcnt lgkmcnt(1)
	v_add_u32_e32 v15, v15, v0
	v_lshlrev_b64 v[15:16], 3, v[15:16]
	v_add_co_u32_e64 v15, s[40:41], s54, v15
	v_addc_co_u32_e64 v16, s[40:41], v17, v16, s[40:41]
	s_waitcnt lgkmcnt(0)
	global_store_dwordx2 v[15:16], v[13:14], off
	s_or_b64 exec, exec, s[42:43]
	s_and_saveexec_b64 s[40:41], s[38:39]
	s_cbranch_execz .LBB324_402
.LBB324_418:                            ;   in Loop: Header=BB324_358 Depth=2
	v_lshlrev_b32_e32 v13, 2, v72
	ds_read_b32 v15, v13
	ds_read_b64 v[13:14], v4 offset:3072
	v_mov_b32_e32 v16, v3
	v_mov_b32_e32 v17, s55
	s_waitcnt lgkmcnt(1)
	v_add_u32_e32 v15, v15, v19
	v_lshlrev_b64 v[15:16], 3, v[15:16]
	v_add_co_u32_e64 v15, s[38:39], s54, v15
	v_addc_co_u32_e64 v16, s[38:39], v17, v16, s[38:39]
	s_waitcnt lgkmcnt(0)
	global_store_dwordx2 v[15:16], v[13:14], off
	s_or_b64 exec, exec, s[40:41]
	s_and_saveexec_b64 s[38:39], s[36:37]
	s_cbranch_execz .LBB324_403
.LBB324_419:                            ;   in Loop: Header=BB324_358 Depth=2
	v_lshlrev_b32_e32 v13, 2, v70
	ds_read_b32 v15, v13
	ds_read_b64 v[13:14], v4 offset:5120
	v_mov_b32_e32 v16, v3
	v_mov_b32_e32 v17, s55
	s_waitcnt lgkmcnt(1)
	v_add_u32_e32 v15, v15, v20
	v_lshlrev_b64 v[15:16], 3, v[15:16]
	v_add_co_u32_e64 v15, s[36:37], s54, v15
	v_addc_co_u32_e64 v16, s[36:37], v17, v16, s[36:37]
	s_waitcnt lgkmcnt(0)
	global_store_dwordx2 v[15:16], v[13:14], off
	s_or_b64 exec, exec, s[38:39]
	s_and_saveexec_b64 s[36:37], vcc
	s_cbranch_execnz .LBB324_404
	s_branch .LBB324_405
.LBB324_420:                            ;   in Loop: Header=BB324_358 Depth=2
	global_load_ubyte v4, v[13:14], off
	v_mov_b32_e32 v15, 0x80
	v_mov_b32_e32 v76, 0x80
	;; [unrolled: 1-line block ×3, first 2 shown]
	s_or_b64 exec, exec, s[36:37]
	v_cmp_gt_u32_e32 vcc, s60, v61
	s_and_saveexec_b64 s[36:37], vcc
	s_cbranch_execz .LBB324_363
.LBB324_421:                            ;   in Loop: Header=BB324_358 Depth=2
	global_load_ubyte v76, v[13:14], off offset:64
	s_or_b64 exec, exec, s[36:37]
	v_cmp_gt_u32_e32 vcc, s60, v62
	s_and_saveexec_b64 s[36:37], vcc
	s_cbranch_execnz .LBB324_364
	s_branch .LBB324_365
.LBB324_422:
	s_endpgm
	.section	.rodata,"a",@progbits
	.p2align	6, 0x0
	.amdhsa_kernel _ZN7rocprim17ROCPRIM_400000_NS6detail17trampoline_kernelINS0_14default_configENS1_36segmented_radix_sort_config_selectorIalEEZNS1_25segmented_radix_sort_implIS3_Lb1EPKaPaPKlPlN2at6native12_GLOBAL__N_18offset_tEEE10hipError_tPvRmT1_PNSt15iterator_traitsISK_E10value_typeET2_T3_PNSL_ISQ_E10value_typeET4_jRbjT5_SW_jjP12ihipStream_tbEUlT_E2_NS1_11comp_targetILNS1_3genE2ELNS1_11target_archE906ELNS1_3gpuE6ELNS1_3repE0EEENS1_30default_config_static_selectorELNS0_4arch9wavefront6targetE1EEEvSK_
		.amdhsa_group_segment_fixed_size 9232
		.amdhsa_private_segment_fixed_size 0
		.amdhsa_kernarg_size 336
		.amdhsa_user_sgpr_count 6
		.amdhsa_user_sgpr_private_segment_buffer 1
		.amdhsa_user_sgpr_dispatch_ptr 0
		.amdhsa_user_sgpr_queue_ptr 0
		.amdhsa_user_sgpr_kernarg_segment_ptr 1
		.amdhsa_user_sgpr_dispatch_id 0
		.amdhsa_user_sgpr_flat_scratch_init 0
		.amdhsa_user_sgpr_private_segment_size 0
		.amdhsa_uses_dynamic_stack 0
		.amdhsa_system_sgpr_private_segment_wavefront_offset 0
		.amdhsa_system_sgpr_workgroup_id_x 1
		.amdhsa_system_sgpr_workgroup_id_y 1
		.amdhsa_system_sgpr_workgroup_id_z 0
		.amdhsa_system_sgpr_workgroup_info 0
		.amdhsa_system_vgpr_workitem_id 2
		.amdhsa_next_free_vgpr 97
		.amdhsa_next_free_sgpr 77
		.amdhsa_reserve_vcc 1
		.amdhsa_reserve_flat_scratch 0
		.amdhsa_float_round_mode_32 0
		.amdhsa_float_round_mode_16_64 0
		.amdhsa_float_denorm_mode_32 3
		.amdhsa_float_denorm_mode_16_64 3
		.amdhsa_dx10_clamp 1
		.amdhsa_ieee_mode 1
		.amdhsa_fp16_overflow 0
		.amdhsa_exception_fp_ieee_invalid_op 0
		.amdhsa_exception_fp_denorm_src 0
		.amdhsa_exception_fp_ieee_div_zero 0
		.amdhsa_exception_fp_ieee_overflow 0
		.amdhsa_exception_fp_ieee_underflow 0
		.amdhsa_exception_fp_ieee_inexact 0
		.amdhsa_exception_int_div_zero 0
	.end_amdhsa_kernel
	.section	.text._ZN7rocprim17ROCPRIM_400000_NS6detail17trampoline_kernelINS0_14default_configENS1_36segmented_radix_sort_config_selectorIalEEZNS1_25segmented_radix_sort_implIS3_Lb1EPKaPaPKlPlN2at6native12_GLOBAL__N_18offset_tEEE10hipError_tPvRmT1_PNSt15iterator_traitsISK_E10value_typeET2_T3_PNSL_ISQ_E10value_typeET4_jRbjT5_SW_jjP12ihipStream_tbEUlT_E2_NS1_11comp_targetILNS1_3genE2ELNS1_11target_archE906ELNS1_3gpuE6ELNS1_3repE0EEENS1_30default_config_static_selectorELNS0_4arch9wavefront6targetE1EEEvSK_,"axG",@progbits,_ZN7rocprim17ROCPRIM_400000_NS6detail17trampoline_kernelINS0_14default_configENS1_36segmented_radix_sort_config_selectorIalEEZNS1_25segmented_radix_sort_implIS3_Lb1EPKaPaPKlPlN2at6native12_GLOBAL__N_18offset_tEEE10hipError_tPvRmT1_PNSt15iterator_traitsISK_E10value_typeET2_T3_PNSL_ISQ_E10value_typeET4_jRbjT5_SW_jjP12ihipStream_tbEUlT_E2_NS1_11comp_targetILNS1_3genE2ELNS1_11target_archE906ELNS1_3gpuE6ELNS1_3repE0EEENS1_30default_config_static_selectorELNS0_4arch9wavefront6targetE1EEEvSK_,comdat
.Lfunc_end324:
	.size	_ZN7rocprim17ROCPRIM_400000_NS6detail17trampoline_kernelINS0_14default_configENS1_36segmented_radix_sort_config_selectorIalEEZNS1_25segmented_radix_sort_implIS3_Lb1EPKaPaPKlPlN2at6native12_GLOBAL__N_18offset_tEEE10hipError_tPvRmT1_PNSt15iterator_traitsISK_E10value_typeET2_T3_PNSL_ISQ_E10value_typeET4_jRbjT5_SW_jjP12ihipStream_tbEUlT_E2_NS1_11comp_targetILNS1_3genE2ELNS1_11target_archE906ELNS1_3gpuE6ELNS1_3repE0EEENS1_30default_config_static_selectorELNS0_4arch9wavefront6targetE1EEEvSK_, .Lfunc_end324-_ZN7rocprim17ROCPRIM_400000_NS6detail17trampoline_kernelINS0_14default_configENS1_36segmented_radix_sort_config_selectorIalEEZNS1_25segmented_radix_sort_implIS3_Lb1EPKaPaPKlPlN2at6native12_GLOBAL__N_18offset_tEEE10hipError_tPvRmT1_PNSt15iterator_traitsISK_E10value_typeET2_T3_PNSL_ISQ_E10value_typeET4_jRbjT5_SW_jjP12ihipStream_tbEUlT_E2_NS1_11comp_targetILNS1_3genE2ELNS1_11target_archE906ELNS1_3gpuE6ELNS1_3repE0EEENS1_30default_config_static_selectorELNS0_4arch9wavefront6targetE1EEEvSK_
                                        ; -- End function
	.set _ZN7rocprim17ROCPRIM_400000_NS6detail17trampoline_kernelINS0_14default_configENS1_36segmented_radix_sort_config_selectorIalEEZNS1_25segmented_radix_sort_implIS3_Lb1EPKaPaPKlPlN2at6native12_GLOBAL__N_18offset_tEEE10hipError_tPvRmT1_PNSt15iterator_traitsISK_E10value_typeET2_T3_PNSL_ISQ_E10value_typeET4_jRbjT5_SW_jjP12ihipStream_tbEUlT_E2_NS1_11comp_targetILNS1_3genE2ELNS1_11target_archE906ELNS1_3gpuE6ELNS1_3repE0EEENS1_30default_config_static_selectorELNS0_4arch9wavefront6targetE1EEEvSK_.num_vgpr, max(92, .L_ZN7rocprim17ROCPRIM_400000_NS6detail26segmented_warp_sort_helperINS1_20WarpSortHelperConfigILj8ELj4ELj256EEEalLi256ELb1EvE4sortIPKaPaPKlPlEEvT_T0_T1_T2_jjjjRNS5_12storage_typeE.num_vgpr, .L_ZN7rocprim17ROCPRIM_400000_NS6detail40segmented_radix_sort_single_block_helperIalLj256ELj4ELb1EE4sortIPKaPaPKlPlEEbT_T0_T1_T2_jjjjRNS3_12storage_typeE.num_vgpr)
	.set _ZN7rocprim17ROCPRIM_400000_NS6detail17trampoline_kernelINS0_14default_configENS1_36segmented_radix_sort_config_selectorIalEEZNS1_25segmented_radix_sort_implIS3_Lb1EPKaPaPKlPlN2at6native12_GLOBAL__N_18offset_tEEE10hipError_tPvRmT1_PNSt15iterator_traitsISK_E10value_typeET2_T3_PNSL_ISQ_E10value_typeET4_jRbjT5_SW_jjP12ihipStream_tbEUlT_E2_NS1_11comp_targetILNS1_3genE2ELNS1_11target_archE906ELNS1_3gpuE6ELNS1_3repE0EEENS1_30default_config_static_selectorELNS0_4arch9wavefront6targetE1EEEvSK_.num_agpr, max(0, .L_ZN7rocprim17ROCPRIM_400000_NS6detail26segmented_warp_sort_helperINS1_20WarpSortHelperConfigILj8ELj4ELj256EEEalLi256ELb1EvE4sortIPKaPaPKlPlEEvT_T0_T1_T2_jjjjRNS5_12storage_typeE.num_agpr, .L_ZN7rocprim17ROCPRIM_400000_NS6detail40segmented_radix_sort_single_block_helperIalLj256ELj4ELb1EE4sortIPKaPaPKlPlEEbT_T0_T1_T2_jjjjRNS3_12storage_typeE.num_agpr)
	.set _ZN7rocprim17ROCPRIM_400000_NS6detail17trampoline_kernelINS0_14default_configENS1_36segmented_radix_sort_config_selectorIalEEZNS1_25segmented_radix_sort_implIS3_Lb1EPKaPaPKlPlN2at6native12_GLOBAL__N_18offset_tEEE10hipError_tPvRmT1_PNSt15iterator_traitsISK_E10value_typeET2_T3_PNSL_ISQ_E10value_typeET4_jRbjT5_SW_jjP12ihipStream_tbEUlT_E2_NS1_11comp_targetILNS1_3genE2ELNS1_11target_archE906ELNS1_3gpuE6ELNS1_3repE0EEENS1_30default_config_static_selectorELNS0_4arch9wavefront6targetE1EEEvSK_.numbered_sgpr, max(77, .L_ZN7rocprim17ROCPRIM_400000_NS6detail26segmented_warp_sort_helperINS1_20WarpSortHelperConfigILj8ELj4ELj256EEEalLi256ELb1EvE4sortIPKaPaPKlPlEEvT_T0_T1_T2_jjjjRNS5_12storage_typeE.numbered_sgpr, .L_ZN7rocprim17ROCPRIM_400000_NS6detail40segmented_radix_sort_single_block_helperIalLj256ELj4ELb1EE4sortIPKaPaPKlPlEEbT_T0_T1_T2_jjjjRNS3_12storage_typeE.numbered_sgpr)
	.set _ZN7rocprim17ROCPRIM_400000_NS6detail17trampoline_kernelINS0_14default_configENS1_36segmented_radix_sort_config_selectorIalEEZNS1_25segmented_radix_sort_implIS3_Lb1EPKaPaPKlPlN2at6native12_GLOBAL__N_18offset_tEEE10hipError_tPvRmT1_PNSt15iterator_traitsISK_E10value_typeET2_T3_PNSL_ISQ_E10value_typeET4_jRbjT5_SW_jjP12ihipStream_tbEUlT_E2_NS1_11comp_targetILNS1_3genE2ELNS1_11target_archE906ELNS1_3gpuE6ELNS1_3repE0EEENS1_30default_config_static_selectorELNS0_4arch9wavefront6targetE1EEEvSK_.num_named_barrier, max(0, .L_ZN7rocprim17ROCPRIM_400000_NS6detail26segmented_warp_sort_helperINS1_20WarpSortHelperConfigILj8ELj4ELj256EEEalLi256ELb1EvE4sortIPKaPaPKlPlEEvT_T0_T1_T2_jjjjRNS5_12storage_typeE.num_named_barrier, .L_ZN7rocprim17ROCPRIM_400000_NS6detail40segmented_radix_sort_single_block_helperIalLj256ELj4ELb1EE4sortIPKaPaPKlPlEEbT_T0_T1_T2_jjjjRNS3_12storage_typeE.num_named_barrier)
	.set _ZN7rocprim17ROCPRIM_400000_NS6detail17trampoline_kernelINS0_14default_configENS1_36segmented_radix_sort_config_selectorIalEEZNS1_25segmented_radix_sort_implIS3_Lb1EPKaPaPKlPlN2at6native12_GLOBAL__N_18offset_tEEE10hipError_tPvRmT1_PNSt15iterator_traitsISK_E10value_typeET2_T3_PNSL_ISQ_E10value_typeET4_jRbjT5_SW_jjP12ihipStream_tbEUlT_E2_NS1_11comp_targetILNS1_3genE2ELNS1_11target_archE906ELNS1_3gpuE6ELNS1_3repE0EEENS1_30default_config_static_selectorELNS0_4arch9wavefront6targetE1EEEvSK_.private_seg_size, 0+max(.L_ZN7rocprim17ROCPRIM_400000_NS6detail26segmented_warp_sort_helperINS1_20WarpSortHelperConfigILj8ELj4ELj256EEEalLi256ELb1EvE4sortIPKaPaPKlPlEEvT_T0_T1_T2_jjjjRNS5_12storage_typeE.private_seg_size, .L_ZN7rocprim17ROCPRIM_400000_NS6detail40segmented_radix_sort_single_block_helperIalLj256ELj4ELb1EE4sortIPKaPaPKlPlEEbT_T0_T1_T2_jjjjRNS3_12storage_typeE.private_seg_size)
	.set _ZN7rocprim17ROCPRIM_400000_NS6detail17trampoline_kernelINS0_14default_configENS1_36segmented_radix_sort_config_selectorIalEEZNS1_25segmented_radix_sort_implIS3_Lb1EPKaPaPKlPlN2at6native12_GLOBAL__N_18offset_tEEE10hipError_tPvRmT1_PNSt15iterator_traitsISK_E10value_typeET2_T3_PNSL_ISQ_E10value_typeET4_jRbjT5_SW_jjP12ihipStream_tbEUlT_E2_NS1_11comp_targetILNS1_3genE2ELNS1_11target_archE906ELNS1_3gpuE6ELNS1_3repE0EEENS1_30default_config_static_selectorELNS0_4arch9wavefront6targetE1EEEvSK_.uses_vcc, or(1, .L_ZN7rocprim17ROCPRIM_400000_NS6detail26segmented_warp_sort_helperINS1_20WarpSortHelperConfigILj8ELj4ELj256EEEalLi256ELb1EvE4sortIPKaPaPKlPlEEvT_T0_T1_T2_jjjjRNS5_12storage_typeE.uses_vcc, .L_ZN7rocprim17ROCPRIM_400000_NS6detail40segmented_radix_sort_single_block_helperIalLj256ELj4ELb1EE4sortIPKaPaPKlPlEEbT_T0_T1_T2_jjjjRNS3_12storage_typeE.uses_vcc)
	.set _ZN7rocprim17ROCPRIM_400000_NS6detail17trampoline_kernelINS0_14default_configENS1_36segmented_radix_sort_config_selectorIalEEZNS1_25segmented_radix_sort_implIS3_Lb1EPKaPaPKlPlN2at6native12_GLOBAL__N_18offset_tEEE10hipError_tPvRmT1_PNSt15iterator_traitsISK_E10value_typeET2_T3_PNSL_ISQ_E10value_typeET4_jRbjT5_SW_jjP12ihipStream_tbEUlT_E2_NS1_11comp_targetILNS1_3genE2ELNS1_11target_archE906ELNS1_3gpuE6ELNS1_3repE0EEENS1_30default_config_static_selectorELNS0_4arch9wavefront6targetE1EEEvSK_.uses_flat_scratch, or(0, .L_ZN7rocprim17ROCPRIM_400000_NS6detail26segmented_warp_sort_helperINS1_20WarpSortHelperConfigILj8ELj4ELj256EEEalLi256ELb1EvE4sortIPKaPaPKlPlEEvT_T0_T1_T2_jjjjRNS5_12storage_typeE.uses_flat_scratch, .L_ZN7rocprim17ROCPRIM_400000_NS6detail40segmented_radix_sort_single_block_helperIalLj256ELj4ELb1EE4sortIPKaPaPKlPlEEbT_T0_T1_T2_jjjjRNS3_12storage_typeE.uses_flat_scratch)
	.set _ZN7rocprim17ROCPRIM_400000_NS6detail17trampoline_kernelINS0_14default_configENS1_36segmented_radix_sort_config_selectorIalEEZNS1_25segmented_radix_sort_implIS3_Lb1EPKaPaPKlPlN2at6native12_GLOBAL__N_18offset_tEEE10hipError_tPvRmT1_PNSt15iterator_traitsISK_E10value_typeET2_T3_PNSL_ISQ_E10value_typeET4_jRbjT5_SW_jjP12ihipStream_tbEUlT_E2_NS1_11comp_targetILNS1_3genE2ELNS1_11target_archE906ELNS1_3gpuE6ELNS1_3repE0EEENS1_30default_config_static_selectorELNS0_4arch9wavefront6targetE1EEEvSK_.has_dyn_sized_stack, or(0, .L_ZN7rocprim17ROCPRIM_400000_NS6detail26segmented_warp_sort_helperINS1_20WarpSortHelperConfigILj8ELj4ELj256EEEalLi256ELb1EvE4sortIPKaPaPKlPlEEvT_T0_T1_T2_jjjjRNS5_12storage_typeE.has_dyn_sized_stack, .L_ZN7rocprim17ROCPRIM_400000_NS6detail40segmented_radix_sort_single_block_helperIalLj256ELj4ELb1EE4sortIPKaPaPKlPlEEbT_T0_T1_T2_jjjjRNS3_12storage_typeE.has_dyn_sized_stack)
	.set _ZN7rocprim17ROCPRIM_400000_NS6detail17trampoline_kernelINS0_14default_configENS1_36segmented_radix_sort_config_selectorIalEEZNS1_25segmented_radix_sort_implIS3_Lb1EPKaPaPKlPlN2at6native12_GLOBAL__N_18offset_tEEE10hipError_tPvRmT1_PNSt15iterator_traitsISK_E10value_typeET2_T3_PNSL_ISQ_E10value_typeET4_jRbjT5_SW_jjP12ihipStream_tbEUlT_E2_NS1_11comp_targetILNS1_3genE2ELNS1_11target_archE906ELNS1_3gpuE6ELNS1_3repE0EEENS1_30default_config_static_selectorELNS0_4arch9wavefront6targetE1EEEvSK_.has_recursion, or(0, .L_ZN7rocprim17ROCPRIM_400000_NS6detail26segmented_warp_sort_helperINS1_20WarpSortHelperConfigILj8ELj4ELj256EEEalLi256ELb1EvE4sortIPKaPaPKlPlEEvT_T0_T1_T2_jjjjRNS5_12storage_typeE.has_recursion, .L_ZN7rocprim17ROCPRIM_400000_NS6detail40segmented_radix_sort_single_block_helperIalLj256ELj4ELb1EE4sortIPKaPaPKlPlEEbT_T0_T1_T2_jjjjRNS3_12storage_typeE.has_recursion)
	.set _ZN7rocprim17ROCPRIM_400000_NS6detail17trampoline_kernelINS0_14default_configENS1_36segmented_radix_sort_config_selectorIalEEZNS1_25segmented_radix_sort_implIS3_Lb1EPKaPaPKlPlN2at6native12_GLOBAL__N_18offset_tEEE10hipError_tPvRmT1_PNSt15iterator_traitsISK_E10value_typeET2_T3_PNSL_ISQ_E10value_typeET4_jRbjT5_SW_jjP12ihipStream_tbEUlT_E2_NS1_11comp_targetILNS1_3genE2ELNS1_11target_archE906ELNS1_3gpuE6ELNS1_3repE0EEENS1_30default_config_static_selectorELNS0_4arch9wavefront6targetE1EEEvSK_.has_indirect_call, or(0, .L_ZN7rocprim17ROCPRIM_400000_NS6detail26segmented_warp_sort_helperINS1_20WarpSortHelperConfigILj8ELj4ELj256EEEalLi256ELb1EvE4sortIPKaPaPKlPlEEvT_T0_T1_T2_jjjjRNS5_12storage_typeE.has_indirect_call, .L_ZN7rocprim17ROCPRIM_400000_NS6detail40segmented_radix_sort_single_block_helperIalLj256ELj4ELb1EE4sortIPKaPaPKlPlEEbT_T0_T1_T2_jjjjRNS3_12storage_typeE.has_indirect_call)
	.section	.AMDGPU.csdata,"",@progbits
; Kernel info:
; codeLenInByte = 21172
; TotalNumSgprs: 81
; NumVgprs: 97
; ScratchSize: 0
; MemoryBound: 0
; FloatMode: 240
; IeeeMode: 1
; LDSByteSize: 9232 bytes/workgroup (compile time only)
; SGPRBlocks: 10
; VGPRBlocks: 24
; NumSGPRsForWavesPerEU: 81
; NumVGPRsForWavesPerEU: 97
; Occupancy: 2
; WaveLimiterHint : 1
; COMPUTE_PGM_RSRC2:SCRATCH_EN: 0
; COMPUTE_PGM_RSRC2:USER_SGPR: 6
; COMPUTE_PGM_RSRC2:TRAP_HANDLER: 0
; COMPUTE_PGM_RSRC2:TGID_X_EN: 1
; COMPUTE_PGM_RSRC2:TGID_Y_EN: 1
; COMPUTE_PGM_RSRC2:TGID_Z_EN: 0
; COMPUTE_PGM_RSRC2:TIDIG_COMP_CNT: 2
	.section	.text._ZN7rocprim17ROCPRIM_400000_NS6detail17trampoline_kernelINS0_14default_configENS1_36segmented_radix_sort_config_selectorIalEEZNS1_25segmented_radix_sort_implIS3_Lb1EPKaPaPKlPlN2at6native12_GLOBAL__N_18offset_tEEE10hipError_tPvRmT1_PNSt15iterator_traitsISK_E10value_typeET2_T3_PNSL_ISQ_E10value_typeET4_jRbjT5_SW_jjP12ihipStream_tbEUlT_E2_NS1_11comp_targetILNS1_3genE10ELNS1_11target_archE1201ELNS1_3gpuE5ELNS1_3repE0EEENS1_30default_config_static_selectorELNS0_4arch9wavefront6targetE1EEEvSK_,"axG",@progbits,_ZN7rocprim17ROCPRIM_400000_NS6detail17trampoline_kernelINS0_14default_configENS1_36segmented_radix_sort_config_selectorIalEEZNS1_25segmented_radix_sort_implIS3_Lb1EPKaPaPKlPlN2at6native12_GLOBAL__N_18offset_tEEE10hipError_tPvRmT1_PNSt15iterator_traitsISK_E10value_typeET2_T3_PNSL_ISQ_E10value_typeET4_jRbjT5_SW_jjP12ihipStream_tbEUlT_E2_NS1_11comp_targetILNS1_3genE10ELNS1_11target_archE1201ELNS1_3gpuE5ELNS1_3repE0EEENS1_30default_config_static_selectorELNS0_4arch9wavefront6targetE1EEEvSK_,comdat
	.globl	_ZN7rocprim17ROCPRIM_400000_NS6detail17trampoline_kernelINS0_14default_configENS1_36segmented_radix_sort_config_selectorIalEEZNS1_25segmented_radix_sort_implIS3_Lb1EPKaPaPKlPlN2at6native12_GLOBAL__N_18offset_tEEE10hipError_tPvRmT1_PNSt15iterator_traitsISK_E10value_typeET2_T3_PNSL_ISQ_E10value_typeET4_jRbjT5_SW_jjP12ihipStream_tbEUlT_E2_NS1_11comp_targetILNS1_3genE10ELNS1_11target_archE1201ELNS1_3gpuE5ELNS1_3repE0EEENS1_30default_config_static_selectorELNS0_4arch9wavefront6targetE1EEEvSK_ ; -- Begin function _ZN7rocprim17ROCPRIM_400000_NS6detail17trampoline_kernelINS0_14default_configENS1_36segmented_radix_sort_config_selectorIalEEZNS1_25segmented_radix_sort_implIS3_Lb1EPKaPaPKlPlN2at6native12_GLOBAL__N_18offset_tEEE10hipError_tPvRmT1_PNSt15iterator_traitsISK_E10value_typeET2_T3_PNSL_ISQ_E10value_typeET4_jRbjT5_SW_jjP12ihipStream_tbEUlT_E2_NS1_11comp_targetILNS1_3genE10ELNS1_11target_archE1201ELNS1_3gpuE5ELNS1_3repE0EEENS1_30default_config_static_selectorELNS0_4arch9wavefront6targetE1EEEvSK_
	.p2align	8
	.type	_ZN7rocprim17ROCPRIM_400000_NS6detail17trampoline_kernelINS0_14default_configENS1_36segmented_radix_sort_config_selectorIalEEZNS1_25segmented_radix_sort_implIS3_Lb1EPKaPaPKlPlN2at6native12_GLOBAL__N_18offset_tEEE10hipError_tPvRmT1_PNSt15iterator_traitsISK_E10value_typeET2_T3_PNSL_ISQ_E10value_typeET4_jRbjT5_SW_jjP12ihipStream_tbEUlT_E2_NS1_11comp_targetILNS1_3genE10ELNS1_11target_archE1201ELNS1_3gpuE5ELNS1_3repE0EEENS1_30default_config_static_selectorELNS0_4arch9wavefront6targetE1EEEvSK_,@function
_ZN7rocprim17ROCPRIM_400000_NS6detail17trampoline_kernelINS0_14default_configENS1_36segmented_radix_sort_config_selectorIalEEZNS1_25segmented_radix_sort_implIS3_Lb1EPKaPaPKlPlN2at6native12_GLOBAL__N_18offset_tEEE10hipError_tPvRmT1_PNSt15iterator_traitsISK_E10value_typeET2_T3_PNSL_ISQ_E10value_typeET4_jRbjT5_SW_jjP12ihipStream_tbEUlT_E2_NS1_11comp_targetILNS1_3genE10ELNS1_11target_archE1201ELNS1_3gpuE5ELNS1_3repE0EEENS1_30default_config_static_selectorELNS0_4arch9wavefront6targetE1EEEvSK_: ; @_ZN7rocprim17ROCPRIM_400000_NS6detail17trampoline_kernelINS0_14default_configENS1_36segmented_radix_sort_config_selectorIalEEZNS1_25segmented_radix_sort_implIS3_Lb1EPKaPaPKlPlN2at6native12_GLOBAL__N_18offset_tEEE10hipError_tPvRmT1_PNSt15iterator_traitsISK_E10value_typeET2_T3_PNSL_ISQ_E10value_typeET4_jRbjT5_SW_jjP12ihipStream_tbEUlT_E2_NS1_11comp_targetILNS1_3genE10ELNS1_11target_archE1201ELNS1_3gpuE5ELNS1_3repE0EEENS1_30default_config_static_selectorELNS0_4arch9wavefront6targetE1EEEvSK_
; %bb.0:
	.section	.rodata,"a",@progbits
	.p2align	6, 0x0
	.amdhsa_kernel _ZN7rocprim17ROCPRIM_400000_NS6detail17trampoline_kernelINS0_14default_configENS1_36segmented_radix_sort_config_selectorIalEEZNS1_25segmented_radix_sort_implIS3_Lb1EPKaPaPKlPlN2at6native12_GLOBAL__N_18offset_tEEE10hipError_tPvRmT1_PNSt15iterator_traitsISK_E10value_typeET2_T3_PNSL_ISQ_E10value_typeET4_jRbjT5_SW_jjP12ihipStream_tbEUlT_E2_NS1_11comp_targetILNS1_3genE10ELNS1_11target_archE1201ELNS1_3gpuE5ELNS1_3repE0EEENS1_30default_config_static_selectorELNS0_4arch9wavefront6targetE1EEEvSK_
		.amdhsa_group_segment_fixed_size 0
		.amdhsa_private_segment_fixed_size 0
		.amdhsa_kernarg_size 80
		.amdhsa_user_sgpr_count 6
		.amdhsa_user_sgpr_private_segment_buffer 1
		.amdhsa_user_sgpr_dispatch_ptr 0
		.amdhsa_user_sgpr_queue_ptr 0
		.amdhsa_user_sgpr_kernarg_segment_ptr 1
		.amdhsa_user_sgpr_dispatch_id 0
		.amdhsa_user_sgpr_flat_scratch_init 0
		.amdhsa_user_sgpr_private_segment_size 0
		.amdhsa_uses_dynamic_stack 0
		.amdhsa_system_sgpr_private_segment_wavefront_offset 0
		.amdhsa_system_sgpr_workgroup_id_x 1
		.amdhsa_system_sgpr_workgroup_id_y 0
		.amdhsa_system_sgpr_workgroup_id_z 0
		.amdhsa_system_sgpr_workgroup_info 0
		.amdhsa_system_vgpr_workitem_id 0
		.amdhsa_next_free_vgpr 1
		.amdhsa_next_free_sgpr 0
		.amdhsa_reserve_vcc 0
		.amdhsa_reserve_flat_scratch 0
		.amdhsa_float_round_mode_32 0
		.amdhsa_float_round_mode_16_64 0
		.amdhsa_float_denorm_mode_32 3
		.amdhsa_float_denorm_mode_16_64 3
		.amdhsa_dx10_clamp 1
		.amdhsa_ieee_mode 1
		.amdhsa_fp16_overflow 0
		.amdhsa_exception_fp_ieee_invalid_op 0
		.amdhsa_exception_fp_denorm_src 0
		.amdhsa_exception_fp_ieee_div_zero 0
		.amdhsa_exception_fp_ieee_overflow 0
		.amdhsa_exception_fp_ieee_underflow 0
		.amdhsa_exception_fp_ieee_inexact 0
		.amdhsa_exception_int_div_zero 0
	.end_amdhsa_kernel
	.section	.text._ZN7rocprim17ROCPRIM_400000_NS6detail17trampoline_kernelINS0_14default_configENS1_36segmented_radix_sort_config_selectorIalEEZNS1_25segmented_radix_sort_implIS3_Lb1EPKaPaPKlPlN2at6native12_GLOBAL__N_18offset_tEEE10hipError_tPvRmT1_PNSt15iterator_traitsISK_E10value_typeET2_T3_PNSL_ISQ_E10value_typeET4_jRbjT5_SW_jjP12ihipStream_tbEUlT_E2_NS1_11comp_targetILNS1_3genE10ELNS1_11target_archE1201ELNS1_3gpuE5ELNS1_3repE0EEENS1_30default_config_static_selectorELNS0_4arch9wavefront6targetE1EEEvSK_,"axG",@progbits,_ZN7rocprim17ROCPRIM_400000_NS6detail17trampoline_kernelINS0_14default_configENS1_36segmented_radix_sort_config_selectorIalEEZNS1_25segmented_radix_sort_implIS3_Lb1EPKaPaPKlPlN2at6native12_GLOBAL__N_18offset_tEEE10hipError_tPvRmT1_PNSt15iterator_traitsISK_E10value_typeET2_T3_PNSL_ISQ_E10value_typeET4_jRbjT5_SW_jjP12ihipStream_tbEUlT_E2_NS1_11comp_targetILNS1_3genE10ELNS1_11target_archE1201ELNS1_3gpuE5ELNS1_3repE0EEENS1_30default_config_static_selectorELNS0_4arch9wavefront6targetE1EEEvSK_,comdat
.Lfunc_end325:
	.size	_ZN7rocprim17ROCPRIM_400000_NS6detail17trampoline_kernelINS0_14default_configENS1_36segmented_radix_sort_config_selectorIalEEZNS1_25segmented_radix_sort_implIS3_Lb1EPKaPaPKlPlN2at6native12_GLOBAL__N_18offset_tEEE10hipError_tPvRmT1_PNSt15iterator_traitsISK_E10value_typeET2_T3_PNSL_ISQ_E10value_typeET4_jRbjT5_SW_jjP12ihipStream_tbEUlT_E2_NS1_11comp_targetILNS1_3genE10ELNS1_11target_archE1201ELNS1_3gpuE5ELNS1_3repE0EEENS1_30default_config_static_selectorELNS0_4arch9wavefront6targetE1EEEvSK_, .Lfunc_end325-_ZN7rocprim17ROCPRIM_400000_NS6detail17trampoline_kernelINS0_14default_configENS1_36segmented_radix_sort_config_selectorIalEEZNS1_25segmented_radix_sort_implIS3_Lb1EPKaPaPKlPlN2at6native12_GLOBAL__N_18offset_tEEE10hipError_tPvRmT1_PNSt15iterator_traitsISK_E10value_typeET2_T3_PNSL_ISQ_E10value_typeET4_jRbjT5_SW_jjP12ihipStream_tbEUlT_E2_NS1_11comp_targetILNS1_3genE10ELNS1_11target_archE1201ELNS1_3gpuE5ELNS1_3repE0EEENS1_30default_config_static_selectorELNS0_4arch9wavefront6targetE1EEEvSK_
                                        ; -- End function
	.set _ZN7rocprim17ROCPRIM_400000_NS6detail17trampoline_kernelINS0_14default_configENS1_36segmented_radix_sort_config_selectorIalEEZNS1_25segmented_radix_sort_implIS3_Lb1EPKaPaPKlPlN2at6native12_GLOBAL__N_18offset_tEEE10hipError_tPvRmT1_PNSt15iterator_traitsISK_E10value_typeET2_T3_PNSL_ISQ_E10value_typeET4_jRbjT5_SW_jjP12ihipStream_tbEUlT_E2_NS1_11comp_targetILNS1_3genE10ELNS1_11target_archE1201ELNS1_3gpuE5ELNS1_3repE0EEENS1_30default_config_static_selectorELNS0_4arch9wavefront6targetE1EEEvSK_.num_vgpr, 0
	.set _ZN7rocprim17ROCPRIM_400000_NS6detail17trampoline_kernelINS0_14default_configENS1_36segmented_radix_sort_config_selectorIalEEZNS1_25segmented_radix_sort_implIS3_Lb1EPKaPaPKlPlN2at6native12_GLOBAL__N_18offset_tEEE10hipError_tPvRmT1_PNSt15iterator_traitsISK_E10value_typeET2_T3_PNSL_ISQ_E10value_typeET4_jRbjT5_SW_jjP12ihipStream_tbEUlT_E2_NS1_11comp_targetILNS1_3genE10ELNS1_11target_archE1201ELNS1_3gpuE5ELNS1_3repE0EEENS1_30default_config_static_selectorELNS0_4arch9wavefront6targetE1EEEvSK_.num_agpr, 0
	.set _ZN7rocprim17ROCPRIM_400000_NS6detail17trampoline_kernelINS0_14default_configENS1_36segmented_radix_sort_config_selectorIalEEZNS1_25segmented_radix_sort_implIS3_Lb1EPKaPaPKlPlN2at6native12_GLOBAL__N_18offset_tEEE10hipError_tPvRmT1_PNSt15iterator_traitsISK_E10value_typeET2_T3_PNSL_ISQ_E10value_typeET4_jRbjT5_SW_jjP12ihipStream_tbEUlT_E2_NS1_11comp_targetILNS1_3genE10ELNS1_11target_archE1201ELNS1_3gpuE5ELNS1_3repE0EEENS1_30default_config_static_selectorELNS0_4arch9wavefront6targetE1EEEvSK_.numbered_sgpr, 0
	.set _ZN7rocprim17ROCPRIM_400000_NS6detail17trampoline_kernelINS0_14default_configENS1_36segmented_radix_sort_config_selectorIalEEZNS1_25segmented_radix_sort_implIS3_Lb1EPKaPaPKlPlN2at6native12_GLOBAL__N_18offset_tEEE10hipError_tPvRmT1_PNSt15iterator_traitsISK_E10value_typeET2_T3_PNSL_ISQ_E10value_typeET4_jRbjT5_SW_jjP12ihipStream_tbEUlT_E2_NS1_11comp_targetILNS1_3genE10ELNS1_11target_archE1201ELNS1_3gpuE5ELNS1_3repE0EEENS1_30default_config_static_selectorELNS0_4arch9wavefront6targetE1EEEvSK_.num_named_barrier, 0
	.set _ZN7rocprim17ROCPRIM_400000_NS6detail17trampoline_kernelINS0_14default_configENS1_36segmented_radix_sort_config_selectorIalEEZNS1_25segmented_radix_sort_implIS3_Lb1EPKaPaPKlPlN2at6native12_GLOBAL__N_18offset_tEEE10hipError_tPvRmT1_PNSt15iterator_traitsISK_E10value_typeET2_T3_PNSL_ISQ_E10value_typeET4_jRbjT5_SW_jjP12ihipStream_tbEUlT_E2_NS1_11comp_targetILNS1_3genE10ELNS1_11target_archE1201ELNS1_3gpuE5ELNS1_3repE0EEENS1_30default_config_static_selectorELNS0_4arch9wavefront6targetE1EEEvSK_.private_seg_size, 0
	.set _ZN7rocprim17ROCPRIM_400000_NS6detail17trampoline_kernelINS0_14default_configENS1_36segmented_radix_sort_config_selectorIalEEZNS1_25segmented_radix_sort_implIS3_Lb1EPKaPaPKlPlN2at6native12_GLOBAL__N_18offset_tEEE10hipError_tPvRmT1_PNSt15iterator_traitsISK_E10value_typeET2_T3_PNSL_ISQ_E10value_typeET4_jRbjT5_SW_jjP12ihipStream_tbEUlT_E2_NS1_11comp_targetILNS1_3genE10ELNS1_11target_archE1201ELNS1_3gpuE5ELNS1_3repE0EEENS1_30default_config_static_selectorELNS0_4arch9wavefront6targetE1EEEvSK_.uses_vcc, 0
	.set _ZN7rocprim17ROCPRIM_400000_NS6detail17trampoline_kernelINS0_14default_configENS1_36segmented_radix_sort_config_selectorIalEEZNS1_25segmented_radix_sort_implIS3_Lb1EPKaPaPKlPlN2at6native12_GLOBAL__N_18offset_tEEE10hipError_tPvRmT1_PNSt15iterator_traitsISK_E10value_typeET2_T3_PNSL_ISQ_E10value_typeET4_jRbjT5_SW_jjP12ihipStream_tbEUlT_E2_NS1_11comp_targetILNS1_3genE10ELNS1_11target_archE1201ELNS1_3gpuE5ELNS1_3repE0EEENS1_30default_config_static_selectorELNS0_4arch9wavefront6targetE1EEEvSK_.uses_flat_scratch, 0
	.set _ZN7rocprim17ROCPRIM_400000_NS6detail17trampoline_kernelINS0_14default_configENS1_36segmented_radix_sort_config_selectorIalEEZNS1_25segmented_radix_sort_implIS3_Lb1EPKaPaPKlPlN2at6native12_GLOBAL__N_18offset_tEEE10hipError_tPvRmT1_PNSt15iterator_traitsISK_E10value_typeET2_T3_PNSL_ISQ_E10value_typeET4_jRbjT5_SW_jjP12ihipStream_tbEUlT_E2_NS1_11comp_targetILNS1_3genE10ELNS1_11target_archE1201ELNS1_3gpuE5ELNS1_3repE0EEENS1_30default_config_static_selectorELNS0_4arch9wavefront6targetE1EEEvSK_.has_dyn_sized_stack, 0
	.set _ZN7rocprim17ROCPRIM_400000_NS6detail17trampoline_kernelINS0_14default_configENS1_36segmented_radix_sort_config_selectorIalEEZNS1_25segmented_radix_sort_implIS3_Lb1EPKaPaPKlPlN2at6native12_GLOBAL__N_18offset_tEEE10hipError_tPvRmT1_PNSt15iterator_traitsISK_E10value_typeET2_T3_PNSL_ISQ_E10value_typeET4_jRbjT5_SW_jjP12ihipStream_tbEUlT_E2_NS1_11comp_targetILNS1_3genE10ELNS1_11target_archE1201ELNS1_3gpuE5ELNS1_3repE0EEENS1_30default_config_static_selectorELNS0_4arch9wavefront6targetE1EEEvSK_.has_recursion, 0
	.set _ZN7rocprim17ROCPRIM_400000_NS6detail17trampoline_kernelINS0_14default_configENS1_36segmented_radix_sort_config_selectorIalEEZNS1_25segmented_radix_sort_implIS3_Lb1EPKaPaPKlPlN2at6native12_GLOBAL__N_18offset_tEEE10hipError_tPvRmT1_PNSt15iterator_traitsISK_E10value_typeET2_T3_PNSL_ISQ_E10value_typeET4_jRbjT5_SW_jjP12ihipStream_tbEUlT_E2_NS1_11comp_targetILNS1_3genE10ELNS1_11target_archE1201ELNS1_3gpuE5ELNS1_3repE0EEENS1_30default_config_static_selectorELNS0_4arch9wavefront6targetE1EEEvSK_.has_indirect_call, 0
	.section	.AMDGPU.csdata,"",@progbits
; Kernel info:
; codeLenInByte = 0
; TotalNumSgprs: 4
; NumVgprs: 0
; ScratchSize: 0
; MemoryBound: 0
; FloatMode: 240
; IeeeMode: 1
; LDSByteSize: 0 bytes/workgroup (compile time only)
; SGPRBlocks: 0
; VGPRBlocks: 0
; NumSGPRsForWavesPerEU: 4
; NumVGPRsForWavesPerEU: 1
; Occupancy: 10
; WaveLimiterHint : 0
; COMPUTE_PGM_RSRC2:SCRATCH_EN: 0
; COMPUTE_PGM_RSRC2:USER_SGPR: 6
; COMPUTE_PGM_RSRC2:TRAP_HANDLER: 0
; COMPUTE_PGM_RSRC2:TGID_X_EN: 1
; COMPUTE_PGM_RSRC2:TGID_Y_EN: 0
; COMPUTE_PGM_RSRC2:TGID_Z_EN: 0
; COMPUTE_PGM_RSRC2:TIDIG_COMP_CNT: 0
	.section	.text._ZN7rocprim17ROCPRIM_400000_NS6detail17trampoline_kernelINS0_14default_configENS1_36segmented_radix_sort_config_selectorIalEEZNS1_25segmented_radix_sort_implIS3_Lb1EPKaPaPKlPlN2at6native12_GLOBAL__N_18offset_tEEE10hipError_tPvRmT1_PNSt15iterator_traitsISK_E10value_typeET2_T3_PNSL_ISQ_E10value_typeET4_jRbjT5_SW_jjP12ihipStream_tbEUlT_E2_NS1_11comp_targetILNS1_3genE10ELNS1_11target_archE1200ELNS1_3gpuE4ELNS1_3repE0EEENS1_30default_config_static_selectorELNS0_4arch9wavefront6targetE1EEEvSK_,"axG",@progbits,_ZN7rocprim17ROCPRIM_400000_NS6detail17trampoline_kernelINS0_14default_configENS1_36segmented_radix_sort_config_selectorIalEEZNS1_25segmented_radix_sort_implIS3_Lb1EPKaPaPKlPlN2at6native12_GLOBAL__N_18offset_tEEE10hipError_tPvRmT1_PNSt15iterator_traitsISK_E10value_typeET2_T3_PNSL_ISQ_E10value_typeET4_jRbjT5_SW_jjP12ihipStream_tbEUlT_E2_NS1_11comp_targetILNS1_3genE10ELNS1_11target_archE1200ELNS1_3gpuE4ELNS1_3repE0EEENS1_30default_config_static_selectorELNS0_4arch9wavefront6targetE1EEEvSK_,comdat
	.globl	_ZN7rocprim17ROCPRIM_400000_NS6detail17trampoline_kernelINS0_14default_configENS1_36segmented_radix_sort_config_selectorIalEEZNS1_25segmented_radix_sort_implIS3_Lb1EPKaPaPKlPlN2at6native12_GLOBAL__N_18offset_tEEE10hipError_tPvRmT1_PNSt15iterator_traitsISK_E10value_typeET2_T3_PNSL_ISQ_E10value_typeET4_jRbjT5_SW_jjP12ihipStream_tbEUlT_E2_NS1_11comp_targetILNS1_3genE10ELNS1_11target_archE1200ELNS1_3gpuE4ELNS1_3repE0EEENS1_30default_config_static_selectorELNS0_4arch9wavefront6targetE1EEEvSK_ ; -- Begin function _ZN7rocprim17ROCPRIM_400000_NS6detail17trampoline_kernelINS0_14default_configENS1_36segmented_radix_sort_config_selectorIalEEZNS1_25segmented_radix_sort_implIS3_Lb1EPKaPaPKlPlN2at6native12_GLOBAL__N_18offset_tEEE10hipError_tPvRmT1_PNSt15iterator_traitsISK_E10value_typeET2_T3_PNSL_ISQ_E10value_typeET4_jRbjT5_SW_jjP12ihipStream_tbEUlT_E2_NS1_11comp_targetILNS1_3genE10ELNS1_11target_archE1200ELNS1_3gpuE4ELNS1_3repE0EEENS1_30default_config_static_selectorELNS0_4arch9wavefront6targetE1EEEvSK_
	.p2align	8
	.type	_ZN7rocprim17ROCPRIM_400000_NS6detail17trampoline_kernelINS0_14default_configENS1_36segmented_radix_sort_config_selectorIalEEZNS1_25segmented_radix_sort_implIS3_Lb1EPKaPaPKlPlN2at6native12_GLOBAL__N_18offset_tEEE10hipError_tPvRmT1_PNSt15iterator_traitsISK_E10value_typeET2_T3_PNSL_ISQ_E10value_typeET4_jRbjT5_SW_jjP12ihipStream_tbEUlT_E2_NS1_11comp_targetILNS1_3genE10ELNS1_11target_archE1200ELNS1_3gpuE4ELNS1_3repE0EEENS1_30default_config_static_selectorELNS0_4arch9wavefront6targetE1EEEvSK_,@function
_ZN7rocprim17ROCPRIM_400000_NS6detail17trampoline_kernelINS0_14default_configENS1_36segmented_radix_sort_config_selectorIalEEZNS1_25segmented_radix_sort_implIS3_Lb1EPKaPaPKlPlN2at6native12_GLOBAL__N_18offset_tEEE10hipError_tPvRmT1_PNSt15iterator_traitsISK_E10value_typeET2_T3_PNSL_ISQ_E10value_typeET4_jRbjT5_SW_jjP12ihipStream_tbEUlT_E2_NS1_11comp_targetILNS1_3genE10ELNS1_11target_archE1200ELNS1_3gpuE4ELNS1_3repE0EEENS1_30default_config_static_selectorELNS0_4arch9wavefront6targetE1EEEvSK_: ; @_ZN7rocprim17ROCPRIM_400000_NS6detail17trampoline_kernelINS0_14default_configENS1_36segmented_radix_sort_config_selectorIalEEZNS1_25segmented_radix_sort_implIS3_Lb1EPKaPaPKlPlN2at6native12_GLOBAL__N_18offset_tEEE10hipError_tPvRmT1_PNSt15iterator_traitsISK_E10value_typeET2_T3_PNSL_ISQ_E10value_typeET4_jRbjT5_SW_jjP12ihipStream_tbEUlT_E2_NS1_11comp_targetILNS1_3genE10ELNS1_11target_archE1200ELNS1_3gpuE4ELNS1_3repE0EEENS1_30default_config_static_selectorELNS0_4arch9wavefront6targetE1EEEvSK_
; %bb.0:
	.section	.rodata,"a",@progbits
	.p2align	6, 0x0
	.amdhsa_kernel _ZN7rocprim17ROCPRIM_400000_NS6detail17trampoline_kernelINS0_14default_configENS1_36segmented_radix_sort_config_selectorIalEEZNS1_25segmented_radix_sort_implIS3_Lb1EPKaPaPKlPlN2at6native12_GLOBAL__N_18offset_tEEE10hipError_tPvRmT1_PNSt15iterator_traitsISK_E10value_typeET2_T3_PNSL_ISQ_E10value_typeET4_jRbjT5_SW_jjP12ihipStream_tbEUlT_E2_NS1_11comp_targetILNS1_3genE10ELNS1_11target_archE1200ELNS1_3gpuE4ELNS1_3repE0EEENS1_30default_config_static_selectorELNS0_4arch9wavefront6targetE1EEEvSK_
		.amdhsa_group_segment_fixed_size 0
		.amdhsa_private_segment_fixed_size 0
		.amdhsa_kernarg_size 80
		.amdhsa_user_sgpr_count 6
		.amdhsa_user_sgpr_private_segment_buffer 1
		.amdhsa_user_sgpr_dispatch_ptr 0
		.amdhsa_user_sgpr_queue_ptr 0
		.amdhsa_user_sgpr_kernarg_segment_ptr 1
		.amdhsa_user_sgpr_dispatch_id 0
		.amdhsa_user_sgpr_flat_scratch_init 0
		.amdhsa_user_sgpr_private_segment_size 0
		.amdhsa_uses_dynamic_stack 0
		.amdhsa_system_sgpr_private_segment_wavefront_offset 0
		.amdhsa_system_sgpr_workgroup_id_x 1
		.amdhsa_system_sgpr_workgroup_id_y 0
		.amdhsa_system_sgpr_workgroup_id_z 0
		.amdhsa_system_sgpr_workgroup_info 0
		.amdhsa_system_vgpr_workitem_id 0
		.amdhsa_next_free_vgpr 1
		.amdhsa_next_free_sgpr 0
		.amdhsa_reserve_vcc 0
		.amdhsa_reserve_flat_scratch 0
		.amdhsa_float_round_mode_32 0
		.amdhsa_float_round_mode_16_64 0
		.amdhsa_float_denorm_mode_32 3
		.amdhsa_float_denorm_mode_16_64 3
		.amdhsa_dx10_clamp 1
		.amdhsa_ieee_mode 1
		.amdhsa_fp16_overflow 0
		.amdhsa_exception_fp_ieee_invalid_op 0
		.amdhsa_exception_fp_denorm_src 0
		.amdhsa_exception_fp_ieee_div_zero 0
		.amdhsa_exception_fp_ieee_overflow 0
		.amdhsa_exception_fp_ieee_underflow 0
		.amdhsa_exception_fp_ieee_inexact 0
		.amdhsa_exception_int_div_zero 0
	.end_amdhsa_kernel
	.section	.text._ZN7rocprim17ROCPRIM_400000_NS6detail17trampoline_kernelINS0_14default_configENS1_36segmented_radix_sort_config_selectorIalEEZNS1_25segmented_radix_sort_implIS3_Lb1EPKaPaPKlPlN2at6native12_GLOBAL__N_18offset_tEEE10hipError_tPvRmT1_PNSt15iterator_traitsISK_E10value_typeET2_T3_PNSL_ISQ_E10value_typeET4_jRbjT5_SW_jjP12ihipStream_tbEUlT_E2_NS1_11comp_targetILNS1_3genE10ELNS1_11target_archE1200ELNS1_3gpuE4ELNS1_3repE0EEENS1_30default_config_static_selectorELNS0_4arch9wavefront6targetE1EEEvSK_,"axG",@progbits,_ZN7rocprim17ROCPRIM_400000_NS6detail17trampoline_kernelINS0_14default_configENS1_36segmented_radix_sort_config_selectorIalEEZNS1_25segmented_radix_sort_implIS3_Lb1EPKaPaPKlPlN2at6native12_GLOBAL__N_18offset_tEEE10hipError_tPvRmT1_PNSt15iterator_traitsISK_E10value_typeET2_T3_PNSL_ISQ_E10value_typeET4_jRbjT5_SW_jjP12ihipStream_tbEUlT_E2_NS1_11comp_targetILNS1_3genE10ELNS1_11target_archE1200ELNS1_3gpuE4ELNS1_3repE0EEENS1_30default_config_static_selectorELNS0_4arch9wavefront6targetE1EEEvSK_,comdat
.Lfunc_end326:
	.size	_ZN7rocprim17ROCPRIM_400000_NS6detail17trampoline_kernelINS0_14default_configENS1_36segmented_radix_sort_config_selectorIalEEZNS1_25segmented_radix_sort_implIS3_Lb1EPKaPaPKlPlN2at6native12_GLOBAL__N_18offset_tEEE10hipError_tPvRmT1_PNSt15iterator_traitsISK_E10value_typeET2_T3_PNSL_ISQ_E10value_typeET4_jRbjT5_SW_jjP12ihipStream_tbEUlT_E2_NS1_11comp_targetILNS1_3genE10ELNS1_11target_archE1200ELNS1_3gpuE4ELNS1_3repE0EEENS1_30default_config_static_selectorELNS0_4arch9wavefront6targetE1EEEvSK_, .Lfunc_end326-_ZN7rocprim17ROCPRIM_400000_NS6detail17trampoline_kernelINS0_14default_configENS1_36segmented_radix_sort_config_selectorIalEEZNS1_25segmented_radix_sort_implIS3_Lb1EPKaPaPKlPlN2at6native12_GLOBAL__N_18offset_tEEE10hipError_tPvRmT1_PNSt15iterator_traitsISK_E10value_typeET2_T3_PNSL_ISQ_E10value_typeET4_jRbjT5_SW_jjP12ihipStream_tbEUlT_E2_NS1_11comp_targetILNS1_3genE10ELNS1_11target_archE1200ELNS1_3gpuE4ELNS1_3repE0EEENS1_30default_config_static_selectorELNS0_4arch9wavefront6targetE1EEEvSK_
                                        ; -- End function
	.set _ZN7rocprim17ROCPRIM_400000_NS6detail17trampoline_kernelINS0_14default_configENS1_36segmented_radix_sort_config_selectorIalEEZNS1_25segmented_radix_sort_implIS3_Lb1EPKaPaPKlPlN2at6native12_GLOBAL__N_18offset_tEEE10hipError_tPvRmT1_PNSt15iterator_traitsISK_E10value_typeET2_T3_PNSL_ISQ_E10value_typeET4_jRbjT5_SW_jjP12ihipStream_tbEUlT_E2_NS1_11comp_targetILNS1_3genE10ELNS1_11target_archE1200ELNS1_3gpuE4ELNS1_3repE0EEENS1_30default_config_static_selectorELNS0_4arch9wavefront6targetE1EEEvSK_.num_vgpr, 0
	.set _ZN7rocprim17ROCPRIM_400000_NS6detail17trampoline_kernelINS0_14default_configENS1_36segmented_radix_sort_config_selectorIalEEZNS1_25segmented_radix_sort_implIS3_Lb1EPKaPaPKlPlN2at6native12_GLOBAL__N_18offset_tEEE10hipError_tPvRmT1_PNSt15iterator_traitsISK_E10value_typeET2_T3_PNSL_ISQ_E10value_typeET4_jRbjT5_SW_jjP12ihipStream_tbEUlT_E2_NS1_11comp_targetILNS1_3genE10ELNS1_11target_archE1200ELNS1_3gpuE4ELNS1_3repE0EEENS1_30default_config_static_selectorELNS0_4arch9wavefront6targetE1EEEvSK_.num_agpr, 0
	.set _ZN7rocprim17ROCPRIM_400000_NS6detail17trampoline_kernelINS0_14default_configENS1_36segmented_radix_sort_config_selectorIalEEZNS1_25segmented_radix_sort_implIS3_Lb1EPKaPaPKlPlN2at6native12_GLOBAL__N_18offset_tEEE10hipError_tPvRmT1_PNSt15iterator_traitsISK_E10value_typeET2_T3_PNSL_ISQ_E10value_typeET4_jRbjT5_SW_jjP12ihipStream_tbEUlT_E2_NS1_11comp_targetILNS1_3genE10ELNS1_11target_archE1200ELNS1_3gpuE4ELNS1_3repE0EEENS1_30default_config_static_selectorELNS0_4arch9wavefront6targetE1EEEvSK_.numbered_sgpr, 0
	.set _ZN7rocprim17ROCPRIM_400000_NS6detail17trampoline_kernelINS0_14default_configENS1_36segmented_radix_sort_config_selectorIalEEZNS1_25segmented_radix_sort_implIS3_Lb1EPKaPaPKlPlN2at6native12_GLOBAL__N_18offset_tEEE10hipError_tPvRmT1_PNSt15iterator_traitsISK_E10value_typeET2_T3_PNSL_ISQ_E10value_typeET4_jRbjT5_SW_jjP12ihipStream_tbEUlT_E2_NS1_11comp_targetILNS1_3genE10ELNS1_11target_archE1200ELNS1_3gpuE4ELNS1_3repE0EEENS1_30default_config_static_selectorELNS0_4arch9wavefront6targetE1EEEvSK_.num_named_barrier, 0
	.set _ZN7rocprim17ROCPRIM_400000_NS6detail17trampoline_kernelINS0_14default_configENS1_36segmented_radix_sort_config_selectorIalEEZNS1_25segmented_radix_sort_implIS3_Lb1EPKaPaPKlPlN2at6native12_GLOBAL__N_18offset_tEEE10hipError_tPvRmT1_PNSt15iterator_traitsISK_E10value_typeET2_T3_PNSL_ISQ_E10value_typeET4_jRbjT5_SW_jjP12ihipStream_tbEUlT_E2_NS1_11comp_targetILNS1_3genE10ELNS1_11target_archE1200ELNS1_3gpuE4ELNS1_3repE0EEENS1_30default_config_static_selectorELNS0_4arch9wavefront6targetE1EEEvSK_.private_seg_size, 0
	.set _ZN7rocprim17ROCPRIM_400000_NS6detail17trampoline_kernelINS0_14default_configENS1_36segmented_radix_sort_config_selectorIalEEZNS1_25segmented_radix_sort_implIS3_Lb1EPKaPaPKlPlN2at6native12_GLOBAL__N_18offset_tEEE10hipError_tPvRmT1_PNSt15iterator_traitsISK_E10value_typeET2_T3_PNSL_ISQ_E10value_typeET4_jRbjT5_SW_jjP12ihipStream_tbEUlT_E2_NS1_11comp_targetILNS1_3genE10ELNS1_11target_archE1200ELNS1_3gpuE4ELNS1_3repE0EEENS1_30default_config_static_selectorELNS0_4arch9wavefront6targetE1EEEvSK_.uses_vcc, 0
	.set _ZN7rocprim17ROCPRIM_400000_NS6detail17trampoline_kernelINS0_14default_configENS1_36segmented_radix_sort_config_selectorIalEEZNS1_25segmented_radix_sort_implIS3_Lb1EPKaPaPKlPlN2at6native12_GLOBAL__N_18offset_tEEE10hipError_tPvRmT1_PNSt15iterator_traitsISK_E10value_typeET2_T3_PNSL_ISQ_E10value_typeET4_jRbjT5_SW_jjP12ihipStream_tbEUlT_E2_NS1_11comp_targetILNS1_3genE10ELNS1_11target_archE1200ELNS1_3gpuE4ELNS1_3repE0EEENS1_30default_config_static_selectorELNS0_4arch9wavefront6targetE1EEEvSK_.uses_flat_scratch, 0
	.set _ZN7rocprim17ROCPRIM_400000_NS6detail17trampoline_kernelINS0_14default_configENS1_36segmented_radix_sort_config_selectorIalEEZNS1_25segmented_radix_sort_implIS3_Lb1EPKaPaPKlPlN2at6native12_GLOBAL__N_18offset_tEEE10hipError_tPvRmT1_PNSt15iterator_traitsISK_E10value_typeET2_T3_PNSL_ISQ_E10value_typeET4_jRbjT5_SW_jjP12ihipStream_tbEUlT_E2_NS1_11comp_targetILNS1_3genE10ELNS1_11target_archE1200ELNS1_3gpuE4ELNS1_3repE0EEENS1_30default_config_static_selectorELNS0_4arch9wavefront6targetE1EEEvSK_.has_dyn_sized_stack, 0
	.set _ZN7rocprim17ROCPRIM_400000_NS6detail17trampoline_kernelINS0_14default_configENS1_36segmented_radix_sort_config_selectorIalEEZNS1_25segmented_radix_sort_implIS3_Lb1EPKaPaPKlPlN2at6native12_GLOBAL__N_18offset_tEEE10hipError_tPvRmT1_PNSt15iterator_traitsISK_E10value_typeET2_T3_PNSL_ISQ_E10value_typeET4_jRbjT5_SW_jjP12ihipStream_tbEUlT_E2_NS1_11comp_targetILNS1_3genE10ELNS1_11target_archE1200ELNS1_3gpuE4ELNS1_3repE0EEENS1_30default_config_static_selectorELNS0_4arch9wavefront6targetE1EEEvSK_.has_recursion, 0
	.set _ZN7rocprim17ROCPRIM_400000_NS6detail17trampoline_kernelINS0_14default_configENS1_36segmented_radix_sort_config_selectorIalEEZNS1_25segmented_radix_sort_implIS3_Lb1EPKaPaPKlPlN2at6native12_GLOBAL__N_18offset_tEEE10hipError_tPvRmT1_PNSt15iterator_traitsISK_E10value_typeET2_T3_PNSL_ISQ_E10value_typeET4_jRbjT5_SW_jjP12ihipStream_tbEUlT_E2_NS1_11comp_targetILNS1_3genE10ELNS1_11target_archE1200ELNS1_3gpuE4ELNS1_3repE0EEENS1_30default_config_static_selectorELNS0_4arch9wavefront6targetE1EEEvSK_.has_indirect_call, 0
	.section	.AMDGPU.csdata,"",@progbits
; Kernel info:
; codeLenInByte = 0
; TotalNumSgprs: 4
; NumVgprs: 0
; ScratchSize: 0
; MemoryBound: 0
; FloatMode: 240
; IeeeMode: 1
; LDSByteSize: 0 bytes/workgroup (compile time only)
; SGPRBlocks: 0
; VGPRBlocks: 0
; NumSGPRsForWavesPerEU: 4
; NumVGPRsForWavesPerEU: 1
; Occupancy: 10
; WaveLimiterHint : 0
; COMPUTE_PGM_RSRC2:SCRATCH_EN: 0
; COMPUTE_PGM_RSRC2:USER_SGPR: 6
; COMPUTE_PGM_RSRC2:TRAP_HANDLER: 0
; COMPUTE_PGM_RSRC2:TGID_X_EN: 1
; COMPUTE_PGM_RSRC2:TGID_Y_EN: 0
; COMPUTE_PGM_RSRC2:TGID_Z_EN: 0
; COMPUTE_PGM_RSRC2:TIDIG_COMP_CNT: 0
	.section	.text._ZN7rocprim17ROCPRIM_400000_NS6detail17trampoline_kernelINS0_14default_configENS1_36segmented_radix_sort_config_selectorIalEEZNS1_25segmented_radix_sort_implIS3_Lb1EPKaPaPKlPlN2at6native12_GLOBAL__N_18offset_tEEE10hipError_tPvRmT1_PNSt15iterator_traitsISK_E10value_typeET2_T3_PNSL_ISQ_E10value_typeET4_jRbjT5_SW_jjP12ihipStream_tbEUlT_E2_NS1_11comp_targetILNS1_3genE9ELNS1_11target_archE1100ELNS1_3gpuE3ELNS1_3repE0EEENS1_30default_config_static_selectorELNS0_4arch9wavefront6targetE1EEEvSK_,"axG",@progbits,_ZN7rocprim17ROCPRIM_400000_NS6detail17trampoline_kernelINS0_14default_configENS1_36segmented_radix_sort_config_selectorIalEEZNS1_25segmented_radix_sort_implIS3_Lb1EPKaPaPKlPlN2at6native12_GLOBAL__N_18offset_tEEE10hipError_tPvRmT1_PNSt15iterator_traitsISK_E10value_typeET2_T3_PNSL_ISQ_E10value_typeET4_jRbjT5_SW_jjP12ihipStream_tbEUlT_E2_NS1_11comp_targetILNS1_3genE9ELNS1_11target_archE1100ELNS1_3gpuE3ELNS1_3repE0EEENS1_30default_config_static_selectorELNS0_4arch9wavefront6targetE1EEEvSK_,comdat
	.globl	_ZN7rocprim17ROCPRIM_400000_NS6detail17trampoline_kernelINS0_14default_configENS1_36segmented_radix_sort_config_selectorIalEEZNS1_25segmented_radix_sort_implIS3_Lb1EPKaPaPKlPlN2at6native12_GLOBAL__N_18offset_tEEE10hipError_tPvRmT1_PNSt15iterator_traitsISK_E10value_typeET2_T3_PNSL_ISQ_E10value_typeET4_jRbjT5_SW_jjP12ihipStream_tbEUlT_E2_NS1_11comp_targetILNS1_3genE9ELNS1_11target_archE1100ELNS1_3gpuE3ELNS1_3repE0EEENS1_30default_config_static_selectorELNS0_4arch9wavefront6targetE1EEEvSK_ ; -- Begin function _ZN7rocprim17ROCPRIM_400000_NS6detail17trampoline_kernelINS0_14default_configENS1_36segmented_radix_sort_config_selectorIalEEZNS1_25segmented_radix_sort_implIS3_Lb1EPKaPaPKlPlN2at6native12_GLOBAL__N_18offset_tEEE10hipError_tPvRmT1_PNSt15iterator_traitsISK_E10value_typeET2_T3_PNSL_ISQ_E10value_typeET4_jRbjT5_SW_jjP12ihipStream_tbEUlT_E2_NS1_11comp_targetILNS1_3genE9ELNS1_11target_archE1100ELNS1_3gpuE3ELNS1_3repE0EEENS1_30default_config_static_selectorELNS0_4arch9wavefront6targetE1EEEvSK_
	.p2align	8
	.type	_ZN7rocprim17ROCPRIM_400000_NS6detail17trampoline_kernelINS0_14default_configENS1_36segmented_radix_sort_config_selectorIalEEZNS1_25segmented_radix_sort_implIS3_Lb1EPKaPaPKlPlN2at6native12_GLOBAL__N_18offset_tEEE10hipError_tPvRmT1_PNSt15iterator_traitsISK_E10value_typeET2_T3_PNSL_ISQ_E10value_typeET4_jRbjT5_SW_jjP12ihipStream_tbEUlT_E2_NS1_11comp_targetILNS1_3genE9ELNS1_11target_archE1100ELNS1_3gpuE3ELNS1_3repE0EEENS1_30default_config_static_selectorELNS0_4arch9wavefront6targetE1EEEvSK_,@function
_ZN7rocprim17ROCPRIM_400000_NS6detail17trampoline_kernelINS0_14default_configENS1_36segmented_radix_sort_config_selectorIalEEZNS1_25segmented_radix_sort_implIS3_Lb1EPKaPaPKlPlN2at6native12_GLOBAL__N_18offset_tEEE10hipError_tPvRmT1_PNSt15iterator_traitsISK_E10value_typeET2_T3_PNSL_ISQ_E10value_typeET4_jRbjT5_SW_jjP12ihipStream_tbEUlT_E2_NS1_11comp_targetILNS1_3genE9ELNS1_11target_archE1100ELNS1_3gpuE3ELNS1_3repE0EEENS1_30default_config_static_selectorELNS0_4arch9wavefront6targetE1EEEvSK_: ; @_ZN7rocprim17ROCPRIM_400000_NS6detail17trampoline_kernelINS0_14default_configENS1_36segmented_radix_sort_config_selectorIalEEZNS1_25segmented_radix_sort_implIS3_Lb1EPKaPaPKlPlN2at6native12_GLOBAL__N_18offset_tEEE10hipError_tPvRmT1_PNSt15iterator_traitsISK_E10value_typeET2_T3_PNSL_ISQ_E10value_typeET4_jRbjT5_SW_jjP12ihipStream_tbEUlT_E2_NS1_11comp_targetILNS1_3genE9ELNS1_11target_archE1100ELNS1_3gpuE3ELNS1_3repE0EEENS1_30default_config_static_selectorELNS0_4arch9wavefront6targetE1EEEvSK_
; %bb.0:
	.section	.rodata,"a",@progbits
	.p2align	6, 0x0
	.amdhsa_kernel _ZN7rocprim17ROCPRIM_400000_NS6detail17trampoline_kernelINS0_14default_configENS1_36segmented_radix_sort_config_selectorIalEEZNS1_25segmented_radix_sort_implIS3_Lb1EPKaPaPKlPlN2at6native12_GLOBAL__N_18offset_tEEE10hipError_tPvRmT1_PNSt15iterator_traitsISK_E10value_typeET2_T3_PNSL_ISQ_E10value_typeET4_jRbjT5_SW_jjP12ihipStream_tbEUlT_E2_NS1_11comp_targetILNS1_3genE9ELNS1_11target_archE1100ELNS1_3gpuE3ELNS1_3repE0EEENS1_30default_config_static_selectorELNS0_4arch9wavefront6targetE1EEEvSK_
		.amdhsa_group_segment_fixed_size 0
		.amdhsa_private_segment_fixed_size 0
		.amdhsa_kernarg_size 80
		.amdhsa_user_sgpr_count 6
		.amdhsa_user_sgpr_private_segment_buffer 1
		.amdhsa_user_sgpr_dispatch_ptr 0
		.amdhsa_user_sgpr_queue_ptr 0
		.amdhsa_user_sgpr_kernarg_segment_ptr 1
		.amdhsa_user_sgpr_dispatch_id 0
		.amdhsa_user_sgpr_flat_scratch_init 0
		.amdhsa_user_sgpr_private_segment_size 0
		.amdhsa_uses_dynamic_stack 0
		.amdhsa_system_sgpr_private_segment_wavefront_offset 0
		.amdhsa_system_sgpr_workgroup_id_x 1
		.amdhsa_system_sgpr_workgroup_id_y 0
		.amdhsa_system_sgpr_workgroup_id_z 0
		.amdhsa_system_sgpr_workgroup_info 0
		.amdhsa_system_vgpr_workitem_id 0
		.amdhsa_next_free_vgpr 1
		.amdhsa_next_free_sgpr 0
		.amdhsa_reserve_vcc 0
		.amdhsa_reserve_flat_scratch 0
		.amdhsa_float_round_mode_32 0
		.amdhsa_float_round_mode_16_64 0
		.amdhsa_float_denorm_mode_32 3
		.amdhsa_float_denorm_mode_16_64 3
		.amdhsa_dx10_clamp 1
		.amdhsa_ieee_mode 1
		.amdhsa_fp16_overflow 0
		.amdhsa_exception_fp_ieee_invalid_op 0
		.amdhsa_exception_fp_denorm_src 0
		.amdhsa_exception_fp_ieee_div_zero 0
		.amdhsa_exception_fp_ieee_overflow 0
		.amdhsa_exception_fp_ieee_underflow 0
		.amdhsa_exception_fp_ieee_inexact 0
		.amdhsa_exception_int_div_zero 0
	.end_amdhsa_kernel
	.section	.text._ZN7rocprim17ROCPRIM_400000_NS6detail17trampoline_kernelINS0_14default_configENS1_36segmented_radix_sort_config_selectorIalEEZNS1_25segmented_radix_sort_implIS3_Lb1EPKaPaPKlPlN2at6native12_GLOBAL__N_18offset_tEEE10hipError_tPvRmT1_PNSt15iterator_traitsISK_E10value_typeET2_T3_PNSL_ISQ_E10value_typeET4_jRbjT5_SW_jjP12ihipStream_tbEUlT_E2_NS1_11comp_targetILNS1_3genE9ELNS1_11target_archE1100ELNS1_3gpuE3ELNS1_3repE0EEENS1_30default_config_static_selectorELNS0_4arch9wavefront6targetE1EEEvSK_,"axG",@progbits,_ZN7rocprim17ROCPRIM_400000_NS6detail17trampoline_kernelINS0_14default_configENS1_36segmented_radix_sort_config_selectorIalEEZNS1_25segmented_radix_sort_implIS3_Lb1EPKaPaPKlPlN2at6native12_GLOBAL__N_18offset_tEEE10hipError_tPvRmT1_PNSt15iterator_traitsISK_E10value_typeET2_T3_PNSL_ISQ_E10value_typeET4_jRbjT5_SW_jjP12ihipStream_tbEUlT_E2_NS1_11comp_targetILNS1_3genE9ELNS1_11target_archE1100ELNS1_3gpuE3ELNS1_3repE0EEENS1_30default_config_static_selectorELNS0_4arch9wavefront6targetE1EEEvSK_,comdat
.Lfunc_end327:
	.size	_ZN7rocprim17ROCPRIM_400000_NS6detail17trampoline_kernelINS0_14default_configENS1_36segmented_radix_sort_config_selectorIalEEZNS1_25segmented_radix_sort_implIS3_Lb1EPKaPaPKlPlN2at6native12_GLOBAL__N_18offset_tEEE10hipError_tPvRmT1_PNSt15iterator_traitsISK_E10value_typeET2_T3_PNSL_ISQ_E10value_typeET4_jRbjT5_SW_jjP12ihipStream_tbEUlT_E2_NS1_11comp_targetILNS1_3genE9ELNS1_11target_archE1100ELNS1_3gpuE3ELNS1_3repE0EEENS1_30default_config_static_selectorELNS0_4arch9wavefront6targetE1EEEvSK_, .Lfunc_end327-_ZN7rocprim17ROCPRIM_400000_NS6detail17trampoline_kernelINS0_14default_configENS1_36segmented_radix_sort_config_selectorIalEEZNS1_25segmented_radix_sort_implIS3_Lb1EPKaPaPKlPlN2at6native12_GLOBAL__N_18offset_tEEE10hipError_tPvRmT1_PNSt15iterator_traitsISK_E10value_typeET2_T3_PNSL_ISQ_E10value_typeET4_jRbjT5_SW_jjP12ihipStream_tbEUlT_E2_NS1_11comp_targetILNS1_3genE9ELNS1_11target_archE1100ELNS1_3gpuE3ELNS1_3repE0EEENS1_30default_config_static_selectorELNS0_4arch9wavefront6targetE1EEEvSK_
                                        ; -- End function
	.set _ZN7rocprim17ROCPRIM_400000_NS6detail17trampoline_kernelINS0_14default_configENS1_36segmented_radix_sort_config_selectorIalEEZNS1_25segmented_radix_sort_implIS3_Lb1EPKaPaPKlPlN2at6native12_GLOBAL__N_18offset_tEEE10hipError_tPvRmT1_PNSt15iterator_traitsISK_E10value_typeET2_T3_PNSL_ISQ_E10value_typeET4_jRbjT5_SW_jjP12ihipStream_tbEUlT_E2_NS1_11comp_targetILNS1_3genE9ELNS1_11target_archE1100ELNS1_3gpuE3ELNS1_3repE0EEENS1_30default_config_static_selectorELNS0_4arch9wavefront6targetE1EEEvSK_.num_vgpr, 0
	.set _ZN7rocprim17ROCPRIM_400000_NS6detail17trampoline_kernelINS0_14default_configENS1_36segmented_radix_sort_config_selectorIalEEZNS1_25segmented_radix_sort_implIS3_Lb1EPKaPaPKlPlN2at6native12_GLOBAL__N_18offset_tEEE10hipError_tPvRmT1_PNSt15iterator_traitsISK_E10value_typeET2_T3_PNSL_ISQ_E10value_typeET4_jRbjT5_SW_jjP12ihipStream_tbEUlT_E2_NS1_11comp_targetILNS1_3genE9ELNS1_11target_archE1100ELNS1_3gpuE3ELNS1_3repE0EEENS1_30default_config_static_selectorELNS0_4arch9wavefront6targetE1EEEvSK_.num_agpr, 0
	.set _ZN7rocprim17ROCPRIM_400000_NS6detail17trampoline_kernelINS0_14default_configENS1_36segmented_radix_sort_config_selectorIalEEZNS1_25segmented_radix_sort_implIS3_Lb1EPKaPaPKlPlN2at6native12_GLOBAL__N_18offset_tEEE10hipError_tPvRmT1_PNSt15iterator_traitsISK_E10value_typeET2_T3_PNSL_ISQ_E10value_typeET4_jRbjT5_SW_jjP12ihipStream_tbEUlT_E2_NS1_11comp_targetILNS1_3genE9ELNS1_11target_archE1100ELNS1_3gpuE3ELNS1_3repE0EEENS1_30default_config_static_selectorELNS0_4arch9wavefront6targetE1EEEvSK_.numbered_sgpr, 0
	.set _ZN7rocprim17ROCPRIM_400000_NS6detail17trampoline_kernelINS0_14default_configENS1_36segmented_radix_sort_config_selectorIalEEZNS1_25segmented_radix_sort_implIS3_Lb1EPKaPaPKlPlN2at6native12_GLOBAL__N_18offset_tEEE10hipError_tPvRmT1_PNSt15iterator_traitsISK_E10value_typeET2_T3_PNSL_ISQ_E10value_typeET4_jRbjT5_SW_jjP12ihipStream_tbEUlT_E2_NS1_11comp_targetILNS1_3genE9ELNS1_11target_archE1100ELNS1_3gpuE3ELNS1_3repE0EEENS1_30default_config_static_selectorELNS0_4arch9wavefront6targetE1EEEvSK_.num_named_barrier, 0
	.set _ZN7rocprim17ROCPRIM_400000_NS6detail17trampoline_kernelINS0_14default_configENS1_36segmented_radix_sort_config_selectorIalEEZNS1_25segmented_radix_sort_implIS3_Lb1EPKaPaPKlPlN2at6native12_GLOBAL__N_18offset_tEEE10hipError_tPvRmT1_PNSt15iterator_traitsISK_E10value_typeET2_T3_PNSL_ISQ_E10value_typeET4_jRbjT5_SW_jjP12ihipStream_tbEUlT_E2_NS1_11comp_targetILNS1_3genE9ELNS1_11target_archE1100ELNS1_3gpuE3ELNS1_3repE0EEENS1_30default_config_static_selectorELNS0_4arch9wavefront6targetE1EEEvSK_.private_seg_size, 0
	.set _ZN7rocprim17ROCPRIM_400000_NS6detail17trampoline_kernelINS0_14default_configENS1_36segmented_radix_sort_config_selectorIalEEZNS1_25segmented_radix_sort_implIS3_Lb1EPKaPaPKlPlN2at6native12_GLOBAL__N_18offset_tEEE10hipError_tPvRmT1_PNSt15iterator_traitsISK_E10value_typeET2_T3_PNSL_ISQ_E10value_typeET4_jRbjT5_SW_jjP12ihipStream_tbEUlT_E2_NS1_11comp_targetILNS1_3genE9ELNS1_11target_archE1100ELNS1_3gpuE3ELNS1_3repE0EEENS1_30default_config_static_selectorELNS0_4arch9wavefront6targetE1EEEvSK_.uses_vcc, 0
	.set _ZN7rocprim17ROCPRIM_400000_NS6detail17trampoline_kernelINS0_14default_configENS1_36segmented_radix_sort_config_selectorIalEEZNS1_25segmented_radix_sort_implIS3_Lb1EPKaPaPKlPlN2at6native12_GLOBAL__N_18offset_tEEE10hipError_tPvRmT1_PNSt15iterator_traitsISK_E10value_typeET2_T3_PNSL_ISQ_E10value_typeET4_jRbjT5_SW_jjP12ihipStream_tbEUlT_E2_NS1_11comp_targetILNS1_3genE9ELNS1_11target_archE1100ELNS1_3gpuE3ELNS1_3repE0EEENS1_30default_config_static_selectorELNS0_4arch9wavefront6targetE1EEEvSK_.uses_flat_scratch, 0
	.set _ZN7rocprim17ROCPRIM_400000_NS6detail17trampoline_kernelINS0_14default_configENS1_36segmented_radix_sort_config_selectorIalEEZNS1_25segmented_radix_sort_implIS3_Lb1EPKaPaPKlPlN2at6native12_GLOBAL__N_18offset_tEEE10hipError_tPvRmT1_PNSt15iterator_traitsISK_E10value_typeET2_T3_PNSL_ISQ_E10value_typeET4_jRbjT5_SW_jjP12ihipStream_tbEUlT_E2_NS1_11comp_targetILNS1_3genE9ELNS1_11target_archE1100ELNS1_3gpuE3ELNS1_3repE0EEENS1_30default_config_static_selectorELNS0_4arch9wavefront6targetE1EEEvSK_.has_dyn_sized_stack, 0
	.set _ZN7rocprim17ROCPRIM_400000_NS6detail17trampoline_kernelINS0_14default_configENS1_36segmented_radix_sort_config_selectorIalEEZNS1_25segmented_radix_sort_implIS3_Lb1EPKaPaPKlPlN2at6native12_GLOBAL__N_18offset_tEEE10hipError_tPvRmT1_PNSt15iterator_traitsISK_E10value_typeET2_T3_PNSL_ISQ_E10value_typeET4_jRbjT5_SW_jjP12ihipStream_tbEUlT_E2_NS1_11comp_targetILNS1_3genE9ELNS1_11target_archE1100ELNS1_3gpuE3ELNS1_3repE0EEENS1_30default_config_static_selectorELNS0_4arch9wavefront6targetE1EEEvSK_.has_recursion, 0
	.set _ZN7rocprim17ROCPRIM_400000_NS6detail17trampoline_kernelINS0_14default_configENS1_36segmented_radix_sort_config_selectorIalEEZNS1_25segmented_radix_sort_implIS3_Lb1EPKaPaPKlPlN2at6native12_GLOBAL__N_18offset_tEEE10hipError_tPvRmT1_PNSt15iterator_traitsISK_E10value_typeET2_T3_PNSL_ISQ_E10value_typeET4_jRbjT5_SW_jjP12ihipStream_tbEUlT_E2_NS1_11comp_targetILNS1_3genE9ELNS1_11target_archE1100ELNS1_3gpuE3ELNS1_3repE0EEENS1_30default_config_static_selectorELNS0_4arch9wavefront6targetE1EEEvSK_.has_indirect_call, 0
	.section	.AMDGPU.csdata,"",@progbits
; Kernel info:
; codeLenInByte = 0
; TotalNumSgprs: 4
; NumVgprs: 0
; ScratchSize: 0
; MemoryBound: 0
; FloatMode: 240
; IeeeMode: 1
; LDSByteSize: 0 bytes/workgroup (compile time only)
; SGPRBlocks: 0
; VGPRBlocks: 0
; NumSGPRsForWavesPerEU: 4
; NumVGPRsForWavesPerEU: 1
; Occupancy: 10
; WaveLimiterHint : 0
; COMPUTE_PGM_RSRC2:SCRATCH_EN: 0
; COMPUTE_PGM_RSRC2:USER_SGPR: 6
; COMPUTE_PGM_RSRC2:TRAP_HANDLER: 0
; COMPUTE_PGM_RSRC2:TGID_X_EN: 1
; COMPUTE_PGM_RSRC2:TGID_Y_EN: 0
; COMPUTE_PGM_RSRC2:TGID_Z_EN: 0
; COMPUTE_PGM_RSRC2:TIDIG_COMP_CNT: 0
	.section	.text._ZN7rocprim17ROCPRIM_400000_NS6detail17trampoline_kernelINS0_14default_configENS1_36segmented_radix_sort_config_selectorIalEEZNS1_25segmented_radix_sort_implIS3_Lb1EPKaPaPKlPlN2at6native12_GLOBAL__N_18offset_tEEE10hipError_tPvRmT1_PNSt15iterator_traitsISK_E10value_typeET2_T3_PNSL_ISQ_E10value_typeET4_jRbjT5_SW_jjP12ihipStream_tbEUlT_E2_NS1_11comp_targetILNS1_3genE8ELNS1_11target_archE1030ELNS1_3gpuE2ELNS1_3repE0EEENS1_30default_config_static_selectorELNS0_4arch9wavefront6targetE1EEEvSK_,"axG",@progbits,_ZN7rocprim17ROCPRIM_400000_NS6detail17trampoline_kernelINS0_14default_configENS1_36segmented_radix_sort_config_selectorIalEEZNS1_25segmented_radix_sort_implIS3_Lb1EPKaPaPKlPlN2at6native12_GLOBAL__N_18offset_tEEE10hipError_tPvRmT1_PNSt15iterator_traitsISK_E10value_typeET2_T3_PNSL_ISQ_E10value_typeET4_jRbjT5_SW_jjP12ihipStream_tbEUlT_E2_NS1_11comp_targetILNS1_3genE8ELNS1_11target_archE1030ELNS1_3gpuE2ELNS1_3repE0EEENS1_30default_config_static_selectorELNS0_4arch9wavefront6targetE1EEEvSK_,comdat
	.globl	_ZN7rocprim17ROCPRIM_400000_NS6detail17trampoline_kernelINS0_14default_configENS1_36segmented_radix_sort_config_selectorIalEEZNS1_25segmented_radix_sort_implIS3_Lb1EPKaPaPKlPlN2at6native12_GLOBAL__N_18offset_tEEE10hipError_tPvRmT1_PNSt15iterator_traitsISK_E10value_typeET2_T3_PNSL_ISQ_E10value_typeET4_jRbjT5_SW_jjP12ihipStream_tbEUlT_E2_NS1_11comp_targetILNS1_3genE8ELNS1_11target_archE1030ELNS1_3gpuE2ELNS1_3repE0EEENS1_30default_config_static_selectorELNS0_4arch9wavefront6targetE1EEEvSK_ ; -- Begin function _ZN7rocprim17ROCPRIM_400000_NS6detail17trampoline_kernelINS0_14default_configENS1_36segmented_radix_sort_config_selectorIalEEZNS1_25segmented_radix_sort_implIS3_Lb1EPKaPaPKlPlN2at6native12_GLOBAL__N_18offset_tEEE10hipError_tPvRmT1_PNSt15iterator_traitsISK_E10value_typeET2_T3_PNSL_ISQ_E10value_typeET4_jRbjT5_SW_jjP12ihipStream_tbEUlT_E2_NS1_11comp_targetILNS1_3genE8ELNS1_11target_archE1030ELNS1_3gpuE2ELNS1_3repE0EEENS1_30default_config_static_selectorELNS0_4arch9wavefront6targetE1EEEvSK_
	.p2align	8
	.type	_ZN7rocprim17ROCPRIM_400000_NS6detail17trampoline_kernelINS0_14default_configENS1_36segmented_radix_sort_config_selectorIalEEZNS1_25segmented_radix_sort_implIS3_Lb1EPKaPaPKlPlN2at6native12_GLOBAL__N_18offset_tEEE10hipError_tPvRmT1_PNSt15iterator_traitsISK_E10value_typeET2_T3_PNSL_ISQ_E10value_typeET4_jRbjT5_SW_jjP12ihipStream_tbEUlT_E2_NS1_11comp_targetILNS1_3genE8ELNS1_11target_archE1030ELNS1_3gpuE2ELNS1_3repE0EEENS1_30default_config_static_selectorELNS0_4arch9wavefront6targetE1EEEvSK_,@function
_ZN7rocprim17ROCPRIM_400000_NS6detail17trampoline_kernelINS0_14default_configENS1_36segmented_radix_sort_config_selectorIalEEZNS1_25segmented_radix_sort_implIS3_Lb1EPKaPaPKlPlN2at6native12_GLOBAL__N_18offset_tEEE10hipError_tPvRmT1_PNSt15iterator_traitsISK_E10value_typeET2_T3_PNSL_ISQ_E10value_typeET4_jRbjT5_SW_jjP12ihipStream_tbEUlT_E2_NS1_11comp_targetILNS1_3genE8ELNS1_11target_archE1030ELNS1_3gpuE2ELNS1_3repE0EEENS1_30default_config_static_selectorELNS0_4arch9wavefront6targetE1EEEvSK_: ; @_ZN7rocprim17ROCPRIM_400000_NS6detail17trampoline_kernelINS0_14default_configENS1_36segmented_radix_sort_config_selectorIalEEZNS1_25segmented_radix_sort_implIS3_Lb1EPKaPaPKlPlN2at6native12_GLOBAL__N_18offset_tEEE10hipError_tPvRmT1_PNSt15iterator_traitsISK_E10value_typeET2_T3_PNSL_ISQ_E10value_typeET4_jRbjT5_SW_jjP12ihipStream_tbEUlT_E2_NS1_11comp_targetILNS1_3genE8ELNS1_11target_archE1030ELNS1_3gpuE2ELNS1_3repE0EEENS1_30default_config_static_selectorELNS0_4arch9wavefront6targetE1EEEvSK_
; %bb.0:
	.section	.rodata,"a",@progbits
	.p2align	6, 0x0
	.amdhsa_kernel _ZN7rocprim17ROCPRIM_400000_NS6detail17trampoline_kernelINS0_14default_configENS1_36segmented_radix_sort_config_selectorIalEEZNS1_25segmented_radix_sort_implIS3_Lb1EPKaPaPKlPlN2at6native12_GLOBAL__N_18offset_tEEE10hipError_tPvRmT1_PNSt15iterator_traitsISK_E10value_typeET2_T3_PNSL_ISQ_E10value_typeET4_jRbjT5_SW_jjP12ihipStream_tbEUlT_E2_NS1_11comp_targetILNS1_3genE8ELNS1_11target_archE1030ELNS1_3gpuE2ELNS1_3repE0EEENS1_30default_config_static_selectorELNS0_4arch9wavefront6targetE1EEEvSK_
		.amdhsa_group_segment_fixed_size 0
		.amdhsa_private_segment_fixed_size 0
		.amdhsa_kernarg_size 80
		.amdhsa_user_sgpr_count 6
		.amdhsa_user_sgpr_private_segment_buffer 1
		.amdhsa_user_sgpr_dispatch_ptr 0
		.amdhsa_user_sgpr_queue_ptr 0
		.amdhsa_user_sgpr_kernarg_segment_ptr 1
		.amdhsa_user_sgpr_dispatch_id 0
		.amdhsa_user_sgpr_flat_scratch_init 0
		.amdhsa_user_sgpr_private_segment_size 0
		.amdhsa_uses_dynamic_stack 0
		.amdhsa_system_sgpr_private_segment_wavefront_offset 0
		.amdhsa_system_sgpr_workgroup_id_x 1
		.amdhsa_system_sgpr_workgroup_id_y 0
		.amdhsa_system_sgpr_workgroup_id_z 0
		.amdhsa_system_sgpr_workgroup_info 0
		.amdhsa_system_vgpr_workitem_id 0
		.amdhsa_next_free_vgpr 1
		.amdhsa_next_free_sgpr 0
		.amdhsa_reserve_vcc 0
		.amdhsa_reserve_flat_scratch 0
		.amdhsa_float_round_mode_32 0
		.amdhsa_float_round_mode_16_64 0
		.amdhsa_float_denorm_mode_32 3
		.amdhsa_float_denorm_mode_16_64 3
		.amdhsa_dx10_clamp 1
		.amdhsa_ieee_mode 1
		.amdhsa_fp16_overflow 0
		.amdhsa_exception_fp_ieee_invalid_op 0
		.amdhsa_exception_fp_denorm_src 0
		.amdhsa_exception_fp_ieee_div_zero 0
		.amdhsa_exception_fp_ieee_overflow 0
		.amdhsa_exception_fp_ieee_underflow 0
		.amdhsa_exception_fp_ieee_inexact 0
		.amdhsa_exception_int_div_zero 0
	.end_amdhsa_kernel
	.section	.text._ZN7rocprim17ROCPRIM_400000_NS6detail17trampoline_kernelINS0_14default_configENS1_36segmented_radix_sort_config_selectorIalEEZNS1_25segmented_radix_sort_implIS3_Lb1EPKaPaPKlPlN2at6native12_GLOBAL__N_18offset_tEEE10hipError_tPvRmT1_PNSt15iterator_traitsISK_E10value_typeET2_T3_PNSL_ISQ_E10value_typeET4_jRbjT5_SW_jjP12ihipStream_tbEUlT_E2_NS1_11comp_targetILNS1_3genE8ELNS1_11target_archE1030ELNS1_3gpuE2ELNS1_3repE0EEENS1_30default_config_static_selectorELNS0_4arch9wavefront6targetE1EEEvSK_,"axG",@progbits,_ZN7rocprim17ROCPRIM_400000_NS6detail17trampoline_kernelINS0_14default_configENS1_36segmented_radix_sort_config_selectorIalEEZNS1_25segmented_radix_sort_implIS3_Lb1EPKaPaPKlPlN2at6native12_GLOBAL__N_18offset_tEEE10hipError_tPvRmT1_PNSt15iterator_traitsISK_E10value_typeET2_T3_PNSL_ISQ_E10value_typeET4_jRbjT5_SW_jjP12ihipStream_tbEUlT_E2_NS1_11comp_targetILNS1_3genE8ELNS1_11target_archE1030ELNS1_3gpuE2ELNS1_3repE0EEENS1_30default_config_static_selectorELNS0_4arch9wavefront6targetE1EEEvSK_,comdat
.Lfunc_end328:
	.size	_ZN7rocprim17ROCPRIM_400000_NS6detail17trampoline_kernelINS0_14default_configENS1_36segmented_radix_sort_config_selectorIalEEZNS1_25segmented_radix_sort_implIS3_Lb1EPKaPaPKlPlN2at6native12_GLOBAL__N_18offset_tEEE10hipError_tPvRmT1_PNSt15iterator_traitsISK_E10value_typeET2_T3_PNSL_ISQ_E10value_typeET4_jRbjT5_SW_jjP12ihipStream_tbEUlT_E2_NS1_11comp_targetILNS1_3genE8ELNS1_11target_archE1030ELNS1_3gpuE2ELNS1_3repE0EEENS1_30default_config_static_selectorELNS0_4arch9wavefront6targetE1EEEvSK_, .Lfunc_end328-_ZN7rocprim17ROCPRIM_400000_NS6detail17trampoline_kernelINS0_14default_configENS1_36segmented_radix_sort_config_selectorIalEEZNS1_25segmented_radix_sort_implIS3_Lb1EPKaPaPKlPlN2at6native12_GLOBAL__N_18offset_tEEE10hipError_tPvRmT1_PNSt15iterator_traitsISK_E10value_typeET2_T3_PNSL_ISQ_E10value_typeET4_jRbjT5_SW_jjP12ihipStream_tbEUlT_E2_NS1_11comp_targetILNS1_3genE8ELNS1_11target_archE1030ELNS1_3gpuE2ELNS1_3repE0EEENS1_30default_config_static_selectorELNS0_4arch9wavefront6targetE1EEEvSK_
                                        ; -- End function
	.set _ZN7rocprim17ROCPRIM_400000_NS6detail17trampoline_kernelINS0_14default_configENS1_36segmented_radix_sort_config_selectorIalEEZNS1_25segmented_radix_sort_implIS3_Lb1EPKaPaPKlPlN2at6native12_GLOBAL__N_18offset_tEEE10hipError_tPvRmT1_PNSt15iterator_traitsISK_E10value_typeET2_T3_PNSL_ISQ_E10value_typeET4_jRbjT5_SW_jjP12ihipStream_tbEUlT_E2_NS1_11comp_targetILNS1_3genE8ELNS1_11target_archE1030ELNS1_3gpuE2ELNS1_3repE0EEENS1_30default_config_static_selectorELNS0_4arch9wavefront6targetE1EEEvSK_.num_vgpr, 0
	.set _ZN7rocprim17ROCPRIM_400000_NS6detail17trampoline_kernelINS0_14default_configENS1_36segmented_radix_sort_config_selectorIalEEZNS1_25segmented_radix_sort_implIS3_Lb1EPKaPaPKlPlN2at6native12_GLOBAL__N_18offset_tEEE10hipError_tPvRmT1_PNSt15iterator_traitsISK_E10value_typeET2_T3_PNSL_ISQ_E10value_typeET4_jRbjT5_SW_jjP12ihipStream_tbEUlT_E2_NS1_11comp_targetILNS1_3genE8ELNS1_11target_archE1030ELNS1_3gpuE2ELNS1_3repE0EEENS1_30default_config_static_selectorELNS0_4arch9wavefront6targetE1EEEvSK_.num_agpr, 0
	.set _ZN7rocprim17ROCPRIM_400000_NS6detail17trampoline_kernelINS0_14default_configENS1_36segmented_radix_sort_config_selectorIalEEZNS1_25segmented_radix_sort_implIS3_Lb1EPKaPaPKlPlN2at6native12_GLOBAL__N_18offset_tEEE10hipError_tPvRmT1_PNSt15iterator_traitsISK_E10value_typeET2_T3_PNSL_ISQ_E10value_typeET4_jRbjT5_SW_jjP12ihipStream_tbEUlT_E2_NS1_11comp_targetILNS1_3genE8ELNS1_11target_archE1030ELNS1_3gpuE2ELNS1_3repE0EEENS1_30default_config_static_selectorELNS0_4arch9wavefront6targetE1EEEvSK_.numbered_sgpr, 0
	.set _ZN7rocprim17ROCPRIM_400000_NS6detail17trampoline_kernelINS0_14default_configENS1_36segmented_radix_sort_config_selectorIalEEZNS1_25segmented_radix_sort_implIS3_Lb1EPKaPaPKlPlN2at6native12_GLOBAL__N_18offset_tEEE10hipError_tPvRmT1_PNSt15iterator_traitsISK_E10value_typeET2_T3_PNSL_ISQ_E10value_typeET4_jRbjT5_SW_jjP12ihipStream_tbEUlT_E2_NS1_11comp_targetILNS1_3genE8ELNS1_11target_archE1030ELNS1_3gpuE2ELNS1_3repE0EEENS1_30default_config_static_selectorELNS0_4arch9wavefront6targetE1EEEvSK_.num_named_barrier, 0
	.set _ZN7rocprim17ROCPRIM_400000_NS6detail17trampoline_kernelINS0_14default_configENS1_36segmented_radix_sort_config_selectorIalEEZNS1_25segmented_radix_sort_implIS3_Lb1EPKaPaPKlPlN2at6native12_GLOBAL__N_18offset_tEEE10hipError_tPvRmT1_PNSt15iterator_traitsISK_E10value_typeET2_T3_PNSL_ISQ_E10value_typeET4_jRbjT5_SW_jjP12ihipStream_tbEUlT_E2_NS1_11comp_targetILNS1_3genE8ELNS1_11target_archE1030ELNS1_3gpuE2ELNS1_3repE0EEENS1_30default_config_static_selectorELNS0_4arch9wavefront6targetE1EEEvSK_.private_seg_size, 0
	.set _ZN7rocprim17ROCPRIM_400000_NS6detail17trampoline_kernelINS0_14default_configENS1_36segmented_radix_sort_config_selectorIalEEZNS1_25segmented_radix_sort_implIS3_Lb1EPKaPaPKlPlN2at6native12_GLOBAL__N_18offset_tEEE10hipError_tPvRmT1_PNSt15iterator_traitsISK_E10value_typeET2_T3_PNSL_ISQ_E10value_typeET4_jRbjT5_SW_jjP12ihipStream_tbEUlT_E2_NS1_11comp_targetILNS1_3genE8ELNS1_11target_archE1030ELNS1_3gpuE2ELNS1_3repE0EEENS1_30default_config_static_selectorELNS0_4arch9wavefront6targetE1EEEvSK_.uses_vcc, 0
	.set _ZN7rocprim17ROCPRIM_400000_NS6detail17trampoline_kernelINS0_14default_configENS1_36segmented_radix_sort_config_selectorIalEEZNS1_25segmented_radix_sort_implIS3_Lb1EPKaPaPKlPlN2at6native12_GLOBAL__N_18offset_tEEE10hipError_tPvRmT1_PNSt15iterator_traitsISK_E10value_typeET2_T3_PNSL_ISQ_E10value_typeET4_jRbjT5_SW_jjP12ihipStream_tbEUlT_E2_NS1_11comp_targetILNS1_3genE8ELNS1_11target_archE1030ELNS1_3gpuE2ELNS1_3repE0EEENS1_30default_config_static_selectorELNS0_4arch9wavefront6targetE1EEEvSK_.uses_flat_scratch, 0
	.set _ZN7rocprim17ROCPRIM_400000_NS6detail17trampoline_kernelINS0_14default_configENS1_36segmented_radix_sort_config_selectorIalEEZNS1_25segmented_radix_sort_implIS3_Lb1EPKaPaPKlPlN2at6native12_GLOBAL__N_18offset_tEEE10hipError_tPvRmT1_PNSt15iterator_traitsISK_E10value_typeET2_T3_PNSL_ISQ_E10value_typeET4_jRbjT5_SW_jjP12ihipStream_tbEUlT_E2_NS1_11comp_targetILNS1_3genE8ELNS1_11target_archE1030ELNS1_3gpuE2ELNS1_3repE0EEENS1_30default_config_static_selectorELNS0_4arch9wavefront6targetE1EEEvSK_.has_dyn_sized_stack, 0
	.set _ZN7rocprim17ROCPRIM_400000_NS6detail17trampoline_kernelINS0_14default_configENS1_36segmented_radix_sort_config_selectorIalEEZNS1_25segmented_radix_sort_implIS3_Lb1EPKaPaPKlPlN2at6native12_GLOBAL__N_18offset_tEEE10hipError_tPvRmT1_PNSt15iterator_traitsISK_E10value_typeET2_T3_PNSL_ISQ_E10value_typeET4_jRbjT5_SW_jjP12ihipStream_tbEUlT_E2_NS1_11comp_targetILNS1_3genE8ELNS1_11target_archE1030ELNS1_3gpuE2ELNS1_3repE0EEENS1_30default_config_static_selectorELNS0_4arch9wavefront6targetE1EEEvSK_.has_recursion, 0
	.set _ZN7rocprim17ROCPRIM_400000_NS6detail17trampoline_kernelINS0_14default_configENS1_36segmented_radix_sort_config_selectorIalEEZNS1_25segmented_radix_sort_implIS3_Lb1EPKaPaPKlPlN2at6native12_GLOBAL__N_18offset_tEEE10hipError_tPvRmT1_PNSt15iterator_traitsISK_E10value_typeET2_T3_PNSL_ISQ_E10value_typeET4_jRbjT5_SW_jjP12ihipStream_tbEUlT_E2_NS1_11comp_targetILNS1_3genE8ELNS1_11target_archE1030ELNS1_3gpuE2ELNS1_3repE0EEENS1_30default_config_static_selectorELNS0_4arch9wavefront6targetE1EEEvSK_.has_indirect_call, 0
	.section	.AMDGPU.csdata,"",@progbits
; Kernel info:
; codeLenInByte = 0
; TotalNumSgprs: 4
; NumVgprs: 0
; ScratchSize: 0
; MemoryBound: 0
; FloatMode: 240
; IeeeMode: 1
; LDSByteSize: 0 bytes/workgroup (compile time only)
; SGPRBlocks: 0
; VGPRBlocks: 0
; NumSGPRsForWavesPerEU: 4
; NumVGPRsForWavesPerEU: 1
; Occupancy: 10
; WaveLimiterHint : 0
; COMPUTE_PGM_RSRC2:SCRATCH_EN: 0
; COMPUTE_PGM_RSRC2:USER_SGPR: 6
; COMPUTE_PGM_RSRC2:TRAP_HANDLER: 0
; COMPUTE_PGM_RSRC2:TGID_X_EN: 1
; COMPUTE_PGM_RSRC2:TGID_Y_EN: 0
; COMPUTE_PGM_RSRC2:TGID_Z_EN: 0
; COMPUTE_PGM_RSRC2:TIDIG_COMP_CNT: 0
	.section	.text._ZN7rocprim17ROCPRIM_400000_NS6detail17trampoline_kernelINS0_13select_configILj256ELj13ELNS0_17block_load_methodE3ELS4_3ELS4_3ELNS0_20block_scan_algorithmE0ELj4294967295EEENS1_25partition_config_selectorILNS1_17partition_subalgoE4EjNS0_10empty_typeEbEEZZNS1_14partition_implILS8_4ELb0ES6_15HIP_vector_typeIjLj2EENS0_17counting_iteratorIjlEEPS9_SG_NS0_5tupleIJPjSI_NS0_16reverse_iteratorISI_EEEEENSH_IJSG_SG_SG_EEES9_SI_JZNS1_25segmented_radix_sort_implINS0_14default_configELb0EPKaPaPKlPlN2at6native12_GLOBAL__N_18offset_tEEE10hipError_tPvRmT1_PNSt15iterator_traitsIS12_E10value_typeET2_T3_PNS13_IS18_E10value_typeET4_jRbjT5_S1E_jjP12ihipStream_tbEUljE_ZNSN_ISO_Lb0ESQ_SR_ST_SU_SY_EESZ_S10_S11_S12_S16_S17_S18_S1B_S1C_jS1D_jS1E_S1E_jjS1G_bEUljE0_EEESZ_S10_S11_S18_S1C_S1E_T6_T7_T9_mT8_S1G_bDpT10_ENKUlT_T0_E_clISt17integral_constantIbLb0EES1U_EEDaS1P_S1Q_EUlS1P_E_NS1_11comp_targetILNS1_3genE0ELNS1_11target_archE4294967295ELNS1_3gpuE0ELNS1_3repE0EEENS1_30default_config_static_selectorELNS0_4arch9wavefront6targetE1EEEvS12_,"axG",@progbits,_ZN7rocprim17ROCPRIM_400000_NS6detail17trampoline_kernelINS0_13select_configILj256ELj13ELNS0_17block_load_methodE3ELS4_3ELS4_3ELNS0_20block_scan_algorithmE0ELj4294967295EEENS1_25partition_config_selectorILNS1_17partition_subalgoE4EjNS0_10empty_typeEbEEZZNS1_14partition_implILS8_4ELb0ES6_15HIP_vector_typeIjLj2EENS0_17counting_iteratorIjlEEPS9_SG_NS0_5tupleIJPjSI_NS0_16reverse_iteratorISI_EEEEENSH_IJSG_SG_SG_EEES9_SI_JZNS1_25segmented_radix_sort_implINS0_14default_configELb0EPKaPaPKlPlN2at6native12_GLOBAL__N_18offset_tEEE10hipError_tPvRmT1_PNSt15iterator_traitsIS12_E10value_typeET2_T3_PNS13_IS18_E10value_typeET4_jRbjT5_S1E_jjP12ihipStream_tbEUljE_ZNSN_ISO_Lb0ESQ_SR_ST_SU_SY_EESZ_S10_S11_S12_S16_S17_S18_S1B_S1C_jS1D_jS1E_S1E_jjS1G_bEUljE0_EEESZ_S10_S11_S18_S1C_S1E_T6_T7_T9_mT8_S1G_bDpT10_ENKUlT_T0_E_clISt17integral_constantIbLb0EES1U_EEDaS1P_S1Q_EUlS1P_E_NS1_11comp_targetILNS1_3genE0ELNS1_11target_archE4294967295ELNS1_3gpuE0ELNS1_3repE0EEENS1_30default_config_static_selectorELNS0_4arch9wavefront6targetE1EEEvS12_,comdat
	.globl	_ZN7rocprim17ROCPRIM_400000_NS6detail17trampoline_kernelINS0_13select_configILj256ELj13ELNS0_17block_load_methodE3ELS4_3ELS4_3ELNS0_20block_scan_algorithmE0ELj4294967295EEENS1_25partition_config_selectorILNS1_17partition_subalgoE4EjNS0_10empty_typeEbEEZZNS1_14partition_implILS8_4ELb0ES6_15HIP_vector_typeIjLj2EENS0_17counting_iteratorIjlEEPS9_SG_NS0_5tupleIJPjSI_NS0_16reverse_iteratorISI_EEEEENSH_IJSG_SG_SG_EEES9_SI_JZNS1_25segmented_radix_sort_implINS0_14default_configELb0EPKaPaPKlPlN2at6native12_GLOBAL__N_18offset_tEEE10hipError_tPvRmT1_PNSt15iterator_traitsIS12_E10value_typeET2_T3_PNS13_IS18_E10value_typeET4_jRbjT5_S1E_jjP12ihipStream_tbEUljE_ZNSN_ISO_Lb0ESQ_SR_ST_SU_SY_EESZ_S10_S11_S12_S16_S17_S18_S1B_S1C_jS1D_jS1E_S1E_jjS1G_bEUljE0_EEESZ_S10_S11_S18_S1C_S1E_T6_T7_T9_mT8_S1G_bDpT10_ENKUlT_T0_E_clISt17integral_constantIbLb0EES1U_EEDaS1P_S1Q_EUlS1P_E_NS1_11comp_targetILNS1_3genE0ELNS1_11target_archE4294967295ELNS1_3gpuE0ELNS1_3repE0EEENS1_30default_config_static_selectorELNS0_4arch9wavefront6targetE1EEEvS12_ ; -- Begin function _ZN7rocprim17ROCPRIM_400000_NS6detail17trampoline_kernelINS0_13select_configILj256ELj13ELNS0_17block_load_methodE3ELS4_3ELS4_3ELNS0_20block_scan_algorithmE0ELj4294967295EEENS1_25partition_config_selectorILNS1_17partition_subalgoE4EjNS0_10empty_typeEbEEZZNS1_14partition_implILS8_4ELb0ES6_15HIP_vector_typeIjLj2EENS0_17counting_iteratorIjlEEPS9_SG_NS0_5tupleIJPjSI_NS0_16reverse_iteratorISI_EEEEENSH_IJSG_SG_SG_EEES9_SI_JZNS1_25segmented_radix_sort_implINS0_14default_configELb0EPKaPaPKlPlN2at6native12_GLOBAL__N_18offset_tEEE10hipError_tPvRmT1_PNSt15iterator_traitsIS12_E10value_typeET2_T3_PNS13_IS18_E10value_typeET4_jRbjT5_S1E_jjP12ihipStream_tbEUljE_ZNSN_ISO_Lb0ESQ_SR_ST_SU_SY_EESZ_S10_S11_S12_S16_S17_S18_S1B_S1C_jS1D_jS1E_S1E_jjS1G_bEUljE0_EEESZ_S10_S11_S18_S1C_S1E_T6_T7_T9_mT8_S1G_bDpT10_ENKUlT_T0_E_clISt17integral_constantIbLb0EES1U_EEDaS1P_S1Q_EUlS1P_E_NS1_11comp_targetILNS1_3genE0ELNS1_11target_archE4294967295ELNS1_3gpuE0ELNS1_3repE0EEENS1_30default_config_static_selectorELNS0_4arch9wavefront6targetE1EEEvS12_
	.p2align	8
	.type	_ZN7rocprim17ROCPRIM_400000_NS6detail17trampoline_kernelINS0_13select_configILj256ELj13ELNS0_17block_load_methodE3ELS4_3ELS4_3ELNS0_20block_scan_algorithmE0ELj4294967295EEENS1_25partition_config_selectorILNS1_17partition_subalgoE4EjNS0_10empty_typeEbEEZZNS1_14partition_implILS8_4ELb0ES6_15HIP_vector_typeIjLj2EENS0_17counting_iteratorIjlEEPS9_SG_NS0_5tupleIJPjSI_NS0_16reverse_iteratorISI_EEEEENSH_IJSG_SG_SG_EEES9_SI_JZNS1_25segmented_radix_sort_implINS0_14default_configELb0EPKaPaPKlPlN2at6native12_GLOBAL__N_18offset_tEEE10hipError_tPvRmT1_PNSt15iterator_traitsIS12_E10value_typeET2_T3_PNS13_IS18_E10value_typeET4_jRbjT5_S1E_jjP12ihipStream_tbEUljE_ZNSN_ISO_Lb0ESQ_SR_ST_SU_SY_EESZ_S10_S11_S12_S16_S17_S18_S1B_S1C_jS1D_jS1E_S1E_jjS1G_bEUljE0_EEESZ_S10_S11_S18_S1C_S1E_T6_T7_T9_mT8_S1G_bDpT10_ENKUlT_T0_E_clISt17integral_constantIbLb0EES1U_EEDaS1P_S1Q_EUlS1P_E_NS1_11comp_targetILNS1_3genE0ELNS1_11target_archE4294967295ELNS1_3gpuE0ELNS1_3repE0EEENS1_30default_config_static_selectorELNS0_4arch9wavefront6targetE1EEEvS12_,@function
_ZN7rocprim17ROCPRIM_400000_NS6detail17trampoline_kernelINS0_13select_configILj256ELj13ELNS0_17block_load_methodE3ELS4_3ELS4_3ELNS0_20block_scan_algorithmE0ELj4294967295EEENS1_25partition_config_selectorILNS1_17partition_subalgoE4EjNS0_10empty_typeEbEEZZNS1_14partition_implILS8_4ELb0ES6_15HIP_vector_typeIjLj2EENS0_17counting_iteratorIjlEEPS9_SG_NS0_5tupleIJPjSI_NS0_16reverse_iteratorISI_EEEEENSH_IJSG_SG_SG_EEES9_SI_JZNS1_25segmented_radix_sort_implINS0_14default_configELb0EPKaPaPKlPlN2at6native12_GLOBAL__N_18offset_tEEE10hipError_tPvRmT1_PNSt15iterator_traitsIS12_E10value_typeET2_T3_PNS13_IS18_E10value_typeET4_jRbjT5_S1E_jjP12ihipStream_tbEUljE_ZNSN_ISO_Lb0ESQ_SR_ST_SU_SY_EESZ_S10_S11_S12_S16_S17_S18_S1B_S1C_jS1D_jS1E_S1E_jjS1G_bEUljE0_EEESZ_S10_S11_S18_S1C_S1E_T6_T7_T9_mT8_S1G_bDpT10_ENKUlT_T0_E_clISt17integral_constantIbLb0EES1U_EEDaS1P_S1Q_EUlS1P_E_NS1_11comp_targetILNS1_3genE0ELNS1_11target_archE4294967295ELNS1_3gpuE0ELNS1_3repE0EEENS1_30default_config_static_selectorELNS0_4arch9wavefront6targetE1EEEvS12_: ; @_ZN7rocprim17ROCPRIM_400000_NS6detail17trampoline_kernelINS0_13select_configILj256ELj13ELNS0_17block_load_methodE3ELS4_3ELS4_3ELNS0_20block_scan_algorithmE0ELj4294967295EEENS1_25partition_config_selectorILNS1_17partition_subalgoE4EjNS0_10empty_typeEbEEZZNS1_14partition_implILS8_4ELb0ES6_15HIP_vector_typeIjLj2EENS0_17counting_iteratorIjlEEPS9_SG_NS0_5tupleIJPjSI_NS0_16reverse_iteratorISI_EEEEENSH_IJSG_SG_SG_EEES9_SI_JZNS1_25segmented_radix_sort_implINS0_14default_configELb0EPKaPaPKlPlN2at6native12_GLOBAL__N_18offset_tEEE10hipError_tPvRmT1_PNSt15iterator_traitsIS12_E10value_typeET2_T3_PNS13_IS18_E10value_typeET4_jRbjT5_S1E_jjP12ihipStream_tbEUljE_ZNSN_ISO_Lb0ESQ_SR_ST_SU_SY_EESZ_S10_S11_S12_S16_S17_S18_S1B_S1C_jS1D_jS1E_S1E_jjS1G_bEUljE0_EEESZ_S10_S11_S18_S1C_S1E_T6_T7_T9_mT8_S1G_bDpT10_ENKUlT_T0_E_clISt17integral_constantIbLb0EES1U_EEDaS1P_S1Q_EUlS1P_E_NS1_11comp_targetILNS1_3genE0ELNS1_11target_archE4294967295ELNS1_3gpuE0ELNS1_3repE0EEENS1_30default_config_static_selectorELNS0_4arch9wavefront6targetE1EEEvS12_
; %bb.0:
	.section	.rodata,"a",@progbits
	.p2align	6, 0x0
	.amdhsa_kernel _ZN7rocprim17ROCPRIM_400000_NS6detail17trampoline_kernelINS0_13select_configILj256ELj13ELNS0_17block_load_methodE3ELS4_3ELS4_3ELNS0_20block_scan_algorithmE0ELj4294967295EEENS1_25partition_config_selectorILNS1_17partition_subalgoE4EjNS0_10empty_typeEbEEZZNS1_14partition_implILS8_4ELb0ES6_15HIP_vector_typeIjLj2EENS0_17counting_iteratorIjlEEPS9_SG_NS0_5tupleIJPjSI_NS0_16reverse_iteratorISI_EEEEENSH_IJSG_SG_SG_EEES9_SI_JZNS1_25segmented_radix_sort_implINS0_14default_configELb0EPKaPaPKlPlN2at6native12_GLOBAL__N_18offset_tEEE10hipError_tPvRmT1_PNSt15iterator_traitsIS12_E10value_typeET2_T3_PNS13_IS18_E10value_typeET4_jRbjT5_S1E_jjP12ihipStream_tbEUljE_ZNSN_ISO_Lb0ESQ_SR_ST_SU_SY_EESZ_S10_S11_S12_S16_S17_S18_S1B_S1C_jS1D_jS1E_S1E_jjS1G_bEUljE0_EEESZ_S10_S11_S18_S1C_S1E_T6_T7_T9_mT8_S1G_bDpT10_ENKUlT_T0_E_clISt17integral_constantIbLb0EES1U_EEDaS1P_S1Q_EUlS1P_E_NS1_11comp_targetILNS1_3genE0ELNS1_11target_archE4294967295ELNS1_3gpuE0ELNS1_3repE0EEENS1_30default_config_static_selectorELNS0_4arch9wavefront6targetE1EEEvS12_
		.amdhsa_group_segment_fixed_size 0
		.amdhsa_private_segment_fixed_size 0
		.amdhsa_kernarg_size 176
		.amdhsa_user_sgpr_count 6
		.amdhsa_user_sgpr_private_segment_buffer 1
		.amdhsa_user_sgpr_dispatch_ptr 0
		.amdhsa_user_sgpr_queue_ptr 0
		.amdhsa_user_sgpr_kernarg_segment_ptr 1
		.amdhsa_user_sgpr_dispatch_id 0
		.amdhsa_user_sgpr_flat_scratch_init 0
		.amdhsa_user_sgpr_private_segment_size 0
		.amdhsa_uses_dynamic_stack 0
		.amdhsa_system_sgpr_private_segment_wavefront_offset 0
		.amdhsa_system_sgpr_workgroup_id_x 1
		.amdhsa_system_sgpr_workgroup_id_y 0
		.amdhsa_system_sgpr_workgroup_id_z 0
		.amdhsa_system_sgpr_workgroup_info 0
		.amdhsa_system_vgpr_workitem_id 0
		.amdhsa_next_free_vgpr 1
		.amdhsa_next_free_sgpr 0
		.amdhsa_reserve_vcc 0
		.amdhsa_reserve_flat_scratch 0
		.amdhsa_float_round_mode_32 0
		.amdhsa_float_round_mode_16_64 0
		.amdhsa_float_denorm_mode_32 3
		.amdhsa_float_denorm_mode_16_64 3
		.amdhsa_dx10_clamp 1
		.amdhsa_ieee_mode 1
		.amdhsa_fp16_overflow 0
		.amdhsa_exception_fp_ieee_invalid_op 0
		.amdhsa_exception_fp_denorm_src 0
		.amdhsa_exception_fp_ieee_div_zero 0
		.amdhsa_exception_fp_ieee_overflow 0
		.amdhsa_exception_fp_ieee_underflow 0
		.amdhsa_exception_fp_ieee_inexact 0
		.amdhsa_exception_int_div_zero 0
	.end_amdhsa_kernel
	.section	.text._ZN7rocprim17ROCPRIM_400000_NS6detail17trampoline_kernelINS0_13select_configILj256ELj13ELNS0_17block_load_methodE3ELS4_3ELS4_3ELNS0_20block_scan_algorithmE0ELj4294967295EEENS1_25partition_config_selectorILNS1_17partition_subalgoE4EjNS0_10empty_typeEbEEZZNS1_14partition_implILS8_4ELb0ES6_15HIP_vector_typeIjLj2EENS0_17counting_iteratorIjlEEPS9_SG_NS0_5tupleIJPjSI_NS0_16reverse_iteratorISI_EEEEENSH_IJSG_SG_SG_EEES9_SI_JZNS1_25segmented_radix_sort_implINS0_14default_configELb0EPKaPaPKlPlN2at6native12_GLOBAL__N_18offset_tEEE10hipError_tPvRmT1_PNSt15iterator_traitsIS12_E10value_typeET2_T3_PNS13_IS18_E10value_typeET4_jRbjT5_S1E_jjP12ihipStream_tbEUljE_ZNSN_ISO_Lb0ESQ_SR_ST_SU_SY_EESZ_S10_S11_S12_S16_S17_S18_S1B_S1C_jS1D_jS1E_S1E_jjS1G_bEUljE0_EEESZ_S10_S11_S18_S1C_S1E_T6_T7_T9_mT8_S1G_bDpT10_ENKUlT_T0_E_clISt17integral_constantIbLb0EES1U_EEDaS1P_S1Q_EUlS1P_E_NS1_11comp_targetILNS1_3genE0ELNS1_11target_archE4294967295ELNS1_3gpuE0ELNS1_3repE0EEENS1_30default_config_static_selectorELNS0_4arch9wavefront6targetE1EEEvS12_,"axG",@progbits,_ZN7rocprim17ROCPRIM_400000_NS6detail17trampoline_kernelINS0_13select_configILj256ELj13ELNS0_17block_load_methodE3ELS4_3ELS4_3ELNS0_20block_scan_algorithmE0ELj4294967295EEENS1_25partition_config_selectorILNS1_17partition_subalgoE4EjNS0_10empty_typeEbEEZZNS1_14partition_implILS8_4ELb0ES6_15HIP_vector_typeIjLj2EENS0_17counting_iteratorIjlEEPS9_SG_NS0_5tupleIJPjSI_NS0_16reverse_iteratorISI_EEEEENSH_IJSG_SG_SG_EEES9_SI_JZNS1_25segmented_radix_sort_implINS0_14default_configELb0EPKaPaPKlPlN2at6native12_GLOBAL__N_18offset_tEEE10hipError_tPvRmT1_PNSt15iterator_traitsIS12_E10value_typeET2_T3_PNS13_IS18_E10value_typeET4_jRbjT5_S1E_jjP12ihipStream_tbEUljE_ZNSN_ISO_Lb0ESQ_SR_ST_SU_SY_EESZ_S10_S11_S12_S16_S17_S18_S1B_S1C_jS1D_jS1E_S1E_jjS1G_bEUljE0_EEESZ_S10_S11_S18_S1C_S1E_T6_T7_T9_mT8_S1G_bDpT10_ENKUlT_T0_E_clISt17integral_constantIbLb0EES1U_EEDaS1P_S1Q_EUlS1P_E_NS1_11comp_targetILNS1_3genE0ELNS1_11target_archE4294967295ELNS1_3gpuE0ELNS1_3repE0EEENS1_30default_config_static_selectorELNS0_4arch9wavefront6targetE1EEEvS12_,comdat
.Lfunc_end329:
	.size	_ZN7rocprim17ROCPRIM_400000_NS6detail17trampoline_kernelINS0_13select_configILj256ELj13ELNS0_17block_load_methodE3ELS4_3ELS4_3ELNS0_20block_scan_algorithmE0ELj4294967295EEENS1_25partition_config_selectorILNS1_17partition_subalgoE4EjNS0_10empty_typeEbEEZZNS1_14partition_implILS8_4ELb0ES6_15HIP_vector_typeIjLj2EENS0_17counting_iteratorIjlEEPS9_SG_NS0_5tupleIJPjSI_NS0_16reverse_iteratorISI_EEEEENSH_IJSG_SG_SG_EEES9_SI_JZNS1_25segmented_radix_sort_implINS0_14default_configELb0EPKaPaPKlPlN2at6native12_GLOBAL__N_18offset_tEEE10hipError_tPvRmT1_PNSt15iterator_traitsIS12_E10value_typeET2_T3_PNS13_IS18_E10value_typeET4_jRbjT5_S1E_jjP12ihipStream_tbEUljE_ZNSN_ISO_Lb0ESQ_SR_ST_SU_SY_EESZ_S10_S11_S12_S16_S17_S18_S1B_S1C_jS1D_jS1E_S1E_jjS1G_bEUljE0_EEESZ_S10_S11_S18_S1C_S1E_T6_T7_T9_mT8_S1G_bDpT10_ENKUlT_T0_E_clISt17integral_constantIbLb0EES1U_EEDaS1P_S1Q_EUlS1P_E_NS1_11comp_targetILNS1_3genE0ELNS1_11target_archE4294967295ELNS1_3gpuE0ELNS1_3repE0EEENS1_30default_config_static_selectorELNS0_4arch9wavefront6targetE1EEEvS12_, .Lfunc_end329-_ZN7rocprim17ROCPRIM_400000_NS6detail17trampoline_kernelINS0_13select_configILj256ELj13ELNS0_17block_load_methodE3ELS4_3ELS4_3ELNS0_20block_scan_algorithmE0ELj4294967295EEENS1_25partition_config_selectorILNS1_17partition_subalgoE4EjNS0_10empty_typeEbEEZZNS1_14partition_implILS8_4ELb0ES6_15HIP_vector_typeIjLj2EENS0_17counting_iteratorIjlEEPS9_SG_NS0_5tupleIJPjSI_NS0_16reverse_iteratorISI_EEEEENSH_IJSG_SG_SG_EEES9_SI_JZNS1_25segmented_radix_sort_implINS0_14default_configELb0EPKaPaPKlPlN2at6native12_GLOBAL__N_18offset_tEEE10hipError_tPvRmT1_PNSt15iterator_traitsIS12_E10value_typeET2_T3_PNS13_IS18_E10value_typeET4_jRbjT5_S1E_jjP12ihipStream_tbEUljE_ZNSN_ISO_Lb0ESQ_SR_ST_SU_SY_EESZ_S10_S11_S12_S16_S17_S18_S1B_S1C_jS1D_jS1E_S1E_jjS1G_bEUljE0_EEESZ_S10_S11_S18_S1C_S1E_T6_T7_T9_mT8_S1G_bDpT10_ENKUlT_T0_E_clISt17integral_constantIbLb0EES1U_EEDaS1P_S1Q_EUlS1P_E_NS1_11comp_targetILNS1_3genE0ELNS1_11target_archE4294967295ELNS1_3gpuE0ELNS1_3repE0EEENS1_30default_config_static_selectorELNS0_4arch9wavefront6targetE1EEEvS12_
                                        ; -- End function
	.set _ZN7rocprim17ROCPRIM_400000_NS6detail17trampoline_kernelINS0_13select_configILj256ELj13ELNS0_17block_load_methodE3ELS4_3ELS4_3ELNS0_20block_scan_algorithmE0ELj4294967295EEENS1_25partition_config_selectorILNS1_17partition_subalgoE4EjNS0_10empty_typeEbEEZZNS1_14partition_implILS8_4ELb0ES6_15HIP_vector_typeIjLj2EENS0_17counting_iteratorIjlEEPS9_SG_NS0_5tupleIJPjSI_NS0_16reverse_iteratorISI_EEEEENSH_IJSG_SG_SG_EEES9_SI_JZNS1_25segmented_radix_sort_implINS0_14default_configELb0EPKaPaPKlPlN2at6native12_GLOBAL__N_18offset_tEEE10hipError_tPvRmT1_PNSt15iterator_traitsIS12_E10value_typeET2_T3_PNS13_IS18_E10value_typeET4_jRbjT5_S1E_jjP12ihipStream_tbEUljE_ZNSN_ISO_Lb0ESQ_SR_ST_SU_SY_EESZ_S10_S11_S12_S16_S17_S18_S1B_S1C_jS1D_jS1E_S1E_jjS1G_bEUljE0_EEESZ_S10_S11_S18_S1C_S1E_T6_T7_T9_mT8_S1G_bDpT10_ENKUlT_T0_E_clISt17integral_constantIbLb0EES1U_EEDaS1P_S1Q_EUlS1P_E_NS1_11comp_targetILNS1_3genE0ELNS1_11target_archE4294967295ELNS1_3gpuE0ELNS1_3repE0EEENS1_30default_config_static_selectorELNS0_4arch9wavefront6targetE1EEEvS12_.num_vgpr, 0
	.set _ZN7rocprim17ROCPRIM_400000_NS6detail17trampoline_kernelINS0_13select_configILj256ELj13ELNS0_17block_load_methodE3ELS4_3ELS4_3ELNS0_20block_scan_algorithmE0ELj4294967295EEENS1_25partition_config_selectorILNS1_17partition_subalgoE4EjNS0_10empty_typeEbEEZZNS1_14partition_implILS8_4ELb0ES6_15HIP_vector_typeIjLj2EENS0_17counting_iteratorIjlEEPS9_SG_NS0_5tupleIJPjSI_NS0_16reverse_iteratorISI_EEEEENSH_IJSG_SG_SG_EEES9_SI_JZNS1_25segmented_radix_sort_implINS0_14default_configELb0EPKaPaPKlPlN2at6native12_GLOBAL__N_18offset_tEEE10hipError_tPvRmT1_PNSt15iterator_traitsIS12_E10value_typeET2_T3_PNS13_IS18_E10value_typeET4_jRbjT5_S1E_jjP12ihipStream_tbEUljE_ZNSN_ISO_Lb0ESQ_SR_ST_SU_SY_EESZ_S10_S11_S12_S16_S17_S18_S1B_S1C_jS1D_jS1E_S1E_jjS1G_bEUljE0_EEESZ_S10_S11_S18_S1C_S1E_T6_T7_T9_mT8_S1G_bDpT10_ENKUlT_T0_E_clISt17integral_constantIbLb0EES1U_EEDaS1P_S1Q_EUlS1P_E_NS1_11comp_targetILNS1_3genE0ELNS1_11target_archE4294967295ELNS1_3gpuE0ELNS1_3repE0EEENS1_30default_config_static_selectorELNS0_4arch9wavefront6targetE1EEEvS12_.num_agpr, 0
	.set _ZN7rocprim17ROCPRIM_400000_NS6detail17trampoline_kernelINS0_13select_configILj256ELj13ELNS0_17block_load_methodE3ELS4_3ELS4_3ELNS0_20block_scan_algorithmE0ELj4294967295EEENS1_25partition_config_selectorILNS1_17partition_subalgoE4EjNS0_10empty_typeEbEEZZNS1_14partition_implILS8_4ELb0ES6_15HIP_vector_typeIjLj2EENS0_17counting_iteratorIjlEEPS9_SG_NS0_5tupleIJPjSI_NS0_16reverse_iteratorISI_EEEEENSH_IJSG_SG_SG_EEES9_SI_JZNS1_25segmented_radix_sort_implINS0_14default_configELb0EPKaPaPKlPlN2at6native12_GLOBAL__N_18offset_tEEE10hipError_tPvRmT1_PNSt15iterator_traitsIS12_E10value_typeET2_T3_PNS13_IS18_E10value_typeET4_jRbjT5_S1E_jjP12ihipStream_tbEUljE_ZNSN_ISO_Lb0ESQ_SR_ST_SU_SY_EESZ_S10_S11_S12_S16_S17_S18_S1B_S1C_jS1D_jS1E_S1E_jjS1G_bEUljE0_EEESZ_S10_S11_S18_S1C_S1E_T6_T7_T9_mT8_S1G_bDpT10_ENKUlT_T0_E_clISt17integral_constantIbLb0EES1U_EEDaS1P_S1Q_EUlS1P_E_NS1_11comp_targetILNS1_3genE0ELNS1_11target_archE4294967295ELNS1_3gpuE0ELNS1_3repE0EEENS1_30default_config_static_selectorELNS0_4arch9wavefront6targetE1EEEvS12_.numbered_sgpr, 0
	.set _ZN7rocprim17ROCPRIM_400000_NS6detail17trampoline_kernelINS0_13select_configILj256ELj13ELNS0_17block_load_methodE3ELS4_3ELS4_3ELNS0_20block_scan_algorithmE0ELj4294967295EEENS1_25partition_config_selectorILNS1_17partition_subalgoE4EjNS0_10empty_typeEbEEZZNS1_14partition_implILS8_4ELb0ES6_15HIP_vector_typeIjLj2EENS0_17counting_iteratorIjlEEPS9_SG_NS0_5tupleIJPjSI_NS0_16reverse_iteratorISI_EEEEENSH_IJSG_SG_SG_EEES9_SI_JZNS1_25segmented_radix_sort_implINS0_14default_configELb0EPKaPaPKlPlN2at6native12_GLOBAL__N_18offset_tEEE10hipError_tPvRmT1_PNSt15iterator_traitsIS12_E10value_typeET2_T3_PNS13_IS18_E10value_typeET4_jRbjT5_S1E_jjP12ihipStream_tbEUljE_ZNSN_ISO_Lb0ESQ_SR_ST_SU_SY_EESZ_S10_S11_S12_S16_S17_S18_S1B_S1C_jS1D_jS1E_S1E_jjS1G_bEUljE0_EEESZ_S10_S11_S18_S1C_S1E_T6_T7_T9_mT8_S1G_bDpT10_ENKUlT_T0_E_clISt17integral_constantIbLb0EES1U_EEDaS1P_S1Q_EUlS1P_E_NS1_11comp_targetILNS1_3genE0ELNS1_11target_archE4294967295ELNS1_3gpuE0ELNS1_3repE0EEENS1_30default_config_static_selectorELNS0_4arch9wavefront6targetE1EEEvS12_.num_named_barrier, 0
	.set _ZN7rocprim17ROCPRIM_400000_NS6detail17trampoline_kernelINS0_13select_configILj256ELj13ELNS0_17block_load_methodE3ELS4_3ELS4_3ELNS0_20block_scan_algorithmE0ELj4294967295EEENS1_25partition_config_selectorILNS1_17partition_subalgoE4EjNS0_10empty_typeEbEEZZNS1_14partition_implILS8_4ELb0ES6_15HIP_vector_typeIjLj2EENS0_17counting_iteratorIjlEEPS9_SG_NS0_5tupleIJPjSI_NS0_16reverse_iteratorISI_EEEEENSH_IJSG_SG_SG_EEES9_SI_JZNS1_25segmented_radix_sort_implINS0_14default_configELb0EPKaPaPKlPlN2at6native12_GLOBAL__N_18offset_tEEE10hipError_tPvRmT1_PNSt15iterator_traitsIS12_E10value_typeET2_T3_PNS13_IS18_E10value_typeET4_jRbjT5_S1E_jjP12ihipStream_tbEUljE_ZNSN_ISO_Lb0ESQ_SR_ST_SU_SY_EESZ_S10_S11_S12_S16_S17_S18_S1B_S1C_jS1D_jS1E_S1E_jjS1G_bEUljE0_EEESZ_S10_S11_S18_S1C_S1E_T6_T7_T9_mT8_S1G_bDpT10_ENKUlT_T0_E_clISt17integral_constantIbLb0EES1U_EEDaS1P_S1Q_EUlS1P_E_NS1_11comp_targetILNS1_3genE0ELNS1_11target_archE4294967295ELNS1_3gpuE0ELNS1_3repE0EEENS1_30default_config_static_selectorELNS0_4arch9wavefront6targetE1EEEvS12_.private_seg_size, 0
	.set _ZN7rocprim17ROCPRIM_400000_NS6detail17trampoline_kernelINS0_13select_configILj256ELj13ELNS0_17block_load_methodE3ELS4_3ELS4_3ELNS0_20block_scan_algorithmE0ELj4294967295EEENS1_25partition_config_selectorILNS1_17partition_subalgoE4EjNS0_10empty_typeEbEEZZNS1_14partition_implILS8_4ELb0ES6_15HIP_vector_typeIjLj2EENS0_17counting_iteratorIjlEEPS9_SG_NS0_5tupleIJPjSI_NS0_16reverse_iteratorISI_EEEEENSH_IJSG_SG_SG_EEES9_SI_JZNS1_25segmented_radix_sort_implINS0_14default_configELb0EPKaPaPKlPlN2at6native12_GLOBAL__N_18offset_tEEE10hipError_tPvRmT1_PNSt15iterator_traitsIS12_E10value_typeET2_T3_PNS13_IS18_E10value_typeET4_jRbjT5_S1E_jjP12ihipStream_tbEUljE_ZNSN_ISO_Lb0ESQ_SR_ST_SU_SY_EESZ_S10_S11_S12_S16_S17_S18_S1B_S1C_jS1D_jS1E_S1E_jjS1G_bEUljE0_EEESZ_S10_S11_S18_S1C_S1E_T6_T7_T9_mT8_S1G_bDpT10_ENKUlT_T0_E_clISt17integral_constantIbLb0EES1U_EEDaS1P_S1Q_EUlS1P_E_NS1_11comp_targetILNS1_3genE0ELNS1_11target_archE4294967295ELNS1_3gpuE0ELNS1_3repE0EEENS1_30default_config_static_selectorELNS0_4arch9wavefront6targetE1EEEvS12_.uses_vcc, 0
	.set _ZN7rocprim17ROCPRIM_400000_NS6detail17trampoline_kernelINS0_13select_configILj256ELj13ELNS0_17block_load_methodE3ELS4_3ELS4_3ELNS0_20block_scan_algorithmE0ELj4294967295EEENS1_25partition_config_selectorILNS1_17partition_subalgoE4EjNS0_10empty_typeEbEEZZNS1_14partition_implILS8_4ELb0ES6_15HIP_vector_typeIjLj2EENS0_17counting_iteratorIjlEEPS9_SG_NS0_5tupleIJPjSI_NS0_16reverse_iteratorISI_EEEEENSH_IJSG_SG_SG_EEES9_SI_JZNS1_25segmented_radix_sort_implINS0_14default_configELb0EPKaPaPKlPlN2at6native12_GLOBAL__N_18offset_tEEE10hipError_tPvRmT1_PNSt15iterator_traitsIS12_E10value_typeET2_T3_PNS13_IS18_E10value_typeET4_jRbjT5_S1E_jjP12ihipStream_tbEUljE_ZNSN_ISO_Lb0ESQ_SR_ST_SU_SY_EESZ_S10_S11_S12_S16_S17_S18_S1B_S1C_jS1D_jS1E_S1E_jjS1G_bEUljE0_EEESZ_S10_S11_S18_S1C_S1E_T6_T7_T9_mT8_S1G_bDpT10_ENKUlT_T0_E_clISt17integral_constantIbLb0EES1U_EEDaS1P_S1Q_EUlS1P_E_NS1_11comp_targetILNS1_3genE0ELNS1_11target_archE4294967295ELNS1_3gpuE0ELNS1_3repE0EEENS1_30default_config_static_selectorELNS0_4arch9wavefront6targetE1EEEvS12_.uses_flat_scratch, 0
	.set _ZN7rocprim17ROCPRIM_400000_NS6detail17trampoline_kernelINS0_13select_configILj256ELj13ELNS0_17block_load_methodE3ELS4_3ELS4_3ELNS0_20block_scan_algorithmE0ELj4294967295EEENS1_25partition_config_selectorILNS1_17partition_subalgoE4EjNS0_10empty_typeEbEEZZNS1_14partition_implILS8_4ELb0ES6_15HIP_vector_typeIjLj2EENS0_17counting_iteratorIjlEEPS9_SG_NS0_5tupleIJPjSI_NS0_16reverse_iteratorISI_EEEEENSH_IJSG_SG_SG_EEES9_SI_JZNS1_25segmented_radix_sort_implINS0_14default_configELb0EPKaPaPKlPlN2at6native12_GLOBAL__N_18offset_tEEE10hipError_tPvRmT1_PNSt15iterator_traitsIS12_E10value_typeET2_T3_PNS13_IS18_E10value_typeET4_jRbjT5_S1E_jjP12ihipStream_tbEUljE_ZNSN_ISO_Lb0ESQ_SR_ST_SU_SY_EESZ_S10_S11_S12_S16_S17_S18_S1B_S1C_jS1D_jS1E_S1E_jjS1G_bEUljE0_EEESZ_S10_S11_S18_S1C_S1E_T6_T7_T9_mT8_S1G_bDpT10_ENKUlT_T0_E_clISt17integral_constantIbLb0EES1U_EEDaS1P_S1Q_EUlS1P_E_NS1_11comp_targetILNS1_3genE0ELNS1_11target_archE4294967295ELNS1_3gpuE0ELNS1_3repE0EEENS1_30default_config_static_selectorELNS0_4arch9wavefront6targetE1EEEvS12_.has_dyn_sized_stack, 0
	.set _ZN7rocprim17ROCPRIM_400000_NS6detail17trampoline_kernelINS0_13select_configILj256ELj13ELNS0_17block_load_methodE3ELS4_3ELS4_3ELNS0_20block_scan_algorithmE0ELj4294967295EEENS1_25partition_config_selectorILNS1_17partition_subalgoE4EjNS0_10empty_typeEbEEZZNS1_14partition_implILS8_4ELb0ES6_15HIP_vector_typeIjLj2EENS0_17counting_iteratorIjlEEPS9_SG_NS0_5tupleIJPjSI_NS0_16reverse_iteratorISI_EEEEENSH_IJSG_SG_SG_EEES9_SI_JZNS1_25segmented_radix_sort_implINS0_14default_configELb0EPKaPaPKlPlN2at6native12_GLOBAL__N_18offset_tEEE10hipError_tPvRmT1_PNSt15iterator_traitsIS12_E10value_typeET2_T3_PNS13_IS18_E10value_typeET4_jRbjT5_S1E_jjP12ihipStream_tbEUljE_ZNSN_ISO_Lb0ESQ_SR_ST_SU_SY_EESZ_S10_S11_S12_S16_S17_S18_S1B_S1C_jS1D_jS1E_S1E_jjS1G_bEUljE0_EEESZ_S10_S11_S18_S1C_S1E_T6_T7_T9_mT8_S1G_bDpT10_ENKUlT_T0_E_clISt17integral_constantIbLb0EES1U_EEDaS1P_S1Q_EUlS1P_E_NS1_11comp_targetILNS1_3genE0ELNS1_11target_archE4294967295ELNS1_3gpuE0ELNS1_3repE0EEENS1_30default_config_static_selectorELNS0_4arch9wavefront6targetE1EEEvS12_.has_recursion, 0
	.set _ZN7rocprim17ROCPRIM_400000_NS6detail17trampoline_kernelINS0_13select_configILj256ELj13ELNS0_17block_load_methodE3ELS4_3ELS4_3ELNS0_20block_scan_algorithmE0ELj4294967295EEENS1_25partition_config_selectorILNS1_17partition_subalgoE4EjNS0_10empty_typeEbEEZZNS1_14partition_implILS8_4ELb0ES6_15HIP_vector_typeIjLj2EENS0_17counting_iteratorIjlEEPS9_SG_NS0_5tupleIJPjSI_NS0_16reverse_iteratorISI_EEEEENSH_IJSG_SG_SG_EEES9_SI_JZNS1_25segmented_radix_sort_implINS0_14default_configELb0EPKaPaPKlPlN2at6native12_GLOBAL__N_18offset_tEEE10hipError_tPvRmT1_PNSt15iterator_traitsIS12_E10value_typeET2_T3_PNS13_IS18_E10value_typeET4_jRbjT5_S1E_jjP12ihipStream_tbEUljE_ZNSN_ISO_Lb0ESQ_SR_ST_SU_SY_EESZ_S10_S11_S12_S16_S17_S18_S1B_S1C_jS1D_jS1E_S1E_jjS1G_bEUljE0_EEESZ_S10_S11_S18_S1C_S1E_T6_T7_T9_mT8_S1G_bDpT10_ENKUlT_T0_E_clISt17integral_constantIbLb0EES1U_EEDaS1P_S1Q_EUlS1P_E_NS1_11comp_targetILNS1_3genE0ELNS1_11target_archE4294967295ELNS1_3gpuE0ELNS1_3repE0EEENS1_30default_config_static_selectorELNS0_4arch9wavefront6targetE1EEEvS12_.has_indirect_call, 0
	.section	.AMDGPU.csdata,"",@progbits
; Kernel info:
; codeLenInByte = 0
; TotalNumSgprs: 4
; NumVgprs: 0
; ScratchSize: 0
; MemoryBound: 0
; FloatMode: 240
; IeeeMode: 1
; LDSByteSize: 0 bytes/workgroup (compile time only)
; SGPRBlocks: 0
; VGPRBlocks: 0
; NumSGPRsForWavesPerEU: 4
; NumVGPRsForWavesPerEU: 1
; Occupancy: 10
; WaveLimiterHint : 0
; COMPUTE_PGM_RSRC2:SCRATCH_EN: 0
; COMPUTE_PGM_RSRC2:USER_SGPR: 6
; COMPUTE_PGM_RSRC2:TRAP_HANDLER: 0
; COMPUTE_PGM_RSRC2:TGID_X_EN: 1
; COMPUTE_PGM_RSRC2:TGID_Y_EN: 0
; COMPUTE_PGM_RSRC2:TGID_Z_EN: 0
; COMPUTE_PGM_RSRC2:TIDIG_COMP_CNT: 0
	.section	.text._ZN7rocprim17ROCPRIM_400000_NS6detail17trampoline_kernelINS0_13select_configILj256ELj13ELNS0_17block_load_methodE3ELS4_3ELS4_3ELNS0_20block_scan_algorithmE0ELj4294967295EEENS1_25partition_config_selectorILNS1_17partition_subalgoE4EjNS0_10empty_typeEbEEZZNS1_14partition_implILS8_4ELb0ES6_15HIP_vector_typeIjLj2EENS0_17counting_iteratorIjlEEPS9_SG_NS0_5tupleIJPjSI_NS0_16reverse_iteratorISI_EEEEENSH_IJSG_SG_SG_EEES9_SI_JZNS1_25segmented_radix_sort_implINS0_14default_configELb0EPKaPaPKlPlN2at6native12_GLOBAL__N_18offset_tEEE10hipError_tPvRmT1_PNSt15iterator_traitsIS12_E10value_typeET2_T3_PNS13_IS18_E10value_typeET4_jRbjT5_S1E_jjP12ihipStream_tbEUljE_ZNSN_ISO_Lb0ESQ_SR_ST_SU_SY_EESZ_S10_S11_S12_S16_S17_S18_S1B_S1C_jS1D_jS1E_S1E_jjS1G_bEUljE0_EEESZ_S10_S11_S18_S1C_S1E_T6_T7_T9_mT8_S1G_bDpT10_ENKUlT_T0_E_clISt17integral_constantIbLb0EES1U_EEDaS1P_S1Q_EUlS1P_E_NS1_11comp_targetILNS1_3genE5ELNS1_11target_archE942ELNS1_3gpuE9ELNS1_3repE0EEENS1_30default_config_static_selectorELNS0_4arch9wavefront6targetE1EEEvS12_,"axG",@progbits,_ZN7rocprim17ROCPRIM_400000_NS6detail17trampoline_kernelINS0_13select_configILj256ELj13ELNS0_17block_load_methodE3ELS4_3ELS4_3ELNS0_20block_scan_algorithmE0ELj4294967295EEENS1_25partition_config_selectorILNS1_17partition_subalgoE4EjNS0_10empty_typeEbEEZZNS1_14partition_implILS8_4ELb0ES6_15HIP_vector_typeIjLj2EENS0_17counting_iteratorIjlEEPS9_SG_NS0_5tupleIJPjSI_NS0_16reverse_iteratorISI_EEEEENSH_IJSG_SG_SG_EEES9_SI_JZNS1_25segmented_radix_sort_implINS0_14default_configELb0EPKaPaPKlPlN2at6native12_GLOBAL__N_18offset_tEEE10hipError_tPvRmT1_PNSt15iterator_traitsIS12_E10value_typeET2_T3_PNS13_IS18_E10value_typeET4_jRbjT5_S1E_jjP12ihipStream_tbEUljE_ZNSN_ISO_Lb0ESQ_SR_ST_SU_SY_EESZ_S10_S11_S12_S16_S17_S18_S1B_S1C_jS1D_jS1E_S1E_jjS1G_bEUljE0_EEESZ_S10_S11_S18_S1C_S1E_T6_T7_T9_mT8_S1G_bDpT10_ENKUlT_T0_E_clISt17integral_constantIbLb0EES1U_EEDaS1P_S1Q_EUlS1P_E_NS1_11comp_targetILNS1_3genE5ELNS1_11target_archE942ELNS1_3gpuE9ELNS1_3repE0EEENS1_30default_config_static_selectorELNS0_4arch9wavefront6targetE1EEEvS12_,comdat
	.globl	_ZN7rocprim17ROCPRIM_400000_NS6detail17trampoline_kernelINS0_13select_configILj256ELj13ELNS0_17block_load_methodE3ELS4_3ELS4_3ELNS0_20block_scan_algorithmE0ELj4294967295EEENS1_25partition_config_selectorILNS1_17partition_subalgoE4EjNS0_10empty_typeEbEEZZNS1_14partition_implILS8_4ELb0ES6_15HIP_vector_typeIjLj2EENS0_17counting_iteratorIjlEEPS9_SG_NS0_5tupleIJPjSI_NS0_16reverse_iteratorISI_EEEEENSH_IJSG_SG_SG_EEES9_SI_JZNS1_25segmented_radix_sort_implINS0_14default_configELb0EPKaPaPKlPlN2at6native12_GLOBAL__N_18offset_tEEE10hipError_tPvRmT1_PNSt15iterator_traitsIS12_E10value_typeET2_T3_PNS13_IS18_E10value_typeET4_jRbjT5_S1E_jjP12ihipStream_tbEUljE_ZNSN_ISO_Lb0ESQ_SR_ST_SU_SY_EESZ_S10_S11_S12_S16_S17_S18_S1B_S1C_jS1D_jS1E_S1E_jjS1G_bEUljE0_EEESZ_S10_S11_S18_S1C_S1E_T6_T7_T9_mT8_S1G_bDpT10_ENKUlT_T0_E_clISt17integral_constantIbLb0EES1U_EEDaS1P_S1Q_EUlS1P_E_NS1_11comp_targetILNS1_3genE5ELNS1_11target_archE942ELNS1_3gpuE9ELNS1_3repE0EEENS1_30default_config_static_selectorELNS0_4arch9wavefront6targetE1EEEvS12_ ; -- Begin function _ZN7rocprim17ROCPRIM_400000_NS6detail17trampoline_kernelINS0_13select_configILj256ELj13ELNS0_17block_load_methodE3ELS4_3ELS4_3ELNS0_20block_scan_algorithmE0ELj4294967295EEENS1_25partition_config_selectorILNS1_17partition_subalgoE4EjNS0_10empty_typeEbEEZZNS1_14partition_implILS8_4ELb0ES6_15HIP_vector_typeIjLj2EENS0_17counting_iteratorIjlEEPS9_SG_NS0_5tupleIJPjSI_NS0_16reverse_iteratorISI_EEEEENSH_IJSG_SG_SG_EEES9_SI_JZNS1_25segmented_radix_sort_implINS0_14default_configELb0EPKaPaPKlPlN2at6native12_GLOBAL__N_18offset_tEEE10hipError_tPvRmT1_PNSt15iterator_traitsIS12_E10value_typeET2_T3_PNS13_IS18_E10value_typeET4_jRbjT5_S1E_jjP12ihipStream_tbEUljE_ZNSN_ISO_Lb0ESQ_SR_ST_SU_SY_EESZ_S10_S11_S12_S16_S17_S18_S1B_S1C_jS1D_jS1E_S1E_jjS1G_bEUljE0_EEESZ_S10_S11_S18_S1C_S1E_T6_T7_T9_mT8_S1G_bDpT10_ENKUlT_T0_E_clISt17integral_constantIbLb0EES1U_EEDaS1P_S1Q_EUlS1P_E_NS1_11comp_targetILNS1_3genE5ELNS1_11target_archE942ELNS1_3gpuE9ELNS1_3repE0EEENS1_30default_config_static_selectorELNS0_4arch9wavefront6targetE1EEEvS12_
	.p2align	8
	.type	_ZN7rocprim17ROCPRIM_400000_NS6detail17trampoline_kernelINS0_13select_configILj256ELj13ELNS0_17block_load_methodE3ELS4_3ELS4_3ELNS0_20block_scan_algorithmE0ELj4294967295EEENS1_25partition_config_selectorILNS1_17partition_subalgoE4EjNS0_10empty_typeEbEEZZNS1_14partition_implILS8_4ELb0ES6_15HIP_vector_typeIjLj2EENS0_17counting_iteratorIjlEEPS9_SG_NS0_5tupleIJPjSI_NS0_16reverse_iteratorISI_EEEEENSH_IJSG_SG_SG_EEES9_SI_JZNS1_25segmented_radix_sort_implINS0_14default_configELb0EPKaPaPKlPlN2at6native12_GLOBAL__N_18offset_tEEE10hipError_tPvRmT1_PNSt15iterator_traitsIS12_E10value_typeET2_T3_PNS13_IS18_E10value_typeET4_jRbjT5_S1E_jjP12ihipStream_tbEUljE_ZNSN_ISO_Lb0ESQ_SR_ST_SU_SY_EESZ_S10_S11_S12_S16_S17_S18_S1B_S1C_jS1D_jS1E_S1E_jjS1G_bEUljE0_EEESZ_S10_S11_S18_S1C_S1E_T6_T7_T9_mT8_S1G_bDpT10_ENKUlT_T0_E_clISt17integral_constantIbLb0EES1U_EEDaS1P_S1Q_EUlS1P_E_NS1_11comp_targetILNS1_3genE5ELNS1_11target_archE942ELNS1_3gpuE9ELNS1_3repE0EEENS1_30default_config_static_selectorELNS0_4arch9wavefront6targetE1EEEvS12_,@function
_ZN7rocprim17ROCPRIM_400000_NS6detail17trampoline_kernelINS0_13select_configILj256ELj13ELNS0_17block_load_methodE3ELS4_3ELS4_3ELNS0_20block_scan_algorithmE0ELj4294967295EEENS1_25partition_config_selectorILNS1_17partition_subalgoE4EjNS0_10empty_typeEbEEZZNS1_14partition_implILS8_4ELb0ES6_15HIP_vector_typeIjLj2EENS0_17counting_iteratorIjlEEPS9_SG_NS0_5tupleIJPjSI_NS0_16reverse_iteratorISI_EEEEENSH_IJSG_SG_SG_EEES9_SI_JZNS1_25segmented_radix_sort_implINS0_14default_configELb0EPKaPaPKlPlN2at6native12_GLOBAL__N_18offset_tEEE10hipError_tPvRmT1_PNSt15iterator_traitsIS12_E10value_typeET2_T3_PNS13_IS18_E10value_typeET4_jRbjT5_S1E_jjP12ihipStream_tbEUljE_ZNSN_ISO_Lb0ESQ_SR_ST_SU_SY_EESZ_S10_S11_S12_S16_S17_S18_S1B_S1C_jS1D_jS1E_S1E_jjS1G_bEUljE0_EEESZ_S10_S11_S18_S1C_S1E_T6_T7_T9_mT8_S1G_bDpT10_ENKUlT_T0_E_clISt17integral_constantIbLb0EES1U_EEDaS1P_S1Q_EUlS1P_E_NS1_11comp_targetILNS1_3genE5ELNS1_11target_archE942ELNS1_3gpuE9ELNS1_3repE0EEENS1_30default_config_static_selectorELNS0_4arch9wavefront6targetE1EEEvS12_: ; @_ZN7rocprim17ROCPRIM_400000_NS6detail17trampoline_kernelINS0_13select_configILj256ELj13ELNS0_17block_load_methodE3ELS4_3ELS4_3ELNS0_20block_scan_algorithmE0ELj4294967295EEENS1_25partition_config_selectorILNS1_17partition_subalgoE4EjNS0_10empty_typeEbEEZZNS1_14partition_implILS8_4ELb0ES6_15HIP_vector_typeIjLj2EENS0_17counting_iteratorIjlEEPS9_SG_NS0_5tupleIJPjSI_NS0_16reverse_iteratorISI_EEEEENSH_IJSG_SG_SG_EEES9_SI_JZNS1_25segmented_radix_sort_implINS0_14default_configELb0EPKaPaPKlPlN2at6native12_GLOBAL__N_18offset_tEEE10hipError_tPvRmT1_PNSt15iterator_traitsIS12_E10value_typeET2_T3_PNS13_IS18_E10value_typeET4_jRbjT5_S1E_jjP12ihipStream_tbEUljE_ZNSN_ISO_Lb0ESQ_SR_ST_SU_SY_EESZ_S10_S11_S12_S16_S17_S18_S1B_S1C_jS1D_jS1E_S1E_jjS1G_bEUljE0_EEESZ_S10_S11_S18_S1C_S1E_T6_T7_T9_mT8_S1G_bDpT10_ENKUlT_T0_E_clISt17integral_constantIbLb0EES1U_EEDaS1P_S1Q_EUlS1P_E_NS1_11comp_targetILNS1_3genE5ELNS1_11target_archE942ELNS1_3gpuE9ELNS1_3repE0EEENS1_30default_config_static_selectorELNS0_4arch9wavefront6targetE1EEEvS12_
; %bb.0:
	.section	.rodata,"a",@progbits
	.p2align	6, 0x0
	.amdhsa_kernel _ZN7rocprim17ROCPRIM_400000_NS6detail17trampoline_kernelINS0_13select_configILj256ELj13ELNS0_17block_load_methodE3ELS4_3ELS4_3ELNS0_20block_scan_algorithmE0ELj4294967295EEENS1_25partition_config_selectorILNS1_17partition_subalgoE4EjNS0_10empty_typeEbEEZZNS1_14partition_implILS8_4ELb0ES6_15HIP_vector_typeIjLj2EENS0_17counting_iteratorIjlEEPS9_SG_NS0_5tupleIJPjSI_NS0_16reverse_iteratorISI_EEEEENSH_IJSG_SG_SG_EEES9_SI_JZNS1_25segmented_radix_sort_implINS0_14default_configELb0EPKaPaPKlPlN2at6native12_GLOBAL__N_18offset_tEEE10hipError_tPvRmT1_PNSt15iterator_traitsIS12_E10value_typeET2_T3_PNS13_IS18_E10value_typeET4_jRbjT5_S1E_jjP12ihipStream_tbEUljE_ZNSN_ISO_Lb0ESQ_SR_ST_SU_SY_EESZ_S10_S11_S12_S16_S17_S18_S1B_S1C_jS1D_jS1E_S1E_jjS1G_bEUljE0_EEESZ_S10_S11_S18_S1C_S1E_T6_T7_T9_mT8_S1G_bDpT10_ENKUlT_T0_E_clISt17integral_constantIbLb0EES1U_EEDaS1P_S1Q_EUlS1P_E_NS1_11comp_targetILNS1_3genE5ELNS1_11target_archE942ELNS1_3gpuE9ELNS1_3repE0EEENS1_30default_config_static_selectorELNS0_4arch9wavefront6targetE1EEEvS12_
		.amdhsa_group_segment_fixed_size 0
		.amdhsa_private_segment_fixed_size 0
		.amdhsa_kernarg_size 176
		.amdhsa_user_sgpr_count 6
		.amdhsa_user_sgpr_private_segment_buffer 1
		.amdhsa_user_sgpr_dispatch_ptr 0
		.amdhsa_user_sgpr_queue_ptr 0
		.amdhsa_user_sgpr_kernarg_segment_ptr 1
		.amdhsa_user_sgpr_dispatch_id 0
		.amdhsa_user_sgpr_flat_scratch_init 0
		.amdhsa_user_sgpr_private_segment_size 0
		.amdhsa_uses_dynamic_stack 0
		.amdhsa_system_sgpr_private_segment_wavefront_offset 0
		.amdhsa_system_sgpr_workgroup_id_x 1
		.amdhsa_system_sgpr_workgroup_id_y 0
		.amdhsa_system_sgpr_workgroup_id_z 0
		.amdhsa_system_sgpr_workgroup_info 0
		.amdhsa_system_vgpr_workitem_id 0
		.amdhsa_next_free_vgpr 1
		.amdhsa_next_free_sgpr 0
		.amdhsa_reserve_vcc 0
		.amdhsa_reserve_flat_scratch 0
		.amdhsa_float_round_mode_32 0
		.amdhsa_float_round_mode_16_64 0
		.amdhsa_float_denorm_mode_32 3
		.amdhsa_float_denorm_mode_16_64 3
		.amdhsa_dx10_clamp 1
		.amdhsa_ieee_mode 1
		.amdhsa_fp16_overflow 0
		.amdhsa_exception_fp_ieee_invalid_op 0
		.amdhsa_exception_fp_denorm_src 0
		.amdhsa_exception_fp_ieee_div_zero 0
		.amdhsa_exception_fp_ieee_overflow 0
		.amdhsa_exception_fp_ieee_underflow 0
		.amdhsa_exception_fp_ieee_inexact 0
		.amdhsa_exception_int_div_zero 0
	.end_amdhsa_kernel
	.section	.text._ZN7rocprim17ROCPRIM_400000_NS6detail17trampoline_kernelINS0_13select_configILj256ELj13ELNS0_17block_load_methodE3ELS4_3ELS4_3ELNS0_20block_scan_algorithmE0ELj4294967295EEENS1_25partition_config_selectorILNS1_17partition_subalgoE4EjNS0_10empty_typeEbEEZZNS1_14partition_implILS8_4ELb0ES6_15HIP_vector_typeIjLj2EENS0_17counting_iteratorIjlEEPS9_SG_NS0_5tupleIJPjSI_NS0_16reverse_iteratorISI_EEEEENSH_IJSG_SG_SG_EEES9_SI_JZNS1_25segmented_radix_sort_implINS0_14default_configELb0EPKaPaPKlPlN2at6native12_GLOBAL__N_18offset_tEEE10hipError_tPvRmT1_PNSt15iterator_traitsIS12_E10value_typeET2_T3_PNS13_IS18_E10value_typeET4_jRbjT5_S1E_jjP12ihipStream_tbEUljE_ZNSN_ISO_Lb0ESQ_SR_ST_SU_SY_EESZ_S10_S11_S12_S16_S17_S18_S1B_S1C_jS1D_jS1E_S1E_jjS1G_bEUljE0_EEESZ_S10_S11_S18_S1C_S1E_T6_T7_T9_mT8_S1G_bDpT10_ENKUlT_T0_E_clISt17integral_constantIbLb0EES1U_EEDaS1P_S1Q_EUlS1P_E_NS1_11comp_targetILNS1_3genE5ELNS1_11target_archE942ELNS1_3gpuE9ELNS1_3repE0EEENS1_30default_config_static_selectorELNS0_4arch9wavefront6targetE1EEEvS12_,"axG",@progbits,_ZN7rocprim17ROCPRIM_400000_NS6detail17trampoline_kernelINS0_13select_configILj256ELj13ELNS0_17block_load_methodE3ELS4_3ELS4_3ELNS0_20block_scan_algorithmE0ELj4294967295EEENS1_25partition_config_selectorILNS1_17partition_subalgoE4EjNS0_10empty_typeEbEEZZNS1_14partition_implILS8_4ELb0ES6_15HIP_vector_typeIjLj2EENS0_17counting_iteratorIjlEEPS9_SG_NS0_5tupleIJPjSI_NS0_16reverse_iteratorISI_EEEEENSH_IJSG_SG_SG_EEES9_SI_JZNS1_25segmented_radix_sort_implINS0_14default_configELb0EPKaPaPKlPlN2at6native12_GLOBAL__N_18offset_tEEE10hipError_tPvRmT1_PNSt15iterator_traitsIS12_E10value_typeET2_T3_PNS13_IS18_E10value_typeET4_jRbjT5_S1E_jjP12ihipStream_tbEUljE_ZNSN_ISO_Lb0ESQ_SR_ST_SU_SY_EESZ_S10_S11_S12_S16_S17_S18_S1B_S1C_jS1D_jS1E_S1E_jjS1G_bEUljE0_EEESZ_S10_S11_S18_S1C_S1E_T6_T7_T9_mT8_S1G_bDpT10_ENKUlT_T0_E_clISt17integral_constantIbLb0EES1U_EEDaS1P_S1Q_EUlS1P_E_NS1_11comp_targetILNS1_3genE5ELNS1_11target_archE942ELNS1_3gpuE9ELNS1_3repE0EEENS1_30default_config_static_selectorELNS0_4arch9wavefront6targetE1EEEvS12_,comdat
.Lfunc_end330:
	.size	_ZN7rocprim17ROCPRIM_400000_NS6detail17trampoline_kernelINS0_13select_configILj256ELj13ELNS0_17block_load_methodE3ELS4_3ELS4_3ELNS0_20block_scan_algorithmE0ELj4294967295EEENS1_25partition_config_selectorILNS1_17partition_subalgoE4EjNS0_10empty_typeEbEEZZNS1_14partition_implILS8_4ELb0ES6_15HIP_vector_typeIjLj2EENS0_17counting_iteratorIjlEEPS9_SG_NS0_5tupleIJPjSI_NS0_16reverse_iteratorISI_EEEEENSH_IJSG_SG_SG_EEES9_SI_JZNS1_25segmented_radix_sort_implINS0_14default_configELb0EPKaPaPKlPlN2at6native12_GLOBAL__N_18offset_tEEE10hipError_tPvRmT1_PNSt15iterator_traitsIS12_E10value_typeET2_T3_PNS13_IS18_E10value_typeET4_jRbjT5_S1E_jjP12ihipStream_tbEUljE_ZNSN_ISO_Lb0ESQ_SR_ST_SU_SY_EESZ_S10_S11_S12_S16_S17_S18_S1B_S1C_jS1D_jS1E_S1E_jjS1G_bEUljE0_EEESZ_S10_S11_S18_S1C_S1E_T6_T7_T9_mT8_S1G_bDpT10_ENKUlT_T0_E_clISt17integral_constantIbLb0EES1U_EEDaS1P_S1Q_EUlS1P_E_NS1_11comp_targetILNS1_3genE5ELNS1_11target_archE942ELNS1_3gpuE9ELNS1_3repE0EEENS1_30default_config_static_selectorELNS0_4arch9wavefront6targetE1EEEvS12_, .Lfunc_end330-_ZN7rocprim17ROCPRIM_400000_NS6detail17trampoline_kernelINS0_13select_configILj256ELj13ELNS0_17block_load_methodE3ELS4_3ELS4_3ELNS0_20block_scan_algorithmE0ELj4294967295EEENS1_25partition_config_selectorILNS1_17partition_subalgoE4EjNS0_10empty_typeEbEEZZNS1_14partition_implILS8_4ELb0ES6_15HIP_vector_typeIjLj2EENS0_17counting_iteratorIjlEEPS9_SG_NS0_5tupleIJPjSI_NS0_16reverse_iteratorISI_EEEEENSH_IJSG_SG_SG_EEES9_SI_JZNS1_25segmented_radix_sort_implINS0_14default_configELb0EPKaPaPKlPlN2at6native12_GLOBAL__N_18offset_tEEE10hipError_tPvRmT1_PNSt15iterator_traitsIS12_E10value_typeET2_T3_PNS13_IS18_E10value_typeET4_jRbjT5_S1E_jjP12ihipStream_tbEUljE_ZNSN_ISO_Lb0ESQ_SR_ST_SU_SY_EESZ_S10_S11_S12_S16_S17_S18_S1B_S1C_jS1D_jS1E_S1E_jjS1G_bEUljE0_EEESZ_S10_S11_S18_S1C_S1E_T6_T7_T9_mT8_S1G_bDpT10_ENKUlT_T0_E_clISt17integral_constantIbLb0EES1U_EEDaS1P_S1Q_EUlS1P_E_NS1_11comp_targetILNS1_3genE5ELNS1_11target_archE942ELNS1_3gpuE9ELNS1_3repE0EEENS1_30default_config_static_selectorELNS0_4arch9wavefront6targetE1EEEvS12_
                                        ; -- End function
	.set _ZN7rocprim17ROCPRIM_400000_NS6detail17trampoline_kernelINS0_13select_configILj256ELj13ELNS0_17block_load_methodE3ELS4_3ELS4_3ELNS0_20block_scan_algorithmE0ELj4294967295EEENS1_25partition_config_selectorILNS1_17partition_subalgoE4EjNS0_10empty_typeEbEEZZNS1_14partition_implILS8_4ELb0ES6_15HIP_vector_typeIjLj2EENS0_17counting_iteratorIjlEEPS9_SG_NS0_5tupleIJPjSI_NS0_16reverse_iteratorISI_EEEEENSH_IJSG_SG_SG_EEES9_SI_JZNS1_25segmented_radix_sort_implINS0_14default_configELb0EPKaPaPKlPlN2at6native12_GLOBAL__N_18offset_tEEE10hipError_tPvRmT1_PNSt15iterator_traitsIS12_E10value_typeET2_T3_PNS13_IS18_E10value_typeET4_jRbjT5_S1E_jjP12ihipStream_tbEUljE_ZNSN_ISO_Lb0ESQ_SR_ST_SU_SY_EESZ_S10_S11_S12_S16_S17_S18_S1B_S1C_jS1D_jS1E_S1E_jjS1G_bEUljE0_EEESZ_S10_S11_S18_S1C_S1E_T6_T7_T9_mT8_S1G_bDpT10_ENKUlT_T0_E_clISt17integral_constantIbLb0EES1U_EEDaS1P_S1Q_EUlS1P_E_NS1_11comp_targetILNS1_3genE5ELNS1_11target_archE942ELNS1_3gpuE9ELNS1_3repE0EEENS1_30default_config_static_selectorELNS0_4arch9wavefront6targetE1EEEvS12_.num_vgpr, 0
	.set _ZN7rocprim17ROCPRIM_400000_NS6detail17trampoline_kernelINS0_13select_configILj256ELj13ELNS0_17block_load_methodE3ELS4_3ELS4_3ELNS0_20block_scan_algorithmE0ELj4294967295EEENS1_25partition_config_selectorILNS1_17partition_subalgoE4EjNS0_10empty_typeEbEEZZNS1_14partition_implILS8_4ELb0ES6_15HIP_vector_typeIjLj2EENS0_17counting_iteratorIjlEEPS9_SG_NS0_5tupleIJPjSI_NS0_16reverse_iteratorISI_EEEEENSH_IJSG_SG_SG_EEES9_SI_JZNS1_25segmented_radix_sort_implINS0_14default_configELb0EPKaPaPKlPlN2at6native12_GLOBAL__N_18offset_tEEE10hipError_tPvRmT1_PNSt15iterator_traitsIS12_E10value_typeET2_T3_PNS13_IS18_E10value_typeET4_jRbjT5_S1E_jjP12ihipStream_tbEUljE_ZNSN_ISO_Lb0ESQ_SR_ST_SU_SY_EESZ_S10_S11_S12_S16_S17_S18_S1B_S1C_jS1D_jS1E_S1E_jjS1G_bEUljE0_EEESZ_S10_S11_S18_S1C_S1E_T6_T7_T9_mT8_S1G_bDpT10_ENKUlT_T0_E_clISt17integral_constantIbLb0EES1U_EEDaS1P_S1Q_EUlS1P_E_NS1_11comp_targetILNS1_3genE5ELNS1_11target_archE942ELNS1_3gpuE9ELNS1_3repE0EEENS1_30default_config_static_selectorELNS0_4arch9wavefront6targetE1EEEvS12_.num_agpr, 0
	.set _ZN7rocprim17ROCPRIM_400000_NS6detail17trampoline_kernelINS0_13select_configILj256ELj13ELNS0_17block_load_methodE3ELS4_3ELS4_3ELNS0_20block_scan_algorithmE0ELj4294967295EEENS1_25partition_config_selectorILNS1_17partition_subalgoE4EjNS0_10empty_typeEbEEZZNS1_14partition_implILS8_4ELb0ES6_15HIP_vector_typeIjLj2EENS0_17counting_iteratorIjlEEPS9_SG_NS0_5tupleIJPjSI_NS0_16reverse_iteratorISI_EEEEENSH_IJSG_SG_SG_EEES9_SI_JZNS1_25segmented_radix_sort_implINS0_14default_configELb0EPKaPaPKlPlN2at6native12_GLOBAL__N_18offset_tEEE10hipError_tPvRmT1_PNSt15iterator_traitsIS12_E10value_typeET2_T3_PNS13_IS18_E10value_typeET4_jRbjT5_S1E_jjP12ihipStream_tbEUljE_ZNSN_ISO_Lb0ESQ_SR_ST_SU_SY_EESZ_S10_S11_S12_S16_S17_S18_S1B_S1C_jS1D_jS1E_S1E_jjS1G_bEUljE0_EEESZ_S10_S11_S18_S1C_S1E_T6_T7_T9_mT8_S1G_bDpT10_ENKUlT_T0_E_clISt17integral_constantIbLb0EES1U_EEDaS1P_S1Q_EUlS1P_E_NS1_11comp_targetILNS1_3genE5ELNS1_11target_archE942ELNS1_3gpuE9ELNS1_3repE0EEENS1_30default_config_static_selectorELNS0_4arch9wavefront6targetE1EEEvS12_.numbered_sgpr, 0
	.set _ZN7rocprim17ROCPRIM_400000_NS6detail17trampoline_kernelINS0_13select_configILj256ELj13ELNS0_17block_load_methodE3ELS4_3ELS4_3ELNS0_20block_scan_algorithmE0ELj4294967295EEENS1_25partition_config_selectorILNS1_17partition_subalgoE4EjNS0_10empty_typeEbEEZZNS1_14partition_implILS8_4ELb0ES6_15HIP_vector_typeIjLj2EENS0_17counting_iteratorIjlEEPS9_SG_NS0_5tupleIJPjSI_NS0_16reverse_iteratorISI_EEEEENSH_IJSG_SG_SG_EEES9_SI_JZNS1_25segmented_radix_sort_implINS0_14default_configELb0EPKaPaPKlPlN2at6native12_GLOBAL__N_18offset_tEEE10hipError_tPvRmT1_PNSt15iterator_traitsIS12_E10value_typeET2_T3_PNS13_IS18_E10value_typeET4_jRbjT5_S1E_jjP12ihipStream_tbEUljE_ZNSN_ISO_Lb0ESQ_SR_ST_SU_SY_EESZ_S10_S11_S12_S16_S17_S18_S1B_S1C_jS1D_jS1E_S1E_jjS1G_bEUljE0_EEESZ_S10_S11_S18_S1C_S1E_T6_T7_T9_mT8_S1G_bDpT10_ENKUlT_T0_E_clISt17integral_constantIbLb0EES1U_EEDaS1P_S1Q_EUlS1P_E_NS1_11comp_targetILNS1_3genE5ELNS1_11target_archE942ELNS1_3gpuE9ELNS1_3repE0EEENS1_30default_config_static_selectorELNS0_4arch9wavefront6targetE1EEEvS12_.num_named_barrier, 0
	.set _ZN7rocprim17ROCPRIM_400000_NS6detail17trampoline_kernelINS0_13select_configILj256ELj13ELNS0_17block_load_methodE3ELS4_3ELS4_3ELNS0_20block_scan_algorithmE0ELj4294967295EEENS1_25partition_config_selectorILNS1_17partition_subalgoE4EjNS0_10empty_typeEbEEZZNS1_14partition_implILS8_4ELb0ES6_15HIP_vector_typeIjLj2EENS0_17counting_iteratorIjlEEPS9_SG_NS0_5tupleIJPjSI_NS0_16reverse_iteratorISI_EEEEENSH_IJSG_SG_SG_EEES9_SI_JZNS1_25segmented_radix_sort_implINS0_14default_configELb0EPKaPaPKlPlN2at6native12_GLOBAL__N_18offset_tEEE10hipError_tPvRmT1_PNSt15iterator_traitsIS12_E10value_typeET2_T3_PNS13_IS18_E10value_typeET4_jRbjT5_S1E_jjP12ihipStream_tbEUljE_ZNSN_ISO_Lb0ESQ_SR_ST_SU_SY_EESZ_S10_S11_S12_S16_S17_S18_S1B_S1C_jS1D_jS1E_S1E_jjS1G_bEUljE0_EEESZ_S10_S11_S18_S1C_S1E_T6_T7_T9_mT8_S1G_bDpT10_ENKUlT_T0_E_clISt17integral_constantIbLb0EES1U_EEDaS1P_S1Q_EUlS1P_E_NS1_11comp_targetILNS1_3genE5ELNS1_11target_archE942ELNS1_3gpuE9ELNS1_3repE0EEENS1_30default_config_static_selectorELNS0_4arch9wavefront6targetE1EEEvS12_.private_seg_size, 0
	.set _ZN7rocprim17ROCPRIM_400000_NS6detail17trampoline_kernelINS0_13select_configILj256ELj13ELNS0_17block_load_methodE3ELS4_3ELS4_3ELNS0_20block_scan_algorithmE0ELj4294967295EEENS1_25partition_config_selectorILNS1_17partition_subalgoE4EjNS0_10empty_typeEbEEZZNS1_14partition_implILS8_4ELb0ES6_15HIP_vector_typeIjLj2EENS0_17counting_iteratorIjlEEPS9_SG_NS0_5tupleIJPjSI_NS0_16reverse_iteratorISI_EEEEENSH_IJSG_SG_SG_EEES9_SI_JZNS1_25segmented_radix_sort_implINS0_14default_configELb0EPKaPaPKlPlN2at6native12_GLOBAL__N_18offset_tEEE10hipError_tPvRmT1_PNSt15iterator_traitsIS12_E10value_typeET2_T3_PNS13_IS18_E10value_typeET4_jRbjT5_S1E_jjP12ihipStream_tbEUljE_ZNSN_ISO_Lb0ESQ_SR_ST_SU_SY_EESZ_S10_S11_S12_S16_S17_S18_S1B_S1C_jS1D_jS1E_S1E_jjS1G_bEUljE0_EEESZ_S10_S11_S18_S1C_S1E_T6_T7_T9_mT8_S1G_bDpT10_ENKUlT_T0_E_clISt17integral_constantIbLb0EES1U_EEDaS1P_S1Q_EUlS1P_E_NS1_11comp_targetILNS1_3genE5ELNS1_11target_archE942ELNS1_3gpuE9ELNS1_3repE0EEENS1_30default_config_static_selectorELNS0_4arch9wavefront6targetE1EEEvS12_.uses_vcc, 0
	.set _ZN7rocprim17ROCPRIM_400000_NS6detail17trampoline_kernelINS0_13select_configILj256ELj13ELNS0_17block_load_methodE3ELS4_3ELS4_3ELNS0_20block_scan_algorithmE0ELj4294967295EEENS1_25partition_config_selectorILNS1_17partition_subalgoE4EjNS0_10empty_typeEbEEZZNS1_14partition_implILS8_4ELb0ES6_15HIP_vector_typeIjLj2EENS0_17counting_iteratorIjlEEPS9_SG_NS0_5tupleIJPjSI_NS0_16reverse_iteratorISI_EEEEENSH_IJSG_SG_SG_EEES9_SI_JZNS1_25segmented_radix_sort_implINS0_14default_configELb0EPKaPaPKlPlN2at6native12_GLOBAL__N_18offset_tEEE10hipError_tPvRmT1_PNSt15iterator_traitsIS12_E10value_typeET2_T3_PNS13_IS18_E10value_typeET4_jRbjT5_S1E_jjP12ihipStream_tbEUljE_ZNSN_ISO_Lb0ESQ_SR_ST_SU_SY_EESZ_S10_S11_S12_S16_S17_S18_S1B_S1C_jS1D_jS1E_S1E_jjS1G_bEUljE0_EEESZ_S10_S11_S18_S1C_S1E_T6_T7_T9_mT8_S1G_bDpT10_ENKUlT_T0_E_clISt17integral_constantIbLb0EES1U_EEDaS1P_S1Q_EUlS1P_E_NS1_11comp_targetILNS1_3genE5ELNS1_11target_archE942ELNS1_3gpuE9ELNS1_3repE0EEENS1_30default_config_static_selectorELNS0_4arch9wavefront6targetE1EEEvS12_.uses_flat_scratch, 0
	.set _ZN7rocprim17ROCPRIM_400000_NS6detail17trampoline_kernelINS0_13select_configILj256ELj13ELNS0_17block_load_methodE3ELS4_3ELS4_3ELNS0_20block_scan_algorithmE0ELj4294967295EEENS1_25partition_config_selectorILNS1_17partition_subalgoE4EjNS0_10empty_typeEbEEZZNS1_14partition_implILS8_4ELb0ES6_15HIP_vector_typeIjLj2EENS0_17counting_iteratorIjlEEPS9_SG_NS0_5tupleIJPjSI_NS0_16reverse_iteratorISI_EEEEENSH_IJSG_SG_SG_EEES9_SI_JZNS1_25segmented_radix_sort_implINS0_14default_configELb0EPKaPaPKlPlN2at6native12_GLOBAL__N_18offset_tEEE10hipError_tPvRmT1_PNSt15iterator_traitsIS12_E10value_typeET2_T3_PNS13_IS18_E10value_typeET4_jRbjT5_S1E_jjP12ihipStream_tbEUljE_ZNSN_ISO_Lb0ESQ_SR_ST_SU_SY_EESZ_S10_S11_S12_S16_S17_S18_S1B_S1C_jS1D_jS1E_S1E_jjS1G_bEUljE0_EEESZ_S10_S11_S18_S1C_S1E_T6_T7_T9_mT8_S1G_bDpT10_ENKUlT_T0_E_clISt17integral_constantIbLb0EES1U_EEDaS1P_S1Q_EUlS1P_E_NS1_11comp_targetILNS1_3genE5ELNS1_11target_archE942ELNS1_3gpuE9ELNS1_3repE0EEENS1_30default_config_static_selectorELNS0_4arch9wavefront6targetE1EEEvS12_.has_dyn_sized_stack, 0
	.set _ZN7rocprim17ROCPRIM_400000_NS6detail17trampoline_kernelINS0_13select_configILj256ELj13ELNS0_17block_load_methodE3ELS4_3ELS4_3ELNS0_20block_scan_algorithmE0ELj4294967295EEENS1_25partition_config_selectorILNS1_17partition_subalgoE4EjNS0_10empty_typeEbEEZZNS1_14partition_implILS8_4ELb0ES6_15HIP_vector_typeIjLj2EENS0_17counting_iteratorIjlEEPS9_SG_NS0_5tupleIJPjSI_NS0_16reverse_iteratorISI_EEEEENSH_IJSG_SG_SG_EEES9_SI_JZNS1_25segmented_radix_sort_implINS0_14default_configELb0EPKaPaPKlPlN2at6native12_GLOBAL__N_18offset_tEEE10hipError_tPvRmT1_PNSt15iterator_traitsIS12_E10value_typeET2_T3_PNS13_IS18_E10value_typeET4_jRbjT5_S1E_jjP12ihipStream_tbEUljE_ZNSN_ISO_Lb0ESQ_SR_ST_SU_SY_EESZ_S10_S11_S12_S16_S17_S18_S1B_S1C_jS1D_jS1E_S1E_jjS1G_bEUljE0_EEESZ_S10_S11_S18_S1C_S1E_T6_T7_T9_mT8_S1G_bDpT10_ENKUlT_T0_E_clISt17integral_constantIbLb0EES1U_EEDaS1P_S1Q_EUlS1P_E_NS1_11comp_targetILNS1_3genE5ELNS1_11target_archE942ELNS1_3gpuE9ELNS1_3repE0EEENS1_30default_config_static_selectorELNS0_4arch9wavefront6targetE1EEEvS12_.has_recursion, 0
	.set _ZN7rocprim17ROCPRIM_400000_NS6detail17trampoline_kernelINS0_13select_configILj256ELj13ELNS0_17block_load_methodE3ELS4_3ELS4_3ELNS0_20block_scan_algorithmE0ELj4294967295EEENS1_25partition_config_selectorILNS1_17partition_subalgoE4EjNS0_10empty_typeEbEEZZNS1_14partition_implILS8_4ELb0ES6_15HIP_vector_typeIjLj2EENS0_17counting_iteratorIjlEEPS9_SG_NS0_5tupleIJPjSI_NS0_16reverse_iteratorISI_EEEEENSH_IJSG_SG_SG_EEES9_SI_JZNS1_25segmented_radix_sort_implINS0_14default_configELb0EPKaPaPKlPlN2at6native12_GLOBAL__N_18offset_tEEE10hipError_tPvRmT1_PNSt15iterator_traitsIS12_E10value_typeET2_T3_PNS13_IS18_E10value_typeET4_jRbjT5_S1E_jjP12ihipStream_tbEUljE_ZNSN_ISO_Lb0ESQ_SR_ST_SU_SY_EESZ_S10_S11_S12_S16_S17_S18_S1B_S1C_jS1D_jS1E_S1E_jjS1G_bEUljE0_EEESZ_S10_S11_S18_S1C_S1E_T6_T7_T9_mT8_S1G_bDpT10_ENKUlT_T0_E_clISt17integral_constantIbLb0EES1U_EEDaS1P_S1Q_EUlS1P_E_NS1_11comp_targetILNS1_3genE5ELNS1_11target_archE942ELNS1_3gpuE9ELNS1_3repE0EEENS1_30default_config_static_selectorELNS0_4arch9wavefront6targetE1EEEvS12_.has_indirect_call, 0
	.section	.AMDGPU.csdata,"",@progbits
; Kernel info:
; codeLenInByte = 0
; TotalNumSgprs: 4
; NumVgprs: 0
; ScratchSize: 0
; MemoryBound: 0
; FloatMode: 240
; IeeeMode: 1
; LDSByteSize: 0 bytes/workgroup (compile time only)
; SGPRBlocks: 0
; VGPRBlocks: 0
; NumSGPRsForWavesPerEU: 4
; NumVGPRsForWavesPerEU: 1
; Occupancy: 10
; WaveLimiterHint : 0
; COMPUTE_PGM_RSRC2:SCRATCH_EN: 0
; COMPUTE_PGM_RSRC2:USER_SGPR: 6
; COMPUTE_PGM_RSRC2:TRAP_HANDLER: 0
; COMPUTE_PGM_RSRC2:TGID_X_EN: 1
; COMPUTE_PGM_RSRC2:TGID_Y_EN: 0
; COMPUTE_PGM_RSRC2:TGID_Z_EN: 0
; COMPUTE_PGM_RSRC2:TIDIG_COMP_CNT: 0
	.section	.text._ZN7rocprim17ROCPRIM_400000_NS6detail17trampoline_kernelINS0_13select_configILj256ELj13ELNS0_17block_load_methodE3ELS4_3ELS4_3ELNS0_20block_scan_algorithmE0ELj4294967295EEENS1_25partition_config_selectorILNS1_17partition_subalgoE4EjNS0_10empty_typeEbEEZZNS1_14partition_implILS8_4ELb0ES6_15HIP_vector_typeIjLj2EENS0_17counting_iteratorIjlEEPS9_SG_NS0_5tupleIJPjSI_NS0_16reverse_iteratorISI_EEEEENSH_IJSG_SG_SG_EEES9_SI_JZNS1_25segmented_radix_sort_implINS0_14default_configELb0EPKaPaPKlPlN2at6native12_GLOBAL__N_18offset_tEEE10hipError_tPvRmT1_PNSt15iterator_traitsIS12_E10value_typeET2_T3_PNS13_IS18_E10value_typeET4_jRbjT5_S1E_jjP12ihipStream_tbEUljE_ZNSN_ISO_Lb0ESQ_SR_ST_SU_SY_EESZ_S10_S11_S12_S16_S17_S18_S1B_S1C_jS1D_jS1E_S1E_jjS1G_bEUljE0_EEESZ_S10_S11_S18_S1C_S1E_T6_T7_T9_mT8_S1G_bDpT10_ENKUlT_T0_E_clISt17integral_constantIbLb0EES1U_EEDaS1P_S1Q_EUlS1P_E_NS1_11comp_targetILNS1_3genE4ELNS1_11target_archE910ELNS1_3gpuE8ELNS1_3repE0EEENS1_30default_config_static_selectorELNS0_4arch9wavefront6targetE1EEEvS12_,"axG",@progbits,_ZN7rocprim17ROCPRIM_400000_NS6detail17trampoline_kernelINS0_13select_configILj256ELj13ELNS0_17block_load_methodE3ELS4_3ELS4_3ELNS0_20block_scan_algorithmE0ELj4294967295EEENS1_25partition_config_selectorILNS1_17partition_subalgoE4EjNS0_10empty_typeEbEEZZNS1_14partition_implILS8_4ELb0ES6_15HIP_vector_typeIjLj2EENS0_17counting_iteratorIjlEEPS9_SG_NS0_5tupleIJPjSI_NS0_16reverse_iteratorISI_EEEEENSH_IJSG_SG_SG_EEES9_SI_JZNS1_25segmented_radix_sort_implINS0_14default_configELb0EPKaPaPKlPlN2at6native12_GLOBAL__N_18offset_tEEE10hipError_tPvRmT1_PNSt15iterator_traitsIS12_E10value_typeET2_T3_PNS13_IS18_E10value_typeET4_jRbjT5_S1E_jjP12ihipStream_tbEUljE_ZNSN_ISO_Lb0ESQ_SR_ST_SU_SY_EESZ_S10_S11_S12_S16_S17_S18_S1B_S1C_jS1D_jS1E_S1E_jjS1G_bEUljE0_EEESZ_S10_S11_S18_S1C_S1E_T6_T7_T9_mT8_S1G_bDpT10_ENKUlT_T0_E_clISt17integral_constantIbLb0EES1U_EEDaS1P_S1Q_EUlS1P_E_NS1_11comp_targetILNS1_3genE4ELNS1_11target_archE910ELNS1_3gpuE8ELNS1_3repE0EEENS1_30default_config_static_selectorELNS0_4arch9wavefront6targetE1EEEvS12_,comdat
	.globl	_ZN7rocprim17ROCPRIM_400000_NS6detail17trampoline_kernelINS0_13select_configILj256ELj13ELNS0_17block_load_methodE3ELS4_3ELS4_3ELNS0_20block_scan_algorithmE0ELj4294967295EEENS1_25partition_config_selectorILNS1_17partition_subalgoE4EjNS0_10empty_typeEbEEZZNS1_14partition_implILS8_4ELb0ES6_15HIP_vector_typeIjLj2EENS0_17counting_iteratorIjlEEPS9_SG_NS0_5tupleIJPjSI_NS0_16reverse_iteratorISI_EEEEENSH_IJSG_SG_SG_EEES9_SI_JZNS1_25segmented_radix_sort_implINS0_14default_configELb0EPKaPaPKlPlN2at6native12_GLOBAL__N_18offset_tEEE10hipError_tPvRmT1_PNSt15iterator_traitsIS12_E10value_typeET2_T3_PNS13_IS18_E10value_typeET4_jRbjT5_S1E_jjP12ihipStream_tbEUljE_ZNSN_ISO_Lb0ESQ_SR_ST_SU_SY_EESZ_S10_S11_S12_S16_S17_S18_S1B_S1C_jS1D_jS1E_S1E_jjS1G_bEUljE0_EEESZ_S10_S11_S18_S1C_S1E_T6_T7_T9_mT8_S1G_bDpT10_ENKUlT_T0_E_clISt17integral_constantIbLb0EES1U_EEDaS1P_S1Q_EUlS1P_E_NS1_11comp_targetILNS1_3genE4ELNS1_11target_archE910ELNS1_3gpuE8ELNS1_3repE0EEENS1_30default_config_static_selectorELNS0_4arch9wavefront6targetE1EEEvS12_ ; -- Begin function _ZN7rocprim17ROCPRIM_400000_NS6detail17trampoline_kernelINS0_13select_configILj256ELj13ELNS0_17block_load_methodE3ELS4_3ELS4_3ELNS0_20block_scan_algorithmE0ELj4294967295EEENS1_25partition_config_selectorILNS1_17partition_subalgoE4EjNS0_10empty_typeEbEEZZNS1_14partition_implILS8_4ELb0ES6_15HIP_vector_typeIjLj2EENS0_17counting_iteratorIjlEEPS9_SG_NS0_5tupleIJPjSI_NS0_16reverse_iteratorISI_EEEEENSH_IJSG_SG_SG_EEES9_SI_JZNS1_25segmented_radix_sort_implINS0_14default_configELb0EPKaPaPKlPlN2at6native12_GLOBAL__N_18offset_tEEE10hipError_tPvRmT1_PNSt15iterator_traitsIS12_E10value_typeET2_T3_PNS13_IS18_E10value_typeET4_jRbjT5_S1E_jjP12ihipStream_tbEUljE_ZNSN_ISO_Lb0ESQ_SR_ST_SU_SY_EESZ_S10_S11_S12_S16_S17_S18_S1B_S1C_jS1D_jS1E_S1E_jjS1G_bEUljE0_EEESZ_S10_S11_S18_S1C_S1E_T6_T7_T9_mT8_S1G_bDpT10_ENKUlT_T0_E_clISt17integral_constantIbLb0EES1U_EEDaS1P_S1Q_EUlS1P_E_NS1_11comp_targetILNS1_3genE4ELNS1_11target_archE910ELNS1_3gpuE8ELNS1_3repE0EEENS1_30default_config_static_selectorELNS0_4arch9wavefront6targetE1EEEvS12_
	.p2align	8
	.type	_ZN7rocprim17ROCPRIM_400000_NS6detail17trampoline_kernelINS0_13select_configILj256ELj13ELNS0_17block_load_methodE3ELS4_3ELS4_3ELNS0_20block_scan_algorithmE0ELj4294967295EEENS1_25partition_config_selectorILNS1_17partition_subalgoE4EjNS0_10empty_typeEbEEZZNS1_14partition_implILS8_4ELb0ES6_15HIP_vector_typeIjLj2EENS0_17counting_iteratorIjlEEPS9_SG_NS0_5tupleIJPjSI_NS0_16reverse_iteratorISI_EEEEENSH_IJSG_SG_SG_EEES9_SI_JZNS1_25segmented_radix_sort_implINS0_14default_configELb0EPKaPaPKlPlN2at6native12_GLOBAL__N_18offset_tEEE10hipError_tPvRmT1_PNSt15iterator_traitsIS12_E10value_typeET2_T3_PNS13_IS18_E10value_typeET4_jRbjT5_S1E_jjP12ihipStream_tbEUljE_ZNSN_ISO_Lb0ESQ_SR_ST_SU_SY_EESZ_S10_S11_S12_S16_S17_S18_S1B_S1C_jS1D_jS1E_S1E_jjS1G_bEUljE0_EEESZ_S10_S11_S18_S1C_S1E_T6_T7_T9_mT8_S1G_bDpT10_ENKUlT_T0_E_clISt17integral_constantIbLb0EES1U_EEDaS1P_S1Q_EUlS1P_E_NS1_11comp_targetILNS1_3genE4ELNS1_11target_archE910ELNS1_3gpuE8ELNS1_3repE0EEENS1_30default_config_static_selectorELNS0_4arch9wavefront6targetE1EEEvS12_,@function
_ZN7rocprim17ROCPRIM_400000_NS6detail17trampoline_kernelINS0_13select_configILj256ELj13ELNS0_17block_load_methodE3ELS4_3ELS4_3ELNS0_20block_scan_algorithmE0ELj4294967295EEENS1_25partition_config_selectorILNS1_17partition_subalgoE4EjNS0_10empty_typeEbEEZZNS1_14partition_implILS8_4ELb0ES6_15HIP_vector_typeIjLj2EENS0_17counting_iteratorIjlEEPS9_SG_NS0_5tupleIJPjSI_NS0_16reverse_iteratorISI_EEEEENSH_IJSG_SG_SG_EEES9_SI_JZNS1_25segmented_radix_sort_implINS0_14default_configELb0EPKaPaPKlPlN2at6native12_GLOBAL__N_18offset_tEEE10hipError_tPvRmT1_PNSt15iterator_traitsIS12_E10value_typeET2_T3_PNS13_IS18_E10value_typeET4_jRbjT5_S1E_jjP12ihipStream_tbEUljE_ZNSN_ISO_Lb0ESQ_SR_ST_SU_SY_EESZ_S10_S11_S12_S16_S17_S18_S1B_S1C_jS1D_jS1E_S1E_jjS1G_bEUljE0_EEESZ_S10_S11_S18_S1C_S1E_T6_T7_T9_mT8_S1G_bDpT10_ENKUlT_T0_E_clISt17integral_constantIbLb0EES1U_EEDaS1P_S1Q_EUlS1P_E_NS1_11comp_targetILNS1_3genE4ELNS1_11target_archE910ELNS1_3gpuE8ELNS1_3repE0EEENS1_30default_config_static_selectorELNS0_4arch9wavefront6targetE1EEEvS12_: ; @_ZN7rocprim17ROCPRIM_400000_NS6detail17trampoline_kernelINS0_13select_configILj256ELj13ELNS0_17block_load_methodE3ELS4_3ELS4_3ELNS0_20block_scan_algorithmE0ELj4294967295EEENS1_25partition_config_selectorILNS1_17partition_subalgoE4EjNS0_10empty_typeEbEEZZNS1_14partition_implILS8_4ELb0ES6_15HIP_vector_typeIjLj2EENS0_17counting_iteratorIjlEEPS9_SG_NS0_5tupleIJPjSI_NS0_16reverse_iteratorISI_EEEEENSH_IJSG_SG_SG_EEES9_SI_JZNS1_25segmented_radix_sort_implINS0_14default_configELb0EPKaPaPKlPlN2at6native12_GLOBAL__N_18offset_tEEE10hipError_tPvRmT1_PNSt15iterator_traitsIS12_E10value_typeET2_T3_PNS13_IS18_E10value_typeET4_jRbjT5_S1E_jjP12ihipStream_tbEUljE_ZNSN_ISO_Lb0ESQ_SR_ST_SU_SY_EESZ_S10_S11_S12_S16_S17_S18_S1B_S1C_jS1D_jS1E_S1E_jjS1G_bEUljE0_EEESZ_S10_S11_S18_S1C_S1E_T6_T7_T9_mT8_S1G_bDpT10_ENKUlT_T0_E_clISt17integral_constantIbLb0EES1U_EEDaS1P_S1Q_EUlS1P_E_NS1_11comp_targetILNS1_3genE4ELNS1_11target_archE910ELNS1_3gpuE8ELNS1_3repE0EEENS1_30default_config_static_selectorELNS0_4arch9wavefront6targetE1EEEvS12_
; %bb.0:
	.section	.rodata,"a",@progbits
	.p2align	6, 0x0
	.amdhsa_kernel _ZN7rocprim17ROCPRIM_400000_NS6detail17trampoline_kernelINS0_13select_configILj256ELj13ELNS0_17block_load_methodE3ELS4_3ELS4_3ELNS0_20block_scan_algorithmE0ELj4294967295EEENS1_25partition_config_selectorILNS1_17partition_subalgoE4EjNS0_10empty_typeEbEEZZNS1_14partition_implILS8_4ELb0ES6_15HIP_vector_typeIjLj2EENS0_17counting_iteratorIjlEEPS9_SG_NS0_5tupleIJPjSI_NS0_16reverse_iteratorISI_EEEEENSH_IJSG_SG_SG_EEES9_SI_JZNS1_25segmented_radix_sort_implINS0_14default_configELb0EPKaPaPKlPlN2at6native12_GLOBAL__N_18offset_tEEE10hipError_tPvRmT1_PNSt15iterator_traitsIS12_E10value_typeET2_T3_PNS13_IS18_E10value_typeET4_jRbjT5_S1E_jjP12ihipStream_tbEUljE_ZNSN_ISO_Lb0ESQ_SR_ST_SU_SY_EESZ_S10_S11_S12_S16_S17_S18_S1B_S1C_jS1D_jS1E_S1E_jjS1G_bEUljE0_EEESZ_S10_S11_S18_S1C_S1E_T6_T7_T9_mT8_S1G_bDpT10_ENKUlT_T0_E_clISt17integral_constantIbLb0EES1U_EEDaS1P_S1Q_EUlS1P_E_NS1_11comp_targetILNS1_3genE4ELNS1_11target_archE910ELNS1_3gpuE8ELNS1_3repE0EEENS1_30default_config_static_selectorELNS0_4arch9wavefront6targetE1EEEvS12_
		.amdhsa_group_segment_fixed_size 0
		.amdhsa_private_segment_fixed_size 0
		.amdhsa_kernarg_size 176
		.amdhsa_user_sgpr_count 6
		.amdhsa_user_sgpr_private_segment_buffer 1
		.amdhsa_user_sgpr_dispatch_ptr 0
		.amdhsa_user_sgpr_queue_ptr 0
		.amdhsa_user_sgpr_kernarg_segment_ptr 1
		.amdhsa_user_sgpr_dispatch_id 0
		.amdhsa_user_sgpr_flat_scratch_init 0
		.amdhsa_user_sgpr_private_segment_size 0
		.amdhsa_uses_dynamic_stack 0
		.amdhsa_system_sgpr_private_segment_wavefront_offset 0
		.amdhsa_system_sgpr_workgroup_id_x 1
		.amdhsa_system_sgpr_workgroup_id_y 0
		.amdhsa_system_sgpr_workgroup_id_z 0
		.amdhsa_system_sgpr_workgroup_info 0
		.amdhsa_system_vgpr_workitem_id 0
		.amdhsa_next_free_vgpr 1
		.amdhsa_next_free_sgpr 0
		.amdhsa_reserve_vcc 0
		.amdhsa_reserve_flat_scratch 0
		.amdhsa_float_round_mode_32 0
		.amdhsa_float_round_mode_16_64 0
		.amdhsa_float_denorm_mode_32 3
		.amdhsa_float_denorm_mode_16_64 3
		.amdhsa_dx10_clamp 1
		.amdhsa_ieee_mode 1
		.amdhsa_fp16_overflow 0
		.amdhsa_exception_fp_ieee_invalid_op 0
		.amdhsa_exception_fp_denorm_src 0
		.amdhsa_exception_fp_ieee_div_zero 0
		.amdhsa_exception_fp_ieee_overflow 0
		.amdhsa_exception_fp_ieee_underflow 0
		.amdhsa_exception_fp_ieee_inexact 0
		.amdhsa_exception_int_div_zero 0
	.end_amdhsa_kernel
	.section	.text._ZN7rocprim17ROCPRIM_400000_NS6detail17trampoline_kernelINS0_13select_configILj256ELj13ELNS0_17block_load_methodE3ELS4_3ELS4_3ELNS0_20block_scan_algorithmE0ELj4294967295EEENS1_25partition_config_selectorILNS1_17partition_subalgoE4EjNS0_10empty_typeEbEEZZNS1_14partition_implILS8_4ELb0ES6_15HIP_vector_typeIjLj2EENS0_17counting_iteratorIjlEEPS9_SG_NS0_5tupleIJPjSI_NS0_16reverse_iteratorISI_EEEEENSH_IJSG_SG_SG_EEES9_SI_JZNS1_25segmented_radix_sort_implINS0_14default_configELb0EPKaPaPKlPlN2at6native12_GLOBAL__N_18offset_tEEE10hipError_tPvRmT1_PNSt15iterator_traitsIS12_E10value_typeET2_T3_PNS13_IS18_E10value_typeET4_jRbjT5_S1E_jjP12ihipStream_tbEUljE_ZNSN_ISO_Lb0ESQ_SR_ST_SU_SY_EESZ_S10_S11_S12_S16_S17_S18_S1B_S1C_jS1D_jS1E_S1E_jjS1G_bEUljE0_EEESZ_S10_S11_S18_S1C_S1E_T6_T7_T9_mT8_S1G_bDpT10_ENKUlT_T0_E_clISt17integral_constantIbLb0EES1U_EEDaS1P_S1Q_EUlS1P_E_NS1_11comp_targetILNS1_3genE4ELNS1_11target_archE910ELNS1_3gpuE8ELNS1_3repE0EEENS1_30default_config_static_selectorELNS0_4arch9wavefront6targetE1EEEvS12_,"axG",@progbits,_ZN7rocprim17ROCPRIM_400000_NS6detail17trampoline_kernelINS0_13select_configILj256ELj13ELNS0_17block_load_methodE3ELS4_3ELS4_3ELNS0_20block_scan_algorithmE0ELj4294967295EEENS1_25partition_config_selectorILNS1_17partition_subalgoE4EjNS0_10empty_typeEbEEZZNS1_14partition_implILS8_4ELb0ES6_15HIP_vector_typeIjLj2EENS0_17counting_iteratorIjlEEPS9_SG_NS0_5tupleIJPjSI_NS0_16reverse_iteratorISI_EEEEENSH_IJSG_SG_SG_EEES9_SI_JZNS1_25segmented_radix_sort_implINS0_14default_configELb0EPKaPaPKlPlN2at6native12_GLOBAL__N_18offset_tEEE10hipError_tPvRmT1_PNSt15iterator_traitsIS12_E10value_typeET2_T3_PNS13_IS18_E10value_typeET4_jRbjT5_S1E_jjP12ihipStream_tbEUljE_ZNSN_ISO_Lb0ESQ_SR_ST_SU_SY_EESZ_S10_S11_S12_S16_S17_S18_S1B_S1C_jS1D_jS1E_S1E_jjS1G_bEUljE0_EEESZ_S10_S11_S18_S1C_S1E_T6_T7_T9_mT8_S1G_bDpT10_ENKUlT_T0_E_clISt17integral_constantIbLb0EES1U_EEDaS1P_S1Q_EUlS1P_E_NS1_11comp_targetILNS1_3genE4ELNS1_11target_archE910ELNS1_3gpuE8ELNS1_3repE0EEENS1_30default_config_static_selectorELNS0_4arch9wavefront6targetE1EEEvS12_,comdat
.Lfunc_end331:
	.size	_ZN7rocprim17ROCPRIM_400000_NS6detail17trampoline_kernelINS0_13select_configILj256ELj13ELNS0_17block_load_methodE3ELS4_3ELS4_3ELNS0_20block_scan_algorithmE0ELj4294967295EEENS1_25partition_config_selectorILNS1_17partition_subalgoE4EjNS0_10empty_typeEbEEZZNS1_14partition_implILS8_4ELb0ES6_15HIP_vector_typeIjLj2EENS0_17counting_iteratorIjlEEPS9_SG_NS0_5tupleIJPjSI_NS0_16reverse_iteratorISI_EEEEENSH_IJSG_SG_SG_EEES9_SI_JZNS1_25segmented_radix_sort_implINS0_14default_configELb0EPKaPaPKlPlN2at6native12_GLOBAL__N_18offset_tEEE10hipError_tPvRmT1_PNSt15iterator_traitsIS12_E10value_typeET2_T3_PNS13_IS18_E10value_typeET4_jRbjT5_S1E_jjP12ihipStream_tbEUljE_ZNSN_ISO_Lb0ESQ_SR_ST_SU_SY_EESZ_S10_S11_S12_S16_S17_S18_S1B_S1C_jS1D_jS1E_S1E_jjS1G_bEUljE0_EEESZ_S10_S11_S18_S1C_S1E_T6_T7_T9_mT8_S1G_bDpT10_ENKUlT_T0_E_clISt17integral_constantIbLb0EES1U_EEDaS1P_S1Q_EUlS1P_E_NS1_11comp_targetILNS1_3genE4ELNS1_11target_archE910ELNS1_3gpuE8ELNS1_3repE0EEENS1_30default_config_static_selectorELNS0_4arch9wavefront6targetE1EEEvS12_, .Lfunc_end331-_ZN7rocprim17ROCPRIM_400000_NS6detail17trampoline_kernelINS0_13select_configILj256ELj13ELNS0_17block_load_methodE3ELS4_3ELS4_3ELNS0_20block_scan_algorithmE0ELj4294967295EEENS1_25partition_config_selectorILNS1_17partition_subalgoE4EjNS0_10empty_typeEbEEZZNS1_14partition_implILS8_4ELb0ES6_15HIP_vector_typeIjLj2EENS0_17counting_iteratorIjlEEPS9_SG_NS0_5tupleIJPjSI_NS0_16reverse_iteratorISI_EEEEENSH_IJSG_SG_SG_EEES9_SI_JZNS1_25segmented_radix_sort_implINS0_14default_configELb0EPKaPaPKlPlN2at6native12_GLOBAL__N_18offset_tEEE10hipError_tPvRmT1_PNSt15iterator_traitsIS12_E10value_typeET2_T3_PNS13_IS18_E10value_typeET4_jRbjT5_S1E_jjP12ihipStream_tbEUljE_ZNSN_ISO_Lb0ESQ_SR_ST_SU_SY_EESZ_S10_S11_S12_S16_S17_S18_S1B_S1C_jS1D_jS1E_S1E_jjS1G_bEUljE0_EEESZ_S10_S11_S18_S1C_S1E_T6_T7_T9_mT8_S1G_bDpT10_ENKUlT_T0_E_clISt17integral_constantIbLb0EES1U_EEDaS1P_S1Q_EUlS1P_E_NS1_11comp_targetILNS1_3genE4ELNS1_11target_archE910ELNS1_3gpuE8ELNS1_3repE0EEENS1_30default_config_static_selectorELNS0_4arch9wavefront6targetE1EEEvS12_
                                        ; -- End function
	.set _ZN7rocprim17ROCPRIM_400000_NS6detail17trampoline_kernelINS0_13select_configILj256ELj13ELNS0_17block_load_methodE3ELS4_3ELS4_3ELNS0_20block_scan_algorithmE0ELj4294967295EEENS1_25partition_config_selectorILNS1_17partition_subalgoE4EjNS0_10empty_typeEbEEZZNS1_14partition_implILS8_4ELb0ES6_15HIP_vector_typeIjLj2EENS0_17counting_iteratorIjlEEPS9_SG_NS0_5tupleIJPjSI_NS0_16reverse_iteratorISI_EEEEENSH_IJSG_SG_SG_EEES9_SI_JZNS1_25segmented_radix_sort_implINS0_14default_configELb0EPKaPaPKlPlN2at6native12_GLOBAL__N_18offset_tEEE10hipError_tPvRmT1_PNSt15iterator_traitsIS12_E10value_typeET2_T3_PNS13_IS18_E10value_typeET4_jRbjT5_S1E_jjP12ihipStream_tbEUljE_ZNSN_ISO_Lb0ESQ_SR_ST_SU_SY_EESZ_S10_S11_S12_S16_S17_S18_S1B_S1C_jS1D_jS1E_S1E_jjS1G_bEUljE0_EEESZ_S10_S11_S18_S1C_S1E_T6_T7_T9_mT8_S1G_bDpT10_ENKUlT_T0_E_clISt17integral_constantIbLb0EES1U_EEDaS1P_S1Q_EUlS1P_E_NS1_11comp_targetILNS1_3genE4ELNS1_11target_archE910ELNS1_3gpuE8ELNS1_3repE0EEENS1_30default_config_static_selectorELNS0_4arch9wavefront6targetE1EEEvS12_.num_vgpr, 0
	.set _ZN7rocprim17ROCPRIM_400000_NS6detail17trampoline_kernelINS0_13select_configILj256ELj13ELNS0_17block_load_methodE3ELS4_3ELS4_3ELNS0_20block_scan_algorithmE0ELj4294967295EEENS1_25partition_config_selectorILNS1_17partition_subalgoE4EjNS0_10empty_typeEbEEZZNS1_14partition_implILS8_4ELb0ES6_15HIP_vector_typeIjLj2EENS0_17counting_iteratorIjlEEPS9_SG_NS0_5tupleIJPjSI_NS0_16reverse_iteratorISI_EEEEENSH_IJSG_SG_SG_EEES9_SI_JZNS1_25segmented_radix_sort_implINS0_14default_configELb0EPKaPaPKlPlN2at6native12_GLOBAL__N_18offset_tEEE10hipError_tPvRmT1_PNSt15iterator_traitsIS12_E10value_typeET2_T3_PNS13_IS18_E10value_typeET4_jRbjT5_S1E_jjP12ihipStream_tbEUljE_ZNSN_ISO_Lb0ESQ_SR_ST_SU_SY_EESZ_S10_S11_S12_S16_S17_S18_S1B_S1C_jS1D_jS1E_S1E_jjS1G_bEUljE0_EEESZ_S10_S11_S18_S1C_S1E_T6_T7_T9_mT8_S1G_bDpT10_ENKUlT_T0_E_clISt17integral_constantIbLb0EES1U_EEDaS1P_S1Q_EUlS1P_E_NS1_11comp_targetILNS1_3genE4ELNS1_11target_archE910ELNS1_3gpuE8ELNS1_3repE0EEENS1_30default_config_static_selectorELNS0_4arch9wavefront6targetE1EEEvS12_.num_agpr, 0
	.set _ZN7rocprim17ROCPRIM_400000_NS6detail17trampoline_kernelINS0_13select_configILj256ELj13ELNS0_17block_load_methodE3ELS4_3ELS4_3ELNS0_20block_scan_algorithmE0ELj4294967295EEENS1_25partition_config_selectorILNS1_17partition_subalgoE4EjNS0_10empty_typeEbEEZZNS1_14partition_implILS8_4ELb0ES6_15HIP_vector_typeIjLj2EENS0_17counting_iteratorIjlEEPS9_SG_NS0_5tupleIJPjSI_NS0_16reverse_iteratorISI_EEEEENSH_IJSG_SG_SG_EEES9_SI_JZNS1_25segmented_radix_sort_implINS0_14default_configELb0EPKaPaPKlPlN2at6native12_GLOBAL__N_18offset_tEEE10hipError_tPvRmT1_PNSt15iterator_traitsIS12_E10value_typeET2_T3_PNS13_IS18_E10value_typeET4_jRbjT5_S1E_jjP12ihipStream_tbEUljE_ZNSN_ISO_Lb0ESQ_SR_ST_SU_SY_EESZ_S10_S11_S12_S16_S17_S18_S1B_S1C_jS1D_jS1E_S1E_jjS1G_bEUljE0_EEESZ_S10_S11_S18_S1C_S1E_T6_T7_T9_mT8_S1G_bDpT10_ENKUlT_T0_E_clISt17integral_constantIbLb0EES1U_EEDaS1P_S1Q_EUlS1P_E_NS1_11comp_targetILNS1_3genE4ELNS1_11target_archE910ELNS1_3gpuE8ELNS1_3repE0EEENS1_30default_config_static_selectorELNS0_4arch9wavefront6targetE1EEEvS12_.numbered_sgpr, 0
	.set _ZN7rocprim17ROCPRIM_400000_NS6detail17trampoline_kernelINS0_13select_configILj256ELj13ELNS0_17block_load_methodE3ELS4_3ELS4_3ELNS0_20block_scan_algorithmE0ELj4294967295EEENS1_25partition_config_selectorILNS1_17partition_subalgoE4EjNS0_10empty_typeEbEEZZNS1_14partition_implILS8_4ELb0ES6_15HIP_vector_typeIjLj2EENS0_17counting_iteratorIjlEEPS9_SG_NS0_5tupleIJPjSI_NS0_16reverse_iteratorISI_EEEEENSH_IJSG_SG_SG_EEES9_SI_JZNS1_25segmented_radix_sort_implINS0_14default_configELb0EPKaPaPKlPlN2at6native12_GLOBAL__N_18offset_tEEE10hipError_tPvRmT1_PNSt15iterator_traitsIS12_E10value_typeET2_T3_PNS13_IS18_E10value_typeET4_jRbjT5_S1E_jjP12ihipStream_tbEUljE_ZNSN_ISO_Lb0ESQ_SR_ST_SU_SY_EESZ_S10_S11_S12_S16_S17_S18_S1B_S1C_jS1D_jS1E_S1E_jjS1G_bEUljE0_EEESZ_S10_S11_S18_S1C_S1E_T6_T7_T9_mT8_S1G_bDpT10_ENKUlT_T0_E_clISt17integral_constantIbLb0EES1U_EEDaS1P_S1Q_EUlS1P_E_NS1_11comp_targetILNS1_3genE4ELNS1_11target_archE910ELNS1_3gpuE8ELNS1_3repE0EEENS1_30default_config_static_selectorELNS0_4arch9wavefront6targetE1EEEvS12_.num_named_barrier, 0
	.set _ZN7rocprim17ROCPRIM_400000_NS6detail17trampoline_kernelINS0_13select_configILj256ELj13ELNS0_17block_load_methodE3ELS4_3ELS4_3ELNS0_20block_scan_algorithmE0ELj4294967295EEENS1_25partition_config_selectorILNS1_17partition_subalgoE4EjNS0_10empty_typeEbEEZZNS1_14partition_implILS8_4ELb0ES6_15HIP_vector_typeIjLj2EENS0_17counting_iteratorIjlEEPS9_SG_NS0_5tupleIJPjSI_NS0_16reverse_iteratorISI_EEEEENSH_IJSG_SG_SG_EEES9_SI_JZNS1_25segmented_radix_sort_implINS0_14default_configELb0EPKaPaPKlPlN2at6native12_GLOBAL__N_18offset_tEEE10hipError_tPvRmT1_PNSt15iterator_traitsIS12_E10value_typeET2_T3_PNS13_IS18_E10value_typeET4_jRbjT5_S1E_jjP12ihipStream_tbEUljE_ZNSN_ISO_Lb0ESQ_SR_ST_SU_SY_EESZ_S10_S11_S12_S16_S17_S18_S1B_S1C_jS1D_jS1E_S1E_jjS1G_bEUljE0_EEESZ_S10_S11_S18_S1C_S1E_T6_T7_T9_mT8_S1G_bDpT10_ENKUlT_T0_E_clISt17integral_constantIbLb0EES1U_EEDaS1P_S1Q_EUlS1P_E_NS1_11comp_targetILNS1_3genE4ELNS1_11target_archE910ELNS1_3gpuE8ELNS1_3repE0EEENS1_30default_config_static_selectorELNS0_4arch9wavefront6targetE1EEEvS12_.private_seg_size, 0
	.set _ZN7rocprim17ROCPRIM_400000_NS6detail17trampoline_kernelINS0_13select_configILj256ELj13ELNS0_17block_load_methodE3ELS4_3ELS4_3ELNS0_20block_scan_algorithmE0ELj4294967295EEENS1_25partition_config_selectorILNS1_17partition_subalgoE4EjNS0_10empty_typeEbEEZZNS1_14partition_implILS8_4ELb0ES6_15HIP_vector_typeIjLj2EENS0_17counting_iteratorIjlEEPS9_SG_NS0_5tupleIJPjSI_NS0_16reverse_iteratorISI_EEEEENSH_IJSG_SG_SG_EEES9_SI_JZNS1_25segmented_radix_sort_implINS0_14default_configELb0EPKaPaPKlPlN2at6native12_GLOBAL__N_18offset_tEEE10hipError_tPvRmT1_PNSt15iterator_traitsIS12_E10value_typeET2_T3_PNS13_IS18_E10value_typeET4_jRbjT5_S1E_jjP12ihipStream_tbEUljE_ZNSN_ISO_Lb0ESQ_SR_ST_SU_SY_EESZ_S10_S11_S12_S16_S17_S18_S1B_S1C_jS1D_jS1E_S1E_jjS1G_bEUljE0_EEESZ_S10_S11_S18_S1C_S1E_T6_T7_T9_mT8_S1G_bDpT10_ENKUlT_T0_E_clISt17integral_constantIbLb0EES1U_EEDaS1P_S1Q_EUlS1P_E_NS1_11comp_targetILNS1_3genE4ELNS1_11target_archE910ELNS1_3gpuE8ELNS1_3repE0EEENS1_30default_config_static_selectorELNS0_4arch9wavefront6targetE1EEEvS12_.uses_vcc, 0
	.set _ZN7rocprim17ROCPRIM_400000_NS6detail17trampoline_kernelINS0_13select_configILj256ELj13ELNS0_17block_load_methodE3ELS4_3ELS4_3ELNS0_20block_scan_algorithmE0ELj4294967295EEENS1_25partition_config_selectorILNS1_17partition_subalgoE4EjNS0_10empty_typeEbEEZZNS1_14partition_implILS8_4ELb0ES6_15HIP_vector_typeIjLj2EENS0_17counting_iteratorIjlEEPS9_SG_NS0_5tupleIJPjSI_NS0_16reverse_iteratorISI_EEEEENSH_IJSG_SG_SG_EEES9_SI_JZNS1_25segmented_radix_sort_implINS0_14default_configELb0EPKaPaPKlPlN2at6native12_GLOBAL__N_18offset_tEEE10hipError_tPvRmT1_PNSt15iterator_traitsIS12_E10value_typeET2_T3_PNS13_IS18_E10value_typeET4_jRbjT5_S1E_jjP12ihipStream_tbEUljE_ZNSN_ISO_Lb0ESQ_SR_ST_SU_SY_EESZ_S10_S11_S12_S16_S17_S18_S1B_S1C_jS1D_jS1E_S1E_jjS1G_bEUljE0_EEESZ_S10_S11_S18_S1C_S1E_T6_T7_T9_mT8_S1G_bDpT10_ENKUlT_T0_E_clISt17integral_constantIbLb0EES1U_EEDaS1P_S1Q_EUlS1P_E_NS1_11comp_targetILNS1_3genE4ELNS1_11target_archE910ELNS1_3gpuE8ELNS1_3repE0EEENS1_30default_config_static_selectorELNS0_4arch9wavefront6targetE1EEEvS12_.uses_flat_scratch, 0
	.set _ZN7rocprim17ROCPRIM_400000_NS6detail17trampoline_kernelINS0_13select_configILj256ELj13ELNS0_17block_load_methodE3ELS4_3ELS4_3ELNS0_20block_scan_algorithmE0ELj4294967295EEENS1_25partition_config_selectorILNS1_17partition_subalgoE4EjNS0_10empty_typeEbEEZZNS1_14partition_implILS8_4ELb0ES6_15HIP_vector_typeIjLj2EENS0_17counting_iteratorIjlEEPS9_SG_NS0_5tupleIJPjSI_NS0_16reverse_iteratorISI_EEEEENSH_IJSG_SG_SG_EEES9_SI_JZNS1_25segmented_radix_sort_implINS0_14default_configELb0EPKaPaPKlPlN2at6native12_GLOBAL__N_18offset_tEEE10hipError_tPvRmT1_PNSt15iterator_traitsIS12_E10value_typeET2_T3_PNS13_IS18_E10value_typeET4_jRbjT5_S1E_jjP12ihipStream_tbEUljE_ZNSN_ISO_Lb0ESQ_SR_ST_SU_SY_EESZ_S10_S11_S12_S16_S17_S18_S1B_S1C_jS1D_jS1E_S1E_jjS1G_bEUljE0_EEESZ_S10_S11_S18_S1C_S1E_T6_T7_T9_mT8_S1G_bDpT10_ENKUlT_T0_E_clISt17integral_constantIbLb0EES1U_EEDaS1P_S1Q_EUlS1P_E_NS1_11comp_targetILNS1_3genE4ELNS1_11target_archE910ELNS1_3gpuE8ELNS1_3repE0EEENS1_30default_config_static_selectorELNS0_4arch9wavefront6targetE1EEEvS12_.has_dyn_sized_stack, 0
	.set _ZN7rocprim17ROCPRIM_400000_NS6detail17trampoline_kernelINS0_13select_configILj256ELj13ELNS0_17block_load_methodE3ELS4_3ELS4_3ELNS0_20block_scan_algorithmE0ELj4294967295EEENS1_25partition_config_selectorILNS1_17partition_subalgoE4EjNS0_10empty_typeEbEEZZNS1_14partition_implILS8_4ELb0ES6_15HIP_vector_typeIjLj2EENS0_17counting_iteratorIjlEEPS9_SG_NS0_5tupleIJPjSI_NS0_16reverse_iteratorISI_EEEEENSH_IJSG_SG_SG_EEES9_SI_JZNS1_25segmented_radix_sort_implINS0_14default_configELb0EPKaPaPKlPlN2at6native12_GLOBAL__N_18offset_tEEE10hipError_tPvRmT1_PNSt15iterator_traitsIS12_E10value_typeET2_T3_PNS13_IS18_E10value_typeET4_jRbjT5_S1E_jjP12ihipStream_tbEUljE_ZNSN_ISO_Lb0ESQ_SR_ST_SU_SY_EESZ_S10_S11_S12_S16_S17_S18_S1B_S1C_jS1D_jS1E_S1E_jjS1G_bEUljE0_EEESZ_S10_S11_S18_S1C_S1E_T6_T7_T9_mT8_S1G_bDpT10_ENKUlT_T0_E_clISt17integral_constantIbLb0EES1U_EEDaS1P_S1Q_EUlS1P_E_NS1_11comp_targetILNS1_3genE4ELNS1_11target_archE910ELNS1_3gpuE8ELNS1_3repE0EEENS1_30default_config_static_selectorELNS0_4arch9wavefront6targetE1EEEvS12_.has_recursion, 0
	.set _ZN7rocprim17ROCPRIM_400000_NS6detail17trampoline_kernelINS0_13select_configILj256ELj13ELNS0_17block_load_methodE3ELS4_3ELS4_3ELNS0_20block_scan_algorithmE0ELj4294967295EEENS1_25partition_config_selectorILNS1_17partition_subalgoE4EjNS0_10empty_typeEbEEZZNS1_14partition_implILS8_4ELb0ES6_15HIP_vector_typeIjLj2EENS0_17counting_iteratorIjlEEPS9_SG_NS0_5tupleIJPjSI_NS0_16reverse_iteratorISI_EEEEENSH_IJSG_SG_SG_EEES9_SI_JZNS1_25segmented_radix_sort_implINS0_14default_configELb0EPKaPaPKlPlN2at6native12_GLOBAL__N_18offset_tEEE10hipError_tPvRmT1_PNSt15iterator_traitsIS12_E10value_typeET2_T3_PNS13_IS18_E10value_typeET4_jRbjT5_S1E_jjP12ihipStream_tbEUljE_ZNSN_ISO_Lb0ESQ_SR_ST_SU_SY_EESZ_S10_S11_S12_S16_S17_S18_S1B_S1C_jS1D_jS1E_S1E_jjS1G_bEUljE0_EEESZ_S10_S11_S18_S1C_S1E_T6_T7_T9_mT8_S1G_bDpT10_ENKUlT_T0_E_clISt17integral_constantIbLb0EES1U_EEDaS1P_S1Q_EUlS1P_E_NS1_11comp_targetILNS1_3genE4ELNS1_11target_archE910ELNS1_3gpuE8ELNS1_3repE0EEENS1_30default_config_static_selectorELNS0_4arch9wavefront6targetE1EEEvS12_.has_indirect_call, 0
	.section	.AMDGPU.csdata,"",@progbits
; Kernel info:
; codeLenInByte = 0
; TotalNumSgprs: 4
; NumVgprs: 0
; ScratchSize: 0
; MemoryBound: 0
; FloatMode: 240
; IeeeMode: 1
; LDSByteSize: 0 bytes/workgroup (compile time only)
; SGPRBlocks: 0
; VGPRBlocks: 0
; NumSGPRsForWavesPerEU: 4
; NumVGPRsForWavesPerEU: 1
; Occupancy: 10
; WaveLimiterHint : 0
; COMPUTE_PGM_RSRC2:SCRATCH_EN: 0
; COMPUTE_PGM_RSRC2:USER_SGPR: 6
; COMPUTE_PGM_RSRC2:TRAP_HANDLER: 0
; COMPUTE_PGM_RSRC2:TGID_X_EN: 1
; COMPUTE_PGM_RSRC2:TGID_Y_EN: 0
; COMPUTE_PGM_RSRC2:TGID_Z_EN: 0
; COMPUTE_PGM_RSRC2:TIDIG_COMP_CNT: 0
	.section	.text._ZN7rocprim17ROCPRIM_400000_NS6detail17trampoline_kernelINS0_13select_configILj256ELj13ELNS0_17block_load_methodE3ELS4_3ELS4_3ELNS0_20block_scan_algorithmE0ELj4294967295EEENS1_25partition_config_selectorILNS1_17partition_subalgoE4EjNS0_10empty_typeEbEEZZNS1_14partition_implILS8_4ELb0ES6_15HIP_vector_typeIjLj2EENS0_17counting_iteratorIjlEEPS9_SG_NS0_5tupleIJPjSI_NS0_16reverse_iteratorISI_EEEEENSH_IJSG_SG_SG_EEES9_SI_JZNS1_25segmented_radix_sort_implINS0_14default_configELb0EPKaPaPKlPlN2at6native12_GLOBAL__N_18offset_tEEE10hipError_tPvRmT1_PNSt15iterator_traitsIS12_E10value_typeET2_T3_PNS13_IS18_E10value_typeET4_jRbjT5_S1E_jjP12ihipStream_tbEUljE_ZNSN_ISO_Lb0ESQ_SR_ST_SU_SY_EESZ_S10_S11_S12_S16_S17_S18_S1B_S1C_jS1D_jS1E_S1E_jjS1G_bEUljE0_EEESZ_S10_S11_S18_S1C_S1E_T6_T7_T9_mT8_S1G_bDpT10_ENKUlT_T0_E_clISt17integral_constantIbLb0EES1U_EEDaS1P_S1Q_EUlS1P_E_NS1_11comp_targetILNS1_3genE3ELNS1_11target_archE908ELNS1_3gpuE7ELNS1_3repE0EEENS1_30default_config_static_selectorELNS0_4arch9wavefront6targetE1EEEvS12_,"axG",@progbits,_ZN7rocprim17ROCPRIM_400000_NS6detail17trampoline_kernelINS0_13select_configILj256ELj13ELNS0_17block_load_methodE3ELS4_3ELS4_3ELNS0_20block_scan_algorithmE0ELj4294967295EEENS1_25partition_config_selectorILNS1_17partition_subalgoE4EjNS0_10empty_typeEbEEZZNS1_14partition_implILS8_4ELb0ES6_15HIP_vector_typeIjLj2EENS0_17counting_iteratorIjlEEPS9_SG_NS0_5tupleIJPjSI_NS0_16reverse_iteratorISI_EEEEENSH_IJSG_SG_SG_EEES9_SI_JZNS1_25segmented_radix_sort_implINS0_14default_configELb0EPKaPaPKlPlN2at6native12_GLOBAL__N_18offset_tEEE10hipError_tPvRmT1_PNSt15iterator_traitsIS12_E10value_typeET2_T3_PNS13_IS18_E10value_typeET4_jRbjT5_S1E_jjP12ihipStream_tbEUljE_ZNSN_ISO_Lb0ESQ_SR_ST_SU_SY_EESZ_S10_S11_S12_S16_S17_S18_S1B_S1C_jS1D_jS1E_S1E_jjS1G_bEUljE0_EEESZ_S10_S11_S18_S1C_S1E_T6_T7_T9_mT8_S1G_bDpT10_ENKUlT_T0_E_clISt17integral_constantIbLb0EES1U_EEDaS1P_S1Q_EUlS1P_E_NS1_11comp_targetILNS1_3genE3ELNS1_11target_archE908ELNS1_3gpuE7ELNS1_3repE0EEENS1_30default_config_static_selectorELNS0_4arch9wavefront6targetE1EEEvS12_,comdat
	.globl	_ZN7rocprim17ROCPRIM_400000_NS6detail17trampoline_kernelINS0_13select_configILj256ELj13ELNS0_17block_load_methodE3ELS4_3ELS4_3ELNS0_20block_scan_algorithmE0ELj4294967295EEENS1_25partition_config_selectorILNS1_17partition_subalgoE4EjNS0_10empty_typeEbEEZZNS1_14partition_implILS8_4ELb0ES6_15HIP_vector_typeIjLj2EENS0_17counting_iteratorIjlEEPS9_SG_NS0_5tupleIJPjSI_NS0_16reverse_iteratorISI_EEEEENSH_IJSG_SG_SG_EEES9_SI_JZNS1_25segmented_radix_sort_implINS0_14default_configELb0EPKaPaPKlPlN2at6native12_GLOBAL__N_18offset_tEEE10hipError_tPvRmT1_PNSt15iterator_traitsIS12_E10value_typeET2_T3_PNS13_IS18_E10value_typeET4_jRbjT5_S1E_jjP12ihipStream_tbEUljE_ZNSN_ISO_Lb0ESQ_SR_ST_SU_SY_EESZ_S10_S11_S12_S16_S17_S18_S1B_S1C_jS1D_jS1E_S1E_jjS1G_bEUljE0_EEESZ_S10_S11_S18_S1C_S1E_T6_T7_T9_mT8_S1G_bDpT10_ENKUlT_T0_E_clISt17integral_constantIbLb0EES1U_EEDaS1P_S1Q_EUlS1P_E_NS1_11comp_targetILNS1_3genE3ELNS1_11target_archE908ELNS1_3gpuE7ELNS1_3repE0EEENS1_30default_config_static_selectorELNS0_4arch9wavefront6targetE1EEEvS12_ ; -- Begin function _ZN7rocprim17ROCPRIM_400000_NS6detail17trampoline_kernelINS0_13select_configILj256ELj13ELNS0_17block_load_methodE3ELS4_3ELS4_3ELNS0_20block_scan_algorithmE0ELj4294967295EEENS1_25partition_config_selectorILNS1_17partition_subalgoE4EjNS0_10empty_typeEbEEZZNS1_14partition_implILS8_4ELb0ES6_15HIP_vector_typeIjLj2EENS0_17counting_iteratorIjlEEPS9_SG_NS0_5tupleIJPjSI_NS0_16reverse_iteratorISI_EEEEENSH_IJSG_SG_SG_EEES9_SI_JZNS1_25segmented_radix_sort_implINS0_14default_configELb0EPKaPaPKlPlN2at6native12_GLOBAL__N_18offset_tEEE10hipError_tPvRmT1_PNSt15iterator_traitsIS12_E10value_typeET2_T3_PNS13_IS18_E10value_typeET4_jRbjT5_S1E_jjP12ihipStream_tbEUljE_ZNSN_ISO_Lb0ESQ_SR_ST_SU_SY_EESZ_S10_S11_S12_S16_S17_S18_S1B_S1C_jS1D_jS1E_S1E_jjS1G_bEUljE0_EEESZ_S10_S11_S18_S1C_S1E_T6_T7_T9_mT8_S1G_bDpT10_ENKUlT_T0_E_clISt17integral_constantIbLb0EES1U_EEDaS1P_S1Q_EUlS1P_E_NS1_11comp_targetILNS1_3genE3ELNS1_11target_archE908ELNS1_3gpuE7ELNS1_3repE0EEENS1_30default_config_static_selectorELNS0_4arch9wavefront6targetE1EEEvS12_
	.p2align	8
	.type	_ZN7rocprim17ROCPRIM_400000_NS6detail17trampoline_kernelINS0_13select_configILj256ELj13ELNS0_17block_load_methodE3ELS4_3ELS4_3ELNS0_20block_scan_algorithmE0ELj4294967295EEENS1_25partition_config_selectorILNS1_17partition_subalgoE4EjNS0_10empty_typeEbEEZZNS1_14partition_implILS8_4ELb0ES6_15HIP_vector_typeIjLj2EENS0_17counting_iteratorIjlEEPS9_SG_NS0_5tupleIJPjSI_NS0_16reverse_iteratorISI_EEEEENSH_IJSG_SG_SG_EEES9_SI_JZNS1_25segmented_radix_sort_implINS0_14default_configELb0EPKaPaPKlPlN2at6native12_GLOBAL__N_18offset_tEEE10hipError_tPvRmT1_PNSt15iterator_traitsIS12_E10value_typeET2_T3_PNS13_IS18_E10value_typeET4_jRbjT5_S1E_jjP12ihipStream_tbEUljE_ZNSN_ISO_Lb0ESQ_SR_ST_SU_SY_EESZ_S10_S11_S12_S16_S17_S18_S1B_S1C_jS1D_jS1E_S1E_jjS1G_bEUljE0_EEESZ_S10_S11_S18_S1C_S1E_T6_T7_T9_mT8_S1G_bDpT10_ENKUlT_T0_E_clISt17integral_constantIbLb0EES1U_EEDaS1P_S1Q_EUlS1P_E_NS1_11comp_targetILNS1_3genE3ELNS1_11target_archE908ELNS1_3gpuE7ELNS1_3repE0EEENS1_30default_config_static_selectorELNS0_4arch9wavefront6targetE1EEEvS12_,@function
_ZN7rocprim17ROCPRIM_400000_NS6detail17trampoline_kernelINS0_13select_configILj256ELj13ELNS0_17block_load_methodE3ELS4_3ELS4_3ELNS0_20block_scan_algorithmE0ELj4294967295EEENS1_25partition_config_selectorILNS1_17partition_subalgoE4EjNS0_10empty_typeEbEEZZNS1_14partition_implILS8_4ELb0ES6_15HIP_vector_typeIjLj2EENS0_17counting_iteratorIjlEEPS9_SG_NS0_5tupleIJPjSI_NS0_16reverse_iteratorISI_EEEEENSH_IJSG_SG_SG_EEES9_SI_JZNS1_25segmented_radix_sort_implINS0_14default_configELb0EPKaPaPKlPlN2at6native12_GLOBAL__N_18offset_tEEE10hipError_tPvRmT1_PNSt15iterator_traitsIS12_E10value_typeET2_T3_PNS13_IS18_E10value_typeET4_jRbjT5_S1E_jjP12ihipStream_tbEUljE_ZNSN_ISO_Lb0ESQ_SR_ST_SU_SY_EESZ_S10_S11_S12_S16_S17_S18_S1B_S1C_jS1D_jS1E_S1E_jjS1G_bEUljE0_EEESZ_S10_S11_S18_S1C_S1E_T6_T7_T9_mT8_S1G_bDpT10_ENKUlT_T0_E_clISt17integral_constantIbLb0EES1U_EEDaS1P_S1Q_EUlS1P_E_NS1_11comp_targetILNS1_3genE3ELNS1_11target_archE908ELNS1_3gpuE7ELNS1_3repE0EEENS1_30default_config_static_selectorELNS0_4arch9wavefront6targetE1EEEvS12_: ; @_ZN7rocprim17ROCPRIM_400000_NS6detail17trampoline_kernelINS0_13select_configILj256ELj13ELNS0_17block_load_methodE3ELS4_3ELS4_3ELNS0_20block_scan_algorithmE0ELj4294967295EEENS1_25partition_config_selectorILNS1_17partition_subalgoE4EjNS0_10empty_typeEbEEZZNS1_14partition_implILS8_4ELb0ES6_15HIP_vector_typeIjLj2EENS0_17counting_iteratorIjlEEPS9_SG_NS0_5tupleIJPjSI_NS0_16reverse_iteratorISI_EEEEENSH_IJSG_SG_SG_EEES9_SI_JZNS1_25segmented_radix_sort_implINS0_14default_configELb0EPKaPaPKlPlN2at6native12_GLOBAL__N_18offset_tEEE10hipError_tPvRmT1_PNSt15iterator_traitsIS12_E10value_typeET2_T3_PNS13_IS18_E10value_typeET4_jRbjT5_S1E_jjP12ihipStream_tbEUljE_ZNSN_ISO_Lb0ESQ_SR_ST_SU_SY_EESZ_S10_S11_S12_S16_S17_S18_S1B_S1C_jS1D_jS1E_S1E_jjS1G_bEUljE0_EEESZ_S10_S11_S18_S1C_S1E_T6_T7_T9_mT8_S1G_bDpT10_ENKUlT_T0_E_clISt17integral_constantIbLb0EES1U_EEDaS1P_S1Q_EUlS1P_E_NS1_11comp_targetILNS1_3genE3ELNS1_11target_archE908ELNS1_3gpuE7ELNS1_3repE0EEENS1_30default_config_static_selectorELNS0_4arch9wavefront6targetE1EEEvS12_
; %bb.0:
	.section	.rodata,"a",@progbits
	.p2align	6, 0x0
	.amdhsa_kernel _ZN7rocprim17ROCPRIM_400000_NS6detail17trampoline_kernelINS0_13select_configILj256ELj13ELNS0_17block_load_methodE3ELS4_3ELS4_3ELNS0_20block_scan_algorithmE0ELj4294967295EEENS1_25partition_config_selectorILNS1_17partition_subalgoE4EjNS0_10empty_typeEbEEZZNS1_14partition_implILS8_4ELb0ES6_15HIP_vector_typeIjLj2EENS0_17counting_iteratorIjlEEPS9_SG_NS0_5tupleIJPjSI_NS0_16reverse_iteratorISI_EEEEENSH_IJSG_SG_SG_EEES9_SI_JZNS1_25segmented_radix_sort_implINS0_14default_configELb0EPKaPaPKlPlN2at6native12_GLOBAL__N_18offset_tEEE10hipError_tPvRmT1_PNSt15iterator_traitsIS12_E10value_typeET2_T3_PNS13_IS18_E10value_typeET4_jRbjT5_S1E_jjP12ihipStream_tbEUljE_ZNSN_ISO_Lb0ESQ_SR_ST_SU_SY_EESZ_S10_S11_S12_S16_S17_S18_S1B_S1C_jS1D_jS1E_S1E_jjS1G_bEUljE0_EEESZ_S10_S11_S18_S1C_S1E_T6_T7_T9_mT8_S1G_bDpT10_ENKUlT_T0_E_clISt17integral_constantIbLb0EES1U_EEDaS1P_S1Q_EUlS1P_E_NS1_11comp_targetILNS1_3genE3ELNS1_11target_archE908ELNS1_3gpuE7ELNS1_3repE0EEENS1_30default_config_static_selectorELNS0_4arch9wavefront6targetE1EEEvS12_
		.amdhsa_group_segment_fixed_size 0
		.amdhsa_private_segment_fixed_size 0
		.amdhsa_kernarg_size 176
		.amdhsa_user_sgpr_count 6
		.amdhsa_user_sgpr_private_segment_buffer 1
		.amdhsa_user_sgpr_dispatch_ptr 0
		.amdhsa_user_sgpr_queue_ptr 0
		.amdhsa_user_sgpr_kernarg_segment_ptr 1
		.amdhsa_user_sgpr_dispatch_id 0
		.amdhsa_user_sgpr_flat_scratch_init 0
		.amdhsa_user_sgpr_private_segment_size 0
		.amdhsa_uses_dynamic_stack 0
		.amdhsa_system_sgpr_private_segment_wavefront_offset 0
		.amdhsa_system_sgpr_workgroup_id_x 1
		.amdhsa_system_sgpr_workgroup_id_y 0
		.amdhsa_system_sgpr_workgroup_id_z 0
		.amdhsa_system_sgpr_workgroup_info 0
		.amdhsa_system_vgpr_workitem_id 0
		.amdhsa_next_free_vgpr 1
		.amdhsa_next_free_sgpr 0
		.amdhsa_reserve_vcc 0
		.amdhsa_reserve_flat_scratch 0
		.amdhsa_float_round_mode_32 0
		.amdhsa_float_round_mode_16_64 0
		.amdhsa_float_denorm_mode_32 3
		.amdhsa_float_denorm_mode_16_64 3
		.amdhsa_dx10_clamp 1
		.amdhsa_ieee_mode 1
		.amdhsa_fp16_overflow 0
		.amdhsa_exception_fp_ieee_invalid_op 0
		.amdhsa_exception_fp_denorm_src 0
		.amdhsa_exception_fp_ieee_div_zero 0
		.amdhsa_exception_fp_ieee_overflow 0
		.amdhsa_exception_fp_ieee_underflow 0
		.amdhsa_exception_fp_ieee_inexact 0
		.amdhsa_exception_int_div_zero 0
	.end_amdhsa_kernel
	.section	.text._ZN7rocprim17ROCPRIM_400000_NS6detail17trampoline_kernelINS0_13select_configILj256ELj13ELNS0_17block_load_methodE3ELS4_3ELS4_3ELNS0_20block_scan_algorithmE0ELj4294967295EEENS1_25partition_config_selectorILNS1_17partition_subalgoE4EjNS0_10empty_typeEbEEZZNS1_14partition_implILS8_4ELb0ES6_15HIP_vector_typeIjLj2EENS0_17counting_iteratorIjlEEPS9_SG_NS0_5tupleIJPjSI_NS0_16reverse_iteratorISI_EEEEENSH_IJSG_SG_SG_EEES9_SI_JZNS1_25segmented_radix_sort_implINS0_14default_configELb0EPKaPaPKlPlN2at6native12_GLOBAL__N_18offset_tEEE10hipError_tPvRmT1_PNSt15iterator_traitsIS12_E10value_typeET2_T3_PNS13_IS18_E10value_typeET4_jRbjT5_S1E_jjP12ihipStream_tbEUljE_ZNSN_ISO_Lb0ESQ_SR_ST_SU_SY_EESZ_S10_S11_S12_S16_S17_S18_S1B_S1C_jS1D_jS1E_S1E_jjS1G_bEUljE0_EEESZ_S10_S11_S18_S1C_S1E_T6_T7_T9_mT8_S1G_bDpT10_ENKUlT_T0_E_clISt17integral_constantIbLb0EES1U_EEDaS1P_S1Q_EUlS1P_E_NS1_11comp_targetILNS1_3genE3ELNS1_11target_archE908ELNS1_3gpuE7ELNS1_3repE0EEENS1_30default_config_static_selectorELNS0_4arch9wavefront6targetE1EEEvS12_,"axG",@progbits,_ZN7rocprim17ROCPRIM_400000_NS6detail17trampoline_kernelINS0_13select_configILj256ELj13ELNS0_17block_load_methodE3ELS4_3ELS4_3ELNS0_20block_scan_algorithmE0ELj4294967295EEENS1_25partition_config_selectorILNS1_17partition_subalgoE4EjNS0_10empty_typeEbEEZZNS1_14partition_implILS8_4ELb0ES6_15HIP_vector_typeIjLj2EENS0_17counting_iteratorIjlEEPS9_SG_NS0_5tupleIJPjSI_NS0_16reverse_iteratorISI_EEEEENSH_IJSG_SG_SG_EEES9_SI_JZNS1_25segmented_radix_sort_implINS0_14default_configELb0EPKaPaPKlPlN2at6native12_GLOBAL__N_18offset_tEEE10hipError_tPvRmT1_PNSt15iterator_traitsIS12_E10value_typeET2_T3_PNS13_IS18_E10value_typeET4_jRbjT5_S1E_jjP12ihipStream_tbEUljE_ZNSN_ISO_Lb0ESQ_SR_ST_SU_SY_EESZ_S10_S11_S12_S16_S17_S18_S1B_S1C_jS1D_jS1E_S1E_jjS1G_bEUljE0_EEESZ_S10_S11_S18_S1C_S1E_T6_T7_T9_mT8_S1G_bDpT10_ENKUlT_T0_E_clISt17integral_constantIbLb0EES1U_EEDaS1P_S1Q_EUlS1P_E_NS1_11comp_targetILNS1_3genE3ELNS1_11target_archE908ELNS1_3gpuE7ELNS1_3repE0EEENS1_30default_config_static_selectorELNS0_4arch9wavefront6targetE1EEEvS12_,comdat
.Lfunc_end332:
	.size	_ZN7rocprim17ROCPRIM_400000_NS6detail17trampoline_kernelINS0_13select_configILj256ELj13ELNS0_17block_load_methodE3ELS4_3ELS4_3ELNS0_20block_scan_algorithmE0ELj4294967295EEENS1_25partition_config_selectorILNS1_17partition_subalgoE4EjNS0_10empty_typeEbEEZZNS1_14partition_implILS8_4ELb0ES6_15HIP_vector_typeIjLj2EENS0_17counting_iteratorIjlEEPS9_SG_NS0_5tupleIJPjSI_NS0_16reverse_iteratorISI_EEEEENSH_IJSG_SG_SG_EEES9_SI_JZNS1_25segmented_radix_sort_implINS0_14default_configELb0EPKaPaPKlPlN2at6native12_GLOBAL__N_18offset_tEEE10hipError_tPvRmT1_PNSt15iterator_traitsIS12_E10value_typeET2_T3_PNS13_IS18_E10value_typeET4_jRbjT5_S1E_jjP12ihipStream_tbEUljE_ZNSN_ISO_Lb0ESQ_SR_ST_SU_SY_EESZ_S10_S11_S12_S16_S17_S18_S1B_S1C_jS1D_jS1E_S1E_jjS1G_bEUljE0_EEESZ_S10_S11_S18_S1C_S1E_T6_T7_T9_mT8_S1G_bDpT10_ENKUlT_T0_E_clISt17integral_constantIbLb0EES1U_EEDaS1P_S1Q_EUlS1P_E_NS1_11comp_targetILNS1_3genE3ELNS1_11target_archE908ELNS1_3gpuE7ELNS1_3repE0EEENS1_30default_config_static_selectorELNS0_4arch9wavefront6targetE1EEEvS12_, .Lfunc_end332-_ZN7rocprim17ROCPRIM_400000_NS6detail17trampoline_kernelINS0_13select_configILj256ELj13ELNS0_17block_load_methodE3ELS4_3ELS4_3ELNS0_20block_scan_algorithmE0ELj4294967295EEENS1_25partition_config_selectorILNS1_17partition_subalgoE4EjNS0_10empty_typeEbEEZZNS1_14partition_implILS8_4ELb0ES6_15HIP_vector_typeIjLj2EENS0_17counting_iteratorIjlEEPS9_SG_NS0_5tupleIJPjSI_NS0_16reverse_iteratorISI_EEEEENSH_IJSG_SG_SG_EEES9_SI_JZNS1_25segmented_radix_sort_implINS0_14default_configELb0EPKaPaPKlPlN2at6native12_GLOBAL__N_18offset_tEEE10hipError_tPvRmT1_PNSt15iterator_traitsIS12_E10value_typeET2_T3_PNS13_IS18_E10value_typeET4_jRbjT5_S1E_jjP12ihipStream_tbEUljE_ZNSN_ISO_Lb0ESQ_SR_ST_SU_SY_EESZ_S10_S11_S12_S16_S17_S18_S1B_S1C_jS1D_jS1E_S1E_jjS1G_bEUljE0_EEESZ_S10_S11_S18_S1C_S1E_T6_T7_T9_mT8_S1G_bDpT10_ENKUlT_T0_E_clISt17integral_constantIbLb0EES1U_EEDaS1P_S1Q_EUlS1P_E_NS1_11comp_targetILNS1_3genE3ELNS1_11target_archE908ELNS1_3gpuE7ELNS1_3repE0EEENS1_30default_config_static_selectorELNS0_4arch9wavefront6targetE1EEEvS12_
                                        ; -- End function
	.set _ZN7rocprim17ROCPRIM_400000_NS6detail17trampoline_kernelINS0_13select_configILj256ELj13ELNS0_17block_load_methodE3ELS4_3ELS4_3ELNS0_20block_scan_algorithmE0ELj4294967295EEENS1_25partition_config_selectorILNS1_17partition_subalgoE4EjNS0_10empty_typeEbEEZZNS1_14partition_implILS8_4ELb0ES6_15HIP_vector_typeIjLj2EENS0_17counting_iteratorIjlEEPS9_SG_NS0_5tupleIJPjSI_NS0_16reverse_iteratorISI_EEEEENSH_IJSG_SG_SG_EEES9_SI_JZNS1_25segmented_radix_sort_implINS0_14default_configELb0EPKaPaPKlPlN2at6native12_GLOBAL__N_18offset_tEEE10hipError_tPvRmT1_PNSt15iterator_traitsIS12_E10value_typeET2_T3_PNS13_IS18_E10value_typeET4_jRbjT5_S1E_jjP12ihipStream_tbEUljE_ZNSN_ISO_Lb0ESQ_SR_ST_SU_SY_EESZ_S10_S11_S12_S16_S17_S18_S1B_S1C_jS1D_jS1E_S1E_jjS1G_bEUljE0_EEESZ_S10_S11_S18_S1C_S1E_T6_T7_T9_mT8_S1G_bDpT10_ENKUlT_T0_E_clISt17integral_constantIbLb0EES1U_EEDaS1P_S1Q_EUlS1P_E_NS1_11comp_targetILNS1_3genE3ELNS1_11target_archE908ELNS1_3gpuE7ELNS1_3repE0EEENS1_30default_config_static_selectorELNS0_4arch9wavefront6targetE1EEEvS12_.num_vgpr, 0
	.set _ZN7rocprim17ROCPRIM_400000_NS6detail17trampoline_kernelINS0_13select_configILj256ELj13ELNS0_17block_load_methodE3ELS4_3ELS4_3ELNS0_20block_scan_algorithmE0ELj4294967295EEENS1_25partition_config_selectorILNS1_17partition_subalgoE4EjNS0_10empty_typeEbEEZZNS1_14partition_implILS8_4ELb0ES6_15HIP_vector_typeIjLj2EENS0_17counting_iteratorIjlEEPS9_SG_NS0_5tupleIJPjSI_NS0_16reverse_iteratorISI_EEEEENSH_IJSG_SG_SG_EEES9_SI_JZNS1_25segmented_radix_sort_implINS0_14default_configELb0EPKaPaPKlPlN2at6native12_GLOBAL__N_18offset_tEEE10hipError_tPvRmT1_PNSt15iterator_traitsIS12_E10value_typeET2_T3_PNS13_IS18_E10value_typeET4_jRbjT5_S1E_jjP12ihipStream_tbEUljE_ZNSN_ISO_Lb0ESQ_SR_ST_SU_SY_EESZ_S10_S11_S12_S16_S17_S18_S1B_S1C_jS1D_jS1E_S1E_jjS1G_bEUljE0_EEESZ_S10_S11_S18_S1C_S1E_T6_T7_T9_mT8_S1G_bDpT10_ENKUlT_T0_E_clISt17integral_constantIbLb0EES1U_EEDaS1P_S1Q_EUlS1P_E_NS1_11comp_targetILNS1_3genE3ELNS1_11target_archE908ELNS1_3gpuE7ELNS1_3repE0EEENS1_30default_config_static_selectorELNS0_4arch9wavefront6targetE1EEEvS12_.num_agpr, 0
	.set _ZN7rocprim17ROCPRIM_400000_NS6detail17trampoline_kernelINS0_13select_configILj256ELj13ELNS0_17block_load_methodE3ELS4_3ELS4_3ELNS0_20block_scan_algorithmE0ELj4294967295EEENS1_25partition_config_selectorILNS1_17partition_subalgoE4EjNS0_10empty_typeEbEEZZNS1_14partition_implILS8_4ELb0ES6_15HIP_vector_typeIjLj2EENS0_17counting_iteratorIjlEEPS9_SG_NS0_5tupleIJPjSI_NS0_16reverse_iteratorISI_EEEEENSH_IJSG_SG_SG_EEES9_SI_JZNS1_25segmented_radix_sort_implINS0_14default_configELb0EPKaPaPKlPlN2at6native12_GLOBAL__N_18offset_tEEE10hipError_tPvRmT1_PNSt15iterator_traitsIS12_E10value_typeET2_T3_PNS13_IS18_E10value_typeET4_jRbjT5_S1E_jjP12ihipStream_tbEUljE_ZNSN_ISO_Lb0ESQ_SR_ST_SU_SY_EESZ_S10_S11_S12_S16_S17_S18_S1B_S1C_jS1D_jS1E_S1E_jjS1G_bEUljE0_EEESZ_S10_S11_S18_S1C_S1E_T6_T7_T9_mT8_S1G_bDpT10_ENKUlT_T0_E_clISt17integral_constantIbLb0EES1U_EEDaS1P_S1Q_EUlS1P_E_NS1_11comp_targetILNS1_3genE3ELNS1_11target_archE908ELNS1_3gpuE7ELNS1_3repE0EEENS1_30default_config_static_selectorELNS0_4arch9wavefront6targetE1EEEvS12_.numbered_sgpr, 0
	.set _ZN7rocprim17ROCPRIM_400000_NS6detail17trampoline_kernelINS0_13select_configILj256ELj13ELNS0_17block_load_methodE3ELS4_3ELS4_3ELNS0_20block_scan_algorithmE0ELj4294967295EEENS1_25partition_config_selectorILNS1_17partition_subalgoE4EjNS0_10empty_typeEbEEZZNS1_14partition_implILS8_4ELb0ES6_15HIP_vector_typeIjLj2EENS0_17counting_iteratorIjlEEPS9_SG_NS0_5tupleIJPjSI_NS0_16reverse_iteratorISI_EEEEENSH_IJSG_SG_SG_EEES9_SI_JZNS1_25segmented_radix_sort_implINS0_14default_configELb0EPKaPaPKlPlN2at6native12_GLOBAL__N_18offset_tEEE10hipError_tPvRmT1_PNSt15iterator_traitsIS12_E10value_typeET2_T3_PNS13_IS18_E10value_typeET4_jRbjT5_S1E_jjP12ihipStream_tbEUljE_ZNSN_ISO_Lb0ESQ_SR_ST_SU_SY_EESZ_S10_S11_S12_S16_S17_S18_S1B_S1C_jS1D_jS1E_S1E_jjS1G_bEUljE0_EEESZ_S10_S11_S18_S1C_S1E_T6_T7_T9_mT8_S1G_bDpT10_ENKUlT_T0_E_clISt17integral_constantIbLb0EES1U_EEDaS1P_S1Q_EUlS1P_E_NS1_11comp_targetILNS1_3genE3ELNS1_11target_archE908ELNS1_3gpuE7ELNS1_3repE0EEENS1_30default_config_static_selectorELNS0_4arch9wavefront6targetE1EEEvS12_.num_named_barrier, 0
	.set _ZN7rocprim17ROCPRIM_400000_NS6detail17trampoline_kernelINS0_13select_configILj256ELj13ELNS0_17block_load_methodE3ELS4_3ELS4_3ELNS0_20block_scan_algorithmE0ELj4294967295EEENS1_25partition_config_selectorILNS1_17partition_subalgoE4EjNS0_10empty_typeEbEEZZNS1_14partition_implILS8_4ELb0ES6_15HIP_vector_typeIjLj2EENS0_17counting_iteratorIjlEEPS9_SG_NS0_5tupleIJPjSI_NS0_16reverse_iteratorISI_EEEEENSH_IJSG_SG_SG_EEES9_SI_JZNS1_25segmented_radix_sort_implINS0_14default_configELb0EPKaPaPKlPlN2at6native12_GLOBAL__N_18offset_tEEE10hipError_tPvRmT1_PNSt15iterator_traitsIS12_E10value_typeET2_T3_PNS13_IS18_E10value_typeET4_jRbjT5_S1E_jjP12ihipStream_tbEUljE_ZNSN_ISO_Lb0ESQ_SR_ST_SU_SY_EESZ_S10_S11_S12_S16_S17_S18_S1B_S1C_jS1D_jS1E_S1E_jjS1G_bEUljE0_EEESZ_S10_S11_S18_S1C_S1E_T6_T7_T9_mT8_S1G_bDpT10_ENKUlT_T0_E_clISt17integral_constantIbLb0EES1U_EEDaS1P_S1Q_EUlS1P_E_NS1_11comp_targetILNS1_3genE3ELNS1_11target_archE908ELNS1_3gpuE7ELNS1_3repE0EEENS1_30default_config_static_selectorELNS0_4arch9wavefront6targetE1EEEvS12_.private_seg_size, 0
	.set _ZN7rocprim17ROCPRIM_400000_NS6detail17trampoline_kernelINS0_13select_configILj256ELj13ELNS0_17block_load_methodE3ELS4_3ELS4_3ELNS0_20block_scan_algorithmE0ELj4294967295EEENS1_25partition_config_selectorILNS1_17partition_subalgoE4EjNS0_10empty_typeEbEEZZNS1_14partition_implILS8_4ELb0ES6_15HIP_vector_typeIjLj2EENS0_17counting_iteratorIjlEEPS9_SG_NS0_5tupleIJPjSI_NS0_16reverse_iteratorISI_EEEEENSH_IJSG_SG_SG_EEES9_SI_JZNS1_25segmented_radix_sort_implINS0_14default_configELb0EPKaPaPKlPlN2at6native12_GLOBAL__N_18offset_tEEE10hipError_tPvRmT1_PNSt15iterator_traitsIS12_E10value_typeET2_T3_PNS13_IS18_E10value_typeET4_jRbjT5_S1E_jjP12ihipStream_tbEUljE_ZNSN_ISO_Lb0ESQ_SR_ST_SU_SY_EESZ_S10_S11_S12_S16_S17_S18_S1B_S1C_jS1D_jS1E_S1E_jjS1G_bEUljE0_EEESZ_S10_S11_S18_S1C_S1E_T6_T7_T9_mT8_S1G_bDpT10_ENKUlT_T0_E_clISt17integral_constantIbLb0EES1U_EEDaS1P_S1Q_EUlS1P_E_NS1_11comp_targetILNS1_3genE3ELNS1_11target_archE908ELNS1_3gpuE7ELNS1_3repE0EEENS1_30default_config_static_selectorELNS0_4arch9wavefront6targetE1EEEvS12_.uses_vcc, 0
	.set _ZN7rocprim17ROCPRIM_400000_NS6detail17trampoline_kernelINS0_13select_configILj256ELj13ELNS0_17block_load_methodE3ELS4_3ELS4_3ELNS0_20block_scan_algorithmE0ELj4294967295EEENS1_25partition_config_selectorILNS1_17partition_subalgoE4EjNS0_10empty_typeEbEEZZNS1_14partition_implILS8_4ELb0ES6_15HIP_vector_typeIjLj2EENS0_17counting_iteratorIjlEEPS9_SG_NS0_5tupleIJPjSI_NS0_16reverse_iteratorISI_EEEEENSH_IJSG_SG_SG_EEES9_SI_JZNS1_25segmented_radix_sort_implINS0_14default_configELb0EPKaPaPKlPlN2at6native12_GLOBAL__N_18offset_tEEE10hipError_tPvRmT1_PNSt15iterator_traitsIS12_E10value_typeET2_T3_PNS13_IS18_E10value_typeET4_jRbjT5_S1E_jjP12ihipStream_tbEUljE_ZNSN_ISO_Lb0ESQ_SR_ST_SU_SY_EESZ_S10_S11_S12_S16_S17_S18_S1B_S1C_jS1D_jS1E_S1E_jjS1G_bEUljE0_EEESZ_S10_S11_S18_S1C_S1E_T6_T7_T9_mT8_S1G_bDpT10_ENKUlT_T0_E_clISt17integral_constantIbLb0EES1U_EEDaS1P_S1Q_EUlS1P_E_NS1_11comp_targetILNS1_3genE3ELNS1_11target_archE908ELNS1_3gpuE7ELNS1_3repE0EEENS1_30default_config_static_selectorELNS0_4arch9wavefront6targetE1EEEvS12_.uses_flat_scratch, 0
	.set _ZN7rocprim17ROCPRIM_400000_NS6detail17trampoline_kernelINS0_13select_configILj256ELj13ELNS0_17block_load_methodE3ELS4_3ELS4_3ELNS0_20block_scan_algorithmE0ELj4294967295EEENS1_25partition_config_selectorILNS1_17partition_subalgoE4EjNS0_10empty_typeEbEEZZNS1_14partition_implILS8_4ELb0ES6_15HIP_vector_typeIjLj2EENS0_17counting_iteratorIjlEEPS9_SG_NS0_5tupleIJPjSI_NS0_16reverse_iteratorISI_EEEEENSH_IJSG_SG_SG_EEES9_SI_JZNS1_25segmented_radix_sort_implINS0_14default_configELb0EPKaPaPKlPlN2at6native12_GLOBAL__N_18offset_tEEE10hipError_tPvRmT1_PNSt15iterator_traitsIS12_E10value_typeET2_T3_PNS13_IS18_E10value_typeET4_jRbjT5_S1E_jjP12ihipStream_tbEUljE_ZNSN_ISO_Lb0ESQ_SR_ST_SU_SY_EESZ_S10_S11_S12_S16_S17_S18_S1B_S1C_jS1D_jS1E_S1E_jjS1G_bEUljE0_EEESZ_S10_S11_S18_S1C_S1E_T6_T7_T9_mT8_S1G_bDpT10_ENKUlT_T0_E_clISt17integral_constantIbLb0EES1U_EEDaS1P_S1Q_EUlS1P_E_NS1_11comp_targetILNS1_3genE3ELNS1_11target_archE908ELNS1_3gpuE7ELNS1_3repE0EEENS1_30default_config_static_selectorELNS0_4arch9wavefront6targetE1EEEvS12_.has_dyn_sized_stack, 0
	.set _ZN7rocprim17ROCPRIM_400000_NS6detail17trampoline_kernelINS0_13select_configILj256ELj13ELNS0_17block_load_methodE3ELS4_3ELS4_3ELNS0_20block_scan_algorithmE0ELj4294967295EEENS1_25partition_config_selectorILNS1_17partition_subalgoE4EjNS0_10empty_typeEbEEZZNS1_14partition_implILS8_4ELb0ES6_15HIP_vector_typeIjLj2EENS0_17counting_iteratorIjlEEPS9_SG_NS0_5tupleIJPjSI_NS0_16reverse_iteratorISI_EEEEENSH_IJSG_SG_SG_EEES9_SI_JZNS1_25segmented_radix_sort_implINS0_14default_configELb0EPKaPaPKlPlN2at6native12_GLOBAL__N_18offset_tEEE10hipError_tPvRmT1_PNSt15iterator_traitsIS12_E10value_typeET2_T3_PNS13_IS18_E10value_typeET4_jRbjT5_S1E_jjP12ihipStream_tbEUljE_ZNSN_ISO_Lb0ESQ_SR_ST_SU_SY_EESZ_S10_S11_S12_S16_S17_S18_S1B_S1C_jS1D_jS1E_S1E_jjS1G_bEUljE0_EEESZ_S10_S11_S18_S1C_S1E_T6_T7_T9_mT8_S1G_bDpT10_ENKUlT_T0_E_clISt17integral_constantIbLb0EES1U_EEDaS1P_S1Q_EUlS1P_E_NS1_11comp_targetILNS1_3genE3ELNS1_11target_archE908ELNS1_3gpuE7ELNS1_3repE0EEENS1_30default_config_static_selectorELNS0_4arch9wavefront6targetE1EEEvS12_.has_recursion, 0
	.set _ZN7rocprim17ROCPRIM_400000_NS6detail17trampoline_kernelINS0_13select_configILj256ELj13ELNS0_17block_load_methodE3ELS4_3ELS4_3ELNS0_20block_scan_algorithmE0ELj4294967295EEENS1_25partition_config_selectorILNS1_17partition_subalgoE4EjNS0_10empty_typeEbEEZZNS1_14partition_implILS8_4ELb0ES6_15HIP_vector_typeIjLj2EENS0_17counting_iteratorIjlEEPS9_SG_NS0_5tupleIJPjSI_NS0_16reverse_iteratorISI_EEEEENSH_IJSG_SG_SG_EEES9_SI_JZNS1_25segmented_radix_sort_implINS0_14default_configELb0EPKaPaPKlPlN2at6native12_GLOBAL__N_18offset_tEEE10hipError_tPvRmT1_PNSt15iterator_traitsIS12_E10value_typeET2_T3_PNS13_IS18_E10value_typeET4_jRbjT5_S1E_jjP12ihipStream_tbEUljE_ZNSN_ISO_Lb0ESQ_SR_ST_SU_SY_EESZ_S10_S11_S12_S16_S17_S18_S1B_S1C_jS1D_jS1E_S1E_jjS1G_bEUljE0_EEESZ_S10_S11_S18_S1C_S1E_T6_T7_T9_mT8_S1G_bDpT10_ENKUlT_T0_E_clISt17integral_constantIbLb0EES1U_EEDaS1P_S1Q_EUlS1P_E_NS1_11comp_targetILNS1_3genE3ELNS1_11target_archE908ELNS1_3gpuE7ELNS1_3repE0EEENS1_30default_config_static_selectorELNS0_4arch9wavefront6targetE1EEEvS12_.has_indirect_call, 0
	.section	.AMDGPU.csdata,"",@progbits
; Kernel info:
; codeLenInByte = 0
; TotalNumSgprs: 4
; NumVgprs: 0
; ScratchSize: 0
; MemoryBound: 0
; FloatMode: 240
; IeeeMode: 1
; LDSByteSize: 0 bytes/workgroup (compile time only)
; SGPRBlocks: 0
; VGPRBlocks: 0
; NumSGPRsForWavesPerEU: 4
; NumVGPRsForWavesPerEU: 1
; Occupancy: 10
; WaveLimiterHint : 0
; COMPUTE_PGM_RSRC2:SCRATCH_EN: 0
; COMPUTE_PGM_RSRC2:USER_SGPR: 6
; COMPUTE_PGM_RSRC2:TRAP_HANDLER: 0
; COMPUTE_PGM_RSRC2:TGID_X_EN: 1
; COMPUTE_PGM_RSRC2:TGID_Y_EN: 0
; COMPUTE_PGM_RSRC2:TGID_Z_EN: 0
; COMPUTE_PGM_RSRC2:TIDIG_COMP_CNT: 0
	.section	.text._ZN7rocprim17ROCPRIM_400000_NS6detail17trampoline_kernelINS0_13select_configILj256ELj13ELNS0_17block_load_methodE3ELS4_3ELS4_3ELNS0_20block_scan_algorithmE0ELj4294967295EEENS1_25partition_config_selectorILNS1_17partition_subalgoE4EjNS0_10empty_typeEbEEZZNS1_14partition_implILS8_4ELb0ES6_15HIP_vector_typeIjLj2EENS0_17counting_iteratorIjlEEPS9_SG_NS0_5tupleIJPjSI_NS0_16reverse_iteratorISI_EEEEENSH_IJSG_SG_SG_EEES9_SI_JZNS1_25segmented_radix_sort_implINS0_14default_configELb0EPKaPaPKlPlN2at6native12_GLOBAL__N_18offset_tEEE10hipError_tPvRmT1_PNSt15iterator_traitsIS12_E10value_typeET2_T3_PNS13_IS18_E10value_typeET4_jRbjT5_S1E_jjP12ihipStream_tbEUljE_ZNSN_ISO_Lb0ESQ_SR_ST_SU_SY_EESZ_S10_S11_S12_S16_S17_S18_S1B_S1C_jS1D_jS1E_S1E_jjS1G_bEUljE0_EEESZ_S10_S11_S18_S1C_S1E_T6_T7_T9_mT8_S1G_bDpT10_ENKUlT_T0_E_clISt17integral_constantIbLb0EES1U_EEDaS1P_S1Q_EUlS1P_E_NS1_11comp_targetILNS1_3genE2ELNS1_11target_archE906ELNS1_3gpuE6ELNS1_3repE0EEENS1_30default_config_static_selectorELNS0_4arch9wavefront6targetE1EEEvS12_,"axG",@progbits,_ZN7rocprim17ROCPRIM_400000_NS6detail17trampoline_kernelINS0_13select_configILj256ELj13ELNS0_17block_load_methodE3ELS4_3ELS4_3ELNS0_20block_scan_algorithmE0ELj4294967295EEENS1_25partition_config_selectorILNS1_17partition_subalgoE4EjNS0_10empty_typeEbEEZZNS1_14partition_implILS8_4ELb0ES6_15HIP_vector_typeIjLj2EENS0_17counting_iteratorIjlEEPS9_SG_NS0_5tupleIJPjSI_NS0_16reverse_iteratorISI_EEEEENSH_IJSG_SG_SG_EEES9_SI_JZNS1_25segmented_radix_sort_implINS0_14default_configELb0EPKaPaPKlPlN2at6native12_GLOBAL__N_18offset_tEEE10hipError_tPvRmT1_PNSt15iterator_traitsIS12_E10value_typeET2_T3_PNS13_IS18_E10value_typeET4_jRbjT5_S1E_jjP12ihipStream_tbEUljE_ZNSN_ISO_Lb0ESQ_SR_ST_SU_SY_EESZ_S10_S11_S12_S16_S17_S18_S1B_S1C_jS1D_jS1E_S1E_jjS1G_bEUljE0_EEESZ_S10_S11_S18_S1C_S1E_T6_T7_T9_mT8_S1G_bDpT10_ENKUlT_T0_E_clISt17integral_constantIbLb0EES1U_EEDaS1P_S1Q_EUlS1P_E_NS1_11comp_targetILNS1_3genE2ELNS1_11target_archE906ELNS1_3gpuE6ELNS1_3repE0EEENS1_30default_config_static_selectorELNS0_4arch9wavefront6targetE1EEEvS12_,comdat
	.globl	_ZN7rocprim17ROCPRIM_400000_NS6detail17trampoline_kernelINS0_13select_configILj256ELj13ELNS0_17block_load_methodE3ELS4_3ELS4_3ELNS0_20block_scan_algorithmE0ELj4294967295EEENS1_25partition_config_selectorILNS1_17partition_subalgoE4EjNS0_10empty_typeEbEEZZNS1_14partition_implILS8_4ELb0ES6_15HIP_vector_typeIjLj2EENS0_17counting_iteratorIjlEEPS9_SG_NS0_5tupleIJPjSI_NS0_16reverse_iteratorISI_EEEEENSH_IJSG_SG_SG_EEES9_SI_JZNS1_25segmented_radix_sort_implINS0_14default_configELb0EPKaPaPKlPlN2at6native12_GLOBAL__N_18offset_tEEE10hipError_tPvRmT1_PNSt15iterator_traitsIS12_E10value_typeET2_T3_PNS13_IS18_E10value_typeET4_jRbjT5_S1E_jjP12ihipStream_tbEUljE_ZNSN_ISO_Lb0ESQ_SR_ST_SU_SY_EESZ_S10_S11_S12_S16_S17_S18_S1B_S1C_jS1D_jS1E_S1E_jjS1G_bEUljE0_EEESZ_S10_S11_S18_S1C_S1E_T6_T7_T9_mT8_S1G_bDpT10_ENKUlT_T0_E_clISt17integral_constantIbLb0EES1U_EEDaS1P_S1Q_EUlS1P_E_NS1_11comp_targetILNS1_3genE2ELNS1_11target_archE906ELNS1_3gpuE6ELNS1_3repE0EEENS1_30default_config_static_selectorELNS0_4arch9wavefront6targetE1EEEvS12_ ; -- Begin function _ZN7rocprim17ROCPRIM_400000_NS6detail17trampoline_kernelINS0_13select_configILj256ELj13ELNS0_17block_load_methodE3ELS4_3ELS4_3ELNS0_20block_scan_algorithmE0ELj4294967295EEENS1_25partition_config_selectorILNS1_17partition_subalgoE4EjNS0_10empty_typeEbEEZZNS1_14partition_implILS8_4ELb0ES6_15HIP_vector_typeIjLj2EENS0_17counting_iteratorIjlEEPS9_SG_NS0_5tupleIJPjSI_NS0_16reverse_iteratorISI_EEEEENSH_IJSG_SG_SG_EEES9_SI_JZNS1_25segmented_radix_sort_implINS0_14default_configELb0EPKaPaPKlPlN2at6native12_GLOBAL__N_18offset_tEEE10hipError_tPvRmT1_PNSt15iterator_traitsIS12_E10value_typeET2_T3_PNS13_IS18_E10value_typeET4_jRbjT5_S1E_jjP12ihipStream_tbEUljE_ZNSN_ISO_Lb0ESQ_SR_ST_SU_SY_EESZ_S10_S11_S12_S16_S17_S18_S1B_S1C_jS1D_jS1E_S1E_jjS1G_bEUljE0_EEESZ_S10_S11_S18_S1C_S1E_T6_T7_T9_mT8_S1G_bDpT10_ENKUlT_T0_E_clISt17integral_constantIbLb0EES1U_EEDaS1P_S1Q_EUlS1P_E_NS1_11comp_targetILNS1_3genE2ELNS1_11target_archE906ELNS1_3gpuE6ELNS1_3repE0EEENS1_30default_config_static_selectorELNS0_4arch9wavefront6targetE1EEEvS12_
	.p2align	8
	.type	_ZN7rocprim17ROCPRIM_400000_NS6detail17trampoline_kernelINS0_13select_configILj256ELj13ELNS0_17block_load_methodE3ELS4_3ELS4_3ELNS0_20block_scan_algorithmE0ELj4294967295EEENS1_25partition_config_selectorILNS1_17partition_subalgoE4EjNS0_10empty_typeEbEEZZNS1_14partition_implILS8_4ELb0ES6_15HIP_vector_typeIjLj2EENS0_17counting_iteratorIjlEEPS9_SG_NS0_5tupleIJPjSI_NS0_16reverse_iteratorISI_EEEEENSH_IJSG_SG_SG_EEES9_SI_JZNS1_25segmented_radix_sort_implINS0_14default_configELb0EPKaPaPKlPlN2at6native12_GLOBAL__N_18offset_tEEE10hipError_tPvRmT1_PNSt15iterator_traitsIS12_E10value_typeET2_T3_PNS13_IS18_E10value_typeET4_jRbjT5_S1E_jjP12ihipStream_tbEUljE_ZNSN_ISO_Lb0ESQ_SR_ST_SU_SY_EESZ_S10_S11_S12_S16_S17_S18_S1B_S1C_jS1D_jS1E_S1E_jjS1G_bEUljE0_EEESZ_S10_S11_S18_S1C_S1E_T6_T7_T9_mT8_S1G_bDpT10_ENKUlT_T0_E_clISt17integral_constantIbLb0EES1U_EEDaS1P_S1Q_EUlS1P_E_NS1_11comp_targetILNS1_3genE2ELNS1_11target_archE906ELNS1_3gpuE6ELNS1_3repE0EEENS1_30default_config_static_selectorELNS0_4arch9wavefront6targetE1EEEvS12_,@function
_ZN7rocprim17ROCPRIM_400000_NS6detail17trampoline_kernelINS0_13select_configILj256ELj13ELNS0_17block_load_methodE3ELS4_3ELS4_3ELNS0_20block_scan_algorithmE0ELj4294967295EEENS1_25partition_config_selectorILNS1_17partition_subalgoE4EjNS0_10empty_typeEbEEZZNS1_14partition_implILS8_4ELb0ES6_15HIP_vector_typeIjLj2EENS0_17counting_iteratorIjlEEPS9_SG_NS0_5tupleIJPjSI_NS0_16reverse_iteratorISI_EEEEENSH_IJSG_SG_SG_EEES9_SI_JZNS1_25segmented_radix_sort_implINS0_14default_configELb0EPKaPaPKlPlN2at6native12_GLOBAL__N_18offset_tEEE10hipError_tPvRmT1_PNSt15iterator_traitsIS12_E10value_typeET2_T3_PNS13_IS18_E10value_typeET4_jRbjT5_S1E_jjP12ihipStream_tbEUljE_ZNSN_ISO_Lb0ESQ_SR_ST_SU_SY_EESZ_S10_S11_S12_S16_S17_S18_S1B_S1C_jS1D_jS1E_S1E_jjS1G_bEUljE0_EEESZ_S10_S11_S18_S1C_S1E_T6_T7_T9_mT8_S1G_bDpT10_ENKUlT_T0_E_clISt17integral_constantIbLb0EES1U_EEDaS1P_S1Q_EUlS1P_E_NS1_11comp_targetILNS1_3genE2ELNS1_11target_archE906ELNS1_3gpuE6ELNS1_3repE0EEENS1_30default_config_static_selectorELNS0_4arch9wavefront6targetE1EEEvS12_: ; @_ZN7rocprim17ROCPRIM_400000_NS6detail17trampoline_kernelINS0_13select_configILj256ELj13ELNS0_17block_load_methodE3ELS4_3ELS4_3ELNS0_20block_scan_algorithmE0ELj4294967295EEENS1_25partition_config_selectorILNS1_17partition_subalgoE4EjNS0_10empty_typeEbEEZZNS1_14partition_implILS8_4ELb0ES6_15HIP_vector_typeIjLj2EENS0_17counting_iteratorIjlEEPS9_SG_NS0_5tupleIJPjSI_NS0_16reverse_iteratorISI_EEEEENSH_IJSG_SG_SG_EEES9_SI_JZNS1_25segmented_radix_sort_implINS0_14default_configELb0EPKaPaPKlPlN2at6native12_GLOBAL__N_18offset_tEEE10hipError_tPvRmT1_PNSt15iterator_traitsIS12_E10value_typeET2_T3_PNS13_IS18_E10value_typeET4_jRbjT5_S1E_jjP12ihipStream_tbEUljE_ZNSN_ISO_Lb0ESQ_SR_ST_SU_SY_EESZ_S10_S11_S12_S16_S17_S18_S1B_S1C_jS1D_jS1E_S1E_jjS1G_bEUljE0_EEESZ_S10_S11_S18_S1C_S1E_T6_T7_T9_mT8_S1G_bDpT10_ENKUlT_T0_E_clISt17integral_constantIbLb0EES1U_EEDaS1P_S1Q_EUlS1P_E_NS1_11comp_targetILNS1_3genE2ELNS1_11target_archE906ELNS1_3gpuE6ELNS1_3repE0EEENS1_30default_config_static_selectorELNS0_4arch9wavefront6targetE1EEEvS12_
; %bb.0:
	s_load_dwordx2 s[0:1], s[4:5], 0x68
	s_load_dwordx4 s[44:47], s[4:5], 0x58
	s_load_dword s8, s[4:5], 0x8
	s_load_dwordx2 s[56:57], s[4:5], 0x10
	s_load_dword s7, s[4:5], 0x80
	s_load_dwordx2 s[58:59], s[4:5], 0xa8
	s_load_dwordx8 s[36:43], s[4:5], 0x88
	s_waitcnt lgkmcnt(0)
	s_load_dwordx4 s[48:51], s[46:47], 0x0
	s_mul_i32 s33, s6, 0xd00
	s_add_i32 s9, s7, -1
	s_mulk_i32 s7, 0xd00
	s_add_u32 s2, s56, s7
	s_addc_u32 s3, s57, 0
	v_mov_b32_e32 v1, s2
	v_mov_b32_e32 v2, s3
	s_cmp_eq_u32 s6, s9
	v_cmp_gt_u64_e32 vcc, s[0:1], v[1:2]
	s_cselect_b64 s[34:35], -1, 0
	s_cmp_lg_u32 s6, s9
	s_cselect_b64 s[2:3], -1, 0
	s_add_i32 s1, s8, s33
	s_or_b64 s[2:3], s[2:3], vcc
	s_add_i32 s1, s1, s56
	s_mov_b64 s[8:9], -1
	s_and_b64 vcc, exec, s[2:3]
	v_add_u32_e32 v1, s1, v0
	s_cbranch_vccz .LBB333_2
; %bb.1:
	v_add_u32_e32 v2, 0x100, v1
	v_lshlrev_b32_e32 v14, 2, v0
	v_add_u32_e32 v3, 0x200, v1
	v_add_u32_e32 v4, 0x300, v1
	;; [unrolled: 1-line block ×11, first 2 shown]
	ds_write2st64_b32 v14, v1, v2 offset1:4
	ds_write2st64_b32 v14, v3, v4 offset0:8 offset1:12
	ds_write2st64_b32 v14, v5, v6 offset0:16 offset1:20
	;; [unrolled: 1-line block ×5, first 2 shown]
	ds_write_b32 v14, v13 offset:12288
	s_waitcnt lgkmcnt(0)
	s_barrier
	s_mov_b64 s[8:9], 0
.LBB333_2:
	s_andn2_b64 vcc, exec, s[8:9]
	s_add_i32 s7, s7, s56
	s_cbranch_vccnz .LBB333_4
; %bb.3:
	v_add_u32_e32 v2, 0x100, v1
	v_lshlrev_b32_e32 v14, 2, v0
	v_add_u32_e32 v3, 0x200, v1
	v_add_u32_e32 v4, 0x300, v1
	;; [unrolled: 1-line block ×11, first 2 shown]
	ds_write2st64_b32 v14, v1, v2 offset1:4
	ds_write2st64_b32 v14, v3, v4 offset0:8 offset1:12
	ds_write2st64_b32 v14, v5, v6 offset0:16 offset1:20
	;; [unrolled: 1-line block ×5, first 2 shown]
	ds_write_b32 v14, v13 offset:12288
	s_waitcnt lgkmcnt(0)
	s_barrier
.LBB333_4:
	v_mul_u32_u24_e32 v30, 13, v0
	v_lshlrev_b32_e32 v1, 2, v30
	s_load_dwordx4 s[52:55], s[4:5], 0x28
	s_load_dwordx2 s[46:47], s[4:5], 0x38
	s_waitcnt lgkmcnt(0)
	ds_read_b32 v29, v1 offset:48
	ds_read2_b32 v[9:10], v1 offset0:10 offset1:11
	ds_read2_b32 v[11:12], v1 offset0:8 offset1:9
	;; [unrolled: 1-line block ×4, first 2 shown]
	ds_read2_b32 v[19:20], v1 offset1:1
	ds_read2_b32 v[17:18], v1 offset0:2 offset1:3
	v_cndmask_b32_e64 v1, 0, 1, s[2:3]
	s_sub_i32 s7, s0, s7
	v_cmp_ne_u32_e64 s[0:1], 1, v1
	s_andn2_b64 vcc, exec, s[2:3]
	s_waitcnt lgkmcnt(0)
	s_barrier
	s_cbranch_vccnz .LBB333_32
; %bb.5:
	v_add_u32_e32 v1, s37, v19
	v_add_u32_e32 v2, s39, v19
	v_mul_lo_u32 v1, v1, s36
	v_mul_lo_u32 v2, v2, s38
	s_mov_b64 s[62:63], 0
	s_mov_b64 s[60:61], 0
	v_sub_u32_e32 v1, v1, v2
	v_cmp_lt_u32_e32 vcc, s40, v1
	v_cmp_ge_u32_e64 s[2:3], s40, v1
	s_and_saveexec_b64 s[8:9], s[2:3]
	s_cbranch_execz .LBB333_7
; %bb.6:
	v_add_u32_e32 v1, s42, v19
	v_add_u32_e32 v2, s58, v19
	v_mul_lo_u32 v1, v1, s41
	v_mul_lo_u32 v2, v2, s43
	v_sub_u32_e32 v1, v1, v2
	v_cmp_lt_u32_e64 s[2:3], s59, v1
	s_and_b64 s[60:61], s[2:3], exec
.LBB333_7:
	s_or_b64 exec, exec, s[8:9]
	v_add_u32_e32 v1, s37, v20
	v_add_u32_e32 v2, s39, v20
	v_mul_lo_u32 v1, v1, s36
	v_mul_lo_u32 v2, v2, s38
	v_sub_u32_e32 v1, v1, v2
	v_cmp_lt_u32_e64 s[2:3], s40, v1
	v_cmp_ge_u32_e64 s[8:9], s40, v1
	s_and_saveexec_b64 s[10:11], s[8:9]
	s_cbranch_execz .LBB333_9
; %bb.8:
	v_add_u32_e32 v1, s42, v20
	v_add_u32_e32 v2, s58, v20
	v_mul_lo_u32 v1, v1, s41
	v_mul_lo_u32 v2, v2, s43
	v_sub_u32_e32 v1, v1, v2
	v_cmp_lt_u32_e64 s[8:9], s59, v1
	s_and_b64 s[62:63], s[8:9], exec
.LBB333_9:
	s_or_b64 exec, exec, s[10:11]
	v_add_u32_e32 v1, s37, v17
	v_add_u32_e32 v2, s39, v17
	v_mul_lo_u32 v1, v1, s36
	v_mul_lo_u32 v2, v2, s38
	s_mov_b64 s[66:67], 0
	s_mov_b64 s[64:65], 0
	v_sub_u32_e32 v1, v1, v2
	v_cmp_lt_u32_e64 s[28:29], s40, v1
	v_cmp_ge_u32_e64 s[8:9], s40, v1
	s_and_saveexec_b64 s[10:11], s[8:9]
	s_cbranch_execz .LBB333_11
; %bb.10:
	v_add_u32_e32 v1, s42, v17
	v_add_u32_e32 v2, s58, v17
	v_mul_lo_u32 v1, v1, s41
	v_mul_lo_u32 v2, v2, s43
	v_sub_u32_e32 v1, v1, v2
	v_cmp_lt_u32_e64 s[8:9], s59, v1
	s_and_b64 s[64:65], s[8:9], exec
.LBB333_11:
	s_or_b64 exec, exec, s[10:11]
	v_add_u32_e32 v1, s37, v18
	v_add_u32_e32 v2, s39, v18
	v_mul_lo_u32 v1, v1, s36
	v_mul_lo_u32 v2, v2, s38
	v_sub_u32_e32 v1, v1, v2
	v_cmp_lt_u32_e64 s[8:9], s40, v1
	v_cmp_ge_u32_e64 s[10:11], s40, v1
	s_and_saveexec_b64 s[12:13], s[10:11]
	s_cbranch_execz .LBB333_13
; %bb.12:
	v_add_u32_e32 v1, s42, v18
	v_add_u32_e32 v2, s58, v18
	v_mul_lo_u32 v1, v1, s41
	v_mul_lo_u32 v2, v2, s43
	v_sub_u32_e32 v1, v1, v2
	v_cmp_lt_u32_e64 s[10:11], s59, v1
	s_and_b64 s[66:67], s[10:11], exec
.LBB333_13:
	s_or_b64 exec, exec, s[12:13]
	v_add_u32_e32 v1, s37, v15
	v_add_u32_e32 v2, s39, v15
	v_mul_lo_u32 v1, v1, s36
	v_mul_lo_u32 v2, v2, s38
	s_mov_b64 s[70:71], 0
	s_mov_b64 s[68:69], 0
	v_sub_u32_e32 v1, v1, v2
	v_cmp_lt_u32_e64 s[10:11], s40, v1
	v_cmp_ge_u32_e64 s[12:13], s40, v1
	s_and_saveexec_b64 s[14:15], s[12:13]
	s_cbranch_execz .LBB333_15
; %bb.14:
	v_add_u32_e32 v1, s42, v15
	v_add_u32_e32 v2, s58, v15
	v_mul_lo_u32 v1, v1, s41
	v_mul_lo_u32 v2, v2, s43
	v_sub_u32_e32 v1, v1, v2
	v_cmp_lt_u32_e64 s[12:13], s59, v1
	s_and_b64 s[68:69], s[12:13], exec
.LBB333_15:
	s_or_b64 exec, exec, s[14:15]
	v_add_u32_e32 v1, s37, v16
	v_add_u32_e32 v2, s39, v16
	v_mul_lo_u32 v1, v1, s36
	v_mul_lo_u32 v2, v2, s38
	v_sub_u32_e32 v1, v1, v2
	v_cmp_lt_u32_e64 s[12:13], s40, v1
	v_cmp_ge_u32_e64 s[14:15], s40, v1
	s_and_saveexec_b64 s[16:17], s[14:15]
	s_cbranch_execz .LBB333_17
; %bb.16:
	v_add_u32_e32 v1, s42, v16
	v_add_u32_e32 v2, s58, v16
	v_mul_lo_u32 v1, v1, s41
	v_mul_lo_u32 v2, v2, s43
	v_sub_u32_e32 v1, v1, v2
	v_cmp_lt_u32_e64 s[14:15], s59, v1
	s_and_b64 s[70:71], s[14:15], exec
.LBB333_17:
	s_or_b64 exec, exec, s[16:17]
	v_add_u32_e32 v1, s37, v13
	v_add_u32_e32 v2, s39, v13
	v_mul_lo_u32 v1, v1, s36
	v_mul_lo_u32 v2, v2, s38
	s_mov_b64 s[74:75], 0
	s_mov_b64 s[72:73], 0
	v_sub_u32_e32 v1, v1, v2
	v_cmp_lt_u32_e64 s[14:15], s40, v1
	v_cmp_ge_u32_e64 s[16:17], s40, v1
	s_and_saveexec_b64 s[18:19], s[16:17]
	s_cbranch_execz .LBB333_19
; %bb.18:
	v_add_u32_e32 v1, s42, v13
	v_add_u32_e32 v2, s58, v13
	v_mul_lo_u32 v1, v1, s41
	v_mul_lo_u32 v2, v2, s43
	v_sub_u32_e32 v1, v1, v2
	v_cmp_lt_u32_e64 s[16:17], s59, v1
	s_and_b64 s[72:73], s[16:17], exec
.LBB333_19:
	s_or_b64 exec, exec, s[18:19]
	v_add_u32_e32 v1, s37, v14
	v_add_u32_e32 v2, s39, v14
	v_mul_lo_u32 v1, v1, s36
	v_mul_lo_u32 v2, v2, s38
	v_sub_u32_e32 v1, v1, v2
	v_cmp_lt_u32_e64 s[16:17], s40, v1
	v_cmp_ge_u32_e64 s[18:19], s40, v1
	s_and_saveexec_b64 s[20:21], s[18:19]
	s_cbranch_execz .LBB333_21
; %bb.20:
	v_add_u32_e32 v1, s42, v14
	v_add_u32_e32 v2, s58, v14
	v_mul_lo_u32 v1, v1, s41
	v_mul_lo_u32 v2, v2, s43
	v_sub_u32_e32 v1, v1, v2
	v_cmp_lt_u32_e64 s[18:19], s59, v1
	s_and_b64 s[74:75], s[18:19], exec
.LBB333_21:
	s_or_b64 exec, exec, s[20:21]
	v_add_u32_e32 v1, s37, v11
	v_add_u32_e32 v2, s39, v11
	v_mul_lo_u32 v1, v1, s36
	v_mul_lo_u32 v2, v2, s38
	s_mov_b64 s[78:79], 0
	s_mov_b64 s[76:77], 0
	v_sub_u32_e32 v1, v1, v2
	v_cmp_lt_u32_e64 s[18:19], s40, v1
	v_cmp_ge_u32_e64 s[20:21], s40, v1
	s_and_saveexec_b64 s[22:23], s[20:21]
	s_cbranch_execz .LBB333_23
; %bb.22:
	v_add_u32_e32 v1, s42, v11
	v_add_u32_e32 v2, s58, v11
	v_mul_lo_u32 v1, v1, s41
	v_mul_lo_u32 v2, v2, s43
	v_sub_u32_e32 v1, v1, v2
	v_cmp_lt_u32_e64 s[20:21], s59, v1
	s_and_b64 s[76:77], s[20:21], exec
.LBB333_23:
	s_or_b64 exec, exec, s[22:23]
	v_add_u32_e32 v1, s37, v12
	v_add_u32_e32 v2, s39, v12
	v_mul_lo_u32 v1, v1, s36
	v_mul_lo_u32 v2, v2, s38
	v_sub_u32_e32 v1, v1, v2
	v_cmp_lt_u32_e64 s[20:21], s40, v1
	v_cmp_ge_u32_e64 s[22:23], s40, v1
	s_and_saveexec_b64 s[24:25], s[22:23]
	s_cbranch_execz .LBB333_25
; %bb.24:
	v_add_u32_e32 v1, s42, v12
	v_add_u32_e32 v2, s58, v12
	v_mul_lo_u32 v1, v1, s41
	v_mul_lo_u32 v2, v2, s43
	v_sub_u32_e32 v1, v1, v2
	v_cmp_lt_u32_e64 s[22:23], s59, v1
	s_and_b64 s[78:79], s[22:23], exec
.LBB333_25:
	s_or_b64 exec, exec, s[24:25]
	v_add_u32_e32 v1, s37, v9
	v_add_u32_e32 v2, s39, v9
	v_mul_lo_u32 v1, v1, s36
	v_mul_lo_u32 v2, v2, s38
	s_mov_b64 s[82:83], 0
	s_mov_b64 s[84:85], 0
	v_sub_u32_e32 v1, v1, v2
	v_cmp_lt_u32_e64 s[22:23], s40, v1
	v_cmp_ge_u32_e64 s[24:25], s40, v1
	s_and_saveexec_b64 s[26:27], s[24:25]
	s_cbranch_execz .LBB333_27
; %bb.26:
	v_add_u32_e32 v1, s42, v9
	v_add_u32_e32 v2, s58, v9
	v_mul_lo_u32 v1, v1, s41
	v_mul_lo_u32 v2, v2, s43
	v_sub_u32_e32 v1, v1, v2
	v_cmp_lt_u32_e64 s[24:25], s59, v1
	s_and_b64 s[84:85], s[24:25], exec
.LBB333_27:
	s_or_b64 exec, exec, s[26:27]
	v_add_u32_e32 v1, s37, v10
	v_add_u32_e32 v2, s39, v10
	v_mul_lo_u32 v1, v1, s36
	v_mul_lo_u32 v2, v2, s38
	v_sub_u32_e32 v1, v1, v2
	v_cmp_lt_u32_e64 s[24:25], s40, v1
	v_cmp_ge_u32_e64 s[26:27], s40, v1
	s_and_saveexec_b64 s[30:31], s[26:27]
	s_cbranch_execz .LBB333_29
; %bb.28:
	v_add_u32_e32 v1, s42, v10
	v_add_u32_e32 v2, s58, v10
	v_mul_lo_u32 v1, v1, s41
	v_mul_lo_u32 v2, v2, s43
	v_sub_u32_e32 v1, v1, v2
	v_cmp_lt_u32_e64 s[26:27], s59, v1
	s_and_b64 s[82:83], s[26:27], exec
.LBB333_29:
	s_or_b64 exec, exec, s[30:31]
	v_add_u32_e32 v1, s37, v29
	v_add_u32_e32 v2, s39, v29
	v_mul_lo_u32 v1, v1, s36
	v_mul_lo_u32 v2, v2, s38
	s_mov_b64 s[80:81], 0
	s_mov_b64 s[86:87], 0
	v_sub_u32_e32 v1, v1, v2
	v_cmp_lt_u32_e64 s[26:27], s40, v1
	v_cmp_ge_u32_e64 s[30:31], s40, v1
	s_and_saveexec_b64 s[88:89], s[30:31]
	s_cbranch_execz .LBB333_31
; %bb.30:
	v_add_u32_e32 v1, s42, v29
	v_add_u32_e32 v2, s58, v29
	v_mul_lo_u32 v1, v1, s41
	v_mul_lo_u32 v2, v2, s43
	v_sub_u32_e32 v1, v1, v2
	v_cmp_lt_u32_e64 s[30:31], s59, v1
	s_and_b64 s[86:87], s[30:31], exec
.LBB333_31:
	s_or_b64 exec, exec, s[88:89]
	v_cndmask_b32_e64 v2, 0, 1, s[2:3]
	v_cndmask_b32_e64 v1, 0, 1, vcc
	v_cndmask_b32_e64 v4, 0, 1, s[8:9]
	v_lshlrev_b16_e32 v2, 8, v2
	v_cndmask_b32_e64 v3, 0, 1, s[28:29]
	v_or_b32_e32 v1, v1, v2
	v_lshlrev_b16_e32 v2, 8, v4
	v_cndmask_b32_e64 v6, 0, 1, s[12:13]
	v_cndmask_b32_e64 v8, 0, 1, s[16:17]
	v_or_b32_sdwa v2, v3, v2 dst_sel:WORD_1 dst_unused:UNUSED_PAD src0_sel:DWORD src1_sel:DWORD
	v_cndmask_b32_e64 v5, 0, 1, s[10:11]
	v_cndmask_b32_e64 v7, 0, 1, s[14:15]
	v_or_b32_sdwa v31, v1, v2 dst_sel:DWORD dst_unused:UNUSED_PAD src0_sel:WORD_0 src1_sel:DWORD
	v_lshlrev_b16_e32 v1, 8, v6
	v_lshlrev_b16_e32 v2, 8, v8
	v_cndmask_b32_e64 v22, 0, 1, s[20:21]
	v_cndmask_b32_e64 v25, 0, 1, s[24:25]
	v_or_b32_e32 v1, v5, v1
	v_or_b32_sdwa v2, v7, v2 dst_sel:WORD_1 dst_unused:UNUSED_PAD src0_sel:DWORD src1_sel:DWORD
	v_cndmask_b32_e64 v21, 0, 1, s[18:19]
	v_cndmask_b32_e64 v23, 0, 1, s[22:23]
	v_or_b32_sdwa v33, v1, v2 dst_sel:DWORD dst_unused:UNUSED_PAD src0_sel:WORD_0 src1_sel:DWORD
	v_lshlrev_b16_e32 v1, 8, v22
	v_lshlrev_b16_e32 v2, 8, v25
	v_cndmask_b32_e64 v37, 0, 1, s[64:65]
	v_cndmask_b32_e64 v42, 0, 1, s[60:61]
	v_or_b32_e32 v1, v21, v1
	v_or_b32_sdwa v2, v23, v2 dst_sel:WORD_1 dst_unused:UNUSED_PAD src0_sel:DWORD src1_sel:DWORD
	v_cndmask_b32_e64 v41, 0, 1, s[62:63]
	v_cndmask_b32_e64 v43, 0, 1, s[26:27]
	v_or_b32_sdwa v36, v1, v2 dst_sel:DWORD dst_unused:UNUSED_PAD src0_sel:WORD_0 src1_sel:DWORD
	v_lshlrev_b16_e32 v1, 8, v42
	v_lshlrev_b16_e32 v2, 8, v37
	v_cndmask_b32_e64 v32, 0, 1, s[72:73]
	v_cndmask_b32_e64 v39, 0, 1, s[68:69]
	v_or_b32_e32 v1, v43, v1
	v_or_b32_sdwa v2, v41, v2 dst_sel:WORD_1 dst_unused:UNUSED_PAD src0_sel:DWORD src1_sel:DWORD
	v_cndmask_b32_e64 v34, 0, 1, s[70:71]
	v_cndmask_b32_e64 v40, 0, 1, s[66:67]
	v_or_b32_sdwa v37, v1, v2 dst_sel:DWORD dst_unused:UNUSED_PAD src0_sel:WORD_0 src1_sel:DWORD
	v_lshlrev_b16_e32 v1, 8, v39
	v_lshlrev_b16_e32 v2, 8, v32
	v_cndmask_b32_e64 v24, 0, 1, s[84:85]
	v_cndmask_b32_e64 v27, 0, 1, s[76:77]
	v_or_b32_e32 v1, v40, v1
	v_or_b32_sdwa v2, v34, v2 dst_sel:WORD_1 dst_unused:UNUSED_PAD src0_sel:DWORD src1_sel:DWORD
	v_cndmask_b32_e64 v26, 0, 1, s[78:79]
	v_cndmask_b32_e64 v28, 0, 1, s[74:75]
	v_or_b32_sdwa v32, v1, v2 dst_sel:DWORD dst_unused:UNUSED_PAD src0_sel:WORD_0 src1_sel:DWORD
	v_lshlrev_b16_e32 v1, 8, v27
	v_lshlrev_b16_e32 v2, 8, v24
	v_or_b32_e32 v1, v28, v1
	v_or_b32_sdwa v2, v26, v2 dst_sel:WORD_1 dst_unused:UNUSED_PAD src0_sel:DWORD src1_sel:DWORD
	v_cndmask_b32_e64 v35, 0, 1, s[82:83]
	v_cndmask_b32_e64 v38, 0, 1, s[86:87]
	v_or_b32_sdwa v34, v1, v2 dst_sel:DWORD dst_unused:UNUSED_PAD src0_sel:WORD_0 src1_sel:DWORD
	s_load_dwordx2 s[12:13], s[4:5], 0x78
	s_add_i32 s18, s7, 0xd00
	s_and_b64 vcc, exec, s[80:81]
	s_cbranch_vccnz .LBB333_33
	s_branch .LBB333_110
.LBB333_32:
                                        ; implicit-def: $vgpr38
                                        ; implicit-def: $vgpr35
                                        ; implicit-def: $vgpr34
                                        ; implicit-def: $vgpr32
                                        ; implicit-def: $vgpr37
                                        ; implicit-def: $vgpr36
                                        ; implicit-def: $vgpr33
                                        ; implicit-def: $vgpr31
	s_load_dwordx2 s[12:13], s[4:5], 0x78
	s_add_i32 s18, s7, 0xd00
	s_cbranch_execz .LBB333_110
.LBB333_33:
	v_cmp_gt_u32_e32 vcc, s18, v30
	v_mov_b32_e32 v2, 0
	v_mov_b32_e32 v1, 0
	s_and_saveexec_b64 s[4:5], vcc
	s_cbranch_execz .LBB333_37
; %bb.34:
	v_add_u32_e32 v1, s37, v19
	v_add_u32_e32 v2, s39, v19
	v_mul_lo_u32 v1, v1, s36
	v_mul_lo_u32 v2, v2, s38
	s_mov_b64 s[10:11], 0
	v_sub_u32_e32 v1, v1, v2
	v_cmp_lt_u32_e32 vcc, s40, v1
	v_cmp_ge_u32_e64 s[2:3], s40, v1
	s_and_saveexec_b64 s[8:9], s[2:3]
	s_cbranch_execz .LBB333_36
; %bb.35:
	v_add_u32_e32 v1, s42, v19
	v_add_u32_e32 v2, s58, v19
	v_mul_lo_u32 v1, v1, s41
	v_mul_lo_u32 v2, v2, s43
	v_sub_u32_e32 v1, v1, v2
	v_cmp_lt_u32_e64 s[2:3], s59, v1
	s_and_b64 s[10:11], s[2:3], exec
.LBB333_36:
	s_or_b64 exec, exec, s[8:9]
	v_cndmask_b32_e64 v2, 0, 1, s[10:11]
	v_cndmask_b32_e64 v1, 0, 1, vcc
.LBB333_37:
	s_or_b64 exec, exec, s[4:5]
	v_lshlrev_b16_e32 v7, 8, v2
	v_add_u32_e32 v2, 1, v30
	v_cmp_le_u32_e32 vcc, s18, v2
	v_lshlrev_b16_e64 v4, 8, 0
                                        ; implicit-def: $vgpr3
                                        ; implicit-def: $vgpr5
                                        ; implicit-def: $vgpr6
                                        ; implicit-def: $vgpr2
                                        ; implicit-def: $vgpr8
	s_and_saveexec_b64 s[2:3], vcc
	s_xor_b64 s[2:3], exec, s[2:3]
; %bb.38:
	v_mov_b32_e32 v2, 8
	v_lshrrev_b32_sdwa v3, v2, v7 dst_sel:BYTE_1 dst_unused:UNUSED_PAD src0_sel:DWORD src1_sel:DWORD
	v_and_b32_e32 v8, 0xff, v1
	v_or_b32_sdwa v1, v7, v3 dst_sel:DWORD dst_unused:UNUSED_PAD src0_sel:BYTE_0 src1_sel:DWORD
	v_mov_b32_e32 v5, 0
	v_lshlrev_b16_e64 v4, 8, 0
	v_lshlrev_b16_e64 v2, 8, 0
	v_and_b32_e32 v6, 0xffff, v1
	v_lshlrev_b16_e64 v3, 8, 0
                                        ; implicit-def: $vgpr1
                                        ; implicit-def: $vgpr7
; %bb.39:
	s_andn2_saveexec_b64 s[4:5], s[2:3]
	s_cbranch_execz .LBB333_43
; %bb.40:
	v_add_u32_e32 v2, s37, v20
	v_add_u32_e32 v3, s39, v20
	v_mul_lo_u32 v2, v2, s36
	v_mul_lo_u32 v3, v3, s38
	s_mov_b64 s[8:9], 0
	v_sub_u32_e32 v2, v2, v3
	v_cmp_lt_u32_e32 vcc, s40, v2
	v_cmp_ge_u32_e64 s[2:3], s40, v2
	s_and_saveexec_b64 s[10:11], s[2:3]
	s_cbranch_execz .LBB333_42
; %bb.41:
	v_add_u32_e32 v2, s42, v20
	v_add_u32_e32 v3, s58, v20
	v_mul_lo_u32 v2, v2, s41
	v_mul_lo_u32 v3, v3, s43
	v_sub_u32_e32 v2, v2, v3
	v_cmp_lt_u32_e64 s[2:3], s59, v2
	s_and_b64 s[8:9], s[2:3], exec
.LBB333_42:
	s_or_b64 exec, exec, s[10:11]
	v_cndmask_b32_e64 v3, 0, 1, vcc
	v_lshlrev_b16_e32 v3, 8, v3
	v_or_b32_sdwa v1, v1, v3 dst_sel:DWORD dst_unused:UNUSED_PAD src0_sel:BYTE_0 src1_sel:DWORD
	v_and_b32_e32 v8, 0xffff, v1
	v_mov_b32_e32 v1, 8
	v_lshrrev_b32_sdwa v1, v1, v7 dst_sel:BYTE_1 dst_unused:UNUSED_PAD src0_sel:DWORD src1_sel:DWORD
	v_or_b32_sdwa v1, v7, v1 dst_sel:DWORD dst_unused:UNUSED_PAD src0_sel:BYTE_0 src1_sel:DWORD
	v_and_b32_e32 v1, 0xffff, v1
	v_cndmask_b32_e64 v3, 0, 1, s[8:9]
	v_mov_b32_e32 v2, 0
	v_mov_b32_e32 v5, 0
	v_lshl_or_b32 v6, v3, 16, v1
	v_lshlrev_b16_e64 v3, 8, 0
.LBB333_43:
	s_or_b64 exec, exec, s[4:5]
	v_add_u32_e32 v1, 2, v30
	v_cmp_le_u32_e32 vcc, s18, v1
	v_lshrrev_b32_e32 v21, 24, v8
                                        ; implicit-def: $vgpr1
                                        ; implicit-def: $vgpr7
	s_and_saveexec_b64 s[2:3], vcc
	s_xor_b64 s[2:3], exec, s[2:3]
	s_cbranch_execz .LBB333_45
; %bb.44:
	s_mov_b32 s4, 0x40c0100
	v_perm_b32 v7, v21, v8, s4
	v_mov_b32_e32 v8, 8
	v_lshrrev_b32_sdwa v8, v8, v7 dst_sel:BYTE_1 dst_unused:UNUSED_PAD src0_sel:DWORD src1_sel:DWORD
	v_or_b32_sdwa v8, v7, v8 dst_sel:DWORD dst_unused:UNUSED_PAD src0_sel:BYTE_0 src1_sel:DWORD
	v_and_b32_e32 v8, 0xffff, v8
	s_mov_b32 s4, 0xff000000
	v_and_or_b32 v7, v7, s4, v8
	s_mov_b32 s4, 0x3060504
	v_and_b32_e32 v1, 0xff0000, v6
	v_perm_b32 v4, v4, v4, s4
	s_mov_b32 s4, 0x3020504
	v_perm_b32 v1, v6, v1, s4
                                        ; implicit-def: $vgpr8
                                        ; implicit-def: $vgpr21
                                        ; implicit-def: $vgpr6
.LBB333_45:
	s_andn2_saveexec_b64 s[4:5], s[2:3]
	s_cbranch_execz .LBB333_49
; %bb.46:
	v_add_u32_e32 v1, s37, v17
	v_add_u32_e32 v7, s39, v17
	v_mul_lo_u32 v1, v1, s36
	v_mul_lo_u32 v7, v7, s38
	s_mov_b64 s[8:9], 0
	v_sub_u32_e32 v1, v1, v7
	v_cmp_lt_u32_e32 vcc, s40, v1
	v_cmp_ge_u32_e64 s[2:3], s40, v1
	s_and_saveexec_b64 s[10:11], s[2:3]
	s_cbranch_execz .LBB333_48
; %bb.47:
	v_add_u32_e32 v1, s42, v17
	v_add_u32_e32 v7, s58, v17
	v_mul_lo_u32 v1, v1, s41
	v_mul_lo_u32 v7, v7, s43
	v_sub_u32_e32 v1, v1, v7
	v_cmp_lt_u32_e64 s[2:3], s59, v1
	s_and_b64 s[8:9], s[2:3], exec
.LBB333_48:
	s_or_b64 exec, exec, s[10:11]
	v_mov_b32_e32 v23, 8
	v_lshrrev_b32_sdwa v7, v23, v8 dst_sel:BYTE_1 dst_unused:UNUSED_PAD src0_sel:DWORD src1_sel:DWORD
	v_cndmask_b32_e64 v1, 0, 1, vcc
	v_or_b32_sdwa v7, v8, v7 dst_sel:DWORD dst_unused:UNUSED_PAD src0_sel:BYTE_0 src1_sel:DWORD
	v_lshlrev_b16_e32 v8, 8, v21
	v_or_b32_sdwa v1, v1, v8 dst_sel:WORD_1 dst_unused:UNUSED_PAD src0_sel:DWORD src1_sel:DWORD
	v_cndmask_b32_e64 v22, 0, 1, s[8:9]
	s_movk_i32 s2, 0xff
	v_or_b32_sdwa v7, v7, v1 dst_sel:DWORD dst_unused:UNUSED_PAD src0_sel:WORD_0 src1_sel:DWORD
	v_lshrrev_b32_sdwa v1, v23, v6 dst_sel:BYTE_1 dst_unused:UNUSED_PAD src0_sel:DWORD src1_sel:DWORD
	v_or_b32_sdwa v1, v6, v1 dst_sel:DWORD dst_unused:UNUSED_PAD src0_sel:BYTE_0 src1_sel:DWORD
	v_lshlrev_b16_e32 v8, 8, v22
	v_and_b32_sdwa v6, v6, s2 dst_sel:DWORD dst_unused:UNUSED_PAD src0_sel:WORD_1 src1_sel:DWORD
	v_or_b32_sdwa v6, v6, v8 dst_sel:WORD_1 dst_unused:UNUSED_PAD src0_sel:DWORD src1_sel:DWORD
	v_or_b32_sdwa v1, v1, v6 dst_sel:DWORD dst_unused:UNUSED_PAD src0_sel:WORD_0 src1_sel:DWORD
.LBB333_49:
	s_or_b64 exec, exec, s[4:5]
	v_add_u32_e32 v6, 3, v30
	v_cmp_le_u32_e32 vcc, s18, v6
	v_lshrrev_b32_e32 v8, 24, v5
                                        ; implicit-def: $vgpr6
                                        ; implicit-def: $vgpr31
	s_and_saveexec_b64 s[2:3], vcc
	s_xor_b64 s[2:3], exec, s[2:3]
	s_cbranch_execz .LBB333_51
; %bb.50:
	v_and_b32_e32 v6, 0xff0000, v7
	s_mov_b32 s4, 0x3020504
	s_movk_i32 s5, 0xff
	v_perm_b32 v31, v7, v6, s4
	v_lshlrev_b16_e32 v6, 8, v8
	v_and_b32_sdwa v7, v5, s5 dst_sel:DWORD dst_unused:UNUSED_PAD src0_sel:WORD_1 src1_sel:DWORD
	s_mov_b32 s4, 0x3060504
	v_or_b32_sdwa v6, v7, v6 dst_sel:WORD_1 dst_unused:UNUSED_PAD src0_sel:DWORD src1_sel:DWORD
	v_mov_b32_e32 v7, 8
	v_perm_b32 v4, v4, v4, s4
	v_lshrrev_b32_sdwa v6, v7, v5 dst_sel:BYTE_1 dst_unused:UNUSED_PRESERVE src0_sel:DWORD src1_sel:DWORD
	v_perm_b32 v3, v3, v3, s4
                                        ; implicit-def: $vgpr7
                                        ; implicit-def: $vgpr8
                                        ; implicit-def: $vgpr5
.LBB333_51:
	s_andn2_saveexec_b64 s[4:5], s[2:3]
	s_cbranch_execz .LBB333_55
; %bb.52:
	v_add_u32_e32 v6, s37, v18
	v_add_u32_e32 v21, s39, v18
	v_mul_lo_u32 v6, v6, s36
	v_mul_lo_u32 v21, v21, s38
	s_mov_b64 s[8:9], 0
	v_sub_u32_e32 v6, v6, v21
	v_cmp_lt_u32_e32 vcc, s40, v6
	v_cmp_ge_u32_e64 s[2:3], s40, v6
	s_and_saveexec_b64 s[10:11], s[2:3]
	s_cbranch_execz .LBB333_54
; %bb.53:
	v_add_u32_e32 v6, s42, v18
	v_add_u32_e32 v21, s58, v18
	v_mul_lo_u32 v6, v6, s41
	v_mul_lo_u32 v21, v21, s43
	v_sub_u32_e32 v6, v6, v21
	v_cmp_lt_u32_e64 s[2:3], s59, v6
	s_and_b64 s[8:9], s[2:3], exec
.LBB333_54:
	s_or_b64 exec, exec, s[10:11]
	v_mov_b32_e32 v22, 8
	v_cndmask_b32_e64 v6, 0, 1, vcc
	s_movk_i32 s2, 0xff
	v_lshrrev_b32_sdwa v23, v22, v7 dst_sel:BYTE_1 dst_unused:UNUSED_PAD src0_sel:DWORD src1_sel:DWORD
	v_or_b32_sdwa v23, v7, v23 dst_sel:DWORD dst_unused:UNUSED_PAD src0_sel:BYTE_0 src1_sel:DWORD
	v_lshlrev_b16_e32 v6, 8, v6
	v_and_b32_sdwa v7, v7, s2 dst_sel:DWORD dst_unused:UNUSED_PAD src0_sel:WORD_1 src1_sel:DWORD
	v_or_b32_sdwa v6, v7, v6 dst_sel:WORD_1 dst_unused:UNUSED_PAD src0_sel:DWORD src1_sel:DWORD
	v_cndmask_b32_e64 v21, 0, 1, s[8:9]
	v_or_b32_sdwa v31, v23, v6 dst_sel:DWORD dst_unused:UNUSED_PAD src0_sel:WORD_0 src1_sel:DWORD
	v_lshlrev_b16_e32 v6, 8, v8
	v_and_b32_sdwa v7, v5, s2 dst_sel:DWORD dst_unused:UNUSED_PAD src0_sel:WORD_1 src1_sel:DWORD
	v_lshrrev_b32_sdwa v5, v22, v5 dst_sel:BYTE_1 dst_unused:UNUSED_PAD src0_sel:DWORD src1_sel:DWORD
	v_or_b32_sdwa v6, v7, v6 dst_sel:WORD_1 dst_unused:UNUSED_PAD src0_sel:DWORD src1_sel:DWORD
	v_or_b32_e32 v5, v21, v5
	v_or_b32_sdwa v6, v5, v6 dst_sel:DWORD dst_unused:UNUSED_PAD src0_sel:WORD_0 src1_sel:DWORD
.LBB333_55:
	s_or_b64 exec, exec, s[4:5]
	v_add_u32_e32 v5, 4, v30
	v_cmp_le_u32_e32 vcc, s18, v5
	v_lshrrev_b32_e32 v21, 24, v4
	v_lshrrev_b32_e32 v8, 24, v6
                                        ; implicit-def: $vgpr7
                                        ; implicit-def: $vgpr5
	s_and_saveexec_b64 s[2:3], vcc
	s_xor_b64 s[2:3], exec, s[2:3]
	s_cbranch_execz .LBB333_57
; %bb.56:
	s_movk_i32 s4, 0xff
	v_lshlrev_b16_e32 v5, 8, v21
	v_and_b32_sdwa v21, v4, s4 dst_sel:DWORD dst_unused:UNUSED_PAD src0_sel:WORD_1 src1_sel:DWORD
	v_mov_b32_e32 v7, 8
	v_or_b32_sdwa v5, v21, v5 dst_sel:WORD_1 dst_unused:UNUSED_PAD src0_sel:DWORD src1_sel:DWORD
	v_lshrrev_b32_sdwa v5, v7, v4 dst_sel:BYTE_1 dst_unused:UNUSED_PRESERVE src0_sel:DWORD src1_sel:DWORD
	v_lshlrev_b16_e32 v4, 8, v8
	v_and_b32_sdwa v7, v6, s4 dst_sel:DWORD dst_unused:UNUSED_PAD src0_sel:WORD_1 src1_sel:DWORD
	v_or_b32_e32 v4, v7, v4
	s_mov_b32 s4, 0x5040c00
	v_perm_b32 v7, v4, v6, s4
	s_mov_b32 s4, 0x3060504
	v_perm_b32 v3, v3, v3, s4
                                        ; implicit-def: $vgpr21
                                        ; implicit-def: $vgpr4
                                        ; implicit-def: $vgpr6
                                        ; implicit-def: $vgpr8
.LBB333_57:
	s_andn2_saveexec_b64 s[4:5], s[2:3]
	s_cbranch_execz .LBB333_61
; %bb.58:
	v_add_u32_e32 v5, s37, v15
	v_add_u32_e32 v7, s39, v15
	v_mul_lo_u32 v5, v5, s36
	v_mul_lo_u32 v7, v7, s38
	s_mov_b64 s[8:9], 0
	v_sub_u32_e32 v5, v5, v7
	v_cmp_lt_u32_e32 vcc, s40, v5
	v_cmp_ge_u32_e64 s[2:3], s40, v5
	s_and_saveexec_b64 s[10:11], s[2:3]
	s_cbranch_execz .LBB333_60
; %bb.59:
	v_add_u32_e32 v5, s42, v15
	v_add_u32_e32 v7, s58, v15
	v_mul_lo_u32 v5, v5, s41
	v_mul_lo_u32 v7, v7, s43
	v_sub_u32_e32 v5, v5, v7
	v_cmp_lt_u32_e64 s[2:3], s59, v5
	s_and_b64 s[8:9], s[2:3], exec
.LBB333_60:
	s_or_b64 exec, exec, s[10:11]
	s_movk_i32 s2, 0xff
	v_lshlrev_b16_e32 v21, 8, v21
	v_and_b32_sdwa v22, v4, s2 dst_sel:DWORD dst_unused:UNUSED_PAD src0_sel:WORD_1 src1_sel:DWORD
	v_or_b32_sdwa v21, v22, v21 dst_sel:WORD_1 dst_unused:UNUSED_PAD src0_sel:DWORD src1_sel:DWORD
	v_mov_b32_e32 v22, 8
	v_cndmask_b32_e64 v5, 0, 1, vcc
	v_lshrrev_b32_sdwa v4, v22, v4 dst_sel:BYTE_1 dst_unused:UNUSED_PAD src0_sel:DWORD src1_sel:DWORD
	v_cndmask_b32_e64 v7, 0, 1, s[8:9]
	v_or_b32_e32 v4, v5, v4
	v_or_b32_sdwa v5, v4, v21 dst_sel:DWORD dst_unused:UNUSED_PAD src0_sel:WORD_0 src1_sel:DWORD
	v_lshlrev_b16_e32 v4, 8, v7
	v_or_b32_sdwa v4, v6, v4 dst_sel:DWORD dst_unused:UNUSED_PAD src0_sel:BYTE_0 src1_sel:DWORD
	v_lshlrev_b16_e32 v7, 8, v8
	v_and_b32_sdwa v6, v6, s2 dst_sel:DWORD dst_unused:UNUSED_PAD src0_sel:WORD_1 src1_sel:DWORD
	v_or_b32_sdwa v6, v6, v7 dst_sel:WORD_1 dst_unused:UNUSED_PAD src0_sel:DWORD src1_sel:DWORD
	v_or_b32_sdwa v7, v4, v6 dst_sel:DWORD dst_unused:UNUSED_PAD src0_sel:WORD_0 src1_sel:DWORD
.LBB333_61:
	s_or_b64 exec, exec, s[4:5]
	v_add_u32_e32 v4, 5, v30
	v_cmp_le_u32_e32 vcc, s18, v4
	v_lshrrev_b32_e32 v8, 24, v7
	v_lshrrev_b32_e32 v21, 24, v5
                                        ; implicit-def: $vgpr4
                                        ; implicit-def: $vgpr6
	s_and_saveexec_b64 s[2:3], vcc
	s_xor_b64 s[2:3], exec, s[2:3]
	s_cbranch_execz .LBB333_63
; %bb.62:
	s_mov_b32 s4, 0x40c0100
	v_perm_b32 v4, v8, v7, s4
	s_movk_i32 s4, 0xff
	v_lshlrev_b16_e32 v6, 8, v21
	v_and_b32_sdwa v7, v5, s4 dst_sel:DWORD dst_unused:UNUSED_PAD src0_sel:WORD_1 src1_sel:DWORD
	v_or_b32_e32 v6, v7, v6
	s_mov_b32 s4, 0x5040c00
	v_perm_b32 v6, v6, v5, s4
	v_mov_b32_e32 v5, 8
	v_lshrrev_b32_sdwa v5, v5, v4 dst_sel:BYTE_1 dst_unused:UNUSED_PAD src0_sel:DWORD src1_sel:DWORD
	v_or_b32_sdwa v5, v4, v5 dst_sel:DWORD dst_unused:UNUSED_PAD src0_sel:BYTE_0 src1_sel:DWORD
	v_and_b32_e32 v5, 0xffff, v5
	s_mov_b32 s4, 0xff000000
	v_and_or_b32 v4, v4, s4, v5
	s_mov_b32 s4, 0x3060504
	v_perm_b32 v3, v3, v3, s4
                                        ; implicit-def: $vgpr5
                                        ; implicit-def: $vgpr21
                                        ; implicit-def: $vgpr7
                                        ; implicit-def: $vgpr8
.LBB333_63:
	s_andn2_saveexec_b64 s[4:5], s[2:3]
	s_cbranch_execz .LBB333_67
; %bb.64:
	v_add_u32_e32 v4, s37, v16
	v_add_u32_e32 v6, s39, v16
	v_mul_lo_u32 v4, v4, s36
	v_mul_lo_u32 v6, v6, s38
	s_mov_b64 s[8:9], 0
	v_sub_u32_e32 v4, v4, v6
	v_cmp_lt_u32_e32 vcc, s40, v4
	v_cmp_ge_u32_e64 s[2:3], s40, v4
	s_and_saveexec_b64 s[10:11], s[2:3]
	s_cbranch_execz .LBB333_66
; %bb.65:
	v_add_u32_e32 v4, s42, v16
	v_add_u32_e32 v6, s58, v16
	v_mul_lo_u32 v4, v4, s41
	v_mul_lo_u32 v6, v6, s43
	v_sub_u32_e32 v4, v4, v6
	v_cmp_lt_u32_e64 s[2:3], s59, v4
	s_and_b64 s[8:9], s[2:3], exec
.LBB333_66:
	s_or_b64 exec, exec, s[10:11]
	v_cndmask_b32_e64 v4, 0, 1, vcc
	v_lshlrev_b16_e32 v4, 8, v4
	s_movk_i32 s2, 0xff
	v_or_b32_sdwa v4, v5, v4 dst_sel:DWORD dst_unused:UNUSED_PAD src0_sel:BYTE_0 src1_sel:DWORD
	v_lshlrev_b16_e32 v6, 8, v21
	v_and_b32_sdwa v5, v5, s2 dst_sel:DWORD dst_unused:UNUSED_PAD src0_sel:WORD_1 src1_sel:DWORD
	v_or_b32_sdwa v5, v5, v6 dst_sel:WORD_1 dst_unused:UNUSED_PAD src0_sel:DWORD src1_sel:DWORD
	v_or_b32_sdwa v6, v4, v5 dst_sel:DWORD dst_unused:UNUSED_PAD src0_sel:WORD_0 src1_sel:DWORD
	v_mov_b32_e32 v4, 8
	v_cndmask_b32_e64 v22, 0, 1, s[8:9]
	v_lshrrev_b32_sdwa v4, v4, v7 dst_sel:BYTE_1 dst_unused:UNUSED_PAD src0_sel:DWORD src1_sel:DWORD
	v_lshlrev_b16_e32 v5, 8, v8
	v_or_b32_sdwa v4, v7, v4 dst_sel:DWORD dst_unused:UNUSED_PAD src0_sel:BYTE_0 src1_sel:DWORD
	v_or_b32_sdwa v5, v22, v5 dst_sel:WORD_1 dst_unused:UNUSED_PAD src0_sel:DWORD src1_sel:DWORD
	v_or_b32_sdwa v4, v4, v5 dst_sel:DWORD dst_unused:UNUSED_PAD src0_sel:WORD_0 src1_sel:DWORD
.LBB333_67:
	s_or_b64 exec, exec, s[4:5]
	v_add_u32_e32 v5, 6, v30
	v_cmp_le_u32_e32 vcc, s18, v5
	v_lshrrev_b32_e32 v7, 24, v6
                                        ; implicit-def: $vgpr32
                                        ; implicit-def: $vgpr5
	s_and_saveexec_b64 s[2:3], vcc
	s_xor_b64 s[2:3], exec, s[2:3]
	s_cbranch_execz .LBB333_69
; %bb.68:
	s_mov_b32 s4, 0x40c0100
	v_perm_b32 v5, v7, v6, s4
	v_mov_b32_e32 v6, 8
	v_lshrrev_b32_sdwa v6, v6, v5 dst_sel:BYTE_1 dst_unused:UNUSED_PAD src0_sel:DWORD src1_sel:DWORD
	v_or_b32_sdwa v6, v5, v6 dst_sel:DWORD dst_unused:UNUSED_PAD src0_sel:BYTE_0 src1_sel:DWORD
	v_and_b32_e32 v6, 0xffff, v6
	s_mov_b32 s4, 0xff000000
	v_and_b32_e32 v8, 0xff0000, v4
	v_and_or_b32 v5, v5, s4, v6
	s_mov_b32 s4, 0x3020504
	v_perm_b32 v32, v4, v8, s4
	s_mov_b32 s4, 0x3060504
	v_perm_b32 v3, v3, v3, s4
                                        ; implicit-def: $vgpr6
                                        ; implicit-def: $vgpr7
                                        ; implicit-def: $vgpr4
.LBB333_69:
	s_andn2_saveexec_b64 s[4:5], s[2:3]
	s_cbranch_execz .LBB333_73
; %bb.70:
	v_add_u32_e32 v5, s37, v13
	v_add_u32_e32 v8, s39, v13
	v_mul_lo_u32 v5, v5, s36
	v_mul_lo_u32 v8, v8, s38
	s_mov_b64 s[8:9], 0
	v_sub_u32_e32 v5, v5, v8
	v_cmp_lt_u32_e32 vcc, s40, v5
	v_cmp_ge_u32_e64 s[2:3], s40, v5
	s_and_saveexec_b64 s[10:11], s[2:3]
	s_cbranch_execz .LBB333_72
; %bb.71:
	v_add_u32_e32 v5, s42, v13
	v_add_u32_e32 v8, s58, v13
	v_mul_lo_u32 v5, v5, s41
	v_mul_lo_u32 v8, v8, s43
	v_sub_u32_e32 v5, v5, v8
	v_cmp_lt_u32_e64 s[2:3], s59, v5
	s_and_b64 s[8:9], s[2:3], exec
.LBB333_72:
	s_or_b64 exec, exec, s[10:11]
	v_mov_b32_e32 v21, 8
	v_cndmask_b32_e64 v5, 0, 1, vcc
	v_lshrrev_b32_sdwa v22, v21, v6 dst_sel:BYTE_1 dst_unused:UNUSED_PAD src0_sel:DWORD src1_sel:DWORD
	v_lshlrev_b16_e32 v7, 8, v7
	v_or_b32_sdwa v6, v6, v22 dst_sel:DWORD dst_unused:UNUSED_PAD src0_sel:BYTE_0 src1_sel:DWORD
	v_or_b32_sdwa v5, v5, v7 dst_sel:WORD_1 dst_unused:UNUSED_PAD src0_sel:DWORD src1_sel:DWORD
	v_cndmask_b32_e64 v8, 0, 1, s[8:9]
	s_movk_i32 s2, 0xff
	v_or_b32_sdwa v5, v6, v5 dst_sel:DWORD dst_unused:UNUSED_PAD src0_sel:WORD_0 src1_sel:DWORD
	v_lshrrev_b32_sdwa v6, v21, v4 dst_sel:BYTE_1 dst_unused:UNUSED_PAD src0_sel:DWORD src1_sel:DWORD
	v_or_b32_sdwa v6, v4, v6 dst_sel:DWORD dst_unused:UNUSED_PAD src0_sel:BYTE_0 src1_sel:DWORD
	v_lshlrev_b16_e32 v7, 8, v8
	v_and_b32_sdwa v4, v4, s2 dst_sel:DWORD dst_unused:UNUSED_PAD src0_sel:WORD_1 src1_sel:DWORD
	v_or_b32_sdwa v4, v4, v7 dst_sel:WORD_1 dst_unused:UNUSED_PAD src0_sel:DWORD src1_sel:DWORD
	v_or_b32_sdwa v32, v6, v4 dst_sel:DWORD dst_unused:UNUSED_PAD src0_sel:WORD_0 src1_sel:DWORD
.LBB333_73:
	s_or_b64 exec, exec, s[4:5]
	v_add_u32_e32 v4, 7, v30
	v_cmp_le_u32_e32 vcc, s18, v4
	v_lshrrev_b32_e32 v6, 24, v3
                                        ; implicit-def: $vgpr4
                                        ; implicit-def: $vgpr33
	s_and_saveexec_b64 s[2:3], vcc
	s_xor_b64 s[2:3], exec, s[2:3]
; %bb.74:
	v_and_b32_e32 v4, 0xff0000, v5
	s_mov_b32 s4, 0x3020504
	v_perm_b32 v33, v5, v4, s4
	s_movk_i32 s4, 0xff
	v_lshlrev_b16_e32 v4, 8, v6
	v_and_b32_sdwa v5, v3, s4 dst_sel:DWORD dst_unused:UNUSED_PAD src0_sel:WORD_1 src1_sel:DWORD
	v_mov_b32_e32 v7, 8
	v_or_b32_sdwa v4, v5, v4 dst_sel:WORD_1 dst_unused:UNUSED_PAD src0_sel:DWORD src1_sel:DWORD
	v_lshrrev_b32_sdwa v4, v7, v3 dst_sel:BYTE_1 dst_unused:UNUSED_PRESERVE src0_sel:DWORD src1_sel:DWORD
                                        ; implicit-def: $vgpr5
                                        ; implicit-def: $vgpr6
                                        ; implicit-def: $vgpr3
; %bb.75:
	s_andn2_saveexec_b64 s[4:5], s[2:3]
	s_cbranch_execz .LBB333_79
; %bb.76:
	v_add_u32_e32 v4, s37, v14
	v_add_u32_e32 v7, s39, v14
	v_mul_lo_u32 v4, v4, s36
	v_mul_lo_u32 v7, v7, s38
	s_mov_b64 s[8:9], 0
	v_sub_u32_e32 v4, v4, v7
	v_cmp_lt_u32_e32 vcc, s40, v4
	v_cmp_ge_u32_e64 s[2:3], s40, v4
	s_and_saveexec_b64 s[10:11], s[2:3]
	s_cbranch_execz .LBB333_78
; %bb.77:
	v_add_u32_e32 v4, s42, v14
	v_add_u32_e32 v7, s58, v14
	v_mul_lo_u32 v4, v4, s41
	v_mul_lo_u32 v7, v7, s43
	v_sub_u32_e32 v4, v4, v7
	v_cmp_lt_u32_e64 s[2:3], s59, v4
	s_and_b64 s[8:9], s[2:3], exec
.LBB333_78:
	s_or_b64 exec, exec, s[10:11]
	v_mov_b32_e32 v8, 8
	v_cndmask_b32_e64 v4, 0, 1, vcc
	s_movk_i32 s2, 0xff
	v_lshrrev_b32_sdwa v21, v8, v5 dst_sel:BYTE_1 dst_unused:UNUSED_PAD src0_sel:DWORD src1_sel:DWORD
	v_or_b32_sdwa v21, v5, v21 dst_sel:DWORD dst_unused:UNUSED_PAD src0_sel:BYTE_0 src1_sel:DWORD
	v_lshlrev_b16_e32 v4, 8, v4
	v_and_b32_sdwa v5, v5, s2 dst_sel:DWORD dst_unused:UNUSED_PAD src0_sel:WORD_1 src1_sel:DWORD
	v_or_b32_sdwa v4, v5, v4 dst_sel:WORD_1 dst_unused:UNUSED_PAD src0_sel:DWORD src1_sel:DWORD
	v_cndmask_b32_e64 v7, 0, 1, s[8:9]
	v_or_b32_sdwa v33, v21, v4 dst_sel:DWORD dst_unused:UNUSED_PAD src0_sel:WORD_0 src1_sel:DWORD
	v_lshlrev_b16_e32 v4, 8, v6
	v_and_b32_sdwa v5, v3, s2 dst_sel:DWORD dst_unused:UNUSED_PAD src0_sel:WORD_1 src1_sel:DWORD
	v_lshrrev_b32_sdwa v3, v8, v3 dst_sel:BYTE_1 dst_unused:UNUSED_PAD src0_sel:DWORD src1_sel:DWORD
	v_or_b32_sdwa v4, v5, v4 dst_sel:WORD_1 dst_unused:UNUSED_PAD src0_sel:DWORD src1_sel:DWORD
	v_or_b32_e32 v3, v7, v3
	v_or_b32_sdwa v4, v3, v4 dst_sel:DWORD dst_unused:UNUSED_PAD src0_sel:WORD_0 src1_sel:DWORD
.LBB333_79:
	s_or_b64 exec, exec, s[4:5]
	v_add_u32_e32 v3, 8, v30
	v_cmp_le_u32_e32 vcc, s18, v3
	v_lshrrev_b32_e32 v6, 24, v4
	v_lshrrev_b32_e32 v7, 24, v2
                                        ; implicit-def: $vgpr5
                                        ; implicit-def: $vgpr3
	s_and_saveexec_b64 s[2:3], vcc
	s_xor_b64 s[2:3], exec, s[2:3]
	s_cbranch_execz .LBB333_81
; %bb.80:
	s_movk_i32 s4, 0xff
	v_lshlrev_b16_e32 v3, 8, v7
	v_and_b32_sdwa v5, v2, s4 dst_sel:DWORD dst_unused:UNUSED_PAD src0_sel:WORD_1 src1_sel:DWORD
	v_or_b32_sdwa v3, v5, v3 dst_sel:WORD_1 dst_unused:UNUSED_PAD src0_sel:DWORD src1_sel:DWORD
	v_mov_b32_e32 v5, 8
	v_lshrrev_b32_sdwa v3, v5, v2 dst_sel:BYTE_1 dst_unused:UNUSED_PRESERVE src0_sel:DWORD src1_sel:DWORD
	v_lshlrev_b16_e32 v2, 8, v6
	v_and_b32_sdwa v5, v4, s4 dst_sel:DWORD dst_unused:UNUSED_PAD src0_sel:WORD_1 src1_sel:DWORD
	s_mov_b32 s5, 0x3060504
	v_or_b32_e32 v2, v5, v2
	s_mov_b32 s4, 0x5040c00
	v_perm_b32 v1, v1, v1, s5
	v_perm_b32 v5, v2, v4, s4
                                        ; implicit-def: $vgpr7
                                        ; implicit-def: $vgpr2
                                        ; implicit-def: $vgpr4
                                        ; implicit-def: $vgpr6
.LBB333_81:
	s_andn2_saveexec_b64 s[4:5], s[2:3]
	s_cbranch_execz .LBB333_85
; %bb.82:
	v_add_u32_e32 v3, s37, v11
	v_add_u32_e32 v5, s39, v11
	v_mul_lo_u32 v3, v3, s36
	v_mul_lo_u32 v5, v5, s38
	s_mov_b64 s[8:9], 0
	v_sub_u32_e32 v3, v3, v5
	v_cmp_lt_u32_e32 vcc, s40, v3
	v_cmp_ge_u32_e64 s[2:3], s40, v3
	s_and_saveexec_b64 s[10:11], s[2:3]
	s_cbranch_execz .LBB333_84
; %bb.83:
	v_add_u32_e32 v3, s42, v11
	v_add_u32_e32 v5, s58, v11
	v_mul_lo_u32 v3, v3, s41
	v_mul_lo_u32 v5, v5, s43
	v_sub_u32_e32 v3, v3, v5
	v_cmp_lt_u32_e64 s[2:3], s59, v3
	s_and_b64 s[8:9], s[2:3], exec
.LBB333_84:
	s_or_b64 exec, exec, s[10:11]
	s_movk_i32 s2, 0xff
	v_lshlrev_b16_e32 v7, 8, v7
	v_and_b32_sdwa v8, v2, s2 dst_sel:DWORD dst_unused:UNUSED_PAD src0_sel:WORD_1 src1_sel:DWORD
	v_or_b32_sdwa v7, v8, v7 dst_sel:WORD_1 dst_unused:UNUSED_PAD src0_sel:DWORD src1_sel:DWORD
	v_mov_b32_e32 v8, 8
	v_cndmask_b32_e64 v3, 0, 1, vcc
	v_lshrrev_b32_sdwa v2, v8, v2 dst_sel:BYTE_1 dst_unused:UNUSED_PAD src0_sel:DWORD src1_sel:DWORD
	v_cndmask_b32_e64 v5, 0, 1, s[8:9]
	v_or_b32_e32 v2, v3, v2
	v_or_b32_sdwa v3, v2, v7 dst_sel:DWORD dst_unused:UNUSED_PAD src0_sel:WORD_0 src1_sel:DWORD
	v_lshlrev_b16_e32 v2, 8, v5
	v_or_b32_sdwa v2, v4, v2 dst_sel:DWORD dst_unused:UNUSED_PAD src0_sel:BYTE_0 src1_sel:DWORD
	v_lshlrev_b16_e32 v5, 8, v6
	v_and_b32_sdwa v4, v4, s2 dst_sel:DWORD dst_unused:UNUSED_PAD src0_sel:WORD_1 src1_sel:DWORD
	v_or_b32_sdwa v4, v4, v5 dst_sel:WORD_1 dst_unused:UNUSED_PAD src0_sel:DWORD src1_sel:DWORD
	v_or_b32_sdwa v5, v2, v4 dst_sel:DWORD dst_unused:UNUSED_PAD src0_sel:WORD_0 src1_sel:DWORD
.LBB333_85:
	s_or_b64 exec, exec, s[4:5]
	v_add_u32_e32 v2, 9, v30
	v_cmp_le_u32_e32 vcc, s18, v2
	v_lshrrev_b32_e32 v6, 24, v5
	v_lshrrev_b32_e32 v7, 24, v3
                                        ; implicit-def: $vgpr2
                                        ; implicit-def: $vgpr4
	s_and_saveexec_b64 s[2:3], vcc
	s_xor_b64 s[2:3], exec, s[2:3]
	s_cbranch_execz .LBB333_87
; %bb.86:
	s_mov_b32 s4, 0x40c0100
	v_perm_b32 v2, v6, v5, s4
	v_mov_b32_e32 v4, 8
	s_movk_i32 s4, 0xff
	v_lshrrev_b32_sdwa v5, v4, v2 dst_sel:BYTE_1 dst_unused:UNUSED_PAD src0_sel:DWORD src1_sel:DWORD
	v_lshlrev_b16_e32 v4, 8, v7
	v_and_b32_sdwa v6, v3, s4 dst_sel:DWORD dst_unused:UNUSED_PAD src0_sel:WORD_1 src1_sel:DWORD
	v_or_b32_e32 v4, v6, v4
	s_mov_b32 s4, 0x5040c00
	v_perm_b32 v4, v4, v3, s4
	s_mov_b32 s4, 0x3060504
	v_or_b32_sdwa v3, v2, v5 dst_sel:DWORD dst_unused:UNUSED_PAD src0_sel:BYTE_0 src1_sel:DWORD
	v_perm_b32 v1, v1, v1, s4
	v_and_b32_e32 v3, 0xffff, v3
	s_mov_b32 s4, 0xff000000
	v_and_or_b32 v2, v2, s4, v3
                                        ; implicit-def: $vgpr3
                                        ; implicit-def: $vgpr7
                                        ; implicit-def: $vgpr5
                                        ; implicit-def: $vgpr6
.LBB333_87:
	s_andn2_saveexec_b64 s[4:5], s[2:3]
	s_cbranch_execz .LBB333_91
; %bb.88:
	v_add_u32_e32 v2, s37, v12
	v_add_u32_e32 v4, s39, v12
	v_mul_lo_u32 v2, v2, s36
	v_mul_lo_u32 v4, v4, s38
	s_mov_b64 s[8:9], 0
	v_sub_u32_e32 v2, v2, v4
	v_cmp_lt_u32_e32 vcc, s40, v2
	v_cmp_ge_u32_e64 s[2:3], s40, v2
	s_and_saveexec_b64 s[10:11], s[2:3]
	s_cbranch_execz .LBB333_90
; %bb.89:
	v_add_u32_e32 v2, s42, v12
	v_add_u32_e32 v4, s58, v12
	v_mul_lo_u32 v2, v2, s41
	v_mul_lo_u32 v4, v4, s43
	v_sub_u32_e32 v2, v2, v4
	v_cmp_lt_u32_e64 s[2:3], s59, v2
	s_and_b64 s[8:9], s[2:3], exec
.LBB333_90:
	s_or_b64 exec, exec, s[10:11]
	v_cndmask_b32_e64 v2, 0, 1, vcc
	v_lshlrev_b16_e32 v2, 8, v2
	s_movk_i32 s2, 0xff
	v_or_b32_sdwa v2, v3, v2 dst_sel:DWORD dst_unused:UNUSED_PAD src0_sel:BYTE_0 src1_sel:DWORD
	v_lshlrev_b16_e32 v4, 8, v7
	v_and_b32_sdwa v3, v3, s2 dst_sel:DWORD dst_unused:UNUSED_PAD src0_sel:WORD_1 src1_sel:DWORD
	v_or_b32_sdwa v3, v3, v4 dst_sel:WORD_1 dst_unused:UNUSED_PAD src0_sel:DWORD src1_sel:DWORD
	v_or_b32_sdwa v4, v2, v3 dst_sel:DWORD dst_unused:UNUSED_PAD src0_sel:WORD_0 src1_sel:DWORD
	v_mov_b32_e32 v2, 8
	v_cndmask_b32_e64 v8, 0, 1, s[8:9]
	v_lshrrev_b32_sdwa v2, v2, v5 dst_sel:BYTE_1 dst_unused:UNUSED_PAD src0_sel:DWORD src1_sel:DWORD
	v_lshlrev_b16_e32 v3, 8, v6
	v_or_b32_sdwa v2, v5, v2 dst_sel:DWORD dst_unused:UNUSED_PAD src0_sel:BYTE_0 src1_sel:DWORD
	v_or_b32_sdwa v3, v8, v3 dst_sel:WORD_1 dst_unused:UNUSED_PAD src0_sel:DWORD src1_sel:DWORD
	v_or_b32_sdwa v2, v2, v3 dst_sel:DWORD dst_unused:UNUSED_PAD src0_sel:WORD_0 src1_sel:DWORD
.LBB333_91:
	s_or_b64 exec, exec, s[4:5]
	v_add_u32_e32 v3, 10, v30
	v_cmp_le_u32_e32 vcc, s18, v3
	v_lshrrev_b32_e32 v5, 24, v4
                                        ; implicit-def: $vgpr34
                                        ; implicit-def: $vgpr3
	s_and_saveexec_b64 s[2:3], vcc
	s_xor_b64 s[2:3], exec, s[2:3]
	s_cbranch_execz .LBB333_93
; %bb.92:
	s_mov_b32 s4, 0x40c0100
	v_perm_b32 v3, v5, v4, s4
	v_mov_b32_e32 v4, 8
	v_lshrrev_b32_sdwa v4, v4, v3 dst_sel:BYTE_1 dst_unused:UNUSED_PAD src0_sel:DWORD src1_sel:DWORD
	v_or_b32_sdwa v4, v3, v4 dst_sel:DWORD dst_unused:UNUSED_PAD src0_sel:BYTE_0 src1_sel:DWORD
	v_and_b32_e32 v4, 0xffff, v4
	s_mov_b32 s4, 0xff000000
	v_and_or_b32 v3, v3, s4, v4
	s_mov_b32 s4, 0x3060504
	v_and_b32_e32 v6, 0xff0000, v2
	v_perm_b32 v1, v1, v1, s4
	s_mov_b32 s4, 0x3020504
	v_perm_b32 v34, v2, v6, s4
                                        ; implicit-def: $vgpr4
                                        ; implicit-def: $vgpr5
                                        ; implicit-def: $vgpr2
.LBB333_93:
	s_andn2_saveexec_b64 s[4:5], s[2:3]
	s_cbranch_execz .LBB333_97
; %bb.94:
	v_add_u32_e32 v3, s37, v9
	v_add_u32_e32 v6, s39, v9
	v_mul_lo_u32 v3, v3, s36
	v_mul_lo_u32 v6, v6, s38
	s_mov_b64 s[8:9], 0
	v_sub_u32_e32 v3, v3, v6
	v_cmp_lt_u32_e32 vcc, s40, v3
	v_cmp_ge_u32_e64 s[2:3], s40, v3
	s_and_saveexec_b64 s[10:11], s[2:3]
	s_cbranch_execz .LBB333_96
; %bb.95:
	v_add_u32_e32 v3, s42, v9
	v_add_u32_e32 v6, s58, v9
	v_mul_lo_u32 v3, v3, s41
	v_mul_lo_u32 v6, v6, s43
	v_sub_u32_e32 v3, v3, v6
	v_cmp_lt_u32_e64 s[2:3], s59, v3
	s_and_b64 s[8:9], s[2:3], exec
.LBB333_96:
	s_or_b64 exec, exec, s[10:11]
	v_mov_b32_e32 v7, 8
	v_cndmask_b32_e64 v3, 0, 1, vcc
	v_lshrrev_b32_sdwa v8, v7, v4 dst_sel:BYTE_1 dst_unused:UNUSED_PAD src0_sel:DWORD src1_sel:DWORD
	v_lshlrev_b16_e32 v5, 8, v5
	v_or_b32_sdwa v4, v4, v8 dst_sel:DWORD dst_unused:UNUSED_PAD src0_sel:BYTE_0 src1_sel:DWORD
	v_or_b32_sdwa v3, v3, v5 dst_sel:WORD_1 dst_unused:UNUSED_PAD src0_sel:DWORD src1_sel:DWORD
	v_cndmask_b32_e64 v6, 0, 1, s[8:9]
	s_movk_i32 s2, 0xff
	v_or_b32_sdwa v3, v4, v3 dst_sel:DWORD dst_unused:UNUSED_PAD src0_sel:WORD_0 src1_sel:DWORD
	v_lshrrev_b32_sdwa v4, v7, v2 dst_sel:BYTE_1 dst_unused:UNUSED_PAD src0_sel:DWORD src1_sel:DWORD
	v_or_b32_sdwa v4, v2, v4 dst_sel:DWORD dst_unused:UNUSED_PAD src0_sel:BYTE_0 src1_sel:DWORD
	v_lshlrev_b16_e32 v5, 8, v6
	v_and_b32_sdwa v2, v2, s2 dst_sel:DWORD dst_unused:UNUSED_PAD src0_sel:WORD_1 src1_sel:DWORD
	v_or_b32_sdwa v2, v2, v5 dst_sel:WORD_1 dst_unused:UNUSED_PAD src0_sel:DWORD src1_sel:DWORD
	v_or_b32_sdwa v34, v4, v2 dst_sel:DWORD dst_unused:UNUSED_PAD src0_sel:WORD_0 src1_sel:DWORD
.LBB333_97:
	s_or_b64 exec, exec, s[4:5]
	v_add_u32_e32 v2, 11, v30
	v_mov_b32_e32 v35, 0
	v_cmp_le_u32_e32 vcc, s18, v2
                                        ; implicit-def: $vgpr36
	s_and_saveexec_b64 s[2:3], vcc
	s_xor_b64 s[2:3], exec, s[2:3]
; %bb.98:
	v_and_b32_e32 v2, 0xff0000, v3
	s_mov_b32 s4, 0x3020504
	v_perm_b32 v36, v3, v2, s4
	s_mov_b32 s4, 0x3060504
	v_perm_b32 v1, v1, v1, s4
                                        ; implicit-def: $vgpr3
; %bb.99:
	s_andn2_saveexec_b64 s[4:5], s[2:3]
	s_cbranch_execz .LBB333_103
; %bb.100:
	v_add_u32_e32 v2, s37, v10
	v_add_u32_e32 v4, s39, v10
	v_mul_lo_u32 v2, v2, s36
	v_mul_lo_u32 v4, v4, s38
	s_mov_b64 s[8:9], 0
	v_sub_u32_e32 v2, v2, v4
	v_cmp_lt_u32_e32 vcc, s40, v2
	v_cmp_ge_u32_e64 s[2:3], s40, v2
	s_and_saveexec_b64 s[10:11], s[2:3]
	s_cbranch_execz .LBB333_102
; %bb.101:
	v_add_u32_e32 v2, s42, v10
	v_add_u32_e32 v4, s58, v10
	v_mul_lo_u32 v2, v2, s41
	v_mul_lo_u32 v4, v4, s43
	v_sub_u32_e32 v2, v2, v4
	v_cmp_lt_u32_e64 s[2:3], s59, v2
	s_and_b64 s[8:9], s[2:3], exec
.LBB333_102:
	s_or_b64 exec, exec, s[10:11]
	v_mov_b32_e32 v4, 8
	v_cndmask_b32_e64 v2, 0, 1, vcc
	s_movk_i32 s2, 0xff
	v_lshrrev_b32_sdwa v4, v4, v3 dst_sel:BYTE_1 dst_unused:UNUSED_PAD src0_sel:DWORD src1_sel:DWORD
	v_or_b32_sdwa v4, v3, v4 dst_sel:DWORD dst_unused:UNUSED_PAD src0_sel:BYTE_0 src1_sel:DWORD
	v_lshlrev_b16_e32 v2, 8, v2
	v_and_b32_sdwa v3, v3, s2 dst_sel:DWORD dst_unused:UNUSED_PAD src0_sel:WORD_1 src1_sel:DWORD
	v_or_b32_sdwa v2, v3, v2 dst_sel:WORD_1 dst_unused:UNUSED_PAD src0_sel:DWORD src1_sel:DWORD
	v_cndmask_b32_e64 v35, 0, 1, s[8:9]
	v_or_b32_sdwa v36, v4, v2 dst_sel:DWORD dst_unused:UNUSED_PAD src0_sel:WORD_0 src1_sel:DWORD
.LBB333_103:
	s_or_b64 exec, exec, s[4:5]
	v_add_u32_e32 v2, 12, v30
	v_cmp_le_u32_e32 vcc, s18, v2
	v_lshrrev_b32_e32 v2, 24, v1
                                        ; implicit-def: $vgpr37
	s_and_saveexec_b64 s[2:3], vcc
	s_xor_b64 s[2:3], exec, s[2:3]
; %bb.104:
	s_movk_i32 s4, 0xff
	v_lshlrev_b16_e32 v2, 8, v2
	v_and_b32_sdwa v4, v1, s4 dst_sel:DWORD dst_unused:UNUSED_PAD src0_sel:WORD_1 src1_sel:DWORD
	v_mov_b32_e32 v3, 8
	v_or_b32_sdwa v37, v4, v2 dst_sel:WORD_1 dst_unused:UNUSED_PAD src0_sel:DWORD src1_sel:DWORD
	v_lshrrev_b32_sdwa v37, v3, v1 dst_sel:BYTE_1 dst_unused:UNUSED_PRESERVE src0_sel:DWORD src1_sel:DWORD
                                        ; implicit-def: $vgpr2
                                        ; implicit-def: $vgpr1
; %bb.105:
	s_or_saveexec_b64 s[4:5], s[2:3]
	v_mov_b32_e32 v38, 0
	s_xor_b64 exec, exec, s[4:5]
	s_cbranch_execz .LBB333_109
; %bb.106:
	v_add_u32_e32 v3, s37, v29
	v_add_u32_e32 v4, s39, v29
	v_mul_lo_u32 v3, v3, s36
	v_mul_lo_u32 v4, v4, s38
	s_mov_b64 s[8:9], 0
	v_sub_u32_e32 v3, v3, v4
	v_cmp_lt_u32_e32 vcc, s40, v3
	v_cmp_ge_u32_e64 s[2:3], s40, v3
	s_and_saveexec_b64 s[10:11], s[2:3]
	s_cbranch_execz .LBB333_108
; %bb.107:
	v_add_u32_e32 v3, s42, v29
	v_add_u32_e32 v4, s58, v29
	v_mul_lo_u32 v3, v3, s41
	v_mul_lo_u32 v4, v4, s43
	v_sub_u32_e32 v3, v3, v4
	v_cmp_lt_u32_e64 s[2:3], s59, v3
	s_and_b64 s[8:9], s[2:3], exec
.LBB333_108:
	s_or_b64 exec, exec, s[10:11]
	s_movk_i32 s2, 0xff
	v_lshlrev_b16_e32 v2, 8, v2
	v_and_b32_sdwa v4, v1, s2 dst_sel:DWORD dst_unused:UNUSED_PAD src0_sel:WORD_1 src1_sel:DWORD
	v_or_b32_sdwa v2, v4, v2 dst_sel:WORD_1 dst_unused:UNUSED_PAD src0_sel:DWORD src1_sel:DWORD
	v_mov_b32_e32 v4, 8
	v_cndmask_b32_e64 v3, 0, 1, vcc
	v_lshrrev_b32_sdwa v1, v4, v1 dst_sel:BYTE_1 dst_unused:UNUSED_PAD src0_sel:DWORD src1_sel:DWORD
	v_or_b32_e32 v1, v3, v1
	v_cndmask_b32_e64 v38, 0, 1, s[8:9]
	v_or_b32_sdwa v37, v1, v2 dst_sel:DWORD dst_unused:UNUSED_PAD src0_sel:WORD_0 src1_sel:DWORD
.LBB333_109:
	s_or_b64 exec, exec, s[4:5]
.LBB333_110:
	v_and_b32_e32 v48, 0xff, v31
	v_bfe_u32 v45, v31, 8, 8
	v_bfe_u32 v50, v31, 16, 8
	v_lshrrev_b32_e32 v43, 24, v31
	v_and_b32_e32 v51, 0xff, v33
	v_add3_u32 v4, v45, v48, v50
	v_bfe_u32 v46, v33, 8, 8
	v_bfe_u32 v53, v33, 16, 8
	v_add3_u32 v4, v4, v43, v51
	v_bfe_u32 v49, v37, 8, 8
	v_bfe_u32 v57, v37, 16, 8
	v_lshrrev_b32_e32 v44, 24, v37
	v_lshrrev_b32_e32 v41, 24, v33
	v_and_b32_e32 v54, 0xff, v36
	v_add3_u32 v4, v4, v46, v53
	v_and_b32_e32 v58, 0xff, v32
	v_bfe_u32 v52, v32, 8, 8
	v_bfe_u32 v47, v36, 8, 8
	;; [unrolled: 1-line block ×3, first 2 shown]
	v_add3_u32 v3, v57, v49, v44
	v_add3_u32 v4, v4, v41, v54
	v_bfe_u32 v59, v32, 16, 8
	v_lshrrev_b32_e32 v42, 24, v32
	v_lshrrev_b32_e32 v39, 24, v36
	v_and_b32_e32 v1, 0xff, v37
	v_add3_u32 v3, v3, v58, v52
	v_add3_u32 v4, v4, v47, v56
	v_and_b32_e32 v60, 0xff, v34
	v_bfe_u32 v55, v34, 8, 8
	v_add3_u32 v3, v3, v59, v42
	v_add3_u32 v68, v4, v39, v1
	v_mbcnt_lo_u32_b32 v1, -1, 0
	v_bfe_u32 v61, v34, 16, 8
	v_lshrrev_b32_e32 v40, 24, v34
	v_add3_u32 v3, v3, v60, v55
	v_mbcnt_hi_u32_b32 v63, -1, v1
	v_and_b32_e32 v62, 0xff, v35
	v_and_b32_e32 v2, 0xff, v38
	v_add3_u32 v3, v3, v61, v40
	v_and_b32_e32 v67, 15, v63
	s_cmp_lg_u32 s6, 0
	v_add3_u32 v69, v3, v62, v2
	v_cmp_eq_u32_e64 s[4:5], 0, v67
	v_cmp_lt_u32_e64 s[2:3], 1, v67
	v_cmp_lt_u32_e64 s[8:9], 3, v67
	;; [unrolled: 1-line block ×3, first 2 shown]
	v_and_b32_e32 v66, 16, v63
	v_cmp_lt_u32_e32 vcc, 31, v63
	v_lshrrev_b32_e32 v64, 6, v0
	v_or_b32_e32 v65, 63, v0
	s_cbranch_scc0 .LBB333_132
; %bb.111:
	v_mov_b32_dpp v1, v68 row_shr:1 row_mask:0xf bank_mask:0xf
	v_mov_b32_dpp v2, v69 row_shr:1 row_mask:0xf bank_mask:0xf
	v_add_u32_e32 v1, v1, v68
	v_add_u32_e32 v2, v2, v69
	v_cndmask_b32_e64 v2, v2, v69, s[4:5]
	v_cndmask_b32_e64 v1, v1, v68, s[4:5]
	s_nop 0
	v_mov_b32_dpp v4, v2 row_shr:2 row_mask:0xf bank_mask:0xf
	v_mov_b32_dpp v3, v1 row_shr:2 row_mask:0xf bank_mask:0xf
	v_add_u32_e32 v3, v1, v3
	v_add_u32_e32 v4, v2, v4
	v_cndmask_b32_e64 v2, v2, v4, s[2:3]
	v_cndmask_b32_e64 v1, v1, v3, s[2:3]
	s_nop 0
	v_mov_b32_dpp v4, v2 row_shr:4 row_mask:0xf bank_mask:0xf
	v_mov_b32_dpp v3, v1 row_shr:4 row_mask:0xf bank_mask:0xf
	v_add_u32_e32 v3, v1, v3
	v_add_u32_e32 v4, v2, v4
	v_cndmask_b32_e64 v2, v2, v4, s[8:9]
	v_cndmask_b32_e64 v1, v1, v3, s[8:9]
	v_cmp_eq_u32_e64 s[8:9], 0, v66
	v_mov_b32_dpp v4, v2 row_shr:8 row_mask:0xf bank_mask:0xf
	v_mov_b32_dpp v3, v1 row_shr:8 row_mask:0xf bank_mask:0xf
	v_add_u32_e32 v3, v1, v3
	v_add_u32_e32 v4, v2, v4
	v_cndmask_b32_e64 v2, v2, v4, s[10:11]
	v_cndmask_b32_e64 v3, v1, v3, s[10:11]
	s_nop 0
	v_mov_b32_dpp v4, v2 row_bcast:15 row_mask:0xf bank_mask:0xf
	v_mov_b32_dpp v1, v3 row_bcast:15 row_mask:0xf bank_mask:0xf
	v_add_u32_e32 v5, v3, v1
	v_add_u32_e32 v1, v2, v4
	v_cndmask_b32_e64 v1, v1, v2, s[8:9]
	v_cndmask_b32_e64 v2, v5, v3, s[8:9]
	v_cmp_eq_u32_e64 s[8:9], v0, v65
	v_mov_b32_dpp v3, v1 row_bcast:31 row_mask:0xf bank_mask:0xf
	v_mov_b32_dpp v4, v2 row_bcast:31 row_mask:0xf bank_mask:0xf
	v_add_u32_e32 v3, v1, v3
	v_add_u32_e32 v4, v2, v4
	s_and_saveexec_b64 s[10:11], s[8:9]
; %bb.112:
	v_lshlrev_b32_e32 v7, 3, v64
	v_cndmask_b32_e32 v6, v1, v3, vcc
	v_cndmask_b32_e32 v5, v2, v4, vcc
	ds_write_b64 v7, v[5:6]
; %bb.113:
	s_or_b64 exec, exec, s[10:11]
	v_cmp_gt_u32_e64 s[8:9], 4, v0
	s_waitcnt lgkmcnt(0)
	s_barrier
	s_and_saveexec_b64 s[10:11], s[8:9]
	s_cbranch_execz .LBB333_115
; %bb.114:
	v_lshlrev_b32_e32 v7, 3, v0
	ds_read_b64 v[5:6], v7
	v_and_b32_e32 v8, 3, v63
	v_cmp_eq_u32_e64 s[8:9], 0, v8
	s_waitcnt lgkmcnt(0)
	v_mov_b32_dpp v21, v5 row_shr:1 row_mask:0xf bank_mask:0xf
	v_mov_b32_dpp v22, v6 row_shr:1 row_mask:0xf bank_mask:0xf
	v_add_u32_e32 v21, v21, v5
	v_add_u32_e32 v22, v22, v6
	v_cndmask_b32_e64 v6, v22, v6, s[8:9]
	v_cndmask_b32_e64 v5, v21, v5, s[8:9]
	v_cmp_lt_u32_e64 s[8:9], 1, v8
	v_mov_b32_dpp v22, v6 row_shr:2 row_mask:0xf bank_mask:0xf
	v_mov_b32_dpp v21, v5 row_shr:2 row_mask:0xf bank_mask:0xf
	v_cndmask_b32_e64 v8, 0, v21, s[8:9]
	v_cndmask_b32_e64 v21, 0, v22, s[8:9]
	v_add_u32_e32 v6, v21, v6
	v_add_u32_e32 v5, v8, v5
	ds_write_b64 v7, v[5:6]
.LBB333_115:
	s_or_b64 exec, exec, s[10:11]
	v_cndmask_b32_e32 v1, v1, v3, vcc
	v_cndmask_b32_e32 v2, v2, v4, vcc
	v_cmp_gt_u32_e32 vcc, 64, v0
	v_cmp_lt_u32_e64 s[8:9], 63, v0
	s_waitcnt lgkmcnt(0)
	s_barrier
                                        ; implicit-def: $vgpr21
	s_and_saveexec_b64 s[10:11], s[8:9]
	s_cbranch_execz .LBB333_117
; %bb.116:
	v_lshl_add_u32 v3, v64, 3, -8
	ds_read_b64 v[21:22], v3
	s_waitcnt lgkmcnt(0)
	v_add_u32_e32 v1, v22, v1
	v_add_u32_e32 v2, v21, v2
.LBB333_117:
	s_or_b64 exec, exec, s[10:11]
	v_subrev_co_u32_e64 v3, s[8:9], 1, v63
	v_and_b32_e32 v4, 64, v63
	v_cmp_lt_i32_e64 s[10:11], v3, v4
	v_cndmask_b32_e64 v3, v3, v63, s[10:11]
	v_lshlrev_b32_e32 v3, 2, v3
	ds_bpermute_b32 v70, v3, v2
	ds_bpermute_b32 v71, v3, v1
	s_and_saveexec_b64 s[10:11], vcc
	s_cbranch_execz .LBB333_137
; %bb.118:
	v_mov_b32_e32 v4, 0
	ds_read_b64 v[1:2], v4 offset:24
	s_and_saveexec_b64 s[14:15], s[8:9]
	s_cbranch_execz .LBB333_120
; %bb.119:
	s_add_i32 s16, s6, 64
	s_mov_b32 s17, 0
	s_lshl_b64 s[16:17], s[16:17], 4
	s_add_u32 s16, s12, s16
	s_addc_u32 s17, s13, s17
	v_mov_b32_e32 v5, s16
	v_mov_b32_e32 v3, 1
	;; [unrolled: 1-line block ×3, first 2 shown]
	s_waitcnt lgkmcnt(0)
	;;#ASMSTART
	global_store_dwordx4 v[5:6], v[1:4] off	
s_waitcnt vmcnt(0)
	;;#ASMEND
.LBB333_120:
	s_or_b64 exec, exec, s[14:15]
	v_xad_u32 v23, v63, -1, s6
	v_add_u32_e32 v3, 64, v23
	v_lshlrev_b64 v[5:6], 4, v[3:4]
	v_mov_b32_e32 v3, s13
	v_add_co_u32_e32 v24, vcc, s12, v5
	v_addc_co_u32_e32 v25, vcc, v3, v6, vcc
	;;#ASMSTART
	global_load_dwordx4 v[5:8], v[24:25] off glc	
s_waitcnt vmcnt(0)
	;;#ASMEND
	v_cmp_eq_u16_sdwa s[16:17], v7, v4 src0_sel:BYTE_0 src1_sel:DWORD
	s_and_saveexec_b64 s[14:15], s[16:17]
	s_cbranch_execz .LBB333_124
; %bb.121:
	s_mov_b64 s[16:17], 0
	v_mov_b32_e32 v3, 0
.LBB333_122:                            ; =>This Inner Loop Header: Depth=1
	;;#ASMSTART
	global_load_dwordx4 v[5:8], v[24:25] off glc	
s_waitcnt vmcnt(0)
	;;#ASMEND
	v_cmp_ne_u16_sdwa s[20:21], v7, v3 src0_sel:BYTE_0 src1_sel:DWORD
	s_or_b64 s[16:17], s[20:21], s[16:17]
	s_andn2_b64 exec, exec, s[16:17]
	s_cbranch_execnz .LBB333_122
; %bb.123:
	s_or_b64 exec, exec, s[16:17]
.LBB333_124:
	s_or_b64 exec, exec, s[14:15]
	v_and_b32_e32 v73, 63, v63
	v_cmp_ne_u32_e32 vcc, 63, v73
	v_mov_b32_e32 v72, 2
	v_lshlrev_b64 v[25:26], v63, -1
	v_addc_co_u32_e32 v8, vcc, 0, v63, vcc
	v_cmp_eq_u16_sdwa s[14:15], v7, v72 src0_sel:BYTE_0 src1_sel:DWORD
	v_lshlrev_b32_e32 v74, 2, v8
	v_and_b32_e32 v3, s15, v26
	ds_bpermute_b32 v8, v74, v5
	ds_bpermute_b32 v24, v74, v6
	v_or_b32_e32 v3, 0x80000000, v3
	v_and_b32_e32 v4, s14, v25
	v_ffbl_b32_e32 v3, v3
	v_add_u32_e32 v3, 32, v3
	v_ffbl_b32_e32 v4, v4
	v_min_u32_e32 v3, v4, v3
	s_waitcnt lgkmcnt(1)
	v_add_u32_e32 v4, v8, v5
	s_waitcnt lgkmcnt(0)
	v_add_u32_e32 v8, v24, v6
	v_cmp_lt_u32_e32 vcc, v73, v3
	v_cndmask_b32_e32 v6, v6, v8, vcc
	v_cndmask_b32_e32 v4, v5, v4, vcc
	v_cmp_gt_u32_e32 vcc, 62, v73
	v_cndmask_b32_e64 v5, 0, 2, vcc
	v_add_lshl_u32 v75, v5, v63, 2
	ds_bpermute_b32 v5, v75, v4
	ds_bpermute_b32 v8, v75, v6
	v_add_u32_e32 v76, 2, v73
	v_cmp_gt_u32_e32 vcc, v76, v3
	v_add_u32_e32 v78, 4, v73
	s_waitcnt lgkmcnt(1)
	v_add_u32_e32 v5, v4, v5
	s_waitcnt lgkmcnt(0)
	v_add_u32_e32 v8, v6, v8
	v_cndmask_b32_e32 v6, v8, v6, vcc
	v_cndmask_b32_e32 v4, v5, v4, vcc
	v_cmp_gt_u32_e32 vcc, 60, v73
	v_cndmask_b32_e64 v5, 0, 4, vcc
	v_add_lshl_u32 v77, v5, v63, 2
	ds_bpermute_b32 v5, v77, v4
	ds_bpermute_b32 v8, v77, v6
	v_cmp_gt_u32_e32 vcc, v78, v3
	v_add_u32_e32 v80, 8, v73
	v_add_u32_e32 v82, 16, v73
	s_waitcnt lgkmcnt(1)
	v_add_u32_e32 v5, v4, v5
	s_waitcnt lgkmcnt(0)
	v_add_u32_e32 v8, v6, v8
	v_cndmask_b32_e32 v6, v8, v6, vcc
	v_cndmask_b32_e32 v4, v5, v4, vcc
	v_cmp_gt_u32_e32 vcc, 56, v73
	v_cndmask_b32_e64 v5, 0, 8, vcc
	v_add_lshl_u32 v79, v5, v63, 2
	ds_bpermute_b32 v5, v79, v4
	ds_bpermute_b32 v8, v79, v6
	v_cmp_gt_u32_e32 vcc, v80, v3
	v_add_u32_e32 v84, 32, v73
	v_mov_b32_e32 v24, 0
	s_waitcnt lgkmcnt(1)
	v_add_u32_e32 v5, v4, v5
	s_waitcnt lgkmcnt(0)
	v_add_u32_e32 v8, v6, v8
	v_cndmask_b32_e32 v6, v8, v6, vcc
	v_cndmask_b32_e32 v4, v5, v4, vcc
	v_cmp_gt_u32_e32 vcc, 48, v73
	v_cndmask_b32_e64 v5, 0, 16, vcc
	v_add_lshl_u32 v81, v5, v63, 2
	ds_bpermute_b32 v5, v81, v4
	ds_bpermute_b32 v8, v81, v6
	v_cmp_gt_u32_e32 vcc, v82, v3
	s_waitcnt lgkmcnt(1)
	v_add_u32_e32 v5, v4, v5
	s_waitcnt lgkmcnt(0)
	v_add_u32_e32 v8, v6, v8
	v_cndmask_b32_e32 v4, v5, v4, vcc
	v_mov_b32_e32 v5, 0x80
	v_cndmask_b32_e32 v6, v8, v6, vcc
	v_lshl_or_b32 v83, v63, 2, v5
	ds_bpermute_b32 v5, v83, v4
	ds_bpermute_b32 v8, v83, v6
	v_cmp_le_u32_e32 vcc, v84, v3
	s_waitcnt lgkmcnt(1)
	v_cndmask_b32_e32 v3, 0, v5, vcc
	s_waitcnt lgkmcnt(0)
	v_cndmask_b32_e32 v5, 0, v8, vcc
	v_add_u32_e32 v6, v6, v5
	v_add_u32_e32 v5, v4, v3
	s_branch .LBB333_128
.LBB333_125:                            ;   in Loop: Header=BB333_128 Depth=1
	s_or_b64 exec, exec, s[16:17]
.LBB333_126:                            ;   in Loop: Header=BB333_128 Depth=1
	s_or_b64 exec, exec, s[14:15]
	v_cmp_eq_u16_sdwa s[14:15], v7, v72 src0_sel:BYTE_0 src1_sel:DWORD
	v_and_b32_e32 v8, s15, v26
	ds_bpermute_b32 v28, v74, v5
	ds_bpermute_b32 v85, v74, v6
	v_or_b32_e32 v8, 0x80000000, v8
	v_and_b32_e32 v27, s14, v25
	v_ffbl_b32_e32 v8, v8
	v_add_u32_e32 v8, 32, v8
	v_ffbl_b32_e32 v27, v27
	v_min_u32_e32 v8, v27, v8
	s_waitcnt lgkmcnt(1)
	v_add_u32_e32 v27, v28, v5
	s_waitcnt lgkmcnt(0)
	v_add_u32_e32 v28, v85, v6
	v_cmp_lt_u32_e32 vcc, v73, v8
	v_cndmask_b32_e32 v6, v6, v28, vcc
	v_cndmask_b32_e32 v5, v5, v27, vcc
	ds_bpermute_b32 v27, v75, v5
	ds_bpermute_b32 v28, v75, v6
	v_cmp_gt_u32_e32 vcc, v76, v8
	v_subrev_u32_e32 v23, 64, v23
	s_mov_b64 s[14:15], 0
	s_waitcnt lgkmcnt(1)
	v_add_u32_e32 v27, v5, v27
	s_waitcnt lgkmcnt(0)
	v_add_u32_e32 v28, v6, v28
	v_cndmask_b32_e32 v6, v28, v6, vcc
	v_cndmask_b32_e32 v5, v27, v5, vcc
	ds_bpermute_b32 v27, v77, v5
	ds_bpermute_b32 v28, v77, v6
	v_cmp_gt_u32_e32 vcc, v78, v8
	s_waitcnt lgkmcnt(1)
	v_add_u32_e32 v27, v5, v27
	s_waitcnt lgkmcnt(0)
	v_add_u32_e32 v28, v6, v28
	v_cndmask_b32_e32 v6, v28, v6, vcc
	v_cndmask_b32_e32 v5, v27, v5, vcc
	ds_bpermute_b32 v27, v79, v5
	ds_bpermute_b32 v28, v79, v6
	v_cmp_gt_u32_e32 vcc, v80, v8
	;; [unrolled: 9-line block ×3, first 2 shown]
	s_waitcnt lgkmcnt(1)
	v_add_u32_e32 v27, v5, v27
	s_waitcnt lgkmcnt(0)
	v_add_u32_e32 v28, v6, v28
	v_cndmask_b32_e32 v6, v28, v6, vcc
	v_cndmask_b32_e32 v5, v27, v5, vcc
	ds_bpermute_b32 v27, v83, v5
	ds_bpermute_b32 v28, v83, v6
	v_cmp_le_u32_e32 vcc, v84, v8
	s_waitcnt lgkmcnt(1)
	v_cndmask_b32_e32 v8, 0, v27, vcc
	s_waitcnt lgkmcnt(0)
	v_cndmask_b32_e32 v27, 0, v28, vcc
	v_add3_u32 v6, v27, v4, v6
	v_add3_u32 v5, v8, v3, v5
.LBB333_127:                            ;   in Loop: Header=BB333_128 Depth=1
	s_and_b64 vcc, exec, s[14:15]
	s_cbranch_vccnz .LBB333_133
.LBB333_128:                            ; =>This Loop Header: Depth=1
                                        ;     Child Loop BB333_131 Depth 2
	v_mov_b32_e32 v3, v5
	v_cmp_ne_u16_sdwa s[14:15], v7, v72 src0_sel:BYTE_0 src1_sel:DWORD
	v_mov_b32_e32 v4, v6
	s_cmp_lg_u64 s[14:15], exec
	s_mov_b64 s[14:15], -1
                                        ; implicit-def: $vgpr7
                                        ; implicit-def: $vgpr5_vgpr6
	s_cbranch_scc1 .LBB333_127
; %bb.129:                              ;   in Loop: Header=BB333_128 Depth=1
	v_lshlrev_b64 v[5:6], 4, v[23:24]
	v_mov_b32_e32 v7, s13
	v_add_co_u32_e32 v27, vcc, s12, v5
	v_addc_co_u32_e32 v28, vcc, v7, v6, vcc
	;;#ASMSTART
	global_load_dwordx4 v[5:8], v[27:28] off glc	
s_waitcnt vmcnt(0)
	;;#ASMEND
	v_cmp_eq_u16_sdwa s[16:17], v7, v24 src0_sel:BYTE_0 src1_sel:DWORD
	s_and_saveexec_b64 s[14:15], s[16:17]
	s_cbranch_execz .LBB333_126
; %bb.130:                              ;   in Loop: Header=BB333_128 Depth=1
	s_mov_b64 s[16:17], 0
.LBB333_131:                            ;   Parent Loop BB333_128 Depth=1
                                        ; =>  This Inner Loop Header: Depth=2
	;;#ASMSTART
	global_load_dwordx4 v[5:8], v[27:28] off glc	
s_waitcnt vmcnt(0)
	;;#ASMEND
	v_cmp_ne_u16_sdwa s[20:21], v7, v24 src0_sel:BYTE_0 src1_sel:DWORD
	s_or_b64 s[16:17], s[20:21], s[16:17]
	s_andn2_b64 exec, exec, s[16:17]
	s_cbranch_execnz .LBB333_131
	s_branch .LBB333_125
.LBB333_132:
                                        ; implicit-def: $vgpr22
                                        ; implicit-def: $vgpr3
                                        ; implicit-def: $vgpr23
	s_cbranch_execnz .LBB333_138
	s_branch .LBB333_147
.LBB333_133:
	s_and_saveexec_b64 s[14:15], s[8:9]
	s_cbranch_execnz .LBB333_375
; %bb.134:
	s_or_b64 exec, exec, s[14:15]
	s_and_saveexec_b64 s[6:7], s[8:9]
	s_cbranch_execnz .LBB333_376
.LBB333_135:
	s_or_b64 exec, exec, s[6:7]
	v_cmp_eq_u32_e32 vcc, 0, v0
	s_and_b64 exec, exec, vcc
.LBB333_136:
	v_mov_b32_e32 v1, 0
	ds_write_b64 v1, v[3:4] offset:24
.LBB333_137:
	s_or_b64 exec, exec, s[10:11]
	v_mov_b32_e32 v1, 0
	s_waitcnt lgkmcnt(0)
	s_barrier
	ds_read_b64 v[5:6], v1 offset:24
	v_cndmask_b32_e64 v2, v71, v22, s[8:9]
	v_cndmask_b32_e64 v3, v70, v21, s[8:9]
	s_waitcnt lgkmcnt(0)
	s_barrier
	v_add_u32_e32 v7, v5, v3
	v_add_u32_e32 v8, v6, v2
	ds_read_b128 v[1:4], v1 offset:13312
	v_cmp_eq_u32_e32 vcc, 0, v0
	v_cndmask_b32_e32 v22, v8, v6, vcc
	v_cndmask_b32_e32 v23, v7, v5, vcc
	s_branch .LBB333_147
.LBB333_138:
	s_waitcnt lgkmcnt(0)
	v_mov_b32_dpp v1, v68 row_shr:1 row_mask:0xf bank_mask:0xf
	v_mov_b32_dpp v2, v69 row_shr:1 row_mask:0xf bank_mask:0xf
	v_add_u32_e32 v1, v1, v68
	v_add_u32_e32 v2, v2, v69
	v_cndmask_b32_e64 v2, v2, v69, s[4:5]
	v_cndmask_b32_e64 v1, v1, v68, s[4:5]
	v_cmp_lt_u32_e32 vcc, 3, v67
	v_mov_b32_dpp v4, v2 row_shr:2 row_mask:0xf bank_mask:0xf
	v_mov_b32_dpp v3, v1 row_shr:2 row_mask:0xf bank_mask:0xf
	v_add_u32_e32 v3, v1, v3
	v_add_u32_e32 v4, v2, v4
	v_cndmask_b32_e64 v2, v2, v4, s[2:3]
	v_cndmask_b32_e64 v1, v1, v3, s[2:3]
	v_cmp_eq_u32_e64 s[2:3], v0, v65
	v_mov_b32_dpp v4, v2 row_shr:4 row_mask:0xf bank_mask:0xf
	v_mov_b32_dpp v3, v1 row_shr:4 row_mask:0xf bank_mask:0xf
	v_add_u32_e32 v3, v1, v3
	v_add_u32_e32 v4, v2, v4
	v_cndmask_b32_e32 v2, v2, v4, vcc
	v_cndmask_b32_e32 v1, v1, v3, vcc
	v_cmp_lt_u32_e32 vcc, 7, v67
	v_mov_b32_dpp v4, v2 row_shr:8 row_mask:0xf bank_mask:0xf
	v_mov_b32_dpp v3, v1 row_shr:8 row_mask:0xf bank_mask:0xf
	v_add_u32_e32 v3, v1, v3
	v_add_u32_e32 v4, v2, v4
	v_cndmask_b32_e32 v2, v2, v4, vcc
	v_cndmask_b32_e32 v3, v1, v3, vcc
	v_cmp_eq_u32_e32 vcc, 0, v66
	v_mov_b32_dpp v4, v2 row_bcast:15 row_mask:0xf bank_mask:0xf
	v_mov_b32_dpp v1, v3 row_bcast:15 row_mask:0xf bank_mask:0xf
	v_add_u32_e32 v5, v3, v1
	v_add_u32_e32 v1, v2, v4
	v_cndmask_b32_e32 v1, v1, v2, vcc
	v_cndmask_b32_e32 v2, v5, v3, vcc
	v_cmp_lt_u32_e32 vcc, 31, v63
	v_mov_b32_dpp v3, v1 row_bcast:31 row_mask:0xf bank_mask:0xf
	v_mov_b32_dpp v4, v2 row_bcast:31 row_mask:0xf bank_mask:0xf
	v_add_u32_e32 v3, v1, v3
	v_add_u32_e32 v4, v2, v4
	s_and_saveexec_b64 s[4:5], s[2:3]
; %bb.139:
	v_cndmask_b32_e32 v5, v2, v4, vcc
	v_cndmask_b32_e32 v6, v1, v3, vcc
	v_lshlrev_b32_e32 v7, 3, v64
	ds_write_b64 v7, v[5:6]
; %bb.140:
	s_or_b64 exec, exec, s[4:5]
	v_cmp_gt_u32_e64 s[2:3], 4, v0
	s_waitcnt lgkmcnt(0)
	s_barrier
	s_and_saveexec_b64 s[4:5], s[2:3]
	s_cbranch_execz .LBB333_142
; %bb.141:
	v_lshlrev_b32_e32 v7, 3, v0
	ds_read_b64 v[5:6], v7
	v_and_b32_e32 v8, 3, v63
	v_cmp_eq_u32_e64 s[2:3], 0, v8
	s_waitcnt lgkmcnt(0)
	v_mov_b32_dpp v21, v5 row_shr:1 row_mask:0xf bank_mask:0xf
	v_mov_b32_dpp v22, v6 row_shr:1 row_mask:0xf bank_mask:0xf
	v_add_u32_e32 v21, v21, v5
	v_add_u32_e32 v22, v22, v6
	v_cndmask_b32_e64 v6, v22, v6, s[2:3]
	v_cndmask_b32_e64 v5, v21, v5, s[2:3]
	v_cmp_lt_u32_e64 s[2:3], 1, v8
	v_mov_b32_dpp v22, v6 row_shr:2 row_mask:0xf bank_mask:0xf
	v_mov_b32_dpp v21, v5 row_shr:2 row_mask:0xf bank_mask:0xf
	v_cndmask_b32_e64 v8, 0, v21, s[2:3]
	v_cndmask_b32_e64 v21, 0, v22, s[2:3]
	v_add_u32_e32 v6, v21, v6
	v_add_u32_e32 v5, v8, v5
	ds_write_b64 v7, v[5:6]
.LBB333_142:
	s_or_b64 exec, exec, s[4:5]
	v_cmp_lt_u32_e64 s[2:3], 63, v0
	v_mov_b32_e32 v7, 0
	v_mov_b32_e32 v5, 0
	;; [unrolled: 1-line block ×3, first 2 shown]
	s_waitcnt lgkmcnt(0)
	s_barrier
	s_and_saveexec_b64 s[4:5], s[2:3]
; %bb.143:
	v_lshl_add_u32 v5, v64, 3, -8
	ds_read_b64 v[5:6], v5
; %bb.144:
	s_or_b64 exec, exec, s[4:5]
	v_cndmask_b32_e32 v2, v2, v4, vcc
	v_cndmask_b32_e32 v1, v1, v3, vcc
	v_subrev_co_u32_e32 v3, vcc, 1, v63
	v_and_b32_e32 v4, 64, v63
	v_cmp_lt_i32_e64 s[2:3], v3, v4
	v_cndmask_b32_e64 v3, v3, v63, s[2:3]
	s_waitcnt lgkmcnt(0)
	v_add_u32_e32 v1, v6, v1
	v_add_u32_e32 v2, v5, v2
	v_lshlrev_b32_e32 v3, 2, v3
	ds_bpermute_b32 v8, v3, v2
	ds_bpermute_b32 v21, v3, v1
	ds_read_b64 v[1:2], v7 offset:24
	v_cmp_eq_u32_e64 s[2:3], 0, v0
	s_and_saveexec_b64 s[4:5], s[2:3]
	s_cbranch_execz .LBB333_146
; %bb.145:
	s_add_u32 s6, s12, 0x400
	s_addc_u32 s7, s13, 0
	v_mov_b32_e32 v23, s7
	v_mov_b32_e32 v3, 2
	;; [unrolled: 1-line block ×4, first 2 shown]
	s_waitcnt lgkmcnt(0)
	;;#ASMSTART
	global_store_dwordx4 v[22:23], v[1:4] off	
s_waitcnt vmcnt(0)
	;;#ASMEND
.LBB333_146:
	s_or_b64 exec, exec, s[4:5]
	s_waitcnt lgkmcnt(2)
	v_cndmask_b32_e32 v3, v8, v5, vcc
	s_waitcnt lgkmcnt(1)
	v_cndmask_b32_e32 v4, v21, v6, vcc
	v_cndmask_b32_e64 v22, v4, 0, s[2:3]
	v_cndmask_b32_e64 v23, v3, 0, s[2:3]
	v_mov_b32_e32 v4, 0
	v_mov_b32_e32 v3, 0
	s_waitcnt lgkmcnt(0)
	s_barrier
.LBB333_147:
	v_mov_b32_e32 v6, s49
	s_waitcnt lgkmcnt(0)
	v_add_co_u32_e32 v5, vcc, s48, v3
	v_addc_co_u32_e32 v6, vcc, 0, v6, vcc
	v_mov_b32_e32 v27, s51
	v_sub_co_u32_e32 v28, vcc, s50, v1
	v_subbrev_co_u32_e32 v69, vcc, 0, v27, vcc
	v_add_co_u32_e32 v27, vcc, v28, v4
	v_add_u32_e32 v49, v22, v49
	v_addc_co_u32_e32 v28, vcc, 0, v69, vcc
	v_lshlrev_b32_e32 v69, 1, v1
	v_sub_u32_e32 v22, v22, v4
	v_lshrrev_b32_e32 v26, 8, v37
	v_add_u32_e32 v48, v23, v48
	v_add_u32_e32 v70, v69, v2
	v_sub_u32_e32 v23, v23, v3
	v_add_u32_e32 v22, v22, v1
	v_add_u32_e32 v30, v70, v30
	v_and_b32_e32 v26, 1, v26
	v_add_u32_e32 v71, v23, v22
	v_and_b32_e32 v70, 1, v31
	v_sub_u32_e32 v71, v30, v71
	v_cmp_eq_u32_e32 vcc, 1, v26
	v_cndmask_b32_e32 v22, v71, v22, vcc
	v_cmp_eq_u32_e32 vcc, 1, v70
	v_cndmask_b32_e32 v22, v22, v23, vcc
	v_lshlrev_b32_e32 v22, 2, v22
	v_sub_u32_e32 v23, v49, v4
	v_lshrrev_b32_e32 v25, 8, v31
	ds_write_b32 v22, v19
	v_sub_u32_e32 v19, v48, v3
	v_add_u32_e32 v23, v23, v1
	v_add_u32_e32 v45, v48, v45
	v_and_b32_e32 v22, 1, v25
	v_mov_b32_e32 v25, 1
	v_add_u32_e32 v48, v23, v19
	v_and_b32_sdwa v26, v25, v37 dst_sel:DWORD dst_unused:UNUSED_PAD src0_sel:DWORD src1_sel:WORD_1
	v_sub_u32_e32 v48, v30, v48
	v_add_u32_e32 v48, 1, v48
	v_cmp_eq_u32_e32 vcc, 1, v26
	v_cndmask_b32_e32 v23, v48, v23, vcc
	v_cmp_eq_u32_e32 vcc, 1, v22
	v_add_u32_e32 v57, v49, v57
	v_cndmask_b32_e32 v19, v23, v19, vcc
	v_lshlrev_b32_e32 v19, 2, v19
	v_sub_u32_e32 v22, v57, v4
	ds_write_b32 v19, v20
	v_sub_u32_e32 v19, v45, v3
	v_add_u32_e32 v22, v22, v1
	v_add_u32_e32 v26, v22, v19
	v_and_b32_e32 v23, 1, v44
	v_sub_u32_e32 v26, v30, v26
	v_and_b32_sdwa v20, v25, v31 dst_sel:DWORD dst_unused:UNUSED_PAD src0_sel:DWORD src1_sel:WORD_1
	v_add_u32_e32 v26, 2, v26
	v_cmp_eq_u32_e32 vcc, 1, v23
	v_cndmask_b32_e32 v22, v26, v22, vcc
	v_cmp_eq_u32_e32 vcc, 1, v20
	v_add_u32_e32 v63, v57, v44
	v_cndmask_b32_e32 v19, v22, v19, vcc
	v_add_u32_e32 v50, v45, v50
	v_lshlrev_b32_e32 v19, 2, v19
	v_sub_u32_e32 v20, v63, v4
	ds_write_b32 v19, v17
	v_sub_u32_e32 v17, v50, v3
	v_add_u32_e32 v20, v20, v1
	v_add_u32_e32 v23, v17, v20
	v_and_b32_e32 v22, 1, v32
	v_sub_u32_e32 v23, v30, v23
	v_and_b32_e32 v19, 1, v43
	v_add_u32_e32 v23, 3, v23
	v_cmp_eq_u32_e32 vcc, 1, v22
	v_cndmask_b32_e32 v20, v23, v20, vcc
	v_cmp_eq_u32_e32 vcc, 1, v19
	v_add_u32_e32 v58, v63, v58
	v_cndmask_b32_e32 v17, v20, v17, vcc
	v_add_u32_e32 v64, v50, v43
	v_lshlrev_b32_e32 v17, 2, v17
	v_sub_u32_e32 v19, v58, v4
	ds_write_b32 v17, v18
	v_sub_u32_e32 v17, v64, v3
	v_add_u32_e32 v19, v19, v1
	v_lshrrev_b32_e32 v24, 8, v32
	v_add_u32_e32 v22, v17, v19
	v_and_b32_e32 v20, 1, v24
	v_sub_u32_e32 v22, v30, v22
	v_and_b32_e32 v18, 1, v33
	v_add_u32_e32 v22, 4, v22
	v_cmp_eq_u32_e32 vcc, 1, v20
	v_cndmask_b32_e32 v19, v22, v19, vcc
	v_cmp_eq_u32_e32 vcc, 1, v18
	v_add_u32_e32 v52, v58, v52
	v_cndmask_b32_e32 v17, v19, v17, vcc
	v_add_u32_e32 v51, v64, v51
	v_lshlrev_b32_e32 v17, 2, v17
	v_sub_u32_e32 v18, v52, v4
	ds_write_b32 v17, v15
	v_sub_u32_e32 v15, v51, v3
	v_add_u32_e32 v18, v18, v1
	v_add_u32_e32 v20, v15, v18
	v_lshrrev_b32_e32 v21, 8, v33
	v_and_b32_sdwa v19, v25, v32 dst_sel:DWORD dst_unused:UNUSED_PAD src0_sel:DWORD src1_sel:WORD_1
	v_sub_u32_e32 v20, v30, v20
	v_and_b32_e32 v17, 1, v21
	v_add_u32_e32 v20, 5, v20
	v_cmp_eq_u32_e32 vcc, 1, v19
	v_cndmask_b32_e32 v18, v20, v18, vcc
	v_cmp_eq_u32_e32 vcc, 1, v17
	v_add_u32_e32 v59, v52, v59
	v_cndmask_b32_e32 v15, v18, v15, vcc
	v_add_u32_e32 v46, v51, v46
	v_lshlrev_b32_e32 v15, 2, v15
	v_sub_u32_e32 v17, v59, v4
	ds_write_b32 v15, v16
	v_sub_u32_e32 v15, v46, v3
	v_add_u32_e32 v17, v17, v1
	v_add_u32_e32 v19, v15, v17
	v_and_b32_e32 v18, 1, v42
	v_sub_u32_e32 v19, v30, v19
	v_and_b32_sdwa v16, v25, v33 dst_sel:DWORD dst_unused:UNUSED_PAD src0_sel:DWORD src1_sel:WORD_1
	v_add_u32_e32 v19, 6, v19
	v_cmp_eq_u32_e32 vcc, 1, v18
	v_cndmask_b32_e32 v17, v19, v17, vcc
	v_cmp_eq_u32_e32 vcc, 1, v16
	v_add_u32_e32 v65, v59, v42
	v_cndmask_b32_e32 v15, v17, v15, vcc
	v_add_u32_e32 v53, v46, v53
	v_lshlrev_b32_e32 v15, 2, v15
	v_sub_u32_e32 v16, v65, v4
	ds_write_b32 v15, v13
	v_sub_u32_e32 v13, v53, v3
	v_add_u32_e32 v16, v16, v1
	v_add_u32_e32 v18, v13, v16
	v_and_b32_e32 v17, 1, v34
	v_sub_u32_e32 v18, v30, v18
	v_and_b32_e32 v15, 1, v41
	v_add_u32_e32 v18, 7, v18
	v_cmp_eq_u32_e32 vcc, 1, v17
	v_cndmask_b32_e32 v16, v18, v16, vcc
	v_cmp_eq_u32_e32 vcc, 1, v15
	v_add_u32_e32 v60, v65, v60
	v_cndmask_b32_e32 v13, v16, v13, vcc
	v_add_u32_e32 v66, v53, v41
	v_lshlrev_b32_e32 v13, 2, v13
	v_sub_u32_e32 v15, v60, v4
	ds_write_b32 v13, v14
	v_sub_u32_e32 v13, v66, v3
	v_add_u32_e32 v15, v15, v1
	v_lshrrev_b32_e32 v8, 8, v34
	v_add_u32_e32 v16, v13, v15
	v_and_b32_e32 v8, 1, v8
	v_sub_u32_e32 v16, v30, v16
	v_and_b32_e32 v14, 1, v36
	v_add_u32_e32 v16, 8, v16
	v_cmp_eq_u32_e32 vcc, 1, v8
	v_cndmask_b32_e32 v8, v16, v15, vcc
	v_cmp_eq_u32_e32 vcc, 1, v14
	v_cndmask_b32_e32 v8, v8, v13, vcc
	v_add_u32_e32 v55, v60, v55
	v_lshlrev_b32_e32 v8, 2, v8
	v_add_u32_e32 v54, v66, v54
	ds_write_b32 v8, v11
	v_sub_u32_e32 v11, v55, v4
	v_sub_u32_e32 v8, v54, v3
	v_add_u32_e32 v11, v11, v1
	v_add_u32_e32 v14, v8, v11
	v_lshrrev_b32_e32 v7, 8, v36
	v_and_b32_sdwa v13, v25, v34 dst_sel:DWORD dst_unused:UNUSED_PAD src0_sel:DWORD src1_sel:WORD_1
	v_sub_u32_e32 v14, v30, v14
	v_and_b32_e32 v7, 1, v7
	v_add_u32_e32 v14, 9, v14
	v_cmp_eq_u32_e32 vcc, 1, v13
	v_cndmask_b32_e32 v11, v14, v11, vcc
	v_cmp_eq_u32_e32 vcc, 1, v7
	v_add_u32_e32 v61, v55, v61
	v_cndmask_b32_e32 v7, v11, v8, vcc
	v_add_u32_e32 v47, v54, v47
	v_lshlrev_b32_e32 v7, 2, v7
	v_sub_u32_e32 v11, v61, v4
	ds_write_b32 v7, v12
	v_sub_u32_e32 v7, v47, v3
	v_add_u32_e32 v11, v11, v1
	v_add_u32_e32 v13, v7, v11
	v_and_b32_e32 v12, 1, v40
	v_sub_u32_e32 v13, v30, v13
	v_and_b32_sdwa v8, v25, v36 dst_sel:DWORD dst_unused:UNUSED_PAD src0_sel:DWORD src1_sel:WORD_1
	v_add_u32_e32 v13, 10, v13
	v_cmp_eq_u32_e32 vcc, 1, v12
	v_cndmask_b32_e32 v11, v13, v11, vcc
	v_cmp_eq_u32_e32 vcc, 1, v8
	v_cndmask_b32_e32 v7, v11, v7, vcc
	v_add_u32_e32 v67, v61, v40
	v_lshlrev_b32_e32 v7, 2, v7
	v_add_u32_e32 v56, v47, v56
	ds_write_b32 v7, v9
	v_sub_u32_e32 v9, v67, v4
	v_sub_u32_e32 v7, v56, v3
	v_add_u32_e32 v9, v9, v1
	v_add_u32_e32 v12, v7, v9
	v_and_b32_e32 v11, 1, v35
	v_sub_u32_e32 v12, v30, v12
	v_and_b32_e32 v8, 1, v39
	v_add_u32_e32 v12, 11, v12
	v_cmp_eq_u32_e32 vcc, 1, v11
	v_add_u32_e32 v62, v67, v62
	v_cndmask_b32_e32 v9, v12, v9, vcc
	v_cmp_eq_u32_e32 vcc, 1, v8
	v_add_u32_e32 v68, v56, v39
	v_cndmask_b32_e32 v7, v9, v7, vcc
	v_sub_u32_e32 v8, v62, v4
	v_lshlrev_b32_e32 v7, 2, v7
	v_sub_u32_e32 v3, v68, v3
	v_add_u32_e32 v8, v8, v1
	ds_write_b32 v7, v10
	v_add_u32_e32 v10, v3, v8
	v_and_b32_e32 v9, 1, v38
	v_sub_u32_e32 v10, v30, v10
	v_and_b32_e32 v7, 1, v37
	v_add_u32_e32 v10, 12, v10
	v_cmp_eq_u32_e32 vcc, 1, v9
	v_cndmask_b32_e32 v8, v10, v8, vcc
	v_cmp_eq_u32_e32 vcc, 1, v7
	v_cndmask_b32_e32 v3, v8, v3, vcc
	v_lshlrev_b32_e32 v3, 2, v3
	ds_write_b32 v3, v29
	v_add_co_u32_e32 v3, vcc, v2, v69
	v_addc_co_u32_e64 v7, s[2:3], 0, 0, vcc
	v_add_co_u32_e32 v3, vcc, v3, v27
	v_addc_co_u32_e32 v7, vcc, v7, v28, vcc
	s_add_u32 s4, s56, s33
	v_add_co_u32_e32 v3, vcc, v3, v5
	s_addc_u32 s5, s57, 0
	v_addc_co_u32_e32 v7, vcc, v7, v6, vcc
	v_mov_b32_e32 v8, s5
	v_sub_co_u32_e32 v3, vcc, s4, v3
	v_subb_co_u32_e32 v11, vcc, v8, v7, vcc
	v_lshlrev_b64 v[7:8], 2, v[27:28]
	v_mov_b32_e32 v9, s55
	v_add_co_u32_e32 v7, vcc, s54, v7
	v_addc_co_u32_e32 v8, vcc, v9, v8, vcc
	v_lshlrev_b64 v[9:10], 2, v[5:6]
	v_mov_b32_e32 v13, s53
	v_add_co_u32_e32 v9, vcc, s52, v9
	v_addc_co_u32_e32 v10, vcc, v13, v10, vcc
	v_add_u32_e32 v12, v1, v2
	s_and_b64 vcc, exec, s[0:1]
	s_mov_b64 s[0:1], -1
	s_waitcnt lgkmcnt(0)
	s_barrier
	s_cbranch_vccz .LBB333_151
; %bb.148:
	s_and_b64 vcc, exec, s[0:1]
	s_cbranch_vccnz .LBB333_256
.LBB333_149:
	v_cmp_eq_u32_e32 vcc, 0, v0
	s_and_b64 s[0:1], vcc, s[34:35]
	s_and_saveexec_b64 s[2:3], s[0:1]
	s_cbranch_execnz .LBB333_374
.LBB333_150:
	s_endpgm
.LBB333_151:
	v_cmp_ge_u32_e32 vcc, v0, v1
	s_and_saveexec_b64 s[0:1], vcc
	s_xor_b64 s[0:1], exec, s[0:1]
	s_cbranch_execz .LBB333_157
; %bb.152:
	v_cmp_ge_u32_e32 vcc, v0, v12
	s_and_saveexec_b64 s[2:3], vcc
	s_xor_b64 s[2:3], exec, s[2:3]
	s_cbranch_execz .LBB333_154
; %bb.153:
	v_add_co_u32_e32 v13, vcc, v3, v0
	v_lshlrev_b32_e32 v15, 2, v0
	v_addc_co_u32_e32 v14, vcc, 0, v11, vcc
	ds_read_b32 v15, v15
	v_lshlrev_b64 v[13:14], 2, v[13:14]
	v_mov_b32_e32 v16, s47
	v_sub_co_u32_e32 v13, vcc, s46, v13
	v_subb_co_u32_e32 v14, vcc, v16, v14, vcc
	s_waitcnt lgkmcnt(0)
	global_store_dword v[13:14], v15, off offset:-4
.LBB333_154:
	s_andn2_saveexec_b64 s[2:3], s[2:3]
	s_cbranch_execz .LBB333_156
; %bb.155:
	v_lshlrev_b32_e32 v13, 2, v0
	ds_read_b32 v14, v13
	v_readfirstlane_b32 s4, v7
	v_readfirstlane_b32 s5, v8
	s_waitcnt lgkmcnt(0)
	s_nop 3
	global_store_dword v13, v14, s[4:5]
.LBB333_156:
	s_or_b64 exec, exec, s[2:3]
.LBB333_157:
	s_andn2_saveexec_b64 s[0:1], s[0:1]
	s_cbranch_execz .LBB333_159
; %bb.158:
	v_lshlrev_b32_e32 v13, 2, v0
	ds_read_b32 v14, v13
	v_readfirstlane_b32 s2, v9
	v_readfirstlane_b32 s3, v10
	s_waitcnt lgkmcnt(0)
	s_nop 3
	global_store_dword v13, v14, s[2:3]
.LBB333_159:
	s_or_b64 exec, exec, s[0:1]
	v_or_b32_e32 v13, 0x100, v0
	v_cmp_ge_u32_e32 vcc, v13, v1
	s_and_saveexec_b64 s[0:1], vcc
	s_xor_b64 s[0:1], exec, s[0:1]
	s_cbranch_execz .LBB333_165
; %bb.160:
	v_cmp_ge_u32_e32 vcc, v13, v12
	s_and_saveexec_b64 s[2:3], vcc
	s_xor_b64 s[2:3], exec, s[2:3]
	s_cbranch_execz .LBB333_162
; %bb.161:
	v_lshlrev_b32_e32 v13, 2, v0
	ds_read_b32 v15, v13 offset:1024
	v_add_co_u32_e32 v13, vcc, v3, v0
	v_addc_co_u32_e32 v14, vcc, 0, v11, vcc
	v_lshlrev_b64 v[13:14], 2, v[13:14]
	v_mov_b32_e32 v16, s47
	v_sub_co_u32_e32 v13, vcc, s46, v13
	v_subb_co_u32_e32 v14, vcc, v16, v14, vcc
	s_waitcnt lgkmcnt(0)
	global_store_dword v[13:14], v15, off offset:-1028
.LBB333_162:
	s_andn2_saveexec_b64 s[2:3], s[2:3]
	s_cbranch_execz .LBB333_164
; %bb.163:
	v_lshlrev_b32_e32 v13, 2, v0
	ds_read_b32 v14, v13 offset:1024
	v_readfirstlane_b32 s4, v7
	v_readfirstlane_b32 s5, v8
	s_waitcnt lgkmcnt(0)
	s_nop 3
	global_store_dword v13, v14, s[4:5] offset:1024
.LBB333_164:
	s_or_b64 exec, exec, s[2:3]
.LBB333_165:
	s_andn2_saveexec_b64 s[0:1], s[0:1]
	s_cbranch_execz .LBB333_167
; %bb.166:
	v_lshlrev_b32_e32 v13, 2, v0
	ds_read_b32 v14, v13 offset:1024
	v_readfirstlane_b32 s2, v9
	v_readfirstlane_b32 s3, v10
	s_waitcnt lgkmcnt(0)
	s_nop 3
	global_store_dword v13, v14, s[2:3] offset:1024
.LBB333_167:
	s_or_b64 exec, exec, s[0:1]
	v_or_b32_e32 v13, 0x200, v0
	v_cmp_ge_u32_e32 vcc, v13, v1
	s_and_saveexec_b64 s[0:1], vcc
	s_xor_b64 s[0:1], exec, s[0:1]
	s_cbranch_execz .LBB333_173
; %bb.168:
	v_cmp_ge_u32_e32 vcc, v13, v12
	s_and_saveexec_b64 s[2:3], vcc
	s_xor_b64 s[2:3], exec, s[2:3]
	s_cbranch_execz .LBB333_170
; %bb.169:
	v_lshlrev_b32_e32 v13, 2, v0
	ds_read_b32 v15, v13 offset:2048
	v_add_co_u32_e32 v13, vcc, v3, v0
	v_addc_co_u32_e32 v14, vcc, 0, v11, vcc
	v_lshlrev_b64 v[13:14], 2, v[13:14]
	v_mov_b32_e32 v16, s47
	v_sub_co_u32_e32 v13, vcc, s46, v13
	v_subb_co_u32_e32 v14, vcc, v16, v14, vcc
	s_waitcnt lgkmcnt(0)
	global_store_dword v[13:14], v15, off offset:-2052
.LBB333_170:
	s_andn2_saveexec_b64 s[2:3], s[2:3]
	s_cbranch_execz .LBB333_172
; %bb.171:
	v_lshlrev_b32_e32 v13, 2, v0
	ds_read_b32 v14, v13 offset:2048
	v_readfirstlane_b32 s4, v7
	v_readfirstlane_b32 s5, v8
	s_waitcnt lgkmcnt(0)
	s_nop 3
	global_store_dword v13, v14, s[4:5] offset:2048
.LBB333_172:
	s_or_b64 exec, exec, s[2:3]
.LBB333_173:
	s_andn2_saveexec_b64 s[0:1], s[0:1]
	s_cbranch_execz .LBB333_175
; %bb.174:
	v_lshlrev_b32_e32 v13, 2, v0
	ds_read_b32 v14, v13 offset:2048
	v_readfirstlane_b32 s2, v9
	v_readfirstlane_b32 s3, v10
	s_waitcnt lgkmcnt(0)
	s_nop 3
	global_store_dword v13, v14, s[2:3] offset:2048
.LBB333_175:
	;; [unrolled: 47-line block ×3, first 2 shown]
	s_or_b64 exec, exec, s[0:1]
	v_or_b32_e32 v13, 0x400, v0
	v_cmp_ge_u32_e32 vcc, v13, v1
	s_and_saveexec_b64 s[0:1], vcc
	s_xor_b64 s[0:1], exec, s[0:1]
	s_cbranch_execz .LBB333_189
; %bb.184:
	v_cmp_ge_u32_e32 vcc, v13, v12
	s_and_saveexec_b64 s[2:3], vcc
	s_xor_b64 s[2:3], exec, s[2:3]
	s_cbranch_execz .LBB333_186
; %bb.185:
	v_lshlrev_b32_e32 v13, 2, v0
	ds_read_b32 v15, v13 offset:4096
	v_add_co_u32_e32 v13, vcc, v3, v0
	v_addc_co_u32_e32 v14, vcc, 0, v11, vcc
	v_lshlrev_b64 v[13:14], 2, v[13:14]
	v_mov_b32_e32 v16, s47
	v_sub_co_u32_e32 v13, vcc, s46, v13
	v_subb_co_u32_e32 v14, vcc, v16, v14, vcc
	v_add_co_u32_e32 v13, vcc, 0xfffff000, v13
	v_addc_co_u32_e32 v14, vcc, -1, v14, vcc
	s_waitcnt lgkmcnt(0)
	global_store_dword v[13:14], v15, off offset:-4
                                        ; implicit-def: $vgpr13
.LBB333_186:
	s_andn2_saveexec_b64 s[2:3], s[2:3]
	s_cbranch_execz .LBB333_188
; %bb.187:
	v_lshlrev_b32_e32 v14, 2, v0
	ds_read_b32 v14, v14 offset:4096
	v_lshlrev_b32_e32 v13, 2, v13
	v_readfirstlane_b32 s4, v7
	v_readfirstlane_b32 s5, v8
	s_waitcnt lgkmcnt(0)
	s_nop 3
	global_store_dword v13, v14, s[4:5]
.LBB333_188:
	s_or_b64 exec, exec, s[2:3]
                                        ; implicit-def: $vgpr13
.LBB333_189:
	s_andn2_saveexec_b64 s[0:1], s[0:1]
	s_cbranch_execz .LBB333_191
; %bb.190:
	v_lshlrev_b32_e32 v14, 2, v0
	ds_read_b32 v14, v14 offset:4096
	v_lshlrev_b32_e32 v13, 2, v13
	v_readfirstlane_b32 s2, v9
	v_readfirstlane_b32 s3, v10
	s_waitcnt lgkmcnt(0)
	s_nop 3
	global_store_dword v13, v14, s[2:3]
.LBB333_191:
	s_or_b64 exec, exec, s[0:1]
	v_or_b32_e32 v13, 0x500, v0
	v_cmp_ge_u32_e32 vcc, v13, v1
	s_and_saveexec_b64 s[0:1], vcc
	s_xor_b64 s[0:1], exec, s[0:1]
	s_cbranch_execz .LBB333_197
; %bb.192:
	v_cmp_ge_u32_e32 vcc, v13, v12
	s_and_saveexec_b64 s[2:3], vcc
	s_xor_b64 s[2:3], exec, s[2:3]
	s_cbranch_execz .LBB333_194
; %bb.193:
	v_add_co_u32_e32 v13, vcc, v3, v13
	v_lshlrev_b32_e32 v15, 2, v0
	v_addc_co_u32_e32 v14, vcc, 0, v11, vcc
	ds_read_b32 v15, v15 offset:5120
	v_lshlrev_b64 v[13:14], 2, v[13:14]
	v_mov_b32_e32 v16, s47
	v_sub_co_u32_e32 v13, vcc, s46, v13
	v_subb_co_u32_e32 v14, vcc, v16, v14, vcc
	s_waitcnt lgkmcnt(0)
	global_store_dword v[13:14], v15, off offset:-4
                                        ; implicit-def: $vgpr13
.LBB333_194:
	s_andn2_saveexec_b64 s[2:3], s[2:3]
	s_cbranch_execz .LBB333_196
; %bb.195:
	v_lshlrev_b32_e32 v14, 2, v0
	ds_read_b32 v14, v14 offset:5120
	v_lshlrev_b32_e32 v13, 2, v13
	v_readfirstlane_b32 s4, v7
	v_readfirstlane_b32 s5, v8
	s_waitcnt lgkmcnt(0)
	s_nop 3
	global_store_dword v13, v14, s[4:5]
.LBB333_196:
	s_or_b64 exec, exec, s[2:3]
                                        ; implicit-def: $vgpr13
.LBB333_197:
	s_andn2_saveexec_b64 s[0:1], s[0:1]
	s_cbranch_execz .LBB333_199
; %bb.198:
	v_lshlrev_b32_e32 v14, 2, v0
	ds_read_b32 v14, v14 offset:5120
	v_lshlrev_b32_e32 v13, 2, v13
	v_readfirstlane_b32 s2, v9
	v_readfirstlane_b32 s3, v10
	s_waitcnt lgkmcnt(0)
	s_nop 3
	global_store_dword v13, v14, s[2:3]
.LBB333_199:
	s_or_b64 exec, exec, s[0:1]
	v_or_b32_e32 v13, 0x600, v0
	v_cmp_ge_u32_e32 vcc, v13, v1
	s_and_saveexec_b64 s[0:1], vcc
	s_xor_b64 s[0:1], exec, s[0:1]
	s_cbranch_execz .LBB333_205
; %bb.200:
	v_cmp_ge_u32_e32 vcc, v13, v12
	s_and_saveexec_b64 s[2:3], vcc
	s_xor_b64 s[2:3], exec, s[2:3]
	s_cbranch_execz .LBB333_202
; %bb.201:
	v_add_co_u32_e32 v13, vcc, v3, v13
	v_lshlrev_b32_e32 v15, 2, v0
	v_addc_co_u32_e32 v14, vcc, 0, v11, vcc
	ds_read_b32 v15, v15 offset:6144
	v_lshlrev_b64 v[13:14], 2, v[13:14]
	v_mov_b32_e32 v16, s47
	v_sub_co_u32_e32 v13, vcc, s46, v13
	v_subb_co_u32_e32 v14, vcc, v16, v14, vcc
	s_waitcnt lgkmcnt(0)
	global_store_dword v[13:14], v15, off offset:-4
                                        ; implicit-def: $vgpr13
.LBB333_202:
	s_andn2_saveexec_b64 s[2:3], s[2:3]
	s_cbranch_execz .LBB333_204
; %bb.203:
	v_lshlrev_b32_e32 v14, 2, v0
	ds_read_b32 v14, v14 offset:6144
	v_lshlrev_b32_e32 v13, 2, v13
	v_readfirstlane_b32 s4, v7
	v_readfirstlane_b32 s5, v8
	s_waitcnt lgkmcnt(0)
	s_nop 3
	global_store_dword v13, v14, s[4:5]
.LBB333_204:
	s_or_b64 exec, exec, s[2:3]
                                        ; implicit-def: $vgpr13
.LBB333_205:
	;; [unrolled: 51-line block ×8, first 2 shown]
	s_andn2_saveexec_b64 s[0:1], s[0:1]
	s_cbranch_execz .LBB333_255
; %bb.254:
	v_lshlrev_b32_e32 v14, 2, v0
	ds_read_b32 v14, v14 offset:12288
	v_lshlrev_b32_e32 v13, 2, v13
	v_readfirstlane_b32 s2, v9
	v_readfirstlane_b32 s3, v10
	s_waitcnt lgkmcnt(0)
	s_nop 3
	global_store_dword v13, v14, s[2:3]
.LBB333_255:
	s_or_b64 exec, exec, s[0:1]
	s_branch .LBB333_149
.LBB333_256:
	v_cmp_gt_u32_e32 vcc, s18, v0
	s_and_saveexec_b64 s[0:1], vcc
	s_cbranch_execz .LBB333_265
; %bb.257:
	v_cmp_ge_u32_e32 vcc, v0, v1
	s_and_saveexec_b64 s[2:3], vcc
	s_xor_b64 s[2:3], exec, s[2:3]
	s_cbranch_execz .LBB333_263
; %bb.258:
	v_cmp_ge_u32_e32 vcc, v0, v12
	s_and_saveexec_b64 s[4:5], vcc
	s_xor_b64 s[4:5], exec, s[4:5]
	s_cbranch_execz .LBB333_260
; %bb.259:
	v_add_co_u32_e32 v13, vcc, v3, v0
	v_lshlrev_b32_e32 v15, 2, v0
	v_addc_co_u32_e32 v14, vcc, 0, v11, vcc
	ds_read_b32 v15, v15
	v_lshlrev_b64 v[13:14], 2, v[13:14]
	v_mov_b32_e32 v16, s47
	v_sub_co_u32_e32 v13, vcc, s46, v13
	v_subb_co_u32_e32 v14, vcc, v16, v14, vcc
	s_waitcnt lgkmcnt(0)
	global_store_dword v[13:14], v15, off offset:-4
.LBB333_260:
	s_andn2_saveexec_b64 s[4:5], s[4:5]
	s_cbranch_execz .LBB333_262
; %bb.261:
	v_lshlrev_b32_e32 v13, 2, v0
	ds_read_b32 v14, v13
	v_readfirstlane_b32 s6, v7
	v_readfirstlane_b32 s7, v8
	s_waitcnt lgkmcnt(0)
	s_nop 3
	global_store_dword v13, v14, s[6:7]
.LBB333_262:
	s_or_b64 exec, exec, s[4:5]
.LBB333_263:
	s_andn2_saveexec_b64 s[2:3], s[2:3]
	s_cbranch_execz .LBB333_265
; %bb.264:
	v_lshlrev_b32_e32 v13, 2, v0
	ds_read_b32 v14, v13
	v_readfirstlane_b32 s2, v9
	v_readfirstlane_b32 s3, v10
	s_waitcnt lgkmcnt(0)
	s_nop 3
	global_store_dword v13, v14, s[2:3]
.LBB333_265:
	s_or_b64 exec, exec, s[0:1]
	v_or_b32_e32 v13, 0x100, v0
	v_cmp_gt_u32_e32 vcc, s18, v13
	s_and_saveexec_b64 s[0:1], vcc
	s_cbranch_execz .LBB333_274
; %bb.266:
	v_cmp_ge_u32_e32 vcc, v13, v1
	s_and_saveexec_b64 s[2:3], vcc
	s_xor_b64 s[2:3], exec, s[2:3]
	s_cbranch_execz .LBB333_272
; %bb.267:
	v_cmp_ge_u32_e32 vcc, v13, v12
	s_and_saveexec_b64 s[4:5], vcc
	s_xor_b64 s[4:5], exec, s[4:5]
	s_cbranch_execz .LBB333_269
; %bb.268:
	v_lshlrev_b32_e32 v13, 2, v0
	ds_read_b32 v15, v13 offset:1024
	v_add_co_u32_e32 v13, vcc, v3, v0
	v_addc_co_u32_e32 v14, vcc, 0, v11, vcc
	v_lshlrev_b64 v[13:14], 2, v[13:14]
	v_mov_b32_e32 v16, s47
	v_sub_co_u32_e32 v13, vcc, s46, v13
	v_subb_co_u32_e32 v14, vcc, v16, v14, vcc
	s_waitcnt lgkmcnt(0)
	global_store_dword v[13:14], v15, off offset:-1028
.LBB333_269:
	s_andn2_saveexec_b64 s[4:5], s[4:5]
	s_cbranch_execz .LBB333_271
; %bb.270:
	v_lshlrev_b32_e32 v13, 2, v0
	ds_read_b32 v14, v13 offset:1024
	v_readfirstlane_b32 s6, v7
	v_readfirstlane_b32 s7, v8
	s_waitcnt lgkmcnt(0)
	s_nop 3
	global_store_dword v13, v14, s[6:7] offset:1024
.LBB333_271:
	s_or_b64 exec, exec, s[4:5]
.LBB333_272:
	s_andn2_saveexec_b64 s[2:3], s[2:3]
	s_cbranch_execz .LBB333_274
; %bb.273:
	v_lshlrev_b32_e32 v13, 2, v0
	ds_read_b32 v14, v13 offset:1024
	v_readfirstlane_b32 s2, v9
	v_readfirstlane_b32 s3, v10
	s_waitcnt lgkmcnt(0)
	s_nop 3
	global_store_dword v13, v14, s[2:3] offset:1024
.LBB333_274:
	s_or_b64 exec, exec, s[0:1]
	v_or_b32_e32 v13, 0x200, v0
	v_cmp_gt_u32_e32 vcc, s18, v13
	s_and_saveexec_b64 s[0:1], vcc
	s_cbranch_execz .LBB333_283
; %bb.275:
	v_cmp_ge_u32_e32 vcc, v13, v1
	s_and_saveexec_b64 s[2:3], vcc
	s_xor_b64 s[2:3], exec, s[2:3]
	s_cbranch_execz .LBB333_281
; %bb.276:
	v_cmp_ge_u32_e32 vcc, v13, v12
	s_and_saveexec_b64 s[4:5], vcc
	s_xor_b64 s[4:5], exec, s[4:5]
	s_cbranch_execz .LBB333_278
; %bb.277:
	v_lshlrev_b32_e32 v13, 2, v0
	ds_read_b32 v15, v13 offset:2048
	v_add_co_u32_e32 v13, vcc, v3, v0
	v_addc_co_u32_e32 v14, vcc, 0, v11, vcc
	v_lshlrev_b64 v[13:14], 2, v[13:14]
	v_mov_b32_e32 v16, s47
	v_sub_co_u32_e32 v13, vcc, s46, v13
	v_subb_co_u32_e32 v14, vcc, v16, v14, vcc
	s_waitcnt lgkmcnt(0)
	global_store_dword v[13:14], v15, off offset:-2052
.LBB333_278:
	s_andn2_saveexec_b64 s[4:5], s[4:5]
	s_cbranch_execz .LBB333_280
; %bb.279:
	v_lshlrev_b32_e32 v13, 2, v0
	ds_read_b32 v14, v13 offset:2048
	v_readfirstlane_b32 s6, v7
	v_readfirstlane_b32 s7, v8
	s_waitcnt lgkmcnt(0)
	s_nop 3
	global_store_dword v13, v14, s[6:7] offset:2048
.LBB333_280:
	s_or_b64 exec, exec, s[4:5]
.LBB333_281:
	s_andn2_saveexec_b64 s[2:3], s[2:3]
	s_cbranch_execz .LBB333_283
; %bb.282:
	v_lshlrev_b32_e32 v13, 2, v0
	ds_read_b32 v14, v13 offset:2048
	v_readfirstlane_b32 s2, v9
	v_readfirstlane_b32 s3, v10
	s_waitcnt lgkmcnt(0)
	s_nop 3
	global_store_dword v13, v14, s[2:3] offset:2048
.LBB333_283:
	;; [unrolled: 51-line block ×3, first 2 shown]
	s_or_b64 exec, exec, s[0:1]
	v_or_b32_e32 v13, 0x400, v0
	v_cmp_gt_u32_e32 vcc, s18, v13
	s_and_saveexec_b64 s[0:1], vcc
	s_cbranch_execz .LBB333_301
; %bb.293:
	v_cmp_ge_u32_e32 vcc, v13, v1
	s_and_saveexec_b64 s[2:3], vcc
	s_xor_b64 s[2:3], exec, s[2:3]
	s_cbranch_execz .LBB333_299
; %bb.294:
	v_cmp_ge_u32_e32 vcc, v13, v12
	s_and_saveexec_b64 s[4:5], vcc
	s_xor_b64 s[4:5], exec, s[4:5]
	s_cbranch_execz .LBB333_296
; %bb.295:
	v_lshlrev_b32_e32 v13, 2, v0
	ds_read_b32 v15, v13 offset:4096
	v_add_co_u32_e32 v13, vcc, v3, v0
	v_addc_co_u32_e32 v14, vcc, 0, v11, vcc
	v_lshlrev_b64 v[13:14], 2, v[13:14]
	v_mov_b32_e32 v16, s47
	v_sub_co_u32_e32 v13, vcc, s46, v13
	v_subb_co_u32_e32 v14, vcc, v16, v14, vcc
	v_add_co_u32_e32 v13, vcc, 0xfffff000, v13
	v_addc_co_u32_e32 v14, vcc, -1, v14, vcc
	s_waitcnt lgkmcnt(0)
	global_store_dword v[13:14], v15, off offset:-4
                                        ; implicit-def: $vgpr13
.LBB333_296:
	s_andn2_saveexec_b64 s[4:5], s[4:5]
	s_cbranch_execz .LBB333_298
; %bb.297:
	v_lshlrev_b32_e32 v14, 2, v0
	ds_read_b32 v14, v14 offset:4096
	v_lshlrev_b32_e32 v13, 2, v13
	v_readfirstlane_b32 s6, v7
	v_readfirstlane_b32 s7, v8
	s_waitcnt lgkmcnt(0)
	s_nop 3
	global_store_dword v13, v14, s[6:7]
.LBB333_298:
	s_or_b64 exec, exec, s[4:5]
                                        ; implicit-def: $vgpr13
.LBB333_299:
	s_andn2_saveexec_b64 s[2:3], s[2:3]
	s_cbranch_execz .LBB333_301
; %bb.300:
	v_lshlrev_b32_e32 v14, 2, v0
	ds_read_b32 v14, v14 offset:4096
	v_lshlrev_b32_e32 v13, 2, v13
	v_readfirstlane_b32 s2, v9
	v_readfirstlane_b32 s3, v10
	s_waitcnt lgkmcnt(0)
	s_nop 3
	global_store_dword v13, v14, s[2:3]
.LBB333_301:
	s_or_b64 exec, exec, s[0:1]
	v_or_b32_e32 v13, 0x500, v0
	v_cmp_gt_u32_e32 vcc, s18, v13
	s_and_saveexec_b64 s[0:1], vcc
	s_cbranch_execz .LBB333_310
; %bb.302:
	v_cmp_ge_u32_e32 vcc, v13, v1
	s_and_saveexec_b64 s[2:3], vcc
	s_xor_b64 s[2:3], exec, s[2:3]
	s_cbranch_execz .LBB333_308
; %bb.303:
	v_cmp_ge_u32_e32 vcc, v13, v12
	s_and_saveexec_b64 s[4:5], vcc
	s_xor_b64 s[4:5], exec, s[4:5]
	s_cbranch_execz .LBB333_305
; %bb.304:
	v_add_co_u32_e32 v13, vcc, v3, v13
	v_lshlrev_b32_e32 v15, 2, v0
	v_addc_co_u32_e32 v14, vcc, 0, v11, vcc
	ds_read_b32 v15, v15 offset:5120
	v_lshlrev_b64 v[13:14], 2, v[13:14]
	v_mov_b32_e32 v16, s47
	v_sub_co_u32_e32 v13, vcc, s46, v13
	v_subb_co_u32_e32 v14, vcc, v16, v14, vcc
	s_waitcnt lgkmcnt(0)
	global_store_dword v[13:14], v15, off offset:-4
                                        ; implicit-def: $vgpr13
.LBB333_305:
	s_andn2_saveexec_b64 s[4:5], s[4:5]
	s_cbranch_execz .LBB333_307
; %bb.306:
	v_lshlrev_b32_e32 v14, 2, v0
	ds_read_b32 v14, v14 offset:5120
	v_lshlrev_b32_e32 v13, 2, v13
	v_readfirstlane_b32 s6, v7
	v_readfirstlane_b32 s7, v8
	s_waitcnt lgkmcnt(0)
	s_nop 3
	global_store_dword v13, v14, s[6:7]
.LBB333_307:
	s_or_b64 exec, exec, s[4:5]
                                        ; implicit-def: $vgpr13
.LBB333_308:
	s_andn2_saveexec_b64 s[2:3], s[2:3]
	s_cbranch_execz .LBB333_310
; %bb.309:
	v_lshlrev_b32_e32 v14, 2, v0
	ds_read_b32 v14, v14 offset:5120
	v_lshlrev_b32_e32 v13, 2, v13
	v_readfirstlane_b32 s2, v9
	v_readfirstlane_b32 s3, v10
	s_waitcnt lgkmcnt(0)
	s_nop 3
	global_store_dword v13, v14, s[2:3]
.LBB333_310:
	s_or_b64 exec, exec, s[0:1]
	v_or_b32_e32 v13, 0x600, v0
	v_cmp_gt_u32_e32 vcc, s18, v13
	s_and_saveexec_b64 s[0:1], vcc
	s_cbranch_execz .LBB333_319
; %bb.311:
	v_cmp_ge_u32_e32 vcc, v13, v1
	s_and_saveexec_b64 s[2:3], vcc
	s_xor_b64 s[2:3], exec, s[2:3]
	s_cbranch_execz .LBB333_317
; %bb.312:
	v_cmp_ge_u32_e32 vcc, v13, v12
	s_and_saveexec_b64 s[4:5], vcc
	s_xor_b64 s[4:5], exec, s[4:5]
	s_cbranch_execz .LBB333_314
; %bb.313:
	v_add_co_u32_e32 v13, vcc, v3, v13
	v_lshlrev_b32_e32 v15, 2, v0
	v_addc_co_u32_e32 v14, vcc, 0, v11, vcc
	ds_read_b32 v15, v15 offset:6144
	v_lshlrev_b64 v[13:14], 2, v[13:14]
	v_mov_b32_e32 v16, s47
	v_sub_co_u32_e32 v13, vcc, s46, v13
	v_subb_co_u32_e32 v14, vcc, v16, v14, vcc
	s_waitcnt lgkmcnt(0)
	global_store_dword v[13:14], v15, off offset:-4
                                        ; implicit-def: $vgpr13
.LBB333_314:
	s_andn2_saveexec_b64 s[4:5], s[4:5]
	s_cbranch_execz .LBB333_316
; %bb.315:
	v_lshlrev_b32_e32 v14, 2, v0
	ds_read_b32 v14, v14 offset:6144
	v_lshlrev_b32_e32 v13, 2, v13
	v_readfirstlane_b32 s6, v7
	v_readfirstlane_b32 s7, v8
	s_waitcnt lgkmcnt(0)
	s_nop 3
	global_store_dword v13, v14, s[6:7]
.LBB333_316:
	s_or_b64 exec, exec, s[4:5]
                                        ; implicit-def: $vgpr13
.LBB333_317:
	s_andn2_saveexec_b64 s[2:3], s[2:3]
	s_cbranch_execz .LBB333_319
; %bb.318:
	v_lshlrev_b32_e32 v14, 2, v0
	ds_read_b32 v14, v14 offset:6144
	v_lshlrev_b32_e32 v13, 2, v13
	v_readfirstlane_b32 s2, v9
	v_readfirstlane_b32 s3, v10
	s_waitcnt lgkmcnt(0)
	s_nop 3
	global_store_dword v13, v14, s[2:3]
.LBB333_319:
	;; [unrolled: 55-line block ×7, first 2 shown]
	s_or_b64 exec, exec, s[0:1]
	v_or_b32_e32 v13, 0xc00, v0
	v_cmp_gt_u32_e32 vcc, s18, v13
	s_and_saveexec_b64 s[0:1], vcc
	s_cbranch_execz .LBB333_373
; %bb.365:
	v_cmp_ge_u32_e32 vcc, v13, v1
	s_and_saveexec_b64 s[2:3], vcc
	s_xor_b64 s[2:3], exec, s[2:3]
	s_cbranch_execz .LBB333_371
; %bb.366:
	v_cmp_ge_u32_e32 vcc, v13, v12
	s_and_saveexec_b64 s[4:5], vcc
	s_xor_b64 s[4:5], exec, s[4:5]
	s_cbranch_execz .LBB333_368
; %bb.367:
	v_add_co_u32_e32 v7, vcc, v3, v13
	v_lshlrev_b32_e32 v3, 2, v0
	v_addc_co_u32_e32 v8, vcc, 0, v11, vcc
	ds_read_b32 v3, v3 offset:12288
	v_lshlrev_b64 v[7:8], 2, v[7:8]
	v_mov_b32_e32 v9, s47
	v_sub_co_u32_e32 v7, vcc, s46, v7
	v_subb_co_u32_e32 v8, vcc, v9, v8, vcc
	s_waitcnt lgkmcnt(0)
	global_store_dword v[7:8], v3, off offset:-4
                                        ; implicit-def: $vgpr13
                                        ; implicit-def: $vgpr7_vgpr8
.LBB333_368:
	s_andn2_saveexec_b64 s[4:5], s[4:5]
	s_cbranch_execz .LBB333_370
; %bb.369:
	v_lshlrev_b32_e32 v3, 2, v0
	ds_read_b32 v3, v3 offset:12288
	v_lshlrev_b32_e32 v9, 2, v13
	v_readfirstlane_b32 s6, v7
	v_readfirstlane_b32 s7, v8
	s_waitcnt lgkmcnt(0)
	s_nop 3
	global_store_dword v9, v3, s[6:7]
.LBB333_370:
	s_or_b64 exec, exec, s[4:5]
                                        ; implicit-def: $vgpr13
                                        ; implicit-def: $vgpr9_vgpr10
.LBB333_371:
	s_andn2_saveexec_b64 s[2:3], s[2:3]
	s_cbranch_execz .LBB333_373
; %bb.372:
	v_lshlrev_b32_e32 v3, 2, v0
	ds_read_b32 v3, v3 offset:12288
	v_lshlrev_b32_e32 v7, 2, v13
	v_readfirstlane_b32 s2, v9
	v_readfirstlane_b32 s3, v10
	s_waitcnt lgkmcnt(0)
	s_nop 3
	global_store_dword v7, v3, s[2:3]
.LBB333_373:
	s_or_b64 exec, exec, s[0:1]
	v_cmp_eq_u32_e32 vcc, 0, v0
	s_and_b64 s[0:1], vcc, s[34:35]
	s_and_saveexec_b64 s[2:3], s[0:1]
	s_cbranch_execz .LBB333_150
.LBB333_374:
	v_mov_b32_e32 v0, s51
	v_add_co_u32_e32 v2, vcc, s50, v2
	v_addc_co_u32_e32 v0, vcc, 0, v0, vcc
	v_add_co_u32_e32 v2, vcc, v2, v4
	v_addc_co_u32_e32 v3, vcc, 0, v0, vcc
	v_add_co_u32_e32 v0, vcc, v5, v1
	v_mov_b32_e32 v7, 0
	v_addc_co_u32_e32 v1, vcc, 0, v6, vcc
	global_store_dwordx4 v7, v[0:3], s[44:45]
	s_endpgm
.LBB333_375:
	s_add_i32 s6, s6, 64
	s_mov_b32 s7, 0
	s_lshl_b64 s[6:7], s[6:7], 4
	s_add_u32 s6, s12, s6
	s_addc_u32 s7, s13, s7
	v_mov_b32_e32 v24, s7
	v_add_u32_e32 v6, v4, v2
	v_add_u32_e32 v5, v3, v1
	v_mov_b32_e32 v7, 2
	v_mov_b32_e32 v8, 0
	;; [unrolled: 1-line block ×3, first 2 shown]
	;;#ASMSTART
	global_store_dwordx4 v[23:24], v[5:8] off	
s_waitcnt vmcnt(0)
	;;#ASMEND
	s_or_b64 exec, exec, s[14:15]
	s_and_saveexec_b64 s[6:7], s[8:9]
	s_cbranch_execz .LBB333_135
.LBB333_376:
	v_mov_b32_e32 v5, 0
	ds_write_b128 v5, v[1:4] offset:13312
	s_or_b64 exec, exec, s[6:7]
	v_cmp_eq_u32_e32 vcc, 0, v0
	s_and_b64 exec, exec, vcc
	s_cbranch_execnz .LBB333_136
	s_branch .LBB333_137
	.section	.rodata,"a",@progbits
	.p2align	6, 0x0
	.amdhsa_kernel _ZN7rocprim17ROCPRIM_400000_NS6detail17trampoline_kernelINS0_13select_configILj256ELj13ELNS0_17block_load_methodE3ELS4_3ELS4_3ELNS0_20block_scan_algorithmE0ELj4294967295EEENS1_25partition_config_selectorILNS1_17partition_subalgoE4EjNS0_10empty_typeEbEEZZNS1_14partition_implILS8_4ELb0ES6_15HIP_vector_typeIjLj2EENS0_17counting_iteratorIjlEEPS9_SG_NS0_5tupleIJPjSI_NS0_16reverse_iteratorISI_EEEEENSH_IJSG_SG_SG_EEES9_SI_JZNS1_25segmented_radix_sort_implINS0_14default_configELb0EPKaPaPKlPlN2at6native12_GLOBAL__N_18offset_tEEE10hipError_tPvRmT1_PNSt15iterator_traitsIS12_E10value_typeET2_T3_PNS13_IS18_E10value_typeET4_jRbjT5_S1E_jjP12ihipStream_tbEUljE_ZNSN_ISO_Lb0ESQ_SR_ST_SU_SY_EESZ_S10_S11_S12_S16_S17_S18_S1B_S1C_jS1D_jS1E_S1E_jjS1G_bEUljE0_EEESZ_S10_S11_S18_S1C_S1E_T6_T7_T9_mT8_S1G_bDpT10_ENKUlT_T0_E_clISt17integral_constantIbLb0EES1U_EEDaS1P_S1Q_EUlS1P_E_NS1_11comp_targetILNS1_3genE2ELNS1_11target_archE906ELNS1_3gpuE6ELNS1_3repE0EEENS1_30default_config_static_selectorELNS0_4arch9wavefront6targetE1EEEvS12_
		.amdhsa_group_segment_fixed_size 13328
		.amdhsa_private_segment_fixed_size 0
		.amdhsa_kernarg_size 176
		.amdhsa_user_sgpr_count 6
		.amdhsa_user_sgpr_private_segment_buffer 1
		.amdhsa_user_sgpr_dispatch_ptr 0
		.amdhsa_user_sgpr_queue_ptr 0
		.amdhsa_user_sgpr_kernarg_segment_ptr 1
		.amdhsa_user_sgpr_dispatch_id 0
		.amdhsa_user_sgpr_flat_scratch_init 0
		.amdhsa_user_sgpr_private_segment_size 0
		.amdhsa_uses_dynamic_stack 0
		.amdhsa_system_sgpr_private_segment_wavefront_offset 0
		.amdhsa_system_sgpr_workgroup_id_x 1
		.amdhsa_system_sgpr_workgroup_id_y 0
		.amdhsa_system_sgpr_workgroup_id_z 0
		.amdhsa_system_sgpr_workgroup_info 0
		.amdhsa_system_vgpr_workitem_id 0
		.amdhsa_next_free_vgpr 86
		.amdhsa_next_free_sgpr 98
		.amdhsa_reserve_vcc 1
		.amdhsa_reserve_flat_scratch 0
		.amdhsa_float_round_mode_32 0
		.amdhsa_float_round_mode_16_64 0
		.amdhsa_float_denorm_mode_32 3
		.amdhsa_float_denorm_mode_16_64 3
		.amdhsa_dx10_clamp 1
		.amdhsa_ieee_mode 1
		.amdhsa_fp16_overflow 0
		.amdhsa_exception_fp_ieee_invalid_op 0
		.amdhsa_exception_fp_denorm_src 0
		.amdhsa_exception_fp_ieee_div_zero 0
		.amdhsa_exception_fp_ieee_overflow 0
		.amdhsa_exception_fp_ieee_underflow 0
		.amdhsa_exception_fp_ieee_inexact 0
		.amdhsa_exception_int_div_zero 0
	.end_amdhsa_kernel
	.section	.text._ZN7rocprim17ROCPRIM_400000_NS6detail17trampoline_kernelINS0_13select_configILj256ELj13ELNS0_17block_load_methodE3ELS4_3ELS4_3ELNS0_20block_scan_algorithmE0ELj4294967295EEENS1_25partition_config_selectorILNS1_17partition_subalgoE4EjNS0_10empty_typeEbEEZZNS1_14partition_implILS8_4ELb0ES6_15HIP_vector_typeIjLj2EENS0_17counting_iteratorIjlEEPS9_SG_NS0_5tupleIJPjSI_NS0_16reverse_iteratorISI_EEEEENSH_IJSG_SG_SG_EEES9_SI_JZNS1_25segmented_radix_sort_implINS0_14default_configELb0EPKaPaPKlPlN2at6native12_GLOBAL__N_18offset_tEEE10hipError_tPvRmT1_PNSt15iterator_traitsIS12_E10value_typeET2_T3_PNS13_IS18_E10value_typeET4_jRbjT5_S1E_jjP12ihipStream_tbEUljE_ZNSN_ISO_Lb0ESQ_SR_ST_SU_SY_EESZ_S10_S11_S12_S16_S17_S18_S1B_S1C_jS1D_jS1E_S1E_jjS1G_bEUljE0_EEESZ_S10_S11_S18_S1C_S1E_T6_T7_T9_mT8_S1G_bDpT10_ENKUlT_T0_E_clISt17integral_constantIbLb0EES1U_EEDaS1P_S1Q_EUlS1P_E_NS1_11comp_targetILNS1_3genE2ELNS1_11target_archE906ELNS1_3gpuE6ELNS1_3repE0EEENS1_30default_config_static_selectorELNS0_4arch9wavefront6targetE1EEEvS12_,"axG",@progbits,_ZN7rocprim17ROCPRIM_400000_NS6detail17trampoline_kernelINS0_13select_configILj256ELj13ELNS0_17block_load_methodE3ELS4_3ELS4_3ELNS0_20block_scan_algorithmE0ELj4294967295EEENS1_25partition_config_selectorILNS1_17partition_subalgoE4EjNS0_10empty_typeEbEEZZNS1_14partition_implILS8_4ELb0ES6_15HIP_vector_typeIjLj2EENS0_17counting_iteratorIjlEEPS9_SG_NS0_5tupleIJPjSI_NS0_16reverse_iteratorISI_EEEEENSH_IJSG_SG_SG_EEES9_SI_JZNS1_25segmented_radix_sort_implINS0_14default_configELb0EPKaPaPKlPlN2at6native12_GLOBAL__N_18offset_tEEE10hipError_tPvRmT1_PNSt15iterator_traitsIS12_E10value_typeET2_T3_PNS13_IS18_E10value_typeET4_jRbjT5_S1E_jjP12ihipStream_tbEUljE_ZNSN_ISO_Lb0ESQ_SR_ST_SU_SY_EESZ_S10_S11_S12_S16_S17_S18_S1B_S1C_jS1D_jS1E_S1E_jjS1G_bEUljE0_EEESZ_S10_S11_S18_S1C_S1E_T6_T7_T9_mT8_S1G_bDpT10_ENKUlT_T0_E_clISt17integral_constantIbLb0EES1U_EEDaS1P_S1Q_EUlS1P_E_NS1_11comp_targetILNS1_3genE2ELNS1_11target_archE906ELNS1_3gpuE6ELNS1_3repE0EEENS1_30default_config_static_selectorELNS0_4arch9wavefront6targetE1EEEvS12_,comdat
.Lfunc_end333:
	.size	_ZN7rocprim17ROCPRIM_400000_NS6detail17trampoline_kernelINS0_13select_configILj256ELj13ELNS0_17block_load_methodE3ELS4_3ELS4_3ELNS0_20block_scan_algorithmE0ELj4294967295EEENS1_25partition_config_selectorILNS1_17partition_subalgoE4EjNS0_10empty_typeEbEEZZNS1_14partition_implILS8_4ELb0ES6_15HIP_vector_typeIjLj2EENS0_17counting_iteratorIjlEEPS9_SG_NS0_5tupleIJPjSI_NS0_16reverse_iteratorISI_EEEEENSH_IJSG_SG_SG_EEES9_SI_JZNS1_25segmented_radix_sort_implINS0_14default_configELb0EPKaPaPKlPlN2at6native12_GLOBAL__N_18offset_tEEE10hipError_tPvRmT1_PNSt15iterator_traitsIS12_E10value_typeET2_T3_PNS13_IS18_E10value_typeET4_jRbjT5_S1E_jjP12ihipStream_tbEUljE_ZNSN_ISO_Lb0ESQ_SR_ST_SU_SY_EESZ_S10_S11_S12_S16_S17_S18_S1B_S1C_jS1D_jS1E_S1E_jjS1G_bEUljE0_EEESZ_S10_S11_S18_S1C_S1E_T6_T7_T9_mT8_S1G_bDpT10_ENKUlT_T0_E_clISt17integral_constantIbLb0EES1U_EEDaS1P_S1Q_EUlS1P_E_NS1_11comp_targetILNS1_3genE2ELNS1_11target_archE906ELNS1_3gpuE6ELNS1_3repE0EEENS1_30default_config_static_selectorELNS0_4arch9wavefront6targetE1EEEvS12_, .Lfunc_end333-_ZN7rocprim17ROCPRIM_400000_NS6detail17trampoline_kernelINS0_13select_configILj256ELj13ELNS0_17block_load_methodE3ELS4_3ELS4_3ELNS0_20block_scan_algorithmE0ELj4294967295EEENS1_25partition_config_selectorILNS1_17partition_subalgoE4EjNS0_10empty_typeEbEEZZNS1_14partition_implILS8_4ELb0ES6_15HIP_vector_typeIjLj2EENS0_17counting_iteratorIjlEEPS9_SG_NS0_5tupleIJPjSI_NS0_16reverse_iteratorISI_EEEEENSH_IJSG_SG_SG_EEES9_SI_JZNS1_25segmented_radix_sort_implINS0_14default_configELb0EPKaPaPKlPlN2at6native12_GLOBAL__N_18offset_tEEE10hipError_tPvRmT1_PNSt15iterator_traitsIS12_E10value_typeET2_T3_PNS13_IS18_E10value_typeET4_jRbjT5_S1E_jjP12ihipStream_tbEUljE_ZNSN_ISO_Lb0ESQ_SR_ST_SU_SY_EESZ_S10_S11_S12_S16_S17_S18_S1B_S1C_jS1D_jS1E_S1E_jjS1G_bEUljE0_EEESZ_S10_S11_S18_S1C_S1E_T6_T7_T9_mT8_S1G_bDpT10_ENKUlT_T0_E_clISt17integral_constantIbLb0EES1U_EEDaS1P_S1Q_EUlS1P_E_NS1_11comp_targetILNS1_3genE2ELNS1_11target_archE906ELNS1_3gpuE6ELNS1_3repE0EEENS1_30default_config_static_selectorELNS0_4arch9wavefront6targetE1EEEvS12_
                                        ; -- End function
	.set _ZN7rocprim17ROCPRIM_400000_NS6detail17trampoline_kernelINS0_13select_configILj256ELj13ELNS0_17block_load_methodE3ELS4_3ELS4_3ELNS0_20block_scan_algorithmE0ELj4294967295EEENS1_25partition_config_selectorILNS1_17partition_subalgoE4EjNS0_10empty_typeEbEEZZNS1_14partition_implILS8_4ELb0ES6_15HIP_vector_typeIjLj2EENS0_17counting_iteratorIjlEEPS9_SG_NS0_5tupleIJPjSI_NS0_16reverse_iteratorISI_EEEEENSH_IJSG_SG_SG_EEES9_SI_JZNS1_25segmented_radix_sort_implINS0_14default_configELb0EPKaPaPKlPlN2at6native12_GLOBAL__N_18offset_tEEE10hipError_tPvRmT1_PNSt15iterator_traitsIS12_E10value_typeET2_T3_PNS13_IS18_E10value_typeET4_jRbjT5_S1E_jjP12ihipStream_tbEUljE_ZNSN_ISO_Lb0ESQ_SR_ST_SU_SY_EESZ_S10_S11_S12_S16_S17_S18_S1B_S1C_jS1D_jS1E_S1E_jjS1G_bEUljE0_EEESZ_S10_S11_S18_S1C_S1E_T6_T7_T9_mT8_S1G_bDpT10_ENKUlT_T0_E_clISt17integral_constantIbLb0EES1U_EEDaS1P_S1Q_EUlS1P_E_NS1_11comp_targetILNS1_3genE2ELNS1_11target_archE906ELNS1_3gpuE6ELNS1_3repE0EEENS1_30default_config_static_selectorELNS0_4arch9wavefront6targetE1EEEvS12_.num_vgpr, 86
	.set _ZN7rocprim17ROCPRIM_400000_NS6detail17trampoline_kernelINS0_13select_configILj256ELj13ELNS0_17block_load_methodE3ELS4_3ELS4_3ELNS0_20block_scan_algorithmE0ELj4294967295EEENS1_25partition_config_selectorILNS1_17partition_subalgoE4EjNS0_10empty_typeEbEEZZNS1_14partition_implILS8_4ELb0ES6_15HIP_vector_typeIjLj2EENS0_17counting_iteratorIjlEEPS9_SG_NS0_5tupleIJPjSI_NS0_16reverse_iteratorISI_EEEEENSH_IJSG_SG_SG_EEES9_SI_JZNS1_25segmented_radix_sort_implINS0_14default_configELb0EPKaPaPKlPlN2at6native12_GLOBAL__N_18offset_tEEE10hipError_tPvRmT1_PNSt15iterator_traitsIS12_E10value_typeET2_T3_PNS13_IS18_E10value_typeET4_jRbjT5_S1E_jjP12ihipStream_tbEUljE_ZNSN_ISO_Lb0ESQ_SR_ST_SU_SY_EESZ_S10_S11_S12_S16_S17_S18_S1B_S1C_jS1D_jS1E_S1E_jjS1G_bEUljE0_EEESZ_S10_S11_S18_S1C_S1E_T6_T7_T9_mT8_S1G_bDpT10_ENKUlT_T0_E_clISt17integral_constantIbLb0EES1U_EEDaS1P_S1Q_EUlS1P_E_NS1_11comp_targetILNS1_3genE2ELNS1_11target_archE906ELNS1_3gpuE6ELNS1_3repE0EEENS1_30default_config_static_selectorELNS0_4arch9wavefront6targetE1EEEvS12_.num_agpr, 0
	.set _ZN7rocprim17ROCPRIM_400000_NS6detail17trampoline_kernelINS0_13select_configILj256ELj13ELNS0_17block_load_methodE3ELS4_3ELS4_3ELNS0_20block_scan_algorithmE0ELj4294967295EEENS1_25partition_config_selectorILNS1_17partition_subalgoE4EjNS0_10empty_typeEbEEZZNS1_14partition_implILS8_4ELb0ES6_15HIP_vector_typeIjLj2EENS0_17counting_iteratorIjlEEPS9_SG_NS0_5tupleIJPjSI_NS0_16reverse_iteratorISI_EEEEENSH_IJSG_SG_SG_EEES9_SI_JZNS1_25segmented_radix_sort_implINS0_14default_configELb0EPKaPaPKlPlN2at6native12_GLOBAL__N_18offset_tEEE10hipError_tPvRmT1_PNSt15iterator_traitsIS12_E10value_typeET2_T3_PNS13_IS18_E10value_typeET4_jRbjT5_S1E_jjP12ihipStream_tbEUljE_ZNSN_ISO_Lb0ESQ_SR_ST_SU_SY_EESZ_S10_S11_S12_S16_S17_S18_S1B_S1C_jS1D_jS1E_S1E_jjS1G_bEUljE0_EEESZ_S10_S11_S18_S1C_S1E_T6_T7_T9_mT8_S1G_bDpT10_ENKUlT_T0_E_clISt17integral_constantIbLb0EES1U_EEDaS1P_S1Q_EUlS1P_E_NS1_11comp_targetILNS1_3genE2ELNS1_11target_archE906ELNS1_3gpuE6ELNS1_3repE0EEENS1_30default_config_static_selectorELNS0_4arch9wavefront6targetE1EEEvS12_.numbered_sgpr, 90
	.set _ZN7rocprim17ROCPRIM_400000_NS6detail17trampoline_kernelINS0_13select_configILj256ELj13ELNS0_17block_load_methodE3ELS4_3ELS4_3ELNS0_20block_scan_algorithmE0ELj4294967295EEENS1_25partition_config_selectorILNS1_17partition_subalgoE4EjNS0_10empty_typeEbEEZZNS1_14partition_implILS8_4ELb0ES6_15HIP_vector_typeIjLj2EENS0_17counting_iteratorIjlEEPS9_SG_NS0_5tupleIJPjSI_NS0_16reverse_iteratorISI_EEEEENSH_IJSG_SG_SG_EEES9_SI_JZNS1_25segmented_radix_sort_implINS0_14default_configELb0EPKaPaPKlPlN2at6native12_GLOBAL__N_18offset_tEEE10hipError_tPvRmT1_PNSt15iterator_traitsIS12_E10value_typeET2_T3_PNS13_IS18_E10value_typeET4_jRbjT5_S1E_jjP12ihipStream_tbEUljE_ZNSN_ISO_Lb0ESQ_SR_ST_SU_SY_EESZ_S10_S11_S12_S16_S17_S18_S1B_S1C_jS1D_jS1E_S1E_jjS1G_bEUljE0_EEESZ_S10_S11_S18_S1C_S1E_T6_T7_T9_mT8_S1G_bDpT10_ENKUlT_T0_E_clISt17integral_constantIbLb0EES1U_EEDaS1P_S1Q_EUlS1P_E_NS1_11comp_targetILNS1_3genE2ELNS1_11target_archE906ELNS1_3gpuE6ELNS1_3repE0EEENS1_30default_config_static_selectorELNS0_4arch9wavefront6targetE1EEEvS12_.num_named_barrier, 0
	.set _ZN7rocprim17ROCPRIM_400000_NS6detail17trampoline_kernelINS0_13select_configILj256ELj13ELNS0_17block_load_methodE3ELS4_3ELS4_3ELNS0_20block_scan_algorithmE0ELj4294967295EEENS1_25partition_config_selectorILNS1_17partition_subalgoE4EjNS0_10empty_typeEbEEZZNS1_14partition_implILS8_4ELb0ES6_15HIP_vector_typeIjLj2EENS0_17counting_iteratorIjlEEPS9_SG_NS0_5tupleIJPjSI_NS0_16reverse_iteratorISI_EEEEENSH_IJSG_SG_SG_EEES9_SI_JZNS1_25segmented_radix_sort_implINS0_14default_configELb0EPKaPaPKlPlN2at6native12_GLOBAL__N_18offset_tEEE10hipError_tPvRmT1_PNSt15iterator_traitsIS12_E10value_typeET2_T3_PNS13_IS18_E10value_typeET4_jRbjT5_S1E_jjP12ihipStream_tbEUljE_ZNSN_ISO_Lb0ESQ_SR_ST_SU_SY_EESZ_S10_S11_S12_S16_S17_S18_S1B_S1C_jS1D_jS1E_S1E_jjS1G_bEUljE0_EEESZ_S10_S11_S18_S1C_S1E_T6_T7_T9_mT8_S1G_bDpT10_ENKUlT_T0_E_clISt17integral_constantIbLb0EES1U_EEDaS1P_S1Q_EUlS1P_E_NS1_11comp_targetILNS1_3genE2ELNS1_11target_archE906ELNS1_3gpuE6ELNS1_3repE0EEENS1_30default_config_static_selectorELNS0_4arch9wavefront6targetE1EEEvS12_.private_seg_size, 0
	.set _ZN7rocprim17ROCPRIM_400000_NS6detail17trampoline_kernelINS0_13select_configILj256ELj13ELNS0_17block_load_methodE3ELS4_3ELS4_3ELNS0_20block_scan_algorithmE0ELj4294967295EEENS1_25partition_config_selectorILNS1_17partition_subalgoE4EjNS0_10empty_typeEbEEZZNS1_14partition_implILS8_4ELb0ES6_15HIP_vector_typeIjLj2EENS0_17counting_iteratorIjlEEPS9_SG_NS0_5tupleIJPjSI_NS0_16reverse_iteratorISI_EEEEENSH_IJSG_SG_SG_EEES9_SI_JZNS1_25segmented_radix_sort_implINS0_14default_configELb0EPKaPaPKlPlN2at6native12_GLOBAL__N_18offset_tEEE10hipError_tPvRmT1_PNSt15iterator_traitsIS12_E10value_typeET2_T3_PNS13_IS18_E10value_typeET4_jRbjT5_S1E_jjP12ihipStream_tbEUljE_ZNSN_ISO_Lb0ESQ_SR_ST_SU_SY_EESZ_S10_S11_S12_S16_S17_S18_S1B_S1C_jS1D_jS1E_S1E_jjS1G_bEUljE0_EEESZ_S10_S11_S18_S1C_S1E_T6_T7_T9_mT8_S1G_bDpT10_ENKUlT_T0_E_clISt17integral_constantIbLb0EES1U_EEDaS1P_S1Q_EUlS1P_E_NS1_11comp_targetILNS1_3genE2ELNS1_11target_archE906ELNS1_3gpuE6ELNS1_3repE0EEENS1_30default_config_static_selectorELNS0_4arch9wavefront6targetE1EEEvS12_.uses_vcc, 1
	.set _ZN7rocprim17ROCPRIM_400000_NS6detail17trampoline_kernelINS0_13select_configILj256ELj13ELNS0_17block_load_methodE3ELS4_3ELS4_3ELNS0_20block_scan_algorithmE0ELj4294967295EEENS1_25partition_config_selectorILNS1_17partition_subalgoE4EjNS0_10empty_typeEbEEZZNS1_14partition_implILS8_4ELb0ES6_15HIP_vector_typeIjLj2EENS0_17counting_iteratorIjlEEPS9_SG_NS0_5tupleIJPjSI_NS0_16reverse_iteratorISI_EEEEENSH_IJSG_SG_SG_EEES9_SI_JZNS1_25segmented_radix_sort_implINS0_14default_configELb0EPKaPaPKlPlN2at6native12_GLOBAL__N_18offset_tEEE10hipError_tPvRmT1_PNSt15iterator_traitsIS12_E10value_typeET2_T3_PNS13_IS18_E10value_typeET4_jRbjT5_S1E_jjP12ihipStream_tbEUljE_ZNSN_ISO_Lb0ESQ_SR_ST_SU_SY_EESZ_S10_S11_S12_S16_S17_S18_S1B_S1C_jS1D_jS1E_S1E_jjS1G_bEUljE0_EEESZ_S10_S11_S18_S1C_S1E_T6_T7_T9_mT8_S1G_bDpT10_ENKUlT_T0_E_clISt17integral_constantIbLb0EES1U_EEDaS1P_S1Q_EUlS1P_E_NS1_11comp_targetILNS1_3genE2ELNS1_11target_archE906ELNS1_3gpuE6ELNS1_3repE0EEENS1_30default_config_static_selectorELNS0_4arch9wavefront6targetE1EEEvS12_.uses_flat_scratch, 0
	.set _ZN7rocprim17ROCPRIM_400000_NS6detail17trampoline_kernelINS0_13select_configILj256ELj13ELNS0_17block_load_methodE3ELS4_3ELS4_3ELNS0_20block_scan_algorithmE0ELj4294967295EEENS1_25partition_config_selectorILNS1_17partition_subalgoE4EjNS0_10empty_typeEbEEZZNS1_14partition_implILS8_4ELb0ES6_15HIP_vector_typeIjLj2EENS0_17counting_iteratorIjlEEPS9_SG_NS0_5tupleIJPjSI_NS0_16reverse_iteratorISI_EEEEENSH_IJSG_SG_SG_EEES9_SI_JZNS1_25segmented_radix_sort_implINS0_14default_configELb0EPKaPaPKlPlN2at6native12_GLOBAL__N_18offset_tEEE10hipError_tPvRmT1_PNSt15iterator_traitsIS12_E10value_typeET2_T3_PNS13_IS18_E10value_typeET4_jRbjT5_S1E_jjP12ihipStream_tbEUljE_ZNSN_ISO_Lb0ESQ_SR_ST_SU_SY_EESZ_S10_S11_S12_S16_S17_S18_S1B_S1C_jS1D_jS1E_S1E_jjS1G_bEUljE0_EEESZ_S10_S11_S18_S1C_S1E_T6_T7_T9_mT8_S1G_bDpT10_ENKUlT_T0_E_clISt17integral_constantIbLb0EES1U_EEDaS1P_S1Q_EUlS1P_E_NS1_11comp_targetILNS1_3genE2ELNS1_11target_archE906ELNS1_3gpuE6ELNS1_3repE0EEENS1_30default_config_static_selectorELNS0_4arch9wavefront6targetE1EEEvS12_.has_dyn_sized_stack, 0
	.set _ZN7rocprim17ROCPRIM_400000_NS6detail17trampoline_kernelINS0_13select_configILj256ELj13ELNS0_17block_load_methodE3ELS4_3ELS4_3ELNS0_20block_scan_algorithmE0ELj4294967295EEENS1_25partition_config_selectorILNS1_17partition_subalgoE4EjNS0_10empty_typeEbEEZZNS1_14partition_implILS8_4ELb0ES6_15HIP_vector_typeIjLj2EENS0_17counting_iteratorIjlEEPS9_SG_NS0_5tupleIJPjSI_NS0_16reverse_iteratorISI_EEEEENSH_IJSG_SG_SG_EEES9_SI_JZNS1_25segmented_radix_sort_implINS0_14default_configELb0EPKaPaPKlPlN2at6native12_GLOBAL__N_18offset_tEEE10hipError_tPvRmT1_PNSt15iterator_traitsIS12_E10value_typeET2_T3_PNS13_IS18_E10value_typeET4_jRbjT5_S1E_jjP12ihipStream_tbEUljE_ZNSN_ISO_Lb0ESQ_SR_ST_SU_SY_EESZ_S10_S11_S12_S16_S17_S18_S1B_S1C_jS1D_jS1E_S1E_jjS1G_bEUljE0_EEESZ_S10_S11_S18_S1C_S1E_T6_T7_T9_mT8_S1G_bDpT10_ENKUlT_T0_E_clISt17integral_constantIbLb0EES1U_EEDaS1P_S1Q_EUlS1P_E_NS1_11comp_targetILNS1_3genE2ELNS1_11target_archE906ELNS1_3gpuE6ELNS1_3repE0EEENS1_30default_config_static_selectorELNS0_4arch9wavefront6targetE1EEEvS12_.has_recursion, 0
	.set _ZN7rocprim17ROCPRIM_400000_NS6detail17trampoline_kernelINS0_13select_configILj256ELj13ELNS0_17block_load_methodE3ELS4_3ELS4_3ELNS0_20block_scan_algorithmE0ELj4294967295EEENS1_25partition_config_selectorILNS1_17partition_subalgoE4EjNS0_10empty_typeEbEEZZNS1_14partition_implILS8_4ELb0ES6_15HIP_vector_typeIjLj2EENS0_17counting_iteratorIjlEEPS9_SG_NS0_5tupleIJPjSI_NS0_16reverse_iteratorISI_EEEEENSH_IJSG_SG_SG_EEES9_SI_JZNS1_25segmented_radix_sort_implINS0_14default_configELb0EPKaPaPKlPlN2at6native12_GLOBAL__N_18offset_tEEE10hipError_tPvRmT1_PNSt15iterator_traitsIS12_E10value_typeET2_T3_PNS13_IS18_E10value_typeET4_jRbjT5_S1E_jjP12ihipStream_tbEUljE_ZNSN_ISO_Lb0ESQ_SR_ST_SU_SY_EESZ_S10_S11_S12_S16_S17_S18_S1B_S1C_jS1D_jS1E_S1E_jjS1G_bEUljE0_EEESZ_S10_S11_S18_S1C_S1E_T6_T7_T9_mT8_S1G_bDpT10_ENKUlT_T0_E_clISt17integral_constantIbLb0EES1U_EEDaS1P_S1Q_EUlS1P_E_NS1_11comp_targetILNS1_3genE2ELNS1_11target_archE906ELNS1_3gpuE6ELNS1_3repE0EEENS1_30default_config_static_selectorELNS0_4arch9wavefront6targetE1EEEvS12_.has_indirect_call, 0
	.section	.AMDGPU.csdata,"",@progbits
; Kernel info:
; codeLenInByte = 15480
; TotalNumSgprs: 94
; NumVgprs: 86
; ScratchSize: 0
; MemoryBound: 0
; FloatMode: 240
; IeeeMode: 1
; LDSByteSize: 13328 bytes/workgroup (compile time only)
; SGPRBlocks: 12
; VGPRBlocks: 21
; NumSGPRsForWavesPerEU: 102
; NumVGPRsForWavesPerEU: 86
; Occupancy: 2
; WaveLimiterHint : 1
; COMPUTE_PGM_RSRC2:SCRATCH_EN: 0
; COMPUTE_PGM_RSRC2:USER_SGPR: 6
; COMPUTE_PGM_RSRC2:TRAP_HANDLER: 0
; COMPUTE_PGM_RSRC2:TGID_X_EN: 1
; COMPUTE_PGM_RSRC2:TGID_Y_EN: 0
; COMPUTE_PGM_RSRC2:TGID_Z_EN: 0
; COMPUTE_PGM_RSRC2:TIDIG_COMP_CNT: 0
	.section	.text._ZN7rocprim17ROCPRIM_400000_NS6detail17trampoline_kernelINS0_13select_configILj256ELj13ELNS0_17block_load_methodE3ELS4_3ELS4_3ELNS0_20block_scan_algorithmE0ELj4294967295EEENS1_25partition_config_selectorILNS1_17partition_subalgoE4EjNS0_10empty_typeEbEEZZNS1_14partition_implILS8_4ELb0ES6_15HIP_vector_typeIjLj2EENS0_17counting_iteratorIjlEEPS9_SG_NS0_5tupleIJPjSI_NS0_16reverse_iteratorISI_EEEEENSH_IJSG_SG_SG_EEES9_SI_JZNS1_25segmented_radix_sort_implINS0_14default_configELb0EPKaPaPKlPlN2at6native12_GLOBAL__N_18offset_tEEE10hipError_tPvRmT1_PNSt15iterator_traitsIS12_E10value_typeET2_T3_PNS13_IS18_E10value_typeET4_jRbjT5_S1E_jjP12ihipStream_tbEUljE_ZNSN_ISO_Lb0ESQ_SR_ST_SU_SY_EESZ_S10_S11_S12_S16_S17_S18_S1B_S1C_jS1D_jS1E_S1E_jjS1G_bEUljE0_EEESZ_S10_S11_S18_S1C_S1E_T6_T7_T9_mT8_S1G_bDpT10_ENKUlT_T0_E_clISt17integral_constantIbLb0EES1U_EEDaS1P_S1Q_EUlS1P_E_NS1_11comp_targetILNS1_3genE10ELNS1_11target_archE1200ELNS1_3gpuE4ELNS1_3repE0EEENS1_30default_config_static_selectorELNS0_4arch9wavefront6targetE1EEEvS12_,"axG",@progbits,_ZN7rocprim17ROCPRIM_400000_NS6detail17trampoline_kernelINS0_13select_configILj256ELj13ELNS0_17block_load_methodE3ELS4_3ELS4_3ELNS0_20block_scan_algorithmE0ELj4294967295EEENS1_25partition_config_selectorILNS1_17partition_subalgoE4EjNS0_10empty_typeEbEEZZNS1_14partition_implILS8_4ELb0ES6_15HIP_vector_typeIjLj2EENS0_17counting_iteratorIjlEEPS9_SG_NS0_5tupleIJPjSI_NS0_16reverse_iteratorISI_EEEEENSH_IJSG_SG_SG_EEES9_SI_JZNS1_25segmented_radix_sort_implINS0_14default_configELb0EPKaPaPKlPlN2at6native12_GLOBAL__N_18offset_tEEE10hipError_tPvRmT1_PNSt15iterator_traitsIS12_E10value_typeET2_T3_PNS13_IS18_E10value_typeET4_jRbjT5_S1E_jjP12ihipStream_tbEUljE_ZNSN_ISO_Lb0ESQ_SR_ST_SU_SY_EESZ_S10_S11_S12_S16_S17_S18_S1B_S1C_jS1D_jS1E_S1E_jjS1G_bEUljE0_EEESZ_S10_S11_S18_S1C_S1E_T6_T7_T9_mT8_S1G_bDpT10_ENKUlT_T0_E_clISt17integral_constantIbLb0EES1U_EEDaS1P_S1Q_EUlS1P_E_NS1_11comp_targetILNS1_3genE10ELNS1_11target_archE1200ELNS1_3gpuE4ELNS1_3repE0EEENS1_30default_config_static_selectorELNS0_4arch9wavefront6targetE1EEEvS12_,comdat
	.globl	_ZN7rocprim17ROCPRIM_400000_NS6detail17trampoline_kernelINS0_13select_configILj256ELj13ELNS0_17block_load_methodE3ELS4_3ELS4_3ELNS0_20block_scan_algorithmE0ELj4294967295EEENS1_25partition_config_selectorILNS1_17partition_subalgoE4EjNS0_10empty_typeEbEEZZNS1_14partition_implILS8_4ELb0ES6_15HIP_vector_typeIjLj2EENS0_17counting_iteratorIjlEEPS9_SG_NS0_5tupleIJPjSI_NS0_16reverse_iteratorISI_EEEEENSH_IJSG_SG_SG_EEES9_SI_JZNS1_25segmented_radix_sort_implINS0_14default_configELb0EPKaPaPKlPlN2at6native12_GLOBAL__N_18offset_tEEE10hipError_tPvRmT1_PNSt15iterator_traitsIS12_E10value_typeET2_T3_PNS13_IS18_E10value_typeET4_jRbjT5_S1E_jjP12ihipStream_tbEUljE_ZNSN_ISO_Lb0ESQ_SR_ST_SU_SY_EESZ_S10_S11_S12_S16_S17_S18_S1B_S1C_jS1D_jS1E_S1E_jjS1G_bEUljE0_EEESZ_S10_S11_S18_S1C_S1E_T6_T7_T9_mT8_S1G_bDpT10_ENKUlT_T0_E_clISt17integral_constantIbLb0EES1U_EEDaS1P_S1Q_EUlS1P_E_NS1_11comp_targetILNS1_3genE10ELNS1_11target_archE1200ELNS1_3gpuE4ELNS1_3repE0EEENS1_30default_config_static_selectorELNS0_4arch9wavefront6targetE1EEEvS12_ ; -- Begin function _ZN7rocprim17ROCPRIM_400000_NS6detail17trampoline_kernelINS0_13select_configILj256ELj13ELNS0_17block_load_methodE3ELS4_3ELS4_3ELNS0_20block_scan_algorithmE0ELj4294967295EEENS1_25partition_config_selectorILNS1_17partition_subalgoE4EjNS0_10empty_typeEbEEZZNS1_14partition_implILS8_4ELb0ES6_15HIP_vector_typeIjLj2EENS0_17counting_iteratorIjlEEPS9_SG_NS0_5tupleIJPjSI_NS0_16reverse_iteratorISI_EEEEENSH_IJSG_SG_SG_EEES9_SI_JZNS1_25segmented_radix_sort_implINS0_14default_configELb0EPKaPaPKlPlN2at6native12_GLOBAL__N_18offset_tEEE10hipError_tPvRmT1_PNSt15iterator_traitsIS12_E10value_typeET2_T3_PNS13_IS18_E10value_typeET4_jRbjT5_S1E_jjP12ihipStream_tbEUljE_ZNSN_ISO_Lb0ESQ_SR_ST_SU_SY_EESZ_S10_S11_S12_S16_S17_S18_S1B_S1C_jS1D_jS1E_S1E_jjS1G_bEUljE0_EEESZ_S10_S11_S18_S1C_S1E_T6_T7_T9_mT8_S1G_bDpT10_ENKUlT_T0_E_clISt17integral_constantIbLb0EES1U_EEDaS1P_S1Q_EUlS1P_E_NS1_11comp_targetILNS1_3genE10ELNS1_11target_archE1200ELNS1_3gpuE4ELNS1_3repE0EEENS1_30default_config_static_selectorELNS0_4arch9wavefront6targetE1EEEvS12_
	.p2align	8
	.type	_ZN7rocprim17ROCPRIM_400000_NS6detail17trampoline_kernelINS0_13select_configILj256ELj13ELNS0_17block_load_methodE3ELS4_3ELS4_3ELNS0_20block_scan_algorithmE0ELj4294967295EEENS1_25partition_config_selectorILNS1_17partition_subalgoE4EjNS0_10empty_typeEbEEZZNS1_14partition_implILS8_4ELb0ES6_15HIP_vector_typeIjLj2EENS0_17counting_iteratorIjlEEPS9_SG_NS0_5tupleIJPjSI_NS0_16reverse_iteratorISI_EEEEENSH_IJSG_SG_SG_EEES9_SI_JZNS1_25segmented_radix_sort_implINS0_14default_configELb0EPKaPaPKlPlN2at6native12_GLOBAL__N_18offset_tEEE10hipError_tPvRmT1_PNSt15iterator_traitsIS12_E10value_typeET2_T3_PNS13_IS18_E10value_typeET4_jRbjT5_S1E_jjP12ihipStream_tbEUljE_ZNSN_ISO_Lb0ESQ_SR_ST_SU_SY_EESZ_S10_S11_S12_S16_S17_S18_S1B_S1C_jS1D_jS1E_S1E_jjS1G_bEUljE0_EEESZ_S10_S11_S18_S1C_S1E_T6_T7_T9_mT8_S1G_bDpT10_ENKUlT_T0_E_clISt17integral_constantIbLb0EES1U_EEDaS1P_S1Q_EUlS1P_E_NS1_11comp_targetILNS1_3genE10ELNS1_11target_archE1200ELNS1_3gpuE4ELNS1_3repE0EEENS1_30default_config_static_selectorELNS0_4arch9wavefront6targetE1EEEvS12_,@function
_ZN7rocprim17ROCPRIM_400000_NS6detail17trampoline_kernelINS0_13select_configILj256ELj13ELNS0_17block_load_methodE3ELS4_3ELS4_3ELNS0_20block_scan_algorithmE0ELj4294967295EEENS1_25partition_config_selectorILNS1_17partition_subalgoE4EjNS0_10empty_typeEbEEZZNS1_14partition_implILS8_4ELb0ES6_15HIP_vector_typeIjLj2EENS0_17counting_iteratorIjlEEPS9_SG_NS0_5tupleIJPjSI_NS0_16reverse_iteratorISI_EEEEENSH_IJSG_SG_SG_EEES9_SI_JZNS1_25segmented_radix_sort_implINS0_14default_configELb0EPKaPaPKlPlN2at6native12_GLOBAL__N_18offset_tEEE10hipError_tPvRmT1_PNSt15iterator_traitsIS12_E10value_typeET2_T3_PNS13_IS18_E10value_typeET4_jRbjT5_S1E_jjP12ihipStream_tbEUljE_ZNSN_ISO_Lb0ESQ_SR_ST_SU_SY_EESZ_S10_S11_S12_S16_S17_S18_S1B_S1C_jS1D_jS1E_S1E_jjS1G_bEUljE0_EEESZ_S10_S11_S18_S1C_S1E_T6_T7_T9_mT8_S1G_bDpT10_ENKUlT_T0_E_clISt17integral_constantIbLb0EES1U_EEDaS1P_S1Q_EUlS1P_E_NS1_11comp_targetILNS1_3genE10ELNS1_11target_archE1200ELNS1_3gpuE4ELNS1_3repE0EEENS1_30default_config_static_selectorELNS0_4arch9wavefront6targetE1EEEvS12_: ; @_ZN7rocprim17ROCPRIM_400000_NS6detail17trampoline_kernelINS0_13select_configILj256ELj13ELNS0_17block_load_methodE3ELS4_3ELS4_3ELNS0_20block_scan_algorithmE0ELj4294967295EEENS1_25partition_config_selectorILNS1_17partition_subalgoE4EjNS0_10empty_typeEbEEZZNS1_14partition_implILS8_4ELb0ES6_15HIP_vector_typeIjLj2EENS0_17counting_iteratorIjlEEPS9_SG_NS0_5tupleIJPjSI_NS0_16reverse_iteratorISI_EEEEENSH_IJSG_SG_SG_EEES9_SI_JZNS1_25segmented_radix_sort_implINS0_14default_configELb0EPKaPaPKlPlN2at6native12_GLOBAL__N_18offset_tEEE10hipError_tPvRmT1_PNSt15iterator_traitsIS12_E10value_typeET2_T3_PNS13_IS18_E10value_typeET4_jRbjT5_S1E_jjP12ihipStream_tbEUljE_ZNSN_ISO_Lb0ESQ_SR_ST_SU_SY_EESZ_S10_S11_S12_S16_S17_S18_S1B_S1C_jS1D_jS1E_S1E_jjS1G_bEUljE0_EEESZ_S10_S11_S18_S1C_S1E_T6_T7_T9_mT8_S1G_bDpT10_ENKUlT_T0_E_clISt17integral_constantIbLb0EES1U_EEDaS1P_S1Q_EUlS1P_E_NS1_11comp_targetILNS1_3genE10ELNS1_11target_archE1200ELNS1_3gpuE4ELNS1_3repE0EEENS1_30default_config_static_selectorELNS0_4arch9wavefront6targetE1EEEvS12_
; %bb.0:
	.section	.rodata,"a",@progbits
	.p2align	6, 0x0
	.amdhsa_kernel _ZN7rocprim17ROCPRIM_400000_NS6detail17trampoline_kernelINS0_13select_configILj256ELj13ELNS0_17block_load_methodE3ELS4_3ELS4_3ELNS0_20block_scan_algorithmE0ELj4294967295EEENS1_25partition_config_selectorILNS1_17partition_subalgoE4EjNS0_10empty_typeEbEEZZNS1_14partition_implILS8_4ELb0ES6_15HIP_vector_typeIjLj2EENS0_17counting_iteratorIjlEEPS9_SG_NS0_5tupleIJPjSI_NS0_16reverse_iteratorISI_EEEEENSH_IJSG_SG_SG_EEES9_SI_JZNS1_25segmented_radix_sort_implINS0_14default_configELb0EPKaPaPKlPlN2at6native12_GLOBAL__N_18offset_tEEE10hipError_tPvRmT1_PNSt15iterator_traitsIS12_E10value_typeET2_T3_PNS13_IS18_E10value_typeET4_jRbjT5_S1E_jjP12ihipStream_tbEUljE_ZNSN_ISO_Lb0ESQ_SR_ST_SU_SY_EESZ_S10_S11_S12_S16_S17_S18_S1B_S1C_jS1D_jS1E_S1E_jjS1G_bEUljE0_EEESZ_S10_S11_S18_S1C_S1E_T6_T7_T9_mT8_S1G_bDpT10_ENKUlT_T0_E_clISt17integral_constantIbLb0EES1U_EEDaS1P_S1Q_EUlS1P_E_NS1_11comp_targetILNS1_3genE10ELNS1_11target_archE1200ELNS1_3gpuE4ELNS1_3repE0EEENS1_30default_config_static_selectorELNS0_4arch9wavefront6targetE1EEEvS12_
		.amdhsa_group_segment_fixed_size 0
		.amdhsa_private_segment_fixed_size 0
		.amdhsa_kernarg_size 176
		.amdhsa_user_sgpr_count 6
		.amdhsa_user_sgpr_private_segment_buffer 1
		.amdhsa_user_sgpr_dispatch_ptr 0
		.amdhsa_user_sgpr_queue_ptr 0
		.amdhsa_user_sgpr_kernarg_segment_ptr 1
		.amdhsa_user_sgpr_dispatch_id 0
		.amdhsa_user_sgpr_flat_scratch_init 0
		.amdhsa_user_sgpr_private_segment_size 0
		.amdhsa_uses_dynamic_stack 0
		.amdhsa_system_sgpr_private_segment_wavefront_offset 0
		.amdhsa_system_sgpr_workgroup_id_x 1
		.amdhsa_system_sgpr_workgroup_id_y 0
		.amdhsa_system_sgpr_workgroup_id_z 0
		.amdhsa_system_sgpr_workgroup_info 0
		.amdhsa_system_vgpr_workitem_id 0
		.amdhsa_next_free_vgpr 1
		.amdhsa_next_free_sgpr 0
		.amdhsa_reserve_vcc 0
		.amdhsa_reserve_flat_scratch 0
		.amdhsa_float_round_mode_32 0
		.amdhsa_float_round_mode_16_64 0
		.amdhsa_float_denorm_mode_32 3
		.amdhsa_float_denorm_mode_16_64 3
		.amdhsa_dx10_clamp 1
		.amdhsa_ieee_mode 1
		.amdhsa_fp16_overflow 0
		.amdhsa_exception_fp_ieee_invalid_op 0
		.amdhsa_exception_fp_denorm_src 0
		.amdhsa_exception_fp_ieee_div_zero 0
		.amdhsa_exception_fp_ieee_overflow 0
		.amdhsa_exception_fp_ieee_underflow 0
		.amdhsa_exception_fp_ieee_inexact 0
		.amdhsa_exception_int_div_zero 0
	.end_amdhsa_kernel
	.section	.text._ZN7rocprim17ROCPRIM_400000_NS6detail17trampoline_kernelINS0_13select_configILj256ELj13ELNS0_17block_load_methodE3ELS4_3ELS4_3ELNS0_20block_scan_algorithmE0ELj4294967295EEENS1_25partition_config_selectorILNS1_17partition_subalgoE4EjNS0_10empty_typeEbEEZZNS1_14partition_implILS8_4ELb0ES6_15HIP_vector_typeIjLj2EENS0_17counting_iteratorIjlEEPS9_SG_NS0_5tupleIJPjSI_NS0_16reverse_iteratorISI_EEEEENSH_IJSG_SG_SG_EEES9_SI_JZNS1_25segmented_radix_sort_implINS0_14default_configELb0EPKaPaPKlPlN2at6native12_GLOBAL__N_18offset_tEEE10hipError_tPvRmT1_PNSt15iterator_traitsIS12_E10value_typeET2_T3_PNS13_IS18_E10value_typeET4_jRbjT5_S1E_jjP12ihipStream_tbEUljE_ZNSN_ISO_Lb0ESQ_SR_ST_SU_SY_EESZ_S10_S11_S12_S16_S17_S18_S1B_S1C_jS1D_jS1E_S1E_jjS1G_bEUljE0_EEESZ_S10_S11_S18_S1C_S1E_T6_T7_T9_mT8_S1G_bDpT10_ENKUlT_T0_E_clISt17integral_constantIbLb0EES1U_EEDaS1P_S1Q_EUlS1P_E_NS1_11comp_targetILNS1_3genE10ELNS1_11target_archE1200ELNS1_3gpuE4ELNS1_3repE0EEENS1_30default_config_static_selectorELNS0_4arch9wavefront6targetE1EEEvS12_,"axG",@progbits,_ZN7rocprim17ROCPRIM_400000_NS6detail17trampoline_kernelINS0_13select_configILj256ELj13ELNS0_17block_load_methodE3ELS4_3ELS4_3ELNS0_20block_scan_algorithmE0ELj4294967295EEENS1_25partition_config_selectorILNS1_17partition_subalgoE4EjNS0_10empty_typeEbEEZZNS1_14partition_implILS8_4ELb0ES6_15HIP_vector_typeIjLj2EENS0_17counting_iteratorIjlEEPS9_SG_NS0_5tupleIJPjSI_NS0_16reverse_iteratorISI_EEEEENSH_IJSG_SG_SG_EEES9_SI_JZNS1_25segmented_radix_sort_implINS0_14default_configELb0EPKaPaPKlPlN2at6native12_GLOBAL__N_18offset_tEEE10hipError_tPvRmT1_PNSt15iterator_traitsIS12_E10value_typeET2_T3_PNS13_IS18_E10value_typeET4_jRbjT5_S1E_jjP12ihipStream_tbEUljE_ZNSN_ISO_Lb0ESQ_SR_ST_SU_SY_EESZ_S10_S11_S12_S16_S17_S18_S1B_S1C_jS1D_jS1E_S1E_jjS1G_bEUljE0_EEESZ_S10_S11_S18_S1C_S1E_T6_T7_T9_mT8_S1G_bDpT10_ENKUlT_T0_E_clISt17integral_constantIbLb0EES1U_EEDaS1P_S1Q_EUlS1P_E_NS1_11comp_targetILNS1_3genE10ELNS1_11target_archE1200ELNS1_3gpuE4ELNS1_3repE0EEENS1_30default_config_static_selectorELNS0_4arch9wavefront6targetE1EEEvS12_,comdat
.Lfunc_end334:
	.size	_ZN7rocprim17ROCPRIM_400000_NS6detail17trampoline_kernelINS0_13select_configILj256ELj13ELNS0_17block_load_methodE3ELS4_3ELS4_3ELNS0_20block_scan_algorithmE0ELj4294967295EEENS1_25partition_config_selectorILNS1_17partition_subalgoE4EjNS0_10empty_typeEbEEZZNS1_14partition_implILS8_4ELb0ES6_15HIP_vector_typeIjLj2EENS0_17counting_iteratorIjlEEPS9_SG_NS0_5tupleIJPjSI_NS0_16reverse_iteratorISI_EEEEENSH_IJSG_SG_SG_EEES9_SI_JZNS1_25segmented_radix_sort_implINS0_14default_configELb0EPKaPaPKlPlN2at6native12_GLOBAL__N_18offset_tEEE10hipError_tPvRmT1_PNSt15iterator_traitsIS12_E10value_typeET2_T3_PNS13_IS18_E10value_typeET4_jRbjT5_S1E_jjP12ihipStream_tbEUljE_ZNSN_ISO_Lb0ESQ_SR_ST_SU_SY_EESZ_S10_S11_S12_S16_S17_S18_S1B_S1C_jS1D_jS1E_S1E_jjS1G_bEUljE0_EEESZ_S10_S11_S18_S1C_S1E_T6_T7_T9_mT8_S1G_bDpT10_ENKUlT_T0_E_clISt17integral_constantIbLb0EES1U_EEDaS1P_S1Q_EUlS1P_E_NS1_11comp_targetILNS1_3genE10ELNS1_11target_archE1200ELNS1_3gpuE4ELNS1_3repE0EEENS1_30default_config_static_selectorELNS0_4arch9wavefront6targetE1EEEvS12_, .Lfunc_end334-_ZN7rocprim17ROCPRIM_400000_NS6detail17trampoline_kernelINS0_13select_configILj256ELj13ELNS0_17block_load_methodE3ELS4_3ELS4_3ELNS0_20block_scan_algorithmE0ELj4294967295EEENS1_25partition_config_selectorILNS1_17partition_subalgoE4EjNS0_10empty_typeEbEEZZNS1_14partition_implILS8_4ELb0ES6_15HIP_vector_typeIjLj2EENS0_17counting_iteratorIjlEEPS9_SG_NS0_5tupleIJPjSI_NS0_16reverse_iteratorISI_EEEEENSH_IJSG_SG_SG_EEES9_SI_JZNS1_25segmented_radix_sort_implINS0_14default_configELb0EPKaPaPKlPlN2at6native12_GLOBAL__N_18offset_tEEE10hipError_tPvRmT1_PNSt15iterator_traitsIS12_E10value_typeET2_T3_PNS13_IS18_E10value_typeET4_jRbjT5_S1E_jjP12ihipStream_tbEUljE_ZNSN_ISO_Lb0ESQ_SR_ST_SU_SY_EESZ_S10_S11_S12_S16_S17_S18_S1B_S1C_jS1D_jS1E_S1E_jjS1G_bEUljE0_EEESZ_S10_S11_S18_S1C_S1E_T6_T7_T9_mT8_S1G_bDpT10_ENKUlT_T0_E_clISt17integral_constantIbLb0EES1U_EEDaS1P_S1Q_EUlS1P_E_NS1_11comp_targetILNS1_3genE10ELNS1_11target_archE1200ELNS1_3gpuE4ELNS1_3repE0EEENS1_30default_config_static_selectorELNS0_4arch9wavefront6targetE1EEEvS12_
                                        ; -- End function
	.set _ZN7rocprim17ROCPRIM_400000_NS6detail17trampoline_kernelINS0_13select_configILj256ELj13ELNS0_17block_load_methodE3ELS4_3ELS4_3ELNS0_20block_scan_algorithmE0ELj4294967295EEENS1_25partition_config_selectorILNS1_17partition_subalgoE4EjNS0_10empty_typeEbEEZZNS1_14partition_implILS8_4ELb0ES6_15HIP_vector_typeIjLj2EENS0_17counting_iteratorIjlEEPS9_SG_NS0_5tupleIJPjSI_NS0_16reverse_iteratorISI_EEEEENSH_IJSG_SG_SG_EEES9_SI_JZNS1_25segmented_radix_sort_implINS0_14default_configELb0EPKaPaPKlPlN2at6native12_GLOBAL__N_18offset_tEEE10hipError_tPvRmT1_PNSt15iterator_traitsIS12_E10value_typeET2_T3_PNS13_IS18_E10value_typeET4_jRbjT5_S1E_jjP12ihipStream_tbEUljE_ZNSN_ISO_Lb0ESQ_SR_ST_SU_SY_EESZ_S10_S11_S12_S16_S17_S18_S1B_S1C_jS1D_jS1E_S1E_jjS1G_bEUljE0_EEESZ_S10_S11_S18_S1C_S1E_T6_T7_T9_mT8_S1G_bDpT10_ENKUlT_T0_E_clISt17integral_constantIbLb0EES1U_EEDaS1P_S1Q_EUlS1P_E_NS1_11comp_targetILNS1_3genE10ELNS1_11target_archE1200ELNS1_3gpuE4ELNS1_3repE0EEENS1_30default_config_static_selectorELNS0_4arch9wavefront6targetE1EEEvS12_.num_vgpr, 0
	.set _ZN7rocprim17ROCPRIM_400000_NS6detail17trampoline_kernelINS0_13select_configILj256ELj13ELNS0_17block_load_methodE3ELS4_3ELS4_3ELNS0_20block_scan_algorithmE0ELj4294967295EEENS1_25partition_config_selectorILNS1_17partition_subalgoE4EjNS0_10empty_typeEbEEZZNS1_14partition_implILS8_4ELb0ES6_15HIP_vector_typeIjLj2EENS0_17counting_iteratorIjlEEPS9_SG_NS0_5tupleIJPjSI_NS0_16reverse_iteratorISI_EEEEENSH_IJSG_SG_SG_EEES9_SI_JZNS1_25segmented_radix_sort_implINS0_14default_configELb0EPKaPaPKlPlN2at6native12_GLOBAL__N_18offset_tEEE10hipError_tPvRmT1_PNSt15iterator_traitsIS12_E10value_typeET2_T3_PNS13_IS18_E10value_typeET4_jRbjT5_S1E_jjP12ihipStream_tbEUljE_ZNSN_ISO_Lb0ESQ_SR_ST_SU_SY_EESZ_S10_S11_S12_S16_S17_S18_S1B_S1C_jS1D_jS1E_S1E_jjS1G_bEUljE0_EEESZ_S10_S11_S18_S1C_S1E_T6_T7_T9_mT8_S1G_bDpT10_ENKUlT_T0_E_clISt17integral_constantIbLb0EES1U_EEDaS1P_S1Q_EUlS1P_E_NS1_11comp_targetILNS1_3genE10ELNS1_11target_archE1200ELNS1_3gpuE4ELNS1_3repE0EEENS1_30default_config_static_selectorELNS0_4arch9wavefront6targetE1EEEvS12_.num_agpr, 0
	.set _ZN7rocprim17ROCPRIM_400000_NS6detail17trampoline_kernelINS0_13select_configILj256ELj13ELNS0_17block_load_methodE3ELS4_3ELS4_3ELNS0_20block_scan_algorithmE0ELj4294967295EEENS1_25partition_config_selectorILNS1_17partition_subalgoE4EjNS0_10empty_typeEbEEZZNS1_14partition_implILS8_4ELb0ES6_15HIP_vector_typeIjLj2EENS0_17counting_iteratorIjlEEPS9_SG_NS0_5tupleIJPjSI_NS0_16reverse_iteratorISI_EEEEENSH_IJSG_SG_SG_EEES9_SI_JZNS1_25segmented_radix_sort_implINS0_14default_configELb0EPKaPaPKlPlN2at6native12_GLOBAL__N_18offset_tEEE10hipError_tPvRmT1_PNSt15iterator_traitsIS12_E10value_typeET2_T3_PNS13_IS18_E10value_typeET4_jRbjT5_S1E_jjP12ihipStream_tbEUljE_ZNSN_ISO_Lb0ESQ_SR_ST_SU_SY_EESZ_S10_S11_S12_S16_S17_S18_S1B_S1C_jS1D_jS1E_S1E_jjS1G_bEUljE0_EEESZ_S10_S11_S18_S1C_S1E_T6_T7_T9_mT8_S1G_bDpT10_ENKUlT_T0_E_clISt17integral_constantIbLb0EES1U_EEDaS1P_S1Q_EUlS1P_E_NS1_11comp_targetILNS1_3genE10ELNS1_11target_archE1200ELNS1_3gpuE4ELNS1_3repE0EEENS1_30default_config_static_selectorELNS0_4arch9wavefront6targetE1EEEvS12_.numbered_sgpr, 0
	.set _ZN7rocprim17ROCPRIM_400000_NS6detail17trampoline_kernelINS0_13select_configILj256ELj13ELNS0_17block_load_methodE3ELS4_3ELS4_3ELNS0_20block_scan_algorithmE0ELj4294967295EEENS1_25partition_config_selectorILNS1_17partition_subalgoE4EjNS0_10empty_typeEbEEZZNS1_14partition_implILS8_4ELb0ES6_15HIP_vector_typeIjLj2EENS0_17counting_iteratorIjlEEPS9_SG_NS0_5tupleIJPjSI_NS0_16reverse_iteratorISI_EEEEENSH_IJSG_SG_SG_EEES9_SI_JZNS1_25segmented_radix_sort_implINS0_14default_configELb0EPKaPaPKlPlN2at6native12_GLOBAL__N_18offset_tEEE10hipError_tPvRmT1_PNSt15iterator_traitsIS12_E10value_typeET2_T3_PNS13_IS18_E10value_typeET4_jRbjT5_S1E_jjP12ihipStream_tbEUljE_ZNSN_ISO_Lb0ESQ_SR_ST_SU_SY_EESZ_S10_S11_S12_S16_S17_S18_S1B_S1C_jS1D_jS1E_S1E_jjS1G_bEUljE0_EEESZ_S10_S11_S18_S1C_S1E_T6_T7_T9_mT8_S1G_bDpT10_ENKUlT_T0_E_clISt17integral_constantIbLb0EES1U_EEDaS1P_S1Q_EUlS1P_E_NS1_11comp_targetILNS1_3genE10ELNS1_11target_archE1200ELNS1_3gpuE4ELNS1_3repE0EEENS1_30default_config_static_selectorELNS0_4arch9wavefront6targetE1EEEvS12_.num_named_barrier, 0
	.set _ZN7rocprim17ROCPRIM_400000_NS6detail17trampoline_kernelINS0_13select_configILj256ELj13ELNS0_17block_load_methodE3ELS4_3ELS4_3ELNS0_20block_scan_algorithmE0ELj4294967295EEENS1_25partition_config_selectorILNS1_17partition_subalgoE4EjNS0_10empty_typeEbEEZZNS1_14partition_implILS8_4ELb0ES6_15HIP_vector_typeIjLj2EENS0_17counting_iteratorIjlEEPS9_SG_NS0_5tupleIJPjSI_NS0_16reverse_iteratorISI_EEEEENSH_IJSG_SG_SG_EEES9_SI_JZNS1_25segmented_radix_sort_implINS0_14default_configELb0EPKaPaPKlPlN2at6native12_GLOBAL__N_18offset_tEEE10hipError_tPvRmT1_PNSt15iterator_traitsIS12_E10value_typeET2_T3_PNS13_IS18_E10value_typeET4_jRbjT5_S1E_jjP12ihipStream_tbEUljE_ZNSN_ISO_Lb0ESQ_SR_ST_SU_SY_EESZ_S10_S11_S12_S16_S17_S18_S1B_S1C_jS1D_jS1E_S1E_jjS1G_bEUljE0_EEESZ_S10_S11_S18_S1C_S1E_T6_T7_T9_mT8_S1G_bDpT10_ENKUlT_T0_E_clISt17integral_constantIbLb0EES1U_EEDaS1P_S1Q_EUlS1P_E_NS1_11comp_targetILNS1_3genE10ELNS1_11target_archE1200ELNS1_3gpuE4ELNS1_3repE0EEENS1_30default_config_static_selectorELNS0_4arch9wavefront6targetE1EEEvS12_.private_seg_size, 0
	.set _ZN7rocprim17ROCPRIM_400000_NS6detail17trampoline_kernelINS0_13select_configILj256ELj13ELNS0_17block_load_methodE3ELS4_3ELS4_3ELNS0_20block_scan_algorithmE0ELj4294967295EEENS1_25partition_config_selectorILNS1_17partition_subalgoE4EjNS0_10empty_typeEbEEZZNS1_14partition_implILS8_4ELb0ES6_15HIP_vector_typeIjLj2EENS0_17counting_iteratorIjlEEPS9_SG_NS0_5tupleIJPjSI_NS0_16reverse_iteratorISI_EEEEENSH_IJSG_SG_SG_EEES9_SI_JZNS1_25segmented_radix_sort_implINS0_14default_configELb0EPKaPaPKlPlN2at6native12_GLOBAL__N_18offset_tEEE10hipError_tPvRmT1_PNSt15iterator_traitsIS12_E10value_typeET2_T3_PNS13_IS18_E10value_typeET4_jRbjT5_S1E_jjP12ihipStream_tbEUljE_ZNSN_ISO_Lb0ESQ_SR_ST_SU_SY_EESZ_S10_S11_S12_S16_S17_S18_S1B_S1C_jS1D_jS1E_S1E_jjS1G_bEUljE0_EEESZ_S10_S11_S18_S1C_S1E_T6_T7_T9_mT8_S1G_bDpT10_ENKUlT_T0_E_clISt17integral_constantIbLb0EES1U_EEDaS1P_S1Q_EUlS1P_E_NS1_11comp_targetILNS1_3genE10ELNS1_11target_archE1200ELNS1_3gpuE4ELNS1_3repE0EEENS1_30default_config_static_selectorELNS0_4arch9wavefront6targetE1EEEvS12_.uses_vcc, 0
	.set _ZN7rocprim17ROCPRIM_400000_NS6detail17trampoline_kernelINS0_13select_configILj256ELj13ELNS0_17block_load_methodE3ELS4_3ELS4_3ELNS0_20block_scan_algorithmE0ELj4294967295EEENS1_25partition_config_selectorILNS1_17partition_subalgoE4EjNS0_10empty_typeEbEEZZNS1_14partition_implILS8_4ELb0ES6_15HIP_vector_typeIjLj2EENS0_17counting_iteratorIjlEEPS9_SG_NS0_5tupleIJPjSI_NS0_16reverse_iteratorISI_EEEEENSH_IJSG_SG_SG_EEES9_SI_JZNS1_25segmented_radix_sort_implINS0_14default_configELb0EPKaPaPKlPlN2at6native12_GLOBAL__N_18offset_tEEE10hipError_tPvRmT1_PNSt15iterator_traitsIS12_E10value_typeET2_T3_PNS13_IS18_E10value_typeET4_jRbjT5_S1E_jjP12ihipStream_tbEUljE_ZNSN_ISO_Lb0ESQ_SR_ST_SU_SY_EESZ_S10_S11_S12_S16_S17_S18_S1B_S1C_jS1D_jS1E_S1E_jjS1G_bEUljE0_EEESZ_S10_S11_S18_S1C_S1E_T6_T7_T9_mT8_S1G_bDpT10_ENKUlT_T0_E_clISt17integral_constantIbLb0EES1U_EEDaS1P_S1Q_EUlS1P_E_NS1_11comp_targetILNS1_3genE10ELNS1_11target_archE1200ELNS1_3gpuE4ELNS1_3repE0EEENS1_30default_config_static_selectorELNS0_4arch9wavefront6targetE1EEEvS12_.uses_flat_scratch, 0
	.set _ZN7rocprim17ROCPRIM_400000_NS6detail17trampoline_kernelINS0_13select_configILj256ELj13ELNS0_17block_load_methodE3ELS4_3ELS4_3ELNS0_20block_scan_algorithmE0ELj4294967295EEENS1_25partition_config_selectorILNS1_17partition_subalgoE4EjNS0_10empty_typeEbEEZZNS1_14partition_implILS8_4ELb0ES6_15HIP_vector_typeIjLj2EENS0_17counting_iteratorIjlEEPS9_SG_NS0_5tupleIJPjSI_NS0_16reverse_iteratorISI_EEEEENSH_IJSG_SG_SG_EEES9_SI_JZNS1_25segmented_radix_sort_implINS0_14default_configELb0EPKaPaPKlPlN2at6native12_GLOBAL__N_18offset_tEEE10hipError_tPvRmT1_PNSt15iterator_traitsIS12_E10value_typeET2_T3_PNS13_IS18_E10value_typeET4_jRbjT5_S1E_jjP12ihipStream_tbEUljE_ZNSN_ISO_Lb0ESQ_SR_ST_SU_SY_EESZ_S10_S11_S12_S16_S17_S18_S1B_S1C_jS1D_jS1E_S1E_jjS1G_bEUljE0_EEESZ_S10_S11_S18_S1C_S1E_T6_T7_T9_mT8_S1G_bDpT10_ENKUlT_T0_E_clISt17integral_constantIbLb0EES1U_EEDaS1P_S1Q_EUlS1P_E_NS1_11comp_targetILNS1_3genE10ELNS1_11target_archE1200ELNS1_3gpuE4ELNS1_3repE0EEENS1_30default_config_static_selectorELNS0_4arch9wavefront6targetE1EEEvS12_.has_dyn_sized_stack, 0
	.set _ZN7rocprim17ROCPRIM_400000_NS6detail17trampoline_kernelINS0_13select_configILj256ELj13ELNS0_17block_load_methodE3ELS4_3ELS4_3ELNS0_20block_scan_algorithmE0ELj4294967295EEENS1_25partition_config_selectorILNS1_17partition_subalgoE4EjNS0_10empty_typeEbEEZZNS1_14partition_implILS8_4ELb0ES6_15HIP_vector_typeIjLj2EENS0_17counting_iteratorIjlEEPS9_SG_NS0_5tupleIJPjSI_NS0_16reverse_iteratorISI_EEEEENSH_IJSG_SG_SG_EEES9_SI_JZNS1_25segmented_radix_sort_implINS0_14default_configELb0EPKaPaPKlPlN2at6native12_GLOBAL__N_18offset_tEEE10hipError_tPvRmT1_PNSt15iterator_traitsIS12_E10value_typeET2_T3_PNS13_IS18_E10value_typeET4_jRbjT5_S1E_jjP12ihipStream_tbEUljE_ZNSN_ISO_Lb0ESQ_SR_ST_SU_SY_EESZ_S10_S11_S12_S16_S17_S18_S1B_S1C_jS1D_jS1E_S1E_jjS1G_bEUljE0_EEESZ_S10_S11_S18_S1C_S1E_T6_T7_T9_mT8_S1G_bDpT10_ENKUlT_T0_E_clISt17integral_constantIbLb0EES1U_EEDaS1P_S1Q_EUlS1P_E_NS1_11comp_targetILNS1_3genE10ELNS1_11target_archE1200ELNS1_3gpuE4ELNS1_3repE0EEENS1_30default_config_static_selectorELNS0_4arch9wavefront6targetE1EEEvS12_.has_recursion, 0
	.set _ZN7rocprim17ROCPRIM_400000_NS6detail17trampoline_kernelINS0_13select_configILj256ELj13ELNS0_17block_load_methodE3ELS4_3ELS4_3ELNS0_20block_scan_algorithmE0ELj4294967295EEENS1_25partition_config_selectorILNS1_17partition_subalgoE4EjNS0_10empty_typeEbEEZZNS1_14partition_implILS8_4ELb0ES6_15HIP_vector_typeIjLj2EENS0_17counting_iteratorIjlEEPS9_SG_NS0_5tupleIJPjSI_NS0_16reverse_iteratorISI_EEEEENSH_IJSG_SG_SG_EEES9_SI_JZNS1_25segmented_radix_sort_implINS0_14default_configELb0EPKaPaPKlPlN2at6native12_GLOBAL__N_18offset_tEEE10hipError_tPvRmT1_PNSt15iterator_traitsIS12_E10value_typeET2_T3_PNS13_IS18_E10value_typeET4_jRbjT5_S1E_jjP12ihipStream_tbEUljE_ZNSN_ISO_Lb0ESQ_SR_ST_SU_SY_EESZ_S10_S11_S12_S16_S17_S18_S1B_S1C_jS1D_jS1E_S1E_jjS1G_bEUljE0_EEESZ_S10_S11_S18_S1C_S1E_T6_T7_T9_mT8_S1G_bDpT10_ENKUlT_T0_E_clISt17integral_constantIbLb0EES1U_EEDaS1P_S1Q_EUlS1P_E_NS1_11comp_targetILNS1_3genE10ELNS1_11target_archE1200ELNS1_3gpuE4ELNS1_3repE0EEENS1_30default_config_static_selectorELNS0_4arch9wavefront6targetE1EEEvS12_.has_indirect_call, 0
	.section	.AMDGPU.csdata,"",@progbits
; Kernel info:
; codeLenInByte = 0
; TotalNumSgprs: 4
; NumVgprs: 0
; ScratchSize: 0
; MemoryBound: 0
; FloatMode: 240
; IeeeMode: 1
; LDSByteSize: 0 bytes/workgroup (compile time only)
; SGPRBlocks: 0
; VGPRBlocks: 0
; NumSGPRsForWavesPerEU: 4
; NumVGPRsForWavesPerEU: 1
; Occupancy: 10
; WaveLimiterHint : 0
; COMPUTE_PGM_RSRC2:SCRATCH_EN: 0
; COMPUTE_PGM_RSRC2:USER_SGPR: 6
; COMPUTE_PGM_RSRC2:TRAP_HANDLER: 0
; COMPUTE_PGM_RSRC2:TGID_X_EN: 1
; COMPUTE_PGM_RSRC2:TGID_Y_EN: 0
; COMPUTE_PGM_RSRC2:TGID_Z_EN: 0
; COMPUTE_PGM_RSRC2:TIDIG_COMP_CNT: 0
	.section	.text._ZN7rocprim17ROCPRIM_400000_NS6detail17trampoline_kernelINS0_13select_configILj256ELj13ELNS0_17block_load_methodE3ELS4_3ELS4_3ELNS0_20block_scan_algorithmE0ELj4294967295EEENS1_25partition_config_selectorILNS1_17partition_subalgoE4EjNS0_10empty_typeEbEEZZNS1_14partition_implILS8_4ELb0ES6_15HIP_vector_typeIjLj2EENS0_17counting_iteratorIjlEEPS9_SG_NS0_5tupleIJPjSI_NS0_16reverse_iteratorISI_EEEEENSH_IJSG_SG_SG_EEES9_SI_JZNS1_25segmented_radix_sort_implINS0_14default_configELb0EPKaPaPKlPlN2at6native12_GLOBAL__N_18offset_tEEE10hipError_tPvRmT1_PNSt15iterator_traitsIS12_E10value_typeET2_T3_PNS13_IS18_E10value_typeET4_jRbjT5_S1E_jjP12ihipStream_tbEUljE_ZNSN_ISO_Lb0ESQ_SR_ST_SU_SY_EESZ_S10_S11_S12_S16_S17_S18_S1B_S1C_jS1D_jS1E_S1E_jjS1G_bEUljE0_EEESZ_S10_S11_S18_S1C_S1E_T6_T7_T9_mT8_S1G_bDpT10_ENKUlT_T0_E_clISt17integral_constantIbLb0EES1U_EEDaS1P_S1Q_EUlS1P_E_NS1_11comp_targetILNS1_3genE9ELNS1_11target_archE1100ELNS1_3gpuE3ELNS1_3repE0EEENS1_30default_config_static_selectorELNS0_4arch9wavefront6targetE1EEEvS12_,"axG",@progbits,_ZN7rocprim17ROCPRIM_400000_NS6detail17trampoline_kernelINS0_13select_configILj256ELj13ELNS0_17block_load_methodE3ELS4_3ELS4_3ELNS0_20block_scan_algorithmE0ELj4294967295EEENS1_25partition_config_selectorILNS1_17partition_subalgoE4EjNS0_10empty_typeEbEEZZNS1_14partition_implILS8_4ELb0ES6_15HIP_vector_typeIjLj2EENS0_17counting_iteratorIjlEEPS9_SG_NS0_5tupleIJPjSI_NS0_16reverse_iteratorISI_EEEEENSH_IJSG_SG_SG_EEES9_SI_JZNS1_25segmented_radix_sort_implINS0_14default_configELb0EPKaPaPKlPlN2at6native12_GLOBAL__N_18offset_tEEE10hipError_tPvRmT1_PNSt15iterator_traitsIS12_E10value_typeET2_T3_PNS13_IS18_E10value_typeET4_jRbjT5_S1E_jjP12ihipStream_tbEUljE_ZNSN_ISO_Lb0ESQ_SR_ST_SU_SY_EESZ_S10_S11_S12_S16_S17_S18_S1B_S1C_jS1D_jS1E_S1E_jjS1G_bEUljE0_EEESZ_S10_S11_S18_S1C_S1E_T6_T7_T9_mT8_S1G_bDpT10_ENKUlT_T0_E_clISt17integral_constantIbLb0EES1U_EEDaS1P_S1Q_EUlS1P_E_NS1_11comp_targetILNS1_3genE9ELNS1_11target_archE1100ELNS1_3gpuE3ELNS1_3repE0EEENS1_30default_config_static_selectorELNS0_4arch9wavefront6targetE1EEEvS12_,comdat
	.globl	_ZN7rocprim17ROCPRIM_400000_NS6detail17trampoline_kernelINS0_13select_configILj256ELj13ELNS0_17block_load_methodE3ELS4_3ELS4_3ELNS0_20block_scan_algorithmE0ELj4294967295EEENS1_25partition_config_selectorILNS1_17partition_subalgoE4EjNS0_10empty_typeEbEEZZNS1_14partition_implILS8_4ELb0ES6_15HIP_vector_typeIjLj2EENS0_17counting_iteratorIjlEEPS9_SG_NS0_5tupleIJPjSI_NS0_16reverse_iteratorISI_EEEEENSH_IJSG_SG_SG_EEES9_SI_JZNS1_25segmented_radix_sort_implINS0_14default_configELb0EPKaPaPKlPlN2at6native12_GLOBAL__N_18offset_tEEE10hipError_tPvRmT1_PNSt15iterator_traitsIS12_E10value_typeET2_T3_PNS13_IS18_E10value_typeET4_jRbjT5_S1E_jjP12ihipStream_tbEUljE_ZNSN_ISO_Lb0ESQ_SR_ST_SU_SY_EESZ_S10_S11_S12_S16_S17_S18_S1B_S1C_jS1D_jS1E_S1E_jjS1G_bEUljE0_EEESZ_S10_S11_S18_S1C_S1E_T6_T7_T9_mT8_S1G_bDpT10_ENKUlT_T0_E_clISt17integral_constantIbLb0EES1U_EEDaS1P_S1Q_EUlS1P_E_NS1_11comp_targetILNS1_3genE9ELNS1_11target_archE1100ELNS1_3gpuE3ELNS1_3repE0EEENS1_30default_config_static_selectorELNS0_4arch9wavefront6targetE1EEEvS12_ ; -- Begin function _ZN7rocprim17ROCPRIM_400000_NS6detail17trampoline_kernelINS0_13select_configILj256ELj13ELNS0_17block_load_methodE3ELS4_3ELS4_3ELNS0_20block_scan_algorithmE0ELj4294967295EEENS1_25partition_config_selectorILNS1_17partition_subalgoE4EjNS0_10empty_typeEbEEZZNS1_14partition_implILS8_4ELb0ES6_15HIP_vector_typeIjLj2EENS0_17counting_iteratorIjlEEPS9_SG_NS0_5tupleIJPjSI_NS0_16reverse_iteratorISI_EEEEENSH_IJSG_SG_SG_EEES9_SI_JZNS1_25segmented_radix_sort_implINS0_14default_configELb0EPKaPaPKlPlN2at6native12_GLOBAL__N_18offset_tEEE10hipError_tPvRmT1_PNSt15iterator_traitsIS12_E10value_typeET2_T3_PNS13_IS18_E10value_typeET4_jRbjT5_S1E_jjP12ihipStream_tbEUljE_ZNSN_ISO_Lb0ESQ_SR_ST_SU_SY_EESZ_S10_S11_S12_S16_S17_S18_S1B_S1C_jS1D_jS1E_S1E_jjS1G_bEUljE0_EEESZ_S10_S11_S18_S1C_S1E_T6_T7_T9_mT8_S1G_bDpT10_ENKUlT_T0_E_clISt17integral_constantIbLb0EES1U_EEDaS1P_S1Q_EUlS1P_E_NS1_11comp_targetILNS1_3genE9ELNS1_11target_archE1100ELNS1_3gpuE3ELNS1_3repE0EEENS1_30default_config_static_selectorELNS0_4arch9wavefront6targetE1EEEvS12_
	.p2align	8
	.type	_ZN7rocprim17ROCPRIM_400000_NS6detail17trampoline_kernelINS0_13select_configILj256ELj13ELNS0_17block_load_methodE3ELS4_3ELS4_3ELNS0_20block_scan_algorithmE0ELj4294967295EEENS1_25partition_config_selectorILNS1_17partition_subalgoE4EjNS0_10empty_typeEbEEZZNS1_14partition_implILS8_4ELb0ES6_15HIP_vector_typeIjLj2EENS0_17counting_iteratorIjlEEPS9_SG_NS0_5tupleIJPjSI_NS0_16reverse_iteratorISI_EEEEENSH_IJSG_SG_SG_EEES9_SI_JZNS1_25segmented_radix_sort_implINS0_14default_configELb0EPKaPaPKlPlN2at6native12_GLOBAL__N_18offset_tEEE10hipError_tPvRmT1_PNSt15iterator_traitsIS12_E10value_typeET2_T3_PNS13_IS18_E10value_typeET4_jRbjT5_S1E_jjP12ihipStream_tbEUljE_ZNSN_ISO_Lb0ESQ_SR_ST_SU_SY_EESZ_S10_S11_S12_S16_S17_S18_S1B_S1C_jS1D_jS1E_S1E_jjS1G_bEUljE0_EEESZ_S10_S11_S18_S1C_S1E_T6_T7_T9_mT8_S1G_bDpT10_ENKUlT_T0_E_clISt17integral_constantIbLb0EES1U_EEDaS1P_S1Q_EUlS1P_E_NS1_11comp_targetILNS1_3genE9ELNS1_11target_archE1100ELNS1_3gpuE3ELNS1_3repE0EEENS1_30default_config_static_selectorELNS0_4arch9wavefront6targetE1EEEvS12_,@function
_ZN7rocprim17ROCPRIM_400000_NS6detail17trampoline_kernelINS0_13select_configILj256ELj13ELNS0_17block_load_methodE3ELS4_3ELS4_3ELNS0_20block_scan_algorithmE0ELj4294967295EEENS1_25partition_config_selectorILNS1_17partition_subalgoE4EjNS0_10empty_typeEbEEZZNS1_14partition_implILS8_4ELb0ES6_15HIP_vector_typeIjLj2EENS0_17counting_iteratorIjlEEPS9_SG_NS0_5tupleIJPjSI_NS0_16reverse_iteratorISI_EEEEENSH_IJSG_SG_SG_EEES9_SI_JZNS1_25segmented_radix_sort_implINS0_14default_configELb0EPKaPaPKlPlN2at6native12_GLOBAL__N_18offset_tEEE10hipError_tPvRmT1_PNSt15iterator_traitsIS12_E10value_typeET2_T3_PNS13_IS18_E10value_typeET4_jRbjT5_S1E_jjP12ihipStream_tbEUljE_ZNSN_ISO_Lb0ESQ_SR_ST_SU_SY_EESZ_S10_S11_S12_S16_S17_S18_S1B_S1C_jS1D_jS1E_S1E_jjS1G_bEUljE0_EEESZ_S10_S11_S18_S1C_S1E_T6_T7_T9_mT8_S1G_bDpT10_ENKUlT_T0_E_clISt17integral_constantIbLb0EES1U_EEDaS1P_S1Q_EUlS1P_E_NS1_11comp_targetILNS1_3genE9ELNS1_11target_archE1100ELNS1_3gpuE3ELNS1_3repE0EEENS1_30default_config_static_selectorELNS0_4arch9wavefront6targetE1EEEvS12_: ; @_ZN7rocprim17ROCPRIM_400000_NS6detail17trampoline_kernelINS0_13select_configILj256ELj13ELNS0_17block_load_methodE3ELS4_3ELS4_3ELNS0_20block_scan_algorithmE0ELj4294967295EEENS1_25partition_config_selectorILNS1_17partition_subalgoE4EjNS0_10empty_typeEbEEZZNS1_14partition_implILS8_4ELb0ES6_15HIP_vector_typeIjLj2EENS0_17counting_iteratorIjlEEPS9_SG_NS0_5tupleIJPjSI_NS0_16reverse_iteratorISI_EEEEENSH_IJSG_SG_SG_EEES9_SI_JZNS1_25segmented_radix_sort_implINS0_14default_configELb0EPKaPaPKlPlN2at6native12_GLOBAL__N_18offset_tEEE10hipError_tPvRmT1_PNSt15iterator_traitsIS12_E10value_typeET2_T3_PNS13_IS18_E10value_typeET4_jRbjT5_S1E_jjP12ihipStream_tbEUljE_ZNSN_ISO_Lb0ESQ_SR_ST_SU_SY_EESZ_S10_S11_S12_S16_S17_S18_S1B_S1C_jS1D_jS1E_S1E_jjS1G_bEUljE0_EEESZ_S10_S11_S18_S1C_S1E_T6_T7_T9_mT8_S1G_bDpT10_ENKUlT_T0_E_clISt17integral_constantIbLb0EES1U_EEDaS1P_S1Q_EUlS1P_E_NS1_11comp_targetILNS1_3genE9ELNS1_11target_archE1100ELNS1_3gpuE3ELNS1_3repE0EEENS1_30default_config_static_selectorELNS0_4arch9wavefront6targetE1EEEvS12_
; %bb.0:
	.section	.rodata,"a",@progbits
	.p2align	6, 0x0
	.amdhsa_kernel _ZN7rocprim17ROCPRIM_400000_NS6detail17trampoline_kernelINS0_13select_configILj256ELj13ELNS0_17block_load_methodE3ELS4_3ELS4_3ELNS0_20block_scan_algorithmE0ELj4294967295EEENS1_25partition_config_selectorILNS1_17partition_subalgoE4EjNS0_10empty_typeEbEEZZNS1_14partition_implILS8_4ELb0ES6_15HIP_vector_typeIjLj2EENS0_17counting_iteratorIjlEEPS9_SG_NS0_5tupleIJPjSI_NS0_16reverse_iteratorISI_EEEEENSH_IJSG_SG_SG_EEES9_SI_JZNS1_25segmented_radix_sort_implINS0_14default_configELb0EPKaPaPKlPlN2at6native12_GLOBAL__N_18offset_tEEE10hipError_tPvRmT1_PNSt15iterator_traitsIS12_E10value_typeET2_T3_PNS13_IS18_E10value_typeET4_jRbjT5_S1E_jjP12ihipStream_tbEUljE_ZNSN_ISO_Lb0ESQ_SR_ST_SU_SY_EESZ_S10_S11_S12_S16_S17_S18_S1B_S1C_jS1D_jS1E_S1E_jjS1G_bEUljE0_EEESZ_S10_S11_S18_S1C_S1E_T6_T7_T9_mT8_S1G_bDpT10_ENKUlT_T0_E_clISt17integral_constantIbLb0EES1U_EEDaS1P_S1Q_EUlS1P_E_NS1_11comp_targetILNS1_3genE9ELNS1_11target_archE1100ELNS1_3gpuE3ELNS1_3repE0EEENS1_30default_config_static_selectorELNS0_4arch9wavefront6targetE1EEEvS12_
		.amdhsa_group_segment_fixed_size 0
		.amdhsa_private_segment_fixed_size 0
		.amdhsa_kernarg_size 176
		.amdhsa_user_sgpr_count 6
		.amdhsa_user_sgpr_private_segment_buffer 1
		.amdhsa_user_sgpr_dispatch_ptr 0
		.amdhsa_user_sgpr_queue_ptr 0
		.amdhsa_user_sgpr_kernarg_segment_ptr 1
		.amdhsa_user_sgpr_dispatch_id 0
		.amdhsa_user_sgpr_flat_scratch_init 0
		.amdhsa_user_sgpr_private_segment_size 0
		.amdhsa_uses_dynamic_stack 0
		.amdhsa_system_sgpr_private_segment_wavefront_offset 0
		.amdhsa_system_sgpr_workgroup_id_x 1
		.amdhsa_system_sgpr_workgroup_id_y 0
		.amdhsa_system_sgpr_workgroup_id_z 0
		.amdhsa_system_sgpr_workgroup_info 0
		.amdhsa_system_vgpr_workitem_id 0
		.amdhsa_next_free_vgpr 1
		.amdhsa_next_free_sgpr 0
		.amdhsa_reserve_vcc 0
		.amdhsa_reserve_flat_scratch 0
		.amdhsa_float_round_mode_32 0
		.amdhsa_float_round_mode_16_64 0
		.amdhsa_float_denorm_mode_32 3
		.amdhsa_float_denorm_mode_16_64 3
		.amdhsa_dx10_clamp 1
		.amdhsa_ieee_mode 1
		.amdhsa_fp16_overflow 0
		.amdhsa_exception_fp_ieee_invalid_op 0
		.amdhsa_exception_fp_denorm_src 0
		.amdhsa_exception_fp_ieee_div_zero 0
		.amdhsa_exception_fp_ieee_overflow 0
		.amdhsa_exception_fp_ieee_underflow 0
		.amdhsa_exception_fp_ieee_inexact 0
		.amdhsa_exception_int_div_zero 0
	.end_amdhsa_kernel
	.section	.text._ZN7rocprim17ROCPRIM_400000_NS6detail17trampoline_kernelINS0_13select_configILj256ELj13ELNS0_17block_load_methodE3ELS4_3ELS4_3ELNS0_20block_scan_algorithmE0ELj4294967295EEENS1_25partition_config_selectorILNS1_17partition_subalgoE4EjNS0_10empty_typeEbEEZZNS1_14partition_implILS8_4ELb0ES6_15HIP_vector_typeIjLj2EENS0_17counting_iteratorIjlEEPS9_SG_NS0_5tupleIJPjSI_NS0_16reverse_iteratorISI_EEEEENSH_IJSG_SG_SG_EEES9_SI_JZNS1_25segmented_radix_sort_implINS0_14default_configELb0EPKaPaPKlPlN2at6native12_GLOBAL__N_18offset_tEEE10hipError_tPvRmT1_PNSt15iterator_traitsIS12_E10value_typeET2_T3_PNS13_IS18_E10value_typeET4_jRbjT5_S1E_jjP12ihipStream_tbEUljE_ZNSN_ISO_Lb0ESQ_SR_ST_SU_SY_EESZ_S10_S11_S12_S16_S17_S18_S1B_S1C_jS1D_jS1E_S1E_jjS1G_bEUljE0_EEESZ_S10_S11_S18_S1C_S1E_T6_T7_T9_mT8_S1G_bDpT10_ENKUlT_T0_E_clISt17integral_constantIbLb0EES1U_EEDaS1P_S1Q_EUlS1P_E_NS1_11comp_targetILNS1_3genE9ELNS1_11target_archE1100ELNS1_3gpuE3ELNS1_3repE0EEENS1_30default_config_static_selectorELNS0_4arch9wavefront6targetE1EEEvS12_,"axG",@progbits,_ZN7rocprim17ROCPRIM_400000_NS6detail17trampoline_kernelINS0_13select_configILj256ELj13ELNS0_17block_load_methodE3ELS4_3ELS4_3ELNS0_20block_scan_algorithmE0ELj4294967295EEENS1_25partition_config_selectorILNS1_17partition_subalgoE4EjNS0_10empty_typeEbEEZZNS1_14partition_implILS8_4ELb0ES6_15HIP_vector_typeIjLj2EENS0_17counting_iteratorIjlEEPS9_SG_NS0_5tupleIJPjSI_NS0_16reverse_iteratorISI_EEEEENSH_IJSG_SG_SG_EEES9_SI_JZNS1_25segmented_radix_sort_implINS0_14default_configELb0EPKaPaPKlPlN2at6native12_GLOBAL__N_18offset_tEEE10hipError_tPvRmT1_PNSt15iterator_traitsIS12_E10value_typeET2_T3_PNS13_IS18_E10value_typeET4_jRbjT5_S1E_jjP12ihipStream_tbEUljE_ZNSN_ISO_Lb0ESQ_SR_ST_SU_SY_EESZ_S10_S11_S12_S16_S17_S18_S1B_S1C_jS1D_jS1E_S1E_jjS1G_bEUljE0_EEESZ_S10_S11_S18_S1C_S1E_T6_T7_T9_mT8_S1G_bDpT10_ENKUlT_T0_E_clISt17integral_constantIbLb0EES1U_EEDaS1P_S1Q_EUlS1P_E_NS1_11comp_targetILNS1_3genE9ELNS1_11target_archE1100ELNS1_3gpuE3ELNS1_3repE0EEENS1_30default_config_static_selectorELNS0_4arch9wavefront6targetE1EEEvS12_,comdat
.Lfunc_end335:
	.size	_ZN7rocprim17ROCPRIM_400000_NS6detail17trampoline_kernelINS0_13select_configILj256ELj13ELNS0_17block_load_methodE3ELS4_3ELS4_3ELNS0_20block_scan_algorithmE0ELj4294967295EEENS1_25partition_config_selectorILNS1_17partition_subalgoE4EjNS0_10empty_typeEbEEZZNS1_14partition_implILS8_4ELb0ES6_15HIP_vector_typeIjLj2EENS0_17counting_iteratorIjlEEPS9_SG_NS0_5tupleIJPjSI_NS0_16reverse_iteratorISI_EEEEENSH_IJSG_SG_SG_EEES9_SI_JZNS1_25segmented_radix_sort_implINS0_14default_configELb0EPKaPaPKlPlN2at6native12_GLOBAL__N_18offset_tEEE10hipError_tPvRmT1_PNSt15iterator_traitsIS12_E10value_typeET2_T3_PNS13_IS18_E10value_typeET4_jRbjT5_S1E_jjP12ihipStream_tbEUljE_ZNSN_ISO_Lb0ESQ_SR_ST_SU_SY_EESZ_S10_S11_S12_S16_S17_S18_S1B_S1C_jS1D_jS1E_S1E_jjS1G_bEUljE0_EEESZ_S10_S11_S18_S1C_S1E_T6_T7_T9_mT8_S1G_bDpT10_ENKUlT_T0_E_clISt17integral_constantIbLb0EES1U_EEDaS1P_S1Q_EUlS1P_E_NS1_11comp_targetILNS1_3genE9ELNS1_11target_archE1100ELNS1_3gpuE3ELNS1_3repE0EEENS1_30default_config_static_selectorELNS0_4arch9wavefront6targetE1EEEvS12_, .Lfunc_end335-_ZN7rocprim17ROCPRIM_400000_NS6detail17trampoline_kernelINS0_13select_configILj256ELj13ELNS0_17block_load_methodE3ELS4_3ELS4_3ELNS0_20block_scan_algorithmE0ELj4294967295EEENS1_25partition_config_selectorILNS1_17partition_subalgoE4EjNS0_10empty_typeEbEEZZNS1_14partition_implILS8_4ELb0ES6_15HIP_vector_typeIjLj2EENS0_17counting_iteratorIjlEEPS9_SG_NS0_5tupleIJPjSI_NS0_16reverse_iteratorISI_EEEEENSH_IJSG_SG_SG_EEES9_SI_JZNS1_25segmented_radix_sort_implINS0_14default_configELb0EPKaPaPKlPlN2at6native12_GLOBAL__N_18offset_tEEE10hipError_tPvRmT1_PNSt15iterator_traitsIS12_E10value_typeET2_T3_PNS13_IS18_E10value_typeET4_jRbjT5_S1E_jjP12ihipStream_tbEUljE_ZNSN_ISO_Lb0ESQ_SR_ST_SU_SY_EESZ_S10_S11_S12_S16_S17_S18_S1B_S1C_jS1D_jS1E_S1E_jjS1G_bEUljE0_EEESZ_S10_S11_S18_S1C_S1E_T6_T7_T9_mT8_S1G_bDpT10_ENKUlT_T0_E_clISt17integral_constantIbLb0EES1U_EEDaS1P_S1Q_EUlS1P_E_NS1_11comp_targetILNS1_3genE9ELNS1_11target_archE1100ELNS1_3gpuE3ELNS1_3repE0EEENS1_30default_config_static_selectorELNS0_4arch9wavefront6targetE1EEEvS12_
                                        ; -- End function
	.set _ZN7rocprim17ROCPRIM_400000_NS6detail17trampoline_kernelINS0_13select_configILj256ELj13ELNS0_17block_load_methodE3ELS4_3ELS4_3ELNS0_20block_scan_algorithmE0ELj4294967295EEENS1_25partition_config_selectorILNS1_17partition_subalgoE4EjNS0_10empty_typeEbEEZZNS1_14partition_implILS8_4ELb0ES6_15HIP_vector_typeIjLj2EENS0_17counting_iteratorIjlEEPS9_SG_NS0_5tupleIJPjSI_NS0_16reverse_iteratorISI_EEEEENSH_IJSG_SG_SG_EEES9_SI_JZNS1_25segmented_radix_sort_implINS0_14default_configELb0EPKaPaPKlPlN2at6native12_GLOBAL__N_18offset_tEEE10hipError_tPvRmT1_PNSt15iterator_traitsIS12_E10value_typeET2_T3_PNS13_IS18_E10value_typeET4_jRbjT5_S1E_jjP12ihipStream_tbEUljE_ZNSN_ISO_Lb0ESQ_SR_ST_SU_SY_EESZ_S10_S11_S12_S16_S17_S18_S1B_S1C_jS1D_jS1E_S1E_jjS1G_bEUljE0_EEESZ_S10_S11_S18_S1C_S1E_T6_T7_T9_mT8_S1G_bDpT10_ENKUlT_T0_E_clISt17integral_constantIbLb0EES1U_EEDaS1P_S1Q_EUlS1P_E_NS1_11comp_targetILNS1_3genE9ELNS1_11target_archE1100ELNS1_3gpuE3ELNS1_3repE0EEENS1_30default_config_static_selectorELNS0_4arch9wavefront6targetE1EEEvS12_.num_vgpr, 0
	.set _ZN7rocprim17ROCPRIM_400000_NS6detail17trampoline_kernelINS0_13select_configILj256ELj13ELNS0_17block_load_methodE3ELS4_3ELS4_3ELNS0_20block_scan_algorithmE0ELj4294967295EEENS1_25partition_config_selectorILNS1_17partition_subalgoE4EjNS0_10empty_typeEbEEZZNS1_14partition_implILS8_4ELb0ES6_15HIP_vector_typeIjLj2EENS0_17counting_iteratorIjlEEPS9_SG_NS0_5tupleIJPjSI_NS0_16reverse_iteratorISI_EEEEENSH_IJSG_SG_SG_EEES9_SI_JZNS1_25segmented_radix_sort_implINS0_14default_configELb0EPKaPaPKlPlN2at6native12_GLOBAL__N_18offset_tEEE10hipError_tPvRmT1_PNSt15iterator_traitsIS12_E10value_typeET2_T3_PNS13_IS18_E10value_typeET4_jRbjT5_S1E_jjP12ihipStream_tbEUljE_ZNSN_ISO_Lb0ESQ_SR_ST_SU_SY_EESZ_S10_S11_S12_S16_S17_S18_S1B_S1C_jS1D_jS1E_S1E_jjS1G_bEUljE0_EEESZ_S10_S11_S18_S1C_S1E_T6_T7_T9_mT8_S1G_bDpT10_ENKUlT_T0_E_clISt17integral_constantIbLb0EES1U_EEDaS1P_S1Q_EUlS1P_E_NS1_11comp_targetILNS1_3genE9ELNS1_11target_archE1100ELNS1_3gpuE3ELNS1_3repE0EEENS1_30default_config_static_selectorELNS0_4arch9wavefront6targetE1EEEvS12_.num_agpr, 0
	.set _ZN7rocprim17ROCPRIM_400000_NS6detail17trampoline_kernelINS0_13select_configILj256ELj13ELNS0_17block_load_methodE3ELS4_3ELS4_3ELNS0_20block_scan_algorithmE0ELj4294967295EEENS1_25partition_config_selectorILNS1_17partition_subalgoE4EjNS0_10empty_typeEbEEZZNS1_14partition_implILS8_4ELb0ES6_15HIP_vector_typeIjLj2EENS0_17counting_iteratorIjlEEPS9_SG_NS0_5tupleIJPjSI_NS0_16reverse_iteratorISI_EEEEENSH_IJSG_SG_SG_EEES9_SI_JZNS1_25segmented_radix_sort_implINS0_14default_configELb0EPKaPaPKlPlN2at6native12_GLOBAL__N_18offset_tEEE10hipError_tPvRmT1_PNSt15iterator_traitsIS12_E10value_typeET2_T3_PNS13_IS18_E10value_typeET4_jRbjT5_S1E_jjP12ihipStream_tbEUljE_ZNSN_ISO_Lb0ESQ_SR_ST_SU_SY_EESZ_S10_S11_S12_S16_S17_S18_S1B_S1C_jS1D_jS1E_S1E_jjS1G_bEUljE0_EEESZ_S10_S11_S18_S1C_S1E_T6_T7_T9_mT8_S1G_bDpT10_ENKUlT_T0_E_clISt17integral_constantIbLb0EES1U_EEDaS1P_S1Q_EUlS1P_E_NS1_11comp_targetILNS1_3genE9ELNS1_11target_archE1100ELNS1_3gpuE3ELNS1_3repE0EEENS1_30default_config_static_selectorELNS0_4arch9wavefront6targetE1EEEvS12_.numbered_sgpr, 0
	.set _ZN7rocprim17ROCPRIM_400000_NS6detail17trampoline_kernelINS0_13select_configILj256ELj13ELNS0_17block_load_methodE3ELS4_3ELS4_3ELNS0_20block_scan_algorithmE0ELj4294967295EEENS1_25partition_config_selectorILNS1_17partition_subalgoE4EjNS0_10empty_typeEbEEZZNS1_14partition_implILS8_4ELb0ES6_15HIP_vector_typeIjLj2EENS0_17counting_iteratorIjlEEPS9_SG_NS0_5tupleIJPjSI_NS0_16reverse_iteratorISI_EEEEENSH_IJSG_SG_SG_EEES9_SI_JZNS1_25segmented_radix_sort_implINS0_14default_configELb0EPKaPaPKlPlN2at6native12_GLOBAL__N_18offset_tEEE10hipError_tPvRmT1_PNSt15iterator_traitsIS12_E10value_typeET2_T3_PNS13_IS18_E10value_typeET4_jRbjT5_S1E_jjP12ihipStream_tbEUljE_ZNSN_ISO_Lb0ESQ_SR_ST_SU_SY_EESZ_S10_S11_S12_S16_S17_S18_S1B_S1C_jS1D_jS1E_S1E_jjS1G_bEUljE0_EEESZ_S10_S11_S18_S1C_S1E_T6_T7_T9_mT8_S1G_bDpT10_ENKUlT_T0_E_clISt17integral_constantIbLb0EES1U_EEDaS1P_S1Q_EUlS1P_E_NS1_11comp_targetILNS1_3genE9ELNS1_11target_archE1100ELNS1_3gpuE3ELNS1_3repE0EEENS1_30default_config_static_selectorELNS0_4arch9wavefront6targetE1EEEvS12_.num_named_barrier, 0
	.set _ZN7rocprim17ROCPRIM_400000_NS6detail17trampoline_kernelINS0_13select_configILj256ELj13ELNS0_17block_load_methodE3ELS4_3ELS4_3ELNS0_20block_scan_algorithmE0ELj4294967295EEENS1_25partition_config_selectorILNS1_17partition_subalgoE4EjNS0_10empty_typeEbEEZZNS1_14partition_implILS8_4ELb0ES6_15HIP_vector_typeIjLj2EENS0_17counting_iteratorIjlEEPS9_SG_NS0_5tupleIJPjSI_NS0_16reverse_iteratorISI_EEEEENSH_IJSG_SG_SG_EEES9_SI_JZNS1_25segmented_radix_sort_implINS0_14default_configELb0EPKaPaPKlPlN2at6native12_GLOBAL__N_18offset_tEEE10hipError_tPvRmT1_PNSt15iterator_traitsIS12_E10value_typeET2_T3_PNS13_IS18_E10value_typeET4_jRbjT5_S1E_jjP12ihipStream_tbEUljE_ZNSN_ISO_Lb0ESQ_SR_ST_SU_SY_EESZ_S10_S11_S12_S16_S17_S18_S1B_S1C_jS1D_jS1E_S1E_jjS1G_bEUljE0_EEESZ_S10_S11_S18_S1C_S1E_T6_T7_T9_mT8_S1G_bDpT10_ENKUlT_T0_E_clISt17integral_constantIbLb0EES1U_EEDaS1P_S1Q_EUlS1P_E_NS1_11comp_targetILNS1_3genE9ELNS1_11target_archE1100ELNS1_3gpuE3ELNS1_3repE0EEENS1_30default_config_static_selectorELNS0_4arch9wavefront6targetE1EEEvS12_.private_seg_size, 0
	.set _ZN7rocprim17ROCPRIM_400000_NS6detail17trampoline_kernelINS0_13select_configILj256ELj13ELNS0_17block_load_methodE3ELS4_3ELS4_3ELNS0_20block_scan_algorithmE0ELj4294967295EEENS1_25partition_config_selectorILNS1_17partition_subalgoE4EjNS0_10empty_typeEbEEZZNS1_14partition_implILS8_4ELb0ES6_15HIP_vector_typeIjLj2EENS0_17counting_iteratorIjlEEPS9_SG_NS0_5tupleIJPjSI_NS0_16reverse_iteratorISI_EEEEENSH_IJSG_SG_SG_EEES9_SI_JZNS1_25segmented_radix_sort_implINS0_14default_configELb0EPKaPaPKlPlN2at6native12_GLOBAL__N_18offset_tEEE10hipError_tPvRmT1_PNSt15iterator_traitsIS12_E10value_typeET2_T3_PNS13_IS18_E10value_typeET4_jRbjT5_S1E_jjP12ihipStream_tbEUljE_ZNSN_ISO_Lb0ESQ_SR_ST_SU_SY_EESZ_S10_S11_S12_S16_S17_S18_S1B_S1C_jS1D_jS1E_S1E_jjS1G_bEUljE0_EEESZ_S10_S11_S18_S1C_S1E_T6_T7_T9_mT8_S1G_bDpT10_ENKUlT_T0_E_clISt17integral_constantIbLb0EES1U_EEDaS1P_S1Q_EUlS1P_E_NS1_11comp_targetILNS1_3genE9ELNS1_11target_archE1100ELNS1_3gpuE3ELNS1_3repE0EEENS1_30default_config_static_selectorELNS0_4arch9wavefront6targetE1EEEvS12_.uses_vcc, 0
	.set _ZN7rocprim17ROCPRIM_400000_NS6detail17trampoline_kernelINS0_13select_configILj256ELj13ELNS0_17block_load_methodE3ELS4_3ELS4_3ELNS0_20block_scan_algorithmE0ELj4294967295EEENS1_25partition_config_selectorILNS1_17partition_subalgoE4EjNS0_10empty_typeEbEEZZNS1_14partition_implILS8_4ELb0ES6_15HIP_vector_typeIjLj2EENS0_17counting_iteratorIjlEEPS9_SG_NS0_5tupleIJPjSI_NS0_16reverse_iteratorISI_EEEEENSH_IJSG_SG_SG_EEES9_SI_JZNS1_25segmented_radix_sort_implINS0_14default_configELb0EPKaPaPKlPlN2at6native12_GLOBAL__N_18offset_tEEE10hipError_tPvRmT1_PNSt15iterator_traitsIS12_E10value_typeET2_T3_PNS13_IS18_E10value_typeET4_jRbjT5_S1E_jjP12ihipStream_tbEUljE_ZNSN_ISO_Lb0ESQ_SR_ST_SU_SY_EESZ_S10_S11_S12_S16_S17_S18_S1B_S1C_jS1D_jS1E_S1E_jjS1G_bEUljE0_EEESZ_S10_S11_S18_S1C_S1E_T6_T7_T9_mT8_S1G_bDpT10_ENKUlT_T0_E_clISt17integral_constantIbLb0EES1U_EEDaS1P_S1Q_EUlS1P_E_NS1_11comp_targetILNS1_3genE9ELNS1_11target_archE1100ELNS1_3gpuE3ELNS1_3repE0EEENS1_30default_config_static_selectorELNS0_4arch9wavefront6targetE1EEEvS12_.uses_flat_scratch, 0
	.set _ZN7rocprim17ROCPRIM_400000_NS6detail17trampoline_kernelINS0_13select_configILj256ELj13ELNS0_17block_load_methodE3ELS4_3ELS4_3ELNS0_20block_scan_algorithmE0ELj4294967295EEENS1_25partition_config_selectorILNS1_17partition_subalgoE4EjNS0_10empty_typeEbEEZZNS1_14partition_implILS8_4ELb0ES6_15HIP_vector_typeIjLj2EENS0_17counting_iteratorIjlEEPS9_SG_NS0_5tupleIJPjSI_NS0_16reverse_iteratorISI_EEEEENSH_IJSG_SG_SG_EEES9_SI_JZNS1_25segmented_radix_sort_implINS0_14default_configELb0EPKaPaPKlPlN2at6native12_GLOBAL__N_18offset_tEEE10hipError_tPvRmT1_PNSt15iterator_traitsIS12_E10value_typeET2_T3_PNS13_IS18_E10value_typeET4_jRbjT5_S1E_jjP12ihipStream_tbEUljE_ZNSN_ISO_Lb0ESQ_SR_ST_SU_SY_EESZ_S10_S11_S12_S16_S17_S18_S1B_S1C_jS1D_jS1E_S1E_jjS1G_bEUljE0_EEESZ_S10_S11_S18_S1C_S1E_T6_T7_T9_mT8_S1G_bDpT10_ENKUlT_T0_E_clISt17integral_constantIbLb0EES1U_EEDaS1P_S1Q_EUlS1P_E_NS1_11comp_targetILNS1_3genE9ELNS1_11target_archE1100ELNS1_3gpuE3ELNS1_3repE0EEENS1_30default_config_static_selectorELNS0_4arch9wavefront6targetE1EEEvS12_.has_dyn_sized_stack, 0
	.set _ZN7rocprim17ROCPRIM_400000_NS6detail17trampoline_kernelINS0_13select_configILj256ELj13ELNS0_17block_load_methodE3ELS4_3ELS4_3ELNS0_20block_scan_algorithmE0ELj4294967295EEENS1_25partition_config_selectorILNS1_17partition_subalgoE4EjNS0_10empty_typeEbEEZZNS1_14partition_implILS8_4ELb0ES6_15HIP_vector_typeIjLj2EENS0_17counting_iteratorIjlEEPS9_SG_NS0_5tupleIJPjSI_NS0_16reverse_iteratorISI_EEEEENSH_IJSG_SG_SG_EEES9_SI_JZNS1_25segmented_radix_sort_implINS0_14default_configELb0EPKaPaPKlPlN2at6native12_GLOBAL__N_18offset_tEEE10hipError_tPvRmT1_PNSt15iterator_traitsIS12_E10value_typeET2_T3_PNS13_IS18_E10value_typeET4_jRbjT5_S1E_jjP12ihipStream_tbEUljE_ZNSN_ISO_Lb0ESQ_SR_ST_SU_SY_EESZ_S10_S11_S12_S16_S17_S18_S1B_S1C_jS1D_jS1E_S1E_jjS1G_bEUljE0_EEESZ_S10_S11_S18_S1C_S1E_T6_T7_T9_mT8_S1G_bDpT10_ENKUlT_T0_E_clISt17integral_constantIbLb0EES1U_EEDaS1P_S1Q_EUlS1P_E_NS1_11comp_targetILNS1_3genE9ELNS1_11target_archE1100ELNS1_3gpuE3ELNS1_3repE0EEENS1_30default_config_static_selectorELNS0_4arch9wavefront6targetE1EEEvS12_.has_recursion, 0
	.set _ZN7rocprim17ROCPRIM_400000_NS6detail17trampoline_kernelINS0_13select_configILj256ELj13ELNS0_17block_load_methodE3ELS4_3ELS4_3ELNS0_20block_scan_algorithmE0ELj4294967295EEENS1_25partition_config_selectorILNS1_17partition_subalgoE4EjNS0_10empty_typeEbEEZZNS1_14partition_implILS8_4ELb0ES6_15HIP_vector_typeIjLj2EENS0_17counting_iteratorIjlEEPS9_SG_NS0_5tupleIJPjSI_NS0_16reverse_iteratorISI_EEEEENSH_IJSG_SG_SG_EEES9_SI_JZNS1_25segmented_radix_sort_implINS0_14default_configELb0EPKaPaPKlPlN2at6native12_GLOBAL__N_18offset_tEEE10hipError_tPvRmT1_PNSt15iterator_traitsIS12_E10value_typeET2_T3_PNS13_IS18_E10value_typeET4_jRbjT5_S1E_jjP12ihipStream_tbEUljE_ZNSN_ISO_Lb0ESQ_SR_ST_SU_SY_EESZ_S10_S11_S12_S16_S17_S18_S1B_S1C_jS1D_jS1E_S1E_jjS1G_bEUljE0_EEESZ_S10_S11_S18_S1C_S1E_T6_T7_T9_mT8_S1G_bDpT10_ENKUlT_T0_E_clISt17integral_constantIbLb0EES1U_EEDaS1P_S1Q_EUlS1P_E_NS1_11comp_targetILNS1_3genE9ELNS1_11target_archE1100ELNS1_3gpuE3ELNS1_3repE0EEENS1_30default_config_static_selectorELNS0_4arch9wavefront6targetE1EEEvS12_.has_indirect_call, 0
	.section	.AMDGPU.csdata,"",@progbits
; Kernel info:
; codeLenInByte = 0
; TotalNumSgprs: 4
; NumVgprs: 0
; ScratchSize: 0
; MemoryBound: 0
; FloatMode: 240
; IeeeMode: 1
; LDSByteSize: 0 bytes/workgroup (compile time only)
; SGPRBlocks: 0
; VGPRBlocks: 0
; NumSGPRsForWavesPerEU: 4
; NumVGPRsForWavesPerEU: 1
; Occupancy: 10
; WaveLimiterHint : 0
; COMPUTE_PGM_RSRC2:SCRATCH_EN: 0
; COMPUTE_PGM_RSRC2:USER_SGPR: 6
; COMPUTE_PGM_RSRC2:TRAP_HANDLER: 0
; COMPUTE_PGM_RSRC2:TGID_X_EN: 1
; COMPUTE_PGM_RSRC2:TGID_Y_EN: 0
; COMPUTE_PGM_RSRC2:TGID_Z_EN: 0
; COMPUTE_PGM_RSRC2:TIDIG_COMP_CNT: 0
	.section	.text._ZN7rocprim17ROCPRIM_400000_NS6detail17trampoline_kernelINS0_13select_configILj256ELj13ELNS0_17block_load_methodE3ELS4_3ELS4_3ELNS0_20block_scan_algorithmE0ELj4294967295EEENS1_25partition_config_selectorILNS1_17partition_subalgoE4EjNS0_10empty_typeEbEEZZNS1_14partition_implILS8_4ELb0ES6_15HIP_vector_typeIjLj2EENS0_17counting_iteratorIjlEEPS9_SG_NS0_5tupleIJPjSI_NS0_16reverse_iteratorISI_EEEEENSH_IJSG_SG_SG_EEES9_SI_JZNS1_25segmented_radix_sort_implINS0_14default_configELb0EPKaPaPKlPlN2at6native12_GLOBAL__N_18offset_tEEE10hipError_tPvRmT1_PNSt15iterator_traitsIS12_E10value_typeET2_T3_PNS13_IS18_E10value_typeET4_jRbjT5_S1E_jjP12ihipStream_tbEUljE_ZNSN_ISO_Lb0ESQ_SR_ST_SU_SY_EESZ_S10_S11_S12_S16_S17_S18_S1B_S1C_jS1D_jS1E_S1E_jjS1G_bEUljE0_EEESZ_S10_S11_S18_S1C_S1E_T6_T7_T9_mT8_S1G_bDpT10_ENKUlT_T0_E_clISt17integral_constantIbLb0EES1U_EEDaS1P_S1Q_EUlS1P_E_NS1_11comp_targetILNS1_3genE8ELNS1_11target_archE1030ELNS1_3gpuE2ELNS1_3repE0EEENS1_30default_config_static_selectorELNS0_4arch9wavefront6targetE1EEEvS12_,"axG",@progbits,_ZN7rocprim17ROCPRIM_400000_NS6detail17trampoline_kernelINS0_13select_configILj256ELj13ELNS0_17block_load_methodE3ELS4_3ELS4_3ELNS0_20block_scan_algorithmE0ELj4294967295EEENS1_25partition_config_selectorILNS1_17partition_subalgoE4EjNS0_10empty_typeEbEEZZNS1_14partition_implILS8_4ELb0ES6_15HIP_vector_typeIjLj2EENS0_17counting_iteratorIjlEEPS9_SG_NS0_5tupleIJPjSI_NS0_16reverse_iteratorISI_EEEEENSH_IJSG_SG_SG_EEES9_SI_JZNS1_25segmented_radix_sort_implINS0_14default_configELb0EPKaPaPKlPlN2at6native12_GLOBAL__N_18offset_tEEE10hipError_tPvRmT1_PNSt15iterator_traitsIS12_E10value_typeET2_T3_PNS13_IS18_E10value_typeET4_jRbjT5_S1E_jjP12ihipStream_tbEUljE_ZNSN_ISO_Lb0ESQ_SR_ST_SU_SY_EESZ_S10_S11_S12_S16_S17_S18_S1B_S1C_jS1D_jS1E_S1E_jjS1G_bEUljE0_EEESZ_S10_S11_S18_S1C_S1E_T6_T7_T9_mT8_S1G_bDpT10_ENKUlT_T0_E_clISt17integral_constantIbLb0EES1U_EEDaS1P_S1Q_EUlS1P_E_NS1_11comp_targetILNS1_3genE8ELNS1_11target_archE1030ELNS1_3gpuE2ELNS1_3repE0EEENS1_30default_config_static_selectorELNS0_4arch9wavefront6targetE1EEEvS12_,comdat
	.globl	_ZN7rocprim17ROCPRIM_400000_NS6detail17trampoline_kernelINS0_13select_configILj256ELj13ELNS0_17block_load_methodE3ELS4_3ELS4_3ELNS0_20block_scan_algorithmE0ELj4294967295EEENS1_25partition_config_selectorILNS1_17partition_subalgoE4EjNS0_10empty_typeEbEEZZNS1_14partition_implILS8_4ELb0ES6_15HIP_vector_typeIjLj2EENS0_17counting_iteratorIjlEEPS9_SG_NS0_5tupleIJPjSI_NS0_16reverse_iteratorISI_EEEEENSH_IJSG_SG_SG_EEES9_SI_JZNS1_25segmented_radix_sort_implINS0_14default_configELb0EPKaPaPKlPlN2at6native12_GLOBAL__N_18offset_tEEE10hipError_tPvRmT1_PNSt15iterator_traitsIS12_E10value_typeET2_T3_PNS13_IS18_E10value_typeET4_jRbjT5_S1E_jjP12ihipStream_tbEUljE_ZNSN_ISO_Lb0ESQ_SR_ST_SU_SY_EESZ_S10_S11_S12_S16_S17_S18_S1B_S1C_jS1D_jS1E_S1E_jjS1G_bEUljE0_EEESZ_S10_S11_S18_S1C_S1E_T6_T7_T9_mT8_S1G_bDpT10_ENKUlT_T0_E_clISt17integral_constantIbLb0EES1U_EEDaS1P_S1Q_EUlS1P_E_NS1_11comp_targetILNS1_3genE8ELNS1_11target_archE1030ELNS1_3gpuE2ELNS1_3repE0EEENS1_30default_config_static_selectorELNS0_4arch9wavefront6targetE1EEEvS12_ ; -- Begin function _ZN7rocprim17ROCPRIM_400000_NS6detail17trampoline_kernelINS0_13select_configILj256ELj13ELNS0_17block_load_methodE3ELS4_3ELS4_3ELNS0_20block_scan_algorithmE0ELj4294967295EEENS1_25partition_config_selectorILNS1_17partition_subalgoE4EjNS0_10empty_typeEbEEZZNS1_14partition_implILS8_4ELb0ES6_15HIP_vector_typeIjLj2EENS0_17counting_iteratorIjlEEPS9_SG_NS0_5tupleIJPjSI_NS0_16reverse_iteratorISI_EEEEENSH_IJSG_SG_SG_EEES9_SI_JZNS1_25segmented_radix_sort_implINS0_14default_configELb0EPKaPaPKlPlN2at6native12_GLOBAL__N_18offset_tEEE10hipError_tPvRmT1_PNSt15iterator_traitsIS12_E10value_typeET2_T3_PNS13_IS18_E10value_typeET4_jRbjT5_S1E_jjP12ihipStream_tbEUljE_ZNSN_ISO_Lb0ESQ_SR_ST_SU_SY_EESZ_S10_S11_S12_S16_S17_S18_S1B_S1C_jS1D_jS1E_S1E_jjS1G_bEUljE0_EEESZ_S10_S11_S18_S1C_S1E_T6_T7_T9_mT8_S1G_bDpT10_ENKUlT_T0_E_clISt17integral_constantIbLb0EES1U_EEDaS1P_S1Q_EUlS1P_E_NS1_11comp_targetILNS1_3genE8ELNS1_11target_archE1030ELNS1_3gpuE2ELNS1_3repE0EEENS1_30default_config_static_selectorELNS0_4arch9wavefront6targetE1EEEvS12_
	.p2align	8
	.type	_ZN7rocprim17ROCPRIM_400000_NS6detail17trampoline_kernelINS0_13select_configILj256ELj13ELNS0_17block_load_methodE3ELS4_3ELS4_3ELNS0_20block_scan_algorithmE0ELj4294967295EEENS1_25partition_config_selectorILNS1_17partition_subalgoE4EjNS0_10empty_typeEbEEZZNS1_14partition_implILS8_4ELb0ES6_15HIP_vector_typeIjLj2EENS0_17counting_iteratorIjlEEPS9_SG_NS0_5tupleIJPjSI_NS0_16reverse_iteratorISI_EEEEENSH_IJSG_SG_SG_EEES9_SI_JZNS1_25segmented_radix_sort_implINS0_14default_configELb0EPKaPaPKlPlN2at6native12_GLOBAL__N_18offset_tEEE10hipError_tPvRmT1_PNSt15iterator_traitsIS12_E10value_typeET2_T3_PNS13_IS18_E10value_typeET4_jRbjT5_S1E_jjP12ihipStream_tbEUljE_ZNSN_ISO_Lb0ESQ_SR_ST_SU_SY_EESZ_S10_S11_S12_S16_S17_S18_S1B_S1C_jS1D_jS1E_S1E_jjS1G_bEUljE0_EEESZ_S10_S11_S18_S1C_S1E_T6_T7_T9_mT8_S1G_bDpT10_ENKUlT_T0_E_clISt17integral_constantIbLb0EES1U_EEDaS1P_S1Q_EUlS1P_E_NS1_11comp_targetILNS1_3genE8ELNS1_11target_archE1030ELNS1_3gpuE2ELNS1_3repE0EEENS1_30default_config_static_selectorELNS0_4arch9wavefront6targetE1EEEvS12_,@function
_ZN7rocprim17ROCPRIM_400000_NS6detail17trampoline_kernelINS0_13select_configILj256ELj13ELNS0_17block_load_methodE3ELS4_3ELS4_3ELNS0_20block_scan_algorithmE0ELj4294967295EEENS1_25partition_config_selectorILNS1_17partition_subalgoE4EjNS0_10empty_typeEbEEZZNS1_14partition_implILS8_4ELb0ES6_15HIP_vector_typeIjLj2EENS0_17counting_iteratorIjlEEPS9_SG_NS0_5tupleIJPjSI_NS0_16reverse_iteratorISI_EEEEENSH_IJSG_SG_SG_EEES9_SI_JZNS1_25segmented_radix_sort_implINS0_14default_configELb0EPKaPaPKlPlN2at6native12_GLOBAL__N_18offset_tEEE10hipError_tPvRmT1_PNSt15iterator_traitsIS12_E10value_typeET2_T3_PNS13_IS18_E10value_typeET4_jRbjT5_S1E_jjP12ihipStream_tbEUljE_ZNSN_ISO_Lb0ESQ_SR_ST_SU_SY_EESZ_S10_S11_S12_S16_S17_S18_S1B_S1C_jS1D_jS1E_S1E_jjS1G_bEUljE0_EEESZ_S10_S11_S18_S1C_S1E_T6_T7_T9_mT8_S1G_bDpT10_ENKUlT_T0_E_clISt17integral_constantIbLb0EES1U_EEDaS1P_S1Q_EUlS1P_E_NS1_11comp_targetILNS1_3genE8ELNS1_11target_archE1030ELNS1_3gpuE2ELNS1_3repE0EEENS1_30default_config_static_selectorELNS0_4arch9wavefront6targetE1EEEvS12_: ; @_ZN7rocprim17ROCPRIM_400000_NS6detail17trampoline_kernelINS0_13select_configILj256ELj13ELNS0_17block_load_methodE3ELS4_3ELS4_3ELNS0_20block_scan_algorithmE0ELj4294967295EEENS1_25partition_config_selectorILNS1_17partition_subalgoE4EjNS0_10empty_typeEbEEZZNS1_14partition_implILS8_4ELb0ES6_15HIP_vector_typeIjLj2EENS0_17counting_iteratorIjlEEPS9_SG_NS0_5tupleIJPjSI_NS0_16reverse_iteratorISI_EEEEENSH_IJSG_SG_SG_EEES9_SI_JZNS1_25segmented_radix_sort_implINS0_14default_configELb0EPKaPaPKlPlN2at6native12_GLOBAL__N_18offset_tEEE10hipError_tPvRmT1_PNSt15iterator_traitsIS12_E10value_typeET2_T3_PNS13_IS18_E10value_typeET4_jRbjT5_S1E_jjP12ihipStream_tbEUljE_ZNSN_ISO_Lb0ESQ_SR_ST_SU_SY_EESZ_S10_S11_S12_S16_S17_S18_S1B_S1C_jS1D_jS1E_S1E_jjS1G_bEUljE0_EEESZ_S10_S11_S18_S1C_S1E_T6_T7_T9_mT8_S1G_bDpT10_ENKUlT_T0_E_clISt17integral_constantIbLb0EES1U_EEDaS1P_S1Q_EUlS1P_E_NS1_11comp_targetILNS1_3genE8ELNS1_11target_archE1030ELNS1_3gpuE2ELNS1_3repE0EEENS1_30default_config_static_selectorELNS0_4arch9wavefront6targetE1EEEvS12_
; %bb.0:
	.section	.rodata,"a",@progbits
	.p2align	6, 0x0
	.amdhsa_kernel _ZN7rocprim17ROCPRIM_400000_NS6detail17trampoline_kernelINS0_13select_configILj256ELj13ELNS0_17block_load_methodE3ELS4_3ELS4_3ELNS0_20block_scan_algorithmE0ELj4294967295EEENS1_25partition_config_selectorILNS1_17partition_subalgoE4EjNS0_10empty_typeEbEEZZNS1_14partition_implILS8_4ELb0ES6_15HIP_vector_typeIjLj2EENS0_17counting_iteratorIjlEEPS9_SG_NS0_5tupleIJPjSI_NS0_16reverse_iteratorISI_EEEEENSH_IJSG_SG_SG_EEES9_SI_JZNS1_25segmented_radix_sort_implINS0_14default_configELb0EPKaPaPKlPlN2at6native12_GLOBAL__N_18offset_tEEE10hipError_tPvRmT1_PNSt15iterator_traitsIS12_E10value_typeET2_T3_PNS13_IS18_E10value_typeET4_jRbjT5_S1E_jjP12ihipStream_tbEUljE_ZNSN_ISO_Lb0ESQ_SR_ST_SU_SY_EESZ_S10_S11_S12_S16_S17_S18_S1B_S1C_jS1D_jS1E_S1E_jjS1G_bEUljE0_EEESZ_S10_S11_S18_S1C_S1E_T6_T7_T9_mT8_S1G_bDpT10_ENKUlT_T0_E_clISt17integral_constantIbLb0EES1U_EEDaS1P_S1Q_EUlS1P_E_NS1_11comp_targetILNS1_3genE8ELNS1_11target_archE1030ELNS1_3gpuE2ELNS1_3repE0EEENS1_30default_config_static_selectorELNS0_4arch9wavefront6targetE1EEEvS12_
		.amdhsa_group_segment_fixed_size 0
		.amdhsa_private_segment_fixed_size 0
		.amdhsa_kernarg_size 176
		.amdhsa_user_sgpr_count 6
		.amdhsa_user_sgpr_private_segment_buffer 1
		.amdhsa_user_sgpr_dispatch_ptr 0
		.amdhsa_user_sgpr_queue_ptr 0
		.amdhsa_user_sgpr_kernarg_segment_ptr 1
		.amdhsa_user_sgpr_dispatch_id 0
		.amdhsa_user_sgpr_flat_scratch_init 0
		.amdhsa_user_sgpr_private_segment_size 0
		.amdhsa_uses_dynamic_stack 0
		.amdhsa_system_sgpr_private_segment_wavefront_offset 0
		.amdhsa_system_sgpr_workgroup_id_x 1
		.amdhsa_system_sgpr_workgroup_id_y 0
		.amdhsa_system_sgpr_workgroup_id_z 0
		.amdhsa_system_sgpr_workgroup_info 0
		.amdhsa_system_vgpr_workitem_id 0
		.amdhsa_next_free_vgpr 1
		.amdhsa_next_free_sgpr 0
		.amdhsa_reserve_vcc 0
		.amdhsa_reserve_flat_scratch 0
		.amdhsa_float_round_mode_32 0
		.amdhsa_float_round_mode_16_64 0
		.amdhsa_float_denorm_mode_32 3
		.amdhsa_float_denorm_mode_16_64 3
		.amdhsa_dx10_clamp 1
		.amdhsa_ieee_mode 1
		.amdhsa_fp16_overflow 0
		.amdhsa_exception_fp_ieee_invalid_op 0
		.amdhsa_exception_fp_denorm_src 0
		.amdhsa_exception_fp_ieee_div_zero 0
		.amdhsa_exception_fp_ieee_overflow 0
		.amdhsa_exception_fp_ieee_underflow 0
		.amdhsa_exception_fp_ieee_inexact 0
		.amdhsa_exception_int_div_zero 0
	.end_amdhsa_kernel
	.section	.text._ZN7rocprim17ROCPRIM_400000_NS6detail17trampoline_kernelINS0_13select_configILj256ELj13ELNS0_17block_load_methodE3ELS4_3ELS4_3ELNS0_20block_scan_algorithmE0ELj4294967295EEENS1_25partition_config_selectorILNS1_17partition_subalgoE4EjNS0_10empty_typeEbEEZZNS1_14partition_implILS8_4ELb0ES6_15HIP_vector_typeIjLj2EENS0_17counting_iteratorIjlEEPS9_SG_NS0_5tupleIJPjSI_NS0_16reverse_iteratorISI_EEEEENSH_IJSG_SG_SG_EEES9_SI_JZNS1_25segmented_radix_sort_implINS0_14default_configELb0EPKaPaPKlPlN2at6native12_GLOBAL__N_18offset_tEEE10hipError_tPvRmT1_PNSt15iterator_traitsIS12_E10value_typeET2_T3_PNS13_IS18_E10value_typeET4_jRbjT5_S1E_jjP12ihipStream_tbEUljE_ZNSN_ISO_Lb0ESQ_SR_ST_SU_SY_EESZ_S10_S11_S12_S16_S17_S18_S1B_S1C_jS1D_jS1E_S1E_jjS1G_bEUljE0_EEESZ_S10_S11_S18_S1C_S1E_T6_T7_T9_mT8_S1G_bDpT10_ENKUlT_T0_E_clISt17integral_constantIbLb0EES1U_EEDaS1P_S1Q_EUlS1P_E_NS1_11comp_targetILNS1_3genE8ELNS1_11target_archE1030ELNS1_3gpuE2ELNS1_3repE0EEENS1_30default_config_static_selectorELNS0_4arch9wavefront6targetE1EEEvS12_,"axG",@progbits,_ZN7rocprim17ROCPRIM_400000_NS6detail17trampoline_kernelINS0_13select_configILj256ELj13ELNS0_17block_load_methodE3ELS4_3ELS4_3ELNS0_20block_scan_algorithmE0ELj4294967295EEENS1_25partition_config_selectorILNS1_17partition_subalgoE4EjNS0_10empty_typeEbEEZZNS1_14partition_implILS8_4ELb0ES6_15HIP_vector_typeIjLj2EENS0_17counting_iteratorIjlEEPS9_SG_NS0_5tupleIJPjSI_NS0_16reverse_iteratorISI_EEEEENSH_IJSG_SG_SG_EEES9_SI_JZNS1_25segmented_radix_sort_implINS0_14default_configELb0EPKaPaPKlPlN2at6native12_GLOBAL__N_18offset_tEEE10hipError_tPvRmT1_PNSt15iterator_traitsIS12_E10value_typeET2_T3_PNS13_IS18_E10value_typeET4_jRbjT5_S1E_jjP12ihipStream_tbEUljE_ZNSN_ISO_Lb0ESQ_SR_ST_SU_SY_EESZ_S10_S11_S12_S16_S17_S18_S1B_S1C_jS1D_jS1E_S1E_jjS1G_bEUljE0_EEESZ_S10_S11_S18_S1C_S1E_T6_T7_T9_mT8_S1G_bDpT10_ENKUlT_T0_E_clISt17integral_constantIbLb0EES1U_EEDaS1P_S1Q_EUlS1P_E_NS1_11comp_targetILNS1_3genE8ELNS1_11target_archE1030ELNS1_3gpuE2ELNS1_3repE0EEENS1_30default_config_static_selectorELNS0_4arch9wavefront6targetE1EEEvS12_,comdat
.Lfunc_end336:
	.size	_ZN7rocprim17ROCPRIM_400000_NS6detail17trampoline_kernelINS0_13select_configILj256ELj13ELNS0_17block_load_methodE3ELS4_3ELS4_3ELNS0_20block_scan_algorithmE0ELj4294967295EEENS1_25partition_config_selectorILNS1_17partition_subalgoE4EjNS0_10empty_typeEbEEZZNS1_14partition_implILS8_4ELb0ES6_15HIP_vector_typeIjLj2EENS0_17counting_iteratorIjlEEPS9_SG_NS0_5tupleIJPjSI_NS0_16reverse_iteratorISI_EEEEENSH_IJSG_SG_SG_EEES9_SI_JZNS1_25segmented_radix_sort_implINS0_14default_configELb0EPKaPaPKlPlN2at6native12_GLOBAL__N_18offset_tEEE10hipError_tPvRmT1_PNSt15iterator_traitsIS12_E10value_typeET2_T3_PNS13_IS18_E10value_typeET4_jRbjT5_S1E_jjP12ihipStream_tbEUljE_ZNSN_ISO_Lb0ESQ_SR_ST_SU_SY_EESZ_S10_S11_S12_S16_S17_S18_S1B_S1C_jS1D_jS1E_S1E_jjS1G_bEUljE0_EEESZ_S10_S11_S18_S1C_S1E_T6_T7_T9_mT8_S1G_bDpT10_ENKUlT_T0_E_clISt17integral_constantIbLb0EES1U_EEDaS1P_S1Q_EUlS1P_E_NS1_11comp_targetILNS1_3genE8ELNS1_11target_archE1030ELNS1_3gpuE2ELNS1_3repE0EEENS1_30default_config_static_selectorELNS0_4arch9wavefront6targetE1EEEvS12_, .Lfunc_end336-_ZN7rocprim17ROCPRIM_400000_NS6detail17trampoline_kernelINS0_13select_configILj256ELj13ELNS0_17block_load_methodE3ELS4_3ELS4_3ELNS0_20block_scan_algorithmE0ELj4294967295EEENS1_25partition_config_selectorILNS1_17partition_subalgoE4EjNS0_10empty_typeEbEEZZNS1_14partition_implILS8_4ELb0ES6_15HIP_vector_typeIjLj2EENS0_17counting_iteratorIjlEEPS9_SG_NS0_5tupleIJPjSI_NS0_16reverse_iteratorISI_EEEEENSH_IJSG_SG_SG_EEES9_SI_JZNS1_25segmented_radix_sort_implINS0_14default_configELb0EPKaPaPKlPlN2at6native12_GLOBAL__N_18offset_tEEE10hipError_tPvRmT1_PNSt15iterator_traitsIS12_E10value_typeET2_T3_PNS13_IS18_E10value_typeET4_jRbjT5_S1E_jjP12ihipStream_tbEUljE_ZNSN_ISO_Lb0ESQ_SR_ST_SU_SY_EESZ_S10_S11_S12_S16_S17_S18_S1B_S1C_jS1D_jS1E_S1E_jjS1G_bEUljE0_EEESZ_S10_S11_S18_S1C_S1E_T6_T7_T9_mT8_S1G_bDpT10_ENKUlT_T0_E_clISt17integral_constantIbLb0EES1U_EEDaS1P_S1Q_EUlS1P_E_NS1_11comp_targetILNS1_3genE8ELNS1_11target_archE1030ELNS1_3gpuE2ELNS1_3repE0EEENS1_30default_config_static_selectorELNS0_4arch9wavefront6targetE1EEEvS12_
                                        ; -- End function
	.set _ZN7rocprim17ROCPRIM_400000_NS6detail17trampoline_kernelINS0_13select_configILj256ELj13ELNS0_17block_load_methodE3ELS4_3ELS4_3ELNS0_20block_scan_algorithmE0ELj4294967295EEENS1_25partition_config_selectorILNS1_17partition_subalgoE4EjNS0_10empty_typeEbEEZZNS1_14partition_implILS8_4ELb0ES6_15HIP_vector_typeIjLj2EENS0_17counting_iteratorIjlEEPS9_SG_NS0_5tupleIJPjSI_NS0_16reverse_iteratorISI_EEEEENSH_IJSG_SG_SG_EEES9_SI_JZNS1_25segmented_radix_sort_implINS0_14default_configELb0EPKaPaPKlPlN2at6native12_GLOBAL__N_18offset_tEEE10hipError_tPvRmT1_PNSt15iterator_traitsIS12_E10value_typeET2_T3_PNS13_IS18_E10value_typeET4_jRbjT5_S1E_jjP12ihipStream_tbEUljE_ZNSN_ISO_Lb0ESQ_SR_ST_SU_SY_EESZ_S10_S11_S12_S16_S17_S18_S1B_S1C_jS1D_jS1E_S1E_jjS1G_bEUljE0_EEESZ_S10_S11_S18_S1C_S1E_T6_T7_T9_mT8_S1G_bDpT10_ENKUlT_T0_E_clISt17integral_constantIbLb0EES1U_EEDaS1P_S1Q_EUlS1P_E_NS1_11comp_targetILNS1_3genE8ELNS1_11target_archE1030ELNS1_3gpuE2ELNS1_3repE0EEENS1_30default_config_static_selectorELNS0_4arch9wavefront6targetE1EEEvS12_.num_vgpr, 0
	.set _ZN7rocprim17ROCPRIM_400000_NS6detail17trampoline_kernelINS0_13select_configILj256ELj13ELNS0_17block_load_methodE3ELS4_3ELS4_3ELNS0_20block_scan_algorithmE0ELj4294967295EEENS1_25partition_config_selectorILNS1_17partition_subalgoE4EjNS0_10empty_typeEbEEZZNS1_14partition_implILS8_4ELb0ES6_15HIP_vector_typeIjLj2EENS0_17counting_iteratorIjlEEPS9_SG_NS0_5tupleIJPjSI_NS0_16reverse_iteratorISI_EEEEENSH_IJSG_SG_SG_EEES9_SI_JZNS1_25segmented_radix_sort_implINS0_14default_configELb0EPKaPaPKlPlN2at6native12_GLOBAL__N_18offset_tEEE10hipError_tPvRmT1_PNSt15iterator_traitsIS12_E10value_typeET2_T3_PNS13_IS18_E10value_typeET4_jRbjT5_S1E_jjP12ihipStream_tbEUljE_ZNSN_ISO_Lb0ESQ_SR_ST_SU_SY_EESZ_S10_S11_S12_S16_S17_S18_S1B_S1C_jS1D_jS1E_S1E_jjS1G_bEUljE0_EEESZ_S10_S11_S18_S1C_S1E_T6_T7_T9_mT8_S1G_bDpT10_ENKUlT_T0_E_clISt17integral_constantIbLb0EES1U_EEDaS1P_S1Q_EUlS1P_E_NS1_11comp_targetILNS1_3genE8ELNS1_11target_archE1030ELNS1_3gpuE2ELNS1_3repE0EEENS1_30default_config_static_selectorELNS0_4arch9wavefront6targetE1EEEvS12_.num_agpr, 0
	.set _ZN7rocprim17ROCPRIM_400000_NS6detail17trampoline_kernelINS0_13select_configILj256ELj13ELNS0_17block_load_methodE3ELS4_3ELS4_3ELNS0_20block_scan_algorithmE0ELj4294967295EEENS1_25partition_config_selectorILNS1_17partition_subalgoE4EjNS0_10empty_typeEbEEZZNS1_14partition_implILS8_4ELb0ES6_15HIP_vector_typeIjLj2EENS0_17counting_iteratorIjlEEPS9_SG_NS0_5tupleIJPjSI_NS0_16reverse_iteratorISI_EEEEENSH_IJSG_SG_SG_EEES9_SI_JZNS1_25segmented_radix_sort_implINS0_14default_configELb0EPKaPaPKlPlN2at6native12_GLOBAL__N_18offset_tEEE10hipError_tPvRmT1_PNSt15iterator_traitsIS12_E10value_typeET2_T3_PNS13_IS18_E10value_typeET4_jRbjT5_S1E_jjP12ihipStream_tbEUljE_ZNSN_ISO_Lb0ESQ_SR_ST_SU_SY_EESZ_S10_S11_S12_S16_S17_S18_S1B_S1C_jS1D_jS1E_S1E_jjS1G_bEUljE0_EEESZ_S10_S11_S18_S1C_S1E_T6_T7_T9_mT8_S1G_bDpT10_ENKUlT_T0_E_clISt17integral_constantIbLb0EES1U_EEDaS1P_S1Q_EUlS1P_E_NS1_11comp_targetILNS1_3genE8ELNS1_11target_archE1030ELNS1_3gpuE2ELNS1_3repE0EEENS1_30default_config_static_selectorELNS0_4arch9wavefront6targetE1EEEvS12_.numbered_sgpr, 0
	.set _ZN7rocprim17ROCPRIM_400000_NS6detail17trampoline_kernelINS0_13select_configILj256ELj13ELNS0_17block_load_methodE3ELS4_3ELS4_3ELNS0_20block_scan_algorithmE0ELj4294967295EEENS1_25partition_config_selectorILNS1_17partition_subalgoE4EjNS0_10empty_typeEbEEZZNS1_14partition_implILS8_4ELb0ES6_15HIP_vector_typeIjLj2EENS0_17counting_iteratorIjlEEPS9_SG_NS0_5tupleIJPjSI_NS0_16reverse_iteratorISI_EEEEENSH_IJSG_SG_SG_EEES9_SI_JZNS1_25segmented_radix_sort_implINS0_14default_configELb0EPKaPaPKlPlN2at6native12_GLOBAL__N_18offset_tEEE10hipError_tPvRmT1_PNSt15iterator_traitsIS12_E10value_typeET2_T3_PNS13_IS18_E10value_typeET4_jRbjT5_S1E_jjP12ihipStream_tbEUljE_ZNSN_ISO_Lb0ESQ_SR_ST_SU_SY_EESZ_S10_S11_S12_S16_S17_S18_S1B_S1C_jS1D_jS1E_S1E_jjS1G_bEUljE0_EEESZ_S10_S11_S18_S1C_S1E_T6_T7_T9_mT8_S1G_bDpT10_ENKUlT_T0_E_clISt17integral_constantIbLb0EES1U_EEDaS1P_S1Q_EUlS1P_E_NS1_11comp_targetILNS1_3genE8ELNS1_11target_archE1030ELNS1_3gpuE2ELNS1_3repE0EEENS1_30default_config_static_selectorELNS0_4arch9wavefront6targetE1EEEvS12_.num_named_barrier, 0
	.set _ZN7rocprim17ROCPRIM_400000_NS6detail17trampoline_kernelINS0_13select_configILj256ELj13ELNS0_17block_load_methodE3ELS4_3ELS4_3ELNS0_20block_scan_algorithmE0ELj4294967295EEENS1_25partition_config_selectorILNS1_17partition_subalgoE4EjNS0_10empty_typeEbEEZZNS1_14partition_implILS8_4ELb0ES6_15HIP_vector_typeIjLj2EENS0_17counting_iteratorIjlEEPS9_SG_NS0_5tupleIJPjSI_NS0_16reverse_iteratorISI_EEEEENSH_IJSG_SG_SG_EEES9_SI_JZNS1_25segmented_radix_sort_implINS0_14default_configELb0EPKaPaPKlPlN2at6native12_GLOBAL__N_18offset_tEEE10hipError_tPvRmT1_PNSt15iterator_traitsIS12_E10value_typeET2_T3_PNS13_IS18_E10value_typeET4_jRbjT5_S1E_jjP12ihipStream_tbEUljE_ZNSN_ISO_Lb0ESQ_SR_ST_SU_SY_EESZ_S10_S11_S12_S16_S17_S18_S1B_S1C_jS1D_jS1E_S1E_jjS1G_bEUljE0_EEESZ_S10_S11_S18_S1C_S1E_T6_T7_T9_mT8_S1G_bDpT10_ENKUlT_T0_E_clISt17integral_constantIbLb0EES1U_EEDaS1P_S1Q_EUlS1P_E_NS1_11comp_targetILNS1_3genE8ELNS1_11target_archE1030ELNS1_3gpuE2ELNS1_3repE0EEENS1_30default_config_static_selectorELNS0_4arch9wavefront6targetE1EEEvS12_.private_seg_size, 0
	.set _ZN7rocprim17ROCPRIM_400000_NS6detail17trampoline_kernelINS0_13select_configILj256ELj13ELNS0_17block_load_methodE3ELS4_3ELS4_3ELNS0_20block_scan_algorithmE0ELj4294967295EEENS1_25partition_config_selectorILNS1_17partition_subalgoE4EjNS0_10empty_typeEbEEZZNS1_14partition_implILS8_4ELb0ES6_15HIP_vector_typeIjLj2EENS0_17counting_iteratorIjlEEPS9_SG_NS0_5tupleIJPjSI_NS0_16reverse_iteratorISI_EEEEENSH_IJSG_SG_SG_EEES9_SI_JZNS1_25segmented_radix_sort_implINS0_14default_configELb0EPKaPaPKlPlN2at6native12_GLOBAL__N_18offset_tEEE10hipError_tPvRmT1_PNSt15iterator_traitsIS12_E10value_typeET2_T3_PNS13_IS18_E10value_typeET4_jRbjT5_S1E_jjP12ihipStream_tbEUljE_ZNSN_ISO_Lb0ESQ_SR_ST_SU_SY_EESZ_S10_S11_S12_S16_S17_S18_S1B_S1C_jS1D_jS1E_S1E_jjS1G_bEUljE0_EEESZ_S10_S11_S18_S1C_S1E_T6_T7_T9_mT8_S1G_bDpT10_ENKUlT_T0_E_clISt17integral_constantIbLb0EES1U_EEDaS1P_S1Q_EUlS1P_E_NS1_11comp_targetILNS1_3genE8ELNS1_11target_archE1030ELNS1_3gpuE2ELNS1_3repE0EEENS1_30default_config_static_selectorELNS0_4arch9wavefront6targetE1EEEvS12_.uses_vcc, 0
	.set _ZN7rocprim17ROCPRIM_400000_NS6detail17trampoline_kernelINS0_13select_configILj256ELj13ELNS0_17block_load_methodE3ELS4_3ELS4_3ELNS0_20block_scan_algorithmE0ELj4294967295EEENS1_25partition_config_selectorILNS1_17partition_subalgoE4EjNS0_10empty_typeEbEEZZNS1_14partition_implILS8_4ELb0ES6_15HIP_vector_typeIjLj2EENS0_17counting_iteratorIjlEEPS9_SG_NS0_5tupleIJPjSI_NS0_16reverse_iteratorISI_EEEEENSH_IJSG_SG_SG_EEES9_SI_JZNS1_25segmented_radix_sort_implINS0_14default_configELb0EPKaPaPKlPlN2at6native12_GLOBAL__N_18offset_tEEE10hipError_tPvRmT1_PNSt15iterator_traitsIS12_E10value_typeET2_T3_PNS13_IS18_E10value_typeET4_jRbjT5_S1E_jjP12ihipStream_tbEUljE_ZNSN_ISO_Lb0ESQ_SR_ST_SU_SY_EESZ_S10_S11_S12_S16_S17_S18_S1B_S1C_jS1D_jS1E_S1E_jjS1G_bEUljE0_EEESZ_S10_S11_S18_S1C_S1E_T6_T7_T9_mT8_S1G_bDpT10_ENKUlT_T0_E_clISt17integral_constantIbLb0EES1U_EEDaS1P_S1Q_EUlS1P_E_NS1_11comp_targetILNS1_3genE8ELNS1_11target_archE1030ELNS1_3gpuE2ELNS1_3repE0EEENS1_30default_config_static_selectorELNS0_4arch9wavefront6targetE1EEEvS12_.uses_flat_scratch, 0
	.set _ZN7rocprim17ROCPRIM_400000_NS6detail17trampoline_kernelINS0_13select_configILj256ELj13ELNS0_17block_load_methodE3ELS4_3ELS4_3ELNS0_20block_scan_algorithmE0ELj4294967295EEENS1_25partition_config_selectorILNS1_17partition_subalgoE4EjNS0_10empty_typeEbEEZZNS1_14partition_implILS8_4ELb0ES6_15HIP_vector_typeIjLj2EENS0_17counting_iteratorIjlEEPS9_SG_NS0_5tupleIJPjSI_NS0_16reverse_iteratorISI_EEEEENSH_IJSG_SG_SG_EEES9_SI_JZNS1_25segmented_radix_sort_implINS0_14default_configELb0EPKaPaPKlPlN2at6native12_GLOBAL__N_18offset_tEEE10hipError_tPvRmT1_PNSt15iterator_traitsIS12_E10value_typeET2_T3_PNS13_IS18_E10value_typeET4_jRbjT5_S1E_jjP12ihipStream_tbEUljE_ZNSN_ISO_Lb0ESQ_SR_ST_SU_SY_EESZ_S10_S11_S12_S16_S17_S18_S1B_S1C_jS1D_jS1E_S1E_jjS1G_bEUljE0_EEESZ_S10_S11_S18_S1C_S1E_T6_T7_T9_mT8_S1G_bDpT10_ENKUlT_T0_E_clISt17integral_constantIbLb0EES1U_EEDaS1P_S1Q_EUlS1P_E_NS1_11comp_targetILNS1_3genE8ELNS1_11target_archE1030ELNS1_3gpuE2ELNS1_3repE0EEENS1_30default_config_static_selectorELNS0_4arch9wavefront6targetE1EEEvS12_.has_dyn_sized_stack, 0
	.set _ZN7rocprim17ROCPRIM_400000_NS6detail17trampoline_kernelINS0_13select_configILj256ELj13ELNS0_17block_load_methodE3ELS4_3ELS4_3ELNS0_20block_scan_algorithmE0ELj4294967295EEENS1_25partition_config_selectorILNS1_17partition_subalgoE4EjNS0_10empty_typeEbEEZZNS1_14partition_implILS8_4ELb0ES6_15HIP_vector_typeIjLj2EENS0_17counting_iteratorIjlEEPS9_SG_NS0_5tupleIJPjSI_NS0_16reverse_iteratorISI_EEEEENSH_IJSG_SG_SG_EEES9_SI_JZNS1_25segmented_radix_sort_implINS0_14default_configELb0EPKaPaPKlPlN2at6native12_GLOBAL__N_18offset_tEEE10hipError_tPvRmT1_PNSt15iterator_traitsIS12_E10value_typeET2_T3_PNS13_IS18_E10value_typeET4_jRbjT5_S1E_jjP12ihipStream_tbEUljE_ZNSN_ISO_Lb0ESQ_SR_ST_SU_SY_EESZ_S10_S11_S12_S16_S17_S18_S1B_S1C_jS1D_jS1E_S1E_jjS1G_bEUljE0_EEESZ_S10_S11_S18_S1C_S1E_T6_T7_T9_mT8_S1G_bDpT10_ENKUlT_T0_E_clISt17integral_constantIbLb0EES1U_EEDaS1P_S1Q_EUlS1P_E_NS1_11comp_targetILNS1_3genE8ELNS1_11target_archE1030ELNS1_3gpuE2ELNS1_3repE0EEENS1_30default_config_static_selectorELNS0_4arch9wavefront6targetE1EEEvS12_.has_recursion, 0
	.set _ZN7rocprim17ROCPRIM_400000_NS6detail17trampoline_kernelINS0_13select_configILj256ELj13ELNS0_17block_load_methodE3ELS4_3ELS4_3ELNS0_20block_scan_algorithmE0ELj4294967295EEENS1_25partition_config_selectorILNS1_17partition_subalgoE4EjNS0_10empty_typeEbEEZZNS1_14partition_implILS8_4ELb0ES6_15HIP_vector_typeIjLj2EENS0_17counting_iteratorIjlEEPS9_SG_NS0_5tupleIJPjSI_NS0_16reverse_iteratorISI_EEEEENSH_IJSG_SG_SG_EEES9_SI_JZNS1_25segmented_radix_sort_implINS0_14default_configELb0EPKaPaPKlPlN2at6native12_GLOBAL__N_18offset_tEEE10hipError_tPvRmT1_PNSt15iterator_traitsIS12_E10value_typeET2_T3_PNS13_IS18_E10value_typeET4_jRbjT5_S1E_jjP12ihipStream_tbEUljE_ZNSN_ISO_Lb0ESQ_SR_ST_SU_SY_EESZ_S10_S11_S12_S16_S17_S18_S1B_S1C_jS1D_jS1E_S1E_jjS1G_bEUljE0_EEESZ_S10_S11_S18_S1C_S1E_T6_T7_T9_mT8_S1G_bDpT10_ENKUlT_T0_E_clISt17integral_constantIbLb0EES1U_EEDaS1P_S1Q_EUlS1P_E_NS1_11comp_targetILNS1_3genE8ELNS1_11target_archE1030ELNS1_3gpuE2ELNS1_3repE0EEENS1_30default_config_static_selectorELNS0_4arch9wavefront6targetE1EEEvS12_.has_indirect_call, 0
	.section	.AMDGPU.csdata,"",@progbits
; Kernel info:
; codeLenInByte = 0
; TotalNumSgprs: 4
; NumVgprs: 0
; ScratchSize: 0
; MemoryBound: 0
; FloatMode: 240
; IeeeMode: 1
; LDSByteSize: 0 bytes/workgroup (compile time only)
; SGPRBlocks: 0
; VGPRBlocks: 0
; NumSGPRsForWavesPerEU: 4
; NumVGPRsForWavesPerEU: 1
; Occupancy: 10
; WaveLimiterHint : 0
; COMPUTE_PGM_RSRC2:SCRATCH_EN: 0
; COMPUTE_PGM_RSRC2:USER_SGPR: 6
; COMPUTE_PGM_RSRC2:TRAP_HANDLER: 0
; COMPUTE_PGM_RSRC2:TGID_X_EN: 1
; COMPUTE_PGM_RSRC2:TGID_Y_EN: 0
; COMPUTE_PGM_RSRC2:TGID_Z_EN: 0
; COMPUTE_PGM_RSRC2:TIDIG_COMP_CNT: 0
	.section	.text._ZN7rocprim17ROCPRIM_400000_NS6detail17trampoline_kernelINS0_13select_configILj256ELj13ELNS0_17block_load_methodE3ELS4_3ELS4_3ELNS0_20block_scan_algorithmE0ELj4294967295EEENS1_25partition_config_selectorILNS1_17partition_subalgoE4EjNS0_10empty_typeEbEEZZNS1_14partition_implILS8_4ELb0ES6_15HIP_vector_typeIjLj2EENS0_17counting_iteratorIjlEEPS9_SG_NS0_5tupleIJPjSI_NS0_16reverse_iteratorISI_EEEEENSH_IJSG_SG_SG_EEES9_SI_JZNS1_25segmented_radix_sort_implINS0_14default_configELb0EPKaPaPKlPlN2at6native12_GLOBAL__N_18offset_tEEE10hipError_tPvRmT1_PNSt15iterator_traitsIS12_E10value_typeET2_T3_PNS13_IS18_E10value_typeET4_jRbjT5_S1E_jjP12ihipStream_tbEUljE_ZNSN_ISO_Lb0ESQ_SR_ST_SU_SY_EESZ_S10_S11_S12_S16_S17_S18_S1B_S1C_jS1D_jS1E_S1E_jjS1G_bEUljE0_EEESZ_S10_S11_S18_S1C_S1E_T6_T7_T9_mT8_S1G_bDpT10_ENKUlT_T0_E_clISt17integral_constantIbLb1EES1U_EEDaS1P_S1Q_EUlS1P_E_NS1_11comp_targetILNS1_3genE0ELNS1_11target_archE4294967295ELNS1_3gpuE0ELNS1_3repE0EEENS1_30default_config_static_selectorELNS0_4arch9wavefront6targetE1EEEvS12_,"axG",@progbits,_ZN7rocprim17ROCPRIM_400000_NS6detail17trampoline_kernelINS0_13select_configILj256ELj13ELNS0_17block_load_methodE3ELS4_3ELS4_3ELNS0_20block_scan_algorithmE0ELj4294967295EEENS1_25partition_config_selectorILNS1_17partition_subalgoE4EjNS0_10empty_typeEbEEZZNS1_14partition_implILS8_4ELb0ES6_15HIP_vector_typeIjLj2EENS0_17counting_iteratorIjlEEPS9_SG_NS0_5tupleIJPjSI_NS0_16reverse_iteratorISI_EEEEENSH_IJSG_SG_SG_EEES9_SI_JZNS1_25segmented_radix_sort_implINS0_14default_configELb0EPKaPaPKlPlN2at6native12_GLOBAL__N_18offset_tEEE10hipError_tPvRmT1_PNSt15iterator_traitsIS12_E10value_typeET2_T3_PNS13_IS18_E10value_typeET4_jRbjT5_S1E_jjP12ihipStream_tbEUljE_ZNSN_ISO_Lb0ESQ_SR_ST_SU_SY_EESZ_S10_S11_S12_S16_S17_S18_S1B_S1C_jS1D_jS1E_S1E_jjS1G_bEUljE0_EEESZ_S10_S11_S18_S1C_S1E_T6_T7_T9_mT8_S1G_bDpT10_ENKUlT_T0_E_clISt17integral_constantIbLb1EES1U_EEDaS1P_S1Q_EUlS1P_E_NS1_11comp_targetILNS1_3genE0ELNS1_11target_archE4294967295ELNS1_3gpuE0ELNS1_3repE0EEENS1_30default_config_static_selectorELNS0_4arch9wavefront6targetE1EEEvS12_,comdat
	.globl	_ZN7rocprim17ROCPRIM_400000_NS6detail17trampoline_kernelINS0_13select_configILj256ELj13ELNS0_17block_load_methodE3ELS4_3ELS4_3ELNS0_20block_scan_algorithmE0ELj4294967295EEENS1_25partition_config_selectorILNS1_17partition_subalgoE4EjNS0_10empty_typeEbEEZZNS1_14partition_implILS8_4ELb0ES6_15HIP_vector_typeIjLj2EENS0_17counting_iteratorIjlEEPS9_SG_NS0_5tupleIJPjSI_NS0_16reverse_iteratorISI_EEEEENSH_IJSG_SG_SG_EEES9_SI_JZNS1_25segmented_radix_sort_implINS0_14default_configELb0EPKaPaPKlPlN2at6native12_GLOBAL__N_18offset_tEEE10hipError_tPvRmT1_PNSt15iterator_traitsIS12_E10value_typeET2_T3_PNS13_IS18_E10value_typeET4_jRbjT5_S1E_jjP12ihipStream_tbEUljE_ZNSN_ISO_Lb0ESQ_SR_ST_SU_SY_EESZ_S10_S11_S12_S16_S17_S18_S1B_S1C_jS1D_jS1E_S1E_jjS1G_bEUljE0_EEESZ_S10_S11_S18_S1C_S1E_T6_T7_T9_mT8_S1G_bDpT10_ENKUlT_T0_E_clISt17integral_constantIbLb1EES1U_EEDaS1P_S1Q_EUlS1P_E_NS1_11comp_targetILNS1_3genE0ELNS1_11target_archE4294967295ELNS1_3gpuE0ELNS1_3repE0EEENS1_30default_config_static_selectorELNS0_4arch9wavefront6targetE1EEEvS12_ ; -- Begin function _ZN7rocprim17ROCPRIM_400000_NS6detail17trampoline_kernelINS0_13select_configILj256ELj13ELNS0_17block_load_methodE3ELS4_3ELS4_3ELNS0_20block_scan_algorithmE0ELj4294967295EEENS1_25partition_config_selectorILNS1_17partition_subalgoE4EjNS0_10empty_typeEbEEZZNS1_14partition_implILS8_4ELb0ES6_15HIP_vector_typeIjLj2EENS0_17counting_iteratorIjlEEPS9_SG_NS0_5tupleIJPjSI_NS0_16reverse_iteratorISI_EEEEENSH_IJSG_SG_SG_EEES9_SI_JZNS1_25segmented_radix_sort_implINS0_14default_configELb0EPKaPaPKlPlN2at6native12_GLOBAL__N_18offset_tEEE10hipError_tPvRmT1_PNSt15iterator_traitsIS12_E10value_typeET2_T3_PNS13_IS18_E10value_typeET4_jRbjT5_S1E_jjP12ihipStream_tbEUljE_ZNSN_ISO_Lb0ESQ_SR_ST_SU_SY_EESZ_S10_S11_S12_S16_S17_S18_S1B_S1C_jS1D_jS1E_S1E_jjS1G_bEUljE0_EEESZ_S10_S11_S18_S1C_S1E_T6_T7_T9_mT8_S1G_bDpT10_ENKUlT_T0_E_clISt17integral_constantIbLb1EES1U_EEDaS1P_S1Q_EUlS1P_E_NS1_11comp_targetILNS1_3genE0ELNS1_11target_archE4294967295ELNS1_3gpuE0ELNS1_3repE0EEENS1_30default_config_static_selectorELNS0_4arch9wavefront6targetE1EEEvS12_
	.p2align	8
	.type	_ZN7rocprim17ROCPRIM_400000_NS6detail17trampoline_kernelINS0_13select_configILj256ELj13ELNS0_17block_load_methodE3ELS4_3ELS4_3ELNS0_20block_scan_algorithmE0ELj4294967295EEENS1_25partition_config_selectorILNS1_17partition_subalgoE4EjNS0_10empty_typeEbEEZZNS1_14partition_implILS8_4ELb0ES6_15HIP_vector_typeIjLj2EENS0_17counting_iteratorIjlEEPS9_SG_NS0_5tupleIJPjSI_NS0_16reverse_iteratorISI_EEEEENSH_IJSG_SG_SG_EEES9_SI_JZNS1_25segmented_radix_sort_implINS0_14default_configELb0EPKaPaPKlPlN2at6native12_GLOBAL__N_18offset_tEEE10hipError_tPvRmT1_PNSt15iterator_traitsIS12_E10value_typeET2_T3_PNS13_IS18_E10value_typeET4_jRbjT5_S1E_jjP12ihipStream_tbEUljE_ZNSN_ISO_Lb0ESQ_SR_ST_SU_SY_EESZ_S10_S11_S12_S16_S17_S18_S1B_S1C_jS1D_jS1E_S1E_jjS1G_bEUljE0_EEESZ_S10_S11_S18_S1C_S1E_T6_T7_T9_mT8_S1G_bDpT10_ENKUlT_T0_E_clISt17integral_constantIbLb1EES1U_EEDaS1P_S1Q_EUlS1P_E_NS1_11comp_targetILNS1_3genE0ELNS1_11target_archE4294967295ELNS1_3gpuE0ELNS1_3repE0EEENS1_30default_config_static_selectorELNS0_4arch9wavefront6targetE1EEEvS12_,@function
_ZN7rocprim17ROCPRIM_400000_NS6detail17trampoline_kernelINS0_13select_configILj256ELj13ELNS0_17block_load_methodE3ELS4_3ELS4_3ELNS0_20block_scan_algorithmE0ELj4294967295EEENS1_25partition_config_selectorILNS1_17partition_subalgoE4EjNS0_10empty_typeEbEEZZNS1_14partition_implILS8_4ELb0ES6_15HIP_vector_typeIjLj2EENS0_17counting_iteratorIjlEEPS9_SG_NS0_5tupleIJPjSI_NS0_16reverse_iteratorISI_EEEEENSH_IJSG_SG_SG_EEES9_SI_JZNS1_25segmented_radix_sort_implINS0_14default_configELb0EPKaPaPKlPlN2at6native12_GLOBAL__N_18offset_tEEE10hipError_tPvRmT1_PNSt15iterator_traitsIS12_E10value_typeET2_T3_PNS13_IS18_E10value_typeET4_jRbjT5_S1E_jjP12ihipStream_tbEUljE_ZNSN_ISO_Lb0ESQ_SR_ST_SU_SY_EESZ_S10_S11_S12_S16_S17_S18_S1B_S1C_jS1D_jS1E_S1E_jjS1G_bEUljE0_EEESZ_S10_S11_S18_S1C_S1E_T6_T7_T9_mT8_S1G_bDpT10_ENKUlT_T0_E_clISt17integral_constantIbLb1EES1U_EEDaS1P_S1Q_EUlS1P_E_NS1_11comp_targetILNS1_3genE0ELNS1_11target_archE4294967295ELNS1_3gpuE0ELNS1_3repE0EEENS1_30default_config_static_selectorELNS0_4arch9wavefront6targetE1EEEvS12_: ; @_ZN7rocprim17ROCPRIM_400000_NS6detail17trampoline_kernelINS0_13select_configILj256ELj13ELNS0_17block_load_methodE3ELS4_3ELS4_3ELNS0_20block_scan_algorithmE0ELj4294967295EEENS1_25partition_config_selectorILNS1_17partition_subalgoE4EjNS0_10empty_typeEbEEZZNS1_14partition_implILS8_4ELb0ES6_15HIP_vector_typeIjLj2EENS0_17counting_iteratorIjlEEPS9_SG_NS0_5tupleIJPjSI_NS0_16reverse_iteratorISI_EEEEENSH_IJSG_SG_SG_EEES9_SI_JZNS1_25segmented_radix_sort_implINS0_14default_configELb0EPKaPaPKlPlN2at6native12_GLOBAL__N_18offset_tEEE10hipError_tPvRmT1_PNSt15iterator_traitsIS12_E10value_typeET2_T3_PNS13_IS18_E10value_typeET4_jRbjT5_S1E_jjP12ihipStream_tbEUljE_ZNSN_ISO_Lb0ESQ_SR_ST_SU_SY_EESZ_S10_S11_S12_S16_S17_S18_S1B_S1C_jS1D_jS1E_S1E_jjS1G_bEUljE0_EEESZ_S10_S11_S18_S1C_S1E_T6_T7_T9_mT8_S1G_bDpT10_ENKUlT_T0_E_clISt17integral_constantIbLb1EES1U_EEDaS1P_S1Q_EUlS1P_E_NS1_11comp_targetILNS1_3genE0ELNS1_11target_archE4294967295ELNS1_3gpuE0ELNS1_3repE0EEENS1_30default_config_static_selectorELNS0_4arch9wavefront6targetE1EEEvS12_
; %bb.0:
	.section	.rodata,"a",@progbits
	.p2align	6, 0x0
	.amdhsa_kernel _ZN7rocprim17ROCPRIM_400000_NS6detail17trampoline_kernelINS0_13select_configILj256ELj13ELNS0_17block_load_methodE3ELS4_3ELS4_3ELNS0_20block_scan_algorithmE0ELj4294967295EEENS1_25partition_config_selectorILNS1_17partition_subalgoE4EjNS0_10empty_typeEbEEZZNS1_14partition_implILS8_4ELb0ES6_15HIP_vector_typeIjLj2EENS0_17counting_iteratorIjlEEPS9_SG_NS0_5tupleIJPjSI_NS0_16reverse_iteratorISI_EEEEENSH_IJSG_SG_SG_EEES9_SI_JZNS1_25segmented_radix_sort_implINS0_14default_configELb0EPKaPaPKlPlN2at6native12_GLOBAL__N_18offset_tEEE10hipError_tPvRmT1_PNSt15iterator_traitsIS12_E10value_typeET2_T3_PNS13_IS18_E10value_typeET4_jRbjT5_S1E_jjP12ihipStream_tbEUljE_ZNSN_ISO_Lb0ESQ_SR_ST_SU_SY_EESZ_S10_S11_S12_S16_S17_S18_S1B_S1C_jS1D_jS1E_S1E_jjS1G_bEUljE0_EEESZ_S10_S11_S18_S1C_S1E_T6_T7_T9_mT8_S1G_bDpT10_ENKUlT_T0_E_clISt17integral_constantIbLb1EES1U_EEDaS1P_S1Q_EUlS1P_E_NS1_11comp_targetILNS1_3genE0ELNS1_11target_archE4294967295ELNS1_3gpuE0ELNS1_3repE0EEENS1_30default_config_static_selectorELNS0_4arch9wavefront6targetE1EEEvS12_
		.amdhsa_group_segment_fixed_size 0
		.amdhsa_private_segment_fixed_size 0
		.amdhsa_kernarg_size 184
		.amdhsa_user_sgpr_count 6
		.amdhsa_user_sgpr_private_segment_buffer 1
		.amdhsa_user_sgpr_dispatch_ptr 0
		.amdhsa_user_sgpr_queue_ptr 0
		.amdhsa_user_sgpr_kernarg_segment_ptr 1
		.amdhsa_user_sgpr_dispatch_id 0
		.amdhsa_user_sgpr_flat_scratch_init 0
		.amdhsa_user_sgpr_private_segment_size 0
		.amdhsa_uses_dynamic_stack 0
		.amdhsa_system_sgpr_private_segment_wavefront_offset 0
		.amdhsa_system_sgpr_workgroup_id_x 1
		.amdhsa_system_sgpr_workgroup_id_y 0
		.amdhsa_system_sgpr_workgroup_id_z 0
		.amdhsa_system_sgpr_workgroup_info 0
		.amdhsa_system_vgpr_workitem_id 0
		.amdhsa_next_free_vgpr 1
		.amdhsa_next_free_sgpr 0
		.amdhsa_reserve_vcc 0
		.amdhsa_reserve_flat_scratch 0
		.amdhsa_float_round_mode_32 0
		.amdhsa_float_round_mode_16_64 0
		.amdhsa_float_denorm_mode_32 3
		.amdhsa_float_denorm_mode_16_64 3
		.amdhsa_dx10_clamp 1
		.amdhsa_ieee_mode 1
		.amdhsa_fp16_overflow 0
		.amdhsa_exception_fp_ieee_invalid_op 0
		.amdhsa_exception_fp_denorm_src 0
		.amdhsa_exception_fp_ieee_div_zero 0
		.amdhsa_exception_fp_ieee_overflow 0
		.amdhsa_exception_fp_ieee_underflow 0
		.amdhsa_exception_fp_ieee_inexact 0
		.amdhsa_exception_int_div_zero 0
	.end_amdhsa_kernel
	.section	.text._ZN7rocprim17ROCPRIM_400000_NS6detail17trampoline_kernelINS0_13select_configILj256ELj13ELNS0_17block_load_methodE3ELS4_3ELS4_3ELNS0_20block_scan_algorithmE0ELj4294967295EEENS1_25partition_config_selectorILNS1_17partition_subalgoE4EjNS0_10empty_typeEbEEZZNS1_14partition_implILS8_4ELb0ES6_15HIP_vector_typeIjLj2EENS0_17counting_iteratorIjlEEPS9_SG_NS0_5tupleIJPjSI_NS0_16reverse_iteratorISI_EEEEENSH_IJSG_SG_SG_EEES9_SI_JZNS1_25segmented_radix_sort_implINS0_14default_configELb0EPKaPaPKlPlN2at6native12_GLOBAL__N_18offset_tEEE10hipError_tPvRmT1_PNSt15iterator_traitsIS12_E10value_typeET2_T3_PNS13_IS18_E10value_typeET4_jRbjT5_S1E_jjP12ihipStream_tbEUljE_ZNSN_ISO_Lb0ESQ_SR_ST_SU_SY_EESZ_S10_S11_S12_S16_S17_S18_S1B_S1C_jS1D_jS1E_S1E_jjS1G_bEUljE0_EEESZ_S10_S11_S18_S1C_S1E_T6_T7_T9_mT8_S1G_bDpT10_ENKUlT_T0_E_clISt17integral_constantIbLb1EES1U_EEDaS1P_S1Q_EUlS1P_E_NS1_11comp_targetILNS1_3genE0ELNS1_11target_archE4294967295ELNS1_3gpuE0ELNS1_3repE0EEENS1_30default_config_static_selectorELNS0_4arch9wavefront6targetE1EEEvS12_,"axG",@progbits,_ZN7rocprim17ROCPRIM_400000_NS6detail17trampoline_kernelINS0_13select_configILj256ELj13ELNS0_17block_load_methodE3ELS4_3ELS4_3ELNS0_20block_scan_algorithmE0ELj4294967295EEENS1_25partition_config_selectorILNS1_17partition_subalgoE4EjNS0_10empty_typeEbEEZZNS1_14partition_implILS8_4ELb0ES6_15HIP_vector_typeIjLj2EENS0_17counting_iteratorIjlEEPS9_SG_NS0_5tupleIJPjSI_NS0_16reverse_iteratorISI_EEEEENSH_IJSG_SG_SG_EEES9_SI_JZNS1_25segmented_radix_sort_implINS0_14default_configELb0EPKaPaPKlPlN2at6native12_GLOBAL__N_18offset_tEEE10hipError_tPvRmT1_PNSt15iterator_traitsIS12_E10value_typeET2_T3_PNS13_IS18_E10value_typeET4_jRbjT5_S1E_jjP12ihipStream_tbEUljE_ZNSN_ISO_Lb0ESQ_SR_ST_SU_SY_EESZ_S10_S11_S12_S16_S17_S18_S1B_S1C_jS1D_jS1E_S1E_jjS1G_bEUljE0_EEESZ_S10_S11_S18_S1C_S1E_T6_T7_T9_mT8_S1G_bDpT10_ENKUlT_T0_E_clISt17integral_constantIbLb1EES1U_EEDaS1P_S1Q_EUlS1P_E_NS1_11comp_targetILNS1_3genE0ELNS1_11target_archE4294967295ELNS1_3gpuE0ELNS1_3repE0EEENS1_30default_config_static_selectorELNS0_4arch9wavefront6targetE1EEEvS12_,comdat
.Lfunc_end337:
	.size	_ZN7rocprim17ROCPRIM_400000_NS6detail17trampoline_kernelINS0_13select_configILj256ELj13ELNS0_17block_load_methodE3ELS4_3ELS4_3ELNS0_20block_scan_algorithmE0ELj4294967295EEENS1_25partition_config_selectorILNS1_17partition_subalgoE4EjNS0_10empty_typeEbEEZZNS1_14partition_implILS8_4ELb0ES6_15HIP_vector_typeIjLj2EENS0_17counting_iteratorIjlEEPS9_SG_NS0_5tupleIJPjSI_NS0_16reverse_iteratorISI_EEEEENSH_IJSG_SG_SG_EEES9_SI_JZNS1_25segmented_radix_sort_implINS0_14default_configELb0EPKaPaPKlPlN2at6native12_GLOBAL__N_18offset_tEEE10hipError_tPvRmT1_PNSt15iterator_traitsIS12_E10value_typeET2_T3_PNS13_IS18_E10value_typeET4_jRbjT5_S1E_jjP12ihipStream_tbEUljE_ZNSN_ISO_Lb0ESQ_SR_ST_SU_SY_EESZ_S10_S11_S12_S16_S17_S18_S1B_S1C_jS1D_jS1E_S1E_jjS1G_bEUljE0_EEESZ_S10_S11_S18_S1C_S1E_T6_T7_T9_mT8_S1G_bDpT10_ENKUlT_T0_E_clISt17integral_constantIbLb1EES1U_EEDaS1P_S1Q_EUlS1P_E_NS1_11comp_targetILNS1_3genE0ELNS1_11target_archE4294967295ELNS1_3gpuE0ELNS1_3repE0EEENS1_30default_config_static_selectorELNS0_4arch9wavefront6targetE1EEEvS12_, .Lfunc_end337-_ZN7rocprim17ROCPRIM_400000_NS6detail17trampoline_kernelINS0_13select_configILj256ELj13ELNS0_17block_load_methodE3ELS4_3ELS4_3ELNS0_20block_scan_algorithmE0ELj4294967295EEENS1_25partition_config_selectorILNS1_17partition_subalgoE4EjNS0_10empty_typeEbEEZZNS1_14partition_implILS8_4ELb0ES6_15HIP_vector_typeIjLj2EENS0_17counting_iteratorIjlEEPS9_SG_NS0_5tupleIJPjSI_NS0_16reverse_iteratorISI_EEEEENSH_IJSG_SG_SG_EEES9_SI_JZNS1_25segmented_radix_sort_implINS0_14default_configELb0EPKaPaPKlPlN2at6native12_GLOBAL__N_18offset_tEEE10hipError_tPvRmT1_PNSt15iterator_traitsIS12_E10value_typeET2_T3_PNS13_IS18_E10value_typeET4_jRbjT5_S1E_jjP12ihipStream_tbEUljE_ZNSN_ISO_Lb0ESQ_SR_ST_SU_SY_EESZ_S10_S11_S12_S16_S17_S18_S1B_S1C_jS1D_jS1E_S1E_jjS1G_bEUljE0_EEESZ_S10_S11_S18_S1C_S1E_T6_T7_T9_mT8_S1G_bDpT10_ENKUlT_T0_E_clISt17integral_constantIbLb1EES1U_EEDaS1P_S1Q_EUlS1P_E_NS1_11comp_targetILNS1_3genE0ELNS1_11target_archE4294967295ELNS1_3gpuE0ELNS1_3repE0EEENS1_30default_config_static_selectorELNS0_4arch9wavefront6targetE1EEEvS12_
                                        ; -- End function
	.set _ZN7rocprim17ROCPRIM_400000_NS6detail17trampoline_kernelINS0_13select_configILj256ELj13ELNS0_17block_load_methodE3ELS4_3ELS4_3ELNS0_20block_scan_algorithmE0ELj4294967295EEENS1_25partition_config_selectorILNS1_17partition_subalgoE4EjNS0_10empty_typeEbEEZZNS1_14partition_implILS8_4ELb0ES6_15HIP_vector_typeIjLj2EENS0_17counting_iteratorIjlEEPS9_SG_NS0_5tupleIJPjSI_NS0_16reverse_iteratorISI_EEEEENSH_IJSG_SG_SG_EEES9_SI_JZNS1_25segmented_radix_sort_implINS0_14default_configELb0EPKaPaPKlPlN2at6native12_GLOBAL__N_18offset_tEEE10hipError_tPvRmT1_PNSt15iterator_traitsIS12_E10value_typeET2_T3_PNS13_IS18_E10value_typeET4_jRbjT5_S1E_jjP12ihipStream_tbEUljE_ZNSN_ISO_Lb0ESQ_SR_ST_SU_SY_EESZ_S10_S11_S12_S16_S17_S18_S1B_S1C_jS1D_jS1E_S1E_jjS1G_bEUljE0_EEESZ_S10_S11_S18_S1C_S1E_T6_T7_T9_mT8_S1G_bDpT10_ENKUlT_T0_E_clISt17integral_constantIbLb1EES1U_EEDaS1P_S1Q_EUlS1P_E_NS1_11comp_targetILNS1_3genE0ELNS1_11target_archE4294967295ELNS1_3gpuE0ELNS1_3repE0EEENS1_30default_config_static_selectorELNS0_4arch9wavefront6targetE1EEEvS12_.num_vgpr, 0
	.set _ZN7rocprim17ROCPRIM_400000_NS6detail17trampoline_kernelINS0_13select_configILj256ELj13ELNS0_17block_load_methodE3ELS4_3ELS4_3ELNS0_20block_scan_algorithmE0ELj4294967295EEENS1_25partition_config_selectorILNS1_17partition_subalgoE4EjNS0_10empty_typeEbEEZZNS1_14partition_implILS8_4ELb0ES6_15HIP_vector_typeIjLj2EENS0_17counting_iteratorIjlEEPS9_SG_NS0_5tupleIJPjSI_NS0_16reverse_iteratorISI_EEEEENSH_IJSG_SG_SG_EEES9_SI_JZNS1_25segmented_radix_sort_implINS0_14default_configELb0EPKaPaPKlPlN2at6native12_GLOBAL__N_18offset_tEEE10hipError_tPvRmT1_PNSt15iterator_traitsIS12_E10value_typeET2_T3_PNS13_IS18_E10value_typeET4_jRbjT5_S1E_jjP12ihipStream_tbEUljE_ZNSN_ISO_Lb0ESQ_SR_ST_SU_SY_EESZ_S10_S11_S12_S16_S17_S18_S1B_S1C_jS1D_jS1E_S1E_jjS1G_bEUljE0_EEESZ_S10_S11_S18_S1C_S1E_T6_T7_T9_mT8_S1G_bDpT10_ENKUlT_T0_E_clISt17integral_constantIbLb1EES1U_EEDaS1P_S1Q_EUlS1P_E_NS1_11comp_targetILNS1_3genE0ELNS1_11target_archE4294967295ELNS1_3gpuE0ELNS1_3repE0EEENS1_30default_config_static_selectorELNS0_4arch9wavefront6targetE1EEEvS12_.num_agpr, 0
	.set _ZN7rocprim17ROCPRIM_400000_NS6detail17trampoline_kernelINS0_13select_configILj256ELj13ELNS0_17block_load_methodE3ELS4_3ELS4_3ELNS0_20block_scan_algorithmE0ELj4294967295EEENS1_25partition_config_selectorILNS1_17partition_subalgoE4EjNS0_10empty_typeEbEEZZNS1_14partition_implILS8_4ELb0ES6_15HIP_vector_typeIjLj2EENS0_17counting_iteratorIjlEEPS9_SG_NS0_5tupleIJPjSI_NS0_16reverse_iteratorISI_EEEEENSH_IJSG_SG_SG_EEES9_SI_JZNS1_25segmented_radix_sort_implINS0_14default_configELb0EPKaPaPKlPlN2at6native12_GLOBAL__N_18offset_tEEE10hipError_tPvRmT1_PNSt15iterator_traitsIS12_E10value_typeET2_T3_PNS13_IS18_E10value_typeET4_jRbjT5_S1E_jjP12ihipStream_tbEUljE_ZNSN_ISO_Lb0ESQ_SR_ST_SU_SY_EESZ_S10_S11_S12_S16_S17_S18_S1B_S1C_jS1D_jS1E_S1E_jjS1G_bEUljE0_EEESZ_S10_S11_S18_S1C_S1E_T6_T7_T9_mT8_S1G_bDpT10_ENKUlT_T0_E_clISt17integral_constantIbLb1EES1U_EEDaS1P_S1Q_EUlS1P_E_NS1_11comp_targetILNS1_3genE0ELNS1_11target_archE4294967295ELNS1_3gpuE0ELNS1_3repE0EEENS1_30default_config_static_selectorELNS0_4arch9wavefront6targetE1EEEvS12_.numbered_sgpr, 0
	.set _ZN7rocprim17ROCPRIM_400000_NS6detail17trampoline_kernelINS0_13select_configILj256ELj13ELNS0_17block_load_methodE3ELS4_3ELS4_3ELNS0_20block_scan_algorithmE0ELj4294967295EEENS1_25partition_config_selectorILNS1_17partition_subalgoE4EjNS0_10empty_typeEbEEZZNS1_14partition_implILS8_4ELb0ES6_15HIP_vector_typeIjLj2EENS0_17counting_iteratorIjlEEPS9_SG_NS0_5tupleIJPjSI_NS0_16reverse_iteratorISI_EEEEENSH_IJSG_SG_SG_EEES9_SI_JZNS1_25segmented_radix_sort_implINS0_14default_configELb0EPKaPaPKlPlN2at6native12_GLOBAL__N_18offset_tEEE10hipError_tPvRmT1_PNSt15iterator_traitsIS12_E10value_typeET2_T3_PNS13_IS18_E10value_typeET4_jRbjT5_S1E_jjP12ihipStream_tbEUljE_ZNSN_ISO_Lb0ESQ_SR_ST_SU_SY_EESZ_S10_S11_S12_S16_S17_S18_S1B_S1C_jS1D_jS1E_S1E_jjS1G_bEUljE0_EEESZ_S10_S11_S18_S1C_S1E_T6_T7_T9_mT8_S1G_bDpT10_ENKUlT_T0_E_clISt17integral_constantIbLb1EES1U_EEDaS1P_S1Q_EUlS1P_E_NS1_11comp_targetILNS1_3genE0ELNS1_11target_archE4294967295ELNS1_3gpuE0ELNS1_3repE0EEENS1_30default_config_static_selectorELNS0_4arch9wavefront6targetE1EEEvS12_.num_named_barrier, 0
	.set _ZN7rocprim17ROCPRIM_400000_NS6detail17trampoline_kernelINS0_13select_configILj256ELj13ELNS0_17block_load_methodE3ELS4_3ELS4_3ELNS0_20block_scan_algorithmE0ELj4294967295EEENS1_25partition_config_selectorILNS1_17partition_subalgoE4EjNS0_10empty_typeEbEEZZNS1_14partition_implILS8_4ELb0ES6_15HIP_vector_typeIjLj2EENS0_17counting_iteratorIjlEEPS9_SG_NS0_5tupleIJPjSI_NS0_16reverse_iteratorISI_EEEEENSH_IJSG_SG_SG_EEES9_SI_JZNS1_25segmented_radix_sort_implINS0_14default_configELb0EPKaPaPKlPlN2at6native12_GLOBAL__N_18offset_tEEE10hipError_tPvRmT1_PNSt15iterator_traitsIS12_E10value_typeET2_T3_PNS13_IS18_E10value_typeET4_jRbjT5_S1E_jjP12ihipStream_tbEUljE_ZNSN_ISO_Lb0ESQ_SR_ST_SU_SY_EESZ_S10_S11_S12_S16_S17_S18_S1B_S1C_jS1D_jS1E_S1E_jjS1G_bEUljE0_EEESZ_S10_S11_S18_S1C_S1E_T6_T7_T9_mT8_S1G_bDpT10_ENKUlT_T0_E_clISt17integral_constantIbLb1EES1U_EEDaS1P_S1Q_EUlS1P_E_NS1_11comp_targetILNS1_3genE0ELNS1_11target_archE4294967295ELNS1_3gpuE0ELNS1_3repE0EEENS1_30default_config_static_selectorELNS0_4arch9wavefront6targetE1EEEvS12_.private_seg_size, 0
	.set _ZN7rocprim17ROCPRIM_400000_NS6detail17trampoline_kernelINS0_13select_configILj256ELj13ELNS0_17block_load_methodE3ELS4_3ELS4_3ELNS0_20block_scan_algorithmE0ELj4294967295EEENS1_25partition_config_selectorILNS1_17partition_subalgoE4EjNS0_10empty_typeEbEEZZNS1_14partition_implILS8_4ELb0ES6_15HIP_vector_typeIjLj2EENS0_17counting_iteratorIjlEEPS9_SG_NS0_5tupleIJPjSI_NS0_16reverse_iteratorISI_EEEEENSH_IJSG_SG_SG_EEES9_SI_JZNS1_25segmented_radix_sort_implINS0_14default_configELb0EPKaPaPKlPlN2at6native12_GLOBAL__N_18offset_tEEE10hipError_tPvRmT1_PNSt15iterator_traitsIS12_E10value_typeET2_T3_PNS13_IS18_E10value_typeET4_jRbjT5_S1E_jjP12ihipStream_tbEUljE_ZNSN_ISO_Lb0ESQ_SR_ST_SU_SY_EESZ_S10_S11_S12_S16_S17_S18_S1B_S1C_jS1D_jS1E_S1E_jjS1G_bEUljE0_EEESZ_S10_S11_S18_S1C_S1E_T6_T7_T9_mT8_S1G_bDpT10_ENKUlT_T0_E_clISt17integral_constantIbLb1EES1U_EEDaS1P_S1Q_EUlS1P_E_NS1_11comp_targetILNS1_3genE0ELNS1_11target_archE4294967295ELNS1_3gpuE0ELNS1_3repE0EEENS1_30default_config_static_selectorELNS0_4arch9wavefront6targetE1EEEvS12_.uses_vcc, 0
	.set _ZN7rocprim17ROCPRIM_400000_NS6detail17trampoline_kernelINS0_13select_configILj256ELj13ELNS0_17block_load_methodE3ELS4_3ELS4_3ELNS0_20block_scan_algorithmE0ELj4294967295EEENS1_25partition_config_selectorILNS1_17partition_subalgoE4EjNS0_10empty_typeEbEEZZNS1_14partition_implILS8_4ELb0ES6_15HIP_vector_typeIjLj2EENS0_17counting_iteratorIjlEEPS9_SG_NS0_5tupleIJPjSI_NS0_16reverse_iteratorISI_EEEEENSH_IJSG_SG_SG_EEES9_SI_JZNS1_25segmented_radix_sort_implINS0_14default_configELb0EPKaPaPKlPlN2at6native12_GLOBAL__N_18offset_tEEE10hipError_tPvRmT1_PNSt15iterator_traitsIS12_E10value_typeET2_T3_PNS13_IS18_E10value_typeET4_jRbjT5_S1E_jjP12ihipStream_tbEUljE_ZNSN_ISO_Lb0ESQ_SR_ST_SU_SY_EESZ_S10_S11_S12_S16_S17_S18_S1B_S1C_jS1D_jS1E_S1E_jjS1G_bEUljE0_EEESZ_S10_S11_S18_S1C_S1E_T6_T7_T9_mT8_S1G_bDpT10_ENKUlT_T0_E_clISt17integral_constantIbLb1EES1U_EEDaS1P_S1Q_EUlS1P_E_NS1_11comp_targetILNS1_3genE0ELNS1_11target_archE4294967295ELNS1_3gpuE0ELNS1_3repE0EEENS1_30default_config_static_selectorELNS0_4arch9wavefront6targetE1EEEvS12_.uses_flat_scratch, 0
	.set _ZN7rocprim17ROCPRIM_400000_NS6detail17trampoline_kernelINS0_13select_configILj256ELj13ELNS0_17block_load_methodE3ELS4_3ELS4_3ELNS0_20block_scan_algorithmE0ELj4294967295EEENS1_25partition_config_selectorILNS1_17partition_subalgoE4EjNS0_10empty_typeEbEEZZNS1_14partition_implILS8_4ELb0ES6_15HIP_vector_typeIjLj2EENS0_17counting_iteratorIjlEEPS9_SG_NS0_5tupleIJPjSI_NS0_16reverse_iteratorISI_EEEEENSH_IJSG_SG_SG_EEES9_SI_JZNS1_25segmented_radix_sort_implINS0_14default_configELb0EPKaPaPKlPlN2at6native12_GLOBAL__N_18offset_tEEE10hipError_tPvRmT1_PNSt15iterator_traitsIS12_E10value_typeET2_T3_PNS13_IS18_E10value_typeET4_jRbjT5_S1E_jjP12ihipStream_tbEUljE_ZNSN_ISO_Lb0ESQ_SR_ST_SU_SY_EESZ_S10_S11_S12_S16_S17_S18_S1B_S1C_jS1D_jS1E_S1E_jjS1G_bEUljE0_EEESZ_S10_S11_S18_S1C_S1E_T6_T7_T9_mT8_S1G_bDpT10_ENKUlT_T0_E_clISt17integral_constantIbLb1EES1U_EEDaS1P_S1Q_EUlS1P_E_NS1_11comp_targetILNS1_3genE0ELNS1_11target_archE4294967295ELNS1_3gpuE0ELNS1_3repE0EEENS1_30default_config_static_selectorELNS0_4arch9wavefront6targetE1EEEvS12_.has_dyn_sized_stack, 0
	.set _ZN7rocprim17ROCPRIM_400000_NS6detail17trampoline_kernelINS0_13select_configILj256ELj13ELNS0_17block_load_methodE3ELS4_3ELS4_3ELNS0_20block_scan_algorithmE0ELj4294967295EEENS1_25partition_config_selectorILNS1_17partition_subalgoE4EjNS0_10empty_typeEbEEZZNS1_14partition_implILS8_4ELb0ES6_15HIP_vector_typeIjLj2EENS0_17counting_iteratorIjlEEPS9_SG_NS0_5tupleIJPjSI_NS0_16reverse_iteratorISI_EEEEENSH_IJSG_SG_SG_EEES9_SI_JZNS1_25segmented_radix_sort_implINS0_14default_configELb0EPKaPaPKlPlN2at6native12_GLOBAL__N_18offset_tEEE10hipError_tPvRmT1_PNSt15iterator_traitsIS12_E10value_typeET2_T3_PNS13_IS18_E10value_typeET4_jRbjT5_S1E_jjP12ihipStream_tbEUljE_ZNSN_ISO_Lb0ESQ_SR_ST_SU_SY_EESZ_S10_S11_S12_S16_S17_S18_S1B_S1C_jS1D_jS1E_S1E_jjS1G_bEUljE0_EEESZ_S10_S11_S18_S1C_S1E_T6_T7_T9_mT8_S1G_bDpT10_ENKUlT_T0_E_clISt17integral_constantIbLb1EES1U_EEDaS1P_S1Q_EUlS1P_E_NS1_11comp_targetILNS1_3genE0ELNS1_11target_archE4294967295ELNS1_3gpuE0ELNS1_3repE0EEENS1_30default_config_static_selectorELNS0_4arch9wavefront6targetE1EEEvS12_.has_recursion, 0
	.set _ZN7rocprim17ROCPRIM_400000_NS6detail17trampoline_kernelINS0_13select_configILj256ELj13ELNS0_17block_load_methodE3ELS4_3ELS4_3ELNS0_20block_scan_algorithmE0ELj4294967295EEENS1_25partition_config_selectorILNS1_17partition_subalgoE4EjNS0_10empty_typeEbEEZZNS1_14partition_implILS8_4ELb0ES6_15HIP_vector_typeIjLj2EENS0_17counting_iteratorIjlEEPS9_SG_NS0_5tupleIJPjSI_NS0_16reverse_iteratorISI_EEEEENSH_IJSG_SG_SG_EEES9_SI_JZNS1_25segmented_radix_sort_implINS0_14default_configELb0EPKaPaPKlPlN2at6native12_GLOBAL__N_18offset_tEEE10hipError_tPvRmT1_PNSt15iterator_traitsIS12_E10value_typeET2_T3_PNS13_IS18_E10value_typeET4_jRbjT5_S1E_jjP12ihipStream_tbEUljE_ZNSN_ISO_Lb0ESQ_SR_ST_SU_SY_EESZ_S10_S11_S12_S16_S17_S18_S1B_S1C_jS1D_jS1E_S1E_jjS1G_bEUljE0_EEESZ_S10_S11_S18_S1C_S1E_T6_T7_T9_mT8_S1G_bDpT10_ENKUlT_T0_E_clISt17integral_constantIbLb1EES1U_EEDaS1P_S1Q_EUlS1P_E_NS1_11comp_targetILNS1_3genE0ELNS1_11target_archE4294967295ELNS1_3gpuE0ELNS1_3repE0EEENS1_30default_config_static_selectorELNS0_4arch9wavefront6targetE1EEEvS12_.has_indirect_call, 0
	.section	.AMDGPU.csdata,"",@progbits
; Kernel info:
; codeLenInByte = 0
; TotalNumSgprs: 4
; NumVgprs: 0
; ScratchSize: 0
; MemoryBound: 0
; FloatMode: 240
; IeeeMode: 1
; LDSByteSize: 0 bytes/workgroup (compile time only)
; SGPRBlocks: 0
; VGPRBlocks: 0
; NumSGPRsForWavesPerEU: 4
; NumVGPRsForWavesPerEU: 1
; Occupancy: 10
; WaveLimiterHint : 0
; COMPUTE_PGM_RSRC2:SCRATCH_EN: 0
; COMPUTE_PGM_RSRC2:USER_SGPR: 6
; COMPUTE_PGM_RSRC2:TRAP_HANDLER: 0
; COMPUTE_PGM_RSRC2:TGID_X_EN: 1
; COMPUTE_PGM_RSRC2:TGID_Y_EN: 0
; COMPUTE_PGM_RSRC2:TGID_Z_EN: 0
; COMPUTE_PGM_RSRC2:TIDIG_COMP_CNT: 0
	.section	.text._ZN7rocprim17ROCPRIM_400000_NS6detail17trampoline_kernelINS0_13select_configILj256ELj13ELNS0_17block_load_methodE3ELS4_3ELS4_3ELNS0_20block_scan_algorithmE0ELj4294967295EEENS1_25partition_config_selectorILNS1_17partition_subalgoE4EjNS0_10empty_typeEbEEZZNS1_14partition_implILS8_4ELb0ES6_15HIP_vector_typeIjLj2EENS0_17counting_iteratorIjlEEPS9_SG_NS0_5tupleIJPjSI_NS0_16reverse_iteratorISI_EEEEENSH_IJSG_SG_SG_EEES9_SI_JZNS1_25segmented_radix_sort_implINS0_14default_configELb0EPKaPaPKlPlN2at6native12_GLOBAL__N_18offset_tEEE10hipError_tPvRmT1_PNSt15iterator_traitsIS12_E10value_typeET2_T3_PNS13_IS18_E10value_typeET4_jRbjT5_S1E_jjP12ihipStream_tbEUljE_ZNSN_ISO_Lb0ESQ_SR_ST_SU_SY_EESZ_S10_S11_S12_S16_S17_S18_S1B_S1C_jS1D_jS1E_S1E_jjS1G_bEUljE0_EEESZ_S10_S11_S18_S1C_S1E_T6_T7_T9_mT8_S1G_bDpT10_ENKUlT_T0_E_clISt17integral_constantIbLb1EES1U_EEDaS1P_S1Q_EUlS1P_E_NS1_11comp_targetILNS1_3genE5ELNS1_11target_archE942ELNS1_3gpuE9ELNS1_3repE0EEENS1_30default_config_static_selectorELNS0_4arch9wavefront6targetE1EEEvS12_,"axG",@progbits,_ZN7rocprim17ROCPRIM_400000_NS6detail17trampoline_kernelINS0_13select_configILj256ELj13ELNS0_17block_load_methodE3ELS4_3ELS4_3ELNS0_20block_scan_algorithmE0ELj4294967295EEENS1_25partition_config_selectorILNS1_17partition_subalgoE4EjNS0_10empty_typeEbEEZZNS1_14partition_implILS8_4ELb0ES6_15HIP_vector_typeIjLj2EENS0_17counting_iteratorIjlEEPS9_SG_NS0_5tupleIJPjSI_NS0_16reverse_iteratorISI_EEEEENSH_IJSG_SG_SG_EEES9_SI_JZNS1_25segmented_radix_sort_implINS0_14default_configELb0EPKaPaPKlPlN2at6native12_GLOBAL__N_18offset_tEEE10hipError_tPvRmT1_PNSt15iterator_traitsIS12_E10value_typeET2_T3_PNS13_IS18_E10value_typeET4_jRbjT5_S1E_jjP12ihipStream_tbEUljE_ZNSN_ISO_Lb0ESQ_SR_ST_SU_SY_EESZ_S10_S11_S12_S16_S17_S18_S1B_S1C_jS1D_jS1E_S1E_jjS1G_bEUljE0_EEESZ_S10_S11_S18_S1C_S1E_T6_T7_T9_mT8_S1G_bDpT10_ENKUlT_T0_E_clISt17integral_constantIbLb1EES1U_EEDaS1P_S1Q_EUlS1P_E_NS1_11comp_targetILNS1_3genE5ELNS1_11target_archE942ELNS1_3gpuE9ELNS1_3repE0EEENS1_30default_config_static_selectorELNS0_4arch9wavefront6targetE1EEEvS12_,comdat
	.globl	_ZN7rocprim17ROCPRIM_400000_NS6detail17trampoline_kernelINS0_13select_configILj256ELj13ELNS0_17block_load_methodE3ELS4_3ELS4_3ELNS0_20block_scan_algorithmE0ELj4294967295EEENS1_25partition_config_selectorILNS1_17partition_subalgoE4EjNS0_10empty_typeEbEEZZNS1_14partition_implILS8_4ELb0ES6_15HIP_vector_typeIjLj2EENS0_17counting_iteratorIjlEEPS9_SG_NS0_5tupleIJPjSI_NS0_16reverse_iteratorISI_EEEEENSH_IJSG_SG_SG_EEES9_SI_JZNS1_25segmented_radix_sort_implINS0_14default_configELb0EPKaPaPKlPlN2at6native12_GLOBAL__N_18offset_tEEE10hipError_tPvRmT1_PNSt15iterator_traitsIS12_E10value_typeET2_T3_PNS13_IS18_E10value_typeET4_jRbjT5_S1E_jjP12ihipStream_tbEUljE_ZNSN_ISO_Lb0ESQ_SR_ST_SU_SY_EESZ_S10_S11_S12_S16_S17_S18_S1B_S1C_jS1D_jS1E_S1E_jjS1G_bEUljE0_EEESZ_S10_S11_S18_S1C_S1E_T6_T7_T9_mT8_S1G_bDpT10_ENKUlT_T0_E_clISt17integral_constantIbLb1EES1U_EEDaS1P_S1Q_EUlS1P_E_NS1_11comp_targetILNS1_3genE5ELNS1_11target_archE942ELNS1_3gpuE9ELNS1_3repE0EEENS1_30default_config_static_selectorELNS0_4arch9wavefront6targetE1EEEvS12_ ; -- Begin function _ZN7rocprim17ROCPRIM_400000_NS6detail17trampoline_kernelINS0_13select_configILj256ELj13ELNS0_17block_load_methodE3ELS4_3ELS4_3ELNS0_20block_scan_algorithmE0ELj4294967295EEENS1_25partition_config_selectorILNS1_17partition_subalgoE4EjNS0_10empty_typeEbEEZZNS1_14partition_implILS8_4ELb0ES6_15HIP_vector_typeIjLj2EENS0_17counting_iteratorIjlEEPS9_SG_NS0_5tupleIJPjSI_NS0_16reverse_iteratorISI_EEEEENSH_IJSG_SG_SG_EEES9_SI_JZNS1_25segmented_radix_sort_implINS0_14default_configELb0EPKaPaPKlPlN2at6native12_GLOBAL__N_18offset_tEEE10hipError_tPvRmT1_PNSt15iterator_traitsIS12_E10value_typeET2_T3_PNS13_IS18_E10value_typeET4_jRbjT5_S1E_jjP12ihipStream_tbEUljE_ZNSN_ISO_Lb0ESQ_SR_ST_SU_SY_EESZ_S10_S11_S12_S16_S17_S18_S1B_S1C_jS1D_jS1E_S1E_jjS1G_bEUljE0_EEESZ_S10_S11_S18_S1C_S1E_T6_T7_T9_mT8_S1G_bDpT10_ENKUlT_T0_E_clISt17integral_constantIbLb1EES1U_EEDaS1P_S1Q_EUlS1P_E_NS1_11comp_targetILNS1_3genE5ELNS1_11target_archE942ELNS1_3gpuE9ELNS1_3repE0EEENS1_30default_config_static_selectorELNS0_4arch9wavefront6targetE1EEEvS12_
	.p2align	8
	.type	_ZN7rocprim17ROCPRIM_400000_NS6detail17trampoline_kernelINS0_13select_configILj256ELj13ELNS0_17block_load_methodE3ELS4_3ELS4_3ELNS0_20block_scan_algorithmE0ELj4294967295EEENS1_25partition_config_selectorILNS1_17partition_subalgoE4EjNS0_10empty_typeEbEEZZNS1_14partition_implILS8_4ELb0ES6_15HIP_vector_typeIjLj2EENS0_17counting_iteratorIjlEEPS9_SG_NS0_5tupleIJPjSI_NS0_16reverse_iteratorISI_EEEEENSH_IJSG_SG_SG_EEES9_SI_JZNS1_25segmented_radix_sort_implINS0_14default_configELb0EPKaPaPKlPlN2at6native12_GLOBAL__N_18offset_tEEE10hipError_tPvRmT1_PNSt15iterator_traitsIS12_E10value_typeET2_T3_PNS13_IS18_E10value_typeET4_jRbjT5_S1E_jjP12ihipStream_tbEUljE_ZNSN_ISO_Lb0ESQ_SR_ST_SU_SY_EESZ_S10_S11_S12_S16_S17_S18_S1B_S1C_jS1D_jS1E_S1E_jjS1G_bEUljE0_EEESZ_S10_S11_S18_S1C_S1E_T6_T7_T9_mT8_S1G_bDpT10_ENKUlT_T0_E_clISt17integral_constantIbLb1EES1U_EEDaS1P_S1Q_EUlS1P_E_NS1_11comp_targetILNS1_3genE5ELNS1_11target_archE942ELNS1_3gpuE9ELNS1_3repE0EEENS1_30default_config_static_selectorELNS0_4arch9wavefront6targetE1EEEvS12_,@function
_ZN7rocprim17ROCPRIM_400000_NS6detail17trampoline_kernelINS0_13select_configILj256ELj13ELNS0_17block_load_methodE3ELS4_3ELS4_3ELNS0_20block_scan_algorithmE0ELj4294967295EEENS1_25partition_config_selectorILNS1_17partition_subalgoE4EjNS0_10empty_typeEbEEZZNS1_14partition_implILS8_4ELb0ES6_15HIP_vector_typeIjLj2EENS0_17counting_iteratorIjlEEPS9_SG_NS0_5tupleIJPjSI_NS0_16reverse_iteratorISI_EEEEENSH_IJSG_SG_SG_EEES9_SI_JZNS1_25segmented_radix_sort_implINS0_14default_configELb0EPKaPaPKlPlN2at6native12_GLOBAL__N_18offset_tEEE10hipError_tPvRmT1_PNSt15iterator_traitsIS12_E10value_typeET2_T3_PNS13_IS18_E10value_typeET4_jRbjT5_S1E_jjP12ihipStream_tbEUljE_ZNSN_ISO_Lb0ESQ_SR_ST_SU_SY_EESZ_S10_S11_S12_S16_S17_S18_S1B_S1C_jS1D_jS1E_S1E_jjS1G_bEUljE0_EEESZ_S10_S11_S18_S1C_S1E_T6_T7_T9_mT8_S1G_bDpT10_ENKUlT_T0_E_clISt17integral_constantIbLb1EES1U_EEDaS1P_S1Q_EUlS1P_E_NS1_11comp_targetILNS1_3genE5ELNS1_11target_archE942ELNS1_3gpuE9ELNS1_3repE0EEENS1_30default_config_static_selectorELNS0_4arch9wavefront6targetE1EEEvS12_: ; @_ZN7rocprim17ROCPRIM_400000_NS6detail17trampoline_kernelINS0_13select_configILj256ELj13ELNS0_17block_load_methodE3ELS4_3ELS4_3ELNS0_20block_scan_algorithmE0ELj4294967295EEENS1_25partition_config_selectorILNS1_17partition_subalgoE4EjNS0_10empty_typeEbEEZZNS1_14partition_implILS8_4ELb0ES6_15HIP_vector_typeIjLj2EENS0_17counting_iteratorIjlEEPS9_SG_NS0_5tupleIJPjSI_NS0_16reverse_iteratorISI_EEEEENSH_IJSG_SG_SG_EEES9_SI_JZNS1_25segmented_radix_sort_implINS0_14default_configELb0EPKaPaPKlPlN2at6native12_GLOBAL__N_18offset_tEEE10hipError_tPvRmT1_PNSt15iterator_traitsIS12_E10value_typeET2_T3_PNS13_IS18_E10value_typeET4_jRbjT5_S1E_jjP12ihipStream_tbEUljE_ZNSN_ISO_Lb0ESQ_SR_ST_SU_SY_EESZ_S10_S11_S12_S16_S17_S18_S1B_S1C_jS1D_jS1E_S1E_jjS1G_bEUljE0_EEESZ_S10_S11_S18_S1C_S1E_T6_T7_T9_mT8_S1G_bDpT10_ENKUlT_T0_E_clISt17integral_constantIbLb1EES1U_EEDaS1P_S1Q_EUlS1P_E_NS1_11comp_targetILNS1_3genE5ELNS1_11target_archE942ELNS1_3gpuE9ELNS1_3repE0EEENS1_30default_config_static_selectorELNS0_4arch9wavefront6targetE1EEEvS12_
; %bb.0:
	.section	.rodata,"a",@progbits
	.p2align	6, 0x0
	.amdhsa_kernel _ZN7rocprim17ROCPRIM_400000_NS6detail17trampoline_kernelINS0_13select_configILj256ELj13ELNS0_17block_load_methodE3ELS4_3ELS4_3ELNS0_20block_scan_algorithmE0ELj4294967295EEENS1_25partition_config_selectorILNS1_17partition_subalgoE4EjNS0_10empty_typeEbEEZZNS1_14partition_implILS8_4ELb0ES6_15HIP_vector_typeIjLj2EENS0_17counting_iteratorIjlEEPS9_SG_NS0_5tupleIJPjSI_NS0_16reverse_iteratorISI_EEEEENSH_IJSG_SG_SG_EEES9_SI_JZNS1_25segmented_radix_sort_implINS0_14default_configELb0EPKaPaPKlPlN2at6native12_GLOBAL__N_18offset_tEEE10hipError_tPvRmT1_PNSt15iterator_traitsIS12_E10value_typeET2_T3_PNS13_IS18_E10value_typeET4_jRbjT5_S1E_jjP12ihipStream_tbEUljE_ZNSN_ISO_Lb0ESQ_SR_ST_SU_SY_EESZ_S10_S11_S12_S16_S17_S18_S1B_S1C_jS1D_jS1E_S1E_jjS1G_bEUljE0_EEESZ_S10_S11_S18_S1C_S1E_T6_T7_T9_mT8_S1G_bDpT10_ENKUlT_T0_E_clISt17integral_constantIbLb1EES1U_EEDaS1P_S1Q_EUlS1P_E_NS1_11comp_targetILNS1_3genE5ELNS1_11target_archE942ELNS1_3gpuE9ELNS1_3repE0EEENS1_30default_config_static_selectorELNS0_4arch9wavefront6targetE1EEEvS12_
		.amdhsa_group_segment_fixed_size 0
		.amdhsa_private_segment_fixed_size 0
		.amdhsa_kernarg_size 184
		.amdhsa_user_sgpr_count 6
		.amdhsa_user_sgpr_private_segment_buffer 1
		.amdhsa_user_sgpr_dispatch_ptr 0
		.amdhsa_user_sgpr_queue_ptr 0
		.amdhsa_user_sgpr_kernarg_segment_ptr 1
		.amdhsa_user_sgpr_dispatch_id 0
		.amdhsa_user_sgpr_flat_scratch_init 0
		.amdhsa_user_sgpr_private_segment_size 0
		.amdhsa_uses_dynamic_stack 0
		.amdhsa_system_sgpr_private_segment_wavefront_offset 0
		.amdhsa_system_sgpr_workgroup_id_x 1
		.amdhsa_system_sgpr_workgroup_id_y 0
		.amdhsa_system_sgpr_workgroup_id_z 0
		.amdhsa_system_sgpr_workgroup_info 0
		.amdhsa_system_vgpr_workitem_id 0
		.amdhsa_next_free_vgpr 1
		.amdhsa_next_free_sgpr 0
		.amdhsa_reserve_vcc 0
		.amdhsa_reserve_flat_scratch 0
		.amdhsa_float_round_mode_32 0
		.amdhsa_float_round_mode_16_64 0
		.amdhsa_float_denorm_mode_32 3
		.amdhsa_float_denorm_mode_16_64 3
		.amdhsa_dx10_clamp 1
		.amdhsa_ieee_mode 1
		.amdhsa_fp16_overflow 0
		.amdhsa_exception_fp_ieee_invalid_op 0
		.amdhsa_exception_fp_denorm_src 0
		.amdhsa_exception_fp_ieee_div_zero 0
		.amdhsa_exception_fp_ieee_overflow 0
		.amdhsa_exception_fp_ieee_underflow 0
		.amdhsa_exception_fp_ieee_inexact 0
		.amdhsa_exception_int_div_zero 0
	.end_amdhsa_kernel
	.section	.text._ZN7rocprim17ROCPRIM_400000_NS6detail17trampoline_kernelINS0_13select_configILj256ELj13ELNS0_17block_load_methodE3ELS4_3ELS4_3ELNS0_20block_scan_algorithmE0ELj4294967295EEENS1_25partition_config_selectorILNS1_17partition_subalgoE4EjNS0_10empty_typeEbEEZZNS1_14partition_implILS8_4ELb0ES6_15HIP_vector_typeIjLj2EENS0_17counting_iteratorIjlEEPS9_SG_NS0_5tupleIJPjSI_NS0_16reverse_iteratorISI_EEEEENSH_IJSG_SG_SG_EEES9_SI_JZNS1_25segmented_radix_sort_implINS0_14default_configELb0EPKaPaPKlPlN2at6native12_GLOBAL__N_18offset_tEEE10hipError_tPvRmT1_PNSt15iterator_traitsIS12_E10value_typeET2_T3_PNS13_IS18_E10value_typeET4_jRbjT5_S1E_jjP12ihipStream_tbEUljE_ZNSN_ISO_Lb0ESQ_SR_ST_SU_SY_EESZ_S10_S11_S12_S16_S17_S18_S1B_S1C_jS1D_jS1E_S1E_jjS1G_bEUljE0_EEESZ_S10_S11_S18_S1C_S1E_T6_T7_T9_mT8_S1G_bDpT10_ENKUlT_T0_E_clISt17integral_constantIbLb1EES1U_EEDaS1P_S1Q_EUlS1P_E_NS1_11comp_targetILNS1_3genE5ELNS1_11target_archE942ELNS1_3gpuE9ELNS1_3repE0EEENS1_30default_config_static_selectorELNS0_4arch9wavefront6targetE1EEEvS12_,"axG",@progbits,_ZN7rocprim17ROCPRIM_400000_NS6detail17trampoline_kernelINS0_13select_configILj256ELj13ELNS0_17block_load_methodE3ELS4_3ELS4_3ELNS0_20block_scan_algorithmE0ELj4294967295EEENS1_25partition_config_selectorILNS1_17partition_subalgoE4EjNS0_10empty_typeEbEEZZNS1_14partition_implILS8_4ELb0ES6_15HIP_vector_typeIjLj2EENS0_17counting_iteratorIjlEEPS9_SG_NS0_5tupleIJPjSI_NS0_16reverse_iteratorISI_EEEEENSH_IJSG_SG_SG_EEES9_SI_JZNS1_25segmented_radix_sort_implINS0_14default_configELb0EPKaPaPKlPlN2at6native12_GLOBAL__N_18offset_tEEE10hipError_tPvRmT1_PNSt15iterator_traitsIS12_E10value_typeET2_T3_PNS13_IS18_E10value_typeET4_jRbjT5_S1E_jjP12ihipStream_tbEUljE_ZNSN_ISO_Lb0ESQ_SR_ST_SU_SY_EESZ_S10_S11_S12_S16_S17_S18_S1B_S1C_jS1D_jS1E_S1E_jjS1G_bEUljE0_EEESZ_S10_S11_S18_S1C_S1E_T6_T7_T9_mT8_S1G_bDpT10_ENKUlT_T0_E_clISt17integral_constantIbLb1EES1U_EEDaS1P_S1Q_EUlS1P_E_NS1_11comp_targetILNS1_3genE5ELNS1_11target_archE942ELNS1_3gpuE9ELNS1_3repE0EEENS1_30default_config_static_selectorELNS0_4arch9wavefront6targetE1EEEvS12_,comdat
.Lfunc_end338:
	.size	_ZN7rocprim17ROCPRIM_400000_NS6detail17trampoline_kernelINS0_13select_configILj256ELj13ELNS0_17block_load_methodE3ELS4_3ELS4_3ELNS0_20block_scan_algorithmE0ELj4294967295EEENS1_25partition_config_selectorILNS1_17partition_subalgoE4EjNS0_10empty_typeEbEEZZNS1_14partition_implILS8_4ELb0ES6_15HIP_vector_typeIjLj2EENS0_17counting_iteratorIjlEEPS9_SG_NS0_5tupleIJPjSI_NS0_16reverse_iteratorISI_EEEEENSH_IJSG_SG_SG_EEES9_SI_JZNS1_25segmented_radix_sort_implINS0_14default_configELb0EPKaPaPKlPlN2at6native12_GLOBAL__N_18offset_tEEE10hipError_tPvRmT1_PNSt15iterator_traitsIS12_E10value_typeET2_T3_PNS13_IS18_E10value_typeET4_jRbjT5_S1E_jjP12ihipStream_tbEUljE_ZNSN_ISO_Lb0ESQ_SR_ST_SU_SY_EESZ_S10_S11_S12_S16_S17_S18_S1B_S1C_jS1D_jS1E_S1E_jjS1G_bEUljE0_EEESZ_S10_S11_S18_S1C_S1E_T6_T7_T9_mT8_S1G_bDpT10_ENKUlT_T0_E_clISt17integral_constantIbLb1EES1U_EEDaS1P_S1Q_EUlS1P_E_NS1_11comp_targetILNS1_3genE5ELNS1_11target_archE942ELNS1_3gpuE9ELNS1_3repE0EEENS1_30default_config_static_selectorELNS0_4arch9wavefront6targetE1EEEvS12_, .Lfunc_end338-_ZN7rocprim17ROCPRIM_400000_NS6detail17trampoline_kernelINS0_13select_configILj256ELj13ELNS0_17block_load_methodE3ELS4_3ELS4_3ELNS0_20block_scan_algorithmE0ELj4294967295EEENS1_25partition_config_selectorILNS1_17partition_subalgoE4EjNS0_10empty_typeEbEEZZNS1_14partition_implILS8_4ELb0ES6_15HIP_vector_typeIjLj2EENS0_17counting_iteratorIjlEEPS9_SG_NS0_5tupleIJPjSI_NS0_16reverse_iteratorISI_EEEEENSH_IJSG_SG_SG_EEES9_SI_JZNS1_25segmented_radix_sort_implINS0_14default_configELb0EPKaPaPKlPlN2at6native12_GLOBAL__N_18offset_tEEE10hipError_tPvRmT1_PNSt15iterator_traitsIS12_E10value_typeET2_T3_PNS13_IS18_E10value_typeET4_jRbjT5_S1E_jjP12ihipStream_tbEUljE_ZNSN_ISO_Lb0ESQ_SR_ST_SU_SY_EESZ_S10_S11_S12_S16_S17_S18_S1B_S1C_jS1D_jS1E_S1E_jjS1G_bEUljE0_EEESZ_S10_S11_S18_S1C_S1E_T6_T7_T9_mT8_S1G_bDpT10_ENKUlT_T0_E_clISt17integral_constantIbLb1EES1U_EEDaS1P_S1Q_EUlS1P_E_NS1_11comp_targetILNS1_3genE5ELNS1_11target_archE942ELNS1_3gpuE9ELNS1_3repE0EEENS1_30default_config_static_selectorELNS0_4arch9wavefront6targetE1EEEvS12_
                                        ; -- End function
	.set _ZN7rocprim17ROCPRIM_400000_NS6detail17trampoline_kernelINS0_13select_configILj256ELj13ELNS0_17block_load_methodE3ELS4_3ELS4_3ELNS0_20block_scan_algorithmE0ELj4294967295EEENS1_25partition_config_selectorILNS1_17partition_subalgoE4EjNS0_10empty_typeEbEEZZNS1_14partition_implILS8_4ELb0ES6_15HIP_vector_typeIjLj2EENS0_17counting_iteratorIjlEEPS9_SG_NS0_5tupleIJPjSI_NS0_16reverse_iteratorISI_EEEEENSH_IJSG_SG_SG_EEES9_SI_JZNS1_25segmented_radix_sort_implINS0_14default_configELb0EPKaPaPKlPlN2at6native12_GLOBAL__N_18offset_tEEE10hipError_tPvRmT1_PNSt15iterator_traitsIS12_E10value_typeET2_T3_PNS13_IS18_E10value_typeET4_jRbjT5_S1E_jjP12ihipStream_tbEUljE_ZNSN_ISO_Lb0ESQ_SR_ST_SU_SY_EESZ_S10_S11_S12_S16_S17_S18_S1B_S1C_jS1D_jS1E_S1E_jjS1G_bEUljE0_EEESZ_S10_S11_S18_S1C_S1E_T6_T7_T9_mT8_S1G_bDpT10_ENKUlT_T0_E_clISt17integral_constantIbLb1EES1U_EEDaS1P_S1Q_EUlS1P_E_NS1_11comp_targetILNS1_3genE5ELNS1_11target_archE942ELNS1_3gpuE9ELNS1_3repE0EEENS1_30default_config_static_selectorELNS0_4arch9wavefront6targetE1EEEvS12_.num_vgpr, 0
	.set _ZN7rocprim17ROCPRIM_400000_NS6detail17trampoline_kernelINS0_13select_configILj256ELj13ELNS0_17block_load_methodE3ELS4_3ELS4_3ELNS0_20block_scan_algorithmE0ELj4294967295EEENS1_25partition_config_selectorILNS1_17partition_subalgoE4EjNS0_10empty_typeEbEEZZNS1_14partition_implILS8_4ELb0ES6_15HIP_vector_typeIjLj2EENS0_17counting_iteratorIjlEEPS9_SG_NS0_5tupleIJPjSI_NS0_16reverse_iteratorISI_EEEEENSH_IJSG_SG_SG_EEES9_SI_JZNS1_25segmented_radix_sort_implINS0_14default_configELb0EPKaPaPKlPlN2at6native12_GLOBAL__N_18offset_tEEE10hipError_tPvRmT1_PNSt15iterator_traitsIS12_E10value_typeET2_T3_PNS13_IS18_E10value_typeET4_jRbjT5_S1E_jjP12ihipStream_tbEUljE_ZNSN_ISO_Lb0ESQ_SR_ST_SU_SY_EESZ_S10_S11_S12_S16_S17_S18_S1B_S1C_jS1D_jS1E_S1E_jjS1G_bEUljE0_EEESZ_S10_S11_S18_S1C_S1E_T6_T7_T9_mT8_S1G_bDpT10_ENKUlT_T0_E_clISt17integral_constantIbLb1EES1U_EEDaS1P_S1Q_EUlS1P_E_NS1_11comp_targetILNS1_3genE5ELNS1_11target_archE942ELNS1_3gpuE9ELNS1_3repE0EEENS1_30default_config_static_selectorELNS0_4arch9wavefront6targetE1EEEvS12_.num_agpr, 0
	.set _ZN7rocprim17ROCPRIM_400000_NS6detail17trampoline_kernelINS0_13select_configILj256ELj13ELNS0_17block_load_methodE3ELS4_3ELS4_3ELNS0_20block_scan_algorithmE0ELj4294967295EEENS1_25partition_config_selectorILNS1_17partition_subalgoE4EjNS0_10empty_typeEbEEZZNS1_14partition_implILS8_4ELb0ES6_15HIP_vector_typeIjLj2EENS0_17counting_iteratorIjlEEPS9_SG_NS0_5tupleIJPjSI_NS0_16reverse_iteratorISI_EEEEENSH_IJSG_SG_SG_EEES9_SI_JZNS1_25segmented_radix_sort_implINS0_14default_configELb0EPKaPaPKlPlN2at6native12_GLOBAL__N_18offset_tEEE10hipError_tPvRmT1_PNSt15iterator_traitsIS12_E10value_typeET2_T3_PNS13_IS18_E10value_typeET4_jRbjT5_S1E_jjP12ihipStream_tbEUljE_ZNSN_ISO_Lb0ESQ_SR_ST_SU_SY_EESZ_S10_S11_S12_S16_S17_S18_S1B_S1C_jS1D_jS1E_S1E_jjS1G_bEUljE0_EEESZ_S10_S11_S18_S1C_S1E_T6_T7_T9_mT8_S1G_bDpT10_ENKUlT_T0_E_clISt17integral_constantIbLb1EES1U_EEDaS1P_S1Q_EUlS1P_E_NS1_11comp_targetILNS1_3genE5ELNS1_11target_archE942ELNS1_3gpuE9ELNS1_3repE0EEENS1_30default_config_static_selectorELNS0_4arch9wavefront6targetE1EEEvS12_.numbered_sgpr, 0
	.set _ZN7rocprim17ROCPRIM_400000_NS6detail17trampoline_kernelINS0_13select_configILj256ELj13ELNS0_17block_load_methodE3ELS4_3ELS4_3ELNS0_20block_scan_algorithmE0ELj4294967295EEENS1_25partition_config_selectorILNS1_17partition_subalgoE4EjNS0_10empty_typeEbEEZZNS1_14partition_implILS8_4ELb0ES6_15HIP_vector_typeIjLj2EENS0_17counting_iteratorIjlEEPS9_SG_NS0_5tupleIJPjSI_NS0_16reverse_iteratorISI_EEEEENSH_IJSG_SG_SG_EEES9_SI_JZNS1_25segmented_radix_sort_implINS0_14default_configELb0EPKaPaPKlPlN2at6native12_GLOBAL__N_18offset_tEEE10hipError_tPvRmT1_PNSt15iterator_traitsIS12_E10value_typeET2_T3_PNS13_IS18_E10value_typeET4_jRbjT5_S1E_jjP12ihipStream_tbEUljE_ZNSN_ISO_Lb0ESQ_SR_ST_SU_SY_EESZ_S10_S11_S12_S16_S17_S18_S1B_S1C_jS1D_jS1E_S1E_jjS1G_bEUljE0_EEESZ_S10_S11_S18_S1C_S1E_T6_T7_T9_mT8_S1G_bDpT10_ENKUlT_T0_E_clISt17integral_constantIbLb1EES1U_EEDaS1P_S1Q_EUlS1P_E_NS1_11comp_targetILNS1_3genE5ELNS1_11target_archE942ELNS1_3gpuE9ELNS1_3repE0EEENS1_30default_config_static_selectorELNS0_4arch9wavefront6targetE1EEEvS12_.num_named_barrier, 0
	.set _ZN7rocprim17ROCPRIM_400000_NS6detail17trampoline_kernelINS0_13select_configILj256ELj13ELNS0_17block_load_methodE3ELS4_3ELS4_3ELNS0_20block_scan_algorithmE0ELj4294967295EEENS1_25partition_config_selectorILNS1_17partition_subalgoE4EjNS0_10empty_typeEbEEZZNS1_14partition_implILS8_4ELb0ES6_15HIP_vector_typeIjLj2EENS0_17counting_iteratorIjlEEPS9_SG_NS0_5tupleIJPjSI_NS0_16reverse_iteratorISI_EEEEENSH_IJSG_SG_SG_EEES9_SI_JZNS1_25segmented_radix_sort_implINS0_14default_configELb0EPKaPaPKlPlN2at6native12_GLOBAL__N_18offset_tEEE10hipError_tPvRmT1_PNSt15iterator_traitsIS12_E10value_typeET2_T3_PNS13_IS18_E10value_typeET4_jRbjT5_S1E_jjP12ihipStream_tbEUljE_ZNSN_ISO_Lb0ESQ_SR_ST_SU_SY_EESZ_S10_S11_S12_S16_S17_S18_S1B_S1C_jS1D_jS1E_S1E_jjS1G_bEUljE0_EEESZ_S10_S11_S18_S1C_S1E_T6_T7_T9_mT8_S1G_bDpT10_ENKUlT_T0_E_clISt17integral_constantIbLb1EES1U_EEDaS1P_S1Q_EUlS1P_E_NS1_11comp_targetILNS1_3genE5ELNS1_11target_archE942ELNS1_3gpuE9ELNS1_3repE0EEENS1_30default_config_static_selectorELNS0_4arch9wavefront6targetE1EEEvS12_.private_seg_size, 0
	.set _ZN7rocprim17ROCPRIM_400000_NS6detail17trampoline_kernelINS0_13select_configILj256ELj13ELNS0_17block_load_methodE3ELS4_3ELS4_3ELNS0_20block_scan_algorithmE0ELj4294967295EEENS1_25partition_config_selectorILNS1_17partition_subalgoE4EjNS0_10empty_typeEbEEZZNS1_14partition_implILS8_4ELb0ES6_15HIP_vector_typeIjLj2EENS0_17counting_iteratorIjlEEPS9_SG_NS0_5tupleIJPjSI_NS0_16reverse_iteratorISI_EEEEENSH_IJSG_SG_SG_EEES9_SI_JZNS1_25segmented_radix_sort_implINS0_14default_configELb0EPKaPaPKlPlN2at6native12_GLOBAL__N_18offset_tEEE10hipError_tPvRmT1_PNSt15iterator_traitsIS12_E10value_typeET2_T3_PNS13_IS18_E10value_typeET4_jRbjT5_S1E_jjP12ihipStream_tbEUljE_ZNSN_ISO_Lb0ESQ_SR_ST_SU_SY_EESZ_S10_S11_S12_S16_S17_S18_S1B_S1C_jS1D_jS1E_S1E_jjS1G_bEUljE0_EEESZ_S10_S11_S18_S1C_S1E_T6_T7_T9_mT8_S1G_bDpT10_ENKUlT_T0_E_clISt17integral_constantIbLb1EES1U_EEDaS1P_S1Q_EUlS1P_E_NS1_11comp_targetILNS1_3genE5ELNS1_11target_archE942ELNS1_3gpuE9ELNS1_3repE0EEENS1_30default_config_static_selectorELNS0_4arch9wavefront6targetE1EEEvS12_.uses_vcc, 0
	.set _ZN7rocprim17ROCPRIM_400000_NS6detail17trampoline_kernelINS0_13select_configILj256ELj13ELNS0_17block_load_methodE3ELS4_3ELS4_3ELNS0_20block_scan_algorithmE0ELj4294967295EEENS1_25partition_config_selectorILNS1_17partition_subalgoE4EjNS0_10empty_typeEbEEZZNS1_14partition_implILS8_4ELb0ES6_15HIP_vector_typeIjLj2EENS0_17counting_iteratorIjlEEPS9_SG_NS0_5tupleIJPjSI_NS0_16reverse_iteratorISI_EEEEENSH_IJSG_SG_SG_EEES9_SI_JZNS1_25segmented_radix_sort_implINS0_14default_configELb0EPKaPaPKlPlN2at6native12_GLOBAL__N_18offset_tEEE10hipError_tPvRmT1_PNSt15iterator_traitsIS12_E10value_typeET2_T3_PNS13_IS18_E10value_typeET4_jRbjT5_S1E_jjP12ihipStream_tbEUljE_ZNSN_ISO_Lb0ESQ_SR_ST_SU_SY_EESZ_S10_S11_S12_S16_S17_S18_S1B_S1C_jS1D_jS1E_S1E_jjS1G_bEUljE0_EEESZ_S10_S11_S18_S1C_S1E_T6_T7_T9_mT8_S1G_bDpT10_ENKUlT_T0_E_clISt17integral_constantIbLb1EES1U_EEDaS1P_S1Q_EUlS1P_E_NS1_11comp_targetILNS1_3genE5ELNS1_11target_archE942ELNS1_3gpuE9ELNS1_3repE0EEENS1_30default_config_static_selectorELNS0_4arch9wavefront6targetE1EEEvS12_.uses_flat_scratch, 0
	.set _ZN7rocprim17ROCPRIM_400000_NS6detail17trampoline_kernelINS0_13select_configILj256ELj13ELNS0_17block_load_methodE3ELS4_3ELS4_3ELNS0_20block_scan_algorithmE0ELj4294967295EEENS1_25partition_config_selectorILNS1_17partition_subalgoE4EjNS0_10empty_typeEbEEZZNS1_14partition_implILS8_4ELb0ES6_15HIP_vector_typeIjLj2EENS0_17counting_iteratorIjlEEPS9_SG_NS0_5tupleIJPjSI_NS0_16reverse_iteratorISI_EEEEENSH_IJSG_SG_SG_EEES9_SI_JZNS1_25segmented_radix_sort_implINS0_14default_configELb0EPKaPaPKlPlN2at6native12_GLOBAL__N_18offset_tEEE10hipError_tPvRmT1_PNSt15iterator_traitsIS12_E10value_typeET2_T3_PNS13_IS18_E10value_typeET4_jRbjT5_S1E_jjP12ihipStream_tbEUljE_ZNSN_ISO_Lb0ESQ_SR_ST_SU_SY_EESZ_S10_S11_S12_S16_S17_S18_S1B_S1C_jS1D_jS1E_S1E_jjS1G_bEUljE0_EEESZ_S10_S11_S18_S1C_S1E_T6_T7_T9_mT8_S1G_bDpT10_ENKUlT_T0_E_clISt17integral_constantIbLb1EES1U_EEDaS1P_S1Q_EUlS1P_E_NS1_11comp_targetILNS1_3genE5ELNS1_11target_archE942ELNS1_3gpuE9ELNS1_3repE0EEENS1_30default_config_static_selectorELNS0_4arch9wavefront6targetE1EEEvS12_.has_dyn_sized_stack, 0
	.set _ZN7rocprim17ROCPRIM_400000_NS6detail17trampoline_kernelINS0_13select_configILj256ELj13ELNS0_17block_load_methodE3ELS4_3ELS4_3ELNS0_20block_scan_algorithmE0ELj4294967295EEENS1_25partition_config_selectorILNS1_17partition_subalgoE4EjNS0_10empty_typeEbEEZZNS1_14partition_implILS8_4ELb0ES6_15HIP_vector_typeIjLj2EENS0_17counting_iteratorIjlEEPS9_SG_NS0_5tupleIJPjSI_NS0_16reverse_iteratorISI_EEEEENSH_IJSG_SG_SG_EEES9_SI_JZNS1_25segmented_radix_sort_implINS0_14default_configELb0EPKaPaPKlPlN2at6native12_GLOBAL__N_18offset_tEEE10hipError_tPvRmT1_PNSt15iterator_traitsIS12_E10value_typeET2_T3_PNS13_IS18_E10value_typeET4_jRbjT5_S1E_jjP12ihipStream_tbEUljE_ZNSN_ISO_Lb0ESQ_SR_ST_SU_SY_EESZ_S10_S11_S12_S16_S17_S18_S1B_S1C_jS1D_jS1E_S1E_jjS1G_bEUljE0_EEESZ_S10_S11_S18_S1C_S1E_T6_T7_T9_mT8_S1G_bDpT10_ENKUlT_T0_E_clISt17integral_constantIbLb1EES1U_EEDaS1P_S1Q_EUlS1P_E_NS1_11comp_targetILNS1_3genE5ELNS1_11target_archE942ELNS1_3gpuE9ELNS1_3repE0EEENS1_30default_config_static_selectorELNS0_4arch9wavefront6targetE1EEEvS12_.has_recursion, 0
	.set _ZN7rocprim17ROCPRIM_400000_NS6detail17trampoline_kernelINS0_13select_configILj256ELj13ELNS0_17block_load_methodE3ELS4_3ELS4_3ELNS0_20block_scan_algorithmE0ELj4294967295EEENS1_25partition_config_selectorILNS1_17partition_subalgoE4EjNS0_10empty_typeEbEEZZNS1_14partition_implILS8_4ELb0ES6_15HIP_vector_typeIjLj2EENS0_17counting_iteratorIjlEEPS9_SG_NS0_5tupleIJPjSI_NS0_16reverse_iteratorISI_EEEEENSH_IJSG_SG_SG_EEES9_SI_JZNS1_25segmented_radix_sort_implINS0_14default_configELb0EPKaPaPKlPlN2at6native12_GLOBAL__N_18offset_tEEE10hipError_tPvRmT1_PNSt15iterator_traitsIS12_E10value_typeET2_T3_PNS13_IS18_E10value_typeET4_jRbjT5_S1E_jjP12ihipStream_tbEUljE_ZNSN_ISO_Lb0ESQ_SR_ST_SU_SY_EESZ_S10_S11_S12_S16_S17_S18_S1B_S1C_jS1D_jS1E_S1E_jjS1G_bEUljE0_EEESZ_S10_S11_S18_S1C_S1E_T6_T7_T9_mT8_S1G_bDpT10_ENKUlT_T0_E_clISt17integral_constantIbLb1EES1U_EEDaS1P_S1Q_EUlS1P_E_NS1_11comp_targetILNS1_3genE5ELNS1_11target_archE942ELNS1_3gpuE9ELNS1_3repE0EEENS1_30default_config_static_selectorELNS0_4arch9wavefront6targetE1EEEvS12_.has_indirect_call, 0
	.section	.AMDGPU.csdata,"",@progbits
; Kernel info:
; codeLenInByte = 0
; TotalNumSgprs: 4
; NumVgprs: 0
; ScratchSize: 0
; MemoryBound: 0
; FloatMode: 240
; IeeeMode: 1
; LDSByteSize: 0 bytes/workgroup (compile time only)
; SGPRBlocks: 0
; VGPRBlocks: 0
; NumSGPRsForWavesPerEU: 4
; NumVGPRsForWavesPerEU: 1
; Occupancy: 10
; WaveLimiterHint : 0
; COMPUTE_PGM_RSRC2:SCRATCH_EN: 0
; COMPUTE_PGM_RSRC2:USER_SGPR: 6
; COMPUTE_PGM_RSRC2:TRAP_HANDLER: 0
; COMPUTE_PGM_RSRC2:TGID_X_EN: 1
; COMPUTE_PGM_RSRC2:TGID_Y_EN: 0
; COMPUTE_PGM_RSRC2:TGID_Z_EN: 0
; COMPUTE_PGM_RSRC2:TIDIG_COMP_CNT: 0
	.section	.text._ZN7rocprim17ROCPRIM_400000_NS6detail17trampoline_kernelINS0_13select_configILj256ELj13ELNS0_17block_load_methodE3ELS4_3ELS4_3ELNS0_20block_scan_algorithmE0ELj4294967295EEENS1_25partition_config_selectorILNS1_17partition_subalgoE4EjNS0_10empty_typeEbEEZZNS1_14partition_implILS8_4ELb0ES6_15HIP_vector_typeIjLj2EENS0_17counting_iteratorIjlEEPS9_SG_NS0_5tupleIJPjSI_NS0_16reverse_iteratorISI_EEEEENSH_IJSG_SG_SG_EEES9_SI_JZNS1_25segmented_radix_sort_implINS0_14default_configELb0EPKaPaPKlPlN2at6native12_GLOBAL__N_18offset_tEEE10hipError_tPvRmT1_PNSt15iterator_traitsIS12_E10value_typeET2_T3_PNS13_IS18_E10value_typeET4_jRbjT5_S1E_jjP12ihipStream_tbEUljE_ZNSN_ISO_Lb0ESQ_SR_ST_SU_SY_EESZ_S10_S11_S12_S16_S17_S18_S1B_S1C_jS1D_jS1E_S1E_jjS1G_bEUljE0_EEESZ_S10_S11_S18_S1C_S1E_T6_T7_T9_mT8_S1G_bDpT10_ENKUlT_T0_E_clISt17integral_constantIbLb1EES1U_EEDaS1P_S1Q_EUlS1P_E_NS1_11comp_targetILNS1_3genE4ELNS1_11target_archE910ELNS1_3gpuE8ELNS1_3repE0EEENS1_30default_config_static_selectorELNS0_4arch9wavefront6targetE1EEEvS12_,"axG",@progbits,_ZN7rocprim17ROCPRIM_400000_NS6detail17trampoline_kernelINS0_13select_configILj256ELj13ELNS0_17block_load_methodE3ELS4_3ELS4_3ELNS0_20block_scan_algorithmE0ELj4294967295EEENS1_25partition_config_selectorILNS1_17partition_subalgoE4EjNS0_10empty_typeEbEEZZNS1_14partition_implILS8_4ELb0ES6_15HIP_vector_typeIjLj2EENS0_17counting_iteratorIjlEEPS9_SG_NS0_5tupleIJPjSI_NS0_16reverse_iteratorISI_EEEEENSH_IJSG_SG_SG_EEES9_SI_JZNS1_25segmented_radix_sort_implINS0_14default_configELb0EPKaPaPKlPlN2at6native12_GLOBAL__N_18offset_tEEE10hipError_tPvRmT1_PNSt15iterator_traitsIS12_E10value_typeET2_T3_PNS13_IS18_E10value_typeET4_jRbjT5_S1E_jjP12ihipStream_tbEUljE_ZNSN_ISO_Lb0ESQ_SR_ST_SU_SY_EESZ_S10_S11_S12_S16_S17_S18_S1B_S1C_jS1D_jS1E_S1E_jjS1G_bEUljE0_EEESZ_S10_S11_S18_S1C_S1E_T6_T7_T9_mT8_S1G_bDpT10_ENKUlT_T0_E_clISt17integral_constantIbLb1EES1U_EEDaS1P_S1Q_EUlS1P_E_NS1_11comp_targetILNS1_3genE4ELNS1_11target_archE910ELNS1_3gpuE8ELNS1_3repE0EEENS1_30default_config_static_selectorELNS0_4arch9wavefront6targetE1EEEvS12_,comdat
	.globl	_ZN7rocprim17ROCPRIM_400000_NS6detail17trampoline_kernelINS0_13select_configILj256ELj13ELNS0_17block_load_methodE3ELS4_3ELS4_3ELNS0_20block_scan_algorithmE0ELj4294967295EEENS1_25partition_config_selectorILNS1_17partition_subalgoE4EjNS0_10empty_typeEbEEZZNS1_14partition_implILS8_4ELb0ES6_15HIP_vector_typeIjLj2EENS0_17counting_iteratorIjlEEPS9_SG_NS0_5tupleIJPjSI_NS0_16reverse_iteratorISI_EEEEENSH_IJSG_SG_SG_EEES9_SI_JZNS1_25segmented_radix_sort_implINS0_14default_configELb0EPKaPaPKlPlN2at6native12_GLOBAL__N_18offset_tEEE10hipError_tPvRmT1_PNSt15iterator_traitsIS12_E10value_typeET2_T3_PNS13_IS18_E10value_typeET4_jRbjT5_S1E_jjP12ihipStream_tbEUljE_ZNSN_ISO_Lb0ESQ_SR_ST_SU_SY_EESZ_S10_S11_S12_S16_S17_S18_S1B_S1C_jS1D_jS1E_S1E_jjS1G_bEUljE0_EEESZ_S10_S11_S18_S1C_S1E_T6_T7_T9_mT8_S1G_bDpT10_ENKUlT_T0_E_clISt17integral_constantIbLb1EES1U_EEDaS1P_S1Q_EUlS1P_E_NS1_11comp_targetILNS1_3genE4ELNS1_11target_archE910ELNS1_3gpuE8ELNS1_3repE0EEENS1_30default_config_static_selectorELNS0_4arch9wavefront6targetE1EEEvS12_ ; -- Begin function _ZN7rocprim17ROCPRIM_400000_NS6detail17trampoline_kernelINS0_13select_configILj256ELj13ELNS0_17block_load_methodE3ELS4_3ELS4_3ELNS0_20block_scan_algorithmE0ELj4294967295EEENS1_25partition_config_selectorILNS1_17partition_subalgoE4EjNS0_10empty_typeEbEEZZNS1_14partition_implILS8_4ELb0ES6_15HIP_vector_typeIjLj2EENS0_17counting_iteratorIjlEEPS9_SG_NS0_5tupleIJPjSI_NS0_16reverse_iteratorISI_EEEEENSH_IJSG_SG_SG_EEES9_SI_JZNS1_25segmented_radix_sort_implINS0_14default_configELb0EPKaPaPKlPlN2at6native12_GLOBAL__N_18offset_tEEE10hipError_tPvRmT1_PNSt15iterator_traitsIS12_E10value_typeET2_T3_PNS13_IS18_E10value_typeET4_jRbjT5_S1E_jjP12ihipStream_tbEUljE_ZNSN_ISO_Lb0ESQ_SR_ST_SU_SY_EESZ_S10_S11_S12_S16_S17_S18_S1B_S1C_jS1D_jS1E_S1E_jjS1G_bEUljE0_EEESZ_S10_S11_S18_S1C_S1E_T6_T7_T9_mT8_S1G_bDpT10_ENKUlT_T0_E_clISt17integral_constantIbLb1EES1U_EEDaS1P_S1Q_EUlS1P_E_NS1_11comp_targetILNS1_3genE4ELNS1_11target_archE910ELNS1_3gpuE8ELNS1_3repE0EEENS1_30default_config_static_selectorELNS0_4arch9wavefront6targetE1EEEvS12_
	.p2align	8
	.type	_ZN7rocprim17ROCPRIM_400000_NS6detail17trampoline_kernelINS0_13select_configILj256ELj13ELNS0_17block_load_methodE3ELS4_3ELS4_3ELNS0_20block_scan_algorithmE0ELj4294967295EEENS1_25partition_config_selectorILNS1_17partition_subalgoE4EjNS0_10empty_typeEbEEZZNS1_14partition_implILS8_4ELb0ES6_15HIP_vector_typeIjLj2EENS0_17counting_iteratorIjlEEPS9_SG_NS0_5tupleIJPjSI_NS0_16reverse_iteratorISI_EEEEENSH_IJSG_SG_SG_EEES9_SI_JZNS1_25segmented_radix_sort_implINS0_14default_configELb0EPKaPaPKlPlN2at6native12_GLOBAL__N_18offset_tEEE10hipError_tPvRmT1_PNSt15iterator_traitsIS12_E10value_typeET2_T3_PNS13_IS18_E10value_typeET4_jRbjT5_S1E_jjP12ihipStream_tbEUljE_ZNSN_ISO_Lb0ESQ_SR_ST_SU_SY_EESZ_S10_S11_S12_S16_S17_S18_S1B_S1C_jS1D_jS1E_S1E_jjS1G_bEUljE0_EEESZ_S10_S11_S18_S1C_S1E_T6_T7_T9_mT8_S1G_bDpT10_ENKUlT_T0_E_clISt17integral_constantIbLb1EES1U_EEDaS1P_S1Q_EUlS1P_E_NS1_11comp_targetILNS1_3genE4ELNS1_11target_archE910ELNS1_3gpuE8ELNS1_3repE0EEENS1_30default_config_static_selectorELNS0_4arch9wavefront6targetE1EEEvS12_,@function
_ZN7rocprim17ROCPRIM_400000_NS6detail17trampoline_kernelINS0_13select_configILj256ELj13ELNS0_17block_load_methodE3ELS4_3ELS4_3ELNS0_20block_scan_algorithmE0ELj4294967295EEENS1_25partition_config_selectorILNS1_17partition_subalgoE4EjNS0_10empty_typeEbEEZZNS1_14partition_implILS8_4ELb0ES6_15HIP_vector_typeIjLj2EENS0_17counting_iteratorIjlEEPS9_SG_NS0_5tupleIJPjSI_NS0_16reverse_iteratorISI_EEEEENSH_IJSG_SG_SG_EEES9_SI_JZNS1_25segmented_radix_sort_implINS0_14default_configELb0EPKaPaPKlPlN2at6native12_GLOBAL__N_18offset_tEEE10hipError_tPvRmT1_PNSt15iterator_traitsIS12_E10value_typeET2_T3_PNS13_IS18_E10value_typeET4_jRbjT5_S1E_jjP12ihipStream_tbEUljE_ZNSN_ISO_Lb0ESQ_SR_ST_SU_SY_EESZ_S10_S11_S12_S16_S17_S18_S1B_S1C_jS1D_jS1E_S1E_jjS1G_bEUljE0_EEESZ_S10_S11_S18_S1C_S1E_T6_T7_T9_mT8_S1G_bDpT10_ENKUlT_T0_E_clISt17integral_constantIbLb1EES1U_EEDaS1P_S1Q_EUlS1P_E_NS1_11comp_targetILNS1_3genE4ELNS1_11target_archE910ELNS1_3gpuE8ELNS1_3repE0EEENS1_30default_config_static_selectorELNS0_4arch9wavefront6targetE1EEEvS12_: ; @_ZN7rocprim17ROCPRIM_400000_NS6detail17trampoline_kernelINS0_13select_configILj256ELj13ELNS0_17block_load_methodE3ELS4_3ELS4_3ELNS0_20block_scan_algorithmE0ELj4294967295EEENS1_25partition_config_selectorILNS1_17partition_subalgoE4EjNS0_10empty_typeEbEEZZNS1_14partition_implILS8_4ELb0ES6_15HIP_vector_typeIjLj2EENS0_17counting_iteratorIjlEEPS9_SG_NS0_5tupleIJPjSI_NS0_16reverse_iteratorISI_EEEEENSH_IJSG_SG_SG_EEES9_SI_JZNS1_25segmented_radix_sort_implINS0_14default_configELb0EPKaPaPKlPlN2at6native12_GLOBAL__N_18offset_tEEE10hipError_tPvRmT1_PNSt15iterator_traitsIS12_E10value_typeET2_T3_PNS13_IS18_E10value_typeET4_jRbjT5_S1E_jjP12ihipStream_tbEUljE_ZNSN_ISO_Lb0ESQ_SR_ST_SU_SY_EESZ_S10_S11_S12_S16_S17_S18_S1B_S1C_jS1D_jS1E_S1E_jjS1G_bEUljE0_EEESZ_S10_S11_S18_S1C_S1E_T6_T7_T9_mT8_S1G_bDpT10_ENKUlT_T0_E_clISt17integral_constantIbLb1EES1U_EEDaS1P_S1Q_EUlS1P_E_NS1_11comp_targetILNS1_3genE4ELNS1_11target_archE910ELNS1_3gpuE8ELNS1_3repE0EEENS1_30default_config_static_selectorELNS0_4arch9wavefront6targetE1EEEvS12_
; %bb.0:
	.section	.rodata,"a",@progbits
	.p2align	6, 0x0
	.amdhsa_kernel _ZN7rocprim17ROCPRIM_400000_NS6detail17trampoline_kernelINS0_13select_configILj256ELj13ELNS0_17block_load_methodE3ELS4_3ELS4_3ELNS0_20block_scan_algorithmE0ELj4294967295EEENS1_25partition_config_selectorILNS1_17partition_subalgoE4EjNS0_10empty_typeEbEEZZNS1_14partition_implILS8_4ELb0ES6_15HIP_vector_typeIjLj2EENS0_17counting_iteratorIjlEEPS9_SG_NS0_5tupleIJPjSI_NS0_16reverse_iteratorISI_EEEEENSH_IJSG_SG_SG_EEES9_SI_JZNS1_25segmented_radix_sort_implINS0_14default_configELb0EPKaPaPKlPlN2at6native12_GLOBAL__N_18offset_tEEE10hipError_tPvRmT1_PNSt15iterator_traitsIS12_E10value_typeET2_T3_PNS13_IS18_E10value_typeET4_jRbjT5_S1E_jjP12ihipStream_tbEUljE_ZNSN_ISO_Lb0ESQ_SR_ST_SU_SY_EESZ_S10_S11_S12_S16_S17_S18_S1B_S1C_jS1D_jS1E_S1E_jjS1G_bEUljE0_EEESZ_S10_S11_S18_S1C_S1E_T6_T7_T9_mT8_S1G_bDpT10_ENKUlT_T0_E_clISt17integral_constantIbLb1EES1U_EEDaS1P_S1Q_EUlS1P_E_NS1_11comp_targetILNS1_3genE4ELNS1_11target_archE910ELNS1_3gpuE8ELNS1_3repE0EEENS1_30default_config_static_selectorELNS0_4arch9wavefront6targetE1EEEvS12_
		.amdhsa_group_segment_fixed_size 0
		.amdhsa_private_segment_fixed_size 0
		.amdhsa_kernarg_size 184
		.amdhsa_user_sgpr_count 6
		.amdhsa_user_sgpr_private_segment_buffer 1
		.amdhsa_user_sgpr_dispatch_ptr 0
		.amdhsa_user_sgpr_queue_ptr 0
		.amdhsa_user_sgpr_kernarg_segment_ptr 1
		.amdhsa_user_sgpr_dispatch_id 0
		.amdhsa_user_sgpr_flat_scratch_init 0
		.amdhsa_user_sgpr_private_segment_size 0
		.amdhsa_uses_dynamic_stack 0
		.amdhsa_system_sgpr_private_segment_wavefront_offset 0
		.amdhsa_system_sgpr_workgroup_id_x 1
		.amdhsa_system_sgpr_workgroup_id_y 0
		.amdhsa_system_sgpr_workgroup_id_z 0
		.amdhsa_system_sgpr_workgroup_info 0
		.amdhsa_system_vgpr_workitem_id 0
		.amdhsa_next_free_vgpr 1
		.amdhsa_next_free_sgpr 0
		.amdhsa_reserve_vcc 0
		.amdhsa_reserve_flat_scratch 0
		.amdhsa_float_round_mode_32 0
		.amdhsa_float_round_mode_16_64 0
		.amdhsa_float_denorm_mode_32 3
		.amdhsa_float_denorm_mode_16_64 3
		.amdhsa_dx10_clamp 1
		.amdhsa_ieee_mode 1
		.amdhsa_fp16_overflow 0
		.amdhsa_exception_fp_ieee_invalid_op 0
		.amdhsa_exception_fp_denorm_src 0
		.amdhsa_exception_fp_ieee_div_zero 0
		.amdhsa_exception_fp_ieee_overflow 0
		.amdhsa_exception_fp_ieee_underflow 0
		.amdhsa_exception_fp_ieee_inexact 0
		.amdhsa_exception_int_div_zero 0
	.end_amdhsa_kernel
	.section	.text._ZN7rocprim17ROCPRIM_400000_NS6detail17trampoline_kernelINS0_13select_configILj256ELj13ELNS0_17block_load_methodE3ELS4_3ELS4_3ELNS0_20block_scan_algorithmE0ELj4294967295EEENS1_25partition_config_selectorILNS1_17partition_subalgoE4EjNS0_10empty_typeEbEEZZNS1_14partition_implILS8_4ELb0ES6_15HIP_vector_typeIjLj2EENS0_17counting_iteratorIjlEEPS9_SG_NS0_5tupleIJPjSI_NS0_16reverse_iteratorISI_EEEEENSH_IJSG_SG_SG_EEES9_SI_JZNS1_25segmented_radix_sort_implINS0_14default_configELb0EPKaPaPKlPlN2at6native12_GLOBAL__N_18offset_tEEE10hipError_tPvRmT1_PNSt15iterator_traitsIS12_E10value_typeET2_T3_PNS13_IS18_E10value_typeET4_jRbjT5_S1E_jjP12ihipStream_tbEUljE_ZNSN_ISO_Lb0ESQ_SR_ST_SU_SY_EESZ_S10_S11_S12_S16_S17_S18_S1B_S1C_jS1D_jS1E_S1E_jjS1G_bEUljE0_EEESZ_S10_S11_S18_S1C_S1E_T6_T7_T9_mT8_S1G_bDpT10_ENKUlT_T0_E_clISt17integral_constantIbLb1EES1U_EEDaS1P_S1Q_EUlS1P_E_NS1_11comp_targetILNS1_3genE4ELNS1_11target_archE910ELNS1_3gpuE8ELNS1_3repE0EEENS1_30default_config_static_selectorELNS0_4arch9wavefront6targetE1EEEvS12_,"axG",@progbits,_ZN7rocprim17ROCPRIM_400000_NS6detail17trampoline_kernelINS0_13select_configILj256ELj13ELNS0_17block_load_methodE3ELS4_3ELS4_3ELNS0_20block_scan_algorithmE0ELj4294967295EEENS1_25partition_config_selectorILNS1_17partition_subalgoE4EjNS0_10empty_typeEbEEZZNS1_14partition_implILS8_4ELb0ES6_15HIP_vector_typeIjLj2EENS0_17counting_iteratorIjlEEPS9_SG_NS0_5tupleIJPjSI_NS0_16reverse_iteratorISI_EEEEENSH_IJSG_SG_SG_EEES9_SI_JZNS1_25segmented_radix_sort_implINS0_14default_configELb0EPKaPaPKlPlN2at6native12_GLOBAL__N_18offset_tEEE10hipError_tPvRmT1_PNSt15iterator_traitsIS12_E10value_typeET2_T3_PNS13_IS18_E10value_typeET4_jRbjT5_S1E_jjP12ihipStream_tbEUljE_ZNSN_ISO_Lb0ESQ_SR_ST_SU_SY_EESZ_S10_S11_S12_S16_S17_S18_S1B_S1C_jS1D_jS1E_S1E_jjS1G_bEUljE0_EEESZ_S10_S11_S18_S1C_S1E_T6_T7_T9_mT8_S1G_bDpT10_ENKUlT_T0_E_clISt17integral_constantIbLb1EES1U_EEDaS1P_S1Q_EUlS1P_E_NS1_11comp_targetILNS1_3genE4ELNS1_11target_archE910ELNS1_3gpuE8ELNS1_3repE0EEENS1_30default_config_static_selectorELNS0_4arch9wavefront6targetE1EEEvS12_,comdat
.Lfunc_end339:
	.size	_ZN7rocprim17ROCPRIM_400000_NS6detail17trampoline_kernelINS0_13select_configILj256ELj13ELNS0_17block_load_methodE3ELS4_3ELS4_3ELNS0_20block_scan_algorithmE0ELj4294967295EEENS1_25partition_config_selectorILNS1_17partition_subalgoE4EjNS0_10empty_typeEbEEZZNS1_14partition_implILS8_4ELb0ES6_15HIP_vector_typeIjLj2EENS0_17counting_iteratorIjlEEPS9_SG_NS0_5tupleIJPjSI_NS0_16reverse_iteratorISI_EEEEENSH_IJSG_SG_SG_EEES9_SI_JZNS1_25segmented_radix_sort_implINS0_14default_configELb0EPKaPaPKlPlN2at6native12_GLOBAL__N_18offset_tEEE10hipError_tPvRmT1_PNSt15iterator_traitsIS12_E10value_typeET2_T3_PNS13_IS18_E10value_typeET4_jRbjT5_S1E_jjP12ihipStream_tbEUljE_ZNSN_ISO_Lb0ESQ_SR_ST_SU_SY_EESZ_S10_S11_S12_S16_S17_S18_S1B_S1C_jS1D_jS1E_S1E_jjS1G_bEUljE0_EEESZ_S10_S11_S18_S1C_S1E_T6_T7_T9_mT8_S1G_bDpT10_ENKUlT_T0_E_clISt17integral_constantIbLb1EES1U_EEDaS1P_S1Q_EUlS1P_E_NS1_11comp_targetILNS1_3genE4ELNS1_11target_archE910ELNS1_3gpuE8ELNS1_3repE0EEENS1_30default_config_static_selectorELNS0_4arch9wavefront6targetE1EEEvS12_, .Lfunc_end339-_ZN7rocprim17ROCPRIM_400000_NS6detail17trampoline_kernelINS0_13select_configILj256ELj13ELNS0_17block_load_methodE3ELS4_3ELS4_3ELNS0_20block_scan_algorithmE0ELj4294967295EEENS1_25partition_config_selectorILNS1_17partition_subalgoE4EjNS0_10empty_typeEbEEZZNS1_14partition_implILS8_4ELb0ES6_15HIP_vector_typeIjLj2EENS0_17counting_iteratorIjlEEPS9_SG_NS0_5tupleIJPjSI_NS0_16reverse_iteratorISI_EEEEENSH_IJSG_SG_SG_EEES9_SI_JZNS1_25segmented_radix_sort_implINS0_14default_configELb0EPKaPaPKlPlN2at6native12_GLOBAL__N_18offset_tEEE10hipError_tPvRmT1_PNSt15iterator_traitsIS12_E10value_typeET2_T3_PNS13_IS18_E10value_typeET4_jRbjT5_S1E_jjP12ihipStream_tbEUljE_ZNSN_ISO_Lb0ESQ_SR_ST_SU_SY_EESZ_S10_S11_S12_S16_S17_S18_S1B_S1C_jS1D_jS1E_S1E_jjS1G_bEUljE0_EEESZ_S10_S11_S18_S1C_S1E_T6_T7_T9_mT8_S1G_bDpT10_ENKUlT_T0_E_clISt17integral_constantIbLb1EES1U_EEDaS1P_S1Q_EUlS1P_E_NS1_11comp_targetILNS1_3genE4ELNS1_11target_archE910ELNS1_3gpuE8ELNS1_3repE0EEENS1_30default_config_static_selectorELNS0_4arch9wavefront6targetE1EEEvS12_
                                        ; -- End function
	.set _ZN7rocprim17ROCPRIM_400000_NS6detail17trampoline_kernelINS0_13select_configILj256ELj13ELNS0_17block_load_methodE3ELS4_3ELS4_3ELNS0_20block_scan_algorithmE0ELj4294967295EEENS1_25partition_config_selectorILNS1_17partition_subalgoE4EjNS0_10empty_typeEbEEZZNS1_14partition_implILS8_4ELb0ES6_15HIP_vector_typeIjLj2EENS0_17counting_iteratorIjlEEPS9_SG_NS0_5tupleIJPjSI_NS0_16reverse_iteratorISI_EEEEENSH_IJSG_SG_SG_EEES9_SI_JZNS1_25segmented_radix_sort_implINS0_14default_configELb0EPKaPaPKlPlN2at6native12_GLOBAL__N_18offset_tEEE10hipError_tPvRmT1_PNSt15iterator_traitsIS12_E10value_typeET2_T3_PNS13_IS18_E10value_typeET4_jRbjT5_S1E_jjP12ihipStream_tbEUljE_ZNSN_ISO_Lb0ESQ_SR_ST_SU_SY_EESZ_S10_S11_S12_S16_S17_S18_S1B_S1C_jS1D_jS1E_S1E_jjS1G_bEUljE0_EEESZ_S10_S11_S18_S1C_S1E_T6_T7_T9_mT8_S1G_bDpT10_ENKUlT_T0_E_clISt17integral_constantIbLb1EES1U_EEDaS1P_S1Q_EUlS1P_E_NS1_11comp_targetILNS1_3genE4ELNS1_11target_archE910ELNS1_3gpuE8ELNS1_3repE0EEENS1_30default_config_static_selectorELNS0_4arch9wavefront6targetE1EEEvS12_.num_vgpr, 0
	.set _ZN7rocprim17ROCPRIM_400000_NS6detail17trampoline_kernelINS0_13select_configILj256ELj13ELNS0_17block_load_methodE3ELS4_3ELS4_3ELNS0_20block_scan_algorithmE0ELj4294967295EEENS1_25partition_config_selectorILNS1_17partition_subalgoE4EjNS0_10empty_typeEbEEZZNS1_14partition_implILS8_4ELb0ES6_15HIP_vector_typeIjLj2EENS0_17counting_iteratorIjlEEPS9_SG_NS0_5tupleIJPjSI_NS0_16reverse_iteratorISI_EEEEENSH_IJSG_SG_SG_EEES9_SI_JZNS1_25segmented_radix_sort_implINS0_14default_configELb0EPKaPaPKlPlN2at6native12_GLOBAL__N_18offset_tEEE10hipError_tPvRmT1_PNSt15iterator_traitsIS12_E10value_typeET2_T3_PNS13_IS18_E10value_typeET4_jRbjT5_S1E_jjP12ihipStream_tbEUljE_ZNSN_ISO_Lb0ESQ_SR_ST_SU_SY_EESZ_S10_S11_S12_S16_S17_S18_S1B_S1C_jS1D_jS1E_S1E_jjS1G_bEUljE0_EEESZ_S10_S11_S18_S1C_S1E_T6_T7_T9_mT8_S1G_bDpT10_ENKUlT_T0_E_clISt17integral_constantIbLb1EES1U_EEDaS1P_S1Q_EUlS1P_E_NS1_11comp_targetILNS1_3genE4ELNS1_11target_archE910ELNS1_3gpuE8ELNS1_3repE0EEENS1_30default_config_static_selectorELNS0_4arch9wavefront6targetE1EEEvS12_.num_agpr, 0
	.set _ZN7rocprim17ROCPRIM_400000_NS6detail17trampoline_kernelINS0_13select_configILj256ELj13ELNS0_17block_load_methodE3ELS4_3ELS4_3ELNS0_20block_scan_algorithmE0ELj4294967295EEENS1_25partition_config_selectorILNS1_17partition_subalgoE4EjNS0_10empty_typeEbEEZZNS1_14partition_implILS8_4ELb0ES6_15HIP_vector_typeIjLj2EENS0_17counting_iteratorIjlEEPS9_SG_NS0_5tupleIJPjSI_NS0_16reverse_iteratorISI_EEEEENSH_IJSG_SG_SG_EEES9_SI_JZNS1_25segmented_radix_sort_implINS0_14default_configELb0EPKaPaPKlPlN2at6native12_GLOBAL__N_18offset_tEEE10hipError_tPvRmT1_PNSt15iterator_traitsIS12_E10value_typeET2_T3_PNS13_IS18_E10value_typeET4_jRbjT5_S1E_jjP12ihipStream_tbEUljE_ZNSN_ISO_Lb0ESQ_SR_ST_SU_SY_EESZ_S10_S11_S12_S16_S17_S18_S1B_S1C_jS1D_jS1E_S1E_jjS1G_bEUljE0_EEESZ_S10_S11_S18_S1C_S1E_T6_T7_T9_mT8_S1G_bDpT10_ENKUlT_T0_E_clISt17integral_constantIbLb1EES1U_EEDaS1P_S1Q_EUlS1P_E_NS1_11comp_targetILNS1_3genE4ELNS1_11target_archE910ELNS1_3gpuE8ELNS1_3repE0EEENS1_30default_config_static_selectorELNS0_4arch9wavefront6targetE1EEEvS12_.numbered_sgpr, 0
	.set _ZN7rocprim17ROCPRIM_400000_NS6detail17trampoline_kernelINS0_13select_configILj256ELj13ELNS0_17block_load_methodE3ELS4_3ELS4_3ELNS0_20block_scan_algorithmE0ELj4294967295EEENS1_25partition_config_selectorILNS1_17partition_subalgoE4EjNS0_10empty_typeEbEEZZNS1_14partition_implILS8_4ELb0ES6_15HIP_vector_typeIjLj2EENS0_17counting_iteratorIjlEEPS9_SG_NS0_5tupleIJPjSI_NS0_16reverse_iteratorISI_EEEEENSH_IJSG_SG_SG_EEES9_SI_JZNS1_25segmented_radix_sort_implINS0_14default_configELb0EPKaPaPKlPlN2at6native12_GLOBAL__N_18offset_tEEE10hipError_tPvRmT1_PNSt15iterator_traitsIS12_E10value_typeET2_T3_PNS13_IS18_E10value_typeET4_jRbjT5_S1E_jjP12ihipStream_tbEUljE_ZNSN_ISO_Lb0ESQ_SR_ST_SU_SY_EESZ_S10_S11_S12_S16_S17_S18_S1B_S1C_jS1D_jS1E_S1E_jjS1G_bEUljE0_EEESZ_S10_S11_S18_S1C_S1E_T6_T7_T9_mT8_S1G_bDpT10_ENKUlT_T0_E_clISt17integral_constantIbLb1EES1U_EEDaS1P_S1Q_EUlS1P_E_NS1_11comp_targetILNS1_3genE4ELNS1_11target_archE910ELNS1_3gpuE8ELNS1_3repE0EEENS1_30default_config_static_selectorELNS0_4arch9wavefront6targetE1EEEvS12_.num_named_barrier, 0
	.set _ZN7rocprim17ROCPRIM_400000_NS6detail17trampoline_kernelINS0_13select_configILj256ELj13ELNS0_17block_load_methodE3ELS4_3ELS4_3ELNS0_20block_scan_algorithmE0ELj4294967295EEENS1_25partition_config_selectorILNS1_17partition_subalgoE4EjNS0_10empty_typeEbEEZZNS1_14partition_implILS8_4ELb0ES6_15HIP_vector_typeIjLj2EENS0_17counting_iteratorIjlEEPS9_SG_NS0_5tupleIJPjSI_NS0_16reverse_iteratorISI_EEEEENSH_IJSG_SG_SG_EEES9_SI_JZNS1_25segmented_radix_sort_implINS0_14default_configELb0EPKaPaPKlPlN2at6native12_GLOBAL__N_18offset_tEEE10hipError_tPvRmT1_PNSt15iterator_traitsIS12_E10value_typeET2_T3_PNS13_IS18_E10value_typeET4_jRbjT5_S1E_jjP12ihipStream_tbEUljE_ZNSN_ISO_Lb0ESQ_SR_ST_SU_SY_EESZ_S10_S11_S12_S16_S17_S18_S1B_S1C_jS1D_jS1E_S1E_jjS1G_bEUljE0_EEESZ_S10_S11_S18_S1C_S1E_T6_T7_T9_mT8_S1G_bDpT10_ENKUlT_T0_E_clISt17integral_constantIbLb1EES1U_EEDaS1P_S1Q_EUlS1P_E_NS1_11comp_targetILNS1_3genE4ELNS1_11target_archE910ELNS1_3gpuE8ELNS1_3repE0EEENS1_30default_config_static_selectorELNS0_4arch9wavefront6targetE1EEEvS12_.private_seg_size, 0
	.set _ZN7rocprim17ROCPRIM_400000_NS6detail17trampoline_kernelINS0_13select_configILj256ELj13ELNS0_17block_load_methodE3ELS4_3ELS4_3ELNS0_20block_scan_algorithmE0ELj4294967295EEENS1_25partition_config_selectorILNS1_17partition_subalgoE4EjNS0_10empty_typeEbEEZZNS1_14partition_implILS8_4ELb0ES6_15HIP_vector_typeIjLj2EENS0_17counting_iteratorIjlEEPS9_SG_NS0_5tupleIJPjSI_NS0_16reverse_iteratorISI_EEEEENSH_IJSG_SG_SG_EEES9_SI_JZNS1_25segmented_radix_sort_implINS0_14default_configELb0EPKaPaPKlPlN2at6native12_GLOBAL__N_18offset_tEEE10hipError_tPvRmT1_PNSt15iterator_traitsIS12_E10value_typeET2_T3_PNS13_IS18_E10value_typeET4_jRbjT5_S1E_jjP12ihipStream_tbEUljE_ZNSN_ISO_Lb0ESQ_SR_ST_SU_SY_EESZ_S10_S11_S12_S16_S17_S18_S1B_S1C_jS1D_jS1E_S1E_jjS1G_bEUljE0_EEESZ_S10_S11_S18_S1C_S1E_T6_T7_T9_mT8_S1G_bDpT10_ENKUlT_T0_E_clISt17integral_constantIbLb1EES1U_EEDaS1P_S1Q_EUlS1P_E_NS1_11comp_targetILNS1_3genE4ELNS1_11target_archE910ELNS1_3gpuE8ELNS1_3repE0EEENS1_30default_config_static_selectorELNS0_4arch9wavefront6targetE1EEEvS12_.uses_vcc, 0
	.set _ZN7rocprim17ROCPRIM_400000_NS6detail17trampoline_kernelINS0_13select_configILj256ELj13ELNS0_17block_load_methodE3ELS4_3ELS4_3ELNS0_20block_scan_algorithmE0ELj4294967295EEENS1_25partition_config_selectorILNS1_17partition_subalgoE4EjNS0_10empty_typeEbEEZZNS1_14partition_implILS8_4ELb0ES6_15HIP_vector_typeIjLj2EENS0_17counting_iteratorIjlEEPS9_SG_NS0_5tupleIJPjSI_NS0_16reverse_iteratorISI_EEEEENSH_IJSG_SG_SG_EEES9_SI_JZNS1_25segmented_radix_sort_implINS0_14default_configELb0EPKaPaPKlPlN2at6native12_GLOBAL__N_18offset_tEEE10hipError_tPvRmT1_PNSt15iterator_traitsIS12_E10value_typeET2_T3_PNS13_IS18_E10value_typeET4_jRbjT5_S1E_jjP12ihipStream_tbEUljE_ZNSN_ISO_Lb0ESQ_SR_ST_SU_SY_EESZ_S10_S11_S12_S16_S17_S18_S1B_S1C_jS1D_jS1E_S1E_jjS1G_bEUljE0_EEESZ_S10_S11_S18_S1C_S1E_T6_T7_T9_mT8_S1G_bDpT10_ENKUlT_T0_E_clISt17integral_constantIbLb1EES1U_EEDaS1P_S1Q_EUlS1P_E_NS1_11comp_targetILNS1_3genE4ELNS1_11target_archE910ELNS1_3gpuE8ELNS1_3repE0EEENS1_30default_config_static_selectorELNS0_4arch9wavefront6targetE1EEEvS12_.uses_flat_scratch, 0
	.set _ZN7rocprim17ROCPRIM_400000_NS6detail17trampoline_kernelINS0_13select_configILj256ELj13ELNS0_17block_load_methodE3ELS4_3ELS4_3ELNS0_20block_scan_algorithmE0ELj4294967295EEENS1_25partition_config_selectorILNS1_17partition_subalgoE4EjNS0_10empty_typeEbEEZZNS1_14partition_implILS8_4ELb0ES6_15HIP_vector_typeIjLj2EENS0_17counting_iteratorIjlEEPS9_SG_NS0_5tupleIJPjSI_NS0_16reverse_iteratorISI_EEEEENSH_IJSG_SG_SG_EEES9_SI_JZNS1_25segmented_radix_sort_implINS0_14default_configELb0EPKaPaPKlPlN2at6native12_GLOBAL__N_18offset_tEEE10hipError_tPvRmT1_PNSt15iterator_traitsIS12_E10value_typeET2_T3_PNS13_IS18_E10value_typeET4_jRbjT5_S1E_jjP12ihipStream_tbEUljE_ZNSN_ISO_Lb0ESQ_SR_ST_SU_SY_EESZ_S10_S11_S12_S16_S17_S18_S1B_S1C_jS1D_jS1E_S1E_jjS1G_bEUljE0_EEESZ_S10_S11_S18_S1C_S1E_T6_T7_T9_mT8_S1G_bDpT10_ENKUlT_T0_E_clISt17integral_constantIbLb1EES1U_EEDaS1P_S1Q_EUlS1P_E_NS1_11comp_targetILNS1_3genE4ELNS1_11target_archE910ELNS1_3gpuE8ELNS1_3repE0EEENS1_30default_config_static_selectorELNS0_4arch9wavefront6targetE1EEEvS12_.has_dyn_sized_stack, 0
	.set _ZN7rocprim17ROCPRIM_400000_NS6detail17trampoline_kernelINS0_13select_configILj256ELj13ELNS0_17block_load_methodE3ELS4_3ELS4_3ELNS0_20block_scan_algorithmE0ELj4294967295EEENS1_25partition_config_selectorILNS1_17partition_subalgoE4EjNS0_10empty_typeEbEEZZNS1_14partition_implILS8_4ELb0ES6_15HIP_vector_typeIjLj2EENS0_17counting_iteratorIjlEEPS9_SG_NS0_5tupleIJPjSI_NS0_16reverse_iteratorISI_EEEEENSH_IJSG_SG_SG_EEES9_SI_JZNS1_25segmented_radix_sort_implINS0_14default_configELb0EPKaPaPKlPlN2at6native12_GLOBAL__N_18offset_tEEE10hipError_tPvRmT1_PNSt15iterator_traitsIS12_E10value_typeET2_T3_PNS13_IS18_E10value_typeET4_jRbjT5_S1E_jjP12ihipStream_tbEUljE_ZNSN_ISO_Lb0ESQ_SR_ST_SU_SY_EESZ_S10_S11_S12_S16_S17_S18_S1B_S1C_jS1D_jS1E_S1E_jjS1G_bEUljE0_EEESZ_S10_S11_S18_S1C_S1E_T6_T7_T9_mT8_S1G_bDpT10_ENKUlT_T0_E_clISt17integral_constantIbLb1EES1U_EEDaS1P_S1Q_EUlS1P_E_NS1_11comp_targetILNS1_3genE4ELNS1_11target_archE910ELNS1_3gpuE8ELNS1_3repE0EEENS1_30default_config_static_selectorELNS0_4arch9wavefront6targetE1EEEvS12_.has_recursion, 0
	.set _ZN7rocprim17ROCPRIM_400000_NS6detail17trampoline_kernelINS0_13select_configILj256ELj13ELNS0_17block_load_methodE3ELS4_3ELS4_3ELNS0_20block_scan_algorithmE0ELj4294967295EEENS1_25partition_config_selectorILNS1_17partition_subalgoE4EjNS0_10empty_typeEbEEZZNS1_14partition_implILS8_4ELb0ES6_15HIP_vector_typeIjLj2EENS0_17counting_iteratorIjlEEPS9_SG_NS0_5tupleIJPjSI_NS0_16reverse_iteratorISI_EEEEENSH_IJSG_SG_SG_EEES9_SI_JZNS1_25segmented_radix_sort_implINS0_14default_configELb0EPKaPaPKlPlN2at6native12_GLOBAL__N_18offset_tEEE10hipError_tPvRmT1_PNSt15iterator_traitsIS12_E10value_typeET2_T3_PNS13_IS18_E10value_typeET4_jRbjT5_S1E_jjP12ihipStream_tbEUljE_ZNSN_ISO_Lb0ESQ_SR_ST_SU_SY_EESZ_S10_S11_S12_S16_S17_S18_S1B_S1C_jS1D_jS1E_S1E_jjS1G_bEUljE0_EEESZ_S10_S11_S18_S1C_S1E_T6_T7_T9_mT8_S1G_bDpT10_ENKUlT_T0_E_clISt17integral_constantIbLb1EES1U_EEDaS1P_S1Q_EUlS1P_E_NS1_11comp_targetILNS1_3genE4ELNS1_11target_archE910ELNS1_3gpuE8ELNS1_3repE0EEENS1_30default_config_static_selectorELNS0_4arch9wavefront6targetE1EEEvS12_.has_indirect_call, 0
	.section	.AMDGPU.csdata,"",@progbits
; Kernel info:
; codeLenInByte = 0
; TotalNumSgprs: 4
; NumVgprs: 0
; ScratchSize: 0
; MemoryBound: 0
; FloatMode: 240
; IeeeMode: 1
; LDSByteSize: 0 bytes/workgroup (compile time only)
; SGPRBlocks: 0
; VGPRBlocks: 0
; NumSGPRsForWavesPerEU: 4
; NumVGPRsForWavesPerEU: 1
; Occupancy: 10
; WaveLimiterHint : 0
; COMPUTE_PGM_RSRC2:SCRATCH_EN: 0
; COMPUTE_PGM_RSRC2:USER_SGPR: 6
; COMPUTE_PGM_RSRC2:TRAP_HANDLER: 0
; COMPUTE_PGM_RSRC2:TGID_X_EN: 1
; COMPUTE_PGM_RSRC2:TGID_Y_EN: 0
; COMPUTE_PGM_RSRC2:TGID_Z_EN: 0
; COMPUTE_PGM_RSRC2:TIDIG_COMP_CNT: 0
	.section	.text._ZN7rocprim17ROCPRIM_400000_NS6detail17trampoline_kernelINS0_13select_configILj256ELj13ELNS0_17block_load_methodE3ELS4_3ELS4_3ELNS0_20block_scan_algorithmE0ELj4294967295EEENS1_25partition_config_selectorILNS1_17partition_subalgoE4EjNS0_10empty_typeEbEEZZNS1_14partition_implILS8_4ELb0ES6_15HIP_vector_typeIjLj2EENS0_17counting_iteratorIjlEEPS9_SG_NS0_5tupleIJPjSI_NS0_16reverse_iteratorISI_EEEEENSH_IJSG_SG_SG_EEES9_SI_JZNS1_25segmented_radix_sort_implINS0_14default_configELb0EPKaPaPKlPlN2at6native12_GLOBAL__N_18offset_tEEE10hipError_tPvRmT1_PNSt15iterator_traitsIS12_E10value_typeET2_T3_PNS13_IS18_E10value_typeET4_jRbjT5_S1E_jjP12ihipStream_tbEUljE_ZNSN_ISO_Lb0ESQ_SR_ST_SU_SY_EESZ_S10_S11_S12_S16_S17_S18_S1B_S1C_jS1D_jS1E_S1E_jjS1G_bEUljE0_EEESZ_S10_S11_S18_S1C_S1E_T6_T7_T9_mT8_S1G_bDpT10_ENKUlT_T0_E_clISt17integral_constantIbLb1EES1U_EEDaS1P_S1Q_EUlS1P_E_NS1_11comp_targetILNS1_3genE3ELNS1_11target_archE908ELNS1_3gpuE7ELNS1_3repE0EEENS1_30default_config_static_selectorELNS0_4arch9wavefront6targetE1EEEvS12_,"axG",@progbits,_ZN7rocprim17ROCPRIM_400000_NS6detail17trampoline_kernelINS0_13select_configILj256ELj13ELNS0_17block_load_methodE3ELS4_3ELS4_3ELNS0_20block_scan_algorithmE0ELj4294967295EEENS1_25partition_config_selectorILNS1_17partition_subalgoE4EjNS0_10empty_typeEbEEZZNS1_14partition_implILS8_4ELb0ES6_15HIP_vector_typeIjLj2EENS0_17counting_iteratorIjlEEPS9_SG_NS0_5tupleIJPjSI_NS0_16reverse_iteratorISI_EEEEENSH_IJSG_SG_SG_EEES9_SI_JZNS1_25segmented_radix_sort_implINS0_14default_configELb0EPKaPaPKlPlN2at6native12_GLOBAL__N_18offset_tEEE10hipError_tPvRmT1_PNSt15iterator_traitsIS12_E10value_typeET2_T3_PNS13_IS18_E10value_typeET4_jRbjT5_S1E_jjP12ihipStream_tbEUljE_ZNSN_ISO_Lb0ESQ_SR_ST_SU_SY_EESZ_S10_S11_S12_S16_S17_S18_S1B_S1C_jS1D_jS1E_S1E_jjS1G_bEUljE0_EEESZ_S10_S11_S18_S1C_S1E_T6_T7_T9_mT8_S1G_bDpT10_ENKUlT_T0_E_clISt17integral_constantIbLb1EES1U_EEDaS1P_S1Q_EUlS1P_E_NS1_11comp_targetILNS1_3genE3ELNS1_11target_archE908ELNS1_3gpuE7ELNS1_3repE0EEENS1_30default_config_static_selectorELNS0_4arch9wavefront6targetE1EEEvS12_,comdat
	.globl	_ZN7rocprim17ROCPRIM_400000_NS6detail17trampoline_kernelINS0_13select_configILj256ELj13ELNS0_17block_load_methodE3ELS4_3ELS4_3ELNS0_20block_scan_algorithmE0ELj4294967295EEENS1_25partition_config_selectorILNS1_17partition_subalgoE4EjNS0_10empty_typeEbEEZZNS1_14partition_implILS8_4ELb0ES6_15HIP_vector_typeIjLj2EENS0_17counting_iteratorIjlEEPS9_SG_NS0_5tupleIJPjSI_NS0_16reverse_iteratorISI_EEEEENSH_IJSG_SG_SG_EEES9_SI_JZNS1_25segmented_radix_sort_implINS0_14default_configELb0EPKaPaPKlPlN2at6native12_GLOBAL__N_18offset_tEEE10hipError_tPvRmT1_PNSt15iterator_traitsIS12_E10value_typeET2_T3_PNS13_IS18_E10value_typeET4_jRbjT5_S1E_jjP12ihipStream_tbEUljE_ZNSN_ISO_Lb0ESQ_SR_ST_SU_SY_EESZ_S10_S11_S12_S16_S17_S18_S1B_S1C_jS1D_jS1E_S1E_jjS1G_bEUljE0_EEESZ_S10_S11_S18_S1C_S1E_T6_T7_T9_mT8_S1G_bDpT10_ENKUlT_T0_E_clISt17integral_constantIbLb1EES1U_EEDaS1P_S1Q_EUlS1P_E_NS1_11comp_targetILNS1_3genE3ELNS1_11target_archE908ELNS1_3gpuE7ELNS1_3repE0EEENS1_30default_config_static_selectorELNS0_4arch9wavefront6targetE1EEEvS12_ ; -- Begin function _ZN7rocprim17ROCPRIM_400000_NS6detail17trampoline_kernelINS0_13select_configILj256ELj13ELNS0_17block_load_methodE3ELS4_3ELS4_3ELNS0_20block_scan_algorithmE0ELj4294967295EEENS1_25partition_config_selectorILNS1_17partition_subalgoE4EjNS0_10empty_typeEbEEZZNS1_14partition_implILS8_4ELb0ES6_15HIP_vector_typeIjLj2EENS0_17counting_iteratorIjlEEPS9_SG_NS0_5tupleIJPjSI_NS0_16reverse_iteratorISI_EEEEENSH_IJSG_SG_SG_EEES9_SI_JZNS1_25segmented_radix_sort_implINS0_14default_configELb0EPKaPaPKlPlN2at6native12_GLOBAL__N_18offset_tEEE10hipError_tPvRmT1_PNSt15iterator_traitsIS12_E10value_typeET2_T3_PNS13_IS18_E10value_typeET4_jRbjT5_S1E_jjP12ihipStream_tbEUljE_ZNSN_ISO_Lb0ESQ_SR_ST_SU_SY_EESZ_S10_S11_S12_S16_S17_S18_S1B_S1C_jS1D_jS1E_S1E_jjS1G_bEUljE0_EEESZ_S10_S11_S18_S1C_S1E_T6_T7_T9_mT8_S1G_bDpT10_ENKUlT_T0_E_clISt17integral_constantIbLb1EES1U_EEDaS1P_S1Q_EUlS1P_E_NS1_11comp_targetILNS1_3genE3ELNS1_11target_archE908ELNS1_3gpuE7ELNS1_3repE0EEENS1_30default_config_static_selectorELNS0_4arch9wavefront6targetE1EEEvS12_
	.p2align	8
	.type	_ZN7rocprim17ROCPRIM_400000_NS6detail17trampoline_kernelINS0_13select_configILj256ELj13ELNS0_17block_load_methodE3ELS4_3ELS4_3ELNS0_20block_scan_algorithmE0ELj4294967295EEENS1_25partition_config_selectorILNS1_17partition_subalgoE4EjNS0_10empty_typeEbEEZZNS1_14partition_implILS8_4ELb0ES6_15HIP_vector_typeIjLj2EENS0_17counting_iteratorIjlEEPS9_SG_NS0_5tupleIJPjSI_NS0_16reverse_iteratorISI_EEEEENSH_IJSG_SG_SG_EEES9_SI_JZNS1_25segmented_radix_sort_implINS0_14default_configELb0EPKaPaPKlPlN2at6native12_GLOBAL__N_18offset_tEEE10hipError_tPvRmT1_PNSt15iterator_traitsIS12_E10value_typeET2_T3_PNS13_IS18_E10value_typeET4_jRbjT5_S1E_jjP12ihipStream_tbEUljE_ZNSN_ISO_Lb0ESQ_SR_ST_SU_SY_EESZ_S10_S11_S12_S16_S17_S18_S1B_S1C_jS1D_jS1E_S1E_jjS1G_bEUljE0_EEESZ_S10_S11_S18_S1C_S1E_T6_T7_T9_mT8_S1G_bDpT10_ENKUlT_T0_E_clISt17integral_constantIbLb1EES1U_EEDaS1P_S1Q_EUlS1P_E_NS1_11comp_targetILNS1_3genE3ELNS1_11target_archE908ELNS1_3gpuE7ELNS1_3repE0EEENS1_30default_config_static_selectorELNS0_4arch9wavefront6targetE1EEEvS12_,@function
_ZN7rocprim17ROCPRIM_400000_NS6detail17trampoline_kernelINS0_13select_configILj256ELj13ELNS0_17block_load_methodE3ELS4_3ELS4_3ELNS0_20block_scan_algorithmE0ELj4294967295EEENS1_25partition_config_selectorILNS1_17partition_subalgoE4EjNS0_10empty_typeEbEEZZNS1_14partition_implILS8_4ELb0ES6_15HIP_vector_typeIjLj2EENS0_17counting_iteratorIjlEEPS9_SG_NS0_5tupleIJPjSI_NS0_16reverse_iteratorISI_EEEEENSH_IJSG_SG_SG_EEES9_SI_JZNS1_25segmented_radix_sort_implINS0_14default_configELb0EPKaPaPKlPlN2at6native12_GLOBAL__N_18offset_tEEE10hipError_tPvRmT1_PNSt15iterator_traitsIS12_E10value_typeET2_T3_PNS13_IS18_E10value_typeET4_jRbjT5_S1E_jjP12ihipStream_tbEUljE_ZNSN_ISO_Lb0ESQ_SR_ST_SU_SY_EESZ_S10_S11_S12_S16_S17_S18_S1B_S1C_jS1D_jS1E_S1E_jjS1G_bEUljE0_EEESZ_S10_S11_S18_S1C_S1E_T6_T7_T9_mT8_S1G_bDpT10_ENKUlT_T0_E_clISt17integral_constantIbLb1EES1U_EEDaS1P_S1Q_EUlS1P_E_NS1_11comp_targetILNS1_3genE3ELNS1_11target_archE908ELNS1_3gpuE7ELNS1_3repE0EEENS1_30default_config_static_selectorELNS0_4arch9wavefront6targetE1EEEvS12_: ; @_ZN7rocprim17ROCPRIM_400000_NS6detail17trampoline_kernelINS0_13select_configILj256ELj13ELNS0_17block_load_methodE3ELS4_3ELS4_3ELNS0_20block_scan_algorithmE0ELj4294967295EEENS1_25partition_config_selectorILNS1_17partition_subalgoE4EjNS0_10empty_typeEbEEZZNS1_14partition_implILS8_4ELb0ES6_15HIP_vector_typeIjLj2EENS0_17counting_iteratorIjlEEPS9_SG_NS0_5tupleIJPjSI_NS0_16reverse_iteratorISI_EEEEENSH_IJSG_SG_SG_EEES9_SI_JZNS1_25segmented_radix_sort_implINS0_14default_configELb0EPKaPaPKlPlN2at6native12_GLOBAL__N_18offset_tEEE10hipError_tPvRmT1_PNSt15iterator_traitsIS12_E10value_typeET2_T3_PNS13_IS18_E10value_typeET4_jRbjT5_S1E_jjP12ihipStream_tbEUljE_ZNSN_ISO_Lb0ESQ_SR_ST_SU_SY_EESZ_S10_S11_S12_S16_S17_S18_S1B_S1C_jS1D_jS1E_S1E_jjS1G_bEUljE0_EEESZ_S10_S11_S18_S1C_S1E_T6_T7_T9_mT8_S1G_bDpT10_ENKUlT_T0_E_clISt17integral_constantIbLb1EES1U_EEDaS1P_S1Q_EUlS1P_E_NS1_11comp_targetILNS1_3genE3ELNS1_11target_archE908ELNS1_3gpuE7ELNS1_3repE0EEENS1_30default_config_static_selectorELNS0_4arch9wavefront6targetE1EEEvS12_
; %bb.0:
	.section	.rodata,"a",@progbits
	.p2align	6, 0x0
	.amdhsa_kernel _ZN7rocprim17ROCPRIM_400000_NS6detail17trampoline_kernelINS0_13select_configILj256ELj13ELNS0_17block_load_methodE3ELS4_3ELS4_3ELNS0_20block_scan_algorithmE0ELj4294967295EEENS1_25partition_config_selectorILNS1_17partition_subalgoE4EjNS0_10empty_typeEbEEZZNS1_14partition_implILS8_4ELb0ES6_15HIP_vector_typeIjLj2EENS0_17counting_iteratorIjlEEPS9_SG_NS0_5tupleIJPjSI_NS0_16reverse_iteratorISI_EEEEENSH_IJSG_SG_SG_EEES9_SI_JZNS1_25segmented_radix_sort_implINS0_14default_configELb0EPKaPaPKlPlN2at6native12_GLOBAL__N_18offset_tEEE10hipError_tPvRmT1_PNSt15iterator_traitsIS12_E10value_typeET2_T3_PNS13_IS18_E10value_typeET4_jRbjT5_S1E_jjP12ihipStream_tbEUljE_ZNSN_ISO_Lb0ESQ_SR_ST_SU_SY_EESZ_S10_S11_S12_S16_S17_S18_S1B_S1C_jS1D_jS1E_S1E_jjS1G_bEUljE0_EEESZ_S10_S11_S18_S1C_S1E_T6_T7_T9_mT8_S1G_bDpT10_ENKUlT_T0_E_clISt17integral_constantIbLb1EES1U_EEDaS1P_S1Q_EUlS1P_E_NS1_11comp_targetILNS1_3genE3ELNS1_11target_archE908ELNS1_3gpuE7ELNS1_3repE0EEENS1_30default_config_static_selectorELNS0_4arch9wavefront6targetE1EEEvS12_
		.amdhsa_group_segment_fixed_size 0
		.amdhsa_private_segment_fixed_size 0
		.amdhsa_kernarg_size 184
		.amdhsa_user_sgpr_count 6
		.amdhsa_user_sgpr_private_segment_buffer 1
		.amdhsa_user_sgpr_dispatch_ptr 0
		.amdhsa_user_sgpr_queue_ptr 0
		.amdhsa_user_sgpr_kernarg_segment_ptr 1
		.amdhsa_user_sgpr_dispatch_id 0
		.amdhsa_user_sgpr_flat_scratch_init 0
		.amdhsa_user_sgpr_private_segment_size 0
		.amdhsa_uses_dynamic_stack 0
		.amdhsa_system_sgpr_private_segment_wavefront_offset 0
		.amdhsa_system_sgpr_workgroup_id_x 1
		.amdhsa_system_sgpr_workgroup_id_y 0
		.amdhsa_system_sgpr_workgroup_id_z 0
		.amdhsa_system_sgpr_workgroup_info 0
		.amdhsa_system_vgpr_workitem_id 0
		.amdhsa_next_free_vgpr 1
		.amdhsa_next_free_sgpr 0
		.amdhsa_reserve_vcc 0
		.amdhsa_reserve_flat_scratch 0
		.amdhsa_float_round_mode_32 0
		.amdhsa_float_round_mode_16_64 0
		.amdhsa_float_denorm_mode_32 3
		.amdhsa_float_denorm_mode_16_64 3
		.amdhsa_dx10_clamp 1
		.amdhsa_ieee_mode 1
		.amdhsa_fp16_overflow 0
		.amdhsa_exception_fp_ieee_invalid_op 0
		.amdhsa_exception_fp_denorm_src 0
		.amdhsa_exception_fp_ieee_div_zero 0
		.amdhsa_exception_fp_ieee_overflow 0
		.amdhsa_exception_fp_ieee_underflow 0
		.amdhsa_exception_fp_ieee_inexact 0
		.amdhsa_exception_int_div_zero 0
	.end_amdhsa_kernel
	.section	.text._ZN7rocprim17ROCPRIM_400000_NS6detail17trampoline_kernelINS0_13select_configILj256ELj13ELNS0_17block_load_methodE3ELS4_3ELS4_3ELNS0_20block_scan_algorithmE0ELj4294967295EEENS1_25partition_config_selectorILNS1_17partition_subalgoE4EjNS0_10empty_typeEbEEZZNS1_14partition_implILS8_4ELb0ES6_15HIP_vector_typeIjLj2EENS0_17counting_iteratorIjlEEPS9_SG_NS0_5tupleIJPjSI_NS0_16reverse_iteratorISI_EEEEENSH_IJSG_SG_SG_EEES9_SI_JZNS1_25segmented_radix_sort_implINS0_14default_configELb0EPKaPaPKlPlN2at6native12_GLOBAL__N_18offset_tEEE10hipError_tPvRmT1_PNSt15iterator_traitsIS12_E10value_typeET2_T3_PNS13_IS18_E10value_typeET4_jRbjT5_S1E_jjP12ihipStream_tbEUljE_ZNSN_ISO_Lb0ESQ_SR_ST_SU_SY_EESZ_S10_S11_S12_S16_S17_S18_S1B_S1C_jS1D_jS1E_S1E_jjS1G_bEUljE0_EEESZ_S10_S11_S18_S1C_S1E_T6_T7_T9_mT8_S1G_bDpT10_ENKUlT_T0_E_clISt17integral_constantIbLb1EES1U_EEDaS1P_S1Q_EUlS1P_E_NS1_11comp_targetILNS1_3genE3ELNS1_11target_archE908ELNS1_3gpuE7ELNS1_3repE0EEENS1_30default_config_static_selectorELNS0_4arch9wavefront6targetE1EEEvS12_,"axG",@progbits,_ZN7rocprim17ROCPRIM_400000_NS6detail17trampoline_kernelINS0_13select_configILj256ELj13ELNS0_17block_load_methodE3ELS4_3ELS4_3ELNS0_20block_scan_algorithmE0ELj4294967295EEENS1_25partition_config_selectorILNS1_17partition_subalgoE4EjNS0_10empty_typeEbEEZZNS1_14partition_implILS8_4ELb0ES6_15HIP_vector_typeIjLj2EENS0_17counting_iteratorIjlEEPS9_SG_NS0_5tupleIJPjSI_NS0_16reverse_iteratorISI_EEEEENSH_IJSG_SG_SG_EEES9_SI_JZNS1_25segmented_radix_sort_implINS0_14default_configELb0EPKaPaPKlPlN2at6native12_GLOBAL__N_18offset_tEEE10hipError_tPvRmT1_PNSt15iterator_traitsIS12_E10value_typeET2_T3_PNS13_IS18_E10value_typeET4_jRbjT5_S1E_jjP12ihipStream_tbEUljE_ZNSN_ISO_Lb0ESQ_SR_ST_SU_SY_EESZ_S10_S11_S12_S16_S17_S18_S1B_S1C_jS1D_jS1E_S1E_jjS1G_bEUljE0_EEESZ_S10_S11_S18_S1C_S1E_T6_T7_T9_mT8_S1G_bDpT10_ENKUlT_T0_E_clISt17integral_constantIbLb1EES1U_EEDaS1P_S1Q_EUlS1P_E_NS1_11comp_targetILNS1_3genE3ELNS1_11target_archE908ELNS1_3gpuE7ELNS1_3repE0EEENS1_30default_config_static_selectorELNS0_4arch9wavefront6targetE1EEEvS12_,comdat
.Lfunc_end340:
	.size	_ZN7rocprim17ROCPRIM_400000_NS6detail17trampoline_kernelINS0_13select_configILj256ELj13ELNS0_17block_load_methodE3ELS4_3ELS4_3ELNS0_20block_scan_algorithmE0ELj4294967295EEENS1_25partition_config_selectorILNS1_17partition_subalgoE4EjNS0_10empty_typeEbEEZZNS1_14partition_implILS8_4ELb0ES6_15HIP_vector_typeIjLj2EENS0_17counting_iteratorIjlEEPS9_SG_NS0_5tupleIJPjSI_NS0_16reverse_iteratorISI_EEEEENSH_IJSG_SG_SG_EEES9_SI_JZNS1_25segmented_radix_sort_implINS0_14default_configELb0EPKaPaPKlPlN2at6native12_GLOBAL__N_18offset_tEEE10hipError_tPvRmT1_PNSt15iterator_traitsIS12_E10value_typeET2_T3_PNS13_IS18_E10value_typeET4_jRbjT5_S1E_jjP12ihipStream_tbEUljE_ZNSN_ISO_Lb0ESQ_SR_ST_SU_SY_EESZ_S10_S11_S12_S16_S17_S18_S1B_S1C_jS1D_jS1E_S1E_jjS1G_bEUljE0_EEESZ_S10_S11_S18_S1C_S1E_T6_T7_T9_mT8_S1G_bDpT10_ENKUlT_T0_E_clISt17integral_constantIbLb1EES1U_EEDaS1P_S1Q_EUlS1P_E_NS1_11comp_targetILNS1_3genE3ELNS1_11target_archE908ELNS1_3gpuE7ELNS1_3repE0EEENS1_30default_config_static_selectorELNS0_4arch9wavefront6targetE1EEEvS12_, .Lfunc_end340-_ZN7rocprim17ROCPRIM_400000_NS6detail17trampoline_kernelINS0_13select_configILj256ELj13ELNS0_17block_load_methodE3ELS4_3ELS4_3ELNS0_20block_scan_algorithmE0ELj4294967295EEENS1_25partition_config_selectorILNS1_17partition_subalgoE4EjNS0_10empty_typeEbEEZZNS1_14partition_implILS8_4ELb0ES6_15HIP_vector_typeIjLj2EENS0_17counting_iteratorIjlEEPS9_SG_NS0_5tupleIJPjSI_NS0_16reverse_iteratorISI_EEEEENSH_IJSG_SG_SG_EEES9_SI_JZNS1_25segmented_radix_sort_implINS0_14default_configELb0EPKaPaPKlPlN2at6native12_GLOBAL__N_18offset_tEEE10hipError_tPvRmT1_PNSt15iterator_traitsIS12_E10value_typeET2_T3_PNS13_IS18_E10value_typeET4_jRbjT5_S1E_jjP12ihipStream_tbEUljE_ZNSN_ISO_Lb0ESQ_SR_ST_SU_SY_EESZ_S10_S11_S12_S16_S17_S18_S1B_S1C_jS1D_jS1E_S1E_jjS1G_bEUljE0_EEESZ_S10_S11_S18_S1C_S1E_T6_T7_T9_mT8_S1G_bDpT10_ENKUlT_T0_E_clISt17integral_constantIbLb1EES1U_EEDaS1P_S1Q_EUlS1P_E_NS1_11comp_targetILNS1_3genE3ELNS1_11target_archE908ELNS1_3gpuE7ELNS1_3repE0EEENS1_30default_config_static_selectorELNS0_4arch9wavefront6targetE1EEEvS12_
                                        ; -- End function
	.set _ZN7rocprim17ROCPRIM_400000_NS6detail17trampoline_kernelINS0_13select_configILj256ELj13ELNS0_17block_load_methodE3ELS4_3ELS4_3ELNS0_20block_scan_algorithmE0ELj4294967295EEENS1_25partition_config_selectorILNS1_17partition_subalgoE4EjNS0_10empty_typeEbEEZZNS1_14partition_implILS8_4ELb0ES6_15HIP_vector_typeIjLj2EENS0_17counting_iteratorIjlEEPS9_SG_NS0_5tupleIJPjSI_NS0_16reverse_iteratorISI_EEEEENSH_IJSG_SG_SG_EEES9_SI_JZNS1_25segmented_radix_sort_implINS0_14default_configELb0EPKaPaPKlPlN2at6native12_GLOBAL__N_18offset_tEEE10hipError_tPvRmT1_PNSt15iterator_traitsIS12_E10value_typeET2_T3_PNS13_IS18_E10value_typeET4_jRbjT5_S1E_jjP12ihipStream_tbEUljE_ZNSN_ISO_Lb0ESQ_SR_ST_SU_SY_EESZ_S10_S11_S12_S16_S17_S18_S1B_S1C_jS1D_jS1E_S1E_jjS1G_bEUljE0_EEESZ_S10_S11_S18_S1C_S1E_T6_T7_T9_mT8_S1G_bDpT10_ENKUlT_T0_E_clISt17integral_constantIbLb1EES1U_EEDaS1P_S1Q_EUlS1P_E_NS1_11comp_targetILNS1_3genE3ELNS1_11target_archE908ELNS1_3gpuE7ELNS1_3repE0EEENS1_30default_config_static_selectorELNS0_4arch9wavefront6targetE1EEEvS12_.num_vgpr, 0
	.set _ZN7rocprim17ROCPRIM_400000_NS6detail17trampoline_kernelINS0_13select_configILj256ELj13ELNS0_17block_load_methodE3ELS4_3ELS4_3ELNS0_20block_scan_algorithmE0ELj4294967295EEENS1_25partition_config_selectorILNS1_17partition_subalgoE4EjNS0_10empty_typeEbEEZZNS1_14partition_implILS8_4ELb0ES6_15HIP_vector_typeIjLj2EENS0_17counting_iteratorIjlEEPS9_SG_NS0_5tupleIJPjSI_NS0_16reverse_iteratorISI_EEEEENSH_IJSG_SG_SG_EEES9_SI_JZNS1_25segmented_radix_sort_implINS0_14default_configELb0EPKaPaPKlPlN2at6native12_GLOBAL__N_18offset_tEEE10hipError_tPvRmT1_PNSt15iterator_traitsIS12_E10value_typeET2_T3_PNS13_IS18_E10value_typeET4_jRbjT5_S1E_jjP12ihipStream_tbEUljE_ZNSN_ISO_Lb0ESQ_SR_ST_SU_SY_EESZ_S10_S11_S12_S16_S17_S18_S1B_S1C_jS1D_jS1E_S1E_jjS1G_bEUljE0_EEESZ_S10_S11_S18_S1C_S1E_T6_T7_T9_mT8_S1G_bDpT10_ENKUlT_T0_E_clISt17integral_constantIbLb1EES1U_EEDaS1P_S1Q_EUlS1P_E_NS1_11comp_targetILNS1_3genE3ELNS1_11target_archE908ELNS1_3gpuE7ELNS1_3repE0EEENS1_30default_config_static_selectorELNS0_4arch9wavefront6targetE1EEEvS12_.num_agpr, 0
	.set _ZN7rocprim17ROCPRIM_400000_NS6detail17trampoline_kernelINS0_13select_configILj256ELj13ELNS0_17block_load_methodE3ELS4_3ELS4_3ELNS0_20block_scan_algorithmE0ELj4294967295EEENS1_25partition_config_selectorILNS1_17partition_subalgoE4EjNS0_10empty_typeEbEEZZNS1_14partition_implILS8_4ELb0ES6_15HIP_vector_typeIjLj2EENS0_17counting_iteratorIjlEEPS9_SG_NS0_5tupleIJPjSI_NS0_16reverse_iteratorISI_EEEEENSH_IJSG_SG_SG_EEES9_SI_JZNS1_25segmented_radix_sort_implINS0_14default_configELb0EPKaPaPKlPlN2at6native12_GLOBAL__N_18offset_tEEE10hipError_tPvRmT1_PNSt15iterator_traitsIS12_E10value_typeET2_T3_PNS13_IS18_E10value_typeET4_jRbjT5_S1E_jjP12ihipStream_tbEUljE_ZNSN_ISO_Lb0ESQ_SR_ST_SU_SY_EESZ_S10_S11_S12_S16_S17_S18_S1B_S1C_jS1D_jS1E_S1E_jjS1G_bEUljE0_EEESZ_S10_S11_S18_S1C_S1E_T6_T7_T9_mT8_S1G_bDpT10_ENKUlT_T0_E_clISt17integral_constantIbLb1EES1U_EEDaS1P_S1Q_EUlS1P_E_NS1_11comp_targetILNS1_3genE3ELNS1_11target_archE908ELNS1_3gpuE7ELNS1_3repE0EEENS1_30default_config_static_selectorELNS0_4arch9wavefront6targetE1EEEvS12_.numbered_sgpr, 0
	.set _ZN7rocprim17ROCPRIM_400000_NS6detail17trampoline_kernelINS0_13select_configILj256ELj13ELNS0_17block_load_methodE3ELS4_3ELS4_3ELNS0_20block_scan_algorithmE0ELj4294967295EEENS1_25partition_config_selectorILNS1_17partition_subalgoE4EjNS0_10empty_typeEbEEZZNS1_14partition_implILS8_4ELb0ES6_15HIP_vector_typeIjLj2EENS0_17counting_iteratorIjlEEPS9_SG_NS0_5tupleIJPjSI_NS0_16reverse_iteratorISI_EEEEENSH_IJSG_SG_SG_EEES9_SI_JZNS1_25segmented_radix_sort_implINS0_14default_configELb0EPKaPaPKlPlN2at6native12_GLOBAL__N_18offset_tEEE10hipError_tPvRmT1_PNSt15iterator_traitsIS12_E10value_typeET2_T3_PNS13_IS18_E10value_typeET4_jRbjT5_S1E_jjP12ihipStream_tbEUljE_ZNSN_ISO_Lb0ESQ_SR_ST_SU_SY_EESZ_S10_S11_S12_S16_S17_S18_S1B_S1C_jS1D_jS1E_S1E_jjS1G_bEUljE0_EEESZ_S10_S11_S18_S1C_S1E_T6_T7_T9_mT8_S1G_bDpT10_ENKUlT_T0_E_clISt17integral_constantIbLb1EES1U_EEDaS1P_S1Q_EUlS1P_E_NS1_11comp_targetILNS1_3genE3ELNS1_11target_archE908ELNS1_3gpuE7ELNS1_3repE0EEENS1_30default_config_static_selectorELNS0_4arch9wavefront6targetE1EEEvS12_.num_named_barrier, 0
	.set _ZN7rocprim17ROCPRIM_400000_NS6detail17trampoline_kernelINS0_13select_configILj256ELj13ELNS0_17block_load_methodE3ELS4_3ELS4_3ELNS0_20block_scan_algorithmE0ELj4294967295EEENS1_25partition_config_selectorILNS1_17partition_subalgoE4EjNS0_10empty_typeEbEEZZNS1_14partition_implILS8_4ELb0ES6_15HIP_vector_typeIjLj2EENS0_17counting_iteratorIjlEEPS9_SG_NS0_5tupleIJPjSI_NS0_16reverse_iteratorISI_EEEEENSH_IJSG_SG_SG_EEES9_SI_JZNS1_25segmented_radix_sort_implINS0_14default_configELb0EPKaPaPKlPlN2at6native12_GLOBAL__N_18offset_tEEE10hipError_tPvRmT1_PNSt15iterator_traitsIS12_E10value_typeET2_T3_PNS13_IS18_E10value_typeET4_jRbjT5_S1E_jjP12ihipStream_tbEUljE_ZNSN_ISO_Lb0ESQ_SR_ST_SU_SY_EESZ_S10_S11_S12_S16_S17_S18_S1B_S1C_jS1D_jS1E_S1E_jjS1G_bEUljE0_EEESZ_S10_S11_S18_S1C_S1E_T6_T7_T9_mT8_S1G_bDpT10_ENKUlT_T0_E_clISt17integral_constantIbLb1EES1U_EEDaS1P_S1Q_EUlS1P_E_NS1_11comp_targetILNS1_3genE3ELNS1_11target_archE908ELNS1_3gpuE7ELNS1_3repE0EEENS1_30default_config_static_selectorELNS0_4arch9wavefront6targetE1EEEvS12_.private_seg_size, 0
	.set _ZN7rocprim17ROCPRIM_400000_NS6detail17trampoline_kernelINS0_13select_configILj256ELj13ELNS0_17block_load_methodE3ELS4_3ELS4_3ELNS0_20block_scan_algorithmE0ELj4294967295EEENS1_25partition_config_selectorILNS1_17partition_subalgoE4EjNS0_10empty_typeEbEEZZNS1_14partition_implILS8_4ELb0ES6_15HIP_vector_typeIjLj2EENS0_17counting_iteratorIjlEEPS9_SG_NS0_5tupleIJPjSI_NS0_16reverse_iteratorISI_EEEEENSH_IJSG_SG_SG_EEES9_SI_JZNS1_25segmented_radix_sort_implINS0_14default_configELb0EPKaPaPKlPlN2at6native12_GLOBAL__N_18offset_tEEE10hipError_tPvRmT1_PNSt15iterator_traitsIS12_E10value_typeET2_T3_PNS13_IS18_E10value_typeET4_jRbjT5_S1E_jjP12ihipStream_tbEUljE_ZNSN_ISO_Lb0ESQ_SR_ST_SU_SY_EESZ_S10_S11_S12_S16_S17_S18_S1B_S1C_jS1D_jS1E_S1E_jjS1G_bEUljE0_EEESZ_S10_S11_S18_S1C_S1E_T6_T7_T9_mT8_S1G_bDpT10_ENKUlT_T0_E_clISt17integral_constantIbLb1EES1U_EEDaS1P_S1Q_EUlS1P_E_NS1_11comp_targetILNS1_3genE3ELNS1_11target_archE908ELNS1_3gpuE7ELNS1_3repE0EEENS1_30default_config_static_selectorELNS0_4arch9wavefront6targetE1EEEvS12_.uses_vcc, 0
	.set _ZN7rocprim17ROCPRIM_400000_NS6detail17trampoline_kernelINS0_13select_configILj256ELj13ELNS0_17block_load_methodE3ELS4_3ELS4_3ELNS0_20block_scan_algorithmE0ELj4294967295EEENS1_25partition_config_selectorILNS1_17partition_subalgoE4EjNS0_10empty_typeEbEEZZNS1_14partition_implILS8_4ELb0ES6_15HIP_vector_typeIjLj2EENS0_17counting_iteratorIjlEEPS9_SG_NS0_5tupleIJPjSI_NS0_16reverse_iteratorISI_EEEEENSH_IJSG_SG_SG_EEES9_SI_JZNS1_25segmented_radix_sort_implINS0_14default_configELb0EPKaPaPKlPlN2at6native12_GLOBAL__N_18offset_tEEE10hipError_tPvRmT1_PNSt15iterator_traitsIS12_E10value_typeET2_T3_PNS13_IS18_E10value_typeET4_jRbjT5_S1E_jjP12ihipStream_tbEUljE_ZNSN_ISO_Lb0ESQ_SR_ST_SU_SY_EESZ_S10_S11_S12_S16_S17_S18_S1B_S1C_jS1D_jS1E_S1E_jjS1G_bEUljE0_EEESZ_S10_S11_S18_S1C_S1E_T6_T7_T9_mT8_S1G_bDpT10_ENKUlT_T0_E_clISt17integral_constantIbLb1EES1U_EEDaS1P_S1Q_EUlS1P_E_NS1_11comp_targetILNS1_3genE3ELNS1_11target_archE908ELNS1_3gpuE7ELNS1_3repE0EEENS1_30default_config_static_selectorELNS0_4arch9wavefront6targetE1EEEvS12_.uses_flat_scratch, 0
	.set _ZN7rocprim17ROCPRIM_400000_NS6detail17trampoline_kernelINS0_13select_configILj256ELj13ELNS0_17block_load_methodE3ELS4_3ELS4_3ELNS0_20block_scan_algorithmE0ELj4294967295EEENS1_25partition_config_selectorILNS1_17partition_subalgoE4EjNS0_10empty_typeEbEEZZNS1_14partition_implILS8_4ELb0ES6_15HIP_vector_typeIjLj2EENS0_17counting_iteratorIjlEEPS9_SG_NS0_5tupleIJPjSI_NS0_16reverse_iteratorISI_EEEEENSH_IJSG_SG_SG_EEES9_SI_JZNS1_25segmented_radix_sort_implINS0_14default_configELb0EPKaPaPKlPlN2at6native12_GLOBAL__N_18offset_tEEE10hipError_tPvRmT1_PNSt15iterator_traitsIS12_E10value_typeET2_T3_PNS13_IS18_E10value_typeET4_jRbjT5_S1E_jjP12ihipStream_tbEUljE_ZNSN_ISO_Lb0ESQ_SR_ST_SU_SY_EESZ_S10_S11_S12_S16_S17_S18_S1B_S1C_jS1D_jS1E_S1E_jjS1G_bEUljE0_EEESZ_S10_S11_S18_S1C_S1E_T6_T7_T9_mT8_S1G_bDpT10_ENKUlT_T0_E_clISt17integral_constantIbLb1EES1U_EEDaS1P_S1Q_EUlS1P_E_NS1_11comp_targetILNS1_3genE3ELNS1_11target_archE908ELNS1_3gpuE7ELNS1_3repE0EEENS1_30default_config_static_selectorELNS0_4arch9wavefront6targetE1EEEvS12_.has_dyn_sized_stack, 0
	.set _ZN7rocprim17ROCPRIM_400000_NS6detail17trampoline_kernelINS0_13select_configILj256ELj13ELNS0_17block_load_methodE3ELS4_3ELS4_3ELNS0_20block_scan_algorithmE0ELj4294967295EEENS1_25partition_config_selectorILNS1_17partition_subalgoE4EjNS0_10empty_typeEbEEZZNS1_14partition_implILS8_4ELb0ES6_15HIP_vector_typeIjLj2EENS0_17counting_iteratorIjlEEPS9_SG_NS0_5tupleIJPjSI_NS0_16reverse_iteratorISI_EEEEENSH_IJSG_SG_SG_EEES9_SI_JZNS1_25segmented_radix_sort_implINS0_14default_configELb0EPKaPaPKlPlN2at6native12_GLOBAL__N_18offset_tEEE10hipError_tPvRmT1_PNSt15iterator_traitsIS12_E10value_typeET2_T3_PNS13_IS18_E10value_typeET4_jRbjT5_S1E_jjP12ihipStream_tbEUljE_ZNSN_ISO_Lb0ESQ_SR_ST_SU_SY_EESZ_S10_S11_S12_S16_S17_S18_S1B_S1C_jS1D_jS1E_S1E_jjS1G_bEUljE0_EEESZ_S10_S11_S18_S1C_S1E_T6_T7_T9_mT8_S1G_bDpT10_ENKUlT_T0_E_clISt17integral_constantIbLb1EES1U_EEDaS1P_S1Q_EUlS1P_E_NS1_11comp_targetILNS1_3genE3ELNS1_11target_archE908ELNS1_3gpuE7ELNS1_3repE0EEENS1_30default_config_static_selectorELNS0_4arch9wavefront6targetE1EEEvS12_.has_recursion, 0
	.set _ZN7rocprim17ROCPRIM_400000_NS6detail17trampoline_kernelINS0_13select_configILj256ELj13ELNS0_17block_load_methodE3ELS4_3ELS4_3ELNS0_20block_scan_algorithmE0ELj4294967295EEENS1_25partition_config_selectorILNS1_17partition_subalgoE4EjNS0_10empty_typeEbEEZZNS1_14partition_implILS8_4ELb0ES6_15HIP_vector_typeIjLj2EENS0_17counting_iteratorIjlEEPS9_SG_NS0_5tupleIJPjSI_NS0_16reverse_iteratorISI_EEEEENSH_IJSG_SG_SG_EEES9_SI_JZNS1_25segmented_radix_sort_implINS0_14default_configELb0EPKaPaPKlPlN2at6native12_GLOBAL__N_18offset_tEEE10hipError_tPvRmT1_PNSt15iterator_traitsIS12_E10value_typeET2_T3_PNS13_IS18_E10value_typeET4_jRbjT5_S1E_jjP12ihipStream_tbEUljE_ZNSN_ISO_Lb0ESQ_SR_ST_SU_SY_EESZ_S10_S11_S12_S16_S17_S18_S1B_S1C_jS1D_jS1E_S1E_jjS1G_bEUljE0_EEESZ_S10_S11_S18_S1C_S1E_T6_T7_T9_mT8_S1G_bDpT10_ENKUlT_T0_E_clISt17integral_constantIbLb1EES1U_EEDaS1P_S1Q_EUlS1P_E_NS1_11comp_targetILNS1_3genE3ELNS1_11target_archE908ELNS1_3gpuE7ELNS1_3repE0EEENS1_30default_config_static_selectorELNS0_4arch9wavefront6targetE1EEEvS12_.has_indirect_call, 0
	.section	.AMDGPU.csdata,"",@progbits
; Kernel info:
; codeLenInByte = 0
; TotalNumSgprs: 4
; NumVgprs: 0
; ScratchSize: 0
; MemoryBound: 0
; FloatMode: 240
; IeeeMode: 1
; LDSByteSize: 0 bytes/workgroup (compile time only)
; SGPRBlocks: 0
; VGPRBlocks: 0
; NumSGPRsForWavesPerEU: 4
; NumVGPRsForWavesPerEU: 1
; Occupancy: 10
; WaveLimiterHint : 0
; COMPUTE_PGM_RSRC2:SCRATCH_EN: 0
; COMPUTE_PGM_RSRC2:USER_SGPR: 6
; COMPUTE_PGM_RSRC2:TRAP_HANDLER: 0
; COMPUTE_PGM_RSRC2:TGID_X_EN: 1
; COMPUTE_PGM_RSRC2:TGID_Y_EN: 0
; COMPUTE_PGM_RSRC2:TGID_Z_EN: 0
; COMPUTE_PGM_RSRC2:TIDIG_COMP_CNT: 0
	.section	.text._ZN7rocprim17ROCPRIM_400000_NS6detail17trampoline_kernelINS0_13select_configILj256ELj13ELNS0_17block_load_methodE3ELS4_3ELS4_3ELNS0_20block_scan_algorithmE0ELj4294967295EEENS1_25partition_config_selectorILNS1_17partition_subalgoE4EjNS0_10empty_typeEbEEZZNS1_14partition_implILS8_4ELb0ES6_15HIP_vector_typeIjLj2EENS0_17counting_iteratorIjlEEPS9_SG_NS0_5tupleIJPjSI_NS0_16reverse_iteratorISI_EEEEENSH_IJSG_SG_SG_EEES9_SI_JZNS1_25segmented_radix_sort_implINS0_14default_configELb0EPKaPaPKlPlN2at6native12_GLOBAL__N_18offset_tEEE10hipError_tPvRmT1_PNSt15iterator_traitsIS12_E10value_typeET2_T3_PNS13_IS18_E10value_typeET4_jRbjT5_S1E_jjP12ihipStream_tbEUljE_ZNSN_ISO_Lb0ESQ_SR_ST_SU_SY_EESZ_S10_S11_S12_S16_S17_S18_S1B_S1C_jS1D_jS1E_S1E_jjS1G_bEUljE0_EEESZ_S10_S11_S18_S1C_S1E_T6_T7_T9_mT8_S1G_bDpT10_ENKUlT_T0_E_clISt17integral_constantIbLb1EES1U_EEDaS1P_S1Q_EUlS1P_E_NS1_11comp_targetILNS1_3genE2ELNS1_11target_archE906ELNS1_3gpuE6ELNS1_3repE0EEENS1_30default_config_static_selectorELNS0_4arch9wavefront6targetE1EEEvS12_,"axG",@progbits,_ZN7rocprim17ROCPRIM_400000_NS6detail17trampoline_kernelINS0_13select_configILj256ELj13ELNS0_17block_load_methodE3ELS4_3ELS4_3ELNS0_20block_scan_algorithmE0ELj4294967295EEENS1_25partition_config_selectorILNS1_17partition_subalgoE4EjNS0_10empty_typeEbEEZZNS1_14partition_implILS8_4ELb0ES6_15HIP_vector_typeIjLj2EENS0_17counting_iteratorIjlEEPS9_SG_NS0_5tupleIJPjSI_NS0_16reverse_iteratorISI_EEEEENSH_IJSG_SG_SG_EEES9_SI_JZNS1_25segmented_radix_sort_implINS0_14default_configELb0EPKaPaPKlPlN2at6native12_GLOBAL__N_18offset_tEEE10hipError_tPvRmT1_PNSt15iterator_traitsIS12_E10value_typeET2_T3_PNS13_IS18_E10value_typeET4_jRbjT5_S1E_jjP12ihipStream_tbEUljE_ZNSN_ISO_Lb0ESQ_SR_ST_SU_SY_EESZ_S10_S11_S12_S16_S17_S18_S1B_S1C_jS1D_jS1E_S1E_jjS1G_bEUljE0_EEESZ_S10_S11_S18_S1C_S1E_T6_T7_T9_mT8_S1G_bDpT10_ENKUlT_T0_E_clISt17integral_constantIbLb1EES1U_EEDaS1P_S1Q_EUlS1P_E_NS1_11comp_targetILNS1_3genE2ELNS1_11target_archE906ELNS1_3gpuE6ELNS1_3repE0EEENS1_30default_config_static_selectorELNS0_4arch9wavefront6targetE1EEEvS12_,comdat
	.globl	_ZN7rocprim17ROCPRIM_400000_NS6detail17trampoline_kernelINS0_13select_configILj256ELj13ELNS0_17block_load_methodE3ELS4_3ELS4_3ELNS0_20block_scan_algorithmE0ELj4294967295EEENS1_25partition_config_selectorILNS1_17partition_subalgoE4EjNS0_10empty_typeEbEEZZNS1_14partition_implILS8_4ELb0ES6_15HIP_vector_typeIjLj2EENS0_17counting_iteratorIjlEEPS9_SG_NS0_5tupleIJPjSI_NS0_16reverse_iteratorISI_EEEEENSH_IJSG_SG_SG_EEES9_SI_JZNS1_25segmented_radix_sort_implINS0_14default_configELb0EPKaPaPKlPlN2at6native12_GLOBAL__N_18offset_tEEE10hipError_tPvRmT1_PNSt15iterator_traitsIS12_E10value_typeET2_T3_PNS13_IS18_E10value_typeET4_jRbjT5_S1E_jjP12ihipStream_tbEUljE_ZNSN_ISO_Lb0ESQ_SR_ST_SU_SY_EESZ_S10_S11_S12_S16_S17_S18_S1B_S1C_jS1D_jS1E_S1E_jjS1G_bEUljE0_EEESZ_S10_S11_S18_S1C_S1E_T6_T7_T9_mT8_S1G_bDpT10_ENKUlT_T0_E_clISt17integral_constantIbLb1EES1U_EEDaS1P_S1Q_EUlS1P_E_NS1_11comp_targetILNS1_3genE2ELNS1_11target_archE906ELNS1_3gpuE6ELNS1_3repE0EEENS1_30default_config_static_selectorELNS0_4arch9wavefront6targetE1EEEvS12_ ; -- Begin function _ZN7rocprim17ROCPRIM_400000_NS6detail17trampoline_kernelINS0_13select_configILj256ELj13ELNS0_17block_load_methodE3ELS4_3ELS4_3ELNS0_20block_scan_algorithmE0ELj4294967295EEENS1_25partition_config_selectorILNS1_17partition_subalgoE4EjNS0_10empty_typeEbEEZZNS1_14partition_implILS8_4ELb0ES6_15HIP_vector_typeIjLj2EENS0_17counting_iteratorIjlEEPS9_SG_NS0_5tupleIJPjSI_NS0_16reverse_iteratorISI_EEEEENSH_IJSG_SG_SG_EEES9_SI_JZNS1_25segmented_radix_sort_implINS0_14default_configELb0EPKaPaPKlPlN2at6native12_GLOBAL__N_18offset_tEEE10hipError_tPvRmT1_PNSt15iterator_traitsIS12_E10value_typeET2_T3_PNS13_IS18_E10value_typeET4_jRbjT5_S1E_jjP12ihipStream_tbEUljE_ZNSN_ISO_Lb0ESQ_SR_ST_SU_SY_EESZ_S10_S11_S12_S16_S17_S18_S1B_S1C_jS1D_jS1E_S1E_jjS1G_bEUljE0_EEESZ_S10_S11_S18_S1C_S1E_T6_T7_T9_mT8_S1G_bDpT10_ENKUlT_T0_E_clISt17integral_constantIbLb1EES1U_EEDaS1P_S1Q_EUlS1P_E_NS1_11comp_targetILNS1_3genE2ELNS1_11target_archE906ELNS1_3gpuE6ELNS1_3repE0EEENS1_30default_config_static_selectorELNS0_4arch9wavefront6targetE1EEEvS12_
	.p2align	8
	.type	_ZN7rocprim17ROCPRIM_400000_NS6detail17trampoline_kernelINS0_13select_configILj256ELj13ELNS0_17block_load_methodE3ELS4_3ELS4_3ELNS0_20block_scan_algorithmE0ELj4294967295EEENS1_25partition_config_selectorILNS1_17partition_subalgoE4EjNS0_10empty_typeEbEEZZNS1_14partition_implILS8_4ELb0ES6_15HIP_vector_typeIjLj2EENS0_17counting_iteratorIjlEEPS9_SG_NS0_5tupleIJPjSI_NS0_16reverse_iteratorISI_EEEEENSH_IJSG_SG_SG_EEES9_SI_JZNS1_25segmented_radix_sort_implINS0_14default_configELb0EPKaPaPKlPlN2at6native12_GLOBAL__N_18offset_tEEE10hipError_tPvRmT1_PNSt15iterator_traitsIS12_E10value_typeET2_T3_PNS13_IS18_E10value_typeET4_jRbjT5_S1E_jjP12ihipStream_tbEUljE_ZNSN_ISO_Lb0ESQ_SR_ST_SU_SY_EESZ_S10_S11_S12_S16_S17_S18_S1B_S1C_jS1D_jS1E_S1E_jjS1G_bEUljE0_EEESZ_S10_S11_S18_S1C_S1E_T6_T7_T9_mT8_S1G_bDpT10_ENKUlT_T0_E_clISt17integral_constantIbLb1EES1U_EEDaS1P_S1Q_EUlS1P_E_NS1_11comp_targetILNS1_3genE2ELNS1_11target_archE906ELNS1_3gpuE6ELNS1_3repE0EEENS1_30default_config_static_selectorELNS0_4arch9wavefront6targetE1EEEvS12_,@function
_ZN7rocprim17ROCPRIM_400000_NS6detail17trampoline_kernelINS0_13select_configILj256ELj13ELNS0_17block_load_methodE3ELS4_3ELS4_3ELNS0_20block_scan_algorithmE0ELj4294967295EEENS1_25partition_config_selectorILNS1_17partition_subalgoE4EjNS0_10empty_typeEbEEZZNS1_14partition_implILS8_4ELb0ES6_15HIP_vector_typeIjLj2EENS0_17counting_iteratorIjlEEPS9_SG_NS0_5tupleIJPjSI_NS0_16reverse_iteratorISI_EEEEENSH_IJSG_SG_SG_EEES9_SI_JZNS1_25segmented_radix_sort_implINS0_14default_configELb0EPKaPaPKlPlN2at6native12_GLOBAL__N_18offset_tEEE10hipError_tPvRmT1_PNSt15iterator_traitsIS12_E10value_typeET2_T3_PNS13_IS18_E10value_typeET4_jRbjT5_S1E_jjP12ihipStream_tbEUljE_ZNSN_ISO_Lb0ESQ_SR_ST_SU_SY_EESZ_S10_S11_S12_S16_S17_S18_S1B_S1C_jS1D_jS1E_S1E_jjS1G_bEUljE0_EEESZ_S10_S11_S18_S1C_S1E_T6_T7_T9_mT8_S1G_bDpT10_ENKUlT_T0_E_clISt17integral_constantIbLb1EES1U_EEDaS1P_S1Q_EUlS1P_E_NS1_11comp_targetILNS1_3genE2ELNS1_11target_archE906ELNS1_3gpuE6ELNS1_3repE0EEENS1_30default_config_static_selectorELNS0_4arch9wavefront6targetE1EEEvS12_: ; @_ZN7rocprim17ROCPRIM_400000_NS6detail17trampoline_kernelINS0_13select_configILj256ELj13ELNS0_17block_load_methodE3ELS4_3ELS4_3ELNS0_20block_scan_algorithmE0ELj4294967295EEENS1_25partition_config_selectorILNS1_17partition_subalgoE4EjNS0_10empty_typeEbEEZZNS1_14partition_implILS8_4ELb0ES6_15HIP_vector_typeIjLj2EENS0_17counting_iteratorIjlEEPS9_SG_NS0_5tupleIJPjSI_NS0_16reverse_iteratorISI_EEEEENSH_IJSG_SG_SG_EEES9_SI_JZNS1_25segmented_radix_sort_implINS0_14default_configELb0EPKaPaPKlPlN2at6native12_GLOBAL__N_18offset_tEEE10hipError_tPvRmT1_PNSt15iterator_traitsIS12_E10value_typeET2_T3_PNS13_IS18_E10value_typeET4_jRbjT5_S1E_jjP12ihipStream_tbEUljE_ZNSN_ISO_Lb0ESQ_SR_ST_SU_SY_EESZ_S10_S11_S12_S16_S17_S18_S1B_S1C_jS1D_jS1E_S1E_jjS1G_bEUljE0_EEESZ_S10_S11_S18_S1C_S1E_T6_T7_T9_mT8_S1G_bDpT10_ENKUlT_T0_E_clISt17integral_constantIbLb1EES1U_EEDaS1P_S1Q_EUlS1P_E_NS1_11comp_targetILNS1_3genE2ELNS1_11target_archE906ELNS1_3gpuE6ELNS1_3repE0EEENS1_30default_config_static_selectorELNS0_4arch9wavefront6targetE1EEEvS12_
; %bb.0:
	s_endpgm
	.section	.rodata,"a",@progbits
	.p2align	6, 0x0
	.amdhsa_kernel _ZN7rocprim17ROCPRIM_400000_NS6detail17trampoline_kernelINS0_13select_configILj256ELj13ELNS0_17block_load_methodE3ELS4_3ELS4_3ELNS0_20block_scan_algorithmE0ELj4294967295EEENS1_25partition_config_selectorILNS1_17partition_subalgoE4EjNS0_10empty_typeEbEEZZNS1_14partition_implILS8_4ELb0ES6_15HIP_vector_typeIjLj2EENS0_17counting_iteratorIjlEEPS9_SG_NS0_5tupleIJPjSI_NS0_16reverse_iteratorISI_EEEEENSH_IJSG_SG_SG_EEES9_SI_JZNS1_25segmented_radix_sort_implINS0_14default_configELb0EPKaPaPKlPlN2at6native12_GLOBAL__N_18offset_tEEE10hipError_tPvRmT1_PNSt15iterator_traitsIS12_E10value_typeET2_T3_PNS13_IS18_E10value_typeET4_jRbjT5_S1E_jjP12ihipStream_tbEUljE_ZNSN_ISO_Lb0ESQ_SR_ST_SU_SY_EESZ_S10_S11_S12_S16_S17_S18_S1B_S1C_jS1D_jS1E_S1E_jjS1G_bEUljE0_EEESZ_S10_S11_S18_S1C_S1E_T6_T7_T9_mT8_S1G_bDpT10_ENKUlT_T0_E_clISt17integral_constantIbLb1EES1U_EEDaS1P_S1Q_EUlS1P_E_NS1_11comp_targetILNS1_3genE2ELNS1_11target_archE906ELNS1_3gpuE6ELNS1_3repE0EEENS1_30default_config_static_selectorELNS0_4arch9wavefront6targetE1EEEvS12_
		.amdhsa_group_segment_fixed_size 0
		.amdhsa_private_segment_fixed_size 0
		.amdhsa_kernarg_size 184
		.amdhsa_user_sgpr_count 6
		.amdhsa_user_sgpr_private_segment_buffer 1
		.amdhsa_user_sgpr_dispatch_ptr 0
		.amdhsa_user_sgpr_queue_ptr 0
		.amdhsa_user_sgpr_kernarg_segment_ptr 1
		.amdhsa_user_sgpr_dispatch_id 0
		.amdhsa_user_sgpr_flat_scratch_init 0
		.amdhsa_user_sgpr_private_segment_size 0
		.amdhsa_uses_dynamic_stack 0
		.amdhsa_system_sgpr_private_segment_wavefront_offset 0
		.amdhsa_system_sgpr_workgroup_id_x 1
		.amdhsa_system_sgpr_workgroup_id_y 0
		.amdhsa_system_sgpr_workgroup_id_z 0
		.amdhsa_system_sgpr_workgroup_info 0
		.amdhsa_system_vgpr_workitem_id 0
		.amdhsa_next_free_vgpr 1
		.amdhsa_next_free_sgpr 0
		.amdhsa_reserve_vcc 0
		.amdhsa_reserve_flat_scratch 0
		.amdhsa_float_round_mode_32 0
		.amdhsa_float_round_mode_16_64 0
		.amdhsa_float_denorm_mode_32 3
		.amdhsa_float_denorm_mode_16_64 3
		.amdhsa_dx10_clamp 1
		.amdhsa_ieee_mode 1
		.amdhsa_fp16_overflow 0
		.amdhsa_exception_fp_ieee_invalid_op 0
		.amdhsa_exception_fp_denorm_src 0
		.amdhsa_exception_fp_ieee_div_zero 0
		.amdhsa_exception_fp_ieee_overflow 0
		.amdhsa_exception_fp_ieee_underflow 0
		.amdhsa_exception_fp_ieee_inexact 0
		.amdhsa_exception_int_div_zero 0
	.end_amdhsa_kernel
	.section	.text._ZN7rocprim17ROCPRIM_400000_NS6detail17trampoline_kernelINS0_13select_configILj256ELj13ELNS0_17block_load_methodE3ELS4_3ELS4_3ELNS0_20block_scan_algorithmE0ELj4294967295EEENS1_25partition_config_selectorILNS1_17partition_subalgoE4EjNS0_10empty_typeEbEEZZNS1_14partition_implILS8_4ELb0ES6_15HIP_vector_typeIjLj2EENS0_17counting_iteratorIjlEEPS9_SG_NS0_5tupleIJPjSI_NS0_16reverse_iteratorISI_EEEEENSH_IJSG_SG_SG_EEES9_SI_JZNS1_25segmented_radix_sort_implINS0_14default_configELb0EPKaPaPKlPlN2at6native12_GLOBAL__N_18offset_tEEE10hipError_tPvRmT1_PNSt15iterator_traitsIS12_E10value_typeET2_T3_PNS13_IS18_E10value_typeET4_jRbjT5_S1E_jjP12ihipStream_tbEUljE_ZNSN_ISO_Lb0ESQ_SR_ST_SU_SY_EESZ_S10_S11_S12_S16_S17_S18_S1B_S1C_jS1D_jS1E_S1E_jjS1G_bEUljE0_EEESZ_S10_S11_S18_S1C_S1E_T6_T7_T9_mT8_S1G_bDpT10_ENKUlT_T0_E_clISt17integral_constantIbLb1EES1U_EEDaS1P_S1Q_EUlS1P_E_NS1_11comp_targetILNS1_3genE2ELNS1_11target_archE906ELNS1_3gpuE6ELNS1_3repE0EEENS1_30default_config_static_selectorELNS0_4arch9wavefront6targetE1EEEvS12_,"axG",@progbits,_ZN7rocprim17ROCPRIM_400000_NS6detail17trampoline_kernelINS0_13select_configILj256ELj13ELNS0_17block_load_methodE3ELS4_3ELS4_3ELNS0_20block_scan_algorithmE0ELj4294967295EEENS1_25partition_config_selectorILNS1_17partition_subalgoE4EjNS0_10empty_typeEbEEZZNS1_14partition_implILS8_4ELb0ES6_15HIP_vector_typeIjLj2EENS0_17counting_iteratorIjlEEPS9_SG_NS0_5tupleIJPjSI_NS0_16reverse_iteratorISI_EEEEENSH_IJSG_SG_SG_EEES9_SI_JZNS1_25segmented_radix_sort_implINS0_14default_configELb0EPKaPaPKlPlN2at6native12_GLOBAL__N_18offset_tEEE10hipError_tPvRmT1_PNSt15iterator_traitsIS12_E10value_typeET2_T3_PNS13_IS18_E10value_typeET4_jRbjT5_S1E_jjP12ihipStream_tbEUljE_ZNSN_ISO_Lb0ESQ_SR_ST_SU_SY_EESZ_S10_S11_S12_S16_S17_S18_S1B_S1C_jS1D_jS1E_S1E_jjS1G_bEUljE0_EEESZ_S10_S11_S18_S1C_S1E_T6_T7_T9_mT8_S1G_bDpT10_ENKUlT_T0_E_clISt17integral_constantIbLb1EES1U_EEDaS1P_S1Q_EUlS1P_E_NS1_11comp_targetILNS1_3genE2ELNS1_11target_archE906ELNS1_3gpuE6ELNS1_3repE0EEENS1_30default_config_static_selectorELNS0_4arch9wavefront6targetE1EEEvS12_,comdat
.Lfunc_end341:
	.size	_ZN7rocprim17ROCPRIM_400000_NS6detail17trampoline_kernelINS0_13select_configILj256ELj13ELNS0_17block_load_methodE3ELS4_3ELS4_3ELNS0_20block_scan_algorithmE0ELj4294967295EEENS1_25partition_config_selectorILNS1_17partition_subalgoE4EjNS0_10empty_typeEbEEZZNS1_14partition_implILS8_4ELb0ES6_15HIP_vector_typeIjLj2EENS0_17counting_iteratorIjlEEPS9_SG_NS0_5tupleIJPjSI_NS0_16reverse_iteratorISI_EEEEENSH_IJSG_SG_SG_EEES9_SI_JZNS1_25segmented_radix_sort_implINS0_14default_configELb0EPKaPaPKlPlN2at6native12_GLOBAL__N_18offset_tEEE10hipError_tPvRmT1_PNSt15iterator_traitsIS12_E10value_typeET2_T3_PNS13_IS18_E10value_typeET4_jRbjT5_S1E_jjP12ihipStream_tbEUljE_ZNSN_ISO_Lb0ESQ_SR_ST_SU_SY_EESZ_S10_S11_S12_S16_S17_S18_S1B_S1C_jS1D_jS1E_S1E_jjS1G_bEUljE0_EEESZ_S10_S11_S18_S1C_S1E_T6_T7_T9_mT8_S1G_bDpT10_ENKUlT_T0_E_clISt17integral_constantIbLb1EES1U_EEDaS1P_S1Q_EUlS1P_E_NS1_11comp_targetILNS1_3genE2ELNS1_11target_archE906ELNS1_3gpuE6ELNS1_3repE0EEENS1_30default_config_static_selectorELNS0_4arch9wavefront6targetE1EEEvS12_, .Lfunc_end341-_ZN7rocprim17ROCPRIM_400000_NS6detail17trampoline_kernelINS0_13select_configILj256ELj13ELNS0_17block_load_methodE3ELS4_3ELS4_3ELNS0_20block_scan_algorithmE0ELj4294967295EEENS1_25partition_config_selectorILNS1_17partition_subalgoE4EjNS0_10empty_typeEbEEZZNS1_14partition_implILS8_4ELb0ES6_15HIP_vector_typeIjLj2EENS0_17counting_iteratorIjlEEPS9_SG_NS0_5tupleIJPjSI_NS0_16reverse_iteratorISI_EEEEENSH_IJSG_SG_SG_EEES9_SI_JZNS1_25segmented_radix_sort_implINS0_14default_configELb0EPKaPaPKlPlN2at6native12_GLOBAL__N_18offset_tEEE10hipError_tPvRmT1_PNSt15iterator_traitsIS12_E10value_typeET2_T3_PNS13_IS18_E10value_typeET4_jRbjT5_S1E_jjP12ihipStream_tbEUljE_ZNSN_ISO_Lb0ESQ_SR_ST_SU_SY_EESZ_S10_S11_S12_S16_S17_S18_S1B_S1C_jS1D_jS1E_S1E_jjS1G_bEUljE0_EEESZ_S10_S11_S18_S1C_S1E_T6_T7_T9_mT8_S1G_bDpT10_ENKUlT_T0_E_clISt17integral_constantIbLb1EES1U_EEDaS1P_S1Q_EUlS1P_E_NS1_11comp_targetILNS1_3genE2ELNS1_11target_archE906ELNS1_3gpuE6ELNS1_3repE0EEENS1_30default_config_static_selectorELNS0_4arch9wavefront6targetE1EEEvS12_
                                        ; -- End function
	.set _ZN7rocprim17ROCPRIM_400000_NS6detail17trampoline_kernelINS0_13select_configILj256ELj13ELNS0_17block_load_methodE3ELS4_3ELS4_3ELNS0_20block_scan_algorithmE0ELj4294967295EEENS1_25partition_config_selectorILNS1_17partition_subalgoE4EjNS0_10empty_typeEbEEZZNS1_14partition_implILS8_4ELb0ES6_15HIP_vector_typeIjLj2EENS0_17counting_iteratorIjlEEPS9_SG_NS0_5tupleIJPjSI_NS0_16reverse_iteratorISI_EEEEENSH_IJSG_SG_SG_EEES9_SI_JZNS1_25segmented_radix_sort_implINS0_14default_configELb0EPKaPaPKlPlN2at6native12_GLOBAL__N_18offset_tEEE10hipError_tPvRmT1_PNSt15iterator_traitsIS12_E10value_typeET2_T3_PNS13_IS18_E10value_typeET4_jRbjT5_S1E_jjP12ihipStream_tbEUljE_ZNSN_ISO_Lb0ESQ_SR_ST_SU_SY_EESZ_S10_S11_S12_S16_S17_S18_S1B_S1C_jS1D_jS1E_S1E_jjS1G_bEUljE0_EEESZ_S10_S11_S18_S1C_S1E_T6_T7_T9_mT8_S1G_bDpT10_ENKUlT_T0_E_clISt17integral_constantIbLb1EES1U_EEDaS1P_S1Q_EUlS1P_E_NS1_11comp_targetILNS1_3genE2ELNS1_11target_archE906ELNS1_3gpuE6ELNS1_3repE0EEENS1_30default_config_static_selectorELNS0_4arch9wavefront6targetE1EEEvS12_.num_vgpr, 0
	.set _ZN7rocprim17ROCPRIM_400000_NS6detail17trampoline_kernelINS0_13select_configILj256ELj13ELNS0_17block_load_methodE3ELS4_3ELS4_3ELNS0_20block_scan_algorithmE0ELj4294967295EEENS1_25partition_config_selectorILNS1_17partition_subalgoE4EjNS0_10empty_typeEbEEZZNS1_14partition_implILS8_4ELb0ES6_15HIP_vector_typeIjLj2EENS0_17counting_iteratorIjlEEPS9_SG_NS0_5tupleIJPjSI_NS0_16reverse_iteratorISI_EEEEENSH_IJSG_SG_SG_EEES9_SI_JZNS1_25segmented_radix_sort_implINS0_14default_configELb0EPKaPaPKlPlN2at6native12_GLOBAL__N_18offset_tEEE10hipError_tPvRmT1_PNSt15iterator_traitsIS12_E10value_typeET2_T3_PNS13_IS18_E10value_typeET4_jRbjT5_S1E_jjP12ihipStream_tbEUljE_ZNSN_ISO_Lb0ESQ_SR_ST_SU_SY_EESZ_S10_S11_S12_S16_S17_S18_S1B_S1C_jS1D_jS1E_S1E_jjS1G_bEUljE0_EEESZ_S10_S11_S18_S1C_S1E_T6_T7_T9_mT8_S1G_bDpT10_ENKUlT_T0_E_clISt17integral_constantIbLb1EES1U_EEDaS1P_S1Q_EUlS1P_E_NS1_11comp_targetILNS1_3genE2ELNS1_11target_archE906ELNS1_3gpuE6ELNS1_3repE0EEENS1_30default_config_static_selectorELNS0_4arch9wavefront6targetE1EEEvS12_.num_agpr, 0
	.set _ZN7rocprim17ROCPRIM_400000_NS6detail17trampoline_kernelINS0_13select_configILj256ELj13ELNS0_17block_load_methodE3ELS4_3ELS4_3ELNS0_20block_scan_algorithmE0ELj4294967295EEENS1_25partition_config_selectorILNS1_17partition_subalgoE4EjNS0_10empty_typeEbEEZZNS1_14partition_implILS8_4ELb0ES6_15HIP_vector_typeIjLj2EENS0_17counting_iteratorIjlEEPS9_SG_NS0_5tupleIJPjSI_NS0_16reverse_iteratorISI_EEEEENSH_IJSG_SG_SG_EEES9_SI_JZNS1_25segmented_radix_sort_implINS0_14default_configELb0EPKaPaPKlPlN2at6native12_GLOBAL__N_18offset_tEEE10hipError_tPvRmT1_PNSt15iterator_traitsIS12_E10value_typeET2_T3_PNS13_IS18_E10value_typeET4_jRbjT5_S1E_jjP12ihipStream_tbEUljE_ZNSN_ISO_Lb0ESQ_SR_ST_SU_SY_EESZ_S10_S11_S12_S16_S17_S18_S1B_S1C_jS1D_jS1E_S1E_jjS1G_bEUljE0_EEESZ_S10_S11_S18_S1C_S1E_T6_T7_T9_mT8_S1G_bDpT10_ENKUlT_T0_E_clISt17integral_constantIbLb1EES1U_EEDaS1P_S1Q_EUlS1P_E_NS1_11comp_targetILNS1_3genE2ELNS1_11target_archE906ELNS1_3gpuE6ELNS1_3repE0EEENS1_30default_config_static_selectorELNS0_4arch9wavefront6targetE1EEEvS12_.numbered_sgpr, 0
	.set _ZN7rocprim17ROCPRIM_400000_NS6detail17trampoline_kernelINS0_13select_configILj256ELj13ELNS0_17block_load_methodE3ELS4_3ELS4_3ELNS0_20block_scan_algorithmE0ELj4294967295EEENS1_25partition_config_selectorILNS1_17partition_subalgoE4EjNS0_10empty_typeEbEEZZNS1_14partition_implILS8_4ELb0ES6_15HIP_vector_typeIjLj2EENS0_17counting_iteratorIjlEEPS9_SG_NS0_5tupleIJPjSI_NS0_16reverse_iteratorISI_EEEEENSH_IJSG_SG_SG_EEES9_SI_JZNS1_25segmented_radix_sort_implINS0_14default_configELb0EPKaPaPKlPlN2at6native12_GLOBAL__N_18offset_tEEE10hipError_tPvRmT1_PNSt15iterator_traitsIS12_E10value_typeET2_T3_PNS13_IS18_E10value_typeET4_jRbjT5_S1E_jjP12ihipStream_tbEUljE_ZNSN_ISO_Lb0ESQ_SR_ST_SU_SY_EESZ_S10_S11_S12_S16_S17_S18_S1B_S1C_jS1D_jS1E_S1E_jjS1G_bEUljE0_EEESZ_S10_S11_S18_S1C_S1E_T6_T7_T9_mT8_S1G_bDpT10_ENKUlT_T0_E_clISt17integral_constantIbLb1EES1U_EEDaS1P_S1Q_EUlS1P_E_NS1_11comp_targetILNS1_3genE2ELNS1_11target_archE906ELNS1_3gpuE6ELNS1_3repE0EEENS1_30default_config_static_selectorELNS0_4arch9wavefront6targetE1EEEvS12_.num_named_barrier, 0
	.set _ZN7rocprim17ROCPRIM_400000_NS6detail17trampoline_kernelINS0_13select_configILj256ELj13ELNS0_17block_load_methodE3ELS4_3ELS4_3ELNS0_20block_scan_algorithmE0ELj4294967295EEENS1_25partition_config_selectorILNS1_17partition_subalgoE4EjNS0_10empty_typeEbEEZZNS1_14partition_implILS8_4ELb0ES6_15HIP_vector_typeIjLj2EENS0_17counting_iteratorIjlEEPS9_SG_NS0_5tupleIJPjSI_NS0_16reverse_iteratorISI_EEEEENSH_IJSG_SG_SG_EEES9_SI_JZNS1_25segmented_radix_sort_implINS0_14default_configELb0EPKaPaPKlPlN2at6native12_GLOBAL__N_18offset_tEEE10hipError_tPvRmT1_PNSt15iterator_traitsIS12_E10value_typeET2_T3_PNS13_IS18_E10value_typeET4_jRbjT5_S1E_jjP12ihipStream_tbEUljE_ZNSN_ISO_Lb0ESQ_SR_ST_SU_SY_EESZ_S10_S11_S12_S16_S17_S18_S1B_S1C_jS1D_jS1E_S1E_jjS1G_bEUljE0_EEESZ_S10_S11_S18_S1C_S1E_T6_T7_T9_mT8_S1G_bDpT10_ENKUlT_T0_E_clISt17integral_constantIbLb1EES1U_EEDaS1P_S1Q_EUlS1P_E_NS1_11comp_targetILNS1_3genE2ELNS1_11target_archE906ELNS1_3gpuE6ELNS1_3repE0EEENS1_30default_config_static_selectorELNS0_4arch9wavefront6targetE1EEEvS12_.private_seg_size, 0
	.set _ZN7rocprim17ROCPRIM_400000_NS6detail17trampoline_kernelINS0_13select_configILj256ELj13ELNS0_17block_load_methodE3ELS4_3ELS4_3ELNS0_20block_scan_algorithmE0ELj4294967295EEENS1_25partition_config_selectorILNS1_17partition_subalgoE4EjNS0_10empty_typeEbEEZZNS1_14partition_implILS8_4ELb0ES6_15HIP_vector_typeIjLj2EENS0_17counting_iteratorIjlEEPS9_SG_NS0_5tupleIJPjSI_NS0_16reverse_iteratorISI_EEEEENSH_IJSG_SG_SG_EEES9_SI_JZNS1_25segmented_radix_sort_implINS0_14default_configELb0EPKaPaPKlPlN2at6native12_GLOBAL__N_18offset_tEEE10hipError_tPvRmT1_PNSt15iterator_traitsIS12_E10value_typeET2_T3_PNS13_IS18_E10value_typeET4_jRbjT5_S1E_jjP12ihipStream_tbEUljE_ZNSN_ISO_Lb0ESQ_SR_ST_SU_SY_EESZ_S10_S11_S12_S16_S17_S18_S1B_S1C_jS1D_jS1E_S1E_jjS1G_bEUljE0_EEESZ_S10_S11_S18_S1C_S1E_T6_T7_T9_mT8_S1G_bDpT10_ENKUlT_T0_E_clISt17integral_constantIbLb1EES1U_EEDaS1P_S1Q_EUlS1P_E_NS1_11comp_targetILNS1_3genE2ELNS1_11target_archE906ELNS1_3gpuE6ELNS1_3repE0EEENS1_30default_config_static_selectorELNS0_4arch9wavefront6targetE1EEEvS12_.uses_vcc, 0
	.set _ZN7rocprim17ROCPRIM_400000_NS6detail17trampoline_kernelINS0_13select_configILj256ELj13ELNS0_17block_load_methodE3ELS4_3ELS4_3ELNS0_20block_scan_algorithmE0ELj4294967295EEENS1_25partition_config_selectorILNS1_17partition_subalgoE4EjNS0_10empty_typeEbEEZZNS1_14partition_implILS8_4ELb0ES6_15HIP_vector_typeIjLj2EENS0_17counting_iteratorIjlEEPS9_SG_NS0_5tupleIJPjSI_NS0_16reverse_iteratorISI_EEEEENSH_IJSG_SG_SG_EEES9_SI_JZNS1_25segmented_radix_sort_implINS0_14default_configELb0EPKaPaPKlPlN2at6native12_GLOBAL__N_18offset_tEEE10hipError_tPvRmT1_PNSt15iterator_traitsIS12_E10value_typeET2_T3_PNS13_IS18_E10value_typeET4_jRbjT5_S1E_jjP12ihipStream_tbEUljE_ZNSN_ISO_Lb0ESQ_SR_ST_SU_SY_EESZ_S10_S11_S12_S16_S17_S18_S1B_S1C_jS1D_jS1E_S1E_jjS1G_bEUljE0_EEESZ_S10_S11_S18_S1C_S1E_T6_T7_T9_mT8_S1G_bDpT10_ENKUlT_T0_E_clISt17integral_constantIbLb1EES1U_EEDaS1P_S1Q_EUlS1P_E_NS1_11comp_targetILNS1_3genE2ELNS1_11target_archE906ELNS1_3gpuE6ELNS1_3repE0EEENS1_30default_config_static_selectorELNS0_4arch9wavefront6targetE1EEEvS12_.uses_flat_scratch, 0
	.set _ZN7rocprim17ROCPRIM_400000_NS6detail17trampoline_kernelINS0_13select_configILj256ELj13ELNS0_17block_load_methodE3ELS4_3ELS4_3ELNS0_20block_scan_algorithmE0ELj4294967295EEENS1_25partition_config_selectorILNS1_17partition_subalgoE4EjNS0_10empty_typeEbEEZZNS1_14partition_implILS8_4ELb0ES6_15HIP_vector_typeIjLj2EENS0_17counting_iteratorIjlEEPS9_SG_NS0_5tupleIJPjSI_NS0_16reverse_iteratorISI_EEEEENSH_IJSG_SG_SG_EEES9_SI_JZNS1_25segmented_radix_sort_implINS0_14default_configELb0EPKaPaPKlPlN2at6native12_GLOBAL__N_18offset_tEEE10hipError_tPvRmT1_PNSt15iterator_traitsIS12_E10value_typeET2_T3_PNS13_IS18_E10value_typeET4_jRbjT5_S1E_jjP12ihipStream_tbEUljE_ZNSN_ISO_Lb0ESQ_SR_ST_SU_SY_EESZ_S10_S11_S12_S16_S17_S18_S1B_S1C_jS1D_jS1E_S1E_jjS1G_bEUljE0_EEESZ_S10_S11_S18_S1C_S1E_T6_T7_T9_mT8_S1G_bDpT10_ENKUlT_T0_E_clISt17integral_constantIbLb1EES1U_EEDaS1P_S1Q_EUlS1P_E_NS1_11comp_targetILNS1_3genE2ELNS1_11target_archE906ELNS1_3gpuE6ELNS1_3repE0EEENS1_30default_config_static_selectorELNS0_4arch9wavefront6targetE1EEEvS12_.has_dyn_sized_stack, 0
	.set _ZN7rocprim17ROCPRIM_400000_NS6detail17trampoline_kernelINS0_13select_configILj256ELj13ELNS0_17block_load_methodE3ELS4_3ELS4_3ELNS0_20block_scan_algorithmE0ELj4294967295EEENS1_25partition_config_selectorILNS1_17partition_subalgoE4EjNS0_10empty_typeEbEEZZNS1_14partition_implILS8_4ELb0ES6_15HIP_vector_typeIjLj2EENS0_17counting_iteratorIjlEEPS9_SG_NS0_5tupleIJPjSI_NS0_16reverse_iteratorISI_EEEEENSH_IJSG_SG_SG_EEES9_SI_JZNS1_25segmented_radix_sort_implINS0_14default_configELb0EPKaPaPKlPlN2at6native12_GLOBAL__N_18offset_tEEE10hipError_tPvRmT1_PNSt15iterator_traitsIS12_E10value_typeET2_T3_PNS13_IS18_E10value_typeET4_jRbjT5_S1E_jjP12ihipStream_tbEUljE_ZNSN_ISO_Lb0ESQ_SR_ST_SU_SY_EESZ_S10_S11_S12_S16_S17_S18_S1B_S1C_jS1D_jS1E_S1E_jjS1G_bEUljE0_EEESZ_S10_S11_S18_S1C_S1E_T6_T7_T9_mT8_S1G_bDpT10_ENKUlT_T0_E_clISt17integral_constantIbLb1EES1U_EEDaS1P_S1Q_EUlS1P_E_NS1_11comp_targetILNS1_3genE2ELNS1_11target_archE906ELNS1_3gpuE6ELNS1_3repE0EEENS1_30default_config_static_selectorELNS0_4arch9wavefront6targetE1EEEvS12_.has_recursion, 0
	.set _ZN7rocprim17ROCPRIM_400000_NS6detail17trampoline_kernelINS0_13select_configILj256ELj13ELNS0_17block_load_methodE3ELS4_3ELS4_3ELNS0_20block_scan_algorithmE0ELj4294967295EEENS1_25partition_config_selectorILNS1_17partition_subalgoE4EjNS0_10empty_typeEbEEZZNS1_14partition_implILS8_4ELb0ES6_15HIP_vector_typeIjLj2EENS0_17counting_iteratorIjlEEPS9_SG_NS0_5tupleIJPjSI_NS0_16reverse_iteratorISI_EEEEENSH_IJSG_SG_SG_EEES9_SI_JZNS1_25segmented_radix_sort_implINS0_14default_configELb0EPKaPaPKlPlN2at6native12_GLOBAL__N_18offset_tEEE10hipError_tPvRmT1_PNSt15iterator_traitsIS12_E10value_typeET2_T3_PNS13_IS18_E10value_typeET4_jRbjT5_S1E_jjP12ihipStream_tbEUljE_ZNSN_ISO_Lb0ESQ_SR_ST_SU_SY_EESZ_S10_S11_S12_S16_S17_S18_S1B_S1C_jS1D_jS1E_S1E_jjS1G_bEUljE0_EEESZ_S10_S11_S18_S1C_S1E_T6_T7_T9_mT8_S1G_bDpT10_ENKUlT_T0_E_clISt17integral_constantIbLb1EES1U_EEDaS1P_S1Q_EUlS1P_E_NS1_11comp_targetILNS1_3genE2ELNS1_11target_archE906ELNS1_3gpuE6ELNS1_3repE0EEENS1_30default_config_static_selectorELNS0_4arch9wavefront6targetE1EEEvS12_.has_indirect_call, 0
	.section	.AMDGPU.csdata,"",@progbits
; Kernel info:
; codeLenInByte = 4
; TotalNumSgprs: 4
; NumVgprs: 0
; ScratchSize: 0
; MemoryBound: 0
; FloatMode: 240
; IeeeMode: 1
; LDSByteSize: 0 bytes/workgroup (compile time only)
; SGPRBlocks: 0
; VGPRBlocks: 0
; NumSGPRsForWavesPerEU: 4
; NumVGPRsForWavesPerEU: 1
; Occupancy: 10
; WaveLimiterHint : 0
; COMPUTE_PGM_RSRC2:SCRATCH_EN: 0
; COMPUTE_PGM_RSRC2:USER_SGPR: 6
; COMPUTE_PGM_RSRC2:TRAP_HANDLER: 0
; COMPUTE_PGM_RSRC2:TGID_X_EN: 1
; COMPUTE_PGM_RSRC2:TGID_Y_EN: 0
; COMPUTE_PGM_RSRC2:TGID_Z_EN: 0
; COMPUTE_PGM_RSRC2:TIDIG_COMP_CNT: 0
	.section	.text._ZN7rocprim17ROCPRIM_400000_NS6detail17trampoline_kernelINS0_13select_configILj256ELj13ELNS0_17block_load_methodE3ELS4_3ELS4_3ELNS0_20block_scan_algorithmE0ELj4294967295EEENS1_25partition_config_selectorILNS1_17partition_subalgoE4EjNS0_10empty_typeEbEEZZNS1_14partition_implILS8_4ELb0ES6_15HIP_vector_typeIjLj2EENS0_17counting_iteratorIjlEEPS9_SG_NS0_5tupleIJPjSI_NS0_16reverse_iteratorISI_EEEEENSH_IJSG_SG_SG_EEES9_SI_JZNS1_25segmented_radix_sort_implINS0_14default_configELb0EPKaPaPKlPlN2at6native12_GLOBAL__N_18offset_tEEE10hipError_tPvRmT1_PNSt15iterator_traitsIS12_E10value_typeET2_T3_PNS13_IS18_E10value_typeET4_jRbjT5_S1E_jjP12ihipStream_tbEUljE_ZNSN_ISO_Lb0ESQ_SR_ST_SU_SY_EESZ_S10_S11_S12_S16_S17_S18_S1B_S1C_jS1D_jS1E_S1E_jjS1G_bEUljE0_EEESZ_S10_S11_S18_S1C_S1E_T6_T7_T9_mT8_S1G_bDpT10_ENKUlT_T0_E_clISt17integral_constantIbLb1EES1U_EEDaS1P_S1Q_EUlS1P_E_NS1_11comp_targetILNS1_3genE10ELNS1_11target_archE1200ELNS1_3gpuE4ELNS1_3repE0EEENS1_30default_config_static_selectorELNS0_4arch9wavefront6targetE1EEEvS12_,"axG",@progbits,_ZN7rocprim17ROCPRIM_400000_NS6detail17trampoline_kernelINS0_13select_configILj256ELj13ELNS0_17block_load_methodE3ELS4_3ELS4_3ELNS0_20block_scan_algorithmE0ELj4294967295EEENS1_25partition_config_selectorILNS1_17partition_subalgoE4EjNS0_10empty_typeEbEEZZNS1_14partition_implILS8_4ELb0ES6_15HIP_vector_typeIjLj2EENS0_17counting_iteratorIjlEEPS9_SG_NS0_5tupleIJPjSI_NS0_16reverse_iteratorISI_EEEEENSH_IJSG_SG_SG_EEES9_SI_JZNS1_25segmented_radix_sort_implINS0_14default_configELb0EPKaPaPKlPlN2at6native12_GLOBAL__N_18offset_tEEE10hipError_tPvRmT1_PNSt15iterator_traitsIS12_E10value_typeET2_T3_PNS13_IS18_E10value_typeET4_jRbjT5_S1E_jjP12ihipStream_tbEUljE_ZNSN_ISO_Lb0ESQ_SR_ST_SU_SY_EESZ_S10_S11_S12_S16_S17_S18_S1B_S1C_jS1D_jS1E_S1E_jjS1G_bEUljE0_EEESZ_S10_S11_S18_S1C_S1E_T6_T7_T9_mT8_S1G_bDpT10_ENKUlT_T0_E_clISt17integral_constantIbLb1EES1U_EEDaS1P_S1Q_EUlS1P_E_NS1_11comp_targetILNS1_3genE10ELNS1_11target_archE1200ELNS1_3gpuE4ELNS1_3repE0EEENS1_30default_config_static_selectorELNS0_4arch9wavefront6targetE1EEEvS12_,comdat
	.globl	_ZN7rocprim17ROCPRIM_400000_NS6detail17trampoline_kernelINS0_13select_configILj256ELj13ELNS0_17block_load_methodE3ELS4_3ELS4_3ELNS0_20block_scan_algorithmE0ELj4294967295EEENS1_25partition_config_selectorILNS1_17partition_subalgoE4EjNS0_10empty_typeEbEEZZNS1_14partition_implILS8_4ELb0ES6_15HIP_vector_typeIjLj2EENS0_17counting_iteratorIjlEEPS9_SG_NS0_5tupleIJPjSI_NS0_16reverse_iteratorISI_EEEEENSH_IJSG_SG_SG_EEES9_SI_JZNS1_25segmented_radix_sort_implINS0_14default_configELb0EPKaPaPKlPlN2at6native12_GLOBAL__N_18offset_tEEE10hipError_tPvRmT1_PNSt15iterator_traitsIS12_E10value_typeET2_T3_PNS13_IS18_E10value_typeET4_jRbjT5_S1E_jjP12ihipStream_tbEUljE_ZNSN_ISO_Lb0ESQ_SR_ST_SU_SY_EESZ_S10_S11_S12_S16_S17_S18_S1B_S1C_jS1D_jS1E_S1E_jjS1G_bEUljE0_EEESZ_S10_S11_S18_S1C_S1E_T6_T7_T9_mT8_S1G_bDpT10_ENKUlT_T0_E_clISt17integral_constantIbLb1EES1U_EEDaS1P_S1Q_EUlS1P_E_NS1_11comp_targetILNS1_3genE10ELNS1_11target_archE1200ELNS1_3gpuE4ELNS1_3repE0EEENS1_30default_config_static_selectorELNS0_4arch9wavefront6targetE1EEEvS12_ ; -- Begin function _ZN7rocprim17ROCPRIM_400000_NS6detail17trampoline_kernelINS0_13select_configILj256ELj13ELNS0_17block_load_methodE3ELS4_3ELS4_3ELNS0_20block_scan_algorithmE0ELj4294967295EEENS1_25partition_config_selectorILNS1_17partition_subalgoE4EjNS0_10empty_typeEbEEZZNS1_14partition_implILS8_4ELb0ES6_15HIP_vector_typeIjLj2EENS0_17counting_iteratorIjlEEPS9_SG_NS0_5tupleIJPjSI_NS0_16reverse_iteratorISI_EEEEENSH_IJSG_SG_SG_EEES9_SI_JZNS1_25segmented_radix_sort_implINS0_14default_configELb0EPKaPaPKlPlN2at6native12_GLOBAL__N_18offset_tEEE10hipError_tPvRmT1_PNSt15iterator_traitsIS12_E10value_typeET2_T3_PNS13_IS18_E10value_typeET4_jRbjT5_S1E_jjP12ihipStream_tbEUljE_ZNSN_ISO_Lb0ESQ_SR_ST_SU_SY_EESZ_S10_S11_S12_S16_S17_S18_S1B_S1C_jS1D_jS1E_S1E_jjS1G_bEUljE0_EEESZ_S10_S11_S18_S1C_S1E_T6_T7_T9_mT8_S1G_bDpT10_ENKUlT_T0_E_clISt17integral_constantIbLb1EES1U_EEDaS1P_S1Q_EUlS1P_E_NS1_11comp_targetILNS1_3genE10ELNS1_11target_archE1200ELNS1_3gpuE4ELNS1_3repE0EEENS1_30default_config_static_selectorELNS0_4arch9wavefront6targetE1EEEvS12_
	.p2align	8
	.type	_ZN7rocprim17ROCPRIM_400000_NS6detail17trampoline_kernelINS0_13select_configILj256ELj13ELNS0_17block_load_methodE3ELS4_3ELS4_3ELNS0_20block_scan_algorithmE0ELj4294967295EEENS1_25partition_config_selectorILNS1_17partition_subalgoE4EjNS0_10empty_typeEbEEZZNS1_14partition_implILS8_4ELb0ES6_15HIP_vector_typeIjLj2EENS0_17counting_iteratorIjlEEPS9_SG_NS0_5tupleIJPjSI_NS0_16reverse_iteratorISI_EEEEENSH_IJSG_SG_SG_EEES9_SI_JZNS1_25segmented_radix_sort_implINS0_14default_configELb0EPKaPaPKlPlN2at6native12_GLOBAL__N_18offset_tEEE10hipError_tPvRmT1_PNSt15iterator_traitsIS12_E10value_typeET2_T3_PNS13_IS18_E10value_typeET4_jRbjT5_S1E_jjP12ihipStream_tbEUljE_ZNSN_ISO_Lb0ESQ_SR_ST_SU_SY_EESZ_S10_S11_S12_S16_S17_S18_S1B_S1C_jS1D_jS1E_S1E_jjS1G_bEUljE0_EEESZ_S10_S11_S18_S1C_S1E_T6_T7_T9_mT8_S1G_bDpT10_ENKUlT_T0_E_clISt17integral_constantIbLb1EES1U_EEDaS1P_S1Q_EUlS1P_E_NS1_11comp_targetILNS1_3genE10ELNS1_11target_archE1200ELNS1_3gpuE4ELNS1_3repE0EEENS1_30default_config_static_selectorELNS0_4arch9wavefront6targetE1EEEvS12_,@function
_ZN7rocprim17ROCPRIM_400000_NS6detail17trampoline_kernelINS0_13select_configILj256ELj13ELNS0_17block_load_methodE3ELS4_3ELS4_3ELNS0_20block_scan_algorithmE0ELj4294967295EEENS1_25partition_config_selectorILNS1_17partition_subalgoE4EjNS0_10empty_typeEbEEZZNS1_14partition_implILS8_4ELb0ES6_15HIP_vector_typeIjLj2EENS0_17counting_iteratorIjlEEPS9_SG_NS0_5tupleIJPjSI_NS0_16reverse_iteratorISI_EEEEENSH_IJSG_SG_SG_EEES9_SI_JZNS1_25segmented_radix_sort_implINS0_14default_configELb0EPKaPaPKlPlN2at6native12_GLOBAL__N_18offset_tEEE10hipError_tPvRmT1_PNSt15iterator_traitsIS12_E10value_typeET2_T3_PNS13_IS18_E10value_typeET4_jRbjT5_S1E_jjP12ihipStream_tbEUljE_ZNSN_ISO_Lb0ESQ_SR_ST_SU_SY_EESZ_S10_S11_S12_S16_S17_S18_S1B_S1C_jS1D_jS1E_S1E_jjS1G_bEUljE0_EEESZ_S10_S11_S18_S1C_S1E_T6_T7_T9_mT8_S1G_bDpT10_ENKUlT_T0_E_clISt17integral_constantIbLb1EES1U_EEDaS1P_S1Q_EUlS1P_E_NS1_11comp_targetILNS1_3genE10ELNS1_11target_archE1200ELNS1_3gpuE4ELNS1_3repE0EEENS1_30default_config_static_selectorELNS0_4arch9wavefront6targetE1EEEvS12_: ; @_ZN7rocprim17ROCPRIM_400000_NS6detail17trampoline_kernelINS0_13select_configILj256ELj13ELNS0_17block_load_methodE3ELS4_3ELS4_3ELNS0_20block_scan_algorithmE0ELj4294967295EEENS1_25partition_config_selectorILNS1_17partition_subalgoE4EjNS0_10empty_typeEbEEZZNS1_14partition_implILS8_4ELb0ES6_15HIP_vector_typeIjLj2EENS0_17counting_iteratorIjlEEPS9_SG_NS0_5tupleIJPjSI_NS0_16reverse_iteratorISI_EEEEENSH_IJSG_SG_SG_EEES9_SI_JZNS1_25segmented_radix_sort_implINS0_14default_configELb0EPKaPaPKlPlN2at6native12_GLOBAL__N_18offset_tEEE10hipError_tPvRmT1_PNSt15iterator_traitsIS12_E10value_typeET2_T3_PNS13_IS18_E10value_typeET4_jRbjT5_S1E_jjP12ihipStream_tbEUljE_ZNSN_ISO_Lb0ESQ_SR_ST_SU_SY_EESZ_S10_S11_S12_S16_S17_S18_S1B_S1C_jS1D_jS1E_S1E_jjS1G_bEUljE0_EEESZ_S10_S11_S18_S1C_S1E_T6_T7_T9_mT8_S1G_bDpT10_ENKUlT_T0_E_clISt17integral_constantIbLb1EES1U_EEDaS1P_S1Q_EUlS1P_E_NS1_11comp_targetILNS1_3genE10ELNS1_11target_archE1200ELNS1_3gpuE4ELNS1_3repE0EEENS1_30default_config_static_selectorELNS0_4arch9wavefront6targetE1EEEvS12_
; %bb.0:
	.section	.rodata,"a",@progbits
	.p2align	6, 0x0
	.amdhsa_kernel _ZN7rocprim17ROCPRIM_400000_NS6detail17trampoline_kernelINS0_13select_configILj256ELj13ELNS0_17block_load_methodE3ELS4_3ELS4_3ELNS0_20block_scan_algorithmE0ELj4294967295EEENS1_25partition_config_selectorILNS1_17partition_subalgoE4EjNS0_10empty_typeEbEEZZNS1_14partition_implILS8_4ELb0ES6_15HIP_vector_typeIjLj2EENS0_17counting_iteratorIjlEEPS9_SG_NS0_5tupleIJPjSI_NS0_16reverse_iteratorISI_EEEEENSH_IJSG_SG_SG_EEES9_SI_JZNS1_25segmented_radix_sort_implINS0_14default_configELb0EPKaPaPKlPlN2at6native12_GLOBAL__N_18offset_tEEE10hipError_tPvRmT1_PNSt15iterator_traitsIS12_E10value_typeET2_T3_PNS13_IS18_E10value_typeET4_jRbjT5_S1E_jjP12ihipStream_tbEUljE_ZNSN_ISO_Lb0ESQ_SR_ST_SU_SY_EESZ_S10_S11_S12_S16_S17_S18_S1B_S1C_jS1D_jS1E_S1E_jjS1G_bEUljE0_EEESZ_S10_S11_S18_S1C_S1E_T6_T7_T9_mT8_S1G_bDpT10_ENKUlT_T0_E_clISt17integral_constantIbLb1EES1U_EEDaS1P_S1Q_EUlS1P_E_NS1_11comp_targetILNS1_3genE10ELNS1_11target_archE1200ELNS1_3gpuE4ELNS1_3repE0EEENS1_30default_config_static_selectorELNS0_4arch9wavefront6targetE1EEEvS12_
		.amdhsa_group_segment_fixed_size 0
		.amdhsa_private_segment_fixed_size 0
		.amdhsa_kernarg_size 184
		.amdhsa_user_sgpr_count 6
		.amdhsa_user_sgpr_private_segment_buffer 1
		.amdhsa_user_sgpr_dispatch_ptr 0
		.amdhsa_user_sgpr_queue_ptr 0
		.amdhsa_user_sgpr_kernarg_segment_ptr 1
		.amdhsa_user_sgpr_dispatch_id 0
		.amdhsa_user_sgpr_flat_scratch_init 0
		.amdhsa_user_sgpr_private_segment_size 0
		.amdhsa_uses_dynamic_stack 0
		.amdhsa_system_sgpr_private_segment_wavefront_offset 0
		.amdhsa_system_sgpr_workgroup_id_x 1
		.amdhsa_system_sgpr_workgroup_id_y 0
		.amdhsa_system_sgpr_workgroup_id_z 0
		.amdhsa_system_sgpr_workgroup_info 0
		.amdhsa_system_vgpr_workitem_id 0
		.amdhsa_next_free_vgpr 1
		.amdhsa_next_free_sgpr 0
		.amdhsa_reserve_vcc 0
		.amdhsa_reserve_flat_scratch 0
		.amdhsa_float_round_mode_32 0
		.amdhsa_float_round_mode_16_64 0
		.amdhsa_float_denorm_mode_32 3
		.amdhsa_float_denorm_mode_16_64 3
		.amdhsa_dx10_clamp 1
		.amdhsa_ieee_mode 1
		.amdhsa_fp16_overflow 0
		.amdhsa_exception_fp_ieee_invalid_op 0
		.amdhsa_exception_fp_denorm_src 0
		.amdhsa_exception_fp_ieee_div_zero 0
		.amdhsa_exception_fp_ieee_overflow 0
		.amdhsa_exception_fp_ieee_underflow 0
		.amdhsa_exception_fp_ieee_inexact 0
		.amdhsa_exception_int_div_zero 0
	.end_amdhsa_kernel
	.section	.text._ZN7rocprim17ROCPRIM_400000_NS6detail17trampoline_kernelINS0_13select_configILj256ELj13ELNS0_17block_load_methodE3ELS4_3ELS4_3ELNS0_20block_scan_algorithmE0ELj4294967295EEENS1_25partition_config_selectorILNS1_17partition_subalgoE4EjNS0_10empty_typeEbEEZZNS1_14partition_implILS8_4ELb0ES6_15HIP_vector_typeIjLj2EENS0_17counting_iteratorIjlEEPS9_SG_NS0_5tupleIJPjSI_NS0_16reverse_iteratorISI_EEEEENSH_IJSG_SG_SG_EEES9_SI_JZNS1_25segmented_radix_sort_implINS0_14default_configELb0EPKaPaPKlPlN2at6native12_GLOBAL__N_18offset_tEEE10hipError_tPvRmT1_PNSt15iterator_traitsIS12_E10value_typeET2_T3_PNS13_IS18_E10value_typeET4_jRbjT5_S1E_jjP12ihipStream_tbEUljE_ZNSN_ISO_Lb0ESQ_SR_ST_SU_SY_EESZ_S10_S11_S12_S16_S17_S18_S1B_S1C_jS1D_jS1E_S1E_jjS1G_bEUljE0_EEESZ_S10_S11_S18_S1C_S1E_T6_T7_T9_mT8_S1G_bDpT10_ENKUlT_T0_E_clISt17integral_constantIbLb1EES1U_EEDaS1P_S1Q_EUlS1P_E_NS1_11comp_targetILNS1_3genE10ELNS1_11target_archE1200ELNS1_3gpuE4ELNS1_3repE0EEENS1_30default_config_static_selectorELNS0_4arch9wavefront6targetE1EEEvS12_,"axG",@progbits,_ZN7rocprim17ROCPRIM_400000_NS6detail17trampoline_kernelINS0_13select_configILj256ELj13ELNS0_17block_load_methodE3ELS4_3ELS4_3ELNS0_20block_scan_algorithmE0ELj4294967295EEENS1_25partition_config_selectorILNS1_17partition_subalgoE4EjNS0_10empty_typeEbEEZZNS1_14partition_implILS8_4ELb0ES6_15HIP_vector_typeIjLj2EENS0_17counting_iteratorIjlEEPS9_SG_NS0_5tupleIJPjSI_NS0_16reverse_iteratorISI_EEEEENSH_IJSG_SG_SG_EEES9_SI_JZNS1_25segmented_radix_sort_implINS0_14default_configELb0EPKaPaPKlPlN2at6native12_GLOBAL__N_18offset_tEEE10hipError_tPvRmT1_PNSt15iterator_traitsIS12_E10value_typeET2_T3_PNS13_IS18_E10value_typeET4_jRbjT5_S1E_jjP12ihipStream_tbEUljE_ZNSN_ISO_Lb0ESQ_SR_ST_SU_SY_EESZ_S10_S11_S12_S16_S17_S18_S1B_S1C_jS1D_jS1E_S1E_jjS1G_bEUljE0_EEESZ_S10_S11_S18_S1C_S1E_T6_T7_T9_mT8_S1G_bDpT10_ENKUlT_T0_E_clISt17integral_constantIbLb1EES1U_EEDaS1P_S1Q_EUlS1P_E_NS1_11comp_targetILNS1_3genE10ELNS1_11target_archE1200ELNS1_3gpuE4ELNS1_3repE0EEENS1_30default_config_static_selectorELNS0_4arch9wavefront6targetE1EEEvS12_,comdat
.Lfunc_end342:
	.size	_ZN7rocprim17ROCPRIM_400000_NS6detail17trampoline_kernelINS0_13select_configILj256ELj13ELNS0_17block_load_methodE3ELS4_3ELS4_3ELNS0_20block_scan_algorithmE0ELj4294967295EEENS1_25partition_config_selectorILNS1_17partition_subalgoE4EjNS0_10empty_typeEbEEZZNS1_14partition_implILS8_4ELb0ES6_15HIP_vector_typeIjLj2EENS0_17counting_iteratorIjlEEPS9_SG_NS0_5tupleIJPjSI_NS0_16reverse_iteratorISI_EEEEENSH_IJSG_SG_SG_EEES9_SI_JZNS1_25segmented_radix_sort_implINS0_14default_configELb0EPKaPaPKlPlN2at6native12_GLOBAL__N_18offset_tEEE10hipError_tPvRmT1_PNSt15iterator_traitsIS12_E10value_typeET2_T3_PNS13_IS18_E10value_typeET4_jRbjT5_S1E_jjP12ihipStream_tbEUljE_ZNSN_ISO_Lb0ESQ_SR_ST_SU_SY_EESZ_S10_S11_S12_S16_S17_S18_S1B_S1C_jS1D_jS1E_S1E_jjS1G_bEUljE0_EEESZ_S10_S11_S18_S1C_S1E_T6_T7_T9_mT8_S1G_bDpT10_ENKUlT_T0_E_clISt17integral_constantIbLb1EES1U_EEDaS1P_S1Q_EUlS1P_E_NS1_11comp_targetILNS1_3genE10ELNS1_11target_archE1200ELNS1_3gpuE4ELNS1_3repE0EEENS1_30default_config_static_selectorELNS0_4arch9wavefront6targetE1EEEvS12_, .Lfunc_end342-_ZN7rocprim17ROCPRIM_400000_NS6detail17trampoline_kernelINS0_13select_configILj256ELj13ELNS0_17block_load_methodE3ELS4_3ELS4_3ELNS0_20block_scan_algorithmE0ELj4294967295EEENS1_25partition_config_selectorILNS1_17partition_subalgoE4EjNS0_10empty_typeEbEEZZNS1_14partition_implILS8_4ELb0ES6_15HIP_vector_typeIjLj2EENS0_17counting_iteratorIjlEEPS9_SG_NS0_5tupleIJPjSI_NS0_16reverse_iteratorISI_EEEEENSH_IJSG_SG_SG_EEES9_SI_JZNS1_25segmented_radix_sort_implINS0_14default_configELb0EPKaPaPKlPlN2at6native12_GLOBAL__N_18offset_tEEE10hipError_tPvRmT1_PNSt15iterator_traitsIS12_E10value_typeET2_T3_PNS13_IS18_E10value_typeET4_jRbjT5_S1E_jjP12ihipStream_tbEUljE_ZNSN_ISO_Lb0ESQ_SR_ST_SU_SY_EESZ_S10_S11_S12_S16_S17_S18_S1B_S1C_jS1D_jS1E_S1E_jjS1G_bEUljE0_EEESZ_S10_S11_S18_S1C_S1E_T6_T7_T9_mT8_S1G_bDpT10_ENKUlT_T0_E_clISt17integral_constantIbLb1EES1U_EEDaS1P_S1Q_EUlS1P_E_NS1_11comp_targetILNS1_3genE10ELNS1_11target_archE1200ELNS1_3gpuE4ELNS1_3repE0EEENS1_30default_config_static_selectorELNS0_4arch9wavefront6targetE1EEEvS12_
                                        ; -- End function
	.set _ZN7rocprim17ROCPRIM_400000_NS6detail17trampoline_kernelINS0_13select_configILj256ELj13ELNS0_17block_load_methodE3ELS4_3ELS4_3ELNS0_20block_scan_algorithmE0ELj4294967295EEENS1_25partition_config_selectorILNS1_17partition_subalgoE4EjNS0_10empty_typeEbEEZZNS1_14partition_implILS8_4ELb0ES6_15HIP_vector_typeIjLj2EENS0_17counting_iteratorIjlEEPS9_SG_NS0_5tupleIJPjSI_NS0_16reverse_iteratorISI_EEEEENSH_IJSG_SG_SG_EEES9_SI_JZNS1_25segmented_radix_sort_implINS0_14default_configELb0EPKaPaPKlPlN2at6native12_GLOBAL__N_18offset_tEEE10hipError_tPvRmT1_PNSt15iterator_traitsIS12_E10value_typeET2_T3_PNS13_IS18_E10value_typeET4_jRbjT5_S1E_jjP12ihipStream_tbEUljE_ZNSN_ISO_Lb0ESQ_SR_ST_SU_SY_EESZ_S10_S11_S12_S16_S17_S18_S1B_S1C_jS1D_jS1E_S1E_jjS1G_bEUljE0_EEESZ_S10_S11_S18_S1C_S1E_T6_T7_T9_mT8_S1G_bDpT10_ENKUlT_T0_E_clISt17integral_constantIbLb1EES1U_EEDaS1P_S1Q_EUlS1P_E_NS1_11comp_targetILNS1_3genE10ELNS1_11target_archE1200ELNS1_3gpuE4ELNS1_3repE0EEENS1_30default_config_static_selectorELNS0_4arch9wavefront6targetE1EEEvS12_.num_vgpr, 0
	.set _ZN7rocprim17ROCPRIM_400000_NS6detail17trampoline_kernelINS0_13select_configILj256ELj13ELNS0_17block_load_methodE3ELS4_3ELS4_3ELNS0_20block_scan_algorithmE0ELj4294967295EEENS1_25partition_config_selectorILNS1_17partition_subalgoE4EjNS0_10empty_typeEbEEZZNS1_14partition_implILS8_4ELb0ES6_15HIP_vector_typeIjLj2EENS0_17counting_iteratorIjlEEPS9_SG_NS0_5tupleIJPjSI_NS0_16reverse_iteratorISI_EEEEENSH_IJSG_SG_SG_EEES9_SI_JZNS1_25segmented_radix_sort_implINS0_14default_configELb0EPKaPaPKlPlN2at6native12_GLOBAL__N_18offset_tEEE10hipError_tPvRmT1_PNSt15iterator_traitsIS12_E10value_typeET2_T3_PNS13_IS18_E10value_typeET4_jRbjT5_S1E_jjP12ihipStream_tbEUljE_ZNSN_ISO_Lb0ESQ_SR_ST_SU_SY_EESZ_S10_S11_S12_S16_S17_S18_S1B_S1C_jS1D_jS1E_S1E_jjS1G_bEUljE0_EEESZ_S10_S11_S18_S1C_S1E_T6_T7_T9_mT8_S1G_bDpT10_ENKUlT_T0_E_clISt17integral_constantIbLb1EES1U_EEDaS1P_S1Q_EUlS1P_E_NS1_11comp_targetILNS1_3genE10ELNS1_11target_archE1200ELNS1_3gpuE4ELNS1_3repE0EEENS1_30default_config_static_selectorELNS0_4arch9wavefront6targetE1EEEvS12_.num_agpr, 0
	.set _ZN7rocprim17ROCPRIM_400000_NS6detail17trampoline_kernelINS0_13select_configILj256ELj13ELNS0_17block_load_methodE3ELS4_3ELS4_3ELNS0_20block_scan_algorithmE0ELj4294967295EEENS1_25partition_config_selectorILNS1_17partition_subalgoE4EjNS0_10empty_typeEbEEZZNS1_14partition_implILS8_4ELb0ES6_15HIP_vector_typeIjLj2EENS0_17counting_iteratorIjlEEPS9_SG_NS0_5tupleIJPjSI_NS0_16reverse_iteratorISI_EEEEENSH_IJSG_SG_SG_EEES9_SI_JZNS1_25segmented_radix_sort_implINS0_14default_configELb0EPKaPaPKlPlN2at6native12_GLOBAL__N_18offset_tEEE10hipError_tPvRmT1_PNSt15iterator_traitsIS12_E10value_typeET2_T3_PNS13_IS18_E10value_typeET4_jRbjT5_S1E_jjP12ihipStream_tbEUljE_ZNSN_ISO_Lb0ESQ_SR_ST_SU_SY_EESZ_S10_S11_S12_S16_S17_S18_S1B_S1C_jS1D_jS1E_S1E_jjS1G_bEUljE0_EEESZ_S10_S11_S18_S1C_S1E_T6_T7_T9_mT8_S1G_bDpT10_ENKUlT_T0_E_clISt17integral_constantIbLb1EES1U_EEDaS1P_S1Q_EUlS1P_E_NS1_11comp_targetILNS1_3genE10ELNS1_11target_archE1200ELNS1_3gpuE4ELNS1_3repE0EEENS1_30default_config_static_selectorELNS0_4arch9wavefront6targetE1EEEvS12_.numbered_sgpr, 0
	.set _ZN7rocprim17ROCPRIM_400000_NS6detail17trampoline_kernelINS0_13select_configILj256ELj13ELNS0_17block_load_methodE3ELS4_3ELS4_3ELNS0_20block_scan_algorithmE0ELj4294967295EEENS1_25partition_config_selectorILNS1_17partition_subalgoE4EjNS0_10empty_typeEbEEZZNS1_14partition_implILS8_4ELb0ES6_15HIP_vector_typeIjLj2EENS0_17counting_iteratorIjlEEPS9_SG_NS0_5tupleIJPjSI_NS0_16reverse_iteratorISI_EEEEENSH_IJSG_SG_SG_EEES9_SI_JZNS1_25segmented_radix_sort_implINS0_14default_configELb0EPKaPaPKlPlN2at6native12_GLOBAL__N_18offset_tEEE10hipError_tPvRmT1_PNSt15iterator_traitsIS12_E10value_typeET2_T3_PNS13_IS18_E10value_typeET4_jRbjT5_S1E_jjP12ihipStream_tbEUljE_ZNSN_ISO_Lb0ESQ_SR_ST_SU_SY_EESZ_S10_S11_S12_S16_S17_S18_S1B_S1C_jS1D_jS1E_S1E_jjS1G_bEUljE0_EEESZ_S10_S11_S18_S1C_S1E_T6_T7_T9_mT8_S1G_bDpT10_ENKUlT_T0_E_clISt17integral_constantIbLb1EES1U_EEDaS1P_S1Q_EUlS1P_E_NS1_11comp_targetILNS1_3genE10ELNS1_11target_archE1200ELNS1_3gpuE4ELNS1_3repE0EEENS1_30default_config_static_selectorELNS0_4arch9wavefront6targetE1EEEvS12_.num_named_barrier, 0
	.set _ZN7rocprim17ROCPRIM_400000_NS6detail17trampoline_kernelINS0_13select_configILj256ELj13ELNS0_17block_load_methodE3ELS4_3ELS4_3ELNS0_20block_scan_algorithmE0ELj4294967295EEENS1_25partition_config_selectorILNS1_17partition_subalgoE4EjNS0_10empty_typeEbEEZZNS1_14partition_implILS8_4ELb0ES6_15HIP_vector_typeIjLj2EENS0_17counting_iteratorIjlEEPS9_SG_NS0_5tupleIJPjSI_NS0_16reverse_iteratorISI_EEEEENSH_IJSG_SG_SG_EEES9_SI_JZNS1_25segmented_radix_sort_implINS0_14default_configELb0EPKaPaPKlPlN2at6native12_GLOBAL__N_18offset_tEEE10hipError_tPvRmT1_PNSt15iterator_traitsIS12_E10value_typeET2_T3_PNS13_IS18_E10value_typeET4_jRbjT5_S1E_jjP12ihipStream_tbEUljE_ZNSN_ISO_Lb0ESQ_SR_ST_SU_SY_EESZ_S10_S11_S12_S16_S17_S18_S1B_S1C_jS1D_jS1E_S1E_jjS1G_bEUljE0_EEESZ_S10_S11_S18_S1C_S1E_T6_T7_T9_mT8_S1G_bDpT10_ENKUlT_T0_E_clISt17integral_constantIbLb1EES1U_EEDaS1P_S1Q_EUlS1P_E_NS1_11comp_targetILNS1_3genE10ELNS1_11target_archE1200ELNS1_3gpuE4ELNS1_3repE0EEENS1_30default_config_static_selectorELNS0_4arch9wavefront6targetE1EEEvS12_.private_seg_size, 0
	.set _ZN7rocprim17ROCPRIM_400000_NS6detail17trampoline_kernelINS0_13select_configILj256ELj13ELNS0_17block_load_methodE3ELS4_3ELS4_3ELNS0_20block_scan_algorithmE0ELj4294967295EEENS1_25partition_config_selectorILNS1_17partition_subalgoE4EjNS0_10empty_typeEbEEZZNS1_14partition_implILS8_4ELb0ES6_15HIP_vector_typeIjLj2EENS0_17counting_iteratorIjlEEPS9_SG_NS0_5tupleIJPjSI_NS0_16reverse_iteratorISI_EEEEENSH_IJSG_SG_SG_EEES9_SI_JZNS1_25segmented_radix_sort_implINS0_14default_configELb0EPKaPaPKlPlN2at6native12_GLOBAL__N_18offset_tEEE10hipError_tPvRmT1_PNSt15iterator_traitsIS12_E10value_typeET2_T3_PNS13_IS18_E10value_typeET4_jRbjT5_S1E_jjP12ihipStream_tbEUljE_ZNSN_ISO_Lb0ESQ_SR_ST_SU_SY_EESZ_S10_S11_S12_S16_S17_S18_S1B_S1C_jS1D_jS1E_S1E_jjS1G_bEUljE0_EEESZ_S10_S11_S18_S1C_S1E_T6_T7_T9_mT8_S1G_bDpT10_ENKUlT_T0_E_clISt17integral_constantIbLb1EES1U_EEDaS1P_S1Q_EUlS1P_E_NS1_11comp_targetILNS1_3genE10ELNS1_11target_archE1200ELNS1_3gpuE4ELNS1_3repE0EEENS1_30default_config_static_selectorELNS0_4arch9wavefront6targetE1EEEvS12_.uses_vcc, 0
	.set _ZN7rocprim17ROCPRIM_400000_NS6detail17trampoline_kernelINS0_13select_configILj256ELj13ELNS0_17block_load_methodE3ELS4_3ELS4_3ELNS0_20block_scan_algorithmE0ELj4294967295EEENS1_25partition_config_selectorILNS1_17partition_subalgoE4EjNS0_10empty_typeEbEEZZNS1_14partition_implILS8_4ELb0ES6_15HIP_vector_typeIjLj2EENS0_17counting_iteratorIjlEEPS9_SG_NS0_5tupleIJPjSI_NS0_16reverse_iteratorISI_EEEEENSH_IJSG_SG_SG_EEES9_SI_JZNS1_25segmented_radix_sort_implINS0_14default_configELb0EPKaPaPKlPlN2at6native12_GLOBAL__N_18offset_tEEE10hipError_tPvRmT1_PNSt15iterator_traitsIS12_E10value_typeET2_T3_PNS13_IS18_E10value_typeET4_jRbjT5_S1E_jjP12ihipStream_tbEUljE_ZNSN_ISO_Lb0ESQ_SR_ST_SU_SY_EESZ_S10_S11_S12_S16_S17_S18_S1B_S1C_jS1D_jS1E_S1E_jjS1G_bEUljE0_EEESZ_S10_S11_S18_S1C_S1E_T6_T7_T9_mT8_S1G_bDpT10_ENKUlT_T0_E_clISt17integral_constantIbLb1EES1U_EEDaS1P_S1Q_EUlS1P_E_NS1_11comp_targetILNS1_3genE10ELNS1_11target_archE1200ELNS1_3gpuE4ELNS1_3repE0EEENS1_30default_config_static_selectorELNS0_4arch9wavefront6targetE1EEEvS12_.uses_flat_scratch, 0
	.set _ZN7rocprim17ROCPRIM_400000_NS6detail17trampoline_kernelINS0_13select_configILj256ELj13ELNS0_17block_load_methodE3ELS4_3ELS4_3ELNS0_20block_scan_algorithmE0ELj4294967295EEENS1_25partition_config_selectorILNS1_17partition_subalgoE4EjNS0_10empty_typeEbEEZZNS1_14partition_implILS8_4ELb0ES6_15HIP_vector_typeIjLj2EENS0_17counting_iteratorIjlEEPS9_SG_NS0_5tupleIJPjSI_NS0_16reverse_iteratorISI_EEEEENSH_IJSG_SG_SG_EEES9_SI_JZNS1_25segmented_radix_sort_implINS0_14default_configELb0EPKaPaPKlPlN2at6native12_GLOBAL__N_18offset_tEEE10hipError_tPvRmT1_PNSt15iterator_traitsIS12_E10value_typeET2_T3_PNS13_IS18_E10value_typeET4_jRbjT5_S1E_jjP12ihipStream_tbEUljE_ZNSN_ISO_Lb0ESQ_SR_ST_SU_SY_EESZ_S10_S11_S12_S16_S17_S18_S1B_S1C_jS1D_jS1E_S1E_jjS1G_bEUljE0_EEESZ_S10_S11_S18_S1C_S1E_T6_T7_T9_mT8_S1G_bDpT10_ENKUlT_T0_E_clISt17integral_constantIbLb1EES1U_EEDaS1P_S1Q_EUlS1P_E_NS1_11comp_targetILNS1_3genE10ELNS1_11target_archE1200ELNS1_3gpuE4ELNS1_3repE0EEENS1_30default_config_static_selectorELNS0_4arch9wavefront6targetE1EEEvS12_.has_dyn_sized_stack, 0
	.set _ZN7rocprim17ROCPRIM_400000_NS6detail17trampoline_kernelINS0_13select_configILj256ELj13ELNS0_17block_load_methodE3ELS4_3ELS4_3ELNS0_20block_scan_algorithmE0ELj4294967295EEENS1_25partition_config_selectorILNS1_17partition_subalgoE4EjNS0_10empty_typeEbEEZZNS1_14partition_implILS8_4ELb0ES6_15HIP_vector_typeIjLj2EENS0_17counting_iteratorIjlEEPS9_SG_NS0_5tupleIJPjSI_NS0_16reverse_iteratorISI_EEEEENSH_IJSG_SG_SG_EEES9_SI_JZNS1_25segmented_radix_sort_implINS0_14default_configELb0EPKaPaPKlPlN2at6native12_GLOBAL__N_18offset_tEEE10hipError_tPvRmT1_PNSt15iterator_traitsIS12_E10value_typeET2_T3_PNS13_IS18_E10value_typeET4_jRbjT5_S1E_jjP12ihipStream_tbEUljE_ZNSN_ISO_Lb0ESQ_SR_ST_SU_SY_EESZ_S10_S11_S12_S16_S17_S18_S1B_S1C_jS1D_jS1E_S1E_jjS1G_bEUljE0_EEESZ_S10_S11_S18_S1C_S1E_T6_T7_T9_mT8_S1G_bDpT10_ENKUlT_T0_E_clISt17integral_constantIbLb1EES1U_EEDaS1P_S1Q_EUlS1P_E_NS1_11comp_targetILNS1_3genE10ELNS1_11target_archE1200ELNS1_3gpuE4ELNS1_3repE0EEENS1_30default_config_static_selectorELNS0_4arch9wavefront6targetE1EEEvS12_.has_recursion, 0
	.set _ZN7rocprim17ROCPRIM_400000_NS6detail17trampoline_kernelINS0_13select_configILj256ELj13ELNS0_17block_load_methodE3ELS4_3ELS4_3ELNS0_20block_scan_algorithmE0ELj4294967295EEENS1_25partition_config_selectorILNS1_17partition_subalgoE4EjNS0_10empty_typeEbEEZZNS1_14partition_implILS8_4ELb0ES6_15HIP_vector_typeIjLj2EENS0_17counting_iteratorIjlEEPS9_SG_NS0_5tupleIJPjSI_NS0_16reverse_iteratorISI_EEEEENSH_IJSG_SG_SG_EEES9_SI_JZNS1_25segmented_radix_sort_implINS0_14default_configELb0EPKaPaPKlPlN2at6native12_GLOBAL__N_18offset_tEEE10hipError_tPvRmT1_PNSt15iterator_traitsIS12_E10value_typeET2_T3_PNS13_IS18_E10value_typeET4_jRbjT5_S1E_jjP12ihipStream_tbEUljE_ZNSN_ISO_Lb0ESQ_SR_ST_SU_SY_EESZ_S10_S11_S12_S16_S17_S18_S1B_S1C_jS1D_jS1E_S1E_jjS1G_bEUljE0_EEESZ_S10_S11_S18_S1C_S1E_T6_T7_T9_mT8_S1G_bDpT10_ENKUlT_T0_E_clISt17integral_constantIbLb1EES1U_EEDaS1P_S1Q_EUlS1P_E_NS1_11comp_targetILNS1_3genE10ELNS1_11target_archE1200ELNS1_3gpuE4ELNS1_3repE0EEENS1_30default_config_static_selectorELNS0_4arch9wavefront6targetE1EEEvS12_.has_indirect_call, 0
	.section	.AMDGPU.csdata,"",@progbits
; Kernel info:
; codeLenInByte = 0
; TotalNumSgprs: 4
; NumVgprs: 0
; ScratchSize: 0
; MemoryBound: 0
; FloatMode: 240
; IeeeMode: 1
; LDSByteSize: 0 bytes/workgroup (compile time only)
; SGPRBlocks: 0
; VGPRBlocks: 0
; NumSGPRsForWavesPerEU: 4
; NumVGPRsForWavesPerEU: 1
; Occupancy: 10
; WaveLimiterHint : 0
; COMPUTE_PGM_RSRC2:SCRATCH_EN: 0
; COMPUTE_PGM_RSRC2:USER_SGPR: 6
; COMPUTE_PGM_RSRC2:TRAP_HANDLER: 0
; COMPUTE_PGM_RSRC2:TGID_X_EN: 1
; COMPUTE_PGM_RSRC2:TGID_Y_EN: 0
; COMPUTE_PGM_RSRC2:TGID_Z_EN: 0
; COMPUTE_PGM_RSRC2:TIDIG_COMP_CNT: 0
	.section	.text._ZN7rocprim17ROCPRIM_400000_NS6detail17trampoline_kernelINS0_13select_configILj256ELj13ELNS0_17block_load_methodE3ELS4_3ELS4_3ELNS0_20block_scan_algorithmE0ELj4294967295EEENS1_25partition_config_selectorILNS1_17partition_subalgoE4EjNS0_10empty_typeEbEEZZNS1_14partition_implILS8_4ELb0ES6_15HIP_vector_typeIjLj2EENS0_17counting_iteratorIjlEEPS9_SG_NS0_5tupleIJPjSI_NS0_16reverse_iteratorISI_EEEEENSH_IJSG_SG_SG_EEES9_SI_JZNS1_25segmented_radix_sort_implINS0_14default_configELb0EPKaPaPKlPlN2at6native12_GLOBAL__N_18offset_tEEE10hipError_tPvRmT1_PNSt15iterator_traitsIS12_E10value_typeET2_T3_PNS13_IS18_E10value_typeET4_jRbjT5_S1E_jjP12ihipStream_tbEUljE_ZNSN_ISO_Lb0ESQ_SR_ST_SU_SY_EESZ_S10_S11_S12_S16_S17_S18_S1B_S1C_jS1D_jS1E_S1E_jjS1G_bEUljE0_EEESZ_S10_S11_S18_S1C_S1E_T6_T7_T9_mT8_S1G_bDpT10_ENKUlT_T0_E_clISt17integral_constantIbLb1EES1U_EEDaS1P_S1Q_EUlS1P_E_NS1_11comp_targetILNS1_3genE9ELNS1_11target_archE1100ELNS1_3gpuE3ELNS1_3repE0EEENS1_30default_config_static_selectorELNS0_4arch9wavefront6targetE1EEEvS12_,"axG",@progbits,_ZN7rocprim17ROCPRIM_400000_NS6detail17trampoline_kernelINS0_13select_configILj256ELj13ELNS0_17block_load_methodE3ELS4_3ELS4_3ELNS0_20block_scan_algorithmE0ELj4294967295EEENS1_25partition_config_selectorILNS1_17partition_subalgoE4EjNS0_10empty_typeEbEEZZNS1_14partition_implILS8_4ELb0ES6_15HIP_vector_typeIjLj2EENS0_17counting_iteratorIjlEEPS9_SG_NS0_5tupleIJPjSI_NS0_16reverse_iteratorISI_EEEEENSH_IJSG_SG_SG_EEES9_SI_JZNS1_25segmented_radix_sort_implINS0_14default_configELb0EPKaPaPKlPlN2at6native12_GLOBAL__N_18offset_tEEE10hipError_tPvRmT1_PNSt15iterator_traitsIS12_E10value_typeET2_T3_PNS13_IS18_E10value_typeET4_jRbjT5_S1E_jjP12ihipStream_tbEUljE_ZNSN_ISO_Lb0ESQ_SR_ST_SU_SY_EESZ_S10_S11_S12_S16_S17_S18_S1B_S1C_jS1D_jS1E_S1E_jjS1G_bEUljE0_EEESZ_S10_S11_S18_S1C_S1E_T6_T7_T9_mT8_S1G_bDpT10_ENKUlT_T0_E_clISt17integral_constantIbLb1EES1U_EEDaS1P_S1Q_EUlS1P_E_NS1_11comp_targetILNS1_3genE9ELNS1_11target_archE1100ELNS1_3gpuE3ELNS1_3repE0EEENS1_30default_config_static_selectorELNS0_4arch9wavefront6targetE1EEEvS12_,comdat
	.globl	_ZN7rocprim17ROCPRIM_400000_NS6detail17trampoline_kernelINS0_13select_configILj256ELj13ELNS0_17block_load_methodE3ELS4_3ELS4_3ELNS0_20block_scan_algorithmE0ELj4294967295EEENS1_25partition_config_selectorILNS1_17partition_subalgoE4EjNS0_10empty_typeEbEEZZNS1_14partition_implILS8_4ELb0ES6_15HIP_vector_typeIjLj2EENS0_17counting_iteratorIjlEEPS9_SG_NS0_5tupleIJPjSI_NS0_16reverse_iteratorISI_EEEEENSH_IJSG_SG_SG_EEES9_SI_JZNS1_25segmented_radix_sort_implINS0_14default_configELb0EPKaPaPKlPlN2at6native12_GLOBAL__N_18offset_tEEE10hipError_tPvRmT1_PNSt15iterator_traitsIS12_E10value_typeET2_T3_PNS13_IS18_E10value_typeET4_jRbjT5_S1E_jjP12ihipStream_tbEUljE_ZNSN_ISO_Lb0ESQ_SR_ST_SU_SY_EESZ_S10_S11_S12_S16_S17_S18_S1B_S1C_jS1D_jS1E_S1E_jjS1G_bEUljE0_EEESZ_S10_S11_S18_S1C_S1E_T6_T7_T9_mT8_S1G_bDpT10_ENKUlT_T0_E_clISt17integral_constantIbLb1EES1U_EEDaS1P_S1Q_EUlS1P_E_NS1_11comp_targetILNS1_3genE9ELNS1_11target_archE1100ELNS1_3gpuE3ELNS1_3repE0EEENS1_30default_config_static_selectorELNS0_4arch9wavefront6targetE1EEEvS12_ ; -- Begin function _ZN7rocprim17ROCPRIM_400000_NS6detail17trampoline_kernelINS0_13select_configILj256ELj13ELNS0_17block_load_methodE3ELS4_3ELS4_3ELNS0_20block_scan_algorithmE0ELj4294967295EEENS1_25partition_config_selectorILNS1_17partition_subalgoE4EjNS0_10empty_typeEbEEZZNS1_14partition_implILS8_4ELb0ES6_15HIP_vector_typeIjLj2EENS0_17counting_iteratorIjlEEPS9_SG_NS0_5tupleIJPjSI_NS0_16reverse_iteratorISI_EEEEENSH_IJSG_SG_SG_EEES9_SI_JZNS1_25segmented_radix_sort_implINS0_14default_configELb0EPKaPaPKlPlN2at6native12_GLOBAL__N_18offset_tEEE10hipError_tPvRmT1_PNSt15iterator_traitsIS12_E10value_typeET2_T3_PNS13_IS18_E10value_typeET4_jRbjT5_S1E_jjP12ihipStream_tbEUljE_ZNSN_ISO_Lb0ESQ_SR_ST_SU_SY_EESZ_S10_S11_S12_S16_S17_S18_S1B_S1C_jS1D_jS1E_S1E_jjS1G_bEUljE0_EEESZ_S10_S11_S18_S1C_S1E_T6_T7_T9_mT8_S1G_bDpT10_ENKUlT_T0_E_clISt17integral_constantIbLb1EES1U_EEDaS1P_S1Q_EUlS1P_E_NS1_11comp_targetILNS1_3genE9ELNS1_11target_archE1100ELNS1_3gpuE3ELNS1_3repE0EEENS1_30default_config_static_selectorELNS0_4arch9wavefront6targetE1EEEvS12_
	.p2align	8
	.type	_ZN7rocprim17ROCPRIM_400000_NS6detail17trampoline_kernelINS0_13select_configILj256ELj13ELNS0_17block_load_methodE3ELS4_3ELS4_3ELNS0_20block_scan_algorithmE0ELj4294967295EEENS1_25partition_config_selectorILNS1_17partition_subalgoE4EjNS0_10empty_typeEbEEZZNS1_14partition_implILS8_4ELb0ES6_15HIP_vector_typeIjLj2EENS0_17counting_iteratorIjlEEPS9_SG_NS0_5tupleIJPjSI_NS0_16reverse_iteratorISI_EEEEENSH_IJSG_SG_SG_EEES9_SI_JZNS1_25segmented_radix_sort_implINS0_14default_configELb0EPKaPaPKlPlN2at6native12_GLOBAL__N_18offset_tEEE10hipError_tPvRmT1_PNSt15iterator_traitsIS12_E10value_typeET2_T3_PNS13_IS18_E10value_typeET4_jRbjT5_S1E_jjP12ihipStream_tbEUljE_ZNSN_ISO_Lb0ESQ_SR_ST_SU_SY_EESZ_S10_S11_S12_S16_S17_S18_S1B_S1C_jS1D_jS1E_S1E_jjS1G_bEUljE0_EEESZ_S10_S11_S18_S1C_S1E_T6_T7_T9_mT8_S1G_bDpT10_ENKUlT_T0_E_clISt17integral_constantIbLb1EES1U_EEDaS1P_S1Q_EUlS1P_E_NS1_11comp_targetILNS1_3genE9ELNS1_11target_archE1100ELNS1_3gpuE3ELNS1_3repE0EEENS1_30default_config_static_selectorELNS0_4arch9wavefront6targetE1EEEvS12_,@function
_ZN7rocprim17ROCPRIM_400000_NS6detail17trampoline_kernelINS0_13select_configILj256ELj13ELNS0_17block_load_methodE3ELS4_3ELS4_3ELNS0_20block_scan_algorithmE0ELj4294967295EEENS1_25partition_config_selectorILNS1_17partition_subalgoE4EjNS0_10empty_typeEbEEZZNS1_14partition_implILS8_4ELb0ES6_15HIP_vector_typeIjLj2EENS0_17counting_iteratorIjlEEPS9_SG_NS0_5tupleIJPjSI_NS0_16reverse_iteratorISI_EEEEENSH_IJSG_SG_SG_EEES9_SI_JZNS1_25segmented_radix_sort_implINS0_14default_configELb0EPKaPaPKlPlN2at6native12_GLOBAL__N_18offset_tEEE10hipError_tPvRmT1_PNSt15iterator_traitsIS12_E10value_typeET2_T3_PNS13_IS18_E10value_typeET4_jRbjT5_S1E_jjP12ihipStream_tbEUljE_ZNSN_ISO_Lb0ESQ_SR_ST_SU_SY_EESZ_S10_S11_S12_S16_S17_S18_S1B_S1C_jS1D_jS1E_S1E_jjS1G_bEUljE0_EEESZ_S10_S11_S18_S1C_S1E_T6_T7_T9_mT8_S1G_bDpT10_ENKUlT_T0_E_clISt17integral_constantIbLb1EES1U_EEDaS1P_S1Q_EUlS1P_E_NS1_11comp_targetILNS1_3genE9ELNS1_11target_archE1100ELNS1_3gpuE3ELNS1_3repE0EEENS1_30default_config_static_selectorELNS0_4arch9wavefront6targetE1EEEvS12_: ; @_ZN7rocprim17ROCPRIM_400000_NS6detail17trampoline_kernelINS0_13select_configILj256ELj13ELNS0_17block_load_methodE3ELS4_3ELS4_3ELNS0_20block_scan_algorithmE0ELj4294967295EEENS1_25partition_config_selectorILNS1_17partition_subalgoE4EjNS0_10empty_typeEbEEZZNS1_14partition_implILS8_4ELb0ES6_15HIP_vector_typeIjLj2EENS0_17counting_iteratorIjlEEPS9_SG_NS0_5tupleIJPjSI_NS0_16reverse_iteratorISI_EEEEENSH_IJSG_SG_SG_EEES9_SI_JZNS1_25segmented_radix_sort_implINS0_14default_configELb0EPKaPaPKlPlN2at6native12_GLOBAL__N_18offset_tEEE10hipError_tPvRmT1_PNSt15iterator_traitsIS12_E10value_typeET2_T3_PNS13_IS18_E10value_typeET4_jRbjT5_S1E_jjP12ihipStream_tbEUljE_ZNSN_ISO_Lb0ESQ_SR_ST_SU_SY_EESZ_S10_S11_S12_S16_S17_S18_S1B_S1C_jS1D_jS1E_S1E_jjS1G_bEUljE0_EEESZ_S10_S11_S18_S1C_S1E_T6_T7_T9_mT8_S1G_bDpT10_ENKUlT_T0_E_clISt17integral_constantIbLb1EES1U_EEDaS1P_S1Q_EUlS1P_E_NS1_11comp_targetILNS1_3genE9ELNS1_11target_archE1100ELNS1_3gpuE3ELNS1_3repE0EEENS1_30default_config_static_selectorELNS0_4arch9wavefront6targetE1EEEvS12_
; %bb.0:
	.section	.rodata,"a",@progbits
	.p2align	6, 0x0
	.amdhsa_kernel _ZN7rocprim17ROCPRIM_400000_NS6detail17trampoline_kernelINS0_13select_configILj256ELj13ELNS0_17block_load_methodE3ELS4_3ELS4_3ELNS0_20block_scan_algorithmE0ELj4294967295EEENS1_25partition_config_selectorILNS1_17partition_subalgoE4EjNS0_10empty_typeEbEEZZNS1_14partition_implILS8_4ELb0ES6_15HIP_vector_typeIjLj2EENS0_17counting_iteratorIjlEEPS9_SG_NS0_5tupleIJPjSI_NS0_16reverse_iteratorISI_EEEEENSH_IJSG_SG_SG_EEES9_SI_JZNS1_25segmented_radix_sort_implINS0_14default_configELb0EPKaPaPKlPlN2at6native12_GLOBAL__N_18offset_tEEE10hipError_tPvRmT1_PNSt15iterator_traitsIS12_E10value_typeET2_T3_PNS13_IS18_E10value_typeET4_jRbjT5_S1E_jjP12ihipStream_tbEUljE_ZNSN_ISO_Lb0ESQ_SR_ST_SU_SY_EESZ_S10_S11_S12_S16_S17_S18_S1B_S1C_jS1D_jS1E_S1E_jjS1G_bEUljE0_EEESZ_S10_S11_S18_S1C_S1E_T6_T7_T9_mT8_S1G_bDpT10_ENKUlT_T0_E_clISt17integral_constantIbLb1EES1U_EEDaS1P_S1Q_EUlS1P_E_NS1_11comp_targetILNS1_3genE9ELNS1_11target_archE1100ELNS1_3gpuE3ELNS1_3repE0EEENS1_30default_config_static_selectorELNS0_4arch9wavefront6targetE1EEEvS12_
		.amdhsa_group_segment_fixed_size 0
		.amdhsa_private_segment_fixed_size 0
		.amdhsa_kernarg_size 184
		.amdhsa_user_sgpr_count 6
		.amdhsa_user_sgpr_private_segment_buffer 1
		.amdhsa_user_sgpr_dispatch_ptr 0
		.amdhsa_user_sgpr_queue_ptr 0
		.amdhsa_user_sgpr_kernarg_segment_ptr 1
		.amdhsa_user_sgpr_dispatch_id 0
		.amdhsa_user_sgpr_flat_scratch_init 0
		.amdhsa_user_sgpr_private_segment_size 0
		.amdhsa_uses_dynamic_stack 0
		.amdhsa_system_sgpr_private_segment_wavefront_offset 0
		.amdhsa_system_sgpr_workgroup_id_x 1
		.amdhsa_system_sgpr_workgroup_id_y 0
		.amdhsa_system_sgpr_workgroup_id_z 0
		.amdhsa_system_sgpr_workgroup_info 0
		.amdhsa_system_vgpr_workitem_id 0
		.amdhsa_next_free_vgpr 1
		.amdhsa_next_free_sgpr 0
		.amdhsa_reserve_vcc 0
		.amdhsa_reserve_flat_scratch 0
		.amdhsa_float_round_mode_32 0
		.amdhsa_float_round_mode_16_64 0
		.amdhsa_float_denorm_mode_32 3
		.amdhsa_float_denorm_mode_16_64 3
		.amdhsa_dx10_clamp 1
		.amdhsa_ieee_mode 1
		.amdhsa_fp16_overflow 0
		.amdhsa_exception_fp_ieee_invalid_op 0
		.amdhsa_exception_fp_denorm_src 0
		.amdhsa_exception_fp_ieee_div_zero 0
		.amdhsa_exception_fp_ieee_overflow 0
		.amdhsa_exception_fp_ieee_underflow 0
		.amdhsa_exception_fp_ieee_inexact 0
		.amdhsa_exception_int_div_zero 0
	.end_amdhsa_kernel
	.section	.text._ZN7rocprim17ROCPRIM_400000_NS6detail17trampoline_kernelINS0_13select_configILj256ELj13ELNS0_17block_load_methodE3ELS4_3ELS4_3ELNS0_20block_scan_algorithmE0ELj4294967295EEENS1_25partition_config_selectorILNS1_17partition_subalgoE4EjNS0_10empty_typeEbEEZZNS1_14partition_implILS8_4ELb0ES6_15HIP_vector_typeIjLj2EENS0_17counting_iteratorIjlEEPS9_SG_NS0_5tupleIJPjSI_NS0_16reverse_iteratorISI_EEEEENSH_IJSG_SG_SG_EEES9_SI_JZNS1_25segmented_radix_sort_implINS0_14default_configELb0EPKaPaPKlPlN2at6native12_GLOBAL__N_18offset_tEEE10hipError_tPvRmT1_PNSt15iterator_traitsIS12_E10value_typeET2_T3_PNS13_IS18_E10value_typeET4_jRbjT5_S1E_jjP12ihipStream_tbEUljE_ZNSN_ISO_Lb0ESQ_SR_ST_SU_SY_EESZ_S10_S11_S12_S16_S17_S18_S1B_S1C_jS1D_jS1E_S1E_jjS1G_bEUljE0_EEESZ_S10_S11_S18_S1C_S1E_T6_T7_T9_mT8_S1G_bDpT10_ENKUlT_T0_E_clISt17integral_constantIbLb1EES1U_EEDaS1P_S1Q_EUlS1P_E_NS1_11comp_targetILNS1_3genE9ELNS1_11target_archE1100ELNS1_3gpuE3ELNS1_3repE0EEENS1_30default_config_static_selectorELNS0_4arch9wavefront6targetE1EEEvS12_,"axG",@progbits,_ZN7rocprim17ROCPRIM_400000_NS6detail17trampoline_kernelINS0_13select_configILj256ELj13ELNS0_17block_load_methodE3ELS4_3ELS4_3ELNS0_20block_scan_algorithmE0ELj4294967295EEENS1_25partition_config_selectorILNS1_17partition_subalgoE4EjNS0_10empty_typeEbEEZZNS1_14partition_implILS8_4ELb0ES6_15HIP_vector_typeIjLj2EENS0_17counting_iteratorIjlEEPS9_SG_NS0_5tupleIJPjSI_NS0_16reverse_iteratorISI_EEEEENSH_IJSG_SG_SG_EEES9_SI_JZNS1_25segmented_radix_sort_implINS0_14default_configELb0EPKaPaPKlPlN2at6native12_GLOBAL__N_18offset_tEEE10hipError_tPvRmT1_PNSt15iterator_traitsIS12_E10value_typeET2_T3_PNS13_IS18_E10value_typeET4_jRbjT5_S1E_jjP12ihipStream_tbEUljE_ZNSN_ISO_Lb0ESQ_SR_ST_SU_SY_EESZ_S10_S11_S12_S16_S17_S18_S1B_S1C_jS1D_jS1E_S1E_jjS1G_bEUljE0_EEESZ_S10_S11_S18_S1C_S1E_T6_T7_T9_mT8_S1G_bDpT10_ENKUlT_T0_E_clISt17integral_constantIbLb1EES1U_EEDaS1P_S1Q_EUlS1P_E_NS1_11comp_targetILNS1_3genE9ELNS1_11target_archE1100ELNS1_3gpuE3ELNS1_3repE0EEENS1_30default_config_static_selectorELNS0_4arch9wavefront6targetE1EEEvS12_,comdat
.Lfunc_end343:
	.size	_ZN7rocprim17ROCPRIM_400000_NS6detail17trampoline_kernelINS0_13select_configILj256ELj13ELNS0_17block_load_methodE3ELS4_3ELS4_3ELNS0_20block_scan_algorithmE0ELj4294967295EEENS1_25partition_config_selectorILNS1_17partition_subalgoE4EjNS0_10empty_typeEbEEZZNS1_14partition_implILS8_4ELb0ES6_15HIP_vector_typeIjLj2EENS0_17counting_iteratorIjlEEPS9_SG_NS0_5tupleIJPjSI_NS0_16reverse_iteratorISI_EEEEENSH_IJSG_SG_SG_EEES9_SI_JZNS1_25segmented_radix_sort_implINS0_14default_configELb0EPKaPaPKlPlN2at6native12_GLOBAL__N_18offset_tEEE10hipError_tPvRmT1_PNSt15iterator_traitsIS12_E10value_typeET2_T3_PNS13_IS18_E10value_typeET4_jRbjT5_S1E_jjP12ihipStream_tbEUljE_ZNSN_ISO_Lb0ESQ_SR_ST_SU_SY_EESZ_S10_S11_S12_S16_S17_S18_S1B_S1C_jS1D_jS1E_S1E_jjS1G_bEUljE0_EEESZ_S10_S11_S18_S1C_S1E_T6_T7_T9_mT8_S1G_bDpT10_ENKUlT_T0_E_clISt17integral_constantIbLb1EES1U_EEDaS1P_S1Q_EUlS1P_E_NS1_11comp_targetILNS1_3genE9ELNS1_11target_archE1100ELNS1_3gpuE3ELNS1_3repE0EEENS1_30default_config_static_selectorELNS0_4arch9wavefront6targetE1EEEvS12_, .Lfunc_end343-_ZN7rocprim17ROCPRIM_400000_NS6detail17trampoline_kernelINS0_13select_configILj256ELj13ELNS0_17block_load_methodE3ELS4_3ELS4_3ELNS0_20block_scan_algorithmE0ELj4294967295EEENS1_25partition_config_selectorILNS1_17partition_subalgoE4EjNS0_10empty_typeEbEEZZNS1_14partition_implILS8_4ELb0ES6_15HIP_vector_typeIjLj2EENS0_17counting_iteratorIjlEEPS9_SG_NS0_5tupleIJPjSI_NS0_16reverse_iteratorISI_EEEEENSH_IJSG_SG_SG_EEES9_SI_JZNS1_25segmented_radix_sort_implINS0_14default_configELb0EPKaPaPKlPlN2at6native12_GLOBAL__N_18offset_tEEE10hipError_tPvRmT1_PNSt15iterator_traitsIS12_E10value_typeET2_T3_PNS13_IS18_E10value_typeET4_jRbjT5_S1E_jjP12ihipStream_tbEUljE_ZNSN_ISO_Lb0ESQ_SR_ST_SU_SY_EESZ_S10_S11_S12_S16_S17_S18_S1B_S1C_jS1D_jS1E_S1E_jjS1G_bEUljE0_EEESZ_S10_S11_S18_S1C_S1E_T6_T7_T9_mT8_S1G_bDpT10_ENKUlT_T0_E_clISt17integral_constantIbLb1EES1U_EEDaS1P_S1Q_EUlS1P_E_NS1_11comp_targetILNS1_3genE9ELNS1_11target_archE1100ELNS1_3gpuE3ELNS1_3repE0EEENS1_30default_config_static_selectorELNS0_4arch9wavefront6targetE1EEEvS12_
                                        ; -- End function
	.set _ZN7rocprim17ROCPRIM_400000_NS6detail17trampoline_kernelINS0_13select_configILj256ELj13ELNS0_17block_load_methodE3ELS4_3ELS4_3ELNS0_20block_scan_algorithmE0ELj4294967295EEENS1_25partition_config_selectorILNS1_17partition_subalgoE4EjNS0_10empty_typeEbEEZZNS1_14partition_implILS8_4ELb0ES6_15HIP_vector_typeIjLj2EENS0_17counting_iteratorIjlEEPS9_SG_NS0_5tupleIJPjSI_NS0_16reverse_iteratorISI_EEEEENSH_IJSG_SG_SG_EEES9_SI_JZNS1_25segmented_radix_sort_implINS0_14default_configELb0EPKaPaPKlPlN2at6native12_GLOBAL__N_18offset_tEEE10hipError_tPvRmT1_PNSt15iterator_traitsIS12_E10value_typeET2_T3_PNS13_IS18_E10value_typeET4_jRbjT5_S1E_jjP12ihipStream_tbEUljE_ZNSN_ISO_Lb0ESQ_SR_ST_SU_SY_EESZ_S10_S11_S12_S16_S17_S18_S1B_S1C_jS1D_jS1E_S1E_jjS1G_bEUljE0_EEESZ_S10_S11_S18_S1C_S1E_T6_T7_T9_mT8_S1G_bDpT10_ENKUlT_T0_E_clISt17integral_constantIbLb1EES1U_EEDaS1P_S1Q_EUlS1P_E_NS1_11comp_targetILNS1_3genE9ELNS1_11target_archE1100ELNS1_3gpuE3ELNS1_3repE0EEENS1_30default_config_static_selectorELNS0_4arch9wavefront6targetE1EEEvS12_.num_vgpr, 0
	.set _ZN7rocprim17ROCPRIM_400000_NS6detail17trampoline_kernelINS0_13select_configILj256ELj13ELNS0_17block_load_methodE3ELS4_3ELS4_3ELNS0_20block_scan_algorithmE0ELj4294967295EEENS1_25partition_config_selectorILNS1_17partition_subalgoE4EjNS0_10empty_typeEbEEZZNS1_14partition_implILS8_4ELb0ES6_15HIP_vector_typeIjLj2EENS0_17counting_iteratorIjlEEPS9_SG_NS0_5tupleIJPjSI_NS0_16reverse_iteratorISI_EEEEENSH_IJSG_SG_SG_EEES9_SI_JZNS1_25segmented_radix_sort_implINS0_14default_configELb0EPKaPaPKlPlN2at6native12_GLOBAL__N_18offset_tEEE10hipError_tPvRmT1_PNSt15iterator_traitsIS12_E10value_typeET2_T3_PNS13_IS18_E10value_typeET4_jRbjT5_S1E_jjP12ihipStream_tbEUljE_ZNSN_ISO_Lb0ESQ_SR_ST_SU_SY_EESZ_S10_S11_S12_S16_S17_S18_S1B_S1C_jS1D_jS1E_S1E_jjS1G_bEUljE0_EEESZ_S10_S11_S18_S1C_S1E_T6_T7_T9_mT8_S1G_bDpT10_ENKUlT_T0_E_clISt17integral_constantIbLb1EES1U_EEDaS1P_S1Q_EUlS1P_E_NS1_11comp_targetILNS1_3genE9ELNS1_11target_archE1100ELNS1_3gpuE3ELNS1_3repE0EEENS1_30default_config_static_selectorELNS0_4arch9wavefront6targetE1EEEvS12_.num_agpr, 0
	.set _ZN7rocprim17ROCPRIM_400000_NS6detail17trampoline_kernelINS0_13select_configILj256ELj13ELNS0_17block_load_methodE3ELS4_3ELS4_3ELNS0_20block_scan_algorithmE0ELj4294967295EEENS1_25partition_config_selectorILNS1_17partition_subalgoE4EjNS0_10empty_typeEbEEZZNS1_14partition_implILS8_4ELb0ES6_15HIP_vector_typeIjLj2EENS0_17counting_iteratorIjlEEPS9_SG_NS0_5tupleIJPjSI_NS0_16reverse_iteratorISI_EEEEENSH_IJSG_SG_SG_EEES9_SI_JZNS1_25segmented_radix_sort_implINS0_14default_configELb0EPKaPaPKlPlN2at6native12_GLOBAL__N_18offset_tEEE10hipError_tPvRmT1_PNSt15iterator_traitsIS12_E10value_typeET2_T3_PNS13_IS18_E10value_typeET4_jRbjT5_S1E_jjP12ihipStream_tbEUljE_ZNSN_ISO_Lb0ESQ_SR_ST_SU_SY_EESZ_S10_S11_S12_S16_S17_S18_S1B_S1C_jS1D_jS1E_S1E_jjS1G_bEUljE0_EEESZ_S10_S11_S18_S1C_S1E_T6_T7_T9_mT8_S1G_bDpT10_ENKUlT_T0_E_clISt17integral_constantIbLb1EES1U_EEDaS1P_S1Q_EUlS1P_E_NS1_11comp_targetILNS1_3genE9ELNS1_11target_archE1100ELNS1_3gpuE3ELNS1_3repE0EEENS1_30default_config_static_selectorELNS0_4arch9wavefront6targetE1EEEvS12_.numbered_sgpr, 0
	.set _ZN7rocprim17ROCPRIM_400000_NS6detail17trampoline_kernelINS0_13select_configILj256ELj13ELNS0_17block_load_methodE3ELS4_3ELS4_3ELNS0_20block_scan_algorithmE0ELj4294967295EEENS1_25partition_config_selectorILNS1_17partition_subalgoE4EjNS0_10empty_typeEbEEZZNS1_14partition_implILS8_4ELb0ES6_15HIP_vector_typeIjLj2EENS0_17counting_iteratorIjlEEPS9_SG_NS0_5tupleIJPjSI_NS0_16reverse_iteratorISI_EEEEENSH_IJSG_SG_SG_EEES9_SI_JZNS1_25segmented_radix_sort_implINS0_14default_configELb0EPKaPaPKlPlN2at6native12_GLOBAL__N_18offset_tEEE10hipError_tPvRmT1_PNSt15iterator_traitsIS12_E10value_typeET2_T3_PNS13_IS18_E10value_typeET4_jRbjT5_S1E_jjP12ihipStream_tbEUljE_ZNSN_ISO_Lb0ESQ_SR_ST_SU_SY_EESZ_S10_S11_S12_S16_S17_S18_S1B_S1C_jS1D_jS1E_S1E_jjS1G_bEUljE0_EEESZ_S10_S11_S18_S1C_S1E_T6_T7_T9_mT8_S1G_bDpT10_ENKUlT_T0_E_clISt17integral_constantIbLb1EES1U_EEDaS1P_S1Q_EUlS1P_E_NS1_11comp_targetILNS1_3genE9ELNS1_11target_archE1100ELNS1_3gpuE3ELNS1_3repE0EEENS1_30default_config_static_selectorELNS0_4arch9wavefront6targetE1EEEvS12_.num_named_barrier, 0
	.set _ZN7rocprim17ROCPRIM_400000_NS6detail17trampoline_kernelINS0_13select_configILj256ELj13ELNS0_17block_load_methodE3ELS4_3ELS4_3ELNS0_20block_scan_algorithmE0ELj4294967295EEENS1_25partition_config_selectorILNS1_17partition_subalgoE4EjNS0_10empty_typeEbEEZZNS1_14partition_implILS8_4ELb0ES6_15HIP_vector_typeIjLj2EENS0_17counting_iteratorIjlEEPS9_SG_NS0_5tupleIJPjSI_NS0_16reverse_iteratorISI_EEEEENSH_IJSG_SG_SG_EEES9_SI_JZNS1_25segmented_radix_sort_implINS0_14default_configELb0EPKaPaPKlPlN2at6native12_GLOBAL__N_18offset_tEEE10hipError_tPvRmT1_PNSt15iterator_traitsIS12_E10value_typeET2_T3_PNS13_IS18_E10value_typeET4_jRbjT5_S1E_jjP12ihipStream_tbEUljE_ZNSN_ISO_Lb0ESQ_SR_ST_SU_SY_EESZ_S10_S11_S12_S16_S17_S18_S1B_S1C_jS1D_jS1E_S1E_jjS1G_bEUljE0_EEESZ_S10_S11_S18_S1C_S1E_T6_T7_T9_mT8_S1G_bDpT10_ENKUlT_T0_E_clISt17integral_constantIbLb1EES1U_EEDaS1P_S1Q_EUlS1P_E_NS1_11comp_targetILNS1_3genE9ELNS1_11target_archE1100ELNS1_3gpuE3ELNS1_3repE0EEENS1_30default_config_static_selectorELNS0_4arch9wavefront6targetE1EEEvS12_.private_seg_size, 0
	.set _ZN7rocprim17ROCPRIM_400000_NS6detail17trampoline_kernelINS0_13select_configILj256ELj13ELNS0_17block_load_methodE3ELS4_3ELS4_3ELNS0_20block_scan_algorithmE0ELj4294967295EEENS1_25partition_config_selectorILNS1_17partition_subalgoE4EjNS0_10empty_typeEbEEZZNS1_14partition_implILS8_4ELb0ES6_15HIP_vector_typeIjLj2EENS0_17counting_iteratorIjlEEPS9_SG_NS0_5tupleIJPjSI_NS0_16reverse_iteratorISI_EEEEENSH_IJSG_SG_SG_EEES9_SI_JZNS1_25segmented_radix_sort_implINS0_14default_configELb0EPKaPaPKlPlN2at6native12_GLOBAL__N_18offset_tEEE10hipError_tPvRmT1_PNSt15iterator_traitsIS12_E10value_typeET2_T3_PNS13_IS18_E10value_typeET4_jRbjT5_S1E_jjP12ihipStream_tbEUljE_ZNSN_ISO_Lb0ESQ_SR_ST_SU_SY_EESZ_S10_S11_S12_S16_S17_S18_S1B_S1C_jS1D_jS1E_S1E_jjS1G_bEUljE0_EEESZ_S10_S11_S18_S1C_S1E_T6_T7_T9_mT8_S1G_bDpT10_ENKUlT_T0_E_clISt17integral_constantIbLb1EES1U_EEDaS1P_S1Q_EUlS1P_E_NS1_11comp_targetILNS1_3genE9ELNS1_11target_archE1100ELNS1_3gpuE3ELNS1_3repE0EEENS1_30default_config_static_selectorELNS0_4arch9wavefront6targetE1EEEvS12_.uses_vcc, 0
	.set _ZN7rocprim17ROCPRIM_400000_NS6detail17trampoline_kernelINS0_13select_configILj256ELj13ELNS0_17block_load_methodE3ELS4_3ELS4_3ELNS0_20block_scan_algorithmE0ELj4294967295EEENS1_25partition_config_selectorILNS1_17partition_subalgoE4EjNS0_10empty_typeEbEEZZNS1_14partition_implILS8_4ELb0ES6_15HIP_vector_typeIjLj2EENS0_17counting_iteratorIjlEEPS9_SG_NS0_5tupleIJPjSI_NS0_16reverse_iteratorISI_EEEEENSH_IJSG_SG_SG_EEES9_SI_JZNS1_25segmented_radix_sort_implINS0_14default_configELb0EPKaPaPKlPlN2at6native12_GLOBAL__N_18offset_tEEE10hipError_tPvRmT1_PNSt15iterator_traitsIS12_E10value_typeET2_T3_PNS13_IS18_E10value_typeET4_jRbjT5_S1E_jjP12ihipStream_tbEUljE_ZNSN_ISO_Lb0ESQ_SR_ST_SU_SY_EESZ_S10_S11_S12_S16_S17_S18_S1B_S1C_jS1D_jS1E_S1E_jjS1G_bEUljE0_EEESZ_S10_S11_S18_S1C_S1E_T6_T7_T9_mT8_S1G_bDpT10_ENKUlT_T0_E_clISt17integral_constantIbLb1EES1U_EEDaS1P_S1Q_EUlS1P_E_NS1_11comp_targetILNS1_3genE9ELNS1_11target_archE1100ELNS1_3gpuE3ELNS1_3repE0EEENS1_30default_config_static_selectorELNS0_4arch9wavefront6targetE1EEEvS12_.uses_flat_scratch, 0
	.set _ZN7rocprim17ROCPRIM_400000_NS6detail17trampoline_kernelINS0_13select_configILj256ELj13ELNS0_17block_load_methodE3ELS4_3ELS4_3ELNS0_20block_scan_algorithmE0ELj4294967295EEENS1_25partition_config_selectorILNS1_17partition_subalgoE4EjNS0_10empty_typeEbEEZZNS1_14partition_implILS8_4ELb0ES6_15HIP_vector_typeIjLj2EENS0_17counting_iteratorIjlEEPS9_SG_NS0_5tupleIJPjSI_NS0_16reverse_iteratorISI_EEEEENSH_IJSG_SG_SG_EEES9_SI_JZNS1_25segmented_radix_sort_implINS0_14default_configELb0EPKaPaPKlPlN2at6native12_GLOBAL__N_18offset_tEEE10hipError_tPvRmT1_PNSt15iterator_traitsIS12_E10value_typeET2_T3_PNS13_IS18_E10value_typeET4_jRbjT5_S1E_jjP12ihipStream_tbEUljE_ZNSN_ISO_Lb0ESQ_SR_ST_SU_SY_EESZ_S10_S11_S12_S16_S17_S18_S1B_S1C_jS1D_jS1E_S1E_jjS1G_bEUljE0_EEESZ_S10_S11_S18_S1C_S1E_T6_T7_T9_mT8_S1G_bDpT10_ENKUlT_T0_E_clISt17integral_constantIbLb1EES1U_EEDaS1P_S1Q_EUlS1P_E_NS1_11comp_targetILNS1_3genE9ELNS1_11target_archE1100ELNS1_3gpuE3ELNS1_3repE0EEENS1_30default_config_static_selectorELNS0_4arch9wavefront6targetE1EEEvS12_.has_dyn_sized_stack, 0
	.set _ZN7rocprim17ROCPRIM_400000_NS6detail17trampoline_kernelINS0_13select_configILj256ELj13ELNS0_17block_load_methodE3ELS4_3ELS4_3ELNS0_20block_scan_algorithmE0ELj4294967295EEENS1_25partition_config_selectorILNS1_17partition_subalgoE4EjNS0_10empty_typeEbEEZZNS1_14partition_implILS8_4ELb0ES6_15HIP_vector_typeIjLj2EENS0_17counting_iteratorIjlEEPS9_SG_NS0_5tupleIJPjSI_NS0_16reverse_iteratorISI_EEEEENSH_IJSG_SG_SG_EEES9_SI_JZNS1_25segmented_radix_sort_implINS0_14default_configELb0EPKaPaPKlPlN2at6native12_GLOBAL__N_18offset_tEEE10hipError_tPvRmT1_PNSt15iterator_traitsIS12_E10value_typeET2_T3_PNS13_IS18_E10value_typeET4_jRbjT5_S1E_jjP12ihipStream_tbEUljE_ZNSN_ISO_Lb0ESQ_SR_ST_SU_SY_EESZ_S10_S11_S12_S16_S17_S18_S1B_S1C_jS1D_jS1E_S1E_jjS1G_bEUljE0_EEESZ_S10_S11_S18_S1C_S1E_T6_T7_T9_mT8_S1G_bDpT10_ENKUlT_T0_E_clISt17integral_constantIbLb1EES1U_EEDaS1P_S1Q_EUlS1P_E_NS1_11comp_targetILNS1_3genE9ELNS1_11target_archE1100ELNS1_3gpuE3ELNS1_3repE0EEENS1_30default_config_static_selectorELNS0_4arch9wavefront6targetE1EEEvS12_.has_recursion, 0
	.set _ZN7rocprim17ROCPRIM_400000_NS6detail17trampoline_kernelINS0_13select_configILj256ELj13ELNS0_17block_load_methodE3ELS4_3ELS4_3ELNS0_20block_scan_algorithmE0ELj4294967295EEENS1_25partition_config_selectorILNS1_17partition_subalgoE4EjNS0_10empty_typeEbEEZZNS1_14partition_implILS8_4ELb0ES6_15HIP_vector_typeIjLj2EENS0_17counting_iteratorIjlEEPS9_SG_NS0_5tupleIJPjSI_NS0_16reverse_iteratorISI_EEEEENSH_IJSG_SG_SG_EEES9_SI_JZNS1_25segmented_radix_sort_implINS0_14default_configELb0EPKaPaPKlPlN2at6native12_GLOBAL__N_18offset_tEEE10hipError_tPvRmT1_PNSt15iterator_traitsIS12_E10value_typeET2_T3_PNS13_IS18_E10value_typeET4_jRbjT5_S1E_jjP12ihipStream_tbEUljE_ZNSN_ISO_Lb0ESQ_SR_ST_SU_SY_EESZ_S10_S11_S12_S16_S17_S18_S1B_S1C_jS1D_jS1E_S1E_jjS1G_bEUljE0_EEESZ_S10_S11_S18_S1C_S1E_T6_T7_T9_mT8_S1G_bDpT10_ENKUlT_T0_E_clISt17integral_constantIbLb1EES1U_EEDaS1P_S1Q_EUlS1P_E_NS1_11comp_targetILNS1_3genE9ELNS1_11target_archE1100ELNS1_3gpuE3ELNS1_3repE0EEENS1_30default_config_static_selectorELNS0_4arch9wavefront6targetE1EEEvS12_.has_indirect_call, 0
	.section	.AMDGPU.csdata,"",@progbits
; Kernel info:
; codeLenInByte = 0
; TotalNumSgprs: 4
; NumVgprs: 0
; ScratchSize: 0
; MemoryBound: 0
; FloatMode: 240
; IeeeMode: 1
; LDSByteSize: 0 bytes/workgroup (compile time only)
; SGPRBlocks: 0
; VGPRBlocks: 0
; NumSGPRsForWavesPerEU: 4
; NumVGPRsForWavesPerEU: 1
; Occupancy: 10
; WaveLimiterHint : 0
; COMPUTE_PGM_RSRC2:SCRATCH_EN: 0
; COMPUTE_PGM_RSRC2:USER_SGPR: 6
; COMPUTE_PGM_RSRC2:TRAP_HANDLER: 0
; COMPUTE_PGM_RSRC2:TGID_X_EN: 1
; COMPUTE_PGM_RSRC2:TGID_Y_EN: 0
; COMPUTE_PGM_RSRC2:TGID_Z_EN: 0
; COMPUTE_PGM_RSRC2:TIDIG_COMP_CNT: 0
	.section	.text._ZN7rocprim17ROCPRIM_400000_NS6detail17trampoline_kernelINS0_13select_configILj256ELj13ELNS0_17block_load_methodE3ELS4_3ELS4_3ELNS0_20block_scan_algorithmE0ELj4294967295EEENS1_25partition_config_selectorILNS1_17partition_subalgoE4EjNS0_10empty_typeEbEEZZNS1_14partition_implILS8_4ELb0ES6_15HIP_vector_typeIjLj2EENS0_17counting_iteratorIjlEEPS9_SG_NS0_5tupleIJPjSI_NS0_16reverse_iteratorISI_EEEEENSH_IJSG_SG_SG_EEES9_SI_JZNS1_25segmented_radix_sort_implINS0_14default_configELb0EPKaPaPKlPlN2at6native12_GLOBAL__N_18offset_tEEE10hipError_tPvRmT1_PNSt15iterator_traitsIS12_E10value_typeET2_T3_PNS13_IS18_E10value_typeET4_jRbjT5_S1E_jjP12ihipStream_tbEUljE_ZNSN_ISO_Lb0ESQ_SR_ST_SU_SY_EESZ_S10_S11_S12_S16_S17_S18_S1B_S1C_jS1D_jS1E_S1E_jjS1G_bEUljE0_EEESZ_S10_S11_S18_S1C_S1E_T6_T7_T9_mT8_S1G_bDpT10_ENKUlT_T0_E_clISt17integral_constantIbLb1EES1U_EEDaS1P_S1Q_EUlS1P_E_NS1_11comp_targetILNS1_3genE8ELNS1_11target_archE1030ELNS1_3gpuE2ELNS1_3repE0EEENS1_30default_config_static_selectorELNS0_4arch9wavefront6targetE1EEEvS12_,"axG",@progbits,_ZN7rocprim17ROCPRIM_400000_NS6detail17trampoline_kernelINS0_13select_configILj256ELj13ELNS0_17block_load_methodE3ELS4_3ELS4_3ELNS0_20block_scan_algorithmE0ELj4294967295EEENS1_25partition_config_selectorILNS1_17partition_subalgoE4EjNS0_10empty_typeEbEEZZNS1_14partition_implILS8_4ELb0ES6_15HIP_vector_typeIjLj2EENS0_17counting_iteratorIjlEEPS9_SG_NS0_5tupleIJPjSI_NS0_16reverse_iteratorISI_EEEEENSH_IJSG_SG_SG_EEES9_SI_JZNS1_25segmented_radix_sort_implINS0_14default_configELb0EPKaPaPKlPlN2at6native12_GLOBAL__N_18offset_tEEE10hipError_tPvRmT1_PNSt15iterator_traitsIS12_E10value_typeET2_T3_PNS13_IS18_E10value_typeET4_jRbjT5_S1E_jjP12ihipStream_tbEUljE_ZNSN_ISO_Lb0ESQ_SR_ST_SU_SY_EESZ_S10_S11_S12_S16_S17_S18_S1B_S1C_jS1D_jS1E_S1E_jjS1G_bEUljE0_EEESZ_S10_S11_S18_S1C_S1E_T6_T7_T9_mT8_S1G_bDpT10_ENKUlT_T0_E_clISt17integral_constantIbLb1EES1U_EEDaS1P_S1Q_EUlS1P_E_NS1_11comp_targetILNS1_3genE8ELNS1_11target_archE1030ELNS1_3gpuE2ELNS1_3repE0EEENS1_30default_config_static_selectorELNS0_4arch9wavefront6targetE1EEEvS12_,comdat
	.globl	_ZN7rocprim17ROCPRIM_400000_NS6detail17trampoline_kernelINS0_13select_configILj256ELj13ELNS0_17block_load_methodE3ELS4_3ELS4_3ELNS0_20block_scan_algorithmE0ELj4294967295EEENS1_25partition_config_selectorILNS1_17partition_subalgoE4EjNS0_10empty_typeEbEEZZNS1_14partition_implILS8_4ELb0ES6_15HIP_vector_typeIjLj2EENS0_17counting_iteratorIjlEEPS9_SG_NS0_5tupleIJPjSI_NS0_16reverse_iteratorISI_EEEEENSH_IJSG_SG_SG_EEES9_SI_JZNS1_25segmented_radix_sort_implINS0_14default_configELb0EPKaPaPKlPlN2at6native12_GLOBAL__N_18offset_tEEE10hipError_tPvRmT1_PNSt15iterator_traitsIS12_E10value_typeET2_T3_PNS13_IS18_E10value_typeET4_jRbjT5_S1E_jjP12ihipStream_tbEUljE_ZNSN_ISO_Lb0ESQ_SR_ST_SU_SY_EESZ_S10_S11_S12_S16_S17_S18_S1B_S1C_jS1D_jS1E_S1E_jjS1G_bEUljE0_EEESZ_S10_S11_S18_S1C_S1E_T6_T7_T9_mT8_S1G_bDpT10_ENKUlT_T0_E_clISt17integral_constantIbLb1EES1U_EEDaS1P_S1Q_EUlS1P_E_NS1_11comp_targetILNS1_3genE8ELNS1_11target_archE1030ELNS1_3gpuE2ELNS1_3repE0EEENS1_30default_config_static_selectorELNS0_4arch9wavefront6targetE1EEEvS12_ ; -- Begin function _ZN7rocprim17ROCPRIM_400000_NS6detail17trampoline_kernelINS0_13select_configILj256ELj13ELNS0_17block_load_methodE3ELS4_3ELS4_3ELNS0_20block_scan_algorithmE0ELj4294967295EEENS1_25partition_config_selectorILNS1_17partition_subalgoE4EjNS0_10empty_typeEbEEZZNS1_14partition_implILS8_4ELb0ES6_15HIP_vector_typeIjLj2EENS0_17counting_iteratorIjlEEPS9_SG_NS0_5tupleIJPjSI_NS0_16reverse_iteratorISI_EEEEENSH_IJSG_SG_SG_EEES9_SI_JZNS1_25segmented_radix_sort_implINS0_14default_configELb0EPKaPaPKlPlN2at6native12_GLOBAL__N_18offset_tEEE10hipError_tPvRmT1_PNSt15iterator_traitsIS12_E10value_typeET2_T3_PNS13_IS18_E10value_typeET4_jRbjT5_S1E_jjP12ihipStream_tbEUljE_ZNSN_ISO_Lb0ESQ_SR_ST_SU_SY_EESZ_S10_S11_S12_S16_S17_S18_S1B_S1C_jS1D_jS1E_S1E_jjS1G_bEUljE0_EEESZ_S10_S11_S18_S1C_S1E_T6_T7_T9_mT8_S1G_bDpT10_ENKUlT_T0_E_clISt17integral_constantIbLb1EES1U_EEDaS1P_S1Q_EUlS1P_E_NS1_11comp_targetILNS1_3genE8ELNS1_11target_archE1030ELNS1_3gpuE2ELNS1_3repE0EEENS1_30default_config_static_selectorELNS0_4arch9wavefront6targetE1EEEvS12_
	.p2align	8
	.type	_ZN7rocprim17ROCPRIM_400000_NS6detail17trampoline_kernelINS0_13select_configILj256ELj13ELNS0_17block_load_methodE3ELS4_3ELS4_3ELNS0_20block_scan_algorithmE0ELj4294967295EEENS1_25partition_config_selectorILNS1_17partition_subalgoE4EjNS0_10empty_typeEbEEZZNS1_14partition_implILS8_4ELb0ES6_15HIP_vector_typeIjLj2EENS0_17counting_iteratorIjlEEPS9_SG_NS0_5tupleIJPjSI_NS0_16reverse_iteratorISI_EEEEENSH_IJSG_SG_SG_EEES9_SI_JZNS1_25segmented_radix_sort_implINS0_14default_configELb0EPKaPaPKlPlN2at6native12_GLOBAL__N_18offset_tEEE10hipError_tPvRmT1_PNSt15iterator_traitsIS12_E10value_typeET2_T3_PNS13_IS18_E10value_typeET4_jRbjT5_S1E_jjP12ihipStream_tbEUljE_ZNSN_ISO_Lb0ESQ_SR_ST_SU_SY_EESZ_S10_S11_S12_S16_S17_S18_S1B_S1C_jS1D_jS1E_S1E_jjS1G_bEUljE0_EEESZ_S10_S11_S18_S1C_S1E_T6_T7_T9_mT8_S1G_bDpT10_ENKUlT_T0_E_clISt17integral_constantIbLb1EES1U_EEDaS1P_S1Q_EUlS1P_E_NS1_11comp_targetILNS1_3genE8ELNS1_11target_archE1030ELNS1_3gpuE2ELNS1_3repE0EEENS1_30default_config_static_selectorELNS0_4arch9wavefront6targetE1EEEvS12_,@function
_ZN7rocprim17ROCPRIM_400000_NS6detail17trampoline_kernelINS0_13select_configILj256ELj13ELNS0_17block_load_methodE3ELS4_3ELS4_3ELNS0_20block_scan_algorithmE0ELj4294967295EEENS1_25partition_config_selectorILNS1_17partition_subalgoE4EjNS0_10empty_typeEbEEZZNS1_14partition_implILS8_4ELb0ES6_15HIP_vector_typeIjLj2EENS0_17counting_iteratorIjlEEPS9_SG_NS0_5tupleIJPjSI_NS0_16reverse_iteratorISI_EEEEENSH_IJSG_SG_SG_EEES9_SI_JZNS1_25segmented_radix_sort_implINS0_14default_configELb0EPKaPaPKlPlN2at6native12_GLOBAL__N_18offset_tEEE10hipError_tPvRmT1_PNSt15iterator_traitsIS12_E10value_typeET2_T3_PNS13_IS18_E10value_typeET4_jRbjT5_S1E_jjP12ihipStream_tbEUljE_ZNSN_ISO_Lb0ESQ_SR_ST_SU_SY_EESZ_S10_S11_S12_S16_S17_S18_S1B_S1C_jS1D_jS1E_S1E_jjS1G_bEUljE0_EEESZ_S10_S11_S18_S1C_S1E_T6_T7_T9_mT8_S1G_bDpT10_ENKUlT_T0_E_clISt17integral_constantIbLb1EES1U_EEDaS1P_S1Q_EUlS1P_E_NS1_11comp_targetILNS1_3genE8ELNS1_11target_archE1030ELNS1_3gpuE2ELNS1_3repE0EEENS1_30default_config_static_selectorELNS0_4arch9wavefront6targetE1EEEvS12_: ; @_ZN7rocprim17ROCPRIM_400000_NS6detail17trampoline_kernelINS0_13select_configILj256ELj13ELNS0_17block_load_methodE3ELS4_3ELS4_3ELNS0_20block_scan_algorithmE0ELj4294967295EEENS1_25partition_config_selectorILNS1_17partition_subalgoE4EjNS0_10empty_typeEbEEZZNS1_14partition_implILS8_4ELb0ES6_15HIP_vector_typeIjLj2EENS0_17counting_iteratorIjlEEPS9_SG_NS0_5tupleIJPjSI_NS0_16reverse_iteratorISI_EEEEENSH_IJSG_SG_SG_EEES9_SI_JZNS1_25segmented_radix_sort_implINS0_14default_configELb0EPKaPaPKlPlN2at6native12_GLOBAL__N_18offset_tEEE10hipError_tPvRmT1_PNSt15iterator_traitsIS12_E10value_typeET2_T3_PNS13_IS18_E10value_typeET4_jRbjT5_S1E_jjP12ihipStream_tbEUljE_ZNSN_ISO_Lb0ESQ_SR_ST_SU_SY_EESZ_S10_S11_S12_S16_S17_S18_S1B_S1C_jS1D_jS1E_S1E_jjS1G_bEUljE0_EEESZ_S10_S11_S18_S1C_S1E_T6_T7_T9_mT8_S1G_bDpT10_ENKUlT_T0_E_clISt17integral_constantIbLb1EES1U_EEDaS1P_S1Q_EUlS1P_E_NS1_11comp_targetILNS1_3genE8ELNS1_11target_archE1030ELNS1_3gpuE2ELNS1_3repE0EEENS1_30default_config_static_selectorELNS0_4arch9wavefront6targetE1EEEvS12_
; %bb.0:
	.section	.rodata,"a",@progbits
	.p2align	6, 0x0
	.amdhsa_kernel _ZN7rocprim17ROCPRIM_400000_NS6detail17trampoline_kernelINS0_13select_configILj256ELj13ELNS0_17block_load_methodE3ELS4_3ELS4_3ELNS0_20block_scan_algorithmE0ELj4294967295EEENS1_25partition_config_selectorILNS1_17partition_subalgoE4EjNS0_10empty_typeEbEEZZNS1_14partition_implILS8_4ELb0ES6_15HIP_vector_typeIjLj2EENS0_17counting_iteratorIjlEEPS9_SG_NS0_5tupleIJPjSI_NS0_16reverse_iteratorISI_EEEEENSH_IJSG_SG_SG_EEES9_SI_JZNS1_25segmented_radix_sort_implINS0_14default_configELb0EPKaPaPKlPlN2at6native12_GLOBAL__N_18offset_tEEE10hipError_tPvRmT1_PNSt15iterator_traitsIS12_E10value_typeET2_T3_PNS13_IS18_E10value_typeET4_jRbjT5_S1E_jjP12ihipStream_tbEUljE_ZNSN_ISO_Lb0ESQ_SR_ST_SU_SY_EESZ_S10_S11_S12_S16_S17_S18_S1B_S1C_jS1D_jS1E_S1E_jjS1G_bEUljE0_EEESZ_S10_S11_S18_S1C_S1E_T6_T7_T9_mT8_S1G_bDpT10_ENKUlT_T0_E_clISt17integral_constantIbLb1EES1U_EEDaS1P_S1Q_EUlS1P_E_NS1_11comp_targetILNS1_3genE8ELNS1_11target_archE1030ELNS1_3gpuE2ELNS1_3repE0EEENS1_30default_config_static_selectorELNS0_4arch9wavefront6targetE1EEEvS12_
		.amdhsa_group_segment_fixed_size 0
		.amdhsa_private_segment_fixed_size 0
		.amdhsa_kernarg_size 184
		.amdhsa_user_sgpr_count 6
		.amdhsa_user_sgpr_private_segment_buffer 1
		.amdhsa_user_sgpr_dispatch_ptr 0
		.amdhsa_user_sgpr_queue_ptr 0
		.amdhsa_user_sgpr_kernarg_segment_ptr 1
		.amdhsa_user_sgpr_dispatch_id 0
		.amdhsa_user_sgpr_flat_scratch_init 0
		.amdhsa_user_sgpr_private_segment_size 0
		.amdhsa_uses_dynamic_stack 0
		.amdhsa_system_sgpr_private_segment_wavefront_offset 0
		.amdhsa_system_sgpr_workgroup_id_x 1
		.amdhsa_system_sgpr_workgroup_id_y 0
		.amdhsa_system_sgpr_workgroup_id_z 0
		.amdhsa_system_sgpr_workgroup_info 0
		.amdhsa_system_vgpr_workitem_id 0
		.amdhsa_next_free_vgpr 1
		.amdhsa_next_free_sgpr 0
		.amdhsa_reserve_vcc 0
		.amdhsa_reserve_flat_scratch 0
		.amdhsa_float_round_mode_32 0
		.amdhsa_float_round_mode_16_64 0
		.amdhsa_float_denorm_mode_32 3
		.amdhsa_float_denorm_mode_16_64 3
		.amdhsa_dx10_clamp 1
		.amdhsa_ieee_mode 1
		.amdhsa_fp16_overflow 0
		.amdhsa_exception_fp_ieee_invalid_op 0
		.amdhsa_exception_fp_denorm_src 0
		.amdhsa_exception_fp_ieee_div_zero 0
		.amdhsa_exception_fp_ieee_overflow 0
		.amdhsa_exception_fp_ieee_underflow 0
		.amdhsa_exception_fp_ieee_inexact 0
		.amdhsa_exception_int_div_zero 0
	.end_amdhsa_kernel
	.section	.text._ZN7rocprim17ROCPRIM_400000_NS6detail17trampoline_kernelINS0_13select_configILj256ELj13ELNS0_17block_load_methodE3ELS4_3ELS4_3ELNS0_20block_scan_algorithmE0ELj4294967295EEENS1_25partition_config_selectorILNS1_17partition_subalgoE4EjNS0_10empty_typeEbEEZZNS1_14partition_implILS8_4ELb0ES6_15HIP_vector_typeIjLj2EENS0_17counting_iteratorIjlEEPS9_SG_NS0_5tupleIJPjSI_NS0_16reverse_iteratorISI_EEEEENSH_IJSG_SG_SG_EEES9_SI_JZNS1_25segmented_radix_sort_implINS0_14default_configELb0EPKaPaPKlPlN2at6native12_GLOBAL__N_18offset_tEEE10hipError_tPvRmT1_PNSt15iterator_traitsIS12_E10value_typeET2_T3_PNS13_IS18_E10value_typeET4_jRbjT5_S1E_jjP12ihipStream_tbEUljE_ZNSN_ISO_Lb0ESQ_SR_ST_SU_SY_EESZ_S10_S11_S12_S16_S17_S18_S1B_S1C_jS1D_jS1E_S1E_jjS1G_bEUljE0_EEESZ_S10_S11_S18_S1C_S1E_T6_T7_T9_mT8_S1G_bDpT10_ENKUlT_T0_E_clISt17integral_constantIbLb1EES1U_EEDaS1P_S1Q_EUlS1P_E_NS1_11comp_targetILNS1_3genE8ELNS1_11target_archE1030ELNS1_3gpuE2ELNS1_3repE0EEENS1_30default_config_static_selectorELNS0_4arch9wavefront6targetE1EEEvS12_,"axG",@progbits,_ZN7rocprim17ROCPRIM_400000_NS6detail17trampoline_kernelINS0_13select_configILj256ELj13ELNS0_17block_load_methodE3ELS4_3ELS4_3ELNS0_20block_scan_algorithmE0ELj4294967295EEENS1_25partition_config_selectorILNS1_17partition_subalgoE4EjNS0_10empty_typeEbEEZZNS1_14partition_implILS8_4ELb0ES6_15HIP_vector_typeIjLj2EENS0_17counting_iteratorIjlEEPS9_SG_NS0_5tupleIJPjSI_NS0_16reverse_iteratorISI_EEEEENSH_IJSG_SG_SG_EEES9_SI_JZNS1_25segmented_radix_sort_implINS0_14default_configELb0EPKaPaPKlPlN2at6native12_GLOBAL__N_18offset_tEEE10hipError_tPvRmT1_PNSt15iterator_traitsIS12_E10value_typeET2_T3_PNS13_IS18_E10value_typeET4_jRbjT5_S1E_jjP12ihipStream_tbEUljE_ZNSN_ISO_Lb0ESQ_SR_ST_SU_SY_EESZ_S10_S11_S12_S16_S17_S18_S1B_S1C_jS1D_jS1E_S1E_jjS1G_bEUljE0_EEESZ_S10_S11_S18_S1C_S1E_T6_T7_T9_mT8_S1G_bDpT10_ENKUlT_T0_E_clISt17integral_constantIbLb1EES1U_EEDaS1P_S1Q_EUlS1P_E_NS1_11comp_targetILNS1_3genE8ELNS1_11target_archE1030ELNS1_3gpuE2ELNS1_3repE0EEENS1_30default_config_static_selectorELNS0_4arch9wavefront6targetE1EEEvS12_,comdat
.Lfunc_end344:
	.size	_ZN7rocprim17ROCPRIM_400000_NS6detail17trampoline_kernelINS0_13select_configILj256ELj13ELNS0_17block_load_methodE3ELS4_3ELS4_3ELNS0_20block_scan_algorithmE0ELj4294967295EEENS1_25partition_config_selectorILNS1_17partition_subalgoE4EjNS0_10empty_typeEbEEZZNS1_14partition_implILS8_4ELb0ES6_15HIP_vector_typeIjLj2EENS0_17counting_iteratorIjlEEPS9_SG_NS0_5tupleIJPjSI_NS0_16reverse_iteratorISI_EEEEENSH_IJSG_SG_SG_EEES9_SI_JZNS1_25segmented_radix_sort_implINS0_14default_configELb0EPKaPaPKlPlN2at6native12_GLOBAL__N_18offset_tEEE10hipError_tPvRmT1_PNSt15iterator_traitsIS12_E10value_typeET2_T3_PNS13_IS18_E10value_typeET4_jRbjT5_S1E_jjP12ihipStream_tbEUljE_ZNSN_ISO_Lb0ESQ_SR_ST_SU_SY_EESZ_S10_S11_S12_S16_S17_S18_S1B_S1C_jS1D_jS1E_S1E_jjS1G_bEUljE0_EEESZ_S10_S11_S18_S1C_S1E_T6_T7_T9_mT8_S1G_bDpT10_ENKUlT_T0_E_clISt17integral_constantIbLb1EES1U_EEDaS1P_S1Q_EUlS1P_E_NS1_11comp_targetILNS1_3genE8ELNS1_11target_archE1030ELNS1_3gpuE2ELNS1_3repE0EEENS1_30default_config_static_selectorELNS0_4arch9wavefront6targetE1EEEvS12_, .Lfunc_end344-_ZN7rocprim17ROCPRIM_400000_NS6detail17trampoline_kernelINS0_13select_configILj256ELj13ELNS0_17block_load_methodE3ELS4_3ELS4_3ELNS0_20block_scan_algorithmE0ELj4294967295EEENS1_25partition_config_selectorILNS1_17partition_subalgoE4EjNS0_10empty_typeEbEEZZNS1_14partition_implILS8_4ELb0ES6_15HIP_vector_typeIjLj2EENS0_17counting_iteratorIjlEEPS9_SG_NS0_5tupleIJPjSI_NS0_16reverse_iteratorISI_EEEEENSH_IJSG_SG_SG_EEES9_SI_JZNS1_25segmented_radix_sort_implINS0_14default_configELb0EPKaPaPKlPlN2at6native12_GLOBAL__N_18offset_tEEE10hipError_tPvRmT1_PNSt15iterator_traitsIS12_E10value_typeET2_T3_PNS13_IS18_E10value_typeET4_jRbjT5_S1E_jjP12ihipStream_tbEUljE_ZNSN_ISO_Lb0ESQ_SR_ST_SU_SY_EESZ_S10_S11_S12_S16_S17_S18_S1B_S1C_jS1D_jS1E_S1E_jjS1G_bEUljE0_EEESZ_S10_S11_S18_S1C_S1E_T6_T7_T9_mT8_S1G_bDpT10_ENKUlT_T0_E_clISt17integral_constantIbLb1EES1U_EEDaS1P_S1Q_EUlS1P_E_NS1_11comp_targetILNS1_3genE8ELNS1_11target_archE1030ELNS1_3gpuE2ELNS1_3repE0EEENS1_30default_config_static_selectorELNS0_4arch9wavefront6targetE1EEEvS12_
                                        ; -- End function
	.set _ZN7rocprim17ROCPRIM_400000_NS6detail17trampoline_kernelINS0_13select_configILj256ELj13ELNS0_17block_load_methodE3ELS4_3ELS4_3ELNS0_20block_scan_algorithmE0ELj4294967295EEENS1_25partition_config_selectorILNS1_17partition_subalgoE4EjNS0_10empty_typeEbEEZZNS1_14partition_implILS8_4ELb0ES6_15HIP_vector_typeIjLj2EENS0_17counting_iteratorIjlEEPS9_SG_NS0_5tupleIJPjSI_NS0_16reverse_iteratorISI_EEEEENSH_IJSG_SG_SG_EEES9_SI_JZNS1_25segmented_radix_sort_implINS0_14default_configELb0EPKaPaPKlPlN2at6native12_GLOBAL__N_18offset_tEEE10hipError_tPvRmT1_PNSt15iterator_traitsIS12_E10value_typeET2_T3_PNS13_IS18_E10value_typeET4_jRbjT5_S1E_jjP12ihipStream_tbEUljE_ZNSN_ISO_Lb0ESQ_SR_ST_SU_SY_EESZ_S10_S11_S12_S16_S17_S18_S1B_S1C_jS1D_jS1E_S1E_jjS1G_bEUljE0_EEESZ_S10_S11_S18_S1C_S1E_T6_T7_T9_mT8_S1G_bDpT10_ENKUlT_T0_E_clISt17integral_constantIbLb1EES1U_EEDaS1P_S1Q_EUlS1P_E_NS1_11comp_targetILNS1_3genE8ELNS1_11target_archE1030ELNS1_3gpuE2ELNS1_3repE0EEENS1_30default_config_static_selectorELNS0_4arch9wavefront6targetE1EEEvS12_.num_vgpr, 0
	.set _ZN7rocprim17ROCPRIM_400000_NS6detail17trampoline_kernelINS0_13select_configILj256ELj13ELNS0_17block_load_methodE3ELS4_3ELS4_3ELNS0_20block_scan_algorithmE0ELj4294967295EEENS1_25partition_config_selectorILNS1_17partition_subalgoE4EjNS0_10empty_typeEbEEZZNS1_14partition_implILS8_4ELb0ES6_15HIP_vector_typeIjLj2EENS0_17counting_iteratorIjlEEPS9_SG_NS0_5tupleIJPjSI_NS0_16reverse_iteratorISI_EEEEENSH_IJSG_SG_SG_EEES9_SI_JZNS1_25segmented_radix_sort_implINS0_14default_configELb0EPKaPaPKlPlN2at6native12_GLOBAL__N_18offset_tEEE10hipError_tPvRmT1_PNSt15iterator_traitsIS12_E10value_typeET2_T3_PNS13_IS18_E10value_typeET4_jRbjT5_S1E_jjP12ihipStream_tbEUljE_ZNSN_ISO_Lb0ESQ_SR_ST_SU_SY_EESZ_S10_S11_S12_S16_S17_S18_S1B_S1C_jS1D_jS1E_S1E_jjS1G_bEUljE0_EEESZ_S10_S11_S18_S1C_S1E_T6_T7_T9_mT8_S1G_bDpT10_ENKUlT_T0_E_clISt17integral_constantIbLb1EES1U_EEDaS1P_S1Q_EUlS1P_E_NS1_11comp_targetILNS1_3genE8ELNS1_11target_archE1030ELNS1_3gpuE2ELNS1_3repE0EEENS1_30default_config_static_selectorELNS0_4arch9wavefront6targetE1EEEvS12_.num_agpr, 0
	.set _ZN7rocprim17ROCPRIM_400000_NS6detail17trampoline_kernelINS0_13select_configILj256ELj13ELNS0_17block_load_methodE3ELS4_3ELS4_3ELNS0_20block_scan_algorithmE0ELj4294967295EEENS1_25partition_config_selectorILNS1_17partition_subalgoE4EjNS0_10empty_typeEbEEZZNS1_14partition_implILS8_4ELb0ES6_15HIP_vector_typeIjLj2EENS0_17counting_iteratorIjlEEPS9_SG_NS0_5tupleIJPjSI_NS0_16reverse_iteratorISI_EEEEENSH_IJSG_SG_SG_EEES9_SI_JZNS1_25segmented_radix_sort_implINS0_14default_configELb0EPKaPaPKlPlN2at6native12_GLOBAL__N_18offset_tEEE10hipError_tPvRmT1_PNSt15iterator_traitsIS12_E10value_typeET2_T3_PNS13_IS18_E10value_typeET4_jRbjT5_S1E_jjP12ihipStream_tbEUljE_ZNSN_ISO_Lb0ESQ_SR_ST_SU_SY_EESZ_S10_S11_S12_S16_S17_S18_S1B_S1C_jS1D_jS1E_S1E_jjS1G_bEUljE0_EEESZ_S10_S11_S18_S1C_S1E_T6_T7_T9_mT8_S1G_bDpT10_ENKUlT_T0_E_clISt17integral_constantIbLb1EES1U_EEDaS1P_S1Q_EUlS1P_E_NS1_11comp_targetILNS1_3genE8ELNS1_11target_archE1030ELNS1_3gpuE2ELNS1_3repE0EEENS1_30default_config_static_selectorELNS0_4arch9wavefront6targetE1EEEvS12_.numbered_sgpr, 0
	.set _ZN7rocprim17ROCPRIM_400000_NS6detail17trampoline_kernelINS0_13select_configILj256ELj13ELNS0_17block_load_methodE3ELS4_3ELS4_3ELNS0_20block_scan_algorithmE0ELj4294967295EEENS1_25partition_config_selectorILNS1_17partition_subalgoE4EjNS0_10empty_typeEbEEZZNS1_14partition_implILS8_4ELb0ES6_15HIP_vector_typeIjLj2EENS0_17counting_iteratorIjlEEPS9_SG_NS0_5tupleIJPjSI_NS0_16reverse_iteratorISI_EEEEENSH_IJSG_SG_SG_EEES9_SI_JZNS1_25segmented_radix_sort_implINS0_14default_configELb0EPKaPaPKlPlN2at6native12_GLOBAL__N_18offset_tEEE10hipError_tPvRmT1_PNSt15iterator_traitsIS12_E10value_typeET2_T3_PNS13_IS18_E10value_typeET4_jRbjT5_S1E_jjP12ihipStream_tbEUljE_ZNSN_ISO_Lb0ESQ_SR_ST_SU_SY_EESZ_S10_S11_S12_S16_S17_S18_S1B_S1C_jS1D_jS1E_S1E_jjS1G_bEUljE0_EEESZ_S10_S11_S18_S1C_S1E_T6_T7_T9_mT8_S1G_bDpT10_ENKUlT_T0_E_clISt17integral_constantIbLb1EES1U_EEDaS1P_S1Q_EUlS1P_E_NS1_11comp_targetILNS1_3genE8ELNS1_11target_archE1030ELNS1_3gpuE2ELNS1_3repE0EEENS1_30default_config_static_selectorELNS0_4arch9wavefront6targetE1EEEvS12_.num_named_barrier, 0
	.set _ZN7rocprim17ROCPRIM_400000_NS6detail17trampoline_kernelINS0_13select_configILj256ELj13ELNS0_17block_load_methodE3ELS4_3ELS4_3ELNS0_20block_scan_algorithmE0ELj4294967295EEENS1_25partition_config_selectorILNS1_17partition_subalgoE4EjNS0_10empty_typeEbEEZZNS1_14partition_implILS8_4ELb0ES6_15HIP_vector_typeIjLj2EENS0_17counting_iteratorIjlEEPS9_SG_NS0_5tupleIJPjSI_NS0_16reverse_iteratorISI_EEEEENSH_IJSG_SG_SG_EEES9_SI_JZNS1_25segmented_radix_sort_implINS0_14default_configELb0EPKaPaPKlPlN2at6native12_GLOBAL__N_18offset_tEEE10hipError_tPvRmT1_PNSt15iterator_traitsIS12_E10value_typeET2_T3_PNS13_IS18_E10value_typeET4_jRbjT5_S1E_jjP12ihipStream_tbEUljE_ZNSN_ISO_Lb0ESQ_SR_ST_SU_SY_EESZ_S10_S11_S12_S16_S17_S18_S1B_S1C_jS1D_jS1E_S1E_jjS1G_bEUljE0_EEESZ_S10_S11_S18_S1C_S1E_T6_T7_T9_mT8_S1G_bDpT10_ENKUlT_T0_E_clISt17integral_constantIbLb1EES1U_EEDaS1P_S1Q_EUlS1P_E_NS1_11comp_targetILNS1_3genE8ELNS1_11target_archE1030ELNS1_3gpuE2ELNS1_3repE0EEENS1_30default_config_static_selectorELNS0_4arch9wavefront6targetE1EEEvS12_.private_seg_size, 0
	.set _ZN7rocprim17ROCPRIM_400000_NS6detail17trampoline_kernelINS0_13select_configILj256ELj13ELNS0_17block_load_methodE3ELS4_3ELS4_3ELNS0_20block_scan_algorithmE0ELj4294967295EEENS1_25partition_config_selectorILNS1_17partition_subalgoE4EjNS0_10empty_typeEbEEZZNS1_14partition_implILS8_4ELb0ES6_15HIP_vector_typeIjLj2EENS0_17counting_iteratorIjlEEPS9_SG_NS0_5tupleIJPjSI_NS0_16reverse_iteratorISI_EEEEENSH_IJSG_SG_SG_EEES9_SI_JZNS1_25segmented_radix_sort_implINS0_14default_configELb0EPKaPaPKlPlN2at6native12_GLOBAL__N_18offset_tEEE10hipError_tPvRmT1_PNSt15iterator_traitsIS12_E10value_typeET2_T3_PNS13_IS18_E10value_typeET4_jRbjT5_S1E_jjP12ihipStream_tbEUljE_ZNSN_ISO_Lb0ESQ_SR_ST_SU_SY_EESZ_S10_S11_S12_S16_S17_S18_S1B_S1C_jS1D_jS1E_S1E_jjS1G_bEUljE0_EEESZ_S10_S11_S18_S1C_S1E_T6_T7_T9_mT8_S1G_bDpT10_ENKUlT_T0_E_clISt17integral_constantIbLb1EES1U_EEDaS1P_S1Q_EUlS1P_E_NS1_11comp_targetILNS1_3genE8ELNS1_11target_archE1030ELNS1_3gpuE2ELNS1_3repE0EEENS1_30default_config_static_selectorELNS0_4arch9wavefront6targetE1EEEvS12_.uses_vcc, 0
	.set _ZN7rocprim17ROCPRIM_400000_NS6detail17trampoline_kernelINS0_13select_configILj256ELj13ELNS0_17block_load_methodE3ELS4_3ELS4_3ELNS0_20block_scan_algorithmE0ELj4294967295EEENS1_25partition_config_selectorILNS1_17partition_subalgoE4EjNS0_10empty_typeEbEEZZNS1_14partition_implILS8_4ELb0ES6_15HIP_vector_typeIjLj2EENS0_17counting_iteratorIjlEEPS9_SG_NS0_5tupleIJPjSI_NS0_16reverse_iteratorISI_EEEEENSH_IJSG_SG_SG_EEES9_SI_JZNS1_25segmented_radix_sort_implINS0_14default_configELb0EPKaPaPKlPlN2at6native12_GLOBAL__N_18offset_tEEE10hipError_tPvRmT1_PNSt15iterator_traitsIS12_E10value_typeET2_T3_PNS13_IS18_E10value_typeET4_jRbjT5_S1E_jjP12ihipStream_tbEUljE_ZNSN_ISO_Lb0ESQ_SR_ST_SU_SY_EESZ_S10_S11_S12_S16_S17_S18_S1B_S1C_jS1D_jS1E_S1E_jjS1G_bEUljE0_EEESZ_S10_S11_S18_S1C_S1E_T6_T7_T9_mT8_S1G_bDpT10_ENKUlT_T0_E_clISt17integral_constantIbLb1EES1U_EEDaS1P_S1Q_EUlS1P_E_NS1_11comp_targetILNS1_3genE8ELNS1_11target_archE1030ELNS1_3gpuE2ELNS1_3repE0EEENS1_30default_config_static_selectorELNS0_4arch9wavefront6targetE1EEEvS12_.uses_flat_scratch, 0
	.set _ZN7rocprim17ROCPRIM_400000_NS6detail17trampoline_kernelINS0_13select_configILj256ELj13ELNS0_17block_load_methodE3ELS4_3ELS4_3ELNS0_20block_scan_algorithmE0ELj4294967295EEENS1_25partition_config_selectorILNS1_17partition_subalgoE4EjNS0_10empty_typeEbEEZZNS1_14partition_implILS8_4ELb0ES6_15HIP_vector_typeIjLj2EENS0_17counting_iteratorIjlEEPS9_SG_NS0_5tupleIJPjSI_NS0_16reverse_iteratorISI_EEEEENSH_IJSG_SG_SG_EEES9_SI_JZNS1_25segmented_radix_sort_implINS0_14default_configELb0EPKaPaPKlPlN2at6native12_GLOBAL__N_18offset_tEEE10hipError_tPvRmT1_PNSt15iterator_traitsIS12_E10value_typeET2_T3_PNS13_IS18_E10value_typeET4_jRbjT5_S1E_jjP12ihipStream_tbEUljE_ZNSN_ISO_Lb0ESQ_SR_ST_SU_SY_EESZ_S10_S11_S12_S16_S17_S18_S1B_S1C_jS1D_jS1E_S1E_jjS1G_bEUljE0_EEESZ_S10_S11_S18_S1C_S1E_T6_T7_T9_mT8_S1G_bDpT10_ENKUlT_T0_E_clISt17integral_constantIbLb1EES1U_EEDaS1P_S1Q_EUlS1P_E_NS1_11comp_targetILNS1_3genE8ELNS1_11target_archE1030ELNS1_3gpuE2ELNS1_3repE0EEENS1_30default_config_static_selectorELNS0_4arch9wavefront6targetE1EEEvS12_.has_dyn_sized_stack, 0
	.set _ZN7rocprim17ROCPRIM_400000_NS6detail17trampoline_kernelINS0_13select_configILj256ELj13ELNS0_17block_load_methodE3ELS4_3ELS4_3ELNS0_20block_scan_algorithmE0ELj4294967295EEENS1_25partition_config_selectorILNS1_17partition_subalgoE4EjNS0_10empty_typeEbEEZZNS1_14partition_implILS8_4ELb0ES6_15HIP_vector_typeIjLj2EENS0_17counting_iteratorIjlEEPS9_SG_NS0_5tupleIJPjSI_NS0_16reverse_iteratorISI_EEEEENSH_IJSG_SG_SG_EEES9_SI_JZNS1_25segmented_radix_sort_implINS0_14default_configELb0EPKaPaPKlPlN2at6native12_GLOBAL__N_18offset_tEEE10hipError_tPvRmT1_PNSt15iterator_traitsIS12_E10value_typeET2_T3_PNS13_IS18_E10value_typeET4_jRbjT5_S1E_jjP12ihipStream_tbEUljE_ZNSN_ISO_Lb0ESQ_SR_ST_SU_SY_EESZ_S10_S11_S12_S16_S17_S18_S1B_S1C_jS1D_jS1E_S1E_jjS1G_bEUljE0_EEESZ_S10_S11_S18_S1C_S1E_T6_T7_T9_mT8_S1G_bDpT10_ENKUlT_T0_E_clISt17integral_constantIbLb1EES1U_EEDaS1P_S1Q_EUlS1P_E_NS1_11comp_targetILNS1_3genE8ELNS1_11target_archE1030ELNS1_3gpuE2ELNS1_3repE0EEENS1_30default_config_static_selectorELNS0_4arch9wavefront6targetE1EEEvS12_.has_recursion, 0
	.set _ZN7rocprim17ROCPRIM_400000_NS6detail17trampoline_kernelINS0_13select_configILj256ELj13ELNS0_17block_load_methodE3ELS4_3ELS4_3ELNS0_20block_scan_algorithmE0ELj4294967295EEENS1_25partition_config_selectorILNS1_17partition_subalgoE4EjNS0_10empty_typeEbEEZZNS1_14partition_implILS8_4ELb0ES6_15HIP_vector_typeIjLj2EENS0_17counting_iteratorIjlEEPS9_SG_NS0_5tupleIJPjSI_NS0_16reverse_iteratorISI_EEEEENSH_IJSG_SG_SG_EEES9_SI_JZNS1_25segmented_radix_sort_implINS0_14default_configELb0EPKaPaPKlPlN2at6native12_GLOBAL__N_18offset_tEEE10hipError_tPvRmT1_PNSt15iterator_traitsIS12_E10value_typeET2_T3_PNS13_IS18_E10value_typeET4_jRbjT5_S1E_jjP12ihipStream_tbEUljE_ZNSN_ISO_Lb0ESQ_SR_ST_SU_SY_EESZ_S10_S11_S12_S16_S17_S18_S1B_S1C_jS1D_jS1E_S1E_jjS1G_bEUljE0_EEESZ_S10_S11_S18_S1C_S1E_T6_T7_T9_mT8_S1G_bDpT10_ENKUlT_T0_E_clISt17integral_constantIbLb1EES1U_EEDaS1P_S1Q_EUlS1P_E_NS1_11comp_targetILNS1_3genE8ELNS1_11target_archE1030ELNS1_3gpuE2ELNS1_3repE0EEENS1_30default_config_static_selectorELNS0_4arch9wavefront6targetE1EEEvS12_.has_indirect_call, 0
	.section	.AMDGPU.csdata,"",@progbits
; Kernel info:
; codeLenInByte = 0
; TotalNumSgprs: 4
; NumVgprs: 0
; ScratchSize: 0
; MemoryBound: 0
; FloatMode: 240
; IeeeMode: 1
; LDSByteSize: 0 bytes/workgroup (compile time only)
; SGPRBlocks: 0
; VGPRBlocks: 0
; NumSGPRsForWavesPerEU: 4
; NumVGPRsForWavesPerEU: 1
; Occupancy: 10
; WaveLimiterHint : 0
; COMPUTE_PGM_RSRC2:SCRATCH_EN: 0
; COMPUTE_PGM_RSRC2:USER_SGPR: 6
; COMPUTE_PGM_RSRC2:TRAP_HANDLER: 0
; COMPUTE_PGM_RSRC2:TGID_X_EN: 1
; COMPUTE_PGM_RSRC2:TGID_Y_EN: 0
; COMPUTE_PGM_RSRC2:TGID_Z_EN: 0
; COMPUTE_PGM_RSRC2:TIDIG_COMP_CNT: 0
	.section	.text._ZN7rocprim17ROCPRIM_400000_NS6detail17trampoline_kernelINS0_13select_configILj256ELj13ELNS0_17block_load_methodE3ELS4_3ELS4_3ELNS0_20block_scan_algorithmE0ELj4294967295EEENS1_25partition_config_selectorILNS1_17partition_subalgoE4EjNS0_10empty_typeEbEEZZNS1_14partition_implILS8_4ELb0ES6_15HIP_vector_typeIjLj2EENS0_17counting_iteratorIjlEEPS9_SG_NS0_5tupleIJPjSI_NS0_16reverse_iteratorISI_EEEEENSH_IJSG_SG_SG_EEES9_SI_JZNS1_25segmented_radix_sort_implINS0_14default_configELb0EPKaPaPKlPlN2at6native12_GLOBAL__N_18offset_tEEE10hipError_tPvRmT1_PNSt15iterator_traitsIS12_E10value_typeET2_T3_PNS13_IS18_E10value_typeET4_jRbjT5_S1E_jjP12ihipStream_tbEUljE_ZNSN_ISO_Lb0ESQ_SR_ST_SU_SY_EESZ_S10_S11_S12_S16_S17_S18_S1B_S1C_jS1D_jS1E_S1E_jjS1G_bEUljE0_EEESZ_S10_S11_S18_S1C_S1E_T6_T7_T9_mT8_S1G_bDpT10_ENKUlT_T0_E_clISt17integral_constantIbLb1EES1T_IbLb0EEEEDaS1P_S1Q_EUlS1P_E_NS1_11comp_targetILNS1_3genE0ELNS1_11target_archE4294967295ELNS1_3gpuE0ELNS1_3repE0EEENS1_30default_config_static_selectorELNS0_4arch9wavefront6targetE1EEEvS12_,"axG",@progbits,_ZN7rocprim17ROCPRIM_400000_NS6detail17trampoline_kernelINS0_13select_configILj256ELj13ELNS0_17block_load_methodE3ELS4_3ELS4_3ELNS0_20block_scan_algorithmE0ELj4294967295EEENS1_25partition_config_selectorILNS1_17partition_subalgoE4EjNS0_10empty_typeEbEEZZNS1_14partition_implILS8_4ELb0ES6_15HIP_vector_typeIjLj2EENS0_17counting_iteratorIjlEEPS9_SG_NS0_5tupleIJPjSI_NS0_16reverse_iteratorISI_EEEEENSH_IJSG_SG_SG_EEES9_SI_JZNS1_25segmented_radix_sort_implINS0_14default_configELb0EPKaPaPKlPlN2at6native12_GLOBAL__N_18offset_tEEE10hipError_tPvRmT1_PNSt15iterator_traitsIS12_E10value_typeET2_T3_PNS13_IS18_E10value_typeET4_jRbjT5_S1E_jjP12ihipStream_tbEUljE_ZNSN_ISO_Lb0ESQ_SR_ST_SU_SY_EESZ_S10_S11_S12_S16_S17_S18_S1B_S1C_jS1D_jS1E_S1E_jjS1G_bEUljE0_EEESZ_S10_S11_S18_S1C_S1E_T6_T7_T9_mT8_S1G_bDpT10_ENKUlT_T0_E_clISt17integral_constantIbLb1EES1T_IbLb0EEEEDaS1P_S1Q_EUlS1P_E_NS1_11comp_targetILNS1_3genE0ELNS1_11target_archE4294967295ELNS1_3gpuE0ELNS1_3repE0EEENS1_30default_config_static_selectorELNS0_4arch9wavefront6targetE1EEEvS12_,comdat
	.globl	_ZN7rocprim17ROCPRIM_400000_NS6detail17trampoline_kernelINS0_13select_configILj256ELj13ELNS0_17block_load_methodE3ELS4_3ELS4_3ELNS0_20block_scan_algorithmE0ELj4294967295EEENS1_25partition_config_selectorILNS1_17partition_subalgoE4EjNS0_10empty_typeEbEEZZNS1_14partition_implILS8_4ELb0ES6_15HIP_vector_typeIjLj2EENS0_17counting_iteratorIjlEEPS9_SG_NS0_5tupleIJPjSI_NS0_16reverse_iteratorISI_EEEEENSH_IJSG_SG_SG_EEES9_SI_JZNS1_25segmented_radix_sort_implINS0_14default_configELb0EPKaPaPKlPlN2at6native12_GLOBAL__N_18offset_tEEE10hipError_tPvRmT1_PNSt15iterator_traitsIS12_E10value_typeET2_T3_PNS13_IS18_E10value_typeET4_jRbjT5_S1E_jjP12ihipStream_tbEUljE_ZNSN_ISO_Lb0ESQ_SR_ST_SU_SY_EESZ_S10_S11_S12_S16_S17_S18_S1B_S1C_jS1D_jS1E_S1E_jjS1G_bEUljE0_EEESZ_S10_S11_S18_S1C_S1E_T6_T7_T9_mT8_S1G_bDpT10_ENKUlT_T0_E_clISt17integral_constantIbLb1EES1T_IbLb0EEEEDaS1P_S1Q_EUlS1P_E_NS1_11comp_targetILNS1_3genE0ELNS1_11target_archE4294967295ELNS1_3gpuE0ELNS1_3repE0EEENS1_30default_config_static_selectorELNS0_4arch9wavefront6targetE1EEEvS12_ ; -- Begin function _ZN7rocprim17ROCPRIM_400000_NS6detail17trampoline_kernelINS0_13select_configILj256ELj13ELNS0_17block_load_methodE3ELS4_3ELS4_3ELNS0_20block_scan_algorithmE0ELj4294967295EEENS1_25partition_config_selectorILNS1_17partition_subalgoE4EjNS0_10empty_typeEbEEZZNS1_14partition_implILS8_4ELb0ES6_15HIP_vector_typeIjLj2EENS0_17counting_iteratorIjlEEPS9_SG_NS0_5tupleIJPjSI_NS0_16reverse_iteratorISI_EEEEENSH_IJSG_SG_SG_EEES9_SI_JZNS1_25segmented_radix_sort_implINS0_14default_configELb0EPKaPaPKlPlN2at6native12_GLOBAL__N_18offset_tEEE10hipError_tPvRmT1_PNSt15iterator_traitsIS12_E10value_typeET2_T3_PNS13_IS18_E10value_typeET4_jRbjT5_S1E_jjP12ihipStream_tbEUljE_ZNSN_ISO_Lb0ESQ_SR_ST_SU_SY_EESZ_S10_S11_S12_S16_S17_S18_S1B_S1C_jS1D_jS1E_S1E_jjS1G_bEUljE0_EEESZ_S10_S11_S18_S1C_S1E_T6_T7_T9_mT8_S1G_bDpT10_ENKUlT_T0_E_clISt17integral_constantIbLb1EES1T_IbLb0EEEEDaS1P_S1Q_EUlS1P_E_NS1_11comp_targetILNS1_3genE0ELNS1_11target_archE4294967295ELNS1_3gpuE0ELNS1_3repE0EEENS1_30default_config_static_selectorELNS0_4arch9wavefront6targetE1EEEvS12_
	.p2align	8
	.type	_ZN7rocprim17ROCPRIM_400000_NS6detail17trampoline_kernelINS0_13select_configILj256ELj13ELNS0_17block_load_methodE3ELS4_3ELS4_3ELNS0_20block_scan_algorithmE0ELj4294967295EEENS1_25partition_config_selectorILNS1_17partition_subalgoE4EjNS0_10empty_typeEbEEZZNS1_14partition_implILS8_4ELb0ES6_15HIP_vector_typeIjLj2EENS0_17counting_iteratorIjlEEPS9_SG_NS0_5tupleIJPjSI_NS0_16reverse_iteratorISI_EEEEENSH_IJSG_SG_SG_EEES9_SI_JZNS1_25segmented_radix_sort_implINS0_14default_configELb0EPKaPaPKlPlN2at6native12_GLOBAL__N_18offset_tEEE10hipError_tPvRmT1_PNSt15iterator_traitsIS12_E10value_typeET2_T3_PNS13_IS18_E10value_typeET4_jRbjT5_S1E_jjP12ihipStream_tbEUljE_ZNSN_ISO_Lb0ESQ_SR_ST_SU_SY_EESZ_S10_S11_S12_S16_S17_S18_S1B_S1C_jS1D_jS1E_S1E_jjS1G_bEUljE0_EEESZ_S10_S11_S18_S1C_S1E_T6_T7_T9_mT8_S1G_bDpT10_ENKUlT_T0_E_clISt17integral_constantIbLb1EES1T_IbLb0EEEEDaS1P_S1Q_EUlS1P_E_NS1_11comp_targetILNS1_3genE0ELNS1_11target_archE4294967295ELNS1_3gpuE0ELNS1_3repE0EEENS1_30default_config_static_selectorELNS0_4arch9wavefront6targetE1EEEvS12_,@function
_ZN7rocprim17ROCPRIM_400000_NS6detail17trampoline_kernelINS0_13select_configILj256ELj13ELNS0_17block_load_methodE3ELS4_3ELS4_3ELNS0_20block_scan_algorithmE0ELj4294967295EEENS1_25partition_config_selectorILNS1_17partition_subalgoE4EjNS0_10empty_typeEbEEZZNS1_14partition_implILS8_4ELb0ES6_15HIP_vector_typeIjLj2EENS0_17counting_iteratorIjlEEPS9_SG_NS0_5tupleIJPjSI_NS0_16reverse_iteratorISI_EEEEENSH_IJSG_SG_SG_EEES9_SI_JZNS1_25segmented_radix_sort_implINS0_14default_configELb0EPKaPaPKlPlN2at6native12_GLOBAL__N_18offset_tEEE10hipError_tPvRmT1_PNSt15iterator_traitsIS12_E10value_typeET2_T3_PNS13_IS18_E10value_typeET4_jRbjT5_S1E_jjP12ihipStream_tbEUljE_ZNSN_ISO_Lb0ESQ_SR_ST_SU_SY_EESZ_S10_S11_S12_S16_S17_S18_S1B_S1C_jS1D_jS1E_S1E_jjS1G_bEUljE0_EEESZ_S10_S11_S18_S1C_S1E_T6_T7_T9_mT8_S1G_bDpT10_ENKUlT_T0_E_clISt17integral_constantIbLb1EES1T_IbLb0EEEEDaS1P_S1Q_EUlS1P_E_NS1_11comp_targetILNS1_3genE0ELNS1_11target_archE4294967295ELNS1_3gpuE0ELNS1_3repE0EEENS1_30default_config_static_selectorELNS0_4arch9wavefront6targetE1EEEvS12_: ; @_ZN7rocprim17ROCPRIM_400000_NS6detail17trampoline_kernelINS0_13select_configILj256ELj13ELNS0_17block_load_methodE3ELS4_3ELS4_3ELNS0_20block_scan_algorithmE0ELj4294967295EEENS1_25partition_config_selectorILNS1_17partition_subalgoE4EjNS0_10empty_typeEbEEZZNS1_14partition_implILS8_4ELb0ES6_15HIP_vector_typeIjLj2EENS0_17counting_iteratorIjlEEPS9_SG_NS0_5tupleIJPjSI_NS0_16reverse_iteratorISI_EEEEENSH_IJSG_SG_SG_EEES9_SI_JZNS1_25segmented_radix_sort_implINS0_14default_configELb0EPKaPaPKlPlN2at6native12_GLOBAL__N_18offset_tEEE10hipError_tPvRmT1_PNSt15iterator_traitsIS12_E10value_typeET2_T3_PNS13_IS18_E10value_typeET4_jRbjT5_S1E_jjP12ihipStream_tbEUljE_ZNSN_ISO_Lb0ESQ_SR_ST_SU_SY_EESZ_S10_S11_S12_S16_S17_S18_S1B_S1C_jS1D_jS1E_S1E_jjS1G_bEUljE0_EEESZ_S10_S11_S18_S1C_S1E_T6_T7_T9_mT8_S1G_bDpT10_ENKUlT_T0_E_clISt17integral_constantIbLb1EES1T_IbLb0EEEEDaS1P_S1Q_EUlS1P_E_NS1_11comp_targetILNS1_3genE0ELNS1_11target_archE4294967295ELNS1_3gpuE0ELNS1_3repE0EEENS1_30default_config_static_selectorELNS0_4arch9wavefront6targetE1EEEvS12_
; %bb.0:
	.section	.rodata,"a",@progbits
	.p2align	6, 0x0
	.amdhsa_kernel _ZN7rocprim17ROCPRIM_400000_NS6detail17trampoline_kernelINS0_13select_configILj256ELj13ELNS0_17block_load_methodE3ELS4_3ELS4_3ELNS0_20block_scan_algorithmE0ELj4294967295EEENS1_25partition_config_selectorILNS1_17partition_subalgoE4EjNS0_10empty_typeEbEEZZNS1_14partition_implILS8_4ELb0ES6_15HIP_vector_typeIjLj2EENS0_17counting_iteratorIjlEEPS9_SG_NS0_5tupleIJPjSI_NS0_16reverse_iteratorISI_EEEEENSH_IJSG_SG_SG_EEES9_SI_JZNS1_25segmented_radix_sort_implINS0_14default_configELb0EPKaPaPKlPlN2at6native12_GLOBAL__N_18offset_tEEE10hipError_tPvRmT1_PNSt15iterator_traitsIS12_E10value_typeET2_T3_PNS13_IS18_E10value_typeET4_jRbjT5_S1E_jjP12ihipStream_tbEUljE_ZNSN_ISO_Lb0ESQ_SR_ST_SU_SY_EESZ_S10_S11_S12_S16_S17_S18_S1B_S1C_jS1D_jS1E_S1E_jjS1G_bEUljE0_EEESZ_S10_S11_S18_S1C_S1E_T6_T7_T9_mT8_S1G_bDpT10_ENKUlT_T0_E_clISt17integral_constantIbLb1EES1T_IbLb0EEEEDaS1P_S1Q_EUlS1P_E_NS1_11comp_targetILNS1_3genE0ELNS1_11target_archE4294967295ELNS1_3gpuE0ELNS1_3repE0EEENS1_30default_config_static_selectorELNS0_4arch9wavefront6targetE1EEEvS12_
		.amdhsa_group_segment_fixed_size 0
		.amdhsa_private_segment_fixed_size 0
		.amdhsa_kernarg_size 176
		.amdhsa_user_sgpr_count 6
		.amdhsa_user_sgpr_private_segment_buffer 1
		.amdhsa_user_sgpr_dispatch_ptr 0
		.amdhsa_user_sgpr_queue_ptr 0
		.amdhsa_user_sgpr_kernarg_segment_ptr 1
		.amdhsa_user_sgpr_dispatch_id 0
		.amdhsa_user_sgpr_flat_scratch_init 0
		.amdhsa_user_sgpr_private_segment_size 0
		.amdhsa_uses_dynamic_stack 0
		.amdhsa_system_sgpr_private_segment_wavefront_offset 0
		.amdhsa_system_sgpr_workgroup_id_x 1
		.amdhsa_system_sgpr_workgroup_id_y 0
		.amdhsa_system_sgpr_workgroup_id_z 0
		.amdhsa_system_sgpr_workgroup_info 0
		.amdhsa_system_vgpr_workitem_id 0
		.amdhsa_next_free_vgpr 1
		.amdhsa_next_free_sgpr 0
		.amdhsa_reserve_vcc 0
		.amdhsa_reserve_flat_scratch 0
		.amdhsa_float_round_mode_32 0
		.amdhsa_float_round_mode_16_64 0
		.amdhsa_float_denorm_mode_32 3
		.amdhsa_float_denorm_mode_16_64 3
		.amdhsa_dx10_clamp 1
		.amdhsa_ieee_mode 1
		.amdhsa_fp16_overflow 0
		.amdhsa_exception_fp_ieee_invalid_op 0
		.amdhsa_exception_fp_denorm_src 0
		.amdhsa_exception_fp_ieee_div_zero 0
		.amdhsa_exception_fp_ieee_overflow 0
		.amdhsa_exception_fp_ieee_underflow 0
		.amdhsa_exception_fp_ieee_inexact 0
		.amdhsa_exception_int_div_zero 0
	.end_amdhsa_kernel
	.section	.text._ZN7rocprim17ROCPRIM_400000_NS6detail17trampoline_kernelINS0_13select_configILj256ELj13ELNS0_17block_load_methodE3ELS4_3ELS4_3ELNS0_20block_scan_algorithmE0ELj4294967295EEENS1_25partition_config_selectorILNS1_17partition_subalgoE4EjNS0_10empty_typeEbEEZZNS1_14partition_implILS8_4ELb0ES6_15HIP_vector_typeIjLj2EENS0_17counting_iteratorIjlEEPS9_SG_NS0_5tupleIJPjSI_NS0_16reverse_iteratorISI_EEEEENSH_IJSG_SG_SG_EEES9_SI_JZNS1_25segmented_radix_sort_implINS0_14default_configELb0EPKaPaPKlPlN2at6native12_GLOBAL__N_18offset_tEEE10hipError_tPvRmT1_PNSt15iterator_traitsIS12_E10value_typeET2_T3_PNS13_IS18_E10value_typeET4_jRbjT5_S1E_jjP12ihipStream_tbEUljE_ZNSN_ISO_Lb0ESQ_SR_ST_SU_SY_EESZ_S10_S11_S12_S16_S17_S18_S1B_S1C_jS1D_jS1E_S1E_jjS1G_bEUljE0_EEESZ_S10_S11_S18_S1C_S1E_T6_T7_T9_mT8_S1G_bDpT10_ENKUlT_T0_E_clISt17integral_constantIbLb1EES1T_IbLb0EEEEDaS1P_S1Q_EUlS1P_E_NS1_11comp_targetILNS1_3genE0ELNS1_11target_archE4294967295ELNS1_3gpuE0ELNS1_3repE0EEENS1_30default_config_static_selectorELNS0_4arch9wavefront6targetE1EEEvS12_,"axG",@progbits,_ZN7rocprim17ROCPRIM_400000_NS6detail17trampoline_kernelINS0_13select_configILj256ELj13ELNS0_17block_load_methodE3ELS4_3ELS4_3ELNS0_20block_scan_algorithmE0ELj4294967295EEENS1_25partition_config_selectorILNS1_17partition_subalgoE4EjNS0_10empty_typeEbEEZZNS1_14partition_implILS8_4ELb0ES6_15HIP_vector_typeIjLj2EENS0_17counting_iteratorIjlEEPS9_SG_NS0_5tupleIJPjSI_NS0_16reverse_iteratorISI_EEEEENSH_IJSG_SG_SG_EEES9_SI_JZNS1_25segmented_radix_sort_implINS0_14default_configELb0EPKaPaPKlPlN2at6native12_GLOBAL__N_18offset_tEEE10hipError_tPvRmT1_PNSt15iterator_traitsIS12_E10value_typeET2_T3_PNS13_IS18_E10value_typeET4_jRbjT5_S1E_jjP12ihipStream_tbEUljE_ZNSN_ISO_Lb0ESQ_SR_ST_SU_SY_EESZ_S10_S11_S12_S16_S17_S18_S1B_S1C_jS1D_jS1E_S1E_jjS1G_bEUljE0_EEESZ_S10_S11_S18_S1C_S1E_T6_T7_T9_mT8_S1G_bDpT10_ENKUlT_T0_E_clISt17integral_constantIbLb1EES1T_IbLb0EEEEDaS1P_S1Q_EUlS1P_E_NS1_11comp_targetILNS1_3genE0ELNS1_11target_archE4294967295ELNS1_3gpuE0ELNS1_3repE0EEENS1_30default_config_static_selectorELNS0_4arch9wavefront6targetE1EEEvS12_,comdat
.Lfunc_end345:
	.size	_ZN7rocprim17ROCPRIM_400000_NS6detail17trampoline_kernelINS0_13select_configILj256ELj13ELNS0_17block_load_methodE3ELS4_3ELS4_3ELNS0_20block_scan_algorithmE0ELj4294967295EEENS1_25partition_config_selectorILNS1_17partition_subalgoE4EjNS0_10empty_typeEbEEZZNS1_14partition_implILS8_4ELb0ES6_15HIP_vector_typeIjLj2EENS0_17counting_iteratorIjlEEPS9_SG_NS0_5tupleIJPjSI_NS0_16reverse_iteratorISI_EEEEENSH_IJSG_SG_SG_EEES9_SI_JZNS1_25segmented_radix_sort_implINS0_14default_configELb0EPKaPaPKlPlN2at6native12_GLOBAL__N_18offset_tEEE10hipError_tPvRmT1_PNSt15iterator_traitsIS12_E10value_typeET2_T3_PNS13_IS18_E10value_typeET4_jRbjT5_S1E_jjP12ihipStream_tbEUljE_ZNSN_ISO_Lb0ESQ_SR_ST_SU_SY_EESZ_S10_S11_S12_S16_S17_S18_S1B_S1C_jS1D_jS1E_S1E_jjS1G_bEUljE0_EEESZ_S10_S11_S18_S1C_S1E_T6_T7_T9_mT8_S1G_bDpT10_ENKUlT_T0_E_clISt17integral_constantIbLb1EES1T_IbLb0EEEEDaS1P_S1Q_EUlS1P_E_NS1_11comp_targetILNS1_3genE0ELNS1_11target_archE4294967295ELNS1_3gpuE0ELNS1_3repE0EEENS1_30default_config_static_selectorELNS0_4arch9wavefront6targetE1EEEvS12_, .Lfunc_end345-_ZN7rocprim17ROCPRIM_400000_NS6detail17trampoline_kernelINS0_13select_configILj256ELj13ELNS0_17block_load_methodE3ELS4_3ELS4_3ELNS0_20block_scan_algorithmE0ELj4294967295EEENS1_25partition_config_selectorILNS1_17partition_subalgoE4EjNS0_10empty_typeEbEEZZNS1_14partition_implILS8_4ELb0ES6_15HIP_vector_typeIjLj2EENS0_17counting_iteratorIjlEEPS9_SG_NS0_5tupleIJPjSI_NS0_16reverse_iteratorISI_EEEEENSH_IJSG_SG_SG_EEES9_SI_JZNS1_25segmented_radix_sort_implINS0_14default_configELb0EPKaPaPKlPlN2at6native12_GLOBAL__N_18offset_tEEE10hipError_tPvRmT1_PNSt15iterator_traitsIS12_E10value_typeET2_T3_PNS13_IS18_E10value_typeET4_jRbjT5_S1E_jjP12ihipStream_tbEUljE_ZNSN_ISO_Lb0ESQ_SR_ST_SU_SY_EESZ_S10_S11_S12_S16_S17_S18_S1B_S1C_jS1D_jS1E_S1E_jjS1G_bEUljE0_EEESZ_S10_S11_S18_S1C_S1E_T6_T7_T9_mT8_S1G_bDpT10_ENKUlT_T0_E_clISt17integral_constantIbLb1EES1T_IbLb0EEEEDaS1P_S1Q_EUlS1P_E_NS1_11comp_targetILNS1_3genE0ELNS1_11target_archE4294967295ELNS1_3gpuE0ELNS1_3repE0EEENS1_30default_config_static_selectorELNS0_4arch9wavefront6targetE1EEEvS12_
                                        ; -- End function
	.set _ZN7rocprim17ROCPRIM_400000_NS6detail17trampoline_kernelINS0_13select_configILj256ELj13ELNS0_17block_load_methodE3ELS4_3ELS4_3ELNS0_20block_scan_algorithmE0ELj4294967295EEENS1_25partition_config_selectorILNS1_17partition_subalgoE4EjNS0_10empty_typeEbEEZZNS1_14partition_implILS8_4ELb0ES6_15HIP_vector_typeIjLj2EENS0_17counting_iteratorIjlEEPS9_SG_NS0_5tupleIJPjSI_NS0_16reverse_iteratorISI_EEEEENSH_IJSG_SG_SG_EEES9_SI_JZNS1_25segmented_radix_sort_implINS0_14default_configELb0EPKaPaPKlPlN2at6native12_GLOBAL__N_18offset_tEEE10hipError_tPvRmT1_PNSt15iterator_traitsIS12_E10value_typeET2_T3_PNS13_IS18_E10value_typeET4_jRbjT5_S1E_jjP12ihipStream_tbEUljE_ZNSN_ISO_Lb0ESQ_SR_ST_SU_SY_EESZ_S10_S11_S12_S16_S17_S18_S1B_S1C_jS1D_jS1E_S1E_jjS1G_bEUljE0_EEESZ_S10_S11_S18_S1C_S1E_T6_T7_T9_mT8_S1G_bDpT10_ENKUlT_T0_E_clISt17integral_constantIbLb1EES1T_IbLb0EEEEDaS1P_S1Q_EUlS1P_E_NS1_11comp_targetILNS1_3genE0ELNS1_11target_archE4294967295ELNS1_3gpuE0ELNS1_3repE0EEENS1_30default_config_static_selectorELNS0_4arch9wavefront6targetE1EEEvS12_.num_vgpr, 0
	.set _ZN7rocprim17ROCPRIM_400000_NS6detail17trampoline_kernelINS0_13select_configILj256ELj13ELNS0_17block_load_methodE3ELS4_3ELS4_3ELNS0_20block_scan_algorithmE0ELj4294967295EEENS1_25partition_config_selectorILNS1_17partition_subalgoE4EjNS0_10empty_typeEbEEZZNS1_14partition_implILS8_4ELb0ES6_15HIP_vector_typeIjLj2EENS0_17counting_iteratorIjlEEPS9_SG_NS0_5tupleIJPjSI_NS0_16reverse_iteratorISI_EEEEENSH_IJSG_SG_SG_EEES9_SI_JZNS1_25segmented_radix_sort_implINS0_14default_configELb0EPKaPaPKlPlN2at6native12_GLOBAL__N_18offset_tEEE10hipError_tPvRmT1_PNSt15iterator_traitsIS12_E10value_typeET2_T3_PNS13_IS18_E10value_typeET4_jRbjT5_S1E_jjP12ihipStream_tbEUljE_ZNSN_ISO_Lb0ESQ_SR_ST_SU_SY_EESZ_S10_S11_S12_S16_S17_S18_S1B_S1C_jS1D_jS1E_S1E_jjS1G_bEUljE0_EEESZ_S10_S11_S18_S1C_S1E_T6_T7_T9_mT8_S1G_bDpT10_ENKUlT_T0_E_clISt17integral_constantIbLb1EES1T_IbLb0EEEEDaS1P_S1Q_EUlS1P_E_NS1_11comp_targetILNS1_3genE0ELNS1_11target_archE4294967295ELNS1_3gpuE0ELNS1_3repE0EEENS1_30default_config_static_selectorELNS0_4arch9wavefront6targetE1EEEvS12_.num_agpr, 0
	.set _ZN7rocprim17ROCPRIM_400000_NS6detail17trampoline_kernelINS0_13select_configILj256ELj13ELNS0_17block_load_methodE3ELS4_3ELS4_3ELNS0_20block_scan_algorithmE0ELj4294967295EEENS1_25partition_config_selectorILNS1_17partition_subalgoE4EjNS0_10empty_typeEbEEZZNS1_14partition_implILS8_4ELb0ES6_15HIP_vector_typeIjLj2EENS0_17counting_iteratorIjlEEPS9_SG_NS0_5tupleIJPjSI_NS0_16reverse_iteratorISI_EEEEENSH_IJSG_SG_SG_EEES9_SI_JZNS1_25segmented_radix_sort_implINS0_14default_configELb0EPKaPaPKlPlN2at6native12_GLOBAL__N_18offset_tEEE10hipError_tPvRmT1_PNSt15iterator_traitsIS12_E10value_typeET2_T3_PNS13_IS18_E10value_typeET4_jRbjT5_S1E_jjP12ihipStream_tbEUljE_ZNSN_ISO_Lb0ESQ_SR_ST_SU_SY_EESZ_S10_S11_S12_S16_S17_S18_S1B_S1C_jS1D_jS1E_S1E_jjS1G_bEUljE0_EEESZ_S10_S11_S18_S1C_S1E_T6_T7_T9_mT8_S1G_bDpT10_ENKUlT_T0_E_clISt17integral_constantIbLb1EES1T_IbLb0EEEEDaS1P_S1Q_EUlS1P_E_NS1_11comp_targetILNS1_3genE0ELNS1_11target_archE4294967295ELNS1_3gpuE0ELNS1_3repE0EEENS1_30default_config_static_selectorELNS0_4arch9wavefront6targetE1EEEvS12_.numbered_sgpr, 0
	.set _ZN7rocprim17ROCPRIM_400000_NS6detail17trampoline_kernelINS0_13select_configILj256ELj13ELNS0_17block_load_methodE3ELS4_3ELS4_3ELNS0_20block_scan_algorithmE0ELj4294967295EEENS1_25partition_config_selectorILNS1_17partition_subalgoE4EjNS0_10empty_typeEbEEZZNS1_14partition_implILS8_4ELb0ES6_15HIP_vector_typeIjLj2EENS0_17counting_iteratorIjlEEPS9_SG_NS0_5tupleIJPjSI_NS0_16reverse_iteratorISI_EEEEENSH_IJSG_SG_SG_EEES9_SI_JZNS1_25segmented_radix_sort_implINS0_14default_configELb0EPKaPaPKlPlN2at6native12_GLOBAL__N_18offset_tEEE10hipError_tPvRmT1_PNSt15iterator_traitsIS12_E10value_typeET2_T3_PNS13_IS18_E10value_typeET4_jRbjT5_S1E_jjP12ihipStream_tbEUljE_ZNSN_ISO_Lb0ESQ_SR_ST_SU_SY_EESZ_S10_S11_S12_S16_S17_S18_S1B_S1C_jS1D_jS1E_S1E_jjS1G_bEUljE0_EEESZ_S10_S11_S18_S1C_S1E_T6_T7_T9_mT8_S1G_bDpT10_ENKUlT_T0_E_clISt17integral_constantIbLb1EES1T_IbLb0EEEEDaS1P_S1Q_EUlS1P_E_NS1_11comp_targetILNS1_3genE0ELNS1_11target_archE4294967295ELNS1_3gpuE0ELNS1_3repE0EEENS1_30default_config_static_selectorELNS0_4arch9wavefront6targetE1EEEvS12_.num_named_barrier, 0
	.set _ZN7rocprim17ROCPRIM_400000_NS6detail17trampoline_kernelINS0_13select_configILj256ELj13ELNS0_17block_load_methodE3ELS4_3ELS4_3ELNS0_20block_scan_algorithmE0ELj4294967295EEENS1_25partition_config_selectorILNS1_17partition_subalgoE4EjNS0_10empty_typeEbEEZZNS1_14partition_implILS8_4ELb0ES6_15HIP_vector_typeIjLj2EENS0_17counting_iteratorIjlEEPS9_SG_NS0_5tupleIJPjSI_NS0_16reverse_iteratorISI_EEEEENSH_IJSG_SG_SG_EEES9_SI_JZNS1_25segmented_radix_sort_implINS0_14default_configELb0EPKaPaPKlPlN2at6native12_GLOBAL__N_18offset_tEEE10hipError_tPvRmT1_PNSt15iterator_traitsIS12_E10value_typeET2_T3_PNS13_IS18_E10value_typeET4_jRbjT5_S1E_jjP12ihipStream_tbEUljE_ZNSN_ISO_Lb0ESQ_SR_ST_SU_SY_EESZ_S10_S11_S12_S16_S17_S18_S1B_S1C_jS1D_jS1E_S1E_jjS1G_bEUljE0_EEESZ_S10_S11_S18_S1C_S1E_T6_T7_T9_mT8_S1G_bDpT10_ENKUlT_T0_E_clISt17integral_constantIbLb1EES1T_IbLb0EEEEDaS1P_S1Q_EUlS1P_E_NS1_11comp_targetILNS1_3genE0ELNS1_11target_archE4294967295ELNS1_3gpuE0ELNS1_3repE0EEENS1_30default_config_static_selectorELNS0_4arch9wavefront6targetE1EEEvS12_.private_seg_size, 0
	.set _ZN7rocprim17ROCPRIM_400000_NS6detail17trampoline_kernelINS0_13select_configILj256ELj13ELNS0_17block_load_methodE3ELS4_3ELS4_3ELNS0_20block_scan_algorithmE0ELj4294967295EEENS1_25partition_config_selectorILNS1_17partition_subalgoE4EjNS0_10empty_typeEbEEZZNS1_14partition_implILS8_4ELb0ES6_15HIP_vector_typeIjLj2EENS0_17counting_iteratorIjlEEPS9_SG_NS0_5tupleIJPjSI_NS0_16reverse_iteratorISI_EEEEENSH_IJSG_SG_SG_EEES9_SI_JZNS1_25segmented_radix_sort_implINS0_14default_configELb0EPKaPaPKlPlN2at6native12_GLOBAL__N_18offset_tEEE10hipError_tPvRmT1_PNSt15iterator_traitsIS12_E10value_typeET2_T3_PNS13_IS18_E10value_typeET4_jRbjT5_S1E_jjP12ihipStream_tbEUljE_ZNSN_ISO_Lb0ESQ_SR_ST_SU_SY_EESZ_S10_S11_S12_S16_S17_S18_S1B_S1C_jS1D_jS1E_S1E_jjS1G_bEUljE0_EEESZ_S10_S11_S18_S1C_S1E_T6_T7_T9_mT8_S1G_bDpT10_ENKUlT_T0_E_clISt17integral_constantIbLb1EES1T_IbLb0EEEEDaS1P_S1Q_EUlS1P_E_NS1_11comp_targetILNS1_3genE0ELNS1_11target_archE4294967295ELNS1_3gpuE0ELNS1_3repE0EEENS1_30default_config_static_selectorELNS0_4arch9wavefront6targetE1EEEvS12_.uses_vcc, 0
	.set _ZN7rocprim17ROCPRIM_400000_NS6detail17trampoline_kernelINS0_13select_configILj256ELj13ELNS0_17block_load_methodE3ELS4_3ELS4_3ELNS0_20block_scan_algorithmE0ELj4294967295EEENS1_25partition_config_selectorILNS1_17partition_subalgoE4EjNS0_10empty_typeEbEEZZNS1_14partition_implILS8_4ELb0ES6_15HIP_vector_typeIjLj2EENS0_17counting_iteratorIjlEEPS9_SG_NS0_5tupleIJPjSI_NS0_16reverse_iteratorISI_EEEEENSH_IJSG_SG_SG_EEES9_SI_JZNS1_25segmented_radix_sort_implINS0_14default_configELb0EPKaPaPKlPlN2at6native12_GLOBAL__N_18offset_tEEE10hipError_tPvRmT1_PNSt15iterator_traitsIS12_E10value_typeET2_T3_PNS13_IS18_E10value_typeET4_jRbjT5_S1E_jjP12ihipStream_tbEUljE_ZNSN_ISO_Lb0ESQ_SR_ST_SU_SY_EESZ_S10_S11_S12_S16_S17_S18_S1B_S1C_jS1D_jS1E_S1E_jjS1G_bEUljE0_EEESZ_S10_S11_S18_S1C_S1E_T6_T7_T9_mT8_S1G_bDpT10_ENKUlT_T0_E_clISt17integral_constantIbLb1EES1T_IbLb0EEEEDaS1P_S1Q_EUlS1P_E_NS1_11comp_targetILNS1_3genE0ELNS1_11target_archE4294967295ELNS1_3gpuE0ELNS1_3repE0EEENS1_30default_config_static_selectorELNS0_4arch9wavefront6targetE1EEEvS12_.uses_flat_scratch, 0
	.set _ZN7rocprim17ROCPRIM_400000_NS6detail17trampoline_kernelINS0_13select_configILj256ELj13ELNS0_17block_load_methodE3ELS4_3ELS4_3ELNS0_20block_scan_algorithmE0ELj4294967295EEENS1_25partition_config_selectorILNS1_17partition_subalgoE4EjNS0_10empty_typeEbEEZZNS1_14partition_implILS8_4ELb0ES6_15HIP_vector_typeIjLj2EENS0_17counting_iteratorIjlEEPS9_SG_NS0_5tupleIJPjSI_NS0_16reverse_iteratorISI_EEEEENSH_IJSG_SG_SG_EEES9_SI_JZNS1_25segmented_radix_sort_implINS0_14default_configELb0EPKaPaPKlPlN2at6native12_GLOBAL__N_18offset_tEEE10hipError_tPvRmT1_PNSt15iterator_traitsIS12_E10value_typeET2_T3_PNS13_IS18_E10value_typeET4_jRbjT5_S1E_jjP12ihipStream_tbEUljE_ZNSN_ISO_Lb0ESQ_SR_ST_SU_SY_EESZ_S10_S11_S12_S16_S17_S18_S1B_S1C_jS1D_jS1E_S1E_jjS1G_bEUljE0_EEESZ_S10_S11_S18_S1C_S1E_T6_T7_T9_mT8_S1G_bDpT10_ENKUlT_T0_E_clISt17integral_constantIbLb1EES1T_IbLb0EEEEDaS1P_S1Q_EUlS1P_E_NS1_11comp_targetILNS1_3genE0ELNS1_11target_archE4294967295ELNS1_3gpuE0ELNS1_3repE0EEENS1_30default_config_static_selectorELNS0_4arch9wavefront6targetE1EEEvS12_.has_dyn_sized_stack, 0
	.set _ZN7rocprim17ROCPRIM_400000_NS6detail17trampoline_kernelINS0_13select_configILj256ELj13ELNS0_17block_load_methodE3ELS4_3ELS4_3ELNS0_20block_scan_algorithmE0ELj4294967295EEENS1_25partition_config_selectorILNS1_17partition_subalgoE4EjNS0_10empty_typeEbEEZZNS1_14partition_implILS8_4ELb0ES6_15HIP_vector_typeIjLj2EENS0_17counting_iteratorIjlEEPS9_SG_NS0_5tupleIJPjSI_NS0_16reverse_iteratorISI_EEEEENSH_IJSG_SG_SG_EEES9_SI_JZNS1_25segmented_radix_sort_implINS0_14default_configELb0EPKaPaPKlPlN2at6native12_GLOBAL__N_18offset_tEEE10hipError_tPvRmT1_PNSt15iterator_traitsIS12_E10value_typeET2_T3_PNS13_IS18_E10value_typeET4_jRbjT5_S1E_jjP12ihipStream_tbEUljE_ZNSN_ISO_Lb0ESQ_SR_ST_SU_SY_EESZ_S10_S11_S12_S16_S17_S18_S1B_S1C_jS1D_jS1E_S1E_jjS1G_bEUljE0_EEESZ_S10_S11_S18_S1C_S1E_T6_T7_T9_mT8_S1G_bDpT10_ENKUlT_T0_E_clISt17integral_constantIbLb1EES1T_IbLb0EEEEDaS1P_S1Q_EUlS1P_E_NS1_11comp_targetILNS1_3genE0ELNS1_11target_archE4294967295ELNS1_3gpuE0ELNS1_3repE0EEENS1_30default_config_static_selectorELNS0_4arch9wavefront6targetE1EEEvS12_.has_recursion, 0
	.set _ZN7rocprim17ROCPRIM_400000_NS6detail17trampoline_kernelINS0_13select_configILj256ELj13ELNS0_17block_load_methodE3ELS4_3ELS4_3ELNS0_20block_scan_algorithmE0ELj4294967295EEENS1_25partition_config_selectorILNS1_17partition_subalgoE4EjNS0_10empty_typeEbEEZZNS1_14partition_implILS8_4ELb0ES6_15HIP_vector_typeIjLj2EENS0_17counting_iteratorIjlEEPS9_SG_NS0_5tupleIJPjSI_NS0_16reverse_iteratorISI_EEEEENSH_IJSG_SG_SG_EEES9_SI_JZNS1_25segmented_radix_sort_implINS0_14default_configELb0EPKaPaPKlPlN2at6native12_GLOBAL__N_18offset_tEEE10hipError_tPvRmT1_PNSt15iterator_traitsIS12_E10value_typeET2_T3_PNS13_IS18_E10value_typeET4_jRbjT5_S1E_jjP12ihipStream_tbEUljE_ZNSN_ISO_Lb0ESQ_SR_ST_SU_SY_EESZ_S10_S11_S12_S16_S17_S18_S1B_S1C_jS1D_jS1E_S1E_jjS1G_bEUljE0_EEESZ_S10_S11_S18_S1C_S1E_T6_T7_T9_mT8_S1G_bDpT10_ENKUlT_T0_E_clISt17integral_constantIbLb1EES1T_IbLb0EEEEDaS1P_S1Q_EUlS1P_E_NS1_11comp_targetILNS1_3genE0ELNS1_11target_archE4294967295ELNS1_3gpuE0ELNS1_3repE0EEENS1_30default_config_static_selectorELNS0_4arch9wavefront6targetE1EEEvS12_.has_indirect_call, 0
	.section	.AMDGPU.csdata,"",@progbits
; Kernel info:
; codeLenInByte = 0
; TotalNumSgprs: 4
; NumVgprs: 0
; ScratchSize: 0
; MemoryBound: 0
; FloatMode: 240
; IeeeMode: 1
; LDSByteSize: 0 bytes/workgroup (compile time only)
; SGPRBlocks: 0
; VGPRBlocks: 0
; NumSGPRsForWavesPerEU: 4
; NumVGPRsForWavesPerEU: 1
; Occupancy: 10
; WaveLimiterHint : 0
; COMPUTE_PGM_RSRC2:SCRATCH_EN: 0
; COMPUTE_PGM_RSRC2:USER_SGPR: 6
; COMPUTE_PGM_RSRC2:TRAP_HANDLER: 0
; COMPUTE_PGM_RSRC2:TGID_X_EN: 1
; COMPUTE_PGM_RSRC2:TGID_Y_EN: 0
; COMPUTE_PGM_RSRC2:TGID_Z_EN: 0
; COMPUTE_PGM_RSRC2:TIDIG_COMP_CNT: 0
	.section	.text._ZN7rocprim17ROCPRIM_400000_NS6detail17trampoline_kernelINS0_13select_configILj256ELj13ELNS0_17block_load_methodE3ELS4_3ELS4_3ELNS0_20block_scan_algorithmE0ELj4294967295EEENS1_25partition_config_selectorILNS1_17partition_subalgoE4EjNS0_10empty_typeEbEEZZNS1_14partition_implILS8_4ELb0ES6_15HIP_vector_typeIjLj2EENS0_17counting_iteratorIjlEEPS9_SG_NS0_5tupleIJPjSI_NS0_16reverse_iteratorISI_EEEEENSH_IJSG_SG_SG_EEES9_SI_JZNS1_25segmented_radix_sort_implINS0_14default_configELb0EPKaPaPKlPlN2at6native12_GLOBAL__N_18offset_tEEE10hipError_tPvRmT1_PNSt15iterator_traitsIS12_E10value_typeET2_T3_PNS13_IS18_E10value_typeET4_jRbjT5_S1E_jjP12ihipStream_tbEUljE_ZNSN_ISO_Lb0ESQ_SR_ST_SU_SY_EESZ_S10_S11_S12_S16_S17_S18_S1B_S1C_jS1D_jS1E_S1E_jjS1G_bEUljE0_EEESZ_S10_S11_S18_S1C_S1E_T6_T7_T9_mT8_S1G_bDpT10_ENKUlT_T0_E_clISt17integral_constantIbLb1EES1T_IbLb0EEEEDaS1P_S1Q_EUlS1P_E_NS1_11comp_targetILNS1_3genE5ELNS1_11target_archE942ELNS1_3gpuE9ELNS1_3repE0EEENS1_30default_config_static_selectorELNS0_4arch9wavefront6targetE1EEEvS12_,"axG",@progbits,_ZN7rocprim17ROCPRIM_400000_NS6detail17trampoline_kernelINS0_13select_configILj256ELj13ELNS0_17block_load_methodE3ELS4_3ELS4_3ELNS0_20block_scan_algorithmE0ELj4294967295EEENS1_25partition_config_selectorILNS1_17partition_subalgoE4EjNS0_10empty_typeEbEEZZNS1_14partition_implILS8_4ELb0ES6_15HIP_vector_typeIjLj2EENS0_17counting_iteratorIjlEEPS9_SG_NS0_5tupleIJPjSI_NS0_16reverse_iteratorISI_EEEEENSH_IJSG_SG_SG_EEES9_SI_JZNS1_25segmented_radix_sort_implINS0_14default_configELb0EPKaPaPKlPlN2at6native12_GLOBAL__N_18offset_tEEE10hipError_tPvRmT1_PNSt15iterator_traitsIS12_E10value_typeET2_T3_PNS13_IS18_E10value_typeET4_jRbjT5_S1E_jjP12ihipStream_tbEUljE_ZNSN_ISO_Lb0ESQ_SR_ST_SU_SY_EESZ_S10_S11_S12_S16_S17_S18_S1B_S1C_jS1D_jS1E_S1E_jjS1G_bEUljE0_EEESZ_S10_S11_S18_S1C_S1E_T6_T7_T9_mT8_S1G_bDpT10_ENKUlT_T0_E_clISt17integral_constantIbLb1EES1T_IbLb0EEEEDaS1P_S1Q_EUlS1P_E_NS1_11comp_targetILNS1_3genE5ELNS1_11target_archE942ELNS1_3gpuE9ELNS1_3repE0EEENS1_30default_config_static_selectorELNS0_4arch9wavefront6targetE1EEEvS12_,comdat
	.globl	_ZN7rocprim17ROCPRIM_400000_NS6detail17trampoline_kernelINS0_13select_configILj256ELj13ELNS0_17block_load_methodE3ELS4_3ELS4_3ELNS0_20block_scan_algorithmE0ELj4294967295EEENS1_25partition_config_selectorILNS1_17partition_subalgoE4EjNS0_10empty_typeEbEEZZNS1_14partition_implILS8_4ELb0ES6_15HIP_vector_typeIjLj2EENS0_17counting_iteratorIjlEEPS9_SG_NS0_5tupleIJPjSI_NS0_16reverse_iteratorISI_EEEEENSH_IJSG_SG_SG_EEES9_SI_JZNS1_25segmented_radix_sort_implINS0_14default_configELb0EPKaPaPKlPlN2at6native12_GLOBAL__N_18offset_tEEE10hipError_tPvRmT1_PNSt15iterator_traitsIS12_E10value_typeET2_T3_PNS13_IS18_E10value_typeET4_jRbjT5_S1E_jjP12ihipStream_tbEUljE_ZNSN_ISO_Lb0ESQ_SR_ST_SU_SY_EESZ_S10_S11_S12_S16_S17_S18_S1B_S1C_jS1D_jS1E_S1E_jjS1G_bEUljE0_EEESZ_S10_S11_S18_S1C_S1E_T6_T7_T9_mT8_S1G_bDpT10_ENKUlT_T0_E_clISt17integral_constantIbLb1EES1T_IbLb0EEEEDaS1P_S1Q_EUlS1P_E_NS1_11comp_targetILNS1_3genE5ELNS1_11target_archE942ELNS1_3gpuE9ELNS1_3repE0EEENS1_30default_config_static_selectorELNS0_4arch9wavefront6targetE1EEEvS12_ ; -- Begin function _ZN7rocprim17ROCPRIM_400000_NS6detail17trampoline_kernelINS0_13select_configILj256ELj13ELNS0_17block_load_methodE3ELS4_3ELS4_3ELNS0_20block_scan_algorithmE0ELj4294967295EEENS1_25partition_config_selectorILNS1_17partition_subalgoE4EjNS0_10empty_typeEbEEZZNS1_14partition_implILS8_4ELb0ES6_15HIP_vector_typeIjLj2EENS0_17counting_iteratorIjlEEPS9_SG_NS0_5tupleIJPjSI_NS0_16reverse_iteratorISI_EEEEENSH_IJSG_SG_SG_EEES9_SI_JZNS1_25segmented_radix_sort_implINS0_14default_configELb0EPKaPaPKlPlN2at6native12_GLOBAL__N_18offset_tEEE10hipError_tPvRmT1_PNSt15iterator_traitsIS12_E10value_typeET2_T3_PNS13_IS18_E10value_typeET4_jRbjT5_S1E_jjP12ihipStream_tbEUljE_ZNSN_ISO_Lb0ESQ_SR_ST_SU_SY_EESZ_S10_S11_S12_S16_S17_S18_S1B_S1C_jS1D_jS1E_S1E_jjS1G_bEUljE0_EEESZ_S10_S11_S18_S1C_S1E_T6_T7_T9_mT8_S1G_bDpT10_ENKUlT_T0_E_clISt17integral_constantIbLb1EES1T_IbLb0EEEEDaS1P_S1Q_EUlS1P_E_NS1_11comp_targetILNS1_3genE5ELNS1_11target_archE942ELNS1_3gpuE9ELNS1_3repE0EEENS1_30default_config_static_selectorELNS0_4arch9wavefront6targetE1EEEvS12_
	.p2align	8
	.type	_ZN7rocprim17ROCPRIM_400000_NS6detail17trampoline_kernelINS0_13select_configILj256ELj13ELNS0_17block_load_methodE3ELS4_3ELS4_3ELNS0_20block_scan_algorithmE0ELj4294967295EEENS1_25partition_config_selectorILNS1_17partition_subalgoE4EjNS0_10empty_typeEbEEZZNS1_14partition_implILS8_4ELb0ES6_15HIP_vector_typeIjLj2EENS0_17counting_iteratorIjlEEPS9_SG_NS0_5tupleIJPjSI_NS0_16reverse_iteratorISI_EEEEENSH_IJSG_SG_SG_EEES9_SI_JZNS1_25segmented_radix_sort_implINS0_14default_configELb0EPKaPaPKlPlN2at6native12_GLOBAL__N_18offset_tEEE10hipError_tPvRmT1_PNSt15iterator_traitsIS12_E10value_typeET2_T3_PNS13_IS18_E10value_typeET4_jRbjT5_S1E_jjP12ihipStream_tbEUljE_ZNSN_ISO_Lb0ESQ_SR_ST_SU_SY_EESZ_S10_S11_S12_S16_S17_S18_S1B_S1C_jS1D_jS1E_S1E_jjS1G_bEUljE0_EEESZ_S10_S11_S18_S1C_S1E_T6_T7_T9_mT8_S1G_bDpT10_ENKUlT_T0_E_clISt17integral_constantIbLb1EES1T_IbLb0EEEEDaS1P_S1Q_EUlS1P_E_NS1_11comp_targetILNS1_3genE5ELNS1_11target_archE942ELNS1_3gpuE9ELNS1_3repE0EEENS1_30default_config_static_selectorELNS0_4arch9wavefront6targetE1EEEvS12_,@function
_ZN7rocprim17ROCPRIM_400000_NS6detail17trampoline_kernelINS0_13select_configILj256ELj13ELNS0_17block_load_methodE3ELS4_3ELS4_3ELNS0_20block_scan_algorithmE0ELj4294967295EEENS1_25partition_config_selectorILNS1_17partition_subalgoE4EjNS0_10empty_typeEbEEZZNS1_14partition_implILS8_4ELb0ES6_15HIP_vector_typeIjLj2EENS0_17counting_iteratorIjlEEPS9_SG_NS0_5tupleIJPjSI_NS0_16reverse_iteratorISI_EEEEENSH_IJSG_SG_SG_EEES9_SI_JZNS1_25segmented_radix_sort_implINS0_14default_configELb0EPKaPaPKlPlN2at6native12_GLOBAL__N_18offset_tEEE10hipError_tPvRmT1_PNSt15iterator_traitsIS12_E10value_typeET2_T3_PNS13_IS18_E10value_typeET4_jRbjT5_S1E_jjP12ihipStream_tbEUljE_ZNSN_ISO_Lb0ESQ_SR_ST_SU_SY_EESZ_S10_S11_S12_S16_S17_S18_S1B_S1C_jS1D_jS1E_S1E_jjS1G_bEUljE0_EEESZ_S10_S11_S18_S1C_S1E_T6_T7_T9_mT8_S1G_bDpT10_ENKUlT_T0_E_clISt17integral_constantIbLb1EES1T_IbLb0EEEEDaS1P_S1Q_EUlS1P_E_NS1_11comp_targetILNS1_3genE5ELNS1_11target_archE942ELNS1_3gpuE9ELNS1_3repE0EEENS1_30default_config_static_selectorELNS0_4arch9wavefront6targetE1EEEvS12_: ; @_ZN7rocprim17ROCPRIM_400000_NS6detail17trampoline_kernelINS0_13select_configILj256ELj13ELNS0_17block_load_methodE3ELS4_3ELS4_3ELNS0_20block_scan_algorithmE0ELj4294967295EEENS1_25partition_config_selectorILNS1_17partition_subalgoE4EjNS0_10empty_typeEbEEZZNS1_14partition_implILS8_4ELb0ES6_15HIP_vector_typeIjLj2EENS0_17counting_iteratorIjlEEPS9_SG_NS0_5tupleIJPjSI_NS0_16reverse_iteratorISI_EEEEENSH_IJSG_SG_SG_EEES9_SI_JZNS1_25segmented_radix_sort_implINS0_14default_configELb0EPKaPaPKlPlN2at6native12_GLOBAL__N_18offset_tEEE10hipError_tPvRmT1_PNSt15iterator_traitsIS12_E10value_typeET2_T3_PNS13_IS18_E10value_typeET4_jRbjT5_S1E_jjP12ihipStream_tbEUljE_ZNSN_ISO_Lb0ESQ_SR_ST_SU_SY_EESZ_S10_S11_S12_S16_S17_S18_S1B_S1C_jS1D_jS1E_S1E_jjS1G_bEUljE0_EEESZ_S10_S11_S18_S1C_S1E_T6_T7_T9_mT8_S1G_bDpT10_ENKUlT_T0_E_clISt17integral_constantIbLb1EES1T_IbLb0EEEEDaS1P_S1Q_EUlS1P_E_NS1_11comp_targetILNS1_3genE5ELNS1_11target_archE942ELNS1_3gpuE9ELNS1_3repE0EEENS1_30default_config_static_selectorELNS0_4arch9wavefront6targetE1EEEvS12_
; %bb.0:
	.section	.rodata,"a",@progbits
	.p2align	6, 0x0
	.amdhsa_kernel _ZN7rocprim17ROCPRIM_400000_NS6detail17trampoline_kernelINS0_13select_configILj256ELj13ELNS0_17block_load_methodE3ELS4_3ELS4_3ELNS0_20block_scan_algorithmE0ELj4294967295EEENS1_25partition_config_selectorILNS1_17partition_subalgoE4EjNS0_10empty_typeEbEEZZNS1_14partition_implILS8_4ELb0ES6_15HIP_vector_typeIjLj2EENS0_17counting_iteratorIjlEEPS9_SG_NS0_5tupleIJPjSI_NS0_16reverse_iteratorISI_EEEEENSH_IJSG_SG_SG_EEES9_SI_JZNS1_25segmented_radix_sort_implINS0_14default_configELb0EPKaPaPKlPlN2at6native12_GLOBAL__N_18offset_tEEE10hipError_tPvRmT1_PNSt15iterator_traitsIS12_E10value_typeET2_T3_PNS13_IS18_E10value_typeET4_jRbjT5_S1E_jjP12ihipStream_tbEUljE_ZNSN_ISO_Lb0ESQ_SR_ST_SU_SY_EESZ_S10_S11_S12_S16_S17_S18_S1B_S1C_jS1D_jS1E_S1E_jjS1G_bEUljE0_EEESZ_S10_S11_S18_S1C_S1E_T6_T7_T9_mT8_S1G_bDpT10_ENKUlT_T0_E_clISt17integral_constantIbLb1EES1T_IbLb0EEEEDaS1P_S1Q_EUlS1P_E_NS1_11comp_targetILNS1_3genE5ELNS1_11target_archE942ELNS1_3gpuE9ELNS1_3repE0EEENS1_30default_config_static_selectorELNS0_4arch9wavefront6targetE1EEEvS12_
		.amdhsa_group_segment_fixed_size 0
		.amdhsa_private_segment_fixed_size 0
		.amdhsa_kernarg_size 176
		.amdhsa_user_sgpr_count 6
		.amdhsa_user_sgpr_private_segment_buffer 1
		.amdhsa_user_sgpr_dispatch_ptr 0
		.amdhsa_user_sgpr_queue_ptr 0
		.amdhsa_user_sgpr_kernarg_segment_ptr 1
		.amdhsa_user_sgpr_dispatch_id 0
		.amdhsa_user_sgpr_flat_scratch_init 0
		.amdhsa_user_sgpr_private_segment_size 0
		.amdhsa_uses_dynamic_stack 0
		.amdhsa_system_sgpr_private_segment_wavefront_offset 0
		.amdhsa_system_sgpr_workgroup_id_x 1
		.amdhsa_system_sgpr_workgroup_id_y 0
		.amdhsa_system_sgpr_workgroup_id_z 0
		.amdhsa_system_sgpr_workgroup_info 0
		.amdhsa_system_vgpr_workitem_id 0
		.amdhsa_next_free_vgpr 1
		.amdhsa_next_free_sgpr 0
		.amdhsa_reserve_vcc 0
		.amdhsa_reserve_flat_scratch 0
		.amdhsa_float_round_mode_32 0
		.amdhsa_float_round_mode_16_64 0
		.amdhsa_float_denorm_mode_32 3
		.amdhsa_float_denorm_mode_16_64 3
		.amdhsa_dx10_clamp 1
		.amdhsa_ieee_mode 1
		.amdhsa_fp16_overflow 0
		.amdhsa_exception_fp_ieee_invalid_op 0
		.amdhsa_exception_fp_denorm_src 0
		.amdhsa_exception_fp_ieee_div_zero 0
		.amdhsa_exception_fp_ieee_overflow 0
		.amdhsa_exception_fp_ieee_underflow 0
		.amdhsa_exception_fp_ieee_inexact 0
		.amdhsa_exception_int_div_zero 0
	.end_amdhsa_kernel
	.section	.text._ZN7rocprim17ROCPRIM_400000_NS6detail17trampoline_kernelINS0_13select_configILj256ELj13ELNS0_17block_load_methodE3ELS4_3ELS4_3ELNS0_20block_scan_algorithmE0ELj4294967295EEENS1_25partition_config_selectorILNS1_17partition_subalgoE4EjNS0_10empty_typeEbEEZZNS1_14partition_implILS8_4ELb0ES6_15HIP_vector_typeIjLj2EENS0_17counting_iteratorIjlEEPS9_SG_NS0_5tupleIJPjSI_NS0_16reverse_iteratorISI_EEEEENSH_IJSG_SG_SG_EEES9_SI_JZNS1_25segmented_radix_sort_implINS0_14default_configELb0EPKaPaPKlPlN2at6native12_GLOBAL__N_18offset_tEEE10hipError_tPvRmT1_PNSt15iterator_traitsIS12_E10value_typeET2_T3_PNS13_IS18_E10value_typeET4_jRbjT5_S1E_jjP12ihipStream_tbEUljE_ZNSN_ISO_Lb0ESQ_SR_ST_SU_SY_EESZ_S10_S11_S12_S16_S17_S18_S1B_S1C_jS1D_jS1E_S1E_jjS1G_bEUljE0_EEESZ_S10_S11_S18_S1C_S1E_T6_T7_T9_mT8_S1G_bDpT10_ENKUlT_T0_E_clISt17integral_constantIbLb1EES1T_IbLb0EEEEDaS1P_S1Q_EUlS1P_E_NS1_11comp_targetILNS1_3genE5ELNS1_11target_archE942ELNS1_3gpuE9ELNS1_3repE0EEENS1_30default_config_static_selectorELNS0_4arch9wavefront6targetE1EEEvS12_,"axG",@progbits,_ZN7rocprim17ROCPRIM_400000_NS6detail17trampoline_kernelINS0_13select_configILj256ELj13ELNS0_17block_load_methodE3ELS4_3ELS4_3ELNS0_20block_scan_algorithmE0ELj4294967295EEENS1_25partition_config_selectorILNS1_17partition_subalgoE4EjNS0_10empty_typeEbEEZZNS1_14partition_implILS8_4ELb0ES6_15HIP_vector_typeIjLj2EENS0_17counting_iteratorIjlEEPS9_SG_NS0_5tupleIJPjSI_NS0_16reverse_iteratorISI_EEEEENSH_IJSG_SG_SG_EEES9_SI_JZNS1_25segmented_radix_sort_implINS0_14default_configELb0EPKaPaPKlPlN2at6native12_GLOBAL__N_18offset_tEEE10hipError_tPvRmT1_PNSt15iterator_traitsIS12_E10value_typeET2_T3_PNS13_IS18_E10value_typeET4_jRbjT5_S1E_jjP12ihipStream_tbEUljE_ZNSN_ISO_Lb0ESQ_SR_ST_SU_SY_EESZ_S10_S11_S12_S16_S17_S18_S1B_S1C_jS1D_jS1E_S1E_jjS1G_bEUljE0_EEESZ_S10_S11_S18_S1C_S1E_T6_T7_T9_mT8_S1G_bDpT10_ENKUlT_T0_E_clISt17integral_constantIbLb1EES1T_IbLb0EEEEDaS1P_S1Q_EUlS1P_E_NS1_11comp_targetILNS1_3genE5ELNS1_11target_archE942ELNS1_3gpuE9ELNS1_3repE0EEENS1_30default_config_static_selectorELNS0_4arch9wavefront6targetE1EEEvS12_,comdat
.Lfunc_end346:
	.size	_ZN7rocprim17ROCPRIM_400000_NS6detail17trampoline_kernelINS0_13select_configILj256ELj13ELNS0_17block_load_methodE3ELS4_3ELS4_3ELNS0_20block_scan_algorithmE0ELj4294967295EEENS1_25partition_config_selectorILNS1_17partition_subalgoE4EjNS0_10empty_typeEbEEZZNS1_14partition_implILS8_4ELb0ES6_15HIP_vector_typeIjLj2EENS0_17counting_iteratorIjlEEPS9_SG_NS0_5tupleIJPjSI_NS0_16reverse_iteratorISI_EEEEENSH_IJSG_SG_SG_EEES9_SI_JZNS1_25segmented_radix_sort_implINS0_14default_configELb0EPKaPaPKlPlN2at6native12_GLOBAL__N_18offset_tEEE10hipError_tPvRmT1_PNSt15iterator_traitsIS12_E10value_typeET2_T3_PNS13_IS18_E10value_typeET4_jRbjT5_S1E_jjP12ihipStream_tbEUljE_ZNSN_ISO_Lb0ESQ_SR_ST_SU_SY_EESZ_S10_S11_S12_S16_S17_S18_S1B_S1C_jS1D_jS1E_S1E_jjS1G_bEUljE0_EEESZ_S10_S11_S18_S1C_S1E_T6_T7_T9_mT8_S1G_bDpT10_ENKUlT_T0_E_clISt17integral_constantIbLb1EES1T_IbLb0EEEEDaS1P_S1Q_EUlS1P_E_NS1_11comp_targetILNS1_3genE5ELNS1_11target_archE942ELNS1_3gpuE9ELNS1_3repE0EEENS1_30default_config_static_selectorELNS0_4arch9wavefront6targetE1EEEvS12_, .Lfunc_end346-_ZN7rocprim17ROCPRIM_400000_NS6detail17trampoline_kernelINS0_13select_configILj256ELj13ELNS0_17block_load_methodE3ELS4_3ELS4_3ELNS0_20block_scan_algorithmE0ELj4294967295EEENS1_25partition_config_selectorILNS1_17partition_subalgoE4EjNS0_10empty_typeEbEEZZNS1_14partition_implILS8_4ELb0ES6_15HIP_vector_typeIjLj2EENS0_17counting_iteratorIjlEEPS9_SG_NS0_5tupleIJPjSI_NS0_16reverse_iteratorISI_EEEEENSH_IJSG_SG_SG_EEES9_SI_JZNS1_25segmented_radix_sort_implINS0_14default_configELb0EPKaPaPKlPlN2at6native12_GLOBAL__N_18offset_tEEE10hipError_tPvRmT1_PNSt15iterator_traitsIS12_E10value_typeET2_T3_PNS13_IS18_E10value_typeET4_jRbjT5_S1E_jjP12ihipStream_tbEUljE_ZNSN_ISO_Lb0ESQ_SR_ST_SU_SY_EESZ_S10_S11_S12_S16_S17_S18_S1B_S1C_jS1D_jS1E_S1E_jjS1G_bEUljE0_EEESZ_S10_S11_S18_S1C_S1E_T6_T7_T9_mT8_S1G_bDpT10_ENKUlT_T0_E_clISt17integral_constantIbLb1EES1T_IbLb0EEEEDaS1P_S1Q_EUlS1P_E_NS1_11comp_targetILNS1_3genE5ELNS1_11target_archE942ELNS1_3gpuE9ELNS1_3repE0EEENS1_30default_config_static_selectorELNS0_4arch9wavefront6targetE1EEEvS12_
                                        ; -- End function
	.set _ZN7rocprim17ROCPRIM_400000_NS6detail17trampoline_kernelINS0_13select_configILj256ELj13ELNS0_17block_load_methodE3ELS4_3ELS4_3ELNS0_20block_scan_algorithmE0ELj4294967295EEENS1_25partition_config_selectorILNS1_17partition_subalgoE4EjNS0_10empty_typeEbEEZZNS1_14partition_implILS8_4ELb0ES6_15HIP_vector_typeIjLj2EENS0_17counting_iteratorIjlEEPS9_SG_NS0_5tupleIJPjSI_NS0_16reverse_iteratorISI_EEEEENSH_IJSG_SG_SG_EEES9_SI_JZNS1_25segmented_radix_sort_implINS0_14default_configELb0EPKaPaPKlPlN2at6native12_GLOBAL__N_18offset_tEEE10hipError_tPvRmT1_PNSt15iterator_traitsIS12_E10value_typeET2_T3_PNS13_IS18_E10value_typeET4_jRbjT5_S1E_jjP12ihipStream_tbEUljE_ZNSN_ISO_Lb0ESQ_SR_ST_SU_SY_EESZ_S10_S11_S12_S16_S17_S18_S1B_S1C_jS1D_jS1E_S1E_jjS1G_bEUljE0_EEESZ_S10_S11_S18_S1C_S1E_T6_T7_T9_mT8_S1G_bDpT10_ENKUlT_T0_E_clISt17integral_constantIbLb1EES1T_IbLb0EEEEDaS1P_S1Q_EUlS1P_E_NS1_11comp_targetILNS1_3genE5ELNS1_11target_archE942ELNS1_3gpuE9ELNS1_3repE0EEENS1_30default_config_static_selectorELNS0_4arch9wavefront6targetE1EEEvS12_.num_vgpr, 0
	.set _ZN7rocprim17ROCPRIM_400000_NS6detail17trampoline_kernelINS0_13select_configILj256ELj13ELNS0_17block_load_methodE3ELS4_3ELS4_3ELNS0_20block_scan_algorithmE0ELj4294967295EEENS1_25partition_config_selectorILNS1_17partition_subalgoE4EjNS0_10empty_typeEbEEZZNS1_14partition_implILS8_4ELb0ES6_15HIP_vector_typeIjLj2EENS0_17counting_iteratorIjlEEPS9_SG_NS0_5tupleIJPjSI_NS0_16reverse_iteratorISI_EEEEENSH_IJSG_SG_SG_EEES9_SI_JZNS1_25segmented_radix_sort_implINS0_14default_configELb0EPKaPaPKlPlN2at6native12_GLOBAL__N_18offset_tEEE10hipError_tPvRmT1_PNSt15iterator_traitsIS12_E10value_typeET2_T3_PNS13_IS18_E10value_typeET4_jRbjT5_S1E_jjP12ihipStream_tbEUljE_ZNSN_ISO_Lb0ESQ_SR_ST_SU_SY_EESZ_S10_S11_S12_S16_S17_S18_S1B_S1C_jS1D_jS1E_S1E_jjS1G_bEUljE0_EEESZ_S10_S11_S18_S1C_S1E_T6_T7_T9_mT8_S1G_bDpT10_ENKUlT_T0_E_clISt17integral_constantIbLb1EES1T_IbLb0EEEEDaS1P_S1Q_EUlS1P_E_NS1_11comp_targetILNS1_3genE5ELNS1_11target_archE942ELNS1_3gpuE9ELNS1_3repE0EEENS1_30default_config_static_selectorELNS0_4arch9wavefront6targetE1EEEvS12_.num_agpr, 0
	.set _ZN7rocprim17ROCPRIM_400000_NS6detail17trampoline_kernelINS0_13select_configILj256ELj13ELNS0_17block_load_methodE3ELS4_3ELS4_3ELNS0_20block_scan_algorithmE0ELj4294967295EEENS1_25partition_config_selectorILNS1_17partition_subalgoE4EjNS0_10empty_typeEbEEZZNS1_14partition_implILS8_4ELb0ES6_15HIP_vector_typeIjLj2EENS0_17counting_iteratorIjlEEPS9_SG_NS0_5tupleIJPjSI_NS0_16reverse_iteratorISI_EEEEENSH_IJSG_SG_SG_EEES9_SI_JZNS1_25segmented_radix_sort_implINS0_14default_configELb0EPKaPaPKlPlN2at6native12_GLOBAL__N_18offset_tEEE10hipError_tPvRmT1_PNSt15iterator_traitsIS12_E10value_typeET2_T3_PNS13_IS18_E10value_typeET4_jRbjT5_S1E_jjP12ihipStream_tbEUljE_ZNSN_ISO_Lb0ESQ_SR_ST_SU_SY_EESZ_S10_S11_S12_S16_S17_S18_S1B_S1C_jS1D_jS1E_S1E_jjS1G_bEUljE0_EEESZ_S10_S11_S18_S1C_S1E_T6_T7_T9_mT8_S1G_bDpT10_ENKUlT_T0_E_clISt17integral_constantIbLb1EES1T_IbLb0EEEEDaS1P_S1Q_EUlS1P_E_NS1_11comp_targetILNS1_3genE5ELNS1_11target_archE942ELNS1_3gpuE9ELNS1_3repE0EEENS1_30default_config_static_selectorELNS0_4arch9wavefront6targetE1EEEvS12_.numbered_sgpr, 0
	.set _ZN7rocprim17ROCPRIM_400000_NS6detail17trampoline_kernelINS0_13select_configILj256ELj13ELNS0_17block_load_methodE3ELS4_3ELS4_3ELNS0_20block_scan_algorithmE0ELj4294967295EEENS1_25partition_config_selectorILNS1_17partition_subalgoE4EjNS0_10empty_typeEbEEZZNS1_14partition_implILS8_4ELb0ES6_15HIP_vector_typeIjLj2EENS0_17counting_iteratorIjlEEPS9_SG_NS0_5tupleIJPjSI_NS0_16reverse_iteratorISI_EEEEENSH_IJSG_SG_SG_EEES9_SI_JZNS1_25segmented_radix_sort_implINS0_14default_configELb0EPKaPaPKlPlN2at6native12_GLOBAL__N_18offset_tEEE10hipError_tPvRmT1_PNSt15iterator_traitsIS12_E10value_typeET2_T3_PNS13_IS18_E10value_typeET4_jRbjT5_S1E_jjP12ihipStream_tbEUljE_ZNSN_ISO_Lb0ESQ_SR_ST_SU_SY_EESZ_S10_S11_S12_S16_S17_S18_S1B_S1C_jS1D_jS1E_S1E_jjS1G_bEUljE0_EEESZ_S10_S11_S18_S1C_S1E_T6_T7_T9_mT8_S1G_bDpT10_ENKUlT_T0_E_clISt17integral_constantIbLb1EES1T_IbLb0EEEEDaS1P_S1Q_EUlS1P_E_NS1_11comp_targetILNS1_3genE5ELNS1_11target_archE942ELNS1_3gpuE9ELNS1_3repE0EEENS1_30default_config_static_selectorELNS0_4arch9wavefront6targetE1EEEvS12_.num_named_barrier, 0
	.set _ZN7rocprim17ROCPRIM_400000_NS6detail17trampoline_kernelINS0_13select_configILj256ELj13ELNS0_17block_load_methodE3ELS4_3ELS4_3ELNS0_20block_scan_algorithmE0ELj4294967295EEENS1_25partition_config_selectorILNS1_17partition_subalgoE4EjNS0_10empty_typeEbEEZZNS1_14partition_implILS8_4ELb0ES6_15HIP_vector_typeIjLj2EENS0_17counting_iteratorIjlEEPS9_SG_NS0_5tupleIJPjSI_NS0_16reverse_iteratorISI_EEEEENSH_IJSG_SG_SG_EEES9_SI_JZNS1_25segmented_radix_sort_implINS0_14default_configELb0EPKaPaPKlPlN2at6native12_GLOBAL__N_18offset_tEEE10hipError_tPvRmT1_PNSt15iterator_traitsIS12_E10value_typeET2_T3_PNS13_IS18_E10value_typeET4_jRbjT5_S1E_jjP12ihipStream_tbEUljE_ZNSN_ISO_Lb0ESQ_SR_ST_SU_SY_EESZ_S10_S11_S12_S16_S17_S18_S1B_S1C_jS1D_jS1E_S1E_jjS1G_bEUljE0_EEESZ_S10_S11_S18_S1C_S1E_T6_T7_T9_mT8_S1G_bDpT10_ENKUlT_T0_E_clISt17integral_constantIbLb1EES1T_IbLb0EEEEDaS1P_S1Q_EUlS1P_E_NS1_11comp_targetILNS1_3genE5ELNS1_11target_archE942ELNS1_3gpuE9ELNS1_3repE0EEENS1_30default_config_static_selectorELNS0_4arch9wavefront6targetE1EEEvS12_.private_seg_size, 0
	.set _ZN7rocprim17ROCPRIM_400000_NS6detail17trampoline_kernelINS0_13select_configILj256ELj13ELNS0_17block_load_methodE3ELS4_3ELS4_3ELNS0_20block_scan_algorithmE0ELj4294967295EEENS1_25partition_config_selectorILNS1_17partition_subalgoE4EjNS0_10empty_typeEbEEZZNS1_14partition_implILS8_4ELb0ES6_15HIP_vector_typeIjLj2EENS0_17counting_iteratorIjlEEPS9_SG_NS0_5tupleIJPjSI_NS0_16reverse_iteratorISI_EEEEENSH_IJSG_SG_SG_EEES9_SI_JZNS1_25segmented_radix_sort_implINS0_14default_configELb0EPKaPaPKlPlN2at6native12_GLOBAL__N_18offset_tEEE10hipError_tPvRmT1_PNSt15iterator_traitsIS12_E10value_typeET2_T3_PNS13_IS18_E10value_typeET4_jRbjT5_S1E_jjP12ihipStream_tbEUljE_ZNSN_ISO_Lb0ESQ_SR_ST_SU_SY_EESZ_S10_S11_S12_S16_S17_S18_S1B_S1C_jS1D_jS1E_S1E_jjS1G_bEUljE0_EEESZ_S10_S11_S18_S1C_S1E_T6_T7_T9_mT8_S1G_bDpT10_ENKUlT_T0_E_clISt17integral_constantIbLb1EES1T_IbLb0EEEEDaS1P_S1Q_EUlS1P_E_NS1_11comp_targetILNS1_3genE5ELNS1_11target_archE942ELNS1_3gpuE9ELNS1_3repE0EEENS1_30default_config_static_selectorELNS0_4arch9wavefront6targetE1EEEvS12_.uses_vcc, 0
	.set _ZN7rocprim17ROCPRIM_400000_NS6detail17trampoline_kernelINS0_13select_configILj256ELj13ELNS0_17block_load_methodE3ELS4_3ELS4_3ELNS0_20block_scan_algorithmE0ELj4294967295EEENS1_25partition_config_selectorILNS1_17partition_subalgoE4EjNS0_10empty_typeEbEEZZNS1_14partition_implILS8_4ELb0ES6_15HIP_vector_typeIjLj2EENS0_17counting_iteratorIjlEEPS9_SG_NS0_5tupleIJPjSI_NS0_16reverse_iteratorISI_EEEEENSH_IJSG_SG_SG_EEES9_SI_JZNS1_25segmented_radix_sort_implINS0_14default_configELb0EPKaPaPKlPlN2at6native12_GLOBAL__N_18offset_tEEE10hipError_tPvRmT1_PNSt15iterator_traitsIS12_E10value_typeET2_T3_PNS13_IS18_E10value_typeET4_jRbjT5_S1E_jjP12ihipStream_tbEUljE_ZNSN_ISO_Lb0ESQ_SR_ST_SU_SY_EESZ_S10_S11_S12_S16_S17_S18_S1B_S1C_jS1D_jS1E_S1E_jjS1G_bEUljE0_EEESZ_S10_S11_S18_S1C_S1E_T6_T7_T9_mT8_S1G_bDpT10_ENKUlT_T0_E_clISt17integral_constantIbLb1EES1T_IbLb0EEEEDaS1P_S1Q_EUlS1P_E_NS1_11comp_targetILNS1_3genE5ELNS1_11target_archE942ELNS1_3gpuE9ELNS1_3repE0EEENS1_30default_config_static_selectorELNS0_4arch9wavefront6targetE1EEEvS12_.uses_flat_scratch, 0
	.set _ZN7rocprim17ROCPRIM_400000_NS6detail17trampoline_kernelINS0_13select_configILj256ELj13ELNS0_17block_load_methodE3ELS4_3ELS4_3ELNS0_20block_scan_algorithmE0ELj4294967295EEENS1_25partition_config_selectorILNS1_17partition_subalgoE4EjNS0_10empty_typeEbEEZZNS1_14partition_implILS8_4ELb0ES6_15HIP_vector_typeIjLj2EENS0_17counting_iteratorIjlEEPS9_SG_NS0_5tupleIJPjSI_NS0_16reverse_iteratorISI_EEEEENSH_IJSG_SG_SG_EEES9_SI_JZNS1_25segmented_radix_sort_implINS0_14default_configELb0EPKaPaPKlPlN2at6native12_GLOBAL__N_18offset_tEEE10hipError_tPvRmT1_PNSt15iterator_traitsIS12_E10value_typeET2_T3_PNS13_IS18_E10value_typeET4_jRbjT5_S1E_jjP12ihipStream_tbEUljE_ZNSN_ISO_Lb0ESQ_SR_ST_SU_SY_EESZ_S10_S11_S12_S16_S17_S18_S1B_S1C_jS1D_jS1E_S1E_jjS1G_bEUljE0_EEESZ_S10_S11_S18_S1C_S1E_T6_T7_T9_mT8_S1G_bDpT10_ENKUlT_T0_E_clISt17integral_constantIbLb1EES1T_IbLb0EEEEDaS1P_S1Q_EUlS1P_E_NS1_11comp_targetILNS1_3genE5ELNS1_11target_archE942ELNS1_3gpuE9ELNS1_3repE0EEENS1_30default_config_static_selectorELNS0_4arch9wavefront6targetE1EEEvS12_.has_dyn_sized_stack, 0
	.set _ZN7rocprim17ROCPRIM_400000_NS6detail17trampoline_kernelINS0_13select_configILj256ELj13ELNS0_17block_load_methodE3ELS4_3ELS4_3ELNS0_20block_scan_algorithmE0ELj4294967295EEENS1_25partition_config_selectorILNS1_17partition_subalgoE4EjNS0_10empty_typeEbEEZZNS1_14partition_implILS8_4ELb0ES6_15HIP_vector_typeIjLj2EENS0_17counting_iteratorIjlEEPS9_SG_NS0_5tupleIJPjSI_NS0_16reverse_iteratorISI_EEEEENSH_IJSG_SG_SG_EEES9_SI_JZNS1_25segmented_radix_sort_implINS0_14default_configELb0EPKaPaPKlPlN2at6native12_GLOBAL__N_18offset_tEEE10hipError_tPvRmT1_PNSt15iterator_traitsIS12_E10value_typeET2_T3_PNS13_IS18_E10value_typeET4_jRbjT5_S1E_jjP12ihipStream_tbEUljE_ZNSN_ISO_Lb0ESQ_SR_ST_SU_SY_EESZ_S10_S11_S12_S16_S17_S18_S1B_S1C_jS1D_jS1E_S1E_jjS1G_bEUljE0_EEESZ_S10_S11_S18_S1C_S1E_T6_T7_T9_mT8_S1G_bDpT10_ENKUlT_T0_E_clISt17integral_constantIbLb1EES1T_IbLb0EEEEDaS1P_S1Q_EUlS1P_E_NS1_11comp_targetILNS1_3genE5ELNS1_11target_archE942ELNS1_3gpuE9ELNS1_3repE0EEENS1_30default_config_static_selectorELNS0_4arch9wavefront6targetE1EEEvS12_.has_recursion, 0
	.set _ZN7rocprim17ROCPRIM_400000_NS6detail17trampoline_kernelINS0_13select_configILj256ELj13ELNS0_17block_load_methodE3ELS4_3ELS4_3ELNS0_20block_scan_algorithmE0ELj4294967295EEENS1_25partition_config_selectorILNS1_17partition_subalgoE4EjNS0_10empty_typeEbEEZZNS1_14partition_implILS8_4ELb0ES6_15HIP_vector_typeIjLj2EENS0_17counting_iteratorIjlEEPS9_SG_NS0_5tupleIJPjSI_NS0_16reverse_iteratorISI_EEEEENSH_IJSG_SG_SG_EEES9_SI_JZNS1_25segmented_radix_sort_implINS0_14default_configELb0EPKaPaPKlPlN2at6native12_GLOBAL__N_18offset_tEEE10hipError_tPvRmT1_PNSt15iterator_traitsIS12_E10value_typeET2_T3_PNS13_IS18_E10value_typeET4_jRbjT5_S1E_jjP12ihipStream_tbEUljE_ZNSN_ISO_Lb0ESQ_SR_ST_SU_SY_EESZ_S10_S11_S12_S16_S17_S18_S1B_S1C_jS1D_jS1E_S1E_jjS1G_bEUljE0_EEESZ_S10_S11_S18_S1C_S1E_T6_T7_T9_mT8_S1G_bDpT10_ENKUlT_T0_E_clISt17integral_constantIbLb1EES1T_IbLb0EEEEDaS1P_S1Q_EUlS1P_E_NS1_11comp_targetILNS1_3genE5ELNS1_11target_archE942ELNS1_3gpuE9ELNS1_3repE0EEENS1_30default_config_static_selectorELNS0_4arch9wavefront6targetE1EEEvS12_.has_indirect_call, 0
	.section	.AMDGPU.csdata,"",@progbits
; Kernel info:
; codeLenInByte = 0
; TotalNumSgprs: 4
; NumVgprs: 0
; ScratchSize: 0
; MemoryBound: 0
; FloatMode: 240
; IeeeMode: 1
; LDSByteSize: 0 bytes/workgroup (compile time only)
; SGPRBlocks: 0
; VGPRBlocks: 0
; NumSGPRsForWavesPerEU: 4
; NumVGPRsForWavesPerEU: 1
; Occupancy: 10
; WaveLimiterHint : 0
; COMPUTE_PGM_RSRC2:SCRATCH_EN: 0
; COMPUTE_PGM_RSRC2:USER_SGPR: 6
; COMPUTE_PGM_RSRC2:TRAP_HANDLER: 0
; COMPUTE_PGM_RSRC2:TGID_X_EN: 1
; COMPUTE_PGM_RSRC2:TGID_Y_EN: 0
; COMPUTE_PGM_RSRC2:TGID_Z_EN: 0
; COMPUTE_PGM_RSRC2:TIDIG_COMP_CNT: 0
	.section	.text._ZN7rocprim17ROCPRIM_400000_NS6detail17trampoline_kernelINS0_13select_configILj256ELj13ELNS0_17block_load_methodE3ELS4_3ELS4_3ELNS0_20block_scan_algorithmE0ELj4294967295EEENS1_25partition_config_selectorILNS1_17partition_subalgoE4EjNS0_10empty_typeEbEEZZNS1_14partition_implILS8_4ELb0ES6_15HIP_vector_typeIjLj2EENS0_17counting_iteratorIjlEEPS9_SG_NS0_5tupleIJPjSI_NS0_16reverse_iteratorISI_EEEEENSH_IJSG_SG_SG_EEES9_SI_JZNS1_25segmented_radix_sort_implINS0_14default_configELb0EPKaPaPKlPlN2at6native12_GLOBAL__N_18offset_tEEE10hipError_tPvRmT1_PNSt15iterator_traitsIS12_E10value_typeET2_T3_PNS13_IS18_E10value_typeET4_jRbjT5_S1E_jjP12ihipStream_tbEUljE_ZNSN_ISO_Lb0ESQ_SR_ST_SU_SY_EESZ_S10_S11_S12_S16_S17_S18_S1B_S1C_jS1D_jS1E_S1E_jjS1G_bEUljE0_EEESZ_S10_S11_S18_S1C_S1E_T6_T7_T9_mT8_S1G_bDpT10_ENKUlT_T0_E_clISt17integral_constantIbLb1EES1T_IbLb0EEEEDaS1P_S1Q_EUlS1P_E_NS1_11comp_targetILNS1_3genE4ELNS1_11target_archE910ELNS1_3gpuE8ELNS1_3repE0EEENS1_30default_config_static_selectorELNS0_4arch9wavefront6targetE1EEEvS12_,"axG",@progbits,_ZN7rocprim17ROCPRIM_400000_NS6detail17trampoline_kernelINS0_13select_configILj256ELj13ELNS0_17block_load_methodE3ELS4_3ELS4_3ELNS0_20block_scan_algorithmE0ELj4294967295EEENS1_25partition_config_selectorILNS1_17partition_subalgoE4EjNS0_10empty_typeEbEEZZNS1_14partition_implILS8_4ELb0ES6_15HIP_vector_typeIjLj2EENS0_17counting_iteratorIjlEEPS9_SG_NS0_5tupleIJPjSI_NS0_16reverse_iteratorISI_EEEEENSH_IJSG_SG_SG_EEES9_SI_JZNS1_25segmented_radix_sort_implINS0_14default_configELb0EPKaPaPKlPlN2at6native12_GLOBAL__N_18offset_tEEE10hipError_tPvRmT1_PNSt15iterator_traitsIS12_E10value_typeET2_T3_PNS13_IS18_E10value_typeET4_jRbjT5_S1E_jjP12ihipStream_tbEUljE_ZNSN_ISO_Lb0ESQ_SR_ST_SU_SY_EESZ_S10_S11_S12_S16_S17_S18_S1B_S1C_jS1D_jS1E_S1E_jjS1G_bEUljE0_EEESZ_S10_S11_S18_S1C_S1E_T6_T7_T9_mT8_S1G_bDpT10_ENKUlT_T0_E_clISt17integral_constantIbLb1EES1T_IbLb0EEEEDaS1P_S1Q_EUlS1P_E_NS1_11comp_targetILNS1_3genE4ELNS1_11target_archE910ELNS1_3gpuE8ELNS1_3repE0EEENS1_30default_config_static_selectorELNS0_4arch9wavefront6targetE1EEEvS12_,comdat
	.globl	_ZN7rocprim17ROCPRIM_400000_NS6detail17trampoline_kernelINS0_13select_configILj256ELj13ELNS0_17block_load_methodE3ELS4_3ELS4_3ELNS0_20block_scan_algorithmE0ELj4294967295EEENS1_25partition_config_selectorILNS1_17partition_subalgoE4EjNS0_10empty_typeEbEEZZNS1_14partition_implILS8_4ELb0ES6_15HIP_vector_typeIjLj2EENS0_17counting_iteratorIjlEEPS9_SG_NS0_5tupleIJPjSI_NS0_16reverse_iteratorISI_EEEEENSH_IJSG_SG_SG_EEES9_SI_JZNS1_25segmented_radix_sort_implINS0_14default_configELb0EPKaPaPKlPlN2at6native12_GLOBAL__N_18offset_tEEE10hipError_tPvRmT1_PNSt15iterator_traitsIS12_E10value_typeET2_T3_PNS13_IS18_E10value_typeET4_jRbjT5_S1E_jjP12ihipStream_tbEUljE_ZNSN_ISO_Lb0ESQ_SR_ST_SU_SY_EESZ_S10_S11_S12_S16_S17_S18_S1B_S1C_jS1D_jS1E_S1E_jjS1G_bEUljE0_EEESZ_S10_S11_S18_S1C_S1E_T6_T7_T9_mT8_S1G_bDpT10_ENKUlT_T0_E_clISt17integral_constantIbLb1EES1T_IbLb0EEEEDaS1P_S1Q_EUlS1P_E_NS1_11comp_targetILNS1_3genE4ELNS1_11target_archE910ELNS1_3gpuE8ELNS1_3repE0EEENS1_30default_config_static_selectorELNS0_4arch9wavefront6targetE1EEEvS12_ ; -- Begin function _ZN7rocprim17ROCPRIM_400000_NS6detail17trampoline_kernelINS0_13select_configILj256ELj13ELNS0_17block_load_methodE3ELS4_3ELS4_3ELNS0_20block_scan_algorithmE0ELj4294967295EEENS1_25partition_config_selectorILNS1_17partition_subalgoE4EjNS0_10empty_typeEbEEZZNS1_14partition_implILS8_4ELb0ES6_15HIP_vector_typeIjLj2EENS0_17counting_iteratorIjlEEPS9_SG_NS0_5tupleIJPjSI_NS0_16reverse_iteratorISI_EEEEENSH_IJSG_SG_SG_EEES9_SI_JZNS1_25segmented_radix_sort_implINS0_14default_configELb0EPKaPaPKlPlN2at6native12_GLOBAL__N_18offset_tEEE10hipError_tPvRmT1_PNSt15iterator_traitsIS12_E10value_typeET2_T3_PNS13_IS18_E10value_typeET4_jRbjT5_S1E_jjP12ihipStream_tbEUljE_ZNSN_ISO_Lb0ESQ_SR_ST_SU_SY_EESZ_S10_S11_S12_S16_S17_S18_S1B_S1C_jS1D_jS1E_S1E_jjS1G_bEUljE0_EEESZ_S10_S11_S18_S1C_S1E_T6_T7_T9_mT8_S1G_bDpT10_ENKUlT_T0_E_clISt17integral_constantIbLb1EES1T_IbLb0EEEEDaS1P_S1Q_EUlS1P_E_NS1_11comp_targetILNS1_3genE4ELNS1_11target_archE910ELNS1_3gpuE8ELNS1_3repE0EEENS1_30default_config_static_selectorELNS0_4arch9wavefront6targetE1EEEvS12_
	.p2align	8
	.type	_ZN7rocprim17ROCPRIM_400000_NS6detail17trampoline_kernelINS0_13select_configILj256ELj13ELNS0_17block_load_methodE3ELS4_3ELS4_3ELNS0_20block_scan_algorithmE0ELj4294967295EEENS1_25partition_config_selectorILNS1_17partition_subalgoE4EjNS0_10empty_typeEbEEZZNS1_14partition_implILS8_4ELb0ES6_15HIP_vector_typeIjLj2EENS0_17counting_iteratorIjlEEPS9_SG_NS0_5tupleIJPjSI_NS0_16reverse_iteratorISI_EEEEENSH_IJSG_SG_SG_EEES9_SI_JZNS1_25segmented_radix_sort_implINS0_14default_configELb0EPKaPaPKlPlN2at6native12_GLOBAL__N_18offset_tEEE10hipError_tPvRmT1_PNSt15iterator_traitsIS12_E10value_typeET2_T3_PNS13_IS18_E10value_typeET4_jRbjT5_S1E_jjP12ihipStream_tbEUljE_ZNSN_ISO_Lb0ESQ_SR_ST_SU_SY_EESZ_S10_S11_S12_S16_S17_S18_S1B_S1C_jS1D_jS1E_S1E_jjS1G_bEUljE0_EEESZ_S10_S11_S18_S1C_S1E_T6_T7_T9_mT8_S1G_bDpT10_ENKUlT_T0_E_clISt17integral_constantIbLb1EES1T_IbLb0EEEEDaS1P_S1Q_EUlS1P_E_NS1_11comp_targetILNS1_3genE4ELNS1_11target_archE910ELNS1_3gpuE8ELNS1_3repE0EEENS1_30default_config_static_selectorELNS0_4arch9wavefront6targetE1EEEvS12_,@function
_ZN7rocprim17ROCPRIM_400000_NS6detail17trampoline_kernelINS0_13select_configILj256ELj13ELNS0_17block_load_methodE3ELS4_3ELS4_3ELNS0_20block_scan_algorithmE0ELj4294967295EEENS1_25partition_config_selectorILNS1_17partition_subalgoE4EjNS0_10empty_typeEbEEZZNS1_14partition_implILS8_4ELb0ES6_15HIP_vector_typeIjLj2EENS0_17counting_iteratorIjlEEPS9_SG_NS0_5tupleIJPjSI_NS0_16reverse_iteratorISI_EEEEENSH_IJSG_SG_SG_EEES9_SI_JZNS1_25segmented_radix_sort_implINS0_14default_configELb0EPKaPaPKlPlN2at6native12_GLOBAL__N_18offset_tEEE10hipError_tPvRmT1_PNSt15iterator_traitsIS12_E10value_typeET2_T3_PNS13_IS18_E10value_typeET4_jRbjT5_S1E_jjP12ihipStream_tbEUljE_ZNSN_ISO_Lb0ESQ_SR_ST_SU_SY_EESZ_S10_S11_S12_S16_S17_S18_S1B_S1C_jS1D_jS1E_S1E_jjS1G_bEUljE0_EEESZ_S10_S11_S18_S1C_S1E_T6_T7_T9_mT8_S1G_bDpT10_ENKUlT_T0_E_clISt17integral_constantIbLb1EES1T_IbLb0EEEEDaS1P_S1Q_EUlS1P_E_NS1_11comp_targetILNS1_3genE4ELNS1_11target_archE910ELNS1_3gpuE8ELNS1_3repE0EEENS1_30default_config_static_selectorELNS0_4arch9wavefront6targetE1EEEvS12_: ; @_ZN7rocprim17ROCPRIM_400000_NS6detail17trampoline_kernelINS0_13select_configILj256ELj13ELNS0_17block_load_methodE3ELS4_3ELS4_3ELNS0_20block_scan_algorithmE0ELj4294967295EEENS1_25partition_config_selectorILNS1_17partition_subalgoE4EjNS0_10empty_typeEbEEZZNS1_14partition_implILS8_4ELb0ES6_15HIP_vector_typeIjLj2EENS0_17counting_iteratorIjlEEPS9_SG_NS0_5tupleIJPjSI_NS0_16reverse_iteratorISI_EEEEENSH_IJSG_SG_SG_EEES9_SI_JZNS1_25segmented_radix_sort_implINS0_14default_configELb0EPKaPaPKlPlN2at6native12_GLOBAL__N_18offset_tEEE10hipError_tPvRmT1_PNSt15iterator_traitsIS12_E10value_typeET2_T3_PNS13_IS18_E10value_typeET4_jRbjT5_S1E_jjP12ihipStream_tbEUljE_ZNSN_ISO_Lb0ESQ_SR_ST_SU_SY_EESZ_S10_S11_S12_S16_S17_S18_S1B_S1C_jS1D_jS1E_S1E_jjS1G_bEUljE0_EEESZ_S10_S11_S18_S1C_S1E_T6_T7_T9_mT8_S1G_bDpT10_ENKUlT_T0_E_clISt17integral_constantIbLb1EES1T_IbLb0EEEEDaS1P_S1Q_EUlS1P_E_NS1_11comp_targetILNS1_3genE4ELNS1_11target_archE910ELNS1_3gpuE8ELNS1_3repE0EEENS1_30default_config_static_selectorELNS0_4arch9wavefront6targetE1EEEvS12_
; %bb.0:
	.section	.rodata,"a",@progbits
	.p2align	6, 0x0
	.amdhsa_kernel _ZN7rocprim17ROCPRIM_400000_NS6detail17trampoline_kernelINS0_13select_configILj256ELj13ELNS0_17block_load_methodE3ELS4_3ELS4_3ELNS0_20block_scan_algorithmE0ELj4294967295EEENS1_25partition_config_selectorILNS1_17partition_subalgoE4EjNS0_10empty_typeEbEEZZNS1_14partition_implILS8_4ELb0ES6_15HIP_vector_typeIjLj2EENS0_17counting_iteratorIjlEEPS9_SG_NS0_5tupleIJPjSI_NS0_16reverse_iteratorISI_EEEEENSH_IJSG_SG_SG_EEES9_SI_JZNS1_25segmented_radix_sort_implINS0_14default_configELb0EPKaPaPKlPlN2at6native12_GLOBAL__N_18offset_tEEE10hipError_tPvRmT1_PNSt15iterator_traitsIS12_E10value_typeET2_T3_PNS13_IS18_E10value_typeET4_jRbjT5_S1E_jjP12ihipStream_tbEUljE_ZNSN_ISO_Lb0ESQ_SR_ST_SU_SY_EESZ_S10_S11_S12_S16_S17_S18_S1B_S1C_jS1D_jS1E_S1E_jjS1G_bEUljE0_EEESZ_S10_S11_S18_S1C_S1E_T6_T7_T9_mT8_S1G_bDpT10_ENKUlT_T0_E_clISt17integral_constantIbLb1EES1T_IbLb0EEEEDaS1P_S1Q_EUlS1P_E_NS1_11comp_targetILNS1_3genE4ELNS1_11target_archE910ELNS1_3gpuE8ELNS1_3repE0EEENS1_30default_config_static_selectorELNS0_4arch9wavefront6targetE1EEEvS12_
		.amdhsa_group_segment_fixed_size 0
		.amdhsa_private_segment_fixed_size 0
		.amdhsa_kernarg_size 176
		.amdhsa_user_sgpr_count 6
		.amdhsa_user_sgpr_private_segment_buffer 1
		.amdhsa_user_sgpr_dispatch_ptr 0
		.amdhsa_user_sgpr_queue_ptr 0
		.amdhsa_user_sgpr_kernarg_segment_ptr 1
		.amdhsa_user_sgpr_dispatch_id 0
		.amdhsa_user_sgpr_flat_scratch_init 0
		.amdhsa_user_sgpr_private_segment_size 0
		.amdhsa_uses_dynamic_stack 0
		.amdhsa_system_sgpr_private_segment_wavefront_offset 0
		.amdhsa_system_sgpr_workgroup_id_x 1
		.amdhsa_system_sgpr_workgroup_id_y 0
		.amdhsa_system_sgpr_workgroup_id_z 0
		.amdhsa_system_sgpr_workgroup_info 0
		.amdhsa_system_vgpr_workitem_id 0
		.amdhsa_next_free_vgpr 1
		.amdhsa_next_free_sgpr 0
		.amdhsa_reserve_vcc 0
		.amdhsa_reserve_flat_scratch 0
		.amdhsa_float_round_mode_32 0
		.amdhsa_float_round_mode_16_64 0
		.amdhsa_float_denorm_mode_32 3
		.amdhsa_float_denorm_mode_16_64 3
		.amdhsa_dx10_clamp 1
		.amdhsa_ieee_mode 1
		.amdhsa_fp16_overflow 0
		.amdhsa_exception_fp_ieee_invalid_op 0
		.amdhsa_exception_fp_denorm_src 0
		.amdhsa_exception_fp_ieee_div_zero 0
		.amdhsa_exception_fp_ieee_overflow 0
		.amdhsa_exception_fp_ieee_underflow 0
		.amdhsa_exception_fp_ieee_inexact 0
		.amdhsa_exception_int_div_zero 0
	.end_amdhsa_kernel
	.section	.text._ZN7rocprim17ROCPRIM_400000_NS6detail17trampoline_kernelINS0_13select_configILj256ELj13ELNS0_17block_load_methodE3ELS4_3ELS4_3ELNS0_20block_scan_algorithmE0ELj4294967295EEENS1_25partition_config_selectorILNS1_17partition_subalgoE4EjNS0_10empty_typeEbEEZZNS1_14partition_implILS8_4ELb0ES6_15HIP_vector_typeIjLj2EENS0_17counting_iteratorIjlEEPS9_SG_NS0_5tupleIJPjSI_NS0_16reverse_iteratorISI_EEEEENSH_IJSG_SG_SG_EEES9_SI_JZNS1_25segmented_radix_sort_implINS0_14default_configELb0EPKaPaPKlPlN2at6native12_GLOBAL__N_18offset_tEEE10hipError_tPvRmT1_PNSt15iterator_traitsIS12_E10value_typeET2_T3_PNS13_IS18_E10value_typeET4_jRbjT5_S1E_jjP12ihipStream_tbEUljE_ZNSN_ISO_Lb0ESQ_SR_ST_SU_SY_EESZ_S10_S11_S12_S16_S17_S18_S1B_S1C_jS1D_jS1E_S1E_jjS1G_bEUljE0_EEESZ_S10_S11_S18_S1C_S1E_T6_T7_T9_mT8_S1G_bDpT10_ENKUlT_T0_E_clISt17integral_constantIbLb1EES1T_IbLb0EEEEDaS1P_S1Q_EUlS1P_E_NS1_11comp_targetILNS1_3genE4ELNS1_11target_archE910ELNS1_3gpuE8ELNS1_3repE0EEENS1_30default_config_static_selectorELNS0_4arch9wavefront6targetE1EEEvS12_,"axG",@progbits,_ZN7rocprim17ROCPRIM_400000_NS6detail17trampoline_kernelINS0_13select_configILj256ELj13ELNS0_17block_load_methodE3ELS4_3ELS4_3ELNS0_20block_scan_algorithmE0ELj4294967295EEENS1_25partition_config_selectorILNS1_17partition_subalgoE4EjNS0_10empty_typeEbEEZZNS1_14partition_implILS8_4ELb0ES6_15HIP_vector_typeIjLj2EENS0_17counting_iteratorIjlEEPS9_SG_NS0_5tupleIJPjSI_NS0_16reverse_iteratorISI_EEEEENSH_IJSG_SG_SG_EEES9_SI_JZNS1_25segmented_radix_sort_implINS0_14default_configELb0EPKaPaPKlPlN2at6native12_GLOBAL__N_18offset_tEEE10hipError_tPvRmT1_PNSt15iterator_traitsIS12_E10value_typeET2_T3_PNS13_IS18_E10value_typeET4_jRbjT5_S1E_jjP12ihipStream_tbEUljE_ZNSN_ISO_Lb0ESQ_SR_ST_SU_SY_EESZ_S10_S11_S12_S16_S17_S18_S1B_S1C_jS1D_jS1E_S1E_jjS1G_bEUljE0_EEESZ_S10_S11_S18_S1C_S1E_T6_T7_T9_mT8_S1G_bDpT10_ENKUlT_T0_E_clISt17integral_constantIbLb1EES1T_IbLb0EEEEDaS1P_S1Q_EUlS1P_E_NS1_11comp_targetILNS1_3genE4ELNS1_11target_archE910ELNS1_3gpuE8ELNS1_3repE0EEENS1_30default_config_static_selectorELNS0_4arch9wavefront6targetE1EEEvS12_,comdat
.Lfunc_end347:
	.size	_ZN7rocprim17ROCPRIM_400000_NS6detail17trampoline_kernelINS0_13select_configILj256ELj13ELNS0_17block_load_methodE3ELS4_3ELS4_3ELNS0_20block_scan_algorithmE0ELj4294967295EEENS1_25partition_config_selectorILNS1_17partition_subalgoE4EjNS0_10empty_typeEbEEZZNS1_14partition_implILS8_4ELb0ES6_15HIP_vector_typeIjLj2EENS0_17counting_iteratorIjlEEPS9_SG_NS0_5tupleIJPjSI_NS0_16reverse_iteratorISI_EEEEENSH_IJSG_SG_SG_EEES9_SI_JZNS1_25segmented_radix_sort_implINS0_14default_configELb0EPKaPaPKlPlN2at6native12_GLOBAL__N_18offset_tEEE10hipError_tPvRmT1_PNSt15iterator_traitsIS12_E10value_typeET2_T3_PNS13_IS18_E10value_typeET4_jRbjT5_S1E_jjP12ihipStream_tbEUljE_ZNSN_ISO_Lb0ESQ_SR_ST_SU_SY_EESZ_S10_S11_S12_S16_S17_S18_S1B_S1C_jS1D_jS1E_S1E_jjS1G_bEUljE0_EEESZ_S10_S11_S18_S1C_S1E_T6_T7_T9_mT8_S1G_bDpT10_ENKUlT_T0_E_clISt17integral_constantIbLb1EES1T_IbLb0EEEEDaS1P_S1Q_EUlS1P_E_NS1_11comp_targetILNS1_3genE4ELNS1_11target_archE910ELNS1_3gpuE8ELNS1_3repE0EEENS1_30default_config_static_selectorELNS0_4arch9wavefront6targetE1EEEvS12_, .Lfunc_end347-_ZN7rocprim17ROCPRIM_400000_NS6detail17trampoline_kernelINS0_13select_configILj256ELj13ELNS0_17block_load_methodE3ELS4_3ELS4_3ELNS0_20block_scan_algorithmE0ELj4294967295EEENS1_25partition_config_selectorILNS1_17partition_subalgoE4EjNS0_10empty_typeEbEEZZNS1_14partition_implILS8_4ELb0ES6_15HIP_vector_typeIjLj2EENS0_17counting_iteratorIjlEEPS9_SG_NS0_5tupleIJPjSI_NS0_16reverse_iteratorISI_EEEEENSH_IJSG_SG_SG_EEES9_SI_JZNS1_25segmented_radix_sort_implINS0_14default_configELb0EPKaPaPKlPlN2at6native12_GLOBAL__N_18offset_tEEE10hipError_tPvRmT1_PNSt15iterator_traitsIS12_E10value_typeET2_T3_PNS13_IS18_E10value_typeET4_jRbjT5_S1E_jjP12ihipStream_tbEUljE_ZNSN_ISO_Lb0ESQ_SR_ST_SU_SY_EESZ_S10_S11_S12_S16_S17_S18_S1B_S1C_jS1D_jS1E_S1E_jjS1G_bEUljE0_EEESZ_S10_S11_S18_S1C_S1E_T6_T7_T9_mT8_S1G_bDpT10_ENKUlT_T0_E_clISt17integral_constantIbLb1EES1T_IbLb0EEEEDaS1P_S1Q_EUlS1P_E_NS1_11comp_targetILNS1_3genE4ELNS1_11target_archE910ELNS1_3gpuE8ELNS1_3repE0EEENS1_30default_config_static_selectorELNS0_4arch9wavefront6targetE1EEEvS12_
                                        ; -- End function
	.set _ZN7rocprim17ROCPRIM_400000_NS6detail17trampoline_kernelINS0_13select_configILj256ELj13ELNS0_17block_load_methodE3ELS4_3ELS4_3ELNS0_20block_scan_algorithmE0ELj4294967295EEENS1_25partition_config_selectorILNS1_17partition_subalgoE4EjNS0_10empty_typeEbEEZZNS1_14partition_implILS8_4ELb0ES6_15HIP_vector_typeIjLj2EENS0_17counting_iteratorIjlEEPS9_SG_NS0_5tupleIJPjSI_NS0_16reverse_iteratorISI_EEEEENSH_IJSG_SG_SG_EEES9_SI_JZNS1_25segmented_radix_sort_implINS0_14default_configELb0EPKaPaPKlPlN2at6native12_GLOBAL__N_18offset_tEEE10hipError_tPvRmT1_PNSt15iterator_traitsIS12_E10value_typeET2_T3_PNS13_IS18_E10value_typeET4_jRbjT5_S1E_jjP12ihipStream_tbEUljE_ZNSN_ISO_Lb0ESQ_SR_ST_SU_SY_EESZ_S10_S11_S12_S16_S17_S18_S1B_S1C_jS1D_jS1E_S1E_jjS1G_bEUljE0_EEESZ_S10_S11_S18_S1C_S1E_T6_T7_T9_mT8_S1G_bDpT10_ENKUlT_T0_E_clISt17integral_constantIbLb1EES1T_IbLb0EEEEDaS1P_S1Q_EUlS1P_E_NS1_11comp_targetILNS1_3genE4ELNS1_11target_archE910ELNS1_3gpuE8ELNS1_3repE0EEENS1_30default_config_static_selectorELNS0_4arch9wavefront6targetE1EEEvS12_.num_vgpr, 0
	.set _ZN7rocprim17ROCPRIM_400000_NS6detail17trampoline_kernelINS0_13select_configILj256ELj13ELNS0_17block_load_methodE3ELS4_3ELS4_3ELNS0_20block_scan_algorithmE0ELj4294967295EEENS1_25partition_config_selectorILNS1_17partition_subalgoE4EjNS0_10empty_typeEbEEZZNS1_14partition_implILS8_4ELb0ES6_15HIP_vector_typeIjLj2EENS0_17counting_iteratorIjlEEPS9_SG_NS0_5tupleIJPjSI_NS0_16reverse_iteratorISI_EEEEENSH_IJSG_SG_SG_EEES9_SI_JZNS1_25segmented_radix_sort_implINS0_14default_configELb0EPKaPaPKlPlN2at6native12_GLOBAL__N_18offset_tEEE10hipError_tPvRmT1_PNSt15iterator_traitsIS12_E10value_typeET2_T3_PNS13_IS18_E10value_typeET4_jRbjT5_S1E_jjP12ihipStream_tbEUljE_ZNSN_ISO_Lb0ESQ_SR_ST_SU_SY_EESZ_S10_S11_S12_S16_S17_S18_S1B_S1C_jS1D_jS1E_S1E_jjS1G_bEUljE0_EEESZ_S10_S11_S18_S1C_S1E_T6_T7_T9_mT8_S1G_bDpT10_ENKUlT_T0_E_clISt17integral_constantIbLb1EES1T_IbLb0EEEEDaS1P_S1Q_EUlS1P_E_NS1_11comp_targetILNS1_3genE4ELNS1_11target_archE910ELNS1_3gpuE8ELNS1_3repE0EEENS1_30default_config_static_selectorELNS0_4arch9wavefront6targetE1EEEvS12_.num_agpr, 0
	.set _ZN7rocprim17ROCPRIM_400000_NS6detail17trampoline_kernelINS0_13select_configILj256ELj13ELNS0_17block_load_methodE3ELS4_3ELS4_3ELNS0_20block_scan_algorithmE0ELj4294967295EEENS1_25partition_config_selectorILNS1_17partition_subalgoE4EjNS0_10empty_typeEbEEZZNS1_14partition_implILS8_4ELb0ES6_15HIP_vector_typeIjLj2EENS0_17counting_iteratorIjlEEPS9_SG_NS0_5tupleIJPjSI_NS0_16reverse_iteratorISI_EEEEENSH_IJSG_SG_SG_EEES9_SI_JZNS1_25segmented_radix_sort_implINS0_14default_configELb0EPKaPaPKlPlN2at6native12_GLOBAL__N_18offset_tEEE10hipError_tPvRmT1_PNSt15iterator_traitsIS12_E10value_typeET2_T3_PNS13_IS18_E10value_typeET4_jRbjT5_S1E_jjP12ihipStream_tbEUljE_ZNSN_ISO_Lb0ESQ_SR_ST_SU_SY_EESZ_S10_S11_S12_S16_S17_S18_S1B_S1C_jS1D_jS1E_S1E_jjS1G_bEUljE0_EEESZ_S10_S11_S18_S1C_S1E_T6_T7_T9_mT8_S1G_bDpT10_ENKUlT_T0_E_clISt17integral_constantIbLb1EES1T_IbLb0EEEEDaS1P_S1Q_EUlS1P_E_NS1_11comp_targetILNS1_3genE4ELNS1_11target_archE910ELNS1_3gpuE8ELNS1_3repE0EEENS1_30default_config_static_selectorELNS0_4arch9wavefront6targetE1EEEvS12_.numbered_sgpr, 0
	.set _ZN7rocprim17ROCPRIM_400000_NS6detail17trampoline_kernelINS0_13select_configILj256ELj13ELNS0_17block_load_methodE3ELS4_3ELS4_3ELNS0_20block_scan_algorithmE0ELj4294967295EEENS1_25partition_config_selectorILNS1_17partition_subalgoE4EjNS0_10empty_typeEbEEZZNS1_14partition_implILS8_4ELb0ES6_15HIP_vector_typeIjLj2EENS0_17counting_iteratorIjlEEPS9_SG_NS0_5tupleIJPjSI_NS0_16reverse_iteratorISI_EEEEENSH_IJSG_SG_SG_EEES9_SI_JZNS1_25segmented_radix_sort_implINS0_14default_configELb0EPKaPaPKlPlN2at6native12_GLOBAL__N_18offset_tEEE10hipError_tPvRmT1_PNSt15iterator_traitsIS12_E10value_typeET2_T3_PNS13_IS18_E10value_typeET4_jRbjT5_S1E_jjP12ihipStream_tbEUljE_ZNSN_ISO_Lb0ESQ_SR_ST_SU_SY_EESZ_S10_S11_S12_S16_S17_S18_S1B_S1C_jS1D_jS1E_S1E_jjS1G_bEUljE0_EEESZ_S10_S11_S18_S1C_S1E_T6_T7_T9_mT8_S1G_bDpT10_ENKUlT_T0_E_clISt17integral_constantIbLb1EES1T_IbLb0EEEEDaS1P_S1Q_EUlS1P_E_NS1_11comp_targetILNS1_3genE4ELNS1_11target_archE910ELNS1_3gpuE8ELNS1_3repE0EEENS1_30default_config_static_selectorELNS0_4arch9wavefront6targetE1EEEvS12_.num_named_barrier, 0
	.set _ZN7rocprim17ROCPRIM_400000_NS6detail17trampoline_kernelINS0_13select_configILj256ELj13ELNS0_17block_load_methodE3ELS4_3ELS4_3ELNS0_20block_scan_algorithmE0ELj4294967295EEENS1_25partition_config_selectorILNS1_17partition_subalgoE4EjNS0_10empty_typeEbEEZZNS1_14partition_implILS8_4ELb0ES6_15HIP_vector_typeIjLj2EENS0_17counting_iteratorIjlEEPS9_SG_NS0_5tupleIJPjSI_NS0_16reverse_iteratorISI_EEEEENSH_IJSG_SG_SG_EEES9_SI_JZNS1_25segmented_radix_sort_implINS0_14default_configELb0EPKaPaPKlPlN2at6native12_GLOBAL__N_18offset_tEEE10hipError_tPvRmT1_PNSt15iterator_traitsIS12_E10value_typeET2_T3_PNS13_IS18_E10value_typeET4_jRbjT5_S1E_jjP12ihipStream_tbEUljE_ZNSN_ISO_Lb0ESQ_SR_ST_SU_SY_EESZ_S10_S11_S12_S16_S17_S18_S1B_S1C_jS1D_jS1E_S1E_jjS1G_bEUljE0_EEESZ_S10_S11_S18_S1C_S1E_T6_T7_T9_mT8_S1G_bDpT10_ENKUlT_T0_E_clISt17integral_constantIbLb1EES1T_IbLb0EEEEDaS1P_S1Q_EUlS1P_E_NS1_11comp_targetILNS1_3genE4ELNS1_11target_archE910ELNS1_3gpuE8ELNS1_3repE0EEENS1_30default_config_static_selectorELNS0_4arch9wavefront6targetE1EEEvS12_.private_seg_size, 0
	.set _ZN7rocprim17ROCPRIM_400000_NS6detail17trampoline_kernelINS0_13select_configILj256ELj13ELNS0_17block_load_methodE3ELS4_3ELS4_3ELNS0_20block_scan_algorithmE0ELj4294967295EEENS1_25partition_config_selectorILNS1_17partition_subalgoE4EjNS0_10empty_typeEbEEZZNS1_14partition_implILS8_4ELb0ES6_15HIP_vector_typeIjLj2EENS0_17counting_iteratorIjlEEPS9_SG_NS0_5tupleIJPjSI_NS0_16reverse_iteratorISI_EEEEENSH_IJSG_SG_SG_EEES9_SI_JZNS1_25segmented_radix_sort_implINS0_14default_configELb0EPKaPaPKlPlN2at6native12_GLOBAL__N_18offset_tEEE10hipError_tPvRmT1_PNSt15iterator_traitsIS12_E10value_typeET2_T3_PNS13_IS18_E10value_typeET4_jRbjT5_S1E_jjP12ihipStream_tbEUljE_ZNSN_ISO_Lb0ESQ_SR_ST_SU_SY_EESZ_S10_S11_S12_S16_S17_S18_S1B_S1C_jS1D_jS1E_S1E_jjS1G_bEUljE0_EEESZ_S10_S11_S18_S1C_S1E_T6_T7_T9_mT8_S1G_bDpT10_ENKUlT_T0_E_clISt17integral_constantIbLb1EES1T_IbLb0EEEEDaS1P_S1Q_EUlS1P_E_NS1_11comp_targetILNS1_3genE4ELNS1_11target_archE910ELNS1_3gpuE8ELNS1_3repE0EEENS1_30default_config_static_selectorELNS0_4arch9wavefront6targetE1EEEvS12_.uses_vcc, 0
	.set _ZN7rocprim17ROCPRIM_400000_NS6detail17trampoline_kernelINS0_13select_configILj256ELj13ELNS0_17block_load_methodE3ELS4_3ELS4_3ELNS0_20block_scan_algorithmE0ELj4294967295EEENS1_25partition_config_selectorILNS1_17partition_subalgoE4EjNS0_10empty_typeEbEEZZNS1_14partition_implILS8_4ELb0ES6_15HIP_vector_typeIjLj2EENS0_17counting_iteratorIjlEEPS9_SG_NS0_5tupleIJPjSI_NS0_16reverse_iteratorISI_EEEEENSH_IJSG_SG_SG_EEES9_SI_JZNS1_25segmented_radix_sort_implINS0_14default_configELb0EPKaPaPKlPlN2at6native12_GLOBAL__N_18offset_tEEE10hipError_tPvRmT1_PNSt15iterator_traitsIS12_E10value_typeET2_T3_PNS13_IS18_E10value_typeET4_jRbjT5_S1E_jjP12ihipStream_tbEUljE_ZNSN_ISO_Lb0ESQ_SR_ST_SU_SY_EESZ_S10_S11_S12_S16_S17_S18_S1B_S1C_jS1D_jS1E_S1E_jjS1G_bEUljE0_EEESZ_S10_S11_S18_S1C_S1E_T6_T7_T9_mT8_S1G_bDpT10_ENKUlT_T0_E_clISt17integral_constantIbLb1EES1T_IbLb0EEEEDaS1P_S1Q_EUlS1P_E_NS1_11comp_targetILNS1_3genE4ELNS1_11target_archE910ELNS1_3gpuE8ELNS1_3repE0EEENS1_30default_config_static_selectorELNS0_4arch9wavefront6targetE1EEEvS12_.uses_flat_scratch, 0
	.set _ZN7rocprim17ROCPRIM_400000_NS6detail17trampoline_kernelINS0_13select_configILj256ELj13ELNS0_17block_load_methodE3ELS4_3ELS4_3ELNS0_20block_scan_algorithmE0ELj4294967295EEENS1_25partition_config_selectorILNS1_17partition_subalgoE4EjNS0_10empty_typeEbEEZZNS1_14partition_implILS8_4ELb0ES6_15HIP_vector_typeIjLj2EENS0_17counting_iteratorIjlEEPS9_SG_NS0_5tupleIJPjSI_NS0_16reverse_iteratorISI_EEEEENSH_IJSG_SG_SG_EEES9_SI_JZNS1_25segmented_radix_sort_implINS0_14default_configELb0EPKaPaPKlPlN2at6native12_GLOBAL__N_18offset_tEEE10hipError_tPvRmT1_PNSt15iterator_traitsIS12_E10value_typeET2_T3_PNS13_IS18_E10value_typeET4_jRbjT5_S1E_jjP12ihipStream_tbEUljE_ZNSN_ISO_Lb0ESQ_SR_ST_SU_SY_EESZ_S10_S11_S12_S16_S17_S18_S1B_S1C_jS1D_jS1E_S1E_jjS1G_bEUljE0_EEESZ_S10_S11_S18_S1C_S1E_T6_T7_T9_mT8_S1G_bDpT10_ENKUlT_T0_E_clISt17integral_constantIbLb1EES1T_IbLb0EEEEDaS1P_S1Q_EUlS1P_E_NS1_11comp_targetILNS1_3genE4ELNS1_11target_archE910ELNS1_3gpuE8ELNS1_3repE0EEENS1_30default_config_static_selectorELNS0_4arch9wavefront6targetE1EEEvS12_.has_dyn_sized_stack, 0
	.set _ZN7rocprim17ROCPRIM_400000_NS6detail17trampoline_kernelINS0_13select_configILj256ELj13ELNS0_17block_load_methodE3ELS4_3ELS4_3ELNS0_20block_scan_algorithmE0ELj4294967295EEENS1_25partition_config_selectorILNS1_17partition_subalgoE4EjNS0_10empty_typeEbEEZZNS1_14partition_implILS8_4ELb0ES6_15HIP_vector_typeIjLj2EENS0_17counting_iteratorIjlEEPS9_SG_NS0_5tupleIJPjSI_NS0_16reverse_iteratorISI_EEEEENSH_IJSG_SG_SG_EEES9_SI_JZNS1_25segmented_radix_sort_implINS0_14default_configELb0EPKaPaPKlPlN2at6native12_GLOBAL__N_18offset_tEEE10hipError_tPvRmT1_PNSt15iterator_traitsIS12_E10value_typeET2_T3_PNS13_IS18_E10value_typeET4_jRbjT5_S1E_jjP12ihipStream_tbEUljE_ZNSN_ISO_Lb0ESQ_SR_ST_SU_SY_EESZ_S10_S11_S12_S16_S17_S18_S1B_S1C_jS1D_jS1E_S1E_jjS1G_bEUljE0_EEESZ_S10_S11_S18_S1C_S1E_T6_T7_T9_mT8_S1G_bDpT10_ENKUlT_T0_E_clISt17integral_constantIbLb1EES1T_IbLb0EEEEDaS1P_S1Q_EUlS1P_E_NS1_11comp_targetILNS1_3genE4ELNS1_11target_archE910ELNS1_3gpuE8ELNS1_3repE0EEENS1_30default_config_static_selectorELNS0_4arch9wavefront6targetE1EEEvS12_.has_recursion, 0
	.set _ZN7rocprim17ROCPRIM_400000_NS6detail17trampoline_kernelINS0_13select_configILj256ELj13ELNS0_17block_load_methodE3ELS4_3ELS4_3ELNS0_20block_scan_algorithmE0ELj4294967295EEENS1_25partition_config_selectorILNS1_17partition_subalgoE4EjNS0_10empty_typeEbEEZZNS1_14partition_implILS8_4ELb0ES6_15HIP_vector_typeIjLj2EENS0_17counting_iteratorIjlEEPS9_SG_NS0_5tupleIJPjSI_NS0_16reverse_iteratorISI_EEEEENSH_IJSG_SG_SG_EEES9_SI_JZNS1_25segmented_radix_sort_implINS0_14default_configELb0EPKaPaPKlPlN2at6native12_GLOBAL__N_18offset_tEEE10hipError_tPvRmT1_PNSt15iterator_traitsIS12_E10value_typeET2_T3_PNS13_IS18_E10value_typeET4_jRbjT5_S1E_jjP12ihipStream_tbEUljE_ZNSN_ISO_Lb0ESQ_SR_ST_SU_SY_EESZ_S10_S11_S12_S16_S17_S18_S1B_S1C_jS1D_jS1E_S1E_jjS1G_bEUljE0_EEESZ_S10_S11_S18_S1C_S1E_T6_T7_T9_mT8_S1G_bDpT10_ENKUlT_T0_E_clISt17integral_constantIbLb1EES1T_IbLb0EEEEDaS1P_S1Q_EUlS1P_E_NS1_11comp_targetILNS1_3genE4ELNS1_11target_archE910ELNS1_3gpuE8ELNS1_3repE0EEENS1_30default_config_static_selectorELNS0_4arch9wavefront6targetE1EEEvS12_.has_indirect_call, 0
	.section	.AMDGPU.csdata,"",@progbits
; Kernel info:
; codeLenInByte = 0
; TotalNumSgprs: 4
; NumVgprs: 0
; ScratchSize: 0
; MemoryBound: 0
; FloatMode: 240
; IeeeMode: 1
; LDSByteSize: 0 bytes/workgroup (compile time only)
; SGPRBlocks: 0
; VGPRBlocks: 0
; NumSGPRsForWavesPerEU: 4
; NumVGPRsForWavesPerEU: 1
; Occupancy: 10
; WaveLimiterHint : 0
; COMPUTE_PGM_RSRC2:SCRATCH_EN: 0
; COMPUTE_PGM_RSRC2:USER_SGPR: 6
; COMPUTE_PGM_RSRC2:TRAP_HANDLER: 0
; COMPUTE_PGM_RSRC2:TGID_X_EN: 1
; COMPUTE_PGM_RSRC2:TGID_Y_EN: 0
; COMPUTE_PGM_RSRC2:TGID_Z_EN: 0
; COMPUTE_PGM_RSRC2:TIDIG_COMP_CNT: 0
	.section	.text._ZN7rocprim17ROCPRIM_400000_NS6detail17trampoline_kernelINS0_13select_configILj256ELj13ELNS0_17block_load_methodE3ELS4_3ELS4_3ELNS0_20block_scan_algorithmE0ELj4294967295EEENS1_25partition_config_selectorILNS1_17partition_subalgoE4EjNS0_10empty_typeEbEEZZNS1_14partition_implILS8_4ELb0ES6_15HIP_vector_typeIjLj2EENS0_17counting_iteratorIjlEEPS9_SG_NS0_5tupleIJPjSI_NS0_16reverse_iteratorISI_EEEEENSH_IJSG_SG_SG_EEES9_SI_JZNS1_25segmented_radix_sort_implINS0_14default_configELb0EPKaPaPKlPlN2at6native12_GLOBAL__N_18offset_tEEE10hipError_tPvRmT1_PNSt15iterator_traitsIS12_E10value_typeET2_T3_PNS13_IS18_E10value_typeET4_jRbjT5_S1E_jjP12ihipStream_tbEUljE_ZNSN_ISO_Lb0ESQ_SR_ST_SU_SY_EESZ_S10_S11_S12_S16_S17_S18_S1B_S1C_jS1D_jS1E_S1E_jjS1G_bEUljE0_EEESZ_S10_S11_S18_S1C_S1E_T6_T7_T9_mT8_S1G_bDpT10_ENKUlT_T0_E_clISt17integral_constantIbLb1EES1T_IbLb0EEEEDaS1P_S1Q_EUlS1P_E_NS1_11comp_targetILNS1_3genE3ELNS1_11target_archE908ELNS1_3gpuE7ELNS1_3repE0EEENS1_30default_config_static_selectorELNS0_4arch9wavefront6targetE1EEEvS12_,"axG",@progbits,_ZN7rocprim17ROCPRIM_400000_NS6detail17trampoline_kernelINS0_13select_configILj256ELj13ELNS0_17block_load_methodE3ELS4_3ELS4_3ELNS0_20block_scan_algorithmE0ELj4294967295EEENS1_25partition_config_selectorILNS1_17partition_subalgoE4EjNS0_10empty_typeEbEEZZNS1_14partition_implILS8_4ELb0ES6_15HIP_vector_typeIjLj2EENS0_17counting_iteratorIjlEEPS9_SG_NS0_5tupleIJPjSI_NS0_16reverse_iteratorISI_EEEEENSH_IJSG_SG_SG_EEES9_SI_JZNS1_25segmented_radix_sort_implINS0_14default_configELb0EPKaPaPKlPlN2at6native12_GLOBAL__N_18offset_tEEE10hipError_tPvRmT1_PNSt15iterator_traitsIS12_E10value_typeET2_T3_PNS13_IS18_E10value_typeET4_jRbjT5_S1E_jjP12ihipStream_tbEUljE_ZNSN_ISO_Lb0ESQ_SR_ST_SU_SY_EESZ_S10_S11_S12_S16_S17_S18_S1B_S1C_jS1D_jS1E_S1E_jjS1G_bEUljE0_EEESZ_S10_S11_S18_S1C_S1E_T6_T7_T9_mT8_S1G_bDpT10_ENKUlT_T0_E_clISt17integral_constantIbLb1EES1T_IbLb0EEEEDaS1P_S1Q_EUlS1P_E_NS1_11comp_targetILNS1_3genE3ELNS1_11target_archE908ELNS1_3gpuE7ELNS1_3repE0EEENS1_30default_config_static_selectorELNS0_4arch9wavefront6targetE1EEEvS12_,comdat
	.globl	_ZN7rocprim17ROCPRIM_400000_NS6detail17trampoline_kernelINS0_13select_configILj256ELj13ELNS0_17block_load_methodE3ELS4_3ELS4_3ELNS0_20block_scan_algorithmE0ELj4294967295EEENS1_25partition_config_selectorILNS1_17partition_subalgoE4EjNS0_10empty_typeEbEEZZNS1_14partition_implILS8_4ELb0ES6_15HIP_vector_typeIjLj2EENS0_17counting_iteratorIjlEEPS9_SG_NS0_5tupleIJPjSI_NS0_16reverse_iteratorISI_EEEEENSH_IJSG_SG_SG_EEES9_SI_JZNS1_25segmented_radix_sort_implINS0_14default_configELb0EPKaPaPKlPlN2at6native12_GLOBAL__N_18offset_tEEE10hipError_tPvRmT1_PNSt15iterator_traitsIS12_E10value_typeET2_T3_PNS13_IS18_E10value_typeET4_jRbjT5_S1E_jjP12ihipStream_tbEUljE_ZNSN_ISO_Lb0ESQ_SR_ST_SU_SY_EESZ_S10_S11_S12_S16_S17_S18_S1B_S1C_jS1D_jS1E_S1E_jjS1G_bEUljE0_EEESZ_S10_S11_S18_S1C_S1E_T6_T7_T9_mT8_S1G_bDpT10_ENKUlT_T0_E_clISt17integral_constantIbLb1EES1T_IbLb0EEEEDaS1P_S1Q_EUlS1P_E_NS1_11comp_targetILNS1_3genE3ELNS1_11target_archE908ELNS1_3gpuE7ELNS1_3repE0EEENS1_30default_config_static_selectorELNS0_4arch9wavefront6targetE1EEEvS12_ ; -- Begin function _ZN7rocprim17ROCPRIM_400000_NS6detail17trampoline_kernelINS0_13select_configILj256ELj13ELNS0_17block_load_methodE3ELS4_3ELS4_3ELNS0_20block_scan_algorithmE0ELj4294967295EEENS1_25partition_config_selectorILNS1_17partition_subalgoE4EjNS0_10empty_typeEbEEZZNS1_14partition_implILS8_4ELb0ES6_15HIP_vector_typeIjLj2EENS0_17counting_iteratorIjlEEPS9_SG_NS0_5tupleIJPjSI_NS0_16reverse_iteratorISI_EEEEENSH_IJSG_SG_SG_EEES9_SI_JZNS1_25segmented_radix_sort_implINS0_14default_configELb0EPKaPaPKlPlN2at6native12_GLOBAL__N_18offset_tEEE10hipError_tPvRmT1_PNSt15iterator_traitsIS12_E10value_typeET2_T3_PNS13_IS18_E10value_typeET4_jRbjT5_S1E_jjP12ihipStream_tbEUljE_ZNSN_ISO_Lb0ESQ_SR_ST_SU_SY_EESZ_S10_S11_S12_S16_S17_S18_S1B_S1C_jS1D_jS1E_S1E_jjS1G_bEUljE0_EEESZ_S10_S11_S18_S1C_S1E_T6_T7_T9_mT8_S1G_bDpT10_ENKUlT_T0_E_clISt17integral_constantIbLb1EES1T_IbLb0EEEEDaS1P_S1Q_EUlS1P_E_NS1_11comp_targetILNS1_3genE3ELNS1_11target_archE908ELNS1_3gpuE7ELNS1_3repE0EEENS1_30default_config_static_selectorELNS0_4arch9wavefront6targetE1EEEvS12_
	.p2align	8
	.type	_ZN7rocprim17ROCPRIM_400000_NS6detail17trampoline_kernelINS0_13select_configILj256ELj13ELNS0_17block_load_methodE3ELS4_3ELS4_3ELNS0_20block_scan_algorithmE0ELj4294967295EEENS1_25partition_config_selectorILNS1_17partition_subalgoE4EjNS0_10empty_typeEbEEZZNS1_14partition_implILS8_4ELb0ES6_15HIP_vector_typeIjLj2EENS0_17counting_iteratorIjlEEPS9_SG_NS0_5tupleIJPjSI_NS0_16reverse_iteratorISI_EEEEENSH_IJSG_SG_SG_EEES9_SI_JZNS1_25segmented_radix_sort_implINS0_14default_configELb0EPKaPaPKlPlN2at6native12_GLOBAL__N_18offset_tEEE10hipError_tPvRmT1_PNSt15iterator_traitsIS12_E10value_typeET2_T3_PNS13_IS18_E10value_typeET4_jRbjT5_S1E_jjP12ihipStream_tbEUljE_ZNSN_ISO_Lb0ESQ_SR_ST_SU_SY_EESZ_S10_S11_S12_S16_S17_S18_S1B_S1C_jS1D_jS1E_S1E_jjS1G_bEUljE0_EEESZ_S10_S11_S18_S1C_S1E_T6_T7_T9_mT8_S1G_bDpT10_ENKUlT_T0_E_clISt17integral_constantIbLb1EES1T_IbLb0EEEEDaS1P_S1Q_EUlS1P_E_NS1_11comp_targetILNS1_3genE3ELNS1_11target_archE908ELNS1_3gpuE7ELNS1_3repE0EEENS1_30default_config_static_selectorELNS0_4arch9wavefront6targetE1EEEvS12_,@function
_ZN7rocprim17ROCPRIM_400000_NS6detail17trampoline_kernelINS0_13select_configILj256ELj13ELNS0_17block_load_methodE3ELS4_3ELS4_3ELNS0_20block_scan_algorithmE0ELj4294967295EEENS1_25partition_config_selectorILNS1_17partition_subalgoE4EjNS0_10empty_typeEbEEZZNS1_14partition_implILS8_4ELb0ES6_15HIP_vector_typeIjLj2EENS0_17counting_iteratorIjlEEPS9_SG_NS0_5tupleIJPjSI_NS0_16reverse_iteratorISI_EEEEENSH_IJSG_SG_SG_EEES9_SI_JZNS1_25segmented_radix_sort_implINS0_14default_configELb0EPKaPaPKlPlN2at6native12_GLOBAL__N_18offset_tEEE10hipError_tPvRmT1_PNSt15iterator_traitsIS12_E10value_typeET2_T3_PNS13_IS18_E10value_typeET4_jRbjT5_S1E_jjP12ihipStream_tbEUljE_ZNSN_ISO_Lb0ESQ_SR_ST_SU_SY_EESZ_S10_S11_S12_S16_S17_S18_S1B_S1C_jS1D_jS1E_S1E_jjS1G_bEUljE0_EEESZ_S10_S11_S18_S1C_S1E_T6_T7_T9_mT8_S1G_bDpT10_ENKUlT_T0_E_clISt17integral_constantIbLb1EES1T_IbLb0EEEEDaS1P_S1Q_EUlS1P_E_NS1_11comp_targetILNS1_3genE3ELNS1_11target_archE908ELNS1_3gpuE7ELNS1_3repE0EEENS1_30default_config_static_selectorELNS0_4arch9wavefront6targetE1EEEvS12_: ; @_ZN7rocprim17ROCPRIM_400000_NS6detail17trampoline_kernelINS0_13select_configILj256ELj13ELNS0_17block_load_methodE3ELS4_3ELS4_3ELNS0_20block_scan_algorithmE0ELj4294967295EEENS1_25partition_config_selectorILNS1_17partition_subalgoE4EjNS0_10empty_typeEbEEZZNS1_14partition_implILS8_4ELb0ES6_15HIP_vector_typeIjLj2EENS0_17counting_iteratorIjlEEPS9_SG_NS0_5tupleIJPjSI_NS0_16reverse_iteratorISI_EEEEENSH_IJSG_SG_SG_EEES9_SI_JZNS1_25segmented_radix_sort_implINS0_14default_configELb0EPKaPaPKlPlN2at6native12_GLOBAL__N_18offset_tEEE10hipError_tPvRmT1_PNSt15iterator_traitsIS12_E10value_typeET2_T3_PNS13_IS18_E10value_typeET4_jRbjT5_S1E_jjP12ihipStream_tbEUljE_ZNSN_ISO_Lb0ESQ_SR_ST_SU_SY_EESZ_S10_S11_S12_S16_S17_S18_S1B_S1C_jS1D_jS1E_S1E_jjS1G_bEUljE0_EEESZ_S10_S11_S18_S1C_S1E_T6_T7_T9_mT8_S1G_bDpT10_ENKUlT_T0_E_clISt17integral_constantIbLb1EES1T_IbLb0EEEEDaS1P_S1Q_EUlS1P_E_NS1_11comp_targetILNS1_3genE3ELNS1_11target_archE908ELNS1_3gpuE7ELNS1_3repE0EEENS1_30default_config_static_selectorELNS0_4arch9wavefront6targetE1EEEvS12_
; %bb.0:
	.section	.rodata,"a",@progbits
	.p2align	6, 0x0
	.amdhsa_kernel _ZN7rocprim17ROCPRIM_400000_NS6detail17trampoline_kernelINS0_13select_configILj256ELj13ELNS0_17block_load_methodE3ELS4_3ELS4_3ELNS0_20block_scan_algorithmE0ELj4294967295EEENS1_25partition_config_selectorILNS1_17partition_subalgoE4EjNS0_10empty_typeEbEEZZNS1_14partition_implILS8_4ELb0ES6_15HIP_vector_typeIjLj2EENS0_17counting_iteratorIjlEEPS9_SG_NS0_5tupleIJPjSI_NS0_16reverse_iteratorISI_EEEEENSH_IJSG_SG_SG_EEES9_SI_JZNS1_25segmented_radix_sort_implINS0_14default_configELb0EPKaPaPKlPlN2at6native12_GLOBAL__N_18offset_tEEE10hipError_tPvRmT1_PNSt15iterator_traitsIS12_E10value_typeET2_T3_PNS13_IS18_E10value_typeET4_jRbjT5_S1E_jjP12ihipStream_tbEUljE_ZNSN_ISO_Lb0ESQ_SR_ST_SU_SY_EESZ_S10_S11_S12_S16_S17_S18_S1B_S1C_jS1D_jS1E_S1E_jjS1G_bEUljE0_EEESZ_S10_S11_S18_S1C_S1E_T6_T7_T9_mT8_S1G_bDpT10_ENKUlT_T0_E_clISt17integral_constantIbLb1EES1T_IbLb0EEEEDaS1P_S1Q_EUlS1P_E_NS1_11comp_targetILNS1_3genE3ELNS1_11target_archE908ELNS1_3gpuE7ELNS1_3repE0EEENS1_30default_config_static_selectorELNS0_4arch9wavefront6targetE1EEEvS12_
		.amdhsa_group_segment_fixed_size 0
		.amdhsa_private_segment_fixed_size 0
		.amdhsa_kernarg_size 176
		.amdhsa_user_sgpr_count 6
		.amdhsa_user_sgpr_private_segment_buffer 1
		.amdhsa_user_sgpr_dispatch_ptr 0
		.amdhsa_user_sgpr_queue_ptr 0
		.amdhsa_user_sgpr_kernarg_segment_ptr 1
		.amdhsa_user_sgpr_dispatch_id 0
		.amdhsa_user_sgpr_flat_scratch_init 0
		.amdhsa_user_sgpr_private_segment_size 0
		.amdhsa_uses_dynamic_stack 0
		.amdhsa_system_sgpr_private_segment_wavefront_offset 0
		.amdhsa_system_sgpr_workgroup_id_x 1
		.amdhsa_system_sgpr_workgroup_id_y 0
		.amdhsa_system_sgpr_workgroup_id_z 0
		.amdhsa_system_sgpr_workgroup_info 0
		.amdhsa_system_vgpr_workitem_id 0
		.amdhsa_next_free_vgpr 1
		.amdhsa_next_free_sgpr 0
		.amdhsa_reserve_vcc 0
		.amdhsa_reserve_flat_scratch 0
		.amdhsa_float_round_mode_32 0
		.amdhsa_float_round_mode_16_64 0
		.amdhsa_float_denorm_mode_32 3
		.amdhsa_float_denorm_mode_16_64 3
		.amdhsa_dx10_clamp 1
		.amdhsa_ieee_mode 1
		.amdhsa_fp16_overflow 0
		.amdhsa_exception_fp_ieee_invalid_op 0
		.amdhsa_exception_fp_denorm_src 0
		.amdhsa_exception_fp_ieee_div_zero 0
		.amdhsa_exception_fp_ieee_overflow 0
		.amdhsa_exception_fp_ieee_underflow 0
		.amdhsa_exception_fp_ieee_inexact 0
		.amdhsa_exception_int_div_zero 0
	.end_amdhsa_kernel
	.section	.text._ZN7rocprim17ROCPRIM_400000_NS6detail17trampoline_kernelINS0_13select_configILj256ELj13ELNS0_17block_load_methodE3ELS4_3ELS4_3ELNS0_20block_scan_algorithmE0ELj4294967295EEENS1_25partition_config_selectorILNS1_17partition_subalgoE4EjNS0_10empty_typeEbEEZZNS1_14partition_implILS8_4ELb0ES6_15HIP_vector_typeIjLj2EENS0_17counting_iteratorIjlEEPS9_SG_NS0_5tupleIJPjSI_NS0_16reverse_iteratorISI_EEEEENSH_IJSG_SG_SG_EEES9_SI_JZNS1_25segmented_radix_sort_implINS0_14default_configELb0EPKaPaPKlPlN2at6native12_GLOBAL__N_18offset_tEEE10hipError_tPvRmT1_PNSt15iterator_traitsIS12_E10value_typeET2_T3_PNS13_IS18_E10value_typeET4_jRbjT5_S1E_jjP12ihipStream_tbEUljE_ZNSN_ISO_Lb0ESQ_SR_ST_SU_SY_EESZ_S10_S11_S12_S16_S17_S18_S1B_S1C_jS1D_jS1E_S1E_jjS1G_bEUljE0_EEESZ_S10_S11_S18_S1C_S1E_T6_T7_T9_mT8_S1G_bDpT10_ENKUlT_T0_E_clISt17integral_constantIbLb1EES1T_IbLb0EEEEDaS1P_S1Q_EUlS1P_E_NS1_11comp_targetILNS1_3genE3ELNS1_11target_archE908ELNS1_3gpuE7ELNS1_3repE0EEENS1_30default_config_static_selectorELNS0_4arch9wavefront6targetE1EEEvS12_,"axG",@progbits,_ZN7rocprim17ROCPRIM_400000_NS6detail17trampoline_kernelINS0_13select_configILj256ELj13ELNS0_17block_load_methodE3ELS4_3ELS4_3ELNS0_20block_scan_algorithmE0ELj4294967295EEENS1_25partition_config_selectorILNS1_17partition_subalgoE4EjNS0_10empty_typeEbEEZZNS1_14partition_implILS8_4ELb0ES6_15HIP_vector_typeIjLj2EENS0_17counting_iteratorIjlEEPS9_SG_NS0_5tupleIJPjSI_NS0_16reverse_iteratorISI_EEEEENSH_IJSG_SG_SG_EEES9_SI_JZNS1_25segmented_radix_sort_implINS0_14default_configELb0EPKaPaPKlPlN2at6native12_GLOBAL__N_18offset_tEEE10hipError_tPvRmT1_PNSt15iterator_traitsIS12_E10value_typeET2_T3_PNS13_IS18_E10value_typeET4_jRbjT5_S1E_jjP12ihipStream_tbEUljE_ZNSN_ISO_Lb0ESQ_SR_ST_SU_SY_EESZ_S10_S11_S12_S16_S17_S18_S1B_S1C_jS1D_jS1E_S1E_jjS1G_bEUljE0_EEESZ_S10_S11_S18_S1C_S1E_T6_T7_T9_mT8_S1G_bDpT10_ENKUlT_T0_E_clISt17integral_constantIbLb1EES1T_IbLb0EEEEDaS1P_S1Q_EUlS1P_E_NS1_11comp_targetILNS1_3genE3ELNS1_11target_archE908ELNS1_3gpuE7ELNS1_3repE0EEENS1_30default_config_static_selectorELNS0_4arch9wavefront6targetE1EEEvS12_,comdat
.Lfunc_end348:
	.size	_ZN7rocprim17ROCPRIM_400000_NS6detail17trampoline_kernelINS0_13select_configILj256ELj13ELNS0_17block_load_methodE3ELS4_3ELS4_3ELNS0_20block_scan_algorithmE0ELj4294967295EEENS1_25partition_config_selectorILNS1_17partition_subalgoE4EjNS0_10empty_typeEbEEZZNS1_14partition_implILS8_4ELb0ES6_15HIP_vector_typeIjLj2EENS0_17counting_iteratorIjlEEPS9_SG_NS0_5tupleIJPjSI_NS0_16reverse_iteratorISI_EEEEENSH_IJSG_SG_SG_EEES9_SI_JZNS1_25segmented_radix_sort_implINS0_14default_configELb0EPKaPaPKlPlN2at6native12_GLOBAL__N_18offset_tEEE10hipError_tPvRmT1_PNSt15iterator_traitsIS12_E10value_typeET2_T3_PNS13_IS18_E10value_typeET4_jRbjT5_S1E_jjP12ihipStream_tbEUljE_ZNSN_ISO_Lb0ESQ_SR_ST_SU_SY_EESZ_S10_S11_S12_S16_S17_S18_S1B_S1C_jS1D_jS1E_S1E_jjS1G_bEUljE0_EEESZ_S10_S11_S18_S1C_S1E_T6_T7_T9_mT8_S1G_bDpT10_ENKUlT_T0_E_clISt17integral_constantIbLb1EES1T_IbLb0EEEEDaS1P_S1Q_EUlS1P_E_NS1_11comp_targetILNS1_3genE3ELNS1_11target_archE908ELNS1_3gpuE7ELNS1_3repE0EEENS1_30default_config_static_selectorELNS0_4arch9wavefront6targetE1EEEvS12_, .Lfunc_end348-_ZN7rocprim17ROCPRIM_400000_NS6detail17trampoline_kernelINS0_13select_configILj256ELj13ELNS0_17block_load_methodE3ELS4_3ELS4_3ELNS0_20block_scan_algorithmE0ELj4294967295EEENS1_25partition_config_selectorILNS1_17partition_subalgoE4EjNS0_10empty_typeEbEEZZNS1_14partition_implILS8_4ELb0ES6_15HIP_vector_typeIjLj2EENS0_17counting_iteratorIjlEEPS9_SG_NS0_5tupleIJPjSI_NS0_16reverse_iteratorISI_EEEEENSH_IJSG_SG_SG_EEES9_SI_JZNS1_25segmented_radix_sort_implINS0_14default_configELb0EPKaPaPKlPlN2at6native12_GLOBAL__N_18offset_tEEE10hipError_tPvRmT1_PNSt15iterator_traitsIS12_E10value_typeET2_T3_PNS13_IS18_E10value_typeET4_jRbjT5_S1E_jjP12ihipStream_tbEUljE_ZNSN_ISO_Lb0ESQ_SR_ST_SU_SY_EESZ_S10_S11_S12_S16_S17_S18_S1B_S1C_jS1D_jS1E_S1E_jjS1G_bEUljE0_EEESZ_S10_S11_S18_S1C_S1E_T6_T7_T9_mT8_S1G_bDpT10_ENKUlT_T0_E_clISt17integral_constantIbLb1EES1T_IbLb0EEEEDaS1P_S1Q_EUlS1P_E_NS1_11comp_targetILNS1_3genE3ELNS1_11target_archE908ELNS1_3gpuE7ELNS1_3repE0EEENS1_30default_config_static_selectorELNS0_4arch9wavefront6targetE1EEEvS12_
                                        ; -- End function
	.set _ZN7rocprim17ROCPRIM_400000_NS6detail17trampoline_kernelINS0_13select_configILj256ELj13ELNS0_17block_load_methodE3ELS4_3ELS4_3ELNS0_20block_scan_algorithmE0ELj4294967295EEENS1_25partition_config_selectorILNS1_17partition_subalgoE4EjNS0_10empty_typeEbEEZZNS1_14partition_implILS8_4ELb0ES6_15HIP_vector_typeIjLj2EENS0_17counting_iteratorIjlEEPS9_SG_NS0_5tupleIJPjSI_NS0_16reverse_iteratorISI_EEEEENSH_IJSG_SG_SG_EEES9_SI_JZNS1_25segmented_radix_sort_implINS0_14default_configELb0EPKaPaPKlPlN2at6native12_GLOBAL__N_18offset_tEEE10hipError_tPvRmT1_PNSt15iterator_traitsIS12_E10value_typeET2_T3_PNS13_IS18_E10value_typeET4_jRbjT5_S1E_jjP12ihipStream_tbEUljE_ZNSN_ISO_Lb0ESQ_SR_ST_SU_SY_EESZ_S10_S11_S12_S16_S17_S18_S1B_S1C_jS1D_jS1E_S1E_jjS1G_bEUljE0_EEESZ_S10_S11_S18_S1C_S1E_T6_T7_T9_mT8_S1G_bDpT10_ENKUlT_T0_E_clISt17integral_constantIbLb1EES1T_IbLb0EEEEDaS1P_S1Q_EUlS1P_E_NS1_11comp_targetILNS1_3genE3ELNS1_11target_archE908ELNS1_3gpuE7ELNS1_3repE0EEENS1_30default_config_static_selectorELNS0_4arch9wavefront6targetE1EEEvS12_.num_vgpr, 0
	.set _ZN7rocprim17ROCPRIM_400000_NS6detail17trampoline_kernelINS0_13select_configILj256ELj13ELNS0_17block_load_methodE3ELS4_3ELS4_3ELNS0_20block_scan_algorithmE0ELj4294967295EEENS1_25partition_config_selectorILNS1_17partition_subalgoE4EjNS0_10empty_typeEbEEZZNS1_14partition_implILS8_4ELb0ES6_15HIP_vector_typeIjLj2EENS0_17counting_iteratorIjlEEPS9_SG_NS0_5tupleIJPjSI_NS0_16reverse_iteratorISI_EEEEENSH_IJSG_SG_SG_EEES9_SI_JZNS1_25segmented_radix_sort_implINS0_14default_configELb0EPKaPaPKlPlN2at6native12_GLOBAL__N_18offset_tEEE10hipError_tPvRmT1_PNSt15iterator_traitsIS12_E10value_typeET2_T3_PNS13_IS18_E10value_typeET4_jRbjT5_S1E_jjP12ihipStream_tbEUljE_ZNSN_ISO_Lb0ESQ_SR_ST_SU_SY_EESZ_S10_S11_S12_S16_S17_S18_S1B_S1C_jS1D_jS1E_S1E_jjS1G_bEUljE0_EEESZ_S10_S11_S18_S1C_S1E_T6_T7_T9_mT8_S1G_bDpT10_ENKUlT_T0_E_clISt17integral_constantIbLb1EES1T_IbLb0EEEEDaS1P_S1Q_EUlS1P_E_NS1_11comp_targetILNS1_3genE3ELNS1_11target_archE908ELNS1_3gpuE7ELNS1_3repE0EEENS1_30default_config_static_selectorELNS0_4arch9wavefront6targetE1EEEvS12_.num_agpr, 0
	.set _ZN7rocprim17ROCPRIM_400000_NS6detail17trampoline_kernelINS0_13select_configILj256ELj13ELNS0_17block_load_methodE3ELS4_3ELS4_3ELNS0_20block_scan_algorithmE0ELj4294967295EEENS1_25partition_config_selectorILNS1_17partition_subalgoE4EjNS0_10empty_typeEbEEZZNS1_14partition_implILS8_4ELb0ES6_15HIP_vector_typeIjLj2EENS0_17counting_iteratorIjlEEPS9_SG_NS0_5tupleIJPjSI_NS0_16reverse_iteratorISI_EEEEENSH_IJSG_SG_SG_EEES9_SI_JZNS1_25segmented_radix_sort_implINS0_14default_configELb0EPKaPaPKlPlN2at6native12_GLOBAL__N_18offset_tEEE10hipError_tPvRmT1_PNSt15iterator_traitsIS12_E10value_typeET2_T3_PNS13_IS18_E10value_typeET4_jRbjT5_S1E_jjP12ihipStream_tbEUljE_ZNSN_ISO_Lb0ESQ_SR_ST_SU_SY_EESZ_S10_S11_S12_S16_S17_S18_S1B_S1C_jS1D_jS1E_S1E_jjS1G_bEUljE0_EEESZ_S10_S11_S18_S1C_S1E_T6_T7_T9_mT8_S1G_bDpT10_ENKUlT_T0_E_clISt17integral_constantIbLb1EES1T_IbLb0EEEEDaS1P_S1Q_EUlS1P_E_NS1_11comp_targetILNS1_3genE3ELNS1_11target_archE908ELNS1_3gpuE7ELNS1_3repE0EEENS1_30default_config_static_selectorELNS0_4arch9wavefront6targetE1EEEvS12_.numbered_sgpr, 0
	.set _ZN7rocprim17ROCPRIM_400000_NS6detail17trampoline_kernelINS0_13select_configILj256ELj13ELNS0_17block_load_methodE3ELS4_3ELS4_3ELNS0_20block_scan_algorithmE0ELj4294967295EEENS1_25partition_config_selectorILNS1_17partition_subalgoE4EjNS0_10empty_typeEbEEZZNS1_14partition_implILS8_4ELb0ES6_15HIP_vector_typeIjLj2EENS0_17counting_iteratorIjlEEPS9_SG_NS0_5tupleIJPjSI_NS0_16reverse_iteratorISI_EEEEENSH_IJSG_SG_SG_EEES9_SI_JZNS1_25segmented_radix_sort_implINS0_14default_configELb0EPKaPaPKlPlN2at6native12_GLOBAL__N_18offset_tEEE10hipError_tPvRmT1_PNSt15iterator_traitsIS12_E10value_typeET2_T3_PNS13_IS18_E10value_typeET4_jRbjT5_S1E_jjP12ihipStream_tbEUljE_ZNSN_ISO_Lb0ESQ_SR_ST_SU_SY_EESZ_S10_S11_S12_S16_S17_S18_S1B_S1C_jS1D_jS1E_S1E_jjS1G_bEUljE0_EEESZ_S10_S11_S18_S1C_S1E_T6_T7_T9_mT8_S1G_bDpT10_ENKUlT_T0_E_clISt17integral_constantIbLb1EES1T_IbLb0EEEEDaS1P_S1Q_EUlS1P_E_NS1_11comp_targetILNS1_3genE3ELNS1_11target_archE908ELNS1_3gpuE7ELNS1_3repE0EEENS1_30default_config_static_selectorELNS0_4arch9wavefront6targetE1EEEvS12_.num_named_barrier, 0
	.set _ZN7rocprim17ROCPRIM_400000_NS6detail17trampoline_kernelINS0_13select_configILj256ELj13ELNS0_17block_load_methodE3ELS4_3ELS4_3ELNS0_20block_scan_algorithmE0ELj4294967295EEENS1_25partition_config_selectorILNS1_17partition_subalgoE4EjNS0_10empty_typeEbEEZZNS1_14partition_implILS8_4ELb0ES6_15HIP_vector_typeIjLj2EENS0_17counting_iteratorIjlEEPS9_SG_NS0_5tupleIJPjSI_NS0_16reverse_iteratorISI_EEEEENSH_IJSG_SG_SG_EEES9_SI_JZNS1_25segmented_radix_sort_implINS0_14default_configELb0EPKaPaPKlPlN2at6native12_GLOBAL__N_18offset_tEEE10hipError_tPvRmT1_PNSt15iterator_traitsIS12_E10value_typeET2_T3_PNS13_IS18_E10value_typeET4_jRbjT5_S1E_jjP12ihipStream_tbEUljE_ZNSN_ISO_Lb0ESQ_SR_ST_SU_SY_EESZ_S10_S11_S12_S16_S17_S18_S1B_S1C_jS1D_jS1E_S1E_jjS1G_bEUljE0_EEESZ_S10_S11_S18_S1C_S1E_T6_T7_T9_mT8_S1G_bDpT10_ENKUlT_T0_E_clISt17integral_constantIbLb1EES1T_IbLb0EEEEDaS1P_S1Q_EUlS1P_E_NS1_11comp_targetILNS1_3genE3ELNS1_11target_archE908ELNS1_3gpuE7ELNS1_3repE0EEENS1_30default_config_static_selectorELNS0_4arch9wavefront6targetE1EEEvS12_.private_seg_size, 0
	.set _ZN7rocprim17ROCPRIM_400000_NS6detail17trampoline_kernelINS0_13select_configILj256ELj13ELNS0_17block_load_methodE3ELS4_3ELS4_3ELNS0_20block_scan_algorithmE0ELj4294967295EEENS1_25partition_config_selectorILNS1_17partition_subalgoE4EjNS0_10empty_typeEbEEZZNS1_14partition_implILS8_4ELb0ES6_15HIP_vector_typeIjLj2EENS0_17counting_iteratorIjlEEPS9_SG_NS0_5tupleIJPjSI_NS0_16reverse_iteratorISI_EEEEENSH_IJSG_SG_SG_EEES9_SI_JZNS1_25segmented_radix_sort_implINS0_14default_configELb0EPKaPaPKlPlN2at6native12_GLOBAL__N_18offset_tEEE10hipError_tPvRmT1_PNSt15iterator_traitsIS12_E10value_typeET2_T3_PNS13_IS18_E10value_typeET4_jRbjT5_S1E_jjP12ihipStream_tbEUljE_ZNSN_ISO_Lb0ESQ_SR_ST_SU_SY_EESZ_S10_S11_S12_S16_S17_S18_S1B_S1C_jS1D_jS1E_S1E_jjS1G_bEUljE0_EEESZ_S10_S11_S18_S1C_S1E_T6_T7_T9_mT8_S1G_bDpT10_ENKUlT_T0_E_clISt17integral_constantIbLb1EES1T_IbLb0EEEEDaS1P_S1Q_EUlS1P_E_NS1_11comp_targetILNS1_3genE3ELNS1_11target_archE908ELNS1_3gpuE7ELNS1_3repE0EEENS1_30default_config_static_selectorELNS0_4arch9wavefront6targetE1EEEvS12_.uses_vcc, 0
	.set _ZN7rocprim17ROCPRIM_400000_NS6detail17trampoline_kernelINS0_13select_configILj256ELj13ELNS0_17block_load_methodE3ELS4_3ELS4_3ELNS0_20block_scan_algorithmE0ELj4294967295EEENS1_25partition_config_selectorILNS1_17partition_subalgoE4EjNS0_10empty_typeEbEEZZNS1_14partition_implILS8_4ELb0ES6_15HIP_vector_typeIjLj2EENS0_17counting_iteratorIjlEEPS9_SG_NS0_5tupleIJPjSI_NS0_16reverse_iteratorISI_EEEEENSH_IJSG_SG_SG_EEES9_SI_JZNS1_25segmented_radix_sort_implINS0_14default_configELb0EPKaPaPKlPlN2at6native12_GLOBAL__N_18offset_tEEE10hipError_tPvRmT1_PNSt15iterator_traitsIS12_E10value_typeET2_T3_PNS13_IS18_E10value_typeET4_jRbjT5_S1E_jjP12ihipStream_tbEUljE_ZNSN_ISO_Lb0ESQ_SR_ST_SU_SY_EESZ_S10_S11_S12_S16_S17_S18_S1B_S1C_jS1D_jS1E_S1E_jjS1G_bEUljE0_EEESZ_S10_S11_S18_S1C_S1E_T6_T7_T9_mT8_S1G_bDpT10_ENKUlT_T0_E_clISt17integral_constantIbLb1EES1T_IbLb0EEEEDaS1P_S1Q_EUlS1P_E_NS1_11comp_targetILNS1_3genE3ELNS1_11target_archE908ELNS1_3gpuE7ELNS1_3repE0EEENS1_30default_config_static_selectorELNS0_4arch9wavefront6targetE1EEEvS12_.uses_flat_scratch, 0
	.set _ZN7rocprim17ROCPRIM_400000_NS6detail17trampoline_kernelINS0_13select_configILj256ELj13ELNS0_17block_load_methodE3ELS4_3ELS4_3ELNS0_20block_scan_algorithmE0ELj4294967295EEENS1_25partition_config_selectorILNS1_17partition_subalgoE4EjNS0_10empty_typeEbEEZZNS1_14partition_implILS8_4ELb0ES6_15HIP_vector_typeIjLj2EENS0_17counting_iteratorIjlEEPS9_SG_NS0_5tupleIJPjSI_NS0_16reverse_iteratorISI_EEEEENSH_IJSG_SG_SG_EEES9_SI_JZNS1_25segmented_radix_sort_implINS0_14default_configELb0EPKaPaPKlPlN2at6native12_GLOBAL__N_18offset_tEEE10hipError_tPvRmT1_PNSt15iterator_traitsIS12_E10value_typeET2_T3_PNS13_IS18_E10value_typeET4_jRbjT5_S1E_jjP12ihipStream_tbEUljE_ZNSN_ISO_Lb0ESQ_SR_ST_SU_SY_EESZ_S10_S11_S12_S16_S17_S18_S1B_S1C_jS1D_jS1E_S1E_jjS1G_bEUljE0_EEESZ_S10_S11_S18_S1C_S1E_T6_T7_T9_mT8_S1G_bDpT10_ENKUlT_T0_E_clISt17integral_constantIbLb1EES1T_IbLb0EEEEDaS1P_S1Q_EUlS1P_E_NS1_11comp_targetILNS1_3genE3ELNS1_11target_archE908ELNS1_3gpuE7ELNS1_3repE0EEENS1_30default_config_static_selectorELNS0_4arch9wavefront6targetE1EEEvS12_.has_dyn_sized_stack, 0
	.set _ZN7rocprim17ROCPRIM_400000_NS6detail17trampoline_kernelINS0_13select_configILj256ELj13ELNS0_17block_load_methodE3ELS4_3ELS4_3ELNS0_20block_scan_algorithmE0ELj4294967295EEENS1_25partition_config_selectorILNS1_17partition_subalgoE4EjNS0_10empty_typeEbEEZZNS1_14partition_implILS8_4ELb0ES6_15HIP_vector_typeIjLj2EENS0_17counting_iteratorIjlEEPS9_SG_NS0_5tupleIJPjSI_NS0_16reverse_iteratorISI_EEEEENSH_IJSG_SG_SG_EEES9_SI_JZNS1_25segmented_radix_sort_implINS0_14default_configELb0EPKaPaPKlPlN2at6native12_GLOBAL__N_18offset_tEEE10hipError_tPvRmT1_PNSt15iterator_traitsIS12_E10value_typeET2_T3_PNS13_IS18_E10value_typeET4_jRbjT5_S1E_jjP12ihipStream_tbEUljE_ZNSN_ISO_Lb0ESQ_SR_ST_SU_SY_EESZ_S10_S11_S12_S16_S17_S18_S1B_S1C_jS1D_jS1E_S1E_jjS1G_bEUljE0_EEESZ_S10_S11_S18_S1C_S1E_T6_T7_T9_mT8_S1G_bDpT10_ENKUlT_T0_E_clISt17integral_constantIbLb1EES1T_IbLb0EEEEDaS1P_S1Q_EUlS1P_E_NS1_11comp_targetILNS1_3genE3ELNS1_11target_archE908ELNS1_3gpuE7ELNS1_3repE0EEENS1_30default_config_static_selectorELNS0_4arch9wavefront6targetE1EEEvS12_.has_recursion, 0
	.set _ZN7rocprim17ROCPRIM_400000_NS6detail17trampoline_kernelINS0_13select_configILj256ELj13ELNS0_17block_load_methodE3ELS4_3ELS4_3ELNS0_20block_scan_algorithmE0ELj4294967295EEENS1_25partition_config_selectorILNS1_17partition_subalgoE4EjNS0_10empty_typeEbEEZZNS1_14partition_implILS8_4ELb0ES6_15HIP_vector_typeIjLj2EENS0_17counting_iteratorIjlEEPS9_SG_NS0_5tupleIJPjSI_NS0_16reverse_iteratorISI_EEEEENSH_IJSG_SG_SG_EEES9_SI_JZNS1_25segmented_radix_sort_implINS0_14default_configELb0EPKaPaPKlPlN2at6native12_GLOBAL__N_18offset_tEEE10hipError_tPvRmT1_PNSt15iterator_traitsIS12_E10value_typeET2_T3_PNS13_IS18_E10value_typeET4_jRbjT5_S1E_jjP12ihipStream_tbEUljE_ZNSN_ISO_Lb0ESQ_SR_ST_SU_SY_EESZ_S10_S11_S12_S16_S17_S18_S1B_S1C_jS1D_jS1E_S1E_jjS1G_bEUljE0_EEESZ_S10_S11_S18_S1C_S1E_T6_T7_T9_mT8_S1G_bDpT10_ENKUlT_T0_E_clISt17integral_constantIbLb1EES1T_IbLb0EEEEDaS1P_S1Q_EUlS1P_E_NS1_11comp_targetILNS1_3genE3ELNS1_11target_archE908ELNS1_3gpuE7ELNS1_3repE0EEENS1_30default_config_static_selectorELNS0_4arch9wavefront6targetE1EEEvS12_.has_indirect_call, 0
	.section	.AMDGPU.csdata,"",@progbits
; Kernel info:
; codeLenInByte = 0
; TotalNumSgprs: 4
; NumVgprs: 0
; ScratchSize: 0
; MemoryBound: 0
; FloatMode: 240
; IeeeMode: 1
; LDSByteSize: 0 bytes/workgroup (compile time only)
; SGPRBlocks: 0
; VGPRBlocks: 0
; NumSGPRsForWavesPerEU: 4
; NumVGPRsForWavesPerEU: 1
; Occupancy: 10
; WaveLimiterHint : 0
; COMPUTE_PGM_RSRC2:SCRATCH_EN: 0
; COMPUTE_PGM_RSRC2:USER_SGPR: 6
; COMPUTE_PGM_RSRC2:TRAP_HANDLER: 0
; COMPUTE_PGM_RSRC2:TGID_X_EN: 1
; COMPUTE_PGM_RSRC2:TGID_Y_EN: 0
; COMPUTE_PGM_RSRC2:TGID_Z_EN: 0
; COMPUTE_PGM_RSRC2:TIDIG_COMP_CNT: 0
	.section	.text._ZN7rocprim17ROCPRIM_400000_NS6detail17trampoline_kernelINS0_13select_configILj256ELj13ELNS0_17block_load_methodE3ELS4_3ELS4_3ELNS0_20block_scan_algorithmE0ELj4294967295EEENS1_25partition_config_selectorILNS1_17partition_subalgoE4EjNS0_10empty_typeEbEEZZNS1_14partition_implILS8_4ELb0ES6_15HIP_vector_typeIjLj2EENS0_17counting_iteratorIjlEEPS9_SG_NS0_5tupleIJPjSI_NS0_16reverse_iteratorISI_EEEEENSH_IJSG_SG_SG_EEES9_SI_JZNS1_25segmented_radix_sort_implINS0_14default_configELb0EPKaPaPKlPlN2at6native12_GLOBAL__N_18offset_tEEE10hipError_tPvRmT1_PNSt15iterator_traitsIS12_E10value_typeET2_T3_PNS13_IS18_E10value_typeET4_jRbjT5_S1E_jjP12ihipStream_tbEUljE_ZNSN_ISO_Lb0ESQ_SR_ST_SU_SY_EESZ_S10_S11_S12_S16_S17_S18_S1B_S1C_jS1D_jS1E_S1E_jjS1G_bEUljE0_EEESZ_S10_S11_S18_S1C_S1E_T6_T7_T9_mT8_S1G_bDpT10_ENKUlT_T0_E_clISt17integral_constantIbLb1EES1T_IbLb0EEEEDaS1P_S1Q_EUlS1P_E_NS1_11comp_targetILNS1_3genE2ELNS1_11target_archE906ELNS1_3gpuE6ELNS1_3repE0EEENS1_30default_config_static_selectorELNS0_4arch9wavefront6targetE1EEEvS12_,"axG",@progbits,_ZN7rocprim17ROCPRIM_400000_NS6detail17trampoline_kernelINS0_13select_configILj256ELj13ELNS0_17block_load_methodE3ELS4_3ELS4_3ELNS0_20block_scan_algorithmE0ELj4294967295EEENS1_25partition_config_selectorILNS1_17partition_subalgoE4EjNS0_10empty_typeEbEEZZNS1_14partition_implILS8_4ELb0ES6_15HIP_vector_typeIjLj2EENS0_17counting_iteratorIjlEEPS9_SG_NS0_5tupleIJPjSI_NS0_16reverse_iteratorISI_EEEEENSH_IJSG_SG_SG_EEES9_SI_JZNS1_25segmented_radix_sort_implINS0_14default_configELb0EPKaPaPKlPlN2at6native12_GLOBAL__N_18offset_tEEE10hipError_tPvRmT1_PNSt15iterator_traitsIS12_E10value_typeET2_T3_PNS13_IS18_E10value_typeET4_jRbjT5_S1E_jjP12ihipStream_tbEUljE_ZNSN_ISO_Lb0ESQ_SR_ST_SU_SY_EESZ_S10_S11_S12_S16_S17_S18_S1B_S1C_jS1D_jS1E_S1E_jjS1G_bEUljE0_EEESZ_S10_S11_S18_S1C_S1E_T6_T7_T9_mT8_S1G_bDpT10_ENKUlT_T0_E_clISt17integral_constantIbLb1EES1T_IbLb0EEEEDaS1P_S1Q_EUlS1P_E_NS1_11comp_targetILNS1_3genE2ELNS1_11target_archE906ELNS1_3gpuE6ELNS1_3repE0EEENS1_30default_config_static_selectorELNS0_4arch9wavefront6targetE1EEEvS12_,comdat
	.globl	_ZN7rocprim17ROCPRIM_400000_NS6detail17trampoline_kernelINS0_13select_configILj256ELj13ELNS0_17block_load_methodE3ELS4_3ELS4_3ELNS0_20block_scan_algorithmE0ELj4294967295EEENS1_25partition_config_selectorILNS1_17partition_subalgoE4EjNS0_10empty_typeEbEEZZNS1_14partition_implILS8_4ELb0ES6_15HIP_vector_typeIjLj2EENS0_17counting_iteratorIjlEEPS9_SG_NS0_5tupleIJPjSI_NS0_16reverse_iteratorISI_EEEEENSH_IJSG_SG_SG_EEES9_SI_JZNS1_25segmented_radix_sort_implINS0_14default_configELb0EPKaPaPKlPlN2at6native12_GLOBAL__N_18offset_tEEE10hipError_tPvRmT1_PNSt15iterator_traitsIS12_E10value_typeET2_T3_PNS13_IS18_E10value_typeET4_jRbjT5_S1E_jjP12ihipStream_tbEUljE_ZNSN_ISO_Lb0ESQ_SR_ST_SU_SY_EESZ_S10_S11_S12_S16_S17_S18_S1B_S1C_jS1D_jS1E_S1E_jjS1G_bEUljE0_EEESZ_S10_S11_S18_S1C_S1E_T6_T7_T9_mT8_S1G_bDpT10_ENKUlT_T0_E_clISt17integral_constantIbLb1EES1T_IbLb0EEEEDaS1P_S1Q_EUlS1P_E_NS1_11comp_targetILNS1_3genE2ELNS1_11target_archE906ELNS1_3gpuE6ELNS1_3repE0EEENS1_30default_config_static_selectorELNS0_4arch9wavefront6targetE1EEEvS12_ ; -- Begin function _ZN7rocprim17ROCPRIM_400000_NS6detail17trampoline_kernelINS0_13select_configILj256ELj13ELNS0_17block_load_methodE3ELS4_3ELS4_3ELNS0_20block_scan_algorithmE0ELj4294967295EEENS1_25partition_config_selectorILNS1_17partition_subalgoE4EjNS0_10empty_typeEbEEZZNS1_14partition_implILS8_4ELb0ES6_15HIP_vector_typeIjLj2EENS0_17counting_iteratorIjlEEPS9_SG_NS0_5tupleIJPjSI_NS0_16reverse_iteratorISI_EEEEENSH_IJSG_SG_SG_EEES9_SI_JZNS1_25segmented_radix_sort_implINS0_14default_configELb0EPKaPaPKlPlN2at6native12_GLOBAL__N_18offset_tEEE10hipError_tPvRmT1_PNSt15iterator_traitsIS12_E10value_typeET2_T3_PNS13_IS18_E10value_typeET4_jRbjT5_S1E_jjP12ihipStream_tbEUljE_ZNSN_ISO_Lb0ESQ_SR_ST_SU_SY_EESZ_S10_S11_S12_S16_S17_S18_S1B_S1C_jS1D_jS1E_S1E_jjS1G_bEUljE0_EEESZ_S10_S11_S18_S1C_S1E_T6_T7_T9_mT8_S1G_bDpT10_ENKUlT_T0_E_clISt17integral_constantIbLb1EES1T_IbLb0EEEEDaS1P_S1Q_EUlS1P_E_NS1_11comp_targetILNS1_3genE2ELNS1_11target_archE906ELNS1_3gpuE6ELNS1_3repE0EEENS1_30default_config_static_selectorELNS0_4arch9wavefront6targetE1EEEvS12_
	.p2align	8
	.type	_ZN7rocprim17ROCPRIM_400000_NS6detail17trampoline_kernelINS0_13select_configILj256ELj13ELNS0_17block_load_methodE3ELS4_3ELS4_3ELNS0_20block_scan_algorithmE0ELj4294967295EEENS1_25partition_config_selectorILNS1_17partition_subalgoE4EjNS0_10empty_typeEbEEZZNS1_14partition_implILS8_4ELb0ES6_15HIP_vector_typeIjLj2EENS0_17counting_iteratorIjlEEPS9_SG_NS0_5tupleIJPjSI_NS0_16reverse_iteratorISI_EEEEENSH_IJSG_SG_SG_EEES9_SI_JZNS1_25segmented_radix_sort_implINS0_14default_configELb0EPKaPaPKlPlN2at6native12_GLOBAL__N_18offset_tEEE10hipError_tPvRmT1_PNSt15iterator_traitsIS12_E10value_typeET2_T3_PNS13_IS18_E10value_typeET4_jRbjT5_S1E_jjP12ihipStream_tbEUljE_ZNSN_ISO_Lb0ESQ_SR_ST_SU_SY_EESZ_S10_S11_S12_S16_S17_S18_S1B_S1C_jS1D_jS1E_S1E_jjS1G_bEUljE0_EEESZ_S10_S11_S18_S1C_S1E_T6_T7_T9_mT8_S1G_bDpT10_ENKUlT_T0_E_clISt17integral_constantIbLb1EES1T_IbLb0EEEEDaS1P_S1Q_EUlS1P_E_NS1_11comp_targetILNS1_3genE2ELNS1_11target_archE906ELNS1_3gpuE6ELNS1_3repE0EEENS1_30default_config_static_selectorELNS0_4arch9wavefront6targetE1EEEvS12_,@function
_ZN7rocprim17ROCPRIM_400000_NS6detail17trampoline_kernelINS0_13select_configILj256ELj13ELNS0_17block_load_methodE3ELS4_3ELS4_3ELNS0_20block_scan_algorithmE0ELj4294967295EEENS1_25partition_config_selectorILNS1_17partition_subalgoE4EjNS0_10empty_typeEbEEZZNS1_14partition_implILS8_4ELb0ES6_15HIP_vector_typeIjLj2EENS0_17counting_iteratorIjlEEPS9_SG_NS0_5tupleIJPjSI_NS0_16reverse_iteratorISI_EEEEENSH_IJSG_SG_SG_EEES9_SI_JZNS1_25segmented_radix_sort_implINS0_14default_configELb0EPKaPaPKlPlN2at6native12_GLOBAL__N_18offset_tEEE10hipError_tPvRmT1_PNSt15iterator_traitsIS12_E10value_typeET2_T3_PNS13_IS18_E10value_typeET4_jRbjT5_S1E_jjP12ihipStream_tbEUljE_ZNSN_ISO_Lb0ESQ_SR_ST_SU_SY_EESZ_S10_S11_S12_S16_S17_S18_S1B_S1C_jS1D_jS1E_S1E_jjS1G_bEUljE0_EEESZ_S10_S11_S18_S1C_S1E_T6_T7_T9_mT8_S1G_bDpT10_ENKUlT_T0_E_clISt17integral_constantIbLb1EES1T_IbLb0EEEEDaS1P_S1Q_EUlS1P_E_NS1_11comp_targetILNS1_3genE2ELNS1_11target_archE906ELNS1_3gpuE6ELNS1_3repE0EEENS1_30default_config_static_selectorELNS0_4arch9wavefront6targetE1EEEvS12_: ; @_ZN7rocprim17ROCPRIM_400000_NS6detail17trampoline_kernelINS0_13select_configILj256ELj13ELNS0_17block_load_methodE3ELS4_3ELS4_3ELNS0_20block_scan_algorithmE0ELj4294967295EEENS1_25partition_config_selectorILNS1_17partition_subalgoE4EjNS0_10empty_typeEbEEZZNS1_14partition_implILS8_4ELb0ES6_15HIP_vector_typeIjLj2EENS0_17counting_iteratorIjlEEPS9_SG_NS0_5tupleIJPjSI_NS0_16reverse_iteratorISI_EEEEENSH_IJSG_SG_SG_EEES9_SI_JZNS1_25segmented_radix_sort_implINS0_14default_configELb0EPKaPaPKlPlN2at6native12_GLOBAL__N_18offset_tEEE10hipError_tPvRmT1_PNSt15iterator_traitsIS12_E10value_typeET2_T3_PNS13_IS18_E10value_typeET4_jRbjT5_S1E_jjP12ihipStream_tbEUljE_ZNSN_ISO_Lb0ESQ_SR_ST_SU_SY_EESZ_S10_S11_S12_S16_S17_S18_S1B_S1C_jS1D_jS1E_S1E_jjS1G_bEUljE0_EEESZ_S10_S11_S18_S1C_S1E_T6_T7_T9_mT8_S1G_bDpT10_ENKUlT_T0_E_clISt17integral_constantIbLb1EES1T_IbLb0EEEEDaS1P_S1Q_EUlS1P_E_NS1_11comp_targetILNS1_3genE2ELNS1_11target_archE906ELNS1_3gpuE6ELNS1_3repE0EEENS1_30default_config_static_selectorELNS0_4arch9wavefront6targetE1EEEvS12_
; %bb.0:
	s_endpgm
	.section	.rodata,"a",@progbits
	.p2align	6, 0x0
	.amdhsa_kernel _ZN7rocprim17ROCPRIM_400000_NS6detail17trampoline_kernelINS0_13select_configILj256ELj13ELNS0_17block_load_methodE3ELS4_3ELS4_3ELNS0_20block_scan_algorithmE0ELj4294967295EEENS1_25partition_config_selectorILNS1_17partition_subalgoE4EjNS0_10empty_typeEbEEZZNS1_14partition_implILS8_4ELb0ES6_15HIP_vector_typeIjLj2EENS0_17counting_iteratorIjlEEPS9_SG_NS0_5tupleIJPjSI_NS0_16reverse_iteratorISI_EEEEENSH_IJSG_SG_SG_EEES9_SI_JZNS1_25segmented_radix_sort_implINS0_14default_configELb0EPKaPaPKlPlN2at6native12_GLOBAL__N_18offset_tEEE10hipError_tPvRmT1_PNSt15iterator_traitsIS12_E10value_typeET2_T3_PNS13_IS18_E10value_typeET4_jRbjT5_S1E_jjP12ihipStream_tbEUljE_ZNSN_ISO_Lb0ESQ_SR_ST_SU_SY_EESZ_S10_S11_S12_S16_S17_S18_S1B_S1C_jS1D_jS1E_S1E_jjS1G_bEUljE0_EEESZ_S10_S11_S18_S1C_S1E_T6_T7_T9_mT8_S1G_bDpT10_ENKUlT_T0_E_clISt17integral_constantIbLb1EES1T_IbLb0EEEEDaS1P_S1Q_EUlS1P_E_NS1_11comp_targetILNS1_3genE2ELNS1_11target_archE906ELNS1_3gpuE6ELNS1_3repE0EEENS1_30default_config_static_selectorELNS0_4arch9wavefront6targetE1EEEvS12_
		.amdhsa_group_segment_fixed_size 0
		.amdhsa_private_segment_fixed_size 0
		.amdhsa_kernarg_size 176
		.amdhsa_user_sgpr_count 6
		.amdhsa_user_sgpr_private_segment_buffer 1
		.amdhsa_user_sgpr_dispatch_ptr 0
		.amdhsa_user_sgpr_queue_ptr 0
		.amdhsa_user_sgpr_kernarg_segment_ptr 1
		.amdhsa_user_sgpr_dispatch_id 0
		.amdhsa_user_sgpr_flat_scratch_init 0
		.amdhsa_user_sgpr_private_segment_size 0
		.amdhsa_uses_dynamic_stack 0
		.amdhsa_system_sgpr_private_segment_wavefront_offset 0
		.amdhsa_system_sgpr_workgroup_id_x 1
		.amdhsa_system_sgpr_workgroup_id_y 0
		.amdhsa_system_sgpr_workgroup_id_z 0
		.amdhsa_system_sgpr_workgroup_info 0
		.amdhsa_system_vgpr_workitem_id 0
		.amdhsa_next_free_vgpr 1
		.amdhsa_next_free_sgpr 0
		.amdhsa_reserve_vcc 0
		.amdhsa_reserve_flat_scratch 0
		.amdhsa_float_round_mode_32 0
		.amdhsa_float_round_mode_16_64 0
		.amdhsa_float_denorm_mode_32 3
		.amdhsa_float_denorm_mode_16_64 3
		.amdhsa_dx10_clamp 1
		.amdhsa_ieee_mode 1
		.amdhsa_fp16_overflow 0
		.amdhsa_exception_fp_ieee_invalid_op 0
		.amdhsa_exception_fp_denorm_src 0
		.amdhsa_exception_fp_ieee_div_zero 0
		.amdhsa_exception_fp_ieee_overflow 0
		.amdhsa_exception_fp_ieee_underflow 0
		.amdhsa_exception_fp_ieee_inexact 0
		.amdhsa_exception_int_div_zero 0
	.end_amdhsa_kernel
	.section	.text._ZN7rocprim17ROCPRIM_400000_NS6detail17trampoline_kernelINS0_13select_configILj256ELj13ELNS0_17block_load_methodE3ELS4_3ELS4_3ELNS0_20block_scan_algorithmE0ELj4294967295EEENS1_25partition_config_selectorILNS1_17partition_subalgoE4EjNS0_10empty_typeEbEEZZNS1_14partition_implILS8_4ELb0ES6_15HIP_vector_typeIjLj2EENS0_17counting_iteratorIjlEEPS9_SG_NS0_5tupleIJPjSI_NS0_16reverse_iteratorISI_EEEEENSH_IJSG_SG_SG_EEES9_SI_JZNS1_25segmented_radix_sort_implINS0_14default_configELb0EPKaPaPKlPlN2at6native12_GLOBAL__N_18offset_tEEE10hipError_tPvRmT1_PNSt15iterator_traitsIS12_E10value_typeET2_T3_PNS13_IS18_E10value_typeET4_jRbjT5_S1E_jjP12ihipStream_tbEUljE_ZNSN_ISO_Lb0ESQ_SR_ST_SU_SY_EESZ_S10_S11_S12_S16_S17_S18_S1B_S1C_jS1D_jS1E_S1E_jjS1G_bEUljE0_EEESZ_S10_S11_S18_S1C_S1E_T6_T7_T9_mT8_S1G_bDpT10_ENKUlT_T0_E_clISt17integral_constantIbLb1EES1T_IbLb0EEEEDaS1P_S1Q_EUlS1P_E_NS1_11comp_targetILNS1_3genE2ELNS1_11target_archE906ELNS1_3gpuE6ELNS1_3repE0EEENS1_30default_config_static_selectorELNS0_4arch9wavefront6targetE1EEEvS12_,"axG",@progbits,_ZN7rocprim17ROCPRIM_400000_NS6detail17trampoline_kernelINS0_13select_configILj256ELj13ELNS0_17block_load_methodE3ELS4_3ELS4_3ELNS0_20block_scan_algorithmE0ELj4294967295EEENS1_25partition_config_selectorILNS1_17partition_subalgoE4EjNS0_10empty_typeEbEEZZNS1_14partition_implILS8_4ELb0ES6_15HIP_vector_typeIjLj2EENS0_17counting_iteratorIjlEEPS9_SG_NS0_5tupleIJPjSI_NS0_16reverse_iteratorISI_EEEEENSH_IJSG_SG_SG_EEES9_SI_JZNS1_25segmented_radix_sort_implINS0_14default_configELb0EPKaPaPKlPlN2at6native12_GLOBAL__N_18offset_tEEE10hipError_tPvRmT1_PNSt15iterator_traitsIS12_E10value_typeET2_T3_PNS13_IS18_E10value_typeET4_jRbjT5_S1E_jjP12ihipStream_tbEUljE_ZNSN_ISO_Lb0ESQ_SR_ST_SU_SY_EESZ_S10_S11_S12_S16_S17_S18_S1B_S1C_jS1D_jS1E_S1E_jjS1G_bEUljE0_EEESZ_S10_S11_S18_S1C_S1E_T6_T7_T9_mT8_S1G_bDpT10_ENKUlT_T0_E_clISt17integral_constantIbLb1EES1T_IbLb0EEEEDaS1P_S1Q_EUlS1P_E_NS1_11comp_targetILNS1_3genE2ELNS1_11target_archE906ELNS1_3gpuE6ELNS1_3repE0EEENS1_30default_config_static_selectorELNS0_4arch9wavefront6targetE1EEEvS12_,comdat
.Lfunc_end349:
	.size	_ZN7rocprim17ROCPRIM_400000_NS6detail17trampoline_kernelINS0_13select_configILj256ELj13ELNS0_17block_load_methodE3ELS4_3ELS4_3ELNS0_20block_scan_algorithmE0ELj4294967295EEENS1_25partition_config_selectorILNS1_17partition_subalgoE4EjNS0_10empty_typeEbEEZZNS1_14partition_implILS8_4ELb0ES6_15HIP_vector_typeIjLj2EENS0_17counting_iteratorIjlEEPS9_SG_NS0_5tupleIJPjSI_NS0_16reverse_iteratorISI_EEEEENSH_IJSG_SG_SG_EEES9_SI_JZNS1_25segmented_radix_sort_implINS0_14default_configELb0EPKaPaPKlPlN2at6native12_GLOBAL__N_18offset_tEEE10hipError_tPvRmT1_PNSt15iterator_traitsIS12_E10value_typeET2_T3_PNS13_IS18_E10value_typeET4_jRbjT5_S1E_jjP12ihipStream_tbEUljE_ZNSN_ISO_Lb0ESQ_SR_ST_SU_SY_EESZ_S10_S11_S12_S16_S17_S18_S1B_S1C_jS1D_jS1E_S1E_jjS1G_bEUljE0_EEESZ_S10_S11_S18_S1C_S1E_T6_T7_T9_mT8_S1G_bDpT10_ENKUlT_T0_E_clISt17integral_constantIbLb1EES1T_IbLb0EEEEDaS1P_S1Q_EUlS1P_E_NS1_11comp_targetILNS1_3genE2ELNS1_11target_archE906ELNS1_3gpuE6ELNS1_3repE0EEENS1_30default_config_static_selectorELNS0_4arch9wavefront6targetE1EEEvS12_, .Lfunc_end349-_ZN7rocprim17ROCPRIM_400000_NS6detail17trampoline_kernelINS0_13select_configILj256ELj13ELNS0_17block_load_methodE3ELS4_3ELS4_3ELNS0_20block_scan_algorithmE0ELj4294967295EEENS1_25partition_config_selectorILNS1_17partition_subalgoE4EjNS0_10empty_typeEbEEZZNS1_14partition_implILS8_4ELb0ES6_15HIP_vector_typeIjLj2EENS0_17counting_iteratorIjlEEPS9_SG_NS0_5tupleIJPjSI_NS0_16reverse_iteratorISI_EEEEENSH_IJSG_SG_SG_EEES9_SI_JZNS1_25segmented_radix_sort_implINS0_14default_configELb0EPKaPaPKlPlN2at6native12_GLOBAL__N_18offset_tEEE10hipError_tPvRmT1_PNSt15iterator_traitsIS12_E10value_typeET2_T3_PNS13_IS18_E10value_typeET4_jRbjT5_S1E_jjP12ihipStream_tbEUljE_ZNSN_ISO_Lb0ESQ_SR_ST_SU_SY_EESZ_S10_S11_S12_S16_S17_S18_S1B_S1C_jS1D_jS1E_S1E_jjS1G_bEUljE0_EEESZ_S10_S11_S18_S1C_S1E_T6_T7_T9_mT8_S1G_bDpT10_ENKUlT_T0_E_clISt17integral_constantIbLb1EES1T_IbLb0EEEEDaS1P_S1Q_EUlS1P_E_NS1_11comp_targetILNS1_3genE2ELNS1_11target_archE906ELNS1_3gpuE6ELNS1_3repE0EEENS1_30default_config_static_selectorELNS0_4arch9wavefront6targetE1EEEvS12_
                                        ; -- End function
	.set _ZN7rocprim17ROCPRIM_400000_NS6detail17trampoline_kernelINS0_13select_configILj256ELj13ELNS0_17block_load_methodE3ELS4_3ELS4_3ELNS0_20block_scan_algorithmE0ELj4294967295EEENS1_25partition_config_selectorILNS1_17partition_subalgoE4EjNS0_10empty_typeEbEEZZNS1_14partition_implILS8_4ELb0ES6_15HIP_vector_typeIjLj2EENS0_17counting_iteratorIjlEEPS9_SG_NS0_5tupleIJPjSI_NS0_16reverse_iteratorISI_EEEEENSH_IJSG_SG_SG_EEES9_SI_JZNS1_25segmented_radix_sort_implINS0_14default_configELb0EPKaPaPKlPlN2at6native12_GLOBAL__N_18offset_tEEE10hipError_tPvRmT1_PNSt15iterator_traitsIS12_E10value_typeET2_T3_PNS13_IS18_E10value_typeET4_jRbjT5_S1E_jjP12ihipStream_tbEUljE_ZNSN_ISO_Lb0ESQ_SR_ST_SU_SY_EESZ_S10_S11_S12_S16_S17_S18_S1B_S1C_jS1D_jS1E_S1E_jjS1G_bEUljE0_EEESZ_S10_S11_S18_S1C_S1E_T6_T7_T9_mT8_S1G_bDpT10_ENKUlT_T0_E_clISt17integral_constantIbLb1EES1T_IbLb0EEEEDaS1P_S1Q_EUlS1P_E_NS1_11comp_targetILNS1_3genE2ELNS1_11target_archE906ELNS1_3gpuE6ELNS1_3repE0EEENS1_30default_config_static_selectorELNS0_4arch9wavefront6targetE1EEEvS12_.num_vgpr, 0
	.set _ZN7rocprim17ROCPRIM_400000_NS6detail17trampoline_kernelINS0_13select_configILj256ELj13ELNS0_17block_load_methodE3ELS4_3ELS4_3ELNS0_20block_scan_algorithmE0ELj4294967295EEENS1_25partition_config_selectorILNS1_17partition_subalgoE4EjNS0_10empty_typeEbEEZZNS1_14partition_implILS8_4ELb0ES6_15HIP_vector_typeIjLj2EENS0_17counting_iteratorIjlEEPS9_SG_NS0_5tupleIJPjSI_NS0_16reverse_iteratorISI_EEEEENSH_IJSG_SG_SG_EEES9_SI_JZNS1_25segmented_radix_sort_implINS0_14default_configELb0EPKaPaPKlPlN2at6native12_GLOBAL__N_18offset_tEEE10hipError_tPvRmT1_PNSt15iterator_traitsIS12_E10value_typeET2_T3_PNS13_IS18_E10value_typeET4_jRbjT5_S1E_jjP12ihipStream_tbEUljE_ZNSN_ISO_Lb0ESQ_SR_ST_SU_SY_EESZ_S10_S11_S12_S16_S17_S18_S1B_S1C_jS1D_jS1E_S1E_jjS1G_bEUljE0_EEESZ_S10_S11_S18_S1C_S1E_T6_T7_T9_mT8_S1G_bDpT10_ENKUlT_T0_E_clISt17integral_constantIbLb1EES1T_IbLb0EEEEDaS1P_S1Q_EUlS1P_E_NS1_11comp_targetILNS1_3genE2ELNS1_11target_archE906ELNS1_3gpuE6ELNS1_3repE0EEENS1_30default_config_static_selectorELNS0_4arch9wavefront6targetE1EEEvS12_.num_agpr, 0
	.set _ZN7rocprim17ROCPRIM_400000_NS6detail17trampoline_kernelINS0_13select_configILj256ELj13ELNS0_17block_load_methodE3ELS4_3ELS4_3ELNS0_20block_scan_algorithmE0ELj4294967295EEENS1_25partition_config_selectorILNS1_17partition_subalgoE4EjNS0_10empty_typeEbEEZZNS1_14partition_implILS8_4ELb0ES6_15HIP_vector_typeIjLj2EENS0_17counting_iteratorIjlEEPS9_SG_NS0_5tupleIJPjSI_NS0_16reverse_iteratorISI_EEEEENSH_IJSG_SG_SG_EEES9_SI_JZNS1_25segmented_radix_sort_implINS0_14default_configELb0EPKaPaPKlPlN2at6native12_GLOBAL__N_18offset_tEEE10hipError_tPvRmT1_PNSt15iterator_traitsIS12_E10value_typeET2_T3_PNS13_IS18_E10value_typeET4_jRbjT5_S1E_jjP12ihipStream_tbEUljE_ZNSN_ISO_Lb0ESQ_SR_ST_SU_SY_EESZ_S10_S11_S12_S16_S17_S18_S1B_S1C_jS1D_jS1E_S1E_jjS1G_bEUljE0_EEESZ_S10_S11_S18_S1C_S1E_T6_T7_T9_mT8_S1G_bDpT10_ENKUlT_T0_E_clISt17integral_constantIbLb1EES1T_IbLb0EEEEDaS1P_S1Q_EUlS1P_E_NS1_11comp_targetILNS1_3genE2ELNS1_11target_archE906ELNS1_3gpuE6ELNS1_3repE0EEENS1_30default_config_static_selectorELNS0_4arch9wavefront6targetE1EEEvS12_.numbered_sgpr, 0
	.set _ZN7rocprim17ROCPRIM_400000_NS6detail17trampoline_kernelINS0_13select_configILj256ELj13ELNS0_17block_load_methodE3ELS4_3ELS4_3ELNS0_20block_scan_algorithmE0ELj4294967295EEENS1_25partition_config_selectorILNS1_17partition_subalgoE4EjNS0_10empty_typeEbEEZZNS1_14partition_implILS8_4ELb0ES6_15HIP_vector_typeIjLj2EENS0_17counting_iteratorIjlEEPS9_SG_NS0_5tupleIJPjSI_NS0_16reverse_iteratorISI_EEEEENSH_IJSG_SG_SG_EEES9_SI_JZNS1_25segmented_radix_sort_implINS0_14default_configELb0EPKaPaPKlPlN2at6native12_GLOBAL__N_18offset_tEEE10hipError_tPvRmT1_PNSt15iterator_traitsIS12_E10value_typeET2_T3_PNS13_IS18_E10value_typeET4_jRbjT5_S1E_jjP12ihipStream_tbEUljE_ZNSN_ISO_Lb0ESQ_SR_ST_SU_SY_EESZ_S10_S11_S12_S16_S17_S18_S1B_S1C_jS1D_jS1E_S1E_jjS1G_bEUljE0_EEESZ_S10_S11_S18_S1C_S1E_T6_T7_T9_mT8_S1G_bDpT10_ENKUlT_T0_E_clISt17integral_constantIbLb1EES1T_IbLb0EEEEDaS1P_S1Q_EUlS1P_E_NS1_11comp_targetILNS1_3genE2ELNS1_11target_archE906ELNS1_3gpuE6ELNS1_3repE0EEENS1_30default_config_static_selectorELNS0_4arch9wavefront6targetE1EEEvS12_.num_named_barrier, 0
	.set _ZN7rocprim17ROCPRIM_400000_NS6detail17trampoline_kernelINS0_13select_configILj256ELj13ELNS0_17block_load_methodE3ELS4_3ELS4_3ELNS0_20block_scan_algorithmE0ELj4294967295EEENS1_25partition_config_selectorILNS1_17partition_subalgoE4EjNS0_10empty_typeEbEEZZNS1_14partition_implILS8_4ELb0ES6_15HIP_vector_typeIjLj2EENS0_17counting_iteratorIjlEEPS9_SG_NS0_5tupleIJPjSI_NS0_16reverse_iteratorISI_EEEEENSH_IJSG_SG_SG_EEES9_SI_JZNS1_25segmented_radix_sort_implINS0_14default_configELb0EPKaPaPKlPlN2at6native12_GLOBAL__N_18offset_tEEE10hipError_tPvRmT1_PNSt15iterator_traitsIS12_E10value_typeET2_T3_PNS13_IS18_E10value_typeET4_jRbjT5_S1E_jjP12ihipStream_tbEUljE_ZNSN_ISO_Lb0ESQ_SR_ST_SU_SY_EESZ_S10_S11_S12_S16_S17_S18_S1B_S1C_jS1D_jS1E_S1E_jjS1G_bEUljE0_EEESZ_S10_S11_S18_S1C_S1E_T6_T7_T9_mT8_S1G_bDpT10_ENKUlT_T0_E_clISt17integral_constantIbLb1EES1T_IbLb0EEEEDaS1P_S1Q_EUlS1P_E_NS1_11comp_targetILNS1_3genE2ELNS1_11target_archE906ELNS1_3gpuE6ELNS1_3repE0EEENS1_30default_config_static_selectorELNS0_4arch9wavefront6targetE1EEEvS12_.private_seg_size, 0
	.set _ZN7rocprim17ROCPRIM_400000_NS6detail17trampoline_kernelINS0_13select_configILj256ELj13ELNS0_17block_load_methodE3ELS4_3ELS4_3ELNS0_20block_scan_algorithmE0ELj4294967295EEENS1_25partition_config_selectorILNS1_17partition_subalgoE4EjNS0_10empty_typeEbEEZZNS1_14partition_implILS8_4ELb0ES6_15HIP_vector_typeIjLj2EENS0_17counting_iteratorIjlEEPS9_SG_NS0_5tupleIJPjSI_NS0_16reverse_iteratorISI_EEEEENSH_IJSG_SG_SG_EEES9_SI_JZNS1_25segmented_radix_sort_implINS0_14default_configELb0EPKaPaPKlPlN2at6native12_GLOBAL__N_18offset_tEEE10hipError_tPvRmT1_PNSt15iterator_traitsIS12_E10value_typeET2_T3_PNS13_IS18_E10value_typeET4_jRbjT5_S1E_jjP12ihipStream_tbEUljE_ZNSN_ISO_Lb0ESQ_SR_ST_SU_SY_EESZ_S10_S11_S12_S16_S17_S18_S1B_S1C_jS1D_jS1E_S1E_jjS1G_bEUljE0_EEESZ_S10_S11_S18_S1C_S1E_T6_T7_T9_mT8_S1G_bDpT10_ENKUlT_T0_E_clISt17integral_constantIbLb1EES1T_IbLb0EEEEDaS1P_S1Q_EUlS1P_E_NS1_11comp_targetILNS1_3genE2ELNS1_11target_archE906ELNS1_3gpuE6ELNS1_3repE0EEENS1_30default_config_static_selectorELNS0_4arch9wavefront6targetE1EEEvS12_.uses_vcc, 0
	.set _ZN7rocprim17ROCPRIM_400000_NS6detail17trampoline_kernelINS0_13select_configILj256ELj13ELNS0_17block_load_methodE3ELS4_3ELS4_3ELNS0_20block_scan_algorithmE0ELj4294967295EEENS1_25partition_config_selectorILNS1_17partition_subalgoE4EjNS0_10empty_typeEbEEZZNS1_14partition_implILS8_4ELb0ES6_15HIP_vector_typeIjLj2EENS0_17counting_iteratorIjlEEPS9_SG_NS0_5tupleIJPjSI_NS0_16reverse_iteratorISI_EEEEENSH_IJSG_SG_SG_EEES9_SI_JZNS1_25segmented_radix_sort_implINS0_14default_configELb0EPKaPaPKlPlN2at6native12_GLOBAL__N_18offset_tEEE10hipError_tPvRmT1_PNSt15iterator_traitsIS12_E10value_typeET2_T3_PNS13_IS18_E10value_typeET4_jRbjT5_S1E_jjP12ihipStream_tbEUljE_ZNSN_ISO_Lb0ESQ_SR_ST_SU_SY_EESZ_S10_S11_S12_S16_S17_S18_S1B_S1C_jS1D_jS1E_S1E_jjS1G_bEUljE0_EEESZ_S10_S11_S18_S1C_S1E_T6_T7_T9_mT8_S1G_bDpT10_ENKUlT_T0_E_clISt17integral_constantIbLb1EES1T_IbLb0EEEEDaS1P_S1Q_EUlS1P_E_NS1_11comp_targetILNS1_3genE2ELNS1_11target_archE906ELNS1_3gpuE6ELNS1_3repE0EEENS1_30default_config_static_selectorELNS0_4arch9wavefront6targetE1EEEvS12_.uses_flat_scratch, 0
	.set _ZN7rocprim17ROCPRIM_400000_NS6detail17trampoline_kernelINS0_13select_configILj256ELj13ELNS0_17block_load_methodE3ELS4_3ELS4_3ELNS0_20block_scan_algorithmE0ELj4294967295EEENS1_25partition_config_selectorILNS1_17partition_subalgoE4EjNS0_10empty_typeEbEEZZNS1_14partition_implILS8_4ELb0ES6_15HIP_vector_typeIjLj2EENS0_17counting_iteratorIjlEEPS9_SG_NS0_5tupleIJPjSI_NS0_16reverse_iteratorISI_EEEEENSH_IJSG_SG_SG_EEES9_SI_JZNS1_25segmented_radix_sort_implINS0_14default_configELb0EPKaPaPKlPlN2at6native12_GLOBAL__N_18offset_tEEE10hipError_tPvRmT1_PNSt15iterator_traitsIS12_E10value_typeET2_T3_PNS13_IS18_E10value_typeET4_jRbjT5_S1E_jjP12ihipStream_tbEUljE_ZNSN_ISO_Lb0ESQ_SR_ST_SU_SY_EESZ_S10_S11_S12_S16_S17_S18_S1B_S1C_jS1D_jS1E_S1E_jjS1G_bEUljE0_EEESZ_S10_S11_S18_S1C_S1E_T6_T7_T9_mT8_S1G_bDpT10_ENKUlT_T0_E_clISt17integral_constantIbLb1EES1T_IbLb0EEEEDaS1P_S1Q_EUlS1P_E_NS1_11comp_targetILNS1_3genE2ELNS1_11target_archE906ELNS1_3gpuE6ELNS1_3repE0EEENS1_30default_config_static_selectorELNS0_4arch9wavefront6targetE1EEEvS12_.has_dyn_sized_stack, 0
	.set _ZN7rocprim17ROCPRIM_400000_NS6detail17trampoline_kernelINS0_13select_configILj256ELj13ELNS0_17block_load_methodE3ELS4_3ELS4_3ELNS0_20block_scan_algorithmE0ELj4294967295EEENS1_25partition_config_selectorILNS1_17partition_subalgoE4EjNS0_10empty_typeEbEEZZNS1_14partition_implILS8_4ELb0ES6_15HIP_vector_typeIjLj2EENS0_17counting_iteratorIjlEEPS9_SG_NS0_5tupleIJPjSI_NS0_16reverse_iteratorISI_EEEEENSH_IJSG_SG_SG_EEES9_SI_JZNS1_25segmented_radix_sort_implINS0_14default_configELb0EPKaPaPKlPlN2at6native12_GLOBAL__N_18offset_tEEE10hipError_tPvRmT1_PNSt15iterator_traitsIS12_E10value_typeET2_T3_PNS13_IS18_E10value_typeET4_jRbjT5_S1E_jjP12ihipStream_tbEUljE_ZNSN_ISO_Lb0ESQ_SR_ST_SU_SY_EESZ_S10_S11_S12_S16_S17_S18_S1B_S1C_jS1D_jS1E_S1E_jjS1G_bEUljE0_EEESZ_S10_S11_S18_S1C_S1E_T6_T7_T9_mT8_S1G_bDpT10_ENKUlT_T0_E_clISt17integral_constantIbLb1EES1T_IbLb0EEEEDaS1P_S1Q_EUlS1P_E_NS1_11comp_targetILNS1_3genE2ELNS1_11target_archE906ELNS1_3gpuE6ELNS1_3repE0EEENS1_30default_config_static_selectorELNS0_4arch9wavefront6targetE1EEEvS12_.has_recursion, 0
	.set _ZN7rocprim17ROCPRIM_400000_NS6detail17trampoline_kernelINS0_13select_configILj256ELj13ELNS0_17block_load_methodE3ELS4_3ELS4_3ELNS0_20block_scan_algorithmE0ELj4294967295EEENS1_25partition_config_selectorILNS1_17partition_subalgoE4EjNS0_10empty_typeEbEEZZNS1_14partition_implILS8_4ELb0ES6_15HIP_vector_typeIjLj2EENS0_17counting_iteratorIjlEEPS9_SG_NS0_5tupleIJPjSI_NS0_16reverse_iteratorISI_EEEEENSH_IJSG_SG_SG_EEES9_SI_JZNS1_25segmented_radix_sort_implINS0_14default_configELb0EPKaPaPKlPlN2at6native12_GLOBAL__N_18offset_tEEE10hipError_tPvRmT1_PNSt15iterator_traitsIS12_E10value_typeET2_T3_PNS13_IS18_E10value_typeET4_jRbjT5_S1E_jjP12ihipStream_tbEUljE_ZNSN_ISO_Lb0ESQ_SR_ST_SU_SY_EESZ_S10_S11_S12_S16_S17_S18_S1B_S1C_jS1D_jS1E_S1E_jjS1G_bEUljE0_EEESZ_S10_S11_S18_S1C_S1E_T6_T7_T9_mT8_S1G_bDpT10_ENKUlT_T0_E_clISt17integral_constantIbLb1EES1T_IbLb0EEEEDaS1P_S1Q_EUlS1P_E_NS1_11comp_targetILNS1_3genE2ELNS1_11target_archE906ELNS1_3gpuE6ELNS1_3repE0EEENS1_30default_config_static_selectorELNS0_4arch9wavefront6targetE1EEEvS12_.has_indirect_call, 0
	.section	.AMDGPU.csdata,"",@progbits
; Kernel info:
; codeLenInByte = 4
; TotalNumSgprs: 4
; NumVgprs: 0
; ScratchSize: 0
; MemoryBound: 0
; FloatMode: 240
; IeeeMode: 1
; LDSByteSize: 0 bytes/workgroup (compile time only)
; SGPRBlocks: 0
; VGPRBlocks: 0
; NumSGPRsForWavesPerEU: 4
; NumVGPRsForWavesPerEU: 1
; Occupancy: 10
; WaveLimiterHint : 0
; COMPUTE_PGM_RSRC2:SCRATCH_EN: 0
; COMPUTE_PGM_RSRC2:USER_SGPR: 6
; COMPUTE_PGM_RSRC2:TRAP_HANDLER: 0
; COMPUTE_PGM_RSRC2:TGID_X_EN: 1
; COMPUTE_PGM_RSRC2:TGID_Y_EN: 0
; COMPUTE_PGM_RSRC2:TGID_Z_EN: 0
; COMPUTE_PGM_RSRC2:TIDIG_COMP_CNT: 0
	.section	.text._ZN7rocprim17ROCPRIM_400000_NS6detail17trampoline_kernelINS0_13select_configILj256ELj13ELNS0_17block_load_methodE3ELS4_3ELS4_3ELNS0_20block_scan_algorithmE0ELj4294967295EEENS1_25partition_config_selectorILNS1_17partition_subalgoE4EjNS0_10empty_typeEbEEZZNS1_14partition_implILS8_4ELb0ES6_15HIP_vector_typeIjLj2EENS0_17counting_iteratorIjlEEPS9_SG_NS0_5tupleIJPjSI_NS0_16reverse_iteratorISI_EEEEENSH_IJSG_SG_SG_EEES9_SI_JZNS1_25segmented_radix_sort_implINS0_14default_configELb0EPKaPaPKlPlN2at6native12_GLOBAL__N_18offset_tEEE10hipError_tPvRmT1_PNSt15iterator_traitsIS12_E10value_typeET2_T3_PNS13_IS18_E10value_typeET4_jRbjT5_S1E_jjP12ihipStream_tbEUljE_ZNSN_ISO_Lb0ESQ_SR_ST_SU_SY_EESZ_S10_S11_S12_S16_S17_S18_S1B_S1C_jS1D_jS1E_S1E_jjS1G_bEUljE0_EEESZ_S10_S11_S18_S1C_S1E_T6_T7_T9_mT8_S1G_bDpT10_ENKUlT_T0_E_clISt17integral_constantIbLb1EES1T_IbLb0EEEEDaS1P_S1Q_EUlS1P_E_NS1_11comp_targetILNS1_3genE10ELNS1_11target_archE1200ELNS1_3gpuE4ELNS1_3repE0EEENS1_30default_config_static_selectorELNS0_4arch9wavefront6targetE1EEEvS12_,"axG",@progbits,_ZN7rocprim17ROCPRIM_400000_NS6detail17trampoline_kernelINS0_13select_configILj256ELj13ELNS0_17block_load_methodE3ELS4_3ELS4_3ELNS0_20block_scan_algorithmE0ELj4294967295EEENS1_25partition_config_selectorILNS1_17partition_subalgoE4EjNS0_10empty_typeEbEEZZNS1_14partition_implILS8_4ELb0ES6_15HIP_vector_typeIjLj2EENS0_17counting_iteratorIjlEEPS9_SG_NS0_5tupleIJPjSI_NS0_16reverse_iteratorISI_EEEEENSH_IJSG_SG_SG_EEES9_SI_JZNS1_25segmented_radix_sort_implINS0_14default_configELb0EPKaPaPKlPlN2at6native12_GLOBAL__N_18offset_tEEE10hipError_tPvRmT1_PNSt15iterator_traitsIS12_E10value_typeET2_T3_PNS13_IS18_E10value_typeET4_jRbjT5_S1E_jjP12ihipStream_tbEUljE_ZNSN_ISO_Lb0ESQ_SR_ST_SU_SY_EESZ_S10_S11_S12_S16_S17_S18_S1B_S1C_jS1D_jS1E_S1E_jjS1G_bEUljE0_EEESZ_S10_S11_S18_S1C_S1E_T6_T7_T9_mT8_S1G_bDpT10_ENKUlT_T0_E_clISt17integral_constantIbLb1EES1T_IbLb0EEEEDaS1P_S1Q_EUlS1P_E_NS1_11comp_targetILNS1_3genE10ELNS1_11target_archE1200ELNS1_3gpuE4ELNS1_3repE0EEENS1_30default_config_static_selectorELNS0_4arch9wavefront6targetE1EEEvS12_,comdat
	.globl	_ZN7rocprim17ROCPRIM_400000_NS6detail17trampoline_kernelINS0_13select_configILj256ELj13ELNS0_17block_load_methodE3ELS4_3ELS4_3ELNS0_20block_scan_algorithmE0ELj4294967295EEENS1_25partition_config_selectorILNS1_17partition_subalgoE4EjNS0_10empty_typeEbEEZZNS1_14partition_implILS8_4ELb0ES6_15HIP_vector_typeIjLj2EENS0_17counting_iteratorIjlEEPS9_SG_NS0_5tupleIJPjSI_NS0_16reverse_iteratorISI_EEEEENSH_IJSG_SG_SG_EEES9_SI_JZNS1_25segmented_radix_sort_implINS0_14default_configELb0EPKaPaPKlPlN2at6native12_GLOBAL__N_18offset_tEEE10hipError_tPvRmT1_PNSt15iterator_traitsIS12_E10value_typeET2_T3_PNS13_IS18_E10value_typeET4_jRbjT5_S1E_jjP12ihipStream_tbEUljE_ZNSN_ISO_Lb0ESQ_SR_ST_SU_SY_EESZ_S10_S11_S12_S16_S17_S18_S1B_S1C_jS1D_jS1E_S1E_jjS1G_bEUljE0_EEESZ_S10_S11_S18_S1C_S1E_T6_T7_T9_mT8_S1G_bDpT10_ENKUlT_T0_E_clISt17integral_constantIbLb1EES1T_IbLb0EEEEDaS1P_S1Q_EUlS1P_E_NS1_11comp_targetILNS1_3genE10ELNS1_11target_archE1200ELNS1_3gpuE4ELNS1_3repE0EEENS1_30default_config_static_selectorELNS0_4arch9wavefront6targetE1EEEvS12_ ; -- Begin function _ZN7rocprim17ROCPRIM_400000_NS6detail17trampoline_kernelINS0_13select_configILj256ELj13ELNS0_17block_load_methodE3ELS4_3ELS4_3ELNS0_20block_scan_algorithmE0ELj4294967295EEENS1_25partition_config_selectorILNS1_17partition_subalgoE4EjNS0_10empty_typeEbEEZZNS1_14partition_implILS8_4ELb0ES6_15HIP_vector_typeIjLj2EENS0_17counting_iteratorIjlEEPS9_SG_NS0_5tupleIJPjSI_NS0_16reverse_iteratorISI_EEEEENSH_IJSG_SG_SG_EEES9_SI_JZNS1_25segmented_radix_sort_implINS0_14default_configELb0EPKaPaPKlPlN2at6native12_GLOBAL__N_18offset_tEEE10hipError_tPvRmT1_PNSt15iterator_traitsIS12_E10value_typeET2_T3_PNS13_IS18_E10value_typeET4_jRbjT5_S1E_jjP12ihipStream_tbEUljE_ZNSN_ISO_Lb0ESQ_SR_ST_SU_SY_EESZ_S10_S11_S12_S16_S17_S18_S1B_S1C_jS1D_jS1E_S1E_jjS1G_bEUljE0_EEESZ_S10_S11_S18_S1C_S1E_T6_T7_T9_mT8_S1G_bDpT10_ENKUlT_T0_E_clISt17integral_constantIbLb1EES1T_IbLb0EEEEDaS1P_S1Q_EUlS1P_E_NS1_11comp_targetILNS1_3genE10ELNS1_11target_archE1200ELNS1_3gpuE4ELNS1_3repE0EEENS1_30default_config_static_selectorELNS0_4arch9wavefront6targetE1EEEvS12_
	.p2align	8
	.type	_ZN7rocprim17ROCPRIM_400000_NS6detail17trampoline_kernelINS0_13select_configILj256ELj13ELNS0_17block_load_methodE3ELS4_3ELS4_3ELNS0_20block_scan_algorithmE0ELj4294967295EEENS1_25partition_config_selectorILNS1_17partition_subalgoE4EjNS0_10empty_typeEbEEZZNS1_14partition_implILS8_4ELb0ES6_15HIP_vector_typeIjLj2EENS0_17counting_iteratorIjlEEPS9_SG_NS0_5tupleIJPjSI_NS0_16reverse_iteratorISI_EEEEENSH_IJSG_SG_SG_EEES9_SI_JZNS1_25segmented_radix_sort_implINS0_14default_configELb0EPKaPaPKlPlN2at6native12_GLOBAL__N_18offset_tEEE10hipError_tPvRmT1_PNSt15iterator_traitsIS12_E10value_typeET2_T3_PNS13_IS18_E10value_typeET4_jRbjT5_S1E_jjP12ihipStream_tbEUljE_ZNSN_ISO_Lb0ESQ_SR_ST_SU_SY_EESZ_S10_S11_S12_S16_S17_S18_S1B_S1C_jS1D_jS1E_S1E_jjS1G_bEUljE0_EEESZ_S10_S11_S18_S1C_S1E_T6_T7_T9_mT8_S1G_bDpT10_ENKUlT_T0_E_clISt17integral_constantIbLb1EES1T_IbLb0EEEEDaS1P_S1Q_EUlS1P_E_NS1_11comp_targetILNS1_3genE10ELNS1_11target_archE1200ELNS1_3gpuE4ELNS1_3repE0EEENS1_30default_config_static_selectorELNS0_4arch9wavefront6targetE1EEEvS12_,@function
_ZN7rocprim17ROCPRIM_400000_NS6detail17trampoline_kernelINS0_13select_configILj256ELj13ELNS0_17block_load_methodE3ELS4_3ELS4_3ELNS0_20block_scan_algorithmE0ELj4294967295EEENS1_25partition_config_selectorILNS1_17partition_subalgoE4EjNS0_10empty_typeEbEEZZNS1_14partition_implILS8_4ELb0ES6_15HIP_vector_typeIjLj2EENS0_17counting_iteratorIjlEEPS9_SG_NS0_5tupleIJPjSI_NS0_16reverse_iteratorISI_EEEEENSH_IJSG_SG_SG_EEES9_SI_JZNS1_25segmented_radix_sort_implINS0_14default_configELb0EPKaPaPKlPlN2at6native12_GLOBAL__N_18offset_tEEE10hipError_tPvRmT1_PNSt15iterator_traitsIS12_E10value_typeET2_T3_PNS13_IS18_E10value_typeET4_jRbjT5_S1E_jjP12ihipStream_tbEUljE_ZNSN_ISO_Lb0ESQ_SR_ST_SU_SY_EESZ_S10_S11_S12_S16_S17_S18_S1B_S1C_jS1D_jS1E_S1E_jjS1G_bEUljE0_EEESZ_S10_S11_S18_S1C_S1E_T6_T7_T9_mT8_S1G_bDpT10_ENKUlT_T0_E_clISt17integral_constantIbLb1EES1T_IbLb0EEEEDaS1P_S1Q_EUlS1P_E_NS1_11comp_targetILNS1_3genE10ELNS1_11target_archE1200ELNS1_3gpuE4ELNS1_3repE0EEENS1_30default_config_static_selectorELNS0_4arch9wavefront6targetE1EEEvS12_: ; @_ZN7rocprim17ROCPRIM_400000_NS6detail17trampoline_kernelINS0_13select_configILj256ELj13ELNS0_17block_load_methodE3ELS4_3ELS4_3ELNS0_20block_scan_algorithmE0ELj4294967295EEENS1_25partition_config_selectorILNS1_17partition_subalgoE4EjNS0_10empty_typeEbEEZZNS1_14partition_implILS8_4ELb0ES6_15HIP_vector_typeIjLj2EENS0_17counting_iteratorIjlEEPS9_SG_NS0_5tupleIJPjSI_NS0_16reverse_iteratorISI_EEEEENSH_IJSG_SG_SG_EEES9_SI_JZNS1_25segmented_radix_sort_implINS0_14default_configELb0EPKaPaPKlPlN2at6native12_GLOBAL__N_18offset_tEEE10hipError_tPvRmT1_PNSt15iterator_traitsIS12_E10value_typeET2_T3_PNS13_IS18_E10value_typeET4_jRbjT5_S1E_jjP12ihipStream_tbEUljE_ZNSN_ISO_Lb0ESQ_SR_ST_SU_SY_EESZ_S10_S11_S12_S16_S17_S18_S1B_S1C_jS1D_jS1E_S1E_jjS1G_bEUljE0_EEESZ_S10_S11_S18_S1C_S1E_T6_T7_T9_mT8_S1G_bDpT10_ENKUlT_T0_E_clISt17integral_constantIbLb1EES1T_IbLb0EEEEDaS1P_S1Q_EUlS1P_E_NS1_11comp_targetILNS1_3genE10ELNS1_11target_archE1200ELNS1_3gpuE4ELNS1_3repE0EEENS1_30default_config_static_selectorELNS0_4arch9wavefront6targetE1EEEvS12_
; %bb.0:
	.section	.rodata,"a",@progbits
	.p2align	6, 0x0
	.amdhsa_kernel _ZN7rocprim17ROCPRIM_400000_NS6detail17trampoline_kernelINS0_13select_configILj256ELj13ELNS0_17block_load_methodE3ELS4_3ELS4_3ELNS0_20block_scan_algorithmE0ELj4294967295EEENS1_25partition_config_selectorILNS1_17partition_subalgoE4EjNS0_10empty_typeEbEEZZNS1_14partition_implILS8_4ELb0ES6_15HIP_vector_typeIjLj2EENS0_17counting_iteratorIjlEEPS9_SG_NS0_5tupleIJPjSI_NS0_16reverse_iteratorISI_EEEEENSH_IJSG_SG_SG_EEES9_SI_JZNS1_25segmented_radix_sort_implINS0_14default_configELb0EPKaPaPKlPlN2at6native12_GLOBAL__N_18offset_tEEE10hipError_tPvRmT1_PNSt15iterator_traitsIS12_E10value_typeET2_T3_PNS13_IS18_E10value_typeET4_jRbjT5_S1E_jjP12ihipStream_tbEUljE_ZNSN_ISO_Lb0ESQ_SR_ST_SU_SY_EESZ_S10_S11_S12_S16_S17_S18_S1B_S1C_jS1D_jS1E_S1E_jjS1G_bEUljE0_EEESZ_S10_S11_S18_S1C_S1E_T6_T7_T9_mT8_S1G_bDpT10_ENKUlT_T0_E_clISt17integral_constantIbLb1EES1T_IbLb0EEEEDaS1P_S1Q_EUlS1P_E_NS1_11comp_targetILNS1_3genE10ELNS1_11target_archE1200ELNS1_3gpuE4ELNS1_3repE0EEENS1_30default_config_static_selectorELNS0_4arch9wavefront6targetE1EEEvS12_
		.amdhsa_group_segment_fixed_size 0
		.amdhsa_private_segment_fixed_size 0
		.amdhsa_kernarg_size 176
		.amdhsa_user_sgpr_count 6
		.amdhsa_user_sgpr_private_segment_buffer 1
		.amdhsa_user_sgpr_dispatch_ptr 0
		.amdhsa_user_sgpr_queue_ptr 0
		.amdhsa_user_sgpr_kernarg_segment_ptr 1
		.amdhsa_user_sgpr_dispatch_id 0
		.amdhsa_user_sgpr_flat_scratch_init 0
		.amdhsa_user_sgpr_private_segment_size 0
		.amdhsa_uses_dynamic_stack 0
		.amdhsa_system_sgpr_private_segment_wavefront_offset 0
		.amdhsa_system_sgpr_workgroup_id_x 1
		.amdhsa_system_sgpr_workgroup_id_y 0
		.amdhsa_system_sgpr_workgroup_id_z 0
		.amdhsa_system_sgpr_workgroup_info 0
		.amdhsa_system_vgpr_workitem_id 0
		.amdhsa_next_free_vgpr 1
		.amdhsa_next_free_sgpr 0
		.amdhsa_reserve_vcc 0
		.amdhsa_reserve_flat_scratch 0
		.amdhsa_float_round_mode_32 0
		.amdhsa_float_round_mode_16_64 0
		.amdhsa_float_denorm_mode_32 3
		.amdhsa_float_denorm_mode_16_64 3
		.amdhsa_dx10_clamp 1
		.amdhsa_ieee_mode 1
		.amdhsa_fp16_overflow 0
		.amdhsa_exception_fp_ieee_invalid_op 0
		.amdhsa_exception_fp_denorm_src 0
		.amdhsa_exception_fp_ieee_div_zero 0
		.amdhsa_exception_fp_ieee_overflow 0
		.amdhsa_exception_fp_ieee_underflow 0
		.amdhsa_exception_fp_ieee_inexact 0
		.amdhsa_exception_int_div_zero 0
	.end_amdhsa_kernel
	.section	.text._ZN7rocprim17ROCPRIM_400000_NS6detail17trampoline_kernelINS0_13select_configILj256ELj13ELNS0_17block_load_methodE3ELS4_3ELS4_3ELNS0_20block_scan_algorithmE0ELj4294967295EEENS1_25partition_config_selectorILNS1_17partition_subalgoE4EjNS0_10empty_typeEbEEZZNS1_14partition_implILS8_4ELb0ES6_15HIP_vector_typeIjLj2EENS0_17counting_iteratorIjlEEPS9_SG_NS0_5tupleIJPjSI_NS0_16reverse_iteratorISI_EEEEENSH_IJSG_SG_SG_EEES9_SI_JZNS1_25segmented_radix_sort_implINS0_14default_configELb0EPKaPaPKlPlN2at6native12_GLOBAL__N_18offset_tEEE10hipError_tPvRmT1_PNSt15iterator_traitsIS12_E10value_typeET2_T3_PNS13_IS18_E10value_typeET4_jRbjT5_S1E_jjP12ihipStream_tbEUljE_ZNSN_ISO_Lb0ESQ_SR_ST_SU_SY_EESZ_S10_S11_S12_S16_S17_S18_S1B_S1C_jS1D_jS1E_S1E_jjS1G_bEUljE0_EEESZ_S10_S11_S18_S1C_S1E_T6_T7_T9_mT8_S1G_bDpT10_ENKUlT_T0_E_clISt17integral_constantIbLb1EES1T_IbLb0EEEEDaS1P_S1Q_EUlS1P_E_NS1_11comp_targetILNS1_3genE10ELNS1_11target_archE1200ELNS1_3gpuE4ELNS1_3repE0EEENS1_30default_config_static_selectorELNS0_4arch9wavefront6targetE1EEEvS12_,"axG",@progbits,_ZN7rocprim17ROCPRIM_400000_NS6detail17trampoline_kernelINS0_13select_configILj256ELj13ELNS0_17block_load_methodE3ELS4_3ELS4_3ELNS0_20block_scan_algorithmE0ELj4294967295EEENS1_25partition_config_selectorILNS1_17partition_subalgoE4EjNS0_10empty_typeEbEEZZNS1_14partition_implILS8_4ELb0ES6_15HIP_vector_typeIjLj2EENS0_17counting_iteratorIjlEEPS9_SG_NS0_5tupleIJPjSI_NS0_16reverse_iteratorISI_EEEEENSH_IJSG_SG_SG_EEES9_SI_JZNS1_25segmented_radix_sort_implINS0_14default_configELb0EPKaPaPKlPlN2at6native12_GLOBAL__N_18offset_tEEE10hipError_tPvRmT1_PNSt15iterator_traitsIS12_E10value_typeET2_T3_PNS13_IS18_E10value_typeET4_jRbjT5_S1E_jjP12ihipStream_tbEUljE_ZNSN_ISO_Lb0ESQ_SR_ST_SU_SY_EESZ_S10_S11_S12_S16_S17_S18_S1B_S1C_jS1D_jS1E_S1E_jjS1G_bEUljE0_EEESZ_S10_S11_S18_S1C_S1E_T6_T7_T9_mT8_S1G_bDpT10_ENKUlT_T0_E_clISt17integral_constantIbLb1EES1T_IbLb0EEEEDaS1P_S1Q_EUlS1P_E_NS1_11comp_targetILNS1_3genE10ELNS1_11target_archE1200ELNS1_3gpuE4ELNS1_3repE0EEENS1_30default_config_static_selectorELNS0_4arch9wavefront6targetE1EEEvS12_,comdat
.Lfunc_end350:
	.size	_ZN7rocprim17ROCPRIM_400000_NS6detail17trampoline_kernelINS0_13select_configILj256ELj13ELNS0_17block_load_methodE3ELS4_3ELS4_3ELNS0_20block_scan_algorithmE0ELj4294967295EEENS1_25partition_config_selectorILNS1_17partition_subalgoE4EjNS0_10empty_typeEbEEZZNS1_14partition_implILS8_4ELb0ES6_15HIP_vector_typeIjLj2EENS0_17counting_iteratorIjlEEPS9_SG_NS0_5tupleIJPjSI_NS0_16reverse_iteratorISI_EEEEENSH_IJSG_SG_SG_EEES9_SI_JZNS1_25segmented_radix_sort_implINS0_14default_configELb0EPKaPaPKlPlN2at6native12_GLOBAL__N_18offset_tEEE10hipError_tPvRmT1_PNSt15iterator_traitsIS12_E10value_typeET2_T3_PNS13_IS18_E10value_typeET4_jRbjT5_S1E_jjP12ihipStream_tbEUljE_ZNSN_ISO_Lb0ESQ_SR_ST_SU_SY_EESZ_S10_S11_S12_S16_S17_S18_S1B_S1C_jS1D_jS1E_S1E_jjS1G_bEUljE0_EEESZ_S10_S11_S18_S1C_S1E_T6_T7_T9_mT8_S1G_bDpT10_ENKUlT_T0_E_clISt17integral_constantIbLb1EES1T_IbLb0EEEEDaS1P_S1Q_EUlS1P_E_NS1_11comp_targetILNS1_3genE10ELNS1_11target_archE1200ELNS1_3gpuE4ELNS1_3repE0EEENS1_30default_config_static_selectorELNS0_4arch9wavefront6targetE1EEEvS12_, .Lfunc_end350-_ZN7rocprim17ROCPRIM_400000_NS6detail17trampoline_kernelINS0_13select_configILj256ELj13ELNS0_17block_load_methodE3ELS4_3ELS4_3ELNS0_20block_scan_algorithmE0ELj4294967295EEENS1_25partition_config_selectorILNS1_17partition_subalgoE4EjNS0_10empty_typeEbEEZZNS1_14partition_implILS8_4ELb0ES6_15HIP_vector_typeIjLj2EENS0_17counting_iteratorIjlEEPS9_SG_NS0_5tupleIJPjSI_NS0_16reverse_iteratorISI_EEEEENSH_IJSG_SG_SG_EEES9_SI_JZNS1_25segmented_radix_sort_implINS0_14default_configELb0EPKaPaPKlPlN2at6native12_GLOBAL__N_18offset_tEEE10hipError_tPvRmT1_PNSt15iterator_traitsIS12_E10value_typeET2_T3_PNS13_IS18_E10value_typeET4_jRbjT5_S1E_jjP12ihipStream_tbEUljE_ZNSN_ISO_Lb0ESQ_SR_ST_SU_SY_EESZ_S10_S11_S12_S16_S17_S18_S1B_S1C_jS1D_jS1E_S1E_jjS1G_bEUljE0_EEESZ_S10_S11_S18_S1C_S1E_T6_T7_T9_mT8_S1G_bDpT10_ENKUlT_T0_E_clISt17integral_constantIbLb1EES1T_IbLb0EEEEDaS1P_S1Q_EUlS1P_E_NS1_11comp_targetILNS1_3genE10ELNS1_11target_archE1200ELNS1_3gpuE4ELNS1_3repE0EEENS1_30default_config_static_selectorELNS0_4arch9wavefront6targetE1EEEvS12_
                                        ; -- End function
	.set _ZN7rocprim17ROCPRIM_400000_NS6detail17trampoline_kernelINS0_13select_configILj256ELj13ELNS0_17block_load_methodE3ELS4_3ELS4_3ELNS0_20block_scan_algorithmE0ELj4294967295EEENS1_25partition_config_selectorILNS1_17partition_subalgoE4EjNS0_10empty_typeEbEEZZNS1_14partition_implILS8_4ELb0ES6_15HIP_vector_typeIjLj2EENS0_17counting_iteratorIjlEEPS9_SG_NS0_5tupleIJPjSI_NS0_16reverse_iteratorISI_EEEEENSH_IJSG_SG_SG_EEES9_SI_JZNS1_25segmented_radix_sort_implINS0_14default_configELb0EPKaPaPKlPlN2at6native12_GLOBAL__N_18offset_tEEE10hipError_tPvRmT1_PNSt15iterator_traitsIS12_E10value_typeET2_T3_PNS13_IS18_E10value_typeET4_jRbjT5_S1E_jjP12ihipStream_tbEUljE_ZNSN_ISO_Lb0ESQ_SR_ST_SU_SY_EESZ_S10_S11_S12_S16_S17_S18_S1B_S1C_jS1D_jS1E_S1E_jjS1G_bEUljE0_EEESZ_S10_S11_S18_S1C_S1E_T6_T7_T9_mT8_S1G_bDpT10_ENKUlT_T0_E_clISt17integral_constantIbLb1EES1T_IbLb0EEEEDaS1P_S1Q_EUlS1P_E_NS1_11comp_targetILNS1_3genE10ELNS1_11target_archE1200ELNS1_3gpuE4ELNS1_3repE0EEENS1_30default_config_static_selectorELNS0_4arch9wavefront6targetE1EEEvS12_.num_vgpr, 0
	.set _ZN7rocprim17ROCPRIM_400000_NS6detail17trampoline_kernelINS0_13select_configILj256ELj13ELNS0_17block_load_methodE3ELS4_3ELS4_3ELNS0_20block_scan_algorithmE0ELj4294967295EEENS1_25partition_config_selectorILNS1_17partition_subalgoE4EjNS0_10empty_typeEbEEZZNS1_14partition_implILS8_4ELb0ES6_15HIP_vector_typeIjLj2EENS0_17counting_iteratorIjlEEPS9_SG_NS0_5tupleIJPjSI_NS0_16reverse_iteratorISI_EEEEENSH_IJSG_SG_SG_EEES9_SI_JZNS1_25segmented_radix_sort_implINS0_14default_configELb0EPKaPaPKlPlN2at6native12_GLOBAL__N_18offset_tEEE10hipError_tPvRmT1_PNSt15iterator_traitsIS12_E10value_typeET2_T3_PNS13_IS18_E10value_typeET4_jRbjT5_S1E_jjP12ihipStream_tbEUljE_ZNSN_ISO_Lb0ESQ_SR_ST_SU_SY_EESZ_S10_S11_S12_S16_S17_S18_S1B_S1C_jS1D_jS1E_S1E_jjS1G_bEUljE0_EEESZ_S10_S11_S18_S1C_S1E_T6_T7_T9_mT8_S1G_bDpT10_ENKUlT_T0_E_clISt17integral_constantIbLb1EES1T_IbLb0EEEEDaS1P_S1Q_EUlS1P_E_NS1_11comp_targetILNS1_3genE10ELNS1_11target_archE1200ELNS1_3gpuE4ELNS1_3repE0EEENS1_30default_config_static_selectorELNS0_4arch9wavefront6targetE1EEEvS12_.num_agpr, 0
	.set _ZN7rocprim17ROCPRIM_400000_NS6detail17trampoline_kernelINS0_13select_configILj256ELj13ELNS0_17block_load_methodE3ELS4_3ELS4_3ELNS0_20block_scan_algorithmE0ELj4294967295EEENS1_25partition_config_selectorILNS1_17partition_subalgoE4EjNS0_10empty_typeEbEEZZNS1_14partition_implILS8_4ELb0ES6_15HIP_vector_typeIjLj2EENS0_17counting_iteratorIjlEEPS9_SG_NS0_5tupleIJPjSI_NS0_16reverse_iteratorISI_EEEEENSH_IJSG_SG_SG_EEES9_SI_JZNS1_25segmented_radix_sort_implINS0_14default_configELb0EPKaPaPKlPlN2at6native12_GLOBAL__N_18offset_tEEE10hipError_tPvRmT1_PNSt15iterator_traitsIS12_E10value_typeET2_T3_PNS13_IS18_E10value_typeET4_jRbjT5_S1E_jjP12ihipStream_tbEUljE_ZNSN_ISO_Lb0ESQ_SR_ST_SU_SY_EESZ_S10_S11_S12_S16_S17_S18_S1B_S1C_jS1D_jS1E_S1E_jjS1G_bEUljE0_EEESZ_S10_S11_S18_S1C_S1E_T6_T7_T9_mT8_S1G_bDpT10_ENKUlT_T0_E_clISt17integral_constantIbLb1EES1T_IbLb0EEEEDaS1P_S1Q_EUlS1P_E_NS1_11comp_targetILNS1_3genE10ELNS1_11target_archE1200ELNS1_3gpuE4ELNS1_3repE0EEENS1_30default_config_static_selectorELNS0_4arch9wavefront6targetE1EEEvS12_.numbered_sgpr, 0
	.set _ZN7rocprim17ROCPRIM_400000_NS6detail17trampoline_kernelINS0_13select_configILj256ELj13ELNS0_17block_load_methodE3ELS4_3ELS4_3ELNS0_20block_scan_algorithmE0ELj4294967295EEENS1_25partition_config_selectorILNS1_17partition_subalgoE4EjNS0_10empty_typeEbEEZZNS1_14partition_implILS8_4ELb0ES6_15HIP_vector_typeIjLj2EENS0_17counting_iteratorIjlEEPS9_SG_NS0_5tupleIJPjSI_NS0_16reverse_iteratorISI_EEEEENSH_IJSG_SG_SG_EEES9_SI_JZNS1_25segmented_radix_sort_implINS0_14default_configELb0EPKaPaPKlPlN2at6native12_GLOBAL__N_18offset_tEEE10hipError_tPvRmT1_PNSt15iterator_traitsIS12_E10value_typeET2_T3_PNS13_IS18_E10value_typeET4_jRbjT5_S1E_jjP12ihipStream_tbEUljE_ZNSN_ISO_Lb0ESQ_SR_ST_SU_SY_EESZ_S10_S11_S12_S16_S17_S18_S1B_S1C_jS1D_jS1E_S1E_jjS1G_bEUljE0_EEESZ_S10_S11_S18_S1C_S1E_T6_T7_T9_mT8_S1G_bDpT10_ENKUlT_T0_E_clISt17integral_constantIbLb1EES1T_IbLb0EEEEDaS1P_S1Q_EUlS1P_E_NS1_11comp_targetILNS1_3genE10ELNS1_11target_archE1200ELNS1_3gpuE4ELNS1_3repE0EEENS1_30default_config_static_selectorELNS0_4arch9wavefront6targetE1EEEvS12_.num_named_barrier, 0
	.set _ZN7rocprim17ROCPRIM_400000_NS6detail17trampoline_kernelINS0_13select_configILj256ELj13ELNS0_17block_load_methodE3ELS4_3ELS4_3ELNS0_20block_scan_algorithmE0ELj4294967295EEENS1_25partition_config_selectorILNS1_17partition_subalgoE4EjNS0_10empty_typeEbEEZZNS1_14partition_implILS8_4ELb0ES6_15HIP_vector_typeIjLj2EENS0_17counting_iteratorIjlEEPS9_SG_NS0_5tupleIJPjSI_NS0_16reverse_iteratorISI_EEEEENSH_IJSG_SG_SG_EEES9_SI_JZNS1_25segmented_radix_sort_implINS0_14default_configELb0EPKaPaPKlPlN2at6native12_GLOBAL__N_18offset_tEEE10hipError_tPvRmT1_PNSt15iterator_traitsIS12_E10value_typeET2_T3_PNS13_IS18_E10value_typeET4_jRbjT5_S1E_jjP12ihipStream_tbEUljE_ZNSN_ISO_Lb0ESQ_SR_ST_SU_SY_EESZ_S10_S11_S12_S16_S17_S18_S1B_S1C_jS1D_jS1E_S1E_jjS1G_bEUljE0_EEESZ_S10_S11_S18_S1C_S1E_T6_T7_T9_mT8_S1G_bDpT10_ENKUlT_T0_E_clISt17integral_constantIbLb1EES1T_IbLb0EEEEDaS1P_S1Q_EUlS1P_E_NS1_11comp_targetILNS1_3genE10ELNS1_11target_archE1200ELNS1_3gpuE4ELNS1_3repE0EEENS1_30default_config_static_selectorELNS0_4arch9wavefront6targetE1EEEvS12_.private_seg_size, 0
	.set _ZN7rocprim17ROCPRIM_400000_NS6detail17trampoline_kernelINS0_13select_configILj256ELj13ELNS0_17block_load_methodE3ELS4_3ELS4_3ELNS0_20block_scan_algorithmE0ELj4294967295EEENS1_25partition_config_selectorILNS1_17partition_subalgoE4EjNS0_10empty_typeEbEEZZNS1_14partition_implILS8_4ELb0ES6_15HIP_vector_typeIjLj2EENS0_17counting_iteratorIjlEEPS9_SG_NS0_5tupleIJPjSI_NS0_16reverse_iteratorISI_EEEEENSH_IJSG_SG_SG_EEES9_SI_JZNS1_25segmented_radix_sort_implINS0_14default_configELb0EPKaPaPKlPlN2at6native12_GLOBAL__N_18offset_tEEE10hipError_tPvRmT1_PNSt15iterator_traitsIS12_E10value_typeET2_T3_PNS13_IS18_E10value_typeET4_jRbjT5_S1E_jjP12ihipStream_tbEUljE_ZNSN_ISO_Lb0ESQ_SR_ST_SU_SY_EESZ_S10_S11_S12_S16_S17_S18_S1B_S1C_jS1D_jS1E_S1E_jjS1G_bEUljE0_EEESZ_S10_S11_S18_S1C_S1E_T6_T7_T9_mT8_S1G_bDpT10_ENKUlT_T0_E_clISt17integral_constantIbLb1EES1T_IbLb0EEEEDaS1P_S1Q_EUlS1P_E_NS1_11comp_targetILNS1_3genE10ELNS1_11target_archE1200ELNS1_3gpuE4ELNS1_3repE0EEENS1_30default_config_static_selectorELNS0_4arch9wavefront6targetE1EEEvS12_.uses_vcc, 0
	.set _ZN7rocprim17ROCPRIM_400000_NS6detail17trampoline_kernelINS0_13select_configILj256ELj13ELNS0_17block_load_methodE3ELS4_3ELS4_3ELNS0_20block_scan_algorithmE0ELj4294967295EEENS1_25partition_config_selectorILNS1_17partition_subalgoE4EjNS0_10empty_typeEbEEZZNS1_14partition_implILS8_4ELb0ES6_15HIP_vector_typeIjLj2EENS0_17counting_iteratorIjlEEPS9_SG_NS0_5tupleIJPjSI_NS0_16reverse_iteratorISI_EEEEENSH_IJSG_SG_SG_EEES9_SI_JZNS1_25segmented_radix_sort_implINS0_14default_configELb0EPKaPaPKlPlN2at6native12_GLOBAL__N_18offset_tEEE10hipError_tPvRmT1_PNSt15iterator_traitsIS12_E10value_typeET2_T3_PNS13_IS18_E10value_typeET4_jRbjT5_S1E_jjP12ihipStream_tbEUljE_ZNSN_ISO_Lb0ESQ_SR_ST_SU_SY_EESZ_S10_S11_S12_S16_S17_S18_S1B_S1C_jS1D_jS1E_S1E_jjS1G_bEUljE0_EEESZ_S10_S11_S18_S1C_S1E_T6_T7_T9_mT8_S1G_bDpT10_ENKUlT_T0_E_clISt17integral_constantIbLb1EES1T_IbLb0EEEEDaS1P_S1Q_EUlS1P_E_NS1_11comp_targetILNS1_3genE10ELNS1_11target_archE1200ELNS1_3gpuE4ELNS1_3repE0EEENS1_30default_config_static_selectorELNS0_4arch9wavefront6targetE1EEEvS12_.uses_flat_scratch, 0
	.set _ZN7rocprim17ROCPRIM_400000_NS6detail17trampoline_kernelINS0_13select_configILj256ELj13ELNS0_17block_load_methodE3ELS4_3ELS4_3ELNS0_20block_scan_algorithmE0ELj4294967295EEENS1_25partition_config_selectorILNS1_17partition_subalgoE4EjNS0_10empty_typeEbEEZZNS1_14partition_implILS8_4ELb0ES6_15HIP_vector_typeIjLj2EENS0_17counting_iteratorIjlEEPS9_SG_NS0_5tupleIJPjSI_NS0_16reverse_iteratorISI_EEEEENSH_IJSG_SG_SG_EEES9_SI_JZNS1_25segmented_radix_sort_implINS0_14default_configELb0EPKaPaPKlPlN2at6native12_GLOBAL__N_18offset_tEEE10hipError_tPvRmT1_PNSt15iterator_traitsIS12_E10value_typeET2_T3_PNS13_IS18_E10value_typeET4_jRbjT5_S1E_jjP12ihipStream_tbEUljE_ZNSN_ISO_Lb0ESQ_SR_ST_SU_SY_EESZ_S10_S11_S12_S16_S17_S18_S1B_S1C_jS1D_jS1E_S1E_jjS1G_bEUljE0_EEESZ_S10_S11_S18_S1C_S1E_T6_T7_T9_mT8_S1G_bDpT10_ENKUlT_T0_E_clISt17integral_constantIbLb1EES1T_IbLb0EEEEDaS1P_S1Q_EUlS1P_E_NS1_11comp_targetILNS1_3genE10ELNS1_11target_archE1200ELNS1_3gpuE4ELNS1_3repE0EEENS1_30default_config_static_selectorELNS0_4arch9wavefront6targetE1EEEvS12_.has_dyn_sized_stack, 0
	.set _ZN7rocprim17ROCPRIM_400000_NS6detail17trampoline_kernelINS0_13select_configILj256ELj13ELNS0_17block_load_methodE3ELS4_3ELS4_3ELNS0_20block_scan_algorithmE0ELj4294967295EEENS1_25partition_config_selectorILNS1_17partition_subalgoE4EjNS0_10empty_typeEbEEZZNS1_14partition_implILS8_4ELb0ES6_15HIP_vector_typeIjLj2EENS0_17counting_iteratorIjlEEPS9_SG_NS0_5tupleIJPjSI_NS0_16reverse_iteratorISI_EEEEENSH_IJSG_SG_SG_EEES9_SI_JZNS1_25segmented_radix_sort_implINS0_14default_configELb0EPKaPaPKlPlN2at6native12_GLOBAL__N_18offset_tEEE10hipError_tPvRmT1_PNSt15iterator_traitsIS12_E10value_typeET2_T3_PNS13_IS18_E10value_typeET4_jRbjT5_S1E_jjP12ihipStream_tbEUljE_ZNSN_ISO_Lb0ESQ_SR_ST_SU_SY_EESZ_S10_S11_S12_S16_S17_S18_S1B_S1C_jS1D_jS1E_S1E_jjS1G_bEUljE0_EEESZ_S10_S11_S18_S1C_S1E_T6_T7_T9_mT8_S1G_bDpT10_ENKUlT_T0_E_clISt17integral_constantIbLb1EES1T_IbLb0EEEEDaS1P_S1Q_EUlS1P_E_NS1_11comp_targetILNS1_3genE10ELNS1_11target_archE1200ELNS1_3gpuE4ELNS1_3repE0EEENS1_30default_config_static_selectorELNS0_4arch9wavefront6targetE1EEEvS12_.has_recursion, 0
	.set _ZN7rocprim17ROCPRIM_400000_NS6detail17trampoline_kernelINS0_13select_configILj256ELj13ELNS0_17block_load_methodE3ELS4_3ELS4_3ELNS0_20block_scan_algorithmE0ELj4294967295EEENS1_25partition_config_selectorILNS1_17partition_subalgoE4EjNS0_10empty_typeEbEEZZNS1_14partition_implILS8_4ELb0ES6_15HIP_vector_typeIjLj2EENS0_17counting_iteratorIjlEEPS9_SG_NS0_5tupleIJPjSI_NS0_16reverse_iteratorISI_EEEEENSH_IJSG_SG_SG_EEES9_SI_JZNS1_25segmented_radix_sort_implINS0_14default_configELb0EPKaPaPKlPlN2at6native12_GLOBAL__N_18offset_tEEE10hipError_tPvRmT1_PNSt15iterator_traitsIS12_E10value_typeET2_T3_PNS13_IS18_E10value_typeET4_jRbjT5_S1E_jjP12ihipStream_tbEUljE_ZNSN_ISO_Lb0ESQ_SR_ST_SU_SY_EESZ_S10_S11_S12_S16_S17_S18_S1B_S1C_jS1D_jS1E_S1E_jjS1G_bEUljE0_EEESZ_S10_S11_S18_S1C_S1E_T6_T7_T9_mT8_S1G_bDpT10_ENKUlT_T0_E_clISt17integral_constantIbLb1EES1T_IbLb0EEEEDaS1P_S1Q_EUlS1P_E_NS1_11comp_targetILNS1_3genE10ELNS1_11target_archE1200ELNS1_3gpuE4ELNS1_3repE0EEENS1_30default_config_static_selectorELNS0_4arch9wavefront6targetE1EEEvS12_.has_indirect_call, 0
	.section	.AMDGPU.csdata,"",@progbits
; Kernel info:
; codeLenInByte = 0
; TotalNumSgprs: 4
; NumVgprs: 0
; ScratchSize: 0
; MemoryBound: 0
; FloatMode: 240
; IeeeMode: 1
; LDSByteSize: 0 bytes/workgroup (compile time only)
; SGPRBlocks: 0
; VGPRBlocks: 0
; NumSGPRsForWavesPerEU: 4
; NumVGPRsForWavesPerEU: 1
; Occupancy: 10
; WaveLimiterHint : 0
; COMPUTE_PGM_RSRC2:SCRATCH_EN: 0
; COMPUTE_PGM_RSRC2:USER_SGPR: 6
; COMPUTE_PGM_RSRC2:TRAP_HANDLER: 0
; COMPUTE_PGM_RSRC2:TGID_X_EN: 1
; COMPUTE_PGM_RSRC2:TGID_Y_EN: 0
; COMPUTE_PGM_RSRC2:TGID_Z_EN: 0
; COMPUTE_PGM_RSRC2:TIDIG_COMP_CNT: 0
	.section	.text._ZN7rocprim17ROCPRIM_400000_NS6detail17trampoline_kernelINS0_13select_configILj256ELj13ELNS0_17block_load_methodE3ELS4_3ELS4_3ELNS0_20block_scan_algorithmE0ELj4294967295EEENS1_25partition_config_selectorILNS1_17partition_subalgoE4EjNS0_10empty_typeEbEEZZNS1_14partition_implILS8_4ELb0ES6_15HIP_vector_typeIjLj2EENS0_17counting_iteratorIjlEEPS9_SG_NS0_5tupleIJPjSI_NS0_16reverse_iteratorISI_EEEEENSH_IJSG_SG_SG_EEES9_SI_JZNS1_25segmented_radix_sort_implINS0_14default_configELb0EPKaPaPKlPlN2at6native12_GLOBAL__N_18offset_tEEE10hipError_tPvRmT1_PNSt15iterator_traitsIS12_E10value_typeET2_T3_PNS13_IS18_E10value_typeET4_jRbjT5_S1E_jjP12ihipStream_tbEUljE_ZNSN_ISO_Lb0ESQ_SR_ST_SU_SY_EESZ_S10_S11_S12_S16_S17_S18_S1B_S1C_jS1D_jS1E_S1E_jjS1G_bEUljE0_EEESZ_S10_S11_S18_S1C_S1E_T6_T7_T9_mT8_S1G_bDpT10_ENKUlT_T0_E_clISt17integral_constantIbLb1EES1T_IbLb0EEEEDaS1P_S1Q_EUlS1P_E_NS1_11comp_targetILNS1_3genE9ELNS1_11target_archE1100ELNS1_3gpuE3ELNS1_3repE0EEENS1_30default_config_static_selectorELNS0_4arch9wavefront6targetE1EEEvS12_,"axG",@progbits,_ZN7rocprim17ROCPRIM_400000_NS6detail17trampoline_kernelINS0_13select_configILj256ELj13ELNS0_17block_load_methodE3ELS4_3ELS4_3ELNS0_20block_scan_algorithmE0ELj4294967295EEENS1_25partition_config_selectorILNS1_17partition_subalgoE4EjNS0_10empty_typeEbEEZZNS1_14partition_implILS8_4ELb0ES6_15HIP_vector_typeIjLj2EENS0_17counting_iteratorIjlEEPS9_SG_NS0_5tupleIJPjSI_NS0_16reverse_iteratorISI_EEEEENSH_IJSG_SG_SG_EEES9_SI_JZNS1_25segmented_radix_sort_implINS0_14default_configELb0EPKaPaPKlPlN2at6native12_GLOBAL__N_18offset_tEEE10hipError_tPvRmT1_PNSt15iterator_traitsIS12_E10value_typeET2_T3_PNS13_IS18_E10value_typeET4_jRbjT5_S1E_jjP12ihipStream_tbEUljE_ZNSN_ISO_Lb0ESQ_SR_ST_SU_SY_EESZ_S10_S11_S12_S16_S17_S18_S1B_S1C_jS1D_jS1E_S1E_jjS1G_bEUljE0_EEESZ_S10_S11_S18_S1C_S1E_T6_T7_T9_mT8_S1G_bDpT10_ENKUlT_T0_E_clISt17integral_constantIbLb1EES1T_IbLb0EEEEDaS1P_S1Q_EUlS1P_E_NS1_11comp_targetILNS1_3genE9ELNS1_11target_archE1100ELNS1_3gpuE3ELNS1_3repE0EEENS1_30default_config_static_selectorELNS0_4arch9wavefront6targetE1EEEvS12_,comdat
	.globl	_ZN7rocprim17ROCPRIM_400000_NS6detail17trampoline_kernelINS0_13select_configILj256ELj13ELNS0_17block_load_methodE3ELS4_3ELS4_3ELNS0_20block_scan_algorithmE0ELj4294967295EEENS1_25partition_config_selectorILNS1_17partition_subalgoE4EjNS0_10empty_typeEbEEZZNS1_14partition_implILS8_4ELb0ES6_15HIP_vector_typeIjLj2EENS0_17counting_iteratorIjlEEPS9_SG_NS0_5tupleIJPjSI_NS0_16reverse_iteratorISI_EEEEENSH_IJSG_SG_SG_EEES9_SI_JZNS1_25segmented_radix_sort_implINS0_14default_configELb0EPKaPaPKlPlN2at6native12_GLOBAL__N_18offset_tEEE10hipError_tPvRmT1_PNSt15iterator_traitsIS12_E10value_typeET2_T3_PNS13_IS18_E10value_typeET4_jRbjT5_S1E_jjP12ihipStream_tbEUljE_ZNSN_ISO_Lb0ESQ_SR_ST_SU_SY_EESZ_S10_S11_S12_S16_S17_S18_S1B_S1C_jS1D_jS1E_S1E_jjS1G_bEUljE0_EEESZ_S10_S11_S18_S1C_S1E_T6_T7_T9_mT8_S1G_bDpT10_ENKUlT_T0_E_clISt17integral_constantIbLb1EES1T_IbLb0EEEEDaS1P_S1Q_EUlS1P_E_NS1_11comp_targetILNS1_3genE9ELNS1_11target_archE1100ELNS1_3gpuE3ELNS1_3repE0EEENS1_30default_config_static_selectorELNS0_4arch9wavefront6targetE1EEEvS12_ ; -- Begin function _ZN7rocprim17ROCPRIM_400000_NS6detail17trampoline_kernelINS0_13select_configILj256ELj13ELNS0_17block_load_methodE3ELS4_3ELS4_3ELNS0_20block_scan_algorithmE0ELj4294967295EEENS1_25partition_config_selectorILNS1_17partition_subalgoE4EjNS0_10empty_typeEbEEZZNS1_14partition_implILS8_4ELb0ES6_15HIP_vector_typeIjLj2EENS0_17counting_iteratorIjlEEPS9_SG_NS0_5tupleIJPjSI_NS0_16reverse_iteratorISI_EEEEENSH_IJSG_SG_SG_EEES9_SI_JZNS1_25segmented_radix_sort_implINS0_14default_configELb0EPKaPaPKlPlN2at6native12_GLOBAL__N_18offset_tEEE10hipError_tPvRmT1_PNSt15iterator_traitsIS12_E10value_typeET2_T3_PNS13_IS18_E10value_typeET4_jRbjT5_S1E_jjP12ihipStream_tbEUljE_ZNSN_ISO_Lb0ESQ_SR_ST_SU_SY_EESZ_S10_S11_S12_S16_S17_S18_S1B_S1C_jS1D_jS1E_S1E_jjS1G_bEUljE0_EEESZ_S10_S11_S18_S1C_S1E_T6_T7_T9_mT8_S1G_bDpT10_ENKUlT_T0_E_clISt17integral_constantIbLb1EES1T_IbLb0EEEEDaS1P_S1Q_EUlS1P_E_NS1_11comp_targetILNS1_3genE9ELNS1_11target_archE1100ELNS1_3gpuE3ELNS1_3repE0EEENS1_30default_config_static_selectorELNS0_4arch9wavefront6targetE1EEEvS12_
	.p2align	8
	.type	_ZN7rocprim17ROCPRIM_400000_NS6detail17trampoline_kernelINS0_13select_configILj256ELj13ELNS0_17block_load_methodE3ELS4_3ELS4_3ELNS0_20block_scan_algorithmE0ELj4294967295EEENS1_25partition_config_selectorILNS1_17partition_subalgoE4EjNS0_10empty_typeEbEEZZNS1_14partition_implILS8_4ELb0ES6_15HIP_vector_typeIjLj2EENS0_17counting_iteratorIjlEEPS9_SG_NS0_5tupleIJPjSI_NS0_16reverse_iteratorISI_EEEEENSH_IJSG_SG_SG_EEES9_SI_JZNS1_25segmented_radix_sort_implINS0_14default_configELb0EPKaPaPKlPlN2at6native12_GLOBAL__N_18offset_tEEE10hipError_tPvRmT1_PNSt15iterator_traitsIS12_E10value_typeET2_T3_PNS13_IS18_E10value_typeET4_jRbjT5_S1E_jjP12ihipStream_tbEUljE_ZNSN_ISO_Lb0ESQ_SR_ST_SU_SY_EESZ_S10_S11_S12_S16_S17_S18_S1B_S1C_jS1D_jS1E_S1E_jjS1G_bEUljE0_EEESZ_S10_S11_S18_S1C_S1E_T6_T7_T9_mT8_S1G_bDpT10_ENKUlT_T0_E_clISt17integral_constantIbLb1EES1T_IbLb0EEEEDaS1P_S1Q_EUlS1P_E_NS1_11comp_targetILNS1_3genE9ELNS1_11target_archE1100ELNS1_3gpuE3ELNS1_3repE0EEENS1_30default_config_static_selectorELNS0_4arch9wavefront6targetE1EEEvS12_,@function
_ZN7rocprim17ROCPRIM_400000_NS6detail17trampoline_kernelINS0_13select_configILj256ELj13ELNS0_17block_load_methodE3ELS4_3ELS4_3ELNS0_20block_scan_algorithmE0ELj4294967295EEENS1_25partition_config_selectorILNS1_17partition_subalgoE4EjNS0_10empty_typeEbEEZZNS1_14partition_implILS8_4ELb0ES6_15HIP_vector_typeIjLj2EENS0_17counting_iteratorIjlEEPS9_SG_NS0_5tupleIJPjSI_NS0_16reverse_iteratorISI_EEEEENSH_IJSG_SG_SG_EEES9_SI_JZNS1_25segmented_radix_sort_implINS0_14default_configELb0EPKaPaPKlPlN2at6native12_GLOBAL__N_18offset_tEEE10hipError_tPvRmT1_PNSt15iterator_traitsIS12_E10value_typeET2_T3_PNS13_IS18_E10value_typeET4_jRbjT5_S1E_jjP12ihipStream_tbEUljE_ZNSN_ISO_Lb0ESQ_SR_ST_SU_SY_EESZ_S10_S11_S12_S16_S17_S18_S1B_S1C_jS1D_jS1E_S1E_jjS1G_bEUljE0_EEESZ_S10_S11_S18_S1C_S1E_T6_T7_T9_mT8_S1G_bDpT10_ENKUlT_T0_E_clISt17integral_constantIbLb1EES1T_IbLb0EEEEDaS1P_S1Q_EUlS1P_E_NS1_11comp_targetILNS1_3genE9ELNS1_11target_archE1100ELNS1_3gpuE3ELNS1_3repE0EEENS1_30default_config_static_selectorELNS0_4arch9wavefront6targetE1EEEvS12_: ; @_ZN7rocprim17ROCPRIM_400000_NS6detail17trampoline_kernelINS0_13select_configILj256ELj13ELNS0_17block_load_methodE3ELS4_3ELS4_3ELNS0_20block_scan_algorithmE0ELj4294967295EEENS1_25partition_config_selectorILNS1_17partition_subalgoE4EjNS0_10empty_typeEbEEZZNS1_14partition_implILS8_4ELb0ES6_15HIP_vector_typeIjLj2EENS0_17counting_iteratorIjlEEPS9_SG_NS0_5tupleIJPjSI_NS0_16reverse_iteratorISI_EEEEENSH_IJSG_SG_SG_EEES9_SI_JZNS1_25segmented_radix_sort_implINS0_14default_configELb0EPKaPaPKlPlN2at6native12_GLOBAL__N_18offset_tEEE10hipError_tPvRmT1_PNSt15iterator_traitsIS12_E10value_typeET2_T3_PNS13_IS18_E10value_typeET4_jRbjT5_S1E_jjP12ihipStream_tbEUljE_ZNSN_ISO_Lb0ESQ_SR_ST_SU_SY_EESZ_S10_S11_S12_S16_S17_S18_S1B_S1C_jS1D_jS1E_S1E_jjS1G_bEUljE0_EEESZ_S10_S11_S18_S1C_S1E_T6_T7_T9_mT8_S1G_bDpT10_ENKUlT_T0_E_clISt17integral_constantIbLb1EES1T_IbLb0EEEEDaS1P_S1Q_EUlS1P_E_NS1_11comp_targetILNS1_3genE9ELNS1_11target_archE1100ELNS1_3gpuE3ELNS1_3repE0EEENS1_30default_config_static_selectorELNS0_4arch9wavefront6targetE1EEEvS12_
; %bb.0:
	.section	.rodata,"a",@progbits
	.p2align	6, 0x0
	.amdhsa_kernel _ZN7rocprim17ROCPRIM_400000_NS6detail17trampoline_kernelINS0_13select_configILj256ELj13ELNS0_17block_load_methodE3ELS4_3ELS4_3ELNS0_20block_scan_algorithmE0ELj4294967295EEENS1_25partition_config_selectorILNS1_17partition_subalgoE4EjNS0_10empty_typeEbEEZZNS1_14partition_implILS8_4ELb0ES6_15HIP_vector_typeIjLj2EENS0_17counting_iteratorIjlEEPS9_SG_NS0_5tupleIJPjSI_NS0_16reverse_iteratorISI_EEEEENSH_IJSG_SG_SG_EEES9_SI_JZNS1_25segmented_radix_sort_implINS0_14default_configELb0EPKaPaPKlPlN2at6native12_GLOBAL__N_18offset_tEEE10hipError_tPvRmT1_PNSt15iterator_traitsIS12_E10value_typeET2_T3_PNS13_IS18_E10value_typeET4_jRbjT5_S1E_jjP12ihipStream_tbEUljE_ZNSN_ISO_Lb0ESQ_SR_ST_SU_SY_EESZ_S10_S11_S12_S16_S17_S18_S1B_S1C_jS1D_jS1E_S1E_jjS1G_bEUljE0_EEESZ_S10_S11_S18_S1C_S1E_T6_T7_T9_mT8_S1G_bDpT10_ENKUlT_T0_E_clISt17integral_constantIbLb1EES1T_IbLb0EEEEDaS1P_S1Q_EUlS1P_E_NS1_11comp_targetILNS1_3genE9ELNS1_11target_archE1100ELNS1_3gpuE3ELNS1_3repE0EEENS1_30default_config_static_selectorELNS0_4arch9wavefront6targetE1EEEvS12_
		.amdhsa_group_segment_fixed_size 0
		.amdhsa_private_segment_fixed_size 0
		.amdhsa_kernarg_size 176
		.amdhsa_user_sgpr_count 6
		.amdhsa_user_sgpr_private_segment_buffer 1
		.amdhsa_user_sgpr_dispatch_ptr 0
		.amdhsa_user_sgpr_queue_ptr 0
		.amdhsa_user_sgpr_kernarg_segment_ptr 1
		.amdhsa_user_sgpr_dispatch_id 0
		.amdhsa_user_sgpr_flat_scratch_init 0
		.amdhsa_user_sgpr_private_segment_size 0
		.amdhsa_uses_dynamic_stack 0
		.amdhsa_system_sgpr_private_segment_wavefront_offset 0
		.amdhsa_system_sgpr_workgroup_id_x 1
		.amdhsa_system_sgpr_workgroup_id_y 0
		.amdhsa_system_sgpr_workgroup_id_z 0
		.amdhsa_system_sgpr_workgroup_info 0
		.amdhsa_system_vgpr_workitem_id 0
		.amdhsa_next_free_vgpr 1
		.amdhsa_next_free_sgpr 0
		.amdhsa_reserve_vcc 0
		.amdhsa_reserve_flat_scratch 0
		.amdhsa_float_round_mode_32 0
		.amdhsa_float_round_mode_16_64 0
		.amdhsa_float_denorm_mode_32 3
		.amdhsa_float_denorm_mode_16_64 3
		.amdhsa_dx10_clamp 1
		.amdhsa_ieee_mode 1
		.amdhsa_fp16_overflow 0
		.amdhsa_exception_fp_ieee_invalid_op 0
		.amdhsa_exception_fp_denorm_src 0
		.amdhsa_exception_fp_ieee_div_zero 0
		.amdhsa_exception_fp_ieee_overflow 0
		.amdhsa_exception_fp_ieee_underflow 0
		.amdhsa_exception_fp_ieee_inexact 0
		.amdhsa_exception_int_div_zero 0
	.end_amdhsa_kernel
	.section	.text._ZN7rocprim17ROCPRIM_400000_NS6detail17trampoline_kernelINS0_13select_configILj256ELj13ELNS0_17block_load_methodE3ELS4_3ELS4_3ELNS0_20block_scan_algorithmE0ELj4294967295EEENS1_25partition_config_selectorILNS1_17partition_subalgoE4EjNS0_10empty_typeEbEEZZNS1_14partition_implILS8_4ELb0ES6_15HIP_vector_typeIjLj2EENS0_17counting_iteratorIjlEEPS9_SG_NS0_5tupleIJPjSI_NS0_16reverse_iteratorISI_EEEEENSH_IJSG_SG_SG_EEES9_SI_JZNS1_25segmented_radix_sort_implINS0_14default_configELb0EPKaPaPKlPlN2at6native12_GLOBAL__N_18offset_tEEE10hipError_tPvRmT1_PNSt15iterator_traitsIS12_E10value_typeET2_T3_PNS13_IS18_E10value_typeET4_jRbjT5_S1E_jjP12ihipStream_tbEUljE_ZNSN_ISO_Lb0ESQ_SR_ST_SU_SY_EESZ_S10_S11_S12_S16_S17_S18_S1B_S1C_jS1D_jS1E_S1E_jjS1G_bEUljE0_EEESZ_S10_S11_S18_S1C_S1E_T6_T7_T9_mT8_S1G_bDpT10_ENKUlT_T0_E_clISt17integral_constantIbLb1EES1T_IbLb0EEEEDaS1P_S1Q_EUlS1P_E_NS1_11comp_targetILNS1_3genE9ELNS1_11target_archE1100ELNS1_3gpuE3ELNS1_3repE0EEENS1_30default_config_static_selectorELNS0_4arch9wavefront6targetE1EEEvS12_,"axG",@progbits,_ZN7rocprim17ROCPRIM_400000_NS6detail17trampoline_kernelINS0_13select_configILj256ELj13ELNS0_17block_load_methodE3ELS4_3ELS4_3ELNS0_20block_scan_algorithmE0ELj4294967295EEENS1_25partition_config_selectorILNS1_17partition_subalgoE4EjNS0_10empty_typeEbEEZZNS1_14partition_implILS8_4ELb0ES6_15HIP_vector_typeIjLj2EENS0_17counting_iteratorIjlEEPS9_SG_NS0_5tupleIJPjSI_NS0_16reverse_iteratorISI_EEEEENSH_IJSG_SG_SG_EEES9_SI_JZNS1_25segmented_radix_sort_implINS0_14default_configELb0EPKaPaPKlPlN2at6native12_GLOBAL__N_18offset_tEEE10hipError_tPvRmT1_PNSt15iterator_traitsIS12_E10value_typeET2_T3_PNS13_IS18_E10value_typeET4_jRbjT5_S1E_jjP12ihipStream_tbEUljE_ZNSN_ISO_Lb0ESQ_SR_ST_SU_SY_EESZ_S10_S11_S12_S16_S17_S18_S1B_S1C_jS1D_jS1E_S1E_jjS1G_bEUljE0_EEESZ_S10_S11_S18_S1C_S1E_T6_T7_T9_mT8_S1G_bDpT10_ENKUlT_T0_E_clISt17integral_constantIbLb1EES1T_IbLb0EEEEDaS1P_S1Q_EUlS1P_E_NS1_11comp_targetILNS1_3genE9ELNS1_11target_archE1100ELNS1_3gpuE3ELNS1_3repE0EEENS1_30default_config_static_selectorELNS0_4arch9wavefront6targetE1EEEvS12_,comdat
.Lfunc_end351:
	.size	_ZN7rocprim17ROCPRIM_400000_NS6detail17trampoline_kernelINS0_13select_configILj256ELj13ELNS0_17block_load_methodE3ELS4_3ELS4_3ELNS0_20block_scan_algorithmE0ELj4294967295EEENS1_25partition_config_selectorILNS1_17partition_subalgoE4EjNS0_10empty_typeEbEEZZNS1_14partition_implILS8_4ELb0ES6_15HIP_vector_typeIjLj2EENS0_17counting_iteratorIjlEEPS9_SG_NS0_5tupleIJPjSI_NS0_16reverse_iteratorISI_EEEEENSH_IJSG_SG_SG_EEES9_SI_JZNS1_25segmented_radix_sort_implINS0_14default_configELb0EPKaPaPKlPlN2at6native12_GLOBAL__N_18offset_tEEE10hipError_tPvRmT1_PNSt15iterator_traitsIS12_E10value_typeET2_T3_PNS13_IS18_E10value_typeET4_jRbjT5_S1E_jjP12ihipStream_tbEUljE_ZNSN_ISO_Lb0ESQ_SR_ST_SU_SY_EESZ_S10_S11_S12_S16_S17_S18_S1B_S1C_jS1D_jS1E_S1E_jjS1G_bEUljE0_EEESZ_S10_S11_S18_S1C_S1E_T6_T7_T9_mT8_S1G_bDpT10_ENKUlT_T0_E_clISt17integral_constantIbLb1EES1T_IbLb0EEEEDaS1P_S1Q_EUlS1P_E_NS1_11comp_targetILNS1_3genE9ELNS1_11target_archE1100ELNS1_3gpuE3ELNS1_3repE0EEENS1_30default_config_static_selectorELNS0_4arch9wavefront6targetE1EEEvS12_, .Lfunc_end351-_ZN7rocprim17ROCPRIM_400000_NS6detail17trampoline_kernelINS0_13select_configILj256ELj13ELNS0_17block_load_methodE3ELS4_3ELS4_3ELNS0_20block_scan_algorithmE0ELj4294967295EEENS1_25partition_config_selectorILNS1_17partition_subalgoE4EjNS0_10empty_typeEbEEZZNS1_14partition_implILS8_4ELb0ES6_15HIP_vector_typeIjLj2EENS0_17counting_iteratorIjlEEPS9_SG_NS0_5tupleIJPjSI_NS0_16reverse_iteratorISI_EEEEENSH_IJSG_SG_SG_EEES9_SI_JZNS1_25segmented_radix_sort_implINS0_14default_configELb0EPKaPaPKlPlN2at6native12_GLOBAL__N_18offset_tEEE10hipError_tPvRmT1_PNSt15iterator_traitsIS12_E10value_typeET2_T3_PNS13_IS18_E10value_typeET4_jRbjT5_S1E_jjP12ihipStream_tbEUljE_ZNSN_ISO_Lb0ESQ_SR_ST_SU_SY_EESZ_S10_S11_S12_S16_S17_S18_S1B_S1C_jS1D_jS1E_S1E_jjS1G_bEUljE0_EEESZ_S10_S11_S18_S1C_S1E_T6_T7_T9_mT8_S1G_bDpT10_ENKUlT_T0_E_clISt17integral_constantIbLb1EES1T_IbLb0EEEEDaS1P_S1Q_EUlS1P_E_NS1_11comp_targetILNS1_3genE9ELNS1_11target_archE1100ELNS1_3gpuE3ELNS1_3repE0EEENS1_30default_config_static_selectorELNS0_4arch9wavefront6targetE1EEEvS12_
                                        ; -- End function
	.set _ZN7rocprim17ROCPRIM_400000_NS6detail17trampoline_kernelINS0_13select_configILj256ELj13ELNS0_17block_load_methodE3ELS4_3ELS4_3ELNS0_20block_scan_algorithmE0ELj4294967295EEENS1_25partition_config_selectorILNS1_17partition_subalgoE4EjNS0_10empty_typeEbEEZZNS1_14partition_implILS8_4ELb0ES6_15HIP_vector_typeIjLj2EENS0_17counting_iteratorIjlEEPS9_SG_NS0_5tupleIJPjSI_NS0_16reverse_iteratorISI_EEEEENSH_IJSG_SG_SG_EEES9_SI_JZNS1_25segmented_radix_sort_implINS0_14default_configELb0EPKaPaPKlPlN2at6native12_GLOBAL__N_18offset_tEEE10hipError_tPvRmT1_PNSt15iterator_traitsIS12_E10value_typeET2_T3_PNS13_IS18_E10value_typeET4_jRbjT5_S1E_jjP12ihipStream_tbEUljE_ZNSN_ISO_Lb0ESQ_SR_ST_SU_SY_EESZ_S10_S11_S12_S16_S17_S18_S1B_S1C_jS1D_jS1E_S1E_jjS1G_bEUljE0_EEESZ_S10_S11_S18_S1C_S1E_T6_T7_T9_mT8_S1G_bDpT10_ENKUlT_T0_E_clISt17integral_constantIbLb1EES1T_IbLb0EEEEDaS1P_S1Q_EUlS1P_E_NS1_11comp_targetILNS1_3genE9ELNS1_11target_archE1100ELNS1_3gpuE3ELNS1_3repE0EEENS1_30default_config_static_selectorELNS0_4arch9wavefront6targetE1EEEvS12_.num_vgpr, 0
	.set _ZN7rocprim17ROCPRIM_400000_NS6detail17trampoline_kernelINS0_13select_configILj256ELj13ELNS0_17block_load_methodE3ELS4_3ELS4_3ELNS0_20block_scan_algorithmE0ELj4294967295EEENS1_25partition_config_selectorILNS1_17partition_subalgoE4EjNS0_10empty_typeEbEEZZNS1_14partition_implILS8_4ELb0ES6_15HIP_vector_typeIjLj2EENS0_17counting_iteratorIjlEEPS9_SG_NS0_5tupleIJPjSI_NS0_16reverse_iteratorISI_EEEEENSH_IJSG_SG_SG_EEES9_SI_JZNS1_25segmented_radix_sort_implINS0_14default_configELb0EPKaPaPKlPlN2at6native12_GLOBAL__N_18offset_tEEE10hipError_tPvRmT1_PNSt15iterator_traitsIS12_E10value_typeET2_T3_PNS13_IS18_E10value_typeET4_jRbjT5_S1E_jjP12ihipStream_tbEUljE_ZNSN_ISO_Lb0ESQ_SR_ST_SU_SY_EESZ_S10_S11_S12_S16_S17_S18_S1B_S1C_jS1D_jS1E_S1E_jjS1G_bEUljE0_EEESZ_S10_S11_S18_S1C_S1E_T6_T7_T9_mT8_S1G_bDpT10_ENKUlT_T0_E_clISt17integral_constantIbLb1EES1T_IbLb0EEEEDaS1P_S1Q_EUlS1P_E_NS1_11comp_targetILNS1_3genE9ELNS1_11target_archE1100ELNS1_3gpuE3ELNS1_3repE0EEENS1_30default_config_static_selectorELNS0_4arch9wavefront6targetE1EEEvS12_.num_agpr, 0
	.set _ZN7rocprim17ROCPRIM_400000_NS6detail17trampoline_kernelINS0_13select_configILj256ELj13ELNS0_17block_load_methodE3ELS4_3ELS4_3ELNS0_20block_scan_algorithmE0ELj4294967295EEENS1_25partition_config_selectorILNS1_17partition_subalgoE4EjNS0_10empty_typeEbEEZZNS1_14partition_implILS8_4ELb0ES6_15HIP_vector_typeIjLj2EENS0_17counting_iteratorIjlEEPS9_SG_NS0_5tupleIJPjSI_NS0_16reverse_iteratorISI_EEEEENSH_IJSG_SG_SG_EEES9_SI_JZNS1_25segmented_radix_sort_implINS0_14default_configELb0EPKaPaPKlPlN2at6native12_GLOBAL__N_18offset_tEEE10hipError_tPvRmT1_PNSt15iterator_traitsIS12_E10value_typeET2_T3_PNS13_IS18_E10value_typeET4_jRbjT5_S1E_jjP12ihipStream_tbEUljE_ZNSN_ISO_Lb0ESQ_SR_ST_SU_SY_EESZ_S10_S11_S12_S16_S17_S18_S1B_S1C_jS1D_jS1E_S1E_jjS1G_bEUljE0_EEESZ_S10_S11_S18_S1C_S1E_T6_T7_T9_mT8_S1G_bDpT10_ENKUlT_T0_E_clISt17integral_constantIbLb1EES1T_IbLb0EEEEDaS1P_S1Q_EUlS1P_E_NS1_11comp_targetILNS1_3genE9ELNS1_11target_archE1100ELNS1_3gpuE3ELNS1_3repE0EEENS1_30default_config_static_selectorELNS0_4arch9wavefront6targetE1EEEvS12_.numbered_sgpr, 0
	.set _ZN7rocprim17ROCPRIM_400000_NS6detail17trampoline_kernelINS0_13select_configILj256ELj13ELNS0_17block_load_methodE3ELS4_3ELS4_3ELNS0_20block_scan_algorithmE0ELj4294967295EEENS1_25partition_config_selectorILNS1_17partition_subalgoE4EjNS0_10empty_typeEbEEZZNS1_14partition_implILS8_4ELb0ES6_15HIP_vector_typeIjLj2EENS0_17counting_iteratorIjlEEPS9_SG_NS0_5tupleIJPjSI_NS0_16reverse_iteratorISI_EEEEENSH_IJSG_SG_SG_EEES9_SI_JZNS1_25segmented_radix_sort_implINS0_14default_configELb0EPKaPaPKlPlN2at6native12_GLOBAL__N_18offset_tEEE10hipError_tPvRmT1_PNSt15iterator_traitsIS12_E10value_typeET2_T3_PNS13_IS18_E10value_typeET4_jRbjT5_S1E_jjP12ihipStream_tbEUljE_ZNSN_ISO_Lb0ESQ_SR_ST_SU_SY_EESZ_S10_S11_S12_S16_S17_S18_S1B_S1C_jS1D_jS1E_S1E_jjS1G_bEUljE0_EEESZ_S10_S11_S18_S1C_S1E_T6_T7_T9_mT8_S1G_bDpT10_ENKUlT_T0_E_clISt17integral_constantIbLb1EES1T_IbLb0EEEEDaS1P_S1Q_EUlS1P_E_NS1_11comp_targetILNS1_3genE9ELNS1_11target_archE1100ELNS1_3gpuE3ELNS1_3repE0EEENS1_30default_config_static_selectorELNS0_4arch9wavefront6targetE1EEEvS12_.num_named_barrier, 0
	.set _ZN7rocprim17ROCPRIM_400000_NS6detail17trampoline_kernelINS0_13select_configILj256ELj13ELNS0_17block_load_methodE3ELS4_3ELS4_3ELNS0_20block_scan_algorithmE0ELj4294967295EEENS1_25partition_config_selectorILNS1_17partition_subalgoE4EjNS0_10empty_typeEbEEZZNS1_14partition_implILS8_4ELb0ES6_15HIP_vector_typeIjLj2EENS0_17counting_iteratorIjlEEPS9_SG_NS0_5tupleIJPjSI_NS0_16reverse_iteratorISI_EEEEENSH_IJSG_SG_SG_EEES9_SI_JZNS1_25segmented_radix_sort_implINS0_14default_configELb0EPKaPaPKlPlN2at6native12_GLOBAL__N_18offset_tEEE10hipError_tPvRmT1_PNSt15iterator_traitsIS12_E10value_typeET2_T3_PNS13_IS18_E10value_typeET4_jRbjT5_S1E_jjP12ihipStream_tbEUljE_ZNSN_ISO_Lb0ESQ_SR_ST_SU_SY_EESZ_S10_S11_S12_S16_S17_S18_S1B_S1C_jS1D_jS1E_S1E_jjS1G_bEUljE0_EEESZ_S10_S11_S18_S1C_S1E_T6_T7_T9_mT8_S1G_bDpT10_ENKUlT_T0_E_clISt17integral_constantIbLb1EES1T_IbLb0EEEEDaS1P_S1Q_EUlS1P_E_NS1_11comp_targetILNS1_3genE9ELNS1_11target_archE1100ELNS1_3gpuE3ELNS1_3repE0EEENS1_30default_config_static_selectorELNS0_4arch9wavefront6targetE1EEEvS12_.private_seg_size, 0
	.set _ZN7rocprim17ROCPRIM_400000_NS6detail17trampoline_kernelINS0_13select_configILj256ELj13ELNS0_17block_load_methodE3ELS4_3ELS4_3ELNS0_20block_scan_algorithmE0ELj4294967295EEENS1_25partition_config_selectorILNS1_17partition_subalgoE4EjNS0_10empty_typeEbEEZZNS1_14partition_implILS8_4ELb0ES6_15HIP_vector_typeIjLj2EENS0_17counting_iteratorIjlEEPS9_SG_NS0_5tupleIJPjSI_NS0_16reverse_iteratorISI_EEEEENSH_IJSG_SG_SG_EEES9_SI_JZNS1_25segmented_radix_sort_implINS0_14default_configELb0EPKaPaPKlPlN2at6native12_GLOBAL__N_18offset_tEEE10hipError_tPvRmT1_PNSt15iterator_traitsIS12_E10value_typeET2_T3_PNS13_IS18_E10value_typeET4_jRbjT5_S1E_jjP12ihipStream_tbEUljE_ZNSN_ISO_Lb0ESQ_SR_ST_SU_SY_EESZ_S10_S11_S12_S16_S17_S18_S1B_S1C_jS1D_jS1E_S1E_jjS1G_bEUljE0_EEESZ_S10_S11_S18_S1C_S1E_T6_T7_T9_mT8_S1G_bDpT10_ENKUlT_T0_E_clISt17integral_constantIbLb1EES1T_IbLb0EEEEDaS1P_S1Q_EUlS1P_E_NS1_11comp_targetILNS1_3genE9ELNS1_11target_archE1100ELNS1_3gpuE3ELNS1_3repE0EEENS1_30default_config_static_selectorELNS0_4arch9wavefront6targetE1EEEvS12_.uses_vcc, 0
	.set _ZN7rocprim17ROCPRIM_400000_NS6detail17trampoline_kernelINS0_13select_configILj256ELj13ELNS0_17block_load_methodE3ELS4_3ELS4_3ELNS0_20block_scan_algorithmE0ELj4294967295EEENS1_25partition_config_selectorILNS1_17partition_subalgoE4EjNS0_10empty_typeEbEEZZNS1_14partition_implILS8_4ELb0ES6_15HIP_vector_typeIjLj2EENS0_17counting_iteratorIjlEEPS9_SG_NS0_5tupleIJPjSI_NS0_16reverse_iteratorISI_EEEEENSH_IJSG_SG_SG_EEES9_SI_JZNS1_25segmented_radix_sort_implINS0_14default_configELb0EPKaPaPKlPlN2at6native12_GLOBAL__N_18offset_tEEE10hipError_tPvRmT1_PNSt15iterator_traitsIS12_E10value_typeET2_T3_PNS13_IS18_E10value_typeET4_jRbjT5_S1E_jjP12ihipStream_tbEUljE_ZNSN_ISO_Lb0ESQ_SR_ST_SU_SY_EESZ_S10_S11_S12_S16_S17_S18_S1B_S1C_jS1D_jS1E_S1E_jjS1G_bEUljE0_EEESZ_S10_S11_S18_S1C_S1E_T6_T7_T9_mT8_S1G_bDpT10_ENKUlT_T0_E_clISt17integral_constantIbLb1EES1T_IbLb0EEEEDaS1P_S1Q_EUlS1P_E_NS1_11comp_targetILNS1_3genE9ELNS1_11target_archE1100ELNS1_3gpuE3ELNS1_3repE0EEENS1_30default_config_static_selectorELNS0_4arch9wavefront6targetE1EEEvS12_.uses_flat_scratch, 0
	.set _ZN7rocprim17ROCPRIM_400000_NS6detail17trampoline_kernelINS0_13select_configILj256ELj13ELNS0_17block_load_methodE3ELS4_3ELS4_3ELNS0_20block_scan_algorithmE0ELj4294967295EEENS1_25partition_config_selectorILNS1_17partition_subalgoE4EjNS0_10empty_typeEbEEZZNS1_14partition_implILS8_4ELb0ES6_15HIP_vector_typeIjLj2EENS0_17counting_iteratorIjlEEPS9_SG_NS0_5tupleIJPjSI_NS0_16reverse_iteratorISI_EEEEENSH_IJSG_SG_SG_EEES9_SI_JZNS1_25segmented_radix_sort_implINS0_14default_configELb0EPKaPaPKlPlN2at6native12_GLOBAL__N_18offset_tEEE10hipError_tPvRmT1_PNSt15iterator_traitsIS12_E10value_typeET2_T3_PNS13_IS18_E10value_typeET4_jRbjT5_S1E_jjP12ihipStream_tbEUljE_ZNSN_ISO_Lb0ESQ_SR_ST_SU_SY_EESZ_S10_S11_S12_S16_S17_S18_S1B_S1C_jS1D_jS1E_S1E_jjS1G_bEUljE0_EEESZ_S10_S11_S18_S1C_S1E_T6_T7_T9_mT8_S1G_bDpT10_ENKUlT_T0_E_clISt17integral_constantIbLb1EES1T_IbLb0EEEEDaS1P_S1Q_EUlS1P_E_NS1_11comp_targetILNS1_3genE9ELNS1_11target_archE1100ELNS1_3gpuE3ELNS1_3repE0EEENS1_30default_config_static_selectorELNS0_4arch9wavefront6targetE1EEEvS12_.has_dyn_sized_stack, 0
	.set _ZN7rocprim17ROCPRIM_400000_NS6detail17trampoline_kernelINS0_13select_configILj256ELj13ELNS0_17block_load_methodE3ELS4_3ELS4_3ELNS0_20block_scan_algorithmE0ELj4294967295EEENS1_25partition_config_selectorILNS1_17partition_subalgoE4EjNS0_10empty_typeEbEEZZNS1_14partition_implILS8_4ELb0ES6_15HIP_vector_typeIjLj2EENS0_17counting_iteratorIjlEEPS9_SG_NS0_5tupleIJPjSI_NS0_16reverse_iteratorISI_EEEEENSH_IJSG_SG_SG_EEES9_SI_JZNS1_25segmented_radix_sort_implINS0_14default_configELb0EPKaPaPKlPlN2at6native12_GLOBAL__N_18offset_tEEE10hipError_tPvRmT1_PNSt15iterator_traitsIS12_E10value_typeET2_T3_PNS13_IS18_E10value_typeET4_jRbjT5_S1E_jjP12ihipStream_tbEUljE_ZNSN_ISO_Lb0ESQ_SR_ST_SU_SY_EESZ_S10_S11_S12_S16_S17_S18_S1B_S1C_jS1D_jS1E_S1E_jjS1G_bEUljE0_EEESZ_S10_S11_S18_S1C_S1E_T6_T7_T9_mT8_S1G_bDpT10_ENKUlT_T0_E_clISt17integral_constantIbLb1EES1T_IbLb0EEEEDaS1P_S1Q_EUlS1P_E_NS1_11comp_targetILNS1_3genE9ELNS1_11target_archE1100ELNS1_3gpuE3ELNS1_3repE0EEENS1_30default_config_static_selectorELNS0_4arch9wavefront6targetE1EEEvS12_.has_recursion, 0
	.set _ZN7rocprim17ROCPRIM_400000_NS6detail17trampoline_kernelINS0_13select_configILj256ELj13ELNS0_17block_load_methodE3ELS4_3ELS4_3ELNS0_20block_scan_algorithmE0ELj4294967295EEENS1_25partition_config_selectorILNS1_17partition_subalgoE4EjNS0_10empty_typeEbEEZZNS1_14partition_implILS8_4ELb0ES6_15HIP_vector_typeIjLj2EENS0_17counting_iteratorIjlEEPS9_SG_NS0_5tupleIJPjSI_NS0_16reverse_iteratorISI_EEEEENSH_IJSG_SG_SG_EEES9_SI_JZNS1_25segmented_radix_sort_implINS0_14default_configELb0EPKaPaPKlPlN2at6native12_GLOBAL__N_18offset_tEEE10hipError_tPvRmT1_PNSt15iterator_traitsIS12_E10value_typeET2_T3_PNS13_IS18_E10value_typeET4_jRbjT5_S1E_jjP12ihipStream_tbEUljE_ZNSN_ISO_Lb0ESQ_SR_ST_SU_SY_EESZ_S10_S11_S12_S16_S17_S18_S1B_S1C_jS1D_jS1E_S1E_jjS1G_bEUljE0_EEESZ_S10_S11_S18_S1C_S1E_T6_T7_T9_mT8_S1G_bDpT10_ENKUlT_T0_E_clISt17integral_constantIbLb1EES1T_IbLb0EEEEDaS1P_S1Q_EUlS1P_E_NS1_11comp_targetILNS1_3genE9ELNS1_11target_archE1100ELNS1_3gpuE3ELNS1_3repE0EEENS1_30default_config_static_selectorELNS0_4arch9wavefront6targetE1EEEvS12_.has_indirect_call, 0
	.section	.AMDGPU.csdata,"",@progbits
; Kernel info:
; codeLenInByte = 0
; TotalNumSgprs: 4
; NumVgprs: 0
; ScratchSize: 0
; MemoryBound: 0
; FloatMode: 240
; IeeeMode: 1
; LDSByteSize: 0 bytes/workgroup (compile time only)
; SGPRBlocks: 0
; VGPRBlocks: 0
; NumSGPRsForWavesPerEU: 4
; NumVGPRsForWavesPerEU: 1
; Occupancy: 10
; WaveLimiterHint : 0
; COMPUTE_PGM_RSRC2:SCRATCH_EN: 0
; COMPUTE_PGM_RSRC2:USER_SGPR: 6
; COMPUTE_PGM_RSRC2:TRAP_HANDLER: 0
; COMPUTE_PGM_RSRC2:TGID_X_EN: 1
; COMPUTE_PGM_RSRC2:TGID_Y_EN: 0
; COMPUTE_PGM_RSRC2:TGID_Z_EN: 0
; COMPUTE_PGM_RSRC2:TIDIG_COMP_CNT: 0
	.section	.text._ZN7rocprim17ROCPRIM_400000_NS6detail17trampoline_kernelINS0_13select_configILj256ELj13ELNS0_17block_load_methodE3ELS4_3ELS4_3ELNS0_20block_scan_algorithmE0ELj4294967295EEENS1_25partition_config_selectorILNS1_17partition_subalgoE4EjNS0_10empty_typeEbEEZZNS1_14partition_implILS8_4ELb0ES6_15HIP_vector_typeIjLj2EENS0_17counting_iteratorIjlEEPS9_SG_NS0_5tupleIJPjSI_NS0_16reverse_iteratorISI_EEEEENSH_IJSG_SG_SG_EEES9_SI_JZNS1_25segmented_radix_sort_implINS0_14default_configELb0EPKaPaPKlPlN2at6native12_GLOBAL__N_18offset_tEEE10hipError_tPvRmT1_PNSt15iterator_traitsIS12_E10value_typeET2_T3_PNS13_IS18_E10value_typeET4_jRbjT5_S1E_jjP12ihipStream_tbEUljE_ZNSN_ISO_Lb0ESQ_SR_ST_SU_SY_EESZ_S10_S11_S12_S16_S17_S18_S1B_S1C_jS1D_jS1E_S1E_jjS1G_bEUljE0_EEESZ_S10_S11_S18_S1C_S1E_T6_T7_T9_mT8_S1G_bDpT10_ENKUlT_T0_E_clISt17integral_constantIbLb1EES1T_IbLb0EEEEDaS1P_S1Q_EUlS1P_E_NS1_11comp_targetILNS1_3genE8ELNS1_11target_archE1030ELNS1_3gpuE2ELNS1_3repE0EEENS1_30default_config_static_selectorELNS0_4arch9wavefront6targetE1EEEvS12_,"axG",@progbits,_ZN7rocprim17ROCPRIM_400000_NS6detail17trampoline_kernelINS0_13select_configILj256ELj13ELNS0_17block_load_methodE3ELS4_3ELS4_3ELNS0_20block_scan_algorithmE0ELj4294967295EEENS1_25partition_config_selectorILNS1_17partition_subalgoE4EjNS0_10empty_typeEbEEZZNS1_14partition_implILS8_4ELb0ES6_15HIP_vector_typeIjLj2EENS0_17counting_iteratorIjlEEPS9_SG_NS0_5tupleIJPjSI_NS0_16reverse_iteratorISI_EEEEENSH_IJSG_SG_SG_EEES9_SI_JZNS1_25segmented_radix_sort_implINS0_14default_configELb0EPKaPaPKlPlN2at6native12_GLOBAL__N_18offset_tEEE10hipError_tPvRmT1_PNSt15iterator_traitsIS12_E10value_typeET2_T3_PNS13_IS18_E10value_typeET4_jRbjT5_S1E_jjP12ihipStream_tbEUljE_ZNSN_ISO_Lb0ESQ_SR_ST_SU_SY_EESZ_S10_S11_S12_S16_S17_S18_S1B_S1C_jS1D_jS1E_S1E_jjS1G_bEUljE0_EEESZ_S10_S11_S18_S1C_S1E_T6_T7_T9_mT8_S1G_bDpT10_ENKUlT_T0_E_clISt17integral_constantIbLb1EES1T_IbLb0EEEEDaS1P_S1Q_EUlS1P_E_NS1_11comp_targetILNS1_3genE8ELNS1_11target_archE1030ELNS1_3gpuE2ELNS1_3repE0EEENS1_30default_config_static_selectorELNS0_4arch9wavefront6targetE1EEEvS12_,comdat
	.globl	_ZN7rocprim17ROCPRIM_400000_NS6detail17trampoline_kernelINS0_13select_configILj256ELj13ELNS0_17block_load_methodE3ELS4_3ELS4_3ELNS0_20block_scan_algorithmE0ELj4294967295EEENS1_25partition_config_selectorILNS1_17partition_subalgoE4EjNS0_10empty_typeEbEEZZNS1_14partition_implILS8_4ELb0ES6_15HIP_vector_typeIjLj2EENS0_17counting_iteratorIjlEEPS9_SG_NS0_5tupleIJPjSI_NS0_16reverse_iteratorISI_EEEEENSH_IJSG_SG_SG_EEES9_SI_JZNS1_25segmented_radix_sort_implINS0_14default_configELb0EPKaPaPKlPlN2at6native12_GLOBAL__N_18offset_tEEE10hipError_tPvRmT1_PNSt15iterator_traitsIS12_E10value_typeET2_T3_PNS13_IS18_E10value_typeET4_jRbjT5_S1E_jjP12ihipStream_tbEUljE_ZNSN_ISO_Lb0ESQ_SR_ST_SU_SY_EESZ_S10_S11_S12_S16_S17_S18_S1B_S1C_jS1D_jS1E_S1E_jjS1G_bEUljE0_EEESZ_S10_S11_S18_S1C_S1E_T6_T7_T9_mT8_S1G_bDpT10_ENKUlT_T0_E_clISt17integral_constantIbLb1EES1T_IbLb0EEEEDaS1P_S1Q_EUlS1P_E_NS1_11comp_targetILNS1_3genE8ELNS1_11target_archE1030ELNS1_3gpuE2ELNS1_3repE0EEENS1_30default_config_static_selectorELNS0_4arch9wavefront6targetE1EEEvS12_ ; -- Begin function _ZN7rocprim17ROCPRIM_400000_NS6detail17trampoline_kernelINS0_13select_configILj256ELj13ELNS0_17block_load_methodE3ELS4_3ELS4_3ELNS0_20block_scan_algorithmE0ELj4294967295EEENS1_25partition_config_selectorILNS1_17partition_subalgoE4EjNS0_10empty_typeEbEEZZNS1_14partition_implILS8_4ELb0ES6_15HIP_vector_typeIjLj2EENS0_17counting_iteratorIjlEEPS9_SG_NS0_5tupleIJPjSI_NS0_16reverse_iteratorISI_EEEEENSH_IJSG_SG_SG_EEES9_SI_JZNS1_25segmented_radix_sort_implINS0_14default_configELb0EPKaPaPKlPlN2at6native12_GLOBAL__N_18offset_tEEE10hipError_tPvRmT1_PNSt15iterator_traitsIS12_E10value_typeET2_T3_PNS13_IS18_E10value_typeET4_jRbjT5_S1E_jjP12ihipStream_tbEUljE_ZNSN_ISO_Lb0ESQ_SR_ST_SU_SY_EESZ_S10_S11_S12_S16_S17_S18_S1B_S1C_jS1D_jS1E_S1E_jjS1G_bEUljE0_EEESZ_S10_S11_S18_S1C_S1E_T6_T7_T9_mT8_S1G_bDpT10_ENKUlT_T0_E_clISt17integral_constantIbLb1EES1T_IbLb0EEEEDaS1P_S1Q_EUlS1P_E_NS1_11comp_targetILNS1_3genE8ELNS1_11target_archE1030ELNS1_3gpuE2ELNS1_3repE0EEENS1_30default_config_static_selectorELNS0_4arch9wavefront6targetE1EEEvS12_
	.p2align	8
	.type	_ZN7rocprim17ROCPRIM_400000_NS6detail17trampoline_kernelINS0_13select_configILj256ELj13ELNS0_17block_load_methodE3ELS4_3ELS4_3ELNS0_20block_scan_algorithmE0ELj4294967295EEENS1_25partition_config_selectorILNS1_17partition_subalgoE4EjNS0_10empty_typeEbEEZZNS1_14partition_implILS8_4ELb0ES6_15HIP_vector_typeIjLj2EENS0_17counting_iteratorIjlEEPS9_SG_NS0_5tupleIJPjSI_NS0_16reverse_iteratorISI_EEEEENSH_IJSG_SG_SG_EEES9_SI_JZNS1_25segmented_radix_sort_implINS0_14default_configELb0EPKaPaPKlPlN2at6native12_GLOBAL__N_18offset_tEEE10hipError_tPvRmT1_PNSt15iterator_traitsIS12_E10value_typeET2_T3_PNS13_IS18_E10value_typeET4_jRbjT5_S1E_jjP12ihipStream_tbEUljE_ZNSN_ISO_Lb0ESQ_SR_ST_SU_SY_EESZ_S10_S11_S12_S16_S17_S18_S1B_S1C_jS1D_jS1E_S1E_jjS1G_bEUljE0_EEESZ_S10_S11_S18_S1C_S1E_T6_T7_T9_mT8_S1G_bDpT10_ENKUlT_T0_E_clISt17integral_constantIbLb1EES1T_IbLb0EEEEDaS1P_S1Q_EUlS1P_E_NS1_11comp_targetILNS1_3genE8ELNS1_11target_archE1030ELNS1_3gpuE2ELNS1_3repE0EEENS1_30default_config_static_selectorELNS0_4arch9wavefront6targetE1EEEvS12_,@function
_ZN7rocprim17ROCPRIM_400000_NS6detail17trampoline_kernelINS0_13select_configILj256ELj13ELNS0_17block_load_methodE3ELS4_3ELS4_3ELNS0_20block_scan_algorithmE0ELj4294967295EEENS1_25partition_config_selectorILNS1_17partition_subalgoE4EjNS0_10empty_typeEbEEZZNS1_14partition_implILS8_4ELb0ES6_15HIP_vector_typeIjLj2EENS0_17counting_iteratorIjlEEPS9_SG_NS0_5tupleIJPjSI_NS0_16reverse_iteratorISI_EEEEENSH_IJSG_SG_SG_EEES9_SI_JZNS1_25segmented_radix_sort_implINS0_14default_configELb0EPKaPaPKlPlN2at6native12_GLOBAL__N_18offset_tEEE10hipError_tPvRmT1_PNSt15iterator_traitsIS12_E10value_typeET2_T3_PNS13_IS18_E10value_typeET4_jRbjT5_S1E_jjP12ihipStream_tbEUljE_ZNSN_ISO_Lb0ESQ_SR_ST_SU_SY_EESZ_S10_S11_S12_S16_S17_S18_S1B_S1C_jS1D_jS1E_S1E_jjS1G_bEUljE0_EEESZ_S10_S11_S18_S1C_S1E_T6_T7_T9_mT8_S1G_bDpT10_ENKUlT_T0_E_clISt17integral_constantIbLb1EES1T_IbLb0EEEEDaS1P_S1Q_EUlS1P_E_NS1_11comp_targetILNS1_3genE8ELNS1_11target_archE1030ELNS1_3gpuE2ELNS1_3repE0EEENS1_30default_config_static_selectorELNS0_4arch9wavefront6targetE1EEEvS12_: ; @_ZN7rocprim17ROCPRIM_400000_NS6detail17trampoline_kernelINS0_13select_configILj256ELj13ELNS0_17block_load_methodE3ELS4_3ELS4_3ELNS0_20block_scan_algorithmE0ELj4294967295EEENS1_25partition_config_selectorILNS1_17partition_subalgoE4EjNS0_10empty_typeEbEEZZNS1_14partition_implILS8_4ELb0ES6_15HIP_vector_typeIjLj2EENS0_17counting_iteratorIjlEEPS9_SG_NS0_5tupleIJPjSI_NS0_16reverse_iteratorISI_EEEEENSH_IJSG_SG_SG_EEES9_SI_JZNS1_25segmented_radix_sort_implINS0_14default_configELb0EPKaPaPKlPlN2at6native12_GLOBAL__N_18offset_tEEE10hipError_tPvRmT1_PNSt15iterator_traitsIS12_E10value_typeET2_T3_PNS13_IS18_E10value_typeET4_jRbjT5_S1E_jjP12ihipStream_tbEUljE_ZNSN_ISO_Lb0ESQ_SR_ST_SU_SY_EESZ_S10_S11_S12_S16_S17_S18_S1B_S1C_jS1D_jS1E_S1E_jjS1G_bEUljE0_EEESZ_S10_S11_S18_S1C_S1E_T6_T7_T9_mT8_S1G_bDpT10_ENKUlT_T0_E_clISt17integral_constantIbLb1EES1T_IbLb0EEEEDaS1P_S1Q_EUlS1P_E_NS1_11comp_targetILNS1_3genE8ELNS1_11target_archE1030ELNS1_3gpuE2ELNS1_3repE0EEENS1_30default_config_static_selectorELNS0_4arch9wavefront6targetE1EEEvS12_
; %bb.0:
	.section	.rodata,"a",@progbits
	.p2align	6, 0x0
	.amdhsa_kernel _ZN7rocprim17ROCPRIM_400000_NS6detail17trampoline_kernelINS0_13select_configILj256ELj13ELNS0_17block_load_methodE3ELS4_3ELS4_3ELNS0_20block_scan_algorithmE0ELj4294967295EEENS1_25partition_config_selectorILNS1_17partition_subalgoE4EjNS0_10empty_typeEbEEZZNS1_14partition_implILS8_4ELb0ES6_15HIP_vector_typeIjLj2EENS0_17counting_iteratorIjlEEPS9_SG_NS0_5tupleIJPjSI_NS0_16reverse_iteratorISI_EEEEENSH_IJSG_SG_SG_EEES9_SI_JZNS1_25segmented_radix_sort_implINS0_14default_configELb0EPKaPaPKlPlN2at6native12_GLOBAL__N_18offset_tEEE10hipError_tPvRmT1_PNSt15iterator_traitsIS12_E10value_typeET2_T3_PNS13_IS18_E10value_typeET4_jRbjT5_S1E_jjP12ihipStream_tbEUljE_ZNSN_ISO_Lb0ESQ_SR_ST_SU_SY_EESZ_S10_S11_S12_S16_S17_S18_S1B_S1C_jS1D_jS1E_S1E_jjS1G_bEUljE0_EEESZ_S10_S11_S18_S1C_S1E_T6_T7_T9_mT8_S1G_bDpT10_ENKUlT_T0_E_clISt17integral_constantIbLb1EES1T_IbLb0EEEEDaS1P_S1Q_EUlS1P_E_NS1_11comp_targetILNS1_3genE8ELNS1_11target_archE1030ELNS1_3gpuE2ELNS1_3repE0EEENS1_30default_config_static_selectorELNS0_4arch9wavefront6targetE1EEEvS12_
		.amdhsa_group_segment_fixed_size 0
		.amdhsa_private_segment_fixed_size 0
		.amdhsa_kernarg_size 176
		.amdhsa_user_sgpr_count 6
		.amdhsa_user_sgpr_private_segment_buffer 1
		.amdhsa_user_sgpr_dispatch_ptr 0
		.amdhsa_user_sgpr_queue_ptr 0
		.amdhsa_user_sgpr_kernarg_segment_ptr 1
		.amdhsa_user_sgpr_dispatch_id 0
		.amdhsa_user_sgpr_flat_scratch_init 0
		.amdhsa_user_sgpr_private_segment_size 0
		.amdhsa_uses_dynamic_stack 0
		.amdhsa_system_sgpr_private_segment_wavefront_offset 0
		.amdhsa_system_sgpr_workgroup_id_x 1
		.amdhsa_system_sgpr_workgroup_id_y 0
		.amdhsa_system_sgpr_workgroup_id_z 0
		.amdhsa_system_sgpr_workgroup_info 0
		.amdhsa_system_vgpr_workitem_id 0
		.amdhsa_next_free_vgpr 1
		.amdhsa_next_free_sgpr 0
		.amdhsa_reserve_vcc 0
		.amdhsa_reserve_flat_scratch 0
		.amdhsa_float_round_mode_32 0
		.amdhsa_float_round_mode_16_64 0
		.amdhsa_float_denorm_mode_32 3
		.amdhsa_float_denorm_mode_16_64 3
		.amdhsa_dx10_clamp 1
		.amdhsa_ieee_mode 1
		.amdhsa_fp16_overflow 0
		.amdhsa_exception_fp_ieee_invalid_op 0
		.amdhsa_exception_fp_denorm_src 0
		.amdhsa_exception_fp_ieee_div_zero 0
		.amdhsa_exception_fp_ieee_overflow 0
		.amdhsa_exception_fp_ieee_underflow 0
		.amdhsa_exception_fp_ieee_inexact 0
		.amdhsa_exception_int_div_zero 0
	.end_amdhsa_kernel
	.section	.text._ZN7rocprim17ROCPRIM_400000_NS6detail17trampoline_kernelINS0_13select_configILj256ELj13ELNS0_17block_load_methodE3ELS4_3ELS4_3ELNS0_20block_scan_algorithmE0ELj4294967295EEENS1_25partition_config_selectorILNS1_17partition_subalgoE4EjNS0_10empty_typeEbEEZZNS1_14partition_implILS8_4ELb0ES6_15HIP_vector_typeIjLj2EENS0_17counting_iteratorIjlEEPS9_SG_NS0_5tupleIJPjSI_NS0_16reverse_iteratorISI_EEEEENSH_IJSG_SG_SG_EEES9_SI_JZNS1_25segmented_radix_sort_implINS0_14default_configELb0EPKaPaPKlPlN2at6native12_GLOBAL__N_18offset_tEEE10hipError_tPvRmT1_PNSt15iterator_traitsIS12_E10value_typeET2_T3_PNS13_IS18_E10value_typeET4_jRbjT5_S1E_jjP12ihipStream_tbEUljE_ZNSN_ISO_Lb0ESQ_SR_ST_SU_SY_EESZ_S10_S11_S12_S16_S17_S18_S1B_S1C_jS1D_jS1E_S1E_jjS1G_bEUljE0_EEESZ_S10_S11_S18_S1C_S1E_T6_T7_T9_mT8_S1G_bDpT10_ENKUlT_T0_E_clISt17integral_constantIbLb1EES1T_IbLb0EEEEDaS1P_S1Q_EUlS1P_E_NS1_11comp_targetILNS1_3genE8ELNS1_11target_archE1030ELNS1_3gpuE2ELNS1_3repE0EEENS1_30default_config_static_selectorELNS0_4arch9wavefront6targetE1EEEvS12_,"axG",@progbits,_ZN7rocprim17ROCPRIM_400000_NS6detail17trampoline_kernelINS0_13select_configILj256ELj13ELNS0_17block_load_methodE3ELS4_3ELS4_3ELNS0_20block_scan_algorithmE0ELj4294967295EEENS1_25partition_config_selectorILNS1_17partition_subalgoE4EjNS0_10empty_typeEbEEZZNS1_14partition_implILS8_4ELb0ES6_15HIP_vector_typeIjLj2EENS0_17counting_iteratorIjlEEPS9_SG_NS0_5tupleIJPjSI_NS0_16reverse_iteratorISI_EEEEENSH_IJSG_SG_SG_EEES9_SI_JZNS1_25segmented_radix_sort_implINS0_14default_configELb0EPKaPaPKlPlN2at6native12_GLOBAL__N_18offset_tEEE10hipError_tPvRmT1_PNSt15iterator_traitsIS12_E10value_typeET2_T3_PNS13_IS18_E10value_typeET4_jRbjT5_S1E_jjP12ihipStream_tbEUljE_ZNSN_ISO_Lb0ESQ_SR_ST_SU_SY_EESZ_S10_S11_S12_S16_S17_S18_S1B_S1C_jS1D_jS1E_S1E_jjS1G_bEUljE0_EEESZ_S10_S11_S18_S1C_S1E_T6_T7_T9_mT8_S1G_bDpT10_ENKUlT_T0_E_clISt17integral_constantIbLb1EES1T_IbLb0EEEEDaS1P_S1Q_EUlS1P_E_NS1_11comp_targetILNS1_3genE8ELNS1_11target_archE1030ELNS1_3gpuE2ELNS1_3repE0EEENS1_30default_config_static_selectorELNS0_4arch9wavefront6targetE1EEEvS12_,comdat
.Lfunc_end352:
	.size	_ZN7rocprim17ROCPRIM_400000_NS6detail17trampoline_kernelINS0_13select_configILj256ELj13ELNS0_17block_load_methodE3ELS4_3ELS4_3ELNS0_20block_scan_algorithmE0ELj4294967295EEENS1_25partition_config_selectorILNS1_17partition_subalgoE4EjNS0_10empty_typeEbEEZZNS1_14partition_implILS8_4ELb0ES6_15HIP_vector_typeIjLj2EENS0_17counting_iteratorIjlEEPS9_SG_NS0_5tupleIJPjSI_NS0_16reverse_iteratorISI_EEEEENSH_IJSG_SG_SG_EEES9_SI_JZNS1_25segmented_radix_sort_implINS0_14default_configELb0EPKaPaPKlPlN2at6native12_GLOBAL__N_18offset_tEEE10hipError_tPvRmT1_PNSt15iterator_traitsIS12_E10value_typeET2_T3_PNS13_IS18_E10value_typeET4_jRbjT5_S1E_jjP12ihipStream_tbEUljE_ZNSN_ISO_Lb0ESQ_SR_ST_SU_SY_EESZ_S10_S11_S12_S16_S17_S18_S1B_S1C_jS1D_jS1E_S1E_jjS1G_bEUljE0_EEESZ_S10_S11_S18_S1C_S1E_T6_T7_T9_mT8_S1G_bDpT10_ENKUlT_T0_E_clISt17integral_constantIbLb1EES1T_IbLb0EEEEDaS1P_S1Q_EUlS1P_E_NS1_11comp_targetILNS1_3genE8ELNS1_11target_archE1030ELNS1_3gpuE2ELNS1_3repE0EEENS1_30default_config_static_selectorELNS0_4arch9wavefront6targetE1EEEvS12_, .Lfunc_end352-_ZN7rocprim17ROCPRIM_400000_NS6detail17trampoline_kernelINS0_13select_configILj256ELj13ELNS0_17block_load_methodE3ELS4_3ELS4_3ELNS0_20block_scan_algorithmE0ELj4294967295EEENS1_25partition_config_selectorILNS1_17partition_subalgoE4EjNS0_10empty_typeEbEEZZNS1_14partition_implILS8_4ELb0ES6_15HIP_vector_typeIjLj2EENS0_17counting_iteratorIjlEEPS9_SG_NS0_5tupleIJPjSI_NS0_16reverse_iteratorISI_EEEEENSH_IJSG_SG_SG_EEES9_SI_JZNS1_25segmented_radix_sort_implINS0_14default_configELb0EPKaPaPKlPlN2at6native12_GLOBAL__N_18offset_tEEE10hipError_tPvRmT1_PNSt15iterator_traitsIS12_E10value_typeET2_T3_PNS13_IS18_E10value_typeET4_jRbjT5_S1E_jjP12ihipStream_tbEUljE_ZNSN_ISO_Lb0ESQ_SR_ST_SU_SY_EESZ_S10_S11_S12_S16_S17_S18_S1B_S1C_jS1D_jS1E_S1E_jjS1G_bEUljE0_EEESZ_S10_S11_S18_S1C_S1E_T6_T7_T9_mT8_S1G_bDpT10_ENKUlT_T0_E_clISt17integral_constantIbLb1EES1T_IbLb0EEEEDaS1P_S1Q_EUlS1P_E_NS1_11comp_targetILNS1_3genE8ELNS1_11target_archE1030ELNS1_3gpuE2ELNS1_3repE0EEENS1_30default_config_static_selectorELNS0_4arch9wavefront6targetE1EEEvS12_
                                        ; -- End function
	.set _ZN7rocprim17ROCPRIM_400000_NS6detail17trampoline_kernelINS0_13select_configILj256ELj13ELNS0_17block_load_methodE3ELS4_3ELS4_3ELNS0_20block_scan_algorithmE0ELj4294967295EEENS1_25partition_config_selectorILNS1_17partition_subalgoE4EjNS0_10empty_typeEbEEZZNS1_14partition_implILS8_4ELb0ES6_15HIP_vector_typeIjLj2EENS0_17counting_iteratorIjlEEPS9_SG_NS0_5tupleIJPjSI_NS0_16reverse_iteratorISI_EEEEENSH_IJSG_SG_SG_EEES9_SI_JZNS1_25segmented_radix_sort_implINS0_14default_configELb0EPKaPaPKlPlN2at6native12_GLOBAL__N_18offset_tEEE10hipError_tPvRmT1_PNSt15iterator_traitsIS12_E10value_typeET2_T3_PNS13_IS18_E10value_typeET4_jRbjT5_S1E_jjP12ihipStream_tbEUljE_ZNSN_ISO_Lb0ESQ_SR_ST_SU_SY_EESZ_S10_S11_S12_S16_S17_S18_S1B_S1C_jS1D_jS1E_S1E_jjS1G_bEUljE0_EEESZ_S10_S11_S18_S1C_S1E_T6_T7_T9_mT8_S1G_bDpT10_ENKUlT_T0_E_clISt17integral_constantIbLb1EES1T_IbLb0EEEEDaS1P_S1Q_EUlS1P_E_NS1_11comp_targetILNS1_3genE8ELNS1_11target_archE1030ELNS1_3gpuE2ELNS1_3repE0EEENS1_30default_config_static_selectorELNS0_4arch9wavefront6targetE1EEEvS12_.num_vgpr, 0
	.set _ZN7rocprim17ROCPRIM_400000_NS6detail17trampoline_kernelINS0_13select_configILj256ELj13ELNS0_17block_load_methodE3ELS4_3ELS4_3ELNS0_20block_scan_algorithmE0ELj4294967295EEENS1_25partition_config_selectorILNS1_17partition_subalgoE4EjNS0_10empty_typeEbEEZZNS1_14partition_implILS8_4ELb0ES6_15HIP_vector_typeIjLj2EENS0_17counting_iteratorIjlEEPS9_SG_NS0_5tupleIJPjSI_NS0_16reverse_iteratorISI_EEEEENSH_IJSG_SG_SG_EEES9_SI_JZNS1_25segmented_radix_sort_implINS0_14default_configELb0EPKaPaPKlPlN2at6native12_GLOBAL__N_18offset_tEEE10hipError_tPvRmT1_PNSt15iterator_traitsIS12_E10value_typeET2_T3_PNS13_IS18_E10value_typeET4_jRbjT5_S1E_jjP12ihipStream_tbEUljE_ZNSN_ISO_Lb0ESQ_SR_ST_SU_SY_EESZ_S10_S11_S12_S16_S17_S18_S1B_S1C_jS1D_jS1E_S1E_jjS1G_bEUljE0_EEESZ_S10_S11_S18_S1C_S1E_T6_T7_T9_mT8_S1G_bDpT10_ENKUlT_T0_E_clISt17integral_constantIbLb1EES1T_IbLb0EEEEDaS1P_S1Q_EUlS1P_E_NS1_11comp_targetILNS1_3genE8ELNS1_11target_archE1030ELNS1_3gpuE2ELNS1_3repE0EEENS1_30default_config_static_selectorELNS0_4arch9wavefront6targetE1EEEvS12_.num_agpr, 0
	.set _ZN7rocprim17ROCPRIM_400000_NS6detail17trampoline_kernelINS0_13select_configILj256ELj13ELNS0_17block_load_methodE3ELS4_3ELS4_3ELNS0_20block_scan_algorithmE0ELj4294967295EEENS1_25partition_config_selectorILNS1_17partition_subalgoE4EjNS0_10empty_typeEbEEZZNS1_14partition_implILS8_4ELb0ES6_15HIP_vector_typeIjLj2EENS0_17counting_iteratorIjlEEPS9_SG_NS0_5tupleIJPjSI_NS0_16reverse_iteratorISI_EEEEENSH_IJSG_SG_SG_EEES9_SI_JZNS1_25segmented_radix_sort_implINS0_14default_configELb0EPKaPaPKlPlN2at6native12_GLOBAL__N_18offset_tEEE10hipError_tPvRmT1_PNSt15iterator_traitsIS12_E10value_typeET2_T3_PNS13_IS18_E10value_typeET4_jRbjT5_S1E_jjP12ihipStream_tbEUljE_ZNSN_ISO_Lb0ESQ_SR_ST_SU_SY_EESZ_S10_S11_S12_S16_S17_S18_S1B_S1C_jS1D_jS1E_S1E_jjS1G_bEUljE0_EEESZ_S10_S11_S18_S1C_S1E_T6_T7_T9_mT8_S1G_bDpT10_ENKUlT_T0_E_clISt17integral_constantIbLb1EES1T_IbLb0EEEEDaS1P_S1Q_EUlS1P_E_NS1_11comp_targetILNS1_3genE8ELNS1_11target_archE1030ELNS1_3gpuE2ELNS1_3repE0EEENS1_30default_config_static_selectorELNS0_4arch9wavefront6targetE1EEEvS12_.numbered_sgpr, 0
	.set _ZN7rocprim17ROCPRIM_400000_NS6detail17trampoline_kernelINS0_13select_configILj256ELj13ELNS0_17block_load_methodE3ELS4_3ELS4_3ELNS0_20block_scan_algorithmE0ELj4294967295EEENS1_25partition_config_selectorILNS1_17partition_subalgoE4EjNS0_10empty_typeEbEEZZNS1_14partition_implILS8_4ELb0ES6_15HIP_vector_typeIjLj2EENS0_17counting_iteratorIjlEEPS9_SG_NS0_5tupleIJPjSI_NS0_16reverse_iteratorISI_EEEEENSH_IJSG_SG_SG_EEES9_SI_JZNS1_25segmented_radix_sort_implINS0_14default_configELb0EPKaPaPKlPlN2at6native12_GLOBAL__N_18offset_tEEE10hipError_tPvRmT1_PNSt15iterator_traitsIS12_E10value_typeET2_T3_PNS13_IS18_E10value_typeET4_jRbjT5_S1E_jjP12ihipStream_tbEUljE_ZNSN_ISO_Lb0ESQ_SR_ST_SU_SY_EESZ_S10_S11_S12_S16_S17_S18_S1B_S1C_jS1D_jS1E_S1E_jjS1G_bEUljE0_EEESZ_S10_S11_S18_S1C_S1E_T6_T7_T9_mT8_S1G_bDpT10_ENKUlT_T0_E_clISt17integral_constantIbLb1EES1T_IbLb0EEEEDaS1P_S1Q_EUlS1P_E_NS1_11comp_targetILNS1_3genE8ELNS1_11target_archE1030ELNS1_3gpuE2ELNS1_3repE0EEENS1_30default_config_static_selectorELNS0_4arch9wavefront6targetE1EEEvS12_.num_named_barrier, 0
	.set _ZN7rocprim17ROCPRIM_400000_NS6detail17trampoline_kernelINS0_13select_configILj256ELj13ELNS0_17block_load_methodE3ELS4_3ELS4_3ELNS0_20block_scan_algorithmE0ELj4294967295EEENS1_25partition_config_selectorILNS1_17partition_subalgoE4EjNS0_10empty_typeEbEEZZNS1_14partition_implILS8_4ELb0ES6_15HIP_vector_typeIjLj2EENS0_17counting_iteratorIjlEEPS9_SG_NS0_5tupleIJPjSI_NS0_16reverse_iteratorISI_EEEEENSH_IJSG_SG_SG_EEES9_SI_JZNS1_25segmented_radix_sort_implINS0_14default_configELb0EPKaPaPKlPlN2at6native12_GLOBAL__N_18offset_tEEE10hipError_tPvRmT1_PNSt15iterator_traitsIS12_E10value_typeET2_T3_PNS13_IS18_E10value_typeET4_jRbjT5_S1E_jjP12ihipStream_tbEUljE_ZNSN_ISO_Lb0ESQ_SR_ST_SU_SY_EESZ_S10_S11_S12_S16_S17_S18_S1B_S1C_jS1D_jS1E_S1E_jjS1G_bEUljE0_EEESZ_S10_S11_S18_S1C_S1E_T6_T7_T9_mT8_S1G_bDpT10_ENKUlT_T0_E_clISt17integral_constantIbLb1EES1T_IbLb0EEEEDaS1P_S1Q_EUlS1P_E_NS1_11comp_targetILNS1_3genE8ELNS1_11target_archE1030ELNS1_3gpuE2ELNS1_3repE0EEENS1_30default_config_static_selectorELNS0_4arch9wavefront6targetE1EEEvS12_.private_seg_size, 0
	.set _ZN7rocprim17ROCPRIM_400000_NS6detail17trampoline_kernelINS0_13select_configILj256ELj13ELNS0_17block_load_methodE3ELS4_3ELS4_3ELNS0_20block_scan_algorithmE0ELj4294967295EEENS1_25partition_config_selectorILNS1_17partition_subalgoE4EjNS0_10empty_typeEbEEZZNS1_14partition_implILS8_4ELb0ES6_15HIP_vector_typeIjLj2EENS0_17counting_iteratorIjlEEPS9_SG_NS0_5tupleIJPjSI_NS0_16reverse_iteratorISI_EEEEENSH_IJSG_SG_SG_EEES9_SI_JZNS1_25segmented_radix_sort_implINS0_14default_configELb0EPKaPaPKlPlN2at6native12_GLOBAL__N_18offset_tEEE10hipError_tPvRmT1_PNSt15iterator_traitsIS12_E10value_typeET2_T3_PNS13_IS18_E10value_typeET4_jRbjT5_S1E_jjP12ihipStream_tbEUljE_ZNSN_ISO_Lb0ESQ_SR_ST_SU_SY_EESZ_S10_S11_S12_S16_S17_S18_S1B_S1C_jS1D_jS1E_S1E_jjS1G_bEUljE0_EEESZ_S10_S11_S18_S1C_S1E_T6_T7_T9_mT8_S1G_bDpT10_ENKUlT_T0_E_clISt17integral_constantIbLb1EES1T_IbLb0EEEEDaS1P_S1Q_EUlS1P_E_NS1_11comp_targetILNS1_3genE8ELNS1_11target_archE1030ELNS1_3gpuE2ELNS1_3repE0EEENS1_30default_config_static_selectorELNS0_4arch9wavefront6targetE1EEEvS12_.uses_vcc, 0
	.set _ZN7rocprim17ROCPRIM_400000_NS6detail17trampoline_kernelINS0_13select_configILj256ELj13ELNS0_17block_load_methodE3ELS4_3ELS4_3ELNS0_20block_scan_algorithmE0ELj4294967295EEENS1_25partition_config_selectorILNS1_17partition_subalgoE4EjNS0_10empty_typeEbEEZZNS1_14partition_implILS8_4ELb0ES6_15HIP_vector_typeIjLj2EENS0_17counting_iteratorIjlEEPS9_SG_NS0_5tupleIJPjSI_NS0_16reverse_iteratorISI_EEEEENSH_IJSG_SG_SG_EEES9_SI_JZNS1_25segmented_radix_sort_implINS0_14default_configELb0EPKaPaPKlPlN2at6native12_GLOBAL__N_18offset_tEEE10hipError_tPvRmT1_PNSt15iterator_traitsIS12_E10value_typeET2_T3_PNS13_IS18_E10value_typeET4_jRbjT5_S1E_jjP12ihipStream_tbEUljE_ZNSN_ISO_Lb0ESQ_SR_ST_SU_SY_EESZ_S10_S11_S12_S16_S17_S18_S1B_S1C_jS1D_jS1E_S1E_jjS1G_bEUljE0_EEESZ_S10_S11_S18_S1C_S1E_T6_T7_T9_mT8_S1G_bDpT10_ENKUlT_T0_E_clISt17integral_constantIbLb1EES1T_IbLb0EEEEDaS1P_S1Q_EUlS1P_E_NS1_11comp_targetILNS1_3genE8ELNS1_11target_archE1030ELNS1_3gpuE2ELNS1_3repE0EEENS1_30default_config_static_selectorELNS0_4arch9wavefront6targetE1EEEvS12_.uses_flat_scratch, 0
	.set _ZN7rocprim17ROCPRIM_400000_NS6detail17trampoline_kernelINS0_13select_configILj256ELj13ELNS0_17block_load_methodE3ELS4_3ELS4_3ELNS0_20block_scan_algorithmE0ELj4294967295EEENS1_25partition_config_selectorILNS1_17partition_subalgoE4EjNS0_10empty_typeEbEEZZNS1_14partition_implILS8_4ELb0ES6_15HIP_vector_typeIjLj2EENS0_17counting_iteratorIjlEEPS9_SG_NS0_5tupleIJPjSI_NS0_16reverse_iteratorISI_EEEEENSH_IJSG_SG_SG_EEES9_SI_JZNS1_25segmented_radix_sort_implINS0_14default_configELb0EPKaPaPKlPlN2at6native12_GLOBAL__N_18offset_tEEE10hipError_tPvRmT1_PNSt15iterator_traitsIS12_E10value_typeET2_T3_PNS13_IS18_E10value_typeET4_jRbjT5_S1E_jjP12ihipStream_tbEUljE_ZNSN_ISO_Lb0ESQ_SR_ST_SU_SY_EESZ_S10_S11_S12_S16_S17_S18_S1B_S1C_jS1D_jS1E_S1E_jjS1G_bEUljE0_EEESZ_S10_S11_S18_S1C_S1E_T6_T7_T9_mT8_S1G_bDpT10_ENKUlT_T0_E_clISt17integral_constantIbLb1EES1T_IbLb0EEEEDaS1P_S1Q_EUlS1P_E_NS1_11comp_targetILNS1_3genE8ELNS1_11target_archE1030ELNS1_3gpuE2ELNS1_3repE0EEENS1_30default_config_static_selectorELNS0_4arch9wavefront6targetE1EEEvS12_.has_dyn_sized_stack, 0
	.set _ZN7rocprim17ROCPRIM_400000_NS6detail17trampoline_kernelINS0_13select_configILj256ELj13ELNS0_17block_load_methodE3ELS4_3ELS4_3ELNS0_20block_scan_algorithmE0ELj4294967295EEENS1_25partition_config_selectorILNS1_17partition_subalgoE4EjNS0_10empty_typeEbEEZZNS1_14partition_implILS8_4ELb0ES6_15HIP_vector_typeIjLj2EENS0_17counting_iteratorIjlEEPS9_SG_NS0_5tupleIJPjSI_NS0_16reverse_iteratorISI_EEEEENSH_IJSG_SG_SG_EEES9_SI_JZNS1_25segmented_radix_sort_implINS0_14default_configELb0EPKaPaPKlPlN2at6native12_GLOBAL__N_18offset_tEEE10hipError_tPvRmT1_PNSt15iterator_traitsIS12_E10value_typeET2_T3_PNS13_IS18_E10value_typeET4_jRbjT5_S1E_jjP12ihipStream_tbEUljE_ZNSN_ISO_Lb0ESQ_SR_ST_SU_SY_EESZ_S10_S11_S12_S16_S17_S18_S1B_S1C_jS1D_jS1E_S1E_jjS1G_bEUljE0_EEESZ_S10_S11_S18_S1C_S1E_T6_T7_T9_mT8_S1G_bDpT10_ENKUlT_T0_E_clISt17integral_constantIbLb1EES1T_IbLb0EEEEDaS1P_S1Q_EUlS1P_E_NS1_11comp_targetILNS1_3genE8ELNS1_11target_archE1030ELNS1_3gpuE2ELNS1_3repE0EEENS1_30default_config_static_selectorELNS0_4arch9wavefront6targetE1EEEvS12_.has_recursion, 0
	.set _ZN7rocprim17ROCPRIM_400000_NS6detail17trampoline_kernelINS0_13select_configILj256ELj13ELNS0_17block_load_methodE3ELS4_3ELS4_3ELNS0_20block_scan_algorithmE0ELj4294967295EEENS1_25partition_config_selectorILNS1_17partition_subalgoE4EjNS0_10empty_typeEbEEZZNS1_14partition_implILS8_4ELb0ES6_15HIP_vector_typeIjLj2EENS0_17counting_iteratorIjlEEPS9_SG_NS0_5tupleIJPjSI_NS0_16reverse_iteratorISI_EEEEENSH_IJSG_SG_SG_EEES9_SI_JZNS1_25segmented_radix_sort_implINS0_14default_configELb0EPKaPaPKlPlN2at6native12_GLOBAL__N_18offset_tEEE10hipError_tPvRmT1_PNSt15iterator_traitsIS12_E10value_typeET2_T3_PNS13_IS18_E10value_typeET4_jRbjT5_S1E_jjP12ihipStream_tbEUljE_ZNSN_ISO_Lb0ESQ_SR_ST_SU_SY_EESZ_S10_S11_S12_S16_S17_S18_S1B_S1C_jS1D_jS1E_S1E_jjS1G_bEUljE0_EEESZ_S10_S11_S18_S1C_S1E_T6_T7_T9_mT8_S1G_bDpT10_ENKUlT_T0_E_clISt17integral_constantIbLb1EES1T_IbLb0EEEEDaS1P_S1Q_EUlS1P_E_NS1_11comp_targetILNS1_3genE8ELNS1_11target_archE1030ELNS1_3gpuE2ELNS1_3repE0EEENS1_30default_config_static_selectorELNS0_4arch9wavefront6targetE1EEEvS12_.has_indirect_call, 0
	.section	.AMDGPU.csdata,"",@progbits
; Kernel info:
; codeLenInByte = 0
; TotalNumSgprs: 4
; NumVgprs: 0
; ScratchSize: 0
; MemoryBound: 0
; FloatMode: 240
; IeeeMode: 1
; LDSByteSize: 0 bytes/workgroup (compile time only)
; SGPRBlocks: 0
; VGPRBlocks: 0
; NumSGPRsForWavesPerEU: 4
; NumVGPRsForWavesPerEU: 1
; Occupancy: 10
; WaveLimiterHint : 0
; COMPUTE_PGM_RSRC2:SCRATCH_EN: 0
; COMPUTE_PGM_RSRC2:USER_SGPR: 6
; COMPUTE_PGM_RSRC2:TRAP_HANDLER: 0
; COMPUTE_PGM_RSRC2:TGID_X_EN: 1
; COMPUTE_PGM_RSRC2:TGID_Y_EN: 0
; COMPUTE_PGM_RSRC2:TGID_Z_EN: 0
; COMPUTE_PGM_RSRC2:TIDIG_COMP_CNT: 0
	.section	.text._ZN7rocprim17ROCPRIM_400000_NS6detail17trampoline_kernelINS0_13select_configILj256ELj13ELNS0_17block_load_methodE3ELS4_3ELS4_3ELNS0_20block_scan_algorithmE0ELj4294967295EEENS1_25partition_config_selectorILNS1_17partition_subalgoE4EjNS0_10empty_typeEbEEZZNS1_14partition_implILS8_4ELb0ES6_15HIP_vector_typeIjLj2EENS0_17counting_iteratorIjlEEPS9_SG_NS0_5tupleIJPjSI_NS0_16reverse_iteratorISI_EEEEENSH_IJSG_SG_SG_EEES9_SI_JZNS1_25segmented_radix_sort_implINS0_14default_configELb0EPKaPaPKlPlN2at6native12_GLOBAL__N_18offset_tEEE10hipError_tPvRmT1_PNSt15iterator_traitsIS12_E10value_typeET2_T3_PNS13_IS18_E10value_typeET4_jRbjT5_S1E_jjP12ihipStream_tbEUljE_ZNSN_ISO_Lb0ESQ_SR_ST_SU_SY_EESZ_S10_S11_S12_S16_S17_S18_S1B_S1C_jS1D_jS1E_S1E_jjS1G_bEUljE0_EEESZ_S10_S11_S18_S1C_S1E_T6_T7_T9_mT8_S1G_bDpT10_ENKUlT_T0_E_clISt17integral_constantIbLb0EES1T_IbLb1EEEEDaS1P_S1Q_EUlS1P_E_NS1_11comp_targetILNS1_3genE0ELNS1_11target_archE4294967295ELNS1_3gpuE0ELNS1_3repE0EEENS1_30default_config_static_selectorELNS0_4arch9wavefront6targetE1EEEvS12_,"axG",@progbits,_ZN7rocprim17ROCPRIM_400000_NS6detail17trampoline_kernelINS0_13select_configILj256ELj13ELNS0_17block_load_methodE3ELS4_3ELS4_3ELNS0_20block_scan_algorithmE0ELj4294967295EEENS1_25partition_config_selectorILNS1_17partition_subalgoE4EjNS0_10empty_typeEbEEZZNS1_14partition_implILS8_4ELb0ES6_15HIP_vector_typeIjLj2EENS0_17counting_iteratorIjlEEPS9_SG_NS0_5tupleIJPjSI_NS0_16reverse_iteratorISI_EEEEENSH_IJSG_SG_SG_EEES9_SI_JZNS1_25segmented_radix_sort_implINS0_14default_configELb0EPKaPaPKlPlN2at6native12_GLOBAL__N_18offset_tEEE10hipError_tPvRmT1_PNSt15iterator_traitsIS12_E10value_typeET2_T3_PNS13_IS18_E10value_typeET4_jRbjT5_S1E_jjP12ihipStream_tbEUljE_ZNSN_ISO_Lb0ESQ_SR_ST_SU_SY_EESZ_S10_S11_S12_S16_S17_S18_S1B_S1C_jS1D_jS1E_S1E_jjS1G_bEUljE0_EEESZ_S10_S11_S18_S1C_S1E_T6_T7_T9_mT8_S1G_bDpT10_ENKUlT_T0_E_clISt17integral_constantIbLb0EES1T_IbLb1EEEEDaS1P_S1Q_EUlS1P_E_NS1_11comp_targetILNS1_3genE0ELNS1_11target_archE4294967295ELNS1_3gpuE0ELNS1_3repE0EEENS1_30default_config_static_selectorELNS0_4arch9wavefront6targetE1EEEvS12_,comdat
	.globl	_ZN7rocprim17ROCPRIM_400000_NS6detail17trampoline_kernelINS0_13select_configILj256ELj13ELNS0_17block_load_methodE3ELS4_3ELS4_3ELNS0_20block_scan_algorithmE0ELj4294967295EEENS1_25partition_config_selectorILNS1_17partition_subalgoE4EjNS0_10empty_typeEbEEZZNS1_14partition_implILS8_4ELb0ES6_15HIP_vector_typeIjLj2EENS0_17counting_iteratorIjlEEPS9_SG_NS0_5tupleIJPjSI_NS0_16reverse_iteratorISI_EEEEENSH_IJSG_SG_SG_EEES9_SI_JZNS1_25segmented_radix_sort_implINS0_14default_configELb0EPKaPaPKlPlN2at6native12_GLOBAL__N_18offset_tEEE10hipError_tPvRmT1_PNSt15iterator_traitsIS12_E10value_typeET2_T3_PNS13_IS18_E10value_typeET4_jRbjT5_S1E_jjP12ihipStream_tbEUljE_ZNSN_ISO_Lb0ESQ_SR_ST_SU_SY_EESZ_S10_S11_S12_S16_S17_S18_S1B_S1C_jS1D_jS1E_S1E_jjS1G_bEUljE0_EEESZ_S10_S11_S18_S1C_S1E_T6_T7_T9_mT8_S1G_bDpT10_ENKUlT_T0_E_clISt17integral_constantIbLb0EES1T_IbLb1EEEEDaS1P_S1Q_EUlS1P_E_NS1_11comp_targetILNS1_3genE0ELNS1_11target_archE4294967295ELNS1_3gpuE0ELNS1_3repE0EEENS1_30default_config_static_selectorELNS0_4arch9wavefront6targetE1EEEvS12_ ; -- Begin function _ZN7rocprim17ROCPRIM_400000_NS6detail17trampoline_kernelINS0_13select_configILj256ELj13ELNS0_17block_load_methodE3ELS4_3ELS4_3ELNS0_20block_scan_algorithmE0ELj4294967295EEENS1_25partition_config_selectorILNS1_17partition_subalgoE4EjNS0_10empty_typeEbEEZZNS1_14partition_implILS8_4ELb0ES6_15HIP_vector_typeIjLj2EENS0_17counting_iteratorIjlEEPS9_SG_NS0_5tupleIJPjSI_NS0_16reverse_iteratorISI_EEEEENSH_IJSG_SG_SG_EEES9_SI_JZNS1_25segmented_radix_sort_implINS0_14default_configELb0EPKaPaPKlPlN2at6native12_GLOBAL__N_18offset_tEEE10hipError_tPvRmT1_PNSt15iterator_traitsIS12_E10value_typeET2_T3_PNS13_IS18_E10value_typeET4_jRbjT5_S1E_jjP12ihipStream_tbEUljE_ZNSN_ISO_Lb0ESQ_SR_ST_SU_SY_EESZ_S10_S11_S12_S16_S17_S18_S1B_S1C_jS1D_jS1E_S1E_jjS1G_bEUljE0_EEESZ_S10_S11_S18_S1C_S1E_T6_T7_T9_mT8_S1G_bDpT10_ENKUlT_T0_E_clISt17integral_constantIbLb0EES1T_IbLb1EEEEDaS1P_S1Q_EUlS1P_E_NS1_11comp_targetILNS1_3genE0ELNS1_11target_archE4294967295ELNS1_3gpuE0ELNS1_3repE0EEENS1_30default_config_static_selectorELNS0_4arch9wavefront6targetE1EEEvS12_
	.p2align	8
	.type	_ZN7rocprim17ROCPRIM_400000_NS6detail17trampoline_kernelINS0_13select_configILj256ELj13ELNS0_17block_load_methodE3ELS4_3ELS4_3ELNS0_20block_scan_algorithmE0ELj4294967295EEENS1_25partition_config_selectorILNS1_17partition_subalgoE4EjNS0_10empty_typeEbEEZZNS1_14partition_implILS8_4ELb0ES6_15HIP_vector_typeIjLj2EENS0_17counting_iteratorIjlEEPS9_SG_NS0_5tupleIJPjSI_NS0_16reverse_iteratorISI_EEEEENSH_IJSG_SG_SG_EEES9_SI_JZNS1_25segmented_radix_sort_implINS0_14default_configELb0EPKaPaPKlPlN2at6native12_GLOBAL__N_18offset_tEEE10hipError_tPvRmT1_PNSt15iterator_traitsIS12_E10value_typeET2_T3_PNS13_IS18_E10value_typeET4_jRbjT5_S1E_jjP12ihipStream_tbEUljE_ZNSN_ISO_Lb0ESQ_SR_ST_SU_SY_EESZ_S10_S11_S12_S16_S17_S18_S1B_S1C_jS1D_jS1E_S1E_jjS1G_bEUljE0_EEESZ_S10_S11_S18_S1C_S1E_T6_T7_T9_mT8_S1G_bDpT10_ENKUlT_T0_E_clISt17integral_constantIbLb0EES1T_IbLb1EEEEDaS1P_S1Q_EUlS1P_E_NS1_11comp_targetILNS1_3genE0ELNS1_11target_archE4294967295ELNS1_3gpuE0ELNS1_3repE0EEENS1_30default_config_static_selectorELNS0_4arch9wavefront6targetE1EEEvS12_,@function
_ZN7rocprim17ROCPRIM_400000_NS6detail17trampoline_kernelINS0_13select_configILj256ELj13ELNS0_17block_load_methodE3ELS4_3ELS4_3ELNS0_20block_scan_algorithmE0ELj4294967295EEENS1_25partition_config_selectorILNS1_17partition_subalgoE4EjNS0_10empty_typeEbEEZZNS1_14partition_implILS8_4ELb0ES6_15HIP_vector_typeIjLj2EENS0_17counting_iteratorIjlEEPS9_SG_NS0_5tupleIJPjSI_NS0_16reverse_iteratorISI_EEEEENSH_IJSG_SG_SG_EEES9_SI_JZNS1_25segmented_radix_sort_implINS0_14default_configELb0EPKaPaPKlPlN2at6native12_GLOBAL__N_18offset_tEEE10hipError_tPvRmT1_PNSt15iterator_traitsIS12_E10value_typeET2_T3_PNS13_IS18_E10value_typeET4_jRbjT5_S1E_jjP12ihipStream_tbEUljE_ZNSN_ISO_Lb0ESQ_SR_ST_SU_SY_EESZ_S10_S11_S12_S16_S17_S18_S1B_S1C_jS1D_jS1E_S1E_jjS1G_bEUljE0_EEESZ_S10_S11_S18_S1C_S1E_T6_T7_T9_mT8_S1G_bDpT10_ENKUlT_T0_E_clISt17integral_constantIbLb0EES1T_IbLb1EEEEDaS1P_S1Q_EUlS1P_E_NS1_11comp_targetILNS1_3genE0ELNS1_11target_archE4294967295ELNS1_3gpuE0ELNS1_3repE0EEENS1_30default_config_static_selectorELNS0_4arch9wavefront6targetE1EEEvS12_: ; @_ZN7rocprim17ROCPRIM_400000_NS6detail17trampoline_kernelINS0_13select_configILj256ELj13ELNS0_17block_load_methodE3ELS4_3ELS4_3ELNS0_20block_scan_algorithmE0ELj4294967295EEENS1_25partition_config_selectorILNS1_17partition_subalgoE4EjNS0_10empty_typeEbEEZZNS1_14partition_implILS8_4ELb0ES6_15HIP_vector_typeIjLj2EENS0_17counting_iteratorIjlEEPS9_SG_NS0_5tupleIJPjSI_NS0_16reverse_iteratorISI_EEEEENSH_IJSG_SG_SG_EEES9_SI_JZNS1_25segmented_radix_sort_implINS0_14default_configELb0EPKaPaPKlPlN2at6native12_GLOBAL__N_18offset_tEEE10hipError_tPvRmT1_PNSt15iterator_traitsIS12_E10value_typeET2_T3_PNS13_IS18_E10value_typeET4_jRbjT5_S1E_jjP12ihipStream_tbEUljE_ZNSN_ISO_Lb0ESQ_SR_ST_SU_SY_EESZ_S10_S11_S12_S16_S17_S18_S1B_S1C_jS1D_jS1E_S1E_jjS1G_bEUljE0_EEESZ_S10_S11_S18_S1C_S1E_T6_T7_T9_mT8_S1G_bDpT10_ENKUlT_T0_E_clISt17integral_constantIbLb0EES1T_IbLb1EEEEDaS1P_S1Q_EUlS1P_E_NS1_11comp_targetILNS1_3genE0ELNS1_11target_archE4294967295ELNS1_3gpuE0ELNS1_3repE0EEENS1_30default_config_static_selectorELNS0_4arch9wavefront6targetE1EEEvS12_
; %bb.0:
	.section	.rodata,"a",@progbits
	.p2align	6, 0x0
	.amdhsa_kernel _ZN7rocprim17ROCPRIM_400000_NS6detail17trampoline_kernelINS0_13select_configILj256ELj13ELNS0_17block_load_methodE3ELS4_3ELS4_3ELNS0_20block_scan_algorithmE0ELj4294967295EEENS1_25partition_config_selectorILNS1_17partition_subalgoE4EjNS0_10empty_typeEbEEZZNS1_14partition_implILS8_4ELb0ES6_15HIP_vector_typeIjLj2EENS0_17counting_iteratorIjlEEPS9_SG_NS0_5tupleIJPjSI_NS0_16reverse_iteratorISI_EEEEENSH_IJSG_SG_SG_EEES9_SI_JZNS1_25segmented_radix_sort_implINS0_14default_configELb0EPKaPaPKlPlN2at6native12_GLOBAL__N_18offset_tEEE10hipError_tPvRmT1_PNSt15iterator_traitsIS12_E10value_typeET2_T3_PNS13_IS18_E10value_typeET4_jRbjT5_S1E_jjP12ihipStream_tbEUljE_ZNSN_ISO_Lb0ESQ_SR_ST_SU_SY_EESZ_S10_S11_S12_S16_S17_S18_S1B_S1C_jS1D_jS1E_S1E_jjS1G_bEUljE0_EEESZ_S10_S11_S18_S1C_S1E_T6_T7_T9_mT8_S1G_bDpT10_ENKUlT_T0_E_clISt17integral_constantIbLb0EES1T_IbLb1EEEEDaS1P_S1Q_EUlS1P_E_NS1_11comp_targetILNS1_3genE0ELNS1_11target_archE4294967295ELNS1_3gpuE0ELNS1_3repE0EEENS1_30default_config_static_selectorELNS0_4arch9wavefront6targetE1EEEvS12_
		.amdhsa_group_segment_fixed_size 0
		.amdhsa_private_segment_fixed_size 0
		.amdhsa_kernarg_size 184
		.amdhsa_user_sgpr_count 6
		.amdhsa_user_sgpr_private_segment_buffer 1
		.amdhsa_user_sgpr_dispatch_ptr 0
		.amdhsa_user_sgpr_queue_ptr 0
		.amdhsa_user_sgpr_kernarg_segment_ptr 1
		.amdhsa_user_sgpr_dispatch_id 0
		.amdhsa_user_sgpr_flat_scratch_init 0
		.amdhsa_user_sgpr_private_segment_size 0
		.amdhsa_uses_dynamic_stack 0
		.amdhsa_system_sgpr_private_segment_wavefront_offset 0
		.amdhsa_system_sgpr_workgroup_id_x 1
		.amdhsa_system_sgpr_workgroup_id_y 0
		.amdhsa_system_sgpr_workgroup_id_z 0
		.amdhsa_system_sgpr_workgroup_info 0
		.amdhsa_system_vgpr_workitem_id 0
		.amdhsa_next_free_vgpr 1
		.amdhsa_next_free_sgpr 0
		.amdhsa_reserve_vcc 0
		.amdhsa_reserve_flat_scratch 0
		.amdhsa_float_round_mode_32 0
		.amdhsa_float_round_mode_16_64 0
		.amdhsa_float_denorm_mode_32 3
		.amdhsa_float_denorm_mode_16_64 3
		.amdhsa_dx10_clamp 1
		.amdhsa_ieee_mode 1
		.amdhsa_fp16_overflow 0
		.amdhsa_exception_fp_ieee_invalid_op 0
		.amdhsa_exception_fp_denorm_src 0
		.amdhsa_exception_fp_ieee_div_zero 0
		.amdhsa_exception_fp_ieee_overflow 0
		.amdhsa_exception_fp_ieee_underflow 0
		.amdhsa_exception_fp_ieee_inexact 0
		.amdhsa_exception_int_div_zero 0
	.end_amdhsa_kernel
	.section	.text._ZN7rocprim17ROCPRIM_400000_NS6detail17trampoline_kernelINS0_13select_configILj256ELj13ELNS0_17block_load_methodE3ELS4_3ELS4_3ELNS0_20block_scan_algorithmE0ELj4294967295EEENS1_25partition_config_selectorILNS1_17partition_subalgoE4EjNS0_10empty_typeEbEEZZNS1_14partition_implILS8_4ELb0ES6_15HIP_vector_typeIjLj2EENS0_17counting_iteratorIjlEEPS9_SG_NS0_5tupleIJPjSI_NS0_16reverse_iteratorISI_EEEEENSH_IJSG_SG_SG_EEES9_SI_JZNS1_25segmented_radix_sort_implINS0_14default_configELb0EPKaPaPKlPlN2at6native12_GLOBAL__N_18offset_tEEE10hipError_tPvRmT1_PNSt15iterator_traitsIS12_E10value_typeET2_T3_PNS13_IS18_E10value_typeET4_jRbjT5_S1E_jjP12ihipStream_tbEUljE_ZNSN_ISO_Lb0ESQ_SR_ST_SU_SY_EESZ_S10_S11_S12_S16_S17_S18_S1B_S1C_jS1D_jS1E_S1E_jjS1G_bEUljE0_EEESZ_S10_S11_S18_S1C_S1E_T6_T7_T9_mT8_S1G_bDpT10_ENKUlT_T0_E_clISt17integral_constantIbLb0EES1T_IbLb1EEEEDaS1P_S1Q_EUlS1P_E_NS1_11comp_targetILNS1_3genE0ELNS1_11target_archE4294967295ELNS1_3gpuE0ELNS1_3repE0EEENS1_30default_config_static_selectorELNS0_4arch9wavefront6targetE1EEEvS12_,"axG",@progbits,_ZN7rocprim17ROCPRIM_400000_NS6detail17trampoline_kernelINS0_13select_configILj256ELj13ELNS0_17block_load_methodE3ELS4_3ELS4_3ELNS0_20block_scan_algorithmE0ELj4294967295EEENS1_25partition_config_selectorILNS1_17partition_subalgoE4EjNS0_10empty_typeEbEEZZNS1_14partition_implILS8_4ELb0ES6_15HIP_vector_typeIjLj2EENS0_17counting_iteratorIjlEEPS9_SG_NS0_5tupleIJPjSI_NS0_16reverse_iteratorISI_EEEEENSH_IJSG_SG_SG_EEES9_SI_JZNS1_25segmented_radix_sort_implINS0_14default_configELb0EPKaPaPKlPlN2at6native12_GLOBAL__N_18offset_tEEE10hipError_tPvRmT1_PNSt15iterator_traitsIS12_E10value_typeET2_T3_PNS13_IS18_E10value_typeET4_jRbjT5_S1E_jjP12ihipStream_tbEUljE_ZNSN_ISO_Lb0ESQ_SR_ST_SU_SY_EESZ_S10_S11_S12_S16_S17_S18_S1B_S1C_jS1D_jS1E_S1E_jjS1G_bEUljE0_EEESZ_S10_S11_S18_S1C_S1E_T6_T7_T9_mT8_S1G_bDpT10_ENKUlT_T0_E_clISt17integral_constantIbLb0EES1T_IbLb1EEEEDaS1P_S1Q_EUlS1P_E_NS1_11comp_targetILNS1_3genE0ELNS1_11target_archE4294967295ELNS1_3gpuE0ELNS1_3repE0EEENS1_30default_config_static_selectorELNS0_4arch9wavefront6targetE1EEEvS12_,comdat
.Lfunc_end353:
	.size	_ZN7rocprim17ROCPRIM_400000_NS6detail17trampoline_kernelINS0_13select_configILj256ELj13ELNS0_17block_load_methodE3ELS4_3ELS4_3ELNS0_20block_scan_algorithmE0ELj4294967295EEENS1_25partition_config_selectorILNS1_17partition_subalgoE4EjNS0_10empty_typeEbEEZZNS1_14partition_implILS8_4ELb0ES6_15HIP_vector_typeIjLj2EENS0_17counting_iteratorIjlEEPS9_SG_NS0_5tupleIJPjSI_NS0_16reverse_iteratorISI_EEEEENSH_IJSG_SG_SG_EEES9_SI_JZNS1_25segmented_radix_sort_implINS0_14default_configELb0EPKaPaPKlPlN2at6native12_GLOBAL__N_18offset_tEEE10hipError_tPvRmT1_PNSt15iterator_traitsIS12_E10value_typeET2_T3_PNS13_IS18_E10value_typeET4_jRbjT5_S1E_jjP12ihipStream_tbEUljE_ZNSN_ISO_Lb0ESQ_SR_ST_SU_SY_EESZ_S10_S11_S12_S16_S17_S18_S1B_S1C_jS1D_jS1E_S1E_jjS1G_bEUljE0_EEESZ_S10_S11_S18_S1C_S1E_T6_T7_T9_mT8_S1G_bDpT10_ENKUlT_T0_E_clISt17integral_constantIbLb0EES1T_IbLb1EEEEDaS1P_S1Q_EUlS1P_E_NS1_11comp_targetILNS1_3genE0ELNS1_11target_archE4294967295ELNS1_3gpuE0ELNS1_3repE0EEENS1_30default_config_static_selectorELNS0_4arch9wavefront6targetE1EEEvS12_, .Lfunc_end353-_ZN7rocprim17ROCPRIM_400000_NS6detail17trampoline_kernelINS0_13select_configILj256ELj13ELNS0_17block_load_methodE3ELS4_3ELS4_3ELNS0_20block_scan_algorithmE0ELj4294967295EEENS1_25partition_config_selectorILNS1_17partition_subalgoE4EjNS0_10empty_typeEbEEZZNS1_14partition_implILS8_4ELb0ES6_15HIP_vector_typeIjLj2EENS0_17counting_iteratorIjlEEPS9_SG_NS0_5tupleIJPjSI_NS0_16reverse_iteratorISI_EEEEENSH_IJSG_SG_SG_EEES9_SI_JZNS1_25segmented_radix_sort_implINS0_14default_configELb0EPKaPaPKlPlN2at6native12_GLOBAL__N_18offset_tEEE10hipError_tPvRmT1_PNSt15iterator_traitsIS12_E10value_typeET2_T3_PNS13_IS18_E10value_typeET4_jRbjT5_S1E_jjP12ihipStream_tbEUljE_ZNSN_ISO_Lb0ESQ_SR_ST_SU_SY_EESZ_S10_S11_S12_S16_S17_S18_S1B_S1C_jS1D_jS1E_S1E_jjS1G_bEUljE0_EEESZ_S10_S11_S18_S1C_S1E_T6_T7_T9_mT8_S1G_bDpT10_ENKUlT_T0_E_clISt17integral_constantIbLb0EES1T_IbLb1EEEEDaS1P_S1Q_EUlS1P_E_NS1_11comp_targetILNS1_3genE0ELNS1_11target_archE4294967295ELNS1_3gpuE0ELNS1_3repE0EEENS1_30default_config_static_selectorELNS0_4arch9wavefront6targetE1EEEvS12_
                                        ; -- End function
	.set _ZN7rocprim17ROCPRIM_400000_NS6detail17trampoline_kernelINS0_13select_configILj256ELj13ELNS0_17block_load_methodE3ELS4_3ELS4_3ELNS0_20block_scan_algorithmE0ELj4294967295EEENS1_25partition_config_selectorILNS1_17partition_subalgoE4EjNS0_10empty_typeEbEEZZNS1_14partition_implILS8_4ELb0ES6_15HIP_vector_typeIjLj2EENS0_17counting_iteratorIjlEEPS9_SG_NS0_5tupleIJPjSI_NS0_16reverse_iteratorISI_EEEEENSH_IJSG_SG_SG_EEES9_SI_JZNS1_25segmented_radix_sort_implINS0_14default_configELb0EPKaPaPKlPlN2at6native12_GLOBAL__N_18offset_tEEE10hipError_tPvRmT1_PNSt15iterator_traitsIS12_E10value_typeET2_T3_PNS13_IS18_E10value_typeET4_jRbjT5_S1E_jjP12ihipStream_tbEUljE_ZNSN_ISO_Lb0ESQ_SR_ST_SU_SY_EESZ_S10_S11_S12_S16_S17_S18_S1B_S1C_jS1D_jS1E_S1E_jjS1G_bEUljE0_EEESZ_S10_S11_S18_S1C_S1E_T6_T7_T9_mT8_S1G_bDpT10_ENKUlT_T0_E_clISt17integral_constantIbLb0EES1T_IbLb1EEEEDaS1P_S1Q_EUlS1P_E_NS1_11comp_targetILNS1_3genE0ELNS1_11target_archE4294967295ELNS1_3gpuE0ELNS1_3repE0EEENS1_30default_config_static_selectorELNS0_4arch9wavefront6targetE1EEEvS12_.num_vgpr, 0
	.set _ZN7rocprim17ROCPRIM_400000_NS6detail17trampoline_kernelINS0_13select_configILj256ELj13ELNS0_17block_load_methodE3ELS4_3ELS4_3ELNS0_20block_scan_algorithmE0ELj4294967295EEENS1_25partition_config_selectorILNS1_17partition_subalgoE4EjNS0_10empty_typeEbEEZZNS1_14partition_implILS8_4ELb0ES6_15HIP_vector_typeIjLj2EENS0_17counting_iteratorIjlEEPS9_SG_NS0_5tupleIJPjSI_NS0_16reverse_iteratorISI_EEEEENSH_IJSG_SG_SG_EEES9_SI_JZNS1_25segmented_radix_sort_implINS0_14default_configELb0EPKaPaPKlPlN2at6native12_GLOBAL__N_18offset_tEEE10hipError_tPvRmT1_PNSt15iterator_traitsIS12_E10value_typeET2_T3_PNS13_IS18_E10value_typeET4_jRbjT5_S1E_jjP12ihipStream_tbEUljE_ZNSN_ISO_Lb0ESQ_SR_ST_SU_SY_EESZ_S10_S11_S12_S16_S17_S18_S1B_S1C_jS1D_jS1E_S1E_jjS1G_bEUljE0_EEESZ_S10_S11_S18_S1C_S1E_T6_T7_T9_mT8_S1G_bDpT10_ENKUlT_T0_E_clISt17integral_constantIbLb0EES1T_IbLb1EEEEDaS1P_S1Q_EUlS1P_E_NS1_11comp_targetILNS1_3genE0ELNS1_11target_archE4294967295ELNS1_3gpuE0ELNS1_3repE0EEENS1_30default_config_static_selectorELNS0_4arch9wavefront6targetE1EEEvS12_.num_agpr, 0
	.set _ZN7rocprim17ROCPRIM_400000_NS6detail17trampoline_kernelINS0_13select_configILj256ELj13ELNS0_17block_load_methodE3ELS4_3ELS4_3ELNS0_20block_scan_algorithmE0ELj4294967295EEENS1_25partition_config_selectorILNS1_17partition_subalgoE4EjNS0_10empty_typeEbEEZZNS1_14partition_implILS8_4ELb0ES6_15HIP_vector_typeIjLj2EENS0_17counting_iteratorIjlEEPS9_SG_NS0_5tupleIJPjSI_NS0_16reverse_iteratorISI_EEEEENSH_IJSG_SG_SG_EEES9_SI_JZNS1_25segmented_radix_sort_implINS0_14default_configELb0EPKaPaPKlPlN2at6native12_GLOBAL__N_18offset_tEEE10hipError_tPvRmT1_PNSt15iterator_traitsIS12_E10value_typeET2_T3_PNS13_IS18_E10value_typeET4_jRbjT5_S1E_jjP12ihipStream_tbEUljE_ZNSN_ISO_Lb0ESQ_SR_ST_SU_SY_EESZ_S10_S11_S12_S16_S17_S18_S1B_S1C_jS1D_jS1E_S1E_jjS1G_bEUljE0_EEESZ_S10_S11_S18_S1C_S1E_T6_T7_T9_mT8_S1G_bDpT10_ENKUlT_T0_E_clISt17integral_constantIbLb0EES1T_IbLb1EEEEDaS1P_S1Q_EUlS1P_E_NS1_11comp_targetILNS1_3genE0ELNS1_11target_archE4294967295ELNS1_3gpuE0ELNS1_3repE0EEENS1_30default_config_static_selectorELNS0_4arch9wavefront6targetE1EEEvS12_.numbered_sgpr, 0
	.set _ZN7rocprim17ROCPRIM_400000_NS6detail17trampoline_kernelINS0_13select_configILj256ELj13ELNS0_17block_load_methodE3ELS4_3ELS4_3ELNS0_20block_scan_algorithmE0ELj4294967295EEENS1_25partition_config_selectorILNS1_17partition_subalgoE4EjNS0_10empty_typeEbEEZZNS1_14partition_implILS8_4ELb0ES6_15HIP_vector_typeIjLj2EENS0_17counting_iteratorIjlEEPS9_SG_NS0_5tupleIJPjSI_NS0_16reverse_iteratorISI_EEEEENSH_IJSG_SG_SG_EEES9_SI_JZNS1_25segmented_radix_sort_implINS0_14default_configELb0EPKaPaPKlPlN2at6native12_GLOBAL__N_18offset_tEEE10hipError_tPvRmT1_PNSt15iterator_traitsIS12_E10value_typeET2_T3_PNS13_IS18_E10value_typeET4_jRbjT5_S1E_jjP12ihipStream_tbEUljE_ZNSN_ISO_Lb0ESQ_SR_ST_SU_SY_EESZ_S10_S11_S12_S16_S17_S18_S1B_S1C_jS1D_jS1E_S1E_jjS1G_bEUljE0_EEESZ_S10_S11_S18_S1C_S1E_T6_T7_T9_mT8_S1G_bDpT10_ENKUlT_T0_E_clISt17integral_constantIbLb0EES1T_IbLb1EEEEDaS1P_S1Q_EUlS1P_E_NS1_11comp_targetILNS1_3genE0ELNS1_11target_archE4294967295ELNS1_3gpuE0ELNS1_3repE0EEENS1_30default_config_static_selectorELNS0_4arch9wavefront6targetE1EEEvS12_.num_named_barrier, 0
	.set _ZN7rocprim17ROCPRIM_400000_NS6detail17trampoline_kernelINS0_13select_configILj256ELj13ELNS0_17block_load_methodE3ELS4_3ELS4_3ELNS0_20block_scan_algorithmE0ELj4294967295EEENS1_25partition_config_selectorILNS1_17partition_subalgoE4EjNS0_10empty_typeEbEEZZNS1_14partition_implILS8_4ELb0ES6_15HIP_vector_typeIjLj2EENS0_17counting_iteratorIjlEEPS9_SG_NS0_5tupleIJPjSI_NS0_16reverse_iteratorISI_EEEEENSH_IJSG_SG_SG_EEES9_SI_JZNS1_25segmented_radix_sort_implINS0_14default_configELb0EPKaPaPKlPlN2at6native12_GLOBAL__N_18offset_tEEE10hipError_tPvRmT1_PNSt15iterator_traitsIS12_E10value_typeET2_T3_PNS13_IS18_E10value_typeET4_jRbjT5_S1E_jjP12ihipStream_tbEUljE_ZNSN_ISO_Lb0ESQ_SR_ST_SU_SY_EESZ_S10_S11_S12_S16_S17_S18_S1B_S1C_jS1D_jS1E_S1E_jjS1G_bEUljE0_EEESZ_S10_S11_S18_S1C_S1E_T6_T7_T9_mT8_S1G_bDpT10_ENKUlT_T0_E_clISt17integral_constantIbLb0EES1T_IbLb1EEEEDaS1P_S1Q_EUlS1P_E_NS1_11comp_targetILNS1_3genE0ELNS1_11target_archE4294967295ELNS1_3gpuE0ELNS1_3repE0EEENS1_30default_config_static_selectorELNS0_4arch9wavefront6targetE1EEEvS12_.private_seg_size, 0
	.set _ZN7rocprim17ROCPRIM_400000_NS6detail17trampoline_kernelINS0_13select_configILj256ELj13ELNS0_17block_load_methodE3ELS4_3ELS4_3ELNS0_20block_scan_algorithmE0ELj4294967295EEENS1_25partition_config_selectorILNS1_17partition_subalgoE4EjNS0_10empty_typeEbEEZZNS1_14partition_implILS8_4ELb0ES6_15HIP_vector_typeIjLj2EENS0_17counting_iteratorIjlEEPS9_SG_NS0_5tupleIJPjSI_NS0_16reverse_iteratorISI_EEEEENSH_IJSG_SG_SG_EEES9_SI_JZNS1_25segmented_radix_sort_implINS0_14default_configELb0EPKaPaPKlPlN2at6native12_GLOBAL__N_18offset_tEEE10hipError_tPvRmT1_PNSt15iterator_traitsIS12_E10value_typeET2_T3_PNS13_IS18_E10value_typeET4_jRbjT5_S1E_jjP12ihipStream_tbEUljE_ZNSN_ISO_Lb0ESQ_SR_ST_SU_SY_EESZ_S10_S11_S12_S16_S17_S18_S1B_S1C_jS1D_jS1E_S1E_jjS1G_bEUljE0_EEESZ_S10_S11_S18_S1C_S1E_T6_T7_T9_mT8_S1G_bDpT10_ENKUlT_T0_E_clISt17integral_constantIbLb0EES1T_IbLb1EEEEDaS1P_S1Q_EUlS1P_E_NS1_11comp_targetILNS1_3genE0ELNS1_11target_archE4294967295ELNS1_3gpuE0ELNS1_3repE0EEENS1_30default_config_static_selectorELNS0_4arch9wavefront6targetE1EEEvS12_.uses_vcc, 0
	.set _ZN7rocprim17ROCPRIM_400000_NS6detail17trampoline_kernelINS0_13select_configILj256ELj13ELNS0_17block_load_methodE3ELS4_3ELS4_3ELNS0_20block_scan_algorithmE0ELj4294967295EEENS1_25partition_config_selectorILNS1_17partition_subalgoE4EjNS0_10empty_typeEbEEZZNS1_14partition_implILS8_4ELb0ES6_15HIP_vector_typeIjLj2EENS0_17counting_iteratorIjlEEPS9_SG_NS0_5tupleIJPjSI_NS0_16reverse_iteratorISI_EEEEENSH_IJSG_SG_SG_EEES9_SI_JZNS1_25segmented_radix_sort_implINS0_14default_configELb0EPKaPaPKlPlN2at6native12_GLOBAL__N_18offset_tEEE10hipError_tPvRmT1_PNSt15iterator_traitsIS12_E10value_typeET2_T3_PNS13_IS18_E10value_typeET4_jRbjT5_S1E_jjP12ihipStream_tbEUljE_ZNSN_ISO_Lb0ESQ_SR_ST_SU_SY_EESZ_S10_S11_S12_S16_S17_S18_S1B_S1C_jS1D_jS1E_S1E_jjS1G_bEUljE0_EEESZ_S10_S11_S18_S1C_S1E_T6_T7_T9_mT8_S1G_bDpT10_ENKUlT_T0_E_clISt17integral_constantIbLb0EES1T_IbLb1EEEEDaS1P_S1Q_EUlS1P_E_NS1_11comp_targetILNS1_3genE0ELNS1_11target_archE4294967295ELNS1_3gpuE0ELNS1_3repE0EEENS1_30default_config_static_selectorELNS0_4arch9wavefront6targetE1EEEvS12_.uses_flat_scratch, 0
	.set _ZN7rocprim17ROCPRIM_400000_NS6detail17trampoline_kernelINS0_13select_configILj256ELj13ELNS0_17block_load_methodE3ELS4_3ELS4_3ELNS0_20block_scan_algorithmE0ELj4294967295EEENS1_25partition_config_selectorILNS1_17partition_subalgoE4EjNS0_10empty_typeEbEEZZNS1_14partition_implILS8_4ELb0ES6_15HIP_vector_typeIjLj2EENS0_17counting_iteratorIjlEEPS9_SG_NS0_5tupleIJPjSI_NS0_16reverse_iteratorISI_EEEEENSH_IJSG_SG_SG_EEES9_SI_JZNS1_25segmented_radix_sort_implINS0_14default_configELb0EPKaPaPKlPlN2at6native12_GLOBAL__N_18offset_tEEE10hipError_tPvRmT1_PNSt15iterator_traitsIS12_E10value_typeET2_T3_PNS13_IS18_E10value_typeET4_jRbjT5_S1E_jjP12ihipStream_tbEUljE_ZNSN_ISO_Lb0ESQ_SR_ST_SU_SY_EESZ_S10_S11_S12_S16_S17_S18_S1B_S1C_jS1D_jS1E_S1E_jjS1G_bEUljE0_EEESZ_S10_S11_S18_S1C_S1E_T6_T7_T9_mT8_S1G_bDpT10_ENKUlT_T0_E_clISt17integral_constantIbLb0EES1T_IbLb1EEEEDaS1P_S1Q_EUlS1P_E_NS1_11comp_targetILNS1_3genE0ELNS1_11target_archE4294967295ELNS1_3gpuE0ELNS1_3repE0EEENS1_30default_config_static_selectorELNS0_4arch9wavefront6targetE1EEEvS12_.has_dyn_sized_stack, 0
	.set _ZN7rocprim17ROCPRIM_400000_NS6detail17trampoline_kernelINS0_13select_configILj256ELj13ELNS0_17block_load_methodE3ELS4_3ELS4_3ELNS0_20block_scan_algorithmE0ELj4294967295EEENS1_25partition_config_selectorILNS1_17partition_subalgoE4EjNS0_10empty_typeEbEEZZNS1_14partition_implILS8_4ELb0ES6_15HIP_vector_typeIjLj2EENS0_17counting_iteratorIjlEEPS9_SG_NS0_5tupleIJPjSI_NS0_16reverse_iteratorISI_EEEEENSH_IJSG_SG_SG_EEES9_SI_JZNS1_25segmented_radix_sort_implINS0_14default_configELb0EPKaPaPKlPlN2at6native12_GLOBAL__N_18offset_tEEE10hipError_tPvRmT1_PNSt15iterator_traitsIS12_E10value_typeET2_T3_PNS13_IS18_E10value_typeET4_jRbjT5_S1E_jjP12ihipStream_tbEUljE_ZNSN_ISO_Lb0ESQ_SR_ST_SU_SY_EESZ_S10_S11_S12_S16_S17_S18_S1B_S1C_jS1D_jS1E_S1E_jjS1G_bEUljE0_EEESZ_S10_S11_S18_S1C_S1E_T6_T7_T9_mT8_S1G_bDpT10_ENKUlT_T0_E_clISt17integral_constantIbLb0EES1T_IbLb1EEEEDaS1P_S1Q_EUlS1P_E_NS1_11comp_targetILNS1_3genE0ELNS1_11target_archE4294967295ELNS1_3gpuE0ELNS1_3repE0EEENS1_30default_config_static_selectorELNS0_4arch9wavefront6targetE1EEEvS12_.has_recursion, 0
	.set _ZN7rocprim17ROCPRIM_400000_NS6detail17trampoline_kernelINS0_13select_configILj256ELj13ELNS0_17block_load_methodE3ELS4_3ELS4_3ELNS0_20block_scan_algorithmE0ELj4294967295EEENS1_25partition_config_selectorILNS1_17partition_subalgoE4EjNS0_10empty_typeEbEEZZNS1_14partition_implILS8_4ELb0ES6_15HIP_vector_typeIjLj2EENS0_17counting_iteratorIjlEEPS9_SG_NS0_5tupleIJPjSI_NS0_16reverse_iteratorISI_EEEEENSH_IJSG_SG_SG_EEES9_SI_JZNS1_25segmented_radix_sort_implINS0_14default_configELb0EPKaPaPKlPlN2at6native12_GLOBAL__N_18offset_tEEE10hipError_tPvRmT1_PNSt15iterator_traitsIS12_E10value_typeET2_T3_PNS13_IS18_E10value_typeET4_jRbjT5_S1E_jjP12ihipStream_tbEUljE_ZNSN_ISO_Lb0ESQ_SR_ST_SU_SY_EESZ_S10_S11_S12_S16_S17_S18_S1B_S1C_jS1D_jS1E_S1E_jjS1G_bEUljE0_EEESZ_S10_S11_S18_S1C_S1E_T6_T7_T9_mT8_S1G_bDpT10_ENKUlT_T0_E_clISt17integral_constantIbLb0EES1T_IbLb1EEEEDaS1P_S1Q_EUlS1P_E_NS1_11comp_targetILNS1_3genE0ELNS1_11target_archE4294967295ELNS1_3gpuE0ELNS1_3repE0EEENS1_30default_config_static_selectorELNS0_4arch9wavefront6targetE1EEEvS12_.has_indirect_call, 0
	.section	.AMDGPU.csdata,"",@progbits
; Kernel info:
; codeLenInByte = 0
; TotalNumSgprs: 4
; NumVgprs: 0
; ScratchSize: 0
; MemoryBound: 0
; FloatMode: 240
; IeeeMode: 1
; LDSByteSize: 0 bytes/workgroup (compile time only)
; SGPRBlocks: 0
; VGPRBlocks: 0
; NumSGPRsForWavesPerEU: 4
; NumVGPRsForWavesPerEU: 1
; Occupancy: 10
; WaveLimiterHint : 0
; COMPUTE_PGM_RSRC2:SCRATCH_EN: 0
; COMPUTE_PGM_RSRC2:USER_SGPR: 6
; COMPUTE_PGM_RSRC2:TRAP_HANDLER: 0
; COMPUTE_PGM_RSRC2:TGID_X_EN: 1
; COMPUTE_PGM_RSRC2:TGID_Y_EN: 0
; COMPUTE_PGM_RSRC2:TGID_Z_EN: 0
; COMPUTE_PGM_RSRC2:TIDIG_COMP_CNT: 0
	.section	.text._ZN7rocprim17ROCPRIM_400000_NS6detail17trampoline_kernelINS0_13select_configILj256ELj13ELNS0_17block_load_methodE3ELS4_3ELS4_3ELNS0_20block_scan_algorithmE0ELj4294967295EEENS1_25partition_config_selectorILNS1_17partition_subalgoE4EjNS0_10empty_typeEbEEZZNS1_14partition_implILS8_4ELb0ES6_15HIP_vector_typeIjLj2EENS0_17counting_iteratorIjlEEPS9_SG_NS0_5tupleIJPjSI_NS0_16reverse_iteratorISI_EEEEENSH_IJSG_SG_SG_EEES9_SI_JZNS1_25segmented_radix_sort_implINS0_14default_configELb0EPKaPaPKlPlN2at6native12_GLOBAL__N_18offset_tEEE10hipError_tPvRmT1_PNSt15iterator_traitsIS12_E10value_typeET2_T3_PNS13_IS18_E10value_typeET4_jRbjT5_S1E_jjP12ihipStream_tbEUljE_ZNSN_ISO_Lb0ESQ_SR_ST_SU_SY_EESZ_S10_S11_S12_S16_S17_S18_S1B_S1C_jS1D_jS1E_S1E_jjS1G_bEUljE0_EEESZ_S10_S11_S18_S1C_S1E_T6_T7_T9_mT8_S1G_bDpT10_ENKUlT_T0_E_clISt17integral_constantIbLb0EES1T_IbLb1EEEEDaS1P_S1Q_EUlS1P_E_NS1_11comp_targetILNS1_3genE5ELNS1_11target_archE942ELNS1_3gpuE9ELNS1_3repE0EEENS1_30default_config_static_selectorELNS0_4arch9wavefront6targetE1EEEvS12_,"axG",@progbits,_ZN7rocprim17ROCPRIM_400000_NS6detail17trampoline_kernelINS0_13select_configILj256ELj13ELNS0_17block_load_methodE3ELS4_3ELS4_3ELNS0_20block_scan_algorithmE0ELj4294967295EEENS1_25partition_config_selectorILNS1_17partition_subalgoE4EjNS0_10empty_typeEbEEZZNS1_14partition_implILS8_4ELb0ES6_15HIP_vector_typeIjLj2EENS0_17counting_iteratorIjlEEPS9_SG_NS0_5tupleIJPjSI_NS0_16reverse_iteratorISI_EEEEENSH_IJSG_SG_SG_EEES9_SI_JZNS1_25segmented_radix_sort_implINS0_14default_configELb0EPKaPaPKlPlN2at6native12_GLOBAL__N_18offset_tEEE10hipError_tPvRmT1_PNSt15iterator_traitsIS12_E10value_typeET2_T3_PNS13_IS18_E10value_typeET4_jRbjT5_S1E_jjP12ihipStream_tbEUljE_ZNSN_ISO_Lb0ESQ_SR_ST_SU_SY_EESZ_S10_S11_S12_S16_S17_S18_S1B_S1C_jS1D_jS1E_S1E_jjS1G_bEUljE0_EEESZ_S10_S11_S18_S1C_S1E_T6_T7_T9_mT8_S1G_bDpT10_ENKUlT_T0_E_clISt17integral_constantIbLb0EES1T_IbLb1EEEEDaS1P_S1Q_EUlS1P_E_NS1_11comp_targetILNS1_3genE5ELNS1_11target_archE942ELNS1_3gpuE9ELNS1_3repE0EEENS1_30default_config_static_selectorELNS0_4arch9wavefront6targetE1EEEvS12_,comdat
	.globl	_ZN7rocprim17ROCPRIM_400000_NS6detail17trampoline_kernelINS0_13select_configILj256ELj13ELNS0_17block_load_methodE3ELS4_3ELS4_3ELNS0_20block_scan_algorithmE0ELj4294967295EEENS1_25partition_config_selectorILNS1_17partition_subalgoE4EjNS0_10empty_typeEbEEZZNS1_14partition_implILS8_4ELb0ES6_15HIP_vector_typeIjLj2EENS0_17counting_iteratorIjlEEPS9_SG_NS0_5tupleIJPjSI_NS0_16reverse_iteratorISI_EEEEENSH_IJSG_SG_SG_EEES9_SI_JZNS1_25segmented_radix_sort_implINS0_14default_configELb0EPKaPaPKlPlN2at6native12_GLOBAL__N_18offset_tEEE10hipError_tPvRmT1_PNSt15iterator_traitsIS12_E10value_typeET2_T3_PNS13_IS18_E10value_typeET4_jRbjT5_S1E_jjP12ihipStream_tbEUljE_ZNSN_ISO_Lb0ESQ_SR_ST_SU_SY_EESZ_S10_S11_S12_S16_S17_S18_S1B_S1C_jS1D_jS1E_S1E_jjS1G_bEUljE0_EEESZ_S10_S11_S18_S1C_S1E_T6_T7_T9_mT8_S1G_bDpT10_ENKUlT_T0_E_clISt17integral_constantIbLb0EES1T_IbLb1EEEEDaS1P_S1Q_EUlS1P_E_NS1_11comp_targetILNS1_3genE5ELNS1_11target_archE942ELNS1_3gpuE9ELNS1_3repE0EEENS1_30default_config_static_selectorELNS0_4arch9wavefront6targetE1EEEvS12_ ; -- Begin function _ZN7rocprim17ROCPRIM_400000_NS6detail17trampoline_kernelINS0_13select_configILj256ELj13ELNS0_17block_load_methodE3ELS4_3ELS4_3ELNS0_20block_scan_algorithmE0ELj4294967295EEENS1_25partition_config_selectorILNS1_17partition_subalgoE4EjNS0_10empty_typeEbEEZZNS1_14partition_implILS8_4ELb0ES6_15HIP_vector_typeIjLj2EENS0_17counting_iteratorIjlEEPS9_SG_NS0_5tupleIJPjSI_NS0_16reverse_iteratorISI_EEEEENSH_IJSG_SG_SG_EEES9_SI_JZNS1_25segmented_radix_sort_implINS0_14default_configELb0EPKaPaPKlPlN2at6native12_GLOBAL__N_18offset_tEEE10hipError_tPvRmT1_PNSt15iterator_traitsIS12_E10value_typeET2_T3_PNS13_IS18_E10value_typeET4_jRbjT5_S1E_jjP12ihipStream_tbEUljE_ZNSN_ISO_Lb0ESQ_SR_ST_SU_SY_EESZ_S10_S11_S12_S16_S17_S18_S1B_S1C_jS1D_jS1E_S1E_jjS1G_bEUljE0_EEESZ_S10_S11_S18_S1C_S1E_T6_T7_T9_mT8_S1G_bDpT10_ENKUlT_T0_E_clISt17integral_constantIbLb0EES1T_IbLb1EEEEDaS1P_S1Q_EUlS1P_E_NS1_11comp_targetILNS1_3genE5ELNS1_11target_archE942ELNS1_3gpuE9ELNS1_3repE0EEENS1_30default_config_static_selectorELNS0_4arch9wavefront6targetE1EEEvS12_
	.p2align	8
	.type	_ZN7rocprim17ROCPRIM_400000_NS6detail17trampoline_kernelINS0_13select_configILj256ELj13ELNS0_17block_load_methodE3ELS4_3ELS4_3ELNS0_20block_scan_algorithmE0ELj4294967295EEENS1_25partition_config_selectorILNS1_17partition_subalgoE4EjNS0_10empty_typeEbEEZZNS1_14partition_implILS8_4ELb0ES6_15HIP_vector_typeIjLj2EENS0_17counting_iteratorIjlEEPS9_SG_NS0_5tupleIJPjSI_NS0_16reverse_iteratorISI_EEEEENSH_IJSG_SG_SG_EEES9_SI_JZNS1_25segmented_radix_sort_implINS0_14default_configELb0EPKaPaPKlPlN2at6native12_GLOBAL__N_18offset_tEEE10hipError_tPvRmT1_PNSt15iterator_traitsIS12_E10value_typeET2_T3_PNS13_IS18_E10value_typeET4_jRbjT5_S1E_jjP12ihipStream_tbEUljE_ZNSN_ISO_Lb0ESQ_SR_ST_SU_SY_EESZ_S10_S11_S12_S16_S17_S18_S1B_S1C_jS1D_jS1E_S1E_jjS1G_bEUljE0_EEESZ_S10_S11_S18_S1C_S1E_T6_T7_T9_mT8_S1G_bDpT10_ENKUlT_T0_E_clISt17integral_constantIbLb0EES1T_IbLb1EEEEDaS1P_S1Q_EUlS1P_E_NS1_11comp_targetILNS1_3genE5ELNS1_11target_archE942ELNS1_3gpuE9ELNS1_3repE0EEENS1_30default_config_static_selectorELNS0_4arch9wavefront6targetE1EEEvS12_,@function
_ZN7rocprim17ROCPRIM_400000_NS6detail17trampoline_kernelINS0_13select_configILj256ELj13ELNS0_17block_load_methodE3ELS4_3ELS4_3ELNS0_20block_scan_algorithmE0ELj4294967295EEENS1_25partition_config_selectorILNS1_17partition_subalgoE4EjNS0_10empty_typeEbEEZZNS1_14partition_implILS8_4ELb0ES6_15HIP_vector_typeIjLj2EENS0_17counting_iteratorIjlEEPS9_SG_NS0_5tupleIJPjSI_NS0_16reverse_iteratorISI_EEEEENSH_IJSG_SG_SG_EEES9_SI_JZNS1_25segmented_radix_sort_implINS0_14default_configELb0EPKaPaPKlPlN2at6native12_GLOBAL__N_18offset_tEEE10hipError_tPvRmT1_PNSt15iterator_traitsIS12_E10value_typeET2_T3_PNS13_IS18_E10value_typeET4_jRbjT5_S1E_jjP12ihipStream_tbEUljE_ZNSN_ISO_Lb0ESQ_SR_ST_SU_SY_EESZ_S10_S11_S12_S16_S17_S18_S1B_S1C_jS1D_jS1E_S1E_jjS1G_bEUljE0_EEESZ_S10_S11_S18_S1C_S1E_T6_T7_T9_mT8_S1G_bDpT10_ENKUlT_T0_E_clISt17integral_constantIbLb0EES1T_IbLb1EEEEDaS1P_S1Q_EUlS1P_E_NS1_11comp_targetILNS1_3genE5ELNS1_11target_archE942ELNS1_3gpuE9ELNS1_3repE0EEENS1_30default_config_static_selectorELNS0_4arch9wavefront6targetE1EEEvS12_: ; @_ZN7rocprim17ROCPRIM_400000_NS6detail17trampoline_kernelINS0_13select_configILj256ELj13ELNS0_17block_load_methodE3ELS4_3ELS4_3ELNS0_20block_scan_algorithmE0ELj4294967295EEENS1_25partition_config_selectorILNS1_17partition_subalgoE4EjNS0_10empty_typeEbEEZZNS1_14partition_implILS8_4ELb0ES6_15HIP_vector_typeIjLj2EENS0_17counting_iteratorIjlEEPS9_SG_NS0_5tupleIJPjSI_NS0_16reverse_iteratorISI_EEEEENSH_IJSG_SG_SG_EEES9_SI_JZNS1_25segmented_radix_sort_implINS0_14default_configELb0EPKaPaPKlPlN2at6native12_GLOBAL__N_18offset_tEEE10hipError_tPvRmT1_PNSt15iterator_traitsIS12_E10value_typeET2_T3_PNS13_IS18_E10value_typeET4_jRbjT5_S1E_jjP12ihipStream_tbEUljE_ZNSN_ISO_Lb0ESQ_SR_ST_SU_SY_EESZ_S10_S11_S12_S16_S17_S18_S1B_S1C_jS1D_jS1E_S1E_jjS1G_bEUljE0_EEESZ_S10_S11_S18_S1C_S1E_T6_T7_T9_mT8_S1G_bDpT10_ENKUlT_T0_E_clISt17integral_constantIbLb0EES1T_IbLb1EEEEDaS1P_S1Q_EUlS1P_E_NS1_11comp_targetILNS1_3genE5ELNS1_11target_archE942ELNS1_3gpuE9ELNS1_3repE0EEENS1_30default_config_static_selectorELNS0_4arch9wavefront6targetE1EEEvS12_
; %bb.0:
	.section	.rodata,"a",@progbits
	.p2align	6, 0x0
	.amdhsa_kernel _ZN7rocprim17ROCPRIM_400000_NS6detail17trampoline_kernelINS0_13select_configILj256ELj13ELNS0_17block_load_methodE3ELS4_3ELS4_3ELNS0_20block_scan_algorithmE0ELj4294967295EEENS1_25partition_config_selectorILNS1_17partition_subalgoE4EjNS0_10empty_typeEbEEZZNS1_14partition_implILS8_4ELb0ES6_15HIP_vector_typeIjLj2EENS0_17counting_iteratorIjlEEPS9_SG_NS0_5tupleIJPjSI_NS0_16reverse_iteratorISI_EEEEENSH_IJSG_SG_SG_EEES9_SI_JZNS1_25segmented_radix_sort_implINS0_14default_configELb0EPKaPaPKlPlN2at6native12_GLOBAL__N_18offset_tEEE10hipError_tPvRmT1_PNSt15iterator_traitsIS12_E10value_typeET2_T3_PNS13_IS18_E10value_typeET4_jRbjT5_S1E_jjP12ihipStream_tbEUljE_ZNSN_ISO_Lb0ESQ_SR_ST_SU_SY_EESZ_S10_S11_S12_S16_S17_S18_S1B_S1C_jS1D_jS1E_S1E_jjS1G_bEUljE0_EEESZ_S10_S11_S18_S1C_S1E_T6_T7_T9_mT8_S1G_bDpT10_ENKUlT_T0_E_clISt17integral_constantIbLb0EES1T_IbLb1EEEEDaS1P_S1Q_EUlS1P_E_NS1_11comp_targetILNS1_3genE5ELNS1_11target_archE942ELNS1_3gpuE9ELNS1_3repE0EEENS1_30default_config_static_selectorELNS0_4arch9wavefront6targetE1EEEvS12_
		.amdhsa_group_segment_fixed_size 0
		.amdhsa_private_segment_fixed_size 0
		.amdhsa_kernarg_size 184
		.amdhsa_user_sgpr_count 6
		.amdhsa_user_sgpr_private_segment_buffer 1
		.amdhsa_user_sgpr_dispatch_ptr 0
		.amdhsa_user_sgpr_queue_ptr 0
		.amdhsa_user_sgpr_kernarg_segment_ptr 1
		.amdhsa_user_sgpr_dispatch_id 0
		.amdhsa_user_sgpr_flat_scratch_init 0
		.amdhsa_user_sgpr_private_segment_size 0
		.amdhsa_uses_dynamic_stack 0
		.amdhsa_system_sgpr_private_segment_wavefront_offset 0
		.amdhsa_system_sgpr_workgroup_id_x 1
		.amdhsa_system_sgpr_workgroup_id_y 0
		.amdhsa_system_sgpr_workgroup_id_z 0
		.amdhsa_system_sgpr_workgroup_info 0
		.amdhsa_system_vgpr_workitem_id 0
		.amdhsa_next_free_vgpr 1
		.amdhsa_next_free_sgpr 0
		.amdhsa_reserve_vcc 0
		.amdhsa_reserve_flat_scratch 0
		.amdhsa_float_round_mode_32 0
		.amdhsa_float_round_mode_16_64 0
		.amdhsa_float_denorm_mode_32 3
		.amdhsa_float_denorm_mode_16_64 3
		.amdhsa_dx10_clamp 1
		.amdhsa_ieee_mode 1
		.amdhsa_fp16_overflow 0
		.amdhsa_exception_fp_ieee_invalid_op 0
		.amdhsa_exception_fp_denorm_src 0
		.amdhsa_exception_fp_ieee_div_zero 0
		.amdhsa_exception_fp_ieee_overflow 0
		.amdhsa_exception_fp_ieee_underflow 0
		.amdhsa_exception_fp_ieee_inexact 0
		.amdhsa_exception_int_div_zero 0
	.end_amdhsa_kernel
	.section	.text._ZN7rocprim17ROCPRIM_400000_NS6detail17trampoline_kernelINS0_13select_configILj256ELj13ELNS0_17block_load_methodE3ELS4_3ELS4_3ELNS0_20block_scan_algorithmE0ELj4294967295EEENS1_25partition_config_selectorILNS1_17partition_subalgoE4EjNS0_10empty_typeEbEEZZNS1_14partition_implILS8_4ELb0ES6_15HIP_vector_typeIjLj2EENS0_17counting_iteratorIjlEEPS9_SG_NS0_5tupleIJPjSI_NS0_16reverse_iteratorISI_EEEEENSH_IJSG_SG_SG_EEES9_SI_JZNS1_25segmented_radix_sort_implINS0_14default_configELb0EPKaPaPKlPlN2at6native12_GLOBAL__N_18offset_tEEE10hipError_tPvRmT1_PNSt15iterator_traitsIS12_E10value_typeET2_T3_PNS13_IS18_E10value_typeET4_jRbjT5_S1E_jjP12ihipStream_tbEUljE_ZNSN_ISO_Lb0ESQ_SR_ST_SU_SY_EESZ_S10_S11_S12_S16_S17_S18_S1B_S1C_jS1D_jS1E_S1E_jjS1G_bEUljE0_EEESZ_S10_S11_S18_S1C_S1E_T6_T7_T9_mT8_S1G_bDpT10_ENKUlT_T0_E_clISt17integral_constantIbLb0EES1T_IbLb1EEEEDaS1P_S1Q_EUlS1P_E_NS1_11comp_targetILNS1_3genE5ELNS1_11target_archE942ELNS1_3gpuE9ELNS1_3repE0EEENS1_30default_config_static_selectorELNS0_4arch9wavefront6targetE1EEEvS12_,"axG",@progbits,_ZN7rocprim17ROCPRIM_400000_NS6detail17trampoline_kernelINS0_13select_configILj256ELj13ELNS0_17block_load_methodE3ELS4_3ELS4_3ELNS0_20block_scan_algorithmE0ELj4294967295EEENS1_25partition_config_selectorILNS1_17partition_subalgoE4EjNS0_10empty_typeEbEEZZNS1_14partition_implILS8_4ELb0ES6_15HIP_vector_typeIjLj2EENS0_17counting_iteratorIjlEEPS9_SG_NS0_5tupleIJPjSI_NS0_16reverse_iteratorISI_EEEEENSH_IJSG_SG_SG_EEES9_SI_JZNS1_25segmented_radix_sort_implINS0_14default_configELb0EPKaPaPKlPlN2at6native12_GLOBAL__N_18offset_tEEE10hipError_tPvRmT1_PNSt15iterator_traitsIS12_E10value_typeET2_T3_PNS13_IS18_E10value_typeET4_jRbjT5_S1E_jjP12ihipStream_tbEUljE_ZNSN_ISO_Lb0ESQ_SR_ST_SU_SY_EESZ_S10_S11_S12_S16_S17_S18_S1B_S1C_jS1D_jS1E_S1E_jjS1G_bEUljE0_EEESZ_S10_S11_S18_S1C_S1E_T6_T7_T9_mT8_S1G_bDpT10_ENKUlT_T0_E_clISt17integral_constantIbLb0EES1T_IbLb1EEEEDaS1P_S1Q_EUlS1P_E_NS1_11comp_targetILNS1_3genE5ELNS1_11target_archE942ELNS1_3gpuE9ELNS1_3repE0EEENS1_30default_config_static_selectorELNS0_4arch9wavefront6targetE1EEEvS12_,comdat
.Lfunc_end354:
	.size	_ZN7rocprim17ROCPRIM_400000_NS6detail17trampoline_kernelINS0_13select_configILj256ELj13ELNS0_17block_load_methodE3ELS4_3ELS4_3ELNS0_20block_scan_algorithmE0ELj4294967295EEENS1_25partition_config_selectorILNS1_17partition_subalgoE4EjNS0_10empty_typeEbEEZZNS1_14partition_implILS8_4ELb0ES6_15HIP_vector_typeIjLj2EENS0_17counting_iteratorIjlEEPS9_SG_NS0_5tupleIJPjSI_NS0_16reverse_iteratorISI_EEEEENSH_IJSG_SG_SG_EEES9_SI_JZNS1_25segmented_radix_sort_implINS0_14default_configELb0EPKaPaPKlPlN2at6native12_GLOBAL__N_18offset_tEEE10hipError_tPvRmT1_PNSt15iterator_traitsIS12_E10value_typeET2_T3_PNS13_IS18_E10value_typeET4_jRbjT5_S1E_jjP12ihipStream_tbEUljE_ZNSN_ISO_Lb0ESQ_SR_ST_SU_SY_EESZ_S10_S11_S12_S16_S17_S18_S1B_S1C_jS1D_jS1E_S1E_jjS1G_bEUljE0_EEESZ_S10_S11_S18_S1C_S1E_T6_T7_T9_mT8_S1G_bDpT10_ENKUlT_T0_E_clISt17integral_constantIbLb0EES1T_IbLb1EEEEDaS1P_S1Q_EUlS1P_E_NS1_11comp_targetILNS1_3genE5ELNS1_11target_archE942ELNS1_3gpuE9ELNS1_3repE0EEENS1_30default_config_static_selectorELNS0_4arch9wavefront6targetE1EEEvS12_, .Lfunc_end354-_ZN7rocprim17ROCPRIM_400000_NS6detail17trampoline_kernelINS0_13select_configILj256ELj13ELNS0_17block_load_methodE3ELS4_3ELS4_3ELNS0_20block_scan_algorithmE0ELj4294967295EEENS1_25partition_config_selectorILNS1_17partition_subalgoE4EjNS0_10empty_typeEbEEZZNS1_14partition_implILS8_4ELb0ES6_15HIP_vector_typeIjLj2EENS0_17counting_iteratorIjlEEPS9_SG_NS0_5tupleIJPjSI_NS0_16reverse_iteratorISI_EEEEENSH_IJSG_SG_SG_EEES9_SI_JZNS1_25segmented_radix_sort_implINS0_14default_configELb0EPKaPaPKlPlN2at6native12_GLOBAL__N_18offset_tEEE10hipError_tPvRmT1_PNSt15iterator_traitsIS12_E10value_typeET2_T3_PNS13_IS18_E10value_typeET4_jRbjT5_S1E_jjP12ihipStream_tbEUljE_ZNSN_ISO_Lb0ESQ_SR_ST_SU_SY_EESZ_S10_S11_S12_S16_S17_S18_S1B_S1C_jS1D_jS1E_S1E_jjS1G_bEUljE0_EEESZ_S10_S11_S18_S1C_S1E_T6_T7_T9_mT8_S1G_bDpT10_ENKUlT_T0_E_clISt17integral_constantIbLb0EES1T_IbLb1EEEEDaS1P_S1Q_EUlS1P_E_NS1_11comp_targetILNS1_3genE5ELNS1_11target_archE942ELNS1_3gpuE9ELNS1_3repE0EEENS1_30default_config_static_selectorELNS0_4arch9wavefront6targetE1EEEvS12_
                                        ; -- End function
	.set _ZN7rocprim17ROCPRIM_400000_NS6detail17trampoline_kernelINS0_13select_configILj256ELj13ELNS0_17block_load_methodE3ELS4_3ELS4_3ELNS0_20block_scan_algorithmE0ELj4294967295EEENS1_25partition_config_selectorILNS1_17partition_subalgoE4EjNS0_10empty_typeEbEEZZNS1_14partition_implILS8_4ELb0ES6_15HIP_vector_typeIjLj2EENS0_17counting_iteratorIjlEEPS9_SG_NS0_5tupleIJPjSI_NS0_16reverse_iteratorISI_EEEEENSH_IJSG_SG_SG_EEES9_SI_JZNS1_25segmented_radix_sort_implINS0_14default_configELb0EPKaPaPKlPlN2at6native12_GLOBAL__N_18offset_tEEE10hipError_tPvRmT1_PNSt15iterator_traitsIS12_E10value_typeET2_T3_PNS13_IS18_E10value_typeET4_jRbjT5_S1E_jjP12ihipStream_tbEUljE_ZNSN_ISO_Lb0ESQ_SR_ST_SU_SY_EESZ_S10_S11_S12_S16_S17_S18_S1B_S1C_jS1D_jS1E_S1E_jjS1G_bEUljE0_EEESZ_S10_S11_S18_S1C_S1E_T6_T7_T9_mT8_S1G_bDpT10_ENKUlT_T0_E_clISt17integral_constantIbLb0EES1T_IbLb1EEEEDaS1P_S1Q_EUlS1P_E_NS1_11comp_targetILNS1_3genE5ELNS1_11target_archE942ELNS1_3gpuE9ELNS1_3repE0EEENS1_30default_config_static_selectorELNS0_4arch9wavefront6targetE1EEEvS12_.num_vgpr, 0
	.set _ZN7rocprim17ROCPRIM_400000_NS6detail17trampoline_kernelINS0_13select_configILj256ELj13ELNS0_17block_load_methodE3ELS4_3ELS4_3ELNS0_20block_scan_algorithmE0ELj4294967295EEENS1_25partition_config_selectorILNS1_17partition_subalgoE4EjNS0_10empty_typeEbEEZZNS1_14partition_implILS8_4ELb0ES6_15HIP_vector_typeIjLj2EENS0_17counting_iteratorIjlEEPS9_SG_NS0_5tupleIJPjSI_NS0_16reverse_iteratorISI_EEEEENSH_IJSG_SG_SG_EEES9_SI_JZNS1_25segmented_radix_sort_implINS0_14default_configELb0EPKaPaPKlPlN2at6native12_GLOBAL__N_18offset_tEEE10hipError_tPvRmT1_PNSt15iterator_traitsIS12_E10value_typeET2_T3_PNS13_IS18_E10value_typeET4_jRbjT5_S1E_jjP12ihipStream_tbEUljE_ZNSN_ISO_Lb0ESQ_SR_ST_SU_SY_EESZ_S10_S11_S12_S16_S17_S18_S1B_S1C_jS1D_jS1E_S1E_jjS1G_bEUljE0_EEESZ_S10_S11_S18_S1C_S1E_T6_T7_T9_mT8_S1G_bDpT10_ENKUlT_T0_E_clISt17integral_constantIbLb0EES1T_IbLb1EEEEDaS1P_S1Q_EUlS1P_E_NS1_11comp_targetILNS1_3genE5ELNS1_11target_archE942ELNS1_3gpuE9ELNS1_3repE0EEENS1_30default_config_static_selectorELNS0_4arch9wavefront6targetE1EEEvS12_.num_agpr, 0
	.set _ZN7rocprim17ROCPRIM_400000_NS6detail17trampoline_kernelINS0_13select_configILj256ELj13ELNS0_17block_load_methodE3ELS4_3ELS4_3ELNS0_20block_scan_algorithmE0ELj4294967295EEENS1_25partition_config_selectorILNS1_17partition_subalgoE4EjNS0_10empty_typeEbEEZZNS1_14partition_implILS8_4ELb0ES6_15HIP_vector_typeIjLj2EENS0_17counting_iteratorIjlEEPS9_SG_NS0_5tupleIJPjSI_NS0_16reverse_iteratorISI_EEEEENSH_IJSG_SG_SG_EEES9_SI_JZNS1_25segmented_radix_sort_implINS0_14default_configELb0EPKaPaPKlPlN2at6native12_GLOBAL__N_18offset_tEEE10hipError_tPvRmT1_PNSt15iterator_traitsIS12_E10value_typeET2_T3_PNS13_IS18_E10value_typeET4_jRbjT5_S1E_jjP12ihipStream_tbEUljE_ZNSN_ISO_Lb0ESQ_SR_ST_SU_SY_EESZ_S10_S11_S12_S16_S17_S18_S1B_S1C_jS1D_jS1E_S1E_jjS1G_bEUljE0_EEESZ_S10_S11_S18_S1C_S1E_T6_T7_T9_mT8_S1G_bDpT10_ENKUlT_T0_E_clISt17integral_constantIbLb0EES1T_IbLb1EEEEDaS1P_S1Q_EUlS1P_E_NS1_11comp_targetILNS1_3genE5ELNS1_11target_archE942ELNS1_3gpuE9ELNS1_3repE0EEENS1_30default_config_static_selectorELNS0_4arch9wavefront6targetE1EEEvS12_.numbered_sgpr, 0
	.set _ZN7rocprim17ROCPRIM_400000_NS6detail17trampoline_kernelINS0_13select_configILj256ELj13ELNS0_17block_load_methodE3ELS4_3ELS4_3ELNS0_20block_scan_algorithmE0ELj4294967295EEENS1_25partition_config_selectorILNS1_17partition_subalgoE4EjNS0_10empty_typeEbEEZZNS1_14partition_implILS8_4ELb0ES6_15HIP_vector_typeIjLj2EENS0_17counting_iteratorIjlEEPS9_SG_NS0_5tupleIJPjSI_NS0_16reverse_iteratorISI_EEEEENSH_IJSG_SG_SG_EEES9_SI_JZNS1_25segmented_radix_sort_implINS0_14default_configELb0EPKaPaPKlPlN2at6native12_GLOBAL__N_18offset_tEEE10hipError_tPvRmT1_PNSt15iterator_traitsIS12_E10value_typeET2_T3_PNS13_IS18_E10value_typeET4_jRbjT5_S1E_jjP12ihipStream_tbEUljE_ZNSN_ISO_Lb0ESQ_SR_ST_SU_SY_EESZ_S10_S11_S12_S16_S17_S18_S1B_S1C_jS1D_jS1E_S1E_jjS1G_bEUljE0_EEESZ_S10_S11_S18_S1C_S1E_T6_T7_T9_mT8_S1G_bDpT10_ENKUlT_T0_E_clISt17integral_constantIbLb0EES1T_IbLb1EEEEDaS1P_S1Q_EUlS1P_E_NS1_11comp_targetILNS1_3genE5ELNS1_11target_archE942ELNS1_3gpuE9ELNS1_3repE0EEENS1_30default_config_static_selectorELNS0_4arch9wavefront6targetE1EEEvS12_.num_named_barrier, 0
	.set _ZN7rocprim17ROCPRIM_400000_NS6detail17trampoline_kernelINS0_13select_configILj256ELj13ELNS0_17block_load_methodE3ELS4_3ELS4_3ELNS0_20block_scan_algorithmE0ELj4294967295EEENS1_25partition_config_selectorILNS1_17partition_subalgoE4EjNS0_10empty_typeEbEEZZNS1_14partition_implILS8_4ELb0ES6_15HIP_vector_typeIjLj2EENS0_17counting_iteratorIjlEEPS9_SG_NS0_5tupleIJPjSI_NS0_16reverse_iteratorISI_EEEEENSH_IJSG_SG_SG_EEES9_SI_JZNS1_25segmented_radix_sort_implINS0_14default_configELb0EPKaPaPKlPlN2at6native12_GLOBAL__N_18offset_tEEE10hipError_tPvRmT1_PNSt15iterator_traitsIS12_E10value_typeET2_T3_PNS13_IS18_E10value_typeET4_jRbjT5_S1E_jjP12ihipStream_tbEUljE_ZNSN_ISO_Lb0ESQ_SR_ST_SU_SY_EESZ_S10_S11_S12_S16_S17_S18_S1B_S1C_jS1D_jS1E_S1E_jjS1G_bEUljE0_EEESZ_S10_S11_S18_S1C_S1E_T6_T7_T9_mT8_S1G_bDpT10_ENKUlT_T0_E_clISt17integral_constantIbLb0EES1T_IbLb1EEEEDaS1P_S1Q_EUlS1P_E_NS1_11comp_targetILNS1_3genE5ELNS1_11target_archE942ELNS1_3gpuE9ELNS1_3repE0EEENS1_30default_config_static_selectorELNS0_4arch9wavefront6targetE1EEEvS12_.private_seg_size, 0
	.set _ZN7rocprim17ROCPRIM_400000_NS6detail17trampoline_kernelINS0_13select_configILj256ELj13ELNS0_17block_load_methodE3ELS4_3ELS4_3ELNS0_20block_scan_algorithmE0ELj4294967295EEENS1_25partition_config_selectorILNS1_17partition_subalgoE4EjNS0_10empty_typeEbEEZZNS1_14partition_implILS8_4ELb0ES6_15HIP_vector_typeIjLj2EENS0_17counting_iteratorIjlEEPS9_SG_NS0_5tupleIJPjSI_NS0_16reverse_iteratorISI_EEEEENSH_IJSG_SG_SG_EEES9_SI_JZNS1_25segmented_radix_sort_implINS0_14default_configELb0EPKaPaPKlPlN2at6native12_GLOBAL__N_18offset_tEEE10hipError_tPvRmT1_PNSt15iterator_traitsIS12_E10value_typeET2_T3_PNS13_IS18_E10value_typeET4_jRbjT5_S1E_jjP12ihipStream_tbEUljE_ZNSN_ISO_Lb0ESQ_SR_ST_SU_SY_EESZ_S10_S11_S12_S16_S17_S18_S1B_S1C_jS1D_jS1E_S1E_jjS1G_bEUljE0_EEESZ_S10_S11_S18_S1C_S1E_T6_T7_T9_mT8_S1G_bDpT10_ENKUlT_T0_E_clISt17integral_constantIbLb0EES1T_IbLb1EEEEDaS1P_S1Q_EUlS1P_E_NS1_11comp_targetILNS1_3genE5ELNS1_11target_archE942ELNS1_3gpuE9ELNS1_3repE0EEENS1_30default_config_static_selectorELNS0_4arch9wavefront6targetE1EEEvS12_.uses_vcc, 0
	.set _ZN7rocprim17ROCPRIM_400000_NS6detail17trampoline_kernelINS0_13select_configILj256ELj13ELNS0_17block_load_methodE3ELS4_3ELS4_3ELNS0_20block_scan_algorithmE0ELj4294967295EEENS1_25partition_config_selectorILNS1_17partition_subalgoE4EjNS0_10empty_typeEbEEZZNS1_14partition_implILS8_4ELb0ES6_15HIP_vector_typeIjLj2EENS0_17counting_iteratorIjlEEPS9_SG_NS0_5tupleIJPjSI_NS0_16reverse_iteratorISI_EEEEENSH_IJSG_SG_SG_EEES9_SI_JZNS1_25segmented_radix_sort_implINS0_14default_configELb0EPKaPaPKlPlN2at6native12_GLOBAL__N_18offset_tEEE10hipError_tPvRmT1_PNSt15iterator_traitsIS12_E10value_typeET2_T3_PNS13_IS18_E10value_typeET4_jRbjT5_S1E_jjP12ihipStream_tbEUljE_ZNSN_ISO_Lb0ESQ_SR_ST_SU_SY_EESZ_S10_S11_S12_S16_S17_S18_S1B_S1C_jS1D_jS1E_S1E_jjS1G_bEUljE0_EEESZ_S10_S11_S18_S1C_S1E_T6_T7_T9_mT8_S1G_bDpT10_ENKUlT_T0_E_clISt17integral_constantIbLb0EES1T_IbLb1EEEEDaS1P_S1Q_EUlS1P_E_NS1_11comp_targetILNS1_3genE5ELNS1_11target_archE942ELNS1_3gpuE9ELNS1_3repE0EEENS1_30default_config_static_selectorELNS0_4arch9wavefront6targetE1EEEvS12_.uses_flat_scratch, 0
	.set _ZN7rocprim17ROCPRIM_400000_NS6detail17trampoline_kernelINS0_13select_configILj256ELj13ELNS0_17block_load_methodE3ELS4_3ELS4_3ELNS0_20block_scan_algorithmE0ELj4294967295EEENS1_25partition_config_selectorILNS1_17partition_subalgoE4EjNS0_10empty_typeEbEEZZNS1_14partition_implILS8_4ELb0ES6_15HIP_vector_typeIjLj2EENS0_17counting_iteratorIjlEEPS9_SG_NS0_5tupleIJPjSI_NS0_16reverse_iteratorISI_EEEEENSH_IJSG_SG_SG_EEES9_SI_JZNS1_25segmented_radix_sort_implINS0_14default_configELb0EPKaPaPKlPlN2at6native12_GLOBAL__N_18offset_tEEE10hipError_tPvRmT1_PNSt15iterator_traitsIS12_E10value_typeET2_T3_PNS13_IS18_E10value_typeET4_jRbjT5_S1E_jjP12ihipStream_tbEUljE_ZNSN_ISO_Lb0ESQ_SR_ST_SU_SY_EESZ_S10_S11_S12_S16_S17_S18_S1B_S1C_jS1D_jS1E_S1E_jjS1G_bEUljE0_EEESZ_S10_S11_S18_S1C_S1E_T6_T7_T9_mT8_S1G_bDpT10_ENKUlT_T0_E_clISt17integral_constantIbLb0EES1T_IbLb1EEEEDaS1P_S1Q_EUlS1P_E_NS1_11comp_targetILNS1_3genE5ELNS1_11target_archE942ELNS1_3gpuE9ELNS1_3repE0EEENS1_30default_config_static_selectorELNS0_4arch9wavefront6targetE1EEEvS12_.has_dyn_sized_stack, 0
	.set _ZN7rocprim17ROCPRIM_400000_NS6detail17trampoline_kernelINS0_13select_configILj256ELj13ELNS0_17block_load_methodE3ELS4_3ELS4_3ELNS0_20block_scan_algorithmE0ELj4294967295EEENS1_25partition_config_selectorILNS1_17partition_subalgoE4EjNS0_10empty_typeEbEEZZNS1_14partition_implILS8_4ELb0ES6_15HIP_vector_typeIjLj2EENS0_17counting_iteratorIjlEEPS9_SG_NS0_5tupleIJPjSI_NS0_16reverse_iteratorISI_EEEEENSH_IJSG_SG_SG_EEES9_SI_JZNS1_25segmented_radix_sort_implINS0_14default_configELb0EPKaPaPKlPlN2at6native12_GLOBAL__N_18offset_tEEE10hipError_tPvRmT1_PNSt15iterator_traitsIS12_E10value_typeET2_T3_PNS13_IS18_E10value_typeET4_jRbjT5_S1E_jjP12ihipStream_tbEUljE_ZNSN_ISO_Lb0ESQ_SR_ST_SU_SY_EESZ_S10_S11_S12_S16_S17_S18_S1B_S1C_jS1D_jS1E_S1E_jjS1G_bEUljE0_EEESZ_S10_S11_S18_S1C_S1E_T6_T7_T9_mT8_S1G_bDpT10_ENKUlT_T0_E_clISt17integral_constantIbLb0EES1T_IbLb1EEEEDaS1P_S1Q_EUlS1P_E_NS1_11comp_targetILNS1_3genE5ELNS1_11target_archE942ELNS1_3gpuE9ELNS1_3repE0EEENS1_30default_config_static_selectorELNS0_4arch9wavefront6targetE1EEEvS12_.has_recursion, 0
	.set _ZN7rocprim17ROCPRIM_400000_NS6detail17trampoline_kernelINS0_13select_configILj256ELj13ELNS0_17block_load_methodE3ELS4_3ELS4_3ELNS0_20block_scan_algorithmE0ELj4294967295EEENS1_25partition_config_selectorILNS1_17partition_subalgoE4EjNS0_10empty_typeEbEEZZNS1_14partition_implILS8_4ELb0ES6_15HIP_vector_typeIjLj2EENS0_17counting_iteratorIjlEEPS9_SG_NS0_5tupleIJPjSI_NS0_16reverse_iteratorISI_EEEEENSH_IJSG_SG_SG_EEES9_SI_JZNS1_25segmented_radix_sort_implINS0_14default_configELb0EPKaPaPKlPlN2at6native12_GLOBAL__N_18offset_tEEE10hipError_tPvRmT1_PNSt15iterator_traitsIS12_E10value_typeET2_T3_PNS13_IS18_E10value_typeET4_jRbjT5_S1E_jjP12ihipStream_tbEUljE_ZNSN_ISO_Lb0ESQ_SR_ST_SU_SY_EESZ_S10_S11_S12_S16_S17_S18_S1B_S1C_jS1D_jS1E_S1E_jjS1G_bEUljE0_EEESZ_S10_S11_S18_S1C_S1E_T6_T7_T9_mT8_S1G_bDpT10_ENKUlT_T0_E_clISt17integral_constantIbLb0EES1T_IbLb1EEEEDaS1P_S1Q_EUlS1P_E_NS1_11comp_targetILNS1_3genE5ELNS1_11target_archE942ELNS1_3gpuE9ELNS1_3repE0EEENS1_30default_config_static_selectorELNS0_4arch9wavefront6targetE1EEEvS12_.has_indirect_call, 0
	.section	.AMDGPU.csdata,"",@progbits
; Kernel info:
; codeLenInByte = 0
; TotalNumSgprs: 4
; NumVgprs: 0
; ScratchSize: 0
; MemoryBound: 0
; FloatMode: 240
; IeeeMode: 1
; LDSByteSize: 0 bytes/workgroup (compile time only)
; SGPRBlocks: 0
; VGPRBlocks: 0
; NumSGPRsForWavesPerEU: 4
; NumVGPRsForWavesPerEU: 1
; Occupancy: 10
; WaveLimiterHint : 0
; COMPUTE_PGM_RSRC2:SCRATCH_EN: 0
; COMPUTE_PGM_RSRC2:USER_SGPR: 6
; COMPUTE_PGM_RSRC2:TRAP_HANDLER: 0
; COMPUTE_PGM_RSRC2:TGID_X_EN: 1
; COMPUTE_PGM_RSRC2:TGID_Y_EN: 0
; COMPUTE_PGM_RSRC2:TGID_Z_EN: 0
; COMPUTE_PGM_RSRC2:TIDIG_COMP_CNT: 0
	.section	.text._ZN7rocprim17ROCPRIM_400000_NS6detail17trampoline_kernelINS0_13select_configILj256ELj13ELNS0_17block_load_methodE3ELS4_3ELS4_3ELNS0_20block_scan_algorithmE0ELj4294967295EEENS1_25partition_config_selectorILNS1_17partition_subalgoE4EjNS0_10empty_typeEbEEZZNS1_14partition_implILS8_4ELb0ES6_15HIP_vector_typeIjLj2EENS0_17counting_iteratorIjlEEPS9_SG_NS0_5tupleIJPjSI_NS0_16reverse_iteratorISI_EEEEENSH_IJSG_SG_SG_EEES9_SI_JZNS1_25segmented_radix_sort_implINS0_14default_configELb0EPKaPaPKlPlN2at6native12_GLOBAL__N_18offset_tEEE10hipError_tPvRmT1_PNSt15iterator_traitsIS12_E10value_typeET2_T3_PNS13_IS18_E10value_typeET4_jRbjT5_S1E_jjP12ihipStream_tbEUljE_ZNSN_ISO_Lb0ESQ_SR_ST_SU_SY_EESZ_S10_S11_S12_S16_S17_S18_S1B_S1C_jS1D_jS1E_S1E_jjS1G_bEUljE0_EEESZ_S10_S11_S18_S1C_S1E_T6_T7_T9_mT8_S1G_bDpT10_ENKUlT_T0_E_clISt17integral_constantIbLb0EES1T_IbLb1EEEEDaS1P_S1Q_EUlS1P_E_NS1_11comp_targetILNS1_3genE4ELNS1_11target_archE910ELNS1_3gpuE8ELNS1_3repE0EEENS1_30default_config_static_selectorELNS0_4arch9wavefront6targetE1EEEvS12_,"axG",@progbits,_ZN7rocprim17ROCPRIM_400000_NS6detail17trampoline_kernelINS0_13select_configILj256ELj13ELNS0_17block_load_methodE3ELS4_3ELS4_3ELNS0_20block_scan_algorithmE0ELj4294967295EEENS1_25partition_config_selectorILNS1_17partition_subalgoE4EjNS0_10empty_typeEbEEZZNS1_14partition_implILS8_4ELb0ES6_15HIP_vector_typeIjLj2EENS0_17counting_iteratorIjlEEPS9_SG_NS0_5tupleIJPjSI_NS0_16reverse_iteratorISI_EEEEENSH_IJSG_SG_SG_EEES9_SI_JZNS1_25segmented_radix_sort_implINS0_14default_configELb0EPKaPaPKlPlN2at6native12_GLOBAL__N_18offset_tEEE10hipError_tPvRmT1_PNSt15iterator_traitsIS12_E10value_typeET2_T3_PNS13_IS18_E10value_typeET4_jRbjT5_S1E_jjP12ihipStream_tbEUljE_ZNSN_ISO_Lb0ESQ_SR_ST_SU_SY_EESZ_S10_S11_S12_S16_S17_S18_S1B_S1C_jS1D_jS1E_S1E_jjS1G_bEUljE0_EEESZ_S10_S11_S18_S1C_S1E_T6_T7_T9_mT8_S1G_bDpT10_ENKUlT_T0_E_clISt17integral_constantIbLb0EES1T_IbLb1EEEEDaS1P_S1Q_EUlS1P_E_NS1_11comp_targetILNS1_3genE4ELNS1_11target_archE910ELNS1_3gpuE8ELNS1_3repE0EEENS1_30default_config_static_selectorELNS0_4arch9wavefront6targetE1EEEvS12_,comdat
	.globl	_ZN7rocprim17ROCPRIM_400000_NS6detail17trampoline_kernelINS0_13select_configILj256ELj13ELNS0_17block_load_methodE3ELS4_3ELS4_3ELNS0_20block_scan_algorithmE0ELj4294967295EEENS1_25partition_config_selectorILNS1_17partition_subalgoE4EjNS0_10empty_typeEbEEZZNS1_14partition_implILS8_4ELb0ES6_15HIP_vector_typeIjLj2EENS0_17counting_iteratorIjlEEPS9_SG_NS0_5tupleIJPjSI_NS0_16reverse_iteratorISI_EEEEENSH_IJSG_SG_SG_EEES9_SI_JZNS1_25segmented_radix_sort_implINS0_14default_configELb0EPKaPaPKlPlN2at6native12_GLOBAL__N_18offset_tEEE10hipError_tPvRmT1_PNSt15iterator_traitsIS12_E10value_typeET2_T3_PNS13_IS18_E10value_typeET4_jRbjT5_S1E_jjP12ihipStream_tbEUljE_ZNSN_ISO_Lb0ESQ_SR_ST_SU_SY_EESZ_S10_S11_S12_S16_S17_S18_S1B_S1C_jS1D_jS1E_S1E_jjS1G_bEUljE0_EEESZ_S10_S11_S18_S1C_S1E_T6_T7_T9_mT8_S1G_bDpT10_ENKUlT_T0_E_clISt17integral_constantIbLb0EES1T_IbLb1EEEEDaS1P_S1Q_EUlS1P_E_NS1_11comp_targetILNS1_3genE4ELNS1_11target_archE910ELNS1_3gpuE8ELNS1_3repE0EEENS1_30default_config_static_selectorELNS0_4arch9wavefront6targetE1EEEvS12_ ; -- Begin function _ZN7rocprim17ROCPRIM_400000_NS6detail17trampoline_kernelINS0_13select_configILj256ELj13ELNS0_17block_load_methodE3ELS4_3ELS4_3ELNS0_20block_scan_algorithmE0ELj4294967295EEENS1_25partition_config_selectorILNS1_17partition_subalgoE4EjNS0_10empty_typeEbEEZZNS1_14partition_implILS8_4ELb0ES6_15HIP_vector_typeIjLj2EENS0_17counting_iteratorIjlEEPS9_SG_NS0_5tupleIJPjSI_NS0_16reverse_iteratorISI_EEEEENSH_IJSG_SG_SG_EEES9_SI_JZNS1_25segmented_radix_sort_implINS0_14default_configELb0EPKaPaPKlPlN2at6native12_GLOBAL__N_18offset_tEEE10hipError_tPvRmT1_PNSt15iterator_traitsIS12_E10value_typeET2_T3_PNS13_IS18_E10value_typeET4_jRbjT5_S1E_jjP12ihipStream_tbEUljE_ZNSN_ISO_Lb0ESQ_SR_ST_SU_SY_EESZ_S10_S11_S12_S16_S17_S18_S1B_S1C_jS1D_jS1E_S1E_jjS1G_bEUljE0_EEESZ_S10_S11_S18_S1C_S1E_T6_T7_T9_mT8_S1G_bDpT10_ENKUlT_T0_E_clISt17integral_constantIbLb0EES1T_IbLb1EEEEDaS1P_S1Q_EUlS1P_E_NS1_11comp_targetILNS1_3genE4ELNS1_11target_archE910ELNS1_3gpuE8ELNS1_3repE0EEENS1_30default_config_static_selectorELNS0_4arch9wavefront6targetE1EEEvS12_
	.p2align	8
	.type	_ZN7rocprim17ROCPRIM_400000_NS6detail17trampoline_kernelINS0_13select_configILj256ELj13ELNS0_17block_load_methodE3ELS4_3ELS4_3ELNS0_20block_scan_algorithmE0ELj4294967295EEENS1_25partition_config_selectorILNS1_17partition_subalgoE4EjNS0_10empty_typeEbEEZZNS1_14partition_implILS8_4ELb0ES6_15HIP_vector_typeIjLj2EENS0_17counting_iteratorIjlEEPS9_SG_NS0_5tupleIJPjSI_NS0_16reverse_iteratorISI_EEEEENSH_IJSG_SG_SG_EEES9_SI_JZNS1_25segmented_radix_sort_implINS0_14default_configELb0EPKaPaPKlPlN2at6native12_GLOBAL__N_18offset_tEEE10hipError_tPvRmT1_PNSt15iterator_traitsIS12_E10value_typeET2_T3_PNS13_IS18_E10value_typeET4_jRbjT5_S1E_jjP12ihipStream_tbEUljE_ZNSN_ISO_Lb0ESQ_SR_ST_SU_SY_EESZ_S10_S11_S12_S16_S17_S18_S1B_S1C_jS1D_jS1E_S1E_jjS1G_bEUljE0_EEESZ_S10_S11_S18_S1C_S1E_T6_T7_T9_mT8_S1G_bDpT10_ENKUlT_T0_E_clISt17integral_constantIbLb0EES1T_IbLb1EEEEDaS1P_S1Q_EUlS1P_E_NS1_11comp_targetILNS1_3genE4ELNS1_11target_archE910ELNS1_3gpuE8ELNS1_3repE0EEENS1_30default_config_static_selectorELNS0_4arch9wavefront6targetE1EEEvS12_,@function
_ZN7rocprim17ROCPRIM_400000_NS6detail17trampoline_kernelINS0_13select_configILj256ELj13ELNS0_17block_load_methodE3ELS4_3ELS4_3ELNS0_20block_scan_algorithmE0ELj4294967295EEENS1_25partition_config_selectorILNS1_17partition_subalgoE4EjNS0_10empty_typeEbEEZZNS1_14partition_implILS8_4ELb0ES6_15HIP_vector_typeIjLj2EENS0_17counting_iteratorIjlEEPS9_SG_NS0_5tupleIJPjSI_NS0_16reverse_iteratorISI_EEEEENSH_IJSG_SG_SG_EEES9_SI_JZNS1_25segmented_radix_sort_implINS0_14default_configELb0EPKaPaPKlPlN2at6native12_GLOBAL__N_18offset_tEEE10hipError_tPvRmT1_PNSt15iterator_traitsIS12_E10value_typeET2_T3_PNS13_IS18_E10value_typeET4_jRbjT5_S1E_jjP12ihipStream_tbEUljE_ZNSN_ISO_Lb0ESQ_SR_ST_SU_SY_EESZ_S10_S11_S12_S16_S17_S18_S1B_S1C_jS1D_jS1E_S1E_jjS1G_bEUljE0_EEESZ_S10_S11_S18_S1C_S1E_T6_T7_T9_mT8_S1G_bDpT10_ENKUlT_T0_E_clISt17integral_constantIbLb0EES1T_IbLb1EEEEDaS1P_S1Q_EUlS1P_E_NS1_11comp_targetILNS1_3genE4ELNS1_11target_archE910ELNS1_3gpuE8ELNS1_3repE0EEENS1_30default_config_static_selectorELNS0_4arch9wavefront6targetE1EEEvS12_: ; @_ZN7rocprim17ROCPRIM_400000_NS6detail17trampoline_kernelINS0_13select_configILj256ELj13ELNS0_17block_load_methodE3ELS4_3ELS4_3ELNS0_20block_scan_algorithmE0ELj4294967295EEENS1_25partition_config_selectorILNS1_17partition_subalgoE4EjNS0_10empty_typeEbEEZZNS1_14partition_implILS8_4ELb0ES6_15HIP_vector_typeIjLj2EENS0_17counting_iteratorIjlEEPS9_SG_NS0_5tupleIJPjSI_NS0_16reverse_iteratorISI_EEEEENSH_IJSG_SG_SG_EEES9_SI_JZNS1_25segmented_radix_sort_implINS0_14default_configELb0EPKaPaPKlPlN2at6native12_GLOBAL__N_18offset_tEEE10hipError_tPvRmT1_PNSt15iterator_traitsIS12_E10value_typeET2_T3_PNS13_IS18_E10value_typeET4_jRbjT5_S1E_jjP12ihipStream_tbEUljE_ZNSN_ISO_Lb0ESQ_SR_ST_SU_SY_EESZ_S10_S11_S12_S16_S17_S18_S1B_S1C_jS1D_jS1E_S1E_jjS1G_bEUljE0_EEESZ_S10_S11_S18_S1C_S1E_T6_T7_T9_mT8_S1G_bDpT10_ENKUlT_T0_E_clISt17integral_constantIbLb0EES1T_IbLb1EEEEDaS1P_S1Q_EUlS1P_E_NS1_11comp_targetILNS1_3genE4ELNS1_11target_archE910ELNS1_3gpuE8ELNS1_3repE0EEENS1_30default_config_static_selectorELNS0_4arch9wavefront6targetE1EEEvS12_
; %bb.0:
	.section	.rodata,"a",@progbits
	.p2align	6, 0x0
	.amdhsa_kernel _ZN7rocprim17ROCPRIM_400000_NS6detail17trampoline_kernelINS0_13select_configILj256ELj13ELNS0_17block_load_methodE3ELS4_3ELS4_3ELNS0_20block_scan_algorithmE0ELj4294967295EEENS1_25partition_config_selectorILNS1_17partition_subalgoE4EjNS0_10empty_typeEbEEZZNS1_14partition_implILS8_4ELb0ES6_15HIP_vector_typeIjLj2EENS0_17counting_iteratorIjlEEPS9_SG_NS0_5tupleIJPjSI_NS0_16reverse_iteratorISI_EEEEENSH_IJSG_SG_SG_EEES9_SI_JZNS1_25segmented_radix_sort_implINS0_14default_configELb0EPKaPaPKlPlN2at6native12_GLOBAL__N_18offset_tEEE10hipError_tPvRmT1_PNSt15iterator_traitsIS12_E10value_typeET2_T3_PNS13_IS18_E10value_typeET4_jRbjT5_S1E_jjP12ihipStream_tbEUljE_ZNSN_ISO_Lb0ESQ_SR_ST_SU_SY_EESZ_S10_S11_S12_S16_S17_S18_S1B_S1C_jS1D_jS1E_S1E_jjS1G_bEUljE0_EEESZ_S10_S11_S18_S1C_S1E_T6_T7_T9_mT8_S1G_bDpT10_ENKUlT_T0_E_clISt17integral_constantIbLb0EES1T_IbLb1EEEEDaS1P_S1Q_EUlS1P_E_NS1_11comp_targetILNS1_3genE4ELNS1_11target_archE910ELNS1_3gpuE8ELNS1_3repE0EEENS1_30default_config_static_selectorELNS0_4arch9wavefront6targetE1EEEvS12_
		.amdhsa_group_segment_fixed_size 0
		.amdhsa_private_segment_fixed_size 0
		.amdhsa_kernarg_size 184
		.amdhsa_user_sgpr_count 6
		.amdhsa_user_sgpr_private_segment_buffer 1
		.amdhsa_user_sgpr_dispatch_ptr 0
		.amdhsa_user_sgpr_queue_ptr 0
		.amdhsa_user_sgpr_kernarg_segment_ptr 1
		.amdhsa_user_sgpr_dispatch_id 0
		.amdhsa_user_sgpr_flat_scratch_init 0
		.amdhsa_user_sgpr_private_segment_size 0
		.amdhsa_uses_dynamic_stack 0
		.amdhsa_system_sgpr_private_segment_wavefront_offset 0
		.amdhsa_system_sgpr_workgroup_id_x 1
		.amdhsa_system_sgpr_workgroup_id_y 0
		.amdhsa_system_sgpr_workgroup_id_z 0
		.amdhsa_system_sgpr_workgroup_info 0
		.amdhsa_system_vgpr_workitem_id 0
		.amdhsa_next_free_vgpr 1
		.amdhsa_next_free_sgpr 0
		.amdhsa_reserve_vcc 0
		.amdhsa_reserve_flat_scratch 0
		.amdhsa_float_round_mode_32 0
		.amdhsa_float_round_mode_16_64 0
		.amdhsa_float_denorm_mode_32 3
		.amdhsa_float_denorm_mode_16_64 3
		.amdhsa_dx10_clamp 1
		.amdhsa_ieee_mode 1
		.amdhsa_fp16_overflow 0
		.amdhsa_exception_fp_ieee_invalid_op 0
		.amdhsa_exception_fp_denorm_src 0
		.amdhsa_exception_fp_ieee_div_zero 0
		.amdhsa_exception_fp_ieee_overflow 0
		.amdhsa_exception_fp_ieee_underflow 0
		.amdhsa_exception_fp_ieee_inexact 0
		.amdhsa_exception_int_div_zero 0
	.end_amdhsa_kernel
	.section	.text._ZN7rocprim17ROCPRIM_400000_NS6detail17trampoline_kernelINS0_13select_configILj256ELj13ELNS0_17block_load_methodE3ELS4_3ELS4_3ELNS0_20block_scan_algorithmE0ELj4294967295EEENS1_25partition_config_selectorILNS1_17partition_subalgoE4EjNS0_10empty_typeEbEEZZNS1_14partition_implILS8_4ELb0ES6_15HIP_vector_typeIjLj2EENS0_17counting_iteratorIjlEEPS9_SG_NS0_5tupleIJPjSI_NS0_16reverse_iteratorISI_EEEEENSH_IJSG_SG_SG_EEES9_SI_JZNS1_25segmented_radix_sort_implINS0_14default_configELb0EPKaPaPKlPlN2at6native12_GLOBAL__N_18offset_tEEE10hipError_tPvRmT1_PNSt15iterator_traitsIS12_E10value_typeET2_T3_PNS13_IS18_E10value_typeET4_jRbjT5_S1E_jjP12ihipStream_tbEUljE_ZNSN_ISO_Lb0ESQ_SR_ST_SU_SY_EESZ_S10_S11_S12_S16_S17_S18_S1B_S1C_jS1D_jS1E_S1E_jjS1G_bEUljE0_EEESZ_S10_S11_S18_S1C_S1E_T6_T7_T9_mT8_S1G_bDpT10_ENKUlT_T0_E_clISt17integral_constantIbLb0EES1T_IbLb1EEEEDaS1P_S1Q_EUlS1P_E_NS1_11comp_targetILNS1_3genE4ELNS1_11target_archE910ELNS1_3gpuE8ELNS1_3repE0EEENS1_30default_config_static_selectorELNS0_4arch9wavefront6targetE1EEEvS12_,"axG",@progbits,_ZN7rocprim17ROCPRIM_400000_NS6detail17trampoline_kernelINS0_13select_configILj256ELj13ELNS0_17block_load_methodE3ELS4_3ELS4_3ELNS0_20block_scan_algorithmE0ELj4294967295EEENS1_25partition_config_selectorILNS1_17partition_subalgoE4EjNS0_10empty_typeEbEEZZNS1_14partition_implILS8_4ELb0ES6_15HIP_vector_typeIjLj2EENS0_17counting_iteratorIjlEEPS9_SG_NS0_5tupleIJPjSI_NS0_16reverse_iteratorISI_EEEEENSH_IJSG_SG_SG_EEES9_SI_JZNS1_25segmented_radix_sort_implINS0_14default_configELb0EPKaPaPKlPlN2at6native12_GLOBAL__N_18offset_tEEE10hipError_tPvRmT1_PNSt15iterator_traitsIS12_E10value_typeET2_T3_PNS13_IS18_E10value_typeET4_jRbjT5_S1E_jjP12ihipStream_tbEUljE_ZNSN_ISO_Lb0ESQ_SR_ST_SU_SY_EESZ_S10_S11_S12_S16_S17_S18_S1B_S1C_jS1D_jS1E_S1E_jjS1G_bEUljE0_EEESZ_S10_S11_S18_S1C_S1E_T6_T7_T9_mT8_S1G_bDpT10_ENKUlT_T0_E_clISt17integral_constantIbLb0EES1T_IbLb1EEEEDaS1P_S1Q_EUlS1P_E_NS1_11comp_targetILNS1_3genE4ELNS1_11target_archE910ELNS1_3gpuE8ELNS1_3repE0EEENS1_30default_config_static_selectorELNS0_4arch9wavefront6targetE1EEEvS12_,comdat
.Lfunc_end355:
	.size	_ZN7rocprim17ROCPRIM_400000_NS6detail17trampoline_kernelINS0_13select_configILj256ELj13ELNS0_17block_load_methodE3ELS4_3ELS4_3ELNS0_20block_scan_algorithmE0ELj4294967295EEENS1_25partition_config_selectorILNS1_17partition_subalgoE4EjNS0_10empty_typeEbEEZZNS1_14partition_implILS8_4ELb0ES6_15HIP_vector_typeIjLj2EENS0_17counting_iteratorIjlEEPS9_SG_NS0_5tupleIJPjSI_NS0_16reverse_iteratorISI_EEEEENSH_IJSG_SG_SG_EEES9_SI_JZNS1_25segmented_radix_sort_implINS0_14default_configELb0EPKaPaPKlPlN2at6native12_GLOBAL__N_18offset_tEEE10hipError_tPvRmT1_PNSt15iterator_traitsIS12_E10value_typeET2_T3_PNS13_IS18_E10value_typeET4_jRbjT5_S1E_jjP12ihipStream_tbEUljE_ZNSN_ISO_Lb0ESQ_SR_ST_SU_SY_EESZ_S10_S11_S12_S16_S17_S18_S1B_S1C_jS1D_jS1E_S1E_jjS1G_bEUljE0_EEESZ_S10_S11_S18_S1C_S1E_T6_T7_T9_mT8_S1G_bDpT10_ENKUlT_T0_E_clISt17integral_constantIbLb0EES1T_IbLb1EEEEDaS1P_S1Q_EUlS1P_E_NS1_11comp_targetILNS1_3genE4ELNS1_11target_archE910ELNS1_3gpuE8ELNS1_3repE0EEENS1_30default_config_static_selectorELNS0_4arch9wavefront6targetE1EEEvS12_, .Lfunc_end355-_ZN7rocprim17ROCPRIM_400000_NS6detail17trampoline_kernelINS0_13select_configILj256ELj13ELNS0_17block_load_methodE3ELS4_3ELS4_3ELNS0_20block_scan_algorithmE0ELj4294967295EEENS1_25partition_config_selectorILNS1_17partition_subalgoE4EjNS0_10empty_typeEbEEZZNS1_14partition_implILS8_4ELb0ES6_15HIP_vector_typeIjLj2EENS0_17counting_iteratorIjlEEPS9_SG_NS0_5tupleIJPjSI_NS0_16reverse_iteratorISI_EEEEENSH_IJSG_SG_SG_EEES9_SI_JZNS1_25segmented_radix_sort_implINS0_14default_configELb0EPKaPaPKlPlN2at6native12_GLOBAL__N_18offset_tEEE10hipError_tPvRmT1_PNSt15iterator_traitsIS12_E10value_typeET2_T3_PNS13_IS18_E10value_typeET4_jRbjT5_S1E_jjP12ihipStream_tbEUljE_ZNSN_ISO_Lb0ESQ_SR_ST_SU_SY_EESZ_S10_S11_S12_S16_S17_S18_S1B_S1C_jS1D_jS1E_S1E_jjS1G_bEUljE0_EEESZ_S10_S11_S18_S1C_S1E_T6_T7_T9_mT8_S1G_bDpT10_ENKUlT_T0_E_clISt17integral_constantIbLb0EES1T_IbLb1EEEEDaS1P_S1Q_EUlS1P_E_NS1_11comp_targetILNS1_3genE4ELNS1_11target_archE910ELNS1_3gpuE8ELNS1_3repE0EEENS1_30default_config_static_selectorELNS0_4arch9wavefront6targetE1EEEvS12_
                                        ; -- End function
	.set _ZN7rocprim17ROCPRIM_400000_NS6detail17trampoline_kernelINS0_13select_configILj256ELj13ELNS0_17block_load_methodE3ELS4_3ELS4_3ELNS0_20block_scan_algorithmE0ELj4294967295EEENS1_25partition_config_selectorILNS1_17partition_subalgoE4EjNS0_10empty_typeEbEEZZNS1_14partition_implILS8_4ELb0ES6_15HIP_vector_typeIjLj2EENS0_17counting_iteratorIjlEEPS9_SG_NS0_5tupleIJPjSI_NS0_16reverse_iteratorISI_EEEEENSH_IJSG_SG_SG_EEES9_SI_JZNS1_25segmented_radix_sort_implINS0_14default_configELb0EPKaPaPKlPlN2at6native12_GLOBAL__N_18offset_tEEE10hipError_tPvRmT1_PNSt15iterator_traitsIS12_E10value_typeET2_T3_PNS13_IS18_E10value_typeET4_jRbjT5_S1E_jjP12ihipStream_tbEUljE_ZNSN_ISO_Lb0ESQ_SR_ST_SU_SY_EESZ_S10_S11_S12_S16_S17_S18_S1B_S1C_jS1D_jS1E_S1E_jjS1G_bEUljE0_EEESZ_S10_S11_S18_S1C_S1E_T6_T7_T9_mT8_S1G_bDpT10_ENKUlT_T0_E_clISt17integral_constantIbLb0EES1T_IbLb1EEEEDaS1P_S1Q_EUlS1P_E_NS1_11comp_targetILNS1_3genE4ELNS1_11target_archE910ELNS1_3gpuE8ELNS1_3repE0EEENS1_30default_config_static_selectorELNS0_4arch9wavefront6targetE1EEEvS12_.num_vgpr, 0
	.set _ZN7rocprim17ROCPRIM_400000_NS6detail17trampoline_kernelINS0_13select_configILj256ELj13ELNS0_17block_load_methodE3ELS4_3ELS4_3ELNS0_20block_scan_algorithmE0ELj4294967295EEENS1_25partition_config_selectorILNS1_17partition_subalgoE4EjNS0_10empty_typeEbEEZZNS1_14partition_implILS8_4ELb0ES6_15HIP_vector_typeIjLj2EENS0_17counting_iteratorIjlEEPS9_SG_NS0_5tupleIJPjSI_NS0_16reverse_iteratorISI_EEEEENSH_IJSG_SG_SG_EEES9_SI_JZNS1_25segmented_radix_sort_implINS0_14default_configELb0EPKaPaPKlPlN2at6native12_GLOBAL__N_18offset_tEEE10hipError_tPvRmT1_PNSt15iterator_traitsIS12_E10value_typeET2_T3_PNS13_IS18_E10value_typeET4_jRbjT5_S1E_jjP12ihipStream_tbEUljE_ZNSN_ISO_Lb0ESQ_SR_ST_SU_SY_EESZ_S10_S11_S12_S16_S17_S18_S1B_S1C_jS1D_jS1E_S1E_jjS1G_bEUljE0_EEESZ_S10_S11_S18_S1C_S1E_T6_T7_T9_mT8_S1G_bDpT10_ENKUlT_T0_E_clISt17integral_constantIbLb0EES1T_IbLb1EEEEDaS1P_S1Q_EUlS1P_E_NS1_11comp_targetILNS1_3genE4ELNS1_11target_archE910ELNS1_3gpuE8ELNS1_3repE0EEENS1_30default_config_static_selectorELNS0_4arch9wavefront6targetE1EEEvS12_.num_agpr, 0
	.set _ZN7rocprim17ROCPRIM_400000_NS6detail17trampoline_kernelINS0_13select_configILj256ELj13ELNS0_17block_load_methodE3ELS4_3ELS4_3ELNS0_20block_scan_algorithmE0ELj4294967295EEENS1_25partition_config_selectorILNS1_17partition_subalgoE4EjNS0_10empty_typeEbEEZZNS1_14partition_implILS8_4ELb0ES6_15HIP_vector_typeIjLj2EENS0_17counting_iteratorIjlEEPS9_SG_NS0_5tupleIJPjSI_NS0_16reverse_iteratorISI_EEEEENSH_IJSG_SG_SG_EEES9_SI_JZNS1_25segmented_radix_sort_implINS0_14default_configELb0EPKaPaPKlPlN2at6native12_GLOBAL__N_18offset_tEEE10hipError_tPvRmT1_PNSt15iterator_traitsIS12_E10value_typeET2_T3_PNS13_IS18_E10value_typeET4_jRbjT5_S1E_jjP12ihipStream_tbEUljE_ZNSN_ISO_Lb0ESQ_SR_ST_SU_SY_EESZ_S10_S11_S12_S16_S17_S18_S1B_S1C_jS1D_jS1E_S1E_jjS1G_bEUljE0_EEESZ_S10_S11_S18_S1C_S1E_T6_T7_T9_mT8_S1G_bDpT10_ENKUlT_T0_E_clISt17integral_constantIbLb0EES1T_IbLb1EEEEDaS1P_S1Q_EUlS1P_E_NS1_11comp_targetILNS1_3genE4ELNS1_11target_archE910ELNS1_3gpuE8ELNS1_3repE0EEENS1_30default_config_static_selectorELNS0_4arch9wavefront6targetE1EEEvS12_.numbered_sgpr, 0
	.set _ZN7rocprim17ROCPRIM_400000_NS6detail17trampoline_kernelINS0_13select_configILj256ELj13ELNS0_17block_load_methodE3ELS4_3ELS4_3ELNS0_20block_scan_algorithmE0ELj4294967295EEENS1_25partition_config_selectorILNS1_17partition_subalgoE4EjNS0_10empty_typeEbEEZZNS1_14partition_implILS8_4ELb0ES6_15HIP_vector_typeIjLj2EENS0_17counting_iteratorIjlEEPS9_SG_NS0_5tupleIJPjSI_NS0_16reverse_iteratorISI_EEEEENSH_IJSG_SG_SG_EEES9_SI_JZNS1_25segmented_radix_sort_implINS0_14default_configELb0EPKaPaPKlPlN2at6native12_GLOBAL__N_18offset_tEEE10hipError_tPvRmT1_PNSt15iterator_traitsIS12_E10value_typeET2_T3_PNS13_IS18_E10value_typeET4_jRbjT5_S1E_jjP12ihipStream_tbEUljE_ZNSN_ISO_Lb0ESQ_SR_ST_SU_SY_EESZ_S10_S11_S12_S16_S17_S18_S1B_S1C_jS1D_jS1E_S1E_jjS1G_bEUljE0_EEESZ_S10_S11_S18_S1C_S1E_T6_T7_T9_mT8_S1G_bDpT10_ENKUlT_T0_E_clISt17integral_constantIbLb0EES1T_IbLb1EEEEDaS1P_S1Q_EUlS1P_E_NS1_11comp_targetILNS1_3genE4ELNS1_11target_archE910ELNS1_3gpuE8ELNS1_3repE0EEENS1_30default_config_static_selectorELNS0_4arch9wavefront6targetE1EEEvS12_.num_named_barrier, 0
	.set _ZN7rocprim17ROCPRIM_400000_NS6detail17trampoline_kernelINS0_13select_configILj256ELj13ELNS0_17block_load_methodE3ELS4_3ELS4_3ELNS0_20block_scan_algorithmE0ELj4294967295EEENS1_25partition_config_selectorILNS1_17partition_subalgoE4EjNS0_10empty_typeEbEEZZNS1_14partition_implILS8_4ELb0ES6_15HIP_vector_typeIjLj2EENS0_17counting_iteratorIjlEEPS9_SG_NS0_5tupleIJPjSI_NS0_16reverse_iteratorISI_EEEEENSH_IJSG_SG_SG_EEES9_SI_JZNS1_25segmented_radix_sort_implINS0_14default_configELb0EPKaPaPKlPlN2at6native12_GLOBAL__N_18offset_tEEE10hipError_tPvRmT1_PNSt15iterator_traitsIS12_E10value_typeET2_T3_PNS13_IS18_E10value_typeET4_jRbjT5_S1E_jjP12ihipStream_tbEUljE_ZNSN_ISO_Lb0ESQ_SR_ST_SU_SY_EESZ_S10_S11_S12_S16_S17_S18_S1B_S1C_jS1D_jS1E_S1E_jjS1G_bEUljE0_EEESZ_S10_S11_S18_S1C_S1E_T6_T7_T9_mT8_S1G_bDpT10_ENKUlT_T0_E_clISt17integral_constantIbLb0EES1T_IbLb1EEEEDaS1P_S1Q_EUlS1P_E_NS1_11comp_targetILNS1_3genE4ELNS1_11target_archE910ELNS1_3gpuE8ELNS1_3repE0EEENS1_30default_config_static_selectorELNS0_4arch9wavefront6targetE1EEEvS12_.private_seg_size, 0
	.set _ZN7rocprim17ROCPRIM_400000_NS6detail17trampoline_kernelINS0_13select_configILj256ELj13ELNS0_17block_load_methodE3ELS4_3ELS4_3ELNS0_20block_scan_algorithmE0ELj4294967295EEENS1_25partition_config_selectorILNS1_17partition_subalgoE4EjNS0_10empty_typeEbEEZZNS1_14partition_implILS8_4ELb0ES6_15HIP_vector_typeIjLj2EENS0_17counting_iteratorIjlEEPS9_SG_NS0_5tupleIJPjSI_NS0_16reverse_iteratorISI_EEEEENSH_IJSG_SG_SG_EEES9_SI_JZNS1_25segmented_radix_sort_implINS0_14default_configELb0EPKaPaPKlPlN2at6native12_GLOBAL__N_18offset_tEEE10hipError_tPvRmT1_PNSt15iterator_traitsIS12_E10value_typeET2_T3_PNS13_IS18_E10value_typeET4_jRbjT5_S1E_jjP12ihipStream_tbEUljE_ZNSN_ISO_Lb0ESQ_SR_ST_SU_SY_EESZ_S10_S11_S12_S16_S17_S18_S1B_S1C_jS1D_jS1E_S1E_jjS1G_bEUljE0_EEESZ_S10_S11_S18_S1C_S1E_T6_T7_T9_mT8_S1G_bDpT10_ENKUlT_T0_E_clISt17integral_constantIbLb0EES1T_IbLb1EEEEDaS1P_S1Q_EUlS1P_E_NS1_11comp_targetILNS1_3genE4ELNS1_11target_archE910ELNS1_3gpuE8ELNS1_3repE0EEENS1_30default_config_static_selectorELNS0_4arch9wavefront6targetE1EEEvS12_.uses_vcc, 0
	.set _ZN7rocprim17ROCPRIM_400000_NS6detail17trampoline_kernelINS0_13select_configILj256ELj13ELNS0_17block_load_methodE3ELS4_3ELS4_3ELNS0_20block_scan_algorithmE0ELj4294967295EEENS1_25partition_config_selectorILNS1_17partition_subalgoE4EjNS0_10empty_typeEbEEZZNS1_14partition_implILS8_4ELb0ES6_15HIP_vector_typeIjLj2EENS0_17counting_iteratorIjlEEPS9_SG_NS0_5tupleIJPjSI_NS0_16reverse_iteratorISI_EEEEENSH_IJSG_SG_SG_EEES9_SI_JZNS1_25segmented_radix_sort_implINS0_14default_configELb0EPKaPaPKlPlN2at6native12_GLOBAL__N_18offset_tEEE10hipError_tPvRmT1_PNSt15iterator_traitsIS12_E10value_typeET2_T3_PNS13_IS18_E10value_typeET4_jRbjT5_S1E_jjP12ihipStream_tbEUljE_ZNSN_ISO_Lb0ESQ_SR_ST_SU_SY_EESZ_S10_S11_S12_S16_S17_S18_S1B_S1C_jS1D_jS1E_S1E_jjS1G_bEUljE0_EEESZ_S10_S11_S18_S1C_S1E_T6_T7_T9_mT8_S1G_bDpT10_ENKUlT_T0_E_clISt17integral_constantIbLb0EES1T_IbLb1EEEEDaS1P_S1Q_EUlS1P_E_NS1_11comp_targetILNS1_3genE4ELNS1_11target_archE910ELNS1_3gpuE8ELNS1_3repE0EEENS1_30default_config_static_selectorELNS0_4arch9wavefront6targetE1EEEvS12_.uses_flat_scratch, 0
	.set _ZN7rocprim17ROCPRIM_400000_NS6detail17trampoline_kernelINS0_13select_configILj256ELj13ELNS0_17block_load_methodE3ELS4_3ELS4_3ELNS0_20block_scan_algorithmE0ELj4294967295EEENS1_25partition_config_selectorILNS1_17partition_subalgoE4EjNS0_10empty_typeEbEEZZNS1_14partition_implILS8_4ELb0ES6_15HIP_vector_typeIjLj2EENS0_17counting_iteratorIjlEEPS9_SG_NS0_5tupleIJPjSI_NS0_16reverse_iteratorISI_EEEEENSH_IJSG_SG_SG_EEES9_SI_JZNS1_25segmented_radix_sort_implINS0_14default_configELb0EPKaPaPKlPlN2at6native12_GLOBAL__N_18offset_tEEE10hipError_tPvRmT1_PNSt15iterator_traitsIS12_E10value_typeET2_T3_PNS13_IS18_E10value_typeET4_jRbjT5_S1E_jjP12ihipStream_tbEUljE_ZNSN_ISO_Lb0ESQ_SR_ST_SU_SY_EESZ_S10_S11_S12_S16_S17_S18_S1B_S1C_jS1D_jS1E_S1E_jjS1G_bEUljE0_EEESZ_S10_S11_S18_S1C_S1E_T6_T7_T9_mT8_S1G_bDpT10_ENKUlT_T0_E_clISt17integral_constantIbLb0EES1T_IbLb1EEEEDaS1P_S1Q_EUlS1P_E_NS1_11comp_targetILNS1_3genE4ELNS1_11target_archE910ELNS1_3gpuE8ELNS1_3repE0EEENS1_30default_config_static_selectorELNS0_4arch9wavefront6targetE1EEEvS12_.has_dyn_sized_stack, 0
	.set _ZN7rocprim17ROCPRIM_400000_NS6detail17trampoline_kernelINS0_13select_configILj256ELj13ELNS0_17block_load_methodE3ELS4_3ELS4_3ELNS0_20block_scan_algorithmE0ELj4294967295EEENS1_25partition_config_selectorILNS1_17partition_subalgoE4EjNS0_10empty_typeEbEEZZNS1_14partition_implILS8_4ELb0ES6_15HIP_vector_typeIjLj2EENS0_17counting_iteratorIjlEEPS9_SG_NS0_5tupleIJPjSI_NS0_16reverse_iteratorISI_EEEEENSH_IJSG_SG_SG_EEES9_SI_JZNS1_25segmented_radix_sort_implINS0_14default_configELb0EPKaPaPKlPlN2at6native12_GLOBAL__N_18offset_tEEE10hipError_tPvRmT1_PNSt15iterator_traitsIS12_E10value_typeET2_T3_PNS13_IS18_E10value_typeET4_jRbjT5_S1E_jjP12ihipStream_tbEUljE_ZNSN_ISO_Lb0ESQ_SR_ST_SU_SY_EESZ_S10_S11_S12_S16_S17_S18_S1B_S1C_jS1D_jS1E_S1E_jjS1G_bEUljE0_EEESZ_S10_S11_S18_S1C_S1E_T6_T7_T9_mT8_S1G_bDpT10_ENKUlT_T0_E_clISt17integral_constantIbLb0EES1T_IbLb1EEEEDaS1P_S1Q_EUlS1P_E_NS1_11comp_targetILNS1_3genE4ELNS1_11target_archE910ELNS1_3gpuE8ELNS1_3repE0EEENS1_30default_config_static_selectorELNS0_4arch9wavefront6targetE1EEEvS12_.has_recursion, 0
	.set _ZN7rocprim17ROCPRIM_400000_NS6detail17trampoline_kernelINS0_13select_configILj256ELj13ELNS0_17block_load_methodE3ELS4_3ELS4_3ELNS0_20block_scan_algorithmE0ELj4294967295EEENS1_25partition_config_selectorILNS1_17partition_subalgoE4EjNS0_10empty_typeEbEEZZNS1_14partition_implILS8_4ELb0ES6_15HIP_vector_typeIjLj2EENS0_17counting_iteratorIjlEEPS9_SG_NS0_5tupleIJPjSI_NS0_16reverse_iteratorISI_EEEEENSH_IJSG_SG_SG_EEES9_SI_JZNS1_25segmented_radix_sort_implINS0_14default_configELb0EPKaPaPKlPlN2at6native12_GLOBAL__N_18offset_tEEE10hipError_tPvRmT1_PNSt15iterator_traitsIS12_E10value_typeET2_T3_PNS13_IS18_E10value_typeET4_jRbjT5_S1E_jjP12ihipStream_tbEUljE_ZNSN_ISO_Lb0ESQ_SR_ST_SU_SY_EESZ_S10_S11_S12_S16_S17_S18_S1B_S1C_jS1D_jS1E_S1E_jjS1G_bEUljE0_EEESZ_S10_S11_S18_S1C_S1E_T6_T7_T9_mT8_S1G_bDpT10_ENKUlT_T0_E_clISt17integral_constantIbLb0EES1T_IbLb1EEEEDaS1P_S1Q_EUlS1P_E_NS1_11comp_targetILNS1_3genE4ELNS1_11target_archE910ELNS1_3gpuE8ELNS1_3repE0EEENS1_30default_config_static_selectorELNS0_4arch9wavefront6targetE1EEEvS12_.has_indirect_call, 0
	.section	.AMDGPU.csdata,"",@progbits
; Kernel info:
; codeLenInByte = 0
; TotalNumSgprs: 4
; NumVgprs: 0
; ScratchSize: 0
; MemoryBound: 0
; FloatMode: 240
; IeeeMode: 1
; LDSByteSize: 0 bytes/workgroup (compile time only)
; SGPRBlocks: 0
; VGPRBlocks: 0
; NumSGPRsForWavesPerEU: 4
; NumVGPRsForWavesPerEU: 1
; Occupancy: 10
; WaveLimiterHint : 0
; COMPUTE_PGM_RSRC2:SCRATCH_EN: 0
; COMPUTE_PGM_RSRC2:USER_SGPR: 6
; COMPUTE_PGM_RSRC2:TRAP_HANDLER: 0
; COMPUTE_PGM_RSRC2:TGID_X_EN: 1
; COMPUTE_PGM_RSRC2:TGID_Y_EN: 0
; COMPUTE_PGM_RSRC2:TGID_Z_EN: 0
; COMPUTE_PGM_RSRC2:TIDIG_COMP_CNT: 0
	.section	.text._ZN7rocprim17ROCPRIM_400000_NS6detail17trampoline_kernelINS0_13select_configILj256ELj13ELNS0_17block_load_methodE3ELS4_3ELS4_3ELNS0_20block_scan_algorithmE0ELj4294967295EEENS1_25partition_config_selectorILNS1_17partition_subalgoE4EjNS0_10empty_typeEbEEZZNS1_14partition_implILS8_4ELb0ES6_15HIP_vector_typeIjLj2EENS0_17counting_iteratorIjlEEPS9_SG_NS0_5tupleIJPjSI_NS0_16reverse_iteratorISI_EEEEENSH_IJSG_SG_SG_EEES9_SI_JZNS1_25segmented_radix_sort_implINS0_14default_configELb0EPKaPaPKlPlN2at6native12_GLOBAL__N_18offset_tEEE10hipError_tPvRmT1_PNSt15iterator_traitsIS12_E10value_typeET2_T3_PNS13_IS18_E10value_typeET4_jRbjT5_S1E_jjP12ihipStream_tbEUljE_ZNSN_ISO_Lb0ESQ_SR_ST_SU_SY_EESZ_S10_S11_S12_S16_S17_S18_S1B_S1C_jS1D_jS1E_S1E_jjS1G_bEUljE0_EEESZ_S10_S11_S18_S1C_S1E_T6_T7_T9_mT8_S1G_bDpT10_ENKUlT_T0_E_clISt17integral_constantIbLb0EES1T_IbLb1EEEEDaS1P_S1Q_EUlS1P_E_NS1_11comp_targetILNS1_3genE3ELNS1_11target_archE908ELNS1_3gpuE7ELNS1_3repE0EEENS1_30default_config_static_selectorELNS0_4arch9wavefront6targetE1EEEvS12_,"axG",@progbits,_ZN7rocprim17ROCPRIM_400000_NS6detail17trampoline_kernelINS0_13select_configILj256ELj13ELNS0_17block_load_methodE3ELS4_3ELS4_3ELNS0_20block_scan_algorithmE0ELj4294967295EEENS1_25partition_config_selectorILNS1_17partition_subalgoE4EjNS0_10empty_typeEbEEZZNS1_14partition_implILS8_4ELb0ES6_15HIP_vector_typeIjLj2EENS0_17counting_iteratorIjlEEPS9_SG_NS0_5tupleIJPjSI_NS0_16reverse_iteratorISI_EEEEENSH_IJSG_SG_SG_EEES9_SI_JZNS1_25segmented_radix_sort_implINS0_14default_configELb0EPKaPaPKlPlN2at6native12_GLOBAL__N_18offset_tEEE10hipError_tPvRmT1_PNSt15iterator_traitsIS12_E10value_typeET2_T3_PNS13_IS18_E10value_typeET4_jRbjT5_S1E_jjP12ihipStream_tbEUljE_ZNSN_ISO_Lb0ESQ_SR_ST_SU_SY_EESZ_S10_S11_S12_S16_S17_S18_S1B_S1C_jS1D_jS1E_S1E_jjS1G_bEUljE0_EEESZ_S10_S11_S18_S1C_S1E_T6_T7_T9_mT8_S1G_bDpT10_ENKUlT_T0_E_clISt17integral_constantIbLb0EES1T_IbLb1EEEEDaS1P_S1Q_EUlS1P_E_NS1_11comp_targetILNS1_3genE3ELNS1_11target_archE908ELNS1_3gpuE7ELNS1_3repE0EEENS1_30default_config_static_selectorELNS0_4arch9wavefront6targetE1EEEvS12_,comdat
	.globl	_ZN7rocprim17ROCPRIM_400000_NS6detail17trampoline_kernelINS0_13select_configILj256ELj13ELNS0_17block_load_methodE3ELS4_3ELS4_3ELNS0_20block_scan_algorithmE0ELj4294967295EEENS1_25partition_config_selectorILNS1_17partition_subalgoE4EjNS0_10empty_typeEbEEZZNS1_14partition_implILS8_4ELb0ES6_15HIP_vector_typeIjLj2EENS0_17counting_iteratorIjlEEPS9_SG_NS0_5tupleIJPjSI_NS0_16reverse_iteratorISI_EEEEENSH_IJSG_SG_SG_EEES9_SI_JZNS1_25segmented_radix_sort_implINS0_14default_configELb0EPKaPaPKlPlN2at6native12_GLOBAL__N_18offset_tEEE10hipError_tPvRmT1_PNSt15iterator_traitsIS12_E10value_typeET2_T3_PNS13_IS18_E10value_typeET4_jRbjT5_S1E_jjP12ihipStream_tbEUljE_ZNSN_ISO_Lb0ESQ_SR_ST_SU_SY_EESZ_S10_S11_S12_S16_S17_S18_S1B_S1C_jS1D_jS1E_S1E_jjS1G_bEUljE0_EEESZ_S10_S11_S18_S1C_S1E_T6_T7_T9_mT8_S1G_bDpT10_ENKUlT_T0_E_clISt17integral_constantIbLb0EES1T_IbLb1EEEEDaS1P_S1Q_EUlS1P_E_NS1_11comp_targetILNS1_3genE3ELNS1_11target_archE908ELNS1_3gpuE7ELNS1_3repE0EEENS1_30default_config_static_selectorELNS0_4arch9wavefront6targetE1EEEvS12_ ; -- Begin function _ZN7rocprim17ROCPRIM_400000_NS6detail17trampoline_kernelINS0_13select_configILj256ELj13ELNS0_17block_load_methodE3ELS4_3ELS4_3ELNS0_20block_scan_algorithmE0ELj4294967295EEENS1_25partition_config_selectorILNS1_17partition_subalgoE4EjNS0_10empty_typeEbEEZZNS1_14partition_implILS8_4ELb0ES6_15HIP_vector_typeIjLj2EENS0_17counting_iteratorIjlEEPS9_SG_NS0_5tupleIJPjSI_NS0_16reverse_iteratorISI_EEEEENSH_IJSG_SG_SG_EEES9_SI_JZNS1_25segmented_radix_sort_implINS0_14default_configELb0EPKaPaPKlPlN2at6native12_GLOBAL__N_18offset_tEEE10hipError_tPvRmT1_PNSt15iterator_traitsIS12_E10value_typeET2_T3_PNS13_IS18_E10value_typeET4_jRbjT5_S1E_jjP12ihipStream_tbEUljE_ZNSN_ISO_Lb0ESQ_SR_ST_SU_SY_EESZ_S10_S11_S12_S16_S17_S18_S1B_S1C_jS1D_jS1E_S1E_jjS1G_bEUljE0_EEESZ_S10_S11_S18_S1C_S1E_T6_T7_T9_mT8_S1G_bDpT10_ENKUlT_T0_E_clISt17integral_constantIbLb0EES1T_IbLb1EEEEDaS1P_S1Q_EUlS1P_E_NS1_11comp_targetILNS1_3genE3ELNS1_11target_archE908ELNS1_3gpuE7ELNS1_3repE0EEENS1_30default_config_static_selectorELNS0_4arch9wavefront6targetE1EEEvS12_
	.p2align	8
	.type	_ZN7rocprim17ROCPRIM_400000_NS6detail17trampoline_kernelINS0_13select_configILj256ELj13ELNS0_17block_load_methodE3ELS4_3ELS4_3ELNS0_20block_scan_algorithmE0ELj4294967295EEENS1_25partition_config_selectorILNS1_17partition_subalgoE4EjNS0_10empty_typeEbEEZZNS1_14partition_implILS8_4ELb0ES6_15HIP_vector_typeIjLj2EENS0_17counting_iteratorIjlEEPS9_SG_NS0_5tupleIJPjSI_NS0_16reverse_iteratorISI_EEEEENSH_IJSG_SG_SG_EEES9_SI_JZNS1_25segmented_radix_sort_implINS0_14default_configELb0EPKaPaPKlPlN2at6native12_GLOBAL__N_18offset_tEEE10hipError_tPvRmT1_PNSt15iterator_traitsIS12_E10value_typeET2_T3_PNS13_IS18_E10value_typeET4_jRbjT5_S1E_jjP12ihipStream_tbEUljE_ZNSN_ISO_Lb0ESQ_SR_ST_SU_SY_EESZ_S10_S11_S12_S16_S17_S18_S1B_S1C_jS1D_jS1E_S1E_jjS1G_bEUljE0_EEESZ_S10_S11_S18_S1C_S1E_T6_T7_T9_mT8_S1G_bDpT10_ENKUlT_T0_E_clISt17integral_constantIbLb0EES1T_IbLb1EEEEDaS1P_S1Q_EUlS1P_E_NS1_11comp_targetILNS1_3genE3ELNS1_11target_archE908ELNS1_3gpuE7ELNS1_3repE0EEENS1_30default_config_static_selectorELNS0_4arch9wavefront6targetE1EEEvS12_,@function
_ZN7rocprim17ROCPRIM_400000_NS6detail17trampoline_kernelINS0_13select_configILj256ELj13ELNS0_17block_load_methodE3ELS4_3ELS4_3ELNS0_20block_scan_algorithmE0ELj4294967295EEENS1_25partition_config_selectorILNS1_17partition_subalgoE4EjNS0_10empty_typeEbEEZZNS1_14partition_implILS8_4ELb0ES6_15HIP_vector_typeIjLj2EENS0_17counting_iteratorIjlEEPS9_SG_NS0_5tupleIJPjSI_NS0_16reverse_iteratorISI_EEEEENSH_IJSG_SG_SG_EEES9_SI_JZNS1_25segmented_radix_sort_implINS0_14default_configELb0EPKaPaPKlPlN2at6native12_GLOBAL__N_18offset_tEEE10hipError_tPvRmT1_PNSt15iterator_traitsIS12_E10value_typeET2_T3_PNS13_IS18_E10value_typeET4_jRbjT5_S1E_jjP12ihipStream_tbEUljE_ZNSN_ISO_Lb0ESQ_SR_ST_SU_SY_EESZ_S10_S11_S12_S16_S17_S18_S1B_S1C_jS1D_jS1E_S1E_jjS1G_bEUljE0_EEESZ_S10_S11_S18_S1C_S1E_T6_T7_T9_mT8_S1G_bDpT10_ENKUlT_T0_E_clISt17integral_constantIbLb0EES1T_IbLb1EEEEDaS1P_S1Q_EUlS1P_E_NS1_11comp_targetILNS1_3genE3ELNS1_11target_archE908ELNS1_3gpuE7ELNS1_3repE0EEENS1_30default_config_static_selectorELNS0_4arch9wavefront6targetE1EEEvS12_: ; @_ZN7rocprim17ROCPRIM_400000_NS6detail17trampoline_kernelINS0_13select_configILj256ELj13ELNS0_17block_load_methodE3ELS4_3ELS4_3ELNS0_20block_scan_algorithmE0ELj4294967295EEENS1_25partition_config_selectorILNS1_17partition_subalgoE4EjNS0_10empty_typeEbEEZZNS1_14partition_implILS8_4ELb0ES6_15HIP_vector_typeIjLj2EENS0_17counting_iteratorIjlEEPS9_SG_NS0_5tupleIJPjSI_NS0_16reverse_iteratorISI_EEEEENSH_IJSG_SG_SG_EEES9_SI_JZNS1_25segmented_radix_sort_implINS0_14default_configELb0EPKaPaPKlPlN2at6native12_GLOBAL__N_18offset_tEEE10hipError_tPvRmT1_PNSt15iterator_traitsIS12_E10value_typeET2_T3_PNS13_IS18_E10value_typeET4_jRbjT5_S1E_jjP12ihipStream_tbEUljE_ZNSN_ISO_Lb0ESQ_SR_ST_SU_SY_EESZ_S10_S11_S12_S16_S17_S18_S1B_S1C_jS1D_jS1E_S1E_jjS1G_bEUljE0_EEESZ_S10_S11_S18_S1C_S1E_T6_T7_T9_mT8_S1G_bDpT10_ENKUlT_T0_E_clISt17integral_constantIbLb0EES1T_IbLb1EEEEDaS1P_S1Q_EUlS1P_E_NS1_11comp_targetILNS1_3genE3ELNS1_11target_archE908ELNS1_3gpuE7ELNS1_3repE0EEENS1_30default_config_static_selectorELNS0_4arch9wavefront6targetE1EEEvS12_
; %bb.0:
	.section	.rodata,"a",@progbits
	.p2align	6, 0x0
	.amdhsa_kernel _ZN7rocprim17ROCPRIM_400000_NS6detail17trampoline_kernelINS0_13select_configILj256ELj13ELNS0_17block_load_methodE3ELS4_3ELS4_3ELNS0_20block_scan_algorithmE0ELj4294967295EEENS1_25partition_config_selectorILNS1_17partition_subalgoE4EjNS0_10empty_typeEbEEZZNS1_14partition_implILS8_4ELb0ES6_15HIP_vector_typeIjLj2EENS0_17counting_iteratorIjlEEPS9_SG_NS0_5tupleIJPjSI_NS0_16reverse_iteratorISI_EEEEENSH_IJSG_SG_SG_EEES9_SI_JZNS1_25segmented_radix_sort_implINS0_14default_configELb0EPKaPaPKlPlN2at6native12_GLOBAL__N_18offset_tEEE10hipError_tPvRmT1_PNSt15iterator_traitsIS12_E10value_typeET2_T3_PNS13_IS18_E10value_typeET4_jRbjT5_S1E_jjP12ihipStream_tbEUljE_ZNSN_ISO_Lb0ESQ_SR_ST_SU_SY_EESZ_S10_S11_S12_S16_S17_S18_S1B_S1C_jS1D_jS1E_S1E_jjS1G_bEUljE0_EEESZ_S10_S11_S18_S1C_S1E_T6_T7_T9_mT8_S1G_bDpT10_ENKUlT_T0_E_clISt17integral_constantIbLb0EES1T_IbLb1EEEEDaS1P_S1Q_EUlS1P_E_NS1_11comp_targetILNS1_3genE3ELNS1_11target_archE908ELNS1_3gpuE7ELNS1_3repE0EEENS1_30default_config_static_selectorELNS0_4arch9wavefront6targetE1EEEvS12_
		.amdhsa_group_segment_fixed_size 0
		.amdhsa_private_segment_fixed_size 0
		.amdhsa_kernarg_size 184
		.amdhsa_user_sgpr_count 6
		.amdhsa_user_sgpr_private_segment_buffer 1
		.amdhsa_user_sgpr_dispatch_ptr 0
		.amdhsa_user_sgpr_queue_ptr 0
		.amdhsa_user_sgpr_kernarg_segment_ptr 1
		.amdhsa_user_sgpr_dispatch_id 0
		.amdhsa_user_sgpr_flat_scratch_init 0
		.amdhsa_user_sgpr_private_segment_size 0
		.amdhsa_uses_dynamic_stack 0
		.amdhsa_system_sgpr_private_segment_wavefront_offset 0
		.amdhsa_system_sgpr_workgroup_id_x 1
		.amdhsa_system_sgpr_workgroup_id_y 0
		.amdhsa_system_sgpr_workgroup_id_z 0
		.amdhsa_system_sgpr_workgroup_info 0
		.amdhsa_system_vgpr_workitem_id 0
		.amdhsa_next_free_vgpr 1
		.amdhsa_next_free_sgpr 0
		.amdhsa_reserve_vcc 0
		.amdhsa_reserve_flat_scratch 0
		.amdhsa_float_round_mode_32 0
		.amdhsa_float_round_mode_16_64 0
		.amdhsa_float_denorm_mode_32 3
		.amdhsa_float_denorm_mode_16_64 3
		.amdhsa_dx10_clamp 1
		.amdhsa_ieee_mode 1
		.amdhsa_fp16_overflow 0
		.amdhsa_exception_fp_ieee_invalid_op 0
		.amdhsa_exception_fp_denorm_src 0
		.amdhsa_exception_fp_ieee_div_zero 0
		.amdhsa_exception_fp_ieee_overflow 0
		.amdhsa_exception_fp_ieee_underflow 0
		.amdhsa_exception_fp_ieee_inexact 0
		.amdhsa_exception_int_div_zero 0
	.end_amdhsa_kernel
	.section	.text._ZN7rocprim17ROCPRIM_400000_NS6detail17trampoline_kernelINS0_13select_configILj256ELj13ELNS0_17block_load_methodE3ELS4_3ELS4_3ELNS0_20block_scan_algorithmE0ELj4294967295EEENS1_25partition_config_selectorILNS1_17partition_subalgoE4EjNS0_10empty_typeEbEEZZNS1_14partition_implILS8_4ELb0ES6_15HIP_vector_typeIjLj2EENS0_17counting_iteratorIjlEEPS9_SG_NS0_5tupleIJPjSI_NS0_16reverse_iteratorISI_EEEEENSH_IJSG_SG_SG_EEES9_SI_JZNS1_25segmented_radix_sort_implINS0_14default_configELb0EPKaPaPKlPlN2at6native12_GLOBAL__N_18offset_tEEE10hipError_tPvRmT1_PNSt15iterator_traitsIS12_E10value_typeET2_T3_PNS13_IS18_E10value_typeET4_jRbjT5_S1E_jjP12ihipStream_tbEUljE_ZNSN_ISO_Lb0ESQ_SR_ST_SU_SY_EESZ_S10_S11_S12_S16_S17_S18_S1B_S1C_jS1D_jS1E_S1E_jjS1G_bEUljE0_EEESZ_S10_S11_S18_S1C_S1E_T6_T7_T9_mT8_S1G_bDpT10_ENKUlT_T0_E_clISt17integral_constantIbLb0EES1T_IbLb1EEEEDaS1P_S1Q_EUlS1P_E_NS1_11comp_targetILNS1_3genE3ELNS1_11target_archE908ELNS1_3gpuE7ELNS1_3repE0EEENS1_30default_config_static_selectorELNS0_4arch9wavefront6targetE1EEEvS12_,"axG",@progbits,_ZN7rocprim17ROCPRIM_400000_NS6detail17trampoline_kernelINS0_13select_configILj256ELj13ELNS0_17block_load_methodE3ELS4_3ELS4_3ELNS0_20block_scan_algorithmE0ELj4294967295EEENS1_25partition_config_selectorILNS1_17partition_subalgoE4EjNS0_10empty_typeEbEEZZNS1_14partition_implILS8_4ELb0ES6_15HIP_vector_typeIjLj2EENS0_17counting_iteratorIjlEEPS9_SG_NS0_5tupleIJPjSI_NS0_16reverse_iteratorISI_EEEEENSH_IJSG_SG_SG_EEES9_SI_JZNS1_25segmented_radix_sort_implINS0_14default_configELb0EPKaPaPKlPlN2at6native12_GLOBAL__N_18offset_tEEE10hipError_tPvRmT1_PNSt15iterator_traitsIS12_E10value_typeET2_T3_PNS13_IS18_E10value_typeET4_jRbjT5_S1E_jjP12ihipStream_tbEUljE_ZNSN_ISO_Lb0ESQ_SR_ST_SU_SY_EESZ_S10_S11_S12_S16_S17_S18_S1B_S1C_jS1D_jS1E_S1E_jjS1G_bEUljE0_EEESZ_S10_S11_S18_S1C_S1E_T6_T7_T9_mT8_S1G_bDpT10_ENKUlT_T0_E_clISt17integral_constantIbLb0EES1T_IbLb1EEEEDaS1P_S1Q_EUlS1P_E_NS1_11comp_targetILNS1_3genE3ELNS1_11target_archE908ELNS1_3gpuE7ELNS1_3repE0EEENS1_30default_config_static_selectorELNS0_4arch9wavefront6targetE1EEEvS12_,comdat
.Lfunc_end356:
	.size	_ZN7rocprim17ROCPRIM_400000_NS6detail17trampoline_kernelINS0_13select_configILj256ELj13ELNS0_17block_load_methodE3ELS4_3ELS4_3ELNS0_20block_scan_algorithmE0ELj4294967295EEENS1_25partition_config_selectorILNS1_17partition_subalgoE4EjNS0_10empty_typeEbEEZZNS1_14partition_implILS8_4ELb0ES6_15HIP_vector_typeIjLj2EENS0_17counting_iteratorIjlEEPS9_SG_NS0_5tupleIJPjSI_NS0_16reverse_iteratorISI_EEEEENSH_IJSG_SG_SG_EEES9_SI_JZNS1_25segmented_radix_sort_implINS0_14default_configELb0EPKaPaPKlPlN2at6native12_GLOBAL__N_18offset_tEEE10hipError_tPvRmT1_PNSt15iterator_traitsIS12_E10value_typeET2_T3_PNS13_IS18_E10value_typeET4_jRbjT5_S1E_jjP12ihipStream_tbEUljE_ZNSN_ISO_Lb0ESQ_SR_ST_SU_SY_EESZ_S10_S11_S12_S16_S17_S18_S1B_S1C_jS1D_jS1E_S1E_jjS1G_bEUljE0_EEESZ_S10_S11_S18_S1C_S1E_T6_T7_T9_mT8_S1G_bDpT10_ENKUlT_T0_E_clISt17integral_constantIbLb0EES1T_IbLb1EEEEDaS1P_S1Q_EUlS1P_E_NS1_11comp_targetILNS1_3genE3ELNS1_11target_archE908ELNS1_3gpuE7ELNS1_3repE0EEENS1_30default_config_static_selectorELNS0_4arch9wavefront6targetE1EEEvS12_, .Lfunc_end356-_ZN7rocprim17ROCPRIM_400000_NS6detail17trampoline_kernelINS0_13select_configILj256ELj13ELNS0_17block_load_methodE3ELS4_3ELS4_3ELNS0_20block_scan_algorithmE0ELj4294967295EEENS1_25partition_config_selectorILNS1_17partition_subalgoE4EjNS0_10empty_typeEbEEZZNS1_14partition_implILS8_4ELb0ES6_15HIP_vector_typeIjLj2EENS0_17counting_iteratorIjlEEPS9_SG_NS0_5tupleIJPjSI_NS0_16reverse_iteratorISI_EEEEENSH_IJSG_SG_SG_EEES9_SI_JZNS1_25segmented_radix_sort_implINS0_14default_configELb0EPKaPaPKlPlN2at6native12_GLOBAL__N_18offset_tEEE10hipError_tPvRmT1_PNSt15iterator_traitsIS12_E10value_typeET2_T3_PNS13_IS18_E10value_typeET4_jRbjT5_S1E_jjP12ihipStream_tbEUljE_ZNSN_ISO_Lb0ESQ_SR_ST_SU_SY_EESZ_S10_S11_S12_S16_S17_S18_S1B_S1C_jS1D_jS1E_S1E_jjS1G_bEUljE0_EEESZ_S10_S11_S18_S1C_S1E_T6_T7_T9_mT8_S1G_bDpT10_ENKUlT_T0_E_clISt17integral_constantIbLb0EES1T_IbLb1EEEEDaS1P_S1Q_EUlS1P_E_NS1_11comp_targetILNS1_3genE3ELNS1_11target_archE908ELNS1_3gpuE7ELNS1_3repE0EEENS1_30default_config_static_selectorELNS0_4arch9wavefront6targetE1EEEvS12_
                                        ; -- End function
	.set _ZN7rocprim17ROCPRIM_400000_NS6detail17trampoline_kernelINS0_13select_configILj256ELj13ELNS0_17block_load_methodE3ELS4_3ELS4_3ELNS0_20block_scan_algorithmE0ELj4294967295EEENS1_25partition_config_selectorILNS1_17partition_subalgoE4EjNS0_10empty_typeEbEEZZNS1_14partition_implILS8_4ELb0ES6_15HIP_vector_typeIjLj2EENS0_17counting_iteratorIjlEEPS9_SG_NS0_5tupleIJPjSI_NS0_16reverse_iteratorISI_EEEEENSH_IJSG_SG_SG_EEES9_SI_JZNS1_25segmented_radix_sort_implINS0_14default_configELb0EPKaPaPKlPlN2at6native12_GLOBAL__N_18offset_tEEE10hipError_tPvRmT1_PNSt15iterator_traitsIS12_E10value_typeET2_T3_PNS13_IS18_E10value_typeET4_jRbjT5_S1E_jjP12ihipStream_tbEUljE_ZNSN_ISO_Lb0ESQ_SR_ST_SU_SY_EESZ_S10_S11_S12_S16_S17_S18_S1B_S1C_jS1D_jS1E_S1E_jjS1G_bEUljE0_EEESZ_S10_S11_S18_S1C_S1E_T6_T7_T9_mT8_S1G_bDpT10_ENKUlT_T0_E_clISt17integral_constantIbLb0EES1T_IbLb1EEEEDaS1P_S1Q_EUlS1P_E_NS1_11comp_targetILNS1_3genE3ELNS1_11target_archE908ELNS1_3gpuE7ELNS1_3repE0EEENS1_30default_config_static_selectorELNS0_4arch9wavefront6targetE1EEEvS12_.num_vgpr, 0
	.set _ZN7rocprim17ROCPRIM_400000_NS6detail17trampoline_kernelINS0_13select_configILj256ELj13ELNS0_17block_load_methodE3ELS4_3ELS4_3ELNS0_20block_scan_algorithmE0ELj4294967295EEENS1_25partition_config_selectorILNS1_17partition_subalgoE4EjNS0_10empty_typeEbEEZZNS1_14partition_implILS8_4ELb0ES6_15HIP_vector_typeIjLj2EENS0_17counting_iteratorIjlEEPS9_SG_NS0_5tupleIJPjSI_NS0_16reverse_iteratorISI_EEEEENSH_IJSG_SG_SG_EEES9_SI_JZNS1_25segmented_radix_sort_implINS0_14default_configELb0EPKaPaPKlPlN2at6native12_GLOBAL__N_18offset_tEEE10hipError_tPvRmT1_PNSt15iterator_traitsIS12_E10value_typeET2_T3_PNS13_IS18_E10value_typeET4_jRbjT5_S1E_jjP12ihipStream_tbEUljE_ZNSN_ISO_Lb0ESQ_SR_ST_SU_SY_EESZ_S10_S11_S12_S16_S17_S18_S1B_S1C_jS1D_jS1E_S1E_jjS1G_bEUljE0_EEESZ_S10_S11_S18_S1C_S1E_T6_T7_T9_mT8_S1G_bDpT10_ENKUlT_T0_E_clISt17integral_constantIbLb0EES1T_IbLb1EEEEDaS1P_S1Q_EUlS1P_E_NS1_11comp_targetILNS1_3genE3ELNS1_11target_archE908ELNS1_3gpuE7ELNS1_3repE0EEENS1_30default_config_static_selectorELNS0_4arch9wavefront6targetE1EEEvS12_.num_agpr, 0
	.set _ZN7rocprim17ROCPRIM_400000_NS6detail17trampoline_kernelINS0_13select_configILj256ELj13ELNS0_17block_load_methodE3ELS4_3ELS4_3ELNS0_20block_scan_algorithmE0ELj4294967295EEENS1_25partition_config_selectorILNS1_17partition_subalgoE4EjNS0_10empty_typeEbEEZZNS1_14partition_implILS8_4ELb0ES6_15HIP_vector_typeIjLj2EENS0_17counting_iteratorIjlEEPS9_SG_NS0_5tupleIJPjSI_NS0_16reverse_iteratorISI_EEEEENSH_IJSG_SG_SG_EEES9_SI_JZNS1_25segmented_radix_sort_implINS0_14default_configELb0EPKaPaPKlPlN2at6native12_GLOBAL__N_18offset_tEEE10hipError_tPvRmT1_PNSt15iterator_traitsIS12_E10value_typeET2_T3_PNS13_IS18_E10value_typeET4_jRbjT5_S1E_jjP12ihipStream_tbEUljE_ZNSN_ISO_Lb0ESQ_SR_ST_SU_SY_EESZ_S10_S11_S12_S16_S17_S18_S1B_S1C_jS1D_jS1E_S1E_jjS1G_bEUljE0_EEESZ_S10_S11_S18_S1C_S1E_T6_T7_T9_mT8_S1G_bDpT10_ENKUlT_T0_E_clISt17integral_constantIbLb0EES1T_IbLb1EEEEDaS1P_S1Q_EUlS1P_E_NS1_11comp_targetILNS1_3genE3ELNS1_11target_archE908ELNS1_3gpuE7ELNS1_3repE0EEENS1_30default_config_static_selectorELNS0_4arch9wavefront6targetE1EEEvS12_.numbered_sgpr, 0
	.set _ZN7rocprim17ROCPRIM_400000_NS6detail17trampoline_kernelINS0_13select_configILj256ELj13ELNS0_17block_load_methodE3ELS4_3ELS4_3ELNS0_20block_scan_algorithmE0ELj4294967295EEENS1_25partition_config_selectorILNS1_17partition_subalgoE4EjNS0_10empty_typeEbEEZZNS1_14partition_implILS8_4ELb0ES6_15HIP_vector_typeIjLj2EENS0_17counting_iteratorIjlEEPS9_SG_NS0_5tupleIJPjSI_NS0_16reverse_iteratorISI_EEEEENSH_IJSG_SG_SG_EEES9_SI_JZNS1_25segmented_radix_sort_implINS0_14default_configELb0EPKaPaPKlPlN2at6native12_GLOBAL__N_18offset_tEEE10hipError_tPvRmT1_PNSt15iterator_traitsIS12_E10value_typeET2_T3_PNS13_IS18_E10value_typeET4_jRbjT5_S1E_jjP12ihipStream_tbEUljE_ZNSN_ISO_Lb0ESQ_SR_ST_SU_SY_EESZ_S10_S11_S12_S16_S17_S18_S1B_S1C_jS1D_jS1E_S1E_jjS1G_bEUljE0_EEESZ_S10_S11_S18_S1C_S1E_T6_T7_T9_mT8_S1G_bDpT10_ENKUlT_T0_E_clISt17integral_constantIbLb0EES1T_IbLb1EEEEDaS1P_S1Q_EUlS1P_E_NS1_11comp_targetILNS1_3genE3ELNS1_11target_archE908ELNS1_3gpuE7ELNS1_3repE0EEENS1_30default_config_static_selectorELNS0_4arch9wavefront6targetE1EEEvS12_.num_named_barrier, 0
	.set _ZN7rocprim17ROCPRIM_400000_NS6detail17trampoline_kernelINS0_13select_configILj256ELj13ELNS0_17block_load_methodE3ELS4_3ELS4_3ELNS0_20block_scan_algorithmE0ELj4294967295EEENS1_25partition_config_selectorILNS1_17partition_subalgoE4EjNS0_10empty_typeEbEEZZNS1_14partition_implILS8_4ELb0ES6_15HIP_vector_typeIjLj2EENS0_17counting_iteratorIjlEEPS9_SG_NS0_5tupleIJPjSI_NS0_16reverse_iteratorISI_EEEEENSH_IJSG_SG_SG_EEES9_SI_JZNS1_25segmented_radix_sort_implINS0_14default_configELb0EPKaPaPKlPlN2at6native12_GLOBAL__N_18offset_tEEE10hipError_tPvRmT1_PNSt15iterator_traitsIS12_E10value_typeET2_T3_PNS13_IS18_E10value_typeET4_jRbjT5_S1E_jjP12ihipStream_tbEUljE_ZNSN_ISO_Lb0ESQ_SR_ST_SU_SY_EESZ_S10_S11_S12_S16_S17_S18_S1B_S1C_jS1D_jS1E_S1E_jjS1G_bEUljE0_EEESZ_S10_S11_S18_S1C_S1E_T6_T7_T9_mT8_S1G_bDpT10_ENKUlT_T0_E_clISt17integral_constantIbLb0EES1T_IbLb1EEEEDaS1P_S1Q_EUlS1P_E_NS1_11comp_targetILNS1_3genE3ELNS1_11target_archE908ELNS1_3gpuE7ELNS1_3repE0EEENS1_30default_config_static_selectorELNS0_4arch9wavefront6targetE1EEEvS12_.private_seg_size, 0
	.set _ZN7rocprim17ROCPRIM_400000_NS6detail17trampoline_kernelINS0_13select_configILj256ELj13ELNS0_17block_load_methodE3ELS4_3ELS4_3ELNS0_20block_scan_algorithmE0ELj4294967295EEENS1_25partition_config_selectorILNS1_17partition_subalgoE4EjNS0_10empty_typeEbEEZZNS1_14partition_implILS8_4ELb0ES6_15HIP_vector_typeIjLj2EENS0_17counting_iteratorIjlEEPS9_SG_NS0_5tupleIJPjSI_NS0_16reverse_iteratorISI_EEEEENSH_IJSG_SG_SG_EEES9_SI_JZNS1_25segmented_radix_sort_implINS0_14default_configELb0EPKaPaPKlPlN2at6native12_GLOBAL__N_18offset_tEEE10hipError_tPvRmT1_PNSt15iterator_traitsIS12_E10value_typeET2_T3_PNS13_IS18_E10value_typeET4_jRbjT5_S1E_jjP12ihipStream_tbEUljE_ZNSN_ISO_Lb0ESQ_SR_ST_SU_SY_EESZ_S10_S11_S12_S16_S17_S18_S1B_S1C_jS1D_jS1E_S1E_jjS1G_bEUljE0_EEESZ_S10_S11_S18_S1C_S1E_T6_T7_T9_mT8_S1G_bDpT10_ENKUlT_T0_E_clISt17integral_constantIbLb0EES1T_IbLb1EEEEDaS1P_S1Q_EUlS1P_E_NS1_11comp_targetILNS1_3genE3ELNS1_11target_archE908ELNS1_3gpuE7ELNS1_3repE0EEENS1_30default_config_static_selectorELNS0_4arch9wavefront6targetE1EEEvS12_.uses_vcc, 0
	.set _ZN7rocprim17ROCPRIM_400000_NS6detail17trampoline_kernelINS0_13select_configILj256ELj13ELNS0_17block_load_methodE3ELS4_3ELS4_3ELNS0_20block_scan_algorithmE0ELj4294967295EEENS1_25partition_config_selectorILNS1_17partition_subalgoE4EjNS0_10empty_typeEbEEZZNS1_14partition_implILS8_4ELb0ES6_15HIP_vector_typeIjLj2EENS0_17counting_iteratorIjlEEPS9_SG_NS0_5tupleIJPjSI_NS0_16reverse_iteratorISI_EEEEENSH_IJSG_SG_SG_EEES9_SI_JZNS1_25segmented_radix_sort_implINS0_14default_configELb0EPKaPaPKlPlN2at6native12_GLOBAL__N_18offset_tEEE10hipError_tPvRmT1_PNSt15iterator_traitsIS12_E10value_typeET2_T3_PNS13_IS18_E10value_typeET4_jRbjT5_S1E_jjP12ihipStream_tbEUljE_ZNSN_ISO_Lb0ESQ_SR_ST_SU_SY_EESZ_S10_S11_S12_S16_S17_S18_S1B_S1C_jS1D_jS1E_S1E_jjS1G_bEUljE0_EEESZ_S10_S11_S18_S1C_S1E_T6_T7_T9_mT8_S1G_bDpT10_ENKUlT_T0_E_clISt17integral_constantIbLb0EES1T_IbLb1EEEEDaS1P_S1Q_EUlS1P_E_NS1_11comp_targetILNS1_3genE3ELNS1_11target_archE908ELNS1_3gpuE7ELNS1_3repE0EEENS1_30default_config_static_selectorELNS0_4arch9wavefront6targetE1EEEvS12_.uses_flat_scratch, 0
	.set _ZN7rocprim17ROCPRIM_400000_NS6detail17trampoline_kernelINS0_13select_configILj256ELj13ELNS0_17block_load_methodE3ELS4_3ELS4_3ELNS0_20block_scan_algorithmE0ELj4294967295EEENS1_25partition_config_selectorILNS1_17partition_subalgoE4EjNS0_10empty_typeEbEEZZNS1_14partition_implILS8_4ELb0ES6_15HIP_vector_typeIjLj2EENS0_17counting_iteratorIjlEEPS9_SG_NS0_5tupleIJPjSI_NS0_16reverse_iteratorISI_EEEEENSH_IJSG_SG_SG_EEES9_SI_JZNS1_25segmented_radix_sort_implINS0_14default_configELb0EPKaPaPKlPlN2at6native12_GLOBAL__N_18offset_tEEE10hipError_tPvRmT1_PNSt15iterator_traitsIS12_E10value_typeET2_T3_PNS13_IS18_E10value_typeET4_jRbjT5_S1E_jjP12ihipStream_tbEUljE_ZNSN_ISO_Lb0ESQ_SR_ST_SU_SY_EESZ_S10_S11_S12_S16_S17_S18_S1B_S1C_jS1D_jS1E_S1E_jjS1G_bEUljE0_EEESZ_S10_S11_S18_S1C_S1E_T6_T7_T9_mT8_S1G_bDpT10_ENKUlT_T0_E_clISt17integral_constantIbLb0EES1T_IbLb1EEEEDaS1P_S1Q_EUlS1P_E_NS1_11comp_targetILNS1_3genE3ELNS1_11target_archE908ELNS1_3gpuE7ELNS1_3repE0EEENS1_30default_config_static_selectorELNS0_4arch9wavefront6targetE1EEEvS12_.has_dyn_sized_stack, 0
	.set _ZN7rocprim17ROCPRIM_400000_NS6detail17trampoline_kernelINS0_13select_configILj256ELj13ELNS0_17block_load_methodE3ELS4_3ELS4_3ELNS0_20block_scan_algorithmE0ELj4294967295EEENS1_25partition_config_selectorILNS1_17partition_subalgoE4EjNS0_10empty_typeEbEEZZNS1_14partition_implILS8_4ELb0ES6_15HIP_vector_typeIjLj2EENS0_17counting_iteratorIjlEEPS9_SG_NS0_5tupleIJPjSI_NS0_16reverse_iteratorISI_EEEEENSH_IJSG_SG_SG_EEES9_SI_JZNS1_25segmented_radix_sort_implINS0_14default_configELb0EPKaPaPKlPlN2at6native12_GLOBAL__N_18offset_tEEE10hipError_tPvRmT1_PNSt15iterator_traitsIS12_E10value_typeET2_T3_PNS13_IS18_E10value_typeET4_jRbjT5_S1E_jjP12ihipStream_tbEUljE_ZNSN_ISO_Lb0ESQ_SR_ST_SU_SY_EESZ_S10_S11_S12_S16_S17_S18_S1B_S1C_jS1D_jS1E_S1E_jjS1G_bEUljE0_EEESZ_S10_S11_S18_S1C_S1E_T6_T7_T9_mT8_S1G_bDpT10_ENKUlT_T0_E_clISt17integral_constantIbLb0EES1T_IbLb1EEEEDaS1P_S1Q_EUlS1P_E_NS1_11comp_targetILNS1_3genE3ELNS1_11target_archE908ELNS1_3gpuE7ELNS1_3repE0EEENS1_30default_config_static_selectorELNS0_4arch9wavefront6targetE1EEEvS12_.has_recursion, 0
	.set _ZN7rocprim17ROCPRIM_400000_NS6detail17trampoline_kernelINS0_13select_configILj256ELj13ELNS0_17block_load_methodE3ELS4_3ELS4_3ELNS0_20block_scan_algorithmE0ELj4294967295EEENS1_25partition_config_selectorILNS1_17partition_subalgoE4EjNS0_10empty_typeEbEEZZNS1_14partition_implILS8_4ELb0ES6_15HIP_vector_typeIjLj2EENS0_17counting_iteratorIjlEEPS9_SG_NS0_5tupleIJPjSI_NS0_16reverse_iteratorISI_EEEEENSH_IJSG_SG_SG_EEES9_SI_JZNS1_25segmented_radix_sort_implINS0_14default_configELb0EPKaPaPKlPlN2at6native12_GLOBAL__N_18offset_tEEE10hipError_tPvRmT1_PNSt15iterator_traitsIS12_E10value_typeET2_T3_PNS13_IS18_E10value_typeET4_jRbjT5_S1E_jjP12ihipStream_tbEUljE_ZNSN_ISO_Lb0ESQ_SR_ST_SU_SY_EESZ_S10_S11_S12_S16_S17_S18_S1B_S1C_jS1D_jS1E_S1E_jjS1G_bEUljE0_EEESZ_S10_S11_S18_S1C_S1E_T6_T7_T9_mT8_S1G_bDpT10_ENKUlT_T0_E_clISt17integral_constantIbLb0EES1T_IbLb1EEEEDaS1P_S1Q_EUlS1P_E_NS1_11comp_targetILNS1_3genE3ELNS1_11target_archE908ELNS1_3gpuE7ELNS1_3repE0EEENS1_30default_config_static_selectorELNS0_4arch9wavefront6targetE1EEEvS12_.has_indirect_call, 0
	.section	.AMDGPU.csdata,"",@progbits
; Kernel info:
; codeLenInByte = 0
; TotalNumSgprs: 4
; NumVgprs: 0
; ScratchSize: 0
; MemoryBound: 0
; FloatMode: 240
; IeeeMode: 1
; LDSByteSize: 0 bytes/workgroup (compile time only)
; SGPRBlocks: 0
; VGPRBlocks: 0
; NumSGPRsForWavesPerEU: 4
; NumVGPRsForWavesPerEU: 1
; Occupancy: 10
; WaveLimiterHint : 0
; COMPUTE_PGM_RSRC2:SCRATCH_EN: 0
; COMPUTE_PGM_RSRC2:USER_SGPR: 6
; COMPUTE_PGM_RSRC2:TRAP_HANDLER: 0
; COMPUTE_PGM_RSRC2:TGID_X_EN: 1
; COMPUTE_PGM_RSRC2:TGID_Y_EN: 0
; COMPUTE_PGM_RSRC2:TGID_Z_EN: 0
; COMPUTE_PGM_RSRC2:TIDIG_COMP_CNT: 0
	.section	.text._ZN7rocprim17ROCPRIM_400000_NS6detail17trampoline_kernelINS0_13select_configILj256ELj13ELNS0_17block_load_methodE3ELS4_3ELS4_3ELNS0_20block_scan_algorithmE0ELj4294967295EEENS1_25partition_config_selectorILNS1_17partition_subalgoE4EjNS0_10empty_typeEbEEZZNS1_14partition_implILS8_4ELb0ES6_15HIP_vector_typeIjLj2EENS0_17counting_iteratorIjlEEPS9_SG_NS0_5tupleIJPjSI_NS0_16reverse_iteratorISI_EEEEENSH_IJSG_SG_SG_EEES9_SI_JZNS1_25segmented_radix_sort_implINS0_14default_configELb0EPKaPaPKlPlN2at6native12_GLOBAL__N_18offset_tEEE10hipError_tPvRmT1_PNSt15iterator_traitsIS12_E10value_typeET2_T3_PNS13_IS18_E10value_typeET4_jRbjT5_S1E_jjP12ihipStream_tbEUljE_ZNSN_ISO_Lb0ESQ_SR_ST_SU_SY_EESZ_S10_S11_S12_S16_S17_S18_S1B_S1C_jS1D_jS1E_S1E_jjS1G_bEUljE0_EEESZ_S10_S11_S18_S1C_S1E_T6_T7_T9_mT8_S1G_bDpT10_ENKUlT_T0_E_clISt17integral_constantIbLb0EES1T_IbLb1EEEEDaS1P_S1Q_EUlS1P_E_NS1_11comp_targetILNS1_3genE2ELNS1_11target_archE906ELNS1_3gpuE6ELNS1_3repE0EEENS1_30default_config_static_selectorELNS0_4arch9wavefront6targetE1EEEvS12_,"axG",@progbits,_ZN7rocprim17ROCPRIM_400000_NS6detail17trampoline_kernelINS0_13select_configILj256ELj13ELNS0_17block_load_methodE3ELS4_3ELS4_3ELNS0_20block_scan_algorithmE0ELj4294967295EEENS1_25partition_config_selectorILNS1_17partition_subalgoE4EjNS0_10empty_typeEbEEZZNS1_14partition_implILS8_4ELb0ES6_15HIP_vector_typeIjLj2EENS0_17counting_iteratorIjlEEPS9_SG_NS0_5tupleIJPjSI_NS0_16reverse_iteratorISI_EEEEENSH_IJSG_SG_SG_EEES9_SI_JZNS1_25segmented_radix_sort_implINS0_14default_configELb0EPKaPaPKlPlN2at6native12_GLOBAL__N_18offset_tEEE10hipError_tPvRmT1_PNSt15iterator_traitsIS12_E10value_typeET2_T3_PNS13_IS18_E10value_typeET4_jRbjT5_S1E_jjP12ihipStream_tbEUljE_ZNSN_ISO_Lb0ESQ_SR_ST_SU_SY_EESZ_S10_S11_S12_S16_S17_S18_S1B_S1C_jS1D_jS1E_S1E_jjS1G_bEUljE0_EEESZ_S10_S11_S18_S1C_S1E_T6_T7_T9_mT8_S1G_bDpT10_ENKUlT_T0_E_clISt17integral_constantIbLb0EES1T_IbLb1EEEEDaS1P_S1Q_EUlS1P_E_NS1_11comp_targetILNS1_3genE2ELNS1_11target_archE906ELNS1_3gpuE6ELNS1_3repE0EEENS1_30default_config_static_selectorELNS0_4arch9wavefront6targetE1EEEvS12_,comdat
	.globl	_ZN7rocprim17ROCPRIM_400000_NS6detail17trampoline_kernelINS0_13select_configILj256ELj13ELNS0_17block_load_methodE3ELS4_3ELS4_3ELNS0_20block_scan_algorithmE0ELj4294967295EEENS1_25partition_config_selectorILNS1_17partition_subalgoE4EjNS0_10empty_typeEbEEZZNS1_14partition_implILS8_4ELb0ES6_15HIP_vector_typeIjLj2EENS0_17counting_iteratorIjlEEPS9_SG_NS0_5tupleIJPjSI_NS0_16reverse_iteratorISI_EEEEENSH_IJSG_SG_SG_EEES9_SI_JZNS1_25segmented_radix_sort_implINS0_14default_configELb0EPKaPaPKlPlN2at6native12_GLOBAL__N_18offset_tEEE10hipError_tPvRmT1_PNSt15iterator_traitsIS12_E10value_typeET2_T3_PNS13_IS18_E10value_typeET4_jRbjT5_S1E_jjP12ihipStream_tbEUljE_ZNSN_ISO_Lb0ESQ_SR_ST_SU_SY_EESZ_S10_S11_S12_S16_S17_S18_S1B_S1C_jS1D_jS1E_S1E_jjS1G_bEUljE0_EEESZ_S10_S11_S18_S1C_S1E_T6_T7_T9_mT8_S1G_bDpT10_ENKUlT_T0_E_clISt17integral_constantIbLb0EES1T_IbLb1EEEEDaS1P_S1Q_EUlS1P_E_NS1_11comp_targetILNS1_3genE2ELNS1_11target_archE906ELNS1_3gpuE6ELNS1_3repE0EEENS1_30default_config_static_selectorELNS0_4arch9wavefront6targetE1EEEvS12_ ; -- Begin function _ZN7rocprim17ROCPRIM_400000_NS6detail17trampoline_kernelINS0_13select_configILj256ELj13ELNS0_17block_load_methodE3ELS4_3ELS4_3ELNS0_20block_scan_algorithmE0ELj4294967295EEENS1_25partition_config_selectorILNS1_17partition_subalgoE4EjNS0_10empty_typeEbEEZZNS1_14partition_implILS8_4ELb0ES6_15HIP_vector_typeIjLj2EENS0_17counting_iteratorIjlEEPS9_SG_NS0_5tupleIJPjSI_NS0_16reverse_iteratorISI_EEEEENSH_IJSG_SG_SG_EEES9_SI_JZNS1_25segmented_radix_sort_implINS0_14default_configELb0EPKaPaPKlPlN2at6native12_GLOBAL__N_18offset_tEEE10hipError_tPvRmT1_PNSt15iterator_traitsIS12_E10value_typeET2_T3_PNS13_IS18_E10value_typeET4_jRbjT5_S1E_jjP12ihipStream_tbEUljE_ZNSN_ISO_Lb0ESQ_SR_ST_SU_SY_EESZ_S10_S11_S12_S16_S17_S18_S1B_S1C_jS1D_jS1E_S1E_jjS1G_bEUljE0_EEESZ_S10_S11_S18_S1C_S1E_T6_T7_T9_mT8_S1G_bDpT10_ENKUlT_T0_E_clISt17integral_constantIbLb0EES1T_IbLb1EEEEDaS1P_S1Q_EUlS1P_E_NS1_11comp_targetILNS1_3genE2ELNS1_11target_archE906ELNS1_3gpuE6ELNS1_3repE0EEENS1_30default_config_static_selectorELNS0_4arch9wavefront6targetE1EEEvS12_
	.p2align	8
	.type	_ZN7rocprim17ROCPRIM_400000_NS6detail17trampoline_kernelINS0_13select_configILj256ELj13ELNS0_17block_load_methodE3ELS4_3ELS4_3ELNS0_20block_scan_algorithmE0ELj4294967295EEENS1_25partition_config_selectorILNS1_17partition_subalgoE4EjNS0_10empty_typeEbEEZZNS1_14partition_implILS8_4ELb0ES6_15HIP_vector_typeIjLj2EENS0_17counting_iteratorIjlEEPS9_SG_NS0_5tupleIJPjSI_NS0_16reverse_iteratorISI_EEEEENSH_IJSG_SG_SG_EEES9_SI_JZNS1_25segmented_radix_sort_implINS0_14default_configELb0EPKaPaPKlPlN2at6native12_GLOBAL__N_18offset_tEEE10hipError_tPvRmT1_PNSt15iterator_traitsIS12_E10value_typeET2_T3_PNS13_IS18_E10value_typeET4_jRbjT5_S1E_jjP12ihipStream_tbEUljE_ZNSN_ISO_Lb0ESQ_SR_ST_SU_SY_EESZ_S10_S11_S12_S16_S17_S18_S1B_S1C_jS1D_jS1E_S1E_jjS1G_bEUljE0_EEESZ_S10_S11_S18_S1C_S1E_T6_T7_T9_mT8_S1G_bDpT10_ENKUlT_T0_E_clISt17integral_constantIbLb0EES1T_IbLb1EEEEDaS1P_S1Q_EUlS1P_E_NS1_11comp_targetILNS1_3genE2ELNS1_11target_archE906ELNS1_3gpuE6ELNS1_3repE0EEENS1_30default_config_static_selectorELNS0_4arch9wavefront6targetE1EEEvS12_,@function
_ZN7rocprim17ROCPRIM_400000_NS6detail17trampoline_kernelINS0_13select_configILj256ELj13ELNS0_17block_load_methodE3ELS4_3ELS4_3ELNS0_20block_scan_algorithmE0ELj4294967295EEENS1_25partition_config_selectorILNS1_17partition_subalgoE4EjNS0_10empty_typeEbEEZZNS1_14partition_implILS8_4ELb0ES6_15HIP_vector_typeIjLj2EENS0_17counting_iteratorIjlEEPS9_SG_NS0_5tupleIJPjSI_NS0_16reverse_iteratorISI_EEEEENSH_IJSG_SG_SG_EEES9_SI_JZNS1_25segmented_radix_sort_implINS0_14default_configELb0EPKaPaPKlPlN2at6native12_GLOBAL__N_18offset_tEEE10hipError_tPvRmT1_PNSt15iterator_traitsIS12_E10value_typeET2_T3_PNS13_IS18_E10value_typeET4_jRbjT5_S1E_jjP12ihipStream_tbEUljE_ZNSN_ISO_Lb0ESQ_SR_ST_SU_SY_EESZ_S10_S11_S12_S16_S17_S18_S1B_S1C_jS1D_jS1E_S1E_jjS1G_bEUljE0_EEESZ_S10_S11_S18_S1C_S1E_T6_T7_T9_mT8_S1G_bDpT10_ENKUlT_T0_E_clISt17integral_constantIbLb0EES1T_IbLb1EEEEDaS1P_S1Q_EUlS1P_E_NS1_11comp_targetILNS1_3genE2ELNS1_11target_archE906ELNS1_3gpuE6ELNS1_3repE0EEENS1_30default_config_static_selectorELNS0_4arch9wavefront6targetE1EEEvS12_: ; @_ZN7rocprim17ROCPRIM_400000_NS6detail17trampoline_kernelINS0_13select_configILj256ELj13ELNS0_17block_load_methodE3ELS4_3ELS4_3ELNS0_20block_scan_algorithmE0ELj4294967295EEENS1_25partition_config_selectorILNS1_17partition_subalgoE4EjNS0_10empty_typeEbEEZZNS1_14partition_implILS8_4ELb0ES6_15HIP_vector_typeIjLj2EENS0_17counting_iteratorIjlEEPS9_SG_NS0_5tupleIJPjSI_NS0_16reverse_iteratorISI_EEEEENSH_IJSG_SG_SG_EEES9_SI_JZNS1_25segmented_radix_sort_implINS0_14default_configELb0EPKaPaPKlPlN2at6native12_GLOBAL__N_18offset_tEEE10hipError_tPvRmT1_PNSt15iterator_traitsIS12_E10value_typeET2_T3_PNS13_IS18_E10value_typeET4_jRbjT5_S1E_jjP12ihipStream_tbEUljE_ZNSN_ISO_Lb0ESQ_SR_ST_SU_SY_EESZ_S10_S11_S12_S16_S17_S18_S1B_S1C_jS1D_jS1E_S1E_jjS1G_bEUljE0_EEESZ_S10_S11_S18_S1C_S1E_T6_T7_T9_mT8_S1G_bDpT10_ENKUlT_T0_E_clISt17integral_constantIbLb0EES1T_IbLb1EEEEDaS1P_S1Q_EUlS1P_E_NS1_11comp_targetILNS1_3genE2ELNS1_11target_archE906ELNS1_3gpuE6ELNS1_3repE0EEENS1_30default_config_static_selectorELNS0_4arch9wavefront6targetE1EEEvS12_
; %bb.0:
	s_load_dwordx2 s[52:53], s[4:5], 0x10
	s_load_dwordx4 s[48:51], s[4:5], 0x28
	s_load_dwordx2 s[30:31], s[4:5], 0x38
	s_load_dwordx4 s[44:47], s[4:5], 0x58
	s_load_dwordx2 s[6:7], s[4:5], 0x68
	s_load_dwordx2 s[54:55], s[4:5], 0x78
	;; [unrolled: 1-line block ×3, first 2 shown]
	s_load_dwordx8 s[36:43], s[4:5], 0x90
	v_cmp_eq_u32_e64 s[0:1], 0, v0
	s_and_saveexec_b64 s[2:3], s[0:1]
	s_cbranch_execz .LBB357_4
; %bb.1:
	s_mov_b64 s[10:11], exec
	v_mbcnt_lo_u32_b32 v1, s10, 0
	v_mbcnt_hi_u32_b32 v1, s11, v1
	v_cmp_eq_u32_e32 vcc, 0, v1
                                        ; implicit-def: $vgpr2
	s_and_saveexec_b64 s[8:9], vcc
	s_cbranch_execz .LBB357_3
; %bb.2:
	s_load_dwordx2 s[12:13], s[4:5], 0x88
	s_bcnt1_i32_b64 s10, s[10:11]
	v_mov_b32_e32 v2, 0
	v_mov_b32_e32 v3, s10
	s_waitcnt lgkmcnt(0)
	global_atomic_add v2, v2, v3, s[12:13] glc
.LBB357_3:
	s_or_b64 exec, exec, s[8:9]
	s_waitcnt vmcnt(0)
	v_readfirstlane_b32 s8, v2
	v_add_u32_e32 v1, s8, v1
	v_mov_b32_e32 v2, 0
	ds_write_b32 v2, v1
.LBB357_4:
	s_or_b64 exec, exec, s[2:3]
	v_mov_b32_e32 v1, 0
	s_load_dword s2, s[4:5], 0x8
	s_load_dword s8, s[4:5], 0x80
	s_waitcnt lgkmcnt(0)
	s_barrier
	ds_read_b32 v7, v1
	s_waitcnt lgkmcnt(0)
	s_barrier
	global_load_dwordx4 v[1:4], v1, s[46:47]
	s_add_i32 s9, s2, s52
	s_movk_i32 s2, 0xd00
	s_add_i32 s4, s8, -1
	s_mulk_i32 s8, 0xd00
	v_mul_lo_u32 v33, v7, s2
	s_add_u32 s2, s52, s8
	s_addc_u32 s3, s53, 0
	v_mov_b32_e32 v6, s3
	v_mov_b32_e32 v5, s2
	v_readfirstlane_b32 s33, v7
	v_cmp_gt_u64_e32 vcc, s[6:7], v[5:6]
	s_cmp_eq_u32 s33, s4
	v_cmp_ne_u32_e64 s[2:3], s4, v7
	s_cselect_b64 s[34:35], -1, 0
	s_or_b64 s[4:5], vcc, s[2:3]
	v_add_u32_e32 v5, s9, v33
	s_mov_b64 s[2:3], -1
	s_and_b64 vcc, exec, s[4:5]
	v_add_u32_e32 v5, v5, v0
	s_cbranch_vccz .LBB357_6
; %bb.5:
	v_add_u32_e32 v6, 0x100, v5
	v_lshlrev_b32_e32 v18, 2, v0
	v_add_u32_e32 v7, 0x200, v5
	v_add_u32_e32 v8, 0x300, v5
	;; [unrolled: 1-line block ×11, first 2 shown]
	ds_write2st64_b32 v18, v5, v6 offset1:4
	ds_write2st64_b32 v18, v7, v8 offset0:8 offset1:12
	ds_write2st64_b32 v18, v9, v10 offset0:16 offset1:20
	;; [unrolled: 1-line block ×5, first 2 shown]
	ds_write_b32 v18, v17 offset:12288
	s_waitcnt vmcnt(0) lgkmcnt(0)
	s_barrier
	s_mov_b64 s[2:3], 0
.LBB357_6:
	s_andn2_b64 vcc, exec, s[2:3]
	s_add_i32 s8, s8, s52
	s_cbranch_vccnz .LBB357_8
; %bb.7:
	v_add_u32_e32 v6, 0x100, v5
	v_lshlrev_b32_e32 v18, 2, v0
	v_add_u32_e32 v7, 0x200, v5
	v_add_u32_e32 v8, 0x300, v5
	v_add_u32_e32 v9, 0x400, v5
	v_add_u32_e32 v10, 0x500, v5
	v_add_u32_e32 v11, 0x600, v5
	v_add_u32_e32 v12, 0x700, v5
	v_add_u32_e32 v13, 0x800, v5
	v_add_u32_e32 v14, 0x900, v5
	v_add_u32_e32 v15, 0xa00, v5
	v_add_u32_e32 v16, 0xb00, v5
	v_add_u32_e32 v17, 0xc00, v5
	ds_write2st64_b32 v18, v5, v6 offset1:4
	ds_write2st64_b32 v18, v7, v8 offset0:8 offset1:12
	ds_write2st64_b32 v18, v9, v10 offset0:16 offset1:20
	ds_write2st64_b32 v18, v11, v12 offset0:24 offset1:28
	ds_write2st64_b32 v18, v13, v14 offset0:32 offset1:36
	ds_write2st64_b32 v18, v15, v16 offset0:40 offset1:44
	ds_write_b32 v18, v17 offset:12288
	s_waitcnt vmcnt(0) lgkmcnt(0)
	s_barrier
.LBB357_8:
	v_mul_u32_u24_e32 v35, 13, v0
	v_lshlrev_b32_e32 v5, 2, v35
	ds_read_b32 v34, v5 offset:48
	ds_read2_b32 v[13:14], v5 offset0:10 offset1:11
	ds_read2_b32 v[15:16], v5 offset0:8 offset1:9
	;; [unrolled: 1-line block ×4, first 2 shown]
	ds_read2_b32 v[23:24], v5 offset1:1
	ds_read2_b32 v[21:22], v5 offset0:2 offset1:3
	v_cndmask_b32_e64 v5, 0, 1, s[4:5]
	s_sub_i32 s86, s6, s8
	v_cmp_ne_u32_e64 s[2:3], 1, v5
	s_andn2_b64 vcc, exec, s[4:5]
	s_waitcnt vmcnt(0) lgkmcnt(0)
	s_barrier
	s_cbranch_vccnz .LBB357_36
; %bb.9:
	v_add_u32_e32 v5, s37, v23
	v_add_u32_e32 v6, s39, v23
	v_mul_lo_u32 v5, v5, s36
	v_mul_lo_u32 v6, v6, s38
	s_mov_b64 s[58:59], 0
	s_mov_b64 s[46:47], 0
	v_sub_u32_e32 v5, v5, v6
	v_cmp_lt_u32_e32 vcc, s40, v5
	v_cmp_ge_u32_e64 s[4:5], s40, v5
	s_and_saveexec_b64 s[6:7], s[4:5]
	s_cbranch_execz .LBB357_11
; %bb.10:
	v_add_u32_e32 v5, s42, v23
	v_add_u32_e32 v6, s56, v23
	v_mul_lo_u32 v5, v5, s41
	v_mul_lo_u32 v6, v6, s43
	v_sub_u32_e32 v5, v5, v6
	v_cmp_lt_u32_e64 s[4:5], s57, v5
	s_and_b64 s[46:47], s[4:5], exec
.LBB357_11:
	s_or_b64 exec, exec, s[6:7]
	v_add_u32_e32 v5, s37, v24
	v_add_u32_e32 v6, s39, v24
	v_mul_lo_u32 v5, v5, s36
	v_mul_lo_u32 v6, v6, s38
	v_sub_u32_e32 v5, v5, v6
	v_cmp_lt_u32_e64 s[4:5], s40, v5
	v_cmp_ge_u32_e64 s[6:7], s40, v5
	s_and_saveexec_b64 s[8:9], s[6:7]
	s_cbranch_execz .LBB357_13
; %bb.12:
	v_add_u32_e32 v5, s42, v24
	v_add_u32_e32 v6, s56, v24
	v_mul_lo_u32 v5, v5, s41
	v_mul_lo_u32 v6, v6, s43
	v_sub_u32_e32 v5, v5, v6
	v_cmp_lt_u32_e64 s[6:7], s57, v5
	s_and_b64 s[58:59], s[6:7], exec
.LBB357_13:
	s_or_b64 exec, exec, s[8:9]
	v_add_u32_e32 v5, s37, v21
	v_add_u32_e32 v6, s39, v21
	v_mul_lo_u32 v5, v5, s36
	v_mul_lo_u32 v6, v6, s38
	s_mov_b64 s[62:63], 0
	s_mov_b64 s[60:61], 0
	v_sub_u32_e32 v5, v5, v6
	v_cmp_lt_u32_e64 s[6:7], s40, v5
	v_cmp_ge_u32_e64 s[8:9], s40, v5
	s_and_saveexec_b64 s[10:11], s[8:9]
	s_cbranch_execz .LBB357_15
; %bb.14:
	v_add_u32_e32 v5, s42, v21
	v_add_u32_e32 v6, s56, v21
	v_mul_lo_u32 v5, v5, s41
	v_mul_lo_u32 v6, v6, s43
	v_sub_u32_e32 v5, v5, v6
	v_cmp_lt_u32_e64 s[8:9], s57, v5
	s_and_b64 s[60:61], s[8:9], exec
.LBB357_15:
	s_or_b64 exec, exec, s[10:11]
	v_add_u32_e32 v5, s37, v22
	v_add_u32_e32 v6, s39, v22
	v_mul_lo_u32 v5, v5, s36
	v_mul_lo_u32 v6, v6, s38
	v_sub_u32_e32 v5, v5, v6
	v_cmp_lt_u32_e64 s[8:9], s40, v5
	v_cmp_ge_u32_e64 s[10:11], s40, v5
	s_and_saveexec_b64 s[12:13], s[10:11]
	s_cbranch_execz .LBB357_17
; %bb.16:
	v_add_u32_e32 v5, s42, v22
	v_add_u32_e32 v6, s56, v22
	v_mul_lo_u32 v5, v5, s41
	v_mul_lo_u32 v6, v6, s43
	v_sub_u32_e32 v5, v5, v6
	v_cmp_lt_u32_e64 s[10:11], s57, v5
	s_and_b64 s[62:63], s[10:11], exec
.LBB357_17:
	s_or_b64 exec, exec, s[12:13]
	v_add_u32_e32 v5, s37, v19
	v_add_u32_e32 v6, s39, v19
	v_mul_lo_u32 v5, v5, s36
	v_mul_lo_u32 v6, v6, s38
	s_mov_b64 s[66:67], 0
	s_mov_b64 s[64:65], 0
	v_sub_u32_e32 v5, v5, v6
	v_cmp_lt_u32_e64 s[10:11], s40, v5
	;; [unrolled: 40-line block ×6, first 2 shown]
	v_cmp_ge_u32_e64 s[28:29], s40, v5
	s_and_saveexec_b64 s[84:85], s[28:29]
	s_cbranch_execz .LBB357_35
; %bb.34:
	v_add_u32_e32 v5, s42, v34
	v_add_u32_e32 v6, s56, v34
	v_mul_lo_u32 v5, v5, s41
	v_mul_lo_u32 v6, v6, s43
	v_sub_u32_e32 v5, v5, v6
	v_cmp_lt_u32_e64 s[28:29], s57, v5
	s_and_b64 s[82:83], s[28:29], exec
.LBB357_35:
	s_or_b64 exec, exec, s[84:85]
	v_cndmask_b32_e64 v6, 0, 1, s[4:5]
	v_cndmask_b32_e64 v5, 0, 1, vcc
	v_cndmask_b32_e64 v8, 0, 1, s[8:9]
	v_lshlrev_b16_e32 v6, 8, v6
	v_cndmask_b32_e64 v7, 0, 1, s[6:7]
	v_or_b32_e32 v5, v5, v6
	v_lshlrev_b16_e32 v6, 8, v8
	v_cndmask_b32_e64 v10, 0, 1, s[12:13]
	v_cndmask_b32_e64 v12, 0, 1, s[16:17]
	v_or_b32_sdwa v6, v7, v6 dst_sel:WORD_1 dst_unused:UNUSED_PAD src0_sel:DWORD src1_sel:DWORD
	v_cndmask_b32_e64 v9, 0, 1, s[10:11]
	v_cndmask_b32_e64 v11, 0, 1, s[14:15]
	v_or_b32_sdwa v36, v5, v6 dst_sel:DWORD dst_unused:UNUSED_PAD src0_sel:WORD_0 src1_sel:DWORD
	v_lshlrev_b16_e32 v5, 8, v10
	v_lshlrev_b16_e32 v6, 8, v12
	v_cndmask_b32_e64 v26, 0, 1, s[20:21]
	v_cndmask_b32_e64 v29, 0, 1, s[24:25]
	v_or_b32_e32 v5, v9, v5
	v_or_b32_sdwa v6, v11, v6 dst_sel:WORD_1 dst_unused:UNUSED_PAD src0_sel:DWORD src1_sel:DWORD
	v_cndmask_b32_e64 v25, 0, 1, s[18:19]
	v_cndmask_b32_e64 v27, 0, 1, s[22:23]
	v_or_b32_sdwa v38, v5, v6 dst_sel:DWORD dst_unused:UNUSED_PAD src0_sel:WORD_0 src1_sel:DWORD
	v_lshlrev_b16_e32 v5, 8, v26
	v_lshlrev_b16_e32 v6, 8, v29
	v_cndmask_b32_e64 v42, 0, 1, s[60:61]
	v_cndmask_b32_e64 v47, 0, 1, s[46:47]
	v_or_b32_e32 v5, v25, v5
	;; [unrolled: 9-line block ×4, first 2 shown]
	v_or_b32_sdwa v6, v39, v6 dst_sel:WORD_1 dst_unused:UNUSED_PAD src0_sel:DWORD src1_sel:DWORD
	v_cndmask_b32_e64 v30, 0, 1, s[74:75]
	v_cndmask_b32_e64 v32, 0, 1, s[70:71]
	v_or_b32_sdwa v37, v5, v6 dst_sel:DWORD dst_unused:UNUSED_PAD src0_sel:WORD_0 src1_sel:DWORD
	v_lshlrev_b16_e32 v5, 8, v31
	v_lshlrev_b16_e32 v6, 8, v28
	v_or_b32_e32 v5, v32, v5
	v_or_b32_sdwa v6, v30, v6 dst_sel:WORD_1 dst_unused:UNUSED_PAD src0_sel:DWORD src1_sel:DWORD
	v_cndmask_b32_e64 v40, 0, 1, s[78:79]
	v_cndmask_b32_e64 v43, 0, 1, s[82:83]
	v_or_b32_sdwa v39, v5, v6 dst_sel:DWORD dst_unused:UNUSED_PAD src0_sel:WORD_0 src1_sel:DWORD
	s_add_i32 s16, s86, 0xd00
	s_and_b64 vcc, exec, s[76:77]
	s_cbranch_vccnz .LBB357_37
	s_branch .LBB357_114
.LBB357_36:
                                        ; implicit-def: $vgpr43
                                        ; implicit-def: $vgpr40
                                        ; implicit-def: $vgpr39
                                        ; implicit-def: $vgpr37
                                        ; implicit-def: $vgpr42
                                        ; implicit-def: $vgpr41
                                        ; implicit-def: $vgpr38
                                        ; implicit-def: $vgpr36
	s_add_i32 s16, s86, 0xd00
	s_cbranch_execz .LBB357_114
.LBB357_37:
	v_cmp_gt_u32_e32 vcc, s16, v35
	v_mov_b32_e32 v6, 0
	v_mov_b32_e32 v5, 0
	s_and_saveexec_b64 s[6:7], vcc
	s_cbranch_execz .LBB357_41
; %bb.38:
	v_add_u32_e32 v5, s37, v23
	v_add_u32_e32 v6, s39, v23
	v_mul_lo_u32 v5, v5, s36
	v_mul_lo_u32 v6, v6, s38
	s_mov_b64 s[10:11], 0
	v_sub_u32_e32 v5, v5, v6
	v_cmp_lt_u32_e32 vcc, s40, v5
	v_cmp_ge_u32_e64 s[4:5], s40, v5
	s_and_saveexec_b64 s[8:9], s[4:5]
	s_cbranch_execz .LBB357_40
; %bb.39:
	v_add_u32_e32 v5, s42, v23
	v_add_u32_e32 v6, s56, v23
	v_mul_lo_u32 v5, v5, s41
	v_mul_lo_u32 v6, v6, s43
	v_sub_u32_e32 v5, v5, v6
	v_cmp_lt_u32_e64 s[4:5], s57, v5
	s_and_b64 s[10:11], s[4:5], exec
.LBB357_40:
	s_or_b64 exec, exec, s[8:9]
	v_cndmask_b32_e64 v6, 0, 1, s[10:11]
	v_cndmask_b32_e64 v5, 0, 1, vcc
.LBB357_41:
	s_or_b64 exec, exec, s[6:7]
	v_lshlrev_b16_e32 v11, 8, v6
	v_add_u32_e32 v6, 1, v35
	v_cmp_le_u32_e32 vcc, s16, v6
	v_lshlrev_b16_e64 v8, 8, 0
                                        ; implicit-def: $vgpr7
                                        ; implicit-def: $vgpr9
                                        ; implicit-def: $vgpr10
                                        ; implicit-def: $vgpr6
                                        ; implicit-def: $vgpr12
	s_and_saveexec_b64 s[4:5], vcc
	s_xor_b64 s[4:5], exec, s[4:5]
; %bb.42:
	v_mov_b32_e32 v6, 8
	v_lshrrev_b32_sdwa v7, v6, v11 dst_sel:BYTE_1 dst_unused:UNUSED_PAD src0_sel:DWORD src1_sel:DWORD
	v_and_b32_e32 v12, 0xff, v5
	v_or_b32_sdwa v5, v11, v7 dst_sel:DWORD dst_unused:UNUSED_PAD src0_sel:BYTE_0 src1_sel:DWORD
	v_mov_b32_e32 v9, 0
	v_lshlrev_b16_e64 v8, 8, 0
	v_lshlrev_b16_e64 v6, 8, 0
	v_and_b32_e32 v10, 0xffff, v5
	v_lshlrev_b16_e64 v7, 8, 0
                                        ; implicit-def: $vgpr5
                                        ; implicit-def: $vgpr11
; %bb.43:
	s_andn2_saveexec_b64 s[6:7], s[4:5]
	s_cbranch_execz .LBB357_47
; %bb.44:
	v_add_u32_e32 v6, s37, v24
	v_add_u32_e32 v7, s39, v24
	v_mul_lo_u32 v6, v6, s36
	v_mul_lo_u32 v7, v7, s38
	s_mov_b64 s[8:9], 0
	v_sub_u32_e32 v6, v6, v7
	v_cmp_lt_u32_e32 vcc, s40, v6
	v_cmp_ge_u32_e64 s[4:5], s40, v6
	s_and_saveexec_b64 s[10:11], s[4:5]
	s_cbranch_execz .LBB357_46
; %bb.45:
	v_add_u32_e32 v6, s42, v24
	v_add_u32_e32 v7, s56, v24
	v_mul_lo_u32 v6, v6, s41
	v_mul_lo_u32 v7, v7, s43
	v_sub_u32_e32 v6, v6, v7
	v_cmp_lt_u32_e64 s[4:5], s57, v6
	s_and_b64 s[8:9], s[4:5], exec
.LBB357_46:
	s_or_b64 exec, exec, s[10:11]
	v_cndmask_b32_e64 v7, 0, 1, vcc
	v_lshlrev_b16_e32 v7, 8, v7
	v_or_b32_sdwa v5, v5, v7 dst_sel:DWORD dst_unused:UNUSED_PAD src0_sel:BYTE_0 src1_sel:DWORD
	v_and_b32_e32 v12, 0xffff, v5
	v_mov_b32_e32 v5, 8
	v_lshrrev_b32_sdwa v5, v5, v11 dst_sel:BYTE_1 dst_unused:UNUSED_PAD src0_sel:DWORD src1_sel:DWORD
	v_or_b32_sdwa v5, v11, v5 dst_sel:DWORD dst_unused:UNUSED_PAD src0_sel:BYTE_0 src1_sel:DWORD
	v_and_b32_e32 v5, 0xffff, v5
	v_cndmask_b32_e64 v7, 0, 1, s[8:9]
	v_mov_b32_e32 v6, 0
	v_mov_b32_e32 v9, 0
	v_lshl_or_b32 v10, v7, 16, v5
	v_lshlrev_b16_e64 v7, 8, 0
.LBB357_47:
	s_or_b64 exec, exec, s[6:7]
	v_add_u32_e32 v5, 2, v35
	v_cmp_le_u32_e32 vcc, s16, v5
	v_lshrrev_b32_e32 v25, 24, v12
                                        ; implicit-def: $vgpr5
                                        ; implicit-def: $vgpr11
	s_and_saveexec_b64 s[4:5], vcc
	s_xor_b64 s[4:5], exec, s[4:5]
	s_cbranch_execz .LBB357_49
; %bb.48:
	s_mov_b32 s6, 0x40c0100
	v_perm_b32 v11, v25, v12, s6
	v_mov_b32_e32 v12, 8
	v_lshrrev_b32_sdwa v12, v12, v11 dst_sel:BYTE_1 dst_unused:UNUSED_PAD src0_sel:DWORD src1_sel:DWORD
	v_or_b32_sdwa v12, v11, v12 dst_sel:DWORD dst_unused:UNUSED_PAD src0_sel:BYTE_0 src1_sel:DWORD
	v_and_b32_e32 v12, 0xffff, v12
	s_mov_b32 s6, 0xff000000
	v_and_or_b32 v11, v11, s6, v12
	s_mov_b32 s6, 0x3060504
	v_and_b32_e32 v5, 0xff0000, v10
	v_perm_b32 v8, v8, v8, s6
	s_mov_b32 s6, 0x3020504
	v_perm_b32 v5, v10, v5, s6
                                        ; implicit-def: $vgpr12
                                        ; implicit-def: $vgpr25
                                        ; implicit-def: $vgpr10
.LBB357_49:
	s_andn2_saveexec_b64 s[6:7], s[4:5]
	s_cbranch_execz .LBB357_53
; %bb.50:
	v_add_u32_e32 v5, s37, v21
	v_add_u32_e32 v11, s39, v21
	v_mul_lo_u32 v5, v5, s36
	v_mul_lo_u32 v11, v11, s38
	s_mov_b64 s[8:9], 0
	v_sub_u32_e32 v5, v5, v11
	v_cmp_lt_u32_e32 vcc, s40, v5
	v_cmp_ge_u32_e64 s[4:5], s40, v5
	s_and_saveexec_b64 s[10:11], s[4:5]
	s_cbranch_execz .LBB357_52
; %bb.51:
	v_add_u32_e32 v5, s42, v21
	v_add_u32_e32 v11, s56, v21
	v_mul_lo_u32 v5, v5, s41
	v_mul_lo_u32 v11, v11, s43
	v_sub_u32_e32 v5, v5, v11
	v_cmp_lt_u32_e64 s[4:5], s57, v5
	s_and_b64 s[8:9], s[4:5], exec
.LBB357_52:
	s_or_b64 exec, exec, s[10:11]
	v_mov_b32_e32 v27, 8
	v_lshrrev_b32_sdwa v11, v27, v12 dst_sel:BYTE_1 dst_unused:UNUSED_PAD src0_sel:DWORD src1_sel:DWORD
	v_cndmask_b32_e64 v5, 0, 1, vcc
	v_or_b32_sdwa v11, v12, v11 dst_sel:DWORD dst_unused:UNUSED_PAD src0_sel:BYTE_0 src1_sel:DWORD
	v_lshlrev_b16_e32 v12, 8, v25
	v_or_b32_sdwa v5, v5, v12 dst_sel:WORD_1 dst_unused:UNUSED_PAD src0_sel:DWORD src1_sel:DWORD
	v_cndmask_b32_e64 v26, 0, 1, s[8:9]
	s_movk_i32 s4, 0xff
	v_or_b32_sdwa v11, v11, v5 dst_sel:DWORD dst_unused:UNUSED_PAD src0_sel:WORD_0 src1_sel:DWORD
	v_lshrrev_b32_sdwa v5, v27, v10 dst_sel:BYTE_1 dst_unused:UNUSED_PAD src0_sel:DWORD src1_sel:DWORD
	v_or_b32_sdwa v5, v10, v5 dst_sel:DWORD dst_unused:UNUSED_PAD src0_sel:BYTE_0 src1_sel:DWORD
	v_lshlrev_b16_e32 v12, 8, v26
	v_and_b32_sdwa v10, v10, s4 dst_sel:DWORD dst_unused:UNUSED_PAD src0_sel:WORD_1 src1_sel:DWORD
	v_or_b32_sdwa v10, v10, v12 dst_sel:WORD_1 dst_unused:UNUSED_PAD src0_sel:DWORD src1_sel:DWORD
	v_or_b32_sdwa v5, v5, v10 dst_sel:DWORD dst_unused:UNUSED_PAD src0_sel:WORD_0 src1_sel:DWORD
.LBB357_53:
	s_or_b64 exec, exec, s[6:7]
	v_add_u32_e32 v10, 3, v35
	v_cmp_le_u32_e32 vcc, s16, v10
	v_lshrrev_b32_e32 v12, 24, v9
                                        ; implicit-def: $vgpr10
                                        ; implicit-def: $vgpr36
	s_and_saveexec_b64 s[4:5], vcc
	s_xor_b64 s[4:5], exec, s[4:5]
	s_cbranch_execz .LBB357_55
; %bb.54:
	v_and_b32_e32 v10, 0xff0000, v11
	s_mov_b32 s6, 0x3020504
	s_movk_i32 s7, 0xff
	v_perm_b32 v36, v11, v10, s6
	v_lshlrev_b16_e32 v10, 8, v12
	v_and_b32_sdwa v11, v9, s7 dst_sel:DWORD dst_unused:UNUSED_PAD src0_sel:WORD_1 src1_sel:DWORD
	s_mov_b32 s6, 0x3060504
	v_or_b32_sdwa v10, v11, v10 dst_sel:WORD_1 dst_unused:UNUSED_PAD src0_sel:DWORD src1_sel:DWORD
	v_mov_b32_e32 v11, 8
	v_perm_b32 v8, v8, v8, s6
	v_lshrrev_b32_sdwa v10, v11, v9 dst_sel:BYTE_1 dst_unused:UNUSED_PRESERVE src0_sel:DWORD src1_sel:DWORD
	v_perm_b32 v7, v7, v7, s6
                                        ; implicit-def: $vgpr11
                                        ; implicit-def: $vgpr12
                                        ; implicit-def: $vgpr9
.LBB357_55:
	s_andn2_saveexec_b64 s[6:7], s[4:5]
	s_cbranch_execz .LBB357_59
; %bb.56:
	v_add_u32_e32 v10, s37, v22
	v_add_u32_e32 v25, s39, v22
	v_mul_lo_u32 v10, v10, s36
	v_mul_lo_u32 v25, v25, s38
	s_mov_b64 s[8:9], 0
	v_sub_u32_e32 v10, v10, v25
	v_cmp_lt_u32_e32 vcc, s40, v10
	v_cmp_ge_u32_e64 s[4:5], s40, v10
	s_and_saveexec_b64 s[10:11], s[4:5]
	s_cbranch_execz .LBB357_58
; %bb.57:
	v_add_u32_e32 v10, s42, v22
	v_add_u32_e32 v25, s56, v22
	v_mul_lo_u32 v10, v10, s41
	v_mul_lo_u32 v25, v25, s43
	v_sub_u32_e32 v10, v10, v25
	v_cmp_lt_u32_e64 s[4:5], s57, v10
	s_and_b64 s[8:9], s[4:5], exec
.LBB357_58:
	s_or_b64 exec, exec, s[10:11]
	v_mov_b32_e32 v26, 8
	v_cndmask_b32_e64 v10, 0, 1, vcc
	s_movk_i32 s4, 0xff
	v_lshrrev_b32_sdwa v27, v26, v11 dst_sel:BYTE_1 dst_unused:UNUSED_PAD src0_sel:DWORD src1_sel:DWORD
	v_or_b32_sdwa v27, v11, v27 dst_sel:DWORD dst_unused:UNUSED_PAD src0_sel:BYTE_0 src1_sel:DWORD
	v_lshlrev_b16_e32 v10, 8, v10
	v_and_b32_sdwa v11, v11, s4 dst_sel:DWORD dst_unused:UNUSED_PAD src0_sel:WORD_1 src1_sel:DWORD
	v_or_b32_sdwa v10, v11, v10 dst_sel:WORD_1 dst_unused:UNUSED_PAD src0_sel:DWORD src1_sel:DWORD
	v_cndmask_b32_e64 v25, 0, 1, s[8:9]
	v_or_b32_sdwa v36, v27, v10 dst_sel:DWORD dst_unused:UNUSED_PAD src0_sel:WORD_0 src1_sel:DWORD
	v_lshlrev_b16_e32 v10, 8, v12
	v_and_b32_sdwa v11, v9, s4 dst_sel:DWORD dst_unused:UNUSED_PAD src0_sel:WORD_1 src1_sel:DWORD
	v_lshrrev_b32_sdwa v9, v26, v9 dst_sel:BYTE_1 dst_unused:UNUSED_PAD src0_sel:DWORD src1_sel:DWORD
	v_or_b32_sdwa v10, v11, v10 dst_sel:WORD_1 dst_unused:UNUSED_PAD src0_sel:DWORD src1_sel:DWORD
	v_or_b32_e32 v9, v25, v9
	v_or_b32_sdwa v10, v9, v10 dst_sel:DWORD dst_unused:UNUSED_PAD src0_sel:WORD_0 src1_sel:DWORD
.LBB357_59:
	s_or_b64 exec, exec, s[6:7]
	v_add_u32_e32 v9, 4, v35
	v_cmp_le_u32_e32 vcc, s16, v9
	v_lshrrev_b32_e32 v25, 24, v8
	v_lshrrev_b32_e32 v12, 24, v10
                                        ; implicit-def: $vgpr11
                                        ; implicit-def: $vgpr9
	s_and_saveexec_b64 s[4:5], vcc
	s_xor_b64 s[4:5], exec, s[4:5]
	s_cbranch_execz .LBB357_61
; %bb.60:
	s_movk_i32 s6, 0xff
	v_lshlrev_b16_e32 v9, 8, v25
	v_and_b32_sdwa v25, v8, s6 dst_sel:DWORD dst_unused:UNUSED_PAD src0_sel:WORD_1 src1_sel:DWORD
	v_mov_b32_e32 v11, 8
	v_or_b32_sdwa v9, v25, v9 dst_sel:WORD_1 dst_unused:UNUSED_PAD src0_sel:DWORD src1_sel:DWORD
	v_lshrrev_b32_sdwa v9, v11, v8 dst_sel:BYTE_1 dst_unused:UNUSED_PRESERVE src0_sel:DWORD src1_sel:DWORD
	v_lshlrev_b16_e32 v8, 8, v12
	v_and_b32_sdwa v11, v10, s6 dst_sel:DWORD dst_unused:UNUSED_PAD src0_sel:WORD_1 src1_sel:DWORD
	v_or_b32_e32 v8, v11, v8
	s_mov_b32 s6, 0x5040c00
	v_perm_b32 v11, v8, v10, s6
	s_mov_b32 s6, 0x3060504
	v_perm_b32 v7, v7, v7, s6
                                        ; implicit-def: $vgpr25
                                        ; implicit-def: $vgpr8
                                        ; implicit-def: $vgpr10
                                        ; implicit-def: $vgpr12
.LBB357_61:
	s_andn2_saveexec_b64 s[6:7], s[4:5]
	s_cbranch_execz .LBB357_65
; %bb.62:
	v_add_u32_e32 v9, s37, v19
	v_add_u32_e32 v11, s39, v19
	v_mul_lo_u32 v9, v9, s36
	v_mul_lo_u32 v11, v11, s38
	s_mov_b64 s[8:9], 0
	v_sub_u32_e32 v9, v9, v11
	v_cmp_lt_u32_e32 vcc, s40, v9
	v_cmp_ge_u32_e64 s[4:5], s40, v9
	s_and_saveexec_b64 s[10:11], s[4:5]
	s_cbranch_execz .LBB357_64
; %bb.63:
	v_add_u32_e32 v9, s42, v19
	v_add_u32_e32 v11, s56, v19
	v_mul_lo_u32 v9, v9, s41
	v_mul_lo_u32 v11, v11, s43
	v_sub_u32_e32 v9, v9, v11
	v_cmp_lt_u32_e64 s[4:5], s57, v9
	s_and_b64 s[8:9], s[4:5], exec
.LBB357_64:
	s_or_b64 exec, exec, s[10:11]
	s_movk_i32 s4, 0xff
	v_lshlrev_b16_e32 v25, 8, v25
	v_and_b32_sdwa v26, v8, s4 dst_sel:DWORD dst_unused:UNUSED_PAD src0_sel:WORD_1 src1_sel:DWORD
	v_or_b32_sdwa v25, v26, v25 dst_sel:WORD_1 dst_unused:UNUSED_PAD src0_sel:DWORD src1_sel:DWORD
	v_mov_b32_e32 v26, 8
	v_cndmask_b32_e64 v9, 0, 1, vcc
	v_lshrrev_b32_sdwa v8, v26, v8 dst_sel:BYTE_1 dst_unused:UNUSED_PAD src0_sel:DWORD src1_sel:DWORD
	v_cndmask_b32_e64 v11, 0, 1, s[8:9]
	v_or_b32_e32 v8, v9, v8
	v_or_b32_sdwa v9, v8, v25 dst_sel:DWORD dst_unused:UNUSED_PAD src0_sel:WORD_0 src1_sel:DWORD
	v_lshlrev_b16_e32 v8, 8, v11
	v_or_b32_sdwa v8, v10, v8 dst_sel:DWORD dst_unused:UNUSED_PAD src0_sel:BYTE_0 src1_sel:DWORD
	v_lshlrev_b16_e32 v11, 8, v12
	v_and_b32_sdwa v10, v10, s4 dst_sel:DWORD dst_unused:UNUSED_PAD src0_sel:WORD_1 src1_sel:DWORD
	v_or_b32_sdwa v10, v10, v11 dst_sel:WORD_1 dst_unused:UNUSED_PAD src0_sel:DWORD src1_sel:DWORD
	v_or_b32_sdwa v11, v8, v10 dst_sel:DWORD dst_unused:UNUSED_PAD src0_sel:WORD_0 src1_sel:DWORD
.LBB357_65:
	s_or_b64 exec, exec, s[6:7]
	v_add_u32_e32 v8, 5, v35
	v_cmp_le_u32_e32 vcc, s16, v8
	v_lshrrev_b32_e32 v12, 24, v11
	v_lshrrev_b32_e32 v25, 24, v9
                                        ; implicit-def: $vgpr8
                                        ; implicit-def: $vgpr10
	s_and_saveexec_b64 s[4:5], vcc
	s_xor_b64 s[4:5], exec, s[4:5]
	s_cbranch_execz .LBB357_67
; %bb.66:
	s_mov_b32 s6, 0x40c0100
	v_perm_b32 v8, v12, v11, s6
	s_movk_i32 s6, 0xff
	v_lshlrev_b16_e32 v10, 8, v25
	v_and_b32_sdwa v11, v9, s6 dst_sel:DWORD dst_unused:UNUSED_PAD src0_sel:WORD_1 src1_sel:DWORD
	v_or_b32_e32 v10, v11, v10
	s_mov_b32 s6, 0x5040c00
	v_perm_b32 v10, v10, v9, s6
	v_mov_b32_e32 v9, 8
	v_lshrrev_b32_sdwa v9, v9, v8 dst_sel:BYTE_1 dst_unused:UNUSED_PAD src0_sel:DWORD src1_sel:DWORD
	v_or_b32_sdwa v9, v8, v9 dst_sel:DWORD dst_unused:UNUSED_PAD src0_sel:BYTE_0 src1_sel:DWORD
	v_and_b32_e32 v9, 0xffff, v9
	s_mov_b32 s6, 0xff000000
	v_and_or_b32 v8, v8, s6, v9
	s_mov_b32 s6, 0x3060504
	v_perm_b32 v7, v7, v7, s6
                                        ; implicit-def: $vgpr9
                                        ; implicit-def: $vgpr25
                                        ; implicit-def: $vgpr11
                                        ; implicit-def: $vgpr12
.LBB357_67:
	s_andn2_saveexec_b64 s[6:7], s[4:5]
	s_cbranch_execz .LBB357_71
; %bb.68:
	v_add_u32_e32 v8, s37, v20
	v_add_u32_e32 v10, s39, v20
	v_mul_lo_u32 v8, v8, s36
	v_mul_lo_u32 v10, v10, s38
	s_mov_b64 s[8:9], 0
	v_sub_u32_e32 v8, v8, v10
	v_cmp_lt_u32_e32 vcc, s40, v8
	v_cmp_ge_u32_e64 s[4:5], s40, v8
	s_and_saveexec_b64 s[10:11], s[4:5]
	s_cbranch_execz .LBB357_70
; %bb.69:
	v_add_u32_e32 v8, s42, v20
	v_add_u32_e32 v10, s56, v20
	v_mul_lo_u32 v8, v8, s41
	v_mul_lo_u32 v10, v10, s43
	v_sub_u32_e32 v8, v8, v10
	v_cmp_lt_u32_e64 s[4:5], s57, v8
	s_and_b64 s[8:9], s[4:5], exec
.LBB357_70:
	s_or_b64 exec, exec, s[10:11]
	v_cndmask_b32_e64 v8, 0, 1, vcc
	v_lshlrev_b16_e32 v8, 8, v8
	s_movk_i32 s4, 0xff
	v_or_b32_sdwa v8, v9, v8 dst_sel:DWORD dst_unused:UNUSED_PAD src0_sel:BYTE_0 src1_sel:DWORD
	v_lshlrev_b16_e32 v10, 8, v25
	v_and_b32_sdwa v9, v9, s4 dst_sel:DWORD dst_unused:UNUSED_PAD src0_sel:WORD_1 src1_sel:DWORD
	v_or_b32_sdwa v9, v9, v10 dst_sel:WORD_1 dst_unused:UNUSED_PAD src0_sel:DWORD src1_sel:DWORD
	v_or_b32_sdwa v10, v8, v9 dst_sel:DWORD dst_unused:UNUSED_PAD src0_sel:WORD_0 src1_sel:DWORD
	v_mov_b32_e32 v8, 8
	v_cndmask_b32_e64 v26, 0, 1, s[8:9]
	v_lshrrev_b32_sdwa v8, v8, v11 dst_sel:BYTE_1 dst_unused:UNUSED_PAD src0_sel:DWORD src1_sel:DWORD
	v_lshlrev_b16_e32 v9, 8, v12
	v_or_b32_sdwa v8, v11, v8 dst_sel:DWORD dst_unused:UNUSED_PAD src0_sel:BYTE_0 src1_sel:DWORD
	v_or_b32_sdwa v9, v26, v9 dst_sel:WORD_1 dst_unused:UNUSED_PAD src0_sel:DWORD src1_sel:DWORD
	v_or_b32_sdwa v8, v8, v9 dst_sel:DWORD dst_unused:UNUSED_PAD src0_sel:WORD_0 src1_sel:DWORD
.LBB357_71:
	s_or_b64 exec, exec, s[6:7]
	v_add_u32_e32 v9, 6, v35
	v_cmp_le_u32_e32 vcc, s16, v9
	v_lshrrev_b32_e32 v11, 24, v10
                                        ; implicit-def: $vgpr37
                                        ; implicit-def: $vgpr9
	s_and_saveexec_b64 s[4:5], vcc
	s_xor_b64 s[4:5], exec, s[4:5]
	s_cbranch_execz .LBB357_73
; %bb.72:
	s_mov_b32 s6, 0x40c0100
	v_perm_b32 v9, v11, v10, s6
	v_mov_b32_e32 v10, 8
	v_lshrrev_b32_sdwa v10, v10, v9 dst_sel:BYTE_1 dst_unused:UNUSED_PAD src0_sel:DWORD src1_sel:DWORD
	v_or_b32_sdwa v10, v9, v10 dst_sel:DWORD dst_unused:UNUSED_PAD src0_sel:BYTE_0 src1_sel:DWORD
	v_and_b32_e32 v10, 0xffff, v10
	s_mov_b32 s6, 0xff000000
	v_and_b32_e32 v12, 0xff0000, v8
	v_and_or_b32 v9, v9, s6, v10
	s_mov_b32 s6, 0x3020504
	v_perm_b32 v37, v8, v12, s6
	s_mov_b32 s6, 0x3060504
	v_perm_b32 v7, v7, v7, s6
                                        ; implicit-def: $vgpr10
                                        ; implicit-def: $vgpr11
                                        ; implicit-def: $vgpr8
.LBB357_73:
	s_andn2_saveexec_b64 s[6:7], s[4:5]
	s_cbranch_execz .LBB357_77
; %bb.74:
	v_add_u32_e32 v9, s37, v17
	v_add_u32_e32 v12, s39, v17
	v_mul_lo_u32 v9, v9, s36
	v_mul_lo_u32 v12, v12, s38
	s_mov_b64 s[8:9], 0
	v_sub_u32_e32 v9, v9, v12
	v_cmp_lt_u32_e32 vcc, s40, v9
	v_cmp_ge_u32_e64 s[4:5], s40, v9
	s_and_saveexec_b64 s[10:11], s[4:5]
	s_cbranch_execz .LBB357_76
; %bb.75:
	v_add_u32_e32 v9, s42, v17
	v_add_u32_e32 v12, s56, v17
	v_mul_lo_u32 v9, v9, s41
	v_mul_lo_u32 v12, v12, s43
	v_sub_u32_e32 v9, v9, v12
	v_cmp_lt_u32_e64 s[4:5], s57, v9
	s_and_b64 s[8:9], s[4:5], exec
.LBB357_76:
	s_or_b64 exec, exec, s[10:11]
	v_mov_b32_e32 v25, 8
	v_cndmask_b32_e64 v9, 0, 1, vcc
	v_lshrrev_b32_sdwa v26, v25, v10 dst_sel:BYTE_1 dst_unused:UNUSED_PAD src0_sel:DWORD src1_sel:DWORD
	v_lshlrev_b16_e32 v11, 8, v11
	v_or_b32_sdwa v10, v10, v26 dst_sel:DWORD dst_unused:UNUSED_PAD src0_sel:BYTE_0 src1_sel:DWORD
	v_or_b32_sdwa v9, v9, v11 dst_sel:WORD_1 dst_unused:UNUSED_PAD src0_sel:DWORD src1_sel:DWORD
	v_cndmask_b32_e64 v12, 0, 1, s[8:9]
	s_movk_i32 s4, 0xff
	v_or_b32_sdwa v9, v10, v9 dst_sel:DWORD dst_unused:UNUSED_PAD src0_sel:WORD_0 src1_sel:DWORD
	v_lshrrev_b32_sdwa v10, v25, v8 dst_sel:BYTE_1 dst_unused:UNUSED_PAD src0_sel:DWORD src1_sel:DWORD
	v_or_b32_sdwa v10, v8, v10 dst_sel:DWORD dst_unused:UNUSED_PAD src0_sel:BYTE_0 src1_sel:DWORD
	v_lshlrev_b16_e32 v11, 8, v12
	v_and_b32_sdwa v8, v8, s4 dst_sel:DWORD dst_unused:UNUSED_PAD src0_sel:WORD_1 src1_sel:DWORD
	v_or_b32_sdwa v8, v8, v11 dst_sel:WORD_1 dst_unused:UNUSED_PAD src0_sel:DWORD src1_sel:DWORD
	v_or_b32_sdwa v37, v10, v8 dst_sel:DWORD dst_unused:UNUSED_PAD src0_sel:WORD_0 src1_sel:DWORD
.LBB357_77:
	s_or_b64 exec, exec, s[6:7]
	v_add_u32_e32 v8, 7, v35
	v_cmp_le_u32_e32 vcc, s16, v8
	v_lshrrev_b32_e32 v10, 24, v7
                                        ; implicit-def: $vgpr8
                                        ; implicit-def: $vgpr38
	s_and_saveexec_b64 s[4:5], vcc
	s_xor_b64 s[4:5], exec, s[4:5]
; %bb.78:
	v_and_b32_e32 v8, 0xff0000, v9
	s_mov_b32 s6, 0x3020504
	v_perm_b32 v38, v9, v8, s6
	s_movk_i32 s6, 0xff
	v_lshlrev_b16_e32 v8, 8, v10
	v_and_b32_sdwa v9, v7, s6 dst_sel:DWORD dst_unused:UNUSED_PAD src0_sel:WORD_1 src1_sel:DWORD
	v_mov_b32_e32 v11, 8
	v_or_b32_sdwa v8, v9, v8 dst_sel:WORD_1 dst_unused:UNUSED_PAD src0_sel:DWORD src1_sel:DWORD
	v_lshrrev_b32_sdwa v8, v11, v7 dst_sel:BYTE_1 dst_unused:UNUSED_PRESERVE src0_sel:DWORD src1_sel:DWORD
                                        ; implicit-def: $vgpr9
                                        ; implicit-def: $vgpr10
                                        ; implicit-def: $vgpr7
; %bb.79:
	s_andn2_saveexec_b64 s[6:7], s[4:5]
	s_cbranch_execz .LBB357_83
; %bb.80:
	v_add_u32_e32 v8, s37, v18
	v_add_u32_e32 v11, s39, v18
	v_mul_lo_u32 v8, v8, s36
	v_mul_lo_u32 v11, v11, s38
	s_mov_b64 s[8:9], 0
	v_sub_u32_e32 v8, v8, v11
	v_cmp_lt_u32_e32 vcc, s40, v8
	v_cmp_ge_u32_e64 s[4:5], s40, v8
	s_and_saveexec_b64 s[10:11], s[4:5]
	s_cbranch_execz .LBB357_82
; %bb.81:
	v_add_u32_e32 v8, s42, v18
	v_add_u32_e32 v11, s56, v18
	v_mul_lo_u32 v8, v8, s41
	v_mul_lo_u32 v11, v11, s43
	v_sub_u32_e32 v8, v8, v11
	v_cmp_lt_u32_e64 s[4:5], s57, v8
	s_and_b64 s[8:9], s[4:5], exec
.LBB357_82:
	s_or_b64 exec, exec, s[10:11]
	v_mov_b32_e32 v12, 8
	v_cndmask_b32_e64 v8, 0, 1, vcc
	s_movk_i32 s4, 0xff
	v_lshrrev_b32_sdwa v25, v12, v9 dst_sel:BYTE_1 dst_unused:UNUSED_PAD src0_sel:DWORD src1_sel:DWORD
	v_or_b32_sdwa v25, v9, v25 dst_sel:DWORD dst_unused:UNUSED_PAD src0_sel:BYTE_0 src1_sel:DWORD
	v_lshlrev_b16_e32 v8, 8, v8
	v_and_b32_sdwa v9, v9, s4 dst_sel:DWORD dst_unused:UNUSED_PAD src0_sel:WORD_1 src1_sel:DWORD
	v_or_b32_sdwa v8, v9, v8 dst_sel:WORD_1 dst_unused:UNUSED_PAD src0_sel:DWORD src1_sel:DWORD
	v_cndmask_b32_e64 v11, 0, 1, s[8:9]
	v_or_b32_sdwa v38, v25, v8 dst_sel:DWORD dst_unused:UNUSED_PAD src0_sel:WORD_0 src1_sel:DWORD
	v_lshlrev_b16_e32 v8, 8, v10
	v_and_b32_sdwa v9, v7, s4 dst_sel:DWORD dst_unused:UNUSED_PAD src0_sel:WORD_1 src1_sel:DWORD
	v_lshrrev_b32_sdwa v7, v12, v7 dst_sel:BYTE_1 dst_unused:UNUSED_PAD src0_sel:DWORD src1_sel:DWORD
	v_or_b32_sdwa v8, v9, v8 dst_sel:WORD_1 dst_unused:UNUSED_PAD src0_sel:DWORD src1_sel:DWORD
	v_or_b32_e32 v7, v11, v7
	v_or_b32_sdwa v8, v7, v8 dst_sel:DWORD dst_unused:UNUSED_PAD src0_sel:WORD_0 src1_sel:DWORD
.LBB357_83:
	s_or_b64 exec, exec, s[6:7]
	v_add_u32_e32 v7, 8, v35
	v_cmp_le_u32_e32 vcc, s16, v7
	v_lshrrev_b32_e32 v10, 24, v8
	v_lshrrev_b32_e32 v11, 24, v6
                                        ; implicit-def: $vgpr9
                                        ; implicit-def: $vgpr7
	s_and_saveexec_b64 s[4:5], vcc
	s_xor_b64 s[4:5], exec, s[4:5]
	s_cbranch_execz .LBB357_85
; %bb.84:
	s_movk_i32 s6, 0xff
	v_lshlrev_b16_e32 v7, 8, v11
	v_and_b32_sdwa v9, v6, s6 dst_sel:DWORD dst_unused:UNUSED_PAD src0_sel:WORD_1 src1_sel:DWORD
	v_or_b32_sdwa v7, v9, v7 dst_sel:WORD_1 dst_unused:UNUSED_PAD src0_sel:DWORD src1_sel:DWORD
	v_mov_b32_e32 v9, 8
	v_lshrrev_b32_sdwa v7, v9, v6 dst_sel:BYTE_1 dst_unused:UNUSED_PRESERVE src0_sel:DWORD src1_sel:DWORD
	v_lshlrev_b16_e32 v6, 8, v10
	v_and_b32_sdwa v9, v8, s6 dst_sel:DWORD dst_unused:UNUSED_PAD src0_sel:WORD_1 src1_sel:DWORD
	s_mov_b32 s7, 0x3060504
	v_or_b32_e32 v6, v9, v6
	s_mov_b32 s6, 0x5040c00
	v_perm_b32 v5, v5, v5, s7
	v_perm_b32 v9, v6, v8, s6
                                        ; implicit-def: $vgpr11
                                        ; implicit-def: $vgpr6
                                        ; implicit-def: $vgpr8
                                        ; implicit-def: $vgpr10
.LBB357_85:
	s_andn2_saveexec_b64 s[6:7], s[4:5]
	s_cbranch_execz .LBB357_89
; %bb.86:
	v_add_u32_e32 v7, s37, v15
	v_add_u32_e32 v9, s39, v15
	v_mul_lo_u32 v7, v7, s36
	v_mul_lo_u32 v9, v9, s38
	s_mov_b64 s[8:9], 0
	v_sub_u32_e32 v7, v7, v9
	v_cmp_lt_u32_e32 vcc, s40, v7
	v_cmp_ge_u32_e64 s[4:5], s40, v7
	s_and_saveexec_b64 s[10:11], s[4:5]
	s_cbranch_execz .LBB357_88
; %bb.87:
	v_add_u32_e32 v7, s42, v15
	v_add_u32_e32 v9, s56, v15
	v_mul_lo_u32 v7, v7, s41
	v_mul_lo_u32 v9, v9, s43
	v_sub_u32_e32 v7, v7, v9
	v_cmp_lt_u32_e64 s[4:5], s57, v7
	s_and_b64 s[8:9], s[4:5], exec
.LBB357_88:
	s_or_b64 exec, exec, s[10:11]
	s_movk_i32 s4, 0xff
	v_lshlrev_b16_e32 v11, 8, v11
	v_and_b32_sdwa v12, v6, s4 dst_sel:DWORD dst_unused:UNUSED_PAD src0_sel:WORD_1 src1_sel:DWORD
	v_or_b32_sdwa v11, v12, v11 dst_sel:WORD_1 dst_unused:UNUSED_PAD src0_sel:DWORD src1_sel:DWORD
	v_mov_b32_e32 v12, 8
	v_cndmask_b32_e64 v7, 0, 1, vcc
	v_lshrrev_b32_sdwa v6, v12, v6 dst_sel:BYTE_1 dst_unused:UNUSED_PAD src0_sel:DWORD src1_sel:DWORD
	v_cndmask_b32_e64 v9, 0, 1, s[8:9]
	v_or_b32_e32 v6, v7, v6
	v_or_b32_sdwa v7, v6, v11 dst_sel:DWORD dst_unused:UNUSED_PAD src0_sel:WORD_0 src1_sel:DWORD
	v_lshlrev_b16_e32 v6, 8, v9
	v_or_b32_sdwa v6, v8, v6 dst_sel:DWORD dst_unused:UNUSED_PAD src0_sel:BYTE_0 src1_sel:DWORD
	v_lshlrev_b16_e32 v9, 8, v10
	v_and_b32_sdwa v8, v8, s4 dst_sel:DWORD dst_unused:UNUSED_PAD src0_sel:WORD_1 src1_sel:DWORD
	v_or_b32_sdwa v8, v8, v9 dst_sel:WORD_1 dst_unused:UNUSED_PAD src0_sel:DWORD src1_sel:DWORD
	v_or_b32_sdwa v9, v6, v8 dst_sel:DWORD dst_unused:UNUSED_PAD src0_sel:WORD_0 src1_sel:DWORD
.LBB357_89:
	s_or_b64 exec, exec, s[6:7]
	v_add_u32_e32 v6, 9, v35
	v_cmp_le_u32_e32 vcc, s16, v6
	v_lshrrev_b32_e32 v10, 24, v9
	v_lshrrev_b32_e32 v11, 24, v7
                                        ; implicit-def: $vgpr6
                                        ; implicit-def: $vgpr8
	s_and_saveexec_b64 s[4:5], vcc
	s_xor_b64 s[4:5], exec, s[4:5]
	s_cbranch_execz .LBB357_91
; %bb.90:
	s_mov_b32 s6, 0x40c0100
	v_perm_b32 v6, v10, v9, s6
	v_mov_b32_e32 v8, 8
	s_movk_i32 s6, 0xff
	v_lshrrev_b32_sdwa v9, v8, v6 dst_sel:BYTE_1 dst_unused:UNUSED_PAD src0_sel:DWORD src1_sel:DWORD
	v_lshlrev_b16_e32 v8, 8, v11
	v_and_b32_sdwa v10, v7, s6 dst_sel:DWORD dst_unused:UNUSED_PAD src0_sel:WORD_1 src1_sel:DWORD
	v_or_b32_e32 v8, v10, v8
	s_mov_b32 s6, 0x5040c00
	v_perm_b32 v8, v8, v7, s6
	s_mov_b32 s6, 0x3060504
	v_or_b32_sdwa v7, v6, v9 dst_sel:DWORD dst_unused:UNUSED_PAD src0_sel:BYTE_0 src1_sel:DWORD
	v_perm_b32 v5, v5, v5, s6
	v_and_b32_e32 v7, 0xffff, v7
	s_mov_b32 s6, 0xff000000
	v_and_or_b32 v6, v6, s6, v7
                                        ; implicit-def: $vgpr7
                                        ; implicit-def: $vgpr11
                                        ; implicit-def: $vgpr9
                                        ; implicit-def: $vgpr10
.LBB357_91:
	s_andn2_saveexec_b64 s[6:7], s[4:5]
	s_cbranch_execz .LBB357_95
; %bb.92:
	v_add_u32_e32 v6, s37, v16
	v_add_u32_e32 v8, s39, v16
	v_mul_lo_u32 v6, v6, s36
	v_mul_lo_u32 v8, v8, s38
	s_mov_b64 s[8:9], 0
	v_sub_u32_e32 v6, v6, v8
	v_cmp_lt_u32_e32 vcc, s40, v6
	v_cmp_ge_u32_e64 s[4:5], s40, v6
	s_and_saveexec_b64 s[10:11], s[4:5]
	s_cbranch_execz .LBB357_94
; %bb.93:
	v_add_u32_e32 v6, s42, v16
	v_add_u32_e32 v8, s56, v16
	v_mul_lo_u32 v6, v6, s41
	v_mul_lo_u32 v8, v8, s43
	v_sub_u32_e32 v6, v6, v8
	v_cmp_lt_u32_e64 s[4:5], s57, v6
	s_and_b64 s[8:9], s[4:5], exec
.LBB357_94:
	s_or_b64 exec, exec, s[10:11]
	v_cndmask_b32_e64 v6, 0, 1, vcc
	v_lshlrev_b16_e32 v6, 8, v6
	s_movk_i32 s4, 0xff
	v_or_b32_sdwa v6, v7, v6 dst_sel:DWORD dst_unused:UNUSED_PAD src0_sel:BYTE_0 src1_sel:DWORD
	v_lshlrev_b16_e32 v8, 8, v11
	v_and_b32_sdwa v7, v7, s4 dst_sel:DWORD dst_unused:UNUSED_PAD src0_sel:WORD_1 src1_sel:DWORD
	v_or_b32_sdwa v7, v7, v8 dst_sel:WORD_1 dst_unused:UNUSED_PAD src0_sel:DWORD src1_sel:DWORD
	v_or_b32_sdwa v8, v6, v7 dst_sel:DWORD dst_unused:UNUSED_PAD src0_sel:WORD_0 src1_sel:DWORD
	v_mov_b32_e32 v6, 8
	v_cndmask_b32_e64 v12, 0, 1, s[8:9]
	v_lshrrev_b32_sdwa v6, v6, v9 dst_sel:BYTE_1 dst_unused:UNUSED_PAD src0_sel:DWORD src1_sel:DWORD
	v_lshlrev_b16_e32 v7, 8, v10
	v_or_b32_sdwa v6, v9, v6 dst_sel:DWORD dst_unused:UNUSED_PAD src0_sel:BYTE_0 src1_sel:DWORD
	v_or_b32_sdwa v7, v12, v7 dst_sel:WORD_1 dst_unused:UNUSED_PAD src0_sel:DWORD src1_sel:DWORD
	v_or_b32_sdwa v6, v6, v7 dst_sel:DWORD dst_unused:UNUSED_PAD src0_sel:WORD_0 src1_sel:DWORD
.LBB357_95:
	s_or_b64 exec, exec, s[6:7]
	v_add_u32_e32 v7, 10, v35
	v_cmp_le_u32_e32 vcc, s16, v7
	v_lshrrev_b32_e32 v9, 24, v8
                                        ; implicit-def: $vgpr39
                                        ; implicit-def: $vgpr7
	s_and_saveexec_b64 s[4:5], vcc
	s_xor_b64 s[4:5], exec, s[4:5]
	s_cbranch_execz .LBB357_97
; %bb.96:
	s_mov_b32 s6, 0x40c0100
	v_perm_b32 v7, v9, v8, s6
	v_mov_b32_e32 v8, 8
	v_lshrrev_b32_sdwa v8, v8, v7 dst_sel:BYTE_1 dst_unused:UNUSED_PAD src0_sel:DWORD src1_sel:DWORD
	v_or_b32_sdwa v8, v7, v8 dst_sel:DWORD dst_unused:UNUSED_PAD src0_sel:BYTE_0 src1_sel:DWORD
	v_and_b32_e32 v8, 0xffff, v8
	s_mov_b32 s6, 0xff000000
	v_and_or_b32 v7, v7, s6, v8
	s_mov_b32 s6, 0x3060504
	v_and_b32_e32 v10, 0xff0000, v6
	v_perm_b32 v5, v5, v5, s6
	s_mov_b32 s6, 0x3020504
	v_perm_b32 v39, v6, v10, s6
                                        ; implicit-def: $vgpr8
                                        ; implicit-def: $vgpr9
                                        ; implicit-def: $vgpr6
.LBB357_97:
	s_andn2_saveexec_b64 s[6:7], s[4:5]
	s_cbranch_execz .LBB357_101
; %bb.98:
	v_add_u32_e32 v7, s37, v13
	v_add_u32_e32 v10, s39, v13
	v_mul_lo_u32 v7, v7, s36
	v_mul_lo_u32 v10, v10, s38
	s_mov_b64 s[8:9], 0
	v_sub_u32_e32 v7, v7, v10
	v_cmp_lt_u32_e32 vcc, s40, v7
	v_cmp_ge_u32_e64 s[4:5], s40, v7
	s_and_saveexec_b64 s[10:11], s[4:5]
	s_cbranch_execz .LBB357_100
; %bb.99:
	v_add_u32_e32 v7, s42, v13
	v_add_u32_e32 v10, s56, v13
	v_mul_lo_u32 v7, v7, s41
	v_mul_lo_u32 v10, v10, s43
	v_sub_u32_e32 v7, v7, v10
	v_cmp_lt_u32_e64 s[4:5], s57, v7
	s_and_b64 s[8:9], s[4:5], exec
.LBB357_100:
	s_or_b64 exec, exec, s[10:11]
	v_mov_b32_e32 v11, 8
	v_cndmask_b32_e64 v7, 0, 1, vcc
	v_lshrrev_b32_sdwa v12, v11, v8 dst_sel:BYTE_1 dst_unused:UNUSED_PAD src0_sel:DWORD src1_sel:DWORD
	v_lshlrev_b16_e32 v9, 8, v9
	v_or_b32_sdwa v8, v8, v12 dst_sel:DWORD dst_unused:UNUSED_PAD src0_sel:BYTE_0 src1_sel:DWORD
	v_or_b32_sdwa v7, v7, v9 dst_sel:WORD_1 dst_unused:UNUSED_PAD src0_sel:DWORD src1_sel:DWORD
	v_cndmask_b32_e64 v10, 0, 1, s[8:9]
	s_movk_i32 s4, 0xff
	v_or_b32_sdwa v7, v8, v7 dst_sel:DWORD dst_unused:UNUSED_PAD src0_sel:WORD_0 src1_sel:DWORD
	v_lshrrev_b32_sdwa v8, v11, v6 dst_sel:BYTE_1 dst_unused:UNUSED_PAD src0_sel:DWORD src1_sel:DWORD
	v_or_b32_sdwa v8, v6, v8 dst_sel:DWORD dst_unused:UNUSED_PAD src0_sel:BYTE_0 src1_sel:DWORD
	v_lshlrev_b16_e32 v9, 8, v10
	v_and_b32_sdwa v6, v6, s4 dst_sel:DWORD dst_unused:UNUSED_PAD src0_sel:WORD_1 src1_sel:DWORD
	v_or_b32_sdwa v6, v6, v9 dst_sel:WORD_1 dst_unused:UNUSED_PAD src0_sel:DWORD src1_sel:DWORD
	v_or_b32_sdwa v39, v8, v6 dst_sel:DWORD dst_unused:UNUSED_PAD src0_sel:WORD_0 src1_sel:DWORD
.LBB357_101:
	s_or_b64 exec, exec, s[6:7]
	v_add_u32_e32 v6, 11, v35
	v_mov_b32_e32 v40, 0
	v_cmp_le_u32_e32 vcc, s16, v6
                                        ; implicit-def: $vgpr41
	s_and_saveexec_b64 s[4:5], vcc
	s_xor_b64 s[4:5], exec, s[4:5]
; %bb.102:
	v_and_b32_e32 v6, 0xff0000, v7
	s_mov_b32 s6, 0x3020504
	v_perm_b32 v41, v7, v6, s6
	s_mov_b32 s6, 0x3060504
	v_perm_b32 v5, v5, v5, s6
                                        ; implicit-def: $vgpr7
; %bb.103:
	s_andn2_saveexec_b64 s[6:7], s[4:5]
	s_cbranch_execz .LBB357_107
; %bb.104:
	v_add_u32_e32 v6, s37, v14
	v_add_u32_e32 v8, s39, v14
	v_mul_lo_u32 v6, v6, s36
	v_mul_lo_u32 v8, v8, s38
	s_mov_b64 s[8:9], 0
	v_sub_u32_e32 v6, v6, v8
	v_cmp_lt_u32_e32 vcc, s40, v6
	v_cmp_ge_u32_e64 s[4:5], s40, v6
	s_and_saveexec_b64 s[10:11], s[4:5]
	s_cbranch_execz .LBB357_106
; %bb.105:
	v_add_u32_e32 v6, s42, v14
	v_add_u32_e32 v8, s56, v14
	v_mul_lo_u32 v6, v6, s41
	v_mul_lo_u32 v8, v8, s43
	v_sub_u32_e32 v6, v6, v8
	v_cmp_lt_u32_e64 s[4:5], s57, v6
	s_and_b64 s[8:9], s[4:5], exec
.LBB357_106:
	s_or_b64 exec, exec, s[10:11]
	v_mov_b32_e32 v8, 8
	v_cndmask_b32_e64 v6, 0, 1, vcc
	s_movk_i32 s4, 0xff
	v_lshrrev_b32_sdwa v8, v8, v7 dst_sel:BYTE_1 dst_unused:UNUSED_PAD src0_sel:DWORD src1_sel:DWORD
	v_or_b32_sdwa v8, v7, v8 dst_sel:DWORD dst_unused:UNUSED_PAD src0_sel:BYTE_0 src1_sel:DWORD
	v_lshlrev_b16_e32 v6, 8, v6
	v_and_b32_sdwa v7, v7, s4 dst_sel:DWORD dst_unused:UNUSED_PAD src0_sel:WORD_1 src1_sel:DWORD
	v_or_b32_sdwa v6, v7, v6 dst_sel:WORD_1 dst_unused:UNUSED_PAD src0_sel:DWORD src1_sel:DWORD
	v_cndmask_b32_e64 v40, 0, 1, s[8:9]
	v_or_b32_sdwa v41, v8, v6 dst_sel:DWORD dst_unused:UNUSED_PAD src0_sel:WORD_0 src1_sel:DWORD
.LBB357_107:
	s_or_b64 exec, exec, s[6:7]
	v_add_u32_e32 v6, 12, v35
	v_cmp_le_u32_e32 vcc, s16, v6
	v_lshrrev_b32_e32 v6, 24, v5
                                        ; implicit-def: $vgpr42
	s_and_saveexec_b64 s[4:5], vcc
	s_xor_b64 s[4:5], exec, s[4:5]
; %bb.108:
	s_movk_i32 s6, 0xff
	v_lshlrev_b16_e32 v6, 8, v6
	v_and_b32_sdwa v8, v5, s6 dst_sel:DWORD dst_unused:UNUSED_PAD src0_sel:WORD_1 src1_sel:DWORD
	v_mov_b32_e32 v7, 8
	v_or_b32_sdwa v42, v8, v6 dst_sel:WORD_1 dst_unused:UNUSED_PAD src0_sel:DWORD src1_sel:DWORD
	v_lshrrev_b32_sdwa v42, v7, v5 dst_sel:BYTE_1 dst_unused:UNUSED_PRESERVE src0_sel:DWORD src1_sel:DWORD
                                        ; implicit-def: $vgpr6
                                        ; implicit-def: $vgpr5
; %bb.109:
	s_or_saveexec_b64 s[6:7], s[4:5]
	v_mov_b32_e32 v43, 0
	s_xor_b64 exec, exec, s[6:7]
	s_cbranch_execz .LBB357_113
; %bb.110:
	v_add_u32_e32 v7, s37, v34
	v_add_u32_e32 v8, s39, v34
	v_mul_lo_u32 v7, v7, s36
	v_mul_lo_u32 v8, v8, s38
	s_mov_b64 s[8:9], 0
	v_sub_u32_e32 v7, v7, v8
	v_cmp_lt_u32_e32 vcc, s40, v7
	v_cmp_ge_u32_e64 s[4:5], s40, v7
	s_and_saveexec_b64 s[10:11], s[4:5]
	s_cbranch_execz .LBB357_112
; %bb.111:
	v_add_u32_e32 v7, s42, v34
	v_add_u32_e32 v8, s56, v34
	v_mul_lo_u32 v7, v7, s41
	v_mul_lo_u32 v8, v8, s43
	v_sub_u32_e32 v7, v7, v8
	v_cmp_lt_u32_e64 s[4:5], s57, v7
	s_and_b64 s[8:9], s[4:5], exec
.LBB357_112:
	s_or_b64 exec, exec, s[10:11]
	s_movk_i32 s4, 0xff
	v_lshlrev_b16_e32 v6, 8, v6
	v_and_b32_sdwa v8, v5, s4 dst_sel:DWORD dst_unused:UNUSED_PAD src0_sel:WORD_1 src1_sel:DWORD
	v_or_b32_sdwa v6, v8, v6 dst_sel:WORD_1 dst_unused:UNUSED_PAD src0_sel:DWORD src1_sel:DWORD
	v_mov_b32_e32 v8, 8
	v_cndmask_b32_e64 v7, 0, 1, vcc
	v_lshrrev_b32_sdwa v5, v8, v5 dst_sel:BYTE_1 dst_unused:UNUSED_PAD src0_sel:DWORD src1_sel:DWORD
	v_or_b32_e32 v5, v7, v5
	v_cndmask_b32_e64 v43, 0, 1, s[8:9]
	v_or_b32_sdwa v42, v5, v6 dst_sel:DWORD dst_unused:UNUSED_PAD src0_sel:WORD_0 src1_sel:DWORD
.LBB357_113:
	s_or_b64 exec, exec, s[6:7]
.LBB357_114:
	v_and_b32_e32 v53, 0xff, v36
	v_bfe_u32 v50, v36, 8, 8
	v_bfe_u32 v55, v36, 16, 8
	v_lshrrev_b32_e32 v48, 24, v36
	v_and_b32_e32 v56, 0xff, v38
	v_add3_u32 v8, v50, v53, v55
	v_bfe_u32 v51, v38, 8, 8
	v_bfe_u32 v58, v38, 16, 8
	v_add3_u32 v8, v8, v48, v56
	v_bfe_u32 v54, v42, 8, 8
	v_bfe_u32 v62, v42, 16, 8
	v_lshrrev_b32_e32 v49, 24, v42
	v_lshrrev_b32_e32 v46, 24, v38
	v_and_b32_e32 v59, 0xff, v41
	v_add3_u32 v8, v8, v51, v58
	v_and_b32_e32 v63, 0xff, v37
	v_bfe_u32 v57, v37, 8, 8
	v_bfe_u32 v52, v41, 8, 8
	;; [unrolled: 1-line block ×3, first 2 shown]
	v_add3_u32 v7, v62, v54, v49
	v_add3_u32 v8, v8, v46, v59
	v_bfe_u32 v64, v37, 16, 8
	v_lshrrev_b32_e32 v47, 24, v37
	v_lshrrev_b32_e32 v44, 24, v41
	v_and_b32_e32 v5, 0xff, v42
	v_add3_u32 v7, v7, v63, v57
	v_add3_u32 v8, v8, v52, v61
	v_and_b32_e32 v65, 0xff, v39
	v_bfe_u32 v60, v39, 8, 8
	v_add3_u32 v7, v7, v64, v47
	v_add3_u32 v73, v8, v44, v5
	v_mbcnt_lo_u32_b32 v5, -1, 0
	v_bfe_u32 v66, v39, 16, 8
	v_lshrrev_b32_e32 v45, 24, v39
	v_add3_u32 v7, v7, v65, v60
	v_mbcnt_hi_u32_b32 v68, -1, v5
	v_and_b32_e32 v67, 0xff, v40
	v_and_b32_e32 v6, 0xff, v43
	v_add3_u32 v7, v7, v66, v45
	v_and_b32_e32 v72, 15, v68
	s_cmp_lg_u32 s33, 0
	v_add3_u32 v74, v7, v67, v6
	v_cmp_eq_u32_e64 s[6:7], 0, v72
	v_cmp_lt_u32_e64 s[4:5], 1, v72
	v_cmp_lt_u32_e64 s[10:11], 3, v72
	;; [unrolled: 1-line block ×3, first 2 shown]
	v_and_b32_e32 v71, 16, v68
	v_cmp_lt_u32_e32 vcc, 31, v68
	v_lshrrev_b32_e32 v69, 6, v0
	v_or_b32_e32 v70, 63, v0
	s_cbranch_scc0 .LBB357_136
; %bb.115:
	v_mov_b32_dpp v5, v73 row_shr:1 row_mask:0xf bank_mask:0xf
	v_mov_b32_dpp v6, v74 row_shr:1 row_mask:0xf bank_mask:0xf
	v_add_u32_e32 v5, v5, v73
	v_add_u32_e32 v6, v6, v74
	v_cndmask_b32_e64 v6, v6, v74, s[6:7]
	v_cndmask_b32_e64 v5, v5, v73, s[6:7]
	s_nop 0
	v_mov_b32_dpp v8, v6 row_shr:2 row_mask:0xf bank_mask:0xf
	v_mov_b32_dpp v7, v5 row_shr:2 row_mask:0xf bank_mask:0xf
	v_add_u32_e32 v7, v5, v7
	v_add_u32_e32 v8, v6, v8
	v_cndmask_b32_e64 v6, v6, v8, s[4:5]
	v_cndmask_b32_e64 v5, v5, v7, s[4:5]
	s_nop 0
	;; [unrolled: 7-line block ×3, first 2 shown]
	v_mov_b32_dpp v8, v6 row_shr:8 row_mask:0xf bank_mask:0xf
	v_mov_b32_dpp v7, v5 row_shr:8 row_mask:0xf bank_mask:0xf
	v_add_u32_e32 v7, v5, v7
	v_add_u32_e32 v8, v6, v8
	v_cndmask_b32_e64 v6, v6, v8, s[8:9]
	v_cndmask_b32_e64 v7, v5, v7, s[8:9]
	v_cmp_eq_u32_e64 s[8:9], 0, v71
	v_mov_b32_dpp v8, v6 row_bcast:15 row_mask:0xf bank_mask:0xf
	v_mov_b32_dpp v5, v7 row_bcast:15 row_mask:0xf bank_mask:0xf
	v_add_u32_e32 v9, v7, v5
	v_add_u32_e32 v5, v6, v8
	v_cndmask_b32_e64 v5, v5, v6, s[8:9]
	v_cndmask_b32_e64 v6, v9, v7, s[8:9]
	v_cmp_eq_u32_e64 s[8:9], v0, v70
	v_mov_b32_dpp v7, v5 row_bcast:31 row_mask:0xf bank_mask:0xf
	v_mov_b32_dpp v8, v6 row_bcast:31 row_mask:0xf bank_mask:0xf
	v_add_u32_e32 v7, v5, v7
	v_add_u32_e32 v8, v6, v8
	s_and_saveexec_b64 s[10:11], s[8:9]
; %bb.116:
	v_lshlrev_b32_e32 v11, 3, v69
	v_cndmask_b32_e32 v10, v5, v7, vcc
	v_cndmask_b32_e32 v9, v6, v8, vcc
	ds_write_b64 v11, v[9:10]
; %bb.117:
	s_or_b64 exec, exec, s[10:11]
	v_cmp_gt_u32_e64 s[8:9], 4, v0
	s_waitcnt lgkmcnt(0)
	s_barrier
	s_and_saveexec_b64 s[10:11], s[8:9]
	s_cbranch_execz .LBB357_119
; %bb.118:
	v_lshlrev_b32_e32 v11, 3, v0
	ds_read_b64 v[9:10], v11
	v_and_b32_e32 v12, 3, v68
	v_cmp_eq_u32_e64 s[8:9], 0, v12
	s_waitcnt lgkmcnt(0)
	v_mov_b32_dpp v25, v9 row_shr:1 row_mask:0xf bank_mask:0xf
	v_mov_b32_dpp v26, v10 row_shr:1 row_mask:0xf bank_mask:0xf
	v_add_u32_e32 v25, v25, v9
	v_add_u32_e32 v26, v26, v10
	v_cndmask_b32_e64 v10, v26, v10, s[8:9]
	v_cndmask_b32_e64 v9, v25, v9, s[8:9]
	v_cmp_lt_u32_e64 s[8:9], 1, v12
	v_mov_b32_dpp v26, v10 row_shr:2 row_mask:0xf bank_mask:0xf
	v_mov_b32_dpp v25, v9 row_shr:2 row_mask:0xf bank_mask:0xf
	v_cndmask_b32_e64 v12, 0, v25, s[8:9]
	v_cndmask_b32_e64 v25, 0, v26, s[8:9]
	v_add_u32_e32 v10, v25, v10
	v_add_u32_e32 v9, v12, v9
	ds_write_b64 v11, v[9:10]
.LBB357_119:
	s_or_b64 exec, exec, s[10:11]
	v_cndmask_b32_e32 v5, v5, v7, vcc
	v_cndmask_b32_e32 v6, v6, v8, vcc
	v_cmp_gt_u32_e32 vcc, 64, v0
	v_cmp_lt_u32_e64 s[8:9], 63, v0
	s_waitcnt lgkmcnt(0)
	s_barrier
                                        ; implicit-def: $vgpr25
	s_and_saveexec_b64 s[10:11], s[8:9]
	s_cbranch_execz .LBB357_121
; %bb.120:
	v_lshl_add_u32 v7, v69, 3, -8
	ds_read_b64 v[25:26], v7
	s_waitcnt lgkmcnt(0)
	v_add_u32_e32 v5, v26, v5
	v_add_u32_e32 v6, v25, v6
.LBB357_121:
	s_or_b64 exec, exec, s[10:11]
	v_subrev_co_u32_e64 v7, s[8:9], 1, v68
	v_and_b32_e32 v8, 64, v68
	v_cmp_lt_i32_e64 s[10:11], v7, v8
	v_cndmask_b32_e64 v7, v7, v68, s[10:11]
	v_lshlrev_b32_e32 v7, 2, v7
	ds_bpermute_b32 v75, v7, v6
	ds_bpermute_b32 v76, v7, v5
	s_and_saveexec_b64 s[10:11], vcc
	s_cbranch_execz .LBB357_141
; %bb.122:
	v_mov_b32_e32 v8, 0
	ds_read_b64 v[5:6], v8 offset:24
	s_and_saveexec_b64 s[12:13], s[8:9]
	s_cbranch_execz .LBB357_124
; %bb.123:
	s_add_i32 s14, s33, 64
	s_mov_b32 s15, 0
	s_lshl_b64 s[14:15], s[14:15], 4
	s_add_u32 s14, s54, s14
	s_addc_u32 s15, s55, s15
	v_mov_b32_e32 v9, s14
	v_mov_b32_e32 v7, 1
	;; [unrolled: 1-line block ×3, first 2 shown]
	s_waitcnt lgkmcnt(0)
	;;#ASMSTART
	global_store_dwordx4 v[9:10], v[5:8] off	
s_waitcnt vmcnt(0)
	;;#ASMEND
.LBB357_124:
	s_or_b64 exec, exec, s[12:13]
	v_xad_u32 v27, v68, -1, s33
	v_add_u32_e32 v7, 64, v27
	v_lshlrev_b64 v[9:10], 4, v[7:8]
	v_mov_b32_e32 v7, s55
	v_add_co_u32_e32 v28, vcc, s54, v9
	v_addc_co_u32_e32 v29, vcc, v7, v10, vcc
	;;#ASMSTART
	global_load_dwordx4 v[9:12], v[28:29] off glc	
s_waitcnt vmcnt(0)
	;;#ASMEND
	v_cmp_eq_u16_sdwa s[14:15], v11, v8 src0_sel:BYTE_0 src1_sel:DWORD
	s_and_saveexec_b64 s[12:13], s[14:15]
	s_cbranch_execz .LBB357_128
; %bb.125:
	s_mov_b64 s[14:15], 0
	v_mov_b32_e32 v7, 0
.LBB357_126:                            ; =>This Inner Loop Header: Depth=1
	;;#ASMSTART
	global_load_dwordx4 v[9:12], v[28:29] off glc	
s_waitcnt vmcnt(0)
	;;#ASMEND
	v_cmp_ne_u16_sdwa s[18:19], v11, v7 src0_sel:BYTE_0 src1_sel:DWORD
	s_or_b64 s[14:15], s[18:19], s[14:15]
	s_andn2_b64 exec, exec, s[14:15]
	s_cbranch_execnz .LBB357_126
; %bb.127:
	s_or_b64 exec, exec, s[14:15]
.LBB357_128:
	s_or_b64 exec, exec, s[12:13]
	v_and_b32_e32 v78, 63, v68
	v_cmp_ne_u32_e32 vcc, 63, v78
	v_mov_b32_e32 v77, 2
	v_lshlrev_b64 v[29:30], v68, -1
	v_addc_co_u32_e32 v12, vcc, 0, v68, vcc
	v_cmp_eq_u16_sdwa s[12:13], v11, v77 src0_sel:BYTE_0 src1_sel:DWORD
	v_lshlrev_b32_e32 v79, 2, v12
	v_and_b32_e32 v7, s13, v30
	ds_bpermute_b32 v12, v79, v9
	ds_bpermute_b32 v28, v79, v10
	v_or_b32_e32 v7, 0x80000000, v7
	v_and_b32_e32 v8, s12, v29
	v_ffbl_b32_e32 v7, v7
	v_add_u32_e32 v7, 32, v7
	v_ffbl_b32_e32 v8, v8
	v_min_u32_e32 v7, v8, v7
	s_waitcnt lgkmcnt(1)
	v_add_u32_e32 v8, v12, v9
	s_waitcnt lgkmcnt(0)
	v_add_u32_e32 v12, v28, v10
	v_cmp_lt_u32_e32 vcc, v78, v7
	v_cndmask_b32_e32 v10, v10, v12, vcc
	v_cndmask_b32_e32 v8, v9, v8, vcc
	v_cmp_gt_u32_e32 vcc, 62, v78
	v_cndmask_b32_e64 v9, 0, 2, vcc
	v_add_lshl_u32 v80, v9, v68, 2
	ds_bpermute_b32 v9, v80, v8
	ds_bpermute_b32 v12, v80, v10
	v_add_u32_e32 v81, 2, v78
	v_cmp_gt_u32_e32 vcc, v81, v7
	v_add_u32_e32 v83, 4, v78
	s_waitcnt lgkmcnt(1)
	v_add_u32_e32 v9, v8, v9
	s_waitcnt lgkmcnt(0)
	v_add_u32_e32 v12, v10, v12
	v_cndmask_b32_e32 v10, v12, v10, vcc
	v_cndmask_b32_e32 v8, v9, v8, vcc
	v_cmp_gt_u32_e32 vcc, 60, v78
	v_cndmask_b32_e64 v9, 0, 4, vcc
	v_add_lshl_u32 v82, v9, v68, 2
	ds_bpermute_b32 v9, v82, v8
	ds_bpermute_b32 v12, v82, v10
	v_cmp_gt_u32_e32 vcc, v83, v7
	v_add_u32_e32 v85, 8, v78
	v_add_u32_e32 v87, 16, v78
	s_waitcnt lgkmcnt(1)
	v_add_u32_e32 v9, v8, v9
	s_waitcnt lgkmcnt(0)
	v_add_u32_e32 v12, v10, v12
	v_cndmask_b32_e32 v10, v12, v10, vcc
	v_cndmask_b32_e32 v8, v9, v8, vcc
	v_cmp_gt_u32_e32 vcc, 56, v78
	v_cndmask_b32_e64 v9, 0, 8, vcc
	v_add_lshl_u32 v84, v9, v68, 2
	ds_bpermute_b32 v9, v84, v8
	ds_bpermute_b32 v12, v84, v10
	v_cmp_gt_u32_e32 vcc, v85, v7
	v_add_u32_e32 v89, 32, v78
	v_mov_b32_e32 v28, 0
	s_waitcnt lgkmcnt(1)
	v_add_u32_e32 v9, v8, v9
	s_waitcnt lgkmcnt(0)
	v_add_u32_e32 v12, v10, v12
	v_cndmask_b32_e32 v10, v12, v10, vcc
	v_cndmask_b32_e32 v8, v9, v8, vcc
	v_cmp_gt_u32_e32 vcc, 48, v78
	v_cndmask_b32_e64 v9, 0, 16, vcc
	v_add_lshl_u32 v86, v9, v68, 2
	ds_bpermute_b32 v9, v86, v8
	ds_bpermute_b32 v12, v86, v10
	v_cmp_gt_u32_e32 vcc, v87, v7
	s_waitcnt lgkmcnt(1)
	v_add_u32_e32 v9, v8, v9
	s_waitcnt lgkmcnt(0)
	v_add_u32_e32 v12, v10, v12
	v_cndmask_b32_e32 v8, v9, v8, vcc
	v_mov_b32_e32 v9, 0x80
	v_cndmask_b32_e32 v10, v12, v10, vcc
	v_lshl_or_b32 v88, v68, 2, v9
	ds_bpermute_b32 v9, v88, v8
	ds_bpermute_b32 v12, v88, v10
	v_cmp_le_u32_e32 vcc, v89, v7
	s_waitcnt lgkmcnt(1)
	v_cndmask_b32_e32 v7, 0, v9, vcc
	s_waitcnt lgkmcnt(0)
	v_cndmask_b32_e32 v9, 0, v12, vcc
	v_add_u32_e32 v10, v10, v9
	v_add_u32_e32 v9, v8, v7
	s_branch .LBB357_132
.LBB357_129:                            ;   in Loop: Header=BB357_132 Depth=1
	s_or_b64 exec, exec, s[14:15]
.LBB357_130:                            ;   in Loop: Header=BB357_132 Depth=1
	s_or_b64 exec, exec, s[12:13]
	v_cmp_eq_u16_sdwa s[12:13], v11, v77 src0_sel:BYTE_0 src1_sel:DWORD
	v_and_b32_e32 v12, s13, v30
	ds_bpermute_b32 v32, v79, v9
	ds_bpermute_b32 v90, v79, v10
	v_or_b32_e32 v12, 0x80000000, v12
	v_and_b32_e32 v31, s12, v29
	v_ffbl_b32_e32 v12, v12
	v_add_u32_e32 v12, 32, v12
	v_ffbl_b32_e32 v31, v31
	v_min_u32_e32 v12, v31, v12
	s_waitcnt lgkmcnt(1)
	v_add_u32_e32 v31, v32, v9
	s_waitcnt lgkmcnt(0)
	v_add_u32_e32 v32, v90, v10
	v_cmp_lt_u32_e32 vcc, v78, v12
	v_cndmask_b32_e32 v10, v10, v32, vcc
	v_cndmask_b32_e32 v9, v9, v31, vcc
	ds_bpermute_b32 v31, v80, v9
	ds_bpermute_b32 v32, v80, v10
	v_cmp_gt_u32_e32 vcc, v81, v12
	v_subrev_u32_e32 v27, 64, v27
	s_mov_b64 s[12:13], 0
	s_waitcnt lgkmcnt(1)
	v_add_u32_e32 v31, v9, v31
	s_waitcnt lgkmcnt(0)
	v_add_u32_e32 v32, v10, v32
	v_cndmask_b32_e32 v10, v32, v10, vcc
	v_cndmask_b32_e32 v9, v31, v9, vcc
	ds_bpermute_b32 v31, v82, v9
	ds_bpermute_b32 v32, v82, v10
	v_cmp_gt_u32_e32 vcc, v83, v12
	s_waitcnt lgkmcnt(1)
	v_add_u32_e32 v31, v9, v31
	s_waitcnt lgkmcnt(0)
	v_add_u32_e32 v32, v10, v32
	v_cndmask_b32_e32 v10, v32, v10, vcc
	v_cndmask_b32_e32 v9, v31, v9, vcc
	ds_bpermute_b32 v31, v84, v9
	ds_bpermute_b32 v32, v84, v10
	v_cmp_gt_u32_e32 vcc, v85, v12
	;; [unrolled: 9-line block ×3, first 2 shown]
	s_waitcnt lgkmcnt(1)
	v_add_u32_e32 v31, v9, v31
	s_waitcnt lgkmcnt(0)
	v_add_u32_e32 v32, v10, v32
	v_cndmask_b32_e32 v10, v32, v10, vcc
	v_cndmask_b32_e32 v9, v31, v9, vcc
	ds_bpermute_b32 v31, v88, v9
	ds_bpermute_b32 v32, v88, v10
	v_cmp_le_u32_e32 vcc, v89, v12
	s_waitcnt lgkmcnt(1)
	v_cndmask_b32_e32 v12, 0, v31, vcc
	s_waitcnt lgkmcnt(0)
	v_cndmask_b32_e32 v31, 0, v32, vcc
	v_add3_u32 v10, v31, v8, v10
	v_add3_u32 v9, v12, v7, v9
.LBB357_131:                            ;   in Loop: Header=BB357_132 Depth=1
	s_and_b64 vcc, exec, s[12:13]
	s_cbranch_vccnz .LBB357_137
.LBB357_132:                            ; =>This Loop Header: Depth=1
                                        ;     Child Loop BB357_135 Depth 2
	v_mov_b32_e32 v7, v9
	v_cmp_ne_u16_sdwa s[12:13], v11, v77 src0_sel:BYTE_0 src1_sel:DWORD
	v_mov_b32_e32 v8, v10
	s_cmp_lg_u64 s[12:13], exec
	s_mov_b64 s[12:13], -1
                                        ; implicit-def: $vgpr11
                                        ; implicit-def: $vgpr9_vgpr10
	s_cbranch_scc1 .LBB357_131
; %bb.133:                              ;   in Loop: Header=BB357_132 Depth=1
	v_lshlrev_b64 v[9:10], 4, v[27:28]
	v_mov_b32_e32 v11, s55
	v_add_co_u32_e32 v31, vcc, s54, v9
	v_addc_co_u32_e32 v32, vcc, v11, v10, vcc
	;;#ASMSTART
	global_load_dwordx4 v[9:12], v[31:32] off glc	
s_waitcnt vmcnt(0)
	;;#ASMEND
	v_cmp_eq_u16_sdwa s[14:15], v11, v28 src0_sel:BYTE_0 src1_sel:DWORD
	s_and_saveexec_b64 s[12:13], s[14:15]
	s_cbranch_execz .LBB357_130
; %bb.134:                              ;   in Loop: Header=BB357_132 Depth=1
	s_mov_b64 s[14:15], 0
.LBB357_135:                            ;   Parent Loop BB357_132 Depth=1
                                        ; =>  This Inner Loop Header: Depth=2
	;;#ASMSTART
	global_load_dwordx4 v[9:12], v[31:32] off glc	
s_waitcnt vmcnt(0)
	;;#ASMEND
	v_cmp_ne_u16_sdwa s[18:19], v11, v28 src0_sel:BYTE_0 src1_sel:DWORD
	s_or_b64 s[14:15], s[18:19], s[14:15]
	s_andn2_b64 exec, exec, s[14:15]
	s_cbranch_execnz .LBB357_135
	s_branch .LBB357_129
.LBB357_136:
                                        ; implicit-def: $vgpr12
                                        ; implicit-def: $vgpr7
                                        ; implicit-def: $vgpr25
	s_cbranch_execnz .LBB357_142
	s_branch .LBB357_151
.LBB357_137:
	s_and_saveexec_b64 s[12:13], s[8:9]
	s_cbranch_execnz .LBB357_379
; %bb.138:
	s_or_b64 exec, exec, s[12:13]
	s_and_saveexec_b64 s[12:13], s[8:9]
	s_cbranch_execnz .LBB357_380
.LBB357_139:
	s_or_b64 exec, exec, s[12:13]
	s_and_b64 exec, exec, s[0:1]
.LBB357_140:
	v_mov_b32_e32 v5, 0
	ds_write_b64 v5, v[7:8] offset:24
.LBB357_141:
	s_or_b64 exec, exec, s[10:11]
	v_mov_b32_e32 v5, 0
	s_waitcnt lgkmcnt(0)
	s_barrier
	ds_read_b64 v[9:10], v5 offset:24
	v_cndmask_b32_e64 v6, v75, v25, s[8:9]
	s_waitcnt lgkmcnt(0)
	s_barrier
	v_add_u32_e32 v25, v9, v6
	ds_read_b128 v[5:8], v5 offset:13312
	v_cndmask_b32_e64 v11, v76, v26, s[8:9]
	v_add_u32_e32 v11, v10, v11
	v_cndmask_b32_e64 v12, v11, v10, s[0:1]
	v_cndmask_b32_e64 v25, v25, v9, s[0:1]
	s_branch .LBB357_151
.LBB357_142:
	s_waitcnt lgkmcnt(0)
	v_mov_b32_dpp v5, v73 row_shr:1 row_mask:0xf bank_mask:0xf
	v_mov_b32_dpp v6, v74 row_shr:1 row_mask:0xf bank_mask:0xf
	v_add_u32_e32 v5, v5, v73
	v_add_u32_e32 v6, v6, v74
	v_cndmask_b32_e64 v6, v6, v74, s[6:7]
	v_cndmask_b32_e64 v5, v5, v73, s[6:7]
	v_cmp_lt_u32_e32 vcc, 3, v72
	v_mov_b32_dpp v8, v6 row_shr:2 row_mask:0xf bank_mask:0xf
	v_mov_b32_dpp v7, v5 row_shr:2 row_mask:0xf bank_mask:0xf
	v_add_u32_e32 v7, v5, v7
	v_add_u32_e32 v8, v6, v8
	v_cndmask_b32_e64 v6, v6, v8, s[4:5]
	v_cndmask_b32_e64 v5, v5, v7, s[4:5]
	v_cmp_eq_u32_e64 s[4:5], v0, v70
	v_mov_b32_dpp v8, v6 row_shr:4 row_mask:0xf bank_mask:0xf
	v_mov_b32_dpp v7, v5 row_shr:4 row_mask:0xf bank_mask:0xf
	v_add_u32_e32 v7, v5, v7
	v_add_u32_e32 v8, v6, v8
	v_cndmask_b32_e32 v6, v6, v8, vcc
	v_cndmask_b32_e32 v5, v5, v7, vcc
	v_cmp_lt_u32_e32 vcc, 7, v72
	v_mov_b32_dpp v8, v6 row_shr:8 row_mask:0xf bank_mask:0xf
	v_mov_b32_dpp v7, v5 row_shr:8 row_mask:0xf bank_mask:0xf
	v_add_u32_e32 v7, v5, v7
	v_add_u32_e32 v8, v6, v8
	v_cndmask_b32_e32 v6, v6, v8, vcc
	v_cndmask_b32_e32 v7, v5, v7, vcc
	v_cmp_eq_u32_e32 vcc, 0, v71
	v_mov_b32_dpp v8, v6 row_bcast:15 row_mask:0xf bank_mask:0xf
	v_mov_b32_dpp v5, v7 row_bcast:15 row_mask:0xf bank_mask:0xf
	v_add_u32_e32 v9, v7, v5
	v_add_u32_e32 v5, v6, v8
	v_cndmask_b32_e32 v5, v5, v6, vcc
	v_cndmask_b32_e32 v6, v9, v7, vcc
	v_cmp_lt_u32_e32 vcc, 31, v68
	v_mov_b32_dpp v7, v5 row_bcast:31 row_mask:0xf bank_mask:0xf
	v_mov_b32_dpp v8, v6 row_bcast:31 row_mask:0xf bank_mask:0xf
	v_add_u32_e32 v7, v5, v7
	v_add_u32_e32 v8, v6, v8
	s_and_saveexec_b64 s[6:7], s[4:5]
; %bb.143:
	v_cndmask_b32_e32 v9, v6, v8, vcc
	v_cndmask_b32_e32 v10, v5, v7, vcc
	v_lshlrev_b32_e32 v11, 3, v69
	ds_write_b64 v11, v[9:10]
; %bb.144:
	s_or_b64 exec, exec, s[6:7]
	v_cmp_gt_u32_e64 s[4:5], 4, v0
	s_waitcnt lgkmcnt(0)
	s_barrier
	s_and_saveexec_b64 s[6:7], s[4:5]
	s_cbranch_execz .LBB357_146
; %bb.145:
	v_lshlrev_b32_e32 v11, 3, v0
	ds_read_b64 v[9:10], v11
	v_and_b32_e32 v12, 3, v68
	v_cmp_eq_u32_e64 s[4:5], 0, v12
	s_waitcnt lgkmcnt(0)
	v_mov_b32_dpp v25, v9 row_shr:1 row_mask:0xf bank_mask:0xf
	v_mov_b32_dpp v26, v10 row_shr:1 row_mask:0xf bank_mask:0xf
	v_add_u32_e32 v25, v25, v9
	v_add_u32_e32 v26, v26, v10
	v_cndmask_b32_e64 v10, v26, v10, s[4:5]
	v_cndmask_b32_e64 v9, v25, v9, s[4:5]
	v_cmp_lt_u32_e64 s[4:5], 1, v12
	v_mov_b32_dpp v26, v10 row_shr:2 row_mask:0xf bank_mask:0xf
	v_mov_b32_dpp v25, v9 row_shr:2 row_mask:0xf bank_mask:0xf
	v_cndmask_b32_e64 v12, 0, v25, s[4:5]
	v_cndmask_b32_e64 v25, 0, v26, s[4:5]
	v_add_u32_e32 v10, v25, v10
	v_add_u32_e32 v9, v12, v9
	ds_write_b64 v11, v[9:10]
.LBB357_146:
	s_or_b64 exec, exec, s[6:7]
	v_cmp_lt_u32_e64 s[4:5], 63, v0
	v_mov_b32_e32 v11, 0
	v_mov_b32_e32 v9, 0
	;; [unrolled: 1-line block ×3, first 2 shown]
	s_waitcnt lgkmcnt(0)
	s_barrier
	s_and_saveexec_b64 s[6:7], s[4:5]
; %bb.147:
	v_lshl_add_u32 v9, v69, 3, -8
	ds_read_b64 v[9:10], v9
; %bb.148:
	s_or_b64 exec, exec, s[6:7]
	v_cndmask_b32_e32 v6, v6, v8, vcc
	v_cndmask_b32_e32 v5, v5, v7, vcc
	v_subrev_co_u32_e32 v7, vcc, 1, v68
	v_and_b32_e32 v8, 64, v68
	v_cmp_lt_i32_e64 s[4:5], v7, v8
	v_cndmask_b32_e64 v7, v7, v68, s[4:5]
	s_waitcnt lgkmcnt(0)
	v_add_u32_e32 v5, v10, v5
	v_add_u32_e32 v6, v9, v6
	v_lshlrev_b32_e32 v7, 2, v7
	ds_bpermute_b32 v12, v7, v6
	ds_bpermute_b32 v25, v7, v5
	ds_read_b64 v[5:6], v11 offset:24
	s_and_saveexec_b64 s[4:5], s[0:1]
	s_cbranch_execz .LBB357_150
; %bb.149:
	s_add_u32 s6, s54, 0x400
	s_addc_u32 s7, s55, 0
	v_mov_b32_e32 v27, s7
	v_mov_b32_e32 v7, 2
	;; [unrolled: 1-line block ×4, first 2 shown]
	s_waitcnt lgkmcnt(0)
	;;#ASMSTART
	global_store_dwordx4 v[26:27], v[5:8] off	
s_waitcnt vmcnt(0)
	;;#ASMEND
.LBB357_150:
	s_or_b64 exec, exec, s[4:5]
	s_waitcnt lgkmcnt(2)
	v_cndmask_b32_e32 v7, v12, v9, vcc
	s_waitcnt lgkmcnt(1)
	v_cndmask_b32_e32 v8, v25, v10, vcc
	v_cndmask_b32_e64 v12, v8, 0, s[0:1]
	v_cndmask_b32_e64 v25, v7, 0, s[0:1]
	v_mov_b32_e32 v8, 0
	v_mov_b32_e32 v7, 0
	s_waitcnt lgkmcnt(0)
	s_barrier
.LBB357_151:
	s_waitcnt lgkmcnt(0)
	v_add_co_u32_e32 v1, vcc, v1, v7
	v_addc_co_u32_e32 v2, vcc, 0, v2, vcc
	v_sub_co_u32_e32 v29, vcc, v3, v5
	v_add_u32_e32 v32, v12, v54
	v_subbrev_co_u32_e32 v30, vcc, 0, v4, vcc
	v_lshlrev_b32_e32 v72, 1, v5
	v_sub_u32_e32 v12, v12, v8
	v_lshrrev_b32_e32 v28, 8, v42
	v_add_u32_e32 v31, v25, v53
	v_add_co_u32_e32 v29, vcc, v29, v8
	v_add_u32_e32 v73, v72, v6
	v_sub_u32_e32 v25, v25, v7
	v_add_u32_e32 v12, v12, v5
	v_addc_co_u32_e32 v30, vcc, 0, v30, vcc
	v_add_u32_e32 v35, v73, v35
	v_and_b32_e32 v28, 1, v28
	v_add_u32_e32 v74, v25, v12
	v_and_b32_e32 v73, 1, v36
	v_sub_u32_e32 v74, v35, v74
	v_cmp_eq_u32_e32 vcc, 1, v28
	v_cndmask_b32_e32 v12, v74, v12, vcc
	v_cmp_eq_u32_e32 vcc, 1, v73
	v_cndmask_b32_e32 v12, v12, v25, vcc
	v_lshlrev_b32_e32 v12, 2, v12
	v_sub_u32_e32 v25, v32, v8
	v_lshrrev_b32_e32 v27, 8, v36
	ds_write_b32 v12, v23
	v_sub_u32_e32 v12, v31, v7
	v_add_u32_e32 v25, v25, v5
	v_add_u32_e32 v50, v31, v50
	v_and_b32_e32 v23, 1, v27
	v_mov_b32_e32 v27, 1
	v_add_u32_e32 v31, v25, v12
	v_and_b32_sdwa v28, v27, v42 dst_sel:DWORD dst_unused:UNUSED_PAD src0_sel:DWORD src1_sel:WORD_1
	v_sub_u32_e32 v31, v35, v31
	v_add_u32_e32 v31, 1, v31
	v_cmp_eq_u32_e32 vcc, 1, v28
	v_cndmask_b32_e32 v25, v31, v25, vcc
	v_cmp_eq_u32_e32 vcc, 1, v23
	v_cndmask_b32_e32 v12, v25, v12, vcc
	v_add_u32_e32 v53, v32, v62
	v_lshlrev_b32_e32 v12, 2, v12
	ds_write_b32 v12, v24
	v_sub_u32_e32 v24, v53, v8
	v_sub_u32_e32 v12, v50, v7
	v_add_u32_e32 v24, v24, v5
	v_add_u32_e32 v28, v24, v12
	v_and_b32_e32 v25, 1, v49
	v_sub_u32_e32 v28, v35, v28
	v_and_b32_sdwa v23, v27, v36 dst_sel:DWORD dst_unused:UNUSED_PAD src0_sel:DWORD src1_sel:WORD_1
	v_add_u32_e32 v28, 2, v28
	v_cmp_eq_u32_e32 vcc, 1, v25
	v_cndmask_b32_e32 v24, v28, v24, vcc
	v_cmp_eq_u32_e32 vcc, 1, v23
	v_add_u32_e32 v54, v50, v55
	v_add_u32_e32 v55, v53, v49
	v_cndmask_b32_e32 v12, v24, v12, vcc
	v_lshlrev_b32_e32 v12, 2, v12
	v_sub_u32_e32 v23, v55, v8
	ds_write_b32 v12, v21
	v_sub_u32_e32 v12, v54, v7
	v_add_u32_e32 v23, v23, v5
	v_add_u32_e32 v25, v12, v23
	v_and_b32_e32 v24, 1, v37
	v_sub_u32_e32 v25, v35, v25
	v_and_b32_e32 v21, 1, v48
	v_add_u32_e32 v25, 3, v25
	v_cmp_eq_u32_e32 vcc, 1, v24
	v_cndmask_b32_e32 v23, v25, v23, vcc
	v_cmp_eq_u32_e32 vcc, 1, v21
	v_cndmask_b32_e32 v12, v23, v12, vcc
	v_add_u32_e32 v62, v55, v63
	v_lshlrev_b32_e32 v12, 2, v12
	v_add_u32_e32 v63, v54, v48
	ds_write_b32 v12, v22
	v_sub_u32_e32 v22, v62, v8
	v_sub_u32_e32 v12, v63, v7
	v_add_u32_e32 v22, v22, v5
	v_lshrrev_b32_e32 v26, 8, v37
	v_add_u32_e32 v24, v12, v22
	v_and_b32_e32 v23, 1, v26
	v_sub_u32_e32 v24, v35, v24
	v_and_b32_e32 v21, 1, v38
	v_add_u32_e32 v24, 4, v24
	v_cmp_eq_u32_e32 vcc, 1, v23
	v_cndmask_b32_e32 v22, v24, v22, vcc
	v_cmp_eq_u32_e32 vcc, 1, v21
	v_cndmask_b32_e32 v12, v22, v12, vcc
	v_add_u32_e32 v57, v62, v57
	v_lshlrev_b32_e32 v12, 2, v12
	v_add_u32_e32 v56, v63, v56
	ds_write_b32 v12, v19
	v_sub_u32_e32 v19, v57, v8
	v_sub_u32_e32 v12, v56, v7
	v_add_u32_e32 v19, v19, v5
	v_add_u32_e32 v22, v12, v19
	v_lshrrev_b32_e32 v11, 8, v38
	v_and_b32_sdwa v21, v27, v37 dst_sel:DWORD dst_unused:UNUSED_PAD src0_sel:DWORD src1_sel:WORD_1
	v_sub_u32_e32 v22, v35, v22
	v_and_b32_e32 v11, 1, v11
	v_add_u32_e32 v22, 5, v22
	v_cmp_eq_u32_e32 vcc, 1, v21
	v_cndmask_b32_e32 v19, v22, v19, vcc
	v_cmp_eq_u32_e32 vcc, 1, v11
	v_add_u32_e32 v64, v57, v64
	v_cndmask_b32_e32 v11, v19, v12, vcc
	v_add_u32_e32 v51, v56, v51
	v_lshlrev_b32_e32 v11, 2, v11
	v_sub_u32_e32 v19, v64, v8
	ds_write_b32 v11, v20
	v_sub_u32_e32 v11, v51, v7
	v_add_u32_e32 v19, v19, v5
	v_add_u32_e32 v21, v11, v19
	v_and_b32_e32 v20, 1, v47
	v_sub_u32_e32 v21, v35, v21
	v_and_b32_sdwa v12, v27, v38 dst_sel:DWORD dst_unused:UNUSED_PAD src0_sel:DWORD src1_sel:WORD_1
	v_add_u32_e32 v21, 6, v21
	v_cmp_eq_u32_e32 vcc, 1, v20
	v_cndmask_b32_e32 v19, v21, v19, vcc
	v_cmp_eq_u32_e32 vcc, 1, v12
	v_cndmask_b32_e32 v11, v19, v11, vcc
	v_add_u32_e32 v68, v64, v47
	v_lshlrev_b32_e32 v11, 2, v11
	v_add_u32_e32 v58, v51, v58
	ds_write_b32 v11, v17
	v_sub_u32_e32 v17, v68, v8
	v_sub_u32_e32 v11, v58, v7
	v_add_u32_e32 v17, v17, v5
	v_add_u32_e32 v20, v11, v17
	v_and_b32_e32 v19, 1, v39
	v_sub_u32_e32 v20, v35, v20
	v_and_b32_e32 v12, 1, v46
	v_add_u32_e32 v20, 7, v20
	v_cmp_eq_u32_e32 vcc, 1, v19
	v_cndmask_b32_e32 v17, v20, v17, vcc
	v_cmp_eq_u32_e32 vcc, 1, v12
	v_add_u32_e32 v65, v68, v65
	v_cndmask_b32_e32 v11, v17, v11, vcc
	v_add_u32_e32 v69, v58, v46
	v_lshlrev_b32_e32 v11, 2, v11
	v_sub_u32_e32 v17, v65, v8
	ds_write_b32 v11, v18
	v_sub_u32_e32 v11, v69, v7
	v_add_u32_e32 v17, v17, v5
	v_lshrrev_b32_e32 v10, 8, v39
	v_add_u32_e32 v18, v11, v17
	v_and_b32_e32 v10, 1, v10
	v_sub_u32_e32 v18, v35, v18
	v_and_b32_e32 v12, 1, v41
	v_add_u32_e32 v18, 8, v18
	v_cmp_eq_u32_e32 vcc, 1, v10
	v_cndmask_b32_e32 v10, v18, v17, vcc
	v_cmp_eq_u32_e32 vcc, 1, v12
	v_add_u32_e32 v60, v65, v60
	v_cndmask_b32_e32 v10, v10, v11, vcc
	v_add_u32_e32 v59, v69, v59
	v_lshlrev_b32_e32 v10, 2, v10
	v_sub_u32_e32 v11, v60, v8
	ds_write_b32 v10, v15
	v_sub_u32_e32 v10, v59, v7
	v_add_u32_e32 v11, v11, v5
	v_add_u32_e32 v15, v10, v11
	v_lshrrev_b32_e32 v9, 8, v41
	v_and_b32_sdwa v12, v27, v39 dst_sel:DWORD dst_unused:UNUSED_PAD src0_sel:DWORD src1_sel:WORD_1
	v_sub_u32_e32 v15, v35, v15
	v_and_b32_e32 v9, 1, v9
	v_add_u32_e32 v15, 9, v15
	v_cmp_eq_u32_e32 vcc, 1, v12
	v_cndmask_b32_e32 v11, v15, v11, vcc
	v_cmp_eq_u32_e32 vcc, 1, v9
	v_add_u32_e32 v66, v60, v66
	v_cndmask_b32_e32 v9, v11, v10, vcc
	v_add_u32_e32 v52, v59, v52
	v_lshlrev_b32_e32 v9, 2, v9
	v_sub_u32_e32 v11, v66, v8
	ds_write_b32 v9, v16
	v_sub_u32_e32 v9, v52, v7
	v_add_u32_e32 v11, v11, v5
	v_add_u32_e32 v15, v9, v11
	v_and_b32_e32 v12, 1, v45
	v_sub_u32_e32 v15, v35, v15
	v_and_b32_sdwa v10, v27, v41 dst_sel:DWORD dst_unused:UNUSED_PAD src0_sel:DWORD src1_sel:WORD_1
	v_add_u32_e32 v15, 10, v15
	v_cmp_eq_u32_e32 vcc, 1, v12
	v_cndmask_b32_e32 v11, v15, v11, vcc
	v_cmp_eq_u32_e32 vcc, 1, v10
	v_add_u32_e32 v70, v66, v45
	v_cndmask_b32_e32 v9, v11, v9, vcc
	v_add_u32_e32 v61, v52, v61
	v_lshlrev_b32_e32 v9, 2, v9
	v_sub_u32_e32 v11, v70, v8
	ds_write_b32 v9, v13
	v_sub_u32_e32 v9, v61, v7
	v_add_u32_e32 v11, v11, v5
	v_add_u32_e32 v13, v9, v11
	v_and_b32_e32 v12, 1, v40
	v_sub_u32_e32 v13, v35, v13
	v_add_u32_e32 v67, v70, v67
	v_and_b32_e32 v10, 1, v44
	v_add_u32_e32 v13, 11, v13
	v_cmp_eq_u32_e32 vcc, 1, v12
	v_add_u32_e32 v71, v61, v44
	v_cndmask_b32_e32 v11, v13, v11, vcc
	v_cmp_eq_u32_e32 vcc, 1, v10
	v_sub_u32_e32 v10, v67, v8
	v_sub_u32_e32 v7, v71, v7
	v_add_u32_e32 v10, v10, v5
	v_cndmask_b32_e32 v9, v11, v9, vcc
	v_add_u32_e32 v12, v7, v10
	v_lshlrev_b32_e32 v9, 2, v9
	v_and_b32_e32 v11, 1, v43
	v_sub_u32_e32 v12, v35, v12
	ds_write_b32 v9, v14
	v_and_b32_e32 v9, 1, v42
	v_add_u32_e32 v12, 12, v12
	v_cmp_eq_u32_e32 vcc, 1, v11
	v_cndmask_b32_e32 v10, v12, v10, vcc
	v_cmp_eq_u32_e32 vcc, 1, v9
	v_cndmask_b32_e32 v7, v10, v7, vcc
	v_lshlrev_b32_e32 v7, 2, v7
	ds_write_b32 v7, v34
	v_mov_b32_e32 v7, s53
	v_add_co_u32_e32 v9, vcc, s52, v33
	v_addc_co_u32_e32 v10, vcc, 0, v7, vcc
	v_add_co_u32_e32 v7, vcc, v6, v72
	v_addc_co_u32_e64 v11, s[4:5], 0, 0, vcc
	v_add_co_u32_e32 v7, vcc, v7, v29
	v_addc_co_u32_e32 v11, vcc, v11, v30, vcc
	v_add_co_u32_e32 v7, vcc, v7, v1
	v_addc_co_u32_e32 v11, vcc, v11, v2, vcc
	v_sub_co_u32_e32 v7, vcc, v9, v7
	v_subb_co_u32_e32 v13, vcc, v10, v11, vcc
	v_lshlrev_b64 v[9:10], 2, v[29:30]
	v_mov_b32_e32 v11, s51
	v_add_co_u32_e32 v9, vcc, s50, v9
	v_addc_co_u32_e32 v10, vcc, v11, v10, vcc
	v_lshlrev_b64 v[11:12], 2, v[1:2]
	v_mov_b32_e32 v15, s49
	v_add_co_u32_e32 v11, vcc, s48, v11
	v_addc_co_u32_e32 v12, vcc, v15, v12, vcc
	v_add_u32_e32 v14, v5, v6
	s_and_b64 vcc, exec, s[2:3]
	s_mov_b64 s[2:3], -1
	s_waitcnt lgkmcnt(0)
	s_barrier
	s_cbranch_vccz .LBB357_155
; %bb.152:
	s_and_b64 vcc, exec, s[2:3]
	s_cbranch_vccnz .LBB357_260
.LBB357_153:
	s_and_b64 s[0:1], s[0:1], s[34:35]
	s_and_saveexec_b64 s[2:3], s[0:1]
	s_cbranch_execnz .LBB357_378
.LBB357_154:
	s_endpgm
.LBB357_155:
	v_cmp_ge_u32_e32 vcc, v0, v5
	s_and_saveexec_b64 s[2:3], vcc
	s_xor_b64 s[2:3], exec, s[2:3]
	s_cbranch_execz .LBB357_161
; %bb.156:
	v_cmp_ge_u32_e32 vcc, v0, v14
	s_and_saveexec_b64 s[4:5], vcc
	s_xor_b64 s[4:5], exec, s[4:5]
	s_cbranch_execz .LBB357_158
; %bb.157:
	v_add_co_u32_e32 v15, vcc, v7, v0
	v_lshlrev_b32_e32 v17, 2, v0
	v_addc_co_u32_e32 v16, vcc, 0, v13, vcc
	ds_read_b32 v17, v17
	v_lshlrev_b64 v[15:16], 2, v[15:16]
	v_mov_b32_e32 v18, s31
	v_sub_co_u32_e32 v15, vcc, s30, v15
	v_subb_co_u32_e32 v16, vcc, v18, v16, vcc
	s_waitcnt lgkmcnt(0)
	global_store_dword v[15:16], v17, off offset:-4
.LBB357_158:
	s_andn2_saveexec_b64 s[4:5], s[4:5]
	s_cbranch_execz .LBB357_160
; %bb.159:
	v_lshlrev_b32_e32 v15, 2, v0
	ds_read_b32 v16, v15
	v_readfirstlane_b32 s6, v9
	v_readfirstlane_b32 s7, v10
	s_waitcnt lgkmcnt(0)
	s_nop 3
	global_store_dword v15, v16, s[6:7]
.LBB357_160:
	s_or_b64 exec, exec, s[4:5]
.LBB357_161:
	s_andn2_saveexec_b64 s[2:3], s[2:3]
	s_cbranch_execz .LBB357_163
; %bb.162:
	v_lshlrev_b32_e32 v15, 2, v0
	ds_read_b32 v16, v15
	v_readfirstlane_b32 s4, v11
	v_readfirstlane_b32 s5, v12
	s_waitcnt lgkmcnt(0)
	s_nop 3
	global_store_dword v15, v16, s[4:5]
.LBB357_163:
	s_or_b64 exec, exec, s[2:3]
	v_or_b32_e32 v15, 0x100, v0
	v_cmp_ge_u32_e32 vcc, v15, v5
	s_and_saveexec_b64 s[2:3], vcc
	s_xor_b64 s[2:3], exec, s[2:3]
	s_cbranch_execz .LBB357_169
; %bb.164:
	v_cmp_ge_u32_e32 vcc, v15, v14
	s_and_saveexec_b64 s[4:5], vcc
	s_xor_b64 s[4:5], exec, s[4:5]
	s_cbranch_execz .LBB357_166
; %bb.165:
	v_lshlrev_b32_e32 v15, 2, v0
	ds_read_b32 v17, v15 offset:1024
	v_add_co_u32_e32 v15, vcc, v7, v0
	v_addc_co_u32_e32 v16, vcc, 0, v13, vcc
	v_lshlrev_b64 v[15:16], 2, v[15:16]
	v_mov_b32_e32 v18, s31
	v_sub_co_u32_e32 v15, vcc, s30, v15
	v_subb_co_u32_e32 v16, vcc, v18, v16, vcc
	s_waitcnt lgkmcnt(0)
	global_store_dword v[15:16], v17, off offset:-1028
.LBB357_166:
	s_andn2_saveexec_b64 s[4:5], s[4:5]
	s_cbranch_execz .LBB357_168
; %bb.167:
	v_lshlrev_b32_e32 v15, 2, v0
	ds_read_b32 v16, v15 offset:1024
	v_readfirstlane_b32 s6, v9
	v_readfirstlane_b32 s7, v10
	s_waitcnt lgkmcnt(0)
	s_nop 3
	global_store_dword v15, v16, s[6:7] offset:1024
.LBB357_168:
	s_or_b64 exec, exec, s[4:5]
.LBB357_169:
	s_andn2_saveexec_b64 s[2:3], s[2:3]
	s_cbranch_execz .LBB357_171
; %bb.170:
	v_lshlrev_b32_e32 v15, 2, v0
	ds_read_b32 v16, v15 offset:1024
	v_readfirstlane_b32 s4, v11
	v_readfirstlane_b32 s5, v12
	s_waitcnt lgkmcnt(0)
	s_nop 3
	global_store_dword v15, v16, s[4:5] offset:1024
.LBB357_171:
	s_or_b64 exec, exec, s[2:3]
	v_or_b32_e32 v15, 0x200, v0
	v_cmp_ge_u32_e32 vcc, v15, v5
	s_and_saveexec_b64 s[2:3], vcc
	s_xor_b64 s[2:3], exec, s[2:3]
	s_cbranch_execz .LBB357_177
; %bb.172:
	v_cmp_ge_u32_e32 vcc, v15, v14
	s_and_saveexec_b64 s[4:5], vcc
	s_xor_b64 s[4:5], exec, s[4:5]
	s_cbranch_execz .LBB357_174
; %bb.173:
	v_lshlrev_b32_e32 v15, 2, v0
	ds_read_b32 v17, v15 offset:2048
	v_add_co_u32_e32 v15, vcc, v7, v0
	v_addc_co_u32_e32 v16, vcc, 0, v13, vcc
	v_lshlrev_b64 v[15:16], 2, v[15:16]
	v_mov_b32_e32 v18, s31
	v_sub_co_u32_e32 v15, vcc, s30, v15
	v_subb_co_u32_e32 v16, vcc, v18, v16, vcc
	s_waitcnt lgkmcnt(0)
	global_store_dword v[15:16], v17, off offset:-2052
.LBB357_174:
	s_andn2_saveexec_b64 s[4:5], s[4:5]
	s_cbranch_execz .LBB357_176
; %bb.175:
	v_lshlrev_b32_e32 v15, 2, v0
	ds_read_b32 v16, v15 offset:2048
	v_readfirstlane_b32 s6, v9
	v_readfirstlane_b32 s7, v10
	s_waitcnt lgkmcnt(0)
	s_nop 3
	global_store_dword v15, v16, s[6:7] offset:2048
.LBB357_176:
	s_or_b64 exec, exec, s[4:5]
.LBB357_177:
	s_andn2_saveexec_b64 s[2:3], s[2:3]
	s_cbranch_execz .LBB357_179
; %bb.178:
	v_lshlrev_b32_e32 v15, 2, v0
	ds_read_b32 v16, v15 offset:2048
	v_readfirstlane_b32 s4, v11
	v_readfirstlane_b32 s5, v12
	s_waitcnt lgkmcnt(0)
	s_nop 3
	global_store_dword v15, v16, s[4:5] offset:2048
.LBB357_179:
	;; [unrolled: 47-line block ×3, first 2 shown]
	s_or_b64 exec, exec, s[2:3]
	v_or_b32_e32 v15, 0x400, v0
	v_cmp_ge_u32_e32 vcc, v15, v5
	s_and_saveexec_b64 s[2:3], vcc
	s_xor_b64 s[2:3], exec, s[2:3]
	s_cbranch_execz .LBB357_193
; %bb.188:
	v_cmp_ge_u32_e32 vcc, v15, v14
	s_and_saveexec_b64 s[4:5], vcc
	s_xor_b64 s[4:5], exec, s[4:5]
	s_cbranch_execz .LBB357_190
; %bb.189:
	v_lshlrev_b32_e32 v15, 2, v0
	ds_read_b32 v17, v15 offset:4096
	v_add_co_u32_e32 v15, vcc, v7, v0
	v_addc_co_u32_e32 v16, vcc, 0, v13, vcc
	v_lshlrev_b64 v[15:16], 2, v[15:16]
	v_mov_b32_e32 v18, s31
	v_sub_co_u32_e32 v15, vcc, s30, v15
	v_subb_co_u32_e32 v16, vcc, v18, v16, vcc
	v_add_co_u32_e32 v15, vcc, 0xfffff000, v15
	v_addc_co_u32_e32 v16, vcc, -1, v16, vcc
	s_waitcnt lgkmcnt(0)
	global_store_dword v[15:16], v17, off offset:-4
                                        ; implicit-def: $vgpr15
.LBB357_190:
	s_andn2_saveexec_b64 s[4:5], s[4:5]
	s_cbranch_execz .LBB357_192
; %bb.191:
	v_lshlrev_b32_e32 v16, 2, v0
	ds_read_b32 v16, v16 offset:4096
	v_lshlrev_b32_e32 v15, 2, v15
	v_readfirstlane_b32 s6, v9
	v_readfirstlane_b32 s7, v10
	s_waitcnt lgkmcnt(0)
	s_nop 3
	global_store_dword v15, v16, s[6:7]
.LBB357_192:
	s_or_b64 exec, exec, s[4:5]
                                        ; implicit-def: $vgpr15
.LBB357_193:
	s_andn2_saveexec_b64 s[2:3], s[2:3]
	s_cbranch_execz .LBB357_195
; %bb.194:
	v_lshlrev_b32_e32 v16, 2, v0
	ds_read_b32 v16, v16 offset:4096
	v_lshlrev_b32_e32 v15, 2, v15
	v_readfirstlane_b32 s4, v11
	v_readfirstlane_b32 s5, v12
	s_waitcnt lgkmcnt(0)
	s_nop 3
	global_store_dword v15, v16, s[4:5]
.LBB357_195:
	s_or_b64 exec, exec, s[2:3]
	v_or_b32_e32 v15, 0x500, v0
	v_cmp_ge_u32_e32 vcc, v15, v5
	s_and_saveexec_b64 s[2:3], vcc
	s_xor_b64 s[2:3], exec, s[2:3]
	s_cbranch_execz .LBB357_201
; %bb.196:
	v_cmp_ge_u32_e32 vcc, v15, v14
	s_and_saveexec_b64 s[4:5], vcc
	s_xor_b64 s[4:5], exec, s[4:5]
	s_cbranch_execz .LBB357_198
; %bb.197:
	v_add_co_u32_e32 v15, vcc, v7, v15
	v_lshlrev_b32_e32 v17, 2, v0
	v_addc_co_u32_e32 v16, vcc, 0, v13, vcc
	ds_read_b32 v17, v17 offset:5120
	v_lshlrev_b64 v[15:16], 2, v[15:16]
	v_mov_b32_e32 v18, s31
	v_sub_co_u32_e32 v15, vcc, s30, v15
	v_subb_co_u32_e32 v16, vcc, v18, v16, vcc
	s_waitcnt lgkmcnt(0)
	global_store_dword v[15:16], v17, off offset:-4
                                        ; implicit-def: $vgpr15
.LBB357_198:
	s_andn2_saveexec_b64 s[4:5], s[4:5]
	s_cbranch_execz .LBB357_200
; %bb.199:
	v_lshlrev_b32_e32 v16, 2, v0
	ds_read_b32 v16, v16 offset:5120
	v_lshlrev_b32_e32 v15, 2, v15
	v_readfirstlane_b32 s6, v9
	v_readfirstlane_b32 s7, v10
	s_waitcnt lgkmcnt(0)
	s_nop 3
	global_store_dword v15, v16, s[6:7]
.LBB357_200:
	s_or_b64 exec, exec, s[4:5]
                                        ; implicit-def: $vgpr15
.LBB357_201:
	s_andn2_saveexec_b64 s[2:3], s[2:3]
	s_cbranch_execz .LBB357_203
; %bb.202:
	v_lshlrev_b32_e32 v16, 2, v0
	ds_read_b32 v16, v16 offset:5120
	v_lshlrev_b32_e32 v15, 2, v15
	v_readfirstlane_b32 s4, v11
	v_readfirstlane_b32 s5, v12
	s_waitcnt lgkmcnt(0)
	s_nop 3
	global_store_dword v15, v16, s[4:5]
.LBB357_203:
	s_or_b64 exec, exec, s[2:3]
	v_or_b32_e32 v15, 0x600, v0
	v_cmp_ge_u32_e32 vcc, v15, v5
	s_and_saveexec_b64 s[2:3], vcc
	s_xor_b64 s[2:3], exec, s[2:3]
	s_cbranch_execz .LBB357_209
; %bb.204:
	v_cmp_ge_u32_e32 vcc, v15, v14
	s_and_saveexec_b64 s[4:5], vcc
	s_xor_b64 s[4:5], exec, s[4:5]
	s_cbranch_execz .LBB357_206
; %bb.205:
	v_add_co_u32_e32 v15, vcc, v7, v15
	v_lshlrev_b32_e32 v17, 2, v0
	v_addc_co_u32_e32 v16, vcc, 0, v13, vcc
	ds_read_b32 v17, v17 offset:6144
	v_lshlrev_b64 v[15:16], 2, v[15:16]
	v_mov_b32_e32 v18, s31
	v_sub_co_u32_e32 v15, vcc, s30, v15
	v_subb_co_u32_e32 v16, vcc, v18, v16, vcc
	s_waitcnt lgkmcnt(0)
	global_store_dword v[15:16], v17, off offset:-4
                                        ; implicit-def: $vgpr15
.LBB357_206:
	s_andn2_saveexec_b64 s[4:5], s[4:5]
	s_cbranch_execz .LBB357_208
; %bb.207:
	v_lshlrev_b32_e32 v16, 2, v0
	ds_read_b32 v16, v16 offset:6144
	v_lshlrev_b32_e32 v15, 2, v15
	v_readfirstlane_b32 s6, v9
	v_readfirstlane_b32 s7, v10
	s_waitcnt lgkmcnt(0)
	s_nop 3
	global_store_dword v15, v16, s[6:7]
.LBB357_208:
	s_or_b64 exec, exec, s[4:5]
                                        ; implicit-def: $vgpr15
.LBB357_209:
	;; [unrolled: 51-line block ×8, first 2 shown]
	s_andn2_saveexec_b64 s[2:3], s[2:3]
	s_cbranch_execz .LBB357_259
; %bb.258:
	v_lshlrev_b32_e32 v16, 2, v0
	ds_read_b32 v16, v16 offset:12288
	v_lshlrev_b32_e32 v15, 2, v15
	v_readfirstlane_b32 s4, v11
	v_readfirstlane_b32 s5, v12
	s_waitcnt lgkmcnt(0)
	s_nop 3
	global_store_dword v15, v16, s[4:5]
.LBB357_259:
	s_or_b64 exec, exec, s[2:3]
	s_branch .LBB357_153
.LBB357_260:
	v_cmp_gt_u32_e32 vcc, s16, v0
	s_and_saveexec_b64 s[2:3], vcc
	s_cbranch_execz .LBB357_269
; %bb.261:
	v_cmp_ge_u32_e32 vcc, v0, v5
	s_and_saveexec_b64 s[4:5], vcc
	s_xor_b64 s[4:5], exec, s[4:5]
	s_cbranch_execz .LBB357_267
; %bb.262:
	v_cmp_ge_u32_e32 vcc, v0, v14
	s_and_saveexec_b64 s[6:7], vcc
	s_xor_b64 s[6:7], exec, s[6:7]
	s_cbranch_execz .LBB357_264
; %bb.263:
	v_add_co_u32_e32 v15, vcc, v7, v0
	v_lshlrev_b32_e32 v17, 2, v0
	v_addc_co_u32_e32 v16, vcc, 0, v13, vcc
	ds_read_b32 v17, v17
	v_lshlrev_b64 v[15:16], 2, v[15:16]
	v_mov_b32_e32 v18, s31
	v_sub_co_u32_e32 v15, vcc, s30, v15
	v_subb_co_u32_e32 v16, vcc, v18, v16, vcc
	s_waitcnt lgkmcnt(0)
	global_store_dword v[15:16], v17, off offset:-4
.LBB357_264:
	s_andn2_saveexec_b64 s[6:7], s[6:7]
	s_cbranch_execz .LBB357_266
; %bb.265:
	v_lshlrev_b32_e32 v15, 2, v0
	ds_read_b32 v16, v15
	v_readfirstlane_b32 s8, v9
	v_readfirstlane_b32 s9, v10
	s_waitcnt lgkmcnt(0)
	s_nop 3
	global_store_dword v15, v16, s[8:9]
.LBB357_266:
	s_or_b64 exec, exec, s[6:7]
.LBB357_267:
	s_andn2_saveexec_b64 s[4:5], s[4:5]
	s_cbranch_execz .LBB357_269
; %bb.268:
	v_lshlrev_b32_e32 v15, 2, v0
	ds_read_b32 v16, v15
	v_readfirstlane_b32 s4, v11
	v_readfirstlane_b32 s5, v12
	s_waitcnt lgkmcnt(0)
	s_nop 3
	global_store_dword v15, v16, s[4:5]
.LBB357_269:
	s_or_b64 exec, exec, s[2:3]
	v_or_b32_e32 v15, 0x100, v0
	v_cmp_gt_u32_e32 vcc, s16, v15
	s_and_saveexec_b64 s[2:3], vcc
	s_cbranch_execz .LBB357_278
; %bb.270:
	v_cmp_ge_u32_e32 vcc, v15, v5
	s_and_saveexec_b64 s[4:5], vcc
	s_xor_b64 s[4:5], exec, s[4:5]
	s_cbranch_execz .LBB357_276
; %bb.271:
	v_cmp_ge_u32_e32 vcc, v15, v14
	s_and_saveexec_b64 s[6:7], vcc
	s_xor_b64 s[6:7], exec, s[6:7]
	s_cbranch_execz .LBB357_273
; %bb.272:
	v_lshlrev_b32_e32 v15, 2, v0
	ds_read_b32 v17, v15 offset:1024
	v_add_co_u32_e32 v15, vcc, v7, v0
	v_addc_co_u32_e32 v16, vcc, 0, v13, vcc
	v_lshlrev_b64 v[15:16], 2, v[15:16]
	v_mov_b32_e32 v18, s31
	v_sub_co_u32_e32 v15, vcc, s30, v15
	v_subb_co_u32_e32 v16, vcc, v18, v16, vcc
	s_waitcnt lgkmcnt(0)
	global_store_dword v[15:16], v17, off offset:-1028
.LBB357_273:
	s_andn2_saveexec_b64 s[6:7], s[6:7]
	s_cbranch_execz .LBB357_275
; %bb.274:
	v_lshlrev_b32_e32 v15, 2, v0
	ds_read_b32 v16, v15 offset:1024
	v_readfirstlane_b32 s8, v9
	v_readfirstlane_b32 s9, v10
	s_waitcnt lgkmcnt(0)
	s_nop 3
	global_store_dword v15, v16, s[8:9] offset:1024
.LBB357_275:
	s_or_b64 exec, exec, s[6:7]
.LBB357_276:
	s_andn2_saveexec_b64 s[4:5], s[4:5]
	s_cbranch_execz .LBB357_278
; %bb.277:
	v_lshlrev_b32_e32 v15, 2, v0
	ds_read_b32 v16, v15 offset:1024
	v_readfirstlane_b32 s4, v11
	v_readfirstlane_b32 s5, v12
	s_waitcnt lgkmcnt(0)
	s_nop 3
	global_store_dword v15, v16, s[4:5] offset:1024
.LBB357_278:
	s_or_b64 exec, exec, s[2:3]
	v_or_b32_e32 v15, 0x200, v0
	v_cmp_gt_u32_e32 vcc, s16, v15
	s_and_saveexec_b64 s[2:3], vcc
	s_cbranch_execz .LBB357_287
; %bb.279:
	v_cmp_ge_u32_e32 vcc, v15, v5
	s_and_saveexec_b64 s[4:5], vcc
	s_xor_b64 s[4:5], exec, s[4:5]
	s_cbranch_execz .LBB357_285
; %bb.280:
	v_cmp_ge_u32_e32 vcc, v15, v14
	s_and_saveexec_b64 s[6:7], vcc
	s_xor_b64 s[6:7], exec, s[6:7]
	s_cbranch_execz .LBB357_282
; %bb.281:
	v_lshlrev_b32_e32 v15, 2, v0
	ds_read_b32 v17, v15 offset:2048
	v_add_co_u32_e32 v15, vcc, v7, v0
	v_addc_co_u32_e32 v16, vcc, 0, v13, vcc
	v_lshlrev_b64 v[15:16], 2, v[15:16]
	v_mov_b32_e32 v18, s31
	v_sub_co_u32_e32 v15, vcc, s30, v15
	v_subb_co_u32_e32 v16, vcc, v18, v16, vcc
	s_waitcnt lgkmcnt(0)
	global_store_dword v[15:16], v17, off offset:-2052
.LBB357_282:
	s_andn2_saveexec_b64 s[6:7], s[6:7]
	s_cbranch_execz .LBB357_284
; %bb.283:
	v_lshlrev_b32_e32 v15, 2, v0
	ds_read_b32 v16, v15 offset:2048
	v_readfirstlane_b32 s8, v9
	v_readfirstlane_b32 s9, v10
	s_waitcnt lgkmcnt(0)
	s_nop 3
	global_store_dword v15, v16, s[8:9] offset:2048
.LBB357_284:
	s_or_b64 exec, exec, s[6:7]
.LBB357_285:
	s_andn2_saveexec_b64 s[4:5], s[4:5]
	s_cbranch_execz .LBB357_287
; %bb.286:
	v_lshlrev_b32_e32 v15, 2, v0
	ds_read_b32 v16, v15 offset:2048
	v_readfirstlane_b32 s4, v11
	v_readfirstlane_b32 s5, v12
	s_waitcnt lgkmcnt(0)
	s_nop 3
	global_store_dword v15, v16, s[4:5] offset:2048
.LBB357_287:
	s_or_b64 exec, exec, s[2:3]
	v_or_b32_e32 v15, 0x300, v0
	v_cmp_gt_u32_e32 vcc, s16, v15
	s_and_saveexec_b64 s[2:3], vcc
	s_cbranch_execz .LBB357_296
; %bb.288:
	v_cmp_ge_u32_e32 vcc, v15, v5
	s_and_saveexec_b64 s[4:5], vcc
	s_xor_b64 s[4:5], exec, s[4:5]
	s_cbranch_execz .LBB357_294
; %bb.289:
	v_cmp_ge_u32_e32 vcc, v15, v14
	s_and_saveexec_b64 s[6:7], vcc
	s_xor_b64 s[6:7], exec, s[6:7]
	s_cbranch_execz .LBB357_291
; %bb.290:
	v_lshlrev_b32_e32 v15, 2, v0
	ds_read_b32 v17, v15 offset:3072
	v_add_co_u32_e32 v15, vcc, v7, v0
	v_addc_co_u32_e32 v16, vcc, 0, v13, vcc
	v_lshlrev_b64 v[15:16], 2, v[15:16]
	v_mov_b32_e32 v18, s31
	v_sub_co_u32_e32 v15, vcc, s30, v15
	v_subb_co_u32_e32 v16, vcc, v18, v16, vcc
	s_waitcnt lgkmcnt(0)
	global_store_dword v[15:16], v17, off offset:-3076
.LBB357_291:
	s_andn2_saveexec_b64 s[6:7], s[6:7]
	s_cbranch_execz .LBB357_293
; %bb.292:
	v_lshlrev_b32_e32 v15, 2, v0
	ds_read_b32 v16, v15 offset:3072
	v_readfirstlane_b32 s8, v9
	v_readfirstlane_b32 s9, v10
	s_waitcnt lgkmcnt(0)
	s_nop 3
	global_store_dword v15, v16, s[8:9] offset:3072
.LBB357_293:
	s_or_b64 exec, exec, s[6:7]
.LBB357_294:
	s_andn2_saveexec_b64 s[4:5], s[4:5]
	s_cbranch_execz .LBB357_296
; %bb.295:
	v_lshlrev_b32_e32 v15, 2, v0
	ds_read_b32 v16, v15 offset:3072
	v_readfirstlane_b32 s4, v11
	v_readfirstlane_b32 s5, v12
	s_waitcnt lgkmcnt(0)
	s_nop 3
	global_store_dword v15, v16, s[4:5] offset:3072
.LBB357_296:
	s_or_b64 exec, exec, s[2:3]
	v_or_b32_e32 v15, 0x400, v0
	v_cmp_gt_u32_e32 vcc, s16, v15
	s_and_saveexec_b64 s[2:3], vcc
	s_cbranch_execz .LBB357_305
; %bb.297:
	v_cmp_ge_u32_e32 vcc, v15, v5
	s_and_saveexec_b64 s[4:5], vcc
	s_xor_b64 s[4:5], exec, s[4:5]
	s_cbranch_execz .LBB357_303
; %bb.298:
	v_cmp_ge_u32_e32 vcc, v15, v14
	s_and_saveexec_b64 s[6:7], vcc
	s_xor_b64 s[6:7], exec, s[6:7]
	s_cbranch_execz .LBB357_300
; %bb.299:
	v_lshlrev_b32_e32 v15, 2, v0
	ds_read_b32 v17, v15 offset:4096
	v_add_co_u32_e32 v15, vcc, v7, v0
	v_addc_co_u32_e32 v16, vcc, 0, v13, vcc
	v_lshlrev_b64 v[15:16], 2, v[15:16]
	v_mov_b32_e32 v18, s31
	v_sub_co_u32_e32 v15, vcc, s30, v15
	v_subb_co_u32_e32 v16, vcc, v18, v16, vcc
	v_add_co_u32_e32 v15, vcc, 0xfffff000, v15
	v_addc_co_u32_e32 v16, vcc, -1, v16, vcc
	s_waitcnt lgkmcnt(0)
	global_store_dword v[15:16], v17, off offset:-4
                                        ; implicit-def: $vgpr15
.LBB357_300:
	s_andn2_saveexec_b64 s[6:7], s[6:7]
	s_cbranch_execz .LBB357_302
; %bb.301:
	v_lshlrev_b32_e32 v16, 2, v0
	ds_read_b32 v16, v16 offset:4096
	v_lshlrev_b32_e32 v15, 2, v15
	v_readfirstlane_b32 s8, v9
	v_readfirstlane_b32 s9, v10
	s_waitcnt lgkmcnt(0)
	s_nop 3
	global_store_dword v15, v16, s[8:9]
.LBB357_302:
	s_or_b64 exec, exec, s[6:7]
                                        ; implicit-def: $vgpr15
.LBB357_303:
	s_andn2_saveexec_b64 s[4:5], s[4:5]
	s_cbranch_execz .LBB357_305
; %bb.304:
	v_lshlrev_b32_e32 v16, 2, v0
	ds_read_b32 v16, v16 offset:4096
	v_lshlrev_b32_e32 v15, 2, v15
	v_readfirstlane_b32 s4, v11
	v_readfirstlane_b32 s5, v12
	s_waitcnt lgkmcnt(0)
	s_nop 3
	global_store_dword v15, v16, s[4:5]
.LBB357_305:
	s_or_b64 exec, exec, s[2:3]
	v_or_b32_e32 v15, 0x500, v0
	v_cmp_gt_u32_e32 vcc, s16, v15
	s_and_saveexec_b64 s[2:3], vcc
	s_cbranch_execz .LBB357_314
; %bb.306:
	v_cmp_ge_u32_e32 vcc, v15, v5
	s_and_saveexec_b64 s[4:5], vcc
	s_xor_b64 s[4:5], exec, s[4:5]
	s_cbranch_execz .LBB357_312
; %bb.307:
	v_cmp_ge_u32_e32 vcc, v15, v14
	s_and_saveexec_b64 s[6:7], vcc
	s_xor_b64 s[6:7], exec, s[6:7]
	s_cbranch_execz .LBB357_309
; %bb.308:
	v_add_co_u32_e32 v15, vcc, v7, v15
	v_lshlrev_b32_e32 v17, 2, v0
	v_addc_co_u32_e32 v16, vcc, 0, v13, vcc
	ds_read_b32 v17, v17 offset:5120
	v_lshlrev_b64 v[15:16], 2, v[15:16]
	v_mov_b32_e32 v18, s31
	v_sub_co_u32_e32 v15, vcc, s30, v15
	v_subb_co_u32_e32 v16, vcc, v18, v16, vcc
	s_waitcnt lgkmcnt(0)
	global_store_dword v[15:16], v17, off offset:-4
                                        ; implicit-def: $vgpr15
.LBB357_309:
	s_andn2_saveexec_b64 s[6:7], s[6:7]
	s_cbranch_execz .LBB357_311
; %bb.310:
	v_lshlrev_b32_e32 v16, 2, v0
	ds_read_b32 v16, v16 offset:5120
	v_lshlrev_b32_e32 v15, 2, v15
	v_readfirstlane_b32 s8, v9
	v_readfirstlane_b32 s9, v10
	s_waitcnt lgkmcnt(0)
	s_nop 3
	global_store_dword v15, v16, s[8:9]
.LBB357_311:
	s_or_b64 exec, exec, s[6:7]
                                        ; implicit-def: $vgpr15
.LBB357_312:
	s_andn2_saveexec_b64 s[4:5], s[4:5]
	s_cbranch_execz .LBB357_314
; %bb.313:
	v_lshlrev_b32_e32 v16, 2, v0
	ds_read_b32 v16, v16 offset:5120
	v_lshlrev_b32_e32 v15, 2, v15
	v_readfirstlane_b32 s4, v11
	v_readfirstlane_b32 s5, v12
	s_waitcnt lgkmcnt(0)
	s_nop 3
	global_store_dword v15, v16, s[4:5]
.LBB357_314:
	s_or_b64 exec, exec, s[2:3]
	v_or_b32_e32 v15, 0x600, v0
	v_cmp_gt_u32_e32 vcc, s16, v15
	s_and_saveexec_b64 s[2:3], vcc
	s_cbranch_execz .LBB357_323
; %bb.315:
	v_cmp_ge_u32_e32 vcc, v15, v5
	s_and_saveexec_b64 s[4:5], vcc
	s_xor_b64 s[4:5], exec, s[4:5]
	s_cbranch_execz .LBB357_321
; %bb.316:
	v_cmp_ge_u32_e32 vcc, v15, v14
	s_and_saveexec_b64 s[6:7], vcc
	s_xor_b64 s[6:7], exec, s[6:7]
	s_cbranch_execz .LBB357_318
; %bb.317:
	v_add_co_u32_e32 v15, vcc, v7, v15
	v_lshlrev_b32_e32 v17, 2, v0
	v_addc_co_u32_e32 v16, vcc, 0, v13, vcc
	ds_read_b32 v17, v17 offset:6144
	v_lshlrev_b64 v[15:16], 2, v[15:16]
	v_mov_b32_e32 v18, s31
	v_sub_co_u32_e32 v15, vcc, s30, v15
	v_subb_co_u32_e32 v16, vcc, v18, v16, vcc
	s_waitcnt lgkmcnt(0)
	global_store_dword v[15:16], v17, off offset:-4
                                        ; implicit-def: $vgpr15
.LBB357_318:
	s_andn2_saveexec_b64 s[6:7], s[6:7]
	s_cbranch_execz .LBB357_320
; %bb.319:
	v_lshlrev_b32_e32 v16, 2, v0
	ds_read_b32 v16, v16 offset:6144
	v_lshlrev_b32_e32 v15, 2, v15
	v_readfirstlane_b32 s8, v9
	v_readfirstlane_b32 s9, v10
	s_waitcnt lgkmcnt(0)
	s_nop 3
	global_store_dword v15, v16, s[8:9]
.LBB357_320:
	s_or_b64 exec, exec, s[6:7]
                                        ; implicit-def: $vgpr15
.LBB357_321:
	s_andn2_saveexec_b64 s[4:5], s[4:5]
	s_cbranch_execz .LBB357_323
; %bb.322:
	v_lshlrev_b32_e32 v16, 2, v0
	ds_read_b32 v16, v16 offset:6144
	v_lshlrev_b32_e32 v15, 2, v15
	v_readfirstlane_b32 s4, v11
	v_readfirstlane_b32 s5, v12
	s_waitcnt lgkmcnt(0)
	s_nop 3
	global_store_dword v15, v16, s[4:5]
.LBB357_323:
	;; [unrolled: 55-line block ×7, first 2 shown]
	s_or_b64 exec, exec, s[2:3]
	v_or_b32_e32 v15, 0xc00, v0
	v_cmp_gt_u32_e32 vcc, s16, v15
	s_and_saveexec_b64 s[2:3], vcc
	s_cbranch_execz .LBB357_377
; %bb.369:
	v_cmp_ge_u32_e32 vcc, v15, v5
	s_and_saveexec_b64 s[4:5], vcc
	s_xor_b64 s[4:5], exec, s[4:5]
	s_cbranch_execz .LBB357_375
; %bb.370:
	v_cmp_ge_u32_e32 vcc, v15, v14
	s_and_saveexec_b64 s[6:7], vcc
	s_xor_b64 s[6:7], exec, s[6:7]
	s_cbranch_execz .LBB357_372
; %bb.371:
	v_add_co_u32_e32 v9, vcc, v7, v15
	v_lshlrev_b32_e32 v0, 2, v0
	v_addc_co_u32_e32 v10, vcc, 0, v13, vcc
	ds_read_b32 v0, v0 offset:12288
	v_lshlrev_b64 v[9:10], 2, v[9:10]
	v_mov_b32_e32 v7, s31
	v_sub_co_u32_e32 v9, vcc, s30, v9
	v_subb_co_u32_e32 v10, vcc, v7, v10, vcc
	s_waitcnt lgkmcnt(0)
	global_store_dword v[9:10], v0, off offset:-4
                                        ; implicit-def: $vgpr0
                                        ; implicit-def: $vgpr15
                                        ; implicit-def: $vgpr9_vgpr10
.LBB357_372:
	s_andn2_saveexec_b64 s[6:7], s[6:7]
	s_cbranch_execz .LBB357_374
; %bb.373:
	v_lshlrev_b32_e32 v0, 2, v0
	ds_read_b32 v0, v0 offset:12288
	v_lshlrev_b32_e32 v7, 2, v15
	v_readfirstlane_b32 s8, v9
	v_readfirstlane_b32 s9, v10
	s_waitcnt lgkmcnt(0)
	s_nop 3
	global_store_dword v7, v0, s[8:9]
.LBB357_374:
	s_or_b64 exec, exec, s[6:7]
                                        ; implicit-def: $vgpr0
                                        ; implicit-def: $vgpr15
                                        ; implicit-def: $vgpr11_vgpr12
.LBB357_375:
	s_andn2_saveexec_b64 s[4:5], s[4:5]
	s_cbranch_execz .LBB357_377
; %bb.376:
	v_lshlrev_b32_e32 v0, 2, v0
	ds_read_b32 v0, v0 offset:12288
	v_lshlrev_b32_e32 v7, 2, v15
	v_readfirstlane_b32 s4, v11
	v_readfirstlane_b32 s5, v12
	s_waitcnt lgkmcnt(0)
	s_nop 3
	global_store_dword v7, v0, s[4:5]
.LBB357_377:
	s_or_b64 exec, exec, s[2:3]
	s_and_b64 s[0:1], s[0:1], s[34:35]
	s_and_saveexec_b64 s[2:3], s[0:1]
	s_cbranch_execz .LBB357_154
.LBB357_378:
	v_add_co_u32_e32 v3, vcc, v3, v6
	v_addc_co_u32_e32 v4, vcc, 0, v4, vcc
	v_add_co_u32_e32 v3, vcc, v3, v8
	v_addc_co_u32_e32 v4, vcc, 0, v4, vcc
	v_add_co_u32_e32 v1, vcc, v1, v5
	v_mov_b32_e32 v0, 0
	v_addc_co_u32_e32 v2, vcc, 0, v2, vcc
	global_store_dwordx4 v0, v[1:4], s[44:45]
	s_endpgm
.LBB357_379:
	s_add_i32 s14, s33, 64
	s_mov_b32 s15, 0
	s_lshl_b64 s[14:15], s[14:15], 4
	s_add_u32 s14, s54, s14
	s_addc_u32 s15, s55, s15
	v_mov_b32_e32 v28, s15
	v_add_u32_e32 v10, v8, v6
	v_add_u32_e32 v9, v7, v5
	v_mov_b32_e32 v11, 2
	v_mov_b32_e32 v12, 0
	;; [unrolled: 1-line block ×3, first 2 shown]
	;;#ASMSTART
	global_store_dwordx4 v[27:28], v[9:12] off	
s_waitcnt vmcnt(0)
	;;#ASMEND
	s_or_b64 exec, exec, s[12:13]
	s_and_saveexec_b64 s[12:13], s[8:9]
	s_cbranch_execz .LBB357_139
.LBB357_380:
	v_mov_b32_e32 v9, 0
	ds_write_b128 v9, v[5:8] offset:13312
	s_or_b64 exec, exec, s[12:13]
	s_and_b64 exec, exec, s[0:1]
	s_cbranch_execnz .LBB357_140
	s_branch .LBB357_141
	.section	.rodata,"a",@progbits
	.p2align	6, 0x0
	.amdhsa_kernel _ZN7rocprim17ROCPRIM_400000_NS6detail17trampoline_kernelINS0_13select_configILj256ELj13ELNS0_17block_load_methodE3ELS4_3ELS4_3ELNS0_20block_scan_algorithmE0ELj4294967295EEENS1_25partition_config_selectorILNS1_17partition_subalgoE4EjNS0_10empty_typeEbEEZZNS1_14partition_implILS8_4ELb0ES6_15HIP_vector_typeIjLj2EENS0_17counting_iteratorIjlEEPS9_SG_NS0_5tupleIJPjSI_NS0_16reverse_iteratorISI_EEEEENSH_IJSG_SG_SG_EEES9_SI_JZNS1_25segmented_radix_sort_implINS0_14default_configELb0EPKaPaPKlPlN2at6native12_GLOBAL__N_18offset_tEEE10hipError_tPvRmT1_PNSt15iterator_traitsIS12_E10value_typeET2_T3_PNS13_IS18_E10value_typeET4_jRbjT5_S1E_jjP12ihipStream_tbEUljE_ZNSN_ISO_Lb0ESQ_SR_ST_SU_SY_EESZ_S10_S11_S12_S16_S17_S18_S1B_S1C_jS1D_jS1E_S1E_jjS1G_bEUljE0_EEESZ_S10_S11_S18_S1C_S1E_T6_T7_T9_mT8_S1G_bDpT10_ENKUlT_T0_E_clISt17integral_constantIbLb0EES1T_IbLb1EEEEDaS1P_S1Q_EUlS1P_E_NS1_11comp_targetILNS1_3genE2ELNS1_11target_archE906ELNS1_3gpuE6ELNS1_3repE0EEENS1_30default_config_static_selectorELNS0_4arch9wavefront6targetE1EEEvS12_
		.amdhsa_group_segment_fixed_size 13328
		.amdhsa_private_segment_fixed_size 0
		.amdhsa_kernarg_size 184
		.amdhsa_user_sgpr_count 6
		.amdhsa_user_sgpr_private_segment_buffer 1
		.amdhsa_user_sgpr_dispatch_ptr 0
		.amdhsa_user_sgpr_queue_ptr 0
		.amdhsa_user_sgpr_kernarg_segment_ptr 1
		.amdhsa_user_sgpr_dispatch_id 0
		.amdhsa_user_sgpr_flat_scratch_init 0
		.amdhsa_user_sgpr_private_segment_size 0
		.amdhsa_uses_dynamic_stack 0
		.amdhsa_system_sgpr_private_segment_wavefront_offset 0
		.amdhsa_system_sgpr_workgroup_id_x 1
		.amdhsa_system_sgpr_workgroup_id_y 0
		.amdhsa_system_sgpr_workgroup_id_z 0
		.amdhsa_system_sgpr_workgroup_info 0
		.amdhsa_system_vgpr_workitem_id 0
		.amdhsa_next_free_vgpr 91
		.amdhsa_next_free_sgpr 98
		.amdhsa_reserve_vcc 1
		.amdhsa_reserve_flat_scratch 0
		.amdhsa_float_round_mode_32 0
		.amdhsa_float_round_mode_16_64 0
		.amdhsa_float_denorm_mode_32 3
		.amdhsa_float_denorm_mode_16_64 3
		.amdhsa_dx10_clamp 1
		.amdhsa_ieee_mode 1
		.amdhsa_fp16_overflow 0
		.amdhsa_exception_fp_ieee_invalid_op 0
		.amdhsa_exception_fp_denorm_src 0
		.amdhsa_exception_fp_ieee_div_zero 0
		.amdhsa_exception_fp_ieee_overflow 0
		.amdhsa_exception_fp_ieee_underflow 0
		.amdhsa_exception_fp_ieee_inexact 0
		.amdhsa_exception_int_div_zero 0
	.end_amdhsa_kernel
	.section	.text._ZN7rocprim17ROCPRIM_400000_NS6detail17trampoline_kernelINS0_13select_configILj256ELj13ELNS0_17block_load_methodE3ELS4_3ELS4_3ELNS0_20block_scan_algorithmE0ELj4294967295EEENS1_25partition_config_selectorILNS1_17partition_subalgoE4EjNS0_10empty_typeEbEEZZNS1_14partition_implILS8_4ELb0ES6_15HIP_vector_typeIjLj2EENS0_17counting_iteratorIjlEEPS9_SG_NS0_5tupleIJPjSI_NS0_16reverse_iteratorISI_EEEEENSH_IJSG_SG_SG_EEES9_SI_JZNS1_25segmented_radix_sort_implINS0_14default_configELb0EPKaPaPKlPlN2at6native12_GLOBAL__N_18offset_tEEE10hipError_tPvRmT1_PNSt15iterator_traitsIS12_E10value_typeET2_T3_PNS13_IS18_E10value_typeET4_jRbjT5_S1E_jjP12ihipStream_tbEUljE_ZNSN_ISO_Lb0ESQ_SR_ST_SU_SY_EESZ_S10_S11_S12_S16_S17_S18_S1B_S1C_jS1D_jS1E_S1E_jjS1G_bEUljE0_EEESZ_S10_S11_S18_S1C_S1E_T6_T7_T9_mT8_S1G_bDpT10_ENKUlT_T0_E_clISt17integral_constantIbLb0EES1T_IbLb1EEEEDaS1P_S1Q_EUlS1P_E_NS1_11comp_targetILNS1_3genE2ELNS1_11target_archE906ELNS1_3gpuE6ELNS1_3repE0EEENS1_30default_config_static_selectorELNS0_4arch9wavefront6targetE1EEEvS12_,"axG",@progbits,_ZN7rocprim17ROCPRIM_400000_NS6detail17trampoline_kernelINS0_13select_configILj256ELj13ELNS0_17block_load_methodE3ELS4_3ELS4_3ELNS0_20block_scan_algorithmE0ELj4294967295EEENS1_25partition_config_selectorILNS1_17partition_subalgoE4EjNS0_10empty_typeEbEEZZNS1_14partition_implILS8_4ELb0ES6_15HIP_vector_typeIjLj2EENS0_17counting_iteratorIjlEEPS9_SG_NS0_5tupleIJPjSI_NS0_16reverse_iteratorISI_EEEEENSH_IJSG_SG_SG_EEES9_SI_JZNS1_25segmented_radix_sort_implINS0_14default_configELb0EPKaPaPKlPlN2at6native12_GLOBAL__N_18offset_tEEE10hipError_tPvRmT1_PNSt15iterator_traitsIS12_E10value_typeET2_T3_PNS13_IS18_E10value_typeET4_jRbjT5_S1E_jjP12ihipStream_tbEUljE_ZNSN_ISO_Lb0ESQ_SR_ST_SU_SY_EESZ_S10_S11_S12_S16_S17_S18_S1B_S1C_jS1D_jS1E_S1E_jjS1G_bEUljE0_EEESZ_S10_S11_S18_S1C_S1E_T6_T7_T9_mT8_S1G_bDpT10_ENKUlT_T0_E_clISt17integral_constantIbLb0EES1T_IbLb1EEEEDaS1P_S1Q_EUlS1P_E_NS1_11comp_targetILNS1_3genE2ELNS1_11target_archE906ELNS1_3gpuE6ELNS1_3repE0EEENS1_30default_config_static_selectorELNS0_4arch9wavefront6targetE1EEEvS12_,comdat
.Lfunc_end357:
	.size	_ZN7rocprim17ROCPRIM_400000_NS6detail17trampoline_kernelINS0_13select_configILj256ELj13ELNS0_17block_load_methodE3ELS4_3ELS4_3ELNS0_20block_scan_algorithmE0ELj4294967295EEENS1_25partition_config_selectorILNS1_17partition_subalgoE4EjNS0_10empty_typeEbEEZZNS1_14partition_implILS8_4ELb0ES6_15HIP_vector_typeIjLj2EENS0_17counting_iteratorIjlEEPS9_SG_NS0_5tupleIJPjSI_NS0_16reverse_iteratorISI_EEEEENSH_IJSG_SG_SG_EEES9_SI_JZNS1_25segmented_radix_sort_implINS0_14default_configELb0EPKaPaPKlPlN2at6native12_GLOBAL__N_18offset_tEEE10hipError_tPvRmT1_PNSt15iterator_traitsIS12_E10value_typeET2_T3_PNS13_IS18_E10value_typeET4_jRbjT5_S1E_jjP12ihipStream_tbEUljE_ZNSN_ISO_Lb0ESQ_SR_ST_SU_SY_EESZ_S10_S11_S12_S16_S17_S18_S1B_S1C_jS1D_jS1E_S1E_jjS1G_bEUljE0_EEESZ_S10_S11_S18_S1C_S1E_T6_T7_T9_mT8_S1G_bDpT10_ENKUlT_T0_E_clISt17integral_constantIbLb0EES1T_IbLb1EEEEDaS1P_S1Q_EUlS1P_E_NS1_11comp_targetILNS1_3genE2ELNS1_11target_archE906ELNS1_3gpuE6ELNS1_3repE0EEENS1_30default_config_static_selectorELNS0_4arch9wavefront6targetE1EEEvS12_, .Lfunc_end357-_ZN7rocprim17ROCPRIM_400000_NS6detail17trampoline_kernelINS0_13select_configILj256ELj13ELNS0_17block_load_methodE3ELS4_3ELS4_3ELNS0_20block_scan_algorithmE0ELj4294967295EEENS1_25partition_config_selectorILNS1_17partition_subalgoE4EjNS0_10empty_typeEbEEZZNS1_14partition_implILS8_4ELb0ES6_15HIP_vector_typeIjLj2EENS0_17counting_iteratorIjlEEPS9_SG_NS0_5tupleIJPjSI_NS0_16reverse_iteratorISI_EEEEENSH_IJSG_SG_SG_EEES9_SI_JZNS1_25segmented_radix_sort_implINS0_14default_configELb0EPKaPaPKlPlN2at6native12_GLOBAL__N_18offset_tEEE10hipError_tPvRmT1_PNSt15iterator_traitsIS12_E10value_typeET2_T3_PNS13_IS18_E10value_typeET4_jRbjT5_S1E_jjP12ihipStream_tbEUljE_ZNSN_ISO_Lb0ESQ_SR_ST_SU_SY_EESZ_S10_S11_S12_S16_S17_S18_S1B_S1C_jS1D_jS1E_S1E_jjS1G_bEUljE0_EEESZ_S10_S11_S18_S1C_S1E_T6_T7_T9_mT8_S1G_bDpT10_ENKUlT_T0_E_clISt17integral_constantIbLb0EES1T_IbLb1EEEEDaS1P_S1Q_EUlS1P_E_NS1_11comp_targetILNS1_3genE2ELNS1_11target_archE906ELNS1_3gpuE6ELNS1_3repE0EEENS1_30default_config_static_selectorELNS0_4arch9wavefront6targetE1EEEvS12_
                                        ; -- End function
	.set _ZN7rocprim17ROCPRIM_400000_NS6detail17trampoline_kernelINS0_13select_configILj256ELj13ELNS0_17block_load_methodE3ELS4_3ELS4_3ELNS0_20block_scan_algorithmE0ELj4294967295EEENS1_25partition_config_selectorILNS1_17partition_subalgoE4EjNS0_10empty_typeEbEEZZNS1_14partition_implILS8_4ELb0ES6_15HIP_vector_typeIjLj2EENS0_17counting_iteratorIjlEEPS9_SG_NS0_5tupleIJPjSI_NS0_16reverse_iteratorISI_EEEEENSH_IJSG_SG_SG_EEES9_SI_JZNS1_25segmented_radix_sort_implINS0_14default_configELb0EPKaPaPKlPlN2at6native12_GLOBAL__N_18offset_tEEE10hipError_tPvRmT1_PNSt15iterator_traitsIS12_E10value_typeET2_T3_PNS13_IS18_E10value_typeET4_jRbjT5_S1E_jjP12ihipStream_tbEUljE_ZNSN_ISO_Lb0ESQ_SR_ST_SU_SY_EESZ_S10_S11_S12_S16_S17_S18_S1B_S1C_jS1D_jS1E_S1E_jjS1G_bEUljE0_EEESZ_S10_S11_S18_S1C_S1E_T6_T7_T9_mT8_S1G_bDpT10_ENKUlT_T0_E_clISt17integral_constantIbLb0EES1T_IbLb1EEEEDaS1P_S1Q_EUlS1P_E_NS1_11comp_targetILNS1_3genE2ELNS1_11target_archE906ELNS1_3gpuE6ELNS1_3repE0EEENS1_30default_config_static_selectorELNS0_4arch9wavefront6targetE1EEEvS12_.num_vgpr, 91
	.set _ZN7rocprim17ROCPRIM_400000_NS6detail17trampoline_kernelINS0_13select_configILj256ELj13ELNS0_17block_load_methodE3ELS4_3ELS4_3ELNS0_20block_scan_algorithmE0ELj4294967295EEENS1_25partition_config_selectorILNS1_17partition_subalgoE4EjNS0_10empty_typeEbEEZZNS1_14partition_implILS8_4ELb0ES6_15HIP_vector_typeIjLj2EENS0_17counting_iteratorIjlEEPS9_SG_NS0_5tupleIJPjSI_NS0_16reverse_iteratorISI_EEEEENSH_IJSG_SG_SG_EEES9_SI_JZNS1_25segmented_radix_sort_implINS0_14default_configELb0EPKaPaPKlPlN2at6native12_GLOBAL__N_18offset_tEEE10hipError_tPvRmT1_PNSt15iterator_traitsIS12_E10value_typeET2_T3_PNS13_IS18_E10value_typeET4_jRbjT5_S1E_jjP12ihipStream_tbEUljE_ZNSN_ISO_Lb0ESQ_SR_ST_SU_SY_EESZ_S10_S11_S12_S16_S17_S18_S1B_S1C_jS1D_jS1E_S1E_jjS1G_bEUljE0_EEESZ_S10_S11_S18_S1C_S1E_T6_T7_T9_mT8_S1G_bDpT10_ENKUlT_T0_E_clISt17integral_constantIbLb0EES1T_IbLb1EEEEDaS1P_S1Q_EUlS1P_E_NS1_11comp_targetILNS1_3genE2ELNS1_11target_archE906ELNS1_3gpuE6ELNS1_3repE0EEENS1_30default_config_static_selectorELNS0_4arch9wavefront6targetE1EEEvS12_.num_agpr, 0
	.set _ZN7rocprim17ROCPRIM_400000_NS6detail17trampoline_kernelINS0_13select_configILj256ELj13ELNS0_17block_load_methodE3ELS4_3ELS4_3ELNS0_20block_scan_algorithmE0ELj4294967295EEENS1_25partition_config_selectorILNS1_17partition_subalgoE4EjNS0_10empty_typeEbEEZZNS1_14partition_implILS8_4ELb0ES6_15HIP_vector_typeIjLj2EENS0_17counting_iteratorIjlEEPS9_SG_NS0_5tupleIJPjSI_NS0_16reverse_iteratorISI_EEEEENSH_IJSG_SG_SG_EEES9_SI_JZNS1_25segmented_radix_sort_implINS0_14default_configELb0EPKaPaPKlPlN2at6native12_GLOBAL__N_18offset_tEEE10hipError_tPvRmT1_PNSt15iterator_traitsIS12_E10value_typeET2_T3_PNS13_IS18_E10value_typeET4_jRbjT5_S1E_jjP12ihipStream_tbEUljE_ZNSN_ISO_Lb0ESQ_SR_ST_SU_SY_EESZ_S10_S11_S12_S16_S17_S18_S1B_S1C_jS1D_jS1E_S1E_jjS1G_bEUljE0_EEESZ_S10_S11_S18_S1C_S1E_T6_T7_T9_mT8_S1G_bDpT10_ENKUlT_T0_E_clISt17integral_constantIbLb0EES1T_IbLb1EEEEDaS1P_S1Q_EUlS1P_E_NS1_11comp_targetILNS1_3genE2ELNS1_11target_archE906ELNS1_3gpuE6ELNS1_3repE0EEENS1_30default_config_static_selectorELNS0_4arch9wavefront6targetE1EEEvS12_.numbered_sgpr, 87
	.set _ZN7rocprim17ROCPRIM_400000_NS6detail17trampoline_kernelINS0_13select_configILj256ELj13ELNS0_17block_load_methodE3ELS4_3ELS4_3ELNS0_20block_scan_algorithmE0ELj4294967295EEENS1_25partition_config_selectorILNS1_17partition_subalgoE4EjNS0_10empty_typeEbEEZZNS1_14partition_implILS8_4ELb0ES6_15HIP_vector_typeIjLj2EENS0_17counting_iteratorIjlEEPS9_SG_NS0_5tupleIJPjSI_NS0_16reverse_iteratorISI_EEEEENSH_IJSG_SG_SG_EEES9_SI_JZNS1_25segmented_radix_sort_implINS0_14default_configELb0EPKaPaPKlPlN2at6native12_GLOBAL__N_18offset_tEEE10hipError_tPvRmT1_PNSt15iterator_traitsIS12_E10value_typeET2_T3_PNS13_IS18_E10value_typeET4_jRbjT5_S1E_jjP12ihipStream_tbEUljE_ZNSN_ISO_Lb0ESQ_SR_ST_SU_SY_EESZ_S10_S11_S12_S16_S17_S18_S1B_S1C_jS1D_jS1E_S1E_jjS1G_bEUljE0_EEESZ_S10_S11_S18_S1C_S1E_T6_T7_T9_mT8_S1G_bDpT10_ENKUlT_T0_E_clISt17integral_constantIbLb0EES1T_IbLb1EEEEDaS1P_S1Q_EUlS1P_E_NS1_11comp_targetILNS1_3genE2ELNS1_11target_archE906ELNS1_3gpuE6ELNS1_3repE0EEENS1_30default_config_static_selectorELNS0_4arch9wavefront6targetE1EEEvS12_.num_named_barrier, 0
	.set _ZN7rocprim17ROCPRIM_400000_NS6detail17trampoline_kernelINS0_13select_configILj256ELj13ELNS0_17block_load_methodE3ELS4_3ELS4_3ELNS0_20block_scan_algorithmE0ELj4294967295EEENS1_25partition_config_selectorILNS1_17partition_subalgoE4EjNS0_10empty_typeEbEEZZNS1_14partition_implILS8_4ELb0ES6_15HIP_vector_typeIjLj2EENS0_17counting_iteratorIjlEEPS9_SG_NS0_5tupleIJPjSI_NS0_16reverse_iteratorISI_EEEEENSH_IJSG_SG_SG_EEES9_SI_JZNS1_25segmented_radix_sort_implINS0_14default_configELb0EPKaPaPKlPlN2at6native12_GLOBAL__N_18offset_tEEE10hipError_tPvRmT1_PNSt15iterator_traitsIS12_E10value_typeET2_T3_PNS13_IS18_E10value_typeET4_jRbjT5_S1E_jjP12ihipStream_tbEUljE_ZNSN_ISO_Lb0ESQ_SR_ST_SU_SY_EESZ_S10_S11_S12_S16_S17_S18_S1B_S1C_jS1D_jS1E_S1E_jjS1G_bEUljE0_EEESZ_S10_S11_S18_S1C_S1E_T6_T7_T9_mT8_S1G_bDpT10_ENKUlT_T0_E_clISt17integral_constantIbLb0EES1T_IbLb1EEEEDaS1P_S1Q_EUlS1P_E_NS1_11comp_targetILNS1_3genE2ELNS1_11target_archE906ELNS1_3gpuE6ELNS1_3repE0EEENS1_30default_config_static_selectorELNS0_4arch9wavefront6targetE1EEEvS12_.private_seg_size, 0
	.set _ZN7rocprim17ROCPRIM_400000_NS6detail17trampoline_kernelINS0_13select_configILj256ELj13ELNS0_17block_load_methodE3ELS4_3ELS4_3ELNS0_20block_scan_algorithmE0ELj4294967295EEENS1_25partition_config_selectorILNS1_17partition_subalgoE4EjNS0_10empty_typeEbEEZZNS1_14partition_implILS8_4ELb0ES6_15HIP_vector_typeIjLj2EENS0_17counting_iteratorIjlEEPS9_SG_NS0_5tupleIJPjSI_NS0_16reverse_iteratorISI_EEEEENSH_IJSG_SG_SG_EEES9_SI_JZNS1_25segmented_radix_sort_implINS0_14default_configELb0EPKaPaPKlPlN2at6native12_GLOBAL__N_18offset_tEEE10hipError_tPvRmT1_PNSt15iterator_traitsIS12_E10value_typeET2_T3_PNS13_IS18_E10value_typeET4_jRbjT5_S1E_jjP12ihipStream_tbEUljE_ZNSN_ISO_Lb0ESQ_SR_ST_SU_SY_EESZ_S10_S11_S12_S16_S17_S18_S1B_S1C_jS1D_jS1E_S1E_jjS1G_bEUljE0_EEESZ_S10_S11_S18_S1C_S1E_T6_T7_T9_mT8_S1G_bDpT10_ENKUlT_T0_E_clISt17integral_constantIbLb0EES1T_IbLb1EEEEDaS1P_S1Q_EUlS1P_E_NS1_11comp_targetILNS1_3genE2ELNS1_11target_archE906ELNS1_3gpuE6ELNS1_3repE0EEENS1_30default_config_static_selectorELNS0_4arch9wavefront6targetE1EEEvS12_.uses_vcc, 1
	.set _ZN7rocprim17ROCPRIM_400000_NS6detail17trampoline_kernelINS0_13select_configILj256ELj13ELNS0_17block_load_methodE3ELS4_3ELS4_3ELNS0_20block_scan_algorithmE0ELj4294967295EEENS1_25partition_config_selectorILNS1_17partition_subalgoE4EjNS0_10empty_typeEbEEZZNS1_14partition_implILS8_4ELb0ES6_15HIP_vector_typeIjLj2EENS0_17counting_iteratorIjlEEPS9_SG_NS0_5tupleIJPjSI_NS0_16reverse_iteratorISI_EEEEENSH_IJSG_SG_SG_EEES9_SI_JZNS1_25segmented_radix_sort_implINS0_14default_configELb0EPKaPaPKlPlN2at6native12_GLOBAL__N_18offset_tEEE10hipError_tPvRmT1_PNSt15iterator_traitsIS12_E10value_typeET2_T3_PNS13_IS18_E10value_typeET4_jRbjT5_S1E_jjP12ihipStream_tbEUljE_ZNSN_ISO_Lb0ESQ_SR_ST_SU_SY_EESZ_S10_S11_S12_S16_S17_S18_S1B_S1C_jS1D_jS1E_S1E_jjS1G_bEUljE0_EEESZ_S10_S11_S18_S1C_S1E_T6_T7_T9_mT8_S1G_bDpT10_ENKUlT_T0_E_clISt17integral_constantIbLb0EES1T_IbLb1EEEEDaS1P_S1Q_EUlS1P_E_NS1_11comp_targetILNS1_3genE2ELNS1_11target_archE906ELNS1_3gpuE6ELNS1_3repE0EEENS1_30default_config_static_selectorELNS0_4arch9wavefront6targetE1EEEvS12_.uses_flat_scratch, 0
	.set _ZN7rocprim17ROCPRIM_400000_NS6detail17trampoline_kernelINS0_13select_configILj256ELj13ELNS0_17block_load_methodE3ELS4_3ELS4_3ELNS0_20block_scan_algorithmE0ELj4294967295EEENS1_25partition_config_selectorILNS1_17partition_subalgoE4EjNS0_10empty_typeEbEEZZNS1_14partition_implILS8_4ELb0ES6_15HIP_vector_typeIjLj2EENS0_17counting_iteratorIjlEEPS9_SG_NS0_5tupleIJPjSI_NS0_16reverse_iteratorISI_EEEEENSH_IJSG_SG_SG_EEES9_SI_JZNS1_25segmented_radix_sort_implINS0_14default_configELb0EPKaPaPKlPlN2at6native12_GLOBAL__N_18offset_tEEE10hipError_tPvRmT1_PNSt15iterator_traitsIS12_E10value_typeET2_T3_PNS13_IS18_E10value_typeET4_jRbjT5_S1E_jjP12ihipStream_tbEUljE_ZNSN_ISO_Lb0ESQ_SR_ST_SU_SY_EESZ_S10_S11_S12_S16_S17_S18_S1B_S1C_jS1D_jS1E_S1E_jjS1G_bEUljE0_EEESZ_S10_S11_S18_S1C_S1E_T6_T7_T9_mT8_S1G_bDpT10_ENKUlT_T0_E_clISt17integral_constantIbLb0EES1T_IbLb1EEEEDaS1P_S1Q_EUlS1P_E_NS1_11comp_targetILNS1_3genE2ELNS1_11target_archE906ELNS1_3gpuE6ELNS1_3repE0EEENS1_30default_config_static_selectorELNS0_4arch9wavefront6targetE1EEEvS12_.has_dyn_sized_stack, 0
	.set _ZN7rocprim17ROCPRIM_400000_NS6detail17trampoline_kernelINS0_13select_configILj256ELj13ELNS0_17block_load_methodE3ELS4_3ELS4_3ELNS0_20block_scan_algorithmE0ELj4294967295EEENS1_25partition_config_selectorILNS1_17partition_subalgoE4EjNS0_10empty_typeEbEEZZNS1_14partition_implILS8_4ELb0ES6_15HIP_vector_typeIjLj2EENS0_17counting_iteratorIjlEEPS9_SG_NS0_5tupleIJPjSI_NS0_16reverse_iteratorISI_EEEEENSH_IJSG_SG_SG_EEES9_SI_JZNS1_25segmented_radix_sort_implINS0_14default_configELb0EPKaPaPKlPlN2at6native12_GLOBAL__N_18offset_tEEE10hipError_tPvRmT1_PNSt15iterator_traitsIS12_E10value_typeET2_T3_PNS13_IS18_E10value_typeET4_jRbjT5_S1E_jjP12ihipStream_tbEUljE_ZNSN_ISO_Lb0ESQ_SR_ST_SU_SY_EESZ_S10_S11_S12_S16_S17_S18_S1B_S1C_jS1D_jS1E_S1E_jjS1G_bEUljE0_EEESZ_S10_S11_S18_S1C_S1E_T6_T7_T9_mT8_S1G_bDpT10_ENKUlT_T0_E_clISt17integral_constantIbLb0EES1T_IbLb1EEEEDaS1P_S1Q_EUlS1P_E_NS1_11comp_targetILNS1_3genE2ELNS1_11target_archE906ELNS1_3gpuE6ELNS1_3repE0EEENS1_30default_config_static_selectorELNS0_4arch9wavefront6targetE1EEEvS12_.has_recursion, 0
	.set _ZN7rocprim17ROCPRIM_400000_NS6detail17trampoline_kernelINS0_13select_configILj256ELj13ELNS0_17block_load_methodE3ELS4_3ELS4_3ELNS0_20block_scan_algorithmE0ELj4294967295EEENS1_25partition_config_selectorILNS1_17partition_subalgoE4EjNS0_10empty_typeEbEEZZNS1_14partition_implILS8_4ELb0ES6_15HIP_vector_typeIjLj2EENS0_17counting_iteratorIjlEEPS9_SG_NS0_5tupleIJPjSI_NS0_16reverse_iteratorISI_EEEEENSH_IJSG_SG_SG_EEES9_SI_JZNS1_25segmented_radix_sort_implINS0_14default_configELb0EPKaPaPKlPlN2at6native12_GLOBAL__N_18offset_tEEE10hipError_tPvRmT1_PNSt15iterator_traitsIS12_E10value_typeET2_T3_PNS13_IS18_E10value_typeET4_jRbjT5_S1E_jjP12ihipStream_tbEUljE_ZNSN_ISO_Lb0ESQ_SR_ST_SU_SY_EESZ_S10_S11_S12_S16_S17_S18_S1B_S1C_jS1D_jS1E_S1E_jjS1G_bEUljE0_EEESZ_S10_S11_S18_S1C_S1E_T6_T7_T9_mT8_S1G_bDpT10_ENKUlT_T0_E_clISt17integral_constantIbLb0EES1T_IbLb1EEEEDaS1P_S1Q_EUlS1P_E_NS1_11comp_targetILNS1_3genE2ELNS1_11target_archE906ELNS1_3gpuE6ELNS1_3repE0EEENS1_30default_config_static_selectorELNS0_4arch9wavefront6targetE1EEEvS12_.has_indirect_call, 0
	.section	.AMDGPU.csdata,"",@progbits
; Kernel info:
; codeLenInByte = 15580
; TotalNumSgprs: 91
; NumVgprs: 91
; ScratchSize: 0
; MemoryBound: 0
; FloatMode: 240
; IeeeMode: 1
; LDSByteSize: 13328 bytes/workgroup (compile time only)
; SGPRBlocks: 12
; VGPRBlocks: 22
; NumSGPRsForWavesPerEU: 102
; NumVGPRsForWavesPerEU: 91
; Occupancy: 2
; WaveLimiterHint : 1
; COMPUTE_PGM_RSRC2:SCRATCH_EN: 0
; COMPUTE_PGM_RSRC2:USER_SGPR: 6
; COMPUTE_PGM_RSRC2:TRAP_HANDLER: 0
; COMPUTE_PGM_RSRC2:TGID_X_EN: 1
; COMPUTE_PGM_RSRC2:TGID_Y_EN: 0
; COMPUTE_PGM_RSRC2:TGID_Z_EN: 0
; COMPUTE_PGM_RSRC2:TIDIG_COMP_CNT: 0
	.section	.text._ZN7rocprim17ROCPRIM_400000_NS6detail17trampoline_kernelINS0_13select_configILj256ELj13ELNS0_17block_load_methodE3ELS4_3ELS4_3ELNS0_20block_scan_algorithmE0ELj4294967295EEENS1_25partition_config_selectorILNS1_17partition_subalgoE4EjNS0_10empty_typeEbEEZZNS1_14partition_implILS8_4ELb0ES6_15HIP_vector_typeIjLj2EENS0_17counting_iteratorIjlEEPS9_SG_NS0_5tupleIJPjSI_NS0_16reverse_iteratorISI_EEEEENSH_IJSG_SG_SG_EEES9_SI_JZNS1_25segmented_radix_sort_implINS0_14default_configELb0EPKaPaPKlPlN2at6native12_GLOBAL__N_18offset_tEEE10hipError_tPvRmT1_PNSt15iterator_traitsIS12_E10value_typeET2_T3_PNS13_IS18_E10value_typeET4_jRbjT5_S1E_jjP12ihipStream_tbEUljE_ZNSN_ISO_Lb0ESQ_SR_ST_SU_SY_EESZ_S10_S11_S12_S16_S17_S18_S1B_S1C_jS1D_jS1E_S1E_jjS1G_bEUljE0_EEESZ_S10_S11_S18_S1C_S1E_T6_T7_T9_mT8_S1G_bDpT10_ENKUlT_T0_E_clISt17integral_constantIbLb0EES1T_IbLb1EEEEDaS1P_S1Q_EUlS1P_E_NS1_11comp_targetILNS1_3genE10ELNS1_11target_archE1200ELNS1_3gpuE4ELNS1_3repE0EEENS1_30default_config_static_selectorELNS0_4arch9wavefront6targetE1EEEvS12_,"axG",@progbits,_ZN7rocprim17ROCPRIM_400000_NS6detail17trampoline_kernelINS0_13select_configILj256ELj13ELNS0_17block_load_methodE3ELS4_3ELS4_3ELNS0_20block_scan_algorithmE0ELj4294967295EEENS1_25partition_config_selectorILNS1_17partition_subalgoE4EjNS0_10empty_typeEbEEZZNS1_14partition_implILS8_4ELb0ES6_15HIP_vector_typeIjLj2EENS0_17counting_iteratorIjlEEPS9_SG_NS0_5tupleIJPjSI_NS0_16reverse_iteratorISI_EEEEENSH_IJSG_SG_SG_EEES9_SI_JZNS1_25segmented_radix_sort_implINS0_14default_configELb0EPKaPaPKlPlN2at6native12_GLOBAL__N_18offset_tEEE10hipError_tPvRmT1_PNSt15iterator_traitsIS12_E10value_typeET2_T3_PNS13_IS18_E10value_typeET4_jRbjT5_S1E_jjP12ihipStream_tbEUljE_ZNSN_ISO_Lb0ESQ_SR_ST_SU_SY_EESZ_S10_S11_S12_S16_S17_S18_S1B_S1C_jS1D_jS1E_S1E_jjS1G_bEUljE0_EEESZ_S10_S11_S18_S1C_S1E_T6_T7_T9_mT8_S1G_bDpT10_ENKUlT_T0_E_clISt17integral_constantIbLb0EES1T_IbLb1EEEEDaS1P_S1Q_EUlS1P_E_NS1_11comp_targetILNS1_3genE10ELNS1_11target_archE1200ELNS1_3gpuE4ELNS1_3repE0EEENS1_30default_config_static_selectorELNS0_4arch9wavefront6targetE1EEEvS12_,comdat
	.globl	_ZN7rocprim17ROCPRIM_400000_NS6detail17trampoline_kernelINS0_13select_configILj256ELj13ELNS0_17block_load_methodE3ELS4_3ELS4_3ELNS0_20block_scan_algorithmE0ELj4294967295EEENS1_25partition_config_selectorILNS1_17partition_subalgoE4EjNS0_10empty_typeEbEEZZNS1_14partition_implILS8_4ELb0ES6_15HIP_vector_typeIjLj2EENS0_17counting_iteratorIjlEEPS9_SG_NS0_5tupleIJPjSI_NS0_16reverse_iteratorISI_EEEEENSH_IJSG_SG_SG_EEES9_SI_JZNS1_25segmented_radix_sort_implINS0_14default_configELb0EPKaPaPKlPlN2at6native12_GLOBAL__N_18offset_tEEE10hipError_tPvRmT1_PNSt15iterator_traitsIS12_E10value_typeET2_T3_PNS13_IS18_E10value_typeET4_jRbjT5_S1E_jjP12ihipStream_tbEUljE_ZNSN_ISO_Lb0ESQ_SR_ST_SU_SY_EESZ_S10_S11_S12_S16_S17_S18_S1B_S1C_jS1D_jS1E_S1E_jjS1G_bEUljE0_EEESZ_S10_S11_S18_S1C_S1E_T6_T7_T9_mT8_S1G_bDpT10_ENKUlT_T0_E_clISt17integral_constantIbLb0EES1T_IbLb1EEEEDaS1P_S1Q_EUlS1P_E_NS1_11comp_targetILNS1_3genE10ELNS1_11target_archE1200ELNS1_3gpuE4ELNS1_3repE0EEENS1_30default_config_static_selectorELNS0_4arch9wavefront6targetE1EEEvS12_ ; -- Begin function _ZN7rocprim17ROCPRIM_400000_NS6detail17trampoline_kernelINS0_13select_configILj256ELj13ELNS0_17block_load_methodE3ELS4_3ELS4_3ELNS0_20block_scan_algorithmE0ELj4294967295EEENS1_25partition_config_selectorILNS1_17partition_subalgoE4EjNS0_10empty_typeEbEEZZNS1_14partition_implILS8_4ELb0ES6_15HIP_vector_typeIjLj2EENS0_17counting_iteratorIjlEEPS9_SG_NS0_5tupleIJPjSI_NS0_16reverse_iteratorISI_EEEEENSH_IJSG_SG_SG_EEES9_SI_JZNS1_25segmented_radix_sort_implINS0_14default_configELb0EPKaPaPKlPlN2at6native12_GLOBAL__N_18offset_tEEE10hipError_tPvRmT1_PNSt15iterator_traitsIS12_E10value_typeET2_T3_PNS13_IS18_E10value_typeET4_jRbjT5_S1E_jjP12ihipStream_tbEUljE_ZNSN_ISO_Lb0ESQ_SR_ST_SU_SY_EESZ_S10_S11_S12_S16_S17_S18_S1B_S1C_jS1D_jS1E_S1E_jjS1G_bEUljE0_EEESZ_S10_S11_S18_S1C_S1E_T6_T7_T9_mT8_S1G_bDpT10_ENKUlT_T0_E_clISt17integral_constantIbLb0EES1T_IbLb1EEEEDaS1P_S1Q_EUlS1P_E_NS1_11comp_targetILNS1_3genE10ELNS1_11target_archE1200ELNS1_3gpuE4ELNS1_3repE0EEENS1_30default_config_static_selectorELNS0_4arch9wavefront6targetE1EEEvS12_
	.p2align	8
	.type	_ZN7rocprim17ROCPRIM_400000_NS6detail17trampoline_kernelINS0_13select_configILj256ELj13ELNS0_17block_load_methodE3ELS4_3ELS4_3ELNS0_20block_scan_algorithmE0ELj4294967295EEENS1_25partition_config_selectorILNS1_17partition_subalgoE4EjNS0_10empty_typeEbEEZZNS1_14partition_implILS8_4ELb0ES6_15HIP_vector_typeIjLj2EENS0_17counting_iteratorIjlEEPS9_SG_NS0_5tupleIJPjSI_NS0_16reverse_iteratorISI_EEEEENSH_IJSG_SG_SG_EEES9_SI_JZNS1_25segmented_radix_sort_implINS0_14default_configELb0EPKaPaPKlPlN2at6native12_GLOBAL__N_18offset_tEEE10hipError_tPvRmT1_PNSt15iterator_traitsIS12_E10value_typeET2_T3_PNS13_IS18_E10value_typeET4_jRbjT5_S1E_jjP12ihipStream_tbEUljE_ZNSN_ISO_Lb0ESQ_SR_ST_SU_SY_EESZ_S10_S11_S12_S16_S17_S18_S1B_S1C_jS1D_jS1E_S1E_jjS1G_bEUljE0_EEESZ_S10_S11_S18_S1C_S1E_T6_T7_T9_mT8_S1G_bDpT10_ENKUlT_T0_E_clISt17integral_constantIbLb0EES1T_IbLb1EEEEDaS1P_S1Q_EUlS1P_E_NS1_11comp_targetILNS1_3genE10ELNS1_11target_archE1200ELNS1_3gpuE4ELNS1_3repE0EEENS1_30default_config_static_selectorELNS0_4arch9wavefront6targetE1EEEvS12_,@function
_ZN7rocprim17ROCPRIM_400000_NS6detail17trampoline_kernelINS0_13select_configILj256ELj13ELNS0_17block_load_methodE3ELS4_3ELS4_3ELNS0_20block_scan_algorithmE0ELj4294967295EEENS1_25partition_config_selectorILNS1_17partition_subalgoE4EjNS0_10empty_typeEbEEZZNS1_14partition_implILS8_4ELb0ES6_15HIP_vector_typeIjLj2EENS0_17counting_iteratorIjlEEPS9_SG_NS0_5tupleIJPjSI_NS0_16reverse_iteratorISI_EEEEENSH_IJSG_SG_SG_EEES9_SI_JZNS1_25segmented_radix_sort_implINS0_14default_configELb0EPKaPaPKlPlN2at6native12_GLOBAL__N_18offset_tEEE10hipError_tPvRmT1_PNSt15iterator_traitsIS12_E10value_typeET2_T3_PNS13_IS18_E10value_typeET4_jRbjT5_S1E_jjP12ihipStream_tbEUljE_ZNSN_ISO_Lb0ESQ_SR_ST_SU_SY_EESZ_S10_S11_S12_S16_S17_S18_S1B_S1C_jS1D_jS1E_S1E_jjS1G_bEUljE0_EEESZ_S10_S11_S18_S1C_S1E_T6_T7_T9_mT8_S1G_bDpT10_ENKUlT_T0_E_clISt17integral_constantIbLb0EES1T_IbLb1EEEEDaS1P_S1Q_EUlS1P_E_NS1_11comp_targetILNS1_3genE10ELNS1_11target_archE1200ELNS1_3gpuE4ELNS1_3repE0EEENS1_30default_config_static_selectorELNS0_4arch9wavefront6targetE1EEEvS12_: ; @_ZN7rocprim17ROCPRIM_400000_NS6detail17trampoline_kernelINS0_13select_configILj256ELj13ELNS0_17block_load_methodE3ELS4_3ELS4_3ELNS0_20block_scan_algorithmE0ELj4294967295EEENS1_25partition_config_selectorILNS1_17partition_subalgoE4EjNS0_10empty_typeEbEEZZNS1_14partition_implILS8_4ELb0ES6_15HIP_vector_typeIjLj2EENS0_17counting_iteratorIjlEEPS9_SG_NS0_5tupleIJPjSI_NS0_16reverse_iteratorISI_EEEEENSH_IJSG_SG_SG_EEES9_SI_JZNS1_25segmented_radix_sort_implINS0_14default_configELb0EPKaPaPKlPlN2at6native12_GLOBAL__N_18offset_tEEE10hipError_tPvRmT1_PNSt15iterator_traitsIS12_E10value_typeET2_T3_PNS13_IS18_E10value_typeET4_jRbjT5_S1E_jjP12ihipStream_tbEUljE_ZNSN_ISO_Lb0ESQ_SR_ST_SU_SY_EESZ_S10_S11_S12_S16_S17_S18_S1B_S1C_jS1D_jS1E_S1E_jjS1G_bEUljE0_EEESZ_S10_S11_S18_S1C_S1E_T6_T7_T9_mT8_S1G_bDpT10_ENKUlT_T0_E_clISt17integral_constantIbLb0EES1T_IbLb1EEEEDaS1P_S1Q_EUlS1P_E_NS1_11comp_targetILNS1_3genE10ELNS1_11target_archE1200ELNS1_3gpuE4ELNS1_3repE0EEENS1_30default_config_static_selectorELNS0_4arch9wavefront6targetE1EEEvS12_
; %bb.0:
	.section	.rodata,"a",@progbits
	.p2align	6, 0x0
	.amdhsa_kernel _ZN7rocprim17ROCPRIM_400000_NS6detail17trampoline_kernelINS0_13select_configILj256ELj13ELNS0_17block_load_methodE3ELS4_3ELS4_3ELNS0_20block_scan_algorithmE0ELj4294967295EEENS1_25partition_config_selectorILNS1_17partition_subalgoE4EjNS0_10empty_typeEbEEZZNS1_14partition_implILS8_4ELb0ES6_15HIP_vector_typeIjLj2EENS0_17counting_iteratorIjlEEPS9_SG_NS0_5tupleIJPjSI_NS0_16reverse_iteratorISI_EEEEENSH_IJSG_SG_SG_EEES9_SI_JZNS1_25segmented_radix_sort_implINS0_14default_configELb0EPKaPaPKlPlN2at6native12_GLOBAL__N_18offset_tEEE10hipError_tPvRmT1_PNSt15iterator_traitsIS12_E10value_typeET2_T3_PNS13_IS18_E10value_typeET4_jRbjT5_S1E_jjP12ihipStream_tbEUljE_ZNSN_ISO_Lb0ESQ_SR_ST_SU_SY_EESZ_S10_S11_S12_S16_S17_S18_S1B_S1C_jS1D_jS1E_S1E_jjS1G_bEUljE0_EEESZ_S10_S11_S18_S1C_S1E_T6_T7_T9_mT8_S1G_bDpT10_ENKUlT_T0_E_clISt17integral_constantIbLb0EES1T_IbLb1EEEEDaS1P_S1Q_EUlS1P_E_NS1_11comp_targetILNS1_3genE10ELNS1_11target_archE1200ELNS1_3gpuE4ELNS1_3repE0EEENS1_30default_config_static_selectorELNS0_4arch9wavefront6targetE1EEEvS12_
		.amdhsa_group_segment_fixed_size 0
		.amdhsa_private_segment_fixed_size 0
		.amdhsa_kernarg_size 184
		.amdhsa_user_sgpr_count 6
		.amdhsa_user_sgpr_private_segment_buffer 1
		.amdhsa_user_sgpr_dispatch_ptr 0
		.amdhsa_user_sgpr_queue_ptr 0
		.amdhsa_user_sgpr_kernarg_segment_ptr 1
		.amdhsa_user_sgpr_dispatch_id 0
		.amdhsa_user_sgpr_flat_scratch_init 0
		.amdhsa_user_sgpr_private_segment_size 0
		.amdhsa_uses_dynamic_stack 0
		.amdhsa_system_sgpr_private_segment_wavefront_offset 0
		.amdhsa_system_sgpr_workgroup_id_x 1
		.amdhsa_system_sgpr_workgroup_id_y 0
		.amdhsa_system_sgpr_workgroup_id_z 0
		.amdhsa_system_sgpr_workgroup_info 0
		.amdhsa_system_vgpr_workitem_id 0
		.amdhsa_next_free_vgpr 1
		.amdhsa_next_free_sgpr 0
		.amdhsa_reserve_vcc 0
		.amdhsa_reserve_flat_scratch 0
		.amdhsa_float_round_mode_32 0
		.amdhsa_float_round_mode_16_64 0
		.amdhsa_float_denorm_mode_32 3
		.amdhsa_float_denorm_mode_16_64 3
		.amdhsa_dx10_clamp 1
		.amdhsa_ieee_mode 1
		.amdhsa_fp16_overflow 0
		.amdhsa_exception_fp_ieee_invalid_op 0
		.amdhsa_exception_fp_denorm_src 0
		.amdhsa_exception_fp_ieee_div_zero 0
		.amdhsa_exception_fp_ieee_overflow 0
		.amdhsa_exception_fp_ieee_underflow 0
		.amdhsa_exception_fp_ieee_inexact 0
		.amdhsa_exception_int_div_zero 0
	.end_amdhsa_kernel
	.section	.text._ZN7rocprim17ROCPRIM_400000_NS6detail17trampoline_kernelINS0_13select_configILj256ELj13ELNS0_17block_load_methodE3ELS4_3ELS4_3ELNS0_20block_scan_algorithmE0ELj4294967295EEENS1_25partition_config_selectorILNS1_17partition_subalgoE4EjNS0_10empty_typeEbEEZZNS1_14partition_implILS8_4ELb0ES6_15HIP_vector_typeIjLj2EENS0_17counting_iteratorIjlEEPS9_SG_NS0_5tupleIJPjSI_NS0_16reverse_iteratorISI_EEEEENSH_IJSG_SG_SG_EEES9_SI_JZNS1_25segmented_radix_sort_implINS0_14default_configELb0EPKaPaPKlPlN2at6native12_GLOBAL__N_18offset_tEEE10hipError_tPvRmT1_PNSt15iterator_traitsIS12_E10value_typeET2_T3_PNS13_IS18_E10value_typeET4_jRbjT5_S1E_jjP12ihipStream_tbEUljE_ZNSN_ISO_Lb0ESQ_SR_ST_SU_SY_EESZ_S10_S11_S12_S16_S17_S18_S1B_S1C_jS1D_jS1E_S1E_jjS1G_bEUljE0_EEESZ_S10_S11_S18_S1C_S1E_T6_T7_T9_mT8_S1G_bDpT10_ENKUlT_T0_E_clISt17integral_constantIbLb0EES1T_IbLb1EEEEDaS1P_S1Q_EUlS1P_E_NS1_11comp_targetILNS1_3genE10ELNS1_11target_archE1200ELNS1_3gpuE4ELNS1_3repE0EEENS1_30default_config_static_selectorELNS0_4arch9wavefront6targetE1EEEvS12_,"axG",@progbits,_ZN7rocprim17ROCPRIM_400000_NS6detail17trampoline_kernelINS0_13select_configILj256ELj13ELNS0_17block_load_methodE3ELS4_3ELS4_3ELNS0_20block_scan_algorithmE0ELj4294967295EEENS1_25partition_config_selectorILNS1_17partition_subalgoE4EjNS0_10empty_typeEbEEZZNS1_14partition_implILS8_4ELb0ES6_15HIP_vector_typeIjLj2EENS0_17counting_iteratorIjlEEPS9_SG_NS0_5tupleIJPjSI_NS0_16reverse_iteratorISI_EEEEENSH_IJSG_SG_SG_EEES9_SI_JZNS1_25segmented_radix_sort_implINS0_14default_configELb0EPKaPaPKlPlN2at6native12_GLOBAL__N_18offset_tEEE10hipError_tPvRmT1_PNSt15iterator_traitsIS12_E10value_typeET2_T3_PNS13_IS18_E10value_typeET4_jRbjT5_S1E_jjP12ihipStream_tbEUljE_ZNSN_ISO_Lb0ESQ_SR_ST_SU_SY_EESZ_S10_S11_S12_S16_S17_S18_S1B_S1C_jS1D_jS1E_S1E_jjS1G_bEUljE0_EEESZ_S10_S11_S18_S1C_S1E_T6_T7_T9_mT8_S1G_bDpT10_ENKUlT_T0_E_clISt17integral_constantIbLb0EES1T_IbLb1EEEEDaS1P_S1Q_EUlS1P_E_NS1_11comp_targetILNS1_3genE10ELNS1_11target_archE1200ELNS1_3gpuE4ELNS1_3repE0EEENS1_30default_config_static_selectorELNS0_4arch9wavefront6targetE1EEEvS12_,comdat
.Lfunc_end358:
	.size	_ZN7rocprim17ROCPRIM_400000_NS6detail17trampoline_kernelINS0_13select_configILj256ELj13ELNS0_17block_load_methodE3ELS4_3ELS4_3ELNS0_20block_scan_algorithmE0ELj4294967295EEENS1_25partition_config_selectorILNS1_17partition_subalgoE4EjNS0_10empty_typeEbEEZZNS1_14partition_implILS8_4ELb0ES6_15HIP_vector_typeIjLj2EENS0_17counting_iteratorIjlEEPS9_SG_NS0_5tupleIJPjSI_NS0_16reverse_iteratorISI_EEEEENSH_IJSG_SG_SG_EEES9_SI_JZNS1_25segmented_radix_sort_implINS0_14default_configELb0EPKaPaPKlPlN2at6native12_GLOBAL__N_18offset_tEEE10hipError_tPvRmT1_PNSt15iterator_traitsIS12_E10value_typeET2_T3_PNS13_IS18_E10value_typeET4_jRbjT5_S1E_jjP12ihipStream_tbEUljE_ZNSN_ISO_Lb0ESQ_SR_ST_SU_SY_EESZ_S10_S11_S12_S16_S17_S18_S1B_S1C_jS1D_jS1E_S1E_jjS1G_bEUljE0_EEESZ_S10_S11_S18_S1C_S1E_T6_T7_T9_mT8_S1G_bDpT10_ENKUlT_T0_E_clISt17integral_constantIbLb0EES1T_IbLb1EEEEDaS1P_S1Q_EUlS1P_E_NS1_11comp_targetILNS1_3genE10ELNS1_11target_archE1200ELNS1_3gpuE4ELNS1_3repE0EEENS1_30default_config_static_selectorELNS0_4arch9wavefront6targetE1EEEvS12_, .Lfunc_end358-_ZN7rocprim17ROCPRIM_400000_NS6detail17trampoline_kernelINS0_13select_configILj256ELj13ELNS0_17block_load_methodE3ELS4_3ELS4_3ELNS0_20block_scan_algorithmE0ELj4294967295EEENS1_25partition_config_selectorILNS1_17partition_subalgoE4EjNS0_10empty_typeEbEEZZNS1_14partition_implILS8_4ELb0ES6_15HIP_vector_typeIjLj2EENS0_17counting_iteratorIjlEEPS9_SG_NS0_5tupleIJPjSI_NS0_16reverse_iteratorISI_EEEEENSH_IJSG_SG_SG_EEES9_SI_JZNS1_25segmented_radix_sort_implINS0_14default_configELb0EPKaPaPKlPlN2at6native12_GLOBAL__N_18offset_tEEE10hipError_tPvRmT1_PNSt15iterator_traitsIS12_E10value_typeET2_T3_PNS13_IS18_E10value_typeET4_jRbjT5_S1E_jjP12ihipStream_tbEUljE_ZNSN_ISO_Lb0ESQ_SR_ST_SU_SY_EESZ_S10_S11_S12_S16_S17_S18_S1B_S1C_jS1D_jS1E_S1E_jjS1G_bEUljE0_EEESZ_S10_S11_S18_S1C_S1E_T6_T7_T9_mT8_S1G_bDpT10_ENKUlT_T0_E_clISt17integral_constantIbLb0EES1T_IbLb1EEEEDaS1P_S1Q_EUlS1P_E_NS1_11comp_targetILNS1_3genE10ELNS1_11target_archE1200ELNS1_3gpuE4ELNS1_3repE0EEENS1_30default_config_static_selectorELNS0_4arch9wavefront6targetE1EEEvS12_
                                        ; -- End function
	.set _ZN7rocprim17ROCPRIM_400000_NS6detail17trampoline_kernelINS0_13select_configILj256ELj13ELNS0_17block_load_methodE3ELS4_3ELS4_3ELNS0_20block_scan_algorithmE0ELj4294967295EEENS1_25partition_config_selectorILNS1_17partition_subalgoE4EjNS0_10empty_typeEbEEZZNS1_14partition_implILS8_4ELb0ES6_15HIP_vector_typeIjLj2EENS0_17counting_iteratorIjlEEPS9_SG_NS0_5tupleIJPjSI_NS0_16reverse_iteratorISI_EEEEENSH_IJSG_SG_SG_EEES9_SI_JZNS1_25segmented_radix_sort_implINS0_14default_configELb0EPKaPaPKlPlN2at6native12_GLOBAL__N_18offset_tEEE10hipError_tPvRmT1_PNSt15iterator_traitsIS12_E10value_typeET2_T3_PNS13_IS18_E10value_typeET4_jRbjT5_S1E_jjP12ihipStream_tbEUljE_ZNSN_ISO_Lb0ESQ_SR_ST_SU_SY_EESZ_S10_S11_S12_S16_S17_S18_S1B_S1C_jS1D_jS1E_S1E_jjS1G_bEUljE0_EEESZ_S10_S11_S18_S1C_S1E_T6_T7_T9_mT8_S1G_bDpT10_ENKUlT_T0_E_clISt17integral_constantIbLb0EES1T_IbLb1EEEEDaS1P_S1Q_EUlS1P_E_NS1_11comp_targetILNS1_3genE10ELNS1_11target_archE1200ELNS1_3gpuE4ELNS1_3repE0EEENS1_30default_config_static_selectorELNS0_4arch9wavefront6targetE1EEEvS12_.num_vgpr, 0
	.set _ZN7rocprim17ROCPRIM_400000_NS6detail17trampoline_kernelINS0_13select_configILj256ELj13ELNS0_17block_load_methodE3ELS4_3ELS4_3ELNS0_20block_scan_algorithmE0ELj4294967295EEENS1_25partition_config_selectorILNS1_17partition_subalgoE4EjNS0_10empty_typeEbEEZZNS1_14partition_implILS8_4ELb0ES6_15HIP_vector_typeIjLj2EENS0_17counting_iteratorIjlEEPS9_SG_NS0_5tupleIJPjSI_NS0_16reverse_iteratorISI_EEEEENSH_IJSG_SG_SG_EEES9_SI_JZNS1_25segmented_radix_sort_implINS0_14default_configELb0EPKaPaPKlPlN2at6native12_GLOBAL__N_18offset_tEEE10hipError_tPvRmT1_PNSt15iterator_traitsIS12_E10value_typeET2_T3_PNS13_IS18_E10value_typeET4_jRbjT5_S1E_jjP12ihipStream_tbEUljE_ZNSN_ISO_Lb0ESQ_SR_ST_SU_SY_EESZ_S10_S11_S12_S16_S17_S18_S1B_S1C_jS1D_jS1E_S1E_jjS1G_bEUljE0_EEESZ_S10_S11_S18_S1C_S1E_T6_T7_T9_mT8_S1G_bDpT10_ENKUlT_T0_E_clISt17integral_constantIbLb0EES1T_IbLb1EEEEDaS1P_S1Q_EUlS1P_E_NS1_11comp_targetILNS1_3genE10ELNS1_11target_archE1200ELNS1_3gpuE4ELNS1_3repE0EEENS1_30default_config_static_selectorELNS0_4arch9wavefront6targetE1EEEvS12_.num_agpr, 0
	.set _ZN7rocprim17ROCPRIM_400000_NS6detail17trampoline_kernelINS0_13select_configILj256ELj13ELNS0_17block_load_methodE3ELS4_3ELS4_3ELNS0_20block_scan_algorithmE0ELj4294967295EEENS1_25partition_config_selectorILNS1_17partition_subalgoE4EjNS0_10empty_typeEbEEZZNS1_14partition_implILS8_4ELb0ES6_15HIP_vector_typeIjLj2EENS0_17counting_iteratorIjlEEPS9_SG_NS0_5tupleIJPjSI_NS0_16reverse_iteratorISI_EEEEENSH_IJSG_SG_SG_EEES9_SI_JZNS1_25segmented_radix_sort_implINS0_14default_configELb0EPKaPaPKlPlN2at6native12_GLOBAL__N_18offset_tEEE10hipError_tPvRmT1_PNSt15iterator_traitsIS12_E10value_typeET2_T3_PNS13_IS18_E10value_typeET4_jRbjT5_S1E_jjP12ihipStream_tbEUljE_ZNSN_ISO_Lb0ESQ_SR_ST_SU_SY_EESZ_S10_S11_S12_S16_S17_S18_S1B_S1C_jS1D_jS1E_S1E_jjS1G_bEUljE0_EEESZ_S10_S11_S18_S1C_S1E_T6_T7_T9_mT8_S1G_bDpT10_ENKUlT_T0_E_clISt17integral_constantIbLb0EES1T_IbLb1EEEEDaS1P_S1Q_EUlS1P_E_NS1_11comp_targetILNS1_3genE10ELNS1_11target_archE1200ELNS1_3gpuE4ELNS1_3repE0EEENS1_30default_config_static_selectorELNS0_4arch9wavefront6targetE1EEEvS12_.numbered_sgpr, 0
	.set _ZN7rocprim17ROCPRIM_400000_NS6detail17trampoline_kernelINS0_13select_configILj256ELj13ELNS0_17block_load_methodE3ELS4_3ELS4_3ELNS0_20block_scan_algorithmE0ELj4294967295EEENS1_25partition_config_selectorILNS1_17partition_subalgoE4EjNS0_10empty_typeEbEEZZNS1_14partition_implILS8_4ELb0ES6_15HIP_vector_typeIjLj2EENS0_17counting_iteratorIjlEEPS9_SG_NS0_5tupleIJPjSI_NS0_16reverse_iteratorISI_EEEEENSH_IJSG_SG_SG_EEES9_SI_JZNS1_25segmented_radix_sort_implINS0_14default_configELb0EPKaPaPKlPlN2at6native12_GLOBAL__N_18offset_tEEE10hipError_tPvRmT1_PNSt15iterator_traitsIS12_E10value_typeET2_T3_PNS13_IS18_E10value_typeET4_jRbjT5_S1E_jjP12ihipStream_tbEUljE_ZNSN_ISO_Lb0ESQ_SR_ST_SU_SY_EESZ_S10_S11_S12_S16_S17_S18_S1B_S1C_jS1D_jS1E_S1E_jjS1G_bEUljE0_EEESZ_S10_S11_S18_S1C_S1E_T6_T7_T9_mT8_S1G_bDpT10_ENKUlT_T0_E_clISt17integral_constantIbLb0EES1T_IbLb1EEEEDaS1P_S1Q_EUlS1P_E_NS1_11comp_targetILNS1_3genE10ELNS1_11target_archE1200ELNS1_3gpuE4ELNS1_3repE0EEENS1_30default_config_static_selectorELNS0_4arch9wavefront6targetE1EEEvS12_.num_named_barrier, 0
	.set _ZN7rocprim17ROCPRIM_400000_NS6detail17trampoline_kernelINS0_13select_configILj256ELj13ELNS0_17block_load_methodE3ELS4_3ELS4_3ELNS0_20block_scan_algorithmE0ELj4294967295EEENS1_25partition_config_selectorILNS1_17partition_subalgoE4EjNS0_10empty_typeEbEEZZNS1_14partition_implILS8_4ELb0ES6_15HIP_vector_typeIjLj2EENS0_17counting_iteratorIjlEEPS9_SG_NS0_5tupleIJPjSI_NS0_16reverse_iteratorISI_EEEEENSH_IJSG_SG_SG_EEES9_SI_JZNS1_25segmented_radix_sort_implINS0_14default_configELb0EPKaPaPKlPlN2at6native12_GLOBAL__N_18offset_tEEE10hipError_tPvRmT1_PNSt15iterator_traitsIS12_E10value_typeET2_T3_PNS13_IS18_E10value_typeET4_jRbjT5_S1E_jjP12ihipStream_tbEUljE_ZNSN_ISO_Lb0ESQ_SR_ST_SU_SY_EESZ_S10_S11_S12_S16_S17_S18_S1B_S1C_jS1D_jS1E_S1E_jjS1G_bEUljE0_EEESZ_S10_S11_S18_S1C_S1E_T6_T7_T9_mT8_S1G_bDpT10_ENKUlT_T0_E_clISt17integral_constantIbLb0EES1T_IbLb1EEEEDaS1P_S1Q_EUlS1P_E_NS1_11comp_targetILNS1_3genE10ELNS1_11target_archE1200ELNS1_3gpuE4ELNS1_3repE0EEENS1_30default_config_static_selectorELNS0_4arch9wavefront6targetE1EEEvS12_.private_seg_size, 0
	.set _ZN7rocprim17ROCPRIM_400000_NS6detail17trampoline_kernelINS0_13select_configILj256ELj13ELNS0_17block_load_methodE3ELS4_3ELS4_3ELNS0_20block_scan_algorithmE0ELj4294967295EEENS1_25partition_config_selectorILNS1_17partition_subalgoE4EjNS0_10empty_typeEbEEZZNS1_14partition_implILS8_4ELb0ES6_15HIP_vector_typeIjLj2EENS0_17counting_iteratorIjlEEPS9_SG_NS0_5tupleIJPjSI_NS0_16reverse_iteratorISI_EEEEENSH_IJSG_SG_SG_EEES9_SI_JZNS1_25segmented_radix_sort_implINS0_14default_configELb0EPKaPaPKlPlN2at6native12_GLOBAL__N_18offset_tEEE10hipError_tPvRmT1_PNSt15iterator_traitsIS12_E10value_typeET2_T3_PNS13_IS18_E10value_typeET4_jRbjT5_S1E_jjP12ihipStream_tbEUljE_ZNSN_ISO_Lb0ESQ_SR_ST_SU_SY_EESZ_S10_S11_S12_S16_S17_S18_S1B_S1C_jS1D_jS1E_S1E_jjS1G_bEUljE0_EEESZ_S10_S11_S18_S1C_S1E_T6_T7_T9_mT8_S1G_bDpT10_ENKUlT_T0_E_clISt17integral_constantIbLb0EES1T_IbLb1EEEEDaS1P_S1Q_EUlS1P_E_NS1_11comp_targetILNS1_3genE10ELNS1_11target_archE1200ELNS1_3gpuE4ELNS1_3repE0EEENS1_30default_config_static_selectorELNS0_4arch9wavefront6targetE1EEEvS12_.uses_vcc, 0
	.set _ZN7rocprim17ROCPRIM_400000_NS6detail17trampoline_kernelINS0_13select_configILj256ELj13ELNS0_17block_load_methodE3ELS4_3ELS4_3ELNS0_20block_scan_algorithmE0ELj4294967295EEENS1_25partition_config_selectorILNS1_17partition_subalgoE4EjNS0_10empty_typeEbEEZZNS1_14partition_implILS8_4ELb0ES6_15HIP_vector_typeIjLj2EENS0_17counting_iteratorIjlEEPS9_SG_NS0_5tupleIJPjSI_NS0_16reverse_iteratorISI_EEEEENSH_IJSG_SG_SG_EEES9_SI_JZNS1_25segmented_radix_sort_implINS0_14default_configELb0EPKaPaPKlPlN2at6native12_GLOBAL__N_18offset_tEEE10hipError_tPvRmT1_PNSt15iterator_traitsIS12_E10value_typeET2_T3_PNS13_IS18_E10value_typeET4_jRbjT5_S1E_jjP12ihipStream_tbEUljE_ZNSN_ISO_Lb0ESQ_SR_ST_SU_SY_EESZ_S10_S11_S12_S16_S17_S18_S1B_S1C_jS1D_jS1E_S1E_jjS1G_bEUljE0_EEESZ_S10_S11_S18_S1C_S1E_T6_T7_T9_mT8_S1G_bDpT10_ENKUlT_T0_E_clISt17integral_constantIbLb0EES1T_IbLb1EEEEDaS1P_S1Q_EUlS1P_E_NS1_11comp_targetILNS1_3genE10ELNS1_11target_archE1200ELNS1_3gpuE4ELNS1_3repE0EEENS1_30default_config_static_selectorELNS0_4arch9wavefront6targetE1EEEvS12_.uses_flat_scratch, 0
	.set _ZN7rocprim17ROCPRIM_400000_NS6detail17trampoline_kernelINS0_13select_configILj256ELj13ELNS0_17block_load_methodE3ELS4_3ELS4_3ELNS0_20block_scan_algorithmE0ELj4294967295EEENS1_25partition_config_selectorILNS1_17partition_subalgoE4EjNS0_10empty_typeEbEEZZNS1_14partition_implILS8_4ELb0ES6_15HIP_vector_typeIjLj2EENS0_17counting_iteratorIjlEEPS9_SG_NS0_5tupleIJPjSI_NS0_16reverse_iteratorISI_EEEEENSH_IJSG_SG_SG_EEES9_SI_JZNS1_25segmented_radix_sort_implINS0_14default_configELb0EPKaPaPKlPlN2at6native12_GLOBAL__N_18offset_tEEE10hipError_tPvRmT1_PNSt15iterator_traitsIS12_E10value_typeET2_T3_PNS13_IS18_E10value_typeET4_jRbjT5_S1E_jjP12ihipStream_tbEUljE_ZNSN_ISO_Lb0ESQ_SR_ST_SU_SY_EESZ_S10_S11_S12_S16_S17_S18_S1B_S1C_jS1D_jS1E_S1E_jjS1G_bEUljE0_EEESZ_S10_S11_S18_S1C_S1E_T6_T7_T9_mT8_S1G_bDpT10_ENKUlT_T0_E_clISt17integral_constantIbLb0EES1T_IbLb1EEEEDaS1P_S1Q_EUlS1P_E_NS1_11comp_targetILNS1_3genE10ELNS1_11target_archE1200ELNS1_3gpuE4ELNS1_3repE0EEENS1_30default_config_static_selectorELNS0_4arch9wavefront6targetE1EEEvS12_.has_dyn_sized_stack, 0
	.set _ZN7rocprim17ROCPRIM_400000_NS6detail17trampoline_kernelINS0_13select_configILj256ELj13ELNS0_17block_load_methodE3ELS4_3ELS4_3ELNS0_20block_scan_algorithmE0ELj4294967295EEENS1_25partition_config_selectorILNS1_17partition_subalgoE4EjNS0_10empty_typeEbEEZZNS1_14partition_implILS8_4ELb0ES6_15HIP_vector_typeIjLj2EENS0_17counting_iteratorIjlEEPS9_SG_NS0_5tupleIJPjSI_NS0_16reverse_iteratorISI_EEEEENSH_IJSG_SG_SG_EEES9_SI_JZNS1_25segmented_radix_sort_implINS0_14default_configELb0EPKaPaPKlPlN2at6native12_GLOBAL__N_18offset_tEEE10hipError_tPvRmT1_PNSt15iterator_traitsIS12_E10value_typeET2_T3_PNS13_IS18_E10value_typeET4_jRbjT5_S1E_jjP12ihipStream_tbEUljE_ZNSN_ISO_Lb0ESQ_SR_ST_SU_SY_EESZ_S10_S11_S12_S16_S17_S18_S1B_S1C_jS1D_jS1E_S1E_jjS1G_bEUljE0_EEESZ_S10_S11_S18_S1C_S1E_T6_T7_T9_mT8_S1G_bDpT10_ENKUlT_T0_E_clISt17integral_constantIbLb0EES1T_IbLb1EEEEDaS1P_S1Q_EUlS1P_E_NS1_11comp_targetILNS1_3genE10ELNS1_11target_archE1200ELNS1_3gpuE4ELNS1_3repE0EEENS1_30default_config_static_selectorELNS0_4arch9wavefront6targetE1EEEvS12_.has_recursion, 0
	.set _ZN7rocprim17ROCPRIM_400000_NS6detail17trampoline_kernelINS0_13select_configILj256ELj13ELNS0_17block_load_methodE3ELS4_3ELS4_3ELNS0_20block_scan_algorithmE0ELj4294967295EEENS1_25partition_config_selectorILNS1_17partition_subalgoE4EjNS0_10empty_typeEbEEZZNS1_14partition_implILS8_4ELb0ES6_15HIP_vector_typeIjLj2EENS0_17counting_iteratorIjlEEPS9_SG_NS0_5tupleIJPjSI_NS0_16reverse_iteratorISI_EEEEENSH_IJSG_SG_SG_EEES9_SI_JZNS1_25segmented_radix_sort_implINS0_14default_configELb0EPKaPaPKlPlN2at6native12_GLOBAL__N_18offset_tEEE10hipError_tPvRmT1_PNSt15iterator_traitsIS12_E10value_typeET2_T3_PNS13_IS18_E10value_typeET4_jRbjT5_S1E_jjP12ihipStream_tbEUljE_ZNSN_ISO_Lb0ESQ_SR_ST_SU_SY_EESZ_S10_S11_S12_S16_S17_S18_S1B_S1C_jS1D_jS1E_S1E_jjS1G_bEUljE0_EEESZ_S10_S11_S18_S1C_S1E_T6_T7_T9_mT8_S1G_bDpT10_ENKUlT_T0_E_clISt17integral_constantIbLb0EES1T_IbLb1EEEEDaS1P_S1Q_EUlS1P_E_NS1_11comp_targetILNS1_3genE10ELNS1_11target_archE1200ELNS1_3gpuE4ELNS1_3repE0EEENS1_30default_config_static_selectorELNS0_4arch9wavefront6targetE1EEEvS12_.has_indirect_call, 0
	.section	.AMDGPU.csdata,"",@progbits
; Kernel info:
; codeLenInByte = 0
; TotalNumSgprs: 4
; NumVgprs: 0
; ScratchSize: 0
; MemoryBound: 0
; FloatMode: 240
; IeeeMode: 1
; LDSByteSize: 0 bytes/workgroup (compile time only)
; SGPRBlocks: 0
; VGPRBlocks: 0
; NumSGPRsForWavesPerEU: 4
; NumVGPRsForWavesPerEU: 1
; Occupancy: 10
; WaveLimiterHint : 0
; COMPUTE_PGM_RSRC2:SCRATCH_EN: 0
; COMPUTE_PGM_RSRC2:USER_SGPR: 6
; COMPUTE_PGM_RSRC2:TRAP_HANDLER: 0
; COMPUTE_PGM_RSRC2:TGID_X_EN: 1
; COMPUTE_PGM_RSRC2:TGID_Y_EN: 0
; COMPUTE_PGM_RSRC2:TGID_Z_EN: 0
; COMPUTE_PGM_RSRC2:TIDIG_COMP_CNT: 0
	.section	.text._ZN7rocprim17ROCPRIM_400000_NS6detail17trampoline_kernelINS0_13select_configILj256ELj13ELNS0_17block_load_methodE3ELS4_3ELS4_3ELNS0_20block_scan_algorithmE0ELj4294967295EEENS1_25partition_config_selectorILNS1_17partition_subalgoE4EjNS0_10empty_typeEbEEZZNS1_14partition_implILS8_4ELb0ES6_15HIP_vector_typeIjLj2EENS0_17counting_iteratorIjlEEPS9_SG_NS0_5tupleIJPjSI_NS0_16reverse_iteratorISI_EEEEENSH_IJSG_SG_SG_EEES9_SI_JZNS1_25segmented_radix_sort_implINS0_14default_configELb0EPKaPaPKlPlN2at6native12_GLOBAL__N_18offset_tEEE10hipError_tPvRmT1_PNSt15iterator_traitsIS12_E10value_typeET2_T3_PNS13_IS18_E10value_typeET4_jRbjT5_S1E_jjP12ihipStream_tbEUljE_ZNSN_ISO_Lb0ESQ_SR_ST_SU_SY_EESZ_S10_S11_S12_S16_S17_S18_S1B_S1C_jS1D_jS1E_S1E_jjS1G_bEUljE0_EEESZ_S10_S11_S18_S1C_S1E_T6_T7_T9_mT8_S1G_bDpT10_ENKUlT_T0_E_clISt17integral_constantIbLb0EES1T_IbLb1EEEEDaS1P_S1Q_EUlS1P_E_NS1_11comp_targetILNS1_3genE9ELNS1_11target_archE1100ELNS1_3gpuE3ELNS1_3repE0EEENS1_30default_config_static_selectorELNS0_4arch9wavefront6targetE1EEEvS12_,"axG",@progbits,_ZN7rocprim17ROCPRIM_400000_NS6detail17trampoline_kernelINS0_13select_configILj256ELj13ELNS0_17block_load_methodE3ELS4_3ELS4_3ELNS0_20block_scan_algorithmE0ELj4294967295EEENS1_25partition_config_selectorILNS1_17partition_subalgoE4EjNS0_10empty_typeEbEEZZNS1_14partition_implILS8_4ELb0ES6_15HIP_vector_typeIjLj2EENS0_17counting_iteratorIjlEEPS9_SG_NS0_5tupleIJPjSI_NS0_16reverse_iteratorISI_EEEEENSH_IJSG_SG_SG_EEES9_SI_JZNS1_25segmented_radix_sort_implINS0_14default_configELb0EPKaPaPKlPlN2at6native12_GLOBAL__N_18offset_tEEE10hipError_tPvRmT1_PNSt15iterator_traitsIS12_E10value_typeET2_T3_PNS13_IS18_E10value_typeET4_jRbjT5_S1E_jjP12ihipStream_tbEUljE_ZNSN_ISO_Lb0ESQ_SR_ST_SU_SY_EESZ_S10_S11_S12_S16_S17_S18_S1B_S1C_jS1D_jS1E_S1E_jjS1G_bEUljE0_EEESZ_S10_S11_S18_S1C_S1E_T6_T7_T9_mT8_S1G_bDpT10_ENKUlT_T0_E_clISt17integral_constantIbLb0EES1T_IbLb1EEEEDaS1P_S1Q_EUlS1P_E_NS1_11comp_targetILNS1_3genE9ELNS1_11target_archE1100ELNS1_3gpuE3ELNS1_3repE0EEENS1_30default_config_static_selectorELNS0_4arch9wavefront6targetE1EEEvS12_,comdat
	.globl	_ZN7rocprim17ROCPRIM_400000_NS6detail17trampoline_kernelINS0_13select_configILj256ELj13ELNS0_17block_load_methodE3ELS4_3ELS4_3ELNS0_20block_scan_algorithmE0ELj4294967295EEENS1_25partition_config_selectorILNS1_17partition_subalgoE4EjNS0_10empty_typeEbEEZZNS1_14partition_implILS8_4ELb0ES6_15HIP_vector_typeIjLj2EENS0_17counting_iteratorIjlEEPS9_SG_NS0_5tupleIJPjSI_NS0_16reverse_iteratorISI_EEEEENSH_IJSG_SG_SG_EEES9_SI_JZNS1_25segmented_radix_sort_implINS0_14default_configELb0EPKaPaPKlPlN2at6native12_GLOBAL__N_18offset_tEEE10hipError_tPvRmT1_PNSt15iterator_traitsIS12_E10value_typeET2_T3_PNS13_IS18_E10value_typeET4_jRbjT5_S1E_jjP12ihipStream_tbEUljE_ZNSN_ISO_Lb0ESQ_SR_ST_SU_SY_EESZ_S10_S11_S12_S16_S17_S18_S1B_S1C_jS1D_jS1E_S1E_jjS1G_bEUljE0_EEESZ_S10_S11_S18_S1C_S1E_T6_T7_T9_mT8_S1G_bDpT10_ENKUlT_T0_E_clISt17integral_constantIbLb0EES1T_IbLb1EEEEDaS1P_S1Q_EUlS1P_E_NS1_11comp_targetILNS1_3genE9ELNS1_11target_archE1100ELNS1_3gpuE3ELNS1_3repE0EEENS1_30default_config_static_selectorELNS0_4arch9wavefront6targetE1EEEvS12_ ; -- Begin function _ZN7rocprim17ROCPRIM_400000_NS6detail17trampoline_kernelINS0_13select_configILj256ELj13ELNS0_17block_load_methodE3ELS4_3ELS4_3ELNS0_20block_scan_algorithmE0ELj4294967295EEENS1_25partition_config_selectorILNS1_17partition_subalgoE4EjNS0_10empty_typeEbEEZZNS1_14partition_implILS8_4ELb0ES6_15HIP_vector_typeIjLj2EENS0_17counting_iteratorIjlEEPS9_SG_NS0_5tupleIJPjSI_NS0_16reverse_iteratorISI_EEEEENSH_IJSG_SG_SG_EEES9_SI_JZNS1_25segmented_radix_sort_implINS0_14default_configELb0EPKaPaPKlPlN2at6native12_GLOBAL__N_18offset_tEEE10hipError_tPvRmT1_PNSt15iterator_traitsIS12_E10value_typeET2_T3_PNS13_IS18_E10value_typeET4_jRbjT5_S1E_jjP12ihipStream_tbEUljE_ZNSN_ISO_Lb0ESQ_SR_ST_SU_SY_EESZ_S10_S11_S12_S16_S17_S18_S1B_S1C_jS1D_jS1E_S1E_jjS1G_bEUljE0_EEESZ_S10_S11_S18_S1C_S1E_T6_T7_T9_mT8_S1G_bDpT10_ENKUlT_T0_E_clISt17integral_constantIbLb0EES1T_IbLb1EEEEDaS1P_S1Q_EUlS1P_E_NS1_11comp_targetILNS1_3genE9ELNS1_11target_archE1100ELNS1_3gpuE3ELNS1_3repE0EEENS1_30default_config_static_selectorELNS0_4arch9wavefront6targetE1EEEvS12_
	.p2align	8
	.type	_ZN7rocprim17ROCPRIM_400000_NS6detail17trampoline_kernelINS0_13select_configILj256ELj13ELNS0_17block_load_methodE3ELS4_3ELS4_3ELNS0_20block_scan_algorithmE0ELj4294967295EEENS1_25partition_config_selectorILNS1_17partition_subalgoE4EjNS0_10empty_typeEbEEZZNS1_14partition_implILS8_4ELb0ES6_15HIP_vector_typeIjLj2EENS0_17counting_iteratorIjlEEPS9_SG_NS0_5tupleIJPjSI_NS0_16reverse_iteratorISI_EEEEENSH_IJSG_SG_SG_EEES9_SI_JZNS1_25segmented_radix_sort_implINS0_14default_configELb0EPKaPaPKlPlN2at6native12_GLOBAL__N_18offset_tEEE10hipError_tPvRmT1_PNSt15iterator_traitsIS12_E10value_typeET2_T3_PNS13_IS18_E10value_typeET4_jRbjT5_S1E_jjP12ihipStream_tbEUljE_ZNSN_ISO_Lb0ESQ_SR_ST_SU_SY_EESZ_S10_S11_S12_S16_S17_S18_S1B_S1C_jS1D_jS1E_S1E_jjS1G_bEUljE0_EEESZ_S10_S11_S18_S1C_S1E_T6_T7_T9_mT8_S1G_bDpT10_ENKUlT_T0_E_clISt17integral_constantIbLb0EES1T_IbLb1EEEEDaS1P_S1Q_EUlS1P_E_NS1_11comp_targetILNS1_3genE9ELNS1_11target_archE1100ELNS1_3gpuE3ELNS1_3repE0EEENS1_30default_config_static_selectorELNS0_4arch9wavefront6targetE1EEEvS12_,@function
_ZN7rocprim17ROCPRIM_400000_NS6detail17trampoline_kernelINS0_13select_configILj256ELj13ELNS0_17block_load_methodE3ELS4_3ELS4_3ELNS0_20block_scan_algorithmE0ELj4294967295EEENS1_25partition_config_selectorILNS1_17partition_subalgoE4EjNS0_10empty_typeEbEEZZNS1_14partition_implILS8_4ELb0ES6_15HIP_vector_typeIjLj2EENS0_17counting_iteratorIjlEEPS9_SG_NS0_5tupleIJPjSI_NS0_16reverse_iteratorISI_EEEEENSH_IJSG_SG_SG_EEES9_SI_JZNS1_25segmented_radix_sort_implINS0_14default_configELb0EPKaPaPKlPlN2at6native12_GLOBAL__N_18offset_tEEE10hipError_tPvRmT1_PNSt15iterator_traitsIS12_E10value_typeET2_T3_PNS13_IS18_E10value_typeET4_jRbjT5_S1E_jjP12ihipStream_tbEUljE_ZNSN_ISO_Lb0ESQ_SR_ST_SU_SY_EESZ_S10_S11_S12_S16_S17_S18_S1B_S1C_jS1D_jS1E_S1E_jjS1G_bEUljE0_EEESZ_S10_S11_S18_S1C_S1E_T6_T7_T9_mT8_S1G_bDpT10_ENKUlT_T0_E_clISt17integral_constantIbLb0EES1T_IbLb1EEEEDaS1P_S1Q_EUlS1P_E_NS1_11comp_targetILNS1_3genE9ELNS1_11target_archE1100ELNS1_3gpuE3ELNS1_3repE0EEENS1_30default_config_static_selectorELNS0_4arch9wavefront6targetE1EEEvS12_: ; @_ZN7rocprim17ROCPRIM_400000_NS6detail17trampoline_kernelINS0_13select_configILj256ELj13ELNS0_17block_load_methodE3ELS4_3ELS4_3ELNS0_20block_scan_algorithmE0ELj4294967295EEENS1_25partition_config_selectorILNS1_17partition_subalgoE4EjNS0_10empty_typeEbEEZZNS1_14partition_implILS8_4ELb0ES6_15HIP_vector_typeIjLj2EENS0_17counting_iteratorIjlEEPS9_SG_NS0_5tupleIJPjSI_NS0_16reverse_iteratorISI_EEEEENSH_IJSG_SG_SG_EEES9_SI_JZNS1_25segmented_radix_sort_implINS0_14default_configELb0EPKaPaPKlPlN2at6native12_GLOBAL__N_18offset_tEEE10hipError_tPvRmT1_PNSt15iterator_traitsIS12_E10value_typeET2_T3_PNS13_IS18_E10value_typeET4_jRbjT5_S1E_jjP12ihipStream_tbEUljE_ZNSN_ISO_Lb0ESQ_SR_ST_SU_SY_EESZ_S10_S11_S12_S16_S17_S18_S1B_S1C_jS1D_jS1E_S1E_jjS1G_bEUljE0_EEESZ_S10_S11_S18_S1C_S1E_T6_T7_T9_mT8_S1G_bDpT10_ENKUlT_T0_E_clISt17integral_constantIbLb0EES1T_IbLb1EEEEDaS1P_S1Q_EUlS1P_E_NS1_11comp_targetILNS1_3genE9ELNS1_11target_archE1100ELNS1_3gpuE3ELNS1_3repE0EEENS1_30default_config_static_selectorELNS0_4arch9wavefront6targetE1EEEvS12_
; %bb.0:
	.section	.rodata,"a",@progbits
	.p2align	6, 0x0
	.amdhsa_kernel _ZN7rocprim17ROCPRIM_400000_NS6detail17trampoline_kernelINS0_13select_configILj256ELj13ELNS0_17block_load_methodE3ELS4_3ELS4_3ELNS0_20block_scan_algorithmE0ELj4294967295EEENS1_25partition_config_selectorILNS1_17partition_subalgoE4EjNS0_10empty_typeEbEEZZNS1_14partition_implILS8_4ELb0ES6_15HIP_vector_typeIjLj2EENS0_17counting_iteratorIjlEEPS9_SG_NS0_5tupleIJPjSI_NS0_16reverse_iteratorISI_EEEEENSH_IJSG_SG_SG_EEES9_SI_JZNS1_25segmented_radix_sort_implINS0_14default_configELb0EPKaPaPKlPlN2at6native12_GLOBAL__N_18offset_tEEE10hipError_tPvRmT1_PNSt15iterator_traitsIS12_E10value_typeET2_T3_PNS13_IS18_E10value_typeET4_jRbjT5_S1E_jjP12ihipStream_tbEUljE_ZNSN_ISO_Lb0ESQ_SR_ST_SU_SY_EESZ_S10_S11_S12_S16_S17_S18_S1B_S1C_jS1D_jS1E_S1E_jjS1G_bEUljE0_EEESZ_S10_S11_S18_S1C_S1E_T6_T7_T9_mT8_S1G_bDpT10_ENKUlT_T0_E_clISt17integral_constantIbLb0EES1T_IbLb1EEEEDaS1P_S1Q_EUlS1P_E_NS1_11comp_targetILNS1_3genE9ELNS1_11target_archE1100ELNS1_3gpuE3ELNS1_3repE0EEENS1_30default_config_static_selectorELNS0_4arch9wavefront6targetE1EEEvS12_
		.amdhsa_group_segment_fixed_size 0
		.amdhsa_private_segment_fixed_size 0
		.amdhsa_kernarg_size 184
		.amdhsa_user_sgpr_count 6
		.amdhsa_user_sgpr_private_segment_buffer 1
		.amdhsa_user_sgpr_dispatch_ptr 0
		.amdhsa_user_sgpr_queue_ptr 0
		.amdhsa_user_sgpr_kernarg_segment_ptr 1
		.amdhsa_user_sgpr_dispatch_id 0
		.amdhsa_user_sgpr_flat_scratch_init 0
		.amdhsa_user_sgpr_private_segment_size 0
		.amdhsa_uses_dynamic_stack 0
		.amdhsa_system_sgpr_private_segment_wavefront_offset 0
		.amdhsa_system_sgpr_workgroup_id_x 1
		.amdhsa_system_sgpr_workgroup_id_y 0
		.amdhsa_system_sgpr_workgroup_id_z 0
		.amdhsa_system_sgpr_workgroup_info 0
		.amdhsa_system_vgpr_workitem_id 0
		.amdhsa_next_free_vgpr 1
		.amdhsa_next_free_sgpr 0
		.amdhsa_reserve_vcc 0
		.amdhsa_reserve_flat_scratch 0
		.amdhsa_float_round_mode_32 0
		.amdhsa_float_round_mode_16_64 0
		.amdhsa_float_denorm_mode_32 3
		.amdhsa_float_denorm_mode_16_64 3
		.amdhsa_dx10_clamp 1
		.amdhsa_ieee_mode 1
		.amdhsa_fp16_overflow 0
		.amdhsa_exception_fp_ieee_invalid_op 0
		.amdhsa_exception_fp_denorm_src 0
		.amdhsa_exception_fp_ieee_div_zero 0
		.amdhsa_exception_fp_ieee_overflow 0
		.amdhsa_exception_fp_ieee_underflow 0
		.amdhsa_exception_fp_ieee_inexact 0
		.amdhsa_exception_int_div_zero 0
	.end_amdhsa_kernel
	.section	.text._ZN7rocprim17ROCPRIM_400000_NS6detail17trampoline_kernelINS0_13select_configILj256ELj13ELNS0_17block_load_methodE3ELS4_3ELS4_3ELNS0_20block_scan_algorithmE0ELj4294967295EEENS1_25partition_config_selectorILNS1_17partition_subalgoE4EjNS0_10empty_typeEbEEZZNS1_14partition_implILS8_4ELb0ES6_15HIP_vector_typeIjLj2EENS0_17counting_iteratorIjlEEPS9_SG_NS0_5tupleIJPjSI_NS0_16reverse_iteratorISI_EEEEENSH_IJSG_SG_SG_EEES9_SI_JZNS1_25segmented_radix_sort_implINS0_14default_configELb0EPKaPaPKlPlN2at6native12_GLOBAL__N_18offset_tEEE10hipError_tPvRmT1_PNSt15iterator_traitsIS12_E10value_typeET2_T3_PNS13_IS18_E10value_typeET4_jRbjT5_S1E_jjP12ihipStream_tbEUljE_ZNSN_ISO_Lb0ESQ_SR_ST_SU_SY_EESZ_S10_S11_S12_S16_S17_S18_S1B_S1C_jS1D_jS1E_S1E_jjS1G_bEUljE0_EEESZ_S10_S11_S18_S1C_S1E_T6_T7_T9_mT8_S1G_bDpT10_ENKUlT_T0_E_clISt17integral_constantIbLb0EES1T_IbLb1EEEEDaS1P_S1Q_EUlS1P_E_NS1_11comp_targetILNS1_3genE9ELNS1_11target_archE1100ELNS1_3gpuE3ELNS1_3repE0EEENS1_30default_config_static_selectorELNS0_4arch9wavefront6targetE1EEEvS12_,"axG",@progbits,_ZN7rocprim17ROCPRIM_400000_NS6detail17trampoline_kernelINS0_13select_configILj256ELj13ELNS0_17block_load_methodE3ELS4_3ELS4_3ELNS0_20block_scan_algorithmE0ELj4294967295EEENS1_25partition_config_selectorILNS1_17partition_subalgoE4EjNS0_10empty_typeEbEEZZNS1_14partition_implILS8_4ELb0ES6_15HIP_vector_typeIjLj2EENS0_17counting_iteratorIjlEEPS9_SG_NS0_5tupleIJPjSI_NS0_16reverse_iteratorISI_EEEEENSH_IJSG_SG_SG_EEES9_SI_JZNS1_25segmented_radix_sort_implINS0_14default_configELb0EPKaPaPKlPlN2at6native12_GLOBAL__N_18offset_tEEE10hipError_tPvRmT1_PNSt15iterator_traitsIS12_E10value_typeET2_T3_PNS13_IS18_E10value_typeET4_jRbjT5_S1E_jjP12ihipStream_tbEUljE_ZNSN_ISO_Lb0ESQ_SR_ST_SU_SY_EESZ_S10_S11_S12_S16_S17_S18_S1B_S1C_jS1D_jS1E_S1E_jjS1G_bEUljE0_EEESZ_S10_S11_S18_S1C_S1E_T6_T7_T9_mT8_S1G_bDpT10_ENKUlT_T0_E_clISt17integral_constantIbLb0EES1T_IbLb1EEEEDaS1P_S1Q_EUlS1P_E_NS1_11comp_targetILNS1_3genE9ELNS1_11target_archE1100ELNS1_3gpuE3ELNS1_3repE0EEENS1_30default_config_static_selectorELNS0_4arch9wavefront6targetE1EEEvS12_,comdat
.Lfunc_end359:
	.size	_ZN7rocprim17ROCPRIM_400000_NS6detail17trampoline_kernelINS0_13select_configILj256ELj13ELNS0_17block_load_methodE3ELS4_3ELS4_3ELNS0_20block_scan_algorithmE0ELj4294967295EEENS1_25partition_config_selectorILNS1_17partition_subalgoE4EjNS0_10empty_typeEbEEZZNS1_14partition_implILS8_4ELb0ES6_15HIP_vector_typeIjLj2EENS0_17counting_iteratorIjlEEPS9_SG_NS0_5tupleIJPjSI_NS0_16reverse_iteratorISI_EEEEENSH_IJSG_SG_SG_EEES9_SI_JZNS1_25segmented_radix_sort_implINS0_14default_configELb0EPKaPaPKlPlN2at6native12_GLOBAL__N_18offset_tEEE10hipError_tPvRmT1_PNSt15iterator_traitsIS12_E10value_typeET2_T3_PNS13_IS18_E10value_typeET4_jRbjT5_S1E_jjP12ihipStream_tbEUljE_ZNSN_ISO_Lb0ESQ_SR_ST_SU_SY_EESZ_S10_S11_S12_S16_S17_S18_S1B_S1C_jS1D_jS1E_S1E_jjS1G_bEUljE0_EEESZ_S10_S11_S18_S1C_S1E_T6_T7_T9_mT8_S1G_bDpT10_ENKUlT_T0_E_clISt17integral_constantIbLb0EES1T_IbLb1EEEEDaS1P_S1Q_EUlS1P_E_NS1_11comp_targetILNS1_3genE9ELNS1_11target_archE1100ELNS1_3gpuE3ELNS1_3repE0EEENS1_30default_config_static_selectorELNS0_4arch9wavefront6targetE1EEEvS12_, .Lfunc_end359-_ZN7rocprim17ROCPRIM_400000_NS6detail17trampoline_kernelINS0_13select_configILj256ELj13ELNS0_17block_load_methodE3ELS4_3ELS4_3ELNS0_20block_scan_algorithmE0ELj4294967295EEENS1_25partition_config_selectorILNS1_17partition_subalgoE4EjNS0_10empty_typeEbEEZZNS1_14partition_implILS8_4ELb0ES6_15HIP_vector_typeIjLj2EENS0_17counting_iteratorIjlEEPS9_SG_NS0_5tupleIJPjSI_NS0_16reverse_iteratorISI_EEEEENSH_IJSG_SG_SG_EEES9_SI_JZNS1_25segmented_radix_sort_implINS0_14default_configELb0EPKaPaPKlPlN2at6native12_GLOBAL__N_18offset_tEEE10hipError_tPvRmT1_PNSt15iterator_traitsIS12_E10value_typeET2_T3_PNS13_IS18_E10value_typeET4_jRbjT5_S1E_jjP12ihipStream_tbEUljE_ZNSN_ISO_Lb0ESQ_SR_ST_SU_SY_EESZ_S10_S11_S12_S16_S17_S18_S1B_S1C_jS1D_jS1E_S1E_jjS1G_bEUljE0_EEESZ_S10_S11_S18_S1C_S1E_T6_T7_T9_mT8_S1G_bDpT10_ENKUlT_T0_E_clISt17integral_constantIbLb0EES1T_IbLb1EEEEDaS1P_S1Q_EUlS1P_E_NS1_11comp_targetILNS1_3genE9ELNS1_11target_archE1100ELNS1_3gpuE3ELNS1_3repE0EEENS1_30default_config_static_selectorELNS0_4arch9wavefront6targetE1EEEvS12_
                                        ; -- End function
	.set _ZN7rocprim17ROCPRIM_400000_NS6detail17trampoline_kernelINS0_13select_configILj256ELj13ELNS0_17block_load_methodE3ELS4_3ELS4_3ELNS0_20block_scan_algorithmE0ELj4294967295EEENS1_25partition_config_selectorILNS1_17partition_subalgoE4EjNS0_10empty_typeEbEEZZNS1_14partition_implILS8_4ELb0ES6_15HIP_vector_typeIjLj2EENS0_17counting_iteratorIjlEEPS9_SG_NS0_5tupleIJPjSI_NS0_16reverse_iteratorISI_EEEEENSH_IJSG_SG_SG_EEES9_SI_JZNS1_25segmented_radix_sort_implINS0_14default_configELb0EPKaPaPKlPlN2at6native12_GLOBAL__N_18offset_tEEE10hipError_tPvRmT1_PNSt15iterator_traitsIS12_E10value_typeET2_T3_PNS13_IS18_E10value_typeET4_jRbjT5_S1E_jjP12ihipStream_tbEUljE_ZNSN_ISO_Lb0ESQ_SR_ST_SU_SY_EESZ_S10_S11_S12_S16_S17_S18_S1B_S1C_jS1D_jS1E_S1E_jjS1G_bEUljE0_EEESZ_S10_S11_S18_S1C_S1E_T6_T7_T9_mT8_S1G_bDpT10_ENKUlT_T0_E_clISt17integral_constantIbLb0EES1T_IbLb1EEEEDaS1P_S1Q_EUlS1P_E_NS1_11comp_targetILNS1_3genE9ELNS1_11target_archE1100ELNS1_3gpuE3ELNS1_3repE0EEENS1_30default_config_static_selectorELNS0_4arch9wavefront6targetE1EEEvS12_.num_vgpr, 0
	.set _ZN7rocprim17ROCPRIM_400000_NS6detail17trampoline_kernelINS0_13select_configILj256ELj13ELNS0_17block_load_methodE3ELS4_3ELS4_3ELNS0_20block_scan_algorithmE0ELj4294967295EEENS1_25partition_config_selectorILNS1_17partition_subalgoE4EjNS0_10empty_typeEbEEZZNS1_14partition_implILS8_4ELb0ES6_15HIP_vector_typeIjLj2EENS0_17counting_iteratorIjlEEPS9_SG_NS0_5tupleIJPjSI_NS0_16reverse_iteratorISI_EEEEENSH_IJSG_SG_SG_EEES9_SI_JZNS1_25segmented_radix_sort_implINS0_14default_configELb0EPKaPaPKlPlN2at6native12_GLOBAL__N_18offset_tEEE10hipError_tPvRmT1_PNSt15iterator_traitsIS12_E10value_typeET2_T3_PNS13_IS18_E10value_typeET4_jRbjT5_S1E_jjP12ihipStream_tbEUljE_ZNSN_ISO_Lb0ESQ_SR_ST_SU_SY_EESZ_S10_S11_S12_S16_S17_S18_S1B_S1C_jS1D_jS1E_S1E_jjS1G_bEUljE0_EEESZ_S10_S11_S18_S1C_S1E_T6_T7_T9_mT8_S1G_bDpT10_ENKUlT_T0_E_clISt17integral_constantIbLb0EES1T_IbLb1EEEEDaS1P_S1Q_EUlS1P_E_NS1_11comp_targetILNS1_3genE9ELNS1_11target_archE1100ELNS1_3gpuE3ELNS1_3repE0EEENS1_30default_config_static_selectorELNS0_4arch9wavefront6targetE1EEEvS12_.num_agpr, 0
	.set _ZN7rocprim17ROCPRIM_400000_NS6detail17trampoline_kernelINS0_13select_configILj256ELj13ELNS0_17block_load_methodE3ELS4_3ELS4_3ELNS0_20block_scan_algorithmE0ELj4294967295EEENS1_25partition_config_selectorILNS1_17partition_subalgoE4EjNS0_10empty_typeEbEEZZNS1_14partition_implILS8_4ELb0ES6_15HIP_vector_typeIjLj2EENS0_17counting_iteratorIjlEEPS9_SG_NS0_5tupleIJPjSI_NS0_16reverse_iteratorISI_EEEEENSH_IJSG_SG_SG_EEES9_SI_JZNS1_25segmented_radix_sort_implINS0_14default_configELb0EPKaPaPKlPlN2at6native12_GLOBAL__N_18offset_tEEE10hipError_tPvRmT1_PNSt15iterator_traitsIS12_E10value_typeET2_T3_PNS13_IS18_E10value_typeET4_jRbjT5_S1E_jjP12ihipStream_tbEUljE_ZNSN_ISO_Lb0ESQ_SR_ST_SU_SY_EESZ_S10_S11_S12_S16_S17_S18_S1B_S1C_jS1D_jS1E_S1E_jjS1G_bEUljE0_EEESZ_S10_S11_S18_S1C_S1E_T6_T7_T9_mT8_S1G_bDpT10_ENKUlT_T0_E_clISt17integral_constantIbLb0EES1T_IbLb1EEEEDaS1P_S1Q_EUlS1P_E_NS1_11comp_targetILNS1_3genE9ELNS1_11target_archE1100ELNS1_3gpuE3ELNS1_3repE0EEENS1_30default_config_static_selectorELNS0_4arch9wavefront6targetE1EEEvS12_.numbered_sgpr, 0
	.set _ZN7rocprim17ROCPRIM_400000_NS6detail17trampoline_kernelINS0_13select_configILj256ELj13ELNS0_17block_load_methodE3ELS4_3ELS4_3ELNS0_20block_scan_algorithmE0ELj4294967295EEENS1_25partition_config_selectorILNS1_17partition_subalgoE4EjNS0_10empty_typeEbEEZZNS1_14partition_implILS8_4ELb0ES6_15HIP_vector_typeIjLj2EENS0_17counting_iteratorIjlEEPS9_SG_NS0_5tupleIJPjSI_NS0_16reverse_iteratorISI_EEEEENSH_IJSG_SG_SG_EEES9_SI_JZNS1_25segmented_radix_sort_implINS0_14default_configELb0EPKaPaPKlPlN2at6native12_GLOBAL__N_18offset_tEEE10hipError_tPvRmT1_PNSt15iterator_traitsIS12_E10value_typeET2_T3_PNS13_IS18_E10value_typeET4_jRbjT5_S1E_jjP12ihipStream_tbEUljE_ZNSN_ISO_Lb0ESQ_SR_ST_SU_SY_EESZ_S10_S11_S12_S16_S17_S18_S1B_S1C_jS1D_jS1E_S1E_jjS1G_bEUljE0_EEESZ_S10_S11_S18_S1C_S1E_T6_T7_T9_mT8_S1G_bDpT10_ENKUlT_T0_E_clISt17integral_constantIbLb0EES1T_IbLb1EEEEDaS1P_S1Q_EUlS1P_E_NS1_11comp_targetILNS1_3genE9ELNS1_11target_archE1100ELNS1_3gpuE3ELNS1_3repE0EEENS1_30default_config_static_selectorELNS0_4arch9wavefront6targetE1EEEvS12_.num_named_barrier, 0
	.set _ZN7rocprim17ROCPRIM_400000_NS6detail17trampoline_kernelINS0_13select_configILj256ELj13ELNS0_17block_load_methodE3ELS4_3ELS4_3ELNS0_20block_scan_algorithmE0ELj4294967295EEENS1_25partition_config_selectorILNS1_17partition_subalgoE4EjNS0_10empty_typeEbEEZZNS1_14partition_implILS8_4ELb0ES6_15HIP_vector_typeIjLj2EENS0_17counting_iteratorIjlEEPS9_SG_NS0_5tupleIJPjSI_NS0_16reverse_iteratorISI_EEEEENSH_IJSG_SG_SG_EEES9_SI_JZNS1_25segmented_radix_sort_implINS0_14default_configELb0EPKaPaPKlPlN2at6native12_GLOBAL__N_18offset_tEEE10hipError_tPvRmT1_PNSt15iterator_traitsIS12_E10value_typeET2_T3_PNS13_IS18_E10value_typeET4_jRbjT5_S1E_jjP12ihipStream_tbEUljE_ZNSN_ISO_Lb0ESQ_SR_ST_SU_SY_EESZ_S10_S11_S12_S16_S17_S18_S1B_S1C_jS1D_jS1E_S1E_jjS1G_bEUljE0_EEESZ_S10_S11_S18_S1C_S1E_T6_T7_T9_mT8_S1G_bDpT10_ENKUlT_T0_E_clISt17integral_constantIbLb0EES1T_IbLb1EEEEDaS1P_S1Q_EUlS1P_E_NS1_11comp_targetILNS1_3genE9ELNS1_11target_archE1100ELNS1_3gpuE3ELNS1_3repE0EEENS1_30default_config_static_selectorELNS0_4arch9wavefront6targetE1EEEvS12_.private_seg_size, 0
	.set _ZN7rocprim17ROCPRIM_400000_NS6detail17trampoline_kernelINS0_13select_configILj256ELj13ELNS0_17block_load_methodE3ELS4_3ELS4_3ELNS0_20block_scan_algorithmE0ELj4294967295EEENS1_25partition_config_selectorILNS1_17partition_subalgoE4EjNS0_10empty_typeEbEEZZNS1_14partition_implILS8_4ELb0ES6_15HIP_vector_typeIjLj2EENS0_17counting_iteratorIjlEEPS9_SG_NS0_5tupleIJPjSI_NS0_16reverse_iteratorISI_EEEEENSH_IJSG_SG_SG_EEES9_SI_JZNS1_25segmented_radix_sort_implINS0_14default_configELb0EPKaPaPKlPlN2at6native12_GLOBAL__N_18offset_tEEE10hipError_tPvRmT1_PNSt15iterator_traitsIS12_E10value_typeET2_T3_PNS13_IS18_E10value_typeET4_jRbjT5_S1E_jjP12ihipStream_tbEUljE_ZNSN_ISO_Lb0ESQ_SR_ST_SU_SY_EESZ_S10_S11_S12_S16_S17_S18_S1B_S1C_jS1D_jS1E_S1E_jjS1G_bEUljE0_EEESZ_S10_S11_S18_S1C_S1E_T6_T7_T9_mT8_S1G_bDpT10_ENKUlT_T0_E_clISt17integral_constantIbLb0EES1T_IbLb1EEEEDaS1P_S1Q_EUlS1P_E_NS1_11comp_targetILNS1_3genE9ELNS1_11target_archE1100ELNS1_3gpuE3ELNS1_3repE0EEENS1_30default_config_static_selectorELNS0_4arch9wavefront6targetE1EEEvS12_.uses_vcc, 0
	.set _ZN7rocprim17ROCPRIM_400000_NS6detail17trampoline_kernelINS0_13select_configILj256ELj13ELNS0_17block_load_methodE3ELS4_3ELS4_3ELNS0_20block_scan_algorithmE0ELj4294967295EEENS1_25partition_config_selectorILNS1_17partition_subalgoE4EjNS0_10empty_typeEbEEZZNS1_14partition_implILS8_4ELb0ES6_15HIP_vector_typeIjLj2EENS0_17counting_iteratorIjlEEPS9_SG_NS0_5tupleIJPjSI_NS0_16reverse_iteratorISI_EEEEENSH_IJSG_SG_SG_EEES9_SI_JZNS1_25segmented_radix_sort_implINS0_14default_configELb0EPKaPaPKlPlN2at6native12_GLOBAL__N_18offset_tEEE10hipError_tPvRmT1_PNSt15iterator_traitsIS12_E10value_typeET2_T3_PNS13_IS18_E10value_typeET4_jRbjT5_S1E_jjP12ihipStream_tbEUljE_ZNSN_ISO_Lb0ESQ_SR_ST_SU_SY_EESZ_S10_S11_S12_S16_S17_S18_S1B_S1C_jS1D_jS1E_S1E_jjS1G_bEUljE0_EEESZ_S10_S11_S18_S1C_S1E_T6_T7_T9_mT8_S1G_bDpT10_ENKUlT_T0_E_clISt17integral_constantIbLb0EES1T_IbLb1EEEEDaS1P_S1Q_EUlS1P_E_NS1_11comp_targetILNS1_3genE9ELNS1_11target_archE1100ELNS1_3gpuE3ELNS1_3repE0EEENS1_30default_config_static_selectorELNS0_4arch9wavefront6targetE1EEEvS12_.uses_flat_scratch, 0
	.set _ZN7rocprim17ROCPRIM_400000_NS6detail17trampoline_kernelINS0_13select_configILj256ELj13ELNS0_17block_load_methodE3ELS4_3ELS4_3ELNS0_20block_scan_algorithmE0ELj4294967295EEENS1_25partition_config_selectorILNS1_17partition_subalgoE4EjNS0_10empty_typeEbEEZZNS1_14partition_implILS8_4ELb0ES6_15HIP_vector_typeIjLj2EENS0_17counting_iteratorIjlEEPS9_SG_NS0_5tupleIJPjSI_NS0_16reverse_iteratorISI_EEEEENSH_IJSG_SG_SG_EEES9_SI_JZNS1_25segmented_radix_sort_implINS0_14default_configELb0EPKaPaPKlPlN2at6native12_GLOBAL__N_18offset_tEEE10hipError_tPvRmT1_PNSt15iterator_traitsIS12_E10value_typeET2_T3_PNS13_IS18_E10value_typeET4_jRbjT5_S1E_jjP12ihipStream_tbEUljE_ZNSN_ISO_Lb0ESQ_SR_ST_SU_SY_EESZ_S10_S11_S12_S16_S17_S18_S1B_S1C_jS1D_jS1E_S1E_jjS1G_bEUljE0_EEESZ_S10_S11_S18_S1C_S1E_T6_T7_T9_mT8_S1G_bDpT10_ENKUlT_T0_E_clISt17integral_constantIbLb0EES1T_IbLb1EEEEDaS1P_S1Q_EUlS1P_E_NS1_11comp_targetILNS1_3genE9ELNS1_11target_archE1100ELNS1_3gpuE3ELNS1_3repE0EEENS1_30default_config_static_selectorELNS0_4arch9wavefront6targetE1EEEvS12_.has_dyn_sized_stack, 0
	.set _ZN7rocprim17ROCPRIM_400000_NS6detail17trampoline_kernelINS0_13select_configILj256ELj13ELNS0_17block_load_methodE3ELS4_3ELS4_3ELNS0_20block_scan_algorithmE0ELj4294967295EEENS1_25partition_config_selectorILNS1_17partition_subalgoE4EjNS0_10empty_typeEbEEZZNS1_14partition_implILS8_4ELb0ES6_15HIP_vector_typeIjLj2EENS0_17counting_iteratorIjlEEPS9_SG_NS0_5tupleIJPjSI_NS0_16reverse_iteratorISI_EEEEENSH_IJSG_SG_SG_EEES9_SI_JZNS1_25segmented_radix_sort_implINS0_14default_configELb0EPKaPaPKlPlN2at6native12_GLOBAL__N_18offset_tEEE10hipError_tPvRmT1_PNSt15iterator_traitsIS12_E10value_typeET2_T3_PNS13_IS18_E10value_typeET4_jRbjT5_S1E_jjP12ihipStream_tbEUljE_ZNSN_ISO_Lb0ESQ_SR_ST_SU_SY_EESZ_S10_S11_S12_S16_S17_S18_S1B_S1C_jS1D_jS1E_S1E_jjS1G_bEUljE0_EEESZ_S10_S11_S18_S1C_S1E_T6_T7_T9_mT8_S1G_bDpT10_ENKUlT_T0_E_clISt17integral_constantIbLb0EES1T_IbLb1EEEEDaS1P_S1Q_EUlS1P_E_NS1_11comp_targetILNS1_3genE9ELNS1_11target_archE1100ELNS1_3gpuE3ELNS1_3repE0EEENS1_30default_config_static_selectorELNS0_4arch9wavefront6targetE1EEEvS12_.has_recursion, 0
	.set _ZN7rocprim17ROCPRIM_400000_NS6detail17trampoline_kernelINS0_13select_configILj256ELj13ELNS0_17block_load_methodE3ELS4_3ELS4_3ELNS0_20block_scan_algorithmE0ELj4294967295EEENS1_25partition_config_selectorILNS1_17partition_subalgoE4EjNS0_10empty_typeEbEEZZNS1_14partition_implILS8_4ELb0ES6_15HIP_vector_typeIjLj2EENS0_17counting_iteratorIjlEEPS9_SG_NS0_5tupleIJPjSI_NS0_16reverse_iteratorISI_EEEEENSH_IJSG_SG_SG_EEES9_SI_JZNS1_25segmented_radix_sort_implINS0_14default_configELb0EPKaPaPKlPlN2at6native12_GLOBAL__N_18offset_tEEE10hipError_tPvRmT1_PNSt15iterator_traitsIS12_E10value_typeET2_T3_PNS13_IS18_E10value_typeET4_jRbjT5_S1E_jjP12ihipStream_tbEUljE_ZNSN_ISO_Lb0ESQ_SR_ST_SU_SY_EESZ_S10_S11_S12_S16_S17_S18_S1B_S1C_jS1D_jS1E_S1E_jjS1G_bEUljE0_EEESZ_S10_S11_S18_S1C_S1E_T6_T7_T9_mT8_S1G_bDpT10_ENKUlT_T0_E_clISt17integral_constantIbLb0EES1T_IbLb1EEEEDaS1P_S1Q_EUlS1P_E_NS1_11comp_targetILNS1_3genE9ELNS1_11target_archE1100ELNS1_3gpuE3ELNS1_3repE0EEENS1_30default_config_static_selectorELNS0_4arch9wavefront6targetE1EEEvS12_.has_indirect_call, 0
	.section	.AMDGPU.csdata,"",@progbits
; Kernel info:
; codeLenInByte = 0
; TotalNumSgprs: 4
; NumVgprs: 0
; ScratchSize: 0
; MemoryBound: 0
; FloatMode: 240
; IeeeMode: 1
; LDSByteSize: 0 bytes/workgroup (compile time only)
; SGPRBlocks: 0
; VGPRBlocks: 0
; NumSGPRsForWavesPerEU: 4
; NumVGPRsForWavesPerEU: 1
; Occupancy: 10
; WaveLimiterHint : 0
; COMPUTE_PGM_RSRC2:SCRATCH_EN: 0
; COMPUTE_PGM_RSRC2:USER_SGPR: 6
; COMPUTE_PGM_RSRC2:TRAP_HANDLER: 0
; COMPUTE_PGM_RSRC2:TGID_X_EN: 1
; COMPUTE_PGM_RSRC2:TGID_Y_EN: 0
; COMPUTE_PGM_RSRC2:TGID_Z_EN: 0
; COMPUTE_PGM_RSRC2:TIDIG_COMP_CNT: 0
	.section	.text._ZN7rocprim17ROCPRIM_400000_NS6detail17trampoline_kernelINS0_13select_configILj256ELj13ELNS0_17block_load_methodE3ELS4_3ELS4_3ELNS0_20block_scan_algorithmE0ELj4294967295EEENS1_25partition_config_selectorILNS1_17partition_subalgoE4EjNS0_10empty_typeEbEEZZNS1_14partition_implILS8_4ELb0ES6_15HIP_vector_typeIjLj2EENS0_17counting_iteratorIjlEEPS9_SG_NS0_5tupleIJPjSI_NS0_16reverse_iteratorISI_EEEEENSH_IJSG_SG_SG_EEES9_SI_JZNS1_25segmented_radix_sort_implINS0_14default_configELb0EPKaPaPKlPlN2at6native12_GLOBAL__N_18offset_tEEE10hipError_tPvRmT1_PNSt15iterator_traitsIS12_E10value_typeET2_T3_PNS13_IS18_E10value_typeET4_jRbjT5_S1E_jjP12ihipStream_tbEUljE_ZNSN_ISO_Lb0ESQ_SR_ST_SU_SY_EESZ_S10_S11_S12_S16_S17_S18_S1B_S1C_jS1D_jS1E_S1E_jjS1G_bEUljE0_EEESZ_S10_S11_S18_S1C_S1E_T6_T7_T9_mT8_S1G_bDpT10_ENKUlT_T0_E_clISt17integral_constantIbLb0EES1T_IbLb1EEEEDaS1P_S1Q_EUlS1P_E_NS1_11comp_targetILNS1_3genE8ELNS1_11target_archE1030ELNS1_3gpuE2ELNS1_3repE0EEENS1_30default_config_static_selectorELNS0_4arch9wavefront6targetE1EEEvS12_,"axG",@progbits,_ZN7rocprim17ROCPRIM_400000_NS6detail17trampoline_kernelINS0_13select_configILj256ELj13ELNS0_17block_load_methodE3ELS4_3ELS4_3ELNS0_20block_scan_algorithmE0ELj4294967295EEENS1_25partition_config_selectorILNS1_17partition_subalgoE4EjNS0_10empty_typeEbEEZZNS1_14partition_implILS8_4ELb0ES6_15HIP_vector_typeIjLj2EENS0_17counting_iteratorIjlEEPS9_SG_NS0_5tupleIJPjSI_NS0_16reverse_iteratorISI_EEEEENSH_IJSG_SG_SG_EEES9_SI_JZNS1_25segmented_radix_sort_implINS0_14default_configELb0EPKaPaPKlPlN2at6native12_GLOBAL__N_18offset_tEEE10hipError_tPvRmT1_PNSt15iterator_traitsIS12_E10value_typeET2_T3_PNS13_IS18_E10value_typeET4_jRbjT5_S1E_jjP12ihipStream_tbEUljE_ZNSN_ISO_Lb0ESQ_SR_ST_SU_SY_EESZ_S10_S11_S12_S16_S17_S18_S1B_S1C_jS1D_jS1E_S1E_jjS1G_bEUljE0_EEESZ_S10_S11_S18_S1C_S1E_T6_T7_T9_mT8_S1G_bDpT10_ENKUlT_T0_E_clISt17integral_constantIbLb0EES1T_IbLb1EEEEDaS1P_S1Q_EUlS1P_E_NS1_11comp_targetILNS1_3genE8ELNS1_11target_archE1030ELNS1_3gpuE2ELNS1_3repE0EEENS1_30default_config_static_selectorELNS0_4arch9wavefront6targetE1EEEvS12_,comdat
	.globl	_ZN7rocprim17ROCPRIM_400000_NS6detail17trampoline_kernelINS0_13select_configILj256ELj13ELNS0_17block_load_methodE3ELS4_3ELS4_3ELNS0_20block_scan_algorithmE0ELj4294967295EEENS1_25partition_config_selectorILNS1_17partition_subalgoE4EjNS0_10empty_typeEbEEZZNS1_14partition_implILS8_4ELb0ES6_15HIP_vector_typeIjLj2EENS0_17counting_iteratorIjlEEPS9_SG_NS0_5tupleIJPjSI_NS0_16reverse_iteratorISI_EEEEENSH_IJSG_SG_SG_EEES9_SI_JZNS1_25segmented_radix_sort_implINS0_14default_configELb0EPKaPaPKlPlN2at6native12_GLOBAL__N_18offset_tEEE10hipError_tPvRmT1_PNSt15iterator_traitsIS12_E10value_typeET2_T3_PNS13_IS18_E10value_typeET4_jRbjT5_S1E_jjP12ihipStream_tbEUljE_ZNSN_ISO_Lb0ESQ_SR_ST_SU_SY_EESZ_S10_S11_S12_S16_S17_S18_S1B_S1C_jS1D_jS1E_S1E_jjS1G_bEUljE0_EEESZ_S10_S11_S18_S1C_S1E_T6_T7_T9_mT8_S1G_bDpT10_ENKUlT_T0_E_clISt17integral_constantIbLb0EES1T_IbLb1EEEEDaS1P_S1Q_EUlS1P_E_NS1_11comp_targetILNS1_3genE8ELNS1_11target_archE1030ELNS1_3gpuE2ELNS1_3repE0EEENS1_30default_config_static_selectorELNS0_4arch9wavefront6targetE1EEEvS12_ ; -- Begin function _ZN7rocprim17ROCPRIM_400000_NS6detail17trampoline_kernelINS0_13select_configILj256ELj13ELNS0_17block_load_methodE3ELS4_3ELS4_3ELNS0_20block_scan_algorithmE0ELj4294967295EEENS1_25partition_config_selectorILNS1_17partition_subalgoE4EjNS0_10empty_typeEbEEZZNS1_14partition_implILS8_4ELb0ES6_15HIP_vector_typeIjLj2EENS0_17counting_iteratorIjlEEPS9_SG_NS0_5tupleIJPjSI_NS0_16reverse_iteratorISI_EEEEENSH_IJSG_SG_SG_EEES9_SI_JZNS1_25segmented_radix_sort_implINS0_14default_configELb0EPKaPaPKlPlN2at6native12_GLOBAL__N_18offset_tEEE10hipError_tPvRmT1_PNSt15iterator_traitsIS12_E10value_typeET2_T3_PNS13_IS18_E10value_typeET4_jRbjT5_S1E_jjP12ihipStream_tbEUljE_ZNSN_ISO_Lb0ESQ_SR_ST_SU_SY_EESZ_S10_S11_S12_S16_S17_S18_S1B_S1C_jS1D_jS1E_S1E_jjS1G_bEUljE0_EEESZ_S10_S11_S18_S1C_S1E_T6_T7_T9_mT8_S1G_bDpT10_ENKUlT_T0_E_clISt17integral_constantIbLb0EES1T_IbLb1EEEEDaS1P_S1Q_EUlS1P_E_NS1_11comp_targetILNS1_3genE8ELNS1_11target_archE1030ELNS1_3gpuE2ELNS1_3repE0EEENS1_30default_config_static_selectorELNS0_4arch9wavefront6targetE1EEEvS12_
	.p2align	8
	.type	_ZN7rocprim17ROCPRIM_400000_NS6detail17trampoline_kernelINS0_13select_configILj256ELj13ELNS0_17block_load_methodE3ELS4_3ELS4_3ELNS0_20block_scan_algorithmE0ELj4294967295EEENS1_25partition_config_selectorILNS1_17partition_subalgoE4EjNS0_10empty_typeEbEEZZNS1_14partition_implILS8_4ELb0ES6_15HIP_vector_typeIjLj2EENS0_17counting_iteratorIjlEEPS9_SG_NS0_5tupleIJPjSI_NS0_16reverse_iteratorISI_EEEEENSH_IJSG_SG_SG_EEES9_SI_JZNS1_25segmented_radix_sort_implINS0_14default_configELb0EPKaPaPKlPlN2at6native12_GLOBAL__N_18offset_tEEE10hipError_tPvRmT1_PNSt15iterator_traitsIS12_E10value_typeET2_T3_PNS13_IS18_E10value_typeET4_jRbjT5_S1E_jjP12ihipStream_tbEUljE_ZNSN_ISO_Lb0ESQ_SR_ST_SU_SY_EESZ_S10_S11_S12_S16_S17_S18_S1B_S1C_jS1D_jS1E_S1E_jjS1G_bEUljE0_EEESZ_S10_S11_S18_S1C_S1E_T6_T7_T9_mT8_S1G_bDpT10_ENKUlT_T0_E_clISt17integral_constantIbLb0EES1T_IbLb1EEEEDaS1P_S1Q_EUlS1P_E_NS1_11comp_targetILNS1_3genE8ELNS1_11target_archE1030ELNS1_3gpuE2ELNS1_3repE0EEENS1_30default_config_static_selectorELNS0_4arch9wavefront6targetE1EEEvS12_,@function
_ZN7rocprim17ROCPRIM_400000_NS6detail17trampoline_kernelINS0_13select_configILj256ELj13ELNS0_17block_load_methodE3ELS4_3ELS4_3ELNS0_20block_scan_algorithmE0ELj4294967295EEENS1_25partition_config_selectorILNS1_17partition_subalgoE4EjNS0_10empty_typeEbEEZZNS1_14partition_implILS8_4ELb0ES6_15HIP_vector_typeIjLj2EENS0_17counting_iteratorIjlEEPS9_SG_NS0_5tupleIJPjSI_NS0_16reverse_iteratorISI_EEEEENSH_IJSG_SG_SG_EEES9_SI_JZNS1_25segmented_radix_sort_implINS0_14default_configELb0EPKaPaPKlPlN2at6native12_GLOBAL__N_18offset_tEEE10hipError_tPvRmT1_PNSt15iterator_traitsIS12_E10value_typeET2_T3_PNS13_IS18_E10value_typeET4_jRbjT5_S1E_jjP12ihipStream_tbEUljE_ZNSN_ISO_Lb0ESQ_SR_ST_SU_SY_EESZ_S10_S11_S12_S16_S17_S18_S1B_S1C_jS1D_jS1E_S1E_jjS1G_bEUljE0_EEESZ_S10_S11_S18_S1C_S1E_T6_T7_T9_mT8_S1G_bDpT10_ENKUlT_T0_E_clISt17integral_constantIbLb0EES1T_IbLb1EEEEDaS1P_S1Q_EUlS1P_E_NS1_11comp_targetILNS1_3genE8ELNS1_11target_archE1030ELNS1_3gpuE2ELNS1_3repE0EEENS1_30default_config_static_selectorELNS0_4arch9wavefront6targetE1EEEvS12_: ; @_ZN7rocprim17ROCPRIM_400000_NS6detail17trampoline_kernelINS0_13select_configILj256ELj13ELNS0_17block_load_methodE3ELS4_3ELS4_3ELNS0_20block_scan_algorithmE0ELj4294967295EEENS1_25partition_config_selectorILNS1_17partition_subalgoE4EjNS0_10empty_typeEbEEZZNS1_14partition_implILS8_4ELb0ES6_15HIP_vector_typeIjLj2EENS0_17counting_iteratorIjlEEPS9_SG_NS0_5tupleIJPjSI_NS0_16reverse_iteratorISI_EEEEENSH_IJSG_SG_SG_EEES9_SI_JZNS1_25segmented_radix_sort_implINS0_14default_configELb0EPKaPaPKlPlN2at6native12_GLOBAL__N_18offset_tEEE10hipError_tPvRmT1_PNSt15iterator_traitsIS12_E10value_typeET2_T3_PNS13_IS18_E10value_typeET4_jRbjT5_S1E_jjP12ihipStream_tbEUljE_ZNSN_ISO_Lb0ESQ_SR_ST_SU_SY_EESZ_S10_S11_S12_S16_S17_S18_S1B_S1C_jS1D_jS1E_S1E_jjS1G_bEUljE0_EEESZ_S10_S11_S18_S1C_S1E_T6_T7_T9_mT8_S1G_bDpT10_ENKUlT_T0_E_clISt17integral_constantIbLb0EES1T_IbLb1EEEEDaS1P_S1Q_EUlS1P_E_NS1_11comp_targetILNS1_3genE8ELNS1_11target_archE1030ELNS1_3gpuE2ELNS1_3repE0EEENS1_30default_config_static_selectorELNS0_4arch9wavefront6targetE1EEEvS12_
; %bb.0:
	.section	.rodata,"a",@progbits
	.p2align	6, 0x0
	.amdhsa_kernel _ZN7rocprim17ROCPRIM_400000_NS6detail17trampoline_kernelINS0_13select_configILj256ELj13ELNS0_17block_load_methodE3ELS4_3ELS4_3ELNS0_20block_scan_algorithmE0ELj4294967295EEENS1_25partition_config_selectorILNS1_17partition_subalgoE4EjNS0_10empty_typeEbEEZZNS1_14partition_implILS8_4ELb0ES6_15HIP_vector_typeIjLj2EENS0_17counting_iteratorIjlEEPS9_SG_NS0_5tupleIJPjSI_NS0_16reverse_iteratorISI_EEEEENSH_IJSG_SG_SG_EEES9_SI_JZNS1_25segmented_radix_sort_implINS0_14default_configELb0EPKaPaPKlPlN2at6native12_GLOBAL__N_18offset_tEEE10hipError_tPvRmT1_PNSt15iterator_traitsIS12_E10value_typeET2_T3_PNS13_IS18_E10value_typeET4_jRbjT5_S1E_jjP12ihipStream_tbEUljE_ZNSN_ISO_Lb0ESQ_SR_ST_SU_SY_EESZ_S10_S11_S12_S16_S17_S18_S1B_S1C_jS1D_jS1E_S1E_jjS1G_bEUljE0_EEESZ_S10_S11_S18_S1C_S1E_T6_T7_T9_mT8_S1G_bDpT10_ENKUlT_T0_E_clISt17integral_constantIbLb0EES1T_IbLb1EEEEDaS1P_S1Q_EUlS1P_E_NS1_11comp_targetILNS1_3genE8ELNS1_11target_archE1030ELNS1_3gpuE2ELNS1_3repE0EEENS1_30default_config_static_selectorELNS0_4arch9wavefront6targetE1EEEvS12_
		.amdhsa_group_segment_fixed_size 0
		.amdhsa_private_segment_fixed_size 0
		.amdhsa_kernarg_size 184
		.amdhsa_user_sgpr_count 6
		.amdhsa_user_sgpr_private_segment_buffer 1
		.amdhsa_user_sgpr_dispatch_ptr 0
		.amdhsa_user_sgpr_queue_ptr 0
		.amdhsa_user_sgpr_kernarg_segment_ptr 1
		.amdhsa_user_sgpr_dispatch_id 0
		.amdhsa_user_sgpr_flat_scratch_init 0
		.amdhsa_user_sgpr_private_segment_size 0
		.amdhsa_uses_dynamic_stack 0
		.amdhsa_system_sgpr_private_segment_wavefront_offset 0
		.amdhsa_system_sgpr_workgroup_id_x 1
		.amdhsa_system_sgpr_workgroup_id_y 0
		.amdhsa_system_sgpr_workgroup_id_z 0
		.amdhsa_system_sgpr_workgroup_info 0
		.amdhsa_system_vgpr_workitem_id 0
		.amdhsa_next_free_vgpr 1
		.amdhsa_next_free_sgpr 0
		.amdhsa_reserve_vcc 0
		.amdhsa_reserve_flat_scratch 0
		.amdhsa_float_round_mode_32 0
		.amdhsa_float_round_mode_16_64 0
		.amdhsa_float_denorm_mode_32 3
		.amdhsa_float_denorm_mode_16_64 3
		.amdhsa_dx10_clamp 1
		.amdhsa_ieee_mode 1
		.amdhsa_fp16_overflow 0
		.amdhsa_exception_fp_ieee_invalid_op 0
		.amdhsa_exception_fp_denorm_src 0
		.amdhsa_exception_fp_ieee_div_zero 0
		.amdhsa_exception_fp_ieee_overflow 0
		.amdhsa_exception_fp_ieee_underflow 0
		.amdhsa_exception_fp_ieee_inexact 0
		.amdhsa_exception_int_div_zero 0
	.end_amdhsa_kernel
	.section	.text._ZN7rocprim17ROCPRIM_400000_NS6detail17trampoline_kernelINS0_13select_configILj256ELj13ELNS0_17block_load_methodE3ELS4_3ELS4_3ELNS0_20block_scan_algorithmE0ELj4294967295EEENS1_25partition_config_selectorILNS1_17partition_subalgoE4EjNS0_10empty_typeEbEEZZNS1_14partition_implILS8_4ELb0ES6_15HIP_vector_typeIjLj2EENS0_17counting_iteratorIjlEEPS9_SG_NS0_5tupleIJPjSI_NS0_16reverse_iteratorISI_EEEEENSH_IJSG_SG_SG_EEES9_SI_JZNS1_25segmented_radix_sort_implINS0_14default_configELb0EPKaPaPKlPlN2at6native12_GLOBAL__N_18offset_tEEE10hipError_tPvRmT1_PNSt15iterator_traitsIS12_E10value_typeET2_T3_PNS13_IS18_E10value_typeET4_jRbjT5_S1E_jjP12ihipStream_tbEUljE_ZNSN_ISO_Lb0ESQ_SR_ST_SU_SY_EESZ_S10_S11_S12_S16_S17_S18_S1B_S1C_jS1D_jS1E_S1E_jjS1G_bEUljE0_EEESZ_S10_S11_S18_S1C_S1E_T6_T7_T9_mT8_S1G_bDpT10_ENKUlT_T0_E_clISt17integral_constantIbLb0EES1T_IbLb1EEEEDaS1P_S1Q_EUlS1P_E_NS1_11comp_targetILNS1_3genE8ELNS1_11target_archE1030ELNS1_3gpuE2ELNS1_3repE0EEENS1_30default_config_static_selectorELNS0_4arch9wavefront6targetE1EEEvS12_,"axG",@progbits,_ZN7rocprim17ROCPRIM_400000_NS6detail17trampoline_kernelINS0_13select_configILj256ELj13ELNS0_17block_load_methodE3ELS4_3ELS4_3ELNS0_20block_scan_algorithmE0ELj4294967295EEENS1_25partition_config_selectorILNS1_17partition_subalgoE4EjNS0_10empty_typeEbEEZZNS1_14partition_implILS8_4ELb0ES6_15HIP_vector_typeIjLj2EENS0_17counting_iteratorIjlEEPS9_SG_NS0_5tupleIJPjSI_NS0_16reverse_iteratorISI_EEEEENSH_IJSG_SG_SG_EEES9_SI_JZNS1_25segmented_radix_sort_implINS0_14default_configELb0EPKaPaPKlPlN2at6native12_GLOBAL__N_18offset_tEEE10hipError_tPvRmT1_PNSt15iterator_traitsIS12_E10value_typeET2_T3_PNS13_IS18_E10value_typeET4_jRbjT5_S1E_jjP12ihipStream_tbEUljE_ZNSN_ISO_Lb0ESQ_SR_ST_SU_SY_EESZ_S10_S11_S12_S16_S17_S18_S1B_S1C_jS1D_jS1E_S1E_jjS1G_bEUljE0_EEESZ_S10_S11_S18_S1C_S1E_T6_T7_T9_mT8_S1G_bDpT10_ENKUlT_T0_E_clISt17integral_constantIbLb0EES1T_IbLb1EEEEDaS1P_S1Q_EUlS1P_E_NS1_11comp_targetILNS1_3genE8ELNS1_11target_archE1030ELNS1_3gpuE2ELNS1_3repE0EEENS1_30default_config_static_selectorELNS0_4arch9wavefront6targetE1EEEvS12_,comdat
.Lfunc_end360:
	.size	_ZN7rocprim17ROCPRIM_400000_NS6detail17trampoline_kernelINS0_13select_configILj256ELj13ELNS0_17block_load_methodE3ELS4_3ELS4_3ELNS0_20block_scan_algorithmE0ELj4294967295EEENS1_25partition_config_selectorILNS1_17partition_subalgoE4EjNS0_10empty_typeEbEEZZNS1_14partition_implILS8_4ELb0ES6_15HIP_vector_typeIjLj2EENS0_17counting_iteratorIjlEEPS9_SG_NS0_5tupleIJPjSI_NS0_16reverse_iteratorISI_EEEEENSH_IJSG_SG_SG_EEES9_SI_JZNS1_25segmented_radix_sort_implINS0_14default_configELb0EPKaPaPKlPlN2at6native12_GLOBAL__N_18offset_tEEE10hipError_tPvRmT1_PNSt15iterator_traitsIS12_E10value_typeET2_T3_PNS13_IS18_E10value_typeET4_jRbjT5_S1E_jjP12ihipStream_tbEUljE_ZNSN_ISO_Lb0ESQ_SR_ST_SU_SY_EESZ_S10_S11_S12_S16_S17_S18_S1B_S1C_jS1D_jS1E_S1E_jjS1G_bEUljE0_EEESZ_S10_S11_S18_S1C_S1E_T6_T7_T9_mT8_S1G_bDpT10_ENKUlT_T0_E_clISt17integral_constantIbLb0EES1T_IbLb1EEEEDaS1P_S1Q_EUlS1P_E_NS1_11comp_targetILNS1_3genE8ELNS1_11target_archE1030ELNS1_3gpuE2ELNS1_3repE0EEENS1_30default_config_static_selectorELNS0_4arch9wavefront6targetE1EEEvS12_, .Lfunc_end360-_ZN7rocprim17ROCPRIM_400000_NS6detail17trampoline_kernelINS0_13select_configILj256ELj13ELNS0_17block_load_methodE3ELS4_3ELS4_3ELNS0_20block_scan_algorithmE0ELj4294967295EEENS1_25partition_config_selectorILNS1_17partition_subalgoE4EjNS0_10empty_typeEbEEZZNS1_14partition_implILS8_4ELb0ES6_15HIP_vector_typeIjLj2EENS0_17counting_iteratorIjlEEPS9_SG_NS0_5tupleIJPjSI_NS0_16reverse_iteratorISI_EEEEENSH_IJSG_SG_SG_EEES9_SI_JZNS1_25segmented_radix_sort_implINS0_14default_configELb0EPKaPaPKlPlN2at6native12_GLOBAL__N_18offset_tEEE10hipError_tPvRmT1_PNSt15iterator_traitsIS12_E10value_typeET2_T3_PNS13_IS18_E10value_typeET4_jRbjT5_S1E_jjP12ihipStream_tbEUljE_ZNSN_ISO_Lb0ESQ_SR_ST_SU_SY_EESZ_S10_S11_S12_S16_S17_S18_S1B_S1C_jS1D_jS1E_S1E_jjS1G_bEUljE0_EEESZ_S10_S11_S18_S1C_S1E_T6_T7_T9_mT8_S1G_bDpT10_ENKUlT_T0_E_clISt17integral_constantIbLb0EES1T_IbLb1EEEEDaS1P_S1Q_EUlS1P_E_NS1_11comp_targetILNS1_3genE8ELNS1_11target_archE1030ELNS1_3gpuE2ELNS1_3repE0EEENS1_30default_config_static_selectorELNS0_4arch9wavefront6targetE1EEEvS12_
                                        ; -- End function
	.set _ZN7rocprim17ROCPRIM_400000_NS6detail17trampoline_kernelINS0_13select_configILj256ELj13ELNS0_17block_load_methodE3ELS4_3ELS4_3ELNS0_20block_scan_algorithmE0ELj4294967295EEENS1_25partition_config_selectorILNS1_17partition_subalgoE4EjNS0_10empty_typeEbEEZZNS1_14partition_implILS8_4ELb0ES6_15HIP_vector_typeIjLj2EENS0_17counting_iteratorIjlEEPS9_SG_NS0_5tupleIJPjSI_NS0_16reverse_iteratorISI_EEEEENSH_IJSG_SG_SG_EEES9_SI_JZNS1_25segmented_radix_sort_implINS0_14default_configELb0EPKaPaPKlPlN2at6native12_GLOBAL__N_18offset_tEEE10hipError_tPvRmT1_PNSt15iterator_traitsIS12_E10value_typeET2_T3_PNS13_IS18_E10value_typeET4_jRbjT5_S1E_jjP12ihipStream_tbEUljE_ZNSN_ISO_Lb0ESQ_SR_ST_SU_SY_EESZ_S10_S11_S12_S16_S17_S18_S1B_S1C_jS1D_jS1E_S1E_jjS1G_bEUljE0_EEESZ_S10_S11_S18_S1C_S1E_T6_T7_T9_mT8_S1G_bDpT10_ENKUlT_T0_E_clISt17integral_constantIbLb0EES1T_IbLb1EEEEDaS1P_S1Q_EUlS1P_E_NS1_11comp_targetILNS1_3genE8ELNS1_11target_archE1030ELNS1_3gpuE2ELNS1_3repE0EEENS1_30default_config_static_selectorELNS0_4arch9wavefront6targetE1EEEvS12_.num_vgpr, 0
	.set _ZN7rocprim17ROCPRIM_400000_NS6detail17trampoline_kernelINS0_13select_configILj256ELj13ELNS0_17block_load_methodE3ELS4_3ELS4_3ELNS0_20block_scan_algorithmE0ELj4294967295EEENS1_25partition_config_selectorILNS1_17partition_subalgoE4EjNS0_10empty_typeEbEEZZNS1_14partition_implILS8_4ELb0ES6_15HIP_vector_typeIjLj2EENS0_17counting_iteratorIjlEEPS9_SG_NS0_5tupleIJPjSI_NS0_16reverse_iteratorISI_EEEEENSH_IJSG_SG_SG_EEES9_SI_JZNS1_25segmented_radix_sort_implINS0_14default_configELb0EPKaPaPKlPlN2at6native12_GLOBAL__N_18offset_tEEE10hipError_tPvRmT1_PNSt15iterator_traitsIS12_E10value_typeET2_T3_PNS13_IS18_E10value_typeET4_jRbjT5_S1E_jjP12ihipStream_tbEUljE_ZNSN_ISO_Lb0ESQ_SR_ST_SU_SY_EESZ_S10_S11_S12_S16_S17_S18_S1B_S1C_jS1D_jS1E_S1E_jjS1G_bEUljE0_EEESZ_S10_S11_S18_S1C_S1E_T6_T7_T9_mT8_S1G_bDpT10_ENKUlT_T0_E_clISt17integral_constantIbLb0EES1T_IbLb1EEEEDaS1P_S1Q_EUlS1P_E_NS1_11comp_targetILNS1_3genE8ELNS1_11target_archE1030ELNS1_3gpuE2ELNS1_3repE0EEENS1_30default_config_static_selectorELNS0_4arch9wavefront6targetE1EEEvS12_.num_agpr, 0
	.set _ZN7rocprim17ROCPRIM_400000_NS6detail17trampoline_kernelINS0_13select_configILj256ELj13ELNS0_17block_load_methodE3ELS4_3ELS4_3ELNS0_20block_scan_algorithmE0ELj4294967295EEENS1_25partition_config_selectorILNS1_17partition_subalgoE4EjNS0_10empty_typeEbEEZZNS1_14partition_implILS8_4ELb0ES6_15HIP_vector_typeIjLj2EENS0_17counting_iteratorIjlEEPS9_SG_NS0_5tupleIJPjSI_NS0_16reverse_iteratorISI_EEEEENSH_IJSG_SG_SG_EEES9_SI_JZNS1_25segmented_radix_sort_implINS0_14default_configELb0EPKaPaPKlPlN2at6native12_GLOBAL__N_18offset_tEEE10hipError_tPvRmT1_PNSt15iterator_traitsIS12_E10value_typeET2_T3_PNS13_IS18_E10value_typeET4_jRbjT5_S1E_jjP12ihipStream_tbEUljE_ZNSN_ISO_Lb0ESQ_SR_ST_SU_SY_EESZ_S10_S11_S12_S16_S17_S18_S1B_S1C_jS1D_jS1E_S1E_jjS1G_bEUljE0_EEESZ_S10_S11_S18_S1C_S1E_T6_T7_T9_mT8_S1G_bDpT10_ENKUlT_T0_E_clISt17integral_constantIbLb0EES1T_IbLb1EEEEDaS1P_S1Q_EUlS1P_E_NS1_11comp_targetILNS1_3genE8ELNS1_11target_archE1030ELNS1_3gpuE2ELNS1_3repE0EEENS1_30default_config_static_selectorELNS0_4arch9wavefront6targetE1EEEvS12_.numbered_sgpr, 0
	.set _ZN7rocprim17ROCPRIM_400000_NS6detail17trampoline_kernelINS0_13select_configILj256ELj13ELNS0_17block_load_methodE3ELS4_3ELS4_3ELNS0_20block_scan_algorithmE0ELj4294967295EEENS1_25partition_config_selectorILNS1_17partition_subalgoE4EjNS0_10empty_typeEbEEZZNS1_14partition_implILS8_4ELb0ES6_15HIP_vector_typeIjLj2EENS0_17counting_iteratorIjlEEPS9_SG_NS0_5tupleIJPjSI_NS0_16reverse_iteratorISI_EEEEENSH_IJSG_SG_SG_EEES9_SI_JZNS1_25segmented_radix_sort_implINS0_14default_configELb0EPKaPaPKlPlN2at6native12_GLOBAL__N_18offset_tEEE10hipError_tPvRmT1_PNSt15iterator_traitsIS12_E10value_typeET2_T3_PNS13_IS18_E10value_typeET4_jRbjT5_S1E_jjP12ihipStream_tbEUljE_ZNSN_ISO_Lb0ESQ_SR_ST_SU_SY_EESZ_S10_S11_S12_S16_S17_S18_S1B_S1C_jS1D_jS1E_S1E_jjS1G_bEUljE0_EEESZ_S10_S11_S18_S1C_S1E_T6_T7_T9_mT8_S1G_bDpT10_ENKUlT_T0_E_clISt17integral_constantIbLb0EES1T_IbLb1EEEEDaS1P_S1Q_EUlS1P_E_NS1_11comp_targetILNS1_3genE8ELNS1_11target_archE1030ELNS1_3gpuE2ELNS1_3repE0EEENS1_30default_config_static_selectorELNS0_4arch9wavefront6targetE1EEEvS12_.num_named_barrier, 0
	.set _ZN7rocprim17ROCPRIM_400000_NS6detail17trampoline_kernelINS0_13select_configILj256ELj13ELNS0_17block_load_methodE3ELS4_3ELS4_3ELNS0_20block_scan_algorithmE0ELj4294967295EEENS1_25partition_config_selectorILNS1_17partition_subalgoE4EjNS0_10empty_typeEbEEZZNS1_14partition_implILS8_4ELb0ES6_15HIP_vector_typeIjLj2EENS0_17counting_iteratorIjlEEPS9_SG_NS0_5tupleIJPjSI_NS0_16reverse_iteratorISI_EEEEENSH_IJSG_SG_SG_EEES9_SI_JZNS1_25segmented_radix_sort_implINS0_14default_configELb0EPKaPaPKlPlN2at6native12_GLOBAL__N_18offset_tEEE10hipError_tPvRmT1_PNSt15iterator_traitsIS12_E10value_typeET2_T3_PNS13_IS18_E10value_typeET4_jRbjT5_S1E_jjP12ihipStream_tbEUljE_ZNSN_ISO_Lb0ESQ_SR_ST_SU_SY_EESZ_S10_S11_S12_S16_S17_S18_S1B_S1C_jS1D_jS1E_S1E_jjS1G_bEUljE0_EEESZ_S10_S11_S18_S1C_S1E_T6_T7_T9_mT8_S1G_bDpT10_ENKUlT_T0_E_clISt17integral_constantIbLb0EES1T_IbLb1EEEEDaS1P_S1Q_EUlS1P_E_NS1_11comp_targetILNS1_3genE8ELNS1_11target_archE1030ELNS1_3gpuE2ELNS1_3repE0EEENS1_30default_config_static_selectorELNS0_4arch9wavefront6targetE1EEEvS12_.private_seg_size, 0
	.set _ZN7rocprim17ROCPRIM_400000_NS6detail17trampoline_kernelINS0_13select_configILj256ELj13ELNS0_17block_load_methodE3ELS4_3ELS4_3ELNS0_20block_scan_algorithmE0ELj4294967295EEENS1_25partition_config_selectorILNS1_17partition_subalgoE4EjNS0_10empty_typeEbEEZZNS1_14partition_implILS8_4ELb0ES6_15HIP_vector_typeIjLj2EENS0_17counting_iteratorIjlEEPS9_SG_NS0_5tupleIJPjSI_NS0_16reverse_iteratorISI_EEEEENSH_IJSG_SG_SG_EEES9_SI_JZNS1_25segmented_radix_sort_implINS0_14default_configELb0EPKaPaPKlPlN2at6native12_GLOBAL__N_18offset_tEEE10hipError_tPvRmT1_PNSt15iterator_traitsIS12_E10value_typeET2_T3_PNS13_IS18_E10value_typeET4_jRbjT5_S1E_jjP12ihipStream_tbEUljE_ZNSN_ISO_Lb0ESQ_SR_ST_SU_SY_EESZ_S10_S11_S12_S16_S17_S18_S1B_S1C_jS1D_jS1E_S1E_jjS1G_bEUljE0_EEESZ_S10_S11_S18_S1C_S1E_T6_T7_T9_mT8_S1G_bDpT10_ENKUlT_T0_E_clISt17integral_constantIbLb0EES1T_IbLb1EEEEDaS1P_S1Q_EUlS1P_E_NS1_11comp_targetILNS1_3genE8ELNS1_11target_archE1030ELNS1_3gpuE2ELNS1_3repE0EEENS1_30default_config_static_selectorELNS0_4arch9wavefront6targetE1EEEvS12_.uses_vcc, 0
	.set _ZN7rocprim17ROCPRIM_400000_NS6detail17trampoline_kernelINS0_13select_configILj256ELj13ELNS0_17block_load_methodE3ELS4_3ELS4_3ELNS0_20block_scan_algorithmE0ELj4294967295EEENS1_25partition_config_selectorILNS1_17partition_subalgoE4EjNS0_10empty_typeEbEEZZNS1_14partition_implILS8_4ELb0ES6_15HIP_vector_typeIjLj2EENS0_17counting_iteratorIjlEEPS9_SG_NS0_5tupleIJPjSI_NS0_16reverse_iteratorISI_EEEEENSH_IJSG_SG_SG_EEES9_SI_JZNS1_25segmented_radix_sort_implINS0_14default_configELb0EPKaPaPKlPlN2at6native12_GLOBAL__N_18offset_tEEE10hipError_tPvRmT1_PNSt15iterator_traitsIS12_E10value_typeET2_T3_PNS13_IS18_E10value_typeET4_jRbjT5_S1E_jjP12ihipStream_tbEUljE_ZNSN_ISO_Lb0ESQ_SR_ST_SU_SY_EESZ_S10_S11_S12_S16_S17_S18_S1B_S1C_jS1D_jS1E_S1E_jjS1G_bEUljE0_EEESZ_S10_S11_S18_S1C_S1E_T6_T7_T9_mT8_S1G_bDpT10_ENKUlT_T0_E_clISt17integral_constantIbLb0EES1T_IbLb1EEEEDaS1P_S1Q_EUlS1P_E_NS1_11comp_targetILNS1_3genE8ELNS1_11target_archE1030ELNS1_3gpuE2ELNS1_3repE0EEENS1_30default_config_static_selectorELNS0_4arch9wavefront6targetE1EEEvS12_.uses_flat_scratch, 0
	.set _ZN7rocprim17ROCPRIM_400000_NS6detail17trampoline_kernelINS0_13select_configILj256ELj13ELNS0_17block_load_methodE3ELS4_3ELS4_3ELNS0_20block_scan_algorithmE0ELj4294967295EEENS1_25partition_config_selectorILNS1_17partition_subalgoE4EjNS0_10empty_typeEbEEZZNS1_14partition_implILS8_4ELb0ES6_15HIP_vector_typeIjLj2EENS0_17counting_iteratorIjlEEPS9_SG_NS0_5tupleIJPjSI_NS0_16reverse_iteratorISI_EEEEENSH_IJSG_SG_SG_EEES9_SI_JZNS1_25segmented_radix_sort_implINS0_14default_configELb0EPKaPaPKlPlN2at6native12_GLOBAL__N_18offset_tEEE10hipError_tPvRmT1_PNSt15iterator_traitsIS12_E10value_typeET2_T3_PNS13_IS18_E10value_typeET4_jRbjT5_S1E_jjP12ihipStream_tbEUljE_ZNSN_ISO_Lb0ESQ_SR_ST_SU_SY_EESZ_S10_S11_S12_S16_S17_S18_S1B_S1C_jS1D_jS1E_S1E_jjS1G_bEUljE0_EEESZ_S10_S11_S18_S1C_S1E_T6_T7_T9_mT8_S1G_bDpT10_ENKUlT_T0_E_clISt17integral_constantIbLb0EES1T_IbLb1EEEEDaS1P_S1Q_EUlS1P_E_NS1_11comp_targetILNS1_3genE8ELNS1_11target_archE1030ELNS1_3gpuE2ELNS1_3repE0EEENS1_30default_config_static_selectorELNS0_4arch9wavefront6targetE1EEEvS12_.has_dyn_sized_stack, 0
	.set _ZN7rocprim17ROCPRIM_400000_NS6detail17trampoline_kernelINS0_13select_configILj256ELj13ELNS0_17block_load_methodE3ELS4_3ELS4_3ELNS0_20block_scan_algorithmE0ELj4294967295EEENS1_25partition_config_selectorILNS1_17partition_subalgoE4EjNS0_10empty_typeEbEEZZNS1_14partition_implILS8_4ELb0ES6_15HIP_vector_typeIjLj2EENS0_17counting_iteratorIjlEEPS9_SG_NS0_5tupleIJPjSI_NS0_16reverse_iteratorISI_EEEEENSH_IJSG_SG_SG_EEES9_SI_JZNS1_25segmented_radix_sort_implINS0_14default_configELb0EPKaPaPKlPlN2at6native12_GLOBAL__N_18offset_tEEE10hipError_tPvRmT1_PNSt15iterator_traitsIS12_E10value_typeET2_T3_PNS13_IS18_E10value_typeET4_jRbjT5_S1E_jjP12ihipStream_tbEUljE_ZNSN_ISO_Lb0ESQ_SR_ST_SU_SY_EESZ_S10_S11_S12_S16_S17_S18_S1B_S1C_jS1D_jS1E_S1E_jjS1G_bEUljE0_EEESZ_S10_S11_S18_S1C_S1E_T6_T7_T9_mT8_S1G_bDpT10_ENKUlT_T0_E_clISt17integral_constantIbLb0EES1T_IbLb1EEEEDaS1P_S1Q_EUlS1P_E_NS1_11comp_targetILNS1_3genE8ELNS1_11target_archE1030ELNS1_3gpuE2ELNS1_3repE0EEENS1_30default_config_static_selectorELNS0_4arch9wavefront6targetE1EEEvS12_.has_recursion, 0
	.set _ZN7rocprim17ROCPRIM_400000_NS6detail17trampoline_kernelINS0_13select_configILj256ELj13ELNS0_17block_load_methodE3ELS4_3ELS4_3ELNS0_20block_scan_algorithmE0ELj4294967295EEENS1_25partition_config_selectorILNS1_17partition_subalgoE4EjNS0_10empty_typeEbEEZZNS1_14partition_implILS8_4ELb0ES6_15HIP_vector_typeIjLj2EENS0_17counting_iteratorIjlEEPS9_SG_NS0_5tupleIJPjSI_NS0_16reverse_iteratorISI_EEEEENSH_IJSG_SG_SG_EEES9_SI_JZNS1_25segmented_radix_sort_implINS0_14default_configELb0EPKaPaPKlPlN2at6native12_GLOBAL__N_18offset_tEEE10hipError_tPvRmT1_PNSt15iterator_traitsIS12_E10value_typeET2_T3_PNS13_IS18_E10value_typeET4_jRbjT5_S1E_jjP12ihipStream_tbEUljE_ZNSN_ISO_Lb0ESQ_SR_ST_SU_SY_EESZ_S10_S11_S12_S16_S17_S18_S1B_S1C_jS1D_jS1E_S1E_jjS1G_bEUljE0_EEESZ_S10_S11_S18_S1C_S1E_T6_T7_T9_mT8_S1G_bDpT10_ENKUlT_T0_E_clISt17integral_constantIbLb0EES1T_IbLb1EEEEDaS1P_S1Q_EUlS1P_E_NS1_11comp_targetILNS1_3genE8ELNS1_11target_archE1030ELNS1_3gpuE2ELNS1_3repE0EEENS1_30default_config_static_selectorELNS0_4arch9wavefront6targetE1EEEvS12_.has_indirect_call, 0
	.section	.AMDGPU.csdata,"",@progbits
; Kernel info:
; codeLenInByte = 0
; TotalNumSgprs: 4
; NumVgprs: 0
; ScratchSize: 0
; MemoryBound: 0
; FloatMode: 240
; IeeeMode: 1
; LDSByteSize: 0 bytes/workgroup (compile time only)
; SGPRBlocks: 0
; VGPRBlocks: 0
; NumSGPRsForWavesPerEU: 4
; NumVGPRsForWavesPerEU: 1
; Occupancy: 10
; WaveLimiterHint : 0
; COMPUTE_PGM_RSRC2:SCRATCH_EN: 0
; COMPUTE_PGM_RSRC2:USER_SGPR: 6
; COMPUTE_PGM_RSRC2:TRAP_HANDLER: 0
; COMPUTE_PGM_RSRC2:TGID_X_EN: 1
; COMPUTE_PGM_RSRC2:TGID_Y_EN: 0
; COMPUTE_PGM_RSRC2:TGID_Z_EN: 0
; COMPUTE_PGM_RSRC2:TIDIG_COMP_CNT: 0
	.section	.text._ZN7rocprim17ROCPRIM_400000_NS6detail17trampoline_kernelINS0_13select_configILj256ELj13ELNS0_17block_load_methodE3ELS4_3ELS4_3ELNS0_20block_scan_algorithmE0ELj4294967295EEENS1_25partition_config_selectorILNS1_17partition_subalgoE3EjNS0_10empty_typeEbEEZZNS1_14partition_implILS8_3ELb0ES6_jNS0_17counting_iteratorIjlEEPS9_SE_NS0_5tupleIJPjSE_EEENSF_IJSE_SE_EEES9_SG_JZNS1_25segmented_radix_sort_implINS0_14default_configELb0EPKaPaPKlPlN2at6native12_GLOBAL__N_18offset_tEEE10hipError_tPvRmT1_PNSt15iterator_traitsISY_E10value_typeET2_T3_PNSZ_IS14_E10value_typeET4_jRbjT5_S1A_jjP12ihipStream_tbEUljE_EEESV_SW_SX_S14_S18_S1A_T6_T7_T9_mT8_S1C_bDpT10_ENKUlT_T0_E_clISt17integral_constantIbLb0EES1P_EEDaS1K_S1L_EUlS1K_E_NS1_11comp_targetILNS1_3genE0ELNS1_11target_archE4294967295ELNS1_3gpuE0ELNS1_3repE0EEENS1_30default_config_static_selectorELNS0_4arch9wavefront6targetE1EEEvSY_,"axG",@progbits,_ZN7rocprim17ROCPRIM_400000_NS6detail17trampoline_kernelINS0_13select_configILj256ELj13ELNS0_17block_load_methodE3ELS4_3ELS4_3ELNS0_20block_scan_algorithmE0ELj4294967295EEENS1_25partition_config_selectorILNS1_17partition_subalgoE3EjNS0_10empty_typeEbEEZZNS1_14partition_implILS8_3ELb0ES6_jNS0_17counting_iteratorIjlEEPS9_SE_NS0_5tupleIJPjSE_EEENSF_IJSE_SE_EEES9_SG_JZNS1_25segmented_radix_sort_implINS0_14default_configELb0EPKaPaPKlPlN2at6native12_GLOBAL__N_18offset_tEEE10hipError_tPvRmT1_PNSt15iterator_traitsISY_E10value_typeET2_T3_PNSZ_IS14_E10value_typeET4_jRbjT5_S1A_jjP12ihipStream_tbEUljE_EEESV_SW_SX_S14_S18_S1A_T6_T7_T9_mT8_S1C_bDpT10_ENKUlT_T0_E_clISt17integral_constantIbLb0EES1P_EEDaS1K_S1L_EUlS1K_E_NS1_11comp_targetILNS1_3genE0ELNS1_11target_archE4294967295ELNS1_3gpuE0ELNS1_3repE0EEENS1_30default_config_static_selectorELNS0_4arch9wavefront6targetE1EEEvSY_,comdat
	.globl	_ZN7rocprim17ROCPRIM_400000_NS6detail17trampoline_kernelINS0_13select_configILj256ELj13ELNS0_17block_load_methodE3ELS4_3ELS4_3ELNS0_20block_scan_algorithmE0ELj4294967295EEENS1_25partition_config_selectorILNS1_17partition_subalgoE3EjNS0_10empty_typeEbEEZZNS1_14partition_implILS8_3ELb0ES6_jNS0_17counting_iteratorIjlEEPS9_SE_NS0_5tupleIJPjSE_EEENSF_IJSE_SE_EEES9_SG_JZNS1_25segmented_radix_sort_implINS0_14default_configELb0EPKaPaPKlPlN2at6native12_GLOBAL__N_18offset_tEEE10hipError_tPvRmT1_PNSt15iterator_traitsISY_E10value_typeET2_T3_PNSZ_IS14_E10value_typeET4_jRbjT5_S1A_jjP12ihipStream_tbEUljE_EEESV_SW_SX_S14_S18_S1A_T6_T7_T9_mT8_S1C_bDpT10_ENKUlT_T0_E_clISt17integral_constantIbLb0EES1P_EEDaS1K_S1L_EUlS1K_E_NS1_11comp_targetILNS1_3genE0ELNS1_11target_archE4294967295ELNS1_3gpuE0ELNS1_3repE0EEENS1_30default_config_static_selectorELNS0_4arch9wavefront6targetE1EEEvSY_ ; -- Begin function _ZN7rocprim17ROCPRIM_400000_NS6detail17trampoline_kernelINS0_13select_configILj256ELj13ELNS0_17block_load_methodE3ELS4_3ELS4_3ELNS0_20block_scan_algorithmE0ELj4294967295EEENS1_25partition_config_selectorILNS1_17partition_subalgoE3EjNS0_10empty_typeEbEEZZNS1_14partition_implILS8_3ELb0ES6_jNS0_17counting_iteratorIjlEEPS9_SE_NS0_5tupleIJPjSE_EEENSF_IJSE_SE_EEES9_SG_JZNS1_25segmented_radix_sort_implINS0_14default_configELb0EPKaPaPKlPlN2at6native12_GLOBAL__N_18offset_tEEE10hipError_tPvRmT1_PNSt15iterator_traitsISY_E10value_typeET2_T3_PNSZ_IS14_E10value_typeET4_jRbjT5_S1A_jjP12ihipStream_tbEUljE_EEESV_SW_SX_S14_S18_S1A_T6_T7_T9_mT8_S1C_bDpT10_ENKUlT_T0_E_clISt17integral_constantIbLb0EES1P_EEDaS1K_S1L_EUlS1K_E_NS1_11comp_targetILNS1_3genE0ELNS1_11target_archE4294967295ELNS1_3gpuE0ELNS1_3repE0EEENS1_30default_config_static_selectorELNS0_4arch9wavefront6targetE1EEEvSY_
	.p2align	8
	.type	_ZN7rocprim17ROCPRIM_400000_NS6detail17trampoline_kernelINS0_13select_configILj256ELj13ELNS0_17block_load_methodE3ELS4_3ELS4_3ELNS0_20block_scan_algorithmE0ELj4294967295EEENS1_25partition_config_selectorILNS1_17partition_subalgoE3EjNS0_10empty_typeEbEEZZNS1_14partition_implILS8_3ELb0ES6_jNS0_17counting_iteratorIjlEEPS9_SE_NS0_5tupleIJPjSE_EEENSF_IJSE_SE_EEES9_SG_JZNS1_25segmented_radix_sort_implINS0_14default_configELb0EPKaPaPKlPlN2at6native12_GLOBAL__N_18offset_tEEE10hipError_tPvRmT1_PNSt15iterator_traitsISY_E10value_typeET2_T3_PNSZ_IS14_E10value_typeET4_jRbjT5_S1A_jjP12ihipStream_tbEUljE_EEESV_SW_SX_S14_S18_S1A_T6_T7_T9_mT8_S1C_bDpT10_ENKUlT_T0_E_clISt17integral_constantIbLb0EES1P_EEDaS1K_S1L_EUlS1K_E_NS1_11comp_targetILNS1_3genE0ELNS1_11target_archE4294967295ELNS1_3gpuE0ELNS1_3repE0EEENS1_30default_config_static_selectorELNS0_4arch9wavefront6targetE1EEEvSY_,@function
_ZN7rocprim17ROCPRIM_400000_NS6detail17trampoline_kernelINS0_13select_configILj256ELj13ELNS0_17block_load_methodE3ELS4_3ELS4_3ELNS0_20block_scan_algorithmE0ELj4294967295EEENS1_25partition_config_selectorILNS1_17partition_subalgoE3EjNS0_10empty_typeEbEEZZNS1_14partition_implILS8_3ELb0ES6_jNS0_17counting_iteratorIjlEEPS9_SE_NS0_5tupleIJPjSE_EEENSF_IJSE_SE_EEES9_SG_JZNS1_25segmented_radix_sort_implINS0_14default_configELb0EPKaPaPKlPlN2at6native12_GLOBAL__N_18offset_tEEE10hipError_tPvRmT1_PNSt15iterator_traitsISY_E10value_typeET2_T3_PNSZ_IS14_E10value_typeET4_jRbjT5_S1A_jjP12ihipStream_tbEUljE_EEESV_SW_SX_S14_S18_S1A_T6_T7_T9_mT8_S1C_bDpT10_ENKUlT_T0_E_clISt17integral_constantIbLb0EES1P_EEDaS1K_S1L_EUlS1K_E_NS1_11comp_targetILNS1_3genE0ELNS1_11target_archE4294967295ELNS1_3gpuE0ELNS1_3repE0EEENS1_30default_config_static_selectorELNS0_4arch9wavefront6targetE1EEEvSY_: ; @_ZN7rocprim17ROCPRIM_400000_NS6detail17trampoline_kernelINS0_13select_configILj256ELj13ELNS0_17block_load_methodE3ELS4_3ELS4_3ELNS0_20block_scan_algorithmE0ELj4294967295EEENS1_25partition_config_selectorILNS1_17partition_subalgoE3EjNS0_10empty_typeEbEEZZNS1_14partition_implILS8_3ELb0ES6_jNS0_17counting_iteratorIjlEEPS9_SE_NS0_5tupleIJPjSE_EEENSF_IJSE_SE_EEES9_SG_JZNS1_25segmented_radix_sort_implINS0_14default_configELb0EPKaPaPKlPlN2at6native12_GLOBAL__N_18offset_tEEE10hipError_tPvRmT1_PNSt15iterator_traitsISY_E10value_typeET2_T3_PNSZ_IS14_E10value_typeET4_jRbjT5_S1A_jjP12ihipStream_tbEUljE_EEESV_SW_SX_S14_S18_S1A_T6_T7_T9_mT8_S1C_bDpT10_ENKUlT_T0_E_clISt17integral_constantIbLb0EES1P_EEDaS1K_S1L_EUlS1K_E_NS1_11comp_targetILNS1_3genE0ELNS1_11target_archE4294967295ELNS1_3gpuE0ELNS1_3repE0EEENS1_30default_config_static_selectorELNS0_4arch9wavefront6targetE1EEEvSY_
; %bb.0:
	.section	.rodata,"a",@progbits
	.p2align	6, 0x0
	.amdhsa_kernel _ZN7rocprim17ROCPRIM_400000_NS6detail17trampoline_kernelINS0_13select_configILj256ELj13ELNS0_17block_load_methodE3ELS4_3ELS4_3ELNS0_20block_scan_algorithmE0ELj4294967295EEENS1_25partition_config_selectorILNS1_17partition_subalgoE3EjNS0_10empty_typeEbEEZZNS1_14partition_implILS8_3ELb0ES6_jNS0_17counting_iteratorIjlEEPS9_SE_NS0_5tupleIJPjSE_EEENSF_IJSE_SE_EEES9_SG_JZNS1_25segmented_radix_sort_implINS0_14default_configELb0EPKaPaPKlPlN2at6native12_GLOBAL__N_18offset_tEEE10hipError_tPvRmT1_PNSt15iterator_traitsISY_E10value_typeET2_T3_PNSZ_IS14_E10value_typeET4_jRbjT5_S1A_jjP12ihipStream_tbEUljE_EEESV_SW_SX_S14_S18_S1A_T6_T7_T9_mT8_S1C_bDpT10_ENKUlT_T0_E_clISt17integral_constantIbLb0EES1P_EEDaS1K_S1L_EUlS1K_E_NS1_11comp_targetILNS1_3genE0ELNS1_11target_archE4294967295ELNS1_3gpuE0ELNS1_3repE0EEENS1_30default_config_static_selectorELNS0_4arch9wavefront6targetE1EEEvSY_
		.amdhsa_group_segment_fixed_size 0
		.amdhsa_private_segment_fixed_size 0
		.amdhsa_kernarg_size 144
		.amdhsa_user_sgpr_count 6
		.amdhsa_user_sgpr_private_segment_buffer 1
		.amdhsa_user_sgpr_dispatch_ptr 0
		.amdhsa_user_sgpr_queue_ptr 0
		.amdhsa_user_sgpr_kernarg_segment_ptr 1
		.amdhsa_user_sgpr_dispatch_id 0
		.amdhsa_user_sgpr_flat_scratch_init 0
		.amdhsa_user_sgpr_private_segment_size 0
		.amdhsa_uses_dynamic_stack 0
		.amdhsa_system_sgpr_private_segment_wavefront_offset 0
		.amdhsa_system_sgpr_workgroup_id_x 1
		.amdhsa_system_sgpr_workgroup_id_y 0
		.amdhsa_system_sgpr_workgroup_id_z 0
		.amdhsa_system_sgpr_workgroup_info 0
		.amdhsa_system_vgpr_workitem_id 0
		.amdhsa_next_free_vgpr 1
		.amdhsa_next_free_sgpr 0
		.amdhsa_reserve_vcc 0
		.amdhsa_reserve_flat_scratch 0
		.amdhsa_float_round_mode_32 0
		.amdhsa_float_round_mode_16_64 0
		.amdhsa_float_denorm_mode_32 3
		.amdhsa_float_denorm_mode_16_64 3
		.amdhsa_dx10_clamp 1
		.amdhsa_ieee_mode 1
		.amdhsa_fp16_overflow 0
		.amdhsa_exception_fp_ieee_invalid_op 0
		.amdhsa_exception_fp_denorm_src 0
		.amdhsa_exception_fp_ieee_div_zero 0
		.amdhsa_exception_fp_ieee_overflow 0
		.amdhsa_exception_fp_ieee_underflow 0
		.amdhsa_exception_fp_ieee_inexact 0
		.amdhsa_exception_int_div_zero 0
	.end_amdhsa_kernel
	.section	.text._ZN7rocprim17ROCPRIM_400000_NS6detail17trampoline_kernelINS0_13select_configILj256ELj13ELNS0_17block_load_methodE3ELS4_3ELS4_3ELNS0_20block_scan_algorithmE0ELj4294967295EEENS1_25partition_config_selectorILNS1_17partition_subalgoE3EjNS0_10empty_typeEbEEZZNS1_14partition_implILS8_3ELb0ES6_jNS0_17counting_iteratorIjlEEPS9_SE_NS0_5tupleIJPjSE_EEENSF_IJSE_SE_EEES9_SG_JZNS1_25segmented_radix_sort_implINS0_14default_configELb0EPKaPaPKlPlN2at6native12_GLOBAL__N_18offset_tEEE10hipError_tPvRmT1_PNSt15iterator_traitsISY_E10value_typeET2_T3_PNSZ_IS14_E10value_typeET4_jRbjT5_S1A_jjP12ihipStream_tbEUljE_EEESV_SW_SX_S14_S18_S1A_T6_T7_T9_mT8_S1C_bDpT10_ENKUlT_T0_E_clISt17integral_constantIbLb0EES1P_EEDaS1K_S1L_EUlS1K_E_NS1_11comp_targetILNS1_3genE0ELNS1_11target_archE4294967295ELNS1_3gpuE0ELNS1_3repE0EEENS1_30default_config_static_selectorELNS0_4arch9wavefront6targetE1EEEvSY_,"axG",@progbits,_ZN7rocprim17ROCPRIM_400000_NS6detail17trampoline_kernelINS0_13select_configILj256ELj13ELNS0_17block_load_methodE3ELS4_3ELS4_3ELNS0_20block_scan_algorithmE0ELj4294967295EEENS1_25partition_config_selectorILNS1_17partition_subalgoE3EjNS0_10empty_typeEbEEZZNS1_14partition_implILS8_3ELb0ES6_jNS0_17counting_iteratorIjlEEPS9_SE_NS0_5tupleIJPjSE_EEENSF_IJSE_SE_EEES9_SG_JZNS1_25segmented_radix_sort_implINS0_14default_configELb0EPKaPaPKlPlN2at6native12_GLOBAL__N_18offset_tEEE10hipError_tPvRmT1_PNSt15iterator_traitsISY_E10value_typeET2_T3_PNSZ_IS14_E10value_typeET4_jRbjT5_S1A_jjP12ihipStream_tbEUljE_EEESV_SW_SX_S14_S18_S1A_T6_T7_T9_mT8_S1C_bDpT10_ENKUlT_T0_E_clISt17integral_constantIbLb0EES1P_EEDaS1K_S1L_EUlS1K_E_NS1_11comp_targetILNS1_3genE0ELNS1_11target_archE4294967295ELNS1_3gpuE0ELNS1_3repE0EEENS1_30default_config_static_selectorELNS0_4arch9wavefront6targetE1EEEvSY_,comdat
.Lfunc_end361:
	.size	_ZN7rocprim17ROCPRIM_400000_NS6detail17trampoline_kernelINS0_13select_configILj256ELj13ELNS0_17block_load_methodE3ELS4_3ELS4_3ELNS0_20block_scan_algorithmE0ELj4294967295EEENS1_25partition_config_selectorILNS1_17partition_subalgoE3EjNS0_10empty_typeEbEEZZNS1_14partition_implILS8_3ELb0ES6_jNS0_17counting_iteratorIjlEEPS9_SE_NS0_5tupleIJPjSE_EEENSF_IJSE_SE_EEES9_SG_JZNS1_25segmented_radix_sort_implINS0_14default_configELb0EPKaPaPKlPlN2at6native12_GLOBAL__N_18offset_tEEE10hipError_tPvRmT1_PNSt15iterator_traitsISY_E10value_typeET2_T3_PNSZ_IS14_E10value_typeET4_jRbjT5_S1A_jjP12ihipStream_tbEUljE_EEESV_SW_SX_S14_S18_S1A_T6_T7_T9_mT8_S1C_bDpT10_ENKUlT_T0_E_clISt17integral_constantIbLb0EES1P_EEDaS1K_S1L_EUlS1K_E_NS1_11comp_targetILNS1_3genE0ELNS1_11target_archE4294967295ELNS1_3gpuE0ELNS1_3repE0EEENS1_30default_config_static_selectorELNS0_4arch9wavefront6targetE1EEEvSY_, .Lfunc_end361-_ZN7rocprim17ROCPRIM_400000_NS6detail17trampoline_kernelINS0_13select_configILj256ELj13ELNS0_17block_load_methodE3ELS4_3ELS4_3ELNS0_20block_scan_algorithmE0ELj4294967295EEENS1_25partition_config_selectorILNS1_17partition_subalgoE3EjNS0_10empty_typeEbEEZZNS1_14partition_implILS8_3ELb0ES6_jNS0_17counting_iteratorIjlEEPS9_SE_NS0_5tupleIJPjSE_EEENSF_IJSE_SE_EEES9_SG_JZNS1_25segmented_radix_sort_implINS0_14default_configELb0EPKaPaPKlPlN2at6native12_GLOBAL__N_18offset_tEEE10hipError_tPvRmT1_PNSt15iterator_traitsISY_E10value_typeET2_T3_PNSZ_IS14_E10value_typeET4_jRbjT5_S1A_jjP12ihipStream_tbEUljE_EEESV_SW_SX_S14_S18_S1A_T6_T7_T9_mT8_S1C_bDpT10_ENKUlT_T0_E_clISt17integral_constantIbLb0EES1P_EEDaS1K_S1L_EUlS1K_E_NS1_11comp_targetILNS1_3genE0ELNS1_11target_archE4294967295ELNS1_3gpuE0ELNS1_3repE0EEENS1_30default_config_static_selectorELNS0_4arch9wavefront6targetE1EEEvSY_
                                        ; -- End function
	.set _ZN7rocprim17ROCPRIM_400000_NS6detail17trampoline_kernelINS0_13select_configILj256ELj13ELNS0_17block_load_methodE3ELS4_3ELS4_3ELNS0_20block_scan_algorithmE0ELj4294967295EEENS1_25partition_config_selectorILNS1_17partition_subalgoE3EjNS0_10empty_typeEbEEZZNS1_14partition_implILS8_3ELb0ES6_jNS0_17counting_iteratorIjlEEPS9_SE_NS0_5tupleIJPjSE_EEENSF_IJSE_SE_EEES9_SG_JZNS1_25segmented_radix_sort_implINS0_14default_configELb0EPKaPaPKlPlN2at6native12_GLOBAL__N_18offset_tEEE10hipError_tPvRmT1_PNSt15iterator_traitsISY_E10value_typeET2_T3_PNSZ_IS14_E10value_typeET4_jRbjT5_S1A_jjP12ihipStream_tbEUljE_EEESV_SW_SX_S14_S18_S1A_T6_T7_T9_mT8_S1C_bDpT10_ENKUlT_T0_E_clISt17integral_constantIbLb0EES1P_EEDaS1K_S1L_EUlS1K_E_NS1_11comp_targetILNS1_3genE0ELNS1_11target_archE4294967295ELNS1_3gpuE0ELNS1_3repE0EEENS1_30default_config_static_selectorELNS0_4arch9wavefront6targetE1EEEvSY_.num_vgpr, 0
	.set _ZN7rocprim17ROCPRIM_400000_NS6detail17trampoline_kernelINS0_13select_configILj256ELj13ELNS0_17block_load_methodE3ELS4_3ELS4_3ELNS0_20block_scan_algorithmE0ELj4294967295EEENS1_25partition_config_selectorILNS1_17partition_subalgoE3EjNS0_10empty_typeEbEEZZNS1_14partition_implILS8_3ELb0ES6_jNS0_17counting_iteratorIjlEEPS9_SE_NS0_5tupleIJPjSE_EEENSF_IJSE_SE_EEES9_SG_JZNS1_25segmented_radix_sort_implINS0_14default_configELb0EPKaPaPKlPlN2at6native12_GLOBAL__N_18offset_tEEE10hipError_tPvRmT1_PNSt15iterator_traitsISY_E10value_typeET2_T3_PNSZ_IS14_E10value_typeET4_jRbjT5_S1A_jjP12ihipStream_tbEUljE_EEESV_SW_SX_S14_S18_S1A_T6_T7_T9_mT8_S1C_bDpT10_ENKUlT_T0_E_clISt17integral_constantIbLb0EES1P_EEDaS1K_S1L_EUlS1K_E_NS1_11comp_targetILNS1_3genE0ELNS1_11target_archE4294967295ELNS1_3gpuE0ELNS1_3repE0EEENS1_30default_config_static_selectorELNS0_4arch9wavefront6targetE1EEEvSY_.num_agpr, 0
	.set _ZN7rocprim17ROCPRIM_400000_NS6detail17trampoline_kernelINS0_13select_configILj256ELj13ELNS0_17block_load_methodE3ELS4_3ELS4_3ELNS0_20block_scan_algorithmE0ELj4294967295EEENS1_25partition_config_selectorILNS1_17partition_subalgoE3EjNS0_10empty_typeEbEEZZNS1_14partition_implILS8_3ELb0ES6_jNS0_17counting_iteratorIjlEEPS9_SE_NS0_5tupleIJPjSE_EEENSF_IJSE_SE_EEES9_SG_JZNS1_25segmented_radix_sort_implINS0_14default_configELb0EPKaPaPKlPlN2at6native12_GLOBAL__N_18offset_tEEE10hipError_tPvRmT1_PNSt15iterator_traitsISY_E10value_typeET2_T3_PNSZ_IS14_E10value_typeET4_jRbjT5_S1A_jjP12ihipStream_tbEUljE_EEESV_SW_SX_S14_S18_S1A_T6_T7_T9_mT8_S1C_bDpT10_ENKUlT_T0_E_clISt17integral_constantIbLb0EES1P_EEDaS1K_S1L_EUlS1K_E_NS1_11comp_targetILNS1_3genE0ELNS1_11target_archE4294967295ELNS1_3gpuE0ELNS1_3repE0EEENS1_30default_config_static_selectorELNS0_4arch9wavefront6targetE1EEEvSY_.numbered_sgpr, 0
	.set _ZN7rocprim17ROCPRIM_400000_NS6detail17trampoline_kernelINS0_13select_configILj256ELj13ELNS0_17block_load_methodE3ELS4_3ELS4_3ELNS0_20block_scan_algorithmE0ELj4294967295EEENS1_25partition_config_selectorILNS1_17partition_subalgoE3EjNS0_10empty_typeEbEEZZNS1_14partition_implILS8_3ELb0ES6_jNS0_17counting_iteratorIjlEEPS9_SE_NS0_5tupleIJPjSE_EEENSF_IJSE_SE_EEES9_SG_JZNS1_25segmented_radix_sort_implINS0_14default_configELb0EPKaPaPKlPlN2at6native12_GLOBAL__N_18offset_tEEE10hipError_tPvRmT1_PNSt15iterator_traitsISY_E10value_typeET2_T3_PNSZ_IS14_E10value_typeET4_jRbjT5_S1A_jjP12ihipStream_tbEUljE_EEESV_SW_SX_S14_S18_S1A_T6_T7_T9_mT8_S1C_bDpT10_ENKUlT_T0_E_clISt17integral_constantIbLb0EES1P_EEDaS1K_S1L_EUlS1K_E_NS1_11comp_targetILNS1_3genE0ELNS1_11target_archE4294967295ELNS1_3gpuE0ELNS1_3repE0EEENS1_30default_config_static_selectorELNS0_4arch9wavefront6targetE1EEEvSY_.num_named_barrier, 0
	.set _ZN7rocprim17ROCPRIM_400000_NS6detail17trampoline_kernelINS0_13select_configILj256ELj13ELNS0_17block_load_methodE3ELS4_3ELS4_3ELNS0_20block_scan_algorithmE0ELj4294967295EEENS1_25partition_config_selectorILNS1_17partition_subalgoE3EjNS0_10empty_typeEbEEZZNS1_14partition_implILS8_3ELb0ES6_jNS0_17counting_iteratorIjlEEPS9_SE_NS0_5tupleIJPjSE_EEENSF_IJSE_SE_EEES9_SG_JZNS1_25segmented_radix_sort_implINS0_14default_configELb0EPKaPaPKlPlN2at6native12_GLOBAL__N_18offset_tEEE10hipError_tPvRmT1_PNSt15iterator_traitsISY_E10value_typeET2_T3_PNSZ_IS14_E10value_typeET4_jRbjT5_S1A_jjP12ihipStream_tbEUljE_EEESV_SW_SX_S14_S18_S1A_T6_T7_T9_mT8_S1C_bDpT10_ENKUlT_T0_E_clISt17integral_constantIbLb0EES1P_EEDaS1K_S1L_EUlS1K_E_NS1_11comp_targetILNS1_3genE0ELNS1_11target_archE4294967295ELNS1_3gpuE0ELNS1_3repE0EEENS1_30default_config_static_selectorELNS0_4arch9wavefront6targetE1EEEvSY_.private_seg_size, 0
	.set _ZN7rocprim17ROCPRIM_400000_NS6detail17trampoline_kernelINS0_13select_configILj256ELj13ELNS0_17block_load_methodE3ELS4_3ELS4_3ELNS0_20block_scan_algorithmE0ELj4294967295EEENS1_25partition_config_selectorILNS1_17partition_subalgoE3EjNS0_10empty_typeEbEEZZNS1_14partition_implILS8_3ELb0ES6_jNS0_17counting_iteratorIjlEEPS9_SE_NS0_5tupleIJPjSE_EEENSF_IJSE_SE_EEES9_SG_JZNS1_25segmented_radix_sort_implINS0_14default_configELb0EPKaPaPKlPlN2at6native12_GLOBAL__N_18offset_tEEE10hipError_tPvRmT1_PNSt15iterator_traitsISY_E10value_typeET2_T3_PNSZ_IS14_E10value_typeET4_jRbjT5_S1A_jjP12ihipStream_tbEUljE_EEESV_SW_SX_S14_S18_S1A_T6_T7_T9_mT8_S1C_bDpT10_ENKUlT_T0_E_clISt17integral_constantIbLb0EES1P_EEDaS1K_S1L_EUlS1K_E_NS1_11comp_targetILNS1_3genE0ELNS1_11target_archE4294967295ELNS1_3gpuE0ELNS1_3repE0EEENS1_30default_config_static_selectorELNS0_4arch9wavefront6targetE1EEEvSY_.uses_vcc, 0
	.set _ZN7rocprim17ROCPRIM_400000_NS6detail17trampoline_kernelINS0_13select_configILj256ELj13ELNS0_17block_load_methodE3ELS4_3ELS4_3ELNS0_20block_scan_algorithmE0ELj4294967295EEENS1_25partition_config_selectorILNS1_17partition_subalgoE3EjNS0_10empty_typeEbEEZZNS1_14partition_implILS8_3ELb0ES6_jNS0_17counting_iteratorIjlEEPS9_SE_NS0_5tupleIJPjSE_EEENSF_IJSE_SE_EEES9_SG_JZNS1_25segmented_radix_sort_implINS0_14default_configELb0EPKaPaPKlPlN2at6native12_GLOBAL__N_18offset_tEEE10hipError_tPvRmT1_PNSt15iterator_traitsISY_E10value_typeET2_T3_PNSZ_IS14_E10value_typeET4_jRbjT5_S1A_jjP12ihipStream_tbEUljE_EEESV_SW_SX_S14_S18_S1A_T6_T7_T9_mT8_S1C_bDpT10_ENKUlT_T0_E_clISt17integral_constantIbLb0EES1P_EEDaS1K_S1L_EUlS1K_E_NS1_11comp_targetILNS1_3genE0ELNS1_11target_archE4294967295ELNS1_3gpuE0ELNS1_3repE0EEENS1_30default_config_static_selectorELNS0_4arch9wavefront6targetE1EEEvSY_.uses_flat_scratch, 0
	.set _ZN7rocprim17ROCPRIM_400000_NS6detail17trampoline_kernelINS0_13select_configILj256ELj13ELNS0_17block_load_methodE3ELS4_3ELS4_3ELNS0_20block_scan_algorithmE0ELj4294967295EEENS1_25partition_config_selectorILNS1_17partition_subalgoE3EjNS0_10empty_typeEbEEZZNS1_14partition_implILS8_3ELb0ES6_jNS0_17counting_iteratorIjlEEPS9_SE_NS0_5tupleIJPjSE_EEENSF_IJSE_SE_EEES9_SG_JZNS1_25segmented_radix_sort_implINS0_14default_configELb0EPKaPaPKlPlN2at6native12_GLOBAL__N_18offset_tEEE10hipError_tPvRmT1_PNSt15iterator_traitsISY_E10value_typeET2_T3_PNSZ_IS14_E10value_typeET4_jRbjT5_S1A_jjP12ihipStream_tbEUljE_EEESV_SW_SX_S14_S18_S1A_T6_T7_T9_mT8_S1C_bDpT10_ENKUlT_T0_E_clISt17integral_constantIbLb0EES1P_EEDaS1K_S1L_EUlS1K_E_NS1_11comp_targetILNS1_3genE0ELNS1_11target_archE4294967295ELNS1_3gpuE0ELNS1_3repE0EEENS1_30default_config_static_selectorELNS0_4arch9wavefront6targetE1EEEvSY_.has_dyn_sized_stack, 0
	.set _ZN7rocprim17ROCPRIM_400000_NS6detail17trampoline_kernelINS0_13select_configILj256ELj13ELNS0_17block_load_methodE3ELS4_3ELS4_3ELNS0_20block_scan_algorithmE0ELj4294967295EEENS1_25partition_config_selectorILNS1_17partition_subalgoE3EjNS0_10empty_typeEbEEZZNS1_14partition_implILS8_3ELb0ES6_jNS0_17counting_iteratorIjlEEPS9_SE_NS0_5tupleIJPjSE_EEENSF_IJSE_SE_EEES9_SG_JZNS1_25segmented_radix_sort_implINS0_14default_configELb0EPKaPaPKlPlN2at6native12_GLOBAL__N_18offset_tEEE10hipError_tPvRmT1_PNSt15iterator_traitsISY_E10value_typeET2_T3_PNSZ_IS14_E10value_typeET4_jRbjT5_S1A_jjP12ihipStream_tbEUljE_EEESV_SW_SX_S14_S18_S1A_T6_T7_T9_mT8_S1C_bDpT10_ENKUlT_T0_E_clISt17integral_constantIbLb0EES1P_EEDaS1K_S1L_EUlS1K_E_NS1_11comp_targetILNS1_3genE0ELNS1_11target_archE4294967295ELNS1_3gpuE0ELNS1_3repE0EEENS1_30default_config_static_selectorELNS0_4arch9wavefront6targetE1EEEvSY_.has_recursion, 0
	.set _ZN7rocprim17ROCPRIM_400000_NS6detail17trampoline_kernelINS0_13select_configILj256ELj13ELNS0_17block_load_methodE3ELS4_3ELS4_3ELNS0_20block_scan_algorithmE0ELj4294967295EEENS1_25partition_config_selectorILNS1_17partition_subalgoE3EjNS0_10empty_typeEbEEZZNS1_14partition_implILS8_3ELb0ES6_jNS0_17counting_iteratorIjlEEPS9_SE_NS0_5tupleIJPjSE_EEENSF_IJSE_SE_EEES9_SG_JZNS1_25segmented_radix_sort_implINS0_14default_configELb0EPKaPaPKlPlN2at6native12_GLOBAL__N_18offset_tEEE10hipError_tPvRmT1_PNSt15iterator_traitsISY_E10value_typeET2_T3_PNSZ_IS14_E10value_typeET4_jRbjT5_S1A_jjP12ihipStream_tbEUljE_EEESV_SW_SX_S14_S18_S1A_T6_T7_T9_mT8_S1C_bDpT10_ENKUlT_T0_E_clISt17integral_constantIbLb0EES1P_EEDaS1K_S1L_EUlS1K_E_NS1_11comp_targetILNS1_3genE0ELNS1_11target_archE4294967295ELNS1_3gpuE0ELNS1_3repE0EEENS1_30default_config_static_selectorELNS0_4arch9wavefront6targetE1EEEvSY_.has_indirect_call, 0
	.section	.AMDGPU.csdata,"",@progbits
; Kernel info:
; codeLenInByte = 0
; TotalNumSgprs: 4
; NumVgprs: 0
; ScratchSize: 0
; MemoryBound: 0
; FloatMode: 240
; IeeeMode: 1
; LDSByteSize: 0 bytes/workgroup (compile time only)
; SGPRBlocks: 0
; VGPRBlocks: 0
; NumSGPRsForWavesPerEU: 4
; NumVGPRsForWavesPerEU: 1
; Occupancy: 10
; WaveLimiterHint : 0
; COMPUTE_PGM_RSRC2:SCRATCH_EN: 0
; COMPUTE_PGM_RSRC2:USER_SGPR: 6
; COMPUTE_PGM_RSRC2:TRAP_HANDLER: 0
; COMPUTE_PGM_RSRC2:TGID_X_EN: 1
; COMPUTE_PGM_RSRC2:TGID_Y_EN: 0
; COMPUTE_PGM_RSRC2:TGID_Z_EN: 0
; COMPUTE_PGM_RSRC2:TIDIG_COMP_CNT: 0
	.section	.text._ZN7rocprim17ROCPRIM_400000_NS6detail17trampoline_kernelINS0_13select_configILj256ELj13ELNS0_17block_load_methodE3ELS4_3ELS4_3ELNS0_20block_scan_algorithmE0ELj4294967295EEENS1_25partition_config_selectorILNS1_17partition_subalgoE3EjNS0_10empty_typeEbEEZZNS1_14partition_implILS8_3ELb0ES6_jNS0_17counting_iteratorIjlEEPS9_SE_NS0_5tupleIJPjSE_EEENSF_IJSE_SE_EEES9_SG_JZNS1_25segmented_radix_sort_implINS0_14default_configELb0EPKaPaPKlPlN2at6native12_GLOBAL__N_18offset_tEEE10hipError_tPvRmT1_PNSt15iterator_traitsISY_E10value_typeET2_T3_PNSZ_IS14_E10value_typeET4_jRbjT5_S1A_jjP12ihipStream_tbEUljE_EEESV_SW_SX_S14_S18_S1A_T6_T7_T9_mT8_S1C_bDpT10_ENKUlT_T0_E_clISt17integral_constantIbLb0EES1P_EEDaS1K_S1L_EUlS1K_E_NS1_11comp_targetILNS1_3genE5ELNS1_11target_archE942ELNS1_3gpuE9ELNS1_3repE0EEENS1_30default_config_static_selectorELNS0_4arch9wavefront6targetE1EEEvSY_,"axG",@progbits,_ZN7rocprim17ROCPRIM_400000_NS6detail17trampoline_kernelINS0_13select_configILj256ELj13ELNS0_17block_load_methodE3ELS4_3ELS4_3ELNS0_20block_scan_algorithmE0ELj4294967295EEENS1_25partition_config_selectorILNS1_17partition_subalgoE3EjNS0_10empty_typeEbEEZZNS1_14partition_implILS8_3ELb0ES6_jNS0_17counting_iteratorIjlEEPS9_SE_NS0_5tupleIJPjSE_EEENSF_IJSE_SE_EEES9_SG_JZNS1_25segmented_radix_sort_implINS0_14default_configELb0EPKaPaPKlPlN2at6native12_GLOBAL__N_18offset_tEEE10hipError_tPvRmT1_PNSt15iterator_traitsISY_E10value_typeET2_T3_PNSZ_IS14_E10value_typeET4_jRbjT5_S1A_jjP12ihipStream_tbEUljE_EEESV_SW_SX_S14_S18_S1A_T6_T7_T9_mT8_S1C_bDpT10_ENKUlT_T0_E_clISt17integral_constantIbLb0EES1P_EEDaS1K_S1L_EUlS1K_E_NS1_11comp_targetILNS1_3genE5ELNS1_11target_archE942ELNS1_3gpuE9ELNS1_3repE0EEENS1_30default_config_static_selectorELNS0_4arch9wavefront6targetE1EEEvSY_,comdat
	.globl	_ZN7rocprim17ROCPRIM_400000_NS6detail17trampoline_kernelINS0_13select_configILj256ELj13ELNS0_17block_load_methodE3ELS4_3ELS4_3ELNS0_20block_scan_algorithmE0ELj4294967295EEENS1_25partition_config_selectorILNS1_17partition_subalgoE3EjNS0_10empty_typeEbEEZZNS1_14partition_implILS8_3ELb0ES6_jNS0_17counting_iteratorIjlEEPS9_SE_NS0_5tupleIJPjSE_EEENSF_IJSE_SE_EEES9_SG_JZNS1_25segmented_radix_sort_implINS0_14default_configELb0EPKaPaPKlPlN2at6native12_GLOBAL__N_18offset_tEEE10hipError_tPvRmT1_PNSt15iterator_traitsISY_E10value_typeET2_T3_PNSZ_IS14_E10value_typeET4_jRbjT5_S1A_jjP12ihipStream_tbEUljE_EEESV_SW_SX_S14_S18_S1A_T6_T7_T9_mT8_S1C_bDpT10_ENKUlT_T0_E_clISt17integral_constantIbLb0EES1P_EEDaS1K_S1L_EUlS1K_E_NS1_11comp_targetILNS1_3genE5ELNS1_11target_archE942ELNS1_3gpuE9ELNS1_3repE0EEENS1_30default_config_static_selectorELNS0_4arch9wavefront6targetE1EEEvSY_ ; -- Begin function _ZN7rocprim17ROCPRIM_400000_NS6detail17trampoline_kernelINS0_13select_configILj256ELj13ELNS0_17block_load_methodE3ELS4_3ELS4_3ELNS0_20block_scan_algorithmE0ELj4294967295EEENS1_25partition_config_selectorILNS1_17partition_subalgoE3EjNS0_10empty_typeEbEEZZNS1_14partition_implILS8_3ELb0ES6_jNS0_17counting_iteratorIjlEEPS9_SE_NS0_5tupleIJPjSE_EEENSF_IJSE_SE_EEES9_SG_JZNS1_25segmented_radix_sort_implINS0_14default_configELb0EPKaPaPKlPlN2at6native12_GLOBAL__N_18offset_tEEE10hipError_tPvRmT1_PNSt15iterator_traitsISY_E10value_typeET2_T3_PNSZ_IS14_E10value_typeET4_jRbjT5_S1A_jjP12ihipStream_tbEUljE_EEESV_SW_SX_S14_S18_S1A_T6_T7_T9_mT8_S1C_bDpT10_ENKUlT_T0_E_clISt17integral_constantIbLb0EES1P_EEDaS1K_S1L_EUlS1K_E_NS1_11comp_targetILNS1_3genE5ELNS1_11target_archE942ELNS1_3gpuE9ELNS1_3repE0EEENS1_30default_config_static_selectorELNS0_4arch9wavefront6targetE1EEEvSY_
	.p2align	8
	.type	_ZN7rocprim17ROCPRIM_400000_NS6detail17trampoline_kernelINS0_13select_configILj256ELj13ELNS0_17block_load_methodE3ELS4_3ELS4_3ELNS0_20block_scan_algorithmE0ELj4294967295EEENS1_25partition_config_selectorILNS1_17partition_subalgoE3EjNS0_10empty_typeEbEEZZNS1_14partition_implILS8_3ELb0ES6_jNS0_17counting_iteratorIjlEEPS9_SE_NS0_5tupleIJPjSE_EEENSF_IJSE_SE_EEES9_SG_JZNS1_25segmented_radix_sort_implINS0_14default_configELb0EPKaPaPKlPlN2at6native12_GLOBAL__N_18offset_tEEE10hipError_tPvRmT1_PNSt15iterator_traitsISY_E10value_typeET2_T3_PNSZ_IS14_E10value_typeET4_jRbjT5_S1A_jjP12ihipStream_tbEUljE_EEESV_SW_SX_S14_S18_S1A_T6_T7_T9_mT8_S1C_bDpT10_ENKUlT_T0_E_clISt17integral_constantIbLb0EES1P_EEDaS1K_S1L_EUlS1K_E_NS1_11comp_targetILNS1_3genE5ELNS1_11target_archE942ELNS1_3gpuE9ELNS1_3repE0EEENS1_30default_config_static_selectorELNS0_4arch9wavefront6targetE1EEEvSY_,@function
_ZN7rocprim17ROCPRIM_400000_NS6detail17trampoline_kernelINS0_13select_configILj256ELj13ELNS0_17block_load_methodE3ELS4_3ELS4_3ELNS0_20block_scan_algorithmE0ELj4294967295EEENS1_25partition_config_selectorILNS1_17partition_subalgoE3EjNS0_10empty_typeEbEEZZNS1_14partition_implILS8_3ELb0ES6_jNS0_17counting_iteratorIjlEEPS9_SE_NS0_5tupleIJPjSE_EEENSF_IJSE_SE_EEES9_SG_JZNS1_25segmented_radix_sort_implINS0_14default_configELb0EPKaPaPKlPlN2at6native12_GLOBAL__N_18offset_tEEE10hipError_tPvRmT1_PNSt15iterator_traitsISY_E10value_typeET2_T3_PNSZ_IS14_E10value_typeET4_jRbjT5_S1A_jjP12ihipStream_tbEUljE_EEESV_SW_SX_S14_S18_S1A_T6_T7_T9_mT8_S1C_bDpT10_ENKUlT_T0_E_clISt17integral_constantIbLb0EES1P_EEDaS1K_S1L_EUlS1K_E_NS1_11comp_targetILNS1_3genE5ELNS1_11target_archE942ELNS1_3gpuE9ELNS1_3repE0EEENS1_30default_config_static_selectorELNS0_4arch9wavefront6targetE1EEEvSY_: ; @_ZN7rocprim17ROCPRIM_400000_NS6detail17trampoline_kernelINS0_13select_configILj256ELj13ELNS0_17block_load_methodE3ELS4_3ELS4_3ELNS0_20block_scan_algorithmE0ELj4294967295EEENS1_25partition_config_selectorILNS1_17partition_subalgoE3EjNS0_10empty_typeEbEEZZNS1_14partition_implILS8_3ELb0ES6_jNS0_17counting_iteratorIjlEEPS9_SE_NS0_5tupleIJPjSE_EEENSF_IJSE_SE_EEES9_SG_JZNS1_25segmented_radix_sort_implINS0_14default_configELb0EPKaPaPKlPlN2at6native12_GLOBAL__N_18offset_tEEE10hipError_tPvRmT1_PNSt15iterator_traitsISY_E10value_typeET2_T3_PNSZ_IS14_E10value_typeET4_jRbjT5_S1A_jjP12ihipStream_tbEUljE_EEESV_SW_SX_S14_S18_S1A_T6_T7_T9_mT8_S1C_bDpT10_ENKUlT_T0_E_clISt17integral_constantIbLb0EES1P_EEDaS1K_S1L_EUlS1K_E_NS1_11comp_targetILNS1_3genE5ELNS1_11target_archE942ELNS1_3gpuE9ELNS1_3repE0EEENS1_30default_config_static_selectorELNS0_4arch9wavefront6targetE1EEEvSY_
; %bb.0:
	.section	.rodata,"a",@progbits
	.p2align	6, 0x0
	.amdhsa_kernel _ZN7rocprim17ROCPRIM_400000_NS6detail17trampoline_kernelINS0_13select_configILj256ELj13ELNS0_17block_load_methodE3ELS4_3ELS4_3ELNS0_20block_scan_algorithmE0ELj4294967295EEENS1_25partition_config_selectorILNS1_17partition_subalgoE3EjNS0_10empty_typeEbEEZZNS1_14partition_implILS8_3ELb0ES6_jNS0_17counting_iteratorIjlEEPS9_SE_NS0_5tupleIJPjSE_EEENSF_IJSE_SE_EEES9_SG_JZNS1_25segmented_radix_sort_implINS0_14default_configELb0EPKaPaPKlPlN2at6native12_GLOBAL__N_18offset_tEEE10hipError_tPvRmT1_PNSt15iterator_traitsISY_E10value_typeET2_T3_PNSZ_IS14_E10value_typeET4_jRbjT5_S1A_jjP12ihipStream_tbEUljE_EEESV_SW_SX_S14_S18_S1A_T6_T7_T9_mT8_S1C_bDpT10_ENKUlT_T0_E_clISt17integral_constantIbLb0EES1P_EEDaS1K_S1L_EUlS1K_E_NS1_11comp_targetILNS1_3genE5ELNS1_11target_archE942ELNS1_3gpuE9ELNS1_3repE0EEENS1_30default_config_static_selectorELNS0_4arch9wavefront6targetE1EEEvSY_
		.amdhsa_group_segment_fixed_size 0
		.amdhsa_private_segment_fixed_size 0
		.amdhsa_kernarg_size 144
		.amdhsa_user_sgpr_count 6
		.amdhsa_user_sgpr_private_segment_buffer 1
		.amdhsa_user_sgpr_dispatch_ptr 0
		.amdhsa_user_sgpr_queue_ptr 0
		.amdhsa_user_sgpr_kernarg_segment_ptr 1
		.amdhsa_user_sgpr_dispatch_id 0
		.amdhsa_user_sgpr_flat_scratch_init 0
		.amdhsa_user_sgpr_private_segment_size 0
		.amdhsa_uses_dynamic_stack 0
		.amdhsa_system_sgpr_private_segment_wavefront_offset 0
		.amdhsa_system_sgpr_workgroup_id_x 1
		.amdhsa_system_sgpr_workgroup_id_y 0
		.amdhsa_system_sgpr_workgroup_id_z 0
		.amdhsa_system_sgpr_workgroup_info 0
		.amdhsa_system_vgpr_workitem_id 0
		.amdhsa_next_free_vgpr 1
		.amdhsa_next_free_sgpr 0
		.amdhsa_reserve_vcc 0
		.amdhsa_reserve_flat_scratch 0
		.amdhsa_float_round_mode_32 0
		.amdhsa_float_round_mode_16_64 0
		.amdhsa_float_denorm_mode_32 3
		.amdhsa_float_denorm_mode_16_64 3
		.amdhsa_dx10_clamp 1
		.amdhsa_ieee_mode 1
		.amdhsa_fp16_overflow 0
		.amdhsa_exception_fp_ieee_invalid_op 0
		.amdhsa_exception_fp_denorm_src 0
		.amdhsa_exception_fp_ieee_div_zero 0
		.amdhsa_exception_fp_ieee_overflow 0
		.amdhsa_exception_fp_ieee_underflow 0
		.amdhsa_exception_fp_ieee_inexact 0
		.amdhsa_exception_int_div_zero 0
	.end_amdhsa_kernel
	.section	.text._ZN7rocprim17ROCPRIM_400000_NS6detail17trampoline_kernelINS0_13select_configILj256ELj13ELNS0_17block_load_methodE3ELS4_3ELS4_3ELNS0_20block_scan_algorithmE0ELj4294967295EEENS1_25partition_config_selectorILNS1_17partition_subalgoE3EjNS0_10empty_typeEbEEZZNS1_14partition_implILS8_3ELb0ES6_jNS0_17counting_iteratorIjlEEPS9_SE_NS0_5tupleIJPjSE_EEENSF_IJSE_SE_EEES9_SG_JZNS1_25segmented_radix_sort_implINS0_14default_configELb0EPKaPaPKlPlN2at6native12_GLOBAL__N_18offset_tEEE10hipError_tPvRmT1_PNSt15iterator_traitsISY_E10value_typeET2_T3_PNSZ_IS14_E10value_typeET4_jRbjT5_S1A_jjP12ihipStream_tbEUljE_EEESV_SW_SX_S14_S18_S1A_T6_T7_T9_mT8_S1C_bDpT10_ENKUlT_T0_E_clISt17integral_constantIbLb0EES1P_EEDaS1K_S1L_EUlS1K_E_NS1_11comp_targetILNS1_3genE5ELNS1_11target_archE942ELNS1_3gpuE9ELNS1_3repE0EEENS1_30default_config_static_selectorELNS0_4arch9wavefront6targetE1EEEvSY_,"axG",@progbits,_ZN7rocprim17ROCPRIM_400000_NS6detail17trampoline_kernelINS0_13select_configILj256ELj13ELNS0_17block_load_methodE3ELS4_3ELS4_3ELNS0_20block_scan_algorithmE0ELj4294967295EEENS1_25partition_config_selectorILNS1_17partition_subalgoE3EjNS0_10empty_typeEbEEZZNS1_14partition_implILS8_3ELb0ES6_jNS0_17counting_iteratorIjlEEPS9_SE_NS0_5tupleIJPjSE_EEENSF_IJSE_SE_EEES9_SG_JZNS1_25segmented_radix_sort_implINS0_14default_configELb0EPKaPaPKlPlN2at6native12_GLOBAL__N_18offset_tEEE10hipError_tPvRmT1_PNSt15iterator_traitsISY_E10value_typeET2_T3_PNSZ_IS14_E10value_typeET4_jRbjT5_S1A_jjP12ihipStream_tbEUljE_EEESV_SW_SX_S14_S18_S1A_T6_T7_T9_mT8_S1C_bDpT10_ENKUlT_T0_E_clISt17integral_constantIbLb0EES1P_EEDaS1K_S1L_EUlS1K_E_NS1_11comp_targetILNS1_3genE5ELNS1_11target_archE942ELNS1_3gpuE9ELNS1_3repE0EEENS1_30default_config_static_selectorELNS0_4arch9wavefront6targetE1EEEvSY_,comdat
.Lfunc_end362:
	.size	_ZN7rocprim17ROCPRIM_400000_NS6detail17trampoline_kernelINS0_13select_configILj256ELj13ELNS0_17block_load_methodE3ELS4_3ELS4_3ELNS0_20block_scan_algorithmE0ELj4294967295EEENS1_25partition_config_selectorILNS1_17partition_subalgoE3EjNS0_10empty_typeEbEEZZNS1_14partition_implILS8_3ELb0ES6_jNS0_17counting_iteratorIjlEEPS9_SE_NS0_5tupleIJPjSE_EEENSF_IJSE_SE_EEES9_SG_JZNS1_25segmented_radix_sort_implINS0_14default_configELb0EPKaPaPKlPlN2at6native12_GLOBAL__N_18offset_tEEE10hipError_tPvRmT1_PNSt15iterator_traitsISY_E10value_typeET2_T3_PNSZ_IS14_E10value_typeET4_jRbjT5_S1A_jjP12ihipStream_tbEUljE_EEESV_SW_SX_S14_S18_S1A_T6_T7_T9_mT8_S1C_bDpT10_ENKUlT_T0_E_clISt17integral_constantIbLb0EES1P_EEDaS1K_S1L_EUlS1K_E_NS1_11comp_targetILNS1_3genE5ELNS1_11target_archE942ELNS1_3gpuE9ELNS1_3repE0EEENS1_30default_config_static_selectorELNS0_4arch9wavefront6targetE1EEEvSY_, .Lfunc_end362-_ZN7rocprim17ROCPRIM_400000_NS6detail17trampoline_kernelINS0_13select_configILj256ELj13ELNS0_17block_load_methodE3ELS4_3ELS4_3ELNS0_20block_scan_algorithmE0ELj4294967295EEENS1_25partition_config_selectorILNS1_17partition_subalgoE3EjNS0_10empty_typeEbEEZZNS1_14partition_implILS8_3ELb0ES6_jNS0_17counting_iteratorIjlEEPS9_SE_NS0_5tupleIJPjSE_EEENSF_IJSE_SE_EEES9_SG_JZNS1_25segmented_radix_sort_implINS0_14default_configELb0EPKaPaPKlPlN2at6native12_GLOBAL__N_18offset_tEEE10hipError_tPvRmT1_PNSt15iterator_traitsISY_E10value_typeET2_T3_PNSZ_IS14_E10value_typeET4_jRbjT5_S1A_jjP12ihipStream_tbEUljE_EEESV_SW_SX_S14_S18_S1A_T6_T7_T9_mT8_S1C_bDpT10_ENKUlT_T0_E_clISt17integral_constantIbLb0EES1P_EEDaS1K_S1L_EUlS1K_E_NS1_11comp_targetILNS1_3genE5ELNS1_11target_archE942ELNS1_3gpuE9ELNS1_3repE0EEENS1_30default_config_static_selectorELNS0_4arch9wavefront6targetE1EEEvSY_
                                        ; -- End function
	.set _ZN7rocprim17ROCPRIM_400000_NS6detail17trampoline_kernelINS0_13select_configILj256ELj13ELNS0_17block_load_methodE3ELS4_3ELS4_3ELNS0_20block_scan_algorithmE0ELj4294967295EEENS1_25partition_config_selectorILNS1_17partition_subalgoE3EjNS0_10empty_typeEbEEZZNS1_14partition_implILS8_3ELb0ES6_jNS0_17counting_iteratorIjlEEPS9_SE_NS0_5tupleIJPjSE_EEENSF_IJSE_SE_EEES9_SG_JZNS1_25segmented_radix_sort_implINS0_14default_configELb0EPKaPaPKlPlN2at6native12_GLOBAL__N_18offset_tEEE10hipError_tPvRmT1_PNSt15iterator_traitsISY_E10value_typeET2_T3_PNSZ_IS14_E10value_typeET4_jRbjT5_S1A_jjP12ihipStream_tbEUljE_EEESV_SW_SX_S14_S18_S1A_T6_T7_T9_mT8_S1C_bDpT10_ENKUlT_T0_E_clISt17integral_constantIbLb0EES1P_EEDaS1K_S1L_EUlS1K_E_NS1_11comp_targetILNS1_3genE5ELNS1_11target_archE942ELNS1_3gpuE9ELNS1_3repE0EEENS1_30default_config_static_selectorELNS0_4arch9wavefront6targetE1EEEvSY_.num_vgpr, 0
	.set _ZN7rocprim17ROCPRIM_400000_NS6detail17trampoline_kernelINS0_13select_configILj256ELj13ELNS0_17block_load_methodE3ELS4_3ELS4_3ELNS0_20block_scan_algorithmE0ELj4294967295EEENS1_25partition_config_selectorILNS1_17partition_subalgoE3EjNS0_10empty_typeEbEEZZNS1_14partition_implILS8_3ELb0ES6_jNS0_17counting_iteratorIjlEEPS9_SE_NS0_5tupleIJPjSE_EEENSF_IJSE_SE_EEES9_SG_JZNS1_25segmented_radix_sort_implINS0_14default_configELb0EPKaPaPKlPlN2at6native12_GLOBAL__N_18offset_tEEE10hipError_tPvRmT1_PNSt15iterator_traitsISY_E10value_typeET2_T3_PNSZ_IS14_E10value_typeET4_jRbjT5_S1A_jjP12ihipStream_tbEUljE_EEESV_SW_SX_S14_S18_S1A_T6_T7_T9_mT8_S1C_bDpT10_ENKUlT_T0_E_clISt17integral_constantIbLb0EES1P_EEDaS1K_S1L_EUlS1K_E_NS1_11comp_targetILNS1_3genE5ELNS1_11target_archE942ELNS1_3gpuE9ELNS1_3repE0EEENS1_30default_config_static_selectorELNS0_4arch9wavefront6targetE1EEEvSY_.num_agpr, 0
	.set _ZN7rocprim17ROCPRIM_400000_NS6detail17trampoline_kernelINS0_13select_configILj256ELj13ELNS0_17block_load_methodE3ELS4_3ELS4_3ELNS0_20block_scan_algorithmE0ELj4294967295EEENS1_25partition_config_selectorILNS1_17partition_subalgoE3EjNS0_10empty_typeEbEEZZNS1_14partition_implILS8_3ELb0ES6_jNS0_17counting_iteratorIjlEEPS9_SE_NS0_5tupleIJPjSE_EEENSF_IJSE_SE_EEES9_SG_JZNS1_25segmented_radix_sort_implINS0_14default_configELb0EPKaPaPKlPlN2at6native12_GLOBAL__N_18offset_tEEE10hipError_tPvRmT1_PNSt15iterator_traitsISY_E10value_typeET2_T3_PNSZ_IS14_E10value_typeET4_jRbjT5_S1A_jjP12ihipStream_tbEUljE_EEESV_SW_SX_S14_S18_S1A_T6_T7_T9_mT8_S1C_bDpT10_ENKUlT_T0_E_clISt17integral_constantIbLb0EES1P_EEDaS1K_S1L_EUlS1K_E_NS1_11comp_targetILNS1_3genE5ELNS1_11target_archE942ELNS1_3gpuE9ELNS1_3repE0EEENS1_30default_config_static_selectorELNS0_4arch9wavefront6targetE1EEEvSY_.numbered_sgpr, 0
	.set _ZN7rocprim17ROCPRIM_400000_NS6detail17trampoline_kernelINS0_13select_configILj256ELj13ELNS0_17block_load_methodE3ELS4_3ELS4_3ELNS0_20block_scan_algorithmE0ELj4294967295EEENS1_25partition_config_selectorILNS1_17partition_subalgoE3EjNS0_10empty_typeEbEEZZNS1_14partition_implILS8_3ELb0ES6_jNS0_17counting_iteratorIjlEEPS9_SE_NS0_5tupleIJPjSE_EEENSF_IJSE_SE_EEES9_SG_JZNS1_25segmented_radix_sort_implINS0_14default_configELb0EPKaPaPKlPlN2at6native12_GLOBAL__N_18offset_tEEE10hipError_tPvRmT1_PNSt15iterator_traitsISY_E10value_typeET2_T3_PNSZ_IS14_E10value_typeET4_jRbjT5_S1A_jjP12ihipStream_tbEUljE_EEESV_SW_SX_S14_S18_S1A_T6_T7_T9_mT8_S1C_bDpT10_ENKUlT_T0_E_clISt17integral_constantIbLb0EES1P_EEDaS1K_S1L_EUlS1K_E_NS1_11comp_targetILNS1_3genE5ELNS1_11target_archE942ELNS1_3gpuE9ELNS1_3repE0EEENS1_30default_config_static_selectorELNS0_4arch9wavefront6targetE1EEEvSY_.num_named_barrier, 0
	.set _ZN7rocprim17ROCPRIM_400000_NS6detail17trampoline_kernelINS0_13select_configILj256ELj13ELNS0_17block_load_methodE3ELS4_3ELS4_3ELNS0_20block_scan_algorithmE0ELj4294967295EEENS1_25partition_config_selectorILNS1_17partition_subalgoE3EjNS0_10empty_typeEbEEZZNS1_14partition_implILS8_3ELb0ES6_jNS0_17counting_iteratorIjlEEPS9_SE_NS0_5tupleIJPjSE_EEENSF_IJSE_SE_EEES9_SG_JZNS1_25segmented_radix_sort_implINS0_14default_configELb0EPKaPaPKlPlN2at6native12_GLOBAL__N_18offset_tEEE10hipError_tPvRmT1_PNSt15iterator_traitsISY_E10value_typeET2_T3_PNSZ_IS14_E10value_typeET4_jRbjT5_S1A_jjP12ihipStream_tbEUljE_EEESV_SW_SX_S14_S18_S1A_T6_T7_T9_mT8_S1C_bDpT10_ENKUlT_T0_E_clISt17integral_constantIbLb0EES1P_EEDaS1K_S1L_EUlS1K_E_NS1_11comp_targetILNS1_3genE5ELNS1_11target_archE942ELNS1_3gpuE9ELNS1_3repE0EEENS1_30default_config_static_selectorELNS0_4arch9wavefront6targetE1EEEvSY_.private_seg_size, 0
	.set _ZN7rocprim17ROCPRIM_400000_NS6detail17trampoline_kernelINS0_13select_configILj256ELj13ELNS0_17block_load_methodE3ELS4_3ELS4_3ELNS0_20block_scan_algorithmE0ELj4294967295EEENS1_25partition_config_selectorILNS1_17partition_subalgoE3EjNS0_10empty_typeEbEEZZNS1_14partition_implILS8_3ELb0ES6_jNS0_17counting_iteratorIjlEEPS9_SE_NS0_5tupleIJPjSE_EEENSF_IJSE_SE_EEES9_SG_JZNS1_25segmented_radix_sort_implINS0_14default_configELb0EPKaPaPKlPlN2at6native12_GLOBAL__N_18offset_tEEE10hipError_tPvRmT1_PNSt15iterator_traitsISY_E10value_typeET2_T3_PNSZ_IS14_E10value_typeET4_jRbjT5_S1A_jjP12ihipStream_tbEUljE_EEESV_SW_SX_S14_S18_S1A_T6_T7_T9_mT8_S1C_bDpT10_ENKUlT_T0_E_clISt17integral_constantIbLb0EES1P_EEDaS1K_S1L_EUlS1K_E_NS1_11comp_targetILNS1_3genE5ELNS1_11target_archE942ELNS1_3gpuE9ELNS1_3repE0EEENS1_30default_config_static_selectorELNS0_4arch9wavefront6targetE1EEEvSY_.uses_vcc, 0
	.set _ZN7rocprim17ROCPRIM_400000_NS6detail17trampoline_kernelINS0_13select_configILj256ELj13ELNS0_17block_load_methodE3ELS4_3ELS4_3ELNS0_20block_scan_algorithmE0ELj4294967295EEENS1_25partition_config_selectorILNS1_17partition_subalgoE3EjNS0_10empty_typeEbEEZZNS1_14partition_implILS8_3ELb0ES6_jNS0_17counting_iteratorIjlEEPS9_SE_NS0_5tupleIJPjSE_EEENSF_IJSE_SE_EEES9_SG_JZNS1_25segmented_radix_sort_implINS0_14default_configELb0EPKaPaPKlPlN2at6native12_GLOBAL__N_18offset_tEEE10hipError_tPvRmT1_PNSt15iterator_traitsISY_E10value_typeET2_T3_PNSZ_IS14_E10value_typeET4_jRbjT5_S1A_jjP12ihipStream_tbEUljE_EEESV_SW_SX_S14_S18_S1A_T6_T7_T9_mT8_S1C_bDpT10_ENKUlT_T0_E_clISt17integral_constantIbLb0EES1P_EEDaS1K_S1L_EUlS1K_E_NS1_11comp_targetILNS1_3genE5ELNS1_11target_archE942ELNS1_3gpuE9ELNS1_3repE0EEENS1_30default_config_static_selectorELNS0_4arch9wavefront6targetE1EEEvSY_.uses_flat_scratch, 0
	.set _ZN7rocprim17ROCPRIM_400000_NS6detail17trampoline_kernelINS0_13select_configILj256ELj13ELNS0_17block_load_methodE3ELS4_3ELS4_3ELNS0_20block_scan_algorithmE0ELj4294967295EEENS1_25partition_config_selectorILNS1_17partition_subalgoE3EjNS0_10empty_typeEbEEZZNS1_14partition_implILS8_3ELb0ES6_jNS0_17counting_iteratorIjlEEPS9_SE_NS0_5tupleIJPjSE_EEENSF_IJSE_SE_EEES9_SG_JZNS1_25segmented_radix_sort_implINS0_14default_configELb0EPKaPaPKlPlN2at6native12_GLOBAL__N_18offset_tEEE10hipError_tPvRmT1_PNSt15iterator_traitsISY_E10value_typeET2_T3_PNSZ_IS14_E10value_typeET4_jRbjT5_S1A_jjP12ihipStream_tbEUljE_EEESV_SW_SX_S14_S18_S1A_T6_T7_T9_mT8_S1C_bDpT10_ENKUlT_T0_E_clISt17integral_constantIbLb0EES1P_EEDaS1K_S1L_EUlS1K_E_NS1_11comp_targetILNS1_3genE5ELNS1_11target_archE942ELNS1_3gpuE9ELNS1_3repE0EEENS1_30default_config_static_selectorELNS0_4arch9wavefront6targetE1EEEvSY_.has_dyn_sized_stack, 0
	.set _ZN7rocprim17ROCPRIM_400000_NS6detail17trampoline_kernelINS0_13select_configILj256ELj13ELNS0_17block_load_methodE3ELS4_3ELS4_3ELNS0_20block_scan_algorithmE0ELj4294967295EEENS1_25partition_config_selectorILNS1_17partition_subalgoE3EjNS0_10empty_typeEbEEZZNS1_14partition_implILS8_3ELb0ES6_jNS0_17counting_iteratorIjlEEPS9_SE_NS0_5tupleIJPjSE_EEENSF_IJSE_SE_EEES9_SG_JZNS1_25segmented_radix_sort_implINS0_14default_configELb0EPKaPaPKlPlN2at6native12_GLOBAL__N_18offset_tEEE10hipError_tPvRmT1_PNSt15iterator_traitsISY_E10value_typeET2_T3_PNSZ_IS14_E10value_typeET4_jRbjT5_S1A_jjP12ihipStream_tbEUljE_EEESV_SW_SX_S14_S18_S1A_T6_T7_T9_mT8_S1C_bDpT10_ENKUlT_T0_E_clISt17integral_constantIbLb0EES1P_EEDaS1K_S1L_EUlS1K_E_NS1_11comp_targetILNS1_3genE5ELNS1_11target_archE942ELNS1_3gpuE9ELNS1_3repE0EEENS1_30default_config_static_selectorELNS0_4arch9wavefront6targetE1EEEvSY_.has_recursion, 0
	.set _ZN7rocprim17ROCPRIM_400000_NS6detail17trampoline_kernelINS0_13select_configILj256ELj13ELNS0_17block_load_methodE3ELS4_3ELS4_3ELNS0_20block_scan_algorithmE0ELj4294967295EEENS1_25partition_config_selectorILNS1_17partition_subalgoE3EjNS0_10empty_typeEbEEZZNS1_14partition_implILS8_3ELb0ES6_jNS0_17counting_iteratorIjlEEPS9_SE_NS0_5tupleIJPjSE_EEENSF_IJSE_SE_EEES9_SG_JZNS1_25segmented_radix_sort_implINS0_14default_configELb0EPKaPaPKlPlN2at6native12_GLOBAL__N_18offset_tEEE10hipError_tPvRmT1_PNSt15iterator_traitsISY_E10value_typeET2_T3_PNSZ_IS14_E10value_typeET4_jRbjT5_S1A_jjP12ihipStream_tbEUljE_EEESV_SW_SX_S14_S18_S1A_T6_T7_T9_mT8_S1C_bDpT10_ENKUlT_T0_E_clISt17integral_constantIbLb0EES1P_EEDaS1K_S1L_EUlS1K_E_NS1_11comp_targetILNS1_3genE5ELNS1_11target_archE942ELNS1_3gpuE9ELNS1_3repE0EEENS1_30default_config_static_selectorELNS0_4arch9wavefront6targetE1EEEvSY_.has_indirect_call, 0
	.section	.AMDGPU.csdata,"",@progbits
; Kernel info:
; codeLenInByte = 0
; TotalNumSgprs: 4
; NumVgprs: 0
; ScratchSize: 0
; MemoryBound: 0
; FloatMode: 240
; IeeeMode: 1
; LDSByteSize: 0 bytes/workgroup (compile time only)
; SGPRBlocks: 0
; VGPRBlocks: 0
; NumSGPRsForWavesPerEU: 4
; NumVGPRsForWavesPerEU: 1
; Occupancy: 10
; WaveLimiterHint : 0
; COMPUTE_PGM_RSRC2:SCRATCH_EN: 0
; COMPUTE_PGM_RSRC2:USER_SGPR: 6
; COMPUTE_PGM_RSRC2:TRAP_HANDLER: 0
; COMPUTE_PGM_RSRC2:TGID_X_EN: 1
; COMPUTE_PGM_RSRC2:TGID_Y_EN: 0
; COMPUTE_PGM_RSRC2:TGID_Z_EN: 0
; COMPUTE_PGM_RSRC2:TIDIG_COMP_CNT: 0
	.section	.text._ZN7rocprim17ROCPRIM_400000_NS6detail17trampoline_kernelINS0_13select_configILj256ELj13ELNS0_17block_load_methodE3ELS4_3ELS4_3ELNS0_20block_scan_algorithmE0ELj4294967295EEENS1_25partition_config_selectorILNS1_17partition_subalgoE3EjNS0_10empty_typeEbEEZZNS1_14partition_implILS8_3ELb0ES6_jNS0_17counting_iteratorIjlEEPS9_SE_NS0_5tupleIJPjSE_EEENSF_IJSE_SE_EEES9_SG_JZNS1_25segmented_radix_sort_implINS0_14default_configELb0EPKaPaPKlPlN2at6native12_GLOBAL__N_18offset_tEEE10hipError_tPvRmT1_PNSt15iterator_traitsISY_E10value_typeET2_T3_PNSZ_IS14_E10value_typeET4_jRbjT5_S1A_jjP12ihipStream_tbEUljE_EEESV_SW_SX_S14_S18_S1A_T6_T7_T9_mT8_S1C_bDpT10_ENKUlT_T0_E_clISt17integral_constantIbLb0EES1P_EEDaS1K_S1L_EUlS1K_E_NS1_11comp_targetILNS1_3genE4ELNS1_11target_archE910ELNS1_3gpuE8ELNS1_3repE0EEENS1_30default_config_static_selectorELNS0_4arch9wavefront6targetE1EEEvSY_,"axG",@progbits,_ZN7rocprim17ROCPRIM_400000_NS6detail17trampoline_kernelINS0_13select_configILj256ELj13ELNS0_17block_load_methodE3ELS4_3ELS4_3ELNS0_20block_scan_algorithmE0ELj4294967295EEENS1_25partition_config_selectorILNS1_17partition_subalgoE3EjNS0_10empty_typeEbEEZZNS1_14partition_implILS8_3ELb0ES6_jNS0_17counting_iteratorIjlEEPS9_SE_NS0_5tupleIJPjSE_EEENSF_IJSE_SE_EEES9_SG_JZNS1_25segmented_radix_sort_implINS0_14default_configELb0EPKaPaPKlPlN2at6native12_GLOBAL__N_18offset_tEEE10hipError_tPvRmT1_PNSt15iterator_traitsISY_E10value_typeET2_T3_PNSZ_IS14_E10value_typeET4_jRbjT5_S1A_jjP12ihipStream_tbEUljE_EEESV_SW_SX_S14_S18_S1A_T6_T7_T9_mT8_S1C_bDpT10_ENKUlT_T0_E_clISt17integral_constantIbLb0EES1P_EEDaS1K_S1L_EUlS1K_E_NS1_11comp_targetILNS1_3genE4ELNS1_11target_archE910ELNS1_3gpuE8ELNS1_3repE0EEENS1_30default_config_static_selectorELNS0_4arch9wavefront6targetE1EEEvSY_,comdat
	.globl	_ZN7rocprim17ROCPRIM_400000_NS6detail17trampoline_kernelINS0_13select_configILj256ELj13ELNS0_17block_load_methodE3ELS4_3ELS4_3ELNS0_20block_scan_algorithmE0ELj4294967295EEENS1_25partition_config_selectorILNS1_17partition_subalgoE3EjNS0_10empty_typeEbEEZZNS1_14partition_implILS8_3ELb0ES6_jNS0_17counting_iteratorIjlEEPS9_SE_NS0_5tupleIJPjSE_EEENSF_IJSE_SE_EEES9_SG_JZNS1_25segmented_radix_sort_implINS0_14default_configELb0EPKaPaPKlPlN2at6native12_GLOBAL__N_18offset_tEEE10hipError_tPvRmT1_PNSt15iterator_traitsISY_E10value_typeET2_T3_PNSZ_IS14_E10value_typeET4_jRbjT5_S1A_jjP12ihipStream_tbEUljE_EEESV_SW_SX_S14_S18_S1A_T6_T7_T9_mT8_S1C_bDpT10_ENKUlT_T0_E_clISt17integral_constantIbLb0EES1P_EEDaS1K_S1L_EUlS1K_E_NS1_11comp_targetILNS1_3genE4ELNS1_11target_archE910ELNS1_3gpuE8ELNS1_3repE0EEENS1_30default_config_static_selectorELNS0_4arch9wavefront6targetE1EEEvSY_ ; -- Begin function _ZN7rocprim17ROCPRIM_400000_NS6detail17trampoline_kernelINS0_13select_configILj256ELj13ELNS0_17block_load_methodE3ELS4_3ELS4_3ELNS0_20block_scan_algorithmE0ELj4294967295EEENS1_25partition_config_selectorILNS1_17partition_subalgoE3EjNS0_10empty_typeEbEEZZNS1_14partition_implILS8_3ELb0ES6_jNS0_17counting_iteratorIjlEEPS9_SE_NS0_5tupleIJPjSE_EEENSF_IJSE_SE_EEES9_SG_JZNS1_25segmented_radix_sort_implINS0_14default_configELb0EPKaPaPKlPlN2at6native12_GLOBAL__N_18offset_tEEE10hipError_tPvRmT1_PNSt15iterator_traitsISY_E10value_typeET2_T3_PNSZ_IS14_E10value_typeET4_jRbjT5_S1A_jjP12ihipStream_tbEUljE_EEESV_SW_SX_S14_S18_S1A_T6_T7_T9_mT8_S1C_bDpT10_ENKUlT_T0_E_clISt17integral_constantIbLb0EES1P_EEDaS1K_S1L_EUlS1K_E_NS1_11comp_targetILNS1_3genE4ELNS1_11target_archE910ELNS1_3gpuE8ELNS1_3repE0EEENS1_30default_config_static_selectorELNS0_4arch9wavefront6targetE1EEEvSY_
	.p2align	8
	.type	_ZN7rocprim17ROCPRIM_400000_NS6detail17trampoline_kernelINS0_13select_configILj256ELj13ELNS0_17block_load_methodE3ELS4_3ELS4_3ELNS0_20block_scan_algorithmE0ELj4294967295EEENS1_25partition_config_selectorILNS1_17partition_subalgoE3EjNS0_10empty_typeEbEEZZNS1_14partition_implILS8_3ELb0ES6_jNS0_17counting_iteratorIjlEEPS9_SE_NS0_5tupleIJPjSE_EEENSF_IJSE_SE_EEES9_SG_JZNS1_25segmented_radix_sort_implINS0_14default_configELb0EPKaPaPKlPlN2at6native12_GLOBAL__N_18offset_tEEE10hipError_tPvRmT1_PNSt15iterator_traitsISY_E10value_typeET2_T3_PNSZ_IS14_E10value_typeET4_jRbjT5_S1A_jjP12ihipStream_tbEUljE_EEESV_SW_SX_S14_S18_S1A_T6_T7_T9_mT8_S1C_bDpT10_ENKUlT_T0_E_clISt17integral_constantIbLb0EES1P_EEDaS1K_S1L_EUlS1K_E_NS1_11comp_targetILNS1_3genE4ELNS1_11target_archE910ELNS1_3gpuE8ELNS1_3repE0EEENS1_30default_config_static_selectorELNS0_4arch9wavefront6targetE1EEEvSY_,@function
_ZN7rocprim17ROCPRIM_400000_NS6detail17trampoline_kernelINS0_13select_configILj256ELj13ELNS0_17block_load_methodE3ELS4_3ELS4_3ELNS0_20block_scan_algorithmE0ELj4294967295EEENS1_25partition_config_selectorILNS1_17partition_subalgoE3EjNS0_10empty_typeEbEEZZNS1_14partition_implILS8_3ELb0ES6_jNS0_17counting_iteratorIjlEEPS9_SE_NS0_5tupleIJPjSE_EEENSF_IJSE_SE_EEES9_SG_JZNS1_25segmented_radix_sort_implINS0_14default_configELb0EPKaPaPKlPlN2at6native12_GLOBAL__N_18offset_tEEE10hipError_tPvRmT1_PNSt15iterator_traitsISY_E10value_typeET2_T3_PNSZ_IS14_E10value_typeET4_jRbjT5_S1A_jjP12ihipStream_tbEUljE_EEESV_SW_SX_S14_S18_S1A_T6_T7_T9_mT8_S1C_bDpT10_ENKUlT_T0_E_clISt17integral_constantIbLb0EES1P_EEDaS1K_S1L_EUlS1K_E_NS1_11comp_targetILNS1_3genE4ELNS1_11target_archE910ELNS1_3gpuE8ELNS1_3repE0EEENS1_30default_config_static_selectorELNS0_4arch9wavefront6targetE1EEEvSY_: ; @_ZN7rocprim17ROCPRIM_400000_NS6detail17trampoline_kernelINS0_13select_configILj256ELj13ELNS0_17block_load_methodE3ELS4_3ELS4_3ELNS0_20block_scan_algorithmE0ELj4294967295EEENS1_25partition_config_selectorILNS1_17partition_subalgoE3EjNS0_10empty_typeEbEEZZNS1_14partition_implILS8_3ELb0ES6_jNS0_17counting_iteratorIjlEEPS9_SE_NS0_5tupleIJPjSE_EEENSF_IJSE_SE_EEES9_SG_JZNS1_25segmented_radix_sort_implINS0_14default_configELb0EPKaPaPKlPlN2at6native12_GLOBAL__N_18offset_tEEE10hipError_tPvRmT1_PNSt15iterator_traitsISY_E10value_typeET2_T3_PNSZ_IS14_E10value_typeET4_jRbjT5_S1A_jjP12ihipStream_tbEUljE_EEESV_SW_SX_S14_S18_S1A_T6_T7_T9_mT8_S1C_bDpT10_ENKUlT_T0_E_clISt17integral_constantIbLb0EES1P_EEDaS1K_S1L_EUlS1K_E_NS1_11comp_targetILNS1_3genE4ELNS1_11target_archE910ELNS1_3gpuE8ELNS1_3repE0EEENS1_30default_config_static_selectorELNS0_4arch9wavefront6targetE1EEEvSY_
; %bb.0:
	.section	.rodata,"a",@progbits
	.p2align	6, 0x0
	.amdhsa_kernel _ZN7rocprim17ROCPRIM_400000_NS6detail17trampoline_kernelINS0_13select_configILj256ELj13ELNS0_17block_load_methodE3ELS4_3ELS4_3ELNS0_20block_scan_algorithmE0ELj4294967295EEENS1_25partition_config_selectorILNS1_17partition_subalgoE3EjNS0_10empty_typeEbEEZZNS1_14partition_implILS8_3ELb0ES6_jNS0_17counting_iteratorIjlEEPS9_SE_NS0_5tupleIJPjSE_EEENSF_IJSE_SE_EEES9_SG_JZNS1_25segmented_radix_sort_implINS0_14default_configELb0EPKaPaPKlPlN2at6native12_GLOBAL__N_18offset_tEEE10hipError_tPvRmT1_PNSt15iterator_traitsISY_E10value_typeET2_T3_PNSZ_IS14_E10value_typeET4_jRbjT5_S1A_jjP12ihipStream_tbEUljE_EEESV_SW_SX_S14_S18_S1A_T6_T7_T9_mT8_S1C_bDpT10_ENKUlT_T0_E_clISt17integral_constantIbLb0EES1P_EEDaS1K_S1L_EUlS1K_E_NS1_11comp_targetILNS1_3genE4ELNS1_11target_archE910ELNS1_3gpuE8ELNS1_3repE0EEENS1_30default_config_static_selectorELNS0_4arch9wavefront6targetE1EEEvSY_
		.amdhsa_group_segment_fixed_size 0
		.amdhsa_private_segment_fixed_size 0
		.amdhsa_kernarg_size 144
		.amdhsa_user_sgpr_count 6
		.amdhsa_user_sgpr_private_segment_buffer 1
		.amdhsa_user_sgpr_dispatch_ptr 0
		.amdhsa_user_sgpr_queue_ptr 0
		.amdhsa_user_sgpr_kernarg_segment_ptr 1
		.amdhsa_user_sgpr_dispatch_id 0
		.amdhsa_user_sgpr_flat_scratch_init 0
		.amdhsa_user_sgpr_private_segment_size 0
		.amdhsa_uses_dynamic_stack 0
		.amdhsa_system_sgpr_private_segment_wavefront_offset 0
		.amdhsa_system_sgpr_workgroup_id_x 1
		.amdhsa_system_sgpr_workgroup_id_y 0
		.amdhsa_system_sgpr_workgroup_id_z 0
		.amdhsa_system_sgpr_workgroup_info 0
		.amdhsa_system_vgpr_workitem_id 0
		.amdhsa_next_free_vgpr 1
		.amdhsa_next_free_sgpr 0
		.amdhsa_reserve_vcc 0
		.amdhsa_reserve_flat_scratch 0
		.amdhsa_float_round_mode_32 0
		.amdhsa_float_round_mode_16_64 0
		.amdhsa_float_denorm_mode_32 3
		.amdhsa_float_denorm_mode_16_64 3
		.amdhsa_dx10_clamp 1
		.amdhsa_ieee_mode 1
		.amdhsa_fp16_overflow 0
		.amdhsa_exception_fp_ieee_invalid_op 0
		.amdhsa_exception_fp_denorm_src 0
		.amdhsa_exception_fp_ieee_div_zero 0
		.amdhsa_exception_fp_ieee_overflow 0
		.amdhsa_exception_fp_ieee_underflow 0
		.amdhsa_exception_fp_ieee_inexact 0
		.amdhsa_exception_int_div_zero 0
	.end_amdhsa_kernel
	.section	.text._ZN7rocprim17ROCPRIM_400000_NS6detail17trampoline_kernelINS0_13select_configILj256ELj13ELNS0_17block_load_methodE3ELS4_3ELS4_3ELNS0_20block_scan_algorithmE0ELj4294967295EEENS1_25partition_config_selectorILNS1_17partition_subalgoE3EjNS0_10empty_typeEbEEZZNS1_14partition_implILS8_3ELb0ES6_jNS0_17counting_iteratorIjlEEPS9_SE_NS0_5tupleIJPjSE_EEENSF_IJSE_SE_EEES9_SG_JZNS1_25segmented_radix_sort_implINS0_14default_configELb0EPKaPaPKlPlN2at6native12_GLOBAL__N_18offset_tEEE10hipError_tPvRmT1_PNSt15iterator_traitsISY_E10value_typeET2_T3_PNSZ_IS14_E10value_typeET4_jRbjT5_S1A_jjP12ihipStream_tbEUljE_EEESV_SW_SX_S14_S18_S1A_T6_T7_T9_mT8_S1C_bDpT10_ENKUlT_T0_E_clISt17integral_constantIbLb0EES1P_EEDaS1K_S1L_EUlS1K_E_NS1_11comp_targetILNS1_3genE4ELNS1_11target_archE910ELNS1_3gpuE8ELNS1_3repE0EEENS1_30default_config_static_selectorELNS0_4arch9wavefront6targetE1EEEvSY_,"axG",@progbits,_ZN7rocprim17ROCPRIM_400000_NS6detail17trampoline_kernelINS0_13select_configILj256ELj13ELNS0_17block_load_methodE3ELS4_3ELS4_3ELNS0_20block_scan_algorithmE0ELj4294967295EEENS1_25partition_config_selectorILNS1_17partition_subalgoE3EjNS0_10empty_typeEbEEZZNS1_14partition_implILS8_3ELb0ES6_jNS0_17counting_iteratorIjlEEPS9_SE_NS0_5tupleIJPjSE_EEENSF_IJSE_SE_EEES9_SG_JZNS1_25segmented_radix_sort_implINS0_14default_configELb0EPKaPaPKlPlN2at6native12_GLOBAL__N_18offset_tEEE10hipError_tPvRmT1_PNSt15iterator_traitsISY_E10value_typeET2_T3_PNSZ_IS14_E10value_typeET4_jRbjT5_S1A_jjP12ihipStream_tbEUljE_EEESV_SW_SX_S14_S18_S1A_T6_T7_T9_mT8_S1C_bDpT10_ENKUlT_T0_E_clISt17integral_constantIbLb0EES1P_EEDaS1K_S1L_EUlS1K_E_NS1_11comp_targetILNS1_3genE4ELNS1_11target_archE910ELNS1_3gpuE8ELNS1_3repE0EEENS1_30default_config_static_selectorELNS0_4arch9wavefront6targetE1EEEvSY_,comdat
.Lfunc_end363:
	.size	_ZN7rocprim17ROCPRIM_400000_NS6detail17trampoline_kernelINS0_13select_configILj256ELj13ELNS0_17block_load_methodE3ELS4_3ELS4_3ELNS0_20block_scan_algorithmE0ELj4294967295EEENS1_25partition_config_selectorILNS1_17partition_subalgoE3EjNS0_10empty_typeEbEEZZNS1_14partition_implILS8_3ELb0ES6_jNS0_17counting_iteratorIjlEEPS9_SE_NS0_5tupleIJPjSE_EEENSF_IJSE_SE_EEES9_SG_JZNS1_25segmented_radix_sort_implINS0_14default_configELb0EPKaPaPKlPlN2at6native12_GLOBAL__N_18offset_tEEE10hipError_tPvRmT1_PNSt15iterator_traitsISY_E10value_typeET2_T3_PNSZ_IS14_E10value_typeET4_jRbjT5_S1A_jjP12ihipStream_tbEUljE_EEESV_SW_SX_S14_S18_S1A_T6_T7_T9_mT8_S1C_bDpT10_ENKUlT_T0_E_clISt17integral_constantIbLb0EES1P_EEDaS1K_S1L_EUlS1K_E_NS1_11comp_targetILNS1_3genE4ELNS1_11target_archE910ELNS1_3gpuE8ELNS1_3repE0EEENS1_30default_config_static_selectorELNS0_4arch9wavefront6targetE1EEEvSY_, .Lfunc_end363-_ZN7rocprim17ROCPRIM_400000_NS6detail17trampoline_kernelINS0_13select_configILj256ELj13ELNS0_17block_load_methodE3ELS4_3ELS4_3ELNS0_20block_scan_algorithmE0ELj4294967295EEENS1_25partition_config_selectorILNS1_17partition_subalgoE3EjNS0_10empty_typeEbEEZZNS1_14partition_implILS8_3ELb0ES6_jNS0_17counting_iteratorIjlEEPS9_SE_NS0_5tupleIJPjSE_EEENSF_IJSE_SE_EEES9_SG_JZNS1_25segmented_radix_sort_implINS0_14default_configELb0EPKaPaPKlPlN2at6native12_GLOBAL__N_18offset_tEEE10hipError_tPvRmT1_PNSt15iterator_traitsISY_E10value_typeET2_T3_PNSZ_IS14_E10value_typeET4_jRbjT5_S1A_jjP12ihipStream_tbEUljE_EEESV_SW_SX_S14_S18_S1A_T6_T7_T9_mT8_S1C_bDpT10_ENKUlT_T0_E_clISt17integral_constantIbLb0EES1P_EEDaS1K_S1L_EUlS1K_E_NS1_11comp_targetILNS1_3genE4ELNS1_11target_archE910ELNS1_3gpuE8ELNS1_3repE0EEENS1_30default_config_static_selectorELNS0_4arch9wavefront6targetE1EEEvSY_
                                        ; -- End function
	.set _ZN7rocprim17ROCPRIM_400000_NS6detail17trampoline_kernelINS0_13select_configILj256ELj13ELNS0_17block_load_methodE3ELS4_3ELS4_3ELNS0_20block_scan_algorithmE0ELj4294967295EEENS1_25partition_config_selectorILNS1_17partition_subalgoE3EjNS0_10empty_typeEbEEZZNS1_14partition_implILS8_3ELb0ES6_jNS0_17counting_iteratorIjlEEPS9_SE_NS0_5tupleIJPjSE_EEENSF_IJSE_SE_EEES9_SG_JZNS1_25segmented_radix_sort_implINS0_14default_configELb0EPKaPaPKlPlN2at6native12_GLOBAL__N_18offset_tEEE10hipError_tPvRmT1_PNSt15iterator_traitsISY_E10value_typeET2_T3_PNSZ_IS14_E10value_typeET4_jRbjT5_S1A_jjP12ihipStream_tbEUljE_EEESV_SW_SX_S14_S18_S1A_T6_T7_T9_mT8_S1C_bDpT10_ENKUlT_T0_E_clISt17integral_constantIbLb0EES1P_EEDaS1K_S1L_EUlS1K_E_NS1_11comp_targetILNS1_3genE4ELNS1_11target_archE910ELNS1_3gpuE8ELNS1_3repE0EEENS1_30default_config_static_selectorELNS0_4arch9wavefront6targetE1EEEvSY_.num_vgpr, 0
	.set _ZN7rocprim17ROCPRIM_400000_NS6detail17trampoline_kernelINS0_13select_configILj256ELj13ELNS0_17block_load_methodE3ELS4_3ELS4_3ELNS0_20block_scan_algorithmE0ELj4294967295EEENS1_25partition_config_selectorILNS1_17partition_subalgoE3EjNS0_10empty_typeEbEEZZNS1_14partition_implILS8_3ELb0ES6_jNS0_17counting_iteratorIjlEEPS9_SE_NS0_5tupleIJPjSE_EEENSF_IJSE_SE_EEES9_SG_JZNS1_25segmented_radix_sort_implINS0_14default_configELb0EPKaPaPKlPlN2at6native12_GLOBAL__N_18offset_tEEE10hipError_tPvRmT1_PNSt15iterator_traitsISY_E10value_typeET2_T3_PNSZ_IS14_E10value_typeET4_jRbjT5_S1A_jjP12ihipStream_tbEUljE_EEESV_SW_SX_S14_S18_S1A_T6_T7_T9_mT8_S1C_bDpT10_ENKUlT_T0_E_clISt17integral_constantIbLb0EES1P_EEDaS1K_S1L_EUlS1K_E_NS1_11comp_targetILNS1_3genE4ELNS1_11target_archE910ELNS1_3gpuE8ELNS1_3repE0EEENS1_30default_config_static_selectorELNS0_4arch9wavefront6targetE1EEEvSY_.num_agpr, 0
	.set _ZN7rocprim17ROCPRIM_400000_NS6detail17trampoline_kernelINS0_13select_configILj256ELj13ELNS0_17block_load_methodE3ELS4_3ELS4_3ELNS0_20block_scan_algorithmE0ELj4294967295EEENS1_25partition_config_selectorILNS1_17partition_subalgoE3EjNS0_10empty_typeEbEEZZNS1_14partition_implILS8_3ELb0ES6_jNS0_17counting_iteratorIjlEEPS9_SE_NS0_5tupleIJPjSE_EEENSF_IJSE_SE_EEES9_SG_JZNS1_25segmented_radix_sort_implINS0_14default_configELb0EPKaPaPKlPlN2at6native12_GLOBAL__N_18offset_tEEE10hipError_tPvRmT1_PNSt15iterator_traitsISY_E10value_typeET2_T3_PNSZ_IS14_E10value_typeET4_jRbjT5_S1A_jjP12ihipStream_tbEUljE_EEESV_SW_SX_S14_S18_S1A_T6_T7_T9_mT8_S1C_bDpT10_ENKUlT_T0_E_clISt17integral_constantIbLb0EES1P_EEDaS1K_S1L_EUlS1K_E_NS1_11comp_targetILNS1_3genE4ELNS1_11target_archE910ELNS1_3gpuE8ELNS1_3repE0EEENS1_30default_config_static_selectorELNS0_4arch9wavefront6targetE1EEEvSY_.numbered_sgpr, 0
	.set _ZN7rocprim17ROCPRIM_400000_NS6detail17trampoline_kernelINS0_13select_configILj256ELj13ELNS0_17block_load_methodE3ELS4_3ELS4_3ELNS0_20block_scan_algorithmE0ELj4294967295EEENS1_25partition_config_selectorILNS1_17partition_subalgoE3EjNS0_10empty_typeEbEEZZNS1_14partition_implILS8_3ELb0ES6_jNS0_17counting_iteratorIjlEEPS9_SE_NS0_5tupleIJPjSE_EEENSF_IJSE_SE_EEES9_SG_JZNS1_25segmented_radix_sort_implINS0_14default_configELb0EPKaPaPKlPlN2at6native12_GLOBAL__N_18offset_tEEE10hipError_tPvRmT1_PNSt15iterator_traitsISY_E10value_typeET2_T3_PNSZ_IS14_E10value_typeET4_jRbjT5_S1A_jjP12ihipStream_tbEUljE_EEESV_SW_SX_S14_S18_S1A_T6_T7_T9_mT8_S1C_bDpT10_ENKUlT_T0_E_clISt17integral_constantIbLb0EES1P_EEDaS1K_S1L_EUlS1K_E_NS1_11comp_targetILNS1_3genE4ELNS1_11target_archE910ELNS1_3gpuE8ELNS1_3repE0EEENS1_30default_config_static_selectorELNS0_4arch9wavefront6targetE1EEEvSY_.num_named_barrier, 0
	.set _ZN7rocprim17ROCPRIM_400000_NS6detail17trampoline_kernelINS0_13select_configILj256ELj13ELNS0_17block_load_methodE3ELS4_3ELS4_3ELNS0_20block_scan_algorithmE0ELj4294967295EEENS1_25partition_config_selectorILNS1_17partition_subalgoE3EjNS0_10empty_typeEbEEZZNS1_14partition_implILS8_3ELb0ES6_jNS0_17counting_iteratorIjlEEPS9_SE_NS0_5tupleIJPjSE_EEENSF_IJSE_SE_EEES9_SG_JZNS1_25segmented_radix_sort_implINS0_14default_configELb0EPKaPaPKlPlN2at6native12_GLOBAL__N_18offset_tEEE10hipError_tPvRmT1_PNSt15iterator_traitsISY_E10value_typeET2_T3_PNSZ_IS14_E10value_typeET4_jRbjT5_S1A_jjP12ihipStream_tbEUljE_EEESV_SW_SX_S14_S18_S1A_T6_T7_T9_mT8_S1C_bDpT10_ENKUlT_T0_E_clISt17integral_constantIbLb0EES1P_EEDaS1K_S1L_EUlS1K_E_NS1_11comp_targetILNS1_3genE4ELNS1_11target_archE910ELNS1_3gpuE8ELNS1_3repE0EEENS1_30default_config_static_selectorELNS0_4arch9wavefront6targetE1EEEvSY_.private_seg_size, 0
	.set _ZN7rocprim17ROCPRIM_400000_NS6detail17trampoline_kernelINS0_13select_configILj256ELj13ELNS0_17block_load_methodE3ELS4_3ELS4_3ELNS0_20block_scan_algorithmE0ELj4294967295EEENS1_25partition_config_selectorILNS1_17partition_subalgoE3EjNS0_10empty_typeEbEEZZNS1_14partition_implILS8_3ELb0ES6_jNS0_17counting_iteratorIjlEEPS9_SE_NS0_5tupleIJPjSE_EEENSF_IJSE_SE_EEES9_SG_JZNS1_25segmented_radix_sort_implINS0_14default_configELb0EPKaPaPKlPlN2at6native12_GLOBAL__N_18offset_tEEE10hipError_tPvRmT1_PNSt15iterator_traitsISY_E10value_typeET2_T3_PNSZ_IS14_E10value_typeET4_jRbjT5_S1A_jjP12ihipStream_tbEUljE_EEESV_SW_SX_S14_S18_S1A_T6_T7_T9_mT8_S1C_bDpT10_ENKUlT_T0_E_clISt17integral_constantIbLb0EES1P_EEDaS1K_S1L_EUlS1K_E_NS1_11comp_targetILNS1_3genE4ELNS1_11target_archE910ELNS1_3gpuE8ELNS1_3repE0EEENS1_30default_config_static_selectorELNS0_4arch9wavefront6targetE1EEEvSY_.uses_vcc, 0
	.set _ZN7rocprim17ROCPRIM_400000_NS6detail17trampoline_kernelINS0_13select_configILj256ELj13ELNS0_17block_load_methodE3ELS4_3ELS4_3ELNS0_20block_scan_algorithmE0ELj4294967295EEENS1_25partition_config_selectorILNS1_17partition_subalgoE3EjNS0_10empty_typeEbEEZZNS1_14partition_implILS8_3ELb0ES6_jNS0_17counting_iteratorIjlEEPS9_SE_NS0_5tupleIJPjSE_EEENSF_IJSE_SE_EEES9_SG_JZNS1_25segmented_radix_sort_implINS0_14default_configELb0EPKaPaPKlPlN2at6native12_GLOBAL__N_18offset_tEEE10hipError_tPvRmT1_PNSt15iterator_traitsISY_E10value_typeET2_T3_PNSZ_IS14_E10value_typeET4_jRbjT5_S1A_jjP12ihipStream_tbEUljE_EEESV_SW_SX_S14_S18_S1A_T6_T7_T9_mT8_S1C_bDpT10_ENKUlT_T0_E_clISt17integral_constantIbLb0EES1P_EEDaS1K_S1L_EUlS1K_E_NS1_11comp_targetILNS1_3genE4ELNS1_11target_archE910ELNS1_3gpuE8ELNS1_3repE0EEENS1_30default_config_static_selectorELNS0_4arch9wavefront6targetE1EEEvSY_.uses_flat_scratch, 0
	.set _ZN7rocprim17ROCPRIM_400000_NS6detail17trampoline_kernelINS0_13select_configILj256ELj13ELNS0_17block_load_methodE3ELS4_3ELS4_3ELNS0_20block_scan_algorithmE0ELj4294967295EEENS1_25partition_config_selectorILNS1_17partition_subalgoE3EjNS0_10empty_typeEbEEZZNS1_14partition_implILS8_3ELb0ES6_jNS0_17counting_iteratorIjlEEPS9_SE_NS0_5tupleIJPjSE_EEENSF_IJSE_SE_EEES9_SG_JZNS1_25segmented_radix_sort_implINS0_14default_configELb0EPKaPaPKlPlN2at6native12_GLOBAL__N_18offset_tEEE10hipError_tPvRmT1_PNSt15iterator_traitsISY_E10value_typeET2_T3_PNSZ_IS14_E10value_typeET4_jRbjT5_S1A_jjP12ihipStream_tbEUljE_EEESV_SW_SX_S14_S18_S1A_T6_T7_T9_mT8_S1C_bDpT10_ENKUlT_T0_E_clISt17integral_constantIbLb0EES1P_EEDaS1K_S1L_EUlS1K_E_NS1_11comp_targetILNS1_3genE4ELNS1_11target_archE910ELNS1_3gpuE8ELNS1_3repE0EEENS1_30default_config_static_selectorELNS0_4arch9wavefront6targetE1EEEvSY_.has_dyn_sized_stack, 0
	.set _ZN7rocprim17ROCPRIM_400000_NS6detail17trampoline_kernelINS0_13select_configILj256ELj13ELNS0_17block_load_methodE3ELS4_3ELS4_3ELNS0_20block_scan_algorithmE0ELj4294967295EEENS1_25partition_config_selectorILNS1_17partition_subalgoE3EjNS0_10empty_typeEbEEZZNS1_14partition_implILS8_3ELb0ES6_jNS0_17counting_iteratorIjlEEPS9_SE_NS0_5tupleIJPjSE_EEENSF_IJSE_SE_EEES9_SG_JZNS1_25segmented_radix_sort_implINS0_14default_configELb0EPKaPaPKlPlN2at6native12_GLOBAL__N_18offset_tEEE10hipError_tPvRmT1_PNSt15iterator_traitsISY_E10value_typeET2_T3_PNSZ_IS14_E10value_typeET4_jRbjT5_S1A_jjP12ihipStream_tbEUljE_EEESV_SW_SX_S14_S18_S1A_T6_T7_T9_mT8_S1C_bDpT10_ENKUlT_T0_E_clISt17integral_constantIbLb0EES1P_EEDaS1K_S1L_EUlS1K_E_NS1_11comp_targetILNS1_3genE4ELNS1_11target_archE910ELNS1_3gpuE8ELNS1_3repE0EEENS1_30default_config_static_selectorELNS0_4arch9wavefront6targetE1EEEvSY_.has_recursion, 0
	.set _ZN7rocprim17ROCPRIM_400000_NS6detail17trampoline_kernelINS0_13select_configILj256ELj13ELNS0_17block_load_methodE3ELS4_3ELS4_3ELNS0_20block_scan_algorithmE0ELj4294967295EEENS1_25partition_config_selectorILNS1_17partition_subalgoE3EjNS0_10empty_typeEbEEZZNS1_14partition_implILS8_3ELb0ES6_jNS0_17counting_iteratorIjlEEPS9_SE_NS0_5tupleIJPjSE_EEENSF_IJSE_SE_EEES9_SG_JZNS1_25segmented_radix_sort_implINS0_14default_configELb0EPKaPaPKlPlN2at6native12_GLOBAL__N_18offset_tEEE10hipError_tPvRmT1_PNSt15iterator_traitsISY_E10value_typeET2_T3_PNSZ_IS14_E10value_typeET4_jRbjT5_S1A_jjP12ihipStream_tbEUljE_EEESV_SW_SX_S14_S18_S1A_T6_T7_T9_mT8_S1C_bDpT10_ENKUlT_T0_E_clISt17integral_constantIbLb0EES1P_EEDaS1K_S1L_EUlS1K_E_NS1_11comp_targetILNS1_3genE4ELNS1_11target_archE910ELNS1_3gpuE8ELNS1_3repE0EEENS1_30default_config_static_selectorELNS0_4arch9wavefront6targetE1EEEvSY_.has_indirect_call, 0
	.section	.AMDGPU.csdata,"",@progbits
; Kernel info:
; codeLenInByte = 0
; TotalNumSgprs: 4
; NumVgprs: 0
; ScratchSize: 0
; MemoryBound: 0
; FloatMode: 240
; IeeeMode: 1
; LDSByteSize: 0 bytes/workgroup (compile time only)
; SGPRBlocks: 0
; VGPRBlocks: 0
; NumSGPRsForWavesPerEU: 4
; NumVGPRsForWavesPerEU: 1
; Occupancy: 10
; WaveLimiterHint : 0
; COMPUTE_PGM_RSRC2:SCRATCH_EN: 0
; COMPUTE_PGM_RSRC2:USER_SGPR: 6
; COMPUTE_PGM_RSRC2:TRAP_HANDLER: 0
; COMPUTE_PGM_RSRC2:TGID_X_EN: 1
; COMPUTE_PGM_RSRC2:TGID_Y_EN: 0
; COMPUTE_PGM_RSRC2:TGID_Z_EN: 0
; COMPUTE_PGM_RSRC2:TIDIG_COMP_CNT: 0
	.section	.text._ZN7rocprim17ROCPRIM_400000_NS6detail17trampoline_kernelINS0_13select_configILj256ELj13ELNS0_17block_load_methodE3ELS4_3ELS4_3ELNS0_20block_scan_algorithmE0ELj4294967295EEENS1_25partition_config_selectorILNS1_17partition_subalgoE3EjNS0_10empty_typeEbEEZZNS1_14partition_implILS8_3ELb0ES6_jNS0_17counting_iteratorIjlEEPS9_SE_NS0_5tupleIJPjSE_EEENSF_IJSE_SE_EEES9_SG_JZNS1_25segmented_radix_sort_implINS0_14default_configELb0EPKaPaPKlPlN2at6native12_GLOBAL__N_18offset_tEEE10hipError_tPvRmT1_PNSt15iterator_traitsISY_E10value_typeET2_T3_PNSZ_IS14_E10value_typeET4_jRbjT5_S1A_jjP12ihipStream_tbEUljE_EEESV_SW_SX_S14_S18_S1A_T6_T7_T9_mT8_S1C_bDpT10_ENKUlT_T0_E_clISt17integral_constantIbLb0EES1P_EEDaS1K_S1L_EUlS1K_E_NS1_11comp_targetILNS1_3genE3ELNS1_11target_archE908ELNS1_3gpuE7ELNS1_3repE0EEENS1_30default_config_static_selectorELNS0_4arch9wavefront6targetE1EEEvSY_,"axG",@progbits,_ZN7rocprim17ROCPRIM_400000_NS6detail17trampoline_kernelINS0_13select_configILj256ELj13ELNS0_17block_load_methodE3ELS4_3ELS4_3ELNS0_20block_scan_algorithmE0ELj4294967295EEENS1_25partition_config_selectorILNS1_17partition_subalgoE3EjNS0_10empty_typeEbEEZZNS1_14partition_implILS8_3ELb0ES6_jNS0_17counting_iteratorIjlEEPS9_SE_NS0_5tupleIJPjSE_EEENSF_IJSE_SE_EEES9_SG_JZNS1_25segmented_radix_sort_implINS0_14default_configELb0EPKaPaPKlPlN2at6native12_GLOBAL__N_18offset_tEEE10hipError_tPvRmT1_PNSt15iterator_traitsISY_E10value_typeET2_T3_PNSZ_IS14_E10value_typeET4_jRbjT5_S1A_jjP12ihipStream_tbEUljE_EEESV_SW_SX_S14_S18_S1A_T6_T7_T9_mT8_S1C_bDpT10_ENKUlT_T0_E_clISt17integral_constantIbLb0EES1P_EEDaS1K_S1L_EUlS1K_E_NS1_11comp_targetILNS1_3genE3ELNS1_11target_archE908ELNS1_3gpuE7ELNS1_3repE0EEENS1_30default_config_static_selectorELNS0_4arch9wavefront6targetE1EEEvSY_,comdat
	.globl	_ZN7rocprim17ROCPRIM_400000_NS6detail17trampoline_kernelINS0_13select_configILj256ELj13ELNS0_17block_load_methodE3ELS4_3ELS4_3ELNS0_20block_scan_algorithmE0ELj4294967295EEENS1_25partition_config_selectorILNS1_17partition_subalgoE3EjNS0_10empty_typeEbEEZZNS1_14partition_implILS8_3ELb0ES6_jNS0_17counting_iteratorIjlEEPS9_SE_NS0_5tupleIJPjSE_EEENSF_IJSE_SE_EEES9_SG_JZNS1_25segmented_radix_sort_implINS0_14default_configELb0EPKaPaPKlPlN2at6native12_GLOBAL__N_18offset_tEEE10hipError_tPvRmT1_PNSt15iterator_traitsISY_E10value_typeET2_T3_PNSZ_IS14_E10value_typeET4_jRbjT5_S1A_jjP12ihipStream_tbEUljE_EEESV_SW_SX_S14_S18_S1A_T6_T7_T9_mT8_S1C_bDpT10_ENKUlT_T0_E_clISt17integral_constantIbLb0EES1P_EEDaS1K_S1L_EUlS1K_E_NS1_11comp_targetILNS1_3genE3ELNS1_11target_archE908ELNS1_3gpuE7ELNS1_3repE0EEENS1_30default_config_static_selectorELNS0_4arch9wavefront6targetE1EEEvSY_ ; -- Begin function _ZN7rocprim17ROCPRIM_400000_NS6detail17trampoline_kernelINS0_13select_configILj256ELj13ELNS0_17block_load_methodE3ELS4_3ELS4_3ELNS0_20block_scan_algorithmE0ELj4294967295EEENS1_25partition_config_selectorILNS1_17partition_subalgoE3EjNS0_10empty_typeEbEEZZNS1_14partition_implILS8_3ELb0ES6_jNS0_17counting_iteratorIjlEEPS9_SE_NS0_5tupleIJPjSE_EEENSF_IJSE_SE_EEES9_SG_JZNS1_25segmented_radix_sort_implINS0_14default_configELb0EPKaPaPKlPlN2at6native12_GLOBAL__N_18offset_tEEE10hipError_tPvRmT1_PNSt15iterator_traitsISY_E10value_typeET2_T3_PNSZ_IS14_E10value_typeET4_jRbjT5_S1A_jjP12ihipStream_tbEUljE_EEESV_SW_SX_S14_S18_S1A_T6_T7_T9_mT8_S1C_bDpT10_ENKUlT_T0_E_clISt17integral_constantIbLb0EES1P_EEDaS1K_S1L_EUlS1K_E_NS1_11comp_targetILNS1_3genE3ELNS1_11target_archE908ELNS1_3gpuE7ELNS1_3repE0EEENS1_30default_config_static_selectorELNS0_4arch9wavefront6targetE1EEEvSY_
	.p2align	8
	.type	_ZN7rocprim17ROCPRIM_400000_NS6detail17trampoline_kernelINS0_13select_configILj256ELj13ELNS0_17block_load_methodE3ELS4_3ELS4_3ELNS0_20block_scan_algorithmE0ELj4294967295EEENS1_25partition_config_selectorILNS1_17partition_subalgoE3EjNS0_10empty_typeEbEEZZNS1_14partition_implILS8_3ELb0ES6_jNS0_17counting_iteratorIjlEEPS9_SE_NS0_5tupleIJPjSE_EEENSF_IJSE_SE_EEES9_SG_JZNS1_25segmented_radix_sort_implINS0_14default_configELb0EPKaPaPKlPlN2at6native12_GLOBAL__N_18offset_tEEE10hipError_tPvRmT1_PNSt15iterator_traitsISY_E10value_typeET2_T3_PNSZ_IS14_E10value_typeET4_jRbjT5_S1A_jjP12ihipStream_tbEUljE_EEESV_SW_SX_S14_S18_S1A_T6_T7_T9_mT8_S1C_bDpT10_ENKUlT_T0_E_clISt17integral_constantIbLb0EES1P_EEDaS1K_S1L_EUlS1K_E_NS1_11comp_targetILNS1_3genE3ELNS1_11target_archE908ELNS1_3gpuE7ELNS1_3repE0EEENS1_30default_config_static_selectorELNS0_4arch9wavefront6targetE1EEEvSY_,@function
_ZN7rocprim17ROCPRIM_400000_NS6detail17trampoline_kernelINS0_13select_configILj256ELj13ELNS0_17block_load_methodE3ELS4_3ELS4_3ELNS0_20block_scan_algorithmE0ELj4294967295EEENS1_25partition_config_selectorILNS1_17partition_subalgoE3EjNS0_10empty_typeEbEEZZNS1_14partition_implILS8_3ELb0ES6_jNS0_17counting_iteratorIjlEEPS9_SE_NS0_5tupleIJPjSE_EEENSF_IJSE_SE_EEES9_SG_JZNS1_25segmented_radix_sort_implINS0_14default_configELb0EPKaPaPKlPlN2at6native12_GLOBAL__N_18offset_tEEE10hipError_tPvRmT1_PNSt15iterator_traitsISY_E10value_typeET2_T3_PNSZ_IS14_E10value_typeET4_jRbjT5_S1A_jjP12ihipStream_tbEUljE_EEESV_SW_SX_S14_S18_S1A_T6_T7_T9_mT8_S1C_bDpT10_ENKUlT_T0_E_clISt17integral_constantIbLb0EES1P_EEDaS1K_S1L_EUlS1K_E_NS1_11comp_targetILNS1_3genE3ELNS1_11target_archE908ELNS1_3gpuE7ELNS1_3repE0EEENS1_30default_config_static_selectorELNS0_4arch9wavefront6targetE1EEEvSY_: ; @_ZN7rocprim17ROCPRIM_400000_NS6detail17trampoline_kernelINS0_13select_configILj256ELj13ELNS0_17block_load_methodE3ELS4_3ELS4_3ELNS0_20block_scan_algorithmE0ELj4294967295EEENS1_25partition_config_selectorILNS1_17partition_subalgoE3EjNS0_10empty_typeEbEEZZNS1_14partition_implILS8_3ELb0ES6_jNS0_17counting_iteratorIjlEEPS9_SE_NS0_5tupleIJPjSE_EEENSF_IJSE_SE_EEES9_SG_JZNS1_25segmented_radix_sort_implINS0_14default_configELb0EPKaPaPKlPlN2at6native12_GLOBAL__N_18offset_tEEE10hipError_tPvRmT1_PNSt15iterator_traitsISY_E10value_typeET2_T3_PNSZ_IS14_E10value_typeET4_jRbjT5_S1A_jjP12ihipStream_tbEUljE_EEESV_SW_SX_S14_S18_S1A_T6_T7_T9_mT8_S1C_bDpT10_ENKUlT_T0_E_clISt17integral_constantIbLb0EES1P_EEDaS1K_S1L_EUlS1K_E_NS1_11comp_targetILNS1_3genE3ELNS1_11target_archE908ELNS1_3gpuE7ELNS1_3repE0EEENS1_30default_config_static_selectorELNS0_4arch9wavefront6targetE1EEEvSY_
; %bb.0:
	.section	.rodata,"a",@progbits
	.p2align	6, 0x0
	.amdhsa_kernel _ZN7rocprim17ROCPRIM_400000_NS6detail17trampoline_kernelINS0_13select_configILj256ELj13ELNS0_17block_load_methodE3ELS4_3ELS4_3ELNS0_20block_scan_algorithmE0ELj4294967295EEENS1_25partition_config_selectorILNS1_17partition_subalgoE3EjNS0_10empty_typeEbEEZZNS1_14partition_implILS8_3ELb0ES6_jNS0_17counting_iteratorIjlEEPS9_SE_NS0_5tupleIJPjSE_EEENSF_IJSE_SE_EEES9_SG_JZNS1_25segmented_radix_sort_implINS0_14default_configELb0EPKaPaPKlPlN2at6native12_GLOBAL__N_18offset_tEEE10hipError_tPvRmT1_PNSt15iterator_traitsISY_E10value_typeET2_T3_PNSZ_IS14_E10value_typeET4_jRbjT5_S1A_jjP12ihipStream_tbEUljE_EEESV_SW_SX_S14_S18_S1A_T6_T7_T9_mT8_S1C_bDpT10_ENKUlT_T0_E_clISt17integral_constantIbLb0EES1P_EEDaS1K_S1L_EUlS1K_E_NS1_11comp_targetILNS1_3genE3ELNS1_11target_archE908ELNS1_3gpuE7ELNS1_3repE0EEENS1_30default_config_static_selectorELNS0_4arch9wavefront6targetE1EEEvSY_
		.amdhsa_group_segment_fixed_size 0
		.amdhsa_private_segment_fixed_size 0
		.amdhsa_kernarg_size 144
		.amdhsa_user_sgpr_count 6
		.amdhsa_user_sgpr_private_segment_buffer 1
		.amdhsa_user_sgpr_dispatch_ptr 0
		.amdhsa_user_sgpr_queue_ptr 0
		.amdhsa_user_sgpr_kernarg_segment_ptr 1
		.amdhsa_user_sgpr_dispatch_id 0
		.amdhsa_user_sgpr_flat_scratch_init 0
		.amdhsa_user_sgpr_private_segment_size 0
		.amdhsa_uses_dynamic_stack 0
		.amdhsa_system_sgpr_private_segment_wavefront_offset 0
		.amdhsa_system_sgpr_workgroup_id_x 1
		.amdhsa_system_sgpr_workgroup_id_y 0
		.amdhsa_system_sgpr_workgroup_id_z 0
		.amdhsa_system_sgpr_workgroup_info 0
		.amdhsa_system_vgpr_workitem_id 0
		.amdhsa_next_free_vgpr 1
		.amdhsa_next_free_sgpr 0
		.amdhsa_reserve_vcc 0
		.amdhsa_reserve_flat_scratch 0
		.amdhsa_float_round_mode_32 0
		.amdhsa_float_round_mode_16_64 0
		.amdhsa_float_denorm_mode_32 3
		.amdhsa_float_denorm_mode_16_64 3
		.amdhsa_dx10_clamp 1
		.amdhsa_ieee_mode 1
		.amdhsa_fp16_overflow 0
		.amdhsa_exception_fp_ieee_invalid_op 0
		.amdhsa_exception_fp_denorm_src 0
		.amdhsa_exception_fp_ieee_div_zero 0
		.amdhsa_exception_fp_ieee_overflow 0
		.amdhsa_exception_fp_ieee_underflow 0
		.amdhsa_exception_fp_ieee_inexact 0
		.amdhsa_exception_int_div_zero 0
	.end_amdhsa_kernel
	.section	.text._ZN7rocprim17ROCPRIM_400000_NS6detail17trampoline_kernelINS0_13select_configILj256ELj13ELNS0_17block_load_methodE3ELS4_3ELS4_3ELNS0_20block_scan_algorithmE0ELj4294967295EEENS1_25partition_config_selectorILNS1_17partition_subalgoE3EjNS0_10empty_typeEbEEZZNS1_14partition_implILS8_3ELb0ES6_jNS0_17counting_iteratorIjlEEPS9_SE_NS0_5tupleIJPjSE_EEENSF_IJSE_SE_EEES9_SG_JZNS1_25segmented_radix_sort_implINS0_14default_configELb0EPKaPaPKlPlN2at6native12_GLOBAL__N_18offset_tEEE10hipError_tPvRmT1_PNSt15iterator_traitsISY_E10value_typeET2_T3_PNSZ_IS14_E10value_typeET4_jRbjT5_S1A_jjP12ihipStream_tbEUljE_EEESV_SW_SX_S14_S18_S1A_T6_T7_T9_mT8_S1C_bDpT10_ENKUlT_T0_E_clISt17integral_constantIbLb0EES1P_EEDaS1K_S1L_EUlS1K_E_NS1_11comp_targetILNS1_3genE3ELNS1_11target_archE908ELNS1_3gpuE7ELNS1_3repE0EEENS1_30default_config_static_selectorELNS0_4arch9wavefront6targetE1EEEvSY_,"axG",@progbits,_ZN7rocprim17ROCPRIM_400000_NS6detail17trampoline_kernelINS0_13select_configILj256ELj13ELNS0_17block_load_methodE3ELS4_3ELS4_3ELNS0_20block_scan_algorithmE0ELj4294967295EEENS1_25partition_config_selectorILNS1_17partition_subalgoE3EjNS0_10empty_typeEbEEZZNS1_14partition_implILS8_3ELb0ES6_jNS0_17counting_iteratorIjlEEPS9_SE_NS0_5tupleIJPjSE_EEENSF_IJSE_SE_EEES9_SG_JZNS1_25segmented_radix_sort_implINS0_14default_configELb0EPKaPaPKlPlN2at6native12_GLOBAL__N_18offset_tEEE10hipError_tPvRmT1_PNSt15iterator_traitsISY_E10value_typeET2_T3_PNSZ_IS14_E10value_typeET4_jRbjT5_S1A_jjP12ihipStream_tbEUljE_EEESV_SW_SX_S14_S18_S1A_T6_T7_T9_mT8_S1C_bDpT10_ENKUlT_T0_E_clISt17integral_constantIbLb0EES1P_EEDaS1K_S1L_EUlS1K_E_NS1_11comp_targetILNS1_3genE3ELNS1_11target_archE908ELNS1_3gpuE7ELNS1_3repE0EEENS1_30default_config_static_selectorELNS0_4arch9wavefront6targetE1EEEvSY_,comdat
.Lfunc_end364:
	.size	_ZN7rocprim17ROCPRIM_400000_NS6detail17trampoline_kernelINS0_13select_configILj256ELj13ELNS0_17block_load_methodE3ELS4_3ELS4_3ELNS0_20block_scan_algorithmE0ELj4294967295EEENS1_25partition_config_selectorILNS1_17partition_subalgoE3EjNS0_10empty_typeEbEEZZNS1_14partition_implILS8_3ELb0ES6_jNS0_17counting_iteratorIjlEEPS9_SE_NS0_5tupleIJPjSE_EEENSF_IJSE_SE_EEES9_SG_JZNS1_25segmented_radix_sort_implINS0_14default_configELb0EPKaPaPKlPlN2at6native12_GLOBAL__N_18offset_tEEE10hipError_tPvRmT1_PNSt15iterator_traitsISY_E10value_typeET2_T3_PNSZ_IS14_E10value_typeET4_jRbjT5_S1A_jjP12ihipStream_tbEUljE_EEESV_SW_SX_S14_S18_S1A_T6_T7_T9_mT8_S1C_bDpT10_ENKUlT_T0_E_clISt17integral_constantIbLb0EES1P_EEDaS1K_S1L_EUlS1K_E_NS1_11comp_targetILNS1_3genE3ELNS1_11target_archE908ELNS1_3gpuE7ELNS1_3repE0EEENS1_30default_config_static_selectorELNS0_4arch9wavefront6targetE1EEEvSY_, .Lfunc_end364-_ZN7rocprim17ROCPRIM_400000_NS6detail17trampoline_kernelINS0_13select_configILj256ELj13ELNS0_17block_load_methodE3ELS4_3ELS4_3ELNS0_20block_scan_algorithmE0ELj4294967295EEENS1_25partition_config_selectorILNS1_17partition_subalgoE3EjNS0_10empty_typeEbEEZZNS1_14partition_implILS8_3ELb0ES6_jNS0_17counting_iteratorIjlEEPS9_SE_NS0_5tupleIJPjSE_EEENSF_IJSE_SE_EEES9_SG_JZNS1_25segmented_radix_sort_implINS0_14default_configELb0EPKaPaPKlPlN2at6native12_GLOBAL__N_18offset_tEEE10hipError_tPvRmT1_PNSt15iterator_traitsISY_E10value_typeET2_T3_PNSZ_IS14_E10value_typeET4_jRbjT5_S1A_jjP12ihipStream_tbEUljE_EEESV_SW_SX_S14_S18_S1A_T6_T7_T9_mT8_S1C_bDpT10_ENKUlT_T0_E_clISt17integral_constantIbLb0EES1P_EEDaS1K_S1L_EUlS1K_E_NS1_11comp_targetILNS1_3genE3ELNS1_11target_archE908ELNS1_3gpuE7ELNS1_3repE0EEENS1_30default_config_static_selectorELNS0_4arch9wavefront6targetE1EEEvSY_
                                        ; -- End function
	.set _ZN7rocprim17ROCPRIM_400000_NS6detail17trampoline_kernelINS0_13select_configILj256ELj13ELNS0_17block_load_methodE3ELS4_3ELS4_3ELNS0_20block_scan_algorithmE0ELj4294967295EEENS1_25partition_config_selectorILNS1_17partition_subalgoE3EjNS0_10empty_typeEbEEZZNS1_14partition_implILS8_3ELb0ES6_jNS0_17counting_iteratorIjlEEPS9_SE_NS0_5tupleIJPjSE_EEENSF_IJSE_SE_EEES9_SG_JZNS1_25segmented_radix_sort_implINS0_14default_configELb0EPKaPaPKlPlN2at6native12_GLOBAL__N_18offset_tEEE10hipError_tPvRmT1_PNSt15iterator_traitsISY_E10value_typeET2_T3_PNSZ_IS14_E10value_typeET4_jRbjT5_S1A_jjP12ihipStream_tbEUljE_EEESV_SW_SX_S14_S18_S1A_T6_T7_T9_mT8_S1C_bDpT10_ENKUlT_T0_E_clISt17integral_constantIbLb0EES1P_EEDaS1K_S1L_EUlS1K_E_NS1_11comp_targetILNS1_3genE3ELNS1_11target_archE908ELNS1_3gpuE7ELNS1_3repE0EEENS1_30default_config_static_selectorELNS0_4arch9wavefront6targetE1EEEvSY_.num_vgpr, 0
	.set _ZN7rocprim17ROCPRIM_400000_NS6detail17trampoline_kernelINS0_13select_configILj256ELj13ELNS0_17block_load_methodE3ELS4_3ELS4_3ELNS0_20block_scan_algorithmE0ELj4294967295EEENS1_25partition_config_selectorILNS1_17partition_subalgoE3EjNS0_10empty_typeEbEEZZNS1_14partition_implILS8_3ELb0ES6_jNS0_17counting_iteratorIjlEEPS9_SE_NS0_5tupleIJPjSE_EEENSF_IJSE_SE_EEES9_SG_JZNS1_25segmented_radix_sort_implINS0_14default_configELb0EPKaPaPKlPlN2at6native12_GLOBAL__N_18offset_tEEE10hipError_tPvRmT1_PNSt15iterator_traitsISY_E10value_typeET2_T3_PNSZ_IS14_E10value_typeET4_jRbjT5_S1A_jjP12ihipStream_tbEUljE_EEESV_SW_SX_S14_S18_S1A_T6_T7_T9_mT8_S1C_bDpT10_ENKUlT_T0_E_clISt17integral_constantIbLb0EES1P_EEDaS1K_S1L_EUlS1K_E_NS1_11comp_targetILNS1_3genE3ELNS1_11target_archE908ELNS1_3gpuE7ELNS1_3repE0EEENS1_30default_config_static_selectorELNS0_4arch9wavefront6targetE1EEEvSY_.num_agpr, 0
	.set _ZN7rocprim17ROCPRIM_400000_NS6detail17trampoline_kernelINS0_13select_configILj256ELj13ELNS0_17block_load_methodE3ELS4_3ELS4_3ELNS0_20block_scan_algorithmE0ELj4294967295EEENS1_25partition_config_selectorILNS1_17partition_subalgoE3EjNS0_10empty_typeEbEEZZNS1_14partition_implILS8_3ELb0ES6_jNS0_17counting_iteratorIjlEEPS9_SE_NS0_5tupleIJPjSE_EEENSF_IJSE_SE_EEES9_SG_JZNS1_25segmented_radix_sort_implINS0_14default_configELb0EPKaPaPKlPlN2at6native12_GLOBAL__N_18offset_tEEE10hipError_tPvRmT1_PNSt15iterator_traitsISY_E10value_typeET2_T3_PNSZ_IS14_E10value_typeET4_jRbjT5_S1A_jjP12ihipStream_tbEUljE_EEESV_SW_SX_S14_S18_S1A_T6_T7_T9_mT8_S1C_bDpT10_ENKUlT_T0_E_clISt17integral_constantIbLb0EES1P_EEDaS1K_S1L_EUlS1K_E_NS1_11comp_targetILNS1_3genE3ELNS1_11target_archE908ELNS1_3gpuE7ELNS1_3repE0EEENS1_30default_config_static_selectorELNS0_4arch9wavefront6targetE1EEEvSY_.numbered_sgpr, 0
	.set _ZN7rocprim17ROCPRIM_400000_NS6detail17trampoline_kernelINS0_13select_configILj256ELj13ELNS0_17block_load_methodE3ELS4_3ELS4_3ELNS0_20block_scan_algorithmE0ELj4294967295EEENS1_25partition_config_selectorILNS1_17partition_subalgoE3EjNS0_10empty_typeEbEEZZNS1_14partition_implILS8_3ELb0ES6_jNS0_17counting_iteratorIjlEEPS9_SE_NS0_5tupleIJPjSE_EEENSF_IJSE_SE_EEES9_SG_JZNS1_25segmented_radix_sort_implINS0_14default_configELb0EPKaPaPKlPlN2at6native12_GLOBAL__N_18offset_tEEE10hipError_tPvRmT1_PNSt15iterator_traitsISY_E10value_typeET2_T3_PNSZ_IS14_E10value_typeET4_jRbjT5_S1A_jjP12ihipStream_tbEUljE_EEESV_SW_SX_S14_S18_S1A_T6_T7_T9_mT8_S1C_bDpT10_ENKUlT_T0_E_clISt17integral_constantIbLb0EES1P_EEDaS1K_S1L_EUlS1K_E_NS1_11comp_targetILNS1_3genE3ELNS1_11target_archE908ELNS1_3gpuE7ELNS1_3repE0EEENS1_30default_config_static_selectorELNS0_4arch9wavefront6targetE1EEEvSY_.num_named_barrier, 0
	.set _ZN7rocprim17ROCPRIM_400000_NS6detail17trampoline_kernelINS0_13select_configILj256ELj13ELNS0_17block_load_methodE3ELS4_3ELS4_3ELNS0_20block_scan_algorithmE0ELj4294967295EEENS1_25partition_config_selectorILNS1_17partition_subalgoE3EjNS0_10empty_typeEbEEZZNS1_14partition_implILS8_3ELb0ES6_jNS0_17counting_iteratorIjlEEPS9_SE_NS0_5tupleIJPjSE_EEENSF_IJSE_SE_EEES9_SG_JZNS1_25segmented_radix_sort_implINS0_14default_configELb0EPKaPaPKlPlN2at6native12_GLOBAL__N_18offset_tEEE10hipError_tPvRmT1_PNSt15iterator_traitsISY_E10value_typeET2_T3_PNSZ_IS14_E10value_typeET4_jRbjT5_S1A_jjP12ihipStream_tbEUljE_EEESV_SW_SX_S14_S18_S1A_T6_T7_T9_mT8_S1C_bDpT10_ENKUlT_T0_E_clISt17integral_constantIbLb0EES1P_EEDaS1K_S1L_EUlS1K_E_NS1_11comp_targetILNS1_3genE3ELNS1_11target_archE908ELNS1_3gpuE7ELNS1_3repE0EEENS1_30default_config_static_selectorELNS0_4arch9wavefront6targetE1EEEvSY_.private_seg_size, 0
	.set _ZN7rocprim17ROCPRIM_400000_NS6detail17trampoline_kernelINS0_13select_configILj256ELj13ELNS0_17block_load_methodE3ELS4_3ELS4_3ELNS0_20block_scan_algorithmE0ELj4294967295EEENS1_25partition_config_selectorILNS1_17partition_subalgoE3EjNS0_10empty_typeEbEEZZNS1_14partition_implILS8_3ELb0ES6_jNS0_17counting_iteratorIjlEEPS9_SE_NS0_5tupleIJPjSE_EEENSF_IJSE_SE_EEES9_SG_JZNS1_25segmented_radix_sort_implINS0_14default_configELb0EPKaPaPKlPlN2at6native12_GLOBAL__N_18offset_tEEE10hipError_tPvRmT1_PNSt15iterator_traitsISY_E10value_typeET2_T3_PNSZ_IS14_E10value_typeET4_jRbjT5_S1A_jjP12ihipStream_tbEUljE_EEESV_SW_SX_S14_S18_S1A_T6_T7_T9_mT8_S1C_bDpT10_ENKUlT_T0_E_clISt17integral_constantIbLb0EES1P_EEDaS1K_S1L_EUlS1K_E_NS1_11comp_targetILNS1_3genE3ELNS1_11target_archE908ELNS1_3gpuE7ELNS1_3repE0EEENS1_30default_config_static_selectorELNS0_4arch9wavefront6targetE1EEEvSY_.uses_vcc, 0
	.set _ZN7rocprim17ROCPRIM_400000_NS6detail17trampoline_kernelINS0_13select_configILj256ELj13ELNS0_17block_load_methodE3ELS4_3ELS4_3ELNS0_20block_scan_algorithmE0ELj4294967295EEENS1_25partition_config_selectorILNS1_17partition_subalgoE3EjNS0_10empty_typeEbEEZZNS1_14partition_implILS8_3ELb0ES6_jNS0_17counting_iteratorIjlEEPS9_SE_NS0_5tupleIJPjSE_EEENSF_IJSE_SE_EEES9_SG_JZNS1_25segmented_radix_sort_implINS0_14default_configELb0EPKaPaPKlPlN2at6native12_GLOBAL__N_18offset_tEEE10hipError_tPvRmT1_PNSt15iterator_traitsISY_E10value_typeET2_T3_PNSZ_IS14_E10value_typeET4_jRbjT5_S1A_jjP12ihipStream_tbEUljE_EEESV_SW_SX_S14_S18_S1A_T6_T7_T9_mT8_S1C_bDpT10_ENKUlT_T0_E_clISt17integral_constantIbLb0EES1P_EEDaS1K_S1L_EUlS1K_E_NS1_11comp_targetILNS1_3genE3ELNS1_11target_archE908ELNS1_3gpuE7ELNS1_3repE0EEENS1_30default_config_static_selectorELNS0_4arch9wavefront6targetE1EEEvSY_.uses_flat_scratch, 0
	.set _ZN7rocprim17ROCPRIM_400000_NS6detail17trampoline_kernelINS0_13select_configILj256ELj13ELNS0_17block_load_methodE3ELS4_3ELS4_3ELNS0_20block_scan_algorithmE0ELj4294967295EEENS1_25partition_config_selectorILNS1_17partition_subalgoE3EjNS0_10empty_typeEbEEZZNS1_14partition_implILS8_3ELb0ES6_jNS0_17counting_iteratorIjlEEPS9_SE_NS0_5tupleIJPjSE_EEENSF_IJSE_SE_EEES9_SG_JZNS1_25segmented_radix_sort_implINS0_14default_configELb0EPKaPaPKlPlN2at6native12_GLOBAL__N_18offset_tEEE10hipError_tPvRmT1_PNSt15iterator_traitsISY_E10value_typeET2_T3_PNSZ_IS14_E10value_typeET4_jRbjT5_S1A_jjP12ihipStream_tbEUljE_EEESV_SW_SX_S14_S18_S1A_T6_T7_T9_mT8_S1C_bDpT10_ENKUlT_T0_E_clISt17integral_constantIbLb0EES1P_EEDaS1K_S1L_EUlS1K_E_NS1_11comp_targetILNS1_3genE3ELNS1_11target_archE908ELNS1_3gpuE7ELNS1_3repE0EEENS1_30default_config_static_selectorELNS0_4arch9wavefront6targetE1EEEvSY_.has_dyn_sized_stack, 0
	.set _ZN7rocprim17ROCPRIM_400000_NS6detail17trampoline_kernelINS0_13select_configILj256ELj13ELNS0_17block_load_methodE3ELS4_3ELS4_3ELNS0_20block_scan_algorithmE0ELj4294967295EEENS1_25partition_config_selectorILNS1_17partition_subalgoE3EjNS0_10empty_typeEbEEZZNS1_14partition_implILS8_3ELb0ES6_jNS0_17counting_iteratorIjlEEPS9_SE_NS0_5tupleIJPjSE_EEENSF_IJSE_SE_EEES9_SG_JZNS1_25segmented_radix_sort_implINS0_14default_configELb0EPKaPaPKlPlN2at6native12_GLOBAL__N_18offset_tEEE10hipError_tPvRmT1_PNSt15iterator_traitsISY_E10value_typeET2_T3_PNSZ_IS14_E10value_typeET4_jRbjT5_S1A_jjP12ihipStream_tbEUljE_EEESV_SW_SX_S14_S18_S1A_T6_T7_T9_mT8_S1C_bDpT10_ENKUlT_T0_E_clISt17integral_constantIbLb0EES1P_EEDaS1K_S1L_EUlS1K_E_NS1_11comp_targetILNS1_3genE3ELNS1_11target_archE908ELNS1_3gpuE7ELNS1_3repE0EEENS1_30default_config_static_selectorELNS0_4arch9wavefront6targetE1EEEvSY_.has_recursion, 0
	.set _ZN7rocprim17ROCPRIM_400000_NS6detail17trampoline_kernelINS0_13select_configILj256ELj13ELNS0_17block_load_methodE3ELS4_3ELS4_3ELNS0_20block_scan_algorithmE0ELj4294967295EEENS1_25partition_config_selectorILNS1_17partition_subalgoE3EjNS0_10empty_typeEbEEZZNS1_14partition_implILS8_3ELb0ES6_jNS0_17counting_iteratorIjlEEPS9_SE_NS0_5tupleIJPjSE_EEENSF_IJSE_SE_EEES9_SG_JZNS1_25segmented_radix_sort_implINS0_14default_configELb0EPKaPaPKlPlN2at6native12_GLOBAL__N_18offset_tEEE10hipError_tPvRmT1_PNSt15iterator_traitsISY_E10value_typeET2_T3_PNSZ_IS14_E10value_typeET4_jRbjT5_S1A_jjP12ihipStream_tbEUljE_EEESV_SW_SX_S14_S18_S1A_T6_T7_T9_mT8_S1C_bDpT10_ENKUlT_T0_E_clISt17integral_constantIbLb0EES1P_EEDaS1K_S1L_EUlS1K_E_NS1_11comp_targetILNS1_3genE3ELNS1_11target_archE908ELNS1_3gpuE7ELNS1_3repE0EEENS1_30default_config_static_selectorELNS0_4arch9wavefront6targetE1EEEvSY_.has_indirect_call, 0
	.section	.AMDGPU.csdata,"",@progbits
; Kernel info:
; codeLenInByte = 0
; TotalNumSgprs: 4
; NumVgprs: 0
; ScratchSize: 0
; MemoryBound: 0
; FloatMode: 240
; IeeeMode: 1
; LDSByteSize: 0 bytes/workgroup (compile time only)
; SGPRBlocks: 0
; VGPRBlocks: 0
; NumSGPRsForWavesPerEU: 4
; NumVGPRsForWavesPerEU: 1
; Occupancy: 10
; WaveLimiterHint : 0
; COMPUTE_PGM_RSRC2:SCRATCH_EN: 0
; COMPUTE_PGM_RSRC2:USER_SGPR: 6
; COMPUTE_PGM_RSRC2:TRAP_HANDLER: 0
; COMPUTE_PGM_RSRC2:TGID_X_EN: 1
; COMPUTE_PGM_RSRC2:TGID_Y_EN: 0
; COMPUTE_PGM_RSRC2:TGID_Z_EN: 0
; COMPUTE_PGM_RSRC2:TIDIG_COMP_CNT: 0
	.section	.text._ZN7rocprim17ROCPRIM_400000_NS6detail17trampoline_kernelINS0_13select_configILj256ELj13ELNS0_17block_load_methodE3ELS4_3ELS4_3ELNS0_20block_scan_algorithmE0ELj4294967295EEENS1_25partition_config_selectorILNS1_17partition_subalgoE3EjNS0_10empty_typeEbEEZZNS1_14partition_implILS8_3ELb0ES6_jNS0_17counting_iteratorIjlEEPS9_SE_NS0_5tupleIJPjSE_EEENSF_IJSE_SE_EEES9_SG_JZNS1_25segmented_radix_sort_implINS0_14default_configELb0EPKaPaPKlPlN2at6native12_GLOBAL__N_18offset_tEEE10hipError_tPvRmT1_PNSt15iterator_traitsISY_E10value_typeET2_T3_PNSZ_IS14_E10value_typeET4_jRbjT5_S1A_jjP12ihipStream_tbEUljE_EEESV_SW_SX_S14_S18_S1A_T6_T7_T9_mT8_S1C_bDpT10_ENKUlT_T0_E_clISt17integral_constantIbLb0EES1P_EEDaS1K_S1L_EUlS1K_E_NS1_11comp_targetILNS1_3genE2ELNS1_11target_archE906ELNS1_3gpuE6ELNS1_3repE0EEENS1_30default_config_static_selectorELNS0_4arch9wavefront6targetE1EEEvSY_,"axG",@progbits,_ZN7rocprim17ROCPRIM_400000_NS6detail17trampoline_kernelINS0_13select_configILj256ELj13ELNS0_17block_load_methodE3ELS4_3ELS4_3ELNS0_20block_scan_algorithmE0ELj4294967295EEENS1_25partition_config_selectorILNS1_17partition_subalgoE3EjNS0_10empty_typeEbEEZZNS1_14partition_implILS8_3ELb0ES6_jNS0_17counting_iteratorIjlEEPS9_SE_NS0_5tupleIJPjSE_EEENSF_IJSE_SE_EEES9_SG_JZNS1_25segmented_radix_sort_implINS0_14default_configELb0EPKaPaPKlPlN2at6native12_GLOBAL__N_18offset_tEEE10hipError_tPvRmT1_PNSt15iterator_traitsISY_E10value_typeET2_T3_PNSZ_IS14_E10value_typeET4_jRbjT5_S1A_jjP12ihipStream_tbEUljE_EEESV_SW_SX_S14_S18_S1A_T6_T7_T9_mT8_S1C_bDpT10_ENKUlT_T0_E_clISt17integral_constantIbLb0EES1P_EEDaS1K_S1L_EUlS1K_E_NS1_11comp_targetILNS1_3genE2ELNS1_11target_archE906ELNS1_3gpuE6ELNS1_3repE0EEENS1_30default_config_static_selectorELNS0_4arch9wavefront6targetE1EEEvSY_,comdat
	.globl	_ZN7rocprim17ROCPRIM_400000_NS6detail17trampoline_kernelINS0_13select_configILj256ELj13ELNS0_17block_load_methodE3ELS4_3ELS4_3ELNS0_20block_scan_algorithmE0ELj4294967295EEENS1_25partition_config_selectorILNS1_17partition_subalgoE3EjNS0_10empty_typeEbEEZZNS1_14partition_implILS8_3ELb0ES6_jNS0_17counting_iteratorIjlEEPS9_SE_NS0_5tupleIJPjSE_EEENSF_IJSE_SE_EEES9_SG_JZNS1_25segmented_radix_sort_implINS0_14default_configELb0EPKaPaPKlPlN2at6native12_GLOBAL__N_18offset_tEEE10hipError_tPvRmT1_PNSt15iterator_traitsISY_E10value_typeET2_T3_PNSZ_IS14_E10value_typeET4_jRbjT5_S1A_jjP12ihipStream_tbEUljE_EEESV_SW_SX_S14_S18_S1A_T6_T7_T9_mT8_S1C_bDpT10_ENKUlT_T0_E_clISt17integral_constantIbLb0EES1P_EEDaS1K_S1L_EUlS1K_E_NS1_11comp_targetILNS1_3genE2ELNS1_11target_archE906ELNS1_3gpuE6ELNS1_3repE0EEENS1_30default_config_static_selectorELNS0_4arch9wavefront6targetE1EEEvSY_ ; -- Begin function _ZN7rocprim17ROCPRIM_400000_NS6detail17trampoline_kernelINS0_13select_configILj256ELj13ELNS0_17block_load_methodE3ELS4_3ELS4_3ELNS0_20block_scan_algorithmE0ELj4294967295EEENS1_25partition_config_selectorILNS1_17partition_subalgoE3EjNS0_10empty_typeEbEEZZNS1_14partition_implILS8_3ELb0ES6_jNS0_17counting_iteratorIjlEEPS9_SE_NS0_5tupleIJPjSE_EEENSF_IJSE_SE_EEES9_SG_JZNS1_25segmented_radix_sort_implINS0_14default_configELb0EPKaPaPKlPlN2at6native12_GLOBAL__N_18offset_tEEE10hipError_tPvRmT1_PNSt15iterator_traitsISY_E10value_typeET2_T3_PNSZ_IS14_E10value_typeET4_jRbjT5_S1A_jjP12ihipStream_tbEUljE_EEESV_SW_SX_S14_S18_S1A_T6_T7_T9_mT8_S1C_bDpT10_ENKUlT_T0_E_clISt17integral_constantIbLb0EES1P_EEDaS1K_S1L_EUlS1K_E_NS1_11comp_targetILNS1_3genE2ELNS1_11target_archE906ELNS1_3gpuE6ELNS1_3repE0EEENS1_30default_config_static_selectorELNS0_4arch9wavefront6targetE1EEEvSY_
	.p2align	8
	.type	_ZN7rocprim17ROCPRIM_400000_NS6detail17trampoline_kernelINS0_13select_configILj256ELj13ELNS0_17block_load_methodE3ELS4_3ELS4_3ELNS0_20block_scan_algorithmE0ELj4294967295EEENS1_25partition_config_selectorILNS1_17partition_subalgoE3EjNS0_10empty_typeEbEEZZNS1_14partition_implILS8_3ELb0ES6_jNS0_17counting_iteratorIjlEEPS9_SE_NS0_5tupleIJPjSE_EEENSF_IJSE_SE_EEES9_SG_JZNS1_25segmented_radix_sort_implINS0_14default_configELb0EPKaPaPKlPlN2at6native12_GLOBAL__N_18offset_tEEE10hipError_tPvRmT1_PNSt15iterator_traitsISY_E10value_typeET2_T3_PNSZ_IS14_E10value_typeET4_jRbjT5_S1A_jjP12ihipStream_tbEUljE_EEESV_SW_SX_S14_S18_S1A_T6_T7_T9_mT8_S1C_bDpT10_ENKUlT_T0_E_clISt17integral_constantIbLb0EES1P_EEDaS1K_S1L_EUlS1K_E_NS1_11comp_targetILNS1_3genE2ELNS1_11target_archE906ELNS1_3gpuE6ELNS1_3repE0EEENS1_30default_config_static_selectorELNS0_4arch9wavefront6targetE1EEEvSY_,@function
_ZN7rocprim17ROCPRIM_400000_NS6detail17trampoline_kernelINS0_13select_configILj256ELj13ELNS0_17block_load_methodE3ELS4_3ELS4_3ELNS0_20block_scan_algorithmE0ELj4294967295EEENS1_25partition_config_selectorILNS1_17partition_subalgoE3EjNS0_10empty_typeEbEEZZNS1_14partition_implILS8_3ELb0ES6_jNS0_17counting_iteratorIjlEEPS9_SE_NS0_5tupleIJPjSE_EEENSF_IJSE_SE_EEES9_SG_JZNS1_25segmented_radix_sort_implINS0_14default_configELb0EPKaPaPKlPlN2at6native12_GLOBAL__N_18offset_tEEE10hipError_tPvRmT1_PNSt15iterator_traitsISY_E10value_typeET2_T3_PNSZ_IS14_E10value_typeET4_jRbjT5_S1A_jjP12ihipStream_tbEUljE_EEESV_SW_SX_S14_S18_S1A_T6_T7_T9_mT8_S1C_bDpT10_ENKUlT_T0_E_clISt17integral_constantIbLb0EES1P_EEDaS1K_S1L_EUlS1K_E_NS1_11comp_targetILNS1_3genE2ELNS1_11target_archE906ELNS1_3gpuE6ELNS1_3repE0EEENS1_30default_config_static_selectorELNS0_4arch9wavefront6targetE1EEEvSY_: ; @_ZN7rocprim17ROCPRIM_400000_NS6detail17trampoline_kernelINS0_13select_configILj256ELj13ELNS0_17block_load_methodE3ELS4_3ELS4_3ELNS0_20block_scan_algorithmE0ELj4294967295EEENS1_25partition_config_selectorILNS1_17partition_subalgoE3EjNS0_10empty_typeEbEEZZNS1_14partition_implILS8_3ELb0ES6_jNS0_17counting_iteratorIjlEEPS9_SE_NS0_5tupleIJPjSE_EEENSF_IJSE_SE_EEES9_SG_JZNS1_25segmented_radix_sort_implINS0_14default_configELb0EPKaPaPKlPlN2at6native12_GLOBAL__N_18offset_tEEE10hipError_tPvRmT1_PNSt15iterator_traitsISY_E10value_typeET2_T3_PNSZ_IS14_E10value_typeET4_jRbjT5_S1A_jjP12ihipStream_tbEUljE_EEESV_SW_SX_S14_S18_S1A_T6_T7_T9_mT8_S1C_bDpT10_ENKUlT_T0_E_clISt17integral_constantIbLb0EES1P_EEDaS1K_S1L_EUlS1K_E_NS1_11comp_targetILNS1_3genE2ELNS1_11target_archE906ELNS1_3gpuE6ELNS1_3repE0EEENS1_30default_config_static_selectorELNS0_4arch9wavefront6targetE1EEEvSY_
; %bb.0:
	s_load_dwordx2 s[28:29], s[4:5], 0x58
	s_load_dwordx4 s[24:27], s[4:5], 0x48
	s_load_dword s12, s[4:5], 0x8
	s_load_dwordx2 s[30:31], s[4:5], 0x10
	s_load_dword s0, s[4:5], 0x70
	s_load_dword s7, s[4:5], 0x88
	s_load_dwordx4 s[8:11], s[4:5], 0x78
	s_waitcnt lgkmcnt(0)
	s_load_dwordx2 s[34:35], s[26:27], 0x0
	s_mul_i32 s44, s6, 0xd00
	s_add_i32 s2, s0, -1
	s_mulk_i32 s0, 0xd00
	s_add_i32 s1, s0, s30
	s_sub_i32 s33, s28, s1
	s_addk_i32 s33, 0xd00
	s_add_u32 s0, s30, s0
	s_addc_u32 s1, s31, 0
	v_mov_b32_e32 v2, s1
	v_mov_b32_e32 v1, s0
	s_cmp_eq_u32 s6, s2
	v_cmp_gt_u64_e32 vcc, s[28:29], v[1:2]
	s_cselect_b64 s[22:23], -1, 0
	s_cmp_lg_u32 s6, s2
	s_cselect_b64 s[0:1], -1, 0
	s_add_i32 s12, s12, s44
	s_or_b64 s[2:3], s[0:1], vcc
	s_add_i32 s12, s12, s30
	s_mov_b64 s[0:1], -1
	s_and_b64 vcc, exec, s[2:3]
	v_add_u32_e32 v1, s12, v0
	v_lshlrev_b32_e32 v23, 2, v0
	s_cbranch_vccz .LBB365_2
; %bb.1:
	v_add_u32_e32 v2, 0x100, v1
	v_add_u32_e32 v3, 0x200, v1
	;; [unrolled: 1-line block ×12, first 2 shown]
	ds_write2st64_b32 v23, v1, v2 offset1:4
	ds_write2st64_b32 v23, v3, v4 offset0:8 offset1:12
	ds_write2st64_b32 v23, v5, v6 offset0:16 offset1:20
	;; [unrolled: 1-line block ×5, first 2 shown]
	ds_write_b32 v23, v13 offset:12288
	s_waitcnt lgkmcnt(0)
	s_barrier
	s_mov_b64 s[0:1], 0
.LBB365_2:
	s_andn2_b64 vcc, exec, s[0:1]
	v_cmp_gt_u32_e64 s[0:1], s33, v0
	s_cbranch_vccnz .LBB365_4
; %bb.3:
	v_or_b32_e32 v2, 0x100, v0
	v_add_u32_e32 v3, s12, v2
	v_cmp_gt_u32_e32 vcc, s33, v2
	v_cndmask_b32_e32 v2, 0, v3, vcc
	v_or_b32_e32 v3, 0x200, v0
	v_add_u32_e32 v4, s12, v3
	v_cmp_gt_u32_e32 vcc, s33, v3
	v_cndmask_b32_e32 v3, 0, v4, vcc
	;; [unrolled: 4-line block ×11, first 2 shown]
	v_or_b32_e32 v13, 0xc00, v0
	v_cndmask_b32_e64 v1, 0, v1, s[0:1]
	v_add_u32_e32 v14, s12, v13
	v_cmp_gt_u32_e32 vcc, s33, v13
	v_cndmask_b32_e32 v13, 0, v14, vcc
	ds_write2st64_b32 v23, v1, v2 offset1:4
	ds_write2st64_b32 v23, v3, v4 offset0:8 offset1:12
	ds_write2st64_b32 v23, v5, v6 offset0:16 offset1:20
	;; [unrolled: 1-line block ×5, first 2 shown]
	ds_write_b32 v23, v13 offset:12288
	s_waitcnt lgkmcnt(0)
	s_barrier
.LBB365_4:
	v_mul_u32_u24_e32 v25, 13, v0
	v_lshlrev_b32_e32 v1, 2, v25
	s_waitcnt lgkmcnt(0)
	ds_read2_b32 v[13:14], v1 offset1:1
	ds_read2_b32 v[11:12], v1 offset0:2 offset1:3
	ds_read2_b32 v[9:10], v1 offset0:4 offset1:5
	;; [unrolled: 1-line block ×5, first 2 shown]
	ds_read_b32 v24, v1 offset:48
	v_cndmask_b32_e64 v1, 0, 1, s[2:3]
	v_cmp_ne_u32_e64 s[0:1], 1, v1
	s_andn2_b64 vcc, exec, s[2:3]
	s_waitcnt lgkmcnt(0)
	s_barrier
	s_cbranch_vccnz .LBB365_6
; %bb.5:
	v_add_u32_e32 v1, s9, v13
	v_add_u32_e32 v2, s11, v13
	v_mul_lo_u32 v1, v1, s8
	v_mul_lo_u32 v2, v2, s10
	v_add_u32_e32 v15, s9, v11
	v_add_u32_e32 v16, s11, v11
	v_mul_lo_u32 v15, v15, s8
	v_sub_u32_e32 v1, v1, v2
	v_cmp_lt_u32_e32 vcc, s7, v1
	v_add_u32_e32 v1, s9, v14
	v_add_u32_e32 v2, s11, v14
	v_mul_lo_u32 v1, v1, s8
	v_mul_lo_u32 v2, v2, s10
	;; [unrolled: 1-line block ×3, first 2 shown]
	v_cndmask_b32_e64 v26, 0, 1, vcc
	v_sub_u32_e32 v1, v1, v2
	v_cmp_lt_u32_e32 vcc, s7, v1
	v_sub_u32_e32 v1, v15, v16
	v_cndmask_b32_e64 v27, 0, 1, vcc
	v_cmp_lt_u32_e32 vcc, s7, v1
	v_add_u32_e32 v1, s9, v12
	v_add_u32_e32 v2, s11, v12
	v_mul_lo_u32 v1, v1, s8
	v_mul_lo_u32 v2, v2, s10
	v_add_u32_e32 v15, s9, v9
	v_add_u32_e32 v16, s11, v9
	v_mul_lo_u32 v15, v15, s8
	v_mul_lo_u32 v16, v16, s10
	v_sub_u32_e32 v1, v1, v2
	v_cndmask_b32_e64 v28, 0, 1, vcc
	v_cmp_lt_u32_e32 vcc, s7, v1
	v_sub_u32_e32 v1, v15, v16
	v_cndmask_b32_e64 v29, 0, 1, vcc
	v_cmp_lt_u32_e32 vcc, s7, v1
	v_add_u32_e32 v1, s9, v10
	v_add_u32_e32 v2, s11, v10
	v_mul_lo_u32 v1, v1, s8
	v_mul_lo_u32 v2, v2, s10
	v_add_u32_e32 v15, s9, v7
	v_add_u32_e32 v16, s11, v7
	v_mul_lo_u32 v15, v15, s8
	v_mul_lo_u32 v16, v16, s10
	v_sub_u32_e32 v1, v1, v2
	v_cndmask_b32_e64 v30, 0, 1, vcc
	;; [unrolled: 14-line block ×5, first 2 shown]
	v_cmp_lt_u32_e32 vcc, s7, v1
	v_sub_u32_e32 v1, v15, v16
	v_cndmask_b32_e64 v37, 0, 1, vcc
	v_cmp_lt_u32_e64 s[38:39], s7, v1
	s_load_dwordx2 s[26:27], s[4:5], 0x28
	s_load_dwordx2 s[36:37], s[4:5], 0x68
	s_cbranch_execz .LBB365_7
	s_branch .LBB365_34
.LBB365_6:
                                        ; implicit-def: $sgpr38_sgpr39
                                        ; implicit-def: $vgpr37
                                        ; implicit-def: $vgpr36
                                        ; implicit-def: $vgpr35
                                        ; implicit-def: $vgpr34
                                        ; implicit-def: $vgpr33
                                        ; implicit-def: $vgpr32
                                        ; implicit-def: $vgpr31
                                        ; implicit-def: $vgpr30
                                        ; implicit-def: $vgpr26
                                        ; implicit-def: $vgpr27
                                        ; implicit-def: $vgpr28
                                        ; implicit-def: $vgpr29
	s_load_dwordx2 s[26:27], s[4:5], 0x28
	s_load_dwordx2 s[36:37], s[4:5], 0x68
.LBB365_7:
	v_cmp_gt_u32_e32 vcc, s33, v25
	v_mov_b32_e32 v27, 0
	v_mov_b32_e32 v26, 0
	s_and_saveexec_b64 s[2:3], vcc
	s_cbranch_execz .LBB365_9
; %bb.8:
	v_add_u32_e32 v1, s9, v13
	v_add_u32_e32 v2, s11, v13
	v_mul_lo_u32 v1, v1, s8
	v_mul_lo_u32 v2, v2, s10
	v_sub_u32_e32 v1, v1, v2
	v_cmp_lt_u32_e32 vcc, s7, v1
	v_cndmask_b32_e64 v26, 0, 1, vcc
.LBB365_9:
	s_or_b64 exec, exec, s[2:3]
	v_add_u32_e32 v1, 1, v25
	v_cmp_gt_u32_e32 vcc, s33, v1
	s_and_saveexec_b64 s[2:3], vcc
	s_cbranch_execz .LBB365_11
; %bb.10:
	v_add_u32_e32 v1, s9, v14
	v_add_u32_e32 v2, s11, v14
	v_mul_lo_u32 v1, v1, s8
	v_mul_lo_u32 v2, v2, s10
	v_sub_u32_e32 v1, v1, v2
	v_cmp_lt_u32_e32 vcc, s7, v1
	v_cndmask_b32_e64 v27, 0, 1, vcc
.LBB365_11:
	s_or_b64 exec, exec, s[2:3]
	v_add_u32_e32 v1, 2, v25
	v_cmp_gt_u32_e32 vcc, s33, v1
	v_mov_b32_e32 v29, 0
	v_mov_b32_e32 v28, 0
	s_and_saveexec_b64 s[2:3], vcc
	s_cbranch_execz .LBB365_13
; %bb.12:
	v_add_u32_e32 v1, s9, v11
	v_add_u32_e32 v2, s11, v11
	v_mul_lo_u32 v1, v1, s8
	v_mul_lo_u32 v2, v2, s10
	v_sub_u32_e32 v1, v1, v2
	v_cmp_lt_u32_e32 vcc, s7, v1
	v_cndmask_b32_e64 v28, 0, 1, vcc
.LBB365_13:
	s_or_b64 exec, exec, s[2:3]
	v_add_u32_e32 v1, 3, v25
	v_cmp_gt_u32_e32 vcc, s33, v1
	s_and_saveexec_b64 s[2:3], vcc
	s_cbranch_execz .LBB365_15
; %bb.14:
	v_add_u32_e32 v1, s9, v12
	v_add_u32_e32 v2, s11, v12
	v_mul_lo_u32 v1, v1, s8
	v_mul_lo_u32 v2, v2, s10
	v_sub_u32_e32 v1, v1, v2
	v_cmp_lt_u32_e32 vcc, s7, v1
	v_cndmask_b32_e64 v29, 0, 1, vcc
.LBB365_15:
	s_or_b64 exec, exec, s[2:3]
	v_add_u32_e32 v1, 4, v25
	;; [unrolled: 30-line block ×6, first 2 shown]
	v_cmp_gt_u32_e32 vcc, s33, v1
	s_mov_b64 s[38:39], 0
	s_and_saveexec_b64 s[2:3], vcc
	s_cbranch_execz .LBB365_33
; %bb.32:
	v_add_u32_e32 v1, s9, v24
	v_add_u32_e32 v2, s11, v24
	v_mul_lo_u32 v1, v1, s8
	v_mul_lo_u32 v2, v2, s10
	v_sub_u32_e32 v1, v1, v2
	v_cmp_lt_u32_e32 vcc, s7, v1
	s_and_b64 s[38:39], vcc, exec
.LBB365_33:
	s_or_b64 exec, exec, s[2:3]
.LBB365_34:
	v_and_b32_e32 v40, 0xff, v27
	v_and_b32_e32 v41, 0xff, v28
	;; [unrolled: 1-line block ×5, first 2 shown]
	v_add3_u32 v2, v41, v42, v40
	v_and_b32_e32 v44, 0xff, v31
	v_and_b32_e32 v45, 0xff, v32
	v_add3_u32 v2, v2, v39, v43
	v_and_b32_e32 v46, 0xff, v33
	v_and_b32_e32 v47, 0xff, v34
	;; [unrolled: 3-line block ×3, first 2 shown]
	v_add3_u32 v2, v2, v46, v47
	v_and_b32_e32 v38, 0xff, v37
	v_cndmask_b32_e64 v1, 0, 1, s[38:39]
	v_add3_u32 v2, v2, v48, v49
	v_add3_u32 v52, v2, v38, v1
	v_mbcnt_lo_u32_b32 v1, -1, 0
	v_mbcnt_hi_u32_b32 v50, -1, v1
	v_and_b32_e32 v1, 15, v50
	v_cmp_eq_u32_e64 s[14:15], 0, v1
	v_cmp_lt_u32_e64 s[12:13], 1, v1
	v_cmp_lt_u32_e64 s[10:11], 3, v1
	;; [unrolled: 1-line block ×3, first 2 shown]
	v_and_b32_e32 v1, 16, v50
	v_cmp_eq_u32_e64 s[18:19], 0, v1
	v_or_b32_e32 v1, 63, v0
	s_cmp_lg_u32 s6, 0
	v_cmp_lt_u32_e64 s[2:3], 31, v50
	v_lshrrev_b32_e32 v51, 6, v0
	v_cmp_eq_u32_e64 s[4:5], v0, v1
	s_cbranch_scc0 .LBB365_56
; %bb.35:
	v_mov_b32_dpp v1, v52 row_shr:1 row_mask:0xf bank_mask:0xf
	v_cndmask_b32_e64 v1, v1, 0, s[14:15]
	v_add_u32_e32 v1, v1, v52
	s_nop 1
	v_mov_b32_dpp v2, v1 row_shr:2 row_mask:0xf bank_mask:0xf
	v_cndmask_b32_e64 v2, 0, v2, s[12:13]
	v_add_u32_e32 v1, v1, v2
	s_nop 1
	;; [unrolled: 4-line block ×4, first 2 shown]
	v_mov_b32_dpp v2, v1 row_bcast:15 row_mask:0xf bank_mask:0xf
	v_cndmask_b32_e64 v2, v2, 0, s[18:19]
	v_add_u32_e32 v1, v1, v2
	s_nop 1
	v_mov_b32_dpp v2, v1 row_bcast:31 row_mask:0xf bank_mask:0xf
	v_cndmask_b32_e64 v2, 0, v2, s[2:3]
	v_add_u32_e32 v1, v1, v2
	s_and_saveexec_b64 s[16:17], s[4:5]
; %bb.36:
	v_lshlrev_b32_e32 v2, 2, v51
	ds_write_b32 v2, v1
; %bb.37:
	s_or_b64 exec, exec, s[16:17]
	v_cmp_gt_u32_e32 vcc, 4, v0
	s_waitcnt lgkmcnt(0)
	s_barrier
	s_and_saveexec_b64 s[16:17], vcc
	s_cbranch_execz .LBB365_39
; %bb.38:
	ds_read_b32 v2, v23
	v_and_b32_e32 v15, 3, v50
	v_cmp_ne_u32_e32 vcc, 0, v15
	s_waitcnt lgkmcnt(0)
	v_mov_b32_dpp v16, v2 row_shr:1 row_mask:0xf bank_mask:0xf
	v_cndmask_b32_e32 v16, 0, v16, vcc
	v_add_u32_e32 v2, v16, v2
	v_cmp_lt_u32_e32 vcc, 1, v15
	s_nop 0
	v_mov_b32_dpp v16, v2 row_shr:2 row_mask:0xf bank_mask:0xf
	v_cndmask_b32_e32 v15, 0, v16, vcc
	v_add_u32_e32 v2, v2, v15
	ds_write_b32 v23, v2
.LBB365_39:
	s_or_b64 exec, exec, s[16:17]
	v_cmp_gt_u32_e32 vcc, 64, v0
	v_cmp_lt_u32_e64 s[16:17], 63, v0
	s_waitcnt lgkmcnt(0)
	s_barrier
                                        ; implicit-def: $vgpr53
	s_and_saveexec_b64 s[20:21], s[16:17]
	s_cbranch_execz .LBB365_41
; %bb.40:
	v_lshl_add_u32 v2, v51, 2, -4
	ds_read_b32 v53, v2
	s_waitcnt lgkmcnt(0)
	v_add_u32_e32 v1, v53, v1
.LBB365_41:
	s_or_b64 exec, exec, s[20:21]
	v_subrev_co_u32_e64 v2, s[16:17], 1, v50
	v_and_b32_e32 v15, 64, v50
	v_cmp_lt_i32_e64 s[20:21], v2, v15
	v_cndmask_b32_e64 v2, v2, v50, s[20:21]
	v_lshlrev_b32_e32 v2, 2, v2
	ds_bpermute_b32 v54, v2, v1
	s_and_saveexec_b64 s[20:21], vcc
	s_cbranch_execz .LBB365_61
; %bb.42:
	v_mov_b32_e32 v19, 0
	ds_read_b32 v1, v19 offset:12
	s_and_saveexec_b64 s[40:41], s[16:17]
	s_cbranch_execz .LBB365_44
; %bb.43:
	s_add_i32 s42, s6, 64
	s_mov_b32 s43, 0
	s_lshl_b64 s[42:43], s[42:43], 3
	s_add_u32 s42, s36, s42
	v_mov_b32_e32 v2, 1
	s_addc_u32 s43, s37, s43
	s_waitcnt lgkmcnt(0)
	global_store_dwordx2 v19, v[1:2], s[42:43]
.LBB365_44:
	s_or_b64 exec, exec, s[40:41]
	v_xad_u32 v15, v50, -1, s6
	v_add_u32_e32 v18, 64, v15
	v_lshlrev_b64 v[16:17], 3, v[18:19]
	v_mov_b32_e32 v2, s37
	v_add_co_u32_e32 v20, vcc, s36, v16
	v_addc_co_u32_e32 v21, vcc, v2, v17, vcc
	global_load_dwordx2 v[17:18], v[20:21], off glc
	s_waitcnt vmcnt(0)
	v_cmp_eq_u16_sdwa s[42:43], v18, v19 src0_sel:BYTE_0 src1_sel:DWORD
	s_and_saveexec_b64 s[40:41], s[42:43]
	s_cbranch_execz .LBB365_48
; %bb.45:
	s_mov_b64 s[42:43], 0
	v_mov_b32_e32 v2, 0
.LBB365_46:                             ; =>This Inner Loop Header: Depth=1
	global_load_dwordx2 v[17:18], v[20:21], off glc
	s_waitcnt vmcnt(0)
	v_cmp_ne_u16_sdwa s[46:47], v18, v2 src0_sel:BYTE_0 src1_sel:DWORD
	s_or_b64 s[42:43], s[46:47], s[42:43]
	s_andn2_b64 exec, exec, s[42:43]
	s_cbranch_execnz .LBB365_46
; %bb.47:
	s_or_b64 exec, exec, s[42:43]
.LBB365_48:
	s_or_b64 exec, exec, s[40:41]
	v_and_b32_e32 v56, 63, v50
	v_mov_b32_e32 v55, 2
	v_lshlrev_b64 v[19:20], v50, -1
	v_cmp_ne_u32_e32 vcc, 63, v56
	v_cmp_eq_u16_sdwa s[40:41], v18, v55 src0_sel:BYTE_0 src1_sel:DWORD
	v_addc_co_u32_e32 v21, vcc, 0, v50, vcc
	v_and_b32_e32 v2, s41, v20
	v_lshlrev_b32_e32 v57, 2, v21
	v_or_b32_e32 v2, 0x80000000, v2
	ds_bpermute_b32 v21, v57, v17
	v_and_b32_e32 v16, s40, v19
	v_ffbl_b32_e32 v2, v2
	v_add_u32_e32 v2, 32, v2
	v_ffbl_b32_e32 v16, v16
	v_min_u32_e32 v2, v16, v2
	v_cmp_lt_u32_e32 vcc, v56, v2
	s_waitcnt lgkmcnt(0)
	v_cndmask_b32_e32 v16, 0, v21, vcc
	v_cmp_gt_u32_e32 vcc, 62, v56
	v_add_u32_e32 v16, v16, v17
	v_cndmask_b32_e64 v17, 0, 2, vcc
	v_add_lshl_u32 v58, v17, v50, 2
	ds_bpermute_b32 v17, v58, v16
	v_add_u32_e32 v59, 2, v56
	v_cmp_le_u32_e32 vcc, v59, v2
	v_add_u32_e32 v61, 4, v56
	v_add_u32_e32 v63, 8, v56
	s_waitcnt lgkmcnt(0)
	v_cndmask_b32_e32 v17, 0, v17, vcc
	v_cmp_gt_u32_e32 vcc, 60, v56
	v_add_u32_e32 v16, v16, v17
	v_cndmask_b32_e64 v17, 0, 4, vcc
	v_add_lshl_u32 v60, v17, v50, 2
	ds_bpermute_b32 v17, v60, v16
	v_cmp_le_u32_e32 vcc, v61, v2
	v_add_u32_e32 v65, 16, v56
	v_add_u32_e32 v67, 32, v56
	s_waitcnt lgkmcnt(0)
	v_cndmask_b32_e32 v17, 0, v17, vcc
	v_cmp_gt_u32_e32 vcc, 56, v56
	v_add_u32_e32 v16, v16, v17
	v_cndmask_b32_e64 v17, 0, 8, vcc
	v_add_lshl_u32 v62, v17, v50, 2
	ds_bpermute_b32 v17, v62, v16
	v_cmp_le_u32_e32 vcc, v63, v2
	s_waitcnt lgkmcnt(0)
	v_cndmask_b32_e32 v17, 0, v17, vcc
	v_cmp_gt_u32_e32 vcc, 48, v56
	v_add_u32_e32 v16, v16, v17
	v_cndmask_b32_e64 v17, 0, 16, vcc
	v_add_lshl_u32 v64, v17, v50, 2
	ds_bpermute_b32 v17, v64, v16
	v_cmp_le_u32_e32 vcc, v65, v2
	s_waitcnt lgkmcnt(0)
	v_cndmask_b32_e32 v17, 0, v17, vcc
	v_add_u32_e32 v16, v16, v17
	v_mov_b32_e32 v17, 0x80
	v_lshl_or_b32 v66, v50, 2, v17
	ds_bpermute_b32 v17, v66, v16
	v_cmp_le_u32_e32 vcc, v67, v2
	s_waitcnt lgkmcnt(0)
	v_cndmask_b32_e32 v2, 0, v17, vcc
	v_add_u32_e32 v17, v16, v2
	v_mov_b32_e32 v16, 0
	s_branch .LBB365_52
.LBB365_49:                             ;   in Loop: Header=BB365_52 Depth=1
	s_or_b64 exec, exec, s[42:43]
.LBB365_50:                             ;   in Loop: Header=BB365_52 Depth=1
	s_or_b64 exec, exec, s[40:41]
	v_cmp_eq_u16_sdwa s[40:41], v18, v55 src0_sel:BYTE_0 src1_sel:DWORD
	v_and_b32_e32 v21, s41, v20
	v_or_b32_e32 v21, 0x80000000, v21
	ds_bpermute_b32 v68, v57, v17
	v_and_b32_e32 v22, s40, v19
	v_ffbl_b32_e32 v21, v21
	v_add_u32_e32 v21, 32, v21
	v_ffbl_b32_e32 v22, v22
	v_min_u32_e32 v21, v22, v21
	v_cmp_lt_u32_e32 vcc, v56, v21
	s_waitcnt lgkmcnt(0)
	v_cndmask_b32_e32 v22, 0, v68, vcc
	v_add_u32_e32 v17, v22, v17
	ds_bpermute_b32 v22, v58, v17
	v_cmp_le_u32_e32 vcc, v59, v21
	v_subrev_u32_e32 v15, 64, v15
	s_mov_b64 s[40:41], 0
	s_waitcnt lgkmcnt(0)
	v_cndmask_b32_e32 v22, 0, v22, vcc
	v_add_u32_e32 v17, v17, v22
	ds_bpermute_b32 v22, v60, v17
	v_cmp_le_u32_e32 vcc, v61, v21
	s_waitcnt lgkmcnt(0)
	v_cndmask_b32_e32 v22, 0, v22, vcc
	v_add_u32_e32 v17, v17, v22
	ds_bpermute_b32 v22, v62, v17
	v_cmp_le_u32_e32 vcc, v63, v21
	;; [unrolled: 5-line block ×4, first 2 shown]
	s_waitcnt lgkmcnt(0)
	v_cndmask_b32_e32 v21, 0, v22, vcc
	v_add3_u32 v17, v21, v2, v17
.LBB365_51:                             ;   in Loop: Header=BB365_52 Depth=1
	s_and_b64 vcc, exec, s[40:41]
	s_cbranch_vccnz .LBB365_57
.LBB365_52:                             ; =>This Loop Header: Depth=1
                                        ;     Child Loop BB365_55 Depth 2
	v_cmp_ne_u16_sdwa s[40:41], v18, v55 src0_sel:BYTE_0 src1_sel:DWORD
	v_mov_b32_e32 v2, v17
	s_cmp_lg_u64 s[40:41], exec
	s_mov_b64 s[40:41], -1
                                        ; implicit-def: $vgpr17
                                        ; implicit-def: $vgpr18
	s_cbranch_scc1 .LBB365_51
; %bb.53:                               ;   in Loop: Header=BB365_52 Depth=1
	v_lshlrev_b64 v[17:18], 3, v[15:16]
	v_mov_b32_e32 v22, s37
	v_add_co_u32_e32 v21, vcc, s36, v17
	v_addc_co_u32_e32 v22, vcc, v22, v18, vcc
	global_load_dwordx2 v[17:18], v[21:22], off glc
	s_waitcnt vmcnt(0)
	v_cmp_eq_u16_sdwa s[42:43], v18, v16 src0_sel:BYTE_0 src1_sel:DWORD
	s_and_saveexec_b64 s[40:41], s[42:43]
	s_cbranch_execz .LBB365_50
; %bb.54:                               ;   in Loop: Header=BB365_52 Depth=1
	s_mov_b64 s[42:43], 0
.LBB365_55:                             ;   Parent Loop BB365_52 Depth=1
                                        ; =>  This Inner Loop Header: Depth=2
	global_load_dwordx2 v[17:18], v[21:22], off glc
	s_waitcnt vmcnt(0)
	v_cmp_ne_u16_sdwa s[46:47], v18, v16 src0_sel:BYTE_0 src1_sel:DWORD
	s_or_b64 s[42:43], s[46:47], s[42:43]
	s_andn2_b64 exec, exec, s[42:43]
	s_cbranch_execnz .LBB365_55
	s_branch .LBB365_49
.LBB365_56:
                                        ; implicit-def: $vgpr2
                                        ; implicit-def: $vgpr15
	s_cbranch_execnz .LBB365_62
	s_branch .LBB365_71
.LBB365_57:
	s_and_saveexec_b64 s[40:41], s[16:17]
	s_cbranch_execz .LBB365_59
; %bb.58:
	s_add_i32 s6, s6, 64
	s_mov_b32 s7, 0
	s_lshl_b64 s[6:7], s[6:7], 3
	s_add_u32 s6, s36, s6
	v_add_u32_e32 v15, v2, v1
	v_mov_b32_e32 v16, 2
	s_addc_u32 s7, s37, s7
	v_mov_b32_e32 v17, 0
	global_store_dwordx2 v17, v[15:16], s[6:7]
	ds_write_b64 v17, v[1:2] offset:13312
.LBB365_59:
	s_or_b64 exec, exec, s[40:41]
	v_cmp_eq_u32_e32 vcc, 0, v0
	s_and_b64 exec, exec, vcc
; %bb.60:
	v_mov_b32_e32 v1, 0
	ds_write_b32 v1, v2 offset:12
.LBB365_61:
	s_or_b64 exec, exec, s[20:21]
	v_mov_b32_e32 v1, 0
	s_waitcnt vmcnt(0) lgkmcnt(0)
	s_barrier
	ds_read_b32 v16, v1 offset:12
	s_waitcnt lgkmcnt(0)
	s_barrier
	ds_read_b64 v[1:2], v1 offset:13312
	v_cndmask_b32_e64 v15, v54, v53, s[16:17]
	v_cmp_ne_u32_e32 vcc, 0, v0
	v_cndmask_b32_e32 v15, 0, v15, vcc
	v_add_u32_e32 v15, v16, v15
	s_branch .LBB365_71
.LBB365_62:
	s_waitcnt lgkmcnt(0)
	v_mov_b32_dpp v1, v52 row_shr:1 row_mask:0xf bank_mask:0xf
	v_cndmask_b32_e64 v1, v1, 0, s[14:15]
	v_add_u32_e32 v1, v1, v52
	s_nop 1
	v_mov_b32_dpp v2, v1 row_shr:2 row_mask:0xf bank_mask:0xf
	v_cndmask_b32_e64 v2, 0, v2, s[12:13]
	v_add_u32_e32 v1, v1, v2
	s_nop 1
	;; [unrolled: 4-line block ×4, first 2 shown]
	v_mov_b32_dpp v2, v1 row_bcast:15 row_mask:0xf bank_mask:0xf
	v_cndmask_b32_e64 v2, v2, 0, s[18:19]
	v_add_u32_e32 v1, v1, v2
	s_nop 1
	v_mov_b32_dpp v2, v1 row_bcast:31 row_mask:0xf bank_mask:0xf
	v_cndmask_b32_e64 v2, 0, v2, s[2:3]
	v_add_u32_e32 v1, v1, v2
	s_and_saveexec_b64 s[2:3], s[4:5]
; %bb.63:
	v_lshlrev_b32_e32 v2, 2, v51
	ds_write_b32 v2, v1
; %bb.64:
	s_or_b64 exec, exec, s[2:3]
	v_cmp_gt_u32_e32 vcc, 4, v0
	s_waitcnt lgkmcnt(0)
	s_barrier
	s_and_saveexec_b64 s[2:3], vcc
	s_cbranch_execz .LBB365_66
; %bb.65:
	ds_read_b32 v2, v23
	v_and_b32_e32 v15, 3, v50
	v_cmp_ne_u32_e32 vcc, 0, v15
	s_waitcnt lgkmcnt(0)
	v_mov_b32_dpp v16, v2 row_shr:1 row_mask:0xf bank_mask:0xf
	v_cndmask_b32_e32 v16, 0, v16, vcc
	v_add_u32_e32 v2, v16, v2
	v_cmp_lt_u32_e32 vcc, 1, v15
	s_nop 0
	v_mov_b32_dpp v16, v2 row_shr:2 row_mask:0xf bank_mask:0xf
	v_cndmask_b32_e32 v15, 0, v16, vcc
	v_add_u32_e32 v2, v2, v15
	ds_write_b32 v23, v2
.LBB365_66:
	s_or_b64 exec, exec, s[2:3]
	v_cmp_lt_u32_e32 vcc, 63, v0
	v_mov_b32_e32 v2, 0
	v_mov_b32_e32 v15, 0
	s_waitcnt lgkmcnt(0)
	s_barrier
	s_and_saveexec_b64 s[2:3], vcc
; %bb.67:
	v_lshl_add_u32 v15, v51, 2, -4
	ds_read_b32 v15, v15
; %bb.68:
	s_or_b64 exec, exec, s[2:3]
	v_subrev_co_u32_e32 v16, vcc, 1, v50
	v_and_b32_e32 v17, 64, v50
	v_cmp_lt_i32_e64 s[2:3], v16, v17
	v_cndmask_b32_e64 v16, v16, v50, s[2:3]
	s_waitcnt lgkmcnt(0)
	v_add_u32_e32 v1, v15, v1
	v_lshlrev_b32_e32 v16, 2, v16
	ds_bpermute_b32 v16, v16, v1
	ds_read_b32 v1, v2 offset:12
	v_cmp_eq_u32_e64 s[2:3], 0, v0
	s_and_saveexec_b64 s[4:5], s[2:3]
	s_cbranch_execz .LBB365_70
; %bb.69:
	v_mov_b32_e32 v17, 0
	v_mov_b32_e32 v2, 2
	s_waitcnt lgkmcnt(0)
	global_store_dwordx2 v17, v[1:2], s[36:37] offset:512
.LBB365_70:
	s_or_b64 exec, exec, s[4:5]
	s_waitcnt lgkmcnt(1)
	v_cndmask_b32_e32 v2, v16, v15, vcc
	v_cndmask_b32_e64 v15, v2, 0, s[2:3]
	s_waitcnt vmcnt(0) lgkmcnt(0)
	s_barrier
	v_mov_b32_e32 v2, 0
.LBB365_71:
	v_add_u32_e32 v16, v15, v39
	v_add_u32_e32 v17, v16, v40
	;; [unrolled: 1-line block ×4, first 2 shown]
	s_waitcnt lgkmcnt(0)
	v_add_u32_e32 v25, v1, v25
	v_sub_u32_e32 v15, v15, v2
	v_and_b32_e32 v26, 1, v26
	v_add_u32_e32 v20, v19, v43
	v_sub_u32_e32 v43, v25, v15
	v_cmp_eq_u32_e32 vcc, 1, v26
	v_cndmask_b32_e32 v15, v43, v15, vcc
	v_lshlrev_b32_e32 v15, 2, v15
	ds_write_b32 v15, v13
	v_sub_u32_e32 v13, v16, v2
	v_sub_u32_e32 v15, v25, v13
	v_and_b32_e32 v16, 1, v27
	v_add_u32_e32 v15, 1, v15
	v_cmp_eq_u32_e32 vcc, 1, v16
	v_cndmask_b32_e32 v13, v15, v13, vcc
	v_lshlrev_b32_e32 v13, 2, v13
	ds_write_b32 v13, v14
	v_sub_u32_e32 v13, v17, v2
	v_sub_u32_e32 v14, v25, v13
	v_and_b32_e32 v15, 1, v28
	v_add_u32_e32 v14, 2, v14
	;; [unrolled: 8-line block ×5, first 2 shown]
	v_cmp_eq_u32_e32 vcc, 1, v12
	v_cndmask_b32_e32 v9, v11, v9, vcc
	v_add_u32_e32 v21, v20, v44
	v_lshlrev_b32_e32 v9, 2, v9
	ds_write_b32 v9, v10
	v_sub_u32_e32 v9, v21, v2
	v_sub_u32_e32 v10, v25, v9
	v_and_b32_e32 v11, 1, v32
	v_add_u32_e32 v10, 6, v10
	v_cmp_eq_u32_e32 vcc, 1, v11
	v_cndmask_b32_e32 v9, v10, v9, vcc
	v_add_u32_e32 v22, v21, v45
	v_lshlrev_b32_e32 v9, 2, v9
	ds_write_b32 v9, v7
	v_sub_u32_e32 v7, v22, v2
	v_sub_u32_e32 v9, v25, v7
	v_and_b32_e32 v10, 1, v33
	v_add_u32_e32 v9, 7, v9
	;; [unrolled: 9-line block ×6, first 2 shown]
	v_cmp_eq_u32_e32 vcc, 1, v6
	v_cndmask_b32_e32 v3, v5, v3, vcc
	v_lshlrev_b32_e32 v3, 2, v3
	ds_write_b32 v3, v4
	v_sub_u32_e32 v3, v38, v2
	v_add_u32_e32 v3, v42, v3
	v_sub_u32_e32 v4, v25, v3
	v_add_u32_e32 v4, 12, v4
	v_cndmask_b32_e64 v3, v4, v3, s[38:39]
	v_lshlrev_b32_e32 v3, 2, v3
	ds_write_b32 v3, v24
	s_waitcnt lgkmcnt(0)
	s_barrier
	ds_read2st64_b32 v[13:14], v23 offset1:4
	ds_read2st64_b32 v[11:12], v23 offset0:8 offset1:12
	ds_read2st64_b32 v[9:10], v23 offset0:16 offset1:20
	;; [unrolled: 1-line block ×5, first 2 shown]
	ds_read_b32 v19, v23 offset:12288
	v_mov_b32_e32 v15, s35
	s_and_b64 vcc, exec, s[0:1]
	v_add_co_u32_e64 v17, s[0:1], s34, v2
	v_or_b32_e32 v33, 0x100, v0
	v_or_b32_e32 v31, 0x200, v0
	;; [unrolled: 1-line block ×12, first 2 shown]
	v_addc_co_u32_e64 v18, s[0:1], 0, v15, s[0:1]
	s_cbranch_vccnz .LBB365_125
; %bb.72:
	v_mov_b32_e32 v2, s31
	v_subrev_co_u32_e32 v15, vcc, s30, v17
	s_sub_u32 s0, s28, s44
	v_subb_co_u32_e32 v16, vcc, v18, v2, vcc
	s_subb_u32 s1, s29, 0
	v_mov_b32_e32 v2, s1
	v_add_co_u32_e32 v23, vcc, s0, v1
	v_addc_co_u32_e32 v32, vcc, 0, v2, vcc
	v_add_co_u32_e32 v2, vcc, v23, v15
	v_addc_co_u32_e32 v23, vcc, v32, v16, vcc
	v_cmp_ge_u32_e32 vcc, v0, v1
                                        ; implicit-def: $vgpr15_vgpr16
	s_and_saveexec_b64 s[0:1], vcc
	s_xor_b64 s[0:1], exec, s[0:1]
; %bb.73:
	v_not_b32_e32 v15, v0
	v_ashrrev_i32_e32 v16, 31, v15
	v_add_co_u32_e32 v15, vcc, v2, v15
	v_addc_co_u32_e32 v16, vcc, v23, v16, vcc
; %bb.74:
	s_andn2_saveexec_b64 s[0:1], s[0:1]
; %bb.75:
	v_add_co_u32_e32 v15, vcc, v17, v0
	v_addc_co_u32_e32 v16, vcc, 0, v18, vcc
; %bb.76:
	s_or_b64 exec, exec, s[0:1]
	v_lshlrev_b64 v[15:16], 2, v[15:16]
	v_mov_b32_e32 v32, s27
	v_add_co_u32_e32 v15, vcc, s26, v15
	v_addc_co_u32_e32 v16, vcc, v32, v16, vcc
	v_cmp_ge_u32_e32 vcc, v33, v1
	s_waitcnt lgkmcnt(6)
	global_store_dword v[15:16], v13, off
                                        ; implicit-def: $vgpr15_vgpr16
	s_and_saveexec_b64 s[0:1], vcc
	s_xor_b64 s[0:1], exec, s[0:1]
; %bb.77:
	v_xor_b32_e32 v15, 0xfffffeff, v0
	v_ashrrev_i32_e32 v16, 31, v15
	v_add_co_u32_e32 v15, vcc, v2, v15
	v_addc_co_u32_e32 v16, vcc, v23, v16, vcc
; %bb.78:
	s_andn2_saveexec_b64 s[0:1], s[0:1]
; %bb.79:
	v_add_co_u32_e32 v15, vcc, v17, v33
	v_addc_co_u32_e32 v16, vcc, 0, v18, vcc
; %bb.80:
	s_or_b64 exec, exec, s[0:1]
	v_lshlrev_b64 v[15:16], 2, v[15:16]
	v_mov_b32_e32 v32, s27
	v_add_co_u32_e32 v15, vcc, s26, v15
	v_addc_co_u32_e32 v16, vcc, v32, v16, vcc
	v_cmp_ge_u32_e32 vcc, v31, v1
	global_store_dword v[15:16], v14, off
                                        ; implicit-def: $vgpr15_vgpr16
	s_and_saveexec_b64 s[0:1], vcc
	s_xor_b64 s[0:1], exec, s[0:1]
; %bb.81:
	v_xor_b32_e32 v15, 0xfffffdff, v0
	v_ashrrev_i32_e32 v16, 31, v15
	v_add_co_u32_e32 v15, vcc, v2, v15
	v_addc_co_u32_e32 v16, vcc, v23, v16, vcc
; %bb.82:
	s_andn2_saveexec_b64 s[0:1], s[0:1]
; %bb.83:
	v_add_co_u32_e32 v15, vcc, v17, v31
	v_addc_co_u32_e32 v16, vcc, 0, v18, vcc
; %bb.84:
	s_or_b64 exec, exec, s[0:1]
	v_lshlrev_b64 v[15:16], 2, v[15:16]
	v_mov_b32_e32 v32, s27
	v_add_co_u32_e32 v15, vcc, s26, v15
	v_addc_co_u32_e32 v16, vcc, v32, v16, vcc
	v_cmp_ge_u32_e32 vcc, v30, v1
	s_waitcnt lgkmcnt(5)
	global_store_dword v[15:16], v11, off
                                        ; implicit-def: $vgpr15_vgpr16
	s_and_saveexec_b64 s[0:1], vcc
	s_xor_b64 s[0:1], exec, s[0:1]
; %bb.85:
	v_xor_b32_e32 v15, 0xfffffcff, v0
	v_ashrrev_i32_e32 v16, 31, v15
	v_add_co_u32_e32 v15, vcc, v2, v15
	v_addc_co_u32_e32 v16, vcc, v23, v16, vcc
; %bb.86:
	s_andn2_saveexec_b64 s[0:1], s[0:1]
; %bb.87:
	v_add_co_u32_e32 v15, vcc, v17, v30
	v_addc_co_u32_e32 v16, vcc, 0, v18, vcc
; %bb.88:
	s_or_b64 exec, exec, s[0:1]
	v_lshlrev_b64 v[15:16], 2, v[15:16]
	v_mov_b32_e32 v32, s27
	v_add_co_u32_e32 v15, vcc, s26, v15
	v_addc_co_u32_e32 v16, vcc, v32, v16, vcc
	v_cmp_ge_u32_e32 vcc, v29, v1
	global_store_dword v[15:16], v12, off
                                        ; implicit-def: $vgpr15_vgpr16
	s_and_saveexec_b64 s[0:1], vcc
	s_xor_b64 s[0:1], exec, s[0:1]
; %bb.89:
	v_xor_b32_e32 v15, 0xfffffbff, v0
	;; [unrolled: 43-line block ×6, first 2 shown]
	v_ashrrev_i32_e32 v16, 31, v15
	v_add_co_u32_e32 v15, vcc, v2, v15
	v_addc_co_u32_e32 v16, vcc, v23, v16, vcc
; %bb.122:
	s_andn2_saveexec_b64 s[0:1], s[0:1]
; %bb.123:
	v_add_co_u32_e32 v15, vcc, v17, v20
	v_addc_co_u32_e32 v16, vcc, 0, v18, vcc
; %bb.124:
	s_or_b64 exec, exec, s[0:1]
	s_mov_b64 s[0:1], -1
	s_branch .LBB365_205
.LBB365_125:
	s_mov_b64 s[0:1], 0
                                        ; implicit-def: $vgpr15_vgpr16
	s_cbranch_execz .LBB365_205
; %bb.126:
	s_add_u32 s2, s30, s44
	s_addc_u32 s3, s31, 0
	s_sub_u32 s2, s28, s2
	s_subb_u32 s3, s29, s3
	v_mov_b32_e32 v2, s3
	v_add_co_u32_e32 v15, vcc, s2, v1
	v_addc_co_u32_e32 v2, vcc, 0, v2, vcc
	v_add_co_u32_e32 v23, vcc, v15, v17
	v_addc_co_u32_e32 v32, vcc, v2, v18, vcc
	v_cmp_gt_u32_e32 vcc, s33, v0
	s_and_saveexec_b64 s[2:3], vcc
	s_cbranch_execz .LBB365_162
; %bb.127:
	v_cmp_ge_u32_e32 vcc, v0, v1
                                        ; implicit-def: $vgpr15_vgpr16
	s_and_saveexec_b64 s[4:5], vcc
	s_xor_b64 s[4:5], exec, s[4:5]
; %bb.128:
	v_not_b32_e32 v2, v0
	v_ashrrev_i32_e32 v16, 31, v2
	v_add_co_u32_e32 v15, vcc, v23, v2
	v_addc_co_u32_e32 v16, vcc, v32, v16, vcc
; %bb.129:
	s_andn2_saveexec_b64 s[4:5], s[4:5]
; %bb.130:
	v_add_co_u32_e32 v15, vcc, v17, v0
	v_addc_co_u32_e32 v16, vcc, 0, v18, vcc
; %bb.131:
	s_or_b64 exec, exec, s[4:5]
	v_lshlrev_b64 v[15:16], 2, v[15:16]
	v_mov_b32_e32 v2, s27
	v_add_co_u32_e32 v15, vcc, s26, v15
	v_addc_co_u32_e32 v16, vcc, v2, v16, vcc
	s_waitcnt lgkmcnt(6)
	global_store_dword v[15:16], v13, off
	s_or_b64 exec, exec, s[2:3]
	v_cmp_gt_u32_e32 vcc, s33, v33
	s_and_saveexec_b64 s[2:3], vcc
	s_cbranch_execnz .LBB365_163
.LBB365_132:
	s_or_b64 exec, exec, s[2:3]
	v_cmp_gt_u32_e32 vcc, s33, v31
	s_and_saveexec_b64 s[2:3], vcc
	s_cbranch_execz .LBB365_168
.LBB365_133:
	v_cmp_ge_u32_e32 vcc, v31, v1
                                        ; implicit-def: $vgpr13_vgpr14
	s_and_saveexec_b64 s[4:5], vcc
	s_xor_b64 s[4:5], exec, s[4:5]
	s_cbranch_execz .LBB365_135
; %bb.134:
	v_xor_b32_e32 v2, 0xfffffdff, v0
	s_waitcnt lgkmcnt(6)
	v_ashrrev_i32_e32 v14, 31, v2
	v_add_co_u32_e32 v13, vcc, v23, v2
	v_addc_co_u32_e32 v14, vcc, v32, v14, vcc
                                        ; implicit-def: $vgpr31
.LBB365_135:
	s_andn2_saveexec_b64 s[4:5], s[4:5]
	s_cbranch_execz .LBB365_137
; %bb.136:
	s_waitcnt lgkmcnt(6)
	v_add_co_u32_e32 v13, vcc, v17, v31
	v_addc_co_u32_e32 v14, vcc, 0, v18, vcc
.LBB365_137:
	s_or_b64 exec, exec, s[4:5]
	s_waitcnt lgkmcnt(6)
	v_lshlrev_b64 v[13:14], 2, v[13:14]
	v_mov_b32_e32 v2, s27
	v_add_co_u32_e32 v13, vcc, s26, v13
	v_addc_co_u32_e32 v14, vcc, v2, v14, vcc
	s_waitcnt lgkmcnt(5)
	global_store_dword v[13:14], v11, off
	s_or_b64 exec, exec, s[2:3]
	v_cmp_gt_u32_e32 vcc, s33, v30
	s_and_saveexec_b64 s[2:3], vcc
	s_cbranch_execnz .LBB365_169
.LBB365_138:
	s_or_b64 exec, exec, s[2:3]
	v_cmp_gt_u32_e32 vcc, s33, v29
	s_and_saveexec_b64 s[2:3], vcc
	s_cbranch_execz .LBB365_174
.LBB365_139:
	v_cmp_ge_u32_e32 vcc, v29, v1
                                        ; implicit-def: $vgpr11_vgpr12
	s_and_saveexec_b64 s[4:5], vcc
	s_xor_b64 s[4:5], exec, s[4:5]
	s_cbranch_execz .LBB365_141
; %bb.140:
	v_xor_b32_e32 v2, 0xfffffbff, v0
	s_waitcnt lgkmcnt(5)
	v_ashrrev_i32_e32 v12, 31, v2
	v_add_co_u32_e32 v11, vcc, v23, v2
	v_addc_co_u32_e32 v12, vcc, v32, v12, vcc
                                        ; implicit-def: $vgpr29
.LBB365_141:
	s_andn2_saveexec_b64 s[4:5], s[4:5]
	s_cbranch_execz .LBB365_143
; %bb.142:
	s_waitcnt lgkmcnt(5)
	v_add_co_u32_e32 v11, vcc, v17, v29
	v_addc_co_u32_e32 v12, vcc, 0, v18, vcc
.LBB365_143:
	s_or_b64 exec, exec, s[4:5]
	s_waitcnt lgkmcnt(5)
	v_lshlrev_b64 v[11:12], 2, v[11:12]
	v_mov_b32_e32 v2, s27
	v_add_co_u32_e32 v11, vcc, s26, v11
	v_addc_co_u32_e32 v12, vcc, v2, v12, vcc
	s_waitcnt lgkmcnt(4)
	global_store_dword v[11:12], v9, off
	s_or_b64 exec, exec, s[2:3]
	v_cmp_gt_u32_e32 vcc, s33, v28
	s_and_saveexec_b64 s[2:3], vcc
	s_cbranch_execnz .LBB365_175
.LBB365_144:
	s_or_b64 exec, exec, s[2:3]
	v_cmp_gt_u32_e32 vcc, s33, v27
	s_and_saveexec_b64 s[2:3], vcc
	s_cbranch_execz .LBB365_180
.LBB365_145:
	v_cmp_ge_u32_e32 vcc, v27, v1
                                        ; implicit-def: $vgpr9_vgpr10
	s_and_saveexec_b64 s[4:5], vcc
	s_xor_b64 s[4:5], exec, s[4:5]
	s_cbranch_execz .LBB365_147
; %bb.146:
	v_xor_b32_e32 v2, 0xfffff9ff, v0
	s_waitcnt lgkmcnt(4)
	v_ashrrev_i32_e32 v10, 31, v2
	v_add_co_u32_e32 v9, vcc, v23, v2
	v_addc_co_u32_e32 v10, vcc, v32, v10, vcc
                                        ; implicit-def: $vgpr27
.LBB365_147:
	s_andn2_saveexec_b64 s[4:5], s[4:5]
	s_cbranch_execz .LBB365_149
; %bb.148:
	s_waitcnt lgkmcnt(4)
	v_add_co_u32_e32 v9, vcc, v17, v27
	v_addc_co_u32_e32 v10, vcc, 0, v18, vcc
.LBB365_149:
	s_or_b64 exec, exec, s[4:5]
	s_waitcnt lgkmcnt(4)
	v_lshlrev_b64 v[9:10], 2, v[9:10]
	v_mov_b32_e32 v2, s27
	v_add_co_u32_e32 v9, vcc, s26, v9
	v_addc_co_u32_e32 v10, vcc, v2, v10, vcc
	s_waitcnt lgkmcnt(3)
	global_store_dword v[9:10], v7, off
	s_or_b64 exec, exec, s[2:3]
	v_cmp_gt_u32_e32 vcc, s33, v26
	s_and_saveexec_b64 s[2:3], vcc
	s_cbranch_execnz .LBB365_181
.LBB365_150:
	s_or_b64 exec, exec, s[2:3]
	v_cmp_gt_u32_e32 vcc, s33, v25
	s_and_saveexec_b64 s[2:3], vcc
	s_cbranch_execz .LBB365_186
.LBB365_151:
	v_cmp_ge_u32_e32 vcc, v25, v1
                                        ; implicit-def: $vgpr7_vgpr8
	s_and_saveexec_b64 s[4:5], vcc
	s_xor_b64 s[4:5], exec, s[4:5]
	s_cbranch_execz .LBB365_153
; %bb.152:
	v_xor_b32_e32 v2, 0xfffff7ff, v0
	s_waitcnt lgkmcnt(3)
	v_ashrrev_i32_e32 v8, 31, v2
	v_add_co_u32_e32 v7, vcc, v23, v2
	v_addc_co_u32_e32 v8, vcc, v32, v8, vcc
                                        ; implicit-def: $vgpr25
.LBB365_153:
	s_andn2_saveexec_b64 s[4:5], s[4:5]
	s_cbranch_execz .LBB365_155
; %bb.154:
	s_waitcnt lgkmcnt(3)
	v_add_co_u32_e32 v7, vcc, v17, v25
	v_addc_co_u32_e32 v8, vcc, 0, v18, vcc
.LBB365_155:
	s_or_b64 exec, exec, s[4:5]
	s_waitcnt lgkmcnt(3)
	v_lshlrev_b64 v[7:8], 2, v[7:8]
	v_mov_b32_e32 v2, s27
	v_add_co_u32_e32 v7, vcc, s26, v7
	v_addc_co_u32_e32 v8, vcc, v2, v8, vcc
	s_waitcnt lgkmcnt(2)
	global_store_dword v[7:8], v5, off
	s_or_b64 exec, exec, s[2:3]
	v_cmp_gt_u32_e32 vcc, s33, v24
	s_and_saveexec_b64 s[2:3], vcc
	s_cbranch_execnz .LBB365_187
.LBB365_156:
	s_or_b64 exec, exec, s[2:3]
	v_cmp_gt_u32_e32 vcc, s33, v22
	s_and_saveexec_b64 s[2:3], vcc
	s_cbranch_execz .LBB365_192
.LBB365_157:
	v_cmp_ge_u32_e32 vcc, v22, v1
                                        ; implicit-def: $vgpr5_vgpr6
	s_and_saveexec_b64 s[4:5], vcc
	s_xor_b64 s[4:5], exec, s[4:5]
	s_cbranch_execz .LBB365_159
; %bb.158:
	v_xor_b32_e32 v2, 0xfffff5ff, v0
	s_waitcnt lgkmcnt(2)
	v_ashrrev_i32_e32 v6, 31, v2
	v_add_co_u32_e32 v5, vcc, v23, v2
	v_addc_co_u32_e32 v6, vcc, v32, v6, vcc
                                        ; implicit-def: $vgpr22
.LBB365_159:
	s_andn2_saveexec_b64 s[4:5], s[4:5]
	s_cbranch_execz .LBB365_161
; %bb.160:
	s_waitcnt lgkmcnt(2)
	v_add_co_u32_e32 v5, vcc, v17, v22
	v_addc_co_u32_e32 v6, vcc, 0, v18, vcc
.LBB365_161:
	s_or_b64 exec, exec, s[4:5]
	s_waitcnt lgkmcnt(2)
	v_lshlrev_b64 v[5:6], 2, v[5:6]
	v_mov_b32_e32 v2, s27
	v_add_co_u32_e32 v5, vcc, s26, v5
	v_addc_co_u32_e32 v6, vcc, v2, v6, vcc
	s_waitcnt lgkmcnt(1)
	global_store_dword v[5:6], v3, off
	s_or_b64 exec, exec, s[2:3]
	v_cmp_gt_u32_e32 vcc, s33, v21
	s_and_saveexec_b64 s[2:3], vcc
	s_cbranch_execz .LBB365_198
	s_branch .LBB365_193
.LBB365_162:
	s_or_b64 exec, exec, s[2:3]
	v_cmp_gt_u32_e32 vcc, s33, v33
	s_and_saveexec_b64 s[2:3], vcc
	s_cbranch_execz .LBB365_132
.LBB365_163:
	v_cmp_ge_u32_e32 vcc, v33, v1
                                        ; implicit-def: $vgpr15_vgpr16
	s_and_saveexec_b64 s[4:5], vcc
	s_xor_b64 s[4:5], exec, s[4:5]
	s_cbranch_execz .LBB365_165
; %bb.164:
	v_xor_b32_e32 v2, 0xfffffeff, v0
	s_waitcnt lgkmcnt(6)
	v_ashrrev_i32_e32 v13, 31, v2
	v_add_co_u32_e32 v15, vcc, v23, v2
	v_addc_co_u32_e32 v16, vcc, v32, v13, vcc
                                        ; implicit-def: $vgpr33
.LBB365_165:
	s_andn2_saveexec_b64 s[4:5], s[4:5]
; %bb.166:
	v_add_co_u32_e32 v15, vcc, v17, v33
	v_addc_co_u32_e32 v16, vcc, 0, v18, vcc
; %bb.167:
	s_or_b64 exec, exec, s[4:5]
	v_lshlrev_b64 v[15:16], 2, v[15:16]
	v_mov_b32_e32 v2, s27
	v_add_co_u32_e32 v15, vcc, s26, v15
	v_addc_co_u32_e32 v16, vcc, v2, v16, vcc
	s_waitcnt lgkmcnt(6)
	global_store_dword v[15:16], v14, off
	s_or_b64 exec, exec, s[2:3]
	v_cmp_gt_u32_e32 vcc, s33, v31
	s_and_saveexec_b64 s[2:3], vcc
	s_cbranch_execnz .LBB365_133
.LBB365_168:
	s_or_b64 exec, exec, s[2:3]
	v_cmp_gt_u32_e32 vcc, s33, v30
	s_and_saveexec_b64 s[2:3], vcc
	s_cbranch_execz .LBB365_138
.LBB365_169:
	v_cmp_ge_u32_e32 vcc, v30, v1
                                        ; implicit-def: $vgpr13_vgpr14
	s_and_saveexec_b64 s[4:5], vcc
	s_xor_b64 s[4:5], exec, s[4:5]
	s_cbranch_execz .LBB365_171
; %bb.170:
	v_xor_b32_e32 v2, 0xfffffcff, v0
	s_waitcnt lgkmcnt(5)
	v_ashrrev_i32_e32 v11, 31, v2
	v_add_co_u32_e32 v13, vcc, v23, v2
	v_addc_co_u32_e32 v14, vcc, v32, v11, vcc
                                        ; implicit-def: $vgpr30
.LBB365_171:
	s_andn2_saveexec_b64 s[4:5], s[4:5]
	s_cbranch_execz .LBB365_173
; %bb.172:
	s_waitcnt lgkmcnt(6)
	v_add_co_u32_e32 v13, vcc, v17, v30
	v_addc_co_u32_e32 v14, vcc, 0, v18, vcc
.LBB365_173:
	s_or_b64 exec, exec, s[4:5]
	s_waitcnt lgkmcnt(6)
	v_lshlrev_b64 v[13:14], 2, v[13:14]
	v_mov_b32_e32 v2, s27
	v_add_co_u32_e32 v13, vcc, s26, v13
	v_addc_co_u32_e32 v14, vcc, v2, v14, vcc
	s_waitcnt lgkmcnt(5)
	global_store_dword v[13:14], v12, off
	s_or_b64 exec, exec, s[2:3]
	v_cmp_gt_u32_e32 vcc, s33, v29
	s_and_saveexec_b64 s[2:3], vcc
	s_cbranch_execnz .LBB365_139
.LBB365_174:
	s_or_b64 exec, exec, s[2:3]
	v_cmp_gt_u32_e32 vcc, s33, v28
	s_and_saveexec_b64 s[2:3], vcc
	s_cbranch_execz .LBB365_144
.LBB365_175:
	v_cmp_ge_u32_e32 vcc, v28, v1
                                        ; implicit-def: $vgpr11_vgpr12
	s_and_saveexec_b64 s[4:5], vcc
	s_xor_b64 s[4:5], exec, s[4:5]
	s_cbranch_execz .LBB365_177
; %bb.176:
	v_xor_b32_e32 v2, 0xfffffaff, v0
	s_waitcnt lgkmcnt(4)
	v_ashrrev_i32_e32 v9, 31, v2
	v_add_co_u32_e32 v11, vcc, v23, v2
	v_addc_co_u32_e32 v12, vcc, v32, v9, vcc
                                        ; implicit-def: $vgpr28
.LBB365_177:
	s_andn2_saveexec_b64 s[4:5], s[4:5]
	s_cbranch_execz .LBB365_179
; %bb.178:
	s_waitcnt lgkmcnt(5)
	v_add_co_u32_e32 v11, vcc, v17, v28
	v_addc_co_u32_e32 v12, vcc, 0, v18, vcc
.LBB365_179:
	s_or_b64 exec, exec, s[4:5]
	s_waitcnt lgkmcnt(5)
	v_lshlrev_b64 v[11:12], 2, v[11:12]
	v_mov_b32_e32 v2, s27
	v_add_co_u32_e32 v11, vcc, s26, v11
	v_addc_co_u32_e32 v12, vcc, v2, v12, vcc
	s_waitcnt lgkmcnt(4)
	global_store_dword v[11:12], v10, off
	s_or_b64 exec, exec, s[2:3]
	v_cmp_gt_u32_e32 vcc, s33, v27
	s_and_saveexec_b64 s[2:3], vcc
	s_cbranch_execnz .LBB365_145
.LBB365_180:
	s_or_b64 exec, exec, s[2:3]
	v_cmp_gt_u32_e32 vcc, s33, v26
	s_and_saveexec_b64 s[2:3], vcc
	s_cbranch_execz .LBB365_150
.LBB365_181:
	v_cmp_ge_u32_e32 vcc, v26, v1
                                        ; implicit-def: $vgpr9_vgpr10
	s_and_saveexec_b64 s[4:5], vcc
	s_xor_b64 s[4:5], exec, s[4:5]
	s_cbranch_execz .LBB365_183
; %bb.182:
	v_xor_b32_e32 v2, 0xfffff8ff, v0
	s_waitcnt lgkmcnt(3)
	v_ashrrev_i32_e32 v7, 31, v2
	v_add_co_u32_e32 v9, vcc, v23, v2
	v_addc_co_u32_e32 v10, vcc, v32, v7, vcc
                                        ; implicit-def: $vgpr26
.LBB365_183:
	s_andn2_saveexec_b64 s[4:5], s[4:5]
	s_cbranch_execz .LBB365_185
; %bb.184:
	s_waitcnt lgkmcnt(4)
	v_add_co_u32_e32 v9, vcc, v17, v26
	v_addc_co_u32_e32 v10, vcc, 0, v18, vcc
.LBB365_185:
	s_or_b64 exec, exec, s[4:5]
	s_waitcnt lgkmcnt(4)
	v_lshlrev_b64 v[9:10], 2, v[9:10]
	v_mov_b32_e32 v2, s27
	v_add_co_u32_e32 v9, vcc, s26, v9
	v_addc_co_u32_e32 v10, vcc, v2, v10, vcc
	s_waitcnt lgkmcnt(3)
	global_store_dword v[9:10], v8, off
	s_or_b64 exec, exec, s[2:3]
	v_cmp_gt_u32_e32 vcc, s33, v25
	s_and_saveexec_b64 s[2:3], vcc
	s_cbranch_execnz .LBB365_151
.LBB365_186:
	s_or_b64 exec, exec, s[2:3]
	v_cmp_gt_u32_e32 vcc, s33, v24
	s_and_saveexec_b64 s[2:3], vcc
	s_cbranch_execz .LBB365_156
.LBB365_187:
	v_cmp_ge_u32_e32 vcc, v24, v1
                                        ; implicit-def: $vgpr7_vgpr8
	s_and_saveexec_b64 s[4:5], vcc
	s_xor_b64 s[4:5], exec, s[4:5]
	s_cbranch_execz .LBB365_189
; %bb.188:
	v_xor_b32_e32 v2, 0xfffff6ff, v0
	s_waitcnt lgkmcnt(2)
	v_ashrrev_i32_e32 v5, 31, v2
	v_add_co_u32_e32 v7, vcc, v23, v2
	v_addc_co_u32_e32 v8, vcc, v32, v5, vcc
                                        ; implicit-def: $vgpr24
.LBB365_189:
	s_andn2_saveexec_b64 s[4:5], s[4:5]
	s_cbranch_execz .LBB365_191
; %bb.190:
	s_waitcnt lgkmcnt(3)
	v_add_co_u32_e32 v7, vcc, v17, v24
	v_addc_co_u32_e32 v8, vcc, 0, v18, vcc
.LBB365_191:
	s_or_b64 exec, exec, s[4:5]
	s_waitcnt lgkmcnt(3)
	v_lshlrev_b64 v[7:8], 2, v[7:8]
	v_mov_b32_e32 v2, s27
	v_add_co_u32_e32 v7, vcc, s26, v7
	v_addc_co_u32_e32 v8, vcc, v2, v8, vcc
	s_waitcnt lgkmcnt(2)
	global_store_dword v[7:8], v6, off
	s_or_b64 exec, exec, s[2:3]
	v_cmp_gt_u32_e32 vcc, s33, v22
	s_and_saveexec_b64 s[2:3], vcc
	s_cbranch_execnz .LBB365_157
.LBB365_192:
	s_or_b64 exec, exec, s[2:3]
	v_cmp_gt_u32_e32 vcc, s33, v21
	s_and_saveexec_b64 s[2:3], vcc
	s_cbranch_execz .LBB365_198
.LBB365_193:
	v_cmp_ge_u32_e32 vcc, v21, v1
                                        ; implicit-def: $vgpr2_vgpr3
	s_and_saveexec_b64 s[4:5], vcc
	s_xor_b64 s[4:5], exec, s[4:5]
	s_cbranch_execz .LBB365_195
; %bb.194:
	v_xor_b32_e32 v2, 0xfffff4ff, v0
	s_waitcnt lgkmcnt(1)
	v_ashrrev_i32_e32 v3, 31, v2
	v_add_co_u32_e32 v2, vcc, v23, v2
	v_addc_co_u32_e32 v3, vcc, v32, v3, vcc
                                        ; implicit-def: $vgpr21
.LBB365_195:
	s_andn2_saveexec_b64 s[4:5], s[4:5]
	s_cbranch_execz .LBB365_197
; %bb.196:
	v_add_co_u32_e32 v2, vcc, v17, v21
	s_waitcnt lgkmcnt(1)
	v_addc_co_u32_e32 v3, vcc, 0, v18, vcc
.LBB365_197:
	s_or_b64 exec, exec, s[4:5]
	s_waitcnt lgkmcnt(1)
	v_lshlrev_b64 v[2:3], 2, v[2:3]
	v_mov_b32_e32 v5, s27
	v_add_co_u32_e32 v2, vcc, s26, v2
	v_addc_co_u32_e32 v3, vcc, v5, v3, vcc
	global_store_dword v[2:3], v4, off
.LBB365_198:
	s_or_b64 exec, exec, s[2:3]
	v_cmp_gt_u32_e32 vcc, s33, v20
                                        ; implicit-def: $vgpr15_vgpr16
	s_and_saveexec_b64 s[2:3], vcc
	s_cbranch_execz .LBB365_204
; %bb.199:
	v_cmp_ge_u32_e32 vcc, v20, v1
                                        ; implicit-def: $vgpr15_vgpr16
	s_and_saveexec_b64 s[4:5], vcc
	s_xor_b64 s[4:5], exec, s[4:5]
	s_cbranch_execz .LBB365_201
; %bb.200:
	v_xor_b32_e32 v2, 0xfffff3ff, v0
	s_waitcnt lgkmcnt(1)
	v_ashrrev_i32_e32 v3, 31, v2
	v_add_co_u32_e32 v15, vcc, v23, v2
	v_addc_co_u32_e32 v16, vcc, v32, v3, vcc
                                        ; implicit-def: $vgpr20
.LBB365_201:
	s_andn2_saveexec_b64 s[4:5], s[4:5]
; %bb.202:
	v_add_co_u32_e32 v15, vcc, v17, v20
	v_addc_co_u32_e32 v16, vcc, 0, v18, vcc
; %bb.203:
	s_or_b64 exec, exec, s[4:5]
	s_or_b64 s[0:1], s[0:1], exec
.LBB365_204:
	s_or_b64 exec, exec, s[2:3]
.LBB365_205:
	s_and_saveexec_b64 s[2:3], s[0:1]
	s_cbranch_execz .LBB365_207
; %bb.206:
	s_waitcnt lgkmcnt(1)
	v_lshlrev_b64 v[2:3], 2, v[15:16]
	v_mov_b32_e32 v4, s27
	v_add_co_u32_e32 v2, vcc, s26, v2
	v_addc_co_u32_e32 v3, vcc, v4, v3, vcc
	s_waitcnt lgkmcnt(0)
	global_store_dword v[2:3], v19, off
.LBB365_207:
	s_or_b64 exec, exec, s[2:3]
	v_cmp_eq_u32_e32 vcc, 0, v0
	s_and_b64 s[0:1], vcc, s[22:23]
	s_and_saveexec_b64 s[2:3], s[0:1]
	s_cbranch_execz .LBB365_209
; %bb.208:
	v_add_co_u32_e32 v0, vcc, v17, v1
	v_mov_b32_e32 v2, 0
	v_addc_co_u32_e32 v1, vcc, 0, v18, vcc
	global_store_dwordx2 v2, v[0:1], s[24:25]
.LBB365_209:
	s_endpgm
	.section	.rodata,"a",@progbits
	.p2align	6, 0x0
	.amdhsa_kernel _ZN7rocprim17ROCPRIM_400000_NS6detail17trampoline_kernelINS0_13select_configILj256ELj13ELNS0_17block_load_methodE3ELS4_3ELS4_3ELNS0_20block_scan_algorithmE0ELj4294967295EEENS1_25partition_config_selectorILNS1_17partition_subalgoE3EjNS0_10empty_typeEbEEZZNS1_14partition_implILS8_3ELb0ES6_jNS0_17counting_iteratorIjlEEPS9_SE_NS0_5tupleIJPjSE_EEENSF_IJSE_SE_EEES9_SG_JZNS1_25segmented_radix_sort_implINS0_14default_configELb0EPKaPaPKlPlN2at6native12_GLOBAL__N_18offset_tEEE10hipError_tPvRmT1_PNSt15iterator_traitsISY_E10value_typeET2_T3_PNSZ_IS14_E10value_typeET4_jRbjT5_S1A_jjP12ihipStream_tbEUljE_EEESV_SW_SX_S14_S18_S1A_T6_T7_T9_mT8_S1C_bDpT10_ENKUlT_T0_E_clISt17integral_constantIbLb0EES1P_EEDaS1K_S1L_EUlS1K_E_NS1_11comp_targetILNS1_3genE2ELNS1_11target_archE906ELNS1_3gpuE6ELNS1_3repE0EEENS1_30default_config_static_selectorELNS0_4arch9wavefront6targetE1EEEvSY_
		.amdhsa_group_segment_fixed_size 13320
		.amdhsa_private_segment_fixed_size 0
		.amdhsa_kernarg_size 144
		.amdhsa_user_sgpr_count 6
		.amdhsa_user_sgpr_private_segment_buffer 1
		.amdhsa_user_sgpr_dispatch_ptr 0
		.amdhsa_user_sgpr_queue_ptr 0
		.amdhsa_user_sgpr_kernarg_segment_ptr 1
		.amdhsa_user_sgpr_dispatch_id 0
		.amdhsa_user_sgpr_flat_scratch_init 0
		.amdhsa_user_sgpr_private_segment_size 0
		.amdhsa_uses_dynamic_stack 0
		.amdhsa_system_sgpr_private_segment_wavefront_offset 0
		.amdhsa_system_sgpr_workgroup_id_x 1
		.amdhsa_system_sgpr_workgroup_id_y 0
		.amdhsa_system_sgpr_workgroup_id_z 0
		.amdhsa_system_sgpr_workgroup_info 0
		.amdhsa_system_vgpr_workitem_id 0
		.amdhsa_next_free_vgpr 69
		.amdhsa_next_free_sgpr 98
		.amdhsa_reserve_vcc 1
		.amdhsa_reserve_flat_scratch 0
		.amdhsa_float_round_mode_32 0
		.amdhsa_float_round_mode_16_64 0
		.amdhsa_float_denorm_mode_32 3
		.amdhsa_float_denorm_mode_16_64 3
		.amdhsa_dx10_clamp 1
		.amdhsa_ieee_mode 1
		.amdhsa_fp16_overflow 0
		.amdhsa_exception_fp_ieee_invalid_op 0
		.amdhsa_exception_fp_denorm_src 0
		.amdhsa_exception_fp_ieee_div_zero 0
		.amdhsa_exception_fp_ieee_overflow 0
		.amdhsa_exception_fp_ieee_underflow 0
		.amdhsa_exception_fp_ieee_inexact 0
		.amdhsa_exception_int_div_zero 0
	.end_amdhsa_kernel
	.section	.text._ZN7rocprim17ROCPRIM_400000_NS6detail17trampoline_kernelINS0_13select_configILj256ELj13ELNS0_17block_load_methodE3ELS4_3ELS4_3ELNS0_20block_scan_algorithmE0ELj4294967295EEENS1_25partition_config_selectorILNS1_17partition_subalgoE3EjNS0_10empty_typeEbEEZZNS1_14partition_implILS8_3ELb0ES6_jNS0_17counting_iteratorIjlEEPS9_SE_NS0_5tupleIJPjSE_EEENSF_IJSE_SE_EEES9_SG_JZNS1_25segmented_radix_sort_implINS0_14default_configELb0EPKaPaPKlPlN2at6native12_GLOBAL__N_18offset_tEEE10hipError_tPvRmT1_PNSt15iterator_traitsISY_E10value_typeET2_T3_PNSZ_IS14_E10value_typeET4_jRbjT5_S1A_jjP12ihipStream_tbEUljE_EEESV_SW_SX_S14_S18_S1A_T6_T7_T9_mT8_S1C_bDpT10_ENKUlT_T0_E_clISt17integral_constantIbLb0EES1P_EEDaS1K_S1L_EUlS1K_E_NS1_11comp_targetILNS1_3genE2ELNS1_11target_archE906ELNS1_3gpuE6ELNS1_3repE0EEENS1_30default_config_static_selectorELNS0_4arch9wavefront6targetE1EEEvSY_,"axG",@progbits,_ZN7rocprim17ROCPRIM_400000_NS6detail17trampoline_kernelINS0_13select_configILj256ELj13ELNS0_17block_load_methodE3ELS4_3ELS4_3ELNS0_20block_scan_algorithmE0ELj4294967295EEENS1_25partition_config_selectorILNS1_17partition_subalgoE3EjNS0_10empty_typeEbEEZZNS1_14partition_implILS8_3ELb0ES6_jNS0_17counting_iteratorIjlEEPS9_SE_NS0_5tupleIJPjSE_EEENSF_IJSE_SE_EEES9_SG_JZNS1_25segmented_radix_sort_implINS0_14default_configELb0EPKaPaPKlPlN2at6native12_GLOBAL__N_18offset_tEEE10hipError_tPvRmT1_PNSt15iterator_traitsISY_E10value_typeET2_T3_PNSZ_IS14_E10value_typeET4_jRbjT5_S1A_jjP12ihipStream_tbEUljE_EEESV_SW_SX_S14_S18_S1A_T6_T7_T9_mT8_S1C_bDpT10_ENKUlT_T0_E_clISt17integral_constantIbLb0EES1P_EEDaS1K_S1L_EUlS1K_E_NS1_11comp_targetILNS1_3genE2ELNS1_11target_archE906ELNS1_3gpuE6ELNS1_3repE0EEENS1_30default_config_static_selectorELNS0_4arch9wavefront6targetE1EEEvSY_,comdat
.Lfunc_end365:
	.size	_ZN7rocprim17ROCPRIM_400000_NS6detail17trampoline_kernelINS0_13select_configILj256ELj13ELNS0_17block_load_methodE3ELS4_3ELS4_3ELNS0_20block_scan_algorithmE0ELj4294967295EEENS1_25partition_config_selectorILNS1_17partition_subalgoE3EjNS0_10empty_typeEbEEZZNS1_14partition_implILS8_3ELb0ES6_jNS0_17counting_iteratorIjlEEPS9_SE_NS0_5tupleIJPjSE_EEENSF_IJSE_SE_EEES9_SG_JZNS1_25segmented_radix_sort_implINS0_14default_configELb0EPKaPaPKlPlN2at6native12_GLOBAL__N_18offset_tEEE10hipError_tPvRmT1_PNSt15iterator_traitsISY_E10value_typeET2_T3_PNSZ_IS14_E10value_typeET4_jRbjT5_S1A_jjP12ihipStream_tbEUljE_EEESV_SW_SX_S14_S18_S1A_T6_T7_T9_mT8_S1C_bDpT10_ENKUlT_T0_E_clISt17integral_constantIbLb0EES1P_EEDaS1K_S1L_EUlS1K_E_NS1_11comp_targetILNS1_3genE2ELNS1_11target_archE906ELNS1_3gpuE6ELNS1_3repE0EEENS1_30default_config_static_selectorELNS0_4arch9wavefront6targetE1EEEvSY_, .Lfunc_end365-_ZN7rocprim17ROCPRIM_400000_NS6detail17trampoline_kernelINS0_13select_configILj256ELj13ELNS0_17block_load_methodE3ELS4_3ELS4_3ELNS0_20block_scan_algorithmE0ELj4294967295EEENS1_25partition_config_selectorILNS1_17partition_subalgoE3EjNS0_10empty_typeEbEEZZNS1_14partition_implILS8_3ELb0ES6_jNS0_17counting_iteratorIjlEEPS9_SE_NS0_5tupleIJPjSE_EEENSF_IJSE_SE_EEES9_SG_JZNS1_25segmented_radix_sort_implINS0_14default_configELb0EPKaPaPKlPlN2at6native12_GLOBAL__N_18offset_tEEE10hipError_tPvRmT1_PNSt15iterator_traitsISY_E10value_typeET2_T3_PNSZ_IS14_E10value_typeET4_jRbjT5_S1A_jjP12ihipStream_tbEUljE_EEESV_SW_SX_S14_S18_S1A_T6_T7_T9_mT8_S1C_bDpT10_ENKUlT_T0_E_clISt17integral_constantIbLb0EES1P_EEDaS1K_S1L_EUlS1K_E_NS1_11comp_targetILNS1_3genE2ELNS1_11target_archE906ELNS1_3gpuE6ELNS1_3repE0EEENS1_30default_config_static_selectorELNS0_4arch9wavefront6targetE1EEEvSY_
                                        ; -- End function
	.set _ZN7rocprim17ROCPRIM_400000_NS6detail17trampoline_kernelINS0_13select_configILj256ELj13ELNS0_17block_load_methodE3ELS4_3ELS4_3ELNS0_20block_scan_algorithmE0ELj4294967295EEENS1_25partition_config_selectorILNS1_17partition_subalgoE3EjNS0_10empty_typeEbEEZZNS1_14partition_implILS8_3ELb0ES6_jNS0_17counting_iteratorIjlEEPS9_SE_NS0_5tupleIJPjSE_EEENSF_IJSE_SE_EEES9_SG_JZNS1_25segmented_radix_sort_implINS0_14default_configELb0EPKaPaPKlPlN2at6native12_GLOBAL__N_18offset_tEEE10hipError_tPvRmT1_PNSt15iterator_traitsISY_E10value_typeET2_T3_PNSZ_IS14_E10value_typeET4_jRbjT5_S1A_jjP12ihipStream_tbEUljE_EEESV_SW_SX_S14_S18_S1A_T6_T7_T9_mT8_S1C_bDpT10_ENKUlT_T0_E_clISt17integral_constantIbLb0EES1P_EEDaS1K_S1L_EUlS1K_E_NS1_11comp_targetILNS1_3genE2ELNS1_11target_archE906ELNS1_3gpuE6ELNS1_3repE0EEENS1_30default_config_static_selectorELNS0_4arch9wavefront6targetE1EEEvSY_.num_vgpr, 69
	.set _ZN7rocprim17ROCPRIM_400000_NS6detail17trampoline_kernelINS0_13select_configILj256ELj13ELNS0_17block_load_methodE3ELS4_3ELS4_3ELNS0_20block_scan_algorithmE0ELj4294967295EEENS1_25partition_config_selectorILNS1_17partition_subalgoE3EjNS0_10empty_typeEbEEZZNS1_14partition_implILS8_3ELb0ES6_jNS0_17counting_iteratorIjlEEPS9_SE_NS0_5tupleIJPjSE_EEENSF_IJSE_SE_EEES9_SG_JZNS1_25segmented_radix_sort_implINS0_14default_configELb0EPKaPaPKlPlN2at6native12_GLOBAL__N_18offset_tEEE10hipError_tPvRmT1_PNSt15iterator_traitsISY_E10value_typeET2_T3_PNSZ_IS14_E10value_typeET4_jRbjT5_S1A_jjP12ihipStream_tbEUljE_EEESV_SW_SX_S14_S18_S1A_T6_T7_T9_mT8_S1C_bDpT10_ENKUlT_T0_E_clISt17integral_constantIbLb0EES1P_EEDaS1K_S1L_EUlS1K_E_NS1_11comp_targetILNS1_3genE2ELNS1_11target_archE906ELNS1_3gpuE6ELNS1_3repE0EEENS1_30default_config_static_selectorELNS0_4arch9wavefront6targetE1EEEvSY_.num_agpr, 0
	.set _ZN7rocprim17ROCPRIM_400000_NS6detail17trampoline_kernelINS0_13select_configILj256ELj13ELNS0_17block_load_methodE3ELS4_3ELS4_3ELNS0_20block_scan_algorithmE0ELj4294967295EEENS1_25partition_config_selectorILNS1_17partition_subalgoE3EjNS0_10empty_typeEbEEZZNS1_14partition_implILS8_3ELb0ES6_jNS0_17counting_iteratorIjlEEPS9_SE_NS0_5tupleIJPjSE_EEENSF_IJSE_SE_EEES9_SG_JZNS1_25segmented_radix_sort_implINS0_14default_configELb0EPKaPaPKlPlN2at6native12_GLOBAL__N_18offset_tEEE10hipError_tPvRmT1_PNSt15iterator_traitsISY_E10value_typeET2_T3_PNSZ_IS14_E10value_typeET4_jRbjT5_S1A_jjP12ihipStream_tbEUljE_EEESV_SW_SX_S14_S18_S1A_T6_T7_T9_mT8_S1C_bDpT10_ENKUlT_T0_E_clISt17integral_constantIbLb0EES1P_EEDaS1K_S1L_EUlS1K_E_NS1_11comp_targetILNS1_3genE2ELNS1_11target_archE906ELNS1_3gpuE6ELNS1_3repE0EEENS1_30default_config_static_selectorELNS0_4arch9wavefront6targetE1EEEvSY_.numbered_sgpr, 48
	.set _ZN7rocprim17ROCPRIM_400000_NS6detail17trampoline_kernelINS0_13select_configILj256ELj13ELNS0_17block_load_methodE3ELS4_3ELS4_3ELNS0_20block_scan_algorithmE0ELj4294967295EEENS1_25partition_config_selectorILNS1_17partition_subalgoE3EjNS0_10empty_typeEbEEZZNS1_14partition_implILS8_3ELb0ES6_jNS0_17counting_iteratorIjlEEPS9_SE_NS0_5tupleIJPjSE_EEENSF_IJSE_SE_EEES9_SG_JZNS1_25segmented_radix_sort_implINS0_14default_configELb0EPKaPaPKlPlN2at6native12_GLOBAL__N_18offset_tEEE10hipError_tPvRmT1_PNSt15iterator_traitsISY_E10value_typeET2_T3_PNSZ_IS14_E10value_typeET4_jRbjT5_S1A_jjP12ihipStream_tbEUljE_EEESV_SW_SX_S14_S18_S1A_T6_T7_T9_mT8_S1C_bDpT10_ENKUlT_T0_E_clISt17integral_constantIbLb0EES1P_EEDaS1K_S1L_EUlS1K_E_NS1_11comp_targetILNS1_3genE2ELNS1_11target_archE906ELNS1_3gpuE6ELNS1_3repE0EEENS1_30default_config_static_selectorELNS0_4arch9wavefront6targetE1EEEvSY_.num_named_barrier, 0
	.set _ZN7rocprim17ROCPRIM_400000_NS6detail17trampoline_kernelINS0_13select_configILj256ELj13ELNS0_17block_load_methodE3ELS4_3ELS4_3ELNS0_20block_scan_algorithmE0ELj4294967295EEENS1_25partition_config_selectorILNS1_17partition_subalgoE3EjNS0_10empty_typeEbEEZZNS1_14partition_implILS8_3ELb0ES6_jNS0_17counting_iteratorIjlEEPS9_SE_NS0_5tupleIJPjSE_EEENSF_IJSE_SE_EEES9_SG_JZNS1_25segmented_radix_sort_implINS0_14default_configELb0EPKaPaPKlPlN2at6native12_GLOBAL__N_18offset_tEEE10hipError_tPvRmT1_PNSt15iterator_traitsISY_E10value_typeET2_T3_PNSZ_IS14_E10value_typeET4_jRbjT5_S1A_jjP12ihipStream_tbEUljE_EEESV_SW_SX_S14_S18_S1A_T6_T7_T9_mT8_S1C_bDpT10_ENKUlT_T0_E_clISt17integral_constantIbLb0EES1P_EEDaS1K_S1L_EUlS1K_E_NS1_11comp_targetILNS1_3genE2ELNS1_11target_archE906ELNS1_3gpuE6ELNS1_3repE0EEENS1_30default_config_static_selectorELNS0_4arch9wavefront6targetE1EEEvSY_.private_seg_size, 0
	.set _ZN7rocprim17ROCPRIM_400000_NS6detail17trampoline_kernelINS0_13select_configILj256ELj13ELNS0_17block_load_methodE3ELS4_3ELS4_3ELNS0_20block_scan_algorithmE0ELj4294967295EEENS1_25partition_config_selectorILNS1_17partition_subalgoE3EjNS0_10empty_typeEbEEZZNS1_14partition_implILS8_3ELb0ES6_jNS0_17counting_iteratorIjlEEPS9_SE_NS0_5tupleIJPjSE_EEENSF_IJSE_SE_EEES9_SG_JZNS1_25segmented_radix_sort_implINS0_14default_configELb0EPKaPaPKlPlN2at6native12_GLOBAL__N_18offset_tEEE10hipError_tPvRmT1_PNSt15iterator_traitsISY_E10value_typeET2_T3_PNSZ_IS14_E10value_typeET4_jRbjT5_S1A_jjP12ihipStream_tbEUljE_EEESV_SW_SX_S14_S18_S1A_T6_T7_T9_mT8_S1C_bDpT10_ENKUlT_T0_E_clISt17integral_constantIbLb0EES1P_EEDaS1K_S1L_EUlS1K_E_NS1_11comp_targetILNS1_3genE2ELNS1_11target_archE906ELNS1_3gpuE6ELNS1_3repE0EEENS1_30default_config_static_selectorELNS0_4arch9wavefront6targetE1EEEvSY_.uses_vcc, 1
	.set _ZN7rocprim17ROCPRIM_400000_NS6detail17trampoline_kernelINS0_13select_configILj256ELj13ELNS0_17block_load_methodE3ELS4_3ELS4_3ELNS0_20block_scan_algorithmE0ELj4294967295EEENS1_25partition_config_selectorILNS1_17partition_subalgoE3EjNS0_10empty_typeEbEEZZNS1_14partition_implILS8_3ELb0ES6_jNS0_17counting_iteratorIjlEEPS9_SE_NS0_5tupleIJPjSE_EEENSF_IJSE_SE_EEES9_SG_JZNS1_25segmented_radix_sort_implINS0_14default_configELb0EPKaPaPKlPlN2at6native12_GLOBAL__N_18offset_tEEE10hipError_tPvRmT1_PNSt15iterator_traitsISY_E10value_typeET2_T3_PNSZ_IS14_E10value_typeET4_jRbjT5_S1A_jjP12ihipStream_tbEUljE_EEESV_SW_SX_S14_S18_S1A_T6_T7_T9_mT8_S1C_bDpT10_ENKUlT_T0_E_clISt17integral_constantIbLb0EES1P_EEDaS1K_S1L_EUlS1K_E_NS1_11comp_targetILNS1_3genE2ELNS1_11target_archE906ELNS1_3gpuE6ELNS1_3repE0EEENS1_30default_config_static_selectorELNS0_4arch9wavefront6targetE1EEEvSY_.uses_flat_scratch, 0
	.set _ZN7rocprim17ROCPRIM_400000_NS6detail17trampoline_kernelINS0_13select_configILj256ELj13ELNS0_17block_load_methodE3ELS4_3ELS4_3ELNS0_20block_scan_algorithmE0ELj4294967295EEENS1_25partition_config_selectorILNS1_17partition_subalgoE3EjNS0_10empty_typeEbEEZZNS1_14partition_implILS8_3ELb0ES6_jNS0_17counting_iteratorIjlEEPS9_SE_NS0_5tupleIJPjSE_EEENSF_IJSE_SE_EEES9_SG_JZNS1_25segmented_radix_sort_implINS0_14default_configELb0EPKaPaPKlPlN2at6native12_GLOBAL__N_18offset_tEEE10hipError_tPvRmT1_PNSt15iterator_traitsISY_E10value_typeET2_T3_PNSZ_IS14_E10value_typeET4_jRbjT5_S1A_jjP12ihipStream_tbEUljE_EEESV_SW_SX_S14_S18_S1A_T6_T7_T9_mT8_S1C_bDpT10_ENKUlT_T0_E_clISt17integral_constantIbLb0EES1P_EEDaS1K_S1L_EUlS1K_E_NS1_11comp_targetILNS1_3genE2ELNS1_11target_archE906ELNS1_3gpuE6ELNS1_3repE0EEENS1_30default_config_static_selectorELNS0_4arch9wavefront6targetE1EEEvSY_.has_dyn_sized_stack, 0
	.set _ZN7rocprim17ROCPRIM_400000_NS6detail17trampoline_kernelINS0_13select_configILj256ELj13ELNS0_17block_load_methodE3ELS4_3ELS4_3ELNS0_20block_scan_algorithmE0ELj4294967295EEENS1_25partition_config_selectorILNS1_17partition_subalgoE3EjNS0_10empty_typeEbEEZZNS1_14partition_implILS8_3ELb0ES6_jNS0_17counting_iteratorIjlEEPS9_SE_NS0_5tupleIJPjSE_EEENSF_IJSE_SE_EEES9_SG_JZNS1_25segmented_radix_sort_implINS0_14default_configELb0EPKaPaPKlPlN2at6native12_GLOBAL__N_18offset_tEEE10hipError_tPvRmT1_PNSt15iterator_traitsISY_E10value_typeET2_T3_PNSZ_IS14_E10value_typeET4_jRbjT5_S1A_jjP12ihipStream_tbEUljE_EEESV_SW_SX_S14_S18_S1A_T6_T7_T9_mT8_S1C_bDpT10_ENKUlT_T0_E_clISt17integral_constantIbLb0EES1P_EEDaS1K_S1L_EUlS1K_E_NS1_11comp_targetILNS1_3genE2ELNS1_11target_archE906ELNS1_3gpuE6ELNS1_3repE0EEENS1_30default_config_static_selectorELNS0_4arch9wavefront6targetE1EEEvSY_.has_recursion, 0
	.set _ZN7rocprim17ROCPRIM_400000_NS6detail17trampoline_kernelINS0_13select_configILj256ELj13ELNS0_17block_load_methodE3ELS4_3ELS4_3ELNS0_20block_scan_algorithmE0ELj4294967295EEENS1_25partition_config_selectorILNS1_17partition_subalgoE3EjNS0_10empty_typeEbEEZZNS1_14partition_implILS8_3ELb0ES6_jNS0_17counting_iteratorIjlEEPS9_SE_NS0_5tupleIJPjSE_EEENSF_IJSE_SE_EEES9_SG_JZNS1_25segmented_radix_sort_implINS0_14default_configELb0EPKaPaPKlPlN2at6native12_GLOBAL__N_18offset_tEEE10hipError_tPvRmT1_PNSt15iterator_traitsISY_E10value_typeET2_T3_PNSZ_IS14_E10value_typeET4_jRbjT5_S1A_jjP12ihipStream_tbEUljE_EEESV_SW_SX_S14_S18_S1A_T6_T7_T9_mT8_S1C_bDpT10_ENKUlT_T0_E_clISt17integral_constantIbLb0EES1P_EEDaS1K_S1L_EUlS1K_E_NS1_11comp_targetILNS1_3genE2ELNS1_11target_archE906ELNS1_3gpuE6ELNS1_3repE0EEENS1_30default_config_static_selectorELNS0_4arch9wavefront6targetE1EEEvSY_.has_indirect_call, 0
	.section	.AMDGPU.csdata,"",@progbits
; Kernel info:
; codeLenInByte = 7612
; TotalNumSgprs: 52
; NumVgprs: 69
; ScratchSize: 0
; MemoryBound: 0
; FloatMode: 240
; IeeeMode: 1
; LDSByteSize: 13320 bytes/workgroup (compile time only)
; SGPRBlocks: 12
; VGPRBlocks: 17
; NumSGPRsForWavesPerEU: 102
; NumVGPRsForWavesPerEU: 69
; Occupancy: 3
; WaveLimiterHint : 0
; COMPUTE_PGM_RSRC2:SCRATCH_EN: 0
; COMPUTE_PGM_RSRC2:USER_SGPR: 6
; COMPUTE_PGM_RSRC2:TRAP_HANDLER: 0
; COMPUTE_PGM_RSRC2:TGID_X_EN: 1
; COMPUTE_PGM_RSRC2:TGID_Y_EN: 0
; COMPUTE_PGM_RSRC2:TGID_Z_EN: 0
; COMPUTE_PGM_RSRC2:TIDIG_COMP_CNT: 0
	.section	.text._ZN7rocprim17ROCPRIM_400000_NS6detail17trampoline_kernelINS0_13select_configILj256ELj13ELNS0_17block_load_methodE3ELS4_3ELS4_3ELNS0_20block_scan_algorithmE0ELj4294967295EEENS1_25partition_config_selectorILNS1_17partition_subalgoE3EjNS0_10empty_typeEbEEZZNS1_14partition_implILS8_3ELb0ES6_jNS0_17counting_iteratorIjlEEPS9_SE_NS0_5tupleIJPjSE_EEENSF_IJSE_SE_EEES9_SG_JZNS1_25segmented_radix_sort_implINS0_14default_configELb0EPKaPaPKlPlN2at6native12_GLOBAL__N_18offset_tEEE10hipError_tPvRmT1_PNSt15iterator_traitsISY_E10value_typeET2_T3_PNSZ_IS14_E10value_typeET4_jRbjT5_S1A_jjP12ihipStream_tbEUljE_EEESV_SW_SX_S14_S18_S1A_T6_T7_T9_mT8_S1C_bDpT10_ENKUlT_T0_E_clISt17integral_constantIbLb0EES1P_EEDaS1K_S1L_EUlS1K_E_NS1_11comp_targetILNS1_3genE10ELNS1_11target_archE1200ELNS1_3gpuE4ELNS1_3repE0EEENS1_30default_config_static_selectorELNS0_4arch9wavefront6targetE1EEEvSY_,"axG",@progbits,_ZN7rocprim17ROCPRIM_400000_NS6detail17trampoline_kernelINS0_13select_configILj256ELj13ELNS0_17block_load_methodE3ELS4_3ELS4_3ELNS0_20block_scan_algorithmE0ELj4294967295EEENS1_25partition_config_selectorILNS1_17partition_subalgoE3EjNS0_10empty_typeEbEEZZNS1_14partition_implILS8_3ELb0ES6_jNS0_17counting_iteratorIjlEEPS9_SE_NS0_5tupleIJPjSE_EEENSF_IJSE_SE_EEES9_SG_JZNS1_25segmented_radix_sort_implINS0_14default_configELb0EPKaPaPKlPlN2at6native12_GLOBAL__N_18offset_tEEE10hipError_tPvRmT1_PNSt15iterator_traitsISY_E10value_typeET2_T3_PNSZ_IS14_E10value_typeET4_jRbjT5_S1A_jjP12ihipStream_tbEUljE_EEESV_SW_SX_S14_S18_S1A_T6_T7_T9_mT8_S1C_bDpT10_ENKUlT_T0_E_clISt17integral_constantIbLb0EES1P_EEDaS1K_S1L_EUlS1K_E_NS1_11comp_targetILNS1_3genE10ELNS1_11target_archE1200ELNS1_3gpuE4ELNS1_3repE0EEENS1_30default_config_static_selectorELNS0_4arch9wavefront6targetE1EEEvSY_,comdat
	.globl	_ZN7rocprim17ROCPRIM_400000_NS6detail17trampoline_kernelINS0_13select_configILj256ELj13ELNS0_17block_load_methodE3ELS4_3ELS4_3ELNS0_20block_scan_algorithmE0ELj4294967295EEENS1_25partition_config_selectorILNS1_17partition_subalgoE3EjNS0_10empty_typeEbEEZZNS1_14partition_implILS8_3ELb0ES6_jNS0_17counting_iteratorIjlEEPS9_SE_NS0_5tupleIJPjSE_EEENSF_IJSE_SE_EEES9_SG_JZNS1_25segmented_radix_sort_implINS0_14default_configELb0EPKaPaPKlPlN2at6native12_GLOBAL__N_18offset_tEEE10hipError_tPvRmT1_PNSt15iterator_traitsISY_E10value_typeET2_T3_PNSZ_IS14_E10value_typeET4_jRbjT5_S1A_jjP12ihipStream_tbEUljE_EEESV_SW_SX_S14_S18_S1A_T6_T7_T9_mT8_S1C_bDpT10_ENKUlT_T0_E_clISt17integral_constantIbLb0EES1P_EEDaS1K_S1L_EUlS1K_E_NS1_11comp_targetILNS1_3genE10ELNS1_11target_archE1200ELNS1_3gpuE4ELNS1_3repE0EEENS1_30default_config_static_selectorELNS0_4arch9wavefront6targetE1EEEvSY_ ; -- Begin function _ZN7rocprim17ROCPRIM_400000_NS6detail17trampoline_kernelINS0_13select_configILj256ELj13ELNS0_17block_load_methodE3ELS4_3ELS4_3ELNS0_20block_scan_algorithmE0ELj4294967295EEENS1_25partition_config_selectorILNS1_17partition_subalgoE3EjNS0_10empty_typeEbEEZZNS1_14partition_implILS8_3ELb0ES6_jNS0_17counting_iteratorIjlEEPS9_SE_NS0_5tupleIJPjSE_EEENSF_IJSE_SE_EEES9_SG_JZNS1_25segmented_radix_sort_implINS0_14default_configELb0EPKaPaPKlPlN2at6native12_GLOBAL__N_18offset_tEEE10hipError_tPvRmT1_PNSt15iterator_traitsISY_E10value_typeET2_T3_PNSZ_IS14_E10value_typeET4_jRbjT5_S1A_jjP12ihipStream_tbEUljE_EEESV_SW_SX_S14_S18_S1A_T6_T7_T9_mT8_S1C_bDpT10_ENKUlT_T0_E_clISt17integral_constantIbLb0EES1P_EEDaS1K_S1L_EUlS1K_E_NS1_11comp_targetILNS1_3genE10ELNS1_11target_archE1200ELNS1_3gpuE4ELNS1_3repE0EEENS1_30default_config_static_selectorELNS0_4arch9wavefront6targetE1EEEvSY_
	.p2align	8
	.type	_ZN7rocprim17ROCPRIM_400000_NS6detail17trampoline_kernelINS0_13select_configILj256ELj13ELNS0_17block_load_methodE3ELS4_3ELS4_3ELNS0_20block_scan_algorithmE0ELj4294967295EEENS1_25partition_config_selectorILNS1_17partition_subalgoE3EjNS0_10empty_typeEbEEZZNS1_14partition_implILS8_3ELb0ES6_jNS0_17counting_iteratorIjlEEPS9_SE_NS0_5tupleIJPjSE_EEENSF_IJSE_SE_EEES9_SG_JZNS1_25segmented_radix_sort_implINS0_14default_configELb0EPKaPaPKlPlN2at6native12_GLOBAL__N_18offset_tEEE10hipError_tPvRmT1_PNSt15iterator_traitsISY_E10value_typeET2_T3_PNSZ_IS14_E10value_typeET4_jRbjT5_S1A_jjP12ihipStream_tbEUljE_EEESV_SW_SX_S14_S18_S1A_T6_T7_T9_mT8_S1C_bDpT10_ENKUlT_T0_E_clISt17integral_constantIbLb0EES1P_EEDaS1K_S1L_EUlS1K_E_NS1_11comp_targetILNS1_3genE10ELNS1_11target_archE1200ELNS1_3gpuE4ELNS1_3repE0EEENS1_30default_config_static_selectorELNS0_4arch9wavefront6targetE1EEEvSY_,@function
_ZN7rocprim17ROCPRIM_400000_NS6detail17trampoline_kernelINS0_13select_configILj256ELj13ELNS0_17block_load_methodE3ELS4_3ELS4_3ELNS0_20block_scan_algorithmE0ELj4294967295EEENS1_25partition_config_selectorILNS1_17partition_subalgoE3EjNS0_10empty_typeEbEEZZNS1_14partition_implILS8_3ELb0ES6_jNS0_17counting_iteratorIjlEEPS9_SE_NS0_5tupleIJPjSE_EEENSF_IJSE_SE_EEES9_SG_JZNS1_25segmented_radix_sort_implINS0_14default_configELb0EPKaPaPKlPlN2at6native12_GLOBAL__N_18offset_tEEE10hipError_tPvRmT1_PNSt15iterator_traitsISY_E10value_typeET2_T3_PNSZ_IS14_E10value_typeET4_jRbjT5_S1A_jjP12ihipStream_tbEUljE_EEESV_SW_SX_S14_S18_S1A_T6_T7_T9_mT8_S1C_bDpT10_ENKUlT_T0_E_clISt17integral_constantIbLb0EES1P_EEDaS1K_S1L_EUlS1K_E_NS1_11comp_targetILNS1_3genE10ELNS1_11target_archE1200ELNS1_3gpuE4ELNS1_3repE0EEENS1_30default_config_static_selectorELNS0_4arch9wavefront6targetE1EEEvSY_: ; @_ZN7rocprim17ROCPRIM_400000_NS6detail17trampoline_kernelINS0_13select_configILj256ELj13ELNS0_17block_load_methodE3ELS4_3ELS4_3ELNS0_20block_scan_algorithmE0ELj4294967295EEENS1_25partition_config_selectorILNS1_17partition_subalgoE3EjNS0_10empty_typeEbEEZZNS1_14partition_implILS8_3ELb0ES6_jNS0_17counting_iteratorIjlEEPS9_SE_NS0_5tupleIJPjSE_EEENSF_IJSE_SE_EEES9_SG_JZNS1_25segmented_radix_sort_implINS0_14default_configELb0EPKaPaPKlPlN2at6native12_GLOBAL__N_18offset_tEEE10hipError_tPvRmT1_PNSt15iterator_traitsISY_E10value_typeET2_T3_PNSZ_IS14_E10value_typeET4_jRbjT5_S1A_jjP12ihipStream_tbEUljE_EEESV_SW_SX_S14_S18_S1A_T6_T7_T9_mT8_S1C_bDpT10_ENKUlT_T0_E_clISt17integral_constantIbLb0EES1P_EEDaS1K_S1L_EUlS1K_E_NS1_11comp_targetILNS1_3genE10ELNS1_11target_archE1200ELNS1_3gpuE4ELNS1_3repE0EEENS1_30default_config_static_selectorELNS0_4arch9wavefront6targetE1EEEvSY_
; %bb.0:
	.section	.rodata,"a",@progbits
	.p2align	6, 0x0
	.amdhsa_kernel _ZN7rocprim17ROCPRIM_400000_NS6detail17trampoline_kernelINS0_13select_configILj256ELj13ELNS0_17block_load_methodE3ELS4_3ELS4_3ELNS0_20block_scan_algorithmE0ELj4294967295EEENS1_25partition_config_selectorILNS1_17partition_subalgoE3EjNS0_10empty_typeEbEEZZNS1_14partition_implILS8_3ELb0ES6_jNS0_17counting_iteratorIjlEEPS9_SE_NS0_5tupleIJPjSE_EEENSF_IJSE_SE_EEES9_SG_JZNS1_25segmented_radix_sort_implINS0_14default_configELb0EPKaPaPKlPlN2at6native12_GLOBAL__N_18offset_tEEE10hipError_tPvRmT1_PNSt15iterator_traitsISY_E10value_typeET2_T3_PNSZ_IS14_E10value_typeET4_jRbjT5_S1A_jjP12ihipStream_tbEUljE_EEESV_SW_SX_S14_S18_S1A_T6_T7_T9_mT8_S1C_bDpT10_ENKUlT_T0_E_clISt17integral_constantIbLb0EES1P_EEDaS1K_S1L_EUlS1K_E_NS1_11comp_targetILNS1_3genE10ELNS1_11target_archE1200ELNS1_3gpuE4ELNS1_3repE0EEENS1_30default_config_static_selectorELNS0_4arch9wavefront6targetE1EEEvSY_
		.amdhsa_group_segment_fixed_size 0
		.amdhsa_private_segment_fixed_size 0
		.amdhsa_kernarg_size 144
		.amdhsa_user_sgpr_count 6
		.amdhsa_user_sgpr_private_segment_buffer 1
		.amdhsa_user_sgpr_dispatch_ptr 0
		.amdhsa_user_sgpr_queue_ptr 0
		.amdhsa_user_sgpr_kernarg_segment_ptr 1
		.amdhsa_user_sgpr_dispatch_id 0
		.amdhsa_user_sgpr_flat_scratch_init 0
		.amdhsa_user_sgpr_private_segment_size 0
		.amdhsa_uses_dynamic_stack 0
		.amdhsa_system_sgpr_private_segment_wavefront_offset 0
		.amdhsa_system_sgpr_workgroup_id_x 1
		.amdhsa_system_sgpr_workgroup_id_y 0
		.amdhsa_system_sgpr_workgroup_id_z 0
		.amdhsa_system_sgpr_workgroup_info 0
		.amdhsa_system_vgpr_workitem_id 0
		.amdhsa_next_free_vgpr 1
		.amdhsa_next_free_sgpr 0
		.amdhsa_reserve_vcc 0
		.amdhsa_reserve_flat_scratch 0
		.amdhsa_float_round_mode_32 0
		.amdhsa_float_round_mode_16_64 0
		.amdhsa_float_denorm_mode_32 3
		.amdhsa_float_denorm_mode_16_64 3
		.amdhsa_dx10_clamp 1
		.amdhsa_ieee_mode 1
		.amdhsa_fp16_overflow 0
		.amdhsa_exception_fp_ieee_invalid_op 0
		.amdhsa_exception_fp_denorm_src 0
		.amdhsa_exception_fp_ieee_div_zero 0
		.amdhsa_exception_fp_ieee_overflow 0
		.amdhsa_exception_fp_ieee_underflow 0
		.amdhsa_exception_fp_ieee_inexact 0
		.amdhsa_exception_int_div_zero 0
	.end_amdhsa_kernel
	.section	.text._ZN7rocprim17ROCPRIM_400000_NS6detail17trampoline_kernelINS0_13select_configILj256ELj13ELNS0_17block_load_methodE3ELS4_3ELS4_3ELNS0_20block_scan_algorithmE0ELj4294967295EEENS1_25partition_config_selectorILNS1_17partition_subalgoE3EjNS0_10empty_typeEbEEZZNS1_14partition_implILS8_3ELb0ES6_jNS0_17counting_iteratorIjlEEPS9_SE_NS0_5tupleIJPjSE_EEENSF_IJSE_SE_EEES9_SG_JZNS1_25segmented_radix_sort_implINS0_14default_configELb0EPKaPaPKlPlN2at6native12_GLOBAL__N_18offset_tEEE10hipError_tPvRmT1_PNSt15iterator_traitsISY_E10value_typeET2_T3_PNSZ_IS14_E10value_typeET4_jRbjT5_S1A_jjP12ihipStream_tbEUljE_EEESV_SW_SX_S14_S18_S1A_T6_T7_T9_mT8_S1C_bDpT10_ENKUlT_T0_E_clISt17integral_constantIbLb0EES1P_EEDaS1K_S1L_EUlS1K_E_NS1_11comp_targetILNS1_3genE10ELNS1_11target_archE1200ELNS1_3gpuE4ELNS1_3repE0EEENS1_30default_config_static_selectorELNS0_4arch9wavefront6targetE1EEEvSY_,"axG",@progbits,_ZN7rocprim17ROCPRIM_400000_NS6detail17trampoline_kernelINS0_13select_configILj256ELj13ELNS0_17block_load_methodE3ELS4_3ELS4_3ELNS0_20block_scan_algorithmE0ELj4294967295EEENS1_25partition_config_selectorILNS1_17partition_subalgoE3EjNS0_10empty_typeEbEEZZNS1_14partition_implILS8_3ELb0ES6_jNS0_17counting_iteratorIjlEEPS9_SE_NS0_5tupleIJPjSE_EEENSF_IJSE_SE_EEES9_SG_JZNS1_25segmented_radix_sort_implINS0_14default_configELb0EPKaPaPKlPlN2at6native12_GLOBAL__N_18offset_tEEE10hipError_tPvRmT1_PNSt15iterator_traitsISY_E10value_typeET2_T3_PNSZ_IS14_E10value_typeET4_jRbjT5_S1A_jjP12ihipStream_tbEUljE_EEESV_SW_SX_S14_S18_S1A_T6_T7_T9_mT8_S1C_bDpT10_ENKUlT_T0_E_clISt17integral_constantIbLb0EES1P_EEDaS1K_S1L_EUlS1K_E_NS1_11comp_targetILNS1_3genE10ELNS1_11target_archE1200ELNS1_3gpuE4ELNS1_3repE0EEENS1_30default_config_static_selectorELNS0_4arch9wavefront6targetE1EEEvSY_,comdat
.Lfunc_end366:
	.size	_ZN7rocprim17ROCPRIM_400000_NS6detail17trampoline_kernelINS0_13select_configILj256ELj13ELNS0_17block_load_methodE3ELS4_3ELS4_3ELNS0_20block_scan_algorithmE0ELj4294967295EEENS1_25partition_config_selectorILNS1_17partition_subalgoE3EjNS0_10empty_typeEbEEZZNS1_14partition_implILS8_3ELb0ES6_jNS0_17counting_iteratorIjlEEPS9_SE_NS0_5tupleIJPjSE_EEENSF_IJSE_SE_EEES9_SG_JZNS1_25segmented_radix_sort_implINS0_14default_configELb0EPKaPaPKlPlN2at6native12_GLOBAL__N_18offset_tEEE10hipError_tPvRmT1_PNSt15iterator_traitsISY_E10value_typeET2_T3_PNSZ_IS14_E10value_typeET4_jRbjT5_S1A_jjP12ihipStream_tbEUljE_EEESV_SW_SX_S14_S18_S1A_T6_T7_T9_mT8_S1C_bDpT10_ENKUlT_T0_E_clISt17integral_constantIbLb0EES1P_EEDaS1K_S1L_EUlS1K_E_NS1_11comp_targetILNS1_3genE10ELNS1_11target_archE1200ELNS1_3gpuE4ELNS1_3repE0EEENS1_30default_config_static_selectorELNS0_4arch9wavefront6targetE1EEEvSY_, .Lfunc_end366-_ZN7rocprim17ROCPRIM_400000_NS6detail17trampoline_kernelINS0_13select_configILj256ELj13ELNS0_17block_load_methodE3ELS4_3ELS4_3ELNS0_20block_scan_algorithmE0ELj4294967295EEENS1_25partition_config_selectorILNS1_17partition_subalgoE3EjNS0_10empty_typeEbEEZZNS1_14partition_implILS8_3ELb0ES6_jNS0_17counting_iteratorIjlEEPS9_SE_NS0_5tupleIJPjSE_EEENSF_IJSE_SE_EEES9_SG_JZNS1_25segmented_radix_sort_implINS0_14default_configELb0EPKaPaPKlPlN2at6native12_GLOBAL__N_18offset_tEEE10hipError_tPvRmT1_PNSt15iterator_traitsISY_E10value_typeET2_T3_PNSZ_IS14_E10value_typeET4_jRbjT5_S1A_jjP12ihipStream_tbEUljE_EEESV_SW_SX_S14_S18_S1A_T6_T7_T9_mT8_S1C_bDpT10_ENKUlT_T0_E_clISt17integral_constantIbLb0EES1P_EEDaS1K_S1L_EUlS1K_E_NS1_11comp_targetILNS1_3genE10ELNS1_11target_archE1200ELNS1_3gpuE4ELNS1_3repE0EEENS1_30default_config_static_selectorELNS0_4arch9wavefront6targetE1EEEvSY_
                                        ; -- End function
	.set _ZN7rocprim17ROCPRIM_400000_NS6detail17trampoline_kernelINS0_13select_configILj256ELj13ELNS0_17block_load_methodE3ELS4_3ELS4_3ELNS0_20block_scan_algorithmE0ELj4294967295EEENS1_25partition_config_selectorILNS1_17partition_subalgoE3EjNS0_10empty_typeEbEEZZNS1_14partition_implILS8_3ELb0ES6_jNS0_17counting_iteratorIjlEEPS9_SE_NS0_5tupleIJPjSE_EEENSF_IJSE_SE_EEES9_SG_JZNS1_25segmented_radix_sort_implINS0_14default_configELb0EPKaPaPKlPlN2at6native12_GLOBAL__N_18offset_tEEE10hipError_tPvRmT1_PNSt15iterator_traitsISY_E10value_typeET2_T3_PNSZ_IS14_E10value_typeET4_jRbjT5_S1A_jjP12ihipStream_tbEUljE_EEESV_SW_SX_S14_S18_S1A_T6_T7_T9_mT8_S1C_bDpT10_ENKUlT_T0_E_clISt17integral_constantIbLb0EES1P_EEDaS1K_S1L_EUlS1K_E_NS1_11comp_targetILNS1_3genE10ELNS1_11target_archE1200ELNS1_3gpuE4ELNS1_3repE0EEENS1_30default_config_static_selectorELNS0_4arch9wavefront6targetE1EEEvSY_.num_vgpr, 0
	.set _ZN7rocprim17ROCPRIM_400000_NS6detail17trampoline_kernelINS0_13select_configILj256ELj13ELNS0_17block_load_methodE3ELS4_3ELS4_3ELNS0_20block_scan_algorithmE0ELj4294967295EEENS1_25partition_config_selectorILNS1_17partition_subalgoE3EjNS0_10empty_typeEbEEZZNS1_14partition_implILS8_3ELb0ES6_jNS0_17counting_iteratorIjlEEPS9_SE_NS0_5tupleIJPjSE_EEENSF_IJSE_SE_EEES9_SG_JZNS1_25segmented_radix_sort_implINS0_14default_configELb0EPKaPaPKlPlN2at6native12_GLOBAL__N_18offset_tEEE10hipError_tPvRmT1_PNSt15iterator_traitsISY_E10value_typeET2_T3_PNSZ_IS14_E10value_typeET4_jRbjT5_S1A_jjP12ihipStream_tbEUljE_EEESV_SW_SX_S14_S18_S1A_T6_T7_T9_mT8_S1C_bDpT10_ENKUlT_T0_E_clISt17integral_constantIbLb0EES1P_EEDaS1K_S1L_EUlS1K_E_NS1_11comp_targetILNS1_3genE10ELNS1_11target_archE1200ELNS1_3gpuE4ELNS1_3repE0EEENS1_30default_config_static_selectorELNS0_4arch9wavefront6targetE1EEEvSY_.num_agpr, 0
	.set _ZN7rocprim17ROCPRIM_400000_NS6detail17trampoline_kernelINS0_13select_configILj256ELj13ELNS0_17block_load_methodE3ELS4_3ELS4_3ELNS0_20block_scan_algorithmE0ELj4294967295EEENS1_25partition_config_selectorILNS1_17partition_subalgoE3EjNS0_10empty_typeEbEEZZNS1_14partition_implILS8_3ELb0ES6_jNS0_17counting_iteratorIjlEEPS9_SE_NS0_5tupleIJPjSE_EEENSF_IJSE_SE_EEES9_SG_JZNS1_25segmented_radix_sort_implINS0_14default_configELb0EPKaPaPKlPlN2at6native12_GLOBAL__N_18offset_tEEE10hipError_tPvRmT1_PNSt15iterator_traitsISY_E10value_typeET2_T3_PNSZ_IS14_E10value_typeET4_jRbjT5_S1A_jjP12ihipStream_tbEUljE_EEESV_SW_SX_S14_S18_S1A_T6_T7_T9_mT8_S1C_bDpT10_ENKUlT_T0_E_clISt17integral_constantIbLb0EES1P_EEDaS1K_S1L_EUlS1K_E_NS1_11comp_targetILNS1_3genE10ELNS1_11target_archE1200ELNS1_3gpuE4ELNS1_3repE0EEENS1_30default_config_static_selectorELNS0_4arch9wavefront6targetE1EEEvSY_.numbered_sgpr, 0
	.set _ZN7rocprim17ROCPRIM_400000_NS6detail17trampoline_kernelINS0_13select_configILj256ELj13ELNS0_17block_load_methodE3ELS4_3ELS4_3ELNS0_20block_scan_algorithmE0ELj4294967295EEENS1_25partition_config_selectorILNS1_17partition_subalgoE3EjNS0_10empty_typeEbEEZZNS1_14partition_implILS8_3ELb0ES6_jNS0_17counting_iteratorIjlEEPS9_SE_NS0_5tupleIJPjSE_EEENSF_IJSE_SE_EEES9_SG_JZNS1_25segmented_radix_sort_implINS0_14default_configELb0EPKaPaPKlPlN2at6native12_GLOBAL__N_18offset_tEEE10hipError_tPvRmT1_PNSt15iterator_traitsISY_E10value_typeET2_T3_PNSZ_IS14_E10value_typeET4_jRbjT5_S1A_jjP12ihipStream_tbEUljE_EEESV_SW_SX_S14_S18_S1A_T6_T7_T9_mT8_S1C_bDpT10_ENKUlT_T0_E_clISt17integral_constantIbLb0EES1P_EEDaS1K_S1L_EUlS1K_E_NS1_11comp_targetILNS1_3genE10ELNS1_11target_archE1200ELNS1_3gpuE4ELNS1_3repE0EEENS1_30default_config_static_selectorELNS0_4arch9wavefront6targetE1EEEvSY_.num_named_barrier, 0
	.set _ZN7rocprim17ROCPRIM_400000_NS6detail17trampoline_kernelINS0_13select_configILj256ELj13ELNS0_17block_load_methodE3ELS4_3ELS4_3ELNS0_20block_scan_algorithmE0ELj4294967295EEENS1_25partition_config_selectorILNS1_17partition_subalgoE3EjNS0_10empty_typeEbEEZZNS1_14partition_implILS8_3ELb0ES6_jNS0_17counting_iteratorIjlEEPS9_SE_NS0_5tupleIJPjSE_EEENSF_IJSE_SE_EEES9_SG_JZNS1_25segmented_radix_sort_implINS0_14default_configELb0EPKaPaPKlPlN2at6native12_GLOBAL__N_18offset_tEEE10hipError_tPvRmT1_PNSt15iterator_traitsISY_E10value_typeET2_T3_PNSZ_IS14_E10value_typeET4_jRbjT5_S1A_jjP12ihipStream_tbEUljE_EEESV_SW_SX_S14_S18_S1A_T6_T7_T9_mT8_S1C_bDpT10_ENKUlT_T0_E_clISt17integral_constantIbLb0EES1P_EEDaS1K_S1L_EUlS1K_E_NS1_11comp_targetILNS1_3genE10ELNS1_11target_archE1200ELNS1_3gpuE4ELNS1_3repE0EEENS1_30default_config_static_selectorELNS0_4arch9wavefront6targetE1EEEvSY_.private_seg_size, 0
	.set _ZN7rocprim17ROCPRIM_400000_NS6detail17trampoline_kernelINS0_13select_configILj256ELj13ELNS0_17block_load_methodE3ELS4_3ELS4_3ELNS0_20block_scan_algorithmE0ELj4294967295EEENS1_25partition_config_selectorILNS1_17partition_subalgoE3EjNS0_10empty_typeEbEEZZNS1_14partition_implILS8_3ELb0ES6_jNS0_17counting_iteratorIjlEEPS9_SE_NS0_5tupleIJPjSE_EEENSF_IJSE_SE_EEES9_SG_JZNS1_25segmented_radix_sort_implINS0_14default_configELb0EPKaPaPKlPlN2at6native12_GLOBAL__N_18offset_tEEE10hipError_tPvRmT1_PNSt15iterator_traitsISY_E10value_typeET2_T3_PNSZ_IS14_E10value_typeET4_jRbjT5_S1A_jjP12ihipStream_tbEUljE_EEESV_SW_SX_S14_S18_S1A_T6_T7_T9_mT8_S1C_bDpT10_ENKUlT_T0_E_clISt17integral_constantIbLb0EES1P_EEDaS1K_S1L_EUlS1K_E_NS1_11comp_targetILNS1_3genE10ELNS1_11target_archE1200ELNS1_3gpuE4ELNS1_3repE0EEENS1_30default_config_static_selectorELNS0_4arch9wavefront6targetE1EEEvSY_.uses_vcc, 0
	.set _ZN7rocprim17ROCPRIM_400000_NS6detail17trampoline_kernelINS0_13select_configILj256ELj13ELNS0_17block_load_methodE3ELS4_3ELS4_3ELNS0_20block_scan_algorithmE0ELj4294967295EEENS1_25partition_config_selectorILNS1_17partition_subalgoE3EjNS0_10empty_typeEbEEZZNS1_14partition_implILS8_3ELb0ES6_jNS0_17counting_iteratorIjlEEPS9_SE_NS0_5tupleIJPjSE_EEENSF_IJSE_SE_EEES9_SG_JZNS1_25segmented_radix_sort_implINS0_14default_configELb0EPKaPaPKlPlN2at6native12_GLOBAL__N_18offset_tEEE10hipError_tPvRmT1_PNSt15iterator_traitsISY_E10value_typeET2_T3_PNSZ_IS14_E10value_typeET4_jRbjT5_S1A_jjP12ihipStream_tbEUljE_EEESV_SW_SX_S14_S18_S1A_T6_T7_T9_mT8_S1C_bDpT10_ENKUlT_T0_E_clISt17integral_constantIbLb0EES1P_EEDaS1K_S1L_EUlS1K_E_NS1_11comp_targetILNS1_3genE10ELNS1_11target_archE1200ELNS1_3gpuE4ELNS1_3repE0EEENS1_30default_config_static_selectorELNS0_4arch9wavefront6targetE1EEEvSY_.uses_flat_scratch, 0
	.set _ZN7rocprim17ROCPRIM_400000_NS6detail17trampoline_kernelINS0_13select_configILj256ELj13ELNS0_17block_load_methodE3ELS4_3ELS4_3ELNS0_20block_scan_algorithmE0ELj4294967295EEENS1_25partition_config_selectorILNS1_17partition_subalgoE3EjNS0_10empty_typeEbEEZZNS1_14partition_implILS8_3ELb0ES6_jNS0_17counting_iteratorIjlEEPS9_SE_NS0_5tupleIJPjSE_EEENSF_IJSE_SE_EEES9_SG_JZNS1_25segmented_radix_sort_implINS0_14default_configELb0EPKaPaPKlPlN2at6native12_GLOBAL__N_18offset_tEEE10hipError_tPvRmT1_PNSt15iterator_traitsISY_E10value_typeET2_T3_PNSZ_IS14_E10value_typeET4_jRbjT5_S1A_jjP12ihipStream_tbEUljE_EEESV_SW_SX_S14_S18_S1A_T6_T7_T9_mT8_S1C_bDpT10_ENKUlT_T0_E_clISt17integral_constantIbLb0EES1P_EEDaS1K_S1L_EUlS1K_E_NS1_11comp_targetILNS1_3genE10ELNS1_11target_archE1200ELNS1_3gpuE4ELNS1_3repE0EEENS1_30default_config_static_selectorELNS0_4arch9wavefront6targetE1EEEvSY_.has_dyn_sized_stack, 0
	.set _ZN7rocprim17ROCPRIM_400000_NS6detail17trampoline_kernelINS0_13select_configILj256ELj13ELNS0_17block_load_methodE3ELS4_3ELS4_3ELNS0_20block_scan_algorithmE0ELj4294967295EEENS1_25partition_config_selectorILNS1_17partition_subalgoE3EjNS0_10empty_typeEbEEZZNS1_14partition_implILS8_3ELb0ES6_jNS0_17counting_iteratorIjlEEPS9_SE_NS0_5tupleIJPjSE_EEENSF_IJSE_SE_EEES9_SG_JZNS1_25segmented_radix_sort_implINS0_14default_configELb0EPKaPaPKlPlN2at6native12_GLOBAL__N_18offset_tEEE10hipError_tPvRmT1_PNSt15iterator_traitsISY_E10value_typeET2_T3_PNSZ_IS14_E10value_typeET4_jRbjT5_S1A_jjP12ihipStream_tbEUljE_EEESV_SW_SX_S14_S18_S1A_T6_T7_T9_mT8_S1C_bDpT10_ENKUlT_T0_E_clISt17integral_constantIbLb0EES1P_EEDaS1K_S1L_EUlS1K_E_NS1_11comp_targetILNS1_3genE10ELNS1_11target_archE1200ELNS1_3gpuE4ELNS1_3repE0EEENS1_30default_config_static_selectorELNS0_4arch9wavefront6targetE1EEEvSY_.has_recursion, 0
	.set _ZN7rocprim17ROCPRIM_400000_NS6detail17trampoline_kernelINS0_13select_configILj256ELj13ELNS0_17block_load_methodE3ELS4_3ELS4_3ELNS0_20block_scan_algorithmE0ELj4294967295EEENS1_25partition_config_selectorILNS1_17partition_subalgoE3EjNS0_10empty_typeEbEEZZNS1_14partition_implILS8_3ELb0ES6_jNS0_17counting_iteratorIjlEEPS9_SE_NS0_5tupleIJPjSE_EEENSF_IJSE_SE_EEES9_SG_JZNS1_25segmented_radix_sort_implINS0_14default_configELb0EPKaPaPKlPlN2at6native12_GLOBAL__N_18offset_tEEE10hipError_tPvRmT1_PNSt15iterator_traitsISY_E10value_typeET2_T3_PNSZ_IS14_E10value_typeET4_jRbjT5_S1A_jjP12ihipStream_tbEUljE_EEESV_SW_SX_S14_S18_S1A_T6_T7_T9_mT8_S1C_bDpT10_ENKUlT_T0_E_clISt17integral_constantIbLb0EES1P_EEDaS1K_S1L_EUlS1K_E_NS1_11comp_targetILNS1_3genE10ELNS1_11target_archE1200ELNS1_3gpuE4ELNS1_3repE0EEENS1_30default_config_static_selectorELNS0_4arch9wavefront6targetE1EEEvSY_.has_indirect_call, 0
	.section	.AMDGPU.csdata,"",@progbits
; Kernel info:
; codeLenInByte = 0
; TotalNumSgprs: 4
; NumVgprs: 0
; ScratchSize: 0
; MemoryBound: 0
; FloatMode: 240
; IeeeMode: 1
; LDSByteSize: 0 bytes/workgroup (compile time only)
; SGPRBlocks: 0
; VGPRBlocks: 0
; NumSGPRsForWavesPerEU: 4
; NumVGPRsForWavesPerEU: 1
; Occupancy: 10
; WaveLimiterHint : 0
; COMPUTE_PGM_RSRC2:SCRATCH_EN: 0
; COMPUTE_PGM_RSRC2:USER_SGPR: 6
; COMPUTE_PGM_RSRC2:TRAP_HANDLER: 0
; COMPUTE_PGM_RSRC2:TGID_X_EN: 1
; COMPUTE_PGM_RSRC2:TGID_Y_EN: 0
; COMPUTE_PGM_RSRC2:TGID_Z_EN: 0
; COMPUTE_PGM_RSRC2:TIDIG_COMP_CNT: 0
	.section	.text._ZN7rocprim17ROCPRIM_400000_NS6detail17trampoline_kernelINS0_13select_configILj256ELj13ELNS0_17block_load_methodE3ELS4_3ELS4_3ELNS0_20block_scan_algorithmE0ELj4294967295EEENS1_25partition_config_selectorILNS1_17partition_subalgoE3EjNS0_10empty_typeEbEEZZNS1_14partition_implILS8_3ELb0ES6_jNS0_17counting_iteratorIjlEEPS9_SE_NS0_5tupleIJPjSE_EEENSF_IJSE_SE_EEES9_SG_JZNS1_25segmented_radix_sort_implINS0_14default_configELb0EPKaPaPKlPlN2at6native12_GLOBAL__N_18offset_tEEE10hipError_tPvRmT1_PNSt15iterator_traitsISY_E10value_typeET2_T3_PNSZ_IS14_E10value_typeET4_jRbjT5_S1A_jjP12ihipStream_tbEUljE_EEESV_SW_SX_S14_S18_S1A_T6_T7_T9_mT8_S1C_bDpT10_ENKUlT_T0_E_clISt17integral_constantIbLb0EES1P_EEDaS1K_S1L_EUlS1K_E_NS1_11comp_targetILNS1_3genE9ELNS1_11target_archE1100ELNS1_3gpuE3ELNS1_3repE0EEENS1_30default_config_static_selectorELNS0_4arch9wavefront6targetE1EEEvSY_,"axG",@progbits,_ZN7rocprim17ROCPRIM_400000_NS6detail17trampoline_kernelINS0_13select_configILj256ELj13ELNS0_17block_load_methodE3ELS4_3ELS4_3ELNS0_20block_scan_algorithmE0ELj4294967295EEENS1_25partition_config_selectorILNS1_17partition_subalgoE3EjNS0_10empty_typeEbEEZZNS1_14partition_implILS8_3ELb0ES6_jNS0_17counting_iteratorIjlEEPS9_SE_NS0_5tupleIJPjSE_EEENSF_IJSE_SE_EEES9_SG_JZNS1_25segmented_radix_sort_implINS0_14default_configELb0EPKaPaPKlPlN2at6native12_GLOBAL__N_18offset_tEEE10hipError_tPvRmT1_PNSt15iterator_traitsISY_E10value_typeET2_T3_PNSZ_IS14_E10value_typeET4_jRbjT5_S1A_jjP12ihipStream_tbEUljE_EEESV_SW_SX_S14_S18_S1A_T6_T7_T9_mT8_S1C_bDpT10_ENKUlT_T0_E_clISt17integral_constantIbLb0EES1P_EEDaS1K_S1L_EUlS1K_E_NS1_11comp_targetILNS1_3genE9ELNS1_11target_archE1100ELNS1_3gpuE3ELNS1_3repE0EEENS1_30default_config_static_selectorELNS0_4arch9wavefront6targetE1EEEvSY_,comdat
	.globl	_ZN7rocprim17ROCPRIM_400000_NS6detail17trampoline_kernelINS0_13select_configILj256ELj13ELNS0_17block_load_methodE3ELS4_3ELS4_3ELNS0_20block_scan_algorithmE0ELj4294967295EEENS1_25partition_config_selectorILNS1_17partition_subalgoE3EjNS0_10empty_typeEbEEZZNS1_14partition_implILS8_3ELb0ES6_jNS0_17counting_iteratorIjlEEPS9_SE_NS0_5tupleIJPjSE_EEENSF_IJSE_SE_EEES9_SG_JZNS1_25segmented_radix_sort_implINS0_14default_configELb0EPKaPaPKlPlN2at6native12_GLOBAL__N_18offset_tEEE10hipError_tPvRmT1_PNSt15iterator_traitsISY_E10value_typeET2_T3_PNSZ_IS14_E10value_typeET4_jRbjT5_S1A_jjP12ihipStream_tbEUljE_EEESV_SW_SX_S14_S18_S1A_T6_T7_T9_mT8_S1C_bDpT10_ENKUlT_T0_E_clISt17integral_constantIbLb0EES1P_EEDaS1K_S1L_EUlS1K_E_NS1_11comp_targetILNS1_3genE9ELNS1_11target_archE1100ELNS1_3gpuE3ELNS1_3repE0EEENS1_30default_config_static_selectorELNS0_4arch9wavefront6targetE1EEEvSY_ ; -- Begin function _ZN7rocprim17ROCPRIM_400000_NS6detail17trampoline_kernelINS0_13select_configILj256ELj13ELNS0_17block_load_methodE3ELS4_3ELS4_3ELNS0_20block_scan_algorithmE0ELj4294967295EEENS1_25partition_config_selectorILNS1_17partition_subalgoE3EjNS0_10empty_typeEbEEZZNS1_14partition_implILS8_3ELb0ES6_jNS0_17counting_iteratorIjlEEPS9_SE_NS0_5tupleIJPjSE_EEENSF_IJSE_SE_EEES9_SG_JZNS1_25segmented_radix_sort_implINS0_14default_configELb0EPKaPaPKlPlN2at6native12_GLOBAL__N_18offset_tEEE10hipError_tPvRmT1_PNSt15iterator_traitsISY_E10value_typeET2_T3_PNSZ_IS14_E10value_typeET4_jRbjT5_S1A_jjP12ihipStream_tbEUljE_EEESV_SW_SX_S14_S18_S1A_T6_T7_T9_mT8_S1C_bDpT10_ENKUlT_T0_E_clISt17integral_constantIbLb0EES1P_EEDaS1K_S1L_EUlS1K_E_NS1_11comp_targetILNS1_3genE9ELNS1_11target_archE1100ELNS1_3gpuE3ELNS1_3repE0EEENS1_30default_config_static_selectorELNS0_4arch9wavefront6targetE1EEEvSY_
	.p2align	8
	.type	_ZN7rocprim17ROCPRIM_400000_NS6detail17trampoline_kernelINS0_13select_configILj256ELj13ELNS0_17block_load_methodE3ELS4_3ELS4_3ELNS0_20block_scan_algorithmE0ELj4294967295EEENS1_25partition_config_selectorILNS1_17partition_subalgoE3EjNS0_10empty_typeEbEEZZNS1_14partition_implILS8_3ELb0ES6_jNS0_17counting_iteratorIjlEEPS9_SE_NS0_5tupleIJPjSE_EEENSF_IJSE_SE_EEES9_SG_JZNS1_25segmented_radix_sort_implINS0_14default_configELb0EPKaPaPKlPlN2at6native12_GLOBAL__N_18offset_tEEE10hipError_tPvRmT1_PNSt15iterator_traitsISY_E10value_typeET2_T3_PNSZ_IS14_E10value_typeET4_jRbjT5_S1A_jjP12ihipStream_tbEUljE_EEESV_SW_SX_S14_S18_S1A_T6_T7_T9_mT8_S1C_bDpT10_ENKUlT_T0_E_clISt17integral_constantIbLb0EES1P_EEDaS1K_S1L_EUlS1K_E_NS1_11comp_targetILNS1_3genE9ELNS1_11target_archE1100ELNS1_3gpuE3ELNS1_3repE0EEENS1_30default_config_static_selectorELNS0_4arch9wavefront6targetE1EEEvSY_,@function
_ZN7rocprim17ROCPRIM_400000_NS6detail17trampoline_kernelINS0_13select_configILj256ELj13ELNS0_17block_load_methodE3ELS4_3ELS4_3ELNS0_20block_scan_algorithmE0ELj4294967295EEENS1_25partition_config_selectorILNS1_17partition_subalgoE3EjNS0_10empty_typeEbEEZZNS1_14partition_implILS8_3ELb0ES6_jNS0_17counting_iteratorIjlEEPS9_SE_NS0_5tupleIJPjSE_EEENSF_IJSE_SE_EEES9_SG_JZNS1_25segmented_radix_sort_implINS0_14default_configELb0EPKaPaPKlPlN2at6native12_GLOBAL__N_18offset_tEEE10hipError_tPvRmT1_PNSt15iterator_traitsISY_E10value_typeET2_T3_PNSZ_IS14_E10value_typeET4_jRbjT5_S1A_jjP12ihipStream_tbEUljE_EEESV_SW_SX_S14_S18_S1A_T6_T7_T9_mT8_S1C_bDpT10_ENKUlT_T0_E_clISt17integral_constantIbLb0EES1P_EEDaS1K_S1L_EUlS1K_E_NS1_11comp_targetILNS1_3genE9ELNS1_11target_archE1100ELNS1_3gpuE3ELNS1_3repE0EEENS1_30default_config_static_selectorELNS0_4arch9wavefront6targetE1EEEvSY_: ; @_ZN7rocprim17ROCPRIM_400000_NS6detail17trampoline_kernelINS0_13select_configILj256ELj13ELNS0_17block_load_methodE3ELS4_3ELS4_3ELNS0_20block_scan_algorithmE0ELj4294967295EEENS1_25partition_config_selectorILNS1_17partition_subalgoE3EjNS0_10empty_typeEbEEZZNS1_14partition_implILS8_3ELb0ES6_jNS0_17counting_iteratorIjlEEPS9_SE_NS0_5tupleIJPjSE_EEENSF_IJSE_SE_EEES9_SG_JZNS1_25segmented_radix_sort_implINS0_14default_configELb0EPKaPaPKlPlN2at6native12_GLOBAL__N_18offset_tEEE10hipError_tPvRmT1_PNSt15iterator_traitsISY_E10value_typeET2_T3_PNSZ_IS14_E10value_typeET4_jRbjT5_S1A_jjP12ihipStream_tbEUljE_EEESV_SW_SX_S14_S18_S1A_T6_T7_T9_mT8_S1C_bDpT10_ENKUlT_T0_E_clISt17integral_constantIbLb0EES1P_EEDaS1K_S1L_EUlS1K_E_NS1_11comp_targetILNS1_3genE9ELNS1_11target_archE1100ELNS1_3gpuE3ELNS1_3repE0EEENS1_30default_config_static_selectorELNS0_4arch9wavefront6targetE1EEEvSY_
; %bb.0:
	.section	.rodata,"a",@progbits
	.p2align	6, 0x0
	.amdhsa_kernel _ZN7rocprim17ROCPRIM_400000_NS6detail17trampoline_kernelINS0_13select_configILj256ELj13ELNS0_17block_load_methodE3ELS4_3ELS4_3ELNS0_20block_scan_algorithmE0ELj4294967295EEENS1_25partition_config_selectorILNS1_17partition_subalgoE3EjNS0_10empty_typeEbEEZZNS1_14partition_implILS8_3ELb0ES6_jNS0_17counting_iteratorIjlEEPS9_SE_NS0_5tupleIJPjSE_EEENSF_IJSE_SE_EEES9_SG_JZNS1_25segmented_radix_sort_implINS0_14default_configELb0EPKaPaPKlPlN2at6native12_GLOBAL__N_18offset_tEEE10hipError_tPvRmT1_PNSt15iterator_traitsISY_E10value_typeET2_T3_PNSZ_IS14_E10value_typeET4_jRbjT5_S1A_jjP12ihipStream_tbEUljE_EEESV_SW_SX_S14_S18_S1A_T6_T7_T9_mT8_S1C_bDpT10_ENKUlT_T0_E_clISt17integral_constantIbLb0EES1P_EEDaS1K_S1L_EUlS1K_E_NS1_11comp_targetILNS1_3genE9ELNS1_11target_archE1100ELNS1_3gpuE3ELNS1_3repE0EEENS1_30default_config_static_selectorELNS0_4arch9wavefront6targetE1EEEvSY_
		.amdhsa_group_segment_fixed_size 0
		.amdhsa_private_segment_fixed_size 0
		.amdhsa_kernarg_size 144
		.amdhsa_user_sgpr_count 6
		.amdhsa_user_sgpr_private_segment_buffer 1
		.amdhsa_user_sgpr_dispatch_ptr 0
		.amdhsa_user_sgpr_queue_ptr 0
		.amdhsa_user_sgpr_kernarg_segment_ptr 1
		.amdhsa_user_sgpr_dispatch_id 0
		.amdhsa_user_sgpr_flat_scratch_init 0
		.amdhsa_user_sgpr_private_segment_size 0
		.amdhsa_uses_dynamic_stack 0
		.amdhsa_system_sgpr_private_segment_wavefront_offset 0
		.amdhsa_system_sgpr_workgroup_id_x 1
		.amdhsa_system_sgpr_workgroup_id_y 0
		.amdhsa_system_sgpr_workgroup_id_z 0
		.amdhsa_system_sgpr_workgroup_info 0
		.amdhsa_system_vgpr_workitem_id 0
		.amdhsa_next_free_vgpr 1
		.amdhsa_next_free_sgpr 0
		.amdhsa_reserve_vcc 0
		.amdhsa_reserve_flat_scratch 0
		.amdhsa_float_round_mode_32 0
		.amdhsa_float_round_mode_16_64 0
		.amdhsa_float_denorm_mode_32 3
		.amdhsa_float_denorm_mode_16_64 3
		.amdhsa_dx10_clamp 1
		.amdhsa_ieee_mode 1
		.amdhsa_fp16_overflow 0
		.amdhsa_exception_fp_ieee_invalid_op 0
		.amdhsa_exception_fp_denorm_src 0
		.amdhsa_exception_fp_ieee_div_zero 0
		.amdhsa_exception_fp_ieee_overflow 0
		.amdhsa_exception_fp_ieee_underflow 0
		.amdhsa_exception_fp_ieee_inexact 0
		.amdhsa_exception_int_div_zero 0
	.end_amdhsa_kernel
	.section	.text._ZN7rocprim17ROCPRIM_400000_NS6detail17trampoline_kernelINS0_13select_configILj256ELj13ELNS0_17block_load_methodE3ELS4_3ELS4_3ELNS0_20block_scan_algorithmE0ELj4294967295EEENS1_25partition_config_selectorILNS1_17partition_subalgoE3EjNS0_10empty_typeEbEEZZNS1_14partition_implILS8_3ELb0ES6_jNS0_17counting_iteratorIjlEEPS9_SE_NS0_5tupleIJPjSE_EEENSF_IJSE_SE_EEES9_SG_JZNS1_25segmented_radix_sort_implINS0_14default_configELb0EPKaPaPKlPlN2at6native12_GLOBAL__N_18offset_tEEE10hipError_tPvRmT1_PNSt15iterator_traitsISY_E10value_typeET2_T3_PNSZ_IS14_E10value_typeET4_jRbjT5_S1A_jjP12ihipStream_tbEUljE_EEESV_SW_SX_S14_S18_S1A_T6_T7_T9_mT8_S1C_bDpT10_ENKUlT_T0_E_clISt17integral_constantIbLb0EES1P_EEDaS1K_S1L_EUlS1K_E_NS1_11comp_targetILNS1_3genE9ELNS1_11target_archE1100ELNS1_3gpuE3ELNS1_3repE0EEENS1_30default_config_static_selectorELNS0_4arch9wavefront6targetE1EEEvSY_,"axG",@progbits,_ZN7rocprim17ROCPRIM_400000_NS6detail17trampoline_kernelINS0_13select_configILj256ELj13ELNS0_17block_load_methodE3ELS4_3ELS4_3ELNS0_20block_scan_algorithmE0ELj4294967295EEENS1_25partition_config_selectorILNS1_17partition_subalgoE3EjNS0_10empty_typeEbEEZZNS1_14partition_implILS8_3ELb0ES6_jNS0_17counting_iteratorIjlEEPS9_SE_NS0_5tupleIJPjSE_EEENSF_IJSE_SE_EEES9_SG_JZNS1_25segmented_radix_sort_implINS0_14default_configELb0EPKaPaPKlPlN2at6native12_GLOBAL__N_18offset_tEEE10hipError_tPvRmT1_PNSt15iterator_traitsISY_E10value_typeET2_T3_PNSZ_IS14_E10value_typeET4_jRbjT5_S1A_jjP12ihipStream_tbEUljE_EEESV_SW_SX_S14_S18_S1A_T6_T7_T9_mT8_S1C_bDpT10_ENKUlT_T0_E_clISt17integral_constantIbLb0EES1P_EEDaS1K_S1L_EUlS1K_E_NS1_11comp_targetILNS1_3genE9ELNS1_11target_archE1100ELNS1_3gpuE3ELNS1_3repE0EEENS1_30default_config_static_selectorELNS0_4arch9wavefront6targetE1EEEvSY_,comdat
.Lfunc_end367:
	.size	_ZN7rocprim17ROCPRIM_400000_NS6detail17trampoline_kernelINS0_13select_configILj256ELj13ELNS0_17block_load_methodE3ELS4_3ELS4_3ELNS0_20block_scan_algorithmE0ELj4294967295EEENS1_25partition_config_selectorILNS1_17partition_subalgoE3EjNS0_10empty_typeEbEEZZNS1_14partition_implILS8_3ELb0ES6_jNS0_17counting_iteratorIjlEEPS9_SE_NS0_5tupleIJPjSE_EEENSF_IJSE_SE_EEES9_SG_JZNS1_25segmented_radix_sort_implINS0_14default_configELb0EPKaPaPKlPlN2at6native12_GLOBAL__N_18offset_tEEE10hipError_tPvRmT1_PNSt15iterator_traitsISY_E10value_typeET2_T3_PNSZ_IS14_E10value_typeET4_jRbjT5_S1A_jjP12ihipStream_tbEUljE_EEESV_SW_SX_S14_S18_S1A_T6_T7_T9_mT8_S1C_bDpT10_ENKUlT_T0_E_clISt17integral_constantIbLb0EES1P_EEDaS1K_S1L_EUlS1K_E_NS1_11comp_targetILNS1_3genE9ELNS1_11target_archE1100ELNS1_3gpuE3ELNS1_3repE0EEENS1_30default_config_static_selectorELNS0_4arch9wavefront6targetE1EEEvSY_, .Lfunc_end367-_ZN7rocprim17ROCPRIM_400000_NS6detail17trampoline_kernelINS0_13select_configILj256ELj13ELNS0_17block_load_methodE3ELS4_3ELS4_3ELNS0_20block_scan_algorithmE0ELj4294967295EEENS1_25partition_config_selectorILNS1_17partition_subalgoE3EjNS0_10empty_typeEbEEZZNS1_14partition_implILS8_3ELb0ES6_jNS0_17counting_iteratorIjlEEPS9_SE_NS0_5tupleIJPjSE_EEENSF_IJSE_SE_EEES9_SG_JZNS1_25segmented_radix_sort_implINS0_14default_configELb0EPKaPaPKlPlN2at6native12_GLOBAL__N_18offset_tEEE10hipError_tPvRmT1_PNSt15iterator_traitsISY_E10value_typeET2_T3_PNSZ_IS14_E10value_typeET4_jRbjT5_S1A_jjP12ihipStream_tbEUljE_EEESV_SW_SX_S14_S18_S1A_T6_T7_T9_mT8_S1C_bDpT10_ENKUlT_T0_E_clISt17integral_constantIbLb0EES1P_EEDaS1K_S1L_EUlS1K_E_NS1_11comp_targetILNS1_3genE9ELNS1_11target_archE1100ELNS1_3gpuE3ELNS1_3repE0EEENS1_30default_config_static_selectorELNS0_4arch9wavefront6targetE1EEEvSY_
                                        ; -- End function
	.set _ZN7rocprim17ROCPRIM_400000_NS6detail17trampoline_kernelINS0_13select_configILj256ELj13ELNS0_17block_load_methodE3ELS4_3ELS4_3ELNS0_20block_scan_algorithmE0ELj4294967295EEENS1_25partition_config_selectorILNS1_17partition_subalgoE3EjNS0_10empty_typeEbEEZZNS1_14partition_implILS8_3ELb0ES6_jNS0_17counting_iteratorIjlEEPS9_SE_NS0_5tupleIJPjSE_EEENSF_IJSE_SE_EEES9_SG_JZNS1_25segmented_radix_sort_implINS0_14default_configELb0EPKaPaPKlPlN2at6native12_GLOBAL__N_18offset_tEEE10hipError_tPvRmT1_PNSt15iterator_traitsISY_E10value_typeET2_T3_PNSZ_IS14_E10value_typeET4_jRbjT5_S1A_jjP12ihipStream_tbEUljE_EEESV_SW_SX_S14_S18_S1A_T6_T7_T9_mT8_S1C_bDpT10_ENKUlT_T0_E_clISt17integral_constantIbLb0EES1P_EEDaS1K_S1L_EUlS1K_E_NS1_11comp_targetILNS1_3genE9ELNS1_11target_archE1100ELNS1_3gpuE3ELNS1_3repE0EEENS1_30default_config_static_selectorELNS0_4arch9wavefront6targetE1EEEvSY_.num_vgpr, 0
	.set _ZN7rocprim17ROCPRIM_400000_NS6detail17trampoline_kernelINS0_13select_configILj256ELj13ELNS0_17block_load_methodE3ELS4_3ELS4_3ELNS0_20block_scan_algorithmE0ELj4294967295EEENS1_25partition_config_selectorILNS1_17partition_subalgoE3EjNS0_10empty_typeEbEEZZNS1_14partition_implILS8_3ELb0ES6_jNS0_17counting_iteratorIjlEEPS9_SE_NS0_5tupleIJPjSE_EEENSF_IJSE_SE_EEES9_SG_JZNS1_25segmented_radix_sort_implINS0_14default_configELb0EPKaPaPKlPlN2at6native12_GLOBAL__N_18offset_tEEE10hipError_tPvRmT1_PNSt15iterator_traitsISY_E10value_typeET2_T3_PNSZ_IS14_E10value_typeET4_jRbjT5_S1A_jjP12ihipStream_tbEUljE_EEESV_SW_SX_S14_S18_S1A_T6_T7_T9_mT8_S1C_bDpT10_ENKUlT_T0_E_clISt17integral_constantIbLb0EES1P_EEDaS1K_S1L_EUlS1K_E_NS1_11comp_targetILNS1_3genE9ELNS1_11target_archE1100ELNS1_3gpuE3ELNS1_3repE0EEENS1_30default_config_static_selectorELNS0_4arch9wavefront6targetE1EEEvSY_.num_agpr, 0
	.set _ZN7rocprim17ROCPRIM_400000_NS6detail17trampoline_kernelINS0_13select_configILj256ELj13ELNS0_17block_load_methodE3ELS4_3ELS4_3ELNS0_20block_scan_algorithmE0ELj4294967295EEENS1_25partition_config_selectorILNS1_17partition_subalgoE3EjNS0_10empty_typeEbEEZZNS1_14partition_implILS8_3ELb0ES6_jNS0_17counting_iteratorIjlEEPS9_SE_NS0_5tupleIJPjSE_EEENSF_IJSE_SE_EEES9_SG_JZNS1_25segmented_radix_sort_implINS0_14default_configELb0EPKaPaPKlPlN2at6native12_GLOBAL__N_18offset_tEEE10hipError_tPvRmT1_PNSt15iterator_traitsISY_E10value_typeET2_T3_PNSZ_IS14_E10value_typeET4_jRbjT5_S1A_jjP12ihipStream_tbEUljE_EEESV_SW_SX_S14_S18_S1A_T6_T7_T9_mT8_S1C_bDpT10_ENKUlT_T0_E_clISt17integral_constantIbLb0EES1P_EEDaS1K_S1L_EUlS1K_E_NS1_11comp_targetILNS1_3genE9ELNS1_11target_archE1100ELNS1_3gpuE3ELNS1_3repE0EEENS1_30default_config_static_selectorELNS0_4arch9wavefront6targetE1EEEvSY_.numbered_sgpr, 0
	.set _ZN7rocprim17ROCPRIM_400000_NS6detail17trampoline_kernelINS0_13select_configILj256ELj13ELNS0_17block_load_methodE3ELS4_3ELS4_3ELNS0_20block_scan_algorithmE0ELj4294967295EEENS1_25partition_config_selectorILNS1_17partition_subalgoE3EjNS0_10empty_typeEbEEZZNS1_14partition_implILS8_3ELb0ES6_jNS0_17counting_iteratorIjlEEPS9_SE_NS0_5tupleIJPjSE_EEENSF_IJSE_SE_EEES9_SG_JZNS1_25segmented_radix_sort_implINS0_14default_configELb0EPKaPaPKlPlN2at6native12_GLOBAL__N_18offset_tEEE10hipError_tPvRmT1_PNSt15iterator_traitsISY_E10value_typeET2_T3_PNSZ_IS14_E10value_typeET4_jRbjT5_S1A_jjP12ihipStream_tbEUljE_EEESV_SW_SX_S14_S18_S1A_T6_T7_T9_mT8_S1C_bDpT10_ENKUlT_T0_E_clISt17integral_constantIbLb0EES1P_EEDaS1K_S1L_EUlS1K_E_NS1_11comp_targetILNS1_3genE9ELNS1_11target_archE1100ELNS1_3gpuE3ELNS1_3repE0EEENS1_30default_config_static_selectorELNS0_4arch9wavefront6targetE1EEEvSY_.num_named_barrier, 0
	.set _ZN7rocprim17ROCPRIM_400000_NS6detail17trampoline_kernelINS0_13select_configILj256ELj13ELNS0_17block_load_methodE3ELS4_3ELS4_3ELNS0_20block_scan_algorithmE0ELj4294967295EEENS1_25partition_config_selectorILNS1_17partition_subalgoE3EjNS0_10empty_typeEbEEZZNS1_14partition_implILS8_3ELb0ES6_jNS0_17counting_iteratorIjlEEPS9_SE_NS0_5tupleIJPjSE_EEENSF_IJSE_SE_EEES9_SG_JZNS1_25segmented_radix_sort_implINS0_14default_configELb0EPKaPaPKlPlN2at6native12_GLOBAL__N_18offset_tEEE10hipError_tPvRmT1_PNSt15iterator_traitsISY_E10value_typeET2_T3_PNSZ_IS14_E10value_typeET4_jRbjT5_S1A_jjP12ihipStream_tbEUljE_EEESV_SW_SX_S14_S18_S1A_T6_T7_T9_mT8_S1C_bDpT10_ENKUlT_T0_E_clISt17integral_constantIbLb0EES1P_EEDaS1K_S1L_EUlS1K_E_NS1_11comp_targetILNS1_3genE9ELNS1_11target_archE1100ELNS1_3gpuE3ELNS1_3repE0EEENS1_30default_config_static_selectorELNS0_4arch9wavefront6targetE1EEEvSY_.private_seg_size, 0
	.set _ZN7rocprim17ROCPRIM_400000_NS6detail17trampoline_kernelINS0_13select_configILj256ELj13ELNS0_17block_load_methodE3ELS4_3ELS4_3ELNS0_20block_scan_algorithmE0ELj4294967295EEENS1_25partition_config_selectorILNS1_17partition_subalgoE3EjNS0_10empty_typeEbEEZZNS1_14partition_implILS8_3ELb0ES6_jNS0_17counting_iteratorIjlEEPS9_SE_NS0_5tupleIJPjSE_EEENSF_IJSE_SE_EEES9_SG_JZNS1_25segmented_radix_sort_implINS0_14default_configELb0EPKaPaPKlPlN2at6native12_GLOBAL__N_18offset_tEEE10hipError_tPvRmT1_PNSt15iterator_traitsISY_E10value_typeET2_T3_PNSZ_IS14_E10value_typeET4_jRbjT5_S1A_jjP12ihipStream_tbEUljE_EEESV_SW_SX_S14_S18_S1A_T6_T7_T9_mT8_S1C_bDpT10_ENKUlT_T0_E_clISt17integral_constantIbLb0EES1P_EEDaS1K_S1L_EUlS1K_E_NS1_11comp_targetILNS1_3genE9ELNS1_11target_archE1100ELNS1_3gpuE3ELNS1_3repE0EEENS1_30default_config_static_selectorELNS0_4arch9wavefront6targetE1EEEvSY_.uses_vcc, 0
	.set _ZN7rocprim17ROCPRIM_400000_NS6detail17trampoline_kernelINS0_13select_configILj256ELj13ELNS0_17block_load_methodE3ELS4_3ELS4_3ELNS0_20block_scan_algorithmE0ELj4294967295EEENS1_25partition_config_selectorILNS1_17partition_subalgoE3EjNS0_10empty_typeEbEEZZNS1_14partition_implILS8_3ELb0ES6_jNS0_17counting_iteratorIjlEEPS9_SE_NS0_5tupleIJPjSE_EEENSF_IJSE_SE_EEES9_SG_JZNS1_25segmented_radix_sort_implINS0_14default_configELb0EPKaPaPKlPlN2at6native12_GLOBAL__N_18offset_tEEE10hipError_tPvRmT1_PNSt15iterator_traitsISY_E10value_typeET2_T3_PNSZ_IS14_E10value_typeET4_jRbjT5_S1A_jjP12ihipStream_tbEUljE_EEESV_SW_SX_S14_S18_S1A_T6_T7_T9_mT8_S1C_bDpT10_ENKUlT_T0_E_clISt17integral_constantIbLb0EES1P_EEDaS1K_S1L_EUlS1K_E_NS1_11comp_targetILNS1_3genE9ELNS1_11target_archE1100ELNS1_3gpuE3ELNS1_3repE0EEENS1_30default_config_static_selectorELNS0_4arch9wavefront6targetE1EEEvSY_.uses_flat_scratch, 0
	.set _ZN7rocprim17ROCPRIM_400000_NS6detail17trampoline_kernelINS0_13select_configILj256ELj13ELNS0_17block_load_methodE3ELS4_3ELS4_3ELNS0_20block_scan_algorithmE0ELj4294967295EEENS1_25partition_config_selectorILNS1_17partition_subalgoE3EjNS0_10empty_typeEbEEZZNS1_14partition_implILS8_3ELb0ES6_jNS0_17counting_iteratorIjlEEPS9_SE_NS0_5tupleIJPjSE_EEENSF_IJSE_SE_EEES9_SG_JZNS1_25segmented_radix_sort_implINS0_14default_configELb0EPKaPaPKlPlN2at6native12_GLOBAL__N_18offset_tEEE10hipError_tPvRmT1_PNSt15iterator_traitsISY_E10value_typeET2_T3_PNSZ_IS14_E10value_typeET4_jRbjT5_S1A_jjP12ihipStream_tbEUljE_EEESV_SW_SX_S14_S18_S1A_T6_T7_T9_mT8_S1C_bDpT10_ENKUlT_T0_E_clISt17integral_constantIbLb0EES1P_EEDaS1K_S1L_EUlS1K_E_NS1_11comp_targetILNS1_3genE9ELNS1_11target_archE1100ELNS1_3gpuE3ELNS1_3repE0EEENS1_30default_config_static_selectorELNS0_4arch9wavefront6targetE1EEEvSY_.has_dyn_sized_stack, 0
	.set _ZN7rocprim17ROCPRIM_400000_NS6detail17trampoline_kernelINS0_13select_configILj256ELj13ELNS0_17block_load_methodE3ELS4_3ELS4_3ELNS0_20block_scan_algorithmE0ELj4294967295EEENS1_25partition_config_selectorILNS1_17partition_subalgoE3EjNS0_10empty_typeEbEEZZNS1_14partition_implILS8_3ELb0ES6_jNS0_17counting_iteratorIjlEEPS9_SE_NS0_5tupleIJPjSE_EEENSF_IJSE_SE_EEES9_SG_JZNS1_25segmented_radix_sort_implINS0_14default_configELb0EPKaPaPKlPlN2at6native12_GLOBAL__N_18offset_tEEE10hipError_tPvRmT1_PNSt15iterator_traitsISY_E10value_typeET2_T3_PNSZ_IS14_E10value_typeET4_jRbjT5_S1A_jjP12ihipStream_tbEUljE_EEESV_SW_SX_S14_S18_S1A_T6_T7_T9_mT8_S1C_bDpT10_ENKUlT_T0_E_clISt17integral_constantIbLb0EES1P_EEDaS1K_S1L_EUlS1K_E_NS1_11comp_targetILNS1_3genE9ELNS1_11target_archE1100ELNS1_3gpuE3ELNS1_3repE0EEENS1_30default_config_static_selectorELNS0_4arch9wavefront6targetE1EEEvSY_.has_recursion, 0
	.set _ZN7rocprim17ROCPRIM_400000_NS6detail17trampoline_kernelINS0_13select_configILj256ELj13ELNS0_17block_load_methodE3ELS4_3ELS4_3ELNS0_20block_scan_algorithmE0ELj4294967295EEENS1_25partition_config_selectorILNS1_17partition_subalgoE3EjNS0_10empty_typeEbEEZZNS1_14partition_implILS8_3ELb0ES6_jNS0_17counting_iteratorIjlEEPS9_SE_NS0_5tupleIJPjSE_EEENSF_IJSE_SE_EEES9_SG_JZNS1_25segmented_radix_sort_implINS0_14default_configELb0EPKaPaPKlPlN2at6native12_GLOBAL__N_18offset_tEEE10hipError_tPvRmT1_PNSt15iterator_traitsISY_E10value_typeET2_T3_PNSZ_IS14_E10value_typeET4_jRbjT5_S1A_jjP12ihipStream_tbEUljE_EEESV_SW_SX_S14_S18_S1A_T6_T7_T9_mT8_S1C_bDpT10_ENKUlT_T0_E_clISt17integral_constantIbLb0EES1P_EEDaS1K_S1L_EUlS1K_E_NS1_11comp_targetILNS1_3genE9ELNS1_11target_archE1100ELNS1_3gpuE3ELNS1_3repE0EEENS1_30default_config_static_selectorELNS0_4arch9wavefront6targetE1EEEvSY_.has_indirect_call, 0
	.section	.AMDGPU.csdata,"",@progbits
; Kernel info:
; codeLenInByte = 0
; TotalNumSgprs: 4
; NumVgprs: 0
; ScratchSize: 0
; MemoryBound: 0
; FloatMode: 240
; IeeeMode: 1
; LDSByteSize: 0 bytes/workgroup (compile time only)
; SGPRBlocks: 0
; VGPRBlocks: 0
; NumSGPRsForWavesPerEU: 4
; NumVGPRsForWavesPerEU: 1
; Occupancy: 10
; WaveLimiterHint : 0
; COMPUTE_PGM_RSRC2:SCRATCH_EN: 0
; COMPUTE_PGM_RSRC2:USER_SGPR: 6
; COMPUTE_PGM_RSRC2:TRAP_HANDLER: 0
; COMPUTE_PGM_RSRC2:TGID_X_EN: 1
; COMPUTE_PGM_RSRC2:TGID_Y_EN: 0
; COMPUTE_PGM_RSRC2:TGID_Z_EN: 0
; COMPUTE_PGM_RSRC2:TIDIG_COMP_CNT: 0
	.section	.text._ZN7rocprim17ROCPRIM_400000_NS6detail17trampoline_kernelINS0_13select_configILj256ELj13ELNS0_17block_load_methodE3ELS4_3ELS4_3ELNS0_20block_scan_algorithmE0ELj4294967295EEENS1_25partition_config_selectorILNS1_17partition_subalgoE3EjNS0_10empty_typeEbEEZZNS1_14partition_implILS8_3ELb0ES6_jNS0_17counting_iteratorIjlEEPS9_SE_NS0_5tupleIJPjSE_EEENSF_IJSE_SE_EEES9_SG_JZNS1_25segmented_radix_sort_implINS0_14default_configELb0EPKaPaPKlPlN2at6native12_GLOBAL__N_18offset_tEEE10hipError_tPvRmT1_PNSt15iterator_traitsISY_E10value_typeET2_T3_PNSZ_IS14_E10value_typeET4_jRbjT5_S1A_jjP12ihipStream_tbEUljE_EEESV_SW_SX_S14_S18_S1A_T6_T7_T9_mT8_S1C_bDpT10_ENKUlT_T0_E_clISt17integral_constantIbLb0EES1P_EEDaS1K_S1L_EUlS1K_E_NS1_11comp_targetILNS1_3genE8ELNS1_11target_archE1030ELNS1_3gpuE2ELNS1_3repE0EEENS1_30default_config_static_selectorELNS0_4arch9wavefront6targetE1EEEvSY_,"axG",@progbits,_ZN7rocprim17ROCPRIM_400000_NS6detail17trampoline_kernelINS0_13select_configILj256ELj13ELNS0_17block_load_methodE3ELS4_3ELS4_3ELNS0_20block_scan_algorithmE0ELj4294967295EEENS1_25partition_config_selectorILNS1_17partition_subalgoE3EjNS0_10empty_typeEbEEZZNS1_14partition_implILS8_3ELb0ES6_jNS0_17counting_iteratorIjlEEPS9_SE_NS0_5tupleIJPjSE_EEENSF_IJSE_SE_EEES9_SG_JZNS1_25segmented_radix_sort_implINS0_14default_configELb0EPKaPaPKlPlN2at6native12_GLOBAL__N_18offset_tEEE10hipError_tPvRmT1_PNSt15iterator_traitsISY_E10value_typeET2_T3_PNSZ_IS14_E10value_typeET4_jRbjT5_S1A_jjP12ihipStream_tbEUljE_EEESV_SW_SX_S14_S18_S1A_T6_T7_T9_mT8_S1C_bDpT10_ENKUlT_T0_E_clISt17integral_constantIbLb0EES1P_EEDaS1K_S1L_EUlS1K_E_NS1_11comp_targetILNS1_3genE8ELNS1_11target_archE1030ELNS1_3gpuE2ELNS1_3repE0EEENS1_30default_config_static_selectorELNS0_4arch9wavefront6targetE1EEEvSY_,comdat
	.globl	_ZN7rocprim17ROCPRIM_400000_NS6detail17trampoline_kernelINS0_13select_configILj256ELj13ELNS0_17block_load_methodE3ELS4_3ELS4_3ELNS0_20block_scan_algorithmE0ELj4294967295EEENS1_25partition_config_selectorILNS1_17partition_subalgoE3EjNS0_10empty_typeEbEEZZNS1_14partition_implILS8_3ELb0ES6_jNS0_17counting_iteratorIjlEEPS9_SE_NS0_5tupleIJPjSE_EEENSF_IJSE_SE_EEES9_SG_JZNS1_25segmented_radix_sort_implINS0_14default_configELb0EPKaPaPKlPlN2at6native12_GLOBAL__N_18offset_tEEE10hipError_tPvRmT1_PNSt15iterator_traitsISY_E10value_typeET2_T3_PNSZ_IS14_E10value_typeET4_jRbjT5_S1A_jjP12ihipStream_tbEUljE_EEESV_SW_SX_S14_S18_S1A_T6_T7_T9_mT8_S1C_bDpT10_ENKUlT_T0_E_clISt17integral_constantIbLb0EES1P_EEDaS1K_S1L_EUlS1K_E_NS1_11comp_targetILNS1_3genE8ELNS1_11target_archE1030ELNS1_3gpuE2ELNS1_3repE0EEENS1_30default_config_static_selectorELNS0_4arch9wavefront6targetE1EEEvSY_ ; -- Begin function _ZN7rocprim17ROCPRIM_400000_NS6detail17trampoline_kernelINS0_13select_configILj256ELj13ELNS0_17block_load_methodE3ELS4_3ELS4_3ELNS0_20block_scan_algorithmE0ELj4294967295EEENS1_25partition_config_selectorILNS1_17partition_subalgoE3EjNS0_10empty_typeEbEEZZNS1_14partition_implILS8_3ELb0ES6_jNS0_17counting_iteratorIjlEEPS9_SE_NS0_5tupleIJPjSE_EEENSF_IJSE_SE_EEES9_SG_JZNS1_25segmented_radix_sort_implINS0_14default_configELb0EPKaPaPKlPlN2at6native12_GLOBAL__N_18offset_tEEE10hipError_tPvRmT1_PNSt15iterator_traitsISY_E10value_typeET2_T3_PNSZ_IS14_E10value_typeET4_jRbjT5_S1A_jjP12ihipStream_tbEUljE_EEESV_SW_SX_S14_S18_S1A_T6_T7_T9_mT8_S1C_bDpT10_ENKUlT_T0_E_clISt17integral_constantIbLb0EES1P_EEDaS1K_S1L_EUlS1K_E_NS1_11comp_targetILNS1_3genE8ELNS1_11target_archE1030ELNS1_3gpuE2ELNS1_3repE0EEENS1_30default_config_static_selectorELNS0_4arch9wavefront6targetE1EEEvSY_
	.p2align	8
	.type	_ZN7rocprim17ROCPRIM_400000_NS6detail17trampoline_kernelINS0_13select_configILj256ELj13ELNS0_17block_load_methodE3ELS4_3ELS4_3ELNS0_20block_scan_algorithmE0ELj4294967295EEENS1_25partition_config_selectorILNS1_17partition_subalgoE3EjNS0_10empty_typeEbEEZZNS1_14partition_implILS8_3ELb0ES6_jNS0_17counting_iteratorIjlEEPS9_SE_NS0_5tupleIJPjSE_EEENSF_IJSE_SE_EEES9_SG_JZNS1_25segmented_radix_sort_implINS0_14default_configELb0EPKaPaPKlPlN2at6native12_GLOBAL__N_18offset_tEEE10hipError_tPvRmT1_PNSt15iterator_traitsISY_E10value_typeET2_T3_PNSZ_IS14_E10value_typeET4_jRbjT5_S1A_jjP12ihipStream_tbEUljE_EEESV_SW_SX_S14_S18_S1A_T6_T7_T9_mT8_S1C_bDpT10_ENKUlT_T0_E_clISt17integral_constantIbLb0EES1P_EEDaS1K_S1L_EUlS1K_E_NS1_11comp_targetILNS1_3genE8ELNS1_11target_archE1030ELNS1_3gpuE2ELNS1_3repE0EEENS1_30default_config_static_selectorELNS0_4arch9wavefront6targetE1EEEvSY_,@function
_ZN7rocprim17ROCPRIM_400000_NS6detail17trampoline_kernelINS0_13select_configILj256ELj13ELNS0_17block_load_methodE3ELS4_3ELS4_3ELNS0_20block_scan_algorithmE0ELj4294967295EEENS1_25partition_config_selectorILNS1_17partition_subalgoE3EjNS0_10empty_typeEbEEZZNS1_14partition_implILS8_3ELb0ES6_jNS0_17counting_iteratorIjlEEPS9_SE_NS0_5tupleIJPjSE_EEENSF_IJSE_SE_EEES9_SG_JZNS1_25segmented_radix_sort_implINS0_14default_configELb0EPKaPaPKlPlN2at6native12_GLOBAL__N_18offset_tEEE10hipError_tPvRmT1_PNSt15iterator_traitsISY_E10value_typeET2_T3_PNSZ_IS14_E10value_typeET4_jRbjT5_S1A_jjP12ihipStream_tbEUljE_EEESV_SW_SX_S14_S18_S1A_T6_T7_T9_mT8_S1C_bDpT10_ENKUlT_T0_E_clISt17integral_constantIbLb0EES1P_EEDaS1K_S1L_EUlS1K_E_NS1_11comp_targetILNS1_3genE8ELNS1_11target_archE1030ELNS1_3gpuE2ELNS1_3repE0EEENS1_30default_config_static_selectorELNS0_4arch9wavefront6targetE1EEEvSY_: ; @_ZN7rocprim17ROCPRIM_400000_NS6detail17trampoline_kernelINS0_13select_configILj256ELj13ELNS0_17block_load_methodE3ELS4_3ELS4_3ELNS0_20block_scan_algorithmE0ELj4294967295EEENS1_25partition_config_selectorILNS1_17partition_subalgoE3EjNS0_10empty_typeEbEEZZNS1_14partition_implILS8_3ELb0ES6_jNS0_17counting_iteratorIjlEEPS9_SE_NS0_5tupleIJPjSE_EEENSF_IJSE_SE_EEES9_SG_JZNS1_25segmented_radix_sort_implINS0_14default_configELb0EPKaPaPKlPlN2at6native12_GLOBAL__N_18offset_tEEE10hipError_tPvRmT1_PNSt15iterator_traitsISY_E10value_typeET2_T3_PNSZ_IS14_E10value_typeET4_jRbjT5_S1A_jjP12ihipStream_tbEUljE_EEESV_SW_SX_S14_S18_S1A_T6_T7_T9_mT8_S1C_bDpT10_ENKUlT_T0_E_clISt17integral_constantIbLb0EES1P_EEDaS1K_S1L_EUlS1K_E_NS1_11comp_targetILNS1_3genE8ELNS1_11target_archE1030ELNS1_3gpuE2ELNS1_3repE0EEENS1_30default_config_static_selectorELNS0_4arch9wavefront6targetE1EEEvSY_
; %bb.0:
	.section	.rodata,"a",@progbits
	.p2align	6, 0x0
	.amdhsa_kernel _ZN7rocprim17ROCPRIM_400000_NS6detail17trampoline_kernelINS0_13select_configILj256ELj13ELNS0_17block_load_methodE3ELS4_3ELS4_3ELNS0_20block_scan_algorithmE0ELj4294967295EEENS1_25partition_config_selectorILNS1_17partition_subalgoE3EjNS0_10empty_typeEbEEZZNS1_14partition_implILS8_3ELb0ES6_jNS0_17counting_iteratorIjlEEPS9_SE_NS0_5tupleIJPjSE_EEENSF_IJSE_SE_EEES9_SG_JZNS1_25segmented_radix_sort_implINS0_14default_configELb0EPKaPaPKlPlN2at6native12_GLOBAL__N_18offset_tEEE10hipError_tPvRmT1_PNSt15iterator_traitsISY_E10value_typeET2_T3_PNSZ_IS14_E10value_typeET4_jRbjT5_S1A_jjP12ihipStream_tbEUljE_EEESV_SW_SX_S14_S18_S1A_T6_T7_T9_mT8_S1C_bDpT10_ENKUlT_T0_E_clISt17integral_constantIbLb0EES1P_EEDaS1K_S1L_EUlS1K_E_NS1_11comp_targetILNS1_3genE8ELNS1_11target_archE1030ELNS1_3gpuE2ELNS1_3repE0EEENS1_30default_config_static_selectorELNS0_4arch9wavefront6targetE1EEEvSY_
		.amdhsa_group_segment_fixed_size 0
		.amdhsa_private_segment_fixed_size 0
		.amdhsa_kernarg_size 144
		.amdhsa_user_sgpr_count 6
		.amdhsa_user_sgpr_private_segment_buffer 1
		.amdhsa_user_sgpr_dispatch_ptr 0
		.amdhsa_user_sgpr_queue_ptr 0
		.amdhsa_user_sgpr_kernarg_segment_ptr 1
		.amdhsa_user_sgpr_dispatch_id 0
		.amdhsa_user_sgpr_flat_scratch_init 0
		.amdhsa_user_sgpr_private_segment_size 0
		.amdhsa_uses_dynamic_stack 0
		.amdhsa_system_sgpr_private_segment_wavefront_offset 0
		.amdhsa_system_sgpr_workgroup_id_x 1
		.amdhsa_system_sgpr_workgroup_id_y 0
		.amdhsa_system_sgpr_workgroup_id_z 0
		.amdhsa_system_sgpr_workgroup_info 0
		.amdhsa_system_vgpr_workitem_id 0
		.amdhsa_next_free_vgpr 1
		.amdhsa_next_free_sgpr 0
		.amdhsa_reserve_vcc 0
		.amdhsa_reserve_flat_scratch 0
		.amdhsa_float_round_mode_32 0
		.amdhsa_float_round_mode_16_64 0
		.amdhsa_float_denorm_mode_32 3
		.amdhsa_float_denorm_mode_16_64 3
		.amdhsa_dx10_clamp 1
		.amdhsa_ieee_mode 1
		.amdhsa_fp16_overflow 0
		.amdhsa_exception_fp_ieee_invalid_op 0
		.amdhsa_exception_fp_denorm_src 0
		.amdhsa_exception_fp_ieee_div_zero 0
		.amdhsa_exception_fp_ieee_overflow 0
		.amdhsa_exception_fp_ieee_underflow 0
		.amdhsa_exception_fp_ieee_inexact 0
		.amdhsa_exception_int_div_zero 0
	.end_amdhsa_kernel
	.section	.text._ZN7rocprim17ROCPRIM_400000_NS6detail17trampoline_kernelINS0_13select_configILj256ELj13ELNS0_17block_load_methodE3ELS4_3ELS4_3ELNS0_20block_scan_algorithmE0ELj4294967295EEENS1_25partition_config_selectorILNS1_17partition_subalgoE3EjNS0_10empty_typeEbEEZZNS1_14partition_implILS8_3ELb0ES6_jNS0_17counting_iteratorIjlEEPS9_SE_NS0_5tupleIJPjSE_EEENSF_IJSE_SE_EEES9_SG_JZNS1_25segmented_radix_sort_implINS0_14default_configELb0EPKaPaPKlPlN2at6native12_GLOBAL__N_18offset_tEEE10hipError_tPvRmT1_PNSt15iterator_traitsISY_E10value_typeET2_T3_PNSZ_IS14_E10value_typeET4_jRbjT5_S1A_jjP12ihipStream_tbEUljE_EEESV_SW_SX_S14_S18_S1A_T6_T7_T9_mT8_S1C_bDpT10_ENKUlT_T0_E_clISt17integral_constantIbLb0EES1P_EEDaS1K_S1L_EUlS1K_E_NS1_11comp_targetILNS1_3genE8ELNS1_11target_archE1030ELNS1_3gpuE2ELNS1_3repE0EEENS1_30default_config_static_selectorELNS0_4arch9wavefront6targetE1EEEvSY_,"axG",@progbits,_ZN7rocprim17ROCPRIM_400000_NS6detail17trampoline_kernelINS0_13select_configILj256ELj13ELNS0_17block_load_methodE3ELS4_3ELS4_3ELNS0_20block_scan_algorithmE0ELj4294967295EEENS1_25partition_config_selectorILNS1_17partition_subalgoE3EjNS0_10empty_typeEbEEZZNS1_14partition_implILS8_3ELb0ES6_jNS0_17counting_iteratorIjlEEPS9_SE_NS0_5tupleIJPjSE_EEENSF_IJSE_SE_EEES9_SG_JZNS1_25segmented_radix_sort_implINS0_14default_configELb0EPKaPaPKlPlN2at6native12_GLOBAL__N_18offset_tEEE10hipError_tPvRmT1_PNSt15iterator_traitsISY_E10value_typeET2_T3_PNSZ_IS14_E10value_typeET4_jRbjT5_S1A_jjP12ihipStream_tbEUljE_EEESV_SW_SX_S14_S18_S1A_T6_T7_T9_mT8_S1C_bDpT10_ENKUlT_T0_E_clISt17integral_constantIbLb0EES1P_EEDaS1K_S1L_EUlS1K_E_NS1_11comp_targetILNS1_3genE8ELNS1_11target_archE1030ELNS1_3gpuE2ELNS1_3repE0EEENS1_30default_config_static_selectorELNS0_4arch9wavefront6targetE1EEEvSY_,comdat
.Lfunc_end368:
	.size	_ZN7rocprim17ROCPRIM_400000_NS6detail17trampoline_kernelINS0_13select_configILj256ELj13ELNS0_17block_load_methodE3ELS4_3ELS4_3ELNS0_20block_scan_algorithmE0ELj4294967295EEENS1_25partition_config_selectorILNS1_17partition_subalgoE3EjNS0_10empty_typeEbEEZZNS1_14partition_implILS8_3ELb0ES6_jNS0_17counting_iteratorIjlEEPS9_SE_NS0_5tupleIJPjSE_EEENSF_IJSE_SE_EEES9_SG_JZNS1_25segmented_radix_sort_implINS0_14default_configELb0EPKaPaPKlPlN2at6native12_GLOBAL__N_18offset_tEEE10hipError_tPvRmT1_PNSt15iterator_traitsISY_E10value_typeET2_T3_PNSZ_IS14_E10value_typeET4_jRbjT5_S1A_jjP12ihipStream_tbEUljE_EEESV_SW_SX_S14_S18_S1A_T6_T7_T9_mT8_S1C_bDpT10_ENKUlT_T0_E_clISt17integral_constantIbLb0EES1P_EEDaS1K_S1L_EUlS1K_E_NS1_11comp_targetILNS1_3genE8ELNS1_11target_archE1030ELNS1_3gpuE2ELNS1_3repE0EEENS1_30default_config_static_selectorELNS0_4arch9wavefront6targetE1EEEvSY_, .Lfunc_end368-_ZN7rocprim17ROCPRIM_400000_NS6detail17trampoline_kernelINS0_13select_configILj256ELj13ELNS0_17block_load_methodE3ELS4_3ELS4_3ELNS0_20block_scan_algorithmE0ELj4294967295EEENS1_25partition_config_selectorILNS1_17partition_subalgoE3EjNS0_10empty_typeEbEEZZNS1_14partition_implILS8_3ELb0ES6_jNS0_17counting_iteratorIjlEEPS9_SE_NS0_5tupleIJPjSE_EEENSF_IJSE_SE_EEES9_SG_JZNS1_25segmented_radix_sort_implINS0_14default_configELb0EPKaPaPKlPlN2at6native12_GLOBAL__N_18offset_tEEE10hipError_tPvRmT1_PNSt15iterator_traitsISY_E10value_typeET2_T3_PNSZ_IS14_E10value_typeET4_jRbjT5_S1A_jjP12ihipStream_tbEUljE_EEESV_SW_SX_S14_S18_S1A_T6_T7_T9_mT8_S1C_bDpT10_ENKUlT_T0_E_clISt17integral_constantIbLb0EES1P_EEDaS1K_S1L_EUlS1K_E_NS1_11comp_targetILNS1_3genE8ELNS1_11target_archE1030ELNS1_3gpuE2ELNS1_3repE0EEENS1_30default_config_static_selectorELNS0_4arch9wavefront6targetE1EEEvSY_
                                        ; -- End function
	.set _ZN7rocprim17ROCPRIM_400000_NS6detail17trampoline_kernelINS0_13select_configILj256ELj13ELNS0_17block_load_methodE3ELS4_3ELS4_3ELNS0_20block_scan_algorithmE0ELj4294967295EEENS1_25partition_config_selectorILNS1_17partition_subalgoE3EjNS0_10empty_typeEbEEZZNS1_14partition_implILS8_3ELb0ES6_jNS0_17counting_iteratorIjlEEPS9_SE_NS0_5tupleIJPjSE_EEENSF_IJSE_SE_EEES9_SG_JZNS1_25segmented_radix_sort_implINS0_14default_configELb0EPKaPaPKlPlN2at6native12_GLOBAL__N_18offset_tEEE10hipError_tPvRmT1_PNSt15iterator_traitsISY_E10value_typeET2_T3_PNSZ_IS14_E10value_typeET4_jRbjT5_S1A_jjP12ihipStream_tbEUljE_EEESV_SW_SX_S14_S18_S1A_T6_T7_T9_mT8_S1C_bDpT10_ENKUlT_T0_E_clISt17integral_constantIbLb0EES1P_EEDaS1K_S1L_EUlS1K_E_NS1_11comp_targetILNS1_3genE8ELNS1_11target_archE1030ELNS1_3gpuE2ELNS1_3repE0EEENS1_30default_config_static_selectorELNS0_4arch9wavefront6targetE1EEEvSY_.num_vgpr, 0
	.set _ZN7rocprim17ROCPRIM_400000_NS6detail17trampoline_kernelINS0_13select_configILj256ELj13ELNS0_17block_load_methodE3ELS4_3ELS4_3ELNS0_20block_scan_algorithmE0ELj4294967295EEENS1_25partition_config_selectorILNS1_17partition_subalgoE3EjNS0_10empty_typeEbEEZZNS1_14partition_implILS8_3ELb0ES6_jNS0_17counting_iteratorIjlEEPS9_SE_NS0_5tupleIJPjSE_EEENSF_IJSE_SE_EEES9_SG_JZNS1_25segmented_radix_sort_implINS0_14default_configELb0EPKaPaPKlPlN2at6native12_GLOBAL__N_18offset_tEEE10hipError_tPvRmT1_PNSt15iterator_traitsISY_E10value_typeET2_T3_PNSZ_IS14_E10value_typeET4_jRbjT5_S1A_jjP12ihipStream_tbEUljE_EEESV_SW_SX_S14_S18_S1A_T6_T7_T9_mT8_S1C_bDpT10_ENKUlT_T0_E_clISt17integral_constantIbLb0EES1P_EEDaS1K_S1L_EUlS1K_E_NS1_11comp_targetILNS1_3genE8ELNS1_11target_archE1030ELNS1_3gpuE2ELNS1_3repE0EEENS1_30default_config_static_selectorELNS0_4arch9wavefront6targetE1EEEvSY_.num_agpr, 0
	.set _ZN7rocprim17ROCPRIM_400000_NS6detail17trampoline_kernelINS0_13select_configILj256ELj13ELNS0_17block_load_methodE3ELS4_3ELS4_3ELNS0_20block_scan_algorithmE0ELj4294967295EEENS1_25partition_config_selectorILNS1_17partition_subalgoE3EjNS0_10empty_typeEbEEZZNS1_14partition_implILS8_3ELb0ES6_jNS0_17counting_iteratorIjlEEPS9_SE_NS0_5tupleIJPjSE_EEENSF_IJSE_SE_EEES9_SG_JZNS1_25segmented_radix_sort_implINS0_14default_configELb0EPKaPaPKlPlN2at6native12_GLOBAL__N_18offset_tEEE10hipError_tPvRmT1_PNSt15iterator_traitsISY_E10value_typeET2_T3_PNSZ_IS14_E10value_typeET4_jRbjT5_S1A_jjP12ihipStream_tbEUljE_EEESV_SW_SX_S14_S18_S1A_T6_T7_T9_mT8_S1C_bDpT10_ENKUlT_T0_E_clISt17integral_constantIbLb0EES1P_EEDaS1K_S1L_EUlS1K_E_NS1_11comp_targetILNS1_3genE8ELNS1_11target_archE1030ELNS1_3gpuE2ELNS1_3repE0EEENS1_30default_config_static_selectorELNS0_4arch9wavefront6targetE1EEEvSY_.numbered_sgpr, 0
	.set _ZN7rocprim17ROCPRIM_400000_NS6detail17trampoline_kernelINS0_13select_configILj256ELj13ELNS0_17block_load_methodE3ELS4_3ELS4_3ELNS0_20block_scan_algorithmE0ELj4294967295EEENS1_25partition_config_selectorILNS1_17partition_subalgoE3EjNS0_10empty_typeEbEEZZNS1_14partition_implILS8_3ELb0ES6_jNS0_17counting_iteratorIjlEEPS9_SE_NS0_5tupleIJPjSE_EEENSF_IJSE_SE_EEES9_SG_JZNS1_25segmented_radix_sort_implINS0_14default_configELb0EPKaPaPKlPlN2at6native12_GLOBAL__N_18offset_tEEE10hipError_tPvRmT1_PNSt15iterator_traitsISY_E10value_typeET2_T3_PNSZ_IS14_E10value_typeET4_jRbjT5_S1A_jjP12ihipStream_tbEUljE_EEESV_SW_SX_S14_S18_S1A_T6_T7_T9_mT8_S1C_bDpT10_ENKUlT_T0_E_clISt17integral_constantIbLb0EES1P_EEDaS1K_S1L_EUlS1K_E_NS1_11comp_targetILNS1_3genE8ELNS1_11target_archE1030ELNS1_3gpuE2ELNS1_3repE0EEENS1_30default_config_static_selectorELNS0_4arch9wavefront6targetE1EEEvSY_.num_named_barrier, 0
	.set _ZN7rocprim17ROCPRIM_400000_NS6detail17trampoline_kernelINS0_13select_configILj256ELj13ELNS0_17block_load_methodE3ELS4_3ELS4_3ELNS0_20block_scan_algorithmE0ELj4294967295EEENS1_25partition_config_selectorILNS1_17partition_subalgoE3EjNS0_10empty_typeEbEEZZNS1_14partition_implILS8_3ELb0ES6_jNS0_17counting_iteratorIjlEEPS9_SE_NS0_5tupleIJPjSE_EEENSF_IJSE_SE_EEES9_SG_JZNS1_25segmented_radix_sort_implINS0_14default_configELb0EPKaPaPKlPlN2at6native12_GLOBAL__N_18offset_tEEE10hipError_tPvRmT1_PNSt15iterator_traitsISY_E10value_typeET2_T3_PNSZ_IS14_E10value_typeET4_jRbjT5_S1A_jjP12ihipStream_tbEUljE_EEESV_SW_SX_S14_S18_S1A_T6_T7_T9_mT8_S1C_bDpT10_ENKUlT_T0_E_clISt17integral_constantIbLb0EES1P_EEDaS1K_S1L_EUlS1K_E_NS1_11comp_targetILNS1_3genE8ELNS1_11target_archE1030ELNS1_3gpuE2ELNS1_3repE0EEENS1_30default_config_static_selectorELNS0_4arch9wavefront6targetE1EEEvSY_.private_seg_size, 0
	.set _ZN7rocprim17ROCPRIM_400000_NS6detail17trampoline_kernelINS0_13select_configILj256ELj13ELNS0_17block_load_methodE3ELS4_3ELS4_3ELNS0_20block_scan_algorithmE0ELj4294967295EEENS1_25partition_config_selectorILNS1_17partition_subalgoE3EjNS0_10empty_typeEbEEZZNS1_14partition_implILS8_3ELb0ES6_jNS0_17counting_iteratorIjlEEPS9_SE_NS0_5tupleIJPjSE_EEENSF_IJSE_SE_EEES9_SG_JZNS1_25segmented_radix_sort_implINS0_14default_configELb0EPKaPaPKlPlN2at6native12_GLOBAL__N_18offset_tEEE10hipError_tPvRmT1_PNSt15iterator_traitsISY_E10value_typeET2_T3_PNSZ_IS14_E10value_typeET4_jRbjT5_S1A_jjP12ihipStream_tbEUljE_EEESV_SW_SX_S14_S18_S1A_T6_T7_T9_mT8_S1C_bDpT10_ENKUlT_T0_E_clISt17integral_constantIbLb0EES1P_EEDaS1K_S1L_EUlS1K_E_NS1_11comp_targetILNS1_3genE8ELNS1_11target_archE1030ELNS1_3gpuE2ELNS1_3repE0EEENS1_30default_config_static_selectorELNS0_4arch9wavefront6targetE1EEEvSY_.uses_vcc, 0
	.set _ZN7rocprim17ROCPRIM_400000_NS6detail17trampoline_kernelINS0_13select_configILj256ELj13ELNS0_17block_load_methodE3ELS4_3ELS4_3ELNS0_20block_scan_algorithmE0ELj4294967295EEENS1_25partition_config_selectorILNS1_17partition_subalgoE3EjNS0_10empty_typeEbEEZZNS1_14partition_implILS8_3ELb0ES6_jNS0_17counting_iteratorIjlEEPS9_SE_NS0_5tupleIJPjSE_EEENSF_IJSE_SE_EEES9_SG_JZNS1_25segmented_radix_sort_implINS0_14default_configELb0EPKaPaPKlPlN2at6native12_GLOBAL__N_18offset_tEEE10hipError_tPvRmT1_PNSt15iterator_traitsISY_E10value_typeET2_T3_PNSZ_IS14_E10value_typeET4_jRbjT5_S1A_jjP12ihipStream_tbEUljE_EEESV_SW_SX_S14_S18_S1A_T6_T7_T9_mT8_S1C_bDpT10_ENKUlT_T0_E_clISt17integral_constantIbLb0EES1P_EEDaS1K_S1L_EUlS1K_E_NS1_11comp_targetILNS1_3genE8ELNS1_11target_archE1030ELNS1_3gpuE2ELNS1_3repE0EEENS1_30default_config_static_selectorELNS0_4arch9wavefront6targetE1EEEvSY_.uses_flat_scratch, 0
	.set _ZN7rocprim17ROCPRIM_400000_NS6detail17trampoline_kernelINS0_13select_configILj256ELj13ELNS0_17block_load_methodE3ELS4_3ELS4_3ELNS0_20block_scan_algorithmE0ELj4294967295EEENS1_25partition_config_selectorILNS1_17partition_subalgoE3EjNS0_10empty_typeEbEEZZNS1_14partition_implILS8_3ELb0ES6_jNS0_17counting_iteratorIjlEEPS9_SE_NS0_5tupleIJPjSE_EEENSF_IJSE_SE_EEES9_SG_JZNS1_25segmented_radix_sort_implINS0_14default_configELb0EPKaPaPKlPlN2at6native12_GLOBAL__N_18offset_tEEE10hipError_tPvRmT1_PNSt15iterator_traitsISY_E10value_typeET2_T3_PNSZ_IS14_E10value_typeET4_jRbjT5_S1A_jjP12ihipStream_tbEUljE_EEESV_SW_SX_S14_S18_S1A_T6_T7_T9_mT8_S1C_bDpT10_ENKUlT_T0_E_clISt17integral_constantIbLb0EES1P_EEDaS1K_S1L_EUlS1K_E_NS1_11comp_targetILNS1_3genE8ELNS1_11target_archE1030ELNS1_3gpuE2ELNS1_3repE0EEENS1_30default_config_static_selectorELNS0_4arch9wavefront6targetE1EEEvSY_.has_dyn_sized_stack, 0
	.set _ZN7rocprim17ROCPRIM_400000_NS6detail17trampoline_kernelINS0_13select_configILj256ELj13ELNS0_17block_load_methodE3ELS4_3ELS4_3ELNS0_20block_scan_algorithmE0ELj4294967295EEENS1_25partition_config_selectorILNS1_17partition_subalgoE3EjNS0_10empty_typeEbEEZZNS1_14partition_implILS8_3ELb0ES6_jNS0_17counting_iteratorIjlEEPS9_SE_NS0_5tupleIJPjSE_EEENSF_IJSE_SE_EEES9_SG_JZNS1_25segmented_radix_sort_implINS0_14default_configELb0EPKaPaPKlPlN2at6native12_GLOBAL__N_18offset_tEEE10hipError_tPvRmT1_PNSt15iterator_traitsISY_E10value_typeET2_T3_PNSZ_IS14_E10value_typeET4_jRbjT5_S1A_jjP12ihipStream_tbEUljE_EEESV_SW_SX_S14_S18_S1A_T6_T7_T9_mT8_S1C_bDpT10_ENKUlT_T0_E_clISt17integral_constantIbLb0EES1P_EEDaS1K_S1L_EUlS1K_E_NS1_11comp_targetILNS1_3genE8ELNS1_11target_archE1030ELNS1_3gpuE2ELNS1_3repE0EEENS1_30default_config_static_selectorELNS0_4arch9wavefront6targetE1EEEvSY_.has_recursion, 0
	.set _ZN7rocprim17ROCPRIM_400000_NS6detail17trampoline_kernelINS0_13select_configILj256ELj13ELNS0_17block_load_methodE3ELS4_3ELS4_3ELNS0_20block_scan_algorithmE0ELj4294967295EEENS1_25partition_config_selectorILNS1_17partition_subalgoE3EjNS0_10empty_typeEbEEZZNS1_14partition_implILS8_3ELb0ES6_jNS0_17counting_iteratorIjlEEPS9_SE_NS0_5tupleIJPjSE_EEENSF_IJSE_SE_EEES9_SG_JZNS1_25segmented_radix_sort_implINS0_14default_configELb0EPKaPaPKlPlN2at6native12_GLOBAL__N_18offset_tEEE10hipError_tPvRmT1_PNSt15iterator_traitsISY_E10value_typeET2_T3_PNSZ_IS14_E10value_typeET4_jRbjT5_S1A_jjP12ihipStream_tbEUljE_EEESV_SW_SX_S14_S18_S1A_T6_T7_T9_mT8_S1C_bDpT10_ENKUlT_T0_E_clISt17integral_constantIbLb0EES1P_EEDaS1K_S1L_EUlS1K_E_NS1_11comp_targetILNS1_3genE8ELNS1_11target_archE1030ELNS1_3gpuE2ELNS1_3repE0EEENS1_30default_config_static_selectorELNS0_4arch9wavefront6targetE1EEEvSY_.has_indirect_call, 0
	.section	.AMDGPU.csdata,"",@progbits
; Kernel info:
; codeLenInByte = 0
; TotalNumSgprs: 4
; NumVgprs: 0
; ScratchSize: 0
; MemoryBound: 0
; FloatMode: 240
; IeeeMode: 1
; LDSByteSize: 0 bytes/workgroup (compile time only)
; SGPRBlocks: 0
; VGPRBlocks: 0
; NumSGPRsForWavesPerEU: 4
; NumVGPRsForWavesPerEU: 1
; Occupancy: 10
; WaveLimiterHint : 0
; COMPUTE_PGM_RSRC2:SCRATCH_EN: 0
; COMPUTE_PGM_RSRC2:USER_SGPR: 6
; COMPUTE_PGM_RSRC2:TRAP_HANDLER: 0
; COMPUTE_PGM_RSRC2:TGID_X_EN: 1
; COMPUTE_PGM_RSRC2:TGID_Y_EN: 0
; COMPUTE_PGM_RSRC2:TGID_Z_EN: 0
; COMPUTE_PGM_RSRC2:TIDIG_COMP_CNT: 0
	.section	.text._ZN7rocprim17ROCPRIM_400000_NS6detail17trampoline_kernelINS0_13select_configILj256ELj13ELNS0_17block_load_methodE3ELS4_3ELS4_3ELNS0_20block_scan_algorithmE0ELj4294967295EEENS1_25partition_config_selectorILNS1_17partition_subalgoE3EjNS0_10empty_typeEbEEZZNS1_14partition_implILS8_3ELb0ES6_jNS0_17counting_iteratorIjlEEPS9_SE_NS0_5tupleIJPjSE_EEENSF_IJSE_SE_EEES9_SG_JZNS1_25segmented_radix_sort_implINS0_14default_configELb0EPKaPaPKlPlN2at6native12_GLOBAL__N_18offset_tEEE10hipError_tPvRmT1_PNSt15iterator_traitsISY_E10value_typeET2_T3_PNSZ_IS14_E10value_typeET4_jRbjT5_S1A_jjP12ihipStream_tbEUljE_EEESV_SW_SX_S14_S18_S1A_T6_T7_T9_mT8_S1C_bDpT10_ENKUlT_T0_E_clISt17integral_constantIbLb1EES1P_EEDaS1K_S1L_EUlS1K_E_NS1_11comp_targetILNS1_3genE0ELNS1_11target_archE4294967295ELNS1_3gpuE0ELNS1_3repE0EEENS1_30default_config_static_selectorELNS0_4arch9wavefront6targetE1EEEvSY_,"axG",@progbits,_ZN7rocprim17ROCPRIM_400000_NS6detail17trampoline_kernelINS0_13select_configILj256ELj13ELNS0_17block_load_methodE3ELS4_3ELS4_3ELNS0_20block_scan_algorithmE0ELj4294967295EEENS1_25partition_config_selectorILNS1_17partition_subalgoE3EjNS0_10empty_typeEbEEZZNS1_14partition_implILS8_3ELb0ES6_jNS0_17counting_iteratorIjlEEPS9_SE_NS0_5tupleIJPjSE_EEENSF_IJSE_SE_EEES9_SG_JZNS1_25segmented_radix_sort_implINS0_14default_configELb0EPKaPaPKlPlN2at6native12_GLOBAL__N_18offset_tEEE10hipError_tPvRmT1_PNSt15iterator_traitsISY_E10value_typeET2_T3_PNSZ_IS14_E10value_typeET4_jRbjT5_S1A_jjP12ihipStream_tbEUljE_EEESV_SW_SX_S14_S18_S1A_T6_T7_T9_mT8_S1C_bDpT10_ENKUlT_T0_E_clISt17integral_constantIbLb1EES1P_EEDaS1K_S1L_EUlS1K_E_NS1_11comp_targetILNS1_3genE0ELNS1_11target_archE4294967295ELNS1_3gpuE0ELNS1_3repE0EEENS1_30default_config_static_selectorELNS0_4arch9wavefront6targetE1EEEvSY_,comdat
	.globl	_ZN7rocprim17ROCPRIM_400000_NS6detail17trampoline_kernelINS0_13select_configILj256ELj13ELNS0_17block_load_methodE3ELS4_3ELS4_3ELNS0_20block_scan_algorithmE0ELj4294967295EEENS1_25partition_config_selectorILNS1_17partition_subalgoE3EjNS0_10empty_typeEbEEZZNS1_14partition_implILS8_3ELb0ES6_jNS0_17counting_iteratorIjlEEPS9_SE_NS0_5tupleIJPjSE_EEENSF_IJSE_SE_EEES9_SG_JZNS1_25segmented_radix_sort_implINS0_14default_configELb0EPKaPaPKlPlN2at6native12_GLOBAL__N_18offset_tEEE10hipError_tPvRmT1_PNSt15iterator_traitsISY_E10value_typeET2_T3_PNSZ_IS14_E10value_typeET4_jRbjT5_S1A_jjP12ihipStream_tbEUljE_EEESV_SW_SX_S14_S18_S1A_T6_T7_T9_mT8_S1C_bDpT10_ENKUlT_T0_E_clISt17integral_constantIbLb1EES1P_EEDaS1K_S1L_EUlS1K_E_NS1_11comp_targetILNS1_3genE0ELNS1_11target_archE4294967295ELNS1_3gpuE0ELNS1_3repE0EEENS1_30default_config_static_selectorELNS0_4arch9wavefront6targetE1EEEvSY_ ; -- Begin function _ZN7rocprim17ROCPRIM_400000_NS6detail17trampoline_kernelINS0_13select_configILj256ELj13ELNS0_17block_load_methodE3ELS4_3ELS4_3ELNS0_20block_scan_algorithmE0ELj4294967295EEENS1_25partition_config_selectorILNS1_17partition_subalgoE3EjNS0_10empty_typeEbEEZZNS1_14partition_implILS8_3ELb0ES6_jNS0_17counting_iteratorIjlEEPS9_SE_NS0_5tupleIJPjSE_EEENSF_IJSE_SE_EEES9_SG_JZNS1_25segmented_radix_sort_implINS0_14default_configELb0EPKaPaPKlPlN2at6native12_GLOBAL__N_18offset_tEEE10hipError_tPvRmT1_PNSt15iterator_traitsISY_E10value_typeET2_T3_PNSZ_IS14_E10value_typeET4_jRbjT5_S1A_jjP12ihipStream_tbEUljE_EEESV_SW_SX_S14_S18_S1A_T6_T7_T9_mT8_S1C_bDpT10_ENKUlT_T0_E_clISt17integral_constantIbLb1EES1P_EEDaS1K_S1L_EUlS1K_E_NS1_11comp_targetILNS1_3genE0ELNS1_11target_archE4294967295ELNS1_3gpuE0ELNS1_3repE0EEENS1_30default_config_static_selectorELNS0_4arch9wavefront6targetE1EEEvSY_
	.p2align	8
	.type	_ZN7rocprim17ROCPRIM_400000_NS6detail17trampoline_kernelINS0_13select_configILj256ELj13ELNS0_17block_load_methodE3ELS4_3ELS4_3ELNS0_20block_scan_algorithmE0ELj4294967295EEENS1_25partition_config_selectorILNS1_17partition_subalgoE3EjNS0_10empty_typeEbEEZZNS1_14partition_implILS8_3ELb0ES6_jNS0_17counting_iteratorIjlEEPS9_SE_NS0_5tupleIJPjSE_EEENSF_IJSE_SE_EEES9_SG_JZNS1_25segmented_radix_sort_implINS0_14default_configELb0EPKaPaPKlPlN2at6native12_GLOBAL__N_18offset_tEEE10hipError_tPvRmT1_PNSt15iterator_traitsISY_E10value_typeET2_T3_PNSZ_IS14_E10value_typeET4_jRbjT5_S1A_jjP12ihipStream_tbEUljE_EEESV_SW_SX_S14_S18_S1A_T6_T7_T9_mT8_S1C_bDpT10_ENKUlT_T0_E_clISt17integral_constantIbLb1EES1P_EEDaS1K_S1L_EUlS1K_E_NS1_11comp_targetILNS1_3genE0ELNS1_11target_archE4294967295ELNS1_3gpuE0ELNS1_3repE0EEENS1_30default_config_static_selectorELNS0_4arch9wavefront6targetE1EEEvSY_,@function
_ZN7rocprim17ROCPRIM_400000_NS6detail17trampoline_kernelINS0_13select_configILj256ELj13ELNS0_17block_load_methodE3ELS4_3ELS4_3ELNS0_20block_scan_algorithmE0ELj4294967295EEENS1_25partition_config_selectorILNS1_17partition_subalgoE3EjNS0_10empty_typeEbEEZZNS1_14partition_implILS8_3ELb0ES6_jNS0_17counting_iteratorIjlEEPS9_SE_NS0_5tupleIJPjSE_EEENSF_IJSE_SE_EEES9_SG_JZNS1_25segmented_radix_sort_implINS0_14default_configELb0EPKaPaPKlPlN2at6native12_GLOBAL__N_18offset_tEEE10hipError_tPvRmT1_PNSt15iterator_traitsISY_E10value_typeET2_T3_PNSZ_IS14_E10value_typeET4_jRbjT5_S1A_jjP12ihipStream_tbEUljE_EEESV_SW_SX_S14_S18_S1A_T6_T7_T9_mT8_S1C_bDpT10_ENKUlT_T0_E_clISt17integral_constantIbLb1EES1P_EEDaS1K_S1L_EUlS1K_E_NS1_11comp_targetILNS1_3genE0ELNS1_11target_archE4294967295ELNS1_3gpuE0ELNS1_3repE0EEENS1_30default_config_static_selectorELNS0_4arch9wavefront6targetE1EEEvSY_: ; @_ZN7rocprim17ROCPRIM_400000_NS6detail17trampoline_kernelINS0_13select_configILj256ELj13ELNS0_17block_load_methodE3ELS4_3ELS4_3ELNS0_20block_scan_algorithmE0ELj4294967295EEENS1_25partition_config_selectorILNS1_17partition_subalgoE3EjNS0_10empty_typeEbEEZZNS1_14partition_implILS8_3ELb0ES6_jNS0_17counting_iteratorIjlEEPS9_SE_NS0_5tupleIJPjSE_EEENSF_IJSE_SE_EEES9_SG_JZNS1_25segmented_radix_sort_implINS0_14default_configELb0EPKaPaPKlPlN2at6native12_GLOBAL__N_18offset_tEEE10hipError_tPvRmT1_PNSt15iterator_traitsISY_E10value_typeET2_T3_PNSZ_IS14_E10value_typeET4_jRbjT5_S1A_jjP12ihipStream_tbEUljE_EEESV_SW_SX_S14_S18_S1A_T6_T7_T9_mT8_S1C_bDpT10_ENKUlT_T0_E_clISt17integral_constantIbLb1EES1P_EEDaS1K_S1L_EUlS1K_E_NS1_11comp_targetILNS1_3genE0ELNS1_11target_archE4294967295ELNS1_3gpuE0ELNS1_3repE0EEENS1_30default_config_static_selectorELNS0_4arch9wavefront6targetE1EEEvSY_
; %bb.0:
	.section	.rodata,"a",@progbits
	.p2align	6, 0x0
	.amdhsa_kernel _ZN7rocprim17ROCPRIM_400000_NS6detail17trampoline_kernelINS0_13select_configILj256ELj13ELNS0_17block_load_methodE3ELS4_3ELS4_3ELNS0_20block_scan_algorithmE0ELj4294967295EEENS1_25partition_config_selectorILNS1_17partition_subalgoE3EjNS0_10empty_typeEbEEZZNS1_14partition_implILS8_3ELb0ES6_jNS0_17counting_iteratorIjlEEPS9_SE_NS0_5tupleIJPjSE_EEENSF_IJSE_SE_EEES9_SG_JZNS1_25segmented_radix_sort_implINS0_14default_configELb0EPKaPaPKlPlN2at6native12_GLOBAL__N_18offset_tEEE10hipError_tPvRmT1_PNSt15iterator_traitsISY_E10value_typeET2_T3_PNSZ_IS14_E10value_typeET4_jRbjT5_S1A_jjP12ihipStream_tbEUljE_EEESV_SW_SX_S14_S18_S1A_T6_T7_T9_mT8_S1C_bDpT10_ENKUlT_T0_E_clISt17integral_constantIbLb1EES1P_EEDaS1K_S1L_EUlS1K_E_NS1_11comp_targetILNS1_3genE0ELNS1_11target_archE4294967295ELNS1_3gpuE0ELNS1_3repE0EEENS1_30default_config_static_selectorELNS0_4arch9wavefront6targetE1EEEvSY_
		.amdhsa_group_segment_fixed_size 0
		.amdhsa_private_segment_fixed_size 0
		.amdhsa_kernarg_size 152
		.amdhsa_user_sgpr_count 6
		.amdhsa_user_sgpr_private_segment_buffer 1
		.amdhsa_user_sgpr_dispatch_ptr 0
		.amdhsa_user_sgpr_queue_ptr 0
		.amdhsa_user_sgpr_kernarg_segment_ptr 1
		.amdhsa_user_sgpr_dispatch_id 0
		.amdhsa_user_sgpr_flat_scratch_init 0
		.amdhsa_user_sgpr_private_segment_size 0
		.amdhsa_uses_dynamic_stack 0
		.amdhsa_system_sgpr_private_segment_wavefront_offset 0
		.amdhsa_system_sgpr_workgroup_id_x 1
		.amdhsa_system_sgpr_workgroup_id_y 0
		.amdhsa_system_sgpr_workgroup_id_z 0
		.amdhsa_system_sgpr_workgroup_info 0
		.amdhsa_system_vgpr_workitem_id 0
		.amdhsa_next_free_vgpr 1
		.amdhsa_next_free_sgpr 0
		.amdhsa_reserve_vcc 0
		.amdhsa_reserve_flat_scratch 0
		.amdhsa_float_round_mode_32 0
		.amdhsa_float_round_mode_16_64 0
		.amdhsa_float_denorm_mode_32 3
		.amdhsa_float_denorm_mode_16_64 3
		.amdhsa_dx10_clamp 1
		.amdhsa_ieee_mode 1
		.amdhsa_fp16_overflow 0
		.amdhsa_exception_fp_ieee_invalid_op 0
		.amdhsa_exception_fp_denorm_src 0
		.amdhsa_exception_fp_ieee_div_zero 0
		.amdhsa_exception_fp_ieee_overflow 0
		.amdhsa_exception_fp_ieee_underflow 0
		.amdhsa_exception_fp_ieee_inexact 0
		.amdhsa_exception_int_div_zero 0
	.end_amdhsa_kernel
	.section	.text._ZN7rocprim17ROCPRIM_400000_NS6detail17trampoline_kernelINS0_13select_configILj256ELj13ELNS0_17block_load_methodE3ELS4_3ELS4_3ELNS0_20block_scan_algorithmE0ELj4294967295EEENS1_25partition_config_selectorILNS1_17partition_subalgoE3EjNS0_10empty_typeEbEEZZNS1_14partition_implILS8_3ELb0ES6_jNS0_17counting_iteratorIjlEEPS9_SE_NS0_5tupleIJPjSE_EEENSF_IJSE_SE_EEES9_SG_JZNS1_25segmented_radix_sort_implINS0_14default_configELb0EPKaPaPKlPlN2at6native12_GLOBAL__N_18offset_tEEE10hipError_tPvRmT1_PNSt15iterator_traitsISY_E10value_typeET2_T3_PNSZ_IS14_E10value_typeET4_jRbjT5_S1A_jjP12ihipStream_tbEUljE_EEESV_SW_SX_S14_S18_S1A_T6_T7_T9_mT8_S1C_bDpT10_ENKUlT_T0_E_clISt17integral_constantIbLb1EES1P_EEDaS1K_S1L_EUlS1K_E_NS1_11comp_targetILNS1_3genE0ELNS1_11target_archE4294967295ELNS1_3gpuE0ELNS1_3repE0EEENS1_30default_config_static_selectorELNS0_4arch9wavefront6targetE1EEEvSY_,"axG",@progbits,_ZN7rocprim17ROCPRIM_400000_NS6detail17trampoline_kernelINS0_13select_configILj256ELj13ELNS0_17block_load_methodE3ELS4_3ELS4_3ELNS0_20block_scan_algorithmE0ELj4294967295EEENS1_25partition_config_selectorILNS1_17partition_subalgoE3EjNS0_10empty_typeEbEEZZNS1_14partition_implILS8_3ELb0ES6_jNS0_17counting_iteratorIjlEEPS9_SE_NS0_5tupleIJPjSE_EEENSF_IJSE_SE_EEES9_SG_JZNS1_25segmented_radix_sort_implINS0_14default_configELb0EPKaPaPKlPlN2at6native12_GLOBAL__N_18offset_tEEE10hipError_tPvRmT1_PNSt15iterator_traitsISY_E10value_typeET2_T3_PNSZ_IS14_E10value_typeET4_jRbjT5_S1A_jjP12ihipStream_tbEUljE_EEESV_SW_SX_S14_S18_S1A_T6_T7_T9_mT8_S1C_bDpT10_ENKUlT_T0_E_clISt17integral_constantIbLb1EES1P_EEDaS1K_S1L_EUlS1K_E_NS1_11comp_targetILNS1_3genE0ELNS1_11target_archE4294967295ELNS1_3gpuE0ELNS1_3repE0EEENS1_30default_config_static_selectorELNS0_4arch9wavefront6targetE1EEEvSY_,comdat
.Lfunc_end369:
	.size	_ZN7rocprim17ROCPRIM_400000_NS6detail17trampoline_kernelINS0_13select_configILj256ELj13ELNS0_17block_load_methodE3ELS4_3ELS4_3ELNS0_20block_scan_algorithmE0ELj4294967295EEENS1_25partition_config_selectorILNS1_17partition_subalgoE3EjNS0_10empty_typeEbEEZZNS1_14partition_implILS8_3ELb0ES6_jNS0_17counting_iteratorIjlEEPS9_SE_NS0_5tupleIJPjSE_EEENSF_IJSE_SE_EEES9_SG_JZNS1_25segmented_radix_sort_implINS0_14default_configELb0EPKaPaPKlPlN2at6native12_GLOBAL__N_18offset_tEEE10hipError_tPvRmT1_PNSt15iterator_traitsISY_E10value_typeET2_T3_PNSZ_IS14_E10value_typeET4_jRbjT5_S1A_jjP12ihipStream_tbEUljE_EEESV_SW_SX_S14_S18_S1A_T6_T7_T9_mT8_S1C_bDpT10_ENKUlT_T0_E_clISt17integral_constantIbLb1EES1P_EEDaS1K_S1L_EUlS1K_E_NS1_11comp_targetILNS1_3genE0ELNS1_11target_archE4294967295ELNS1_3gpuE0ELNS1_3repE0EEENS1_30default_config_static_selectorELNS0_4arch9wavefront6targetE1EEEvSY_, .Lfunc_end369-_ZN7rocprim17ROCPRIM_400000_NS6detail17trampoline_kernelINS0_13select_configILj256ELj13ELNS0_17block_load_methodE3ELS4_3ELS4_3ELNS0_20block_scan_algorithmE0ELj4294967295EEENS1_25partition_config_selectorILNS1_17partition_subalgoE3EjNS0_10empty_typeEbEEZZNS1_14partition_implILS8_3ELb0ES6_jNS0_17counting_iteratorIjlEEPS9_SE_NS0_5tupleIJPjSE_EEENSF_IJSE_SE_EEES9_SG_JZNS1_25segmented_radix_sort_implINS0_14default_configELb0EPKaPaPKlPlN2at6native12_GLOBAL__N_18offset_tEEE10hipError_tPvRmT1_PNSt15iterator_traitsISY_E10value_typeET2_T3_PNSZ_IS14_E10value_typeET4_jRbjT5_S1A_jjP12ihipStream_tbEUljE_EEESV_SW_SX_S14_S18_S1A_T6_T7_T9_mT8_S1C_bDpT10_ENKUlT_T0_E_clISt17integral_constantIbLb1EES1P_EEDaS1K_S1L_EUlS1K_E_NS1_11comp_targetILNS1_3genE0ELNS1_11target_archE4294967295ELNS1_3gpuE0ELNS1_3repE0EEENS1_30default_config_static_selectorELNS0_4arch9wavefront6targetE1EEEvSY_
                                        ; -- End function
	.set _ZN7rocprim17ROCPRIM_400000_NS6detail17trampoline_kernelINS0_13select_configILj256ELj13ELNS0_17block_load_methodE3ELS4_3ELS4_3ELNS0_20block_scan_algorithmE0ELj4294967295EEENS1_25partition_config_selectorILNS1_17partition_subalgoE3EjNS0_10empty_typeEbEEZZNS1_14partition_implILS8_3ELb0ES6_jNS0_17counting_iteratorIjlEEPS9_SE_NS0_5tupleIJPjSE_EEENSF_IJSE_SE_EEES9_SG_JZNS1_25segmented_radix_sort_implINS0_14default_configELb0EPKaPaPKlPlN2at6native12_GLOBAL__N_18offset_tEEE10hipError_tPvRmT1_PNSt15iterator_traitsISY_E10value_typeET2_T3_PNSZ_IS14_E10value_typeET4_jRbjT5_S1A_jjP12ihipStream_tbEUljE_EEESV_SW_SX_S14_S18_S1A_T6_T7_T9_mT8_S1C_bDpT10_ENKUlT_T0_E_clISt17integral_constantIbLb1EES1P_EEDaS1K_S1L_EUlS1K_E_NS1_11comp_targetILNS1_3genE0ELNS1_11target_archE4294967295ELNS1_3gpuE0ELNS1_3repE0EEENS1_30default_config_static_selectorELNS0_4arch9wavefront6targetE1EEEvSY_.num_vgpr, 0
	.set _ZN7rocprim17ROCPRIM_400000_NS6detail17trampoline_kernelINS0_13select_configILj256ELj13ELNS0_17block_load_methodE3ELS4_3ELS4_3ELNS0_20block_scan_algorithmE0ELj4294967295EEENS1_25partition_config_selectorILNS1_17partition_subalgoE3EjNS0_10empty_typeEbEEZZNS1_14partition_implILS8_3ELb0ES6_jNS0_17counting_iteratorIjlEEPS9_SE_NS0_5tupleIJPjSE_EEENSF_IJSE_SE_EEES9_SG_JZNS1_25segmented_radix_sort_implINS0_14default_configELb0EPKaPaPKlPlN2at6native12_GLOBAL__N_18offset_tEEE10hipError_tPvRmT1_PNSt15iterator_traitsISY_E10value_typeET2_T3_PNSZ_IS14_E10value_typeET4_jRbjT5_S1A_jjP12ihipStream_tbEUljE_EEESV_SW_SX_S14_S18_S1A_T6_T7_T9_mT8_S1C_bDpT10_ENKUlT_T0_E_clISt17integral_constantIbLb1EES1P_EEDaS1K_S1L_EUlS1K_E_NS1_11comp_targetILNS1_3genE0ELNS1_11target_archE4294967295ELNS1_3gpuE0ELNS1_3repE0EEENS1_30default_config_static_selectorELNS0_4arch9wavefront6targetE1EEEvSY_.num_agpr, 0
	.set _ZN7rocprim17ROCPRIM_400000_NS6detail17trampoline_kernelINS0_13select_configILj256ELj13ELNS0_17block_load_methodE3ELS4_3ELS4_3ELNS0_20block_scan_algorithmE0ELj4294967295EEENS1_25partition_config_selectorILNS1_17partition_subalgoE3EjNS0_10empty_typeEbEEZZNS1_14partition_implILS8_3ELb0ES6_jNS0_17counting_iteratorIjlEEPS9_SE_NS0_5tupleIJPjSE_EEENSF_IJSE_SE_EEES9_SG_JZNS1_25segmented_radix_sort_implINS0_14default_configELb0EPKaPaPKlPlN2at6native12_GLOBAL__N_18offset_tEEE10hipError_tPvRmT1_PNSt15iterator_traitsISY_E10value_typeET2_T3_PNSZ_IS14_E10value_typeET4_jRbjT5_S1A_jjP12ihipStream_tbEUljE_EEESV_SW_SX_S14_S18_S1A_T6_T7_T9_mT8_S1C_bDpT10_ENKUlT_T0_E_clISt17integral_constantIbLb1EES1P_EEDaS1K_S1L_EUlS1K_E_NS1_11comp_targetILNS1_3genE0ELNS1_11target_archE4294967295ELNS1_3gpuE0ELNS1_3repE0EEENS1_30default_config_static_selectorELNS0_4arch9wavefront6targetE1EEEvSY_.numbered_sgpr, 0
	.set _ZN7rocprim17ROCPRIM_400000_NS6detail17trampoline_kernelINS0_13select_configILj256ELj13ELNS0_17block_load_methodE3ELS4_3ELS4_3ELNS0_20block_scan_algorithmE0ELj4294967295EEENS1_25partition_config_selectorILNS1_17partition_subalgoE3EjNS0_10empty_typeEbEEZZNS1_14partition_implILS8_3ELb0ES6_jNS0_17counting_iteratorIjlEEPS9_SE_NS0_5tupleIJPjSE_EEENSF_IJSE_SE_EEES9_SG_JZNS1_25segmented_radix_sort_implINS0_14default_configELb0EPKaPaPKlPlN2at6native12_GLOBAL__N_18offset_tEEE10hipError_tPvRmT1_PNSt15iterator_traitsISY_E10value_typeET2_T3_PNSZ_IS14_E10value_typeET4_jRbjT5_S1A_jjP12ihipStream_tbEUljE_EEESV_SW_SX_S14_S18_S1A_T6_T7_T9_mT8_S1C_bDpT10_ENKUlT_T0_E_clISt17integral_constantIbLb1EES1P_EEDaS1K_S1L_EUlS1K_E_NS1_11comp_targetILNS1_3genE0ELNS1_11target_archE4294967295ELNS1_3gpuE0ELNS1_3repE0EEENS1_30default_config_static_selectorELNS0_4arch9wavefront6targetE1EEEvSY_.num_named_barrier, 0
	.set _ZN7rocprim17ROCPRIM_400000_NS6detail17trampoline_kernelINS0_13select_configILj256ELj13ELNS0_17block_load_methodE3ELS4_3ELS4_3ELNS0_20block_scan_algorithmE0ELj4294967295EEENS1_25partition_config_selectorILNS1_17partition_subalgoE3EjNS0_10empty_typeEbEEZZNS1_14partition_implILS8_3ELb0ES6_jNS0_17counting_iteratorIjlEEPS9_SE_NS0_5tupleIJPjSE_EEENSF_IJSE_SE_EEES9_SG_JZNS1_25segmented_radix_sort_implINS0_14default_configELb0EPKaPaPKlPlN2at6native12_GLOBAL__N_18offset_tEEE10hipError_tPvRmT1_PNSt15iterator_traitsISY_E10value_typeET2_T3_PNSZ_IS14_E10value_typeET4_jRbjT5_S1A_jjP12ihipStream_tbEUljE_EEESV_SW_SX_S14_S18_S1A_T6_T7_T9_mT8_S1C_bDpT10_ENKUlT_T0_E_clISt17integral_constantIbLb1EES1P_EEDaS1K_S1L_EUlS1K_E_NS1_11comp_targetILNS1_3genE0ELNS1_11target_archE4294967295ELNS1_3gpuE0ELNS1_3repE0EEENS1_30default_config_static_selectorELNS0_4arch9wavefront6targetE1EEEvSY_.private_seg_size, 0
	.set _ZN7rocprim17ROCPRIM_400000_NS6detail17trampoline_kernelINS0_13select_configILj256ELj13ELNS0_17block_load_methodE3ELS4_3ELS4_3ELNS0_20block_scan_algorithmE0ELj4294967295EEENS1_25partition_config_selectorILNS1_17partition_subalgoE3EjNS0_10empty_typeEbEEZZNS1_14partition_implILS8_3ELb0ES6_jNS0_17counting_iteratorIjlEEPS9_SE_NS0_5tupleIJPjSE_EEENSF_IJSE_SE_EEES9_SG_JZNS1_25segmented_radix_sort_implINS0_14default_configELb0EPKaPaPKlPlN2at6native12_GLOBAL__N_18offset_tEEE10hipError_tPvRmT1_PNSt15iterator_traitsISY_E10value_typeET2_T3_PNSZ_IS14_E10value_typeET4_jRbjT5_S1A_jjP12ihipStream_tbEUljE_EEESV_SW_SX_S14_S18_S1A_T6_T7_T9_mT8_S1C_bDpT10_ENKUlT_T0_E_clISt17integral_constantIbLb1EES1P_EEDaS1K_S1L_EUlS1K_E_NS1_11comp_targetILNS1_3genE0ELNS1_11target_archE4294967295ELNS1_3gpuE0ELNS1_3repE0EEENS1_30default_config_static_selectorELNS0_4arch9wavefront6targetE1EEEvSY_.uses_vcc, 0
	.set _ZN7rocprim17ROCPRIM_400000_NS6detail17trampoline_kernelINS0_13select_configILj256ELj13ELNS0_17block_load_methodE3ELS4_3ELS4_3ELNS0_20block_scan_algorithmE0ELj4294967295EEENS1_25partition_config_selectorILNS1_17partition_subalgoE3EjNS0_10empty_typeEbEEZZNS1_14partition_implILS8_3ELb0ES6_jNS0_17counting_iteratorIjlEEPS9_SE_NS0_5tupleIJPjSE_EEENSF_IJSE_SE_EEES9_SG_JZNS1_25segmented_radix_sort_implINS0_14default_configELb0EPKaPaPKlPlN2at6native12_GLOBAL__N_18offset_tEEE10hipError_tPvRmT1_PNSt15iterator_traitsISY_E10value_typeET2_T3_PNSZ_IS14_E10value_typeET4_jRbjT5_S1A_jjP12ihipStream_tbEUljE_EEESV_SW_SX_S14_S18_S1A_T6_T7_T9_mT8_S1C_bDpT10_ENKUlT_T0_E_clISt17integral_constantIbLb1EES1P_EEDaS1K_S1L_EUlS1K_E_NS1_11comp_targetILNS1_3genE0ELNS1_11target_archE4294967295ELNS1_3gpuE0ELNS1_3repE0EEENS1_30default_config_static_selectorELNS0_4arch9wavefront6targetE1EEEvSY_.uses_flat_scratch, 0
	.set _ZN7rocprim17ROCPRIM_400000_NS6detail17trampoline_kernelINS0_13select_configILj256ELj13ELNS0_17block_load_methodE3ELS4_3ELS4_3ELNS0_20block_scan_algorithmE0ELj4294967295EEENS1_25partition_config_selectorILNS1_17partition_subalgoE3EjNS0_10empty_typeEbEEZZNS1_14partition_implILS8_3ELb0ES6_jNS0_17counting_iteratorIjlEEPS9_SE_NS0_5tupleIJPjSE_EEENSF_IJSE_SE_EEES9_SG_JZNS1_25segmented_radix_sort_implINS0_14default_configELb0EPKaPaPKlPlN2at6native12_GLOBAL__N_18offset_tEEE10hipError_tPvRmT1_PNSt15iterator_traitsISY_E10value_typeET2_T3_PNSZ_IS14_E10value_typeET4_jRbjT5_S1A_jjP12ihipStream_tbEUljE_EEESV_SW_SX_S14_S18_S1A_T6_T7_T9_mT8_S1C_bDpT10_ENKUlT_T0_E_clISt17integral_constantIbLb1EES1P_EEDaS1K_S1L_EUlS1K_E_NS1_11comp_targetILNS1_3genE0ELNS1_11target_archE4294967295ELNS1_3gpuE0ELNS1_3repE0EEENS1_30default_config_static_selectorELNS0_4arch9wavefront6targetE1EEEvSY_.has_dyn_sized_stack, 0
	.set _ZN7rocprim17ROCPRIM_400000_NS6detail17trampoline_kernelINS0_13select_configILj256ELj13ELNS0_17block_load_methodE3ELS4_3ELS4_3ELNS0_20block_scan_algorithmE0ELj4294967295EEENS1_25partition_config_selectorILNS1_17partition_subalgoE3EjNS0_10empty_typeEbEEZZNS1_14partition_implILS8_3ELb0ES6_jNS0_17counting_iteratorIjlEEPS9_SE_NS0_5tupleIJPjSE_EEENSF_IJSE_SE_EEES9_SG_JZNS1_25segmented_radix_sort_implINS0_14default_configELb0EPKaPaPKlPlN2at6native12_GLOBAL__N_18offset_tEEE10hipError_tPvRmT1_PNSt15iterator_traitsISY_E10value_typeET2_T3_PNSZ_IS14_E10value_typeET4_jRbjT5_S1A_jjP12ihipStream_tbEUljE_EEESV_SW_SX_S14_S18_S1A_T6_T7_T9_mT8_S1C_bDpT10_ENKUlT_T0_E_clISt17integral_constantIbLb1EES1P_EEDaS1K_S1L_EUlS1K_E_NS1_11comp_targetILNS1_3genE0ELNS1_11target_archE4294967295ELNS1_3gpuE0ELNS1_3repE0EEENS1_30default_config_static_selectorELNS0_4arch9wavefront6targetE1EEEvSY_.has_recursion, 0
	.set _ZN7rocprim17ROCPRIM_400000_NS6detail17trampoline_kernelINS0_13select_configILj256ELj13ELNS0_17block_load_methodE3ELS4_3ELS4_3ELNS0_20block_scan_algorithmE0ELj4294967295EEENS1_25partition_config_selectorILNS1_17partition_subalgoE3EjNS0_10empty_typeEbEEZZNS1_14partition_implILS8_3ELb0ES6_jNS0_17counting_iteratorIjlEEPS9_SE_NS0_5tupleIJPjSE_EEENSF_IJSE_SE_EEES9_SG_JZNS1_25segmented_radix_sort_implINS0_14default_configELb0EPKaPaPKlPlN2at6native12_GLOBAL__N_18offset_tEEE10hipError_tPvRmT1_PNSt15iterator_traitsISY_E10value_typeET2_T3_PNSZ_IS14_E10value_typeET4_jRbjT5_S1A_jjP12ihipStream_tbEUljE_EEESV_SW_SX_S14_S18_S1A_T6_T7_T9_mT8_S1C_bDpT10_ENKUlT_T0_E_clISt17integral_constantIbLb1EES1P_EEDaS1K_S1L_EUlS1K_E_NS1_11comp_targetILNS1_3genE0ELNS1_11target_archE4294967295ELNS1_3gpuE0ELNS1_3repE0EEENS1_30default_config_static_selectorELNS0_4arch9wavefront6targetE1EEEvSY_.has_indirect_call, 0
	.section	.AMDGPU.csdata,"",@progbits
; Kernel info:
; codeLenInByte = 0
; TotalNumSgprs: 4
; NumVgprs: 0
; ScratchSize: 0
; MemoryBound: 0
; FloatMode: 240
; IeeeMode: 1
; LDSByteSize: 0 bytes/workgroup (compile time only)
; SGPRBlocks: 0
; VGPRBlocks: 0
; NumSGPRsForWavesPerEU: 4
; NumVGPRsForWavesPerEU: 1
; Occupancy: 10
; WaveLimiterHint : 0
; COMPUTE_PGM_RSRC2:SCRATCH_EN: 0
; COMPUTE_PGM_RSRC2:USER_SGPR: 6
; COMPUTE_PGM_RSRC2:TRAP_HANDLER: 0
; COMPUTE_PGM_RSRC2:TGID_X_EN: 1
; COMPUTE_PGM_RSRC2:TGID_Y_EN: 0
; COMPUTE_PGM_RSRC2:TGID_Z_EN: 0
; COMPUTE_PGM_RSRC2:TIDIG_COMP_CNT: 0
	.section	.text._ZN7rocprim17ROCPRIM_400000_NS6detail17trampoline_kernelINS0_13select_configILj256ELj13ELNS0_17block_load_methodE3ELS4_3ELS4_3ELNS0_20block_scan_algorithmE0ELj4294967295EEENS1_25partition_config_selectorILNS1_17partition_subalgoE3EjNS0_10empty_typeEbEEZZNS1_14partition_implILS8_3ELb0ES6_jNS0_17counting_iteratorIjlEEPS9_SE_NS0_5tupleIJPjSE_EEENSF_IJSE_SE_EEES9_SG_JZNS1_25segmented_radix_sort_implINS0_14default_configELb0EPKaPaPKlPlN2at6native12_GLOBAL__N_18offset_tEEE10hipError_tPvRmT1_PNSt15iterator_traitsISY_E10value_typeET2_T3_PNSZ_IS14_E10value_typeET4_jRbjT5_S1A_jjP12ihipStream_tbEUljE_EEESV_SW_SX_S14_S18_S1A_T6_T7_T9_mT8_S1C_bDpT10_ENKUlT_T0_E_clISt17integral_constantIbLb1EES1P_EEDaS1K_S1L_EUlS1K_E_NS1_11comp_targetILNS1_3genE5ELNS1_11target_archE942ELNS1_3gpuE9ELNS1_3repE0EEENS1_30default_config_static_selectorELNS0_4arch9wavefront6targetE1EEEvSY_,"axG",@progbits,_ZN7rocprim17ROCPRIM_400000_NS6detail17trampoline_kernelINS0_13select_configILj256ELj13ELNS0_17block_load_methodE3ELS4_3ELS4_3ELNS0_20block_scan_algorithmE0ELj4294967295EEENS1_25partition_config_selectorILNS1_17partition_subalgoE3EjNS0_10empty_typeEbEEZZNS1_14partition_implILS8_3ELb0ES6_jNS0_17counting_iteratorIjlEEPS9_SE_NS0_5tupleIJPjSE_EEENSF_IJSE_SE_EEES9_SG_JZNS1_25segmented_radix_sort_implINS0_14default_configELb0EPKaPaPKlPlN2at6native12_GLOBAL__N_18offset_tEEE10hipError_tPvRmT1_PNSt15iterator_traitsISY_E10value_typeET2_T3_PNSZ_IS14_E10value_typeET4_jRbjT5_S1A_jjP12ihipStream_tbEUljE_EEESV_SW_SX_S14_S18_S1A_T6_T7_T9_mT8_S1C_bDpT10_ENKUlT_T0_E_clISt17integral_constantIbLb1EES1P_EEDaS1K_S1L_EUlS1K_E_NS1_11comp_targetILNS1_3genE5ELNS1_11target_archE942ELNS1_3gpuE9ELNS1_3repE0EEENS1_30default_config_static_selectorELNS0_4arch9wavefront6targetE1EEEvSY_,comdat
	.globl	_ZN7rocprim17ROCPRIM_400000_NS6detail17trampoline_kernelINS0_13select_configILj256ELj13ELNS0_17block_load_methodE3ELS4_3ELS4_3ELNS0_20block_scan_algorithmE0ELj4294967295EEENS1_25partition_config_selectorILNS1_17partition_subalgoE3EjNS0_10empty_typeEbEEZZNS1_14partition_implILS8_3ELb0ES6_jNS0_17counting_iteratorIjlEEPS9_SE_NS0_5tupleIJPjSE_EEENSF_IJSE_SE_EEES9_SG_JZNS1_25segmented_radix_sort_implINS0_14default_configELb0EPKaPaPKlPlN2at6native12_GLOBAL__N_18offset_tEEE10hipError_tPvRmT1_PNSt15iterator_traitsISY_E10value_typeET2_T3_PNSZ_IS14_E10value_typeET4_jRbjT5_S1A_jjP12ihipStream_tbEUljE_EEESV_SW_SX_S14_S18_S1A_T6_T7_T9_mT8_S1C_bDpT10_ENKUlT_T0_E_clISt17integral_constantIbLb1EES1P_EEDaS1K_S1L_EUlS1K_E_NS1_11comp_targetILNS1_3genE5ELNS1_11target_archE942ELNS1_3gpuE9ELNS1_3repE0EEENS1_30default_config_static_selectorELNS0_4arch9wavefront6targetE1EEEvSY_ ; -- Begin function _ZN7rocprim17ROCPRIM_400000_NS6detail17trampoline_kernelINS0_13select_configILj256ELj13ELNS0_17block_load_methodE3ELS4_3ELS4_3ELNS0_20block_scan_algorithmE0ELj4294967295EEENS1_25partition_config_selectorILNS1_17partition_subalgoE3EjNS0_10empty_typeEbEEZZNS1_14partition_implILS8_3ELb0ES6_jNS0_17counting_iteratorIjlEEPS9_SE_NS0_5tupleIJPjSE_EEENSF_IJSE_SE_EEES9_SG_JZNS1_25segmented_radix_sort_implINS0_14default_configELb0EPKaPaPKlPlN2at6native12_GLOBAL__N_18offset_tEEE10hipError_tPvRmT1_PNSt15iterator_traitsISY_E10value_typeET2_T3_PNSZ_IS14_E10value_typeET4_jRbjT5_S1A_jjP12ihipStream_tbEUljE_EEESV_SW_SX_S14_S18_S1A_T6_T7_T9_mT8_S1C_bDpT10_ENKUlT_T0_E_clISt17integral_constantIbLb1EES1P_EEDaS1K_S1L_EUlS1K_E_NS1_11comp_targetILNS1_3genE5ELNS1_11target_archE942ELNS1_3gpuE9ELNS1_3repE0EEENS1_30default_config_static_selectorELNS0_4arch9wavefront6targetE1EEEvSY_
	.p2align	8
	.type	_ZN7rocprim17ROCPRIM_400000_NS6detail17trampoline_kernelINS0_13select_configILj256ELj13ELNS0_17block_load_methodE3ELS4_3ELS4_3ELNS0_20block_scan_algorithmE0ELj4294967295EEENS1_25partition_config_selectorILNS1_17partition_subalgoE3EjNS0_10empty_typeEbEEZZNS1_14partition_implILS8_3ELb0ES6_jNS0_17counting_iteratorIjlEEPS9_SE_NS0_5tupleIJPjSE_EEENSF_IJSE_SE_EEES9_SG_JZNS1_25segmented_radix_sort_implINS0_14default_configELb0EPKaPaPKlPlN2at6native12_GLOBAL__N_18offset_tEEE10hipError_tPvRmT1_PNSt15iterator_traitsISY_E10value_typeET2_T3_PNSZ_IS14_E10value_typeET4_jRbjT5_S1A_jjP12ihipStream_tbEUljE_EEESV_SW_SX_S14_S18_S1A_T6_T7_T9_mT8_S1C_bDpT10_ENKUlT_T0_E_clISt17integral_constantIbLb1EES1P_EEDaS1K_S1L_EUlS1K_E_NS1_11comp_targetILNS1_3genE5ELNS1_11target_archE942ELNS1_3gpuE9ELNS1_3repE0EEENS1_30default_config_static_selectorELNS0_4arch9wavefront6targetE1EEEvSY_,@function
_ZN7rocprim17ROCPRIM_400000_NS6detail17trampoline_kernelINS0_13select_configILj256ELj13ELNS0_17block_load_methodE3ELS4_3ELS4_3ELNS0_20block_scan_algorithmE0ELj4294967295EEENS1_25partition_config_selectorILNS1_17partition_subalgoE3EjNS0_10empty_typeEbEEZZNS1_14partition_implILS8_3ELb0ES6_jNS0_17counting_iteratorIjlEEPS9_SE_NS0_5tupleIJPjSE_EEENSF_IJSE_SE_EEES9_SG_JZNS1_25segmented_radix_sort_implINS0_14default_configELb0EPKaPaPKlPlN2at6native12_GLOBAL__N_18offset_tEEE10hipError_tPvRmT1_PNSt15iterator_traitsISY_E10value_typeET2_T3_PNSZ_IS14_E10value_typeET4_jRbjT5_S1A_jjP12ihipStream_tbEUljE_EEESV_SW_SX_S14_S18_S1A_T6_T7_T9_mT8_S1C_bDpT10_ENKUlT_T0_E_clISt17integral_constantIbLb1EES1P_EEDaS1K_S1L_EUlS1K_E_NS1_11comp_targetILNS1_3genE5ELNS1_11target_archE942ELNS1_3gpuE9ELNS1_3repE0EEENS1_30default_config_static_selectorELNS0_4arch9wavefront6targetE1EEEvSY_: ; @_ZN7rocprim17ROCPRIM_400000_NS6detail17trampoline_kernelINS0_13select_configILj256ELj13ELNS0_17block_load_methodE3ELS4_3ELS4_3ELNS0_20block_scan_algorithmE0ELj4294967295EEENS1_25partition_config_selectorILNS1_17partition_subalgoE3EjNS0_10empty_typeEbEEZZNS1_14partition_implILS8_3ELb0ES6_jNS0_17counting_iteratorIjlEEPS9_SE_NS0_5tupleIJPjSE_EEENSF_IJSE_SE_EEES9_SG_JZNS1_25segmented_radix_sort_implINS0_14default_configELb0EPKaPaPKlPlN2at6native12_GLOBAL__N_18offset_tEEE10hipError_tPvRmT1_PNSt15iterator_traitsISY_E10value_typeET2_T3_PNSZ_IS14_E10value_typeET4_jRbjT5_S1A_jjP12ihipStream_tbEUljE_EEESV_SW_SX_S14_S18_S1A_T6_T7_T9_mT8_S1C_bDpT10_ENKUlT_T0_E_clISt17integral_constantIbLb1EES1P_EEDaS1K_S1L_EUlS1K_E_NS1_11comp_targetILNS1_3genE5ELNS1_11target_archE942ELNS1_3gpuE9ELNS1_3repE0EEENS1_30default_config_static_selectorELNS0_4arch9wavefront6targetE1EEEvSY_
; %bb.0:
	.section	.rodata,"a",@progbits
	.p2align	6, 0x0
	.amdhsa_kernel _ZN7rocprim17ROCPRIM_400000_NS6detail17trampoline_kernelINS0_13select_configILj256ELj13ELNS0_17block_load_methodE3ELS4_3ELS4_3ELNS0_20block_scan_algorithmE0ELj4294967295EEENS1_25partition_config_selectorILNS1_17partition_subalgoE3EjNS0_10empty_typeEbEEZZNS1_14partition_implILS8_3ELb0ES6_jNS0_17counting_iteratorIjlEEPS9_SE_NS0_5tupleIJPjSE_EEENSF_IJSE_SE_EEES9_SG_JZNS1_25segmented_radix_sort_implINS0_14default_configELb0EPKaPaPKlPlN2at6native12_GLOBAL__N_18offset_tEEE10hipError_tPvRmT1_PNSt15iterator_traitsISY_E10value_typeET2_T3_PNSZ_IS14_E10value_typeET4_jRbjT5_S1A_jjP12ihipStream_tbEUljE_EEESV_SW_SX_S14_S18_S1A_T6_T7_T9_mT8_S1C_bDpT10_ENKUlT_T0_E_clISt17integral_constantIbLb1EES1P_EEDaS1K_S1L_EUlS1K_E_NS1_11comp_targetILNS1_3genE5ELNS1_11target_archE942ELNS1_3gpuE9ELNS1_3repE0EEENS1_30default_config_static_selectorELNS0_4arch9wavefront6targetE1EEEvSY_
		.amdhsa_group_segment_fixed_size 0
		.amdhsa_private_segment_fixed_size 0
		.amdhsa_kernarg_size 152
		.amdhsa_user_sgpr_count 6
		.amdhsa_user_sgpr_private_segment_buffer 1
		.amdhsa_user_sgpr_dispatch_ptr 0
		.amdhsa_user_sgpr_queue_ptr 0
		.amdhsa_user_sgpr_kernarg_segment_ptr 1
		.amdhsa_user_sgpr_dispatch_id 0
		.amdhsa_user_sgpr_flat_scratch_init 0
		.amdhsa_user_sgpr_private_segment_size 0
		.amdhsa_uses_dynamic_stack 0
		.amdhsa_system_sgpr_private_segment_wavefront_offset 0
		.amdhsa_system_sgpr_workgroup_id_x 1
		.amdhsa_system_sgpr_workgroup_id_y 0
		.amdhsa_system_sgpr_workgroup_id_z 0
		.amdhsa_system_sgpr_workgroup_info 0
		.amdhsa_system_vgpr_workitem_id 0
		.amdhsa_next_free_vgpr 1
		.amdhsa_next_free_sgpr 0
		.amdhsa_reserve_vcc 0
		.amdhsa_reserve_flat_scratch 0
		.amdhsa_float_round_mode_32 0
		.amdhsa_float_round_mode_16_64 0
		.amdhsa_float_denorm_mode_32 3
		.amdhsa_float_denorm_mode_16_64 3
		.amdhsa_dx10_clamp 1
		.amdhsa_ieee_mode 1
		.amdhsa_fp16_overflow 0
		.amdhsa_exception_fp_ieee_invalid_op 0
		.amdhsa_exception_fp_denorm_src 0
		.amdhsa_exception_fp_ieee_div_zero 0
		.amdhsa_exception_fp_ieee_overflow 0
		.amdhsa_exception_fp_ieee_underflow 0
		.amdhsa_exception_fp_ieee_inexact 0
		.amdhsa_exception_int_div_zero 0
	.end_amdhsa_kernel
	.section	.text._ZN7rocprim17ROCPRIM_400000_NS6detail17trampoline_kernelINS0_13select_configILj256ELj13ELNS0_17block_load_methodE3ELS4_3ELS4_3ELNS0_20block_scan_algorithmE0ELj4294967295EEENS1_25partition_config_selectorILNS1_17partition_subalgoE3EjNS0_10empty_typeEbEEZZNS1_14partition_implILS8_3ELb0ES6_jNS0_17counting_iteratorIjlEEPS9_SE_NS0_5tupleIJPjSE_EEENSF_IJSE_SE_EEES9_SG_JZNS1_25segmented_radix_sort_implINS0_14default_configELb0EPKaPaPKlPlN2at6native12_GLOBAL__N_18offset_tEEE10hipError_tPvRmT1_PNSt15iterator_traitsISY_E10value_typeET2_T3_PNSZ_IS14_E10value_typeET4_jRbjT5_S1A_jjP12ihipStream_tbEUljE_EEESV_SW_SX_S14_S18_S1A_T6_T7_T9_mT8_S1C_bDpT10_ENKUlT_T0_E_clISt17integral_constantIbLb1EES1P_EEDaS1K_S1L_EUlS1K_E_NS1_11comp_targetILNS1_3genE5ELNS1_11target_archE942ELNS1_3gpuE9ELNS1_3repE0EEENS1_30default_config_static_selectorELNS0_4arch9wavefront6targetE1EEEvSY_,"axG",@progbits,_ZN7rocprim17ROCPRIM_400000_NS6detail17trampoline_kernelINS0_13select_configILj256ELj13ELNS0_17block_load_methodE3ELS4_3ELS4_3ELNS0_20block_scan_algorithmE0ELj4294967295EEENS1_25partition_config_selectorILNS1_17partition_subalgoE3EjNS0_10empty_typeEbEEZZNS1_14partition_implILS8_3ELb0ES6_jNS0_17counting_iteratorIjlEEPS9_SE_NS0_5tupleIJPjSE_EEENSF_IJSE_SE_EEES9_SG_JZNS1_25segmented_radix_sort_implINS0_14default_configELb0EPKaPaPKlPlN2at6native12_GLOBAL__N_18offset_tEEE10hipError_tPvRmT1_PNSt15iterator_traitsISY_E10value_typeET2_T3_PNSZ_IS14_E10value_typeET4_jRbjT5_S1A_jjP12ihipStream_tbEUljE_EEESV_SW_SX_S14_S18_S1A_T6_T7_T9_mT8_S1C_bDpT10_ENKUlT_T0_E_clISt17integral_constantIbLb1EES1P_EEDaS1K_S1L_EUlS1K_E_NS1_11comp_targetILNS1_3genE5ELNS1_11target_archE942ELNS1_3gpuE9ELNS1_3repE0EEENS1_30default_config_static_selectorELNS0_4arch9wavefront6targetE1EEEvSY_,comdat
.Lfunc_end370:
	.size	_ZN7rocprim17ROCPRIM_400000_NS6detail17trampoline_kernelINS0_13select_configILj256ELj13ELNS0_17block_load_methodE3ELS4_3ELS4_3ELNS0_20block_scan_algorithmE0ELj4294967295EEENS1_25partition_config_selectorILNS1_17partition_subalgoE3EjNS0_10empty_typeEbEEZZNS1_14partition_implILS8_3ELb0ES6_jNS0_17counting_iteratorIjlEEPS9_SE_NS0_5tupleIJPjSE_EEENSF_IJSE_SE_EEES9_SG_JZNS1_25segmented_radix_sort_implINS0_14default_configELb0EPKaPaPKlPlN2at6native12_GLOBAL__N_18offset_tEEE10hipError_tPvRmT1_PNSt15iterator_traitsISY_E10value_typeET2_T3_PNSZ_IS14_E10value_typeET4_jRbjT5_S1A_jjP12ihipStream_tbEUljE_EEESV_SW_SX_S14_S18_S1A_T6_T7_T9_mT8_S1C_bDpT10_ENKUlT_T0_E_clISt17integral_constantIbLb1EES1P_EEDaS1K_S1L_EUlS1K_E_NS1_11comp_targetILNS1_3genE5ELNS1_11target_archE942ELNS1_3gpuE9ELNS1_3repE0EEENS1_30default_config_static_selectorELNS0_4arch9wavefront6targetE1EEEvSY_, .Lfunc_end370-_ZN7rocprim17ROCPRIM_400000_NS6detail17trampoline_kernelINS0_13select_configILj256ELj13ELNS0_17block_load_methodE3ELS4_3ELS4_3ELNS0_20block_scan_algorithmE0ELj4294967295EEENS1_25partition_config_selectorILNS1_17partition_subalgoE3EjNS0_10empty_typeEbEEZZNS1_14partition_implILS8_3ELb0ES6_jNS0_17counting_iteratorIjlEEPS9_SE_NS0_5tupleIJPjSE_EEENSF_IJSE_SE_EEES9_SG_JZNS1_25segmented_radix_sort_implINS0_14default_configELb0EPKaPaPKlPlN2at6native12_GLOBAL__N_18offset_tEEE10hipError_tPvRmT1_PNSt15iterator_traitsISY_E10value_typeET2_T3_PNSZ_IS14_E10value_typeET4_jRbjT5_S1A_jjP12ihipStream_tbEUljE_EEESV_SW_SX_S14_S18_S1A_T6_T7_T9_mT8_S1C_bDpT10_ENKUlT_T0_E_clISt17integral_constantIbLb1EES1P_EEDaS1K_S1L_EUlS1K_E_NS1_11comp_targetILNS1_3genE5ELNS1_11target_archE942ELNS1_3gpuE9ELNS1_3repE0EEENS1_30default_config_static_selectorELNS0_4arch9wavefront6targetE1EEEvSY_
                                        ; -- End function
	.set _ZN7rocprim17ROCPRIM_400000_NS6detail17trampoline_kernelINS0_13select_configILj256ELj13ELNS0_17block_load_methodE3ELS4_3ELS4_3ELNS0_20block_scan_algorithmE0ELj4294967295EEENS1_25partition_config_selectorILNS1_17partition_subalgoE3EjNS0_10empty_typeEbEEZZNS1_14partition_implILS8_3ELb0ES6_jNS0_17counting_iteratorIjlEEPS9_SE_NS0_5tupleIJPjSE_EEENSF_IJSE_SE_EEES9_SG_JZNS1_25segmented_radix_sort_implINS0_14default_configELb0EPKaPaPKlPlN2at6native12_GLOBAL__N_18offset_tEEE10hipError_tPvRmT1_PNSt15iterator_traitsISY_E10value_typeET2_T3_PNSZ_IS14_E10value_typeET4_jRbjT5_S1A_jjP12ihipStream_tbEUljE_EEESV_SW_SX_S14_S18_S1A_T6_T7_T9_mT8_S1C_bDpT10_ENKUlT_T0_E_clISt17integral_constantIbLb1EES1P_EEDaS1K_S1L_EUlS1K_E_NS1_11comp_targetILNS1_3genE5ELNS1_11target_archE942ELNS1_3gpuE9ELNS1_3repE0EEENS1_30default_config_static_selectorELNS0_4arch9wavefront6targetE1EEEvSY_.num_vgpr, 0
	.set _ZN7rocprim17ROCPRIM_400000_NS6detail17trampoline_kernelINS0_13select_configILj256ELj13ELNS0_17block_load_methodE3ELS4_3ELS4_3ELNS0_20block_scan_algorithmE0ELj4294967295EEENS1_25partition_config_selectorILNS1_17partition_subalgoE3EjNS0_10empty_typeEbEEZZNS1_14partition_implILS8_3ELb0ES6_jNS0_17counting_iteratorIjlEEPS9_SE_NS0_5tupleIJPjSE_EEENSF_IJSE_SE_EEES9_SG_JZNS1_25segmented_radix_sort_implINS0_14default_configELb0EPKaPaPKlPlN2at6native12_GLOBAL__N_18offset_tEEE10hipError_tPvRmT1_PNSt15iterator_traitsISY_E10value_typeET2_T3_PNSZ_IS14_E10value_typeET4_jRbjT5_S1A_jjP12ihipStream_tbEUljE_EEESV_SW_SX_S14_S18_S1A_T6_T7_T9_mT8_S1C_bDpT10_ENKUlT_T0_E_clISt17integral_constantIbLb1EES1P_EEDaS1K_S1L_EUlS1K_E_NS1_11comp_targetILNS1_3genE5ELNS1_11target_archE942ELNS1_3gpuE9ELNS1_3repE0EEENS1_30default_config_static_selectorELNS0_4arch9wavefront6targetE1EEEvSY_.num_agpr, 0
	.set _ZN7rocprim17ROCPRIM_400000_NS6detail17trampoline_kernelINS0_13select_configILj256ELj13ELNS0_17block_load_methodE3ELS4_3ELS4_3ELNS0_20block_scan_algorithmE0ELj4294967295EEENS1_25partition_config_selectorILNS1_17partition_subalgoE3EjNS0_10empty_typeEbEEZZNS1_14partition_implILS8_3ELb0ES6_jNS0_17counting_iteratorIjlEEPS9_SE_NS0_5tupleIJPjSE_EEENSF_IJSE_SE_EEES9_SG_JZNS1_25segmented_radix_sort_implINS0_14default_configELb0EPKaPaPKlPlN2at6native12_GLOBAL__N_18offset_tEEE10hipError_tPvRmT1_PNSt15iterator_traitsISY_E10value_typeET2_T3_PNSZ_IS14_E10value_typeET4_jRbjT5_S1A_jjP12ihipStream_tbEUljE_EEESV_SW_SX_S14_S18_S1A_T6_T7_T9_mT8_S1C_bDpT10_ENKUlT_T0_E_clISt17integral_constantIbLb1EES1P_EEDaS1K_S1L_EUlS1K_E_NS1_11comp_targetILNS1_3genE5ELNS1_11target_archE942ELNS1_3gpuE9ELNS1_3repE0EEENS1_30default_config_static_selectorELNS0_4arch9wavefront6targetE1EEEvSY_.numbered_sgpr, 0
	.set _ZN7rocprim17ROCPRIM_400000_NS6detail17trampoline_kernelINS0_13select_configILj256ELj13ELNS0_17block_load_methodE3ELS4_3ELS4_3ELNS0_20block_scan_algorithmE0ELj4294967295EEENS1_25partition_config_selectorILNS1_17partition_subalgoE3EjNS0_10empty_typeEbEEZZNS1_14partition_implILS8_3ELb0ES6_jNS0_17counting_iteratorIjlEEPS9_SE_NS0_5tupleIJPjSE_EEENSF_IJSE_SE_EEES9_SG_JZNS1_25segmented_radix_sort_implINS0_14default_configELb0EPKaPaPKlPlN2at6native12_GLOBAL__N_18offset_tEEE10hipError_tPvRmT1_PNSt15iterator_traitsISY_E10value_typeET2_T3_PNSZ_IS14_E10value_typeET4_jRbjT5_S1A_jjP12ihipStream_tbEUljE_EEESV_SW_SX_S14_S18_S1A_T6_T7_T9_mT8_S1C_bDpT10_ENKUlT_T0_E_clISt17integral_constantIbLb1EES1P_EEDaS1K_S1L_EUlS1K_E_NS1_11comp_targetILNS1_3genE5ELNS1_11target_archE942ELNS1_3gpuE9ELNS1_3repE0EEENS1_30default_config_static_selectorELNS0_4arch9wavefront6targetE1EEEvSY_.num_named_barrier, 0
	.set _ZN7rocprim17ROCPRIM_400000_NS6detail17trampoline_kernelINS0_13select_configILj256ELj13ELNS0_17block_load_methodE3ELS4_3ELS4_3ELNS0_20block_scan_algorithmE0ELj4294967295EEENS1_25partition_config_selectorILNS1_17partition_subalgoE3EjNS0_10empty_typeEbEEZZNS1_14partition_implILS8_3ELb0ES6_jNS0_17counting_iteratorIjlEEPS9_SE_NS0_5tupleIJPjSE_EEENSF_IJSE_SE_EEES9_SG_JZNS1_25segmented_radix_sort_implINS0_14default_configELb0EPKaPaPKlPlN2at6native12_GLOBAL__N_18offset_tEEE10hipError_tPvRmT1_PNSt15iterator_traitsISY_E10value_typeET2_T3_PNSZ_IS14_E10value_typeET4_jRbjT5_S1A_jjP12ihipStream_tbEUljE_EEESV_SW_SX_S14_S18_S1A_T6_T7_T9_mT8_S1C_bDpT10_ENKUlT_T0_E_clISt17integral_constantIbLb1EES1P_EEDaS1K_S1L_EUlS1K_E_NS1_11comp_targetILNS1_3genE5ELNS1_11target_archE942ELNS1_3gpuE9ELNS1_3repE0EEENS1_30default_config_static_selectorELNS0_4arch9wavefront6targetE1EEEvSY_.private_seg_size, 0
	.set _ZN7rocprim17ROCPRIM_400000_NS6detail17trampoline_kernelINS0_13select_configILj256ELj13ELNS0_17block_load_methodE3ELS4_3ELS4_3ELNS0_20block_scan_algorithmE0ELj4294967295EEENS1_25partition_config_selectorILNS1_17partition_subalgoE3EjNS0_10empty_typeEbEEZZNS1_14partition_implILS8_3ELb0ES6_jNS0_17counting_iteratorIjlEEPS9_SE_NS0_5tupleIJPjSE_EEENSF_IJSE_SE_EEES9_SG_JZNS1_25segmented_radix_sort_implINS0_14default_configELb0EPKaPaPKlPlN2at6native12_GLOBAL__N_18offset_tEEE10hipError_tPvRmT1_PNSt15iterator_traitsISY_E10value_typeET2_T3_PNSZ_IS14_E10value_typeET4_jRbjT5_S1A_jjP12ihipStream_tbEUljE_EEESV_SW_SX_S14_S18_S1A_T6_T7_T9_mT8_S1C_bDpT10_ENKUlT_T0_E_clISt17integral_constantIbLb1EES1P_EEDaS1K_S1L_EUlS1K_E_NS1_11comp_targetILNS1_3genE5ELNS1_11target_archE942ELNS1_3gpuE9ELNS1_3repE0EEENS1_30default_config_static_selectorELNS0_4arch9wavefront6targetE1EEEvSY_.uses_vcc, 0
	.set _ZN7rocprim17ROCPRIM_400000_NS6detail17trampoline_kernelINS0_13select_configILj256ELj13ELNS0_17block_load_methodE3ELS4_3ELS4_3ELNS0_20block_scan_algorithmE0ELj4294967295EEENS1_25partition_config_selectorILNS1_17partition_subalgoE3EjNS0_10empty_typeEbEEZZNS1_14partition_implILS8_3ELb0ES6_jNS0_17counting_iteratorIjlEEPS9_SE_NS0_5tupleIJPjSE_EEENSF_IJSE_SE_EEES9_SG_JZNS1_25segmented_radix_sort_implINS0_14default_configELb0EPKaPaPKlPlN2at6native12_GLOBAL__N_18offset_tEEE10hipError_tPvRmT1_PNSt15iterator_traitsISY_E10value_typeET2_T3_PNSZ_IS14_E10value_typeET4_jRbjT5_S1A_jjP12ihipStream_tbEUljE_EEESV_SW_SX_S14_S18_S1A_T6_T7_T9_mT8_S1C_bDpT10_ENKUlT_T0_E_clISt17integral_constantIbLb1EES1P_EEDaS1K_S1L_EUlS1K_E_NS1_11comp_targetILNS1_3genE5ELNS1_11target_archE942ELNS1_3gpuE9ELNS1_3repE0EEENS1_30default_config_static_selectorELNS0_4arch9wavefront6targetE1EEEvSY_.uses_flat_scratch, 0
	.set _ZN7rocprim17ROCPRIM_400000_NS6detail17trampoline_kernelINS0_13select_configILj256ELj13ELNS0_17block_load_methodE3ELS4_3ELS4_3ELNS0_20block_scan_algorithmE0ELj4294967295EEENS1_25partition_config_selectorILNS1_17partition_subalgoE3EjNS0_10empty_typeEbEEZZNS1_14partition_implILS8_3ELb0ES6_jNS0_17counting_iteratorIjlEEPS9_SE_NS0_5tupleIJPjSE_EEENSF_IJSE_SE_EEES9_SG_JZNS1_25segmented_radix_sort_implINS0_14default_configELb0EPKaPaPKlPlN2at6native12_GLOBAL__N_18offset_tEEE10hipError_tPvRmT1_PNSt15iterator_traitsISY_E10value_typeET2_T3_PNSZ_IS14_E10value_typeET4_jRbjT5_S1A_jjP12ihipStream_tbEUljE_EEESV_SW_SX_S14_S18_S1A_T6_T7_T9_mT8_S1C_bDpT10_ENKUlT_T0_E_clISt17integral_constantIbLb1EES1P_EEDaS1K_S1L_EUlS1K_E_NS1_11comp_targetILNS1_3genE5ELNS1_11target_archE942ELNS1_3gpuE9ELNS1_3repE0EEENS1_30default_config_static_selectorELNS0_4arch9wavefront6targetE1EEEvSY_.has_dyn_sized_stack, 0
	.set _ZN7rocprim17ROCPRIM_400000_NS6detail17trampoline_kernelINS0_13select_configILj256ELj13ELNS0_17block_load_methodE3ELS4_3ELS4_3ELNS0_20block_scan_algorithmE0ELj4294967295EEENS1_25partition_config_selectorILNS1_17partition_subalgoE3EjNS0_10empty_typeEbEEZZNS1_14partition_implILS8_3ELb0ES6_jNS0_17counting_iteratorIjlEEPS9_SE_NS0_5tupleIJPjSE_EEENSF_IJSE_SE_EEES9_SG_JZNS1_25segmented_radix_sort_implINS0_14default_configELb0EPKaPaPKlPlN2at6native12_GLOBAL__N_18offset_tEEE10hipError_tPvRmT1_PNSt15iterator_traitsISY_E10value_typeET2_T3_PNSZ_IS14_E10value_typeET4_jRbjT5_S1A_jjP12ihipStream_tbEUljE_EEESV_SW_SX_S14_S18_S1A_T6_T7_T9_mT8_S1C_bDpT10_ENKUlT_T0_E_clISt17integral_constantIbLb1EES1P_EEDaS1K_S1L_EUlS1K_E_NS1_11comp_targetILNS1_3genE5ELNS1_11target_archE942ELNS1_3gpuE9ELNS1_3repE0EEENS1_30default_config_static_selectorELNS0_4arch9wavefront6targetE1EEEvSY_.has_recursion, 0
	.set _ZN7rocprim17ROCPRIM_400000_NS6detail17trampoline_kernelINS0_13select_configILj256ELj13ELNS0_17block_load_methodE3ELS4_3ELS4_3ELNS0_20block_scan_algorithmE0ELj4294967295EEENS1_25partition_config_selectorILNS1_17partition_subalgoE3EjNS0_10empty_typeEbEEZZNS1_14partition_implILS8_3ELb0ES6_jNS0_17counting_iteratorIjlEEPS9_SE_NS0_5tupleIJPjSE_EEENSF_IJSE_SE_EEES9_SG_JZNS1_25segmented_radix_sort_implINS0_14default_configELb0EPKaPaPKlPlN2at6native12_GLOBAL__N_18offset_tEEE10hipError_tPvRmT1_PNSt15iterator_traitsISY_E10value_typeET2_T3_PNSZ_IS14_E10value_typeET4_jRbjT5_S1A_jjP12ihipStream_tbEUljE_EEESV_SW_SX_S14_S18_S1A_T6_T7_T9_mT8_S1C_bDpT10_ENKUlT_T0_E_clISt17integral_constantIbLb1EES1P_EEDaS1K_S1L_EUlS1K_E_NS1_11comp_targetILNS1_3genE5ELNS1_11target_archE942ELNS1_3gpuE9ELNS1_3repE0EEENS1_30default_config_static_selectorELNS0_4arch9wavefront6targetE1EEEvSY_.has_indirect_call, 0
	.section	.AMDGPU.csdata,"",@progbits
; Kernel info:
; codeLenInByte = 0
; TotalNumSgprs: 4
; NumVgprs: 0
; ScratchSize: 0
; MemoryBound: 0
; FloatMode: 240
; IeeeMode: 1
; LDSByteSize: 0 bytes/workgroup (compile time only)
; SGPRBlocks: 0
; VGPRBlocks: 0
; NumSGPRsForWavesPerEU: 4
; NumVGPRsForWavesPerEU: 1
; Occupancy: 10
; WaveLimiterHint : 0
; COMPUTE_PGM_RSRC2:SCRATCH_EN: 0
; COMPUTE_PGM_RSRC2:USER_SGPR: 6
; COMPUTE_PGM_RSRC2:TRAP_HANDLER: 0
; COMPUTE_PGM_RSRC2:TGID_X_EN: 1
; COMPUTE_PGM_RSRC2:TGID_Y_EN: 0
; COMPUTE_PGM_RSRC2:TGID_Z_EN: 0
; COMPUTE_PGM_RSRC2:TIDIG_COMP_CNT: 0
	.section	.text._ZN7rocprim17ROCPRIM_400000_NS6detail17trampoline_kernelINS0_13select_configILj256ELj13ELNS0_17block_load_methodE3ELS4_3ELS4_3ELNS0_20block_scan_algorithmE0ELj4294967295EEENS1_25partition_config_selectorILNS1_17partition_subalgoE3EjNS0_10empty_typeEbEEZZNS1_14partition_implILS8_3ELb0ES6_jNS0_17counting_iteratorIjlEEPS9_SE_NS0_5tupleIJPjSE_EEENSF_IJSE_SE_EEES9_SG_JZNS1_25segmented_radix_sort_implINS0_14default_configELb0EPKaPaPKlPlN2at6native12_GLOBAL__N_18offset_tEEE10hipError_tPvRmT1_PNSt15iterator_traitsISY_E10value_typeET2_T3_PNSZ_IS14_E10value_typeET4_jRbjT5_S1A_jjP12ihipStream_tbEUljE_EEESV_SW_SX_S14_S18_S1A_T6_T7_T9_mT8_S1C_bDpT10_ENKUlT_T0_E_clISt17integral_constantIbLb1EES1P_EEDaS1K_S1L_EUlS1K_E_NS1_11comp_targetILNS1_3genE4ELNS1_11target_archE910ELNS1_3gpuE8ELNS1_3repE0EEENS1_30default_config_static_selectorELNS0_4arch9wavefront6targetE1EEEvSY_,"axG",@progbits,_ZN7rocprim17ROCPRIM_400000_NS6detail17trampoline_kernelINS0_13select_configILj256ELj13ELNS0_17block_load_methodE3ELS4_3ELS4_3ELNS0_20block_scan_algorithmE0ELj4294967295EEENS1_25partition_config_selectorILNS1_17partition_subalgoE3EjNS0_10empty_typeEbEEZZNS1_14partition_implILS8_3ELb0ES6_jNS0_17counting_iteratorIjlEEPS9_SE_NS0_5tupleIJPjSE_EEENSF_IJSE_SE_EEES9_SG_JZNS1_25segmented_radix_sort_implINS0_14default_configELb0EPKaPaPKlPlN2at6native12_GLOBAL__N_18offset_tEEE10hipError_tPvRmT1_PNSt15iterator_traitsISY_E10value_typeET2_T3_PNSZ_IS14_E10value_typeET4_jRbjT5_S1A_jjP12ihipStream_tbEUljE_EEESV_SW_SX_S14_S18_S1A_T6_T7_T9_mT8_S1C_bDpT10_ENKUlT_T0_E_clISt17integral_constantIbLb1EES1P_EEDaS1K_S1L_EUlS1K_E_NS1_11comp_targetILNS1_3genE4ELNS1_11target_archE910ELNS1_3gpuE8ELNS1_3repE0EEENS1_30default_config_static_selectorELNS0_4arch9wavefront6targetE1EEEvSY_,comdat
	.globl	_ZN7rocprim17ROCPRIM_400000_NS6detail17trampoline_kernelINS0_13select_configILj256ELj13ELNS0_17block_load_methodE3ELS4_3ELS4_3ELNS0_20block_scan_algorithmE0ELj4294967295EEENS1_25partition_config_selectorILNS1_17partition_subalgoE3EjNS0_10empty_typeEbEEZZNS1_14partition_implILS8_3ELb0ES6_jNS0_17counting_iteratorIjlEEPS9_SE_NS0_5tupleIJPjSE_EEENSF_IJSE_SE_EEES9_SG_JZNS1_25segmented_radix_sort_implINS0_14default_configELb0EPKaPaPKlPlN2at6native12_GLOBAL__N_18offset_tEEE10hipError_tPvRmT1_PNSt15iterator_traitsISY_E10value_typeET2_T3_PNSZ_IS14_E10value_typeET4_jRbjT5_S1A_jjP12ihipStream_tbEUljE_EEESV_SW_SX_S14_S18_S1A_T6_T7_T9_mT8_S1C_bDpT10_ENKUlT_T0_E_clISt17integral_constantIbLb1EES1P_EEDaS1K_S1L_EUlS1K_E_NS1_11comp_targetILNS1_3genE4ELNS1_11target_archE910ELNS1_3gpuE8ELNS1_3repE0EEENS1_30default_config_static_selectorELNS0_4arch9wavefront6targetE1EEEvSY_ ; -- Begin function _ZN7rocprim17ROCPRIM_400000_NS6detail17trampoline_kernelINS0_13select_configILj256ELj13ELNS0_17block_load_methodE3ELS4_3ELS4_3ELNS0_20block_scan_algorithmE0ELj4294967295EEENS1_25partition_config_selectorILNS1_17partition_subalgoE3EjNS0_10empty_typeEbEEZZNS1_14partition_implILS8_3ELb0ES6_jNS0_17counting_iteratorIjlEEPS9_SE_NS0_5tupleIJPjSE_EEENSF_IJSE_SE_EEES9_SG_JZNS1_25segmented_radix_sort_implINS0_14default_configELb0EPKaPaPKlPlN2at6native12_GLOBAL__N_18offset_tEEE10hipError_tPvRmT1_PNSt15iterator_traitsISY_E10value_typeET2_T3_PNSZ_IS14_E10value_typeET4_jRbjT5_S1A_jjP12ihipStream_tbEUljE_EEESV_SW_SX_S14_S18_S1A_T6_T7_T9_mT8_S1C_bDpT10_ENKUlT_T0_E_clISt17integral_constantIbLb1EES1P_EEDaS1K_S1L_EUlS1K_E_NS1_11comp_targetILNS1_3genE4ELNS1_11target_archE910ELNS1_3gpuE8ELNS1_3repE0EEENS1_30default_config_static_selectorELNS0_4arch9wavefront6targetE1EEEvSY_
	.p2align	8
	.type	_ZN7rocprim17ROCPRIM_400000_NS6detail17trampoline_kernelINS0_13select_configILj256ELj13ELNS0_17block_load_methodE3ELS4_3ELS4_3ELNS0_20block_scan_algorithmE0ELj4294967295EEENS1_25partition_config_selectorILNS1_17partition_subalgoE3EjNS0_10empty_typeEbEEZZNS1_14partition_implILS8_3ELb0ES6_jNS0_17counting_iteratorIjlEEPS9_SE_NS0_5tupleIJPjSE_EEENSF_IJSE_SE_EEES9_SG_JZNS1_25segmented_radix_sort_implINS0_14default_configELb0EPKaPaPKlPlN2at6native12_GLOBAL__N_18offset_tEEE10hipError_tPvRmT1_PNSt15iterator_traitsISY_E10value_typeET2_T3_PNSZ_IS14_E10value_typeET4_jRbjT5_S1A_jjP12ihipStream_tbEUljE_EEESV_SW_SX_S14_S18_S1A_T6_T7_T9_mT8_S1C_bDpT10_ENKUlT_T0_E_clISt17integral_constantIbLb1EES1P_EEDaS1K_S1L_EUlS1K_E_NS1_11comp_targetILNS1_3genE4ELNS1_11target_archE910ELNS1_3gpuE8ELNS1_3repE0EEENS1_30default_config_static_selectorELNS0_4arch9wavefront6targetE1EEEvSY_,@function
_ZN7rocprim17ROCPRIM_400000_NS6detail17trampoline_kernelINS0_13select_configILj256ELj13ELNS0_17block_load_methodE3ELS4_3ELS4_3ELNS0_20block_scan_algorithmE0ELj4294967295EEENS1_25partition_config_selectorILNS1_17partition_subalgoE3EjNS0_10empty_typeEbEEZZNS1_14partition_implILS8_3ELb0ES6_jNS0_17counting_iteratorIjlEEPS9_SE_NS0_5tupleIJPjSE_EEENSF_IJSE_SE_EEES9_SG_JZNS1_25segmented_radix_sort_implINS0_14default_configELb0EPKaPaPKlPlN2at6native12_GLOBAL__N_18offset_tEEE10hipError_tPvRmT1_PNSt15iterator_traitsISY_E10value_typeET2_T3_PNSZ_IS14_E10value_typeET4_jRbjT5_S1A_jjP12ihipStream_tbEUljE_EEESV_SW_SX_S14_S18_S1A_T6_T7_T9_mT8_S1C_bDpT10_ENKUlT_T0_E_clISt17integral_constantIbLb1EES1P_EEDaS1K_S1L_EUlS1K_E_NS1_11comp_targetILNS1_3genE4ELNS1_11target_archE910ELNS1_3gpuE8ELNS1_3repE0EEENS1_30default_config_static_selectorELNS0_4arch9wavefront6targetE1EEEvSY_: ; @_ZN7rocprim17ROCPRIM_400000_NS6detail17trampoline_kernelINS0_13select_configILj256ELj13ELNS0_17block_load_methodE3ELS4_3ELS4_3ELNS0_20block_scan_algorithmE0ELj4294967295EEENS1_25partition_config_selectorILNS1_17partition_subalgoE3EjNS0_10empty_typeEbEEZZNS1_14partition_implILS8_3ELb0ES6_jNS0_17counting_iteratorIjlEEPS9_SE_NS0_5tupleIJPjSE_EEENSF_IJSE_SE_EEES9_SG_JZNS1_25segmented_radix_sort_implINS0_14default_configELb0EPKaPaPKlPlN2at6native12_GLOBAL__N_18offset_tEEE10hipError_tPvRmT1_PNSt15iterator_traitsISY_E10value_typeET2_T3_PNSZ_IS14_E10value_typeET4_jRbjT5_S1A_jjP12ihipStream_tbEUljE_EEESV_SW_SX_S14_S18_S1A_T6_T7_T9_mT8_S1C_bDpT10_ENKUlT_T0_E_clISt17integral_constantIbLb1EES1P_EEDaS1K_S1L_EUlS1K_E_NS1_11comp_targetILNS1_3genE4ELNS1_11target_archE910ELNS1_3gpuE8ELNS1_3repE0EEENS1_30default_config_static_selectorELNS0_4arch9wavefront6targetE1EEEvSY_
; %bb.0:
	.section	.rodata,"a",@progbits
	.p2align	6, 0x0
	.amdhsa_kernel _ZN7rocprim17ROCPRIM_400000_NS6detail17trampoline_kernelINS0_13select_configILj256ELj13ELNS0_17block_load_methodE3ELS4_3ELS4_3ELNS0_20block_scan_algorithmE0ELj4294967295EEENS1_25partition_config_selectorILNS1_17partition_subalgoE3EjNS0_10empty_typeEbEEZZNS1_14partition_implILS8_3ELb0ES6_jNS0_17counting_iteratorIjlEEPS9_SE_NS0_5tupleIJPjSE_EEENSF_IJSE_SE_EEES9_SG_JZNS1_25segmented_radix_sort_implINS0_14default_configELb0EPKaPaPKlPlN2at6native12_GLOBAL__N_18offset_tEEE10hipError_tPvRmT1_PNSt15iterator_traitsISY_E10value_typeET2_T3_PNSZ_IS14_E10value_typeET4_jRbjT5_S1A_jjP12ihipStream_tbEUljE_EEESV_SW_SX_S14_S18_S1A_T6_T7_T9_mT8_S1C_bDpT10_ENKUlT_T0_E_clISt17integral_constantIbLb1EES1P_EEDaS1K_S1L_EUlS1K_E_NS1_11comp_targetILNS1_3genE4ELNS1_11target_archE910ELNS1_3gpuE8ELNS1_3repE0EEENS1_30default_config_static_selectorELNS0_4arch9wavefront6targetE1EEEvSY_
		.amdhsa_group_segment_fixed_size 0
		.amdhsa_private_segment_fixed_size 0
		.amdhsa_kernarg_size 152
		.amdhsa_user_sgpr_count 6
		.amdhsa_user_sgpr_private_segment_buffer 1
		.amdhsa_user_sgpr_dispatch_ptr 0
		.amdhsa_user_sgpr_queue_ptr 0
		.amdhsa_user_sgpr_kernarg_segment_ptr 1
		.amdhsa_user_sgpr_dispatch_id 0
		.amdhsa_user_sgpr_flat_scratch_init 0
		.amdhsa_user_sgpr_private_segment_size 0
		.amdhsa_uses_dynamic_stack 0
		.amdhsa_system_sgpr_private_segment_wavefront_offset 0
		.amdhsa_system_sgpr_workgroup_id_x 1
		.amdhsa_system_sgpr_workgroup_id_y 0
		.amdhsa_system_sgpr_workgroup_id_z 0
		.amdhsa_system_sgpr_workgroup_info 0
		.amdhsa_system_vgpr_workitem_id 0
		.amdhsa_next_free_vgpr 1
		.amdhsa_next_free_sgpr 0
		.amdhsa_reserve_vcc 0
		.amdhsa_reserve_flat_scratch 0
		.amdhsa_float_round_mode_32 0
		.amdhsa_float_round_mode_16_64 0
		.amdhsa_float_denorm_mode_32 3
		.amdhsa_float_denorm_mode_16_64 3
		.amdhsa_dx10_clamp 1
		.amdhsa_ieee_mode 1
		.amdhsa_fp16_overflow 0
		.amdhsa_exception_fp_ieee_invalid_op 0
		.amdhsa_exception_fp_denorm_src 0
		.amdhsa_exception_fp_ieee_div_zero 0
		.amdhsa_exception_fp_ieee_overflow 0
		.amdhsa_exception_fp_ieee_underflow 0
		.amdhsa_exception_fp_ieee_inexact 0
		.amdhsa_exception_int_div_zero 0
	.end_amdhsa_kernel
	.section	.text._ZN7rocprim17ROCPRIM_400000_NS6detail17trampoline_kernelINS0_13select_configILj256ELj13ELNS0_17block_load_methodE3ELS4_3ELS4_3ELNS0_20block_scan_algorithmE0ELj4294967295EEENS1_25partition_config_selectorILNS1_17partition_subalgoE3EjNS0_10empty_typeEbEEZZNS1_14partition_implILS8_3ELb0ES6_jNS0_17counting_iteratorIjlEEPS9_SE_NS0_5tupleIJPjSE_EEENSF_IJSE_SE_EEES9_SG_JZNS1_25segmented_radix_sort_implINS0_14default_configELb0EPKaPaPKlPlN2at6native12_GLOBAL__N_18offset_tEEE10hipError_tPvRmT1_PNSt15iterator_traitsISY_E10value_typeET2_T3_PNSZ_IS14_E10value_typeET4_jRbjT5_S1A_jjP12ihipStream_tbEUljE_EEESV_SW_SX_S14_S18_S1A_T6_T7_T9_mT8_S1C_bDpT10_ENKUlT_T0_E_clISt17integral_constantIbLb1EES1P_EEDaS1K_S1L_EUlS1K_E_NS1_11comp_targetILNS1_3genE4ELNS1_11target_archE910ELNS1_3gpuE8ELNS1_3repE0EEENS1_30default_config_static_selectorELNS0_4arch9wavefront6targetE1EEEvSY_,"axG",@progbits,_ZN7rocprim17ROCPRIM_400000_NS6detail17trampoline_kernelINS0_13select_configILj256ELj13ELNS0_17block_load_methodE3ELS4_3ELS4_3ELNS0_20block_scan_algorithmE0ELj4294967295EEENS1_25partition_config_selectorILNS1_17partition_subalgoE3EjNS0_10empty_typeEbEEZZNS1_14partition_implILS8_3ELb0ES6_jNS0_17counting_iteratorIjlEEPS9_SE_NS0_5tupleIJPjSE_EEENSF_IJSE_SE_EEES9_SG_JZNS1_25segmented_radix_sort_implINS0_14default_configELb0EPKaPaPKlPlN2at6native12_GLOBAL__N_18offset_tEEE10hipError_tPvRmT1_PNSt15iterator_traitsISY_E10value_typeET2_T3_PNSZ_IS14_E10value_typeET4_jRbjT5_S1A_jjP12ihipStream_tbEUljE_EEESV_SW_SX_S14_S18_S1A_T6_T7_T9_mT8_S1C_bDpT10_ENKUlT_T0_E_clISt17integral_constantIbLb1EES1P_EEDaS1K_S1L_EUlS1K_E_NS1_11comp_targetILNS1_3genE4ELNS1_11target_archE910ELNS1_3gpuE8ELNS1_3repE0EEENS1_30default_config_static_selectorELNS0_4arch9wavefront6targetE1EEEvSY_,comdat
.Lfunc_end371:
	.size	_ZN7rocprim17ROCPRIM_400000_NS6detail17trampoline_kernelINS0_13select_configILj256ELj13ELNS0_17block_load_methodE3ELS4_3ELS4_3ELNS0_20block_scan_algorithmE0ELj4294967295EEENS1_25partition_config_selectorILNS1_17partition_subalgoE3EjNS0_10empty_typeEbEEZZNS1_14partition_implILS8_3ELb0ES6_jNS0_17counting_iteratorIjlEEPS9_SE_NS0_5tupleIJPjSE_EEENSF_IJSE_SE_EEES9_SG_JZNS1_25segmented_radix_sort_implINS0_14default_configELb0EPKaPaPKlPlN2at6native12_GLOBAL__N_18offset_tEEE10hipError_tPvRmT1_PNSt15iterator_traitsISY_E10value_typeET2_T3_PNSZ_IS14_E10value_typeET4_jRbjT5_S1A_jjP12ihipStream_tbEUljE_EEESV_SW_SX_S14_S18_S1A_T6_T7_T9_mT8_S1C_bDpT10_ENKUlT_T0_E_clISt17integral_constantIbLb1EES1P_EEDaS1K_S1L_EUlS1K_E_NS1_11comp_targetILNS1_3genE4ELNS1_11target_archE910ELNS1_3gpuE8ELNS1_3repE0EEENS1_30default_config_static_selectorELNS0_4arch9wavefront6targetE1EEEvSY_, .Lfunc_end371-_ZN7rocprim17ROCPRIM_400000_NS6detail17trampoline_kernelINS0_13select_configILj256ELj13ELNS0_17block_load_methodE3ELS4_3ELS4_3ELNS0_20block_scan_algorithmE0ELj4294967295EEENS1_25partition_config_selectorILNS1_17partition_subalgoE3EjNS0_10empty_typeEbEEZZNS1_14partition_implILS8_3ELb0ES6_jNS0_17counting_iteratorIjlEEPS9_SE_NS0_5tupleIJPjSE_EEENSF_IJSE_SE_EEES9_SG_JZNS1_25segmented_radix_sort_implINS0_14default_configELb0EPKaPaPKlPlN2at6native12_GLOBAL__N_18offset_tEEE10hipError_tPvRmT1_PNSt15iterator_traitsISY_E10value_typeET2_T3_PNSZ_IS14_E10value_typeET4_jRbjT5_S1A_jjP12ihipStream_tbEUljE_EEESV_SW_SX_S14_S18_S1A_T6_T7_T9_mT8_S1C_bDpT10_ENKUlT_T0_E_clISt17integral_constantIbLb1EES1P_EEDaS1K_S1L_EUlS1K_E_NS1_11comp_targetILNS1_3genE4ELNS1_11target_archE910ELNS1_3gpuE8ELNS1_3repE0EEENS1_30default_config_static_selectorELNS0_4arch9wavefront6targetE1EEEvSY_
                                        ; -- End function
	.set _ZN7rocprim17ROCPRIM_400000_NS6detail17trampoline_kernelINS0_13select_configILj256ELj13ELNS0_17block_load_methodE3ELS4_3ELS4_3ELNS0_20block_scan_algorithmE0ELj4294967295EEENS1_25partition_config_selectorILNS1_17partition_subalgoE3EjNS0_10empty_typeEbEEZZNS1_14partition_implILS8_3ELb0ES6_jNS0_17counting_iteratorIjlEEPS9_SE_NS0_5tupleIJPjSE_EEENSF_IJSE_SE_EEES9_SG_JZNS1_25segmented_radix_sort_implINS0_14default_configELb0EPKaPaPKlPlN2at6native12_GLOBAL__N_18offset_tEEE10hipError_tPvRmT1_PNSt15iterator_traitsISY_E10value_typeET2_T3_PNSZ_IS14_E10value_typeET4_jRbjT5_S1A_jjP12ihipStream_tbEUljE_EEESV_SW_SX_S14_S18_S1A_T6_T7_T9_mT8_S1C_bDpT10_ENKUlT_T0_E_clISt17integral_constantIbLb1EES1P_EEDaS1K_S1L_EUlS1K_E_NS1_11comp_targetILNS1_3genE4ELNS1_11target_archE910ELNS1_3gpuE8ELNS1_3repE0EEENS1_30default_config_static_selectorELNS0_4arch9wavefront6targetE1EEEvSY_.num_vgpr, 0
	.set _ZN7rocprim17ROCPRIM_400000_NS6detail17trampoline_kernelINS0_13select_configILj256ELj13ELNS0_17block_load_methodE3ELS4_3ELS4_3ELNS0_20block_scan_algorithmE0ELj4294967295EEENS1_25partition_config_selectorILNS1_17partition_subalgoE3EjNS0_10empty_typeEbEEZZNS1_14partition_implILS8_3ELb0ES6_jNS0_17counting_iteratorIjlEEPS9_SE_NS0_5tupleIJPjSE_EEENSF_IJSE_SE_EEES9_SG_JZNS1_25segmented_radix_sort_implINS0_14default_configELb0EPKaPaPKlPlN2at6native12_GLOBAL__N_18offset_tEEE10hipError_tPvRmT1_PNSt15iterator_traitsISY_E10value_typeET2_T3_PNSZ_IS14_E10value_typeET4_jRbjT5_S1A_jjP12ihipStream_tbEUljE_EEESV_SW_SX_S14_S18_S1A_T6_T7_T9_mT8_S1C_bDpT10_ENKUlT_T0_E_clISt17integral_constantIbLb1EES1P_EEDaS1K_S1L_EUlS1K_E_NS1_11comp_targetILNS1_3genE4ELNS1_11target_archE910ELNS1_3gpuE8ELNS1_3repE0EEENS1_30default_config_static_selectorELNS0_4arch9wavefront6targetE1EEEvSY_.num_agpr, 0
	.set _ZN7rocprim17ROCPRIM_400000_NS6detail17trampoline_kernelINS0_13select_configILj256ELj13ELNS0_17block_load_methodE3ELS4_3ELS4_3ELNS0_20block_scan_algorithmE0ELj4294967295EEENS1_25partition_config_selectorILNS1_17partition_subalgoE3EjNS0_10empty_typeEbEEZZNS1_14partition_implILS8_3ELb0ES6_jNS0_17counting_iteratorIjlEEPS9_SE_NS0_5tupleIJPjSE_EEENSF_IJSE_SE_EEES9_SG_JZNS1_25segmented_radix_sort_implINS0_14default_configELb0EPKaPaPKlPlN2at6native12_GLOBAL__N_18offset_tEEE10hipError_tPvRmT1_PNSt15iterator_traitsISY_E10value_typeET2_T3_PNSZ_IS14_E10value_typeET4_jRbjT5_S1A_jjP12ihipStream_tbEUljE_EEESV_SW_SX_S14_S18_S1A_T6_T7_T9_mT8_S1C_bDpT10_ENKUlT_T0_E_clISt17integral_constantIbLb1EES1P_EEDaS1K_S1L_EUlS1K_E_NS1_11comp_targetILNS1_3genE4ELNS1_11target_archE910ELNS1_3gpuE8ELNS1_3repE0EEENS1_30default_config_static_selectorELNS0_4arch9wavefront6targetE1EEEvSY_.numbered_sgpr, 0
	.set _ZN7rocprim17ROCPRIM_400000_NS6detail17trampoline_kernelINS0_13select_configILj256ELj13ELNS0_17block_load_methodE3ELS4_3ELS4_3ELNS0_20block_scan_algorithmE0ELj4294967295EEENS1_25partition_config_selectorILNS1_17partition_subalgoE3EjNS0_10empty_typeEbEEZZNS1_14partition_implILS8_3ELb0ES6_jNS0_17counting_iteratorIjlEEPS9_SE_NS0_5tupleIJPjSE_EEENSF_IJSE_SE_EEES9_SG_JZNS1_25segmented_radix_sort_implINS0_14default_configELb0EPKaPaPKlPlN2at6native12_GLOBAL__N_18offset_tEEE10hipError_tPvRmT1_PNSt15iterator_traitsISY_E10value_typeET2_T3_PNSZ_IS14_E10value_typeET4_jRbjT5_S1A_jjP12ihipStream_tbEUljE_EEESV_SW_SX_S14_S18_S1A_T6_T7_T9_mT8_S1C_bDpT10_ENKUlT_T0_E_clISt17integral_constantIbLb1EES1P_EEDaS1K_S1L_EUlS1K_E_NS1_11comp_targetILNS1_3genE4ELNS1_11target_archE910ELNS1_3gpuE8ELNS1_3repE0EEENS1_30default_config_static_selectorELNS0_4arch9wavefront6targetE1EEEvSY_.num_named_barrier, 0
	.set _ZN7rocprim17ROCPRIM_400000_NS6detail17trampoline_kernelINS0_13select_configILj256ELj13ELNS0_17block_load_methodE3ELS4_3ELS4_3ELNS0_20block_scan_algorithmE0ELj4294967295EEENS1_25partition_config_selectorILNS1_17partition_subalgoE3EjNS0_10empty_typeEbEEZZNS1_14partition_implILS8_3ELb0ES6_jNS0_17counting_iteratorIjlEEPS9_SE_NS0_5tupleIJPjSE_EEENSF_IJSE_SE_EEES9_SG_JZNS1_25segmented_radix_sort_implINS0_14default_configELb0EPKaPaPKlPlN2at6native12_GLOBAL__N_18offset_tEEE10hipError_tPvRmT1_PNSt15iterator_traitsISY_E10value_typeET2_T3_PNSZ_IS14_E10value_typeET4_jRbjT5_S1A_jjP12ihipStream_tbEUljE_EEESV_SW_SX_S14_S18_S1A_T6_T7_T9_mT8_S1C_bDpT10_ENKUlT_T0_E_clISt17integral_constantIbLb1EES1P_EEDaS1K_S1L_EUlS1K_E_NS1_11comp_targetILNS1_3genE4ELNS1_11target_archE910ELNS1_3gpuE8ELNS1_3repE0EEENS1_30default_config_static_selectorELNS0_4arch9wavefront6targetE1EEEvSY_.private_seg_size, 0
	.set _ZN7rocprim17ROCPRIM_400000_NS6detail17trampoline_kernelINS0_13select_configILj256ELj13ELNS0_17block_load_methodE3ELS4_3ELS4_3ELNS0_20block_scan_algorithmE0ELj4294967295EEENS1_25partition_config_selectorILNS1_17partition_subalgoE3EjNS0_10empty_typeEbEEZZNS1_14partition_implILS8_3ELb0ES6_jNS0_17counting_iteratorIjlEEPS9_SE_NS0_5tupleIJPjSE_EEENSF_IJSE_SE_EEES9_SG_JZNS1_25segmented_radix_sort_implINS0_14default_configELb0EPKaPaPKlPlN2at6native12_GLOBAL__N_18offset_tEEE10hipError_tPvRmT1_PNSt15iterator_traitsISY_E10value_typeET2_T3_PNSZ_IS14_E10value_typeET4_jRbjT5_S1A_jjP12ihipStream_tbEUljE_EEESV_SW_SX_S14_S18_S1A_T6_T7_T9_mT8_S1C_bDpT10_ENKUlT_T0_E_clISt17integral_constantIbLb1EES1P_EEDaS1K_S1L_EUlS1K_E_NS1_11comp_targetILNS1_3genE4ELNS1_11target_archE910ELNS1_3gpuE8ELNS1_3repE0EEENS1_30default_config_static_selectorELNS0_4arch9wavefront6targetE1EEEvSY_.uses_vcc, 0
	.set _ZN7rocprim17ROCPRIM_400000_NS6detail17trampoline_kernelINS0_13select_configILj256ELj13ELNS0_17block_load_methodE3ELS4_3ELS4_3ELNS0_20block_scan_algorithmE0ELj4294967295EEENS1_25partition_config_selectorILNS1_17partition_subalgoE3EjNS0_10empty_typeEbEEZZNS1_14partition_implILS8_3ELb0ES6_jNS0_17counting_iteratorIjlEEPS9_SE_NS0_5tupleIJPjSE_EEENSF_IJSE_SE_EEES9_SG_JZNS1_25segmented_radix_sort_implINS0_14default_configELb0EPKaPaPKlPlN2at6native12_GLOBAL__N_18offset_tEEE10hipError_tPvRmT1_PNSt15iterator_traitsISY_E10value_typeET2_T3_PNSZ_IS14_E10value_typeET4_jRbjT5_S1A_jjP12ihipStream_tbEUljE_EEESV_SW_SX_S14_S18_S1A_T6_T7_T9_mT8_S1C_bDpT10_ENKUlT_T0_E_clISt17integral_constantIbLb1EES1P_EEDaS1K_S1L_EUlS1K_E_NS1_11comp_targetILNS1_3genE4ELNS1_11target_archE910ELNS1_3gpuE8ELNS1_3repE0EEENS1_30default_config_static_selectorELNS0_4arch9wavefront6targetE1EEEvSY_.uses_flat_scratch, 0
	.set _ZN7rocprim17ROCPRIM_400000_NS6detail17trampoline_kernelINS0_13select_configILj256ELj13ELNS0_17block_load_methodE3ELS4_3ELS4_3ELNS0_20block_scan_algorithmE0ELj4294967295EEENS1_25partition_config_selectorILNS1_17partition_subalgoE3EjNS0_10empty_typeEbEEZZNS1_14partition_implILS8_3ELb0ES6_jNS0_17counting_iteratorIjlEEPS9_SE_NS0_5tupleIJPjSE_EEENSF_IJSE_SE_EEES9_SG_JZNS1_25segmented_radix_sort_implINS0_14default_configELb0EPKaPaPKlPlN2at6native12_GLOBAL__N_18offset_tEEE10hipError_tPvRmT1_PNSt15iterator_traitsISY_E10value_typeET2_T3_PNSZ_IS14_E10value_typeET4_jRbjT5_S1A_jjP12ihipStream_tbEUljE_EEESV_SW_SX_S14_S18_S1A_T6_T7_T9_mT8_S1C_bDpT10_ENKUlT_T0_E_clISt17integral_constantIbLb1EES1P_EEDaS1K_S1L_EUlS1K_E_NS1_11comp_targetILNS1_3genE4ELNS1_11target_archE910ELNS1_3gpuE8ELNS1_3repE0EEENS1_30default_config_static_selectorELNS0_4arch9wavefront6targetE1EEEvSY_.has_dyn_sized_stack, 0
	.set _ZN7rocprim17ROCPRIM_400000_NS6detail17trampoline_kernelINS0_13select_configILj256ELj13ELNS0_17block_load_methodE3ELS4_3ELS4_3ELNS0_20block_scan_algorithmE0ELj4294967295EEENS1_25partition_config_selectorILNS1_17partition_subalgoE3EjNS0_10empty_typeEbEEZZNS1_14partition_implILS8_3ELb0ES6_jNS0_17counting_iteratorIjlEEPS9_SE_NS0_5tupleIJPjSE_EEENSF_IJSE_SE_EEES9_SG_JZNS1_25segmented_radix_sort_implINS0_14default_configELb0EPKaPaPKlPlN2at6native12_GLOBAL__N_18offset_tEEE10hipError_tPvRmT1_PNSt15iterator_traitsISY_E10value_typeET2_T3_PNSZ_IS14_E10value_typeET4_jRbjT5_S1A_jjP12ihipStream_tbEUljE_EEESV_SW_SX_S14_S18_S1A_T6_T7_T9_mT8_S1C_bDpT10_ENKUlT_T0_E_clISt17integral_constantIbLb1EES1P_EEDaS1K_S1L_EUlS1K_E_NS1_11comp_targetILNS1_3genE4ELNS1_11target_archE910ELNS1_3gpuE8ELNS1_3repE0EEENS1_30default_config_static_selectorELNS0_4arch9wavefront6targetE1EEEvSY_.has_recursion, 0
	.set _ZN7rocprim17ROCPRIM_400000_NS6detail17trampoline_kernelINS0_13select_configILj256ELj13ELNS0_17block_load_methodE3ELS4_3ELS4_3ELNS0_20block_scan_algorithmE0ELj4294967295EEENS1_25partition_config_selectorILNS1_17partition_subalgoE3EjNS0_10empty_typeEbEEZZNS1_14partition_implILS8_3ELb0ES6_jNS0_17counting_iteratorIjlEEPS9_SE_NS0_5tupleIJPjSE_EEENSF_IJSE_SE_EEES9_SG_JZNS1_25segmented_radix_sort_implINS0_14default_configELb0EPKaPaPKlPlN2at6native12_GLOBAL__N_18offset_tEEE10hipError_tPvRmT1_PNSt15iterator_traitsISY_E10value_typeET2_T3_PNSZ_IS14_E10value_typeET4_jRbjT5_S1A_jjP12ihipStream_tbEUljE_EEESV_SW_SX_S14_S18_S1A_T6_T7_T9_mT8_S1C_bDpT10_ENKUlT_T0_E_clISt17integral_constantIbLb1EES1P_EEDaS1K_S1L_EUlS1K_E_NS1_11comp_targetILNS1_3genE4ELNS1_11target_archE910ELNS1_3gpuE8ELNS1_3repE0EEENS1_30default_config_static_selectorELNS0_4arch9wavefront6targetE1EEEvSY_.has_indirect_call, 0
	.section	.AMDGPU.csdata,"",@progbits
; Kernel info:
; codeLenInByte = 0
; TotalNumSgprs: 4
; NumVgprs: 0
; ScratchSize: 0
; MemoryBound: 0
; FloatMode: 240
; IeeeMode: 1
; LDSByteSize: 0 bytes/workgroup (compile time only)
; SGPRBlocks: 0
; VGPRBlocks: 0
; NumSGPRsForWavesPerEU: 4
; NumVGPRsForWavesPerEU: 1
; Occupancy: 10
; WaveLimiterHint : 0
; COMPUTE_PGM_RSRC2:SCRATCH_EN: 0
; COMPUTE_PGM_RSRC2:USER_SGPR: 6
; COMPUTE_PGM_RSRC2:TRAP_HANDLER: 0
; COMPUTE_PGM_RSRC2:TGID_X_EN: 1
; COMPUTE_PGM_RSRC2:TGID_Y_EN: 0
; COMPUTE_PGM_RSRC2:TGID_Z_EN: 0
; COMPUTE_PGM_RSRC2:TIDIG_COMP_CNT: 0
	.section	.text._ZN7rocprim17ROCPRIM_400000_NS6detail17trampoline_kernelINS0_13select_configILj256ELj13ELNS0_17block_load_methodE3ELS4_3ELS4_3ELNS0_20block_scan_algorithmE0ELj4294967295EEENS1_25partition_config_selectorILNS1_17partition_subalgoE3EjNS0_10empty_typeEbEEZZNS1_14partition_implILS8_3ELb0ES6_jNS0_17counting_iteratorIjlEEPS9_SE_NS0_5tupleIJPjSE_EEENSF_IJSE_SE_EEES9_SG_JZNS1_25segmented_radix_sort_implINS0_14default_configELb0EPKaPaPKlPlN2at6native12_GLOBAL__N_18offset_tEEE10hipError_tPvRmT1_PNSt15iterator_traitsISY_E10value_typeET2_T3_PNSZ_IS14_E10value_typeET4_jRbjT5_S1A_jjP12ihipStream_tbEUljE_EEESV_SW_SX_S14_S18_S1A_T6_T7_T9_mT8_S1C_bDpT10_ENKUlT_T0_E_clISt17integral_constantIbLb1EES1P_EEDaS1K_S1L_EUlS1K_E_NS1_11comp_targetILNS1_3genE3ELNS1_11target_archE908ELNS1_3gpuE7ELNS1_3repE0EEENS1_30default_config_static_selectorELNS0_4arch9wavefront6targetE1EEEvSY_,"axG",@progbits,_ZN7rocprim17ROCPRIM_400000_NS6detail17trampoline_kernelINS0_13select_configILj256ELj13ELNS0_17block_load_methodE3ELS4_3ELS4_3ELNS0_20block_scan_algorithmE0ELj4294967295EEENS1_25partition_config_selectorILNS1_17partition_subalgoE3EjNS0_10empty_typeEbEEZZNS1_14partition_implILS8_3ELb0ES6_jNS0_17counting_iteratorIjlEEPS9_SE_NS0_5tupleIJPjSE_EEENSF_IJSE_SE_EEES9_SG_JZNS1_25segmented_radix_sort_implINS0_14default_configELb0EPKaPaPKlPlN2at6native12_GLOBAL__N_18offset_tEEE10hipError_tPvRmT1_PNSt15iterator_traitsISY_E10value_typeET2_T3_PNSZ_IS14_E10value_typeET4_jRbjT5_S1A_jjP12ihipStream_tbEUljE_EEESV_SW_SX_S14_S18_S1A_T6_T7_T9_mT8_S1C_bDpT10_ENKUlT_T0_E_clISt17integral_constantIbLb1EES1P_EEDaS1K_S1L_EUlS1K_E_NS1_11comp_targetILNS1_3genE3ELNS1_11target_archE908ELNS1_3gpuE7ELNS1_3repE0EEENS1_30default_config_static_selectorELNS0_4arch9wavefront6targetE1EEEvSY_,comdat
	.globl	_ZN7rocprim17ROCPRIM_400000_NS6detail17trampoline_kernelINS0_13select_configILj256ELj13ELNS0_17block_load_methodE3ELS4_3ELS4_3ELNS0_20block_scan_algorithmE0ELj4294967295EEENS1_25partition_config_selectorILNS1_17partition_subalgoE3EjNS0_10empty_typeEbEEZZNS1_14partition_implILS8_3ELb0ES6_jNS0_17counting_iteratorIjlEEPS9_SE_NS0_5tupleIJPjSE_EEENSF_IJSE_SE_EEES9_SG_JZNS1_25segmented_radix_sort_implINS0_14default_configELb0EPKaPaPKlPlN2at6native12_GLOBAL__N_18offset_tEEE10hipError_tPvRmT1_PNSt15iterator_traitsISY_E10value_typeET2_T3_PNSZ_IS14_E10value_typeET4_jRbjT5_S1A_jjP12ihipStream_tbEUljE_EEESV_SW_SX_S14_S18_S1A_T6_T7_T9_mT8_S1C_bDpT10_ENKUlT_T0_E_clISt17integral_constantIbLb1EES1P_EEDaS1K_S1L_EUlS1K_E_NS1_11comp_targetILNS1_3genE3ELNS1_11target_archE908ELNS1_3gpuE7ELNS1_3repE0EEENS1_30default_config_static_selectorELNS0_4arch9wavefront6targetE1EEEvSY_ ; -- Begin function _ZN7rocprim17ROCPRIM_400000_NS6detail17trampoline_kernelINS0_13select_configILj256ELj13ELNS0_17block_load_methodE3ELS4_3ELS4_3ELNS0_20block_scan_algorithmE0ELj4294967295EEENS1_25partition_config_selectorILNS1_17partition_subalgoE3EjNS0_10empty_typeEbEEZZNS1_14partition_implILS8_3ELb0ES6_jNS0_17counting_iteratorIjlEEPS9_SE_NS0_5tupleIJPjSE_EEENSF_IJSE_SE_EEES9_SG_JZNS1_25segmented_radix_sort_implINS0_14default_configELb0EPKaPaPKlPlN2at6native12_GLOBAL__N_18offset_tEEE10hipError_tPvRmT1_PNSt15iterator_traitsISY_E10value_typeET2_T3_PNSZ_IS14_E10value_typeET4_jRbjT5_S1A_jjP12ihipStream_tbEUljE_EEESV_SW_SX_S14_S18_S1A_T6_T7_T9_mT8_S1C_bDpT10_ENKUlT_T0_E_clISt17integral_constantIbLb1EES1P_EEDaS1K_S1L_EUlS1K_E_NS1_11comp_targetILNS1_3genE3ELNS1_11target_archE908ELNS1_3gpuE7ELNS1_3repE0EEENS1_30default_config_static_selectorELNS0_4arch9wavefront6targetE1EEEvSY_
	.p2align	8
	.type	_ZN7rocprim17ROCPRIM_400000_NS6detail17trampoline_kernelINS0_13select_configILj256ELj13ELNS0_17block_load_methodE3ELS4_3ELS4_3ELNS0_20block_scan_algorithmE0ELj4294967295EEENS1_25partition_config_selectorILNS1_17partition_subalgoE3EjNS0_10empty_typeEbEEZZNS1_14partition_implILS8_3ELb0ES6_jNS0_17counting_iteratorIjlEEPS9_SE_NS0_5tupleIJPjSE_EEENSF_IJSE_SE_EEES9_SG_JZNS1_25segmented_radix_sort_implINS0_14default_configELb0EPKaPaPKlPlN2at6native12_GLOBAL__N_18offset_tEEE10hipError_tPvRmT1_PNSt15iterator_traitsISY_E10value_typeET2_T3_PNSZ_IS14_E10value_typeET4_jRbjT5_S1A_jjP12ihipStream_tbEUljE_EEESV_SW_SX_S14_S18_S1A_T6_T7_T9_mT8_S1C_bDpT10_ENKUlT_T0_E_clISt17integral_constantIbLb1EES1P_EEDaS1K_S1L_EUlS1K_E_NS1_11comp_targetILNS1_3genE3ELNS1_11target_archE908ELNS1_3gpuE7ELNS1_3repE0EEENS1_30default_config_static_selectorELNS0_4arch9wavefront6targetE1EEEvSY_,@function
_ZN7rocprim17ROCPRIM_400000_NS6detail17trampoline_kernelINS0_13select_configILj256ELj13ELNS0_17block_load_methodE3ELS4_3ELS4_3ELNS0_20block_scan_algorithmE0ELj4294967295EEENS1_25partition_config_selectorILNS1_17partition_subalgoE3EjNS0_10empty_typeEbEEZZNS1_14partition_implILS8_3ELb0ES6_jNS0_17counting_iteratorIjlEEPS9_SE_NS0_5tupleIJPjSE_EEENSF_IJSE_SE_EEES9_SG_JZNS1_25segmented_radix_sort_implINS0_14default_configELb0EPKaPaPKlPlN2at6native12_GLOBAL__N_18offset_tEEE10hipError_tPvRmT1_PNSt15iterator_traitsISY_E10value_typeET2_T3_PNSZ_IS14_E10value_typeET4_jRbjT5_S1A_jjP12ihipStream_tbEUljE_EEESV_SW_SX_S14_S18_S1A_T6_T7_T9_mT8_S1C_bDpT10_ENKUlT_T0_E_clISt17integral_constantIbLb1EES1P_EEDaS1K_S1L_EUlS1K_E_NS1_11comp_targetILNS1_3genE3ELNS1_11target_archE908ELNS1_3gpuE7ELNS1_3repE0EEENS1_30default_config_static_selectorELNS0_4arch9wavefront6targetE1EEEvSY_: ; @_ZN7rocprim17ROCPRIM_400000_NS6detail17trampoline_kernelINS0_13select_configILj256ELj13ELNS0_17block_load_methodE3ELS4_3ELS4_3ELNS0_20block_scan_algorithmE0ELj4294967295EEENS1_25partition_config_selectorILNS1_17partition_subalgoE3EjNS0_10empty_typeEbEEZZNS1_14partition_implILS8_3ELb0ES6_jNS0_17counting_iteratorIjlEEPS9_SE_NS0_5tupleIJPjSE_EEENSF_IJSE_SE_EEES9_SG_JZNS1_25segmented_radix_sort_implINS0_14default_configELb0EPKaPaPKlPlN2at6native12_GLOBAL__N_18offset_tEEE10hipError_tPvRmT1_PNSt15iterator_traitsISY_E10value_typeET2_T3_PNSZ_IS14_E10value_typeET4_jRbjT5_S1A_jjP12ihipStream_tbEUljE_EEESV_SW_SX_S14_S18_S1A_T6_T7_T9_mT8_S1C_bDpT10_ENKUlT_T0_E_clISt17integral_constantIbLb1EES1P_EEDaS1K_S1L_EUlS1K_E_NS1_11comp_targetILNS1_3genE3ELNS1_11target_archE908ELNS1_3gpuE7ELNS1_3repE0EEENS1_30default_config_static_selectorELNS0_4arch9wavefront6targetE1EEEvSY_
; %bb.0:
	.section	.rodata,"a",@progbits
	.p2align	6, 0x0
	.amdhsa_kernel _ZN7rocprim17ROCPRIM_400000_NS6detail17trampoline_kernelINS0_13select_configILj256ELj13ELNS0_17block_load_methodE3ELS4_3ELS4_3ELNS0_20block_scan_algorithmE0ELj4294967295EEENS1_25partition_config_selectorILNS1_17partition_subalgoE3EjNS0_10empty_typeEbEEZZNS1_14partition_implILS8_3ELb0ES6_jNS0_17counting_iteratorIjlEEPS9_SE_NS0_5tupleIJPjSE_EEENSF_IJSE_SE_EEES9_SG_JZNS1_25segmented_radix_sort_implINS0_14default_configELb0EPKaPaPKlPlN2at6native12_GLOBAL__N_18offset_tEEE10hipError_tPvRmT1_PNSt15iterator_traitsISY_E10value_typeET2_T3_PNSZ_IS14_E10value_typeET4_jRbjT5_S1A_jjP12ihipStream_tbEUljE_EEESV_SW_SX_S14_S18_S1A_T6_T7_T9_mT8_S1C_bDpT10_ENKUlT_T0_E_clISt17integral_constantIbLb1EES1P_EEDaS1K_S1L_EUlS1K_E_NS1_11comp_targetILNS1_3genE3ELNS1_11target_archE908ELNS1_3gpuE7ELNS1_3repE0EEENS1_30default_config_static_selectorELNS0_4arch9wavefront6targetE1EEEvSY_
		.amdhsa_group_segment_fixed_size 0
		.amdhsa_private_segment_fixed_size 0
		.amdhsa_kernarg_size 152
		.amdhsa_user_sgpr_count 6
		.amdhsa_user_sgpr_private_segment_buffer 1
		.amdhsa_user_sgpr_dispatch_ptr 0
		.amdhsa_user_sgpr_queue_ptr 0
		.amdhsa_user_sgpr_kernarg_segment_ptr 1
		.amdhsa_user_sgpr_dispatch_id 0
		.amdhsa_user_sgpr_flat_scratch_init 0
		.amdhsa_user_sgpr_private_segment_size 0
		.amdhsa_uses_dynamic_stack 0
		.amdhsa_system_sgpr_private_segment_wavefront_offset 0
		.amdhsa_system_sgpr_workgroup_id_x 1
		.amdhsa_system_sgpr_workgroup_id_y 0
		.amdhsa_system_sgpr_workgroup_id_z 0
		.amdhsa_system_sgpr_workgroup_info 0
		.amdhsa_system_vgpr_workitem_id 0
		.amdhsa_next_free_vgpr 1
		.amdhsa_next_free_sgpr 0
		.amdhsa_reserve_vcc 0
		.amdhsa_reserve_flat_scratch 0
		.amdhsa_float_round_mode_32 0
		.amdhsa_float_round_mode_16_64 0
		.amdhsa_float_denorm_mode_32 3
		.amdhsa_float_denorm_mode_16_64 3
		.amdhsa_dx10_clamp 1
		.amdhsa_ieee_mode 1
		.amdhsa_fp16_overflow 0
		.amdhsa_exception_fp_ieee_invalid_op 0
		.amdhsa_exception_fp_denorm_src 0
		.amdhsa_exception_fp_ieee_div_zero 0
		.amdhsa_exception_fp_ieee_overflow 0
		.amdhsa_exception_fp_ieee_underflow 0
		.amdhsa_exception_fp_ieee_inexact 0
		.amdhsa_exception_int_div_zero 0
	.end_amdhsa_kernel
	.section	.text._ZN7rocprim17ROCPRIM_400000_NS6detail17trampoline_kernelINS0_13select_configILj256ELj13ELNS0_17block_load_methodE3ELS4_3ELS4_3ELNS0_20block_scan_algorithmE0ELj4294967295EEENS1_25partition_config_selectorILNS1_17partition_subalgoE3EjNS0_10empty_typeEbEEZZNS1_14partition_implILS8_3ELb0ES6_jNS0_17counting_iteratorIjlEEPS9_SE_NS0_5tupleIJPjSE_EEENSF_IJSE_SE_EEES9_SG_JZNS1_25segmented_radix_sort_implINS0_14default_configELb0EPKaPaPKlPlN2at6native12_GLOBAL__N_18offset_tEEE10hipError_tPvRmT1_PNSt15iterator_traitsISY_E10value_typeET2_T3_PNSZ_IS14_E10value_typeET4_jRbjT5_S1A_jjP12ihipStream_tbEUljE_EEESV_SW_SX_S14_S18_S1A_T6_T7_T9_mT8_S1C_bDpT10_ENKUlT_T0_E_clISt17integral_constantIbLb1EES1P_EEDaS1K_S1L_EUlS1K_E_NS1_11comp_targetILNS1_3genE3ELNS1_11target_archE908ELNS1_3gpuE7ELNS1_3repE0EEENS1_30default_config_static_selectorELNS0_4arch9wavefront6targetE1EEEvSY_,"axG",@progbits,_ZN7rocprim17ROCPRIM_400000_NS6detail17trampoline_kernelINS0_13select_configILj256ELj13ELNS0_17block_load_methodE3ELS4_3ELS4_3ELNS0_20block_scan_algorithmE0ELj4294967295EEENS1_25partition_config_selectorILNS1_17partition_subalgoE3EjNS0_10empty_typeEbEEZZNS1_14partition_implILS8_3ELb0ES6_jNS0_17counting_iteratorIjlEEPS9_SE_NS0_5tupleIJPjSE_EEENSF_IJSE_SE_EEES9_SG_JZNS1_25segmented_radix_sort_implINS0_14default_configELb0EPKaPaPKlPlN2at6native12_GLOBAL__N_18offset_tEEE10hipError_tPvRmT1_PNSt15iterator_traitsISY_E10value_typeET2_T3_PNSZ_IS14_E10value_typeET4_jRbjT5_S1A_jjP12ihipStream_tbEUljE_EEESV_SW_SX_S14_S18_S1A_T6_T7_T9_mT8_S1C_bDpT10_ENKUlT_T0_E_clISt17integral_constantIbLb1EES1P_EEDaS1K_S1L_EUlS1K_E_NS1_11comp_targetILNS1_3genE3ELNS1_11target_archE908ELNS1_3gpuE7ELNS1_3repE0EEENS1_30default_config_static_selectorELNS0_4arch9wavefront6targetE1EEEvSY_,comdat
.Lfunc_end372:
	.size	_ZN7rocprim17ROCPRIM_400000_NS6detail17trampoline_kernelINS0_13select_configILj256ELj13ELNS0_17block_load_methodE3ELS4_3ELS4_3ELNS0_20block_scan_algorithmE0ELj4294967295EEENS1_25partition_config_selectorILNS1_17partition_subalgoE3EjNS0_10empty_typeEbEEZZNS1_14partition_implILS8_3ELb0ES6_jNS0_17counting_iteratorIjlEEPS9_SE_NS0_5tupleIJPjSE_EEENSF_IJSE_SE_EEES9_SG_JZNS1_25segmented_radix_sort_implINS0_14default_configELb0EPKaPaPKlPlN2at6native12_GLOBAL__N_18offset_tEEE10hipError_tPvRmT1_PNSt15iterator_traitsISY_E10value_typeET2_T3_PNSZ_IS14_E10value_typeET4_jRbjT5_S1A_jjP12ihipStream_tbEUljE_EEESV_SW_SX_S14_S18_S1A_T6_T7_T9_mT8_S1C_bDpT10_ENKUlT_T0_E_clISt17integral_constantIbLb1EES1P_EEDaS1K_S1L_EUlS1K_E_NS1_11comp_targetILNS1_3genE3ELNS1_11target_archE908ELNS1_3gpuE7ELNS1_3repE0EEENS1_30default_config_static_selectorELNS0_4arch9wavefront6targetE1EEEvSY_, .Lfunc_end372-_ZN7rocprim17ROCPRIM_400000_NS6detail17trampoline_kernelINS0_13select_configILj256ELj13ELNS0_17block_load_methodE3ELS4_3ELS4_3ELNS0_20block_scan_algorithmE0ELj4294967295EEENS1_25partition_config_selectorILNS1_17partition_subalgoE3EjNS0_10empty_typeEbEEZZNS1_14partition_implILS8_3ELb0ES6_jNS0_17counting_iteratorIjlEEPS9_SE_NS0_5tupleIJPjSE_EEENSF_IJSE_SE_EEES9_SG_JZNS1_25segmented_radix_sort_implINS0_14default_configELb0EPKaPaPKlPlN2at6native12_GLOBAL__N_18offset_tEEE10hipError_tPvRmT1_PNSt15iterator_traitsISY_E10value_typeET2_T3_PNSZ_IS14_E10value_typeET4_jRbjT5_S1A_jjP12ihipStream_tbEUljE_EEESV_SW_SX_S14_S18_S1A_T6_T7_T9_mT8_S1C_bDpT10_ENKUlT_T0_E_clISt17integral_constantIbLb1EES1P_EEDaS1K_S1L_EUlS1K_E_NS1_11comp_targetILNS1_3genE3ELNS1_11target_archE908ELNS1_3gpuE7ELNS1_3repE0EEENS1_30default_config_static_selectorELNS0_4arch9wavefront6targetE1EEEvSY_
                                        ; -- End function
	.set _ZN7rocprim17ROCPRIM_400000_NS6detail17trampoline_kernelINS0_13select_configILj256ELj13ELNS0_17block_load_methodE3ELS4_3ELS4_3ELNS0_20block_scan_algorithmE0ELj4294967295EEENS1_25partition_config_selectorILNS1_17partition_subalgoE3EjNS0_10empty_typeEbEEZZNS1_14partition_implILS8_3ELb0ES6_jNS0_17counting_iteratorIjlEEPS9_SE_NS0_5tupleIJPjSE_EEENSF_IJSE_SE_EEES9_SG_JZNS1_25segmented_radix_sort_implINS0_14default_configELb0EPKaPaPKlPlN2at6native12_GLOBAL__N_18offset_tEEE10hipError_tPvRmT1_PNSt15iterator_traitsISY_E10value_typeET2_T3_PNSZ_IS14_E10value_typeET4_jRbjT5_S1A_jjP12ihipStream_tbEUljE_EEESV_SW_SX_S14_S18_S1A_T6_T7_T9_mT8_S1C_bDpT10_ENKUlT_T0_E_clISt17integral_constantIbLb1EES1P_EEDaS1K_S1L_EUlS1K_E_NS1_11comp_targetILNS1_3genE3ELNS1_11target_archE908ELNS1_3gpuE7ELNS1_3repE0EEENS1_30default_config_static_selectorELNS0_4arch9wavefront6targetE1EEEvSY_.num_vgpr, 0
	.set _ZN7rocprim17ROCPRIM_400000_NS6detail17trampoline_kernelINS0_13select_configILj256ELj13ELNS0_17block_load_methodE3ELS4_3ELS4_3ELNS0_20block_scan_algorithmE0ELj4294967295EEENS1_25partition_config_selectorILNS1_17partition_subalgoE3EjNS0_10empty_typeEbEEZZNS1_14partition_implILS8_3ELb0ES6_jNS0_17counting_iteratorIjlEEPS9_SE_NS0_5tupleIJPjSE_EEENSF_IJSE_SE_EEES9_SG_JZNS1_25segmented_radix_sort_implINS0_14default_configELb0EPKaPaPKlPlN2at6native12_GLOBAL__N_18offset_tEEE10hipError_tPvRmT1_PNSt15iterator_traitsISY_E10value_typeET2_T3_PNSZ_IS14_E10value_typeET4_jRbjT5_S1A_jjP12ihipStream_tbEUljE_EEESV_SW_SX_S14_S18_S1A_T6_T7_T9_mT8_S1C_bDpT10_ENKUlT_T0_E_clISt17integral_constantIbLb1EES1P_EEDaS1K_S1L_EUlS1K_E_NS1_11comp_targetILNS1_3genE3ELNS1_11target_archE908ELNS1_3gpuE7ELNS1_3repE0EEENS1_30default_config_static_selectorELNS0_4arch9wavefront6targetE1EEEvSY_.num_agpr, 0
	.set _ZN7rocprim17ROCPRIM_400000_NS6detail17trampoline_kernelINS0_13select_configILj256ELj13ELNS0_17block_load_methodE3ELS4_3ELS4_3ELNS0_20block_scan_algorithmE0ELj4294967295EEENS1_25partition_config_selectorILNS1_17partition_subalgoE3EjNS0_10empty_typeEbEEZZNS1_14partition_implILS8_3ELb0ES6_jNS0_17counting_iteratorIjlEEPS9_SE_NS0_5tupleIJPjSE_EEENSF_IJSE_SE_EEES9_SG_JZNS1_25segmented_radix_sort_implINS0_14default_configELb0EPKaPaPKlPlN2at6native12_GLOBAL__N_18offset_tEEE10hipError_tPvRmT1_PNSt15iterator_traitsISY_E10value_typeET2_T3_PNSZ_IS14_E10value_typeET4_jRbjT5_S1A_jjP12ihipStream_tbEUljE_EEESV_SW_SX_S14_S18_S1A_T6_T7_T9_mT8_S1C_bDpT10_ENKUlT_T0_E_clISt17integral_constantIbLb1EES1P_EEDaS1K_S1L_EUlS1K_E_NS1_11comp_targetILNS1_3genE3ELNS1_11target_archE908ELNS1_3gpuE7ELNS1_3repE0EEENS1_30default_config_static_selectorELNS0_4arch9wavefront6targetE1EEEvSY_.numbered_sgpr, 0
	.set _ZN7rocprim17ROCPRIM_400000_NS6detail17trampoline_kernelINS0_13select_configILj256ELj13ELNS0_17block_load_methodE3ELS4_3ELS4_3ELNS0_20block_scan_algorithmE0ELj4294967295EEENS1_25partition_config_selectorILNS1_17partition_subalgoE3EjNS0_10empty_typeEbEEZZNS1_14partition_implILS8_3ELb0ES6_jNS0_17counting_iteratorIjlEEPS9_SE_NS0_5tupleIJPjSE_EEENSF_IJSE_SE_EEES9_SG_JZNS1_25segmented_radix_sort_implINS0_14default_configELb0EPKaPaPKlPlN2at6native12_GLOBAL__N_18offset_tEEE10hipError_tPvRmT1_PNSt15iterator_traitsISY_E10value_typeET2_T3_PNSZ_IS14_E10value_typeET4_jRbjT5_S1A_jjP12ihipStream_tbEUljE_EEESV_SW_SX_S14_S18_S1A_T6_T7_T9_mT8_S1C_bDpT10_ENKUlT_T0_E_clISt17integral_constantIbLb1EES1P_EEDaS1K_S1L_EUlS1K_E_NS1_11comp_targetILNS1_3genE3ELNS1_11target_archE908ELNS1_3gpuE7ELNS1_3repE0EEENS1_30default_config_static_selectorELNS0_4arch9wavefront6targetE1EEEvSY_.num_named_barrier, 0
	.set _ZN7rocprim17ROCPRIM_400000_NS6detail17trampoline_kernelINS0_13select_configILj256ELj13ELNS0_17block_load_methodE3ELS4_3ELS4_3ELNS0_20block_scan_algorithmE0ELj4294967295EEENS1_25partition_config_selectorILNS1_17partition_subalgoE3EjNS0_10empty_typeEbEEZZNS1_14partition_implILS8_3ELb0ES6_jNS0_17counting_iteratorIjlEEPS9_SE_NS0_5tupleIJPjSE_EEENSF_IJSE_SE_EEES9_SG_JZNS1_25segmented_radix_sort_implINS0_14default_configELb0EPKaPaPKlPlN2at6native12_GLOBAL__N_18offset_tEEE10hipError_tPvRmT1_PNSt15iterator_traitsISY_E10value_typeET2_T3_PNSZ_IS14_E10value_typeET4_jRbjT5_S1A_jjP12ihipStream_tbEUljE_EEESV_SW_SX_S14_S18_S1A_T6_T7_T9_mT8_S1C_bDpT10_ENKUlT_T0_E_clISt17integral_constantIbLb1EES1P_EEDaS1K_S1L_EUlS1K_E_NS1_11comp_targetILNS1_3genE3ELNS1_11target_archE908ELNS1_3gpuE7ELNS1_3repE0EEENS1_30default_config_static_selectorELNS0_4arch9wavefront6targetE1EEEvSY_.private_seg_size, 0
	.set _ZN7rocprim17ROCPRIM_400000_NS6detail17trampoline_kernelINS0_13select_configILj256ELj13ELNS0_17block_load_methodE3ELS4_3ELS4_3ELNS0_20block_scan_algorithmE0ELj4294967295EEENS1_25partition_config_selectorILNS1_17partition_subalgoE3EjNS0_10empty_typeEbEEZZNS1_14partition_implILS8_3ELb0ES6_jNS0_17counting_iteratorIjlEEPS9_SE_NS0_5tupleIJPjSE_EEENSF_IJSE_SE_EEES9_SG_JZNS1_25segmented_radix_sort_implINS0_14default_configELb0EPKaPaPKlPlN2at6native12_GLOBAL__N_18offset_tEEE10hipError_tPvRmT1_PNSt15iterator_traitsISY_E10value_typeET2_T3_PNSZ_IS14_E10value_typeET4_jRbjT5_S1A_jjP12ihipStream_tbEUljE_EEESV_SW_SX_S14_S18_S1A_T6_T7_T9_mT8_S1C_bDpT10_ENKUlT_T0_E_clISt17integral_constantIbLb1EES1P_EEDaS1K_S1L_EUlS1K_E_NS1_11comp_targetILNS1_3genE3ELNS1_11target_archE908ELNS1_3gpuE7ELNS1_3repE0EEENS1_30default_config_static_selectorELNS0_4arch9wavefront6targetE1EEEvSY_.uses_vcc, 0
	.set _ZN7rocprim17ROCPRIM_400000_NS6detail17trampoline_kernelINS0_13select_configILj256ELj13ELNS0_17block_load_methodE3ELS4_3ELS4_3ELNS0_20block_scan_algorithmE0ELj4294967295EEENS1_25partition_config_selectorILNS1_17partition_subalgoE3EjNS0_10empty_typeEbEEZZNS1_14partition_implILS8_3ELb0ES6_jNS0_17counting_iteratorIjlEEPS9_SE_NS0_5tupleIJPjSE_EEENSF_IJSE_SE_EEES9_SG_JZNS1_25segmented_radix_sort_implINS0_14default_configELb0EPKaPaPKlPlN2at6native12_GLOBAL__N_18offset_tEEE10hipError_tPvRmT1_PNSt15iterator_traitsISY_E10value_typeET2_T3_PNSZ_IS14_E10value_typeET4_jRbjT5_S1A_jjP12ihipStream_tbEUljE_EEESV_SW_SX_S14_S18_S1A_T6_T7_T9_mT8_S1C_bDpT10_ENKUlT_T0_E_clISt17integral_constantIbLb1EES1P_EEDaS1K_S1L_EUlS1K_E_NS1_11comp_targetILNS1_3genE3ELNS1_11target_archE908ELNS1_3gpuE7ELNS1_3repE0EEENS1_30default_config_static_selectorELNS0_4arch9wavefront6targetE1EEEvSY_.uses_flat_scratch, 0
	.set _ZN7rocprim17ROCPRIM_400000_NS6detail17trampoline_kernelINS0_13select_configILj256ELj13ELNS0_17block_load_methodE3ELS4_3ELS4_3ELNS0_20block_scan_algorithmE0ELj4294967295EEENS1_25partition_config_selectorILNS1_17partition_subalgoE3EjNS0_10empty_typeEbEEZZNS1_14partition_implILS8_3ELb0ES6_jNS0_17counting_iteratorIjlEEPS9_SE_NS0_5tupleIJPjSE_EEENSF_IJSE_SE_EEES9_SG_JZNS1_25segmented_radix_sort_implINS0_14default_configELb0EPKaPaPKlPlN2at6native12_GLOBAL__N_18offset_tEEE10hipError_tPvRmT1_PNSt15iterator_traitsISY_E10value_typeET2_T3_PNSZ_IS14_E10value_typeET4_jRbjT5_S1A_jjP12ihipStream_tbEUljE_EEESV_SW_SX_S14_S18_S1A_T6_T7_T9_mT8_S1C_bDpT10_ENKUlT_T0_E_clISt17integral_constantIbLb1EES1P_EEDaS1K_S1L_EUlS1K_E_NS1_11comp_targetILNS1_3genE3ELNS1_11target_archE908ELNS1_3gpuE7ELNS1_3repE0EEENS1_30default_config_static_selectorELNS0_4arch9wavefront6targetE1EEEvSY_.has_dyn_sized_stack, 0
	.set _ZN7rocprim17ROCPRIM_400000_NS6detail17trampoline_kernelINS0_13select_configILj256ELj13ELNS0_17block_load_methodE3ELS4_3ELS4_3ELNS0_20block_scan_algorithmE0ELj4294967295EEENS1_25partition_config_selectorILNS1_17partition_subalgoE3EjNS0_10empty_typeEbEEZZNS1_14partition_implILS8_3ELb0ES6_jNS0_17counting_iteratorIjlEEPS9_SE_NS0_5tupleIJPjSE_EEENSF_IJSE_SE_EEES9_SG_JZNS1_25segmented_radix_sort_implINS0_14default_configELb0EPKaPaPKlPlN2at6native12_GLOBAL__N_18offset_tEEE10hipError_tPvRmT1_PNSt15iterator_traitsISY_E10value_typeET2_T3_PNSZ_IS14_E10value_typeET4_jRbjT5_S1A_jjP12ihipStream_tbEUljE_EEESV_SW_SX_S14_S18_S1A_T6_T7_T9_mT8_S1C_bDpT10_ENKUlT_T0_E_clISt17integral_constantIbLb1EES1P_EEDaS1K_S1L_EUlS1K_E_NS1_11comp_targetILNS1_3genE3ELNS1_11target_archE908ELNS1_3gpuE7ELNS1_3repE0EEENS1_30default_config_static_selectorELNS0_4arch9wavefront6targetE1EEEvSY_.has_recursion, 0
	.set _ZN7rocprim17ROCPRIM_400000_NS6detail17trampoline_kernelINS0_13select_configILj256ELj13ELNS0_17block_load_methodE3ELS4_3ELS4_3ELNS0_20block_scan_algorithmE0ELj4294967295EEENS1_25partition_config_selectorILNS1_17partition_subalgoE3EjNS0_10empty_typeEbEEZZNS1_14partition_implILS8_3ELb0ES6_jNS0_17counting_iteratorIjlEEPS9_SE_NS0_5tupleIJPjSE_EEENSF_IJSE_SE_EEES9_SG_JZNS1_25segmented_radix_sort_implINS0_14default_configELb0EPKaPaPKlPlN2at6native12_GLOBAL__N_18offset_tEEE10hipError_tPvRmT1_PNSt15iterator_traitsISY_E10value_typeET2_T3_PNSZ_IS14_E10value_typeET4_jRbjT5_S1A_jjP12ihipStream_tbEUljE_EEESV_SW_SX_S14_S18_S1A_T6_T7_T9_mT8_S1C_bDpT10_ENKUlT_T0_E_clISt17integral_constantIbLb1EES1P_EEDaS1K_S1L_EUlS1K_E_NS1_11comp_targetILNS1_3genE3ELNS1_11target_archE908ELNS1_3gpuE7ELNS1_3repE0EEENS1_30default_config_static_selectorELNS0_4arch9wavefront6targetE1EEEvSY_.has_indirect_call, 0
	.section	.AMDGPU.csdata,"",@progbits
; Kernel info:
; codeLenInByte = 0
; TotalNumSgprs: 4
; NumVgprs: 0
; ScratchSize: 0
; MemoryBound: 0
; FloatMode: 240
; IeeeMode: 1
; LDSByteSize: 0 bytes/workgroup (compile time only)
; SGPRBlocks: 0
; VGPRBlocks: 0
; NumSGPRsForWavesPerEU: 4
; NumVGPRsForWavesPerEU: 1
; Occupancy: 10
; WaveLimiterHint : 0
; COMPUTE_PGM_RSRC2:SCRATCH_EN: 0
; COMPUTE_PGM_RSRC2:USER_SGPR: 6
; COMPUTE_PGM_RSRC2:TRAP_HANDLER: 0
; COMPUTE_PGM_RSRC2:TGID_X_EN: 1
; COMPUTE_PGM_RSRC2:TGID_Y_EN: 0
; COMPUTE_PGM_RSRC2:TGID_Z_EN: 0
; COMPUTE_PGM_RSRC2:TIDIG_COMP_CNT: 0
	.section	.text._ZN7rocprim17ROCPRIM_400000_NS6detail17trampoline_kernelINS0_13select_configILj256ELj13ELNS0_17block_load_methodE3ELS4_3ELS4_3ELNS0_20block_scan_algorithmE0ELj4294967295EEENS1_25partition_config_selectorILNS1_17partition_subalgoE3EjNS0_10empty_typeEbEEZZNS1_14partition_implILS8_3ELb0ES6_jNS0_17counting_iteratorIjlEEPS9_SE_NS0_5tupleIJPjSE_EEENSF_IJSE_SE_EEES9_SG_JZNS1_25segmented_radix_sort_implINS0_14default_configELb0EPKaPaPKlPlN2at6native12_GLOBAL__N_18offset_tEEE10hipError_tPvRmT1_PNSt15iterator_traitsISY_E10value_typeET2_T3_PNSZ_IS14_E10value_typeET4_jRbjT5_S1A_jjP12ihipStream_tbEUljE_EEESV_SW_SX_S14_S18_S1A_T6_T7_T9_mT8_S1C_bDpT10_ENKUlT_T0_E_clISt17integral_constantIbLb1EES1P_EEDaS1K_S1L_EUlS1K_E_NS1_11comp_targetILNS1_3genE2ELNS1_11target_archE906ELNS1_3gpuE6ELNS1_3repE0EEENS1_30default_config_static_selectorELNS0_4arch9wavefront6targetE1EEEvSY_,"axG",@progbits,_ZN7rocprim17ROCPRIM_400000_NS6detail17trampoline_kernelINS0_13select_configILj256ELj13ELNS0_17block_load_methodE3ELS4_3ELS4_3ELNS0_20block_scan_algorithmE0ELj4294967295EEENS1_25partition_config_selectorILNS1_17partition_subalgoE3EjNS0_10empty_typeEbEEZZNS1_14partition_implILS8_3ELb0ES6_jNS0_17counting_iteratorIjlEEPS9_SE_NS0_5tupleIJPjSE_EEENSF_IJSE_SE_EEES9_SG_JZNS1_25segmented_radix_sort_implINS0_14default_configELb0EPKaPaPKlPlN2at6native12_GLOBAL__N_18offset_tEEE10hipError_tPvRmT1_PNSt15iterator_traitsISY_E10value_typeET2_T3_PNSZ_IS14_E10value_typeET4_jRbjT5_S1A_jjP12ihipStream_tbEUljE_EEESV_SW_SX_S14_S18_S1A_T6_T7_T9_mT8_S1C_bDpT10_ENKUlT_T0_E_clISt17integral_constantIbLb1EES1P_EEDaS1K_S1L_EUlS1K_E_NS1_11comp_targetILNS1_3genE2ELNS1_11target_archE906ELNS1_3gpuE6ELNS1_3repE0EEENS1_30default_config_static_selectorELNS0_4arch9wavefront6targetE1EEEvSY_,comdat
	.globl	_ZN7rocprim17ROCPRIM_400000_NS6detail17trampoline_kernelINS0_13select_configILj256ELj13ELNS0_17block_load_methodE3ELS4_3ELS4_3ELNS0_20block_scan_algorithmE0ELj4294967295EEENS1_25partition_config_selectorILNS1_17partition_subalgoE3EjNS0_10empty_typeEbEEZZNS1_14partition_implILS8_3ELb0ES6_jNS0_17counting_iteratorIjlEEPS9_SE_NS0_5tupleIJPjSE_EEENSF_IJSE_SE_EEES9_SG_JZNS1_25segmented_radix_sort_implINS0_14default_configELb0EPKaPaPKlPlN2at6native12_GLOBAL__N_18offset_tEEE10hipError_tPvRmT1_PNSt15iterator_traitsISY_E10value_typeET2_T3_PNSZ_IS14_E10value_typeET4_jRbjT5_S1A_jjP12ihipStream_tbEUljE_EEESV_SW_SX_S14_S18_S1A_T6_T7_T9_mT8_S1C_bDpT10_ENKUlT_T0_E_clISt17integral_constantIbLb1EES1P_EEDaS1K_S1L_EUlS1K_E_NS1_11comp_targetILNS1_3genE2ELNS1_11target_archE906ELNS1_3gpuE6ELNS1_3repE0EEENS1_30default_config_static_selectorELNS0_4arch9wavefront6targetE1EEEvSY_ ; -- Begin function _ZN7rocprim17ROCPRIM_400000_NS6detail17trampoline_kernelINS0_13select_configILj256ELj13ELNS0_17block_load_methodE3ELS4_3ELS4_3ELNS0_20block_scan_algorithmE0ELj4294967295EEENS1_25partition_config_selectorILNS1_17partition_subalgoE3EjNS0_10empty_typeEbEEZZNS1_14partition_implILS8_3ELb0ES6_jNS0_17counting_iteratorIjlEEPS9_SE_NS0_5tupleIJPjSE_EEENSF_IJSE_SE_EEES9_SG_JZNS1_25segmented_radix_sort_implINS0_14default_configELb0EPKaPaPKlPlN2at6native12_GLOBAL__N_18offset_tEEE10hipError_tPvRmT1_PNSt15iterator_traitsISY_E10value_typeET2_T3_PNSZ_IS14_E10value_typeET4_jRbjT5_S1A_jjP12ihipStream_tbEUljE_EEESV_SW_SX_S14_S18_S1A_T6_T7_T9_mT8_S1C_bDpT10_ENKUlT_T0_E_clISt17integral_constantIbLb1EES1P_EEDaS1K_S1L_EUlS1K_E_NS1_11comp_targetILNS1_3genE2ELNS1_11target_archE906ELNS1_3gpuE6ELNS1_3repE0EEENS1_30default_config_static_selectorELNS0_4arch9wavefront6targetE1EEEvSY_
	.p2align	8
	.type	_ZN7rocprim17ROCPRIM_400000_NS6detail17trampoline_kernelINS0_13select_configILj256ELj13ELNS0_17block_load_methodE3ELS4_3ELS4_3ELNS0_20block_scan_algorithmE0ELj4294967295EEENS1_25partition_config_selectorILNS1_17partition_subalgoE3EjNS0_10empty_typeEbEEZZNS1_14partition_implILS8_3ELb0ES6_jNS0_17counting_iteratorIjlEEPS9_SE_NS0_5tupleIJPjSE_EEENSF_IJSE_SE_EEES9_SG_JZNS1_25segmented_radix_sort_implINS0_14default_configELb0EPKaPaPKlPlN2at6native12_GLOBAL__N_18offset_tEEE10hipError_tPvRmT1_PNSt15iterator_traitsISY_E10value_typeET2_T3_PNSZ_IS14_E10value_typeET4_jRbjT5_S1A_jjP12ihipStream_tbEUljE_EEESV_SW_SX_S14_S18_S1A_T6_T7_T9_mT8_S1C_bDpT10_ENKUlT_T0_E_clISt17integral_constantIbLb1EES1P_EEDaS1K_S1L_EUlS1K_E_NS1_11comp_targetILNS1_3genE2ELNS1_11target_archE906ELNS1_3gpuE6ELNS1_3repE0EEENS1_30default_config_static_selectorELNS0_4arch9wavefront6targetE1EEEvSY_,@function
_ZN7rocprim17ROCPRIM_400000_NS6detail17trampoline_kernelINS0_13select_configILj256ELj13ELNS0_17block_load_methodE3ELS4_3ELS4_3ELNS0_20block_scan_algorithmE0ELj4294967295EEENS1_25partition_config_selectorILNS1_17partition_subalgoE3EjNS0_10empty_typeEbEEZZNS1_14partition_implILS8_3ELb0ES6_jNS0_17counting_iteratorIjlEEPS9_SE_NS0_5tupleIJPjSE_EEENSF_IJSE_SE_EEES9_SG_JZNS1_25segmented_radix_sort_implINS0_14default_configELb0EPKaPaPKlPlN2at6native12_GLOBAL__N_18offset_tEEE10hipError_tPvRmT1_PNSt15iterator_traitsISY_E10value_typeET2_T3_PNSZ_IS14_E10value_typeET4_jRbjT5_S1A_jjP12ihipStream_tbEUljE_EEESV_SW_SX_S14_S18_S1A_T6_T7_T9_mT8_S1C_bDpT10_ENKUlT_T0_E_clISt17integral_constantIbLb1EES1P_EEDaS1K_S1L_EUlS1K_E_NS1_11comp_targetILNS1_3genE2ELNS1_11target_archE906ELNS1_3gpuE6ELNS1_3repE0EEENS1_30default_config_static_selectorELNS0_4arch9wavefront6targetE1EEEvSY_: ; @_ZN7rocprim17ROCPRIM_400000_NS6detail17trampoline_kernelINS0_13select_configILj256ELj13ELNS0_17block_load_methodE3ELS4_3ELS4_3ELNS0_20block_scan_algorithmE0ELj4294967295EEENS1_25partition_config_selectorILNS1_17partition_subalgoE3EjNS0_10empty_typeEbEEZZNS1_14partition_implILS8_3ELb0ES6_jNS0_17counting_iteratorIjlEEPS9_SE_NS0_5tupleIJPjSE_EEENSF_IJSE_SE_EEES9_SG_JZNS1_25segmented_radix_sort_implINS0_14default_configELb0EPKaPaPKlPlN2at6native12_GLOBAL__N_18offset_tEEE10hipError_tPvRmT1_PNSt15iterator_traitsISY_E10value_typeET2_T3_PNSZ_IS14_E10value_typeET4_jRbjT5_S1A_jjP12ihipStream_tbEUljE_EEESV_SW_SX_S14_S18_S1A_T6_T7_T9_mT8_S1C_bDpT10_ENKUlT_T0_E_clISt17integral_constantIbLb1EES1P_EEDaS1K_S1L_EUlS1K_E_NS1_11comp_targetILNS1_3genE2ELNS1_11target_archE906ELNS1_3gpuE6ELNS1_3repE0EEENS1_30default_config_static_selectorELNS0_4arch9wavefront6targetE1EEEvSY_
; %bb.0:
	s_endpgm
	.section	.rodata,"a",@progbits
	.p2align	6, 0x0
	.amdhsa_kernel _ZN7rocprim17ROCPRIM_400000_NS6detail17trampoline_kernelINS0_13select_configILj256ELj13ELNS0_17block_load_methodE3ELS4_3ELS4_3ELNS0_20block_scan_algorithmE0ELj4294967295EEENS1_25partition_config_selectorILNS1_17partition_subalgoE3EjNS0_10empty_typeEbEEZZNS1_14partition_implILS8_3ELb0ES6_jNS0_17counting_iteratorIjlEEPS9_SE_NS0_5tupleIJPjSE_EEENSF_IJSE_SE_EEES9_SG_JZNS1_25segmented_radix_sort_implINS0_14default_configELb0EPKaPaPKlPlN2at6native12_GLOBAL__N_18offset_tEEE10hipError_tPvRmT1_PNSt15iterator_traitsISY_E10value_typeET2_T3_PNSZ_IS14_E10value_typeET4_jRbjT5_S1A_jjP12ihipStream_tbEUljE_EEESV_SW_SX_S14_S18_S1A_T6_T7_T9_mT8_S1C_bDpT10_ENKUlT_T0_E_clISt17integral_constantIbLb1EES1P_EEDaS1K_S1L_EUlS1K_E_NS1_11comp_targetILNS1_3genE2ELNS1_11target_archE906ELNS1_3gpuE6ELNS1_3repE0EEENS1_30default_config_static_selectorELNS0_4arch9wavefront6targetE1EEEvSY_
		.amdhsa_group_segment_fixed_size 0
		.amdhsa_private_segment_fixed_size 0
		.amdhsa_kernarg_size 152
		.amdhsa_user_sgpr_count 6
		.amdhsa_user_sgpr_private_segment_buffer 1
		.amdhsa_user_sgpr_dispatch_ptr 0
		.amdhsa_user_sgpr_queue_ptr 0
		.amdhsa_user_sgpr_kernarg_segment_ptr 1
		.amdhsa_user_sgpr_dispatch_id 0
		.amdhsa_user_sgpr_flat_scratch_init 0
		.amdhsa_user_sgpr_private_segment_size 0
		.amdhsa_uses_dynamic_stack 0
		.amdhsa_system_sgpr_private_segment_wavefront_offset 0
		.amdhsa_system_sgpr_workgroup_id_x 1
		.amdhsa_system_sgpr_workgroup_id_y 0
		.amdhsa_system_sgpr_workgroup_id_z 0
		.amdhsa_system_sgpr_workgroup_info 0
		.amdhsa_system_vgpr_workitem_id 0
		.amdhsa_next_free_vgpr 1
		.amdhsa_next_free_sgpr 0
		.amdhsa_reserve_vcc 0
		.amdhsa_reserve_flat_scratch 0
		.amdhsa_float_round_mode_32 0
		.amdhsa_float_round_mode_16_64 0
		.amdhsa_float_denorm_mode_32 3
		.amdhsa_float_denorm_mode_16_64 3
		.amdhsa_dx10_clamp 1
		.amdhsa_ieee_mode 1
		.amdhsa_fp16_overflow 0
		.amdhsa_exception_fp_ieee_invalid_op 0
		.amdhsa_exception_fp_denorm_src 0
		.amdhsa_exception_fp_ieee_div_zero 0
		.amdhsa_exception_fp_ieee_overflow 0
		.amdhsa_exception_fp_ieee_underflow 0
		.amdhsa_exception_fp_ieee_inexact 0
		.amdhsa_exception_int_div_zero 0
	.end_amdhsa_kernel
	.section	.text._ZN7rocprim17ROCPRIM_400000_NS6detail17trampoline_kernelINS0_13select_configILj256ELj13ELNS0_17block_load_methodE3ELS4_3ELS4_3ELNS0_20block_scan_algorithmE0ELj4294967295EEENS1_25partition_config_selectorILNS1_17partition_subalgoE3EjNS0_10empty_typeEbEEZZNS1_14partition_implILS8_3ELb0ES6_jNS0_17counting_iteratorIjlEEPS9_SE_NS0_5tupleIJPjSE_EEENSF_IJSE_SE_EEES9_SG_JZNS1_25segmented_radix_sort_implINS0_14default_configELb0EPKaPaPKlPlN2at6native12_GLOBAL__N_18offset_tEEE10hipError_tPvRmT1_PNSt15iterator_traitsISY_E10value_typeET2_T3_PNSZ_IS14_E10value_typeET4_jRbjT5_S1A_jjP12ihipStream_tbEUljE_EEESV_SW_SX_S14_S18_S1A_T6_T7_T9_mT8_S1C_bDpT10_ENKUlT_T0_E_clISt17integral_constantIbLb1EES1P_EEDaS1K_S1L_EUlS1K_E_NS1_11comp_targetILNS1_3genE2ELNS1_11target_archE906ELNS1_3gpuE6ELNS1_3repE0EEENS1_30default_config_static_selectorELNS0_4arch9wavefront6targetE1EEEvSY_,"axG",@progbits,_ZN7rocprim17ROCPRIM_400000_NS6detail17trampoline_kernelINS0_13select_configILj256ELj13ELNS0_17block_load_methodE3ELS4_3ELS4_3ELNS0_20block_scan_algorithmE0ELj4294967295EEENS1_25partition_config_selectorILNS1_17partition_subalgoE3EjNS0_10empty_typeEbEEZZNS1_14partition_implILS8_3ELb0ES6_jNS0_17counting_iteratorIjlEEPS9_SE_NS0_5tupleIJPjSE_EEENSF_IJSE_SE_EEES9_SG_JZNS1_25segmented_radix_sort_implINS0_14default_configELb0EPKaPaPKlPlN2at6native12_GLOBAL__N_18offset_tEEE10hipError_tPvRmT1_PNSt15iterator_traitsISY_E10value_typeET2_T3_PNSZ_IS14_E10value_typeET4_jRbjT5_S1A_jjP12ihipStream_tbEUljE_EEESV_SW_SX_S14_S18_S1A_T6_T7_T9_mT8_S1C_bDpT10_ENKUlT_T0_E_clISt17integral_constantIbLb1EES1P_EEDaS1K_S1L_EUlS1K_E_NS1_11comp_targetILNS1_3genE2ELNS1_11target_archE906ELNS1_3gpuE6ELNS1_3repE0EEENS1_30default_config_static_selectorELNS0_4arch9wavefront6targetE1EEEvSY_,comdat
.Lfunc_end373:
	.size	_ZN7rocprim17ROCPRIM_400000_NS6detail17trampoline_kernelINS0_13select_configILj256ELj13ELNS0_17block_load_methodE3ELS4_3ELS4_3ELNS0_20block_scan_algorithmE0ELj4294967295EEENS1_25partition_config_selectorILNS1_17partition_subalgoE3EjNS0_10empty_typeEbEEZZNS1_14partition_implILS8_3ELb0ES6_jNS0_17counting_iteratorIjlEEPS9_SE_NS0_5tupleIJPjSE_EEENSF_IJSE_SE_EEES9_SG_JZNS1_25segmented_radix_sort_implINS0_14default_configELb0EPKaPaPKlPlN2at6native12_GLOBAL__N_18offset_tEEE10hipError_tPvRmT1_PNSt15iterator_traitsISY_E10value_typeET2_T3_PNSZ_IS14_E10value_typeET4_jRbjT5_S1A_jjP12ihipStream_tbEUljE_EEESV_SW_SX_S14_S18_S1A_T6_T7_T9_mT8_S1C_bDpT10_ENKUlT_T0_E_clISt17integral_constantIbLb1EES1P_EEDaS1K_S1L_EUlS1K_E_NS1_11comp_targetILNS1_3genE2ELNS1_11target_archE906ELNS1_3gpuE6ELNS1_3repE0EEENS1_30default_config_static_selectorELNS0_4arch9wavefront6targetE1EEEvSY_, .Lfunc_end373-_ZN7rocprim17ROCPRIM_400000_NS6detail17trampoline_kernelINS0_13select_configILj256ELj13ELNS0_17block_load_methodE3ELS4_3ELS4_3ELNS0_20block_scan_algorithmE0ELj4294967295EEENS1_25partition_config_selectorILNS1_17partition_subalgoE3EjNS0_10empty_typeEbEEZZNS1_14partition_implILS8_3ELb0ES6_jNS0_17counting_iteratorIjlEEPS9_SE_NS0_5tupleIJPjSE_EEENSF_IJSE_SE_EEES9_SG_JZNS1_25segmented_radix_sort_implINS0_14default_configELb0EPKaPaPKlPlN2at6native12_GLOBAL__N_18offset_tEEE10hipError_tPvRmT1_PNSt15iterator_traitsISY_E10value_typeET2_T3_PNSZ_IS14_E10value_typeET4_jRbjT5_S1A_jjP12ihipStream_tbEUljE_EEESV_SW_SX_S14_S18_S1A_T6_T7_T9_mT8_S1C_bDpT10_ENKUlT_T0_E_clISt17integral_constantIbLb1EES1P_EEDaS1K_S1L_EUlS1K_E_NS1_11comp_targetILNS1_3genE2ELNS1_11target_archE906ELNS1_3gpuE6ELNS1_3repE0EEENS1_30default_config_static_selectorELNS0_4arch9wavefront6targetE1EEEvSY_
                                        ; -- End function
	.set _ZN7rocprim17ROCPRIM_400000_NS6detail17trampoline_kernelINS0_13select_configILj256ELj13ELNS0_17block_load_methodE3ELS4_3ELS4_3ELNS0_20block_scan_algorithmE0ELj4294967295EEENS1_25partition_config_selectorILNS1_17partition_subalgoE3EjNS0_10empty_typeEbEEZZNS1_14partition_implILS8_3ELb0ES6_jNS0_17counting_iteratorIjlEEPS9_SE_NS0_5tupleIJPjSE_EEENSF_IJSE_SE_EEES9_SG_JZNS1_25segmented_radix_sort_implINS0_14default_configELb0EPKaPaPKlPlN2at6native12_GLOBAL__N_18offset_tEEE10hipError_tPvRmT1_PNSt15iterator_traitsISY_E10value_typeET2_T3_PNSZ_IS14_E10value_typeET4_jRbjT5_S1A_jjP12ihipStream_tbEUljE_EEESV_SW_SX_S14_S18_S1A_T6_T7_T9_mT8_S1C_bDpT10_ENKUlT_T0_E_clISt17integral_constantIbLb1EES1P_EEDaS1K_S1L_EUlS1K_E_NS1_11comp_targetILNS1_3genE2ELNS1_11target_archE906ELNS1_3gpuE6ELNS1_3repE0EEENS1_30default_config_static_selectorELNS0_4arch9wavefront6targetE1EEEvSY_.num_vgpr, 0
	.set _ZN7rocprim17ROCPRIM_400000_NS6detail17trampoline_kernelINS0_13select_configILj256ELj13ELNS0_17block_load_methodE3ELS4_3ELS4_3ELNS0_20block_scan_algorithmE0ELj4294967295EEENS1_25partition_config_selectorILNS1_17partition_subalgoE3EjNS0_10empty_typeEbEEZZNS1_14partition_implILS8_3ELb0ES6_jNS0_17counting_iteratorIjlEEPS9_SE_NS0_5tupleIJPjSE_EEENSF_IJSE_SE_EEES9_SG_JZNS1_25segmented_radix_sort_implINS0_14default_configELb0EPKaPaPKlPlN2at6native12_GLOBAL__N_18offset_tEEE10hipError_tPvRmT1_PNSt15iterator_traitsISY_E10value_typeET2_T3_PNSZ_IS14_E10value_typeET4_jRbjT5_S1A_jjP12ihipStream_tbEUljE_EEESV_SW_SX_S14_S18_S1A_T6_T7_T9_mT8_S1C_bDpT10_ENKUlT_T0_E_clISt17integral_constantIbLb1EES1P_EEDaS1K_S1L_EUlS1K_E_NS1_11comp_targetILNS1_3genE2ELNS1_11target_archE906ELNS1_3gpuE6ELNS1_3repE0EEENS1_30default_config_static_selectorELNS0_4arch9wavefront6targetE1EEEvSY_.num_agpr, 0
	.set _ZN7rocprim17ROCPRIM_400000_NS6detail17trampoline_kernelINS0_13select_configILj256ELj13ELNS0_17block_load_methodE3ELS4_3ELS4_3ELNS0_20block_scan_algorithmE0ELj4294967295EEENS1_25partition_config_selectorILNS1_17partition_subalgoE3EjNS0_10empty_typeEbEEZZNS1_14partition_implILS8_3ELb0ES6_jNS0_17counting_iteratorIjlEEPS9_SE_NS0_5tupleIJPjSE_EEENSF_IJSE_SE_EEES9_SG_JZNS1_25segmented_radix_sort_implINS0_14default_configELb0EPKaPaPKlPlN2at6native12_GLOBAL__N_18offset_tEEE10hipError_tPvRmT1_PNSt15iterator_traitsISY_E10value_typeET2_T3_PNSZ_IS14_E10value_typeET4_jRbjT5_S1A_jjP12ihipStream_tbEUljE_EEESV_SW_SX_S14_S18_S1A_T6_T7_T9_mT8_S1C_bDpT10_ENKUlT_T0_E_clISt17integral_constantIbLb1EES1P_EEDaS1K_S1L_EUlS1K_E_NS1_11comp_targetILNS1_3genE2ELNS1_11target_archE906ELNS1_3gpuE6ELNS1_3repE0EEENS1_30default_config_static_selectorELNS0_4arch9wavefront6targetE1EEEvSY_.numbered_sgpr, 0
	.set _ZN7rocprim17ROCPRIM_400000_NS6detail17trampoline_kernelINS0_13select_configILj256ELj13ELNS0_17block_load_methodE3ELS4_3ELS4_3ELNS0_20block_scan_algorithmE0ELj4294967295EEENS1_25partition_config_selectorILNS1_17partition_subalgoE3EjNS0_10empty_typeEbEEZZNS1_14partition_implILS8_3ELb0ES6_jNS0_17counting_iteratorIjlEEPS9_SE_NS0_5tupleIJPjSE_EEENSF_IJSE_SE_EEES9_SG_JZNS1_25segmented_radix_sort_implINS0_14default_configELb0EPKaPaPKlPlN2at6native12_GLOBAL__N_18offset_tEEE10hipError_tPvRmT1_PNSt15iterator_traitsISY_E10value_typeET2_T3_PNSZ_IS14_E10value_typeET4_jRbjT5_S1A_jjP12ihipStream_tbEUljE_EEESV_SW_SX_S14_S18_S1A_T6_T7_T9_mT8_S1C_bDpT10_ENKUlT_T0_E_clISt17integral_constantIbLb1EES1P_EEDaS1K_S1L_EUlS1K_E_NS1_11comp_targetILNS1_3genE2ELNS1_11target_archE906ELNS1_3gpuE6ELNS1_3repE0EEENS1_30default_config_static_selectorELNS0_4arch9wavefront6targetE1EEEvSY_.num_named_barrier, 0
	.set _ZN7rocprim17ROCPRIM_400000_NS6detail17trampoline_kernelINS0_13select_configILj256ELj13ELNS0_17block_load_methodE3ELS4_3ELS4_3ELNS0_20block_scan_algorithmE0ELj4294967295EEENS1_25partition_config_selectorILNS1_17partition_subalgoE3EjNS0_10empty_typeEbEEZZNS1_14partition_implILS8_3ELb0ES6_jNS0_17counting_iteratorIjlEEPS9_SE_NS0_5tupleIJPjSE_EEENSF_IJSE_SE_EEES9_SG_JZNS1_25segmented_radix_sort_implINS0_14default_configELb0EPKaPaPKlPlN2at6native12_GLOBAL__N_18offset_tEEE10hipError_tPvRmT1_PNSt15iterator_traitsISY_E10value_typeET2_T3_PNSZ_IS14_E10value_typeET4_jRbjT5_S1A_jjP12ihipStream_tbEUljE_EEESV_SW_SX_S14_S18_S1A_T6_T7_T9_mT8_S1C_bDpT10_ENKUlT_T0_E_clISt17integral_constantIbLb1EES1P_EEDaS1K_S1L_EUlS1K_E_NS1_11comp_targetILNS1_3genE2ELNS1_11target_archE906ELNS1_3gpuE6ELNS1_3repE0EEENS1_30default_config_static_selectorELNS0_4arch9wavefront6targetE1EEEvSY_.private_seg_size, 0
	.set _ZN7rocprim17ROCPRIM_400000_NS6detail17trampoline_kernelINS0_13select_configILj256ELj13ELNS0_17block_load_methodE3ELS4_3ELS4_3ELNS0_20block_scan_algorithmE0ELj4294967295EEENS1_25partition_config_selectorILNS1_17partition_subalgoE3EjNS0_10empty_typeEbEEZZNS1_14partition_implILS8_3ELb0ES6_jNS0_17counting_iteratorIjlEEPS9_SE_NS0_5tupleIJPjSE_EEENSF_IJSE_SE_EEES9_SG_JZNS1_25segmented_radix_sort_implINS0_14default_configELb0EPKaPaPKlPlN2at6native12_GLOBAL__N_18offset_tEEE10hipError_tPvRmT1_PNSt15iterator_traitsISY_E10value_typeET2_T3_PNSZ_IS14_E10value_typeET4_jRbjT5_S1A_jjP12ihipStream_tbEUljE_EEESV_SW_SX_S14_S18_S1A_T6_T7_T9_mT8_S1C_bDpT10_ENKUlT_T0_E_clISt17integral_constantIbLb1EES1P_EEDaS1K_S1L_EUlS1K_E_NS1_11comp_targetILNS1_3genE2ELNS1_11target_archE906ELNS1_3gpuE6ELNS1_3repE0EEENS1_30default_config_static_selectorELNS0_4arch9wavefront6targetE1EEEvSY_.uses_vcc, 0
	.set _ZN7rocprim17ROCPRIM_400000_NS6detail17trampoline_kernelINS0_13select_configILj256ELj13ELNS0_17block_load_methodE3ELS4_3ELS4_3ELNS0_20block_scan_algorithmE0ELj4294967295EEENS1_25partition_config_selectorILNS1_17partition_subalgoE3EjNS0_10empty_typeEbEEZZNS1_14partition_implILS8_3ELb0ES6_jNS0_17counting_iteratorIjlEEPS9_SE_NS0_5tupleIJPjSE_EEENSF_IJSE_SE_EEES9_SG_JZNS1_25segmented_radix_sort_implINS0_14default_configELb0EPKaPaPKlPlN2at6native12_GLOBAL__N_18offset_tEEE10hipError_tPvRmT1_PNSt15iterator_traitsISY_E10value_typeET2_T3_PNSZ_IS14_E10value_typeET4_jRbjT5_S1A_jjP12ihipStream_tbEUljE_EEESV_SW_SX_S14_S18_S1A_T6_T7_T9_mT8_S1C_bDpT10_ENKUlT_T0_E_clISt17integral_constantIbLb1EES1P_EEDaS1K_S1L_EUlS1K_E_NS1_11comp_targetILNS1_3genE2ELNS1_11target_archE906ELNS1_3gpuE6ELNS1_3repE0EEENS1_30default_config_static_selectorELNS0_4arch9wavefront6targetE1EEEvSY_.uses_flat_scratch, 0
	.set _ZN7rocprim17ROCPRIM_400000_NS6detail17trampoline_kernelINS0_13select_configILj256ELj13ELNS0_17block_load_methodE3ELS4_3ELS4_3ELNS0_20block_scan_algorithmE0ELj4294967295EEENS1_25partition_config_selectorILNS1_17partition_subalgoE3EjNS0_10empty_typeEbEEZZNS1_14partition_implILS8_3ELb0ES6_jNS0_17counting_iteratorIjlEEPS9_SE_NS0_5tupleIJPjSE_EEENSF_IJSE_SE_EEES9_SG_JZNS1_25segmented_radix_sort_implINS0_14default_configELb0EPKaPaPKlPlN2at6native12_GLOBAL__N_18offset_tEEE10hipError_tPvRmT1_PNSt15iterator_traitsISY_E10value_typeET2_T3_PNSZ_IS14_E10value_typeET4_jRbjT5_S1A_jjP12ihipStream_tbEUljE_EEESV_SW_SX_S14_S18_S1A_T6_T7_T9_mT8_S1C_bDpT10_ENKUlT_T0_E_clISt17integral_constantIbLb1EES1P_EEDaS1K_S1L_EUlS1K_E_NS1_11comp_targetILNS1_3genE2ELNS1_11target_archE906ELNS1_3gpuE6ELNS1_3repE0EEENS1_30default_config_static_selectorELNS0_4arch9wavefront6targetE1EEEvSY_.has_dyn_sized_stack, 0
	.set _ZN7rocprim17ROCPRIM_400000_NS6detail17trampoline_kernelINS0_13select_configILj256ELj13ELNS0_17block_load_methodE3ELS4_3ELS4_3ELNS0_20block_scan_algorithmE0ELj4294967295EEENS1_25partition_config_selectorILNS1_17partition_subalgoE3EjNS0_10empty_typeEbEEZZNS1_14partition_implILS8_3ELb0ES6_jNS0_17counting_iteratorIjlEEPS9_SE_NS0_5tupleIJPjSE_EEENSF_IJSE_SE_EEES9_SG_JZNS1_25segmented_radix_sort_implINS0_14default_configELb0EPKaPaPKlPlN2at6native12_GLOBAL__N_18offset_tEEE10hipError_tPvRmT1_PNSt15iterator_traitsISY_E10value_typeET2_T3_PNSZ_IS14_E10value_typeET4_jRbjT5_S1A_jjP12ihipStream_tbEUljE_EEESV_SW_SX_S14_S18_S1A_T6_T7_T9_mT8_S1C_bDpT10_ENKUlT_T0_E_clISt17integral_constantIbLb1EES1P_EEDaS1K_S1L_EUlS1K_E_NS1_11comp_targetILNS1_3genE2ELNS1_11target_archE906ELNS1_3gpuE6ELNS1_3repE0EEENS1_30default_config_static_selectorELNS0_4arch9wavefront6targetE1EEEvSY_.has_recursion, 0
	.set _ZN7rocprim17ROCPRIM_400000_NS6detail17trampoline_kernelINS0_13select_configILj256ELj13ELNS0_17block_load_methodE3ELS4_3ELS4_3ELNS0_20block_scan_algorithmE0ELj4294967295EEENS1_25partition_config_selectorILNS1_17partition_subalgoE3EjNS0_10empty_typeEbEEZZNS1_14partition_implILS8_3ELb0ES6_jNS0_17counting_iteratorIjlEEPS9_SE_NS0_5tupleIJPjSE_EEENSF_IJSE_SE_EEES9_SG_JZNS1_25segmented_radix_sort_implINS0_14default_configELb0EPKaPaPKlPlN2at6native12_GLOBAL__N_18offset_tEEE10hipError_tPvRmT1_PNSt15iterator_traitsISY_E10value_typeET2_T3_PNSZ_IS14_E10value_typeET4_jRbjT5_S1A_jjP12ihipStream_tbEUljE_EEESV_SW_SX_S14_S18_S1A_T6_T7_T9_mT8_S1C_bDpT10_ENKUlT_T0_E_clISt17integral_constantIbLb1EES1P_EEDaS1K_S1L_EUlS1K_E_NS1_11comp_targetILNS1_3genE2ELNS1_11target_archE906ELNS1_3gpuE6ELNS1_3repE0EEENS1_30default_config_static_selectorELNS0_4arch9wavefront6targetE1EEEvSY_.has_indirect_call, 0
	.section	.AMDGPU.csdata,"",@progbits
; Kernel info:
; codeLenInByte = 4
; TotalNumSgprs: 4
; NumVgprs: 0
; ScratchSize: 0
; MemoryBound: 0
; FloatMode: 240
; IeeeMode: 1
; LDSByteSize: 0 bytes/workgroup (compile time only)
; SGPRBlocks: 0
; VGPRBlocks: 0
; NumSGPRsForWavesPerEU: 4
; NumVGPRsForWavesPerEU: 1
; Occupancy: 10
; WaveLimiterHint : 0
; COMPUTE_PGM_RSRC2:SCRATCH_EN: 0
; COMPUTE_PGM_RSRC2:USER_SGPR: 6
; COMPUTE_PGM_RSRC2:TRAP_HANDLER: 0
; COMPUTE_PGM_RSRC2:TGID_X_EN: 1
; COMPUTE_PGM_RSRC2:TGID_Y_EN: 0
; COMPUTE_PGM_RSRC2:TGID_Z_EN: 0
; COMPUTE_PGM_RSRC2:TIDIG_COMP_CNT: 0
	.section	.text._ZN7rocprim17ROCPRIM_400000_NS6detail17trampoline_kernelINS0_13select_configILj256ELj13ELNS0_17block_load_methodE3ELS4_3ELS4_3ELNS0_20block_scan_algorithmE0ELj4294967295EEENS1_25partition_config_selectorILNS1_17partition_subalgoE3EjNS0_10empty_typeEbEEZZNS1_14partition_implILS8_3ELb0ES6_jNS0_17counting_iteratorIjlEEPS9_SE_NS0_5tupleIJPjSE_EEENSF_IJSE_SE_EEES9_SG_JZNS1_25segmented_radix_sort_implINS0_14default_configELb0EPKaPaPKlPlN2at6native12_GLOBAL__N_18offset_tEEE10hipError_tPvRmT1_PNSt15iterator_traitsISY_E10value_typeET2_T3_PNSZ_IS14_E10value_typeET4_jRbjT5_S1A_jjP12ihipStream_tbEUljE_EEESV_SW_SX_S14_S18_S1A_T6_T7_T9_mT8_S1C_bDpT10_ENKUlT_T0_E_clISt17integral_constantIbLb1EES1P_EEDaS1K_S1L_EUlS1K_E_NS1_11comp_targetILNS1_3genE10ELNS1_11target_archE1200ELNS1_3gpuE4ELNS1_3repE0EEENS1_30default_config_static_selectorELNS0_4arch9wavefront6targetE1EEEvSY_,"axG",@progbits,_ZN7rocprim17ROCPRIM_400000_NS6detail17trampoline_kernelINS0_13select_configILj256ELj13ELNS0_17block_load_methodE3ELS4_3ELS4_3ELNS0_20block_scan_algorithmE0ELj4294967295EEENS1_25partition_config_selectorILNS1_17partition_subalgoE3EjNS0_10empty_typeEbEEZZNS1_14partition_implILS8_3ELb0ES6_jNS0_17counting_iteratorIjlEEPS9_SE_NS0_5tupleIJPjSE_EEENSF_IJSE_SE_EEES9_SG_JZNS1_25segmented_radix_sort_implINS0_14default_configELb0EPKaPaPKlPlN2at6native12_GLOBAL__N_18offset_tEEE10hipError_tPvRmT1_PNSt15iterator_traitsISY_E10value_typeET2_T3_PNSZ_IS14_E10value_typeET4_jRbjT5_S1A_jjP12ihipStream_tbEUljE_EEESV_SW_SX_S14_S18_S1A_T6_T7_T9_mT8_S1C_bDpT10_ENKUlT_T0_E_clISt17integral_constantIbLb1EES1P_EEDaS1K_S1L_EUlS1K_E_NS1_11comp_targetILNS1_3genE10ELNS1_11target_archE1200ELNS1_3gpuE4ELNS1_3repE0EEENS1_30default_config_static_selectorELNS0_4arch9wavefront6targetE1EEEvSY_,comdat
	.globl	_ZN7rocprim17ROCPRIM_400000_NS6detail17trampoline_kernelINS0_13select_configILj256ELj13ELNS0_17block_load_methodE3ELS4_3ELS4_3ELNS0_20block_scan_algorithmE0ELj4294967295EEENS1_25partition_config_selectorILNS1_17partition_subalgoE3EjNS0_10empty_typeEbEEZZNS1_14partition_implILS8_3ELb0ES6_jNS0_17counting_iteratorIjlEEPS9_SE_NS0_5tupleIJPjSE_EEENSF_IJSE_SE_EEES9_SG_JZNS1_25segmented_radix_sort_implINS0_14default_configELb0EPKaPaPKlPlN2at6native12_GLOBAL__N_18offset_tEEE10hipError_tPvRmT1_PNSt15iterator_traitsISY_E10value_typeET2_T3_PNSZ_IS14_E10value_typeET4_jRbjT5_S1A_jjP12ihipStream_tbEUljE_EEESV_SW_SX_S14_S18_S1A_T6_T7_T9_mT8_S1C_bDpT10_ENKUlT_T0_E_clISt17integral_constantIbLb1EES1P_EEDaS1K_S1L_EUlS1K_E_NS1_11comp_targetILNS1_3genE10ELNS1_11target_archE1200ELNS1_3gpuE4ELNS1_3repE0EEENS1_30default_config_static_selectorELNS0_4arch9wavefront6targetE1EEEvSY_ ; -- Begin function _ZN7rocprim17ROCPRIM_400000_NS6detail17trampoline_kernelINS0_13select_configILj256ELj13ELNS0_17block_load_methodE3ELS4_3ELS4_3ELNS0_20block_scan_algorithmE0ELj4294967295EEENS1_25partition_config_selectorILNS1_17partition_subalgoE3EjNS0_10empty_typeEbEEZZNS1_14partition_implILS8_3ELb0ES6_jNS0_17counting_iteratorIjlEEPS9_SE_NS0_5tupleIJPjSE_EEENSF_IJSE_SE_EEES9_SG_JZNS1_25segmented_radix_sort_implINS0_14default_configELb0EPKaPaPKlPlN2at6native12_GLOBAL__N_18offset_tEEE10hipError_tPvRmT1_PNSt15iterator_traitsISY_E10value_typeET2_T3_PNSZ_IS14_E10value_typeET4_jRbjT5_S1A_jjP12ihipStream_tbEUljE_EEESV_SW_SX_S14_S18_S1A_T6_T7_T9_mT8_S1C_bDpT10_ENKUlT_T0_E_clISt17integral_constantIbLb1EES1P_EEDaS1K_S1L_EUlS1K_E_NS1_11comp_targetILNS1_3genE10ELNS1_11target_archE1200ELNS1_3gpuE4ELNS1_3repE0EEENS1_30default_config_static_selectorELNS0_4arch9wavefront6targetE1EEEvSY_
	.p2align	8
	.type	_ZN7rocprim17ROCPRIM_400000_NS6detail17trampoline_kernelINS0_13select_configILj256ELj13ELNS0_17block_load_methodE3ELS4_3ELS4_3ELNS0_20block_scan_algorithmE0ELj4294967295EEENS1_25partition_config_selectorILNS1_17partition_subalgoE3EjNS0_10empty_typeEbEEZZNS1_14partition_implILS8_3ELb0ES6_jNS0_17counting_iteratorIjlEEPS9_SE_NS0_5tupleIJPjSE_EEENSF_IJSE_SE_EEES9_SG_JZNS1_25segmented_radix_sort_implINS0_14default_configELb0EPKaPaPKlPlN2at6native12_GLOBAL__N_18offset_tEEE10hipError_tPvRmT1_PNSt15iterator_traitsISY_E10value_typeET2_T3_PNSZ_IS14_E10value_typeET4_jRbjT5_S1A_jjP12ihipStream_tbEUljE_EEESV_SW_SX_S14_S18_S1A_T6_T7_T9_mT8_S1C_bDpT10_ENKUlT_T0_E_clISt17integral_constantIbLb1EES1P_EEDaS1K_S1L_EUlS1K_E_NS1_11comp_targetILNS1_3genE10ELNS1_11target_archE1200ELNS1_3gpuE4ELNS1_3repE0EEENS1_30default_config_static_selectorELNS0_4arch9wavefront6targetE1EEEvSY_,@function
_ZN7rocprim17ROCPRIM_400000_NS6detail17trampoline_kernelINS0_13select_configILj256ELj13ELNS0_17block_load_methodE3ELS4_3ELS4_3ELNS0_20block_scan_algorithmE0ELj4294967295EEENS1_25partition_config_selectorILNS1_17partition_subalgoE3EjNS0_10empty_typeEbEEZZNS1_14partition_implILS8_3ELb0ES6_jNS0_17counting_iteratorIjlEEPS9_SE_NS0_5tupleIJPjSE_EEENSF_IJSE_SE_EEES9_SG_JZNS1_25segmented_radix_sort_implINS0_14default_configELb0EPKaPaPKlPlN2at6native12_GLOBAL__N_18offset_tEEE10hipError_tPvRmT1_PNSt15iterator_traitsISY_E10value_typeET2_T3_PNSZ_IS14_E10value_typeET4_jRbjT5_S1A_jjP12ihipStream_tbEUljE_EEESV_SW_SX_S14_S18_S1A_T6_T7_T9_mT8_S1C_bDpT10_ENKUlT_T0_E_clISt17integral_constantIbLb1EES1P_EEDaS1K_S1L_EUlS1K_E_NS1_11comp_targetILNS1_3genE10ELNS1_11target_archE1200ELNS1_3gpuE4ELNS1_3repE0EEENS1_30default_config_static_selectorELNS0_4arch9wavefront6targetE1EEEvSY_: ; @_ZN7rocprim17ROCPRIM_400000_NS6detail17trampoline_kernelINS0_13select_configILj256ELj13ELNS0_17block_load_methodE3ELS4_3ELS4_3ELNS0_20block_scan_algorithmE0ELj4294967295EEENS1_25partition_config_selectorILNS1_17partition_subalgoE3EjNS0_10empty_typeEbEEZZNS1_14partition_implILS8_3ELb0ES6_jNS0_17counting_iteratorIjlEEPS9_SE_NS0_5tupleIJPjSE_EEENSF_IJSE_SE_EEES9_SG_JZNS1_25segmented_radix_sort_implINS0_14default_configELb0EPKaPaPKlPlN2at6native12_GLOBAL__N_18offset_tEEE10hipError_tPvRmT1_PNSt15iterator_traitsISY_E10value_typeET2_T3_PNSZ_IS14_E10value_typeET4_jRbjT5_S1A_jjP12ihipStream_tbEUljE_EEESV_SW_SX_S14_S18_S1A_T6_T7_T9_mT8_S1C_bDpT10_ENKUlT_T0_E_clISt17integral_constantIbLb1EES1P_EEDaS1K_S1L_EUlS1K_E_NS1_11comp_targetILNS1_3genE10ELNS1_11target_archE1200ELNS1_3gpuE4ELNS1_3repE0EEENS1_30default_config_static_selectorELNS0_4arch9wavefront6targetE1EEEvSY_
; %bb.0:
	.section	.rodata,"a",@progbits
	.p2align	6, 0x0
	.amdhsa_kernel _ZN7rocprim17ROCPRIM_400000_NS6detail17trampoline_kernelINS0_13select_configILj256ELj13ELNS0_17block_load_methodE3ELS4_3ELS4_3ELNS0_20block_scan_algorithmE0ELj4294967295EEENS1_25partition_config_selectorILNS1_17partition_subalgoE3EjNS0_10empty_typeEbEEZZNS1_14partition_implILS8_3ELb0ES6_jNS0_17counting_iteratorIjlEEPS9_SE_NS0_5tupleIJPjSE_EEENSF_IJSE_SE_EEES9_SG_JZNS1_25segmented_radix_sort_implINS0_14default_configELb0EPKaPaPKlPlN2at6native12_GLOBAL__N_18offset_tEEE10hipError_tPvRmT1_PNSt15iterator_traitsISY_E10value_typeET2_T3_PNSZ_IS14_E10value_typeET4_jRbjT5_S1A_jjP12ihipStream_tbEUljE_EEESV_SW_SX_S14_S18_S1A_T6_T7_T9_mT8_S1C_bDpT10_ENKUlT_T0_E_clISt17integral_constantIbLb1EES1P_EEDaS1K_S1L_EUlS1K_E_NS1_11comp_targetILNS1_3genE10ELNS1_11target_archE1200ELNS1_3gpuE4ELNS1_3repE0EEENS1_30default_config_static_selectorELNS0_4arch9wavefront6targetE1EEEvSY_
		.amdhsa_group_segment_fixed_size 0
		.amdhsa_private_segment_fixed_size 0
		.amdhsa_kernarg_size 152
		.amdhsa_user_sgpr_count 6
		.amdhsa_user_sgpr_private_segment_buffer 1
		.amdhsa_user_sgpr_dispatch_ptr 0
		.amdhsa_user_sgpr_queue_ptr 0
		.amdhsa_user_sgpr_kernarg_segment_ptr 1
		.amdhsa_user_sgpr_dispatch_id 0
		.amdhsa_user_sgpr_flat_scratch_init 0
		.amdhsa_user_sgpr_private_segment_size 0
		.amdhsa_uses_dynamic_stack 0
		.amdhsa_system_sgpr_private_segment_wavefront_offset 0
		.amdhsa_system_sgpr_workgroup_id_x 1
		.amdhsa_system_sgpr_workgroup_id_y 0
		.amdhsa_system_sgpr_workgroup_id_z 0
		.amdhsa_system_sgpr_workgroup_info 0
		.amdhsa_system_vgpr_workitem_id 0
		.amdhsa_next_free_vgpr 1
		.amdhsa_next_free_sgpr 0
		.amdhsa_reserve_vcc 0
		.amdhsa_reserve_flat_scratch 0
		.amdhsa_float_round_mode_32 0
		.amdhsa_float_round_mode_16_64 0
		.amdhsa_float_denorm_mode_32 3
		.amdhsa_float_denorm_mode_16_64 3
		.amdhsa_dx10_clamp 1
		.amdhsa_ieee_mode 1
		.amdhsa_fp16_overflow 0
		.amdhsa_exception_fp_ieee_invalid_op 0
		.amdhsa_exception_fp_denorm_src 0
		.amdhsa_exception_fp_ieee_div_zero 0
		.amdhsa_exception_fp_ieee_overflow 0
		.amdhsa_exception_fp_ieee_underflow 0
		.amdhsa_exception_fp_ieee_inexact 0
		.amdhsa_exception_int_div_zero 0
	.end_amdhsa_kernel
	.section	.text._ZN7rocprim17ROCPRIM_400000_NS6detail17trampoline_kernelINS0_13select_configILj256ELj13ELNS0_17block_load_methodE3ELS4_3ELS4_3ELNS0_20block_scan_algorithmE0ELj4294967295EEENS1_25partition_config_selectorILNS1_17partition_subalgoE3EjNS0_10empty_typeEbEEZZNS1_14partition_implILS8_3ELb0ES6_jNS0_17counting_iteratorIjlEEPS9_SE_NS0_5tupleIJPjSE_EEENSF_IJSE_SE_EEES9_SG_JZNS1_25segmented_radix_sort_implINS0_14default_configELb0EPKaPaPKlPlN2at6native12_GLOBAL__N_18offset_tEEE10hipError_tPvRmT1_PNSt15iterator_traitsISY_E10value_typeET2_T3_PNSZ_IS14_E10value_typeET4_jRbjT5_S1A_jjP12ihipStream_tbEUljE_EEESV_SW_SX_S14_S18_S1A_T6_T7_T9_mT8_S1C_bDpT10_ENKUlT_T0_E_clISt17integral_constantIbLb1EES1P_EEDaS1K_S1L_EUlS1K_E_NS1_11comp_targetILNS1_3genE10ELNS1_11target_archE1200ELNS1_3gpuE4ELNS1_3repE0EEENS1_30default_config_static_selectorELNS0_4arch9wavefront6targetE1EEEvSY_,"axG",@progbits,_ZN7rocprim17ROCPRIM_400000_NS6detail17trampoline_kernelINS0_13select_configILj256ELj13ELNS0_17block_load_methodE3ELS4_3ELS4_3ELNS0_20block_scan_algorithmE0ELj4294967295EEENS1_25partition_config_selectorILNS1_17partition_subalgoE3EjNS0_10empty_typeEbEEZZNS1_14partition_implILS8_3ELb0ES6_jNS0_17counting_iteratorIjlEEPS9_SE_NS0_5tupleIJPjSE_EEENSF_IJSE_SE_EEES9_SG_JZNS1_25segmented_radix_sort_implINS0_14default_configELb0EPKaPaPKlPlN2at6native12_GLOBAL__N_18offset_tEEE10hipError_tPvRmT1_PNSt15iterator_traitsISY_E10value_typeET2_T3_PNSZ_IS14_E10value_typeET4_jRbjT5_S1A_jjP12ihipStream_tbEUljE_EEESV_SW_SX_S14_S18_S1A_T6_T7_T9_mT8_S1C_bDpT10_ENKUlT_T0_E_clISt17integral_constantIbLb1EES1P_EEDaS1K_S1L_EUlS1K_E_NS1_11comp_targetILNS1_3genE10ELNS1_11target_archE1200ELNS1_3gpuE4ELNS1_3repE0EEENS1_30default_config_static_selectorELNS0_4arch9wavefront6targetE1EEEvSY_,comdat
.Lfunc_end374:
	.size	_ZN7rocprim17ROCPRIM_400000_NS6detail17trampoline_kernelINS0_13select_configILj256ELj13ELNS0_17block_load_methodE3ELS4_3ELS4_3ELNS0_20block_scan_algorithmE0ELj4294967295EEENS1_25partition_config_selectorILNS1_17partition_subalgoE3EjNS0_10empty_typeEbEEZZNS1_14partition_implILS8_3ELb0ES6_jNS0_17counting_iteratorIjlEEPS9_SE_NS0_5tupleIJPjSE_EEENSF_IJSE_SE_EEES9_SG_JZNS1_25segmented_radix_sort_implINS0_14default_configELb0EPKaPaPKlPlN2at6native12_GLOBAL__N_18offset_tEEE10hipError_tPvRmT1_PNSt15iterator_traitsISY_E10value_typeET2_T3_PNSZ_IS14_E10value_typeET4_jRbjT5_S1A_jjP12ihipStream_tbEUljE_EEESV_SW_SX_S14_S18_S1A_T6_T7_T9_mT8_S1C_bDpT10_ENKUlT_T0_E_clISt17integral_constantIbLb1EES1P_EEDaS1K_S1L_EUlS1K_E_NS1_11comp_targetILNS1_3genE10ELNS1_11target_archE1200ELNS1_3gpuE4ELNS1_3repE0EEENS1_30default_config_static_selectorELNS0_4arch9wavefront6targetE1EEEvSY_, .Lfunc_end374-_ZN7rocprim17ROCPRIM_400000_NS6detail17trampoline_kernelINS0_13select_configILj256ELj13ELNS0_17block_load_methodE3ELS4_3ELS4_3ELNS0_20block_scan_algorithmE0ELj4294967295EEENS1_25partition_config_selectorILNS1_17partition_subalgoE3EjNS0_10empty_typeEbEEZZNS1_14partition_implILS8_3ELb0ES6_jNS0_17counting_iteratorIjlEEPS9_SE_NS0_5tupleIJPjSE_EEENSF_IJSE_SE_EEES9_SG_JZNS1_25segmented_radix_sort_implINS0_14default_configELb0EPKaPaPKlPlN2at6native12_GLOBAL__N_18offset_tEEE10hipError_tPvRmT1_PNSt15iterator_traitsISY_E10value_typeET2_T3_PNSZ_IS14_E10value_typeET4_jRbjT5_S1A_jjP12ihipStream_tbEUljE_EEESV_SW_SX_S14_S18_S1A_T6_T7_T9_mT8_S1C_bDpT10_ENKUlT_T0_E_clISt17integral_constantIbLb1EES1P_EEDaS1K_S1L_EUlS1K_E_NS1_11comp_targetILNS1_3genE10ELNS1_11target_archE1200ELNS1_3gpuE4ELNS1_3repE0EEENS1_30default_config_static_selectorELNS0_4arch9wavefront6targetE1EEEvSY_
                                        ; -- End function
	.set _ZN7rocprim17ROCPRIM_400000_NS6detail17trampoline_kernelINS0_13select_configILj256ELj13ELNS0_17block_load_methodE3ELS4_3ELS4_3ELNS0_20block_scan_algorithmE0ELj4294967295EEENS1_25partition_config_selectorILNS1_17partition_subalgoE3EjNS0_10empty_typeEbEEZZNS1_14partition_implILS8_3ELb0ES6_jNS0_17counting_iteratorIjlEEPS9_SE_NS0_5tupleIJPjSE_EEENSF_IJSE_SE_EEES9_SG_JZNS1_25segmented_radix_sort_implINS0_14default_configELb0EPKaPaPKlPlN2at6native12_GLOBAL__N_18offset_tEEE10hipError_tPvRmT1_PNSt15iterator_traitsISY_E10value_typeET2_T3_PNSZ_IS14_E10value_typeET4_jRbjT5_S1A_jjP12ihipStream_tbEUljE_EEESV_SW_SX_S14_S18_S1A_T6_T7_T9_mT8_S1C_bDpT10_ENKUlT_T0_E_clISt17integral_constantIbLb1EES1P_EEDaS1K_S1L_EUlS1K_E_NS1_11comp_targetILNS1_3genE10ELNS1_11target_archE1200ELNS1_3gpuE4ELNS1_3repE0EEENS1_30default_config_static_selectorELNS0_4arch9wavefront6targetE1EEEvSY_.num_vgpr, 0
	.set _ZN7rocprim17ROCPRIM_400000_NS6detail17trampoline_kernelINS0_13select_configILj256ELj13ELNS0_17block_load_methodE3ELS4_3ELS4_3ELNS0_20block_scan_algorithmE0ELj4294967295EEENS1_25partition_config_selectorILNS1_17partition_subalgoE3EjNS0_10empty_typeEbEEZZNS1_14partition_implILS8_3ELb0ES6_jNS0_17counting_iteratorIjlEEPS9_SE_NS0_5tupleIJPjSE_EEENSF_IJSE_SE_EEES9_SG_JZNS1_25segmented_radix_sort_implINS0_14default_configELb0EPKaPaPKlPlN2at6native12_GLOBAL__N_18offset_tEEE10hipError_tPvRmT1_PNSt15iterator_traitsISY_E10value_typeET2_T3_PNSZ_IS14_E10value_typeET4_jRbjT5_S1A_jjP12ihipStream_tbEUljE_EEESV_SW_SX_S14_S18_S1A_T6_T7_T9_mT8_S1C_bDpT10_ENKUlT_T0_E_clISt17integral_constantIbLb1EES1P_EEDaS1K_S1L_EUlS1K_E_NS1_11comp_targetILNS1_3genE10ELNS1_11target_archE1200ELNS1_3gpuE4ELNS1_3repE0EEENS1_30default_config_static_selectorELNS0_4arch9wavefront6targetE1EEEvSY_.num_agpr, 0
	.set _ZN7rocprim17ROCPRIM_400000_NS6detail17trampoline_kernelINS0_13select_configILj256ELj13ELNS0_17block_load_methodE3ELS4_3ELS4_3ELNS0_20block_scan_algorithmE0ELj4294967295EEENS1_25partition_config_selectorILNS1_17partition_subalgoE3EjNS0_10empty_typeEbEEZZNS1_14partition_implILS8_3ELb0ES6_jNS0_17counting_iteratorIjlEEPS9_SE_NS0_5tupleIJPjSE_EEENSF_IJSE_SE_EEES9_SG_JZNS1_25segmented_radix_sort_implINS0_14default_configELb0EPKaPaPKlPlN2at6native12_GLOBAL__N_18offset_tEEE10hipError_tPvRmT1_PNSt15iterator_traitsISY_E10value_typeET2_T3_PNSZ_IS14_E10value_typeET4_jRbjT5_S1A_jjP12ihipStream_tbEUljE_EEESV_SW_SX_S14_S18_S1A_T6_T7_T9_mT8_S1C_bDpT10_ENKUlT_T0_E_clISt17integral_constantIbLb1EES1P_EEDaS1K_S1L_EUlS1K_E_NS1_11comp_targetILNS1_3genE10ELNS1_11target_archE1200ELNS1_3gpuE4ELNS1_3repE0EEENS1_30default_config_static_selectorELNS0_4arch9wavefront6targetE1EEEvSY_.numbered_sgpr, 0
	.set _ZN7rocprim17ROCPRIM_400000_NS6detail17trampoline_kernelINS0_13select_configILj256ELj13ELNS0_17block_load_methodE3ELS4_3ELS4_3ELNS0_20block_scan_algorithmE0ELj4294967295EEENS1_25partition_config_selectorILNS1_17partition_subalgoE3EjNS0_10empty_typeEbEEZZNS1_14partition_implILS8_3ELb0ES6_jNS0_17counting_iteratorIjlEEPS9_SE_NS0_5tupleIJPjSE_EEENSF_IJSE_SE_EEES9_SG_JZNS1_25segmented_radix_sort_implINS0_14default_configELb0EPKaPaPKlPlN2at6native12_GLOBAL__N_18offset_tEEE10hipError_tPvRmT1_PNSt15iterator_traitsISY_E10value_typeET2_T3_PNSZ_IS14_E10value_typeET4_jRbjT5_S1A_jjP12ihipStream_tbEUljE_EEESV_SW_SX_S14_S18_S1A_T6_T7_T9_mT8_S1C_bDpT10_ENKUlT_T0_E_clISt17integral_constantIbLb1EES1P_EEDaS1K_S1L_EUlS1K_E_NS1_11comp_targetILNS1_3genE10ELNS1_11target_archE1200ELNS1_3gpuE4ELNS1_3repE0EEENS1_30default_config_static_selectorELNS0_4arch9wavefront6targetE1EEEvSY_.num_named_barrier, 0
	.set _ZN7rocprim17ROCPRIM_400000_NS6detail17trampoline_kernelINS0_13select_configILj256ELj13ELNS0_17block_load_methodE3ELS4_3ELS4_3ELNS0_20block_scan_algorithmE0ELj4294967295EEENS1_25partition_config_selectorILNS1_17partition_subalgoE3EjNS0_10empty_typeEbEEZZNS1_14partition_implILS8_3ELb0ES6_jNS0_17counting_iteratorIjlEEPS9_SE_NS0_5tupleIJPjSE_EEENSF_IJSE_SE_EEES9_SG_JZNS1_25segmented_radix_sort_implINS0_14default_configELb0EPKaPaPKlPlN2at6native12_GLOBAL__N_18offset_tEEE10hipError_tPvRmT1_PNSt15iterator_traitsISY_E10value_typeET2_T3_PNSZ_IS14_E10value_typeET4_jRbjT5_S1A_jjP12ihipStream_tbEUljE_EEESV_SW_SX_S14_S18_S1A_T6_T7_T9_mT8_S1C_bDpT10_ENKUlT_T0_E_clISt17integral_constantIbLb1EES1P_EEDaS1K_S1L_EUlS1K_E_NS1_11comp_targetILNS1_3genE10ELNS1_11target_archE1200ELNS1_3gpuE4ELNS1_3repE0EEENS1_30default_config_static_selectorELNS0_4arch9wavefront6targetE1EEEvSY_.private_seg_size, 0
	.set _ZN7rocprim17ROCPRIM_400000_NS6detail17trampoline_kernelINS0_13select_configILj256ELj13ELNS0_17block_load_methodE3ELS4_3ELS4_3ELNS0_20block_scan_algorithmE0ELj4294967295EEENS1_25partition_config_selectorILNS1_17partition_subalgoE3EjNS0_10empty_typeEbEEZZNS1_14partition_implILS8_3ELb0ES6_jNS0_17counting_iteratorIjlEEPS9_SE_NS0_5tupleIJPjSE_EEENSF_IJSE_SE_EEES9_SG_JZNS1_25segmented_radix_sort_implINS0_14default_configELb0EPKaPaPKlPlN2at6native12_GLOBAL__N_18offset_tEEE10hipError_tPvRmT1_PNSt15iterator_traitsISY_E10value_typeET2_T3_PNSZ_IS14_E10value_typeET4_jRbjT5_S1A_jjP12ihipStream_tbEUljE_EEESV_SW_SX_S14_S18_S1A_T6_T7_T9_mT8_S1C_bDpT10_ENKUlT_T0_E_clISt17integral_constantIbLb1EES1P_EEDaS1K_S1L_EUlS1K_E_NS1_11comp_targetILNS1_3genE10ELNS1_11target_archE1200ELNS1_3gpuE4ELNS1_3repE0EEENS1_30default_config_static_selectorELNS0_4arch9wavefront6targetE1EEEvSY_.uses_vcc, 0
	.set _ZN7rocprim17ROCPRIM_400000_NS6detail17trampoline_kernelINS0_13select_configILj256ELj13ELNS0_17block_load_methodE3ELS4_3ELS4_3ELNS0_20block_scan_algorithmE0ELj4294967295EEENS1_25partition_config_selectorILNS1_17partition_subalgoE3EjNS0_10empty_typeEbEEZZNS1_14partition_implILS8_3ELb0ES6_jNS0_17counting_iteratorIjlEEPS9_SE_NS0_5tupleIJPjSE_EEENSF_IJSE_SE_EEES9_SG_JZNS1_25segmented_radix_sort_implINS0_14default_configELb0EPKaPaPKlPlN2at6native12_GLOBAL__N_18offset_tEEE10hipError_tPvRmT1_PNSt15iterator_traitsISY_E10value_typeET2_T3_PNSZ_IS14_E10value_typeET4_jRbjT5_S1A_jjP12ihipStream_tbEUljE_EEESV_SW_SX_S14_S18_S1A_T6_T7_T9_mT8_S1C_bDpT10_ENKUlT_T0_E_clISt17integral_constantIbLb1EES1P_EEDaS1K_S1L_EUlS1K_E_NS1_11comp_targetILNS1_3genE10ELNS1_11target_archE1200ELNS1_3gpuE4ELNS1_3repE0EEENS1_30default_config_static_selectorELNS0_4arch9wavefront6targetE1EEEvSY_.uses_flat_scratch, 0
	.set _ZN7rocprim17ROCPRIM_400000_NS6detail17trampoline_kernelINS0_13select_configILj256ELj13ELNS0_17block_load_methodE3ELS4_3ELS4_3ELNS0_20block_scan_algorithmE0ELj4294967295EEENS1_25partition_config_selectorILNS1_17partition_subalgoE3EjNS0_10empty_typeEbEEZZNS1_14partition_implILS8_3ELb0ES6_jNS0_17counting_iteratorIjlEEPS9_SE_NS0_5tupleIJPjSE_EEENSF_IJSE_SE_EEES9_SG_JZNS1_25segmented_radix_sort_implINS0_14default_configELb0EPKaPaPKlPlN2at6native12_GLOBAL__N_18offset_tEEE10hipError_tPvRmT1_PNSt15iterator_traitsISY_E10value_typeET2_T3_PNSZ_IS14_E10value_typeET4_jRbjT5_S1A_jjP12ihipStream_tbEUljE_EEESV_SW_SX_S14_S18_S1A_T6_T7_T9_mT8_S1C_bDpT10_ENKUlT_T0_E_clISt17integral_constantIbLb1EES1P_EEDaS1K_S1L_EUlS1K_E_NS1_11comp_targetILNS1_3genE10ELNS1_11target_archE1200ELNS1_3gpuE4ELNS1_3repE0EEENS1_30default_config_static_selectorELNS0_4arch9wavefront6targetE1EEEvSY_.has_dyn_sized_stack, 0
	.set _ZN7rocprim17ROCPRIM_400000_NS6detail17trampoline_kernelINS0_13select_configILj256ELj13ELNS0_17block_load_methodE3ELS4_3ELS4_3ELNS0_20block_scan_algorithmE0ELj4294967295EEENS1_25partition_config_selectorILNS1_17partition_subalgoE3EjNS0_10empty_typeEbEEZZNS1_14partition_implILS8_3ELb0ES6_jNS0_17counting_iteratorIjlEEPS9_SE_NS0_5tupleIJPjSE_EEENSF_IJSE_SE_EEES9_SG_JZNS1_25segmented_radix_sort_implINS0_14default_configELb0EPKaPaPKlPlN2at6native12_GLOBAL__N_18offset_tEEE10hipError_tPvRmT1_PNSt15iterator_traitsISY_E10value_typeET2_T3_PNSZ_IS14_E10value_typeET4_jRbjT5_S1A_jjP12ihipStream_tbEUljE_EEESV_SW_SX_S14_S18_S1A_T6_T7_T9_mT8_S1C_bDpT10_ENKUlT_T0_E_clISt17integral_constantIbLb1EES1P_EEDaS1K_S1L_EUlS1K_E_NS1_11comp_targetILNS1_3genE10ELNS1_11target_archE1200ELNS1_3gpuE4ELNS1_3repE0EEENS1_30default_config_static_selectorELNS0_4arch9wavefront6targetE1EEEvSY_.has_recursion, 0
	.set _ZN7rocprim17ROCPRIM_400000_NS6detail17trampoline_kernelINS0_13select_configILj256ELj13ELNS0_17block_load_methodE3ELS4_3ELS4_3ELNS0_20block_scan_algorithmE0ELj4294967295EEENS1_25partition_config_selectorILNS1_17partition_subalgoE3EjNS0_10empty_typeEbEEZZNS1_14partition_implILS8_3ELb0ES6_jNS0_17counting_iteratorIjlEEPS9_SE_NS0_5tupleIJPjSE_EEENSF_IJSE_SE_EEES9_SG_JZNS1_25segmented_radix_sort_implINS0_14default_configELb0EPKaPaPKlPlN2at6native12_GLOBAL__N_18offset_tEEE10hipError_tPvRmT1_PNSt15iterator_traitsISY_E10value_typeET2_T3_PNSZ_IS14_E10value_typeET4_jRbjT5_S1A_jjP12ihipStream_tbEUljE_EEESV_SW_SX_S14_S18_S1A_T6_T7_T9_mT8_S1C_bDpT10_ENKUlT_T0_E_clISt17integral_constantIbLb1EES1P_EEDaS1K_S1L_EUlS1K_E_NS1_11comp_targetILNS1_3genE10ELNS1_11target_archE1200ELNS1_3gpuE4ELNS1_3repE0EEENS1_30default_config_static_selectorELNS0_4arch9wavefront6targetE1EEEvSY_.has_indirect_call, 0
	.section	.AMDGPU.csdata,"",@progbits
; Kernel info:
; codeLenInByte = 0
; TotalNumSgprs: 4
; NumVgprs: 0
; ScratchSize: 0
; MemoryBound: 0
; FloatMode: 240
; IeeeMode: 1
; LDSByteSize: 0 bytes/workgroup (compile time only)
; SGPRBlocks: 0
; VGPRBlocks: 0
; NumSGPRsForWavesPerEU: 4
; NumVGPRsForWavesPerEU: 1
; Occupancy: 10
; WaveLimiterHint : 0
; COMPUTE_PGM_RSRC2:SCRATCH_EN: 0
; COMPUTE_PGM_RSRC2:USER_SGPR: 6
; COMPUTE_PGM_RSRC2:TRAP_HANDLER: 0
; COMPUTE_PGM_RSRC2:TGID_X_EN: 1
; COMPUTE_PGM_RSRC2:TGID_Y_EN: 0
; COMPUTE_PGM_RSRC2:TGID_Z_EN: 0
; COMPUTE_PGM_RSRC2:TIDIG_COMP_CNT: 0
	.section	.text._ZN7rocprim17ROCPRIM_400000_NS6detail17trampoline_kernelINS0_13select_configILj256ELj13ELNS0_17block_load_methodE3ELS4_3ELS4_3ELNS0_20block_scan_algorithmE0ELj4294967295EEENS1_25partition_config_selectorILNS1_17partition_subalgoE3EjNS0_10empty_typeEbEEZZNS1_14partition_implILS8_3ELb0ES6_jNS0_17counting_iteratorIjlEEPS9_SE_NS0_5tupleIJPjSE_EEENSF_IJSE_SE_EEES9_SG_JZNS1_25segmented_radix_sort_implINS0_14default_configELb0EPKaPaPKlPlN2at6native12_GLOBAL__N_18offset_tEEE10hipError_tPvRmT1_PNSt15iterator_traitsISY_E10value_typeET2_T3_PNSZ_IS14_E10value_typeET4_jRbjT5_S1A_jjP12ihipStream_tbEUljE_EEESV_SW_SX_S14_S18_S1A_T6_T7_T9_mT8_S1C_bDpT10_ENKUlT_T0_E_clISt17integral_constantIbLb1EES1P_EEDaS1K_S1L_EUlS1K_E_NS1_11comp_targetILNS1_3genE9ELNS1_11target_archE1100ELNS1_3gpuE3ELNS1_3repE0EEENS1_30default_config_static_selectorELNS0_4arch9wavefront6targetE1EEEvSY_,"axG",@progbits,_ZN7rocprim17ROCPRIM_400000_NS6detail17trampoline_kernelINS0_13select_configILj256ELj13ELNS0_17block_load_methodE3ELS4_3ELS4_3ELNS0_20block_scan_algorithmE0ELj4294967295EEENS1_25partition_config_selectorILNS1_17partition_subalgoE3EjNS0_10empty_typeEbEEZZNS1_14partition_implILS8_3ELb0ES6_jNS0_17counting_iteratorIjlEEPS9_SE_NS0_5tupleIJPjSE_EEENSF_IJSE_SE_EEES9_SG_JZNS1_25segmented_radix_sort_implINS0_14default_configELb0EPKaPaPKlPlN2at6native12_GLOBAL__N_18offset_tEEE10hipError_tPvRmT1_PNSt15iterator_traitsISY_E10value_typeET2_T3_PNSZ_IS14_E10value_typeET4_jRbjT5_S1A_jjP12ihipStream_tbEUljE_EEESV_SW_SX_S14_S18_S1A_T6_T7_T9_mT8_S1C_bDpT10_ENKUlT_T0_E_clISt17integral_constantIbLb1EES1P_EEDaS1K_S1L_EUlS1K_E_NS1_11comp_targetILNS1_3genE9ELNS1_11target_archE1100ELNS1_3gpuE3ELNS1_3repE0EEENS1_30default_config_static_selectorELNS0_4arch9wavefront6targetE1EEEvSY_,comdat
	.globl	_ZN7rocprim17ROCPRIM_400000_NS6detail17trampoline_kernelINS0_13select_configILj256ELj13ELNS0_17block_load_methodE3ELS4_3ELS4_3ELNS0_20block_scan_algorithmE0ELj4294967295EEENS1_25partition_config_selectorILNS1_17partition_subalgoE3EjNS0_10empty_typeEbEEZZNS1_14partition_implILS8_3ELb0ES6_jNS0_17counting_iteratorIjlEEPS9_SE_NS0_5tupleIJPjSE_EEENSF_IJSE_SE_EEES9_SG_JZNS1_25segmented_radix_sort_implINS0_14default_configELb0EPKaPaPKlPlN2at6native12_GLOBAL__N_18offset_tEEE10hipError_tPvRmT1_PNSt15iterator_traitsISY_E10value_typeET2_T3_PNSZ_IS14_E10value_typeET4_jRbjT5_S1A_jjP12ihipStream_tbEUljE_EEESV_SW_SX_S14_S18_S1A_T6_T7_T9_mT8_S1C_bDpT10_ENKUlT_T0_E_clISt17integral_constantIbLb1EES1P_EEDaS1K_S1L_EUlS1K_E_NS1_11comp_targetILNS1_3genE9ELNS1_11target_archE1100ELNS1_3gpuE3ELNS1_3repE0EEENS1_30default_config_static_selectorELNS0_4arch9wavefront6targetE1EEEvSY_ ; -- Begin function _ZN7rocprim17ROCPRIM_400000_NS6detail17trampoline_kernelINS0_13select_configILj256ELj13ELNS0_17block_load_methodE3ELS4_3ELS4_3ELNS0_20block_scan_algorithmE0ELj4294967295EEENS1_25partition_config_selectorILNS1_17partition_subalgoE3EjNS0_10empty_typeEbEEZZNS1_14partition_implILS8_3ELb0ES6_jNS0_17counting_iteratorIjlEEPS9_SE_NS0_5tupleIJPjSE_EEENSF_IJSE_SE_EEES9_SG_JZNS1_25segmented_radix_sort_implINS0_14default_configELb0EPKaPaPKlPlN2at6native12_GLOBAL__N_18offset_tEEE10hipError_tPvRmT1_PNSt15iterator_traitsISY_E10value_typeET2_T3_PNSZ_IS14_E10value_typeET4_jRbjT5_S1A_jjP12ihipStream_tbEUljE_EEESV_SW_SX_S14_S18_S1A_T6_T7_T9_mT8_S1C_bDpT10_ENKUlT_T0_E_clISt17integral_constantIbLb1EES1P_EEDaS1K_S1L_EUlS1K_E_NS1_11comp_targetILNS1_3genE9ELNS1_11target_archE1100ELNS1_3gpuE3ELNS1_3repE0EEENS1_30default_config_static_selectorELNS0_4arch9wavefront6targetE1EEEvSY_
	.p2align	8
	.type	_ZN7rocprim17ROCPRIM_400000_NS6detail17trampoline_kernelINS0_13select_configILj256ELj13ELNS0_17block_load_methodE3ELS4_3ELS4_3ELNS0_20block_scan_algorithmE0ELj4294967295EEENS1_25partition_config_selectorILNS1_17partition_subalgoE3EjNS0_10empty_typeEbEEZZNS1_14partition_implILS8_3ELb0ES6_jNS0_17counting_iteratorIjlEEPS9_SE_NS0_5tupleIJPjSE_EEENSF_IJSE_SE_EEES9_SG_JZNS1_25segmented_radix_sort_implINS0_14default_configELb0EPKaPaPKlPlN2at6native12_GLOBAL__N_18offset_tEEE10hipError_tPvRmT1_PNSt15iterator_traitsISY_E10value_typeET2_T3_PNSZ_IS14_E10value_typeET4_jRbjT5_S1A_jjP12ihipStream_tbEUljE_EEESV_SW_SX_S14_S18_S1A_T6_T7_T9_mT8_S1C_bDpT10_ENKUlT_T0_E_clISt17integral_constantIbLb1EES1P_EEDaS1K_S1L_EUlS1K_E_NS1_11comp_targetILNS1_3genE9ELNS1_11target_archE1100ELNS1_3gpuE3ELNS1_3repE0EEENS1_30default_config_static_selectorELNS0_4arch9wavefront6targetE1EEEvSY_,@function
_ZN7rocprim17ROCPRIM_400000_NS6detail17trampoline_kernelINS0_13select_configILj256ELj13ELNS0_17block_load_methodE3ELS4_3ELS4_3ELNS0_20block_scan_algorithmE0ELj4294967295EEENS1_25partition_config_selectorILNS1_17partition_subalgoE3EjNS0_10empty_typeEbEEZZNS1_14partition_implILS8_3ELb0ES6_jNS0_17counting_iteratorIjlEEPS9_SE_NS0_5tupleIJPjSE_EEENSF_IJSE_SE_EEES9_SG_JZNS1_25segmented_radix_sort_implINS0_14default_configELb0EPKaPaPKlPlN2at6native12_GLOBAL__N_18offset_tEEE10hipError_tPvRmT1_PNSt15iterator_traitsISY_E10value_typeET2_T3_PNSZ_IS14_E10value_typeET4_jRbjT5_S1A_jjP12ihipStream_tbEUljE_EEESV_SW_SX_S14_S18_S1A_T6_T7_T9_mT8_S1C_bDpT10_ENKUlT_T0_E_clISt17integral_constantIbLb1EES1P_EEDaS1K_S1L_EUlS1K_E_NS1_11comp_targetILNS1_3genE9ELNS1_11target_archE1100ELNS1_3gpuE3ELNS1_3repE0EEENS1_30default_config_static_selectorELNS0_4arch9wavefront6targetE1EEEvSY_: ; @_ZN7rocprim17ROCPRIM_400000_NS6detail17trampoline_kernelINS0_13select_configILj256ELj13ELNS0_17block_load_methodE3ELS4_3ELS4_3ELNS0_20block_scan_algorithmE0ELj4294967295EEENS1_25partition_config_selectorILNS1_17partition_subalgoE3EjNS0_10empty_typeEbEEZZNS1_14partition_implILS8_3ELb0ES6_jNS0_17counting_iteratorIjlEEPS9_SE_NS0_5tupleIJPjSE_EEENSF_IJSE_SE_EEES9_SG_JZNS1_25segmented_radix_sort_implINS0_14default_configELb0EPKaPaPKlPlN2at6native12_GLOBAL__N_18offset_tEEE10hipError_tPvRmT1_PNSt15iterator_traitsISY_E10value_typeET2_T3_PNSZ_IS14_E10value_typeET4_jRbjT5_S1A_jjP12ihipStream_tbEUljE_EEESV_SW_SX_S14_S18_S1A_T6_T7_T9_mT8_S1C_bDpT10_ENKUlT_T0_E_clISt17integral_constantIbLb1EES1P_EEDaS1K_S1L_EUlS1K_E_NS1_11comp_targetILNS1_3genE9ELNS1_11target_archE1100ELNS1_3gpuE3ELNS1_3repE0EEENS1_30default_config_static_selectorELNS0_4arch9wavefront6targetE1EEEvSY_
; %bb.0:
	.section	.rodata,"a",@progbits
	.p2align	6, 0x0
	.amdhsa_kernel _ZN7rocprim17ROCPRIM_400000_NS6detail17trampoline_kernelINS0_13select_configILj256ELj13ELNS0_17block_load_methodE3ELS4_3ELS4_3ELNS0_20block_scan_algorithmE0ELj4294967295EEENS1_25partition_config_selectorILNS1_17partition_subalgoE3EjNS0_10empty_typeEbEEZZNS1_14partition_implILS8_3ELb0ES6_jNS0_17counting_iteratorIjlEEPS9_SE_NS0_5tupleIJPjSE_EEENSF_IJSE_SE_EEES9_SG_JZNS1_25segmented_radix_sort_implINS0_14default_configELb0EPKaPaPKlPlN2at6native12_GLOBAL__N_18offset_tEEE10hipError_tPvRmT1_PNSt15iterator_traitsISY_E10value_typeET2_T3_PNSZ_IS14_E10value_typeET4_jRbjT5_S1A_jjP12ihipStream_tbEUljE_EEESV_SW_SX_S14_S18_S1A_T6_T7_T9_mT8_S1C_bDpT10_ENKUlT_T0_E_clISt17integral_constantIbLb1EES1P_EEDaS1K_S1L_EUlS1K_E_NS1_11comp_targetILNS1_3genE9ELNS1_11target_archE1100ELNS1_3gpuE3ELNS1_3repE0EEENS1_30default_config_static_selectorELNS0_4arch9wavefront6targetE1EEEvSY_
		.amdhsa_group_segment_fixed_size 0
		.amdhsa_private_segment_fixed_size 0
		.amdhsa_kernarg_size 152
		.amdhsa_user_sgpr_count 6
		.amdhsa_user_sgpr_private_segment_buffer 1
		.amdhsa_user_sgpr_dispatch_ptr 0
		.amdhsa_user_sgpr_queue_ptr 0
		.amdhsa_user_sgpr_kernarg_segment_ptr 1
		.amdhsa_user_sgpr_dispatch_id 0
		.amdhsa_user_sgpr_flat_scratch_init 0
		.amdhsa_user_sgpr_private_segment_size 0
		.amdhsa_uses_dynamic_stack 0
		.amdhsa_system_sgpr_private_segment_wavefront_offset 0
		.amdhsa_system_sgpr_workgroup_id_x 1
		.amdhsa_system_sgpr_workgroup_id_y 0
		.amdhsa_system_sgpr_workgroup_id_z 0
		.amdhsa_system_sgpr_workgroup_info 0
		.amdhsa_system_vgpr_workitem_id 0
		.amdhsa_next_free_vgpr 1
		.amdhsa_next_free_sgpr 0
		.amdhsa_reserve_vcc 0
		.amdhsa_reserve_flat_scratch 0
		.amdhsa_float_round_mode_32 0
		.amdhsa_float_round_mode_16_64 0
		.amdhsa_float_denorm_mode_32 3
		.amdhsa_float_denorm_mode_16_64 3
		.amdhsa_dx10_clamp 1
		.amdhsa_ieee_mode 1
		.amdhsa_fp16_overflow 0
		.amdhsa_exception_fp_ieee_invalid_op 0
		.amdhsa_exception_fp_denorm_src 0
		.amdhsa_exception_fp_ieee_div_zero 0
		.amdhsa_exception_fp_ieee_overflow 0
		.amdhsa_exception_fp_ieee_underflow 0
		.amdhsa_exception_fp_ieee_inexact 0
		.amdhsa_exception_int_div_zero 0
	.end_amdhsa_kernel
	.section	.text._ZN7rocprim17ROCPRIM_400000_NS6detail17trampoline_kernelINS0_13select_configILj256ELj13ELNS0_17block_load_methodE3ELS4_3ELS4_3ELNS0_20block_scan_algorithmE0ELj4294967295EEENS1_25partition_config_selectorILNS1_17partition_subalgoE3EjNS0_10empty_typeEbEEZZNS1_14partition_implILS8_3ELb0ES6_jNS0_17counting_iteratorIjlEEPS9_SE_NS0_5tupleIJPjSE_EEENSF_IJSE_SE_EEES9_SG_JZNS1_25segmented_radix_sort_implINS0_14default_configELb0EPKaPaPKlPlN2at6native12_GLOBAL__N_18offset_tEEE10hipError_tPvRmT1_PNSt15iterator_traitsISY_E10value_typeET2_T3_PNSZ_IS14_E10value_typeET4_jRbjT5_S1A_jjP12ihipStream_tbEUljE_EEESV_SW_SX_S14_S18_S1A_T6_T7_T9_mT8_S1C_bDpT10_ENKUlT_T0_E_clISt17integral_constantIbLb1EES1P_EEDaS1K_S1L_EUlS1K_E_NS1_11comp_targetILNS1_3genE9ELNS1_11target_archE1100ELNS1_3gpuE3ELNS1_3repE0EEENS1_30default_config_static_selectorELNS0_4arch9wavefront6targetE1EEEvSY_,"axG",@progbits,_ZN7rocprim17ROCPRIM_400000_NS6detail17trampoline_kernelINS0_13select_configILj256ELj13ELNS0_17block_load_methodE3ELS4_3ELS4_3ELNS0_20block_scan_algorithmE0ELj4294967295EEENS1_25partition_config_selectorILNS1_17partition_subalgoE3EjNS0_10empty_typeEbEEZZNS1_14partition_implILS8_3ELb0ES6_jNS0_17counting_iteratorIjlEEPS9_SE_NS0_5tupleIJPjSE_EEENSF_IJSE_SE_EEES9_SG_JZNS1_25segmented_radix_sort_implINS0_14default_configELb0EPKaPaPKlPlN2at6native12_GLOBAL__N_18offset_tEEE10hipError_tPvRmT1_PNSt15iterator_traitsISY_E10value_typeET2_T3_PNSZ_IS14_E10value_typeET4_jRbjT5_S1A_jjP12ihipStream_tbEUljE_EEESV_SW_SX_S14_S18_S1A_T6_T7_T9_mT8_S1C_bDpT10_ENKUlT_T0_E_clISt17integral_constantIbLb1EES1P_EEDaS1K_S1L_EUlS1K_E_NS1_11comp_targetILNS1_3genE9ELNS1_11target_archE1100ELNS1_3gpuE3ELNS1_3repE0EEENS1_30default_config_static_selectorELNS0_4arch9wavefront6targetE1EEEvSY_,comdat
.Lfunc_end375:
	.size	_ZN7rocprim17ROCPRIM_400000_NS6detail17trampoline_kernelINS0_13select_configILj256ELj13ELNS0_17block_load_methodE3ELS4_3ELS4_3ELNS0_20block_scan_algorithmE0ELj4294967295EEENS1_25partition_config_selectorILNS1_17partition_subalgoE3EjNS0_10empty_typeEbEEZZNS1_14partition_implILS8_3ELb0ES6_jNS0_17counting_iteratorIjlEEPS9_SE_NS0_5tupleIJPjSE_EEENSF_IJSE_SE_EEES9_SG_JZNS1_25segmented_radix_sort_implINS0_14default_configELb0EPKaPaPKlPlN2at6native12_GLOBAL__N_18offset_tEEE10hipError_tPvRmT1_PNSt15iterator_traitsISY_E10value_typeET2_T3_PNSZ_IS14_E10value_typeET4_jRbjT5_S1A_jjP12ihipStream_tbEUljE_EEESV_SW_SX_S14_S18_S1A_T6_T7_T9_mT8_S1C_bDpT10_ENKUlT_T0_E_clISt17integral_constantIbLb1EES1P_EEDaS1K_S1L_EUlS1K_E_NS1_11comp_targetILNS1_3genE9ELNS1_11target_archE1100ELNS1_3gpuE3ELNS1_3repE0EEENS1_30default_config_static_selectorELNS0_4arch9wavefront6targetE1EEEvSY_, .Lfunc_end375-_ZN7rocprim17ROCPRIM_400000_NS6detail17trampoline_kernelINS0_13select_configILj256ELj13ELNS0_17block_load_methodE3ELS4_3ELS4_3ELNS0_20block_scan_algorithmE0ELj4294967295EEENS1_25partition_config_selectorILNS1_17partition_subalgoE3EjNS0_10empty_typeEbEEZZNS1_14partition_implILS8_3ELb0ES6_jNS0_17counting_iteratorIjlEEPS9_SE_NS0_5tupleIJPjSE_EEENSF_IJSE_SE_EEES9_SG_JZNS1_25segmented_radix_sort_implINS0_14default_configELb0EPKaPaPKlPlN2at6native12_GLOBAL__N_18offset_tEEE10hipError_tPvRmT1_PNSt15iterator_traitsISY_E10value_typeET2_T3_PNSZ_IS14_E10value_typeET4_jRbjT5_S1A_jjP12ihipStream_tbEUljE_EEESV_SW_SX_S14_S18_S1A_T6_T7_T9_mT8_S1C_bDpT10_ENKUlT_T0_E_clISt17integral_constantIbLb1EES1P_EEDaS1K_S1L_EUlS1K_E_NS1_11comp_targetILNS1_3genE9ELNS1_11target_archE1100ELNS1_3gpuE3ELNS1_3repE0EEENS1_30default_config_static_selectorELNS0_4arch9wavefront6targetE1EEEvSY_
                                        ; -- End function
	.set _ZN7rocprim17ROCPRIM_400000_NS6detail17trampoline_kernelINS0_13select_configILj256ELj13ELNS0_17block_load_methodE3ELS4_3ELS4_3ELNS0_20block_scan_algorithmE0ELj4294967295EEENS1_25partition_config_selectorILNS1_17partition_subalgoE3EjNS0_10empty_typeEbEEZZNS1_14partition_implILS8_3ELb0ES6_jNS0_17counting_iteratorIjlEEPS9_SE_NS0_5tupleIJPjSE_EEENSF_IJSE_SE_EEES9_SG_JZNS1_25segmented_radix_sort_implINS0_14default_configELb0EPKaPaPKlPlN2at6native12_GLOBAL__N_18offset_tEEE10hipError_tPvRmT1_PNSt15iterator_traitsISY_E10value_typeET2_T3_PNSZ_IS14_E10value_typeET4_jRbjT5_S1A_jjP12ihipStream_tbEUljE_EEESV_SW_SX_S14_S18_S1A_T6_T7_T9_mT8_S1C_bDpT10_ENKUlT_T0_E_clISt17integral_constantIbLb1EES1P_EEDaS1K_S1L_EUlS1K_E_NS1_11comp_targetILNS1_3genE9ELNS1_11target_archE1100ELNS1_3gpuE3ELNS1_3repE0EEENS1_30default_config_static_selectorELNS0_4arch9wavefront6targetE1EEEvSY_.num_vgpr, 0
	.set _ZN7rocprim17ROCPRIM_400000_NS6detail17trampoline_kernelINS0_13select_configILj256ELj13ELNS0_17block_load_methodE3ELS4_3ELS4_3ELNS0_20block_scan_algorithmE0ELj4294967295EEENS1_25partition_config_selectorILNS1_17partition_subalgoE3EjNS0_10empty_typeEbEEZZNS1_14partition_implILS8_3ELb0ES6_jNS0_17counting_iteratorIjlEEPS9_SE_NS0_5tupleIJPjSE_EEENSF_IJSE_SE_EEES9_SG_JZNS1_25segmented_radix_sort_implINS0_14default_configELb0EPKaPaPKlPlN2at6native12_GLOBAL__N_18offset_tEEE10hipError_tPvRmT1_PNSt15iterator_traitsISY_E10value_typeET2_T3_PNSZ_IS14_E10value_typeET4_jRbjT5_S1A_jjP12ihipStream_tbEUljE_EEESV_SW_SX_S14_S18_S1A_T6_T7_T9_mT8_S1C_bDpT10_ENKUlT_T0_E_clISt17integral_constantIbLb1EES1P_EEDaS1K_S1L_EUlS1K_E_NS1_11comp_targetILNS1_3genE9ELNS1_11target_archE1100ELNS1_3gpuE3ELNS1_3repE0EEENS1_30default_config_static_selectorELNS0_4arch9wavefront6targetE1EEEvSY_.num_agpr, 0
	.set _ZN7rocprim17ROCPRIM_400000_NS6detail17trampoline_kernelINS0_13select_configILj256ELj13ELNS0_17block_load_methodE3ELS4_3ELS4_3ELNS0_20block_scan_algorithmE0ELj4294967295EEENS1_25partition_config_selectorILNS1_17partition_subalgoE3EjNS0_10empty_typeEbEEZZNS1_14partition_implILS8_3ELb0ES6_jNS0_17counting_iteratorIjlEEPS9_SE_NS0_5tupleIJPjSE_EEENSF_IJSE_SE_EEES9_SG_JZNS1_25segmented_radix_sort_implINS0_14default_configELb0EPKaPaPKlPlN2at6native12_GLOBAL__N_18offset_tEEE10hipError_tPvRmT1_PNSt15iterator_traitsISY_E10value_typeET2_T3_PNSZ_IS14_E10value_typeET4_jRbjT5_S1A_jjP12ihipStream_tbEUljE_EEESV_SW_SX_S14_S18_S1A_T6_T7_T9_mT8_S1C_bDpT10_ENKUlT_T0_E_clISt17integral_constantIbLb1EES1P_EEDaS1K_S1L_EUlS1K_E_NS1_11comp_targetILNS1_3genE9ELNS1_11target_archE1100ELNS1_3gpuE3ELNS1_3repE0EEENS1_30default_config_static_selectorELNS0_4arch9wavefront6targetE1EEEvSY_.numbered_sgpr, 0
	.set _ZN7rocprim17ROCPRIM_400000_NS6detail17trampoline_kernelINS0_13select_configILj256ELj13ELNS0_17block_load_methodE3ELS4_3ELS4_3ELNS0_20block_scan_algorithmE0ELj4294967295EEENS1_25partition_config_selectorILNS1_17partition_subalgoE3EjNS0_10empty_typeEbEEZZNS1_14partition_implILS8_3ELb0ES6_jNS0_17counting_iteratorIjlEEPS9_SE_NS0_5tupleIJPjSE_EEENSF_IJSE_SE_EEES9_SG_JZNS1_25segmented_radix_sort_implINS0_14default_configELb0EPKaPaPKlPlN2at6native12_GLOBAL__N_18offset_tEEE10hipError_tPvRmT1_PNSt15iterator_traitsISY_E10value_typeET2_T3_PNSZ_IS14_E10value_typeET4_jRbjT5_S1A_jjP12ihipStream_tbEUljE_EEESV_SW_SX_S14_S18_S1A_T6_T7_T9_mT8_S1C_bDpT10_ENKUlT_T0_E_clISt17integral_constantIbLb1EES1P_EEDaS1K_S1L_EUlS1K_E_NS1_11comp_targetILNS1_3genE9ELNS1_11target_archE1100ELNS1_3gpuE3ELNS1_3repE0EEENS1_30default_config_static_selectorELNS0_4arch9wavefront6targetE1EEEvSY_.num_named_barrier, 0
	.set _ZN7rocprim17ROCPRIM_400000_NS6detail17trampoline_kernelINS0_13select_configILj256ELj13ELNS0_17block_load_methodE3ELS4_3ELS4_3ELNS0_20block_scan_algorithmE0ELj4294967295EEENS1_25partition_config_selectorILNS1_17partition_subalgoE3EjNS0_10empty_typeEbEEZZNS1_14partition_implILS8_3ELb0ES6_jNS0_17counting_iteratorIjlEEPS9_SE_NS0_5tupleIJPjSE_EEENSF_IJSE_SE_EEES9_SG_JZNS1_25segmented_radix_sort_implINS0_14default_configELb0EPKaPaPKlPlN2at6native12_GLOBAL__N_18offset_tEEE10hipError_tPvRmT1_PNSt15iterator_traitsISY_E10value_typeET2_T3_PNSZ_IS14_E10value_typeET4_jRbjT5_S1A_jjP12ihipStream_tbEUljE_EEESV_SW_SX_S14_S18_S1A_T6_T7_T9_mT8_S1C_bDpT10_ENKUlT_T0_E_clISt17integral_constantIbLb1EES1P_EEDaS1K_S1L_EUlS1K_E_NS1_11comp_targetILNS1_3genE9ELNS1_11target_archE1100ELNS1_3gpuE3ELNS1_3repE0EEENS1_30default_config_static_selectorELNS0_4arch9wavefront6targetE1EEEvSY_.private_seg_size, 0
	.set _ZN7rocprim17ROCPRIM_400000_NS6detail17trampoline_kernelINS0_13select_configILj256ELj13ELNS0_17block_load_methodE3ELS4_3ELS4_3ELNS0_20block_scan_algorithmE0ELj4294967295EEENS1_25partition_config_selectorILNS1_17partition_subalgoE3EjNS0_10empty_typeEbEEZZNS1_14partition_implILS8_3ELb0ES6_jNS0_17counting_iteratorIjlEEPS9_SE_NS0_5tupleIJPjSE_EEENSF_IJSE_SE_EEES9_SG_JZNS1_25segmented_radix_sort_implINS0_14default_configELb0EPKaPaPKlPlN2at6native12_GLOBAL__N_18offset_tEEE10hipError_tPvRmT1_PNSt15iterator_traitsISY_E10value_typeET2_T3_PNSZ_IS14_E10value_typeET4_jRbjT5_S1A_jjP12ihipStream_tbEUljE_EEESV_SW_SX_S14_S18_S1A_T6_T7_T9_mT8_S1C_bDpT10_ENKUlT_T0_E_clISt17integral_constantIbLb1EES1P_EEDaS1K_S1L_EUlS1K_E_NS1_11comp_targetILNS1_3genE9ELNS1_11target_archE1100ELNS1_3gpuE3ELNS1_3repE0EEENS1_30default_config_static_selectorELNS0_4arch9wavefront6targetE1EEEvSY_.uses_vcc, 0
	.set _ZN7rocprim17ROCPRIM_400000_NS6detail17trampoline_kernelINS0_13select_configILj256ELj13ELNS0_17block_load_methodE3ELS4_3ELS4_3ELNS0_20block_scan_algorithmE0ELj4294967295EEENS1_25partition_config_selectorILNS1_17partition_subalgoE3EjNS0_10empty_typeEbEEZZNS1_14partition_implILS8_3ELb0ES6_jNS0_17counting_iteratorIjlEEPS9_SE_NS0_5tupleIJPjSE_EEENSF_IJSE_SE_EEES9_SG_JZNS1_25segmented_radix_sort_implINS0_14default_configELb0EPKaPaPKlPlN2at6native12_GLOBAL__N_18offset_tEEE10hipError_tPvRmT1_PNSt15iterator_traitsISY_E10value_typeET2_T3_PNSZ_IS14_E10value_typeET4_jRbjT5_S1A_jjP12ihipStream_tbEUljE_EEESV_SW_SX_S14_S18_S1A_T6_T7_T9_mT8_S1C_bDpT10_ENKUlT_T0_E_clISt17integral_constantIbLb1EES1P_EEDaS1K_S1L_EUlS1K_E_NS1_11comp_targetILNS1_3genE9ELNS1_11target_archE1100ELNS1_3gpuE3ELNS1_3repE0EEENS1_30default_config_static_selectorELNS0_4arch9wavefront6targetE1EEEvSY_.uses_flat_scratch, 0
	.set _ZN7rocprim17ROCPRIM_400000_NS6detail17trampoline_kernelINS0_13select_configILj256ELj13ELNS0_17block_load_methodE3ELS4_3ELS4_3ELNS0_20block_scan_algorithmE0ELj4294967295EEENS1_25partition_config_selectorILNS1_17partition_subalgoE3EjNS0_10empty_typeEbEEZZNS1_14partition_implILS8_3ELb0ES6_jNS0_17counting_iteratorIjlEEPS9_SE_NS0_5tupleIJPjSE_EEENSF_IJSE_SE_EEES9_SG_JZNS1_25segmented_radix_sort_implINS0_14default_configELb0EPKaPaPKlPlN2at6native12_GLOBAL__N_18offset_tEEE10hipError_tPvRmT1_PNSt15iterator_traitsISY_E10value_typeET2_T3_PNSZ_IS14_E10value_typeET4_jRbjT5_S1A_jjP12ihipStream_tbEUljE_EEESV_SW_SX_S14_S18_S1A_T6_T7_T9_mT8_S1C_bDpT10_ENKUlT_T0_E_clISt17integral_constantIbLb1EES1P_EEDaS1K_S1L_EUlS1K_E_NS1_11comp_targetILNS1_3genE9ELNS1_11target_archE1100ELNS1_3gpuE3ELNS1_3repE0EEENS1_30default_config_static_selectorELNS0_4arch9wavefront6targetE1EEEvSY_.has_dyn_sized_stack, 0
	.set _ZN7rocprim17ROCPRIM_400000_NS6detail17trampoline_kernelINS0_13select_configILj256ELj13ELNS0_17block_load_methodE3ELS4_3ELS4_3ELNS0_20block_scan_algorithmE0ELj4294967295EEENS1_25partition_config_selectorILNS1_17partition_subalgoE3EjNS0_10empty_typeEbEEZZNS1_14partition_implILS8_3ELb0ES6_jNS0_17counting_iteratorIjlEEPS9_SE_NS0_5tupleIJPjSE_EEENSF_IJSE_SE_EEES9_SG_JZNS1_25segmented_radix_sort_implINS0_14default_configELb0EPKaPaPKlPlN2at6native12_GLOBAL__N_18offset_tEEE10hipError_tPvRmT1_PNSt15iterator_traitsISY_E10value_typeET2_T3_PNSZ_IS14_E10value_typeET4_jRbjT5_S1A_jjP12ihipStream_tbEUljE_EEESV_SW_SX_S14_S18_S1A_T6_T7_T9_mT8_S1C_bDpT10_ENKUlT_T0_E_clISt17integral_constantIbLb1EES1P_EEDaS1K_S1L_EUlS1K_E_NS1_11comp_targetILNS1_3genE9ELNS1_11target_archE1100ELNS1_3gpuE3ELNS1_3repE0EEENS1_30default_config_static_selectorELNS0_4arch9wavefront6targetE1EEEvSY_.has_recursion, 0
	.set _ZN7rocprim17ROCPRIM_400000_NS6detail17trampoline_kernelINS0_13select_configILj256ELj13ELNS0_17block_load_methodE3ELS4_3ELS4_3ELNS0_20block_scan_algorithmE0ELj4294967295EEENS1_25partition_config_selectorILNS1_17partition_subalgoE3EjNS0_10empty_typeEbEEZZNS1_14partition_implILS8_3ELb0ES6_jNS0_17counting_iteratorIjlEEPS9_SE_NS0_5tupleIJPjSE_EEENSF_IJSE_SE_EEES9_SG_JZNS1_25segmented_radix_sort_implINS0_14default_configELb0EPKaPaPKlPlN2at6native12_GLOBAL__N_18offset_tEEE10hipError_tPvRmT1_PNSt15iterator_traitsISY_E10value_typeET2_T3_PNSZ_IS14_E10value_typeET4_jRbjT5_S1A_jjP12ihipStream_tbEUljE_EEESV_SW_SX_S14_S18_S1A_T6_T7_T9_mT8_S1C_bDpT10_ENKUlT_T0_E_clISt17integral_constantIbLb1EES1P_EEDaS1K_S1L_EUlS1K_E_NS1_11comp_targetILNS1_3genE9ELNS1_11target_archE1100ELNS1_3gpuE3ELNS1_3repE0EEENS1_30default_config_static_selectorELNS0_4arch9wavefront6targetE1EEEvSY_.has_indirect_call, 0
	.section	.AMDGPU.csdata,"",@progbits
; Kernel info:
; codeLenInByte = 0
; TotalNumSgprs: 4
; NumVgprs: 0
; ScratchSize: 0
; MemoryBound: 0
; FloatMode: 240
; IeeeMode: 1
; LDSByteSize: 0 bytes/workgroup (compile time only)
; SGPRBlocks: 0
; VGPRBlocks: 0
; NumSGPRsForWavesPerEU: 4
; NumVGPRsForWavesPerEU: 1
; Occupancy: 10
; WaveLimiterHint : 0
; COMPUTE_PGM_RSRC2:SCRATCH_EN: 0
; COMPUTE_PGM_RSRC2:USER_SGPR: 6
; COMPUTE_PGM_RSRC2:TRAP_HANDLER: 0
; COMPUTE_PGM_RSRC2:TGID_X_EN: 1
; COMPUTE_PGM_RSRC2:TGID_Y_EN: 0
; COMPUTE_PGM_RSRC2:TGID_Z_EN: 0
; COMPUTE_PGM_RSRC2:TIDIG_COMP_CNT: 0
	.section	.text._ZN7rocprim17ROCPRIM_400000_NS6detail17trampoline_kernelINS0_13select_configILj256ELj13ELNS0_17block_load_methodE3ELS4_3ELS4_3ELNS0_20block_scan_algorithmE0ELj4294967295EEENS1_25partition_config_selectorILNS1_17partition_subalgoE3EjNS0_10empty_typeEbEEZZNS1_14partition_implILS8_3ELb0ES6_jNS0_17counting_iteratorIjlEEPS9_SE_NS0_5tupleIJPjSE_EEENSF_IJSE_SE_EEES9_SG_JZNS1_25segmented_radix_sort_implINS0_14default_configELb0EPKaPaPKlPlN2at6native12_GLOBAL__N_18offset_tEEE10hipError_tPvRmT1_PNSt15iterator_traitsISY_E10value_typeET2_T3_PNSZ_IS14_E10value_typeET4_jRbjT5_S1A_jjP12ihipStream_tbEUljE_EEESV_SW_SX_S14_S18_S1A_T6_T7_T9_mT8_S1C_bDpT10_ENKUlT_T0_E_clISt17integral_constantIbLb1EES1P_EEDaS1K_S1L_EUlS1K_E_NS1_11comp_targetILNS1_3genE8ELNS1_11target_archE1030ELNS1_3gpuE2ELNS1_3repE0EEENS1_30default_config_static_selectorELNS0_4arch9wavefront6targetE1EEEvSY_,"axG",@progbits,_ZN7rocprim17ROCPRIM_400000_NS6detail17trampoline_kernelINS0_13select_configILj256ELj13ELNS0_17block_load_methodE3ELS4_3ELS4_3ELNS0_20block_scan_algorithmE0ELj4294967295EEENS1_25partition_config_selectorILNS1_17partition_subalgoE3EjNS0_10empty_typeEbEEZZNS1_14partition_implILS8_3ELb0ES6_jNS0_17counting_iteratorIjlEEPS9_SE_NS0_5tupleIJPjSE_EEENSF_IJSE_SE_EEES9_SG_JZNS1_25segmented_radix_sort_implINS0_14default_configELb0EPKaPaPKlPlN2at6native12_GLOBAL__N_18offset_tEEE10hipError_tPvRmT1_PNSt15iterator_traitsISY_E10value_typeET2_T3_PNSZ_IS14_E10value_typeET4_jRbjT5_S1A_jjP12ihipStream_tbEUljE_EEESV_SW_SX_S14_S18_S1A_T6_T7_T9_mT8_S1C_bDpT10_ENKUlT_T0_E_clISt17integral_constantIbLb1EES1P_EEDaS1K_S1L_EUlS1K_E_NS1_11comp_targetILNS1_3genE8ELNS1_11target_archE1030ELNS1_3gpuE2ELNS1_3repE0EEENS1_30default_config_static_selectorELNS0_4arch9wavefront6targetE1EEEvSY_,comdat
	.globl	_ZN7rocprim17ROCPRIM_400000_NS6detail17trampoline_kernelINS0_13select_configILj256ELj13ELNS0_17block_load_methodE3ELS4_3ELS4_3ELNS0_20block_scan_algorithmE0ELj4294967295EEENS1_25partition_config_selectorILNS1_17partition_subalgoE3EjNS0_10empty_typeEbEEZZNS1_14partition_implILS8_3ELb0ES6_jNS0_17counting_iteratorIjlEEPS9_SE_NS0_5tupleIJPjSE_EEENSF_IJSE_SE_EEES9_SG_JZNS1_25segmented_radix_sort_implINS0_14default_configELb0EPKaPaPKlPlN2at6native12_GLOBAL__N_18offset_tEEE10hipError_tPvRmT1_PNSt15iterator_traitsISY_E10value_typeET2_T3_PNSZ_IS14_E10value_typeET4_jRbjT5_S1A_jjP12ihipStream_tbEUljE_EEESV_SW_SX_S14_S18_S1A_T6_T7_T9_mT8_S1C_bDpT10_ENKUlT_T0_E_clISt17integral_constantIbLb1EES1P_EEDaS1K_S1L_EUlS1K_E_NS1_11comp_targetILNS1_3genE8ELNS1_11target_archE1030ELNS1_3gpuE2ELNS1_3repE0EEENS1_30default_config_static_selectorELNS0_4arch9wavefront6targetE1EEEvSY_ ; -- Begin function _ZN7rocprim17ROCPRIM_400000_NS6detail17trampoline_kernelINS0_13select_configILj256ELj13ELNS0_17block_load_methodE3ELS4_3ELS4_3ELNS0_20block_scan_algorithmE0ELj4294967295EEENS1_25partition_config_selectorILNS1_17partition_subalgoE3EjNS0_10empty_typeEbEEZZNS1_14partition_implILS8_3ELb0ES6_jNS0_17counting_iteratorIjlEEPS9_SE_NS0_5tupleIJPjSE_EEENSF_IJSE_SE_EEES9_SG_JZNS1_25segmented_radix_sort_implINS0_14default_configELb0EPKaPaPKlPlN2at6native12_GLOBAL__N_18offset_tEEE10hipError_tPvRmT1_PNSt15iterator_traitsISY_E10value_typeET2_T3_PNSZ_IS14_E10value_typeET4_jRbjT5_S1A_jjP12ihipStream_tbEUljE_EEESV_SW_SX_S14_S18_S1A_T6_T7_T9_mT8_S1C_bDpT10_ENKUlT_T0_E_clISt17integral_constantIbLb1EES1P_EEDaS1K_S1L_EUlS1K_E_NS1_11comp_targetILNS1_3genE8ELNS1_11target_archE1030ELNS1_3gpuE2ELNS1_3repE0EEENS1_30default_config_static_selectorELNS0_4arch9wavefront6targetE1EEEvSY_
	.p2align	8
	.type	_ZN7rocprim17ROCPRIM_400000_NS6detail17trampoline_kernelINS0_13select_configILj256ELj13ELNS0_17block_load_methodE3ELS4_3ELS4_3ELNS0_20block_scan_algorithmE0ELj4294967295EEENS1_25partition_config_selectorILNS1_17partition_subalgoE3EjNS0_10empty_typeEbEEZZNS1_14partition_implILS8_3ELb0ES6_jNS0_17counting_iteratorIjlEEPS9_SE_NS0_5tupleIJPjSE_EEENSF_IJSE_SE_EEES9_SG_JZNS1_25segmented_radix_sort_implINS0_14default_configELb0EPKaPaPKlPlN2at6native12_GLOBAL__N_18offset_tEEE10hipError_tPvRmT1_PNSt15iterator_traitsISY_E10value_typeET2_T3_PNSZ_IS14_E10value_typeET4_jRbjT5_S1A_jjP12ihipStream_tbEUljE_EEESV_SW_SX_S14_S18_S1A_T6_T7_T9_mT8_S1C_bDpT10_ENKUlT_T0_E_clISt17integral_constantIbLb1EES1P_EEDaS1K_S1L_EUlS1K_E_NS1_11comp_targetILNS1_3genE8ELNS1_11target_archE1030ELNS1_3gpuE2ELNS1_3repE0EEENS1_30default_config_static_selectorELNS0_4arch9wavefront6targetE1EEEvSY_,@function
_ZN7rocprim17ROCPRIM_400000_NS6detail17trampoline_kernelINS0_13select_configILj256ELj13ELNS0_17block_load_methodE3ELS4_3ELS4_3ELNS0_20block_scan_algorithmE0ELj4294967295EEENS1_25partition_config_selectorILNS1_17partition_subalgoE3EjNS0_10empty_typeEbEEZZNS1_14partition_implILS8_3ELb0ES6_jNS0_17counting_iteratorIjlEEPS9_SE_NS0_5tupleIJPjSE_EEENSF_IJSE_SE_EEES9_SG_JZNS1_25segmented_radix_sort_implINS0_14default_configELb0EPKaPaPKlPlN2at6native12_GLOBAL__N_18offset_tEEE10hipError_tPvRmT1_PNSt15iterator_traitsISY_E10value_typeET2_T3_PNSZ_IS14_E10value_typeET4_jRbjT5_S1A_jjP12ihipStream_tbEUljE_EEESV_SW_SX_S14_S18_S1A_T6_T7_T9_mT8_S1C_bDpT10_ENKUlT_T0_E_clISt17integral_constantIbLb1EES1P_EEDaS1K_S1L_EUlS1K_E_NS1_11comp_targetILNS1_3genE8ELNS1_11target_archE1030ELNS1_3gpuE2ELNS1_3repE0EEENS1_30default_config_static_selectorELNS0_4arch9wavefront6targetE1EEEvSY_: ; @_ZN7rocprim17ROCPRIM_400000_NS6detail17trampoline_kernelINS0_13select_configILj256ELj13ELNS0_17block_load_methodE3ELS4_3ELS4_3ELNS0_20block_scan_algorithmE0ELj4294967295EEENS1_25partition_config_selectorILNS1_17partition_subalgoE3EjNS0_10empty_typeEbEEZZNS1_14partition_implILS8_3ELb0ES6_jNS0_17counting_iteratorIjlEEPS9_SE_NS0_5tupleIJPjSE_EEENSF_IJSE_SE_EEES9_SG_JZNS1_25segmented_radix_sort_implINS0_14default_configELb0EPKaPaPKlPlN2at6native12_GLOBAL__N_18offset_tEEE10hipError_tPvRmT1_PNSt15iterator_traitsISY_E10value_typeET2_T3_PNSZ_IS14_E10value_typeET4_jRbjT5_S1A_jjP12ihipStream_tbEUljE_EEESV_SW_SX_S14_S18_S1A_T6_T7_T9_mT8_S1C_bDpT10_ENKUlT_T0_E_clISt17integral_constantIbLb1EES1P_EEDaS1K_S1L_EUlS1K_E_NS1_11comp_targetILNS1_3genE8ELNS1_11target_archE1030ELNS1_3gpuE2ELNS1_3repE0EEENS1_30default_config_static_selectorELNS0_4arch9wavefront6targetE1EEEvSY_
; %bb.0:
	.section	.rodata,"a",@progbits
	.p2align	6, 0x0
	.amdhsa_kernel _ZN7rocprim17ROCPRIM_400000_NS6detail17trampoline_kernelINS0_13select_configILj256ELj13ELNS0_17block_load_methodE3ELS4_3ELS4_3ELNS0_20block_scan_algorithmE0ELj4294967295EEENS1_25partition_config_selectorILNS1_17partition_subalgoE3EjNS0_10empty_typeEbEEZZNS1_14partition_implILS8_3ELb0ES6_jNS0_17counting_iteratorIjlEEPS9_SE_NS0_5tupleIJPjSE_EEENSF_IJSE_SE_EEES9_SG_JZNS1_25segmented_radix_sort_implINS0_14default_configELb0EPKaPaPKlPlN2at6native12_GLOBAL__N_18offset_tEEE10hipError_tPvRmT1_PNSt15iterator_traitsISY_E10value_typeET2_T3_PNSZ_IS14_E10value_typeET4_jRbjT5_S1A_jjP12ihipStream_tbEUljE_EEESV_SW_SX_S14_S18_S1A_T6_T7_T9_mT8_S1C_bDpT10_ENKUlT_T0_E_clISt17integral_constantIbLb1EES1P_EEDaS1K_S1L_EUlS1K_E_NS1_11comp_targetILNS1_3genE8ELNS1_11target_archE1030ELNS1_3gpuE2ELNS1_3repE0EEENS1_30default_config_static_selectorELNS0_4arch9wavefront6targetE1EEEvSY_
		.amdhsa_group_segment_fixed_size 0
		.amdhsa_private_segment_fixed_size 0
		.amdhsa_kernarg_size 152
		.amdhsa_user_sgpr_count 6
		.amdhsa_user_sgpr_private_segment_buffer 1
		.amdhsa_user_sgpr_dispatch_ptr 0
		.amdhsa_user_sgpr_queue_ptr 0
		.amdhsa_user_sgpr_kernarg_segment_ptr 1
		.amdhsa_user_sgpr_dispatch_id 0
		.amdhsa_user_sgpr_flat_scratch_init 0
		.amdhsa_user_sgpr_private_segment_size 0
		.amdhsa_uses_dynamic_stack 0
		.amdhsa_system_sgpr_private_segment_wavefront_offset 0
		.amdhsa_system_sgpr_workgroup_id_x 1
		.amdhsa_system_sgpr_workgroup_id_y 0
		.amdhsa_system_sgpr_workgroup_id_z 0
		.amdhsa_system_sgpr_workgroup_info 0
		.amdhsa_system_vgpr_workitem_id 0
		.amdhsa_next_free_vgpr 1
		.amdhsa_next_free_sgpr 0
		.amdhsa_reserve_vcc 0
		.amdhsa_reserve_flat_scratch 0
		.amdhsa_float_round_mode_32 0
		.amdhsa_float_round_mode_16_64 0
		.amdhsa_float_denorm_mode_32 3
		.amdhsa_float_denorm_mode_16_64 3
		.amdhsa_dx10_clamp 1
		.amdhsa_ieee_mode 1
		.amdhsa_fp16_overflow 0
		.amdhsa_exception_fp_ieee_invalid_op 0
		.amdhsa_exception_fp_denorm_src 0
		.amdhsa_exception_fp_ieee_div_zero 0
		.amdhsa_exception_fp_ieee_overflow 0
		.amdhsa_exception_fp_ieee_underflow 0
		.amdhsa_exception_fp_ieee_inexact 0
		.amdhsa_exception_int_div_zero 0
	.end_amdhsa_kernel
	.section	.text._ZN7rocprim17ROCPRIM_400000_NS6detail17trampoline_kernelINS0_13select_configILj256ELj13ELNS0_17block_load_methodE3ELS4_3ELS4_3ELNS0_20block_scan_algorithmE0ELj4294967295EEENS1_25partition_config_selectorILNS1_17partition_subalgoE3EjNS0_10empty_typeEbEEZZNS1_14partition_implILS8_3ELb0ES6_jNS0_17counting_iteratorIjlEEPS9_SE_NS0_5tupleIJPjSE_EEENSF_IJSE_SE_EEES9_SG_JZNS1_25segmented_radix_sort_implINS0_14default_configELb0EPKaPaPKlPlN2at6native12_GLOBAL__N_18offset_tEEE10hipError_tPvRmT1_PNSt15iterator_traitsISY_E10value_typeET2_T3_PNSZ_IS14_E10value_typeET4_jRbjT5_S1A_jjP12ihipStream_tbEUljE_EEESV_SW_SX_S14_S18_S1A_T6_T7_T9_mT8_S1C_bDpT10_ENKUlT_T0_E_clISt17integral_constantIbLb1EES1P_EEDaS1K_S1L_EUlS1K_E_NS1_11comp_targetILNS1_3genE8ELNS1_11target_archE1030ELNS1_3gpuE2ELNS1_3repE0EEENS1_30default_config_static_selectorELNS0_4arch9wavefront6targetE1EEEvSY_,"axG",@progbits,_ZN7rocprim17ROCPRIM_400000_NS6detail17trampoline_kernelINS0_13select_configILj256ELj13ELNS0_17block_load_methodE3ELS4_3ELS4_3ELNS0_20block_scan_algorithmE0ELj4294967295EEENS1_25partition_config_selectorILNS1_17partition_subalgoE3EjNS0_10empty_typeEbEEZZNS1_14partition_implILS8_3ELb0ES6_jNS0_17counting_iteratorIjlEEPS9_SE_NS0_5tupleIJPjSE_EEENSF_IJSE_SE_EEES9_SG_JZNS1_25segmented_radix_sort_implINS0_14default_configELb0EPKaPaPKlPlN2at6native12_GLOBAL__N_18offset_tEEE10hipError_tPvRmT1_PNSt15iterator_traitsISY_E10value_typeET2_T3_PNSZ_IS14_E10value_typeET4_jRbjT5_S1A_jjP12ihipStream_tbEUljE_EEESV_SW_SX_S14_S18_S1A_T6_T7_T9_mT8_S1C_bDpT10_ENKUlT_T0_E_clISt17integral_constantIbLb1EES1P_EEDaS1K_S1L_EUlS1K_E_NS1_11comp_targetILNS1_3genE8ELNS1_11target_archE1030ELNS1_3gpuE2ELNS1_3repE0EEENS1_30default_config_static_selectorELNS0_4arch9wavefront6targetE1EEEvSY_,comdat
.Lfunc_end376:
	.size	_ZN7rocprim17ROCPRIM_400000_NS6detail17trampoline_kernelINS0_13select_configILj256ELj13ELNS0_17block_load_methodE3ELS4_3ELS4_3ELNS0_20block_scan_algorithmE0ELj4294967295EEENS1_25partition_config_selectorILNS1_17partition_subalgoE3EjNS0_10empty_typeEbEEZZNS1_14partition_implILS8_3ELb0ES6_jNS0_17counting_iteratorIjlEEPS9_SE_NS0_5tupleIJPjSE_EEENSF_IJSE_SE_EEES9_SG_JZNS1_25segmented_radix_sort_implINS0_14default_configELb0EPKaPaPKlPlN2at6native12_GLOBAL__N_18offset_tEEE10hipError_tPvRmT1_PNSt15iterator_traitsISY_E10value_typeET2_T3_PNSZ_IS14_E10value_typeET4_jRbjT5_S1A_jjP12ihipStream_tbEUljE_EEESV_SW_SX_S14_S18_S1A_T6_T7_T9_mT8_S1C_bDpT10_ENKUlT_T0_E_clISt17integral_constantIbLb1EES1P_EEDaS1K_S1L_EUlS1K_E_NS1_11comp_targetILNS1_3genE8ELNS1_11target_archE1030ELNS1_3gpuE2ELNS1_3repE0EEENS1_30default_config_static_selectorELNS0_4arch9wavefront6targetE1EEEvSY_, .Lfunc_end376-_ZN7rocprim17ROCPRIM_400000_NS6detail17trampoline_kernelINS0_13select_configILj256ELj13ELNS0_17block_load_methodE3ELS4_3ELS4_3ELNS0_20block_scan_algorithmE0ELj4294967295EEENS1_25partition_config_selectorILNS1_17partition_subalgoE3EjNS0_10empty_typeEbEEZZNS1_14partition_implILS8_3ELb0ES6_jNS0_17counting_iteratorIjlEEPS9_SE_NS0_5tupleIJPjSE_EEENSF_IJSE_SE_EEES9_SG_JZNS1_25segmented_radix_sort_implINS0_14default_configELb0EPKaPaPKlPlN2at6native12_GLOBAL__N_18offset_tEEE10hipError_tPvRmT1_PNSt15iterator_traitsISY_E10value_typeET2_T3_PNSZ_IS14_E10value_typeET4_jRbjT5_S1A_jjP12ihipStream_tbEUljE_EEESV_SW_SX_S14_S18_S1A_T6_T7_T9_mT8_S1C_bDpT10_ENKUlT_T0_E_clISt17integral_constantIbLb1EES1P_EEDaS1K_S1L_EUlS1K_E_NS1_11comp_targetILNS1_3genE8ELNS1_11target_archE1030ELNS1_3gpuE2ELNS1_3repE0EEENS1_30default_config_static_selectorELNS0_4arch9wavefront6targetE1EEEvSY_
                                        ; -- End function
	.set _ZN7rocprim17ROCPRIM_400000_NS6detail17trampoline_kernelINS0_13select_configILj256ELj13ELNS0_17block_load_methodE3ELS4_3ELS4_3ELNS0_20block_scan_algorithmE0ELj4294967295EEENS1_25partition_config_selectorILNS1_17partition_subalgoE3EjNS0_10empty_typeEbEEZZNS1_14partition_implILS8_3ELb0ES6_jNS0_17counting_iteratorIjlEEPS9_SE_NS0_5tupleIJPjSE_EEENSF_IJSE_SE_EEES9_SG_JZNS1_25segmented_radix_sort_implINS0_14default_configELb0EPKaPaPKlPlN2at6native12_GLOBAL__N_18offset_tEEE10hipError_tPvRmT1_PNSt15iterator_traitsISY_E10value_typeET2_T3_PNSZ_IS14_E10value_typeET4_jRbjT5_S1A_jjP12ihipStream_tbEUljE_EEESV_SW_SX_S14_S18_S1A_T6_T7_T9_mT8_S1C_bDpT10_ENKUlT_T0_E_clISt17integral_constantIbLb1EES1P_EEDaS1K_S1L_EUlS1K_E_NS1_11comp_targetILNS1_3genE8ELNS1_11target_archE1030ELNS1_3gpuE2ELNS1_3repE0EEENS1_30default_config_static_selectorELNS0_4arch9wavefront6targetE1EEEvSY_.num_vgpr, 0
	.set _ZN7rocprim17ROCPRIM_400000_NS6detail17trampoline_kernelINS0_13select_configILj256ELj13ELNS0_17block_load_methodE3ELS4_3ELS4_3ELNS0_20block_scan_algorithmE0ELj4294967295EEENS1_25partition_config_selectorILNS1_17partition_subalgoE3EjNS0_10empty_typeEbEEZZNS1_14partition_implILS8_3ELb0ES6_jNS0_17counting_iteratorIjlEEPS9_SE_NS0_5tupleIJPjSE_EEENSF_IJSE_SE_EEES9_SG_JZNS1_25segmented_radix_sort_implINS0_14default_configELb0EPKaPaPKlPlN2at6native12_GLOBAL__N_18offset_tEEE10hipError_tPvRmT1_PNSt15iterator_traitsISY_E10value_typeET2_T3_PNSZ_IS14_E10value_typeET4_jRbjT5_S1A_jjP12ihipStream_tbEUljE_EEESV_SW_SX_S14_S18_S1A_T6_T7_T9_mT8_S1C_bDpT10_ENKUlT_T0_E_clISt17integral_constantIbLb1EES1P_EEDaS1K_S1L_EUlS1K_E_NS1_11comp_targetILNS1_3genE8ELNS1_11target_archE1030ELNS1_3gpuE2ELNS1_3repE0EEENS1_30default_config_static_selectorELNS0_4arch9wavefront6targetE1EEEvSY_.num_agpr, 0
	.set _ZN7rocprim17ROCPRIM_400000_NS6detail17trampoline_kernelINS0_13select_configILj256ELj13ELNS0_17block_load_methodE3ELS4_3ELS4_3ELNS0_20block_scan_algorithmE0ELj4294967295EEENS1_25partition_config_selectorILNS1_17partition_subalgoE3EjNS0_10empty_typeEbEEZZNS1_14partition_implILS8_3ELb0ES6_jNS0_17counting_iteratorIjlEEPS9_SE_NS0_5tupleIJPjSE_EEENSF_IJSE_SE_EEES9_SG_JZNS1_25segmented_radix_sort_implINS0_14default_configELb0EPKaPaPKlPlN2at6native12_GLOBAL__N_18offset_tEEE10hipError_tPvRmT1_PNSt15iterator_traitsISY_E10value_typeET2_T3_PNSZ_IS14_E10value_typeET4_jRbjT5_S1A_jjP12ihipStream_tbEUljE_EEESV_SW_SX_S14_S18_S1A_T6_T7_T9_mT8_S1C_bDpT10_ENKUlT_T0_E_clISt17integral_constantIbLb1EES1P_EEDaS1K_S1L_EUlS1K_E_NS1_11comp_targetILNS1_3genE8ELNS1_11target_archE1030ELNS1_3gpuE2ELNS1_3repE0EEENS1_30default_config_static_selectorELNS0_4arch9wavefront6targetE1EEEvSY_.numbered_sgpr, 0
	.set _ZN7rocprim17ROCPRIM_400000_NS6detail17trampoline_kernelINS0_13select_configILj256ELj13ELNS0_17block_load_methodE3ELS4_3ELS4_3ELNS0_20block_scan_algorithmE0ELj4294967295EEENS1_25partition_config_selectorILNS1_17partition_subalgoE3EjNS0_10empty_typeEbEEZZNS1_14partition_implILS8_3ELb0ES6_jNS0_17counting_iteratorIjlEEPS9_SE_NS0_5tupleIJPjSE_EEENSF_IJSE_SE_EEES9_SG_JZNS1_25segmented_radix_sort_implINS0_14default_configELb0EPKaPaPKlPlN2at6native12_GLOBAL__N_18offset_tEEE10hipError_tPvRmT1_PNSt15iterator_traitsISY_E10value_typeET2_T3_PNSZ_IS14_E10value_typeET4_jRbjT5_S1A_jjP12ihipStream_tbEUljE_EEESV_SW_SX_S14_S18_S1A_T6_T7_T9_mT8_S1C_bDpT10_ENKUlT_T0_E_clISt17integral_constantIbLb1EES1P_EEDaS1K_S1L_EUlS1K_E_NS1_11comp_targetILNS1_3genE8ELNS1_11target_archE1030ELNS1_3gpuE2ELNS1_3repE0EEENS1_30default_config_static_selectorELNS0_4arch9wavefront6targetE1EEEvSY_.num_named_barrier, 0
	.set _ZN7rocprim17ROCPRIM_400000_NS6detail17trampoline_kernelINS0_13select_configILj256ELj13ELNS0_17block_load_methodE3ELS4_3ELS4_3ELNS0_20block_scan_algorithmE0ELj4294967295EEENS1_25partition_config_selectorILNS1_17partition_subalgoE3EjNS0_10empty_typeEbEEZZNS1_14partition_implILS8_3ELb0ES6_jNS0_17counting_iteratorIjlEEPS9_SE_NS0_5tupleIJPjSE_EEENSF_IJSE_SE_EEES9_SG_JZNS1_25segmented_radix_sort_implINS0_14default_configELb0EPKaPaPKlPlN2at6native12_GLOBAL__N_18offset_tEEE10hipError_tPvRmT1_PNSt15iterator_traitsISY_E10value_typeET2_T3_PNSZ_IS14_E10value_typeET4_jRbjT5_S1A_jjP12ihipStream_tbEUljE_EEESV_SW_SX_S14_S18_S1A_T6_T7_T9_mT8_S1C_bDpT10_ENKUlT_T0_E_clISt17integral_constantIbLb1EES1P_EEDaS1K_S1L_EUlS1K_E_NS1_11comp_targetILNS1_3genE8ELNS1_11target_archE1030ELNS1_3gpuE2ELNS1_3repE0EEENS1_30default_config_static_selectorELNS0_4arch9wavefront6targetE1EEEvSY_.private_seg_size, 0
	.set _ZN7rocprim17ROCPRIM_400000_NS6detail17trampoline_kernelINS0_13select_configILj256ELj13ELNS0_17block_load_methodE3ELS4_3ELS4_3ELNS0_20block_scan_algorithmE0ELj4294967295EEENS1_25partition_config_selectorILNS1_17partition_subalgoE3EjNS0_10empty_typeEbEEZZNS1_14partition_implILS8_3ELb0ES6_jNS0_17counting_iteratorIjlEEPS9_SE_NS0_5tupleIJPjSE_EEENSF_IJSE_SE_EEES9_SG_JZNS1_25segmented_radix_sort_implINS0_14default_configELb0EPKaPaPKlPlN2at6native12_GLOBAL__N_18offset_tEEE10hipError_tPvRmT1_PNSt15iterator_traitsISY_E10value_typeET2_T3_PNSZ_IS14_E10value_typeET4_jRbjT5_S1A_jjP12ihipStream_tbEUljE_EEESV_SW_SX_S14_S18_S1A_T6_T7_T9_mT8_S1C_bDpT10_ENKUlT_T0_E_clISt17integral_constantIbLb1EES1P_EEDaS1K_S1L_EUlS1K_E_NS1_11comp_targetILNS1_3genE8ELNS1_11target_archE1030ELNS1_3gpuE2ELNS1_3repE0EEENS1_30default_config_static_selectorELNS0_4arch9wavefront6targetE1EEEvSY_.uses_vcc, 0
	.set _ZN7rocprim17ROCPRIM_400000_NS6detail17trampoline_kernelINS0_13select_configILj256ELj13ELNS0_17block_load_methodE3ELS4_3ELS4_3ELNS0_20block_scan_algorithmE0ELj4294967295EEENS1_25partition_config_selectorILNS1_17partition_subalgoE3EjNS0_10empty_typeEbEEZZNS1_14partition_implILS8_3ELb0ES6_jNS0_17counting_iteratorIjlEEPS9_SE_NS0_5tupleIJPjSE_EEENSF_IJSE_SE_EEES9_SG_JZNS1_25segmented_radix_sort_implINS0_14default_configELb0EPKaPaPKlPlN2at6native12_GLOBAL__N_18offset_tEEE10hipError_tPvRmT1_PNSt15iterator_traitsISY_E10value_typeET2_T3_PNSZ_IS14_E10value_typeET4_jRbjT5_S1A_jjP12ihipStream_tbEUljE_EEESV_SW_SX_S14_S18_S1A_T6_T7_T9_mT8_S1C_bDpT10_ENKUlT_T0_E_clISt17integral_constantIbLb1EES1P_EEDaS1K_S1L_EUlS1K_E_NS1_11comp_targetILNS1_3genE8ELNS1_11target_archE1030ELNS1_3gpuE2ELNS1_3repE0EEENS1_30default_config_static_selectorELNS0_4arch9wavefront6targetE1EEEvSY_.uses_flat_scratch, 0
	.set _ZN7rocprim17ROCPRIM_400000_NS6detail17trampoline_kernelINS0_13select_configILj256ELj13ELNS0_17block_load_methodE3ELS4_3ELS4_3ELNS0_20block_scan_algorithmE0ELj4294967295EEENS1_25partition_config_selectorILNS1_17partition_subalgoE3EjNS0_10empty_typeEbEEZZNS1_14partition_implILS8_3ELb0ES6_jNS0_17counting_iteratorIjlEEPS9_SE_NS0_5tupleIJPjSE_EEENSF_IJSE_SE_EEES9_SG_JZNS1_25segmented_radix_sort_implINS0_14default_configELb0EPKaPaPKlPlN2at6native12_GLOBAL__N_18offset_tEEE10hipError_tPvRmT1_PNSt15iterator_traitsISY_E10value_typeET2_T3_PNSZ_IS14_E10value_typeET4_jRbjT5_S1A_jjP12ihipStream_tbEUljE_EEESV_SW_SX_S14_S18_S1A_T6_T7_T9_mT8_S1C_bDpT10_ENKUlT_T0_E_clISt17integral_constantIbLb1EES1P_EEDaS1K_S1L_EUlS1K_E_NS1_11comp_targetILNS1_3genE8ELNS1_11target_archE1030ELNS1_3gpuE2ELNS1_3repE0EEENS1_30default_config_static_selectorELNS0_4arch9wavefront6targetE1EEEvSY_.has_dyn_sized_stack, 0
	.set _ZN7rocprim17ROCPRIM_400000_NS6detail17trampoline_kernelINS0_13select_configILj256ELj13ELNS0_17block_load_methodE3ELS4_3ELS4_3ELNS0_20block_scan_algorithmE0ELj4294967295EEENS1_25partition_config_selectorILNS1_17partition_subalgoE3EjNS0_10empty_typeEbEEZZNS1_14partition_implILS8_3ELb0ES6_jNS0_17counting_iteratorIjlEEPS9_SE_NS0_5tupleIJPjSE_EEENSF_IJSE_SE_EEES9_SG_JZNS1_25segmented_radix_sort_implINS0_14default_configELb0EPKaPaPKlPlN2at6native12_GLOBAL__N_18offset_tEEE10hipError_tPvRmT1_PNSt15iterator_traitsISY_E10value_typeET2_T3_PNSZ_IS14_E10value_typeET4_jRbjT5_S1A_jjP12ihipStream_tbEUljE_EEESV_SW_SX_S14_S18_S1A_T6_T7_T9_mT8_S1C_bDpT10_ENKUlT_T0_E_clISt17integral_constantIbLb1EES1P_EEDaS1K_S1L_EUlS1K_E_NS1_11comp_targetILNS1_3genE8ELNS1_11target_archE1030ELNS1_3gpuE2ELNS1_3repE0EEENS1_30default_config_static_selectorELNS0_4arch9wavefront6targetE1EEEvSY_.has_recursion, 0
	.set _ZN7rocprim17ROCPRIM_400000_NS6detail17trampoline_kernelINS0_13select_configILj256ELj13ELNS0_17block_load_methodE3ELS4_3ELS4_3ELNS0_20block_scan_algorithmE0ELj4294967295EEENS1_25partition_config_selectorILNS1_17partition_subalgoE3EjNS0_10empty_typeEbEEZZNS1_14partition_implILS8_3ELb0ES6_jNS0_17counting_iteratorIjlEEPS9_SE_NS0_5tupleIJPjSE_EEENSF_IJSE_SE_EEES9_SG_JZNS1_25segmented_radix_sort_implINS0_14default_configELb0EPKaPaPKlPlN2at6native12_GLOBAL__N_18offset_tEEE10hipError_tPvRmT1_PNSt15iterator_traitsISY_E10value_typeET2_T3_PNSZ_IS14_E10value_typeET4_jRbjT5_S1A_jjP12ihipStream_tbEUljE_EEESV_SW_SX_S14_S18_S1A_T6_T7_T9_mT8_S1C_bDpT10_ENKUlT_T0_E_clISt17integral_constantIbLb1EES1P_EEDaS1K_S1L_EUlS1K_E_NS1_11comp_targetILNS1_3genE8ELNS1_11target_archE1030ELNS1_3gpuE2ELNS1_3repE0EEENS1_30default_config_static_selectorELNS0_4arch9wavefront6targetE1EEEvSY_.has_indirect_call, 0
	.section	.AMDGPU.csdata,"",@progbits
; Kernel info:
; codeLenInByte = 0
; TotalNumSgprs: 4
; NumVgprs: 0
; ScratchSize: 0
; MemoryBound: 0
; FloatMode: 240
; IeeeMode: 1
; LDSByteSize: 0 bytes/workgroup (compile time only)
; SGPRBlocks: 0
; VGPRBlocks: 0
; NumSGPRsForWavesPerEU: 4
; NumVGPRsForWavesPerEU: 1
; Occupancy: 10
; WaveLimiterHint : 0
; COMPUTE_PGM_RSRC2:SCRATCH_EN: 0
; COMPUTE_PGM_RSRC2:USER_SGPR: 6
; COMPUTE_PGM_RSRC2:TRAP_HANDLER: 0
; COMPUTE_PGM_RSRC2:TGID_X_EN: 1
; COMPUTE_PGM_RSRC2:TGID_Y_EN: 0
; COMPUTE_PGM_RSRC2:TGID_Z_EN: 0
; COMPUTE_PGM_RSRC2:TIDIG_COMP_CNT: 0
	.section	.text._ZN7rocprim17ROCPRIM_400000_NS6detail17trampoline_kernelINS0_13select_configILj256ELj13ELNS0_17block_load_methodE3ELS4_3ELS4_3ELNS0_20block_scan_algorithmE0ELj4294967295EEENS1_25partition_config_selectorILNS1_17partition_subalgoE3EjNS0_10empty_typeEbEEZZNS1_14partition_implILS8_3ELb0ES6_jNS0_17counting_iteratorIjlEEPS9_SE_NS0_5tupleIJPjSE_EEENSF_IJSE_SE_EEES9_SG_JZNS1_25segmented_radix_sort_implINS0_14default_configELb0EPKaPaPKlPlN2at6native12_GLOBAL__N_18offset_tEEE10hipError_tPvRmT1_PNSt15iterator_traitsISY_E10value_typeET2_T3_PNSZ_IS14_E10value_typeET4_jRbjT5_S1A_jjP12ihipStream_tbEUljE_EEESV_SW_SX_S14_S18_S1A_T6_T7_T9_mT8_S1C_bDpT10_ENKUlT_T0_E_clISt17integral_constantIbLb1EES1O_IbLb0EEEEDaS1K_S1L_EUlS1K_E_NS1_11comp_targetILNS1_3genE0ELNS1_11target_archE4294967295ELNS1_3gpuE0ELNS1_3repE0EEENS1_30default_config_static_selectorELNS0_4arch9wavefront6targetE1EEEvSY_,"axG",@progbits,_ZN7rocprim17ROCPRIM_400000_NS6detail17trampoline_kernelINS0_13select_configILj256ELj13ELNS0_17block_load_methodE3ELS4_3ELS4_3ELNS0_20block_scan_algorithmE0ELj4294967295EEENS1_25partition_config_selectorILNS1_17partition_subalgoE3EjNS0_10empty_typeEbEEZZNS1_14partition_implILS8_3ELb0ES6_jNS0_17counting_iteratorIjlEEPS9_SE_NS0_5tupleIJPjSE_EEENSF_IJSE_SE_EEES9_SG_JZNS1_25segmented_radix_sort_implINS0_14default_configELb0EPKaPaPKlPlN2at6native12_GLOBAL__N_18offset_tEEE10hipError_tPvRmT1_PNSt15iterator_traitsISY_E10value_typeET2_T3_PNSZ_IS14_E10value_typeET4_jRbjT5_S1A_jjP12ihipStream_tbEUljE_EEESV_SW_SX_S14_S18_S1A_T6_T7_T9_mT8_S1C_bDpT10_ENKUlT_T0_E_clISt17integral_constantIbLb1EES1O_IbLb0EEEEDaS1K_S1L_EUlS1K_E_NS1_11comp_targetILNS1_3genE0ELNS1_11target_archE4294967295ELNS1_3gpuE0ELNS1_3repE0EEENS1_30default_config_static_selectorELNS0_4arch9wavefront6targetE1EEEvSY_,comdat
	.globl	_ZN7rocprim17ROCPRIM_400000_NS6detail17trampoline_kernelINS0_13select_configILj256ELj13ELNS0_17block_load_methodE3ELS4_3ELS4_3ELNS0_20block_scan_algorithmE0ELj4294967295EEENS1_25partition_config_selectorILNS1_17partition_subalgoE3EjNS0_10empty_typeEbEEZZNS1_14partition_implILS8_3ELb0ES6_jNS0_17counting_iteratorIjlEEPS9_SE_NS0_5tupleIJPjSE_EEENSF_IJSE_SE_EEES9_SG_JZNS1_25segmented_radix_sort_implINS0_14default_configELb0EPKaPaPKlPlN2at6native12_GLOBAL__N_18offset_tEEE10hipError_tPvRmT1_PNSt15iterator_traitsISY_E10value_typeET2_T3_PNSZ_IS14_E10value_typeET4_jRbjT5_S1A_jjP12ihipStream_tbEUljE_EEESV_SW_SX_S14_S18_S1A_T6_T7_T9_mT8_S1C_bDpT10_ENKUlT_T0_E_clISt17integral_constantIbLb1EES1O_IbLb0EEEEDaS1K_S1L_EUlS1K_E_NS1_11comp_targetILNS1_3genE0ELNS1_11target_archE4294967295ELNS1_3gpuE0ELNS1_3repE0EEENS1_30default_config_static_selectorELNS0_4arch9wavefront6targetE1EEEvSY_ ; -- Begin function _ZN7rocprim17ROCPRIM_400000_NS6detail17trampoline_kernelINS0_13select_configILj256ELj13ELNS0_17block_load_methodE3ELS4_3ELS4_3ELNS0_20block_scan_algorithmE0ELj4294967295EEENS1_25partition_config_selectorILNS1_17partition_subalgoE3EjNS0_10empty_typeEbEEZZNS1_14partition_implILS8_3ELb0ES6_jNS0_17counting_iteratorIjlEEPS9_SE_NS0_5tupleIJPjSE_EEENSF_IJSE_SE_EEES9_SG_JZNS1_25segmented_radix_sort_implINS0_14default_configELb0EPKaPaPKlPlN2at6native12_GLOBAL__N_18offset_tEEE10hipError_tPvRmT1_PNSt15iterator_traitsISY_E10value_typeET2_T3_PNSZ_IS14_E10value_typeET4_jRbjT5_S1A_jjP12ihipStream_tbEUljE_EEESV_SW_SX_S14_S18_S1A_T6_T7_T9_mT8_S1C_bDpT10_ENKUlT_T0_E_clISt17integral_constantIbLb1EES1O_IbLb0EEEEDaS1K_S1L_EUlS1K_E_NS1_11comp_targetILNS1_3genE0ELNS1_11target_archE4294967295ELNS1_3gpuE0ELNS1_3repE0EEENS1_30default_config_static_selectorELNS0_4arch9wavefront6targetE1EEEvSY_
	.p2align	8
	.type	_ZN7rocprim17ROCPRIM_400000_NS6detail17trampoline_kernelINS0_13select_configILj256ELj13ELNS0_17block_load_methodE3ELS4_3ELS4_3ELNS0_20block_scan_algorithmE0ELj4294967295EEENS1_25partition_config_selectorILNS1_17partition_subalgoE3EjNS0_10empty_typeEbEEZZNS1_14partition_implILS8_3ELb0ES6_jNS0_17counting_iteratorIjlEEPS9_SE_NS0_5tupleIJPjSE_EEENSF_IJSE_SE_EEES9_SG_JZNS1_25segmented_radix_sort_implINS0_14default_configELb0EPKaPaPKlPlN2at6native12_GLOBAL__N_18offset_tEEE10hipError_tPvRmT1_PNSt15iterator_traitsISY_E10value_typeET2_T3_PNSZ_IS14_E10value_typeET4_jRbjT5_S1A_jjP12ihipStream_tbEUljE_EEESV_SW_SX_S14_S18_S1A_T6_T7_T9_mT8_S1C_bDpT10_ENKUlT_T0_E_clISt17integral_constantIbLb1EES1O_IbLb0EEEEDaS1K_S1L_EUlS1K_E_NS1_11comp_targetILNS1_3genE0ELNS1_11target_archE4294967295ELNS1_3gpuE0ELNS1_3repE0EEENS1_30default_config_static_selectorELNS0_4arch9wavefront6targetE1EEEvSY_,@function
_ZN7rocprim17ROCPRIM_400000_NS6detail17trampoline_kernelINS0_13select_configILj256ELj13ELNS0_17block_load_methodE3ELS4_3ELS4_3ELNS0_20block_scan_algorithmE0ELj4294967295EEENS1_25partition_config_selectorILNS1_17partition_subalgoE3EjNS0_10empty_typeEbEEZZNS1_14partition_implILS8_3ELb0ES6_jNS0_17counting_iteratorIjlEEPS9_SE_NS0_5tupleIJPjSE_EEENSF_IJSE_SE_EEES9_SG_JZNS1_25segmented_radix_sort_implINS0_14default_configELb0EPKaPaPKlPlN2at6native12_GLOBAL__N_18offset_tEEE10hipError_tPvRmT1_PNSt15iterator_traitsISY_E10value_typeET2_T3_PNSZ_IS14_E10value_typeET4_jRbjT5_S1A_jjP12ihipStream_tbEUljE_EEESV_SW_SX_S14_S18_S1A_T6_T7_T9_mT8_S1C_bDpT10_ENKUlT_T0_E_clISt17integral_constantIbLb1EES1O_IbLb0EEEEDaS1K_S1L_EUlS1K_E_NS1_11comp_targetILNS1_3genE0ELNS1_11target_archE4294967295ELNS1_3gpuE0ELNS1_3repE0EEENS1_30default_config_static_selectorELNS0_4arch9wavefront6targetE1EEEvSY_: ; @_ZN7rocprim17ROCPRIM_400000_NS6detail17trampoline_kernelINS0_13select_configILj256ELj13ELNS0_17block_load_methodE3ELS4_3ELS4_3ELNS0_20block_scan_algorithmE0ELj4294967295EEENS1_25partition_config_selectorILNS1_17partition_subalgoE3EjNS0_10empty_typeEbEEZZNS1_14partition_implILS8_3ELb0ES6_jNS0_17counting_iteratorIjlEEPS9_SE_NS0_5tupleIJPjSE_EEENSF_IJSE_SE_EEES9_SG_JZNS1_25segmented_radix_sort_implINS0_14default_configELb0EPKaPaPKlPlN2at6native12_GLOBAL__N_18offset_tEEE10hipError_tPvRmT1_PNSt15iterator_traitsISY_E10value_typeET2_T3_PNSZ_IS14_E10value_typeET4_jRbjT5_S1A_jjP12ihipStream_tbEUljE_EEESV_SW_SX_S14_S18_S1A_T6_T7_T9_mT8_S1C_bDpT10_ENKUlT_T0_E_clISt17integral_constantIbLb1EES1O_IbLb0EEEEDaS1K_S1L_EUlS1K_E_NS1_11comp_targetILNS1_3genE0ELNS1_11target_archE4294967295ELNS1_3gpuE0ELNS1_3repE0EEENS1_30default_config_static_selectorELNS0_4arch9wavefront6targetE1EEEvSY_
; %bb.0:
	.section	.rodata,"a",@progbits
	.p2align	6, 0x0
	.amdhsa_kernel _ZN7rocprim17ROCPRIM_400000_NS6detail17trampoline_kernelINS0_13select_configILj256ELj13ELNS0_17block_load_methodE3ELS4_3ELS4_3ELNS0_20block_scan_algorithmE0ELj4294967295EEENS1_25partition_config_selectorILNS1_17partition_subalgoE3EjNS0_10empty_typeEbEEZZNS1_14partition_implILS8_3ELb0ES6_jNS0_17counting_iteratorIjlEEPS9_SE_NS0_5tupleIJPjSE_EEENSF_IJSE_SE_EEES9_SG_JZNS1_25segmented_radix_sort_implINS0_14default_configELb0EPKaPaPKlPlN2at6native12_GLOBAL__N_18offset_tEEE10hipError_tPvRmT1_PNSt15iterator_traitsISY_E10value_typeET2_T3_PNSZ_IS14_E10value_typeET4_jRbjT5_S1A_jjP12ihipStream_tbEUljE_EEESV_SW_SX_S14_S18_S1A_T6_T7_T9_mT8_S1C_bDpT10_ENKUlT_T0_E_clISt17integral_constantIbLb1EES1O_IbLb0EEEEDaS1K_S1L_EUlS1K_E_NS1_11comp_targetILNS1_3genE0ELNS1_11target_archE4294967295ELNS1_3gpuE0ELNS1_3repE0EEENS1_30default_config_static_selectorELNS0_4arch9wavefront6targetE1EEEvSY_
		.amdhsa_group_segment_fixed_size 0
		.amdhsa_private_segment_fixed_size 0
		.amdhsa_kernarg_size 144
		.amdhsa_user_sgpr_count 6
		.amdhsa_user_sgpr_private_segment_buffer 1
		.amdhsa_user_sgpr_dispatch_ptr 0
		.amdhsa_user_sgpr_queue_ptr 0
		.amdhsa_user_sgpr_kernarg_segment_ptr 1
		.amdhsa_user_sgpr_dispatch_id 0
		.amdhsa_user_sgpr_flat_scratch_init 0
		.amdhsa_user_sgpr_private_segment_size 0
		.amdhsa_uses_dynamic_stack 0
		.amdhsa_system_sgpr_private_segment_wavefront_offset 0
		.amdhsa_system_sgpr_workgroup_id_x 1
		.amdhsa_system_sgpr_workgroup_id_y 0
		.amdhsa_system_sgpr_workgroup_id_z 0
		.amdhsa_system_sgpr_workgroup_info 0
		.amdhsa_system_vgpr_workitem_id 0
		.amdhsa_next_free_vgpr 1
		.amdhsa_next_free_sgpr 0
		.amdhsa_reserve_vcc 0
		.amdhsa_reserve_flat_scratch 0
		.amdhsa_float_round_mode_32 0
		.amdhsa_float_round_mode_16_64 0
		.amdhsa_float_denorm_mode_32 3
		.amdhsa_float_denorm_mode_16_64 3
		.amdhsa_dx10_clamp 1
		.amdhsa_ieee_mode 1
		.amdhsa_fp16_overflow 0
		.amdhsa_exception_fp_ieee_invalid_op 0
		.amdhsa_exception_fp_denorm_src 0
		.amdhsa_exception_fp_ieee_div_zero 0
		.amdhsa_exception_fp_ieee_overflow 0
		.amdhsa_exception_fp_ieee_underflow 0
		.amdhsa_exception_fp_ieee_inexact 0
		.amdhsa_exception_int_div_zero 0
	.end_amdhsa_kernel
	.section	.text._ZN7rocprim17ROCPRIM_400000_NS6detail17trampoline_kernelINS0_13select_configILj256ELj13ELNS0_17block_load_methodE3ELS4_3ELS4_3ELNS0_20block_scan_algorithmE0ELj4294967295EEENS1_25partition_config_selectorILNS1_17partition_subalgoE3EjNS0_10empty_typeEbEEZZNS1_14partition_implILS8_3ELb0ES6_jNS0_17counting_iteratorIjlEEPS9_SE_NS0_5tupleIJPjSE_EEENSF_IJSE_SE_EEES9_SG_JZNS1_25segmented_radix_sort_implINS0_14default_configELb0EPKaPaPKlPlN2at6native12_GLOBAL__N_18offset_tEEE10hipError_tPvRmT1_PNSt15iterator_traitsISY_E10value_typeET2_T3_PNSZ_IS14_E10value_typeET4_jRbjT5_S1A_jjP12ihipStream_tbEUljE_EEESV_SW_SX_S14_S18_S1A_T6_T7_T9_mT8_S1C_bDpT10_ENKUlT_T0_E_clISt17integral_constantIbLb1EES1O_IbLb0EEEEDaS1K_S1L_EUlS1K_E_NS1_11comp_targetILNS1_3genE0ELNS1_11target_archE4294967295ELNS1_3gpuE0ELNS1_3repE0EEENS1_30default_config_static_selectorELNS0_4arch9wavefront6targetE1EEEvSY_,"axG",@progbits,_ZN7rocprim17ROCPRIM_400000_NS6detail17trampoline_kernelINS0_13select_configILj256ELj13ELNS0_17block_load_methodE3ELS4_3ELS4_3ELNS0_20block_scan_algorithmE0ELj4294967295EEENS1_25partition_config_selectorILNS1_17partition_subalgoE3EjNS0_10empty_typeEbEEZZNS1_14partition_implILS8_3ELb0ES6_jNS0_17counting_iteratorIjlEEPS9_SE_NS0_5tupleIJPjSE_EEENSF_IJSE_SE_EEES9_SG_JZNS1_25segmented_radix_sort_implINS0_14default_configELb0EPKaPaPKlPlN2at6native12_GLOBAL__N_18offset_tEEE10hipError_tPvRmT1_PNSt15iterator_traitsISY_E10value_typeET2_T3_PNSZ_IS14_E10value_typeET4_jRbjT5_S1A_jjP12ihipStream_tbEUljE_EEESV_SW_SX_S14_S18_S1A_T6_T7_T9_mT8_S1C_bDpT10_ENKUlT_T0_E_clISt17integral_constantIbLb1EES1O_IbLb0EEEEDaS1K_S1L_EUlS1K_E_NS1_11comp_targetILNS1_3genE0ELNS1_11target_archE4294967295ELNS1_3gpuE0ELNS1_3repE0EEENS1_30default_config_static_selectorELNS0_4arch9wavefront6targetE1EEEvSY_,comdat
.Lfunc_end377:
	.size	_ZN7rocprim17ROCPRIM_400000_NS6detail17trampoline_kernelINS0_13select_configILj256ELj13ELNS0_17block_load_methodE3ELS4_3ELS4_3ELNS0_20block_scan_algorithmE0ELj4294967295EEENS1_25partition_config_selectorILNS1_17partition_subalgoE3EjNS0_10empty_typeEbEEZZNS1_14partition_implILS8_3ELb0ES6_jNS0_17counting_iteratorIjlEEPS9_SE_NS0_5tupleIJPjSE_EEENSF_IJSE_SE_EEES9_SG_JZNS1_25segmented_radix_sort_implINS0_14default_configELb0EPKaPaPKlPlN2at6native12_GLOBAL__N_18offset_tEEE10hipError_tPvRmT1_PNSt15iterator_traitsISY_E10value_typeET2_T3_PNSZ_IS14_E10value_typeET4_jRbjT5_S1A_jjP12ihipStream_tbEUljE_EEESV_SW_SX_S14_S18_S1A_T6_T7_T9_mT8_S1C_bDpT10_ENKUlT_T0_E_clISt17integral_constantIbLb1EES1O_IbLb0EEEEDaS1K_S1L_EUlS1K_E_NS1_11comp_targetILNS1_3genE0ELNS1_11target_archE4294967295ELNS1_3gpuE0ELNS1_3repE0EEENS1_30default_config_static_selectorELNS0_4arch9wavefront6targetE1EEEvSY_, .Lfunc_end377-_ZN7rocprim17ROCPRIM_400000_NS6detail17trampoline_kernelINS0_13select_configILj256ELj13ELNS0_17block_load_methodE3ELS4_3ELS4_3ELNS0_20block_scan_algorithmE0ELj4294967295EEENS1_25partition_config_selectorILNS1_17partition_subalgoE3EjNS0_10empty_typeEbEEZZNS1_14partition_implILS8_3ELb0ES6_jNS0_17counting_iteratorIjlEEPS9_SE_NS0_5tupleIJPjSE_EEENSF_IJSE_SE_EEES9_SG_JZNS1_25segmented_radix_sort_implINS0_14default_configELb0EPKaPaPKlPlN2at6native12_GLOBAL__N_18offset_tEEE10hipError_tPvRmT1_PNSt15iterator_traitsISY_E10value_typeET2_T3_PNSZ_IS14_E10value_typeET4_jRbjT5_S1A_jjP12ihipStream_tbEUljE_EEESV_SW_SX_S14_S18_S1A_T6_T7_T9_mT8_S1C_bDpT10_ENKUlT_T0_E_clISt17integral_constantIbLb1EES1O_IbLb0EEEEDaS1K_S1L_EUlS1K_E_NS1_11comp_targetILNS1_3genE0ELNS1_11target_archE4294967295ELNS1_3gpuE0ELNS1_3repE0EEENS1_30default_config_static_selectorELNS0_4arch9wavefront6targetE1EEEvSY_
                                        ; -- End function
	.set _ZN7rocprim17ROCPRIM_400000_NS6detail17trampoline_kernelINS0_13select_configILj256ELj13ELNS0_17block_load_methodE3ELS4_3ELS4_3ELNS0_20block_scan_algorithmE0ELj4294967295EEENS1_25partition_config_selectorILNS1_17partition_subalgoE3EjNS0_10empty_typeEbEEZZNS1_14partition_implILS8_3ELb0ES6_jNS0_17counting_iteratorIjlEEPS9_SE_NS0_5tupleIJPjSE_EEENSF_IJSE_SE_EEES9_SG_JZNS1_25segmented_radix_sort_implINS0_14default_configELb0EPKaPaPKlPlN2at6native12_GLOBAL__N_18offset_tEEE10hipError_tPvRmT1_PNSt15iterator_traitsISY_E10value_typeET2_T3_PNSZ_IS14_E10value_typeET4_jRbjT5_S1A_jjP12ihipStream_tbEUljE_EEESV_SW_SX_S14_S18_S1A_T6_T7_T9_mT8_S1C_bDpT10_ENKUlT_T0_E_clISt17integral_constantIbLb1EES1O_IbLb0EEEEDaS1K_S1L_EUlS1K_E_NS1_11comp_targetILNS1_3genE0ELNS1_11target_archE4294967295ELNS1_3gpuE0ELNS1_3repE0EEENS1_30default_config_static_selectorELNS0_4arch9wavefront6targetE1EEEvSY_.num_vgpr, 0
	.set _ZN7rocprim17ROCPRIM_400000_NS6detail17trampoline_kernelINS0_13select_configILj256ELj13ELNS0_17block_load_methodE3ELS4_3ELS4_3ELNS0_20block_scan_algorithmE0ELj4294967295EEENS1_25partition_config_selectorILNS1_17partition_subalgoE3EjNS0_10empty_typeEbEEZZNS1_14partition_implILS8_3ELb0ES6_jNS0_17counting_iteratorIjlEEPS9_SE_NS0_5tupleIJPjSE_EEENSF_IJSE_SE_EEES9_SG_JZNS1_25segmented_radix_sort_implINS0_14default_configELb0EPKaPaPKlPlN2at6native12_GLOBAL__N_18offset_tEEE10hipError_tPvRmT1_PNSt15iterator_traitsISY_E10value_typeET2_T3_PNSZ_IS14_E10value_typeET4_jRbjT5_S1A_jjP12ihipStream_tbEUljE_EEESV_SW_SX_S14_S18_S1A_T6_T7_T9_mT8_S1C_bDpT10_ENKUlT_T0_E_clISt17integral_constantIbLb1EES1O_IbLb0EEEEDaS1K_S1L_EUlS1K_E_NS1_11comp_targetILNS1_3genE0ELNS1_11target_archE4294967295ELNS1_3gpuE0ELNS1_3repE0EEENS1_30default_config_static_selectorELNS0_4arch9wavefront6targetE1EEEvSY_.num_agpr, 0
	.set _ZN7rocprim17ROCPRIM_400000_NS6detail17trampoline_kernelINS0_13select_configILj256ELj13ELNS0_17block_load_methodE3ELS4_3ELS4_3ELNS0_20block_scan_algorithmE0ELj4294967295EEENS1_25partition_config_selectorILNS1_17partition_subalgoE3EjNS0_10empty_typeEbEEZZNS1_14partition_implILS8_3ELb0ES6_jNS0_17counting_iteratorIjlEEPS9_SE_NS0_5tupleIJPjSE_EEENSF_IJSE_SE_EEES9_SG_JZNS1_25segmented_radix_sort_implINS0_14default_configELb0EPKaPaPKlPlN2at6native12_GLOBAL__N_18offset_tEEE10hipError_tPvRmT1_PNSt15iterator_traitsISY_E10value_typeET2_T3_PNSZ_IS14_E10value_typeET4_jRbjT5_S1A_jjP12ihipStream_tbEUljE_EEESV_SW_SX_S14_S18_S1A_T6_T7_T9_mT8_S1C_bDpT10_ENKUlT_T0_E_clISt17integral_constantIbLb1EES1O_IbLb0EEEEDaS1K_S1L_EUlS1K_E_NS1_11comp_targetILNS1_3genE0ELNS1_11target_archE4294967295ELNS1_3gpuE0ELNS1_3repE0EEENS1_30default_config_static_selectorELNS0_4arch9wavefront6targetE1EEEvSY_.numbered_sgpr, 0
	.set _ZN7rocprim17ROCPRIM_400000_NS6detail17trampoline_kernelINS0_13select_configILj256ELj13ELNS0_17block_load_methodE3ELS4_3ELS4_3ELNS0_20block_scan_algorithmE0ELj4294967295EEENS1_25partition_config_selectorILNS1_17partition_subalgoE3EjNS0_10empty_typeEbEEZZNS1_14partition_implILS8_3ELb0ES6_jNS0_17counting_iteratorIjlEEPS9_SE_NS0_5tupleIJPjSE_EEENSF_IJSE_SE_EEES9_SG_JZNS1_25segmented_radix_sort_implINS0_14default_configELb0EPKaPaPKlPlN2at6native12_GLOBAL__N_18offset_tEEE10hipError_tPvRmT1_PNSt15iterator_traitsISY_E10value_typeET2_T3_PNSZ_IS14_E10value_typeET4_jRbjT5_S1A_jjP12ihipStream_tbEUljE_EEESV_SW_SX_S14_S18_S1A_T6_T7_T9_mT8_S1C_bDpT10_ENKUlT_T0_E_clISt17integral_constantIbLb1EES1O_IbLb0EEEEDaS1K_S1L_EUlS1K_E_NS1_11comp_targetILNS1_3genE0ELNS1_11target_archE4294967295ELNS1_3gpuE0ELNS1_3repE0EEENS1_30default_config_static_selectorELNS0_4arch9wavefront6targetE1EEEvSY_.num_named_barrier, 0
	.set _ZN7rocprim17ROCPRIM_400000_NS6detail17trampoline_kernelINS0_13select_configILj256ELj13ELNS0_17block_load_methodE3ELS4_3ELS4_3ELNS0_20block_scan_algorithmE0ELj4294967295EEENS1_25partition_config_selectorILNS1_17partition_subalgoE3EjNS0_10empty_typeEbEEZZNS1_14partition_implILS8_3ELb0ES6_jNS0_17counting_iteratorIjlEEPS9_SE_NS0_5tupleIJPjSE_EEENSF_IJSE_SE_EEES9_SG_JZNS1_25segmented_radix_sort_implINS0_14default_configELb0EPKaPaPKlPlN2at6native12_GLOBAL__N_18offset_tEEE10hipError_tPvRmT1_PNSt15iterator_traitsISY_E10value_typeET2_T3_PNSZ_IS14_E10value_typeET4_jRbjT5_S1A_jjP12ihipStream_tbEUljE_EEESV_SW_SX_S14_S18_S1A_T6_T7_T9_mT8_S1C_bDpT10_ENKUlT_T0_E_clISt17integral_constantIbLb1EES1O_IbLb0EEEEDaS1K_S1L_EUlS1K_E_NS1_11comp_targetILNS1_3genE0ELNS1_11target_archE4294967295ELNS1_3gpuE0ELNS1_3repE0EEENS1_30default_config_static_selectorELNS0_4arch9wavefront6targetE1EEEvSY_.private_seg_size, 0
	.set _ZN7rocprim17ROCPRIM_400000_NS6detail17trampoline_kernelINS0_13select_configILj256ELj13ELNS0_17block_load_methodE3ELS4_3ELS4_3ELNS0_20block_scan_algorithmE0ELj4294967295EEENS1_25partition_config_selectorILNS1_17partition_subalgoE3EjNS0_10empty_typeEbEEZZNS1_14partition_implILS8_3ELb0ES6_jNS0_17counting_iteratorIjlEEPS9_SE_NS0_5tupleIJPjSE_EEENSF_IJSE_SE_EEES9_SG_JZNS1_25segmented_radix_sort_implINS0_14default_configELb0EPKaPaPKlPlN2at6native12_GLOBAL__N_18offset_tEEE10hipError_tPvRmT1_PNSt15iterator_traitsISY_E10value_typeET2_T3_PNSZ_IS14_E10value_typeET4_jRbjT5_S1A_jjP12ihipStream_tbEUljE_EEESV_SW_SX_S14_S18_S1A_T6_T7_T9_mT8_S1C_bDpT10_ENKUlT_T0_E_clISt17integral_constantIbLb1EES1O_IbLb0EEEEDaS1K_S1L_EUlS1K_E_NS1_11comp_targetILNS1_3genE0ELNS1_11target_archE4294967295ELNS1_3gpuE0ELNS1_3repE0EEENS1_30default_config_static_selectorELNS0_4arch9wavefront6targetE1EEEvSY_.uses_vcc, 0
	.set _ZN7rocprim17ROCPRIM_400000_NS6detail17trampoline_kernelINS0_13select_configILj256ELj13ELNS0_17block_load_methodE3ELS4_3ELS4_3ELNS0_20block_scan_algorithmE0ELj4294967295EEENS1_25partition_config_selectorILNS1_17partition_subalgoE3EjNS0_10empty_typeEbEEZZNS1_14partition_implILS8_3ELb0ES6_jNS0_17counting_iteratorIjlEEPS9_SE_NS0_5tupleIJPjSE_EEENSF_IJSE_SE_EEES9_SG_JZNS1_25segmented_radix_sort_implINS0_14default_configELb0EPKaPaPKlPlN2at6native12_GLOBAL__N_18offset_tEEE10hipError_tPvRmT1_PNSt15iterator_traitsISY_E10value_typeET2_T3_PNSZ_IS14_E10value_typeET4_jRbjT5_S1A_jjP12ihipStream_tbEUljE_EEESV_SW_SX_S14_S18_S1A_T6_T7_T9_mT8_S1C_bDpT10_ENKUlT_T0_E_clISt17integral_constantIbLb1EES1O_IbLb0EEEEDaS1K_S1L_EUlS1K_E_NS1_11comp_targetILNS1_3genE0ELNS1_11target_archE4294967295ELNS1_3gpuE0ELNS1_3repE0EEENS1_30default_config_static_selectorELNS0_4arch9wavefront6targetE1EEEvSY_.uses_flat_scratch, 0
	.set _ZN7rocprim17ROCPRIM_400000_NS6detail17trampoline_kernelINS0_13select_configILj256ELj13ELNS0_17block_load_methodE3ELS4_3ELS4_3ELNS0_20block_scan_algorithmE0ELj4294967295EEENS1_25partition_config_selectorILNS1_17partition_subalgoE3EjNS0_10empty_typeEbEEZZNS1_14partition_implILS8_3ELb0ES6_jNS0_17counting_iteratorIjlEEPS9_SE_NS0_5tupleIJPjSE_EEENSF_IJSE_SE_EEES9_SG_JZNS1_25segmented_radix_sort_implINS0_14default_configELb0EPKaPaPKlPlN2at6native12_GLOBAL__N_18offset_tEEE10hipError_tPvRmT1_PNSt15iterator_traitsISY_E10value_typeET2_T3_PNSZ_IS14_E10value_typeET4_jRbjT5_S1A_jjP12ihipStream_tbEUljE_EEESV_SW_SX_S14_S18_S1A_T6_T7_T9_mT8_S1C_bDpT10_ENKUlT_T0_E_clISt17integral_constantIbLb1EES1O_IbLb0EEEEDaS1K_S1L_EUlS1K_E_NS1_11comp_targetILNS1_3genE0ELNS1_11target_archE4294967295ELNS1_3gpuE0ELNS1_3repE0EEENS1_30default_config_static_selectorELNS0_4arch9wavefront6targetE1EEEvSY_.has_dyn_sized_stack, 0
	.set _ZN7rocprim17ROCPRIM_400000_NS6detail17trampoline_kernelINS0_13select_configILj256ELj13ELNS0_17block_load_methodE3ELS4_3ELS4_3ELNS0_20block_scan_algorithmE0ELj4294967295EEENS1_25partition_config_selectorILNS1_17partition_subalgoE3EjNS0_10empty_typeEbEEZZNS1_14partition_implILS8_3ELb0ES6_jNS0_17counting_iteratorIjlEEPS9_SE_NS0_5tupleIJPjSE_EEENSF_IJSE_SE_EEES9_SG_JZNS1_25segmented_radix_sort_implINS0_14default_configELb0EPKaPaPKlPlN2at6native12_GLOBAL__N_18offset_tEEE10hipError_tPvRmT1_PNSt15iterator_traitsISY_E10value_typeET2_T3_PNSZ_IS14_E10value_typeET4_jRbjT5_S1A_jjP12ihipStream_tbEUljE_EEESV_SW_SX_S14_S18_S1A_T6_T7_T9_mT8_S1C_bDpT10_ENKUlT_T0_E_clISt17integral_constantIbLb1EES1O_IbLb0EEEEDaS1K_S1L_EUlS1K_E_NS1_11comp_targetILNS1_3genE0ELNS1_11target_archE4294967295ELNS1_3gpuE0ELNS1_3repE0EEENS1_30default_config_static_selectorELNS0_4arch9wavefront6targetE1EEEvSY_.has_recursion, 0
	.set _ZN7rocprim17ROCPRIM_400000_NS6detail17trampoline_kernelINS0_13select_configILj256ELj13ELNS0_17block_load_methodE3ELS4_3ELS4_3ELNS0_20block_scan_algorithmE0ELj4294967295EEENS1_25partition_config_selectorILNS1_17partition_subalgoE3EjNS0_10empty_typeEbEEZZNS1_14partition_implILS8_3ELb0ES6_jNS0_17counting_iteratorIjlEEPS9_SE_NS0_5tupleIJPjSE_EEENSF_IJSE_SE_EEES9_SG_JZNS1_25segmented_radix_sort_implINS0_14default_configELb0EPKaPaPKlPlN2at6native12_GLOBAL__N_18offset_tEEE10hipError_tPvRmT1_PNSt15iterator_traitsISY_E10value_typeET2_T3_PNSZ_IS14_E10value_typeET4_jRbjT5_S1A_jjP12ihipStream_tbEUljE_EEESV_SW_SX_S14_S18_S1A_T6_T7_T9_mT8_S1C_bDpT10_ENKUlT_T0_E_clISt17integral_constantIbLb1EES1O_IbLb0EEEEDaS1K_S1L_EUlS1K_E_NS1_11comp_targetILNS1_3genE0ELNS1_11target_archE4294967295ELNS1_3gpuE0ELNS1_3repE0EEENS1_30default_config_static_selectorELNS0_4arch9wavefront6targetE1EEEvSY_.has_indirect_call, 0
	.section	.AMDGPU.csdata,"",@progbits
; Kernel info:
; codeLenInByte = 0
; TotalNumSgprs: 4
; NumVgprs: 0
; ScratchSize: 0
; MemoryBound: 0
; FloatMode: 240
; IeeeMode: 1
; LDSByteSize: 0 bytes/workgroup (compile time only)
; SGPRBlocks: 0
; VGPRBlocks: 0
; NumSGPRsForWavesPerEU: 4
; NumVGPRsForWavesPerEU: 1
; Occupancy: 10
; WaveLimiterHint : 0
; COMPUTE_PGM_RSRC2:SCRATCH_EN: 0
; COMPUTE_PGM_RSRC2:USER_SGPR: 6
; COMPUTE_PGM_RSRC2:TRAP_HANDLER: 0
; COMPUTE_PGM_RSRC2:TGID_X_EN: 1
; COMPUTE_PGM_RSRC2:TGID_Y_EN: 0
; COMPUTE_PGM_RSRC2:TGID_Z_EN: 0
; COMPUTE_PGM_RSRC2:TIDIG_COMP_CNT: 0
	.section	.text._ZN7rocprim17ROCPRIM_400000_NS6detail17trampoline_kernelINS0_13select_configILj256ELj13ELNS0_17block_load_methodE3ELS4_3ELS4_3ELNS0_20block_scan_algorithmE0ELj4294967295EEENS1_25partition_config_selectorILNS1_17partition_subalgoE3EjNS0_10empty_typeEbEEZZNS1_14partition_implILS8_3ELb0ES6_jNS0_17counting_iteratorIjlEEPS9_SE_NS0_5tupleIJPjSE_EEENSF_IJSE_SE_EEES9_SG_JZNS1_25segmented_radix_sort_implINS0_14default_configELb0EPKaPaPKlPlN2at6native12_GLOBAL__N_18offset_tEEE10hipError_tPvRmT1_PNSt15iterator_traitsISY_E10value_typeET2_T3_PNSZ_IS14_E10value_typeET4_jRbjT5_S1A_jjP12ihipStream_tbEUljE_EEESV_SW_SX_S14_S18_S1A_T6_T7_T9_mT8_S1C_bDpT10_ENKUlT_T0_E_clISt17integral_constantIbLb1EES1O_IbLb0EEEEDaS1K_S1L_EUlS1K_E_NS1_11comp_targetILNS1_3genE5ELNS1_11target_archE942ELNS1_3gpuE9ELNS1_3repE0EEENS1_30default_config_static_selectorELNS0_4arch9wavefront6targetE1EEEvSY_,"axG",@progbits,_ZN7rocprim17ROCPRIM_400000_NS6detail17trampoline_kernelINS0_13select_configILj256ELj13ELNS0_17block_load_methodE3ELS4_3ELS4_3ELNS0_20block_scan_algorithmE0ELj4294967295EEENS1_25partition_config_selectorILNS1_17partition_subalgoE3EjNS0_10empty_typeEbEEZZNS1_14partition_implILS8_3ELb0ES6_jNS0_17counting_iteratorIjlEEPS9_SE_NS0_5tupleIJPjSE_EEENSF_IJSE_SE_EEES9_SG_JZNS1_25segmented_radix_sort_implINS0_14default_configELb0EPKaPaPKlPlN2at6native12_GLOBAL__N_18offset_tEEE10hipError_tPvRmT1_PNSt15iterator_traitsISY_E10value_typeET2_T3_PNSZ_IS14_E10value_typeET4_jRbjT5_S1A_jjP12ihipStream_tbEUljE_EEESV_SW_SX_S14_S18_S1A_T6_T7_T9_mT8_S1C_bDpT10_ENKUlT_T0_E_clISt17integral_constantIbLb1EES1O_IbLb0EEEEDaS1K_S1L_EUlS1K_E_NS1_11comp_targetILNS1_3genE5ELNS1_11target_archE942ELNS1_3gpuE9ELNS1_3repE0EEENS1_30default_config_static_selectorELNS0_4arch9wavefront6targetE1EEEvSY_,comdat
	.globl	_ZN7rocprim17ROCPRIM_400000_NS6detail17trampoline_kernelINS0_13select_configILj256ELj13ELNS0_17block_load_methodE3ELS4_3ELS4_3ELNS0_20block_scan_algorithmE0ELj4294967295EEENS1_25partition_config_selectorILNS1_17partition_subalgoE3EjNS0_10empty_typeEbEEZZNS1_14partition_implILS8_3ELb0ES6_jNS0_17counting_iteratorIjlEEPS9_SE_NS0_5tupleIJPjSE_EEENSF_IJSE_SE_EEES9_SG_JZNS1_25segmented_radix_sort_implINS0_14default_configELb0EPKaPaPKlPlN2at6native12_GLOBAL__N_18offset_tEEE10hipError_tPvRmT1_PNSt15iterator_traitsISY_E10value_typeET2_T3_PNSZ_IS14_E10value_typeET4_jRbjT5_S1A_jjP12ihipStream_tbEUljE_EEESV_SW_SX_S14_S18_S1A_T6_T7_T9_mT8_S1C_bDpT10_ENKUlT_T0_E_clISt17integral_constantIbLb1EES1O_IbLb0EEEEDaS1K_S1L_EUlS1K_E_NS1_11comp_targetILNS1_3genE5ELNS1_11target_archE942ELNS1_3gpuE9ELNS1_3repE0EEENS1_30default_config_static_selectorELNS0_4arch9wavefront6targetE1EEEvSY_ ; -- Begin function _ZN7rocprim17ROCPRIM_400000_NS6detail17trampoline_kernelINS0_13select_configILj256ELj13ELNS0_17block_load_methodE3ELS4_3ELS4_3ELNS0_20block_scan_algorithmE0ELj4294967295EEENS1_25partition_config_selectorILNS1_17partition_subalgoE3EjNS0_10empty_typeEbEEZZNS1_14partition_implILS8_3ELb0ES6_jNS0_17counting_iteratorIjlEEPS9_SE_NS0_5tupleIJPjSE_EEENSF_IJSE_SE_EEES9_SG_JZNS1_25segmented_radix_sort_implINS0_14default_configELb0EPKaPaPKlPlN2at6native12_GLOBAL__N_18offset_tEEE10hipError_tPvRmT1_PNSt15iterator_traitsISY_E10value_typeET2_T3_PNSZ_IS14_E10value_typeET4_jRbjT5_S1A_jjP12ihipStream_tbEUljE_EEESV_SW_SX_S14_S18_S1A_T6_T7_T9_mT8_S1C_bDpT10_ENKUlT_T0_E_clISt17integral_constantIbLb1EES1O_IbLb0EEEEDaS1K_S1L_EUlS1K_E_NS1_11comp_targetILNS1_3genE5ELNS1_11target_archE942ELNS1_3gpuE9ELNS1_3repE0EEENS1_30default_config_static_selectorELNS0_4arch9wavefront6targetE1EEEvSY_
	.p2align	8
	.type	_ZN7rocprim17ROCPRIM_400000_NS6detail17trampoline_kernelINS0_13select_configILj256ELj13ELNS0_17block_load_methodE3ELS4_3ELS4_3ELNS0_20block_scan_algorithmE0ELj4294967295EEENS1_25partition_config_selectorILNS1_17partition_subalgoE3EjNS0_10empty_typeEbEEZZNS1_14partition_implILS8_3ELb0ES6_jNS0_17counting_iteratorIjlEEPS9_SE_NS0_5tupleIJPjSE_EEENSF_IJSE_SE_EEES9_SG_JZNS1_25segmented_radix_sort_implINS0_14default_configELb0EPKaPaPKlPlN2at6native12_GLOBAL__N_18offset_tEEE10hipError_tPvRmT1_PNSt15iterator_traitsISY_E10value_typeET2_T3_PNSZ_IS14_E10value_typeET4_jRbjT5_S1A_jjP12ihipStream_tbEUljE_EEESV_SW_SX_S14_S18_S1A_T6_T7_T9_mT8_S1C_bDpT10_ENKUlT_T0_E_clISt17integral_constantIbLb1EES1O_IbLb0EEEEDaS1K_S1L_EUlS1K_E_NS1_11comp_targetILNS1_3genE5ELNS1_11target_archE942ELNS1_3gpuE9ELNS1_3repE0EEENS1_30default_config_static_selectorELNS0_4arch9wavefront6targetE1EEEvSY_,@function
_ZN7rocprim17ROCPRIM_400000_NS6detail17trampoline_kernelINS0_13select_configILj256ELj13ELNS0_17block_load_methodE3ELS4_3ELS4_3ELNS0_20block_scan_algorithmE0ELj4294967295EEENS1_25partition_config_selectorILNS1_17partition_subalgoE3EjNS0_10empty_typeEbEEZZNS1_14partition_implILS8_3ELb0ES6_jNS0_17counting_iteratorIjlEEPS9_SE_NS0_5tupleIJPjSE_EEENSF_IJSE_SE_EEES9_SG_JZNS1_25segmented_radix_sort_implINS0_14default_configELb0EPKaPaPKlPlN2at6native12_GLOBAL__N_18offset_tEEE10hipError_tPvRmT1_PNSt15iterator_traitsISY_E10value_typeET2_T3_PNSZ_IS14_E10value_typeET4_jRbjT5_S1A_jjP12ihipStream_tbEUljE_EEESV_SW_SX_S14_S18_S1A_T6_T7_T9_mT8_S1C_bDpT10_ENKUlT_T0_E_clISt17integral_constantIbLb1EES1O_IbLb0EEEEDaS1K_S1L_EUlS1K_E_NS1_11comp_targetILNS1_3genE5ELNS1_11target_archE942ELNS1_3gpuE9ELNS1_3repE0EEENS1_30default_config_static_selectorELNS0_4arch9wavefront6targetE1EEEvSY_: ; @_ZN7rocprim17ROCPRIM_400000_NS6detail17trampoline_kernelINS0_13select_configILj256ELj13ELNS0_17block_load_methodE3ELS4_3ELS4_3ELNS0_20block_scan_algorithmE0ELj4294967295EEENS1_25partition_config_selectorILNS1_17partition_subalgoE3EjNS0_10empty_typeEbEEZZNS1_14partition_implILS8_3ELb0ES6_jNS0_17counting_iteratorIjlEEPS9_SE_NS0_5tupleIJPjSE_EEENSF_IJSE_SE_EEES9_SG_JZNS1_25segmented_radix_sort_implINS0_14default_configELb0EPKaPaPKlPlN2at6native12_GLOBAL__N_18offset_tEEE10hipError_tPvRmT1_PNSt15iterator_traitsISY_E10value_typeET2_T3_PNSZ_IS14_E10value_typeET4_jRbjT5_S1A_jjP12ihipStream_tbEUljE_EEESV_SW_SX_S14_S18_S1A_T6_T7_T9_mT8_S1C_bDpT10_ENKUlT_T0_E_clISt17integral_constantIbLb1EES1O_IbLb0EEEEDaS1K_S1L_EUlS1K_E_NS1_11comp_targetILNS1_3genE5ELNS1_11target_archE942ELNS1_3gpuE9ELNS1_3repE0EEENS1_30default_config_static_selectorELNS0_4arch9wavefront6targetE1EEEvSY_
; %bb.0:
	.section	.rodata,"a",@progbits
	.p2align	6, 0x0
	.amdhsa_kernel _ZN7rocprim17ROCPRIM_400000_NS6detail17trampoline_kernelINS0_13select_configILj256ELj13ELNS0_17block_load_methodE3ELS4_3ELS4_3ELNS0_20block_scan_algorithmE0ELj4294967295EEENS1_25partition_config_selectorILNS1_17partition_subalgoE3EjNS0_10empty_typeEbEEZZNS1_14partition_implILS8_3ELb0ES6_jNS0_17counting_iteratorIjlEEPS9_SE_NS0_5tupleIJPjSE_EEENSF_IJSE_SE_EEES9_SG_JZNS1_25segmented_radix_sort_implINS0_14default_configELb0EPKaPaPKlPlN2at6native12_GLOBAL__N_18offset_tEEE10hipError_tPvRmT1_PNSt15iterator_traitsISY_E10value_typeET2_T3_PNSZ_IS14_E10value_typeET4_jRbjT5_S1A_jjP12ihipStream_tbEUljE_EEESV_SW_SX_S14_S18_S1A_T6_T7_T9_mT8_S1C_bDpT10_ENKUlT_T0_E_clISt17integral_constantIbLb1EES1O_IbLb0EEEEDaS1K_S1L_EUlS1K_E_NS1_11comp_targetILNS1_3genE5ELNS1_11target_archE942ELNS1_3gpuE9ELNS1_3repE0EEENS1_30default_config_static_selectorELNS0_4arch9wavefront6targetE1EEEvSY_
		.amdhsa_group_segment_fixed_size 0
		.amdhsa_private_segment_fixed_size 0
		.amdhsa_kernarg_size 144
		.amdhsa_user_sgpr_count 6
		.amdhsa_user_sgpr_private_segment_buffer 1
		.amdhsa_user_sgpr_dispatch_ptr 0
		.amdhsa_user_sgpr_queue_ptr 0
		.amdhsa_user_sgpr_kernarg_segment_ptr 1
		.amdhsa_user_sgpr_dispatch_id 0
		.amdhsa_user_sgpr_flat_scratch_init 0
		.amdhsa_user_sgpr_private_segment_size 0
		.amdhsa_uses_dynamic_stack 0
		.amdhsa_system_sgpr_private_segment_wavefront_offset 0
		.amdhsa_system_sgpr_workgroup_id_x 1
		.amdhsa_system_sgpr_workgroup_id_y 0
		.amdhsa_system_sgpr_workgroup_id_z 0
		.amdhsa_system_sgpr_workgroup_info 0
		.amdhsa_system_vgpr_workitem_id 0
		.amdhsa_next_free_vgpr 1
		.amdhsa_next_free_sgpr 0
		.amdhsa_reserve_vcc 0
		.amdhsa_reserve_flat_scratch 0
		.amdhsa_float_round_mode_32 0
		.amdhsa_float_round_mode_16_64 0
		.amdhsa_float_denorm_mode_32 3
		.amdhsa_float_denorm_mode_16_64 3
		.amdhsa_dx10_clamp 1
		.amdhsa_ieee_mode 1
		.amdhsa_fp16_overflow 0
		.amdhsa_exception_fp_ieee_invalid_op 0
		.amdhsa_exception_fp_denorm_src 0
		.amdhsa_exception_fp_ieee_div_zero 0
		.amdhsa_exception_fp_ieee_overflow 0
		.amdhsa_exception_fp_ieee_underflow 0
		.amdhsa_exception_fp_ieee_inexact 0
		.amdhsa_exception_int_div_zero 0
	.end_amdhsa_kernel
	.section	.text._ZN7rocprim17ROCPRIM_400000_NS6detail17trampoline_kernelINS0_13select_configILj256ELj13ELNS0_17block_load_methodE3ELS4_3ELS4_3ELNS0_20block_scan_algorithmE0ELj4294967295EEENS1_25partition_config_selectorILNS1_17partition_subalgoE3EjNS0_10empty_typeEbEEZZNS1_14partition_implILS8_3ELb0ES6_jNS0_17counting_iteratorIjlEEPS9_SE_NS0_5tupleIJPjSE_EEENSF_IJSE_SE_EEES9_SG_JZNS1_25segmented_radix_sort_implINS0_14default_configELb0EPKaPaPKlPlN2at6native12_GLOBAL__N_18offset_tEEE10hipError_tPvRmT1_PNSt15iterator_traitsISY_E10value_typeET2_T3_PNSZ_IS14_E10value_typeET4_jRbjT5_S1A_jjP12ihipStream_tbEUljE_EEESV_SW_SX_S14_S18_S1A_T6_T7_T9_mT8_S1C_bDpT10_ENKUlT_T0_E_clISt17integral_constantIbLb1EES1O_IbLb0EEEEDaS1K_S1L_EUlS1K_E_NS1_11comp_targetILNS1_3genE5ELNS1_11target_archE942ELNS1_3gpuE9ELNS1_3repE0EEENS1_30default_config_static_selectorELNS0_4arch9wavefront6targetE1EEEvSY_,"axG",@progbits,_ZN7rocprim17ROCPRIM_400000_NS6detail17trampoline_kernelINS0_13select_configILj256ELj13ELNS0_17block_load_methodE3ELS4_3ELS4_3ELNS0_20block_scan_algorithmE0ELj4294967295EEENS1_25partition_config_selectorILNS1_17partition_subalgoE3EjNS0_10empty_typeEbEEZZNS1_14partition_implILS8_3ELb0ES6_jNS0_17counting_iteratorIjlEEPS9_SE_NS0_5tupleIJPjSE_EEENSF_IJSE_SE_EEES9_SG_JZNS1_25segmented_radix_sort_implINS0_14default_configELb0EPKaPaPKlPlN2at6native12_GLOBAL__N_18offset_tEEE10hipError_tPvRmT1_PNSt15iterator_traitsISY_E10value_typeET2_T3_PNSZ_IS14_E10value_typeET4_jRbjT5_S1A_jjP12ihipStream_tbEUljE_EEESV_SW_SX_S14_S18_S1A_T6_T7_T9_mT8_S1C_bDpT10_ENKUlT_T0_E_clISt17integral_constantIbLb1EES1O_IbLb0EEEEDaS1K_S1L_EUlS1K_E_NS1_11comp_targetILNS1_3genE5ELNS1_11target_archE942ELNS1_3gpuE9ELNS1_3repE0EEENS1_30default_config_static_selectorELNS0_4arch9wavefront6targetE1EEEvSY_,comdat
.Lfunc_end378:
	.size	_ZN7rocprim17ROCPRIM_400000_NS6detail17trampoline_kernelINS0_13select_configILj256ELj13ELNS0_17block_load_methodE3ELS4_3ELS4_3ELNS0_20block_scan_algorithmE0ELj4294967295EEENS1_25partition_config_selectorILNS1_17partition_subalgoE3EjNS0_10empty_typeEbEEZZNS1_14partition_implILS8_3ELb0ES6_jNS0_17counting_iteratorIjlEEPS9_SE_NS0_5tupleIJPjSE_EEENSF_IJSE_SE_EEES9_SG_JZNS1_25segmented_radix_sort_implINS0_14default_configELb0EPKaPaPKlPlN2at6native12_GLOBAL__N_18offset_tEEE10hipError_tPvRmT1_PNSt15iterator_traitsISY_E10value_typeET2_T3_PNSZ_IS14_E10value_typeET4_jRbjT5_S1A_jjP12ihipStream_tbEUljE_EEESV_SW_SX_S14_S18_S1A_T6_T7_T9_mT8_S1C_bDpT10_ENKUlT_T0_E_clISt17integral_constantIbLb1EES1O_IbLb0EEEEDaS1K_S1L_EUlS1K_E_NS1_11comp_targetILNS1_3genE5ELNS1_11target_archE942ELNS1_3gpuE9ELNS1_3repE0EEENS1_30default_config_static_selectorELNS0_4arch9wavefront6targetE1EEEvSY_, .Lfunc_end378-_ZN7rocprim17ROCPRIM_400000_NS6detail17trampoline_kernelINS0_13select_configILj256ELj13ELNS0_17block_load_methodE3ELS4_3ELS4_3ELNS0_20block_scan_algorithmE0ELj4294967295EEENS1_25partition_config_selectorILNS1_17partition_subalgoE3EjNS0_10empty_typeEbEEZZNS1_14partition_implILS8_3ELb0ES6_jNS0_17counting_iteratorIjlEEPS9_SE_NS0_5tupleIJPjSE_EEENSF_IJSE_SE_EEES9_SG_JZNS1_25segmented_radix_sort_implINS0_14default_configELb0EPKaPaPKlPlN2at6native12_GLOBAL__N_18offset_tEEE10hipError_tPvRmT1_PNSt15iterator_traitsISY_E10value_typeET2_T3_PNSZ_IS14_E10value_typeET4_jRbjT5_S1A_jjP12ihipStream_tbEUljE_EEESV_SW_SX_S14_S18_S1A_T6_T7_T9_mT8_S1C_bDpT10_ENKUlT_T0_E_clISt17integral_constantIbLb1EES1O_IbLb0EEEEDaS1K_S1L_EUlS1K_E_NS1_11comp_targetILNS1_3genE5ELNS1_11target_archE942ELNS1_3gpuE9ELNS1_3repE0EEENS1_30default_config_static_selectorELNS0_4arch9wavefront6targetE1EEEvSY_
                                        ; -- End function
	.set _ZN7rocprim17ROCPRIM_400000_NS6detail17trampoline_kernelINS0_13select_configILj256ELj13ELNS0_17block_load_methodE3ELS4_3ELS4_3ELNS0_20block_scan_algorithmE0ELj4294967295EEENS1_25partition_config_selectorILNS1_17partition_subalgoE3EjNS0_10empty_typeEbEEZZNS1_14partition_implILS8_3ELb0ES6_jNS0_17counting_iteratorIjlEEPS9_SE_NS0_5tupleIJPjSE_EEENSF_IJSE_SE_EEES9_SG_JZNS1_25segmented_radix_sort_implINS0_14default_configELb0EPKaPaPKlPlN2at6native12_GLOBAL__N_18offset_tEEE10hipError_tPvRmT1_PNSt15iterator_traitsISY_E10value_typeET2_T3_PNSZ_IS14_E10value_typeET4_jRbjT5_S1A_jjP12ihipStream_tbEUljE_EEESV_SW_SX_S14_S18_S1A_T6_T7_T9_mT8_S1C_bDpT10_ENKUlT_T0_E_clISt17integral_constantIbLb1EES1O_IbLb0EEEEDaS1K_S1L_EUlS1K_E_NS1_11comp_targetILNS1_3genE5ELNS1_11target_archE942ELNS1_3gpuE9ELNS1_3repE0EEENS1_30default_config_static_selectorELNS0_4arch9wavefront6targetE1EEEvSY_.num_vgpr, 0
	.set _ZN7rocprim17ROCPRIM_400000_NS6detail17trampoline_kernelINS0_13select_configILj256ELj13ELNS0_17block_load_methodE3ELS4_3ELS4_3ELNS0_20block_scan_algorithmE0ELj4294967295EEENS1_25partition_config_selectorILNS1_17partition_subalgoE3EjNS0_10empty_typeEbEEZZNS1_14partition_implILS8_3ELb0ES6_jNS0_17counting_iteratorIjlEEPS9_SE_NS0_5tupleIJPjSE_EEENSF_IJSE_SE_EEES9_SG_JZNS1_25segmented_radix_sort_implINS0_14default_configELb0EPKaPaPKlPlN2at6native12_GLOBAL__N_18offset_tEEE10hipError_tPvRmT1_PNSt15iterator_traitsISY_E10value_typeET2_T3_PNSZ_IS14_E10value_typeET4_jRbjT5_S1A_jjP12ihipStream_tbEUljE_EEESV_SW_SX_S14_S18_S1A_T6_T7_T9_mT8_S1C_bDpT10_ENKUlT_T0_E_clISt17integral_constantIbLb1EES1O_IbLb0EEEEDaS1K_S1L_EUlS1K_E_NS1_11comp_targetILNS1_3genE5ELNS1_11target_archE942ELNS1_3gpuE9ELNS1_3repE0EEENS1_30default_config_static_selectorELNS0_4arch9wavefront6targetE1EEEvSY_.num_agpr, 0
	.set _ZN7rocprim17ROCPRIM_400000_NS6detail17trampoline_kernelINS0_13select_configILj256ELj13ELNS0_17block_load_methodE3ELS4_3ELS4_3ELNS0_20block_scan_algorithmE0ELj4294967295EEENS1_25partition_config_selectorILNS1_17partition_subalgoE3EjNS0_10empty_typeEbEEZZNS1_14partition_implILS8_3ELb0ES6_jNS0_17counting_iteratorIjlEEPS9_SE_NS0_5tupleIJPjSE_EEENSF_IJSE_SE_EEES9_SG_JZNS1_25segmented_radix_sort_implINS0_14default_configELb0EPKaPaPKlPlN2at6native12_GLOBAL__N_18offset_tEEE10hipError_tPvRmT1_PNSt15iterator_traitsISY_E10value_typeET2_T3_PNSZ_IS14_E10value_typeET4_jRbjT5_S1A_jjP12ihipStream_tbEUljE_EEESV_SW_SX_S14_S18_S1A_T6_T7_T9_mT8_S1C_bDpT10_ENKUlT_T0_E_clISt17integral_constantIbLb1EES1O_IbLb0EEEEDaS1K_S1L_EUlS1K_E_NS1_11comp_targetILNS1_3genE5ELNS1_11target_archE942ELNS1_3gpuE9ELNS1_3repE0EEENS1_30default_config_static_selectorELNS0_4arch9wavefront6targetE1EEEvSY_.numbered_sgpr, 0
	.set _ZN7rocprim17ROCPRIM_400000_NS6detail17trampoline_kernelINS0_13select_configILj256ELj13ELNS0_17block_load_methodE3ELS4_3ELS4_3ELNS0_20block_scan_algorithmE0ELj4294967295EEENS1_25partition_config_selectorILNS1_17partition_subalgoE3EjNS0_10empty_typeEbEEZZNS1_14partition_implILS8_3ELb0ES6_jNS0_17counting_iteratorIjlEEPS9_SE_NS0_5tupleIJPjSE_EEENSF_IJSE_SE_EEES9_SG_JZNS1_25segmented_radix_sort_implINS0_14default_configELb0EPKaPaPKlPlN2at6native12_GLOBAL__N_18offset_tEEE10hipError_tPvRmT1_PNSt15iterator_traitsISY_E10value_typeET2_T3_PNSZ_IS14_E10value_typeET4_jRbjT5_S1A_jjP12ihipStream_tbEUljE_EEESV_SW_SX_S14_S18_S1A_T6_T7_T9_mT8_S1C_bDpT10_ENKUlT_T0_E_clISt17integral_constantIbLb1EES1O_IbLb0EEEEDaS1K_S1L_EUlS1K_E_NS1_11comp_targetILNS1_3genE5ELNS1_11target_archE942ELNS1_3gpuE9ELNS1_3repE0EEENS1_30default_config_static_selectorELNS0_4arch9wavefront6targetE1EEEvSY_.num_named_barrier, 0
	.set _ZN7rocprim17ROCPRIM_400000_NS6detail17trampoline_kernelINS0_13select_configILj256ELj13ELNS0_17block_load_methodE3ELS4_3ELS4_3ELNS0_20block_scan_algorithmE0ELj4294967295EEENS1_25partition_config_selectorILNS1_17partition_subalgoE3EjNS0_10empty_typeEbEEZZNS1_14partition_implILS8_3ELb0ES6_jNS0_17counting_iteratorIjlEEPS9_SE_NS0_5tupleIJPjSE_EEENSF_IJSE_SE_EEES9_SG_JZNS1_25segmented_radix_sort_implINS0_14default_configELb0EPKaPaPKlPlN2at6native12_GLOBAL__N_18offset_tEEE10hipError_tPvRmT1_PNSt15iterator_traitsISY_E10value_typeET2_T3_PNSZ_IS14_E10value_typeET4_jRbjT5_S1A_jjP12ihipStream_tbEUljE_EEESV_SW_SX_S14_S18_S1A_T6_T7_T9_mT8_S1C_bDpT10_ENKUlT_T0_E_clISt17integral_constantIbLb1EES1O_IbLb0EEEEDaS1K_S1L_EUlS1K_E_NS1_11comp_targetILNS1_3genE5ELNS1_11target_archE942ELNS1_3gpuE9ELNS1_3repE0EEENS1_30default_config_static_selectorELNS0_4arch9wavefront6targetE1EEEvSY_.private_seg_size, 0
	.set _ZN7rocprim17ROCPRIM_400000_NS6detail17trampoline_kernelINS0_13select_configILj256ELj13ELNS0_17block_load_methodE3ELS4_3ELS4_3ELNS0_20block_scan_algorithmE0ELj4294967295EEENS1_25partition_config_selectorILNS1_17partition_subalgoE3EjNS0_10empty_typeEbEEZZNS1_14partition_implILS8_3ELb0ES6_jNS0_17counting_iteratorIjlEEPS9_SE_NS0_5tupleIJPjSE_EEENSF_IJSE_SE_EEES9_SG_JZNS1_25segmented_radix_sort_implINS0_14default_configELb0EPKaPaPKlPlN2at6native12_GLOBAL__N_18offset_tEEE10hipError_tPvRmT1_PNSt15iterator_traitsISY_E10value_typeET2_T3_PNSZ_IS14_E10value_typeET4_jRbjT5_S1A_jjP12ihipStream_tbEUljE_EEESV_SW_SX_S14_S18_S1A_T6_T7_T9_mT8_S1C_bDpT10_ENKUlT_T0_E_clISt17integral_constantIbLb1EES1O_IbLb0EEEEDaS1K_S1L_EUlS1K_E_NS1_11comp_targetILNS1_3genE5ELNS1_11target_archE942ELNS1_3gpuE9ELNS1_3repE0EEENS1_30default_config_static_selectorELNS0_4arch9wavefront6targetE1EEEvSY_.uses_vcc, 0
	.set _ZN7rocprim17ROCPRIM_400000_NS6detail17trampoline_kernelINS0_13select_configILj256ELj13ELNS0_17block_load_methodE3ELS4_3ELS4_3ELNS0_20block_scan_algorithmE0ELj4294967295EEENS1_25partition_config_selectorILNS1_17partition_subalgoE3EjNS0_10empty_typeEbEEZZNS1_14partition_implILS8_3ELb0ES6_jNS0_17counting_iteratorIjlEEPS9_SE_NS0_5tupleIJPjSE_EEENSF_IJSE_SE_EEES9_SG_JZNS1_25segmented_radix_sort_implINS0_14default_configELb0EPKaPaPKlPlN2at6native12_GLOBAL__N_18offset_tEEE10hipError_tPvRmT1_PNSt15iterator_traitsISY_E10value_typeET2_T3_PNSZ_IS14_E10value_typeET4_jRbjT5_S1A_jjP12ihipStream_tbEUljE_EEESV_SW_SX_S14_S18_S1A_T6_T7_T9_mT8_S1C_bDpT10_ENKUlT_T0_E_clISt17integral_constantIbLb1EES1O_IbLb0EEEEDaS1K_S1L_EUlS1K_E_NS1_11comp_targetILNS1_3genE5ELNS1_11target_archE942ELNS1_3gpuE9ELNS1_3repE0EEENS1_30default_config_static_selectorELNS0_4arch9wavefront6targetE1EEEvSY_.uses_flat_scratch, 0
	.set _ZN7rocprim17ROCPRIM_400000_NS6detail17trampoline_kernelINS0_13select_configILj256ELj13ELNS0_17block_load_methodE3ELS4_3ELS4_3ELNS0_20block_scan_algorithmE0ELj4294967295EEENS1_25partition_config_selectorILNS1_17partition_subalgoE3EjNS0_10empty_typeEbEEZZNS1_14partition_implILS8_3ELb0ES6_jNS0_17counting_iteratorIjlEEPS9_SE_NS0_5tupleIJPjSE_EEENSF_IJSE_SE_EEES9_SG_JZNS1_25segmented_radix_sort_implINS0_14default_configELb0EPKaPaPKlPlN2at6native12_GLOBAL__N_18offset_tEEE10hipError_tPvRmT1_PNSt15iterator_traitsISY_E10value_typeET2_T3_PNSZ_IS14_E10value_typeET4_jRbjT5_S1A_jjP12ihipStream_tbEUljE_EEESV_SW_SX_S14_S18_S1A_T6_T7_T9_mT8_S1C_bDpT10_ENKUlT_T0_E_clISt17integral_constantIbLb1EES1O_IbLb0EEEEDaS1K_S1L_EUlS1K_E_NS1_11comp_targetILNS1_3genE5ELNS1_11target_archE942ELNS1_3gpuE9ELNS1_3repE0EEENS1_30default_config_static_selectorELNS0_4arch9wavefront6targetE1EEEvSY_.has_dyn_sized_stack, 0
	.set _ZN7rocprim17ROCPRIM_400000_NS6detail17trampoline_kernelINS0_13select_configILj256ELj13ELNS0_17block_load_methodE3ELS4_3ELS4_3ELNS0_20block_scan_algorithmE0ELj4294967295EEENS1_25partition_config_selectorILNS1_17partition_subalgoE3EjNS0_10empty_typeEbEEZZNS1_14partition_implILS8_3ELb0ES6_jNS0_17counting_iteratorIjlEEPS9_SE_NS0_5tupleIJPjSE_EEENSF_IJSE_SE_EEES9_SG_JZNS1_25segmented_radix_sort_implINS0_14default_configELb0EPKaPaPKlPlN2at6native12_GLOBAL__N_18offset_tEEE10hipError_tPvRmT1_PNSt15iterator_traitsISY_E10value_typeET2_T3_PNSZ_IS14_E10value_typeET4_jRbjT5_S1A_jjP12ihipStream_tbEUljE_EEESV_SW_SX_S14_S18_S1A_T6_T7_T9_mT8_S1C_bDpT10_ENKUlT_T0_E_clISt17integral_constantIbLb1EES1O_IbLb0EEEEDaS1K_S1L_EUlS1K_E_NS1_11comp_targetILNS1_3genE5ELNS1_11target_archE942ELNS1_3gpuE9ELNS1_3repE0EEENS1_30default_config_static_selectorELNS0_4arch9wavefront6targetE1EEEvSY_.has_recursion, 0
	.set _ZN7rocprim17ROCPRIM_400000_NS6detail17trampoline_kernelINS0_13select_configILj256ELj13ELNS0_17block_load_methodE3ELS4_3ELS4_3ELNS0_20block_scan_algorithmE0ELj4294967295EEENS1_25partition_config_selectorILNS1_17partition_subalgoE3EjNS0_10empty_typeEbEEZZNS1_14partition_implILS8_3ELb0ES6_jNS0_17counting_iteratorIjlEEPS9_SE_NS0_5tupleIJPjSE_EEENSF_IJSE_SE_EEES9_SG_JZNS1_25segmented_radix_sort_implINS0_14default_configELb0EPKaPaPKlPlN2at6native12_GLOBAL__N_18offset_tEEE10hipError_tPvRmT1_PNSt15iterator_traitsISY_E10value_typeET2_T3_PNSZ_IS14_E10value_typeET4_jRbjT5_S1A_jjP12ihipStream_tbEUljE_EEESV_SW_SX_S14_S18_S1A_T6_T7_T9_mT8_S1C_bDpT10_ENKUlT_T0_E_clISt17integral_constantIbLb1EES1O_IbLb0EEEEDaS1K_S1L_EUlS1K_E_NS1_11comp_targetILNS1_3genE5ELNS1_11target_archE942ELNS1_3gpuE9ELNS1_3repE0EEENS1_30default_config_static_selectorELNS0_4arch9wavefront6targetE1EEEvSY_.has_indirect_call, 0
	.section	.AMDGPU.csdata,"",@progbits
; Kernel info:
; codeLenInByte = 0
; TotalNumSgprs: 4
; NumVgprs: 0
; ScratchSize: 0
; MemoryBound: 0
; FloatMode: 240
; IeeeMode: 1
; LDSByteSize: 0 bytes/workgroup (compile time only)
; SGPRBlocks: 0
; VGPRBlocks: 0
; NumSGPRsForWavesPerEU: 4
; NumVGPRsForWavesPerEU: 1
; Occupancy: 10
; WaveLimiterHint : 0
; COMPUTE_PGM_RSRC2:SCRATCH_EN: 0
; COMPUTE_PGM_RSRC2:USER_SGPR: 6
; COMPUTE_PGM_RSRC2:TRAP_HANDLER: 0
; COMPUTE_PGM_RSRC2:TGID_X_EN: 1
; COMPUTE_PGM_RSRC2:TGID_Y_EN: 0
; COMPUTE_PGM_RSRC2:TGID_Z_EN: 0
; COMPUTE_PGM_RSRC2:TIDIG_COMP_CNT: 0
	.section	.text._ZN7rocprim17ROCPRIM_400000_NS6detail17trampoline_kernelINS0_13select_configILj256ELj13ELNS0_17block_load_methodE3ELS4_3ELS4_3ELNS0_20block_scan_algorithmE0ELj4294967295EEENS1_25partition_config_selectorILNS1_17partition_subalgoE3EjNS0_10empty_typeEbEEZZNS1_14partition_implILS8_3ELb0ES6_jNS0_17counting_iteratorIjlEEPS9_SE_NS0_5tupleIJPjSE_EEENSF_IJSE_SE_EEES9_SG_JZNS1_25segmented_radix_sort_implINS0_14default_configELb0EPKaPaPKlPlN2at6native12_GLOBAL__N_18offset_tEEE10hipError_tPvRmT1_PNSt15iterator_traitsISY_E10value_typeET2_T3_PNSZ_IS14_E10value_typeET4_jRbjT5_S1A_jjP12ihipStream_tbEUljE_EEESV_SW_SX_S14_S18_S1A_T6_T7_T9_mT8_S1C_bDpT10_ENKUlT_T0_E_clISt17integral_constantIbLb1EES1O_IbLb0EEEEDaS1K_S1L_EUlS1K_E_NS1_11comp_targetILNS1_3genE4ELNS1_11target_archE910ELNS1_3gpuE8ELNS1_3repE0EEENS1_30default_config_static_selectorELNS0_4arch9wavefront6targetE1EEEvSY_,"axG",@progbits,_ZN7rocprim17ROCPRIM_400000_NS6detail17trampoline_kernelINS0_13select_configILj256ELj13ELNS0_17block_load_methodE3ELS4_3ELS4_3ELNS0_20block_scan_algorithmE0ELj4294967295EEENS1_25partition_config_selectorILNS1_17partition_subalgoE3EjNS0_10empty_typeEbEEZZNS1_14partition_implILS8_3ELb0ES6_jNS0_17counting_iteratorIjlEEPS9_SE_NS0_5tupleIJPjSE_EEENSF_IJSE_SE_EEES9_SG_JZNS1_25segmented_radix_sort_implINS0_14default_configELb0EPKaPaPKlPlN2at6native12_GLOBAL__N_18offset_tEEE10hipError_tPvRmT1_PNSt15iterator_traitsISY_E10value_typeET2_T3_PNSZ_IS14_E10value_typeET4_jRbjT5_S1A_jjP12ihipStream_tbEUljE_EEESV_SW_SX_S14_S18_S1A_T6_T7_T9_mT8_S1C_bDpT10_ENKUlT_T0_E_clISt17integral_constantIbLb1EES1O_IbLb0EEEEDaS1K_S1L_EUlS1K_E_NS1_11comp_targetILNS1_3genE4ELNS1_11target_archE910ELNS1_3gpuE8ELNS1_3repE0EEENS1_30default_config_static_selectorELNS0_4arch9wavefront6targetE1EEEvSY_,comdat
	.globl	_ZN7rocprim17ROCPRIM_400000_NS6detail17trampoline_kernelINS0_13select_configILj256ELj13ELNS0_17block_load_methodE3ELS4_3ELS4_3ELNS0_20block_scan_algorithmE0ELj4294967295EEENS1_25partition_config_selectorILNS1_17partition_subalgoE3EjNS0_10empty_typeEbEEZZNS1_14partition_implILS8_3ELb0ES6_jNS0_17counting_iteratorIjlEEPS9_SE_NS0_5tupleIJPjSE_EEENSF_IJSE_SE_EEES9_SG_JZNS1_25segmented_radix_sort_implINS0_14default_configELb0EPKaPaPKlPlN2at6native12_GLOBAL__N_18offset_tEEE10hipError_tPvRmT1_PNSt15iterator_traitsISY_E10value_typeET2_T3_PNSZ_IS14_E10value_typeET4_jRbjT5_S1A_jjP12ihipStream_tbEUljE_EEESV_SW_SX_S14_S18_S1A_T6_T7_T9_mT8_S1C_bDpT10_ENKUlT_T0_E_clISt17integral_constantIbLb1EES1O_IbLb0EEEEDaS1K_S1L_EUlS1K_E_NS1_11comp_targetILNS1_3genE4ELNS1_11target_archE910ELNS1_3gpuE8ELNS1_3repE0EEENS1_30default_config_static_selectorELNS0_4arch9wavefront6targetE1EEEvSY_ ; -- Begin function _ZN7rocprim17ROCPRIM_400000_NS6detail17trampoline_kernelINS0_13select_configILj256ELj13ELNS0_17block_load_methodE3ELS4_3ELS4_3ELNS0_20block_scan_algorithmE0ELj4294967295EEENS1_25partition_config_selectorILNS1_17partition_subalgoE3EjNS0_10empty_typeEbEEZZNS1_14partition_implILS8_3ELb0ES6_jNS0_17counting_iteratorIjlEEPS9_SE_NS0_5tupleIJPjSE_EEENSF_IJSE_SE_EEES9_SG_JZNS1_25segmented_radix_sort_implINS0_14default_configELb0EPKaPaPKlPlN2at6native12_GLOBAL__N_18offset_tEEE10hipError_tPvRmT1_PNSt15iterator_traitsISY_E10value_typeET2_T3_PNSZ_IS14_E10value_typeET4_jRbjT5_S1A_jjP12ihipStream_tbEUljE_EEESV_SW_SX_S14_S18_S1A_T6_T7_T9_mT8_S1C_bDpT10_ENKUlT_T0_E_clISt17integral_constantIbLb1EES1O_IbLb0EEEEDaS1K_S1L_EUlS1K_E_NS1_11comp_targetILNS1_3genE4ELNS1_11target_archE910ELNS1_3gpuE8ELNS1_3repE0EEENS1_30default_config_static_selectorELNS0_4arch9wavefront6targetE1EEEvSY_
	.p2align	8
	.type	_ZN7rocprim17ROCPRIM_400000_NS6detail17trampoline_kernelINS0_13select_configILj256ELj13ELNS0_17block_load_methodE3ELS4_3ELS4_3ELNS0_20block_scan_algorithmE0ELj4294967295EEENS1_25partition_config_selectorILNS1_17partition_subalgoE3EjNS0_10empty_typeEbEEZZNS1_14partition_implILS8_3ELb0ES6_jNS0_17counting_iteratorIjlEEPS9_SE_NS0_5tupleIJPjSE_EEENSF_IJSE_SE_EEES9_SG_JZNS1_25segmented_radix_sort_implINS0_14default_configELb0EPKaPaPKlPlN2at6native12_GLOBAL__N_18offset_tEEE10hipError_tPvRmT1_PNSt15iterator_traitsISY_E10value_typeET2_T3_PNSZ_IS14_E10value_typeET4_jRbjT5_S1A_jjP12ihipStream_tbEUljE_EEESV_SW_SX_S14_S18_S1A_T6_T7_T9_mT8_S1C_bDpT10_ENKUlT_T0_E_clISt17integral_constantIbLb1EES1O_IbLb0EEEEDaS1K_S1L_EUlS1K_E_NS1_11comp_targetILNS1_3genE4ELNS1_11target_archE910ELNS1_3gpuE8ELNS1_3repE0EEENS1_30default_config_static_selectorELNS0_4arch9wavefront6targetE1EEEvSY_,@function
_ZN7rocprim17ROCPRIM_400000_NS6detail17trampoline_kernelINS0_13select_configILj256ELj13ELNS0_17block_load_methodE3ELS4_3ELS4_3ELNS0_20block_scan_algorithmE0ELj4294967295EEENS1_25partition_config_selectorILNS1_17partition_subalgoE3EjNS0_10empty_typeEbEEZZNS1_14partition_implILS8_3ELb0ES6_jNS0_17counting_iteratorIjlEEPS9_SE_NS0_5tupleIJPjSE_EEENSF_IJSE_SE_EEES9_SG_JZNS1_25segmented_radix_sort_implINS0_14default_configELb0EPKaPaPKlPlN2at6native12_GLOBAL__N_18offset_tEEE10hipError_tPvRmT1_PNSt15iterator_traitsISY_E10value_typeET2_T3_PNSZ_IS14_E10value_typeET4_jRbjT5_S1A_jjP12ihipStream_tbEUljE_EEESV_SW_SX_S14_S18_S1A_T6_T7_T9_mT8_S1C_bDpT10_ENKUlT_T0_E_clISt17integral_constantIbLb1EES1O_IbLb0EEEEDaS1K_S1L_EUlS1K_E_NS1_11comp_targetILNS1_3genE4ELNS1_11target_archE910ELNS1_3gpuE8ELNS1_3repE0EEENS1_30default_config_static_selectorELNS0_4arch9wavefront6targetE1EEEvSY_: ; @_ZN7rocprim17ROCPRIM_400000_NS6detail17trampoline_kernelINS0_13select_configILj256ELj13ELNS0_17block_load_methodE3ELS4_3ELS4_3ELNS0_20block_scan_algorithmE0ELj4294967295EEENS1_25partition_config_selectorILNS1_17partition_subalgoE3EjNS0_10empty_typeEbEEZZNS1_14partition_implILS8_3ELb0ES6_jNS0_17counting_iteratorIjlEEPS9_SE_NS0_5tupleIJPjSE_EEENSF_IJSE_SE_EEES9_SG_JZNS1_25segmented_radix_sort_implINS0_14default_configELb0EPKaPaPKlPlN2at6native12_GLOBAL__N_18offset_tEEE10hipError_tPvRmT1_PNSt15iterator_traitsISY_E10value_typeET2_T3_PNSZ_IS14_E10value_typeET4_jRbjT5_S1A_jjP12ihipStream_tbEUljE_EEESV_SW_SX_S14_S18_S1A_T6_T7_T9_mT8_S1C_bDpT10_ENKUlT_T0_E_clISt17integral_constantIbLb1EES1O_IbLb0EEEEDaS1K_S1L_EUlS1K_E_NS1_11comp_targetILNS1_3genE4ELNS1_11target_archE910ELNS1_3gpuE8ELNS1_3repE0EEENS1_30default_config_static_selectorELNS0_4arch9wavefront6targetE1EEEvSY_
; %bb.0:
	.section	.rodata,"a",@progbits
	.p2align	6, 0x0
	.amdhsa_kernel _ZN7rocprim17ROCPRIM_400000_NS6detail17trampoline_kernelINS0_13select_configILj256ELj13ELNS0_17block_load_methodE3ELS4_3ELS4_3ELNS0_20block_scan_algorithmE0ELj4294967295EEENS1_25partition_config_selectorILNS1_17partition_subalgoE3EjNS0_10empty_typeEbEEZZNS1_14partition_implILS8_3ELb0ES6_jNS0_17counting_iteratorIjlEEPS9_SE_NS0_5tupleIJPjSE_EEENSF_IJSE_SE_EEES9_SG_JZNS1_25segmented_radix_sort_implINS0_14default_configELb0EPKaPaPKlPlN2at6native12_GLOBAL__N_18offset_tEEE10hipError_tPvRmT1_PNSt15iterator_traitsISY_E10value_typeET2_T3_PNSZ_IS14_E10value_typeET4_jRbjT5_S1A_jjP12ihipStream_tbEUljE_EEESV_SW_SX_S14_S18_S1A_T6_T7_T9_mT8_S1C_bDpT10_ENKUlT_T0_E_clISt17integral_constantIbLb1EES1O_IbLb0EEEEDaS1K_S1L_EUlS1K_E_NS1_11comp_targetILNS1_3genE4ELNS1_11target_archE910ELNS1_3gpuE8ELNS1_3repE0EEENS1_30default_config_static_selectorELNS0_4arch9wavefront6targetE1EEEvSY_
		.amdhsa_group_segment_fixed_size 0
		.amdhsa_private_segment_fixed_size 0
		.amdhsa_kernarg_size 144
		.amdhsa_user_sgpr_count 6
		.amdhsa_user_sgpr_private_segment_buffer 1
		.amdhsa_user_sgpr_dispatch_ptr 0
		.amdhsa_user_sgpr_queue_ptr 0
		.amdhsa_user_sgpr_kernarg_segment_ptr 1
		.amdhsa_user_sgpr_dispatch_id 0
		.amdhsa_user_sgpr_flat_scratch_init 0
		.amdhsa_user_sgpr_private_segment_size 0
		.amdhsa_uses_dynamic_stack 0
		.amdhsa_system_sgpr_private_segment_wavefront_offset 0
		.amdhsa_system_sgpr_workgroup_id_x 1
		.amdhsa_system_sgpr_workgroup_id_y 0
		.amdhsa_system_sgpr_workgroup_id_z 0
		.amdhsa_system_sgpr_workgroup_info 0
		.amdhsa_system_vgpr_workitem_id 0
		.amdhsa_next_free_vgpr 1
		.amdhsa_next_free_sgpr 0
		.amdhsa_reserve_vcc 0
		.amdhsa_reserve_flat_scratch 0
		.amdhsa_float_round_mode_32 0
		.amdhsa_float_round_mode_16_64 0
		.amdhsa_float_denorm_mode_32 3
		.amdhsa_float_denorm_mode_16_64 3
		.amdhsa_dx10_clamp 1
		.amdhsa_ieee_mode 1
		.amdhsa_fp16_overflow 0
		.amdhsa_exception_fp_ieee_invalid_op 0
		.amdhsa_exception_fp_denorm_src 0
		.amdhsa_exception_fp_ieee_div_zero 0
		.amdhsa_exception_fp_ieee_overflow 0
		.amdhsa_exception_fp_ieee_underflow 0
		.amdhsa_exception_fp_ieee_inexact 0
		.amdhsa_exception_int_div_zero 0
	.end_amdhsa_kernel
	.section	.text._ZN7rocprim17ROCPRIM_400000_NS6detail17trampoline_kernelINS0_13select_configILj256ELj13ELNS0_17block_load_methodE3ELS4_3ELS4_3ELNS0_20block_scan_algorithmE0ELj4294967295EEENS1_25partition_config_selectorILNS1_17partition_subalgoE3EjNS0_10empty_typeEbEEZZNS1_14partition_implILS8_3ELb0ES6_jNS0_17counting_iteratorIjlEEPS9_SE_NS0_5tupleIJPjSE_EEENSF_IJSE_SE_EEES9_SG_JZNS1_25segmented_radix_sort_implINS0_14default_configELb0EPKaPaPKlPlN2at6native12_GLOBAL__N_18offset_tEEE10hipError_tPvRmT1_PNSt15iterator_traitsISY_E10value_typeET2_T3_PNSZ_IS14_E10value_typeET4_jRbjT5_S1A_jjP12ihipStream_tbEUljE_EEESV_SW_SX_S14_S18_S1A_T6_T7_T9_mT8_S1C_bDpT10_ENKUlT_T0_E_clISt17integral_constantIbLb1EES1O_IbLb0EEEEDaS1K_S1L_EUlS1K_E_NS1_11comp_targetILNS1_3genE4ELNS1_11target_archE910ELNS1_3gpuE8ELNS1_3repE0EEENS1_30default_config_static_selectorELNS0_4arch9wavefront6targetE1EEEvSY_,"axG",@progbits,_ZN7rocprim17ROCPRIM_400000_NS6detail17trampoline_kernelINS0_13select_configILj256ELj13ELNS0_17block_load_methodE3ELS4_3ELS4_3ELNS0_20block_scan_algorithmE0ELj4294967295EEENS1_25partition_config_selectorILNS1_17partition_subalgoE3EjNS0_10empty_typeEbEEZZNS1_14partition_implILS8_3ELb0ES6_jNS0_17counting_iteratorIjlEEPS9_SE_NS0_5tupleIJPjSE_EEENSF_IJSE_SE_EEES9_SG_JZNS1_25segmented_radix_sort_implINS0_14default_configELb0EPKaPaPKlPlN2at6native12_GLOBAL__N_18offset_tEEE10hipError_tPvRmT1_PNSt15iterator_traitsISY_E10value_typeET2_T3_PNSZ_IS14_E10value_typeET4_jRbjT5_S1A_jjP12ihipStream_tbEUljE_EEESV_SW_SX_S14_S18_S1A_T6_T7_T9_mT8_S1C_bDpT10_ENKUlT_T0_E_clISt17integral_constantIbLb1EES1O_IbLb0EEEEDaS1K_S1L_EUlS1K_E_NS1_11comp_targetILNS1_3genE4ELNS1_11target_archE910ELNS1_3gpuE8ELNS1_3repE0EEENS1_30default_config_static_selectorELNS0_4arch9wavefront6targetE1EEEvSY_,comdat
.Lfunc_end379:
	.size	_ZN7rocprim17ROCPRIM_400000_NS6detail17trampoline_kernelINS0_13select_configILj256ELj13ELNS0_17block_load_methodE3ELS4_3ELS4_3ELNS0_20block_scan_algorithmE0ELj4294967295EEENS1_25partition_config_selectorILNS1_17partition_subalgoE3EjNS0_10empty_typeEbEEZZNS1_14partition_implILS8_3ELb0ES6_jNS0_17counting_iteratorIjlEEPS9_SE_NS0_5tupleIJPjSE_EEENSF_IJSE_SE_EEES9_SG_JZNS1_25segmented_radix_sort_implINS0_14default_configELb0EPKaPaPKlPlN2at6native12_GLOBAL__N_18offset_tEEE10hipError_tPvRmT1_PNSt15iterator_traitsISY_E10value_typeET2_T3_PNSZ_IS14_E10value_typeET4_jRbjT5_S1A_jjP12ihipStream_tbEUljE_EEESV_SW_SX_S14_S18_S1A_T6_T7_T9_mT8_S1C_bDpT10_ENKUlT_T0_E_clISt17integral_constantIbLb1EES1O_IbLb0EEEEDaS1K_S1L_EUlS1K_E_NS1_11comp_targetILNS1_3genE4ELNS1_11target_archE910ELNS1_3gpuE8ELNS1_3repE0EEENS1_30default_config_static_selectorELNS0_4arch9wavefront6targetE1EEEvSY_, .Lfunc_end379-_ZN7rocprim17ROCPRIM_400000_NS6detail17trampoline_kernelINS0_13select_configILj256ELj13ELNS0_17block_load_methodE3ELS4_3ELS4_3ELNS0_20block_scan_algorithmE0ELj4294967295EEENS1_25partition_config_selectorILNS1_17partition_subalgoE3EjNS0_10empty_typeEbEEZZNS1_14partition_implILS8_3ELb0ES6_jNS0_17counting_iteratorIjlEEPS9_SE_NS0_5tupleIJPjSE_EEENSF_IJSE_SE_EEES9_SG_JZNS1_25segmented_radix_sort_implINS0_14default_configELb0EPKaPaPKlPlN2at6native12_GLOBAL__N_18offset_tEEE10hipError_tPvRmT1_PNSt15iterator_traitsISY_E10value_typeET2_T3_PNSZ_IS14_E10value_typeET4_jRbjT5_S1A_jjP12ihipStream_tbEUljE_EEESV_SW_SX_S14_S18_S1A_T6_T7_T9_mT8_S1C_bDpT10_ENKUlT_T0_E_clISt17integral_constantIbLb1EES1O_IbLb0EEEEDaS1K_S1L_EUlS1K_E_NS1_11comp_targetILNS1_3genE4ELNS1_11target_archE910ELNS1_3gpuE8ELNS1_3repE0EEENS1_30default_config_static_selectorELNS0_4arch9wavefront6targetE1EEEvSY_
                                        ; -- End function
	.set _ZN7rocprim17ROCPRIM_400000_NS6detail17trampoline_kernelINS0_13select_configILj256ELj13ELNS0_17block_load_methodE3ELS4_3ELS4_3ELNS0_20block_scan_algorithmE0ELj4294967295EEENS1_25partition_config_selectorILNS1_17partition_subalgoE3EjNS0_10empty_typeEbEEZZNS1_14partition_implILS8_3ELb0ES6_jNS0_17counting_iteratorIjlEEPS9_SE_NS0_5tupleIJPjSE_EEENSF_IJSE_SE_EEES9_SG_JZNS1_25segmented_radix_sort_implINS0_14default_configELb0EPKaPaPKlPlN2at6native12_GLOBAL__N_18offset_tEEE10hipError_tPvRmT1_PNSt15iterator_traitsISY_E10value_typeET2_T3_PNSZ_IS14_E10value_typeET4_jRbjT5_S1A_jjP12ihipStream_tbEUljE_EEESV_SW_SX_S14_S18_S1A_T6_T7_T9_mT8_S1C_bDpT10_ENKUlT_T0_E_clISt17integral_constantIbLb1EES1O_IbLb0EEEEDaS1K_S1L_EUlS1K_E_NS1_11comp_targetILNS1_3genE4ELNS1_11target_archE910ELNS1_3gpuE8ELNS1_3repE0EEENS1_30default_config_static_selectorELNS0_4arch9wavefront6targetE1EEEvSY_.num_vgpr, 0
	.set _ZN7rocprim17ROCPRIM_400000_NS6detail17trampoline_kernelINS0_13select_configILj256ELj13ELNS0_17block_load_methodE3ELS4_3ELS4_3ELNS0_20block_scan_algorithmE0ELj4294967295EEENS1_25partition_config_selectorILNS1_17partition_subalgoE3EjNS0_10empty_typeEbEEZZNS1_14partition_implILS8_3ELb0ES6_jNS0_17counting_iteratorIjlEEPS9_SE_NS0_5tupleIJPjSE_EEENSF_IJSE_SE_EEES9_SG_JZNS1_25segmented_radix_sort_implINS0_14default_configELb0EPKaPaPKlPlN2at6native12_GLOBAL__N_18offset_tEEE10hipError_tPvRmT1_PNSt15iterator_traitsISY_E10value_typeET2_T3_PNSZ_IS14_E10value_typeET4_jRbjT5_S1A_jjP12ihipStream_tbEUljE_EEESV_SW_SX_S14_S18_S1A_T6_T7_T9_mT8_S1C_bDpT10_ENKUlT_T0_E_clISt17integral_constantIbLb1EES1O_IbLb0EEEEDaS1K_S1L_EUlS1K_E_NS1_11comp_targetILNS1_3genE4ELNS1_11target_archE910ELNS1_3gpuE8ELNS1_3repE0EEENS1_30default_config_static_selectorELNS0_4arch9wavefront6targetE1EEEvSY_.num_agpr, 0
	.set _ZN7rocprim17ROCPRIM_400000_NS6detail17trampoline_kernelINS0_13select_configILj256ELj13ELNS0_17block_load_methodE3ELS4_3ELS4_3ELNS0_20block_scan_algorithmE0ELj4294967295EEENS1_25partition_config_selectorILNS1_17partition_subalgoE3EjNS0_10empty_typeEbEEZZNS1_14partition_implILS8_3ELb0ES6_jNS0_17counting_iteratorIjlEEPS9_SE_NS0_5tupleIJPjSE_EEENSF_IJSE_SE_EEES9_SG_JZNS1_25segmented_radix_sort_implINS0_14default_configELb0EPKaPaPKlPlN2at6native12_GLOBAL__N_18offset_tEEE10hipError_tPvRmT1_PNSt15iterator_traitsISY_E10value_typeET2_T3_PNSZ_IS14_E10value_typeET4_jRbjT5_S1A_jjP12ihipStream_tbEUljE_EEESV_SW_SX_S14_S18_S1A_T6_T7_T9_mT8_S1C_bDpT10_ENKUlT_T0_E_clISt17integral_constantIbLb1EES1O_IbLb0EEEEDaS1K_S1L_EUlS1K_E_NS1_11comp_targetILNS1_3genE4ELNS1_11target_archE910ELNS1_3gpuE8ELNS1_3repE0EEENS1_30default_config_static_selectorELNS0_4arch9wavefront6targetE1EEEvSY_.numbered_sgpr, 0
	.set _ZN7rocprim17ROCPRIM_400000_NS6detail17trampoline_kernelINS0_13select_configILj256ELj13ELNS0_17block_load_methodE3ELS4_3ELS4_3ELNS0_20block_scan_algorithmE0ELj4294967295EEENS1_25partition_config_selectorILNS1_17partition_subalgoE3EjNS0_10empty_typeEbEEZZNS1_14partition_implILS8_3ELb0ES6_jNS0_17counting_iteratorIjlEEPS9_SE_NS0_5tupleIJPjSE_EEENSF_IJSE_SE_EEES9_SG_JZNS1_25segmented_radix_sort_implINS0_14default_configELb0EPKaPaPKlPlN2at6native12_GLOBAL__N_18offset_tEEE10hipError_tPvRmT1_PNSt15iterator_traitsISY_E10value_typeET2_T3_PNSZ_IS14_E10value_typeET4_jRbjT5_S1A_jjP12ihipStream_tbEUljE_EEESV_SW_SX_S14_S18_S1A_T6_T7_T9_mT8_S1C_bDpT10_ENKUlT_T0_E_clISt17integral_constantIbLb1EES1O_IbLb0EEEEDaS1K_S1L_EUlS1K_E_NS1_11comp_targetILNS1_3genE4ELNS1_11target_archE910ELNS1_3gpuE8ELNS1_3repE0EEENS1_30default_config_static_selectorELNS0_4arch9wavefront6targetE1EEEvSY_.num_named_barrier, 0
	.set _ZN7rocprim17ROCPRIM_400000_NS6detail17trampoline_kernelINS0_13select_configILj256ELj13ELNS0_17block_load_methodE3ELS4_3ELS4_3ELNS0_20block_scan_algorithmE0ELj4294967295EEENS1_25partition_config_selectorILNS1_17partition_subalgoE3EjNS0_10empty_typeEbEEZZNS1_14partition_implILS8_3ELb0ES6_jNS0_17counting_iteratorIjlEEPS9_SE_NS0_5tupleIJPjSE_EEENSF_IJSE_SE_EEES9_SG_JZNS1_25segmented_radix_sort_implINS0_14default_configELb0EPKaPaPKlPlN2at6native12_GLOBAL__N_18offset_tEEE10hipError_tPvRmT1_PNSt15iterator_traitsISY_E10value_typeET2_T3_PNSZ_IS14_E10value_typeET4_jRbjT5_S1A_jjP12ihipStream_tbEUljE_EEESV_SW_SX_S14_S18_S1A_T6_T7_T9_mT8_S1C_bDpT10_ENKUlT_T0_E_clISt17integral_constantIbLb1EES1O_IbLb0EEEEDaS1K_S1L_EUlS1K_E_NS1_11comp_targetILNS1_3genE4ELNS1_11target_archE910ELNS1_3gpuE8ELNS1_3repE0EEENS1_30default_config_static_selectorELNS0_4arch9wavefront6targetE1EEEvSY_.private_seg_size, 0
	.set _ZN7rocprim17ROCPRIM_400000_NS6detail17trampoline_kernelINS0_13select_configILj256ELj13ELNS0_17block_load_methodE3ELS4_3ELS4_3ELNS0_20block_scan_algorithmE0ELj4294967295EEENS1_25partition_config_selectorILNS1_17partition_subalgoE3EjNS0_10empty_typeEbEEZZNS1_14partition_implILS8_3ELb0ES6_jNS0_17counting_iteratorIjlEEPS9_SE_NS0_5tupleIJPjSE_EEENSF_IJSE_SE_EEES9_SG_JZNS1_25segmented_radix_sort_implINS0_14default_configELb0EPKaPaPKlPlN2at6native12_GLOBAL__N_18offset_tEEE10hipError_tPvRmT1_PNSt15iterator_traitsISY_E10value_typeET2_T3_PNSZ_IS14_E10value_typeET4_jRbjT5_S1A_jjP12ihipStream_tbEUljE_EEESV_SW_SX_S14_S18_S1A_T6_T7_T9_mT8_S1C_bDpT10_ENKUlT_T0_E_clISt17integral_constantIbLb1EES1O_IbLb0EEEEDaS1K_S1L_EUlS1K_E_NS1_11comp_targetILNS1_3genE4ELNS1_11target_archE910ELNS1_3gpuE8ELNS1_3repE0EEENS1_30default_config_static_selectorELNS0_4arch9wavefront6targetE1EEEvSY_.uses_vcc, 0
	.set _ZN7rocprim17ROCPRIM_400000_NS6detail17trampoline_kernelINS0_13select_configILj256ELj13ELNS0_17block_load_methodE3ELS4_3ELS4_3ELNS0_20block_scan_algorithmE0ELj4294967295EEENS1_25partition_config_selectorILNS1_17partition_subalgoE3EjNS0_10empty_typeEbEEZZNS1_14partition_implILS8_3ELb0ES6_jNS0_17counting_iteratorIjlEEPS9_SE_NS0_5tupleIJPjSE_EEENSF_IJSE_SE_EEES9_SG_JZNS1_25segmented_radix_sort_implINS0_14default_configELb0EPKaPaPKlPlN2at6native12_GLOBAL__N_18offset_tEEE10hipError_tPvRmT1_PNSt15iterator_traitsISY_E10value_typeET2_T3_PNSZ_IS14_E10value_typeET4_jRbjT5_S1A_jjP12ihipStream_tbEUljE_EEESV_SW_SX_S14_S18_S1A_T6_T7_T9_mT8_S1C_bDpT10_ENKUlT_T0_E_clISt17integral_constantIbLb1EES1O_IbLb0EEEEDaS1K_S1L_EUlS1K_E_NS1_11comp_targetILNS1_3genE4ELNS1_11target_archE910ELNS1_3gpuE8ELNS1_3repE0EEENS1_30default_config_static_selectorELNS0_4arch9wavefront6targetE1EEEvSY_.uses_flat_scratch, 0
	.set _ZN7rocprim17ROCPRIM_400000_NS6detail17trampoline_kernelINS0_13select_configILj256ELj13ELNS0_17block_load_methodE3ELS4_3ELS4_3ELNS0_20block_scan_algorithmE0ELj4294967295EEENS1_25partition_config_selectorILNS1_17partition_subalgoE3EjNS0_10empty_typeEbEEZZNS1_14partition_implILS8_3ELb0ES6_jNS0_17counting_iteratorIjlEEPS9_SE_NS0_5tupleIJPjSE_EEENSF_IJSE_SE_EEES9_SG_JZNS1_25segmented_radix_sort_implINS0_14default_configELb0EPKaPaPKlPlN2at6native12_GLOBAL__N_18offset_tEEE10hipError_tPvRmT1_PNSt15iterator_traitsISY_E10value_typeET2_T3_PNSZ_IS14_E10value_typeET4_jRbjT5_S1A_jjP12ihipStream_tbEUljE_EEESV_SW_SX_S14_S18_S1A_T6_T7_T9_mT8_S1C_bDpT10_ENKUlT_T0_E_clISt17integral_constantIbLb1EES1O_IbLb0EEEEDaS1K_S1L_EUlS1K_E_NS1_11comp_targetILNS1_3genE4ELNS1_11target_archE910ELNS1_3gpuE8ELNS1_3repE0EEENS1_30default_config_static_selectorELNS0_4arch9wavefront6targetE1EEEvSY_.has_dyn_sized_stack, 0
	.set _ZN7rocprim17ROCPRIM_400000_NS6detail17trampoline_kernelINS0_13select_configILj256ELj13ELNS0_17block_load_methodE3ELS4_3ELS4_3ELNS0_20block_scan_algorithmE0ELj4294967295EEENS1_25partition_config_selectorILNS1_17partition_subalgoE3EjNS0_10empty_typeEbEEZZNS1_14partition_implILS8_3ELb0ES6_jNS0_17counting_iteratorIjlEEPS9_SE_NS0_5tupleIJPjSE_EEENSF_IJSE_SE_EEES9_SG_JZNS1_25segmented_radix_sort_implINS0_14default_configELb0EPKaPaPKlPlN2at6native12_GLOBAL__N_18offset_tEEE10hipError_tPvRmT1_PNSt15iterator_traitsISY_E10value_typeET2_T3_PNSZ_IS14_E10value_typeET4_jRbjT5_S1A_jjP12ihipStream_tbEUljE_EEESV_SW_SX_S14_S18_S1A_T6_T7_T9_mT8_S1C_bDpT10_ENKUlT_T0_E_clISt17integral_constantIbLb1EES1O_IbLb0EEEEDaS1K_S1L_EUlS1K_E_NS1_11comp_targetILNS1_3genE4ELNS1_11target_archE910ELNS1_3gpuE8ELNS1_3repE0EEENS1_30default_config_static_selectorELNS0_4arch9wavefront6targetE1EEEvSY_.has_recursion, 0
	.set _ZN7rocprim17ROCPRIM_400000_NS6detail17trampoline_kernelINS0_13select_configILj256ELj13ELNS0_17block_load_methodE3ELS4_3ELS4_3ELNS0_20block_scan_algorithmE0ELj4294967295EEENS1_25partition_config_selectorILNS1_17partition_subalgoE3EjNS0_10empty_typeEbEEZZNS1_14partition_implILS8_3ELb0ES6_jNS0_17counting_iteratorIjlEEPS9_SE_NS0_5tupleIJPjSE_EEENSF_IJSE_SE_EEES9_SG_JZNS1_25segmented_radix_sort_implINS0_14default_configELb0EPKaPaPKlPlN2at6native12_GLOBAL__N_18offset_tEEE10hipError_tPvRmT1_PNSt15iterator_traitsISY_E10value_typeET2_T3_PNSZ_IS14_E10value_typeET4_jRbjT5_S1A_jjP12ihipStream_tbEUljE_EEESV_SW_SX_S14_S18_S1A_T6_T7_T9_mT8_S1C_bDpT10_ENKUlT_T0_E_clISt17integral_constantIbLb1EES1O_IbLb0EEEEDaS1K_S1L_EUlS1K_E_NS1_11comp_targetILNS1_3genE4ELNS1_11target_archE910ELNS1_3gpuE8ELNS1_3repE0EEENS1_30default_config_static_selectorELNS0_4arch9wavefront6targetE1EEEvSY_.has_indirect_call, 0
	.section	.AMDGPU.csdata,"",@progbits
; Kernel info:
; codeLenInByte = 0
; TotalNumSgprs: 4
; NumVgprs: 0
; ScratchSize: 0
; MemoryBound: 0
; FloatMode: 240
; IeeeMode: 1
; LDSByteSize: 0 bytes/workgroup (compile time only)
; SGPRBlocks: 0
; VGPRBlocks: 0
; NumSGPRsForWavesPerEU: 4
; NumVGPRsForWavesPerEU: 1
; Occupancy: 10
; WaveLimiterHint : 0
; COMPUTE_PGM_RSRC2:SCRATCH_EN: 0
; COMPUTE_PGM_RSRC2:USER_SGPR: 6
; COMPUTE_PGM_RSRC2:TRAP_HANDLER: 0
; COMPUTE_PGM_RSRC2:TGID_X_EN: 1
; COMPUTE_PGM_RSRC2:TGID_Y_EN: 0
; COMPUTE_PGM_RSRC2:TGID_Z_EN: 0
; COMPUTE_PGM_RSRC2:TIDIG_COMP_CNT: 0
	.section	.text._ZN7rocprim17ROCPRIM_400000_NS6detail17trampoline_kernelINS0_13select_configILj256ELj13ELNS0_17block_load_methodE3ELS4_3ELS4_3ELNS0_20block_scan_algorithmE0ELj4294967295EEENS1_25partition_config_selectorILNS1_17partition_subalgoE3EjNS0_10empty_typeEbEEZZNS1_14partition_implILS8_3ELb0ES6_jNS0_17counting_iteratorIjlEEPS9_SE_NS0_5tupleIJPjSE_EEENSF_IJSE_SE_EEES9_SG_JZNS1_25segmented_radix_sort_implINS0_14default_configELb0EPKaPaPKlPlN2at6native12_GLOBAL__N_18offset_tEEE10hipError_tPvRmT1_PNSt15iterator_traitsISY_E10value_typeET2_T3_PNSZ_IS14_E10value_typeET4_jRbjT5_S1A_jjP12ihipStream_tbEUljE_EEESV_SW_SX_S14_S18_S1A_T6_T7_T9_mT8_S1C_bDpT10_ENKUlT_T0_E_clISt17integral_constantIbLb1EES1O_IbLb0EEEEDaS1K_S1L_EUlS1K_E_NS1_11comp_targetILNS1_3genE3ELNS1_11target_archE908ELNS1_3gpuE7ELNS1_3repE0EEENS1_30default_config_static_selectorELNS0_4arch9wavefront6targetE1EEEvSY_,"axG",@progbits,_ZN7rocprim17ROCPRIM_400000_NS6detail17trampoline_kernelINS0_13select_configILj256ELj13ELNS0_17block_load_methodE3ELS4_3ELS4_3ELNS0_20block_scan_algorithmE0ELj4294967295EEENS1_25partition_config_selectorILNS1_17partition_subalgoE3EjNS0_10empty_typeEbEEZZNS1_14partition_implILS8_3ELb0ES6_jNS0_17counting_iteratorIjlEEPS9_SE_NS0_5tupleIJPjSE_EEENSF_IJSE_SE_EEES9_SG_JZNS1_25segmented_radix_sort_implINS0_14default_configELb0EPKaPaPKlPlN2at6native12_GLOBAL__N_18offset_tEEE10hipError_tPvRmT1_PNSt15iterator_traitsISY_E10value_typeET2_T3_PNSZ_IS14_E10value_typeET4_jRbjT5_S1A_jjP12ihipStream_tbEUljE_EEESV_SW_SX_S14_S18_S1A_T6_T7_T9_mT8_S1C_bDpT10_ENKUlT_T0_E_clISt17integral_constantIbLb1EES1O_IbLb0EEEEDaS1K_S1L_EUlS1K_E_NS1_11comp_targetILNS1_3genE3ELNS1_11target_archE908ELNS1_3gpuE7ELNS1_3repE0EEENS1_30default_config_static_selectorELNS0_4arch9wavefront6targetE1EEEvSY_,comdat
	.globl	_ZN7rocprim17ROCPRIM_400000_NS6detail17trampoline_kernelINS0_13select_configILj256ELj13ELNS0_17block_load_methodE3ELS4_3ELS4_3ELNS0_20block_scan_algorithmE0ELj4294967295EEENS1_25partition_config_selectorILNS1_17partition_subalgoE3EjNS0_10empty_typeEbEEZZNS1_14partition_implILS8_3ELb0ES6_jNS0_17counting_iteratorIjlEEPS9_SE_NS0_5tupleIJPjSE_EEENSF_IJSE_SE_EEES9_SG_JZNS1_25segmented_radix_sort_implINS0_14default_configELb0EPKaPaPKlPlN2at6native12_GLOBAL__N_18offset_tEEE10hipError_tPvRmT1_PNSt15iterator_traitsISY_E10value_typeET2_T3_PNSZ_IS14_E10value_typeET4_jRbjT5_S1A_jjP12ihipStream_tbEUljE_EEESV_SW_SX_S14_S18_S1A_T6_T7_T9_mT8_S1C_bDpT10_ENKUlT_T0_E_clISt17integral_constantIbLb1EES1O_IbLb0EEEEDaS1K_S1L_EUlS1K_E_NS1_11comp_targetILNS1_3genE3ELNS1_11target_archE908ELNS1_3gpuE7ELNS1_3repE0EEENS1_30default_config_static_selectorELNS0_4arch9wavefront6targetE1EEEvSY_ ; -- Begin function _ZN7rocprim17ROCPRIM_400000_NS6detail17trampoline_kernelINS0_13select_configILj256ELj13ELNS0_17block_load_methodE3ELS4_3ELS4_3ELNS0_20block_scan_algorithmE0ELj4294967295EEENS1_25partition_config_selectorILNS1_17partition_subalgoE3EjNS0_10empty_typeEbEEZZNS1_14partition_implILS8_3ELb0ES6_jNS0_17counting_iteratorIjlEEPS9_SE_NS0_5tupleIJPjSE_EEENSF_IJSE_SE_EEES9_SG_JZNS1_25segmented_radix_sort_implINS0_14default_configELb0EPKaPaPKlPlN2at6native12_GLOBAL__N_18offset_tEEE10hipError_tPvRmT1_PNSt15iterator_traitsISY_E10value_typeET2_T3_PNSZ_IS14_E10value_typeET4_jRbjT5_S1A_jjP12ihipStream_tbEUljE_EEESV_SW_SX_S14_S18_S1A_T6_T7_T9_mT8_S1C_bDpT10_ENKUlT_T0_E_clISt17integral_constantIbLb1EES1O_IbLb0EEEEDaS1K_S1L_EUlS1K_E_NS1_11comp_targetILNS1_3genE3ELNS1_11target_archE908ELNS1_3gpuE7ELNS1_3repE0EEENS1_30default_config_static_selectorELNS0_4arch9wavefront6targetE1EEEvSY_
	.p2align	8
	.type	_ZN7rocprim17ROCPRIM_400000_NS6detail17trampoline_kernelINS0_13select_configILj256ELj13ELNS0_17block_load_methodE3ELS4_3ELS4_3ELNS0_20block_scan_algorithmE0ELj4294967295EEENS1_25partition_config_selectorILNS1_17partition_subalgoE3EjNS0_10empty_typeEbEEZZNS1_14partition_implILS8_3ELb0ES6_jNS0_17counting_iteratorIjlEEPS9_SE_NS0_5tupleIJPjSE_EEENSF_IJSE_SE_EEES9_SG_JZNS1_25segmented_radix_sort_implINS0_14default_configELb0EPKaPaPKlPlN2at6native12_GLOBAL__N_18offset_tEEE10hipError_tPvRmT1_PNSt15iterator_traitsISY_E10value_typeET2_T3_PNSZ_IS14_E10value_typeET4_jRbjT5_S1A_jjP12ihipStream_tbEUljE_EEESV_SW_SX_S14_S18_S1A_T6_T7_T9_mT8_S1C_bDpT10_ENKUlT_T0_E_clISt17integral_constantIbLb1EES1O_IbLb0EEEEDaS1K_S1L_EUlS1K_E_NS1_11comp_targetILNS1_3genE3ELNS1_11target_archE908ELNS1_3gpuE7ELNS1_3repE0EEENS1_30default_config_static_selectorELNS0_4arch9wavefront6targetE1EEEvSY_,@function
_ZN7rocprim17ROCPRIM_400000_NS6detail17trampoline_kernelINS0_13select_configILj256ELj13ELNS0_17block_load_methodE3ELS4_3ELS4_3ELNS0_20block_scan_algorithmE0ELj4294967295EEENS1_25partition_config_selectorILNS1_17partition_subalgoE3EjNS0_10empty_typeEbEEZZNS1_14partition_implILS8_3ELb0ES6_jNS0_17counting_iteratorIjlEEPS9_SE_NS0_5tupleIJPjSE_EEENSF_IJSE_SE_EEES9_SG_JZNS1_25segmented_radix_sort_implINS0_14default_configELb0EPKaPaPKlPlN2at6native12_GLOBAL__N_18offset_tEEE10hipError_tPvRmT1_PNSt15iterator_traitsISY_E10value_typeET2_T3_PNSZ_IS14_E10value_typeET4_jRbjT5_S1A_jjP12ihipStream_tbEUljE_EEESV_SW_SX_S14_S18_S1A_T6_T7_T9_mT8_S1C_bDpT10_ENKUlT_T0_E_clISt17integral_constantIbLb1EES1O_IbLb0EEEEDaS1K_S1L_EUlS1K_E_NS1_11comp_targetILNS1_3genE3ELNS1_11target_archE908ELNS1_3gpuE7ELNS1_3repE0EEENS1_30default_config_static_selectorELNS0_4arch9wavefront6targetE1EEEvSY_: ; @_ZN7rocprim17ROCPRIM_400000_NS6detail17trampoline_kernelINS0_13select_configILj256ELj13ELNS0_17block_load_methodE3ELS4_3ELS4_3ELNS0_20block_scan_algorithmE0ELj4294967295EEENS1_25partition_config_selectorILNS1_17partition_subalgoE3EjNS0_10empty_typeEbEEZZNS1_14partition_implILS8_3ELb0ES6_jNS0_17counting_iteratorIjlEEPS9_SE_NS0_5tupleIJPjSE_EEENSF_IJSE_SE_EEES9_SG_JZNS1_25segmented_radix_sort_implINS0_14default_configELb0EPKaPaPKlPlN2at6native12_GLOBAL__N_18offset_tEEE10hipError_tPvRmT1_PNSt15iterator_traitsISY_E10value_typeET2_T3_PNSZ_IS14_E10value_typeET4_jRbjT5_S1A_jjP12ihipStream_tbEUljE_EEESV_SW_SX_S14_S18_S1A_T6_T7_T9_mT8_S1C_bDpT10_ENKUlT_T0_E_clISt17integral_constantIbLb1EES1O_IbLb0EEEEDaS1K_S1L_EUlS1K_E_NS1_11comp_targetILNS1_3genE3ELNS1_11target_archE908ELNS1_3gpuE7ELNS1_3repE0EEENS1_30default_config_static_selectorELNS0_4arch9wavefront6targetE1EEEvSY_
; %bb.0:
	.section	.rodata,"a",@progbits
	.p2align	6, 0x0
	.amdhsa_kernel _ZN7rocprim17ROCPRIM_400000_NS6detail17trampoline_kernelINS0_13select_configILj256ELj13ELNS0_17block_load_methodE3ELS4_3ELS4_3ELNS0_20block_scan_algorithmE0ELj4294967295EEENS1_25partition_config_selectorILNS1_17partition_subalgoE3EjNS0_10empty_typeEbEEZZNS1_14partition_implILS8_3ELb0ES6_jNS0_17counting_iteratorIjlEEPS9_SE_NS0_5tupleIJPjSE_EEENSF_IJSE_SE_EEES9_SG_JZNS1_25segmented_radix_sort_implINS0_14default_configELb0EPKaPaPKlPlN2at6native12_GLOBAL__N_18offset_tEEE10hipError_tPvRmT1_PNSt15iterator_traitsISY_E10value_typeET2_T3_PNSZ_IS14_E10value_typeET4_jRbjT5_S1A_jjP12ihipStream_tbEUljE_EEESV_SW_SX_S14_S18_S1A_T6_T7_T9_mT8_S1C_bDpT10_ENKUlT_T0_E_clISt17integral_constantIbLb1EES1O_IbLb0EEEEDaS1K_S1L_EUlS1K_E_NS1_11comp_targetILNS1_3genE3ELNS1_11target_archE908ELNS1_3gpuE7ELNS1_3repE0EEENS1_30default_config_static_selectorELNS0_4arch9wavefront6targetE1EEEvSY_
		.amdhsa_group_segment_fixed_size 0
		.amdhsa_private_segment_fixed_size 0
		.amdhsa_kernarg_size 144
		.amdhsa_user_sgpr_count 6
		.amdhsa_user_sgpr_private_segment_buffer 1
		.amdhsa_user_sgpr_dispatch_ptr 0
		.amdhsa_user_sgpr_queue_ptr 0
		.amdhsa_user_sgpr_kernarg_segment_ptr 1
		.amdhsa_user_sgpr_dispatch_id 0
		.amdhsa_user_sgpr_flat_scratch_init 0
		.amdhsa_user_sgpr_private_segment_size 0
		.amdhsa_uses_dynamic_stack 0
		.amdhsa_system_sgpr_private_segment_wavefront_offset 0
		.amdhsa_system_sgpr_workgroup_id_x 1
		.amdhsa_system_sgpr_workgroup_id_y 0
		.amdhsa_system_sgpr_workgroup_id_z 0
		.amdhsa_system_sgpr_workgroup_info 0
		.amdhsa_system_vgpr_workitem_id 0
		.amdhsa_next_free_vgpr 1
		.amdhsa_next_free_sgpr 0
		.amdhsa_reserve_vcc 0
		.amdhsa_reserve_flat_scratch 0
		.amdhsa_float_round_mode_32 0
		.amdhsa_float_round_mode_16_64 0
		.amdhsa_float_denorm_mode_32 3
		.amdhsa_float_denorm_mode_16_64 3
		.amdhsa_dx10_clamp 1
		.amdhsa_ieee_mode 1
		.amdhsa_fp16_overflow 0
		.amdhsa_exception_fp_ieee_invalid_op 0
		.amdhsa_exception_fp_denorm_src 0
		.amdhsa_exception_fp_ieee_div_zero 0
		.amdhsa_exception_fp_ieee_overflow 0
		.amdhsa_exception_fp_ieee_underflow 0
		.amdhsa_exception_fp_ieee_inexact 0
		.amdhsa_exception_int_div_zero 0
	.end_amdhsa_kernel
	.section	.text._ZN7rocprim17ROCPRIM_400000_NS6detail17trampoline_kernelINS0_13select_configILj256ELj13ELNS0_17block_load_methodE3ELS4_3ELS4_3ELNS0_20block_scan_algorithmE0ELj4294967295EEENS1_25partition_config_selectorILNS1_17partition_subalgoE3EjNS0_10empty_typeEbEEZZNS1_14partition_implILS8_3ELb0ES6_jNS0_17counting_iteratorIjlEEPS9_SE_NS0_5tupleIJPjSE_EEENSF_IJSE_SE_EEES9_SG_JZNS1_25segmented_radix_sort_implINS0_14default_configELb0EPKaPaPKlPlN2at6native12_GLOBAL__N_18offset_tEEE10hipError_tPvRmT1_PNSt15iterator_traitsISY_E10value_typeET2_T3_PNSZ_IS14_E10value_typeET4_jRbjT5_S1A_jjP12ihipStream_tbEUljE_EEESV_SW_SX_S14_S18_S1A_T6_T7_T9_mT8_S1C_bDpT10_ENKUlT_T0_E_clISt17integral_constantIbLb1EES1O_IbLb0EEEEDaS1K_S1L_EUlS1K_E_NS1_11comp_targetILNS1_3genE3ELNS1_11target_archE908ELNS1_3gpuE7ELNS1_3repE0EEENS1_30default_config_static_selectorELNS0_4arch9wavefront6targetE1EEEvSY_,"axG",@progbits,_ZN7rocprim17ROCPRIM_400000_NS6detail17trampoline_kernelINS0_13select_configILj256ELj13ELNS0_17block_load_methodE3ELS4_3ELS4_3ELNS0_20block_scan_algorithmE0ELj4294967295EEENS1_25partition_config_selectorILNS1_17partition_subalgoE3EjNS0_10empty_typeEbEEZZNS1_14partition_implILS8_3ELb0ES6_jNS0_17counting_iteratorIjlEEPS9_SE_NS0_5tupleIJPjSE_EEENSF_IJSE_SE_EEES9_SG_JZNS1_25segmented_radix_sort_implINS0_14default_configELb0EPKaPaPKlPlN2at6native12_GLOBAL__N_18offset_tEEE10hipError_tPvRmT1_PNSt15iterator_traitsISY_E10value_typeET2_T3_PNSZ_IS14_E10value_typeET4_jRbjT5_S1A_jjP12ihipStream_tbEUljE_EEESV_SW_SX_S14_S18_S1A_T6_T7_T9_mT8_S1C_bDpT10_ENKUlT_T0_E_clISt17integral_constantIbLb1EES1O_IbLb0EEEEDaS1K_S1L_EUlS1K_E_NS1_11comp_targetILNS1_3genE3ELNS1_11target_archE908ELNS1_3gpuE7ELNS1_3repE0EEENS1_30default_config_static_selectorELNS0_4arch9wavefront6targetE1EEEvSY_,comdat
.Lfunc_end380:
	.size	_ZN7rocprim17ROCPRIM_400000_NS6detail17trampoline_kernelINS0_13select_configILj256ELj13ELNS0_17block_load_methodE3ELS4_3ELS4_3ELNS0_20block_scan_algorithmE0ELj4294967295EEENS1_25partition_config_selectorILNS1_17partition_subalgoE3EjNS0_10empty_typeEbEEZZNS1_14partition_implILS8_3ELb0ES6_jNS0_17counting_iteratorIjlEEPS9_SE_NS0_5tupleIJPjSE_EEENSF_IJSE_SE_EEES9_SG_JZNS1_25segmented_radix_sort_implINS0_14default_configELb0EPKaPaPKlPlN2at6native12_GLOBAL__N_18offset_tEEE10hipError_tPvRmT1_PNSt15iterator_traitsISY_E10value_typeET2_T3_PNSZ_IS14_E10value_typeET4_jRbjT5_S1A_jjP12ihipStream_tbEUljE_EEESV_SW_SX_S14_S18_S1A_T6_T7_T9_mT8_S1C_bDpT10_ENKUlT_T0_E_clISt17integral_constantIbLb1EES1O_IbLb0EEEEDaS1K_S1L_EUlS1K_E_NS1_11comp_targetILNS1_3genE3ELNS1_11target_archE908ELNS1_3gpuE7ELNS1_3repE0EEENS1_30default_config_static_selectorELNS0_4arch9wavefront6targetE1EEEvSY_, .Lfunc_end380-_ZN7rocprim17ROCPRIM_400000_NS6detail17trampoline_kernelINS0_13select_configILj256ELj13ELNS0_17block_load_methodE3ELS4_3ELS4_3ELNS0_20block_scan_algorithmE0ELj4294967295EEENS1_25partition_config_selectorILNS1_17partition_subalgoE3EjNS0_10empty_typeEbEEZZNS1_14partition_implILS8_3ELb0ES6_jNS0_17counting_iteratorIjlEEPS9_SE_NS0_5tupleIJPjSE_EEENSF_IJSE_SE_EEES9_SG_JZNS1_25segmented_radix_sort_implINS0_14default_configELb0EPKaPaPKlPlN2at6native12_GLOBAL__N_18offset_tEEE10hipError_tPvRmT1_PNSt15iterator_traitsISY_E10value_typeET2_T3_PNSZ_IS14_E10value_typeET4_jRbjT5_S1A_jjP12ihipStream_tbEUljE_EEESV_SW_SX_S14_S18_S1A_T6_T7_T9_mT8_S1C_bDpT10_ENKUlT_T0_E_clISt17integral_constantIbLb1EES1O_IbLb0EEEEDaS1K_S1L_EUlS1K_E_NS1_11comp_targetILNS1_3genE3ELNS1_11target_archE908ELNS1_3gpuE7ELNS1_3repE0EEENS1_30default_config_static_selectorELNS0_4arch9wavefront6targetE1EEEvSY_
                                        ; -- End function
	.set _ZN7rocprim17ROCPRIM_400000_NS6detail17trampoline_kernelINS0_13select_configILj256ELj13ELNS0_17block_load_methodE3ELS4_3ELS4_3ELNS0_20block_scan_algorithmE0ELj4294967295EEENS1_25partition_config_selectorILNS1_17partition_subalgoE3EjNS0_10empty_typeEbEEZZNS1_14partition_implILS8_3ELb0ES6_jNS0_17counting_iteratorIjlEEPS9_SE_NS0_5tupleIJPjSE_EEENSF_IJSE_SE_EEES9_SG_JZNS1_25segmented_radix_sort_implINS0_14default_configELb0EPKaPaPKlPlN2at6native12_GLOBAL__N_18offset_tEEE10hipError_tPvRmT1_PNSt15iterator_traitsISY_E10value_typeET2_T3_PNSZ_IS14_E10value_typeET4_jRbjT5_S1A_jjP12ihipStream_tbEUljE_EEESV_SW_SX_S14_S18_S1A_T6_T7_T9_mT8_S1C_bDpT10_ENKUlT_T0_E_clISt17integral_constantIbLb1EES1O_IbLb0EEEEDaS1K_S1L_EUlS1K_E_NS1_11comp_targetILNS1_3genE3ELNS1_11target_archE908ELNS1_3gpuE7ELNS1_3repE0EEENS1_30default_config_static_selectorELNS0_4arch9wavefront6targetE1EEEvSY_.num_vgpr, 0
	.set _ZN7rocprim17ROCPRIM_400000_NS6detail17trampoline_kernelINS0_13select_configILj256ELj13ELNS0_17block_load_methodE3ELS4_3ELS4_3ELNS0_20block_scan_algorithmE0ELj4294967295EEENS1_25partition_config_selectorILNS1_17partition_subalgoE3EjNS0_10empty_typeEbEEZZNS1_14partition_implILS8_3ELb0ES6_jNS0_17counting_iteratorIjlEEPS9_SE_NS0_5tupleIJPjSE_EEENSF_IJSE_SE_EEES9_SG_JZNS1_25segmented_radix_sort_implINS0_14default_configELb0EPKaPaPKlPlN2at6native12_GLOBAL__N_18offset_tEEE10hipError_tPvRmT1_PNSt15iterator_traitsISY_E10value_typeET2_T3_PNSZ_IS14_E10value_typeET4_jRbjT5_S1A_jjP12ihipStream_tbEUljE_EEESV_SW_SX_S14_S18_S1A_T6_T7_T9_mT8_S1C_bDpT10_ENKUlT_T0_E_clISt17integral_constantIbLb1EES1O_IbLb0EEEEDaS1K_S1L_EUlS1K_E_NS1_11comp_targetILNS1_3genE3ELNS1_11target_archE908ELNS1_3gpuE7ELNS1_3repE0EEENS1_30default_config_static_selectorELNS0_4arch9wavefront6targetE1EEEvSY_.num_agpr, 0
	.set _ZN7rocprim17ROCPRIM_400000_NS6detail17trampoline_kernelINS0_13select_configILj256ELj13ELNS0_17block_load_methodE3ELS4_3ELS4_3ELNS0_20block_scan_algorithmE0ELj4294967295EEENS1_25partition_config_selectorILNS1_17partition_subalgoE3EjNS0_10empty_typeEbEEZZNS1_14partition_implILS8_3ELb0ES6_jNS0_17counting_iteratorIjlEEPS9_SE_NS0_5tupleIJPjSE_EEENSF_IJSE_SE_EEES9_SG_JZNS1_25segmented_radix_sort_implINS0_14default_configELb0EPKaPaPKlPlN2at6native12_GLOBAL__N_18offset_tEEE10hipError_tPvRmT1_PNSt15iterator_traitsISY_E10value_typeET2_T3_PNSZ_IS14_E10value_typeET4_jRbjT5_S1A_jjP12ihipStream_tbEUljE_EEESV_SW_SX_S14_S18_S1A_T6_T7_T9_mT8_S1C_bDpT10_ENKUlT_T0_E_clISt17integral_constantIbLb1EES1O_IbLb0EEEEDaS1K_S1L_EUlS1K_E_NS1_11comp_targetILNS1_3genE3ELNS1_11target_archE908ELNS1_3gpuE7ELNS1_3repE0EEENS1_30default_config_static_selectorELNS0_4arch9wavefront6targetE1EEEvSY_.numbered_sgpr, 0
	.set _ZN7rocprim17ROCPRIM_400000_NS6detail17trampoline_kernelINS0_13select_configILj256ELj13ELNS0_17block_load_methodE3ELS4_3ELS4_3ELNS0_20block_scan_algorithmE0ELj4294967295EEENS1_25partition_config_selectorILNS1_17partition_subalgoE3EjNS0_10empty_typeEbEEZZNS1_14partition_implILS8_3ELb0ES6_jNS0_17counting_iteratorIjlEEPS9_SE_NS0_5tupleIJPjSE_EEENSF_IJSE_SE_EEES9_SG_JZNS1_25segmented_radix_sort_implINS0_14default_configELb0EPKaPaPKlPlN2at6native12_GLOBAL__N_18offset_tEEE10hipError_tPvRmT1_PNSt15iterator_traitsISY_E10value_typeET2_T3_PNSZ_IS14_E10value_typeET4_jRbjT5_S1A_jjP12ihipStream_tbEUljE_EEESV_SW_SX_S14_S18_S1A_T6_T7_T9_mT8_S1C_bDpT10_ENKUlT_T0_E_clISt17integral_constantIbLb1EES1O_IbLb0EEEEDaS1K_S1L_EUlS1K_E_NS1_11comp_targetILNS1_3genE3ELNS1_11target_archE908ELNS1_3gpuE7ELNS1_3repE0EEENS1_30default_config_static_selectorELNS0_4arch9wavefront6targetE1EEEvSY_.num_named_barrier, 0
	.set _ZN7rocprim17ROCPRIM_400000_NS6detail17trampoline_kernelINS0_13select_configILj256ELj13ELNS0_17block_load_methodE3ELS4_3ELS4_3ELNS0_20block_scan_algorithmE0ELj4294967295EEENS1_25partition_config_selectorILNS1_17partition_subalgoE3EjNS0_10empty_typeEbEEZZNS1_14partition_implILS8_3ELb0ES6_jNS0_17counting_iteratorIjlEEPS9_SE_NS0_5tupleIJPjSE_EEENSF_IJSE_SE_EEES9_SG_JZNS1_25segmented_radix_sort_implINS0_14default_configELb0EPKaPaPKlPlN2at6native12_GLOBAL__N_18offset_tEEE10hipError_tPvRmT1_PNSt15iterator_traitsISY_E10value_typeET2_T3_PNSZ_IS14_E10value_typeET4_jRbjT5_S1A_jjP12ihipStream_tbEUljE_EEESV_SW_SX_S14_S18_S1A_T6_T7_T9_mT8_S1C_bDpT10_ENKUlT_T0_E_clISt17integral_constantIbLb1EES1O_IbLb0EEEEDaS1K_S1L_EUlS1K_E_NS1_11comp_targetILNS1_3genE3ELNS1_11target_archE908ELNS1_3gpuE7ELNS1_3repE0EEENS1_30default_config_static_selectorELNS0_4arch9wavefront6targetE1EEEvSY_.private_seg_size, 0
	.set _ZN7rocprim17ROCPRIM_400000_NS6detail17trampoline_kernelINS0_13select_configILj256ELj13ELNS0_17block_load_methodE3ELS4_3ELS4_3ELNS0_20block_scan_algorithmE0ELj4294967295EEENS1_25partition_config_selectorILNS1_17partition_subalgoE3EjNS0_10empty_typeEbEEZZNS1_14partition_implILS8_3ELb0ES6_jNS0_17counting_iteratorIjlEEPS9_SE_NS0_5tupleIJPjSE_EEENSF_IJSE_SE_EEES9_SG_JZNS1_25segmented_radix_sort_implINS0_14default_configELb0EPKaPaPKlPlN2at6native12_GLOBAL__N_18offset_tEEE10hipError_tPvRmT1_PNSt15iterator_traitsISY_E10value_typeET2_T3_PNSZ_IS14_E10value_typeET4_jRbjT5_S1A_jjP12ihipStream_tbEUljE_EEESV_SW_SX_S14_S18_S1A_T6_T7_T9_mT8_S1C_bDpT10_ENKUlT_T0_E_clISt17integral_constantIbLb1EES1O_IbLb0EEEEDaS1K_S1L_EUlS1K_E_NS1_11comp_targetILNS1_3genE3ELNS1_11target_archE908ELNS1_3gpuE7ELNS1_3repE0EEENS1_30default_config_static_selectorELNS0_4arch9wavefront6targetE1EEEvSY_.uses_vcc, 0
	.set _ZN7rocprim17ROCPRIM_400000_NS6detail17trampoline_kernelINS0_13select_configILj256ELj13ELNS0_17block_load_methodE3ELS4_3ELS4_3ELNS0_20block_scan_algorithmE0ELj4294967295EEENS1_25partition_config_selectorILNS1_17partition_subalgoE3EjNS0_10empty_typeEbEEZZNS1_14partition_implILS8_3ELb0ES6_jNS0_17counting_iteratorIjlEEPS9_SE_NS0_5tupleIJPjSE_EEENSF_IJSE_SE_EEES9_SG_JZNS1_25segmented_radix_sort_implINS0_14default_configELb0EPKaPaPKlPlN2at6native12_GLOBAL__N_18offset_tEEE10hipError_tPvRmT1_PNSt15iterator_traitsISY_E10value_typeET2_T3_PNSZ_IS14_E10value_typeET4_jRbjT5_S1A_jjP12ihipStream_tbEUljE_EEESV_SW_SX_S14_S18_S1A_T6_T7_T9_mT8_S1C_bDpT10_ENKUlT_T0_E_clISt17integral_constantIbLb1EES1O_IbLb0EEEEDaS1K_S1L_EUlS1K_E_NS1_11comp_targetILNS1_3genE3ELNS1_11target_archE908ELNS1_3gpuE7ELNS1_3repE0EEENS1_30default_config_static_selectorELNS0_4arch9wavefront6targetE1EEEvSY_.uses_flat_scratch, 0
	.set _ZN7rocprim17ROCPRIM_400000_NS6detail17trampoline_kernelINS0_13select_configILj256ELj13ELNS0_17block_load_methodE3ELS4_3ELS4_3ELNS0_20block_scan_algorithmE0ELj4294967295EEENS1_25partition_config_selectorILNS1_17partition_subalgoE3EjNS0_10empty_typeEbEEZZNS1_14partition_implILS8_3ELb0ES6_jNS0_17counting_iteratorIjlEEPS9_SE_NS0_5tupleIJPjSE_EEENSF_IJSE_SE_EEES9_SG_JZNS1_25segmented_radix_sort_implINS0_14default_configELb0EPKaPaPKlPlN2at6native12_GLOBAL__N_18offset_tEEE10hipError_tPvRmT1_PNSt15iterator_traitsISY_E10value_typeET2_T3_PNSZ_IS14_E10value_typeET4_jRbjT5_S1A_jjP12ihipStream_tbEUljE_EEESV_SW_SX_S14_S18_S1A_T6_T7_T9_mT8_S1C_bDpT10_ENKUlT_T0_E_clISt17integral_constantIbLb1EES1O_IbLb0EEEEDaS1K_S1L_EUlS1K_E_NS1_11comp_targetILNS1_3genE3ELNS1_11target_archE908ELNS1_3gpuE7ELNS1_3repE0EEENS1_30default_config_static_selectorELNS0_4arch9wavefront6targetE1EEEvSY_.has_dyn_sized_stack, 0
	.set _ZN7rocprim17ROCPRIM_400000_NS6detail17trampoline_kernelINS0_13select_configILj256ELj13ELNS0_17block_load_methodE3ELS4_3ELS4_3ELNS0_20block_scan_algorithmE0ELj4294967295EEENS1_25partition_config_selectorILNS1_17partition_subalgoE3EjNS0_10empty_typeEbEEZZNS1_14partition_implILS8_3ELb0ES6_jNS0_17counting_iteratorIjlEEPS9_SE_NS0_5tupleIJPjSE_EEENSF_IJSE_SE_EEES9_SG_JZNS1_25segmented_radix_sort_implINS0_14default_configELb0EPKaPaPKlPlN2at6native12_GLOBAL__N_18offset_tEEE10hipError_tPvRmT1_PNSt15iterator_traitsISY_E10value_typeET2_T3_PNSZ_IS14_E10value_typeET4_jRbjT5_S1A_jjP12ihipStream_tbEUljE_EEESV_SW_SX_S14_S18_S1A_T6_T7_T9_mT8_S1C_bDpT10_ENKUlT_T0_E_clISt17integral_constantIbLb1EES1O_IbLb0EEEEDaS1K_S1L_EUlS1K_E_NS1_11comp_targetILNS1_3genE3ELNS1_11target_archE908ELNS1_3gpuE7ELNS1_3repE0EEENS1_30default_config_static_selectorELNS0_4arch9wavefront6targetE1EEEvSY_.has_recursion, 0
	.set _ZN7rocprim17ROCPRIM_400000_NS6detail17trampoline_kernelINS0_13select_configILj256ELj13ELNS0_17block_load_methodE3ELS4_3ELS4_3ELNS0_20block_scan_algorithmE0ELj4294967295EEENS1_25partition_config_selectorILNS1_17partition_subalgoE3EjNS0_10empty_typeEbEEZZNS1_14partition_implILS8_3ELb0ES6_jNS0_17counting_iteratorIjlEEPS9_SE_NS0_5tupleIJPjSE_EEENSF_IJSE_SE_EEES9_SG_JZNS1_25segmented_radix_sort_implINS0_14default_configELb0EPKaPaPKlPlN2at6native12_GLOBAL__N_18offset_tEEE10hipError_tPvRmT1_PNSt15iterator_traitsISY_E10value_typeET2_T3_PNSZ_IS14_E10value_typeET4_jRbjT5_S1A_jjP12ihipStream_tbEUljE_EEESV_SW_SX_S14_S18_S1A_T6_T7_T9_mT8_S1C_bDpT10_ENKUlT_T0_E_clISt17integral_constantIbLb1EES1O_IbLb0EEEEDaS1K_S1L_EUlS1K_E_NS1_11comp_targetILNS1_3genE3ELNS1_11target_archE908ELNS1_3gpuE7ELNS1_3repE0EEENS1_30default_config_static_selectorELNS0_4arch9wavefront6targetE1EEEvSY_.has_indirect_call, 0
	.section	.AMDGPU.csdata,"",@progbits
; Kernel info:
; codeLenInByte = 0
; TotalNumSgprs: 4
; NumVgprs: 0
; ScratchSize: 0
; MemoryBound: 0
; FloatMode: 240
; IeeeMode: 1
; LDSByteSize: 0 bytes/workgroup (compile time only)
; SGPRBlocks: 0
; VGPRBlocks: 0
; NumSGPRsForWavesPerEU: 4
; NumVGPRsForWavesPerEU: 1
; Occupancy: 10
; WaveLimiterHint : 0
; COMPUTE_PGM_RSRC2:SCRATCH_EN: 0
; COMPUTE_PGM_RSRC2:USER_SGPR: 6
; COMPUTE_PGM_RSRC2:TRAP_HANDLER: 0
; COMPUTE_PGM_RSRC2:TGID_X_EN: 1
; COMPUTE_PGM_RSRC2:TGID_Y_EN: 0
; COMPUTE_PGM_RSRC2:TGID_Z_EN: 0
; COMPUTE_PGM_RSRC2:TIDIG_COMP_CNT: 0
	.section	.text._ZN7rocprim17ROCPRIM_400000_NS6detail17trampoline_kernelINS0_13select_configILj256ELj13ELNS0_17block_load_methodE3ELS4_3ELS4_3ELNS0_20block_scan_algorithmE0ELj4294967295EEENS1_25partition_config_selectorILNS1_17partition_subalgoE3EjNS0_10empty_typeEbEEZZNS1_14partition_implILS8_3ELb0ES6_jNS0_17counting_iteratorIjlEEPS9_SE_NS0_5tupleIJPjSE_EEENSF_IJSE_SE_EEES9_SG_JZNS1_25segmented_radix_sort_implINS0_14default_configELb0EPKaPaPKlPlN2at6native12_GLOBAL__N_18offset_tEEE10hipError_tPvRmT1_PNSt15iterator_traitsISY_E10value_typeET2_T3_PNSZ_IS14_E10value_typeET4_jRbjT5_S1A_jjP12ihipStream_tbEUljE_EEESV_SW_SX_S14_S18_S1A_T6_T7_T9_mT8_S1C_bDpT10_ENKUlT_T0_E_clISt17integral_constantIbLb1EES1O_IbLb0EEEEDaS1K_S1L_EUlS1K_E_NS1_11comp_targetILNS1_3genE2ELNS1_11target_archE906ELNS1_3gpuE6ELNS1_3repE0EEENS1_30default_config_static_selectorELNS0_4arch9wavefront6targetE1EEEvSY_,"axG",@progbits,_ZN7rocprim17ROCPRIM_400000_NS6detail17trampoline_kernelINS0_13select_configILj256ELj13ELNS0_17block_load_methodE3ELS4_3ELS4_3ELNS0_20block_scan_algorithmE0ELj4294967295EEENS1_25partition_config_selectorILNS1_17partition_subalgoE3EjNS0_10empty_typeEbEEZZNS1_14partition_implILS8_3ELb0ES6_jNS0_17counting_iteratorIjlEEPS9_SE_NS0_5tupleIJPjSE_EEENSF_IJSE_SE_EEES9_SG_JZNS1_25segmented_radix_sort_implINS0_14default_configELb0EPKaPaPKlPlN2at6native12_GLOBAL__N_18offset_tEEE10hipError_tPvRmT1_PNSt15iterator_traitsISY_E10value_typeET2_T3_PNSZ_IS14_E10value_typeET4_jRbjT5_S1A_jjP12ihipStream_tbEUljE_EEESV_SW_SX_S14_S18_S1A_T6_T7_T9_mT8_S1C_bDpT10_ENKUlT_T0_E_clISt17integral_constantIbLb1EES1O_IbLb0EEEEDaS1K_S1L_EUlS1K_E_NS1_11comp_targetILNS1_3genE2ELNS1_11target_archE906ELNS1_3gpuE6ELNS1_3repE0EEENS1_30default_config_static_selectorELNS0_4arch9wavefront6targetE1EEEvSY_,comdat
	.globl	_ZN7rocprim17ROCPRIM_400000_NS6detail17trampoline_kernelINS0_13select_configILj256ELj13ELNS0_17block_load_methodE3ELS4_3ELS4_3ELNS0_20block_scan_algorithmE0ELj4294967295EEENS1_25partition_config_selectorILNS1_17partition_subalgoE3EjNS0_10empty_typeEbEEZZNS1_14partition_implILS8_3ELb0ES6_jNS0_17counting_iteratorIjlEEPS9_SE_NS0_5tupleIJPjSE_EEENSF_IJSE_SE_EEES9_SG_JZNS1_25segmented_radix_sort_implINS0_14default_configELb0EPKaPaPKlPlN2at6native12_GLOBAL__N_18offset_tEEE10hipError_tPvRmT1_PNSt15iterator_traitsISY_E10value_typeET2_T3_PNSZ_IS14_E10value_typeET4_jRbjT5_S1A_jjP12ihipStream_tbEUljE_EEESV_SW_SX_S14_S18_S1A_T6_T7_T9_mT8_S1C_bDpT10_ENKUlT_T0_E_clISt17integral_constantIbLb1EES1O_IbLb0EEEEDaS1K_S1L_EUlS1K_E_NS1_11comp_targetILNS1_3genE2ELNS1_11target_archE906ELNS1_3gpuE6ELNS1_3repE0EEENS1_30default_config_static_selectorELNS0_4arch9wavefront6targetE1EEEvSY_ ; -- Begin function _ZN7rocprim17ROCPRIM_400000_NS6detail17trampoline_kernelINS0_13select_configILj256ELj13ELNS0_17block_load_methodE3ELS4_3ELS4_3ELNS0_20block_scan_algorithmE0ELj4294967295EEENS1_25partition_config_selectorILNS1_17partition_subalgoE3EjNS0_10empty_typeEbEEZZNS1_14partition_implILS8_3ELb0ES6_jNS0_17counting_iteratorIjlEEPS9_SE_NS0_5tupleIJPjSE_EEENSF_IJSE_SE_EEES9_SG_JZNS1_25segmented_radix_sort_implINS0_14default_configELb0EPKaPaPKlPlN2at6native12_GLOBAL__N_18offset_tEEE10hipError_tPvRmT1_PNSt15iterator_traitsISY_E10value_typeET2_T3_PNSZ_IS14_E10value_typeET4_jRbjT5_S1A_jjP12ihipStream_tbEUljE_EEESV_SW_SX_S14_S18_S1A_T6_T7_T9_mT8_S1C_bDpT10_ENKUlT_T0_E_clISt17integral_constantIbLb1EES1O_IbLb0EEEEDaS1K_S1L_EUlS1K_E_NS1_11comp_targetILNS1_3genE2ELNS1_11target_archE906ELNS1_3gpuE6ELNS1_3repE0EEENS1_30default_config_static_selectorELNS0_4arch9wavefront6targetE1EEEvSY_
	.p2align	8
	.type	_ZN7rocprim17ROCPRIM_400000_NS6detail17trampoline_kernelINS0_13select_configILj256ELj13ELNS0_17block_load_methodE3ELS4_3ELS4_3ELNS0_20block_scan_algorithmE0ELj4294967295EEENS1_25partition_config_selectorILNS1_17partition_subalgoE3EjNS0_10empty_typeEbEEZZNS1_14partition_implILS8_3ELb0ES6_jNS0_17counting_iteratorIjlEEPS9_SE_NS0_5tupleIJPjSE_EEENSF_IJSE_SE_EEES9_SG_JZNS1_25segmented_radix_sort_implINS0_14default_configELb0EPKaPaPKlPlN2at6native12_GLOBAL__N_18offset_tEEE10hipError_tPvRmT1_PNSt15iterator_traitsISY_E10value_typeET2_T3_PNSZ_IS14_E10value_typeET4_jRbjT5_S1A_jjP12ihipStream_tbEUljE_EEESV_SW_SX_S14_S18_S1A_T6_T7_T9_mT8_S1C_bDpT10_ENKUlT_T0_E_clISt17integral_constantIbLb1EES1O_IbLb0EEEEDaS1K_S1L_EUlS1K_E_NS1_11comp_targetILNS1_3genE2ELNS1_11target_archE906ELNS1_3gpuE6ELNS1_3repE0EEENS1_30default_config_static_selectorELNS0_4arch9wavefront6targetE1EEEvSY_,@function
_ZN7rocprim17ROCPRIM_400000_NS6detail17trampoline_kernelINS0_13select_configILj256ELj13ELNS0_17block_load_methodE3ELS4_3ELS4_3ELNS0_20block_scan_algorithmE0ELj4294967295EEENS1_25partition_config_selectorILNS1_17partition_subalgoE3EjNS0_10empty_typeEbEEZZNS1_14partition_implILS8_3ELb0ES6_jNS0_17counting_iteratorIjlEEPS9_SE_NS0_5tupleIJPjSE_EEENSF_IJSE_SE_EEES9_SG_JZNS1_25segmented_radix_sort_implINS0_14default_configELb0EPKaPaPKlPlN2at6native12_GLOBAL__N_18offset_tEEE10hipError_tPvRmT1_PNSt15iterator_traitsISY_E10value_typeET2_T3_PNSZ_IS14_E10value_typeET4_jRbjT5_S1A_jjP12ihipStream_tbEUljE_EEESV_SW_SX_S14_S18_S1A_T6_T7_T9_mT8_S1C_bDpT10_ENKUlT_T0_E_clISt17integral_constantIbLb1EES1O_IbLb0EEEEDaS1K_S1L_EUlS1K_E_NS1_11comp_targetILNS1_3genE2ELNS1_11target_archE906ELNS1_3gpuE6ELNS1_3repE0EEENS1_30default_config_static_selectorELNS0_4arch9wavefront6targetE1EEEvSY_: ; @_ZN7rocprim17ROCPRIM_400000_NS6detail17trampoline_kernelINS0_13select_configILj256ELj13ELNS0_17block_load_methodE3ELS4_3ELS4_3ELNS0_20block_scan_algorithmE0ELj4294967295EEENS1_25partition_config_selectorILNS1_17partition_subalgoE3EjNS0_10empty_typeEbEEZZNS1_14partition_implILS8_3ELb0ES6_jNS0_17counting_iteratorIjlEEPS9_SE_NS0_5tupleIJPjSE_EEENSF_IJSE_SE_EEES9_SG_JZNS1_25segmented_radix_sort_implINS0_14default_configELb0EPKaPaPKlPlN2at6native12_GLOBAL__N_18offset_tEEE10hipError_tPvRmT1_PNSt15iterator_traitsISY_E10value_typeET2_T3_PNSZ_IS14_E10value_typeET4_jRbjT5_S1A_jjP12ihipStream_tbEUljE_EEESV_SW_SX_S14_S18_S1A_T6_T7_T9_mT8_S1C_bDpT10_ENKUlT_T0_E_clISt17integral_constantIbLb1EES1O_IbLb0EEEEDaS1K_S1L_EUlS1K_E_NS1_11comp_targetILNS1_3genE2ELNS1_11target_archE906ELNS1_3gpuE6ELNS1_3repE0EEENS1_30default_config_static_selectorELNS0_4arch9wavefront6targetE1EEEvSY_
; %bb.0:
	s_endpgm
	.section	.rodata,"a",@progbits
	.p2align	6, 0x0
	.amdhsa_kernel _ZN7rocprim17ROCPRIM_400000_NS6detail17trampoline_kernelINS0_13select_configILj256ELj13ELNS0_17block_load_methodE3ELS4_3ELS4_3ELNS0_20block_scan_algorithmE0ELj4294967295EEENS1_25partition_config_selectorILNS1_17partition_subalgoE3EjNS0_10empty_typeEbEEZZNS1_14partition_implILS8_3ELb0ES6_jNS0_17counting_iteratorIjlEEPS9_SE_NS0_5tupleIJPjSE_EEENSF_IJSE_SE_EEES9_SG_JZNS1_25segmented_radix_sort_implINS0_14default_configELb0EPKaPaPKlPlN2at6native12_GLOBAL__N_18offset_tEEE10hipError_tPvRmT1_PNSt15iterator_traitsISY_E10value_typeET2_T3_PNSZ_IS14_E10value_typeET4_jRbjT5_S1A_jjP12ihipStream_tbEUljE_EEESV_SW_SX_S14_S18_S1A_T6_T7_T9_mT8_S1C_bDpT10_ENKUlT_T0_E_clISt17integral_constantIbLb1EES1O_IbLb0EEEEDaS1K_S1L_EUlS1K_E_NS1_11comp_targetILNS1_3genE2ELNS1_11target_archE906ELNS1_3gpuE6ELNS1_3repE0EEENS1_30default_config_static_selectorELNS0_4arch9wavefront6targetE1EEEvSY_
		.amdhsa_group_segment_fixed_size 0
		.amdhsa_private_segment_fixed_size 0
		.amdhsa_kernarg_size 144
		.amdhsa_user_sgpr_count 6
		.amdhsa_user_sgpr_private_segment_buffer 1
		.amdhsa_user_sgpr_dispatch_ptr 0
		.amdhsa_user_sgpr_queue_ptr 0
		.amdhsa_user_sgpr_kernarg_segment_ptr 1
		.amdhsa_user_sgpr_dispatch_id 0
		.amdhsa_user_sgpr_flat_scratch_init 0
		.amdhsa_user_sgpr_private_segment_size 0
		.amdhsa_uses_dynamic_stack 0
		.amdhsa_system_sgpr_private_segment_wavefront_offset 0
		.amdhsa_system_sgpr_workgroup_id_x 1
		.amdhsa_system_sgpr_workgroup_id_y 0
		.amdhsa_system_sgpr_workgroup_id_z 0
		.amdhsa_system_sgpr_workgroup_info 0
		.amdhsa_system_vgpr_workitem_id 0
		.amdhsa_next_free_vgpr 1
		.amdhsa_next_free_sgpr 0
		.amdhsa_reserve_vcc 0
		.amdhsa_reserve_flat_scratch 0
		.amdhsa_float_round_mode_32 0
		.amdhsa_float_round_mode_16_64 0
		.amdhsa_float_denorm_mode_32 3
		.amdhsa_float_denorm_mode_16_64 3
		.amdhsa_dx10_clamp 1
		.amdhsa_ieee_mode 1
		.amdhsa_fp16_overflow 0
		.amdhsa_exception_fp_ieee_invalid_op 0
		.amdhsa_exception_fp_denorm_src 0
		.amdhsa_exception_fp_ieee_div_zero 0
		.amdhsa_exception_fp_ieee_overflow 0
		.amdhsa_exception_fp_ieee_underflow 0
		.amdhsa_exception_fp_ieee_inexact 0
		.amdhsa_exception_int_div_zero 0
	.end_amdhsa_kernel
	.section	.text._ZN7rocprim17ROCPRIM_400000_NS6detail17trampoline_kernelINS0_13select_configILj256ELj13ELNS0_17block_load_methodE3ELS4_3ELS4_3ELNS0_20block_scan_algorithmE0ELj4294967295EEENS1_25partition_config_selectorILNS1_17partition_subalgoE3EjNS0_10empty_typeEbEEZZNS1_14partition_implILS8_3ELb0ES6_jNS0_17counting_iteratorIjlEEPS9_SE_NS0_5tupleIJPjSE_EEENSF_IJSE_SE_EEES9_SG_JZNS1_25segmented_radix_sort_implINS0_14default_configELb0EPKaPaPKlPlN2at6native12_GLOBAL__N_18offset_tEEE10hipError_tPvRmT1_PNSt15iterator_traitsISY_E10value_typeET2_T3_PNSZ_IS14_E10value_typeET4_jRbjT5_S1A_jjP12ihipStream_tbEUljE_EEESV_SW_SX_S14_S18_S1A_T6_T7_T9_mT8_S1C_bDpT10_ENKUlT_T0_E_clISt17integral_constantIbLb1EES1O_IbLb0EEEEDaS1K_S1L_EUlS1K_E_NS1_11comp_targetILNS1_3genE2ELNS1_11target_archE906ELNS1_3gpuE6ELNS1_3repE0EEENS1_30default_config_static_selectorELNS0_4arch9wavefront6targetE1EEEvSY_,"axG",@progbits,_ZN7rocprim17ROCPRIM_400000_NS6detail17trampoline_kernelINS0_13select_configILj256ELj13ELNS0_17block_load_methodE3ELS4_3ELS4_3ELNS0_20block_scan_algorithmE0ELj4294967295EEENS1_25partition_config_selectorILNS1_17partition_subalgoE3EjNS0_10empty_typeEbEEZZNS1_14partition_implILS8_3ELb0ES6_jNS0_17counting_iteratorIjlEEPS9_SE_NS0_5tupleIJPjSE_EEENSF_IJSE_SE_EEES9_SG_JZNS1_25segmented_radix_sort_implINS0_14default_configELb0EPKaPaPKlPlN2at6native12_GLOBAL__N_18offset_tEEE10hipError_tPvRmT1_PNSt15iterator_traitsISY_E10value_typeET2_T3_PNSZ_IS14_E10value_typeET4_jRbjT5_S1A_jjP12ihipStream_tbEUljE_EEESV_SW_SX_S14_S18_S1A_T6_T7_T9_mT8_S1C_bDpT10_ENKUlT_T0_E_clISt17integral_constantIbLb1EES1O_IbLb0EEEEDaS1K_S1L_EUlS1K_E_NS1_11comp_targetILNS1_3genE2ELNS1_11target_archE906ELNS1_3gpuE6ELNS1_3repE0EEENS1_30default_config_static_selectorELNS0_4arch9wavefront6targetE1EEEvSY_,comdat
.Lfunc_end381:
	.size	_ZN7rocprim17ROCPRIM_400000_NS6detail17trampoline_kernelINS0_13select_configILj256ELj13ELNS0_17block_load_methodE3ELS4_3ELS4_3ELNS0_20block_scan_algorithmE0ELj4294967295EEENS1_25partition_config_selectorILNS1_17partition_subalgoE3EjNS0_10empty_typeEbEEZZNS1_14partition_implILS8_3ELb0ES6_jNS0_17counting_iteratorIjlEEPS9_SE_NS0_5tupleIJPjSE_EEENSF_IJSE_SE_EEES9_SG_JZNS1_25segmented_radix_sort_implINS0_14default_configELb0EPKaPaPKlPlN2at6native12_GLOBAL__N_18offset_tEEE10hipError_tPvRmT1_PNSt15iterator_traitsISY_E10value_typeET2_T3_PNSZ_IS14_E10value_typeET4_jRbjT5_S1A_jjP12ihipStream_tbEUljE_EEESV_SW_SX_S14_S18_S1A_T6_T7_T9_mT8_S1C_bDpT10_ENKUlT_T0_E_clISt17integral_constantIbLb1EES1O_IbLb0EEEEDaS1K_S1L_EUlS1K_E_NS1_11comp_targetILNS1_3genE2ELNS1_11target_archE906ELNS1_3gpuE6ELNS1_3repE0EEENS1_30default_config_static_selectorELNS0_4arch9wavefront6targetE1EEEvSY_, .Lfunc_end381-_ZN7rocprim17ROCPRIM_400000_NS6detail17trampoline_kernelINS0_13select_configILj256ELj13ELNS0_17block_load_methodE3ELS4_3ELS4_3ELNS0_20block_scan_algorithmE0ELj4294967295EEENS1_25partition_config_selectorILNS1_17partition_subalgoE3EjNS0_10empty_typeEbEEZZNS1_14partition_implILS8_3ELb0ES6_jNS0_17counting_iteratorIjlEEPS9_SE_NS0_5tupleIJPjSE_EEENSF_IJSE_SE_EEES9_SG_JZNS1_25segmented_radix_sort_implINS0_14default_configELb0EPKaPaPKlPlN2at6native12_GLOBAL__N_18offset_tEEE10hipError_tPvRmT1_PNSt15iterator_traitsISY_E10value_typeET2_T3_PNSZ_IS14_E10value_typeET4_jRbjT5_S1A_jjP12ihipStream_tbEUljE_EEESV_SW_SX_S14_S18_S1A_T6_T7_T9_mT8_S1C_bDpT10_ENKUlT_T0_E_clISt17integral_constantIbLb1EES1O_IbLb0EEEEDaS1K_S1L_EUlS1K_E_NS1_11comp_targetILNS1_3genE2ELNS1_11target_archE906ELNS1_3gpuE6ELNS1_3repE0EEENS1_30default_config_static_selectorELNS0_4arch9wavefront6targetE1EEEvSY_
                                        ; -- End function
	.set _ZN7rocprim17ROCPRIM_400000_NS6detail17trampoline_kernelINS0_13select_configILj256ELj13ELNS0_17block_load_methodE3ELS4_3ELS4_3ELNS0_20block_scan_algorithmE0ELj4294967295EEENS1_25partition_config_selectorILNS1_17partition_subalgoE3EjNS0_10empty_typeEbEEZZNS1_14partition_implILS8_3ELb0ES6_jNS0_17counting_iteratorIjlEEPS9_SE_NS0_5tupleIJPjSE_EEENSF_IJSE_SE_EEES9_SG_JZNS1_25segmented_radix_sort_implINS0_14default_configELb0EPKaPaPKlPlN2at6native12_GLOBAL__N_18offset_tEEE10hipError_tPvRmT1_PNSt15iterator_traitsISY_E10value_typeET2_T3_PNSZ_IS14_E10value_typeET4_jRbjT5_S1A_jjP12ihipStream_tbEUljE_EEESV_SW_SX_S14_S18_S1A_T6_T7_T9_mT8_S1C_bDpT10_ENKUlT_T0_E_clISt17integral_constantIbLb1EES1O_IbLb0EEEEDaS1K_S1L_EUlS1K_E_NS1_11comp_targetILNS1_3genE2ELNS1_11target_archE906ELNS1_3gpuE6ELNS1_3repE0EEENS1_30default_config_static_selectorELNS0_4arch9wavefront6targetE1EEEvSY_.num_vgpr, 0
	.set _ZN7rocprim17ROCPRIM_400000_NS6detail17trampoline_kernelINS0_13select_configILj256ELj13ELNS0_17block_load_methodE3ELS4_3ELS4_3ELNS0_20block_scan_algorithmE0ELj4294967295EEENS1_25partition_config_selectorILNS1_17partition_subalgoE3EjNS0_10empty_typeEbEEZZNS1_14partition_implILS8_3ELb0ES6_jNS0_17counting_iteratorIjlEEPS9_SE_NS0_5tupleIJPjSE_EEENSF_IJSE_SE_EEES9_SG_JZNS1_25segmented_radix_sort_implINS0_14default_configELb0EPKaPaPKlPlN2at6native12_GLOBAL__N_18offset_tEEE10hipError_tPvRmT1_PNSt15iterator_traitsISY_E10value_typeET2_T3_PNSZ_IS14_E10value_typeET4_jRbjT5_S1A_jjP12ihipStream_tbEUljE_EEESV_SW_SX_S14_S18_S1A_T6_T7_T9_mT8_S1C_bDpT10_ENKUlT_T0_E_clISt17integral_constantIbLb1EES1O_IbLb0EEEEDaS1K_S1L_EUlS1K_E_NS1_11comp_targetILNS1_3genE2ELNS1_11target_archE906ELNS1_3gpuE6ELNS1_3repE0EEENS1_30default_config_static_selectorELNS0_4arch9wavefront6targetE1EEEvSY_.num_agpr, 0
	.set _ZN7rocprim17ROCPRIM_400000_NS6detail17trampoline_kernelINS0_13select_configILj256ELj13ELNS0_17block_load_methodE3ELS4_3ELS4_3ELNS0_20block_scan_algorithmE0ELj4294967295EEENS1_25partition_config_selectorILNS1_17partition_subalgoE3EjNS0_10empty_typeEbEEZZNS1_14partition_implILS8_3ELb0ES6_jNS0_17counting_iteratorIjlEEPS9_SE_NS0_5tupleIJPjSE_EEENSF_IJSE_SE_EEES9_SG_JZNS1_25segmented_radix_sort_implINS0_14default_configELb0EPKaPaPKlPlN2at6native12_GLOBAL__N_18offset_tEEE10hipError_tPvRmT1_PNSt15iterator_traitsISY_E10value_typeET2_T3_PNSZ_IS14_E10value_typeET4_jRbjT5_S1A_jjP12ihipStream_tbEUljE_EEESV_SW_SX_S14_S18_S1A_T6_T7_T9_mT8_S1C_bDpT10_ENKUlT_T0_E_clISt17integral_constantIbLb1EES1O_IbLb0EEEEDaS1K_S1L_EUlS1K_E_NS1_11comp_targetILNS1_3genE2ELNS1_11target_archE906ELNS1_3gpuE6ELNS1_3repE0EEENS1_30default_config_static_selectorELNS0_4arch9wavefront6targetE1EEEvSY_.numbered_sgpr, 0
	.set _ZN7rocprim17ROCPRIM_400000_NS6detail17trampoline_kernelINS0_13select_configILj256ELj13ELNS0_17block_load_methodE3ELS4_3ELS4_3ELNS0_20block_scan_algorithmE0ELj4294967295EEENS1_25partition_config_selectorILNS1_17partition_subalgoE3EjNS0_10empty_typeEbEEZZNS1_14partition_implILS8_3ELb0ES6_jNS0_17counting_iteratorIjlEEPS9_SE_NS0_5tupleIJPjSE_EEENSF_IJSE_SE_EEES9_SG_JZNS1_25segmented_radix_sort_implINS0_14default_configELb0EPKaPaPKlPlN2at6native12_GLOBAL__N_18offset_tEEE10hipError_tPvRmT1_PNSt15iterator_traitsISY_E10value_typeET2_T3_PNSZ_IS14_E10value_typeET4_jRbjT5_S1A_jjP12ihipStream_tbEUljE_EEESV_SW_SX_S14_S18_S1A_T6_T7_T9_mT8_S1C_bDpT10_ENKUlT_T0_E_clISt17integral_constantIbLb1EES1O_IbLb0EEEEDaS1K_S1L_EUlS1K_E_NS1_11comp_targetILNS1_3genE2ELNS1_11target_archE906ELNS1_3gpuE6ELNS1_3repE0EEENS1_30default_config_static_selectorELNS0_4arch9wavefront6targetE1EEEvSY_.num_named_barrier, 0
	.set _ZN7rocprim17ROCPRIM_400000_NS6detail17trampoline_kernelINS0_13select_configILj256ELj13ELNS0_17block_load_methodE3ELS4_3ELS4_3ELNS0_20block_scan_algorithmE0ELj4294967295EEENS1_25partition_config_selectorILNS1_17partition_subalgoE3EjNS0_10empty_typeEbEEZZNS1_14partition_implILS8_3ELb0ES6_jNS0_17counting_iteratorIjlEEPS9_SE_NS0_5tupleIJPjSE_EEENSF_IJSE_SE_EEES9_SG_JZNS1_25segmented_radix_sort_implINS0_14default_configELb0EPKaPaPKlPlN2at6native12_GLOBAL__N_18offset_tEEE10hipError_tPvRmT1_PNSt15iterator_traitsISY_E10value_typeET2_T3_PNSZ_IS14_E10value_typeET4_jRbjT5_S1A_jjP12ihipStream_tbEUljE_EEESV_SW_SX_S14_S18_S1A_T6_T7_T9_mT8_S1C_bDpT10_ENKUlT_T0_E_clISt17integral_constantIbLb1EES1O_IbLb0EEEEDaS1K_S1L_EUlS1K_E_NS1_11comp_targetILNS1_3genE2ELNS1_11target_archE906ELNS1_3gpuE6ELNS1_3repE0EEENS1_30default_config_static_selectorELNS0_4arch9wavefront6targetE1EEEvSY_.private_seg_size, 0
	.set _ZN7rocprim17ROCPRIM_400000_NS6detail17trampoline_kernelINS0_13select_configILj256ELj13ELNS0_17block_load_methodE3ELS4_3ELS4_3ELNS0_20block_scan_algorithmE0ELj4294967295EEENS1_25partition_config_selectorILNS1_17partition_subalgoE3EjNS0_10empty_typeEbEEZZNS1_14partition_implILS8_3ELb0ES6_jNS0_17counting_iteratorIjlEEPS9_SE_NS0_5tupleIJPjSE_EEENSF_IJSE_SE_EEES9_SG_JZNS1_25segmented_radix_sort_implINS0_14default_configELb0EPKaPaPKlPlN2at6native12_GLOBAL__N_18offset_tEEE10hipError_tPvRmT1_PNSt15iterator_traitsISY_E10value_typeET2_T3_PNSZ_IS14_E10value_typeET4_jRbjT5_S1A_jjP12ihipStream_tbEUljE_EEESV_SW_SX_S14_S18_S1A_T6_T7_T9_mT8_S1C_bDpT10_ENKUlT_T0_E_clISt17integral_constantIbLb1EES1O_IbLb0EEEEDaS1K_S1L_EUlS1K_E_NS1_11comp_targetILNS1_3genE2ELNS1_11target_archE906ELNS1_3gpuE6ELNS1_3repE0EEENS1_30default_config_static_selectorELNS0_4arch9wavefront6targetE1EEEvSY_.uses_vcc, 0
	.set _ZN7rocprim17ROCPRIM_400000_NS6detail17trampoline_kernelINS0_13select_configILj256ELj13ELNS0_17block_load_methodE3ELS4_3ELS4_3ELNS0_20block_scan_algorithmE0ELj4294967295EEENS1_25partition_config_selectorILNS1_17partition_subalgoE3EjNS0_10empty_typeEbEEZZNS1_14partition_implILS8_3ELb0ES6_jNS0_17counting_iteratorIjlEEPS9_SE_NS0_5tupleIJPjSE_EEENSF_IJSE_SE_EEES9_SG_JZNS1_25segmented_radix_sort_implINS0_14default_configELb0EPKaPaPKlPlN2at6native12_GLOBAL__N_18offset_tEEE10hipError_tPvRmT1_PNSt15iterator_traitsISY_E10value_typeET2_T3_PNSZ_IS14_E10value_typeET4_jRbjT5_S1A_jjP12ihipStream_tbEUljE_EEESV_SW_SX_S14_S18_S1A_T6_T7_T9_mT8_S1C_bDpT10_ENKUlT_T0_E_clISt17integral_constantIbLb1EES1O_IbLb0EEEEDaS1K_S1L_EUlS1K_E_NS1_11comp_targetILNS1_3genE2ELNS1_11target_archE906ELNS1_3gpuE6ELNS1_3repE0EEENS1_30default_config_static_selectorELNS0_4arch9wavefront6targetE1EEEvSY_.uses_flat_scratch, 0
	.set _ZN7rocprim17ROCPRIM_400000_NS6detail17trampoline_kernelINS0_13select_configILj256ELj13ELNS0_17block_load_methodE3ELS4_3ELS4_3ELNS0_20block_scan_algorithmE0ELj4294967295EEENS1_25partition_config_selectorILNS1_17partition_subalgoE3EjNS0_10empty_typeEbEEZZNS1_14partition_implILS8_3ELb0ES6_jNS0_17counting_iteratorIjlEEPS9_SE_NS0_5tupleIJPjSE_EEENSF_IJSE_SE_EEES9_SG_JZNS1_25segmented_radix_sort_implINS0_14default_configELb0EPKaPaPKlPlN2at6native12_GLOBAL__N_18offset_tEEE10hipError_tPvRmT1_PNSt15iterator_traitsISY_E10value_typeET2_T3_PNSZ_IS14_E10value_typeET4_jRbjT5_S1A_jjP12ihipStream_tbEUljE_EEESV_SW_SX_S14_S18_S1A_T6_T7_T9_mT8_S1C_bDpT10_ENKUlT_T0_E_clISt17integral_constantIbLb1EES1O_IbLb0EEEEDaS1K_S1L_EUlS1K_E_NS1_11comp_targetILNS1_3genE2ELNS1_11target_archE906ELNS1_3gpuE6ELNS1_3repE0EEENS1_30default_config_static_selectorELNS0_4arch9wavefront6targetE1EEEvSY_.has_dyn_sized_stack, 0
	.set _ZN7rocprim17ROCPRIM_400000_NS6detail17trampoline_kernelINS0_13select_configILj256ELj13ELNS0_17block_load_methodE3ELS4_3ELS4_3ELNS0_20block_scan_algorithmE0ELj4294967295EEENS1_25partition_config_selectorILNS1_17partition_subalgoE3EjNS0_10empty_typeEbEEZZNS1_14partition_implILS8_3ELb0ES6_jNS0_17counting_iteratorIjlEEPS9_SE_NS0_5tupleIJPjSE_EEENSF_IJSE_SE_EEES9_SG_JZNS1_25segmented_radix_sort_implINS0_14default_configELb0EPKaPaPKlPlN2at6native12_GLOBAL__N_18offset_tEEE10hipError_tPvRmT1_PNSt15iterator_traitsISY_E10value_typeET2_T3_PNSZ_IS14_E10value_typeET4_jRbjT5_S1A_jjP12ihipStream_tbEUljE_EEESV_SW_SX_S14_S18_S1A_T6_T7_T9_mT8_S1C_bDpT10_ENKUlT_T0_E_clISt17integral_constantIbLb1EES1O_IbLb0EEEEDaS1K_S1L_EUlS1K_E_NS1_11comp_targetILNS1_3genE2ELNS1_11target_archE906ELNS1_3gpuE6ELNS1_3repE0EEENS1_30default_config_static_selectorELNS0_4arch9wavefront6targetE1EEEvSY_.has_recursion, 0
	.set _ZN7rocprim17ROCPRIM_400000_NS6detail17trampoline_kernelINS0_13select_configILj256ELj13ELNS0_17block_load_methodE3ELS4_3ELS4_3ELNS0_20block_scan_algorithmE0ELj4294967295EEENS1_25partition_config_selectorILNS1_17partition_subalgoE3EjNS0_10empty_typeEbEEZZNS1_14partition_implILS8_3ELb0ES6_jNS0_17counting_iteratorIjlEEPS9_SE_NS0_5tupleIJPjSE_EEENSF_IJSE_SE_EEES9_SG_JZNS1_25segmented_radix_sort_implINS0_14default_configELb0EPKaPaPKlPlN2at6native12_GLOBAL__N_18offset_tEEE10hipError_tPvRmT1_PNSt15iterator_traitsISY_E10value_typeET2_T3_PNSZ_IS14_E10value_typeET4_jRbjT5_S1A_jjP12ihipStream_tbEUljE_EEESV_SW_SX_S14_S18_S1A_T6_T7_T9_mT8_S1C_bDpT10_ENKUlT_T0_E_clISt17integral_constantIbLb1EES1O_IbLb0EEEEDaS1K_S1L_EUlS1K_E_NS1_11comp_targetILNS1_3genE2ELNS1_11target_archE906ELNS1_3gpuE6ELNS1_3repE0EEENS1_30default_config_static_selectorELNS0_4arch9wavefront6targetE1EEEvSY_.has_indirect_call, 0
	.section	.AMDGPU.csdata,"",@progbits
; Kernel info:
; codeLenInByte = 4
; TotalNumSgprs: 4
; NumVgprs: 0
; ScratchSize: 0
; MemoryBound: 0
; FloatMode: 240
; IeeeMode: 1
; LDSByteSize: 0 bytes/workgroup (compile time only)
; SGPRBlocks: 0
; VGPRBlocks: 0
; NumSGPRsForWavesPerEU: 4
; NumVGPRsForWavesPerEU: 1
; Occupancy: 10
; WaveLimiterHint : 0
; COMPUTE_PGM_RSRC2:SCRATCH_EN: 0
; COMPUTE_PGM_RSRC2:USER_SGPR: 6
; COMPUTE_PGM_RSRC2:TRAP_HANDLER: 0
; COMPUTE_PGM_RSRC2:TGID_X_EN: 1
; COMPUTE_PGM_RSRC2:TGID_Y_EN: 0
; COMPUTE_PGM_RSRC2:TGID_Z_EN: 0
; COMPUTE_PGM_RSRC2:TIDIG_COMP_CNT: 0
	.section	.text._ZN7rocprim17ROCPRIM_400000_NS6detail17trampoline_kernelINS0_13select_configILj256ELj13ELNS0_17block_load_methodE3ELS4_3ELS4_3ELNS0_20block_scan_algorithmE0ELj4294967295EEENS1_25partition_config_selectorILNS1_17partition_subalgoE3EjNS0_10empty_typeEbEEZZNS1_14partition_implILS8_3ELb0ES6_jNS0_17counting_iteratorIjlEEPS9_SE_NS0_5tupleIJPjSE_EEENSF_IJSE_SE_EEES9_SG_JZNS1_25segmented_radix_sort_implINS0_14default_configELb0EPKaPaPKlPlN2at6native12_GLOBAL__N_18offset_tEEE10hipError_tPvRmT1_PNSt15iterator_traitsISY_E10value_typeET2_T3_PNSZ_IS14_E10value_typeET4_jRbjT5_S1A_jjP12ihipStream_tbEUljE_EEESV_SW_SX_S14_S18_S1A_T6_T7_T9_mT8_S1C_bDpT10_ENKUlT_T0_E_clISt17integral_constantIbLb1EES1O_IbLb0EEEEDaS1K_S1L_EUlS1K_E_NS1_11comp_targetILNS1_3genE10ELNS1_11target_archE1200ELNS1_3gpuE4ELNS1_3repE0EEENS1_30default_config_static_selectorELNS0_4arch9wavefront6targetE1EEEvSY_,"axG",@progbits,_ZN7rocprim17ROCPRIM_400000_NS6detail17trampoline_kernelINS0_13select_configILj256ELj13ELNS0_17block_load_methodE3ELS4_3ELS4_3ELNS0_20block_scan_algorithmE0ELj4294967295EEENS1_25partition_config_selectorILNS1_17partition_subalgoE3EjNS0_10empty_typeEbEEZZNS1_14partition_implILS8_3ELb0ES6_jNS0_17counting_iteratorIjlEEPS9_SE_NS0_5tupleIJPjSE_EEENSF_IJSE_SE_EEES9_SG_JZNS1_25segmented_radix_sort_implINS0_14default_configELb0EPKaPaPKlPlN2at6native12_GLOBAL__N_18offset_tEEE10hipError_tPvRmT1_PNSt15iterator_traitsISY_E10value_typeET2_T3_PNSZ_IS14_E10value_typeET4_jRbjT5_S1A_jjP12ihipStream_tbEUljE_EEESV_SW_SX_S14_S18_S1A_T6_T7_T9_mT8_S1C_bDpT10_ENKUlT_T0_E_clISt17integral_constantIbLb1EES1O_IbLb0EEEEDaS1K_S1L_EUlS1K_E_NS1_11comp_targetILNS1_3genE10ELNS1_11target_archE1200ELNS1_3gpuE4ELNS1_3repE0EEENS1_30default_config_static_selectorELNS0_4arch9wavefront6targetE1EEEvSY_,comdat
	.globl	_ZN7rocprim17ROCPRIM_400000_NS6detail17trampoline_kernelINS0_13select_configILj256ELj13ELNS0_17block_load_methodE3ELS4_3ELS4_3ELNS0_20block_scan_algorithmE0ELj4294967295EEENS1_25partition_config_selectorILNS1_17partition_subalgoE3EjNS0_10empty_typeEbEEZZNS1_14partition_implILS8_3ELb0ES6_jNS0_17counting_iteratorIjlEEPS9_SE_NS0_5tupleIJPjSE_EEENSF_IJSE_SE_EEES9_SG_JZNS1_25segmented_radix_sort_implINS0_14default_configELb0EPKaPaPKlPlN2at6native12_GLOBAL__N_18offset_tEEE10hipError_tPvRmT1_PNSt15iterator_traitsISY_E10value_typeET2_T3_PNSZ_IS14_E10value_typeET4_jRbjT5_S1A_jjP12ihipStream_tbEUljE_EEESV_SW_SX_S14_S18_S1A_T6_T7_T9_mT8_S1C_bDpT10_ENKUlT_T0_E_clISt17integral_constantIbLb1EES1O_IbLb0EEEEDaS1K_S1L_EUlS1K_E_NS1_11comp_targetILNS1_3genE10ELNS1_11target_archE1200ELNS1_3gpuE4ELNS1_3repE0EEENS1_30default_config_static_selectorELNS0_4arch9wavefront6targetE1EEEvSY_ ; -- Begin function _ZN7rocprim17ROCPRIM_400000_NS6detail17trampoline_kernelINS0_13select_configILj256ELj13ELNS0_17block_load_methodE3ELS4_3ELS4_3ELNS0_20block_scan_algorithmE0ELj4294967295EEENS1_25partition_config_selectorILNS1_17partition_subalgoE3EjNS0_10empty_typeEbEEZZNS1_14partition_implILS8_3ELb0ES6_jNS0_17counting_iteratorIjlEEPS9_SE_NS0_5tupleIJPjSE_EEENSF_IJSE_SE_EEES9_SG_JZNS1_25segmented_radix_sort_implINS0_14default_configELb0EPKaPaPKlPlN2at6native12_GLOBAL__N_18offset_tEEE10hipError_tPvRmT1_PNSt15iterator_traitsISY_E10value_typeET2_T3_PNSZ_IS14_E10value_typeET4_jRbjT5_S1A_jjP12ihipStream_tbEUljE_EEESV_SW_SX_S14_S18_S1A_T6_T7_T9_mT8_S1C_bDpT10_ENKUlT_T0_E_clISt17integral_constantIbLb1EES1O_IbLb0EEEEDaS1K_S1L_EUlS1K_E_NS1_11comp_targetILNS1_3genE10ELNS1_11target_archE1200ELNS1_3gpuE4ELNS1_3repE0EEENS1_30default_config_static_selectorELNS0_4arch9wavefront6targetE1EEEvSY_
	.p2align	8
	.type	_ZN7rocprim17ROCPRIM_400000_NS6detail17trampoline_kernelINS0_13select_configILj256ELj13ELNS0_17block_load_methodE3ELS4_3ELS4_3ELNS0_20block_scan_algorithmE0ELj4294967295EEENS1_25partition_config_selectorILNS1_17partition_subalgoE3EjNS0_10empty_typeEbEEZZNS1_14partition_implILS8_3ELb0ES6_jNS0_17counting_iteratorIjlEEPS9_SE_NS0_5tupleIJPjSE_EEENSF_IJSE_SE_EEES9_SG_JZNS1_25segmented_radix_sort_implINS0_14default_configELb0EPKaPaPKlPlN2at6native12_GLOBAL__N_18offset_tEEE10hipError_tPvRmT1_PNSt15iterator_traitsISY_E10value_typeET2_T3_PNSZ_IS14_E10value_typeET4_jRbjT5_S1A_jjP12ihipStream_tbEUljE_EEESV_SW_SX_S14_S18_S1A_T6_T7_T9_mT8_S1C_bDpT10_ENKUlT_T0_E_clISt17integral_constantIbLb1EES1O_IbLb0EEEEDaS1K_S1L_EUlS1K_E_NS1_11comp_targetILNS1_3genE10ELNS1_11target_archE1200ELNS1_3gpuE4ELNS1_3repE0EEENS1_30default_config_static_selectorELNS0_4arch9wavefront6targetE1EEEvSY_,@function
_ZN7rocprim17ROCPRIM_400000_NS6detail17trampoline_kernelINS0_13select_configILj256ELj13ELNS0_17block_load_methodE3ELS4_3ELS4_3ELNS0_20block_scan_algorithmE0ELj4294967295EEENS1_25partition_config_selectorILNS1_17partition_subalgoE3EjNS0_10empty_typeEbEEZZNS1_14partition_implILS8_3ELb0ES6_jNS0_17counting_iteratorIjlEEPS9_SE_NS0_5tupleIJPjSE_EEENSF_IJSE_SE_EEES9_SG_JZNS1_25segmented_radix_sort_implINS0_14default_configELb0EPKaPaPKlPlN2at6native12_GLOBAL__N_18offset_tEEE10hipError_tPvRmT1_PNSt15iterator_traitsISY_E10value_typeET2_T3_PNSZ_IS14_E10value_typeET4_jRbjT5_S1A_jjP12ihipStream_tbEUljE_EEESV_SW_SX_S14_S18_S1A_T6_T7_T9_mT8_S1C_bDpT10_ENKUlT_T0_E_clISt17integral_constantIbLb1EES1O_IbLb0EEEEDaS1K_S1L_EUlS1K_E_NS1_11comp_targetILNS1_3genE10ELNS1_11target_archE1200ELNS1_3gpuE4ELNS1_3repE0EEENS1_30default_config_static_selectorELNS0_4arch9wavefront6targetE1EEEvSY_: ; @_ZN7rocprim17ROCPRIM_400000_NS6detail17trampoline_kernelINS0_13select_configILj256ELj13ELNS0_17block_load_methodE3ELS4_3ELS4_3ELNS0_20block_scan_algorithmE0ELj4294967295EEENS1_25partition_config_selectorILNS1_17partition_subalgoE3EjNS0_10empty_typeEbEEZZNS1_14partition_implILS8_3ELb0ES6_jNS0_17counting_iteratorIjlEEPS9_SE_NS0_5tupleIJPjSE_EEENSF_IJSE_SE_EEES9_SG_JZNS1_25segmented_radix_sort_implINS0_14default_configELb0EPKaPaPKlPlN2at6native12_GLOBAL__N_18offset_tEEE10hipError_tPvRmT1_PNSt15iterator_traitsISY_E10value_typeET2_T3_PNSZ_IS14_E10value_typeET4_jRbjT5_S1A_jjP12ihipStream_tbEUljE_EEESV_SW_SX_S14_S18_S1A_T6_T7_T9_mT8_S1C_bDpT10_ENKUlT_T0_E_clISt17integral_constantIbLb1EES1O_IbLb0EEEEDaS1K_S1L_EUlS1K_E_NS1_11comp_targetILNS1_3genE10ELNS1_11target_archE1200ELNS1_3gpuE4ELNS1_3repE0EEENS1_30default_config_static_selectorELNS0_4arch9wavefront6targetE1EEEvSY_
; %bb.0:
	.section	.rodata,"a",@progbits
	.p2align	6, 0x0
	.amdhsa_kernel _ZN7rocprim17ROCPRIM_400000_NS6detail17trampoline_kernelINS0_13select_configILj256ELj13ELNS0_17block_load_methodE3ELS4_3ELS4_3ELNS0_20block_scan_algorithmE0ELj4294967295EEENS1_25partition_config_selectorILNS1_17partition_subalgoE3EjNS0_10empty_typeEbEEZZNS1_14partition_implILS8_3ELb0ES6_jNS0_17counting_iteratorIjlEEPS9_SE_NS0_5tupleIJPjSE_EEENSF_IJSE_SE_EEES9_SG_JZNS1_25segmented_radix_sort_implINS0_14default_configELb0EPKaPaPKlPlN2at6native12_GLOBAL__N_18offset_tEEE10hipError_tPvRmT1_PNSt15iterator_traitsISY_E10value_typeET2_T3_PNSZ_IS14_E10value_typeET4_jRbjT5_S1A_jjP12ihipStream_tbEUljE_EEESV_SW_SX_S14_S18_S1A_T6_T7_T9_mT8_S1C_bDpT10_ENKUlT_T0_E_clISt17integral_constantIbLb1EES1O_IbLb0EEEEDaS1K_S1L_EUlS1K_E_NS1_11comp_targetILNS1_3genE10ELNS1_11target_archE1200ELNS1_3gpuE4ELNS1_3repE0EEENS1_30default_config_static_selectorELNS0_4arch9wavefront6targetE1EEEvSY_
		.amdhsa_group_segment_fixed_size 0
		.amdhsa_private_segment_fixed_size 0
		.amdhsa_kernarg_size 144
		.amdhsa_user_sgpr_count 6
		.amdhsa_user_sgpr_private_segment_buffer 1
		.amdhsa_user_sgpr_dispatch_ptr 0
		.amdhsa_user_sgpr_queue_ptr 0
		.amdhsa_user_sgpr_kernarg_segment_ptr 1
		.amdhsa_user_sgpr_dispatch_id 0
		.amdhsa_user_sgpr_flat_scratch_init 0
		.amdhsa_user_sgpr_private_segment_size 0
		.amdhsa_uses_dynamic_stack 0
		.amdhsa_system_sgpr_private_segment_wavefront_offset 0
		.amdhsa_system_sgpr_workgroup_id_x 1
		.amdhsa_system_sgpr_workgroup_id_y 0
		.amdhsa_system_sgpr_workgroup_id_z 0
		.amdhsa_system_sgpr_workgroup_info 0
		.amdhsa_system_vgpr_workitem_id 0
		.amdhsa_next_free_vgpr 1
		.amdhsa_next_free_sgpr 0
		.amdhsa_reserve_vcc 0
		.amdhsa_reserve_flat_scratch 0
		.amdhsa_float_round_mode_32 0
		.amdhsa_float_round_mode_16_64 0
		.amdhsa_float_denorm_mode_32 3
		.amdhsa_float_denorm_mode_16_64 3
		.amdhsa_dx10_clamp 1
		.amdhsa_ieee_mode 1
		.amdhsa_fp16_overflow 0
		.amdhsa_exception_fp_ieee_invalid_op 0
		.amdhsa_exception_fp_denorm_src 0
		.amdhsa_exception_fp_ieee_div_zero 0
		.amdhsa_exception_fp_ieee_overflow 0
		.amdhsa_exception_fp_ieee_underflow 0
		.amdhsa_exception_fp_ieee_inexact 0
		.amdhsa_exception_int_div_zero 0
	.end_amdhsa_kernel
	.section	.text._ZN7rocprim17ROCPRIM_400000_NS6detail17trampoline_kernelINS0_13select_configILj256ELj13ELNS0_17block_load_methodE3ELS4_3ELS4_3ELNS0_20block_scan_algorithmE0ELj4294967295EEENS1_25partition_config_selectorILNS1_17partition_subalgoE3EjNS0_10empty_typeEbEEZZNS1_14partition_implILS8_3ELb0ES6_jNS0_17counting_iteratorIjlEEPS9_SE_NS0_5tupleIJPjSE_EEENSF_IJSE_SE_EEES9_SG_JZNS1_25segmented_radix_sort_implINS0_14default_configELb0EPKaPaPKlPlN2at6native12_GLOBAL__N_18offset_tEEE10hipError_tPvRmT1_PNSt15iterator_traitsISY_E10value_typeET2_T3_PNSZ_IS14_E10value_typeET4_jRbjT5_S1A_jjP12ihipStream_tbEUljE_EEESV_SW_SX_S14_S18_S1A_T6_T7_T9_mT8_S1C_bDpT10_ENKUlT_T0_E_clISt17integral_constantIbLb1EES1O_IbLb0EEEEDaS1K_S1L_EUlS1K_E_NS1_11comp_targetILNS1_3genE10ELNS1_11target_archE1200ELNS1_3gpuE4ELNS1_3repE0EEENS1_30default_config_static_selectorELNS0_4arch9wavefront6targetE1EEEvSY_,"axG",@progbits,_ZN7rocprim17ROCPRIM_400000_NS6detail17trampoline_kernelINS0_13select_configILj256ELj13ELNS0_17block_load_methodE3ELS4_3ELS4_3ELNS0_20block_scan_algorithmE0ELj4294967295EEENS1_25partition_config_selectorILNS1_17partition_subalgoE3EjNS0_10empty_typeEbEEZZNS1_14partition_implILS8_3ELb0ES6_jNS0_17counting_iteratorIjlEEPS9_SE_NS0_5tupleIJPjSE_EEENSF_IJSE_SE_EEES9_SG_JZNS1_25segmented_radix_sort_implINS0_14default_configELb0EPKaPaPKlPlN2at6native12_GLOBAL__N_18offset_tEEE10hipError_tPvRmT1_PNSt15iterator_traitsISY_E10value_typeET2_T3_PNSZ_IS14_E10value_typeET4_jRbjT5_S1A_jjP12ihipStream_tbEUljE_EEESV_SW_SX_S14_S18_S1A_T6_T7_T9_mT8_S1C_bDpT10_ENKUlT_T0_E_clISt17integral_constantIbLb1EES1O_IbLb0EEEEDaS1K_S1L_EUlS1K_E_NS1_11comp_targetILNS1_3genE10ELNS1_11target_archE1200ELNS1_3gpuE4ELNS1_3repE0EEENS1_30default_config_static_selectorELNS0_4arch9wavefront6targetE1EEEvSY_,comdat
.Lfunc_end382:
	.size	_ZN7rocprim17ROCPRIM_400000_NS6detail17trampoline_kernelINS0_13select_configILj256ELj13ELNS0_17block_load_methodE3ELS4_3ELS4_3ELNS0_20block_scan_algorithmE0ELj4294967295EEENS1_25partition_config_selectorILNS1_17partition_subalgoE3EjNS0_10empty_typeEbEEZZNS1_14partition_implILS8_3ELb0ES6_jNS0_17counting_iteratorIjlEEPS9_SE_NS0_5tupleIJPjSE_EEENSF_IJSE_SE_EEES9_SG_JZNS1_25segmented_radix_sort_implINS0_14default_configELb0EPKaPaPKlPlN2at6native12_GLOBAL__N_18offset_tEEE10hipError_tPvRmT1_PNSt15iterator_traitsISY_E10value_typeET2_T3_PNSZ_IS14_E10value_typeET4_jRbjT5_S1A_jjP12ihipStream_tbEUljE_EEESV_SW_SX_S14_S18_S1A_T6_T7_T9_mT8_S1C_bDpT10_ENKUlT_T0_E_clISt17integral_constantIbLb1EES1O_IbLb0EEEEDaS1K_S1L_EUlS1K_E_NS1_11comp_targetILNS1_3genE10ELNS1_11target_archE1200ELNS1_3gpuE4ELNS1_3repE0EEENS1_30default_config_static_selectorELNS0_4arch9wavefront6targetE1EEEvSY_, .Lfunc_end382-_ZN7rocprim17ROCPRIM_400000_NS6detail17trampoline_kernelINS0_13select_configILj256ELj13ELNS0_17block_load_methodE3ELS4_3ELS4_3ELNS0_20block_scan_algorithmE0ELj4294967295EEENS1_25partition_config_selectorILNS1_17partition_subalgoE3EjNS0_10empty_typeEbEEZZNS1_14partition_implILS8_3ELb0ES6_jNS0_17counting_iteratorIjlEEPS9_SE_NS0_5tupleIJPjSE_EEENSF_IJSE_SE_EEES9_SG_JZNS1_25segmented_radix_sort_implINS0_14default_configELb0EPKaPaPKlPlN2at6native12_GLOBAL__N_18offset_tEEE10hipError_tPvRmT1_PNSt15iterator_traitsISY_E10value_typeET2_T3_PNSZ_IS14_E10value_typeET4_jRbjT5_S1A_jjP12ihipStream_tbEUljE_EEESV_SW_SX_S14_S18_S1A_T6_T7_T9_mT8_S1C_bDpT10_ENKUlT_T0_E_clISt17integral_constantIbLb1EES1O_IbLb0EEEEDaS1K_S1L_EUlS1K_E_NS1_11comp_targetILNS1_3genE10ELNS1_11target_archE1200ELNS1_3gpuE4ELNS1_3repE0EEENS1_30default_config_static_selectorELNS0_4arch9wavefront6targetE1EEEvSY_
                                        ; -- End function
	.set _ZN7rocprim17ROCPRIM_400000_NS6detail17trampoline_kernelINS0_13select_configILj256ELj13ELNS0_17block_load_methodE3ELS4_3ELS4_3ELNS0_20block_scan_algorithmE0ELj4294967295EEENS1_25partition_config_selectorILNS1_17partition_subalgoE3EjNS0_10empty_typeEbEEZZNS1_14partition_implILS8_3ELb0ES6_jNS0_17counting_iteratorIjlEEPS9_SE_NS0_5tupleIJPjSE_EEENSF_IJSE_SE_EEES9_SG_JZNS1_25segmented_radix_sort_implINS0_14default_configELb0EPKaPaPKlPlN2at6native12_GLOBAL__N_18offset_tEEE10hipError_tPvRmT1_PNSt15iterator_traitsISY_E10value_typeET2_T3_PNSZ_IS14_E10value_typeET4_jRbjT5_S1A_jjP12ihipStream_tbEUljE_EEESV_SW_SX_S14_S18_S1A_T6_T7_T9_mT8_S1C_bDpT10_ENKUlT_T0_E_clISt17integral_constantIbLb1EES1O_IbLb0EEEEDaS1K_S1L_EUlS1K_E_NS1_11comp_targetILNS1_3genE10ELNS1_11target_archE1200ELNS1_3gpuE4ELNS1_3repE0EEENS1_30default_config_static_selectorELNS0_4arch9wavefront6targetE1EEEvSY_.num_vgpr, 0
	.set _ZN7rocprim17ROCPRIM_400000_NS6detail17trampoline_kernelINS0_13select_configILj256ELj13ELNS0_17block_load_methodE3ELS4_3ELS4_3ELNS0_20block_scan_algorithmE0ELj4294967295EEENS1_25partition_config_selectorILNS1_17partition_subalgoE3EjNS0_10empty_typeEbEEZZNS1_14partition_implILS8_3ELb0ES6_jNS0_17counting_iteratorIjlEEPS9_SE_NS0_5tupleIJPjSE_EEENSF_IJSE_SE_EEES9_SG_JZNS1_25segmented_radix_sort_implINS0_14default_configELb0EPKaPaPKlPlN2at6native12_GLOBAL__N_18offset_tEEE10hipError_tPvRmT1_PNSt15iterator_traitsISY_E10value_typeET2_T3_PNSZ_IS14_E10value_typeET4_jRbjT5_S1A_jjP12ihipStream_tbEUljE_EEESV_SW_SX_S14_S18_S1A_T6_T7_T9_mT8_S1C_bDpT10_ENKUlT_T0_E_clISt17integral_constantIbLb1EES1O_IbLb0EEEEDaS1K_S1L_EUlS1K_E_NS1_11comp_targetILNS1_3genE10ELNS1_11target_archE1200ELNS1_3gpuE4ELNS1_3repE0EEENS1_30default_config_static_selectorELNS0_4arch9wavefront6targetE1EEEvSY_.num_agpr, 0
	.set _ZN7rocprim17ROCPRIM_400000_NS6detail17trampoline_kernelINS0_13select_configILj256ELj13ELNS0_17block_load_methodE3ELS4_3ELS4_3ELNS0_20block_scan_algorithmE0ELj4294967295EEENS1_25partition_config_selectorILNS1_17partition_subalgoE3EjNS0_10empty_typeEbEEZZNS1_14partition_implILS8_3ELb0ES6_jNS0_17counting_iteratorIjlEEPS9_SE_NS0_5tupleIJPjSE_EEENSF_IJSE_SE_EEES9_SG_JZNS1_25segmented_radix_sort_implINS0_14default_configELb0EPKaPaPKlPlN2at6native12_GLOBAL__N_18offset_tEEE10hipError_tPvRmT1_PNSt15iterator_traitsISY_E10value_typeET2_T3_PNSZ_IS14_E10value_typeET4_jRbjT5_S1A_jjP12ihipStream_tbEUljE_EEESV_SW_SX_S14_S18_S1A_T6_T7_T9_mT8_S1C_bDpT10_ENKUlT_T0_E_clISt17integral_constantIbLb1EES1O_IbLb0EEEEDaS1K_S1L_EUlS1K_E_NS1_11comp_targetILNS1_3genE10ELNS1_11target_archE1200ELNS1_3gpuE4ELNS1_3repE0EEENS1_30default_config_static_selectorELNS0_4arch9wavefront6targetE1EEEvSY_.numbered_sgpr, 0
	.set _ZN7rocprim17ROCPRIM_400000_NS6detail17trampoline_kernelINS0_13select_configILj256ELj13ELNS0_17block_load_methodE3ELS4_3ELS4_3ELNS0_20block_scan_algorithmE0ELj4294967295EEENS1_25partition_config_selectorILNS1_17partition_subalgoE3EjNS0_10empty_typeEbEEZZNS1_14partition_implILS8_3ELb0ES6_jNS0_17counting_iteratorIjlEEPS9_SE_NS0_5tupleIJPjSE_EEENSF_IJSE_SE_EEES9_SG_JZNS1_25segmented_radix_sort_implINS0_14default_configELb0EPKaPaPKlPlN2at6native12_GLOBAL__N_18offset_tEEE10hipError_tPvRmT1_PNSt15iterator_traitsISY_E10value_typeET2_T3_PNSZ_IS14_E10value_typeET4_jRbjT5_S1A_jjP12ihipStream_tbEUljE_EEESV_SW_SX_S14_S18_S1A_T6_T7_T9_mT8_S1C_bDpT10_ENKUlT_T0_E_clISt17integral_constantIbLb1EES1O_IbLb0EEEEDaS1K_S1L_EUlS1K_E_NS1_11comp_targetILNS1_3genE10ELNS1_11target_archE1200ELNS1_3gpuE4ELNS1_3repE0EEENS1_30default_config_static_selectorELNS0_4arch9wavefront6targetE1EEEvSY_.num_named_barrier, 0
	.set _ZN7rocprim17ROCPRIM_400000_NS6detail17trampoline_kernelINS0_13select_configILj256ELj13ELNS0_17block_load_methodE3ELS4_3ELS4_3ELNS0_20block_scan_algorithmE0ELj4294967295EEENS1_25partition_config_selectorILNS1_17partition_subalgoE3EjNS0_10empty_typeEbEEZZNS1_14partition_implILS8_3ELb0ES6_jNS0_17counting_iteratorIjlEEPS9_SE_NS0_5tupleIJPjSE_EEENSF_IJSE_SE_EEES9_SG_JZNS1_25segmented_radix_sort_implINS0_14default_configELb0EPKaPaPKlPlN2at6native12_GLOBAL__N_18offset_tEEE10hipError_tPvRmT1_PNSt15iterator_traitsISY_E10value_typeET2_T3_PNSZ_IS14_E10value_typeET4_jRbjT5_S1A_jjP12ihipStream_tbEUljE_EEESV_SW_SX_S14_S18_S1A_T6_T7_T9_mT8_S1C_bDpT10_ENKUlT_T0_E_clISt17integral_constantIbLb1EES1O_IbLb0EEEEDaS1K_S1L_EUlS1K_E_NS1_11comp_targetILNS1_3genE10ELNS1_11target_archE1200ELNS1_3gpuE4ELNS1_3repE0EEENS1_30default_config_static_selectorELNS0_4arch9wavefront6targetE1EEEvSY_.private_seg_size, 0
	.set _ZN7rocprim17ROCPRIM_400000_NS6detail17trampoline_kernelINS0_13select_configILj256ELj13ELNS0_17block_load_methodE3ELS4_3ELS4_3ELNS0_20block_scan_algorithmE0ELj4294967295EEENS1_25partition_config_selectorILNS1_17partition_subalgoE3EjNS0_10empty_typeEbEEZZNS1_14partition_implILS8_3ELb0ES6_jNS0_17counting_iteratorIjlEEPS9_SE_NS0_5tupleIJPjSE_EEENSF_IJSE_SE_EEES9_SG_JZNS1_25segmented_radix_sort_implINS0_14default_configELb0EPKaPaPKlPlN2at6native12_GLOBAL__N_18offset_tEEE10hipError_tPvRmT1_PNSt15iterator_traitsISY_E10value_typeET2_T3_PNSZ_IS14_E10value_typeET4_jRbjT5_S1A_jjP12ihipStream_tbEUljE_EEESV_SW_SX_S14_S18_S1A_T6_T7_T9_mT8_S1C_bDpT10_ENKUlT_T0_E_clISt17integral_constantIbLb1EES1O_IbLb0EEEEDaS1K_S1L_EUlS1K_E_NS1_11comp_targetILNS1_3genE10ELNS1_11target_archE1200ELNS1_3gpuE4ELNS1_3repE0EEENS1_30default_config_static_selectorELNS0_4arch9wavefront6targetE1EEEvSY_.uses_vcc, 0
	.set _ZN7rocprim17ROCPRIM_400000_NS6detail17trampoline_kernelINS0_13select_configILj256ELj13ELNS0_17block_load_methodE3ELS4_3ELS4_3ELNS0_20block_scan_algorithmE0ELj4294967295EEENS1_25partition_config_selectorILNS1_17partition_subalgoE3EjNS0_10empty_typeEbEEZZNS1_14partition_implILS8_3ELb0ES6_jNS0_17counting_iteratorIjlEEPS9_SE_NS0_5tupleIJPjSE_EEENSF_IJSE_SE_EEES9_SG_JZNS1_25segmented_radix_sort_implINS0_14default_configELb0EPKaPaPKlPlN2at6native12_GLOBAL__N_18offset_tEEE10hipError_tPvRmT1_PNSt15iterator_traitsISY_E10value_typeET2_T3_PNSZ_IS14_E10value_typeET4_jRbjT5_S1A_jjP12ihipStream_tbEUljE_EEESV_SW_SX_S14_S18_S1A_T6_T7_T9_mT8_S1C_bDpT10_ENKUlT_T0_E_clISt17integral_constantIbLb1EES1O_IbLb0EEEEDaS1K_S1L_EUlS1K_E_NS1_11comp_targetILNS1_3genE10ELNS1_11target_archE1200ELNS1_3gpuE4ELNS1_3repE0EEENS1_30default_config_static_selectorELNS0_4arch9wavefront6targetE1EEEvSY_.uses_flat_scratch, 0
	.set _ZN7rocprim17ROCPRIM_400000_NS6detail17trampoline_kernelINS0_13select_configILj256ELj13ELNS0_17block_load_methodE3ELS4_3ELS4_3ELNS0_20block_scan_algorithmE0ELj4294967295EEENS1_25partition_config_selectorILNS1_17partition_subalgoE3EjNS0_10empty_typeEbEEZZNS1_14partition_implILS8_3ELb0ES6_jNS0_17counting_iteratorIjlEEPS9_SE_NS0_5tupleIJPjSE_EEENSF_IJSE_SE_EEES9_SG_JZNS1_25segmented_radix_sort_implINS0_14default_configELb0EPKaPaPKlPlN2at6native12_GLOBAL__N_18offset_tEEE10hipError_tPvRmT1_PNSt15iterator_traitsISY_E10value_typeET2_T3_PNSZ_IS14_E10value_typeET4_jRbjT5_S1A_jjP12ihipStream_tbEUljE_EEESV_SW_SX_S14_S18_S1A_T6_T7_T9_mT8_S1C_bDpT10_ENKUlT_T0_E_clISt17integral_constantIbLb1EES1O_IbLb0EEEEDaS1K_S1L_EUlS1K_E_NS1_11comp_targetILNS1_3genE10ELNS1_11target_archE1200ELNS1_3gpuE4ELNS1_3repE0EEENS1_30default_config_static_selectorELNS0_4arch9wavefront6targetE1EEEvSY_.has_dyn_sized_stack, 0
	.set _ZN7rocprim17ROCPRIM_400000_NS6detail17trampoline_kernelINS0_13select_configILj256ELj13ELNS0_17block_load_methodE3ELS4_3ELS4_3ELNS0_20block_scan_algorithmE0ELj4294967295EEENS1_25partition_config_selectorILNS1_17partition_subalgoE3EjNS0_10empty_typeEbEEZZNS1_14partition_implILS8_3ELb0ES6_jNS0_17counting_iteratorIjlEEPS9_SE_NS0_5tupleIJPjSE_EEENSF_IJSE_SE_EEES9_SG_JZNS1_25segmented_radix_sort_implINS0_14default_configELb0EPKaPaPKlPlN2at6native12_GLOBAL__N_18offset_tEEE10hipError_tPvRmT1_PNSt15iterator_traitsISY_E10value_typeET2_T3_PNSZ_IS14_E10value_typeET4_jRbjT5_S1A_jjP12ihipStream_tbEUljE_EEESV_SW_SX_S14_S18_S1A_T6_T7_T9_mT8_S1C_bDpT10_ENKUlT_T0_E_clISt17integral_constantIbLb1EES1O_IbLb0EEEEDaS1K_S1L_EUlS1K_E_NS1_11comp_targetILNS1_3genE10ELNS1_11target_archE1200ELNS1_3gpuE4ELNS1_3repE0EEENS1_30default_config_static_selectorELNS0_4arch9wavefront6targetE1EEEvSY_.has_recursion, 0
	.set _ZN7rocprim17ROCPRIM_400000_NS6detail17trampoline_kernelINS0_13select_configILj256ELj13ELNS0_17block_load_methodE3ELS4_3ELS4_3ELNS0_20block_scan_algorithmE0ELj4294967295EEENS1_25partition_config_selectorILNS1_17partition_subalgoE3EjNS0_10empty_typeEbEEZZNS1_14partition_implILS8_3ELb0ES6_jNS0_17counting_iteratorIjlEEPS9_SE_NS0_5tupleIJPjSE_EEENSF_IJSE_SE_EEES9_SG_JZNS1_25segmented_radix_sort_implINS0_14default_configELb0EPKaPaPKlPlN2at6native12_GLOBAL__N_18offset_tEEE10hipError_tPvRmT1_PNSt15iterator_traitsISY_E10value_typeET2_T3_PNSZ_IS14_E10value_typeET4_jRbjT5_S1A_jjP12ihipStream_tbEUljE_EEESV_SW_SX_S14_S18_S1A_T6_T7_T9_mT8_S1C_bDpT10_ENKUlT_T0_E_clISt17integral_constantIbLb1EES1O_IbLb0EEEEDaS1K_S1L_EUlS1K_E_NS1_11comp_targetILNS1_3genE10ELNS1_11target_archE1200ELNS1_3gpuE4ELNS1_3repE0EEENS1_30default_config_static_selectorELNS0_4arch9wavefront6targetE1EEEvSY_.has_indirect_call, 0
	.section	.AMDGPU.csdata,"",@progbits
; Kernel info:
; codeLenInByte = 0
; TotalNumSgprs: 4
; NumVgprs: 0
; ScratchSize: 0
; MemoryBound: 0
; FloatMode: 240
; IeeeMode: 1
; LDSByteSize: 0 bytes/workgroup (compile time only)
; SGPRBlocks: 0
; VGPRBlocks: 0
; NumSGPRsForWavesPerEU: 4
; NumVGPRsForWavesPerEU: 1
; Occupancy: 10
; WaveLimiterHint : 0
; COMPUTE_PGM_RSRC2:SCRATCH_EN: 0
; COMPUTE_PGM_RSRC2:USER_SGPR: 6
; COMPUTE_PGM_RSRC2:TRAP_HANDLER: 0
; COMPUTE_PGM_RSRC2:TGID_X_EN: 1
; COMPUTE_PGM_RSRC2:TGID_Y_EN: 0
; COMPUTE_PGM_RSRC2:TGID_Z_EN: 0
; COMPUTE_PGM_RSRC2:TIDIG_COMP_CNT: 0
	.section	.text._ZN7rocprim17ROCPRIM_400000_NS6detail17trampoline_kernelINS0_13select_configILj256ELj13ELNS0_17block_load_methodE3ELS4_3ELS4_3ELNS0_20block_scan_algorithmE0ELj4294967295EEENS1_25partition_config_selectorILNS1_17partition_subalgoE3EjNS0_10empty_typeEbEEZZNS1_14partition_implILS8_3ELb0ES6_jNS0_17counting_iteratorIjlEEPS9_SE_NS0_5tupleIJPjSE_EEENSF_IJSE_SE_EEES9_SG_JZNS1_25segmented_radix_sort_implINS0_14default_configELb0EPKaPaPKlPlN2at6native12_GLOBAL__N_18offset_tEEE10hipError_tPvRmT1_PNSt15iterator_traitsISY_E10value_typeET2_T3_PNSZ_IS14_E10value_typeET4_jRbjT5_S1A_jjP12ihipStream_tbEUljE_EEESV_SW_SX_S14_S18_S1A_T6_T7_T9_mT8_S1C_bDpT10_ENKUlT_T0_E_clISt17integral_constantIbLb1EES1O_IbLb0EEEEDaS1K_S1L_EUlS1K_E_NS1_11comp_targetILNS1_3genE9ELNS1_11target_archE1100ELNS1_3gpuE3ELNS1_3repE0EEENS1_30default_config_static_selectorELNS0_4arch9wavefront6targetE1EEEvSY_,"axG",@progbits,_ZN7rocprim17ROCPRIM_400000_NS6detail17trampoline_kernelINS0_13select_configILj256ELj13ELNS0_17block_load_methodE3ELS4_3ELS4_3ELNS0_20block_scan_algorithmE0ELj4294967295EEENS1_25partition_config_selectorILNS1_17partition_subalgoE3EjNS0_10empty_typeEbEEZZNS1_14partition_implILS8_3ELb0ES6_jNS0_17counting_iteratorIjlEEPS9_SE_NS0_5tupleIJPjSE_EEENSF_IJSE_SE_EEES9_SG_JZNS1_25segmented_radix_sort_implINS0_14default_configELb0EPKaPaPKlPlN2at6native12_GLOBAL__N_18offset_tEEE10hipError_tPvRmT1_PNSt15iterator_traitsISY_E10value_typeET2_T3_PNSZ_IS14_E10value_typeET4_jRbjT5_S1A_jjP12ihipStream_tbEUljE_EEESV_SW_SX_S14_S18_S1A_T6_T7_T9_mT8_S1C_bDpT10_ENKUlT_T0_E_clISt17integral_constantIbLb1EES1O_IbLb0EEEEDaS1K_S1L_EUlS1K_E_NS1_11comp_targetILNS1_3genE9ELNS1_11target_archE1100ELNS1_3gpuE3ELNS1_3repE0EEENS1_30default_config_static_selectorELNS0_4arch9wavefront6targetE1EEEvSY_,comdat
	.globl	_ZN7rocprim17ROCPRIM_400000_NS6detail17trampoline_kernelINS0_13select_configILj256ELj13ELNS0_17block_load_methodE3ELS4_3ELS4_3ELNS0_20block_scan_algorithmE0ELj4294967295EEENS1_25partition_config_selectorILNS1_17partition_subalgoE3EjNS0_10empty_typeEbEEZZNS1_14partition_implILS8_3ELb0ES6_jNS0_17counting_iteratorIjlEEPS9_SE_NS0_5tupleIJPjSE_EEENSF_IJSE_SE_EEES9_SG_JZNS1_25segmented_radix_sort_implINS0_14default_configELb0EPKaPaPKlPlN2at6native12_GLOBAL__N_18offset_tEEE10hipError_tPvRmT1_PNSt15iterator_traitsISY_E10value_typeET2_T3_PNSZ_IS14_E10value_typeET4_jRbjT5_S1A_jjP12ihipStream_tbEUljE_EEESV_SW_SX_S14_S18_S1A_T6_T7_T9_mT8_S1C_bDpT10_ENKUlT_T0_E_clISt17integral_constantIbLb1EES1O_IbLb0EEEEDaS1K_S1L_EUlS1K_E_NS1_11comp_targetILNS1_3genE9ELNS1_11target_archE1100ELNS1_3gpuE3ELNS1_3repE0EEENS1_30default_config_static_selectorELNS0_4arch9wavefront6targetE1EEEvSY_ ; -- Begin function _ZN7rocprim17ROCPRIM_400000_NS6detail17trampoline_kernelINS0_13select_configILj256ELj13ELNS0_17block_load_methodE3ELS4_3ELS4_3ELNS0_20block_scan_algorithmE0ELj4294967295EEENS1_25partition_config_selectorILNS1_17partition_subalgoE3EjNS0_10empty_typeEbEEZZNS1_14partition_implILS8_3ELb0ES6_jNS0_17counting_iteratorIjlEEPS9_SE_NS0_5tupleIJPjSE_EEENSF_IJSE_SE_EEES9_SG_JZNS1_25segmented_radix_sort_implINS0_14default_configELb0EPKaPaPKlPlN2at6native12_GLOBAL__N_18offset_tEEE10hipError_tPvRmT1_PNSt15iterator_traitsISY_E10value_typeET2_T3_PNSZ_IS14_E10value_typeET4_jRbjT5_S1A_jjP12ihipStream_tbEUljE_EEESV_SW_SX_S14_S18_S1A_T6_T7_T9_mT8_S1C_bDpT10_ENKUlT_T0_E_clISt17integral_constantIbLb1EES1O_IbLb0EEEEDaS1K_S1L_EUlS1K_E_NS1_11comp_targetILNS1_3genE9ELNS1_11target_archE1100ELNS1_3gpuE3ELNS1_3repE0EEENS1_30default_config_static_selectorELNS0_4arch9wavefront6targetE1EEEvSY_
	.p2align	8
	.type	_ZN7rocprim17ROCPRIM_400000_NS6detail17trampoline_kernelINS0_13select_configILj256ELj13ELNS0_17block_load_methodE3ELS4_3ELS4_3ELNS0_20block_scan_algorithmE0ELj4294967295EEENS1_25partition_config_selectorILNS1_17partition_subalgoE3EjNS0_10empty_typeEbEEZZNS1_14partition_implILS8_3ELb0ES6_jNS0_17counting_iteratorIjlEEPS9_SE_NS0_5tupleIJPjSE_EEENSF_IJSE_SE_EEES9_SG_JZNS1_25segmented_radix_sort_implINS0_14default_configELb0EPKaPaPKlPlN2at6native12_GLOBAL__N_18offset_tEEE10hipError_tPvRmT1_PNSt15iterator_traitsISY_E10value_typeET2_T3_PNSZ_IS14_E10value_typeET4_jRbjT5_S1A_jjP12ihipStream_tbEUljE_EEESV_SW_SX_S14_S18_S1A_T6_T7_T9_mT8_S1C_bDpT10_ENKUlT_T0_E_clISt17integral_constantIbLb1EES1O_IbLb0EEEEDaS1K_S1L_EUlS1K_E_NS1_11comp_targetILNS1_3genE9ELNS1_11target_archE1100ELNS1_3gpuE3ELNS1_3repE0EEENS1_30default_config_static_selectorELNS0_4arch9wavefront6targetE1EEEvSY_,@function
_ZN7rocprim17ROCPRIM_400000_NS6detail17trampoline_kernelINS0_13select_configILj256ELj13ELNS0_17block_load_methodE3ELS4_3ELS4_3ELNS0_20block_scan_algorithmE0ELj4294967295EEENS1_25partition_config_selectorILNS1_17partition_subalgoE3EjNS0_10empty_typeEbEEZZNS1_14partition_implILS8_3ELb0ES6_jNS0_17counting_iteratorIjlEEPS9_SE_NS0_5tupleIJPjSE_EEENSF_IJSE_SE_EEES9_SG_JZNS1_25segmented_radix_sort_implINS0_14default_configELb0EPKaPaPKlPlN2at6native12_GLOBAL__N_18offset_tEEE10hipError_tPvRmT1_PNSt15iterator_traitsISY_E10value_typeET2_T3_PNSZ_IS14_E10value_typeET4_jRbjT5_S1A_jjP12ihipStream_tbEUljE_EEESV_SW_SX_S14_S18_S1A_T6_T7_T9_mT8_S1C_bDpT10_ENKUlT_T0_E_clISt17integral_constantIbLb1EES1O_IbLb0EEEEDaS1K_S1L_EUlS1K_E_NS1_11comp_targetILNS1_3genE9ELNS1_11target_archE1100ELNS1_3gpuE3ELNS1_3repE0EEENS1_30default_config_static_selectorELNS0_4arch9wavefront6targetE1EEEvSY_: ; @_ZN7rocprim17ROCPRIM_400000_NS6detail17trampoline_kernelINS0_13select_configILj256ELj13ELNS0_17block_load_methodE3ELS4_3ELS4_3ELNS0_20block_scan_algorithmE0ELj4294967295EEENS1_25partition_config_selectorILNS1_17partition_subalgoE3EjNS0_10empty_typeEbEEZZNS1_14partition_implILS8_3ELb0ES6_jNS0_17counting_iteratorIjlEEPS9_SE_NS0_5tupleIJPjSE_EEENSF_IJSE_SE_EEES9_SG_JZNS1_25segmented_radix_sort_implINS0_14default_configELb0EPKaPaPKlPlN2at6native12_GLOBAL__N_18offset_tEEE10hipError_tPvRmT1_PNSt15iterator_traitsISY_E10value_typeET2_T3_PNSZ_IS14_E10value_typeET4_jRbjT5_S1A_jjP12ihipStream_tbEUljE_EEESV_SW_SX_S14_S18_S1A_T6_T7_T9_mT8_S1C_bDpT10_ENKUlT_T0_E_clISt17integral_constantIbLb1EES1O_IbLb0EEEEDaS1K_S1L_EUlS1K_E_NS1_11comp_targetILNS1_3genE9ELNS1_11target_archE1100ELNS1_3gpuE3ELNS1_3repE0EEENS1_30default_config_static_selectorELNS0_4arch9wavefront6targetE1EEEvSY_
; %bb.0:
	.section	.rodata,"a",@progbits
	.p2align	6, 0x0
	.amdhsa_kernel _ZN7rocprim17ROCPRIM_400000_NS6detail17trampoline_kernelINS0_13select_configILj256ELj13ELNS0_17block_load_methodE3ELS4_3ELS4_3ELNS0_20block_scan_algorithmE0ELj4294967295EEENS1_25partition_config_selectorILNS1_17partition_subalgoE3EjNS0_10empty_typeEbEEZZNS1_14partition_implILS8_3ELb0ES6_jNS0_17counting_iteratorIjlEEPS9_SE_NS0_5tupleIJPjSE_EEENSF_IJSE_SE_EEES9_SG_JZNS1_25segmented_radix_sort_implINS0_14default_configELb0EPKaPaPKlPlN2at6native12_GLOBAL__N_18offset_tEEE10hipError_tPvRmT1_PNSt15iterator_traitsISY_E10value_typeET2_T3_PNSZ_IS14_E10value_typeET4_jRbjT5_S1A_jjP12ihipStream_tbEUljE_EEESV_SW_SX_S14_S18_S1A_T6_T7_T9_mT8_S1C_bDpT10_ENKUlT_T0_E_clISt17integral_constantIbLb1EES1O_IbLb0EEEEDaS1K_S1L_EUlS1K_E_NS1_11comp_targetILNS1_3genE9ELNS1_11target_archE1100ELNS1_3gpuE3ELNS1_3repE0EEENS1_30default_config_static_selectorELNS0_4arch9wavefront6targetE1EEEvSY_
		.amdhsa_group_segment_fixed_size 0
		.amdhsa_private_segment_fixed_size 0
		.amdhsa_kernarg_size 144
		.amdhsa_user_sgpr_count 6
		.amdhsa_user_sgpr_private_segment_buffer 1
		.amdhsa_user_sgpr_dispatch_ptr 0
		.amdhsa_user_sgpr_queue_ptr 0
		.amdhsa_user_sgpr_kernarg_segment_ptr 1
		.amdhsa_user_sgpr_dispatch_id 0
		.amdhsa_user_sgpr_flat_scratch_init 0
		.amdhsa_user_sgpr_private_segment_size 0
		.amdhsa_uses_dynamic_stack 0
		.amdhsa_system_sgpr_private_segment_wavefront_offset 0
		.amdhsa_system_sgpr_workgroup_id_x 1
		.amdhsa_system_sgpr_workgroup_id_y 0
		.amdhsa_system_sgpr_workgroup_id_z 0
		.amdhsa_system_sgpr_workgroup_info 0
		.amdhsa_system_vgpr_workitem_id 0
		.amdhsa_next_free_vgpr 1
		.amdhsa_next_free_sgpr 0
		.amdhsa_reserve_vcc 0
		.amdhsa_reserve_flat_scratch 0
		.amdhsa_float_round_mode_32 0
		.amdhsa_float_round_mode_16_64 0
		.amdhsa_float_denorm_mode_32 3
		.amdhsa_float_denorm_mode_16_64 3
		.amdhsa_dx10_clamp 1
		.amdhsa_ieee_mode 1
		.amdhsa_fp16_overflow 0
		.amdhsa_exception_fp_ieee_invalid_op 0
		.amdhsa_exception_fp_denorm_src 0
		.amdhsa_exception_fp_ieee_div_zero 0
		.amdhsa_exception_fp_ieee_overflow 0
		.amdhsa_exception_fp_ieee_underflow 0
		.amdhsa_exception_fp_ieee_inexact 0
		.amdhsa_exception_int_div_zero 0
	.end_amdhsa_kernel
	.section	.text._ZN7rocprim17ROCPRIM_400000_NS6detail17trampoline_kernelINS0_13select_configILj256ELj13ELNS0_17block_load_methodE3ELS4_3ELS4_3ELNS0_20block_scan_algorithmE0ELj4294967295EEENS1_25partition_config_selectorILNS1_17partition_subalgoE3EjNS0_10empty_typeEbEEZZNS1_14partition_implILS8_3ELb0ES6_jNS0_17counting_iteratorIjlEEPS9_SE_NS0_5tupleIJPjSE_EEENSF_IJSE_SE_EEES9_SG_JZNS1_25segmented_radix_sort_implINS0_14default_configELb0EPKaPaPKlPlN2at6native12_GLOBAL__N_18offset_tEEE10hipError_tPvRmT1_PNSt15iterator_traitsISY_E10value_typeET2_T3_PNSZ_IS14_E10value_typeET4_jRbjT5_S1A_jjP12ihipStream_tbEUljE_EEESV_SW_SX_S14_S18_S1A_T6_T7_T9_mT8_S1C_bDpT10_ENKUlT_T0_E_clISt17integral_constantIbLb1EES1O_IbLb0EEEEDaS1K_S1L_EUlS1K_E_NS1_11comp_targetILNS1_3genE9ELNS1_11target_archE1100ELNS1_3gpuE3ELNS1_3repE0EEENS1_30default_config_static_selectorELNS0_4arch9wavefront6targetE1EEEvSY_,"axG",@progbits,_ZN7rocprim17ROCPRIM_400000_NS6detail17trampoline_kernelINS0_13select_configILj256ELj13ELNS0_17block_load_methodE3ELS4_3ELS4_3ELNS0_20block_scan_algorithmE0ELj4294967295EEENS1_25partition_config_selectorILNS1_17partition_subalgoE3EjNS0_10empty_typeEbEEZZNS1_14partition_implILS8_3ELb0ES6_jNS0_17counting_iteratorIjlEEPS9_SE_NS0_5tupleIJPjSE_EEENSF_IJSE_SE_EEES9_SG_JZNS1_25segmented_radix_sort_implINS0_14default_configELb0EPKaPaPKlPlN2at6native12_GLOBAL__N_18offset_tEEE10hipError_tPvRmT1_PNSt15iterator_traitsISY_E10value_typeET2_T3_PNSZ_IS14_E10value_typeET4_jRbjT5_S1A_jjP12ihipStream_tbEUljE_EEESV_SW_SX_S14_S18_S1A_T6_T7_T9_mT8_S1C_bDpT10_ENKUlT_T0_E_clISt17integral_constantIbLb1EES1O_IbLb0EEEEDaS1K_S1L_EUlS1K_E_NS1_11comp_targetILNS1_3genE9ELNS1_11target_archE1100ELNS1_3gpuE3ELNS1_3repE0EEENS1_30default_config_static_selectorELNS0_4arch9wavefront6targetE1EEEvSY_,comdat
.Lfunc_end383:
	.size	_ZN7rocprim17ROCPRIM_400000_NS6detail17trampoline_kernelINS0_13select_configILj256ELj13ELNS0_17block_load_methodE3ELS4_3ELS4_3ELNS0_20block_scan_algorithmE0ELj4294967295EEENS1_25partition_config_selectorILNS1_17partition_subalgoE3EjNS0_10empty_typeEbEEZZNS1_14partition_implILS8_3ELb0ES6_jNS0_17counting_iteratorIjlEEPS9_SE_NS0_5tupleIJPjSE_EEENSF_IJSE_SE_EEES9_SG_JZNS1_25segmented_radix_sort_implINS0_14default_configELb0EPKaPaPKlPlN2at6native12_GLOBAL__N_18offset_tEEE10hipError_tPvRmT1_PNSt15iterator_traitsISY_E10value_typeET2_T3_PNSZ_IS14_E10value_typeET4_jRbjT5_S1A_jjP12ihipStream_tbEUljE_EEESV_SW_SX_S14_S18_S1A_T6_T7_T9_mT8_S1C_bDpT10_ENKUlT_T0_E_clISt17integral_constantIbLb1EES1O_IbLb0EEEEDaS1K_S1L_EUlS1K_E_NS1_11comp_targetILNS1_3genE9ELNS1_11target_archE1100ELNS1_3gpuE3ELNS1_3repE0EEENS1_30default_config_static_selectorELNS0_4arch9wavefront6targetE1EEEvSY_, .Lfunc_end383-_ZN7rocprim17ROCPRIM_400000_NS6detail17trampoline_kernelINS0_13select_configILj256ELj13ELNS0_17block_load_methodE3ELS4_3ELS4_3ELNS0_20block_scan_algorithmE0ELj4294967295EEENS1_25partition_config_selectorILNS1_17partition_subalgoE3EjNS0_10empty_typeEbEEZZNS1_14partition_implILS8_3ELb0ES6_jNS0_17counting_iteratorIjlEEPS9_SE_NS0_5tupleIJPjSE_EEENSF_IJSE_SE_EEES9_SG_JZNS1_25segmented_radix_sort_implINS0_14default_configELb0EPKaPaPKlPlN2at6native12_GLOBAL__N_18offset_tEEE10hipError_tPvRmT1_PNSt15iterator_traitsISY_E10value_typeET2_T3_PNSZ_IS14_E10value_typeET4_jRbjT5_S1A_jjP12ihipStream_tbEUljE_EEESV_SW_SX_S14_S18_S1A_T6_T7_T9_mT8_S1C_bDpT10_ENKUlT_T0_E_clISt17integral_constantIbLb1EES1O_IbLb0EEEEDaS1K_S1L_EUlS1K_E_NS1_11comp_targetILNS1_3genE9ELNS1_11target_archE1100ELNS1_3gpuE3ELNS1_3repE0EEENS1_30default_config_static_selectorELNS0_4arch9wavefront6targetE1EEEvSY_
                                        ; -- End function
	.set _ZN7rocprim17ROCPRIM_400000_NS6detail17trampoline_kernelINS0_13select_configILj256ELj13ELNS0_17block_load_methodE3ELS4_3ELS4_3ELNS0_20block_scan_algorithmE0ELj4294967295EEENS1_25partition_config_selectorILNS1_17partition_subalgoE3EjNS0_10empty_typeEbEEZZNS1_14partition_implILS8_3ELb0ES6_jNS0_17counting_iteratorIjlEEPS9_SE_NS0_5tupleIJPjSE_EEENSF_IJSE_SE_EEES9_SG_JZNS1_25segmented_radix_sort_implINS0_14default_configELb0EPKaPaPKlPlN2at6native12_GLOBAL__N_18offset_tEEE10hipError_tPvRmT1_PNSt15iterator_traitsISY_E10value_typeET2_T3_PNSZ_IS14_E10value_typeET4_jRbjT5_S1A_jjP12ihipStream_tbEUljE_EEESV_SW_SX_S14_S18_S1A_T6_T7_T9_mT8_S1C_bDpT10_ENKUlT_T0_E_clISt17integral_constantIbLb1EES1O_IbLb0EEEEDaS1K_S1L_EUlS1K_E_NS1_11comp_targetILNS1_3genE9ELNS1_11target_archE1100ELNS1_3gpuE3ELNS1_3repE0EEENS1_30default_config_static_selectorELNS0_4arch9wavefront6targetE1EEEvSY_.num_vgpr, 0
	.set _ZN7rocprim17ROCPRIM_400000_NS6detail17trampoline_kernelINS0_13select_configILj256ELj13ELNS0_17block_load_methodE3ELS4_3ELS4_3ELNS0_20block_scan_algorithmE0ELj4294967295EEENS1_25partition_config_selectorILNS1_17partition_subalgoE3EjNS0_10empty_typeEbEEZZNS1_14partition_implILS8_3ELb0ES6_jNS0_17counting_iteratorIjlEEPS9_SE_NS0_5tupleIJPjSE_EEENSF_IJSE_SE_EEES9_SG_JZNS1_25segmented_radix_sort_implINS0_14default_configELb0EPKaPaPKlPlN2at6native12_GLOBAL__N_18offset_tEEE10hipError_tPvRmT1_PNSt15iterator_traitsISY_E10value_typeET2_T3_PNSZ_IS14_E10value_typeET4_jRbjT5_S1A_jjP12ihipStream_tbEUljE_EEESV_SW_SX_S14_S18_S1A_T6_T7_T9_mT8_S1C_bDpT10_ENKUlT_T0_E_clISt17integral_constantIbLb1EES1O_IbLb0EEEEDaS1K_S1L_EUlS1K_E_NS1_11comp_targetILNS1_3genE9ELNS1_11target_archE1100ELNS1_3gpuE3ELNS1_3repE0EEENS1_30default_config_static_selectorELNS0_4arch9wavefront6targetE1EEEvSY_.num_agpr, 0
	.set _ZN7rocprim17ROCPRIM_400000_NS6detail17trampoline_kernelINS0_13select_configILj256ELj13ELNS0_17block_load_methodE3ELS4_3ELS4_3ELNS0_20block_scan_algorithmE0ELj4294967295EEENS1_25partition_config_selectorILNS1_17partition_subalgoE3EjNS0_10empty_typeEbEEZZNS1_14partition_implILS8_3ELb0ES6_jNS0_17counting_iteratorIjlEEPS9_SE_NS0_5tupleIJPjSE_EEENSF_IJSE_SE_EEES9_SG_JZNS1_25segmented_radix_sort_implINS0_14default_configELb0EPKaPaPKlPlN2at6native12_GLOBAL__N_18offset_tEEE10hipError_tPvRmT1_PNSt15iterator_traitsISY_E10value_typeET2_T3_PNSZ_IS14_E10value_typeET4_jRbjT5_S1A_jjP12ihipStream_tbEUljE_EEESV_SW_SX_S14_S18_S1A_T6_T7_T9_mT8_S1C_bDpT10_ENKUlT_T0_E_clISt17integral_constantIbLb1EES1O_IbLb0EEEEDaS1K_S1L_EUlS1K_E_NS1_11comp_targetILNS1_3genE9ELNS1_11target_archE1100ELNS1_3gpuE3ELNS1_3repE0EEENS1_30default_config_static_selectorELNS0_4arch9wavefront6targetE1EEEvSY_.numbered_sgpr, 0
	.set _ZN7rocprim17ROCPRIM_400000_NS6detail17trampoline_kernelINS0_13select_configILj256ELj13ELNS0_17block_load_methodE3ELS4_3ELS4_3ELNS0_20block_scan_algorithmE0ELj4294967295EEENS1_25partition_config_selectorILNS1_17partition_subalgoE3EjNS0_10empty_typeEbEEZZNS1_14partition_implILS8_3ELb0ES6_jNS0_17counting_iteratorIjlEEPS9_SE_NS0_5tupleIJPjSE_EEENSF_IJSE_SE_EEES9_SG_JZNS1_25segmented_radix_sort_implINS0_14default_configELb0EPKaPaPKlPlN2at6native12_GLOBAL__N_18offset_tEEE10hipError_tPvRmT1_PNSt15iterator_traitsISY_E10value_typeET2_T3_PNSZ_IS14_E10value_typeET4_jRbjT5_S1A_jjP12ihipStream_tbEUljE_EEESV_SW_SX_S14_S18_S1A_T6_T7_T9_mT8_S1C_bDpT10_ENKUlT_T0_E_clISt17integral_constantIbLb1EES1O_IbLb0EEEEDaS1K_S1L_EUlS1K_E_NS1_11comp_targetILNS1_3genE9ELNS1_11target_archE1100ELNS1_3gpuE3ELNS1_3repE0EEENS1_30default_config_static_selectorELNS0_4arch9wavefront6targetE1EEEvSY_.num_named_barrier, 0
	.set _ZN7rocprim17ROCPRIM_400000_NS6detail17trampoline_kernelINS0_13select_configILj256ELj13ELNS0_17block_load_methodE3ELS4_3ELS4_3ELNS0_20block_scan_algorithmE0ELj4294967295EEENS1_25partition_config_selectorILNS1_17partition_subalgoE3EjNS0_10empty_typeEbEEZZNS1_14partition_implILS8_3ELb0ES6_jNS0_17counting_iteratorIjlEEPS9_SE_NS0_5tupleIJPjSE_EEENSF_IJSE_SE_EEES9_SG_JZNS1_25segmented_radix_sort_implINS0_14default_configELb0EPKaPaPKlPlN2at6native12_GLOBAL__N_18offset_tEEE10hipError_tPvRmT1_PNSt15iterator_traitsISY_E10value_typeET2_T3_PNSZ_IS14_E10value_typeET4_jRbjT5_S1A_jjP12ihipStream_tbEUljE_EEESV_SW_SX_S14_S18_S1A_T6_T7_T9_mT8_S1C_bDpT10_ENKUlT_T0_E_clISt17integral_constantIbLb1EES1O_IbLb0EEEEDaS1K_S1L_EUlS1K_E_NS1_11comp_targetILNS1_3genE9ELNS1_11target_archE1100ELNS1_3gpuE3ELNS1_3repE0EEENS1_30default_config_static_selectorELNS0_4arch9wavefront6targetE1EEEvSY_.private_seg_size, 0
	.set _ZN7rocprim17ROCPRIM_400000_NS6detail17trampoline_kernelINS0_13select_configILj256ELj13ELNS0_17block_load_methodE3ELS4_3ELS4_3ELNS0_20block_scan_algorithmE0ELj4294967295EEENS1_25partition_config_selectorILNS1_17partition_subalgoE3EjNS0_10empty_typeEbEEZZNS1_14partition_implILS8_3ELb0ES6_jNS0_17counting_iteratorIjlEEPS9_SE_NS0_5tupleIJPjSE_EEENSF_IJSE_SE_EEES9_SG_JZNS1_25segmented_radix_sort_implINS0_14default_configELb0EPKaPaPKlPlN2at6native12_GLOBAL__N_18offset_tEEE10hipError_tPvRmT1_PNSt15iterator_traitsISY_E10value_typeET2_T3_PNSZ_IS14_E10value_typeET4_jRbjT5_S1A_jjP12ihipStream_tbEUljE_EEESV_SW_SX_S14_S18_S1A_T6_T7_T9_mT8_S1C_bDpT10_ENKUlT_T0_E_clISt17integral_constantIbLb1EES1O_IbLb0EEEEDaS1K_S1L_EUlS1K_E_NS1_11comp_targetILNS1_3genE9ELNS1_11target_archE1100ELNS1_3gpuE3ELNS1_3repE0EEENS1_30default_config_static_selectorELNS0_4arch9wavefront6targetE1EEEvSY_.uses_vcc, 0
	.set _ZN7rocprim17ROCPRIM_400000_NS6detail17trampoline_kernelINS0_13select_configILj256ELj13ELNS0_17block_load_methodE3ELS4_3ELS4_3ELNS0_20block_scan_algorithmE0ELj4294967295EEENS1_25partition_config_selectorILNS1_17partition_subalgoE3EjNS0_10empty_typeEbEEZZNS1_14partition_implILS8_3ELb0ES6_jNS0_17counting_iteratorIjlEEPS9_SE_NS0_5tupleIJPjSE_EEENSF_IJSE_SE_EEES9_SG_JZNS1_25segmented_radix_sort_implINS0_14default_configELb0EPKaPaPKlPlN2at6native12_GLOBAL__N_18offset_tEEE10hipError_tPvRmT1_PNSt15iterator_traitsISY_E10value_typeET2_T3_PNSZ_IS14_E10value_typeET4_jRbjT5_S1A_jjP12ihipStream_tbEUljE_EEESV_SW_SX_S14_S18_S1A_T6_T7_T9_mT8_S1C_bDpT10_ENKUlT_T0_E_clISt17integral_constantIbLb1EES1O_IbLb0EEEEDaS1K_S1L_EUlS1K_E_NS1_11comp_targetILNS1_3genE9ELNS1_11target_archE1100ELNS1_3gpuE3ELNS1_3repE0EEENS1_30default_config_static_selectorELNS0_4arch9wavefront6targetE1EEEvSY_.uses_flat_scratch, 0
	.set _ZN7rocprim17ROCPRIM_400000_NS6detail17trampoline_kernelINS0_13select_configILj256ELj13ELNS0_17block_load_methodE3ELS4_3ELS4_3ELNS0_20block_scan_algorithmE0ELj4294967295EEENS1_25partition_config_selectorILNS1_17partition_subalgoE3EjNS0_10empty_typeEbEEZZNS1_14partition_implILS8_3ELb0ES6_jNS0_17counting_iteratorIjlEEPS9_SE_NS0_5tupleIJPjSE_EEENSF_IJSE_SE_EEES9_SG_JZNS1_25segmented_radix_sort_implINS0_14default_configELb0EPKaPaPKlPlN2at6native12_GLOBAL__N_18offset_tEEE10hipError_tPvRmT1_PNSt15iterator_traitsISY_E10value_typeET2_T3_PNSZ_IS14_E10value_typeET4_jRbjT5_S1A_jjP12ihipStream_tbEUljE_EEESV_SW_SX_S14_S18_S1A_T6_T7_T9_mT8_S1C_bDpT10_ENKUlT_T0_E_clISt17integral_constantIbLb1EES1O_IbLb0EEEEDaS1K_S1L_EUlS1K_E_NS1_11comp_targetILNS1_3genE9ELNS1_11target_archE1100ELNS1_3gpuE3ELNS1_3repE0EEENS1_30default_config_static_selectorELNS0_4arch9wavefront6targetE1EEEvSY_.has_dyn_sized_stack, 0
	.set _ZN7rocprim17ROCPRIM_400000_NS6detail17trampoline_kernelINS0_13select_configILj256ELj13ELNS0_17block_load_methodE3ELS4_3ELS4_3ELNS0_20block_scan_algorithmE0ELj4294967295EEENS1_25partition_config_selectorILNS1_17partition_subalgoE3EjNS0_10empty_typeEbEEZZNS1_14partition_implILS8_3ELb0ES6_jNS0_17counting_iteratorIjlEEPS9_SE_NS0_5tupleIJPjSE_EEENSF_IJSE_SE_EEES9_SG_JZNS1_25segmented_radix_sort_implINS0_14default_configELb0EPKaPaPKlPlN2at6native12_GLOBAL__N_18offset_tEEE10hipError_tPvRmT1_PNSt15iterator_traitsISY_E10value_typeET2_T3_PNSZ_IS14_E10value_typeET4_jRbjT5_S1A_jjP12ihipStream_tbEUljE_EEESV_SW_SX_S14_S18_S1A_T6_T7_T9_mT8_S1C_bDpT10_ENKUlT_T0_E_clISt17integral_constantIbLb1EES1O_IbLb0EEEEDaS1K_S1L_EUlS1K_E_NS1_11comp_targetILNS1_3genE9ELNS1_11target_archE1100ELNS1_3gpuE3ELNS1_3repE0EEENS1_30default_config_static_selectorELNS0_4arch9wavefront6targetE1EEEvSY_.has_recursion, 0
	.set _ZN7rocprim17ROCPRIM_400000_NS6detail17trampoline_kernelINS0_13select_configILj256ELj13ELNS0_17block_load_methodE3ELS4_3ELS4_3ELNS0_20block_scan_algorithmE0ELj4294967295EEENS1_25partition_config_selectorILNS1_17partition_subalgoE3EjNS0_10empty_typeEbEEZZNS1_14partition_implILS8_3ELb0ES6_jNS0_17counting_iteratorIjlEEPS9_SE_NS0_5tupleIJPjSE_EEENSF_IJSE_SE_EEES9_SG_JZNS1_25segmented_radix_sort_implINS0_14default_configELb0EPKaPaPKlPlN2at6native12_GLOBAL__N_18offset_tEEE10hipError_tPvRmT1_PNSt15iterator_traitsISY_E10value_typeET2_T3_PNSZ_IS14_E10value_typeET4_jRbjT5_S1A_jjP12ihipStream_tbEUljE_EEESV_SW_SX_S14_S18_S1A_T6_T7_T9_mT8_S1C_bDpT10_ENKUlT_T0_E_clISt17integral_constantIbLb1EES1O_IbLb0EEEEDaS1K_S1L_EUlS1K_E_NS1_11comp_targetILNS1_3genE9ELNS1_11target_archE1100ELNS1_3gpuE3ELNS1_3repE0EEENS1_30default_config_static_selectorELNS0_4arch9wavefront6targetE1EEEvSY_.has_indirect_call, 0
	.section	.AMDGPU.csdata,"",@progbits
; Kernel info:
; codeLenInByte = 0
; TotalNumSgprs: 4
; NumVgprs: 0
; ScratchSize: 0
; MemoryBound: 0
; FloatMode: 240
; IeeeMode: 1
; LDSByteSize: 0 bytes/workgroup (compile time only)
; SGPRBlocks: 0
; VGPRBlocks: 0
; NumSGPRsForWavesPerEU: 4
; NumVGPRsForWavesPerEU: 1
; Occupancy: 10
; WaveLimiterHint : 0
; COMPUTE_PGM_RSRC2:SCRATCH_EN: 0
; COMPUTE_PGM_RSRC2:USER_SGPR: 6
; COMPUTE_PGM_RSRC2:TRAP_HANDLER: 0
; COMPUTE_PGM_RSRC2:TGID_X_EN: 1
; COMPUTE_PGM_RSRC2:TGID_Y_EN: 0
; COMPUTE_PGM_RSRC2:TGID_Z_EN: 0
; COMPUTE_PGM_RSRC2:TIDIG_COMP_CNT: 0
	.section	.text._ZN7rocprim17ROCPRIM_400000_NS6detail17trampoline_kernelINS0_13select_configILj256ELj13ELNS0_17block_load_methodE3ELS4_3ELS4_3ELNS0_20block_scan_algorithmE0ELj4294967295EEENS1_25partition_config_selectorILNS1_17partition_subalgoE3EjNS0_10empty_typeEbEEZZNS1_14partition_implILS8_3ELb0ES6_jNS0_17counting_iteratorIjlEEPS9_SE_NS0_5tupleIJPjSE_EEENSF_IJSE_SE_EEES9_SG_JZNS1_25segmented_radix_sort_implINS0_14default_configELb0EPKaPaPKlPlN2at6native12_GLOBAL__N_18offset_tEEE10hipError_tPvRmT1_PNSt15iterator_traitsISY_E10value_typeET2_T3_PNSZ_IS14_E10value_typeET4_jRbjT5_S1A_jjP12ihipStream_tbEUljE_EEESV_SW_SX_S14_S18_S1A_T6_T7_T9_mT8_S1C_bDpT10_ENKUlT_T0_E_clISt17integral_constantIbLb1EES1O_IbLb0EEEEDaS1K_S1L_EUlS1K_E_NS1_11comp_targetILNS1_3genE8ELNS1_11target_archE1030ELNS1_3gpuE2ELNS1_3repE0EEENS1_30default_config_static_selectorELNS0_4arch9wavefront6targetE1EEEvSY_,"axG",@progbits,_ZN7rocprim17ROCPRIM_400000_NS6detail17trampoline_kernelINS0_13select_configILj256ELj13ELNS0_17block_load_methodE3ELS4_3ELS4_3ELNS0_20block_scan_algorithmE0ELj4294967295EEENS1_25partition_config_selectorILNS1_17partition_subalgoE3EjNS0_10empty_typeEbEEZZNS1_14partition_implILS8_3ELb0ES6_jNS0_17counting_iteratorIjlEEPS9_SE_NS0_5tupleIJPjSE_EEENSF_IJSE_SE_EEES9_SG_JZNS1_25segmented_radix_sort_implINS0_14default_configELb0EPKaPaPKlPlN2at6native12_GLOBAL__N_18offset_tEEE10hipError_tPvRmT1_PNSt15iterator_traitsISY_E10value_typeET2_T3_PNSZ_IS14_E10value_typeET4_jRbjT5_S1A_jjP12ihipStream_tbEUljE_EEESV_SW_SX_S14_S18_S1A_T6_T7_T9_mT8_S1C_bDpT10_ENKUlT_T0_E_clISt17integral_constantIbLb1EES1O_IbLb0EEEEDaS1K_S1L_EUlS1K_E_NS1_11comp_targetILNS1_3genE8ELNS1_11target_archE1030ELNS1_3gpuE2ELNS1_3repE0EEENS1_30default_config_static_selectorELNS0_4arch9wavefront6targetE1EEEvSY_,comdat
	.globl	_ZN7rocprim17ROCPRIM_400000_NS6detail17trampoline_kernelINS0_13select_configILj256ELj13ELNS0_17block_load_methodE3ELS4_3ELS4_3ELNS0_20block_scan_algorithmE0ELj4294967295EEENS1_25partition_config_selectorILNS1_17partition_subalgoE3EjNS0_10empty_typeEbEEZZNS1_14partition_implILS8_3ELb0ES6_jNS0_17counting_iteratorIjlEEPS9_SE_NS0_5tupleIJPjSE_EEENSF_IJSE_SE_EEES9_SG_JZNS1_25segmented_radix_sort_implINS0_14default_configELb0EPKaPaPKlPlN2at6native12_GLOBAL__N_18offset_tEEE10hipError_tPvRmT1_PNSt15iterator_traitsISY_E10value_typeET2_T3_PNSZ_IS14_E10value_typeET4_jRbjT5_S1A_jjP12ihipStream_tbEUljE_EEESV_SW_SX_S14_S18_S1A_T6_T7_T9_mT8_S1C_bDpT10_ENKUlT_T0_E_clISt17integral_constantIbLb1EES1O_IbLb0EEEEDaS1K_S1L_EUlS1K_E_NS1_11comp_targetILNS1_3genE8ELNS1_11target_archE1030ELNS1_3gpuE2ELNS1_3repE0EEENS1_30default_config_static_selectorELNS0_4arch9wavefront6targetE1EEEvSY_ ; -- Begin function _ZN7rocprim17ROCPRIM_400000_NS6detail17trampoline_kernelINS0_13select_configILj256ELj13ELNS0_17block_load_methodE3ELS4_3ELS4_3ELNS0_20block_scan_algorithmE0ELj4294967295EEENS1_25partition_config_selectorILNS1_17partition_subalgoE3EjNS0_10empty_typeEbEEZZNS1_14partition_implILS8_3ELb0ES6_jNS0_17counting_iteratorIjlEEPS9_SE_NS0_5tupleIJPjSE_EEENSF_IJSE_SE_EEES9_SG_JZNS1_25segmented_radix_sort_implINS0_14default_configELb0EPKaPaPKlPlN2at6native12_GLOBAL__N_18offset_tEEE10hipError_tPvRmT1_PNSt15iterator_traitsISY_E10value_typeET2_T3_PNSZ_IS14_E10value_typeET4_jRbjT5_S1A_jjP12ihipStream_tbEUljE_EEESV_SW_SX_S14_S18_S1A_T6_T7_T9_mT8_S1C_bDpT10_ENKUlT_T0_E_clISt17integral_constantIbLb1EES1O_IbLb0EEEEDaS1K_S1L_EUlS1K_E_NS1_11comp_targetILNS1_3genE8ELNS1_11target_archE1030ELNS1_3gpuE2ELNS1_3repE0EEENS1_30default_config_static_selectorELNS0_4arch9wavefront6targetE1EEEvSY_
	.p2align	8
	.type	_ZN7rocprim17ROCPRIM_400000_NS6detail17trampoline_kernelINS0_13select_configILj256ELj13ELNS0_17block_load_methodE3ELS4_3ELS4_3ELNS0_20block_scan_algorithmE0ELj4294967295EEENS1_25partition_config_selectorILNS1_17partition_subalgoE3EjNS0_10empty_typeEbEEZZNS1_14partition_implILS8_3ELb0ES6_jNS0_17counting_iteratorIjlEEPS9_SE_NS0_5tupleIJPjSE_EEENSF_IJSE_SE_EEES9_SG_JZNS1_25segmented_radix_sort_implINS0_14default_configELb0EPKaPaPKlPlN2at6native12_GLOBAL__N_18offset_tEEE10hipError_tPvRmT1_PNSt15iterator_traitsISY_E10value_typeET2_T3_PNSZ_IS14_E10value_typeET4_jRbjT5_S1A_jjP12ihipStream_tbEUljE_EEESV_SW_SX_S14_S18_S1A_T6_T7_T9_mT8_S1C_bDpT10_ENKUlT_T0_E_clISt17integral_constantIbLb1EES1O_IbLb0EEEEDaS1K_S1L_EUlS1K_E_NS1_11comp_targetILNS1_3genE8ELNS1_11target_archE1030ELNS1_3gpuE2ELNS1_3repE0EEENS1_30default_config_static_selectorELNS0_4arch9wavefront6targetE1EEEvSY_,@function
_ZN7rocprim17ROCPRIM_400000_NS6detail17trampoline_kernelINS0_13select_configILj256ELj13ELNS0_17block_load_methodE3ELS4_3ELS4_3ELNS0_20block_scan_algorithmE0ELj4294967295EEENS1_25partition_config_selectorILNS1_17partition_subalgoE3EjNS0_10empty_typeEbEEZZNS1_14partition_implILS8_3ELb0ES6_jNS0_17counting_iteratorIjlEEPS9_SE_NS0_5tupleIJPjSE_EEENSF_IJSE_SE_EEES9_SG_JZNS1_25segmented_radix_sort_implINS0_14default_configELb0EPKaPaPKlPlN2at6native12_GLOBAL__N_18offset_tEEE10hipError_tPvRmT1_PNSt15iterator_traitsISY_E10value_typeET2_T3_PNSZ_IS14_E10value_typeET4_jRbjT5_S1A_jjP12ihipStream_tbEUljE_EEESV_SW_SX_S14_S18_S1A_T6_T7_T9_mT8_S1C_bDpT10_ENKUlT_T0_E_clISt17integral_constantIbLb1EES1O_IbLb0EEEEDaS1K_S1L_EUlS1K_E_NS1_11comp_targetILNS1_3genE8ELNS1_11target_archE1030ELNS1_3gpuE2ELNS1_3repE0EEENS1_30default_config_static_selectorELNS0_4arch9wavefront6targetE1EEEvSY_: ; @_ZN7rocprim17ROCPRIM_400000_NS6detail17trampoline_kernelINS0_13select_configILj256ELj13ELNS0_17block_load_methodE3ELS4_3ELS4_3ELNS0_20block_scan_algorithmE0ELj4294967295EEENS1_25partition_config_selectorILNS1_17partition_subalgoE3EjNS0_10empty_typeEbEEZZNS1_14partition_implILS8_3ELb0ES6_jNS0_17counting_iteratorIjlEEPS9_SE_NS0_5tupleIJPjSE_EEENSF_IJSE_SE_EEES9_SG_JZNS1_25segmented_radix_sort_implINS0_14default_configELb0EPKaPaPKlPlN2at6native12_GLOBAL__N_18offset_tEEE10hipError_tPvRmT1_PNSt15iterator_traitsISY_E10value_typeET2_T3_PNSZ_IS14_E10value_typeET4_jRbjT5_S1A_jjP12ihipStream_tbEUljE_EEESV_SW_SX_S14_S18_S1A_T6_T7_T9_mT8_S1C_bDpT10_ENKUlT_T0_E_clISt17integral_constantIbLb1EES1O_IbLb0EEEEDaS1K_S1L_EUlS1K_E_NS1_11comp_targetILNS1_3genE8ELNS1_11target_archE1030ELNS1_3gpuE2ELNS1_3repE0EEENS1_30default_config_static_selectorELNS0_4arch9wavefront6targetE1EEEvSY_
; %bb.0:
	.section	.rodata,"a",@progbits
	.p2align	6, 0x0
	.amdhsa_kernel _ZN7rocprim17ROCPRIM_400000_NS6detail17trampoline_kernelINS0_13select_configILj256ELj13ELNS0_17block_load_methodE3ELS4_3ELS4_3ELNS0_20block_scan_algorithmE0ELj4294967295EEENS1_25partition_config_selectorILNS1_17partition_subalgoE3EjNS0_10empty_typeEbEEZZNS1_14partition_implILS8_3ELb0ES6_jNS0_17counting_iteratorIjlEEPS9_SE_NS0_5tupleIJPjSE_EEENSF_IJSE_SE_EEES9_SG_JZNS1_25segmented_radix_sort_implINS0_14default_configELb0EPKaPaPKlPlN2at6native12_GLOBAL__N_18offset_tEEE10hipError_tPvRmT1_PNSt15iterator_traitsISY_E10value_typeET2_T3_PNSZ_IS14_E10value_typeET4_jRbjT5_S1A_jjP12ihipStream_tbEUljE_EEESV_SW_SX_S14_S18_S1A_T6_T7_T9_mT8_S1C_bDpT10_ENKUlT_T0_E_clISt17integral_constantIbLb1EES1O_IbLb0EEEEDaS1K_S1L_EUlS1K_E_NS1_11comp_targetILNS1_3genE8ELNS1_11target_archE1030ELNS1_3gpuE2ELNS1_3repE0EEENS1_30default_config_static_selectorELNS0_4arch9wavefront6targetE1EEEvSY_
		.amdhsa_group_segment_fixed_size 0
		.amdhsa_private_segment_fixed_size 0
		.amdhsa_kernarg_size 144
		.amdhsa_user_sgpr_count 6
		.amdhsa_user_sgpr_private_segment_buffer 1
		.amdhsa_user_sgpr_dispatch_ptr 0
		.amdhsa_user_sgpr_queue_ptr 0
		.amdhsa_user_sgpr_kernarg_segment_ptr 1
		.amdhsa_user_sgpr_dispatch_id 0
		.amdhsa_user_sgpr_flat_scratch_init 0
		.amdhsa_user_sgpr_private_segment_size 0
		.amdhsa_uses_dynamic_stack 0
		.amdhsa_system_sgpr_private_segment_wavefront_offset 0
		.amdhsa_system_sgpr_workgroup_id_x 1
		.amdhsa_system_sgpr_workgroup_id_y 0
		.amdhsa_system_sgpr_workgroup_id_z 0
		.amdhsa_system_sgpr_workgroup_info 0
		.amdhsa_system_vgpr_workitem_id 0
		.amdhsa_next_free_vgpr 1
		.amdhsa_next_free_sgpr 0
		.amdhsa_reserve_vcc 0
		.amdhsa_reserve_flat_scratch 0
		.amdhsa_float_round_mode_32 0
		.amdhsa_float_round_mode_16_64 0
		.amdhsa_float_denorm_mode_32 3
		.amdhsa_float_denorm_mode_16_64 3
		.amdhsa_dx10_clamp 1
		.amdhsa_ieee_mode 1
		.amdhsa_fp16_overflow 0
		.amdhsa_exception_fp_ieee_invalid_op 0
		.amdhsa_exception_fp_denorm_src 0
		.amdhsa_exception_fp_ieee_div_zero 0
		.amdhsa_exception_fp_ieee_overflow 0
		.amdhsa_exception_fp_ieee_underflow 0
		.amdhsa_exception_fp_ieee_inexact 0
		.amdhsa_exception_int_div_zero 0
	.end_amdhsa_kernel
	.section	.text._ZN7rocprim17ROCPRIM_400000_NS6detail17trampoline_kernelINS0_13select_configILj256ELj13ELNS0_17block_load_methodE3ELS4_3ELS4_3ELNS0_20block_scan_algorithmE0ELj4294967295EEENS1_25partition_config_selectorILNS1_17partition_subalgoE3EjNS0_10empty_typeEbEEZZNS1_14partition_implILS8_3ELb0ES6_jNS0_17counting_iteratorIjlEEPS9_SE_NS0_5tupleIJPjSE_EEENSF_IJSE_SE_EEES9_SG_JZNS1_25segmented_radix_sort_implINS0_14default_configELb0EPKaPaPKlPlN2at6native12_GLOBAL__N_18offset_tEEE10hipError_tPvRmT1_PNSt15iterator_traitsISY_E10value_typeET2_T3_PNSZ_IS14_E10value_typeET4_jRbjT5_S1A_jjP12ihipStream_tbEUljE_EEESV_SW_SX_S14_S18_S1A_T6_T7_T9_mT8_S1C_bDpT10_ENKUlT_T0_E_clISt17integral_constantIbLb1EES1O_IbLb0EEEEDaS1K_S1L_EUlS1K_E_NS1_11comp_targetILNS1_3genE8ELNS1_11target_archE1030ELNS1_3gpuE2ELNS1_3repE0EEENS1_30default_config_static_selectorELNS0_4arch9wavefront6targetE1EEEvSY_,"axG",@progbits,_ZN7rocprim17ROCPRIM_400000_NS6detail17trampoline_kernelINS0_13select_configILj256ELj13ELNS0_17block_load_methodE3ELS4_3ELS4_3ELNS0_20block_scan_algorithmE0ELj4294967295EEENS1_25partition_config_selectorILNS1_17partition_subalgoE3EjNS0_10empty_typeEbEEZZNS1_14partition_implILS8_3ELb0ES6_jNS0_17counting_iteratorIjlEEPS9_SE_NS0_5tupleIJPjSE_EEENSF_IJSE_SE_EEES9_SG_JZNS1_25segmented_radix_sort_implINS0_14default_configELb0EPKaPaPKlPlN2at6native12_GLOBAL__N_18offset_tEEE10hipError_tPvRmT1_PNSt15iterator_traitsISY_E10value_typeET2_T3_PNSZ_IS14_E10value_typeET4_jRbjT5_S1A_jjP12ihipStream_tbEUljE_EEESV_SW_SX_S14_S18_S1A_T6_T7_T9_mT8_S1C_bDpT10_ENKUlT_T0_E_clISt17integral_constantIbLb1EES1O_IbLb0EEEEDaS1K_S1L_EUlS1K_E_NS1_11comp_targetILNS1_3genE8ELNS1_11target_archE1030ELNS1_3gpuE2ELNS1_3repE0EEENS1_30default_config_static_selectorELNS0_4arch9wavefront6targetE1EEEvSY_,comdat
.Lfunc_end384:
	.size	_ZN7rocprim17ROCPRIM_400000_NS6detail17trampoline_kernelINS0_13select_configILj256ELj13ELNS0_17block_load_methodE3ELS4_3ELS4_3ELNS0_20block_scan_algorithmE0ELj4294967295EEENS1_25partition_config_selectorILNS1_17partition_subalgoE3EjNS0_10empty_typeEbEEZZNS1_14partition_implILS8_3ELb0ES6_jNS0_17counting_iteratorIjlEEPS9_SE_NS0_5tupleIJPjSE_EEENSF_IJSE_SE_EEES9_SG_JZNS1_25segmented_radix_sort_implINS0_14default_configELb0EPKaPaPKlPlN2at6native12_GLOBAL__N_18offset_tEEE10hipError_tPvRmT1_PNSt15iterator_traitsISY_E10value_typeET2_T3_PNSZ_IS14_E10value_typeET4_jRbjT5_S1A_jjP12ihipStream_tbEUljE_EEESV_SW_SX_S14_S18_S1A_T6_T7_T9_mT8_S1C_bDpT10_ENKUlT_T0_E_clISt17integral_constantIbLb1EES1O_IbLb0EEEEDaS1K_S1L_EUlS1K_E_NS1_11comp_targetILNS1_3genE8ELNS1_11target_archE1030ELNS1_3gpuE2ELNS1_3repE0EEENS1_30default_config_static_selectorELNS0_4arch9wavefront6targetE1EEEvSY_, .Lfunc_end384-_ZN7rocprim17ROCPRIM_400000_NS6detail17trampoline_kernelINS0_13select_configILj256ELj13ELNS0_17block_load_methodE3ELS4_3ELS4_3ELNS0_20block_scan_algorithmE0ELj4294967295EEENS1_25partition_config_selectorILNS1_17partition_subalgoE3EjNS0_10empty_typeEbEEZZNS1_14partition_implILS8_3ELb0ES6_jNS0_17counting_iteratorIjlEEPS9_SE_NS0_5tupleIJPjSE_EEENSF_IJSE_SE_EEES9_SG_JZNS1_25segmented_radix_sort_implINS0_14default_configELb0EPKaPaPKlPlN2at6native12_GLOBAL__N_18offset_tEEE10hipError_tPvRmT1_PNSt15iterator_traitsISY_E10value_typeET2_T3_PNSZ_IS14_E10value_typeET4_jRbjT5_S1A_jjP12ihipStream_tbEUljE_EEESV_SW_SX_S14_S18_S1A_T6_T7_T9_mT8_S1C_bDpT10_ENKUlT_T0_E_clISt17integral_constantIbLb1EES1O_IbLb0EEEEDaS1K_S1L_EUlS1K_E_NS1_11comp_targetILNS1_3genE8ELNS1_11target_archE1030ELNS1_3gpuE2ELNS1_3repE0EEENS1_30default_config_static_selectorELNS0_4arch9wavefront6targetE1EEEvSY_
                                        ; -- End function
	.set _ZN7rocprim17ROCPRIM_400000_NS6detail17trampoline_kernelINS0_13select_configILj256ELj13ELNS0_17block_load_methodE3ELS4_3ELS4_3ELNS0_20block_scan_algorithmE0ELj4294967295EEENS1_25partition_config_selectorILNS1_17partition_subalgoE3EjNS0_10empty_typeEbEEZZNS1_14partition_implILS8_3ELb0ES6_jNS0_17counting_iteratorIjlEEPS9_SE_NS0_5tupleIJPjSE_EEENSF_IJSE_SE_EEES9_SG_JZNS1_25segmented_radix_sort_implINS0_14default_configELb0EPKaPaPKlPlN2at6native12_GLOBAL__N_18offset_tEEE10hipError_tPvRmT1_PNSt15iterator_traitsISY_E10value_typeET2_T3_PNSZ_IS14_E10value_typeET4_jRbjT5_S1A_jjP12ihipStream_tbEUljE_EEESV_SW_SX_S14_S18_S1A_T6_T7_T9_mT8_S1C_bDpT10_ENKUlT_T0_E_clISt17integral_constantIbLb1EES1O_IbLb0EEEEDaS1K_S1L_EUlS1K_E_NS1_11comp_targetILNS1_3genE8ELNS1_11target_archE1030ELNS1_3gpuE2ELNS1_3repE0EEENS1_30default_config_static_selectorELNS0_4arch9wavefront6targetE1EEEvSY_.num_vgpr, 0
	.set _ZN7rocprim17ROCPRIM_400000_NS6detail17trampoline_kernelINS0_13select_configILj256ELj13ELNS0_17block_load_methodE3ELS4_3ELS4_3ELNS0_20block_scan_algorithmE0ELj4294967295EEENS1_25partition_config_selectorILNS1_17partition_subalgoE3EjNS0_10empty_typeEbEEZZNS1_14partition_implILS8_3ELb0ES6_jNS0_17counting_iteratorIjlEEPS9_SE_NS0_5tupleIJPjSE_EEENSF_IJSE_SE_EEES9_SG_JZNS1_25segmented_radix_sort_implINS0_14default_configELb0EPKaPaPKlPlN2at6native12_GLOBAL__N_18offset_tEEE10hipError_tPvRmT1_PNSt15iterator_traitsISY_E10value_typeET2_T3_PNSZ_IS14_E10value_typeET4_jRbjT5_S1A_jjP12ihipStream_tbEUljE_EEESV_SW_SX_S14_S18_S1A_T6_T7_T9_mT8_S1C_bDpT10_ENKUlT_T0_E_clISt17integral_constantIbLb1EES1O_IbLb0EEEEDaS1K_S1L_EUlS1K_E_NS1_11comp_targetILNS1_3genE8ELNS1_11target_archE1030ELNS1_3gpuE2ELNS1_3repE0EEENS1_30default_config_static_selectorELNS0_4arch9wavefront6targetE1EEEvSY_.num_agpr, 0
	.set _ZN7rocprim17ROCPRIM_400000_NS6detail17trampoline_kernelINS0_13select_configILj256ELj13ELNS0_17block_load_methodE3ELS4_3ELS4_3ELNS0_20block_scan_algorithmE0ELj4294967295EEENS1_25partition_config_selectorILNS1_17partition_subalgoE3EjNS0_10empty_typeEbEEZZNS1_14partition_implILS8_3ELb0ES6_jNS0_17counting_iteratorIjlEEPS9_SE_NS0_5tupleIJPjSE_EEENSF_IJSE_SE_EEES9_SG_JZNS1_25segmented_radix_sort_implINS0_14default_configELb0EPKaPaPKlPlN2at6native12_GLOBAL__N_18offset_tEEE10hipError_tPvRmT1_PNSt15iterator_traitsISY_E10value_typeET2_T3_PNSZ_IS14_E10value_typeET4_jRbjT5_S1A_jjP12ihipStream_tbEUljE_EEESV_SW_SX_S14_S18_S1A_T6_T7_T9_mT8_S1C_bDpT10_ENKUlT_T0_E_clISt17integral_constantIbLb1EES1O_IbLb0EEEEDaS1K_S1L_EUlS1K_E_NS1_11comp_targetILNS1_3genE8ELNS1_11target_archE1030ELNS1_3gpuE2ELNS1_3repE0EEENS1_30default_config_static_selectorELNS0_4arch9wavefront6targetE1EEEvSY_.numbered_sgpr, 0
	.set _ZN7rocprim17ROCPRIM_400000_NS6detail17trampoline_kernelINS0_13select_configILj256ELj13ELNS0_17block_load_methodE3ELS4_3ELS4_3ELNS0_20block_scan_algorithmE0ELj4294967295EEENS1_25partition_config_selectorILNS1_17partition_subalgoE3EjNS0_10empty_typeEbEEZZNS1_14partition_implILS8_3ELb0ES6_jNS0_17counting_iteratorIjlEEPS9_SE_NS0_5tupleIJPjSE_EEENSF_IJSE_SE_EEES9_SG_JZNS1_25segmented_radix_sort_implINS0_14default_configELb0EPKaPaPKlPlN2at6native12_GLOBAL__N_18offset_tEEE10hipError_tPvRmT1_PNSt15iterator_traitsISY_E10value_typeET2_T3_PNSZ_IS14_E10value_typeET4_jRbjT5_S1A_jjP12ihipStream_tbEUljE_EEESV_SW_SX_S14_S18_S1A_T6_T7_T9_mT8_S1C_bDpT10_ENKUlT_T0_E_clISt17integral_constantIbLb1EES1O_IbLb0EEEEDaS1K_S1L_EUlS1K_E_NS1_11comp_targetILNS1_3genE8ELNS1_11target_archE1030ELNS1_3gpuE2ELNS1_3repE0EEENS1_30default_config_static_selectorELNS0_4arch9wavefront6targetE1EEEvSY_.num_named_barrier, 0
	.set _ZN7rocprim17ROCPRIM_400000_NS6detail17trampoline_kernelINS0_13select_configILj256ELj13ELNS0_17block_load_methodE3ELS4_3ELS4_3ELNS0_20block_scan_algorithmE0ELj4294967295EEENS1_25partition_config_selectorILNS1_17partition_subalgoE3EjNS0_10empty_typeEbEEZZNS1_14partition_implILS8_3ELb0ES6_jNS0_17counting_iteratorIjlEEPS9_SE_NS0_5tupleIJPjSE_EEENSF_IJSE_SE_EEES9_SG_JZNS1_25segmented_radix_sort_implINS0_14default_configELb0EPKaPaPKlPlN2at6native12_GLOBAL__N_18offset_tEEE10hipError_tPvRmT1_PNSt15iterator_traitsISY_E10value_typeET2_T3_PNSZ_IS14_E10value_typeET4_jRbjT5_S1A_jjP12ihipStream_tbEUljE_EEESV_SW_SX_S14_S18_S1A_T6_T7_T9_mT8_S1C_bDpT10_ENKUlT_T0_E_clISt17integral_constantIbLb1EES1O_IbLb0EEEEDaS1K_S1L_EUlS1K_E_NS1_11comp_targetILNS1_3genE8ELNS1_11target_archE1030ELNS1_3gpuE2ELNS1_3repE0EEENS1_30default_config_static_selectorELNS0_4arch9wavefront6targetE1EEEvSY_.private_seg_size, 0
	.set _ZN7rocprim17ROCPRIM_400000_NS6detail17trampoline_kernelINS0_13select_configILj256ELj13ELNS0_17block_load_methodE3ELS4_3ELS4_3ELNS0_20block_scan_algorithmE0ELj4294967295EEENS1_25partition_config_selectorILNS1_17partition_subalgoE3EjNS0_10empty_typeEbEEZZNS1_14partition_implILS8_3ELb0ES6_jNS0_17counting_iteratorIjlEEPS9_SE_NS0_5tupleIJPjSE_EEENSF_IJSE_SE_EEES9_SG_JZNS1_25segmented_radix_sort_implINS0_14default_configELb0EPKaPaPKlPlN2at6native12_GLOBAL__N_18offset_tEEE10hipError_tPvRmT1_PNSt15iterator_traitsISY_E10value_typeET2_T3_PNSZ_IS14_E10value_typeET4_jRbjT5_S1A_jjP12ihipStream_tbEUljE_EEESV_SW_SX_S14_S18_S1A_T6_T7_T9_mT8_S1C_bDpT10_ENKUlT_T0_E_clISt17integral_constantIbLb1EES1O_IbLb0EEEEDaS1K_S1L_EUlS1K_E_NS1_11comp_targetILNS1_3genE8ELNS1_11target_archE1030ELNS1_3gpuE2ELNS1_3repE0EEENS1_30default_config_static_selectorELNS0_4arch9wavefront6targetE1EEEvSY_.uses_vcc, 0
	.set _ZN7rocprim17ROCPRIM_400000_NS6detail17trampoline_kernelINS0_13select_configILj256ELj13ELNS0_17block_load_methodE3ELS4_3ELS4_3ELNS0_20block_scan_algorithmE0ELj4294967295EEENS1_25partition_config_selectorILNS1_17partition_subalgoE3EjNS0_10empty_typeEbEEZZNS1_14partition_implILS8_3ELb0ES6_jNS0_17counting_iteratorIjlEEPS9_SE_NS0_5tupleIJPjSE_EEENSF_IJSE_SE_EEES9_SG_JZNS1_25segmented_radix_sort_implINS0_14default_configELb0EPKaPaPKlPlN2at6native12_GLOBAL__N_18offset_tEEE10hipError_tPvRmT1_PNSt15iterator_traitsISY_E10value_typeET2_T3_PNSZ_IS14_E10value_typeET4_jRbjT5_S1A_jjP12ihipStream_tbEUljE_EEESV_SW_SX_S14_S18_S1A_T6_T7_T9_mT8_S1C_bDpT10_ENKUlT_T0_E_clISt17integral_constantIbLb1EES1O_IbLb0EEEEDaS1K_S1L_EUlS1K_E_NS1_11comp_targetILNS1_3genE8ELNS1_11target_archE1030ELNS1_3gpuE2ELNS1_3repE0EEENS1_30default_config_static_selectorELNS0_4arch9wavefront6targetE1EEEvSY_.uses_flat_scratch, 0
	.set _ZN7rocprim17ROCPRIM_400000_NS6detail17trampoline_kernelINS0_13select_configILj256ELj13ELNS0_17block_load_methodE3ELS4_3ELS4_3ELNS0_20block_scan_algorithmE0ELj4294967295EEENS1_25partition_config_selectorILNS1_17partition_subalgoE3EjNS0_10empty_typeEbEEZZNS1_14partition_implILS8_3ELb0ES6_jNS0_17counting_iteratorIjlEEPS9_SE_NS0_5tupleIJPjSE_EEENSF_IJSE_SE_EEES9_SG_JZNS1_25segmented_radix_sort_implINS0_14default_configELb0EPKaPaPKlPlN2at6native12_GLOBAL__N_18offset_tEEE10hipError_tPvRmT1_PNSt15iterator_traitsISY_E10value_typeET2_T3_PNSZ_IS14_E10value_typeET4_jRbjT5_S1A_jjP12ihipStream_tbEUljE_EEESV_SW_SX_S14_S18_S1A_T6_T7_T9_mT8_S1C_bDpT10_ENKUlT_T0_E_clISt17integral_constantIbLb1EES1O_IbLb0EEEEDaS1K_S1L_EUlS1K_E_NS1_11comp_targetILNS1_3genE8ELNS1_11target_archE1030ELNS1_3gpuE2ELNS1_3repE0EEENS1_30default_config_static_selectorELNS0_4arch9wavefront6targetE1EEEvSY_.has_dyn_sized_stack, 0
	.set _ZN7rocprim17ROCPRIM_400000_NS6detail17trampoline_kernelINS0_13select_configILj256ELj13ELNS0_17block_load_methodE3ELS4_3ELS4_3ELNS0_20block_scan_algorithmE0ELj4294967295EEENS1_25partition_config_selectorILNS1_17partition_subalgoE3EjNS0_10empty_typeEbEEZZNS1_14partition_implILS8_3ELb0ES6_jNS0_17counting_iteratorIjlEEPS9_SE_NS0_5tupleIJPjSE_EEENSF_IJSE_SE_EEES9_SG_JZNS1_25segmented_radix_sort_implINS0_14default_configELb0EPKaPaPKlPlN2at6native12_GLOBAL__N_18offset_tEEE10hipError_tPvRmT1_PNSt15iterator_traitsISY_E10value_typeET2_T3_PNSZ_IS14_E10value_typeET4_jRbjT5_S1A_jjP12ihipStream_tbEUljE_EEESV_SW_SX_S14_S18_S1A_T6_T7_T9_mT8_S1C_bDpT10_ENKUlT_T0_E_clISt17integral_constantIbLb1EES1O_IbLb0EEEEDaS1K_S1L_EUlS1K_E_NS1_11comp_targetILNS1_3genE8ELNS1_11target_archE1030ELNS1_3gpuE2ELNS1_3repE0EEENS1_30default_config_static_selectorELNS0_4arch9wavefront6targetE1EEEvSY_.has_recursion, 0
	.set _ZN7rocprim17ROCPRIM_400000_NS6detail17trampoline_kernelINS0_13select_configILj256ELj13ELNS0_17block_load_methodE3ELS4_3ELS4_3ELNS0_20block_scan_algorithmE0ELj4294967295EEENS1_25partition_config_selectorILNS1_17partition_subalgoE3EjNS0_10empty_typeEbEEZZNS1_14partition_implILS8_3ELb0ES6_jNS0_17counting_iteratorIjlEEPS9_SE_NS0_5tupleIJPjSE_EEENSF_IJSE_SE_EEES9_SG_JZNS1_25segmented_radix_sort_implINS0_14default_configELb0EPKaPaPKlPlN2at6native12_GLOBAL__N_18offset_tEEE10hipError_tPvRmT1_PNSt15iterator_traitsISY_E10value_typeET2_T3_PNSZ_IS14_E10value_typeET4_jRbjT5_S1A_jjP12ihipStream_tbEUljE_EEESV_SW_SX_S14_S18_S1A_T6_T7_T9_mT8_S1C_bDpT10_ENKUlT_T0_E_clISt17integral_constantIbLb1EES1O_IbLb0EEEEDaS1K_S1L_EUlS1K_E_NS1_11comp_targetILNS1_3genE8ELNS1_11target_archE1030ELNS1_3gpuE2ELNS1_3repE0EEENS1_30default_config_static_selectorELNS0_4arch9wavefront6targetE1EEEvSY_.has_indirect_call, 0
	.section	.AMDGPU.csdata,"",@progbits
; Kernel info:
; codeLenInByte = 0
; TotalNumSgprs: 4
; NumVgprs: 0
; ScratchSize: 0
; MemoryBound: 0
; FloatMode: 240
; IeeeMode: 1
; LDSByteSize: 0 bytes/workgroup (compile time only)
; SGPRBlocks: 0
; VGPRBlocks: 0
; NumSGPRsForWavesPerEU: 4
; NumVGPRsForWavesPerEU: 1
; Occupancy: 10
; WaveLimiterHint : 0
; COMPUTE_PGM_RSRC2:SCRATCH_EN: 0
; COMPUTE_PGM_RSRC2:USER_SGPR: 6
; COMPUTE_PGM_RSRC2:TRAP_HANDLER: 0
; COMPUTE_PGM_RSRC2:TGID_X_EN: 1
; COMPUTE_PGM_RSRC2:TGID_Y_EN: 0
; COMPUTE_PGM_RSRC2:TGID_Z_EN: 0
; COMPUTE_PGM_RSRC2:TIDIG_COMP_CNT: 0
	.section	.text._ZN7rocprim17ROCPRIM_400000_NS6detail17trampoline_kernelINS0_13select_configILj256ELj13ELNS0_17block_load_methodE3ELS4_3ELS4_3ELNS0_20block_scan_algorithmE0ELj4294967295EEENS1_25partition_config_selectorILNS1_17partition_subalgoE3EjNS0_10empty_typeEbEEZZNS1_14partition_implILS8_3ELb0ES6_jNS0_17counting_iteratorIjlEEPS9_SE_NS0_5tupleIJPjSE_EEENSF_IJSE_SE_EEES9_SG_JZNS1_25segmented_radix_sort_implINS0_14default_configELb0EPKaPaPKlPlN2at6native12_GLOBAL__N_18offset_tEEE10hipError_tPvRmT1_PNSt15iterator_traitsISY_E10value_typeET2_T3_PNSZ_IS14_E10value_typeET4_jRbjT5_S1A_jjP12ihipStream_tbEUljE_EEESV_SW_SX_S14_S18_S1A_T6_T7_T9_mT8_S1C_bDpT10_ENKUlT_T0_E_clISt17integral_constantIbLb0EES1O_IbLb1EEEEDaS1K_S1L_EUlS1K_E_NS1_11comp_targetILNS1_3genE0ELNS1_11target_archE4294967295ELNS1_3gpuE0ELNS1_3repE0EEENS1_30default_config_static_selectorELNS0_4arch9wavefront6targetE1EEEvSY_,"axG",@progbits,_ZN7rocprim17ROCPRIM_400000_NS6detail17trampoline_kernelINS0_13select_configILj256ELj13ELNS0_17block_load_methodE3ELS4_3ELS4_3ELNS0_20block_scan_algorithmE0ELj4294967295EEENS1_25partition_config_selectorILNS1_17partition_subalgoE3EjNS0_10empty_typeEbEEZZNS1_14partition_implILS8_3ELb0ES6_jNS0_17counting_iteratorIjlEEPS9_SE_NS0_5tupleIJPjSE_EEENSF_IJSE_SE_EEES9_SG_JZNS1_25segmented_radix_sort_implINS0_14default_configELb0EPKaPaPKlPlN2at6native12_GLOBAL__N_18offset_tEEE10hipError_tPvRmT1_PNSt15iterator_traitsISY_E10value_typeET2_T3_PNSZ_IS14_E10value_typeET4_jRbjT5_S1A_jjP12ihipStream_tbEUljE_EEESV_SW_SX_S14_S18_S1A_T6_T7_T9_mT8_S1C_bDpT10_ENKUlT_T0_E_clISt17integral_constantIbLb0EES1O_IbLb1EEEEDaS1K_S1L_EUlS1K_E_NS1_11comp_targetILNS1_3genE0ELNS1_11target_archE4294967295ELNS1_3gpuE0ELNS1_3repE0EEENS1_30default_config_static_selectorELNS0_4arch9wavefront6targetE1EEEvSY_,comdat
	.globl	_ZN7rocprim17ROCPRIM_400000_NS6detail17trampoline_kernelINS0_13select_configILj256ELj13ELNS0_17block_load_methodE3ELS4_3ELS4_3ELNS0_20block_scan_algorithmE0ELj4294967295EEENS1_25partition_config_selectorILNS1_17partition_subalgoE3EjNS0_10empty_typeEbEEZZNS1_14partition_implILS8_3ELb0ES6_jNS0_17counting_iteratorIjlEEPS9_SE_NS0_5tupleIJPjSE_EEENSF_IJSE_SE_EEES9_SG_JZNS1_25segmented_radix_sort_implINS0_14default_configELb0EPKaPaPKlPlN2at6native12_GLOBAL__N_18offset_tEEE10hipError_tPvRmT1_PNSt15iterator_traitsISY_E10value_typeET2_T3_PNSZ_IS14_E10value_typeET4_jRbjT5_S1A_jjP12ihipStream_tbEUljE_EEESV_SW_SX_S14_S18_S1A_T6_T7_T9_mT8_S1C_bDpT10_ENKUlT_T0_E_clISt17integral_constantIbLb0EES1O_IbLb1EEEEDaS1K_S1L_EUlS1K_E_NS1_11comp_targetILNS1_3genE0ELNS1_11target_archE4294967295ELNS1_3gpuE0ELNS1_3repE0EEENS1_30default_config_static_selectorELNS0_4arch9wavefront6targetE1EEEvSY_ ; -- Begin function _ZN7rocprim17ROCPRIM_400000_NS6detail17trampoline_kernelINS0_13select_configILj256ELj13ELNS0_17block_load_methodE3ELS4_3ELS4_3ELNS0_20block_scan_algorithmE0ELj4294967295EEENS1_25partition_config_selectorILNS1_17partition_subalgoE3EjNS0_10empty_typeEbEEZZNS1_14partition_implILS8_3ELb0ES6_jNS0_17counting_iteratorIjlEEPS9_SE_NS0_5tupleIJPjSE_EEENSF_IJSE_SE_EEES9_SG_JZNS1_25segmented_radix_sort_implINS0_14default_configELb0EPKaPaPKlPlN2at6native12_GLOBAL__N_18offset_tEEE10hipError_tPvRmT1_PNSt15iterator_traitsISY_E10value_typeET2_T3_PNSZ_IS14_E10value_typeET4_jRbjT5_S1A_jjP12ihipStream_tbEUljE_EEESV_SW_SX_S14_S18_S1A_T6_T7_T9_mT8_S1C_bDpT10_ENKUlT_T0_E_clISt17integral_constantIbLb0EES1O_IbLb1EEEEDaS1K_S1L_EUlS1K_E_NS1_11comp_targetILNS1_3genE0ELNS1_11target_archE4294967295ELNS1_3gpuE0ELNS1_3repE0EEENS1_30default_config_static_selectorELNS0_4arch9wavefront6targetE1EEEvSY_
	.p2align	8
	.type	_ZN7rocprim17ROCPRIM_400000_NS6detail17trampoline_kernelINS0_13select_configILj256ELj13ELNS0_17block_load_methodE3ELS4_3ELS4_3ELNS0_20block_scan_algorithmE0ELj4294967295EEENS1_25partition_config_selectorILNS1_17partition_subalgoE3EjNS0_10empty_typeEbEEZZNS1_14partition_implILS8_3ELb0ES6_jNS0_17counting_iteratorIjlEEPS9_SE_NS0_5tupleIJPjSE_EEENSF_IJSE_SE_EEES9_SG_JZNS1_25segmented_radix_sort_implINS0_14default_configELb0EPKaPaPKlPlN2at6native12_GLOBAL__N_18offset_tEEE10hipError_tPvRmT1_PNSt15iterator_traitsISY_E10value_typeET2_T3_PNSZ_IS14_E10value_typeET4_jRbjT5_S1A_jjP12ihipStream_tbEUljE_EEESV_SW_SX_S14_S18_S1A_T6_T7_T9_mT8_S1C_bDpT10_ENKUlT_T0_E_clISt17integral_constantIbLb0EES1O_IbLb1EEEEDaS1K_S1L_EUlS1K_E_NS1_11comp_targetILNS1_3genE0ELNS1_11target_archE4294967295ELNS1_3gpuE0ELNS1_3repE0EEENS1_30default_config_static_selectorELNS0_4arch9wavefront6targetE1EEEvSY_,@function
_ZN7rocprim17ROCPRIM_400000_NS6detail17trampoline_kernelINS0_13select_configILj256ELj13ELNS0_17block_load_methodE3ELS4_3ELS4_3ELNS0_20block_scan_algorithmE0ELj4294967295EEENS1_25partition_config_selectorILNS1_17partition_subalgoE3EjNS0_10empty_typeEbEEZZNS1_14partition_implILS8_3ELb0ES6_jNS0_17counting_iteratorIjlEEPS9_SE_NS0_5tupleIJPjSE_EEENSF_IJSE_SE_EEES9_SG_JZNS1_25segmented_radix_sort_implINS0_14default_configELb0EPKaPaPKlPlN2at6native12_GLOBAL__N_18offset_tEEE10hipError_tPvRmT1_PNSt15iterator_traitsISY_E10value_typeET2_T3_PNSZ_IS14_E10value_typeET4_jRbjT5_S1A_jjP12ihipStream_tbEUljE_EEESV_SW_SX_S14_S18_S1A_T6_T7_T9_mT8_S1C_bDpT10_ENKUlT_T0_E_clISt17integral_constantIbLb0EES1O_IbLb1EEEEDaS1K_S1L_EUlS1K_E_NS1_11comp_targetILNS1_3genE0ELNS1_11target_archE4294967295ELNS1_3gpuE0ELNS1_3repE0EEENS1_30default_config_static_selectorELNS0_4arch9wavefront6targetE1EEEvSY_: ; @_ZN7rocprim17ROCPRIM_400000_NS6detail17trampoline_kernelINS0_13select_configILj256ELj13ELNS0_17block_load_methodE3ELS4_3ELS4_3ELNS0_20block_scan_algorithmE0ELj4294967295EEENS1_25partition_config_selectorILNS1_17partition_subalgoE3EjNS0_10empty_typeEbEEZZNS1_14partition_implILS8_3ELb0ES6_jNS0_17counting_iteratorIjlEEPS9_SE_NS0_5tupleIJPjSE_EEENSF_IJSE_SE_EEES9_SG_JZNS1_25segmented_radix_sort_implINS0_14default_configELb0EPKaPaPKlPlN2at6native12_GLOBAL__N_18offset_tEEE10hipError_tPvRmT1_PNSt15iterator_traitsISY_E10value_typeET2_T3_PNSZ_IS14_E10value_typeET4_jRbjT5_S1A_jjP12ihipStream_tbEUljE_EEESV_SW_SX_S14_S18_S1A_T6_T7_T9_mT8_S1C_bDpT10_ENKUlT_T0_E_clISt17integral_constantIbLb0EES1O_IbLb1EEEEDaS1K_S1L_EUlS1K_E_NS1_11comp_targetILNS1_3genE0ELNS1_11target_archE4294967295ELNS1_3gpuE0ELNS1_3repE0EEENS1_30default_config_static_selectorELNS0_4arch9wavefront6targetE1EEEvSY_
; %bb.0:
	.section	.rodata,"a",@progbits
	.p2align	6, 0x0
	.amdhsa_kernel _ZN7rocprim17ROCPRIM_400000_NS6detail17trampoline_kernelINS0_13select_configILj256ELj13ELNS0_17block_load_methodE3ELS4_3ELS4_3ELNS0_20block_scan_algorithmE0ELj4294967295EEENS1_25partition_config_selectorILNS1_17partition_subalgoE3EjNS0_10empty_typeEbEEZZNS1_14partition_implILS8_3ELb0ES6_jNS0_17counting_iteratorIjlEEPS9_SE_NS0_5tupleIJPjSE_EEENSF_IJSE_SE_EEES9_SG_JZNS1_25segmented_radix_sort_implINS0_14default_configELb0EPKaPaPKlPlN2at6native12_GLOBAL__N_18offset_tEEE10hipError_tPvRmT1_PNSt15iterator_traitsISY_E10value_typeET2_T3_PNSZ_IS14_E10value_typeET4_jRbjT5_S1A_jjP12ihipStream_tbEUljE_EEESV_SW_SX_S14_S18_S1A_T6_T7_T9_mT8_S1C_bDpT10_ENKUlT_T0_E_clISt17integral_constantIbLb0EES1O_IbLb1EEEEDaS1K_S1L_EUlS1K_E_NS1_11comp_targetILNS1_3genE0ELNS1_11target_archE4294967295ELNS1_3gpuE0ELNS1_3repE0EEENS1_30default_config_static_selectorELNS0_4arch9wavefront6targetE1EEEvSY_
		.amdhsa_group_segment_fixed_size 0
		.amdhsa_private_segment_fixed_size 0
		.amdhsa_kernarg_size 152
		.amdhsa_user_sgpr_count 6
		.amdhsa_user_sgpr_private_segment_buffer 1
		.amdhsa_user_sgpr_dispatch_ptr 0
		.amdhsa_user_sgpr_queue_ptr 0
		.amdhsa_user_sgpr_kernarg_segment_ptr 1
		.amdhsa_user_sgpr_dispatch_id 0
		.amdhsa_user_sgpr_flat_scratch_init 0
		.amdhsa_user_sgpr_private_segment_size 0
		.amdhsa_uses_dynamic_stack 0
		.amdhsa_system_sgpr_private_segment_wavefront_offset 0
		.amdhsa_system_sgpr_workgroup_id_x 1
		.amdhsa_system_sgpr_workgroup_id_y 0
		.amdhsa_system_sgpr_workgroup_id_z 0
		.amdhsa_system_sgpr_workgroup_info 0
		.amdhsa_system_vgpr_workitem_id 0
		.amdhsa_next_free_vgpr 1
		.amdhsa_next_free_sgpr 0
		.amdhsa_reserve_vcc 0
		.amdhsa_reserve_flat_scratch 0
		.amdhsa_float_round_mode_32 0
		.amdhsa_float_round_mode_16_64 0
		.amdhsa_float_denorm_mode_32 3
		.amdhsa_float_denorm_mode_16_64 3
		.amdhsa_dx10_clamp 1
		.amdhsa_ieee_mode 1
		.amdhsa_fp16_overflow 0
		.amdhsa_exception_fp_ieee_invalid_op 0
		.amdhsa_exception_fp_denorm_src 0
		.amdhsa_exception_fp_ieee_div_zero 0
		.amdhsa_exception_fp_ieee_overflow 0
		.amdhsa_exception_fp_ieee_underflow 0
		.amdhsa_exception_fp_ieee_inexact 0
		.amdhsa_exception_int_div_zero 0
	.end_amdhsa_kernel
	.section	.text._ZN7rocprim17ROCPRIM_400000_NS6detail17trampoline_kernelINS0_13select_configILj256ELj13ELNS0_17block_load_methodE3ELS4_3ELS4_3ELNS0_20block_scan_algorithmE0ELj4294967295EEENS1_25partition_config_selectorILNS1_17partition_subalgoE3EjNS0_10empty_typeEbEEZZNS1_14partition_implILS8_3ELb0ES6_jNS0_17counting_iteratorIjlEEPS9_SE_NS0_5tupleIJPjSE_EEENSF_IJSE_SE_EEES9_SG_JZNS1_25segmented_radix_sort_implINS0_14default_configELb0EPKaPaPKlPlN2at6native12_GLOBAL__N_18offset_tEEE10hipError_tPvRmT1_PNSt15iterator_traitsISY_E10value_typeET2_T3_PNSZ_IS14_E10value_typeET4_jRbjT5_S1A_jjP12ihipStream_tbEUljE_EEESV_SW_SX_S14_S18_S1A_T6_T7_T9_mT8_S1C_bDpT10_ENKUlT_T0_E_clISt17integral_constantIbLb0EES1O_IbLb1EEEEDaS1K_S1L_EUlS1K_E_NS1_11comp_targetILNS1_3genE0ELNS1_11target_archE4294967295ELNS1_3gpuE0ELNS1_3repE0EEENS1_30default_config_static_selectorELNS0_4arch9wavefront6targetE1EEEvSY_,"axG",@progbits,_ZN7rocprim17ROCPRIM_400000_NS6detail17trampoline_kernelINS0_13select_configILj256ELj13ELNS0_17block_load_methodE3ELS4_3ELS4_3ELNS0_20block_scan_algorithmE0ELj4294967295EEENS1_25partition_config_selectorILNS1_17partition_subalgoE3EjNS0_10empty_typeEbEEZZNS1_14partition_implILS8_3ELb0ES6_jNS0_17counting_iteratorIjlEEPS9_SE_NS0_5tupleIJPjSE_EEENSF_IJSE_SE_EEES9_SG_JZNS1_25segmented_radix_sort_implINS0_14default_configELb0EPKaPaPKlPlN2at6native12_GLOBAL__N_18offset_tEEE10hipError_tPvRmT1_PNSt15iterator_traitsISY_E10value_typeET2_T3_PNSZ_IS14_E10value_typeET4_jRbjT5_S1A_jjP12ihipStream_tbEUljE_EEESV_SW_SX_S14_S18_S1A_T6_T7_T9_mT8_S1C_bDpT10_ENKUlT_T0_E_clISt17integral_constantIbLb0EES1O_IbLb1EEEEDaS1K_S1L_EUlS1K_E_NS1_11comp_targetILNS1_3genE0ELNS1_11target_archE4294967295ELNS1_3gpuE0ELNS1_3repE0EEENS1_30default_config_static_selectorELNS0_4arch9wavefront6targetE1EEEvSY_,comdat
.Lfunc_end385:
	.size	_ZN7rocprim17ROCPRIM_400000_NS6detail17trampoline_kernelINS0_13select_configILj256ELj13ELNS0_17block_load_methodE3ELS4_3ELS4_3ELNS0_20block_scan_algorithmE0ELj4294967295EEENS1_25partition_config_selectorILNS1_17partition_subalgoE3EjNS0_10empty_typeEbEEZZNS1_14partition_implILS8_3ELb0ES6_jNS0_17counting_iteratorIjlEEPS9_SE_NS0_5tupleIJPjSE_EEENSF_IJSE_SE_EEES9_SG_JZNS1_25segmented_radix_sort_implINS0_14default_configELb0EPKaPaPKlPlN2at6native12_GLOBAL__N_18offset_tEEE10hipError_tPvRmT1_PNSt15iterator_traitsISY_E10value_typeET2_T3_PNSZ_IS14_E10value_typeET4_jRbjT5_S1A_jjP12ihipStream_tbEUljE_EEESV_SW_SX_S14_S18_S1A_T6_T7_T9_mT8_S1C_bDpT10_ENKUlT_T0_E_clISt17integral_constantIbLb0EES1O_IbLb1EEEEDaS1K_S1L_EUlS1K_E_NS1_11comp_targetILNS1_3genE0ELNS1_11target_archE4294967295ELNS1_3gpuE0ELNS1_3repE0EEENS1_30default_config_static_selectorELNS0_4arch9wavefront6targetE1EEEvSY_, .Lfunc_end385-_ZN7rocprim17ROCPRIM_400000_NS6detail17trampoline_kernelINS0_13select_configILj256ELj13ELNS0_17block_load_methodE3ELS4_3ELS4_3ELNS0_20block_scan_algorithmE0ELj4294967295EEENS1_25partition_config_selectorILNS1_17partition_subalgoE3EjNS0_10empty_typeEbEEZZNS1_14partition_implILS8_3ELb0ES6_jNS0_17counting_iteratorIjlEEPS9_SE_NS0_5tupleIJPjSE_EEENSF_IJSE_SE_EEES9_SG_JZNS1_25segmented_radix_sort_implINS0_14default_configELb0EPKaPaPKlPlN2at6native12_GLOBAL__N_18offset_tEEE10hipError_tPvRmT1_PNSt15iterator_traitsISY_E10value_typeET2_T3_PNSZ_IS14_E10value_typeET4_jRbjT5_S1A_jjP12ihipStream_tbEUljE_EEESV_SW_SX_S14_S18_S1A_T6_T7_T9_mT8_S1C_bDpT10_ENKUlT_T0_E_clISt17integral_constantIbLb0EES1O_IbLb1EEEEDaS1K_S1L_EUlS1K_E_NS1_11comp_targetILNS1_3genE0ELNS1_11target_archE4294967295ELNS1_3gpuE0ELNS1_3repE0EEENS1_30default_config_static_selectorELNS0_4arch9wavefront6targetE1EEEvSY_
                                        ; -- End function
	.set _ZN7rocprim17ROCPRIM_400000_NS6detail17trampoline_kernelINS0_13select_configILj256ELj13ELNS0_17block_load_methodE3ELS4_3ELS4_3ELNS0_20block_scan_algorithmE0ELj4294967295EEENS1_25partition_config_selectorILNS1_17partition_subalgoE3EjNS0_10empty_typeEbEEZZNS1_14partition_implILS8_3ELb0ES6_jNS0_17counting_iteratorIjlEEPS9_SE_NS0_5tupleIJPjSE_EEENSF_IJSE_SE_EEES9_SG_JZNS1_25segmented_radix_sort_implINS0_14default_configELb0EPKaPaPKlPlN2at6native12_GLOBAL__N_18offset_tEEE10hipError_tPvRmT1_PNSt15iterator_traitsISY_E10value_typeET2_T3_PNSZ_IS14_E10value_typeET4_jRbjT5_S1A_jjP12ihipStream_tbEUljE_EEESV_SW_SX_S14_S18_S1A_T6_T7_T9_mT8_S1C_bDpT10_ENKUlT_T0_E_clISt17integral_constantIbLb0EES1O_IbLb1EEEEDaS1K_S1L_EUlS1K_E_NS1_11comp_targetILNS1_3genE0ELNS1_11target_archE4294967295ELNS1_3gpuE0ELNS1_3repE0EEENS1_30default_config_static_selectorELNS0_4arch9wavefront6targetE1EEEvSY_.num_vgpr, 0
	.set _ZN7rocprim17ROCPRIM_400000_NS6detail17trampoline_kernelINS0_13select_configILj256ELj13ELNS0_17block_load_methodE3ELS4_3ELS4_3ELNS0_20block_scan_algorithmE0ELj4294967295EEENS1_25partition_config_selectorILNS1_17partition_subalgoE3EjNS0_10empty_typeEbEEZZNS1_14partition_implILS8_3ELb0ES6_jNS0_17counting_iteratorIjlEEPS9_SE_NS0_5tupleIJPjSE_EEENSF_IJSE_SE_EEES9_SG_JZNS1_25segmented_radix_sort_implINS0_14default_configELb0EPKaPaPKlPlN2at6native12_GLOBAL__N_18offset_tEEE10hipError_tPvRmT1_PNSt15iterator_traitsISY_E10value_typeET2_T3_PNSZ_IS14_E10value_typeET4_jRbjT5_S1A_jjP12ihipStream_tbEUljE_EEESV_SW_SX_S14_S18_S1A_T6_T7_T9_mT8_S1C_bDpT10_ENKUlT_T0_E_clISt17integral_constantIbLb0EES1O_IbLb1EEEEDaS1K_S1L_EUlS1K_E_NS1_11comp_targetILNS1_3genE0ELNS1_11target_archE4294967295ELNS1_3gpuE0ELNS1_3repE0EEENS1_30default_config_static_selectorELNS0_4arch9wavefront6targetE1EEEvSY_.num_agpr, 0
	.set _ZN7rocprim17ROCPRIM_400000_NS6detail17trampoline_kernelINS0_13select_configILj256ELj13ELNS0_17block_load_methodE3ELS4_3ELS4_3ELNS0_20block_scan_algorithmE0ELj4294967295EEENS1_25partition_config_selectorILNS1_17partition_subalgoE3EjNS0_10empty_typeEbEEZZNS1_14partition_implILS8_3ELb0ES6_jNS0_17counting_iteratorIjlEEPS9_SE_NS0_5tupleIJPjSE_EEENSF_IJSE_SE_EEES9_SG_JZNS1_25segmented_radix_sort_implINS0_14default_configELb0EPKaPaPKlPlN2at6native12_GLOBAL__N_18offset_tEEE10hipError_tPvRmT1_PNSt15iterator_traitsISY_E10value_typeET2_T3_PNSZ_IS14_E10value_typeET4_jRbjT5_S1A_jjP12ihipStream_tbEUljE_EEESV_SW_SX_S14_S18_S1A_T6_T7_T9_mT8_S1C_bDpT10_ENKUlT_T0_E_clISt17integral_constantIbLb0EES1O_IbLb1EEEEDaS1K_S1L_EUlS1K_E_NS1_11comp_targetILNS1_3genE0ELNS1_11target_archE4294967295ELNS1_3gpuE0ELNS1_3repE0EEENS1_30default_config_static_selectorELNS0_4arch9wavefront6targetE1EEEvSY_.numbered_sgpr, 0
	.set _ZN7rocprim17ROCPRIM_400000_NS6detail17trampoline_kernelINS0_13select_configILj256ELj13ELNS0_17block_load_methodE3ELS4_3ELS4_3ELNS0_20block_scan_algorithmE0ELj4294967295EEENS1_25partition_config_selectorILNS1_17partition_subalgoE3EjNS0_10empty_typeEbEEZZNS1_14partition_implILS8_3ELb0ES6_jNS0_17counting_iteratorIjlEEPS9_SE_NS0_5tupleIJPjSE_EEENSF_IJSE_SE_EEES9_SG_JZNS1_25segmented_radix_sort_implINS0_14default_configELb0EPKaPaPKlPlN2at6native12_GLOBAL__N_18offset_tEEE10hipError_tPvRmT1_PNSt15iterator_traitsISY_E10value_typeET2_T3_PNSZ_IS14_E10value_typeET4_jRbjT5_S1A_jjP12ihipStream_tbEUljE_EEESV_SW_SX_S14_S18_S1A_T6_T7_T9_mT8_S1C_bDpT10_ENKUlT_T0_E_clISt17integral_constantIbLb0EES1O_IbLb1EEEEDaS1K_S1L_EUlS1K_E_NS1_11comp_targetILNS1_3genE0ELNS1_11target_archE4294967295ELNS1_3gpuE0ELNS1_3repE0EEENS1_30default_config_static_selectorELNS0_4arch9wavefront6targetE1EEEvSY_.num_named_barrier, 0
	.set _ZN7rocprim17ROCPRIM_400000_NS6detail17trampoline_kernelINS0_13select_configILj256ELj13ELNS0_17block_load_methodE3ELS4_3ELS4_3ELNS0_20block_scan_algorithmE0ELj4294967295EEENS1_25partition_config_selectorILNS1_17partition_subalgoE3EjNS0_10empty_typeEbEEZZNS1_14partition_implILS8_3ELb0ES6_jNS0_17counting_iteratorIjlEEPS9_SE_NS0_5tupleIJPjSE_EEENSF_IJSE_SE_EEES9_SG_JZNS1_25segmented_radix_sort_implINS0_14default_configELb0EPKaPaPKlPlN2at6native12_GLOBAL__N_18offset_tEEE10hipError_tPvRmT1_PNSt15iterator_traitsISY_E10value_typeET2_T3_PNSZ_IS14_E10value_typeET4_jRbjT5_S1A_jjP12ihipStream_tbEUljE_EEESV_SW_SX_S14_S18_S1A_T6_T7_T9_mT8_S1C_bDpT10_ENKUlT_T0_E_clISt17integral_constantIbLb0EES1O_IbLb1EEEEDaS1K_S1L_EUlS1K_E_NS1_11comp_targetILNS1_3genE0ELNS1_11target_archE4294967295ELNS1_3gpuE0ELNS1_3repE0EEENS1_30default_config_static_selectorELNS0_4arch9wavefront6targetE1EEEvSY_.private_seg_size, 0
	.set _ZN7rocprim17ROCPRIM_400000_NS6detail17trampoline_kernelINS0_13select_configILj256ELj13ELNS0_17block_load_methodE3ELS4_3ELS4_3ELNS0_20block_scan_algorithmE0ELj4294967295EEENS1_25partition_config_selectorILNS1_17partition_subalgoE3EjNS0_10empty_typeEbEEZZNS1_14partition_implILS8_3ELb0ES6_jNS0_17counting_iteratorIjlEEPS9_SE_NS0_5tupleIJPjSE_EEENSF_IJSE_SE_EEES9_SG_JZNS1_25segmented_radix_sort_implINS0_14default_configELb0EPKaPaPKlPlN2at6native12_GLOBAL__N_18offset_tEEE10hipError_tPvRmT1_PNSt15iterator_traitsISY_E10value_typeET2_T3_PNSZ_IS14_E10value_typeET4_jRbjT5_S1A_jjP12ihipStream_tbEUljE_EEESV_SW_SX_S14_S18_S1A_T6_T7_T9_mT8_S1C_bDpT10_ENKUlT_T0_E_clISt17integral_constantIbLb0EES1O_IbLb1EEEEDaS1K_S1L_EUlS1K_E_NS1_11comp_targetILNS1_3genE0ELNS1_11target_archE4294967295ELNS1_3gpuE0ELNS1_3repE0EEENS1_30default_config_static_selectorELNS0_4arch9wavefront6targetE1EEEvSY_.uses_vcc, 0
	.set _ZN7rocprim17ROCPRIM_400000_NS6detail17trampoline_kernelINS0_13select_configILj256ELj13ELNS0_17block_load_methodE3ELS4_3ELS4_3ELNS0_20block_scan_algorithmE0ELj4294967295EEENS1_25partition_config_selectorILNS1_17partition_subalgoE3EjNS0_10empty_typeEbEEZZNS1_14partition_implILS8_3ELb0ES6_jNS0_17counting_iteratorIjlEEPS9_SE_NS0_5tupleIJPjSE_EEENSF_IJSE_SE_EEES9_SG_JZNS1_25segmented_radix_sort_implINS0_14default_configELb0EPKaPaPKlPlN2at6native12_GLOBAL__N_18offset_tEEE10hipError_tPvRmT1_PNSt15iterator_traitsISY_E10value_typeET2_T3_PNSZ_IS14_E10value_typeET4_jRbjT5_S1A_jjP12ihipStream_tbEUljE_EEESV_SW_SX_S14_S18_S1A_T6_T7_T9_mT8_S1C_bDpT10_ENKUlT_T0_E_clISt17integral_constantIbLb0EES1O_IbLb1EEEEDaS1K_S1L_EUlS1K_E_NS1_11comp_targetILNS1_3genE0ELNS1_11target_archE4294967295ELNS1_3gpuE0ELNS1_3repE0EEENS1_30default_config_static_selectorELNS0_4arch9wavefront6targetE1EEEvSY_.uses_flat_scratch, 0
	.set _ZN7rocprim17ROCPRIM_400000_NS6detail17trampoline_kernelINS0_13select_configILj256ELj13ELNS0_17block_load_methodE3ELS4_3ELS4_3ELNS0_20block_scan_algorithmE0ELj4294967295EEENS1_25partition_config_selectorILNS1_17partition_subalgoE3EjNS0_10empty_typeEbEEZZNS1_14partition_implILS8_3ELb0ES6_jNS0_17counting_iteratorIjlEEPS9_SE_NS0_5tupleIJPjSE_EEENSF_IJSE_SE_EEES9_SG_JZNS1_25segmented_radix_sort_implINS0_14default_configELb0EPKaPaPKlPlN2at6native12_GLOBAL__N_18offset_tEEE10hipError_tPvRmT1_PNSt15iterator_traitsISY_E10value_typeET2_T3_PNSZ_IS14_E10value_typeET4_jRbjT5_S1A_jjP12ihipStream_tbEUljE_EEESV_SW_SX_S14_S18_S1A_T6_T7_T9_mT8_S1C_bDpT10_ENKUlT_T0_E_clISt17integral_constantIbLb0EES1O_IbLb1EEEEDaS1K_S1L_EUlS1K_E_NS1_11comp_targetILNS1_3genE0ELNS1_11target_archE4294967295ELNS1_3gpuE0ELNS1_3repE0EEENS1_30default_config_static_selectorELNS0_4arch9wavefront6targetE1EEEvSY_.has_dyn_sized_stack, 0
	.set _ZN7rocprim17ROCPRIM_400000_NS6detail17trampoline_kernelINS0_13select_configILj256ELj13ELNS0_17block_load_methodE3ELS4_3ELS4_3ELNS0_20block_scan_algorithmE0ELj4294967295EEENS1_25partition_config_selectorILNS1_17partition_subalgoE3EjNS0_10empty_typeEbEEZZNS1_14partition_implILS8_3ELb0ES6_jNS0_17counting_iteratorIjlEEPS9_SE_NS0_5tupleIJPjSE_EEENSF_IJSE_SE_EEES9_SG_JZNS1_25segmented_radix_sort_implINS0_14default_configELb0EPKaPaPKlPlN2at6native12_GLOBAL__N_18offset_tEEE10hipError_tPvRmT1_PNSt15iterator_traitsISY_E10value_typeET2_T3_PNSZ_IS14_E10value_typeET4_jRbjT5_S1A_jjP12ihipStream_tbEUljE_EEESV_SW_SX_S14_S18_S1A_T6_T7_T9_mT8_S1C_bDpT10_ENKUlT_T0_E_clISt17integral_constantIbLb0EES1O_IbLb1EEEEDaS1K_S1L_EUlS1K_E_NS1_11comp_targetILNS1_3genE0ELNS1_11target_archE4294967295ELNS1_3gpuE0ELNS1_3repE0EEENS1_30default_config_static_selectorELNS0_4arch9wavefront6targetE1EEEvSY_.has_recursion, 0
	.set _ZN7rocprim17ROCPRIM_400000_NS6detail17trampoline_kernelINS0_13select_configILj256ELj13ELNS0_17block_load_methodE3ELS4_3ELS4_3ELNS0_20block_scan_algorithmE0ELj4294967295EEENS1_25partition_config_selectorILNS1_17partition_subalgoE3EjNS0_10empty_typeEbEEZZNS1_14partition_implILS8_3ELb0ES6_jNS0_17counting_iteratorIjlEEPS9_SE_NS0_5tupleIJPjSE_EEENSF_IJSE_SE_EEES9_SG_JZNS1_25segmented_radix_sort_implINS0_14default_configELb0EPKaPaPKlPlN2at6native12_GLOBAL__N_18offset_tEEE10hipError_tPvRmT1_PNSt15iterator_traitsISY_E10value_typeET2_T3_PNSZ_IS14_E10value_typeET4_jRbjT5_S1A_jjP12ihipStream_tbEUljE_EEESV_SW_SX_S14_S18_S1A_T6_T7_T9_mT8_S1C_bDpT10_ENKUlT_T0_E_clISt17integral_constantIbLb0EES1O_IbLb1EEEEDaS1K_S1L_EUlS1K_E_NS1_11comp_targetILNS1_3genE0ELNS1_11target_archE4294967295ELNS1_3gpuE0ELNS1_3repE0EEENS1_30default_config_static_selectorELNS0_4arch9wavefront6targetE1EEEvSY_.has_indirect_call, 0
	.section	.AMDGPU.csdata,"",@progbits
; Kernel info:
; codeLenInByte = 0
; TotalNumSgprs: 4
; NumVgprs: 0
; ScratchSize: 0
; MemoryBound: 0
; FloatMode: 240
; IeeeMode: 1
; LDSByteSize: 0 bytes/workgroup (compile time only)
; SGPRBlocks: 0
; VGPRBlocks: 0
; NumSGPRsForWavesPerEU: 4
; NumVGPRsForWavesPerEU: 1
; Occupancy: 10
; WaveLimiterHint : 0
; COMPUTE_PGM_RSRC2:SCRATCH_EN: 0
; COMPUTE_PGM_RSRC2:USER_SGPR: 6
; COMPUTE_PGM_RSRC2:TRAP_HANDLER: 0
; COMPUTE_PGM_RSRC2:TGID_X_EN: 1
; COMPUTE_PGM_RSRC2:TGID_Y_EN: 0
; COMPUTE_PGM_RSRC2:TGID_Z_EN: 0
; COMPUTE_PGM_RSRC2:TIDIG_COMP_CNT: 0
	.section	.text._ZN7rocprim17ROCPRIM_400000_NS6detail17trampoline_kernelINS0_13select_configILj256ELj13ELNS0_17block_load_methodE3ELS4_3ELS4_3ELNS0_20block_scan_algorithmE0ELj4294967295EEENS1_25partition_config_selectorILNS1_17partition_subalgoE3EjNS0_10empty_typeEbEEZZNS1_14partition_implILS8_3ELb0ES6_jNS0_17counting_iteratorIjlEEPS9_SE_NS0_5tupleIJPjSE_EEENSF_IJSE_SE_EEES9_SG_JZNS1_25segmented_radix_sort_implINS0_14default_configELb0EPKaPaPKlPlN2at6native12_GLOBAL__N_18offset_tEEE10hipError_tPvRmT1_PNSt15iterator_traitsISY_E10value_typeET2_T3_PNSZ_IS14_E10value_typeET4_jRbjT5_S1A_jjP12ihipStream_tbEUljE_EEESV_SW_SX_S14_S18_S1A_T6_T7_T9_mT8_S1C_bDpT10_ENKUlT_T0_E_clISt17integral_constantIbLb0EES1O_IbLb1EEEEDaS1K_S1L_EUlS1K_E_NS1_11comp_targetILNS1_3genE5ELNS1_11target_archE942ELNS1_3gpuE9ELNS1_3repE0EEENS1_30default_config_static_selectorELNS0_4arch9wavefront6targetE1EEEvSY_,"axG",@progbits,_ZN7rocprim17ROCPRIM_400000_NS6detail17trampoline_kernelINS0_13select_configILj256ELj13ELNS0_17block_load_methodE3ELS4_3ELS4_3ELNS0_20block_scan_algorithmE0ELj4294967295EEENS1_25partition_config_selectorILNS1_17partition_subalgoE3EjNS0_10empty_typeEbEEZZNS1_14partition_implILS8_3ELb0ES6_jNS0_17counting_iteratorIjlEEPS9_SE_NS0_5tupleIJPjSE_EEENSF_IJSE_SE_EEES9_SG_JZNS1_25segmented_radix_sort_implINS0_14default_configELb0EPKaPaPKlPlN2at6native12_GLOBAL__N_18offset_tEEE10hipError_tPvRmT1_PNSt15iterator_traitsISY_E10value_typeET2_T3_PNSZ_IS14_E10value_typeET4_jRbjT5_S1A_jjP12ihipStream_tbEUljE_EEESV_SW_SX_S14_S18_S1A_T6_T7_T9_mT8_S1C_bDpT10_ENKUlT_T0_E_clISt17integral_constantIbLb0EES1O_IbLb1EEEEDaS1K_S1L_EUlS1K_E_NS1_11comp_targetILNS1_3genE5ELNS1_11target_archE942ELNS1_3gpuE9ELNS1_3repE0EEENS1_30default_config_static_selectorELNS0_4arch9wavefront6targetE1EEEvSY_,comdat
	.globl	_ZN7rocprim17ROCPRIM_400000_NS6detail17trampoline_kernelINS0_13select_configILj256ELj13ELNS0_17block_load_methodE3ELS4_3ELS4_3ELNS0_20block_scan_algorithmE0ELj4294967295EEENS1_25partition_config_selectorILNS1_17partition_subalgoE3EjNS0_10empty_typeEbEEZZNS1_14partition_implILS8_3ELb0ES6_jNS0_17counting_iteratorIjlEEPS9_SE_NS0_5tupleIJPjSE_EEENSF_IJSE_SE_EEES9_SG_JZNS1_25segmented_radix_sort_implINS0_14default_configELb0EPKaPaPKlPlN2at6native12_GLOBAL__N_18offset_tEEE10hipError_tPvRmT1_PNSt15iterator_traitsISY_E10value_typeET2_T3_PNSZ_IS14_E10value_typeET4_jRbjT5_S1A_jjP12ihipStream_tbEUljE_EEESV_SW_SX_S14_S18_S1A_T6_T7_T9_mT8_S1C_bDpT10_ENKUlT_T0_E_clISt17integral_constantIbLb0EES1O_IbLb1EEEEDaS1K_S1L_EUlS1K_E_NS1_11comp_targetILNS1_3genE5ELNS1_11target_archE942ELNS1_3gpuE9ELNS1_3repE0EEENS1_30default_config_static_selectorELNS0_4arch9wavefront6targetE1EEEvSY_ ; -- Begin function _ZN7rocprim17ROCPRIM_400000_NS6detail17trampoline_kernelINS0_13select_configILj256ELj13ELNS0_17block_load_methodE3ELS4_3ELS4_3ELNS0_20block_scan_algorithmE0ELj4294967295EEENS1_25partition_config_selectorILNS1_17partition_subalgoE3EjNS0_10empty_typeEbEEZZNS1_14partition_implILS8_3ELb0ES6_jNS0_17counting_iteratorIjlEEPS9_SE_NS0_5tupleIJPjSE_EEENSF_IJSE_SE_EEES9_SG_JZNS1_25segmented_radix_sort_implINS0_14default_configELb0EPKaPaPKlPlN2at6native12_GLOBAL__N_18offset_tEEE10hipError_tPvRmT1_PNSt15iterator_traitsISY_E10value_typeET2_T3_PNSZ_IS14_E10value_typeET4_jRbjT5_S1A_jjP12ihipStream_tbEUljE_EEESV_SW_SX_S14_S18_S1A_T6_T7_T9_mT8_S1C_bDpT10_ENKUlT_T0_E_clISt17integral_constantIbLb0EES1O_IbLb1EEEEDaS1K_S1L_EUlS1K_E_NS1_11comp_targetILNS1_3genE5ELNS1_11target_archE942ELNS1_3gpuE9ELNS1_3repE0EEENS1_30default_config_static_selectorELNS0_4arch9wavefront6targetE1EEEvSY_
	.p2align	8
	.type	_ZN7rocprim17ROCPRIM_400000_NS6detail17trampoline_kernelINS0_13select_configILj256ELj13ELNS0_17block_load_methodE3ELS4_3ELS4_3ELNS0_20block_scan_algorithmE0ELj4294967295EEENS1_25partition_config_selectorILNS1_17partition_subalgoE3EjNS0_10empty_typeEbEEZZNS1_14partition_implILS8_3ELb0ES6_jNS0_17counting_iteratorIjlEEPS9_SE_NS0_5tupleIJPjSE_EEENSF_IJSE_SE_EEES9_SG_JZNS1_25segmented_radix_sort_implINS0_14default_configELb0EPKaPaPKlPlN2at6native12_GLOBAL__N_18offset_tEEE10hipError_tPvRmT1_PNSt15iterator_traitsISY_E10value_typeET2_T3_PNSZ_IS14_E10value_typeET4_jRbjT5_S1A_jjP12ihipStream_tbEUljE_EEESV_SW_SX_S14_S18_S1A_T6_T7_T9_mT8_S1C_bDpT10_ENKUlT_T0_E_clISt17integral_constantIbLb0EES1O_IbLb1EEEEDaS1K_S1L_EUlS1K_E_NS1_11comp_targetILNS1_3genE5ELNS1_11target_archE942ELNS1_3gpuE9ELNS1_3repE0EEENS1_30default_config_static_selectorELNS0_4arch9wavefront6targetE1EEEvSY_,@function
_ZN7rocprim17ROCPRIM_400000_NS6detail17trampoline_kernelINS0_13select_configILj256ELj13ELNS0_17block_load_methodE3ELS4_3ELS4_3ELNS0_20block_scan_algorithmE0ELj4294967295EEENS1_25partition_config_selectorILNS1_17partition_subalgoE3EjNS0_10empty_typeEbEEZZNS1_14partition_implILS8_3ELb0ES6_jNS0_17counting_iteratorIjlEEPS9_SE_NS0_5tupleIJPjSE_EEENSF_IJSE_SE_EEES9_SG_JZNS1_25segmented_radix_sort_implINS0_14default_configELb0EPKaPaPKlPlN2at6native12_GLOBAL__N_18offset_tEEE10hipError_tPvRmT1_PNSt15iterator_traitsISY_E10value_typeET2_T3_PNSZ_IS14_E10value_typeET4_jRbjT5_S1A_jjP12ihipStream_tbEUljE_EEESV_SW_SX_S14_S18_S1A_T6_T7_T9_mT8_S1C_bDpT10_ENKUlT_T0_E_clISt17integral_constantIbLb0EES1O_IbLb1EEEEDaS1K_S1L_EUlS1K_E_NS1_11comp_targetILNS1_3genE5ELNS1_11target_archE942ELNS1_3gpuE9ELNS1_3repE0EEENS1_30default_config_static_selectorELNS0_4arch9wavefront6targetE1EEEvSY_: ; @_ZN7rocprim17ROCPRIM_400000_NS6detail17trampoline_kernelINS0_13select_configILj256ELj13ELNS0_17block_load_methodE3ELS4_3ELS4_3ELNS0_20block_scan_algorithmE0ELj4294967295EEENS1_25partition_config_selectorILNS1_17partition_subalgoE3EjNS0_10empty_typeEbEEZZNS1_14partition_implILS8_3ELb0ES6_jNS0_17counting_iteratorIjlEEPS9_SE_NS0_5tupleIJPjSE_EEENSF_IJSE_SE_EEES9_SG_JZNS1_25segmented_radix_sort_implINS0_14default_configELb0EPKaPaPKlPlN2at6native12_GLOBAL__N_18offset_tEEE10hipError_tPvRmT1_PNSt15iterator_traitsISY_E10value_typeET2_T3_PNSZ_IS14_E10value_typeET4_jRbjT5_S1A_jjP12ihipStream_tbEUljE_EEESV_SW_SX_S14_S18_S1A_T6_T7_T9_mT8_S1C_bDpT10_ENKUlT_T0_E_clISt17integral_constantIbLb0EES1O_IbLb1EEEEDaS1K_S1L_EUlS1K_E_NS1_11comp_targetILNS1_3genE5ELNS1_11target_archE942ELNS1_3gpuE9ELNS1_3repE0EEENS1_30default_config_static_selectorELNS0_4arch9wavefront6targetE1EEEvSY_
; %bb.0:
	.section	.rodata,"a",@progbits
	.p2align	6, 0x0
	.amdhsa_kernel _ZN7rocprim17ROCPRIM_400000_NS6detail17trampoline_kernelINS0_13select_configILj256ELj13ELNS0_17block_load_methodE3ELS4_3ELS4_3ELNS0_20block_scan_algorithmE0ELj4294967295EEENS1_25partition_config_selectorILNS1_17partition_subalgoE3EjNS0_10empty_typeEbEEZZNS1_14partition_implILS8_3ELb0ES6_jNS0_17counting_iteratorIjlEEPS9_SE_NS0_5tupleIJPjSE_EEENSF_IJSE_SE_EEES9_SG_JZNS1_25segmented_radix_sort_implINS0_14default_configELb0EPKaPaPKlPlN2at6native12_GLOBAL__N_18offset_tEEE10hipError_tPvRmT1_PNSt15iterator_traitsISY_E10value_typeET2_T3_PNSZ_IS14_E10value_typeET4_jRbjT5_S1A_jjP12ihipStream_tbEUljE_EEESV_SW_SX_S14_S18_S1A_T6_T7_T9_mT8_S1C_bDpT10_ENKUlT_T0_E_clISt17integral_constantIbLb0EES1O_IbLb1EEEEDaS1K_S1L_EUlS1K_E_NS1_11comp_targetILNS1_3genE5ELNS1_11target_archE942ELNS1_3gpuE9ELNS1_3repE0EEENS1_30default_config_static_selectorELNS0_4arch9wavefront6targetE1EEEvSY_
		.amdhsa_group_segment_fixed_size 0
		.amdhsa_private_segment_fixed_size 0
		.amdhsa_kernarg_size 152
		.amdhsa_user_sgpr_count 6
		.amdhsa_user_sgpr_private_segment_buffer 1
		.amdhsa_user_sgpr_dispatch_ptr 0
		.amdhsa_user_sgpr_queue_ptr 0
		.amdhsa_user_sgpr_kernarg_segment_ptr 1
		.amdhsa_user_sgpr_dispatch_id 0
		.amdhsa_user_sgpr_flat_scratch_init 0
		.amdhsa_user_sgpr_private_segment_size 0
		.amdhsa_uses_dynamic_stack 0
		.amdhsa_system_sgpr_private_segment_wavefront_offset 0
		.amdhsa_system_sgpr_workgroup_id_x 1
		.amdhsa_system_sgpr_workgroup_id_y 0
		.amdhsa_system_sgpr_workgroup_id_z 0
		.amdhsa_system_sgpr_workgroup_info 0
		.amdhsa_system_vgpr_workitem_id 0
		.amdhsa_next_free_vgpr 1
		.amdhsa_next_free_sgpr 0
		.amdhsa_reserve_vcc 0
		.amdhsa_reserve_flat_scratch 0
		.amdhsa_float_round_mode_32 0
		.amdhsa_float_round_mode_16_64 0
		.amdhsa_float_denorm_mode_32 3
		.amdhsa_float_denorm_mode_16_64 3
		.amdhsa_dx10_clamp 1
		.amdhsa_ieee_mode 1
		.amdhsa_fp16_overflow 0
		.amdhsa_exception_fp_ieee_invalid_op 0
		.amdhsa_exception_fp_denorm_src 0
		.amdhsa_exception_fp_ieee_div_zero 0
		.amdhsa_exception_fp_ieee_overflow 0
		.amdhsa_exception_fp_ieee_underflow 0
		.amdhsa_exception_fp_ieee_inexact 0
		.amdhsa_exception_int_div_zero 0
	.end_amdhsa_kernel
	.section	.text._ZN7rocprim17ROCPRIM_400000_NS6detail17trampoline_kernelINS0_13select_configILj256ELj13ELNS0_17block_load_methodE3ELS4_3ELS4_3ELNS0_20block_scan_algorithmE0ELj4294967295EEENS1_25partition_config_selectorILNS1_17partition_subalgoE3EjNS0_10empty_typeEbEEZZNS1_14partition_implILS8_3ELb0ES6_jNS0_17counting_iteratorIjlEEPS9_SE_NS0_5tupleIJPjSE_EEENSF_IJSE_SE_EEES9_SG_JZNS1_25segmented_radix_sort_implINS0_14default_configELb0EPKaPaPKlPlN2at6native12_GLOBAL__N_18offset_tEEE10hipError_tPvRmT1_PNSt15iterator_traitsISY_E10value_typeET2_T3_PNSZ_IS14_E10value_typeET4_jRbjT5_S1A_jjP12ihipStream_tbEUljE_EEESV_SW_SX_S14_S18_S1A_T6_T7_T9_mT8_S1C_bDpT10_ENKUlT_T0_E_clISt17integral_constantIbLb0EES1O_IbLb1EEEEDaS1K_S1L_EUlS1K_E_NS1_11comp_targetILNS1_3genE5ELNS1_11target_archE942ELNS1_3gpuE9ELNS1_3repE0EEENS1_30default_config_static_selectorELNS0_4arch9wavefront6targetE1EEEvSY_,"axG",@progbits,_ZN7rocprim17ROCPRIM_400000_NS6detail17trampoline_kernelINS0_13select_configILj256ELj13ELNS0_17block_load_methodE3ELS4_3ELS4_3ELNS0_20block_scan_algorithmE0ELj4294967295EEENS1_25partition_config_selectorILNS1_17partition_subalgoE3EjNS0_10empty_typeEbEEZZNS1_14partition_implILS8_3ELb0ES6_jNS0_17counting_iteratorIjlEEPS9_SE_NS0_5tupleIJPjSE_EEENSF_IJSE_SE_EEES9_SG_JZNS1_25segmented_radix_sort_implINS0_14default_configELb0EPKaPaPKlPlN2at6native12_GLOBAL__N_18offset_tEEE10hipError_tPvRmT1_PNSt15iterator_traitsISY_E10value_typeET2_T3_PNSZ_IS14_E10value_typeET4_jRbjT5_S1A_jjP12ihipStream_tbEUljE_EEESV_SW_SX_S14_S18_S1A_T6_T7_T9_mT8_S1C_bDpT10_ENKUlT_T0_E_clISt17integral_constantIbLb0EES1O_IbLb1EEEEDaS1K_S1L_EUlS1K_E_NS1_11comp_targetILNS1_3genE5ELNS1_11target_archE942ELNS1_3gpuE9ELNS1_3repE0EEENS1_30default_config_static_selectorELNS0_4arch9wavefront6targetE1EEEvSY_,comdat
.Lfunc_end386:
	.size	_ZN7rocprim17ROCPRIM_400000_NS6detail17trampoline_kernelINS0_13select_configILj256ELj13ELNS0_17block_load_methodE3ELS4_3ELS4_3ELNS0_20block_scan_algorithmE0ELj4294967295EEENS1_25partition_config_selectorILNS1_17partition_subalgoE3EjNS0_10empty_typeEbEEZZNS1_14partition_implILS8_3ELb0ES6_jNS0_17counting_iteratorIjlEEPS9_SE_NS0_5tupleIJPjSE_EEENSF_IJSE_SE_EEES9_SG_JZNS1_25segmented_radix_sort_implINS0_14default_configELb0EPKaPaPKlPlN2at6native12_GLOBAL__N_18offset_tEEE10hipError_tPvRmT1_PNSt15iterator_traitsISY_E10value_typeET2_T3_PNSZ_IS14_E10value_typeET4_jRbjT5_S1A_jjP12ihipStream_tbEUljE_EEESV_SW_SX_S14_S18_S1A_T6_T7_T9_mT8_S1C_bDpT10_ENKUlT_T0_E_clISt17integral_constantIbLb0EES1O_IbLb1EEEEDaS1K_S1L_EUlS1K_E_NS1_11comp_targetILNS1_3genE5ELNS1_11target_archE942ELNS1_3gpuE9ELNS1_3repE0EEENS1_30default_config_static_selectorELNS0_4arch9wavefront6targetE1EEEvSY_, .Lfunc_end386-_ZN7rocprim17ROCPRIM_400000_NS6detail17trampoline_kernelINS0_13select_configILj256ELj13ELNS0_17block_load_methodE3ELS4_3ELS4_3ELNS0_20block_scan_algorithmE0ELj4294967295EEENS1_25partition_config_selectorILNS1_17partition_subalgoE3EjNS0_10empty_typeEbEEZZNS1_14partition_implILS8_3ELb0ES6_jNS0_17counting_iteratorIjlEEPS9_SE_NS0_5tupleIJPjSE_EEENSF_IJSE_SE_EEES9_SG_JZNS1_25segmented_radix_sort_implINS0_14default_configELb0EPKaPaPKlPlN2at6native12_GLOBAL__N_18offset_tEEE10hipError_tPvRmT1_PNSt15iterator_traitsISY_E10value_typeET2_T3_PNSZ_IS14_E10value_typeET4_jRbjT5_S1A_jjP12ihipStream_tbEUljE_EEESV_SW_SX_S14_S18_S1A_T6_T7_T9_mT8_S1C_bDpT10_ENKUlT_T0_E_clISt17integral_constantIbLb0EES1O_IbLb1EEEEDaS1K_S1L_EUlS1K_E_NS1_11comp_targetILNS1_3genE5ELNS1_11target_archE942ELNS1_3gpuE9ELNS1_3repE0EEENS1_30default_config_static_selectorELNS0_4arch9wavefront6targetE1EEEvSY_
                                        ; -- End function
	.set _ZN7rocprim17ROCPRIM_400000_NS6detail17trampoline_kernelINS0_13select_configILj256ELj13ELNS0_17block_load_methodE3ELS4_3ELS4_3ELNS0_20block_scan_algorithmE0ELj4294967295EEENS1_25partition_config_selectorILNS1_17partition_subalgoE3EjNS0_10empty_typeEbEEZZNS1_14partition_implILS8_3ELb0ES6_jNS0_17counting_iteratorIjlEEPS9_SE_NS0_5tupleIJPjSE_EEENSF_IJSE_SE_EEES9_SG_JZNS1_25segmented_radix_sort_implINS0_14default_configELb0EPKaPaPKlPlN2at6native12_GLOBAL__N_18offset_tEEE10hipError_tPvRmT1_PNSt15iterator_traitsISY_E10value_typeET2_T3_PNSZ_IS14_E10value_typeET4_jRbjT5_S1A_jjP12ihipStream_tbEUljE_EEESV_SW_SX_S14_S18_S1A_T6_T7_T9_mT8_S1C_bDpT10_ENKUlT_T0_E_clISt17integral_constantIbLb0EES1O_IbLb1EEEEDaS1K_S1L_EUlS1K_E_NS1_11comp_targetILNS1_3genE5ELNS1_11target_archE942ELNS1_3gpuE9ELNS1_3repE0EEENS1_30default_config_static_selectorELNS0_4arch9wavefront6targetE1EEEvSY_.num_vgpr, 0
	.set _ZN7rocprim17ROCPRIM_400000_NS6detail17trampoline_kernelINS0_13select_configILj256ELj13ELNS0_17block_load_methodE3ELS4_3ELS4_3ELNS0_20block_scan_algorithmE0ELj4294967295EEENS1_25partition_config_selectorILNS1_17partition_subalgoE3EjNS0_10empty_typeEbEEZZNS1_14partition_implILS8_3ELb0ES6_jNS0_17counting_iteratorIjlEEPS9_SE_NS0_5tupleIJPjSE_EEENSF_IJSE_SE_EEES9_SG_JZNS1_25segmented_radix_sort_implINS0_14default_configELb0EPKaPaPKlPlN2at6native12_GLOBAL__N_18offset_tEEE10hipError_tPvRmT1_PNSt15iterator_traitsISY_E10value_typeET2_T3_PNSZ_IS14_E10value_typeET4_jRbjT5_S1A_jjP12ihipStream_tbEUljE_EEESV_SW_SX_S14_S18_S1A_T6_T7_T9_mT8_S1C_bDpT10_ENKUlT_T0_E_clISt17integral_constantIbLb0EES1O_IbLb1EEEEDaS1K_S1L_EUlS1K_E_NS1_11comp_targetILNS1_3genE5ELNS1_11target_archE942ELNS1_3gpuE9ELNS1_3repE0EEENS1_30default_config_static_selectorELNS0_4arch9wavefront6targetE1EEEvSY_.num_agpr, 0
	.set _ZN7rocprim17ROCPRIM_400000_NS6detail17trampoline_kernelINS0_13select_configILj256ELj13ELNS0_17block_load_methodE3ELS4_3ELS4_3ELNS0_20block_scan_algorithmE0ELj4294967295EEENS1_25partition_config_selectorILNS1_17partition_subalgoE3EjNS0_10empty_typeEbEEZZNS1_14partition_implILS8_3ELb0ES6_jNS0_17counting_iteratorIjlEEPS9_SE_NS0_5tupleIJPjSE_EEENSF_IJSE_SE_EEES9_SG_JZNS1_25segmented_radix_sort_implINS0_14default_configELb0EPKaPaPKlPlN2at6native12_GLOBAL__N_18offset_tEEE10hipError_tPvRmT1_PNSt15iterator_traitsISY_E10value_typeET2_T3_PNSZ_IS14_E10value_typeET4_jRbjT5_S1A_jjP12ihipStream_tbEUljE_EEESV_SW_SX_S14_S18_S1A_T6_T7_T9_mT8_S1C_bDpT10_ENKUlT_T0_E_clISt17integral_constantIbLb0EES1O_IbLb1EEEEDaS1K_S1L_EUlS1K_E_NS1_11comp_targetILNS1_3genE5ELNS1_11target_archE942ELNS1_3gpuE9ELNS1_3repE0EEENS1_30default_config_static_selectorELNS0_4arch9wavefront6targetE1EEEvSY_.numbered_sgpr, 0
	.set _ZN7rocprim17ROCPRIM_400000_NS6detail17trampoline_kernelINS0_13select_configILj256ELj13ELNS0_17block_load_methodE3ELS4_3ELS4_3ELNS0_20block_scan_algorithmE0ELj4294967295EEENS1_25partition_config_selectorILNS1_17partition_subalgoE3EjNS0_10empty_typeEbEEZZNS1_14partition_implILS8_3ELb0ES6_jNS0_17counting_iteratorIjlEEPS9_SE_NS0_5tupleIJPjSE_EEENSF_IJSE_SE_EEES9_SG_JZNS1_25segmented_radix_sort_implINS0_14default_configELb0EPKaPaPKlPlN2at6native12_GLOBAL__N_18offset_tEEE10hipError_tPvRmT1_PNSt15iterator_traitsISY_E10value_typeET2_T3_PNSZ_IS14_E10value_typeET4_jRbjT5_S1A_jjP12ihipStream_tbEUljE_EEESV_SW_SX_S14_S18_S1A_T6_T7_T9_mT8_S1C_bDpT10_ENKUlT_T0_E_clISt17integral_constantIbLb0EES1O_IbLb1EEEEDaS1K_S1L_EUlS1K_E_NS1_11comp_targetILNS1_3genE5ELNS1_11target_archE942ELNS1_3gpuE9ELNS1_3repE0EEENS1_30default_config_static_selectorELNS0_4arch9wavefront6targetE1EEEvSY_.num_named_barrier, 0
	.set _ZN7rocprim17ROCPRIM_400000_NS6detail17trampoline_kernelINS0_13select_configILj256ELj13ELNS0_17block_load_methodE3ELS4_3ELS4_3ELNS0_20block_scan_algorithmE0ELj4294967295EEENS1_25partition_config_selectorILNS1_17partition_subalgoE3EjNS0_10empty_typeEbEEZZNS1_14partition_implILS8_3ELb0ES6_jNS0_17counting_iteratorIjlEEPS9_SE_NS0_5tupleIJPjSE_EEENSF_IJSE_SE_EEES9_SG_JZNS1_25segmented_radix_sort_implINS0_14default_configELb0EPKaPaPKlPlN2at6native12_GLOBAL__N_18offset_tEEE10hipError_tPvRmT1_PNSt15iterator_traitsISY_E10value_typeET2_T3_PNSZ_IS14_E10value_typeET4_jRbjT5_S1A_jjP12ihipStream_tbEUljE_EEESV_SW_SX_S14_S18_S1A_T6_T7_T9_mT8_S1C_bDpT10_ENKUlT_T0_E_clISt17integral_constantIbLb0EES1O_IbLb1EEEEDaS1K_S1L_EUlS1K_E_NS1_11comp_targetILNS1_3genE5ELNS1_11target_archE942ELNS1_3gpuE9ELNS1_3repE0EEENS1_30default_config_static_selectorELNS0_4arch9wavefront6targetE1EEEvSY_.private_seg_size, 0
	.set _ZN7rocprim17ROCPRIM_400000_NS6detail17trampoline_kernelINS0_13select_configILj256ELj13ELNS0_17block_load_methodE3ELS4_3ELS4_3ELNS0_20block_scan_algorithmE0ELj4294967295EEENS1_25partition_config_selectorILNS1_17partition_subalgoE3EjNS0_10empty_typeEbEEZZNS1_14partition_implILS8_3ELb0ES6_jNS0_17counting_iteratorIjlEEPS9_SE_NS0_5tupleIJPjSE_EEENSF_IJSE_SE_EEES9_SG_JZNS1_25segmented_radix_sort_implINS0_14default_configELb0EPKaPaPKlPlN2at6native12_GLOBAL__N_18offset_tEEE10hipError_tPvRmT1_PNSt15iterator_traitsISY_E10value_typeET2_T3_PNSZ_IS14_E10value_typeET4_jRbjT5_S1A_jjP12ihipStream_tbEUljE_EEESV_SW_SX_S14_S18_S1A_T6_T7_T9_mT8_S1C_bDpT10_ENKUlT_T0_E_clISt17integral_constantIbLb0EES1O_IbLb1EEEEDaS1K_S1L_EUlS1K_E_NS1_11comp_targetILNS1_3genE5ELNS1_11target_archE942ELNS1_3gpuE9ELNS1_3repE0EEENS1_30default_config_static_selectorELNS0_4arch9wavefront6targetE1EEEvSY_.uses_vcc, 0
	.set _ZN7rocprim17ROCPRIM_400000_NS6detail17trampoline_kernelINS0_13select_configILj256ELj13ELNS0_17block_load_methodE3ELS4_3ELS4_3ELNS0_20block_scan_algorithmE0ELj4294967295EEENS1_25partition_config_selectorILNS1_17partition_subalgoE3EjNS0_10empty_typeEbEEZZNS1_14partition_implILS8_3ELb0ES6_jNS0_17counting_iteratorIjlEEPS9_SE_NS0_5tupleIJPjSE_EEENSF_IJSE_SE_EEES9_SG_JZNS1_25segmented_radix_sort_implINS0_14default_configELb0EPKaPaPKlPlN2at6native12_GLOBAL__N_18offset_tEEE10hipError_tPvRmT1_PNSt15iterator_traitsISY_E10value_typeET2_T3_PNSZ_IS14_E10value_typeET4_jRbjT5_S1A_jjP12ihipStream_tbEUljE_EEESV_SW_SX_S14_S18_S1A_T6_T7_T9_mT8_S1C_bDpT10_ENKUlT_T0_E_clISt17integral_constantIbLb0EES1O_IbLb1EEEEDaS1K_S1L_EUlS1K_E_NS1_11comp_targetILNS1_3genE5ELNS1_11target_archE942ELNS1_3gpuE9ELNS1_3repE0EEENS1_30default_config_static_selectorELNS0_4arch9wavefront6targetE1EEEvSY_.uses_flat_scratch, 0
	.set _ZN7rocprim17ROCPRIM_400000_NS6detail17trampoline_kernelINS0_13select_configILj256ELj13ELNS0_17block_load_methodE3ELS4_3ELS4_3ELNS0_20block_scan_algorithmE0ELj4294967295EEENS1_25partition_config_selectorILNS1_17partition_subalgoE3EjNS0_10empty_typeEbEEZZNS1_14partition_implILS8_3ELb0ES6_jNS0_17counting_iteratorIjlEEPS9_SE_NS0_5tupleIJPjSE_EEENSF_IJSE_SE_EEES9_SG_JZNS1_25segmented_radix_sort_implINS0_14default_configELb0EPKaPaPKlPlN2at6native12_GLOBAL__N_18offset_tEEE10hipError_tPvRmT1_PNSt15iterator_traitsISY_E10value_typeET2_T3_PNSZ_IS14_E10value_typeET4_jRbjT5_S1A_jjP12ihipStream_tbEUljE_EEESV_SW_SX_S14_S18_S1A_T6_T7_T9_mT8_S1C_bDpT10_ENKUlT_T0_E_clISt17integral_constantIbLb0EES1O_IbLb1EEEEDaS1K_S1L_EUlS1K_E_NS1_11comp_targetILNS1_3genE5ELNS1_11target_archE942ELNS1_3gpuE9ELNS1_3repE0EEENS1_30default_config_static_selectorELNS0_4arch9wavefront6targetE1EEEvSY_.has_dyn_sized_stack, 0
	.set _ZN7rocprim17ROCPRIM_400000_NS6detail17trampoline_kernelINS0_13select_configILj256ELj13ELNS0_17block_load_methodE3ELS4_3ELS4_3ELNS0_20block_scan_algorithmE0ELj4294967295EEENS1_25partition_config_selectorILNS1_17partition_subalgoE3EjNS0_10empty_typeEbEEZZNS1_14partition_implILS8_3ELb0ES6_jNS0_17counting_iteratorIjlEEPS9_SE_NS0_5tupleIJPjSE_EEENSF_IJSE_SE_EEES9_SG_JZNS1_25segmented_radix_sort_implINS0_14default_configELb0EPKaPaPKlPlN2at6native12_GLOBAL__N_18offset_tEEE10hipError_tPvRmT1_PNSt15iterator_traitsISY_E10value_typeET2_T3_PNSZ_IS14_E10value_typeET4_jRbjT5_S1A_jjP12ihipStream_tbEUljE_EEESV_SW_SX_S14_S18_S1A_T6_T7_T9_mT8_S1C_bDpT10_ENKUlT_T0_E_clISt17integral_constantIbLb0EES1O_IbLb1EEEEDaS1K_S1L_EUlS1K_E_NS1_11comp_targetILNS1_3genE5ELNS1_11target_archE942ELNS1_3gpuE9ELNS1_3repE0EEENS1_30default_config_static_selectorELNS0_4arch9wavefront6targetE1EEEvSY_.has_recursion, 0
	.set _ZN7rocprim17ROCPRIM_400000_NS6detail17trampoline_kernelINS0_13select_configILj256ELj13ELNS0_17block_load_methodE3ELS4_3ELS4_3ELNS0_20block_scan_algorithmE0ELj4294967295EEENS1_25partition_config_selectorILNS1_17partition_subalgoE3EjNS0_10empty_typeEbEEZZNS1_14partition_implILS8_3ELb0ES6_jNS0_17counting_iteratorIjlEEPS9_SE_NS0_5tupleIJPjSE_EEENSF_IJSE_SE_EEES9_SG_JZNS1_25segmented_radix_sort_implINS0_14default_configELb0EPKaPaPKlPlN2at6native12_GLOBAL__N_18offset_tEEE10hipError_tPvRmT1_PNSt15iterator_traitsISY_E10value_typeET2_T3_PNSZ_IS14_E10value_typeET4_jRbjT5_S1A_jjP12ihipStream_tbEUljE_EEESV_SW_SX_S14_S18_S1A_T6_T7_T9_mT8_S1C_bDpT10_ENKUlT_T0_E_clISt17integral_constantIbLb0EES1O_IbLb1EEEEDaS1K_S1L_EUlS1K_E_NS1_11comp_targetILNS1_3genE5ELNS1_11target_archE942ELNS1_3gpuE9ELNS1_3repE0EEENS1_30default_config_static_selectorELNS0_4arch9wavefront6targetE1EEEvSY_.has_indirect_call, 0
	.section	.AMDGPU.csdata,"",@progbits
; Kernel info:
; codeLenInByte = 0
; TotalNumSgprs: 4
; NumVgprs: 0
; ScratchSize: 0
; MemoryBound: 0
; FloatMode: 240
; IeeeMode: 1
; LDSByteSize: 0 bytes/workgroup (compile time only)
; SGPRBlocks: 0
; VGPRBlocks: 0
; NumSGPRsForWavesPerEU: 4
; NumVGPRsForWavesPerEU: 1
; Occupancy: 10
; WaveLimiterHint : 0
; COMPUTE_PGM_RSRC2:SCRATCH_EN: 0
; COMPUTE_PGM_RSRC2:USER_SGPR: 6
; COMPUTE_PGM_RSRC2:TRAP_HANDLER: 0
; COMPUTE_PGM_RSRC2:TGID_X_EN: 1
; COMPUTE_PGM_RSRC2:TGID_Y_EN: 0
; COMPUTE_PGM_RSRC2:TGID_Z_EN: 0
; COMPUTE_PGM_RSRC2:TIDIG_COMP_CNT: 0
	.section	.text._ZN7rocprim17ROCPRIM_400000_NS6detail17trampoline_kernelINS0_13select_configILj256ELj13ELNS0_17block_load_methodE3ELS4_3ELS4_3ELNS0_20block_scan_algorithmE0ELj4294967295EEENS1_25partition_config_selectorILNS1_17partition_subalgoE3EjNS0_10empty_typeEbEEZZNS1_14partition_implILS8_3ELb0ES6_jNS0_17counting_iteratorIjlEEPS9_SE_NS0_5tupleIJPjSE_EEENSF_IJSE_SE_EEES9_SG_JZNS1_25segmented_radix_sort_implINS0_14default_configELb0EPKaPaPKlPlN2at6native12_GLOBAL__N_18offset_tEEE10hipError_tPvRmT1_PNSt15iterator_traitsISY_E10value_typeET2_T3_PNSZ_IS14_E10value_typeET4_jRbjT5_S1A_jjP12ihipStream_tbEUljE_EEESV_SW_SX_S14_S18_S1A_T6_T7_T9_mT8_S1C_bDpT10_ENKUlT_T0_E_clISt17integral_constantIbLb0EES1O_IbLb1EEEEDaS1K_S1L_EUlS1K_E_NS1_11comp_targetILNS1_3genE4ELNS1_11target_archE910ELNS1_3gpuE8ELNS1_3repE0EEENS1_30default_config_static_selectorELNS0_4arch9wavefront6targetE1EEEvSY_,"axG",@progbits,_ZN7rocprim17ROCPRIM_400000_NS6detail17trampoline_kernelINS0_13select_configILj256ELj13ELNS0_17block_load_methodE3ELS4_3ELS4_3ELNS0_20block_scan_algorithmE0ELj4294967295EEENS1_25partition_config_selectorILNS1_17partition_subalgoE3EjNS0_10empty_typeEbEEZZNS1_14partition_implILS8_3ELb0ES6_jNS0_17counting_iteratorIjlEEPS9_SE_NS0_5tupleIJPjSE_EEENSF_IJSE_SE_EEES9_SG_JZNS1_25segmented_radix_sort_implINS0_14default_configELb0EPKaPaPKlPlN2at6native12_GLOBAL__N_18offset_tEEE10hipError_tPvRmT1_PNSt15iterator_traitsISY_E10value_typeET2_T3_PNSZ_IS14_E10value_typeET4_jRbjT5_S1A_jjP12ihipStream_tbEUljE_EEESV_SW_SX_S14_S18_S1A_T6_T7_T9_mT8_S1C_bDpT10_ENKUlT_T0_E_clISt17integral_constantIbLb0EES1O_IbLb1EEEEDaS1K_S1L_EUlS1K_E_NS1_11comp_targetILNS1_3genE4ELNS1_11target_archE910ELNS1_3gpuE8ELNS1_3repE0EEENS1_30default_config_static_selectorELNS0_4arch9wavefront6targetE1EEEvSY_,comdat
	.globl	_ZN7rocprim17ROCPRIM_400000_NS6detail17trampoline_kernelINS0_13select_configILj256ELj13ELNS0_17block_load_methodE3ELS4_3ELS4_3ELNS0_20block_scan_algorithmE0ELj4294967295EEENS1_25partition_config_selectorILNS1_17partition_subalgoE3EjNS0_10empty_typeEbEEZZNS1_14partition_implILS8_3ELb0ES6_jNS0_17counting_iteratorIjlEEPS9_SE_NS0_5tupleIJPjSE_EEENSF_IJSE_SE_EEES9_SG_JZNS1_25segmented_radix_sort_implINS0_14default_configELb0EPKaPaPKlPlN2at6native12_GLOBAL__N_18offset_tEEE10hipError_tPvRmT1_PNSt15iterator_traitsISY_E10value_typeET2_T3_PNSZ_IS14_E10value_typeET4_jRbjT5_S1A_jjP12ihipStream_tbEUljE_EEESV_SW_SX_S14_S18_S1A_T6_T7_T9_mT8_S1C_bDpT10_ENKUlT_T0_E_clISt17integral_constantIbLb0EES1O_IbLb1EEEEDaS1K_S1L_EUlS1K_E_NS1_11comp_targetILNS1_3genE4ELNS1_11target_archE910ELNS1_3gpuE8ELNS1_3repE0EEENS1_30default_config_static_selectorELNS0_4arch9wavefront6targetE1EEEvSY_ ; -- Begin function _ZN7rocprim17ROCPRIM_400000_NS6detail17trampoline_kernelINS0_13select_configILj256ELj13ELNS0_17block_load_methodE3ELS4_3ELS4_3ELNS0_20block_scan_algorithmE0ELj4294967295EEENS1_25partition_config_selectorILNS1_17partition_subalgoE3EjNS0_10empty_typeEbEEZZNS1_14partition_implILS8_3ELb0ES6_jNS0_17counting_iteratorIjlEEPS9_SE_NS0_5tupleIJPjSE_EEENSF_IJSE_SE_EEES9_SG_JZNS1_25segmented_radix_sort_implINS0_14default_configELb0EPKaPaPKlPlN2at6native12_GLOBAL__N_18offset_tEEE10hipError_tPvRmT1_PNSt15iterator_traitsISY_E10value_typeET2_T3_PNSZ_IS14_E10value_typeET4_jRbjT5_S1A_jjP12ihipStream_tbEUljE_EEESV_SW_SX_S14_S18_S1A_T6_T7_T9_mT8_S1C_bDpT10_ENKUlT_T0_E_clISt17integral_constantIbLb0EES1O_IbLb1EEEEDaS1K_S1L_EUlS1K_E_NS1_11comp_targetILNS1_3genE4ELNS1_11target_archE910ELNS1_3gpuE8ELNS1_3repE0EEENS1_30default_config_static_selectorELNS0_4arch9wavefront6targetE1EEEvSY_
	.p2align	8
	.type	_ZN7rocprim17ROCPRIM_400000_NS6detail17trampoline_kernelINS0_13select_configILj256ELj13ELNS0_17block_load_methodE3ELS4_3ELS4_3ELNS0_20block_scan_algorithmE0ELj4294967295EEENS1_25partition_config_selectorILNS1_17partition_subalgoE3EjNS0_10empty_typeEbEEZZNS1_14partition_implILS8_3ELb0ES6_jNS0_17counting_iteratorIjlEEPS9_SE_NS0_5tupleIJPjSE_EEENSF_IJSE_SE_EEES9_SG_JZNS1_25segmented_radix_sort_implINS0_14default_configELb0EPKaPaPKlPlN2at6native12_GLOBAL__N_18offset_tEEE10hipError_tPvRmT1_PNSt15iterator_traitsISY_E10value_typeET2_T3_PNSZ_IS14_E10value_typeET4_jRbjT5_S1A_jjP12ihipStream_tbEUljE_EEESV_SW_SX_S14_S18_S1A_T6_T7_T9_mT8_S1C_bDpT10_ENKUlT_T0_E_clISt17integral_constantIbLb0EES1O_IbLb1EEEEDaS1K_S1L_EUlS1K_E_NS1_11comp_targetILNS1_3genE4ELNS1_11target_archE910ELNS1_3gpuE8ELNS1_3repE0EEENS1_30default_config_static_selectorELNS0_4arch9wavefront6targetE1EEEvSY_,@function
_ZN7rocprim17ROCPRIM_400000_NS6detail17trampoline_kernelINS0_13select_configILj256ELj13ELNS0_17block_load_methodE3ELS4_3ELS4_3ELNS0_20block_scan_algorithmE0ELj4294967295EEENS1_25partition_config_selectorILNS1_17partition_subalgoE3EjNS0_10empty_typeEbEEZZNS1_14partition_implILS8_3ELb0ES6_jNS0_17counting_iteratorIjlEEPS9_SE_NS0_5tupleIJPjSE_EEENSF_IJSE_SE_EEES9_SG_JZNS1_25segmented_radix_sort_implINS0_14default_configELb0EPKaPaPKlPlN2at6native12_GLOBAL__N_18offset_tEEE10hipError_tPvRmT1_PNSt15iterator_traitsISY_E10value_typeET2_T3_PNSZ_IS14_E10value_typeET4_jRbjT5_S1A_jjP12ihipStream_tbEUljE_EEESV_SW_SX_S14_S18_S1A_T6_T7_T9_mT8_S1C_bDpT10_ENKUlT_T0_E_clISt17integral_constantIbLb0EES1O_IbLb1EEEEDaS1K_S1L_EUlS1K_E_NS1_11comp_targetILNS1_3genE4ELNS1_11target_archE910ELNS1_3gpuE8ELNS1_3repE0EEENS1_30default_config_static_selectorELNS0_4arch9wavefront6targetE1EEEvSY_: ; @_ZN7rocprim17ROCPRIM_400000_NS6detail17trampoline_kernelINS0_13select_configILj256ELj13ELNS0_17block_load_methodE3ELS4_3ELS4_3ELNS0_20block_scan_algorithmE0ELj4294967295EEENS1_25partition_config_selectorILNS1_17partition_subalgoE3EjNS0_10empty_typeEbEEZZNS1_14partition_implILS8_3ELb0ES6_jNS0_17counting_iteratorIjlEEPS9_SE_NS0_5tupleIJPjSE_EEENSF_IJSE_SE_EEES9_SG_JZNS1_25segmented_radix_sort_implINS0_14default_configELb0EPKaPaPKlPlN2at6native12_GLOBAL__N_18offset_tEEE10hipError_tPvRmT1_PNSt15iterator_traitsISY_E10value_typeET2_T3_PNSZ_IS14_E10value_typeET4_jRbjT5_S1A_jjP12ihipStream_tbEUljE_EEESV_SW_SX_S14_S18_S1A_T6_T7_T9_mT8_S1C_bDpT10_ENKUlT_T0_E_clISt17integral_constantIbLb0EES1O_IbLb1EEEEDaS1K_S1L_EUlS1K_E_NS1_11comp_targetILNS1_3genE4ELNS1_11target_archE910ELNS1_3gpuE8ELNS1_3repE0EEENS1_30default_config_static_selectorELNS0_4arch9wavefront6targetE1EEEvSY_
; %bb.0:
	.section	.rodata,"a",@progbits
	.p2align	6, 0x0
	.amdhsa_kernel _ZN7rocprim17ROCPRIM_400000_NS6detail17trampoline_kernelINS0_13select_configILj256ELj13ELNS0_17block_load_methodE3ELS4_3ELS4_3ELNS0_20block_scan_algorithmE0ELj4294967295EEENS1_25partition_config_selectorILNS1_17partition_subalgoE3EjNS0_10empty_typeEbEEZZNS1_14partition_implILS8_3ELb0ES6_jNS0_17counting_iteratorIjlEEPS9_SE_NS0_5tupleIJPjSE_EEENSF_IJSE_SE_EEES9_SG_JZNS1_25segmented_radix_sort_implINS0_14default_configELb0EPKaPaPKlPlN2at6native12_GLOBAL__N_18offset_tEEE10hipError_tPvRmT1_PNSt15iterator_traitsISY_E10value_typeET2_T3_PNSZ_IS14_E10value_typeET4_jRbjT5_S1A_jjP12ihipStream_tbEUljE_EEESV_SW_SX_S14_S18_S1A_T6_T7_T9_mT8_S1C_bDpT10_ENKUlT_T0_E_clISt17integral_constantIbLb0EES1O_IbLb1EEEEDaS1K_S1L_EUlS1K_E_NS1_11comp_targetILNS1_3genE4ELNS1_11target_archE910ELNS1_3gpuE8ELNS1_3repE0EEENS1_30default_config_static_selectorELNS0_4arch9wavefront6targetE1EEEvSY_
		.amdhsa_group_segment_fixed_size 0
		.amdhsa_private_segment_fixed_size 0
		.amdhsa_kernarg_size 152
		.amdhsa_user_sgpr_count 6
		.amdhsa_user_sgpr_private_segment_buffer 1
		.amdhsa_user_sgpr_dispatch_ptr 0
		.amdhsa_user_sgpr_queue_ptr 0
		.amdhsa_user_sgpr_kernarg_segment_ptr 1
		.amdhsa_user_sgpr_dispatch_id 0
		.amdhsa_user_sgpr_flat_scratch_init 0
		.amdhsa_user_sgpr_private_segment_size 0
		.amdhsa_uses_dynamic_stack 0
		.amdhsa_system_sgpr_private_segment_wavefront_offset 0
		.amdhsa_system_sgpr_workgroup_id_x 1
		.amdhsa_system_sgpr_workgroup_id_y 0
		.amdhsa_system_sgpr_workgroup_id_z 0
		.amdhsa_system_sgpr_workgroup_info 0
		.amdhsa_system_vgpr_workitem_id 0
		.amdhsa_next_free_vgpr 1
		.amdhsa_next_free_sgpr 0
		.amdhsa_reserve_vcc 0
		.amdhsa_reserve_flat_scratch 0
		.amdhsa_float_round_mode_32 0
		.amdhsa_float_round_mode_16_64 0
		.amdhsa_float_denorm_mode_32 3
		.amdhsa_float_denorm_mode_16_64 3
		.amdhsa_dx10_clamp 1
		.amdhsa_ieee_mode 1
		.amdhsa_fp16_overflow 0
		.amdhsa_exception_fp_ieee_invalid_op 0
		.amdhsa_exception_fp_denorm_src 0
		.amdhsa_exception_fp_ieee_div_zero 0
		.amdhsa_exception_fp_ieee_overflow 0
		.amdhsa_exception_fp_ieee_underflow 0
		.amdhsa_exception_fp_ieee_inexact 0
		.amdhsa_exception_int_div_zero 0
	.end_amdhsa_kernel
	.section	.text._ZN7rocprim17ROCPRIM_400000_NS6detail17trampoline_kernelINS0_13select_configILj256ELj13ELNS0_17block_load_methodE3ELS4_3ELS4_3ELNS0_20block_scan_algorithmE0ELj4294967295EEENS1_25partition_config_selectorILNS1_17partition_subalgoE3EjNS0_10empty_typeEbEEZZNS1_14partition_implILS8_3ELb0ES6_jNS0_17counting_iteratorIjlEEPS9_SE_NS0_5tupleIJPjSE_EEENSF_IJSE_SE_EEES9_SG_JZNS1_25segmented_radix_sort_implINS0_14default_configELb0EPKaPaPKlPlN2at6native12_GLOBAL__N_18offset_tEEE10hipError_tPvRmT1_PNSt15iterator_traitsISY_E10value_typeET2_T3_PNSZ_IS14_E10value_typeET4_jRbjT5_S1A_jjP12ihipStream_tbEUljE_EEESV_SW_SX_S14_S18_S1A_T6_T7_T9_mT8_S1C_bDpT10_ENKUlT_T0_E_clISt17integral_constantIbLb0EES1O_IbLb1EEEEDaS1K_S1L_EUlS1K_E_NS1_11comp_targetILNS1_3genE4ELNS1_11target_archE910ELNS1_3gpuE8ELNS1_3repE0EEENS1_30default_config_static_selectorELNS0_4arch9wavefront6targetE1EEEvSY_,"axG",@progbits,_ZN7rocprim17ROCPRIM_400000_NS6detail17trampoline_kernelINS0_13select_configILj256ELj13ELNS0_17block_load_methodE3ELS4_3ELS4_3ELNS0_20block_scan_algorithmE0ELj4294967295EEENS1_25partition_config_selectorILNS1_17partition_subalgoE3EjNS0_10empty_typeEbEEZZNS1_14partition_implILS8_3ELb0ES6_jNS0_17counting_iteratorIjlEEPS9_SE_NS0_5tupleIJPjSE_EEENSF_IJSE_SE_EEES9_SG_JZNS1_25segmented_radix_sort_implINS0_14default_configELb0EPKaPaPKlPlN2at6native12_GLOBAL__N_18offset_tEEE10hipError_tPvRmT1_PNSt15iterator_traitsISY_E10value_typeET2_T3_PNSZ_IS14_E10value_typeET4_jRbjT5_S1A_jjP12ihipStream_tbEUljE_EEESV_SW_SX_S14_S18_S1A_T6_T7_T9_mT8_S1C_bDpT10_ENKUlT_T0_E_clISt17integral_constantIbLb0EES1O_IbLb1EEEEDaS1K_S1L_EUlS1K_E_NS1_11comp_targetILNS1_3genE4ELNS1_11target_archE910ELNS1_3gpuE8ELNS1_3repE0EEENS1_30default_config_static_selectorELNS0_4arch9wavefront6targetE1EEEvSY_,comdat
.Lfunc_end387:
	.size	_ZN7rocprim17ROCPRIM_400000_NS6detail17trampoline_kernelINS0_13select_configILj256ELj13ELNS0_17block_load_methodE3ELS4_3ELS4_3ELNS0_20block_scan_algorithmE0ELj4294967295EEENS1_25partition_config_selectorILNS1_17partition_subalgoE3EjNS0_10empty_typeEbEEZZNS1_14partition_implILS8_3ELb0ES6_jNS0_17counting_iteratorIjlEEPS9_SE_NS0_5tupleIJPjSE_EEENSF_IJSE_SE_EEES9_SG_JZNS1_25segmented_radix_sort_implINS0_14default_configELb0EPKaPaPKlPlN2at6native12_GLOBAL__N_18offset_tEEE10hipError_tPvRmT1_PNSt15iterator_traitsISY_E10value_typeET2_T3_PNSZ_IS14_E10value_typeET4_jRbjT5_S1A_jjP12ihipStream_tbEUljE_EEESV_SW_SX_S14_S18_S1A_T6_T7_T9_mT8_S1C_bDpT10_ENKUlT_T0_E_clISt17integral_constantIbLb0EES1O_IbLb1EEEEDaS1K_S1L_EUlS1K_E_NS1_11comp_targetILNS1_3genE4ELNS1_11target_archE910ELNS1_3gpuE8ELNS1_3repE0EEENS1_30default_config_static_selectorELNS0_4arch9wavefront6targetE1EEEvSY_, .Lfunc_end387-_ZN7rocprim17ROCPRIM_400000_NS6detail17trampoline_kernelINS0_13select_configILj256ELj13ELNS0_17block_load_methodE3ELS4_3ELS4_3ELNS0_20block_scan_algorithmE0ELj4294967295EEENS1_25partition_config_selectorILNS1_17partition_subalgoE3EjNS0_10empty_typeEbEEZZNS1_14partition_implILS8_3ELb0ES6_jNS0_17counting_iteratorIjlEEPS9_SE_NS0_5tupleIJPjSE_EEENSF_IJSE_SE_EEES9_SG_JZNS1_25segmented_radix_sort_implINS0_14default_configELb0EPKaPaPKlPlN2at6native12_GLOBAL__N_18offset_tEEE10hipError_tPvRmT1_PNSt15iterator_traitsISY_E10value_typeET2_T3_PNSZ_IS14_E10value_typeET4_jRbjT5_S1A_jjP12ihipStream_tbEUljE_EEESV_SW_SX_S14_S18_S1A_T6_T7_T9_mT8_S1C_bDpT10_ENKUlT_T0_E_clISt17integral_constantIbLb0EES1O_IbLb1EEEEDaS1K_S1L_EUlS1K_E_NS1_11comp_targetILNS1_3genE4ELNS1_11target_archE910ELNS1_3gpuE8ELNS1_3repE0EEENS1_30default_config_static_selectorELNS0_4arch9wavefront6targetE1EEEvSY_
                                        ; -- End function
	.set _ZN7rocprim17ROCPRIM_400000_NS6detail17trampoline_kernelINS0_13select_configILj256ELj13ELNS0_17block_load_methodE3ELS4_3ELS4_3ELNS0_20block_scan_algorithmE0ELj4294967295EEENS1_25partition_config_selectorILNS1_17partition_subalgoE3EjNS0_10empty_typeEbEEZZNS1_14partition_implILS8_3ELb0ES6_jNS0_17counting_iteratorIjlEEPS9_SE_NS0_5tupleIJPjSE_EEENSF_IJSE_SE_EEES9_SG_JZNS1_25segmented_radix_sort_implINS0_14default_configELb0EPKaPaPKlPlN2at6native12_GLOBAL__N_18offset_tEEE10hipError_tPvRmT1_PNSt15iterator_traitsISY_E10value_typeET2_T3_PNSZ_IS14_E10value_typeET4_jRbjT5_S1A_jjP12ihipStream_tbEUljE_EEESV_SW_SX_S14_S18_S1A_T6_T7_T9_mT8_S1C_bDpT10_ENKUlT_T0_E_clISt17integral_constantIbLb0EES1O_IbLb1EEEEDaS1K_S1L_EUlS1K_E_NS1_11comp_targetILNS1_3genE4ELNS1_11target_archE910ELNS1_3gpuE8ELNS1_3repE0EEENS1_30default_config_static_selectorELNS0_4arch9wavefront6targetE1EEEvSY_.num_vgpr, 0
	.set _ZN7rocprim17ROCPRIM_400000_NS6detail17trampoline_kernelINS0_13select_configILj256ELj13ELNS0_17block_load_methodE3ELS4_3ELS4_3ELNS0_20block_scan_algorithmE0ELj4294967295EEENS1_25partition_config_selectorILNS1_17partition_subalgoE3EjNS0_10empty_typeEbEEZZNS1_14partition_implILS8_3ELb0ES6_jNS0_17counting_iteratorIjlEEPS9_SE_NS0_5tupleIJPjSE_EEENSF_IJSE_SE_EEES9_SG_JZNS1_25segmented_radix_sort_implINS0_14default_configELb0EPKaPaPKlPlN2at6native12_GLOBAL__N_18offset_tEEE10hipError_tPvRmT1_PNSt15iterator_traitsISY_E10value_typeET2_T3_PNSZ_IS14_E10value_typeET4_jRbjT5_S1A_jjP12ihipStream_tbEUljE_EEESV_SW_SX_S14_S18_S1A_T6_T7_T9_mT8_S1C_bDpT10_ENKUlT_T0_E_clISt17integral_constantIbLb0EES1O_IbLb1EEEEDaS1K_S1L_EUlS1K_E_NS1_11comp_targetILNS1_3genE4ELNS1_11target_archE910ELNS1_3gpuE8ELNS1_3repE0EEENS1_30default_config_static_selectorELNS0_4arch9wavefront6targetE1EEEvSY_.num_agpr, 0
	.set _ZN7rocprim17ROCPRIM_400000_NS6detail17trampoline_kernelINS0_13select_configILj256ELj13ELNS0_17block_load_methodE3ELS4_3ELS4_3ELNS0_20block_scan_algorithmE0ELj4294967295EEENS1_25partition_config_selectorILNS1_17partition_subalgoE3EjNS0_10empty_typeEbEEZZNS1_14partition_implILS8_3ELb0ES6_jNS0_17counting_iteratorIjlEEPS9_SE_NS0_5tupleIJPjSE_EEENSF_IJSE_SE_EEES9_SG_JZNS1_25segmented_radix_sort_implINS0_14default_configELb0EPKaPaPKlPlN2at6native12_GLOBAL__N_18offset_tEEE10hipError_tPvRmT1_PNSt15iterator_traitsISY_E10value_typeET2_T3_PNSZ_IS14_E10value_typeET4_jRbjT5_S1A_jjP12ihipStream_tbEUljE_EEESV_SW_SX_S14_S18_S1A_T6_T7_T9_mT8_S1C_bDpT10_ENKUlT_T0_E_clISt17integral_constantIbLb0EES1O_IbLb1EEEEDaS1K_S1L_EUlS1K_E_NS1_11comp_targetILNS1_3genE4ELNS1_11target_archE910ELNS1_3gpuE8ELNS1_3repE0EEENS1_30default_config_static_selectorELNS0_4arch9wavefront6targetE1EEEvSY_.numbered_sgpr, 0
	.set _ZN7rocprim17ROCPRIM_400000_NS6detail17trampoline_kernelINS0_13select_configILj256ELj13ELNS0_17block_load_methodE3ELS4_3ELS4_3ELNS0_20block_scan_algorithmE0ELj4294967295EEENS1_25partition_config_selectorILNS1_17partition_subalgoE3EjNS0_10empty_typeEbEEZZNS1_14partition_implILS8_3ELb0ES6_jNS0_17counting_iteratorIjlEEPS9_SE_NS0_5tupleIJPjSE_EEENSF_IJSE_SE_EEES9_SG_JZNS1_25segmented_radix_sort_implINS0_14default_configELb0EPKaPaPKlPlN2at6native12_GLOBAL__N_18offset_tEEE10hipError_tPvRmT1_PNSt15iterator_traitsISY_E10value_typeET2_T3_PNSZ_IS14_E10value_typeET4_jRbjT5_S1A_jjP12ihipStream_tbEUljE_EEESV_SW_SX_S14_S18_S1A_T6_T7_T9_mT8_S1C_bDpT10_ENKUlT_T0_E_clISt17integral_constantIbLb0EES1O_IbLb1EEEEDaS1K_S1L_EUlS1K_E_NS1_11comp_targetILNS1_3genE4ELNS1_11target_archE910ELNS1_3gpuE8ELNS1_3repE0EEENS1_30default_config_static_selectorELNS0_4arch9wavefront6targetE1EEEvSY_.num_named_barrier, 0
	.set _ZN7rocprim17ROCPRIM_400000_NS6detail17trampoline_kernelINS0_13select_configILj256ELj13ELNS0_17block_load_methodE3ELS4_3ELS4_3ELNS0_20block_scan_algorithmE0ELj4294967295EEENS1_25partition_config_selectorILNS1_17partition_subalgoE3EjNS0_10empty_typeEbEEZZNS1_14partition_implILS8_3ELb0ES6_jNS0_17counting_iteratorIjlEEPS9_SE_NS0_5tupleIJPjSE_EEENSF_IJSE_SE_EEES9_SG_JZNS1_25segmented_radix_sort_implINS0_14default_configELb0EPKaPaPKlPlN2at6native12_GLOBAL__N_18offset_tEEE10hipError_tPvRmT1_PNSt15iterator_traitsISY_E10value_typeET2_T3_PNSZ_IS14_E10value_typeET4_jRbjT5_S1A_jjP12ihipStream_tbEUljE_EEESV_SW_SX_S14_S18_S1A_T6_T7_T9_mT8_S1C_bDpT10_ENKUlT_T0_E_clISt17integral_constantIbLb0EES1O_IbLb1EEEEDaS1K_S1L_EUlS1K_E_NS1_11comp_targetILNS1_3genE4ELNS1_11target_archE910ELNS1_3gpuE8ELNS1_3repE0EEENS1_30default_config_static_selectorELNS0_4arch9wavefront6targetE1EEEvSY_.private_seg_size, 0
	.set _ZN7rocprim17ROCPRIM_400000_NS6detail17trampoline_kernelINS0_13select_configILj256ELj13ELNS0_17block_load_methodE3ELS4_3ELS4_3ELNS0_20block_scan_algorithmE0ELj4294967295EEENS1_25partition_config_selectorILNS1_17partition_subalgoE3EjNS0_10empty_typeEbEEZZNS1_14partition_implILS8_3ELb0ES6_jNS0_17counting_iteratorIjlEEPS9_SE_NS0_5tupleIJPjSE_EEENSF_IJSE_SE_EEES9_SG_JZNS1_25segmented_radix_sort_implINS0_14default_configELb0EPKaPaPKlPlN2at6native12_GLOBAL__N_18offset_tEEE10hipError_tPvRmT1_PNSt15iterator_traitsISY_E10value_typeET2_T3_PNSZ_IS14_E10value_typeET4_jRbjT5_S1A_jjP12ihipStream_tbEUljE_EEESV_SW_SX_S14_S18_S1A_T6_T7_T9_mT8_S1C_bDpT10_ENKUlT_T0_E_clISt17integral_constantIbLb0EES1O_IbLb1EEEEDaS1K_S1L_EUlS1K_E_NS1_11comp_targetILNS1_3genE4ELNS1_11target_archE910ELNS1_3gpuE8ELNS1_3repE0EEENS1_30default_config_static_selectorELNS0_4arch9wavefront6targetE1EEEvSY_.uses_vcc, 0
	.set _ZN7rocprim17ROCPRIM_400000_NS6detail17trampoline_kernelINS0_13select_configILj256ELj13ELNS0_17block_load_methodE3ELS4_3ELS4_3ELNS0_20block_scan_algorithmE0ELj4294967295EEENS1_25partition_config_selectorILNS1_17partition_subalgoE3EjNS0_10empty_typeEbEEZZNS1_14partition_implILS8_3ELb0ES6_jNS0_17counting_iteratorIjlEEPS9_SE_NS0_5tupleIJPjSE_EEENSF_IJSE_SE_EEES9_SG_JZNS1_25segmented_radix_sort_implINS0_14default_configELb0EPKaPaPKlPlN2at6native12_GLOBAL__N_18offset_tEEE10hipError_tPvRmT1_PNSt15iterator_traitsISY_E10value_typeET2_T3_PNSZ_IS14_E10value_typeET4_jRbjT5_S1A_jjP12ihipStream_tbEUljE_EEESV_SW_SX_S14_S18_S1A_T6_T7_T9_mT8_S1C_bDpT10_ENKUlT_T0_E_clISt17integral_constantIbLb0EES1O_IbLb1EEEEDaS1K_S1L_EUlS1K_E_NS1_11comp_targetILNS1_3genE4ELNS1_11target_archE910ELNS1_3gpuE8ELNS1_3repE0EEENS1_30default_config_static_selectorELNS0_4arch9wavefront6targetE1EEEvSY_.uses_flat_scratch, 0
	.set _ZN7rocprim17ROCPRIM_400000_NS6detail17trampoline_kernelINS0_13select_configILj256ELj13ELNS0_17block_load_methodE3ELS4_3ELS4_3ELNS0_20block_scan_algorithmE0ELj4294967295EEENS1_25partition_config_selectorILNS1_17partition_subalgoE3EjNS0_10empty_typeEbEEZZNS1_14partition_implILS8_3ELb0ES6_jNS0_17counting_iteratorIjlEEPS9_SE_NS0_5tupleIJPjSE_EEENSF_IJSE_SE_EEES9_SG_JZNS1_25segmented_radix_sort_implINS0_14default_configELb0EPKaPaPKlPlN2at6native12_GLOBAL__N_18offset_tEEE10hipError_tPvRmT1_PNSt15iterator_traitsISY_E10value_typeET2_T3_PNSZ_IS14_E10value_typeET4_jRbjT5_S1A_jjP12ihipStream_tbEUljE_EEESV_SW_SX_S14_S18_S1A_T6_T7_T9_mT8_S1C_bDpT10_ENKUlT_T0_E_clISt17integral_constantIbLb0EES1O_IbLb1EEEEDaS1K_S1L_EUlS1K_E_NS1_11comp_targetILNS1_3genE4ELNS1_11target_archE910ELNS1_3gpuE8ELNS1_3repE0EEENS1_30default_config_static_selectorELNS0_4arch9wavefront6targetE1EEEvSY_.has_dyn_sized_stack, 0
	.set _ZN7rocprim17ROCPRIM_400000_NS6detail17trampoline_kernelINS0_13select_configILj256ELj13ELNS0_17block_load_methodE3ELS4_3ELS4_3ELNS0_20block_scan_algorithmE0ELj4294967295EEENS1_25partition_config_selectorILNS1_17partition_subalgoE3EjNS0_10empty_typeEbEEZZNS1_14partition_implILS8_3ELb0ES6_jNS0_17counting_iteratorIjlEEPS9_SE_NS0_5tupleIJPjSE_EEENSF_IJSE_SE_EEES9_SG_JZNS1_25segmented_radix_sort_implINS0_14default_configELb0EPKaPaPKlPlN2at6native12_GLOBAL__N_18offset_tEEE10hipError_tPvRmT1_PNSt15iterator_traitsISY_E10value_typeET2_T3_PNSZ_IS14_E10value_typeET4_jRbjT5_S1A_jjP12ihipStream_tbEUljE_EEESV_SW_SX_S14_S18_S1A_T6_T7_T9_mT8_S1C_bDpT10_ENKUlT_T0_E_clISt17integral_constantIbLb0EES1O_IbLb1EEEEDaS1K_S1L_EUlS1K_E_NS1_11comp_targetILNS1_3genE4ELNS1_11target_archE910ELNS1_3gpuE8ELNS1_3repE0EEENS1_30default_config_static_selectorELNS0_4arch9wavefront6targetE1EEEvSY_.has_recursion, 0
	.set _ZN7rocprim17ROCPRIM_400000_NS6detail17trampoline_kernelINS0_13select_configILj256ELj13ELNS0_17block_load_methodE3ELS4_3ELS4_3ELNS0_20block_scan_algorithmE0ELj4294967295EEENS1_25partition_config_selectorILNS1_17partition_subalgoE3EjNS0_10empty_typeEbEEZZNS1_14partition_implILS8_3ELb0ES6_jNS0_17counting_iteratorIjlEEPS9_SE_NS0_5tupleIJPjSE_EEENSF_IJSE_SE_EEES9_SG_JZNS1_25segmented_radix_sort_implINS0_14default_configELb0EPKaPaPKlPlN2at6native12_GLOBAL__N_18offset_tEEE10hipError_tPvRmT1_PNSt15iterator_traitsISY_E10value_typeET2_T3_PNSZ_IS14_E10value_typeET4_jRbjT5_S1A_jjP12ihipStream_tbEUljE_EEESV_SW_SX_S14_S18_S1A_T6_T7_T9_mT8_S1C_bDpT10_ENKUlT_T0_E_clISt17integral_constantIbLb0EES1O_IbLb1EEEEDaS1K_S1L_EUlS1K_E_NS1_11comp_targetILNS1_3genE4ELNS1_11target_archE910ELNS1_3gpuE8ELNS1_3repE0EEENS1_30default_config_static_selectorELNS0_4arch9wavefront6targetE1EEEvSY_.has_indirect_call, 0
	.section	.AMDGPU.csdata,"",@progbits
; Kernel info:
; codeLenInByte = 0
; TotalNumSgprs: 4
; NumVgprs: 0
; ScratchSize: 0
; MemoryBound: 0
; FloatMode: 240
; IeeeMode: 1
; LDSByteSize: 0 bytes/workgroup (compile time only)
; SGPRBlocks: 0
; VGPRBlocks: 0
; NumSGPRsForWavesPerEU: 4
; NumVGPRsForWavesPerEU: 1
; Occupancy: 10
; WaveLimiterHint : 0
; COMPUTE_PGM_RSRC2:SCRATCH_EN: 0
; COMPUTE_PGM_RSRC2:USER_SGPR: 6
; COMPUTE_PGM_RSRC2:TRAP_HANDLER: 0
; COMPUTE_PGM_RSRC2:TGID_X_EN: 1
; COMPUTE_PGM_RSRC2:TGID_Y_EN: 0
; COMPUTE_PGM_RSRC2:TGID_Z_EN: 0
; COMPUTE_PGM_RSRC2:TIDIG_COMP_CNT: 0
	.section	.text._ZN7rocprim17ROCPRIM_400000_NS6detail17trampoline_kernelINS0_13select_configILj256ELj13ELNS0_17block_load_methodE3ELS4_3ELS4_3ELNS0_20block_scan_algorithmE0ELj4294967295EEENS1_25partition_config_selectorILNS1_17partition_subalgoE3EjNS0_10empty_typeEbEEZZNS1_14partition_implILS8_3ELb0ES6_jNS0_17counting_iteratorIjlEEPS9_SE_NS0_5tupleIJPjSE_EEENSF_IJSE_SE_EEES9_SG_JZNS1_25segmented_radix_sort_implINS0_14default_configELb0EPKaPaPKlPlN2at6native12_GLOBAL__N_18offset_tEEE10hipError_tPvRmT1_PNSt15iterator_traitsISY_E10value_typeET2_T3_PNSZ_IS14_E10value_typeET4_jRbjT5_S1A_jjP12ihipStream_tbEUljE_EEESV_SW_SX_S14_S18_S1A_T6_T7_T9_mT8_S1C_bDpT10_ENKUlT_T0_E_clISt17integral_constantIbLb0EES1O_IbLb1EEEEDaS1K_S1L_EUlS1K_E_NS1_11comp_targetILNS1_3genE3ELNS1_11target_archE908ELNS1_3gpuE7ELNS1_3repE0EEENS1_30default_config_static_selectorELNS0_4arch9wavefront6targetE1EEEvSY_,"axG",@progbits,_ZN7rocprim17ROCPRIM_400000_NS6detail17trampoline_kernelINS0_13select_configILj256ELj13ELNS0_17block_load_methodE3ELS4_3ELS4_3ELNS0_20block_scan_algorithmE0ELj4294967295EEENS1_25partition_config_selectorILNS1_17partition_subalgoE3EjNS0_10empty_typeEbEEZZNS1_14partition_implILS8_3ELb0ES6_jNS0_17counting_iteratorIjlEEPS9_SE_NS0_5tupleIJPjSE_EEENSF_IJSE_SE_EEES9_SG_JZNS1_25segmented_radix_sort_implINS0_14default_configELb0EPKaPaPKlPlN2at6native12_GLOBAL__N_18offset_tEEE10hipError_tPvRmT1_PNSt15iterator_traitsISY_E10value_typeET2_T3_PNSZ_IS14_E10value_typeET4_jRbjT5_S1A_jjP12ihipStream_tbEUljE_EEESV_SW_SX_S14_S18_S1A_T6_T7_T9_mT8_S1C_bDpT10_ENKUlT_T0_E_clISt17integral_constantIbLb0EES1O_IbLb1EEEEDaS1K_S1L_EUlS1K_E_NS1_11comp_targetILNS1_3genE3ELNS1_11target_archE908ELNS1_3gpuE7ELNS1_3repE0EEENS1_30default_config_static_selectorELNS0_4arch9wavefront6targetE1EEEvSY_,comdat
	.globl	_ZN7rocprim17ROCPRIM_400000_NS6detail17trampoline_kernelINS0_13select_configILj256ELj13ELNS0_17block_load_methodE3ELS4_3ELS4_3ELNS0_20block_scan_algorithmE0ELj4294967295EEENS1_25partition_config_selectorILNS1_17partition_subalgoE3EjNS0_10empty_typeEbEEZZNS1_14partition_implILS8_3ELb0ES6_jNS0_17counting_iteratorIjlEEPS9_SE_NS0_5tupleIJPjSE_EEENSF_IJSE_SE_EEES9_SG_JZNS1_25segmented_radix_sort_implINS0_14default_configELb0EPKaPaPKlPlN2at6native12_GLOBAL__N_18offset_tEEE10hipError_tPvRmT1_PNSt15iterator_traitsISY_E10value_typeET2_T3_PNSZ_IS14_E10value_typeET4_jRbjT5_S1A_jjP12ihipStream_tbEUljE_EEESV_SW_SX_S14_S18_S1A_T6_T7_T9_mT8_S1C_bDpT10_ENKUlT_T0_E_clISt17integral_constantIbLb0EES1O_IbLb1EEEEDaS1K_S1L_EUlS1K_E_NS1_11comp_targetILNS1_3genE3ELNS1_11target_archE908ELNS1_3gpuE7ELNS1_3repE0EEENS1_30default_config_static_selectorELNS0_4arch9wavefront6targetE1EEEvSY_ ; -- Begin function _ZN7rocprim17ROCPRIM_400000_NS6detail17trampoline_kernelINS0_13select_configILj256ELj13ELNS0_17block_load_methodE3ELS4_3ELS4_3ELNS0_20block_scan_algorithmE0ELj4294967295EEENS1_25partition_config_selectorILNS1_17partition_subalgoE3EjNS0_10empty_typeEbEEZZNS1_14partition_implILS8_3ELb0ES6_jNS0_17counting_iteratorIjlEEPS9_SE_NS0_5tupleIJPjSE_EEENSF_IJSE_SE_EEES9_SG_JZNS1_25segmented_radix_sort_implINS0_14default_configELb0EPKaPaPKlPlN2at6native12_GLOBAL__N_18offset_tEEE10hipError_tPvRmT1_PNSt15iterator_traitsISY_E10value_typeET2_T3_PNSZ_IS14_E10value_typeET4_jRbjT5_S1A_jjP12ihipStream_tbEUljE_EEESV_SW_SX_S14_S18_S1A_T6_T7_T9_mT8_S1C_bDpT10_ENKUlT_T0_E_clISt17integral_constantIbLb0EES1O_IbLb1EEEEDaS1K_S1L_EUlS1K_E_NS1_11comp_targetILNS1_3genE3ELNS1_11target_archE908ELNS1_3gpuE7ELNS1_3repE0EEENS1_30default_config_static_selectorELNS0_4arch9wavefront6targetE1EEEvSY_
	.p2align	8
	.type	_ZN7rocprim17ROCPRIM_400000_NS6detail17trampoline_kernelINS0_13select_configILj256ELj13ELNS0_17block_load_methodE3ELS4_3ELS4_3ELNS0_20block_scan_algorithmE0ELj4294967295EEENS1_25partition_config_selectorILNS1_17partition_subalgoE3EjNS0_10empty_typeEbEEZZNS1_14partition_implILS8_3ELb0ES6_jNS0_17counting_iteratorIjlEEPS9_SE_NS0_5tupleIJPjSE_EEENSF_IJSE_SE_EEES9_SG_JZNS1_25segmented_radix_sort_implINS0_14default_configELb0EPKaPaPKlPlN2at6native12_GLOBAL__N_18offset_tEEE10hipError_tPvRmT1_PNSt15iterator_traitsISY_E10value_typeET2_T3_PNSZ_IS14_E10value_typeET4_jRbjT5_S1A_jjP12ihipStream_tbEUljE_EEESV_SW_SX_S14_S18_S1A_T6_T7_T9_mT8_S1C_bDpT10_ENKUlT_T0_E_clISt17integral_constantIbLb0EES1O_IbLb1EEEEDaS1K_S1L_EUlS1K_E_NS1_11comp_targetILNS1_3genE3ELNS1_11target_archE908ELNS1_3gpuE7ELNS1_3repE0EEENS1_30default_config_static_selectorELNS0_4arch9wavefront6targetE1EEEvSY_,@function
_ZN7rocprim17ROCPRIM_400000_NS6detail17trampoline_kernelINS0_13select_configILj256ELj13ELNS0_17block_load_methodE3ELS4_3ELS4_3ELNS0_20block_scan_algorithmE0ELj4294967295EEENS1_25partition_config_selectorILNS1_17partition_subalgoE3EjNS0_10empty_typeEbEEZZNS1_14partition_implILS8_3ELb0ES6_jNS0_17counting_iteratorIjlEEPS9_SE_NS0_5tupleIJPjSE_EEENSF_IJSE_SE_EEES9_SG_JZNS1_25segmented_radix_sort_implINS0_14default_configELb0EPKaPaPKlPlN2at6native12_GLOBAL__N_18offset_tEEE10hipError_tPvRmT1_PNSt15iterator_traitsISY_E10value_typeET2_T3_PNSZ_IS14_E10value_typeET4_jRbjT5_S1A_jjP12ihipStream_tbEUljE_EEESV_SW_SX_S14_S18_S1A_T6_T7_T9_mT8_S1C_bDpT10_ENKUlT_T0_E_clISt17integral_constantIbLb0EES1O_IbLb1EEEEDaS1K_S1L_EUlS1K_E_NS1_11comp_targetILNS1_3genE3ELNS1_11target_archE908ELNS1_3gpuE7ELNS1_3repE0EEENS1_30default_config_static_selectorELNS0_4arch9wavefront6targetE1EEEvSY_: ; @_ZN7rocprim17ROCPRIM_400000_NS6detail17trampoline_kernelINS0_13select_configILj256ELj13ELNS0_17block_load_methodE3ELS4_3ELS4_3ELNS0_20block_scan_algorithmE0ELj4294967295EEENS1_25partition_config_selectorILNS1_17partition_subalgoE3EjNS0_10empty_typeEbEEZZNS1_14partition_implILS8_3ELb0ES6_jNS0_17counting_iteratorIjlEEPS9_SE_NS0_5tupleIJPjSE_EEENSF_IJSE_SE_EEES9_SG_JZNS1_25segmented_radix_sort_implINS0_14default_configELb0EPKaPaPKlPlN2at6native12_GLOBAL__N_18offset_tEEE10hipError_tPvRmT1_PNSt15iterator_traitsISY_E10value_typeET2_T3_PNSZ_IS14_E10value_typeET4_jRbjT5_S1A_jjP12ihipStream_tbEUljE_EEESV_SW_SX_S14_S18_S1A_T6_T7_T9_mT8_S1C_bDpT10_ENKUlT_T0_E_clISt17integral_constantIbLb0EES1O_IbLb1EEEEDaS1K_S1L_EUlS1K_E_NS1_11comp_targetILNS1_3genE3ELNS1_11target_archE908ELNS1_3gpuE7ELNS1_3repE0EEENS1_30default_config_static_selectorELNS0_4arch9wavefront6targetE1EEEvSY_
; %bb.0:
	.section	.rodata,"a",@progbits
	.p2align	6, 0x0
	.amdhsa_kernel _ZN7rocprim17ROCPRIM_400000_NS6detail17trampoline_kernelINS0_13select_configILj256ELj13ELNS0_17block_load_methodE3ELS4_3ELS4_3ELNS0_20block_scan_algorithmE0ELj4294967295EEENS1_25partition_config_selectorILNS1_17partition_subalgoE3EjNS0_10empty_typeEbEEZZNS1_14partition_implILS8_3ELb0ES6_jNS0_17counting_iteratorIjlEEPS9_SE_NS0_5tupleIJPjSE_EEENSF_IJSE_SE_EEES9_SG_JZNS1_25segmented_radix_sort_implINS0_14default_configELb0EPKaPaPKlPlN2at6native12_GLOBAL__N_18offset_tEEE10hipError_tPvRmT1_PNSt15iterator_traitsISY_E10value_typeET2_T3_PNSZ_IS14_E10value_typeET4_jRbjT5_S1A_jjP12ihipStream_tbEUljE_EEESV_SW_SX_S14_S18_S1A_T6_T7_T9_mT8_S1C_bDpT10_ENKUlT_T0_E_clISt17integral_constantIbLb0EES1O_IbLb1EEEEDaS1K_S1L_EUlS1K_E_NS1_11comp_targetILNS1_3genE3ELNS1_11target_archE908ELNS1_3gpuE7ELNS1_3repE0EEENS1_30default_config_static_selectorELNS0_4arch9wavefront6targetE1EEEvSY_
		.amdhsa_group_segment_fixed_size 0
		.amdhsa_private_segment_fixed_size 0
		.amdhsa_kernarg_size 152
		.amdhsa_user_sgpr_count 6
		.amdhsa_user_sgpr_private_segment_buffer 1
		.amdhsa_user_sgpr_dispatch_ptr 0
		.amdhsa_user_sgpr_queue_ptr 0
		.amdhsa_user_sgpr_kernarg_segment_ptr 1
		.amdhsa_user_sgpr_dispatch_id 0
		.amdhsa_user_sgpr_flat_scratch_init 0
		.amdhsa_user_sgpr_private_segment_size 0
		.amdhsa_uses_dynamic_stack 0
		.amdhsa_system_sgpr_private_segment_wavefront_offset 0
		.amdhsa_system_sgpr_workgroup_id_x 1
		.amdhsa_system_sgpr_workgroup_id_y 0
		.amdhsa_system_sgpr_workgroup_id_z 0
		.amdhsa_system_sgpr_workgroup_info 0
		.amdhsa_system_vgpr_workitem_id 0
		.amdhsa_next_free_vgpr 1
		.amdhsa_next_free_sgpr 0
		.amdhsa_reserve_vcc 0
		.amdhsa_reserve_flat_scratch 0
		.amdhsa_float_round_mode_32 0
		.amdhsa_float_round_mode_16_64 0
		.amdhsa_float_denorm_mode_32 3
		.amdhsa_float_denorm_mode_16_64 3
		.amdhsa_dx10_clamp 1
		.amdhsa_ieee_mode 1
		.amdhsa_fp16_overflow 0
		.amdhsa_exception_fp_ieee_invalid_op 0
		.amdhsa_exception_fp_denorm_src 0
		.amdhsa_exception_fp_ieee_div_zero 0
		.amdhsa_exception_fp_ieee_overflow 0
		.amdhsa_exception_fp_ieee_underflow 0
		.amdhsa_exception_fp_ieee_inexact 0
		.amdhsa_exception_int_div_zero 0
	.end_amdhsa_kernel
	.section	.text._ZN7rocprim17ROCPRIM_400000_NS6detail17trampoline_kernelINS0_13select_configILj256ELj13ELNS0_17block_load_methodE3ELS4_3ELS4_3ELNS0_20block_scan_algorithmE0ELj4294967295EEENS1_25partition_config_selectorILNS1_17partition_subalgoE3EjNS0_10empty_typeEbEEZZNS1_14partition_implILS8_3ELb0ES6_jNS0_17counting_iteratorIjlEEPS9_SE_NS0_5tupleIJPjSE_EEENSF_IJSE_SE_EEES9_SG_JZNS1_25segmented_radix_sort_implINS0_14default_configELb0EPKaPaPKlPlN2at6native12_GLOBAL__N_18offset_tEEE10hipError_tPvRmT1_PNSt15iterator_traitsISY_E10value_typeET2_T3_PNSZ_IS14_E10value_typeET4_jRbjT5_S1A_jjP12ihipStream_tbEUljE_EEESV_SW_SX_S14_S18_S1A_T6_T7_T9_mT8_S1C_bDpT10_ENKUlT_T0_E_clISt17integral_constantIbLb0EES1O_IbLb1EEEEDaS1K_S1L_EUlS1K_E_NS1_11comp_targetILNS1_3genE3ELNS1_11target_archE908ELNS1_3gpuE7ELNS1_3repE0EEENS1_30default_config_static_selectorELNS0_4arch9wavefront6targetE1EEEvSY_,"axG",@progbits,_ZN7rocprim17ROCPRIM_400000_NS6detail17trampoline_kernelINS0_13select_configILj256ELj13ELNS0_17block_load_methodE3ELS4_3ELS4_3ELNS0_20block_scan_algorithmE0ELj4294967295EEENS1_25partition_config_selectorILNS1_17partition_subalgoE3EjNS0_10empty_typeEbEEZZNS1_14partition_implILS8_3ELb0ES6_jNS0_17counting_iteratorIjlEEPS9_SE_NS0_5tupleIJPjSE_EEENSF_IJSE_SE_EEES9_SG_JZNS1_25segmented_radix_sort_implINS0_14default_configELb0EPKaPaPKlPlN2at6native12_GLOBAL__N_18offset_tEEE10hipError_tPvRmT1_PNSt15iterator_traitsISY_E10value_typeET2_T3_PNSZ_IS14_E10value_typeET4_jRbjT5_S1A_jjP12ihipStream_tbEUljE_EEESV_SW_SX_S14_S18_S1A_T6_T7_T9_mT8_S1C_bDpT10_ENKUlT_T0_E_clISt17integral_constantIbLb0EES1O_IbLb1EEEEDaS1K_S1L_EUlS1K_E_NS1_11comp_targetILNS1_3genE3ELNS1_11target_archE908ELNS1_3gpuE7ELNS1_3repE0EEENS1_30default_config_static_selectorELNS0_4arch9wavefront6targetE1EEEvSY_,comdat
.Lfunc_end388:
	.size	_ZN7rocprim17ROCPRIM_400000_NS6detail17trampoline_kernelINS0_13select_configILj256ELj13ELNS0_17block_load_methodE3ELS4_3ELS4_3ELNS0_20block_scan_algorithmE0ELj4294967295EEENS1_25partition_config_selectorILNS1_17partition_subalgoE3EjNS0_10empty_typeEbEEZZNS1_14partition_implILS8_3ELb0ES6_jNS0_17counting_iteratorIjlEEPS9_SE_NS0_5tupleIJPjSE_EEENSF_IJSE_SE_EEES9_SG_JZNS1_25segmented_radix_sort_implINS0_14default_configELb0EPKaPaPKlPlN2at6native12_GLOBAL__N_18offset_tEEE10hipError_tPvRmT1_PNSt15iterator_traitsISY_E10value_typeET2_T3_PNSZ_IS14_E10value_typeET4_jRbjT5_S1A_jjP12ihipStream_tbEUljE_EEESV_SW_SX_S14_S18_S1A_T6_T7_T9_mT8_S1C_bDpT10_ENKUlT_T0_E_clISt17integral_constantIbLb0EES1O_IbLb1EEEEDaS1K_S1L_EUlS1K_E_NS1_11comp_targetILNS1_3genE3ELNS1_11target_archE908ELNS1_3gpuE7ELNS1_3repE0EEENS1_30default_config_static_selectorELNS0_4arch9wavefront6targetE1EEEvSY_, .Lfunc_end388-_ZN7rocprim17ROCPRIM_400000_NS6detail17trampoline_kernelINS0_13select_configILj256ELj13ELNS0_17block_load_methodE3ELS4_3ELS4_3ELNS0_20block_scan_algorithmE0ELj4294967295EEENS1_25partition_config_selectorILNS1_17partition_subalgoE3EjNS0_10empty_typeEbEEZZNS1_14partition_implILS8_3ELb0ES6_jNS0_17counting_iteratorIjlEEPS9_SE_NS0_5tupleIJPjSE_EEENSF_IJSE_SE_EEES9_SG_JZNS1_25segmented_radix_sort_implINS0_14default_configELb0EPKaPaPKlPlN2at6native12_GLOBAL__N_18offset_tEEE10hipError_tPvRmT1_PNSt15iterator_traitsISY_E10value_typeET2_T3_PNSZ_IS14_E10value_typeET4_jRbjT5_S1A_jjP12ihipStream_tbEUljE_EEESV_SW_SX_S14_S18_S1A_T6_T7_T9_mT8_S1C_bDpT10_ENKUlT_T0_E_clISt17integral_constantIbLb0EES1O_IbLb1EEEEDaS1K_S1L_EUlS1K_E_NS1_11comp_targetILNS1_3genE3ELNS1_11target_archE908ELNS1_3gpuE7ELNS1_3repE0EEENS1_30default_config_static_selectorELNS0_4arch9wavefront6targetE1EEEvSY_
                                        ; -- End function
	.set _ZN7rocprim17ROCPRIM_400000_NS6detail17trampoline_kernelINS0_13select_configILj256ELj13ELNS0_17block_load_methodE3ELS4_3ELS4_3ELNS0_20block_scan_algorithmE0ELj4294967295EEENS1_25partition_config_selectorILNS1_17partition_subalgoE3EjNS0_10empty_typeEbEEZZNS1_14partition_implILS8_3ELb0ES6_jNS0_17counting_iteratorIjlEEPS9_SE_NS0_5tupleIJPjSE_EEENSF_IJSE_SE_EEES9_SG_JZNS1_25segmented_radix_sort_implINS0_14default_configELb0EPKaPaPKlPlN2at6native12_GLOBAL__N_18offset_tEEE10hipError_tPvRmT1_PNSt15iterator_traitsISY_E10value_typeET2_T3_PNSZ_IS14_E10value_typeET4_jRbjT5_S1A_jjP12ihipStream_tbEUljE_EEESV_SW_SX_S14_S18_S1A_T6_T7_T9_mT8_S1C_bDpT10_ENKUlT_T0_E_clISt17integral_constantIbLb0EES1O_IbLb1EEEEDaS1K_S1L_EUlS1K_E_NS1_11comp_targetILNS1_3genE3ELNS1_11target_archE908ELNS1_3gpuE7ELNS1_3repE0EEENS1_30default_config_static_selectorELNS0_4arch9wavefront6targetE1EEEvSY_.num_vgpr, 0
	.set _ZN7rocprim17ROCPRIM_400000_NS6detail17trampoline_kernelINS0_13select_configILj256ELj13ELNS0_17block_load_methodE3ELS4_3ELS4_3ELNS0_20block_scan_algorithmE0ELj4294967295EEENS1_25partition_config_selectorILNS1_17partition_subalgoE3EjNS0_10empty_typeEbEEZZNS1_14partition_implILS8_3ELb0ES6_jNS0_17counting_iteratorIjlEEPS9_SE_NS0_5tupleIJPjSE_EEENSF_IJSE_SE_EEES9_SG_JZNS1_25segmented_radix_sort_implINS0_14default_configELb0EPKaPaPKlPlN2at6native12_GLOBAL__N_18offset_tEEE10hipError_tPvRmT1_PNSt15iterator_traitsISY_E10value_typeET2_T3_PNSZ_IS14_E10value_typeET4_jRbjT5_S1A_jjP12ihipStream_tbEUljE_EEESV_SW_SX_S14_S18_S1A_T6_T7_T9_mT8_S1C_bDpT10_ENKUlT_T0_E_clISt17integral_constantIbLb0EES1O_IbLb1EEEEDaS1K_S1L_EUlS1K_E_NS1_11comp_targetILNS1_3genE3ELNS1_11target_archE908ELNS1_3gpuE7ELNS1_3repE0EEENS1_30default_config_static_selectorELNS0_4arch9wavefront6targetE1EEEvSY_.num_agpr, 0
	.set _ZN7rocprim17ROCPRIM_400000_NS6detail17trampoline_kernelINS0_13select_configILj256ELj13ELNS0_17block_load_methodE3ELS4_3ELS4_3ELNS0_20block_scan_algorithmE0ELj4294967295EEENS1_25partition_config_selectorILNS1_17partition_subalgoE3EjNS0_10empty_typeEbEEZZNS1_14partition_implILS8_3ELb0ES6_jNS0_17counting_iteratorIjlEEPS9_SE_NS0_5tupleIJPjSE_EEENSF_IJSE_SE_EEES9_SG_JZNS1_25segmented_radix_sort_implINS0_14default_configELb0EPKaPaPKlPlN2at6native12_GLOBAL__N_18offset_tEEE10hipError_tPvRmT1_PNSt15iterator_traitsISY_E10value_typeET2_T3_PNSZ_IS14_E10value_typeET4_jRbjT5_S1A_jjP12ihipStream_tbEUljE_EEESV_SW_SX_S14_S18_S1A_T6_T7_T9_mT8_S1C_bDpT10_ENKUlT_T0_E_clISt17integral_constantIbLb0EES1O_IbLb1EEEEDaS1K_S1L_EUlS1K_E_NS1_11comp_targetILNS1_3genE3ELNS1_11target_archE908ELNS1_3gpuE7ELNS1_3repE0EEENS1_30default_config_static_selectorELNS0_4arch9wavefront6targetE1EEEvSY_.numbered_sgpr, 0
	.set _ZN7rocprim17ROCPRIM_400000_NS6detail17trampoline_kernelINS0_13select_configILj256ELj13ELNS0_17block_load_methodE3ELS4_3ELS4_3ELNS0_20block_scan_algorithmE0ELj4294967295EEENS1_25partition_config_selectorILNS1_17partition_subalgoE3EjNS0_10empty_typeEbEEZZNS1_14partition_implILS8_3ELb0ES6_jNS0_17counting_iteratorIjlEEPS9_SE_NS0_5tupleIJPjSE_EEENSF_IJSE_SE_EEES9_SG_JZNS1_25segmented_radix_sort_implINS0_14default_configELb0EPKaPaPKlPlN2at6native12_GLOBAL__N_18offset_tEEE10hipError_tPvRmT1_PNSt15iterator_traitsISY_E10value_typeET2_T3_PNSZ_IS14_E10value_typeET4_jRbjT5_S1A_jjP12ihipStream_tbEUljE_EEESV_SW_SX_S14_S18_S1A_T6_T7_T9_mT8_S1C_bDpT10_ENKUlT_T0_E_clISt17integral_constantIbLb0EES1O_IbLb1EEEEDaS1K_S1L_EUlS1K_E_NS1_11comp_targetILNS1_3genE3ELNS1_11target_archE908ELNS1_3gpuE7ELNS1_3repE0EEENS1_30default_config_static_selectorELNS0_4arch9wavefront6targetE1EEEvSY_.num_named_barrier, 0
	.set _ZN7rocprim17ROCPRIM_400000_NS6detail17trampoline_kernelINS0_13select_configILj256ELj13ELNS0_17block_load_methodE3ELS4_3ELS4_3ELNS0_20block_scan_algorithmE0ELj4294967295EEENS1_25partition_config_selectorILNS1_17partition_subalgoE3EjNS0_10empty_typeEbEEZZNS1_14partition_implILS8_3ELb0ES6_jNS0_17counting_iteratorIjlEEPS9_SE_NS0_5tupleIJPjSE_EEENSF_IJSE_SE_EEES9_SG_JZNS1_25segmented_radix_sort_implINS0_14default_configELb0EPKaPaPKlPlN2at6native12_GLOBAL__N_18offset_tEEE10hipError_tPvRmT1_PNSt15iterator_traitsISY_E10value_typeET2_T3_PNSZ_IS14_E10value_typeET4_jRbjT5_S1A_jjP12ihipStream_tbEUljE_EEESV_SW_SX_S14_S18_S1A_T6_T7_T9_mT8_S1C_bDpT10_ENKUlT_T0_E_clISt17integral_constantIbLb0EES1O_IbLb1EEEEDaS1K_S1L_EUlS1K_E_NS1_11comp_targetILNS1_3genE3ELNS1_11target_archE908ELNS1_3gpuE7ELNS1_3repE0EEENS1_30default_config_static_selectorELNS0_4arch9wavefront6targetE1EEEvSY_.private_seg_size, 0
	.set _ZN7rocprim17ROCPRIM_400000_NS6detail17trampoline_kernelINS0_13select_configILj256ELj13ELNS0_17block_load_methodE3ELS4_3ELS4_3ELNS0_20block_scan_algorithmE0ELj4294967295EEENS1_25partition_config_selectorILNS1_17partition_subalgoE3EjNS0_10empty_typeEbEEZZNS1_14partition_implILS8_3ELb0ES6_jNS0_17counting_iteratorIjlEEPS9_SE_NS0_5tupleIJPjSE_EEENSF_IJSE_SE_EEES9_SG_JZNS1_25segmented_radix_sort_implINS0_14default_configELb0EPKaPaPKlPlN2at6native12_GLOBAL__N_18offset_tEEE10hipError_tPvRmT1_PNSt15iterator_traitsISY_E10value_typeET2_T3_PNSZ_IS14_E10value_typeET4_jRbjT5_S1A_jjP12ihipStream_tbEUljE_EEESV_SW_SX_S14_S18_S1A_T6_T7_T9_mT8_S1C_bDpT10_ENKUlT_T0_E_clISt17integral_constantIbLb0EES1O_IbLb1EEEEDaS1K_S1L_EUlS1K_E_NS1_11comp_targetILNS1_3genE3ELNS1_11target_archE908ELNS1_3gpuE7ELNS1_3repE0EEENS1_30default_config_static_selectorELNS0_4arch9wavefront6targetE1EEEvSY_.uses_vcc, 0
	.set _ZN7rocprim17ROCPRIM_400000_NS6detail17trampoline_kernelINS0_13select_configILj256ELj13ELNS0_17block_load_methodE3ELS4_3ELS4_3ELNS0_20block_scan_algorithmE0ELj4294967295EEENS1_25partition_config_selectorILNS1_17partition_subalgoE3EjNS0_10empty_typeEbEEZZNS1_14partition_implILS8_3ELb0ES6_jNS0_17counting_iteratorIjlEEPS9_SE_NS0_5tupleIJPjSE_EEENSF_IJSE_SE_EEES9_SG_JZNS1_25segmented_radix_sort_implINS0_14default_configELb0EPKaPaPKlPlN2at6native12_GLOBAL__N_18offset_tEEE10hipError_tPvRmT1_PNSt15iterator_traitsISY_E10value_typeET2_T3_PNSZ_IS14_E10value_typeET4_jRbjT5_S1A_jjP12ihipStream_tbEUljE_EEESV_SW_SX_S14_S18_S1A_T6_T7_T9_mT8_S1C_bDpT10_ENKUlT_T0_E_clISt17integral_constantIbLb0EES1O_IbLb1EEEEDaS1K_S1L_EUlS1K_E_NS1_11comp_targetILNS1_3genE3ELNS1_11target_archE908ELNS1_3gpuE7ELNS1_3repE0EEENS1_30default_config_static_selectorELNS0_4arch9wavefront6targetE1EEEvSY_.uses_flat_scratch, 0
	.set _ZN7rocprim17ROCPRIM_400000_NS6detail17trampoline_kernelINS0_13select_configILj256ELj13ELNS0_17block_load_methodE3ELS4_3ELS4_3ELNS0_20block_scan_algorithmE0ELj4294967295EEENS1_25partition_config_selectorILNS1_17partition_subalgoE3EjNS0_10empty_typeEbEEZZNS1_14partition_implILS8_3ELb0ES6_jNS0_17counting_iteratorIjlEEPS9_SE_NS0_5tupleIJPjSE_EEENSF_IJSE_SE_EEES9_SG_JZNS1_25segmented_radix_sort_implINS0_14default_configELb0EPKaPaPKlPlN2at6native12_GLOBAL__N_18offset_tEEE10hipError_tPvRmT1_PNSt15iterator_traitsISY_E10value_typeET2_T3_PNSZ_IS14_E10value_typeET4_jRbjT5_S1A_jjP12ihipStream_tbEUljE_EEESV_SW_SX_S14_S18_S1A_T6_T7_T9_mT8_S1C_bDpT10_ENKUlT_T0_E_clISt17integral_constantIbLb0EES1O_IbLb1EEEEDaS1K_S1L_EUlS1K_E_NS1_11comp_targetILNS1_3genE3ELNS1_11target_archE908ELNS1_3gpuE7ELNS1_3repE0EEENS1_30default_config_static_selectorELNS0_4arch9wavefront6targetE1EEEvSY_.has_dyn_sized_stack, 0
	.set _ZN7rocprim17ROCPRIM_400000_NS6detail17trampoline_kernelINS0_13select_configILj256ELj13ELNS0_17block_load_methodE3ELS4_3ELS4_3ELNS0_20block_scan_algorithmE0ELj4294967295EEENS1_25partition_config_selectorILNS1_17partition_subalgoE3EjNS0_10empty_typeEbEEZZNS1_14partition_implILS8_3ELb0ES6_jNS0_17counting_iteratorIjlEEPS9_SE_NS0_5tupleIJPjSE_EEENSF_IJSE_SE_EEES9_SG_JZNS1_25segmented_radix_sort_implINS0_14default_configELb0EPKaPaPKlPlN2at6native12_GLOBAL__N_18offset_tEEE10hipError_tPvRmT1_PNSt15iterator_traitsISY_E10value_typeET2_T3_PNSZ_IS14_E10value_typeET4_jRbjT5_S1A_jjP12ihipStream_tbEUljE_EEESV_SW_SX_S14_S18_S1A_T6_T7_T9_mT8_S1C_bDpT10_ENKUlT_T0_E_clISt17integral_constantIbLb0EES1O_IbLb1EEEEDaS1K_S1L_EUlS1K_E_NS1_11comp_targetILNS1_3genE3ELNS1_11target_archE908ELNS1_3gpuE7ELNS1_3repE0EEENS1_30default_config_static_selectorELNS0_4arch9wavefront6targetE1EEEvSY_.has_recursion, 0
	.set _ZN7rocprim17ROCPRIM_400000_NS6detail17trampoline_kernelINS0_13select_configILj256ELj13ELNS0_17block_load_methodE3ELS4_3ELS4_3ELNS0_20block_scan_algorithmE0ELj4294967295EEENS1_25partition_config_selectorILNS1_17partition_subalgoE3EjNS0_10empty_typeEbEEZZNS1_14partition_implILS8_3ELb0ES6_jNS0_17counting_iteratorIjlEEPS9_SE_NS0_5tupleIJPjSE_EEENSF_IJSE_SE_EEES9_SG_JZNS1_25segmented_radix_sort_implINS0_14default_configELb0EPKaPaPKlPlN2at6native12_GLOBAL__N_18offset_tEEE10hipError_tPvRmT1_PNSt15iterator_traitsISY_E10value_typeET2_T3_PNSZ_IS14_E10value_typeET4_jRbjT5_S1A_jjP12ihipStream_tbEUljE_EEESV_SW_SX_S14_S18_S1A_T6_T7_T9_mT8_S1C_bDpT10_ENKUlT_T0_E_clISt17integral_constantIbLb0EES1O_IbLb1EEEEDaS1K_S1L_EUlS1K_E_NS1_11comp_targetILNS1_3genE3ELNS1_11target_archE908ELNS1_3gpuE7ELNS1_3repE0EEENS1_30default_config_static_selectorELNS0_4arch9wavefront6targetE1EEEvSY_.has_indirect_call, 0
	.section	.AMDGPU.csdata,"",@progbits
; Kernel info:
; codeLenInByte = 0
; TotalNumSgprs: 4
; NumVgprs: 0
; ScratchSize: 0
; MemoryBound: 0
; FloatMode: 240
; IeeeMode: 1
; LDSByteSize: 0 bytes/workgroup (compile time only)
; SGPRBlocks: 0
; VGPRBlocks: 0
; NumSGPRsForWavesPerEU: 4
; NumVGPRsForWavesPerEU: 1
; Occupancy: 10
; WaveLimiterHint : 0
; COMPUTE_PGM_RSRC2:SCRATCH_EN: 0
; COMPUTE_PGM_RSRC2:USER_SGPR: 6
; COMPUTE_PGM_RSRC2:TRAP_HANDLER: 0
; COMPUTE_PGM_RSRC2:TGID_X_EN: 1
; COMPUTE_PGM_RSRC2:TGID_Y_EN: 0
; COMPUTE_PGM_RSRC2:TGID_Z_EN: 0
; COMPUTE_PGM_RSRC2:TIDIG_COMP_CNT: 0
	.section	.text._ZN7rocprim17ROCPRIM_400000_NS6detail17trampoline_kernelINS0_13select_configILj256ELj13ELNS0_17block_load_methodE3ELS4_3ELS4_3ELNS0_20block_scan_algorithmE0ELj4294967295EEENS1_25partition_config_selectorILNS1_17partition_subalgoE3EjNS0_10empty_typeEbEEZZNS1_14partition_implILS8_3ELb0ES6_jNS0_17counting_iteratorIjlEEPS9_SE_NS0_5tupleIJPjSE_EEENSF_IJSE_SE_EEES9_SG_JZNS1_25segmented_radix_sort_implINS0_14default_configELb0EPKaPaPKlPlN2at6native12_GLOBAL__N_18offset_tEEE10hipError_tPvRmT1_PNSt15iterator_traitsISY_E10value_typeET2_T3_PNSZ_IS14_E10value_typeET4_jRbjT5_S1A_jjP12ihipStream_tbEUljE_EEESV_SW_SX_S14_S18_S1A_T6_T7_T9_mT8_S1C_bDpT10_ENKUlT_T0_E_clISt17integral_constantIbLb0EES1O_IbLb1EEEEDaS1K_S1L_EUlS1K_E_NS1_11comp_targetILNS1_3genE2ELNS1_11target_archE906ELNS1_3gpuE6ELNS1_3repE0EEENS1_30default_config_static_selectorELNS0_4arch9wavefront6targetE1EEEvSY_,"axG",@progbits,_ZN7rocprim17ROCPRIM_400000_NS6detail17trampoline_kernelINS0_13select_configILj256ELj13ELNS0_17block_load_methodE3ELS4_3ELS4_3ELNS0_20block_scan_algorithmE0ELj4294967295EEENS1_25partition_config_selectorILNS1_17partition_subalgoE3EjNS0_10empty_typeEbEEZZNS1_14partition_implILS8_3ELb0ES6_jNS0_17counting_iteratorIjlEEPS9_SE_NS0_5tupleIJPjSE_EEENSF_IJSE_SE_EEES9_SG_JZNS1_25segmented_radix_sort_implINS0_14default_configELb0EPKaPaPKlPlN2at6native12_GLOBAL__N_18offset_tEEE10hipError_tPvRmT1_PNSt15iterator_traitsISY_E10value_typeET2_T3_PNSZ_IS14_E10value_typeET4_jRbjT5_S1A_jjP12ihipStream_tbEUljE_EEESV_SW_SX_S14_S18_S1A_T6_T7_T9_mT8_S1C_bDpT10_ENKUlT_T0_E_clISt17integral_constantIbLb0EES1O_IbLb1EEEEDaS1K_S1L_EUlS1K_E_NS1_11comp_targetILNS1_3genE2ELNS1_11target_archE906ELNS1_3gpuE6ELNS1_3repE0EEENS1_30default_config_static_selectorELNS0_4arch9wavefront6targetE1EEEvSY_,comdat
	.globl	_ZN7rocprim17ROCPRIM_400000_NS6detail17trampoline_kernelINS0_13select_configILj256ELj13ELNS0_17block_load_methodE3ELS4_3ELS4_3ELNS0_20block_scan_algorithmE0ELj4294967295EEENS1_25partition_config_selectorILNS1_17partition_subalgoE3EjNS0_10empty_typeEbEEZZNS1_14partition_implILS8_3ELb0ES6_jNS0_17counting_iteratorIjlEEPS9_SE_NS0_5tupleIJPjSE_EEENSF_IJSE_SE_EEES9_SG_JZNS1_25segmented_radix_sort_implINS0_14default_configELb0EPKaPaPKlPlN2at6native12_GLOBAL__N_18offset_tEEE10hipError_tPvRmT1_PNSt15iterator_traitsISY_E10value_typeET2_T3_PNSZ_IS14_E10value_typeET4_jRbjT5_S1A_jjP12ihipStream_tbEUljE_EEESV_SW_SX_S14_S18_S1A_T6_T7_T9_mT8_S1C_bDpT10_ENKUlT_T0_E_clISt17integral_constantIbLb0EES1O_IbLb1EEEEDaS1K_S1L_EUlS1K_E_NS1_11comp_targetILNS1_3genE2ELNS1_11target_archE906ELNS1_3gpuE6ELNS1_3repE0EEENS1_30default_config_static_selectorELNS0_4arch9wavefront6targetE1EEEvSY_ ; -- Begin function _ZN7rocprim17ROCPRIM_400000_NS6detail17trampoline_kernelINS0_13select_configILj256ELj13ELNS0_17block_load_methodE3ELS4_3ELS4_3ELNS0_20block_scan_algorithmE0ELj4294967295EEENS1_25partition_config_selectorILNS1_17partition_subalgoE3EjNS0_10empty_typeEbEEZZNS1_14partition_implILS8_3ELb0ES6_jNS0_17counting_iteratorIjlEEPS9_SE_NS0_5tupleIJPjSE_EEENSF_IJSE_SE_EEES9_SG_JZNS1_25segmented_radix_sort_implINS0_14default_configELb0EPKaPaPKlPlN2at6native12_GLOBAL__N_18offset_tEEE10hipError_tPvRmT1_PNSt15iterator_traitsISY_E10value_typeET2_T3_PNSZ_IS14_E10value_typeET4_jRbjT5_S1A_jjP12ihipStream_tbEUljE_EEESV_SW_SX_S14_S18_S1A_T6_T7_T9_mT8_S1C_bDpT10_ENKUlT_T0_E_clISt17integral_constantIbLb0EES1O_IbLb1EEEEDaS1K_S1L_EUlS1K_E_NS1_11comp_targetILNS1_3genE2ELNS1_11target_archE906ELNS1_3gpuE6ELNS1_3repE0EEENS1_30default_config_static_selectorELNS0_4arch9wavefront6targetE1EEEvSY_
	.p2align	8
	.type	_ZN7rocprim17ROCPRIM_400000_NS6detail17trampoline_kernelINS0_13select_configILj256ELj13ELNS0_17block_load_methodE3ELS4_3ELS4_3ELNS0_20block_scan_algorithmE0ELj4294967295EEENS1_25partition_config_selectorILNS1_17partition_subalgoE3EjNS0_10empty_typeEbEEZZNS1_14partition_implILS8_3ELb0ES6_jNS0_17counting_iteratorIjlEEPS9_SE_NS0_5tupleIJPjSE_EEENSF_IJSE_SE_EEES9_SG_JZNS1_25segmented_radix_sort_implINS0_14default_configELb0EPKaPaPKlPlN2at6native12_GLOBAL__N_18offset_tEEE10hipError_tPvRmT1_PNSt15iterator_traitsISY_E10value_typeET2_T3_PNSZ_IS14_E10value_typeET4_jRbjT5_S1A_jjP12ihipStream_tbEUljE_EEESV_SW_SX_S14_S18_S1A_T6_T7_T9_mT8_S1C_bDpT10_ENKUlT_T0_E_clISt17integral_constantIbLb0EES1O_IbLb1EEEEDaS1K_S1L_EUlS1K_E_NS1_11comp_targetILNS1_3genE2ELNS1_11target_archE906ELNS1_3gpuE6ELNS1_3repE0EEENS1_30default_config_static_selectorELNS0_4arch9wavefront6targetE1EEEvSY_,@function
_ZN7rocprim17ROCPRIM_400000_NS6detail17trampoline_kernelINS0_13select_configILj256ELj13ELNS0_17block_load_methodE3ELS4_3ELS4_3ELNS0_20block_scan_algorithmE0ELj4294967295EEENS1_25partition_config_selectorILNS1_17partition_subalgoE3EjNS0_10empty_typeEbEEZZNS1_14partition_implILS8_3ELb0ES6_jNS0_17counting_iteratorIjlEEPS9_SE_NS0_5tupleIJPjSE_EEENSF_IJSE_SE_EEES9_SG_JZNS1_25segmented_radix_sort_implINS0_14default_configELb0EPKaPaPKlPlN2at6native12_GLOBAL__N_18offset_tEEE10hipError_tPvRmT1_PNSt15iterator_traitsISY_E10value_typeET2_T3_PNSZ_IS14_E10value_typeET4_jRbjT5_S1A_jjP12ihipStream_tbEUljE_EEESV_SW_SX_S14_S18_S1A_T6_T7_T9_mT8_S1C_bDpT10_ENKUlT_T0_E_clISt17integral_constantIbLb0EES1O_IbLb1EEEEDaS1K_S1L_EUlS1K_E_NS1_11comp_targetILNS1_3genE2ELNS1_11target_archE906ELNS1_3gpuE6ELNS1_3repE0EEENS1_30default_config_static_selectorELNS0_4arch9wavefront6targetE1EEEvSY_: ; @_ZN7rocprim17ROCPRIM_400000_NS6detail17trampoline_kernelINS0_13select_configILj256ELj13ELNS0_17block_load_methodE3ELS4_3ELS4_3ELNS0_20block_scan_algorithmE0ELj4294967295EEENS1_25partition_config_selectorILNS1_17partition_subalgoE3EjNS0_10empty_typeEbEEZZNS1_14partition_implILS8_3ELb0ES6_jNS0_17counting_iteratorIjlEEPS9_SE_NS0_5tupleIJPjSE_EEENSF_IJSE_SE_EEES9_SG_JZNS1_25segmented_radix_sort_implINS0_14default_configELb0EPKaPaPKlPlN2at6native12_GLOBAL__N_18offset_tEEE10hipError_tPvRmT1_PNSt15iterator_traitsISY_E10value_typeET2_T3_PNSZ_IS14_E10value_typeET4_jRbjT5_S1A_jjP12ihipStream_tbEUljE_EEESV_SW_SX_S14_S18_S1A_T6_T7_T9_mT8_S1C_bDpT10_ENKUlT_T0_E_clISt17integral_constantIbLb0EES1O_IbLb1EEEEDaS1K_S1L_EUlS1K_E_NS1_11comp_targetILNS1_3genE2ELNS1_11target_archE906ELNS1_3gpuE6ELNS1_3repE0EEENS1_30default_config_static_selectorELNS0_4arch9wavefront6targetE1EEEvSY_
; %bb.0:
	s_load_dwordx2 s[28:29], s[4:5], 0x10
	s_load_dwordx2 s[22:23], s[4:5], 0x28
	;; [unrolled: 1-line block ×3, first 2 shown]
	s_load_dwordx4 s[24:27], s[4:5], 0x48
	s_load_dword s14, s[4:5], 0x90
	s_load_dwordx2 s[34:35], s[4:5], 0x68
	s_load_dwordx4 s[8:11], s[4:5], 0x80
	v_cmp_eq_u32_e64 s[0:1], 0, v0
	s_and_saveexec_b64 s[2:3], s[0:1]
	s_cbranch_execz .LBB389_4
; %bb.1:
	s_mov_b64 s[12:13], exec
	v_mbcnt_lo_u32_b32 v1, s12, 0
	v_mbcnt_hi_u32_b32 v1, s13, v1
	v_cmp_eq_u32_e32 vcc, 0, v1
                                        ; implicit-def: $vgpr2
	s_and_saveexec_b64 s[6:7], vcc
	s_cbranch_execz .LBB389_3
; %bb.2:
	s_load_dwordx2 s[16:17], s[4:5], 0x78
	s_bcnt1_i32_b64 s12, s[12:13]
	v_mov_b32_e32 v2, 0
	v_mov_b32_e32 v3, s12
	s_waitcnt lgkmcnt(0)
	global_atomic_add v2, v2, v3, s[16:17] glc
.LBB389_3:
	s_or_b64 exec, exec, s[6:7]
	s_waitcnt vmcnt(0)
	v_readfirstlane_b32 s6, v2
	v_add_u32_e32 v1, s6, v1
	v_mov_b32_e32 v2, 0
	ds_write_b32 v2, v1
.LBB389_4:
	s_or_b64 exec, exec, s[2:3]
	v_mov_b32_e32 v1, 0
	s_load_dword s6, s[4:5], 0x8
	s_load_dword s2, s[4:5], 0x70
	s_waitcnt lgkmcnt(0)
	s_barrier
	ds_read_b32 v5, v1
	s_waitcnt lgkmcnt(0)
	s_barrier
	global_load_dwordx2 v[3:4], v1, s[26:27]
	s_add_i32 s4, s2, -1
	s_mulk_i32 s2, 0xd00
	s_add_i32 s3, s2, s28
	s_sub_i32 s33, s30, s3
	s_add_i32 s6, s6, s28
	s_addk_i32 s33, 0xd00
	s_add_u32 s2, s28, s2
	s_addc_u32 s3, s29, 0
	v_mov_b32_e32 v1, s2
	v_mov_b32_e32 v2, s3
	v_readfirstlane_b32 s43, v5
	v_cmp_gt_u64_e32 vcc, s[30:31], v[1:2]
	s_cmp_eq_u32 s43, s4
	v_cmp_ne_u32_e64 s[2:3], s4, v5
	s_cselect_b64 s[26:27], -1, 0
	s_or_b64 s[4:5], vcc, s[2:3]
	s_mul_i32 s42, s43, 0xd00
	s_mov_b64 s[2:3], -1
	s_and_b64 vcc, exec, s[4:5]
	v_lshlrev_b32_e32 v25, 2, v0
	s_cbranch_vccz .LBB389_6
; %bb.5:
	s_add_i32 s2, s42, s6
	v_add_u32_e32 v1, s2, v0
	v_add_u32_e32 v2, 0x100, v1
	v_add_u32_e32 v5, 0x200, v1
	v_add_u32_e32 v6, 0x300, v1
	v_add_u32_e32 v7, 0x400, v1
	v_add_u32_e32 v8, 0x500, v1
	v_add_u32_e32 v9, 0x600, v1
	v_add_u32_e32 v10, 0x700, v1
	v_add_u32_e32 v11, 0x800, v1
	v_add_u32_e32 v12, 0x900, v1
	v_add_u32_e32 v13, 0xa00, v1
	v_add_u32_e32 v14, 0xb00, v1
	v_add_u32_e32 v15, 0xc00, v1
	ds_write2st64_b32 v25, v1, v2 offset1:4
	ds_write2st64_b32 v25, v5, v6 offset0:8 offset1:12
	ds_write2st64_b32 v25, v7, v8 offset0:16 offset1:20
	ds_write2st64_b32 v25, v9, v10 offset0:24 offset1:28
	ds_write2st64_b32 v25, v11, v12 offset0:32 offset1:36
	ds_write2st64_b32 v25, v13, v14 offset0:40 offset1:44
	ds_write_b32 v25, v15 offset:12288
	s_waitcnt vmcnt(0) lgkmcnt(0)
	s_barrier
	s_mov_b64 s[2:3], 0
.LBB389_6:
	s_andn2_b64 vcc, exec, s[2:3]
	v_cmp_gt_u32_e64 s[2:3], s33, v0
	s_cbranch_vccnz .LBB389_8
; %bb.7:
	s_add_i32 s6, s42, s6
	v_or_b32_e32 v2, 0x100, v0
	v_add_u32_e32 v5, s6, v2
	v_cmp_gt_u32_e32 vcc, s33, v2
	v_cndmask_b32_e32 v2, 0, v5, vcc
	v_or_b32_e32 v5, 0x200, v0
	v_add_u32_e32 v6, s6, v5
	v_cmp_gt_u32_e32 vcc, s33, v5
	v_cndmask_b32_e32 v5, 0, v6, vcc
	;; [unrolled: 4-line block ×10, first 2 shown]
	v_or_b32_e32 v14, 0xb00, v0
	v_add_u32_e32 v15, s6, v14
	v_cmp_gt_u32_e32 vcc, s33, v14
	v_add_u32_e32 v1, s6, v0
	v_cndmask_b32_e32 v14, 0, v15, vcc
	v_or_b32_e32 v15, 0xc00, v0
	v_cndmask_b32_e64 v1, 0, v1, s[2:3]
	v_add_u32_e32 v16, s6, v15
	v_cmp_gt_u32_e32 vcc, s33, v15
	v_cndmask_b32_e32 v15, 0, v16, vcc
	ds_write2st64_b32 v25, v1, v2 offset1:4
	ds_write2st64_b32 v25, v5, v6 offset0:8 offset1:12
	ds_write2st64_b32 v25, v7, v8 offset0:16 offset1:20
	;; [unrolled: 1-line block ×5, first 2 shown]
	ds_write_b32 v25, v15 offset:12288
	s_waitcnt vmcnt(0) lgkmcnt(0)
	s_barrier
.LBB389_8:
	v_mul_u32_u24_e32 v27, 13, v0
	v_lshlrev_b32_e32 v1, 2, v27
	ds_read2_b32 v[15:16], v1 offset1:1
	ds_read2_b32 v[13:14], v1 offset0:2 offset1:3
	ds_read2_b32 v[11:12], v1 offset0:4 offset1:5
	;; [unrolled: 1-line block ×5, first 2 shown]
	ds_read_b32 v26, v1 offset:48
	v_cndmask_b32_e64 v1, 0, 1, s[4:5]
	v_cmp_ne_u32_e64 s[2:3], 1, v1
	s_andn2_b64 vcc, exec, s[4:5]
	s_waitcnt vmcnt(0) lgkmcnt(0)
	s_barrier
	s_cbranch_vccnz .LBB389_10
; %bb.9:
	v_add_u32_e32 v1, s9, v15
	v_add_u32_e32 v2, s11, v15
	v_mul_lo_u32 v1, v1, s8
	v_mul_lo_u32 v2, v2, s10
	v_add_u32_e32 v17, s9, v13
	v_add_u32_e32 v18, s11, v13
	v_mul_lo_u32 v17, v17, s8
	v_sub_u32_e32 v1, v1, v2
	v_cmp_lt_u32_e32 vcc, s14, v1
	v_add_u32_e32 v1, s9, v16
	v_add_u32_e32 v2, s11, v16
	v_mul_lo_u32 v1, v1, s8
	v_mul_lo_u32 v2, v2, s10
	;; [unrolled: 1-line block ×3, first 2 shown]
	v_cndmask_b32_e64 v28, 0, 1, vcc
	v_sub_u32_e32 v1, v1, v2
	v_cmp_lt_u32_e32 vcc, s14, v1
	v_sub_u32_e32 v1, v17, v18
	v_cndmask_b32_e64 v29, 0, 1, vcc
	v_cmp_lt_u32_e32 vcc, s14, v1
	v_add_u32_e32 v1, s9, v14
	v_add_u32_e32 v2, s11, v14
	v_mul_lo_u32 v1, v1, s8
	v_mul_lo_u32 v2, v2, s10
	v_add_u32_e32 v17, s9, v11
	v_add_u32_e32 v18, s11, v11
	v_mul_lo_u32 v17, v17, s8
	v_mul_lo_u32 v18, v18, s10
	v_sub_u32_e32 v1, v1, v2
	v_cndmask_b32_e64 v30, 0, 1, vcc
	v_cmp_lt_u32_e32 vcc, s14, v1
	v_sub_u32_e32 v1, v17, v18
	v_cndmask_b32_e64 v31, 0, 1, vcc
	v_cmp_lt_u32_e32 vcc, s14, v1
	v_add_u32_e32 v1, s9, v12
	v_add_u32_e32 v2, s11, v12
	v_mul_lo_u32 v1, v1, s8
	v_mul_lo_u32 v2, v2, s10
	v_add_u32_e32 v17, s9, v9
	v_add_u32_e32 v18, s11, v9
	v_mul_lo_u32 v17, v17, s8
	v_mul_lo_u32 v18, v18, s10
	v_sub_u32_e32 v1, v1, v2
	v_cndmask_b32_e64 v32, 0, 1, vcc
	;; [unrolled: 14-line block ×5, first 2 shown]
	v_cmp_lt_u32_e32 vcc, s14, v1
	v_sub_u32_e32 v1, v17, v18
	v_cndmask_b32_e64 v39, 0, 1, vcc
	v_cmp_lt_u32_e64 s[36:37], s14, v1
	s_cbranch_execz .LBB389_11
	s_branch .LBB389_38
.LBB389_10:
                                        ; implicit-def: $sgpr36_sgpr37
                                        ; implicit-def: $vgpr39
                                        ; implicit-def: $vgpr38
                                        ; implicit-def: $vgpr37
                                        ; implicit-def: $vgpr36
                                        ; implicit-def: $vgpr35
                                        ; implicit-def: $vgpr34
                                        ; implicit-def: $vgpr33
                                        ; implicit-def: $vgpr32
                                        ; implicit-def: $vgpr28
                                        ; implicit-def: $vgpr29
                                        ; implicit-def: $vgpr30
                                        ; implicit-def: $vgpr31
.LBB389_11:
	v_cmp_gt_u32_e32 vcc, s33, v27
	v_mov_b32_e32 v29, 0
	v_mov_b32_e32 v28, 0
	s_and_saveexec_b64 s[4:5], vcc
	s_cbranch_execz .LBB389_13
; %bb.12:
	v_add_u32_e32 v1, s9, v15
	v_add_u32_e32 v2, s11, v15
	v_mul_lo_u32 v1, v1, s8
	v_mul_lo_u32 v2, v2, s10
	v_sub_u32_e32 v1, v1, v2
	v_cmp_lt_u32_e32 vcc, s14, v1
	v_cndmask_b32_e64 v28, 0, 1, vcc
.LBB389_13:
	s_or_b64 exec, exec, s[4:5]
	v_add_u32_e32 v1, 1, v27
	v_cmp_gt_u32_e32 vcc, s33, v1
	s_and_saveexec_b64 s[4:5], vcc
	s_cbranch_execz .LBB389_15
; %bb.14:
	v_add_u32_e32 v1, s9, v16
	v_add_u32_e32 v2, s11, v16
	v_mul_lo_u32 v1, v1, s8
	v_mul_lo_u32 v2, v2, s10
	v_sub_u32_e32 v1, v1, v2
	v_cmp_lt_u32_e32 vcc, s14, v1
	v_cndmask_b32_e64 v29, 0, 1, vcc
.LBB389_15:
	s_or_b64 exec, exec, s[4:5]
	v_add_u32_e32 v1, 2, v27
	v_cmp_gt_u32_e32 vcc, s33, v1
	v_mov_b32_e32 v31, 0
	v_mov_b32_e32 v30, 0
	s_and_saveexec_b64 s[4:5], vcc
	s_cbranch_execz .LBB389_17
; %bb.16:
	v_add_u32_e32 v1, s9, v13
	v_add_u32_e32 v2, s11, v13
	v_mul_lo_u32 v1, v1, s8
	v_mul_lo_u32 v2, v2, s10
	v_sub_u32_e32 v1, v1, v2
	v_cmp_lt_u32_e32 vcc, s14, v1
	v_cndmask_b32_e64 v30, 0, 1, vcc
.LBB389_17:
	s_or_b64 exec, exec, s[4:5]
	v_add_u32_e32 v1, 3, v27
	v_cmp_gt_u32_e32 vcc, s33, v1
	s_and_saveexec_b64 s[4:5], vcc
	s_cbranch_execz .LBB389_19
; %bb.18:
	v_add_u32_e32 v1, s9, v14
	v_add_u32_e32 v2, s11, v14
	v_mul_lo_u32 v1, v1, s8
	v_mul_lo_u32 v2, v2, s10
	v_sub_u32_e32 v1, v1, v2
	v_cmp_lt_u32_e32 vcc, s14, v1
	v_cndmask_b32_e64 v31, 0, 1, vcc
.LBB389_19:
	s_or_b64 exec, exec, s[4:5]
	v_add_u32_e32 v1, 4, v27
	v_cmp_gt_u32_e32 vcc, s33, v1
	v_mov_b32_e32 v33, 0
	v_mov_b32_e32 v32, 0
	s_and_saveexec_b64 s[4:5], vcc
	s_cbranch_execz .LBB389_21
; %bb.20:
	v_add_u32_e32 v1, s9, v11
	v_add_u32_e32 v2, s11, v11
	v_mul_lo_u32 v1, v1, s8
	v_mul_lo_u32 v2, v2, s10
	v_sub_u32_e32 v1, v1, v2
	v_cmp_lt_u32_e32 vcc, s14, v1
	v_cndmask_b32_e64 v32, 0, 1, vcc
.LBB389_21:
	s_or_b64 exec, exec, s[4:5]
	v_add_u32_e32 v1, 5, v27
	v_cmp_gt_u32_e32 vcc, s33, v1
	s_and_saveexec_b64 s[4:5], vcc
	s_cbranch_execz .LBB389_23
; %bb.22:
	v_add_u32_e32 v1, s9, v12
	v_add_u32_e32 v2, s11, v12
	v_mul_lo_u32 v1, v1, s8
	v_mul_lo_u32 v2, v2, s10
	v_sub_u32_e32 v1, v1, v2
	v_cmp_lt_u32_e32 vcc, s14, v1
	v_cndmask_b32_e64 v33, 0, 1, vcc
.LBB389_23:
	s_or_b64 exec, exec, s[4:5]
	v_add_u32_e32 v1, 6, v27
	v_cmp_gt_u32_e32 vcc, s33, v1
	v_mov_b32_e32 v35, 0
	v_mov_b32_e32 v34, 0
	s_and_saveexec_b64 s[4:5], vcc
	s_cbranch_execz .LBB389_25
; %bb.24:
	v_add_u32_e32 v1, s9, v9
	v_add_u32_e32 v2, s11, v9
	v_mul_lo_u32 v1, v1, s8
	v_mul_lo_u32 v2, v2, s10
	v_sub_u32_e32 v1, v1, v2
	v_cmp_lt_u32_e32 vcc, s14, v1
	v_cndmask_b32_e64 v34, 0, 1, vcc
.LBB389_25:
	s_or_b64 exec, exec, s[4:5]
	v_add_u32_e32 v1, 7, v27
	v_cmp_gt_u32_e32 vcc, s33, v1
	s_and_saveexec_b64 s[4:5], vcc
	s_cbranch_execz .LBB389_27
; %bb.26:
	v_add_u32_e32 v1, s9, v10
	v_add_u32_e32 v2, s11, v10
	v_mul_lo_u32 v1, v1, s8
	v_mul_lo_u32 v2, v2, s10
	v_sub_u32_e32 v1, v1, v2
	v_cmp_lt_u32_e32 vcc, s14, v1
	v_cndmask_b32_e64 v35, 0, 1, vcc
.LBB389_27:
	s_or_b64 exec, exec, s[4:5]
	v_add_u32_e32 v1, 8, v27
	v_cmp_gt_u32_e32 vcc, s33, v1
	v_mov_b32_e32 v37, 0
	v_mov_b32_e32 v36, 0
	s_and_saveexec_b64 s[4:5], vcc
	s_cbranch_execz .LBB389_29
; %bb.28:
	v_add_u32_e32 v1, s9, v7
	v_add_u32_e32 v2, s11, v7
	v_mul_lo_u32 v1, v1, s8
	v_mul_lo_u32 v2, v2, s10
	v_sub_u32_e32 v1, v1, v2
	v_cmp_lt_u32_e32 vcc, s14, v1
	v_cndmask_b32_e64 v36, 0, 1, vcc
.LBB389_29:
	s_or_b64 exec, exec, s[4:5]
	v_add_u32_e32 v1, 9, v27
	v_cmp_gt_u32_e32 vcc, s33, v1
	s_and_saveexec_b64 s[4:5], vcc
	s_cbranch_execz .LBB389_31
; %bb.30:
	v_add_u32_e32 v1, s9, v8
	v_add_u32_e32 v2, s11, v8
	v_mul_lo_u32 v1, v1, s8
	v_mul_lo_u32 v2, v2, s10
	v_sub_u32_e32 v1, v1, v2
	v_cmp_lt_u32_e32 vcc, s14, v1
	v_cndmask_b32_e64 v37, 0, 1, vcc
.LBB389_31:
	s_or_b64 exec, exec, s[4:5]
	v_add_u32_e32 v1, 10, v27
	v_cmp_gt_u32_e32 vcc, s33, v1
	v_mov_b32_e32 v39, 0
	v_mov_b32_e32 v38, 0
	s_and_saveexec_b64 s[4:5], vcc
	s_cbranch_execz .LBB389_33
; %bb.32:
	v_add_u32_e32 v1, s9, v5
	v_add_u32_e32 v2, s11, v5
	v_mul_lo_u32 v1, v1, s8
	v_mul_lo_u32 v2, v2, s10
	v_sub_u32_e32 v1, v1, v2
	v_cmp_lt_u32_e32 vcc, s14, v1
	v_cndmask_b32_e64 v38, 0, 1, vcc
.LBB389_33:
	s_or_b64 exec, exec, s[4:5]
	v_add_u32_e32 v1, 11, v27
	v_cmp_gt_u32_e32 vcc, s33, v1
	s_and_saveexec_b64 s[4:5], vcc
	s_cbranch_execz .LBB389_35
; %bb.34:
	v_add_u32_e32 v1, s9, v6
	v_add_u32_e32 v2, s11, v6
	v_mul_lo_u32 v2, v2, s10
	v_mul_lo_u32 v1, v1, s8
	v_sub_u32_e32 v1, v1, v2
	v_cmp_lt_u32_e32 vcc, s14, v1
	v_cndmask_b32_e64 v39, 0, 1, vcc
.LBB389_35:
	s_or_b64 exec, exec, s[4:5]
	v_add_u32_e32 v1, 12, v27
	v_cmp_gt_u32_e32 vcc, s33, v1
	s_mov_b64 s[36:37], 0
	s_and_saveexec_b64 s[4:5], vcc
	s_cbranch_execz .LBB389_37
; %bb.36:
	v_add_u32_e32 v1, s9, v26
	v_add_u32_e32 v2, s11, v26
	v_mul_lo_u32 v1, v1, s8
	v_mul_lo_u32 v2, v2, s10
	v_sub_u32_e32 v1, v1, v2
	v_cmp_lt_u32_e32 vcc, s14, v1
	s_and_b64 s[36:37], vcc, exec
.LBB389_37:
	s_or_b64 exec, exec, s[4:5]
.LBB389_38:
	v_and_b32_e32 v42, 0xff, v29
	v_and_b32_e32 v43, 0xff, v30
	;; [unrolled: 1-line block ×5, first 2 shown]
	v_add3_u32 v2, v43, v44, v42
	v_and_b32_e32 v46, 0xff, v33
	v_and_b32_e32 v47, 0xff, v34
	v_add3_u32 v2, v2, v41, v45
	v_and_b32_e32 v48, 0xff, v35
	v_and_b32_e32 v49, 0xff, v36
	;; [unrolled: 3-line block ×3, first 2 shown]
	v_add3_u32 v2, v2, v48, v49
	v_and_b32_e32 v40, 0xff, v39
	v_cndmask_b32_e64 v1, 0, 1, s[36:37]
	v_add3_u32 v2, v2, v50, v51
	v_add3_u32 v54, v2, v40, v1
	v_mbcnt_lo_u32_b32 v1, -1, 0
	v_mbcnt_hi_u32_b32 v52, -1, v1
	v_and_b32_e32 v1, 15, v52
	v_cmp_eq_u32_e64 s[16:17], 0, v1
	v_cmp_lt_u32_e64 s[14:15], 1, v1
	v_cmp_lt_u32_e64 s[12:13], 3, v1
	;; [unrolled: 1-line block ×3, first 2 shown]
	v_and_b32_e32 v1, 16, v52
	v_cmp_eq_u32_e64 s[8:9], 0, v1
	v_or_b32_e32 v1, 63, v0
	s_cmp_lg_u32 s43, 0
	v_cmp_lt_u32_e64 s[4:5], 31, v52
	v_lshrrev_b32_e32 v53, 6, v0
	v_cmp_eq_u32_e64 s[6:7], v0, v1
	s_cbranch_scc0 .LBB389_60
; %bb.39:
	v_mov_b32_dpp v1, v54 row_shr:1 row_mask:0xf bank_mask:0xf
	v_cndmask_b32_e64 v1, v1, 0, s[16:17]
	v_add_u32_e32 v1, v1, v54
	s_nop 1
	v_mov_b32_dpp v2, v1 row_shr:2 row_mask:0xf bank_mask:0xf
	v_cndmask_b32_e64 v2, 0, v2, s[14:15]
	v_add_u32_e32 v1, v1, v2
	s_nop 1
	;; [unrolled: 4-line block ×4, first 2 shown]
	v_mov_b32_dpp v2, v1 row_bcast:15 row_mask:0xf bank_mask:0xf
	v_cndmask_b32_e64 v2, v2, 0, s[8:9]
	v_add_u32_e32 v1, v1, v2
	s_nop 1
	v_mov_b32_dpp v2, v1 row_bcast:31 row_mask:0xf bank_mask:0xf
	v_cndmask_b32_e64 v2, 0, v2, s[4:5]
	v_add_u32_e32 v1, v1, v2
	s_and_saveexec_b64 s[18:19], s[6:7]
; %bb.40:
	v_lshlrev_b32_e32 v2, 2, v53
	ds_write_b32 v2, v1
; %bb.41:
	s_or_b64 exec, exec, s[18:19]
	v_cmp_gt_u32_e32 vcc, 4, v0
	s_waitcnt lgkmcnt(0)
	s_barrier
	s_and_saveexec_b64 s[18:19], vcc
	s_cbranch_execz .LBB389_43
; %bb.42:
	ds_read_b32 v2, v25
	v_and_b32_e32 v17, 3, v52
	v_cmp_ne_u32_e32 vcc, 0, v17
	s_waitcnt lgkmcnt(0)
	v_mov_b32_dpp v18, v2 row_shr:1 row_mask:0xf bank_mask:0xf
	v_cndmask_b32_e32 v18, 0, v18, vcc
	v_add_u32_e32 v2, v18, v2
	v_cmp_lt_u32_e32 vcc, 1, v17
	s_nop 0
	v_mov_b32_dpp v18, v2 row_shr:2 row_mask:0xf bank_mask:0xf
	v_cndmask_b32_e32 v17, 0, v18, vcc
	v_add_u32_e32 v2, v2, v17
	ds_write_b32 v25, v2
.LBB389_43:
	s_or_b64 exec, exec, s[18:19]
	v_cmp_gt_u32_e32 vcc, 64, v0
	v_cmp_lt_u32_e64 s[18:19], 63, v0
	s_waitcnt lgkmcnt(0)
	s_barrier
                                        ; implicit-def: $vgpr55
	s_and_saveexec_b64 s[20:21], s[18:19]
	s_cbranch_execz .LBB389_45
; %bb.44:
	v_lshl_add_u32 v2, v53, 2, -4
	ds_read_b32 v55, v2
	s_waitcnt lgkmcnt(0)
	v_add_u32_e32 v1, v55, v1
.LBB389_45:
	s_or_b64 exec, exec, s[20:21]
	v_subrev_co_u32_e64 v2, s[18:19], 1, v52
	v_and_b32_e32 v17, 64, v52
	v_cmp_lt_i32_e64 s[20:21], v2, v17
	v_cndmask_b32_e64 v2, v2, v52, s[20:21]
	v_lshlrev_b32_e32 v2, 2, v2
	ds_bpermute_b32 v56, v2, v1
	s_and_saveexec_b64 s[20:21], vcc
	s_cbranch_execz .LBB389_65
; %bb.46:
	v_mov_b32_e32 v21, 0
	ds_read_b32 v1, v21 offset:12
	s_and_saveexec_b64 s[38:39], s[18:19]
	s_cbranch_execz .LBB389_48
; %bb.47:
	s_add_i32 s40, s43, 64
	s_mov_b32 s41, 0
	s_lshl_b64 s[40:41], s[40:41], 3
	s_add_u32 s40, s34, s40
	v_mov_b32_e32 v2, 1
	s_addc_u32 s41, s35, s41
	s_waitcnt lgkmcnt(0)
	global_store_dwordx2 v21, v[1:2], s[40:41]
.LBB389_48:
	s_or_b64 exec, exec, s[38:39]
	v_xad_u32 v17, v52, -1, s43
	v_add_u32_e32 v20, 64, v17
	v_lshlrev_b64 v[18:19], 3, v[20:21]
	v_mov_b32_e32 v2, s35
	v_add_co_u32_e32 v22, vcc, s34, v18
	v_addc_co_u32_e32 v23, vcc, v2, v19, vcc
	global_load_dwordx2 v[19:20], v[22:23], off glc
	s_waitcnt vmcnt(0)
	v_cmp_eq_u16_sdwa s[40:41], v20, v21 src0_sel:BYTE_0 src1_sel:DWORD
	s_and_saveexec_b64 s[38:39], s[40:41]
	s_cbranch_execz .LBB389_52
; %bb.49:
	s_mov_b64 s[40:41], 0
	v_mov_b32_e32 v2, 0
.LBB389_50:                             ; =>This Inner Loop Header: Depth=1
	global_load_dwordx2 v[19:20], v[22:23], off glc
	s_waitcnt vmcnt(0)
	v_cmp_ne_u16_sdwa s[44:45], v20, v2 src0_sel:BYTE_0 src1_sel:DWORD
	s_or_b64 s[40:41], s[44:45], s[40:41]
	s_andn2_b64 exec, exec, s[40:41]
	s_cbranch_execnz .LBB389_50
; %bb.51:
	s_or_b64 exec, exec, s[40:41]
.LBB389_52:
	s_or_b64 exec, exec, s[38:39]
	v_and_b32_e32 v58, 63, v52
	v_mov_b32_e32 v57, 2
	v_lshlrev_b64 v[21:22], v52, -1
	v_cmp_ne_u32_e32 vcc, 63, v58
	v_cmp_eq_u16_sdwa s[38:39], v20, v57 src0_sel:BYTE_0 src1_sel:DWORD
	v_addc_co_u32_e32 v23, vcc, 0, v52, vcc
	v_and_b32_e32 v2, s39, v22
	v_lshlrev_b32_e32 v59, 2, v23
	v_or_b32_e32 v2, 0x80000000, v2
	ds_bpermute_b32 v23, v59, v19
	v_and_b32_e32 v18, s38, v21
	v_ffbl_b32_e32 v2, v2
	v_add_u32_e32 v2, 32, v2
	v_ffbl_b32_e32 v18, v18
	v_min_u32_e32 v2, v18, v2
	v_cmp_lt_u32_e32 vcc, v58, v2
	s_waitcnt lgkmcnt(0)
	v_cndmask_b32_e32 v18, 0, v23, vcc
	v_cmp_gt_u32_e32 vcc, 62, v58
	v_add_u32_e32 v18, v18, v19
	v_cndmask_b32_e64 v19, 0, 2, vcc
	v_add_lshl_u32 v60, v19, v52, 2
	ds_bpermute_b32 v19, v60, v18
	v_add_u32_e32 v61, 2, v58
	v_cmp_le_u32_e32 vcc, v61, v2
	v_add_u32_e32 v63, 4, v58
	v_add_u32_e32 v65, 8, v58
	s_waitcnt lgkmcnt(0)
	v_cndmask_b32_e32 v19, 0, v19, vcc
	v_cmp_gt_u32_e32 vcc, 60, v58
	v_add_u32_e32 v18, v18, v19
	v_cndmask_b32_e64 v19, 0, 4, vcc
	v_add_lshl_u32 v62, v19, v52, 2
	ds_bpermute_b32 v19, v62, v18
	v_cmp_le_u32_e32 vcc, v63, v2
	v_add_u32_e32 v67, 16, v58
	v_add_u32_e32 v69, 32, v58
	s_waitcnt lgkmcnt(0)
	v_cndmask_b32_e32 v19, 0, v19, vcc
	v_cmp_gt_u32_e32 vcc, 56, v58
	v_add_u32_e32 v18, v18, v19
	v_cndmask_b32_e64 v19, 0, 8, vcc
	v_add_lshl_u32 v64, v19, v52, 2
	ds_bpermute_b32 v19, v64, v18
	v_cmp_le_u32_e32 vcc, v65, v2
	s_waitcnt lgkmcnt(0)
	v_cndmask_b32_e32 v19, 0, v19, vcc
	v_cmp_gt_u32_e32 vcc, 48, v58
	v_add_u32_e32 v18, v18, v19
	v_cndmask_b32_e64 v19, 0, 16, vcc
	v_add_lshl_u32 v66, v19, v52, 2
	ds_bpermute_b32 v19, v66, v18
	v_cmp_le_u32_e32 vcc, v67, v2
	s_waitcnt lgkmcnt(0)
	v_cndmask_b32_e32 v19, 0, v19, vcc
	v_add_u32_e32 v18, v18, v19
	v_mov_b32_e32 v19, 0x80
	v_lshl_or_b32 v68, v52, 2, v19
	ds_bpermute_b32 v19, v68, v18
	v_cmp_le_u32_e32 vcc, v69, v2
	s_waitcnt lgkmcnt(0)
	v_cndmask_b32_e32 v2, 0, v19, vcc
	v_add_u32_e32 v19, v18, v2
	v_mov_b32_e32 v18, 0
	s_branch .LBB389_56
.LBB389_53:                             ;   in Loop: Header=BB389_56 Depth=1
	s_or_b64 exec, exec, s[40:41]
.LBB389_54:                             ;   in Loop: Header=BB389_56 Depth=1
	s_or_b64 exec, exec, s[38:39]
	v_cmp_eq_u16_sdwa s[38:39], v20, v57 src0_sel:BYTE_0 src1_sel:DWORD
	v_and_b32_e32 v23, s39, v22
	v_or_b32_e32 v23, 0x80000000, v23
	ds_bpermute_b32 v70, v59, v19
	v_and_b32_e32 v24, s38, v21
	v_ffbl_b32_e32 v23, v23
	v_add_u32_e32 v23, 32, v23
	v_ffbl_b32_e32 v24, v24
	v_min_u32_e32 v23, v24, v23
	v_cmp_lt_u32_e32 vcc, v58, v23
	s_waitcnt lgkmcnt(0)
	v_cndmask_b32_e32 v24, 0, v70, vcc
	v_add_u32_e32 v19, v24, v19
	ds_bpermute_b32 v24, v60, v19
	v_cmp_le_u32_e32 vcc, v61, v23
	v_subrev_u32_e32 v17, 64, v17
	s_mov_b64 s[38:39], 0
	s_waitcnt lgkmcnt(0)
	v_cndmask_b32_e32 v24, 0, v24, vcc
	v_add_u32_e32 v19, v19, v24
	ds_bpermute_b32 v24, v62, v19
	v_cmp_le_u32_e32 vcc, v63, v23
	s_waitcnt lgkmcnt(0)
	v_cndmask_b32_e32 v24, 0, v24, vcc
	v_add_u32_e32 v19, v19, v24
	ds_bpermute_b32 v24, v64, v19
	v_cmp_le_u32_e32 vcc, v65, v23
	;; [unrolled: 5-line block ×4, first 2 shown]
	s_waitcnt lgkmcnt(0)
	v_cndmask_b32_e32 v23, 0, v24, vcc
	v_add3_u32 v19, v23, v2, v19
.LBB389_55:                             ;   in Loop: Header=BB389_56 Depth=1
	s_and_b64 vcc, exec, s[38:39]
	s_cbranch_vccnz .LBB389_61
.LBB389_56:                             ; =>This Loop Header: Depth=1
                                        ;     Child Loop BB389_59 Depth 2
	v_cmp_ne_u16_sdwa s[38:39], v20, v57 src0_sel:BYTE_0 src1_sel:DWORD
	v_mov_b32_e32 v2, v19
	s_cmp_lg_u64 s[38:39], exec
	s_mov_b64 s[38:39], -1
                                        ; implicit-def: $vgpr19
                                        ; implicit-def: $vgpr20
	s_cbranch_scc1 .LBB389_55
; %bb.57:                               ;   in Loop: Header=BB389_56 Depth=1
	v_lshlrev_b64 v[19:20], 3, v[17:18]
	v_mov_b32_e32 v24, s35
	v_add_co_u32_e32 v23, vcc, s34, v19
	v_addc_co_u32_e32 v24, vcc, v24, v20, vcc
	global_load_dwordx2 v[19:20], v[23:24], off glc
	s_waitcnt vmcnt(0)
	v_cmp_eq_u16_sdwa s[40:41], v20, v18 src0_sel:BYTE_0 src1_sel:DWORD
	s_and_saveexec_b64 s[38:39], s[40:41]
	s_cbranch_execz .LBB389_54
; %bb.58:                               ;   in Loop: Header=BB389_56 Depth=1
	s_mov_b64 s[40:41], 0
.LBB389_59:                             ;   Parent Loop BB389_56 Depth=1
                                        ; =>  This Inner Loop Header: Depth=2
	global_load_dwordx2 v[19:20], v[23:24], off glc
	s_waitcnt vmcnt(0)
	v_cmp_ne_u16_sdwa s[44:45], v20, v18 src0_sel:BYTE_0 src1_sel:DWORD
	s_or_b64 s[40:41], s[44:45], s[40:41]
	s_andn2_b64 exec, exec, s[40:41]
	s_cbranch_execnz .LBB389_59
	s_branch .LBB389_53
.LBB389_60:
                                        ; implicit-def: $vgpr2
                                        ; implicit-def: $vgpr17
	s_cbranch_execnz .LBB389_66
	s_branch .LBB389_75
.LBB389_61:
	s_and_saveexec_b64 s[38:39], s[18:19]
	s_cbranch_execz .LBB389_63
; %bb.62:
	s_add_i32 s40, s43, 64
	s_mov_b32 s41, 0
	s_lshl_b64 s[40:41], s[40:41], 3
	s_add_u32 s40, s34, s40
	v_add_u32_e32 v17, v2, v1
	v_mov_b32_e32 v18, 2
	s_addc_u32 s41, s35, s41
	v_mov_b32_e32 v19, 0
	global_store_dwordx2 v19, v[17:18], s[40:41]
	ds_write_b64 v19, v[1:2] offset:13312
.LBB389_63:
	s_or_b64 exec, exec, s[38:39]
	s_and_b64 exec, exec, s[0:1]
; %bb.64:
	v_mov_b32_e32 v1, 0
	ds_write_b32 v1, v2 offset:12
.LBB389_65:
	s_or_b64 exec, exec, s[20:21]
	v_mov_b32_e32 v1, 0
	s_waitcnt vmcnt(0) lgkmcnt(0)
	s_barrier
	ds_read_b32 v17, v1 offset:12
	s_waitcnt lgkmcnt(0)
	s_barrier
	ds_read_b64 v[1:2], v1 offset:13312
	v_cndmask_b32_e64 v18, v56, v55, s[18:19]
	v_cndmask_b32_e64 v18, v18, 0, s[0:1]
	v_add_u32_e32 v17, v17, v18
	s_branch .LBB389_75
.LBB389_66:
	s_waitcnt lgkmcnt(0)
	v_mov_b32_dpp v1, v54 row_shr:1 row_mask:0xf bank_mask:0xf
	v_cndmask_b32_e64 v1, v1, 0, s[16:17]
	v_add_u32_e32 v1, v1, v54
	s_nop 1
	v_mov_b32_dpp v2, v1 row_shr:2 row_mask:0xf bank_mask:0xf
	v_cndmask_b32_e64 v2, 0, v2, s[14:15]
	v_add_u32_e32 v1, v1, v2
	s_nop 1
	;; [unrolled: 4-line block ×4, first 2 shown]
	v_mov_b32_dpp v2, v1 row_bcast:15 row_mask:0xf bank_mask:0xf
	v_cndmask_b32_e64 v2, v2, 0, s[8:9]
	v_add_u32_e32 v1, v1, v2
	s_nop 1
	v_mov_b32_dpp v2, v1 row_bcast:31 row_mask:0xf bank_mask:0xf
	v_cndmask_b32_e64 v2, 0, v2, s[4:5]
	v_add_u32_e32 v1, v1, v2
	s_and_saveexec_b64 s[4:5], s[6:7]
; %bb.67:
	v_lshlrev_b32_e32 v2, 2, v53
	ds_write_b32 v2, v1
; %bb.68:
	s_or_b64 exec, exec, s[4:5]
	v_cmp_gt_u32_e32 vcc, 4, v0
	s_waitcnt lgkmcnt(0)
	s_barrier
	s_and_saveexec_b64 s[4:5], vcc
	s_cbranch_execz .LBB389_70
; %bb.69:
	ds_read_b32 v2, v25
	v_and_b32_e32 v17, 3, v52
	v_cmp_ne_u32_e32 vcc, 0, v17
	s_waitcnt lgkmcnt(0)
	v_mov_b32_dpp v18, v2 row_shr:1 row_mask:0xf bank_mask:0xf
	v_cndmask_b32_e32 v18, 0, v18, vcc
	v_add_u32_e32 v2, v18, v2
	v_cmp_lt_u32_e32 vcc, 1, v17
	s_nop 0
	v_mov_b32_dpp v18, v2 row_shr:2 row_mask:0xf bank_mask:0xf
	v_cndmask_b32_e32 v17, 0, v18, vcc
	v_add_u32_e32 v2, v2, v17
	ds_write_b32 v25, v2
.LBB389_70:
	s_or_b64 exec, exec, s[4:5]
	v_cmp_lt_u32_e32 vcc, 63, v0
	v_mov_b32_e32 v2, 0
	v_mov_b32_e32 v17, 0
	s_waitcnt lgkmcnt(0)
	s_barrier
	s_and_saveexec_b64 s[4:5], vcc
; %bb.71:
	v_lshl_add_u32 v17, v53, 2, -4
	ds_read_b32 v17, v17
; %bb.72:
	s_or_b64 exec, exec, s[4:5]
	v_subrev_co_u32_e32 v18, vcc, 1, v52
	v_and_b32_e32 v19, 64, v52
	v_cmp_lt_i32_e64 s[4:5], v18, v19
	v_cndmask_b32_e64 v18, v18, v52, s[4:5]
	s_waitcnt lgkmcnt(0)
	v_add_u32_e32 v1, v17, v1
	v_lshlrev_b32_e32 v18, 2, v18
	ds_bpermute_b32 v18, v18, v1
	ds_read_b32 v1, v2 offset:12
	s_and_saveexec_b64 s[4:5], s[0:1]
	s_cbranch_execz .LBB389_74
; %bb.73:
	v_mov_b32_e32 v19, 0
	v_mov_b32_e32 v2, 2
	s_waitcnt lgkmcnt(0)
	global_store_dwordx2 v19, v[1:2], s[34:35] offset:512
.LBB389_74:
	s_or_b64 exec, exec, s[4:5]
	s_waitcnt lgkmcnt(1)
	v_cndmask_b32_e32 v2, v18, v17, vcc
	v_cndmask_b32_e64 v17, v2, 0, s[0:1]
	s_waitcnt vmcnt(0) lgkmcnt(0)
	s_barrier
	v_mov_b32_e32 v2, 0
.LBB389_75:
	v_add_u32_e32 v18, v17, v41
	v_add_u32_e32 v19, v18, v42
	;; [unrolled: 1-line block ×4, first 2 shown]
	s_waitcnt lgkmcnt(0)
	v_add_u32_e32 v27, v1, v27
	v_sub_u32_e32 v17, v17, v2
	v_and_b32_e32 v28, 1, v28
	v_add_u32_e32 v22, v21, v45
	v_sub_u32_e32 v45, v27, v17
	v_cmp_eq_u32_e32 vcc, 1, v28
	v_cndmask_b32_e32 v17, v45, v17, vcc
	v_lshlrev_b32_e32 v17, 2, v17
	ds_write_b32 v17, v15
	v_sub_u32_e32 v15, v18, v2
	v_sub_u32_e32 v17, v27, v15
	v_and_b32_e32 v18, 1, v29
	v_add_u32_e32 v17, 1, v17
	v_cmp_eq_u32_e32 vcc, 1, v18
	v_cndmask_b32_e32 v15, v17, v15, vcc
	v_lshlrev_b32_e32 v15, 2, v15
	ds_write_b32 v15, v16
	v_sub_u32_e32 v15, v19, v2
	v_sub_u32_e32 v16, v27, v15
	v_and_b32_e32 v17, 1, v30
	v_add_u32_e32 v16, 2, v16
	;; [unrolled: 8-line block ×5, first 2 shown]
	v_cmp_eq_u32_e32 vcc, 1, v14
	v_cndmask_b32_e32 v11, v13, v11, vcc
	v_add_u32_e32 v23, v22, v46
	v_lshlrev_b32_e32 v11, 2, v11
	ds_write_b32 v11, v12
	v_sub_u32_e32 v11, v23, v2
	v_sub_u32_e32 v12, v27, v11
	v_and_b32_e32 v13, 1, v34
	v_add_u32_e32 v12, 6, v12
	v_cmp_eq_u32_e32 vcc, 1, v13
	v_cndmask_b32_e32 v11, v12, v11, vcc
	v_add_u32_e32 v24, v23, v47
	v_lshlrev_b32_e32 v11, 2, v11
	ds_write_b32 v11, v9
	v_sub_u32_e32 v9, v24, v2
	v_sub_u32_e32 v11, v27, v9
	v_and_b32_e32 v12, 1, v35
	v_add_u32_e32 v11, 7, v11
	;; [unrolled: 9-line block ×6, first 2 shown]
	v_cmp_eq_u32_e32 vcc, 1, v8
	v_cndmask_b32_e32 v5, v7, v5, vcc
	v_lshlrev_b32_e32 v5, 2, v5
	ds_write_b32 v5, v6
	v_sub_u32_e32 v5, v40, v2
	v_add_u32_e32 v5, v44, v5
	v_sub_u32_e32 v6, v27, v5
	v_add_u32_e32 v6, 12, v6
	v_cndmask_b32_e64 v5, v6, v5, s[36:37]
	v_lshlrev_b32_e32 v5, 2, v5
	ds_write_b32 v5, v26
	s_waitcnt lgkmcnt(0)
	s_barrier
	ds_read2st64_b32 v[15:16], v25 offset1:4
	ds_read2st64_b32 v[13:14], v25 offset0:8 offset1:12
	ds_read2st64_b32 v[11:12], v25 offset0:16 offset1:20
	;; [unrolled: 1-line block ×5, first 2 shown]
	ds_read_b32 v18, v25 offset:12288
	s_and_b64 vcc, exec, s[2:3]
	v_add_co_u32_e64 v17, s[2:3], v3, v2
	v_or_b32_e32 v32, 0x100, v0
	v_or_b32_e32 v30, 0x200, v0
	v_or_b32_e32 v29, 0x300, v0
	v_or_b32_e32 v28, 0x400, v0
	v_or_b32_e32 v27, 0x500, v0
	v_or_b32_e32 v26, 0x600, v0
	v_or_b32_e32 v24, 0x700, v0
	v_or_b32_e32 v23, 0x800, v0
	v_or_b32_e32 v22, 0x900, v0
	v_or_b32_e32 v21, 0xa00, v0
	v_or_b32_e32 v20, 0xb00, v0
	v_or_b32_e32 v19, 0xc00, v0
	v_addc_co_u32_e64 v4, s[2:3], 0, v4, s[2:3]
	s_cbranch_vccnz .LBB389_132
; %bb.76:
	v_mov_b32_e32 v2, s29
	v_subrev_co_u32_e32 v3, vcc, s28, v17
	s_sub_u32 s2, s30, s42
	v_subb_co_u32_e32 v2, vcc, v4, v2, vcc
	s_subb_u32 s3, s31, 0
	v_mov_b32_e32 v25, s3
	v_add_co_u32_e32 v31, vcc, s2, v1
	v_addc_co_u32_e32 v33, vcc, 0, v25, vcc
	v_add_co_u32_e32 v25, vcc, v31, v3
	v_addc_co_u32_e32 v31, vcc, v33, v2, vcc
	v_cmp_ge_u32_e32 vcc, v0, v1
                                        ; implicit-def: $vgpr2_vgpr3
	s_and_saveexec_b64 s[2:3], vcc
	s_xor_b64 s[2:3], exec, s[2:3]
; %bb.77:
	v_not_b32_e32 v2, v0
	v_ashrrev_i32_e32 v3, 31, v2
	v_add_co_u32_e32 v2, vcc, v25, v2
	v_addc_co_u32_e32 v3, vcc, v31, v3, vcc
; %bb.78:
	s_andn2_saveexec_b64 s[2:3], s[2:3]
; %bb.79:
	v_add_co_u32_e32 v2, vcc, v17, v0
	v_addc_co_u32_e32 v3, vcc, 0, v4, vcc
; %bb.80:
	s_or_b64 exec, exec, s[2:3]
	v_lshlrev_b64 v[2:3], 2, v[2:3]
	v_mov_b32_e32 v33, s23
	v_add_co_u32_e32 v2, vcc, s22, v2
	v_addc_co_u32_e32 v3, vcc, v33, v3, vcc
	v_cmp_ge_u32_e32 vcc, v32, v1
	s_waitcnt lgkmcnt(6)
	global_store_dword v[2:3], v15, off
                                        ; implicit-def: $vgpr2_vgpr3
	s_and_saveexec_b64 s[2:3], vcc
	s_xor_b64 s[2:3], exec, s[2:3]
; %bb.81:
	v_xor_b32_e32 v2, 0xfffffeff, v0
	v_ashrrev_i32_e32 v3, 31, v2
	v_add_co_u32_e32 v2, vcc, v25, v2
	v_addc_co_u32_e32 v3, vcc, v31, v3, vcc
; %bb.82:
	s_andn2_saveexec_b64 s[2:3], s[2:3]
; %bb.83:
	v_add_co_u32_e32 v2, vcc, v17, v32
	v_addc_co_u32_e32 v3, vcc, 0, v4, vcc
; %bb.84:
	s_or_b64 exec, exec, s[2:3]
	v_lshlrev_b64 v[2:3], 2, v[2:3]
	v_mov_b32_e32 v33, s23
	v_add_co_u32_e32 v2, vcc, s22, v2
	v_addc_co_u32_e32 v3, vcc, v33, v3, vcc
	v_cmp_ge_u32_e32 vcc, v30, v1
	global_store_dword v[2:3], v16, off
                                        ; implicit-def: $vgpr2_vgpr3
	s_and_saveexec_b64 s[2:3], vcc
	s_xor_b64 s[2:3], exec, s[2:3]
; %bb.85:
	v_xor_b32_e32 v2, 0xfffffdff, v0
	v_ashrrev_i32_e32 v3, 31, v2
	v_add_co_u32_e32 v2, vcc, v25, v2
	v_addc_co_u32_e32 v3, vcc, v31, v3, vcc
; %bb.86:
	s_andn2_saveexec_b64 s[2:3], s[2:3]
; %bb.87:
	v_add_co_u32_e32 v2, vcc, v17, v30
	v_addc_co_u32_e32 v3, vcc, 0, v4, vcc
; %bb.88:
	s_or_b64 exec, exec, s[2:3]
	v_lshlrev_b64 v[2:3], 2, v[2:3]
	v_mov_b32_e32 v33, s23
	v_add_co_u32_e32 v2, vcc, s22, v2
	v_addc_co_u32_e32 v3, vcc, v33, v3, vcc
	v_cmp_ge_u32_e32 vcc, v29, v1
	s_waitcnt lgkmcnt(5)
	global_store_dword v[2:3], v13, off
                                        ; implicit-def: $vgpr2_vgpr3
	s_and_saveexec_b64 s[2:3], vcc
	s_xor_b64 s[2:3], exec, s[2:3]
; %bb.89:
	v_xor_b32_e32 v2, 0xfffffcff, v0
	v_ashrrev_i32_e32 v3, 31, v2
	v_add_co_u32_e32 v2, vcc, v25, v2
	v_addc_co_u32_e32 v3, vcc, v31, v3, vcc
; %bb.90:
	s_andn2_saveexec_b64 s[2:3], s[2:3]
; %bb.91:
	v_add_co_u32_e32 v2, vcc, v17, v29
	v_addc_co_u32_e32 v3, vcc, 0, v4, vcc
; %bb.92:
	s_or_b64 exec, exec, s[2:3]
	v_lshlrev_b64 v[2:3], 2, v[2:3]
	v_mov_b32_e32 v33, s23
	v_add_co_u32_e32 v2, vcc, s22, v2
	v_addc_co_u32_e32 v3, vcc, v33, v3, vcc
	v_cmp_ge_u32_e32 vcc, v28, v1
	global_store_dword v[2:3], v14, off
                                        ; implicit-def: $vgpr2_vgpr3
	s_and_saveexec_b64 s[2:3], vcc
	s_xor_b64 s[2:3], exec, s[2:3]
; %bb.93:
	v_xor_b32_e32 v2, 0xfffffbff, v0
	;; [unrolled: 43-line block ×6, first 2 shown]
	v_ashrrev_i32_e32 v3, 31, v2
	v_add_co_u32_e32 v2, vcc, v25, v2
	v_addc_co_u32_e32 v3, vcc, v31, v3, vcc
; %bb.126:
	s_andn2_saveexec_b64 s[2:3], s[2:3]
; %bb.127:
	v_add_co_u32_e32 v2, vcc, v17, v19
	v_addc_co_u32_e32 v3, vcc, 0, v4, vcc
; %bb.128:
	s_or_b64 exec, exec, s[2:3]
	s_mov_b64 s[2:3], -1
.LBB389_129:
	s_and_saveexec_b64 s[4:5], s[2:3]
	s_cbranch_execz .LBB389_212
.LBB389_130:
	v_lshlrev_b64 v[2:3], 2, v[2:3]
	v_mov_b32_e32 v0, s23
	v_add_co_u32_e32 v2, vcc, s22, v2
	v_addc_co_u32_e32 v3, vcc, v0, v3, vcc
	s_waitcnt lgkmcnt(0)
	global_store_dword v[2:3], v18, off
	s_or_b64 exec, exec, s[4:5]
	s_and_b64 s[0:1], s[0:1], s[26:27]
	s_and_saveexec_b64 s[2:3], s[0:1]
	s_cbranch_execnz .LBB389_213
.LBB389_131:
	s_endpgm
.LBB389_132:
	s_mov_b64 s[2:3], 0
                                        ; implicit-def: $vgpr2_vgpr3
	s_cbranch_execz .LBB389_129
; %bb.133:
	s_add_u32 s4, s28, s42
	s_addc_u32 s5, s29, 0
	s_sub_u32 s4, s30, s4
	s_subb_u32 s5, s31, s5
	v_mov_b32_e32 v2, s5
	v_add_co_u32_e32 v3, vcc, s4, v1
	v_addc_co_u32_e32 v2, vcc, 0, v2, vcc
	v_add_co_u32_e32 v25, vcc, v3, v17
	v_addc_co_u32_e32 v31, vcc, v2, v4, vcc
	v_cmp_gt_u32_e32 vcc, s33, v0
	s_and_saveexec_b64 s[4:5], vcc
	s_cbranch_execz .LBB389_169
; %bb.134:
	v_cmp_ge_u32_e32 vcc, v0, v1
                                        ; implicit-def: $vgpr2_vgpr3
	s_and_saveexec_b64 s[6:7], vcc
	s_xor_b64 s[6:7], exec, s[6:7]
; %bb.135:
	v_not_b32_e32 v2, v0
	v_ashrrev_i32_e32 v3, 31, v2
	v_add_co_u32_e32 v2, vcc, v25, v2
	v_addc_co_u32_e32 v3, vcc, v31, v3, vcc
; %bb.136:
	s_andn2_saveexec_b64 s[6:7], s[6:7]
; %bb.137:
	v_add_co_u32_e32 v2, vcc, v17, v0
	v_addc_co_u32_e32 v3, vcc, 0, v4, vcc
; %bb.138:
	s_or_b64 exec, exec, s[6:7]
	v_lshlrev_b64 v[2:3], 2, v[2:3]
	v_mov_b32_e32 v33, s23
	v_add_co_u32_e32 v2, vcc, s22, v2
	v_addc_co_u32_e32 v3, vcc, v33, v3, vcc
	s_waitcnt lgkmcnt(6)
	global_store_dword v[2:3], v15, off
	s_or_b64 exec, exec, s[4:5]
	v_cmp_gt_u32_e32 vcc, s33, v32
	s_and_saveexec_b64 s[4:5], vcc
	s_cbranch_execnz .LBB389_170
.LBB389_139:
	s_or_b64 exec, exec, s[4:5]
	v_cmp_gt_u32_e32 vcc, s33, v30
	s_and_saveexec_b64 s[4:5], vcc
	s_cbranch_execz .LBB389_175
.LBB389_140:
	v_cmp_ge_u32_e32 vcc, v30, v1
                                        ; implicit-def: $vgpr2_vgpr3
	s_and_saveexec_b64 s[6:7], vcc
	s_xor_b64 s[6:7], exec, s[6:7]
; %bb.141:
	v_xor_b32_e32 v2, 0xfffffdff, v0
	v_ashrrev_i32_e32 v3, 31, v2
	v_add_co_u32_e32 v2, vcc, v25, v2
	v_addc_co_u32_e32 v3, vcc, v31, v3, vcc
                                        ; implicit-def: $vgpr30
; %bb.142:
	s_andn2_saveexec_b64 s[6:7], s[6:7]
; %bb.143:
	v_add_co_u32_e32 v2, vcc, v17, v30
	v_addc_co_u32_e32 v3, vcc, 0, v4, vcc
; %bb.144:
	s_or_b64 exec, exec, s[6:7]
	v_lshlrev_b64 v[2:3], 2, v[2:3]
	s_waitcnt lgkmcnt(6)
	v_mov_b32_e32 v15, s23
	v_add_co_u32_e32 v2, vcc, s22, v2
	v_addc_co_u32_e32 v3, vcc, v15, v3, vcc
	s_waitcnt lgkmcnt(5)
	global_store_dword v[2:3], v13, off
	s_or_b64 exec, exec, s[4:5]
	v_cmp_gt_u32_e32 vcc, s33, v29
	s_and_saveexec_b64 s[4:5], vcc
	s_cbranch_execnz .LBB389_176
.LBB389_145:
	s_or_b64 exec, exec, s[4:5]
	v_cmp_gt_u32_e32 vcc, s33, v28
	s_and_saveexec_b64 s[4:5], vcc
	s_cbranch_execz .LBB389_181
.LBB389_146:
	v_cmp_ge_u32_e32 vcc, v28, v1
                                        ; implicit-def: $vgpr2_vgpr3
	s_and_saveexec_b64 s[6:7], vcc
	s_xor_b64 s[6:7], exec, s[6:7]
; %bb.147:
	v_xor_b32_e32 v2, 0xfffffbff, v0
	v_ashrrev_i32_e32 v3, 31, v2
	v_add_co_u32_e32 v2, vcc, v25, v2
	v_addc_co_u32_e32 v3, vcc, v31, v3, vcc
                                        ; implicit-def: $vgpr28
; %bb.148:
	s_andn2_saveexec_b64 s[6:7], s[6:7]
; %bb.149:
	v_add_co_u32_e32 v2, vcc, v17, v28
	v_addc_co_u32_e32 v3, vcc, 0, v4, vcc
; %bb.150:
	s_or_b64 exec, exec, s[6:7]
	v_lshlrev_b64 v[2:3], 2, v[2:3]
	s_waitcnt lgkmcnt(5)
	v_mov_b32_e32 v13, s23
	v_add_co_u32_e32 v2, vcc, s22, v2
	v_addc_co_u32_e32 v3, vcc, v13, v3, vcc
	s_waitcnt lgkmcnt(4)
	global_store_dword v[2:3], v11, off
	s_or_b64 exec, exec, s[4:5]
	v_cmp_gt_u32_e32 vcc, s33, v27
	s_and_saveexec_b64 s[4:5], vcc
	s_cbranch_execnz .LBB389_182
.LBB389_151:
	s_or_b64 exec, exec, s[4:5]
	v_cmp_gt_u32_e32 vcc, s33, v26
	s_and_saveexec_b64 s[4:5], vcc
	s_cbranch_execz .LBB389_187
.LBB389_152:
	v_cmp_ge_u32_e32 vcc, v26, v1
                                        ; implicit-def: $vgpr2_vgpr3
	s_and_saveexec_b64 s[6:7], vcc
	s_xor_b64 s[6:7], exec, s[6:7]
; %bb.153:
	v_xor_b32_e32 v2, 0xfffff9ff, v0
	v_ashrrev_i32_e32 v3, 31, v2
	v_add_co_u32_e32 v2, vcc, v25, v2
	v_addc_co_u32_e32 v3, vcc, v31, v3, vcc
                                        ; implicit-def: $vgpr26
; %bb.154:
	s_andn2_saveexec_b64 s[6:7], s[6:7]
; %bb.155:
	v_add_co_u32_e32 v2, vcc, v17, v26
	v_addc_co_u32_e32 v3, vcc, 0, v4, vcc
; %bb.156:
	s_or_b64 exec, exec, s[6:7]
	v_lshlrev_b64 v[2:3], 2, v[2:3]
	s_waitcnt lgkmcnt(4)
	v_mov_b32_e32 v11, s23
	v_add_co_u32_e32 v2, vcc, s22, v2
	v_addc_co_u32_e32 v3, vcc, v11, v3, vcc
	s_waitcnt lgkmcnt(3)
	global_store_dword v[2:3], v9, off
	s_or_b64 exec, exec, s[4:5]
	v_cmp_gt_u32_e32 vcc, s33, v24
	s_and_saveexec_b64 s[4:5], vcc
	s_cbranch_execnz .LBB389_188
.LBB389_157:
	s_or_b64 exec, exec, s[4:5]
	v_cmp_gt_u32_e32 vcc, s33, v23
	s_and_saveexec_b64 s[4:5], vcc
	s_cbranch_execz .LBB389_193
.LBB389_158:
	v_cmp_ge_u32_e32 vcc, v23, v1
                                        ; implicit-def: $vgpr2_vgpr3
	s_and_saveexec_b64 s[6:7], vcc
	s_xor_b64 s[6:7], exec, s[6:7]
; %bb.159:
	v_xor_b32_e32 v2, 0xfffff7ff, v0
	v_ashrrev_i32_e32 v3, 31, v2
	v_add_co_u32_e32 v2, vcc, v25, v2
	v_addc_co_u32_e32 v3, vcc, v31, v3, vcc
                                        ; implicit-def: $vgpr23
; %bb.160:
	s_andn2_saveexec_b64 s[6:7], s[6:7]
; %bb.161:
	v_add_co_u32_e32 v2, vcc, v17, v23
	v_addc_co_u32_e32 v3, vcc, 0, v4, vcc
; %bb.162:
	s_or_b64 exec, exec, s[6:7]
	v_lshlrev_b64 v[2:3], 2, v[2:3]
	s_waitcnt lgkmcnt(3)
	v_mov_b32_e32 v9, s23
	v_add_co_u32_e32 v2, vcc, s22, v2
	v_addc_co_u32_e32 v3, vcc, v9, v3, vcc
	s_waitcnt lgkmcnt(2)
	global_store_dword v[2:3], v7, off
	s_or_b64 exec, exec, s[4:5]
	v_cmp_gt_u32_e32 vcc, s33, v22
	s_and_saveexec_b64 s[4:5], vcc
	s_cbranch_execnz .LBB389_194
.LBB389_163:
	s_or_b64 exec, exec, s[4:5]
	v_cmp_gt_u32_e32 vcc, s33, v21
	s_and_saveexec_b64 s[4:5], vcc
	s_cbranch_execz .LBB389_199
.LBB389_164:
	v_cmp_ge_u32_e32 vcc, v21, v1
                                        ; implicit-def: $vgpr2_vgpr3
	s_and_saveexec_b64 s[6:7], vcc
	s_xor_b64 s[6:7], exec, s[6:7]
; %bb.165:
	v_xor_b32_e32 v2, 0xfffff5ff, v0
	v_ashrrev_i32_e32 v3, 31, v2
	v_add_co_u32_e32 v2, vcc, v25, v2
	v_addc_co_u32_e32 v3, vcc, v31, v3, vcc
                                        ; implicit-def: $vgpr21
; %bb.166:
	s_andn2_saveexec_b64 s[6:7], s[6:7]
; %bb.167:
	v_add_co_u32_e32 v2, vcc, v17, v21
	v_addc_co_u32_e32 v3, vcc, 0, v4, vcc
; %bb.168:
	s_or_b64 exec, exec, s[6:7]
	v_lshlrev_b64 v[2:3], 2, v[2:3]
	s_waitcnt lgkmcnt(2)
	v_mov_b32_e32 v7, s23
	v_add_co_u32_e32 v2, vcc, s22, v2
	v_addc_co_u32_e32 v3, vcc, v7, v3, vcc
	s_waitcnt lgkmcnt(1)
	global_store_dword v[2:3], v5, off
	s_or_b64 exec, exec, s[4:5]
	v_cmp_gt_u32_e32 vcc, s33, v20
	s_and_saveexec_b64 s[4:5], vcc
	s_cbranch_execz .LBB389_205
	s_branch .LBB389_200
.LBB389_169:
	s_or_b64 exec, exec, s[4:5]
	v_cmp_gt_u32_e32 vcc, s33, v32
	s_and_saveexec_b64 s[4:5], vcc
	s_cbranch_execz .LBB389_139
.LBB389_170:
	v_cmp_ge_u32_e32 vcc, v32, v1
                                        ; implicit-def: $vgpr2_vgpr3
	s_and_saveexec_b64 s[6:7], vcc
	s_xor_b64 s[6:7], exec, s[6:7]
; %bb.171:
	v_xor_b32_e32 v2, 0xfffffeff, v0
	v_ashrrev_i32_e32 v3, 31, v2
	v_add_co_u32_e32 v2, vcc, v25, v2
	v_addc_co_u32_e32 v3, vcc, v31, v3, vcc
                                        ; implicit-def: $vgpr32
; %bb.172:
	s_andn2_saveexec_b64 s[6:7], s[6:7]
; %bb.173:
	v_add_co_u32_e32 v2, vcc, v17, v32
	v_addc_co_u32_e32 v3, vcc, 0, v4, vcc
; %bb.174:
	s_or_b64 exec, exec, s[6:7]
	v_lshlrev_b64 v[2:3], 2, v[2:3]
	s_waitcnt lgkmcnt(6)
	v_mov_b32_e32 v15, s23
	v_add_co_u32_e32 v2, vcc, s22, v2
	v_addc_co_u32_e32 v3, vcc, v15, v3, vcc
	global_store_dword v[2:3], v16, off
	s_or_b64 exec, exec, s[4:5]
	v_cmp_gt_u32_e32 vcc, s33, v30
	s_and_saveexec_b64 s[4:5], vcc
	s_cbranch_execnz .LBB389_140
.LBB389_175:
	s_or_b64 exec, exec, s[4:5]
	v_cmp_gt_u32_e32 vcc, s33, v29
	s_and_saveexec_b64 s[4:5], vcc
	s_cbranch_execz .LBB389_145
.LBB389_176:
	v_cmp_ge_u32_e32 vcc, v29, v1
                                        ; implicit-def: $vgpr2_vgpr3
	s_and_saveexec_b64 s[6:7], vcc
	s_xor_b64 s[6:7], exec, s[6:7]
; %bb.177:
	v_xor_b32_e32 v2, 0xfffffcff, v0
	v_ashrrev_i32_e32 v3, 31, v2
	v_add_co_u32_e32 v2, vcc, v25, v2
	v_addc_co_u32_e32 v3, vcc, v31, v3, vcc
                                        ; implicit-def: $vgpr29
; %bb.178:
	s_andn2_saveexec_b64 s[6:7], s[6:7]
; %bb.179:
	v_add_co_u32_e32 v2, vcc, v17, v29
	v_addc_co_u32_e32 v3, vcc, 0, v4, vcc
; %bb.180:
	s_or_b64 exec, exec, s[6:7]
	v_lshlrev_b64 v[2:3], 2, v[2:3]
	s_waitcnt lgkmcnt(5)
	v_mov_b32_e32 v13, s23
	v_add_co_u32_e32 v2, vcc, s22, v2
	v_addc_co_u32_e32 v3, vcc, v13, v3, vcc
	global_store_dword v[2:3], v14, off
	s_or_b64 exec, exec, s[4:5]
	v_cmp_gt_u32_e32 vcc, s33, v28
	s_and_saveexec_b64 s[4:5], vcc
	s_cbranch_execnz .LBB389_146
.LBB389_181:
	s_or_b64 exec, exec, s[4:5]
	v_cmp_gt_u32_e32 vcc, s33, v27
	s_and_saveexec_b64 s[4:5], vcc
	s_cbranch_execz .LBB389_151
.LBB389_182:
	v_cmp_ge_u32_e32 vcc, v27, v1
                                        ; implicit-def: $vgpr2_vgpr3
	s_and_saveexec_b64 s[6:7], vcc
	s_xor_b64 s[6:7], exec, s[6:7]
; %bb.183:
	v_xor_b32_e32 v2, 0xfffffaff, v0
	v_ashrrev_i32_e32 v3, 31, v2
	v_add_co_u32_e32 v2, vcc, v25, v2
	v_addc_co_u32_e32 v3, vcc, v31, v3, vcc
                                        ; implicit-def: $vgpr27
; %bb.184:
	s_andn2_saveexec_b64 s[6:7], s[6:7]
; %bb.185:
	v_add_co_u32_e32 v2, vcc, v17, v27
	v_addc_co_u32_e32 v3, vcc, 0, v4, vcc
; %bb.186:
	s_or_b64 exec, exec, s[6:7]
	v_lshlrev_b64 v[2:3], 2, v[2:3]
	s_waitcnt lgkmcnt(4)
	v_mov_b32_e32 v11, s23
	v_add_co_u32_e32 v2, vcc, s22, v2
	v_addc_co_u32_e32 v3, vcc, v11, v3, vcc
	global_store_dword v[2:3], v12, off
	s_or_b64 exec, exec, s[4:5]
	v_cmp_gt_u32_e32 vcc, s33, v26
	s_and_saveexec_b64 s[4:5], vcc
	s_cbranch_execnz .LBB389_152
.LBB389_187:
	s_or_b64 exec, exec, s[4:5]
	v_cmp_gt_u32_e32 vcc, s33, v24
	s_and_saveexec_b64 s[4:5], vcc
	s_cbranch_execz .LBB389_157
.LBB389_188:
	v_cmp_ge_u32_e32 vcc, v24, v1
                                        ; implicit-def: $vgpr2_vgpr3
	s_and_saveexec_b64 s[6:7], vcc
	s_xor_b64 s[6:7], exec, s[6:7]
; %bb.189:
	v_xor_b32_e32 v2, 0xfffff8ff, v0
	v_ashrrev_i32_e32 v3, 31, v2
	v_add_co_u32_e32 v2, vcc, v25, v2
	v_addc_co_u32_e32 v3, vcc, v31, v3, vcc
                                        ; implicit-def: $vgpr24
; %bb.190:
	s_andn2_saveexec_b64 s[6:7], s[6:7]
; %bb.191:
	v_add_co_u32_e32 v2, vcc, v17, v24
	v_addc_co_u32_e32 v3, vcc, 0, v4, vcc
; %bb.192:
	s_or_b64 exec, exec, s[6:7]
	v_lshlrev_b64 v[2:3], 2, v[2:3]
	s_waitcnt lgkmcnt(3)
	v_mov_b32_e32 v9, s23
	v_add_co_u32_e32 v2, vcc, s22, v2
	v_addc_co_u32_e32 v3, vcc, v9, v3, vcc
	global_store_dword v[2:3], v10, off
	s_or_b64 exec, exec, s[4:5]
	v_cmp_gt_u32_e32 vcc, s33, v23
	s_and_saveexec_b64 s[4:5], vcc
	s_cbranch_execnz .LBB389_158
.LBB389_193:
	s_or_b64 exec, exec, s[4:5]
	v_cmp_gt_u32_e32 vcc, s33, v22
	s_and_saveexec_b64 s[4:5], vcc
	s_cbranch_execz .LBB389_163
.LBB389_194:
	v_cmp_ge_u32_e32 vcc, v22, v1
                                        ; implicit-def: $vgpr2_vgpr3
	s_and_saveexec_b64 s[6:7], vcc
	s_xor_b64 s[6:7], exec, s[6:7]
; %bb.195:
	v_xor_b32_e32 v2, 0xfffff6ff, v0
	v_ashrrev_i32_e32 v3, 31, v2
	v_add_co_u32_e32 v2, vcc, v25, v2
	v_addc_co_u32_e32 v3, vcc, v31, v3, vcc
                                        ; implicit-def: $vgpr22
; %bb.196:
	s_andn2_saveexec_b64 s[6:7], s[6:7]
; %bb.197:
	v_add_co_u32_e32 v2, vcc, v17, v22
	v_addc_co_u32_e32 v3, vcc, 0, v4, vcc
; %bb.198:
	s_or_b64 exec, exec, s[6:7]
	v_lshlrev_b64 v[2:3], 2, v[2:3]
	s_waitcnt lgkmcnt(2)
	v_mov_b32_e32 v7, s23
	v_add_co_u32_e32 v2, vcc, s22, v2
	v_addc_co_u32_e32 v3, vcc, v7, v3, vcc
	global_store_dword v[2:3], v8, off
	s_or_b64 exec, exec, s[4:5]
	v_cmp_gt_u32_e32 vcc, s33, v21
	s_and_saveexec_b64 s[4:5], vcc
	s_cbranch_execnz .LBB389_164
.LBB389_199:
	s_or_b64 exec, exec, s[4:5]
	v_cmp_gt_u32_e32 vcc, s33, v20
	s_and_saveexec_b64 s[4:5], vcc
	s_cbranch_execz .LBB389_205
.LBB389_200:
	v_cmp_ge_u32_e32 vcc, v20, v1
                                        ; implicit-def: $vgpr2_vgpr3
	s_and_saveexec_b64 s[6:7], vcc
	s_xor_b64 s[6:7], exec, s[6:7]
; %bb.201:
	v_xor_b32_e32 v2, 0xfffff4ff, v0
	v_ashrrev_i32_e32 v3, 31, v2
	v_add_co_u32_e32 v2, vcc, v25, v2
	v_addc_co_u32_e32 v3, vcc, v31, v3, vcc
                                        ; implicit-def: $vgpr20
; %bb.202:
	s_andn2_saveexec_b64 s[6:7], s[6:7]
; %bb.203:
	v_add_co_u32_e32 v2, vcc, v17, v20
	v_addc_co_u32_e32 v3, vcc, 0, v4, vcc
; %bb.204:
	s_or_b64 exec, exec, s[6:7]
	v_lshlrev_b64 v[2:3], 2, v[2:3]
	s_waitcnt lgkmcnt(1)
	v_mov_b32_e32 v5, s23
	v_add_co_u32_e32 v2, vcc, s22, v2
	v_addc_co_u32_e32 v3, vcc, v5, v3, vcc
	global_store_dword v[2:3], v6, off
.LBB389_205:
	s_or_b64 exec, exec, s[4:5]
	v_cmp_gt_u32_e32 vcc, s33, v19
                                        ; implicit-def: $vgpr2_vgpr3
	s_and_saveexec_b64 s[4:5], vcc
	s_cbranch_execz .LBB389_211
; %bb.206:
	v_cmp_ge_u32_e32 vcc, v19, v1
                                        ; implicit-def: $vgpr2_vgpr3
	s_and_saveexec_b64 s[6:7], vcc
	s_xor_b64 s[6:7], exec, s[6:7]
; %bb.207:
	v_xor_b32_e32 v0, 0xfffff3ff, v0
	v_ashrrev_i32_e32 v3, 31, v0
	v_add_co_u32_e32 v2, vcc, v25, v0
	v_addc_co_u32_e32 v3, vcc, v31, v3, vcc
                                        ; implicit-def: $vgpr19
; %bb.208:
	s_andn2_saveexec_b64 s[6:7], s[6:7]
; %bb.209:
	v_add_co_u32_e32 v2, vcc, v17, v19
	v_addc_co_u32_e32 v3, vcc, 0, v4, vcc
; %bb.210:
	s_or_b64 exec, exec, s[6:7]
	s_or_b64 s[2:3], s[2:3], exec
.LBB389_211:
	s_or_b64 exec, exec, s[4:5]
	s_and_saveexec_b64 s[4:5], s[2:3]
	s_cbranch_execnz .LBB389_130
.LBB389_212:
	s_or_b64 exec, exec, s[4:5]
	s_and_b64 s[0:1], s[0:1], s[26:27]
	s_and_saveexec_b64 s[2:3], s[0:1]
	s_cbranch_execz .LBB389_131
.LBB389_213:
	v_add_co_u32_e32 v0, vcc, v17, v1
	v_mov_b32_e32 v2, 0
	v_addc_co_u32_e32 v1, vcc, 0, v4, vcc
	global_store_dwordx2 v2, v[0:1], s[24:25]
	s_endpgm
	.section	.rodata,"a",@progbits
	.p2align	6, 0x0
	.amdhsa_kernel _ZN7rocprim17ROCPRIM_400000_NS6detail17trampoline_kernelINS0_13select_configILj256ELj13ELNS0_17block_load_methodE3ELS4_3ELS4_3ELNS0_20block_scan_algorithmE0ELj4294967295EEENS1_25partition_config_selectorILNS1_17partition_subalgoE3EjNS0_10empty_typeEbEEZZNS1_14partition_implILS8_3ELb0ES6_jNS0_17counting_iteratorIjlEEPS9_SE_NS0_5tupleIJPjSE_EEENSF_IJSE_SE_EEES9_SG_JZNS1_25segmented_radix_sort_implINS0_14default_configELb0EPKaPaPKlPlN2at6native12_GLOBAL__N_18offset_tEEE10hipError_tPvRmT1_PNSt15iterator_traitsISY_E10value_typeET2_T3_PNSZ_IS14_E10value_typeET4_jRbjT5_S1A_jjP12ihipStream_tbEUljE_EEESV_SW_SX_S14_S18_S1A_T6_T7_T9_mT8_S1C_bDpT10_ENKUlT_T0_E_clISt17integral_constantIbLb0EES1O_IbLb1EEEEDaS1K_S1L_EUlS1K_E_NS1_11comp_targetILNS1_3genE2ELNS1_11target_archE906ELNS1_3gpuE6ELNS1_3repE0EEENS1_30default_config_static_selectorELNS0_4arch9wavefront6targetE1EEEvSY_
		.amdhsa_group_segment_fixed_size 13320
		.amdhsa_private_segment_fixed_size 0
		.amdhsa_kernarg_size 152
		.amdhsa_user_sgpr_count 6
		.amdhsa_user_sgpr_private_segment_buffer 1
		.amdhsa_user_sgpr_dispatch_ptr 0
		.amdhsa_user_sgpr_queue_ptr 0
		.amdhsa_user_sgpr_kernarg_segment_ptr 1
		.amdhsa_user_sgpr_dispatch_id 0
		.amdhsa_user_sgpr_flat_scratch_init 0
		.amdhsa_user_sgpr_private_segment_size 0
		.amdhsa_uses_dynamic_stack 0
		.amdhsa_system_sgpr_private_segment_wavefront_offset 0
		.amdhsa_system_sgpr_workgroup_id_x 1
		.amdhsa_system_sgpr_workgroup_id_y 0
		.amdhsa_system_sgpr_workgroup_id_z 0
		.amdhsa_system_sgpr_workgroup_info 0
		.amdhsa_system_vgpr_workitem_id 0
		.amdhsa_next_free_vgpr 71
		.amdhsa_next_free_sgpr 98
		.amdhsa_reserve_vcc 1
		.amdhsa_reserve_flat_scratch 0
		.amdhsa_float_round_mode_32 0
		.amdhsa_float_round_mode_16_64 0
		.amdhsa_float_denorm_mode_32 3
		.amdhsa_float_denorm_mode_16_64 3
		.amdhsa_dx10_clamp 1
		.amdhsa_ieee_mode 1
		.amdhsa_fp16_overflow 0
		.amdhsa_exception_fp_ieee_invalid_op 0
		.amdhsa_exception_fp_denorm_src 0
		.amdhsa_exception_fp_ieee_div_zero 0
		.amdhsa_exception_fp_ieee_overflow 0
		.amdhsa_exception_fp_ieee_underflow 0
		.amdhsa_exception_fp_ieee_inexact 0
		.amdhsa_exception_int_div_zero 0
	.end_amdhsa_kernel
	.section	.text._ZN7rocprim17ROCPRIM_400000_NS6detail17trampoline_kernelINS0_13select_configILj256ELj13ELNS0_17block_load_methodE3ELS4_3ELS4_3ELNS0_20block_scan_algorithmE0ELj4294967295EEENS1_25partition_config_selectorILNS1_17partition_subalgoE3EjNS0_10empty_typeEbEEZZNS1_14partition_implILS8_3ELb0ES6_jNS0_17counting_iteratorIjlEEPS9_SE_NS0_5tupleIJPjSE_EEENSF_IJSE_SE_EEES9_SG_JZNS1_25segmented_radix_sort_implINS0_14default_configELb0EPKaPaPKlPlN2at6native12_GLOBAL__N_18offset_tEEE10hipError_tPvRmT1_PNSt15iterator_traitsISY_E10value_typeET2_T3_PNSZ_IS14_E10value_typeET4_jRbjT5_S1A_jjP12ihipStream_tbEUljE_EEESV_SW_SX_S14_S18_S1A_T6_T7_T9_mT8_S1C_bDpT10_ENKUlT_T0_E_clISt17integral_constantIbLb0EES1O_IbLb1EEEEDaS1K_S1L_EUlS1K_E_NS1_11comp_targetILNS1_3genE2ELNS1_11target_archE906ELNS1_3gpuE6ELNS1_3repE0EEENS1_30default_config_static_selectorELNS0_4arch9wavefront6targetE1EEEvSY_,"axG",@progbits,_ZN7rocprim17ROCPRIM_400000_NS6detail17trampoline_kernelINS0_13select_configILj256ELj13ELNS0_17block_load_methodE3ELS4_3ELS4_3ELNS0_20block_scan_algorithmE0ELj4294967295EEENS1_25partition_config_selectorILNS1_17partition_subalgoE3EjNS0_10empty_typeEbEEZZNS1_14partition_implILS8_3ELb0ES6_jNS0_17counting_iteratorIjlEEPS9_SE_NS0_5tupleIJPjSE_EEENSF_IJSE_SE_EEES9_SG_JZNS1_25segmented_radix_sort_implINS0_14default_configELb0EPKaPaPKlPlN2at6native12_GLOBAL__N_18offset_tEEE10hipError_tPvRmT1_PNSt15iterator_traitsISY_E10value_typeET2_T3_PNSZ_IS14_E10value_typeET4_jRbjT5_S1A_jjP12ihipStream_tbEUljE_EEESV_SW_SX_S14_S18_S1A_T6_T7_T9_mT8_S1C_bDpT10_ENKUlT_T0_E_clISt17integral_constantIbLb0EES1O_IbLb1EEEEDaS1K_S1L_EUlS1K_E_NS1_11comp_targetILNS1_3genE2ELNS1_11target_archE906ELNS1_3gpuE6ELNS1_3repE0EEENS1_30default_config_static_selectorELNS0_4arch9wavefront6targetE1EEEvSY_,comdat
.Lfunc_end389:
	.size	_ZN7rocprim17ROCPRIM_400000_NS6detail17trampoline_kernelINS0_13select_configILj256ELj13ELNS0_17block_load_methodE3ELS4_3ELS4_3ELNS0_20block_scan_algorithmE0ELj4294967295EEENS1_25partition_config_selectorILNS1_17partition_subalgoE3EjNS0_10empty_typeEbEEZZNS1_14partition_implILS8_3ELb0ES6_jNS0_17counting_iteratorIjlEEPS9_SE_NS0_5tupleIJPjSE_EEENSF_IJSE_SE_EEES9_SG_JZNS1_25segmented_radix_sort_implINS0_14default_configELb0EPKaPaPKlPlN2at6native12_GLOBAL__N_18offset_tEEE10hipError_tPvRmT1_PNSt15iterator_traitsISY_E10value_typeET2_T3_PNSZ_IS14_E10value_typeET4_jRbjT5_S1A_jjP12ihipStream_tbEUljE_EEESV_SW_SX_S14_S18_S1A_T6_T7_T9_mT8_S1C_bDpT10_ENKUlT_T0_E_clISt17integral_constantIbLb0EES1O_IbLb1EEEEDaS1K_S1L_EUlS1K_E_NS1_11comp_targetILNS1_3genE2ELNS1_11target_archE906ELNS1_3gpuE6ELNS1_3repE0EEENS1_30default_config_static_selectorELNS0_4arch9wavefront6targetE1EEEvSY_, .Lfunc_end389-_ZN7rocprim17ROCPRIM_400000_NS6detail17trampoline_kernelINS0_13select_configILj256ELj13ELNS0_17block_load_methodE3ELS4_3ELS4_3ELNS0_20block_scan_algorithmE0ELj4294967295EEENS1_25partition_config_selectorILNS1_17partition_subalgoE3EjNS0_10empty_typeEbEEZZNS1_14partition_implILS8_3ELb0ES6_jNS0_17counting_iteratorIjlEEPS9_SE_NS0_5tupleIJPjSE_EEENSF_IJSE_SE_EEES9_SG_JZNS1_25segmented_radix_sort_implINS0_14default_configELb0EPKaPaPKlPlN2at6native12_GLOBAL__N_18offset_tEEE10hipError_tPvRmT1_PNSt15iterator_traitsISY_E10value_typeET2_T3_PNSZ_IS14_E10value_typeET4_jRbjT5_S1A_jjP12ihipStream_tbEUljE_EEESV_SW_SX_S14_S18_S1A_T6_T7_T9_mT8_S1C_bDpT10_ENKUlT_T0_E_clISt17integral_constantIbLb0EES1O_IbLb1EEEEDaS1K_S1L_EUlS1K_E_NS1_11comp_targetILNS1_3genE2ELNS1_11target_archE906ELNS1_3gpuE6ELNS1_3repE0EEENS1_30default_config_static_selectorELNS0_4arch9wavefront6targetE1EEEvSY_
                                        ; -- End function
	.set _ZN7rocprim17ROCPRIM_400000_NS6detail17trampoline_kernelINS0_13select_configILj256ELj13ELNS0_17block_load_methodE3ELS4_3ELS4_3ELNS0_20block_scan_algorithmE0ELj4294967295EEENS1_25partition_config_selectorILNS1_17partition_subalgoE3EjNS0_10empty_typeEbEEZZNS1_14partition_implILS8_3ELb0ES6_jNS0_17counting_iteratorIjlEEPS9_SE_NS0_5tupleIJPjSE_EEENSF_IJSE_SE_EEES9_SG_JZNS1_25segmented_radix_sort_implINS0_14default_configELb0EPKaPaPKlPlN2at6native12_GLOBAL__N_18offset_tEEE10hipError_tPvRmT1_PNSt15iterator_traitsISY_E10value_typeET2_T3_PNSZ_IS14_E10value_typeET4_jRbjT5_S1A_jjP12ihipStream_tbEUljE_EEESV_SW_SX_S14_S18_S1A_T6_T7_T9_mT8_S1C_bDpT10_ENKUlT_T0_E_clISt17integral_constantIbLb0EES1O_IbLb1EEEEDaS1K_S1L_EUlS1K_E_NS1_11comp_targetILNS1_3genE2ELNS1_11target_archE906ELNS1_3gpuE6ELNS1_3repE0EEENS1_30default_config_static_selectorELNS0_4arch9wavefront6targetE1EEEvSY_.num_vgpr, 71
	.set _ZN7rocprim17ROCPRIM_400000_NS6detail17trampoline_kernelINS0_13select_configILj256ELj13ELNS0_17block_load_methodE3ELS4_3ELS4_3ELNS0_20block_scan_algorithmE0ELj4294967295EEENS1_25partition_config_selectorILNS1_17partition_subalgoE3EjNS0_10empty_typeEbEEZZNS1_14partition_implILS8_3ELb0ES6_jNS0_17counting_iteratorIjlEEPS9_SE_NS0_5tupleIJPjSE_EEENSF_IJSE_SE_EEES9_SG_JZNS1_25segmented_radix_sort_implINS0_14default_configELb0EPKaPaPKlPlN2at6native12_GLOBAL__N_18offset_tEEE10hipError_tPvRmT1_PNSt15iterator_traitsISY_E10value_typeET2_T3_PNSZ_IS14_E10value_typeET4_jRbjT5_S1A_jjP12ihipStream_tbEUljE_EEESV_SW_SX_S14_S18_S1A_T6_T7_T9_mT8_S1C_bDpT10_ENKUlT_T0_E_clISt17integral_constantIbLb0EES1O_IbLb1EEEEDaS1K_S1L_EUlS1K_E_NS1_11comp_targetILNS1_3genE2ELNS1_11target_archE906ELNS1_3gpuE6ELNS1_3repE0EEENS1_30default_config_static_selectorELNS0_4arch9wavefront6targetE1EEEvSY_.num_agpr, 0
	.set _ZN7rocprim17ROCPRIM_400000_NS6detail17trampoline_kernelINS0_13select_configILj256ELj13ELNS0_17block_load_methodE3ELS4_3ELS4_3ELNS0_20block_scan_algorithmE0ELj4294967295EEENS1_25partition_config_selectorILNS1_17partition_subalgoE3EjNS0_10empty_typeEbEEZZNS1_14partition_implILS8_3ELb0ES6_jNS0_17counting_iteratorIjlEEPS9_SE_NS0_5tupleIJPjSE_EEENSF_IJSE_SE_EEES9_SG_JZNS1_25segmented_radix_sort_implINS0_14default_configELb0EPKaPaPKlPlN2at6native12_GLOBAL__N_18offset_tEEE10hipError_tPvRmT1_PNSt15iterator_traitsISY_E10value_typeET2_T3_PNSZ_IS14_E10value_typeET4_jRbjT5_S1A_jjP12ihipStream_tbEUljE_EEESV_SW_SX_S14_S18_S1A_T6_T7_T9_mT8_S1C_bDpT10_ENKUlT_T0_E_clISt17integral_constantIbLb0EES1O_IbLb1EEEEDaS1K_S1L_EUlS1K_E_NS1_11comp_targetILNS1_3genE2ELNS1_11target_archE906ELNS1_3gpuE6ELNS1_3repE0EEENS1_30default_config_static_selectorELNS0_4arch9wavefront6targetE1EEEvSY_.numbered_sgpr, 46
	.set _ZN7rocprim17ROCPRIM_400000_NS6detail17trampoline_kernelINS0_13select_configILj256ELj13ELNS0_17block_load_methodE3ELS4_3ELS4_3ELNS0_20block_scan_algorithmE0ELj4294967295EEENS1_25partition_config_selectorILNS1_17partition_subalgoE3EjNS0_10empty_typeEbEEZZNS1_14partition_implILS8_3ELb0ES6_jNS0_17counting_iteratorIjlEEPS9_SE_NS0_5tupleIJPjSE_EEENSF_IJSE_SE_EEES9_SG_JZNS1_25segmented_radix_sort_implINS0_14default_configELb0EPKaPaPKlPlN2at6native12_GLOBAL__N_18offset_tEEE10hipError_tPvRmT1_PNSt15iterator_traitsISY_E10value_typeET2_T3_PNSZ_IS14_E10value_typeET4_jRbjT5_S1A_jjP12ihipStream_tbEUljE_EEESV_SW_SX_S14_S18_S1A_T6_T7_T9_mT8_S1C_bDpT10_ENKUlT_T0_E_clISt17integral_constantIbLb0EES1O_IbLb1EEEEDaS1K_S1L_EUlS1K_E_NS1_11comp_targetILNS1_3genE2ELNS1_11target_archE906ELNS1_3gpuE6ELNS1_3repE0EEENS1_30default_config_static_selectorELNS0_4arch9wavefront6targetE1EEEvSY_.num_named_barrier, 0
	.set _ZN7rocprim17ROCPRIM_400000_NS6detail17trampoline_kernelINS0_13select_configILj256ELj13ELNS0_17block_load_methodE3ELS4_3ELS4_3ELNS0_20block_scan_algorithmE0ELj4294967295EEENS1_25partition_config_selectorILNS1_17partition_subalgoE3EjNS0_10empty_typeEbEEZZNS1_14partition_implILS8_3ELb0ES6_jNS0_17counting_iteratorIjlEEPS9_SE_NS0_5tupleIJPjSE_EEENSF_IJSE_SE_EEES9_SG_JZNS1_25segmented_radix_sort_implINS0_14default_configELb0EPKaPaPKlPlN2at6native12_GLOBAL__N_18offset_tEEE10hipError_tPvRmT1_PNSt15iterator_traitsISY_E10value_typeET2_T3_PNSZ_IS14_E10value_typeET4_jRbjT5_S1A_jjP12ihipStream_tbEUljE_EEESV_SW_SX_S14_S18_S1A_T6_T7_T9_mT8_S1C_bDpT10_ENKUlT_T0_E_clISt17integral_constantIbLb0EES1O_IbLb1EEEEDaS1K_S1L_EUlS1K_E_NS1_11comp_targetILNS1_3genE2ELNS1_11target_archE906ELNS1_3gpuE6ELNS1_3repE0EEENS1_30default_config_static_selectorELNS0_4arch9wavefront6targetE1EEEvSY_.private_seg_size, 0
	.set _ZN7rocprim17ROCPRIM_400000_NS6detail17trampoline_kernelINS0_13select_configILj256ELj13ELNS0_17block_load_methodE3ELS4_3ELS4_3ELNS0_20block_scan_algorithmE0ELj4294967295EEENS1_25partition_config_selectorILNS1_17partition_subalgoE3EjNS0_10empty_typeEbEEZZNS1_14partition_implILS8_3ELb0ES6_jNS0_17counting_iteratorIjlEEPS9_SE_NS0_5tupleIJPjSE_EEENSF_IJSE_SE_EEES9_SG_JZNS1_25segmented_radix_sort_implINS0_14default_configELb0EPKaPaPKlPlN2at6native12_GLOBAL__N_18offset_tEEE10hipError_tPvRmT1_PNSt15iterator_traitsISY_E10value_typeET2_T3_PNSZ_IS14_E10value_typeET4_jRbjT5_S1A_jjP12ihipStream_tbEUljE_EEESV_SW_SX_S14_S18_S1A_T6_T7_T9_mT8_S1C_bDpT10_ENKUlT_T0_E_clISt17integral_constantIbLb0EES1O_IbLb1EEEEDaS1K_S1L_EUlS1K_E_NS1_11comp_targetILNS1_3genE2ELNS1_11target_archE906ELNS1_3gpuE6ELNS1_3repE0EEENS1_30default_config_static_selectorELNS0_4arch9wavefront6targetE1EEEvSY_.uses_vcc, 1
	.set _ZN7rocprim17ROCPRIM_400000_NS6detail17trampoline_kernelINS0_13select_configILj256ELj13ELNS0_17block_load_methodE3ELS4_3ELS4_3ELNS0_20block_scan_algorithmE0ELj4294967295EEENS1_25partition_config_selectorILNS1_17partition_subalgoE3EjNS0_10empty_typeEbEEZZNS1_14partition_implILS8_3ELb0ES6_jNS0_17counting_iteratorIjlEEPS9_SE_NS0_5tupleIJPjSE_EEENSF_IJSE_SE_EEES9_SG_JZNS1_25segmented_radix_sort_implINS0_14default_configELb0EPKaPaPKlPlN2at6native12_GLOBAL__N_18offset_tEEE10hipError_tPvRmT1_PNSt15iterator_traitsISY_E10value_typeET2_T3_PNSZ_IS14_E10value_typeET4_jRbjT5_S1A_jjP12ihipStream_tbEUljE_EEESV_SW_SX_S14_S18_S1A_T6_T7_T9_mT8_S1C_bDpT10_ENKUlT_T0_E_clISt17integral_constantIbLb0EES1O_IbLb1EEEEDaS1K_S1L_EUlS1K_E_NS1_11comp_targetILNS1_3genE2ELNS1_11target_archE906ELNS1_3gpuE6ELNS1_3repE0EEENS1_30default_config_static_selectorELNS0_4arch9wavefront6targetE1EEEvSY_.uses_flat_scratch, 0
	.set _ZN7rocprim17ROCPRIM_400000_NS6detail17trampoline_kernelINS0_13select_configILj256ELj13ELNS0_17block_load_methodE3ELS4_3ELS4_3ELNS0_20block_scan_algorithmE0ELj4294967295EEENS1_25partition_config_selectorILNS1_17partition_subalgoE3EjNS0_10empty_typeEbEEZZNS1_14partition_implILS8_3ELb0ES6_jNS0_17counting_iteratorIjlEEPS9_SE_NS0_5tupleIJPjSE_EEENSF_IJSE_SE_EEES9_SG_JZNS1_25segmented_radix_sort_implINS0_14default_configELb0EPKaPaPKlPlN2at6native12_GLOBAL__N_18offset_tEEE10hipError_tPvRmT1_PNSt15iterator_traitsISY_E10value_typeET2_T3_PNSZ_IS14_E10value_typeET4_jRbjT5_S1A_jjP12ihipStream_tbEUljE_EEESV_SW_SX_S14_S18_S1A_T6_T7_T9_mT8_S1C_bDpT10_ENKUlT_T0_E_clISt17integral_constantIbLb0EES1O_IbLb1EEEEDaS1K_S1L_EUlS1K_E_NS1_11comp_targetILNS1_3genE2ELNS1_11target_archE906ELNS1_3gpuE6ELNS1_3repE0EEENS1_30default_config_static_selectorELNS0_4arch9wavefront6targetE1EEEvSY_.has_dyn_sized_stack, 0
	.set _ZN7rocprim17ROCPRIM_400000_NS6detail17trampoline_kernelINS0_13select_configILj256ELj13ELNS0_17block_load_methodE3ELS4_3ELS4_3ELNS0_20block_scan_algorithmE0ELj4294967295EEENS1_25partition_config_selectorILNS1_17partition_subalgoE3EjNS0_10empty_typeEbEEZZNS1_14partition_implILS8_3ELb0ES6_jNS0_17counting_iteratorIjlEEPS9_SE_NS0_5tupleIJPjSE_EEENSF_IJSE_SE_EEES9_SG_JZNS1_25segmented_radix_sort_implINS0_14default_configELb0EPKaPaPKlPlN2at6native12_GLOBAL__N_18offset_tEEE10hipError_tPvRmT1_PNSt15iterator_traitsISY_E10value_typeET2_T3_PNSZ_IS14_E10value_typeET4_jRbjT5_S1A_jjP12ihipStream_tbEUljE_EEESV_SW_SX_S14_S18_S1A_T6_T7_T9_mT8_S1C_bDpT10_ENKUlT_T0_E_clISt17integral_constantIbLb0EES1O_IbLb1EEEEDaS1K_S1L_EUlS1K_E_NS1_11comp_targetILNS1_3genE2ELNS1_11target_archE906ELNS1_3gpuE6ELNS1_3repE0EEENS1_30default_config_static_selectorELNS0_4arch9wavefront6targetE1EEEvSY_.has_recursion, 0
	.set _ZN7rocprim17ROCPRIM_400000_NS6detail17trampoline_kernelINS0_13select_configILj256ELj13ELNS0_17block_load_methodE3ELS4_3ELS4_3ELNS0_20block_scan_algorithmE0ELj4294967295EEENS1_25partition_config_selectorILNS1_17partition_subalgoE3EjNS0_10empty_typeEbEEZZNS1_14partition_implILS8_3ELb0ES6_jNS0_17counting_iteratorIjlEEPS9_SE_NS0_5tupleIJPjSE_EEENSF_IJSE_SE_EEES9_SG_JZNS1_25segmented_radix_sort_implINS0_14default_configELb0EPKaPaPKlPlN2at6native12_GLOBAL__N_18offset_tEEE10hipError_tPvRmT1_PNSt15iterator_traitsISY_E10value_typeET2_T3_PNSZ_IS14_E10value_typeET4_jRbjT5_S1A_jjP12ihipStream_tbEUljE_EEESV_SW_SX_S14_S18_S1A_T6_T7_T9_mT8_S1C_bDpT10_ENKUlT_T0_E_clISt17integral_constantIbLb0EES1O_IbLb1EEEEDaS1K_S1L_EUlS1K_E_NS1_11comp_targetILNS1_3genE2ELNS1_11target_archE906ELNS1_3gpuE6ELNS1_3repE0EEENS1_30default_config_static_selectorELNS0_4arch9wavefront6targetE1EEEvSY_.has_indirect_call, 0
	.section	.AMDGPU.csdata,"",@progbits
; Kernel info:
; codeLenInByte = 7548
; TotalNumSgprs: 50
; NumVgprs: 71
; ScratchSize: 0
; MemoryBound: 0
; FloatMode: 240
; IeeeMode: 1
; LDSByteSize: 13320 bytes/workgroup (compile time only)
; SGPRBlocks: 12
; VGPRBlocks: 17
; NumSGPRsForWavesPerEU: 102
; NumVGPRsForWavesPerEU: 71
; Occupancy: 3
; WaveLimiterHint : 0
; COMPUTE_PGM_RSRC2:SCRATCH_EN: 0
; COMPUTE_PGM_RSRC2:USER_SGPR: 6
; COMPUTE_PGM_RSRC2:TRAP_HANDLER: 0
; COMPUTE_PGM_RSRC2:TGID_X_EN: 1
; COMPUTE_PGM_RSRC2:TGID_Y_EN: 0
; COMPUTE_PGM_RSRC2:TGID_Z_EN: 0
; COMPUTE_PGM_RSRC2:TIDIG_COMP_CNT: 0
	.section	.text._ZN7rocprim17ROCPRIM_400000_NS6detail17trampoline_kernelINS0_13select_configILj256ELj13ELNS0_17block_load_methodE3ELS4_3ELS4_3ELNS0_20block_scan_algorithmE0ELj4294967295EEENS1_25partition_config_selectorILNS1_17partition_subalgoE3EjNS0_10empty_typeEbEEZZNS1_14partition_implILS8_3ELb0ES6_jNS0_17counting_iteratorIjlEEPS9_SE_NS0_5tupleIJPjSE_EEENSF_IJSE_SE_EEES9_SG_JZNS1_25segmented_radix_sort_implINS0_14default_configELb0EPKaPaPKlPlN2at6native12_GLOBAL__N_18offset_tEEE10hipError_tPvRmT1_PNSt15iterator_traitsISY_E10value_typeET2_T3_PNSZ_IS14_E10value_typeET4_jRbjT5_S1A_jjP12ihipStream_tbEUljE_EEESV_SW_SX_S14_S18_S1A_T6_T7_T9_mT8_S1C_bDpT10_ENKUlT_T0_E_clISt17integral_constantIbLb0EES1O_IbLb1EEEEDaS1K_S1L_EUlS1K_E_NS1_11comp_targetILNS1_3genE10ELNS1_11target_archE1200ELNS1_3gpuE4ELNS1_3repE0EEENS1_30default_config_static_selectorELNS0_4arch9wavefront6targetE1EEEvSY_,"axG",@progbits,_ZN7rocprim17ROCPRIM_400000_NS6detail17trampoline_kernelINS0_13select_configILj256ELj13ELNS0_17block_load_methodE3ELS4_3ELS4_3ELNS0_20block_scan_algorithmE0ELj4294967295EEENS1_25partition_config_selectorILNS1_17partition_subalgoE3EjNS0_10empty_typeEbEEZZNS1_14partition_implILS8_3ELb0ES6_jNS0_17counting_iteratorIjlEEPS9_SE_NS0_5tupleIJPjSE_EEENSF_IJSE_SE_EEES9_SG_JZNS1_25segmented_radix_sort_implINS0_14default_configELb0EPKaPaPKlPlN2at6native12_GLOBAL__N_18offset_tEEE10hipError_tPvRmT1_PNSt15iterator_traitsISY_E10value_typeET2_T3_PNSZ_IS14_E10value_typeET4_jRbjT5_S1A_jjP12ihipStream_tbEUljE_EEESV_SW_SX_S14_S18_S1A_T6_T7_T9_mT8_S1C_bDpT10_ENKUlT_T0_E_clISt17integral_constantIbLb0EES1O_IbLb1EEEEDaS1K_S1L_EUlS1K_E_NS1_11comp_targetILNS1_3genE10ELNS1_11target_archE1200ELNS1_3gpuE4ELNS1_3repE0EEENS1_30default_config_static_selectorELNS0_4arch9wavefront6targetE1EEEvSY_,comdat
	.globl	_ZN7rocprim17ROCPRIM_400000_NS6detail17trampoline_kernelINS0_13select_configILj256ELj13ELNS0_17block_load_methodE3ELS4_3ELS4_3ELNS0_20block_scan_algorithmE0ELj4294967295EEENS1_25partition_config_selectorILNS1_17partition_subalgoE3EjNS0_10empty_typeEbEEZZNS1_14partition_implILS8_3ELb0ES6_jNS0_17counting_iteratorIjlEEPS9_SE_NS0_5tupleIJPjSE_EEENSF_IJSE_SE_EEES9_SG_JZNS1_25segmented_radix_sort_implINS0_14default_configELb0EPKaPaPKlPlN2at6native12_GLOBAL__N_18offset_tEEE10hipError_tPvRmT1_PNSt15iterator_traitsISY_E10value_typeET2_T3_PNSZ_IS14_E10value_typeET4_jRbjT5_S1A_jjP12ihipStream_tbEUljE_EEESV_SW_SX_S14_S18_S1A_T6_T7_T9_mT8_S1C_bDpT10_ENKUlT_T0_E_clISt17integral_constantIbLb0EES1O_IbLb1EEEEDaS1K_S1L_EUlS1K_E_NS1_11comp_targetILNS1_3genE10ELNS1_11target_archE1200ELNS1_3gpuE4ELNS1_3repE0EEENS1_30default_config_static_selectorELNS0_4arch9wavefront6targetE1EEEvSY_ ; -- Begin function _ZN7rocprim17ROCPRIM_400000_NS6detail17trampoline_kernelINS0_13select_configILj256ELj13ELNS0_17block_load_methodE3ELS4_3ELS4_3ELNS0_20block_scan_algorithmE0ELj4294967295EEENS1_25partition_config_selectorILNS1_17partition_subalgoE3EjNS0_10empty_typeEbEEZZNS1_14partition_implILS8_3ELb0ES6_jNS0_17counting_iteratorIjlEEPS9_SE_NS0_5tupleIJPjSE_EEENSF_IJSE_SE_EEES9_SG_JZNS1_25segmented_radix_sort_implINS0_14default_configELb0EPKaPaPKlPlN2at6native12_GLOBAL__N_18offset_tEEE10hipError_tPvRmT1_PNSt15iterator_traitsISY_E10value_typeET2_T3_PNSZ_IS14_E10value_typeET4_jRbjT5_S1A_jjP12ihipStream_tbEUljE_EEESV_SW_SX_S14_S18_S1A_T6_T7_T9_mT8_S1C_bDpT10_ENKUlT_T0_E_clISt17integral_constantIbLb0EES1O_IbLb1EEEEDaS1K_S1L_EUlS1K_E_NS1_11comp_targetILNS1_3genE10ELNS1_11target_archE1200ELNS1_3gpuE4ELNS1_3repE0EEENS1_30default_config_static_selectorELNS0_4arch9wavefront6targetE1EEEvSY_
	.p2align	8
	.type	_ZN7rocprim17ROCPRIM_400000_NS6detail17trampoline_kernelINS0_13select_configILj256ELj13ELNS0_17block_load_methodE3ELS4_3ELS4_3ELNS0_20block_scan_algorithmE0ELj4294967295EEENS1_25partition_config_selectorILNS1_17partition_subalgoE3EjNS0_10empty_typeEbEEZZNS1_14partition_implILS8_3ELb0ES6_jNS0_17counting_iteratorIjlEEPS9_SE_NS0_5tupleIJPjSE_EEENSF_IJSE_SE_EEES9_SG_JZNS1_25segmented_radix_sort_implINS0_14default_configELb0EPKaPaPKlPlN2at6native12_GLOBAL__N_18offset_tEEE10hipError_tPvRmT1_PNSt15iterator_traitsISY_E10value_typeET2_T3_PNSZ_IS14_E10value_typeET4_jRbjT5_S1A_jjP12ihipStream_tbEUljE_EEESV_SW_SX_S14_S18_S1A_T6_T7_T9_mT8_S1C_bDpT10_ENKUlT_T0_E_clISt17integral_constantIbLb0EES1O_IbLb1EEEEDaS1K_S1L_EUlS1K_E_NS1_11comp_targetILNS1_3genE10ELNS1_11target_archE1200ELNS1_3gpuE4ELNS1_3repE0EEENS1_30default_config_static_selectorELNS0_4arch9wavefront6targetE1EEEvSY_,@function
_ZN7rocprim17ROCPRIM_400000_NS6detail17trampoline_kernelINS0_13select_configILj256ELj13ELNS0_17block_load_methodE3ELS4_3ELS4_3ELNS0_20block_scan_algorithmE0ELj4294967295EEENS1_25partition_config_selectorILNS1_17partition_subalgoE3EjNS0_10empty_typeEbEEZZNS1_14partition_implILS8_3ELb0ES6_jNS0_17counting_iteratorIjlEEPS9_SE_NS0_5tupleIJPjSE_EEENSF_IJSE_SE_EEES9_SG_JZNS1_25segmented_radix_sort_implINS0_14default_configELb0EPKaPaPKlPlN2at6native12_GLOBAL__N_18offset_tEEE10hipError_tPvRmT1_PNSt15iterator_traitsISY_E10value_typeET2_T3_PNSZ_IS14_E10value_typeET4_jRbjT5_S1A_jjP12ihipStream_tbEUljE_EEESV_SW_SX_S14_S18_S1A_T6_T7_T9_mT8_S1C_bDpT10_ENKUlT_T0_E_clISt17integral_constantIbLb0EES1O_IbLb1EEEEDaS1K_S1L_EUlS1K_E_NS1_11comp_targetILNS1_3genE10ELNS1_11target_archE1200ELNS1_3gpuE4ELNS1_3repE0EEENS1_30default_config_static_selectorELNS0_4arch9wavefront6targetE1EEEvSY_: ; @_ZN7rocprim17ROCPRIM_400000_NS6detail17trampoline_kernelINS0_13select_configILj256ELj13ELNS0_17block_load_methodE3ELS4_3ELS4_3ELNS0_20block_scan_algorithmE0ELj4294967295EEENS1_25partition_config_selectorILNS1_17partition_subalgoE3EjNS0_10empty_typeEbEEZZNS1_14partition_implILS8_3ELb0ES6_jNS0_17counting_iteratorIjlEEPS9_SE_NS0_5tupleIJPjSE_EEENSF_IJSE_SE_EEES9_SG_JZNS1_25segmented_radix_sort_implINS0_14default_configELb0EPKaPaPKlPlN2at6native12_GLOBAL__N_18offset_tEEE10hipError_tPvRmT1_PNSt15iterator_traitsISY_E10value_typeET2_T3_PNSZ_IS14_E10value_typeET4_jRbjT5_S1A_jjP12ihipStream_tbEUljE_EEESV_SW_SX_S14_S18_S1A_T6_T7_T9_mT8_S1C_bDpT10_ENKUlT_T0_E_clISt17integral_constantIbLb0EES1O_IbLb1EEEEDaS1K_S1L_EUlS1K_E_NS1_11comp_targetILNS1_3genE10ELNS1_11target_archE1200ELNS1_3gpuE4ELNS1_3repE0EEENS1_30default_config_static_selectorELNS0_4arch9wavefront6targetE1EEEvSY_
; %bb.0:
	.section	.rodata,"a",@progbits
	.p2align	6, 0x0
	.amdhsa_kernel _ZN7rocprim17ROCPRIM_400000_NS6detail17trampoline_kernelINS0_13select_configILj256ELj13ELNS0_17block_load_methodE3ELS4_3ELS4_3ELNS0_20block_scan_algorithmE0ELj4294967295EEENS1_25partition_config_selectorILNS1_17partition_subalgoE3EjNS0_10empty_typeEbEEZZNS1_14partition_implILS8_3ELb0ES6_jNS0_17counting_iteratorIjlEEPS9_SE_NS0_5tupleIJPjSE_EEENSF_IJSE_SE_EEES9_SG_JZNS1_25segmented_radix_sort_implINS0_14default_configELb0EPKaPaPKlPlN2at6native12_GLOBAL__N_18offset_tEEE10hipError_tPvRmT1_PNSt15iterator_traitsISY_E10value_typeET2_T3_PNSZ_IS14_E10value_typeET4_jRbjT5_S1A_jjP12ihipStream_tbEUljE_EEESV_SW_SX_S14_S18_S1A_T6_T7_T9_mT8_S1C_bDpT10_ENKUlT_T0_E_clISt17integral_constantIbLb0EES1O_IbLb1EEEEDaS1K_S1L_EUlS1K_E_NS1_11comp_targetILNS1_3genE10ELNS1_11target_archE1200ELNS1_3gpuE4ELNS1_3repE0EEENS1_30default_config_static_selectorELNS0_4arch9wavefront6targetE1EEEvSY_
		.amdhsa_group_segment_fixed_size 0
		.amdhsa_private_segment_fixed_size 0
		.amdhsa_kernarg_size 152
		.amdhsa_user_sgpr_count 6
		.amdhsa_user_sgpr_private_segment_buffer 1
		.amdhsa_user_sgpr_dispatch_ptr 0
		.amdhsa_user_sgpr_queue_ptr 0
		.amdhsa_user_sgpr_kernarg_segment_ptr 1
		.amdhsa_user_sgpr_dispatch_id 0
		.amdhsa_user_sgpr_flat_scratch_init 0
		.amdhsa_user_sgpr_private_segment_size 0
		.amdhsa_uses_dynamic_stack 0
		.amdhsa_system_sgpr_private_segment_wavefront_offset 0
		.amdhsa_system_sgpr_workgroup_id_x 1
		.amdhsa_system_sgpr_workgroup_id_y 0
		.amdhsa_system_sgpr_workgroup_id_z 0
		.amdhsa_system_sgpr_workgroup_info 0
		.amdhsa_system_vgpr_workitem_id 0
		.amdhsa_next_free_vgpr 1
		.amdhsa_next_free_sgpr 0
		.amdhsa_reserve_vcc 0
		.amdhsa_reserve_flat_scratch 0
		.amdhsa_float_round_mode_32 0
		.amdhsa_float_round_mode_16_64 0
		.amdhsa_float_denorm_mode_32 3
		.amdhsa_float_denorm_mode_16_64 3
		.amdhsa_dx10_clamp 1
		.amdhsa_ieee_mode 1
		.amdhsa_fp16_overflow 0
		.amdhsa_exception_fp_ieee_invalid_op 0
		.amdhsa_exception_fp_denorm_src 0
		.amdhsa_exception_fp_ieee_div_zero 0
		.amdhsa_exception_fp_ieee_overflow 0
		.amdhsa_exception_fp_ieee_underflow 0
		.amdhsa_exception_fp_ieee_inexact 0
		.amdhsa_exception_int_div_zero 0
	.end_amdhsa_kernel
	.section	.text._ZN7rocprim17ROCPRIM_400000_NS6detail17trampoline_kernelINS0_13select_configILj256ELj13ELNS0_17block_load_methodE3ELS4_3ELS4_3ELNS0_20block_scan_algorithmE0ELj4294967295EEENS1_25partition_config_selectorILNS1_17partition_subalgoE3EjNS0_10empty_typeEbEEZZNS1_14partition_implILS8_3ELb0ES6_jNS0_17counting_iteratorIjlEEPS9_SE_NS0_5tupleIJPjSE_EEENSF_IJSE_SE_EEES9_SG_JZNS1_25segmented_radix_sort_implINS0_14default_configELb0EPKaPaPKlPlN2at6native12_GLOBAL__N_18offset_tEEE10hipError_tPvRmT1_PNSt15iterator_traitsISY_E10value_typeET2_T3_PNSZ_IS14_E10value_typeET4_jRbjT5_S1A_jjP12ihipStream_tbEUljE_EEESV_SW_SX_S14_S18_S1A_T6_T7_T9_mT8_S1C_bDpT10_ENKUlT_T0_E_clISt17integral_constantIbLb0EES1O_IbLb1EEEEDaS1K_S1L_EUlS1K_E_NS1_11comp_targetILNS1_3genE10ELNS1_11target_archE1200ELNS1_3gpuE4ELNS1_3repE0EEENS1_30default_config_static_selectorELNS0_4arch9wavefront6targetE1EEEvSY_,"axG",@progbits,_ZN7rocprim17ROCPRIM_400000_NS6detail17trampoline_kernelINS0_13select_configILj256ELj13ELNS0_17block_load_methodE3ELS4_3ELS4_3ELNS0_20block_scan_algorithmE0ELj4294967295EEENS1_25partition_config_selectorILNS1_17partition_subalgoE3EjNS0_10empty_typeEbEEZZNS1_14partition_implILS8_3ELb0ES6_jNS0_17counting_iteratorIjlEEPS9_SE_NS0_5tupleIJPjSE_EEENSF_IJSE_SE_EEES9_SG_JZNS1_25segmented_radix_sort_implINS0_14default_configELb0EPKaPaPKlPlN2at6native12_GLOBAL__N_18offset_tEEE10hipError_tPvRmT1_PNSt15iterator_traitsISY_E10value_typeET2_T3_PNSZ_IS14_E10value_typeET4_jRbjT5_S1A_jjP12ihipStream_tbEUljE_EEESV_SW_SX_S14_S18_S1A_T6_T7_T9_mT8_S1C_bDpT10_ENKUlT_T0_E_clISt17integral_constantIbLb0EES1O_IbLb1EEEEDaS1K_S1L_EUlS1K_E_NS1_11comp_targetILNS1_3genE10ELNS1_11target_archE1200ELNS1_3gpuE4ELNS1_3repE0EEENS1_30default_config_static_selectorELNS0_4arch9wavefront6targetE1EEEvSY_,comdat
.Lfunc_end390:
	.size	_ZN7rocprim17ROCPRIM_400000_NS6detail17trampoline_kernelINS0_13select_configILj256ELj13ELNS0_17block_load_methodE3ELS4_3ELS4_3ELNS0_20block_scan_algorithmE0ELj4294967295EEENS1_25partition_config_selectorILNS1_17partition_subalgoE3EjNS0_10empty_typeEbEEZZNS1_14partition_implILS8_3ELb0ES6_jNS0_17counting_iteratorIjlEEPS9_SE_NS0_5tupleIJPjSE_EEENSF_IJSE_SE_EEES9_SG_JZNS1_25segmented_radix_sort_implINS0_14default_configELb0EPKaPaPKlPlN2at6native12_GLOBAL__N_18offset_tEEE10hipError_tPvRmT1_PNSt15iterator_traitsISY_E10value_typeET2_T3_PNSZ_IS14_E10value_typeET4_jRbjT5_S1A_jjP12ihipStream_tbEUljE_EEESV_SW_SX_S14_S18_S1A_T6_T7_T9_mT8_S1C_bDpT10_ENKUlT_T0_E_clISt17integral_constantIbLb0EES1O_IbLb1EEEEDaS1K_S1L_EUlS1K_E_NS1_11comp_targetILNS1_3genE10ELNS1_11target_archE1200ELNS1_3gpuE4ELNS1_3repE0EEENS1_30default_config_static_selectorELNS0_4arch9wavefront6targetE1EEEvSY_, .Lfunc_end390-_ZN7rocprim17ROCPRIM_400000_NS6detail17trampoline_kernelINS0_13select_configILj256ELj13ELNS0_17block_load_methodE3ELS4_3ELS4_3ELNS0_20block_scan_algorithmE0ELj4294967295EEENS1_25partition_config_selectorILNS1_17partition_subalgoE3EjNS0_10empty_typeEbEEZZNS1_14partition_implILS8_3ELb0ES6_jNS0_17counting_iteratorIjlEEPS9_SE_NS0_5tupleIJPjSE_EEENSF_IJSE_SE_EEES9_SG_JZNS1_25segmented_radix_sort_implINS0_14default_configELb0EPKaPaPKlPlN2at6native12_GLOBAL__N_18offset_tEEE10hipError_tPvRmT1_PNSt15iterator_traitsISY_E10value_typeET2_T3_PNSZ_IS14_E10value_typeET4_jRbjT5_S1A_jjP12ihipStream_tbEUljE_EEESV_SW_SX_S14_S18_S1A_T6_T7_T9_mT8_S1C_bDpT10_ENKUlT_T0_E_clISt17integral_constantIbLb0EES1O_IbLb1EEEEDaS1K_S1L_EUlS1K_E_NS1_11comp_targetILNS1_3genE10ELNS1_11target_archE1200ELNS1_3gpuE4ELNS1_3repE0EEENS1_30default_config_static_selectorELNS0_4arch9wavefront6targetE1EEEvSY_
                                        ; -- End function
	.set _ZN7rocprim17ROCPRIM_400000_NS6detail17trampoline_kernelINS0_13select_configILj256ELj13ELNS0_17block_load_methodE3ELS4_3ELS4_3ELNS0_20block_scan_algorithmE0ELj4294967295EEENS1_25partition_config_selectorILNS1_17partition_subalgoE3EjNS0_10empty_typeEbEEZZNS1_14partition_implILS8_3ELb0ES6_jNS0_17counting_iteratorIjlEEPS9_SE_NS0_5tupleIJPjSE_EEENSF_IJSE_SE_EEES9_SG_JZNS1_25segmented_radix_sort_implINS0_14default_configELb0EPKaPaPKlPlN2at6native12_GLOBAL__N_18offset_tEEE10hipError_tPvRmT1_PNSt15iterator_traitsISY_E10value_typeET2_T3_PNSZ_IS14_E10value_typeET4_jRbjT5_S1A_jjP12ihipStream_tbEUljE_EEESV_SW_SX_S14_S18_S1A_T6_T7_T9_mT8_S1C_bDpT10_ENKUlT_T0_E_clISt17integral_constantIbLb0EES1O_IbLb1EEEEDaS1K_S1L_EUlS1K_E_NS1_11comp_targetILNS1_3genE10ELNS1_11target_archE1200ELNS1_3gpuE4ELNS1_3repE0EEENS1_30default_config_static_selectorELNS0_4arch9wavefront6targetE1EEEvSY_.num_vgpr, 0
	.set _ZN7rocprim17ROCPRIM_400000_NS6detail17trampoline_kernelINS0_13select_configILj256ELj13ELNS0_17block_load_methodE3ELS4_3ELS4_3ELNS0_20block_scan_algorithmE0ELj4294967295EEENS1_25partition_config_selectorILNS1_17partition_subalgoE3EjNS0_10empty_typeEbEEZZNS1_14partition_implILS8_3ELb0ES6_jNS0_17counting_iteratorIjlEEPS9_SE_NS0_5tupleIJPjSE_EEENSF_IJSE_SE_EEES9_SG_JZNS1_25segmented_radix_sort_implINS0_14default_configELb0EPKaPaPKlPlN2at6native12_GLOBAL__N_18offset_tEEE10hipError_tPvRmT1_PNSt15iterator_traitsISY_E10value_typeET2_T3_PNSZ_IS14_E10value_typeET4_jRbjT5_S1A_jjP12ihipStream_tbEUljE_EEESV_SW_SX_S14_S18_S1A_T6_T7_T9_mT8_S1C_bDpT10_ENKUlT_T0_E_clISt17integral_constantIbLb0EES1O_IbLb1EEEEDaS1K_S1L_EUlS1K_E_NS1_11comp_targetILNS1_3genE10ELNS1_11target_archE1200ELNS1_3gpuE4ELNS1_3repE0EEENS1_30default_config_static_selectorELNS0_4arch9wavefront6targetE1EEEvSY_.num_agpr, 0
	.set _ZN7rocprim17ROCPRIM_400000_NS6detail17trampoline_kernelINS0_13select_configILj256ELj13ELNS0_17block_load_methodE3ELS4_3ELS4_3ELNS0_20block_scan_algorithmE0ELj4294967295EEENS1_25partition_config_selectorILNS1_17partition_subalgoE3EjNS0_10empty_typeEbEEZZNS1_14partition_implILS8_3ELb0ES6_jNS0_17counting_iteratorIjlEEPS9_SE_NS0_5tupleIJPjSE_EEENSF_IJSE_SE_EEES9_SG_JZNS1_25segmented_radix_sort_implINS0_14default_configELb0EPKaPaPKlPlN2at6native12_GLOBAL__N_18offset_tEEE10hipError_tPvRmT1_PNSt15iterator_traitsISY_E10value_typeET2_T3_PNSZ_IS14_E10value_typeET4_jRbjT5_S1A_jjP12ihipStream_tbEUljE_EEESV_SW_SX_S14_S18_S1A_T6_T7_T9_mT8_S1C_bDpT10_ENKUlT_T0_E_clISt17integral_constantIbLb0EES1O_IbLb1EEEEDaS1K_S1L_EUlS1K_E_NS1_11comp_targetILNS1_3genE10ELNS1_11target_archE1200ELNS1_3gpuE4ELNS1_3repE0EEENS1_30default_config_static_selectorELNS0_4arch9wavefront6targetE1EEEvSY_.numbered_sgpr, 0
	.set _ZN7rocprim17ROCPRIM_400000_NS6detail17trampoline_kernelINS0_13select_configILj256ELj13ELNS0_17block_load_methodE3ELS4_3ELS4_3ELNS0_20block_scan_algorithmE0ELj4294967295EEENS1_25partition_config_selectorILNS1_17partition_subalgoE3EjNS0_10empty_typeEbEEZZNS1_14partition_implILS8_3ELb0ES6_jNS0_17counting_iteratorIjlEEPS9_SE_NS0_5tupleIJPjSE_EEENSF_IJSE_SE_EEES9_SG_JZNS1_25segmented_radix_sort_implINS0_14default_configELb0EPKaPaPKlPlN2at6native12_GLOBAL__N_18offset_tEEE10hipError_tPvRmT1_PNSt15iterator_traitsISY_E10value_typeET2_T3_PNSZ_IS14_E10value_typeET4_jRbjT5_S1A_jjP12ihipStream_tbEUljE_EEESV_SW_SX_S14_S18_S1A_T6_T7_T9_mT8_S1C_bDpT10_ENKUlT_T0_E_clISt17integral_constantIbLb0EES1O_IbLb1EEEEDaS1K_S1L_EUlS1K_E_NS1_11comp_targetILNS1_3genE10ELNS1_11target_archE1200ELNS1_3gpuE4ELNS1_3repE0EEENS1_30default_config_static_selectorELNS0_4arch9wavefront6targetE1EEEvSY_.num_named_barrier, 0
	.set _ZN7rocprim17ROCPRIM_400000_NS6detail17trampoline_kernelINS0_13select_configILj256ELj13ELNS0_17block_load_methodE3ELS4_3ELS4_3ELNS0_20block_scan_algorithmE0ELj4294967295EEENS1_25partition_config_selectorILNS1_17partition_subalgoE3EjNS0_10empty_typeEbEEZZNS1_14partition_implILS8_3ELb0ES6_jNS0_17counting_iteratorIjlEEPS9_SE_NS0_5tupleIJPjSE_EEENSF_IJSE_SE_EEES9_SG_JZNS1_25segmented_radix_sort_implINS0_14default_configELb0EPKaPaPKlPlN2at6native12_GLOBAL__N_18offset_tEEE10hipError_tPvRmT1_PNSt15iterator_traitsISY_E10value_typeET2_T3_PNSZ_IS14_E10value_typeET4_jRbjT5_S1A_jjP12ihipStream_tbEUljE_EEESV_SW_SX_S14_S18_S1A_T6_T7_T9_mT8_S1C_bDpT10_ENKUlT_T0_E_clISt17integral_constantIbLb0EES1O_IbLb1EEEEDaS1K_S1L_EUlS1K_E_NS1_11comp_targetILNS1_3genE10ELNS1_11target_archE1200ELNS1_3gpuE4ELNS1_3repE0EEENS1_30default_config_static_selectorELNS0_4arch9wavefront6targetE1EEEvSY_.private_seg_size, 0
	.set _ZN7rocprim17ROCPRIM_400000_NS6detail17trampoline_kernelINS0_13select_configILj256ELj13ELNS0_17block_load_methodE3ELS4_3ELS4_3ELNS0_20block_scan_algorithmE0ELj4294967295EEENS1_25partition_config_selectorILNS1_17partition_subalgoE3EjNS0_10empty_typeEbEEZZNS1_14partition_implILS8_3ELb0ES6_jNS0_17counting_iteratorIjlEEPS9_SE_NS0_5tupleIJPjSE_EEENSF_IJSE_SE_EEES9_SG_JZNS1_25segmented_radix_sort_implINS0_14default_configELb0EPKaPaPKlPlN2at6native12_GLOBAL__N_18offset_tEEE10hipError_tPvRmT1_PNSt15iterator_traitsISY_E10value_typeET2_T3_PNSZ_IS14_E10value_typeET4_jRbjT5_S1A_jjP12ihipStream_tbEUljE_EEESV_SW_SX_S14_S18_S1A_T6_T7_T9_mT8_S1C_bDpT10_ENKUlT_T0_E_clISt17integral_constantIbLb0EES1O_IbLb1EEEEDaS1K_S1L_EUlS1K_E_NS1_11comp_targetILNS1_3genE10ELNS1_11target_archE1200ELNS1_3gpuE4ELNS1_3repE0EEENS1_30default_config_static_selectorELNS0_4arch9wavefront6targetE1EEEvSY_.uses_vcc, 0
	.set _ZN7rocprim17ROCPRIM_400000_NS6detail17trampoline_kernelINS0_13select_configILj256ELj13ELNS0_17block_load_methodE3ELS4_3ELS4_3ELNS0_20block_scan_algorithmE0ELj4294967295EEENS1_25partition_config_selectorILNS1_17partition_subalgoE3EjNS0_10empty_typeEbEEZZNS1_14partition_implILS8_3ELb0ES6_jNS0_17counting_iteratorIjlEEPS9_SE_NS0_5tupleIJPjSE_EEENSF_IJSE_SE_EEES9_SG_JZNS1_25segmented_radix_sort_implINS0_14default_configELb0EPKaPaPKlPlN2at6native12_GLOBAL__N_18offset_tEEE10hipError_tPvRmT1_PNSt15iterator_traitsISY_E10value_typeET2_T3_PNSZ_IS14_E10value_typeET4_jRbjT5_S1A_jjP12ihipStream_tbEUljE_EEESV_SW_SX_S14_S18_S1A_T6_T7_T9_mT8_S1C_bDpT10_ENKUlT_T0_E_clISt17integral_constantIbLb0EES1O_IbLb1EEEEDaS1K_S1L_EUlS1K_E_NS1_11comp_targetILNS1_3genE10ELNS1_11target_archE1200ELNS1_3gpuE4ELNS1_3repE0EEENS1_30default_config_static_selectorELNS0_4arch9wavefront6targetE1EEEvSY_.uses_flat_scratch, 0
	.set _ZN7rocprim17ROCPRIM_400000_NS6detail17trampoline_kernelINS0_13select_configILj256ELj13ELNS0_17block_load_methodE3ELS4_3ELS4_3ELNS0_20block_scan_algorithmE0ELj4294967295EEENS1_25partition_config_selectorILNS1_17partition_subalgoE3EjNS0_10empty_typeEbEEZZNS1_14partition_implILS8_3ELb0ES6_jNS0_17counting_iteratorIjlEEPS9_SE_NS0_5tupleIJPjSE_EEENSF_IJSE_SE_EEES9_SG_JZNS1_25segmented_radix_sort_implINS0_14default_configELb0EPKaPaPKlPlN2at6native12_GLOBAL__N_18offset_tEEE10hipError_tPvRmT1_PNSt15iterator_traitsISY_E10value_typeET2_T3_PNSZ_IS14_E10value_typeET4_jRbjT5_S1A_jjP12ihipStream_tbEUljE_EEESV_SW_SX_S14_S18_S1A_T6_T7_T9_mT8_S1C_bDpT10_ENKUlT_T0_E_clISt17integral_constantIbLb0EES1O_IbLb1EEEEDaS1K_S1L_EUlS1K_E_NS1_11comp_targetILNS1_3genE10ELNS1_11target_archE1200ELNS1_3gpuE4ELNS1_3repE0EEENS1_30default_config_static_selectorELNS0_4arch9wavefront6targetE1EEEvSY_.has_dyn_sized_stack, 0
	.set _ZN7rocprim17ROCPRIM_400000_NS6detail17trampoline_kernelINS0_13select_configILj256ELj13ELNS0_17block_load_methodE3ELS4_3ELS4_3ELNS0_20block_scan_algorithmE0ELj4294967295EEENS1_25partition_config_selectorILNS1_17partition_subalgoE3EjNS0_10empty_typeEbEEZZNS1_14partition_implILS8_3ELb0ES6_jNS0_17counting_iteratorIjlEEPS9_SE_NS0_5tupleIJPjSE_EEENSF_IJSE_SE_EEES9_SG_JZNS1_25segmented_radix_sort_implINS0_14default_configELb0EPKaPaPKlPlN2at6native12_GLOBAL__N_18offset_tEEE10hipError_tPvRmT1_PNSt15iterator_traitsISY_E10value_typeET2_T3_PNSZ_IS14_E10value_typeET4_jRbjT5_S1A_jjP12ihipStream_tbEUljE_EEESV_SW_SX_S14_S18_S1A_T6_T7_T9_mT8_S1C_bDpT10_ENKUlT_T0_E_clISt17integral_constantIbLb0EES1O_IbLb1EEEEDaS1K_S1L_EUlS1K_E_NS1_11comp_targetILNS1_3genE10ELNS1_11target_archE1200ELNS1_3gpuE4ELNS1_3repE0EEENS1_30default_config_static_selectorELNS0_4arch9wavefront6targetE1EEEvSY_.has_recursion, 0
	.set _ZN7rocprim17ROCPRIM_400000_NS6detail17trampoline_kernelINS0_13select_configILj256ELj13ELNS0_17block_load_methodE3ELS4_3ELS4_3ELNS0_20block_scan_algorithmE0ELj4294967295EEENS1_25partition_config_selectorILNS1_17partition_subalgoE3EjNS0_10empty_typeEbEEZZNS1_14partition_implILS8_3ELb0ES6_jNS0_17counting_iteratorIjlEEPS9_SE_NS0_5tupleIJPjSE_EEENSF_IJSE_SE_EEES9_SG_JZNS1_25segmented_radix_sort_implINS0_14default_configELb0EPKaPaPKlPlN2at6native12_GLOBAL__N_18offset_tEEE10hipError_tPvRmT1_PNSt15iterator_traitsISY_E10value_typeET2_T3_PNSZ_IS14_E10value_typeET4_jRbjT5_S1A_jjP12ihipStream_tbEUljE_EEESV_SW_SX_S14_S18_S1A_T6_T7_T9_mT8_S1C_bDpT10_ENKUlT_T0_E_clISt17integral_constantIbLb0EES1O_IbLb1EEEEDaS1K_S1L_EUlS1K_E_NS1_11comp_targetILNS1_3genE10ELNS1_11target_archE1200ELNS1_3gpuE4ELNS1_3repE0EEENS1_30default_config_static_selectorELNS0_4arch9wavefront6targetE1EEEvSY_.has_indirect_call, 0
	.section	.AMDGPU.csdata,"",@progbits
; Kernel info:
; codeLenInByte = 0
; TotalNumSgprs: 4
; NumVgprs: 0
; ScratchSize: 0
; MemoryBound: 0
; FloatMode: 240
; IeeeMode: 1
; LDSByteSize: 0 bytes/workgroup (compile time only)
; SGPRBlocks: 0
; VGPRBlocks: 0
; NumSGPRsForWavesPerEU: 4
; NumVGPRsForWavesPerEU: 1
; Occupancy: 10
; WaveLimiterHint : 0
; COMPUTE_PGM_RSRC2:SCRATCH_EN: 0
; COMPUTE_PGM_RSRC2:USER_SGPR: 6
; COMPUTE_PGM_RSRC2:TRAP_HANDLER: 0
; COMPUTE_PGM_RSRC2:TGID_X_EN: 1
; COMPUTE_PGM_RSRC2:TGID_Y_EN: 0
; COMPUTE_PGM_RSRC2:TGID_Z_EN: 0
; COMPUTE_PGM_RSRC2:TIDIG_COMP_CNT: 0
	.section	.text._ZN7rocprim17ROCPRIM_400000_NS6detail17trampoline_kernelINS0_13select_configILj256ELj13ELNS0_17block_load_methodE3ELS4_3ELS4_3ELNS0_20block_scan_algorithmE0ELj4294967295EEENS1_25partition_config_selectorILNS1_17partition_subalgoE3EjNS0_10empty_typeEbEEZZNS1_14partition_implILS8_3ELb0ES6_jNS0_17counting_iteratorIjlEEPS9_SE_NS0_5tupleIJPjSE_EEENSF_IJSE_SE_EEES9_SG_JZNS1_25segmented_radix_sort_implINS0_14default_configELb0EPKaPaPKlPlN2at6native12_GLOBAL__N_18offset_tEEE10hipError_tPvRmT1_PNSt15iterator_traitsISY_E10value_typeET2_T3_PNSZ_IS14_E10value_typeET4_jRbjT5_S1A_jjP12ihipStream_tbEUljE_EEESV_SW_SX_S14_S18_S1A_T6_T7_T9_mT8_S1C_bDpT10_ENKUlT_T0_E_clISt17integral_constantIbLb0EES1O_IbLb1EEEEDaS1K_S1L_EUlS1K_E_NS1_11comp_targetILNS1_3genE9ELNS1_11target_archE1100ELNS1_3gpuE3ELNS1_3repE0EEENS1_30default_config_static_selectorELNS0_4arch9wavefront6targetE1EEEvSY_,"axG",@progbits,_ZN7rocprim17ROCPRIM_400000_NS6detail17trampoline_kernelINS0_13select_configILj256ELj13ELNS0_17block_load_methodE3ELS4_3ELS4_3ELNS0_20block_scan_algorithmE0ELj4294967295EEENS1_25partition_config_selectorILNS1_17partition_subalgoE3EjNS0_10empty_typeEbEEZZNS1_14partition_implILS8_3ELb0ES6_jNS0_17counting_iteratorIjlEEPS9_SE_NS0_5tupleIJPjSE_EEENSF_IJSE_SE_EEES9_SG_JZNS1_25segmented_radix_sort_implINS0_14default_configELb0EPKaPaPKlPlN2at6native12_GLOBAL__N_18offset_tEEE10hipError_tPvRmT1_PNSt15iterator_traitsISY_E10value_typeET2_T3_PNSZ_IS14_E10value_typeET4_jRbjT5_S1A_jjP12ihipStream_tbEUljE_EEESV_SW_SX_S14_S18_S1A_T6_T7_T9_mT8_S1C_bDpT10_ENKUlT_T0_E_clISt17integral_constantIbLb0EES1O_IbLb1EEEEDaS1K_S1L_EUlS1K_E_NS1_11comp_targetILNS1_3genE9ELNS1_11target_archE1100ELNS1_3gpuE3ELNS1_3repE0EEENS1_30default_config_static_selectorELNS0_4arch9wavefront6targetE1EEEvSY_,comdat
	.globl	_ZN7rocprim17ROCPRIM_400000_NS6detail17trampoline_kernelINS0_13select_configILj256ELj13ELNS0_17block_load_methodE3ELS4_3ELS4_3ELNS0_20block_scan_algorithmE0ELj4294967295EEENS1_25partition_config_selectorILNS1_17partition_subalgoE3EjNS0_10empty_typeEbEEZZNS1_14partition_implILS8_3ELb0ES6_jNS0_17counting_iteratorIjlEEPS9_SE_NS0_5tupleIJPjSE_EEENSF_IJSE_SE_EEES9_SG_JZNS1_25segmented_radix_sort_implINS0_14default_configELb0EPKaPaPKlPlN2at6native12_GLOBAL__N_18offset_tEEE10hipError_tPvRmT1_PNSt15iterator_traitsISY_E10value_typeET2_T3_PNSZ_IS14_E10value_typeET4_jRbjT5_S1A_jjP12ihipStream_tbEUljE_EEESV_SW_SX_S14_S18_S1A_T6_T7_T9_mT8_S1C_bDpT10_ENKUlT_T0_E_clISt17integral_constantIbLb0EES1O_IbLb1EEEEDaS1K_S1L_EUlS1K_E_NS1_11comp_targetILNS1_3genE9ELNS1_11target_archE1100ELNS1_3gpuE3ELNS1_3repE0EEENS1_30default_config_static_selectorELNS0_4arch9wavefront6targetE1EEEvSY_ ; -- Begin function _ZN7rocprim17ROCPRIM_400000_NS6detail17trampoline_kernelINS0_13select_configILj256ELj13ELNS0_17block_load_methodE3ELS4_3ELS4_3ELNS0_20block_scan_algorithmE0ELj4294967295EEENS1_25partition_config_selectorILNS1_17partition_subalgoE3EjNS0_10empty_typeEbEEZZNS1_14partition_implILS8_3ELb0ES6_jNS0_17counting_iteratorIjlEEPS9_SE_NS0_5tupleIJPjSE_EEENSF_IJSE_SE_EEES9_SG_JZNS1_25segmented_radix_sort_implINS0_14default_configELb0EPKaPaPKlPlN2at6native12_GLOBAL__N_18offset_tEEE10hipError_tPvRmT1_PNSt15iterator_traitsISY_E10value_typeET2_T3_PNSZ_IS14_E10value_typeET4_jRbjT5_S1A_jjP12ihipStream_tbEUljE_EEESV_SW_SX_S14_S18_S1A_T6_T7_T9_mT8_S1C_bDpT10_ENKUlT_T0_E_clISt17integral_constantIbLb0EES1O_IbLb1EEEEDaS1K_S1L_EUlS1K_E_NS1_11comp_targetILNS1_3genE9ELNS1_11target_archE1100ELNS1_3gpuE3ELNS1_3repE0EEENS1_30default_config_static_selectorELNS0_4arch9wavefront6targetE1EEEvSY_
	.p2align	8
	.type	_ZN7rocprim17ROCPRIM_400000_NS6detail17trampoline_kernelINS0_13select_configILj256ELj13ELNS0_17block_load_methodE3ELS4_3ELS4_3ELNS0_20block_scan_algorithmE0ELj4294967295EEENS1_25partition_config_selectorILNS1_17partition_subalgoE3EjNS0_10empty_typeEbEEZZNS1_14partition_implILS8_3ELb0ES6_jNS0_17counting_iteratorIjlEEPS9_SE_NS0_5tupleIJPjSE_EEENSF_IJSE_SE_EEES9_SG_JZNS1_25segmented_radix_sort_implINS0_14default_configELb0EPKaPaPKlPlN2at6native12_GLOBAL__N_18offset_tEEE10hipError_tPvRmT1_PNSt15iterator_traitsISY_E10value_typeET2_T3_PNSZ_IS14_E10value_typeET4_jRbjT5_S1A_jjP12ihipStream_tbEUljE_EEESV_SW_SX_S14_S18_S1A_T6_T7_T9_mT8_S1C_bDpT10_ENKUlT_T0_E_clISt17integral_constantIbLb0EES1O_IbLb1EEEEDaS1K_S1L_EUlS1K_E_NS1_11comp_targetILNS1_3genE9ELNS1_11target_archE1100ELNS1_3gpuE3ELNS1_3repE0EEENS1_30default_config_static_selectorELNS0_4arch9wavefront6targetE1EEEvSY_,@function
_ZN7rocprim17ROCPRIM_400000_NS6detail17trampoline_kernelINS0_13select_configILj256ELj13ELNS0_17block_load_methodE3ELS4_3ELS4_3ELNS0_20block_scan_algorithmE0ELj4294967295EEENS1_25partition_config_selectorILNS1_17partition_subalgoE3EjNS0_10empty_typeEbEEZZNS1_14partition_implILS8_3ELb0ES6_jNS0_17counting_iteratorIjlEEPS9_SE_NS0_5tupleIJPjSE_EEENSF_IJSE_SE_EEES9_SG_JZNS1_25segmented_radix_sort_implINS0_14default_configELb0EPKaPaPKlPlN2at6native12_GLOBAL__N_18offset_tEEE10hipError_tPvRmT1_PNSt15iterator_traitsISY_E10value_typeET2_T3_PNSZ_IS14_E10value_typeET4_jRbjT5_S1A_jjP12ihipStream_tbEUljE_EEESV_SW_SX_S14_S18_S1A_T6_T7_T9_mT8_S1C_bDpT10_ENKUlT_T0_E_clISt17integral_constantIbLb0EES1O_IbLb1EEEEDaS1K_S1L_EUlS1K_E_NS1_11comp_targetILNS1_3genE9ELNS1_11target_archE1100ELNS1_3gpuE3ELNS1_3repE0EEENS1_30default_config_static_selectorELNS0_4arch9wavefront6targetE1EEEvSY_: ; @_ZN7rocprim17ROCPRIM_400000_NS6detail17trampoline_kernelINS0_13select_configILj256ELj13ELNS0_17block_load_methodE3ELS4_3ELS4_3ELNS0_20block_scan_algorithmE0ELj4294967295EEENS1_25partition_config_selectorILNS1_17partition_subalgoE3EjNS0_10empty_typeEbEEZZNS1_14partition_implILS8_3ELb0ES6_jNS0_17counting_iteratorIjlEEPS9_SE_NS0_5tupleIJPjSE_EEENSF_IJSE_SE_EEES9_SG_JZNS1_25segmented_radix_sort_implINS0_14default_configELb0EPKaPaPKlPlN2at6native12_GLOBAL__N_18offset_tEEE10hipError_tPvRmT1_PNSt15iterator_traitsISY_E10value_typeET2_T3_PNSZ_IS14_E10value_typeET4_jRbjT5_S1A_jjP12ihipStream_tbEUljE_EEESV_SW_SX_S14_S18_S1A_T6_T7_T9_mT8_S1C_bDpT10_ENKUlT_T0_E_clISt17integral_constantIbLb0EES1O_IbLb1EEEEDaS1K_S1L_EUlS1K_E_NS1_11comp_targetILNS1_3genE9ELNS1_11target_archE1100ELNS1_3gpuE3ELNS1_3repE0EEENS1_30default_config_static_selectorELNS0_4arch9wavefront6targetE1EEEvSY_
; %bb.0:
	.section	.rodata,"a",@progbits
	.p2align	6, 0x0
	.amdhsa_kernel _ZN7rocprim17ROCPRIM_400000_NS6detail17trampoline_kernelINS0_13select_configILj256ELj13ELNS0_17block_load_methodE3ELS4_3ELS4_3ELNS0_20block_scan_algorithmE0ELj4294967295EEENS1_25partition_config_selectorILNS1_17partition_subalgoE3EjNS0_10empty_typeEbEEZZNS1_14partition_implILS8_3ELb0ES6_jNS0_17counting_iteratorIjlEEPS9_SE_NS0_5tupleIJPjSE_EEENSF_IJSE_SE_EEES9_SG_JZNS1_25segmented_radix_sort_implINS0_14default_configELb0EPKaPaPKlPlN2at6native12_GLOBAL__N_18offset_tEEE10hipError_tPvRmT1_PNSt15iterator_traitsISY_E10value_typeET2_T3_PNSZ_IS14_E10value_typeET4_jRbjT5_S1A_jjP12ihipStream_tbEUljE_EEESV_SW_SX_S14_S18_S1A_T6_T7_T9_mT8_S1C_bDpT10_ENKUlT_T0_E_clISt17integral_constantIbLb0EES1O_IbLb1EEEEDaS1K_S1L_EUlS1K_E_NS1_11comp_targetILNS1_3genE9ELNS1_11target_archE1100ELNS1_3gpuE3ELNS1_3repE0EEENS1_30default_config_static_selectorELNS0_4arch9wavefront6targetE1EEEvSY_
		.amdhsa_group_segment_fixed_size 0
		.amdhsa_private_segment_fixed_size 0
		.amdhsa_kernarg_size 152
		.amdhsa_user_sgpr_count 6
		.amdhsa_user_sgpr_private_segment_buffer 1
		.amdhsa_user_sgpr_dispatch_ptr 0
		.amdhsa_user_sgpr_queue_ptr 0
		.amdhsa_user_sgpr_kernarg_segment_ptr 1
		.amdhsa_user_sgpr_dispatch_id 0
		.amdhsa_user_sgpr_flat_scratch_init 0
		.amdhsa_user_sgpr_private_segment_size 0
		.amdhsa_uses_dynamic_stack 0
		.amdhsa_system_sgpr_private_segment_wavefront_offset 0
		.amdhsa_system_sgpr_workgroup_id_x 1
		.amdhsa_system_sgpr_workgroup_id_y 0
		.amdhsa_system_sgpr_workgroup_id_z 0
		.amdhsa_system_sgpr_workgroup_info 0
		.amdhsa_system_vgpr_workitem_id 0
		.amdhsa_next_free_vgpr 1
		.amdhsa_next_free_sgpr 0
		.amdhsa_reserve_vcc 0
		.amdhsa_reserve_flat_scratch 0
		.amdhsa_float_round_mode_32 0
		.amdhsa_float_round_mode_16_64 0
		.amdhsa_float_denorm_mode_32 3
		.amdhsa_float_denorm_mode_16_64 3
		.amdhsa_dx10_clamp 1
		.amdhsa_ieee_mode 1
		.amdhsa_fp16_overflow 0
		.amdhsa_exception_fp_ieee_invalid_op 0
		.amdhsa_exception_fp_denorm_src 0
		.amdhsa_exception_fp_ieee_div_zero 0
		.amdhsa_exception_fp_ieee_overflow 0
		.amdhsa_exception_fp_ieee_underflow 0
		.amdhsa_exception_fp_ieee_inexact 0
		.amdhsa_exception_int_div_zero 0
	.end_amdhsa_kernel
	.section	.text._ZN7rocprim17ROCPRIM_400000_NS6detail17trampoline_kernelINS0_13select_configILj256ELj13ELNS0_17block_load_methodE3ELS4_3ELS4_3ELNS0_20block_scan_algorithmE0ELj4294967295EEENS1_25partition_config_selectorILNS1_17partition_subalgoE3EjNS0_10empty_typeEbEEZZNS1_14partition_implILS8_3ELb0ES6_jNS0_17counting_iteratorIjlEEPS9_SE_NS0_5tupleIJPjSE_EEENSF_IJSE_SE_EEES9_SG_JZNS1_25segmented_radix_sort_implINS0_14default_configELb0EPKaPaPKlPlN2at6native12_GLOBAL__N_18offset_tEEE10hipError_tPvRmT1_PNSt15iterator_traitsISY_E10value_typeET2_T3_PNSZ_IS14_E10value_typeET4_jRbjT5_S1A_jjP12ihipStream_tbEUljE_EEESV_SW_SX_S14_S18_S1A_T6_T7_T9_mT8_S1C_bDpT10_ENKUlT_T0_E_clISt17integral_constantIbLb0EES1O_IbLb1EEEEDaS1K_S1L_EUlS1K_E_NS1_11comp_targetILNS1_3genE9ELNS1_11target_archE1100ELNS1_3gpuE3ELNS1_3repE0EEENS1_30default_config_static_selectorELNS0_4arch9wavefront6targetE1EEEvSY_,"axG",@progbits,_ZN7rocprim17ROCPRIM_400000_NS6detail17trampoline_kernelINS0_13select_configILj256ELj13ELNS0_17block_load_methodE3ELS4_3ELS4_3ELNS0_20block_scan_algorithmE0ELj4294967295EEENS1_25partition_config_selectorILNS1_17partition_subalgoE3EjNS0_10empty_typeEbEEZZNS1_14partition_implILS8_3ELb0ES6_jNS0_17counting_iteratorIjlEEPS9_SE_NS0_5tupleIJPjSE_EEENSF_IJSE_SE_EEES9_SG_JZNS1_25segmented_radix_sort_implINS0_14default_configELb0EPKaPaPKlPlN2at6native12_GLOBAL__N_18offset_tEEE10hipError_tPvRmT1_PNSt15iterator_traitsISY_E10value_typeET2_T3_PNSZ_IS14_E10value_typeET4_jRbjT5_S1A_jjP12ihipStream_tbEUljE_EEESV_SW_SX_S14_S18_S1A_T6_T7_T9_mT8_S1C_bDpT10_ENKUlT_T0_E_clISt17integral_constantIbLb0EES1O_IbLb1EEEEDaS1K_S1L_EUlS1K_E_NS1_11comp_targetILNS1_3genE9ELNS1_11target_archE1100ELNS1_3gpuE3ELNS1_3repE0EEENS1_30default_config_static_selectorELNS0_4arch9wavefront6targetE1EEEvSY_,comdat
.Lfunc_end391:
	.size	_ZN7rocprim17ROCPRIM_400000_NS6detail17trampoline_kernelINS0_13select_configILj256ELj13ELNS0_17block_load_methodE3ELS4_3ELS4_3ELNS0_20block_scan_algorithmE0ELj4294967295EEENS1_25partition_config_selectorILNS1_17partition_subalgoE3EjNS0_10empty_typeEbEEZZNS1_14partition_implILS8_3ELb0ES6_jNS0_17counting_iteratorIjlEEPS9_SE_NS0_5tupleIJPjSE_EEENSF_IJSE_SE_EEES9_SG_JZNS1_25segmented_radix_sort_implINS0_14default_configELb0EPKaPaPKlPlN2at6native12_GLOBAL__N_18offset_tEEE10hipError_tPvRmT1_PNSt15iterator_traitsISY_E10value_typeET2_T3_PNSZ_IS14_E10value_typeET4_jRbjT5_S1A_jjP12ihipStream_tbEUljE_EEESV_SW_SX_S14_S18_S1A_T6_T7_T9_mT8_S1C_bDpT10_ENKUlT_T0_E_clISt17integral_constantIbLb0EES1O_IbLb1EEEEDaS1K_S1L_EUlS1K_E_NS1_11comp_targetILNS1_3genE9ELNS1_11target_archE1100ELNS1_3gpuE3ELNS1_3repE0EEENS1_30default_config_static_selectorELNS0_4arch9wavefront6targetE1EEEvSY_, .Lfunc_end391-_ZN7rocprim17ROCPRIM_400000_NS6detail17trampoline_kernelINS0_13select_configILj256ELj13ELNS0_17block_load_methodE3ELS4_3ELS4_3ELNS0_20block_scan_algorithmE0ELj4294967295EEENS1_25partition_config_selectorILNS1_17partition_subalgoE3EjNS0_10empty_typeEbEEZZNS1_14partition_implILS8_3ELb0ES6_jNS0_17counting_iteratorIjlEEPS9_SE_NS0_5tupleIJPjSE_EEENSF_IJSE_SE_EEES9_SG_JZNS1_25segmented_radix_sort_implINS0_14default_configELb0EPKaPaPKlPlN2at6native12_GLOBAL__N_18offset_tEEE10hipError_tPvRmT1_PNSt15iterator_traitsISY_E10value_typeET2_T3_PNSZ_IS14_E10value_typeET4_jRbjT5_S1A_jjP12ihipStream_tbEUljE_EEESV_SW_SX_S14_S18_S1A_T6_T7_T9_mT8_S1C_bDpT10_ENKUlT_T0_E_clISt17integral_constantIbLb0EES1O_IbLb1EEEEDaS1K_S1L_EUlS1K_E_NS1_11comp_targetILNS1_3genE9ELNS1_11target_archE1100ELNS1_3gpuE3ELNS1_3repE0EEENS1_30default_config_static_selectorELNS0_4arch9wavefront6targetE1EEEvSY_
                                        ; -- End function
	.set _ZN7rocprim17ROCPRIM_400000_NS6detail17trampoline_kernelINS0_13select_configILj256ELj13ELNS0_17block_load_methodE3ELS4_3ELS4_3ELNS0_20block_scan_algorithmE0ELj4294967295EEENS1_25partition_config_selectorILNS1_17partition_subalgoE3EjNS0_10empty_typeEbEEZZNS1_14partition_implILS8_3ELb0ES6_jNS0_17counting_iteratorIjlEEPS9_SE_NS0_5tupleIJPjSE_EEENSF_IJSE_SE_EEES9_SG_JZNS1_25segmented_radix_sort_implINS0_14default_configELb0EPKaPaPKlPlN2at6native12_GLOBAL__N_18offset_tEEE10hipError_tPvRmT1_PNSt15iterator_traitsISY_E10value_typeET2_T3_PNSZ_IS14_E10value_typeET4_jRbjT5_S1A_jjP12ihipStream_tbEUljE_EEESV_SW_SX_S14_S18_S1A_T6_T7_T9_mT8_S1C_bDpT10_ENKUlT_T0_E_clISt17integral_constantIbLb0EES1O_IbLb1EEEEDaS1K_S1L_EUlS1K_E_NS1_11comp_targetILNS1_3genE9ELNS1_11target_archE1100ELNS1_3gpuE3ELNS1_3repE0EEENS1_30default_config_static_selectorELNS0_4arch9wavefront6targetE1EEEvSY_.num_vgpr, 0
	.set _ZN7rocprim17ROCPRIM_400000_NS6detail17trampoline_kernelINS0_13select_configILj256ELj13ELNS0_17block_load_methodE3ELS4_3ELS4_3ELNS0_20block_scan_algorithmE0ELj4294967295EEENS1_25partition_config_selectorILNS1_17partition_subalgoE3EjNS0_10empty_typeEbEEZZNS1_14partition_implILS8_3ELb0ES6_jNS0_17counting_iteratorIjlEEPS9_SE_NS0_5tupleIJPjSE_EEENSF_IJSE_SE_EEES9_SG_JZNS1_25segmented_radix_sort_implINS0_14default_configELb0EPKaPaPKlPlN2at6native12_GLOBAL__N_18offset_tEEE10hipError_tPvRmT1_PNSt15iterator_traitsISY_E10value_typeET2_T3_PNSZ_IS14_E10value_typeET4_jRbjT5_S1A_jjP12ihipStream_tbEUljE_EEESV_SW_SX_S14_S18_S1A_T6_T7_T9_mT8_S1C_bDpT10_ENKUlT_T0_E_clISt17integral_constantIbLb0EES1O_IbLb1EEEEDaS1K_S1L_EUlS1K_E_NS1_11comp_targetILNS1_3genE9ELNS1_11target_archE1100ELNS1_3gpuE3ELNS1_3repE0EEENS1_30default_config_static_selectorELNS0_4arch9wavefront6targetE1EEEvSY_.num_agpr, 0
	.set _ZN7rocprim17ROCPRIM_400000_NS6detail17trampoline_kernelINS0_13select_configILj256ELj13ELNS0_17block_load_methodE3ELS4_3ELS4_3ELNS0_20block_scan_algorithmE0ELj4294967295EEENS1_25partition_config_selectorILNS1_17partition_subalgoE3EjNS0_10empty_typeEbEEZZNS1_14partition_implILS8_3ELb0ES6_jNS0_17counting_iteratorIjlEEPS9_SE_NS0_5tupleIJPjSE_EEENSF_IJSE_SE_EEES9_SG_JZNS1_25segmented_radix_sort_implINS0_14default_configELb0EPKaPaPKlPlN2at6native12_GLOBAL__N_18offset_tEEE10hipError_tPvRmT1_PNSt15iterator_traitsISY_E10value_typeET2_T3_PNSZ_IS14_E10value_typeET4_jRbjT5_S1A_jjP12ihipStream_tbEUljE_EEESV_SW_SX_S14_S18_S1A_T6_T7_T9_mT8_S1C_bDpT10_ENKUlT_T0_E_clISt17integral_constantIbLb0EES1O_IbLb1EEEEDaS1K_S1L_EUlS1K_E_NS1_11comp_targetILNS1_3genE9ELNS1_11target_archE1100ELNS1_3gpuE3ELNS1_3repE0EEENS1_30default_config_static_selectorELNS0_4arch9wavefront6targetE1EEEvSY_.numbered_sgpr, 0
	.set _ZN7rocprim17ROCPRIM_400000_NS6detail17trampoline_kernelINS0_13select_configILj256ELj13ELNS0_17block_load_methodE3ELS4_3ELS4_3ELNS0_20block_scan_algorithmE0ELj4294967295EEENS1_25partition_config_selectorILNS1_17partition_subalgoE3EjNS0_10empty_typeEbEEZZNS1_14partition_implILS8_3ELb0ES6_jNS0_17counting_iteratorIjlEEPS9_SE_NS0_5tupleIJPjSE_EEENSF_IJSE_SE_EEES9_SG_JZNS1_25segmented_radix_sort_implINS0_14default_configELb0EPKaPaPKlPlN2at6native12_GLOBAL__N_18offset_tEEE10hipError_tPvRmT1_PNSt15iterator_traitsISY_E10value_typeET2_T3_PNSZ_IS14_E10value_typeET4_jRbjT5_S1A_jjP12ihipStream_tbEUljE_EEESV_SW_SX_S14_S18_S1A_T6_T7_T9_mT8_S1C_bDpT10_ENKUlT_T0_E_clISt17integral_constantIbLb0EES1O_IbLb1EEEEDaS1K_S1L_EUlS1K_E_NS1_11comp_targetILNS1_3genE9ELNS1_11target_archE1100ELNS1_3gpuE3ELNS1_3repE0EEENS1_30default_config_static_selectorELNS0_4arch9wavefront6targetE1EEEvSY_.num_named_barrier, 0
	.set _ZN7rocprim17ROCPRIM_400000_NS6detail17trampoline_kernelINS0_13select_configILj256ELj13ELNS0_17block_load_methodE3ELS4_3ELS4_3ELNS0_20block_scan_algorithmE0ELj4294967295EEENS1_25partition_config_selectorILNS1_17partition_subalgoE3EjNS0_10empty_typeEbEEZZNS1_14partition_implILS8_3ELb0ES6_jNS0_17counting_iteratorIjlEEPS9_SE_NS0_5tupleIJPjSE_EEENSF_IJSE_SE_EEES9_SG_JZNS1_25segmented_radix_sort_implINS0_14default_configELb0EPKaPaPKlPlN2at6native12_GLOBAL__N_18offset_tEEE10hipError_tPvRmT1_PNSt15iterator_traitsISY_E10value_typeET2_T3_PNSZ_IS14_E10value_typeET4_jRbjT5_S1A_jjP12ihipStream_tbEUljE_EEESV_SW_SX_S14_S18_S1A_T6_T7_T9_mT8_S1C_bDpT10_ENKUlT_T0_E_clISt17integral_constantIbLb0EES1O_IbLb1EEEEDaS1K_S1L_EUlS1K_E_NS1_11comp_targetILNS1_3genE9ELNS1_11target_archE1100ELNS1_3gpuE3ELNS1_3repE0EEENS1_30default_config_static_selectorELNS0_4arch9wavefront6targetE1EEEvSY_.private_seg_size, 0
	.set _ZN7rocprim17ROCPRIM_400000_NS6detail17trampoline_kernelINS0_13select_configILj256ELj13ELNS0_17block_load_methodE3ELS4_3ELS4_3ELNS0_20block_scan_algorithmE0ELj4294967295EEENS1_25partition_config_selectorILNS1_17partition_subalgoE3EjNS0_10empty_typeEbEEZZNS1_14partition_implILS8_3ELb0ES6_jNS0_17counting_iteratorIjlEEPS9_SE_NS0_5tupleIJPjSE_EEENSF_IJSE_SE_EEES9_SG_JZNS1_25segmented_radix_sort_implINS0_14default_configELb0EPKaPaPKlPlN2at6native12_GLOBAL__N_18offset_tEEE10hipError_tPvRmT1_PNSt15iterator_traitsISY_E10value_typeET2_T3_PNSZ_IS14_E10value_typeET4_jRbjT5_S1A_jjP12ihipStream_tbEUljE_EEESV_SW_SX_S14_S18_S1A_T6_T7_T9_mT8_S1C_bDpT10_ENKUlT_T0_E_clISt17integral_constantIbLb0EES1O_IbLb1EEEEDaS1K_S1L_EUlS1K_E_NS1_11comp_targetILNS1_3genE9ELNS1_11target_archE1100ELNS1_3gpuE3ELNS1_3repE0EEENS1_30default_config_static_selectorELNS0_4arch9wavefront6targetE1EEEvSY_.uses_vcc, 0
	.set _ZN7rocprim17ROCPRIM_400000_NS6detail17trampoline_kernelINS0_13select_configILj256ELj13ELNS0_17block_load_methodE3ELS4_3ELS4_3ELNS0_20block_scan_algorithmE0ELj4294967295EEENS1_25partition_config_selectorILNS1_17partition_subalgoE3EjNS0_10empty_typeEbEEZZNS1_14partition_implILS8_3ELb0ES6_jNS0_17counting_iteratorIjlEEPS9_SE_NS0_5tupleIJPjSE_EEENSF_IJSE_SE_EEES9_SG_JZNS1_25segmented_radix_sort_implINS0_14default_configELb0EPKaPaPKlPlN2at6native12_GLOBAL__N_18offset_tEEE10hipError_tPvRmT1_PNSt15iterator_traitsISY_E10value_typeET2_T3_PNSZ_IS14_E10value_typeET4_jRbjT5_S1A_jjP12ihipStream_tbEUljE_EEESV_SW_SX_S14_S18_S1A_T6_T7_T9_mT8_S1C_bDpT10_ENKUlT_T0_E_clISt17integral_constantIbLb0EES1O_IbLb1EEEEDaS1K_S1L_EUlS1K_E_NS1_11comp_targetILNS1_3genE9ELNS1_11target_archE1100ELNS1_3gpuE3ELNS1_3repE0EEENS1_30default_config_static_selectorELNS0_4arch9wavefront6targetE1EEEvSY_.uses_flat_scratch, 0
	.set _ZN7rocprim17ROCPRIM_400000_NS6detail17trampoline_kernelINS0_13select_configILj256ELj13ELNS0_17block_load_methodE3ELS4_3ELS4_3ELNS0_20block_scan_algorithmE0ELj4294967295EEENS1_25partition_config_selectorILNS1_17partition_subalgoE3EjNS0_10empty_typeEbEEZZNS1_14partition_implILS8_3ELb0ES6_jNS0_17counting_iteratorIjlEEPS9_SE_NS0_5tupleIJPjSE_EEENSF_IJSE_SE_EEES9_SG_JZNS1_25segmented_radix_sort_implINS0_14default_configELb0EPKaPaPKlPlN2at6native12_GLOBAL__N_18offset_tEEE10hipError_tPvRmT1_PNSt15iterator_traitsISY_E10value_typeET2_T3_PNSZ_IS14_E10value_typeET4_jRbjT5_S1A_jjP12ihipStream_tbEUljE_EEESV_SW_SX_S14_S18_S1A_T6_T7_T9_mT8_S1C_bDpT10_ENKUlT_T0_E_clISt17integral_constantIbLb0EES1O_IbLb1EEEEDaS1K_S1L_EUlS1K_E_NS1_11comp_targetILNS1_3genE9ELNS1_11target_archE1100ELNS1_3gpuE3ELNS1_3repE0EEENS1_30default_config_static_selectorELNS0_4arch9wavefront6targetE1EEEvSY_.has_dyn_sized_stack, 0
	.set _ZN7rocprim17ROCPRIM_400000_NS6detail17trampoline_kernelINS0_13select_configILj256ELj13ELNS0_17block_load_methodE3ELS4_3ELS4_3ELNS0_20block_scan_algorithmE0ELj4294967295EEENS1_25partition_config_selectorILNS1_17partition_subalgoE3EjNS0_10empty_typeEbEEZZNS1_14partition_implILS8_3ELb0ES6_jNS0_17counting_iteratorIjlEEPS9_SE_NS0_5tupleIJPjSE_EEENSF_IJSE_SE_EEES9_SG_JZNS1_25segmented_radix_sort_implINS0_14default_configELb0EPKaPaPKlPlN2at6native12_GLOBAL__N_18offset_tEEE10hipError_tPvRmT1_PNSt15iterator_traitsISY_E10value_typeET2_T3_PNSZ_IS14_E10value_typeET4_jRbjT5_S1A_jjP12ihipStream_tbEUljE_EEESV_SW_SX_S14_S18_S1A_T6_T7_T9_mT8_S1C_bDpT10_ENKUlT_T0_E_clISt17integral_constantIbLb0EES1O_IbLb1EEEEDaS1K_S1L_EUlS1K_E_NS1_11comp_targetILNS1_3genE9ELNS1_11target_archE1100ELNS1_3gpuE3ELNS1_3repE0EEENS1_30default_config_static_selectorELNS0_4arch9wavefront6targetE1EEEvSY_.has_recursion, 0
	.set _ZN7rocprim17ROCPRIM_400000_NS6detail17trampoline_kernelINS0_13select_configILj256ELj13ELNS0_17block_load_methodE3ELS4_3ELS4_3ELNS0_20block_scan_algorithmE0ELj4294967295EEENS1_25partition_config_selectorILNS1_17partition_subalgoE3EjNS0_10empty_typeEbEEZZNS1_14partition_implILS8_3ELb0ES6_jNS0_17counting_iteratorIjlEEPS9_SE_NS0_5tupleIJPjSE_EEENSF_IJSE_SE_EEES9_SG_JZNS1_25segmented_radix_sort_implINS0_14default_configELb0EPKaPaPKlPlN2at6native12_GLOBAL__N_18offset_tEEE10hipError_tPvRmT1_PNSt15iterator_traitsISY_E10value_typeET2_T3_PNSZ_IS14_E10value_typeET4_jRbjT5_S1A_jjP12ihipStream_tbEUljE_EEESV_SW_SX_S14_S18_S1A_T6_T7_T9_mT8_S1C_bDpT10_ENKUlT_T0_E_clISt17integral_constantIbLb0EES1O_IbLb1EEEEDaS1K_S1L_EUlS1K_E_NS1_11comp_targetILNS1_3genE9ELNS1_11target_archE1100ELNS1_3gpuE3ELNS1_3repE0EEENS1_30default_config_static_selectorELNS0_4arch9wavefront6targetE1EEEvSY_.has_indirect_call, 0
	.section	.AMDGPU.csdata,"",@progbits
; Kernel info:
; codeLenInByte = 0
; TotalNumSgprs: 4
; NumVgprs: 0
; ScratchSize: 0
; MemoryBound: 0
; FloatMode: 240
; IeeeMode: 1
; LDSByteSize: 0 bytes/workgroup (compile time only)
; SGPRBlocks: 0
; VGPRBlocks: 0
; NumSGPRsForWavesPerEU: 4
; NumVGPRsForWavesPerEU: 1
; Occupancy: 10
; WaveLimiterHint : 0
; COMPUTE_PGM_RSRC2:SCRATCH_EN: 0
; COMPUTE_PGM_RSRC2:USER_SGPR: 6
; COMPUTE_PGM_RSRC2:TRAP_HANDLER: 0
; COMPUTE_PGM_RSRC2:TGID_X_EN: 1
; COMPUTE_PGM_RSRC2:TGID_Y_EN: 0
; COMPUTE_PGM_RSRC2:TGID_Z_EN: 0
; COMPUTE_PGM_RSRC2:TIDIG_COMP_CNT: 0
	.section	.text._ZN7rocprim17ROCPRIM_400000_NS6detail17trampoline_kernelINS0_13select_configILj256ELj13ELNS0_17block_load_methodE3ELS4_3ELS4_3ELNS0_20block_scan_algorithmE0ELj4294967295EEENS1_25partition_config_selectorILNS1_17partition_subalgoE3EjNS0_10empty_typeEbEEZZNS1_14partition_implILS8_3ELb0ES6_jNS0_17counting_iteratorIjlEEPS9_SE_NS0_5tupleIJPjSE_EEENSF_IJSE_SE_EEES9_SG_JZNS1_25segmented_radix_sort_implINS0_14default_configELb0EPKaPaPKlPlN2at6native12_GLOBAL__N_18offset_tEEE10hipError_tPvRmT1_PNSt15iterator_traitsISY_E10value_typeET2_T3_PNSZ_IS14_E10value_typeET4_jRbjT5_S1A_jjP12ihipStream_tbEUljE_EEESV_SW_SX_S14_S18_S1A_T6_T7_T9_mT8_S1C_bDpT10_ENKUlT_T0_E_clISt17integral_constantIbLb0EES1O_IbLb1EEEEDaS1K_S1L_EUlS1K_E_NS1_11comp_targetILNS1_3genE8ELNS1_11target_archE1030ELNS1_3gpuE2ELNS1_3repE0EEENS1_30default_config_static_selectorELNS0_4arch9wavefront6targetE1EEEvSY_,"axG",@progbits,_ZN7rocprim17ROCPRIM_400000_NS6detail17trampoline_kernelINS0_13select_configILj256ELj13ELNS0_17block_load_methodE3ELS4_3ELS4_3ELNS0_20block_scan_algorithmE0ELj4294967295EEENS1_25partition_config_selectorILNS1_17partition_subalgoE3EjNS0_10empty_typeEbEEZZNS1_14partition_implILS8_3ELb0ES6_jNS0_17counting_iteratorIjlEEPS9_SE_NS0_5tupleIJPjSE_EEENSF_IJSE_SE_EEES9_SG_JZNS1_25segmented_radix_sort_implINS0_14default_configELb0EPKaPaPKlPlN2at6native12_GLOBAL__N_18offset_tEEE10hipError_tPvRmT1_PNSt15iterator_traitsISY_E10value_typeET2_T3_PNSZ_IS14_E10value_typeET4_jRbjT5_S1A_jjP12ihipStream_tbEUljE_EEESV_SW_SX_S14_S18_S1A_T6_T7_T9_mT8_S1C_bDpT10_ENKUlT_T0_E_clISt17integral_constantIbLb0EES1O_IbLb1EEEEDaS1K_S1L_EUlS1K_E_NS1_11comp_targetILNS1_3genE8ELNS1_11target_archE1030ELNS1_3gpuE2ELNS1_3repE0EEENS1_30default_config_static_selectorELNS0_4arch9wavefront6targetE1EEEvSY_,comdat
	.globl	_ZN7rocprim17ROCPRIM_400000_NS6detail17trampoline_kernelINS0_13select_configILj256ELj13ELNS0_17block_load_methodE3ELS4_3ELS4_3ELNS0_20block_scan_algorithmE0ELj4294967295EEENS1_25partition_config_selectorILNS1_17partition_subalgoE3EjNS0_10empty_typeEbEEZZNS1_14partition_implILS8_3ELb0ES6_jNS0_17counting_iteratorIjlEEPS9_SE_NS0_5tupleIJPjSE_EEENSF_IJSE_SE_EEES9_SG_JZNS1_25segmented_radix_sort_implINS0_14default_configELb0EPKaPaPKlPlN2at6native12_GLOBAL__N_18offset_tEEE10hipError_tPvRmT1_PNSt15iterator_traitsISY_E10value_typeET2_T3_PNSZ_IS14_E10value_typeET4_jRbjT5_S1A_jjP12ihipStream_tbEUljE_EEESV_SW_SX_S14_S18_S1A_T6_T7_T9_mT8_S1C_bDpT10_ENKUlT_T0_E_clISt17integral_constantIbLb0EES1O_IbLb1EEEEDaS1K_S1L_EUlS1K_E_NS1_11comp_targetILNS1_3genE8ELNS1_11target_archE1030ELNS1_3gpuE2ELNS1_3repE0EEENS1_30default_config_static_selectorELNS0_4arch9wavefront6targetE1EEEvSY_ ; -- Begin function _ZN7rocprim17ROCPRIM_400000_NS6detail17trampoline_kernelINS0_13select_configILj256ELj13ELNS0_17block_load_methodE3ELS4_3ELS4_3ELNS0_20block_scan_algorithmE0ELj4294967295EEENS1_25partition_config_selectorILNS1_17partition_subalgoE3EjNS0_10empty_typeEbEEZZNS1_14partition_implILS8_3ELb0ES6_jNS0_17counting_iteratorIjlEEPS9_SE_NS0_5tupleIJPjSE_EEENSF_IJSE_SE_EEES9_SG_JZNS1_25segmented_radix_sort_implINS0_14default_configELb0EPKaPaPKlPlN2at6native12_GLOBAL__N_18offset_tEEE10hipError_tPvRmT1_PNSt15iterator_traitsISY_E10value_typeET2_T3_PNSZ_IS14_E10value_typeET4_jRbjT5_S1A_jjP12ihipStream_tbEUljE_EEESV_SW_SX_S14_S18_S1A_T6_T7_T9_mT8_S1C_bDpT10_ENKUlT_T0_E_clISt17integral_constantIbLb0EES1O_IbLb1EEEEDaS1K_S1L_EUlS1K_E_NS1_11comp_targetILNS1_3genE8ELNS1_11target_archE1030ELNS1_3gpuE2ELNS1_3repE0EEENS1_30default_config_static_selectorELNS0_4arch9wavefront6targetE1EEEvSY_
	.p2align	8
	.type	_ZN7rocprim17ROCPRIM_400000_NS6detail17trampoline_kernelINS0_13select_configILj256ELj13ELNS0_17block_load_methodE3ELS4_3ELS4_3ELNS0_20block_scan_algorithmE0ELj4294967295EEENS1_25partition_config_selectorILNS1_17partition_subalgoE3EjNS0_10empty_typeEbEEZZNS1_14partition_implILS8_3ELb0ES6_jNS0_17counting_iteratorIjlEEPS9_SE_NS0_5tupleIJPjSE_EEENSF_IJSE_SE_EEES9_SG_JZNS1_25segmented_radix_sort_implINS0_14default_configELb0EPKaPaPKlPlN2at6native12_GLOBAL__N_18offset_tEEE10hipError_tPvRmT1_PNSt15iterator_traitsISY_E10value_typeET2_T3_PNSZ_IS14_E10value_typeET4_jRbjT5_S1A_jjP12ihipStream_tbEUljE_EEESV_SW_SX_S14_S18_S1A_T6_T7_T9_mT8_S1C_bDpT10_ENKUlT_T0_E_clISt17integral_constantIbLb0EES1O_IbLb1EEEEDaS1K_S1L_EUlS1K_E_NS1_11comp_targetILNS1_3genE8ELNS1_11target_archE1030ELNS1_3gpuE2ELNS1_3repE0EEENS1_30default_config_static_selectorELNS0_4arch9wavefront6targetE1EEEvSY_,@function
_ZN7rocprim17ROCPRIM_400000_NS6detail17trampoline_kernelINS0_13select_configILj256ELj13ELNS0_17block_load_methodE3ELS4_3ELS4_3ELNS0_20block_scan_algorithmE0ELj4294967295EEENS1_25partition_config_selectorILNS1_17partition_subalgoE3EjNS0_10empty_typeEbEEZZNS1_14partition_implILS8_3ELb0ES6_jNS0_17counting_iteratorIjlEEPS9_SE_NS0_5tupleIJPjSE_EEENSF_IJSE_SE_EEES9_SG_JZNS1_25segmented_radix_sort_implINS0_14default_configELb0EPKaPaPKlPlN2at6native12_GLOBAL__N_18offset_tEEE10hipError_tPvRmT1_PNSt15iterator_traitsISY_E10value_typeET2_T3_PNSZ_IS14_E10value_typeET4_jRbjT5_S1A_jjP12ihipStream_tbEUljE_EEESV_SW_SX_S14_S18_S1A_T6_T7_T9_mT8_S1C_bDpT10_ENKUlT_T0_E_clISt17integral_constantIbLb0EES1O_IbLb1EEEEDaS1K_S1L_EUlS1K_E_NS1_11comp_targetILNS1_3genE8ELNS1_11target_archE1030ELNS1_3gpuE2ELNS1_3repE0EEENS1_30default_config_static_selectorELNS0_4arch9wavefront6targetE1EEEvSY_: ; @_ZN7rocprim17ROCPRIM_400000_NS6detail17trampoline_kernelINS0_13select_configILj256ELj13ELNS0_17block_load_methodE3ELS4_3ELS4_3ELNS0_20block_scan_algorithmE0ELj4294967295EEENS1_25partition_config_selectorILNS1_17partition_subalgoE3EjNS0_10empty_typeEbEEZZNS1_14partition_implILS8_3ELb0ES6_jNS0_17counting_iteratorIjlEEPS9_SE_NS0_5tupleIJPjSE_EEENSF_IJSE_SE_EEES9_SG_JZNS1_25segmented_radix_sort_implINS0_14default_configELb0EPKaPaPKlPlN2at6native12_GLOBAL__N_18offset_tEEE10hipError_tPvRmT1_PNSt15iterator_traitsISY_E10value_typeET2_T3_PNSZ_IS14_E10value_typeET4_jRbjT5_S1A_jjP12ihipStream_tbEUljE_EEESV_SW_SX_S14_S18_S1A_T6_T7_T9_mT8_S1C_bDpT10_ENKUlT_T0_E_clISt17integral_constantIbLb0EES1O_IbLb1EEEEDaS1K_S1L_EUlS1K_E_NS1_11comp_targetILNS1_3genE8ELNS1_11target_archE1030ELNS1_3gpuE2ELNS1_3repE0EEENS1_30default_config_static_selectorELNS0_4arch9wavefront6targetE1EEEvSY_
; %bb.0:
	.section	.rodata,"a",@progbits
	.p2align	6, 0x0
	.amdhsa_kernel _ZN7rocprim17ROCPRIM_400000_NS6detail17trampoline_kernelINS0_13select_configILj256ELj13ELNS0_17block_load_methodE3ELS4_3ELS4_3ELNS0_20block_scan_algorithmE0ELj4294967295EEENS1_25partition_config_selectorILNS1_17partition_subalgoE3EjNS0_10empty_typeEbEEZZNS1_14partition_implILS8_3ELb0ES6_jNS0_17counting_iteratorIjlEEPS9_SE_NS0_5tupleIJPjSE_EEENSF_IJSE_SE_EEES9_SG_JZNS1_25segmented_radix_sort_implINS0_14default_configELb0EPKaPaPKlPlN2at6native12_GLOBAL__N_18offset_tEEE10hipError_tPvRmT1_PNSt15iterator_traitsISY_E10value_typeET2_T3_PNSZ_IS14_E10value_typeET4_jRbjT5_S1A_jjP12ihipStream_tbEUljE_EEESV_SW_SX_S14_S18_S1A_T6_T7_T9_mT8_S1C_bDpT10_ENKUlT_T0_E_clISt17integral_constantIbLb0EES1O_IbLb1EEEEDaS1K_S1L_EUlS1K_E_NS1_11comp_targetILNS1_3genE8ELNS1_11target_archE1030ELNS1_3gpuE2ELNS1_3repE0EEENS1_30default_config_static_selectorELNS0_4arch9wavefront6targetE1EEEvSY_
		.amdhsa_group_segment_fixed_size 0
		.amdhsa_private_segment_fixed_size 0
		.amdhsa_kernarg_size 152
		.amdhsa_user_sgpr_count 6
		.amdhsa_user_sgpr_private_segment_buffer 1
		.amdhsa_user_sgpr_dispatch_ptr 0
		.amdhsa_user_sgpr_queue_ptr 0
		.amdhsa_user_sgpr_kernarg_segment_ptr 1
		.amdhsa_user_sgpr_dispatch_id 0
		.amdhsa_user_sgpr_flat_scratch_init 0
		.amdhsa_user_sgpr_private_segment_size 0
		.amdhsa_uses_dynamic_stack 0
		.amdhsa_system_sgpr_private_segment_wavefront_offset 0
		.amdhsa_system_sgpr_workgroup_id_x 1
		.amdhsa_system_sgpr_workgroup_id_y 0
		.amdhsa_system_sgpr_workgroup_id_z 0
		.amdhsa_system_sgpr_workgroup_info 0
		.amdhsa_system_vgpr_workitem_id 0
		.amdhsa_next_free_vgpr 1
		.amdhsa_next_free_sgpr 0
		.amdhsa_reserve_vcc 0
		.amdhsa_reserve_flat_scratch 0
		.amdhsa_float_round_mode_32 0
		.amdhsa_float_round_mode_16_64 0
		.amdhsa_float_denorm_mode_32 3
		.amdhsa_float_denorm_mode_16_64 3
		.amdhsa_dx10_clamp 1
		.amdhsa_ieee_mode 1
		.amdhsa_fp16_overflow 0
		.amdhsa_exception_fp_ieee_invalid_op 0
		.amdhsa_exception_fp_denorm_src 0
		.amdhsa_exception_fp_ieee_div_zero 0
		.amdhsa_exception_fp_ieee_overflow 0
		.amdhsa_exception_fp_ieee_underflow 0
		.amdhsa_exception_fp_ieee_inexact 0
		.amdhsa_exception_int_div_zero 0
	.end_amdhsa_kernel
	.section	.text._ZN7rocprim17ROCPRIM_400000_NS6detail17trampoline_kernelINS0_13select_configILj256ELj13ELNS0_17block_load_methodE3ELS4_3ELS4_3ELNS0_20block_scan_algorithmE0ELj4294967295EEENS1_25partition_config_selectorILNS1_17partition_subalgoE3EjNS0_10empty_typeEbEEZZNS1_14partition_implILS8_3ELb0ES6_jNS0_17counting_iteratorIjlEEPS9_SE_NS0_5tupleIJPjSE_EEENSF_IJSE_SE_EEES9_SG_JZNS1_25segmented_radix_sort_implINS0_14default_configELb0EPKaPaPKlPlN2at6native12_GLOBAL__N_18offset_tEEE10hipError_tPvRmT1_PNSt15iterator_traitsISY_E10value_typeET2_T3_PNSZ_IS14_E10value_typeET4_jRbjT5_S1A_jjP12ihipStream_tbEUljE_EEESV_SW_SX_S14_S18_S1A_T6_T7_T9_mT8_S1C_bDpT10_ENKUlT_T0_E_clISt17integral_constantIbLb0EES1O_IbLb1EEEEDaS1K_S1L_EUlS1K_E_NS1_11comp_targetILNS1_3genE8ELNS1_11target_archE1030ELNS1_3gpuE2ELNS1_3repE0EEENS1_30default_config_static_selectorELNS0_4arch9wavefront6targetE1EEEvSY_,"axG",@progbits,_ZN7rocprim17ROCPRIM_400000_NS6detail17trampoline_kernelINS0_13select_configILj256ELj13ELNS0_17block_load_methodE3ELS4_3ELS4_3ELNS0_20block_scan_algorithmE0ELj4294967295EEENS1_25partition_config_selectorILNS1_17partition_subalgoE3EjNS0_10empty_typeEbEEZZNS1_14partition_implILS8_3ELb0ES6_jNS0_17counting_iteratorIjlEEPS9_SE_NS0_5tupleIJPjSE_EEENSF_IJSE_SE_EEES9_SG_JZNS1_25segmented_radix_sort_implINS0_14default_configELb0EPKaPaPKlPlN2at6native12_GLOBAL__N_18offset_tEEE10hipError_tPvRmT1_PNSt15iterator_traitsISY_E10value_typeET2_T3_PNSZ_IS14_E10value_typeET4_jRbjT5_S1A_jjP12ihipStream_tbEUljE_EEESV_SW_SX_S14_S18_S1A_T6_T7_T9_mT8_S1C_bDpT10_ENKUlT_T0_E_clISt17integral_constantIbLb0EES1O_IbLb1EEEEDaS1K_S1L_EUlS1K_E_NS1_11comp_targetILNS1_3genE8ELNS1_11target_archE1030ELNS1_3gpuE2ELNS1_3repE0EEENS1_30default_config_static_selectorELNS0_4arch9wavefront6targetE1EEEvSY_,comdat
.Lfunc_end392:
	.size	_ZN7rocprim17ROCPRIM_400000_NS6detail17trampoline_kernelINS0_13select_configILj256ELj13ELNS0_17block_load_methodE3ELS4_3ELS4_3ELNS0_20block_scan_algorithmE0ELj4294967295EEENS1_25partition_config_selectorILNS1_17partition_subalgoE3EjNS0_10empty_typeEbEEZZNS1_14partition_implILS8_3ELb0ES6_jNS0_17counting_iteratorIjlEEPS9_SE_NS0_5tupleIJPjSE_EEENSF_IJSE_SE_EEES9_SG_JZNS1_25segmented_radix_sort_implINS0_14default_configELb0EPKaPaPKlPlN2at6native12_GLOBAL__N_18offset_tEEE10hipError_tPvRmT1_PNSt15iterator_traitsISY_E10value_typeET2_T3_PNSZ_IS14_E10value_typeET4_jRbjT5_S1A_jjP12ihipStream_tbEUljE_EEESV_SW_SX_S14_S18_S1A_T6_T7_T9_mT8_S1C_bDpT10_ENKUlT_T0_E_clISt17integral_constantIbLb0EES1O_IbLb1EEEEDaS1K_S1L_EUlS1K_E_NS1_11comp_targetILNS1_3genE8ELNS1_11target_archE1030ELNS1_3gpuE2ELNS1_3repE0EEENS1_30default_config_static_selectorELNS0_4arch9wavefront6targetE1EEEvSY_, .Lfunc_end392-_ZN7rocprim17ROCPRIM_400000_NS6detail17trampoline_kernelINS0_13select_configILj256ELj13ELNS0_17block_load_methodE3ELS4_3ELS4_3ELNS0_20block_scan_algorithmE0ELj4294967295EEENS1_25partition_config_selectorILNS1_17partition_subalgoE3EjNS0_10empty_typeEbEEZZNS1_14partition_implILS8_3ELb0ES6_jNS0_17counting_iteratorIjlEEPS9_SE_NS0_5tupleIJPjSE_EEENSF_IJSE_SE_EEES9_SG_JZNS1_25segmented_radix_sort_implINS0_14default_configELb0EPKaPaPKlPlN2at6native12_GLOBAL__N_18offset_tEEE10hipError_tPvRmT1_PNSt15iterator_traitsISY_E10value_typeET2_T3_PNSZ_IS14_E10value_typeET4_jRbjT5_S1A_jjP12ihipStream_tbEUljE_EEESV_SW_SX_S14_S18_S1A_T6_T7_T9_mT8_S1C_bDpT10_ENKUlT_T0_E_clISt17integral_constantIbLb0EES1O_IbLb1EEEEDaS1K_S1L_EUlS1K_E_NS1_11comp_targetILNS1_3genE8ELNS1_11target_archE1030ELNS1_3gpuE2ELNS1_3repE0EEENS1_30default_config_static_selectorELNS0_4arch9wavefront6targetE1EEEvSY_
                                        ; -- End function
	.set _ZN7rocprim17ROCPRIM_400000_NS6detail17trampoline_kernelINS0_13select_configILj256ELj13ELNS0_17block_load_methodE3ELS4_3ELS4_3ELNS0_20block_scan_algorithmE0ELj4294967295EEENS1_25partition_config_selectorILNS1_17partition_subalgoE3EjNS0_10empty_typeEbEEZZNS1_14partition_implILS8_3ELb0ES6_jNS0_17counting_iteratorIjlEEPS9_SE_NS0_5tupleIJPjSE_EEENSF_IJSE_SE_EEES9_SG_JZNS1_25segmented_radix_sort_implINS0_14default_configELb0EPKaPaPKlPlN2at6native12_GLOBAL__N_18offset_tEEE10hipError_tPvRmT1_PNSt15iterator_traitsISY_E10value_typeET2_T3_PNSZ_IS14_E10value_typeET4_jRbjT5_S1A_jjP12ihipStream_tbEUljE_EEESV_SW_SX_S14_S18_S1A_T6_T7_T9_mT8_S1C_bDpT10_ENKUlT_T0_E_clISt17integral_constantIbLb0EES1O_IbLb1EEEEDaS1K_S1L_EUlS1K_E_NS1_11comp_targetILNS1_3genE8ELNS1_11target_archE1030ELNS1_3gpuE2ELNS1_3repE0EEENS1_30default_config_static_selectorELNS0_4arch9wavefront6targetE1EEEvSY_.num_vgpr, 0
	.set _ZN7rocprim17ROCPRIM_400000_NS6detail17trampoline_kernelINS0_13select_configILj256ELj13ELNS0_17block_load_methodE3ELS4_3ELS4_3ELNS0_20block_scan_algorithmE0ELj4294967295EEENS1_25partition_config_selectorILNS1_17partition_subalgoE3EjNS0_10empty_typeEbEEZZNS1_14partition_implILS8_3ELb0ES6_jNS0_17counting_iteratorIjlEEPS9_SE_NS0_5tupleIJPjSE_EEENSF_IJSE_SE_EEES9_SG_JZNS1_25segmented_radix_sort_implINS0_14default_configELb0EPKaPaPKlPlN2at6native12_GLOBAL__N_18offset_tEEE10hipError_tPvRmT1_PNSt15iterator_traitsISY_E10value_typeET2_T3_PNSZ_IS14_E10value_typeET4_jRbjT5_S1A_jjP12ihipStream_tbEUljE_EEESV_SW_SX_S14_S18_S1A_T6_T7_T9_mT8_S1C_bDpT10_ENKUlT_T0_E_clISt17integral_constantIbLb0EES1O_IbLb1EEEEDaS1K_S1L_EUlS1K_E_NS1_11comp_targetILNS1_3genE8ELNS1_11target_archE1030ELNS1_3gpuE2ELNS1_3repE0EEENS1_30default_config_static_selectorELNS0_4arch9wavefront6targetE1EEEvSY_.num_agpr, 0
	.set _ZN7rocprim17ROCPRIM_400000_NS6detail17trampoline_kernelINS0_13select_configILj256ELj13ELNS0_17block_load_methodE3ELS4_3ELS4_3ELNS0_20block_scan_algorithmE0ELj4294967295EEENS1_25partition_config_selectorILNS1_17partition_subalgoE3EjNS0_10empty_typeEbEEZZNS1_14partition_implILS8_3ELb0ES6_jNS0_17counting_iteratorIjlEEPS9_SE_NS0_5tupleIJPjSE_EEENSF_IJSE_SE_EEES9_SG_JZNS1_25segmented_radix_sort_implINS0_14default_configELb0EPKaPaPKlPlN2at6native12_GLOBAL__N_18offset_tEEE10hipError_tPvRmT1_PNSt15iterator_traitsISY_E10value_typeET2_T3_PNSZ_IS14_E10value_typeET4_jRbjT5_S1A_jjP12ihipStream_tbEUljE_EEESV_SW_SX_S14_S18_S1A_T6_T7_T9_mT8_S1C_bDpT10_ENKUlT_T0_E_clISt17integral_constantIbLb0EES1O_IbLb1EEEEDaS1K_S1L_EUlS1K_E_NS1_11comp_targetILNS1_3genE8ELNS1_11target_archE1030ELNS1_3gpuE2ELNS1_3repE0EEENS1_30default_config_static_selectorELNS0_4arch9wavefront6targetE1EEEvSY_.numbered_sgpr, 0
	.set _ZN7rocprim17ROCPRIM_400000_NS6detail17trampoline_kernelINS0_13select_configILj256ELj13ELNS0_17block_load_methodE3ELS4_3ELS4_3ELNS0_20block_scan_algorithmE0ELj4294967295EEENS1_25partition_config_selectorILNS1_17partition_subalgoE3EjNS0_10empty_typeEbEEZZNS1_14partition_implILS8_3ELb0ES6_jNS0_17counting_iteratorIjlEEPS9_SE_NS0_5tupleIJPjSE_EEENSF_IJSE_SE_EEES9_SG_JZNS1_25segmented_radix_sort_implINS0_14default_configELb0EPKaPaPKlPlN2at6native12_GLOBAL__N_18offset_tEEE10hipError_tPvRmT1_PNSt15iterator_traitsISY_E10value_typeET2_T3_PNSZ_IS14_E10value_typeET4_jRbjT5_S1A_jjP12ihipStream_tbEUljE_EEESV_SW_SX_S14_S18_S1A_T6_T7_T9_mT8_S1C_bDpT10_ENKUlT_T0_E_clISt17integral_constantIbLb0EES1O_IbLb1EEEEDaS1K_S1L_EUlS1K_E_NS1_11comp_targetILNS1_3genE8ELNS1_11target_archE1030ELNS1_3gpuE2ELNS1_3repE0EEENS1_30default_config_static_selectorELNS0_4arch9wavefront6targetE1EEEvSY_.num_named_barrier, 0
	.set _ZN7rocprim17ROCPRIM_400000_NS6detail17trampoline_kernelINS0_13select_configILj256ELj13ELNS0_17block_load_methodE3ELS4_3ELS4_3ELNS0_20block_scan_algorithmE0ELj4294967295EEENS1_25partition_config_selectorILNS1_17partition_subalgoE3EjNS0_10empty_typeEbEEZZNS1_14partition_implILS8_3ELb0ES6_jNS0_17counting_iteratorIjlEEPS9_SE_NS0_5tupleIJPjSE_EEENSF_IJSE_SE_EEES9_SG_JZNS1_25segmented_radix_sort_implINS0_14default_configELb0EPKaPaPKlPlN2at6native12_GLOBAL__N_18offset_tEEE10hipError_tPvRmT1_PNSt15iterator_traitsISY_E10value_typeET2_T3_PNSZ_IS14_E10value_typeET4_jRbjT5_S1A_jjP12ihipStream_tbEUljE_EEESV_SW_SX_S14_S18_S1A_T6_T7_T9_mT8_S1C_bDpT10_ENKUlT_T0_E_clISt17integral_constantIbLb0EES1O_IbLb1EEEEDaS1K_S1L_EUlS1K_E_NS1_11comp_targetILNS1_3genE8ELNS1_11target_archE1030ELNS1_3gpuE2ELNS1_3repE0EEENS1_30default_config_static_selectorELNS0_4arch9wavefront6targetE1EEEvSY_.private_seg_size, 0
	.set _ZN7rocprim17ROCPRIM_400000_NS6detail17trampoline_kernelINS0_13select_configILj256ELj13ELNS0_17block_load_methodE3ELS4_3ELS4_3ELNS0_20block_scan_algorithmE0ELj4294967295EEENS1_25partition_config_selectorILNS1_17partition_subalgoE3EjNS0_10empty_typeEbEEZZNS1_14partition_implILS8_3ELb0ES6_jNS0_17counting_iteratorIjlEEPS9_SE_NS0_5tupleIJPjSE_EEENSF_IJSE_SE_EEES9_SG_JZNS1_25segmented_radix_sort_implINS0_14default_configELb0EPKaPaPKlPlN2at6native12_GLOBAL__N_18offset_tEEE10hipError_tPvRmT1_PNSt15iterator_traitsISY_E10value_typeET2_T3_PNSZ_IS14_E10value_typeET4_jRbjT5_S1A_jjP12ihipStream_tbEUljE_EEESV_SW_SX_S14_S18_S1A_T6_T7_T9_mT8_S1C_bDpT10_ENKUlT_T0_E_clISt17integral_constantIbLb0EES1O_IbLb1EEEEDaS1K_S1L_EUlS1K_E_NS1_11comp_targetILNS1_3genE8ELNS1_11target_archE1030ELNS1_3gpuE2ELNS1_3repE0EEENS1_30default_config_static_selectorELNS0_4arch9wavefront6targetE1EEEvSY_.uses_vcc, 0
	.set _ZN7rocprim17ROCPRIM_400000_NS6detail17trampoline_kernelINS0_13select_configILj256ELj13ELNS0_17block_load_methodE3ELS4_3ELS4_3ELNS0_20block_scan_algorithmE0ELj4294967295EEENS1_25partition_config_selectorILNS1_17partition_subalgoE3EjNS0_10empty_typeEbEEZZNS1_14partition_implILS8_3ELb0ES6_jNS0_17counting_iteratorIjlEEPS9_SE_NS0_5tupleIJPjSE_EEENSF_IJSE_SE_EEES9_SG_JZNS1_25segmented_radix_sort_implINS0_14default_configELb0EPKaPaPKlPlN2at6native12_GLOBAL__N_18offset_tEEE10hipError_tPvRmT1_PNSt15iterator_traitsISY_E10value_typeET2_T3_PNSZ_IS14_E10value_typeET4_jRbjT5_S1A_jjP12ihipStream_tbEUljE_EEESV_SW_SX_S14_S18_S1A_T6_T7_T9_mT8_S1C_bDpT10_ENKUlT_T0_E_clISt17integral_constantIbLb0EES1O_IbLb1EEEEDaS1K_S1L_EUlS1K_E_NS1_11comp_targetILNS1_3genE8ELNS1_11target_archE1030ELNS1_3gpuE2ELNS1_3repE0EEENS1_30default_config_static_selectorELNS0_4arch9wavefront6targetE1EEEvSY_.uses_flat_scratch, 0
	.set _ZN7rocprim17ROCPRIM_400000_NS6detail17trampoline_kernelINS0_13select_configILj256ELj13ELNS0_17block_load_methodE3ELS4_3ELS4_3ELNS0_20block_scan_algorithmE0ELj4294967295EEENS1_25partition_config_selectorILNS1_17partition_subalgoE3EjNS0_10empty_typeEbEEZZNS1_14partition_implILS8_3ELb0ES6_jNS0_17counting_iteratorIjlEEPS9_SE_NS0_5tupleIJPjSE_EEENSF_IJSE_SE_EEES9_SG_JZNS1_25segmented_radix_sort_implINS0_14default_configELb0EPKaPaPKlPlN2at6native12_GLOBAL__N_18offset_tEEE10hipError_tPvRmT1_PNSt15iterator_traitsISY_E10value_typeET2_T3_PNSZ_IS14_E10value_typeET4_jRbjT5_S1A_jjP12ihipStream_tbEUljE_EEESV_SW_SX_S14_S18_S1A_T6_T7_T9_mT8_S1C_bDpT10_ENKUlT_T0_E_clISt17integral_constantIbLb0EES1O_IbLb1EEEEDaS1K_S1L_EUlS1K_E_NS1_11comp_targetILNS1_3genE8ELNS1_11target_archE1030ELNS1_3gpuE2ELNS1_3repE0EEENS1_30default_config_static_selectorELNS0_4arch9wavefront6targetE1EEEvSY_.has_dyn_sized_stack, 0
	.set _ZN7rocprim17ROCPRIM_400000_NS6detail17trampoline_kernelINS0_13select_configILj256ELj13ELNS0_17block_load_methodE3ELS4_3ELS4_3ELNS0_20block_scan_algorithmE0ELj4294967295EEENS1_25partition_config_selectorILNS1_17partition_subalgoE3EjNS0_10empty_typeEbEEZZNS1_14partition_implILS8_3ELb0ES6_jNS0_17counting_iteratorIjlEEPS9_SE_NS0_5tupleIJPjSE_EEENSF_IJSE_SE_EEES9_SG_JZNS1_25segmented_radix_sort_implINS0_14default_configELb0EPKaPaPKlPlN2at6native12_GLOBAL__N_18offset_tEEE10hipError_tPvRmT1_PNSt15iterator_traitsISY_E10value_typeET2_T3_PNSZ_IS14_E10value_typeET4_jRbjT5_S1A_jjP12ihipStream_tbEUljE_EEESV_SW_SX_S14_S18_S1A_T6_T7_T9_mT8_S1C_bDpT10_ENKUlT_T0_E_clISt17integral_constantIbLb0EES1O_IbLb1EEEEDaS1K_S1L_EUlS1K_E_NS1_11comp_targetILNS1_3genE8ELNS1_11target_archE1030ELNS1_3gpuE2ELNS1_3repE0EEENS1_30default_config_static_selectorELNS0_4arch9wavefront6targetE1EEEvSY_.has_recursion, 0
	.set _ZN7rocprim17ROCPRIM_400000_NS6detail17trampoline_kernelINS0_13select_configILj256ELj13ELNS0_17block_load_methodE3ELS4_3ELS4_3ELNS0_20block_scan_algorithmE0ELj4294967295EEENS1_25partition_config_selectorILNS1_17partition_subalgoE3EjNS0_10empty_typeEbEEZZNS1_14partition_implILS8_3ELb0ES6_jNS0_17counting_iteratorIjlEEPS9_SE_NS0_5tupleIJPjSE_EEENSF_IJSE_SE_EEES9_SG_JZNS1_25segmented_radix_sort_implINS0_14default_configELb0EPKaPaPKlPlN2at6native12_GLOBAL__N_18offset_tEEE10hipError_tPvRmT1_PNSt15iterator_traitsISY_E10value_typeET2_T3_PNSZ_IS14_E10value_typeET4_jRbjT5_S1A_jjP12ihipStream_tbEUljE_EEESV_SW_SX_S14_S18_S1A_T6_T7_T9_mT8_S1C_bDpT10_ENKUlT_T0_E_clISt17integral_constantIbLb0EES1O_IbLb1EEEEDaS1K_S1L_EUlS1K_E_NS1_11comp_targetILNS1_3genE8ELNS1_11target_archE1030ELNS1_3gpuE2ELNS1_3repE0EEENS1_30default_config_static_selectorELNS0_4arch9wavefront6targetE1EEEvSY_.has_indirect_call, 0
	.section	.AMDGPU.csdata,"",@progbits
; Kernel info:
; codeLenInByte = 0
; TotalNumSgprs: 4
; NumVgprs: 0
; ScratchSize: 0
; MemoryBound: 0
; FloatMode: 240
; IeeeMode: 1
; LDSByteSize: 0 bytes/workgroup (compile time only)
; SGPRBlocks: 0
; VGPRBlocks: 0
; NumSGPRsForWavesPerEU: 4
; NumVGPRsForWavesPerEU: 1
; Occupancy: 10
; WaveLimiterHint : 0
; COMPUTE_PGM_RSRC2:SCRATCH_EN: 0
; COMPUTE_PGM_RSRC2:USER_SGPR: 6
; COMPUTE_PGM_RSRC2:TRAP_HANDLER: 0
; COMPUTE_PGM_RSRC2:TGID_X_EN: 1
; COMPUTE_PGM_RSRC2:TGID_Y_EN: 0
; COMPUTE_PGM_RSRC2:TGID_Z_EN: 0
; COMPUTE_PGM_RSRC2:TIDIG_COMP_CNT: 0
	.section	.text._ZN7rocprim17ROCPRIM_400000_NS6detail17trampoline_kernelINS0_14default_configENS1_36segmented_radix_sort_config_selectorIalEEZNS1_25segmented_radix_sort_implIS3_Lb0EPKaPaPKlPlN2at6native12_GLOBAL__N_18offset_tEEE10hipError_tPvRmT1_PNSt15iterator_traitsISK_E10value_typeET2_T3_PNSL_ISQ_E10value_typeET4_jRbjT5_SW_jjP12ihipStream_tbEUlT_E_NS1_11comp_targetILNS1_3genE0ELNS1_11target_archE4294967295ELNS1_3gpuE0ELNS1_3repE0EEENS1_30default_config_static_selectorELNS0_4arch9wavefront6targetE1EEEvSK_,"axG",@progbits,_ZN7rocprim17ROCPRIM_400000_NS6detail17trampoline_kernelINS0_14default_configENS1_36segmented_radix_sort_config_selectorIalEEZNS1_25segmented_radix_sort_implIS3_Lb0EPKaPaPKlPlN2at6native12_GLOBAL__N_18offset_tEEE10hipError_tPvRmT1_PNSt15iterator_traitsISK_E10value_typeET2_T3_PNSL_ISQ_E10value_typeET4_jRbjT5_SW_jjP12ihipStream_tbEUlT_E_NS1_11comp_targetILNS1_3genE0ELNS1_11target_archE4294967295ELNS1_3gpuE0ELNS1_3repE0EEENS1_30default_config_static_selectorELNS0_4arch9wavefront6targetE1EEEvSK_,comdat
	.globl	_ZN7rocprim17ROCPRIM_400000_NS6detail17trampoline_kernelINS0_14default_configENS1_36segmented_radix_sort_config_selectorIalEEZNS1_25segmented_radix_sort_implIS3_Lb0EPKaPaPKlPlN2at6native12_GLOBAL__N_18offset_tEEE10hipError_tPvRmT1_PNSt15iterator_traitsISK_E10value_typeET2_T3_PNSL_ISQ_E10value_typeET4_jRbjT5_SW_jjP12ihipStream_tbEUlT_E_NS1_11comp_targetILNS1_3genE0ELNS1_11target_archE4294967295ELNS1_3gpuE0ELNS1_3repE0EEENS1_30default_config_static_selectorELNS0_4arch9wavefront6targetE1EEEvSK_ ; -- Begin function _ZN7rocprim17ROCPRIM_400000_NS6detail17trampoline_kernelINS0_14default_configENS1_36segmented_radix_sort_config_selectorIalEEZNS1_25segmented_radix_sort_implIS3_Lb0EPKaPaPKlPlN2at6native12_GLOBAL__N_18offset_tEEE10hipError_tPvRmT1_PNSt15iterator_traitsISK_E10value_typeET2_T3_PNSL_ISQ_E10value_typeET4_jRbjT5_SW_jjP12ihipStream_tbEUlT_E_NS1_11comp_targetILNS1_3genE0ELNS1_11target_archE4294967295ELNS1_3gpuE0ELNS1_3repE0EEENS1_30default_config_static_selectorELNS0_4arch9wavefront6targetE1EEEvSK_
	.p2align	8
	.type	_ZN7rocprim17ROCPRIM_400000_NS6detail17trampoline_kernelINS0_14default_configENS1_36segmented_radix_sort_config_selectorIalEEZNS1_25segmented_radix_sort_implIS3_Lb0EPKaPaPKlPlN2at6native12_GLOBAL__N_18offset_tEEE10hipError_tPvRmT1_PNSt15iterator_traitsISK_E10value_typeET2_T3_PNSL_ISQ_E10value_typeET4_jRbjT5_SW_jjP12ihipStream_tbEUlT_E_NS1_11comp_targetILNS1_3genE0ELNS1_11target_archE4294967295ELNS1_3gpuE0ELNS1_3repE0EEENS1_30default_config_static_selectorELNS0_4arch9wavefront6targetE1EEEvSK_,@function
_ZN7rocprim17ROCPRIM_400000_NS6detail17trampoline_kernelINS0_14default_configENS1_36segmented_radix_sort_config_selectorIalEEZNS1_25segmented_radix_sort_implIS3_Lb0EPKaPaPKlPlN2at6native12_GLOBAL__N_18offset_tEEE10hipError_tPvRmT1_PNSt15iterator_traitsISK_E10value_typeET2_T3_PNSL_ISQ_E10value_typeET4_jRbjT5_SW_jjP12ihipStream_tbEUlT_E_NS1_11comp_targetILNS1_3genE0ELNS1_11target_archE4294967295ELNS1_3gpuE0ELNS1_3repE0EEENS1_30default_config_static_selectorELNS0_4arch9wavefront6targetE1EEEvSK_: ; @_ZN7rocprim17ROCPRIM_400000_NS6detail17trampoline_kernelINS0_14default_configENS1_36segmented_radix_sort_config_selectorIalEEZNS1_25segmented_radix_sort_implIS3_Lb0EPKaPaPKlPlN2at6native12_GLOBAL__N_18offset_tEEE10hipError_tPvRmT1_PNSt15iterator_traitsISK_E10value_typeET2_T3_PNSL_ISQ_E10value_typeET4_jRbjT5_SW_jjP12ihipStream_tbEUlT_E_NS1_11comp_targetILNS1_3genE0ELNS1_11target_archE4294967295ELNS1_3gpuE0ELNS1_3repE0EEENS1_30default_config_static_selectorELNS0_4arch9wavefront6targetE1EEEvSK_
; %bb.0:
	.section	.rodata,"a",@progbits
	.p2align	6, 0x0
	.amdhsa_kernel _ZN7rocprim17ROCPRIM_400000_NS6detail17trampoline_kernelINS0_14default_configENS1_36segmented_radix_sort_config_selectorIalEEZNS1_25segmented_radix_sort_implIS3_Lb0EPKaPaPKlPlN2at6native12_GLOBAL__N_18offset_tEEE10hipError_tPvRmT1_PNSt15iterator_traitsISK_E10value_typeET2_T3_PNSL_ISQ_E10value_typeET4_jRbjT5_SW_jjP12ihipStream_tbEUlT_E_NS1_11comp_targetILNS1_3genE0ELNS1_11target_archE4294967295ELNS1_3gpuE0ELNS1_3repE0EEENS1_30default_config_static_selectorELNS0_4arch9wavefront6targetE1EEEvSK_
		.amdhsa_group_segment_fixed_size 0
		.amdhsa_private_segment_fixed_size 0
		.amdhsa_kernarg_size 96
		.amdhsa_user_sgpr_count 6
		.amdhsa_user_sgpr_private_segment_buffer 1
		.amdhsa_user_sgpr_dispatch_ptr 0
		.amdhsa_user_sgpr_queue_ptr 0
		.amdhsa_user_sgpr_kernarg_segment_ptr 1
		.amdhsa_user_sgpr_dispatch_id 0
		.amdhsa_user_sgpr_flat_scratch_init 0
		.amdhsa_user_sgpr_private_segment_size 0
		.amdhsa_uses_dynamic_stack 0
		.amdhsa_system_sgpr_private_segment_wavefront_offset 0
		.amdhsa_system_sgpr_workgroup_id_x 1
		.amdhsa_system_sgpr_workgroup_id_y 0
		.amdhsa_system_sgpr_workgroup_id_z 0
		.amdhsa_system_sgpr_workgroup_info 0
		.amdhsa_system_vgpr_workitem_id 0
		.amdhsa_next_free_vgpr 1
		.amdhsa_next_free_sgpr 0
		.amdhsa_reserve_vcc 0
		.amdhsa_reserve_flat_scratch 0
		.amdhsa_float_round_mode_32 0
		.amdhsa_float_round_mode_16_64 0
		.amdhsa_float_denorm_mode_32 3
		.amdhsa_float_denorm_mode_16_64 3
		.amdhsa_dx10_clamp 1
		.amdhsa_ieee_mode 1
		.amdhsa_fp16_overflow 0
		.amdhsa_exception_fp_ieee_invalid_op 0
		.amdhsa_exception_fp_denorm_src 0
		.amdhsa_exception_fp_ieee_div_zero 0
		.amdhsa_exception_fp_ieee_overflow 0
		.amdhsa_exception_fp_ieee_underflow 0
		.amdhsa_exception_fp_ieee_inexact 0
		.amdhsa_exception_int_div_zero 0
	.end_amdhsa_kernel
	.section	.text._ZN7rocprim17ROCPRIM_400000_NS6detail17trampoline_kernelINS0_14default_configENS1_36segmented_radix_sort_config_selectorIalEEZNS1_25segmented_radix_sort_implIS3_Lb0EPKaPaPKlPlN2at6native12_GLOBAL__N_18offset_tEEE10hipError_tPvRmT1_PNSt15iterator_traitsISK_E10value_typeET2_T3_PNSL_ISQ_E10value_typeET4_jRbjT5_SW_jjP12ihipStream_tbEUlT_E_NS1_11comp_targetILNS1_3genE0ELNS1_11target_archE4294967295ELNS1_3gpuE0ELNS1_3repE0EEENS1_30default_config_static_selectorELNS0_4arch9wavefront6targetE1EEEvSK_,"axG",@progbits,_ZN7rocprim17ROCPRIM_400000_NS6detail17trampoline_kernelINS0_14default_configENS1_36segmented_radix_sort_config_selectorIalEEZNS1_25segmented_radix_sort_implIS3_Lb0EPKaPaPKlPlN2at6native12_GLOBAL__N_18offset_tEEE10hipError_tPvRmT1_PNSt15iterator_traitsISK_E10value_typeET2_T3_PNSL_ISQ_E10value_typeET4_jRbjT5_SW_jjP12ihipStream_tbEUlT_E_NS1_11comp_targetILNS1_3genE0ELNS1_11target_archE4294967295ELNS1_3gpuE0ELNS1_3repE0EEENS1_30default_config_static_selectorELNS0_4arch9wavefront6targetE1EEEvSK_,comdat
.Lfunc_end393:
	.size	_ZN7rocprim17ROCPRIM_400000_NS6detail17trampoline_kernelINS0_14default_configENS1_36segmented_radix_sort_config_selectorIalEEZNS1_25segmented_radix_sort_implIS3_Lb0EPKaPaPKlPlN2at6native12_GLOBAL__N_18offset_tEEE10hipError_tPvRmT1_PNSt15iterator_traitsISK_E10value_typeET2_T3_PNSL_ISQ_E10value_typeET4_jRbjT5_SW_jjP12ihipStream_tbEUlT_E_NS1_11comp_targetILNS1_3genE0ELNS1_11target_archE4294967295ELNS1_3gpuE0ELNS1_3repE0EEENS1_30default_config_static_selectorELNS0_4arch9wavefront6targetE1EEEvSK_, .Lfunc_end393-_ZN7rocprim17ROCPRIM_400000_NS6detail17trampoline_kernelINS0_14default_configENS1_36segmented_radix_sort_config_selectorIalEEZNS1_25segmented_radix_sort_implIS3_Lb0EPKaPaPKlPlN2at6native12_GLOBAL__N_18offset_tEEE10hipError_tPvRmT1_PNSt15iterator_traitsISK_E10value_typeET2_T3_PNSL_ISQ_E10value_typeET4_jRbjT5_SW_jjP12ihipStream_tbEUlT_E_NS1_11comp_targetILNS1_3genE0ELNS1_11target_archE4294967295ELNS1_3gpuE0ELNS1_3repE0EEENS1_30default_config_static_selectorELNS0_4arch9wavefront6targetE1EEEvSK_
                                        ; -- End function
	.set _ZN7rocprim17ROCPRIM_400000_NS6detail17trampoline_kernelINS0_14default_configENS1_36segmented_radix_sort_config_selectorIalEEZNS1_25segmented_radix_sort_implIS3_Lb0EPKaPaPKlPlN2at6native12_GLOBAL__N_18offset_tEEE10hipError_tPvRmT1_PNSt15iterator_traitsISK_E10value_typeET2_T3_PNSL_ISQ_E10value_typeET4_jRbjT5_SW_jjP12ihipStream_tbEUlT_E_NS1_11comp_targetILNS1_3genE0ELNS1_11target_archE4294967295ELNS1_3gpuE0ELNS1_3repE0EEENS1_30default_config_static_selectorELNS0_4arch9wavefront6targetE1EEEvSK_.num_vgpr, 0
	.set _ZN7rocprim17ROCPRIM_400000_NS6detail17trampoline_kernelINS0_14default_configENS1_36segmented_radix_sort_config_selectorIalEEZNS1_25segmented_radix_sort_implIS3_Lb0EPKaPaPKlPlN2at6native12_GLOBAL__N_18offset_tEEE10hipError_tPvRmT1_PNSt15iterator_traitsISK_E10value_typeET2_T3_PNSL_ISQ_E10value_typeET4_jRbjT5_SW_jjP12ihipStream_tbEUlT_E_NS1_11comp_targetILNS1_3genE0ELNS1_11target_archE4294967295ELNS1_3gpuE0ELNS1_3repE0EEENS1_30default_config_static_selectorELNS0_4arch9wavefront6targetE1EEEvSK_.num_agpr, 0
	.set _ZN7rocprim17ROCPRIM_400000_NS6detail17trampoline_kernelINS0_14default_configENS1_36segmented_radix_sort_config_selectorIalEEZNS1_25segmented_radix_sort_implIS3_Lb0EPKaPaPKlPlN2at6native12_GLOBAL__N_18offset_tEEE10hipError_tPvRmT1_PNSt15iterator_traitsISK_E10value_typeET2_T3_PNSL_ISQ_E10value_typeET4_jRbjT5_SW_jjP12ihipStream_tbEUlT_E_NS1_11comp_targetILNS1_3genE0ELNS1_11target_archE4294967295ELNS1_3gpuE0ELNS1_3repE0EEENS1_30default_config_static_selectorELNS0_4arch9wavefront6targetE1EEEvSK_.numbered_sgpr, 0
	.set _ZN7rocprim17ROCPRIM_400000_NS6detail17trampoline_kernelINS0_14default_configENS1_36segmented_radix_sort_config_selectorIalEEZNS1_25segmented_radix_sort_implIS3_Lb0EPKaPaPKlPlN2at6native12_GLOBAL__N_18offset_tEEE10hipError_tPvRmT1_PNSt15iterator_traitsISK_E10value_typeET2_T3_PNSL_ISQ_E10value_typeET4_jRbjT5_SW_jjP12ihipStream_tbEUlT_E_NS1_11comp_targetILNS1_3genE0ELNS1_11target_archE4294967295ELNS1_3gpuE0ELNS1_3repE0EEENS1_30default_config_static_selectorELNS0_4arch9wavefront6targetE1EEEvSK_.num_named_barrier, 0
	.set _ZN7rocprim17ROCPRIM_400000_NS6detail17trampoline_kernelINS0_14default_configENS1_36segmented_radix_sort_config_selectorIalEEZNS1_25segmented_radix_sort_implIS3_Lb0EPKaPaPKlPlN2at6native12_GLOBAL__N_18offset_tEEE10hipError_tPvRmT1_PNSt15iterator_traitsISK_E10value_typeET2_T3_PNSL_ISQ_E10value_typeET4_jRbjT5_SW_jjP12ihipStream_tbEUlT_E_NS1_11comp_targetILNS1_3genE0ELNS1_11target_archE4294967295ELNS1_3gpuE0ELNS1_3repE0EEENS1_30default_config_static_selectorELNS0_4arch9wavefront6targetE1EEEvSK_.private_seg_size, 0
	.set _ZN7rocprim17ROCPRIM_400000_NS6detail17trampoline_kernelINS0_14default_configENS1_36segmented_radix_sort_config_selectorIalEEZNS1_25segmented_radix_sort_implIS3_Lb0EPKaPaPKlPlN2at6native12_GLOBAL__N_18offset_tEEE10hipError_tPvRmT1_PNSt15iterator_traitsISK_E10value_typeET2_T3_PNSL_ISQ_E10value_typeET4_jRbjT5_SW_jjP12ihipStream_tbEUlT_E_NS1_11comp_targetILNS1_3genE0ELNS1_11target_archE4294967295ELNS1_3gpuE0ELNS1_3repE0EEENS1_30default_config_static_selectorELNS0_4arch9wavefront6targetE1EEEvSK_.uses_vcc, 0
	.set _ZN7rocprim17ROCPRIM_400000_NS6detail17trampoline_kernelINS0_14default_configENS1_36segmented_radix_sort_config_selectorIalEEZNS1_25segmented_radix_sort_implIS3_Lb0EPKaPaPKlPlN2at6native12_GLOBAL__N_18offset_tEEE10hipError_tPvRmT1_PNSt15iterator_traitsISK_E10value_typeET2_T3_PNSL_ISQ_E10value_typeET4_jRbjT5_SW_jjP12ihipStream_tbEUlT_E_NS1_11comp_targetILNS1_3genE0ELNS1_11target_archE4294967295ELNS1_3gpuE0ELNS1_3repE0EEENS1_30default_config_static_selectorELNS0_4arch9wavefront6targetE1EEEvSK_.uses_flat_scratch, 0
	.set _ZN7rocprim17ROCPRIM_400000_NS6detail17trampoline_kernelINS0_14default_configENS1_36segmented_radix_sort_config_selectorIalEEZNS1_25segmented_radix_sort_implIS3_Lb0EPKaPaPKlPlN2at6native12_GLOBAL__N_18offset_tEEE10hipError_tPvRmT1_PNSt15iterator_traitsISK_E10value_typeET2_T3_PNSL_ISQ_E10value_typeET4_jRbjT5_SW_jjP12ihipStream_tbEUlT_E_NS1_11comp_targetILNS1_3genE0ELNS1_11target_archE4294967295ELNS1_3gpuE0ELNS1_3repE0EEENS1_30default_config_static_selectorELNS0_4arch9wavefront6targetE1EEEvSK_.has_dyn_sized_stack, 0
	.set _ZN7rocprim17ROCPRIM_400000_NS6detail17trampoline_kernelINS0_14default_configENS1_36segmented_radix_sort_config_selectorIalEEZNS1_25segmented_radix_sort_implIS3_Lb0EPKaPaPKlPlN2at6native12_GLOBAL__N_18offset_tEEE10hipError_tPvRmT1_PNSt15iterator_traitsISK_E10value_typeET2_T3_PNSL_ISQ_E10value_typeET4_jRbjT5_SW_jjP12ihipStream_tbEUlT_E_NS1_11comp_targetILNS1_3genE0ELNS1_11target_archE4294967295ELNS1_3gpuE0ELNS1_3repE0EEENS1_30default_config_static_selectorELNS0_4arch9wavefront6targetE1EEEvSK_.has_recursion, 0
	.set _ZN7rocprim17ROCPRIM_400000_NS6detail17trampoline_kernelINS0_14default_configENS1_36segmented_radix_sort_config_selectorIalEEZNS1_25segmented_radix_sort_implIS3_Lb0EPKaPaPKlPlN2at6native12_GLOBAL__N_18offset_tEEE10hipError_tPvRmT1_PNSt15iterator_traitsISK_E10value_typeET2_T3_PNSL_ISQ_E10value_typeET4_jRbjT5_SW_jjP12ihipStream_tbEUlT_E_NS1_11comp_targetILNS1_3genE0ELNS1_11target_archE4294967295ELNS1_3gpuE0ELNS1_3repE0EEENS1_30default_config_static_selectorELNS0_4arch9wavefront6targetE1EEEvSK_.has_indirect_call, 0
	.section	.AMDGPU.csdata,"",@progbits
; Kernel info:
; codeLenInByte = 0
; TotalNumSgprs: 4
; NumVgprs: 0
; ScratchSize: 0
; MemoryBound: 0
; FloatMode: 240
; IeeeMode: 1
; LDSByteSize: 0 bytes/workgroup (compile time only)
; SGPRBlocks: 0
; VGPRBlocks: 0
; NumSGPRsForWavesPerEU: 4
; NumVGPRsForWavesPerEU: 1
; Occupancy: 10
; WaveLimiterHint : 0
; COMPUTE_PGM_RSRC2:SCRATCH_EN: 0
; COMPUTE_PGM_RSRC2:USER_SGPR: 6
; COMPUTE_PGM_RSRC2:TRAP_HANDLER: 0
; COMPUTE_PGM_RSRC2:TGID_X_EN: 1
; COMPUTE_PGM_RSRC2:TGID_Y_EN: 0
; COMPUTE_PGM_RSRC2:TGID_Z_EN: 0
; COMPUTE_PGM_RSRC2:TIDIG_COMP_CNT: 0
	.section	.text._ZN7rocprim17ROCPRIM_400000_NS6detail17trampoline_kernelINS0_14default_configENS1_36segmented_radix_sort_config_selectorIalEEZNS1_25segmented_radix_sort_implIS3_Lb0EPKaPaPKlPlN2at6native12_GLOBAL__N_18offset_tEEE10hipError_tPvRmT1_PNSt15iterator_traitsISK_E10value_typeET2_T3_PNSL_ISQ_E10value_typeET4_jRbjT5_SW_jjP12ihipStream_tbEUlT_E_NS1_11comp_targetILNS1_3genE5ELNS1_11target_archE942ELNS1_3gpuE9ELNS1_3repE0EEENS1_30default_config_static_selectorELNS0_4arch9wavefront6targetE1EEEvSK_,"axG",@progbits,_ZN7rocprim17ROCPRIM_400000_NS6detail17trampoline_kernelINS0_14default_configENS1_36segmented_radix_sort_config_selectorIalEEZNS1_25segmented_radix_sort_implIS3_Lb0EPKaPaPKlPlN2at6native12_GLOBAL__N_18offset_tEEE10hipError_tPvRmT1_PNSt15iterator_traitsISK_E10value_typeET2_T3_PNSL_ISQ_E10value_typeET4_jRbjT5_SW_jjP12ihipStream_tbEUlT_E_NS1_11comp_targetILNS1_3genE5ELNS1_11target_archE942ELNS1_3gpuE9ELNS1_3repE0EEENS1_30default_config_static_selectorELNS0_4arch9wavefront6targetE1EEEvSK_,comdat
	.globl	_ZN7rocprim17ROCPRIM_400000_NS6detail17trampoline_kernelINS0_14default_configENS1_36segmented_radix_sort_config_selectorIalEEZNS1_25segmented_radix_sort_implIS3_Lb0EPKaPaPKlPlN2at6native12_GLOBAL__N_18offset_tEEE10hipError_tPvRmT1_PNSt15iterator_traitsISK_E10value_typeET2_T3_PNSL_ISQ_E10value_typeET4_jRbjT5_SW_jjP12ihipStream_tbEUlT_E_NS1_11comp_targetILNS1_3genE5ELNS1_11target_archE942ELNS1_3gpuE9ELNS1_3repE0EEENS1_30default_config_static_selectorELNS0_4arch9wavefront6targetE1EEEvSK_ ; -- Begin function _ZN7rocprim17ROCPRIM_400000_NS6detail17trampoline_kernelINS0_14default_configENS1_36segmented_radix_sort_config_selectorIalEEZNS1_25segmented_radix_sort_implIS3_Lb0EPKaPaPKlPlN2at6native12_GLOBAL__N_18offset_tEEE10hipError_tPvRmT1_PNSt15iterator_traitsISK_E10value_typeET2_T3_PNSL_ISQ_E10value_typeET4_jRbjT5_SW_jjP12ihipStream_tbEUlT_E_NS1_11comp_targetILNS1_3genE5ELNS1_11target_archE942ELNS1_3gpuE9ELNS1_3repE0EEENS1_30default_config_static_selectorELNS0_4arch9wavefront6targetE1EEEvSK_
	.p2align	8
	.type	_ZN7rocprim17ROCPRIM_400000_NS6detail17trampoline_kernelINS0_14default_configENS1_36segmented_radix_sort_config_selectorIalEEZNS1_25segmented_radix_sort_implIS3_Lb0EPKaPaPKlPlN2at6native12_GLOBAL__N_18offset_tEEE10hipError_tPvRmT1_PNSt15iterator_traitsISK_E10value_typeET2_T3_PNSL_ISQ_E10value_typeET4_jRbjT5_SW_jjP12ihipStream_tbEUlT_E_NS1_11comp_targetILNS1_3genE5ELNS1_11target_archE942ELNS1_3gpuE9ELNS1_3repE0EEENS1_30default_config_static_selectorELNS0_4arch9wavefront6targetE1EEEvSK_,@function
_ZN7rocprim17ROCPRIM_400000_NS6detail17trampoline_kernelINS0_14default_configENS1_36segmented_radix_sort_config_selectorIalEEZNS1_25segmented_radix_sort_implIS3_Lb0EPKaPaPKlPlN2at6native12_GLOBAL__N_18offset_tEEE10hipError_tPvRmT1_PNSt15iterator_traitsISK_E10value_typeET2_T3_PNSL_ISQ_E10value_typeET4_jRbjT5_SW_jjP12ihipStream_tbEUlT_E_NS1_11comp_targetILNS1_3genE5ELNS1_11target_archE942ELNS1_3gpuE9ELNS1_3repE0EEENS1_30default_config_static_selectorELNS0_4arch9wavefront6targetE1EEEvSK_: ; @_ZN7rocprim17ROCPRIM_400000_NS6detail17trampoline_kernelINS0_14default_configENS1_36segmented_radix_sort_config_selectorIalEEZNS1_25segmented_radix_sort_implIS3_Lb0EPKaPaPKlPlN2at6native12_GLOBAL__N_18offset_tEEE10hipError_tPvRmT1_PNSt15iterator_traitsISK_E10value_typeET2_T3_PNSL_ISQ_E10value_typeET4_jRbjT5_SW_jjP12ihipStream_tbEUlT_E_NS1_11comp_targetILNS1_3genE5ELNS1_11target_archE942ELNS1_3gpuE9ELNS1_3repE0EEENS1_30default_config_static_selectorELNS0_4arch9wavefront6targetE1EEEvSK_
; %bb.0:
	.section	.rodata,"a",@progbits
	.p2align	6, 0x0
	.amdhsa_kernel _ZN7rocprim17ROCPRIM_400000_NS6detail17trampoline_kernelINS0_14default_configENS1_36segmented_radix_sort_config_selectorIalEEZNS1_25segmented_radix_sort_implIS3_Lb0EPKaPaPKlPlN2at6native12_GLOBAL__N_18offset_tEEE10hipError_tPvRmT1_PNSt15iterator_traitsISK_E10value_typeET2_T3_PNSL_ISQ_E10value_typeET4_jRbjT5_SW_jjP12ihipStream_tbEUlT_E_NS1_11comp_targetILNS1_3genE5ELNS1_11target_archE942ELNS1_3gpuE9ELNS1_3repE0EEENS1_30default_config_static_selectorELNS0_4arch9wavefront6targetE1EEEvSK_
		.amdhsa_group_segment_fixed_size 0
		.amdhsa_private_segment_fixed_size 0
		.amdhsa_kernarg_size 96
		.amdhsa_user_sgpr_count 6
		.amdhsa_user_sgpr_private_segment_buffer 1
		.amdhsa_user_sgpr_dispatch_ptr 0
		.amdhsa_user_sgpr_queue_ptr 0
		.amdhsa_user_sgpr_kernarg_segment_ptr 1
		.amdhsa_user_sgpr_dispatch_id 0
		.amdhsa_user_sgpr_flat_scratch_init 0
		.amdhsa_user_sgpr_private_segment_size 0
		.amdhsa_uses_dynamic_stack 0
		.amdhsa_system_sgpr_private_segment_wavefront_offset 0
		.amdhsa_system_sgpr_workgroup_id_x 1
		.amdhsa_system_sgpr_workgroup_id_y 0
		.amdhsa_system_sgpr_workgroup_id_z 0
		.amdhsa_system_sgpr_workgroup_info 0
		.amdhsa_system_vgpr_workitem_id 0
		.amdhsa_next_free_vgpr 1
		.amdhsa_next_free_sgpr 0
		.amdhsa_reserve_vcc 0
		.amdhsa_reserve_flat_scratch 0
		.amdhsa_float_round_mode_32 0
		.amdhsa_float_round_mode_16_64 0
		.amdhsa_float_denorm_mode_32 3
		.amdhsa_float_denorm_mode_16_64 3
		.amdhsa_dx10_clamp 1
		.amdhsa_ieee_mode 1
		.amdhsa_fp16_overflow 0
		.amdhsa_exception_fp_ieee_invalid_op 0
		.amdhsa_exception_fp_denorm_src 0
		.amdhsa_exception_fp_ieee_div_zero 0
		.amdhsa_exception_fp_ieee_overflow 0
		.amdhsa_exception_fp_ieee_underflow 0
		.amdhsa_exception_fp_ieee_inexact 0
		.amdhsa_exception_int_div_zero 0
	.end_amdhsa_kernel
	.section	.text._ZN7rocprim17ROCPRIM_400000_NS6detail17trampoline_kernelINS0_14default_configENS1_36segmented_radix_sort_config_selectorIalEEZNS1_25segmented_radix_sort_implIS3_Lb0EPKaPaPKlPlN2at6native12_GLOBAL__N_18offset_tEEE10hipError_tPvRmT1_PNSt15iterator_traitsISK_E10value_typeET2_T3_PNSL_ISQ_E10value_typeET4_jRbjT5_SW_jjP12ihipStream_tbEUlT_E_NS1_11comp_targetILNS1_3genE5ELNS1_11target_archE942ELNS1_3gpuE9ELNS1_3repE0EEENS1_30default_config_static_selectorELNS0_4arch9wavefront6targetE1EEEvSK_,"axG",@progbits,_ZN7rocprim17ROCPRIM_400000_NS6detail17trampoline_kernelINS0_14default_configENS1_36segmented_radix_sort_config_selectorIalEEZNS1_25segmented_radix_sort_implIS3_Lb0EPKaPaPKlPlN2at6native12_GLOBAL__N_18offset_tEEE10hipError_tPvRmT1_PNSt15iterator_traitsISK_E10value_typeET2_T3_PNSL_ISQ_E10value_typeET4_jRbjT5_SW_jjP12ihipStream_tbEUlT_E_NS1_11comp_targetILNS1_3genE5ELNS1_11target_archE942ELNS1_3gpuE9ELNS1_3repE0EEENS1_30default_config_static_selectorELNS0_4arch9wavefront6targetE1EEEvSK_,comdat
.Lfunc_end394:
	.size	_ZN7rocprim17ROCPRIM_400000_NS6detail17trampoline_kernelINS0_14default_configENS1_36segmented_radix_sort_config_selectorIalEEZNS1_25segmented_radix_sort_implIS3_Lb0EPKaPaPKlPlN2at6native12_GLOBAL__N_18offset_tEEE10hipError_tPvRmT1_PNSt15iterator_traitsISK_E10value_typeET2_T3_PNSL_ISQ_E10value_typeET4_jRbjT5_SW_jjP12ihipStream_tbEUlT_E_NS1_11comp_targetILNS1_3genE5ELNS1_11target_archE942ELNS1_3gpuE9ELNS1_3repE0EEENS1_30default_config_static_selectorELNS0_4arch9wavefront6targetE1EEEvSK_, .Lfunc_end394-_ZN7rocprim17ROCPRIM_400000_NS6detail17trampoline_kernelINS0_14default_configENS1_36segmented_radix_sort_config_selectorIalEEZNS1_25segmented_radix_sort_implIS3_Lb0EPKaPaPKlPlN2at6native12_GLOBAL__N_18offset_tEEE10hipError_tPvRmT1_PNSt15iterator_traitsISK_E10value_typeET2_T3_PNSL_ISQ_E10value_typeET4_jRbjT5_SW_jjP12ihipStream_tbEUlT_E_NS1_11comp_targetILNS1_3genE5ELNS1_11target_archE942ELNS1_3gpuE9ELNS1_3repE0EEENS1_30default_config_static_selectorELNS0_4arch9wavefront6targetE1EEEvSK_
                                        ; -- End function
	.set _ZN7rocprim17ROCPRIM_400000_NS6detail17trampoline_kernelINS0_14default_configENS1_36segmented_radix_sort_config_selectorIalEEZNS1_25segmented_radix_sort_implIS3_Lb0EPKaPaPKlPlN2at6native12_GLOBAL__N_18offset_tEEE10hipError_tPvRmT1_PNSt15iterator_traitsISK_E10value_typeET2_T3_PNSL_ISQ_E10value_typeET4_jRbjT5_SW_jjP12ihipStream_tbEUlT_E_NS1_11comp_targetILNS1_3genE5ELNS1_11target_archE942ELNS1_3gpuE9ELNS1_3repE0EEENS1_30default_config_static_selectorELNS0_4arch9wavefront6targetE1EEEvSK_.num_vgpr, 0
	.set _ZN7rocprim17ROCPRIM_400000_NS6detail17trampoline_kernelINS0_14default_configENS1_36segmented_radix_sort_config_selectorIalEEZNS1_25segmented_radix_sort_implIS3_Lb0EPKaPaPKlPlN2at6native12_GLOBAL__N_18offset_tEEE10hipError_tPvRmT1_PNSt15iterator_traitsISK_E10value_typeET2_T3_PNSL_ISQ_E10value_typeET4_jRbjT5_SW_jjP12ihipStream_tbEUlT_E_NS1_11comp_targetILNS1_3genE5ELNS1_11target_archE942ELNS1_3gpuE9ELNS1_3repE0EEENS1_30default_config_static_selectorELNS0_4arch9wavefront6targetE1EEEvSK_.num_agpr, 0
	.set _ZN7rocprim17ROCPRIM_400000_NS6detail17trampoline_kernelINS0_14default_configENS1_36segmented_radix_sort_config_selectorIalEEZNS1_25segmented_radix_sort_implIS3_Lb0EPKaPaPKlPlN2at6native12_GLOBAL__N_18offset_tEEE10hipError_tPvRmT1_PNSt15iterator_traitsISK_E10value_typeET2_T3_PNSL_ISQ_E10value_typeET4_jRbjT5_SW_jjP12ihipStream_tbEUlT_E_NS1_11comp_targetILNS1_3genE5ELNS1_11target_archE942ELNS1_3gpuE9ELNS1_3repE0EEENS1_30default_config_static_selectorELNS0_4arch9wavefront6targetE1EEEvSK_.numbered_sgpr, 0
	.set _ZN7rocprim17ROCPRIM_400000_NS6detail17trampoline_kernelINS0_14default_configENS1_36segmented_radix_sort_config_selectorIalEEZNS1_25segmented_radix_sort_implIS3_Lb0EPKaPaPKlPlN2at6native12_GLOBAL__N_18offset_tEEE10hipError_tPvRmT1_PNSt15iterator_traitsISK_E10value_typeET2_T3_PNSL_ISQ_E10value_typeET4_jRbjT5_SW_jjP12ihipStream_tbEUlT_E_NS1_11comp_targetILNS1_3genE5ELNS1_11target_archE942ELNS1_3gpuE9ELNS1_3repE0EEENS1_30default_config_static_selectorELNS0_4arch9wavefront6targetE1EEEvSK_.num_named_barrier, 0
	.set _ZN7rocprim17ROCPRIM_400000_NS6detail17trampoline_kernelINS0_14default_configENS1_36segmented_radix_sort_config_selectorIalEEZNS1_25segmented_radix_sort_implIS3_Lb0EPKaPaPKlPlN2at6native12_GLOBAL__N_18offset_tEEE10hipError_tPvRmT1_PNSt15iterator_traitsISK_E10value_typeET2_T3_PNSL_ISQ_E10value_typeET4_jRbjT5_SW_jjP12ihipStream_tbEUlT_E_NS1_11comp_targetILNS1_3genE5ELNS1_11target_archE942ELNS1_3gpuE9ELNS1_3repE0EEENS1_30default_config_static_selectorELNS0_4arch9wavefront6targetE1EEEvSK_.private_seg_size, 0
	.set _ZN7rocprim17ROCPRIM_400000_NS6detail17trampoline_kernelINS0_14default_configENS1_36segmented_radix_sort_config_selectorIalEEZNS1_25segmented_radix_sort_implIS3_Lb0EPKaPaPKlPlN2at6native12_GLOBAL__N_18offset_tEEE10hipError_tPvRmT1_PNSt15iterator_traitsISK_E10value_typeET2_T3_PNSL_ISQ_E10value_typeET4_jRbjT5_SW_jjP12ihipStream_tbEUlT_E_NS1_11comp_targetILNS1_3genE5ELNS1_11target_archE942ELNS1_3gpuE9ELNS1_3repE0EEENS1_30default_config_static_selectorELNS0_4arch9wavefront6targetE1EEEvSK_.uses_vcc, 0
	.set _ZN7rocprim17ROCPRIM_400000_NS6detail17trampoline_kernelINS0_14default_configENS1_36segmented_radix_sort_config_selectorIalEEZNS1_25segmented_radix_sort_implIS3_Lb0EPKaPaPKlPlN2at6native12_GLOBAL__N_18offset_tEEE10hipError_tPvRmT1_PNSt15iterator_traitsISK_E10value_typeET2_T3_PNSL_ISQ_E10value_typeET4_jRbjT5_SW_jjP12ihipStream_tbEUlT_E_NS1_11comp_targetILNS1_3genE5ELNS1_11target_archE942ELNS1_3gpuE9ELNS1_3repE0EEENS1_30default_config_static_selectorELNS0_4arch9wavefront6targetE1EEEvSK_.uses_flat_scratch, 0
	.set _ZN7rocprim17ROCPRIM_400000_NS6detail17trampoline_kernelINS0_14default_configENS1_36segmented_radix_sort_config_selectorIalEEZNS1_25segmented_radix_sort_implIS3_Lb0EPKaPaPKlPlN2at6native12_GLOBAL__N_18offset_tEEE10hipError_tPvRmT1_PNSt15iterator_traitsISK_E10value_typeET2_T3_PNSL_ISQ_E10value_typeET4_jRbjT5_SW_jjP12ihipStream_tbEUlT_E_NS1_11comp_targetILNS1_3genE5ELNS1_11target_archE942ELNS1_3gpuE9ELNS1_3repE0EEENS1_30default_config_static_selectorELNS0_4arch9wavefront6targetE1EEEvSK_.has_dyn_sized_stack, 0
	.set _ZN7rocprim17ROCPRIM_400000_NS6detail17trampoline_kernelINS0_14default_configENS1_36segmented_radix_sort_config_selectorIalEEZNS1_25segmented_radix_sort_implIS3_Lb0EPKaPaPKlPlN2at6native12_GLOBAL__N_18offset_tEEE10hipError_tPvRmT1_PNSt15iterator_traitsISK_E10value_typeET2_T3_PNSL_ISQ_E10value_typeET4_jRbjT5_SW_jjP12ihipStream_tbEUlT_E_NS1_11comp_targetILNS1_3genE5ELNS1_11target_archE942ELNS1_3gpuE9ELNS1_3repE0EEENS1_30default_config_static_selectorELNS0_4arch9wavefront6targetE1EEEvSK_.has_recursion, 0
	.set _ZN7rocprim17ROCPRIM_400000_NS6detail17trampoline_kernelINS0_14default_configENS1_36segmented_radix_sort_config_selectorIalEEZNS1_25segmented_radix_sort_implIS3_Lb0EPKaPaPKlPlN2at6native12_GLOBAL__N_18offset_tEEE10hipError_tPvRmT1_PNSt15iterator_traitsISK_E10value_typeET2_T3_PNSL_ISQ_E10value_typeET4_jRbjT5_SW_jjP12ihipStream_tbEUlT_E_NS1_11comp_targetILNS1_3genE5ELNS1_11target_archE942ELNS1_3gpuE9ELNS1_3repE0EEENS1_30default_config_static_selectorELNS0_4arch9wavefront6targetE1EEEvSK_.has_indirect_call, 0
	.section	.AMDGPU.csdata,"",@progbits
; Kernel info:
; codeLenInByte = 0
; TotalNumSgprs: 4
; NumVgprs: 0
; ScratchSize: 0
; MemoryBound: 0
; FloatMode: 240
; IeeeMode: 1
; LDSByteSize: 0 bytes/workgroup (compile time only)
; SGPRBlocks: 0
; VGPRBlocks: 0
; NumSGPRsForWavesPerEU: 4
; NumVGPRsForWavesPerEU: 1
; Occupancy: 10
; WaveLimiterHint : 0
; COMPUTE_PGM_RSRC2:SCRATCH_EN: 0
; COMPUTE_PGM_RSRC2:USER_SGPR: 6
; COMPUTE_PGM_RSRC2:TRAP_HANDLER: 0
; COMPUTE_PGM_RSRC2:TGID_X_EN: 1
; COMPUTE_PGM_RSRC2:TGID_Y_EN: 0
; COMPUTE_PGM_RSRC2:TGID_Z_EN: 0
; COMPUTE_PGM_RSRC2:TIDIG_COMP_CNT: 0
	.section	.text._ZN7rocprim17ROCPRIM_400000_NS6detail17trampoline_kernelINS0_14default_configENS1_36segmented_radix_sort_config_selectorIalEEZNS1_25segmented_radix_sort_implIS3_Lb0EPKaPaPKlPlN2at6native12_GLOBAL__N_18offset_tEEE10hipError_tPvRmT1_PNSt15iterator_traitsISK_E10value_typeET2_T3_PNSL_ISQ_E10value_typeET4_jRbjT5_SW_jjP12ihipStream_tbEUlT_E_NS1_11comp_targetILNS1_3genE4ELNS1_11target_archE910ELNS1_3gpuE8ELNS1_3repE0EEENS1_30default_config_static_selectorELNS0_4arch9wavefront6targetE1EEEvSK_,"axG",@progbits,_ZN7rocprim17ROCPRIM_400000_NS6detail17trampoline_kernelINS0_14default_configENS1_36segmented_radix_sort_config_selectorIalEEZNS1_25segmented_radix_sort_implIS3_Lb0EPKaPaPKlPlN2at6native12_GLOBAL__N_18offset_tEEE10hipError_tPvRmT1_PNSt15iterator_traitsISK_E10value_typeET2_T3_PNSL_ISQ_E10value_typeET4_jRbjT5_SW_jjP12ihipStream_tbEUlT_E_NS1_11comp_targetILNS1_3genE4ELNS1_11target_archE910ELNS1_3gpuE8ELNS1_3repE0EEENS1_30default_config_static_selectorELNS0_4arch9wavefront6targetE1EEEvSK_,comdat
	.globl	_ZN7rocprim17ROCPRIM_400000_NS6detail17trampoline_kernelINS0_14default_configENS1_36segmented_radix_sort_config_selectorIalEEZNS1_25segmented_radix_sort_implIS3_Lb0EPKaPaPKlPlN2at6native12_GLOBAL__N_18offset_tEEE10hipError_tPvRmT1_PNSt15iterator_traitsISK_E10value_typeET2_T3_PNSL_ISQ_E10value_typeET4_jRbjT5_SW_jjP12ihipStream_tbEUlT_E_NS1_11comp_targetILNS1_3genE4ELNS1_11target_archE910ELNS1_3gpuE8ELNS1_3repE0EEENS1_30default_config_static_selectorELNS0_4arch9wavefront6targetE1EEEvSK_ ; -- Begin function _ZN7rocprim17ROCPRIM_400000_NS6detail17trampoline_kernelINS0_14default_configENS1_36segmented_radix_sort_config_selectorIalEEZNS1_25segmented_radix_sort_implIS3_Lb0EPKaPaPKlPlN2at6native12_GLOBAL__N_18offset_tEEE10hipError_tPvRmT1_PNSt15iterator_traitsISK_E10value_typeET2_T3_PNSL_ISQ_E10value_typeET4_jRbjT5_SW_jjP12ihipStream_tbEUlT_E_NS1_11comp_targetILNS1_3genE4ELNS1_11target_archE910ELNS1_3gpuE8ELNS1_3repE0EEENS1_30default_config_static_selectorELNS0_4arch9wavefront6targetE1EEEvSK_
	.p2align	8
	.type	_ZN7rocprim17ROCPRIM_400000_NS6detail17trampoline_kernelINS0_14default_configENS1_36segmented_radix_sort_config_selectorIalEEZNS1_25segmented_radix_sort_implIS3_Lb0EPKaPaPKlPlN2at6native12_GLOBAL__N_18offset_tEEE10hipError_tPvRmT1_PNSt15iterator_traitsISK_E10value_typeET2_T3_PNSL_ISQ_E10value_typeET4_jRbjT5_SW_jjP12ihipStream_tbEUlT_E_NS1_11comp_targetILNS1_3genE4ELNS1_11target_archE910ELNS1_3gpuE8ELNS1_3repE0EEENS1_30default_config_static_selectorELNS0_4arch9wavefront6targetE1EEEvSK_,@function
_ZN7rocprim17ROCPRIM_400000_NS6detail17trampoline_kernelINS0_14default_configENS1_36segmented_radix_sort_config_selectorIalEEZNS1_25segmented_radix_sort_implIS3_Lb0EPKaPaPKlPlN2at6native12_GLOBAL__N_18offset_tEEE10hipError_tPvRmT1_PNSt15iterator_traitsISK_E10value_typeET2_T3_PNSL_ISQ_E10value_typeET4_jRbjT5_SW_jjP12ihipStream_tbEUlT_E_NS1_11comp_targetILNS1_3genE4ELNS1_11target_archE910ELNS1_3gpuE8ELNS1_3repE0EEENS1_30default_config_static_selectorELNS0_4arch9wavefront6targetE1EEEvSK_: ; @_ZN7rocprim17ROCPRIM_400000_NS6detail17trampoline_kernelINS0_14default_configENS1_36segmented_radix_sort_config_selectorIalEEZNS1_25segmented_radix_sort_implIS3_Lb0EPKaPaPKlPlN2at6native12_GLOBAL__N_18offset_tEEE10hipError_tPvRmT1_PNSt15iterator_traitsISK_E10value_typeET2_T3_PNSL_ISQ_E10value_typeET4_jRbjT5_SW_jjP12ihipStream_tbEUlT_E_NS1_11comp_targetILNS1_3genE4ELNS1_11target_archE910ELNS1_3gpuE8ELNS1_3repE0EEENS1_30default_config_static_selectorELNS0_4arch9wavefront6targetE1EEEvSK_
; %bb.0:
	.section	.rodata,"a",@progbits
	.p2align	6, 0x0
	.amdhsa_kernel _ZN7rocprim17ROCPRIM_400000_NS6detail17trampoline_kernelINS0_14default_configENS1_36segmented_radix_sort_config_selectorIalEEZNS1_25segmented_radix_sort_implIS3_Lb0EPKaPaPKlPlN2at6native12_GLOBAL__N_18offset_tEEE10hipError_tPvRmT1_PNSt15iterator_traitsISK_E10value_typeET2_T3_PNSL_ISQ_E10value_typeET4_jRbjT5_SW_jjP12ihipStream_tbEUlT_E_NS1_11comp_targetILNS1_3genE4ELNS1_11target_archE910ELNS1_3gpuE8ELNS1_3repE0EEENS1_30default_config_static_selectorELNS0_4arch9wavefront6targetE1EEEvSK_
		.amdhsa_group_segment_fixed_size 0
		.amdhsa_private_segment_fixed_size 0
		.amdhsa_kernarg_size 96
		.amdhsa_user_sgpr_count 6
		.amdhsa_user_sgpr_private_segment_buffer 1
		.amdhsa_user_sgpr_dispatch_ptr 0
		.amdhsa_user_sgpr_queue_ptr 0
		.amdhsa_user_sgpr_kernarg_segment_ptr 1
		.amdhsa_user_sgpr_dispatch_id 0
		.amdhsa_user_sgpr_flat_scratch_init 0
		.amdhsa_user_sgpr_private_segment_size 0
		.amdhsa_uses_dynamic_stack 0
		.amdhsa_system_sgpr_private_segment_wavefront_offset 0
		.amdhsa_system_sgpr_workgroup_id_x 1
		.amdhsa_system_sgpr_workgroup_id_y 0
		.amdhsa_system_sgpr_workgroup_id_z 0
		.amdhsa_system_sgpr_workgroup_info 0
		.amdhsa_system_vgpr_workitem_id 0
		.amdhsa_next_free_vgpr 1
		.amdhsa_next_free_sgpr 0
		.amdhsa_reserve_vcc 0
		.amdhsa_reserve_flat_scratch 0
		.amdhsa_float_round_mode_32 0
		.amdhsa_float_round_mode_16_64 0
		.amdhsa_float_denorm_mode_32 3
		.amdhsa_float_denorm_mode_16_64 3
		.amdhsa_dx10_clamp 1
		.amdhsa_ieee_mode 1
		.amdhsa_fp16_overflow 0
		.amdhsa_exception_fp_ieee_invalid_op 0
		.amdhsa_exception_fp_denorm_src 0
		.amdhsa_exception_fp_ieee_div_zero 0
		.amdhsa_exception_fp_ieee_overflow 0
		.amdhsa_exception_fp_ieee_underflow 0
		.amdhsa_exception_fp_ieee_inexact 0
		.amdhsa_exception_int_div_zero 0
	.end_amdhsa_kernel
	.section	.text._ZN7rocprim17ROCPRIM_400000_NS6detail17trampoline_kernelINS0_14default_configENS1_36segmented_radix_sort_config_selectorIalEEZNS1_25segmented_radix_sort_implIS3_Lb0EPKaPaPKlPlN2at6native12_GLOBAL__N_18offset_tEEE10hipError_tPvRmT1_PNSt15iterator_traitsISK_E10value_typeET2_T3_PNSL_ISQ_E10value_typeET4_jRbjT5_SW_jjP12ihipStream_tbEUlT_E_NS1_11comp_targetILNS1_3genE4ELNS1_11target_archE910ELNS1_3gpuE8ELNS1_3repE0EEENS1_30default_config_static_selectorELNS0_4arch9wavefront6targetE1EEEvSK_,"axG",@progbits,_ZN7rocprim17ROCPRIM_400000_NS6detail17trampoline_kernelINS0_14default_configENS1_36segmented_radix_sort_config_selectorIalEEZNS1_25segmented_radix_sort_implIS3_Lb0EPKaPaPKlPlN2at6native12_GLOBAL__N_18offset_tEEE10hipError_tPvRmT1_PNSt15iterator_traitsISK_E10value_typeET2_T3_PNSL_ISQ_E10value_typeET4_jRbjT5_SW_jjP12ihipStream_tbEUlT_E_NS1_11comp_targetILNS1_3genE4ELNS1_11target_archE910ELNS1_3gpuE8ELNS1_3repE0EEENS1_30default_config_static_selectorELNS0_4arch9wavefront6targetE1EEEvSK_,comdat
.Lfunc_end395:
	.size	_ZN7rocprim17ROCPRIM_400000_NS6detail17trampoline_kernelINS0_14default_configENS1_36segmented_radix_sort_config_selectorIalEEZNS1_25segmented_radix_sort_implIS3_Lb0EPKaPaPKlPlN2at6native12_GLOBAL__N_18offset_tEEE10hipError_tPvRmT1_PNSt15iterator_traitsISK_E10value_typeET2_T3_PNSL_ISQ_E10value_typeET4_jRbjT5_SW_jjP12ihipStream_tbEUlT_E_NS1_11comp_targetILNS1_3genE4ELNS1_11target_archE910ELNS1_3gpuE8ELNS1_3repE0EEENS1_30default_config_static_selectorELNS0_4arch9wavefront6targetE1EEEvSK_, .Lfunc_end395-_ZN7rocprim17ROCPRIM_400000_NS6detail17trampoline_kernelINS0_14default_configENS1_36segmented_radix_sort_config_selectorIalEEZNS1_25segmented_radix_sort_implIS3_Lb0EPKaPaPKlPlN2at6native12_GLOBAL__N_18offset_tEEE10hipError_tPvRmT1_PNSt15iterator_traitsISK_E10value_typeET2_T3_PNSL_ISQ_E10value_typeET4_jRbjT5_SW_jjP12ihipStream_tbEUlT_E_NS1_11comp_targetILNS1_3genE4ELNS1_11target_archE910ELNS1_3gpuE8ELNS1_3repE0EEENS1_30default_config_static_selectorELNS0_4arch9wavefront6targetE1EEEvSK_
                                        ; -- End function
	.set _ZN7rocprim17ROCPRIM_400000_NS6detail17trampoline_kernelINS0_14default_configENS1_36segmented_radix_sort_config_selectorIalEEZNS1_25segmented_radix_sort_implIS3_Lb0EPKaPaPKlPlN2at6native12_GLOBAL__N_18offset_tEEE10hipError_tPvRmT1_PNSt15iterator_traitsISK_E10value_typeET2_T3_PNSL_ISQ_E10value_typeET4_jRbjT5_SW_jjP12ihipStream_tbEUlT_E_NS1_11comp_targetILNS1_3genE4ELNS1_11target_archE910ELNS1_3gpuE8ELNS1_3repE0EEENS1_30default_config_static_selectorELNS0_4arch9wavefront6targetE1EEEvSK_.num_vgpr, 0
	.set _ZN7rocprim17ROCPRIM_400000_NS6detail17trampoline_kernelINS0_14default_configENS1_36segmented_radix_sort_config_selectorIalEEZNS1_25segmented_radix_sort_implIS3_Lb0EPKaPaPKlPlN2at6native12_GLOBAL__N_18offset_tEEE10hipError_tPvRmT1_PNSt15iterator_traitsISK_E10value_typeET2_T3_PNSL_ISQ_E10value_typeET4_jRbjT5_SW_jjP12ihipStream_tbEUlT_E_NS1_11comp_targetILNS1_3genE4ELNS1_11target_archE910ELNS1_3gpuE8ELNS1_3repE0EEENS1_30default_config_static_selectorELNS0_4arch9wavefront6targetE1EEEvSK_.num_agpr, 0
	.set _ZN7rocprim17ROCPRIM_400000_NS6detail17trampoline_kernelINS0_14default_configENS1_36segmented_radix_sort_config_selectorIalEEZNS1_25segmented_radix_sort_implIS3_Lb0EPKaPaPKlPlN2at6native12_GLOBAL__N_18offset_tEEE10hipError_tPvRmT1_PNSt15iterator_traitsISK_E10value_typeET2_T3_PNSL_ISQ_E10value_typeET4_jRbjT5_SW_jjP12ihipStream_tbEUlT_E_NS1_11comp_targetILNS1_3genE4ELNS1_11target_archE910ELNS1_3gpuE8ELNS1_3repE0EEENS1_30default_config_static_selectorELNS0_4arch9wavefront6targetE1EEEvSK_.numbered_sgpr, 0
	.set _ZN7rocprim17ROCPRIM_400000_NS6detail17trampoline_kernelINS0_14default_configENS1_36segmented_radix_sort_config_selectorIalEEZNS1_25segmented_radix_sort_implIS3_Lb0EPKaPaPKlPlN2at6native12_GLOBAL__N_18offset_tEEE10hipError_tPvRmT1_PNSt15iterator_traitsISK_E10value_typeET2_T3_PNSL_ISQ_E10value_typeET4_jRbjT5_SW_jjP12ihipStream_tbEUlT_E_NS1_11comp_targetILNS1_3genE4ELNS1_11target_archE910ELNS1_3gpuE8ELNS1_3repE0EEENS1_30default_config_static_selectorELNS0_4arch9wavefront6targetE1EEEvSK_.num_named_barrier, 0
	.set _ZN7rocprim17ROCPRIM_400000_NS6detail17trampoline_kernelINS0_14default_configENS1_36segmented_radix_sort_config_selectorIalEEZNS1_25segmented_radix_sort_implIS3_Lb0EPKaPaPKlPlN2at6native12_GLOBAL__N_18offset_tEEE10hipError_tPvRmT1_PNSt15iterator_traitsISK_E10value_typeET2_T3_PNSL_ISQ_E10value_typeET4_jRbjT5_SW_jjP12ihipStream_tbEUlT_E_NS1_11comp_targetILNS1_3genE4ELNS1_11target_archE910ELNS1_3gpuE8ELNS1_3repE0EEENS1_30default_config_static_selectorELNS0_4arch9wavefront6targetE1EEEvSK_.private_seg_size, 0
	.set _ZN7rocprim17ROCPRIM_400000_NS6detail17trampoline_kernelINS0_14default_configENS1_36segmented_radix_sort_config_selectorIalEEZNS1_25segmented_radix_sort_implIS3_Lb0EPKaPaPKlPlN2at6native12_GLOBAL__N_18offset_tEEE10hipError_tPvRmT1_PNSt15iterator_traitsISK_E10value_typeET2_T3_PNSL_ISQ_E10value_typeET4_jRbjT5_SW_jjP12ihipStream_tbEUlT_E_NS1_11comp_targetILNS1_3genE4ELNS1_11target_archE910ELNS1_3gpuE8ELNS1_3repE0EEENS1_30default_config_static_selectorELNS0_4arch9wavefront6targetE1EEEvSK_.uses_vcc, 0
	.set _ZN7rocprim17ROCPRIM_400000_NS6detail17trampoline_kernelINS0_14default_configENS1_36segmented_radix_sort_config_selectorIalEEZNS1_25segmented_radix_sort_implIS3_Lb0EPKaPaPKlPlN2at6native12_GLOBAL__N_18offset_tEEE10hipError_tPvRmT1_PNSt15iterator_traitsISK_E10value_typeET2_T3_PNSL_ISQ_E10value_typeET4_jRbjT5_SW_jjP12ihipStream_tbEUlT_E_NS1_11comp_targetILNS1_3genE4ELNS1_11target_archE910ELNS1_3gpuE8ELNS1_3repE0EEENS1_30default_config_static_selectorELNS0_4arch9wavefront6targetE1EEEvSK_.uses_flat_scratch, 0
	.set _ZN7rocprim17ROCPRIM_400000_NS6detail17trampoline_kernelINS0_14default_configENS1_36segmented_radix_sort_config_selectorIalEEZNS1_25segmented_radix_sort_implIS3_Lb0EPKaPaPKlPlN2at6native12_GLOBAL__N_18offset_tEEE10hipError_tPvRmT1_PNSt15iterator_traitsISK_E10value_typeET2_T3_PNSL_ISQ_E10value_typeET4_jRbjT5_SW_jjP12ihipStream_tbEUlT_E_NS1_11comp_targetILNS1_3genE4ELNS1_11target_archE910ELNS1_3gpuE8ELNS1_3repE0EEENS1_30default_config_static_selectorELNS0_4arch9wavefront6targetE1EEEvSK_.has_dyn_sized_stack, 0
	.set _ZN7rocprim17ROCPRIM_400000_NS6detail17trampoline_kernelINS0_14default_configENS1_36segmented_radix_sort_config_selectorIalEEZNS1_25segmented_radix_sort_implIS3_Lb0EPKaPaPKlPlN2at6native12_GLOBAL__N_18offset_tEEE10hipError_tPvRmT1_PNSt15iterator_traitsISK_E10value_typeET2_T3_PNSL_ISQ_E10value_typeET4_jRbjT5_SW_jjP12ihipStream_tbEUlT_E_NS1_11comp_targetILNS1_3genE4ELNS1_11target_archE910ELNS1_3gpuE8ELNS1_3repE0EEENS1_30default_config_static_selectorELNS0_4arch9wavefront6targetE1EEEvSK_.has_recursion, 0
	.set _ZN7rocprim17ROCPRIM_400000_NS6detail17trampoline_kernelINS0_14default_configENS1_36segmented_radix_sort_config_selectorIalEEZNS1_25segmented_radix_sort_implIS3_Lb0EPKaPaPKlPlN2at6native12_GLOBAL__N_18offset_tEEE10hipError_tPvRmT1_PNSt15iterator_traitsISK_E10value_typeET2_T3_PNSL_ISQ_E10value_typeET4_jRbjT5_SW_jjP12ihipStream_tbEUlT_E_NS1_11comp_targetILNS1_3genE4ELNS1_11target_archE910ELNS1_3gpuE8ELNS1_3repE0EEENS1_30default_config_static_selectorELNS0_4arch9wavefront6targetE1EEEvSK_.has_indirect_call, 0
	.section	.AMDGPU.csdata,"",@progbits
; Kernel info:
; codeLenInByte = 0
; TotalNumSgprs: 4
; NumVgprs: 0
; ScratchSize: 0
; MemoryBound: 0
; FloatMode: 240
; IeeeMode: 1
; LDSByteSize: 0 bytes/workgroup (compile time only)
; SGPRBlocks: 0
; VGPRBlocks: 0
; NumSGPRsForWavesPerEU: 4
; NumVGPRsForWavesPerEU: 1
; Occupancy: 10
; WaveLimiterHint : 0
; COMPUTE_PGM_RSRC2:SCRATCH_EN: 0
; COMPUTE_PGM_RSRC2:USER_SGPR: 6
; COMPUTE_PGM_RSRC2:TRAP_HANDLER: 0
; COMPUTE_PGM_RSRC2:TGID_X_EN: 1
; COMPUTE_PGM_RSRC2:TGID_Y_EN: 0
; COMPUTE_PGM_RSRC2:TGID_Z_EN: 0
; COMPUTE_PGM_RSRC2:TIDIG_COMP_CNT: 0
	.section	.text._ZN7rocprim17ROCPRIM_400000_NS6detail17trampoline_kernelINS0_14default_configENS1_36segmented_radix_sort_config_selectorIalEEZNS1_25segmented_radix_sort_implIS3_Lb0EPKaPaPKlPlN2at6native12_GLOBAL__N_18offset_tEEE10hipError_tPvRmT1_PNSt15iterator_traitsISK_E10value_typeET2_T3_PNSL_ISQ_E10value_typeET4_jRbjT5_SW_jjP12ihipStream_tbEUlT_E_NS1_11comp_targetILNS1_3genE3ELNS1_11target_archE908ELNS1_3gpuE7ELNS1_3repE0EEENS1_30default_config_static_selectorELNS0_4arch9wavefront6targetE1EEEvSK_,"axG",@progbits,_ZN7rocprim17ROCPRIM_400000_NS6detail17trampoline_kernelINS0_14default_configENS1_36segmented_radix_sort_config_selectorIalEEZNS1_25segmented_radix_sort_implIS3_Lb0EPKaPaPKlPlN2at6native12_GLOBAL__N_18offset_tEEE10hipError_tPvRmT1_PNSt15iterator_traitsISK_E10value_typeET2_T3_PNSL_ISQ_E10value_typeET4_jRbjT5_SW_jjP12ihipStream_tbEUlT_E_NS1_11comp_targetILNS1_3genE3ELNS1_11target_archE908ELNS1_3gpuE7ELNS1_3repE0EEENS1_30default_config_static_selectorELNS0_4arch9wavefront6targetE1EEEvSK_,comdat
	.globl	_ZN7rocprim17ROCPRIM_400000_NS6detail17trampoline_kernelINS0_14default_configENS1_36segmented_radix_sort_config_selectorIalEEZNS1_25segmented_radix_sort_implIS3_Lb0EPKaPaPKlPlN2at6native12_GLOBAL__N_18offset_tEEE10hipError_tPvRmT1_PNSt15iterator_traitsISK_E10value_typeET2_T3_PNSL_ISQ_E10value_typeET4_jRbjT5_SW_jjP12ihipStream_tbEUlT_E_NS1_11comp_targetILNS1_3genE3ELNS1_11target_archE908ELNS1_3gpuE7ELNS1_3repE0EEENS1_30default_config_static_selectorELNS0_4arch9wavefront6targetE1EEEvSK_ ; -- Begin function _ZN7rocprim17ROCPRIM_400000_NS6detail17trampoline_kernelINS0_14default_configENS1_36segmented_radix_sort_config_selectorIalEEZNS1_25segmented_radix_sort_implIS3_Lb0EPKaPaPKlPlN2at6native12_GLOBAL__N_18offset_tEEE10hipError_tPvRmT1_PNSt15iterator_traitsISK_E10value_typeET2_T3_PNSL_ISQ_E10value_typeET4_jRbjT5_SW_jjP12ihipStream_tbEUlT_E_NS1_11comp_targetILNS1_3genE3ELNS1_11target_archE908ELNS1_3gpuE7ELNS1_3repE0EEENS1_30default_config_static_selectorELNS0_4arch9wavefront6targetE1EEEvSK_
	.p2align	8
	.type	_ZN7rocprim17ROCPRIM_400000_NS6detail17trampoline_kernelINS0_14default_configENS1_36segmented_radix_sort_config_selectorIalEEZNS1_25segmented_radix_sort_implIS3_Lb0EPKaPaPKlPlN2at6native12_GLOBAL__N_18offset_tEEE10hipError_tPvRmT1_PNSt15iterator_traitsISK_E10value_typeET2_T3_PNSL_ISQ_E10value_typeET4_jRbjT5_SW_jjP12ihipStream_tbEUlT_E_NS1_11comp_targetILNS1_3genE3ELNS1_11target_archE908ELNS1_3gpuE7ELNS1_3repE0EEENS1_30default_config_static_selectorELNS0_4arch9wavefront6targetE1EEEvSK_,@function
_ZN7rocprim17ROCPRIM_400000_NS6detail17trampoline_kernelINS0_14default_configENS1_36segmented_radix_sort_config_selectorIalEEZNS1_25segmented_radix_sort_implIS3_Lb0EPKaPaPKlPlN2at6native12_GLOBAL__N_18offset_tEEE10hipError_tPvRmT1_PNSt15iterator_traitsISK_E10value_typeET2_T3_PNSL_ISQ_E10value_typeET4_jRbjT5_SW_jjP12ihipStream_tbEUlT_E_NS1_11comp_targetILNS1_3genE3ELNS1_11target_archE908ELNS1_3gpuE7ELNS1_3repE0EEENS1_30default_config_static_selectorELNS0_4arch9wavefront6targetE1EEEvSK_: ; @_ZN7rocprim17ROCPRIM_400000_NS6detail17trampoline_kernelINS0_14default_configENS1_36segmented_radix_sort_config_selectorIalEEZNS1_25segmented_radix_sort_implIS3_Lb0EPKaPaPKlPlN2at6native12_GLOBAL__N_18offset_tEEE10hipError_tPvRmT1_PNSt15iterator_traitsISK_E10value_typeET2_T3_PNSL_ISQ_E10value_typeET4_jRbjT5_SW_jjP12ihipStream_tbEUlT_E_NS1_11comp_targetILNS1_3genE3ELNS1_11target_archE908ELNS1_3gpuE7ELNS1_3repE0EEENS1_30default_config_static_selectorELNS0_4arch9wavefront6targetE1EEEvSK_
; %bb.0:
	.section	.rodata,"a",@progbits
	.p2align	6, 0x0
	.amdhsa_kernel _ZN7rocprim17ROCPRIM_400000_NS6detail17trampoline_kernelINS0_14default_configENS1_36segmented_radix_sort_config_selectorIalEEZNS1_25segmented_radix_sort_implIS3_Lb0EPKaPaPKlPlN2at6native12_GLOBAL__N_18offset_tEEE10hipError_tPvRmT1_PNSt15iterator_traitsISK_E10value_typeET2_T3_PNSL_ISQ_E10value_typeET4_jRbjT5_SW_jjP12ihipStream_tbEUlT_E_NS1_11comp_targetILNS1_3genE3ELNS1_11target_archE908ELNS1_3gpuE7ELNS1_3repE0EEENS1_30default_config_static_selectorELNS0_4arch9wavefront6targetE1EEEvSK_
		.amdhsa_group_segment_fixed_size 0
		.amdhsa_private_segment_fixed_size 0
		.amdhsa_kernarg_size 96
		.amdhsa_user_sgpr_count 6
		.amdhsa_user_sgpr_private_segment_buffer 1
		.amdhsa_user_sgpr_dispatch_ptr 0
		.amdhsa_user_sgpr_queue_ptr 0
		.amdhsa_user_sgpr_kernarg_segment_ptr 1
		.amdhsa_user_sgpr_dispatch_id 0
		.amdhsa_user_sgpr_flat_scratch_init 0
		.amdhsa_user_sgpr_private_segment_size 0
		.amdhsa_uses_dynamic_stack 0
		.amdhsa_system_sgpr_private_segment_wavefront_offset 0
		.amdhsa_system_sgpr_workgroup_id_x 1
		.amdhsa_system_sgpr_workgroup_id_y 0
		.amdhsa_system_sgpr_workgroup_id_z 0
		.amdhsa_system_sgpr_workgroup_info 0
		.amdhsa_system_vgpr_workitem_id 0
		.amdhsa_next_free_vgpr 1
		.amdhsa_next_free_sgpr 0
		.amdhsa_reserve_vcc 0
		.amdhsa_reserve_flat_scratch 0
		.amdhsa_float_round_mode_32 0
		.amdhsa_float_round_mode_16_64 0
		.amdhsa_float_denorm_mode_32 3
		.amdhsa_float_denorm_mode_16_64 3
		.amdhsa_dx10_clamp 1
		.amdhsa_ieee_mode 1
		.amdhsa_fp16_overflow 0
		.amdhsa_exception_fp_ieee_invalid_op 0
		.amdhsa_exception_fp_denorm_src 0
		.amdhsa_exception_fp_ieee_div_zero 0
		.amdhsa_exception_fp_ieee_overflow 0
		.amdhsa_exception_fp_ieee_underflow 0
		.amdhsa_exception_fp_ieee_inexact 0
		.amdhsa_exception_int_div_zero 0
	.end_amdhsa_kernel
	.section	.text._ZN7rocprim17ROCPRIM_400000_NS6detail17trampoline_kernelINS0_14default_configENS1_36segmented_radix_sort_config_selectorIalEEZNS1_25segmented_radix_sort_implIS3_Lb0EPKaPaPKlPlN2at6native12_GLOBAL__N_18offset_tEEE10hipError_tPvRmT1_PNSt15iterator_traitsISK_E10value_typeET2_T3_PNSL_ISQ_E10value_typeET4_jRbjT5_SW_jjP12ihipStream_tbEUlT_E_NS1_11comp_targetILNS1_3genE3ELNS1_11target_archE908ELNS1_3gpuE7ELNS1_3repE0EEENS1_30default_config_static_selectorELNS0_4arch9wavefront6targetE1EEEvSK_,"axG",@progbits,_ZN7rocprim17ROCPRIM_400000_NS6detail17trampoline_kernelINS0_14default_configENS1_36segmented_radix_sort_config_selectorIalEEZNS1_25segmented_radix_sort_implIS3_Lb0EPKaPaPKlPlN2at6native12_GLOBAL__N_18offset_tEEE10hipError_tPvRmT1_PNSt15iterator_traitsISK_E10value_typeET2_T3_PNSL_ISQ_E10value_typeET4_jRbjT5_SW_jjP12ihipStream_tbEUlT_E_NS1_11comp_targetILNS1_3genE3ELNS1_11target_archE908ELNS1_3gpuE7ELNS1_3repE0EEENS1_30default_config_static_selectorELNS0_4arch9wavefront6targetE1EEEvSK_,comdat
.Lfunc_end396:
	.size	_ZN7rocprim17ROCPRIM_400000_NS6detail17trampoline_kernelINS0_14default_configENS1_36segmented_radix_sort_config_selectorIalEEZNS1_25segmented_radix_sort_implIS3_Lb0EPKaPaPKlPlN2at6native12_GLOBAL__N_18offset_tEEE10hipError_tPvRmT1_PNSt15iterator_traitsISK_E10value_typeET2_T3_PNSL_ISQ_E10value_typeET4_jRbjT5_SW_jjP12ihipStream_tbEUlT_E_NS1_11comp_targetILNS1_3genE3ELNS1_11target_archE908ELNS1_3gpuE7ELNS1_3repE0EEENS1_30default_config_static_selectorELNS0_4arch9wavefront6targetE1EEEvSK_, .Lfunc_end396-_ZN7rocprim17ROCPRIM_400000_NS6detail17trampoline_kernelINS0_14default_configENS1_36segmented_radix_sort_config_selectorIalEEZNS1_25segmented_radix_sort_implIS3_Lb0EPKaPaPKlPlN2at6native12_GLOBAL__N_18offset_tEEE10hipError_tPvRmT1_PNSt15iterator_traitsISK_E10value_typeET2_T3_PNSL_ISQ_E10value_typeET4_jRbjT5_SW_jjP12ihipStream_tbEUlT_E_NS1_11comp_targetILNS1_3genE3ELNS1_11target_archE908ELNS1_3gpuE7ELNS1_3repE0EEENS1_30default_config_static_selectorELNS0_4arch9wavefront6targetE1EEEvSK_
                                        ; -- End function
	.set _ZN7rocprim17ROCPRIM_400000_NS6detail17trampoline_kernelINS0_14default_configENS1_36segmented_radix_sort_config_selectorIalEEZNS1_25segmented_radix_sort_implIS3_Lb0EPKaPaPKlPlN2at6native12_GLOBAL__N_18offset_tEEE10hipError_tPvRmT1_PNSt15iterator_traitsISK_E10value_typeET2_T3_PNSL_ISQ_E10value_typeET4_jRbjT5_SW_jjP12ihipStream_tbEUlT_E_NS1_11comp_targetILNS1_3genE3ELNS1_11target_archE908ELNS1_3gpuE7ELNS1_3repE0EEENS1_30default_config_static_selectorELNS0_4arch9wavefront6targetE1EEEvSK_.num_vgpr, 0
	.set _ZN7rocprim17ROCPRIM_400000_NS6detail17trampoline_kernelINS0_14default_configENS1_36segmented_radix_sort_config_selectorIalEEZNS1_25segmented_radix_sort_implIS3_Lb0EPKaPaPKlPlN2at6native12_GLOBAL__N_18offset_tEEE10hipError_tPvRmT1_PNSt15iterator_traitsISK_E10value_typeET2_T3_PNSL_ISQ_E10value_typeET4_jRbjT5_SW_jjP12ihipStream_tbEUlT_E_NS1_11comp_targetILNS1_3genE3ELNS1_11target_archE908ELNS1_3gpuE7ELNS1_3repE0EEENS1_30default_config_static_selectorELNS0_4arch9wavefront6targetE1EEEvSK_.num_agpr, 0
	.set _ZN7rocprim17ROCPRIM_400000_NS6detail17trampoline_kernelINS0_14default_configENS1_36segmented_radix_sort_config_selectorIalEEZNS1_25segmented_radix_sort_implIS3_Lb0EPKaPaPKlPlN2at6native12_GLOBAL__N_18offset_tEEE10hipError_tPvRmT1_PNSt15iterator_traitsISK_E10value_typeET2_T3_PNSL_ISQ_E10value_typeET4_jRbjT5_SW_jjP12ihipStream_tbEUlT_E_NS1_11comp_targetILNS1_3genE3ELNS1_11target_archE908ELNS1_3gpuE7ELNS1_3repE0EEENS1_30default_config_static_selectorELNS0_4arch9wavefront6targetE1EEEvSK_.numbered_sgpr, 0
	.set _ZN7rocprim17ROCPRIM_400000_NS6detail17trampoline_kernelINS0_14default_configENS1_36segmented_radix_sort_config_selectorIalEEZNS1_25segmented_radix_sort_implIS3_Lb0EPKaPaPKlPlN2at6native12_GLOBAL__N_18offset_tEEE10hipError_tPvRmT1_PNSt15iterator_traitsISK_E10value_typeET2_T3_PNSL_ISQ_E10value_typeET4_jRbjT5_SW_jjP12ihipStream_tbEUlT_E_NS1_11comp_targetILNS1_3genE3ELNS1_11target_archE908ELNS1_3gpuE7ELNS1_3repE0EEENS1_30default_config_static_selectorELNS0_4arch9wavefront6targetE1EEEvSK_.num_named_barrier, 0
	.set _ZN7rocprim17ROCPRIM_400000_NS6detail17trampoline_kernelINS0_14default_configENS1_36segmented_radix_sort_config_selectorIalEEZNS1_25segmented_radix_sort_implIS3_Lb0EPKaPaPKlPlN2at6native12_GLOBAL__N_18offset_tEEE10hipError_tPvRmT1_PNSt15iterator_traitsISK_E10value_typeET2_T3_PNSL_ISQ_E10value_typeET4_jRbjT5_SW_jjP12ihipStream_tbEUlT_E_NS1_11comp_targetILNS1_3genE3ELNS1_11target_archE908ELNS1_3gpuE7ELNS1_3repE0EEENS1_30default_config_static_selectorELNS0_4arch9wavefront6targetE1EEEvSK_.private_seg_size, 0
	.set _ZN7rocprim17ROCPRIM_400000_NS6detail17trampoline_kernelINS0_14default_configENS1_36segmented_radix_sort_config_selectorIalEEZNS1_25segmented_radix_sort_implIS3_Lb0EPKaPaPKlPlN2at6native12_GLOBAL__N_18offset_tEEE10hipError_tPvRmT1_PNSt15iterator_traitsISK_E10value_typeET2_T3_PNSL_ISQ_E10value_typeET4_jRbjT5_SW_jjP12ihipStream_tbEUlT_E_NS1_11comp_targetILNS1_3genE3ELNS1_11target_archE908ELNS1_3gpuE7ELNS1_3repE0EEENS1_30default_config_static_selectorELNS0_4arch9wavefront6targetE1EEEvSK_.uses_vcc, 0
	.set _ZN7rocprim17ROCPRIM_400000_NS6detail17trampoline_kernelINS0_14default_configENS1_36segmented_radix_sort_config_selectorIalEEZNS1_25segmented_radix_sort_implIS3_Lb0EPKaPaPKlPlN2at6native12_GLOBAL__N_18offset_tEEE10hipError_tPvRmT1_PNSt15iterator_traitsISK_E10value_typeET2_T3_PNSL_ISQ_E10value_typeET4_jRbjT5_SW_jjP12ihipStream_tbEUlT_E_NS1_11comp_targetILNS1_3genE3ELNS1_11target_archE908ELNS1_3gpuE7ELNS1_3repE0EEENS1_30default_config_static_selectorELNS0_4arch9wavefront6targetE1EEEvSK_.uses_flat_scratch, 0
	.set _ZN7rocprim17ROCPRIM_400000_NS6detail17trampoline_kernelINS0_14default_configENS1_36segmented_radix_sort_config_selectorIalEEZNS1_25segmented_radix_sort_implIS3_Lb0EPKaPaPKlPlN2at6native12_GLOBAL__N_18offset_tEEE10hipError_tPvRmT1_PNSt15iterator_traitsISK_E10value_typeET2_T3_PNSL_ISQ_E10value_typeET4_jRbjT5_SW_jjP12ihipStream_tbEUlT_E_NS1_11comp_targetILNS1_3genE3ELNS1_11target_archE908ELNS1_3gpuE7ELNS1_3repE0EEENS1_30default_config_static_selectorELNS0_4arch9wavefront6targetE1EEEvSK_.has_dyn_sized_stack, 0
	.set _ZN7rocprim17ROCPRIM_400000_NS6detail17trampoline_kernelINS0_14default_configENS1_36segmented_radix_sort_config_selectorIalEEZNS1_25segmented_radix_sort_implIS3_Lb0EPKaPaPKlPlN2at6native12_GLOBAL__N_18offset_tEEE10hipError_tPvRmT1_PNSt15iterator_traitsISK_E10value_typeET2_T3_PNSL_ISQ_E10value_typeET4_jRbjT5_SW_jjP12ihipStream_tbEUlT_E_NS1_11comp_targetILNS1_3genE3ELNS1_11target_archE908ELNS1_3gpuE7ELNS1_3repE0EEENS1_30default_config_static_selectorELNS0_4arch9wavefront6targetE1EEEvSK_.has_recursion, 0
	.set _ZN7rocprim17ROCPRIM_400000_NS6detail17trampoline_kernelINS0_14default_configENS1_36segmented_radix_sort_config_selectorIalEEZNS1_25segmented_radix_sort_implIS3_Lb0EPKaPaPKlPlN2at6native12_GLOBAL__N_18offset_tEEE10hipError_tPvRmT1_PNSt15iterator_traitsISK_E10value_typeET2_T3_PNSL_ISQ_E10value_typeET4_jRbjT5_SW_jjP12ihipStream_tbEUlT_E_NS1_11comp_targetILNS1_3genE3ELNS1_11target_archE908ELNS1_3gpuE7ELNS1_3repE0EEENS1_30default_config_static_selectorELNS0_4arch9wavefront6targetE1EEEvSK_.has_indirect_call, 0
	.section	.AMDGPU.csdata,"",@progbits
; Kernel info:
; codeLenInByte = 0
; TotalNumSgprs: 4
; NumVgprs: 0
; ScratchSize: 0
; MemoryBound: 0
; FloatMode: 240
; IeeeMode: 1
; LDSByteSize: 0 bytes/workgroup (compile time only)
; SGPRBlocks: 0
; VGPRBlocks: 0
; NumSGPRsForWavesPerEU: 4
; NumVGPRsForWavesPerEU: 1
; Occupancy: 10
; WaveLimiterHint : 0
; COMPUTE_PGM_RSRC2:SCRATCH_EN: 0
; COMPUTE_PGM_RSRC2:USER_SGPR: 6
; COMPUTE_PGM_RSRC2:TRAP_HANDLER: 0
; COMPUTE_PGM_RSRC2:TGID_X_EN: 1
; COMPUTE_PGM_RSRC2:TGID_Y_EN: 0
; COMPUTE_PGM_RSRC2:TGID_Z_EN: 0
; COMPUTE_PGM_RSRC2:TIDIG_COMP_CNT: 0
	.text
	.p2align	2                               ; -- Begin function _ZN7rocprim17ROCPRIM_400000_NS6detail40segmented_radix_sort_single_block_helperIalLj256ELj4ELb0EE4sortIPKaPaPKlPlEEbT_T0_T1_T2_jjjjRNS3_12storage_typeE
	.type	_ZN7rocprim17ROCPRIM_400000_NS6detail40segmented_radix_sort_single_block_helperIalLj256ELj4ELb0EE4sortIPKaPaPKlPlEEbT_T0_T1_T2_jjjjRNS3_12storage_typeE,@function
_ZN7rocprim17ROCPRIM_400000_NS6detail40segmented_radix_sort_single_block_helperIalLj256ELj4ELb0EE4sortIPKaPaPKlPlEEbT_T0_T1_T2_jjjjRNS3_12storage_typeE: ; @_ZN7rocprim17ROCPRIM_400000_NS6detail40segmented_radix_sort_single_block_helperIalLj256ELj4ELb0EE4sortIPKaPaPKlPlEEbT_T0_T1_T2_jjjjRNS3_12storage_typeE
; %bb.0:
	s_waitcnt vmcnt(0) expcnt(0) lgkmcnt(0)
	v_sub_u32_e32 v50, v9, v8
	s_movk_i32 s4, 0x401
	v_cmp_gt_u32_e32 vcc, s4, v50
	s_and_saveexec_b64 s[46:47], vcc
	s_cbranch_execz .LBB397_106
; %bb.1:
	s_movk_i32 s4, 0x200
	v_cmp_lt_u32_e32 vcc, s4, v50
	v_bfe_u32 v15, v31, 10, 10
	v_bfe_u32 v18, v31, 20, 10
	v_mbcnt_lo_u32_b32 v17, -1, 0
	s_and_saveexec_b64 s[4:5], vcc
	s_xor_b64 s[56:57], exec, s[4:5]
	s_cbranch_execz .LBB397_47
; %bb.2:
	s_load_dwordx2 s[4:5], s[8:9], 0x0
	v_mov_b32_e32 v9, 0
	v_and_b32_e32 v14, 0x3ff, v31
	v_add_co_u32_e32 v26, vcc, v0, v8
	s_waitcnt lgkmcnt(0)
	s_cmp_lt_u32 s13, s5
	s_cselect_b32 s5, 14, 20
	s_add_u32 s6, s8, s5
	s_addc_u32 s7, s9, 0
	s_cmp_lt_u32 s12, s4
	s_cselect_b32 s4, 12, 18
	s_add_u32 s4, s8, s4
	global_load_ushort v24, v9, s[6:7]
	s_addc_u32 s5, s9, 0
	global_load_ushort v25, v9, s[4:5]
	v_addc_co_u32_e32 v27, vcc, 0, v1, vcc
	v_mbcnt_hi_u32_b32 v19, -1, v17
	v_and_b32_e32 v20, 63, v19
	v_mov_b32_e32 v21, 0x7f
	v_mov_b32_e32 v22, 0x7f
	;; [unrolled: 1-line block ×4, first 2 shown]
	s_waitcnt vmcnt(1)
	v_mad_u32_u24 v0, v18, v24, v15
	s_waitcnt vmcnt(0)
	v_mad_u64_u32 v[0:1], s[4:5], v0, v25, v[14:15]
	v_add_co_u32_e32 v1, vcc, v26, v20
	v_lshlrev_b32_e32 v15, 2, v0
	v_addc_co_u32_e32 v18, vcc, 0, v27, vcc
	v_and_b32_e32 v15, 0xffffff00, v15
	v_add_co_u32_e32 v17, vcc, v1, v15
	v_addc_co_u32_e32 v18, vcc, 0, v18, vcc
	v_or_b32_e32 v24, v15, v20
	v_cmp_lt_u32_e32 vcc, v24, v50
	v_mov_b32_e32 v1, 0x7f
	s_and_saveexec_b64 s[4:5], vcc
	s_cbranch_execz .LBB397_4
; %bb.3:
	flat_load_ubyte v22, v[17:18]
	v_mov_b32_e32 v21, 0x7f
	v_mov_b32_e32 v23, 0x7f
	;; [unrolled: 1-line block ×3, first 2 shown]
.LBB397_4:
	s_or_b64 exec, exec, s[4:5]
	v_or_b32_e32 v25, 64, v24
	v_cmp_lt_u32_e64 s[4:5], v25, v50
	s_and_saveexec_b64 s[6:7], s[4:5]
	s_cbranch_execz .LBB397_6
; %bb.5:
	flat_load_ubyte v23, v[17:18] offset:64
.LBB397_6:
	s_or_b64 exec, exec, s[6:7]
	v_or_b32_e32 v25, 0x80, v24
	v_cmp_lt_u32_e64 s[6:7], v25, v50
	s_and_saveexec_b64 s[10:11], s[6:7]
	s_cbranch_execz .LBB397_8
; %bb.7:
	flat_load_ubyte v1, v[17:18] offset:128
.LBB397_8:
	;; [unrolled: 8-line block ×3, first 2 shown]
	s_or_b64 exec, exec, s[14:15]
	v_lshlrev_b64 v[17:18], 3, v[8:9]
	v_lshlrev_b32_e32 v9, 3, v20
	v_add_co_u32_e64 v4, s[14:15], v4, v17
	v_addc_co_u32_e64 v5, s[14:15], v5, v18, s[14:15]
	v_add_co_u32_e64 v9, s[14:15], v4, v9
	v_addc_co_u32_e64 v24, s[14:15], 0, v5, s[14:15]
	v_lshlrev_b64 v[4:5], 3, v[15:16]
                                        ; implicit-def: $vgpr25_vgpr26
	v_add_co_u32_e64 v4, s[14:15], v9, v4
	v_addc_co_u32_e64 v5, s[14:15], v24, v5, s[14:15]
	s_and_saveexec_b64 s[14:15], vcc
	s_cbranch_execnz .LBB397_71
; %bb.11:
	s_or_b64 exec, exec, s[14:15]
                                        ; implicit-def: $vgpr27_vgpr28
	s_and_saveexec_b64 s[14:15], s[4:5]
	s_cbranch_execnz .LBB397_72
.LBB397_12:
	s_or_b64 exec, exec, s[14:15]
                                        ; implicit-def: $vgpr29_vgpr30
	s_and_saveexec_b64 s[4:5], s[6:7]
	s_cbranch_execnz .LBB397_73
.LBB397_13:
	s_or_b64 exec, exec, s[4:5]
                                        ; implicit-def: $vgpr31_vgpr32
	s_and_saveexec_b64 s[4:5], s[10:11]
	s_cbranch_execz .LBB397_15
.LBB397_14:
	flat_load_dwordx2 v[31:32], v[4:5] offset:1536
.LBB397_15:
	s_or_b64 exec, exec, s[4:5]
	s_movk_i32 s4, 0x80
	s_waitcnt vmcnt(0) lgkmcnt(0)
	v_xor_b32_e32 v4, 0x80, v22
	v_xor_b32_sdwa v5, v23, s4 dst_sel:BYTE_1 dst_unused:UNUSED_PAD src0_sel:DWORD src1_sel:DWORD
	v_or_b32_sdwa v4, v4, v5 dst_sel:DWORD dst_unused:UNUSED_PAD src0_sel:BYTE_0 src1_sel:DWORD
	v_xor_b32_e32 v1, 0x80, v1
	v_xor_b32_sdwa v5, v21, s4 dst_sel:BYTE_1 dst_unused:UNUSED_PAD src0_sel:DWORD src1_sel:DWORD
	v_or_b32_sdwa v1, v1, v5 dst_sel:WORD_1 dst_unused:UNUSED_PAD src0_sel:BYTE_0 src1_sel:DWORD
	v_or_b32_sdwa v54, v4, v1 dst_sel:DWORD dst_unused:UNUSED_PAD src0_sel:WORD_0 src1_sel:DWORD
	v_lshl_add_u32 v4, v14, 4, v12
	s_getpc_b64 s[4:5]
	s_add_u32 s4, s4, _ZN7rocprim17ROCPRIM_400000_NS16block_radix_sortIaLj256ELj4ElLj1ELj1ELj8ELNS0_26block_radix_rank_algorithmE2ELNS0_18block_padding_hintE2ELNS0_4arch9wavefront6targetE1EE19radix_bits_per_passE@rel32@lo+4
	s_addc_u32 s5, s5, _ZN7rocprim17ROCPRIM_400000_NS16block_radix_sortIaLj256ELj4ElLj1ELj1ELj8ELNS0_26block_radix_rank_algorithmE2ELNS0_18block_padding_hintE2ELNS0_4arch9wavefront6targetE1EE19radix_bits_per_passE@rel32@hi+12
	v_add_u32_e32 v1, 16, v4
	v_add_u32_e32 v9, 20, v4
	v_add_u32_e32 v51, 24, v4
	v_add_u32_e32 v52, 28, v4
	v_and_b32_e32 v4, 15, v19
	s_load_dword s62, s[4:5], 0x0
	v_cmp_eq_u32_e32 vcc, 0, v4
	v_cmp_lt_u32_e64 s[4:5], 1, v4
	v_cmp_lt_u32_e64 s[6:7], 3, v4
	;; [unrolled: 1-line block ×3, first 2 shown]
	v_and_b32_e32 v4, 16, v19
	v_cmp_eq_u32_e64 s[40:41], 0, v4
	v_and_b32_e32 v4, 0x3c0, v14
	v_min_u32_e32 v4, 0xc0, v4
	v_or_b32_e32 v4, 63, v4
	v_cmp_eq_u32_e64 s[16:17], v14, v4
	v_subrev_co_u32_e64 v4, s[22:23], 1, v19
	v_and_b32_e32 v15, 64, v19
	v_lshlrev_b32_e32 v5, 2, v14
	v_cmp_lt_i32_e64 s[24:25], v4, v15
	s_movk_i32 s42, 0xf00
	v_cndmask_b32_e64 v4, v4, v19, s[24:25]
	v_add_u32_e32 v65, v12, v5
	v_and_or_b32 v5, v5, s42, v20
	v_lshlrev_b32_e32 v55, 2, v4
	v_lshrrev_b32_e32 v4, 4, v14
	v_add_u32_e32 v66, v12, v5
	v_mul_u32_u24_e32 v5, 7, v5
	v_and_b32_e32 v4, 60, v4
	v_and_b32_e32 v15, 3, v19
	v_add_u32_e32 v70, v66, v5
	v_lshrrev_b32_e32 v53, 6, v0
	v_cmp_lt_u32_e64 s[14:15], 31, v19
	v_cmp_gt_u32_e64 s[18:19], 4, v14
	v_cmp_lt_u32_e64 s[20:21], 63, v14
	v_cmp_eq_u32_e64 s[24:25], 0, v14
	v_add_u32_e32 v64, v12, v4
	v_mov_b32_e32 v4, 0
	v_cmp_eq_u32_e64 s[26:27], 0, v15
	v_cmp_lt_u32_e64 s[28:29], 1, v15
	v_add_u32_e32 v67, 64, v66
	v_add_u32_e32 v68, 0x80, v66
	;; [unrolled: 1-line block ×6, first 2 shown]
	v_sub_u32_e32 v82, v11, v10
	s_mov_b64 s[58:59], 0
	s_mov_b32 s63, 0xc0c0004
	s_waitcnt lgkmcnt(0)
	s_barrier
	s_branch .LBB397_17
.LBB397_16:                             ;   in Loop: Header=BB397_17 Depth=1
	s_or_b64 exec, exec, s[44:45]
	s_and_b64 s[42:43], exec, s[60:61]
	s_or_b64 s[58:59], s[42:43], s[58:59]
	s_andn2_b64 exec, exec, s[58:59]
	s_cbranch_execz .LBB397_33
.LBB397_17:                             ; =>This Inner Loop Header: Depth=1
	v_min_u32_e32 v5, s62, v82
	v_mov_b32_e32 v15, v31
	v_lshlrev_b32_e64 v5, v5, -1
	v_mov_b32_e32 v23, v25
	v_mov_b32_e32 v16, v32
	v_not_b32_e32 v32, v5
	v_lshrrev_b32_sdwa v5, v10, v54 dst_sel:DWORD dst_unused:UNUSED_PAD src0_sel:DWORD src1_sel:BYTE_0
	v_mov_b32_e32 v24, v26
	v_and_b32_e32 v25, v5, v32
	v_lshlrev_b32_e32 v5, 2, v25
	v_add_lshl_u32 v5, v5, v53, 2
	v_mov_b32_e32 v21, v27
	v_add_co_u32_e64 v5, s[42:43], v12, v5
	v_mov_b32_e32 v22, v28
	v_add_co_u32_e64 v27, s[42:43], 16, v5
	v_and_b32_e32 v5, 1, v25
	v_add_co_u32_e64 v26, s[42:43], -1, v5
	v_addc_co_u32_e64 v28, s[42:43], 0, -1, s[42:43]
	v_cmp_ne_u32_e64 s[42:43], 0, v5
	v_xor_b32_e32 v5, s43, v28
	v_and_b32_e32 v28, exec_hi, v5
	v_lshlrev_b32_e32 v5, 30, v25
	v_xor_b32_e32 v26, s42, v26
	v_cmp_gt_i64_e64 s[42:43], 0, v[4:5]
	v_not_b32_e32 v5, v5
	v_mov_b32_e32 v19, v29
	v_ashrrev_i32_e32 v5, 31, v5
	v_mov_b32_e32 v20, v30
	v_and_b32_e32 v26, exec_lo, v26
	v_xor_b32_e32 v29, s43, v5
	v_xor_b32_e32 v5, s42, v5
	v_and_b32_e32 v26, v26, v5
	v_lshlrev_b32_e32 v5, 29, v25
	v_cmp_gt_i64_e64 s[42:43], 0, v[4:5]
	v_not_b32_e32 v5, v5
	v_ashrrev_i32_e32 v5, 31, v5
	v_and_b32_e32 v28, v28, v29
	v_xor_b32_e32 v29, s43, v5
	v_xor_b32_e32 v5, s42, v5
	v_and_b32_e32 v26, v26, v5
	v_lshlrev_b32_e32 v5, 28, v25
	v_cmp_gt_i64_e64 s[42:43], 0, v[4:5]
	v_not_b32_e32 v5, v5
	v_ashrrev_i32_e32 v5, 31, v5
	v_and_b32_e32 v28, v28, v29
	v_xor_b32_e32 v29, s43, v5
	v_xor_b32_e32 v5, s42, v5
	v_and_b32_e32 v26, v26, v5
	v_lshlrev_b32_e32 v5, 27, v25
	v_cmp_gt_i64_e64 s[42:43], 0, v[4:5]
	v_not_b32_e32 v5, v5
	v_ashrrev_i32_e32 v5, 31, v5
	v_and_b32_e32 v28, v28, v29
	v_xor_b32_e32 v29, s43, v5
	v_xor_b32_e32 v5, s42, v5
	v_and_b32_e32 v26, v26, v5
	v_lshlrev_b32_e32 v5, 26, v25
	v_cmp_gt_i64_e64 s[42:43], 0, v[4:5]
	v_not_b32_e32 v5, v5
	v_ashrrev_i32_e32 v5, 31, v5
	v_and_b32_e32 v28, v28, v29
	v_xor_b32_e32 v29, s43, v5
	v_xor_b32_e32 v5, s42, v5
	v_and_b32_e32 v26, v26, v5
	v_lshlrev_b32_e32 v5, 25, v25
	v_cmp_gt_i64_e64 s[42:43], 0, v[4:5]
	v_not_b32_e32 v5, v5
	v_ashrrev_i32_e32 v5, 31, v5
	v_and_b32_e32 v28, v28, v29
	v_xor_b32_e32 v29, s43, v5
	v_xor_b32_e32 v5, s42, v5
	v_and_b32_e32 v28, v28, v29
	v_and_b32_e32 v29, v26, v5
	v_lshlrev_b32_e32 v5, 24, v25
	v_cmp_gt_i64_e64 s[42:43], 0, v[4:5]
	v_not_b32_e32 v5, v5
	v_ashrrev_i32_e32 v5, 31, v5
	v_xor_b32_e32 v25, s43, v5
	v_xor_b32_e32 v5, s42, v5
	v_and_b32_e32 v26, v28, v25
	v_and_b32_e32 v25, v29, v5
	v_mbcnt_lo_u32_b32 v5, v25, 0
	v_mbcnt_hi_u32_b32 v28, v26, v5
	v_cmp_ne_u64_e64 s[42:43], 0, v[25:26]
	v_cmp_eq_u32_e64 s[44:45], 0, v28
	s_and_b64 s[44:45], s[42:43], s[44:45]
	ds_write_b32 v1, v4
	ds_write_b32 v9, v4
	;; [unrolled: 1-line block ×4, first 2 shown]
	s_waitcnt lgkmcnt(0)
	s_barrier
	; wave barrier
	s_and_saveexec_b64 s[42:43], s[44:45]
; %bb.18:                               ;   in Loop: Header=BB397_17 Depth=1
	v_bcnt_u32_b32 v5, v25, 0
	v_bcnt_u32_b32 v5, v26, v5
	ds_write_b32 v27, v5
; %bb.19:                               ;   in Loop: Header=BB397_17 Depth=1
	s_or_b64 exec, exec, s[42:43]
	v_lshrrev_b32_sdwa v5, v10, v54 dst_sel:DWORD dst_unused:UNUSED_PAD src0_sel:DWORD src1_sel:BYTE_1
	v_and_b32_e32 v25, v5, v32
	v_lshl_add_u32 v5, v25, 2, v53
	v_lshl_add_u32 v5, v5, 2, v12
	; wave barrier
	v_add_u32_e32 v30, 16, v5
	ds_read_b32 v29, v5 offset:16
	v_and_b32_e32 v5, 1, v25
	v_add_co_u32_e64 v26, s[42:43], -1, v5
	v_addc_co_u32_e64 v31, s[42:43], 0, -1, s[42:43]
	v_cmp_ne_u32_e64 s[42:43], 0, v5
	v_xor_b32_e32 v5, s43, v31
	v_and_b32_e32 v31, exec_hi, v5
	v_lshlrev_b32_e32 v5, 30, v25
	v_xor_b32_e32 v26, s42, v26
	v_cmp_gt_i64_e64 s[42:43], 0, v[4:5]
	v_not_b32_e32 v5, v5
	v_ashrrev_i32_e32 v5, 31, v5
	v_and_b32_e32 v26, exec_lo, v26
	v_xor_b32_e32 v33, s43, v5
	v_xor_b32_e32 v5, s42, v5
	v_and_b32_e32 v26, v26, v5
	v_lshlrev_b32_e32 v5, 29, v25
	v_cmp_gt_i64_e64 s[42:43], 0, v[4:5]
	v_not_b32_e32 v5, v5
	v_ashrrev_i32_e32 v5, 31, v5
	v_and_b32_e32 v31, v31, v33
	v_xor_b32_e32 v33, s43, v5
	v_xor_b32_e32 v5, s42, v5
	v_and_b32_e32 v26, v26, v5
	v_lshlrev_b32_e32 v5, 28, v25
	v_cmp_gt_i64_e64 s[42:43], 0, v[4:5]
	v_not_b32_e32 v5, v5
	v_ashrrev_i32_e32 v5, 31, v5
	v_and_b32_e32 v31, v31, v33
	;; [unrolled: 8-line block ×5, first 2 shown]
	v_xor_b32_e32 v33, s43, v5
	v_xor_b32_e32 v5, s42, v5
	v_and_b32_e32 v31, v31, v33
	v_and_b32_e32 v33, v26, v5
	v_lshlrev_b32_e32 v5, 24, v25
	v_cmp_gt_i64_e64 s[42:43], 0, v[4:5]
	v_not_b32_e32 v5, v5
	v_ashrrev_i32_e32 v5, 31, v5
	v_xor_b32_e32 v25, s43, v5
	v_xor_b32_e32 v5, s42, v5
	v_and_b32_e32 v26, v31, v25
	v_and_b32_e32 v25, v33, v5
	v_mbcnt_lo_u32_b32 v5, v25, 0
	v_mbcnt_hi_u32_b32 v31, v26, v5
	v_cmp_ne_u64_e64 s[42:43], 0, v[25:26]
	v_cmp_eq_u32_e64 s[44:45], 0, v31
	s_and_b64 s[44:45], s[42:43], s[44:45]
	; wave barrier
	s_and_saveexec_b64 s[42:43], s[44:45]
	s_cbranch_execz .LBB397_21
; %bb.20:                               ;   in Loop: Header=BB397_17 Depth=1
	v_bcnt_u32_b32 v5, v25, 0
	v_bcnt_u32_b32 v5, v26, v5
	s_waitcnt lgkmcnt(0)
	v_add_u32_e32 v5, v29, v5
	ds_write_b32 v30, v5
.LBB397_21:                             ;   in Loop: Header=BB397_17 Depth=1
	s_or_b64 exec, exec, s[42:43]
	v_lshrrev_b32_sdwa v5, v10, v54 dst_sel:DWORD dst_unused:UNUSED_PAD src0_sel:DWORD src1_sel:BYTE_2
	v_and_b32_e32 v25, v5, v32
	v_lshl_add_u32 v5, v25, 2, v53
	v_lshl_add_u32 v5, v5, 2, v12
	; wave barrier
	v_add_u32_e32 v34, 16, v5
	ds_read_b32 v33, v5 offset:16
	v_and_b32_e32 v5, 1, v25
	v_add_co_u32_e64 v26, s[42:43], -1, v5
	v_addc_co_u32_e64 v35, s[42:43], 0, -1, s[42:43]
	v_cmp_ne_u32_e64 s[42:43], 0, v5
	v_xor_b32_e32 v5, s43, v35
	v_and_b32_e32 v35, exec_hi, v5
	v_lshlrev_b32_e32 v5, 30, v25
	v_xor_b32_e32 v26, s42, v26
	v_cmp_gt_i64_e64 s[42:43], 0, v[4:5]
	v_not_b32_e32 v5, v5
	v_ashrrev_i32_e32 v5, 31, v5
	v_and_b32_e32 v26, exec_lo, v26
	v_xor_b32_e32 v36, s43, v5
	v_xor_b32_e32 v5, s42, v5
	v_and_b32_e32 v26, v26, v5
	v_lshlrev_b32_e32 v5, 29, v25
	v_cmp_gt_i64_e64 s[42:43], 0, v[4:5]
	v_not_b32_e32 v5, v5
	v_ashrrev_i32_e32 v5, 31, v5
	v_and_b32_e32 v35, v35, v36
	v_xor_b32_e32 v36, s43, v5
	v_xor_b32_e32 v5, s42, v5
	v_and_b32_e32 v26, v26, v5
	v_lshlrev_b32_e32 v5, 28, v25
	v_cmp_gt_i64_e64 s[42:43], 0, v[4:5]
	v_not_b32_e32 v5, v5
	v_ashrrev_i32_e32 v5, 31, v5
	v_and_b32_e32 v35, v35, v36
	;; [unrolled: 8-line block ×5, first 2 shown]
	v_xor_b32_e32 v36, s43, v5
	v_xor_b32_e32 v5, s42, v5
	v_and_b32_e32 v35, v35, v36
	v_and_b32_e32 v36, v26, v5
	v_lshlrev_b32_e32 v5, 24, v25
	v_cmp_gt_i64_e64 s[42:43], 0, v[4:5]
	v_not_b32_e32 v5, v5
	v_ashrrev_i32_e32 v5, 31, v5
	v_xor_b32_e32 v25, s43, v5
	v_xor_b32_e32 v5, s42, v5
	v_and_b32_e32 v26, v35, v25
	v_and_b32_e32 v25, v36, v5
	v_mbcnt_lo_u32_b32 v5, v25, 0
	v_mbcnt_hi_u32_b32 v35, v26, v5
	v_cmp_ne_u64_e64 s[42:43], 0, v[25:26]
	v_cmp_eq_u32_e64 s[44:45], 0, v35
	s_and_b64 s[44:45], s[42:43], s[44:45]
	; wave barrier
	s_and_saveexec_b64 s[42:43], s[44:45]
	s_cbranch_execz .LBB397_23
; %bb.22:                               ;   in Loop: Header=BB397_17 Depth=1
	v_bcnt_u32_b32 v5, v25, 0
	v_bcnt_u32_b32 v5, v26, v5
	s_waitcnt lgkmcnt(0)
	v_add_u32_e32 v5, v33, v5
	ds_write_b32 v34, v5
.LBB397_23:                             ;   in Loop: Header=BB397_17 Depth=1
	s_or_b64 exec, exec, s[42:43]
	v_lshrrev_b32_e32 v83, 24, v54
	v_lshrrev_b32_e32 v5, v10, v83
	v_and_b32_e32 v25, v5, v32
	v_lshl_add_u32 v5, v25, 2, v53
	v_lshl_add_u32 v5, v5, 2, v12
	; wave barrier
	v_add_u32_e32 v36, 16, v5
	ds_read_b32 v32, v5 offset:16
	v_and_b32_e32 v5, 1, v25
	v_add_co_u32_e64 v26, s[42:43], -1, v5
	v_addc_co_u32_e64 v37, s[42:43], 0, -1, s[42:43]
	v_cmp_ne_u32_e64 s[42:43], 0, v5
	v_xor_b32_e32 v5, s43, v37
	v_and_b32_e32 v37, exec_hi, v5
	v_lshlrev_b32_e32 v5, 30, v25
	v_xor_b32_e32 v26, s42, v26
	v_cmp_gt_i64_e64 s[42:43], 0, v[4:5]
	v_not_b32_e32 v5, v5
	v_ashrrev_i32_e32 v5, 31, v5
	v_and_b32_e32 v26, exec_lo, v26
	v_xor_b32_e32 v38, s43, v5
	v_xor_b32_e32 v5, s42, v5
	v_and_b32_e32 v26, v26, v5
	v_lshlrev_b32_e32 v5, 29, v25
	v_cmp_gt_i64_e64 s[42:43], 0, v[4:5]
	v_not_b32_e32 v5, v5
	v_ashrrev_i32_e32 v5, 31, v5
	v_and_b32_e32 v37, v37, v38
	v_xor_b32_e32 v38, s43, v5
	v_xor_b32_e32 v5, s42, v5
	v_and_b32_e32 v26, v26, v5
	v_lshlrev_b32_e32 v5, 28, v25
	v_cmp_gt_i64_e64 s[42:43], 0, v[4:5]
	v_not_b32_e32 v5, v5
	v_ashrrev_i32_e32 v5, 31, v5
	v_and_b32_e32 v37, v37, v38
	;; [unrolled: 8-line block ×5, first 2 shown]
	v_xor_b32_e32 v38, s43, v5
	v_xor_b32_e32 v5, s42, v5
	v_and_b32_e32 v37, v37, v38
	v_and_b32_e32 v38, v26, v5
	v_lshlrev_b32_e32 v5, 24, v25
	v_cmp_gt_i64_e64 s[42:43], 0, v[4:5]
	v_not_b32_e32 v5, v5
	v_ashrrev_i32_e32 v5, 31, v5
	v_xor_b32_e32 v25, s43, v5
	v_xor_b32_e32 v5, s42, v5
	v_and_b32_e32 v26, v37, v25
	v_and_b32_e32 v25, v38, v5
	v_mbcnt_lo_u32_b32 v5, v25, 0
	v_mbcnt_hi_u32_b32 v37, v26, v5
	v_cmp_ne_u64_e64 s[42:43], 0, v[25:26]
	v_cmp_eq_u32_e64 s[44:45], 0, v37
	s_and_b64 s[44:45], s[42:43], s[44:45]
	; wave barrier
	s_and_saveexec_b64 s[42:43], s[44:45]
	s_cbranch_execz .LBB397_25
; %bb.24:                               ;   in Loop: Header=BB397_17 Depth=1
	v_bcnt_u32_b32 v5, v25, 0
	v_bcnt_u32_b32 v5, v26, v5
	s_waitcnt lgkmcnt(0)
	v_add_u32_e32 v5, v32, v5
	ds_write_b32 v36, v5
.LBB397_25:                             ;   in Loop: Header=BB397_17 Depth=1
	s_or_b64 exec, exec, s[42:43]
	; wave barrier
	s_waitcnt lgkmcnt(0)
	s_barrier
	ds_read_b32 v38, v1
	ds_read_b32 v26, v9
	;; [unrolled: 1-line block ×4, first 2 shown]
	s_waitcnt lgkmcnt(2)
	v_add_u32_e32 v39, v26, v38
	s_waitcnt lgkmcnt(0)
	v_add3_u32 v5, v39, v25, v5
	s_nop 1
	v_mov_b32_dpp v39, v5 row_shr:1 row_mask:0xf bank_mask:0xf
	v_cndmask_b32_e64 v39, v39, 0, vcc
	v_add_u32_e32 v5, v39, v5
	s_nop 1
	v_mov_b32_dpp v39, v5 row_shr:2 row_mask:0xf bank_mask:0xf
	v_cndmask_b32_e64 v39, 0, v39, s[4:5]
	v_add_u32_e32 v5, v5, v39
	s_nop 1
	v_mov_b32_dpp v39, v5 row_shr:4 row_mask:0xf bank_mask:0xf
	v_cndmask_b32_e64 v39, 0, v39, s[6:7]
	;; [unrolled: 4-line block ×3, first 2 shown]
	v_add_u32_e32 v5, v5, v39
	s_nop 1
	v_mov_b32_dpp v39, v5 row_bcast:15 row_mask:0xf bank_mask:0xf
	v_cndmask_b32_e64 v39, v39, 0, s[40:41]
	v_add_u32_e32 v5, v5, v39
	s_nop 1
	v_mov_b32_dpp v39, v5 row_bcast:31 row_mask:0xf bank_mask:0xf
	v_cndmask_b32_e64 v39, 0, v39, s[14:15]
	v_add_u32_e32 v5, v5, v39
	s_and_saveexec_b64 s[42:43], s[16:17]
; %bb.26:                               ;   in Loop: Header=BB397_17 Depth=1
	ds_write_b32 v64, v5
; %bb.27:                               ;   in Loop: Header=BB397_17 Depth=1
	s_or_b64 exec, exec, s[42:43]
	s_waitcnt lgkmcnt(0)
	s_barrier
	s_and_saveexec_b64 s[42:43], s[18:19]
	s_cbranch_execz .LBB397_29
; %bb.28:                               ;   in Loop: Header=BB397_17 Depth=1
	ds_read_b32 v39, v65
	s_waitcnt lgkmcnt(0)
	s_nop 0
	v_mov_b32_dpp v48, v39 row_shr:1 row_mask:0xf bank_mask:0xf
	v_cndmask_b32_e64 v48, v48, 0, s[26:27]
	v_add_u32_e32 v39, v48, v39
	s_nop 1
	v_mov_b32_dpp v48, v39 row_shr:2 row_mask:0xf bank_mask:0xf
	v_cndmask_b32_e64 v48, 0, v48, s[28:29]
	v_add_u32_e32 v39, v39, v48
	ds_write_b32 v65, v39
.LBB397_29:                             ;   in Loop: Header=BB397_17 Depth=1
	s_or_b64 exec, exec, s[42:43]
	v_mov_b32_e32 v39, 0
	s_waitcnt lgkmcnt(0)
	s_barrier
	s_and_saveexec_b64 s[42:43], s[20:21]
; %bb.30:                               ;   in Loop: Header=BB397_17 Depth=1
	v_add_u32_e32 v39, -4, v64
	ds_read_b32 v39, v39
; %bb.31:                               ;   in Loop: Header=BB397_17 Depth=1
	s_or_b64 exec, exec, s[42:43]
	s_waitcnt lgkmcnt(0)
	v_add_u32_e32 v5, v39, v5
	ds_bpermute_b32 v48, v55, v5
	v_add_u32_e32 v10, 8, v10
	v_mov_b32_e32 v5, v54
	v_lshrrev_b32_e32 v84, 8, v54
	v_lshrrev_b32_e32 v96, 16, v54
	s_waitcnt lgkmcnt(0)
	v_cndmask_b32_e64 v39, v48, v39, s[22:23]
	v_cndmask_b32_e64 v39, v39, 0, s[24:25]
	v_add_u32_e32 v38, v39, v38
	v_add_u32_e32 v26, v38, v26
	;; [unrolled: 1-line block ×3, first 2 shown]
	ds_write_b32 v1, v39
	ds_write_b32 v9, v38
	;; [unrolled: 1-line block ×4, first 2 shown]
	s_waitcnt lgkmcnt(0)
	s_barrier
	ds_read_b32 v25, v27
	ds_read_b32 v26, v30
	;; [unrolled: 1-line block ×4, first 2 shown]
	v_cmp_lt_u32_e64 s[42:43], v10, v11
	s_waitcnt lgkmcnt(3)
	v_add_u32_e32 v25, v25, v28
	v_add_co_u32_e64 v48, s[44:45], v12, v25
	s_waitcnt lgkmcnt(2)
	v_add3_u32 v87, v31, v29, v26
	v_addc_co_u32_e64 v49, s[44:45], 0, v13, s[44:45]
	s_waitcnt lgkmcnt(1)
	v_add3_u32 v86, v35, v33, v27
	v_add_co_u32_e64 v33, s[44:45], v12, v87
	v_addc_co_u32_e64 v34, s[44:45], 0, v13, s[44:45]
	v_add_co_u32_e64 v35, s[44:45], v12, v86
	s_waitcnt lgkmcnt(0)
	v_add3_u32 v85, v37, v32, v30
	v_addc_co_u32_e64 v36, s[44:45], 0, v13, s[44:45]
	v_mad_u64_u32 v[37:38], s[44:45], v25, 7, v[48:49]
	v_add_co_u32_e64 v38, s[44:45], v12, v85
	v_addc_co_u32_e64 v39, s[44:45], 0, v13, s[44:45]
	s_mov_b64 s[60:61], -1
                                        ; implicit-def: $vgpr25_vgpr26
                                        ; implicit-def: $vgpr27_vgpr28
                                        ; implicit-def: $vgpr29_vgpr30
                                        ; implicit-def: $vgpr31_vgpr32
	s_and_saveexec_b64 s[44:45], s[42:43]
	s_cbranch_execz .LBB397_16
; %bb.32:                               ;   in Loop: Header=BB397_17 Depth=1
	s_barrier
	ds_write_b8 v48, v54
	ds_write_b8 v33, v84
	;; [unrolled: 1-line block ×4, first 2 shown]
	s_waitcnt lgkmcnt(0)
	s_barrier
	ds_read_u8 v25, v67
	ds_read_u8 v26, v66
	;; [unrolled: 1-line block ×4, first 2 shown]
	s_waitcnt lgkmcnt(0)
	s_barrier
	v_perm_b32 v25, v26, v25, s63
	v_perm_b32 v26, v28, v27, s63
	v_lshl_or_b32 v54, v26, 16, v25
	v_mad_u64_u32 v[25:26], s[42:43], v87, 7, v[33:34]
	v_mad_u64_u32 v[26:27], s[42:43], v86, 7, v[35:36]
	v_mad_u64_u32 v[27:28], s[42:43], v85, 7, v[38:39]
	ds_write_b64 v37, v[23:24]
	ds_write_b64 v25, v[21:22]
	;; [unrolled: 1-line block ×4, first 2 shown]
	s_waitcnt lgkmcnt(0)
	s_barrier
	ds_read_b64 v[25:26], v70
	ds_read_b64 v[27:28], v71
	;; [unrolled: 1-line block ×4, first 2 shown]
	v_add_u32_e32 v82, -8, v82
	s_xor_b64 s[60:61], exec, -1
	s_waitcnt lgkmcnt(0)
	s_barrier
	s_branch .LBB397_16
.LBB397_33:
	s_or_b64 exec, exec, s[58:59]
	v_mad_u64_u32 v[9:10], s[4:5], v87, 7, v[33:34]
	v_mad_u64_u32 v[10:11], s[4:5], v86, 7, v[35:36]
	v_add_u32_e32 v1, v12, v14
	v_mad_u64_u32 v[11:12], s[4:5], v85, 7, v[38:39]
	s_barrier
	ds_write_b8 v48, v5
	ds_write_b8 v33, v84
	;; [unrolled: 1-line block ×4, first 2 shown]
	s_waitcnt lgkmcnt(0)
	s_barrier
	ds_read_u8 v26, v1
	ds_read_u8 v25, v1 offset:256
	ds_read_u8 v5, v1 offset:512
	;; [unrolled: 1-line block ×3, first 2 shown]
	s_waitcnt lgkmcnt(0)
	s_barrier
	ds_write_b64 v37, v[23:24]
	ds_write_b64 v9, v[21:22]
	;; [unrolled: 1-line block ×4, first 2 shown]
	v_mul_u32_u24_e32 v9, 7, v14
	v_add_u32_e32 v1, v1, v9
	s_waitcnt lgkmcnt(0)
	s_barrier
	ds_read2st64_b64 v[13:16], v1 offset1:4
	ds_read2st64_b64 v[9:12], v1 offset0:8 offset1:12
	v_add_co_u32_e32 v2, vcc, v2, v8
	v_addc_co_u32_e32 v3, vcc, 0, v3, vcc
	v_add_co_u32_e32 v2, vcc, v2, v0
	v_addc_co_u32_e32 v3, vcc, 0, v3, vcc
	v_mov_b32_e32 v1, 0
	v_cmp_lt_u32_e32 vcc, v0, v50
	s_waitcnt lgkmcnt(0)
	s_barrier
	s_and_saveexec_b64 s[4:5], vcc
	s_cbranch_execz .LBB397_35
; %bb.34:
	v_xor_b32_e32 v8, 0x80, v26
	flat_store_byte v[2:3], v8
.LBB397_35:
	s_or_b64 exec, exec, s[4:5]
	v_add_u32_e32 v8, 0x100, v0
	v_cmp_lt_u32_e64 s[4:5], v8, v50
	s_and_saveexec_b64 s[6:7], s[4:5]
	s_cbranch_execz .LBB397_37
; %bb.36:
	v_xor_b32_e32 v8, 0x80, v25
	flat_store_byte v[2:3], v8 offset:256
.LBB397_37:
	s_or_b64 exec, exec, s[6:7]
	v_add_u32_e32 v8, 0x200, v0
	v_cmp_lt_u32_e64 s[10:11], v8, v50
	s_and_saveexec_b64 s[6:7], s[10:11]
	s_cbranch_execz .LBB397_39
; %bb.38:
	v_xor_b32_e32 v5, 0x80, v5
	flat_store_byte v[2:3], v5 offset:512
.LBB397_39:
	;; [unrolled: 9-line block ×3, first 2 shown]
	s_or_b64 exec, exec, s[14:15]
	v_add_co_u32_e64 v2, s[14:15], v6, v17
	v_lshlrev_b64 v[0:1], 3, v[0:1]
	v_addc_co_u32_e64 v3, s[14:15], v7, v18, s[14:15]
	v_add_co_u32_e64 v0, s[14:15], v2, v0
	v_addc_co_u32_e64 v1, s[14:15], v3, v1, s[14:15]
	s_and_saveexec_b64 s[14:15], vcc
	s_cbranch_execnz .LBB397_74
; %bb.42:
	s_or_b64 exec, exec, s[14:15]
	s_and_saveexec_b64 s[14:15], s[4:5]
	s_cbranch_execnz .LBB397_75
.LBB397_43:
	s_or_b64 exec, exec, s[14:15]
	s_and_saveexec_b64 s[4:5], s[10:11]
	s_cbranch_execnz .LBB397_76
.LBB397_44:
	s_or_b64 exec, exec, s[4:5]
	s_and_saveexec_b64 s[4:5], s[6:7]
	s_cbranch_execz .LBB397_46
.LBB397_45:
	v_add_co_u32_e32 v0, vcc, 0x1000, v0
	v_addc_co_u32_e32 v1, vcc, 0, v1, vcc
	flat_store_dwordx2 v[0:1], v[11:12] offset:2048
.LBB397_46:
	s_or_b64 exec, exec, s[4:5]
                                        ; implicit-def: $vgpr50
                                        ; implicit-def: $vgpr0
                                        ; implicit-def: $vgpr1
                                        ; implicit-def: $vgpr2
                                        ; implicit-def: $vgpr3
                                        ; implicit-def: $vgpr4
                                        ; implicit-def: $vgpr5
                                        ; implicit-def: $vgpr6
                                        ; implicit-def: $vgpr7
                                        ; implicit-def: $vgpr8
                                        ; implicit-def: $vgpr10
                                        ; implicit-def: $vgpr11
                                        ; implicit-def: $vgpr12
                                        ; implicit-def: $vgpr13
                                        ; implicit-def: $vgpr31
                                        ; implicit-def: $vgpr15
                                        ; implicit-def: $vgpr18
                                        ; implicit-def: $vgpr17
.LBB397_47:
	s_andn2_saveexec_b64 s[4:5], s[56:57]
	s_cbranch_execz .LBB397_106
; %bb.48:
	s_load_dwordx2 s[4:5], s[8:9], 0x0
	v_mov_b32_e32 v9, 0
	v_and_b32_e32 v16, 0x3ff, v31
	s_waitcnt lgkmcnt(0)
	s_cmp_lt_u32 s13, s5
	s_cselect_b32 s5, 14, 20
	s_add_u32 s6, s8, s5
	s_addc_u32 s7, s9, 0
	s_cmp_lt_u32 s12, s4
	s_cselect_b32 s4, 12, 18
	s_add_u32 s4, s8, s4
	global_load_ushort v14, v9, s[6:7]
	s_addc_u32 s5, s9, 0
	global_load_ushort v19, v9, s[4:5]
	s_waitcnt vmcnt(0)
	v_mad_u32_u24 v14, v18, v14, v15
	v_mad_u64_u32 v[14:15], s[4:5], v14, v19, v[16:17]
	s_movk_i32 s4, 0x100
	v_cmp_lt_u32_e32 vcc, s4, v50
	s_and_saveexec_b64 s[4:5], vcc
	s_xor_b64 s[42:43], exec, s[4:5]
	s_cbranch_execz .LBB397_86
; %bb.49:
	v_add_co_u32_e32 v0, vcc, v0, v8
	v_mbcnt_hi_u32_b32 v20, -1, v17
	v_addc_co_u32_e32 v1, vcc, 0, v1, vcc
	v_and_b32_e32 v19, 63, v20
	v_lshlrev_b32_e32 v15, 1, v14
	v_add_co_u32_e32 v0, vcc, v0, v19
	v_and_b32_e32 v17, 0xffffff80, v15
	v_addc_co_u32_e32 v1, vcc, 0, v1, vcc
	v_add_co_u32_e32 v0, vcc, v0, v17
	v_addc_co_u32_e32 v1, vcc, 0, v1, vcc
	v_or_b32_e32 v21, v19, v17
	v_mov_b32_e32 v18, v9
	v_cmp_lt_u32_e32 vcc, v21, v50
	v_mov_b32_e32 v15, 0x7f
	v_mov_b32_e32 v25, 0x7f
	s_and_saveexec_b64 s[4:5], vcc
	s_cbranch_execz .LBB397_51
; %bb.50:
	flat_load_ubyte v25, v[0:1]
.LBB397_51:
	s_or_b64 exec, exec, s[4:5]
	v_or_b32_e32 v21, 64, v21
	v_cmp_lt_u32_e64 s[4:5], v21, v50
	s_and_saveexec_b64 s[6:7], s[4:5]
	s_cbranch_execz .LBB397_53
; %bb.52:
	flat_load_ubyte v15, v[0:1] offset:64
.LBB397_53:
	s_or_b64 exec, exec, s[6:7]
	v_lshlrev_b64 v[0:1], 3, v[8:9]
	v_lshlrev_b32_e32 v9, 3, v19
	v_add_co_u32_e64 v4, s[6:7], v4, v0
	v_addc_co_u32_e64 v5, s[6:7], v5, v1, s[6:7]
	v_add_co_u32_e64 v9, s[6:7], v4, v9
	v_addc_co_u32_e64 v26, s[6:7], 0, v5, s[6:7]
	v_lshlrev_b64 v[4:5], 3, v[17:18]
	v_mov_b32_e32 v23, 0
	v_mov_b32_e32 v21, 0
	v_add_co_u32_e64 v4, s[6:7], v9, v4
	v_mov_b32_e32 v24, 0
	v_mov_b32_e32 v22, 0
	v_addc_co_u32_e64 v5, s[6:7], v26, v5, s[6:7]
	s_and_saveexec_b64 s[6:7], vcc
	s_cbranch_execz .LBB397_55
; %bb.54:
	flat_load_dwordx2 v[21:22], v[4:5]
.LBB397_55:
	s_or_b64 exec, exec, s[6:7]
	s_and_saveexec_b64 s[6:7], s[4:5]
	s_cbranch_execz .LBB397_57
; %bb.56:
	flat_load_dwordx2 v[23:24], v[4:5] offset:512
.LBB397_57:
	s_or_b64 exec, exec, s[6:7]
	s_movk_i32 s4, 0x80
	s_waitcnt vmcnt(0) lgkmcnt(0)
	v_xor_b32_e32 v4, 0x80, v25
	v_xor_b32_sdwa v5, v15, s4 dst_sel:BYTE_1 dst_unused:UNUSED_PAD src0_sel:DWORD src1_sel:DWORD
	v_or_b32_sdwa v4, v4, v5 dst_sel:DWORD dst_unused:UNUSED_PAD src0_sel:BYTE_0 src1_sel:DWORD
	v_and_b32_e32 v34, 0xffff, v4
	v_lshl_add_u32 v4, v16, 4, v12
	s_getpc_b64 s[4:5]
	s_add_u32 s4, s4, _ZN7rocprim17ROCPRIM_400000_NS16block_radix_sortIaLj256ELj2ElLj1ELj1ELj8ELNS0_26block_radix_rank_algorithmE2ELNS0_18block_padding_hintE2ELNS0_4arch9wavefront6targetE1EE19radix_bits_per_passE@rel32@lo+4
	s_addc_u32 s5, s5, _ZN7rocprim17ROCPRIM_400000_NS16block_radix_sortIaLj256ELj2ElLj1ELj1ELj8ELNS0_26block_radix_rank_algorithmE2ELNS0_18block_padding_hintE2ELNS0_4arch9wavefront6targetE1EE19radix_bits_per_passE@rel32@hi+12
	v_add_u32_e32 v9, 16, v4
	v_add_u32_e32 v15, 20, v4
	;; [unrolled: 1-line block ×4, first 2 shown]
	v_and_b32_e32 v4, 15, v20
	s_load_dword s58, s[4:5], 0x0
	v_cmp_eq_u32_e32 vcc, 0, v4
	v_cmp_lt_u32_e64 s[4:5], 1, v4
	v_cmp_lt_u32_e64 s[6:7], 3, v4
	;; [unrolled: 1-line block ×3, first 2 shown]
	v_and_b32_e32 v4, 16, v20
	v_cmp_eq_u32_e64 s[10:11], 0, v4
	v_and_b32_e32 v4, 0x3c0, v16
	v_min_u32_e32 v4, 0xc0, v4
	v_or_b32_e32 v4, 63, v4
	v_cmp_eq_u32_e64 s[14:15], v16, v4
	v_subrev_co_u32_e64 v4, s[20:21], 1, v20
	v_and_b32_e32 v5, 64, v20
	v_cmp_lt_i32_e64 s[22:23], v4, v5
	v_and_b32_e32 v5, 3, v20
	v_cndmask_b32_e64 v4, v4, v20, s[22:23]
	v_cmp_eq_u32_e64 s[24:25], 0, v5
	v_cmp_lt_u32_e64 s[26:27], 1, v5
	v_lshlrev_b32_e32 v5, 1, v16
	s_movk_i32 s28, 0x780
	v_lshlrev_b32_e32 v36, 2, v4
	v_lshrrev_b32_e32 v4, 4, v16
	v_and_or_b32 v5, v5, s28, v19
	v_and_b32_e32 v4, 60, v4
	v_add_u32_e32 v48, v12, v5
	v_mul_u32_u24_e32 v5, 7, v5
	v_add_u32_e32 v37, v12, v4
	v_add_u32_e32 v51, v48, v5
	v_lshrrev_b32_e32 v35, 6, v14
	v_cmp_lt_u32_e64 s[12:13], 31, v20
	v_cmp_gt_u32_e64 s[16:17], 4, v16
	v_cmp_lt_u32_e64 s[18:19], 63, v16
	v_cmp_eq_u32_e64 s[22:23], 0, v16
	v_mov_b32_e32 v4, 0
	v_lshl_add_u32 v38, v16, 2, v12
	v_add_u32_e32 v39, -4, v37
	v_add_u32_e32 v49, 64, v48
	v_add_u32_e32 v52, 0x200, v51
	v_sub_u32_e32 v53, v11, v10
	s_mov_b64 s[44:45], 0
	s_mov_b32 s59, 0xc0c0004
	s_waitcnt lgkmcnt(0)
	s_barrier
	s_branch .LBB397_59
.LBB397_58:                             ;   in Loop: Header=BB397_59 Depth=1
	s_or_b64 exec, exec, s[40:41]
	s_and_b64 s[28:29], exec, s[56:57]
	s_or_b64 s[44:45], s[28:29], s[44:45]
	s_andn2_b64 exec, exec, s[44:45]
	s_cbranch_execz .LBB397_77
.LBB397_59:                             ; =>This Inner Loop Header: Depth=1
	v_min_u32_e32 v5, s58, v53
	v_lshlrev_b32_e64 v5, v5, -1
	v_mov_b32_e32 v19, v21
	v_not_b32_e32 v25, v5
	v_lshrrev_b32_sdwa v5, v10, v34 dst_sel:DWORD dst_unused:UNUSED_PAD src0_sel:DWORD src1_sel:BYTE_0
	v_mov_b32_e32 v20, v22
	v_and_b32_e32 v21, v5, v25
	v_lshlrev_b32_e32 v5, 2, v21
	v_add_lshl_u32 v5, v5, v35, 2
	v_mov_b32_e32 v17, v23
	v_add_co_u32_e64 v5, s[28:29], v12, v5
	v_mov_b32_e32 v18, v24
	v_add_co_u32_e64 v23, s[28:29], 16, v5
	v_and_b32_e32 v5, 1, v21
	v_add_co_u32_e64 v22, s[28:29], -1, v5
	v_addc_co_u32_e64 v24, s[28:29], 0, -1, s[28:29]
	v_cmp_ne_u32_e64 s[28:29], 0, v5
	v_xor_b32_e32 v5, s29, v24
	v_and_b32_e32 v24, exec_hi, v5
	v_lshlrev_b32_e32 v5, 30, v21
	v_xor_b32_e32 v22, s28, v22
	v_cmp_gt_i64_e64 s[28:29], 0, v[4:5]
	v_not_b32_e32 v5, v5
	v_ashrrev_i32_e32 v5, 31, v5
	v_and_b32_e32 v22, exec_lo, v22
	v_xor_b32_e32 v26, s29, v5
	v_xor_b32_e32 v5, s28, v5
	v_and_b32_e32 v22, v22, v5
	v_lshlrev_b32_e32 v5, 29, v21
	v_cmp_gt_i64_e64 s[28:29], 0, v[4:5]
	v_not_b32_e32 v5, v5
	v_ashrrev_i32_e32 v5, 31, v5
	v_and_b32_e32 v24, v24, v26
	v_xor_b32_e32 v26, s29, v5
	v_xor_b32_e32 v5, s28, v5
	v_and_b32_e32 v22, v22, v5
	v_lshlrev_b32_e32 v5, 28, v21
	v_cmp_gt_i64_e64 s[28:29], 0, v[4:5]
	v_not_b32_e32 v5, v5
	v_ashrrev_i32_e32 v5, 31, v5
	v_and_b32_e32 v24, v24, v26
	;; [unrolled: 8-line block ×5, first 2 shown]
	v_xor_b32_e32 v26, s29, v5
	v_xor_b32_e32 v5, s28, v5
	v_and_b32_e32 v24, v24, v26
	v_and_b32_e32 v26, v22, v5
	v_lshlrev_b32_e32 v5, 24, v21
	v_cmp_gt_i64_e64 s[28:29], 0, v[4:5]
	v_not_b32_e32 v5, v5
	v_ashrrev_i32_e32 v5, 31, v5
	v_xor_b32_e32 v21, s29, v5
	v_xor_b32_e32 v5, s28, v5
	v_and_b32_e32 v22, v24, v21
	v_and_b32_e32 v21, v26, v5
	v_mbcnt_lo_u32_b32 v5, v21, 0
	v_mbcnt_hi_u32_b32 v24, v22, v5
	v_cmp_ne_u64_e64 s[28:29], 0, v[21:22]
	v_cmp_eq_u32_e64 s[40:41], 0, v24
	s_and_b64 s[40:41], s[28:29], s[40:41]
	ds_write_b32 v9, v4
	ds_write_b32 v15, v4
	;; [unrolled: 1-line block ×4, first 2 shown]
	s_waitcnt lgkmcnt(0)
	s_barrier
	; wave barrier
	s_and_saveexec_b64 s[28:29], s[40:41]
; %bb.60:                               ;   in Loop: Header=BB397_59 Depth=1
	v_bcnt_u32_b32 v5, v21, 0
	v_bcnt_u32_b32 v5, v22, v5
	ds_write_b32 v23, v5
; %bb.61:                               ;   in Loop: Header=BB397_59 Depth=1
	s_or_b64 exec, exec, s[28:29]
	v_lshrrev_b16_e32 v54, 8, v34
	v_lshrrev_b32_e32 v5, v10, v54
	v_and_b32_e32 v21, v5, v25
	v_lshl_add_u32 v5, v21, 2, v35
	v_lshl_add_u32 v5, v5, 2, v12
	; wave barrier
	v_add_u32_e32 v26, 16, v5
	ds_read_b32 v25, v5 offset:16
	v_and_b32_e32 v5, 1, v21
	v_add_co_u32_e64 v22, s[28:29], -1, v5
	v_addc_co_u32_e64 v27, s[28:29], 0, -1, s[28:29]
	v_cmp_ne_u32_e64 s[28:29], 0, v5
	v_xor_b32_e32 v5, s29, v27
	v_and_b32_e32 v27, exec_hi, v5
	v_lshlrev_b32_e32 v5, 30, v21
	v_xor_b32_e32 v22, s28, v22
	v_cmp_gt_i64_e64 s[28:29], 0, v[4:5]
	v_not_b32_e32 v5, v5
	v_ashrrev_i32_e32 v5, 31, v5
	v_and_b32_e32 v22, exec_lo, v22
	v_xor_b32_e32 v28, s29, v5
	v_xor_b32_e32 v5, s28, v5
	v_and_b32_e32 v22, v22, v5
	v_lshlrev_b32_e32 v5, 29, v21
	v_cmp_gt_i64_e64 s[28:29], 0, v[4:5]
	v_not_b32_e32 v5, v5
	v_ashrrev_i32_e32 v5, 31, v5
	v_and_b32_e32 v27, v27, v28
	v_xor_b32_e32 v28, s29, v5
	v_xor_b32_e32 v5, s28, v5
	v_and_b32_e32 v22, v22, v5
	v_lshlrev_b32_e32 v5, 28, v21
	v_cmp_gt_i64_e64 s[28:29], 0, v[4:5]
	v_not_b32_e32 v5, v5
	v_ashrrev_i32_e32 v5, 31, v5
	v_and_b32_e32 v27, v27, v28
	;; [unrolled: 8-line block ×5, first 2 shown]
	v_xor_b32_e32 v28, s29, v5
	v_xor_b32_e32 v5, s28, v5
	v_and_b32_e32 v27, v27, v28
	v_and_b32_e32 v28, v22, v5
	v_lshlrev_b32_e32 v5, 24, v21
	v_cmp_gt_i64_e64 s[28:29], 0, v[4:5]
	v_not_b32_e32 v5, v5
	v_ashrrev_i32_e32 v5, 31, v5
	v_xor_b32_e32 v21, s29, v5
	v_xor_b32_e32 v5, s28, v5
	v_and_b32_e32 v22, v27, v21
	v_and_b32_e32 v21, v28, v5
	v_mbcnt_lo_u32_b32 v5, v21, 0
	v_mbcnt_hi_u32_b32 v5, v22, v5
	v_cmp_ne_u64_e64 s[28:29], 0, v[21:22]
	v_cmp_eq_u32_e64 s[40:41], 0, v5
	s_and_b64 s[40:41], s[28:29], s[40:41]
	; wave barrier
	s_and_saveexec_b64 s[28:29], s[40:41]
	s_cbranch_execz .LBB397_63
; %bb.62:                               ;   in Loop: Header=BB397_59 Depth=1
	v_bcnt_u32_b32 v21, v21, 0
	v_bcnt_u32_b32 v21, v22, v21
	s_waitcnt lgkmcnt(0)
	v_add_u32_e32 v21, v25, v21
	ds_write_b32 v26, v21
.LBB397_63:                             ;   in Loop: Header=BB397_59 Depth=1
	s_or_b64 exec, exec, s[28:29]
	; wave barrier
	s_waitcnt lgkmcnt(0)
	s_barrier
	ds_read_b32 v27, v9
	ds_read_b32 v22, v15
	;; [unrolled: 1-line block ×4, first 2 shown]
	s_waitcnt lgkmcnt(2)
	v_add_u32_e32 v29, v22, v27
	s_waitcnt lgkmcnt(0)
	v_add3_u32 v28, v29, v21, v28
	s_nop 1
	v_mov_b32_dpp v29, v28 row_shr:1 row_mask:0xf bank_mask:0xf
	v_cndmask_b32_e64 v29, v29, 0, vcc
	v_add_u32_e32 v28, v29, v28
	s_nop 1
	v_mov_b32_dpp v29, v28 row_shr:2 row_mask:0xf bank_mask:0xf
	v_cndmask_b32_e64 v29, 0, v29, s[4:5]
	v_add_u32_e32 v28, v28, v29
	s_nop 1
	v_mov_b32_dpp v29, v28 row_shr:4 row_mask:0xf bank_mask:0xf
	v_cndmask_b32_e64 v29, 0, v29, s[6:7]
	;; [unrolled: 4-line block ×3, first 2 shown]
	v_add_u32_e32 v28, v28, v29
	s_nop 1
	v_mov_b32_dpp v29, v28 row_bcast:15 row_mask:0xf bank_mask:0xf
	v_cndmask_b32_e64 v29, v29, 0, s[10:11]
	v_add_u32_e32 v28, v28, v29
	s_nop 1
	v_mov_b32_dpp v29, v28 row_bcast:31 row_mask:0xf bank_mask:0xf
	v_cndmask_b32_e64 v29, 0, v29, s[12:13]
	v_add_u32_e32 v28, v28, v29
	s_and_saveexec_b64 s[28:29], s[14:15]
; %bb.64:                               ;   in Loop: Header=BB397_59 Depth=1
	ds_write_b32 v37, v28
; %bb.65:                               ;   in Loop: Header=BB397_59 Depth=1
	s_or_b64 exec, exec, s[28:29]
	s_waitcnt lgkmcnt(0)
	s_barrier
	s_and_saveexec_b64 s[28:29], s[16:17]
	s_cbranch_execz .LBB397_67
; %bb.66:                               ;   in Loop: Header=BB397_59 Depth=1
	ds_read_b32 v29, v38
	s_waitcnt lgkmcnt(0)
	s_nop 0
	v_mov_b32_dpp v30, v29 row_shr:1 row_mask:0xf bank_mask:0xf
	v_cndmask_b32_e64 v30, v30, 0, s[24:25]
	v_add_u32_e32 v29, v30, v29
	s_nop 1
	v_mov_b32_dpp v30, v29 row_shr:2 row_mask:0xf bank_mask:0xf
	v_cndmask_b32_e64 v30, 0, v30, s[26:27]
	v_add_u32_e32 v29, v29, v30
	ds_write_b32 v38, v29
.LBB397_67:                             ;   in Loop: Header=BB397_59 Depth=1
	s_or_b64 exec, exec, s[28:29]
	v_mov_b32_e32 v29, 0
	s_waitcnt lgkmcnt(0)
	s_barrier
	s_and_saveexec_b64 s[28:29], s[18:19]
; %bb.68:                               ;   in Loop: Header=BB397_59 Depth=1
	ds_read_b32 v29, v39
; %bb.69:                               ;   in Loop: Header=BB397_59 Depth=1
	s_or_b64 exec, exec, s[28:29]
	s_waitcnt lgkmcnt(0)
	v_add_u32_e32 v28, v29, v28
	ds_bpermute_b32 v28, v36, v28
	v_add_u32_e32 v10, 8, v10
	v_mov_b32_e32 v55, v34
	s_mov_b64 s[56:57], -1
	s_waitcnt lgkmcnt(0)
	v_cndmask_b32_e64 v28, v28, v29, s[20:21]
	v_cndmask_b32_e64 v28, v28, 0, s[22:23]
	v_add_u32_e32 v27, v28, v27
	v_add_u32_e32 v22, v27, v22
	;; [unrolled: 1-line block ×3, first 2 shown]
	ds_write_b32 v9, v28
	ds_write_b32 v15, v27
	;; [unrolled: 1-line block ×4, first 2 shown]
	s_waitcnt lgkmcnt(0)
	s_barrier
	ds_read_b32 v21, v23
	ds_read_b32 v22, v26
	s_waitcnt lgkmcnt(0)
	v_add_u32_e32 v21, v21, v24
	v_add_co_u32_e64 v28, s[28:29], v12, v21
	v_add3_u32 v5, v5, v25, v22
	v_addc_co_u32_e64 v29, s[28:29], 0, v13, s[28:29]
	v_add_co_u32_e64 v30, s[28:29], v12, v5
	v_addc_co_u32_e64 v31, s[28:29], 0, v13, s[28:29]
	v_mad_u64_u32 v[25:26], s[28:29], v21, 7, v[28:29]
	v_mad_u64_u32 v[26:27], s[28:29], v5, 7, v[30:31]
	v_cmp_lt_u32_e64 s[28:29], v10, v11
                                        ; implicit-def: $vgpr23_vgpr24
                                        ; implicit-def: $vgpr21_vgpr22
	s_and_saveexec_b64 s[40:41], s[28:29]
	s_cbranch_execz .LBB397_58
; %bb.70:                               ;   in Loop: Header=BB397_59 Depth=1
	s_barrier
	ds_write_b8 v28, v34
	ds_write_b8 v30, v54
	s_waitcnt lgkmcnt(0)
	s_barrier
	ds_read_u8 v5, v49
	ds_read_u8 v21, v48
	s_waitcnt lgkmcnt(0)
	s_barrier
	ds_write_b64 v25, v[19:20]
	ds_write_b64 v26, v[17:18]
	v_perm_b32 v34, v21, v5, s59
	s_waitcnt lgkmcnt(0)
	s_barrier
	ds_read_b64 v[21:22], v51
	ds_read_b64 v[23:24], v52
	v_add_u32_e32 v53, -8, v53
	s_xor_b64 s[56:57], exec, -1
	s_waitcnt lgkmcnt(0)
	s_barrier
	s_branch .LBB397_58
.LBB397_71:
	flat_load_dwordx2 v[25:26], v[4:5]
	s_or_b64 exec, exec, s[14:15]
                                        ; implicit-def: $vgpr27_vgpr28
	s_and_saveexec_b64 s[14:15], s[4:5]
	s_cbranch_execz .LBB397_12
.LBB397_72:
	flat_load_dwordx2 v[27:28], v[4:5] offset:512
	s_or_b64 exec, exec, s[14:15]
                                        ; implicit-def: $vgpr29_vgpr30
	s_and_saveexec_b64 s[4:5], s[6:7]
	s_cbranch_execz .LBB397_13
.LBB397_73:
	flat_load_dwordx2 v[29:30], v[4:5] offset:1024
	s_or_b64 exec, exec, s[4:5]
                                        ; implicit-def: $vgpr31_vgpr32
	s_and_saveexec_b64 s[4:5], s[10:11]
	s_cbranch_execnz .LBB397_14
	s_branch .LBB397_15
.LBB397_74:
	flat_store_dwordx2 v[0:1], v[13:14]
	s_or_b64 exec, exec, s[14:15]
	s_and_saveexec_b64 s[14:15], s[4:5]
	s_cbranch_execz .LBB397_43
.LBB397_75:
	flat_store_dwordx2 v[0:1], v[15:16] offset:2048
	s_or_b64 exec, exec, s[14:15]
	s_and_saveexec_b64 s[4:5], s[10:11]
	s_cbranch_execz .LBB397_44
.LBB397_76:
	v_add_co_u32_e32 v2, vcc, 0x1000, v0
	v_addc_co_u32_e32 v3, vcc, 0, v1, vcc
	flat_store_dwordx2 v[2:3], v[9:10]
	s_or_b64 exec, exec, s[4:5]
	s_and_saveexec_b64 s[4:5], s[6:7]
	s_cbranch_execnz .LBB397_45
	s_branch .LBB397_46
.LBB397_77:
	s_or_b64 exec, exec, s[44:45]
	v_add_u32_e32 v9, v12, v16
	v_mul_u32_u24_e32 v10, 7, v16
	s_barrier
	ds_write_b8 v28, v55
	ds_write_b8 v30, v54
	s_waitcnt lgkmcnt(0)
	s_barrier
	ds_read_u8 v5, v9
	ds_read_u8 v4, v9 offset:256
	v_add_u32_e32 v9, v9, v10
	s_waitcnt lgkmcnt(0)
	s_barrier
	ds_write_b64 v25, v[19:20]
	ds_write_b64 v26, v[17:18]
	s_waitcnt lgkmcnt(0)
	s_barrier
	ds_read2st64_b64 v[9:12], v9 offset1:4
	v_add_co_u32_e32 v2, vcc, v2, v8
	v_addc_co_u32_e32 v3, vcc, 0, v3, vcc
	v_add_co_u32_e32 v2, vcc, v2, v14
	v_addc_co_u32_e32 v3, vcc, 0, v3, vcc
	v_mov_b32_e32 v15, 0
	v_cmp_lt_u32_e32 vcc, v14, v50
	s_waitcnt lgkmcnt(0)
	s_barrier
	s_and_saveexec_b64 s[4:5], vcc
	s_cbranch_execz .LBB397_79
; %bb.78:
	v_xor_b32_e32 v5, 0x80, v5
	flat_store_byte v[2:3], v5
.LBB397_79:
	s_or_b64 exec, exec, s[4:5]
	v_add_u32_e32 v5, 0x100, v14
	v_cmp_lt_u32_e64 s[4:5], v5, v50
	s_and_saveexec_b64 s[6:7], s[4:5]
	s_cbranch_execz .LBB397_81
; %bb.80:
	v_xor_b32_e32 v4, 0x80, v4
	flat_store_byte v[2:3], v4 offset:256
.LBB397_81:
	s_or_b64 exec, exec, s[6:7]
	v_add_co_u32_e64 v2, s[6:7], v6, v0
	v_addc_co_u32_e64 v3, s[6:7], v7, v1, s[6:7]
	v_lshlrev_b64 v[0:1], 3, v[14:15]
	v_add_co_u32_e64 v0, s[6:7], v2, v0
	v_addc_co_u32_e64 v1, s[6:7], v3, v1, s[6:7]
	s_and_saveexec_b64 s[6:7], vcc
	s_cbranch_execz .LBB397_83
; %bb.82:
	flat_store_dwordx2 v[0:1], v[9:10]
.LBB397_83:
	s_or_b64 exec, exec, s[6:7]
	s_and_saveexec_b64 s[6:7], s[4:5]
	s_cbranch_execz .LBB397_85
; %bb.84:
	flat_store_dwordx2 v[0:1], v[11:12] offset:2048
.LBB397_85:
	s_or_b64 exec, exec, s[6:7]
                                        ; implicit-def: $vgpr16
                                        ; implicit-def: $vgpr14_vgpr15
                                        ; implicit-def: $vgpr8_vgpr9
                                        ; implicit-def: $vgpr50
                                        ; implicit-def: $vgpr0
                                        ; implicit-def: $vgpr1
                                        ; implicit-def: $vgpr2
                                        ; implicit-def: $vgpr3
                                        ; implicit-def: $vgpr4
                                        ; implicit-def: $vgpr5
                                        ; implicit-def: $vgpr6
                                        ; implicit-def: $vgpr7
                                        ; implicit-def: $vgpr10
                                        ; implicit-def: $vgpr11
                                        ; implicit-def: $vgpr12
                                        ; implicit-def: $vgpr13
                                        ; implicit-def: $vgpr17
.LBB397_86:
	s_andn2_saveexec_b64 s[4:5], s[42:43]
	s_cbranch_execz .LBB397_106
; %bb.87:
	v_mbcnt_hi_u32_b32 v22, -1, v17
	v_bfi_b32 v15, 63, v22, v14
	v_and_b32_e32 v21, 63, v22
	v_and_b32_e32 v17, 0xffffffc0, v14
	v_cmp_lt_u32_e32 vcc, v15, v50
	v_mov_b32_e32 v34, 0xff
	s_and_saveexec_b64 s[6:7], vcc
	s_cbranch_execz .LBB397_89
; %bb.88:
	v_add_co_u32_e64 v0, s[4:5], v0, v8
	v_addc_co_u32_e64 v1, s[4:5], 0, v1, s[4:5]
	v_add_co_u32_e64 v0, s[4:5], v0, v21
	v_addc_co_u32_e64 v1, s[4:5], 0, v1, s[4:5]
	;; [unrolled: 2-line block ×3, first 2 shown]
	flat_load_ubyte v0, v[0:1]
	s_waitcnt vmcnt(0) lgkmcnt(0)
	v_xor_b32_e32 v34, 0xffffff80, v0
.LBB397_89:
	s_or_b64 exec, exec, s[6:7]
	v_lshlrev_b64 v[0:1], 3, v[8:9]
                                        ; implicit-def: $vgpr19_vgpr20
	s_and_saveexec_b64 s[4:5], vcc
	s_cbranch_execz .LBB397_91
; %bb.90:
	v_add_co_u32_e32 v4, vcc, v4, v0
	v_addc_co_u32_e32 v5, vcc, v5, v1, vcc
	v_lshlrev_b32_e32 v9, 3, v21
	v_mov_b32_e32 v18, 0
	v_add_co_u32_e32 v9, vcc, v4, v9
	v_addc_co_u32_e32 v15, vcc, 0, v5, vcc
	v_lshlrev_b64 v[4:5], 3, v[17:18]
	v_add_co_u32_e32 v4, vcc, v9, v4
	v_addc_co_u32_e32 v5, vcc, v15, v5, vcc
	flat_load_dwordx2 v[19:20], v[4:5]
.LBB397_91:
	s_or_b64 exec, exec, s[4:5]
	v_lshl_add_u32 v4, v16, 4, v12
	s_getpc_b64 s[4:5]
	s_add_u32 s4, s4, _ZN7rocprim17ROCPRIM_400000_NS16block_radix_sortIaLj256ELj1ElLj1ELj1ELj8ELNS0_26block_radix_rank_algorithmE2ELNS0_18block_padding_hintE2ELNS0_4arch9wavefront6targetE1EE19radix_bits_per_passE@rel32@lo+4
	s_addc_u32 s5, s5, _ZN7rocprim17ROCPRIM_400000_NS16block_radix_sortIaLj256ELj1ElLj1ELj1ELj8ELNS0_26block_radix_rank_algorithmE2ELNS0_18block_padding_hintE2ELNS0_4arch9wavefront6targetE1EE19radix_bits_per_passE@rel32@hi+12
	v_add_u32_e32 v9, 16, v4
	v_add_u32_e32 v15, 20, v4
	;; [unrolled: 1-line block ×4, first 2 shown]
	v_and_b32_e32 v4, 15, v22
	s_load_dword s56, s[4:5], 0x0
	v_cmp_eq_u32_e32 vcc, 0, v4
	v_cmp_lt_u32_e64 s[4:5], 1, v4
	v_cmp_lt_u32_e64 s[6:7], 3, v4
	;; [unrolled: 1-line block ×3, first 2 shown]
	v_and_b32_e32 v4, 16, v22
	v_and_b32_e32 v5, 0x3c0, v16
	v_cmp_eq_u32_e64 s[10:11], 0, v4
	v_min_u32_e32 v4, 0xc0, v5
	v_or_b32_e32 v4, 63, v4
	v_cmp_eq_u32_e64 s[14:15], v16, v4
	v_subrev_co_u32_e64 v4, s[20:21], 1, v22
	v_and_b32_e32 v17, 64, v22
	v_cmp_lt_i32_e64 s[22:23], v4, v17
	v_cndmask_b32_e64 v4, v4, v22, s[22:23]
	v_lshlrev_b32_e32 v26, 2, v4
	v_lshrrev_b32_e32 v4, 4, v16
	v_and_b32_e32 v4, 60, v4
	v_or_b32_e32 v5, v21, v5
	v_add_u32_e32 v27, v12, v4
	v_and_b32_e32 v17, 3, v22
	v_add_u32_e32 v30, v12, v5
	v_mul_u32_u24_e32 v5, 7, v5
	v_lshrrev_b32_e32 v25, 6, v14
	v_cmp_lt_u32_e64 s[12:13], 31, v22
	v_cmp_gt_u32_e64 s[16:17], 4, v16
	v_cmp_lt_u32_e64 s[18:19], 63, v16
	v_cmp_eq_u32_e64 s[22:23], 0, v16
	v_mov_b32_e32 v4, 0
	v_lshl_add_u32 v28, v16, 2, v12
	v_cmp_eq_u32_e64 s[24:25], 0, v17
	v_cmp_lt_u32_e64 s[26:27], 1, v17
	v_add_u32_e32 v29, -4, v27
	v_add_u32_e32 v31, v30, v5
	s_mov_b64 s[42:43], 0
	v_sub_u32_e32 v32, v11, v10
	s_waitcnt vmcnt(0) lgkmcnt(0)
	s_barrier
	s_branch .LBB397_93
.LBB397_92:                             ;   in Loop: Header=BB397_93 Depth=1
	s_or_b64 exec, exec, s[40:41]
	s_and_b64 s[28:29], exec, s[44:45]
	s_or_b64 s[42:43], s[28:29], s[42:43]
	s_andn2_b64 exec, exec, s[42:43]
	s_cbranch_execz .LBB397_103
.LBB397_93:                             ; =>This Inner Loop Header: Depth=1
	v_mov_b32_e32 v17, v19
	v_mov_b32_e32 v33, v34
	;; [unrolled: 1-line block ×3, first 2 shown]
	v_min_u32_e32 v5, s56, v32
	v_lshrrev_b32_sdwa v19, v10, v33 dst_sel:DWORD dst_unused:UNUSED_PAD src0_sel:DWORD src1_sel:BYTE_0
	v_bfe_u32 v19, v19, 0, v5
	v_lshlrev_b32_e32 v5, 2, v19
	v_add_lshl_u32 v5, v5, v25, 2
	v_add_co_u32_e64 v5, s[28:29], v12, v5
	v_add_co_u32_e64 v21, s[28:29], 16, v5
	v_and_b32_e32 v5, 1, v19
	v_add_co_u32_e64 v20, s[28:29], -1, v5
	v_addc_co_u32_e64 v22, s[28:29], 0, -1, s[28:29]
	v_cmp_ne_u32_e64 s[28:29], 0, v5
	v_xor_b32_e32 v5, s29, v22
	v_and_b32_e32 v22, exec_hi, v5
	v_lshlrev_b32_e32 v5, 30, v19
	v_xor_b32_e32 v20, s28, v20
	v_cmp_gt_i64_e64 s[28:29], 0, v[4:5]
	v_not_b32_e32 v5, v5
	v_ashrrev_i32_e32 v5, 31, v5
	v_and_b32_e32 v20, exec_lo, v20
	v_xor_b32_e32 v34, s29, v5
	v_xor_b32_e32 v5, s28, v5
	v_and_b32_e32 v20, v20, v5
	v_lshlrev_b32_e32 v5, 29, v19
	v_cmp_gt_i64_e64 s[28:29], 0, v[4:5]
	v_not_b32_e32 v5, v5
	v_ashrrev_i32_e32 v5, 31, v5
	v_and_b32_e32 v22, v22, v34
	v_xor_b32_e32 v34, s29, v5
	v_xor_b32_e32 v5, s28, v5
	v_and_b32_e32 v20, v20, v5
	v_lshlrev_b32_e32 v5, 28, v19
	v_cmp_gt_i64_e64 s[28:29], 0, v[4:5]
	v_not_b32_e32 v5, v5
	v_ashrrev_i32_e32 v5, 31, v5
	v_and_b32_e32 v22, v22, v34
	;; [unrolled: 8-line block ×5, first 2 shown]
	v_xor_b32_e32 v34, s29, v5
	v_xor_b32_e32 v5, s28, v5
	v_and_b32_e32 v22, v22, v34
	v_and_b32_e32 v34, v20, v5
	v_lshlrev_b32_e32 v5, 24, v19
	v_cmp_gt_i64_e64 s[28:29], 0, v[4:5]
	v_not_b32_e32 v5, v5
	v_ashrrev_i32_e32 v5, 31, v5
	v_xor_b32_e32 v19, s29, v5
	v_xor_b32_e32 v5, s28, v5
	v_and_b32_e32 v20, v22, v19
	v_and_b32_e32 v19, v34, v5
	v_mbcnt_lo_u32_b32 v5, v19, 0
	v_mbcnt_hi_u32_b32 v5, v20, v5
	v_cmp_ne_u64_e64 s[28:29], 0, v[19:20]
	v_cmp_eq_u32_e64 s[40:41], 0, v5
	s_and_b64 s[40:41], s[28:29], s[40:41]
	ds_write_b32 v9, v4
	ds_write_b32 v15, v4
	;; [unrolled: 1-line block ×4, first 2 shown]
	s_waitcnt lgkmcnt(0)
	s_barrier
	; wave barrier
	s_and_saveexec_b64 s[28:29], s[40:41]
; %bb.94:                               ;   in Loop: Header=BB397_93 Depth=1
	v_bcnt_u32_b32 v19, v19, 0
	v_bcnt_u32_b32 v19, v20, v19
	ds_write_b32 v21, v19
; %bb.95:                               ;   in Loop: Header=BB397_93 Depth=1
	s_or_b64 exec, exec, s[28:29]
	; wave barrier
	s_waitcnt lgkmcnt(0)
	s_barrier
	ds_read_b32 v22, v9
	ds_read_b32 v20, v15
	;; [unrolled: 1-line block ×4, first 2 shown]
	s_waitcnt lgkmcnt(2)
	v_add_u32_e32 v35, v20, v22
	s_waitcnt lgkmcnt(0)
	v_add3_u32 v34, v35, v19, v34
	s_nop 1
	v_mov_b32_dpp v35, v34 row_shr:1 row_mask:0xf bank_mask:0xf
	v_cndmask_b32_e64 v35, v35, 0, vcc
	v_add_u32_e32 v34, v35, v34
	s_nop 1
	v_mov_b32_dpp v35, v34 row_shr:2 row_mask:0xf bank_mask:0xf
	v_cndmask_b32_e64 v35, 0, v35, s[4:5]
	v_add_u32_e32 v34, v34, v35
	s_nop 1
	v_mov_b32_dpp v35, v34 row_shr:4 row_mask:0xf bank_mask:0xf
	v_cndmask_b32_e64 v35, 0, v35, s[6:7]
	;; [unrolled: 4-line block ×3, first 2 shown]
	v_add_u32_e32 v34, v34, v35
	s_nop 1
	v_mov_b32_dpp v35, v34 row_bcast:15 row_mask:0xf bank_mask:0xf
	v_cndmask_b32_e64 v35, v35, 0, s[10:11]
	v_add_u32_e32 v34, v34, v35
	s_nop 1
	v_mov_b32_dpp v35, v34 row_bcast:31 row_mask:0xf bank_mask:0xf
	v_cndmask_b32_e64 v35, 0, v35, s[12:13]
	v_add_u32_e32 v34, v34, v35
	s_and_saveexec_b64 s[28:29], s[14:15]
; %bb.96:                               ;   in Loop: Header=BB397_93 Depth=1
	ds_write_b32 v27, v34
; %bb.97:                               ;   in Loop: Header=BB397_93 Depth=1
	s_or_b64 exec, exec, s[28:29]
	s_waitcnt lgkmcnt(0)
	s_barrier
	s_and_saveexec_b64 s[28:29], s[16:17]
	s_cbranch_execz .LBB397_99
; %bb.98:                               ;   in Loop: Header=BB397_93 Depth=1
	ds_read_b32 v35, v28
	s_waitcnt lgkmcnt(0)
	s_nop 0
	v_mov_b32_dpp v36, v35 row_shr:1 row_mask:0xf bank_mask:0xf
	v_cndmask_b32_e64 v36, v36, 0, s[24:25]
	v_add_u32_e32 v35, v36, v35
	s_nop 1
	v_mov_b32_dpp v36, v35 row_shr:2 row_mask:0xf bank_mask:0xf
	v_cndmask_b32_e64 v36, 0, v36, s[26:27]
	v_add_u32_e32 v35, v35, v36
	ds_write_b32 v28, v35
.LBB397_99:                             ;   in Loop: Header=BB397_93 Depth=1
	s_or_b64 exec, exec, s[28:29]
	v_mov_b32_e32 v35, 0
	s_waitcnt lgkmcnt(0)
	s_barrier
	s_and_saveexec_b64 s[28:29], s[18:19]
; %bb.100:                              ;   in Loop: Header=BB397_93 Depth=1
	ds_read_b32 v35, v29
; %bb.101:                              ;   in Loop: Header=BB397_93 Depth=1
	s_or_b64 exec, exec, s[28:29]
	s_waitcnt lgkmcnt(0)
	v_add_u32_e32 v34, v35, v34
	ds_bpermute_b32 v34, v26, v34
	v_add_u32_e32 v10, 8, v10
	v_cmp_lt_u32_e64 s[28:29], v10, v11
	s_mov_b64 s[44:45], -1
	s_waitcnt lgkmcnt(0)
	v_cndmask_b32_e64 v34, v34, v35, s[20:21]
	v_cndmask_b32_e64 v34, v34, 0, s[22:23]
	v_add_u32_e32 v22, v34, v22
	v_add_u32_e32 v20, v22, v20
	;; [unrolled: 1-line block ×3, first 2 shown]
	ds_write_b32 v9, v34
	ds_write_b32 v15, v22
	;; [unrolled: 1-line block ×4, first 2 shown]
	s_waitcnt lgkmcnt(0)
	s_barrier
	ds_read_b32 v19, v21
	s_waitcnt lgkmcnt(0)
                                        ; implicit-def: $vgpr34
	v_add_u32_e32 v5, v19, v5
	v_add_co_u32_e64 v21, s[40:41], v12, v5
	v_addc_co_u32_e64 v22, s[40:41], 0, v13, s[40:41]
                                        ; implicit-def: $vgpr19_vgpr20
	s_and_saveexec_b64 s[40:41], s[28:29]
	s_cbranch_execz .LBB397_92
; %bb.102:                              ;   in Loop: Header=BB397_93 Depth=1
	v_mad_u64_u32 v[19:20], s[28:29], v5, 7, v[21:22]
	s_barrier
	ds_write_b8 v21, v33
	s_waitcnt lgkmcnt(0)
	s_barrier
	ds_read_u8 v34, v30
	s_waitcnt lgkmcnt(0)
	s_barrier
	ds_write_b64 v19, v[17:18]
	s_waitcnt lgkmcnt(0)
	s_barrier
	ds_read_b64 v[19:20], v31
	v_add_u32_e32 v32, -8, v32
	s_xor_b64 s[44:45], exec, -1
	s_waitcnt lgkmcnt(0)
	s_barrier
	s_branch .LBB397_92
.LBB397_103:
	s_or_b64 exec, exec, s[42:43]
	v_mad_u64_u32 v[4:5], s[4:5], v5, 7, v[21:22]
	v_add_u32_e32 v10, v12, v16
	s_barrier
	ds_write_b8 v21, v33
	s_waitcnt lgkmcnt(0)
	s_barrier
	ds_read_u8 v9, v10
	s_waitcnt lgkmcnt(0)
	s_barrier
	ds_write_b64 v4, v[17:18]
	v_mul_u32_u24_e32 v4, 7, v16
	v_add_u32_e32 v4, v10, v4
	s_waitcnt lgkmcnt(0)
	s_barrier
	ds_read_b64 v[4:5], v4
	v_cmp_lt_u32_e32 vcc, v14, v50
	s_waitcnt lgkmcnt(0)
	s_barrier
	s_and_saveexec_b64 s[4:5], vcc
	s_cbranch_execz .LBB397_105
; %bb.104:
	v_add_co_u32_e32 v2, vcc, v2, v8
	v_addc_co_u32_e32 v3, vcc, 0, v3, vcc
	v_add_co_u32_e32 v2, vcc, v2, v14
	v_addc_co_u32_e32 v3, vcc, 0, v3, vcc
	v_mov_b32_e32 v15, 0
	v_add_co_u32_e32 v6, vcc, v6, v0
	v_addc_co_u32_e32 v7, vcc, v7, v1, vcc
	v_lshlrev_b64 v[0:1], 3, v[14:15]
	v_xor_b32_e32 v8, 0x80, v9
	v_add_co_u32_e32 v0, vcc, v6, v0
	v_addc_co_u32_e32 v1, vcc, v7, v1, vcc
	flat_store_byte v[2:3], v8
	flat_store_dwordx2 v[0:1], v[4:5]
.LBB397_105:
	s_or_b64 exec, exec, s[4:5]
.LBB397_106:
	s_or_b64 exec, exec, s[46:47]
	s_waitcnt vmcnt(0) lgkmcnt(0)
	s_setpc_b64 s[30:31]
.Lfunc_end397:
	.size	_ZN7rocprim17ROCPRIM_400000_NS6detail40segmented_radix_sort_single_block_helperIalLj256ELj4ELb0EE4sortIPKaPaPKlPlEEbT_T0_T1_T2_jjjjRNS3_12storage_typeE, .Lfunc_end397-_ZN7rocprim17ROCPRIM_400000_NS6detail40segmented_radix_sort_single_block_helperIalLj256ELj4ELb0EE4sortIPKaPaPKlPlEEbT_T0_T1_T2_jjjjRNS3_12storage_typeE
                                        ; -- End function
	.set .L_ZN7rocprim17ROCPRIM_400000_NS6detail40segmented_radix_sort_single_block_helperIalLj256ELj4ELb0EE4sortIPKaPaPKlPlEEbT_T0_T1_T2_jjjjRNS3_12storage_typeE.num_vgpr, 97
	.set .L_ZN7rocprim17ROCPRIM_400000_NS6detail40segmented_radix_sort_single_block_helperIalLj256ELj4ELb0EE4sortIPKaPaPKlPlEEbT_T0_T1_T2_jjjjRNS3_12storage_typeE.num_agpr, 0
	.set .L_ZN7rocprim17ROCPRIM_400000_NS6detail40segmented_radix_sort_single_block_helperIalLj256ELj4ELb0EE4sortIPKaPaPKlPlEEbT_T0_T1_T2_jjjjRNS3_12storage_typeE.numbered_sgpr, 64
	.set .L_ZN7rocprim17ROCPRIM_400000_NS6detail40segmented_radix_sort_single_block_helperIalLj256ELj4ELb0EE4sortIPKaPaPKlPlEEbT_T0_T1_T2_jjjjRNS3_12storage_typeE.num_named_barrier, 0
	.set .L_ZN7rocprim17ROCPRIM_400000_NS6detail40segmented_radix_sort_single_block_helperIalLj256ELj4ELb0EE4sortIPKaPaPKlPlEEbT_T0_T1_T2_jjjjRNS3_12storage_typeE.private_seg_size, 0
	.set .L_ZN7rocprim17ROCPRIM_400000_NS6detail40segmented_radix_sort_single_block_helperIalLj256ELj4ELb0EE4sortIPKaPaPKlPlEEbT_T0_T1_T2_jjjjRNS3_12storage_typeE.uses_vcc, 1
	.set .L_ZN7rocprim17ROCPRIM_400000_NS6detail40segmented_radix_sort_single_block_helperIalLj256ELj4ELb0EE4sortIPKaPaPKlPlEEbT_T0_T1_T2_jjjjRNS3_12storage_typeE.uses_flat_scratch, 0
	.set .L_ZN7rocprim17ROCPRIM_400000_NS6detail40segmented_radix_sort_single_block_helperIalLj256ELj4ELb0EE4sortIPKaPaPKlPlEEbT_T0_T1_T2_jjjjRNS3_12storage_typeE.has_dyn_sized_stack, 0
	.set .L_ZN7rocprim17ROCPRIM_400000_NS6detail40segmented_radix_sort_single_block_helperIalLj256ELj4ELb0EE4sortIPKaPaPKlPlEEbT_T0_T1_T2_jjjjRNS3_12storage_typeE.has_recursion, 0
	.set .L_ZN7rocprim17ROCPRIM_400000_NS6detail40segmented_radix_sort_single_block_helperIalLj256ELj4ELb0EE4sortIPKaPaPKlPlEEbT_T0_T1_T2_jjjjRNS3_12storage_typeE.has_indirect_call, 0
	.section	.AMDGPU.csdata,"",@progbits
; Function info:
; codeLenInByte = 8420
; TotalNumSgprs: 68
; NumVgprs: 97
; ScratchSize: 0
; MemoryBound: 1
	.section	.text._ZN7rocprim17ROCPRIM_400000_NS6detail17trampoline_kernelINS0_14default_configENS1_36segmented_radix_sort_config_selectorIalEEZNS1_25segmented_radix_sort_implIS3_Lb0EPKaPaPKlPlN2at6native12_GLOBAL__N_18offset_tEEE10hipError_tPvRmT1_PNSt15iterator_traitsISK_E10value_typeET2_T3_PNSL_ISQ_E10value_typeET4_jRbjT5_SW_jjP12ihipStream_tbEUlT_E_NS1_11comp_targetILNS1_3genE2ELNS1_11target_archE906ELNS1_3gpuE6ELNS1_3repE0EEENS1_30default_config_static_selectorELNS0_4arch9wavefront6targetE1EEEvSK_,"axG",@progbits,_ZN7rocprim17ROCPRIM_400000_NS6detail17trampoline_kernelINS0_14default_configENS1_36segmented_radix_sort_config_selectorIalEEZNS1_25segmented_radix_sort_implIS3_Lb0EPKaPaPKlPlN2at6native12_GLOBAL__N_18offset_tEEE10hipError_tPvRmT1_PNSt15iterator_traitsISK_E10value_typeET2_T3_PNSL_ISQ_E10value_typeET4_jRbjT5_SW_jjP12ihipStream_tbEUlT_E_NS1_11comp_targetILNS1_3genE2ELNS1_11target_archE906ELNS1_3gpuE6ELNS1_3repE0EEENS1_30default_config_static_selectorELNS0_4arch9wavefront6targetE1EEEvSK_,comdat
	.globl	_ZN7rocprim17ROCPRIM_400000_NS6detail17trampoline_kernelINS0_14default_configENS1_36segmented_radix_sort_config_selectorIalEEZNS1_25segmented_radix_sort_implIS3_Lb0EPKaPaPKlPlN2at6native12_GLOBAL__N_18offset_tEEE10hipError_tPvRmT1_PNSt15iterator_traitsISK_E10value_typeET2_T3_PNSL_ISQ_E10value_typeET4_jRbjT5_SW_jjP12ihipStream_tbEUlT_E_NS1_11comp_targetILNS1_3genE2ELNS1_11target_archE906ELNS1_3gpuE6ELNS1_3repE0EEENS1_30default_config_static_selectorELNS0_4arch9wavefront6targetE1EEEvSK_ ; -- Begin function _ZN7rocprim17ROCPRIM_400000_NS6detail17trampoline_kernelINS0_14default_configENS1_36segmented_radix_sort_config_selectorIalEEZNS1_25segmented_radix_sort_implIS3_Lb0EPKaPaPKlPlN2at6native12_GLOBAL__N_18offset_tEEE10hipError_tPvRmT1_PNSt15iterator_traitsISK_E10value_typeET2_T3_PNSL_ISQ_E10value_typeET4_jRbjT5_SW_jjP12ihipStream_tbEUlT_E_NS1_11comp_targetILNS1_3genE2ELNS1_11target_archE906ELNS1_3gpuE6ELNS1_3repE0EEENS1_30default_config_static_selectorELNS0_4arch9wavefront6targetE1EEEvSK_
	.p2align	8
	.type	_ZN7rocprim17ROCPRIM_400000_NS6detail17trampoline_kernelINS0_14default_configENS1_36segmented_radix_sort_config_selectorIalEEZNS1_25segmented_radix_sort_implIS3_Lb0EPKaPaPKlPlN2at6native12_GLOBAL__N_18offset_tEEE10hipError_tPvRmT1_PNSt15iterator_traitsISK_E10value_typeET2_T3_PNSL_ISQ_E10value_typeET4_jRbjT5_SW_jjP12ihipStream_tbEUlT_E_NS1_11comp_targetILNS1_3genE2ELNS1_11target_archE906ELNS1_3gpuE6ELNS1_3repE0EEENS1_30default_config_static_selectorELNS0_4arch9wavefront6targetE1EEEvSK_,@function
_ZN7rocprim17ROCPRIM_400000_NS6detail17trampoline_kernelINS0_14default_configENS1_36segmented_radix_sort_config_selectorIalEEZNS1_25segmented_radix_sort_implIS3_Lb0EPKaPaPKlPlN2at6native12_GLOBAL__N_18offset_tEEE10hipError_tPvRmT1_PNSt15iterator_traitsISK_E10value_typeET2_T3_PNSL_ISQ_E10value_typeET4_jRbjT5_SW_jjP12ihipStream_tbEUlT_E_NS1_11comp_targetILNS1_3genE2ELNS1_11target_archE906ELNS1_3gpuE6ELNS1_3repE0EEENS1_30default_config_static_selectorELNS0_4arch9wavefront6targetE1EEEvSK_: ; @_ZN7rocprim17ROCPRIM_400000_NS6detail17trampoline_kernelINS0_14default_configENS1_36segmented_radix_sort_config_selectorIalEEZNS1_25segmented_radix_sort_implIS3_Lb0EPKaPaPKlPlN2at6native12_GLOBAL__N_18offset_tEEE10hipError_tPvRmT1_PNSt15iterator_traitsISK_E10value_typeET2_T3_PNSL_ISQ_E10value_typeET4_jRbjT5_SW_jjP12ihipStream_tbEUlT_E_NS1_11comp_targetILNS1_3genE2ELNS1_11target_archE906ELNS1_3gpuE6ELNS1_3repE0EEENS1_30default_config_static_selectorELNS0_4arch9wavefront6targetE1EEEvSK_
; %bb.0:
	s_add_u32 s0, s0, s8
	s_mov_b64 s[34:35], s[4:5]
	s_load_dwordx2 s[4:5], s[4:5], 0x38
	s_nop 0
	s_load_dwordx4 s[8:11], s[34:35], 0x40
	s_mov_b32 s33, s7
	s_mov_b32 s7, 0
	s_addc_u32 s1, s1, 0
	s_lshl_b64 s[12:13], s[6:7], 2
	s_waitcnt lgkmcnt(0)
	s_add_u32 s4, s4, s12
	s_addc_u32 s5, s5, s13
	s_load_dword s4, s[4:5], 0x0
	s_mov_b32 s32, 0
	s_waitcnt lgkmcnt(0)
	s_add_i32 s74, s4, s9
	s_add_i32 s75, s4, s11
	s_mul_i32 s74, s74, s8
	s_mul_i32 s75, s75, s10
	s_cmp_le_u32 s75, s74
	s_cbranch_scc1 .LBB398_414
; %bb.1:
	s_load_dword s4, s[34:35], 0x30
	s_load_dwordx4 s[64:67], s[34:35], 0x20
	s_load_dwordx4 s[68:71], s[34:35], 0x50
	s_load_dwordx8 s[48:55], s[34:35], 0x0
	s_waitcnt lgkmcnt(0)
	s_bitcmp1_b32 s4, 0
	s_cselect_b64 s[72:73], -1, 0
	s_sub_i32 s71, s75, s74
	s_cmpk_lt_u32 s71, 0x401
	s_mov_b64 s[4:5], -1
	s_cbranch_scc0 .LBB398_7
; %bb.2:
	s_and_b32 s4, s68, 1
	v_cndmask_b32_e64 v3, 0, 1, s[72:73]
	v_cmp_ne_u32_e32 vcc, s4, v3
	s_mov_b64 s[4:5], -1
	v_lshlrev_b32_e32 v41, 20, v2
	v_lshlrev_b32_e32 v42, 10, v1
	s_cbranch_vccnz .LBB398_4
; %bb.3:
	s_add_u32 s8, s34, 0x60
	s_mov_b64 s[4:5], src_shared_base
	s_addc_u32 s9, s35, 0
	s_getpc_b64 s[10:11]
	s_add_u32 s10, s10, _ZN7rocprim17ROCPRIM_400000_NS6detail40segmented_radix_sort_single_block_helperIalLj256ELj4ELb0EE4sortIPKaPaPKlPlEEbT_T0_T1_T2_jjjjRNS3_12storage_typeE@rel32@lo+4
	s_addc_u32 s11, s11, _ZN7rocprim17ROCPRIM_400000_NS6detail40segmented_radix_sort_single_block_helperIalLj256ELj4ELb0EE4sortIPKaPaPKlPlEEbT_T0_T1_T2_jjjjRNS3_12storage_typeE@rel32@hi+12
	v_or3_b32 v31, v0, v42, v41
	s_mov_b32 s12, s6
	s_mov_b32 s13, s33
	v_mov_b32_e32 v40, v0
	v_mov_b32_e32 v0, s48
	;; [unrolled: 1-line block ×17, first 2 shown]
	s_mov_b32 s36, s6
	s_swappc_b64 s[30:31], s[10:11]
	v_mov_b32_e32 v1, v43
	v_mov_b32_e32 v2, v44
	;; [unrolled: 1-line block ×3, first 2 shown]
	s_mov_b32 s6, s36
	s_mov_b64 s[4:5], 0
.LBB398_4:
	s_andn2_b64 vcc, exec, s[4:5]
	s_cbranch_vccnz .LBB398_6
; %bb.5:
	s_add_u32 s8, s34, 0x60
	s_mov_b64 s[4:5], src_shared_base
	s_addc_u32 s9, s35, 0
	s_getpc_b64 s[10:11]
	s_add_u32 s10, s10, _ZN7rocprim17ROCPRIM_400000_NS6detail40segmented_radix_sort_single_block_helperIalLj256ELj4ELb0EE4sortIPKaPaPKlPlEEbT_T0_T1_T2_jjjjRNS3_12storage_typeE@rel32@lo+4
	s_addc_u32 s11, s11, _ZN7rocprim17ROCPRIM_400000_NS6detail40segmented_radix_sort_single_block_helperIalLj256ELj4ELb0EE4sortIPKaPaPKlPlEEbT_T0_T1_T2_jjjjRNS3_12storage_typeE@rel32@hi+12
	v_or3_b32 v31, v0, v42, v41
	s_mov_b32 s12, s6
	s_mov_b32 s13, s33
	v_mov_b32_e32 v40, v0
	v_mov_b32_e32 v0, s48
	;; [unrolled: 1-line block ×17, first 2 shown]
	s_mov_b32 s36, s6
	s_swappc_b64 s[30:31], s[10:11]
	v_mov_b32_e32 v1, v41
	v_mov_b32_e32 v2, v42
	;; [unrolled: 1-line block ×3, first 2 shown]
	s_mov_b32 s6, s36
.LBB398_6:
	s_mov_b64 s[4:5], 0
.LBB398_7:
	s_andn2_b64 vcc, exec, s[4:5]
	s_cbranch_vccnz .LBB398_414
; %bb.8:
	s_cmp_ge_u32 s69, s70
	s_cbranch_scc1 .LBB398_414
; %bb.9:
	v_and_b32_e32 v3, 3, v0
	v_lshlrev_b32_e32 v24, 2, v3
	v_or_b32_e32 v3, 63, v0
	v_lshlrev_b32_e32 v18, 2, v0
	v_mov_b32_e32 v4, s53
	v_add_co_u32_e32 v22, vcc, s52, v0
	v_cmp_eq_u32_e64 s[8:9], v0, v3
	v_lshrrev_b32_e32 v3, 4, v0
	v_addc_co_u32_e32 v23, vcc, 0, v4, vcc
	v_and_b32_e32 v26, 12, v3
	v_and_b32_e32 v3, 0x300, v18
	v_lshlrev_b32_e32 v4, 4, v0
	v_sub_u32_e32 v28, 0, v4
	v_lshlrev_b32_e32 v4, 3, v3
	v_mov_b32_e32 v5, s67
	v_add_co_u32_e32 v29, vcc, s66, v4
	v_addc_co_u32_e32 v30, vcc, 0, v5, vcc
	v_mov_b32_e32 v5, s53
	v_add_co_u32_e32 v31, vcc, s52, v3
	v_addc_co_u32_e32 v32, vcc, 0, v5, vcc
	;; [unrolled: 3-line block ×8, first 2 shown]
	v_mbcnt_lo_u32_b32 v4, -1, 0
	v_mbcnt_hi_u32_b32 v45, -1, v4
	v_mad_u32_u24 v25, v0, 12, v18
	v_and_b32_e32 v46, 63, v45
	s_movk_i32 s4, 0x100
	s_add_u32 s46, s34, 0x60
	s_movk_i32 s7, 0xff
	v_or_b32_e32 v47, v46, v3
	v_add_u32_e32 v50, v25, v18
	v_or_b32_e32 v19, 0x100, v0
	v_or_b32_e32 v20, 0x200, v0
	;; [unrolled: 1-line block ×3, first 2 shown]
	v_cmp_gt_u32_e64 s[4:5], s4, v0
	v_or_b32_e32 v27, 0x2400, v26
	v_cmp_gt_u32_e64 s[10:11], 4, v0
	v_cmp_lt_u32_e64 s[12:13], 63, v0
	s_addc_u32 s47, s35, 0
	s_mov_b32 s57, 0
	v_cmp_eq_u32_e64 s[14:15], 0, v0
	v_cmp_ne_u32_e64 s[16:17], s7, v0
	s_mov_b32 s7, s69
	v_or_b32_e32 v48, 0x2400, v18
	v_add_u32_e32 v49, 0x23fc, v26
	v_mul_u32_u24_e32 v51, 7, v0
	v_mov_b32_e32 v52, 1
	v_add_u32_e32 v53, 0x410, v50
	v_add_u32_e32 v54, 0x418, v50
	v_and_b32_e32 v55, 15, v45
	v_bfe_i32 v56, v45, 4, 1
	v_and_b32_e32 v57, 16, v45
	v_and_b32_e32 v58, 3, v45
	;; [unrolled: 1-line block ×3, first 2 shown]
	v_lshlrev_b32_e32 v60, 3, v46
	v_or_b32_e32 v61, 64, v47
	v_or_b32_e32 v62, 0x80, v47
	v_or_b32_e32 v63, 0xc0, v47
	v_mov_b32_e32 v3, 0
	s_branch .LBB398_12
.LBB398_10:                             ;   in Loop: Header=BB398_12 Depth=1
	s_waitcnt lgkmcnt(0)
	s_barrier
.LBB398_11:                             ;   in Loop: Header=BB398_12 Depth=1
	s_add_i32 s7, s7, 8
	s_cmp_ge_u32 s7, s70
	s_cbranch_scc1 .LBB398_414
.LBB398_12:                             ; =>This Loop Header: Depth=1
                                        ;     Child Loop BB398_16 Depth 2
                                        ;     Child Loop BB398_48 Depth 2
	;; [unrolled: 1-line block ×8, first 2 shown]
	s_sub_i32 s18, s70, s7
	s_min_u32 s18, s18, 8
	s_lshl_b32 s18, -1, s18
	s_xor_b64 s[72:73], s[72:73], -1
	s_not_b32 s58, s18
	s_cmp_lg_u32 s7, s69
	s_mov_b64 s[18:19], -1
	ds_write2st64_b32 v18, v3, v3 offset1:4
	ds_write2st64_b32 v18, v3, v3 offset0:8 offset1:12
	s_waitcnt lgkmcnt(0)
	s_cbranch_scc0 .LBB398_214
; %bb.13:                               ;   in Loop: Header=BB398_12 Depth=1
	s_and_b64 vcc, exec, s[72:73]
	s_cbranch_vccz .LBB398_113
; %bb.14:                               ;   in Loop: Header=BB398_12 Depth=1
	v_mov_b32_e32 v4, 0
	s_mov_b32 s20, s71
	s_mov_b32 s22, s74
	v_mov_b32_e32 v7, 0
	v_mov_b32_e32 v6, 0
	;; [unrolled: 1-line block ×3, first 2 shown]
	s_barrier
	s_branch .LBB398_16
.LBB398_15:                             ;   in Loop: Header=BB398_16 Depth=2
	s_or_b64 exec, exec, s[18:19]
	s_addk_i32 s20, 0xfc00
	s_cmp_ge_u32 s21, s75
	s_mov_b32 s22, s21
	s_cbranch_scc1 .LBB398_36
.LBB398_16:                             ;   Parent Loop BB398_12 Depth=1
                                        ; =>  This Inner Loop Header: Depth=2
	s_add_i32 s21, s22, 0x400
	s_cmp_gt_u32 s21, s75
	s_mov_b64 s[18:19], -1
                                        ; implicit-def: $vgpr8
                                        ; implicit-def: $vgpr9
                                        ; implicit-def: $vgpr10
                                        ; implicit-def: $vgpr11
	s_cbranch_scc1 .LBB398_18
; %bb.17:                               ;   in Loop: Header=BB398_16 Depth=2
	v_add_co_u32_e32 v12, vcc, s22, v22
	v_addc_co_u32_e32 v13, vcc, 0, v23, vcc
	global_load_ubyte v11, v[12:13], off offset:768
	global_load_ubyte v10, v[12:13], off offset:512
	;; [unrolled: 1-line block ×3, first 2 shown]
	global_load_ubyte v8, v[12:13], off
	s_mov_b64 s[18:19], 0
.LBB398_18:                             ;   in Loop: Header=BB398_16 Depth=2
	s_andn2_b64 vcc, exec, s[18:19]
	s_movk_i32 s23, 0x400
	s_cbranch_vccnz .LBB398_25
; %bb.19:                               ;   in Loop: Header=BB398_16 Depth=2
	s_add_u32 s22, s52, s22
	s_addc_u32 s23, s53, 0
	v_cmp_gt_u32_e32 vcc, s20, v0
	s_and_saveexec_b64 s[18:19], vcc
	s_cbranch_execnz .LBB398_33
; %bb.20:                               ;   in Loop: Header=BB398_16 Depth=2
	s_or_b64 exec, exec, s[18:19]
	v_cmp_gt_u32_e32 vcc, s20, v19
	s_and_saveexec_b64 s[18:19], vcc
	s_cbranch_execnz .LBB398_34
.LBB398_21:                             ;   in Loop: Header=BB398_16 Depth=2
	s_or_b64 exec, exec, s[18:19]
	v_cmp_gt_u32_e32 vcc, s20, v20
	s_and_saveexec_b64 s[18:19], vcc
	s_cbranch_execnz .LBB398_35
.LBB398_22:                             ;   in Loop: Header=BB398_16 Depth=2
	s_or_b64 exec, exec, s[18:19]
	v_cmp_gt_u32_e32 vcc, s20, v21
	s_and_saveexec_b64 s[18:19], vcc
	s_cbranch_execz .LBB398_24
.LBB398_23:                             ;   in Loop: Header=BB398_16 Depth=2
	v_mov_b32_e32 v5, s23
	s_waitcnt vmcnt(0)
	v_add_co_u32_e32 v8, vcc, s22, v0
	v_addc_co_u32_e32 v9, vcc, 0, v5, vcc
	global_load_ubyte v5, v[8:9], off offset:768
.LBB398_24:                             ;   in Loop: Header=BB398_16 Depth=2
	s_or_b64 exec, exec, s[18:19]
	s_mov_b32 s23, s20
	s_waitcnt vmcnt(0)
	v_mov_b32_e32 v8, v4
	v_mov_b32_e32 v9, v7
	;; [unrolled: 1-line block ×4, first 2 shown]
.LBB398_25:                             ;   in Loop: Header=BB398_16 Depth=2
	s_waitcnt vmcnt(3)
	v_mov_b32_e32 v5, v11
	s_waitcnt vmcnt(2)
	v_mov_b32_e32 v6, v10
	;; [unrolled: 2-line block ×4, first 2 shown]
	v_cmp_gt_u32_e32 vcc, s23, v0
	s_and_saveexec_b64 s[18:19], vcc
	s_cbranch_execnz .LBB398_29
; %bb.26:                               ;   in Loop: Header=BB398_16 Depth=2
	s_or_b64 exec, exec, s[18:19]
	v_cmp_gt_u32_e32 vcc, s23, v19
	s_and_saveexec_b64 s[18:19], vcc
	s_cbranch_execnz .LBB398_30
.LBB398_27:                             ;   in Loop: Header=BB398_16 Depth=2
	s_or_b64 exec, exec, s[18:19]
	v_cmp_gt_u32_e32 vcc, s23, v20
	s_and_saveexec_b64 s[18:19], vcc
	s_cbranch_execnz .LBB398_31
.LBB398_28:                             ;   in Loop: Header=BB398_16 Depth=2
	s_or_b64 exec, exec, s[18:19]
	v_cmp_gt_u32_e32 vcc, s23, v21
	s_and_saveexec_b64 s[18:19], vcc
	s_cbranch_execz .LBB398_15
	s_branch .LBB398_32
.LBB398_29:                             ;   in Loop: Header=BB398_16 Depth=2
	v_xor_b32_e32 v8, 0x80, v4
	v_lshrrev_b32_sdwa v8, s7, v8 dst_sel:DWORD dst_unused:UNUSED_PAD src0_sel:DWORD src1_sel:BYTE_0
	v_and_b32_e32 v8, s58, v8
	v_lshl_or_b32 v8, v8, 4, v24
	ds_add_u32 v8, v52
	s_or_b64 exec, exec, s[18:19]
	v_cmp_gt_u32_e32 vcc, s23, v19
	s_and_saveexec_b64 s[18:19], vcc
	s_cbranch_execz .LBB398_27
.LBB398_30:                             ;   in Loop: Header=BB398_16 Depth=2
	v_xor_b32_e32 v8, 0x80, v7
	v_lshrrev_b32_sdwa v8, s7, v8 dst_sel:DWORD dst_unused:UNUSED_PAD src0_sel:DWORD src1_sel:BYTE_0
	v_and_b32_e32 v8, s58, v8
	v_lshl_or_b32 v8, v8, 4, v24
	ds_add_u32 v8, v52
	s_or_b64 exec, exec, s[18:19]
	v_cmp_gt_u32_e32 vcc, s23, v20
	s_and_saveexec_b64 s[18:19], vcc
	s_cbranch_execz .LBB398_28
.LBB398_31:                             ;   in Loop: Header=BB398_16 Depth=2
	v_xor_b32_e32 v8, 0x80, v6
	v_lshrrev_b32_sdwa v8, s7, v8 dst_sel:DWORD dst_unused:UNUSED_PAD src0_sel:DWORD src1_sel:BYTE_0
	v_and_b32_e32 v8, s58, v8
	v_lshl_or_b32 v8, v8, 4, v24
	ds_add_u32 v8, v52
	s_or_b64 exec, exec, s[18:19]
	v_cmp_gt_u32_e32 vcc, s23, v21
	s_and_saveexec_b64 s[18:19], vcc
	s_cbranch_execz .LBB398_15
.LBB398_32:                             ;   in Loop: Header=BB398_16 Depth=2
	v_xor_b32_e32 v8, 0x80, v5
	v_lshrrev_b32_sdwa v8, s7, v8 dst_sel:DWORD dst_unused:UNUSED_PAD src0_sel:DWORD src1_sel:BYTE_0
	v_and_b32_e32 v8, s58, v8
	v_lshl_or_b32 v8, v8, 4, v24
	ds_add_u32 v8, v52
	s_branch .LBB398_15
.LBB398_33:                             ;   in Loop: Header=BB398_16 Depth=2
	v_mov_b32_e32 v4, s23
	s_waitcnt vmcnt(0)
	v_add_co_u32_e32 v8, vcc, s22, v0
	v_addc_co_u32_e32 v9, vcc, 0, v4, vcc
	global_load_ubyte v4, v[8:9], off
	s_or_b64 exec, exec, s[18:19]
	v_cmp_gt_u32_e32 vcc, s20, v19
	s_and_saveexec_b64 s[18:19], vcc
	s_cbranch_execz .LBB398_21
.LBB398_34:                             ;   in Loop: Header=BB398_16 Depth=2
	s_waitcnt vmcnt(0)
	v_mov_b32_e32 v8, s23
	v_add_co_u32_e32 v7, vcc, s22, v0
	v_addc_co_u32_e32 v8, vcc, 0, v8, vcc
	global_load_ubyte v7, v[7:8], off offset:256
	s_or_b64 exec, exec, s[18:19]
	v_cmp_gt_u32_e32 vcc, s20, v20
	s_and_saveexec_b64 s[18:19], vcc
	s_cbranch_execz .LBB398_22
.LBB398_35:                             ;   in Loop: Header=BB398_16 Depth=2
	v_mov_b32_e32 v6, s23
	s_waitcnt vmcnt(0)
	v_add_co_u32_e32 v8, vcc, s22, v0
	v_addc_co_u32_e32 v9, vcc, 0, v6, vcc
	global_load_ubyte v6, v[8:9], off offset:512
	s_or_b64 exec, exec, s[18:19]
	v_cmp_gt_u32_e32 vcc, s20, v21
	s_and_saveexec_b64 s[18:19], vcc
	s_cbranch_execnz .LBB398_23
	s_branch .LBB398_24
.LBB398_36:                             ;   in Loop: Header=BB398_12 Depth=1
	v_mov_b32_e32 v4, 0
	s_waitcnt lgkmcnt(0)
	s_barrier
	s_and_saveexec_b64 s[18:19], s[4:5]
	s_cbranch_execz .LBB398_38
; %bb.37:                               ;   in Loop: Header=BB398_12 Depth=1
	ds_read2_b64 v[4:7], v25 offset1:1
	s_waitcnt lgkmcnt(0)
	v_add_u32_e32 v4, v5, v4
	v_add3_u32 v4, v4, v6, v7
.LBB398_38:                             ;   in Loop: Header=BB398_12 Depth=1
	s_or_b64 exec, exec, s[18:19]
	s_nop 0
	v_mov_b32_dpp v5, v4 row_shr:1 row_mask:0xf bank_mask:0xf
	v_cmp_eq_u32_e64 s[18:19], 0, v55
	v_cndmask_b32_e64 v5, v5, 0, s[18:19]
	v_add_u32_e32 v4, v5, v4
	v_cmp_lt_u32_e64 s[20:21], 1, v55
	v_cmp_lt_u32_e64 s[22:23], 3, v55
	v_mov_b32_dpp v5, v4 row_shr:2 row_mask:0xf bank_mask:0xf
	v_cndmask_b32_e64 v5, 0, v5, s[20:21]
	v_add_u32_e32 v4, v4, v5
	v_cmp_lt_u32_e64 s[24:25], 7, v55
	v_cmp_lt_u32_e64 s[28:29], 31, v45
	v_mov_b32_dpp v5, v4 row_shr:4 row_mask:0xf bank_mask:0xf
	v_cndmask_b32_e64 v5, 0, v5, s[22:23]
	v_add_u32_e32 v4, v4, v5
	v_cmp_eq_u32_e64 s[26:27], 0, v57
	s_nop 0
	v_mov_b32_dpp v5, v4 row_shr:8 row_mask:0xf bank_mask:0xf
	v_cndmask_b32_e64 v5, 0, v5, s[24:25]
	v_add_u32_e32 v4, v4, v5
	s_nop 1
	v_mov_b32_dpp v5, v4 row_bcast:15 row_mask:0xf bank_mask:0xf
	v_and_b32_e32 v5, v56, v5
	v_add_u32_e32 v4, v4, v5
	s_nop 1
	v_mov_b32_dpp v5, v4 row_bcast:31 row_mask:0xf bank_mask:0xf
	v_cndmask_b32_e64 v5, 0, v5, s[28:29]
	v_add_u32_e32 v4, v4, v5
	s_and_saveexec_b64 s[30:31], s[8:9]
; %bb.39:                               ;   in Loop: Header=BB398_12 Depth=1
	ds_write_b32 v27, v4
; %bb.40:                               ;   in Loop: Header=BB398_12 Depth=1
	s_or_b64 exec, exec, s[30:31]
	s_waitcnt lgkmcnt(0)
	s_barrier
	s_and_saveexec_b64 s[30:31], s[10:11]
	s_cbranch_execz .LBB398_42
; %bb.41:                               ;   in Loop: Header=BB398_12 Depth=1
	ds_read_b32 v5, v48
	v_cmp_ne_u32_e32 vcc, 0, v58
	s_waitcnt lgkmcnt(0)
	v_mov_b32_dpp v6, v5 row_shr:1 row_mask:0xf bank_mask:0xf
	v_cndmask_b32_e32 v6, 0, v6, vcc
	v_add_u32_e32 v5, v6, v5
	v_cmp_lt_u32_e32 vcc, 1, v58
	s_nop 0
	v_mov_b32_dpp v6, v5 row_shr:2 row_mask:0xf bank_mask:0xf
	v_cndmask_b32_e32 v6, 0, v6, vcc
	v_add_u32_e32 v5, v5, v6
	ds_write_b32 v48, v5
.LBB398_42:                             ;   in Loop: Header=BB398_12 Depth=1
	s_or_b64 exec, exec, s[30:31]
	v_mov_b32_e32 v5, 0
	s_waitcnt lgkmcnt(0)
	s_barrier
	s_and_saveexec_b64 s[30:31], s[12:13]
; %bb.43:                               ;   in Loop: Header=BB398_12 Depth=1
	ds_read_b32 v5, v49
; %bb.44:                               ;   in Loop: Header=BB398_12 Depth=1
	s_or_b64 exec, exec, s[30:31]
	v_subrev_co_u32_e64 v6, s[30:31], 1, v45
	v_cmp_lt_i32_e32 vcc, v6, v59
	v_cndmask_b32_e32 v6, v6, v45, vcc
	s_waitcnt lgkmcnt(0)
	v_add_u32_e32 v4, v5, v4
	v_lshlrev_b32_e32 v64, 2, v6
	ds_bpermute_b32 v4, v64, v4
	s_waitcnt lgkmcnt(0)
	s_barrier
	s_and_saveexec_b64 s[34:35], s[4:5]
; %bb.45:                               ;   in Loop: Header=BB398_12 Depth=1
	v_cndmask_b32_e64 v4, v4, v5, s[30:31]
	v_add_u32_e32 v4, s74, v4
	ds_write_b32 v18, v4
; %bb.46:                               ;   in Loop: Header=BB398_12 Depth=1
	s_or_b64 exec, exec, s[34:35]
	s_load_dword s34, s[46:47], 0x4
	s_load_dword s38, s[46:47], 0xc
	v_add_co_u32_e32 v65, vcc, v29, v60
	v_addc_co_u32_e32 v66, vcc, 0, v30, vcc
	s_waitcnt lgkmcnt(0)
	s_cmp_lt_u32 s33, s34
	s_cselect_b32 s34, 14, 20
	s_add_u32 s34, s46, s34
	s_addc_u32 s35, s47, 0
	global_load_ushort v4, v3, s[34:35]
	s_and_b32 s38, s38, 0xffff
	v_add_co_u32_e32 v67, vcc, v31, v46
	v_cmp_eq_u32_e64 s[34:35], 0, v58
	v_cmp_lt_u32_e64 s[36:37], 1, v58
	v_addc_co_u32_e32 v68, vcc, 0, v32, vcc
	s_mov_b32 s59, s71
	s_mov_b32 s56, s74
                                        ; implicit-def: $vgpr7_vgpr8
                                        ; implicit-def: $vgpr9_vgpr10
                                        ; implicit-def: $vgpr11_vgpr12
                                        ; implicit-def: $vgpr69
                                        ; implicit-def: $vgpr70
                                        ; implicit-def: $vgpr72
                                        ; implicit-def: $vgpr73
	s_waitcnt vmcnt(0)
	v_mad_u32_u24 v4, v2, v4, v1
	v_mad_u64_u32 v[4:5], s[38:39], v4, s38, v[0:1]
                                        ; implicit-def: $vgpr5_vgpr6
	v_lshrrev_b32_e32 v4, 4, v4
	v_and_b32_e32 v71, 0xffffffc, v4
	s_branch .LBB398_48
.LBB398_47:                             ;   in Loop: Header=BB398_48 Depth=2
	s_or_b64 exec, exec, s[38:39]
	s_addk_i32 s59, 0xfc00
	s_cmp_lt_u32 s60, s75
	s_mov_b32 s56, s60
	s_cbranch_scc0 .LBB398_112
.LBB398_48:                             ;   Parent Loop BB398_12 Depth=1
                                        ; =>  This Inner Loop Header: Depth=2
	s_add_i32 s60, s56, 0x400
	s_cmp_gt_u32 s60, s75
	s_cbranch_scc1 .LBB398_50
; %bb.49:                               ;   in Loop: Header=BB398_48 Depth=2
	v_add_co_u32_e32 v13, vcc, s56, v67
	v_addc_co_u32_e32 v14, vcc, 0, v68, vcc
	global_load_ubyte v16, v[13:14], off offset:128
	global_load_ubyte v76, v[13:14], off offset:64
	global_load_ubyte v4, v[13:14], off
	s_mov_b64 s[38:39], -1
	s_movk_i32 s42, 0x400
                                        ; implicit-def: $vgpr15
	s_cbranch_execz .LBB398_51
	s_branch .LBB398_56
.LBB398_50:                             ;   in Loop: Header=BB398_48 Depth=2
	s_mov_b64 s[38:39], 0
                                        ; implicit-def: $vgpr4
                                        ; implicit-def: $vgpr76
                                        ; implicit-def: $vgpr16
	s_movk_i32 s42, 0x400
                                        ; implicit-def: $vgpr15
.LBB398_51:                             ;   in Loop: Header=BB398_48 Depth=2
	v_add_co_u32_e32 v13, vcc, s56, v67
	v_addc_co_u32_e32 v14, vcc, 0, v68, vcc
	v_cmp_gt_u32_e32 vcc, s59, v47
	v_mov_b32_e32 v15, 0x7f
	s_waitcnt vmcnt(0)
	v_mov_b32_e32 v4, 0x7f
	v_mov_b32_e32 v76, 0x7f
	;; [unrolled: 1-line block ×3, first 2 shown]
	s_and_saveexec_b64 s[38:39], vcc
	s_cbranch_execnz .LBB398_110
; %bb.52:                               ;   in Loop: Header=BB398_48 Depth=2
	s_or_b64 exec, exec, s[38:39]
	v_cmp_gt_u32_e32 vcc, s59, v61
	s_and_saveexec_b64 s[38:39], vcc
	s_cbranch_execnz .LBB398_111
.LBB398_53:                             ;   in Loop: Header=BB398_48 Depth=2
	s_or_b64 exec, exec, s[38:39]
	v_cmp_gt_u32_e32 vcc, s59, v62
	s_and_saveexec_b64 s[38:39], vcc
	s_cbranch_execz .LBB398_55
.LBB398_54:                             ;   in Loop: Header=BB398_48 Depth=2
	global_load_ubyte v16, v[13:14], off offset:128
.LBB398_55:                             ;   in Loop: Header=BB398_48 Depth=2
	s_or_b64 exec, exec, s[38:39]
	s_sub_i32 s42, s75, s56
	v_cmp_gt_u32_e64 s[38:39], s59, v63
.LBB398_56:                             ;   in Loop: Header=BB398_48 Depth=2
	v_mov_b32_e32 v74, s59
	s_and_saveexec_b64 s[40:41], s[38:39]
	s_cbranch_execz .LBB398_58
; %bb.57:                               ;   in Loop: Header=BB398_48 Depth=2
	v_mov_b32_e32 v14, s57
	v_add_co_u32_e32 v13, vcc, s56, v67
	v_addc_co_u32_e32 v14, vcc, v68, v14, vcc
	global_load_ubyte v15, v[13:14], off offset:192
	v_mov_b32_e32 v74, s42
.LBB398_58:                             ;   in Loop: Header=BB398_48 Depth=2
	s_or_b64 exec, exec, s[40:41]
	s_waitcnt vmcnt(0)
	v_xor_b32_e32 v17, 0xffffff80, v4
	v_lshrrev_b32_sdwa v4, s7, v17 dst_sel:DWORD dst_unused:UNUSED_PAD src0_sel:DWORD src1_sel:BYTE_0
	v_and_b32_e32 v13, s58, v4
	v_and_b32_e32 v4, 1, v13
	v_add_co_u32_e32 v14, vcc, -1, v4
	v_addc_co_u32_e64 v75, s[38:39], 0, -1, vcc
	v_cmp_ne_u32_e32 vcc, 0, v4
	v_xor_b32_e32 v4, vcc_hi, v75
	v_and_b32_e32 v75, exec_hi, v4
	v_lshlrev_b32_e32 v4, 30, v13
	v_xor_b32_e32 v14, vcc_lo, v14
	v_cmp_gt_i64_e32 vcc, 0, v[3:4]
	v_not_b32_e32 v4, v4
	v_ashrrev_i32_e32 v4, 31, v4
	v_and_b32_e32 v14, exec_lo, v14
	v_xor_b32_e32 v78, vcc_hi, v4
	v_xor_b32_e32 v4, vcc_lo, v4
	v_and_b32_e32 v14, v14, v4
	v_lshlrev_b32_e32 v4, 29, v13
	v_cmp_gt_i64_e32 vcc, 0, v[3:4]
	v_not_b32_e32 v4, v4
	v_ashrrev_i32_e32 v4, 31, v4
	v_and_b32_e32 v75, v75, v78
	v_xor_b32_e32 v78, vcc_hi, v4
	v_xor_b32_e32 v4, vcc_lo, v4
	v_and_b32_e32 v14, v14, v4
	v_lshlrev_b32_e32 v4, 28, v13
	v_cmp_gt_i64_e32 vcc, 0, v[3:4]
	v_not_b32_e32 v4, v4
	v_ashrrev_i32_e32 v4, 31, v4
	v_and_b32_e32 v75, v75, v78
	;; [unrolled: 8-line block ×5, first 2 shown]
	v_xor_b32_e32 v78, vcc_hi, v4
	v_xor_b32_e32 v4, vcc_lo, v4
	v_and_b32_e32 v75, v75, v78
	v_and_b32_e32 v78, v14, v4
	v_lshlrev_b32_e32 v4, 24, v13
	v_cmp_gt_i64_e32 vcc, 0, v[3:4]
	v_not_b32_e32 v4, v4
	v_ashrrev_i32_e32 v4, 31, v4
	v_mul_u32_u24_e32 v77, 20, v13
	v_xor_b32_e32 v13, vcc_hi, v4
	v_xor_b32_e32 v4, vcc_lo, v4
	v_and_b32_e32 v14, v75, v13
	v_and_b32_e32 v13, v78, v4
	v_mbcnt_lo_u32_b32 v4, v13, 0
	v_mbcnt_hi_u32_b32 v75, v14, v4
	v_cmp_ne_u64_e32 vcc, 0, v[13:14]
	v_cmp_eq_u32_e64 s[38:39], 0, v75
	s_and_b64 s[40:41], vcc, s[38:39]
	v_add_u32_e32 v78, v71, v77
	ds_write2_b32 v53, v3, v3 offset1:1
	ds_write2_b32 v54, v3, v3 offset1:1
	ds_write_b32 v50, v3 offset:1056
	s_waitcnt lgkmcnt(0)
	s_barrier
	; wave barrier
	s_and_saveexec_b64 s[38:39], s[40:41]
; %bb.59:                               ;   in Loop: Header=BB398_48 Depth=2
	v_bcnt_u32_b32 v4, v13, 0
	v_bcnt_u32_b32 v4, v14, v4
	ds_write_b32 v78, v4 offset:1040
; %bb.60:                               ;   in Loop: Header=BB398_48 Depth=2
	s_or_b64 exec, exec, s[38:39]
	v_xor_b32_e32 v76, 0xffffff80, v76
	v_lshrrev_b32_sdwa v4, s7, v76 dst_sel:DWORD dst_unused:UNUSED_PAD src0_sel:DWORD src1_sel:BYTE_0
	v_and_b32_e32 v13, s58, v4
	v_mad_u32_u24 v4, v13, 20, v71
	; wave barrier
	ds_read_b32 v77, v4 offset:1040
	v_and_b32_e32 v4, 1, v13
	v_add_co_u32_e32 v14, vcc, -1, v4
	v_addc_co_u32_e64 v79, s[38:39], 0, -1, vcc
	v_cmp_ne_u32_e32 vcc, 0, v4
	v_xor_b32_e32 v4, vcc_hi, v79
	v_and_b32_e32 v79, exec_hi, v4
	v_lshlrev_b32_e32 v4, 30, v13
	v_xor_b32_e32 v14, vcc_lo, v14
	v_cmp_gt_i64_e32 vcc, 0, v[3:4]
	v_not_b32_e32 v4, v4
	v_ashrrev_i32_e32 v4, 31, v4
	v_and_b32_e32 v14, exec_lo, v14
	v_xor_b32_e32 v81, vcc_hi, v4
	v_xor_b32_e32 v4, vcc_lo, v4
	v_and_b32_e32 v14, v14, v4
	v_lshlrev_b32_e32 v4, 29, v13
	v_cmp_gt_i64_e32 vcc, 0, v[3:4]
	v_not_b32_e32 v4, v4
	v_ashrrev_i32_e32 v4, 31, v4
	v_and_b32_e32 v79, v79, v81
	v_xor_b32_e32 v81, vcc_hi, v4
	v_xor_b32_e32 v4, vcc_lo, v4
	v_and_b32_e32 v14, v14, v4
	v_lshlrev_b32_e32 v4, 28, v13
	v_cmp_gt_i64_e32 vcc, 0, v[3:4]
	v_not_b32_e32 v4, v4
	v_ashrrev_i32_e32 v4, 31, v4
	v_and_b32_e32 v79, v79, v81
	;; [unrolled: 8-line block ×5, first 2 shown]
	v_xor_b32_e32 v81, vcc_hi, v4
	v_xor_b32_e32 v4, vcc_lo, v4
	v_and_b32_e32 v79, v79, v81
	v_and_b32_e32 v81, v14, v4
	v_lshlrev_b32_e32 v4, 24, v13
	v_cmp_gt_i64_e32 vcc, 0, v[3:4]
	v_not_b32_e32 v4, v4
	v_ashrrev_i32_e32 v4, 31, v4
	v_mul_u32_u24_e32 v80, 20, v13
	v_xor_b32_e32 v13, vcc_hi, v4
	v_xor_b32_e32 v4, vcc_lo, v4
	v_and_b32_e32 v14, v79, v13
	v_and_b32_e32 v13, v81, v4
	v_mbcnt_lo_u32_b32 v4, v13, 0
	v_mbcnt_hi_u32_b32 v79, v14, v4
	v_cmp_ne_u64_e32 vcc, 0, v[13:14]
	v_cmp_eq_u32_e64 s[38:39], 0, v79
	s_and_b64 s[40:41], vcc, s[38:39]
	v_add_u32_e32 v82, v71, v80
	; wave barrier
	s_and_saveexec_b64 s[38:39], s[40:41]
	s_cbranch_execz .LBB398_62
; %bb.61:                               ;   in Loop: Header=BB398_48 Depth=2
	v_bcnt_u32_b32 v4, v13, 0
	v_bcnt_u32_b32 v4, v14, v4
	s_waitcnt lgkmcnt(0)
	v_add_u32_e32 v4, v77, v4
	ds_write_b32 v82, v4 offset:1040
.LBB398_62:                             ;   in Loop: Header=BB398_48 Depth=2
	s_or_b64 exec, exec, s[38:39]
	v_xor_b32_e32 v80, 0xffffff80, v16
	v_lshrrev_b32_sdwa v4, s7, v80 dst_sel:DWORD dst_unused:UNUSED_PAD src0_sel:DWORD src1_sel:BYTE_0
	v_and_b32_e32 v13, s58, v4
	v_mad_u32_u24 v4, v13, 20, v71
	; wave barrier
	ds_read_b32 v81, v4 offset:1040
	v_and_b32_e32 v4, 1, v13
	v_add_co_u32_e32 v14, vcc, -1, v4
	v_addc_co_u32_e64 v83, s[38:39], 0, -1, vcc
	v_cmp_ne_u32_e32 vcc, 0, v4
	v_xor_b32_e32 v4, vcc_hi, v83
	v_and_b32_e32 v83, exec_hi, v4
	v_lshlrev_b32_e32 v4, 30, v13
	v_xor_b32_e32 v14, vcc_lo, v14
	v_cmp_gt_i64_e32 vcc, 0, v[3:4]
	v_not_b32_e32 v4, v4
	v_ashrrev_i32_e32 v4, 31, v4
	v_and_b32_e32 v14, exec_lo, v14
	v_xor_b32_e32 v84, vcc_hi, v4
	v_xor_b32_e32 v4, vcc_lo, v4
	v_and_b32_e32 v14, v14, v4
	v_lshlrev_b32_e32 v4, 29, v13
	v_cmp_gt_i64_e32 vcc, 0, v[3:4]
	v_not_b32_e32 v4, v4
	v_ashrrev_i32_e32 v4, 31, v4
	v_and_b32_e32 v83, v83, v84
	v_xor_b32_e32 v84, vcc_hi, v4
	v_xor_b32_e32 v4, vcc_lo, v4
	v_and_b32_e32 v14, v14, v4
	v_lshlrev_b32_e32 v4, 28, v13
	v_cmp_gt_i64_e32 vcc, 0, v[3:4]
	v_not_b32_e32 v4, v4
	v_ashrrev_i32_e32 v4, 31, v4
	v_and_b32_e32 v83, v83, v84
	v_xor_b32_e32 v84, vcc_hi, v4
	v_xor_b32_e32 v4, vcc_lo, v4
	v_and_b32_e32 v14, v14, v4
	v_lshlrev_b32_e32 v4, 27, v13
	v_cmp_gt_i64_e32 vcc, 0, v[3:4]
	v_not_b32_e32 v4, v4
	v_ashrrev_i32_e32 v4, 31, v4
	v_and_b32_e32 v83, v83, v84
	v_xor_b32_e32 v84, vcc_hi, v4
	v_xor_b32_e32 v4, vcc_lo, v4
	v_and_b32_e32 v14, v14, v4
	v_lshlrev_b32_e32 v4, 26, v13
	v_cmp_gt_i64_e32 vcc, 0, v[3:4]
	v_not_b32_e32 v4, v4
	v_ashrrev_i32_e32 v4, 31, v4
	v_and_b32_e32 v83, v83, v84
	v_xor_b32_e32 v84, vcc_hi, v4
	v_xor_b32_e32 v4, vcc_lo, v4
	v_and_b32_e32 v14, v14, v4
	v_lshlrev_b32_e32 v4, 25, v13
	v_cmp_gt_i64_e32 vcc, 0, v[3:4]
	v_not_b32_e32 v4, v4
	v_ashrrev_i32_e32 v4, 31, v4
	v_and_b32_e32 v83, v83, v84
	v_xor_b32_e32 v84, vcc_hi, v4
	v_xor_b32_e32 v4, vcc_lo, v4
	v_and_b32_e32 v83, v83, v84
	v_and_b32_e32 v84, v14, v4
	v_lshlrev_b32_e32 v4, 24, v13
	v_cmp_gt_i64_e32 vcc, 0, v[3:4]
	v_not_b32_e32 v4, v4
	v_ashrrev_i32_e32 v4, 31, v4
	v_mul_u32_u24_e32 v16, 20, v13
	v_xor_b32_e32 v13, vcc_hi, v4
	v_xor_b32_e32 v4, vcc_lo, v4
	v_and_b32_e32 v14, v83, v13
	v_and_b32_e32 v13, v84, v4
	v_mbcnt_lo_u32_b32 v4, v13, 0
	v_mbcnt_hi_u32_b32 v83, v14, v4
	v_cmp_ne_u64_e32 vcc, 0, v[13:14]
	v_cmp_eq_u32_e64 s[38:39], 0, v83
	s_and_b64 s[40:41], vcc, s[38:39]
	v_add_u32_e32 v86, v71, v16
	; wave barrier
	s_and_saveexec_b64 s[38:39], s[40:41]
	s_cbranch_execz .LBB398_64
; %bb.63:                               ;   in Loop: Header=BB398_48 Depth=2
	v_bcnt_u32_b32 v4, v13, 0
	v_bcnt_u32_b32 v4, v14, v4
	s_waitcnt lgkmcnt(0)
	v_add_u32_e32 v4, v81, v4
	ds_write_b32 v86, v4 offset:1040
.LBB398_64:                             ;   in Loop: Header=BB398_48 Depth=2
	s_or_b64 exec, exec, s[38:39]
	v_xor_b32_e32 v84, 0xffffff80, v15
	v_lshrrev_b32_sdwa v4, s7, v84 dst_sel:DWORD dst_unused:UNUSED_PAD src0_sel:DWORD src1_sel:BYTE_0
	v_and_b32_e32 v13, s58, v4
	v_mad_u32_u24 v4, v13, 20, v71
	; wave barrier
	ds_read_b32 v85, v4 offset:1040
	v_and_b32_e32 v4, 1, v13
	v_add_co_u32_e32 v14, vcc, -1, v4
	v_addc_co_u32_e64 v16, s[38:39], 0, -1, vcc
	v_cmp_ne_u32_e32 vcc, 0, v4
	v_xor_b32_e32 v4, vcc_hi, v16
	v_and_b32_e32 v16, exec_hi, v4
	v_lshlrev_b32_e32 v4, 30, v13
	v_xor_b32_e32 v14, vcc_lo, v14
	v_cmp_gt_i64_e32 vcc, 0, v[3:4]
	v_not_b32_e32 v4, v4
	v_ashrrev_i32_e32 v4, 31, v4
	v_and_b32_e32 v14, exec_lo, v14
	v_xor_b32_e32 v87, vcc_hi, v4
	v_xor_b32_e32 v4, vcc_lo, v4
	v_and_b32_e32 v14, v14, v4
	v_lshlrev_b32_e32 v4, 29, v13
	v_cmp_gt_i64_e32 vcc, 0, v[3:4]
	v_not_b32_e32 v4, v4
	v_ashrrev_i32_e32 v4, 31, v4
	v_and_b32_e32 v16, v16, v87
	v_xor_b32_e32 v87, vcc_hi, v4
	v_xor_b32_e32 v4, vcc_lo, v4
	v_and_b32_e32 v14, v14, v4
	v_lshlrev_b32_e32 v4, 28, v13
	v_cmp_gt_i64_e32 vcc, 0, v[3:4]
	v_not_b32_e32 v4, v4
	v_ashrrev_i32_e32 v4, 31, v4
	v_and_b32_e32 v16, v16, v87
	;; [unrolled: 8-line block ×5, first 2 shown]
	v_xor_b32_e32 v87, vcc_hi, v4
	v_xor_b32_e32 v4, vcc_lo, v4
	v_and_b32_e32 v16, v16, v87
	v_and_b32_e32 v87, v14, v4
	v_lshlrev_b32_e32 v4, 24, v13
	v_cmp_gt_i64_e32 vcc, 0, v[3:4]
	v_not_b32_e32 v4, v4
	v_ashrrev_i32_e32 v4, 31, v4
	v_mul_u32_u24_e32 v15, 20, v13
	v_xor_b32_e32 v13, vcc_hi, v4
	v_xor_b32_e32 v4, vcc_lo, v4
	v_and_b32_e32 v14, v16, v13
	v_and_b32_e32 v13, v87, v4
	v_mbcnt_lo_u32_b32 v4, v13, 0
	v_mbcnt_hi_u32_b32 v4, v14, v4
	v_cmp_ne_u64_e32 vcc, 0, v[13:14]
	v_cmp_eq_u32_e64 s[38:39], 0, v4
	s_and_b64 s[40:41], vcc, s[38:39]
	v_add_u32_e32 v87, v71, v15
	; wave barrier
	s_and_saveexec_b64 s[38:39], s[40:41]
	s_cbranch_execz .LBB398_66
; %bb.65:                               ;   in Loop: Header=BB398_48 Depth=2
	v_bcnt_u32_b32 v13, v13, 0
	v_bcnt_u32_b32 v13, v14, v13
	s_waitcnt lgkmcnt(0)
	v_add_u32_e32 v13, v85, v13
	ds_write_b32 v87, v13 offset:1040
.LBB398_66:                             ;   in Loop: Header=BB398_48 Depth=2
	s_or_b64 exec, exec, s[38:39]
	; wave barrier
	s_waitcnt lgkmcnt(0)
	s_barrier
	ds_read2_b32 v[15:16], v53 offset1:1
	ds_read2_b32 v[13:14], v54 offset1:1
	ds_read_b32 v88, v50 offset:1056
	s_waitcnt lgkmcnt(1)
	v_add3_u32 v89, v16, v15, v13
	s_waitcnt lgkmcnt(0)
	v_add3_u32 v88, v89, v14, v88
	s_nop 1
	v_mov_b32_dpp v89, v88 row_shr:1 row_mask:0xf bank_mask:0xf
	v_cndmask_b32_e64 v89, v89, 0, s[18:19]
	v_add_u32_e32 v88, v89, v88
	s_nop 1
	v_mov_b32_dpp v89, v88 row_shr:2 row_mask:0xf bank_mask:0xf
	v_cndmask_b32_e64 v89, 0, v89, s[20:21]
	v_add_u32_e32 v88, v88, v89
	;; [unrolled: 4-line block ×4, first 2 shown]
	s_nop 1
	v_mov_b32_dpp v89, v88 row_bcast:15 row_mask:0xf bank_mask:0xf
	v_cndmask_b32_e64 v89, v89, 0, s[26:27]
	v_add_u32_e32 v88, v88, v89
	s_nop 1
	v_mov_b32_dpp v89, v88 row_bcast:31 row_mask:0xf bank_mask:0xf
	v_cndmask_b32_e64 v89, 0, v89, s[28:29]
	v_add_u32_e32 v88, v88, v89
	s_and_saveexec_b64 s[38:39], s[8:9]
; %bb.67:                               ;   in Loop: Header=BB398_48 Depth=2
	ds_write_b32 v26, v88 offset:1024
; %bb.68:                               ;   in Loop: Header=BB398_48 Depth=2
	s_or_b64 exec, exec, s[38:39]
	s_waitcnt lgkmcnt(0)
	s_barrier
	s_and_saveexec_b64 s[38:39], s[10:11]
	s_cbranch_execz .LBB398_70
; %bb.69:                               ;   in Loop: Header=BB398_48 Depth=2
	v_add_u32_e32 v89, v50, v28
	ds_read_b32 v90, v89 offset:1024
	s_waitcnt lgkmcnt(0)
	s_nop 0
	v_mov_b32_dpp v91, v90 row_shr:1 row_mask:0xf bank_mask:0xf
	v_cndmask_b32_e64 v91, v91, 0, s[34:35]
	v_add_u32_e32 v90, v91, v90
	s_nop 1
	v_mov_b32_dpp v91, v90 row_shr:2 row_mask:0xf bank_mask:0xf
	v_cndmask_b32_e64 v91, 0, v91, s[36:37]
	v_add_u32_e32 v90, v90, v91
	ds_write_b32 v89, v90 offset:1024
.LBB398_70:                             ;   in Loop: Header=BB398_48 Depth=2
	s_or_b64 exec, exec, s[38:39]
	v_mov_b32_e32 v89, 0
	s_waitcnt lgkmcnt(0)
	s_barrier
	s_and_saveexec_b64 s[38:39], s[12:13]
; %bb.71:                               ;   in Loop: Header=BB398_48 Depth=2
	ds_read_b32 v89, v26 offset:1020
; %bb.72:                               ;   in Loop: Header=BB398_48 Depth=2
	s_or_b64 exec, exec, s[38:39]
	s_waitcnt lgkmcnt(0)
	v_add_u32_e32 v88, v89, v88
	ds_bpermute_b32 v88, v64, v88
	s_waitcnt lgkmcnt(0)
	v_cndmask_b32_e64 v88, v88, v89, s[30:31]
	v_cndmask_b32_e64 v88, v88, 0, s[14:15]
	v_add_u32_e32 v15, v88, v15
	v_add_u32_e32 v16, v15, v16
	;; [unrolled: 1-line block ×4, first 2 shown]
	ds_write2_b32 v53, v88, v15 offset1:1
	ds_write2_b32 v54, v16, v13 offset1:1
	ds_write_b32 v50, v14 offset:1056
	s_waitcnt lgkmcnt(0)
	s_barrier
	ds_read_b32 v13, v78 offset:1040
	ds_read_b32 v14, v82 offset:1040
	;; [unrolled: 1-line block ×5, first 2 shown]
	v_mov_b32_e32 v78, 0x400
	s_and_saveexec_b64 s[38:39], s[16:17]
; %bb.73:                               ;   in Loop: Header=BB398_48 Depth=2
	ds_read_b32 v78, v50 offset:1060
; %bb.74:                               ;   in Loop: Header=BB398_48 Depth=2
	s_or_b64 exec, exec, s[38:39]
	s_waitcnt lgkmcnt(0)
	s_barrier
	s_and_saveexec_b64 s[38:39], s[4:5]
	s_cbranch_execz .LBB398_76
; %bb.75:                               ;   in Loop: Header=BB398_48 Depth=2
	ds_read_b32 v86, v18
	s_waitcnt lgkmcnt(0)
	v_sub_u32_e32 v15, v86, v15
	ds_write_b32 v18, v15
.LBB398_76:                             ;   in Loop: Header=BB398_48 Depth=2
	s_or_b64 exec, exec, s[38:39]
	v_add_u32_e32 v15, v13, v75
	v_add3_u32 v14, v79, v77, v14
	v_add3_u32 v13, v83, v81, v16
	;; [unrolled: 1-line block ×3, first 2 shown]
	v_cmp_lt_u32_e64 s[42:43], v0, v74
	ds_write_b8 v15, v17 offset:1024
	ds_write_b8 v14, v76 offset:1024
	;; [unrolled: 1-line block ×4, first 2 shown]
	s_waitcnt lgkmcnt(0)
	s_barrier
	s_and_saveexec_b64 s[38:39], s[42:43]
	s_cbranch_execnz .LBB398_97
; %bb.77:                               ;   in Loop: Header=BB398_48 Depth=2
	s_or_b64 exec, exec, s[38:39]
	v_cmp_lt_u32_e64 s[40:41], v19, v74
	s_and_saveexec_b64 s[38:39], s[40:41]
	s_cbranch_execnz .LBB398_98
.LBB398_78:                             ;   in Loop: Header=BB398_48 Depth=2
	s_or_b64 exec, exec, s[38:39]
	v_cmp_lt_u32_e64 s[38:39], v20, v74
	s_and_saveexec_b64 s[44:45], s[38:39]
	s_cbranch_execnz .LBB398_99
.LBB398_79:                             ;   in Loop: Header=BB398_48 Depth=2
	s_or_b64 exec, exec, s[44:45]
	v_cmp_lt_u32_e32 vcc, v21, v74
	s_and_saveexec_b64 s[44:45], vcc
	s_cbranch_execz .LBB398_81
.LBB398_80:                             ;   in Loop: Header=BB398_48 Depth=2
	ds_read_u8 v16, v0 offset:1792
	s_waitcnt lgkmcnt(0)
	v_lshrrev_b32_sdwa v17, s7, v16 dst_sel:DWORD dst_unused:UNUSED_PAD src0_sel:DWORD src1_sel:BYTE_0
	v_and_b32_e32 v17, s58, v17
	v_lshlrev_b32_e32 v17, 2, v17
	ds_read_b32 v17, v17
	v_xor_b32_e32 v16, 0x80, v16
	s_waitcnt lgkmcnt(0)
	v_add_u32_e32 v17, v17, v21
	global_store_byte v17, v16, s[50:51]
.LBB398_81:                             ;   in Loop: Header=BB398_48 Depth=2
	s_or_b64 exec, exec, s[44:45]
	s_lshl_b64 s[44:45], s[56:57], 3
	v_mov_b32_e32 v17, s45
	v_add_co_u32_e64 v16, s[44:45], s44, v65
	v_addc_co_u32_e64 v17, s[44:45], v66, v17, s[44:45]
	v_cmp_lt_u32_e64 s[44:45], v47, v74
	s_and_saveexec_b64 s[54:55], s[44:45]
	s_xor_b64 s[44:45], exec, s[54:55]
	s_cbranch_execnz .LBB398_100
; %bb.82:                               ;   in Loop: Header=BB398_48 Depth=2
	s_or_b64 exec, exec, s[44:45]
	v_cmp_lt_u32_e64 s[44:45], v61, v74
	s_and_saveexec_b64 s[54:55], s[44:45]
	s_cbranch_execnz .LBB398_101
.LBB398_83:                             ;   in Loop: Header=BB398_48 Depth=2
	s_or_b64 exec, exec, s[54:55]
	v_cmp_lt_u32_e64 s[44:45], v62, v74
	s_and_saveexec_b64 s[54:55], s[44:45]
	s_cbranch_execnz .LBB398_102
.LBB398_84:                             ;   in Loop: Header=BB398_48 Depth=2
	s_or_b64 exec, exec, s[54:55]
	v_cmp_lt_u32_e64 s[44:45], v63, v74
	s_and_saveexec_b64 s[54:55], s[44:45]
	s_cbranch_execnz .LBB398_103
.LBB398_85:                             ;   in Loop: Header=BB398_48 Depth=2
	s_or_b64 exec, exec, s[54:55]
	s_and_saveexec_b64 s[44:45], s[42:43]
	s_cbranch_execnz .LBB398_104
.LBB398_86:                             ;   in Loop: Header=BB398_48 Depth=2
	s_or_b64 exec, exec, s[44:45]
	s_and_saveexec_b64 s[44:45], s[40:41]
	s_cbranch_execnz .LBB398_105
.LBB398_87:                             ;   in Loop: Header=BB398_48 Depth=2
	s_or_b64 exec, exec, s[44:45]
	s_and_saveexec_b64 s[44:45], s[38:39]
	s_cbranch_execnz .LBB398_106
.LBB398_88:                             ;   in Loop: Header=BB398_48 Depth=2
	s_or_b64 exec, exec, s[44:45]
	s_and_saveexec_b64 s[44:45], vcc
	s_cbranch_execz .LBB398_90
.LBB398_89:                             ;   in Loop: Header=BB398_48 Depth=2
	ds_read_u8 v16, v0 offset:1792
	s_waitcnt lgkmcnt(0)
	v_lshrrev_b32_e32 v16, s7, v16
	v_and_b32_e32 v69, s58, v16
.LBB398_90:                             ;   in Loop: Header=BB398_48 Depth=2
	s_or_b64 exec, exec, s[44:45]
	v_mad_u64_u32 v[15:16], s[44:45], v15, 7, v[15:16]
	s_waitcnt vmcnt(0)
	v_mad_u64_u32 v[74:75], s[44:45], v4, 7, v[4:5]
	v_mad_u64_u32 v[16:17], s[44:45], v14, 7, v[14:15]
	;; [unrolled: 1-line block ×3, first 2 shown]
	s_barrier
	ds_write_b64 v15, v[11:12] offset:1024
	ds_write_b64 v16, v[9:10] offset:1024
	;; [unrolled: 1-line block ×4, first 2 shown]
	s_waitcnt lgkmcnt(0)
	s_barrier
	s_and_saveexec_b64 s[44:45], s[42:43]
	s_cbranch_execnz .LBB398_107
; %bb.91:                               ;   in Loop: Header=BB398_48 Depth=2
	s_or_b64 exec, exec, s[44:45]
	s_and_saveexec_b64 s[42:43], s[40:41]
	s_cbranch_execnz .LBB398_108
.LBB398_92:                             ;   in Loop: Header=BB398_48 Depth=2
	s_or_b64 exec, exec, s[42:43]
	s_and_saveexec_b64 s[40:41], s[38:39]
	s_cbranch_execnz .LBB398_109
.LBB398_93:                             ;   in Loop: Header=BB398_48 Depth=2
	s_or_b64 exec, exec, s[40:41]
	s_and_saveexec_b64 s[38:39], vcc
	s_cbranch_execz .LBB398_95
.LBB398_94:                             ;   in Loop: Header=BB398_48 Depth=2
	v_lshlrev_b32_e32 v4, 2, v69
	ds_read_b32 v4, v4
	v_add_u32_e32 v13, v0, v51
	ds_read_b64 v[13:14], v13 offset:7168
	v_mov_b32_e32 v16, v3
	v_mov_b32_e32 v17, s65
	s_waitcnt lgkmcnt(1)
	v_add_u32_e32 v15, v4, v21
	v_lshlrev_b64 v[15:16], 3, v[15:16]
	v_add_co_u32_e32 v15, vcc, s64, v15
	v_addc_co_u32_e32 v16, vcc, v17, v16, vcc
	s_waitcnt lgkmcnt(0)
	global_store_dwordx2 v[15:16], v[13:14], off
.LBB398_95:                             ;   in Loop: Header=BB398_48 Depth=2
	s_or_b64 exec, exec, s[38:39]
	s_waitcnt vmcnt(0)
	s_barrier
	s_and_saveexec_b64 s[38:39], s[4:5]
	s_cbranch_execz .LBB398_47
; %bb.96:                               ;   in Loop: Header=BB398_48 Depth=2
	ds_read_b32 v4, v18
	s_waitcnt lgkmcnt(0)
	v_add_u32_e32 v4, v4, v78
	ds_write_b32 v18, v4
	s_branch .LBB398_47
.LBB398_97:                             ;   in Loop: Header=BB398_48 Depth=2
	ds_read_u8 v16, v0 offset:1024
	s_waitcnt lgkmcnt(0)
	v_lshrrev_b32_sdwa v17, s7, v16 dst_sel:DWORD dst_unused:UNUSED_PAD src0_sel:DWORD src1_sel:BYTE_0
	v_and_b32_e32 v17, s58, v17
	v_lshlrev_b32_e32 v17, 2, v17
	ds_read_b32 v17, v17
	v_xor_b32_e32 v16, 0x80, v16
	s_waitcnt lgkmcnt(0)
	v_add_u32_e32 v17, v17, v0
	global_store_byte v17, v16, s[50:51]
	s_or_b64 exec, exec, s[38:39]
	v_cmp_lt_u32_e64 s[40:41], v19, v74
	s_and_saveexec_b64 s[38:39], s[40:41]
	s_cbranch_execz .LBB398_78
.LBB398_98:                             ;   in Loop: Header=BB398_48 Depth=2
	ds_read_u8 v16, v0 offset:1280
	s_waitcnt lgkmcnt(0)
	v_lshrrev_b32_sdwa v17, s7, v16 dst_sel:DWORD dst_unused:UNUSED_PAD src0_sel:DWORD src1_sel:BYTE_0
	v_and_b32_e32 v17, s58, v17
	v_lshlrev_b32_e32 v17, 2, v17
	ds_read_b32 v17, v17
	v_xor_b32_e32 v16, 0x80, v16
	s_waitcnt lgkmcnt(0)
	v_add_u32_e32 v17, v17, v19
	global_store_byte v17, v16, s[50:51]
	s_or_b64 exec, exec, s[38:39]
	v_cmp_lt_u32_e64 s[38:39], v20, v74
	s_and_saveexec_b64 s[44:45], s[38:39]
	s_cbranch_execz .LBB398_79
.LBB398_99:                             ;   in Loop: Header=BB398_48 Depth=2
	ds_read_u8 v16, v0 offset:1536
	s_waitcnt lgkmcnt(0)
	v_lshrrev_b32_sdwa v17, s7, v16 dst_sel:DWORD dst_unused:UNUSED_PAD src0_sel:DWORD src1_sel:BYTE_0
	v_and_b32_e32 v17, s58, v17
	v_lshlrev_b32_e32 v17, 2, v17
	ds_read_b32 v17, v17
	v_xor_b32_e32 v16, 0x80, v16
	s_waitcnt lgkmcnt(0)
	v_add_u32_e32 v17, v17, v20
	global_store_byte v17, v16, s[50:51]
	s_or_b64 exec, exec, s[44:45]
	v_cmp_lt_u32_e32 vcc, v21, v74
	s_and_saveexec_b64 s[44:45], vcc
	s_cbranch_execnz .LBB398_80
	s_branch .LBB398_81
.LBB398_100:                            ;   in Loop: Header=BB398_48 Depth=2
	global_load_dwordx2 v[11:12], v[16:17], off
	s_or_b64 exec, exec, s[44:45]
	v_cmp_lt_u32_e64 s[44:45], v61, v74
	s_and_saveexec_b64 s[54:55], s[44:45]
	s_cbranch_execz .LBB398_83
.LBB398_101:                            ;   in Loop: Header=BB398_48 Depth=2
	global_load_dwordx2 v[9:10], v[16:17], off offset:512
	s_or_b64 exec, exec, s[54:55]
	v_cmp_lt_u32_e64 s[44:45], v62, v74
	s_and_saveexec_b64 s[54:55], s[44:45]
	s_cbranch_execz .LBB398_84
.LBB398_102:                            ;   in Loop: Header=BB398_48 Depth=2
	global_load_dwordx2 v[7:8], v[16:17], off offset:1024
	s_or_b64 exec, exec, s[54:55]
	v_cmp_lt_u32_e64 s[44:45], v63, v74
	s_and_saveexec_b64 s[54:55], s[44:45]
	s_cbranch_execz .LBB398_85
.LBB398_103:                            ;   in Loop: Header=BB398_48 Depth=2
	global_load_dwordx2 v[5:6], v[16:17], off offset:1536
	s_or_b64 exec, exec, s[54:55]
	s_and_saveexec_b64 s[44:45], s[42:43]
	s_cbranch_execz .LBB398_86
.LBB398_104:                            ;   in Loop: Header=BB398_48 Depth=2
	ds_read_u8 v16, v0 offset:1024
	s_waitcnt lgkmcnt(0)
	v_lshrrev_b32_e32 v16, s7, v16
	v_and_b32_e32 v73, s58, v16
	s_or_b64 exec, exec, s[44:45]
	s_and_saveexec_b64 s[44:45], s[40:41]
	s_cbranch_execz .LBB398_87
.LBB398_105:                            ;   in Loop: Header=BB398_48 Depth=2
	ds_read_u8 v16, v0 offset:1280
	s_waitcnt lgkmcnt(0)
	v_lshrrev_b32_e32 v16, s7, v16
	v_and_b32_e32 v72, s58, v16
	s_or_b64 exec, exec, s[44:45]
	s_and_saveexec_b64 s[44:45], s[38:39]
	s_cbranch_execz .LBB398_88
.LBB398_106:                            ;   in Loop: Header=BB398_48 Depth=2
	ds_read_u8 v16, v0 offset:1536
	s_waitcnt lgkmcnt(0)
	v_lshrrev_b32_e32 v16, s7, v16
	v_and_b32_e32 v70, s58, v16
	s_or_b64 exec, exec, s[44:45]
	s_and_saveexec_b64 s[44:45], vcc
	s_cbranch_execnz .LBB398_89
	s_branch .LBB398_90
.LBB398_107:                            ;   in Loop: Header=BB398_48 Depth=2
	v_lshlrev_b32_e32 v4, 2, v73
	ds_read_b32 v4, v4
	v_add_u32_e32 v13, v0, v51
	ds_read_b64 v[13:14], v13 offset:1024
	v_mov_b32_e32 v16, v3
	v_mov_b32_e32 v17, s65
	s_waitcnt lgkmcnt(1)
	v_add_u32_e32 v15, v4, v0
	v_lshlrev_b64 v[15:16], 3, v[15:16]
	v_add_co_u32_e64 v15, s[42:43], s64, v15
	v_addc_co_u32_e64 v16, s[42:43], v17, v16, s[42:43]
	s_waitcnt lgkmcnt(0)
	global_store_dwordx2 v[15:16], v[13:14], off
	s_or_b64 exec, exec, s[44:45]
	s_and_saveexec_b64 s[42:43], s[40:41]
	s_cbranch_execz .LBB398_92
.LBB398_108:                            ;   in Loop: Header=BB398_48 Depth=2
	v_lshlrev_b32_e32 v4, 2, v72
	ds_read_b32 v4, v4
	v_add_u32_e32 v13, v0, v51
	ds_read_b64 v[13:14], v13 offset:3072
	v_mov_b32_e32 v16, v3
	v_mov_b32_e32 v17, s65
	s_waitcnt lgkmcnt(1)
	v_add_u32_e32 v15, v4, v19
	v_lshlrev_b64 v[15:16], 3, v[15:16]
	v_add_co_u32_e64 v15, s[40:41], s64, v15
	v_addc_co_u32_e64 v16, s[40:41], v17, v16, s[40:41]
	s_waitcnt lgkmcnt(0)
	global_store_dwordx2 v[15:16], v[13:14], off
	s_or_b64 exec, exec, s[42:43]
	s_and_saveexec_b64 s[40:41], s[38:39]
	s_cbranch_execz .LBB398_93
.LBB398_109:                            ;   in Loop: Header=BB398_48 Depth=2
	v_lshlrev_b32_e32 v4, 2, v70
	ds_read_b32 v4, v4
	v_add_u32_e32 v13, v0, v51
	ds_read_b64 v[13:14], v13 offset:5120
	v_mov_b32_e32 v16, v3
	v_mov_b32_e32 v17, s65
	s_waitcnt lgkmcnt(1)
	v_add_u32_e32 v15, v4, v20
	v_lshlrev_b64 v[15:16], 3, v[15:16]
	v_add_co_u32_e64 v15, s[38:39], s64, v15
	v_addc_co_u32_e64 v16, s[38:39], v17, v16, s[38:39]
	s_waitcnt lgkmcnt(0)
	global_store_dwordx2 v[15:16], v[13:14], off
	s_or_b64 exec, exec, s[40:41]
	s_and_saveexec_b64 s[38:39], vcc
	s_cbranch_execnz .LBB398_94
	s_branch .LBB398_95
.LBB398_110:                            ;   in Loop: Header=BB398_48 Depth=2
	global_load_ubyte v4, v[13:14], off
	v_mov_b32_e32 v15, 0x7f
	v_mov_b32_e32 v76, 0x7f
	;; [unrolled: 1-line block ×3, first 2 shown]
	s_or_b64 exec, exec, s[38:39]
	v_cmp_gt_u32_e32 vcc, s59, v61
	s_and_saveexec_b64 s[38:39], vcc
	s_cbranch_execz .LBB398_53
.LBB398_111:                            ;   in Loop: Header=BB398_48 Depth=2
	global_load_ubyte v76, v[13:14], off offset:64
	s_or_b64 exec, exec, s[38:39]
	v_cmp_gt_u32_e32 vcc, s59, v62
	s_and_saveexec_b64 s[38:39], vcc
	s_cbranch_execnz .LBB398_54
	s_branch .LBB398_55
.LBB398_112:                            ;   in Loop: Header=BB398_12 Depth=1
	s_waitcnt lgkmcnt(0)
	s_barrier
	s_mov_b64 s[18:19], 0
.LBB398_113:                            ;   in Loop: Header=BB398_12 Depth=1
	s_and_b64 vcc, exec, s[18:19]
	s_cbranch_vccz .LBB398_213
; %bb.114:                              ;   in Loop: Header=BB398_12 Depth=1
	v_mov_b32_e32 v4, 0
	s_mov_b32 s20, s71
	s_mov_b32 s22, s74
	v_mov_b32_e32 v7, 0
	v_mov_b32_e32 v6, 0
	;; [unrolled: 1-line block ×3, first 2 shown]
	s_barrier
	s_branch .LBB398_116
.LBB398_115:                            ;   in Loop: Header=BB398_116 Depth=2
	s_or_b64 exec, exec, s[18:19]
	s_addk_i32 s20, 0xfc00
	s_cmp_ge_u32 s21, s75
	s_mov_b32 s22, s21
	s_cbranch_scc1 .LBB398_136
.LBB398_116:                            ;   Parent Loop BB398_12 Depth=1
                                        ; =>  This Inner Loop Header: Depth=2
	s_add_i32 s21, s22, 0x400
	s_cmp_gt_u32 s21, s75
	s_mov_b64 s[18:19], -1
                                        ; implicit-def: $vgpr8
                                        ; implicit-def: $vgpr9
                                        ; implicit-def: $vgpr10
                                        ; implicit-def: $vgpr11
	s_cbranch_scc1 .LBB398_118
; %bb.117:                              ;   in Loop: Header=BB398_116 Depth=2
	v_add_co_u32_e32 v12, vcc, s22, v33
	v_addc_co_u32_e32 v13, vcc, 0, v34, vcc
	global_load_ubyte v11, v[12:13], off offset:768
	global_load_ubyte v10, v[12:13], off offset:512
	;; [unrolled: 1-line block ×3, first 2 shown]
	global_load_ubyte v8, v[12:13], off
	s_mov_b64 s[18:19], 0
.LBB398_118:                            ;   in Loop: Header=BB398_116 Depth=2
	s_andn2_b64 vcc, exec, s[18:19]
	s_movk_i32 s23, 0x400
	s_cbranch_vccnz .LBB398_125
; %bb.119:                              ;   in Loop: Header=BB398_116 Depth=2
	s_add_u32 s22, s50, s22
	s_addc_u32 s23, s51, 0
	v_cmp_gt_u32_e32 vcc, s20, v0
	s_and_saveexec_b64 s[18:19], vcc
	s_cbranch_execnz .LBB398_133
; %bb.120:                              ;   in Loop: Header=BB398_116 Depth=2
	s_or_b64 exec, exec, s[18:19]
	v_cmp_gt_u32_e32 vcc, s20, v19
	s_and_saveexec_b64 s[18:19], vcc
	s_cbranch_execnz .LBB398_134
.LBB398_121:                            ;   in Loop: Header=BB398_116 Depth=2
	s_or_b64 exec, exec, s[18:19]
	v_cmp_gt_u32_e32 vcc, s20, v20
	s_and_saveexec_b64 s[18:19], vcc
	s_cbranch_execnz .LBB398_135
.LBB398_122:                            ;   in Loop: Header=BB398_116 Depth=2
	s_or_b64 exec, exec, s[18:19]
	v_cmp_gt_u32_e32 vcc, s20, v21
	s_and_saveexec_b64 s[18:19], vcc
	s_cbranch_execz .LBB398_124
.LBB398_123:                            ;   in Loop: Header=BB398_116 Depth=2
	v_mov_b32_e32 v5, s23
	s_waitcnt vmcnt(0)
	v_add_co_u32_e32 v8, vcc, s22, v0
	v_addc_co_u32_e32 v9, vcc, 0, v5, vcc
	global_load_ubyte v5, v[8:9], off offset:768
.LBB398_124:                            ;   in Loop: Header=BB398_116 Depth=2
	s_or_b64 exec, exec, s[18:19]
	s_mov_b32 s23, s20
	s_waitcnt vmcnt(0)
	v_mov_b32_e32 v8, v4
	v_mov_b32_e32 v9, v7
	v_mov_b32_e32 v10, v6
	v_mov_b32_e32 v11, v5
.LBB398_125:                            ;   in Loop: Header=BB398_116 Depth=2
	s_waitcnt vmcnt(3)
	v_mov_b32_e32 v5, v11
	s_waitcnt vmcnt(2)
	v_mov_b32_e32 v6, v10
	;; [unrolled: 2-line block ×4, first 2 shown]
	v_cmp_gt_u32_e32 vcc, s23, v0
	s_and_saveexec_b64 s[18:19], vcc
	s_cbranch_execnz .LBB398_129
; %bb.126:                              ;   in Loop: Header=BB398_116 Depth=2
	s_or_b64 exec, exec, s[18:19]
	v_cmp_gt_u32_e32 vcc, s23, v19
	s_and_saveexec_b64 s[18:19], vcc
	s_cbranch_execnz .LBB398_130
.LBB398_127:                            ;   in Loop: Header=BB398_116 Depth=2
	s_or_b64 exec, exec, s[18:19]
	v_cmp_gt_u32_e32 vcc, s23, v20
	s_and_saveexec_b64 s[18:19], vcc
	s_cbranch_execnz .LBB398_131
.LBB398_128:                            ;   in Loop: Header=BB398_116 Depth=2
	s_or_b64 exec, exec, s[18:19]
	v_cmp_gt_u32_e32 vcc, s23, v21
	s_and_saveexec_b64 s[18:19], vcc
	s_cbranch_execz .LBB398_115
	s_branch .LBB398_132
.LBB398_129:                            ;   in Loop: Header=BB398_116 Depth=2
	v_xor_b32_e32 v8, 0x80, v4
	v_lshrrev_b32_sdwa v8, s7, v8 dst_sel:DWORD dst_unused:UNUSED_PAD src0_sel:DWORD src1_sel:BYTE_0
	v_and_b32_e32 v8, s58, v8
	v_lshl_or_b32 v8, v8, 4, v24
	ds_add_u32 v8, v52
	s_or_b64 exec, exec, s[18:19]
	v_cmp_gt_u32_e32 vcc, s23, v19
	s_and_saveexec_b64 s[18:19], vcc
	s_cbranch_execz .LBB398_127
.LBB398_130:                            ;   in Loop: Header=BB398_116 Depth=2
	v_xor_b32_e32 v8, 0x80, v7
	v_lshrrev_b32_sdwa v8, s7, v8 dst_sel:DWORD dst_unused:UNUSED_PAD src0_sel:DWORD src1_sel:BYTE_0
	v_and_b32_e32 v8, s58, v8
	v_lshl_or_b32 v8, v8, 4, v24
	ds_add_u32 v8, v52
	s_or_b64 exec, exec, s[18:19]
	v_cmp_gt_u32_e32 vcc, s23, v20
	s_and_saveexec_b64 s[18:19], vcc
	s_cbranch_execz .LBB398_128
.LBB398_131:                            ;   in Loop: Header=BB398_116 Depth=2
	v_xor_b32_e32 v8, 0x80, v6
	v_lshrrev_b32_sdwa v8, s7, v8 dst_sel:DWORD dst_unused:UNUSED_PAD src0_sel:DWORD src1_sel:BYTE_0
	v_and_b32_e32 v8, s58, v8
	v_lshl_or_b32 v8, v8, 4, v24
	ds_add_u32 v8, v52
	s_or_b64 exec, exec, s[18:19]
	v_cmp_gt_u32_e32 vcc, s23, v21
	s_and_saveexec_b64 s[18:19], vcc
	s_cbranch_execz .LBB398_115
.LBB398_132:                            ;   in Loop: Header=BB398_116 Depth=2
	v_xor_b32_e32 v8, 0x80, v5
	v_lshrrev_b32_sdwa v8, s7, v8 dst_sel:DWORD dst_unused:UNUSED_PAD src0_sel:DWORD src1_sel:BYTE_0
	v_and_b32_e32 v8, s58, v8
	v_lshl_or_b32 v8, v8, 4, v24
	ds_add_u32 v8, v52
	s_branch .LBB398_115
.LBB398_133:                            ;   in Loop: Header=BB398_116 Depth=2
	v_mov_b32_e32 v4, s23
	s_waitcnt vmcnt(0)
	v_add_co_u32_e32 v8, vcc, s22, v0
	v_addc_co_u32_e32 v9, vcc, 0, v4, vcc
	global_load_ubyte v4, v[8:9], off
	s_or_b64 exec, exec, s[18:19]
	v_cmp_gt_u32_e32 vcc, s20, v19
	s_and_saveexec_b64 s[18:19], vcc
	s_cbranch_execz .LBB398_121
.LBB398_134:                            ;   in Loop: Header=BB398_116 Depth=2
	s_waitcnt vmcnt(0)
	v_mov_b32_e32 v8, s23
	v_add_co_u32_e32 v7, vcc, s22, v0
	v_addc_co_u32_e32 v8, vcc, 0, v8, vcc
	global_load_ubyte v7, v[7:8], off offset:256
	s_or_b64 exec, exec, s[18:19]
	v_cmp_gt_u32_e32 vcc, s20, v20
	s_and_saveexec_b64 s[18:19], vcc
	s_cbranch_execz .LBB398_122
.LBB398_135:                            ;   in Loop: Header=BB398_116 Depth=2
	v_mov_b32_e32 v6, s23
	s_waitcnt vmcnt(0)
	v_add_co_u32_e32 v8, vcc, s22, v0
	v_addc_co_u32_e32 v9, vcc, 0, v6, vcc
	global_load_ubyte v6, v[8:9], off offset:512
	s_or_b64 exec, exec, s[18:19]
	v_cmp_gt_u32_e32 vcc, s20, v21
	s_and_saveexec_b64 s[18:19], vcc
	s_cbranch_execnz .LBB398_123
	s_branch .LBB398_124
.LBB398_136:                            ;   in Loop: Header=BB398_12 Depth=1
	v_mov_b32_e32 v4, 0
	s_waitcnt lgkmcnt(0)
	s_barrier
	s_and_saveexec_b64 s[18:19], s[4:5]
	s_cbranch_execz .LBB398_138
; %bb.137:                              ;   in Loop: Header=BB398_12 Depth=1
	ds_read2_b64 v[4:7], v25 offset1:1
	s_waitcnt lgkmcnt(0)
	v_add_u32_e32 v4, v5, v4
	v_add3_u32 v4, v4, v6, v7
.LBB398_138:                            ;   in Loop: Header=BB398_12 Depth=1
	s_or_b64 exec, exec, s[18:19]
	s_nop 0
	v_mov_b32_dpp v5, v4 row_shr:1 row_mask:0xf bank_mask:0xf
	v_cmp_eq_u32_e64 s[18:19], 0, v55
	v_cndmask_b32_e64 v5, v5, 0, s[18:19]
	v_add_u32_e32 v4, v5, v4
	v_cmp_lt_u32_e64 s[20:21], 1, v55
	v_cmp_lt_u32_e64 s[22:23], 3, v55
	v_mov_b32_dpp v5, v4 row_shr:2 row_mask:0xf bank_mask:0xf
	v_cndmask_b32_e64 v5, 0, v5, s[20:21]
	v_add_u32_e32 v4, v4, v5
	v_cmp_lt_u32_e64 s[24:25], 7, v55
	v_cmp_lt_u32_e64 s[28:29], 31, v45
	v_mov_b32_dpp v5, v4 row_shr:4 row_mask:0xf bank_mask:0xf
	v_cndmask_b32_e64 v5, 0, v5, s[22:23]
	v_add_u32_e32 v4, v4, v5
	v_cmp_eq_u32_e64 s[26:27], 0, v57
	s_nop 0
	v_mov_b32_dpp v5, v4 row_shr:8 row_mask:0xf bank_mask:0xf
	v_cndmask_b32_e64 v5, 0, v5, s[24:25]
	v_add_u32_e32 v4, v4, v5
	s_nop 1
	v_mov_b32_dpp v5, v4 row_bcast:15 row_mask:0xf bank_mask:0xf
	v_and_b32_e32 v5, v56, v5
	v_add_u32_e32 v4, v4, v5
	s_nop 1
	v_mov_b32_dpp v5, v4 row_bcast:31 row_mask:0xf bank_mask:0xf
	v_cndmask_b32_e64 v5, 0, v5, s[28:29]
	v_add_u32_e32 v4, v4, v5
	s_and_saveexec_b64 s[30:31], s[8:9]
; %bb.139:                              ;   in Loop: Header=BB398_12 Depth=1
	ds_write_b32 v27, v4
; %bb.140:                              ;   in Loop: Header=BB398_12 Depth=1
	s_or_b64 exec, exec, s[30:31]
	s_waitcnt lgkmcnt(0)
	s_barrier
	s_and_saveexec_b64 s[30:31], s[10:11]
	s_cbranch_execz .LBB398_142
; %bb.141:                              ;   in Loop: Header=BB398_12 Depth=1
	ds_read_b32 v5, v48
	v_cmp_ne_u32_e32 vcc, 0, v58
	s_waitcnt lgkmcnt(0)
	v_mov_b32_dpp v6, v5 row_shr:1 row_mask:0xf bank_mask:0xf
	v_cndmask_b32_e32 v6, 0, v6, vcc
	v_add_u32_e32 v5, v6, v5
	v_cmp_lt_u32_e32 vcc, 1, v58
	s_nop 0
	v_mov_b32_dpp v6, v5 row_shr:2 row_mask:0xf bank_mask:0xf
	v_cndmask_b32_e32 v6, 0, v6, vcc
	v_add_u32_e32 v5, v5, v6
	ds_write_b32 v48, v5
.LBB398_142:                            ;   in Loop: Header=BB398_12 Depth=1
	s_or_b64 exec, exec, s[30:31]
	v_mov_b32_e32 v5, 0
	s_waitcnt lgkmcnt(0)
	s_barrier
	s_and_saveexec_b64 s[30:31], s[12:13]
; %bb.143:                              ;   in Loop: Header=BB398_12 Depth=1
	ds_read_b32 v5, v49
; %bb.144:                              ;   in Loop: Header=BB398_12 Depth=1
	s_or_b64 exec, exec, s[30:31]
	v_subrev_co_u32_e64 v6, s[30:31], 1, v45
	v_cmp_lt_i32_e32 vcc, v6, v59
	v_cndmask_b32_e32 v6, v6, v45, vcc
	s_waitcnt lgkmcnt(0)
	v_add_u32_e32 v4, v5, v4
	v_lshlrev_b32_e32 v64, 2, v6
	ds_bpermute_b32 v4, v64, v4
	s_waitcnt lgkmcnt(0)
	s_barrier
	s_and_saveexec_b64 s[34:35], s[4:5]
; %bb.145:                              ;   in Loop: Header=BB398_12 Depth=1
	v_cndmask_b32_e64 v4, v4, v5, s[30:31]
	v_add_u32_e32 v4, s74, v4
	ds_write_b32 v18, v4
; %bb.146:                              ;   in Loop: Header=BB398_12 Depth=1
	s_or_b64 exec, exec, s[34:35]
	s_load_dwordx2 s[34:35], s[46:47], 0x0
	v_add_co_u32_e32 v65, vcc, v35, v60
	v_addc_co_u32_e32 v66, vcc, 0, v36, vcc
	s_waitcnt lgkmcnt(0)
	s_cmp_lt_u32 s33, s35
	s_cselect_b32 s35, 14, 20
	s_add_u32 s36, s46, s35
	s_addc_u32 s37, s47, 0
	s_cmp_lt_u32 s6, s34
	s_cselect_b32 s34, 12, 18
	s_add_u32 s34, s46, s34
	global_load_ushort v4, v3, s[36:37]
	s_addc_u32 s35, s47, 0
	global_load_ushort v5, v3, s[34:35]
	v_add_co_u32_e32 v67, vcc, v37, v46
	v_cmp_eq_u32_e64 s[34:35], 0, v58
	v_cmp_lt_u32_e64 s[36:37], 1, v58
	v_addc_co_u32_e32 v68, vcc, 0, v38, vcc
	s_mov_b32 s59, s71
	s_mov_b32 s56, s74
                                        ; implicit-def: $vgpr7_vgpr8
                                        ; implicit-def: $vgpr9_vgpr10
                                        ; implicit-def: $vgpr11_vgpr12
                                        ; implicit-def: $vgpr69
                                        ; implicit-def: $vgpr70
                                        ; implicit-def: $vgpr72
                                        ; implicit-def: $vgpr73
	s_waitcnt vmcnt(1)
	v_mad_u32_u24 v4, v2, v4, v1
	s_waitcnt vmcnt(0)
	v_mad_u64_u32 v[4:5], s[38:39], v4, v5, v[0:1]
                                        ; implicit-def: $vgpr5_vgpr6
	v_lshrrev_b32_e32 v4, 4, v4
	v_and_b32_e32 v71, 0xffffffc, v4
	s_branch .LBB398_148
.LBB398_147:                            ;   in Loop: Header=BB398_148 Depth=2
	s_or_b64 exec, exec, s[38:39]
	s_addk_i32 s59, 0xfc00
	s_cmp_lt_u32 s60, s75
	s_mov_b32 s56, s60
	s_cbranch_scc0 .LBB398_212
.LBB398_148:                            ;   Parent Loop BB398_12 Depth=1
                                        ; =>  This Inner Loop Header: Depth=2
	s_add_i32 s60, s56, 0x400
	s_cmp_gt_u32 s60, s75
	s_cbranch_scc1 .LBB398_150
; %bb.149:                              ;   in Loop: Header=BB398_148 Depth=2
	v_add_co_u32_e32 v13, vcc, s56, v67
	v_addc_co_u32_e32 v14, vcc, 0, v68, vcc
	global_load_ubyte v16, v[13:14], off offset:128
	global_load_ubyte v76, v[13:14], off offset:64
	global_load_ubyte v4, v[13:14], off
	s_mov_b64 s[38:39], -1
	s_movk_i32 s42, 0x400
                                        ; implicit-def: $vgpr15
	s_cbranch_execz .LBB398_151
	s_branch .LBB398_156
.LBB398_150:                            ;   in Loop: Header=BB398_148 Depth=2
	s_mov_b64 s[38:39], 0
                                        ; implicit-def: $vgpr4
                                        ; implicit-def: $vgpr76
                                        ; implicit-def: $vgpr16
	s_movk_i32 s42, 0x400
                                        ; implicit-def: $vgpr15
.LBB398_151:                            ;   in Loop: Header=BB398_148 Depth=2
	v_add_co_u32_e32 v13, vcc, s56, v67
	v_addc_co_u32_e32 v14, vcc, 0, v68, vcc
	v_cmp_gt_u32_e32 vcc, s59, v47
	v_mov_b32_e32 v15, 0x7f
	s_waitcnt vmcnt(0)
	v_mov_b32_e32 v4, 0x7f
	v_mov_b32_e32 v76, 0x7f
	;; [unrolled: 1-line block ×3, first 2 shown]
	s_and_saveexec_b64 s[38:39], vcc
	s_cbranch_execnz .LBB398_210
; %bb.152:                              ;   in Loop: Header=BB398_148 Depth=2
	s_or_b64 exec, exec, s[38:39]
	v_cmp_gt_u32_e32 vcc, s59, v61
	s_and_saveexec_b64 s[38:39], vcc
	s_cbranch_execnz .LBB398_211
.LBB398_153:                            ;   in Loop: Header=BB398_148 Depth=2
	s_or_b64 exec, exec, s[38:39]
	v_cmp_gt_u32_e32 vcc, s59, v62
	s_and_saveexec_b64 s[38:39], vcc
	s_cbranch_execz .LBB398_155
.LBB398_154:                            ;   in Loop: Header=BB398_148 Depth=2
	global_load_ubyte v16, v[13:14], off offset:128
.LBB398_155:                            ;   in Loop: Header=BB398_148 Depth=2
	s_or_b64 exec, exec, s[38:39]
	s_sub_i32 s42, s75, s56
	v_cmp_gt_u32_e64 s[38:39], s59, v63
.LBB398_156:                            ;   in Loop: Header=BB398_148 Depth=2
	v_mov_b32_e32 v74, s59
	s_and_saveexec_b64 s[40:41], s[38:39]
	s_cbranch_execz .LBB398_158
; %bb.157:                              ;   in Loop: Header=BB398_148 Depth=2
	v_mov_b32_e32 v14, s57
	v_add_co_u32_e32 v13, vcc, s56, v67
	v_addc_co_u32_e32 v14, vcc, v68, v14, vcc
	global_load_ubyte v15, v[13:14], off offset:192
	v_mov_b32_e32 v74, s42
.LBB398_158:                            ;   in Loop: Header=BB398_148 Depth=2
	s_or_b64 exec, exec, s[40:41]
	s_waitcnt vmcnt(0)
	v_xor_b32_e32 v17, 0xffffff80, v4
	v_lshrrev_b32_sdwa v4, s7, v17 dst_sel:DWORD dst_unused:UNUSED_PAD src0_sel:DWORD src1_sel:BYTE_0
	v_and_b32_e32 v13, s58, v4
	v_and_b32_e32 v4, 1, v13
	v_add_co_u32_e32 v14, vcc, -1, v4
	v_addc_co_u32_e64 v75, s[38:39], 0, -1, vcc
	v_cmp_ne_u32_e32 vcc, 0, v4
	v_xor_b32_e32 v4, vcc_hi, v75
	v_and_b32_e32 v75, exec_hi, v4
	v_lshlrev_b32_e32 v4, 30, v13
	v_xor_b32_e32 v14, vcc_lo, v14
	v_cmp_gt_i64_e32 vcc, 0, v[3:4]
	v_not_b32_e32 v4, v4
	v_ashrrev_i32_e32 v4, 31, v4
	v_and_b32_e32 v14, exec_lo, v14
	v_xor_b32_e32 v78, vcc_hi, v4
	v_xor_b32_e32 v4, vcc_lo, v4
	v_and_b32_e32 v14, v14, v4
	v_lshlrev_b32_e32 v4, 29, v13
	v_cmp_gt_i64_e32 vcc, 0, v[3:4]
	v_not_b32_e32 v4, v4
	v_ashrrev_i32_e32 v4, 31, v4
	v_and_b32_e32 v75, v75, v78
	v_xor_b32_e32 v78, vcc_hi, v4
	v_xor_b32_e32 v4, vcc_lo, v4
	v_and_b32_e32 v14, v14, v4
	v_lshlrev_b32_e32 v4, 28, v13
	v_cmp_gt_i64_e32 vcc, 0, v[3:4]
	v_not_b32_e32 v4, v4
	v_ashrrev_i32_e32 v4, 31, v4
	v_and_b32_e32 v75, v75, v78
	;; [unrolled: 8-line block ×5, first 2 shown]
	v_xor_b32_e32 v78, vcc_hi, v4
	v_xor_b32_e32 v4, vcc_lo, v4
	v_and_b32_e32 v75, v75, v78
	v_and_b32_e32 v78, v14, v4
	v_lshlrev_b32_e32 v4, 24, v13
	v_cmp_gt_i64_e32 vcc, 0, v[3:4]
	v_not_b32_e32 v4, v4
	v_ashrrev_i32_e32 v4, 31, v4
	v_mul_u32_u24_e32 v77, 20, v13
	v_xor_b32_e32 v13, vcc_hi, v4
	v_xor_b32_e32 v4, vcc_lo, v4
	v_and_b32_e32 v14, v75, v13
	v_and_b32_e32 v13, v78, v4
	v_mbcnt_lo_u32_b32 v4, v13, 0
	v_mbcnt_hi_u32_b32 v75, v14, v4
	v_cmp_ne_u64_e32 vcc, 0, v[13:14]
	v_cmp_eq_u32_e64 s[38:39], 0, v75
	s_and_b64 s[40:41], vcc, s[38:39]
	v_add_u32_e32 v78, v71, v77
	ds_write2_b32 v53, v3, v3 offset1:1
	ds_write2_b32 v54, v3, v3 offset1:1
	ds_write_b32 v50, v3 offset:1056
	s_waitcnt lgkmcnt(0)
	s_barrier
	; wave barrier
	s_and_saveexec_b64 s[38:39], s[40:41]
; %bb.159:                              ;   in Loop: Header=BB398_148 Depth=2
	v_bcnt_u32_b32 v4, v13, 0
	v_bcnt_u32_b32 v4, v14, v4
	ds_write_b32 v78, v4 offset:1040
; %bb.160:                              ;   in Loop: Header=BB398_148 Depth=2
	s_or_b64 exec, exec, s[38:39]
	v_xor_b32_e32 v76, 0xffffff80, v76
	v_lshrrev_b32_sdwa v4, s7, v76 dst_sel:DWORD dst_unused:UNUSED_PAD src0_sel:DWORD src1_sel:BYTE_0
	v_and_b32_e32 v13, s58, v4
	v_mad_u32_u24 v4, v13, 20, v71
	; wave barrier
	ds_read_b32 v77, v4 offset:1040
	v_and_b32_e32 v4, 1, v13
	v_add_co_u32_e32 v14, vcc, -1, v4
	v_addc_co_u32_e64 v79, s[38:39], 0, -1, vcc
	v_cmp_ne_u32_e32 vcc, 0, v4
	v_xor_b32_e32 v4, vcc_hi, v79
	v_and_b32_e32 v79, exec_hi, v4
	v_lshlrev_b32_e32 v4, 30, v13
	v_xor_b32_e32 v14, vcc_lo, v14
	v_cmp_gt_i64_e32 vcc, 0, v[3:4]
	v_not_b32_e32 v4, v4
	v_ashrrev_i32_e32 v4, 31, v4
	v_and_b32_e32 v14, exec_lo, v14
	v_xor_b32_e32 v81, vcc_hi, v4
	v_xor_b32_e32 v4, vcc_lo, v4
	v_and_b32_e32 v14, v14, v4
	v_lshlrev_b32_e32 v4, 29, v13
	v_cmp_gt_i64_e32 vcc, 0, v[3:4]
	v_not_b32_e32 v4, v4
	v_ashrrev_i32_e32 v4, 31, v4
	v_and_b32_e32 v79, v79, v81
	v_xor_b32_e32 v81, vcc_hi, v4
	v_xor_b32_e32 v4, vcc_lo, v4
	v_and_b32_e32 v14, v14, v4
	v_lshlrev_b32_e32 v4, 28, v13
	v_cmp_gt_i64_e32 vcc, 0, v[3:4]
	v_not_b32_e32 v4, v4
	v_ashrrev_i32_e32 v4, 31, v4
	v_and_b32_e32 v79, v79, v81
	;; [unrolled: 8-line block ×5, first 2 shown]
	v_xor_b32_e32 v81, vcc_hi, v4
	v_xor_b32_e32 v4, vcc_lo, v4
	v_and_b32_e32 v79, v79, v81
	v_and_b32_e32 v81, v14, v4
	v_lshlrev_b32_e32 v4, 24, v13
	v_cmp_gt_i64_e32 vcc, 0, v[3:4]
	v_not_b32_e32 v4, v4
	v_ashrrev_i32_e32 v4, 31, v4
	v_mul_u32_u24_e32 v80, 20, v13
	v_xor_b32_e32 v13, vcc_hi, v4
	v_xor_b32_e32 v4, vcc_lo, v4
	v_and_b32_e32 v14, v79, v13
	v_and_b32_e32 v13, v81, v4
	v_mbcnt_lo_u32_b32 v4, v13, 0
	v_mbcnt_hi_u32_b32 v79, v14, v4
	v_cmp_ne_u64_e32 vcc, 0, v[13:14]
	v_cmp_eq_u32_e64 s[38:39], 0, v79
	s_and_b64 s[40:41], vcc, s[38:39]
	v_add_u32_e32 v82, v71, v80
	; wave barrier
	s_and_saveexec_b64 s[38:39], s[40:41]
	s_cbranch_execz .LBB398_162
; %bb.161:                              ;   in Loop: Header=BB398_148 Depth=2
	v_bcnt_u32_b32 v4, v13, 0
	v_bcnt_u32_b32 v4, v14, v4
	s_waitcnt lgkmcnt(0)
	v_add_u32_e32 v4, v77, v4
	ds_write_b32 v82, v4 offset:1040
.LBB398_162:                            ;   in Loop: Header=BB398_148 Depth=2
	s_or_b64 exec, exec, s[38:39]
	v_xor_b32_e32 v80, 0xffffff80, v16
	v_lshrrev_b32_sdwa v4, s7, v80 dst_sel:DWORD dst_unused:UNUSED_PAD src0_sel:DWORD src1_sel:BYTE_0
	v_and_b32_e32 v13, s58, v4
	v_mad_u32_u24 v4, v13, 20, v71
	; wave barrier
	ds_read_b32 v81, v4 offset:1040
	v_and_b32_e32 v4, 1, v13
	v_add_co_u32_e32 v14, vcc, -1, v4
	v_addc_co_u32_e64 v83, s[38:39], 0, -1, vcc
	v_cmp_ne_u32_e32 vcc, 0, v4
	v_xor_b32_e32 v4, vcc_hi, v83
	v_and_b32_e32 v83, exec_hi, v4
	v_lshlrev_b32_e32 v4, 30, v13
	v_xor_b32_e32 v14, vcc_lo, v14
	v_cmp_gt_i64_e32 vcc, 0, v[3:4]
	v_not_b32_e32 v4, v4
	v_ashrrev_i32_e32 v4, 31, v4
	v_and_b32_e32 v14, exec_lo, v14
	v_xor_b32_e32 v84, vcc_hi, v4
	v_xor_b32_e32 v4, vcc_lo, v4
	v_and_b32_e32 v14, v14, v4
	v_lshlrev_b32_e32 v4, 29, v13
	v_cmp_gt_i64_e32 vcc, 0, v[3:4]
	v_not_b32_e32 v4, v4
	v_ashrrev_i32_e32 v4, 31, v4
	v_and_b32_e32 v83, v83, v84
	v_xor_b32_e32 v84, vcc_hi, v4
	v_xor_b32_e32 v4, vcc_lo, v4
	v_and_b32_e32 v14, v14, v4
	v_lshlrev_b32_e32 v4, 28, v13
	v_cmp_gt_i64_e32 vcc, 0, v[3:4]
	v_not_b32_e32 v4, v4
	v_ashrrev_i32_e32 v4, 31, v4
	v_and_b32_e32 v83, v83, v84
	;; [unrolled: 8-line block ×5, first 2 shown]
	v_xor_b32_e32 v84, vcc_hi, v4
	v_xor_b32_e32 v4, vcc_lo, v4
	v_and_b32_e32 v83, v83, v84
	v_and_b32_e32 v84, v14, v4
	v_lshlrev_b32_e32 v4, 24, v13
	v_cmp_gt_i64_e32 vcc, 0, v[3:4]
	v_not_b32_e32 v4, v4
	v_ashrrev_i32_e32 v4, 31, v4
	v_mul_u32_u24_e32 v16, 20, v13
	v_xor_b32_e32 v13, vcc_hi, v4
	v_xor_b32_e32 v4, vcc_lo, v4
	v_and_b32_e32 v14, v83, v13
	v_and_b32_e32 v13, v84, v4
	v_mbcnt_lo_u32_b32 v4, v13, 0
	v_mbcnt_hi_u32_b32 v83, v14, v4
	v_cmp_ne_u64_e32 vcc, 0, v[13:14]
	v_cmp_eq_u32_e64 s[38:39], 0, v83
	s_and_b64 s[40:41], vcc, s[38:39]
	v_add_u32_e32 v86, v71, v16
	; wave barrier
	s_and_saveexec_b64 s[38:39], s[40:41]
	s_cbranch_execz .LBB398_164
; %bb.163:                              ;   in Loop: Header=BB398_148 Depth=2
	v_bcnt_u32_b32 v4, v13, 0
	v_bcnt_u32_b32 v4, v14, v4
	s_waitcnt lgkmcnt(0)
	v_add_u32_e32 v4, v81, v4
	ds_write_b32 v86, v4 offset:1040
.LBB398_164:                            ;   in Loop: Header=BB398_148 Depth=2
	s_or_b64 exec, exec, s[38:39]
	v_xor_b32_e32 v84, 0xffffff80, v15
	v_lshrrev_b32_sdwa v4, s7, v84 dst_sel:DWORD dst_unused:UNUSED_PAD src0_sel:DWORD src1_sel:BYTE_0
	v_and_b32_e32 v13, s58, v4
	v_mad_u32_u24 v4, v13, 20, v71
	; wave barrier
	ds_read_b32 v85, v4 offset:1040
	v_and_b32_e32 v4, 1, v13
	v_add_co_u32_e32 v14, vcc, -1, v4
	v_addc_co_u32_e64 v16, s[38:39], 0, -1, vcc
	v_cmp_ne_u32_e32 vcc, 0, v4
	v_xor_b32_e32 v4, vcc_hi, v16
	v_and_b32_e32 v16, exec_hi, v4
	v_lshlrev_b32_e32 v4, 30, v13
	v_xor_b32_e32 v14, vcc_lo, v14
	v_cmp_gt_i64_e32 vcc, 0, v[3:4]
	v_not_b32_e32 v4, v4
	v_ashrrev_i32_e32 v4, 31, v4
	v_and_b32_e32 v14, exec_lo, v14
	v_xor_b32_e32 v87, vcc_hi, v4
	v_xor_b32_e32 v4, vcc_lo, v4
	v_and_b32_e32 v14, v14, v4
	v_lshlrev_b32_e32 v4, 29, v13
	v_cmp_gt_i64_e32 vcc, 0, v[3:4]
	v_not_b32_e32 v4, v4
	v_ashrrev_i32_e32 v4, 31, v4
	v_and_b32_e32 v16, v16, v87
	v_xor_b32_e32 v87, vcc_hi, v4
	v_xor_b32_e32 v4, vcc_lo, v4
	v_and_b32_e32 v14, v14, v4
	v_lshlrev_b32_e32 v4, 28, v13
	v_cmp_gt_i64_e32 vcc, 0, v[3:4]
	v_not_b32_e32 v4, v4
	v_ashrrev_i32_e32 v4, 31, v4
	v_and_b32_e32 v16, v16, v87
	;; [unrolled: 8-line block ×5, first 2 shown]
	v_xor_b32_e32 v87, vcc_hi, v4
	v_xor_b32_e32 v4, vcc_lo, v4
	v_and_b32_e32 v16, v16, v87
	v_and_b32_e32 v87, v14, v4
	v_lshlrev_b32_e32 v4, 24, v13
	v_cmp_gt_i64_e32 vcc, 0, v[3:4]
	v_not_b32_e32 v4, v4
	v_ashrrev_i32_e32 v4, 31, v4
	v_mul_u32_u24_e32 v15, 20, v13
	v_xor_b32_e32 v13, vcc_hi, v4
	v_xor_b32_e32 v4, vcc_lo, v4
	v_and_b32_e32 v14, v16, v13
	v_and_b32_e32 v13, v87, v4
	v_mbcnt_lo_u32_b32 v4, v13, 0
	v_mbcnt_hi_u32_b32 v4, v14, v4
	v_cmp_ne_u64_e32 vcc, 0, v[13:14]
	v_cmp_eq_u32_e64 s[38:39], 0, v4
	s_and_b64 s[40:41], vcc, s[38:39]
	v_add_u32_e32 v87, v71, v15
	; wave barrier
	s_and_saveexec_b64 s[38:39], s[40:41]
	s_cbranch_execz .LBB398_166
; %bb.165:                              ;   in Loop: Header=BB398_148 Depth=2
	v_bcnt_u32_b32 v13, v13, 0
	v_bcnt_u32_b32 v13, v14, v13
	s_waitcnt lgkmcnt(0)
	v_add_u32_e32 v13, v85, v13
	ds_write_b32 v87, v13 offset:1040
.LBB398_166:                            ;   in Loop: Header=BB398_148 Depth=2
	s_or_b64 exec, exec, s[38:39]
	; wave barrier
	s_waitcnt lgkmcnt(0)
	s_barrier
	ds_read2_b32 v[15:16], v53 offset1:1
	ds_read2_b32 v[13:14], v54 offset1:1
	ds_read_b32 v88, v50 offset:1056
	s_waitcnt lgkmcnt(1)
	v_add3_u32 v89, v16, v15, v13
	s_waitcnt lgkmcnt(0)
	v_add3_u32 v88, v89, v14, v88
	s_nop 1
	v_mov_b32_dpp v89, v88 row_shr:1 row_mask:0xf bank_mask:0xf
	v_cndmask_b32_e64 v89, v89, 0, s[18:19]
	v_add_u32_e32 v88, v89, v88
	s_nop 1
	v_mov_b32_dpp v89, v88 row_shr:2 row_mask:0xf bank_mask:0xf
	v_cndmask_b32_e64 v89, 0, v89, s[20:21]
	v_add_u32_e32 v88, v88, v89
	;; [unrolled: 4-line block ×4, first 2 shown]
	s_nop 1
	v_mov_b32_dpp v89, v88 row_bcast:15 row_mask:0xf bank_mask:0xf
	v_cndmask_b32_e64 v89, v89, 0, s[26:27]
	v_add_u32_e32 v88, v88, v89
	s_nop 1
	v_mov_b32_dpp v89, v88 row_bcast:31 row_mask:0xf bank_mask:0xf
	v_cndmask_b32_e64 v89, 0, v89, s[28:29]
	v_add_u32_e32 v88, v88, v89
	s_and_saveexec_b64 s[38:39], s[8:9]
; %bb.167:                              ;   in Loop: Header=BB398_148 Depth=2
	ds_write_b32 v26, v88 offset:1024
; %bb.168:                              ;   in Loop: Header=BB398_148 Depth=2
	s_or_b64 exec, exec, s[38:39]
	s_waitcnt lgkmcnt(0)
	s_barrier
	s_and_saveexec_b64 s[38:39], s[10:11]
	s_cbranch_execz .LBB398_170
; %bb.169:                              ;   in Loop: Header=BB398_148 Depth=2
	v_add_u32_e32 v89, v50, v28
	ds_read_b32 v90, v89 offset:1024
	s_waitcnt lgkmcnt(0)
	s_nop 0
	v_mov_b32_dpp v91, v90 row_shr:1 row_mask:0xf bank_mask:0xf
	v_cndmask_b32_e64 v91, v91, 0, s[34:35]
	v_add_u32_e32 v90, v91, v90
	s_nop 1
	v_mov_b32_dpp v91, v90 row_shr:2 row_mask:0xf bank_mask:0xf
	v_cndmask_b32_e64 v91, 0, v91, s[36:37]
	v_add_u32_e32 v90, v90, v91
	ds_write_b32 v89, v90 offset:1024
.LBB398_170:                            ;   in Loop: Header=BB398_148 Depth=2
	s_or_b64 exec, exec, s[38:39]
	v_mov_b32_e32 v89, 0
	s_waitcnt lgkmcnt(0)
	s_barrier
	s_and_saveexec_b64 s[38:39], s[12:13]
; %bb.171:                              ;   in Loop: Header=BB398_148 Depth=2
	ds_read_b32 v89, v26 offset:1020
; %bb.172:                              ;   in Loop: Header=BB398_148 Depth=2
	s_or_b64 exec, exec, s[38:39]
	s_waitcnt lgkmcnt(0)
	v_add_u32_e32 v88, v89, v88
	ds_bpermute_b32 v88, v64, v88
	s_waitcnt lgkmcnt(0)
	v_cndmask_b32_e64 v88, v88, v89, s[30:31]
	v_cndmask_b32_e64 v88, v88, 0, s[14:15]
	v_add_u32_e32 v15, v88, v15
	v_add_u32_e32 v16, v15, v16
	;; [unrolled: 1-line block ×4, first 2 shown]
	ds_write2_b32 v53, v88, v15 offset1:1
	ds_write2_b32 v54, v16, v13 offset1:1
	ds_write_b32 v50, v14 offset:1056
	s_waitcnt lgkmcnt(0)
	s_barrier
	ds_read_b32 v13, v78 offset:1040
	ds_read_b32 v14, v82 offset:1040
	;; [unrolled: 1-line block ×5, first 2 shown]
	v_mov_b32_e32 v78, 0x400
	s_and_saveexec_b64 s[38:39], s[16:17]
; %bb.173:                              ;   in Loop: Header=BB398_148 Depth=2
	ds_read_b32 v78, v50 offset:1060
; %bb.174:                              ;   in Loop: Header=BB398_148 Depth=2
	s_or_b64 exec, exec, s[38:39]
	s_waitcnt lgkmcnt(0)
	s_barrier
	s_and_saveexec_b64 s[38:39], s[4:5]
	s_cbranch_execz .LBB398_176
; %bb.175:                              ;   in Loop: Header=BB398_148 Depth=2
	ds_read_b32 v86, v18
	s_waitcnt lgkmcnt(0)
	v_sub_u32_e32 v15, v86, v15
	ds_write_b32 v18, v15
.LBB398_176:                            ;   in Loop: Header=BB398_148 Depth=2
	s_or_b64 exec, exec, s[38:39]
	v_add_u32_e32 v15, v13, v75
	v_add3_u32 v14, v79, v77, v14
	v_add3_u32 v13, v83, v81, v16
	;; [unrolled: 1-line block ×3, first 2 shown]
	v_cmp_lt_u32_e64 s[42:43], v0, v74
	ds_write_b8 v15, v17 offset:1024
	ds_write_b8 v14, v76 offset:1024
	;; [unrolled: 1-line block ×4, first 2 shown]
	s_waitcnt lgkmcnt(0)
	s_barrier
	s_and_saveexec_b64 s[38:39], s[42:43]
	s_cbranch_execnz .LBB398_197
; %bb.177:                              ;   in Loop: Header=BB398_148 Depth=2
	s_or_b64 exec, exec, s[38:39]
	v_cmp_lt_u32_e64 s[40:41], v19, v74
	s_and_saveexec_b64 s[38:39], s[40:41]
	s_cbranch_execnz .LBB398_198
.LBB398_178:                            ;   in Loop: Header=BB398_148 Depth=2
	s_or_b64 exec, exec, s[38:39]
	v_cmp_lt_u32_e64 s[38:39], v20, v74
	s_and_saveexec_b64 s[44:45], s[38:39]
	s_cbranch_execnz .LBB398_199
.LBB398_179:                            ;   in Loop: Header=BB398_148 Depth=2
	s_or_b64 exec, exec, s[44:45]
	v_cmp_lt_u32_e32 vcc, v21, v74
	s_and_saveexec_b64 s[44:45], vcc
	s_cbranch_execz .LBB398_181
.LBB398_180:                            ;   in Loop: Header=BB398_148 Depth=2
	ds_read_u8 v16, v0 offset:1792
	s_waitcnt lgkmcnt(0)
	v_lshrrev_b32_sdwa v17, s7, v16 dst_sel:DWORD dst_unused:UNUSED_PAD src0_sel:DWORD src1_sel:BYTE_0
	v_and_b32_e32 v17, s58, v17
	v_lshlrev_b32_e32 v17, 2, v17
	ds_read_b32 v17, v17
	v_xor_b32_e32 v16, 0x80, v16
	s_waitcnt lgkmcnt(0)
	v_add_u32_e32 v17, v17, v21
	global_store_byte v17, v16, s[52:53]
.LBB398_181:                            ;   in Loop: Header=BB398_148 Depth=2
	s_or_b64 exec, exec, s[44:45]
	s_lshl_b64 s[44:45], s[56:57], 3
	v_mov_b32_e32 v17, s45
	v_add_co_u32_e64 v16, s[44:45], s44, v65
	v_addc_co_u32_e64 v17, s[44:45], v66, v17, s[44:45]
	v_cmp_lt_u32_e64 s[44:45], v47, v74
	s_and_saveexec_b64 s[54:55], s[44:45]
	s_xor_b64 s[44:45], exec, s[54:55]
	s_cbranch_execnz .LBB398_200
; %bb.182:                              ;   in Loop: Header=BB398_148 Depth=2
	s_or_b64 exec, exec, s[44:45]
	v_cmp_lt_u32_e64 s[44:45], v61, v74
	s_and_saveexec_b64 s[54:55], s[44:45]
	s_cbranch_execnz .LBB398_201
.LBB398_183:                            ;   in Loop: Header=BB398_148 Depth=2
	s_or_b64 exec, exec, s[54:55]
	v_cmp_lt_u32_e64 s[44:45], v62, v74
	s_and_saveexec_b64 s[54:55], s[44:45]
	s_cbranch_execnz .LBB398_202
.LBB398_184:                            ;   in Loop: Header=BB398_148 Depth=2
	s_or_b64 exec, exec, s[54:55]
	v_cmp_lt_u32_e64 s[44:45], v63, v74
	s_and_saveexec_b64 s[54:55], s[44:45]
	s_cbranch_execnz .LBB398_203
.LBB398_185:                            ;   in Loop: Header=BB398_148 Depth=2
	s_or_b64 exec, exec, s[54:55]
	s_and_saveexec_b64 s[44:45], s[42:43]
	s_cbranch_execnz .LBB398_204
.LBB398_186:                            ;   in Loop: Header=BB398_148 Depth=2
	s_or_b64 exec, exec, s[44:45]
	s_and_saveexec_b64 s[44:45], s[40:41]
	s_cbranch_execnz .LBB398_205
.LBB398_187:                            ;   in Loop: Header=BB398_148 Depth=2
	s_or_b64 exec, exec, s[44:45]
	s_and_saveexec_b64 s[44:45], s[38:39]
	s_cbranch_execnz .LBB398_206
.LBB398_188:                            ;   in Loop: Header=BB398_148 Depth=2
	s_or_b64 exec, exec, s[44:45]
	s_and_saveexec_b64 s[44:45], vcc
	s_cbranch_execz .LBB398_190
.LBB398_189:                            ;   in Loop: Header=BB398_148 Depth=2
	ds_read_u8 v16, v0 offset:1792
	s_waitcnt lgkmcnt(0)
	v_lshrrev_b32_e32 v16, s7, v16
	v_and_b32_e32 v69, s58, v16
.LBB398_190:                            ;   in Loop: Header=BB398_148 Depth=2
	s_or_b64 exec, exec, s[44:45]
	v_mad_u64_u32 v[15:16], s[44:45], v15, 7, v[15:16]
	s_waitcnt vmcnt(0)
	v_mad_u64_u32 v[74:75], s[44:45], v4, 7, v[4:5]
	v_mad_u64_u32 v[16:17], s[44:45], v14, 7, v[14:15]
	;; [unrolled: 1-line block ×3, first 2 shown]
	s_barrier
	ds_write_b64 v15, v[11:12] offset:1024
	ds_write_b64 v16, v[9:10] offset:1024
	;; [unrolled: 1-line block ×4, first 2 shown]
	s_waitcnt lgkmcnt(0)
	s_barrier
	s_and_saveexec_b64 s[44:45], s[42:43]
	s_cbranch_execnz .LBB398_207
; %bb.191:                              ;   in Loop: Header=BB398_148 Depth=2
	s_or_b64 exec, exec, s[44:45]
	s_and_saveexec_b64 s[42:43], s[40:41]
	s_cbranch_execnz .LBB398_208
.LBB398_192:                            ;   in Loop: Header=BB398_148 Depth=2
	s_or_b64 exec, exec, s[42:43]
	s_and_saveexec_b64 s[40:41], s[38:39]
	s_cbranch_execnz .LBB398_209
.LBB398_193:                            ;   in Loop: Header=BB398_148 Depth=2
	s_or_b64 exec, exec, s[40:41]
	s_and_saveexec_b64 s[38:39], vcc
	s_cbranch_execz .LBB398_195
.LBB398_194:                            ;   in Loop: Header=BB398_148 Depth=2
	v_lshlrev_b32_e32 v4, 2, v69
	ds_read_b32 v4, v4
	v_add_u32_e32 v13, v0, v51
	ds_read_b64 v[13:14], v13 offset:7168
	v_mov_b32_e32 v16, v3
	v_mov_b32_e32 v17, s67
	s_waitcnt lgkmcnt(1)
	v_add_u32_e32 v15, v4, v21
	v_lshlrev_b64 v[15:16], 3, v[15:16]
	v_add_co_u32_e32 v15, vcc, s66, v15
	v_addc_co_u32_e32 v16, vcc, v17, v16, vcc
	s_waitcnt lgkmcnt(0)
	global_store_dwordx2 v[15:16], v[13:14], off
.LBB398_195:                            ;   in Loop: Header=BB398_148 Depth=2
	s_or_b64 exec, exec, s[38:39]
	s_waitcnt vmcnt(0)
	s_barrier
	s_and_saveexec_b64 s[38:39], s[4:5]
	s_cbranch_execz .LBB398_147
; %bb.196:                              ;   in Loop: Header=BB398_148 Depth=2
	ds_read_b32 v4, v18
	s_waitcnt lgkmcnt(0)
	v_add_u32_e32 v4, v4, v78
	ds_write_b32 v18, v4
	s_branch .LBB398_147
.LBB398_197:                            ;   in Loop: Header=BB398_148 Depth=2
	ds_read_u8 v16, v0 offset:1024
	s_waitcnt lgkmcnt(0)
	v_lshrrev_b32_sdwa v17, s7, v16 dst_sel:DWORD dst_unused:UNUSED_PAD src0_sel:DWORD src1_sel:BYTE_0
	v_and_b32_e32 v17, s58, v17
	v_lshlrev_b32_e32 v17, 2, v17
	ds_read_b32 v17, v17
	v_xor_b32_e32 v16, 0x80, v16
	s_waitcnt lgkmcnt(0)
	v_add_u32_e32 v17, v17, v0
	global_store_byte v17, v16, s[52:53]
	s_or_b64 exec, exec, s[38:39]
	v_cmp_lt_u32_e64 s[40:41], v19, v74
	s_and_saveexec_b64 s[38:39], s[40:41]
	s_cbranch_execz .LBB398_178
.LBB398_198:                            ;   in Loop: Header=BB398_148 Depth=2
	ds_read_u8 v16, v0 offset:1280
	s_waitcnt lgkmcnt(0)
	v_lshrrev_b32_sdwa v17, s7, v16 dst_sel:DWORD dst_unused:UNUSED_PAD src0_sel:DWORD src1_sel:BYTE_0
	v_and_b32_e32 v17, s58, v17
	v_lshlrev_b32_e32 v17, 2, v17
	ds_read_b32 v17, v17
	v_xor_b32_e32 v16, 0x80, v16
	s_waitcnt lgkmcnt(0)
	v_add_u32_e32 v17, v17, v19
	global_store_byte v17, v16, s[52:53]
	s_or_b64 exec, exec, s[38:39]
	v_cmp_lt_u32_e64 s[38:39], v20, v74
	s_and_saveexec_b64 s[44:45], s[38:39]
	s_cbranch_execz .LBB398_179
.LBB398_199:                            ;   in Loop: Header=BB398_148 Depth=2
	ds_read_u8 v16, v0 offset:1536
	s_waitcnt lgkmcnt(0)
	v_lshrrev_b32_sdwa v17, s7, v16 dst_sel:DWORD dst_unused:UNUSED_PAD src0_sel:DWORD src1_sel:BYTE_0
	v_and_b32_e32 v17, s58, v17
	v_lshlrev_b32_e32 v17, 2, v17
	ds_read_b32 v17, v17
	v_xor_b32_e32 v16, 0x80, v16
	s_waitcnt lgkmcnt(0)
	v_add_u32_e32 v17, v17, v20
	global_store_byte v17, v16, s[52:53]
	s_or_b64 exec, exec, s[44:45]
	v_cmp_lt_u32_e32 vcc, v21, v74
	s_and_saveexec_b64 s[44:45], vcc
	s_cbranch_execnz .LBB398_180
	s_branch .LBB398_181
.LBB398_200:                            ;   in Loop: Header=BB398_148 Depth=2
	global_load_dwordx2 v[11:12], v[16:17], off
	s_or_b64 exec, exec, s[44:45]
	v_cmp_lt_u32_e64 s[44:45], v61, v74
	s_and_saveexec_b64 s[54:55], s[44:45]
	s_cbranch_execz .LBB398_183
.LBB398_201:                            ;   in Loop: Header=BB398_148 Depth=2
	global_load_dwordx2 v[9:10], v[16:17], off offset:512
	s_or_b64 exec, exec, s[54:55]
	v_cmp_lt_u32_e64 s[44:45], v62, v74
	s_and_saveexec_b64 s[54:55], s[44:45]
	s_cbranch_execz .LBB398_184
.LBB398_202:                            ;   in Loop: Header=BB398_148 Depth=2
	global_load_dwordx2 v[7:8], v[16:17], off offset:1024
	s_or_b64 exec, exec, s[54:55]
	v_cmp_lt_u32_e64 s[44:45], v63, v74
	s_and_saveexec_b64 s[54:55], s[44:45]
	s_cbranch_execz .LBB398_185
.LBB398_203:                            ;   in Loop: Header=BB398_148 Depth=2
	global_load_dwordx2 v[5:6], v[16:17], off offset:1536
	s_or_b64 exec, exec, s[54:55]
	s_and_saveexec_b64 s[44:45], s[42:43]
	s_cbranch_execz .LBB398_186
.LBB398_204:                            ;   in Loop: Header=BB398_148 Depth=2
	ds_read_u8 v16, v0 offset:1024
	s_waitcnt lgkmcnt(0)
	v_lshrrev_b32_e32 v16, s7, v16
	v_and_b32_e32 v73, s58, v16
	s_or_b64 exec, exec, s[44:45]
	s_and_saveexec_b64 s[44:45], s[40:41]
	s_cbranch_execz .LBB398_187
.LBB398_205:                            ;   in Loop: Header=BB398_148 Depth=2
	ds_read_u8 v16, v0 offset:1280
	s_waitcnt lgkmcnt(0)
	v_lshrrev_b32_e32 v16, s7, v16
	v_and_b32_e32 v72, s58, v16
	s_or_b64 exec, exec, s[44:45]
	s_and_saveexec_b64 s[44:45], s[38:39]
	s_cbranch_execz .LBB398_188
.LBB398_206:                            ;   in Loop: Header=BB398_148 Depth=2
	ds_read_u8 v16, v0 offset:1536
	s_waitcnt lgkmcnt(0)
	v_lshrrev_b32_e32 v16, s7, v16
	v_and_b32_e32 v70, s58, v16
	s_or_b64 exec, exec, s[44:45]
	s_and_saveexec_b64 s[44:45], vcc
	s_cbranch_execnz .LBB398_189
	s_branch .LBB398_190
.LBB398_207:                            ;   in Loop: Header=BB398_148 Depth=2
	v_lshlrev_b32_e32 v4, 2, v73
	ds_read_b32 v4, v4
	v_add_u32_e32 v13, v0, v51
	ds_read_b64 v[13:14], v13 offset:1024
	v_mov_b32_e32 v16, v3
	v_mov_b32_e32 v17, s67
	s_waitcnt lgkmcnt(1)
	v_add_u32_e32 v15, v4, v0
	v_lshlrev_b64 v[15:16], 3, v[15:16]
	v_add_co_u32_e64 v15, s[42:43], s66, v15
	v_addc_co_u32_e64 v16, s[42:43], v17, v16, s[42:43]
	s_waitcnt lgkmcnt(0)
	global_store_dwordx2 v[15:16], v[13:14], off
	s_or_b64 exec, exec, s[44:45]
	s_and_saveexec_b64 s[42:43], s[40:41]
	s_cbranch_execz .LBB398_192
.LBB398_208:                            ;   in Loop: Header=BB398_148 Depth=2
	v_lshlrev_b32_e32 v4, 2, v72
	ds_read_b32 v4, v4
	v_add_u32_e32 v13, v0, v51
	ds_read_b64 v[13:14], v13 offset:3072
	v_mov_b32_e32 v16, v3
	v_mov_b32_e32 v17, s67
	s_waitcnt lgkmcnt(1)
	v_add_u32_e32 v15, v4, v19
	v_lshlrev_b64 v[15:16], 3, v[15:16]
	v_add_co_u32_e64 v15, s[40:41], s66, v15
	v_addc_co_u32_e64 v16, s[40:41], v17, v16, s[40:41]
	s_waitcnt lgkmcnt(0)
	global_store_dwordx2 v[15:16], v[13:14], off
	s_or_b64 exec, exec, s[42:43]
	s_and_saveexec_b64 s[40:41], s[38:39]
	s_cbranch_execz .LBB398_193
.LBB398_209:                            ;   in Loop: Header=BB398_148 Depth=2
	v_lshlrev_b32_e32 v4, 2, v70
	ds_read_b32 v4, v4
	v_add_u32_e32 v13, v0, v51
	ds_read_b64 v[13:14], v13 offset:5120
	v_mov_b32_e32 v16, v3
	v_mov_b32_e32 v17, s67
	s_waitcnt lgkmcnt(1)
	v_add_u32_e32 v15, v4, v20
	v_lshlrev_b64 v[15:16], 3, v[15:16]
	v_add_co_u32_e64 v15, s[38:39], s66, v15
	v_addc_co_u32_e64 v16, s[38:39], v17, v16, s[38:39]
	s_waitcnt lgkmcnt(0)
	global_store_dwordx2 v[15:16], v[13:14], off
	s_or_b64 exec, exec, s[40:41]
	s_and_saveexec_b64 s[38:39], vcc
	s_cbranch_execnz .LBB398_194
	s_branch .LBB398_195
.LBB398_210:                            ;   in Loop: Header=BB398_148 Depth=2
	global_load_ubyte v4, v[13:14], off
	v_mov_b32_e32 v15, 0x7f
	v_mov_b32_e32 v76, 0x7f
	;; [unrolled: 1-line block ×3, first 2 shown]
	s_or_b64 exec, exec, s[38:39]
	v_cmp_gt_u32_e32 vcc, s59, v61
	s_and_saveexec_b64 s[38:39], vcc
	s_cbranch_execz .LBB398_153
.LBB398_211:                            ;   in Loop: Header=BB398_148 Depth=2
	global_load_ubyte v76, v[13:14], off offset:64
	s_or_b64 exec, exec, s[38:39]
	v_cmp_gt_u32_e32 vcc, s59, v62
	s_and_saveexec_b64 s[38:39], vcc
	s_cbranch_execnz .LBB398_154
	s_branch .LBB398_155
.LBB398_212:                            ;   in Loop: Header=BB398_12 Depth=1
	s_waitcnt lgkmcnt(0)
	s_barrier
.LBB398_213:                            ;   in Loop: Header=BB398_12 Depth=1
	s_mov_b64 s[18:19], 0
.LBB398_214:                            ;   in Loop: Header=BB398_12 Depth=1
	s_andn2_b64 vcc, exec, s[18:19]
	s_cbranch_vccnz .LBB398_11
; %bb.215:                              ;   in Loop: Header=BB398_12 Depth=1
	s_mov_b64 s[18:19], -1
	s_and_b64 vcc, exec, s[72:73]
	s_cbranch_vccz .LBB398_315
; %bb.216:                              ;   in Loop: Header=BB398_12 Depth=1
	v_mov_b32_e32 v4, 0
	s_mov_b32 s20, s71
	s_mov_b32 s22, s74
	v_mov_b32_e32 v7, 0
	v_mov_b32_e32 v6, 0
	;; [unrolled: 1-line block ×3, first 2 shown]
	s_barrier
	s_branch .LBB398_218
.LBB398_217:                            ;   in Loop: Header=BB398_218 Depth=2
	s_or_b64 exec, exec, s[18:19]
	s_addk_i32 s20, 0xfc00
	s_cmp_ge_u32 s21, s75
	s_mov_b32 s22, s21
	s_cbranch_scc1 .LBB398_238
.LBB398_218:                            ;   Parent Loop BB398_12 Depth=1
                                        ; =>  This Inner Loop Header: Depth=2
	s_add_i32 s21, s22, 0x400
	s_cmp_gt_u32 s21, s75
	s_mov_b64 s[18:19], -1
                                        ; implicit-def: $vgpr8
                                        ; implicit-def: $vgpr9
                                        ; implicit-def: $vgpr10
                                        ; implicit-def: $vgpr11
	s_cbranch_scc1 .LBB398_220
; %bb.219:                              ;   in Loop: Header=BB398_218 Depth=2
	v_add_co_u32_e32 v12, vcc, s22, v39
	v_addc_co_u32_e32 v13, vcc, 0, v40, vcc
	global_load_ubyte v11, v[12:13], off offset:768
	global_load_ubyte v10, v[12:13], off offset:512
	;; [unrolled: 1-line block ×3, first 2 shown]
	global_load_ubyte v8, v[12:13], off
	s_mov_b64 s[18:19], 0
.LBB398_220:                            ;   in Loop: Header=BB398_218 Depth=2
	s_andn2_b64 vcc, exec, s[18:19]
	s_movk_i32 s23, 0x400
	s_cbranch_vccnz .LBB398_227
; %bb.221:                              ;   in Loop: Header=BB398_218 Depth=2
	s_add_u32 s22, s48, s22
	s_addc_u32 s23, s49, 0
	v_cmp_gt_u32_e32 vcc, s20, v0
	s_and_saveexec_b64 s[18:19], vcc
	s_cbranch_execnz .LBB398_235
; %bb.222:                              ;   in Loop: Header=BB398_218 Depth=2
	s_or_b64 exec, exec, s[18:19]
	v_cmp_gt_u32_e32 vcc, s20, v19
	s_and_saveexec_b64 s[18:19], vcc
	s_cbranch_execnz .LBB398_236
.LBB398_223:                            ;   in Loop: Header=BB398_218 Depth=2
	s_or_b64 exec, exec, s[18:19]
	v_cmp_gt_u32_e32 vcc, s20, v20
	s_and_saveexec_b64 s[18:19], vcc
	s_cbranch_execnz .LBB398_237
.LBB398_224:                            ;   in Loop: Header=BB398_218 Depth=2
	s_or_b64 exec, exec, s[18:19]
	v_cmp_gt_u32_e32 vcc, s20, v21
	s_and_saveexec_b64 s[18:19], vcc
	s_cbranch_execz .LBB398_226
.LBB398_225:                            ;   in Loop: Header=BB398_218 Depth=2
	v_mov_b32_e32 v5, s23
	s_waitcnt vmcnt(0)
	v_add_co_u32_e32 v8, vcc, s22, v0
	v_addc_co_u32_e32 v9, vcc, 0, v5, vcc
	global_load_ubyte v5, v[8:9], off offset:768
.LBB398_226:                            ;   in Loop: Header=BB398_218 Depth=2
	s_or_b64 exec, exec, s[18:19]
	s_mov_b32 s23, s20
	s_waitcnt vmcnt(0)
	v_mov_b32_e32 v8, v4
	v_mov_b32_e32 v9, v7
	;; [unrolled: 1-line block ×4, first 2 shown]
.LBB398_227:                            ;   in Loop: Header=BB398_218 Depth=2
	s_waitcnt vmcnt(3)
	v_mov_b32_e32 v5, v11
	s_waitcnt vmcnt(2)
	v_mov_b32_e32 v6, v10
	;; [unrolled: 2-line block ×4, first 2 shown]
	v_cmp_gt_u32_e32 vcc, s23, v0
	s_and_saveexec_b64 s[18:19], vcc
	s_cbranch_execnz .LBB398_231
; %bb.228:                              ;   in Loop: Header=BB398_218 Depth=2
	s_or_b64 exec, exec, s[18:19]
	v_cmp_gt_u32_e32 vcc, s23, v19
	s_and_saveexec_b64 s[18:19], vcc
	s_cbranch_execnz .LBB398_232
.LBB398_229:                            ;   in Loop: Header=BB398_218 Depth=2
	s_or_b64 exec, exec, s[18:19]
	v_cmp_gt_u32_e32 vcc, s23, v20
	s_and_saveexec_b64 s[18:19], vcc
	s_cbranch_execnz .LBB398_233
.LBB398_230:                            ;   in Loop: Header=BB398_218 Depth=2
	s_or_b64 exec, exec, s[18:19]
	v_cmp_gt_u32_e32 vcc, s23, v21
	s_and_saveexec_b64 s[18:19], vcc
	s_cbranch_execz .LBB398_217
	s_branch .LBB398_234
.LBB398_231:                            ;   in Loop: Header=BB398_218 Depth=2
	v_xor_b32_e32 v8, 0x80, v4
	v_lshrrev_b32_sdwa v8, s69, v8 dst_sel:DWORD dst_unused:UNUSED_PAD src0_sel:DWORD src1_sel:BYTE_0
	v_and_b32_e32 v8, s58, v8
	v_lshl_or_b32 v8, v8, 4, v24
	ds_add_u32 v8, v52
	s_or_b64 exec, exec, s[18:19]
	v_cmp_gt_u32_e32 vcc, s23, v19
	s_and_saveexec_b64 s[18:19], vcc
	s_cbranch_execz .LBB398_229
.LBB398_232:                            ;   in Loop: Header=BB398_218 Depth=2
	v_xor_b32_e32 v8, 0x80, v7
	v_lshrrev_b32_sdwa v8, s69, v8 dst_sel:DWORD dst_unused:UNUSED_PAD src0_sel:DWORD src1_sel:BYTE_0
	v_and_b32_e32 v8, s58, v8
	v_lshl_or_b32 v8, v8, 4, v24
	ds_add_u32 v8, v52
	s_or_b64 exec, exec, s[18:19]
	v_cmp_gt_u32_e32 vcc, s23, v20
	s_and_saveexec_b64 s[18:19], vcc
	s_cbranch_execz .LBB398_230
.LBB398_233:                            ;   in Loop: Header=BB398_218 Depth=2
	v_xor_b32_e32 v8, 0x80, v6
	v_lshrrev_b32_sdwa v8, s69, v8 dst_sel:DWORD dst_unused:UNUSED_PAD src0_sel:DWORD src1_sel:BYTE_0
	v_and_b32_e32 v8, s58, v8
	v_lshl_or_b32 v8, v8, 4, v24
	ds_add_u32 v8, v52
	s_or_b64 exec, exec, s[18:19]
	v_cmp_gt_u32_e32 vcc, s23, v21
	s_and_saveexec_b64 s[18:19], vcc
	s_cbranch_execz .LBB398_217
.LBB398_234:                            ;   in Loop: Header=BB398_218 Depth=2
	v_xor_b32_e32 v8, 0x80, v5
	v_lshrrev_b32_sdwa v8, s69, v8 dst_sel:DWORD dst_unused:UNUSED_PAD src0_sel:DWORD src1_sel:BYTE_0
	v_and_b32_e32 v8, s58, v8
	v_lshl_or_b32 v8, v8, 4, v24
	ds_add_u32 v8, v52
	s_branch .LBB398_217
.LBB398_235:                            ;   in Loop: Header=BB398_218 Depth=2
	v_mov_b32_e32 v4, s23
	s_waitcnt vmcnt(0)
	v_add_co_u32_e32 v8, vcc, s22, v0
	v_addc_co_u32_e32 v9, vcc, 0, v4, vcc
	global_load_ubyte v4, v[8:9], off
	s_or_b64 exec, exec, s[18:19]
	v_cmp_gt_u32_e32 vcc, s20, v19
	s_and_saveexec_b64 s[18:19], vcc
	s_cbranch_execz .LBB398_223
.LBB398_236:                            ;   in Loop: Header=BB398_218 Depth=2
	s_waitcnt vmcnt(0)
	v_mov_b32_e32 v8, s23
	v_add_co_u32_e32 v7, vcc, s22, v0
	v_addc_co_u32_e32 v8, vcc, 0, v8, vcc
	global_load_ubyte v7, v[7:8], off offset:256
	s_or_b64 exec, exec, s[18:19]
	v_cmp_gt_u32_e32 vcc, s20, v20
	s_and_saveexec_b64 s[18:19], vcc
	s_cbranch_execz .LBB398_224
.LBB398_237:                            ;   in Loop: Header=BB398_218 Depth=2
	v_mov_b32_e32 v6, s23
	s_waitcnt vmcnt(0)
	v_add_co_u32_e32 v8, vcc, s22, v0
	v_addc_co_u32_e32 v9, vcc, 0, v6, vcc
	global_load_ubyte v6, v[8:9], off offset:512
	s_or_b64 exec, exec, s[18:19]
	v_cmp_gt_u32_e32 vcc, s20, v21
	s_and_saveexec_b64 s[18:19], vcc
	s_cbranch_execnz .LBB398_225
	s_branch .LBB398_226
.LBB398_238:                            ;   in Loop: Header=BB398_12 Depth=1
	v_mov_b32_e32 v4, 0
	s_waitcnt lgkmcnt(0)
	s_barrier
	s_and_saveexec_b64 s[18:19], s[4:5]
	s_cbranch_execz .LBB398_240
; %bb.239:                              ;   in Loop: Header=BB398_12 Depth=1
	ds_read2_b64 v[4:7], v25 offset1:1
	s_waitcnt lgkmcnt(0)
	v_add_u32_e32 v4, v5, v4
	v_add3_u32 v4, v4, v6, v7
.LBB398_240:                            ;   in Loop: Header=BB398_12 Depth=1
	s_or_b64 exec, exec, s[18:19]
	s_nop 0
	v_mov_b32_dpp v5, v4 row_shr:1 row_mask:0xf bank_mask:0xf
	v_cmp_eq_u32_e64 s[18:19], 0, v55
	v_cndmask_b32_e64 v5, v5, 0, s[18:19]
	v_add_u32_e32 v4, v5, v4
	v_cmp_lt_u32_e64 s[20:21], 1, v55
	v_cmp_lt_u32_e64 s[22:23], 3, v55
	v_mov_b32_dpp v5, v4 row_shr:2 row_mask:0xf bank_mask:0xf
	v_cndmask_b32_e64 v5, 0, v5, s[20:21]
	v_add_u32_e32 v4, v4, v5
	v_cmp_lt_u32_e64 s[24:25], 7, v55
	v_cmp_lt_u32_e64 s[28:29], 31, v45
	v_mov_b32_dpp v5, v4 row_shr:4 row_mask:0xf bank_mask:0xf
	v_cndmask_b32_e64 v5, 0, v5, s[22:23]
	v_add_u32_e32 v4, v4, v5
	v_cmp_eq_u32_e64 s[26:27], 0, v57
	s_nop 0
	v_mov_b32_dpp v5, v4 row_shr:8 row_mask:0xf bank_mask:0xf
	v_cndmask_b32_e64 v5, 0, v5, s[24:25]
	v_add_u32_e32 v4, v4, v5
	s_nop 1
	v_mov_b32_dpp v5, v4 row_bcast:15 row_mask:0xf bank_mask:0xf
	v_and_b32_e32 v5, v56, v5
	v_add_u32_e32 v4, v4, v5
	s_nop 1
	v_mov_b32_dpp v5, v4 row_bcast:31 row_mask:0xf bank_mask:0xf
	v_cndmask_b32_e64 v5, 0, v5, s[28:29]
	v_add_u32_e32 v4, v4, v5
	s_and_saveexec_b64 s[30:31], s[8:9]
; %bb.241:                              ;   in Loop: Header=BB398_12 Depth=1
	ds_write_b32 v27, v4
; %bb.242:                              ;   in Loop: Header=BB398_12 Depth=1
	s_or_b64 exec, exec, s[30:31]
	s_waitcnt lgkmcnt(0)
	s_barrier
	s_and_saveexec_b64 s[30:31], s[10:11]
	s_cbranch_execz .LBB398_244
; %bb.243:                              ;   in Loop: Header=BB398_12 Depth=1
	ds_read_b32 v5, v48
	v_cmp_ne_u32_e32 vcc, 0, v58
	s_waitcnt lgkmcnt(0)
	v_mov_b32_dpp v6, v5 row_shr:1 row_mask:0xf bank_mask:0xf
	v_cndmask_b32_e32 v6, 0, v6, vcc
	v_add_u32_e32 v5, v6, v5
	v_cmp_lt_u32_e32 vcc, 1, v58
	s_nop 0
	v_mov_b32_dpp v6, v5 row_shr:2 row_mask:0xf bank_mask:0xf
	v_cndmask_b32_e32 v6, 0, v6, vcc
	v_add_u32_e32 v5, v5, v6
	ds_write_b32 v48, v5
.LBB398_244:                            ;   in Loop: Header=BB398_12 Depth=1
	s_or_b64 exec, exec, s[30:31]
	v_mov_b32_e32 v5, 0
	s_waitcnt lgkmcnt(0)
	s_barrier
	s_and_saveexec_b64 s[30:31], s[12:13]
; %bb.245:                              ;   in Loop: Header=BB398_12 Depth=1
	ds_read_b32 v5, v49
; %bb.246:                              ;   in Loop: Header=BB398_12 Depth=1
	s_or_b64 exec, exec, s[30:31]
	v_subrev_co_u32_e64 v6, s[30:31], 1, v45
	v_cmp_lt_i32_e32 vcc, v6, v59
	v_cndmask_b32_e32 v6, v6, v45, vcc
	s_waitcnt lgkmcnt(0)
	v_add_u32_e32 v4, v5, v4
	v_lshlrev_b32_e32 v64, 2, v6
	ds_bpermute_b32 v4, v64, v4
	s_waitcnt lgkmcnt(0)
	s_barrier
	s_and_saveexec_b64 s[34:35], s[4:5]
; %bb.247:                              ;   in Loop: Header=BB398_12 Depth=1
	v_cndmask_b32_e64 v4, v4, v5, s[30:31]
	v_add_u32_e32 v4, s74, v4
	ds_write_b32 v18, v4
; %bb.248:                              ;   in Loop: Header=BB398_12 Depth=1
	s_or_b64 exec, exec, s[34:35]
	s_load_dwordx2 s[34:35], s[46:47], 0x0
	v_add_co_u32_e32 v65, vcc, v41, v60
	v_addc_co_u32_e32 v66, vcc, 0, v42, vcc
	s_waitcnt lgkmcnt(0)
	s_cmp_lt_u32 s33, s35
	s_cselect_b32 s35, 14, 20
	s_add_u32 s36, s46, s35
	s_addc_u32 s37, s47, 0
	s_cmp_lt_u32 s6, s34
	s_cselect_b32 s34, 12, 18
	s_add_u32 s34, s46, s34
	global_load_ushort v4, v3, s[36:37]
	s_addc_u32 s35, s47, 0
	global_load_ushort v5, v3, s[34:35]
	v_add_co_u32_e32 v67, vcc, v43, v46
	v_cmp_eq_u32_e64 s[34:35], 0, v58
	v_cmp_lt_u32_e64 s[36:37], 1, v58
	v_addc_co_u32_e32 v68, vcc, 0, v44, vcc
	s_mov_b32 s59, s71
	s_mov_b32 s56, s74
                                        ; implicit-def: $vgpr7_vgpr8
                                        ; implicit-def: $vgpr9_vgpr10
                                        ; implicit-def: $vgpr11_vgpr12
                                        ; implicit-def: $vgpr69
                                        ; implicit-def: $vgpr70
                                        ; implicit-def: $vgpr72
                                        ; implicit-def: $vgpr73
	s_waitcnt vmcnt(1)
	v_mad_u32_u24 v4, v2, v4, v1
	s_waitcnt vmcnt(0)
	v_mad_u64_u32 v[4:5], s[38:39], v4, v5, v[0:1]
                                        ; implicit-def: $vgpr5_vgpr6
	v_lshrrev_b32_e32 v4, 4, v4
	v_and_b32_e32 v71, 0xffffffc, v4
	s_branch .LBB398_250
.LBB398_249:                            ;   in Loop: Header=BB398_250 Depth=2
	s_or_b64 exec, exec, s[38:39]
	s_addk_i32 s59, 0xfc00
	s_cmp_lt_u32 s60, s75
	s_mov_b32 s56, s60
	s_cbranch_scc0 .LBB398_314
.LBB398_250:                            ;   Parent Loop BB398_12 Depth=1
                                        ; =>  This Inner Loop Header: Depth=2
	s_add_i32 s60, s56, 0x400
	s_cmp_gt_u32 s60, s75
	s_cbranch_scc1 .LBB398_252
; %bb.251:                              ;   in Loop: Header=BB398_250 Depth=2
	v_add_co_u32_e32 v13, vcc, s56, v67
	v_addc_co_u32_e32 v14, vcc, 0, v68, vcc
	global_load_ubyte v16, v[13:14], off offset:128
	global_load_ubyte v76, v[13:14], off offset:64
	global_load_ubyte v4, v[13:14], off
	s_mov_b64 s[38:39], -1
	s_movk_i32 s42, 0x400
                                        ; implicit-def: $vgpr15
	s_cbranch_execz .LBB398_253
	s_branch .LBB398_258
.LBB398_252:                            ;   in Loop: Header=BB398_250 Depth=2
	s_mov_b64 s[38:39], 0
                                        ; implicit-def: $vgpr4
                                        ; implicit-def: $vgpr76
                                        ; implicit-def: $vgpr16
	s_movk_i32 s42, 0x400
                                        ; implicit-def: $vgpr15
.LBB398_253:                            ;   in Loop: Header=BB398_250 Depth=2
	v_add_co_u32_e32 v13, vcc, s56, v67
	v_addc_co_u32_e32 v14, vcc, 0, v68, vcc
	v_cmp_gt_u32_e32 vcc, s59, v47
	v_mov_b32_e32 v15, 0x7f
	s_waitcnt vmcnt(0)
	v_mov_b32_e32 v4, 0x7f
	v_mov_b32_e32 v76, 0x7f
	;; [unrolled: 1-line block ×3, first 2 shown]
	s_and_saveexec_b64 s[38:39], vcc
	s_cbranch_execnz .LBB398_312
; %bb.254:                              ;   in Loop: Header=BB398_250 Depth=2
	s_or_b64 exec, exec, s[38:39]
	v_cmp_gt_u32_e32 vcc, s59, v61
	s_and_saveexec_b64 s[38:39], vcc
	s_cbranch_execnz .LBB398_313
.LBB398_255:                            ;   in Loop: Header=BB398_250 Depth=2
	s_or_b64 exec, exec, s[38:39]
	v_cmp_gt_u32_e32 vcc, s59, v62
	s_and_saveexec_b64 s[38:39], vcc
	s_cbranch_execz .LBB398_257
.LBB398_256:                            ;   in Loop: Header=BB398_250 Depth=2
	global_load_ubyte v16, v[13:14], off offset:128
.LBB398_257:                            ;   in Loop: Header=BB398_250 Depth=2
	s_or_b64 exec, exec, s[38:39]
	s_sub_i32 s42, s75, s56
	v_cmp_gt_u32_e64 s[38:39], s59, v63
.LBB398_258:                            ;   in Loop: Header=BB398_250 Depth=2
	v_mov_b32_e32 v74, s59
	s_and_saveexec_b64 s[40:41], s[38:39]
	s_cbranch_execz .LBB398_260
; %bb.259:                              ;   in Loop: Header=BB398_250 Depth=2
	v_mov_b32_e32 v14, s57
	v_add_co_u32_e32 v13, vcc, s56, v67
	v_addc_co_u32_e32 v14, vcc, v68, v14, vcc
	global_load_ubyte v15, v[13:14], off offset:192
	v_mov_b32_e32 v74, s42
.LBB398_260:                            ;   in Loop: Header=BB398_250 Depth=2
	s_or_b64 exec, exec, s[40:41]
	s_waitcnt vmcnt(0)
	v_xor_b32_e32 v17, 0xffffff80, v4
	v_lshrrev_b32_sdwa v4, s69, v17 dst_sel:DWORD dst_unused:UNUSED_PAD src0_sel:DWORD src1_sel:BYTE_0
	v_and_b32_e32 v13, s58, v4
	v_and_b32_e32 v4, 1, v13
	v_add_co_u32_e32 v14, vcc, -1, v4
	v_addc_co_u32_e64 v75, s[38:39], 0, -1, vcc
	v_cmp_ne_u32_e32 vcc, 0, v4
	v_xor_b32_e32 v4, vcc_hi, v75
	v_and_b32_e32 v75, exec_hi, v4
	v_lshlrev_b32_e32 v4, 30, v13
	v_xor_b32_e32 v14, vcc_lo, v14
	v_cmp_gt_i64_e32 vcc, 0, v[3:4]
	v_not_b32_e32 v4, v4
	v_ashrrev_i32_e32 v4, 31, v4
	v_and_b32_e32 v14, exec_lo, v14
	v_xor_b32_e32 v78, vcc_hi, v4
	v_xor_b32_e32 v4, vcc_lo, v4
	v_and_b32_e32 v14, v14, v4
	v_lshlrev_b32_e32 v4, 29, v13
	v_cmp_gt_i64_e32 vcc, 0, v[3:4]
	v_not_b32_e32 v4, v4
	v_ashrrev_i32_e32 v4, 31, v4
	v_and_b32_e32 v75, v75, v78
	v_xor_b32_e32 v78, vcc_hi, v4
	v_xor_b32_e32 v4, vcc_lo, v4
	v_and_b32_e32 v14, v14, v4
	v_lshlrev_b32_e32 v4, 28, v13
	v_cmp_gt_i64_e32 vcc, 0, v[3:4]
	v_not_b32_e32 v4, v4
	v_ashrrev_i32_e32 v4, 31, v4
	v_and_b32_e32 v75, v75, v78
	v_xor_b32_e32 v78, vcc_hi, v4
	v_xor_b32_e32 v4, vcc_lo, v4
	v_and_b32_e32 v14, v14, v4
	v_lshlrev_b32_e32 v4, 27, v13
	v_cmp_gt_i64_e32 vcc, 0, v[3:4]
	v_not_b32_e32 v4, v4
	v_ashrrev_i32_e32 v4, 31, v4
	v_and_b32_e32 v75, v75, v78
	v_xor_b32_e32 v78, vcc_hi, v4
	v_xor_b32_e32 v4, vcc_lo, v4
	v_and_b32_e32 v14, v14, v4
	v_lshlrev_b32_e32 v4, 26, v13
	v_cmp_gt_i64_e32 vcc, 0, v[3:4]
	v_not_b32_e32 v4, v4
	v_ashrrev_i32_e32 v4, 31, v4
	v_and_b32_e32 v75, v75, v78
	v_xor_b32_e32 v78, vcc_hi, v4
	v_xor_b32_e32 v4, vcc_lo, v4
	v_and_b32_e32 v14, v14, v4
	v_lshlrev_b32_e32 v4, 25, v13
	v_cmp_gt_i64_e32 vcc, 0, v[3:4]
	v_not_b32_e32 v4, v4
	v_ashrrev_i32_e32 v4, 31, v4
	v_and_b32_e32 v75, v75, v78
	v_xor_b32_e32 v78, vcc_hi, v4
	v_xor_b32_e32 v4, vcc_lo, v4
	v_and_b32_e32 v75, v75, v78
	v_and_b32_e32 v78, v14, v4
	v_lshlrev_b32_e32 v4, 24, v13
	v_cmp_gt_i64_e32 vcc, 0, v[3:4]
	v_not_b32_e32 v4, v4
	v_ashrrev_i32_e32 v4, 31, v4
	v_mul_u32_u24_e32 v77, 20, v13
	v_xor_b32_e32 v13, vcc_hi, v4
	v_xor_b32_e32 v4, vcc_lo, v4
	v_and_b32_e32 v14, v75, v13
	v_and_b32_e32 v13, v78, v4
	v_mbcnt_lo_u32_b32 v4, v13, 0
	v_mbcnt_hi_u32_b32 v75, v14, v4
	v_cmp_ne_u64_e32 vcc, 0, v[13:14]
	v_cmp_eq_u32_e64 s[38:39], 0, v75
	s_and_b64 s[40:41], vcc, s[38:39]
	v_add_u32_e32 v78, v71, v77
	ds_write2_b32 v53, v3, v3 offset1:1
	ds_write2_b32 v54, v3, v3 offset1:1
	ds_write_b32 v50, v3 offset:1056
	s_waitcnt lgkmcnt(0)
	s_barrier
	; wave barrier
	s_and_saveexec_b64 s[38:39], s[40:41]
; %bb.261:                              ;   in Loop: Header=BB398_250 Depth=2
	v_bcnt_u32_b32 v4, v13, 0
	v_bcnt_u32_b32 v4, v14, v4
	ds_write_b32 v78, v4 offset:1040
; %bb.262:                              ;   in Loop: Header=BB398_250 Depth=2
	s_or_b64 exec, exec, s[38:39]
	v_xor_b32_e32 v76, 0xffffff80, v76
	v_lshrrev_b32_sdwa v4, s69, v76 dst_sel:DWORD dst_unused:UNUSED_PAD src0_sel:DWORD src1_sel:BYTE_0
	v_and_b32_e32 v13, s58, v4
	v_mad_u32_u24 v4, v13, 20, v71
	; wave barrier
	ds_read_b32 v77, v4 offset:1040
	v_and_b32_e32 v4, 1, v13
	v_add_co_u32_e32 v14, vcc, -1, v4
	v_addc_co_u32_e64 v79, s[38:39], 0, -1, vcc
	v_cmp_ne_u32_e32 vcc, 0, v4
	v_xor_b32_e32 v4, vcc_hi, v79
	v_and_b32_e32 v79, exec_hi, v4
	v_lshlrev_b32_e32 v4, 30, v13
	v_xor_b32_e32 v14, vcc_lo, v14
	v_cmp_gt_i64_e32 vcc, 0, v[3:4]
	v_not_b32_e32 v4, v4
	v_ashrrev_i32_e32 v4, 31, v4
	v_and_b32_e32 v14, exec_lo, v14
	v_xor_b32_e32 v81, vcc_hi, v4
	v_xor_b32_e32 v4, vcc_lo, v4
	v_and_b32_e32 v14, v14, v4
	v_lshlrev_b32_e32 v4, 29, v13
	v_cmp_gt_i64_e32 vcc, 0, v[3:4]
	v_not_b32_e32 v4, v4
	v_ashrrev_i32_e32 v4, 31, v4
	v_and_b32_e32 v79, v79, v81
	v_xor_b32_e32 v81, vcc_hi, v4
	v_xor_b32_e32 v4, vcc_lo, v4
	v_and_b32_e32 v14, v14, v4
	v_lshlrev_b32_e32 v4, 28, v13
	v_cmp_gt_i64_e32 vcc, 0, v[3:4]
	v_not_b32_e32 v4, v4
	v_ashrrev_i32_e32 v4, 31, v4
	v_and_b32_e32 v79, v79, v81
	;; [unrolled: 8-line block ×5, first 2 shown]
	v_xor_b32_e32 v81, vcc_hi, v4
	v_xor_b32_e32 v4, vcc_lo, v4
	v_and_b32_e32 v79, v79, v81
	v_and_b32_e32 v81, v14, v4
	v_lshlrev_b32_e32 v4, 24, v13
	v_cmp_gt_i64_e32 vcc, 0, v[3:4]
	v_not_b32_e32 v4, v4
	v_ashrrev_i32_e32 v4, 31, v4
	v_mul_u32_u24_e32 v80, 20, v13
	v_xor_b32_e32 v13, vcc_hi, v4
	v_xor_b32_e32 v4, vcc_lo, v4
	v_and_b32_e32 v14, v79, v13
	v_and_b32_e32 v13, v81, v4
	v_mbcnt_lo_u32_b32 v4, v13, 0
	v_mbcnt_hi_u32_b32 v79, v14, v4
	v_cmp_ne_u64_e32 vcc, 0, v[13:14]
	v_cmp_eq_u32_e64 s[38:39], 0, v79
	s_and_b64 s[40:41], vcc, s[38:39]
	v_add_u32_e32 v82, v71, v80
	; wave barrier
	s_and_saveexec_b64 s[38:39], s[40:41]
	s_cbranch_execz .LBB398_264
; %bb.263:                              ;   in Loop: Header=BB398_250 Depth=2
	v_bcnt_u32_b32 v4, v13, 0
	v_bcnt_u32_b32 v4, v14, v4
	s_waitcnt lgkmcnt(0)
	v_add_u32_e32 v4, v77, v4
	ds_write_b32 v82, v4 offset:1040
.LBB398_264:                            ;   in Loop: Header=BB398_250 Depth=2
	s_or_b64 exec, exec, s[38:39]
	v_xor_b32_e32 v80, 0xffffff80, v16
	v_lshrrev_b32_sdwa v4, s69, v80 dst_sel:DWORD dst_unused:UNUSED_PAD src0_sel:DWORD src1_sel:BYTE_0
	v_and_b32_e32 v13, s58, v4
	v_mad_u32_u24 v4, v13, 20, v71
	; wave barrier
	ds_read_b32 v81, v4 offset:1040
	v_and_b32_e32 v4, 1, v13
	v_add_co_u32_e32 v14, vcc, -1, v4
	v_addc_co_u32_e64 v83, s[38:39], 0, -1, vcc
	v_cmp_ne_u32_e32 vcc, 0, v4
	v_xor_b32_e32 v4, vcc_hi, v83
	v_and_b32_e32 v83, exec_hi, v4
	v_lshlrev_b32_e32 v4, 30, v13
	v_xor_b32_e32 v14, vcc_lo, v14
	v_cmp_gt_i64_e32 vcc, 0, v[3:4]
	v_not_b32_e32 v4, v4
	v_ashrrev_i32_e32 v4, 31, v4
	v_and_b32_e32 v14, exec_lo, v14
	v_xor_b32_e32 v84, vcc_hi, v4
	v_xor_b32_e32 v4, vcc_lo, v4
	v_and_b32_e32 v14, v14, v4
	v_lshlrev_b32_e32 v4, 29, v13
	v_cmp_gt_i64_e32 vcc, 0, v[3:4]
	v_not_b32_e32 v4, v4
	v_ashrrev_i32_e32 v4, 31, v4
	v_and_b32_e32 v83, v83, v84
	v_xor_b32_e32 v84, vcc_hi, v4
	v_xor_b32_e32 v4, vcc_lo, v4
	v_and_b32_e32 v14, v14, v4
	v_lshlrev_b32_e32 v4, 28, v13
	v_cmp_gt_i64_e32 vcc, 0, v[3:4]
	v_not_b32_e32 v4, v4
	v_ashrrev_i32_e32 v4, 31, v4
	v_and_b32_e32 v83, v83, v84
	;; [unrolled: 8-line block ×5, first 2 shown]
	v_xor_b32_e32 v84, vcc_hi, v4
	v_xor_b32_e32 v4, vcc_lo, v4
	v_and_b32_e32 v83, v83, v84
	v_and_b32_e32 v84, v14, v4
	v_lshlrev_b32_e32 v4, 24, v13
	v_cmp_gt_i64_e32 vcc, 0, v[3:4]
	v_not_b32_e32 v4, v4
	v_ashrrev_i32_e32 v4, 31, v4
	v_mul_u32_u24_e32 v16, 20, v13
	v_xor_b32_e32 v13, vcc_hi, v4
	v_xor_b32_e32 v4, vcc_lo, v4
	v_and_b32_e32 v14, v83, v13
	v_and_b32_e32 v13, v84, v4
	v_mbcnt_lo_u32_b32 v4, v13, 0
	v_mbcnt_hi_u32_b32 v83, v14, v4
	v_cmp_ne_u64_e32 vcc, 0, v[13:14]
	v_cmp_eq_u32_e64 s[38:39], 0, v83
	s_and_b64 s[40:41], vcc, s[38:39]
	v_add_u32_e32 v86, v71, v16
	; wave barrier
	s_and_saveexec_b64 s[38:39], s[40:41]
	s_cbranch_execz .LBB398_266
; %bb.265:                              ;   in Loop: Header=BB398_250 Depth=2
	v_bcnt_u32_b32 v4, v13, 0
	v_bcnt_u32_b32 v4, v14, v4
	s_waitcnt lgkmcnt(0)
	v_add_u32_e32 v4, v81, v4
	ds_write_b32 v86, v4 offset:1040
.LBB398_266:                            ;   in Loop: Header=BB398_250 Depth=2
	s_or_b64 exec, exec, s[38:39]
	v_xor_b32_e32 v84, 0xffffff80, v15
	v_lshrrev_b32_sdwa v4, s69, v84 dst_sel:DWORD dst_unused:UNUSED_PAD src0_sel:DWORD src1_sel:BYTE_0
	v_and_b32_e32 v13, s58, v4
	v_mad_u32_u24 v4, v13, 20, v71
	; wave barrier
	ds_read_b32 v85, v4 offset:1040
	v_and_b32_e32 v4, 1, v13
	v_add_co_u32_e32 v14, vcc, -1, v4
	v_addc_co_u32_e64 v16, s[38:39], 0, -1, vcc
	v_cmp_ne_u32_e32 vcc, 0, v4
	v_xor_b32_e32 v4, vcc_hi, v16
	v_and_b32_e32 v16, exec_hi, v4
	v_lshlrev_b32_e32 v4, 30, v13
	v_xor_b32_e32 v14, vcc_lo, v14
	v_cmp_gt_i64_e32 vcc, 0, v[3:4]
	v_not_b32_e32 v4, v4
	v_ashrrev_i32_e32 v4, 31, v4
	v_and_b32_e32 v14, exec_lo, v14
	v_xor_b32_e32 v87, vcc_hi, v4
	v_xor_b32_e32 v4, vcc_lo, v4
	v_and_b32_e32 v14, v14, v4
	v_lshlrev_b32_e32 v4, 29, v13
	v_cmp_gt_i64_e32 vcc, 0, v[3:4]
	v_not_b32_e32 v4, v4
	v_ashrrev_i32_e32 v4, 31, v4
	v_and_b32_e32 v16, v16, v87
	v_xor_b32_e32 v87, vcc_hi, v4
	v_xor_b32_e32 v4, vcc_lo, v4
	v_and_b32_e32 v14, v14, v4
	v_lshlrev_b32_e32 v4, 28, v13
	v_cmp_gt_i64_e32 vcc, 0, v[3:4]
	v_not_b32_e32 v4, v4
	v_ashrrev_i32_e32 v4, 31, v4
	v_and_b32_e32 v16, v16, v87
	;; [unrolled: 8-line block ×5, first 2 shown]
	v_xor_b32_e32 v87, vcc_hi, v4
	v_xor_b32_e32 v4, vcc_lo, v4
	v_and_b32_e32 v16, v16, v87
	v_and_b32_e32 v87, v14, v4
	v_lshlrev_b32_e32 v4, 24, v13
	v_cmp_gt_i64_e32 vcc, 0, v[3:4]
	v_not_b32_e32 v4, v4
	v_ashrrev_i32_e32 v4, 31, v4
	v_mul_u32_u24_e32 v15, 20, v13
	v_xor_b32_e32 v13, vcc_hi, v4
	v_xor_b32_e32 v4, vcc_lo, v4
	v_and_b32_e32 v14, v16, v13
	v_and_b32_e32 v13, v87, v4
	v_mbcnt_lo_u32_b32 v4, v13, 0
	v_mbcnt_hi_u32_b32 v4, v14, v4
	v_cmp_ne_u64_e32 vcc, 0, v[13:14]
	v_cmp_eq_u32_e64 s[38:39], 0, v4
	s_and_b64 s[40:41], vcc, s[38:39]
	v_add_u32_e32 v87, v71, v15
	; wave barrier
	s_and_saveexec_b64 s[38:39], s[40:41]
	s_cbranch_execz .LBB398_268
; %bb.267:                              ;   in Loop: Header=BB398_250 Depth=2
	v_bcnt_u32_b32 v13, v13, 0
	v_bcnt_u32_b32 v13, v14, v13
	s_waitcnt lgkmcnt(0)
	v_add_u32_e32 v13, v85, v13
	ds_write_b32 v87, v13 offset:1040
.LBB398_268:                            ;   in Loop: Header=BB398_250 Depth=2
	s_or_b64 exec, exec, s[38:39]
	; wave barrier
	s_waitcnt lgkmcnt(0)
	s_barrier
	ds_read2_b32 v[15:16], v53 offset1:1
	ds_read2_b32 v[13:14], v54 offset1:1
	ds_read_b32 v88, v50 offset:1056
	s_waitcnt lgkmcnt(1)
	v_add3_u32 v89, v16, v15, v13
	s_waitcnt lgkmcnt(0)
	v_add3_u32 v88, v89, v14, v88
	s_nop 1
	v_mov_b32_dpp v89, v88 row_shr:1 row_mask:0xf bank_mask:0xf
	v_cndmask_b32_e64 v89, v89, 0, s[18:19]
	v_add_u32_e32 v88, v89, v88
	s_nop 1
	v_mov_b32_dpp v89, v88 row_shr:2 row_mask:0xf bank_mask:0xf
	v_cndmask_b32_e64 v89, 0, v89, s[20:21]
	v_add_u32_e32 v88, v88, v89
	;; [unrolled: 4-line block ×4, first 2 shown]
	s_nop 1
	v_mov_b32_dpp v89, v88 row_bcast:15 row_mask:0xf bank_mask:0xf
	v_cndmask_b32_e64 v89, v89, 0, s[26:27]
	v_add_u32_e32 v88, v88, v89
	s_nop 1
	v_mov_b32_dpp v89, v88 row_bcast:31 row_mask:0xf bank_mask:0xf
	v_cndmask_b32_e64 v89, 0, v89, s[28:29]
	v_add_u32_e32 v88, v88, v89
	s_and_saveexec_b64 s[38:39], s[8:9]
; %bb.269:                              ;   in Loop: Header=BB398_250 Depth=2
	ds_write_b32 v26, v88 offset:1024
; %bb.270:                              ;   in Loop: Header=BB398_250 Depth=2
	s_or_b64 exec, exec, s[38:39]
	s_waitcnt lgkmcnt(0)
	s_barrier
	s_and_saveexec_b64 s[38:39], s[10:11]
	s_cbranch_execz .LBB398_272
; %bb.271:                              ;   in Loop: Header=BB398_250 Depth=2
	v_add_u32_e32 v89, v50, v28
	ds_read_b32 v90, v89 offset:1024
	s_waitcnt lgkmcnt(0)
	s_nop 0
	v_mov_b32_dpp v91, v90 row_shr:1 row_mask:0xf bank_mask:0xf
	v_cndmask_b32_e64 v91, v91, 0, s[34:35]
	v_add_u32_e32 v90, v91, v90
	s_nop 1
	v_mov_b32_dpp v91, v90 row_shr:2 row_mask:0xf bank_mask:0xf
	v_cndmask_b32_e64 v91, 0, v91, s[36:37]
	v_add_u32_e32 v90, v90, v91
	ds_write_b32 v89, v90 offset:1024
.LBB398_272:                            ;   in Loop: Header=BB398_250 Depth=2
	s_or_b64 exec, exec, s[38:39]
	v_mov_b32_e32 v89, 0
	s_waitcnt lgkmcnt(0)
	s_barrier
	s_and_saveexec_b64 s[38:39], s[12:13]
; %bb.273:                              ;   in Loop: Header=BB398_250 Depth=2
	ds_read_b32 v89, v26 offset:1020
; %bb.274:                              ;   in Loop: Header=BB398_250 Depth=2
	s_or_b64 exec, exec, s[38:39]
	s_waitcnt lgkmcnt(0)
	v_add_u32_e32 v88, v89, v88
	ds_bpermute_b32 v88, v64, v88
	s_waitcnt lgkmcnt(0)
	v_cndmask_b32_e64 v88, v88, v89, s[30:31]
	v_cndmask_b32_e64 v88, v88, 0, s[14:15]
	v_add_u32_e32 v15, v88, v15
	v_add_u32_e32 v16, v15, v16
	;; [unrolled: 1-line block ×4, first 2 shown]
	ds_write2_b32 v53, v88, v15 offset1:1
	ds_write2_b32 v54, v16, v13 offset1:1
	ds_write_b32 v50, v14 offset:1056
	s_waitcnt lgkmcnt(0)
	s_barrier
	ds_read_b32 v13, v78 offset:1040
	ds_read_b32 v14, v82 offset:1040
	;; [unrolled: 1-line block ×5, first 2 shown]
	v_mov_b32_e32 v78, 0x400
	s_and_saveexec_b64 s[38:39], s[16:17]
; %bb.275:                              ;   in Loop: Header=BB398_250 Depth=2
	ds_read_b32 v78, v50 offset:1060
; %bb.276:                              ;   in Loop: Header=BB398_250 Depth=2
	s_or_b64 exec, exec, s[38:39]
	s_waitcnt lgkmcnt(0)
	s_barrier
	s_and_saveexec_b64 s[38:39], s[4:5]
	s_cbranch_execz .LBB398_278
; %bb.277:                              ;   in Loop: Header=BB398_250 Depth=2
	ds_read_b32 v86, v18
	s_waitcnt lgkmcnt(0)
	v_sub_u32_e32 v15, v86, v15
	ds_write_b32 v18, v15
.LBB398_278:                            ;   in Loop: Header=BB398_250 Depth=2
	s_or_b64 exec, exec, s[38:39]
	v_add_u32_e32 v15, v13, v75
	v_add3_u32 v14, v79, v77, v14
	v_add3_u32 v13, v83, v81, v16
	;; [unrolled: 1-line block ×3, first 2 shown]
	v_cmp_lt_u32_e64 s[42:43], v0, v74
	ds_write_b8 v15, v17 offset:1024
	ds_write_b8 v14, v76 offset:1024
	ds_write_b8 v13, v80 offset:1024
	ds_write_b8 v4, v84 offset:1024
	s_waitcnt lgkmcnt(0)
	s_barrier
	s_and_saveexec_b64 s[38:39], s[42:43]
	s_cbranch_execnz .LBB398_299
; %bb.279:                              ;   in Loop: Header=BB398_250 Depth=2
	s_or_b64 exec, exec, s[38:39]
	v_cmp_lt_u32_e64 s[40:41], v19, v74
	s_and_saveexec_b64 s[38:39], s[40:41]
	s_cbranch_execnz .LBB398_300
.LBB398_280:                            ;   in Loop: Header=BB398_250 Depth=2
	s_or_b64 exec, exec, s[38:39]
	v_cmp_lt_u32_e64 s[38:39], v20, v74
	s_and_saveexec_b64 s[44:45], s[38:39]
	s_cbranch_execnz .LBB398_301
.LBB398_281:                            ;   in Loop: Header=BB398_250 Depth=2
	s_or_b64 exec, exec, s[44:45]
	v_cmp_lt_u32_e32 vcc, v21, v74
	s_and_saveexec_b64 s[44:45], vcc
	s_cbranch_execz .LBB398_283
.LBB398_282:                            ;   in Loop: Header=BB398_250 Depth=2
	ds_read_u8 v16, v0 offset:1792
	s_waitcnt lgkmcnt(0)
	v_lshrrev_b32_sdwa v17, s69, v16 dst_sel:DWORD dst_unused:UNUSED_PAD src0_sel:DWORD src1_sel:BYTE_0
	v_and_b32_e32 v17, s58, v17
	v_lshlrev_b32_e32 v17, 2, v17
	ds_read_b32 v17, v17
	v_xor_b32_e32 v16, 0x80, v16
	s_waitcnt lgkmcnt(0)
	v_add_u32_e32 v17, v17, v21
	global_store_byte v17, v16, s[50:51]
.LBB398_283:                            ;   in Loop: Header=BB398_250 Depth=2
	s_or_b64 exec, exec, s[44:45]
	s_lshl_b64 s[44:45], s[56:57], 3
	v_mov_b32_e32 v17, s45
	v_add_co_u32_e64 v16, s[44:45], s44, v65
	v_addc_co_u32_e64 v17, s[44:45], v66, v17, s[44:45]
	v_cmp_lt_u32_e64 s[44:45], v47, v74
	s_and_saveexec_b64 s[54:55], s[44:45]
	s_xor_b64 s[44:45], exec, s[54:55]
	s_cbranch_execnz .LBB398_302
; %bb.284:                              ;   in Loop: Header=BB398_250 Depth=2
	s_or_b64 exec, exec, s[44:45]
	v_cmp_lt_u32_e64 s[44:45], v61, v74
	s_and_saveexec_b64 s[54:55], s[44:45]
	s_cbranch_execnz .LBB398_303
.LBB398_285:                            ;   in Loop: Header=BB398_250 Depth=2
	s_or_b64 exec, exec, s[54:55]
	v_cmp_lt_u32_e64 s[44:45], v62, v74
	s_and_saveexec_b64 s[54:55], s[44:45]
	s_cbranch_execnz .LBB398_304
.LBB398_286:                            ;   in Loop: Header=BB398_250 Depth=2
	s_or_b64 exec, exec, s[54:55]
	v_cmp_lt_u32_e64 s[44:45], v63, v74
	s_and_saveexec_b64 s[54:55], s[44:45]
	s_cbranch_execnz .LBB398_305
.LBB398_287:                            ;   in Loop: Header=BB398_250 Depth=2
	s_or_b64 exec, exec, s[54:55]
	s_and_saveexec_b64 s[44:45], s[42:43]
	s_cbranch_execnz .LBB398_306
.LBB398_288:                            ;   in Loop: Header=BB398_250 Depth=2
	s_or_b64 exec, exec, s[44:45]
	s_and_saveexec_b64 s[44:45], s[40:41]
	s_cbranch_execnz .LBB398_307
.LBB398_289:                            ;   in Loop: Header=BB398_250 Depth=2
	s_or_b64 exec, exec, s[44:45]
	s_and_saveexec_b64 s[44:45], s[38:39]
	s_cbranch_execnz .LBB398_308
.LBB398_290:                            ;   in Loop: Header=BB398_250 Depth=2
	s_or_b64 exec, exec, s[44:45]
	s_and_saveexec_b64 s[44:45], vcc
	s_cbranch_execz .LBB398_292
.LBB398_291:                            ;   in Loop: Header=BB398_250 Depth=2
	ds_read_u8 v16, v0 offset:1792
	s_waitcnt lgkmcnt(0)
	v_lshrrev_b32_e32 v16, s69, v16
	v_and_b32_e32 v69, s58, v16
.LBB398_292:                            ;   in Loop: Header=BB398_250 Depth=2
	s_or_b64 exec, exec, s[44:45]
	v_mad_u64_u32 v[15:16], s[44:45], v15, 7, v[15:16]
	s_waitcnt vmcnt(0)
	v_mad_u64_u32 v[74:75], s[44:45], v4, 7, v[4:5]
	v_mad_u64_u32 v[16:17], s[44:45], v14, 7, v[14:15]
	v_mad_u64_u32 v[13:14], s[44:45], v13, 7, v[13:14]
	s_barrier
	ds_write_b64 v15, v[11:12] offset:1024
	ds_write_b64 v16, v[9:10] offset:1024
	ds_write_b64 v13, v[7:8] offset:1024
	ds_write_b64 v74, v[5:6] offset:1024
	s_waitcnt lgkmcnt(0)
	s_barrier
	s_and_saveexec_b64 s[44:45], s[42:43]
	s_cbranch_execnz .LBB398_309
; %bb.293:                              ;   in Loop: Header=BB398_250 Depth=2
	s_or_b64 exec, exec, s[44:45]
	s_and_saveexec_b64 s[42:43], s[40:41]
	s_cbranch_execnz .LBB398_310
.LBB398_294:                            ;   in Loop: Header=BB398_250 Depth=2
	s_or_b64 exec, exec, s[42:43]
	s_and_saveexec_b64 s[40:41], s[38:39]
	s_cbranch_execnz .LBB398_311
.LBB398_295:                            ;   in Loop: Header=BB398_250 Depth=2
	s_or_b64 exec, exec, s[40:41]
	s_and_saveexec_b64 s[38:39], vcc
	s_cbranch_execz .LBB398_297
.LBB398_296:                            ;   in Loop: Header=BB398_250 Depth=2
	v_lshlrev_b32_e32 v4, 2, v69
	ds_read_b32 v4, v4
	v_add_u32_e32 v13, v0, v51
	ds_read_b64 v[13:14], v13 offset:7168
	v_mov_b32_e32 v16, v3
	v_mov_b32_e32 v17, s65
	s_waitcnt lgkmcnt(1)
	v_add_u32_e32 v15, v4, v21
	v_lshlrev_b64 v[15:16], 3, v[15:16]
	v_add_co_u32_e32 v15, vcc, s64, v15
	v_addc_co_u32_e32 v16, vcc, v17, v16, vcc
	s_waitcnt lgkmcnt(0)
	global_store_dwordx2 v[15:16], v[13:14], off
.LBB398_297:                            ;   in Loop: Header=BB398_250 Depth=2
	s_or_b64 exec, exec, s[38:39]
	s_waitcnt vmcnt(0)
	s_barrier
	s_and_saveexec_b64 s[38:39], s[4:5]
	s_cbranch_execz .LBB398_249
; %bb.298:                              ;   in Loop: Header=BB398_250 Depth=2
	ds_read_b32 v4, v18
	s_waitcnt lgkmcnt(0)
	v_add_u32_e32 v4, v4, v78
	ds_write_b32 v18, v4
	s_branch .LBB398_249
.LBB398_299:                            ;   in Loop: Header=BB398_250 Depth=2
	ds_read_u8 v16, v0 offset:1024
	s_waitcnt lgkmcnt(0)
	v_lshrrev_b32_sdwa v17, s69, v16 dst_sel:DWORD dst_unused:UNUSED_PAD src0_sel:DWORD src1_sel:BYTE_0
	v_and_b32_e32 v17, s58, v17
	v_lshlrev_b32_e32 v17, 2, v17
	ds_read_b32 v17, v17
	v_xor_b32_e32 v16, 0x80, v16
	s_waitcnt lgkmcnt(0)
	v_add_u32_e32 v17, v17, v0
	global_store_byte v17, v16, s[50:51]
	s_or_b64 exec, exec, s[38:39]
	v_cmp_lt_u32_e64 s[40:41], v19, v74
	s_and_saveexec_b64 s[38:39], s[40:41]
	s_cbranch_execz .LBB398_280
.LBB398_300:                            ;   in Loop: Header=BB398_250 Depth=2
	ds_read_u8 v16, v0 offset:1280
	s_waitcnt lgkmcnt(0)
	v_lshrrev_b32_sdwa v17, s69, v16 dst_sel:DWORD dst_unused:UNUSED_PAD src0_sel:DWORD src1_sel:BYTE_0
	v_and_b32_e32 v17, s58, v17
	v_lshlrev_b32_e32 v17, 2, v17
	ds_read_b32 v17, v17
	v_xor_b32_e32 v16, 0x80, v16
	s_waitcnt lgkmcnt(0)
	v_add_u32_e32 v17, v17, v19
	global_store_byte v17, v16, s[50:51]
	s_or_b64 exec, exec, s[38:39]
	v_cmp_lt_u32_e64 s[38:39], v20, v74
	s_and_saveexec_b64 s[44:45], s[38:39]
	s_cbranch_execz .LBB398_281
.LBB398_301:                            ;   in Loop: Header=BB398_250 Depth=2
	ds_read_u8 v16, v0 offset:1536
	s_waitcnt lgkmcnt(0)
	v_lshrrev_b32_sdwa v17, s69, v16 dst_sel:DWORD dst_unused:UNUSED_PAD src0_sel:DWORD src1_sel:BYTE_0
	v_and_b32_e32 v17, s58, v17
	v_lshlrev_b32_e32 v17, 2, v17
	ds_read_b32 v17, v17
	v_xor_b32_e32 v16, 0x80, v16
	s_waitcnt lgkmcnt(0)
	v_add_u32_e32 v17, v17, v20
	global_store_byte v17, v16, s[50:51]
	s_or_b64 exec, exec, s[44:45]
	v_cmp_lt_u32_e32 vcc, v21, v74
	s_and_saveexec_b64 s[44:45], vcc
	s_cbranch_execnz .LBB398_282
	s_branch .LBB398_283
.LBB398_302:                            ;   in Loop: Header=BB398_250 Depth=2
	global_load_dwordx2 v[11:12], v[16:17], off
	s_or_b64 exec, exec, s[44:45]
	v_cmp_lt_u32_e64 s[44:45], v61, v74
	s_and_saveexec_b64 s[54:55], s[44:45]
	s_cbranch_execz .LBB398_285
.LBB398_303:                            ;   in Loop: Header=BB398_250 Depth=2
	global_load_dwordx2 v[9:10], v[16:17], off offset:512
	s_or_b64 exec, exec, s[54:55]
	v_cmp_lt_u32_e64 s[44:45], v62, v74
	s_and_saveexec_b64 s[54:55], s[44:45]
	s_cbranch_execz .LBB398_286
.LBB398_304:                            ;   in Loop: Header=BB398_250 Depth=2
	global_load_dwordx2 v[7:8], v[16:17], off offset:1024
	s_or_b64 exec, exec, s[54:55]
	v_cmp_lt_u32_e64 s[44:45], v63, v74
	s_and_saveexec_b64 s[54:55], s[44:45]
	s_cbranch_execz .LBB398_287
.LBB398_305:                            ;   in Loop: Header=BB398_250 Depth=2
	global_load_dwordx2 v[5:6], v[16:17], off offset:1536
	s_or_b64 exec, exec, s[54:55]
	s_and_saveexec_b64 s[44:45], s[42:43]
	s_cbranch_execz .LBB398_288
.LBB398_306:                            ;   in Loop: Header=BB398_250 Depth=2
	ds_read_u8 v16, v0 offset:1024
	s_waitcnt lgkmcnt(0)
	v_lshrrev_b32_e32 v16, s69, v16
	v_and_b32_e32 v73, s58, v16
	s_or_b64 exec, exec, s[44:45]
	s_and_saveexec_b64 s[44:45], s[40:41]
	s_cbranch_execz .LBB398_289
.LBB398_307:                            ;   in Loop: Header=BB398_250 Depth=2
	ds_read_u8 v16, v0 offset:1280
	s_waitcnt lgkmcnt(0)
	v_lshrrev_b32_e32 v16, s69, v16
	v_and_b32_e32 v72, s58, v16
	s_or_b64 exec, exec, s[44:45]
	s_and_saveexec_b64 s[44:45], s[38:39]
	s_cbranch_execz .LBB398_290
.LBB398_308:                            ;   in Loop: Header=BB398_250 Depth=2
	ds_read_u8 v16, v0 offset:1536
	s_waitcnt lgkmcnt(0)
	v_lshrrev_b32_e32 v16, s69, v16
	v_and_b32_e32 v70, s58, v16
	s_or_b64 exec, exec, s[44:45]
	s_and_saveexec_b64 s[44:45], vcc
	s_cbranch_execnz .LBB398_291
	s_branch .LBB398_292
.LBB398_309:                            ;   in Loop: Header=BB398_250 Depth=2
	v_lshlrev_b32_e32 v4, 2, v73
	ds_read_b32 v4, v4
	v_add_u32_e32 v13, v0, v51
	ds_read_b64 v[13:14], v13 offset:1024
	v_mov_b32_e32 v16, v3
	v_mov_b32_e32 v17, s65
	s_waitcnt lgkmcnt(1)
	v_add_u32_e32 v15, v4, v0
	v_lshlrev_b64 v[15:16], 3, v[15:16]
	v_add_co_u32_e64 v15, s[42:43], s64, v15
	v_addc_co_u32_e64 v16, s[42:43], v17, v16, s[42:43]
	s_waitcnt lgkmcnt(0)
	global_store_dwordx2 v[15:16], v[13:14], off
	s_or_b64 exec, exec, s[44:45]
	s_and_saveexec_b64 s[42:43], s[40:41]
	s_cbranch_execz .LBB398_294
.LBB398_310:                            ;   in Loop: Header=BB398_250 Depth=2
	v_lshlrev_b32_e32 v4, 2, v72
	ds_read_b32 v4, v4
	v_add_u32_e32 v13, v0, v51
	ds_read_b64 v[13:14], v13 offset:3072
	v_mov_b32_e32 v16, v3
	v_mov_b32_e32 v17, s65
	s_waitcnt lgkmcnt(1)
	v_add_u32_e32 v15, v4, v19
	v_lshlrev_b64 v[15:16], 3, v[15:16]
	v_add_co_u32_e64 v15, s[40:41], s64, v15
	v_addc_co_u32_e64 v16, s[40:41], v17, v16, s[40:41]
	s_waitcnt lgkmcnt(0)
	global_store_dwordx2 v[15:16], v[13:14], off
	s_or_b64 exec, exec, s[42:43]
	s_and_saveexec_b64 s[40:41], s[38:39]
	s_cbranch_execz .LBB398_295
.LBB398_311:                            ;   in Loop: Header=BB398_250 Depth=2
	v_lshlrev_b32_e32 v4, 2, v70
	ds_read_b32 v4, v4
	v_add_u32_e32 v13, v0, v51
	ds_read_b64 v[13:14], v13 offset:5120
	v_mov_b32_e32 v16, v3
	v_mov_b32_e32 v17, s65
	s_waitcnt lgkmcnt(1)
	v_add_u32_e32 v15, v4, v20
	v_lshlrev_b64 v[15:16], 3, v[15:16]
	v_add_co_u32_e64 v15, s[38:39], s64, v15
	v_addc_co_u32_e64 v16, s[38:39], v17, v16, s[38:39]
	s_waitcnt lgkmcnt(0)
	global_store_dwordx2 v[15:16], v[13:14], off
	s_or_b64 exec, exec, s[40:41]
	s_and_saveexec_b64 s[38:39], vcc
	s_cbranch_execnz .LBB398_296
	s_branch .LBB398_297
.LBB398_312:                            ;   in Loop: Header=BB398_250 Depth=2
	global_load_ubyte v4, v[13:14], off
	v_mov_b32_e32 v15, 0x7f
	v_mov_b32_e32 v76, 0x7f
	;; [unrolled: 1-line block ×3, first 2 shown]
	s_or_b64 exec, exec, s[38:39]
	v_cmp_gt_u32_e32 vcc, s59, v61
	s_and_saveexec_b64 s[38:39], vcc
	s_cbranch_execz .LBB398_255
.LBB398_313:                            ;   in Loop: Header=BB398_250 Depth=2
	global_load_ubyte v76, v[13:14], off offset:64
	s_or_b64 exec, exec, s[38:39]
	v_cmp_gt_u32_e32 vcc, s59, v62
	s_and_saveexec_b64 s[38:39], vcc
	s_cbranch_execnz .LBB398_256
	s_branch .LBB398_257
.LBB398_314:                            ;   in Loop: Header=BB398_12 Depth=1
	s_waitcnt lgkmcnt(0)
	s_barrier
	s_mov_b64 s[18:19], 0
.LBB398_315:                            ;   in Loop: Header=BB398_12 Depth=1
	s_and_b64 vcc, exec, s[18:19]
	s_cbranch_vccz .LBB398_11
; %bb.316:                              ;   in Loop: Header=BB398_12 Depth=1
	v_mov_b32_e32 v4, 0
	s_mov_b32 s20, s71
	s_mov_b32 s22, s74
	v_mov_b32_e32 v7, 0
	v_mov_b32_e32 v6, 0
	;; [unrolled: 1-line block ×3, first 2 shown]
	s_barrier
	s_branch .LBB398_318
.LBB398_317:                            ;   in Loop: Header=BB398_318 Depth=2
	s_or_b64 exec, exec, s[18:19]
	s_addk_i32 s20, 0xfc00
	s_cmp_ge_u32 s21, s75
	s_mov_b32 s22, s21
	s_cbranch_scc1 .LBB398_338
.LBB398_318:                            ;   Parent Loop BB398_12 Depth=1
                                        ; =>  This Inner Loop Header: Depth=2
	s_add_i32 s21, s22, 0x400
	s_cmp_gt_u32 s21, s75
	s_mov_b64 s[18:19], -1
                                        ; implicit-def: $vgpr8
                                        ; implicit-def: $vgpr9
                                        ; implicit-def: $vgpr10
                                        ; implicit-def: $vgpr11
	s_cbranch_scc1 .LBB398_320
; %bb.319:                              ;   in Loop: Header=BB398_318 Depth=2
	v_add_co_u32_e32 v12, vcc, s22, v39
	v_addc_co_u32_e32 v13, vcc, 0, v40, vcc
	global_load_ubyte v11, v[12:13], off offset:768
	global_load_ubyte v10, v[12:13], off offset:512
	;; [unrolled: 1-line block ×3, first 2 shown]
	global_load_ubyte v8, v[12:13], off
	s_mov_b64 s[18:19], 0
.LBB398_320:                            ;   in Loop: Header=BB398_318 Depth=2
	s_andn2_b64 vcc, exec, s[18:19]
	s_movk_i32 s23, 0x400
	s_cbranch_vccnz .LBB398_327
; %bb.321:                              ;   in Loop: Header=BB398_318 Depth=2
	s_add_u32 s22, s48, s22
	s_addc_u32 s23, s49, 0
	v_cmp_gt_u32_e32 vcc, s20, v0
	s_and_saveexec_b64 s[18:19], vcc
	s_cbranch_execnz .LBB398_335
; %bb.322:                              ;   in Loop: Header=BB398_318 Depth=2
	s_or_b64 exec, exec, s[18:19]
	v_cmp_gt_u32_e32 vcc, s20, v19
	s_and_saveexec_b64 s[18:19], vcc
	s_cbranch_execnz .LBB398_336
.LBB398_323:                            ;   in Loop: Header=BB398_318 Depth=2
	s_or_b64 exec, exec, s[18:19]
	v_cmp_gt_u32_e32 vcc, s20, v20
	s_and_saveexec_b64 s[18:19], vcc
	s_cbranch_execnz .LBB398_337
.LBB398_324:                            ;   in Loop: Header=BB398_318 Depth=2
	s_or_b64 exec, exec, s[18:19]
	v_cmp_gt_u32_e32 vcc, s20, v21
	s_and_saveexec_b64 s[18:19], vcc
	s_cbranch_execz .LBB398_326
.LBB398_325:                            ;   in Loop: Header=BB398_318 Depth=2
	v_mov_b32_e32 v5, s23
	s_waitcnt vmcnt(0)
	v_add_co_u32_e32 v8, vcc, s22, v0
	v_addc_co_u32_e32 v9, vcc, 0, v5, vcc
	global_load_ubyte v5, v[8:9], off offset:768
.LBB398_326:                            ;   in Loop: Header=BB398_318 Depth=2
	s_or_b64 exec, exec, s[18:19]
	s_mov_b32 s23, s20
	s_waitcnt vmcnt(0)
	v_mov_b32_e32 v8, v4
	v_mov_b32_e32 v9, v7
	;; [unrolled: 1-line block ×4, first 2 shown]
.LBB398_327:                            ;   in Loop: Header=BB398_318 Depth=2
	s_waitcnt vmcnt(3)
	v_mov_b32_e32 v5, v11
	s_waitcnt vmcnt(2)
	v_mov_b32_e32 v6, v10
	;; [unrolled: 2-line block ×4, first 2 shown]
	v_cmp_gt_u32_e32 vcc, s23, v0
	s_and_saveexec_b64 s[18:19], vcc
	s_cbranch_execnz .LBB398_331
; %bb.328:                              ;   in Loop: Header=BB398_318 Depth=2
	s_or_b64 exec, exec, s[18:19]
	v_cmp_gt_u32_e32 vcc, s23, v19
	s_and_saveexec_b64 s[18:19], vcc
	s_cbranch_execnz .LBB398_332
.LBB398_329:                            ;   in Loop: Header=BB398_318 Depth=2
	s_or_b64 exec, exec, s[18:19]
	v_cmp_gt_u32_e32 vcc, s23, v20
	s_and_saveexec_b64 s[18:19], vcc
	s_cbranch_execnz .LBB398_333
.LBB398_330:                            ;   in Loop: Header=BB398_318 Depth=2
	s_or_b64 exec, exec, s[18:19]
	v_cmp_gt_u32_e32 vcc, s23, v21
	s_and_saveexec_b64 s[18:19], vcc
	s_cbranch_execz .LBB398_317
	s_branch .LBB398_334
.LBB398_331:                            ;   in Loop: Header=BB398_318 Depth=2
	v_xor_b32_e32 v8, 0x80, v4
	v_lshrrev_b32_sdwa v8, s69, v8 dst_sel:DWORD dst_unused:UNUSED_PAD src0_sel:DWORD src1_sel:BYTE_0
	v_and_b32_e32 v8, s58, v8
	v_lshl_or_b32 v8, v8, 4, v24
	ds_add_u32 v8, v52
	s_or_b64 exec, exec, s[18:19]
	v_cmp_gt_u32_e32 vcc, s23, v19
	s_and_saveexec_b64 s[18:19], vcc
	s_cbranch_execz .LBB398_329
.LBB398_332:                            ;   in Loop: Header=BB398_318 Depth=2
	v_xor_b32_e32 v8, 0x80, v7
	v_lshrrev_b32_sdwa v8, s69, v8 dst_sel:DWORD dst_unused:UNUSED_PAD src0_sel:DWORD src1_sel:BYTE_0
	v_and_b32_e32 v8, s58, v8
	v_lshl_or_b32 v8, v8, 4, v24
	ds_add_u32 v8, v52
	s_or_b64 exec, exec, s[18:19]
	v_cmp_gt_u32_e32 vcc, s23, v20
	s_and_saveexec_b64 s[18:19], vcc
	s_cbranch_execz .LBB398_330
.LBB398_333:                            ;   in Loop: Header=BB398_318 Depth=2
	v_xor_b32_e32 v8, 0x80, v6
	v_lshrrev_b32_sdwa v8, s69, v8 dst_sel:DWORD dst_unused:UNUSED_PAD src0_sel:DWORD src1_sel:BYTE_0
	v_and_b32_e32 v8, s58, v8
	v_lshl_or_b32 v8, v8, 4, v24
	ds_add_u32 v8, v52
	s_or_b64 exec, exec, s[18:19]
	v_cmp_gt_u32_e32 vcc, s23, v21
	s_and_saveexec_b64 s[18:19], vcc
	s_cbranch_execz .LBB398_317
.LBB398_334:                            ;   in Loop: Header=BB398_318 Depth=2
	v_xor_b32_e32 v8, 0x80, v5
	v_lshrrev_b32_sdwa v8, s69, v8 dst_sel:DWORD dst_unused:UNUSED_PAD src0_sel:DWORD src1_sel:BYTE_0
	v_and_b32_e32 v8, s58, v8
	v_lshl_or_b32 v8, v8, 4, v24
	ds_add_u32 v8, v52
	s_branch .LBB398_317
.LBB398_335:                            ;   in Loop: Header=BB398_318 Depth=2
	v_mov_b32_e32 v4, s23
	s_waitcnt vmcnt(0)
	v_add_co_u32_e32 v8, vcc, s22, v0
	v_addc_co_u32_e32 v9, vcc, 0, v4, vcc
	global_load_ubyte v4, v[8:9], off
	s_or_b64 exec, exec, s[18:19]
	v_cmp_gt_u32_e32 vcc, s20, v19
	s_and_saveexec_b64 s[18:19], vcc
	s_cbranch_execz .LBB398_323
.LBB398_336:                            ;   in Loop: Header=BB398_318 Depth=2
	s_waitcnt vmcnt(0)
	v_mov_b32_e32 v8, s23
	v_add_co_u32_e32 v7, vcc, s22, v0
	v_addc_co_u32_e32 v8, vcc, 0, v8, vcc
	global_load_ubyte v7, v[7:8], off offset:256
	s_or_b64 exec, exec, s[18:19]
	v_cmp_gt_u32_e32 vcc, s20, v20
	s_and_saveexec_b64 s[18:19], vcc
	s_cbranch_execz .LBB398_324
.LBB398_337:                            ;   in Loop: Header=BB398_318 Depth=2
	v_mov_b32_e32 v6, s23
	s_waitcnt vmcnt(0)
	v_add_co_u32_e32 v8, vcc, s22, v0
	v_addc_co_u32_e32 v9, vcc, 0, v6, vcc
	global_load_ubyte v6, v[8:9], off offset:512
	s_or_b64 exec, exec, s[18:19]
	v_cmp_gt_u32_e32 vcc, s20, v21
	s_and_saveexec_b64 s[18:19], vcc
	s_cbranch_execnz .LBB398_325
	s_branch .LBB398_326
.LBB398_338:                            ;   in Loop: Header=BB398_12 Depth=1
	v_mov_b32_e32 v4, 0
	s_waitcnt lgkmcnt(0)
	s_barrier
	s_and_saveexec_b64 s[18:19], s[4:5]
	s_cbranch_execz .LBB398_340
; %bb.339:                              ;   in Loop: Header=BB398_12 Depth=1
	ds_read2_b64 v[4:7], v25 offset1:1
	s_waitcnt lgkmcnt(0)
	v_add_u32_e32 v4, v5, v4
	v_add3_u32 v4, v4, v6, v7
.LBB398_340:                            ;   in Loop: Header=BB398_12 Depth=1
	s_or_b64 exec, exec, s[18:19]
	s_nop 0
	v_mov_b32_dpp v5, v4 row_shr:1 row_mask:0xf bank_mask:0xf
	v_cmp_eq_u32_e64 s[18:19], 0, v55
	v_cndmask_b32_e64 v5, v5, 0, s[18:19]
	v_add_u32_e32 v4, v5, v4
	v_cmp_lt_u32_e64 s[20:21], 1, v55
	v_cmp_lt_u32_e64 s[22:23], 3, v55
	v_mov_b32_dpp v5, v4 row_shr:2 row_mask:0xf bank_mask:0xf
	v_cndmask_b32_e64 v5, 0, v5, s[20:21]
	v_add_u32_e32 v4, v4, v5
	v_cmp_lt_u32_e64 s[24:25], 7, v55
	v_cmp_lt_u32_e64 s[28:29], 31, v45
	v_mov_b32_dpp v5, v4 row_shr:4 row_mask:0xf bank_mask:0xf
	v_cndmask_b32_e64 v5, 0, v5, s[22:23]
	v_add_u32_e32 v4, v4, v5
	v_cmp_eq_u32_e64 s[26:27], 0, v57
	s_nop 0
	v_mov_b32_dpp v5, v4 row_shr:8 row_mask:0xf bank_mask:0xf
	v_cndmask_b32_e64 v5, 0, v5, s[24:25]
	v_add_u32_e32 v4, v4, v5
	s_nop 1
	v_mov_b32_dpp v5, v4 row_bcast:15 row_mask:0xf bank_mask:0xf
	v_and_b32_e32 v5, v56, v5
	v_add_u32_e32 v4, v4, v5
	s_nop 1
	v_mov_b32_dpp v5, v4 row_bcast:31 row_mask:0xf bank_mask:0xf
	v_cndmask_b32_e64 v5, 0, v5, s[28:29]
	v_add_u32_e32 v4, v4, v5
	s_and_saveexec_b64 s[30:31], s[8:9]
; %bb.341:                              ;   in Loop: Header=BB398_12 Depth=1
	ds_write_b32 v27, v4
; %bb.342:                              ;   in Loop: Header=BB398_12 Depth=1
	s_or_b64 exec, exec, s[30:31]
	s_waitcnt lgkmcnt(0)
	s_barrier
	s_and_saveexec_b64 s[30:31], s[10:11]
	s_cbranch_execz .LBB398_344
; %bb.343:                              ;   in Loop: Header=BB398_12 Depth=1
	ds_read_b32 v5, v48
	v_cmp_ne_u32_e32 vcc, 0, v58
	s_waitcnt lgkmcnt(0)
	v_mov_b32_dpp v6, v5 row_shr:1 row_mask:0xf bank_mask:0xf
	v_cndmask_b32_e32 v6, 0, v6, vcc
	v_add_u32_e32 v5, v6, v5
	v_cmp_lt_u32_e32 vcc, 1, v58
	s_nop 0
	v_mov_b32_dpp v6, v5 row_shr:2 row_mask:0xf bank_mask:0xf
	v_cndmask_b32_e32 v6, 0, v6, vcc
	v_add_u32_e32 v5, v5, v6
	ds_write_b32 v48, v5
.LBB398_344:                            ;   in Loop: Header=BB398_12 Depth=1
	s_or_b64 exec, exec, s[30:31]
	v_mov_b32_e32 v5, 0
	s_waitcnt lgkmcnt(0)
	s_barrier
	s_and_saveexec_b64 s[30:31], s[12:13]
; %bb.345:                              ;   in Loop: Header=BB398_12 Depth=1
	ds_read_b32 v5, v49
; %bb.346:                              ;   in Loop: Header=BB398_12 Depth=1
	s_or_b64 exec, exec, s[30:31]
	v_subrev_co_u32_e64 v6, s[30:31], 1, v45
	v_cmp_lt_i32_e32 vcc, v6, v59
	v_cndmask_b32_e32 v6, v6, v45, vcc
	s_waitcnt lgkmcnt(0)
	v_add_u32_e32 v4, v5, v4
	v_lshlrev_b32_e32 v64, 2, v6
	ds_bpermute_b32 v4, v64, v4
	s_waitcnt lgkmcnt(0)
	s_barrier
	s_and_saveexec_b64 s[34:35], s[4:5]
; %bb.347:                              ;   in Loop: Header=BB398_12 Depth=1
	v_cndmask_b32_e64 v4, v4, v5, s[30:31]
	v_add_u32_e32 v4, s74, v4
	ds_write_b32 v18, v4
; %bb.348:                              ;   in Loop: Header=BB398_12 Depth=1
	s_or_b64 exec, exec, s[34:35]
	s_load_dwordx2 s[34:35], s[46:47], 0x0
	v_add_co_u32_e32 v65, vcc, v41, v60
	v_addc_co_u32_e32 v66, vcc, 0, v42, vcc
	s_waitcnt lgkmcnt(0)
	s_cmp_lt_u32 s33, s35
	s_cselect_b32 s35, 14, 20
	s_add_u32 s36, s46, s35
	s_addc_u32 s37, s47, 0
	s_cmp_lt_u32 s6, s34
	s_cselect_b32 s34, 12, 18
	s_add_u32 s34, s46, s34
	global_load_ushort v4, v3, s[36:37]
	s_addc_u32 s35, s47, 0
	global_load_ushort v5, v3, s[34:35]
	v_add_co_u32_e32 v67, vcc, v43, v46
	v_cmp_eq_u32_e64 s[34:35], 0, v58
	v_cmp_lt_u32_e64 s[36:37], 1, v58
	v_addc_co_u32_e32 v68, vcc, 0, v44, vcc
	s_mov_b32 s59, s71
	s_mov_b32 s56, s74
                                        ; implicit-def: $vgpr7_vgpr8
                                        ; implicit-def: $vgpr9_vgpr10
                                        ; implicit-def: $vgpr11_vgpr12
                                        ; implicit-def: $vgpr69
                                        ; implicit-def: $vgpr70
                                        ; implicit-def: $vgpr72
                                        ; implicit-def: $vgpr73
	s_waitcnt vmcnt(1)
	v_mad_u32_u24 v4, v2, v4, v1
	s_waitcnt vmcnt(0)
	v_mad_u64_u32 v[4:5], s[38:39], v4, v5, v[0:1]
                                        ; implicit-def: $vgpr5_vgpr6
	v_lshrrev_b32_e32 v4, 4, v4
	v_and_b32_e32 v71, 0xffffffc, v4
	s_branch .LBB398_350
.LBB398_349:                            ;   in Loop: Header=BB398_350 Depth=2
	s_or_b64 exec, exec, s[38:39]
	s_addk_i32 s59, 0xfc00
	s_cmp_lt_u32 s60, s75
	s_mov_b32 s56, s60
	s_cbranch_scc0 .LBB398_10
.LBB398_350:                            ;   Parent Loop BB398_12 Depth=1
                                        ; =>  This Inner Loop Header: Depth=2
	s_add_i32 s60, s56, 0x400
	s_cmp_gt_u32 s60, s75
	s_cbranch_scc1 .LBB398_352
; %bb.351:                              ;   in Loop: Header=BB398_350 Depth=2
	v_add_co_u32_e32 v13, vcc, s56, v67
	v_addc_co_u32_e32 v14, vcc, 0, v68, vcc
	global_load_ubyte v16, v[13:14], off offset:128
	global_load_ubyte v76, v[13:14], off offset:64
	global_load_ubyte v4, v[13:14], off
	s_mov_b64 s[38:39], -1
	s_movk_i32 s42, 0x400
                                        ; implicit-def: $vgpr15
	s_cbranch_execz .LBB398_353
	s_branch .LBB398_358
.LBB398_352:                            ;   in Loop: Header=BB398_350 Depth=2
	s_mov_b64 s[38:39], 0
                                        ; implicit-def: $vgpr4
                                        ; implicit-def: $vgpr76
                                        ; implicit-def: $vgpr16
	s_movk_i32 s42, 0x400
                                        ; implicit-def: $vgpr15
.LBB398_353:                            ;   in Loop: Header=BB398_350 Depth=2
	v_add_co_u32_e32 v13, vcc, s56, v67
	v_addc_co_u32_e32 v14, vcc, 0, v68, vcc
	v_cmp_gt_u32_e32 vcc, s59, v47
	v_mov_b32_e32 v15, 0x7f
	s_waitcnt vmcnt(0)
	v_mov_b32_e32 v4, 0x7f
	v_mov_b32_e32 v76, 0x7f
	;; [unrolled: 1-line block ×3, first 2 shown]
	s_and_saveexec_b64 s[38:39], vcc
	s_cbranch_execnz .LBB398_412
; %bb.354:                              ;   in Loop: Header=BB398_350 Depth=2
	s_or_b64 exec, exec, s[38:39]
	v_cmp_gt_u32_e32 vcc, s59, v61
	s_and_saveexec_b64 s[38:39], vcc
	s_cbranch_execnz .LBB398_413
.LBB398_355:                            ;   in Loop: Header=BB398_350 Depth=2
	s_or_b64 exec, exec, s[38:39]
	v_cmp_gt_u32_e32 vcc, s59, v62
	s_and_saveexec_b64 s[38:39], vcc
	s_cbranch_execz .LBB398_357
.LBB398_356:                            ;   in Loop: Header=BB398_350 Depth=2
	global_load_ubyte v16, v[13:14], off offset:128
.LBB398_357:                            ;   in Loop: Header=BB398_350 Depth=2
	s_or_b64 exec, exec, s[38:39]
	s_sub_i32 s42, s75, s56
	v_cmp_gt_u32_e64 s[38:39], s59, v63
.LBB398_358:                            ;   in Loop: Header=BB398_350 Depth=2
	v_mov_b32_e32 v74, s59
	s_and_saveexec_b64 s[40:41], s[38:39]
	s_cbranch_execz .LBB398_360
; %bb.359:                              ;   in Loop: Header=BB398_350 Depth=2
	v_mov_b32_e32 v14, s57
	v_add_co_u32_e32 v13, vcc, s56, v67
	v_addc_co_u32_e32 v14, vcc, v68, v14, vcc
	global_load_ubyte v15, v[13:14], off offset:192
	v_mov_b32_e32 v74, s42
.LBB398_360:                            ;   in Loop: Header=BB398_350 Depth=2
	s_or_b64 exec, exec, s[40:41]
	s_waitcnt vmcnt(0)
	v_xor_b32_e32 v17, 0xffffff80, v4
	v_lshrrev_b32_sdwa v4, s69, v17 dst_sel:DWORD dst_unused:UNUSED_PAD src0_sel:DWORD src1_sel:BYTE_0
	v_and_b32_e32 v13, s58, v4
	v_and_b32_e32 v4, 1, v13
	v_add_co_u32_e32 v14, vcc, -1, v4
	v_addc_co_u32_e64 v75, s[38:39], 0, -1, vcc
	v_cmp_ne_u32_e32 vcc, 0, v4
	v_xor_b32_e32 v4, vcc_hi, v75
	v_and_b32_e32 v75, exec_hi, v4
	v_lshlrev_b32_e32 v4, 30, v13
	v_xor_b32_e32 v14, vcc_lo, v14
	v_cmp_gt_i64_e32 vcc, 0, v[3:4]
	v_not_b32_e32 v4, v4
	v_ashrrev_i32_e32 v4, 31, v4
	v_and_b32_e32 v14, exec_lo, v14
	v_xor_b32_e32 v78, vcc_hi, v4
	v_xor_b32_e32 v4, vcc_lo, v4
	v_and_b32_e32 v14, v14, v4
	v_lshlrev_b32_e32 v4, 29, v13
	v_cmp_gt_i64_e32 vcc, 0, v[3:4]
	v_not_b32_e32 v4, v4
	v_ashrrev_i32_e32 v4, 31, v4
	v_and_b32_e32 v75, v75, v78
	v_xor_b32_e32 v78, vcc_hi, v4
	v_xor_b32_e32 v4, vcc_lo, v4
	v_and_b32_e32 v14, v14, v4
	v_lshlrev_b32_e32 v4, 28, v13
	v_cmp_gt_i64_e32 vcc, 0, v[3:4]
	v_not_b32_e32 v4, v4
	v_ashrrev_i32_e32 v4, 31, v4
	v_and_b32_e32 v75, v75, v78
	;; [unrolled: 8-line block ×5, first 2 shown]
	v_xor_b32_e32 v78, vcc_hi, v4
	v_xor_b32_e32 v4, vcc_lo, v4
	v_and_b32_e32 v75, v75, v78
	v_and_b32_e32 v78, v14, v4
	v_lshlrev_b32_e32 v4, 24, v13
	v_cmp_gt_i64_e32 vcc, 0, v[3:4]
	v_not_b32_e32 v4, v4
	v_ashrrev_i32_e32 v4, 31, v4
	v_mul_u32_u24_e32 v77, 20, v13
	v_xor_b32_e32 v13, vcc_hi, v4
	v_xor_b32_e32 v4, vcc_lo, v4
	v_and_b32_e32 v14, v75, v13
	v_and_b32_e32 v13, v78, v4
	v_mbcnt_lo_u32_b32 v4, v13, 0
	v_mbcnt_hi_u32_b32 v75, v14, v4
	v_cmp_ne_u64_e32 vcc, 0, v[13:14]
	v_cmp_eq_u32_e64 s[38:39], 0, v75
	s_and_b64 s[40:41], vcc, s[38:39]
	v_add_u32_e32 v78, v71, v77
	ds_write2_b32 v53, v3, v3 offset1:1
	ds_write2_b32 v54, v3, v3 offset1:1
	ds_write_b32 v50, v3 offset:1056
	s_waitcnt lgkmcnt(0)
	s_barrier
	; wave barrier
	s_and_saveexec_b64 s[38:39], s[40:41]
; %bb.361:                              ;   in Loop: Header=BB398_350 Depth=2
	v_bcnt_u32_b32 v4, v13, 0
	v_bcnt_u32_b32 v4, v14, v4
	ds_write_b32 v78, v4 offset:1040
; %bb.362:                              ;   in Loop: Header=BB398_350 Depth=2
	s_or_b64 exec, exec, s[38:39]
	v_xor_b32_e32 v76, 0xffffff80, v76
	v_lshrrev_b32_sdwa v4, s69, v76 dst_sel:DWORD dst_unused:UNUSED_PAD src0_sel:DWORD src1_sel:BYTE_0
	v_and_b32_e32 v13, s58, v4
	v_mad_u32_u24 v4, v13, 20, v71
	; wave barrier
	ds_read_b32 v77, v4 offset:1040
	v_and_b32_e32 v4, 1, v13
	v_add_co_u32_e32 v14, vcc, -1, v4
	v_addc_co_u32_e64 v79, s[38:39], 0, -1, vcc
	v_cmp_ne_u32_e32 vcc, 0, v4
	v_xor_b32_e32 v4, vcc_hi, v79
	v_and_b32_e32 v79, exec_hi, v4
	v_lshlrev_b32_e32 v4, 30, v13
	v_xor_b32_e32 v14, vcc_lo, v14
	v_cmp_gt_i64_e32 vcc, 0, v[3:4]
	v_not_b32_e32 v4, v4
	v_ashrrev_i32_e32 v4, 31, v4
	v_and_b32_e32 v14, exec_lo, v14
	v_xor_b32_e32 v81, vcc_hi, v4
	v_xor_b32_e32 v4, vcc_lo, v4
	v_and_b32_e32 v14, v14, v4
	v_lshlrev_b32_e32 v4, 29, v13
	v_cmp_gt_i64_e32 vcc, 0, v[3:4]
	v_not_b32_e32 v4, v4
	v_ashrrev_i32_e32 v4, 31, v4
	v_and_b32_e32 v79, v79, v81
	v_xor_b32_e32 v81, vcc_hi, v4
	v_xor_b32_e32 v4, vcc_lo, v4
	v_and_b32_e32 v14, v14, v4
	v_lshlrev_b32_e32 v4, 28, v13
	v_cmp_gt_i64_e32 vcc, 0, v[3:4]
	v_not_b32_e32 v4, v4
	v_ashrrev_i32_e32 v4, 31, v4
	v_and_b32_e32 v79, v79, v81
	;; [unrolled: 8-line block ×5, first 2 shown]
	v_xor_b32_e32 v81, vcc_hi, v4
	v_xor_b32_e32 v4, vcc_lo, v4
	v_and_b32_e32 v79, v79, v81
	v_and_b32_e32 v81, v14, v4
	v_lshlrev_b32_e32 v4, 24, v13
	v_cmp_gt_i64_e32 vcc, 0, v[3:4]
	v_not_b32_e32 v4, v4
	v_ashrrev_i32_e32 v4, 31, v4
	v_mul_u32_u24_e32 v80, 20, v13
	v_xor_b32_e32 v13, vcc_hi, v4
	v_xor_b32_e32 v4, vcc_lo, v4
	v_and_b32_e32 v14, v79, v13
	v_and_b32_e32 v13, v81, v4
	v_mbcnt_lo_u32_b32 v4, v13, 0
	v_mbcnt_hi_u32_b32 v79, v14, v4
	v_cmp_ne_u64_e32 vcc, 0, v[13:14]
	v_cmp_eq_u32_e64 s[38:39], 0, v79
	s_and_b64 s[40:41], vcc, s[38:39]
	v_add_u32_e32 v82, v71, v80
	; wave barrier
	s_and_saveexec_b64 s[38:39], s[40:41]
	s_cbranch_execz .LBB398_364
; %bb.363:                              ;   in Loop: Header=BB398_350 Depth=2
	v_bcnt_u32_b32 v4, v13, 0
	v_bcnt_u32_b32 v4, v14, v4
	s_waitcnt lgkmcnt(0)
	v_add_u32_e32 v4, v77, v4
	ds_write_b32 v82, v4 offset:1040
.LBB398_364:                            ;   in Loop: Header=BB398_350 Depth=2
	s_or_b64 exec, exec, s[38:39]
	v_xor_b32_e32 v80, 0xffffff80, v16
	v_lshrrev_b32_sdwa v4, s69, v80 dst_sel:DWORD dst_unused:UNUSED_PAD src0_sel:DWORD src1_sel:BYTE_0
	v_and_b32_e32 v13, s58, v4
	v_mad_u32_u24 v4, v13, 20, v71
	; wave barrier
	ds_read_b32 v81, v4 offset:1040
	v_and_b32_e32 v4, 1, v13
	v_add_co_u32_e32 v14, vcc, -1, v4
	v_addc_co_u32_e64 v83, s[38:39], 0, -1, vcc
	v_cmp_ne_u32_e32 vcc, 0, v4
	v_xor_b32_e32 v4, vcc_hi, v83
	v_and_b32_e32 v83, exec_hi, v4
	v_lshlrev_b32_e32 v4, 30, v13
	v_xor_b32_e32 v14, vcc_lo, v14
	v_cmp_gt_i64_e32 vcc, 0, v[3:4]
	v_not_b32_e32 v4, v4
	v_ashrrev_i32_e32 v4, 31, v4
	v_and_b32_e32 v14, exec_lo, v14
	v_xor_b32_e32 v84, vcc_hi, v4
	v_xor_b32_e32 v4, vcc_lo, v4
	v_and_b32_e32 v14, v14, v4
	v_lshlrev_b32_e32 v4, 29, v13
	v_cmp_gt_i64_e32 vcc, 0, v[3:4]
	v_not_b32_e32 v4, v4
	v_ashrrev_i32_e32 v4, 31, v4
	v_and_b32_e32 v83, v83, v84
	v_xor_b32_e32 v84, vcc_hi, v4
	v_xor_b32_e32 v4, vcc_lo, v4
	v_and_b32_e32 v14, v14, v4
	v_lshlrev_b32_e32 v4, 28, v13
	v_cmp_gt_i64_e32 vcc, 0, v[3:4]
	v_not_b32_e32 v4, v4
	v_ashrrev_i32_e32 v4, 31, v4
	v_and_b32_e32 v83, v83, v84
	;; [unrolled: 8-line block ×5, first 2 shown]
	v_xor_b32_e32 v84, vcc_hi, v4
	v_xor_b32_e32 v4, vcc_lo, v4
	v_and_b32_e32 v83, v83, v84
	v_and_b32_e32 v84, v14, v4
	v_lshlrev_b32_e32 v4, 24, v13
	v_cmp_gt_i64_e32 vcc, 0, v[3:4]
	v_not_b32_e32 v4, v4
	v_ashrrev_i32_e32 v4, 31, v4
	v_mul_u32_u24_e32 v16, 20, v13
	v_xor_b32_e32 v13, vcc_hi, v4
	v_xor_b32_e32 v4, vcc_lo, v4
	v_and_b32_e32 v14, v83, v13
	v_and_b32_e32 v13, v84, v4
	v_mbcnt_lo_u32_b32 v4, v13, 0
	v_mbcnt_hi_u32_b32 v83, v14, v4
	v_cmp_ne_u64_e32 vcc, 0, v[13:14]
	v_cmp_eq_u32_e64 s[38:39], 0, v83
	s_and_b64 s[40:41], vcc, s[38:39]
	v_add_u32_e32 v86, v71, v16
	; wave barrier
	s_and_saveexec_b64 s[38:39], s[40:41]
	s_cbranch_execz .LBB398_366
; %bb.365:                              ;   in Loop: Header=BB398_350 Depth=2
	v_bcnt_u32_b32 v4, v13, 0
	v_bcnt_u32_b32 v4, v14, v4
	s_waitcnt lgkmcnt(0)
	v_add_u32_e32 v4, v81, v4
	ds_write_b32 v86, v4 offset:1040
.LBB398_366:                            ;   in Loop: Header=BB398_350 Depth=2
	s_or_b64 exec, exec, s[38:39]
	v_xor_b32_e32 v84, 0xffffff80, v15
	v_lshrrev_b32_sdwa v4, s69, v84 dst_sel:DWORD dst_unused:UNUSED_PAD src0_sel:DWORD src1_sel:BYTE_0
	v_and_b32_e32 v13, s58, v4
	v_mad_u32_u24 v4, v13, 20, v71
	; wave barrier
	ds_read_b32 v85, v4 offset:1040
	v_and_b32_e32 v4, 1, v13
	v_add_co_u32_e32 v14, vcc, -1, v4
	v_addc_co_u32_e64 v16, s[38:39], 0, -1, vcc
	v_cmp_ne_u32_e32 vcc, 0, v4
	v_xor_b32_e32 v4, vcc_hi, v16
	v_and_b32_e32 v16, exec_hi, v4
	v_lshlrev_b32_e32 v4, 30, v13
	v_xor_b32_e32 v14, vcc_lo, v14
	v_cmp_gt_i64_e32 vcc, 0, v[3:4]
	v_not_b32_e32 v4, v4
	v_ashrrev_i32_e32 v4, 31, v4
	v_and_b32_e32 v14, exec_lo, v14
	v_xor_b32_e32 v87, vcc_hi, v4
	v_xor_b32_e32 v4, vcc_lo, v4
	v_and_b32_e32 v14, v14, v4
	v_lshlrev_b32_e32 v4, 29, v13
	v_cmp_gt_i64_e32 vcc, 0, v[3:4]
	v_not_b32_e32 v4, v4
	v_ashrrev_i32_e32 v4, 31, v4
	v_and_b32_e32 v16, v16, v87
	v_xor_b32_e32 v87, vcc_hi, v4
	v_xor_b32_e32 v4, vcc_lo, v4
	v_and_b32_e32 v14, v14, v4
	v_lshlrev_b32_e32 v4, 28, v13
	v_cmp_gt_i64_e32 vcc, 0, v[3:4]
	v_not_b32_e32 v4, v4
	v_ashrrev_i32_e32 v4, 31, v4
	v_and_b32_e32 v16, v16, v87
	;; [unrolled: 8-line block ×5, first 2 shown]
	v_xor_b32_e32 v87, vcc_hi, v4
	v_xor_b32_e32 v4, vcc_lo, v4
	v_and_b32_e32 v16, v16, v87
	v_and_b32_e32 v87, v14, v4
	v_lshlrev_b32_e32 v4, 24, v13
	v_cmp_gt_i64_e32 vcc, 0, v[3:4]
	v_not_b32_e32 v4, v4
	v_ashrrev_i32_e32 v4, 31, v4
	v_mul_u32_u24_e32 v15, 20, v13
	v_xor_b32_e32 v13, vcc_hi, v4
	v_xor_b32_e32 v4, vcc_lo, v4
	v_and_b32_e32 v14, v16, v13
	v_and_b32_e32 v13, v87, v4
	v_mbcnt_lo_u32_b32 v4, v13, 0
	v_mbcnt_hi_u32_b32 v4, v14, v4
	v_cmp_ne_u64_e32 vcc, 0, v[13:14]
	v_cmp_eq_u32_e64 s[38:39], 0, v4
	s_and_b64 s[40:41], vcc, s[38:39]
	v_add_u32_e32 v87, v71, v15
	; wave barrier
	s_and_saveexec_b64 s[38:39], s[40:41]
	s_cbranch_execz .LBB398_368
; %bb.367:                              ;   in Loop: Header=BB398_350 Depth=2
	v_bcnt_u32_b32 v13, v13, 0
	v_bcnt_u32_b32 v13, v14, v13
	s_waitcnt lgkmcnt(0)
	v_add_u32_e32 v13, v85, v13
	ds_write_b32 v87, v13 offset:1040
.LBB398_368:                            ;   in Loop: Header=BB398_350 Depth=2
	s_or_b64 exec, exec, s[38:39]
	; wave barrier
	s_waitcnt lgkmcnt(0)
	s_barrier
	ds_read2_b32 v[15:16], v53 offset1:1
	ds_read2_b32 v[13:14], v54 offset1:1
	ds_read_b32 v88, v50 offset:1056
	s_waitcnt lgkmcnt(1)
	v_add3_u32 v89, v16, v15, v13
	s_waitcnt lgkmcnt(0)
	v_add3_u32 v88, v89, v14, v88
	s_nop 1
	v_mov_b32_dpp v89, v88 row_shr:1 row_mask:0xf bank_mask:0xf
	v_cndmask_b32_e64 v89, v89, 0, s[18:19]
	v_add_u32_e32 v88, v89, v88
	s_nop 1
	v_mov_b32_dpp v89, v88 row_shr:2 row_mask:0xf bank_mask:0xf
	v_cndmask_b32_e64 v89, 0, v89, s[20:21]
	v_add_u32_e32 v88, v88, v89
	;; [unrolled: 4-line block ×4, first 2 shown]
	s_nop 1
	v_mov_b32_dpp v89, v88 row_bcast:15 row_mask:0xf bank_mask:0xf
	v_cndmask_b32_e64 v89, v89, 0, s[26:27]
	v_add_u32_e32 v88, v88, v89
	s_nop 1
	v_mov_b32_dpp v89, v88 row_bcast:31 row_mask:0xf bank_mask:0xf
	v_cndmask_b32_e64 v89, 0, v89, s[28:29]
	v_add_u32_e32 v88, v88, v89
	s_and_saveexec_b64 s[38:39], s[8:9]
; %bb.369:                              ;   in Loop: Header=BB398_350 Depth=2
	ds_write_b32 v26, v88 offset:1024
; %bb.370:                              ;   in Loop: Header=BB398_350 Depth=2
	s_or_b64 exec, exec, s[38:39]
	s_waitcnt lgkmcnt(0)
	s_barrier
	s_and_saveexec_b64 s[38:39], s[10:11]
	s_cbranch_execz .LBB398_372
; %bb.371:                              ;   in Loop: Header=BB398_350 Depth=2
	v_add_u32_e32 v89, v50, v28
	ds_read_b32 v90, v89 offset:1024
	s_waitcnt lgkmcnt(0)
	s_nop 0
	v_mov_b32_dpp v91, v90 row_shr:1 row_mask:0xf bank_mask:0xf
	v_cndmask_b32_e64 v91, v91, 0, s[34:35]
	v_add_u32_e32 v90, v91, v90
	s_nop 1
	v_mov_b32_dpp v91, v90 row_shr:2 row_mask:0xf bank_mask:0xf
	v_cndmask_b32_e64 v91, 0, v91, s[36:37]
	v_add_u32_e32 v90, v90, v91
	ds_write_b32 v89, v90 offset:1024
.LBB398_372:                            ;   in Loop: Header=BB398_350 Depth=2
	s_or_b64 exec, exec, s[38:39]
	v_mov_b32_e32 v89, 0
	s_waitcnt lgkmcnt(0)
	s_barrier
	s_and_saveexec_b64 s[38:39], s[12:13]
; %bb.373:                              ;   in Loop: Header=BB398_350 Depth=2
	ds_read_b32 v89, v26 offset:1020
; %bb.374:                              ;   in Loop: Header=BB398_350 Depth=2
	s_or_b64 exec, exec, s[38:39]
	s_waitcnt lgkmcnt(0)
	v_add_u32_e32 v88, v89, v88
	ds_bpermute_b32 v88, v64, v88
	s_waitcnt lgkmcnt(0)
	v_cndmask_b32_e64 v88, v88, v89, s[30:31]
	v_cndmask_b32_e64 v88, v88, 0, s[14:15]
	v_add_u32_e32 v15, v88, v15
	v_add_u32_e32 v16, v15, v16
	;; [unrolled: 1-line block ×4, first 2 shown]
	ds_write2_b32 v53, v88, v15 offset1:1
	ds_write2_b32 v54, v16, v13 offset1:1
	ds_write_b32 v50, v14 offset:1056
	s_waitcnt lgkmcnt(0)
	s_barrier
	ds_read_b32 v13, v78 offset:1040
	ds_read_b32 v14, v82 offset:1040
	;; [unrolled: 1-line block ×5, first 2 shown]
	v_mov_b32_e32 v78, 0x400
	s_and_saveexec_b64 s[38:39], s[16:17]
; %bb.375:                              ;   in Loop: Header=BB398_350 Depth=2
	ds_read_b32 v78, v50 offset:1060
; %bb.376:                              ;   in Loop: Header=BB398_350 Depth=2
	s_or_b64 exec, exec, s[38:39]
	s_waitcnt lgkmcnt(0)
	s_barrier
	s_and_saveexec_b64 s[38:39], s[4:5]
	s_cbranch_execz .LBB398_378
; %bb.377:                              ;   in Loop: Header=BB398_350 Depth=2
	ds_read_b32 v86, v18
	s_waitcnt lgkmcnt(0)
	v_sub_u32_e32 v15, v86, v15
	ds_write_b32 v18, v15
.LBB398_378:                            ;   in Loop: Header=BB398_350 Depth=2
	s_or_b64 exec, exec, s[38:39]
	v_add_u32_e32 v15, v13, v75
	v_add3_u32 v14, v79, v77, v14
	v_add3_u32 v13, v83, v81, v16
	;; [unrolled: 1-line block ×3, first 2 shown]
	v_cmp_lt_u32_e64 s[42:43], v0, v74
	ds_write_b8 v15, v17 offset:1024
	ds_write_b8 v14, v76 offset:1024
	;; [unrolled: 1-line block ×4, first 2 shown]
	s_waitcnt lgkmcnt(0)
	s_barrier
	s_and_saveexec_b64 s[38:39], s[42:43]
	s_cbranch_execnz .LBB398_399
; %bb.379:                              ;   in Loop: Header=BB398_350 Depth=2
	s_or_b64 exec, exec, s[38:39]
	v_cmp_lt_u32_e64 s[40:41], v19, v74
	s_and_saveexec_b64 s[38:39], s[40:41]
	s_cbranch_execnz .LBB398_400
.LBB398_380:                            ;   in Loop: Header=BB398_350 Depth=2
	s_or_b64 exec, exec, s[38:39]
	v_cmp_lt_u32_e64 s[38:39], v20, v74
	s_and_saveexec_b64 s[44:45], s[38:39]
	s_cbranch_execnz .LBB398_401
.LBB398_381:                            ;   in Loop: Header=BB398_350 Depth=2
	s_or_b64 exec, exec, s[44:45]
	v_cmp_lt_u32_e32 vcc, v21, v74
	s_and_saveexec_b64 s[44:45], vcc
	s_cbranch_execz .LBB398_383
.LBB398_382:                            ;   in Loop: Header=BB398_350 Depth=2
	ds_read_u8 v16, v0 offset:1792
	s_waitcnt lgkmcnt(0)
	v_lshrrev_b32_sdwa v17, s69, v16 dst_sel:DWORD dst_unused:UNUSED_PAD src0_sel:DWORD src1_sel:BYTE_0
	v_and_b32_e32 v17, s58, v17
	v_lshlrev_b32_e32 v17, 2, v17
	ds_read_b32 v17, v17
	v_xor_b32_e32 v16, 0x80, v16
	s_waitcnt lgkmcnt(0)
	v_add_u32_e32 v17, v17, v21
	global_store_byte v17, v16, s[52:53]
.LBB398_383:                            ;   in Loop: Header=BB398_350 Depth=2
	s_or_b64 exec, exec, s[44:45]
	s_lshl_b64 s[44:45], s[56:57], 3
	v_mov_b32_e32 v17, s45
	v_add_co_u32_e64 v16, s[44:45], s44, v65
	v_addc_co_u32_e64 v17, s[44:45], v66, v17, s[44:45]
	v_cmp_lt_u32_e64 s[44:45], v47, v74
	s_and_saveexec_b64 s[54:55], s[44:45]
	s_xor_b64 s[44:45], exec, s[54:55]
	s_cbranch_execnz .LBB398_402
; %bb.384:                              ;   in Loop: Header=BB398_350 Depth=2
	s_or_b64 exec, exec, s[44:45]
	v_cmp_lt_u32_e64 s[44:45], v61, v74
	s_and_saveexec_b64 s[54:55], s[44:45]
	s_cbranch_execnz .LBB398_403
.LBB398_385:                            ;   in Loop: Header=BB398_350 Depth=2
	s_or_b64 exec, exec, s[54:55]
	v_cmp_lt_u32_e64 s[44:45], v62, v74
	s_and_saveexec_b64 s[54:55], s[44:45]
	s_cbranch_execnz .LBB398_404
.LBB398_386:                            ;   in Loop: Header=BB398_350 Depth=2
	s_or_b64 exec, exec, s[54:55]
	v_cmp_lt_u32_e64 s[44:45], v63, v74
	s_and_saveexec_b64 s[54:55], s[44:45]
	s_cbranch_execnz .LBB398_405
.LBB398_387:                            ;   in Loop: Header=BB398_350 Depth=2
	s_or_b64 exec, exec, s[54:55]
	s_and_saveexec_b64 s[44:45], s[42:43]
	s_cbranch_execnz .LBB398_406
.LBB398_388:                            ;   in Loop: Header=BB398_350 Depth=2
	s_or_b64 exec, exec, s[44:45]
	s_and_saveexec_b64 s[44:45], s[40:41]
	s_cbranch_execnz .LBB398_407
.LBB398_389:                            ;   in Loop: Header=BB398_350 Depth=2
	s_or_b64 exec, exec, s[44:45]
	s_and_saveexec_b64 s[44:45], s[38:39]
	s_cbranch_execnz .LBB398_408
.LBB398_390:                            ;   in Loop: Header=BB398_350 Depth=2
	s_or_b64 exec, exec, s[44:45]
	s_and_saveexec_b64 s[44:45], vcc
	s_cbranch_execz .LBB398_392
.LBB398_391:                            ;   in Loop: Header=BB398_350 Depth=2
	ds_read_u8 v16, v0 offset:1792
	s_waitcnt lgkmcnt(0)
	v_lshrrev_b32_e32 v16, s69, v16
	v_and_b32_e32 v69, s58, v16
.LBB398_392:                            ;   in Loop: Header=BB398_350 Depth=2
	s_or_b64 exec, exec, s[44:45]
	v_mad_u64_u32 v[15:16], s[44:45], v15, 7, v[15:16]
	s_waitcnt vmcnt(0)
	v_mad_u64_u32 v[74:75], s[44:45], v4, 7, v[4:5]
	v_mad_u64_u32 v[16:17], s[44:45], v14, 7, v[14:15]
	;; [unrolled: 1-line block ×3, first 2 shown]
	v_add_u32_e32 v4, v0, v51
	s_barrier
	ds_write_b64 v15, v[11:12] offset:1024
	ds_write_b64 v16, v[9:10] offset:1024
	;; [unrolled: 1-line block ×4, first 2 shown]
	s_waitcnt lgkmcnt(0)
	s_barrier
	s_and_saveexec_b64 s[44:45], s[42:43]
	s_cbranch_execnz .LBB398_409
; %bb.393:                              ;   in Loop: Header=BB398_350 Depth=2
	s_or_b64 exec, exec, s[44:45]
	s_and_saveexec_b64 s[42:43], s[40:41]
	s_cbranch_execnz .LBB398_410
.LBB398_394:                            ;   in Loop: Header=BB398_350 Depth=2
	s_or_b64 exec, exec, s[42:43]
	s_and_saveexec_b64 s[40:41], s[38:39]
	s_cbranch_execnz .LBB398_411
.LBB398_395:                            ;   in Loop: Header=BB398_350 Depth=2
	s_or_b64 exec, exec, s[40:41]
	s_and_saveexec_b64 s[38:39], vcc
	s_cbranch_execz .LBB398_397
.LBB398_396:                            ;   in Loop: Header=BB398_350 Depth=2
	v_lshlrev_b32_e32 v13, 2, v69
	ds_read_b32 v15, v13
	ds_read_b64 v[13:14], v4 offset:7168
	v_mov_b32_e32 v16, v3
	v_mov_b32_e32 v4, s67
	s_waitcnt lgkmcnt(1)
	v_add_u32_e32 v15, v15, v21
	v_lshlrev_b64 v[15:16], 3, v[15:16]
	v_add_co_u32_e32 v15, vcc, s66, v15
	v_addc_co_u32_e32 v16, vcc, v4, v16, vcc
	s_waitcnt lgkmcnt(0)
	global_store_dwordx2 v[15:16], v[13:14], off
.LBB398_397:                            ;   in Loop: Header=BB398_350 Depth=2
	s_or_b64 exec, exec, s[38:39]
	s_waitcnt vmcnt(0)
	s_barrier
	s_and_saveexec_b64 s[38:39], s[4:5]
	s_cbranch_execz .LBB398_349
; %bb.398:                              ;   in Loop: Header=BB398_350 Depth=2
	ds_read_b32 v4, v18
	s_waitcnt lgkmcnt(0)
	v_add_u32_e32 v4, v4, v78
	ds_write_b32 v18, v4
	s_branch .LBB398_349
.LBB398_399:                            ;   in Loop: Header=BB398_350 Depth=2
	ds_read_u8 v16, v0 offset:1024
	s_waitcnt lgkmcnt(0)
	v_lshrrev_b32_sdwa v17, s69, v16 dst_sel:DWORD dst_unused:UNUSED_PAD src0_sel:DWORD src1_sel:BYTE_0
	v_and_b32_e32 v17, s58, v17
	v_lshlrev_b32_e32 v17, 2, v17
	ds_read_b32 v17, v17
	v_xor_b32_e32 v16, 0x80, v16
	s_waitcnt lgkmcnt(0)
	v_add_u32_e32 v17, v17, v0
	global_store_byte v17, v16, s[52:53]
	s_or_b64 exec, exec, s[38:39]
	v_cmp_lt_u32_e64 s[40:41], v19, v74
	s_and_saveexec_b64 s[38:39], s[40:41]
	s_cbranch_execz .LBB398_380
.LBB398_400:                            ;   in Loop: Header=BB398_350 Depth=2
	ds_read_u8 v16, v0 offset:1280
	s_waitcnt lgkmcnt(0)
	v_lshrrev_b32_sdwa v17, s69, v16 dst_sel:DWORD dst_unused:UNUSED_PAD src0_sel:DWORD src1_sel:BYTE_0
	v_and_b32_e32 v17, s58, v17
	v_lshlrev_b32_e32 v17, 2, v17
	ds_read_b32 v17, v17
	v_xor_b32_e32 v16, 0x80, v16
	s_waitcnt lgkmcnt(0)
	v_add_u32_e32 v17, v17, v19
	global_store_byte v17, v16, s[52:53]
	s_or_b64 exec, exec, s[38:39]
	v_cmp_lt_u32_e64 s[38:39], v20, v74
	s_and_saveexec_b64 s[44:45], s[38:39]
	s_cbranch_execz .LBB398_381
.LBB398_401:                            ;   in Loop: Header=BB398_350 Depth=2
	ds_read_u8 v16, v0 offset:1536
	s_waitcnt lgkmcnt(0)
	v_lshrrev_b32_sdwa v17, s69, v16 dst_sel:DWORD dst_unused:UNUSED_PAD src0_sel:DWORD src1_sel:BYTE_0
	v_and_b32_e32 v17, s58, v17
	v_lshlrev_b32_e32 v17, 2, v17
	ds_read_b32 v17, v17
	v_xor_b32_e32 v16, 0x80, v16
	s_waitcnt lgkmcnt(0)
	v_add_u32_e32 v17, v17, v20
	global_store_byte v17, v16, s[52:53]
	s_or_b64 exec, exec, s[44:45]
	v_cmp_lt_u32_e32 vcc, v21, v74
	s_and_saveexec_b64 s[44:45], vcc
	s_cbranch_execnz .LBB398_382
	s_branch .LBB398_383
.LBB398_402:                            ;   in Loop: Header=BB398_350 Depth=2
	global_load_dwordx2 v[11:12], v[16:17], off
	s_or_b64 exec, exec, s[44:45]
	v_cmp_lt_u32_e64 s[44:45], v61, v74
	s_and_saveexec_b64 s[54:55], s[44:45]
	s_cbranch_execz .LBB398_385
.LBB398_403:                            ;   in Loop: Header=BB398_350 Depth=2
	global_load_dwordx2 v[9:10], v[16:17], off offset:512
	s_or_b64 exec, exec, s[54:55]
	v_cmp_lt_u32_e64 s[44:45], v62, v74
	s_and_saveexec_b64 s[54:55], s[44:45]
	s_cbranch_execz .LBB398_386
.LBB398_404:                            ;   in Loop: Header=BB398_350 Depth=2
	global_load_dwordx2 v[7:8], v[16:17], off offset:1024
	s_or_b64 exec, exec, s[54:55]
	v_cmp_lt_u32_e64 s[44:45], v63, v74
	s_and_saveexec_b64 s[54:55], s[44:45]
	s_cbranch_execz .LBB398_387
.LBB398_405:                            ;   in Loop: Header=BB398_350 Depth=2
	global_load_dwordx2 v[5:6], v[16:17], off offset:1536
	s_or_b64 exec, exec, s[54:55]
	s_and_saveexec_b64 s[44:45], s[42:43]
	s_cbranch_execz .LBB398_388
.LBB398_406:                            ;   in Loop: Header=BB398_350 Depth=2
	ds_read_u8 v16, v0 offset:1024
	s_waitcnt lgkmcnt(0)
	v_lshrrev_b32_e32 v16, s69, v16
	v_and_b32_e32 v73, s58, v16
	s_or_b64 exec, exec, s[44:45]
	s_and_saveexec_b64 s[44:45], s[40:41]
	s_cbranch_execz .LBB398_389
.LBB398_407:                            ;   in Loop: Header=BB398_350 Depth=2
	ds_read_u8 v16, v0 offset:1280
	s_waitcnt lgkmcnt(0)
	v_lshrrev_b32_e32 v16, s69, v16
	v_and_b32_e32 v72, s58, v16
	s_or_b64 exec, exec, s[44:45]
	s_and_saveexec_b64 s[44:45], s[38:39]
	s_cbranch_execz .LBB398_390
.LBB398_408:                            ;   in Loop: Header=BB398_350 Depth=2
	ds_read_u8 v16, v0 offset:1536
	s_waitcnt lgkmcnt(0)
	v_lshrrev_b32_e32 v16, s69, v16
	v_and_b32_e32 v70, s58, v16
	s_or_b64 exec, exec, s[44:45]
	s_and_saveexec_b64 s[44:45], vcc
	s_cbranch_execnz .LBB398_391
	s_branch .LBB398_392
.LBB398_409:                            ;   in Loop: Header=BB398_350 Depth=2
	v_lshlrev_b32_e32 v13, 2, v73
	ds_read_b32 v15, v13
	ds_read_b64 v[13:14], v4 offset:1024
	v_mov_b32_e32 v16, v3
	v_mov_b32_e32 v17, s67
	s_waitcnt lgkmcnt(1)
	v_add_u32_e32 v15, v15, v0
	v_lshlrev_b64 v[15:16], 3, v[15:16]
	v_add_co_u32_e64 v15, s[42:43], s66, v15
	v_addc_co_u32_e64 v16, s[42:43], v17, v16, s[42:43]
	s_waitcnt lgkmcnt(0)
	global_store_dwordx2 v[15:16], v[13:14], off
	s_or_b64 exec, exec, s[44:45]
	s_and_saveexec_b64 s[42:43], s[40:41]
	s_cbranch_execz .LBB398_394
.LBB398_410:                            ;   in Loop: Header=BB398_350 Depth=2
	v_lshlrev_b32_e32 v13, 2, v72
	ds_read_b32 v15, v13
	ds_read_b64 v[13:14], v4 offset:3072
	v_mov_b32_e32 v16, v3
	v_mov_b32_e32 v17, s67
	s_waitcnt lgkmcnt(1)
	v_add_u32_e32 v15, v15, v19
	v_lshlrev_b64 v[15:16], 3, v[15:16]
	v_add_co_u32_e64 v15, s[40:41], s66, v15
	v_addc_co_u32_e64 v16, s[40:41], v17, v16, s[40:41]
	s_waitcnt lgkmcnt(0)
	global_store_dwordx2 v[15:16], v[13:14], off
	s_or_b64 exec, exec, s[42:43]
	s_and_saveexec_b64 s[40:41], s[38:39]
	s_cbranch_execz .LBB398_395
.LBB398_411:                            ;   in Loop: Header=BB398_350 Depth=2
	v_lshlrev_b32_e32 v13, 2, v70
	ds_read_b32 v15, v13
	ds_read_b64 v[13:14], v4 offset:5120
	v_mov_b32_e32 v16, v3
	v_mov_b32_e32 v17, s67
	s_waitcnt lgkmcnt(1)
	v_add_u32_e32 v15, v15, v20
	v_lshlrev_b64 v[15:16], 3, v[15:16]
	v_add_co_u32_e64 v15, s[38:39], s66, v15
	v_addc_co_u32_e64 v16, s[38:39], v17, v16, s[38:39]
	s_waitcnt lgkmcnt(0)
	global_store_dwordx2 v[15:16], v[13:14], off
	s_or_b64 exec, exec, s[40:41]
	s_and_saveexec_b64 s[38:39], vcc
	s_cbranch_execnz .LBB398_396
	s_branch .LBB398_397
.LBB398_412:                            ;   in Loop: Header=BB398_350 Depth=2
	global_load_ubyte v4, v[13:14], off
	v_mov_b32_e32 v15, 0x7f
	v_mov_b32_e32 v76, 0x7f
	v_mov_b32_e32 v16, 0x7f
	s_or_b64 exec, exec, s[38:39]
	v_cmp_gt_u32_e32 vcc, s59, v61
	s_and_saveexec_b64 s[38:39], vcc
	s_cbranch_execz .LBB398_355
.LBB398_413:                            ;   in Loop: Header=BB398_350 Depth=2
	global_load_ubyte v76, v[13:14], off offset:64
	s_or_b64 exec, exec, s[38:39]
	v_cmp_gt_u32_e32 vcc, s59, v62
	s_and_saveexec_b64 s[38:39], vcc
	s_cbranch_execnz .LBB398_356
	s_branch .LBB398_357
.LBB398_414:
	s_endpgm
	.section	.rodata,"a",@progbits
	.p2align	6, 0x0
	.amdhsa_kernel _ZN7rocprim17ROCPRIM_400000_NS6detail17trampoline_kernelINS0_14default_configENS1_36segmented_radix_sort_config_selectorIalEEZNS1_25segmented_radix_sort_implIS3_Lb0EPKaPaPKlPlN2at6native12_GLOBAL__N_18offset_tEEE10hipError_tPvRmT1_PNSt15iterator_traitsISK_E10value_typeET2_T3_PNSL_ISQ_E10value_typeET4_jRbjT5_SW_jjP12ihipStream_tbEUlT_E_NS1_11comp_targetILNS1_3genE2ELNS1_11target_archE906ELNS1_3gpuE6ELNS1_3repE0EEENS1_30default_config_static_selectorELNS0_4arch9wavefront6targetE1EEEvSK_
		.amdhsa_group_segment_fixed_size 9232
		.amdhsa_private_segment_fixed_size 0
		.amdhsa_kernarg_size 352
		.amdhsa_user_sgpr_count 6
		.amdhsa_user_sgpr_private_segment_buffer 1
		.amdhsa_user_sgpr_dispatch_ptr 0
		.amdhsa_user_sgpr_queue_ptr 0
		.amdhsa_user_sgpr_kernarg_segment_ptr 1
		.amdhsa_user_sgpr_dispatch_id 0
		.amdhsa_user_sgpr_flat_scratch_init 0
		.amdhsa_user_sgpr_private_segment_size 0
		.amdhsa_uses_dynamic_stack 0
		.amdhsa_system_sgpr_private_segment_wavefront_offset 0
		.amdhsa_system_sgpr_workgroup_id_x 1
		.amdhsa_system_sgpr_workgroup_id_y 1
		.amdhsa_system_sgpr_workgroup_id_z 0
		.amdhsa_system_sgpr_workgroup_info 0
		.amdhsa_system_vgpr_workitem_id 2
		.amdhsa_next_free_vgpr 97
		.amdhsa_next_free_sgpr 77
		.amdhsa_reserve_vcc 1
		.amdhsa_reserve_flat_scratch 0
		.amdhsa_float_round_mode_32 0
		.amdhsa_float_round_mode_16_64 0
		.amdhsa_float_denorm_mode_32 3
		.amdhsa_float_denorm_mode_16_64 3
		.amdhsa_dx10_clamp 1
		.amdhsa_ieee_mode 1
		.amdhsa_fp16_overflow 0
		.amdhsa_exception_fp_ieee_invalid_op 0
		.amdhsa_exception_fp_denorm_src 0
		.amdhsa_exception_fp_ieee_div_zero 0
		.amdhsa_exception_fp_ieee_overflow 0
		.amdhsa_exception_fp_ieee_underflow 0
		.amdhsa_exception_fp_ieee_inexact 0
		.amdhsa_exception_int_div_zero 0
	.end_amdhsa_kernel
	.section	.text._ZN7rocprim17ROCPRIM_400000_NS6detail17trampoline_kernelINS0_14default_configENS1_36segmented_radix_sort_config_selectorIalEEZNS1_25segmented_radix_sort_implIS3_Lb0EPKaPaPKlPlN2at6native12_GLOBAL__N_18offset_tEEE10hipError_tPvRmT1_PNSt15iterator_traitsISK_E10value_typeET2_T3_PNSL_ISQ_E10value_typeET4_jRbjT5_SW_jjP12ihipStream_tbEUlT_E_NS1_11comp_targetILNS1_3genE2ELNS1_11target_archE906ELNS1_3gpuE6ELNS1_3repE0EEENS1_30default_config_static_selectorELNS0_4arch9wavefront6targetE1EEEvSK_,"axG",@progbits,_ZN7rocprim17ROCPRIM_400000_NS6detail17trampoline_kernelINS0_14default_configENS1_36segmented_radix_sort_config_selectorIalEEZNS1_25segmented_radix_sort_implIS3_Lb0EPKaPaPKlPlN2at6native12_GLOBAL__N_18offset_tEEE10hipError_tPvRmT1_PNSt15iterator_traitsISK_E10value_typeET2_T3_PNSL_ISQ_E10value_typeET4_jRbjT5_SW_jjP12ihipStream_tbEUlT_E_NS1_11comp_targetILNS1_3genE2ELNS1_11target_archE906ELNS1_3gpuE6ELNS1_3repE0EEENS1_30default_config_static_selectorELNS0_4arch9wavefront6targetE1EEEvSK_,comdat
.Lfunc_end398:
	.size	_ZN7rocprim17ROCPRIM_400000_NS6detail17trampoline_kernelINS0_14default_configENS1_36segmented_radix_sort_config_selectorIalEEZNS1_25segmented_radix_sort_implIS3_Lb0EPKaPaPKlPlN2at6native12_GLOBAL__N_18offset_tEEE10hipError_tPvRmT1_PNSt15iterator_traitsISK_E10value_typeET2_T3_PNSL_ISQ_E10value_typeET4_jRbjT5_SW_jjP12ihipStream_tbEUlT_E_NS1_11comp_targetILNS1_3genE2ELNS1_11target_archE906ELNS1_3gpuE6ELNS1_3repE0EEENS1_30default_config_static_selectorELNS0_4arch9wavefront6targetE1EEEvSK_, .Lfunc_end398-_ZN7rocprim17ROCPRIM_400000_NS6detail17trampoline_kernelINS0_14default_configENS1_36segmented_radix_sort_config_selectorIalEEZNS1_25segmented_radix_sort_implIS3_Lb0EPKaPaPKlPlN2at6native12_GLOBAL__N_18offset_tEEE10hipError_tPvRmT1_PNSt15iterator_traitsISK_E10value_typeET2_T3_PNSL_ISQ_E10value_typeET4_jRbjT5_SW_jjP12ihipStream_tbEUlT_E_NS1_11comp_targetILNS1_3genE2ELNS1_11target_archE906ELNS1_3gpuE6ELNS1_3repE0EEENS1_30default_config_static_selectorELNS0_4arch9wavefront6targetE1EEEvSK_
                                        ; -- End function
	.set _ZN7rocprim17ROCPRIM_400000_NS6detail17trampoline_kernelINS0_14default_configENS1_36segmented_radix_sort_config_selectorIalEEZNS1_25segmented_radix_sort_implIS3_Lb0EPKaPaPKlPlN2at6native12_GLOBAL__N_18offset_tEEE10hipError_tPvRmT1_PNSt15iterator_traitsISK_E10value_typeET2_T3_PNSL_ISQ_E10value_typeET4_jRbjT5_SW_jjP12ihipStream_tbEUlT_E_NS1_11comp_targetILNS1_3genE2ELNS1_11target_archE906ELNS1_3gpuE6ELNS1_3repE0EEENS1_30default_config_static_selectorELNS0_4arch9wavefront6targetE1EEEvSK_.num_vgpr, max(92, .L_ZN7rocprim17ROCPRIM_400000_NS6detail40segmented_radix_sort_single_block_helperIalLj256ELj4ELb0EE4sortIPKaPaPKlPlEEbT_T0_T1_T2_jjjjRNS3_12storage_typeE.num_vgpr)
	.set _ZN7rocprim17ROCPRIM_400000_NS6detail17trampoline_kernelINS0_14default_configENS1_36segmented_radix_sort_config_selectorIalEEZNS1_25segmented_radix_sort_implIS3_Lb0EPKaPaPKlPlN2at6native12_GLOBAL__N_18offset_tEEE10hipError_tPvRmT1_PNSt15iterator_traitsISK_E10value_typeET2_T3_PNSL_ISQ_E10value_typeET4_jRbjT5_SW_jjP12ihipStream_tbEUlT_E_NS1_11comp_targetILNS1_3genE2ELNS1_11target_archE906ELNS1_3gpuE6ELNS1_3repE0EEENS1_30default_config_static_selectorELNS0_4arch9wavefront6targetE1EEEvSK_.num_agpr, max(0, .L_ZN7rocprim17ROCPRIM_400000_NS6detail40segmented_radix_sort_single_block_helperIalLj256ELj4ELb0EE4sortIPKaPaPKlPlEEbT_T0_T1_T2_jjjjRNS3_12storage_typeE.num_agpr)
	.set _ZN7rocprim17ROCPRIM_400000_NS6detail17trampoline_kernelINS0_14default_configENS1_36segmented_radix_sort_config_selectorIalEEZNS1_25segmented_radix_sort_implIS3_Lb0EPKaPaPKlPlN2at6native12_GLOBAL__N_18offset_tEEE10hipError_tPvRmT1_PNSt15iterator_traitsISK_E10value_typeET2_T3_PNSL_ISQ_E10value_typeET4_jRbjT5_SW_jjP12ihipStream_tbEUlT_E_NS1_11comp_targetILNS1_3genE2ELNS1_11target_archE906ELNS1_3gpuE6ELNS1_3repE0EEENS1_30default_config_static_selectorELNS0_4arch9wavefront6targetE1EEEvSK_.numbered_sgpr, max(76, .L_ZN7rocprim17ROCPRIM_400000_NS6detail40segmented_radix_sort_single_block_helperIalLj256ELj4ELb0EE4sortIPKaPaPKlPlEEbT_T0_T1_T2_jjjjRNS3_12storage_typeE.numbered_sgpr)
	.set _ZN7rocprim17ROCPRIM_400000_NS6detail17trampoline_kernelINS0_14default_configENS1_36segmented_radix_sort_config_selectorIalEEZNS1_25segmented_radix_sort_implIS3_Lb0EPKaPaPKlPlN2at6native12_GLOBAL__N_18offset_tEEE10hipError_tPvRmT1_PNSt15iterator_traitsISK_E10value_typeET2_T3_PNSL_ISQ_E10value_typeET4_jRbjT5_SW_jjP12ihipStream_tbEUlT_E_NS1_11comp_targetILNS1_3genE2ELNS1_11target_archE906ELNS1_3gpuE6ELNS1_3repE0EEENS1_30default_config_static_selectorELNS0_4arch9wavefront6targetE1EEEvSK_.num_named_barrier, max(0, .L_ZN7rocprim17ROCPRIM_400000_NS6detail40segmented_radix_sort_single_block_helperIalLj256ELj4ELb0EE4sortIPKaPaPKlPlEEbT_T0_T1_T2_jjjjRNS3_12storage_typeE.num_named_barrier)
	.set _ZN7rocprim17ROCPRIM_400000_NS6detail17trampoline_kernelINS0_14default_configENS1_36segmented_radix_sort_config_selectorIalEEZNS1_25segmented_radix_sort_implIS3_Lb0EPKaPaPKlPlN2at6native12_GLOBAL__N_18offset_tEEE10hipError_tPvRmT1_PNSt15iterator_traitsISK_E10value_typeET2_T3_PNSL_ISQ_E10value_typeET4_jRbjT5_SW_jjP12ihipStream_tbEUlT_E_NS1_11comp_targetILNS1_3genE2ELNS1_11target_archE906ELNS1_3gpuE6ELNS1_3repE0EEENS1_30default_config_static_selectorELNS0_4arch9wavefront6targetE1EEEvSK_.private_seg_size, 0+max(.L_ZN7rocprim17ROCPRIM_400000_NS6detail40segmented_radix_sort_single_block_helperIalLj256ELj4ELb0EE4sortIPKaPaPKlPlEEbT_T0_T1_T2_jjjjRNS3_12storage_typeE.private_seg_size)
	.set _ZN7rocprim17ROCPRIM_400000_NS6detail17trampoline_kernelINS0_14default_configENS1_36segmented_radix_sort_config_selectorIalEEZNS1_25segmented_radix_sort_implIS3_Lb0EPKaPaPKlPlN2at6native12_GLOBAL__N_18offset_tEEE10hipError_tPvRmT1_PNSt15iterator_traitsISK_E10value_typeET2_T3_PNSL_ISQ_E10value_typeET4_jRbjT5_SW_jjP12ihipStream_tbEUlT_E_NS1_11comp_targetILNS1_3genE2ELNS1_11target_archE906ELNS1_3gpuE6ELNS1_3repE0EEENS1_30default_config_static_selectorELNS0_4arch9wavefront6targetE1EEEvSK_.uses_vcc, or(1, .L_ZN7rocprim17ROCPRIM_400000_NS6detail40segmented_radix_sort_single_block_helperIalLj256ELj4ELb0EE4sortIPKaPaPKlPlEEbT_T0_T1_T2_jjjjRNS3_12storage_typeE.uses_vcc)
	.set _ZN7rocprim17ROCPRIM_400000_NS6detail17trampoline_kernelINS0_14default_configENS1_36segmented_radix_sort_config_selectorIalEEZNS1_25segmented_radix_sort_implIS3_Lb0EPKaPaPKlPlN2at6native12_GLOBAL__N_18offset_tEEE10hipError_tPvRmT1_PNSt15iterator_traitsISK_E10value_typeET2_T3_PNSL_ISQ_E10value_typeET4_jRbjT5_SW_jjP12ihipStream_tbEUlT_E_NS1_11comp_targetILNS1_3genE2ELNS1_11target_archE906ELNS1_3gpuE6ELNS1_3repE0EEENS1_30default_config_static_selectorELNS0_4arch9wavefront6targetE1EEEvSK_.uses_flat_scratch, or(0, .L_ZN7rocprim17ROCPRIM_400000_NS6detail40segmented_radix_sort_single_block_helperIalLj256ELj4ELb0EE4sortIPKaPaPKlPlEEbT_T0_T1_T2_jjjjRNS3_12storage_typeE.uses_flat_scratch)
	.set _ZN7rocprim17ROCPRIM_400000_NS6detail17trampoline_kernelINS0_14default_configENS1_36segmented_radix_sort_config_selectorIalEEZNS1_25segmented_radix_sort_implIS3_Lb0EPKaPaPKlPlN2at6native12_GLOBAL__N_18offset_tEEE10hipError_tPvRmT1_PNSt15iterator_traitsISK_E10value_typeET2_T3_PNSL_ISQ_E10value_typeET4_jRbjT5_SW_jjP12ihipStream_tbEUlT_E_NS1_11comp_targetILNS1_3genE2ELNS1_11target_archE906ELNS1_3gpuE6ELNS1_3repE0EEENS1_30default_config_static_selectorELNS0_4arch9wavefront6targetE1EEEvSK_.has_dyn_sized_stack, or(0, .L_ZN7rocprim17ROCPRIM_400000_NS6detail40segmented_radix_sort_single_block_helperIalLj256ELj4ELb0EE4sortIPKaPaPKlPlEEbT_T0_T1_T2_jjjjRNS3_12storage_typeE.has_dyn_sized_stack)
	.set _ZN7rocprim17ROCPRIM_400000_NS6detail17trampoline_kernelINS0_14default_configENS1_36segmented_radix_sort_config_selectorIalEEZNS1_25segmented_radix_sort_implIS3_Lb0EPKaPaPKlPlN2at6native12_GLOBAL__N_18offset_tEEE10hipError_tPvRmT1_PNSt15iterator_traitsISK_E10value_typeET2_T3_PNSL_ISQ_E10value_typeET4_jRbjT5_SW_jjP12ihipStream_tbEUlT_E_NS1_11comp_targetILNS1_3genE2ELNS1_11target_archE906ELNS1_3gpuE6ELNS1_3repE0EEENS1_30default_config_static_selectorELNS0_4arch9wavefront6targetE1EEEvSK_.has_recursion, or(0, .L_ZN7rocprim17ROCPRIM_400000_NS6detail40segmented_radix_sort_single_block_helperIalLj256ELj4ELb0EE4sortIPKaPaPKlPlEEbT_T0_T1_T2_jjjjRNS3_12storage_typeE.has_recursion)
	.set _ZN7rocprim17ROCPRIM_400000_NS6detail17trampoline_kernelINS0_14default_configENS1_36segmented_radix_sort_config_selectorIalEEZNS1_25segmented_radix_sort_implIS3_Lb0EPKaPaPKlPlN2at6native12_GLOBAL__N_18offset_tEEE10hipError_tPvRmT1_PNSt15iterator_traitsISK_E10value_typeET2_T3_PNSL_ISQ_E10value_typeET4_jRbjT5_SW_jjP12ihipStream_tbEUlT_E_NS1_11comp_targetILNS1_3genE2ELNS1_11target_archE906ELNS1_3gpuE6ELNS1_3repE0EEENS1_30default_config_static_selectorELNS0_4arch9wavefront6targetE1EEEvSK_.has_indirect_call, or(0, .L_ZN7rocprim17ROCPRIM_400000_NS6detail40segmented_radix_sort_single_block_helperIalLj256ELj4ELb0EE4sortIPKaPaPKlPlEEbT_T0_T1_T2_jjjjRNS3_12storage_typeE.has_indirect_call)
	.section	.AMDGPU.csdata,"",@progbits
; Kernel info:
; codeLenInByte = 20792
; TotalNumSgprs: 80
; NumVgprs: 97
; ScratchSize: 0
; MemoryBound: 0
; FloatMode: 240
; IeeeMode: 1
; LDSByteSize: 9232 bytes/workgroup (compile time only)
; SGPRBlocks: 10
; VGPRBlocks: 24
; NumSGPRsForWavesPerEU: 81
; NumVGPRsForWavesPerEU: 97
; Occupancy: 2
; WaveLimiterHint : 1
; COMPUTE_PGM_RSRC2:SCRATCH_EN: 0
; COMPUTE_PGM_RSRC2:USER_SGPR: 6
; COMPUTE_PGM_RSRC2:TRAP_HANDLER: 0
; COMPUTE_PGM_RSRC2:TGID_X_EN: 1
; COMPUTE_PGM_RSRC2:TGID_Y_EN: 1
; COMPUTE_PGM_RSRC2:TGID_Z_EN: 0
; COMPUTE_PGM_RSRC2:TIDIG_COMP_CNT: 2
	.section	.text._ZN7rocprim17ROCPRIM_400000_NS6detail17trampoline_kernelINS0_14default_configENS1_36segmented_radix_sort_config_selectorIalEEZNS1_25segmented_radix_sort_implIS3_Lb0EPKaPaPKlPlN2at6native12_GLOBAL__N_18offset_tEEE10hipError_tPvRmT1_PNSt15iterator_traitsISK_E10value_typeET2_T3_PNSL_ISQ_E10value_typeET4_jRbjT5_SW_jjP12ihipStream_tbEUlT_E_NS1_11comp_targetILNS1_3genE10ELNS1_11target_archE1201ELNS1_3gpuE5ELNS1_3repE0EEENS1_30default_config_static_selectorELNS0_4arch9wavefront6targetE1EEEvSK_,"axG",@progbits,_ZN7rocprim17ROCPRIM_400000_NS6detail17trampoline_kernelINS0_14default_configENS1_36segmented_radix_sort_config_selectorIalEEZNS1_25segmented_radix_sort_implIS3_Lb0EPKaPaPKlPlN2at6native12_GLOBAL__N_18offset_tEEE10hipError_tPvRmT1_PNSt15iterator_traitsISK_E10value_typeET2_T3_PNSL_ISQ_E10value_typeET4_jRbjT5_SW_jjP12ihipStream_tbEUlT_E_NS1_11comp_targetILNS1_3genE10ELNS1_11target_archE1201ELNS1_3gpuE5ELNS1_3repE0EEENS1_30default_config_static_selectorELNS0_4arch9wavefront6targetE1EEEvSK_,comdat
	.globl	_ZN7rocprim17ROCPRIM_400000_NS6detail17trampoline_kernelINS0_14default_configENS1_36segmented_radix_sort_config_selectorIalEEZNS1_25segmented_radix_sort_implIS3_Lb0EPKaPaPKlPlN2at6native12_GLOBAL__N_18offset_tEEE10hipError_tPvRmT1_PNSt15iterator_traitsISK_E10value_typeET2_T3_PNSL_ISQ_E10value_typeET4_jRbjT5_SW_jjP12ihipStream_tbEUlT_E_NS1_11comp_targetILNS1_3genE10ELNS1_11target_archE1201ELNS1_3gpuE5ELNS1_3repE0EEENS1_30default_config_static_selectorELNS0_4arch9wavefront6targetE1EEEvSK_ ; -- Begin function _ZN7rocprim17ROCPRIM_400000_NS6detail17trampoline_kernelINS0_14default_configENS1_36segmented_radix_sort_config_selectorIalEEZNS1_25segmented_radix_sort_implIS3_Lb0EPKaPaPKlPlN2at6native12_GLOBAL__N_18offset_tEEE10hipError_tPvRmT1_PNSt15iterator_traitsISK_E10value_typeET2_T3_PNSL_ISQ_E10value_typeET4_jRbjT5_SW_jjP12ihipStream_tbEUlT_E_NS1_11comp_targetILNS1_3genE10ELNS1_11target_archE1201ELNS1_3gpuE5ELNS1_3repE0EEENS1_30default_config_static_selectorELNS0_4arch9wavefront6targetE1EEEvSK_
	.p2align	8
	.type	_ZN7rocprim17ROCPRIM_400000_NS6detail17trampoline_kernelINS0_14default_configENS1_36segmented_radix_sort_config_selectorIalEEZNS1_25segmented_radix_sort_implIS3_Lb0EPKaPaPKlPlN2at6native12_GLOBAL__N_18offset_tEEE10hipError_tPvRmT1_PNSt15iterator_traitsISK_E10value_typeET2_T3_PNSL_ISQ_E10value_typeET4_jRbjT5_SW_jjP12ihipStream_tbEUlT_E_NS1_11comp_targetILNS1_3genE10ELNS1_11target_archE1201ELNS1_3gpuE5ELNS1_3repE0EEENS1_30default_config_static_selectorELNS0_4arch9wavefront6targetE1EEEvSK_,@function
_ZN7rocprim17ROCPRIM_400000_NS6detail17trampoline_kernelINS0_14default_configENS1_36segmented_radix_sort_config_selectorIalEEZNS1_25segmented_radix_sort_implIS3_Lb0EPKaPaPKlPlN2at6native12_GLOBAL__N_18offset_tEEE10hipError_tPvRmT1_PNSt15iterator_traitsISK_E10value_typeET2_T3_PNSL_ISQ_E10value_typeET4_jRbjT5_SW_jjP12ihipStream_tbEUlT_E_NS1_11comp_targetILNS1_3genE10ELNS1_11target_archE1201ELNS1_3gpuE5ELNS1_3repE0EEENS1_30default_config_static_selectorELNS0_4arch9wavefront6targetE1EEEvSK_: ; @_ZN7rocprim17ROCPRIM_400000_NS6detail17trampoline_kernelINS0_14default_configENS1_36segmented_radix_sort_config_selectorIalEEZNS1_25segmented_radix_sort_implIS3_Lb0EPKaPaPKlPlN2at6native12_GLOBAL__N_18offset_tEEE10hipError_tPvRmT1_PNSt15iterator_traitsISK_E10value_typeET2_T3_PNSL_ISQ_E10value_typeET4_jRbjT5_SW_jjP12ihipStream_tbEUlT_E_NS1_11comp_targetILNS1_3genE10ELNS1_11target_archE1201ELNS1_3gpuE5ELNS1_3repE0EEENS1_30default_config_static_selectorELNS0_4arch9wavefront6targetE1EEEvSK_
; %bb.0:
	.section	.rodata,"a",@progbits
	.p2align	6, 0x0
	.amdhsa_kernel _ZN7rocprim17ROCPRIM_400000_NS6detail17trampoline_kernelINS0_14default_configENS1_36segmented_radix_sort_config_selectorIalEEZNS1_25segmented_radix_sort_implIS3_Lb0EPKaPaPKlPlN2at6native12_GLOBAL__N_18offset_tEEE10hipError_tPvRmT1_PNSt15iterator_traitsISK_E10value_typeET2_T3_PNSL_ISQ_E10value_typeET4_jRbjT5_SW_jjP12ihipStream_tbEUlT_E_NS1_11comp_targetILNS1_3genE10ELNS1_11target_archE1201ELNS1_3gpuE5ELNS1_3repE0EEENS1_30default_config_static_selectorELNS0_4arch9wavefront6targetE1EEEvSK_
		.amdhsa_group_segment_fixed_size 0
		.amdhsa_private_segment_fixed_size 0
		.amdhsa_kernarg_size 96
		.amdhsa_user_sgpr_count 6
		.amdhsa_user_sgpr_private_segment_buffer 1
		.amdhsa_user_sgpr_dispatch_ptr 0
		.amdhsa_user_sgpr_queue_ptr 0
		.amdhsa_user_sgpr_kernarg_segment_ptr 1
		.amdhsa_user_sgpr_dispatch_id 0
		.amdhsa_user_sgpr_flat_scratch_init 0
		.amdhsa_user_sgpr_private_segment_size 0
		.amdhsa_uses_dynamic_stack 0
		.amdhsa_system_sgpr_private_segment_wavefront_offset 0
		.amdhsa_system_sgpr_workgroup_id_x 1
		.amdhsa_system_sgpr_workgroup_id_y 0
		.amdhsa_system_sgpr_workgroup_id_z 0
		.amdhsa_system_sgpr_workgroup_info 0
		.amdhsa_system_vgpr_workitem_id 0
		.amdhsa_next_free_vgpr 1
		.amdhsa_next_free_sgpr 0
		.amdhsa_reserve_vcc 0
		.amdhsa_reserve_flat_scratch 0
		.amdhsa_float_round_mode_32 0
		.amdhsa_float_round_mode_16_64 0
		.amdhsa_float_denorm_mode_32 3
		.amdhsa_float_denorm_mode_16_64 3
		.amdhsa_dx10_clamp 1
		.amdhsa_ieee_mode 1
		.amdhsa_fp16_overflow 0
		.amdhsa_exception_fp_ieee_invalid_op 0
		.amdhsa_exception_fp_denorm_src 0
		.amdhsa_exception_fp_ieee_div_zero 0
		.amdhsa_exception_fp_ieee_overflow 0
		.amdhsa_exception_fp_ieee_underflow 0
		.amdhsa_exception_fp_ieee_inexact 0
		.amdhsa_exception_int_div_zero 0
	.end_amdhsa_kernel
	.section	.text._ZN7rocprim17ROCPRIM_400000_NS6detail17trampoline_kernelINS0_14default_configENS1_36segmented_radix_sort_config_selectorIalEEZNS1_25segmented_radix_sort_implIS3_Lb0EPKaPaPKlPlN2at6native12_GLOBAL__N_18offset_tEEE10hipError_tPvRmT1_PNSt15iterator_traitsISK_E10value_typeET2_T3_PNSL_ISQ_E10value_typeET4_jRbjT5_SW_jjP12ihipStream_tbEUlT_E_NS1_11comp_targetILNS1_3genE10ELNS1_11target_archE1201ELNS1_3gpuE5ELNS1_3repE0EEENS1_30default_config_static_selectorELNS0_4arch9wavefront6targetE1EEEvSK_,"axG",@progbits,_ZN7rocprim17ROCPRIM_400000_NS6detail17trampoline_kernelINS0_14default_configENS1_36segmented_radix_sort_config_selectorIalEEZNS1_25segmented_radix_sort_implIS3_Lb0EPKaPaPKlPlN2at6native12_GLOBAL__N_18offset_tEEE10hipError_tPvRmT1_PNSt15iterator_traitsISK_E10value_typeET2_T3_PNSL_ISQ_E10value_typeET4_jRbjT5_SW_jjP12ihipStream_tbEUlT_E_NS1_11comp_targetILNS1_3genE10ELNS1_11target_archE1201ELNS1_3gpuE5ELNS1_3repE0EEENS1_30default_config_static_selectorELNS0_4arch9wavefront6targetE1EEEvSK_,comdat
.Lfunc_end399:
	.size	_ZN7rocprim17ROCPRIM_400000_NS6detail17trampoline_kernelINS0_14default_configENS1_36segmented_radix_sort_config_selectorIalEEZNS1_25segmented_radix_sort_implIS3_Lb0EPKaPaPKlPlN2at6native12_GLOBAL__N_18offset_tEEE10hipError_tPvRmT1_PNSt15iterator_traitsISK_E10value_typeET2_T3_PNSL_ISQ_E10value_typeET4_jRbjT5_SW_jjP12ihipStream_tbEUlT_E_NS1_11comp_targetILNS1_3genE10ELNS1_11target_archE1201ELNS1_3gpuE5ELNS1_3repE0EEENS1_30default_config_static_selectorELNS0_4arch9wavefront6targetE1EEEvSK_, .Lfunc_end399-_ZN7rocprim17ROCPRIM_400000_NS6detail17trampoline_kernelINS0_14default_configENS1_36segmented_radix_sort_config_selectorIalEEZNS1_25segmented_radix_sort_implIS3_Lb0EPKaPaPKlPlN2at6native12_GLOBAL__N_18offset_tEEE10hipError_tPvRmT1_PNSt15iterator_traitsISK_E10value_typeET2_T3_PNSL_ISQ_E10value_typeET4_jRbjT5_SW_jjP12ihipStream_tbEUlT_E_NS1_11comp_targetILNS1_3genE10ELNS1_11target_archE1201ELNS1_3gpuE5ELNS1_3repE0EEENS1_30default_config_static_selectorELNS0_4arch9wavefront6targetE1EEEvSK_
                                        ; -- End function
	.set _ZN7rocprim17ROCPRIM_400000_NS6detail17trampoline_kernelINS0_14default_configENS1_36segmented_radix_sort_config_selectorIalEEZNS1_25segmented_radix_sort_implIS3_Lb0EPKaPaPKlPlN2at6native12_GLOBAL__N_18offset_tEEE10hipError_tPvRmT1_PNSt15iterator_traitsISK_E10value_typeET2_T3_PNSL_ISQ_E10value_typeET4_jRbjT5_SW_jjP12ihipStream_tbEUlT_E_NS1_11comp_targetILNS1_3genE10ELNS1_11target_archE1201ELNS1_3gpuE5ELNS1_3repE0EEENS1_30default_config_static_selectorELNS0_4arch9wavefront6targetE1EEEvSK_.num_vgpr, 0
	.set _ZN7rocprim17ROCPRIM_400000_NS6detail17trampoline_kernelINS0_14default_configENS1_36segmented_radix_sort_config_selectorIalEEZNS1_25segmented_radix_sort_implIS3_Lb0EPKaPaPKlPlN2at6native12_GLOBAL__N_18offset_tEEE10hipError_tPvRmT1_PNSt15iterator_traitsISK_E10value_typeET2_T3_PNSL_ISQ_E10value_typeET4_jRbjT5_SW_jjP12ihipStream_tbEUlT_E_NS1_11comp_targetILNS1_3genE10ELNS1_11target_archE1201ELNS1_3gpuE5ELNS1_3repE0EEENS1_30default_config_static_selectorELNS0_4arch9wavefront6targetE1EEEvSK_.num_agpr, 0
	.set _ZN7rocprim17ROCPRIM_400000_NS6detail17trampoline_kernelINS0_14default_configENS1_36segmented_radix_sort_config_selectorIalEEZNS1_25segmented_radix_sort_implIS3_Lb0EPKaPaPKlPlN2at6native12_GLOBAL__N_18offset_tEEE10hipError_tPvRmT1_PNSt15iterator_traitsISK_E10value_typeET2_T3_PNSL_ISQ_E10value_typeET4_jRbjT5_SW_jjP12ihipStream_tbEUlT_E_NS1_11comp_targetILNS1_3genE10ELNS1_11target_archE1201ELNS1_3gpuE5ELNS1_3repE0EEENS1_30default_config_static_selectorELNS0_4arch9wavefront6targetE1EEEvSK_.numbered_sgpr, 0
	.set _ZN7rocprim17ROCPRIM_400000_NS6detail17trampoline_kernelINS0_14default_configENS1_36segmented_radix_sort_config_selectorIalEEZNS1_25segmented_radix_sort_implIS3_Lb0EPKaPaPKlPlN2at6native12_GLOBAL__N_18offset_tEEE10hipError_tPvRmT1_PNSt15iterator_traitsISK_E10value_typeET2_T3_PNSL_ISQ_E10value_typeET4_jRbjT5_SW_jjP12ihipStream_tbEUlT_E_NS1_11comp_targetILNS1_3genE10ELNS1_11target_archE1201ELNS1_3gpuE5ELNS1_3repE0EEENS1_30default_config_static_selectorELNS0_4arch9wavefront6targetE1EEEvSK_.num_named_barrier, 0
	.set _ZN7rocprim17ROCPRIM_400000_NS6detail17trampoline_kernelINS0_14default_configENS1_36segmented_radix_sort_config_selectorIalEEZNS1_25segmented_radix_sort_implIS3_Lb0EPKaPaPKlPlN2at6native12_GLOBAL__N_18offset_tEEE10hipError_tPvRmT1_PNSt15iterator_traitsISK_E10value_typeET2_T3_PNSL_ISQ_E10value_typeET4_jRbjT5_SW_jjP12ihipStream_tbEUlT_E_NS1_11comp_targetILNS1_3genE10ELNS1_11target_archE1201ELNS1_3gpuE5ELNS1_3repE0EEENS1_30default_config_static_selectorELNS0_4arch9wavefront6targetE1EEEvSK_.private_seg_size, 0
	.set _ZN7rocprim17ROCPRIM_400000_NS6detail17trampoline_kernelINS0_14default_configENS1_36segmented_radix_sort_config_selectorIalEEZNS1_25segmented_radix_sort_implIS3_Lb0EPKaPaPKlPlN2at6native12_GLOBAL__N_18offset_tEEE10hipError_tPvRmT1_PNSt15iterator_traitsISK_E10value_typeET2_T3_PNSL_ISQ_E10value_typeET4_jRbjT5_SW_jjP12ihipStream_tbEUlT_E_NS1_11comp_targetILNS1_3genE10ELNS1_11target_archE1201ELNS1_3gpuE5ELNS1_3repE0EEENS1_30default_config_static_selectorELNS0_4arch9wavefront6targetE1EEEvSK_.uses_vcc, 0
	.set _ZN7rocprim17ROCPRIM_400000_NS6detail17trampoline_kernelINS0_14default_configENS1_36segmented_radix_sort_config_selectorIalEEZNS1_25segmented_radix_sort_implIS3_Lb0EPKaPaPKlPlN2at6native12_GLOBAL__N_18offset_tEEE10hipError_tPvRmT1_PNSt15iterator_traitsISK_E10value_typeET2_T3_PNSL_ISQ_E10value_typeET4_jRbjT5_SW_jjP12ihipStream_tbEUlT_E_NS1_11comp_targetILNS1_3genE10ELNS1_11target_archE1201ELNS1_3gpuE5ELNS1_3repE0EEENS1_30default_config_static_selectorELNS0_4arch9wavefront6targetE1EEEvSK_.uses_flat_scratch, 0
	.set _ZN7rocprim17ROCPRIM_400000_NS6detail17trampoline_kernelINS0_14default_configENS1_36segmented_radix_sort_config_selectorIalEEZNS1_25segmented_radix_sort_implIS3_Lb0EPKaPaPKlPlN2at6native12_GLOBAL__N_18offset_tEEE10hipError_tPvRmT1_PNSt15iterator_traitsISK_E10value_typeET2_T3_PNSL_ISQ_E10value_typeET4_jRbjT5_SW_jjP12ihipStream_tbEUlT_E_NS1_11comp_targetILNS1_3genE10ELNS1_11target_archE1201ELNS1_3gpuE5ELNS1_3repE0EEENS1_30default_config_static_selectorELNS0_4arch9wavefront6targetE1EEEvSK_.has_dyn_sized_stack, 0
	.set _ZN7rocprim17ROCPRIM_400000_NS6detail17trampoline_kernelINS0_14default_configENS1_36segmented_radix_sort_config_selectorIalEEZNS1_25segmented_radix_sort_implIS3_Lb0EPKaPaPKlPlN2at6native12_GLOBAL__N_18offset_tEEE10hipError_tPvRmT1_PNSt15iterator_traitsISK_E10value_typeET2_T3_PNSL_ISQ_E10value_typeET4_jRbjT5_SW_jjP12ihipStream_tbEUlT_E_NS1_11comp_targetILNS1_3genE10ELNS1_11target_archE1201ELNS1_3gpuE5ELNS1_3repE0EEENS1_30default_config_static_selectorELNS0_4arch9wavefront6targetE1EEEvSK_.has_recursion, 0
	.set _ZN7rocprim17ROCPRIM_400000_NS6detail17trampoline_kernelINS0_14default_configENS1_36segmented_radix_sort_config_selectorIalEEZNS1_25segmented_radix_sort_implIS3_Lb0EPKaPaPKlPlN2at6native12_GLOBAL__N_18offset_tEEE10hipError_tPvRmT1_PNSt15iterator_traitsISK_E10value_typeET2_T3_PNSL_ISQ_E10value_typeET4_jRbjT5_SW_jjP12ihipStream_tbEUlT_E_NS1_11comp_targetILNS1_3genE10ELNS1_11target_archE1201ELNS1_3gpuE5ELNS1_3repE0EEENS1_30default_config_static_selectorELNS0_4arch9wavefront6targetE1EEEvSK_.has_indirect_call, 0
	.section	.AMDGPU.csdata,"",@progbits
; Kernel info:
; codeLenInByte = 0
; TotalNumSgprs: 4
; NumVgprs: 0
; ScratchSize: 0
; MemoryBound: 0
; FloatMode: 240
; IeeeMode: 1
; LDSByteSize: 0 bytes/workgroup (compile time only)
; SGPRBlocks: 0
; VGPRBlocks: 0
; NumSGPRsForWavesPerEU: 4
; NumVGPRsForWavesPerEU: 1
; Occupancy: 10
; WaveLimiterHint : 0
; COMPUTE_PGM_RSRC2:SCRATCH_EN: 0
; COMPUTE_PGM_RSRC2:USER_SGPR: 6
; COMPUTE_PGM_RSRC2:TRAP_HANDLER: 0
; COMPUTE_PGM_RSRC2:TGID_X_EN: 1
; COMPUTE_PGM_RSRC2:TGID_Y_EN: 0
; COMPUTE_PGM_RSRC2:TGID_Z_EN: 0
; COMPUTE_PGM_RSRC2:TIDIG_COMP_CNT: 0
	.section	.text._ZN7rocprim17ROCPRIM_400000_NS6detail17trampoline_kernelINS0_14default_configENS1_36segmented_radix_sort_config_selectorIalEEZNS1_25segmented_radix_sort_implIS3_Lb0EPKaPaPKlPlN2at6native12_GLOBAL__N_18offset_tEEE10hipError_tPvRmT1_PNSt15iterator_traitsISK_E10value_typeET2_T3_PNSL_ISQ_E10value_typeET4_jRbjT5_SW_jjP12ihipStream_tbEUlT_E_NS1_11comp_targetILNS1_3genE10ELNS1_11target_archE1200ELNS1_3gpuE4ELNS1_3repE0EEENS1_30default_config_static_selectorELNS0_4arch9wavefront6targetE1EEEvSK_,"axG",@progbits,_ZN7rocprim17ROCPRIM_400000_NS6detail17trampoline_kernelINS0_14default_configENS1_36segmented_radix_sort_config_selectorIalEEZNS1_25segmented_radix_sort_implIS3_Lb0EPKaPaPKlPlN2at6native12_GLOBAL__N_18offset_tEEE10hipError_tPvRmT1_PNSt15iterator_traitsISK_E10value_typeET2_T3_PNSL_ISQ_E10value_typeET4_jRbjT5_SW_jjP12ihipStream_tbEUlT_E_NS1_11comp_targetILNS1_3genE10ELNS1_11target_archE1200ELNS1_3gpuE4ELNS1_3repE0EEENS1_30default_config_static_selectorELNS0_4arch9wavefront6targetE1EEEvSK_,comdat
	.globl	_ZN7rocprim17ROCPRIM_400000_NS6detail17trampoline_kernelINS0_14default_configENS1_36segmented_radix_sort_config_selectorIalEEZNS1_25segmented_radix_sort_implIS3_Lb0EPKaPaPKlPlN2at6native12_GLOBAL__N_18offset_tEEE10hipError_tPvRmT1_PNSt15iterator_traitsISK_E10value_typeET2_T3_PNSL_ISQ_E10value_typeET4_jRbjT5_SW_jjP12ihipStream_tbEUlT_E_NS1_11comp_targetILNS1_3genE10ELNS1_11target_archE1200ELNS1_3gpuE4ELNS1_3repE0EEENS1_30default_config_static_selectorELNS0_4arch9wavefront6targetE1EEEvSK_ ; -- Begin function _ZN7rocprim17ROCPRIM_400000_NS6detail17trampoline_kernelINS0_14default_configENS1_36segmented_radix_sort_config_selectorIalEEZNS1_25segmented_radix_sort_implIS3_Lb0EPKaPaPKlPlN2at6native12_GLOBAL__N_18offset_tEEE10hipError_tPvRmT1_PNSt15iterator_traitsISK_E10value_typeET2_T3_PNSL_ISQ_E10value_typeET4_jRbjT5_SW_jjP12ihipStream_tbEUlT_E_NS1_11comp_targetILNS1_3genE10ELNS1_11target_archE1200ELNS1_3gpuE4ELNS1_3repE0EEENS1_30default_config_static_selectorELNS0_4arch9wavefront6targetE1EEEvSK_
	.p2align	8
	.type	_ZN7rocprim17ROCPRIM_400000_NS6detail17trampoline_kernelINS0_14default_configENS1_36segmented_radix_sort_config_selectorIalEEZNS1_25segmented_radix_sort_implIS3_Lb0EPKaPaPKlPlN2at6native12_GLOBAL__N_18offset_tEEE10hipError_tPvRmT1_PNSt15iterator_traitsISK_E10value_typeET2_T3_PNSL_ISQ_E10value_typeET4_jRbjT5_SW_jjP12ihipStream_tbEUlT_E_NS1_11comp_targetILNS1_3genE10ELNS1_11target_archE1200ELNS1_3gpuE4ELNS1_3repE0EEENS1_30default_config_static_selectorELNS0_4arch9wavefront6targetE1EEEvSK_,@function
_ZN7rocprim17ROCPRIM_400000_NS6detail17trampoline_kernelINS0_14default_configENS1_36segmented_radix_sort_config_selectorIalEEZNS1_25segmented_radix_sort_implIS3_Lb0EPKaPaPKlPlN2at6native12_GLOBAL__N_18offset_tEEE10hipError_tPvRmT1_PNSt15iterator_traitsISK_E10value_typeET2_T3_PNSL_ISQ_E10value_typeET4_jRbjT5_SW_jjP12ihipStream_tbEUlT_E_NS1_11comp_targetILNS1_3genE10ELNS1_11target_archE1200ELNS1_3gpuE4ELNS1_3repE0EEENS1_30default_config_static_selectorELNS0_4arch9wavefront6targetE1EEEvSK_: ; @_ZN7rocprim17ROCPRIM_400000_NS6detail17trampoline_kernelINS0_14default_configENS1_36segmented_radix_sort_config_selectorIalEEZNS1_25segmented_radix_sort_implIS3_Lb0EPKaPaPKlPlN2at6native12_GLOBAL__N_18offset_tEEE10hipError_tPvRmT1_PNSt15iterator_traitsISK_E10value_typeET2_T3_PNSL_ISQ_E10value_typeET4_jRbjT5_SW_jjP12ihipStream_tbEUlT_E_NS1_11comp_targetILNS1_3genE10ELNS1_11target_archE1200ELNS1_3gpuE4ELNS1_3repE0EEENS1_30default_config_static_selectorELNS0_4arch9wavefront6targetE1EEEvSK_
; %bb.0:
	.section	.rodata,"a",@progbits
	.p2align	6, 0x0
	.amdhsa_kernel _ZN7rocprim17ROCPRIM_400000_NS6detail17trampoline_kernelINS0_14default_configENS1_36segmented_radix_sort_config_selectorIalEEZNS1_25segmented_radix_sort_implIS3_Lb0EPKaPaPKlPlN2at6native12_GLOBAL__N_18offset_tEEE10hipError_tPvRmT1_PNSt15iterator_traitsISK_E10value_typeET2_T3_PNSL_ISQ_E10value_typeET4_jRbjT5_SW_jjP12ihipStream_tbEUlT_E_NS1_11comp_targetILNS1_3genE10ELNS1_11target_archE1200ELNS1_3gpuE4ELNS1_3repE0EEENS1_30default_config_static_selectorELNS0_4arch9wavefront6targetE1EEEvSK_
		.amdhsa_group_segment_fixed_size 0
		.amdhsa_private_segment_fixed_size 0
		.amdhsa_kernarg_size 96
		.amdhsa_user_sgpr_count 6
		.amdhsa_user_sgpr_private_segment_buffer 1
		.amdhsa_user_sgpr_dispatch_ptr 0
		.amdhsa_user_sgpr_queue_ptr 0
		.amdhsa_user_sgpr_kernarg_segment_ptr 1
		.amdhsa_user_sgpr_dispatch_id 0
		.amdhsa_user_sgpr_flat_scratch_init 0
		.amdhsa_user_sgpr_private_segment_size 0
		.amdhsa_uses_dynamic_stack 0
		.amdhsa_system_sgpr_private_segment_wavefront_offset 0
		.amdhsa_system_sgpr_workgroup_id_x 1
		.amdhsa_system_sgpr_workgroup_id_y 0
		.amdhsa_system_sgpr_workgroup_id_z 0
		.amdhsa_system_sgpr_workgroup_info 0
		.amdhsa_system_vgpr_workitem_id 0
		.amdhsa_next_free_vgpr 1
		.amdhsa_next_free_sgpr 0
		.amdhsa_reserve_vcc 0
		.amdhsa_reserve_flat_scratch 0
		.amdhsa_float_round_mode_32 0
		.amdhsa_float_round_mode_16_64 0
		.amdhsa_float_denorm_mode_32 3
		.amdhsa_float_denorm_mode_16_64 3
		.amdhsa_dx10_clamp 1
		.amdhsa_ieee_mode 1
		.amdhsa_fp16_overflow 0
		.amdhsa_exception_fp_ieee_invalid_op 0
		.amdhsa_exception_fp_denorm_src 0
		.amdhsa_exception_fp_ieee_div_zero 0
		.amdhsa_exception_fp_ieee_overflow 0
		.amdhsa_exception_fp_ieee_underflow 0
		.amdhsa_exception_fp_ieee_inexact 0
		.amdhsa_exception_int_div_zero 0
	.end_amdhsa_kernel
	.section	.text._ZN7rocprim17ROCPRIM_400000_NS6detail17trampoline_kernelINS0_14default_configENS1_36segmented_radix_sort_config_selectorIalEEZNS1_25segmented_radix_sort_implIS3_Lb0EPKaPaPKlPlN2at6native12_GLOBAL__N_18offset_tEEE10hipError_tPvRmT1_PNSt15iterator_traitsISK_E10value_typeET2_T3_PNSL_ISQ_E10value_typeET4_jRbjT5_SW_jjP12ihipStream_tbEUlT_E_NS1_11comp_targetILNS1_3genE10ELNS1_11target_archE1200ELNS1_3gpuE4ELNS1_3repE0EEENS1_30default_config_static_selectorELNS0_4arch9wavefront6targetE1EEEvSK_,"axG",@progbits,_ZN7rocprim17ROCPRIM_400000_NS6detail17trampoline_kernelINS0_14default_configENS1_36segmented_radix_sort_config_selectorIalEEZNS1_25segmented_radix_sort_implIS3_Lb0EPKaPaPKlPlN2at6native12_GLOBAL__N_18offset_tEEE10hipError_tPvRmT1_PNSt15iterator_traitsISK_E10value_typeET2_T3_PNSL_ISQ_E10value_typeET4_jRbjT5_SW_jjP12ihipStream_tbEUlT_E_NS1_11comp_targetILNS1_3genE10ELNS1_11target_archE1200ELNS1_3gpuE4ELNS1_3repE0EEENS1_30default_config_static_selectorELNS0_4arch9wavefront6targetE1EEEvSK_,comdat
.Lfunc_end400:
	.size	_ZN7rocprim17ROCPRIM_400000_NS6detail17trampoline_kernelINS0_14default_configENS1_36segmented_radix_sort_config_selectorIalEEZNS1_25segmented_radix_sort_implIS3_Lb0EPKaPaPKlPlN2at6native12_GLOBAL__N_18offset_tEEE10hipError_tPvRmT1_PNSt15iterator_traitsISK_E10value_typeET2_T3_PNSL_ISQ_E10value_typeET4_jRbjT5_SW_jjP12ihipStream_tbEUlT_E_NS1_11comp_targetILNS1_3genE10ELNS1_11target_archE1200ELNS1_3gpuE4ELNS1_3repE0EEENS1_30default_config_static_selectorELNS0_4arch9wavefront6targetE1EEEvSK_, .Lfunc_end400-_ZN7rocprim17ROCPRIM_400000_NS6detail17trampoline_kernelINS0_14default_configENS1_36segmented_radix_sort_config_selectorIalEEZNS1_25segmented_radix_sort_implIS3_Lb0EPKaPaPKlPlN2at6native12_GLOBAL__N_18offset_tEEE10hipError_tPvRmT1_PNSt15iterator_traitsISK_E10value_typeET2_T3_PNSL_ISQ_E10value_typeET4_jRbjT5_SW_jjP12ihipStream_tbEUlT_E_NS1_11comp_targetILNS1_3genE10ELNS1_11target_archE1200ELNS1_3gpuE4ELNS1_3repE0EEENS1_30default_config_static_selectorELNS0_4arch9wavefront6targetE1EEEvSK_
                                        ; -- End function
	.set _ZN7rocprim17ROCPRIM_400000_NS6detail17trampoline_kernelINS0_14default_configENS1_36segmented_radix_sort_config_selectorIalEEZNS1_25segmented_radix_sort_implIS3_Lb0EPKaPaPKlPlN2at6native12_GLOBAL__N_18offset_tEEE10hipError_tPvRmT1_PNSt15iterator_traitsISK_E10value_typeET2_T3_PNSL_ISQ_E10value_typeET4_jRbjT5_SW_jjP12ihipStream_tbEUlT_E_NS1_11comp_targetILNS1_3genE10ELNS1_11target_archE1200ELNS1_3gpuE4ELNS1_3repE0EEENS1_30default_config_static_selectorELNS0_4arch9wavefront6targetE1EEEvSK_.num_vgpr, 0
	.set _ZN7rocprim17ROCPRIM_400000_NS6detail17trampoline_kernelINS0_14default_configENS1_36segmented_radix_sort_config_selectorIalEEZNS1_25segmented_radix_sort_implIS3_Lb0EPKaPaPKlPlN2at6native12_GLOBAL__N_18offset_tEEE10hipError_tPvRmT1_PNSt15iterator_traitsISK_E10value_typeET2_T3_PNSL_ISQ_E10value_typeET4_jRbjT5_SW_jjP12ihipStream_tbEUlT_E_NS1_11comp_targetILNS1_3genE10ELNS1_11target_archE1200ELNS1_3gpuE4ELNS1_3repE0EEENS1_30default_config_static_selectorELNS0_4arch9wavefront6targetE1EEEvSK_.num_agpr, 0
	.set _ZN7rocprim17ROCPRIM_400000_NS6detail17trampoline_kernelINS0_14default_configENS1_36segmented_radix_sort_config_selectorIalEEZNS1_25segmented_radix_sort_implIS3_Lb0EPKaPaPKlPlN2at6native12_GLOBAL__N_18offset_tEEE10hipError_tPvRmT1_PNSt15iterator_traitsISK_E10value_typeET2_T3_PNSL_ISQ_E10value_typeET4_jRbjT5_SW_jjP12ihipStream_tbEUlT_E_NS1_11comp_targetILNS1_3genE10ELNS1_11target_archE1200ELNS1_3gpuE4ELNS1_3repE0EEENS1_30default_config_static_selectorELNS0_4arch9wavefront6targetE1EEEvSK_.numbered_sgpr, 0
	.set _ZN7rocprim17ROCPRIM_400000_NS6detail17trampoline_kernelINS0_14default_configENS1_36segmented_radix_sort_config_selectorIalEEZNS1_25segmented_radix_sort_implIS3_Lb0EPKaPaPKlPlN2at6native12_GLOBAL__N_18offset_tEEE10hipError_tPvRmT1_PNSt15iterator_traitsISK_E10value_typeET2_T3_PNSL_ISQ_E10value_typeET4_jRbjT5_SW_jjP12ihipStream_tbEUlT_E_NS1_11comp_targetILNS1_3genE10ELNS1_11target_archE1200ELNS1_3gpuE4ELNS1_3repE0EEENS1_30default_config_static_selectorELNS0_4arch9wavefront6targetE1EEEvSK_.num_named_barrier, 0
	.set _ZN7rocprim17ROCPRIM_400000_NS6detail17trampoline_kernelINS0_14default_configENS1_36segmented_radix_sort_config_selectorIalEEZNS1_25segmented_radix_sort_implIS3_Lb0EPKaPaPKlPlN2at6native12_GLOBAL__N_18offset_tEEE10hipError_tPvRmT1_PNSt15iterator_traitsISK_E10value_typeET2_T3_PNSL_ISQ_E10value_typeET4_jRbjT5_SW_jjP12ihipStream_tbEUlT_E_NS1_11comp_targetILNS1_3genE10ELNS1_11target_archE1200ELNS1_3gpuE4ELNS1_3repE0EEENS1_30default_config_static_selectorELNS0_4arch9wavefront6targetE1EEEvSK_.private_seg_size, 0
	.set _ZN7rocprim17ROCPRIM_400000_NS6detail17trampoline_kernelINS0_14default_configENS1_36segmented_radix_sort_config_selectorIalEEZNS1_25segmented_radix_sort_implIS3_Lb0EPKaPaPKlPlN2at6native12_GLOBAL__N_18offset_tEEE10hipError_tPvRmT1_PNSt15iterator_traitsISK_E10value_typeET2_T3_PNSL_ISQ_E10value_typeET4_jRbjT5_SW_jjP12ihipStream_tbEUlT_E_NS1_11comp_targetILNS1_3genE10ELNS1_11target_archE1200ELNS1_3gpuE4ELNS1_3repE0EEENS1_30default_config_static_selectorELNS0_4arch9wavefront6targetE1EEEvSK_.uses_vcc, 0
	.set _ZN7rocprim17ROCPRIM_400000_NS6detail17trampoline_kernelINS0_14default_configENS1_36segmented_radix_sort_config_selectorIalEEZNS1_25segmented_radix_sort_implIS3_Lb0EPKaPaPKlPlN2at6native12_GLOBAL__N_18offset_tEEE10hipError_tPvRmT1_PNSt15iterator_traitsISK_E10value_typeET2_T3_PNSL_ISQ_E10value_typeET4_jRbjT5_SW_jjP12ihipStream_tbEUlT_E_NS1_11comp_targetILNS1_3genE10ELNS1_11target_archE1200ELNS1_3gpuE4ELNS1_3repE0EEENS1_30default_config_static_selectorELNS0_4arch9wavefront6targetE1EEEvSK_.uses_flat_scratch, 0
	.set _ZN7rocprim17ROCPRIM_400000_NS6detail17trampoline_kernelINS0_14default_configENS1_36segmented_radix_sort_config_selectorIalEEZNS1_25segmented_radix_sort_implIS3_Lb0EPKaPaPKlPlN2at6native12_GLOBAL__N_18offset_tEEE10hipError_tPvRmT1_PNSt15iterator_traitsISK_E10value_typeET2_T3_PNSL_ISQ_E10value_typeET4_jRbjT5_SW_jjP12ihipStream_tbEUlT_E_NS1_11comp_targetILNS1_3genE10ELNS1_11target_archE1200ELNS1_3gpuE4ELNS1_3repE0EEENS1_30default_config_static_selectorELNS0_4arch9wavefront6targetE1EEEvSK_.has_dyn_sized_stack, 0
	.set _ZN7rocprim17ROCPRIM_400000_NS6detail17trampoline_kernelINS0_14default_configENS1_36segmented_radix_sort_config_selectorIalEEZNS1_25segmented_radix_sort_implIS3_Lb0EPKaPaPKlPlN2at6native12_GLOBAL__N_18offset_tEEE10hipError_tPvRmT1_PNSt15iterator_traitsISK_E10value_typeET2_T3_PNSL_ISQ_E10value_typeET4_jRbjT5_SW_jjP12ihipStream_tbEUlT_E_NS1_11comp_targetILNS1_3genE10ELNS1_11target_archE1200ELNS1_3gpuE4ELNS1_3repE0EEENS1_30default_config_static_selectorELNS0_4arch9wavefront6targetE1EEEvSK_.has_recursion, 0
	.set _ZN7rocprim17ROCPRIM_400000_NS6detail17trampoline_kernelINS0_14default_configENS1_36segmented_radix_sort_config_selectorIalEEZNS1_25segmented_radix_sort_implIS3_Lb0EPKaPaPKlPlN2at6native12_GLOBAL__N_18offset_tEEE10hipError_tPvRmT1_PNSt15iterator_traitsISK_E10value_typeET2_T3_PNSL_ISQ_E10value_typeET4_jRbjT5_SW_jjP12ihipStream_tbEUlT_E_NS1_11comp_targetILNS1_3genE10ELNS1_11target_archE1200ELNS1_3gpuE4ELNS1_3repE0EEENS1_30default_config_static_selectorELNS0_4arch9wavefront6targetE1EEEvSK_.has_indirect_call, 0
	.section	.AMDGPU.csdata,"",@progbits
; Kernel info:
; codeLenInByte = 0
; TotalNumSgprs: 4
; NumVgprs: 0
; ScratchSize: 0
; MemoryBound: 0
; FloatMode: 240
; IeeeMode: 1
; LDSByteSize: 0 bytes/workgroup (compile time only)
; SGPRBlocks: 0
; VGPRBlocks: 0
; NumSGPRsForWavesPerEU: 4
; NumVGPRsForWavesPerEU: 1
; Occupancy: 10
; WaveLimiterHint : 0
; COMPUTE_PGM_RSRC2:SCRATCH_EN: 0
; COMPUTE_PGM_RSRC2:USER_SGPR: 6
; COMPUTE_PGM_RSRC2:TRAP_HANDLER: 0
; COMPUTE_PGM_RSRC2:TGID_X_EN: 1
; COMPUTE_PGM_RSRC2:TGID_Y_EN: 0
; COMPUTE_PGM_RSRC2:TGID_Z_EN: 0
; COMPUTE_PGM_RSRC2:TIDIG_COMP_CNT: 0
	.section	.text._ZN7rocprim17ROCPRIM_400000_NS6detail17trampoline_kernelINS0_14default_configENS1_36segmented_radix_sort_config_selectorIalEEZNS1_25segmented_radix_sort_implIS3_Lb0EPKaPaPKlPlN2at6native12_GLOBAL__N_18offset_tEEE10hipError_tPvRmT1_PNSt15iterator_traitsISK_E10value_typeET2_T3_PNSL_ISQ_E10value_typeET4_jRbjT5_SW_jjP12ihipStream_tbEUlT_E_NS1_11comp_targetILNS1_3genE9ELNS1_11target_archE1100ELNS1_3gpuE3ELNS1_3repE0EEENS1_30default_config_static_selectorELNS0_4arch9wavefront6targetE1EEEvSK_,"axG",@progbits,_ZN7rocprim17ROCPRIM_400000_NS6detail17trampoline_kernelINS0_14default_configENS1_36segmented_radix_sort_config_selectorIalEEZNS1_25segmented_radix_sort_implIS3_Lb0EPKaPaPKlPlN2at6native12_GLOBAL__N_18offset_tEEE10hipError_tPvRmT1_PNSt15iterator_traitsISK_E10value_typeET2_T3_PNSL_ISQ_E10value_typeET4_jRbjT5_SW_jjP12ihipStream_tbEUlT_E_NS1_11comp_targetILNS1_3genE9ELNS1_11target_archE1100ELNS1_3gpuE3ELNS1_3repE0EEENS1_30default_config_static_selectorELNS0_4arch9wavefront6targetE1EEEvSK_,comdat
	.globl	_ZN7rocprim17ROCPRIM_400000_NS6detail17trampoline_kernelINS0_14default_configENS1_36segmented_radix_sort_config_selectorIalEEZNS1_25segmented_radix_sort_implIS3_Lb0EPKaPaPKlPlN2at6native12_GLOBAL__N_18offset_tEEE10hipError_tPvRmT1_PNSt15iterator_traitsISK_E10value_typeET2_T3_PNSL_ISQ_E10value_typeET4_jRbjT5_SW_jjP12ihipStream_tbEUlT_E_NS1_11comp_targetILNS1_3genE9ELNS1_11target_archE1100ELNS1_3gpuE3ELNS1_3repE0EEENS1_30default_config_static_selectorELNS0_4arch9wavefront6targetE1EEEvSK_ ; -- Begin function _ZN7rocprim17ROCPRIM_400000_NS6detail17trampoline_kernelINS0_14default_configENS1_36segmented_radix_sort_config_selectorIalEEZNS1_25segmented_radix_sort_implIS3_Lb0EPKaPaPKlPlN2at6native12_GLOBAL__N_18offset_tEEE10hipError_tPvRmT1_PNSt15iterator_traitsISK_E10value_typeET2_T3_PNSL_ISQ_E10value_typeET4_jRbjT5_SW_jjP12ihipStream_tbEUlT_E_NS1_11comp_targetILNS1_3genE9ELNS1_11target_archE1100ELNS1_3gpuE3ELNS1_3repE0EEENS1_30default_config_static_selectorELNS0_4arch9wavefront6targetE1EEEvSK_
	.p2align	8
	.type	_ZN7rocprim17ROCPRIM_400000_NS6detail17trampoline_kernelINS0_14default_configENS1_36segmented_radix_sort_config_selectorIalEEZNS1_25segmented_radix_sort_implIS3_Lb0EPKaPaPKlPlN2at6native12_GLOBAL__N_18offset_tEEE10hipError_tPvRmT1_PNSt15iterator_traitsISK_E10value_typeET2_T3_PNSL_ISQ_E10value_typeET4_jRbjT5_SW_jjP12ihipStream_tbEUlT_E_NS1_11comp_targetILNS1_3genE9ELNS1_11target_archE1100ELNS1_3gpuE3ELNS1_3repE0EEENS1_30default_config_static_selectorELNS0_4arch9wavefront6targetE1EEEvSK_,@function
_ZN7rocprim17ROCPRIM_400000_NS6detail17trampoline_kernelINS0_14default_configENS1_36segmented_radix_sort_config_selectorIalEEZNS1_25segmented_radix_sort_implIS3_Lb0EPKaPaPKlPlN2at6native12_GLOBAL__N_18offset_tEEE10hipError_tPvRmT1_PNSt15iterator_traitsISK_E10value_typeET2_T3_PNSL_ISQ_E10value_typeET4_jRbjT5_SW_jjP12ihipStream_tbEUlT_E_NS1_11comp_targetILNS1_3genE9ELNS1_11target_archE1100ELNS1_3gpuE3ELNS1_3repE0EEENS1_30default_config_static_selectorELNS0_4arch9wavefront6targetE1EEEvSK_: ; @_ZN7rocprim17ROCPRIM_400000_NS6detail17trampoline_kernelINS0_14default_configENS1_36segmented_radix_sort_config_selectorIalEEZNS1_25segmented_radix_sort_implIS3_Lb0EPKaPaPKlPlN2at6native12_GLOBAL__N_18offset_tEEE10hipError_tPvRmT1_PNSt15iterator_traitsISK_E10value_typeET2_T3_PNSL_ISQ_E10value_typeET4_jRbjT5_SW_jjP12ihipStream_tbEUlT_E_NS1_11comp_targetILNS1_3genE9ELNS1_11target_archE1100ELNS1_3gpuE3ELNS1_3repE0EEENS1_30default_config_static_selectorELNS0_4arch9wavefront6targetE1EEEvSK_
; %bb.0:
	.section	.rodata,"a",@progbits
	.p2align	6, 0x0
	.amdhsa_kernel _ZN7rocprim17ROCPRIM_400000_NS6detail17trampoline_kernelINS0_14default_configENS1_36segmented_radix_sort_config_selectorIalEEZNS1_25segmented_radix_sort_implIS3_Lb0EPKaPaPKlPlN2at6native12_GLOBAL__N_18offset_tEEE10hipError_tPvRmT1_PNSt15iterator_traitsISK_E10value_typeET2_T3_PNSL_ISQ_E10value_typeET4_jRbjT5_SW_jjP12ihipStream_tbEUlT_E_NS1_11comp_targetILNS1_3genE9ELNS1_11target_archE1100ELNS1_3gpuE3ELNS1_3repE0EEENS1_30default_config_static_selectorELNS0_4arch9wavefront6targetE1EEEvSK_
		.amdhsa_group_segment_fixed_size 0
		.amdhsa_private_segment_fixed_size 0
		.amdhsa_kernarg_size 96
		.amdhsa_user_sgpr_count 6
		.amdhsa_user_sgpr_private_segment_buffer 1
		.amdhsa_user_sgpr_dispatch_ptr 0
		.amdhsa_user_sgpr_queue_ptr 0
		.amdhsa_user_sgpr_kernarg_segment_ptr 1
		.amdhsa_user_sgpr_dispatch_id 0
		.amdhsa_user_sgpr_flat_scratch_init 0
		.amdhsa_user_sgpr_private_segment_size 0
		.amdhsa_uses_dynamic_stack 0
		.amdhsa_system_sgpr_private_segment_wavefront_offset 0
		.amdhsa_system_sgpr_workgroup_id_x 1
		.amdhsa_system_sgpr_workgroup_id_y 0
		.amdhsa_system_sgpr_workgroup_id_z 0
		.amdhsa_system_sgpr_workgroup_info 0
		.amdhsa_system_vgpr_workitem_id 0
		.amdhsa_next_free_vgpr 1
		.amdhsa_next_free_sgpr 0
		.amdhsa_reserve_vcc 0
		.amdhsa_reserve_flat_scratch 0
		.amdhsa_float_round_mode_32 0
		.amdhsa_float_round_mode_16_64 0
		.amdhsa_float_denorm_mode_32 3
		.amdhsa_float_denorm_mode_16_64 3
		.amdhsa_dx10_clamp 1
		.amdhsa_ieee_mode 1
		.amdhsa_fp16_overflow 0
		.amdhsa_exception_fp_ieee_invalid_op 0
		.amdhsa_exception_fp_denorm_src 0
		.amdhsa_exception_fp_ieee_div_zero 0
		.amdhsa_exception_fp_ieee_overflow 0
		.amdhsa_exception_fp_ieee_underflow 0
		.amdhsa_exception_fp_ieee_inexact 0
		.amdhsa_exception_int_div_zero 0
	.end_amdhsa_kernel
	.section	.text._ZN7rocprim17ROCPRIM_400000_NS6detail17trampoline_kernelINS0_14default_configENS1_36segmented_radix_sort_config_selectorIalEEZNS1_25segmented_radix_sort_implIS3_Lb0EPKaPaPKlPlN2at6native12_GLOBAL__N_18offset_tEEE10hipError_tPvRmT1_PNSt15iterator_traitsISK_E10value_typeET2_T3_PNSL_ISQ_E10value_typeET4_jRbjT5_SW_jjP12ihipStream_tbEUlT_E_NS1_11comp_targetILNS1_3genE9ELNS1_11target_archE1100ELNS1_3gpuE3ELNS1_3repE0EEENS1_30default_config_static_selectorELNS0_4arch9wavefront6targetE1EEEvSK_,"axG",@progbits,_ZN7rocprim17ROCPRIM_400000_NS6detail17trampoline_kernelINS0_14default_configENS1_36segmented_radix_sort_config_selectorIalEEZNS1_25segmented_radix_sort_implIS3_Lb0EPKaPaPKlPlN2at6native12_GLOBAL__N_18offset_tEEE10hipError_tPvRmT1_PNSt15iterator_traitsISK_E10value_typeET2_T3_PNSL_ISQ_E10value_typeET4_jRbjT5_SW_jjP12ihipStream_tbEUlT_E_NS1_11comp_targetILNS1_3genE9ELNS1_11target_archE1100ELNS1_3gpuE3ELNS1_3repE0EEENS1_30default_config_static_selectorELNS0_4arch9wavefront6targetE1EEEvSK_,comdat
.Lfunc_end401:
	.size	_ZN7rocprim17ROCPRIM_400000_NS6detail17trampoline_kernelINS0_14default_configENS1_36segmented_radix_sort_config_selectorIalEEZNS1_25segmented_radix_sort_implIS3_Lb0EPKaPaPKlPlN2at6native12_GLOBAL__N_18offset_tEEE10hipError_tPvRmT1_PNSt15iterator_traitsISK_E10value_typeET2_T3_PNSL_ISQ_E10value_typeET4_jRbjT5_SW_jjP12ihipStream_tbEUlT_E_NS1_11comp_targetILNS1_3genE9ELNS1_11target_archE1100ELNS1_3gpuE3ELNS1_3repE0EEENS1_30default_config_static_selectorELNS0_4arch9wavefront6targetE1EEEvSK_, .Lfunc_end401-_ZN7rocprim17ROCPRIM_400000_NS6detail17trampoline_kernelINS0_14default_configENS1_36segmented_radix_sort_config_selectorIalEEZNS1_25segmented_radix_sort_implIS3_Lb0EPKaPaPKlPlN2at6native12_GLOBAL__N_18offset_tEEE10hipError_tPvRmT1_PNSt15iterator_traitsISK_E10value_typeET2_T3_PNSL_ISQ_E10value_typeET4_jRbjT5_SW_jjP12ihipStream_tbEUlT_E_NS1_11comp_targetILNS1_3genE9ELNS1_11target_archE1100ELNS1_3gpuE3ELNS1_3repE0EEENS1_30default_config_static_selectorELNS0_4arch9wavefront6targetE1EEEvSK_
                                        ; -- End function
	.set _ZN7rocprim17ROCPRIM_400000_NS6detail17trampoline_kernelINS0_14default_configENS1_36segmented_radix_sort_config_selectorIalEEZNS1_25segmented_radix_sort_implIS3_Lb0EPKaPaPKlPlN2at6native12_GLOBAL__N_18offset_tEEE10hipError_tPvRmT1_PNSt15iterator_traitsISK_E10value_typeET2_T3_PNSL_ISQ_E10value_typeET4_jRbjT5_SW_jjP12ihipStream_tbEUlT_E_NS1_11comp_targetILNS1_3genE9ELNS1_11target_archE1100ELNS1_3gpuE3ELNS1_3repE0EEENS1_30default_config_static_selectorELNS0_4arch9wavefront6targetE1EEEvSK_.num_vgpr, 0
	.set _ZN7rocprim17ROCPRIM_400000_NS6detail17trampoline_kernelINS0_14default_configENS1_36segmented_radix_sort_config_selectorIalEEZNS1_25segmented_radix_sort_implIS3_Lb0EPKaPaPKlPlN2at6native12_GLOBAL__N_18offset_tEEE10hipError_tPvRmT1_PNSt15iterator_traitsISK_E10value_typeET2_T3_PNSL_ISQ_E10value_typeET4_jRbjT5_SW_jjP12ihipStream_tbEUlT_E_NS1_11comp_targetILNS1_3genE9ELNS1_11target_archE1100ELNS1_3gpuE3ELNS1_3repE0EEENS1_30default_config_static_selectorELNS0_4arch9wavefront6targetE1EEEvSK_.num_agpr, 0
	.set _ZN7rocprim17ROCPRIM_400000_NS6detail17trampoline_kernelINS0_14default_configENS1_36segmented_radix_sort_config_selectorIalEEZNS1_25segmented_radix_sort_implIS3_Lb0EPKaPaPKlPlN2at6native12_GLOBAL__N_18offset_tEEE10hipError_tPvRmT1_PNSt15iterator_traitsISK_E10value_typeET2_T3_PNSL_ISQ_E10value_typeET4_jRbjT5_SW_jjP12ihipStream_tbEUlT_E_NS1_11comp_targetILNS1_3genE9ELNS1_11target_archE1100ELNS1_3gpuE3ELNS1_3repE0EEENS1_30default_config_static_selectorELNS0_4arch9wavefront6targetE1EEEvSK_.numbered_sgpr, 0
	.set _ZN7rocprim17ROCPRIM_400000_NS6detail17trampoline_kernelINS0_14default_configENS1_36segmented_radix_sort_config_selectorIalEEZNS1_25segmented_radix_sort_implIS3_Lb0EPKaPaPKlPlN2at6native12_GLOBAL__N_18offset_tEEE10hipError_tPvRmT1_PNSt15iterator_traitsISK_E10value_typeET2_T3_PNSL_ISQ_E10value_typeET4_jRbjT5_SW_jjP12ihipStream_tbEUlT_E_NS1_11comp_targetILNS1_3genE9ELNS1_11target_archE1100ELNS1_3gpuE3ELNS1_3repE0EEENS1_30default_config_static_selectorELNS0_4arch9wavefront6targetE1EEEvSK_.num_named_barrier, 0
	.set _ZN7rocprim17ROCPRIM_400000_NS6detail17trampoline_kernelINS0_14default_configENS1_36segmented_radix_sort_config_selectorIalEEZNS1_25segmented_radix_sort_implIS3_Lb0EPKaPaPKlPlN2at6native12_GLOBAL__N_18offset_tEEE10hipError_tPvRmT1_PNSt15iterator_traitsISK_E10value_typeET2_T3_PNSL_ISQ_E10value_typeET4_jRbjT5_SW_jjP12ihipStream_tbEUlT_E_NS1_11comp_targetILNS1_3genE9ELNS1_11target_archE1100ELNS1_3gpuE3ELNS1_3repE0EEENS1_30default_config_static_selectorELNS0_4arch9wavefront6targetE1EEEvSK_.private_seg_size, 0
	.set _ZN7rocprim17ROCPRIM_400000_NS6detail17trampoline_kernelINS0_14default_configENS1_36segmented_radix_sort_config_selectorIalEEZNS1_25segmented_radix_sort_implIS3_Lb0EPKaPaPKlPlN2at6native12_GLOBAL__N_18offset_tEEE10hipError_tPvRmT1_PNSt15iterator_traitsISK_E10value_typeET2_T3_PNSL_ISQ_E10value_typeET4_jRbjT5_SW_jjP12ihipStream_tbEUlT_E_NS1_11comp_targetILNS1_3genE9ELNS1_11target_archE1100ELNS1_3gpuE3ELNS1_3repE0EEENS1_30default_config_static_selectorELNS0_4arch9wavefront6targetE1EEEvSK_.uses_vcc, 0
	.set _ZN7rocprim17ROCPRIM_400000_NS6detail17trampoline_kernelINS0_14default_configENS1_36segmented_radix_sort_config_selectorIalEEZNS1_25segmented_radix_sort_implIS3_Lb0EPKaPaPKlPlN2at6native12_GLOBAL__N_18offset_tEEE10hipError_tPvRmT1_PNSt15iterator_traitsISK_E10value_typeET2_T3_PNSL_ISQ_E10value_typeET4_jRbjT5_SW_jjP12ihipStream_tbEUlT_E_NS1_11comp_targetILNS1_3genE9ELNS1_11target_archE1100ELNS1_3gpuE3ELNS1_3repE0EEENS1_30default_config_static_selectorELNS0_4arch9wavefront6targetE1EEEvSK_.uses_flat_scratch, 0
	.set _ZN7rocprim17ROCPRIM_400000_NS6detail17trampoline_kernelINS0_14default_configENS1_36segmented_radix_sort_config_selectorIalEEZNS1_25segmented_radix_sort_implIS3_Lb0EPKaPaPKlPlN2at6native12_GLOBAL__N_18offset_tEEE10hipError_tPvRmT1_PNSt15iterator_traitsISK_E10value_typeET2_T3_PNSL_ISQ_E10value_typeET4_jRbjT5_SW_jjP12ihipStream_tbEUlT_E_NS1_11comp_targetILNS1_3genE9ELNS1_11target_archE1100ELNS1_3gpuE3ELNS1_3repE0EEENS1_30default_config_static_selectorELNS0_4arch9wavefront6targetE1EEEvSK_.has_dyn_sized_stack, 0
	.set _ZN7rocprim17ROCPRIM_400000_NS6detail17trampoline_kernelINS0_14default_configENS1_36segmented_radix_sort_config_selectorIalEEZNS1_25segmented_radix_sort_implIS3_Lb0EPKaPaPKlPlN2at6native12_GLOBAL__N_18offset_tEEE10hipError_tPvRmT1_PNSt15iterator_traitsISK_E10value_typeET2_T3_PNSL_ISQ_E10value_typeET4_jRbjT5_SW_jjP12ihipStream_tbEUlT_E_NS1_11comp_targetILNS1_3genE9ELNS1_11target_archE1100ELNS1_3gpuE3ELNS1_3repE0EEENS1_30default_config_static_selectorELNS0_4arch9wavefront6targetE1EEEvSK_.has_recursion, 0
	.set _ZN7rocprim17ROCPRIM_400000_NS6detail17trampoline_kernelINS0_14default_configENS1_36segmented_radix_sort_config_selectorIalEEZNS1_25segmented_radix_sort_implIS3_Lb0EPKaPaPKlPlN2at6native12_GLOBAL__N_18offset_tEEE10hipError_tPvRmT1_PNSt15iterator_traitsISK_E10value_typeET2_T3_PNSL_ISQ_E10value_typeET4_jRbjT5_SW_jjP12ihipStream_tbEUlT_E_NS1_11comp_targetILNS1_3genE9ELNS1_11target_archE1100ELNS1_3gpuE3ELNS1_3repE0EEENS1_30default_config_static_selectorELNS0_4arch9wavefront6targetE1EEEvSK_.has_indirect_call, 0
	.section	.AMDGPU.csdata,"",@progbits
; Kernel info:
; codeLenInByte = 0
; TotalNumSgprs: 4
; NumVgprs: 0
; ScratchSize: 0
; MemoryBound: 0
; FloatMode: 240
; IeeeMode: 1
; LDSByteSize: 0 bytes/workgroup (compile time only)
; SGPRBlocks: 0
; VGPRBlocks: 0
; NumSGPRsForWavesPerEU: 4
; NumVGPRsForWavesPerEU: 1
; Occupancy: 10
; WaveLimiterHint : 0
; COMPUTE_PGM_RSRC2:SCRATCH_EN: 0
; COMPUTE_PGM_RSRC2:USER_SGPR: 6
; COMPUTE_PGM_RSRC2:TRAP_HANDLER: 0
; COMPUTE_PGM_RSRC2:TGID_X_EN: 1
; COMPUTE_PGM_RSRC2:TGID_Y_EN: 0
; COMPUTE_PGM_RSRC2:TGID_Z_EN: 0
; COMPUTE_PGM_RSRC2:TIDIG_COMP_CNT: 0
	.section	.text._ZN7rocprim17ROCPRIM_400000_NS6detail17trampoline_kernelINS0_14default_configENS1_36segmented_radix_sort_config_selectorIalEEZNS1_25segmented_radix_sort_implIS3_Lb0EPKaPaPKlPlN2at6native12_GLOBAL__N_18offset_tEEE10hipError_tPvRmT1_PNSt15iterator_traitsISK_E10value_typeET2_T3_PNSL_ISQ_E10value_typeET4_jRbjT5_SW_jjP12ihipStream_tbEUlT_E_NS1_11comp_targetILNS1_3genE8ELNS1_11target_archE1030ELNS1_3gpuE2ELNS1_3repE0EEENS1_30default_config_static_selectorELNS0_4arch9wavefront6targetE1EEEvSK_,"axG",@progbits,_ZN7rocprim17ROCPRIM_400000_NS6detail17trampoline_kernelINS0_14default_configENS1_36segmented_radix_sort_config_selectorIalEEZNS1_25segmented_radix_sort_implIS3_Lb0EPKaPaPKlPlN2at6native12_GLOBAL__N_18offset_tEEE10hipError_tPvRmT1_PNSt15iterator_traitsISK_E10value_typeET2_T3_PNSL_ISQ_E10value_typeET4_jRbjT5_SW_jjP12ihipStream_tbEUlT_E_NS1_11comp_targetILNS1_3genE8ELNS1_11target_archE1030ELNS1_3gpuE2ELNS1_3repE0EEENS1_30default_config_static_selectorELNS0_4arch9wavefront6targetE1EEEvSK_,comdat
	.globl	_ZN7rocprim17ROCPRIM_400000_NS6detail17trampoline_kernelINS0_14default_configENS1_36segmented_radix_sort_config_selectorIalEEZNS1_25segmented_radix_sort_implIS3_Lb0EPKaPaPKlPlN2at6native12_GLOBAL__N_18offset_tEEE10hipError_tPvRmT1_PNSt15iterator_traitsISK_E10value_typeET2_T3_PNSL_ISQ_E10value_typeET4_jRbjT5_SW_jjP12ihipStream_tbEUlT_E_NS1_11comp_targetILNS1_3genE8ELNS1_11target_archE1030ELNS1_3gpuE2ELNS1_3repE0EEENS1_30default_config_static_selectorELNS0_4arch9wavefront6targetE1EEEvSK_ ; -- Begin function _ZN7rocprim17ROCPRIM_400000_NS6detail17trampoline_kernelINS0_14default_configENS1_36segmented_radix_sort_config_selectorIalEEZNS1_25segmented_radix_sort_implIS3_Lb0EPKaPaPKlPlN2at6native12_GLOBAL__N_18offset_tEEE10hipError_tPvRmT1_PNSt15iterator_traitsISK_E10value_typeET2_T3_PNSL_ISQ_E10value_typeET4_jRbjT5_SW_jjP12ihipStream_tbEUlT_E_NS1_11comp_targetILNS1_3genE8ELNS1_11target_archE1030ELNS1_3gpuE2ELNS1_3repE0EEENS1_30default_config_static_selectorELNS0_4arch9wavefront6targetE1EEEvSK_
	.p2align	8
	.type	_ZN7rocprim17ROCPRIM_400000_NS6detail17trampoline_kernelINS0_14default_configENS1_36segmented_radix_sort_config_selectorIalEEZNS1_25segmented_radix_sort_implIS3_Lb0EPKaPaPKlPlN2at6native12_GLOBAL__N_18offset_tEEE10hipError_tPvRmT1_PNSt15iterator_traitsISK_E10value_typeET2_T3_PNSL_ISQ_E10value_typeET4_jRbjT5_SW_jjP12ihipStream_tbEUlT_E_NS1_11comp_targetILNS1_3genE8ELNS1_11target_archE1030ELNS1_3gpuE2ELNS1_3repE0EEENS1_30default_config_static_selectorELNS0_4arch9wavefront6targetE1EEEvSK_,@function
_ZN7rocprim17ROCPRIM_400000_NS6detail17trampoline_kernelINS0_14default_configENS1_36segmented_radix_sort_config_selectorIalEEZNS1_25segmented_radix_sort_implIS3_Lb0EPKaPaPKlPlN2at6native12_GLOBAL__N_18offset_tEEE10hipError_tPvRmT1_PNSt15iterator_traitsISK_E10value_typeET2_T3_PNSL_ISQ_E10value_typeET4_jRbjT5_SW_jjP12ihipStream_tbEUlT_E_NS1_11comp_targetILNS1_3genE8ELNS1_11target_archE1030ELNS1_3gpuE2ELNS1_3repE0EEENS1_30default_config_static_selectorELNS0_4arch9wavefront6targetE1EEEvSK_: ; @_ZN7rocprim17ROCPRIM_400000_NS6detail17trampoline_kernelINS0_14default_configENS1_36segmented_radix_sort_config_selectorIalEEZNS1_25segmented_radix_sort_implIS3_Lb0EPKaPaPKlPlN2at6native12_GLOBAL__N_18offset_tEEE10hipError_tPvRmT1_PNSt15iterator_traitsISK_E10value_typeET2_T3_PNSL_ISQ_E10value_typeET4_jRbjT5_SW_jjP12ihipStream_tbEUlT_E_NS1_11comp_targetILNS1_3genE8ELNS1_11target_archE1030ELNS1_3gpuE2ELNS1_3repE0EEENS1_30default_config_static_selectorELNS0_4arch9wavefront6targetE1EEEvSK_
; %bb.0:
	.section	.rodata,"a",@progbits
	.p2align	6, 0x0
	.amdhsa_kernel _ZN7rocprim17ROCPRIM_400000_NS6detail17trampoline_kernelINS0_14default_configENS1_36segmented_radix_sort_config_selectorIalEEZNS1_25segmented_radix_sort_implIS3_Lb0EPKaPaPKlPlN2at6native12_GLOBAL__N_18offset_tEEE10hipError_tPvRmT1_PNSt15iterator_traitsISK_E10value_typeET2_T3_PNSL_ISQ_E10value_typeET4_jRbjT5_SW_jjP12ihipStream_tbEUlT_E_NS1_11comp_targetILNS1_3genE8ELNS1_11target_archE1030ELNS1_3gpuE2ELNS1_3repE0EEENS1_30default_config_static_selectorELNS0_4arch9wavefront6targetE1EEEvSK_
		.amdhsa_group_segment_fixed_size 0
		.amdhsa_private_segment_fixed_size 0
		.amdhsa_kernarg_size 96
		.amdhsa_user_sgpr_count 6
		.amdhsa_user_sgpr_private_segment_buffer 1
		.amdhsa_user_sgpr_dispatch_ptr 0
		.amdhsa_user_sgpr_queue_ptr 0
		.amdhsa_user_sgpr_kernarg_segment_ptr 1
		.amdhsa_user_sgpr_dispatch_id 0
		.amdhsa_user_sgpr_flat_scratch_init 0
		.amdhsa_user_sgpr_private_segment_size 0
		.amdhsa_uses_dynamic_stack 0
		.amdhsa_system_sgpr_private_segment_wavefront_offset 0
		.amdhsa_system_sgpr_workgroup_id_x 1
		.amdhsa_system_sgpr_workgroup_id_y 0
		.amdhsa_system_sgpr_workgroup_id_z 0
		.amdhsa_system_sgpr_workgroup_info 0
		.amdhsa_system_vgpr_workitem_id 0
		.amdhsa_next_free_vgpr 1
		.amdhsa_next_free_sgpr 0
		.amdhsa_reserve_vcc 0
		.amdhsa_reserve_flat_scratch 0
		.amdhsa_float_round_mode_32 0
		.amdhsa_float_round_mode_16_64 0
		.amdhsa_float_denorm_mode_32 3
		.amdhsa_float_denorm_mode_16_64 3
		.amdhsa_dx10_clamp 1
		.amdhsa_ieee_mode 1
		.amdhsa_fp16_overflow 0
		.amdhsa_exception_fp_ieee_invalid_op 0
		.amdhsa_exception_fp_denorm_src 0
		.amdhsa_exception_fp_ieee_div_zero 0
		.amdhsa_exception_fp_ieee_overflow 0
		.amdhsa_exception_fp_ieee_underflow 0
		.amdhsa_exception_fp_ieee_inexact 0
		.amdhsa_exception_int_div_zero 0
	.end_amdhsa_kernel
	.section	.text._ZN7rocprim17ROCPRIM_400000_NS6detail17trampoline_kernelINS0_14default_configENS1_36segmented_radix_sort_config_selectorIalEEZNS1_25segmented_radix_sort_implIS3_Lb0EPKaPaPKlPlN2at6native12_GLOBAL__N_18offset_tEEE10hipError_tPvRmT1_PNSt15iterator_traitsISK_E10value_typeET2_T3_PNSL_ISQ_E10value_typeET4_jRbjT5_SW_jjP12ihipStream_tbEUlT_E_NS1_11comp_targetILNS1_3genE8ELNS1_11target_archE1030ELNS1_3gpuE2ELNS1_3repE0EEENS1_30default_config_static_selectorELNS0_4arch9wavefront6targetE1EEEvSK_,"axG",@progbits,_ZN7rocprim17ROCPRIM_400000_NS6detail17trampoline_kernelINS0_14default_configENS1_36segmented_radix_sort_config_selectorIalEEZNS1_25segmented_radix_sort_implIS3_Lb0EPKaPaPKlPlN2at6native12_GLOBAL__N_18offset_tEEE10hipError_tPvRmT1_PNSt15iterator_traitsISK_E10value_typeET2_T3_PNSL_ISQ_E10value_typeET4_jRbjT5_SW_jjP12ihipStream_tbEUlT_E_NS1_11comp_targetILNS1_3genE8ELNS1_11target_archE1030ELNS1_3gpuE2ELNS1_3repE0EEENS1_30default_config_static_selectorELNS0_4arch9wavefront6targetE1EEEvSK_,comdat
.Lfunc_end402:
	.size	_ZN7rocprim17ROCPRIM_400000_NS6detail17trampoline_kernelINS0_14default_configENS1_36segmented_radix_sort_config_selectorIalEEZNS1_25segmented_radix_sort_implIS3_Lb0EPKaPaPKlPlN2at6native12_GLOBAL__N_18offset_tEEE10hipError_tPvRmT1_PNSt15iterator_traitsISK_E10value_typeET2_T3_PNSL_ISQ_E10value_typeET4_jRbjT5_SW_jjP12ihipStream_tbEUlT_E_NS1_11comp_targetILNS1_3genE8ELNS1_11target_archE1030ELNS1_3gpuE2ELNS1_3repE0EEENS1_30default_config_static_selectorELNS0_4arch9wavefront6targetE1EEEvSK_, .Lfunc_end402-_ZN7rocprim17ROCPRIM_400000_NS6detail17trampoline_kernelINS0_14default_configENS1_36segmented_radix_sort_config_selectorIalEEZNS1_25segmented_radix_sort_implIS3_Lb0EPKaPaPKlPlN2at6native12_GLOBAL__N_18offset_tEEE10hipError_tPvRmT1_PNSt15iterator_traitsISK_E10value_typeET2_T3_PNSL_ISQ_E10value_typeET4_jRbjT5_SW_jjP12ihipStream_tbEUlT_E_NS1_11comp_targetILNS1_3genE8ELNS1_11target_archE1030ELNS1_3gpuE2ELNS1_3repE0EEENS1_30default_config_static_selectorELNS0_4arch9wavefront6targetE1EEEvSK_
                                        ; -- End function
	.set _ZN7rocprim17ROCPRIM_400000_NS6detail17trampoline_kernelINS0_14default_configENS1_36segmented_radix_sort_config_selectorIalEEZNS1_25segmented_radix_sort_implIS3_Lb0EPKaPaPKlPlN2at6native12_GLOBAL__N_18offset_tEEE10hipError_tPvRmT1_PNSt15iterator_traitsISK_E10value_typeET2_T3_PNSL_ISQ_E10value_typeET4_jRbjT5_SW_jjP12ihipStream_tbEUlT_E_NS1_11comp_targetILNS1_3genE8ELNS1_11target_archE1030ELNS1_3gpuE2ELNS1_3repE0EEENS1_30default_config_static_selectorELNS0_4arch9wavefront6targetE1EEEvSK_.num_vgpr, 0
	.set _ZN7rocprim17ROCPRIM_400000_NS6detail17trampoline_kernelINS0_14default_configENS1_36segmented_radix_sort_config_selectorIalEEZNS1_25segmented_radix_sort_implIS3_Lb0EPKaPaPKlPlN2at6native12_GLOBAL__N_18offset_tEEE10hipError_tPvRmT1_PNSt15iterator_traitsISK_E10value_typeET2_T3_PNSL_ISQ_E10value_typeET4_jRbjT5_SW_jjP12ihipStream_tbEUlT_E_NS1_11comp_targetILNS1_3genE8ELNS1_11target_archE1030ELNS1_3gpuE2ELNS1_3repE0EEENS1_30default_config_static_selectorELNS0_4arch9wavefront6targetE1EEEvSK_.num_agpr, 0
	.set _ZN7rocprim17ROCPRIM_400000_NS6detail17trampoline_kernelINS0_14default_configENS1_36segmented_radix_sort_config_selectorIalEEZNS1_25segmented_radix_sort_implIS3_Lb0EPKaPaPKlPlN2at6native12_GLOBAL__N_18offset_tEEE10hipError_tPvRmT1_PNSt15iterator_traitsISK_E10value_typeET2_T3_PNSL_ISQ_E10value_typeET4_jRbjT5_SW_jjP12ihipStream_tbEUlT_E_NS1_11comp_targetILNS1_3genE8ELNS1_11target_archE1030ELNS1_3gpuE2ELNS1_3repE0EEENS1_30default_config_static_selectorELNS0_4arch9wavefront6targetE1EEEvSK_.numbered_sgpr, 0
	.set _ZN7rocprim17ROCPRIM_400000_NS6detail17trampoline_kernelINS0_14default_configENS1_36segmented_radix_sort_config_selectorIalEEZNS1_25segmented_radix_sort_implIS3_Lb0EPKaPaPKlPlN2at6native12_GLOBAL__N_18offset_tEEE10hipError_tPvRmT1_PNSt15iterator_traitsISK_E10value_typeET2_T3_PNSL_ISQ_E10value_typeET4_jRbjT5_SW_jjP12ihipStream_tbEUlT_E_NS1_11comp_targetILNS1_3genE8ELNS1_11target_archE1030ELNS1_3gpuE2ELNS1_3repE0EEENS1_30default_config_static_selectorELNS0_4arch9wavefront6targetE1EEEvSK_.num_named_barrier, 0
	.set _ZN7rocprim17ROCPRIM_400000_NS6detail17trampoline_kernelINS0_14default_configENS1_36segmented_radix_sort_config_selectorIalEEZNS1_25segmented_radix_sort_implIS3_Lb0EPKaPaPKlPlN2at6native12_GLOBAL__N_18offset_tEEE10hipError_tPvRmT1_PNSt15iterator_traitsISK_E10value_typeET2_T3_PNSL_ISQ_E10value_typeET4_jRbjT5_SW_jjP12ihipStream_tbEUlT_E_NS1_11comp_targetILNS1_3genE8ELNS1_11target_archE1030ELNS1_3gpuE2ELNS1_3repE0EEENS1_30default_config_static_selectorELNS0_4arch9wavefront6targetE1EEEvSK_.private_seg_size, 0
	.set _ZN7rocprim17ROCPRIM_400000_NS6detail17trampoline_kernelINS0_14default_configENS1_36segmented_radix_sort_config_selectorIalEEZNS1_25segmented_radix_sort_implIS3_Lb0EPKaPaPKlPlN2at6native12_GLOBAL__N_18offset_tEEE10hipError_tPvRmT1_PNSt15iterator_traitsISK_E10value_typeET2_T3_PNSL_ISQ_E10value_typeET4_jRbjT5_SW_jjP12ihipStream_tbEUlT_E_NS1_11comp_targetILNS1_3genE8ELNS1_11target_archE1030ELNS1_3gpuE2ELNS1_3repE0EEENS1_30default_config_static_selectorELNS0_4arch9wavefront6targetE1EEEvSK_.uses_vcc, 0
	.set _ZN7rocprim17ROCPRIM_400000_NS6detail17trampoline_kernelINS0_14default_configENS1_36segmented_radix_sort_config_selectorIalEEZNS1_25segmented_radix_sort_implIS3_Lb0EPKaPaPKlPlN2at6native12_GLOBAL__N_18offset_tEEE10hipError_tPvRmT1_PNSt15iterator_traitsISK_E10value_typeET2_T3_PNSL_ISQ_E10value_typeET4_jRbjT5_SW_jjP12ihipStream_tbEUlT_E_NS1_11comp_targetILNS1_3genE8ELNS1_11target_archE1030ELNS1_3gpuE2ELNS1_3repE0EEENS1_30default_config_static_selectorELNS0_4arch9wavefront6targetE1EEEvSK_.uses_flat_scratch, 0
	.set _ZN7rocprim17ROCPRIM_400000_NS6detail17trampoline_kernelINS0_14default_configENS1_36segmented_radix_sort_config_selectorIalEEZNS1_25segmented_radix_sort_implIS3_Lb0EPKaPaPKlPlN2at6native12_GLOBAL__N_18offset_tEEE10hipError_tPvRmT1_PNSt15iterator_traitsISK_E10value_typeET2_T3_PNSL_ISQ_E10value_typeET4_jRbjT5_SW_jjP12ihipStream_tbEUlT_E_NS1_11comp_targetILNS1_3genE8ELNS1_11target_archE1030ELNS1_3gpuE2ELNS1_3repE0EEENS1_30default_config_static_selectorELNS0_4arch9wavefront6targetE1EEEvSK_.has_dyn_sized_stack, 0
	.set _ZN7rocprim17ROCPRIM_400000_NS6detail17trampoline_kernelINS0_14default_configENS1_36segmented_radix_sort_config_selectorIalEEZNS1_25segmented_radix_sort_implIS3_Lb0EPKaPaPKlPlN2at6native12_GLOBAL__N_18offset_tEEE10hipError_tPvRmT1_PNSt15iterator_traitsISK_E10value_typeET2_T3_PNSL_ISQ_E10value_typeET4_jRbjT5_SW_jjP12ihipStream_tbEUlT_E_NS1_11comp_targetILNS1_3genE8ELNS1_11target_archE1030ELNS1_3gpuE2ELNS1_3repE0EEENS1_30default_config_static_selectorELNS0_4arch9wavefront6targetE1EEEvSK_.has_recursion, 0
	.set _ZN7rocprim17ROCPRIM_400000_NS6detail17trampoline_kernelINS0_14default_configENS1_36segmented_radix_sort_config_selectorIalEEZNS1_25segmented_radix_sort_implIS3_Lb0EPKaPaPKlPlN2at6native12_GLOBAL__N_18offset_tEEE10hipError_tPvRmT1_PNSt15iterator_traitsISK_E10value_typeET2_T3_PNSL_ISQ_E10value_typeET4_jRbjT5_SW_jjP12ihipStream_tbEUlT_E_NS1_11comp_targetILNS1_3genE8ELNS1_11target_archE1030ELNS1_3gpuE2ELNS1_3repE0EEENS1_30default_config_static_selectorELNS0_4arch9wavefront6targetE1EEEvSK_.has_indirect_call, 0
	.section	.AMDGPU.csdata,"",@progbits
; Kernel info:
; codeLenInByte = 0
; TotalNumSgprs: 4
; NumVgprs: 0
; ScratchSize: 0
; MemoryBound: 0
; FloatMode: 240
; IeeeMode: 1
; LDSByteSize: 0 bytes/workgroup (compile time only)
; SGPRBlocks: 0
; VGPRBlocks: 0
; NumSGPRsForWavesPerEU: 4
; NumVGPRsForWavesPerEU: 1
; Occupancy: 10
; WaveLimiterHint : 0
; COMPUTE_PGM_RSRC2:SCRATCH_EN: 0
; COMPUTE_PGM_RSRC2:USER_SGPR: 6
; COMPUTE_PGM_RSRC2:TRAP_HANDLER: 0
; COMPUTE_PGM_RSRC2:TGID_X_EN: 1
; COMPUTE_PGM_RSRC2:TGID_Y_EN: 0
; COMPUTE_PGM_RSRC2:TGID_Z_EN: 0
; COMPUTE_PGM_RSRC2:TIDIG_COMP_CNT: 0
	.section	.text._ZN7rocprim17ROCPRIM_400000_NS6detail17trampoline_kernelINS0_14default_configENS1_36segmented_radix_sort_config_selectorIalEEZNS1_25segmented_radix_sort_implIS3_Lb0EPKaPaPKlPlN2at6native12_GLOBAL__N_18offset_tEEE10hipError_tPvRmT1_PNSt15iterator_traitsISK_E10value_typeET2_T3_PNSL_ISQ_E10value_typeET4_jRbjT5_SW_jjP12ihipStream_tbEUlT_E0_NS1_11comp_targetILNS1_3genE0ELNS1_11target_archE4294967295ELNS1_3gpuE0ELNS1_3repE0EEENS1_60segmented_radix_sort_warp_sort_medium_config_static_selectorELNS0_4arch9wavefront6targetE1EEEvSK_,"axG",@progbits,_ZN7rocprim17ROCPRIM_400000_NS6detail17trampoline_kernelINS0_14default_configENS1_36segmented_radix_sort_config_selectorIalEEZNS1_25segmented_radix_sort_implIS3_Lb0EPKaPaPKlPlN2at6native12_GLOBAL__N_18offset_tEEE10hipError_tPvRmT1_PNSt15iterator_traitsISK_E10value_typeET2_T3_PNSL_ISQ_E10value_typeET4_jRbjT5_SW_jjP12ihipStream_tbEUlT_E0_NS1_11comp_targetILNS1_3genE0ELNS1_11target_archE4294967295ELNS1_3gpuE0ELNS1_3repE0EEENS1_60segmented_radix_sort_warp_sort_medium_config_static_selectorELNS0_4arch9wavefront6targetE1EEEvSK_,comdat
	.globl	_ZN7rocprim17ROCPRIM_400000_NS6detail17trampoline_kernelINS0_14default_configENS1_36segmented_radix_sort_config_selectorIalEEZNS1_25segmented_radix_sort_implIS3_Lb0EPKaPaPKlPlN2at6native12_GLOBAL__N_18offset_tEEE10hipError_tPvRmT1_PNSt15iterator_traitsISK_E10value_typeET2_T3_PNSL_ISQ_E10value_typeET4_jRbjT5_SW_jjP12ihipStream_tbEUlT_E0_NS1_11comp_targetILNS1_3genE0ELNS1_11target_archE4294967295ELNS1_3gpuE0ELNS1_3repE0EEENS1_60segmented_radix_sort_warp_sort_medium_config_static_selectorELNS0_4arch9wavefront6targetE1EEEvSK_ ; -- Begin function _ZN7rocprim17ROCPRIM_400000_NS6detail17trampoline_kernelINS0_14default_configENS1_36segmented_radix_sort_config_selectorIalEEZNS1_25segmented_radix_sort_implIS3_Lb0EPKaPaPKlPlN2at6native12_GLOBAL__N_18offset_tEEE10hipError_tPvRmT1_PNSt15iterator_traitsISK_E10value_typeET2_T3_PNSL_ISQ_E10value_typeET4_jRbjT5_SW_jjP12ihipStream_tbEUlT_E0_NS1_11comp_targetILNS1_3genE0ELNS1_11target_archE4294967295ELNS1_3gpuE0ELNS1_3repE0EEENS1_60segmented_radix_sort_warp_sort_medium_config_static_selectorELNS0_4arch9wavefront6targetE1EEEvSK_
	.p2align	8
	.type	_ZN7rocprim17ROCPRIM_400000_NS6detail17trampoline_kernelINS0_14default_configENS1_36segmented_radix_sort_config_selectorIalEEZNS1_25segmented_radix_sort_implIS3_Lb0EPKaPaPKlPlN2at6native12_GLOBAL__N_18offset_tEEE10hipError_tPvRmT1_PNSt15iterator_traitsISK_E10value_typeET2_T3_PNSL_ISQ_E10value_typeET4_jRbjT5_SW_jjP12ihipStream_tbEUlT_E0_NS1_11comp_targetILNS1_3genE0ELNS1_11target_archE4294967295ELNS1_3gpuE0ELNS1_3repE0EEENS1_60segmented_radix_sort_warp_sort_medium_config_static_selectorELNS0_4arch9wavefront6targetE1EEEvSK_,@function
_ZN7rocprim17ROCPRIM_400000_NS6detail17trampoline_kernelINS0_14default_configENS1_36segmented_radix_sort_config_selectorIalEEZNS1_25segmented_radix_sort_implIS3_Lb0EPKaPaPKlPlN2at6native12_GLOBAL__N_18offset_tEEE10hipError_tPvRmT1_PNSt15iterator_traitsISK_E10value_typeET2_T3_PNSL_ISQ_E10value_typeET4_jRbjT5_SW_jjP12ihipStream_tbEUlT_E0_NS1_11comp_targetILNS1_3genE0ELNS1_11target_archE4294967295ELNS1_3gpuE0ELNS1_3repE0EEENS1_60segmented_radix_sort_warp_sort_medium_config_static_selectorELNS0_4arch9wavefront6targetE1EEEvSK_: ; @_ZN7rocprim17ROCPRIM_400000_NS6detail17trampoline_kernelINS0_14default_configENS1_36segmented_radix_sort_config_selectorIalEEZNS1_25segmented_radix_sort_implIS3_Lb0EPKaPaPKlPlN2at6native12_GLOBAL__N_18offset_tEEE10hipError_tPvRmT1_PNSt15iterator_traitsISK_E10value_typeET2_T3_PNSL_ISQ_E10value_typeET4_jRbjT5_SW_jjP12ihipStream_tbEUlT_E0_NS1_11comp_targetILNS1_3genE0ELNS1_11target_archE4294967295ELNS1_3gpuE0ELNS1_3repE0EEENS1_60segmented_radix_sort_warp_sort_medium_config_static_selectorELNS0_4arch9wavefront6targetE1EEEvSK_
; %bb.0:
	.section	.rodata,"a",@progbits
	.p2align	6, 0x0
	.amdhsa_kernel _ZN7rocprim17ROCPRIM_400000_NS6detail17trampoline_kernelINS0_14default_configENS1_36segmented_radix_sort_config_selectorIalEEZNS1_25segmented_radix_sort_implIS3_Lb0EPKaPaPKlPlN2at6native12_GLOBAL__N_18offset_tEEE10hipError_tPvRmT1_PNSt15iterator_traitsISK_E10value_typeET2_T3_PNSL_ISQ_E10value_typeET4_jRbjT5_SW_jjP12ihipStream_tbEUlT_E0_NS1_11comp_targetILNS1_3genE0ELNS1_11target_archE4294967295ELNS1_3gpuE0ELNS1_3repE0EEENS1_60segmented_radix_sort_warp_sort_medium_config_static_selectorELNS0_4arch9wavefront6targetE1EEEvSK_
		.amdhsa_group_segment_fixed_size 0
		.amdhsa_private_segment_fixed_size 0
		.amdhsa_kernarg_size 88
		.amdhsa_user_sgpr_count 6
		.amdhsa_user_sgpr_private_segment_buffer 1
		.amdhsa_user_sgpr_dispatch_ptr 0
		.amdhsa_user_sgpr_queue_ptr 0
		.amdhsa_user_sgpr_kernarg_segment_ptr 1
		.amdhsa_user_sgpr_dispatch_id 0
		.amdhsa_user_sgpr_flat_scratch_init 0
		.amdhsa_user_sgpr_private_segment_size 0
		.amdhsa_uses_dynamic_stack 0
		.amdhsa_system_sgpr_private_segment_wavefront_offset 0
		.amdhsa_system_sgpr_workgroup_id_x 1
		.amdhsa_system_sgpr_workgroup_id_y 0
		.amdhsa_system_sgpr_workgroup_id_z 0
		.amdhsa_system_sgpr_workgroup_info 0
		.amdhsa_system_vgpr_workitem_id 0
		.amdhsa_next_free_vgpr 1
		.amdhsa_next_free_sgpr 0
		.amdhsa_reserve_vcc 0
		.amdhsa_reserve_flat_scratch 0
		.amdhsa_float_round_mode_32 0
		.amdhsa_float_round_mode_16_64 0
		.amdhsa_float_denorm_mode_32 3
		.amdhsa_float_denorm_mode_16_64 3
		.amdhsa_dx10_clamp 1
		.amdhsa_ieee_mode 1
		.amdhsa_fp16_overflow 0
		.amdhsa_exception_fp_ieee_invalid_op 0
		.amdhsa_exception_fp_denorm_src 0
		.amdhsa_exception_fp_ieee_div_zero 0
		.amdhsa_exception_fp_ieee_overflow 0
		.amdhsa_exception_fp_ieee_underflow 0
		.amdhsa_exception_fp_ieee_inexact 0
		.amdhsa_exception_int_div_zero 0
	.end_amdhsa_kernel
	.section	.text._ZN7rocprim17ROCPRIM_400000_NS6detail17trampoline_kernelINS0_14default_configENS1_36segmented_radix_sort_config_selectorIalEEZNS1_25segmented_radix_sort_implIS3_Lb0EPKaPaPKlPlN2at6native12_GLOBAL__N_18offset_tEEE10hipError_tPvRmT1_PNSt15iterator_traitsISK_E10value_typeET2_T3_PNSL_ISQ_E10value_typeET4_jRbjT5_SW_jjP12ihipStream_tbEUlT_E0_NS1_11comp_targetILNS1_3genE0ELNS1_11target_archE4294967295ELNS1_3gpuE0ELNS1_3repE0EEENS1_60segmented_radix_sort_warp_sort_medium_config_static_selectorELNS0_4arch9wavefront6targetE1EEEvSK_,"axG",@progbits,_ZN7rocprim17ROCPRIM_400000_NS6detail17trampoline_kernelINS0_14default_configENS1_36segmented_radix_sort_config_selectorIalEEZNS1_25segmented_radix_sort_implIS3_Lb0EPKaPaPKlPlN2at6native12_GLOBAL__N_18offset_tEEE10hipError_tPvRmT1_PNSt15iterator_traitsISK_E10value_typeET2_T3_PNSL_ISQ_E10value_typeET4_jRbjT5_SW_jjP12ihipStream_tbEUlT_E0_NS1_11comp_targetILNS1_3genE0ELNS1_11target_archE4294967295ELNS1_3gpuE0ELNS1_3repE0EEENS1_60segmented_radix_sort_warp_sort_medium_config_static_selectorELNS0_4arch9wavefront6targetE1EEEvSK_,comdat
.Lfunc_end403:
	.size	_ZN7rocprim17ROCPRIM_400000_NS6detail17trampoline_kernelINS0_14default_configENS1_36segmented_radix_sort_config_selectorIalEEZNS1_25segmented_radix_sort_implIS3_Lb0EPKaPaPKlPlN2at6native12_GLOBAL__N_18offset_tEEE10hipError_tPvRmT1_PNSt15iterator_traitsISK_E10value_typeET2_T3_PNSL_ISQ_E10value_typeET4_jRbjT5_SW_jjP12ihipStream_tbEUlT_E0_NS1_11comp_targetILNS1_3genE0ELNS1_11target_archE4294967295ELNS1_3gpuE0ELNS1_3repE0EEENS1_60segmented_radix_sort_warp_sort_medium_config_static_selectorELNS0_4arch9wavefront6targetE1EEEvSK_, .Lfunc_end403-_ZN7rocprim17ROCPRIM_400000_NS6detail17trampoline_kernelINS0_14default_configENS1_36segmented_radix_sort_config_selectorIalEEZNS1_25segmented_radix_sort_implIS3_Lb0EPKaPaPKlPlN2at6native12_GLOBAL__N_18offset_tEEE10hipError_tPvRmT1_PNSt15iterator_traitsISK_E10value_typeET2_T3_PNSL_ISQ_E10value_typeET4_jRbjT5_SW_jjP12ihipStream_tbEUlT_E0_NS1_11comp_targetILNS1_3genE0ELNS1_11target_archE4294967295ELNS1_3gpuE0ELNS1_3repE0EEENS1_60segmented_radix_sort_warp_sort_medium_config_static_selectorELNS0_4arch9wavefront6targetE1EEEvSK_
                                        ; -- End function
	.set _ZN7rocprim17ROCPRIM_400000_NS6detail17trampoline_kernelINS0_14default_configENS1_36segmented_radix_sort_config_selectorIalEEZNS1_25segmented_radix_sort_implIS3_Lb0EPKaPaPKlPlN2at6native12_GLOBAL__N_18offset_tEEE10hipError_tPvRmT1_PNSt15iterator_traitsISK_E10value_typeET2_T3_PNSL_ISQ_E10value_typeET4_jRbjT5_SW_jjP12ihipStream_tbEUlT_E0_NS1_11comp_targetILNS1_3genE0ELNS1_11target_archE4294967295ELNS1_3gpuE0ELNS1_3repE0EEENS1_60segmented_radix_sort_warp_sort_medium_config_static_selectorELNS0_4arch9wavefront6targetE1EEEvSK_.num_vgpr, 0
	.set _ZN7rocprim17ROCPRIM_400000_NS6detail17trampoline_kernelINS0_14default_configENS1_36segmented_radix_sort_config_selectorIalEEZNS1_25segmented_radix_sort_implIS3_Lb0EPKaPaPKlPlN2at6native12_GLOBAL__N_18offset_tEEE10hipError_tPvRmT1_PNSt15iterator_traitsISK_E10value_typeET2_T3_PNSL_ISQ_E10value_typeET4_jRbjT5_SW_jjP12ihipStream_tbEUlT_E0_NS1_11comp_targetILNS1_3genE0ELNS1_11target_archE4294967295ELNS1_3gpuE0ELNS1_3repE0EEENS1_60segmented_radix_sort_warp_sort_medium_config_static_selectorELNS0_4arch9wavefront6targetE1EEEvSK_.num_agpr, 0
	.set _ZN7rocprim17ROCPRIM_400000_NS6detail17trampoline_kernelINS0_14default_configENS1_36segmented_radix_sort_config_selectorIalEEZNS1_25segmented_radix_sort_implIS3_Lb0EPKaPaPKlPlN2at6native12_GLOBAL__N_18offset_tEEE10hipError_tPvRmT1_PNSt15iterator_traitsISK_E10value_typeET2_T3_PNSL_ISQ_E10value_typeET4_jRbjT5_SW_jjP12ihipStream_tbEUlT_E0_NS1_11comp_targetILNS1_3genE0ELNS1_11target_archE4294967295ELNS1_3gpuE0ELNS1_3repE0EEENS1_60segmented_radix_sort_warp_sort_medium_config_static_selectorELNS0_4arch9wavefront6targetE1EEEvSK_.numbered_sgpr, 0
	.set _ZN7rocprim17ROCPRIM_400000_NS6detail17trampoline_kernelINS0_14default_configENS1_36segmented_radix_sort_config_selectorIalEEZNS1_25segmented_radix_sort_implIS3_Lb0EPKaPaPKlPlN2at6native12_GLOBAL__N_18offset_tEEE10hipError_tPvRmT1_PNSt15iterator_traitsISK_E10value_typeET2_T3_PNSL_ISQ_E10value_typeET4_jRbjT5_SW_jjP12ihipStream_tbEUlT_E0_NS1_11comp_targetILNS1_3genE0ELNS1_11target_archE4294967295ELNS1_3gpuE0ELNS1_3repE0EEENS1_60segmented_radix_sort_warp_sort_medium_config_static_selectorELNS0_4arch9wavefront6targetE1EEEvSK_.num_named_barrier, 0
	.set _ZN7rocprim17ROCPRIM_400000_NS6detail17trampoline_kernelINS0_14default_configENS1_36segmented_radix_sort_config_selectorIalEEZNS1_25segmented_radix_sort_implIS3_Lb0EPKaPaPKlPlN2at6native12_GLOBAL__N_18offset_tEEE10hipError_tPvRmT1_PNSt15iterator_traitsISK_E10value_typeET2_T3_PNSL_ISQ_E10value_typeET4_jRbjT5_SW_jjP12ihipStream_tbEUlT_E0_NS1_11comp_targetILNS1_3genE0ELNS1_11target_archE4294967295ELNS1_3gpuE0ELNS1_3repE0EEENS1_60segmented_radix_sort_warp_sort_medium_config_static_selectorELNS0_4arch9wavefront6targetE1EEEvSK_.private_seg_size, 0
	.set _ZN7rocprim17ROCPRIM_400000_NS6detail17trampoline_kernelINS0_14default_configENS1_36segmented_radix_sort_config_selectorIalEEZNS1_25segmented_radix_sort_implIS3_Lb0EPKaPaPKlPlN2at6native12_GLOBAL__N_18offset_tEEE10hipError_tPvRmT1_PNSt15iterator_traitsISK_E10value_typeET2_T3_PNSL_ISQ_E10value_typeET4_jRbjT5_SW_jjP12ihipStream_tbEUlT_E0_NS1_11comp_targetILNS1_3genE0ELNS1_11target_archE4294967295ELNS1_3gpuE0ELNS1_3repE0EEENS1_60segmented_radix_sort_warp_sort_medium_config_static_selectorELNS0_4arch9wavefront6targetE1EEEvSK_.uses_vcc, 0
	.set _ZN7rocprim17ROCPRIM_400000_NS6detail17trampoline_kernelINS0_14default_configENS1_36segmented_radix_sort_config_selectorIalEEZNS1_25segmented_radix_sort_implIS3_Lb0EPKaPaPKlPlN2at6native12_GLOBAL__N_18offset_tEEE10hipError_tPvRmT1_PNSt15iterator_traitsISK_E10value_typeET2_T3_PNSL_ISQ_E10value_typeET4_jRbjT5_SW_jjP12ihipStream_tbEUlT_E0_NS1_11comp_targetILNS1_3genE0ELNS1_11target_archE4294967295ELNS1_3gpuE0ELNS1_3repE0EEENS1_60segmented_radix_sort_warp_sort_medium_config_static_selectorELNS0_4arch9wavefront6targetE1EEEvSK_.uses_flat_scratch, 0
	.set _ZN7rocprim17ROCPRIM_400000_NS6detail17trampoline_kernelINS0_14default_configENS1_36segmented_radix_sort_config_selectorIalEEZNS1_25segmented_radix_sort_implIS3_Lb0EPKaPaPKlPlN2at6native12_GLOBAL__N_18offset_tEEE10hipError_tPvRmT1_PNSt15iterator_traitsISK_E10value_typeET2_T3_PNSL_ISQ_E10value_typeET4_jRbjT5_SW_jjP12ihipStream_tbEUlT_E0_NS1_11comp_targetILNS1_3genE0ELNS1_11target_archE4294967295ELNS1_3gpuE0ELNS1_3repE0EEENS1_60segmented_radix_sort_warp_sort_medium_config_static_selectorELNS0_4arch9wavefront6targetE1EEEvSK_.has_dyn_sized_stack, 0
	.set _ZN7rocprim17ROCPRIM_400000_NS6detail17trampoline_kernelINS0_14default_configENS1_36segmented_radix_sort_config_selectorIalEEZNS1_25segmented_radix_sort_implIS3_Lb0EPKaPaPKlPlN2at6native12_GLOBAL__N_18offset_tEEE10hipError_tPvRmT1_PNSt15iterator_traitsISK_E10value_typeET2_T3_PNSL_ISQ_E10value_typeET4_jRbjT5_SW_jjP12ihipStream_tbEUlT_E0_NS1_11comp_targetILNS1_3genE0ELNS1_11target_archE4294967295ELNS1_3gpuE0ELNS1_3repE0EEENS1_60segmented_radix_sort_warp_sort_medium_config_static_selectorELNS0_4arch9wavefront6targetE1EEEvSK_.has_recursion, 0
	.set _ZN7rocprim17ROCPRIM_400000_NS6detail17trampoline_kernelINS0_14default_configENS1_36segmented_radix_sort_config_selectorIalEEZNS1_25segmented_radix_sort_implIS3_Lb0EPKaPaPKlPlN2at6native12_GLOBAL__N_18offset_tEEE10hipError_tPvRmT1_PNSt15iterator_traitsISK_E10value_typeET2_T3_PNSL_ISQ_E10value_typeET4_jRbjT5_SW_jjP12ihipStream_tbEUlT_E0_NS1_11comp_targetILNS1_3genE0ELNS1_11target_archE4294967295ELNS1_3gpuE0ELNS1_3repE0EEENS1_60segmented_radix_sort_warp_sort_medium_config_static_selectorELNS0_4arch9wavefront6targetE1EEEvSK_.has_indirect_call, 0
	.section	.AMDGPU.csdata,"",@progbits
; Kernel info:
; codeLenInByte = 0
; TotalNumSgprs: 4
; NumVgprs: 0
; ScratchSize: 0
; MemoryBound: 0
; FloatMode: 240
; IeeeMode: 1
; LDSByteSize: 0 bytes/workgroup (compile time only)
; SGPRBlocks: 0
; VGPRBlocks: 0
; NumSGPRsForWavesPerEU: 4
; NumVGPRsForWavesPerEU: 1
; Occupancy: 10
; WaveLimiterHint : 0
; COMPUTE_PGM_RSRC2:SCRATCH_EN: 0
; COMPUTE_PGM_RSRC2:USER_SGPR: 6
; COMPUTE_PGM_RSRC2:TRAP_HANDLER: 0
; COMPUTE_PGM_RSRC2:TGID_X_EN: 1
; COMPUTE_PGM_RSRC2:TGID_Y_EN: 0
; COMPUTE_PGM_RSRC2:TGID_Z_EN: 0
; COMPUTE_PGM_RSRC2:TIDIG_COMP_CNT: 0
	.section	.text._ZN7rocprim17ROCPRIM_400000_NS6detail17trampoline_kernelINS0_14default_configENS1_36segmented_radix_sort_config_selectorIalEEZNS1_25segmented_radix_sort_implIS3_Lb0EPKaPaPKlPlN2at6native12_GLOBAL__N_18offset_tEEE10hipError_tPvRmT1_PNSt15iterator_traitsISK_E10value_typeET2_T3_PNSL_ISQ_E10value_typeET4_jRbjT5_SW_jjP12ihipStream_tbEUlT_E0_NS1_11comp_targetILNS1_3genE5ELNS1_11target_archE942ELNS1_3gpuE9ELNS1_3repE0EEENS1_60segmented_radix_sort_warp_sort_medium_config_static_selectorELNS0_4arch9wavefront6targetE1EEEvSK_,"axG",@progbits,_ZN7rocprim17ROCPRIM_400000_NS6detail17trampoline_kernelINS0_14default_configENS1_36segmented_radix_sort_config_selectorIalEEZNS1_25segmented_radix_sort_implIS3_Lb0EPKaPaPKlPlN2at6native12_GLOBAL__N_18offset_tEEE10hipError_tPvRmT1_PNSt15iterator_traitsISK_E10value_typeET2_T3_PNSL_ISQ_E10value_typeET4_jRbjT5_SW_jjP12ihipStream_tbEUlT_E0_NS1_11comp_targetILNS1_3genE5ELNS1_11target_archE942ELNS1_3gpuE9ELNS1_3repE0EEENS1_60segmented_radix_sort_warp_sort_medium_config_static_selectorELNS0_4arch9wavefront6targetE1EEEvSK_,comdat
	.globl	_ZN7rocprim17ROCPRIM_400000_NS6detail17trampoline_kernelINS0_14default_configENS1_36segmented_radix_sort_config_selectorIalEEZNS1_25segmented_radix_sort_implIS3_Lb0EPKaPaPKlPlN2at6native12_GLOBAL__N_18offset_tEEE10hipError_tPvRmT1_PNSt15iterator_traitsISK_E10value_typeET2_T3_PNSL_ISQ_E10value_typeET4_jRbjT5_SW_jjP12ihipStream_tbEUlT_E0_NS1_11comp_targetILNS1_3genE5ELNS1_11target_archE942ELNS1_3gpuE9ELNS1_3repE0EEENS1_60segmented_radix_sort_warp_sort_medium_config_static_selectorELNS0_4arch9wavefront6targetE1EEEvSK_ ; -- Begin function _ZN7rocprim17ROCPRIM_400000_NS6detail17trampoline_kernelINS0_14default_configENS1_36segmented_radix_sort_config_selectorIalEEZNS1_25segmented_radix_sort_implIS3_Lb0EPKaPaPKlPlN2at6native12_GLOBAL__N_18offset_tEEE10hipError_tPvRmT1_PNSt15iterator_traitsISK_E10value_typeET2_T3_PNSL_ISQ_E10value_typeET4_jRbjT5_SW_jjP12ihipStream_tbEUlT_E0_NS1_11comp_targetILNS1_3genE5ELNS1_11target_archE942ELNS1_3gpuE9ELNS1_3repE0EEENS1_60segmented_radix_sort_warp_sort_medium_config_static_selectorELNS0_4arch9wavefront6targetE1EEEvSK_
	.p2align	8
	.type	_ZN7rocprim17ROCPRIM_400000_NS6detail17trampoline_kernelINS0_14default_configENS1_36segmented_radix_sort_config_selectorIalEEZNS1_25segmented_radix_sort_implIS3_Lb0EPKaPaPKlPlN2at6native12_GLOBAL__N_18offset_tEEE10hipError_tPvRmT1_PNSt15iterator_traitsISK_E10value_typeET2_T3_PNSL_ISQ_E10value_typeET4_jRbjT5_SW_jjP12ihipStream_tbEUlT_E0_NS1_11comp_targetILNS1_3genE5ELNS1_11target_archE942ELNS1_3gpuE9ELNS1_3repE0EEENS1_60segmented_radix_sort_warp_sort_medium_config_static_selectorELNS0_4arch9wavefront6targetE1EEEvSK_,@function
_ZN7rocprim17ROCPRIM_400000_NS6detail17trampoline_kernelINS0_14default_configENS1_36segmented_radix_sort_config_selectorIalEEZNS1_25segmented_radix_sort_implIS3_Lb0EPKaPaPKlPlN2at6native12_GLOBAL__N_18offset_tEEE10hipError_tPvRmT1_PNSt15iterator_traitsISK_E10value_typeET2_T3_PNSL_ISQ_E10value_typeET4_jRbjT5_SW_jjP12ihipStream_tbEUlT_E0_NS1_11comp_targetILNS1_3genE5ELNS1_11target_archE942ELNS1_3gpuE9ELNS1_3repE0EEENS1_60segmented_radix_sort_warp_sort_medium_config_static_selectorELNS0_4arch9wavefront6targetE1EEEvSK_: ; @_ZN7rocprim17ROCPRIM_400000_NS6detail17trampoline_kernelINS0_14default_configENS1_36segmented_radix_sort_config_selectorIalEEZNS1_25segmented_radix_sort_implIS3_Lb0EPKaPaPKlPlN2at6native12_GLOBAL__N_18offset_tEEE10hipError_tPvRmT1_PNSt15iterator_traitsISK_E10value_typeET2_T3_PNSL_ISQ_E10value_typeET4_jRbjT5_SW_jjP12ihipStream_tbEUlT_E0_NS1_11comp_targetILNS1_3genE5ELNS1_11target_archE942ELNS1_3gpuE9ELNS1_3repE0EEENS1_60segmented_radix_sort_warp_sort_medium_config_static_selectorELNS0_4arch9wavefront6targetE1EEEvSK_
; %bb.0:
	.section	.rodata,"a",@progbits
	.p2align	6, 0x0
	.amdhsa_kernel _ZN7rocprim17ROCPRIM_400000_NS6detail17trampoline_kernelINS0_14default_configENS1_36segmented_radix_sort_config_selectorIalEEZNS1_25segmented_radix_sort_implIS3_Lb0EPKaPaPKlPlN2at6native12_GLOBAL__N_18offset_tEEE10hipError_tPvRmT1_PNSt15iterator_traitsISK_E10value_typeET2_T3_PNSL_ISQ_E10value_typeET4_jRbjT5_SW_jjP12ihipStream_tbEUlT_E0_NS1_11comp_targetILNS1_3genE5ELNS1_11target_archE942ELNS1_3gpuE9ELNS1_3repE0EEENS1_60segmented_radix_sort_warp_sort_medium_config_static_selectorELNS0_4arch9wavefront6targetE1EEEvSK_
		.amdhsa_group_segment_fixed_size 0
		.amdhsa_private_segment_fixed_size 0
		.amdhsa_kernarg_size 88
		.amdhsa_user_sgpr_count 6
		.amdhsa_user_sgpr_private_segment_buffer 1
		.amdhsa_user_sgpr_dispatch_ptr 0
		.amdhsa_user_sgpr_queue_ptr 0
		.amdhsa_user_sgpr_kernarg_segment_ptr 1
		.amdhsa_user_sgpr_dispatch_id 0
		.amdhsa_user_sgpr_flat_scratch_init 0
		.amdhsa_user_sgpr_private_segment_size 0
		.amdhsa_uses_dynamic_stack 0
		.amdhsa_system_sgpr_private_segment_wavefront_offset 0
		.amdhsa_system_sgpr_workgroup_id_x 1
		.amdhsa_system_sgpr_workgroup_id_y 0
		.amdhsa_system_sgpr_workgroup_id_z 0
		.amdhsa_system_sgpr_workgroup_info 0
		.amdhsa_system_vgpr_workitem_id 0
		.amdhsa_next_free_vgpr 1
		.amdhsa_next_free_sgpr 0
		.amdhsa_reserve_vcc 0
		.amdhsa_reserve_flat_scratch 0
		.amdhsa_float_round_mode_32 0
		.amdhsa_float_round_mode_16_64 0
		.amdhsa_float_denorm_mode_32 3
		.amdhsa_float_denorm_mode_16_64 3
		.amdhsa_dx10_clamp 1
		.amdhsa_ieee_mode 1
		.amdhsa_fp16_overflow 0
		.amdhsa_exception_fp_ieee_invalid_op 0
		.amdhsa_exception_fp_denorm_src 0
		.amdhsa_exception_fp_ieee_div_zero 0
		.amdhsa_exception_fp_ieee_overflow 0
		.amdhsa_exception_fp_ieee_underflow 0
		.amdhsa_exception_fp_ieee_inexact 0
		.amdhsa_exception_int_div_zero 0
	.end_amdhsa_kernel
	.section	.text._ZN7rocprim17ROCPRIM_400000_NS6detail17trampoline_kernelINS0_14default_configENS1_36segmented_radix_sort_config_selectorIalEEZNS1_25segmented_radix_sort_implIS3_Lb0EPKaPaPKlPlN2at6native12_GLOBAL__N_18offset_tEEE10hipError_tPvRmT1_PNSt15iterator_traitsISK_E10value_typeET2_T3_PNSL_ISQ_E10value_typeET4_jRbjT5_SW_jjP12ihipStream_tbEUlT_E0_NS1_11comp_targetILNS1_3genE5ELNS1_11target_archE942ELNS1_3gpuE9ELNS1_3repE0EEENS1_60segmented_radix_sort_warp_sort_medium_config_static_selectorELNS0_4arch9wavefront6targetE1EEEvSK_,"axG",@progbits,_ZN7rocprim17ROCPRIM_400000_NS6detail17trampoline_kernelINS0_14default_configENS1_36segmented_radix_sort_config_selectorIalEEZNS1_25segmented_radix_sort_implIS3_Lb0EPKaPaPKlPlN2at6native12_GLOBAL__N_18offset_tEEE10hipError_tPvRmT1_PNSt15iterator_traitsISK_E10value_typeET2_T3_PNSL_ISQ_E10value_typeET4_jRbjT5_SW_jjP12ihipStream_tbEUlT_E0_NS1_11comp_targetILNS1_3genE5ELNS1_11target_archE942ELNS1_3gpuE9ELNS1_3repE0EEENS1_60segmented_radix_sort_warp_sort_medium_config_static_selectorELNS0_4arch9wavefront6targetE1EEEvSK_,comdat
.Lfunc_end404:
	.size	_ZN7rocprim17ROCPRIM_400000_NS6detail17trampoline_kernelINS0_14default_configENS1_36segmented_radix_sort_config_selectorIalEEZNS1_25segmented_radix_sort_implIS3_Lb0EPKaPaPKlPlN2at6native12_GLOBAL__N_18offset_tEEE10hipError_tPvRmT1_PNSt15iterator_traitsISK_E10value_typeET2_T3_PNSL_ISQ_E10value_typeET4_jRbjT5_SW_jjP12ihipStream_tbEUlT_E0_NS1_11comp_targetILNS1_3genE5ELNS1_11target_archE942ELNS1_3gpuE9ELNS1_3repE0EEENS1_60segmented_radix_sort_warp_sort_medium_config_static_selectorELNS0_4arch9wavefront6targetE1EEEvSK_, .Lfunc_end404-_ZN7rocprim17ROCPRIM_400000_NS6detail17trampoline_kernelINS0_14default_configENS1_36segmented_radix_sort_config_selectorIalEEZNS1_25segmented_radix_sort_implIS3_Lb0EPKaPaPKlPlN2at6native12_GLOBAL__N_18offset_tEEE10hipError_tPvRmT1_PNSt15iterator_traitsISK_E10value_typeET2_T3_PNSL_ISQ_E10value_typeET4_jRbjT5_SW_jjP12ihipStream_tbEUlT_E0_NS1_11comp_targetILNS1_3genE5ELNS1_11target_archE942ELNS1_3gpuE9ELNS1_3repE0EEENS1_60segmented_radix_sort_warp_sort_medium_config_static_selectorELNS0_4arch9wavefront6targetE1EEEvSK_
                                        ; -- End function
	.set _ZN7rocprim17ROCPRIM_400000_NS6detail17trampoline_kernelINS0_14default_configENS1_36segmented_radix_sort_config_selectorIalEEZNS1_25segmented_radix_sort_implIS3_Lb0EPKaPaPKlPlN2at6native12_GLOBAL__N_18offset_tEEE10hipError_tPvRmT1_PNSt15iterator_traitsISK_E10value_typeET2_T3_PNSL_ISQ_E10value_typeET4_jRbjT5_SW_jjP12ihipStream_tbEUlT_E0_NS1_11comp_targetILNS1_3genE5ELNS1_11target_archE942ELNS1_3gpuE9ELNS1_3repE0EEENS1_60segmented_radix_sort_warp_sort_medium_config_static_selectorELNS0_4arch9wavefront6targetE1EEEvSK_.num_vgpr, 0
	.set _ZN7rocprim17ROCPRIM_400000_NS6detail17trampoline_kernelINS0_14default_configENS1_36segmented_radix_sort_config_selectorIalEEZNS1_25segmented_radix_sort_implIS3_Lb0EPKaPaPKlPlN2at6native12_GLOBAL__N_18offset_tEEE10hipError_tPvRmT1_PNSt15iterator_traitsISK_E10value_typeET2_T3_PNSL_ISQ_E10value_typeET4_jRbjT5_SW_jjP12ihipStream_tbEUlT_E0_NS1_11comp_targetILNS1_3genE5ELNS1_11target_archE942ELNS1_3gpuE9ELNS1_3repE0EEENS1_60segmented_radix_sort_warp_sort_medium_config_static_selectorELNS0_4arch9wavefront6targetE1EEEvSK_.num_agpr, 0
	.set _ZN7rocprim17ROCPRIM_400000_NS6detail17trampoline_kernelINS0_14default_configENS1_36segmented_radix_sort_config_selectorIalEEZNS1_25segmented_radix_sort_implIS3_Lb0EPKaPaPKlPlN2at6native12_GLOBAL__N_18offset_tEEE10hipError_tPvRmT1_PNSt15iterator_traitsISK_E10value_typeET2_T3_PNSL_ISQ_E10value_typeET4_jRbjT5_SW_jjP12ihipStream_tbEUlT_E0_NS1_11comp_targetILNS1_3genE5ELNS1_11target_archE942ELNS1_3gpuE9ELNS1_3repE0EEENS1_60segmented_radix_sort_warp_sort_medium_config_static_selectorELNS0_4arch9wavefront6targetE1EEEvSK_.numbered_sgpr, 0
	.set _ZN7rocprim17ROCPRIM_400000_NS6detail17trampoline_kernelINS0_14default_configENS1_36segmented_radix_sort_config_selectorIalEEZNS1_25segmented_radix_sort_implIS3_Lb0EPKaPaPKlPlN2at6native12_GLOBAL__N_18offset_tEEE10hipError_tPvRmT1_PNSt15iterator_traitsISK_E10value_typeET2_T3_PNSL_ISQ_E10value_typeET4_jRbjT5_SW_jjP12ihipStream_tbEUlT_E0_NS1_11comp_targetILNS1_3genE5ELNS1_11target_archE942ELNS1_3gpuE9ELNS1_3repE0EEENS1_60segmented_radix_sort_warp_sort_medium_config_static_selectorELNS0_4arch9wavefront6targetE1EEEvSK_.num_named_barrier, 0
	.set _ZN7rocprim17ROCPRIM_400000_NS6detail17trampoline_kernelINS0_14default_configENS1_36segmented_radix_sort_config_selectorIalEEZNS1_25segmented_radix_sort_implIS3_Lb0EPKaPaPKlPlN2at6native12_GLOBAL__N_18offset_tEEE10hipError_tPvRmT1_PNSt15iterator_traitsISK_E10value_typeET2_T3_PNSL_ISQ_E10value_typeET4_jRbjT5_SW_jjP12ihipStream_tbEUlT_E0_NS1_11comp_targetILNS1_3genE5ELNS1_11target_archE942ELNS1_3gpuE9ELNS1_3repE0EEENS1_60segmented_radix_sort_warp_sort_medium_config_static_selectorELNS0_4arch9wavefront6targetE1EEEvSK_.private_seg_size, 0
	.set _ZN7rocprim17ROCPRIM_400000_NS6detail17trampoline_kernelINS0_14default_configENS1_36segmented_radix_sort_config_selectorIalEEZNS1_25segmented_radix_sort_implIS3_Lb0EPKaPaPKlPlN2at6native12_GLOBAL__N_18offset_tEEE10hipError_tPvRmT1_PNSt15iterator_traitsISK_E10value_typeET2_T3_PNSL_ISQ_E10value_typeET4_jRbjT5_SW_jjP12ihipStream_tbEUlT_E0_NS1_11comp_targetILNS1_3genE5ELNS1_11target_archE942ELNS1_3gpuE9ELNS1_3repE0EEENS1_60segmented_radix_sort_warp_sort_medium_config_static_selectorELNS0_4arch9wavefront6targetE1EEEvSK_.uses_vcc, 0
	.set _ZN7rocprim17ROCPRIM_400000_NS6detail17trampoline_kernelINS0_14default_configENS1_36segmented_radix_sort_config_selectorIalEEZNS1_25segmented_radix_sort_implIS3_Lb0EPKaPaPKlPlN2at6native12_GLOBAL__N_18offset_tEEE10hipError_tPvRmT1_PNSt15iterator_traitsISK_E10value_typeET2_T3_PNSL_ISQ_E10value_typeET4_jRbjT5_SW_jjP12ihipStream_tbEUlT_E0_NS1_11comp_targetILNS1_3genE5ELNS1_11target_archE942ELNS1_3gpuE9ELNS1_3repE0EEENS1_60segmented_radix_sort_warp_sort_medium_config_static_selectorELNS0_4arch9wavefront6targetE1EEEvSK_.uses_flat_scratch, 0
	.set _ZN7rocprim17ROCPRIM_400000_NS6detail17trampoline_kernelINS0_14default_configENS1_36segmented_radix_sort_config_selectorIalEEZNS1_25segmented_radix_sort_implIS3_Lb0EPKaPaPKlPlN2at6native12_GLOBAL__N_18offset_tEEE10hipError_tPvRmT1_PNSt15iterator_traitsISK_E10value_typeET2_T3_PNSL_ISQ_E10value_typeET4_jRbjT5_SW_jjP12ihipStream_tbEUlT_E0_NS1_11comp_targetILNS1_3genE5ELNS1_11target_archE942ELNS1_3gpuE9ELNS1_3repE0EEENS1_60segmented_radix_sort_warp_sort_medium_config_static_selectorELNS0_4arch9wavefront6targetE1EEEvSK_.has_dyn_sized_stack, 0
	.set _ZN7rocprim17ROCPRIM_400000_NS6detail17trampoline_kernelINS0_14default_configENS1_36segmented_radix_sort_config_selectorIalEEZNS1_25segmented_radix_sort_implIS3_Lb0EPKaPaPKlPlN2at6native12_GLOBAL__N_18offset_tEEE10hipError_tPvRmT1_PNSt15iterator_traitsISK_E10value_typeET2_T3_PNSL_ISQ_E10value_typeET4_jRbjT5_SW_jjP12ihipStream_tbEUlT_E0_NS1_11comp_targetILNS1_3genE5ELNS1_11target_archE942ELNS1_3gpuE9ELNS1_3repE0EEENS1_60segmented_radix_sort_warp_sort_medium_config_static_selectorELNS0_4arch9wavefront6targetE1EEEvSK_.has_recursion, 0
	.set _ZN7rocprim17ROCPRIM_400000_NS6detail17trampoline_kernelINS0_14default_configENS1_36segmented_radix_sort_config_selectorIalEEZNS1_25segmented_radix_sort_implIS3_Lb0EPKaPaPKlPlN2at6native12_GLOBAL__N_18offset_tEEE10hipError_tPvRmT1_PNSt15iterator_traitsISK_E10value_typeET2_T3_PNSL_ISQ_E10value_typeET4_jRbjT5_SW_jjP12ihipStream_tbEUlT_E0_NS1_11comp_targetILNS1_3genE5ELNS1_11target_archE942ELNS1_3gpuE9ELNS1_3repE0EEENS1_60segmented_radix_sort_warp_sort_medium_config_static_selectorELNS0_4arch9wavefront6targetE1EEEvSK_.has_indirect_call, 0
	.section	.AMDGPU.csdata,"",@progbits
; Kernel info:
; codeLenInByte = 0
; TotalNumSgprs: 4
; NumVgprs: 0
; ScratchSize: 0
; MemoryBound: 0
; FloatMode: 240
; IeeeMode: 1
; LDSByteSize: 0 bytes/workgroup (compile time only)
; SGPRBlocks: 0
; VGPRBlocks: 0
; NumSGPRsForWavesPerEU: 4
; NumVGPRsForWavesPerEU: 1
; Occupancy: 10
; WaveLimiterHint : 0
; COMPUTE_PGM_RSRC2:SCRATCH_EN: 0
; COMPUTE_PGM_RSRC2:USER_SGPR: 6
; COMPUTE_PGM_RSRC2:TRAP_HANDLER: 0
; COMPUTE_PGM_RSRC2:TGID_X_EN: 1
; COMPUTE_PGM_RSRC2:TGID_Y_EN: 0
; COMPUTE_PGM_RSRC2:TGID_Z_EN: 0
; COMPUTE_PGM_RSRC2:TIDIG_COMP_CNT: 0
	.section	.text._ZN7rocprim17ROCPRIM_400000_NS6detail17trampoline_kernelINS0_14default_configENS1_36segmented_radix_sort_config_selectorIalEEZNS1_25segmented_radix_sort_implIS3_Lb0EPKaPaPKlPlN2at6native12_GLOBAL__N_18offset_tEEE10hipError_tPvRmT1_PNSt15iterator_traitsISK_E10value_typeET2_T3_PNSL_ISQ_E10value_typeET4_jRbjT5_SW_jjP12ihipStream_tbEUlT_E0_NS1_11comp_targetILNS1_3genE4ELNS1_11target_archE910ELNS1_3gpuE8ELNS1_3repE0EEENS1_60segmented_radix_sort_warp_sort_medium_config_static_selectorELNS0_4arch9wavefront6targetE1EEEvSK_,"axG",@progbits,_ZN7rocprim17ROCPRIM_400000_NS6detail17trampoline_kernelINS0_14default_configENS1_36segmented_radix_sort_config_selectorIalEEZNS1_25segmented_radix_sort_implIS3_Lb0EPKaPaPKlPlN2at6native12_GLOBAL__N_18offset_tEEE10hipError_tPvRmT1_PNSt15iterator_traitsISK_E10value_typeET2_T3_PNSL_ISQ_E10value_typeET4_jRbjT5_SW_jjP12ihipStream_tbEUlT_E0_NS1_11comp_targetILNS1_3genE4ELNS1_11target_archE910ELNS1_3gpuE8ELNS1_3repE0EEENS1_60segmented_radix_sort_warp_sort_medium_config_static_selectorELNS0_4arch9wavefront6targetE1EEEvSK_,comdat
	.globl	_ZN7rocprim17ROCPRIM_400000_NS6detail17trampoline_kernelINS0_14default_configENS1_36segmented_radix_sort_config_selectorIalEEZNS1_25segmented_radix_sort_implIS3_Lb0EPKaPaPKlPlN2at6native12_GLOBAL__N_18offset_tEEE10hipError_tPvRmT1_PNSt15iterator_traitsISK_E10value_typeET2_T3_PNSL_ISQ_E10value_typeET4_jRbjT5_SW_jjP12ihipStream_tbEUlT_E0_NS1_11comp_targetILNS1_3genE4ELNS1_11target_archE910ELNS1_3gpuE8ELNS1_3repE0EEENS1_60segmented_radix_sort_warp_sort_medium_config_static_selectorELNS0_4arch9wavefront6targetE1EEEvSK_ ; -- Begin function _ZN7rocprim17ROCPRIM_400000_NS6detail17trampoline_kernelINS0_14default_configENS1_36segmented_radix_sort_config_selectorIalEEZNS1_25segmented_radix_sort_implIS3_Lb0EPKaPaPKlPlN2at6native12_GLOBAL__N_18offset_tEEE10hipError_tPvRmT1_PNSt15iterator_traitsISK_E10value_typeET2_T3_PNSL_ISQ_E10value_typeET4_jRbjT5_SW_jjP12ihipStream_tbEUlT_E0_NS1_11comp_targetILNS1_3genE4ELNS1_11target_archE910ELNS1_3gpuE8ELNS1_3repE0EEENS1_60segmented_radix_sort_warp_sort_medium_config_static_selectorELNS0_4arch9wavefront6targetE1EEEvSK_
	.p2align	8
	.type	_ZN7rocprim17ROCPRIM_400000_NS6detail17trampoline_kernelINS0_14default_configENS1_36segmented_radix_sort_config_selectorIalEEZNS1_25segmented_radix_sort_implIS3_Lb0EPKaPaPKlPlN2at6native12_GLOBAL__N_18offset_tEEE10hipError_tPvRmT1_PNSt15iterator_traitsISK_E10value_typeET2_T3_PNSL_ISQ_E10value_typeET4_jRbjT5_SW_jjP12ihipStream_tbEUlT_E0_NS1_11comp_targetILNS1_3genE4ELNS1_11target_archE910ELNS1_3gpuE8ELNS1_3repE0EEENS1_60segmented_radix_sort_warp_sort_medium_config_static_selectorELNS0_4arch9wavefront6targetE1EEEvSK_,@function
_ZN7rocprim17ROCPRIM_400000_NS6detail17trampoline_kernelINS0_14default_configENS1_36segmented_radix_sort_config_selectorIalEEZNS1_25segmented_radix_sort_implIS3_Lb0EPKaPaPKlPlN2at6native12_GLOBAL__N_18offset_tEEE10hipError_tPvRmT1_PNSt15iterator_traitsISK_E10value_typeET2_T3_PNSL_ISQ_E10value_typeET4_jRbjT5_SW_jjP12ihipStream_tbEUlT_E0_NS1_11comp_targetILNS1_3genE4ELNS1_11target_archE910ELNS1_3gpuE8ELNS1_3repE0EEENS1_60segmented_radix_sort_warp_sort_medium_config_static_selectorELNS0_4arch9wavefront6targetE1EEEvSK_: ; @_ZN7rocprim17ROCPRIM_400000_NS6detail17trampoline_kernelINS0_14default_configENS1_36segmented_radix_sort_config_selectorIalEEZNS1_25segmented_radix_sort_implIS3_Lb0EPKaPaPKlPlN2at6native12_GLOBAL__N_18offset_tEEE10hipError_tPvRmT1_PNSt15iterator_traitsISK_E10value_typeET2_T3_PNSL_ISQ_E10value_typeET4_jRbjT5_SW_jjP12ihipStream_tbEUlT_E0_NS1_11comp_targetILNS1_3genE4ELNS1_11target_archE910ELNS1_3gpuE8ELNS1_3repE0EEENS1_60segmented_radix_sort_warp_sort_medium_config_static_selectorELNS0_4arch9wavefront6targetE1EEEvSK_
; %bb.0:
	.section	.rodata,"a",@progbits
	.p2align	6, 0x0
	.amdhsa_kernel _ZN7rocprim17ROCPRIM_400000_NS6detail17trampoline_kernelINS0_14default_configENS1_36segmented_radix_sort_config_selectorIalEEZNS1_25segmented_radix_sort_implIS3_Lb0EPKaPaPKlPlN2at6native12_GLOBAL__N_18offset_tEEE10hipError_tPvRmT1_PNSt15iterator_traitsISK_E10value_typeET2_T3_PNSL_ISQ_E10value_typeET4_jRbjT5_SW_jjP12ihipStream_tbEUlT_E0_NS1_11comp_targetILNS1_3genE4ELNS1_11target_archE910ELNS1_3gpuE8ELNS1_3repE0EEENS1_60segmented_radix_sort_warp_sort_medium_config_static_selectorELNS0_4arch9wavefront6targetE1EEEvSK_
		.amdhsa_group_segment_fixed_size 0
		.amdhsa_private_segment_fixed_size 0
		.amdhsa_kernarg_size 88
		.amdhsa_user_sgpr_count 6
		.amdhsa_user_sgpr_private_segment_buffer 1
		.amdhsa_user_sgpr_dispatch_ptr 0
		.amdhsa_user_sgpr_queue_ptr 0
		.amdhsa_user_sgpr_kernarg_segment_ptr 1
		.amdhsa_user_sgpr_dispatch_id 0
		.amdhsa_user_sgpr_flat_scratch_init 0
		.amdhsa_user_sgpr_private_segment_size 0
		.amdhsa_uses_dynamic_stack 0
		.amdhsa_system_sgpr_private_segment_wavefront_offset 0
		.amdhsa_system_sgpr_workgroup_id_x 1
		.amdhsa_system_sgpr_workgroup_id_y 0
		.amdhsa_system_sgpr_workgroup_id_z 0
		.amdhsa_system_sgpr_workgroup_info 0
		.amdhsa_system_vgpr_workitem_id 0
		.amdhsa_next_free_vgpr 1
		.amdhsa_next_free_sgpr 0
		.amdhsa_reserve_vcc 0
		.amdhsa_reserve_flat_scratch 0
		.amdhsa_float_round_mode_32 0
		.amdhsa_float_round_mode_16_64 0
		.amdhsa_float_denorm_mode_32 3
		.amdhsa_float_denorm_mode_16_64 3
		.amdhsa_dx10_clamp 1
		.amdhsa_ieee_mode 1
		.amdhsa_fp16_overflow 0
		.amdhsa_exception_fp_ieee_invalid_op 0
		.amdhsa_exception_fp_denorm_src 0
		.amdhsa_exception_fp_ieee_div_zero 0
		.amdhsa_exception_fp_ieee_overflow 0
		.amdhsa_exception_fp_ieee_underflow 0
		.amdhsa_exception_fp_ieee_inexact 0
		.amdhsa_exception_int_div_zero 0
	.end_amdhsa_kernel
	.section	.text._ZN7rocprim17ROCPRIM_400000_NS6detail17trampoline_kernelINS0_14default_configENS1_36segmented_radix_sort_config_selectorIalEEZNS1_25segmented_radix_sort_implIS3_Lb0EPKaPaPKlPlN2at6native12_GLOBAL__N_18offset_tEEE10hipError_tPvRmT1_PNSt15iterator_traitsISK_E10value_typeET2_T3_PNSL_ISQ_E10value_typeET4_jRbjT5_SW_jjP12ihipStream_tbEUlT_E0_NS1_11comp_targetILNS1_3genE4ELNS1_11target_archE910ELNS1_3gpuE8ELNS1_3repE0EEENS1_60segmented_radix_sort_warp_sort_medium_config_static_selectorELNS0_4arch9wavefront6targetE1EEEvSK_,"axG",@progbits,_ZN7rocprim17ROCPRIM_400000_NS6detail17trampoline_kernelINS0_14default_configENS1_36segmented_radix_sort_config_selectorIalEEZNS1_25segmented_radix_sort_implIS3_Lb0EPKaPaPKlPlN2at6native12_GLOBAL__N_18offset_tEEE10hipError_tPvRmT1_PNSt15iterator_traitsISK_E10value_typeET2_T3_PNSL_ISQ_E10value_typeET4_jRbjT5_SW_jjP12ihipStream_tbEUlT_E0_NS1_11comp_targetILNS1_3genE4ELNS1_11target_archE910ELNS1_3gpuE8ELNS1_3repE0EEENS1_60segmented_radix_sort_warp_sort_medium_config_static_selectorELNS0_4arch9wavefront6targetE1EEEvSK_,comdat
.Lfunc_end405:
	.size	_ZN7rocprim17ROCPRIM_400000_NS6detail17trampoline_kernelINS0_14default_configENS1_36segmented_radix_sort_config_selectorIalEEZNS1_25segmented_radix_sort_implIS3_Lb0EPKaPaPKlPlN2at6native12_GLOBAL__N_18offset_tEEE10hipError_tPvRmT1_PNSt15iterator_traitsISK_E10value_typeET2_T3_PNSL_ISQ_E10value_typeET4_jRbjT5_SW_jjP12ihipStream_tbEUlT_E0_NS1_11comp_targetILNS1_3genE4ELNS1_11target_archE910ELNS1_3gpuE8ELNS1_3repE0EEENS1_60segmented_radix_sort_warp_sort_medium_config_static_selectorELNS0_4arch9wavefront6targetE1EEEvSK_, .Lfunc_end405-_ZN7rocprim17ROCPRIM_400000_NS6detail17trampoline_kernelINS0_14default_configENS1_36segmented_radix_sort_config_selectorIalEEZNS1_25segmented_radix_sort_implIS3_Lb0EPKaPaPKlPlN2at6native12_GLOBAL__N_18offset_tEEE10hipError_tPvRmT1_PNSt15iterator_traitsISK_E10value_typeET2_T3_PNSL_ISQ_E10value_typeET4_jRbjT5_SW_jjP12ihipStream_tbEUlT_E0_NS1_11comp_targetILNS1_3genE4ELNS1_11target_archE910ELNS1_3gpuE8ELNS1_3repE0EEENS1_60segmented_radix_sort_warp_sort_medium_config_static_selectorELNS0_4arch9wavefront6targetE1EEEvSK_
                                        ; -- End function
	.set _ZN7rocprim17ROCPRIM_400000_NS6detail17trampoline_kernelINS0_14default_configENS1_36segmented_radix_sort_config_selectorIalEEZNS1_25segmented_radix_sort_implIS3_Lb0EPKaPaPKlPlN2at6native12_GLOBAL__N_18offset_tEEE10hipError_tPvRmT1_PNSt15iterator_traitsISK_E10value_typeET2_T3_PNSL_ISQ_E10value_typeET4_jRbjT5_SW_jjP12ihipStream_tbEUlT_E0_NS1_11comp_targetILNS1_3genE4ELNS1_11target_archE910ELNS1_3gpuE8ELNS1_3repE0EEENS1_60segmented_radix_sort_warp_sort_medium_config_static_selectorELNS0_4arch9wavefront6targetE1EEEvSK_.num_vgpr, 0
	.set _ZN7rocprim17ROCPRIM_400000_NS6detail17trampoline_kernelINS0_14default_configENS1_36segmented_radix_sort_config_selectorIalEEZNS1_25segmented_radix_sort_implIS3_Lb0EPKaPaPKlPlN2at6native12_GLOBAL__N_18offset_tEEE10hipError_tPvRmT1_PNSt15iterator_traitsISK_E10value_typeET2_T3_PNSL_ISQ_E10value_typeET4_jRbjT5_SW_jjP12ihipStream_tbEUlT_E0_NS1_11comp_targetILNS1_3genE4ELNS1_11target_archE910ELNS1_3gpuE8ELNS1_3repE0EEENS1_60segmented_radix_sort_warp_sort_medium_config_static_selectorELNS0_4arch9wavefront6targetE1EEEvSK_.num_agpr, 0
	.set _ZN7rocprim17ROCPRIM_400000_NS6detail17trampoline_kernelINS0_14default_configENS1_36segmented_radix_sort_config_selectorIalEEZNS1_25segmented_radix_sort_implIS3_Lb0EPKaPaPKlPlN2at6native12_GLOBAL__N_18offset_tEEE10hipError_tPvRmT1_PNSt15iterator_traitsISK_E10value_typeET2_T3_PNSL_ISQ_E10value_typeET4_jRbjT5_SW_jjP12ihipStream_tbEUlT_E0_NS1_11comp_targetILNS1_3genE4ELNS1_11target_archE910ELNS1_3gpuE8ELNS1_3repE0EEENS1_60segmented_radix_sort_warp_sort_medium_config_static_selectorELNS0_4arch9wavefront6targetE1EEEvSK_.numbered_sgpr, 0
	.set _ZN7rocprim17ROCPRIM_400000_NS6detail17trampoline_kernelINS0_14default_configENS1_36segmented_radix_sort_config_selectorIalEEZNS1_25segmented_radix_sort_implIS3_Lb0EPKaPaPKlPlN2at6native12_GLOBAL__N_18offset_tEEE10hipError_tPvRmT1_PNSt15iterator_traitsISK_E10value_typeET2_T3_PNSL_ISQ_E10value_typeET4_jRbjT5_SW_jjP12ihipStream_tbEUlT_E0_NS1_11comp_targetILNS1_3genE4ELNS1_11target_archE910ELNS1_3gpuE8ELNS1_3repE0EEENS1_60segmented_radix_sort_warp_sort_medium_config_static_selectorELNS0_4arch9wavefront6targetE1EEEvSK_.num_named_barrier, 0
	.set _ZN7rocprim17ROCPRIM_400000_NS6detail17trampoline_kernelINS0_14default_configENS1_36segmented_radix_sort_config_selectorIalEEZNS1_25segmented_radix_sort_implIS3_Lb0EPKaPaPKlPlN2at6native12_GLOBAL__N_18offset_tEEE10hipError_tPvRmT1_PNSt15iterator_traitsISK_E10value_typeET2_T3_PNSL_ISQ_E10value_typeET4_jRbjT5_SW_jjP12ihipStream_tbEUlT_E0_NS1_11comp_targetILNS1_3genE4ELNS1_11target_archE910ELNS1_3gpuE8ELNS1_3repE0EEENS1_60segmented_radix_sort_warp_sort_medium_config_static_selectorELNS0_4arch9wavefront6targetE1EEEvSK_.private_seg_size, 0
	.set _ZN7rocprim17ROCPRIM_400000_NS6detail17trampoline_kernelINS0_14default_configENS1_36segmented_radix_sort_config_selectorIalEEZNS1_25segmented_radix_sort_implIS3_Lb0EPKaPaPKlPlN2at6native12_GLOBAL__N_18offset_tEEE10hipError_tPvRmT1_PNSt15iterator_traitsISK_E10value_typeET2_T3_PNSL_ISQ_E10value_typeET4_jRbjT5_SW_jjP12ihipStream_tbEUlT_E0_NS1_11comp_targetILNS1_3genE4ELNS1_11target_archE910ELNS1_3gpuE8ELNS1_3repE0EEENS1_60segmented_radix_sort_warp_sort_medium_config_static_selectorELNS0_4arch9wavefront6targetE1EEEvSK_.uses_vcc, 0
	.set _ZN7rocprim17ROCPRIM_400000_NS6detail17trampoline_kernelINS0_14default_configENS1_36segmented_radix_sort_config_selectorIalEEZNS1_25segmented_radix_sort_implIS3_Lb0EPKaPaPKlPlN2at6native12_GLOBAL__N_18offset_tEEE10hipError_tPvRmT1_PNSt15iterator_traitsISK_E10value_typeET2_T3_PNSL_ISQ_E10value_typeET4_jRbjT5_SW_jjP12ihipStream_tbEUlT_E0_NS1_11comp_targetILNS1_3genE4ELNS1_11target_archE910ELNS1_3gpuE8ELNS1_3repE0EEENS1_60segmented_radix_sort_warp_sort_medium_config_static_selectorELNS0_4arch9wavefront6targetE1EEEvSK_.uses_flat_scratch, 0
	.set _ZN7rocprim17ROCPRIM_400000_NS6detail17trampoline_kernelINS0_14default_configENS1_36segmented_radix_sort_config_selectorIalEEZNS1_25segmented_radix_sort_implIS3_Lb0EPKaPaPKlPlN2at6native12_GLOBAL__N_18offset_tEEE10hipError_tPvRmT1_PNSt15iterator_traitsISK_E10value_typeET2_T3_PNSL_ISQ_E10value_typeET4_jRbjT5_SW_jjP12ihipStream_tbEUlT_E0_NS1_11comp_targetILNS1_3genE4ELNS1_11target_archE910ELNS1_3gpuE8ELNS1_3repE0EEENS1_60segmented_radix_sort_warp_sort_medium_config_static_selectorELNS0_4arch9wavefront6targetE1EEEvSK_.has_dyn_sized_stack, 0
	.set _ZN7rocprim17ROCPRIM_400000_NS6detail17trampoline_kernelINS0_14default_configENS1_36segmented_radix_sort_config_selectorIalEEZNS1_25segmented_radix_sort_implIS3_Lb0EPKaPaPKlPlN2at6native12_GLOBAL__N_18offset_tEEE10hipError_tPvRmT1_PNSt15iterator_traitsISK_E10value_typeET2_T3_PNSL_ISQ_E10value_typeET4_jRbjT5_SW_jjP12ihipStream_tbEUlT_E0_NS1_11comp_targetILNS1_3genE4ELNS1_11target_archE910ELNS1_3gpuE8ELNS1_3repE0EEENS1_60segmented_radix_sort_warp_sort_medium_config_static_selectorELNS0_4arch9wavefront6targetE1EEEvSK_.has_recursion, 0
	.set _ZN7rocprim17ROCPRIM_400000_NS6detail17trampoline_kernelINS0_14default_configENS1_36segmented_radix_sort_config_selectorIalEEZNS1_25segmented_radix_sort_implIS3_Lb0EPKaPaPKlPlN2at6native12_GLOBAL__N_18offset_tEEE10hipError_tPvRmT1_PNSt15iterator_traitsISK_E10value_typeET2_T3_PNSL_ISQ_E10value_typeET4_jRbjT5_SW_jjP12ihipStream_tbEUlT_E0_NS1_11comp_targetILNS1_3genE4ELNS1_11target_archE910ELNS1_3gpuE8ELNS1_3repE0EEENS1_60segmented_radix_sort_warp_sort_medium_config_static_selectorELNS0_4arch9wavefront6targetE1EEEvSK_.has_indirect_call, 0
	.section	.AMDGPU.csdata,"",@progbits
; Kernel info:
; codeLenInByte = 0
; TotalNumSgprs: 4
; NumVgprs: 0
; ScratchSize: 0
; MemoryBound: 0
; FloatMode: 240
; IeeeMode: 1
; LDSByteSize: 0 bytes/workgroup (compile time only)
; SGPRBlocks: 0
; VGPRBlocks: 0
; NumSGPRsForWavesPerEU: 4
; NumVGPRsForWavesPerEU: 1
; Occupancy: 10
; WaveLimiterHint : 0
; COMPUTE_PGM_RSRC2:SCRATCH_EN: 0
; COMPUTE_PGM_RSRC2:USER_SGPR: 6
; COMPUTE_PGM_RSRC2:TRAP_HANDLER: 0
; COMPUTE_PGM_RSRC2:TGID_X_EN: 1
; COMPUTE_PGM_RSRC2:TGID_Y_EN: 0
; COMPUTE_PGM_RSRC2:TGID_Z_EN: 0
; COMPUTE_PGM_RSRC2:TIDIG_COMP_CNT: 0
	.section	.text._ZN7rocprim17ROCPRIM_400000_NS6detail17trampoline_kernelINS0_14default_configENS1_36segmented_radix_sort_config_selectorIalEEZNS1_25segmented_radix_sort_implIS3_Lb0EPKaPaPKlPlN2at6native12_GLOBAL__N_18offset_tEEE10hipError_tPvRmT1_PNSt15iterator_traitsISK_E10value_typeET2_T3_PNSL_ISQ_E10value_typeET4_jRbjT5_SW_jjP12ihipStream_tbEUlT_E0_NS1_11comp_targetILNS1_3genE3ELNS1_11target_archE908ELNS1_3gpuE7ELNS1_3repE0EEENS1_60segmented_radix_sort_warp_sort_medium_config_static_selectorELNS0_4arch9wavefront6targetE1EEEvSK_,"axG",@progbits,_ZN7rocprim17ROCPRIM_400000_NS6detail17trampoline_kernelINS0_14default_configENS1_36segmented_radix_sort_config_selectorIalEEZNS1_25segmented_radix_sort_implIS3_Lb0EPKaPaPKlPlN2at6native12_GLOBAL__N_18offset_tEEE10hipError_tPvRmT1_PNSt15iterator_traitsISK_E10value_typeET2_T3_PNSL_ISQ_E10value_typeET4_jRbjT5_SW_jjP12ihipStream_tbEUlT_E0_NS1_11comp_targetILNS1_3genE3ELNS1_11target_archE908ELNS1_3gpuE7ELNS1_3repE0EEENS1_60segmented_radix_sort_warp_sort_medium_config_static_selectorELNS0_4arch9wavefront6targetE1EEEvSK_,comdat
	.globl	_ZN7rocprim17ROCPRIM_400000_NS6detail17trampoline_kernelINS0_14default_configENS1_36segmented_radix_sort_config_selectorIalEEZNS1_25segmented_radix_sort_implIS3_Lb0EPKaPaPKlPlN2at6native12_GLOBAL__N_18offset_tEEE10hipError_tPvRmT1_PNSt15iterator_traitsISK_E10value_typeET2_T3_PNSL_ISQ_E10value_typeET4_jRbjT5_SW_jjP12ihipStream_tbEUlT_E0_NS1_11comp_targetILNS1_3genE3ELNS1_11target_archE908ELNS1_3gpuE7ELNS1_3repE0EEENS1_60segmented_radix_sort_warp_sort_medium_config_static_selectorELNS0_4arch9wavefront6targetE1EEEvSK_ ; -- Begin function _ZN7rocprim17ROCPRIM_400000_NS6detail17trampoline_kernelINS0_14default_configENS1_36segmented_radix_sort_config_selectorIalEEZNS1_25segmented_radix_sort_implIS3_Lb0EPKaPaPKlPlN2at6native12_GLOBAL__N_18offset_tEEE10hipError_tPvRmT1_PNSt15iterator_traitsISK_E10value_typeET2_T3_PNSL_ISQ_E10value_typeET4_jRbjT5_SW_jjP12ihipStream_tbEUlT_E0_NS1_11comp_targetILNS1_3genE3ELNS1_11target_archE908ELNS1_3gpuE7ELNS1_3repE0EEENS1_60segmented_radix_sort_warp_sort_medium_config_static_selectorELNS0_4arch9wavefront6targetE1EEEvSK_
	.p2align	8
	.type	_ZN7rocprim17ROCPRIM_400000_NS6detail17trampoline_kernelINS0_14default_configENS1_36segmented_radix_sort_config_selectorIalEEZNS1_25segmented_radix_sort_implIS3_Lb0EPKaPaPKlPlN2at6native12_GLOBAL__N_18offset_tEEE10hipError_tPvRmT1_PNSt15iterator_traitsISK_E10value_typeET2_T3_PNSL_ISQ_E10value_typeET4_jRbjT5_SW_jjP12ihipStream_tbEUlT_E0_NS1_11comp_targetILNS1_3genE3ELNS1_11target_archE908ELNS1_3gpuE7ELNS1_3repE0EEENS1_60segmented_radix_sort_warp_sort_medium_config_static_selectorELNS0_4arch9wavefront6targetE1EEEvSK_,@function
_ZN7rocprim17ROCPRIM_400000_NS6detail17trampoline_kernelINS0_14default_configENS1_36segmented_radix_sort_config_selectorIalEEZNS1_25segmented_radix_sort_implIS3_Lb0EPKaPaPKlPlN2at6native12_GLOBAL__N_18offset_tEEE10hipError_tPvRmT1_PNSt15iterator_traitsISK_E10value_typeET2_T3_PNSL_ISQ_E10value_typeET4_jRbjT5_SW_jjP12ihipStream_tbEUlT_E0_NS1_11comp_targetILNS1_3genE3ELNS1_11target_archE908ELNS1_3gpuE7ELNS1_3repE0EEENS1_60segmented_radix_sort_warp_sort_medium_config_static_selectorELNS0_4arch9wavefront6targetE1EEEvSK_: ; @_ZN7rocprim17ROCPRIM_400000_NS6detail17trampoline_kernelINS0_14default_configENS1_36segmented_radix_sort_config_selectorIalEEZNS1_25segmented_radix_sort_implIS3_Lb0EPKaPaPKlPlN2at6native12_GLOBAL__N_18offset_tEEE10hipError_tPvRmT1_PNSt15iterator_traitsISK_E10value_typeET2_T3_PNSL_ISQ_E10value_typeET4_jRbjT5_SW_jjP12ihipStream_tbEUlT_E0_NS1_11comp_targetILNS1_3genE3ELNS1_11target_archE908ELNS1_3gpuE7ELNS1_3repE0EEENS1_60segmented_radix_sort_warp_sort_medium_config_static_selectorELNS0_4arch9wavefront6targetE1EEEvSK_
; %bb.0:
	.section	.rodata,"a",@progbits
	.p2align	6, 0x0
	.amdhsa_kernel _ZN7rocprim17ROCPRIM_400000_NS6detail17trampoline_kernelINS0_14default_configENS1_36segmented_radix_sort_config_selectorIalEEZNS1_25segmented_radix_sort_implIS3_Lb0EPKaPaPKlPlN2at6native12_GLOBAL__N_18offset_tEEE10hipError_tPvRmT1_PNSt15iterator_traitsISK_E10value_typeET2_T3_PNSL_ISQ_E10value_typeET4_jRbjT5_SW_jjP12ihipStream_tbEUlT_E0_NS1_11comp_targetILNS1_3genE3ELNS1_11target_archE908ELNS1_3gpuE7ELNS1_3repE0EEENS1_60segmented_radix_sort_warp_sort_medium_config_static_selectorELNS0_4arch9wavefront6targetE1EEEvSK_
		.amdhsa_group_segment_fixed_size 0
		.amdhsa_private_segment_fixed_size 0
		.amdhsa_kernarg_size 88
		.amdhsa_user_sgpr_count 6
		.amdhsa_user_sgpr_private_segment_buffer 1
		.amdhsa_user_sgpr_dispatch_ptr 0
		.amdhsa_user_sgpr_queue_ptr 0
		.amdhsa_user_sgpr_kernarg_segment_ptr 1
		.amdhsa_user_sgpr_dispatch_id 0
		.amdhsa_user_sgpr_flat_scratch_init 0
		.amdhsa_user_sgpr_private_segment_size 0
		.amdhsa_uses_dynamic_stack 0
		.amdhsa_system_sgpr_private_segment_wavefront_offset 0
		.amdhsa_system_sgpr_workgroup_id_x 1
		.amdhsa_system_sgpr_workgroup_id_y 0
		.amdhsa_system_sgpr_workgroup_id_z 0
		.amdhsa_system_sgpr_workgroup_info 0
		.amdhsa_system_vgpr_workitem_id 0
		.amdhsa_next_free_vgpr 1
		.amdhsa_next_free_sgpr 0
		.amdhsa_reserve_vcc 0
		.amdhsa_reserve_flat_scratch 0
		.amdhsa_float_round_mode_32 0
		.amdhsa_float_round_mode_16_64 0
		.amdhsa_float_denorm_mode_32 3
		.amdhsa_float_denorm_mode_16_64 3
		.amdhsa_dx10_clamp 1
		.amdhsa_ieee_mode 1
		.amdhsa_fp16_overflow 0
		.amdhsa_exception_fp_ieee_invalid_op 0
		.amdhsa_exception_fp_denorm_src 0
		.amdhsa_exception_fp_ieee_div_zero 0
		.amdhsa_exception_fp_ieee_overflow 0
		.amdhsa_exception_fp_ieee_underflow 0
		.amdhsa_exception_fp_ieee_inexact 0
		.amdhsa_exception_int_div_zero 0
	.end_amdhsa_kernel
	.section	.text._ZN7rocprim17ROCPRIM_400000_NS6detail17trampoline_kernelINS0_14default_configENS1_36segmented_radix_sort_config_selectorIalEEZNS1_25segmented_radix_sort_implIS3_Lb0EPKaPaPKlPlN2at6native12_GLOBAL__N_18offset_tEEE10hipError_tPvRmT1_PNSt15iterator_traitsISK_E10value_typeET2_T3_PNSL_ISQ_E10value_typeET4_jRbjT5_SW_jjP12ihipStream_tbEUlT_E0_NS1_11comp_targetILNS1_3genE3ELNS1_11target_archE908ELNS1_3gpuE7ELNS1_3repE0EEENS1_60segmented_radix_sort_warp_sort_medium_config_static_selectorELNS0_4arch9wavefront6targetE1EEEvSK_,"axG",@progbits,_ZN7rocprim17ROCPRIM_400000_NS6detail17trampoline_kernelINS0_14default_configENS1_36segmented_radix_sort_config_selectorIalEEZNS1_25segmented_radix_sort_implIS3_Lb0EPKaPaPKlPlN2at6native12_GLOBAL__N_18offset_tEEE10hipError_tPvRmT1_PNSt15iterator_traitsISK_E10value_typeET2_T3_PNSL_ISQ_E10value_typeET4_jRbjT5_SW_jjP12ihipStream_tbEUlT_E0_NS1_11comp_targetILNS1_3genE3ELNS1_11target_archE908ELNS1_3gpuE7ELNS1_3repE0EEENS1_60segmented_radix_sort_warp_sort_medium_config_static_selectorELNS0_4arch9wavefront6targetE1EEEvSK_,comdat
.Lfunc_end406:
	.size	_ZN7rocprim17ROCPRIM_400000_NS6detail17trampoline_kernelINS0_14default_configENS1_36segmented_radix_sort_config_selectorIalEEZNS1_25segmented_radix_sort_implIS3_Lb0EPKaPaPKlPlN2at6native12_GLOBAL__N_18offset_tEEE10hipError_tPvRmT1_PNSt15iterator_traitsISK_E10value_typeET2_T3_PNSL_ISQ_E10value_typeET4_jRbjT5_SW_jjP12ihipStream_tbEUlT_E0_NS1_11comp_targetILNS1_3genE3ELNS1_11target_archE908ELNS1_3gpuE7ELNS1_3repE0EEENS1_60segmented_radix_sort_warp_sort_medium_config_static_selectorELNS0_4arch9wavefront6targetE1EEEvSK_, .Lfunc_end406-_ZN7rocprim17ROCPRIM_400000_NS6detail17trampoline_kernelINS0_14default_configENS1_36segmented_radix_sort_config_selectorIalEEZNS1_25segmented_radix_sort_implIS3_Lb0EPKaPaPKlPlN2at6native12_GLOBAL__N_18offset_tEEE10hipError_tPvRmT1_PNSt15iterator_traitsISK_E10value_typeET2_T3_PNSL_ISQ_E10value_typeET4_jRbjT5_SW_jjP12ihipStream_tbEUlT_E0_NS1_11comp_targetILNS1_3genE3ELNS1_11target_archE908ELNS1_3gpuE7ELNS1_3repE0EEENS1_60segmented_radix_sort_warp_sort_medium_config_static_selectorELNS0_4arch9wavefront6targetE1EEEvSK_
                                        ; -- End function
	.set _ZN7rocprim17ROCPRIM_400000_NS6detail17trampoline_kernelINS0_14default_configENS1_36segmented_radix_sort_config_selectorIalEEZNS1_25segmented_radix_sort_implIS3_Lb0EPKaPaPKlPlN2at6native12_GLOBAL__N_18offset_tEEE10hipError_tPvRmT1_PNSt15iterator_traitsISK_E10value_typeET2_T3_PNSL_ISQ_E10value_typeET4_jRbjT5_SW_jjP12ihipStream_tbEUlT_E0_NS1_11comp_targetILNS1_3genE3ELNS1_11target_archE908ELNS1_3gpuE7ELNS1_3repE0EEENS1_60segmented_radix_sort_warp_sort_medium_config_static_selectorELNS0_4arch9wavefront6targetE1EEEvSK_.num_vgpr, 0
	.set _ZN7rocprim17ROCPRIM_400000_NS6detail17trampoline_kernelINS0_14default_configENS1_36segmented_radix_sort_config_selectorIalEEZNS1_25segmented_radix_sort_implIS3_Lb0EPKaPaPKlPlN2at6native12_GLOBAL__N_18offset_tEEE10hipError_tPvRmT1_PNSt15iterator_traitsISK_E10value_typeET2_T3_PNSL_ISQ_E10value_typeET4_jRbjT5_SW_jjP12ihipStream_tbEUlT_E0_NS1_11comp_targetILNS1_3genE3ELNS1_11target_archE908ELNS1_3gpuE7ELNS1_3repE0EEENS1_60segmented_radix_sort_warp_sort_medium_config_static_selectorELNS0_4arch9wavefront6targetE1EEEvSK_.num_agpr, 0
	.set _ZN7rocprim17ROCPRIM_400000_NS6detail17trampoline_kernelINS0_14default_configENS1_36segmented_radix_sort_config_selectorIalEEZNS1_25segmented_radix_sort_implIS3_Lb0EPKaPaPKlPlN2at6native12_GLOBAL__N_18offset_tEEE10hipError_tPvRmT1_PNSt15iterator_traitsISK_E10value_typeET2_T3_PNSL_ISQ_E10value_typeET4_jRbjT5_SW_jjP12ihipStream_tbEUlT_E0_NS1_11comp_targetILNS1_3genE3ELNS1_11target_archE908ELNS1_3gpuE7ELNS1_3repE0EEENS1_60segmented_radix_sort_warp_sort_medium_config_static_selectorELNS0_4arch9wavefront6targetE1EEEvSK_.numbered_sgpr, 0
	.set _ZN7rocprim17ROCPRIM_400000_NS6detail17trampoline_kernelINS0_14default_configENS1_36segmented_radix_sort_config_selectorIalEEZNS1_25segmented_radix_sort_implIS3_Lb0EPKaPaPKlPlN2at6native12_GLOBAL__N_18offset_tEEE10hipError_tPvRmT1_PNSt15iterator_traitsISK_E10value_typeET2_T3_PNSL_ISQ_E10value_typeET4_jRbjT5_SW_jjP12ihipStream_tbEUlT_E0_NS1_11comp_targetILNS1_3genE3ELNS1_11target_archE908ELNS1_3gpuE7ELNS1_3repE0EEENS1_60segmented_radix_sort_warp_sort_medium_config_static_selectorELNS0_4arch9wavefront6targetE1EEEvSK_.num_named_barrier, 0
	.set _ZN7rocprim17ROCPRIM_400000_NS6detail17trampoline_kernelINS0_14default_configENS1_36segmented_radix_sort_config_selectorIalEEZNS1_25segmented_radix_sort_implIS3_Lb0EPKaPaPKlPlN2at6native12_GLOBAL__N_18offset_tEEE10hipError_tPvRmT1_PNSt15iterator_traitsISK_E10value_typeET2_T3_PNSL_ISQ_E10value_typeET4_jRbjT5_SW_jjP12ihipStream_tbEUlT_E0_NS1_11comp_targetILNS1_3genE3ELNS1_11target_archE908ELNS1_3gpuE7ELNS1_3repE0EEENS1_60segmented_radix_sort_warp_sort_medium_config_static_selectorELNS0_4arch9wavefront6targetE1EEEvSK_.private_seg_size, 0
	.set _ZN7rocprim17ROCPRIM_400000_NS6detail17trampoline_kernelINS0_14default_configENS1_36segmented_radix_sort_config_selectorIalEEZNS1_25segmented_radix_sort_implIS3_Lb0EPKaPaPKlPlN2at6native12_GLOBAL__N_18offset_tEEE10hipError_tPvRmT1_PNSt15iterator_traitsISK_E10value_typeET2_T3_PNSL_ISQ_E10value_typeET4_jRbjT5_SW_jjP12ihipStream_tbEUlT_E0_NS1_11comp_targetILNS1_3genE3ELNS1_11target_archE908ELNS1_3gpuE7ELNS1_3repE0EEENS1_60segmented_radix_sort_warp_sort_medium_config_static_selectorELNS0_4arch9wavefront6targetE1EEEvSK_.uses_vcc, 0
	.set _ZN7rocprim17ROCPRIM_400000_NS6detail17trampoline_kernelINS0_14default_configENS1_36segmented_radix_sort_config_selectorIalEEZNS1_25segmented_radix_sort_implIS3_Lb0EPKaPaPKlPlN2at6native12_GLOBAL__N_18offset_tEEE10hipError_tPvRmT1_PNSt15iterator_traitsISK_E10value_typeET2_T3_PNSL_ISQ_E10value_typeET4_jRbjT5_SW_jjP12ihipStream_tbEUlT_E0_NS1_11comp_targetILNS1_3genE3ELNS1_11target_archE908ELNS1_3gpuE7ELNS1_3repE0EEENS1_60segmented_radix_sort_warp_sort_medium_config_static_selectorELNS0_4arch9wavefront6targetE1EEEvSK_.uses_flat_scratch, 0
	.set _ZN7rocprim17ROCPRIM_400000_NS6detail17trampoline_kernelINS0_14default_configENS1_36segmented_radix_sort_config_selectorIalEEZNS1_25segmented_radix_sort_implIS3_Lb0EPKaPaPKlPlN2at6native12_GLOBAL__N_18offset_tEEE10hipError_tPvRmT1_PNSt15iterator_traitsISK_E10value_typeET2_T3_PNSL_ISQ_E10value_typeET4_jRbjT5_SW_jjP12ihipStream_tbEUlT_E0_NS1_11comp_targetILNS1_3genE3ELNS1_11target_archE908ELNS1_3gpuE7ELNS1_3repE0EEENS1_60segmented_radix_sort_warp_sort_medium_config_static_selectorELNS0_4arch9wavefront6targetE1EEEvSK_.has_dyn_sized_stack, 0
	.set _ZN7rocprim17ROCPRIM_400000_NS6detail17trampoline_kernelINS0_14default_configENS1_36segmented_radix_sort_config_selectorIalEEZNS1_25segmented_radix_sort_implIS3_Lb0EPKaPaPKlPlN2at6native12_GLOBAL__N_18offset_tEEE10hipError_tPvRmT1_PNSt15iterator_traitsISK_E10value_typeET2_T3_PNSL_ISQ_E10value_typeET4_jRbjT5_SW_jjP12ihipStream_tbEUlT_E0_NS1_11comp_targetILNS1_3genE3ELNS1_11target_archE908ELNS1_3gpuE7ELNS1_3repE0EEENS1_60segmented_radix_sort_warp_sort_medium_config_static_selectorELNS0_4arch9wavefront6targetE1EEEvSK_.has_recursion, 0
	.set _ZN7rocprim17ROCPRIM_400000_NS6detail17trampoline_kernelINS0_14default_configENS1_36segmented_radix_sort_config_selectorIalEEZNS1_25segmented_radix_sort_implIS3_Lb0EPKaPaPKlPlN2at6native12_GLOBAL__N_18offset_tEEE10hipError_tPvRmT1_PNSt15iterator_traitsISK_E10value_typeET2_T3_PNSL_ISQ_E10value_typeET4_jRbjT5_SW_jjP12ihipStream_tbEUlT_E0_NS1_11comp_targetILNS1_3genE3ELNS1_11target_archE908ELNS1_3gpuE7ELNS1_3repE0EEENS1_60segmented_radix_sort_warp_sort_medium_config_static_selectorELNS0_4arch9wavefront6targetE1EEEvSK_.has_indirect_call, 0
	.section	.AMDGPU.csdata,"",@progbits
; Kernel info:
; codeLenInByte = 0
; TotalNumSgprs: 4
; NumVgprs: 0
; ScratchSize: 0
; MemoryBound: 0
; FloatMode: 240
; IeeeMode: 1
; LDSByteSize: 0 bytes/workgroup (compile time only)
; SGPRBlocks: 0
; VGPRBlocks: 0
; NumSGPRsForWavesPerEU: 4
; NumVGPRsForWavesPerEU: 1
; Occupancy: 10
; WaveLimiterHint : 0
; COMPUTE_PGM_RSRC2:SCRATCH_EN: 0
; COMPUTE_PGM_RSRC2:USER_SGPR: 6
; COMPUTE_PGM_RSRC2:TRAP_HANDLER: 0
; COMPUTE_PGM_RSRC2:TGID_X_EN: 1
; COMPUTE_PGM_RSRC2:TGID_Y_EN: 0
; COMPUTE_PGM_RSRC2:TGID_Z_EN: 0
; COMPUTE_PGM_RSRC2:TIDIG_COMP_CNT: 0
	.text
	.p2align	2                               ; -- Begin function _ZN7rocprim17ROCPRIM_400000_NS6detail26segmented_warp_sort_helperINS1_20WarpSortHelperConfigILj16ELj8ELj256EEEalLi256ELb0EvE4sortIPKaPaPKlPlEEvT_T0_T1_T2_jjjjRNS5_12storage_typeE
	.type	_ZN7rocprim17ROCPRIM_400000_NS6detail26segmented_warp_sort_helperINS1_20WarpSortHelperConfigILj16ELj8ELj256EEEalLi256ELb0EvE4sortIPKaPaPKlPlEEvT_T0_T1_T2_jjjjRNS5_12storage_typeE,@function
_ZN7rocprim17ROCPRIM_400000_NS6detail26segmented_warp_sort_helperINS1_20WarpSortHelperConfigILj16ELj8ELj256EEEalLi256ELb0EvE4sortIPKaPaPKlPlEEvT_T0_T1_T2_jjjjRNS5_12storage_typeE: ; @_ZN7rocprim17ROCPRIM_400000_NS6detail26segmented_warp_sort_helperINS1_20WarpSortHelperConfigILj16ELj8ELj256EEEalLi256ELb0EvE4sortIPKaPaPKlPlEEvT_T0_T1_T2_jjjjRNS5_12storage_typeE
; %bb.0:
	s_waitcnt vmcnt(0) expcnt(0) lgkmcnt(0)
	v_mbcnt_lo_u32_b32 v13, -1, 0
	v_mbcnt_hi_u32_b32 v13, -1, v13
	v_add_co_u32_e32 v0, vcc, v0, v8
	v_lshlrev_b32_e32 v34, 3, v13
	v_addc_co_u32_e32 v1, vcc, 0, v1, vcc
	v_and_b32_e32 v32, 0x78, v34
	v_add_co_u32_e32 v0, vcc, v0, v32
	v_sub_u32_e32 v12, v9, v8
	v_addc_co_u32_e32 v1, vcc, 0, v1, vcc
	v_mov_b32_e32 v20, 0x7f
	v_mov_b32_e32 v9, 0
	v_cmp_lt_u32_e32 vcc, v32, v12
	v_mov_b32_e32 v37, 0x7f
	v_mov_b32_e32 v35, 0x7f
	v_mov_b32_e32 v21, v20
	v_mov_b32_e32 v36, 0x7f
	v_mov_b32_e32 v39, v20
	v_mov_b32_e32 v38, v20
	v_mov_b32_e32 v24, 0x7f
	s_and_saveexec_b64 s[4:5], vcc
	s_cbranch_execz .LBB407_2
; %bb.1:
	flat_load_ubyte v20, v[0:1]
	v_mov_b32_e32 v35, 0x7f
	v_mov_b32_e32 v37, 0x7f
	;; [unrolled: 1-line block ×7, first 2 shown]
.LBB407_2:
	s_or_b64 exec, exec, s[4:5]
	v_or_b32_e32 v13, 1, v32
	v_cmp_lt_u32_e64 s[4:5], v13, v12
	s_and_saveexec_b64 s[6:7], s[4:5]
	s_cbranch_execz .LBB407_4
; %bb.3:
	flat_load_ubyte v35, v[0:1] offset:1
.LBB407_4:
	s_or_b64 exec, exec, s[6:7]
	v_or_b32_e32 v13, 2, v32
	v_cmp_lt_u32_e64 s[6:7], v13, v12
	s_and_saveexec_b64 s[10:11], s[6:7]
	s_cbranch_execz .LBB407_6
; %bb.5:
	flat_load_ubyte v36, v[0:1] offset:2
.LBB407_6:
	s_or_b64 exec, exec, s[10:11]
	v_or_b32_e32 v13, 3, v32
	v_cmp_lt_u32_e64 s[18:19], v13, v12
	s_and_saveexec_b64 s[10:11], s[18:19]
	s_cbranch_execz .LBB407_8
; %bb.7:
	flat_load_ubyte v24, v[0:1] offset:3
.LBB407_8:
	s_or_b64 exec, exec, s[10:11]
	v_or_b32_e32 v13, 4, v32
	v_cmp_lt_u32_e64 s[10:11], v13, v12
	s_and_saveexec_b64 s[14:15], s[10:11]
	s_cbranch_execz .LBB407_10
; %bb.9:
	flat_load_ubyte v21, v[0:1] offset:4
.LBB407_10:
	s_or_b64 exec, exec, s[14:15]
	v_or_b32_e32 v13, 5, v32
	v_cmp_lt_u32_e64 s[26:27], v13, v12
	s_and_saveexec_b64 s[14:15], s[26:27]
	s_cbranch_execz .LBB407_12
; %bb.11:
	flat_load_ubyte v39, v[0:1] offset:5
.LBB407_12:
	s_or_b64 exec, exec, s[14:15]
	v_or_b32_e32 v13, 6, v32
	v_cmp_lt_u32_e64 s[14:15], v13, v12
	s_and_saveexec_b64 s[16:17], s[14:15]
	s_cbranch_execz .LBB407_14
; %bb.13:
	flat_load_ubyte v38, v[0:1] offset:6
.LBB407_14:
	s_or_b64 exec, exec, s[16:17]
	v_or_b32_e32 v13, 7, v32
	v_cmp_lt_u32_e64 s[16:17], v13, v12
	s_and_saveexec_b64 s[20:21], s[16:17]
	s_cbranch_execz .LBB407_16
; %bb.15:
	flat_load_ubyte v37, v[0:1] offset:7
.LBB407_16:
	s_or_b64 exec, exec, s[20:21]
	v_lshlrev_b64 v[0:1], 3, v[8:9]
	v_lshlrev_b32_e32 v33, 3, v32
	v_add_co_u32_e64 v4, s[20:21], v4, v0
	v_addc_co_u32_e64 v5, s[20:21], v5, v1, s[20:21]
	v_add_co_u32_e64 v29, s[20:21], v4, v33
	v_addc_co_u32_e64 v30, s[20:21], 0, v5, s[20:21]
	; wave barrier
                                        ; implicit-def: $vgpr4_vgpr5
	s_and_saveexec_b64 s[20:21], vcc
	s_cbranch_execnz .LBB407_135
; %bb.17:
	s_or_b64 exec, exec, s[20:21]
                                        ; implicit-def: $vgpr12_vgpr13
	s_and_saveexec_b64 s[20:21], s[4:5]
	s_cbranch_execnz .LBB407_136
.LBB407_18:
	s_or_b64 exec, exec, s[20:21]
                                        ; implicit-def: $vgpr14_vgpr15
	s_and_saveexec_b64 s[20:21], s[6:7]
	s_cbranch_execnz .LBB407_137
.LBB407_19:
	s_or_b64 exec, exec, s[20:21]
                                        ; implicit-def: $vgpr16_vgpr17
	s_and_saveexec_b64 s[20:21], s[18:19]
	s_cbranch_execnz .LBB407_138
.LBB407_20:
	s_or_b64 exec, exec, s[20:21]
                                        ; implicit-def: $vgpr22_vgpr23
	s_and_saveexec_b64 s[20:21], s[10:11]
	s_cbranch_execnz .LBB407_139
.LBB407_21:
	s_or_b64 exec, exec, s[20:21]
                                        ; implicit-def: $vgpr18_vgpr19
	s_and_saveexec_b64 s[20:21], s[26:27]
	s_cbranch_execnz .LBB407_140
.LBB407_22:
	s_or_b64 exec, exec, s[20:21]
                                        ; implicit-def: $vgpr25_vgpr26
	s_and_saveexec_b64 s[20:21], s[14:15]
	s_cbranch_execnz .LBB407_141
.LBB407_23:
	s_or_b64 exec, exec, s[20:21]
                                        ; implicit-def: $vgpr27_vgpr28
	s_and_saveexec_b64 s[20:21], s[16:17]
	s_cbranch_execz .LBB407_25
.LBB407_24:
	flat_load_dwordx2 v[27:28], v[29:30] offset:56
.LBB407_25:
	s_or_b64 exec, exec, s[20:21]
	v_cmp_ne_u32_e64 s[20:21], 0, v10
	v_cmp_ne_u32_e64 s[22:23], 8, v11
	s_or_b64 s[20:21], s[20:21], s[22:23]
	v_bfe_u32 v9, v31, 10, 10
	v_bfe_u32 v29, v31, 20, 10
	; wave barrier
	s_and_saveexec_b64 s[22:23], s[20:21]
	s_xor_b64 s[56:57], exec, s[22:23]
	s_cbranch_execz .LBB407_71
; %bb.26:
	s_load_dwordx2 s[20:21], s[8:9], 0x0
	v_mov_b32_e32 v30, 0
	v_lshlrev_b32_e64 v11, v11, -1
	v_lshlrev_b32_e64 v10, v10, -1
	s_movk_i32 s24, 0x800
	s_waitcnt lgkmcnt(0)
	s_cmp_lt_u32 s13, s21
	s_cselect_b32 s21, 14, 20
	s_add_u32 s22, s8, s21
	s_addc_u32 s23, s9, 0
	s_cmp_lt_u32 s12, s20
	s_cselect_b32 s20, 12, 18
	s_add_u32 s20, s8, s20
	s_addc_u32 s21, s9, 0
	global_load_ushort v48, v30, s[22:23]
	global_load_ushort v49, v30, s[20:21]
	v_xor_b32_e32 v11, v11, v10
	s_waitcnt vmcnt(0)
	v_mad_u32_u24 v9, v29, v48, v9
	v_mul_lo_u32 v9, v9, v49
	v_and_b32_e32 v29, 0x3ff, v31
	v_add_lshl_u32 v29, v9, v29, 3
	v_cmp_gt_u32_e64 s[20:21], s24, v29
	s_and_saveexec_b64 s[22:23], s[20:21]
	s_cbranch_execz .LBB407_30
; %bb.27:
	s_mov_b32 s20, 0xc0c0004
	v_perm_b32 v9, v21, v39, s20
	v_perm_b32 v10, v38, v37, s20
	;; [unrolled: 1-line block ×3, first 2 shown]
	v_lshl_or_b32 v9, v10, 16, v9
	v_perm_b32 v10, v20, v35, s20
	v_and_b32_e32 v21, v35, v11
	v_and_b32_e32 v30, v20, v11
	v_perm_b32 v20, v35, v20, s20
	v_lshlrev_b32_e32 v24, 16, v24
	v_or_b32_e32 v20, v20, v24
	v_or_b32_e32 v10, v10, v24
	v_cmp_gt_i16_sdwa s[20:21], sext(v30), sext(v21) src0_sel:BYTE_0 src1_sel:BYTE_0
	v_cndmask_b32_e64 v10, v10, v20, s[20:21]
	v_cndmask_b32_e64 v21, v12, v4, s[20:21]
	;; [unrolled: 1-line block ×3, first 2 shown]
	v_lshrrev_b32_e32 v12, 16, v10
	s_mov_b32 s28, 0xc0c0001
	v_cndmask_b32_e64 v24, v13, v5, s[20:21]
	v_cndmask_b32_e64 v5, v5, v13, s[20:21]
	v_perm_b32 v13, 0, v12, s28
	v_and_b32_sdwa v20, v10, v11 dst_sel:DWORD dst_unused:UNUSED_PAD src0_sel:BYTE_3 src1_sel:DWORD
	v_and_b32_e32 v12, v12, v11
	v_cmp_gt_i16_sdwa s[20:21], sext(v12), sext(v20) src0_sel:BYTE_0 src1_sel:BYTE_0
	v_lshlrev_b32_e32 v13, 16, v13
	s_mov_b32 s25, 0xffff
	v_cndmask_b32_e64 v12, v16, v14, s[20:21]
	v_cndmask_b32_e64 v14, v14, v16, s[20:21]
	v_lshrrev_b32_e32 v16, 8, v9
	v_and_or_b32 v13, v10, s25, v13
	v_cndmask_b32_e64 v20, v17, v15, s[20:21]
	v_cndmask_b32_e64 v15, v15, v17, s[20:21]
	s_mov_b32 s42, 0x7060405
	v_and_b32_e32 v16, v16, v11
	v_and_b32_e32 v17, v9, v11
	v_cndmask_b32_e64 v10, v10, v13, s[20:21]
	v_perm_b32 v13, v9, v9, s42
	v_cmp_gt_i16_sdwa s[20:21], sext(v17), sext(v16) src0_sel:BYTE_0 src1_sel:BYTE_0
	v_cndmask_b32_e64 v9, v9, v13, s[20:21]
	v_cndmask_b32_e64 v16, v22, v18, s[20:21]
	;; [unrolled: 1-line block ×3, first 2 shown]
	v_and_b32_sdwa v13, v9, v11 dst_sel:DWORD dst_unused:UNUSED_PAD src0_sel:BYTE_3 src1_sel:DWORD
	v_and_b32_sdwa v22, v9, v11 dst_sel:DWORD dst_unused:UNUSED_PAD src0_sel:WORD_1 src1_sel:DWORD
	s_mov_b32 s40, 0x6070504
	v_cndmask_b32_e64 v17, v23, v19, s[20:21]
	v_cndmask_b32_e64 v19, v19, v23, s[20:21]
	v_perm_b32 v23, v9, v9, s40
	v_cmp_gt_i16_sdwa s[20:21], sext(v22), sext(v13) src0_sel:BYTE_0 src1_sel:BYTE_0
	v_cndmask_b32_e64 v9, v9, v23, s[20:21]
	v_lshrrev_b32_e32 v23, 8, v10
	v_cndmask_b32_e64 v13, v25, v27, s[20:21]
	v_cndmask_b32_e64 v25, v27, v25, s[20:21]
	v_and_b32_sdwa v27, v10, v11 dst_sel:DWORD dst_unused:UNUSED_PAD src0_sel:WORD_1 src1_sel:DWORD
	v_and_b32_e32 v23, v23, v11
	s_mov_b32 s29, 0x7050604
	v_cndmask_b32_e64 v22, v26, v28, s[20:21]
	v_cndmask_b32_e64 v26, v28, v26, s[20:21]
	v_perm_b32 v28, v10, v10, s29
	v_cmp_gt_i16_sdwa s[20:21], sext(v23), sext(v27) src0_sel:BYTE_0 src1_sel:BYTE_0
	v_cndmask_b32_e64 v10, v10, v28, s[20:21]
	s_movk_i32 s43, 0xff
	v_cndmask_b32_e64 v23, v15, v24, s[20:21]
	v_cndmask_b32_e64 v15, v24, v15, s[20:21]
	v_and_b32_sdwa v24, v10, s43 dst_sel:DWORD dst_unused:UNUSED_PAD src0_sel:WORD_1 src1_sel:DWORD
	v_lshlrev_b16_e32 v28, 8, v9
	s_mov_b32 s41, 0x3020107
	v_or_b32_sdwa v24, v24, v28 dst_sel:WORD_1 dst_unused:UNUSED_PAD src0_sel:DWORD src1_sel:DWORD
	v_and_b32_e32 v28, v9, v11
	v_and_b32_sdwa v30, v10, v11 dst_sel:DWORD dst_unused:UNUSED_PAD src0_sel:BYTE_3 src1_sel:DWORD
	v_cndmask_b32_e64 v27, v14, v21, s[20:21]
	v_cndmask_b32_e64 v14, v21, v14, s[20:21]
	v_perm_b32 v21, v10, v9, s41
	v_cmp_gt_i16_sdwa s[20:21], sext(v30), sext(v28) src0_sel:BYTE_0 src1_sel:BYTE_0
	v_cndmask_b32_e64 v9, v9, v21, s[20:21]
	v_cndmask_b32_e64 v30, v12, v16, s[20:21]
	;; [unrolled: 1-line block ×3, first 2 shown]
	v_lshrrev_b32_e32 v16, 8, v9
	v_and_or_b32 v24, v10, s25, v24
	v_cndmask_b32_e64 v28, v20, v17, s[20:21]
	v_cndmask_b32_e64 v17, v17, v20, s[20:21]
	v_and_b32_sdwa v20, v9, v11 dst_sel:DWORD dst_unused:UNUSED_PAD src0_sel:WORD_1 src1_sel:DWORD
	v_and_b32_e32 v16, v16, v11
	v_cndmask_b32_e64 v10, v10, v24, s[20:21]
	v_perm_b32 v21, v9, v9, s29
	v_cmp_gt_i16_sdwa s[20:21], sext(v16), sext(v20) src0_sel:BYTE_0 src1_sel:BYTE_0
	v_cndmask_b32_e64 v9, v9, v21, s[20:21]
	v_lshrrev_b32_e32 v21, 8, v10
	v_cndmask_b32_e64 v16, v19, v22, s[20:21]
	v_cndmask_b32_e64 v20, v18, v13, s[20:21]
	;; [unrolled: 1-line block ×4, first 2 shown]
	v_perm_b32 v18, 0, v10, s28
	s_mov_b32 s44, 0xffff0000
	v_and_b32_e32 v21, v21, v11
	v_and_b32_e32 v22, v10, v11
	v_and_or_b32 v18, v10, s44, v18
	v_cmp_gt_i16_sdwa s[20:21], sext(v22), sext(v21) src0_sel:BYTE_0 src1_sel:BYTE_0
	v_cndmask_b32_e64 v10, v10, v18, s[20:21]
	v_cndmask_b32_e64 v21, v14, v4, s[20:21]
	v_cndmask_b32_e64 v4, v4, v14, s[20:21]
	v_lshrrev_b32_e32 v14, 16, v10
	v_cndmask_b32_e64 v22, v15, v5, s[20:21]
	v_cndmask_b32_e64 v5, v5, v15, s[20:21]
	v_perm_b32 v15, 0, v14, s28
	v_and_b32_sdwa v18, v10, v11 dst_sel:DWORD dst_unused:UNUSED_PAD src0_sel:BYTE_3 src1_sel:DWORD
	v_and_b32_e32 v14, v14, v11
	v_cmp_gt_i16_sdwa s[20:21], sext(v14), sext(v18) src0_sel:BYTE_0 src1_sel:BYTE_0
	v_lshlrev_b32_e32 v15, 16, v15
	v_cndmask_b32_e64 v14, v30, v27, s[20:21]
	v_cndmask_b32_e64 v24, v27, v30, s[20:21]
	v_lshrrev_b32_e32 v27, 8, v9
	v_and_or_b32 v15, v10, s25, v15
	v_cndmask_b32_e64 v18, v28, v23, s[20:21]
	v_cndmask_b32_e64 v23, v23, v28, s[20:21]
	v_and_b32_e32 v27, v27, v11
	v_and_b32_e32 v28, v9, v11
	v_cndmask_b32_e64 v10, v10, v15, s[20:21]
	v_perm_b32 v15, v9, v9, s42
	v_cmp_gt_i16_sdwa s[20:21], sext(v28), sext(v27) src0_sel:BYTE_0 src1_sel:BYTE_0
	v_cndmask_b32_e64 v9, v9, v15, s[20:21]
	v_cndmask_b32_e64 v28, v17, v16, s[20:21]
	;; [unrolled: 1-line block ×3, first 2 shown]
	v_and_b32_sdwa v15, v9, v11 dst_sel:DWORD dst_unused:UNUSED_PAD src0_sel:BYTE_3 src1_sel:DWORD
	v_and_b32_sdwa v17, v9, v11 dst_sel:DWORD dst_unused:UNUSED_PAD src0_sel:WORD_1 src1_sel:DWORD
	v_cndmask_b32_e64 v27, v12, v20, s[20:21]
	v_cndmask_b32_e64 v12, v20, v12, s[20:21]
	v_perm_b32 v20, v9, v9, s40
	v_cmp_gt_i16_sdwa s[20:21], sext(v17), sext(v15) src0_sel:BYTE_0 src1_sel:BYTE_0
	v_cndmask_b32_e64 v9, v9, v20, s[20:21]
	v_lshrrev_b32_e32 v20, 8, v10
	v_cndmask_b32_e64 v15, v13, v25, s[20:21]
	v_cndmask_b32_e64 v13, v25, v13, s[20:21]
	v_and_b32_sdwa v25, v10, v11 dst_sel:DWORD dst_unused:UNUSED_PAD src0_sel:WORD_1 src1_sel:DWORD
	v_and_b32_e32 v20, v20, v11
	v_cndmask_b32_e64 v17, v19, v26, s[20:21]
	v_cndmask_b32_e64 v19, v26, v19, s[20:21]
	v_perm_b32 v26, v10, v10, s29
	v_cmp_gt_i16_sdwa s[20:21], sext(v20), sext(v25) src0_sel:BYTE_0 src1_sel:BYTE_0
	v_cndmask_b32_e64 v10, v10, v26, s[20:21]
	v_cndmask_b32_e64 v25, v24, v21, s[20:21]
	v_cndmask_b32_e64 v21, v21, v24, s[20:21]
	v_and_b32_sdwa v24, v10, s43 dst_sel:DWORD dst_unused:UNUSED_PAD src0_sel:WORD_1 src1_sel:DWORD
	v_lshlrev_b16_e32 v26, 8, v9
	v_or_b32_sdwa v24, v24, v26 dst_sel:WORD_1 dst_unused:UNUSED_PAD src0_sel:DWORD src1_sel:DWORD
	v_and_b32_e32 v26, v9, v11
	v_and_b32_sdwa v30, v10, v11 dst_sel:DWORD dst_unused:UNUSED_PAD src0_sel:BYTE_3 src1_sel:DWORD
	v_cndmask_b32_e64 v20, v23, v22, s[20:21]
	v_cndmask_b32_e64 v22, v22, v23, s[20:21]
	v_perm_b32 v23, v10, v9, s41
	v_cmp_gt_i16_sdwa s[20:21], sext(v30), sext(v26) src0_sel:BYTE_0 src1_sel:BYTE_0
	v_cndmask_b32_e64 v9, v9, v23, s[20:21]
	v_and_or_b32 v24, v10, s25, v24
	v_lshrrev_b32_e32 v23, 8, v9
	v_cndmask_b32_e64 v10, v10, v24, s[20:21]
	v_and_b32_sdwa v24, v9, v11 dst_sel:DWORD dst_unused:UNUSED_PAD src0_sel:WORD_1 src1_sel:DWORD
	v_and_b32_e32 v23, v23, v11
	v_cndmask_b32_e64 v26, v18, v28, s[20:21]
	v_cndmask_b32_e64 v30, v14, v27, s[20:21]
	;; [unrolled: 1-line block ×4, first 2 shown]
	v_cmp_gt_i16_sdwa s[20:21], sext(v23), sext(v24) src0_sel:BYTE_0 src1_sel:BYTE_0
	v_perm_b32 v27, v9, v9, s29
	v_cndmask_b32_e64 v23, v16, v17, s[20:21]
	v_cndmask_b32_e64 v16, v17, v16, s[20:21]
	v_lshrrev_b32_e32 v17, 8, v10
	v_cndmask_b32_e64 v24, v12, v15, s[20:21]
	v_cndmask_b32_e64 v12, v15, v12, s[20:21]
	;; [unrolled: 1-line block ×3, first 2 shown]
	v_perm_b32 v15, 0, v10, s28
	v_and_b32_e32 v17, v17, v11
	v_and_b32_e32 v27, v10, v11
	v_and_or_b32 v15, v10, s44, v15
	v_cmp_gt_i16_sdwa s[20:21], sext(v27), sext(v17) src0_sel:BYTE_0 src1_sel:BYTE_0
	v_cndmask_b32_e64 v10, v10, v15, s[20:21]
	v_lshrrev_b32_e32 v15, 16, v10
	v_cndmask_b32_e64 v17, v21, v4, s[20:21]
	v_cndmask_b32_e64 v27, v22, v5, s[20:21]
	;; [unrolled: 1-line block ×4, first 2 shown]
	v_perm_b32 v21, 0, v15, s28
	v_and_b32_sdwa v22, v10, v11 dst_sel:DWORD dst_unused:UNUSED_PAD src0_sel:BYTE_3 src1_sel:DWORD
	v_and_b32_e32 v15, v15, v11
	v_cmp_gt_i16_sdwa s[20:21], sext(v15), sext(v22) src0_sel:BYTE_0 src1_sel:BYTE_0
	v_lshlrev_b32_e32 v21, 16, v21
	v_cndmask_b32_e64 v22, v26, v20, s[20:21]
	v_cndmask_b32_e64 v20, v20, v26, s[20:21]
	v_lshrrev_b32_e32 v26, 8, v9
	v_and_or_b32 v21, v10, s25, v21
	v_and_b32_e32 v26, v26, v11
	v_and_b32_e32 v28, v9, v11
	v_cndmask_b32_e64 v15, v30, v25, s[20:21]
	v_cndmask_b32_e64 v25, v25, v30, s[20:21]
	;; [unrolled: 1-line block ×3, first 2 shown]
	v_perm_b32 v21, v9, v9, s42
	v_cmp_gt_i16_sdwa s[20:21], sext(v28), sext(v26) src0_sel:BYTE_0 src1_sel:BYTE_0
	v_cndmask_b32_e64 v9, v9, v21, s[20:21]
	v_cndmask_b32_e64 v28, v18, v23, s[20:21]
	;; [unrolled: 1-line block ×3, first 2 shown]
	v_and_b32_sdwa v21, v9, v11 dst_sel:DWORD dst_unused:UNUSED_PAD src0_sel:BYTE_3 src1_sel:DWORD
	v_and_b32_sdwa v23, v9, v11 dst_sel:DWORD dst_unused:UNUSED_PAD src0_sel:WORD_1 src1_sel:DWORD
	v_cndmask_b32_e64 v26, v14, v24, s[20:21]
	v_cndmask_b32_e64 v14, v24, v14, s[20:21]
	v_cmp_gt_i16_sdwa s[20:21], sext(v23), sext(v21) src0_sel:BYTE_0 src1_sel:BYTE_0
	v_cndmask_b32_e64 v21, v12, v13, s[20:21]
	v_cndmask_b32_e64 v23, v16, v19, s[20:21]
	;; [unrolled: 1-line block ×4, first 2 shown]
	v_lshrrev_b32_e32 v16, 8, v10
	v_perm_b32 v24, v9, v9, s40
	v_and_b32_sdwa v19, v10, v11 dst_sel:DWORD dst_unused:UNUSED_PAD src0_sel:WORD_1 src1_sel:DWORD
	v_and_b32_e32 v16, v16, v11
	v_cndmask_b32_e64 v9, v9, v24, s[20:21]
	v_perm_b32 v24, v10, v10, s29
	v_cmp_gt_i16_sdwa s[20:21], sext(v16), sext(v19) src0_sel:BYTE_0 src1_sel:BYTE_0
	v_cndmask_b32_e64 v10, v10, v24, s[20:21]
	v_cndmask_b32_e64 v16, v20, v27, s[20:21]
	;; [unrolled: 1-line block ×5, first 2 shown]
	v_and_b32_sdwa v25, v10, s43 dst_sel:DWORD dst_unused:UNUSED_PAD src0_sel:WORD_1 src1_sel:DWORD
	v_lshlrev_b16_e32 v27, 8, v9
	v_or_b32_sdwa v25, v25, v27 dst_sel:WORD_1 dst_unused:UNUSED_PAD src0_sel:DWORD src1_sel:DWORD
	v_and_b32_e32 v27, v9, v11
	v_and_b32_sdwa v30, v10, v11 dst_sel:DWORD dst_unused:UNUSED_PAD src0_sel:BYTE_3 src1_sel:DWORD
	v_perm_b32 v24, v10, v9, s41
	v_cmp_gt_i16_sdwa s[20:21], sext(v30), sext(v27) src0_sel:BYTE_0 src1_sel:BYTE_0
	v_cndmask_b32_e64 v9, v9, v24, s[20:21]
	v_and_or_b32 v25, v10, s25, v25
	v_lshrrev_b32_e32 v24, 8, v9
	v_cndmask_b32_e64 v10, v10, v25, s[20:21]
	v_and_b32_sdwa v25, v9, v11 dst_sel:DWORD dst_unused:UNUSED_PAD src0_sel:WORD_1 src1_sel:DWORD
	v_and_b32_e32 v24, v24, v11
	v_cndmask_b32_e64 v27, v22, v28, s[20:21]
	v_cndmask_b32_e64 v30, v15, v26, s[20:21]
	;; [unrolled: 1-line block ×4, first 2 shown]
	v_cmp_gt_i16_sdwa s[20:21], sext(v24), sext(v25) src0_sel:BYTE_0 src1_sel:BYTE_0
	v_perm_b32 v26, v9, v9, s29
	v_cndmask_b32_e64 v24, v18, v23, s[20:21]
	v_cndmask_b32_e64 v25, v14, v21, s[20:21]
	;; [unrolled: 1-line block ×4, first 2 shown]
	v_lshrrev_b32_e32 v23, 8, v10
	v_cndmask_b32_e64 v9, v9, v26, s[20:21]
	v_perm_b32 v18, 0, v10, s28
	v_and_b32_e32 v23, v23, v11
	v_and_b32_e32 v26, v10, v11
	v_and_or_b32 v18, v10, s44, v18
	v_cmp_gt_i16_sdwa s[20:21], sext(v26), sext(v23) src0_sel:BYTE_0 src1_sel:BYTE_0
	v_cndmask_b32_e64 v10, v10, v18, s[20:21]
	v_cndmask_b32_e64 v23, v17, v4, s[20:21]
	;; [unrolled: 1-line block ×3, first 2 shown]
	v_lshrrev_b32_e32 v17, 16, v10
	v_perm_b32 v18, 0, v17, s28
	v_cndmask_b32_e64 v26, v20, v5, s[20:21]
	v_cndmask_b32_e64 v5, v5, v20, s[20:21]
	v_and_b32_sdwa v20, v10, v11 dst_sel:DWORD dst_unused:UNUSED_PAD src0_sel:BYTE_3 src1_sel:DWORD
	v_and_b32_e32 v17, v17, v11
	v_lshlrev_b32_e32 v18, 16, v18
	v_and_or_b32 v18, v10, s25, v18
	v_cmp_gt_i16_sdwa s[20:21], sext(v17), sext(v20) src0_sel:BYTE_0 src1_sel:BYTE_0
	v_cndmask_b32_e64 v20, v30, v19, s[20:21]
	v_cndmask_b32_e64 v17, v19, v30, s[20:21]
	;; [unrolled: 1-line block ×3, first 2 shown]
	v_lshrrev_b32_e32 v18, 8, v9
	v_and_b32_e32 v18, v18, v11
	v_and_b32_e32 v19, v9, v11
	v_cndmask_b32_e64 v31, v27, v16, s[20:21]
	v_cndmask_b32_e64 v16, v16, v27, s[20:21]
	v_perm_b32 v10, v9, v9, s42
	v_cmp_gt_i16_sdwa s[20:21], sext(v19), sext(v18) src0_sel:BYTE_0 src1_sel:BYTE_0
	v_cndmask_b32_e64 v35, v15, v25, s[20:21]
	v_cndmask_b32_e64 v18, v25, v15, s[20:21]
	;; [unrolled: 1-line block ×3, first 2 shown]
	v_and_b32_sdwa v9, v15, v11 dst_sel:DWORD dst_unused:UNUSED_PAD src0_sel:BYTE_3 src1_sel:DWORD
	v_and_b32_sdwa v10, v15, v11 dst_sel:DWORD dst_unused:UNUSED_PAD src0_sel:WORD_1 src1_sel:DWORD
	v_cndmask_b32_e64 v36, v22, v24, s[20:21]
	v_cndmask_b32_e64 v19, v24, v22, s[20:21]
	v_cmp_gt_i16_sdwa s[20:21], sext(v10), sext(v9) src0_sel:BYTE_0 src1_sel:BYTE_0
	v_cndmask_b32_e64 v9, v14, v12, s[20:21]
	v_cndmask_b32_e64 v27, v12, v14, s[20:21]
	v_lshrrev_b32_e32 v12, 8, v30
	v_perm_b32 v22, v15, v15, s40
	v_cndmask_b32_e64 v10, v21, v13, s[20:21]
	v_cndmask_b32_e64 v28, v13, v21, s[20:21]
	v_and_b32_sdwa v13, v30, v11 dst_sel:DWORD dst_unused:UNUSED_PAD src0_sel:WORD_1 src1_sel:DWORD
	v_and_b32_e32 v12, v12, v11
	v_cndmask_b32_e64 v21, v15, v22, s[20:21]
	v_perm_b32 v22, v30, v30, s29
	v_cmp_gt_i16_sdwa s[20:21], sext(v12), sext(v13) src0_sel:BYTE_0 src1_sel:BYTE_0
	v_cndmask_b32_e64 v24, v30, v22, s[20:21]
	v_cndmask_b32_e64 v15, v16, v26, s[20:21]
	;; [unrolled: 1-line block ×5, first 2 shown]
	v_and_b32_sdwa v16, v24, s43 dst_sel:DWORD dst_unused:UNUSED_PAD src0_sel:WORD_1 src1_sel:DWORD
	v_lshlrev_b16_e32 v17, 8, v21
	v_or_b32_sdwa v16, v16, v17 dst_sel:WORD_1 dst_unused:UNUSED_PAD src0_sel:DWORD src1_sel:DWORD
	v_and_b32_e32 v17, v21, v11
	v_and_b32_sdwa v22, v24, v11 dst_sel:DWORD dst_unused:UNUSED_PAD src0_sel:BYTE_3 src1_sel:DWORD
	v_perm_b32 v25, v24, v21, s41
	v_and_or_b32 v26, v24, s25, v16
	v_cmp_gt_i16_sdwa s[20:21], sext(v22), sext(v17) src0_sel:BYTE_0 src1_sel:BYTE_0
	v_cndmask_b32_e64 v16, v20, v35, s[20:21]
	v_cndmask_b32_e64 v22, v35, v20, s[20:21]
	;; [unrolled: 1-line block ×4, first 2 shown]
	v_lshrrev_b64 v[24:25], 24, v[20:21]
	v_lshrrev_b32_e32 v39, 8, v21
	v_lshrrev_b32_e32 v38, 16, v21
	v_and_b32_e32 v25, v38, v11
	v_and_b32_e32 v26, v39, v11
	v_cmp_gt_i16_sdwa s[28:29], sext(v26), sext(v25) src0_sel:BYTE_0 src1_sel:BYTE_0
	v_mov_b32_e32 v26, v10
	v_cndmask_b32_e64 v17, v31, v36, s[20:21]
	v_cndmask_b32_e64 v23, v36, v31, s[20:21]
	v_lshrrev_b32_e32 v37, 24, v21
	v_lshrrev_b32_e32 v36, 16, v20
	;; [unrolled: 1-line block ×3, first 2 shown]
	v_mov_b32_e32 v25, v9
	s_and_saveexec_b64 s[20:21], s[28:29]
; %bb.28:
	v_mov_b32_e32 v25, v39
	v_mov_b32_e32 v26, v19
	v_swap_b32 v39, v38
	v_mov_b32_e32 v25, v18
	v_mov_b32_e32 v19, v10
	;; [unrolled: 1-line block ×3, first 2 shown]
; %bb.29:
	s_or_b64 exec, exec, s[20:21]
.LBB407_30:
	s_or_b64 exec, exec, s[22:23]
	v_and_b32_e32 v10, 0xfffffe00, v29
	v_sub_u32_e64 v29, s24, v10 clamp
	v_or_b32_e32 v48, 8, v34
	v_min_u32_e32 v48, v29, v48
	v_add_u32_e32 v49, 8, v48
	v_and_b32_e32 v50, 0x3f0, v34
	v_min_u32_e32 v49, v29, v49
	v_and_b32_e32 v51, 8, v34
	v_min_u32_e32 v51, v29, v51
	v_sub_u32_e32 v53, v48, v50
	v_sub_u32_e32 v52, v49, v48
	v_lshlrev_b32_e32 v9, 3, v10
	v_sub_u32_e64 v52, v51, v52 clamp
	v_min_u32_e32 v53, v51, v53
	v_add_u32_e32 v30, v10, v34
	v_lshl_add_u32 v31, v34, 3, v9
	v_cmp_lt_u32_e64 s[20:21], v52, v53
	ds_write_b8 v30, v20
	ds_write_b64 v31, v[4:5] offset:2048
	ds_write_b8 v30, v35 offset:1
	ds_write_b64 v31, v[12:13] offset:2056
	ds_write_b8 v30, v36 offset:2
	;; [unrolled: 2-line block ×7, first 2 shown]
	ds_write_b64 v31, v[27:28] offset:2104
	; wave barrier
	s_and_saveexec_b64 s[22:23], s[20:21]
	s_cbranch_execz .LBB407_34
; %bb.31:
	v_add_u32_e32 v54, v10, v50
	v_add3_u32 v55, v10, v48, v51
	s_mov_b64 s[24:25], 0
.LBB407_32:                             ; =>This Inner Loop Header: Depth=1
	v_add_u32_e32 v64, v53, v52
	v_lshrrev_b32_e32 v64, 1, v64
	v_add_u32_e32 v65, v54, v64
	v_xad_u32 v66, v64, -1, v55
	ds_read_u8 v66, v66
	ds_read_u8 v65, v65
	v_add_u32_e32 v67, 1, v64
	s_waitcnt lgkmcnt(1)
	v_and_b32_e32 v66, v66, v11
	s_waitcnt lgkmcnt(0)
	v_and_b32_e32 v65, v65, v11
	v_cmp_gt_i16_sdwa s[20:21], sext(v65), sext(v66) src0_sel:BYTE_0 src1_sel:BYTE_0
	v_cndmask_b32_e64 v53, v53, v64, s[20:21]
	v_cndmask_b32_e64 v52, v67, v52, s[20:21]
	v_cmp_ge_u32_e64 s[20:21], v52, v53
	s_or_b64 s[24:25], s[20:21], s[24:25]
	s_andn2_b64 exec, exec, s[24:25]
	s_cbranch_execnz .LBB407_32
; %bb.33:
	s_or_b64 exec, exec, s[24:25]
.LBB407_34:
	s_or_b64 exec, exec, s[22:23]
	v_add_u32_e32 v51, v48, v51
	v_add_u32_e32 v50, v52, v50
	v_sub_u32_e32 v51, v51, v52
	v_cmp_le_u32_e64 s[20:21], v50, v48
	v_cmp_le_u32_e64 s[22:23], v51, v49
	s_or_b64 s[20:21], s[20:21], s[22:23]
	s_and_saveexec_b64 s[58:59], s[20:21]
	s_cbranch_execz .LBB407_40
; %bb.35:
	v_cmp_lt_u32_e64 s[20:21], v50, v48
                                        ; implicit-def: $vgpr20
	s_and_saveexec_b64 s[22:23], s[20:21]
; %bb.36:
	v_add_u32_e32 v4, v10, v50
	ds_read_u8 v20, v4
; %bb.37:
	s_or_b64 exec, exec, s[22:23]
	v_cmp_ge_u32_e64 s[22:23], v51, v49
	v_cmp_lt_u32_e64 s[24:25], v51, v49
                                        ; implicit-def: $vgpr21
	s_and_saveexec_b64 s[28:29], s[24:25]
; %bb.38:
	v_add_u32_e32 v4, v10, v51
	ds_read_u8 v21, v4
; %bb.39:
	s_or_b64 exec, exec, s[28:29]
	s_waitcnt lgkmcnt(0)
	v_and_b32_e32 v4, v21, v11
	v_and_b32_e32 v5, v20, v11
	v_cmp_le_i16_sdwa s[24:25], sext(v5), sext(v4) src0_sel:BYTE_0 src1_sel:BYTE_0
	s_and_b64 s[20:21], s[20:21], s[24:25]
	s_or_b64 s[20:21], s[22:23], s[20:21]
	v_cndmask_b32_e64 v4, v51, v50, s[20:21]
	v_cndmask_b32_e64 v5, v49, v48, s[20:21]
	v_add_u32_e32 v12, 1, v4
	v_add_u32_e32 v5, -1, v5
	v_min_u32_e32 v5, v12, v5
	v_add_u32_e32 v5, v10, v5
	ds_read_u8 v5, v5
	v_lshl_add_u32 v4, v4, 3, v9
	s_waitcnt lgkmcnt(0)
	v_cndmask_b32_e64 v24, v5, v21, s[20:21]
	v_cndmask_b32_e64 v27, v20, v5, s[20:21]
	;; [unrolled: 1-line block ×4, first 2 shown]
	v_and_b32_e32 v13, v24, v11
	v_and_b32_e32 v14, v27, v11
	v_cmp_lt_u32_e64 s[24:25], v12, v48
	v_cmp_le_i16_sdwa s[28:29], sext(v14), sext(v13) src0_sel:BYTE_0 src1_sel:BYTE_0
	v_cmp_ge_u32_e64 s[22:23], v5, v49
	s_and_b64 s[24:25], s[24:25], s[28:29]
	s_or_b64 s[22:23], s[22:23], s[24:25]
	v_cndmask_b32_e64 v13, v5, v12, s[22:23]
	v_cndmask_b32_e64 v14, v49, v48, s[22:23]
	v_add_u32_e32 v15, 1, v13
	v_add_u32_e32 v14, -1, v14
	v_min_u32_e32 v14, v15, v14
	v_add_u32_e32 v14, v10, v14
	ds_read_u8 v14, v14
	v_cndmask_b32_e64 v5, v15, v5, s[22:23]
	v_cndmask_b32_e64 v12, v12, v15, s[22:23]
	v_cmp_lt_u32_e64 s[28:29], v12, v48
	v_cmp_ge_u32_e64 s[24:25], v5, v49
	s_waitcnt lgkmcnt(0)
	v_cndmask_b32_e64 v28, v14, v24, s[22:23]
	v_cndmask_b32_e64 v36, v27, v14, s[22:23]
	v_and_b32_e32 v14, v28, v11
	v_and_b32_e32 v15, v36, v11
	v_cmp_le_i16_sdwa s[40:41], sext(v15), sext(v14) src0_sel:BYTE_0 src1_sel:BYTE_0
	s_and_b64 s[28:29], s[28:29], s[40:41]
	s_or_b64 s[24:25], s[24:25], s[28:29]
	v_cndmask_b32_e64 v14, v5, v12, s[24:25]
	v_cndmask_b32_e64 v15, v49, v48, s[24:25]
	v_add_u32_e32 v16, 1, v14
	v_add_u32_e32 v15, -1, v15
	v_min_u32_e32 v15, v16, v15
	v_add_u32_e32 v15, v10, v15
	ds_read_u8 v15, v15
	v_lshl_add_u32 v14, v14, 3, v9
	v_cndmask_b32_e64 v20, v21, v20, s[20:21]
	s_waitcnt lgkmcnt(0)
	v_cndmask_b32_e64 v37, v15, v28, s[24:25]
	v_cndmask_b32_e64 v38, v36, v15, s[24:25]
	;; [unrolled: 1-line block ×4, first 2 shown]
	v_and_b32_e32 v5, v37, v11
	v_and_b32_e32 v12, v38, v11
	v_cmp_lt_u32_e64 s[40:41], v16, v48
	v_cmp_le_i16_sdwa s[42:43], sext(v12), sext(v5) src0_sel:BYTE_0 src1_sel:BYTE_0
	v_cmp_ge_u32_e64 s[28:29], v15, v49
	s_and_b64 s[40:41], s[40:41], s[42:43]
	s_or_b64 s[28:29], s[28:29], s[40:41]
	v_cndmask_b32_e64 v17, v15, v16, s[28:29]
	v_cndmask_b32_e64 v5, v49, v48, s[28:29]
	v_add_u32_e32 v18, 1, v17
	v_add_u32_e32 v5, -1, v5
	v_min_u32_e32 v5, v18, v5
	v_add_u32_e32 v5, v10, v5
	ds_read_u8 v19, v5
	v_lshl_add_u32 v12, v13, 3, v9
	ds_read_b64 v[4:5], v4 offset:2048
	ds_read_b64 v[12:13], v12 offset:2048
	v_cndmask_b32_e64 v36, v28, v36, s[24:25]
	s_waitcnt lgkmcnt(2)
	v_cndmask_b32_e64 v39, v19, v37, s[28:29]
	v_cndmask_b32_e64 v50, v38, v19, s[28:29]
	;; [unrolled: 1-line block ×4, first 2 shown]
	v_and_b32_e32 v15, v39, v11
	v_and_b32_e32 v16, v50, v11
	v_cmp_lt_u32_e64 s[42:43], v18, v48
	v_cmp_le_i16_sdwa s[44:45], sext(v16), sext(v15) src0_sel:BYTE_0 src1_sel:BYTE_0
	v_cmp_ge_u32_e64 s[40:41], v19, v49
	s_and_b64 s[42:43], s[42:43], s[44:45]
	s_or_b64 s[40:41], s[40:41], s[42:43]
	v_cndmask_b32_e64 v22, v19, v18, s[40:41]
	v_cndmask_b32_e64 v15, v49, v48, s[40:41]
	v_add_u32_e32 v23, 1, v22
	v_add_u32_e32 v15, -1, v15
	v_min_u32_e32 v15, v23, v15
	v_add_u32_e32 v15, v10, v15
	ds_read_u8 v25, v15
	v_cndmask_b32_e64 v26, v18, v23, s[40:41]
	v_cmp_lt_u32_e64 s[44:45], v26, v48
	v_lshl_add_u32 v16, v17, 3, v9
	ds_read_b64 v[14:15], v14 offset:2048
	ds_read_b64 v[16:17], v16 offset:2048
	s_waitcnt lgkmcnt(2)
	v_cndmask_b32_e64 v51, v25, v39, s[40:41]
	v_cndmask_b32_e64 v52, v50, v25, s[40:41]
	;; [unrolled: 1-line block ×3, first 2 shown]
	v_and_b32_e32 v18, v51, v11
	v_and_b32_e32 v19, v52, v11
	v_cmp_le_i16_sdwa s[46:47], sext(v19), sext(v18) src0_sel:BYTE_0 src1_sel:BYTE_0
	v_cmp_ge_u32_e64 s[42:43], v25, v49
	s_and_b64 s[44:45], s[44:45], s[46:47]
	s_or_b64 s[42:43], s[42:43], s[44:45]
	v_cndmask_b32_e64 v18, v25, v26, s[42:43]
	v_cndmask_b32_e64 v19, v49, v48, s[42:43]
	v_add_u32_e32 v35, 1, v18
	v_add_u32_e32 v19, -1, v19
	v_min_u32_e32 v19, v35, v19
	v_add_u32_e32 v19, v10, v19
	ds_read_u8 v53, v19
	v_cndmask_b32_e64 v55, v35, v25, s[42:43]
	v_cndmask_b32_e64 v64, v26, v35, s[42:43]
	v_cmp_lt_u32_e64 s[46:47], v64, v48
	v_cmp_ge_u32_e64 s[44:45], v55, v49
	s_waitcnt lgkmcnt(0)
	v_cndmask_b32_e64 v54, v53, v51, s[42:43]
	v_cndmask_b32_e64 v53, v52, v53, s[42:43]
	v_and_b32_e32 v25, v54, v11
	v_and_b32_e32 v26, v53, v11
	v_cmp_le_i16_sdwa s[60:61], sext(v26), sext(v25) src0_sel:BYTE_0 src1_sel:BYTE_0
	s_and_b64 s[46:47], s[46:47], s[60:61]
	s_or_b64 s[44:45], s[44:45], s[46:47]
	v_cndmask_b32_e64 v25, v55, v64, s[44:45]
	v_cndmask_b32_e64 v26, v49, v48, s[44:45]
	v_lshl_add_u32 v35, v25, 3, v9
	v_add_u32_e32 v65, 1, v25
	v_add_u32_e32 v25, -1, v26
	v_min_u32_e32 v25, v65, v25
	v_lshl_add_u32 v19, v22, 3, v9
	v_lshl_add_u32 v18, v18, 3, v9
	v_add_u32_e32 v66, v10, v25
	ds_read_b64 v[22:23], v19 offset:2048
	ds_read_b64 v[18:19], v18 offset:2048
	;; [unrolled: 1-line block ×3, first 2 shown]
	ds_read_u8 v66, v66
	v_cndmask_b32_e64 v35, v24, v27, s[22:23]
	v_cndmask_b32_e64 v24, v37, v38, s[28:29]
	;; [unrolled: 1-line block ×4, first 2 shown]
	s_waitcnt lgkmcnt(0)
	v_cndmask_b32_e64 v37, v66, v54, s[44:45]
	v_cndmask_b32_e64 v66, v53, v66, s[44:45]
	v_and_b32_e32 v28, v37, v11
	v_and_b32_e32 v38, v66, v11
	v_cmp_lt_u32_e64 s[22:23], v27, v48
	v_cmp_le_i16_sdwa s[24:25], sext(v38), sext(v28) src0_sel:BYTE_0 src1_sel:BYTE_0
	v_cmp_ge_u32_e64 s[20:21], v21, v49
	s_and_b64 s[22:23], s[22:23], s[24:25]
	s_or_b64 s[20:21], s[20:21], s[22:23]
	v_cndmask_b32_e64 v21, v21, v27, s[20:21]
	v_lshl_add_u32 v21, v21, 3, v9
	ds_read_b64 v[27:28], v21 offset:2048
	v_cndmask_b32_e64 v21, v39, v50, s[40:41]
	v_cndmask_b32_e64 v39, v51, v52, s[42:43]
	;; [unrolled: 1-line block ×4, first 2 shown]
.LBB407_40:
	s_or_b64 exec, exec, s[58:59]
	v_and_b32_e32 v50, 0x3e0, v34
	v_or_b32_e32 v48, 16, v50
	v_min_u32_e32 v48, v29, v48
	v_add_u32_e32 v49, 16, v48
	v_min_u32_e32 v49, v29, v49
	v_and_b32_e32 v51, 24, v34
	v_min_u32_e32 v51, v29, v51
	v_sub_u32_e32 v53, v48, v50
	v_sub_u32_e32 v52, v49, v48
	v_sub_u32_e64 v52, v51, v52 clamp
	v_min_u32_e32 v53, v51, v53
	v_cmp_lt_u32_e64 s[20:21], v52, v53
	; wave barrier
	ds_write_b8 v30, v20
	ds_write_b64 v31, v[4:5] offset:2048
	ds_write_b8 v30, v35 offset:1
	ds_write_b64 v31, v[12:13] offset:2056
	ds_write_b8 v30, v36 offset:2
	;; [unrolled: 2-line block ×7, first 2 shown]
	s_waitcnt lgkmcnt(14)
	ds_write_b64 v31, v[27:28] offset:2104
	; wave barrier
	s_and_saveexec_b64 s[22:23], s[20:21]
	s_cbranch_execz .LBB407_44
; %bb.41:
	v_add_u32_e32 v54, v10, v50
	v_add3_u32 v55, v10, v48, v51
	s_mov_b64 s[24:25], 0
.LBB407_42:                             ; =>This Inner Loop Header: Depth=1
	v_add_u32_e32 v64, v53, v52
	v_lshrrev_b32_e32 v64, 1, v64
	v_add_u32_e32 v65, v54, v64
	v_xad_u32 v66, v64, -1, v55
	ds_read_u8 v66, v66
	ds_read_u8 v65, v65
	v_add_u32_e32 v67, 1, v64
	s_waitcnt lgkmcnt(1)
	v_and_b32_e32 v66, v66, v11
	s_waitcnt lgkmcnt(0)
	v_and_b32_e32 v65, v65, v11
	v_cmp_gt_i16_sdwa s[20:21], sext(v65), sext(v66) src0_sel:BYTE_0 src1_sel:BYTE_0
	v_cndmask_b32_e64 v53, v53, v64, s[20:21]
	v_cndmask_b32_e64 v52, v67, v52, s[20:21]
	v_cmp_ge_u32_e64 s[20:21], v52, v53
	s_or_b64 s[24:25], s[20:21], s[24:25]
	s_andn2_b64 exec, exec, s[24:25]
	s_cbranch_execnz .LBB407_42
; %bb.43:
	s_or_b64 exec, exec, s[24:25]
.LBB407_44:
	s_or_b64 exec, exec, s[22:23]
	v_add_u32_e32 v51, v48, v51
	v_add_u32_e32 v50, v52, v50
	v_sub_u32_e32 v51, v51, v52
	v_cmp_le_u32_e64 s[20:21], v50, v48
	v_cmp_le_u32_e64 s[22:23], v51, v49
	s_or_b64 s[20:21], s[20:21], s[22:23]
	s_and_saveexec_b64 s[58:59], s[20:21]
	s_cbranch_execz .LBB407_50
; %bb.45:
	v_cmp_lt_u32_e64 s[20:21], v50, v48
                                        ; implicit-def: $vgpr20
	s_and_saveexec_b64 s[22:23], s[20:21]
; %bb.46:
	v_add_u32_e32 v4, v10, v50
	ds_read_u8 v20, v4
; %bb.47:
	s_or_b64 exec, exec, s[22:23]
	v_cmp_ge_u32_e64 s[22:23], v51, v49
	v_cmp_lt_u32_e64 s[24:25], v51, v49
                                        ; implicit-def: $vgpr21
	s_and_saveexec_b64 s[28:29], s[24:25]
; %bb.48:
	v_add_u32_e32 v4, v10, v51
	ds_read_u8 v21, v4
; %bb.49:
	s_or_b64 exec, exec, s[28:29]
	s_waitcnt lgkmcnt(0)
	v_and_b32_e32 v4, v21, v11
	v_and_b32_e32 v5, v20, v11
	v_cmp_le_i16_sdwa s[24:25], sext(v5), sext(v4) src0_sel:BYTE_0 src1_sel:BYTE_0
	s_and_b64 s[20:21], s[20:21], s[24:25]
	s_or_b64 s[20:21], s[22:23], s[20:21]
	v_cndmask_b32_e64 v4, v51, v50, s[20:21]
	v_cndmask_b32_e64 v5, v49, v48, s[20:21]
	v_add_u32_e32 v12, 1, v4
	v_add_u32_e32 v5, -1, v5
	v_min_u32_e32 v5, v12, v5
	v_add_u32_e32 v5, v10, v5
	ds_read_u8 v5, v5
	v_lshl_add_u32 v4, v4, 3, v9
	s_waitcnt lgkmcnt(0)
	v_cndmask_b32_e64 v24, v5, v21, s[20:21]
	v_cndmask_b32_e64 v27, v20, v5, s[20:21]
	v_cndmask_b32_e64 v5, v12, v51, s[20:21]
	v_cndmask_b32_e64 v12, v50, v12, s[20:21]
	v_and_b32_e32 v13, v24, v11
	v_and_b32_e32 v14, v27, v11
	v_cmp_lt_u32_e64 s[24:25], v12, v48
	v_cmp_le_i16_sdwa s[28:29], sext(v14), sext(v13) src0_sel:BYTE_0 src1_sel:BYTE_0
	v_cmp_ge_u32_e64 s[22:23], v5, v49
	s_and_b64 s[24:25], s[24:25], s[28:29]
	s_or_b64 s[22:23], s[22:23], s[24:25]
	v_cndmask_b32_e64 v13, v5, v12, s[22:23]
	v_cndmask_b32_e64 v14, v49, v48, s[22:23]
	v_add_u32_e32 v15, 1, v13
	v_add_u32_e32 v14, -1, v14
	v_min_u32_e32 v14, v15, v14
	v_add_u32_e32 v14, v10, v14
	ds_read_u8 v14, v14
	v_cndmask_b32_e64 v5, v15, v5, s[22:23]
	v_cndmask_b32_e64 v12, v12, v15, s[22:23]
	v_cmp_lt_u32_e64 s[28:29], v12, v48
	v_cmp_ge_u32_e64 s[24:25], v5, v49
	s_waitcnt lgkmcnt(0)
	v_cndmask_b32_e64 v28, v14, v24, s[22:23]
	v_cndmask_b32_e64 v36, v27, v14, s[22:23]
	v_and_b32_e32 v14, v28, v11
	v_and_b32_e32 v15, v36, v11
	v_cmp_le_i16_sdwa s[40:41], sext(v15), sext(v14) src0_sel:BYTE_0 src1_sel:BYTE_0
	s_and_b64 s[28:29], s[28:29], s[40:41]
	s_or_b64 s[24:25], s[24:25], s[28:29]
	v_cndmask_b32_e64 v14, v5, v12, s[24:25]
	v_cndmask_b32_e64 v15, v49, v48, s[24:25]
	v_add_u32_e32 v16, 1, v14
	v_add_u32_e32 v15, -1, v15
	v_min_u32_e32 v15, v16, v15
	v_add_u32_e32 v15, v10, v15
	ds_read_u8 v15, v15
	v_lshl_add_u32 v14, v14, 3, v9
	v_cndmask_b32_e64 v20, v21, v20, s[20:21]
	s_waitcnt lgkmcnt(0)
	v_cndmask_b32_e64 v37, v15, v28, s[24:25]
	v_cndmask_b32_e64 v38, v36, v15, s[24:25]
	;; [unrolled: 1-line block ×4, first 2 shown]
	v_and_b32_e32 v5, v37, v11
	v_and_b32_e32 v12, v38, v11
	v_cmp_lt_u32_e64 s[40:41], v16, v48
	v_cmp_le_i16_sdwa s[42:43], sext(v12), sext(v5) src0_sel:BYTE_0 src1_sel:BYTE_0
	v_cmp_ge_u32_e64 s[28:29], v15, v49
	s_and_b64 s[40:41], s[40:41], s[42:43]
	s_or_b64 s[28:29], s[28:29], s[40:41]
	v_cndmask_b32_e64 v17, v15, v16, s[28:29]
	v_cndmask_b32_e64 v5, v49, v48, s[28:29]
	v_add_u32_e32 v18, 1, v17
	v_add_u32_e32 v5, -1, v5
	v_min_u32_e32 v5, v18, v5
	v_add_u32_e32 v5, v10, v5
	ds_read_u8 v19, v5
	v_lshl_add_u32 v12, v13, 3, v9
	ds_read_b64 v[4:5], v4 offset:2048
	ds_read_b64 v[12:13], v12 offset:2048
	v_cndmask_b32_e64 v36, v28, v36, s[24:25]
	s_waitcnt lgkmcnt(2)
	v_cndmask_b32_e64 v39, v19, v37, s[28:29]
	v_cndmask_b32_e64 v50, v38, v19, s[28:29]
	v_cndmask_b32_e64 v19, v18, v15, s[28:29]
	v_cndmask_b32_e64 v18, v16, v18, s[28:29]
	v_and_b32_e32 v15, v39, v11
	v_and_b32_e32 v16, v50, v11
	v_cmp_lt_u32_e64 s[42:43], v18, v48
	v_cmp_le_i16_sdwa s[44:45], sext(v16), sext(v15) src0_sel:BYTE_0 src1_sel:BYTE_0
	v_cmp_ge_u32_e64 s[40:41], v19, v49
	s_and_b64 s[42:43], s[42:43], s[44:45]
	s_or_b64 s[40:41], s[40:41], s[42:43]
	v_cndmask_b32_e64 v22, v19, v18, s[40:41]
	v_cndmask_b32_e64 v15, v49, v48, s[40:41]
	v_add_u32_e32 v23, 1, v22
	v_add_u32_e32 v15, -1, v15
	v_min_u32_e32 v15, v23, v15
	v_add_u32_e32 v15, v10, v15
	ds_read_u8 v25, v15
	v_cndmask_b32_e64 v26, v18, v23, s[40:41]
	v_cmp_lt_u32_e64 s[44:45], v26, v48
	v_lshl_add_u32 v16, v17, 3, v9
	ds_read_b64 v[14:15], v14 offset:2048
	ds_read_b64 v[16:17], v16 offset:2048
	s_waitcnt lgkmcnt(2)
	v_cndmask_b32_e64 v51, v25, v39, s[40:41]
	v_cndmask_b32_e64 v52, v50, v25, s[40:41]
	;; [unrolled: 1-line block ×3, first 2 shown]
	v_and_b32_e32 v18, v51, v11
	v_and_b32_e32 v19, v52, v11
	v_cmp_le_i16_sdwa s[46:47], sext(v19), sext(v18) src0_sel:BYTE_0 src1_sel:BYTE_0
	v_cmp_ge_u32_e64 s[42:43], v25, v49
	s_and_b64 s[44:45], s[44:45], s[46:47]
	s_or_b64 s[42:43], s[42:43], s[44:45]
	v_cndmask_b32_e64 v18, v25, v26, s[42:43]
	v_cndmask_b32_e64 v19, v49, v48, s[42:43]
	v_add_u32_e32 v35, 1, v18
	v_add_u32_e32 v19, -1, v19
	v_min_u32_e32 v19, v35, v19
	v_add_u32_e32 v19, v10, v19
	ds_read_u8 v53, v19
	v_cndmask_b32_e64 v55, v35, v25, s[42:43]
	v_cndmask_b32_e64 v64, v26, v35, s[42:43]
	v_cmp_lt_u32_e64 s[46:47], v64, v48
	v_cmp_ge_u32_e64 s[44:45], v55, v49
	s_waitcnt lgkmcnt(0)
	v_cndmask_b32_e64 v54, v53, v51, s[42:43]
	v_cndmask_b32_e64 v53, v52, v53, s[42:43]
	v_and_b32_e32 v25, v54, v11
	v_and_b32_e32 v26, v53, v11
	v_cmp_le_i16_sdwa s[60:61], sext(v26), sext(v25) src0_sel:BYTE_0 src1_sel:BYTE_0
	s_and_b64 s[46:47], s[46:47], s[60:61]
	s_or_b64 s[44:45], s[44:45], s[46:47]
	v_cndmask_b32_e64 v25, v55, v64, s[44:45]
	v_cndmask_b32_e64 v26, v49, v48, s[44:45]
	v_lshl_add_u32 v35, v25, 3, v9
	v_add_u32_e32 v65, 1, v25
	v_add_u32_e32 v25, -1, v26
	v_min_u32_e32 v25, v65, v25
	v_lshl_add_u32 v19, v22, 3, v9
	v_lshl_add_u32 v18, v18, 3, v9
	v_add_u32_e32 v66, v10, v25
	ds_read_b64 v[22:23], v19 offset:2048
	ds_read_b64 v[18:19], v18 offset:2048
	;; [unrolled: 1-line block ×3, first 2 shown]
	ds_read_u8 v66, v66
	v_cndmask_b32_e64 v35, v24, v27, s[22:23]
	v_cndmask_b32_e64 v24, v37, v38, s[28:29]
	;; [unrolled: 1-line block ×4, first 2 shown]
	s_waitcnt lgkmcnt(0)
	v_cndmask_b32_e64 v37, v66, v54, s[44:45]
	v_cndmask_b32_e64 v66, v53, v66, s[44:45]
	v_and_b32_e32 v28, v37, v11
	v_and_b32_e32 v38, v66, v11
	v_cmp_lt_u32_e64 s[22:23], v27, v48
	v_cmp_le_i16_sdwa s[24:25], sext(v38), sext(v28) src0_sel:BYTE_0 src1_sel:BYTE_0
	v_cmp_ge_u32_e64 s[20:21], v21, v49
	s_and_b64 s[22:23], s[22:23], s[24:25]
	s_or_b64 s[20:21], s[20:21], s[22:23]
	v_cndmask_b32_e64 v21, v21, v27, s[20:21]
	v_lshl_add_u32 v21, v21, 3, v9
	ds_read_b64 v[27:28], v21 offset:2048
	v_cndmask_b32_e64 v21, v39, v50, s[40:41]
	v_cndmask_b32_e64 v39, v51, v52, s[42:43]
	;; [unrolled: 1-line block ×4, first 2 shown]
.LBB407_50:
	s_or_b64 exec, exec, s[58:59]
	v_and_b32_e32 v50, 0x3c0, v34
	v_or_b32_e32 v48, 32, v50
	v_min_u32_e32 v48, v29, v48
	v_add_u32_e32 v49, 32, v48
	v_min_u32_e32 v49, v29, v49
	v_and_b32_e32 v51, 56, v34
	v_min_u32_e32 v51, v29, v51
	v_sub_u32_e32 v53, v48, v50
	v_sub_u32_e32 v52, v49, v48
	v_sub_u32_e64 v52, v51, v52 clamp
	v_min_u32_e32 v53, v51, v53
	v_cmp_lt_u32_e64 s[20:21], v52, v53
	; wave barrier
	ds_write_b8 v30, v20
	ds_write_b64 v31, v[4:5] offset:2048
	ds_write_b8 v30, v35 offset:1
	ds_write_b64 v31, v[12:13] offset:2056
	ds_write_b8 v30, v36 offset:2
	;; [unrolled: 2-line block ×7, first 2 shown]
	s_waitcnt lgkmcnt(14)
	ds_write_b64 v31, v[27:28] offset:2104
	; wave barrier
	s_and_saveexec_b64 s[22:23], s[20:21]
	s_cbranch_execz .LBB407_54
; %bb.51:
	v_add_u32_e32 v54, v10, v50
	v_add3_u32 v55, v10, v48, v51
	s_mov_b64 s[24:25], 0
.LBB407_52:                             ; =>This Inner Loop Header: Depth=1
	v_add_u32_e32 v64, v53, v52
	v_lshrrev_b32_e32 v64, 1, v64
	v_add_u32_e32 v65, v54, v64
	v_xad_u32 v66, v64, -1, v55
	ds_read_u8 v66, v66
	ds_read_u8 v65, v65
	v_add_u32_e32 v67, 1, v64
	s_waitcnt lgkmcnt(1)
	v_and_b32_e32 v66, v66, v11
	s_waitcnt lgkmcnt(0)
	v_and_b32_e32 v65, v65, v11
	v_cmp_gt_i16_sdwa s[20:21], sext(v65), sext(v66) src0_sel:BYTE_0 src1_sel:BYTE_0
	v_cndmask_b32_e64 v53, v53, v64, s[20:21]
	v_cndmask_b32_e64 v52, v67, v52, s[20:21]
	v_cmp_ge_u32_e64 s[20:21], v52, v53
	s_or_b64 s[24:25], s[20:21], s[24:25]
	s_andn2_b64 exec, exec, s[24:25]
	s_cbranch_execnz .LBB407_52
; %bb.53:
	s_or_b64 exec, exec, s[24:25]
.LBB407_54:
	s_or_b64 exec, exec, s[22:23]
	v_add_u32_e32 v51, v48, v51
	v_add_u32_e32 v50, v52, v50
	v_sub_u32_e32 v51, v51, v52
	v_cmp_le_u32_e64 s[20:21], v50, v48
	v_cmp_le_u32_e64 s[22:23], v51, v49
	s_or_b64 s[20:21], s[20:21], s[22:23]
	s_and_saveexec_b64 s[58:59], s[20:21]
	s_cbranch_execz .LBB407_60
; %bb.55:
	v_cmp_lt_u32_e64 s[20:21], v50, v48
                                        ; implicit-def: $vgpr20
	s_and_saveexec_b64 s[22:23], s[20:21]
; %bb.56:
	v_add_u32_e32 v4, v10, v50
	ds_read_u8 v20, v4
; %bb.57:
	s_or_b64 exec, exec, s[22:23]
	v_cmp_ge_u32_e64 s[22:23], v51, v49
	v_cmp_lt_u32_e64 s[24:25], v51, v49
                                        ; implicit-def: $vgpr21
	s_and_saveexec_b64 s[28:29], s[24:25]
; %bb.58:
	v_add_u32_e32 v4, v10, v51
	ds_read_u8 v21, v4
; %bb.59:
	s_or_b64 exec, exec, s[28:29]
	s_waitcnt lgkmcnt(0)
	v_and_b32_e32 v4, v21, v11
	v_and_b32_e32 v5, v20, v11
	v_cmp_le_i16_sdwa s[24:25], sext(v5), sext(v4) src0_sel:BYTE_0 src1_sel:BYTE_0
	s_and_b64 s[20:21], s[20:21], s[24:25]
	s_or_b64 s[20:21], s[22:23], s[20:21]
	v_cndmask_b32_e64 v4, v51, v50, s[20:21]
	v_cndmask_b32_e64 v5, v49, v48, s[20:21]
	v_add_u32_e32 v12, 1, v4
	v_add_u32_e32 v5, -1, v5
	v_min_u32_e32 v5, v12, v5
	v_add_u32_e32 v5, v10, v5
	ds_read_u8 v5, v5
	v_lshl_add_u32 v4, v4, 3, v9
	s_waitcnt lgkmcnt(0)
	v_cndmask_b32_e64 v24, v5, v21, s[20:21]
	v_cndmask_b32_e64 v27, v20, v5, s[20:21]
	;; [unrolled: 1-line block ×4, first 2 shown]
	v_and_b32_e32 v13, v24, v11
	v_and_b32_e32 v14, v27, v11
	v_cmp_lt_u32_e64 s[24:25], v12, v48
	v_cmp_le_i16_sdwa s[28:29], sext(v14), sext(v13) src0_sel:BYTE_0 src1_sel:BYTE_0
	v_cmp_ge_u32_e64 s[22:23], v5, v49
	s_and_b64 s[24:25], s[24:25], s[28:29]
	s_or_b64 s[22:23], s[22:23], s[24:25]
	v_cndmask_b32_e64 v13, v5, v12, s[22:23]
	v_cndmask_b32_e64 v14, v49, v48, s[22:23]
	v_add_u32_e32 v15, 1, v13
	v_add_u32_e32 v14, -1, v14
	v_min_u32_e32 v14, v15, v14
	v_add_u32_e32 v14, v10, v14
	ds_read_u8 v14, v14
	v_cndmask_b32_e64 v5, v15, v5, s[22:23]
	v_cndmask_b32_e64 v12, v12, v15, s[22:23]
	v_cmp_lt_u32_e64 s[28:29], v12, v48
	v_cmp_ge_u32_e64 s[24:25], v5, v49
	s_waitcnt lgkmcnt(0)
	v_cndmask_b32_e64 v28, v14, v24, s[22:23]
	v_cndmask_b32_e64 v36, v27, v14, s[22:23]
	v_and_b32_e32 v14, v28, v11
	v_and_b32_e32 v15, v36, v11
	v_cmp_le_i16_sdwa s[40:41], sext(v15), sext(v14) src0_sel:BYTE_0 src1_sel:BYTE_0
	s_and_b64 s[28:29], s[28:29], s[40:41]
	s_or_b64 s[24:25], s[24:25], s[28:29]
	v_cndmask_b32_e64 v14, v5, v12, s[24:25]
	v_cndmask_b32_e64 v15, v49, v48, s[24:25]
	v_add_u32_e32 v16, 1, v14
	v_add_u32_e32 v15, -1, v15
	v_min_u32_e32 v15, v16, v15
	v_add_u32_e32 v15, v10, v15
	ds_read_u8 v15, v15
	v_lshl_add_u32 v14, v14, 3, v9
	v_cndmask_b32_e64 v20, v21, v20, s[20:21]
	s_waitcnt lgkmcnt(0)
	v_cndmask_b32_e64 v37, v15, v28, s[24:25]
	v_cndmask_b32_e64 v38, v36, v15, s[24:25]
	;; [unrolled: 1-line block ×4, first 2 shown]
	v_and_b32_e32 v5, v37, v11
	v_and_b32_e32 v12, v38, v11
	v_cmp_lt_u32_e64 s[40:41], v16, v48
	v_cmp_le_i16_sdwa s[42:43], sext(v12), sext(v5) src0_sel:BYTE_0 src1_sel:BYTE_0
	v_cmp_ge_u32_e64 s[28:29], v15, v49
	s_and_b64 s[40:41], s[40:41], s[42:43]
	s_or_b64 s[28:29], s[28:29], s[40:41]
	v_cndmask_b32_e64 v17, v15, v16, s[28:29]
	v_cndmask_b32_e64 v5, v49, v48, s[28:29]
	v_add_u32_e32 v18, 1, v17
	v_add_u32_e32 v5, -1, v5
	v_min_u32_e32 v5, v18, v5
	v_add_u32_e32 v5, v10, v5
	ds_read_u8 v19, v5
	v_lshl_add_u32 v12, v13, 3, v9
	ds_read_b64 v[4:5], v4 offset:2048
	ds_read_b64 v[12:13], v12 offset:2048
	v_cndmask_b32_e64 v36, v28, v36, s[24:25]
	s_waitcnt lgkmcnt(2)
	v_cndmask_b32_e64 v39, v19, v37, s[28:29]
	v_cndmask_b32_e64 v50, v38, v19, s[28:29]
	;; [unrolled: 1-line block ×4, first 2 shown]
	v_and_b32_e32 v15, v39, v11
	v_and_b32_e32 v16, v50, v11
	v_cmp_lt_u32_e64 s[42:43], v18, v48
	v_cmp_le_i16_sdwa s[44:45], sext(v16), sext(v15) src0_sel:BYTE_0 src1_sel:BYTE_0
	v_cmp_ge_u32_e64 s[40:41], v19, v49
	s_and_b64 s[42:43], s[42:43], s[44:45]
	s_or_b64 s[40:41], s[40:41], s[42:43]
	v_cndmask_b32_e64 v22, v19, v18, s[40:41]
	v_cndmask_b32_e64 v15, v49, v48, s[40:41]
	v_add_u32_e32 v23, 1, v22
	v_add_u32_e32 v15, -1, v15
	v_min_u32_e32 v15, v23, v15
	v_add_u32_e32 v15, v10, v15
	ds_read_u8 v25, v15
	v_cndmask_b32_e64 v26, v18, v23, s[40:41]
	v_cmp_lt_u32_e64 s[44:45], v26, v48
	v_lshl_add_u32 v16, v17, 3, v9
	ds_read_b64 v[14:15], v14 offset:2048
	ds_read_b64 v[16:17], v16 offset:2048
	s_waitcnt lgkmcnt(2)
	v_cndmask_b32_e64 v51, v25, v39, s[40:41]
	v_cndmask_b32_e64 v52, v50, v25, s[40:41]
	;; [unrolled: 1-line block ×3, first 2 shown]
	v_and_b32_e32 v18, v51, v11
	v_and_b32_e32 v19, v52, v11
	v_cmp_le_i16_sdwa s[46:47], sext(v19), sext(v18) src0_sel:BYTE_0 src1_sel:BYTE_0
	v_cmp_ge_u32_e64 s[42:43], v25, v49
	s_and_b64 s[44:45], s[44:45], s[46:47]
	s_or_b64 s[42:43], s[42:43], s[44:45]
	v_cndmask_b32_e64 v18, v25, v26, s[42:43]
	v_cndmask_b32_e64 v19, v49, v48, s[42:43]
	v_add_u32_e32 v35, 1, v18
	v_add_u32_e32 v19, -1, v19
	v_min_u32_e32 v19, v35, v19
	v_add_u32_e32 v19, v10, v19
	ds_read_u8 v53, v19
	v_cndmask_b32_e64 v55, v35, v25, s[42:43]
	v_cndmask_b32_e64 v64, v26, v35, s[42:43]
	v_cmp_lt_u32_e64 s[46:47], v64, v48
	v_cmp_ge_u32_e64 s[44:45], v55, v49
	s_waitcnt lgkmcnt(0)
	v_cndmask_b32_e64 v54, v53, v51, s[42:43]
	v_cndmask_b32_e64 v53, v52, v53, s[42:43]
	v_and_b32_e32 v25, v54, v11
	v_and_b32_e32 v26, v53, v11
	v_cmp_le_i16_sdwa s[60:61], sext(v26), sext(v25) src0_sel:BYTE_0 src1_sel:BYTE_0
	s_and_b64 s[46:47], s[46:47], s[60:61]
	s_or_b64 s[44:45], s[44:45], s[46:47]
	v_cndmask_b32_e64 v25, v55, v64, s[44:45]
	v_cndmask_b32_e64 v26, v49, v48, s[44:45]
	v_lshl_add_u32 v35, v25, 3, v9
	v_add_u32_e32 v65, 1, v25
	v_add_u32_e32 v25, -1, v26
	v_min_u32_e32 v25, v65, v25
	v_lshl_add_u32 v19, v22, 3, v9
	v_lshl_add_u32 v18, v18, 3, v9
	v_add_u32_e32 v66, v10, v25
	ds_read_b64 v[22:23], v19 offset:2048
	ds_read_b64 v[18:19], v18 offset:2048
	;; [unrolled: 1-line block ×3, first 2 shown]
	ds_read_u8 v66, v66
	v_cndmask_b32_e64 v35, v24, v27, s[22:23]
	v_cndmask_b32_e64 v24, v37, v38, s[28:29]
	;; [unrolled: 1-line block ×4, first 2 shown]
	s_waitcnt lgkmcnt(0)
	v_cndmask_b32_e64 v37, v66, v54, s[44:45]
	v_cndmask_b32_e64 v66, v53, v66, s[44:45]
	v_and_b32_e32 v28, v37, v11
	v_and_b32_e32 v38, v66, v11
	v_cmp_lt_u32_e64 s[22:23], v27, v48
	v_cmp_le_i16_sdwa s[24:25], sext(v38), sext(v28) src0_sel:BYTE_0 src1_sel:BYTE_0
	v_cmp_ge_u32_e64 s[20:21], v21, v49
	s_and_b64 s[22:23], s[22:23], s[24:25]
	s_or_b64 s[20:21], s[20:21], s[22:23]
	v_cndmask_b32_e64 v21, v21, v27, s[20:21]
	v_lshl_add_u32 v21, v21, 3, v9
	ds_read_b64 v[27:28], v21 offset:2048
	v_cndmask_b32_e64 v21, v39, v50, s[40:41]
	v_cndmask_b32_e64 v39, v51, v52, s[42:43]
	;; [unrolled: 1-line block ×4, first 2 shown]
.LBB407_60:
	s_or_b64 exec, exec, s[58:59]
	v_and_b32_e32 v34, 0x380, v34
	; wave barrier
	ds_write_b8 v30, v20
	ds_write_b64 v31, v[4:5] offset:2048
	ds_write_b8 v30, v35 offset:1
	ds_write_b64 v31, v[12:13] offset:2056
	ds_write_b8 v30, v36 offset:2
	;; [unrolled: 2-line block ×7, first 2 shown]
	s_waitcnt lgkmcnt(14)
	ds_write_b64 v31, v[27:28] offset:2104
	v_or_b32_e32 v30, 64, v34
	v_min_u32_e32 v30, v29, v30
	v_add_u32_e32 v31, 64, v30
	v_min_u32_e32 v31, v29, v31
	v_min_u32_e32 v48, v29, v32
	v_sub_u32_e32 v29, v30, v34
	v_sub_u32_e32 v49, v31, v30
	v_sub_u32_e64 v49, v48, v49 clamp
	v_min_u32_e32 v29, v48, v29
	v_cmp_lt_u32_e64 s[20:21], v49, v29
	; wave barrier
	s_and_saveexec_b64 s[22:23], s[20:21]
	s_cbranch_execz .LBB407_64
; %bb.61:
	v_add_u32_e32 v50, v10, v34
	v_add3_u32 v51, v10, v30, v48
	s_mov_b64 s[24:25], 0
.LBB407_62:                             ; =>This Inner Loop Header: Depth=1
	v_add_u32_e32 v52, v29, v49
	v_lshrrev_b32_e32 v52, 1, v52
	v_add_u32_e32 v53, v50, v52
	v_xad_u32 v54, v52, -1, v51
	ds_read_u8 v54, v54
	ds_read_u8 v53, v53
	v_add_u32_e32 v55, 1, v52
	s_waitcnt lgkmcnt(1)
	v_and_b32_e32 v54, v54, v11
	s_waitcnt lgkmcnt(0)
	v_and_b32_e32 v53, v53, v11
	v_cmp_gt_i16_sdwa s[20:21], sext(v53), sext(v54) src0_sel:BYTE_0 src1_sel:BYTE_0
	v_cndmask_b32_e64 v29, v29, v52, s[20:21]
	v_cndmask_b32_e64 v49, v55, v49, s[20:21]
	v_cmp_ge_u32_e64 s[20:21], v49, v29
	s_or_b64 s[24:25], s[20:21], s[24:25]
	s_andn2_b64 exec, exec, s[24:25]
	s_cbranch_execnz .LBB407_62
; %bb.63:
	s_or_b64 exec, exec, s[24:25]
.LBB407_64:
	s_or_b64 exec, exec, s[22:23]
	v_add_u32_e32 v29, v49, v34
	v_add_u32_e32 v34, v30, v48
	v_sub_u32_e32 v34, v34, v49
	v_cmp_le_u32_e64 s[20:21], v29, v30
	v_cmp_le_u32_e64 s[22:23], v34, v31
	s_or_b64 s[20:21], s[20:21], s[22:23]
	s_and_saveexec_b64 s[58:59], s[20:21]
	s_cbranch_execz .LBB407_70
; %bb.65:
	v_cmp_lt_u32_e64 s[20:21], v29, v30
                                        ; implicit-def: $vgpr20
	s_and_saveexec_b64 s[22:23], s[20:21]
; %bb.66:
	v_add_u32_e32 v4, v10, v29
	ds_read_u8 v20, v4
; %bb.67:
	s_or_b64 exec, exec, s[22:23]
	v_cmp_ge_u32_e64 s[22:23], v34, v31
	v_cmp_lt_u32_e64 s[24:25], v34, v31
                                        ; implicit-def: $vgpr21
	s_and_saveexec_b64 s[28:29], s[24:25]
; %bb.68:
	v_add_u32_e32 v4, v10, v34
	ds_read_u8 v21, v4
; %bb.69:
	s_or_b64 exec, exec, s[28:29]
	s_waitcnt lgkmcnt(0)
	v_and_b32_e32 v4, v21, v11
	v_and_b32_e32 v5, v20, v11
	v_cmp_le_i16_sdwa s[24:25], sext(v5), sext(v4) src0_sel:BYTE_0 src1_sel:BYTE_0
	s_and_b64 s[20:21], s[20:21], s[24:25]
	s_or_b64 s[20:21], s[22:23], s[20:21]
	v_cndmask_b32_e64 v4, v34, v29, s[20:21]
	v_cndmask_b32_e64 v5, v31, v30, s[20:21]
	v_add_u32_e32 v12, 1, v4
	v_add_u32_e32 v5, -1, v5
	v_min_u32_e32 v5, v12, v5
	v_add_u32_e32 v5, v10, v5
	ds_read_u8 v5, v5
	v_lshl_add_u32 v4, v4, 3, v9
	s_waitcnt lgkmcnt(0)
	v_cndmask_b32_e64 v24, v5, v21, s[20:21]
	v_cndmask_b32_e64 v27, v20, v5, s[20:21]
	v_cndmask_b32_e64 v5, v12, v34, s[20:21]
	v_cndmask_b32_e64 v12, v29, v12, s[20:21]
	v_and_b32_e32 v13, v24, v11
	v_and_b32_e32 v14, v27, v11
	v_cmp_lt_u32_e64 s[24:25], v12, v30
	v_cmp_le_i16_sdwa s[28:29], sext(v14), sext(v13) src0_sel:BYTE_0 src1_sel:BYTE_0
	v_cmp_ge_u32_e64 s[22:23], v5, v31
	s_and_b64 s[24:25], s[24:25], s[28:29]
	s_or_b64 s[22:23], s[22:23], s[24:25]
	v_cndmask_b32_e64 v13, v5, v12, s[22:23]
	v_cndmask_b32_e64 v14, v31, v30, s[22:23]
	v_add_u32_e32 v15, 1, v13
	v_add_u32_e32 v14, -1, v14
	v_min_u32_e32 v14, v15, v14
	v_add_u32_e32 v14, v10, v14
	ds_read_u8 v14, v14
	v_cndmask_b32_e64 v5, v15, v5, s[22:23]
	v_cndmask_b32_e64 v12, v12, v15, s[22:23]
	v_cmp_lt_u32_e64 s[28:29], v12, v30
	v_cmp_ge_u32_e64 s[24:25], v5, v31
	s_waitcnt lgkmcnt(0)
	v_cndmask_b32_e64 v28, v14, v24, s[22:23]
	v_cndmask_b32_e64 v29, v27, v14, s[22:23]
	v_and_b32_e32 v14, v28, v11
	v_and_b32_e32 v15, v29, v11
	v_cmp_le_i16_sdwa s[40:41], sext(v15), sext(v14) src0_sel:BYTE_0 src1_sel:BYTE_0
	s_and_b64 s[28:29], s[28:29], s[40:41]
	s_or_b64 s[24:25], s[24:25], s[28:29]
	v_cndmask_b32_e64 v14, v5, v12, s[24:25]
	v_cndmask_b32_e64 v15, v31, v30, s[24:25]
	v_add_u32_e32 v16, 1, v14
	v_add_u32_e32 v15, -1, v15
	v_min_u32_e32 v15, v16, v15
	v_add_u32_e32 v15, v10, v15
	ds_read_u8 v15, v15
	v_lshl_add_u32 v14, v14, 3, v9
	v_cndmask_b32_e64 v20, v21, v20, s[20:21]
	s_waitcnt lgkmcnt(0)
	v_cndmask_b32_e64 v34, v15, v28, s[24:25]
	v_cndmask_b32_e64 v37, v29, v15, s[24:25]
	;; [unrolled: 1-line block ×4, first 2 shown]
	v_and_b32_e32 v5, v34, v11
	v_and_b32_e32 v12, v37, v11
	v_cmp_lt_u32_e64 s[40:41], v16, v30
	v_cmp_le_i16_sdwa s[42:43], sext(v12), sext(v5) src0_sel:BYTE_0 src1_sel:BYTE_0
	v_cmp_ge_u32_e64 s[28:29], v15, v31
	s_and_b64 s[40:41], s[40:41], s[42:43]
	s_or_b64 s[28:29], s[28:29], s[40:41]
	v_cndmask_b32_e64 v17, v15, v16, s[28:29]
	v_cndmask_b32_e64 v5, v31, v30, s[28:29]
	v_add_u32_e32 v18, 1, v17
	v_add_u32_e32 v5, -1, v5
	v_min_u32_e32 v5, v18, v5
	v_add_u32_e32 v5, v10, v5
	ds_read_u8 v19, v5
	v_lshl_add_u32 v12, v13, 3, v9
	ds_read_b64 v[4:5], v4 offset:2048
	ds_read_b64 v[12:13], v12 offset:2048
	s_waitcnt lgkmcnt(2)
	v_cndmask_b32_e64 v38, v19, v34, s[28:29]
	v_cndmask_b32_e64 v39, v37, v19, s[28:29]
	;; [unrolled: 1-line block ×4, first 2 shown]
	v_and_b32_e32 v15, v38, v11
	v_and_b32_e32 v16, v39, v11
	v_cmp_lt_u32_e64 s[42:43], v18, v30
	v_cmp_le_i16_sdwa s[44:45], sext(v16), sext(v15) src0_sel:BYTE_0 src1_sel:BYTE_0
	v_cmp_ge_u32_e64 s[40:41], v19, v31
	s_and_b64 s[42:43], s[42:43], s[44:45]
	s_or_b64 s[40:41], s[40:41], s[42:43]
	v_cndmask_b32_e64 v22, v19, v18, s[40:41]
	v_cndmask_b32_e64 v15, v31, v30, s[40:41]
	v_add_u32_e32 v23, 1, v22
	v_add_u32_e32 v15, -1, v15
	v_min_u32_e32 v15, v23, v15
	v_add_u32_e32 v15, v10, v15
	ds_read_u8 v25, v15
	v_cndmask_b32_e64 v26, v18, v23, s[40:41]
	v_cmp_lt_u32_e64 s[44:45], v26, v30
	v_lshl_add_u32 v16, v17, 3, v9
	ds_read_b64 v[14:15], v14 offset:2048
	ds_read_b64 v[16:17], v16 offset:2048
	s_waitcnt lgkmcnt(2)
	v_cndmask_b32_e64 v48, v25, v38, s[40:41]
	v_cndmask_b32_e64 v49, v39, v25, s[40:41]
	;; [unrolled: 1-line block ×3, first 2 shown]
	v_and_b32_e32 v18, v48, v11
	v_and_b32_e32 v19, v49, v11
	v_cmp_le_i16_sdwa s[46:47], sext(v19), sext(v18) src0_sel:BYTE_0 src1_sel:BYTE_0
	v_cmp_ge_u32_e64 s[42:43], v25, v31
	s_and_b64 s[44:45], s[44:45], s[46:47]
	s_or_b64 s[42:43], s[42:43], s[44:45]
	v_cndmask_b32_e64 v18, v25, v26, s[42:43]
	v_cndmask_b32_e64 v19, v31, v30, s[42:43]
	v_add_u32_e32 v35, 1, v18
	v_add_u32_e32 v19, -1, v19
	v_min_u32_e32 v19, v35, v19
	v_add_u32_e32 v19, v10, v19
	ds_read_u8 v36, v19
	v_cndmask_b32_e64 v52, v35, v25, s[42:43]
	v_cndmask_b32_e64 v53, v26, v35, s[42:43]
	v_cmp_lt_u32_e64 s[46:47], v53, v30
	v_cmp_ge_u32_e64 s[44:45], v52, v31
	s_waitcnt lgkmcnt(0)
	v_cndmask_b32_e64 v50, v36, v48, s[42:43]
	v_cndmask_b32_e64 v51, v49, v36, s[42:43]
	v_and_b32_e32 v25, v50, v11
	v_and_b32_e32 v26, v51, v11
	v_cmp_le_i16_sdwa s[60:61], sext(v26), sext(v25) src0_sel:BYTE_0 src1_sel:BYTE_0
	s_and_b64 s[46:47], s[46:47], s[60:61]
	s_or_b64 s[44:45], s[44:45], s[46:47]
	v_cndmask_b32_e64 v25, v52, v53, s[44:45]
	v_cndmask_b32_e64 v26, v31, v30, s[44:45]
	v_lshl_add_u32 v35, v25, 3, v9
	v_add_u32_e32 v54, 1, v25
	v_add_u32_e32 v25, -1, v26
	v_min_u32_e32 v25, v54, v25
	v_lshl_add_u32 v19, v22, 3, v9
	v_lshl_add_u32 v18, v18, 3, v9
	v_add_u32_e32 v10, v10, v25
	ds_read_b64 v[22:23], v19 offset:2048
	ds_read_b64 v[18:19], v18 offset:2048
	;; [unrolled: 1-line block ×3, first 2 shown]
	ds_read_u8 v10, v10
	v_cndmask_b32_e64 v36, v28, v29, s[24:25]
	v_cndmask_b32_e64 v35, v24, v27, s[22:23]
	;; [unrolled: 1-line block ×4, first 2 shown]
	s_waitcnt lgkmcnt(0)
	v_cndmask_b32_e64 v29, v10, v50, s[44:45]
	v_cndmask_b32_e64 v10, v51, v10, s[44:45]
	v_and_b32_e32 v28, v29, v11
	v_and_b32_e32 v11, v10, v11
	v_cmp_lt_u32_e64 s[22:23], v27, v30
	v_cmp_le_i16_sdwa s[24:25], sext(v11), sext(v28) src0_sel:BYTE_0 src1_sel:BYTE_0
	v_cmp_ge_u32_e64 s[20:21], v21, v31
	s_and_b64 s[22:23], s[22:23], s[24:25]
	s_or_b64 s[20:21], s[20:21], s[22:23]
	v_cndmask_b32_e64 v11, v21, v27, s[20:21]
	v_lshl_add_u32 v9, v11, 3, v9
	ds_read_b64 v[27:28], v9 offset:2048
	v_cndmask_b32_e64 v24, v34, v37, s[28:29]
	v_cndmask_b32_e64 v21, v38, v39, s[40:41]
	;; [unrolled: 1-line block ×5, first 2 shown]
.LBB407_70:
	s_or_b64 exec, exec, s[58:59]
	; wave barrier
	s_waitcnt lgkmcnt(0)
	s_barrier
                                        ; implicit-def: $vgpr34
                                        ; implicit-def: $vgpr31
                                        ; implicit-def: $vgpr9
                                        ; implicit-def: $vgpr29
.LBB407_71:
	s_andn2_saveexec_b64 s[44:45], s[56:57]
	s_cbranch_execz .LBB407_117
; %bb.72:
	s_load_dwordx2 s[20:21], s[8:9], 0x0
	v_mov_b32_e32 v10, 0
	s_waitcnt lgkmcnt(0)
	s_cmp_lt_u32 s13, s21
	s_cselect_b32 s13, 14, 20
	s_add_u32 s22, s8, s13
	s_addc_u32 s23, s9, 0
	s_cmp_lt_u32 s12, s20
	s_cselect_b32 s12, 12, 18
	s_add_u32 s8, s8, s12
	s_addc_u32 s9, s9, 0
	global_load_ushort v11, v10, s[22:23]
	global_load_ushort v30, v10, s[8:9]
	v_and_b32_e32 v10, 0x3ff, v31
	s_movk_i32 s20, 0x800
	s_waitcnt vmcnt(0)
	v_mad_u32_u24 v9, v29, v11, v9
	v_mul_lo_u32 v9, v9, v30
	v_add_lshl_u32 v11, v9, v10, 3
	v_cmp_gt_u32_e64 s[8:9], s20, v11
	s_and_saveexec_b64 s[12:13], s[8:9]
	s_cbranch_execz .LBB407_76
; %bb.73:
	s_mov_b32 s8, 0xc0c0004
	v_perm_b32 v9, v21, v39, s8
	v_perm_b32 v10, v38, v37, s8
	v_perm_b32 v24, v36, v24, s8
	v_lshl_or_b32 v9, v10, 16, v9
	v_perm_b32 v10, v20, v35, s8
	v_perm_b32 v21, v35, v20, s8
	v_lshlrev_b32_e32 v24, 16, v24
	v_or_b32_e32 v21, v21, v24
	v_or_b32_e32 v10, v10, v24
	v_cmp_gt_i16_sdwa s[8:9], sext(v20), sext(v35) src0_sel:BYTE_0 src1_sel:BYTE_0
	v_cndmask_b32_e64 v10, v10, v21, s[8:9]
	v_cndmask_b32_e64 v20, v12, v4, s[8:9]
	;; [unrolled: 1-line block ×3, first 2 shown]
	v_lshrrev_b32_e32 v12, 16, v10
	s_mov_b32 s22, 0xc0c0001
	v_cndmask_b32_e64 v24, v13, v5, s[8:9]
	v_cndmask_b32_e64 v5, v5, v13, s[8:9]
	v_perm_b32 v13, 0, v12, s22
	v_lshrrev_b32_e32 v21, 24, v10
	v_lshlrev_b32_e32 v13, 16, v13
	s_mov_b32 s21, 0xffff
	v_cmp_gt_i16_sdwa s[8:9], sext(v12), sext(v21) src0_sel:BYTE_0 src1_sel:BYTE_0
	v_and_or_b32 v13, v10, s21, v13
	v_cndmask_b32_e64 v12, v16, v14, s[8:9]
	v_cndmask_b32_e64 v14, v14, v16, s[8:9]
	s_mov_b32 s28, 0x7060405
	v_lshrrev_b32_e32 v16, 8, v9
	v_cndmask_b32_e64 v21, v17, v15, s[8:9]
	v_cndmask_b32_e64 v15, v15, v17, s[8:9]
	;; [unrolled: 1-line block ×3, first 2 shown]
	v_perm_b32 v13, v9, v9, s28
	v_cmp_gt_i16_sdwa s[8:9], sext(v9), sext(v16) src0_sel:BYTE_0 src1_sel:BYTE_0
	v_cndmask_b32_e64 v9, v9, v13, s[8:9]
	v_cndmask_b32_e64 v16, v22, v18, s[8:9]
	;; [unrolled: 1-line block ×3, first 2 shown]
	v_lshrrev_b32_e32 v13, 24, v9
	v_lshrrev_b32_e32 v22, 16, v9
	s_mov_b32 s24, 0x6070504
	v_cndmask_b32_e64 v17, v23, v19, s[8:9]
	v_cndmask_b32_e64 v19, v19, v23, s[8:9]
	v_perm_b32 v23, v9, v9, s24
	v_cmp_gt_i16_sdwa s[8:9], sext(v22), sext(v13) src0_sel:BYTE_0 src1_sel:BYTE_0
	v_cndmask_b32_e64 v13, v25, v27, s[8:9]
	v_cndmask_b32_e64 v25, v27, v25, s[8:9]
	;; [unrolled: 1-line block ×3, first 2 shown]
	v_lshrrev_b32_e32 v23, 16, v10
	v_lshrrev_b32_e32 v27, 8, v10
	s_mov_b32 s23, 0x7050604
	v_cndmask_b32_e64 v22, v26, v28, s[8:9]
	v_cndmask_b32_e64 v26, v28, v26, s[8:9]
	v_perm_b32 v28, v10, v10, s23
	v_cmp_gt_i16_sdwa s[8:9], sext(v27), sext(v23) src0_sel:BYTE_0 src1_sel:BYTE_0
	v_cndmask_b32_e64 v10, v10, v28, s[8:9]
	s_movk_i32 s29, 0xff
	v_cndmask_b32_e64 v23, v15, v24, s[8:9]
	v_cndmask_b32_e64 v15, v24, v15, s[8:9]
	v_and_b32_sdwa v24, v10, s29 dst_sel:DWORD dst_unused:UNUSED_PAD src0_sel:WORD_1 src1_sel:DWORD
	v_lshlrev_b16_e32 v28, 8, v9
	s_mov_b32 s25, 0x3020107
	v_or_b32_sdwa v24, v24, v28 dst_sel:WORD_1 dst_unused:UNUSED_PAD src0_sel:DWORD src1_sel:DWORD
	v_lshrrev_b32_e32 v28, 24, v10
	v_cndmask_b32_e64 v27, v14, v20, s[8:9]
	v_cndmask_b32_e64 v14, v20, v14, s[8:9]
	v_perm_b32 v20, v10, v9, s25
	v_cmp_gt_i16_sdwa s[8:9], sext(v28), sext(v9) src0_sel:BYTE_0 src1_sel:BYTE_0
	v_cndmask_b32_e64 v9, v9, v20, s[8:9]
	v_and_or_b32 v24, v10, s21, v24
	v_cndmask_b32_e64 v29, v12, v16, s[8:9]
	v_cndmask_b32_e64 v12, v16, v12, s[8:9]
	v_lshrrev_b32_e32 v16, 16, v9
	v_lshrrev_b32_e32 v20, 8, v9
	v_cndmask_b32_e64 v28, v21, v17, s[8:9]
	v_cndmask_b32_e64 v17, v17, v21, s[8:9]
	;; [unrolled: 1-line block ×3, first 2 shown]
	v_perm_b32 v21, v9, v9, s23
	v_cmp_gt_i16_sdwa s[8:9], sext(v20), sext(v16) src0_sel:BYTE_0 src1_sel:BYTE_0
	v_cndmask_b32_e64 v20, v18, v13, s[8:9]
	v_cndmask_b32_e64 v13, v13, v18, s[8:9]
	;; [unrolled: 1-line block ×3, first 2 shown]
	v_perm_b32 v18, 0, v10, s22
	s_mov_b32 s40, 0xffff0000
	v_lshrrev_b32_e32 v21, 8, v10
	v_cndmask_b32_e64 v16, v19, v22, s[8:9]
	v_cndmask_b32_e64 v19, v22, v19, s[8:9]
	v_and_or_b32 v18, v10, s40, v18
	v_cmp_gt_i16_sdwa s[8:9], sext(v10), sext(v21) src0_sel:BYTE_0 src1_sel:BYTE_0
	v_cndmask_b32_e64 v10, v10, v18, s[8:9]
	v_cndmask_b32_e64 v21, v14, v4, s[8:9]
	;; [unrolled: 1-line block ×3, first 2 shown]
	v_lshrrev_b32_e32 v14, 16, v10
	v_cndmask_b32_e64 v22, v15, v5, s[8:9]
	v_cndmask_b32_e64 v5, v5, v15, s[8:9]
	v_perm_b32 v15, 0, v14, s22
	v_lshrrev_b32_e32 v18, 24, v10
	v_lshlrev_b32_e32 v15, 16, v15
	v_cmp_gt_i16_sdwa s[8:9], sext(v14), sext(v18) src0_sel:BYTE_0 src1_sel:BYTE_0
	v_and_or_b32 v15, v10, s21, v15
	v_cndmask_b32_e64 v14, v29, v27, s[8:9]
	v_cndmask_b32_e64 v24, v27, v29, s[8:9]
	v_lshrrev_b32_e32 v27, 8, v9
	v_cndmask_b32_e64 v18, v28, v23, s[8:9]
	v_cndmask_b32_e64 v23, v23, v28, s[8:9]
	;; [unrolled: 1-line block ×3, first 2 shown]
	v_perm_b32 v15, v9, v9, s28
	v_cmp_gt_i16_sdwa s[8:9], sext(v9), sext(v27) src0_sel:BYTE_0 src1_sel:BYTE_0
	v_cndmask_b32_e64 v9, v9, v15, s[8:9]
	v_cndmask_b32_e64 v28, v17, v16, s[8:9]
	;; [unrolled: 1-line block ×3, first 2 shown]
	v_lshrrev_b32_e32 v15, 24, v9
	v_lshrrev_b32_e32 v17, 16, v9
	v_cndmask_b32_e64 v27, v12, v20, s[8:9]
	v_cndmask_b32_e64 v12, v20, v12, s[8:9]
	v_perm_b32 v20, v9, v9, s24
	v_cmp_gt_i16_sdwa s[8:9], sext(v17), sext(v15) src0_sel:BYTE_0 src1_sel:BYTE_0
	v_cndmask_b32_e64 v15, v13, v25, s[8:9]
	v_cndmask_b32_e64 v13, v25, v13, s[8:9]
	;; [unrolled: 1-line block ×3, first 2 shown]
	v_lshrrev_b32_e32 v20, 16, v10
	v_lshrrev_b32_e32 v25, 8, v10
	v_cndmask_b32_e64 v17, v19, v26, s[8:9]
	v_cndmask_b32_e64 v19, v26, v19, s[8:9]
	v_perm_b32 v26, v10, v10, s23
	v_cmp_gt_i16_sdwa s[8:9], sext(v25), sext(v20) src0_sel:BYTE_0 src1_sel:BYTE_0
	v_cndmask_b32_e64 v10, v10, v26, s[8:9]
	v_cndmask_b32_e64 v25, v24, v21, s[8:9]
	v_cndmask_b32_e64 v21, v21, v24, s[8:9]
	v_and_b32_sdwa v24, v10, s29 dst_sel:DWORD dst_unused:UNUSED_PAD src0_sel:WORD_1 src1_sel:DWORD
	v_lshlrev_b16_e32 v26, 8, v9
	v_or_b32_sdwa v24, v24, v26 dst_sel:WORD_1 dst_unused:UNUSED_PAD src0_sel:DWORD src1_sel:DWORD
	v_lshrrev_b32_e32 v26, 24, v10
	v_cndmask_b32_e64 v20, v23, v22, s[8:9]
	v_cndmask_b32_e64 v22, v22, v23, s[8:9]
	v_perm_b32 v23, v10, v9, s25
	v_cmp_gt_i16_sdwa s[8:9], sext(v26), sext(v9) src0_sel:BYTE_0 src1_sel:BYTE_0
	v_and_or_b32 v24, v10, s21, v24
	v_cndmask_b32_e64 v9, v9, v23, s[8:9]
	v_cndmask_b32_e64 v10, v10, v24, s[8:9]
	v_lshrrev_b32_e32 v23, 16, v9
	v_lshrrev_b32_e32 v24, 8, v9
	v_cndmask_b32_e64 v26, v18, v28, s[8:9]
	v_cndmask_b32_e64 v29, v14, v27, s[8:9]
	;; [unrolled: 1-line block ×4, first 2 shown]
	v_cmp_gt_i16_sdwa s[8:9], sext(v24), sext(v23) src0_sel:BYTE_0 src1_sel:BYTE_0
	v_perm_b32 v27, v9, v9, s23
	v_cndmask_b32_e64 v23, v16, v17, s[8:9]
	v_cndmask_b32_e64 v24, v12, v15, s[8:9]
	;; [unrolled: 1-line block ×4, first 2 shown]
	v_perm_b32 v15, 0, v10, s22
	v_lshrrev_b32_e32 v17, 8, v10
	v_cndmask_b32_e64 v9, v9, v27, s[8:9]
	v_and_or_b32 v15, v10, s40, v15
	v_cmp_gt_i16_sdwa s[8:9], sext(v10), sext(v17) src0_sel:BYTE_0 src1_sel:BYTE_0
	v_cndmask_b32_e64 v10, v10, v15, s[8:9]
	v_lshrrev_b32_e32 v15, 16, v10
	v_cndmask_b32_e64 v17, v21, v4, s[8:9]
	v_cndmask_b32_e64 v27, v22, v5, s[8:9]
	;; [unrolled: 1-line block ×4, first 2 shown]
	v_perm_b32 v21, 0, v15, s22
	v_lshrrev_b32_e32 v22, 24, v10
	v_lshlrev_b32_e32 v21, 16, v21
	v_cmp_gt_i16_sdwa s[8:9], sext(v15), sext(v22) src0_sel:BYTE_0 src1_sel:BYTE_0
	v_and_or_b32 v21, v10, s21, v21
	v_cndmask_b32_e64 v22, v26, v20, s[8:9]
	v_cndmask_b32_e64 v20, v20, v26, s[8:9]
	v_lshrrev_b32_e32 v26, 8, v9
	v_cndmask_b32_e64 v15, v29, v25, s[8:9]
	v_cndmask_b32_e64 v25, v25, v29, s[8:9]
	v_cndmask_b32_e64 v10, v10, v21, s[8:9]
	v_perm_b32 v21, v9, v9, s28
	v_cmp_gt_i16_sdwa s[8:9], sext(v9), sext(v26) src0_sel:BYTE_0 src1_sel:BYTE_0
	v_cndmask_b32_e64 v9, v9, v21, s[8:9]
	v_cndmask_b32_e64 v28, v18, v23, s[8:9]
	;; [unrolled: 1-line block ×3, first 2 shown]
	v_lshrrev_b32_e32 v21, 24, v9
	v_lshrrev_b32_e32 v23, 16, v9
	v_cndmask_b32_e64 v26, v14, v24, s[8:9]
	v_cndmask_b32_e64 v14, v24, v14, s[8:9]
	v_cmp_gt_i16_sdwa s[8:9], sext(v23), sext(v21) src0_sel:BYTE_0 src1_sel:BYTE_0
	v_perm_b32 v24, v9, v9, s24
	v_cndmask_b32_e64 v21, v12, v13, s[8:9]
	v_cndmask_b32_e64 v23, v16, v19, s[8:9]
	;; [unrolled: 1-line block ×4, first 2 shown]
	v_lshrrev_b32_e32 v16, 16, v10
	v_lshrrev_b32_e32 v19, 8, v10
	v_cndmask_b32_e64 v9, v9, v24, s[8:9]
	v_perm_b32 v24, v10, v10, s23
	v_cmp_gt_i16_sdwa s[8:9], sext(v19), sext(v16) src0_sel:BYTE_0 src1_sel:BYTE_0
	v_cndmask_b32_e64 v10, v10, v24, s[8:9]
	v_cndmask_b32_e64 v16, v20, v27, s[8:9]
	v_cndmask_b32_e64 v19, v25, v17, s[8:9]
	v_cndmask_b32_e64 v20, v27, v20, s[8:9]
	v_cndmask_b32_e64 v17, v17, v25, s[8:9]
	v_and_b32_sdwa v25, v10, s29 dst_sel:DWORD dst_unused:UNUSED_PAD src0_sel:WORD_1 src1_sel:DWORD
	v_lshlrev_b16_e32 v27, 8, v9
	v_or_b32_sdwa v25, v25, v27 dst_sel:WORD_1 dst_unused:UNUSED_PAD src0_sel:DWORD src1_sel:DWORD
	v_lshrrev_b32_e32 v27, 24, v10
	v_perm_b32 v24, v10, v9, s25
	v_cmp_gt_i16_sdwa s[8:9], sext(v27), sext(v9) src0_sel:BYTE_0 src1_sel:BYTE_0
	v_and_or_b32 v25, v10, s21, v25
	v_cndmask_b32_e64 v9, v9, v24, s[8:9]
	v_cndmask_b32_e64 v10, v10, v25, s[8:9]
	v_lshrrev_b32_e32 v24, 16, v9
	v_lshrrev_b32_e32 v25, 8, v9
	v_cndmask_b32_e64 v27, v22, v28, s[8:9]
	v_cndmask_b32_e64 v29, v15, v26, s[8:9]
	;; [unrolled: 1-line block ×4, first 2 shown]
	v_cmp_gt_i16_sdwa s[8:9], sext(v25), sext(v24) src0_sel:BYTE_0 src1_sel:BYTE_0
	v_perm_b32 v26, v9, v9, s23
	v_cndmask_b32_e64 v24, v18, v23, s[8:9]
	v_cndmask_b32_e64 v25, v14, v21, s[8:9]
	;; [unrolled: 1-line block ×4, first 2 shown]
	v_perm_b32 v18, 0, v10, s22
	v_lshrrev_b32_e32 v23, 8, v10
	v_cndmask_b32_e64 v9, v9, v26, s[8:9]
	v_and_or_b32 v18, v10, s40, v18
	v_cmp_gt_i16_sdwa s[8:9], sext(v10), sext(v23) src0_sel:BYTE_0 src1_sel:BYTE_0
	v_cndmask_b32_e64 v10, v10, v18, s[8:9]
	v_cndmask_b32_e64 v23, v17, v4, s[8:9]
	;; [unrolled: 1-line block ×3, first 2 shown]
	v_lshrrev_b32_e32 v17, 16, v10
	v_perm_b32 v18, 0, v17, s22
	v_cndmask_b32_e64 v26, v20, v5, s[8:9]
	v_cndmask_b32_e64 v5, v5, v20, s[8:9]
	v_lshrrev_b32_e32 v20, 24, v10
	v_lshlrev_b32_e32 v18, 16, v18
	v_and_or_b32 v18, v10, s21, v18
	v_cmp_gt_i16_sdwa s[8:9], sext(v17), sext(v20) src0_sel:BYTE_0 src1_sel:BYTE_0
	v_cndmask_b32_e64 v20, v29, v19, s[8:9]
	v_cndmask_b32_e64 v17, v19, v29, s[8:9]
	;; [unrolled: 1-line block ×3, first 2 shown]
	v_lshrrev_b32_e32 v18, 8, v9
	v_cndmask_b32_e64 v30, v27, v16, s[8:9]
	v_cndmask_b32_e64 v16, v16, v27, s[8:9]
	v_perm_b32 v10, v9, v9, s28
	v_cmp_gt_i16_sdwa s[8:9], sext(v9), sext(v18) src0_sel:BYTE_0 src1_sel:BYTE_0
	v_cndmask_b32_e64 v31, v15, v25, s[8:9]
	v_cndmask_b32_e64 v18, v25, v15, s[8:9]
	;; [unrolled: 1-line block ×3, first 2 shown]
	v_lshrrev_b32_e32 v9, 24, v15
	v_lshrrev_b32_e32 v10, 16, v15
	v_cndmask_b32_e64 v35, v22, v24, s[8:9]
	v_cndmask_b32_e64 v19, v24, v22, s[8:9]
	v_cmp_gt_i16_sdwa s[8:9], sext(v10), sext(v9) src0_sel:BYTE_0 src1_sel:BYTE_0
	v_perm_b32 v22, v15, v15, s24
	v_cndmask_b32_e64 v10, v21, v13, s[8:9]
	v_cndmask_b32_e64 v9, v14, v12, s[8:9]
	v_cndmask_b32_e64 v28, v13, v21, s[8:9]
	v_cndmask_b32_e64 v27, v12, v14, s[8:9]
	v_lshrrev_b32_e32 v12, 16, v29
	v_lshrrev_b32_e32 v13, 8, v29
	v_cndmask_b32_e64 v21, v15, v22, s[8:9]
	v_perm_b32 v22, v29, v29, s23
	v_cmp_gt_i16_sdwa s[8:9], sext(v13), sext(v12) src0_sel:BYTE_0 src1_sel:BYTE_0
	v_cndmask_b32_e64 v24, v29, v22, s[8:9]
	v_cndmask_b32_e64 v15, v16, v26, s[8:9]
	;; [unrolled: 1-line block ×5, first 2 shown]
	v_and_b32_sdwa v16, v24, s29 dst_sel:DWORD dst_unused:UNUSED_PAD src0_sel:WORD_1 src1_sel:DWORD
	v_lshlrev_b16_e32 v17, 8, v21
	v_or_b32_sdwa v16, v16, v17 dst_sel:WORD_1 dst_unused:UNUSED_PAD src0_sel:DWORD src1_sel:DWORD
	v_lshrrev_b32_e32 v17, 24, v24
	v_perm_b32 v25, v24, v21, s25
	v_and_or_b32 v26, v24, s21, v16
	v_cmp_gt_i16_sdwa s[8:9], sext(v17), sext(v21) src0_sel:BYTE_0 src1_sel:BYTE_0
	v_cndmask_b32_e64 v16, v20, v31, s[8:9]
	v_cndmask_b32_e64 v22, v31, v20, s[8:9]
	;; [unrolled: 1-line block ×4, first 2 shown]
	v_lshrrev_b64 v[24:25], 24, v[20:21]
	v_lshrrev_b32_e32 v38, 16, v21
	v_lshrrev_b32_e32 v39, 8, v21
	v_mov_b32_e32 v26, v10
	v_cndmask_b32_e64 v17, v30, v35, s[8:9]
	v_cndmask_b32_e64 v23, v35, v30, s[8:9]
	v_lshrrev_b32_e32 v37, 24, v21
	v_lshrrev_b32_e32 v36, 16, v20
	;; [unrolled: 1-line block ×3, first 2 shown]
	v_cmp_gt_i16_sdwa s[22:23], sext(v39), sext(v38) src0_sel:BYTE_0 src1_sel:BYTE_0
	v_mov_b32_e32 v25, v9
	s_and_saveexec_b64 s[8:9], s[22:23]
; %bb.74:
	v_mov_b32_e32 v25, v39
	v_mov_b32_e32 v26, v19
	v_swap_b32 v39, v38
	v_mov_b32_e32 v25, v18
	v_mov_b32_e32 v19, v10
	;; [unrolled: 1-line block ×3, first 2 shown]
; %bb.75:
	s_or_b64 exec, exec, s[8:9]
.LBB407_76:
	s_or_b64 exec, exec, s[12:13]
	v_and_b32_e32 v10, 0xfffffe00, v11
	v_sub_u32_e64 v11, s20, v10 clamp
	v_or_b32_e32 v31, 8, v34
	v_min_u32_e32 v31, v11, v31
	v_add_u32_e32 v48, 8, v31
	v_and_b32_e32 v49, 0x3f0, v34
	v_min_u32_e32 v48, v11, v48
	v_and_b32_e32 v50, 8, v34
	v_min_u32_e32 v50, v11, v50
	v_sub_u32_e32 v51, v48, v31
	v_sub_u32_e32 v52, v31, v49
	v_lshlrev_b32_e32 v9, 3, v10
	v_sub_u32_e64 v51, v50, v51 clamp
	v_min_u32_e32 v52, v50, v52
	v_add_u32_e32 v29, v10, v34
	v_lshl_add_u32 v30, v34, 3, v9
	v_cmp_lt_u32_e64 s[8:9], v51, v52
	ds_write_b8 v29, v20
	ds_write_b64 v30, v[4:5] offset:2048
	ds_write_b8 v29, v35 offset:1
	ds_write_b64 v30, v[12:13] offset:2056
	ds_write_b8 v29, v36 offset:2
	;; [unrolled: 2-line block ×7, first 2 shown]
	ds_write_b64 v30, v[27:28] offset:2104
	; wave barrier
	s_and_saveexec_b64 s[12:13], s[8:9]
	s_cbranch_execz .LBB407_80
; %bb.77:
	v_add_u32_e32 v53, v10, v49
	v_add3_u32 v54, v10, v31, v50
	s_mov_b64 s[20:21], 0
.LBB407_78:                             ; =>This Inner Loop Header: Depth=1
	v_add_u32_e32 v55, v52, v51
	v_lshrrev_b32_e32 v55, 1, v55
	v_add_u32_e32 v64, v53, v55
	v_xad_u32 v65, v55, -1, v54
	ds_read_i8 v64, v64
	ds_read_i8 v65, v65
	v_add_u32_e32 v66, 1, v55
	s_waitcnt lgkmcnt(0)
	v_cmp_gt_i16_e64 s[8:9], v64, v65
	v_cndmask_b32_e64 v52, v52, v55, s[8:9]
	v_cndmask_b32_e64 v51, v66, v51, s[8:9]
	v_cmp_ge_u32_e64 s[8:9], v51, v52
	s_or_b64 s[20:21], s[8:9], s[20:21]
	s_andn2_b64 exec, exec, s[20:21]
	s_cbranch_execnz .LBB407_78
; %bb.79:
	s_or_b64 exec, exec, s[20:21]
.LBB407_80:
	s_or_b64 exec, exec, s[12:13]
	v_add_u32_e32 v50, v31, v50
	v_add_u32_e32 v49, v51, v49
	v_sub_u32_e32 v50, v50, v51
	v_cmp_le_u32_e64 s[8:9], v49, v31
	v_cmp_le_u32_e64 s[12:13], v50, v48
	s_or_b64 s[8:9], s[8:9], s[12:13]
	s_and_saveexec_b64 s[46:47], s[8:9]
	s_cbranch_execz .LBB407_86
; %bb.81:
	v_cmp_lt_u32_e64 s[8:9], v49, v31
                                        ; implicit-def: $vgpr20
	s_and_saveexec_b64 s[12:13], s[8:9]
; %bb.82:
	v_add_u32_e32 v4, v10, v49
	ds_read_u8 v20, v4
; %bb.83:
	s_or_b64 exec, exec, s[12:13]
	v_cmp_ge_u32_e64 s[20:21], v50, v48
	v_cmp_lt_u32_e64 s[12:13], v50, v48
                                        ; implicit-def: $vgpr21
	s_and_saveexec_b64 s[22:23], s[12:13]
; %bb.84:
	v_add_u32_e32 v4, v10, v50
	ds_read_u8 v21, v4
; %bb.85:
	s_or_b64 exec, exec, s[22:23]
	s_waitcnt lgkmcnt(0)
	v_cmp_le_i16_sdwa s[12:13], sext(v20), sext(v21) src0_sel:BYTE_0 src1_sel:BYTE_0
	s_and_b64 s[8:9], s[8:9], s[12:13]
	s_or_b64 s[8:9], s[20:21], s[8:9]
	v_cndmask_b32_e64 v4, v50, v49, s[8:9]
	v_cndmask_b32_e64 v5, v48, v31, s[8:9]
	v_add_u32_e32 v12, 1, v4
	v_add_u32_e32 v5, -1, v5
	v_min_u32_e32 v5, v12, v5
	v_add_u32_e32 v5, v10, v5
	ds_read_u8 v5, v5
	v_cndmask_b32_e64 v13, v12, v50, s[8:9]
	v_cmp_ge_u32_e64 s[12:13], v13, v48
	v_lshl_add_u32 v4, v4, 3, v9
	s_waitcnt lgkmcnt(0)
	v_cndmask_b32_e64 v24, v5, v21, s[8:9]
	v_cndmask_b32_e64 v27, v20, v5, s[8:9]
	;; [unrolled: 1-line block ×3, first 2 shown]
	v_cmp_lt_u32_e64 s[20:21], v5, v31
	v_cmp_le_i16_sdwa s[22:23], sext(v27), sext(v24) src0_sel:BYTE_0 src1_sel:BYTE_0
	s_and_b64 s[20:21], s[20:21], s[22:23]
	s_or_b64 s[20:21], s[12:13], s[20:21]
	v_cndmask_b32_e64 v12, v13, v5, s[20:21]
	v_cndmask_b32_e64 v14, v48, v31, s[20:21]
	v_add_u32_e32 v15, 1, v12
	v_add_u32_e32 v14, -1, v14
	v_min_u32_e32 v14, v15, v14
	v_add_u32_e32 v14, v10, v14
	ds_read_u8 v14, v14
	v_cndmask_b32_e64 v5, v5, v15, s[20:21]
	v_cndmask_b32_e64 v13, v15, v13, s[20:21]
	v_cmp_lt_u32_e64 s[22:23], v5, v31
	v_cmp_ge_u32_e64 s[12:13], v13, v48
	s_waitcnt lgkmcnt(0)
	v_cndmask_b32_e64 v28, v14, v24, s[20:21]
	v_cndmask_b32_e64 v36, v27, v14, s[20:21]
	v_cmp_le_i16_sdwa s[24:25], sext(v36), sext(v28) src0_sel:BYTE_0 src1_sel:BYTE_0
	s_and_b64 s[22:23], s[22:23], s[24:25]
	s_or_b64 s[22:23], s[12:13], s[22:23]
	v_cndmask_b32_e64 v14, v13, v5, s[22:23]
	v_cndmask_b32_e64 v15, v48, v31, s[22:23]
	v_add_u32_e32 v16, 1, v14
	v_add_u32_e32 v15, -1, v15
	v_min_u32_e32 v15, v16, v15
	v_add_u32_e32 v15, v10, v15
	ds_read_u8 v15, v15
	v_lshl_add_u32 v12, v12, 3, v9
	v_lshl_add_u32 v14, v14, 3, v9
	v_cndmask_b32_e64 v20, v21, v20, s[8:9]
	s_waitcnt lgkmcnt(0)
	v_cndmask_b32_e64 v37, v15, v28, s[22:23]
	v_cndmask_b32_e64 v38, v36, v15, s[22:23]
	;; [unrolled: 1-line block ×4, first 2 shown]
	v_cmp_lt_u32_e64 s[24:25], v16, v31
	v_cmp_le_i16_sdwa s[28:29], sext(v38), sext(v37) src0_sel:BYTE_0 src1_sel:BYTE_0
	v_cmp_ge_u32_e64 s[12:13], v15, v48
	s_and_b64 s[24:25], s[24:25], s[28:29]
	s_or_b64 s[12:13], s[12:13], s[24:25]
	v_cndmask_b32_e64 v17, v15, v16, s[12:13]
	v_cndmask_b32_e64 v5, v48, v31, s[12:13]
	v_add_u32_e32 v18, 1, v17
	v_add_u32_e32 v5, -1, v5
	v_min_u32_e32 v5, v18, v5
	v_add_u32_e32 v5, v10, v5
	ds_read_u8 v19, v5
	ds_read_b64 v[4:5], v4 offset:2048
	ds_read_b64 v[12:13], v12 offset:2048
	v_cndmask_b32_e64 v36, v28, v36, s[22:23]
	s_waitcnt lgkmcnt(2)
	v_cndmask_b32_e64 v39, v19, v37, s[12:13]
	v_cndmask_b32_e64 v49, v38, v19, s[12:13]
	;; [unrolled: 1-line block ×4, first 2 shown]
	v_cmp_lt_u32_e64 s[28:29], v18, v31
	v_cmp_le_i16_sdwa s[40:41], sext(v49), sext(v39) src0_sel:BYTE_0 src1_sel:BYTE_0
	v_cmp_ge_u32_e64 s[24:25], v19, v48
	s_and_b64 s[28:29], s[28:29], s[40:41]
	s_or_b64 s[24:25], s[24:25], s[28:29]
	v_cndmask_b32_e64 v22, v19, v18, s[24:25]
	v_cndmask_b32_e64 v15, v48, v31, s[24:25]
	v_add_u32_e32 v23, 1, v22
	v_add_u32_e32 v15, -1, v15
	v_min_u32_e32 v15, v23, v15
	v_add_u32_e32 v15, v10, v15
	ds_read_u8 v25, v15
	v_cndmask_b32_e64 v26, v18, v23, s[24:25]
	v_cmp_lt_u32_e64 s[40:41], v26, v31
	v_lshl_add_u32 v16, v17, 3, v9
	ds_read_b64 v[14:15], v14 offset:2048
	ds_read_b64 v[16:17], v16 offset:2048
	s_waitcnt lgkmcnt(2)
	v_cndmask_b32_e64 v50, v25, v39, s[24:25]
	v_cndmask_b32_e64 v51, v49, v25, s[24:25]
	;; [unrolled: 1-line block ×3, first 2 shown]
	v_cmp_le_i16_sdwa s[42:43], sext(v51), sext(v50) src0_sel:BYTE_0 src1_sel:BYTE_0
	v_cmp_ge_u32_e64 s[28:29], v25, v48
	s_and_b64 s[40:41], s[40:41], s[42:43]
	s_or_b64 s[28:29], s[28:29], s[40:41]
	v_cndmask_b32_e64 v18, v25, v26, s[28:29]
	v_cndmask_b32_e64 v19, v48, v31, s[28:29]
	v_add_u32_e32 v35, 1, v18
	v_add_u32_e32 v19, -1, v19
	v_min_u32_e32 v19, v35, v19
	v_add_u32_e32 v19, v10, v19
	ds_read_u8 v52, v19
	v_cndmask_b32_e64 v55, v26, v35, s[28:29]
	v_cndmask_b32_e64 v54, v35, v25, s[28:29]
	v_cmp_lt_u32_e64 s[42:43], v55, v31
	v_cmp_ge_u32_e64 s[40:41], v54, v48
	s_waitcnt lgkmcnt(0)
	v_cndmask_b32_e64 v53, v52, v50, s[28:29]
	v_cndmask_b32_e64 v52, v51, v52, s[28:29]
	v_cmp_le_i16_sdwa s[56:57], sext(v52), sext(v53) src0_sel:BYTE_0 src1_sel:BYTE_0
	s_and_b64 s[42:43], s[42:43], s[56:57]
	s_or_b64 s[40:41], s[40:41], s[42:43]
	v_cndmask_b32_e64 v25, v54, v55, s[40:41]
	v_cndmask_b32_e64 v26, v48, v31, s[40:41]
	v_lshl_add_u32 v35, v25, 3, v9
	v_add_u32_e32 v64, 1, v25
	v_add_u32_e32 v25, -1, v26
	v_min_u32_e32 v25, v64, v25
	v_lshl_add_u32 v19, v22, 3, v9
	v_lshl_add_u32 v18, v18, 3, v9
	v_add_u32_e32 v65, v10, v25
	ds_read_b64 v[22:23], v19 offset:2048
	ds_read_b64 v[18:19], v18 offset:2048
	;; [unrolled: 1-line block ×3, first 2 shown]
	ds_read_u8 v65, v65
	v_cndmask_b32_e64 v35, v24, v27, s[20:21]
	v_cndmask_b32_e64 v24, v37, v38, s[12:13]
	;; [unrolled: 1-line block ×4, first 2 shown]
	s_waitcnt lgkmcnt(0)
	v_cndmask_b32_e64 v37, v65, v53, s[40:41]
	v_cndmask_b32_e64 v65, v52, v65, s[40:41]
	v_cmp_lt_u32_e64 s[12:13], v27, v31
	v_cmp_le_i16_sdwa s[20:21], sext(v65), sext(v37) src0_sel:BYTE_0 src1_sel:BYTE_0
	v_cmp_ge_u32_e64 s[8:9], v21, v48
	s_and_b64 s[12:13], s[12:13], s[20:21]
	s_or_b64 s[8:9], s[8:9], s[12:13]
	v_cndmask_b32_e64 v21, v21, v27, s[8:9]
	v_lshl_add_u32 v21, v21, 3, v9
	ds_read_b64 v[27:28], v21 offset:2048
	v_cndmask_b32_e64 v21, v39, v49, s[24:25]
	v_cndmask_b32_e64 v39, v50, v51, s[28:29]
	;; [unrolled: 1-line block ×4, first 2 shown]
.LBB407_86:
	s_or_b64 exec, exec, s[46:47]
	v_and_b32_e32 v49, 0x3e0, v34
	v_or_b32_e32 v31, 16, v49
	v_min_u32_e32 v31, v11, v31
	v_add_u32_e32 v48, 16, v31
	v_min_u32_e32 v48, v11, v48
	v_and_b32_e32 v50, 24, v34
	v_min_u32_e32 v50, v11, v50
	v_sub_u32_e32 v52, v31, v49
	v_sub_u32_e32 v51, v48, v31
	v_sub_u32_e64 v51, v50, v51 clamp
	v_min_u32_e32 v52, v50, v52
	v_cmp_lt_u32_e64 s[8:9], v51, v52
	; wave barrier
	ds_write_b8 v29, v20
	ds_write_b64 v30, v[4:5] offset:2048
	ds_write_b8 v29, v35 offset:1
	ds_write_b64 v30, v[12:13] offset:2056
	ds_write_b8 v29, v36 offset:2
	;; [unrolled: 2-line block ×7, first 2 shown]
	s_waitcnt lgkmcnt(14)
	ds_write_b64 v30, v[27:28] offset:2104
	; wave barrier
	s_and_saveexec_b64 s[12:13], s[8:9]
	s_cbranch_execz .LBB407_90
; %bb.87:
	v_add_u32_e32 v53, v10, v49
	v_add3_u32 v54, v10, v31, v50
	s_mov_b64 s[20:21], 0
.LBB407_88:                             ; =>This Inner Loop Header: Depth=1
	v_add_u32_e32 v55, v52, v51
	v_lshrrev_b32_e32 v55, 1, v55
	v_add_u32_e32 v64, v53, v55
	v_xad_u32 v65, v55, -1, v54
	ds_read_i8 v64, v64
	ds_read_i8 v65, v65
	v_add_u32_e32 v66, 1, v55
	s_waitcnt lgkmcnt(0)
	v_cmp_gt_i16_e64 s[8:9], v64, v65
	v_cndmask_b32_e64 v52, v52, v55, s[8:9]
	v_cndmask_b32_e64 v51, v66, v51, s[8:9]
	v_cmp_ge_u32_e64 s[8:9], v51, v52
	s_or_b64 s[20:21], s[8:9], s[20:21]
	s_andn2_b64 exec, exec, s[20:21]
	s_cbranch_execnz .LBB407_88
; %bb.89:
	s_or_b64 exec, exec, s[20:21]
.LBB407_90:
	s_or_b64 exec, exec, s[12:13]
	v_add_u32_e32 v50, v31, v50
	v_add_u32_e32 v49, v51, v49
	v_sub_u32_e32 v50, v50, v51
	v_cmp_le_u32_e64 s[8:9], v49, v31
	v_cmp_le_u32_e64 s[12:13], v50, v48
	s_or_b64 s[8:9], s[8:9], s[12:13]
	s_and_saveexec_b64 s[46:47], s[8:9]
	s_cbranch_execz .LBB407_96
; %bb.91:
	v_cmp_lt_u32_e64 s[8:9], v49, v31
                                        ; implicit-def: $vgpr20
	s_and_saveexec_b64 s[12:13], s[8:9]
; %bb.92:
	v_add_u32_e32 v4, v10, v49
	ds_read_u8 v20, v4
; %bb.93:
	s_or_b64 exec, exec, s[12:13]
	v_cmp_ge_u32_e64 s[20:21], v50, v48
	v_cmp_lt_u32_e64 s[12:13], v50, v48
                                        ; implicit-def: $vgpr21
	s_and_saveexec_b64 s[22:23], s[12:13]
; %bb.94:
	v_add_u32_e32 v4, v10, v50
	ds_read_u8 v21, v4
; %bb.95:
	s_or_b64 exec, exec, s[22:23]
	s_waitcnt lgkmcnt(0)
	v_cmp_le_i16_sdwa s[12:13], sext(v20), sext(v21) src0_sel:BYTE_0 src1_sel:BYTE_0
	s_and_b64 s[8:9], s[8:9], s[12:13]
	s_or_b64 s[8:9], s[20:21], s[8:9]
	v_cndmask_b32_e64 v4, v50, v49, s[8:9]
	v_cndmask_b32_e64 v5, v48, v31, s[8:9]
	v_add_u32_e32 v12, 1, v4
	v_add_u32_e32 v5, -1, v5
	v_min_u32_e32 v5, v12, v5
	v_add_u32_e32 v5, v10, v5
	ds_read_u8 v5, v5
	v_cndmask_b32_e64 v13, v12, v50, s[8:9]
	v_cmp_ge_u32_e64 s[12:13], v13, v48
	v_lshl_add_u32 v4, v4, 3, v9
	s_waitcnt lgkmcnt(0)
	v_cndmask_b32_e64 v24, v5, v21, s[8:9]
	v_cndmask_b32_e64 v27, v20, v5, s[8:9]
	;; [unrolled: 1-line block ×3, first 2 shown]
	v_cmp_lt_u32_e64 s[20:21], v5, v31
	v_cmp_le_i16_sdwa s[22:23], sext(v27), sext(v24) src0_sel:BYTE_0 src1_sel:BYTE_0
	s_and_b64 s[20:21], s[20:21], s[22:23]
	s_or_b64 s[20:21], s[12:13], s[20:21]
	v_cndmask_b32_e64 v12, v13, v5, s[20:21]
	v_cndmask_b32_e64 v14, v48, v31, s[20:21]
	v_add_u32_e32 v15, 1, v12
	v_add_u32_e32 v14, -1, v14
	v_min_u32_e32 v14, v15, v14
	v_add_u32_e32 v14, v10, v14
	ds_read_u8 v14, v14
	v_cndmask_b32_e64 v5, v5, v15, s[20:21]
	v_cndmask_b32_e64 v13, v15, v13, s[20:21]
	v_cmp_lt_u32_e64 s[22:23], v5, v31
	v_cmp_ge_u32_e64 s[12:13], v13, v48
	s_waitcnt lgkmcnt(0)
	v_cndmask_b32_e64 v28, v14, v24, s[20:21]
	v_cndmask_b32_e64 v36, v27, v14, s[20:21]
	v_cmp_le_i16_sdwa s[24:25], sext(v36), sext(v28) src0_sel:BYTE_0 src1_sel:BYTE_0
	s_and_b64 s[22:23], s[22:23], s[24:25]
	s_or_b64 s[22:23], s[12:13], s[22:23]
	v_cndmask_b32_e64 v14, v13, v5, s[22:23]
	v_cndmask_b32_e64 v15, v48, v31, s[22:23]
	v_add_u32_e32 v16, 1, v14
	v_add_u32_e32 v15, -1, v15
	v_min_u32_e32 v15, v16, v15
	v_add_u32_e32 v15, v10, v15
	ds_read_u8 v15, v15
	v_lshl_add_u32 v12, v12, 3, v9
	v_lshl_add_u32 v14, v14, 3, v9
	v_cndmask_b32_e64 v20, v21, v20, s[8:9]
	s_waitcnt lgkmcnt(0)
	v_cndmask_b32_e64 v37, v15, v28, s[22:23]
	v_cndmask_b32_e64 v38, v36, v15, s[22:23]
	;; [unrolled: 1-line block ×4, first 2 shown]
	v_cmp_lt_u32_e64 s[24:25], v16, v31
	v_cmp_le_i16_sdwa s[28:29], sext(v38), sext(v37) src0_sel:BYTE_0 src1_sel:BYTE_0
	v_cmp_ge_u32_e64 s[12:13], v15, v48
	s_and_b64 s[24:25], s[24:25], s[28:29]
	s_or_b64 s[12:13], s[12:13], s[24:25]
	v_cndmask_b32_e64 v17, v15, v16, s[12:13]
	v_cndmask_b32_e64 v5, v48, v31, s[12:13]
	v_add_u32_e32 v18, 1, v17
	v_add_u32_e32 v5, -1, v5
	v_min_u32_e32 v5, v18, v5
	v_add_u32_e32 v5, v10, v5
	ds_read_u8 v19, v5
	ds_read_b64 v[4:5], v4 offset:2048
	ds_read_b64 v[12:13], v12 offset:2048
	v_cndmask_b32_e64 v36, v28, v36, s[22:23]
	s_waitcnt lgkmcnt(2)
	v_cndmask_b32_e64 v39, v19, v37, s[12:13]
	v_cndmask_b32_e64 v49, v38, v19, s[12:13]
	;; [unrolled: 1-line block ×4, first 2 shown]
	v_cmp_lt_u32_e64 s[28:29], v18, v31
	v_cmp_le_i16_sdwa s[40:41], sext(v49), sext(v39) src0_sel:BYTE_0 src1_sel:BYTE_0
	v_cmp_ge_u32_e64 s[24:25], v19, v48
	s_and_b64 s[28:29], s[28:29], s[40:41]
	s_or_b64 s[24:25], s[24:25], s[28:29]
	v_cndmask_b32_e64 v22, v19, v18, s[24:25]
	v_cndmask_b32_e64 v15, v48, v31, s[24:25]
	v_add_u32_e32 v23, 1, v22
	v_add_u32_e32 v15, -1, v15
	v_min_u32_e32 v15, v23, v15
	v_add_u32_e32 v15, v10, v15
	ds_read_u8 v25, v15
	v_cndmask_b32_e64 v26, v18, v23, s[24:25]
	v_cmp_lt_u32_e64 s[40:41], v26, v31
	v_lshl_add_u32 v16, v17, 3, v9
	ds_read_b64 v[14:15], v14 offset:2048
	ds_read_b64 v[16:17], v16 offset:2048
	s_waitcnt lgkmcnt(2)
	v_cndmask_b32_e64 v50, v25, v39, s[24:25]
	v_cndmask_b32_e64 v51, v49, v25, s[24:25]
	;; [unrolled: 1-line block ×3, first 2 shown]
	v_cmp_le_i16_sdwa s[42:43], sext(v51), sext(v50) src0_sel:BYTE_0 src1_sel:BYTE_0
	v_cmp_ge_u32_e64 s[28:29], v25, v48
	s_and_b64 s[40:41], s[40:41], s[42:43]
	s_or_b64 s[28:29], s[28:29], s[40:41]
	v_cndmask_b32_e64 v18, v25, v26, s[28:29]
	v_cndmask_b32_e64 v19, v48, v31, s[28:29]
	v_add_u32_e32 v35, 1, v18
	v_add_u32_e32 v19, -1, v19
	v_min_u32_e32 v19, v35, v19
	v_add_u32_e32 v19, v10, v19
	ds_read_u8 v52, v19
	v_cndmask_b32_e64 v55, v26, v35, s[28:29]
	v_cndmask_b32_e64 v54, v35, v25, s[28:29]
	v_cmp_lt_u32_e64 s[42:43], v55, v31
	v_cmp_ge_u32_e64 s[40:41], v54, v48
	s_waitcnt lgkmcnt(0)
	v_cndmask_b32_e64 v53, v52, v50, s[28:29]
	v_cndmask_b32_e64 v52, v51, v52, s[28:29]
	v_cmp_le_i16_sdwa s[56:57], sext(v52), sext(v53) src0_sel:BYTE_0 src1_sel:BYTE_0
	s_and_b64 s[42:43], s[42:43], s[56:57]
	s_or_b64 s[40:41], s[40:41], s[42:43]
	v_cndmask_b32_e64 v25, v54, v55, s[40:41]
	v_cndmask_b32_e64 v26, v48, v31, s[40:41]
	v_lshl_add_u32 v35, v25, 3, v9
	v_add_u32_e32 v64, 1, v25
	v_add_u32_e32 v25, -1, v26
	v_min_u32_e32 v25, v64, v25
	v_lshl_add_u32 v19, v22, 3, v9
	v_lshl_add_u32 v18, v18, 3, v9
	v_add_u32_e32 v65, v10, v25
	ds_read_b64 v[22:23], v19 offset:2048
	ds_read_b64 v[18:19], v18 offset:2048
	;; [unrolled: 1-line block ×3, first 2 shown]
	ds_read_u8 v65, v65
	v_cndmask_b32_e64 v35, v24, v27, s[20:21]
	v_cndmask_b32_e64 v24, v37, v38, s[12:13]
	;; [unrolled: 1-line block ×4, first 2 shown]
	s_waitcnt lgkmcnt(0)
	v_cndmask_b32_e64 v37, v65, v53, s[40:41]
	v_cndmask_b32_e64 v65, v52, v65, s[40:41]
	v_cmp_lt_u32_e64 s[12:13], v27, v31
	v_cmp_le_i16_sdwa s[20:21], sext(v65), sext(v37) src0_sel:BYTE_0 src1_sel:BYTE_0
	v_cmp_ge_u32_e64 s[8:9], v21, v48
	s_and_b64 s[12:13], s[12:13], s[20:21]
	s_or_b64 s[8:9], s[8:9], s[12:13]
	v_cndmask_b32_e64 v21, v21, v27, s[8:9]
	v_lshl_add_u32 v21, v21, 3, v9
	ds_read_b64 v[27:28], v21 offset:2048
	v_cndmask_b32_e64 v21, v39, v49, s[24:25]
	v_cndmask_b32_e64 v39, v50, v51, s[28:29]
	;; [unrolled: 1-line block ×4, first 2 shown]
.LBB407_96:
	s_or_b64 exec, exec, s[46:47]
	v_and_b32_e32 v49, 0x3c0, v34
	v_or_b32_e32 v31, 32, v49
	v_min_u32_e32 v31, v11, v31
	v_add_u32_e32 v48, 32, v31
	v_min_u32_e32 v48, v11, v48
	v_and_b32_e32 v50, 56, v34
	v_min_u32_e32 v50, v11, v50
	v_sub_u32_e32 v52, v31, v49
	v_sub_u32_e32 v51, v48, v31
	v_sub_u32_e64 v51, v50, v51 clamp
	v_min_u32_e32 v52, v50, v52
	v_cmp_lt_u32_e64 s[8:9], v51, v52
	; wave barrier
	ds_write_b8 v29, v20
	ds_write_b64 v30, v[4:5] offset:2048
	ds_write_b8 v29, v35 offset:1
	ds_write_b64 v30, v[12:13] offset:2056
	ds_write_b8 v29, v36 offset:2
	;; [unrolled: 2-line block ×7, first 2 shown]
	s_waitcnt lgkmcnt(14)
	ds_write_b64 v30, v[27:28] offset:2104
	; wave barrier
	s_and_saveexec_b64 s[12:13], s[8:9]
	s_cbranch_execz .LBB407_100
; %bb.97:
	v_add_u32_e32 v53, v10, v49
	v_add3_u32 v54, v10, v31, v50
	s_mov_b64 s[20:21], 0
.LBB407_98:                             ; =>This Inner Loop Header: Depth=1
	v_add_u32_e32 v55, v52, v51
	v_lshrrev_b32_e32 v55, 1, v55
	v_add_u32_e32 v64, v53, v55
	v_xad_u32 v65, v55, -1, v54
	ds_read_i8 v64, v64
	ds_read_i8 v65, v65
	v_add_u32_e32 v66, 1, v55
	s_waitcnt lgkmcnt(0)
	v_cmp_gt_i16_e64 s[8:9], v64, v65
	v_cndmask_b32_e64 v52, v52, v55, s[8:9]
	v_cndmask_b32_e64 v51, v66, v51, s[8:9]
	v_cmp_ge_u32_e64 s[8:9], v51, v52
	s_or_b64 s[20:21], s[8:9], s[20:21]
	s_andn2_b64 exec, exec, s[20:21]
	s_cbranch_execnz .LBB407_98
; %bb.99:
	s_or_b64 exec, exec, s[20:21]
.LBB407_100:
	s_or_b64 exec, exec, s[12:13]
	v_add_u32_e32 v50, v31, v50
	v_add_u32_e32 v49, v51, v49
	v_sub_u32_e32 v50, v50, v51
	v_cmp_le_u32_e64 s[8:9], v49, v31
	v_cmp_le_u32_e64 s[12:13], v50, v48
	s_or_b64 s[8:9], s[8:9], s[12:13]
	s_and_saveexec_b64 s[46:47], s[8:9]
	s_cbranch_execz .LBB407_106
; %bb.101:
	v_cmp_lt_u32_e64 s[8:9], v49, v31
                                        ; implicit-def: $vgpr20
	s_and_saveexec_b64 s[12:13], s[8:9]
; %bb.102:
	v_add_u32_e32 v4, v10, v49
	ds_read_u8 v20, v4
; %bb.103:
	s_or_b64 exec, exec, s[12:13]
	v_cmp_ge_u32_e64 s[20:21], v50, v48
	v_cmp_lt_u32_e64 s[12:13], v50, v48
                                        ; implicit-def: $vgpr21
	s_and_saveexec_b64 s[22:23], s[12:13]
; %bb.104:
	v_add_u32_e32 v4, v10, v50
	ds_read_u8 v21, v4
; %bb.105:
	s_or_b64 exec, exec, s[22:23]
	s_waitcnt lgkmcnt(0)
	v_cmp_le_i16_sdwa s[12:13], sext(v20), sext(v21) src0_sel:BYTE_0 src1_sel:BYTE_0
	s_and_b64 s[8:9], s[8:9], s[12:13]
	s_or_b64 s[8:9], s[20:21], s[8:9]
	v_cndmask_b32_e64 v4, v50, v49, s[8:9]
	v_cndmask_b32_e64 v5, v48, v31, s[8:9]
	v_add_u32_e32 v12, 1, v4
	v_add_u32_e32 v5, -1, v5
	v_min_u32_e32 v5, v12, v5
	v_add_u32_e32 v5, v10, v5
	ds_read_u8 v5, v5
	v_cndmask_b32_e64 v13, v12, v50, s[8:9]
	v_cmp_ge_u32_e64 s[12:13], v13, v48
	v_lshl_add_u32 v4, v4, 3, v9
	s_waitcnt lgkmcnt(0)
	v_cndmask_b32_e64 v24, v5, v21, s[8:9]
	v_cndmask_b32_e64 v27, v20, v5, s[8:9]
	;; [unrolled: 1-line block ×3, first 2 shown]
	v_cmp_lt_u32_e64 s[20:21], v5, v31
	v_cmp_le_i16_sdwa s[22:23], sext(v27), sext(v24) src0_sel:BYTE_0 src1_sel:BYTE_0
	s_and_b64 s[20:21], s[20:21], s[22:23]
	s_or_b64 s[20:21], s[12:13], s[20:21]
	v_cndmask_b32_e64 v12, v13, v5, s[20:21]
	v_cndmask_b32_e64 v14, v48, v31, s[20:21]
	v_add_u32_e32 v15, 1, v12
	v_add_u32_e32 v14, -1, v14
	v_min_u32_e32 v14, v15, v14
	v_add_u32_e32 v14, v10, v14
	ds_read_u8 v14, v14
	v_cndmask_b32_e64 v5, v5, v15, s[20:21]
	v_cndmask_b32_e64 v13, v15, v13, s[20:21]
	v_cmp_lt_u32_e64 s[22:23], v5, v31
	v_cmp_ge_u32_e64 s[12:13], v13, v48
	s_waitcnt lgkmcnt(0)
	v_cndmask_b32_e64 v28, v14, v24, s[20:21]
	v_cndmask_b32_e64 v36, v27, v14, s[20:21]
	v_cmp_le_i16_sdwa s[24:25], sext(v36), sext(v28) src0_sel:BYTE_0 src1_sel:BYTE_0
	s_and_b64 s[22:23], s[22:23], s[24:25]
	s_or_b64 s[22:23], s[12:13], s[22:23]
	v_cndmask_b32_e64 v14, v13, v5, s[22:23]
	v_cndmask_b32_e64 v15, v48, v31, s[22:23]
	v_add_u32_e32 v16, 1, v14
	v_add_u32_e32 v15, -1, v15
	v_min_u32_e32 v15, v16, v15
	v_add_u32_e32 v15, v10, v15
	ds_read_u8 v15, v15
	v_lshl_add_u32 v12, v12, 3, v9
	v_lshl_add_u32 v14, v14, 3, v9
	v_cndmask_b32_e64 v20, v21, v20, s[8:9]
	s_waitcnt lgkmcnt(0)
	v_cndmask_b32_e64 v37, v15, v28, s[22:23]
	v_cndmask_b32_e64 v38, v36, v15, s[22:23]
	v_cndmask_b32_e64 v15, v16, v13, s[22:23]
	v_cndmask_b32_e64 v16, v5, v16, s[22:23]
	v_cmp_lt_u32_e64 s[24:25], v16, v31
	v_cmp_le_i16_sdwa s[28:29], sext(v38), sext(v37) src0_sel:BYTE_0 src1_sel:BYTE_0
	v_cmp_ge_u32_e64 s[12:13], v15, v48
	s_and_b64 s[24:25], s[24:25], s[28:29]
	s_or_b64 s[12:13], s[12:13], s[24:25]
	v_cndmask_b32_e64 v17, v15, v16, s[12:13]
	v_cndmask_b32_e64 v5, v48, v31, s[12:13]
	v_add_u32_e32 v18, 1, v17
	v_add_u32_e32 v5, -1, v5
	v_min_u32_e32 v5, v18, v5
	v_add_u32_e32 v5, v10, v5
	ds_read_u8 v19, v5
	ds_read_b64 v[4:5], v4 offset:2048
	ds_read_b64 v[12:13], v12 offset:2048
	v_cndmask_b32_e64 v36, v28, v36, s[22:23]
	s_waitcnt lgkmcnt(2)
	v_cndmask_b32_e64 v39, v19, v37, s[12:13]
	v_cndmask_b32_e64 v49, v38, v19, s[12:13]
	;; [unrolled: 1-line block ×4, first 2 shown]
	v_cmp_lt_u32_e64 s[28:29], v18, v31
	v_cmp_le_i16_sdwa s[40:41], sext(v49), sext(v39) src0_sel:BYTE_0 src1_sel:BYTE_0
	v_cmp_ge_u32_e64 s[24:25], v19, v48
	s_and_b64 s[28:29], s[28:29], s[40:41]
	s_or_b64 s[24:25], s[24:25], s[28:29]
	v_cndmask_b32_e64 v22, v19, v18, s[24:25]
	v_cndmask_b32_e64 v15, v48, v31, s[24:25]
	v_add_u32_e32 v23, 1, v22
	v_add_u32_e32 v15, -1, v15
	v_min_u32_e32 v15, v23, v15
	v_add_u32_e32 v15, v10, v15
	ds_read_u8 v25, v15
	v_cndmask_b32_e64 v26, v18, v23, s[24:25]
	v_cmp_lt_u32_e64 s[40:41], v26, v31
	v_lshl_add_u32 v16, v17, 3, v9
	ds_read_b64 v[14:15], v14 offset:2048
	ds_read_b64 v[16:17], v16 offset:2048
	s_waitcnt lgkmcnt(2)
	v_cndmask_b32_e64 v50, v25, v39, s[24:25]
	v_cndmask_b32_e64 v51, v49, v25, s[24:25]
	;; [unrolled: 1-line block ×3, first 2 shown]
	v_cmp_le_i16_sdwa s[42:43], sext(v51), sext(v50) src0_sel:BYTE_0 src1_sel:BYTE_0
	v_cmp_ge_u32_e64 s[28:29], v25, v48
	s_and_b64 s[40:41], s[40:41], s[42:43]
	s_or_b64 s[28:29], s[28:29], s[40:41]
	v_cndmask_b32_e64 v18, v25, v26, s[28:29]
	v_cndmask_b32_e64 v19, v48, v31, s[28:29]
	v_add_u32_e32 v35, 1, v18
	v_add_u32_e32 v19, -1, v19
	v_min_u32_e32 v19, v35, v19
	v_add_u32_e32 v19, v10, v19
	ds_read_u8 v52, v19
	v_cndmask_b32_e64 v55, v26, v35, s[28:29]
	v_cndmask_b32_e64 v54, v35, v25, s[28:29]
	v_cmp_lt_u32_e64 s[42:43], v55, v31
	v_cmp_ge_u32_e64 s[40:41], v54, v48
	s_waitcnt lgkmcnt(0)
	v_cndmask_b32_e64 v53, v52, v50, s[28:29]
	v_cndmask_b32_e64 v52, v51, v52, s[28:29]
	v_cmp_le_i16_sdwa s[56:57], sext(v52), sext(v53) src0_sel:BYTE_0 src1_sel:BYTE_0
	s_and_b64 s[42:43], s[42:43], s[56:57]
	s_or_b64 s[40:41], s[40:41], s[42:43]
	v_cndmask_b32_e64 v25, v54, v55, s[40:41]
	v_cndmask_b32_e64 v26, v48, v31, s[40:41]
	v_lshl_add_u32 v35, v25, 3, v9
	v_add_u32_e32 v64, 1, v25
	v_add_u32_e32 v25, -1, v26
	v_min_u32_e32 v25, v64, v25
	v_lshl_add_u32 v19, v22, 3, v9
	v_lshl_add_u32 v18, v18, 3, v9
	v_add_u32_e32 v65, v10, v25
	ds_read_b64 v[22:23], v19 offset:2048
	ds_read_b64 v[18:19], v18 offset:2048
	;; [unrolled: 1-line block ×3, first 2 shown]
	ds_read_u8 v65, v65
	v_cndmask_b32_e64 v35, v24, v27, s[20:21]
	v_cndmask_b32_e64 v24, v37, v38, s[12:13]
	;; [unrolled: 1-line block ×4, first 2 shown]
	s_waitcnt lgkmcnt(0)
	v_cndmask_b32_e64 v37, v65, v53, s[40:41]
	v_cndmask_b32_e64 v65, v52, v65, s[40:41]
	v_cmp_lt_u32_e64 s[12:13], v27, v31
	v_cmp_le_i16_sdwa s[20:21], sext(v65), sext(v37) src0_sel:BYTE_0 src1_sel:BYTE_0
	v_cmp_ge_u32_e64 s[8:9], v21, v48
	s_and_b64 s[12:13], s[12:13], s[20:21]
	s_or_b64 s[8:9], s[8:9], s[12:13]
	v_cndmask_b32_e64 v21, v21, v27, s[8:9]
	v_lshl_add_u32 v21, v21, 3, v9
	ds_read_b64 v[27:28], v21 offset:2048
	v_cndmask_b32_e64 v21, v39, v49, s[24:25]
	v_cndmask_b32_e64 v39, v50, v51, s[28:29]
	;; [unrolled: 1-line block ×4, first 2 shown]
.LBB407_106:
	s_or_b64 exec, exec, s[46:47]
	v_and_b32_e32 v31, 0x380, v34
	; wave barrier
	ds_write_b8 v29, v20
	ds_write_b64 v30, v[4:5] offset:2048
	ds_write_b8 v29, v35 offset:1
	ds_write_b64 v30, v[12:13] offset:2056
	ds_write_b8 v29, v36 offset:2
	;; [unrolled: 2-line block ×7, first 2 shown]
	s_waitcnt lgkmcnt(14)
	ds_write_b64 v30, v[27:28] offset:2104
	v_or_b32_e32 v29, 64, v31
	v_min_u32_e32 v29, v11, v29
	v_add_u32_e32 v30, 64, v29
	v_min_u32_e32 v30, v11, v30
	v_min_u32_e32 v11, v11, v32
	v_sub_u32_e32 v48, v29, v31
	v_sub_u32_e32 v34, v30, v29
	v_sub_u32_e64 v34, v11, v34 clamp
	v_min_u32_e32 v48, v11, v48
	v_cmp_lt_u32_e64 s[8:9], v34, v48
	; wave barrier
	s_and_saveexec_b64 s[12:13], s[8:9]
	s_cbranch_execz .LBB407_110
; %bb.107:
	v_add_u32_e32 v49, v10, v31
	v_add3_u32 v50, v10, v29, v11
	s_mov_b64 s[20:21], 0
.LBB407_108:                            ; =>This Inner Loop Header: Depth=1
	v_add_u32_e32 v51, v48, v34
	v_lshrrev_b32_e32 v51, 1, v51
	v_add_u32_e32 v52, v49, v51
	v_xad_u32 v53, v51, -1, v50
	ds_read_i8 v52, v52
	ds_read_i8 v53, v53
	v_add_u32_e32 v54, 1, v51
	s_waitcnt lgkmcnt(0)
	v_cmp_gt_i16_e64 s[8:9], v52, v53
	v_cndmask_b32_e64 v48, v48, v51, s[8:9]
	v_cndmask_b32_e64 v34, v54, v34, s[8:9]
	v_cmp_ge_u32_e64 s[8:9], v34, v48
	s_or_b64 s[20:21], s[8:9], s[20:21]
	s_andn2_b64 exec, exec, s[20:21]
	s_cbranch_execnz .LBB407_108
; %bb.109:
	s_or_b64 exec, exec, s[20:21]
.LBB407_110:
	s_or_b64 exec, exec, s[12:13]
	v_add_u32_e32 v11, v29, v11
	v_add_u32_e32 v31, v34, v31
	v_sub_u32_e32 v34, v11, v34
	v_cmp_le_u32_e64 s[8:9], v31, v29
	v_cmp_le_u32_e64 s[12:13], v34, v30
	s_or_b64 s[8:9], s[8:9], s[12:13]
	s_and_saveexec_b64 s[46:47], s[8:9]
	s_cbranch_execz .LBB407_116
; %bb.111:
	v_cmp_lt_u32_e64 s[8:9], v31, v29
                                        ; implicit-def: $vgpr11
	s_and_saveexec_b64 s[12:13], s[8:9]
; %bb.112:
	v_add_u32_e32 v4, v10, v31
	ds_read_u8 v11, v4
; %bb.113:
	s_or_b64 exec, exec, s[12:13]
	v_cmp_ge_u32_e64 s[20:21], v34, v30
	v_cmp_lt_u32_e64 s[12:13], v34, v30
                                        ; implicit-def: $vgpr20
	s_and_saveexec_b64 s[22:23], s[12:13]
; %bb.114:
	v_add_u32_e32 v4, v10, v34
	ds_read_u8 v20, v4
; %bb.115:
	s_or_b64 exec, exec, s[22:23]
	s_waitcnt lgkmcnt(0)
	v_cmp_le_i16_sdwa s[12:13], sext(v11), sext(v20) src0_sel:BYTE_0 src1_sel:BYTE_0
	s_and_b64 s[8:9], s[8:9], s[12:13]
	s_or_b64 s[8:9], s[20:21], s[8:9]
	v_cndmask_b32_e64 v4, v34, v31, s[8:9]
	v_cndmask_b32_e64 v5, v30, v29, s[8:9]
	v_add_u32_e32 v12, 1, v4
	v_add_u32_e32 v5, -1, v5
	v_min_u32_e32 v5, v12, v5
	v_add_u32_e32 v5, v10, v5
	ds_read_u8 v5, v5
	v_cndmask_b32_e64 v13, v12, v34, s[8:9]
	v_cmp_ge_u32_e64 s[12:13], v13, v30
	v_lshl_add_u32 v4, v4, 3, v9
	s_waitcnt lgkmcnt(0)
	v_cndmask_b32_e64 v21, v5, v20, s[8:9]
	v_cndmask_b32_e64 v24, v11, v5, s[8:9]
	;; [unrolled: 1-line block ×3, first 2 shown]
	v_cmp_lt_u32_e64 s[20:21], v5, v29
	v_cmp_le_i16_sdwa s[22:23], sext(v24), sext(v21) src0_sel:BYTE_0 src1_sel:BYTE_0
	s_and_b64 s[20:21], s[20:21], s[22:23]
	s_or_b64 s[20:21], s[12:13], s[20:21]
	v_cndmask_b32_e64 v12, v13, v5, s[20:21]
	v_cndmask_b32_e64 v14, v30, v29, s[20:21]
	v_add_u32_e32 v15, 1, v12
	v_add_u32_e32 v14, -1, v14
	v_min_u32_e32 v14, v15, v14
	v_add_u32_e32 v14, v10, v14
	ds_read_u8 v14, v14
	v_cndmask_b32_e64 v5, v5, v15, s[20:21]
	v_cndmask_b32_e64 v13, v15, v13, s[20:21]
	v_cmp_lt_u32_e64 s[22:23], v5, v29
	v_cmp_ge_u32_e64 s[12:13], v13, v30
	s_waitcnt lgkmcnt(0)
	v_cndmask_b32_e64 v27, v14, v21, s[20:21]
	v_cndmask_b32_e64 v28, v24, v14, s[20:21]
	v_cmp_le_i16_sdwa s[24:25], sext(v28), sext(v27) src0_sel:BYTE_0 src1_sel:BYTE_0
	s_and_b64 s[22:23], s[22:23], s[24:25]
	s_or_b64 s[22:23], s[12:13], s[22:23]
	v_cndmask_b32_e64 v14, v13, v5, s[22:23]
	v_cndmask_b32_e64 v15, v30, v29, s[22:23]
	v_add_u32_e32 v16, 1, v14
	v_add_u32_e32 v15, -1, v15
	v_min_u32_e32 v15, v16, v15
	v_add_u32_e32 v15, v10, v15
	ds_read_u8 v15, v15
	v_lshl_add_u32 v12, v12, 3, v9
	v_lshl_add_u32 v14, v14, 3, v9
	v_cndmask_b32_e64 v20, v20, v11, s[8:9]
	s_waitcnt lgkmcnt(0)
	v_cndmask_b32_e64 v31, v15, v27, s[22:23]
	v_cndmask_b32_e64 v34, v28, v15, s[22:23]
	;; [unrolled: 1-line block ×4, first 2 shown]
	v_cmp_lt_u32_e64 s[24:25], v16, v29
	v_cmp_le_i16_sdwa s[28:29], sext(v34), sext(v31) src0_sel:BYTE_0 src1_sel:BYTE_0
	v_cmp_ge_u32_e64 s[12:13], v15, v30
	s_and_b64 s[24:25], s[24:25], s[28:29]
	s_or_b64 s[12:13], s[12:13], s[24:25]
	v_cndmask_b32_e64 v17, v15, v16, s[12:13]
	v_cndmask_b32_e64 v5, v30, v29, s[12:13]
	v_add_u32_e32 v18, 1, v17
	v_add_u32_e32 v5, -1, v5
	v_min_u32_e32 v5, v18, v5
	v_add_u32_e32 v5, v10, v5
	ds_read_u8 v19, v5
	ds_read_b64 v[4:5], v4 offset:2048
	ds_read_b64 v[12:13], v12 offset:2048
	s_waitcnt lgkmcnt(2)
	v_cndmask_b32_e64 v37, v19, v31, s[12:13]
	v_cndmask_b32_e64 v38, v34, v19, s[12:13]
	;; [unrolled: 1-line block ×4, first 2 shown]
	v_cmp_lt_u32_e64 s[28:29], v18, v29
	v_cmp_le_i16_sdwa s[40:41], sext(v38), sext(v37) src0_sel:BYTE_0 src1_sel:BYTE_0
	v_cmp_ge_u32_e64 s[24:25], v19, v30
	s_and_b64 s[28:29], s[28:29], s[40:41]
	s_or_b64 s[24:25], s[24:25], s[28:29]
	v_cndmask_b32_e64 v22, v19, v18, s[24:25]
	v_cndmask_b32_e64 v15, v30, v29, s[24:25]
	v_add_u32_e32 v23, 1, v22
	v_add_u32_e32 v15, -1, v15
	v_min_u32_e32 v15, v23, v15
	v_add_u32_e32 v15, v10, v15
	ds_read_u8 v25, v15
	v_cndmask_b32_e64 v26, v18, v23, s[24:25]
	v_cmp_lt_u32_e64 s[40:41], v26, v29
	v_lshl_add_u32 v16, v17, 3, v9
	ds_read_b64 v[14:15], v14 offset:2048
	ds_read_b64 v[16:17], v16 offset:2048
	s_waitcnt lgkmcnt(2)
	v_cndmask_b32_e64 v39, v25, v37, s[24:25]
	v_cndmask_b32_e64 v48, v38, v25, s[24:25]
	;; [unrolled: 1-line block ×3, first 2 shown]
	v_cmp_le_i16_sdwa s[42:43], sext(v48), sext(v39) src0_sel:BYTE_0 src1_sel:BYTE_0
	v_cmp_ge_u32_e64 s[28:29], v25, v30
	s_and_b64 s[40:41], s[40:41], s[42:43]
	s_or_b64 s[28:29], s[28:29], s[40:41]
	v_cndmask_b32_e64 v18, v25, v26, s[28:29]
	v_cndmask_b32_e64 v19, v30, v29, s[28:29]
	v_add_u32_e32 v35, 1, v18
	v_add_u32_e32 v19, -1, v19
	v_min_u32_e32 v19, v35, v19
	v_add_u32_e32 v19, v10, v19
	ds_read_u8 v36, v19
	v_cndmask_b32_e64 v52, v26, v35, s[28:29]
	v_cndmask_b32_e64 v51, v35, v25, s[28:29]
	v_cmp_lt_u32_e64 s[42:43], v52, v29
	v_cmp_ge_u32_e64 s[40:41], v51, v30
	s_waitcnt lgkmcnt(0)
	v_cndmask_b32_e64 v49, v36, v39, s[28:29]
	v_cndmask_b32_e64 v50, v48, v36, s[28:29]
	v_cmp_le_i16_sdwa s[56:57], sext(v50), sext(v49) src0_sel:BYTE_0 src1_sel:BYTE_0
	s_and_b64 s[42:43], s[42:43], s[56:57]
	s_or_b64 s[40:41], s[40:41], s[42:43]
	v_cndmask_b32_e64 v25, v51, v52, s[40:41]
	v_cndmask_b32_e64 v26, v30, v29, s[40:41]
	v_lshl_add_u32 v35, v25, 3, v9
	v_add_u32_e32 v53, 1, v25
	v_add_u32_e32 v25, -1, v26
	v_min_u32_e32 v25, v53, v25
	v_lshl_add_u32 v19, v22, 3, v9
	v_lshl_add_u32 v18, v18, 3, v9
	v_add_u32_e32 v10, v10, v25
	ds_read_b64 v[22:23], v19 offset:2048
	ds_read_b64 v[18:19], v18 offset:2048
	;; [unrolled: 1-line block ×3, first 2 shown]
	ds_read_u8 v10, v10
	v_cndmask_b32_e64 v36, v27, v28, s[22:23]
	v_cndmask_b32_e64 v27, v52, v53, s[40:41]
	;; [unrolled: 1-line block ×4, first 2 shown]
	s_waitcnt lgkmcnt(0)
	v_cndmask_b32_e64 v11, v10, v49, s[40:41]
	v_cndmask_b32_e64 v10, v50, v10, s[40:41]
	;; [unrolled: 1-line block ×3, first 2 shown]
	v_cmp_lt_u32_e64 s[12:13], v27, v29
	v_cmp_le_i16_sdwa s[20:21], sext(v10), sext(v11) src0_sel:BYTE_0 src1_sel:BYTE_0
	v_cmp_ge_u32_e64 s[8:9], v21, v30
	s_and_b64 s[12:13], s[12:13], s[20:21]
	s_or_b64 s[8:9], s[8:9], s[12:13]
	v_cndmask_b32_e64 v21, v21, v27, s[8:9]
	v_lshl_add_u32 v9, v21, 3, v9
	ds_read_b64 v[27:28], v9 offset:2048
	v_cndmask_b32_e64 v21, v37, v38, s[24:25]
	v_cndmask_b32_e64 v39, v39, v48, s[28:29]
	v_cndmask_b32_e64 v38, v49, v50, s[40:41]
	v_cndmask_b32_e64 v37, v11, v10, s[8:9]
.LBB407_116:
	s_or_b64 exec, exec, s[46:47]
	; wave barrier
	s_waitcnt lgkmcnt(0)
	s_barrier
.LBB407_117:
	s_or_b64 exec, exec, s[44:45]
	v_add_co_u32_e64 v2, s[8:9], v2, v8
	v_addc_co_u32_e64 v3, s[8:9], 0, v3, s[8:9]
	v_add_co_u32_e64 v2, s[8:9], v2, v32
	v_addc_co_u32_e64 v3, s[8:9], 0, v3, s[8:9]
	s_waitcnt lgkmcnt(0)
	; wave barrier
	s_and_saveexec_b64 s[8:9], vcc
	s_cbranch_execnz .LBB407_142
; %bb.118:
	s_or_b64 exec, exec, s[8:9]
	s_and_saveexec_b64 s[8:9], s[4:5]
	s_cbranch_execnz .LBB407_143
.LBB407_119:
	s_or_b64 exec, exec, s[8:9]
	s_and_saveexec_b64 s[8:9], s[6:7]
	s_cbranch_execnz .LBB407_144
.LBB407_120:
	s_or_b64 exec, exec, s[8:9]
	s_and_saveexec_b64 s[8:9], s[18:19]
	s_cbranch_execnz .LBB407_145
.LBB407_121:
	s_or_b64 exec, exec, s[8:9]
	s_and_saveexec_b64 s[8:9], s[10:11]
	s_cbranch_execnz .LBB407_146
.LBB407_122:
	s_or_b64 exec, exec, s[8:9]
	s_and_saveexec_b64 s[8:9], s[26:27]
	s_cbranch_execnz .LBB407_147
.LBB407_123:
	s_or_b64 exec, exec, s[8:9]
	s_and_saveexec_b64 s[8:9], s[14:15]
	s_cbranch_execnz .LBB407_148
.LBB407_124:
	s_or_b64 exec, exec, s[8:9]
	s_and_saveexec_b64 s[8:9], s[16:17]
	s_cbranch_execz .LBB407_126
.LBB407_125:
	s_waitcnt vmcnt(0)
	flat_store_byte v[2:3], v37 offset:7
.LBB407_126:
	s_or_b64 exec, exec, s[8:9]
	v_add_co_u32_e64 v0, s[8:9], v6, v0
	v_addc_co_u32_e64 v1, s[8:9], v7, v1, s[8:9]
	v_add_co_u32_e64 v0, s[8:9], v0, v33
	v_addc_co_u32_e64 v1, s[8:9], 0, v1, s[8:9]
	; wave barrier
	s_and_saveexec_b64 s[8:9], vcc
	s_cbranch_execnz .LBB407_149
; %bb.127:
	s_or_b64 exec, exec, s[8:9]
	s_and_saveexec_b64 s[8:9], s[4:5]
	s_cbranch_execnz .LBB407_150
.LBB407_128:
	s_or_b64 exec, exec, s[8:9]
	s_and_saveexec_b64 s[4:5], s[6:7]
	s_cbranch_execnz .LBB407_151
.LBB407_129:
	s_or_b64 exec, exec, s[4:5]
	s_and_saveexec_b64 s[4:5], s[18:19]
	s_cbranch_execnz .LBB407_152
.LBB407_130:
	s_or_b64 exec, exec, s[4:5]
	s_and_saveexec_b64 s[4:5], s[10:11]
	s_cbranch_execnz .LBB407_153
.LBB407_131:
	s_or_b64 exec, exec, s[4:5]
	s_and_saveexec_b64 s[4:5], s[26:27]
	s_cbranch_execnz .LBB407_154
.LBB407_132:
	s_or_b64 exec, exec, s[4:5]
	s_and_saveexec_b64 s[4:5], s[14:15]
	s_cbranch_execnz .LBB407_155
.LBB407_133:
	s_or_b64 exec, exec, s[4:5]
	s_and_saveexec_b64 s[4:5], s[16:17]
	s_cbranch_execnz .LBB407_156
.LBB407_134:
	s_or_b64 exec, exec, s[4:5]
	s_waitcnt vmcnt(0) lgkmcnt(0)
	s_setpc_b64 s[30:31]
.LBB407_135:
	flat_load_dwordx2 v[4:5], v[29:30]
	s_or_b64 exec, exec, s[20:21]
                                        ; implicit-def: $vgpr12_vgpr13
	s_and_saveexec_b64 s[20:21], s[4:5]
	s_cbranch_execz .LBB407_18
.LBB407_136:
	flat_load_dwordx2 v[12:13], v[29:30] offset:8
	s_or_b64 exec, exec, s[20:21]
                                        ; implicit-def: $vgpr14_vgpr15
	s_and_saveexec_b64 s[20:21], s[6:7]
	s_cbranch_execz .LBB407_19
.LBB407_137:
	flat_load_dwordx2 v[14:15], v[29:30] offset:16
	s_or_b64 exec, exec, s[20:21]
                                        ; implicit-def: $vgpr16_vgpr17
	s_and_saveexec_b64 s[20:21], s[18:19]
	s_cbranch_execz .LBB407_20
.LBB407_138:
	flat_load_dwordx2 v[16:17], v[29:30] offset:24
	s_or_b64 exec, exec, s[20:21]
                                        ; implicit-def: $vgpr22_vgpr23
	s_and_saveexec_b64 s[20:21], s[10:11]
	s_cbranch_execz .LBB407_21
.LBB407_139:
	flat_load_dwordx2 v[22:23], v[29:30] offset:32
	s_or_b64 exec, exec, s[20:21]
                                        ; implicit-def: $vgpr18_vgpr19
	s_and_saveexec_b64 s[20:21], s[26:27]
	s_cbranch_execz .LBB407_22
.LBB407_140:
	flat_load_dwordx2 v[18:19], v[29:30] offset:40
	s_or_b64 exec, exec, s[20:21]
                                        ; implicit-def: $vgpr25_vgpr26
	s_and_saveexec_b64 s[20:21], s[14:15]
	s_cbranch_execz .LBB407_23
.LBB407_141:
	flat_load_dwordx2 v[25:26], v[29:30] offset:48
	s_or_b64 exec, exec, s[20:21]
                                        ; implicit-def: $vgpr27_vgpr28
	s_and_saveexec_b64 s[20:21], s[16:17]
	s_cbranch_execnz .LBB407_24
	s_branch .LBB407_25
.LBB407_142:
	s_waitcnt vmcnt(0)
	flat_store_byte v[2:3], v20
	s_or_b64 exec, exec, s[8:9]
	s_and_saveexec_b64 s[8:9], s[4:5]
	s_cbranch_execz .LBB407_119
.LBB407_143:
	s_waitcnt vmcnt(0)
	flat_store_byte v[2:3], v35 offset:1
	s_or_b64 exec, exec, s[8:9]
	s_and_saveexec_b64 s[8:9], s[6:7]
	s_cbranch_execz .LBB407_120
.LBB407_144:
	s_waitcnt vmcnt(0)
	flat_store_byte v[2:3], v36 offset:2
	s_or_b64 exec, exec, s[8:9]
	s_and_saveexec_b64 s[8:9], s[18:19]
	s_cbranch_execz .LBB407_121
.LBB407_145:
	s_waitcnt vmcnt(0)
	flat_store_byte v[2:3], v24 offset:3
	s_or_b64 exec, exec, s[8:9]
	s_and_saveexec_b64 s[8:9], s[10:11]
	s_cbranch_execz .LBB407_122
.LBB407_146:
	s_waitcnt vmcnt(0)
	flat_store_byte v[2:3], v21 offset:4
	s_or_b64 exec, exec, s[8:9]
	s_and_saveexec_b64 s[8:9], s[26:27]
	s_cbranch_execz .LBB407_123
.LBB407_147:
	s_waitcnt vmcnt(0)
	flat_store_byte v[2:3], v39 offset:5
	s_or_b64 exec, exec, s[8:9]
	s_and_saveexec_b64 s[8:9], s[14:15]
	s_cbranch_execz .LBB407_124
.LBB407_148:
	s_waitcnt vmcnt(0)
	flat_store_byte v[2:3], v38 offset:6
	s_or_b64 exec, exec, s[8:9]
	s_and_saveexec_b64 s[8:9], s[16:17]
	s_cbranch_execnz .LBB407_125
	s_branch .LBB407_126
.LBB407_149:
	s_waitcnt vmcnt(0)
	flat_store_dwordx2 v[0:1], v[4:5]
	s_or_b64 exec, exec, s[8:9]
	s_and_saveexec_b64 s[8:9], s[4:5]
	s_cbranch_execz .LBB407_128
.LBB407_150:
	s_waitcnt vmcnt(0)
	flat_store_dwordx2 v[0:1], v[12:13] offset:8
	s_or_b64 exec, exec, s[8:9]
	s_and_saveexec_b64 s[4:5], s[6:7]
	s_cbranch_execz .LBB407_129
.LBB407_151:
	s_waitcnt vmcnt(0)
	flat_store_dwordx2 v[0:1], v[14:15] offset:16
	s_or_b64 exec, exec, s[4:5]
	s_and_saveexec_b64 s[4:5], s[18:19]
	s_cbranch_execz .LBB407_130
.LBB407_152:
	s_waitcnt vmcnt(0)
	flat_store_dwordx2 v[0:1], v[16:17] offset:24
	s_or_b64 exec, exec, s[4:5]
	s_and_saveexec_b64 s[4:5], s[10:11]
	s_cbranch_execz .LBB407_131
.LBB407_153:
	s_waitcnt vmcnt(0)
	flat_store_dwordx2 v[0:1], v[22:23] offset:32
	s_or_b64 exec, exec, s[4:5]
	s_and_saveexec_b64 s[4:5], s[26:27]
	s_cbranch_execz .LBB407_132
.LBB407_154:
	s_waitcnt vmcnt(0)
	flat_store_dwordx2 v[0:1], v[18:19] offset:40
	s_or_b64 exec, exec, s[4:5]
	s_and_saveexec_b64 s[4:5], s[14:15]
	s_cbranch_execz .LBB407_133
.LBB407_155:
	s_waitcnt vmcnt(0)
	flat_store_dwordx2 v[0:1], v[25:26] offset:48
	s_or_b64 exec, exec, s[4:5]
	s_and_saveexec_b64 s[4:5], s[16:17]
	s_cbranch_execz .LBB407_134
.LBB407_156:
	s_waitcnt vmcnt(0)
	flat_store_dwordx2 v[0:1], v[27:28] offset:56
	s_or_b64 exec, exec, s[4:5]
	s_waitcnt vmcnt(0) lgkmcnt(0)
	s_setpc_b64 s[30:31]
.Lfunc_end407:
	.size	_ZN7rocprim17ROCPRIM_400000_NS6detail26segmented_warp_sort_helperINS1_20WarpSortHelperConfigILj16ELj8ELj256EEEalLi256ELb0EvE4sortIPKaPaPKlPlEEvT_T0_T1_T2_jjjjRNS5_12storage_typeE, .Lfunc_end407-_ZN7rocprim17ROCPRIM_400000_NS6detail26segmented_warp_sort_helperINS1_20WarpSortHelperConfigILj16ELj8ELj256EEEalLi256ELb0EvE4sortIPKaPaPKlPlEEvT_T0_T1_T2_jjjjRNS5_12storage_typeE
                                        ; -- End function
	.set .L_ZN7rocprim17ROCPRIM_400000_NS6detail26segmented_warp_sort_helperINS1_20WarpSortHelperConfigILj16ELj8ELj256EEEalLi256ELb0EvE4sortIPKaPaPKlPlEEvT_T0_T1_T2_jjjjRNS5_12storage_typeE.num_vgpr, 68
	.set .L_ZN7rocprim17ROCPRIM_400000_NS6detail26segmented_warp_sort_helperINS1_20WarpSortHelperConfigILj16ELj8ELj256EEEalLi256ELb0EvE4sortIPKaPaPKlPlEEvT_T0_T1_T2_jjjjRNS5_12storage_typeE.num_agpr, 0
	.set .L_ZN7rocprim17ROCPRIM_400000_NS6detail26segmented_warp_sort_helperINS1_20WarpSortHelperConfigILj16ELj8ELj256EEEalLi256ELb0EvE4sortIPKaPaPKlPlEEvT_T0_T1_T2_jjjjRNS5_12storage_typeE.numbered_sgpr, 62
	.set .L_ZN7rocprim17ROCPRIM_400000_NS6detail26segmented_warp_sort_helperINS1_20WarpSortHelperConfigILj16ELj8ELj256EEEalLi256ELb0EvE4sortIPKaPaPKlPlEEvT_T0_T1_T2_jjjjRNS5_12storage_typeE.num_named_barrier, 0
	.set .L_ZN7rocprim17ROCPRIM_400000_NS6detail26segmented_warp_sort_helperINS1_20WarpSortHelperConfigILj16ELj8ELj256EEEalLi256ELb0EvE4sortIPKaPaPKlPlEEvT_T0_T1_T2_jjjjRNS5_12storage_typeE.private_seg_size, 0
	.set .L_ZN7rocprim17ROCPRIM_400000_NS6detail26segmented_warp_sort_helperINS1_20WarpSortHelperConfigILj16ELj8ELj256EEEalLi256ELb0EvE4sortIPKaPaPKlPlEEvT_T0_T1_T2_jjjjRNS5_12storage_typeE.uses_vcc, 1
	.set .L_ZN7rocprim17ROCPRIM_400000_NS6detail26segmented_warp_sort_helperINS1_20WarpSortHelperConfigILj16ELj8ELj256EEEalLi256ELb0EvE4sortIPKaPaPKlPlEEvT_T0_T1_T2_jjjjRNS5_12storage_typeE.uses_flat_scratch, 0
	.set .L_ZN7rocprim17ROCPRIM_400000_NS6detail26segmented_warp_sort_helperINS1_20WarpSortHelperConfigILj16ELj8ELj256EEEalLi256ELb0EvE4sortIPKaPaPKlPlEEvT_T0_T1_T2_jjjjRNS5_12storage_typeE.has_dyn_sized_stack, 0
	.set .L_ZN7rocprim17ROCPRIM_400000_NS6detail26segmented_warp_sort_helperINS1_20WarpSortHelperConfigILj16ELj8ELj256EEEalLi256ELb0EvE4sortIPKaPaPKlPlEEvT_T0_T1_T2_jjjjRNS5_12storage_typeE.has_recursion, 0
	.set .L_ZN7rocprim17ROCPRIM_400000_NS6detail26segmented_warp_sort_helperINS1_20WarpSortHelperConfigILj16ELj8ELj256EEEalLi256ELb0EvE4sortIPKaPaPKlPlEEvT_T0_T1_T2_jjjjRNS5_12storage_typeE.has_indirect_call, 0
	.section	.AMDGPU.csdata,"",@progbits
; Function info:
; codeLenInByte = 17608
; TotalNumSgprs: 66
; NumVgprs: 68
; ScratchSize: 0
; MemoryBound: 0
	.section	.text._ZN7rocprim17ROCPRIM_400000_NS6detail17trampoline_kernelINS0_14default_configENS1_36segmented_radix_sort_config_selectorIalEEZNS1_25segmented_radix_sort_implIS3_Lb0EPKaPaPKlPlN2at6native12_GLOBAL__N_18offset_tEEE10hipError_tPvRmT1_PNSt15iterator_traitsISK_E10value_typeET2_T3_PNSL_ISQ_E10value_typeET4_jRbjT5_SW_jjP12ihipStream_tbEUlT_E0_NS1_11comp_targetILNS1_3genE2ELNS1_11target_archE906ELNS1_3gpuE6ELNS1_3repE0EEENS1_60segmented_radix_sort_warp_sort_medium_config_static_selectorELNS0_4arch9wavefront6targetE1EEEvSK_,"axG",@progbits,_ZN7rocprim17ROCPRIM_400000_NS6detail17trampoline_kernelINS0_14default_configENS1_36segmented_radix_sort_config_selectorIalEEZNS1_25segmented_radix_sort_implIS3_Lb0EPKaPaPKlPlN2at6native12_GLOBAL__N_18offset_tEEE10hipError_tPvRmT1_PNSt15iterator_traitsISK_E10value_typeET2_T3_PNSL_ISQ_E10value_typeET4_jRbjT5_SW_jjP12ihipStream_tbEUlT_E0_NS1_11comp_targetILNS1_3genE2ELNS1_11target_archE906ELNS1_3gpuE6ELNS1_3repE0EEENS1_60segmented_radix_sort_warp_sort_medium_config_static_selectorELNS0_4arch9wavefront6targetE1EEEvSK_,comdat
	.globl	_ZN7rocprim17ROCPRIM_400000_NS6detail17trampoline_kernelINS0_14default_configENS1_36segmented_radix_sort_config_selectorIalEEZNS1_25segmented_radix_sort_implIS3_Lb0EPKaPaPKlPlN2at6native12_GLOBAL__N_18offset_tEEE10hipError_tPvRmT1_PNSt15iterator_traitsISK_E10value_typeET2_T3_PNSL_ISQ_E10value_typeET4_jRbjT5_SW_jjP12ihipStream_tbEUlT_E0_NS1_11comp_targetILNS1_3genE2ELNS1_11target_archE906ELNS1_3gpuE6ELNS1_3repE0EEENS1_60segmented_radix_sort_warp_sort_medium_config_static_selectorELNS0_4arch9wavefront6targetE1EEEvSK_ ; -- Begin function _ZN7rocprim17ROCPRIM_400000_NS6detail17trampoline_kernelINS0_14default_configENS1_36segmented_radix_sort_config_selectorIalEEZNS1_25segmented_radix_sort_implIS3_Lb0EPKaPaPKlPlN2at6native12_GLOBAL__N_18offset_tEEE10hipError_tPvRmT1_PNSt15iterator_traitsISK_E10value_typeET2_T3_PNSL_ISQ_E10value_typeET4_jRbjT5_SW_jjP12ihipStream_tbEUlT_E0_NS1_11comp_targetILNS1_3genE2ELNS1_11target_archE906ELNS1_3gpuE6ELNS1_3repE0EEENS1_60segmented_radix_sort_warp_sort_medium_config_static_selectorELNS0_4arch9wavefront6targetE1EEEvSK_
	.p2align	8
	.type	_ZN7rocprim17ROCPRIM_400000_NS6detail17trampoline_kernelINS0_14default_configENS1_36segmented_radix_sort_config_selectorIalEEZNS1_25segmented_radix_sort_implIS3_Lb0EPKaPaPKlPlN2at6native12_GLOBAL__N_18offset_tEEE10hipError_tPvRmT1_PNSt15iterator_traitsISK_E10value_typeET2_T3_PNSL_ISQ_E10value_typeET4_jRbjT5_SW_jjP12ihipStream_tbEUlT_E0_NS1_11comp_targetILNS1_3genE2ELNS1_11target_archE906ELNS1_3gpuE6ELNS1_3repE0EEENS1_60segmented_radix_sort_warp_sort_medium_config_static_selectorELNS0_4arch9wavefront6targetE1EEEvSK_,@function
_ZN7rocprim17ROCPRIM_400000_NS6detail17trampoline_kernelINS0_14default_configENS1_36segmented_radix_sort_config_selectorIalEEZNS1_25segmented_radix_sort_implIS3_Lb0EPKaPaPKlPlN2at6native12_GLOBAL__N_18offset_tEEE10hipError_tPvRmT1_PNSt15iterator_traitsISK_E10value_typeET2_T3_PNSL_ISQ_E10value_typeET4_jRbjT5_SW_jjP12ihipStream_tbEUlT_E0_NS1_11comp_targetILNS1_3genE2ELNS1_11target_archE906ELNS1_3gpuE6ELNS1_3repE0EEENS1_60segmented_radix_sort_warp_sort_medium_config_static_selectorELNS0_4arch9wavefront6targetE1EEEvSK_: ; @_ZN7rocprim17ROCPRIM_400000_NS6detail17trampoline_kernelINS0_14default_configENS1_36segmented_radix_sort_config_selectorIalEEZNS1_25segmented_radix_sort_implIS3_Lb0EPKaPaPKlPlN2at6native12_GLOBAL__N_18offset_tEEE10hipError_tPvRmT1_PNSt15iterator_traitsISK_E10value_typeET2_T3_PNSL_ISQ_E10value_typeET4_jRbjT5_SW_jjP12ihipStream_tbEUlT_E0_NS1_11comp_targetILNS1_3genE2ELNS1_11target_archE906ELNS1_3gpuE6ELNS1_3repE0EEENS1_60segmented_radix_sort_warp_sort_medium_config_static_selectorELNS0_4arch9wavefront6targetE1EEEvSK_
; %bb.0:
	s_add_u32 s0, s0, s8
	s_load_dword s8, s[4:5], 0x64
	s_addc_u32 s1, s1, 0
	s_mov_b32 s32, 0
	s_waitcnt lgkmcnt(0)
	s_lshr_b32 s9, s8, 16
	s_and_b32 s8, s8, 0xffff
	v_mad_u32_u24 v3, v2, s9, v1
	v_mad_u64_u32 v[3:4], s[8:9], v3, s8, v[0:1]
	s_load_dword s8, s[4:5], 0x34
	v_lshrrev_b32_e32 v3, 4, v3
	v_lshl_add_u32 v3, s6, 4, v3
	s_waitcnt lgkmcnt(0)
	v_cmp_gt_u32_e32 vcc, s8, v3
	s_and_saveexec_b64 s[8:9], vcc
	s_cbranch_execz .LBB408_6
; %bb.1:
	s_load_dwordx2 s[12:13], s[4:5], 0x38
	s_load_dwordx4 s[8:11], s[4:5], 0x40
	v_mov_b32_e32 v4, 0
	v_lshlrev_b64 v[3:4], 2, v[3:4]
	s_waitcnt lgkmcnt(0)
	v_mov_b32_e32 v5, s13
	v_add_co_u32_e32 v3, vcc, s12, v3
	v_addc_co_u32_e32 v4, vcc, v5, v4, vcc
	global_load_dword v3, v[3:4], off
	s_waitcnt vmcnt(0)
	v_add_u32_e32 v4, s9, v3
	v_add_u32_e32 v3, s11, v3
	v_mul_lo_u32 v8, v4, s8
	v_mul_lo_u32 v40, v3, s10
	v_cmp_gt_u32_e32 vcc, v40, v8
	s_and_b64 exec, exec, vcc
	s_cbranch_execz .LBB408_6
; %bb.2:
	s_load_dword s10, s[4:5], 0x30
	s_load_dwordx4 s[36:39], s[4:5], 0x20
	s_load_dwordx8 s[48:55], s[4:5], 0x0
	s_load_dwordx2 s[34:35], s[4:5], 0x50
	s_mov_b64 s[8:9], -1
	s_waitcnt lgkmcnt(0)
	s_bitcmp0_b32 s10, 0
	v_lshlrev_b32_e32 v42, 20, v2
	v_lshlrev_b32_e32 v43, 10, v1
	s_cbranch_scc0 .LBB408_4
; %bb.3:
	s_add_u32 s8, s4, 0x58
	s_addc_u32 s9, s5, 0
	s_getpc_b64 s[10:11]
	s_add_u32 s10, s10, _ZN7rocprim17ROCPRIM_400000_NS6detail26segmented_warp_sort_helperINS1_20WarpSortHelperConfigILj16ELj8ELj256EEEalLi256ELb0EvE4sortIPKaPaPKlPlEEvT_T0_T1_T2_jjjjRNS5_12storage_typeE@rel32@lo+4
	s_addc_u32 s11, s11, _ZN7rocprim17ROCPRIM_400000_NS6detail26segmented_warp_sort_helperINS1_20WarpSortHelperConfigILj16ELj8ELj256EEEalLi256ELb0EvE4sortIPKaPaPKlPlEEvT_T0_T1_T2_jjjjRNS5_12storage_typeE@rel32@hi+12
	v_or3_b32 v31, v0, v43, v42
	s_mov_b32 s12, s6
	s_mov_b32 s13, s7
	v_mov_b32_e32 v41, v0
	v_mov_b32_e32 v0, s48
	;; [unrolled: 1-line block ×12, first 2 shown]
	s_mov_b64 s[36:37], s[4:5]
	s_mov_b32 s50, s7
	s_mov_b32 s33, s6
	s_swappc_b64 s[30:31], s[10:11]
	v_mov_b32_e32 v0, v41
	s_mov_b32 s6, s33
	s_mov_b32 s7, s50
	s_mov_b64 s[4:5], s[36:37]
	s_mov_b64 s[8:9], 0
.LBB408_4:
	s_andn2_b64 vcc, exec, s[8:9]
	s_cbranch_vccnz .LBB408_6
; %bb.5:
	s_add_u32 s8, s4, 0x58
	s_addc_u32 s9, s5, 0
	s_getpc_b64 s[4:5]
	s_add_u32 s4, s4, _ZN7rocprim17ROCPRIM_400000_NS6detail26segmented_warp_sort_helperINS1_20WarpSortHelperConfigILj16ELj8ELj256EEEalLi256ELb0EvE4sortIPKaPaPKlPlEEvT_T0_T1_T2_jjjjRNS5_12storage_typeE@rel32@lo+4
	s_addc_u32 s5, s5, _ZN7rocprim17ROCPRIM_400000_NS6detail26segmented_warp_sort_helperINS1_20WarpSortHelperConfigILj16ELj8ELj256EEEalLi256ELb0EvE4sortIPKaPaPKlPlEEvT_T0_T1_T2_jjjjRNS5_12storage_typeE@rel32@hi+12
	v_or3_b32 v31, v0, v43, v42
	s_mov_b32 s12, s6
	s_mov_b32 s13, s7
	v_mov_b32_e32 v0, s48
	v_mov_b32_e32 v1, s49
	;; [unrolled: 1-line block ×11, first 2 shown]
	s_swappc_b64 s[30:31], s[4:5]
.LBB408_6:
	s_endpgm
	.section	.rodata,"a",@progbits
	.p2align	6, 0x0
	.amdhsa_kernel _ZN7rocprim17ROCPRIM_400000_NS6detail17trampoline_kernelINS0_14default_configENS1_36segmented_radix_sort_config_selectorIalEEZNS1_25segmented_radix_sort_implIS3_Lb0EPKaPaPKlPlN2at6native12_GLOBAL__N_18offset_tEEE10hipError_tPvRmT1_PNSt15iterator_traitsISK_E10value_typeET2_T3_PNSL_ISQ_E10value_typeET4_jRbjT5_SW_jjP12ihipStream_tbEUlT_E0_NS1_11comp_targetILNS1_3genE2ELNS1_11target_archE906ELNS1_3gpuE6ELNS1_3repE0EEENS1_60segmented_radix_sort_warp_sort_medium_config_static_selectorELNS0_4arch9wavefront6targetE1EEEvSK_
		.amdhsa_group_segment_fixed_size 18432
		.amdhsa_private_segment_fixed_size 0
		.amdhsa_kernarg_size 344
		.amdhsa_user_sgpr_count 6
		.amdhsa_user_sgpr_private_segment_buffer 1
		.amdhsa_user_sgpr_dispatch_ptr 0
		.amdhsa_user_sgpr_queue_ptr 0
		.amdhsa_user_sgpr_kernarg_segment_ptr 1
		.amdhsa_user_sgpr_dispatch_id 0
		.amdhsa_user_sgpr_flat_scratch_init 0
		.amdhsa_user_sgpr_private_segment_size 0
		.amdhsa_uses_dynamic_stack 0
		.amdhsa_system_sgpr_private_segment_wavefront_offset 0
		.amdhsa_system_sgpr_workgroup_id_x 1
		.amdhsa_system_sgpr_workgroup_id_y 1
		.amdhsa_system_sgpr_workgroup_id_z 0
		.amdhsa_system_sgpr_workgroup_info 0
		.amdhsa_system_vgpr_workitem_id 2
		.amdhsa_next_free_vgpr 68
		.amdhsa_next_free_sgpr 98
		.amdhsa_reserve_vcc 1
		.amdhsa_reserve_flat_scratch 0
		.amdhsa_float_round_mode_32 0
		.amdhsa_float_round_mode_16_64 0
		.amdhsa_float_denorm_mode_32 3
		.amdhsa_float_denorm_mode_16_64 3
		.amdhsa_dx10_clamp 1
		.amdhsa_ieee_mode 1
		.amdhsa_fp16_overflow 0
		.amdhsa_exception_fp_ieee_invalid_op 0
		.amdhsa_exception_fp_denorm_src 0
		.amdhsa_exception_fp_ieee_div_zero 0
		.amdhsa_exception_fp_ieee_overflow 0
		.amdhsa_exception_fp_ieee_underflow 0
		.amdhsa_exception_fp_ieee_inexact 0
		.amdhsa_exception_int_div_zero 0
	.end_amdhsa_kernel
	.section	.text._ZN7rocprim17ROCPRIM_400000_NS6detail17trampoline_kernelINS0_14default_configENS1_36segmented_radix_sort_config_selectorIalEEZNS1_25segmented_radix_sort_implIS3_Lb0EPKaPaPKlPlN2at6native12_GLOBAL__N_18offset_tEEE10hipError_tPvRmT1_PNSt15iterator_traitsISK_E10value_typeET2_T3_PNSL_ISQ_E10value_typeET4_jRbjT5_SW_jjP12ihipStream_tbEUlT_E0_NS1_11comp_targetILNS1_3genE2ELNS1_11target_archE906ELNS1_3gpuE6ELNS1_3repE0EEENS1_60segmented_radix_sort_warp_sort_medium_config_static_selectorELNS0_4arch9wavefront6targetE1EEEvSK_,"axG",@progbits,_ZN7rocprim17ROCPRIM_400000_NS6detail17trampoline_kernelINS0_14default_configENS1_36segmented_radix_sort_config_selectorIalEEZNS1_25segmented_radix_sort_implIS3_Lb0EPKaPaPKlPlN2at6native12_GLOBAL__N_18offset_tEEE10hipError_tPvRmT1_PNSt15iterator_traitsISK_E10value_typeET2_T3_PNSL_ISQ_E10value_typeET4_jRbjT5_SW_jjP12ihipStream_tbEUlT_E0_NS1_11comp_targetILNS1_3genE2ELNS1_11target_archE906ELNS1_3gpuE6ELNS1_3repE0EEENS1_60segmented_radix_sort_warp_sort_medium_config_static_selectorELNS0_4arch9wavefront6targetE1EEEvSK_,comdat
.Lfunc_end408:
	.size	_ZN7rocprim17ROCPRIM_400000_NS6detail17trampoline_kernelINS0_14default_configENS1_36segmented_radix_sort_config_selectorIalEEZNS1_25segmented_radix_sort_implIS3_Lb0EPKaPaPKlPlN2at6native12_GLOBAL__N_18offset_tEEE10hipError_tPvRmT1_PNSt15iterator_traitsISK_E10value_typeET2_T3_PNSL_ISQ_E10value_typeET4_jRbjT5_SW_jjP12ihipStream_tbEUlT_E0_NS1_11comp_targetILNS1_3genE2ELNS1_11target_archE906ELNS1_3gpuE6ELNS1_3repE0EEENS1_60segmented_radix_sort_warp_sort_medium_config_static_selectorELNS0_4arch9wavefront6targetE1EEEvSK_, .Lfunc_end408-_ZN7rocprim17ROCPRIM_400000_NS6detail17trampoline_kernelINS0_14default_configENS1_36segmented_radix_sort_config_selectorIalEEZNS1_25segmented_radix_sort_implIS3_Lb0EPKaPaPKlPlN2at6native12_GLOBAL__N_18offset_tEEE10hipError_tPvRmT1_PNSt15iterator_traitsISK_E10value_typeET2_T3_PNSL_ISQ_E10value_typeET4_jRbjT5_SW_jjP12ihipStream_tbEUlT_E0_NS1_11comp_targetILNS1_3genE2ELNS1_11target_archE906ELNS1_3gpuE6ELNS1_3repE0EEENS1_60segmented_radix_sort_warp_sort_medium_config_static_selectorELNS0_4arch9wavefront6targetE1EEEvSK_
                                        ; -- End function
	.set _ZN7rocprim17ROCPRIM_400000_NS6detail17trampoline_kernelINS0_14default_configENS1_36segmented_radix_sort_config_selectorIalEEZNS1_25segmented_radix_sort_implIS3_Lb0EPKaPaPKlPlN2at6native12_GLOBAL__N_18offset_tEEE10hipError_tPvRmT1_PNSt15iterator_traitsISK_E10value_typeET2_T3_PNSL_ISQ_E10value_typeET4_jRbjT5_SW_jjP12ihipStream_tbEUlT_E0_NS1_11comp_targetILNS1_3genE2ELNS1_11target_archE906ELNS1_3gpuE6ELNS1_3repE0EEENS1_60segmented_radix_sort_warp_sort_medium_config_static_selectorELNS0_4arch9wavefront6targetE1EEEvSK_.num_vgpr, max(44, .L_ZN7rocprim17ROCPRIM_400000_NS6detail26segmented_warp_sort_helperINS1_20WarpSortHelperConfigILj16ELj8ELj256EEEalLi256ELb0EvE4sortIPKaPaPKlPlEEvT_T0_T1_T2_jjjjRNS5_12storage_typeE.num_vgpr)
	.set _ZN7rocprim17ROCPRIM_400000_NS6detail17trampoline_kernelINS0_14default_configENS1_36segmented_radix_sort_config_selectorIalEEZNS1_25segmented_radix_sort_implIS3_Lb0EPKaPaPKlPlN2at6native12_GLOBAL__N_18offset_tEEE10hipError_tPvRmT1_PNSt15iterator_traitsISK_E10value_typeET2_T3_PNSL_ISQ_E10value_typeET4_jRbjT5_SW_jjP12ihipStream_tbEUlT_E0_NS1_11comp_targetILNS1_3genE2ELNS1_11target_archE906ELNS1_3gpuE6ELNS1_3repE0EEENS1_60segmented_radix_sort_warp_sort_medium_config_static_selectorELNS0_4arch9wavefront6targetE1EEEvSK_.num_agpr, max(0, .L_ZN7rocprim17ROCPRIM_400000_NS6detail26segmented_warp_sort_helperINS1_20WarpSortHelperConfigILj16ELj8ELj256EEEalLi256ELb0EvE4sortIPKaPaPKlPlEEvT_T0_T1_T2_jjjjRNS5_12storage_typeE.num_agpr)
	.set _ZN7rocprim17ROCPRIM_400000_NS6detail17trampoline_kernelINS0_14default_configENS1_36segmented_radix_sort_config_selectorIalEEZNS1_25segmented_radix_sort_implIS3_Lb0EPKaPaPKlPlN2at6native12_GLOBAL__N_18offset_tEEE10hipError_tPvRmT1_PNSt15iterator_traitsISK_E10value_typeET2_T3_PNSL_ISQ_E10value_typeET4_jRbjT5_SW_jjP12ihipStream_tbEUlT_E0_NS1_11comp_targetILNS1_3genE2ELNS1_11target_archE906ELNS1_3gpuE6ELNS1_3repE0EEENS1_60segmented_radix_sort_warp_sort_medium_config_static_selectorELNS0_4arch9wavefront6targetE1EEEvSK_.numbered_sgpr, max(56, .L_ZN7rocprim17ROCPRIM_400000_NS6detail26segmented_warp_sort_helperINS1_20WarpSortHelperConfigILj16ELj8ELj256EEEalLi256ELb0EvE4sortIPKaPaPKlPlEEvT_T0_T1_T2_jjjjRNS5_12storage_typeE.numbered_sgpr)
	.set _ZN7rocprim17ROCPRIM_400000_NS6detail17trampoline_kernelINS0_14default_configENS1_36segmented_radix_sort_config_selectorIalEEZNS1_25segmented_radix_sort_implIS3_Lb0EPKaPaPKlPlN2at6native12_GLOBAL__N_18offset_tEEE10hipError_tPvRmT1_PNSt15iterator_traitsISK_E10value_typeET2_T3_PNSL_ISQ_E10value_typeET4_jRbjT5_SW_jjP12ihipStream_tbEUlT_E0_NS1_11comp_targetILNS1_3genE2ELNS1_11target_archE906ELNS1_3gpuE6ELNS1_3repE0EEENS1_60segmented_radix_sort_warp_sort_medium_config_static_selectorELNS0_4arch9wavefront6targetE1EEEvSK_.num_named_barrier, max(0, .L_ZN7rocprim17ROCPRIM_400000_NS6detail26segmented_warp_sort_helperINS1_20WarpSortHelperConfigILj16ELj8ELj256EEEalLi256ELb0EvE4sortIPKaPaPKlPlEEvT_T0_T1_T2_jjjjRNS5_12storage_typeE.num_named_barrier)
	.set _ZN7rocprim17ROCPRIM_400000_NS6detail17trampoline_kernelINS0_14default_configENS1_36segmented_radix_sort_config_selectorIalEEZNS1_25segmented_radix_sort_implIS3_Lb0EPKaPaPKlPlN2at6native12_GLOBAL__N_18offset_tEEE10hipError_tPvRmT1_PNSt15iterator_traitsISK_E10value_typeET2_T3_PNSL_ISQ_E10value_typeET4_jRbjT5_SW_jjP12ihipStream_tbEUlT_E0_NS1_11comp_targetILNS1_3genE2ELNS1_11target_archE906ELNS1_3gpuE6ELNS1_3repE0EEENS1_60segmented_radix_sort_warp_sort_medium_config_static_selectorELNS0_4arch9wavefront6targetE1EEEvSK_.private_seg_size, 0+max(.L_ZN7rocprim17ROCPRIM_400000_NS6detail26segmented_warp_sort_helperINS1_20WarpSortHelperConfigILj16ELj8ELj256EEEalLi256ELb0EvE4sortIPKaPaPKlPlEEvT_T0_T1_T2_jjjjRNS5_12storage_typeE.private_seg_size)
	.set _ZN7rocprim17ROCPRIM_400000_NS6detail17trampoline_kernelINS0_14default_configENS1_36segmented_radix_sort_config_selectorIalEEZNS1_25segmented_radix_sort_implIS3_Lb0EPKaPaPKlPlN2at6native12_GLOBAL__N_18offset_tEEE10hipError_tPvRmT1_PNSt15iterator_traitsISK_E10value_typeET2_T3_PNSL_ISQ_E10value_typeET4_jRbjT5_SW_jjP12ihipStream_tbEUlT_E0_NS1_11comp_targetILNS1_3genE2ELNS1_11target_archE906ELNS1_3gpuE6ELNS1_3repE0EEENS1_60segmented_radix_sort_warp_sort_medium_config_static_selectorELNS0_4arch9wavefront6targetE1EEEvSK_.uses_vcc, or(1, .L_ZN7rocprim17ROCPRIM_400000_NS6detail26segmented_warp_sort_helperINS1_20WarpSortHelperConfigILj16ELj8ELj256EEEalLi256ELb0EvE4sortIPKaPaPKlPlEEvT_T0_T1_T2_jjjjRNS5_12storage_typeE.uses_vcc)
	.set _ZN7rocprim17ROCPRIM_400000_NS6detail17trampoline_kernelINS0_14default_configENS1_36segmented_radix_sort_config_selectorIalEEZNS1_25segmented_radix_sort_implIS3_Lb0EPKaPaPKlPlN2at6native12_GLOBAL__N_18offset_tEEE10hipError_tPvRmT1_PNSt15iterator_traitsISK_E10value_typeET2_T3_PNSL_ISQ_E10value_typeET4_jRbjT5_SW_jjP12ihipStream_tbEUlT_E0_NS1_11comp_targetILNS1_3genE2ELNS1_11target_archE906ELNS1_3gpuE6ELNS1_3repE0EEENS1_60segmented_radix_sort_warp_sort_medium_config_static_selectorELNS0_4arch9wavefront6targetE1EEEvSK_.uses_flat_scratch, or(0, .L_ZN7rocprim17ROCPRIM_400000_NS6detail26segmented_warp_sort_helperINS1_20WarpSortHelperConfigILj16ELj8ELj256EEEalLi256ELb0EvE4sortIPKaPaPKlPlEEvT_T0_T1_T2_jjjjRNS5_12storage_typeE.uses_flat_scratch)
	.set _ZN7rocprim17ROCPRIM_400000_NS6detail17trampoline_kernelINS0_14default_configENS1_36segmented_radix_sort_config_selectorIalEEZNS1_25segmented_radix_sort_implIS3_Lb0EPKaPaPKlPlN2at6native12_GLOBAL__N_18offset_tEEE10hipError_tPvRmT1_PNSt15iterator_traitsISK_E10value_typeET2_T3_PNSL_ISQ_E10value_typeET4_jRbjT5_SW_jjP12ihipStream_tbEUlT_E0_NS1_11comp_targetILNS1_3genE2ELNS1_11target_archE906ELNS1_3gpuE6ELNS1_3repE0EEENS1_60segmented_radix_sort_warp_sort_medium_config_static_selectorELNS0_4arch9wavefront6targetE1EEEvSK_.has_dyn_sized_stack, or(0, .L_ZN7rocprim17ROCPRIM_400000_NS6detail26segmented_warp_sort_helperINS1_20WarpSortHelperConfigILj16ELj8ELj256EEEalLi256ELb0EvE4sortIPKaPaPKlPlEEvT_T0_T1_T2_jjjjRNS5_12storage_typeE.has_dyn_sized_stack)
	.set _ZN7rocprim17ROCPRIM_400000_NS6detail17trampoline_kernelINS0_14default_configENS1_36segmented_radix_sort_config_selectorIalEEZNS1_25segmented_radix_sort_implIS3_Lb0EPKaPaPKlPlN2at6native12_GLOBAL__N_18offset_tEEE10hipError_tPvRmT1_PNSt15iterator_traitsISK_E10value_typeET2_T3_PNSL_ISQ_E10value_typeET4_jRbjT5_SW_jjP12ihipStream_tbEUlT_E0_NS1_11comp_targetILNS1_3genE2ELNS1_11target_archE906ELNS1_3gpuE6ELNS1_3repE0EEENS1_60segmented_radix_sort_warp_sort_medium_config_static_selectorELNS0_4arch9wavefront6targetE1EEEvSK_.has_recursion, or(0, .L_ZN7rocprim17ROCPRIM_400000_NS6detail26segmented_warp_sort_helperINS1_20WarpSortHelperConfigILj16ELj8ELj256EEEalLi256ELb0EvE4sortIPKaPaPKlPlEEvT_T0_T1_T2_jjjjRNS5_12storage_typeE.has_recursion)
	.set _ZN7rocprim17ROCPRIM_400000_NS6detail17trampoline_kernelINS0_14default_configENS1_36segmented_radix_sort_config_selectorIalEEZNS1_25segmented_radix_sort_implIS3_Lb0EPKaPaPKlPlN2at6native12_GLOBAL__N_18offset_tEEE10hipError_tPvRmT1_PNSt15iterator_traitsISK_E10value_typeET2_T3_PNSL_ISQ_E10value_typeET4_jRbjT5_SW_jjP12ihipStream_tbEUlT_E0_NS1_11comp_targetILNS1_3genE2ELNS1_11target_archE906ELNS1_3gpuE6ELNS1_3repE0EEENS1_60segmented_radix_sort_warp_sort_medium_config_static_selectorELNS0_4arch9wavefront6targetE1EEEvSK_.has_indirect_call, or(0, .L_ZN7rocprim17ROCPRIM_400000_NS6detail26segmented_warp_sort_helperINS1_20WarpSortHelperConfigILj16ELj8ELj256EEEalLi256ELb0EvE4sortIPKaPaPKlPlEEvT_T0_T1_T2_jjjjRNS5_12storage_typeE.has_indirect_call)
	.section	.AMDGPU.csdata,"",@progbits
; Kernel info:
; codeLenInByte = 476
; TotalNumSgprs: 66
; NumVgprs: 68
; ScratchSize: 0
; MemoryBound: 0
; FloatMode: 240
; IeeeMode: 1
; LDSByteSize: 18432 bytes/workgroup (compile time only)
; SGPRBlocks: 12
; VGPRBlocks: 16
; NumSGPRsForWavesPerEU: 102
; NumVGPRsForWavesPerEU: 68
; Occupancy: 3
; WaveLimiterHint : 0
; COMPUTE_PGM_RSRC2:SCRATCH_EN: 0
; COMPUTE_PGM_RSRC2:USER_SGPR: 6
; COMPUTE_PGM_RSRC2:TRAP_HANDLER: 0
; COMPUTE_PGM_RSRC2:TGID_X_EN: 1
; COMPUTE_PGM_RSRC2:TGID_Y_EN: 1
; COMPUTE_PGM_RSRC2:TGID_Z_EN: 0
; COMPUTE_PGM_RSRC2:TIDIG_COMP_CNT: 2
	.section	.text._ZN7rocprim17ROCPRIM_400000_NS6detail17trampoline_kernelINS0_14default_configENS1_36segmented_radix_sort_config_selectorIalEEZNS1_25segmented_radix_sort_implIS3_Lb0EPKaPaPKlPlN2at6native12_GLOBAL__N_18offset_tEEE10hipError_tPvRmT1_PNSt15iterator_traitsISK_E10value_typeET2_T3_PNSL_ISQ_E10value_typeET4_jRbjT5_SW_jjP12ihipStream_tbEUlT_E0_NS1_11comp_targetILNS1_3genE10ELNS1_11target_archE1201ELNS1_3gpuE5ELNS1_3repE0EEENS1_60segmented_radix_sort_warp_sort_medium_config_static_selectorELNS0_4arch9wavefront6targetE1EEEvSK_,"axG",@progbits,_ZN7rocprim17ROCPRIM_400000_NS6detail17trampoline_kernelINS0_14default_configENS1_36segmented_radix_sort_config_selectorIalEEZNS1_25segmented_radix_sort_implIS3_Lb0EPKaPaPKlPlN2at6native12_GLOBAL__N_18offset_tEEE10hipError_tPvRmT1_PNSt15iterator_traitsISK_E10value_typeET2_T3_PNSL_ISQ_E10value_typeET4_jRbjT5_SW_jjP12ihipStream_tbEUlT_E0_NS1_11comp_targetILNS1_3genE10ELNS1_11target_archE1201ELNS1_3gpuE5ELNS1_3repE0EEENS1_60segmented_radix_sort_warp_sort_medium_config_static_selectorELNS0_4arch9wavefront6targetE1EEEvSK_,comdat
	.globl	_ZN7rocprim17ROCPRIM_400000_NS6detail17trampoline_kernelINS0_14default_configENS1_36segmented_radix_sort_config_selectorIalEEZNS1_25segmented_radix_sort_implIS3_Lb0EPKaPaPKlPlN2at6native12_GLOBAL__N_18offset_tEEE10hipError_tPvRmT1_PNSt15iterator_traitsISK_E10value_typeET2_T3_PNSL_ISQ_E10value_typeET4_jRbjT5_SW_jjP12ihipStream_tbEUlT_E0_NS1_11comp_targetILNS1_3genE10ELNS1_11target_archE1201ELNS1_3gpuE5ELNS1_3repE0EEENS1_60segmented_radix_sort_warp_sort_medium_config_static_selectorELNS0_4arch9wavefront6targetE1EEEvSK_ ; -- Begin function _ZN7rocprim17ROCPRIM_400000_NS6detail17trampoline_kernelINS0_14default_configENS1_36segmented_radix_sort_config_selectorIalEEZNS1_25segmented_radix_sort_implIS3_Lb0EPKaPaPKlPlN2at6native12_GLOBAL__N_18offset_tEEE10hipError_tPvRmT1_PNSt15iterator_traitsISK_E10value_typeET2_T3_PNSL_ISQ_E10value_typeET4_jRbjT5_SW_jjP12ihipStream_tbEUlT_E0_NS1_11comp_targetILNS1_3genE10ELNS1_11target_archE1201ELNS1_3gpuE5ELNS1_3repE0EEENS1_60segmented_radix_sort_warp_sort_medium_config_static_selectorELNS0_4arch9wavefront6targetE1EEEvSK_
	.p2align	8
	.type	_ZN7rocprim17ROCPRIM_400000_NS6detail17trampoline_kernelINS0_14default_configENS1_36segmented_radix_sort_config_selectorIalEEZNS1_25segmented_radix_sort_implIS3_Lb0EPKaPaPKlPlN2at6native12_GLOBAL__N_18offset_tEEE10hipError_tPvRmT1_PNSt15iterator_traitsISK_E10value_typeET2_T3_PNSL_ISQ_E10value_typeET4_jRbjT5_SW_jjP12ihipStream_tbEUlT_E0_NS1_11comp_targetILNS1_3genE10ELNS1_11target_archE1201ELNS1_3gpuE5ELNS1_3repE0EEENS1_60segmented_radix_sort_warp_sort_medium_config_static_selectorELNS0_4arch9wavefront6targetE1EEEvSK_,@function
_ZN7rocprim17ROCPRIM_400000_NS6detail17trampoline_kernelINS0_14default_configENS1_36segmented_radix_sort_config_selectorIalEEZNS1_25segmented_radix_sort_implIS3_Lb0EPKaPaPKlPlN2at6native12_GLOBAL__N_18offset_tEEE10hipError_tPvRmT1_PNSt15iterator_traitsISK_E10value_typeET2_T3_PNSL_ISQ_E10value_typeET4_jRbjT5_SW_jjP12ihipStream_tbEUlT_E0_NS1_11comp_targetILNS1_3genE10ELNS1_11target_archE1201ELNS1_3gpuE5ELNS1_3repE0EEENS1_60segmented_radix_sort_warp_sort_medium_config_static_selectorELNS0_4arch9wavefront6targetE1EEEvSK_: ; @_ZN7rocprim17ROCPRIM_400000_NS6detail17trampoline_kernelINS0_14default_configENS1_36segmented_radix_sort_config_selectorIalEEZNS1_25segmented_radix_sort_implIS3_Lb0EPKaPaPKlPlN2at6native12_GLOBAL__N_18offset_tEEE10hipError_tPvRmT1_PNSt15iterator_traitsISK_E10value_typeET2_T3_PNSL_ISQ_E10value_typeET4_jRbjT5_SW_jjP12ihipStream_tbEUlT_E0_NS1_11comp_targetILNS1_3genE10ELNS1_11target_archE1201ELNS1_3gpuE5ELNS1_3repE0EEENS1_60segmented_radix_sort_warp_sort_medium_config_static_selectorELNS0_4arch9wavefront6targetE1EEEvSK_
; %bb.0:
	.section	.rodata,"a",@progbits
	.p2align	6, 0x0
	.amdhsa_kernel _ZN7rocprim17ROCPRIM_400000_NS6detail17trampoline_kernelINS0_14default_configENS1_36segmented_radix_sort_config_selectorIalEEZNS1_25segmented_radix_sort_implIS3_Lb0EPKaPaPKlPlN2at6native12_GLOBAL__N_18offset_tEEE10hipError_tPvRmT1_PNSt15iterator_traitsISK_E10value_typeET2_T3_PNSL_ISQ_E10value_typeET4_jRbjT5_SW_jjP12ihipStream_tbEUlT_E0_NS1_11comp_targetILNS1_3genE10ELNS1_11target_archE1201ELNS1_3gpuE5ELNS1_3repE0EEENS1_60segmented_radix_sort_warp_sort_medium_config_static_selectorELNS0_4arch9wavefront6targetE1EEEvSK_
		.amdhsa_group_segment_fixed_size 0
		.amdhsa_private_segment_fixed_size 0
		.amdhsa_kernarg_size 88
		.amdhsa_user_sgpr_count 6
		.amdhsa_user_sgpr_private_segment_buffer 1
		.amdhsa_user_sgpr_dispatch_ptr 0
		.amdhsa_user_sgpr_queue_ptr 0
		.amdhsa_user_sgpr_kernarg_segment_ptr 1
		.amdhsa_user_sgpr_dispatch_id 0
		.amdhsa_user_sgpr_flat_scratch_init 0
		.amdhsa_user_sgpr_private_segment_size 0
		.amdhsa_uses_dynamic_stack 0
		.amdhsa_system_sgpr_private_segment_wavefront_offset 0
		.amdhsa_system_sgpr_workgroup_id_x 1
		.amdhsa_system_sgpr_workgroup_id_y 0
		.amdhsa_system_sgpr_workgroup_id_z 0
		.amdhsa_system_sgpr_workgroup_info 0
		.amdhsa_system_vgpr_workitem_id 0
		.amdhsa_next_free_vgpr 1
		.amdhsa_next_free_sgpr 0
		.amdhsa_reserve_vcc 0
		.amdhsa_reserve_flat_scratch 0
		.amdhsa_float_round_mode_32 0
		.amdhsa_float_round_mode_16_64 0
		.amdhsa_float_denorm_mode_32 3
		.amdhsa_float_denorm_mode_16_64 3
		.amdhsa_dx10_clamp 1
		.amdhsa_ieee_mode 1
		.amdhsa_fp16_overflow 0
		.amdhsa_exception_fp_ieee_invalid_op 0
		.amdhsa_exception_fp_denorm_src 0
		.amdhsa_exception_fp_ieee_div_zero 0
		.amdhsa_exception_fp_ieee_overflow 0
		.amdhsa_exception_fp_ieee_underflow 0
		.amdhsa_exception_fp_ieee_inexact 0
		.amdhsa_exception_int_div_zero 0
	.end_amdhsa_kernel
	.section	.text._ZN7rocprim17ROCPRIM_400000_NS6detail17trampoline_kernelINS0_14default_configENS1_36segmented_radix_sort_config_selectorIalEEZNS1_25segmented_radix_sort_implIS3_Lb0EPKaPaPKlPlN2at6native12_GLOBAL__N_18offset_tEEE10hipError_tPvRmT1_PNSt15iterator_traitsISK_E10value_typeET2_T3_PNSL_ISQ_E10value_typeET4_jRbjT5_SW_jjP12ihipStream_tbEUlT_E0_NS1_11comp_targetILNS1_3genE10ELNS1_11target_archE1201ELNS1_3gpuE5ELNS1_3repE0EEENS1_60segmented_radix_sort_warp_sort_medium_config_static_selectorELNS0_4arch9wavefront6targetE1EEEvSK_,"axG",@progbits,_ZN7rocprim17ROCPRIM_400000_NS6detail17trampoline_kernelINS0_14default_configENS1_36segmented_radix_sort_config_selectorIalEEZNS1_25segmented_radix_sort_implIS3_Lb0EPKaPaPKlPlN2at6native12_GLOBAL__N_18offset_tEEE10hipError_tPvRmT1_PNSt15iterator_traitsISK_E10value_typeET2_T3_PNSL_ISQ_E10value_typeET4_jRbjT5_SW_jjP12ihipStream_tbEUlT_E0_NS1_11comp_targetILNS1_3genE10ELNS1_11target_archE1201ELNS1_3gpuE5ELNS1_3repE0EEENS1_60segmented_radix_sort_warp_sort_medium_config_static_selectorELNS0_4arch9wavefront6targetE1EEEvSK_,comdat
.Lfunc_end409:
	.size	_ZN7rocprim17ROCPRIM_400000_NS6detail17trampoline_kernelINS0_14default_configENS1_36segmented_radix_sort_config_selectorIalEEZNS1_25segmented_radix_sort_implIS3_Lb0EPKaPaPKlPlN2at6native12_GLOBAL__N_18offset_tEEE10hipError_tPvRmT1_PNSt15iterator_traitsISK_E10value_typeET2_T3_PNSL_ISQ_E10value_typeET4_jRbjT5_SW_jjP12ihipStream_tbEUlT_E0_NS1_11comp_targetILNS1_3genE10ELNS1_11target_archE1201ELNS1_3gpuE5ELNS1_3repE0EEENS1_60segmented_radix_sort_warp_sort_medium_config_static_selectorELNS0_4arch9wavefront6targetE1EEEvSK_, .Lfunc_end409-_ZN7rocprim17ROCPRIM_400000_NS6detail17trampoline_kernelINS0_14default_configENS1_36segmented_radix_sort_config_selectorIalEEZNS1_25segmented_radix_sort_implIS3_Lb0EPKaPaPKlPlN2at6native12_GLOBAL__N_18offset_tEEE10hipError_tPvRmT1_PNSt15iterator_traitsISK_E10value_typeET2_T3_PNSL_ISQ_E10value_typeET4_jRbjT5_SW_jjP12ihipStream_tbEUlT_E0_NS1_11comp_targetILNS1_3genE10ELNS1_11target_archE1201ELNS1_3gpuE5ELNS1_3repE0EEENS1_60segmented_radix_sort_warp_sort_medium_config_static_selectorELNS0_4arch9wavefront6targetE1EEEvSK_
                                        ; -- End function
	.set _ZN7rocprim17ROCPRIM_400000_NS6detail17trampoline_kernelINS0_14default_configENS1_36segmented_radix_sort_config_selectorIalEEZNS1_25segmented_radix_sort_implIS3_Lb0EPKaPaPKlPlN2at6native12_GLOBAL__N_18offset_tEEE10hipError_tPvRmT1_PNSt15iterator_traitsISK_E10value_typeET2_T3_PNSL_ISQ_E10value_typeET4_jRbjT5_SW_jjP12ihipStream_tbEUlT_E0_NS1_11comp_targetILNS1_3genE10ELNS1_11target_archE1201ELNS1_3gpuE5ELNS1_3repE0EEENS1_60segmented_radix_sort_warp_sort_medium_config_static_selectorELNS0_4arch9wavefront6targetE1EEEvSK_.num_vgpr, 0
	.set _ZN7rocprim17ROCPRIM_400000_NS6detail17trampoline_kernelINS0_14default_configENS1_36segmented_radix_sort_config_selectorIalEEZNS1_25segmented_radix_sort_implIS3_Lb0EPKaPaPKlPlN2at6native12_GLOBAL__N_18offset_tEEE10hipError_tPvRmT1_PNSt15iterator_traitsISK_E10value_typeET2_T3_PNSL_ISQ_E10value_typeET4_jRbjT5_SW_jjP12ihipStream_tbEUlT_E0_NS1_11comp_targetILNS1_3genE10ELNS1_11target_archE1201ELNS1_3gpuE5ELNS1_3repE0EEENS1_60segmented_radix_sort_warp_sort_medium_config_static_selectorELNS0_4arch9wavefront6targetE1EEEvSK_.num_agpr, 0
	.set _ZN7rocprim17ROCPRIM_400000_NS6detail17trampoline_kernelINS0_14default_configENS1_36segmented_radix_sort_config_selectorIalEEZNS1_25segmented_radix_sort_implIS3_Lb0EPKaPaPKlPlN2at6native12_GLOBAL__N_18offset_tEEE10hipError_tPvRmT1_PNSt15iterator_traitsISK_E10value_typeET2_T3_PNSL_ISQ_E10value_typeET4_jRbjT5_SW_jjP12ihipStream_tbEUlT_E0_NS1_11comp_targetILNS1_3genE10ELNS1_11target_archE1201ELNS1_3gpuE5ELNS1_3repE0EEENS1_60segmented_radix_sort_warp_sort_medium_config_static_selectorELNS0_4arch9wavefront6targetE1EEEvSK_.numbered_sgpr, 0
	.set _ZN7rocprim17ROCPRIM_400000_NS6detail17trampoline_kernelINS0_14default_configENS1_36segmented_radix_sort_config_selectorIalEEZNS1_25segmented_radix_sort_implIS3_Lb0EPKaPaPKlPlN2at6native12_GLOBAL__N_18offset_tEEE10hipError_tPvRmT1_PNSt15iterator_traitsISK_E10value_typeET2_T3_PNSL_ISQ_E10value_typeET4_jRbjT5_SW_jjP12ihipStream_tbEUlT_E0_NS1_11comp_targetILNS1_3genE10ELNS1_11target_archE1201ELNS1_3gpuE5ELNS1_3repE0EEENS1_60segmented_radix_sort_warp_sort_medium_config_static_selectorELNS0_4arch9wavefront6targetE1EEEvSK_.num_named_barrier, 0
	.set _ZN7rocprim17ROCPRIM_400000_NS6detail17trampoline_kernelINS0_14default_configENS1_36segmented_radix_sort_config_selectorIalEEZNS1_25segmented_radix_sort_implIS3_Lb0EPKaPaPKlPlN2at6native12_GLOBAL__N_18offset_tEEE10hipError_tPvRmT1_PNSt15iterator_traitsISK_E10value_typeET2_T3_PNSL_ISQ_E10value_typeET4_jRbjT5_SW_jjP12ihipStream_tbEUlT_E0_NS1_11comp_targetILNS1_3genE10ELNS1_11target_archE1201ELNS1_3gpuE5ELNS1_3repE0EEENS1_60segmented_radix_sort_warp_sort_medium_config_static_selectorELNS0_4arch9wavefront6targetE1EEEvSK_.private_seg_size, 0
	.set _ZN7rocprim17ROCPRIM_400000_NS6detail17trampoline_kernelINS0_14default_configENS1_36segmented_radix_sort_config_selectorIalEEZNS1_25segmented_radix_sort_implIS3_Lb0EPKaPaPKlPlN2at6native12_GLOBAL__N_18offset_tEEE10hipError_tPvRmT1_PNSt15iterator_traitsISK_E10value_typeET2_T3_PNSL_ISQ_E10value_typeET4_jRbjT5_SW_jjP12ihipStream_tbEUlT_E0_NS1_11comp_targetILNS1_3genE10ELNS1_11target_archE1201ELNS1_3gpuE5ELNS1_3repE0EEENS1_60segmented_radix_sort_warp_sort_medium_config_static_selectorELNS0_4arch9wavefront6targetE1EEEvSK_.uses_vcc, 0
	.set _ZN7rocprim17ROCPRIM_400000_NS6detail17trampoline_kernelINS0_14default_configENS1_36segmented_radix_sort_config_selectorIalEEZNS1_25segmented_radix_sort_implIS3_Lb0EPKaPaPKlPlN2at6native12_GLOBAL__N_18offset_tEEE10hipError_tPvRmT1_PNSt15iterator_traitsISK_E10value_typeET2_T3_PNSL_ISQ_E10value_typeET4_jRbjT5_SW_jjP12ihipStream_tbEUlT_E0_NS1_11comp_targetILNS1_3genE10ELNS1_11target_archE1201ELNS1_3gpuE5ELNS1_3repE0EEENS1_60segmented_radix_sort_warp_sort_medium_config_static_selectorELNS0_4arch9wavefront6targetE1EEEvSK_.uses_flat_scratch, 0
	.set _ZN7rocprim17ROCPRIM_400000_NS6detail17trampoline_kernelINS0_14default_configENS1_36segmented_radix_sort_config_selectorIalEEZNS1_25segmented_radix_sort_implIS3_Lb0EPKaPaPKlPlN2at6native12_GLOBAL__N_18offset_tEEE10hipError_tPvRmT1_PNSt15iterator_traitsISK_E10value_typeET2_T3_PNSL_ISQ_E10value_typeET4_jRbjT5_SW_jjP12ihipStream_tbEUlT_E0_NS1_11comp_targetILNS1_3genE10ELNS1_11target_archE1201ELNS1_3gpuE5ELNS1_3repE0EEENS1_60segmented_radix_sort_warp_sort_medium_config_static_selectorELNS0_4arch9wavefront6targetE1EEEvSK_.has_dyn_sized_stack, 0
	.set _ZN7rocprim17ROCPRIM_400000_NS6detail17trampoline_kernelINS0_14default_configENS1_36segmented_radix_sort_config_selectorIalEEZNS1_25segmented_radix_sort_implIS3_Lb0EPKaPaPKlPlN2at6native12_GLOBAL__N_18offset_tEEE10hipError_tPvRmT1_PNSt15iterator_traitsISK_E10value_typeET2_T3_PNSL_ISQ_E10value_typeET4_jRbjT5_SW_jjP12ihipStream_tbEUlT_E0_NS1_11comp_targetILNS1_3genE10ELNS1_11target_archE1201ELNS1_3gpuE5ELNS1_3repE0EEENS1_60segmented_radix_sort_warp_sort_medium_config_static_selectorELNS0_4arch9wavefront6targetE1EEEvSK_.has_recursion, 0
	.set _ZN7rocprim17ROCPRIM_400000_NS6detail17trampoline_kernelINS0_14default_configENS1_36segmented_radix_sort_config_selectorIalEEZNS1_25segmented_radix_sort_implIS3_Lb0EPKaPaPKlPlN2at6native12_GLOBAL__N_18offset_tEEE10hipError_tPvRmT1_PNSt15iterator_traitsISK_E10value_typeET2_T3_PNSL_ISQ_E10value_typeET4_jRbjT5_SW_jjP12ihipStream_tbEUlT_E0_NS1_11comp_targetILNS1_3genE10ELNS1_11target_archE1201ELNS1_3gpuE5ELNS1_3repE0EEENS1_60segmented_radix_sort_warp_sort_medium_config_static_selectorELNS0_4arch9wavefront6targetE1EEEvSK_.has_indirect_call, 0
	.section	.AMDGPU.csdata,"",@progbits
; Kernel info:
; codeLenInByte = 0
; TotalNumSgprs: 4
; NumVgprs: 0
; ScratchSize: 0
; MemoryBound: 0
; FloatMode: 240
; IeeeMode: 1
; LDSByteSize: 0 bytes/workgroup (compile time only)
; SGPRBlocks: 0
; VGPRBlocks: 0
; NumSGPRsForWavesPerEU: 4
; NumVGPRsForWavesPerEU: 1
; Occupancy: 10
; WaveLimiterHint : 0
; COMPUTE_PGM_RSRC2:SCRATCH_EN: 0
; COMPUTE_PGM_RSRC2:USER_SGPR: 6
; COMPUTE_PGM_RSRC2:TRAP_HANDLER: 0
; COMPUTE_PGM_RSRC2:TGID_X_EN: 1
; COMPUTE_PGM_RSRC2:TGID_Y_EN: 0
; COMPUTE_PGM_RSRC2:TGID_Z_EN: 0
; COMPUTE_PGM_RSRC2:TIDIG_COMP_CNT: 0
	.section	.text._ZN7rocprim17ROCPRIM_400000_NS6detail17trampoline_kernelINS0_14default_configENS1_36segmented_radix_sort_config_selectorIalEEZNS1_25segmented_radix_sort_implIS3_Lb0EPKaPaPKlPlN2at6native12_GLOBAL__N_18offset_tEEE10hipError_tPvRmT1_PNSt15iterator_traitsISK_E10value_typeET2_T3_PNSL_ISQ_E10value_typeET4_jRbjT5_SW_jjP12ihipStream_tbEUlT_E0_NS1_11comp_targetILNS1_3genE10ELNS1_11target_archE1200ELNS1_3gpuE4ELNS1_3repE0EEENS1_60segmented_radix_sort_warp_sort_medium_config_static_selectorELNS0_4arch9wavefront6targetE1EEEvSK_,"axG",@progbits,_ZN7rocprim17ROCPRIM_400000_NS6detail17trampoline_kernelINS0_14default_configENS1_36segmented_radix_sort_config_selectorIalEEZNS1_25segmented_radix_sort_implIS3_Lb0EPKaPaPKlPlN2at6native12_GLOBAL__N_18offset_tEEE10hipError_tPvRmT1_PNSt15iterator_traitsISK_E10value_typeET2_T3_PNSL_ISQ_E10value_typeET4_jRbjT5_SW_jjP12ihipStream_tbEUlT_E0_NS1_11comp_targetILNS1_3genE10ELNS1_11target_archE1200ELNS1_3gpuE4ELNS1_3repE0EEENS1_60segmented_radix_sort_warp_sort_medium_config_static_selectorELNS0_4arch9wavefront6targetE1EEEvSK_,comdat
	.globl	_ZN7rocprim17ROCPRIM_400000_NS6detail17trampoline_kernelINS0_14default_configENS1_36segmented_radix_sort_config_selectorIalEEZNS1_25segmented_radix_sort_implIS3_Lb0EPKaPaPKlPlN2at6native12_GLOBAL__N_18offset_tEEE10hipError_tPvRmT1_PNSt15iterator_traitsISK_E10value_typeET2_T3_PNSL_ISQ_E10value_typeET4_jRbjT5_SW_jjP12ihipStream_tbEUlT_E0_NS1_11comp_targetILNS1_3genE10ELNS1_11target_archE1200ELNS1_3gpuE4ELNS1_3repE0EEENS1_60segmented_radix_sort_warp_sort_medium_config_static_selectorELNS0_4arch9wavefront6targetE1EEEvSK_ ; -- Begin function _ZN7rocprim17ROCPRIM_400000_NS6detail17trampoline_kernelINS0_14default_configENS1_36segmented_radix_sort_config_selectorIalEEZNS1_25segmented_radix_sort_implIS3_Lb0EPKaPaPKlPlN2at6native12_GLOBAL__N_18offset_tEEE10hipError_tPvRmT1_PNSt15iterator_traitsISK_E10value_typeET2_T3_PNSL_ISQ_E10value_typeET4_jRbjT5_SW_jjP12ihipStream_tbEUlT_E0_NS1_11comp_targetILNS1_3genE10ELNS1_11target_archE1200ELNS1_3gpuE4ELNS1_3repE0EEENS1_60segmented_radix_sort_warp_sort_medium_config_static_selectorELNS0_4arch9wavefront6targetE1EEEvSK_
	.p2align	8
	.type	_ZN7rocprim17ROCPRIM_400000_NS6detail17trampoline_kernelINS0_14default_configENS1_36segmented_radix_sort_config_selectorIalEEZNS1_25segmented_radix_sort_implIS3_Lb0EPKaPaPKlPlN2at6native12_GLOBAL__N_18offset_tEEE10hipError_tPvRmT1_PNSt15iterator_traitsISK_E10value_typeET2_T3_PNSL_ISQ_E10value_typeET4_jRbjT5_SW_jjP12ihipStream_tbEUlT_E0_NS1_11comp_targetILNS1_3genE10ELNS1_11target_archE1200ELNS1_3gpuE4ELNS1_3repE0EEENS1_60segmented_radix_sort_warp_sort_medium_config_static_selectorELNS0_4arch9wavefront6targetE1EEEvSK_,@function
_ZN7rocprim17ROCPRIM_400000_NS6detail17trampoline_kernelINS0_14default_configENS1_36segmented_radix_sort_config_selectorIalEEZNS1_25segmented_radix_sort_implIS3_Lb0EPKaPaPKlPlN2at6native12_GLOBAL__N_18offset_tEEE10hipError_tPvRmT1_PNSt15iterator_traitsISK_E10value_typeET2_T3_PNSL_ISQ_E10value_typeET4_jRbjT5_SW_jjP12ihipStream_tbEUlT_E0_NS1_11comp_targetILNS1_3genE10ELNS1_11target_archE1200ELNS1_3gpuE4ELNS1_3repE0EEENS1_60segmented_radix_sort_warp_sort_medium_config_static_selectorELNS0_4arch9wavefront6targetE1EEEvSK_: ; @_ZN7rocprim17ROCPRIM_400000_NS6detail17trampoline_kernelINS0_14default_configENS1_36segmented_radix_sort_config_selectorIalEEZNS1_25segmented_radix_sort_implIS3_Lb0EPKaPaPKlPlN2at6native12_GLOBAL__N_18offset_tEEE10hipError_tPvRmT1_PNSt15iterator_traitsISK_E10value_typeET2_T3_PNSL_ISQ_E10value_typeET4_jRbjT5_SW_jjP12ihipStream_tbEUlT_E0_NS1_11comp_targetILNS1_3genE10ELNS1_11target_archE1200ELNS1_3gpuE4ELNS1_3repE0EEENS1_60segmented_radix_sort_warp_sort_medium_config_static_selectorELNS0_4arch9wavefront6targetE1EEEvSK_
; %bb.0:
	.section	.rodata,"a",@progbits
	.p2align	6, 0x0
	.amdhsa_kernel _ZN7rocprim17ROCPRIM_400000_NS6detail17trampoline_kernelINS0_14default_configENS1_36segmented_radix_sort_config_selectorIalEEZNS1_25segmented_radix_sort_implIS3_Lb0EPKaPaPKlPlN2at6native12_GLOBAL__N_18offset_tEEE10hipError_tPvRmT1_PNSt15iterator_traitsISK_E10value_typeET2_T3_PNSL_ISQ_E10value_typeET4_jRbjT5_SW_jjP12ihipStream_tbEUlT_E0_NS1_11comp_targetILNS1_3genE10ELNS1_11target_archE1200ELNS1_3gpuE4ELNS1_3repE0EEENS1_60segmented_radix_sort_warp_sort_medium_config_static_selectorELNS0_4arch9wavefront6targetE1EEEvSK_
		.amdhsa_group_segment_fixed_size 0
		.amdhsa_private_segment_fixed_size 0
		.amdhsa_kernarg_size 88
		.amdhsa_user_sgpr_count 6
		.amdhsa_user_sgpr_private_segment_buffer 1
		.amdhsa_user_sgpr_dispatch_ptr 0
		.amdhsa_user_sgpr_queue_ptr 0
		.amdhsa_user_sgpr_kernarg_segment_ptr 1
		.amdhsa_user_sgpr_dispatch_id 0
		.amdhsa_user_sgpr_flat_scratch_init 0
		.amdhsa_user_sgpr_private_segment_size 0
		.amdhsa_uses_dynamic_stack 0
		.amdhsa_system_sgpr_private_segment_wavefront_offset 0
		.amdhsa_system_sgpr_workgroup_id_x 1
		.amdhsa_system_sgpr_workgroup_id_y 0
		.amdhsa_system_sgpr_workgroup_id_z 0
		.amdhsa_system_sgpr_workgroup_info 0
		.amdhsa_system_vgpr_workitem_id 0
		.amdhsa_next_free_vgpr 1
		.amdhsa_next_free_sgpr 0
		.amdhsa_reserve_vcc 0
		.amdhsa_reserve_flat_scratch 0
		.amdhsa_float_round_mode_32 0
		.amdhsa_float_round_mode_16_64 0
		.amdhsa_float_denorm_mode_32 3
		.amdhsa_float_denorm_mode_16_64 3
		.amdhsa_dx10_clamp 1
		.amdhsa_ieee_mode 1
		.amdhsa_fp16_overflow 0
		.amdhsa_exception_fp_ieee_invalid_op 0
		.amdhsa_exception_fp_denorm_src 0
		.amdhsa_exception_fp_ieee_div_zero 0
		.amdhsa_exception_fp_ieee_overflow 0
		.amdhsa_exception_fp_ieee_underflow 0
		.amdhsa_exception_fp_ieee_inexact 0
		.amdhsa_exception_int_div_zero 0
	.end_amdhsa_kernel
	.section	.text._ZN7rocprim17ROCPRIM_400000_NS6detail17trampoline_kernelINS0_14default_configENS1_36segmented_radix_sort_config_selectorIalEEZNS1_25segmented_radix_sort_implIS3_Lb0EPKaPaPKlPlN2at6native12_GLOBAL__N_18offset_tEEE10hipError_tPvRmT1_PNSt15iterator_traitsISK_E10value_typeET2_T3_PNSL_ISQ_E10value_typeET4_jRbjT5_SW_jjP12ihipStream_tbEUlT_E0_NS1_11comp_targetILNS1_3genE10ELNS1_11target_archE1200ELNS1_3gpuE4ELNS1_3repE0EEENS1_60segmented_radix_sort_warp_sort_medium_config_static_selectorELNS0_4arch9wavefront6targetE1EEEvSK_,"axG",@progbits,_ZN7rocprim17ROCPRIM_400000_NS6detail17trampoline_kernelINS0_14default_configENS1_36segmented_radix_sort_config_selectorIalEEZNS1_25segmented_radix_sort_implIS3_Lb0EPKaPaPKlPlN2at6native12_GLOBAL__N_18offset_tEEE10hipError_tPvRmT1_PNSt15iterator_traitsISK_E10value_typeET2_T3_PNSL_ISQ_E10value_typeET4_jRbjT5_SW_jjP12ihipStream_tbEUlT_E0_NS1_11comp_targetILNS1_3genE10ELNS1_11target_archE1200ELNS1_3gpuE4ELNS1_3repE0EEENS1_60segmented_radix_sort_warp_sort_medium_config_static_selectorELNS0_4arch9wavefront6targetE1EEEvSK_,comdat
.Lfunc_end410:
	.size	_ZN7rocprim17ROCPRIM_400000_NS6detail17trampoline_kernelINS0_14default_configENS1_36segmented_radix_sort_config_selectorIalEEZNS1_25segmented_radix_sort_implIS3_Lb0EPKaPaPKlPlN2at6native12_GLOBAL__N_18offset_tEEE10hipError_tPvRmT1_PNSt15iterator_traitsISK_E10value_typeET2_T3_PNSL_ISQ_E10value_typeET4_jRbjT5_SW_jjP12ihipStream_tbEUlT_E0_NS1_11comp_targetILNS1_3genE10ELNS1_11target_archE1200ELNS1_3gpuE4ELNS1_3repE0EEENS1_60segmented_radix_sort_warp_sort_medium_config_static_selectorELNS0_4arch9wavefront6targetE1EEEvSK_, .Lfunc_end410-_ZN7rocprim17ROCPRIM_400000_NS6detail17trampoline_kernelINS0_14default_configENS1_36segmented_radix_sort_config_selectorIalEEZNS1_25segmented_radix_sort_implIS3_Lb0EPKaPaPKlPlN2at6native12_GLOBAL__N_18offset_tEEE10hipError_tPvRmT1_PNSt15iterator_traitsISK_E10value_typeET2_T3_PNSL_ISQ_E10value_typeET4_jRbjT5_SW_jjP12ihipStream_tbEUlT_E0_NS1_11comp_targetILNS1_3genE10ELNS1_11target_archE1200ELNS1_3gpuE4ELNS1_3repE0EEENS1_60segmented_radix_sort_warp_sort_medium_config_static_selectorELNS0_4arch9wavefront6targetE1EEEvSK_
                                        ; -- End function
	.set _ZN7rocprim17ROCPRIM_400000_NS6detail17trampoline_kernelINS0_14default_configENS1_36segmented_radix_sort_config_selectorIalEEZNS1_25segmented_radix_sort_implIS3_Lb0EPKaPaPKlPlN2at6native12_GLOBAL__N_18offset_tEEE10hipError_tPvRmT1_PNSt15iterator_traitsISK_E10value_typeET2_T3_PNSL_ISQ_E10value_typeET4_jRbjT5_SW_jjP12ihipStream_tbEUlT_E0_NS1_11comp_targetILNS1_3genE10ELNS1_11target_archE1200ELNS1_3gpuE4ELNS1_3repE0EEENS1_60segmented_radix_sort_warp_sort_medium_config_static_selectorELNS0_4arch9wavefront6targetE1EEEvSK_.num_vgpr, 0
	.set _ZN7rocprim17ROCPRIM_400000_NS6detail17trampoline_kernelINS0_14default_configENS1_36segmented_radix_sort_config_selectorIalEEZNS1_25segmented_radix_sort_implIS3_Lb0EPKaPaPKlPlN2at6native12_GLOBAL__N_18offset_tEEE10hipError_tPvRmT1_PNSt15iterator_traitsISK_E10value_typeET2_T3_PNSL_ISQ_E10value_typeET4_jRbjT5_SW_jjP12ihipStream_tbEUlT_E0_NS1_11comp_targetILNS1_3genE10ELNS1_11target_archE1200ELNS1_3gpuE4ELNS1_3repE0EEENS1_60segmented_radix_sort_warp_sort_medium_config_static_selectorELNS0_4arch9wavefront6targetE1EEEvSK_.num_agpr, 0
	.set _ZN7rocprim17ROCPRIM_400000_NS6detail17trampoline_kernelINS0_14default_configENS1_36segmented_radix_sort_config_selectorIalEEZNS1_25segmented_radix_sort_implIS3_Lb0EPKaPaPKlPlN2at6native12_GLOBAL__N_18offset_tEEE10hipError_tPvRmT1_PNSt15iterator_traitsISK_E10value_typeET2_T3_PNSL_ISQ_E10value_typeET4_jRbjT5_SW_jjP12ihipStream_tbEUlT_E0_NS1_11comp_targetILNS1_3genE10ELNS1_11target_archE1200ELNS1_3gpuE4ELNS1_3repE0EEENS1_60segmented_radix_sort_warp_sort_medium_config_static_selectorELNS0_4arch9wavefront6targetE1EEEvSK_.numbered_sgpr, 0
	.set _ZN7rocprim17ROCPRIM_400000_NS6detail17trampoline_kernelINS0_14default_configENS1_36segmented_radix_sort_config_selectorIalEEZNS1_25segmented_radix_sort_implIS3_Lb0EPKaPaPKlPlN2at6native12_GLOBAL__N_18offset_tEEE10hipError_tPvRmT1_PNSt15iterator_traitsISK_E10value_typeET2_T3_PNSL_ISQ_E10value_typeET4_jRbjT5_SW_jjP12ihipStream_tbEUlT_E0_NS1_11comp_targetILNS1_3genE10ELNS1_11target_archE1200ELNS1_3gpuE4ELNS1_3repE0EEENS1_60segmented_radix_sort_warp_sort_medium_config_static_selectorELNS0_4arch9wavefront6targetE1EEEvSK_.num_named_barrier, 0
	.set _ZN7rocprim17ROCPRIM_400000_NS6detail17trampoline_kernelINS0_14default_configENS1_36segmented_radix_sort_config_selectorIalEEZNS1_25segmented_radix_sort_implIS3_Lb0EPKaPaPKlPlN2at6native12_GLOBAL__N_18offset_tEEE10hipError_tPvRmT1_PNSt15iterator_traitsISK_E10value_typeET2_T3_PNSL_ISQ_E10value_typeET4_jRbjT5_SW_jjP12ihipStream_tbEUlT_E0_NS1_11comp_targetILNS1_3genE10ELNS1_11target_archE1200ELNS1_3gpuE4ELNS1_3repE0EEENS1_60segmented_radix_sort_warp_sort_medium_config_static_selectorELNS0_4arch9wavefront6targetE1EEEvSK_.private_seg_size, 0
	.set _ZN7rocprim17ROCPRIM_400000_NS6detail17trampoline_kernelINS0_14default_configENS1_36segmented_radix_sort_config_selectorIalEEZNS1_25segmented_radix_sort_implIS3_Lb0EPKaPaPKlPlN2at6native12_GLOBAL__N_18offset_tEEE10hipError_tPvRmT1_PNSt15iterator_traitsISK_E10value_typeET2_T3_PNSL_ISQ_E10value_typeET4_jRbjT5_SW_jjP12ihipStream_tbEUlT_E0_NS1_11comp_targetILNS1_3genE10ELNS1_11target_archE1200ELNS1_3gpuE4ELNS1_3repE0EEENS1_60segmented_radix_sort_warp_sort_medium_config_static_selectorELNS0_4arch9wavefront6targetE1EEEvSK_.uses_vcc, 0
	.set _ZN7rocprim17ROCPRIM_400000_NS6detail17trampoline_kernelINS0_14default_configENS1_36segmented_radix_sort_config_selectorIalEEZNS1_25segmented_radix_sort_implIS3_Lb0EPKaPaPKlPlN2at6native12_GLOBAL__N_18offset_tEEE10hipError_tPvRmT1_PNSt15iterator_traitsISK_E10value_typeET2_T3_PNSL_ISQ_E10value_typeET4_jRbjT5_SW_jjP12ihipStream_tbEUlT_E0_NS1_11comp_targetILNS1_3genE10ELNS1_11target_archE1200ELNS1_3gpuE4ELNS1_3repE0EEENS1_60segmented_radix_sort_warp_sort_medium_config_static_selectorELNS0_4arch9wavefront6targetE1EEEvSK_.uses_flat_scratch, 0
	.set _ZN7rocprim17ROCPRIM_400000_NS6detail17trampoline_kernelINS0_14default_configENS1_36segmented_radix_sort_config_selectorIalEEZNS1_25segmented_radix_sort_implIS3_Lb0EPKaPaPKlPlN2at6native12_GLOBAL__N_18offset_tEEE10hipError_tPvRmT1_PNSt15iterator_traitsISK_E10value_typeET2_T3_PNSL_ISQ_E10value_typeET4_jRbjT5_SW_jjP12ihipStream_tbEUlT_E0_NS1_11comp_targetILNS1_3genE10ELNS1_11target_archE1200ELNS1_3gpuE4ELNS1_3repE0EEENS1_60segmented_radix_sort_warp_sort_medium_config_static_selectorELNS0_4arch9wavefront6targetE1EEEvSK_.has_dyn_sized_stack, 0
	.set _ZN7rocprim17ROCPRIM_400000_NS6detail17trampoline_kernelINS0_14default_configENS1_36segmented_radix_sort_config_selectorIalEEZNS1_25segmented_radix_sort_implIS3_Lb0EPKaPaPKlPlN2at6native12_GLOBAL__N_18offset_tEEE10hipError_tPvRmT1_PNSt15iterator_traitsISK_E10value_typeET2_T3_PNSL_ISQ_E10value_typeET4_jRbjT5_SW_jjP12ihipStream_tbEUlT_E0_NS1_11comp_targetILNS1_3genE10ELNS1_11target_archE1200ELNS1_3gpuE4ELNS1_3repE0EEENS1_60segmented_radix_sort_warp_sort_medium_config_static_selectorELNS0_4arch9wavefront6targetE1EEEvSK_.has_recursion, 0
	.set _ZN7rocprim17ROCPRIM_400000_NS6detail17trampoline_kernelINS0_14default_configENS1_36segmented_radix_sort_config_selectorIalEEZNS1_25segmented_radix_sort_implIS3_Lb0EPKaPaPKlPlN2at6native12_GLOBAL__N_18offset_tEEE10hipError_tPvRmT1_PNSt15iterator_traitsISK_E10value_typeET2_T3_PNSL_ISQ_E10value_typeET4_jRbjT5_SW_jjP12ihipStream_tbEUlT_E0_NS1_11comp_targetILNS1_3genE10ELNS1_11target_archE1200ELNS1_3gpuE4ELNS1_3repE0EEENS1_60segmented_radix_sort_warp_sort_medium_config_static_selectorELNS0_4arch9wavefront6targetE1EEEvSK_.has_indirect_call, 0
	.section	.AMDGPU.csdata,"",@progbits
; Kernel info:
; codeLenInByte = 0
; TotalNumSgprs: 4
; NumVgprs: 0
; ScratchSize: 0
; MemoryBound: 0
; FloatMode: 240
; IeeeMode: 1
; LDSByteSize: 0 bytes/workgroup (compile time only)
; SGPRBlocks: 0
; VGPRBlocks: 0
; NumSGPRsForWavesPerEU: 4
; NumVGPRsForWavesPerEU: 1
; Occupancy: 10
; WaveLimiterHint : 0
; COMPUTE_PGM_RSRC2:SCRATCH_EN: 0
; COMPUTE_PGM_RSRC2:USER_SGPR: 6
; COMPUTE_PGM_RSRC2:TRAP_HANDLER: 0
; COMPUTE_PGM_RSRC2:TGID_X_EN: 1
; COMPUTE_PGM_RSRC2:TGID_Y_EN: 0
; COMPUTE_PGM_RSRC2:TGID_Z_EN: 0
; COMPUTE_PGM_RSRC2:TIDIG_COMP_CNT: 0
	.section	.text._ZN7rocprim17ROCPRIM_400000_NS6detail17trampoline_kernelINS0_14default_configENS1_36segmented_radix_sort_config_selectorIalEEZNS1_25segmented_radix_sort_implIS3_Lb0EPKaPaPKlPlN2at6native12_GLOBAL__N_18offset_tEEE10hipError_tPvRmT1_PNSt15iterator_traitsISK_E10value_typeET2_T3_PNSL_ISQ_E10value_typeET4_jRbjT5_SW_jjP12ihipStream_tbEUlT_E0_NS1_11comp_targetILNS1_3genE9ELNS1_11target_archE1100ELNS1_3gpuE3ELNS1_3repE0EEENS1_60segmented_radix_sort_warp_sort_medium_config_static_selectorELNS0_4arch9wavefront6targetE1EEEvSK_,"axG",@progbits,_ZN7rocprim17ROCPRIM_400000_NS6detail17trampoline_kernelINS0_14default_configENS1_36segmented_radix_sort_config_selectorIalEEZNS1_25segmented_radix_sort_implIS3_Lb0EPKaPaPKlPlN2at6native12_GLOBAL__N_18offset_tEEE10hipError_tPvRmT1_PNSt15iterator_traitsISK_E10value_typeET2_T3_PNSL_ISQ_E10value_typeET4_jRbjT5_SW_jjP12ihipStream_tbEUlT_E0_NS1_11comp_targetILNS1_3genE9ELNS1_11target_archE1100ELNS1_3gpuE3ELNS1_3repE0EEENS1_60segmented_radix_sort_warp_sort_medium_config_static_selectorELNS0_4arch9wavefront6targetE1EEEvSK_,comdat
	.globl	_ZN7rocprim17ROCPRIM_400000_NS6detail17trampoline_kernelINS0_14default_configENS1_36segmented_radix_sort_config_selectorIalEEZNS1_25segmented_radix_sort_implIS3_Lb0EPKaPaPKlPlN2at6native12_GLOBAL__N_18offset_tEEE10hipError_tPvRmT1_PNSt15iterator_traitsISK_E10value_typeET2_T3_PNSL_ISQ_E10value_typeET4_jRbjT5_SW_jjP12ihipStream_tbEUlT_E0_NS1_11comp_targetILNS1_3genE9ELNS1_11target_archE1100ELNS1_3gpuE3ELNS1_3repE0EEENS1_60segmented_radix_sort_warp_sort_medium_config_static_selectorELNS0_4arch9wavefront6targetE1EEEvSK_ ; -- Begin function _ZN7rocprim17ROCPRIM_400000_NS6detail17trampoline_kernelINS0_14default_configENS1_36segmented_radix_sort_config_selectorIalEEZNS1_25segmented_radix_sort_implIS3_Lb0EPKaPaPKlPlN2at6native12_GLOBAL__N_18offset_tEEE10hipError_tPvRmT1_PNSt15iterator_traitsISK_E10value_typeET2_T3_PNSL_ISQ_E10value_typeET4_jRbjT5_SW_jjP12ihipStream_tbEUlT_E0_NS1_11comp_targetILNS1_3genE9ELNS1_11target_archE1100ELNS1_3gpuE3ELNS1_3repE0EEENS1_60segmented_radix_sort_warp_sort_medium_config_static_selectorELNS0_4arch9wavefront6targetE1EEEvSK_
	.p2align	8
	.type	_ZN7rocprim17ROCPRIM_400000_NS6detail17trampoline_kernelINS0_14default_configENS1_36segmented_radix_sort_config_selectorIalEEZNS1_25segmented_radix_sort_implIS3_Lb0EPKaPaPKlPlN2at6native12_GLOBAL__N_18offset_tEEE10hipError_tPvRmT1_PNSt15iterator_traitsISK_E10value_typeET2_T3_PNSL_ISQ_E10value_typeET4_jRbjT5_SW_jjP12ihipStream_tbEUlT_E0_NS1_11comp_targetILNS1_3genE9ELNS1_11target_archE1100ELNS1_3gpuE3ELNS1_3repE0EEENS1_60segmented_radix_sort_warp_sort_medium_config_static_selectorELNS0_4arch9wavefront6targetE1EEEvSK_,@function
_ZN7rocprim17ROCPRIM_400000_NS6detail17trampoline_kernelINS0_14default_configENS1_36segmented_radix_sort_config_selectorIalEEZNS1_25segmented_radix_sort_implIS3_Lb0EPKaPaPKlPlN2at6native12_GLOBAL__N_18offset_tEEE10hipError_tPvRmT1_PNSt15iterator_traitsISK_E10value_typeET2_T3_PNSL_ISQ_E10value_typeET4_jRbjT5_SW_jjP12ihipStream_tbEUlT_E0_NS1_11comp_targetILNS1_3genE9ELNS1_11target_archE1100ELNS1_3gpuE3ELNS1_3repE0EEENS1_60segmented_radix_sort_warp_sort_medium_config_static_selectorELNS0_4arch9wavefront6targetE1EEEvSK_: ; @_ZN7rocprim17ROCPRIM_400000_NS6detail17trampoline_kernelINS0_14default_configENS1_36segmented_radix_sort_config_selectorIalEEZNS1_25segmented_radix_sort_implIS3_Lb0EPKaPaPKlPlN2at6native12_GLOBAL__N_18offset_tEEE10hipError_tPvRmT1_PNSt15iterator_traitsISK_E10value_typeET2_T3_PNSL_ISQ_E10value_typeET4_jRbjT5_SW_jjP12ihipStream_tbEUlT_E0_NS1_11comp_targetILNS1_3genE9ELNS1_11target_archE1100ELNS1_3gpuE3ELNS1_3repE0EEENS1_60segmented_radix_sort_warp_sort_medium_config_static_selectorELNS0_4arch9wavefront6targetE1EEEvSK_
; %bb.0:
	.section	.rodata,"a",@progbits
	.p2align	6, 0x0
	.amdhsa_kernel _ZN7rocprim17ROCPRIM_400000_NS6detail17trampoline_kernelINS0_14default_configENS1_36segmented_radix_sort_config_selectorIalEEZNS1_25segmented_radix_sort_implIS3_Lb0EPKaPaPKlPlN2at6native12_GLOBAL__N_18offset_tEEE10hipError_tPvRmT1_PNSt15iterator_traitsISK_E10value_typeET2_T3_PNSL_ISQ_E10value_typeET4_jRbjT5_SW_jjP12ihipStream_tbEUlT_E0_NS1_11comp_targetILNS1_3genE9ELNS1_11target_archE1100ELNS1_3gpuE3ELNS1_3repE0EEENS1_60segmented_radix_sort_warp_sort_medium_config_static_selectorELNS0_4arch9wavefront6targetE1EEEvSK_
		.amdhsa_group_segment_fixed_size 0
		.amdhsa_private_segment_fixed_size 0
		.amdhsa_kernarg_size 88
		.amdhsa_user_sgpr_count 6
		.amdhsa_user_sgpr_private_segment_buffer 1
		.amdhsa_user_sgpr_dispatch_ptr 0
		.amdhsa_user_sgpr_queue_ptr 0
		.amdhsa_user_sgpr_kernarg_segment_ptr 1
		.amdhsa_user_sgpr_dispatch_id 0
		.amdhsa_user_sgpr_flat_scratch_init 0
		.amdhsa_user_sgpr_private_segment_size 0
		.amdhsa_uses_dynamic_stack 0
		.amdhsa_system_sgpr_private_segment_wavefront_offset 0
		.amdhsa_system_sgpr_workgroup_id_x 1
		.amdhsa_system_sgpr_workgroup_id_y 0
		.amdhsa_system_sgpr_workgroup_id_z 0
		.amdhsa_system_sgpr_workgroup_info 0
		.amdhsa_system_vgpr_workitem_id 0
		.amdhsa_next_free_vgpr 1
		.amdhsa_next_free_sgpr 0
		.amdhsa_reserve_vcc 0
		.amdhsa_reserve_flat_scratch 0
		.amdhsa_float_round_mode_32 0
		.amdhsa_float_round_mode_16_64 0
		.amdhsa_float_denorm_mode_32 3
		.amdhsa_float_denorm_mode_16_64 3
		.amdhsa_dx10_clamp 1
		.amdhsa_ieee_mode 1
		.amdhsa_fp16_overflow 0
		.amdhsa_exception_fp_ieee_invalid_op 0
		.amdhsa_exception_fp_denorm_src 0
		.amdhsa_exception_fp_ieee_div_zero 0
		.amdhsa_exception_fp_ieee_overflow 0
		.amdhsa_exception_fp_ieee_underflow 0
		.amdhsa_exception_fp_ieee_inexact 0
		.amdhsa_exception_int_div_zero 0
	.end_amdhsa_kernel
	.section	.text._ZN7rocprim17ROCPRIM_400000_NS6detail17trampoline_kernelINS0_14default_configENS1_36segmented_radix_sort_config_selectorIalEEZNS1_25segmented_radix_sort_implIS3_Lb0EPKaPaPKlPlN2at6native12_GLOBAL__N_18offset_tEEE10hipError_tPvRmT1_PNSt15iterator_traitsISK_E10value_typeET2_T3_PNSL_ISQ_E10value_typeET4_jRbjT5_SW_jjP12ihipStream_tbEUlT_E0_NS1_11comp_targetILNS1_3genE9ELNS1_11target_archE1100ELNS1_3gpuE3ELNS1_3repE0EEENS1_60segmented_radix_sort_warp_sort_medium_config_static_selectorELNS0_4arch9wavefront6targetE1EEEvSK_,"axG",@progbits,_ZN7rocprim17ROCPRIM_400000_NS6detail17trampoline_kernelINS0_14default_configENS1_36segmented_radix_sort_config_selectorIalEEZNS1_25segmented_radix_sort_implIS3_Lb0EPKaPaPKlPlN2at6native12_GLOBAL__N_18offset_tEEE10hipError_tPvRmT1_PNSt15iterator_traitsISK_E10value_typeET2_T3_PNSL_ISQ_E10value_typeET4_jRbjT5_SW_jjP12ihipStream_tbEUlT_E0_NS1_11comp_targetILNS1_3genE9ELNS1_11target_archE1100ELNS1_3gpuE3ELNS1_3repE0EEENS1_60segmented_radix_sort_warp_sort_medium_config_static_selectorELNS0_4arch9wavefront6targetE1EEEvSK_,comdat
.Lfunc_end411:
	.size	_ZN7rocprim17ROCPRIM_400000_NS6detail17trampoline_kernelINS0_14default_configENS1_36segmented_radix_sort_config_selectorIalEEZNS1_25segmented_radix_sort_implIS3_Lb0EPKaPaPKlPlN2at6native12_GLOBAL__N_18offset_tEEE10hipError_tPvRmT1_PNSt15iterator_traitsISK_E10value_typeET2_T3_PNSL_ISQ_E10value_typeET4_jRbjT5_SW_jjP12ihipStream_tbEUlT_E0_NS1_11comp_targetILNS1_3genE9ELNS1_11target_archE1100ELNS1_3gpuE3ELNS1_3repE0EEENS1_60segmented_radix_sort_warp_sort_medium_config_static_selectorELNS0_4arch9wavefront6targetE1EEEvSK_, .Lfunc_end411-_ZN7rocprim17ROCPRIM_400000_NS6detail17trampoline_kernelINS0_14default_configENS1_36segmented_radix_sort_config_selectorIalEEZNS1_25segmented_radix_sort_implIS3_Lb0EPKaPaPKlPlN2at6native12_GLOBAL__N_18offset_tEEE10hipError_tPvRmT1_PNSt15iterator_traitsISK_E10value_typeET2_T3_PNSL_ISQ_E10value_typeET4_jRbjT5_SW_jjP12ihipStream_tbEUlT_E0_NS1_11comp_targetILNS1_3genE9ELNS1_11target_archE1100ELNS1_3gpuE3ELNS1_3repE0EEENS1_60segmented_radix_sort_warp_sort_medium_config_static_selectorELNS0_4arch9wavefront6targetE1EEEvSK_
                                        ; -- End function
	.set _ZN7rocprim17ROCPRIM_400000_NS6detail17trampoline_kernelINS0_14default_configENS1_36segmented_radix_sort_config_selectorIalEEZNS1_25segmented_radix_sort_implIS3_Lb0EPKaPaPKlPlN2at6native12_GLOBAL__N_18offset_tEEE10hipError_tPvRmT1_PNSt15iterator_traitsISK_E10value_typeET2_T3_PNSL_ISQ_E10value_typeET4_jRbjT5_SW_jjP12ihipStream_tbEUlT_E0_NS1_11comp_targetILNS1_3genE9ELNS1_11target_archE1100ELNS1_3gpuE3ELNS1_3repE0EEENS1_60segmented_radix_sort_warp_sort_medium_config_static_selectorELNS0_4arch9wavefront6targetE1EEEvSK_.num_vgpr, 0
	.set _ZN7rocprim17ROCPRIM_400000_NS6detail17trampoline_kernelINS0_14default_configENS1_36segmented_radix_sort_config_selectorIalEEZNS1_25segmented_radix_sort_implIS3_Lb0EPKaPaPKlPlN2at6native12_GLOBAL__N_18offset_tEEE10hipError_tPvRmT1_PNSt15iterator_traitsISK_E10value_typeET2_T3_PNSL_ISQ_E10value_typeET4_jRbjT5_SW_jjP12ihipStream_tbEUlT_E0_NS1_11comp_targetILNS1_3genE9ELNS1_11target_archE1100ELNS1_3gpuE3ELNS1_3repE0EEENS1_60segmented_radix_sort_warp_sort_medium_config_static_selectorELNS0_4arch9wavefront6targetE1EEEvSK_.num_agpr, 0
	.set _ZN7rocprim17ROCPRIM_400000_NS6detail17trampoline_kernelINS0_14default_configENS1_36segmented_radix_sort_config_selectorIalEEZNS1_25segmented_radix_sort_implIS3_Lb0EPKaPaPKlPlN2at6native12_GLOBAL__N_18offset_tEEE10hipError_tPvRmT1_PNSt15iterator_traitsISK_E10value_typeET2_T3_PNSL_ISQ_E10value_typeET4_jRbjT5_SW_jjP12ihipStream_tbEUlT_E0_NS1_11comp_targetILNS1_3genE9ELNS1_11target_archE1100ELNS1_3gpuE3ELNS1_3repE0EEENS1_60segmented_radix_sort_warp_sort_medium_config_static_selectorELNS0_4arch9wavefront6targetE1EEEvSK_.numbered_sgpr, 0
	.set _ZN7rocprim17ROCPRIM_400000_NS6detail17trampoline_kernelINS0_14default_configENS1_36segmented_radix_sort_config_selectorIalEEZNS1_25segmented_radix_sort_implIS3_Lb0EPKaPaPKlPlN2at6native12_GLOBAL__N_18offset_tEEE10hipError_tPvRmT1_PNSt15iterator_traitsISK_E10value_typeET2_T3_PNSL_ISQ_E10value_typeET4_jRbjT5_SW_jjP12ihipStream_tbEUlT_E0_NS1_11comp_targetILNS1_3genE9ELNS1_11target_archE1100ELNS1_3gpuE3ELNS1_3repE0EEENS1_60segmented_radix_sort_warp_sort_medium_config_static_selectorELNS0_4arch9wavefront6targetE1EEEvSK_.num_named_barrier, 0
	.set _ZN7rocprim17ROCPRIM_400000_NS6detail17trampoline_kernelINS0_14default_configENS1_36segmented_radix_sort_config_selectorIalEEZNS1_25segmented_radix_sort_implIS3_Lb0EPKaPaPKlPlN2at6native12_GLOBAL__N_18offset_tEEE10hipError_tPvRmT1_PNSt15iterator_traitsISK_E10value_typeET2_T3_PNSL_ISQ_E10value_typeET4_jRbjT5_SW_jjP12ihipStream_tbEUlT_E0_NS1_11comp_targetILNS1_3genE9ELNS1_11target_archE1100ELNS1_3gpuE3ELNS1_3repE0EEENS1_60segmented_radix_sort_warp_sort_medium_config_static_selectorELNS0_4arch9wavefront6targetE1EEEvSK_.private_seg_size, 0
	.set _ZN7rocprim17ROCPRIM_400000_NS6detail17trampoline_kernelINS0_14default_configENS1_36segmented_radix_sort_config_selectorIalEEZNS1_25segmented_radix_sort_implIS3_Lb0EPKaPaPKlPlN2at6native12_GLOBAL__N_18offset_tEEE10hipError_tPvRmT1_PNSt15iterator_traitsISK_E10value_typeET2_T3_PNSL_ISQ_E10value_typeET4_jRbjT5_SW_jjP12ihipStream_tbEUlT_E0_NS1_11comp_targetILNS1_3genE9ELNS1_11target_archE1100ELNS1_3gpuE3ELNS1_3repE0EEENS1_60segmented_radix_sort_warp_sort_medium_config_static_selectorELNS0_4arch9wavefront6targetE1EEEvSK_.uses_vcc, 0
	.set _ZN7rocprim17ROCPRIM_400000_NS6detail17trampoline_kernelINS0_14default_configENS1_36segmented_radix_sort_config_selectorIalEEZNS1_25segmented_radix_sort_implIS3_Lb0EPKaPaPKlPlN2at6native12_GLOBAL__N_18offset_tEEE10hipError_tPvRmT1_PNSt15iterator_traitsISK_E10value_typeET2_T3_PNSL_ISQ_E10value_typeET4_jRbjT5_SW_jjP12ihipStream_tbEUlT_E0_NS1_11comp_targetILNS1_3genE9ELNS1_11target_archE1100ELNS1_3gpuE3ELNS1_3repE0EEENS1_60segmented_radix_sort_warp_sort_medium_config_static_selectorELNS0_4arch9wavefront6targetE1EEEvSK_.uses_flat_scratch, 0
	.set _ZN7rocprim17ROCPRIM_400000_NS6detail17trampoline_kernelINS0_14default_configENS1_36segmented_radix_sort_config_selectorIalEEZNS1_25segmented_radix_sort_implIS3_Lb0EPKaPaPKlPlN2at6native12_GLOBAL__N_18offset_tEEE10hipError_tPvRmT1_PNSt15iterator_traitsISK_E10value_typeET2_T3_PNSL_ISQ_E10value_typeET4_jRbjT5_SW_jjP12ihipStream_tbEUlT_E0_NS1_11comp_targetILNS1_3genE9ELNS1_11target_archE1100ELNS1_3gpuE3ELNS1_3repE0EEENS1_60segmented_radix_sort_warp_sort_medium_config_static_selectorELNS0_4arch9wavefront6targetE1EEEvSK_.has_dyn_sized_stack, 0
	.set _ZN7rocprim17ROCPRIM_400000_NS6detail17trampoline_kernelINS0_14default_configENS1_36segmented_radix_sort_config_selectorIalEEZNS1_25segmented_radix_sort_implIS3_Lb0EPKaPaPKlPlN2at6native12_GLOBAL__N_18offset_tEEE10hipError_tPvRmT1_PNSt15iterator_traitsISK_E10value_typeET2_T3_PNSL_ISQ_E10value_typeET4_jRbjT5_SW_jjP12ihipStream_tbEUlT_E0_NS1_11comp_targetILNS1_3genE9ELNS1_11target_archE1100ELNS1_3gpuE3ELNS1_3repE0EEENS1_60segmented_radix_sort_warp_sort_medium_config_static_selectorELNS0_4arch9wavefront6targetE1EEEvSK_.has_recursion, 0
	.set _ZN7rocprim17ROCPRIM_400000_NS6detail17trampoline_kernelINS0_14default_configENS1_36segmented_radix_sort_config_selectorIalEEZNS1_25segmented_radix_sort_implIS3_Lb0EPKaPaPKlPlN2at6native12_GLOBAL__N_18offset_tEEE10hipError_tPvRmT1_PNSt15iterator_traitsISK_E10value_typeET2_T3_PNSL_ISQ_E10value_typeET4_jRbjT5_SW_jjP12ihipStream_tbEUlT_E0_NS1_11comp_targetILNS1_3genE9ELNS1_11target_archE1100ELNS1_3gpuE3ELNS1_3repE0EEENS1_60segmented_radix_sort_warp_sort_medium_config_static_selectorELNS0_4arch9wavefront6targetE1EEEvSK_.has_indirect_call, 0
	.section	.AMDGPU.csdata,"",@progbits
; Kernel info:
; codeLenInByte = 0
; TotalNumSgprs: 4
; NumVgprs: 0
; ScratchSize: 0
; MemoryBound: 0
; FloatMode: 240
; IeeeMode: 1
; LDSByteSize: 0 bytes/workgroup (compile time only)
; SGPRBlocks: 0
; VGPRBlocks: 0
; NumSGPRsForWavesPerEU: 4
; NumVGPRsForWavesPerEU: 1
; Occupancy: 10
; WaveLimiterHint : 0
; COMPUTE_PGM_RSRC2:SCRATCH_EN: 0
; COMPUTE_PGM_RSRC2:USER_SGPR: 6
; COMPUTE_PGM_RSRC2:TRAP_HANDLER: 0
; COMPUTE_PGM_RSRC2:TGID_X_EN: 1
; COMPUTE_PGM_RSRC2:TGID_Y_EN: 0
; COMPUTE_PGM_RSRC2:TGID_Z_EN: 0
; COMPUTE_PGM_RSRC2:TIDIG_COMP_CNT: 0
	.section	.text._ZN7rocprim17ROCPRIM_400000_NS6detail17trampoline_kernelINS0_14default_configENS1_36segmented_radix_sort_config_selectorIalEEZNS1_25segmented_radix_sort_implIS3_Lb0EPKaPaPKlPlN2at6native12_GLOBAL__N_18offset_tEEE10hipError_tPvRmT1_PNSt15iterator_traitsISK_E10value_typeET2_T3_PNSL_ISQ_E10value_typeET4_jRbjT5_SW_jjP12ihipStream_tbEUlT_E0_NS1_11comp_targetILNS1_3genE8ELNS1_11target_archE1030ELNS1_3gpuE2ELNS1_3repE0EEENS1_60segmented_radix_sort_warp_sort_medium_config_static_selectorELNS0_4arch9wavefront6targetE1EEEvSK_,"axG",@progbits,_ZN7rocprim17ROCPRIM_400000_NS6detail17trampoline_kernelINS0_14default_configENS1_36segmented_radix_sort_config_selectorIalEEZNS1_25segmented_radix_sort_implIS3_Lb0EPKaPaPKlPlN2at6native12_GLOBAL__N_18offset_tEEE10hipError_tPvRmT1_PNSt15iterator_traitsISK_E10value_typeET2_T3_PNSL_ISQ_E10value_typeET4_jRbjT5_SW_jjP12ihipStream_tbEUlT_E0_NS1_11comp_targetILNS1_3genE8ELNS1_11target_archE1030ELNS1_3gpuE2ELNS1_3repE0EEENS1_60segmented_radix_sort_warp_sort_medium_config_static_selectorELNS0_4arch9wavefront6targetE1EEEvSK_,comdat
	.globl	_ZN7rocprim17ROCPRIM_400000_NS6detail17trampoline_kernelINS0_14default_configENS1_36segmented_radix_sort_config_selectorIalEEZNS1_25segmented_radix_sort_implIS3_Lb0EPKaPaPKlPlN2at6native12_GLOBAL__N_18offset_tEEE10hipError_tPvRmT1_PNSt15iterator_traitsISK_E10value_typeET2_T3_PNSL_ISQ_E10value_typeET4_jRbjT5_SW_jjP12ihipStream_tbEUlT_E0_NS1_11comp_targetILNS1_3genE8ELNS1_11target_archE1030ELNS1_3gpuE2ELNS1_3repE0EEENS1_60segmented_radix_sort_warp_sort_medium_config_static_selectorELNS0_4arch9wavefront6targetE1EEEvSK_ ; -- Begin function _ZN7rocprim17ROCPRIM_400000_NS6detail17trampoline_kernelINS0_14default_configENS1_36segmented_radix_sort_config_selectorIalEEZNS1_25segmented_radix_sort_implIS3_Lb0EPKaPaPKlPlN2at6native12_GLOBAL__N_18offset_tEEE10hipError_tPvRmT1_PNSt15iterator_traitsISK_E10value_typeET2_T3_PNSL_ISQ_E10value_typeET4_jRbjT5_SW_jjP12ihipStream_tbEUlT_E0_NS1_11comp_targetILNS1_3genE8ELNS1_11target_archE1030ELNS1_3gpuE2ELNS1_3repE0EEENS1_60segmented_radix_sort_warp_sort_medium_config_static_selectorELNS0_4arch9wavefront6targetE1EEEvSK_
	.p2align	8
	.type	_ZN7rocprim17ROCPRIM_400000_NS6detail17trampoline_kernelINS0_14default_configENS1_36segmented_radix_sort_config_selectorIalEEZNS1_25segmented_radix_sort_implIS3_Lb0EPKaPaPKlPlN2at6native12_GLOBAL__N_18offset_tEEE10hipError_tPvRmT1_PNSt15iterator_traitsISK_E10value_typeET2_T3_PNSL_ISQ_E10value_typeET4_jRbjT5_SW_jjP12ihipStream_tbEUlT_E0_NS1_11comp_targetILNS1_3genE8ELNS1_11target_archE1030ELNS1_3gpuE2ELNS1_3repE0EEENS1_60segmented_radix_sort_warp_sort_medium_config_static_selectorELNS0_4arch9wavefront6targetE1EEEvSK_,@function
_ZN7rocprim17ROCPRIM_400000_NS6detail17trampoline_kernelINS0_14default_configENS1_36segmented_radix_sort_config_selectorIalEEZNS1_25segmented_radix_sort_implIS3_Lb0EPKaPaPKlPlN2at6native12_GLOBAL__N_18offset_tEEE10hipError_tPvRmT1_PNSt15iterator_traitsISK_E10value_typeET2_T3_PNSL_ISQ_E10value_typeET4_jRbjT5_SW_jjP12ihipStream_tbEUlT_E0_NS1_11comp_targetILNS1_3genE8ELNS1_11target_archE1030ELNS1_3gpuE2ELNS1_3repE0EEENS1_60segmented_radix_sort_warp_sort_medium_config_static_selectorELNS0_4arch9wavefront6targetE1EEEvSK_: ; @_ZN7rocprim17ROCPRIM_400000_NS6detail17trampoline_kernelINS0_14default_configENS1_36segmented_radix_sort_config_selectorIalEEZNS1_25segmented_radix_sort_implIS3_Lb0EPKaPaPKlPlN2at6native12_GLOBAL__N_18offset_tEEE10hipError_tPvRmT1_PNSt15iterator_traitsISK_E10value_typeET2_T3_PNSL_ISQ_E10value_typeET4_jRbjT5_SW_jjP12ihipStream_tbEUlT_E0_NS1_11comp_targetILNS1_3genE8ELNS1_11target_archE1030ELNS1_3gpuE2ELNS1_3repE0EEENS1_60segmented_radix_sort_warp_sort_medium_config_static_selectorELNS0_4arch9wavefront6targetE1EEEvSK_
; %bb.0:
	.section	.rodata,"a",@progbits
	.p2align	6, 0x0
	.amdhsa_kernel _ZN7rocprim17ROCPRIM_400000_NS6detail17trampoline_kernelINS0_14default_configENS1_36segmented_radix_sort_config_selectorIalEEZNS1_25segmented_radix_sort_implIS3_Lb0EPKaPaPKlPlN2at6native12_GLOBAL__N_18offset_tEEE10hipError_tPvRmT1_PNSt15iterator_traitsISK_E10value_typeET2_T3_PNSL_ISQ_E10value_typeET4_jRbjT5_SW_jjP12ihipStream_tbEUlT_E0_NS1_11comp_targetILNS1_3genE8ELNS1_11target_archE1030ELNS1_3gpuE2ELNS1_3repE0EEENS1_60segmented_radix_sort_warp_sort_medium_config_static_selectorELNS0_4arch9wavefront6targetE1EEEvSK_
		.amdhsa_group_segment_fixed_size 0
		.amdhsa_private_segment_fixed_size 0
		.amdhsa_kernarg_size 88
		.amdhsa_user_sgpr_count 6
		.amdhsa_user_sgpr_private_segment_buffer 1
		.amdhsa_user_sgpr_dispatch_ptr 0
		.amdhsa_user_sgpr_queue_ptr 0
		.amdhsa_user_sgpr_kernarg_segment_ptr 1
		.amdhsa_user_sgpr_dispatch_id 0
		.amdhsa_user_sgpr_flat_scratch_init 0
		.amdhsa_user_sgpr_private_segment_size 0
		.amdhsa_uses_dynamic_stack 0
		.amdhsa_system_sgpr_private_segment_wavefront_offset 0
		.amdhsa_system_sgpr_workgroup_id_x 1
		.amdhsa_system_sgpr_workgroup_id_y 0
		.amdhsa_system_sgpr_workgroup_id_z 0
		.amdhsa_system_sgpr_workgroup_info 0
		.amdhsa_system_vgpr_workitem_id 0
		.amdhsa_next_free_vgpr 1
		.amdhsa_next_free_sgpr 0
		.amdhsa_reserve_vcc 0
		.amdhsa_reserve_flat_scratch 0
		.amdhsa_float_round_mode_32 0
		.amdhsa_float_round_mode_16_64 0
		.amdhsa_float_denorm_mode_32 3
		.amdhsa_float_denorm_mode_16_64 3
		.amdhsa_dx10_clamp 1
		.amdhsa_ieee_mode 1
		.amdhsa_fp16_overflow 0
		.amdhsa_exception_fp_ieee_invalid_op 0
		.amdhsa_exception_fp_denorm_src 0
		.amdhsa_exception_fp_ieee_div_zero 0
		.amdhsa_exception_fp_ieee_overflow 0
		.amdhsa_exception_fp_ieee_underflow 0
		.amdhsa_exception_fp_ieee_inexact 0
		.amdhsa_exception_int_div_zero 0
	.end_amdhsa_kernel
	.section	.text._ZN7rocprim17ROCPRIM_400000_NS6detail17trampoline_kernelINS0_14default_configENS1_36segmented_radix_sort_config_selectorIalEEZNS1_25segmented_radix_sort_implIS3_Lb0EPKaPaPKlPlN2at6native12_GLOBAL__N_18offset_tEEE10hipError_tPvRmT1_PNSt15iterator_traitsISK_E10value_typeET2_T3_PNSL_ISQ_E10value_typeET4_jRbjT5_SW_jjP12ihipStream_tbEUlT_E0_NS1_11comp_targetILNS1_3genE8ELNS1_11target_archE1030ELNS1_3gpuE2ELNS1_3repE0EEENS1_60segmented_radix_sort_warp_sort_medium_config_static_selectorELNS0_4arch9wavefront6targetE1EEEvSK_,"axG",@progbits,_ZN7rocprim17ROCPRIM_400000_NS6detail17trampoline_kernelINS0_14default_configENS1_36segmented_radix_sort_config_selectorIalEEZNS1_25segmented_radix_sort_implIS3_Lb0EPKaPaPKlPlN2at6native12_GLOBAL__N_18offset_tEEE10hipError_tPvRmT1_PNSt15iterator_traitsISK_E10value_typeET2_T3_PNSL_ISQ_E10value_typeET4_jRbjT5_SW_jjP12ihipStream_tbEUlT_E0_NS1_11comp_targetILNS1_3genE8ELNS1_11target_archE1030ELNS1_3gpuE2ELNS1_3repE0EEENS1_60segmented_radix_sort_warp_sort_medium_config_static_selectorELNS0_4arch9wavefront6targetE1EEEvSK_,comdat
.Lfunc_end412:
	.size	_ZN7rocprim17ROCPRIM_400000_NS6detail17trampoline_kernelINS0_14default_configENS1_36segmented_radix_sort_config_selectorIalEEZNS1_25segmented_radix_sort_implIS3_Lb0EPKaPaPKlPlN2at6native12_GLOBAL__N_18offset_tEEE10hipError_tPvRmT1_PNSt15iterator_traitsISK_E10value_typeET2_T3_PNSL_ISQ_E10value_typeET4_jRbjT5_SW_jjP12ihipStream_tbEUlT_E0_NS1_11comp_targetILNS1_3genE8ELNS1_11target_archE1030ELNS1_3gpuE2ELNS1_3repE0EEENS1_60segmented_radix_sort_warp_sort_medium_config_static_selectorELNS0_4arch9wavefront6targetE1EEEvSK_, .Lfunc_end412-_ZN7rocprim17ROCPRIM_400000_NS6detail17trampoline_kernelINS0_14default_configENS1_36segmented_radix_sort_config_selectorIalEEZNS1_25segmented_radix_sort_implIS3_Lb0EPKaPaPKlPlN2at6native12_GLOBAL__N_18offset_tEEE10hipError_tPvRmT1_PNSt15iterator_traitsISK_E10value_typeET2_T3_PNSL_ISQ_E10value_typeET4_jRbjT5_SW_jjP12ihipStream_tbEUlT_E0_NS1_11comp_targetILNS1_3genE8ELNS1_11target_archE1030ELNS1_3gpuE2ELNS1_3repE0EEENS1_60segmented_radix_sort_warp_sort_medium_config_static_selectorELNS0_4arch9wavefront6targetE1EEEvSK_
                                        ; -- End function
	.set _ZN7rocprim17ROCPRIM_400000_NS6detail17trampoline_kernelINS0_14default_configENS1_36segmented_radix_sort_config_selectorIalEEZNS1_25segmented_radix_sort_implIS3_Lb0EPKaPaPKlPlN2at6native12_GLOBAL__N_18offset_tEEE10hipError_tPvRmT1_PNSt15iterator_traitsISK_E10value_typeET2_T3_PNSL_ISQ_E10value_typeET4_jRbjT5_SW_jjP12ihipStream_tbEUlT_E0_NS1_11comp_targetILNS1_3genE8ELNS1_11target_archE1030ELNS1_3gpuE2ELNS1_3repE0EEENS1_60segmented_radix_sort_warp_sort_medium_config_static_selectorELNS0_4arch9wavefront6targetE1EEEvSK_.num_vgpr, 0
	.set _ZN7rocprim17ROCPRIM_400000_NS6detail17trampoline_kernelINS0_14default_configENS1_36segmented_radix_sort_config_selectorIalEEZNS1_25segmented_radix_sort_implIS3_Lb0EPKaPaPKlPlN2at6native12_GLOBAL__N_18offset_tEEE10hipError_tPvRmT1_PNSt15iterator_traitsISK_E10value_typeET2_T3_PNSL_ISQ_E10value_typeET4_jRbjT5_SW_jjP12ihipStream_tbEUlT_E0_NS1_11comp_targetILNS1_3genE8ELNS1_11target_archE1030ELNS1_3gpuE2ELNS1_3repE0EEENS1_60segmented_radix_sort_warp_sort_medium_config_static_selectorELNS0_4arch9wavefront6targetE1EEEvSK_.num_agpr, 0
	.set _ZN7rocprim17ROCPRIM_400000_NS6detail17trampoline_kernelINS0_14default_configENS1_36segmented_radix_sort_config_selectorIalEEZNS1_25segmented_radix_sort_implIS3_Lb0EPKaPaPKlPlN2at6native12_GLOBAL__N_18offset_tEEE10hipError_tPvRmT1_PNSt15iterator_traitsISK_E10value_typeET2_T3_PNSL_ISQ_E10value_typeET4_jRbjT5_SW_jjP12ihipStream_tbEUlT_E0_NS1_11comp_targetILNS1_3genE8ELNS1_11target_archE1030ELNS1_3gpuE2ELNS1_3repE0EEENS1_60segmented_radix_sort_warp_sort_medium_config_static_selectorELNS0_4arch9wavefront6targetE1EEEvSK_.numbered_sgpr, 0
	.set _ZN7rocprim17ROCPRIM_400000_NS6detail17trampoline_kernelINS0_14default_configENS1_36segmented_radix_sort_config_selectorIalEEZNS1_25segmented_radix_sort_implIS3_Lb0EPKaPaPKlPlN2at6native12_GLOBAL__N_18offset_tEEE10hipError_tPvRmT1_PNSt15iterator_traitsISK_E10value_typeET2_T3_PNSL_ISQ_E10value_typeET4_jRbjT5_SW_jjP12ihipStream_tbEUlT_E0_NS1_11comp_targetILNS1_3genE8ELNS1_11target_archE1030ELNS1_3gpuE2ELNS1_3repE0EEENS1_60segmented_radix_sort_warp_sort_medium_config_static_selectorELNS0_4arch9wavefront6targetE1EEEvSK_.num_named_barrier, 0
	.set _ZN7rocprim17ROCPRIM_400000_NS6detail17trampoline_kernelINS0_14default_configENS1_36segmented_radix_sort_config_selectorIalEEZNS1_25segmented_radix_sort_implIS3_Lb0EPKaPaPKlPlN2at6native12_GLOBAL__N_18offset_tEEE10hipError_tPvRmT1_PNSt15iterator_traitsISK_E10value_typeET2_T3_PNSL_ISQ_E10value_typeET4_jRbjT5_SW_jjP12ihipStream_tbEUlT_E0_NS1_11comp_targetILNS1_3genE8ELNS1_11target_archE1030ELNS1_3gpuE2ELNS1_3repE0EEENS1_60segmented_radix_sort_warp_sort_medium_config_static_selectorELNS0_4arch9wavefront6targetE1EEEvSK_.private_seg_size, 0
	.set _ZN7rocprim17ROCPRIM_400000_NS6detail17trampoline_kernelINS0_14default_configENS1_36segmented_radix_sort_config_selectorIalEEZNS1_25segmented_radix_sort_implIS3_Lb0EPKaPaPKlPlN2at6native12_GLOBAL__N_18offset_tEEE10hipError_tPvRmT1_PNSt15iterator_traitsISK_E10value_typeET2_T3_PNSL_ISQ_E10value_typeET4_jRbjT5_SW_jjP12ihipStream_tbEUlT_E0_NS1_11comp_targetILNS1_3genE8ELNS1_11target_archE1030ELNS1_3gpuE2ELNS1_3repE0EEENS1_60segmented_radix_sort_warp_sort_medium_config_static_selectorELNS0_4arch9wavefront6targetE1EEEvSK_.uses_vcc, 0
	.set _ZN7rocprim17ROCPRIM_400000_NS6detail17trampoline_kernelINS0_14default_configENS1_36segmented_radix_sort_config_selectorIalEEZNS1_25segmented_radix_sort_implIS3_Lb0EPKaPaPKlPlN2at6native12_GLOBAL__N_18offset_tEEE10hipError_tPvRmT1_PNSt15iterator_traitsISK_E10value_typeET2_T3_PNSL_ISQ_E10value_typeET4_jRbjT5_SW_jjP12ihipStream_tbEUlT_E0_NS1_11comp_targetILNS1_3genE8ELNS1_11target_archE1030ELNS1_3gpuE2ELNS1_3repE0EEENS1_60segmented_radix_sort_warp_sort_medium_config_static_selectorELNS0_4arch9wavefront6targetE1EEEvSK_.uses_flat_scratch, 0
	.set _ZN7rocprim17ROCPRIM_400000_NS6detail17trampoline_kernelINS0_14default_configENS1_36segmented_radix_sort_config_selectorIalEEZNS1_25segmented_radix_sort_implIS3_Lb0EPKaPaPKlPlN2at6native12_GLOBAL__N_18offset_tEEE10hipError_tPvRmT1_PNSt15iterator_traitsISK_E10value_typeET2_T3_PNSL_ISQ_E10value_typeET4_jRbjT5_SW_jjP12ihipStream_tbEUlT_E0_NS1_11comp_targetILNS1_3genE8ELNS1_11target_archE1030ELNS1_3gpuE2ELNS1_3repE0EEENS1_60segmented_radix_sort_warp_sort_medium_config_static_selectorELNS0_4arch9wavefront6targetE1EEEvSK_.has_dyn_sized_stack, 0
	.set _ZN7rocprim17ROCPRIM_400000_NS6detail17trampoline_kernelINS0_14default_configENS1_36segmented_radix_sort_config_selectorIalEEZNS1_25segmented_radix_sort_implIS3_Lb0EPKaPaPKlPlN2at6native12_GLOBAL__N_18offset_tEEE10hipError_tPvRmT1_PNSt15iterator_traitsISK_E10value_typeET2_T3_PNSL_ISQ_E10value_typeET4_jRbjT5_SW_jjP12ihipStream_tbEUlT_E0_NS1_11comp_targetILNS1_3genE8ELNS1_11target_archE1030ELNS1_3gpuE2ELNS1_3repE0EEENS1_60segmented_radix_sort_warp_sort_medium_config_static_selectorELNS0_4arch9wavefront6targetE1EEEvSK_.has_recursion, 0
	.set _ZN7rocprim17ROCPRIM_400000_NS6detail17trampoline_kernelINS0_14default_configENS1_36segmented_radix_sort_config_selectorIalEEZNS1_25segmented_radix_sort_implIS3_Lb0EPKaPaPKlPlN2at6native12_GLOBAL__N_18offset_tEEE10hipError_tPvRmT1_PNSt15iterator_traitsISK_E10value_typeET2_T3_PNSL_ISQ_E10value_typeET4_jRbjT5_SW_jjP12ihipStream_tbEUlT_E0_NS1_11comp_targetILNS1_3genE8ELNS1_11target_archE1030ELNS1_3gpuE2ELNS1_3repE0EEENS1_60segmented_radix_sort_warp_sort_medium_config_static_selectorELNS0_4arch9wavefront6targetE1EEEvSK_.has_indirect_call, 0
	.section	.AMDGPU.csdata,"",@progbits
; Kernel info:
; codeLenInByte = 0
; TotalNumSgprs: 4
; NumVgprs: 0
; ScratchSize: 0
; MemoryBound: 0
; FloatMode: 240
; IeeeMode: 1
; LDSByteSize: 0 bytes/workgroup (compile time only)
; SGPRBlocks: 0
; VGPRBlocks: 0
; NumSGPRsForWavesPerEU: 4
; NumVGPRsForWavesPerEU: 1
; Occupancy: 10
; WaveLimiterHint : 0
; COMPUTE_PGM_RSRC2:SCRATCH_EN: 0
; COMPUTE_PGM_RSRC2:USER_SGPR: 6
; COMPUTE_PGM_RSRC2:TRAP_HANDLER: 0
; COMPUTE_PGM_RSRC2:TGID_X_EN: 1
; COMPUTE_PGM_RSRC2:TGID_Y_EN: 0
; COMPUTE_PGM_RSRC2:TGID_Z_EN: 0
; COMPUTE_PGM_RSRC2:TIDIG_COMP_CNT: 0
	.section	.text._ZN7rocprim17ROCPRIM_400000_NS6detail17trampoline_kernelINS0_14default_configENS1_36segmented_radix_sort_config_selectorIalEEZNS1_25segmented_radix_sort_implIS3_Lb0EPKaPaPKlPlN2at6native12_GLOBAL__N_18offset_tEEE10hipError_tPvRmT1_PNSt15iterator_traitsISK_E10value_typeET2_T3_PNSL_ISQ_E10value_typeET4_jRbjT5_SW_jjP12ihipStream_tbEUlT_E1_NS1_11comp_targetILNS1_3genE0ELNS1_11target_archE4294967295ELNS1_3gpuE0ELNS1_3repE0EEENS1_59segmented_radix_sort_warp_sort_small_config_static_selectorELNS0_4arch9wavefront6targetE1EEEvSK_,"axG",@progbits,_ZN7rocprim17ROCPRIM_400000_NS6detail17trampoline_kernelINS0_14default_configENS1_36segmented_radix_sort_config_selectorIalEEZNS1_25segmented_radix_sort_implIS3_Lb0EPKaPaPKlPlN2at6native12_GLOBAL__N_18offset_tEEE10hipError_tPvRmT1_PNSt15iterator_traitsISK_E10value_typeET2_T3_PNSL_ISQ_E10value_typeET4_jRbjT5_SW_jjP12ihipStream_tbEUlT_E1_NS1_11comp_targetILNS1_3genE0ELNS1_11target_archE4294967295ELNS1_3gpuE0ELNS1_3repE0EEENS1_59segmented_radix_sort_warp_sort_small_config_static_selectorELNS0_4arch9wavefront6targetE1EEEvSK_,comdat
	.globl	_ZN7rocprim17ROCPRIM_400000_NS6detail17trampoline_kernelINS0_14default_configENS1_36segmented_radix_sort_config_selectorIalEEZNS1_25segmented_radix_sort_implIS3_Lb0EPKaPaPKlPlN2at6native12_GLOBAL__N_18offset_tEEE10hipError_tPvRmT1_PNSt15iterator_traitsISK_E10value_typeET2_T3_PNSL_ISQ_E10value_typeET4_jRbjT5_SW_jjP12ihipStream_tbEUlT_E1_NS1_11comp_targetILNS1_3genE0ELNS1_11target_archE4294967295ELNS1_3gpuE0ELNS1_3repE0EEENS1_59segmented_radix_sort_warp_sort_small_config_static_selectorELNS0_4arch9wavefront6targetE1EEEvSK_ ; -- Begin function _ZN7rocprim17ROCPRIM_400000_NS6detail17trampoline_kernelINS0_14default_configENS1_36segmented_radix_sort_config_selectorIalEEZNS1_25segmented_radix_sort_implIS3_Lb0EPKaPaPKlPlN2at6native12_GLOBAL__N_18offset_tEEE10hipError_tPvRmT1_PNSt15iterator_traitsISK_E10value_typeET2_T3_PNSL_ISQ_E10value_typeET4_jRbjT5_SW_jjP12ihipStream_tbEUlT_E1_NS1_11comp_targetILNS1_3genE0ELNS1_11target_archE4294967295ELNS1_3gpuE0ELNS1_3repE0EEENS1_59segmented_radix_sort_warp_sort_small_config_static_selectorELNS0_4arch9wavefront6targetE1EEEvSK_
	.p2align	8
	.type	_ZN7rocprim17ROCPRIM_400000_NS6detail17trampoline_kernelINS0_14default_configENS1_36segmented_radix_sort_config_selectorIalEEZNS1_25segmented_radix_sort_implIS3_Lb0EPKaPaPKlPlN2at6native12_GLOBAL__N_18offset_tEEE10hipError_tPvRmT1_PNSt15iterator_traitsISK_E10value_typeET2_T3_PNSL_ISQ_E10value_typeET4_jRbjT5_SW_jjP12ihipStream_tbEUlT_E1_NS1_11comp_targetILNS1_3genE0ELNS1_11target_archE4294967295ELNS1_3gpuE0ELNS1_3repE0EEENS1_59segmented_radix_sort_warp_sort_small_config_static_selectorELNS0_4arch9wavefront6targetE1EEEvSK_,@function
_ZN7rocprim17ROCPRIM_400000_NS6detail17trampoline_kernelINS0_14default_configENS1_36segmented_radix_sort_config_selectorIalEEZNS1_25segmented_radix_sort_implIS3_Lb0EPKaPaPKlPlN2at6native12_GLOBAL__N_18offset_tEEE10hipError_tPvRmT1_PNSt15iterator_traitsISK_E10value_typeET2_T3_PNSL_ISQ_E10value_typeET4_jRbjT5_SW_jjP12ihipStream_tbEUlT_E1_NS1_11comp_targetILNS1_3genE0ELNS1_11target_archE4294967295ELNS1_3gpuE0ELNS1_3repE0EEENS1_59segmented_radix_sort_warp_sort_small_config_static_selectorELNS0_4arch9wavefront6targetE1EEEvSK_: ; @_ZN7rocprim17ROCPRIM_400000_NS6detail17trampoline_kernelINS0_14default_configENS1_36segmented_radix_sort_config_selectorIalEEZNS1_25segmented_radix_sort_implIS3_Lb0EPKaPaPKlPlN2at6native12_GLOBAL__N_18offset_tEEE10hipError_tPvRmT1_PNSt15iterator_traitsISK_E10value_typeET2_T3_PNSL_ISQ_E10value_typeET4_jRbjT5_SW_jjP12ihipStream_tbEUlT_E1_NS1_11comp_targetILNS1_3genE0ELNS1_11target_archE4294967295ELNS1_3gpuE0ELNS1_3repE0EEENS1_59segmented_radix_sort_warp_sort_small_config_static_selectorELNS0_4arch9wavefront6targetE1EEEvSK_
; %bb.0:
	.section	.rodata,"a",@progbits
	.p2align	6, 0x0
	.amdhsa_kernel _ZN7rocprim17ROCPRIM_400000_NS6detail17trampoline_kernelINS0_14default_configENS1_36segmented_radix_sort_config_selectorIalEEZNS1_25segmented_radix_sort_implIS3_Lb0EPKaPaPKlPlN2at6native12_GLOBAL__N_18offset_tEEE10hipError_tPvRmT1_PNSt15iterator_traitsISK_E10value_typeET2_T3_PNSL_ISQ_E10value_typeET4_jRbjT5_SW_jjP12ihipStream_tbEUlT_E1_NS1_11comp_targetILNS1_3genE0ELNS1_11target_archE4294967295ELNS1_3gpuE0ELNS1_3repE0EEENS1_59segmented_radix_sort_warp_sort_small_config_static_selectorELNS0_4arch9wavefront6targetE1EEEvSK_
		.amdhsa_group_segment_fixed_size 0
		.amdhsa_private_segment_fixed_size 0
		.amdhsa_kernarg_size 88
		.amdhsa_user_sgpr_count 6
		.amdhsa_user_sgpr_private_segment_buffer 1
		.amdhsa_user_sgpr_dispatch_ptr 0
		.amdhsa_user_sgpr_queue_ptr 0
		.amdhsa_user_sgpr_kernarg_segment_ptr 1
		.amdhsa_user_sgpr_dispatch_id 0
		.amdhsa_user_sgpr_flat_scratch_init 0
		.amdhsa_user_sgpr_private_segment_size 0
		.amdhsa_uses_dynamic_stack 0
		.amdhsa_system_sgpr_private_segment_wavefront_offset 0
		.amdhsa_system_sgpr_workgroup_id_x 1
		.amdhsa_system_sgpr_workgroup_id_y 0
		.amdhsa_system_sgpr_workgroup_id_z 0
		.amdhsa_system_sgpr_workgroup_info 0
		.amdhsa_system_vgpr_workitem_id 0
		.amdhsa_next_free_vgpr 1
		.amdhsa_next_free_sgpr 0
		.amdhsa_reserve_vcc 0
		.amdhsa_reserve_flat_scratch 0
		.amdhsa_float_round_mode_32 0
		.amdhsa_float_round_mode_16_64 0
		.amdhsa_float_denorm_mode_32 3
		.amdhsa_float_denorm_mode_16_64 3
		.amdhsa_dx10_clamp 1
		.amdhsa_ieee_mode 1
		.amdhsa_fp16_overflow 0
		.amdhsa_exception_fp_ieee_invalid_op 0
		.amdhsa_exception_fp_denorm_src 0
		.amdhsa_exception_fp_ieee_div_zero 0
		.amdhsa_exception_fp_ieee_overflow 0
		.amdhsa_exception_fp_ieee_underflow 0
		.amdhsa_exception_fp_ieee_inexact 0
		.amdhsa_exception_int_div_zero 0
	.end_amdhsa_kernel
	.section	.text._ZN7rocprim17ROCPRIM_400000_NS6detail17trampoline_kernelINS0_14default_configENS1_36segmented_radix_sort_config_selectorIalEEZNS1_25segmented_radix_sort_implIS3_Lb0EPKaPaPKlPlN2at6native12_GLOBAL__N_18offset_tEEE10hipError_tPvRmT1_PNSt15iterator_traitsISK_E10value_typeET2_T3_PNSL_ISQ_E10value_typeET4_jRbjT5_SW_jjP12ihipStream_tbEUlT_E1_NS1_11comp_targetILNS1_3genE0ELNS1_11target_archE4294967295ELNS1_3gpuE0ELNS1_3repE0EEENS1_59segmented_radix_sort_warp_sort_small_config_static_selectorELNS0_4arch9wavefront6targetE1EEEvSK_,"axG",@progbits,_ZN7rocprim17ROCPRIM_400000_NS6detail17trampoline_kernelINS0_14default_configENS1_36segmented_radix_sort_config_selectorIalEEZNS1_25segmented_radix_sort_implIS3_Lb0EPKaPaPKlPlN2at6native12_GLOBAL__N_18offset_tEEE10hipError_tPvRmT1_PNSt15iterator_traitsISK_E10value_typeET2_T3_PNSL_ISQ_E10value_typeET4_jRbjT5_SW_jjP12ihipStream_tbEUlT_E1_NS1_11comp_targetILNS1_3genE0ELNS1_11target_archE4294967295ELNS1_3gpuE0ELNS1_3repE0EEENS1_59segmented_radix_sort_warp_sort_small_config_static_selectorELNS0_4arch9wavefront6targetE1EEEvSK_,comdat
.Lfunc_end413:
	.size	_ZN7rocprim17ROCPRIM_400000_NS6detail17trampoline_kernelINS0_14default_configENS1_36segmented_radix_sort_config_selectorIalEEZNS1_25segmented_radix_sort_implIS3_Lb0EPKaPaPKlPlN2at6native12_GLOBAL__N_18offset_tEEE10hipError_tPvRmT1_PNSt15iterator_traitsISK_E10value_typeET2_T3_PNSL_ISQ_E10value_typeET4_jRbjT5_SW_jjP12ihipStream_tbEUlT_E1_NS1_11comp_targetILNS1_3genE0ELNS1_11target_archE4294967295ELNS1_3gpuE0ELNS1_3repE0EEENS1_59segmented_radix_sort_warp_sort_small_config_static_selectorELNS0_4arch9wavefront6targetE1EEEvSK_, .Lfunc_end413-_ZN7rocprim17ROCPRIM_400000_NS6detail17trampoline_kernelINS0_14default_configENS1_36segmented_radix_sort_config_selectorIalEEZNS1_25segmented_radix_sort_implIS3_Lb0EPKaPaPKlPlN2at6native12_GLOBAL__N_18offset_tEEE10hipError_tPvRmT1_PNSt15iterator_traitsISK_E10value_typeET2_T3_PNSL_ISQ_E10value_typeET4_jRbjT5_SW_jjP12ihipStream_tbEUlT_E1_NS1_11comp_targetILNS1_3genE0ELNS1_11target_archE4294967295ELNS1_3gpuE0ELNS1_3repE0EEENS1_59segmented_radix_sort_warp_sort_small_config_static_selectorELNS0_4arch9wavefront6targetE1EEEvSK_
                                        ; -- End function
	.set _ZN7rocprim17ROCPRIM_400000_NS6detail17trampoline_kernelINS0_14default_configENS1_36segmented_radix_sort_config_selectorIalEEZNS1_25segmented_radix_sort_implIS3_Lb0EPKaPaPKlPlN2at6native12_GLOBAL__N_18offset_tEEE10hipError_tPvRmT1_PNSt15iterator_traitsISK_E10value_typeET2_T3_PNSL_ISQ_E10value_typeET4_jRbjT5_SW_jjP12ihipStream_tbEUlT_E1_NS1_11comp_targetILNS1_3genE0ELNS1_11target_archE4294967295ELNS1_3gpuE0ELNS1_3repE0EEENS1_59segmented_radix_sort_warp_sort_small_config_static_selectorELNS0_4arch9wavefront6targetE1EEEvSK_.num_vgpr, 0
	.set _ZN7rocprim17ROCPRIM_400000_NS6detail17trampoline_kernelINS0_14default_configENS1_36segmented_radix_sort_config_selectorIalEEZNS1_25segmented_radix_sort_implIS3_Lb0EPKaPaPKlPlN2at6native12_GLOBAL__N_18offset_tEEE10hipError_tPvRmT1_PNSt15iterator_traitsISK_E10value_typeET2_T3_PNSL_ISQ_E10value_typeET4_jRbjT5_SW_jjP12ihipStream_tbEUlT_E1_NS1_11comp_targetILNS1_3genE0ELNS1_11target_archE4294967295ELNS1_3gpuE0ELNS1_3repE0EEENS1_59segmented_radix_sort_warp_sort_small_config_static_selectorELNS0_4arch9wavefront6targetE1EEEvSK_.num_agpr, 0
	.set _ZN7rocprim17ROCPRIM_400000_NS6detail17trampoline_kernelINS0_14default_configENS1_36segmented_radix_sort_config_selectorIalEEZNS1_25segmented_radix_sort_implIS3_Lb0EPKaPaPKlPlN2at6native12_GLOBAL__N_18offset_tEEE10hipError_tPvRmT1_PNSt15iterator_traitsISK_E10value_typeET2_T3_PNSL_ISQ_E10value_typeET4_jRbjT5_SW_jjP12ihipStream_tbEUlT_E1_NS1_11comp_targetILNS1_3genE0ELNS1_11target_archE4294967295ELNS1_3gpuE0ELNS1_3repE0EEENS1_59segmented_radix_sort_warp_sort_small_config_static_selectorELNS0_4arch9wavefront6targetE1EEEvSK_.numbered_sgpr, 0
	.set _ZN7rocprim17ROCPRIM_400000_NS6detail17trampoline_kernelINS0_14default_configENS1_36segmented_radix_sort_config_selectorIalEEZNS1_25segmented_radix_sort_implIS3_Lb0EPKaPaPKlPlN2at6native12_GLOBAL__N_18offset_tEEE10hipError_tPvRmT1_PNSt15iterator_traitsISK_E10value_typeET2_T3_PNSL_ISQ_E10value_typeET4_jRbjT5_SW_jjP12ihipStream_tbEUlT_E1_NS1_11comp_targetILNS1_3genE0ELNS1_11target_archE4294967295ELNS1_3gpuE0ELNS1_3repE0EEENS1_59segmented_radix_sort_warp_sort_small_config_static_selectorELNS0_4arch9wavefront6targetE1EEEvSK_.num_named_barrier, 0
	.set _ZN7rocprim17ROCPRIM_400000_NS6detail17trampoline_kernelINS0_14default_configENS1_36segmented_radix_sort_config_selectorIalEEZNS1_25segmented_radix_sort_implIS3_Lb0EPKaPaPKlPlN2at6native12_GLOBAL__N_18offset_tEEE10hipError_tPvRmT1_PNSt15iterator_traitsISK_E10value_typeET2_T3_PNSL_ISQ_E10value_typeET4_jRbjT5_SW_jjP12ihipStream_tbEUlT_E1_NS1_11comp_targetILNS1_3genE0ELNS1_11target_archE4294967295ELNS1_3gpuE0ELNS1_3repE0EEENS1_59segmented_radix_sort_warp_sort_small_config_static_selectorELNS0_4arch9wavefront6targetE1EEEvSK_.private_seg_size, 0
	.set _ZN7rocprim17ROCPRIM_400000_NS6detail17trampoline_kernelINS0_14default_configENS1_36segmented_radix_sort_config_selectorIalEEZNS1_25segmented_radix_sort_implIS3_Lb0EPKaPaPKlPlN2at6native12_GLOBAL__N_18offset_tEEE10hipError_tPvRmT1_PNSt15iterator_traitsISK_E10value_typeET2_T3_PNSL_ISQ_E10value_typeET4_jRbjT5_SW_jjP12ihipStream_tbEUlT_E1_NS1_11comp_targetILNS1_3genE0ELNS1_11target_archE4294967295ELNS1_3gpuE0ELNS1_3repE0EEENS1_59segmented_radix_sort_warp_sort_small_config_static_selectorELNS0_4arch9wavefront6targetE1EEEvSK_.uses_vcc, 0
	.set _ZN7rocprim17ROCPRIM_400000_NS6detail17trampoline_kernelINS0_14default_configENS1_36segmented_radix_sort_config_selectorIalEEZNS1_25segmented_radix_sort_implIS3_Lb0EPKaPaPKlPlN2at6native12_GLOBAL__N_18offset_tEEE10hipError_tPvRmT1_PNSt15iterator_traitsISK_E10value_typeET2_T3_PNSL_ISQ_E10value_typeET4_jRbjT5_SW_jjP12ihipStream_tbEUlT_E1_NS1_11comp_targetILNS1_3genE0ELNS1_11target_archE4294967295ELNS1_3gpuE0ELNS1_3repE0EEENS1_59segmented_radix_sort_warp_sort_small_config_static_selectorELNS0_4arch9wavefront6targetE1EEEvSK_.uses_flat_scratch, 0
	.set _ZN7rocprim17ROCPRIM_400000_NS6detail17trampoline_kernelINS0_14default_configENS1_36segmented_radix_sort_config_selectorIalEEZNS1_25segmented_radix_sort_implIS3_Lb0EPKaPaPKlPlN2at6native12_GLOBAL__N_18offset_tEEE10hipError_tPvRmT1_PNSt15iterator_traitsISK_E10value_typeET2_T3_PNSL_ISQ_E10value_typeET4_jRbjT5_SW_jjP12ihipStream_tbEUlT_E1_NS1_11comp_targetILNS1_3genE0ELNS1_11target_archE4294967295ELNS1_3gpuE0ELNS1_3repE0EEENS1_59segmented_radix_sort_warp_sort_small_config_static_selectorELNS0_4arch9wavefront6targetE1EEEvSK_.has_dyn_sized_stack, 0
	.set _ZN7rocprim17ROCPRIM_400000_NS6detail17trampoline_kernelINS0_14default_configENS1_36segmented_radix_sort_config_selectorIalEEZNS1_25segmented_radix_sort_implIS3_Lb0EPKaPaPKlPlN2at6native12_GLOBAL__N_18offset_tEEE10hipError_tPvRmT1_PNSt15iterator_traitsISK_E10value_typeET2_T3_PNSL_ISQ_E10value_typeET4_jRbjT5_SW_jjP12ihipStream_tbEUlT_E1_NS1_11comp_targetILNS1_3genE0ELNS1_11target_archE4294967295ELNS1_3gpuE0ELNS1_3repE0EEENS1_59segmented_radix_sort_warp_sort_small_config_static_selectorELNS0_4arch9wavefront6targetE1EEEvSK_.has_recursion, 0
	.set _ZN7rocprim17ROCPRIM_400000_NS6detail17trampoline_kernelINS0_14default_configENS1_36segmented_radix_sort_config_selectorIalEEZNS1_25segmented_radix_sort_implIS3_Lb0EPKaPaPKlPlN2at6native12_GLOBAL__N_18offset_tEEE10hipError_tPvRmT1_PNSt15iterator_traitsISK_E10value_typeET2_T3_PNSL_ISQ_E10value_typeET4_jRbjT5_SW_jjP12ihipStream_tbEUlT_E1_NS1_11comp_targetILNS1_3genE0ELNS1_11target_archE4294967295ELNS1_3gpuE0ELNS1_3repE0EEENS1_59segmented_radix_sort_warp_sort_small_config_static_selectorELNS0_4arch9wavefront6targetE1EEEvSK_.has_indirect_call, 0
	.section	.AMDGPU.csdata,"",@progbits
; Kernel info:
; codeLenInByte = 0
; TotalNumSgprs: 4
; NumVgprs: 0
; ScratchSize: 0
; MemoryBound: 0
; FloatMode: 240
; IeeeMode: 1
; LDSByteSize: 0 bytes/workgroup (compile time only)
; SGPRBlocks: 0
; VGPRBlocks: 0
; NumSGPRsForWavesPerEU: 4
; NumVGPRsForWavesPerEU: 1
; Occupancy: 10
; WaveLimiterHint : 0
; COMPUTE_PGM_RSRC2:SCRATCH_EN: 0
; COMPUTE_PGM_RSRC2:USER_SGPR: 6
; COMPUTE_PGM_RSRC2:TRAP_HANDLER: 0
; COMPUTE_PGM_RSRC2:TGID_X_EN: 1
; COMPUTE_PGM_RSRC2:TGID_Y_EN: 0
; COMPUTE_PGM_RSRC2:TGID_Z_EN: 0
; COMPUTE_PGM_RSRC2:TIDIG_COMP_CNT: 0
	.section	.text._ZN7rocprim17ROCPRIM_400000_NS6detail17trampoline_kernelINS0_14default_configENS1_36segmented_radix_sort_config_selectorIalEEZNS1_25segmented_radix_sort_implIS3_Lb0EPKaPaPKlPlN2at6native12_GLOBAL__N_18offset_tEEE10hipError_tPvRmT1_PNSt15iterator_traitsISK_E10value_typeET2_T3_PNSL_ISQ_E10value_typeET4_jRbjT5_SW_jjP12ihipStream_tbEUlT_E1_NS1_11comp_targetILNS1_3genE5ELNS1_11target_archE942ELNS1_3gpuE9ELNS1_3repE0EEENS1_59segmented_radix_sort_warp_sort_small_config_static_selectorELNS0_4arch9wavefront6targetE1EEEvSK_,"axG",@progbits,_ZN7rocprim17ROCPRIM_400000_NS6detail17trampoline_kernelINS0_14default_configENS1_36segmented_radix_sort_config_selectorIalEEZNS1_25segmented_radix_sort_implIS3_Lb0EPKaPaPKlPlN2at6native12_GLOBAL__N_18offset_tEEE10hipError_tPvRmT1_PNSt15iterator_traitsISK_E10value_typeET2_T3_PNSL_ISQ_E10value_typeET4_jRbjT5_SW_jjP12ihipStream_tbEUlT_E1_NS1_11comp_targetILNS1_3genE5ELNS1_11target_archE942ELNS1_3gpuE9ELNS1_3repE0EEENS1_59segmented_radix_sort_warp_sort_small_config_static_selectorELNS0_4arch9wavefront6targetE1EEEvSK_,comdat
	.globl	_ZN7rocprim17ROCPRIM_400000_NS6detail17trampoline_kernelINS0_14default_configENS1_36segmented_radix_sort_config_selectorIalEEZNS1_25segmented_radix_sort_implIS3_Lb0EPKaPaPKlPlN2at6native12_GLOBAL__N_18offset_tEEE10hipError_tPvRmT1_PNSt15iterator_traitsISK_E10value_typeET2_T3_PNSL_ISQ_E10value_typeET4_jRbjT5_SW_jjP12ihipStream_tbEUlT_E1_NS1_11comp_targetILNS1_3genE5ELNS1_11target_archE942ELNS1_3gpuE9ELNS1_3repE0EEENS1_59segmented_radix_sort_warp_sort_small_config_static_selectorELNS0_4arch9wavefront6targetE1EEEvSK_ ; -- Begin function _ZN7rocprim17ROCPRIM_400000_NS6detail17trampoline_kernelINS0_14default_configENS1_36segmented_radix_sort_config_selectorIalEEZNS1_25segmented_radix_sort_implIS3_Lb0EPKaPaPKlPlN2at6native12_GLOBAL__N_18offset_tEEE10hipError_tPvRmT1_PNSt15iterator_traitsISK_E10value_typeET2_T3_PNSL_ISQ_E10value_typeET4_jRbjT5_SW_jjP12ihipStream_tbEUlT_E1_NS1_11comp_targetILNS1_3genE5ELNS1_11target_archE942ELNS1_3gpuE9ELNS1_3repE0EEENS1_59segmented_radix_sort_warp_sort_small_config_static_selectorELNS0_4arch9wavefront6targetE1EEEvSK_
	.p2align	8
	.type	_ZN7rocprim17ROCPRIM_400000_NS6detail17trampoline_kernelINS0_14default_configENS1_36segmented_radix_sort_config_selectorIalEEZNS1_25segmented_radix_sort_implIS3_Lb0EPKaPaPKlPlN2at6native12_GLOBAL__N_18offset_tEEE10hipError_tPvRmT1_PNSt15iterator_traitsISK_E10value_typeET2_T3_PNSL_ISQ_E10value_typeET4_jRbjT5_SW_jjP12ihipStream_tbEUlT_E1_NS1_11comp_targetILNS1_3genE5ELNS1_11target_archE942ELNS1_3gpuE9ELNS1_3repE0EEENS1_59segmented_radix_sort_warp_sort_small_config_static_selectorELNS0_4arch9wavefront6targetE1EEEvSK_,@function
_ZN7rocprim17ROCPRIM_400000_NS6detail17trampoline_kernelINS0_14default_configENS1_36segmented_radix_sort_config_selectorIalEEZNS1_25segmented_radix_sort_implIS3_Lb0EPKaPaPKlPlN2at6native12_GLOBAL__N_18offset_tEEE10hipError_tPvRmT1_PNSt15iterator_traitsISK_E10value_typeET2_T3_PNSL_ISQ_E10value_typeET4_jRbjT5_SW_jjP12ihipStream_tbEUlT_E1_NS1_11comp_targetILNS1_3genE5ELNS1_11target_archE942ELNS1_3gpuE9ELNS1_3repE0EEENS1_59segmented_radix_sort_warp_sort_small_config_static_selectorELNS0_4arch9wavefront6targetE1EEEvSK_: ; @_ZN7rocprim17ROCPRIM_400000_NS6detail17trampoline_kernelINS0_14default_configENS1_36segmented_radix_sort_config_selectorIalEEZNS1_25segmented_radix_sort_implIS3_Lb0EPKaPaPKlPlN2at6native12_GLOBAL__N_18offset_tEEE10hipError_tPvRmT1_PNSt15iterator_traitsISK_E10value_typeET2_T3_PNSL_ISQ_E10value_typeET4_jRbjT5_SW_jjP12ihipStream_tbEUlT_E1_NS1_11comp_targetILNS1_3genE5ELNS1_11target_archE942ELNS1_3gpuE9ELNS1_3repE0EEENS1_59segmented_radix_sort_warp_sort_small_config_static_selectorELNS0_4arch9wavefront6targetE1EEEvSK_
; %bb.0:
	.section	.rodata,"a",@progbits
	.p2align	6, 0x0
	.amdhsa_kernel _ZN7rocprim17ROCPRIM_400000_NS6detail17trampoline_kernelINS0_14default_configENS1_36segmented_radix_sort_config_selectorIalEEZNS1_25segmented_radix_sort_implIS3_Lb0EPKaPaPKlPlN2at6native12_GLOBAL__N_18offset_tEEE10hipError_tPvRmT1_PNSt15iterator_traitsISK_E10value_typeET2_T3_PNSL_ISQ_E10value_typeET4_jRbjT5_SW_jjP12ihipStream_tbEUlT_E1_NS1_11comp_targetILNS1_3genE5ELNS1_11target_archE942ELNS1_3gpuE9ELNS1_3repE0EEENS1_59segmented_radix_sort_warp_sort_small_config_static_selectorELNS0_4arch9wavefront6targetE1EEEvSK_
		.amdhsa_group_segment_fixed_size 0
		.amdhsa_private_segment_fixed_size 0
		.amdhsa_kernarg_size 88
		.amdhsa_user_sgpr_count 6
		.amdhsa_user_sgpr_private_segment_buffer 1
		.amdhsa_user_sgpr_dispatch_ptr 0
		.amdhsa_user_sgpr_queue_ptr 0
		.amdhsa_user_sgpr_kernarg_segment_ptr 1
		.amdhsa_user_sgpr_dispatch_id 0
		.amdhsa_user_sgpr_flat_scratch_init 0
		.amdhsa_user_sgpr_private_segment_size 0
		.amdhsa_uses_dynamic_stack 0
		.amdhsa_system_sgpr_private_segment_wavefront_offset 0
		.amdhsa_system_sgpr_workgroup_id_x 1
		.amdhsa_system_sgpr_workgroup_id_y 0
		.amdhsa_system_sgpr_workgroup_id_z 0
		.amdhsa_system_sgpr_workgroup_info 0
		.amdhsa_system_vgpr_workitem_id 0
		.amdhsa_next_free_vgpr 1
		.amdhsa_next_free_sgpr 0
		.amdhsa_reserve_vcc 0
		.amdhsa_reserve_flat_scratch 0
		.amdhsa_float_round_mode_32 0
		.amdhsa_float_round_mode_16_64 0
		.amdhsa_float_denorm_mode_32 3
		.amdhsa_float_denorm_mode_16_64 3
		.amdhsa_dx10_clamp 1
		.amdhsa_ieee_mode 1
		.amdhsa_fp16_overflow 0
		.amdhsa_exception_fp_ieee_invalid_op 0
		.amdhsa_exception_fp_denorm_src 0
		.amdhsa_exception_fp_ieee_div_zero 0
		.amdhsa_exception_fp_ieee_overflow 0
		.amdhsa_exception_fp_ieee_underflow 0
		.amdhsa_exception_fp_ieee_inexact 0
		.amdhsa_exception_int_div_zero 0
	.end_amdhsa_kernel
	.section	.text._ZN7rocprim17ROCPRIM_400000_NS6detail17trampoline_kernelINS0_14default_configENS1_36segmented_radix_sort_config_selectorIalEEZNS1_25segmented_radix_sort_implIS3_Lb0EPKaPaPKlPlN2at6native12_GLOBAL__N_18offset_tEEE10hipError_tPvRmT1_PNSt15iterator_traitsISK_E10value_typeET2_T3_PNSL_ISQ_E10value_typeET4_jRbjT5_SW_jjP12ihipStream_tbEUlT_E1_NS1_11comp_targetILNS1_3genE5ELNS1_11target_archE942ELNS1_3gpuE9ELNS1_3repE0EEENS1_59segmented_radix_sort_warp_sort_small_config_static_selectorELNS0_4arch9wavefront6targetE1EEEvSK_,"axG",@progbits,_ZN7rocprim17ROCPRIM_400000_NS6detail17trampoline_kernelINS0_14default_configENS1_36segmented_radix_sort_config_selectorIalEEZNS1_25segmented_radix_sort_implIS3_Lb0EPKaPaPKlPlN2at6native12_GLOBAL__N_18offset_tEEE10hipError_tPvRmT1_PNSt15iterator_traitsISK_E10value_typeET2_T3_PNSL_ISQ_E10value_typeET4_jRbjT5_SW_jjP12ihipStream_tbEUlT_E1_NS1_11comp_targetILNS1_3genE5ELNS1_11target_archE942ELNS1_3gpuE9ELNS1_3repE0EEENS1_59segmented_radix_sort_warp_sort_small_config_static_selectorELNS0_4arch9wavefront6targetE1EEEvSK_,comdat
.Lfunc_end414:
	.size	_ZN7rocprim17ROCPRIM_400000_NS6detail17trampoline_kernelINS0_14default_configENS1_36segmented_radix_sort_config_selectorIalEEZNS1_25segmented_radix_sort_implIS3_Lb0EPKaPaPKlPlN2at6native12_GLOBAL__N_18offset_tEEE10hipError_tPvRmT1_PNSt15iterator_traitsISK_E10value_typeET2_T3_PNSL_ISQ_E10value_typeET4_jRbjT5_SW_jjP12ihipStream_tbEUlT_E1_NS1_11comp_targetILNS1_3genE5ELNS1_11target_archE942ELNS1_3gpuE9ELNS1_3repE0EEENS1_59segmented_radix_sort_warp_sort_small_config_static_selectorELNS0_4arch9wavefront6targetE1EEEvSK_, .Lfunc_end414-_ZN7rocprim17ROCPRIM_400000_NS6detail17trampoline_kernelINS0_14default_configENS1_36segmented_radix_sort_config_selectorIalEEZNS1_25segmented_radix_sort_implIS3_Lb0EPKaPaPKlPlN2at6native12_GLOBAL__N_18offset_tEEE10hipError_tPvRmT1_PNSt15iterator_traitsISK_E10value_typeET2_T3_PNSL_ISQ_E10value_typeET4_jRbjT5_SW_jjP12ihipStream_tbEUlT_E1_NS1_11comp_targetILNS1_3genE5ELNS1_11target_archE942ELNS1_3gpuE9ELNS1_3repE0EEENS1_59segmented_radix_sort_warp_sort_small_config_static_selectorELNS0_4arch9wavefront6targetE1EEEvSK_
                                        ; -- End function
	.set _ZN7rocprim17ROCPRIM_400000_NS6detail17trampoline_kernelINS0_14default_configENS1_36segmented_radix_sort_config_selectorIalEEZNS1_25segmented_radix_sort_implIS3_Lb0EPKaPaPKlPlN2at6native12_GLOBAL__N_18offset_tEEE10hipError_tPvRmT1_PNSt15iterator_traitsISK_E10value_typeET2_T3_PNSL_ISQ_E10value_typeET4_jRbjT5_SW_jjP12ihipStream_tbEUlT_E1_NS1_11comp_targetILNS1_3genE5ELNS1_11target_archE942ELNS1_3gpuE9ELNS1_3repE0EEENS1_59segmented_radix_sort_warp_sort_small_config_static_selectorELNS0_4arch9wavefront6targetE1EEEvSK_.num_vgpr, 0
	.set _ZN7rocprim17ROCPRIM_400000_NS6detail17trampoline_kernelINS0_14default_configENS1_36segmented_radix_sort_config_selectorIalEEZNS1_25segmented_radix_sort_implIS3_Lb0EPKaPaPKlPlN2at6native12_GLOBAL__N_18offset_tEEE10hipError_tPvRmT1_PNSt15iterator_traitsISK_E10value_typeET2_T3_PNSL_ISQ_E10value_typeET4_jRbjT5_SW_jjP12ihipStream_tbEUlT_E1_NS1_11comp_targetILNS1_3genE5ELNS1_11target_archE942ELNS1_3gpuE9ELNS1_3repE0EEENS1_59segmented_radix_sort_warp_sort_small_config_static_selectorELNS0_4arch9wavefront6targetE1EEEvSK_.num_agpr, 0
	.set _ZN7rocprim17ROCPRIM_400000_NS6detail17trampoline_kernelINS0_14default_configENS1_36segmented_radix_sort_config_selectorIalEEZNS1_25segmented_radix_sort_implIS3_Lb0EPKaPaPKlPlN2at6native12_GLOBAL__N_18offset_tEEE10hipError_tPvRmT1_PNSt15iterator_traitsISK_E10value_typeET2_T3_PNSL_ISQ_E10value_typeET4_jRbjT5_SW_jjP12ihipStream_tbEUlT_E1_NS1_11comp_targetILNS1_3genE5ELNS1_11target_archE942ELNS1_3gpuE9ELNS1_3repE0EEENS1_59segmented_radix_sort_warp_sort_small_config_static_selectorELNS0_4arch9wavefront6targetE1EEEvSK_.numbered_sgpr, 0
	.set _ZN7rocprim17ROCPRIM_400000_NS6detail17trampoline_kernelINS0_14default_configENS1_36segmented_radix_sort_config_selectorIalEEZNS1_25segmented_radix_sort_implIS3_Lb0EPKaPaPKlPlN2at6native12_GLOBAL__N_18offset_tEEE10hipError_tPvRmT1_PNSt15iterator_traitsISK_E10value_typeET2_T3_PNSL_ISQ_E10value_typeET4_jRbjT5_SW_jjP12ihipStream_tbEUlT_E1_NS1_11comp_targetILNS1_3genE5ELNS1_11target_archE942ELNS1_3gpuE9ELNS1_3repE0EEENS1_59segmented_radix_sort_warp_sort_small_config_static_selectorELNS0_4arch9wavefront6targetE1EEEvSK_.num_named_barrier, 0
	.set _ZN7rocprim17ROCPRIM_400000_NS6detail17trampoline_kernelINS0_14default_configENS1_36segmented_radix_sort_config_selectorIalEEZNS1_25segmented_radix_sort_implIS3_Lb0EPKaPaPKlPlN2at6native12_GLOBAL__N_18offset_tEEE10hipError_tPvRmT1_PNSt15iterator_traitsISK_E10value_typeET2_T3_PNSL_ISQ_E10value_typeET4_jRbjT5_SW_jjP12ihipStream_tbEUlT_E1_NS1_11comp_targetILNS1_3genE5ELNS1_11target_archE942ELNS1_3gpuE9ELNS1_3repE0EEENS1_59segmented_radix_sort_warp_sort_small_config_static_selectorELNS0_4arch9wavefront6targetE1EEEvSK_.private_seg_size, 0
	.set _ZN7rocprim17ROCPRIM_400000_NS6detail17trampoline_kernelINS0_14default_configENS1_36segmented_radix_sort_config_selectorIalEEZNS1_25segmented_radix_sort_implIS3_Lb0EPKaPaPKlPlN2at6native12_GLOBAL__N_18offset_tEEE10hipError_tPvRmT1_PNSt15iterator_traitsISK_E10value_typeET2_T3_PNSL_ISQ_E10value_typeET4_jRbjT5_SW_jjP12ihipStream_tbEUlT_E1_NS1_11comp_targetILNS1_3genE5ELNS1_11target_archE942ELNS1_3gpuE9ELNS1_3repE0EEENS1_59segmented_radix_sort_warp_sort_small_config_static_selectorELNS0_4arch9wavefront6targetE1EEEvSK_.uses_vcc, 0
	.set _ZN7rocprim17ROCPRIM_400000_NS6detail17trampoline_kernelINS0_14default_configENS1_36segmented_radix_sort_config_selectorIalEEZNS1_25segmented_radix_sort_implIS3_Lb0EPKaPaPKlPlN2at6native12_GLOBAL__N_18offset_tEEE10hipError_tPvRmT1_PNSt15iterator_traitsISK_E10value_typeET2_T3_PNSL_ISQ_E10value_typeET4_jRbjT5_SW_jjP12ihipStream_tbEUlT_E1_NS1_11comp_targetILNS1_3genE5ELNS1_11target_archE942ELNS1_3gpuE9ELNS1_3repE0EEENS1_59segmented_radix_sort_warp_sort_small_config_static_selectorELNS0_4arch9wavefront6targetE1EEEvSK_.uses_flat_scratch, 0
	.set _ZN7rocprim17ROCPRIM_400000_NS6detail17trampoline_kernelINS0_14default_configENS1_36segmented_radix_sort_config_selectorIalEEZNS1_25segmented_radix_sort_implIS3_Lb0EPKaPaPKlPlN2at6native12_GLOBAL__N_18offset_tEEE10hipError_tPvRmT1_PNSt15iterator_traitsISK_E10value_typeET2_T3_PNSL_ISQ_E10value_typeET4_jRbjT5_SW_jjP12ihipStream_tbEUlT_E1_NS1_11comp_targetILNS1_3genE5ELNS1_11target_archE942ELNS1_3gpuE9ELNS1_3repE0EEENS1_59segmented_radix_sort_warp_sort_small_config_static_selectorELNS0_4arch9wavefront6targetE1EEEvSK_.has_dyn_sized_stack, 0
	.set _ZN7rocprim17ROCPRIM_400000_NS6detail17trampoline_kernelINS0_14default_configENS1_36segmented_radix_sort_config_selectorIalEEZNS1_25segmented_radix_sort_implIS3_Lb0EPKaPaPKlPlN2at6native12_GLOBAL__N_18offset_tEEE10hipError_tPvRmT1_PNSt15iterator_traitsISK_E10value_typeET2_T3_PNSL_ISQ_E10value_typeET4_jRbjT5_SW_jjP12ihipStream_tbEUlT_E1_NS1_11comp_targetILNS1_3genE5ELNS1_11target_archE942ELNS1_3gpuE9ELNS1_3repE0EEENS1_59segmented_radix_sort_warp_sort_small_config_static_selectorELNS0_4arch9wavefront6targetE1EEEvSK_.has_recursion, 0
	.set _ZN7rocprim17ROCPRIM_400000_NS6detail17trampoline_kernelINS0_14default_configENS1_36segmented_radix_sort_config_selectorIalEEZNS1_25segmented_radix_sort_implIS3_Lb0EPKaPaPKlPlN2at6native12_GLOBAL__N_18offset_tEEE10hipError_tPvRmT1_PNSt15iterator_traitsISK_E10value_typeET2_T3_PNSL_ISQ_E10value_typeET4_jRbjT5_SW_jjP12ihipStream_tbEUlT_E1_NS1_11comp_targetILNS1_3genE5ELNS1_11target_archE942ELNS1_3gpuE9ELNS1_3repE0EEENS1_59segmented_radix_sort_warp_sort_small_config_static_selectorELNS0_4arch9wavefront6targetE1EEEvSK_.has_indirect_call, 0
	.section	.AMDGPU.csdata,"",@progbits
; Kernel info:
; codeLenInByte = 0
; TotalNumSgprs: 4
; NumVgprs: 0
; ScratchSize: 0
; MemoryBound: 0
; FloatMode: 240
; IeeeMode: 1
; LDSByteSize: 0 bytes/workgroup (compile time only)
; SGPRBlocks: 0
; VGPRBlocks: 0
; NumSGPRsForWavesPerEU: 4
; NumVGPRsForWavesPerEU: 1
; Occupancy: 10
; WaveLimiterHint : 0
; COMPUTE_PGM_RSRC2:SCRATCH_EN: 0
; COMPUTE_PGM_RSRC2:USER_SGPR: 6
; COMPUTE_PGM_RSRC2:TRAP_HANDLER: 0
; COMPUTE_PGM_RSRC2:TGID_X_EN: 1
; COMPUTE_PGM_RSRC2:TGID_Y_EN: 0
; COMPUTE_PGM_RSRC2:TGID_Z_EN: 0
; COMPUTE_PGM_RSRC2:TIDIG_COMP_CNT: 0
	.section	.text._ZN7rocprim17ROCPRIM_400000_NS6detail17trampoline_kernelINS0_14default_configENS1_36segmented_radix_sort_config_selectorIalEEZNS1_25segmented_radix_sort_implIS3_Lb0EPKaPaPKlPlN2at6native12_GLOBAL__N_18offset_tEEE10hipError_tPvRmT1_PNSt15iterator_traitsISK_E10value_typeET2_T3_PNSL_ISQ_E10value_typeET4_jRbjT5_SW_jjP12ihipStream_tbEUlT_E1_NS1_11comp_targetILNS1_3genE4ELNS1_11target_archE910ELNS1_3gpuE8ELNS1_3repE0EEENS1_59segmented_radix_sort_warp_sort_small_config_static_selectorELNS0_4arch9wavefront6targetE1EEEvSK_,"axG",@progbits,_ZN7rocprim17ROCPRIM_400000_NS6detail17trampoline_kernelINS0_14default_configENS1_36segmented_radix_sort_config_selectorIalEEZNS1_25segmented_radix_sort_implIS3_Lb0EPKaPaPKlPlN2at6native12_GLOBAL__N_18offset_tEEE10hipError_tPvRmT1_PNSt15iterator_traitsISK_E10value_typeET2_T3_PNSL_ISQ_E10value_typeET4_jRbjT5_SW_jjP12ihipStream_tbEUlT_E1_NS1_11comp_targetILNS1_3genE4ELNS1_11target_archE910ELNS1_3gpuE8ELNS1_3repE0EEENS1_59segmented_radix_sort_warp_sort_small_config_static_selectorELNS0_4arch9wavefront6targetE1EEEvSK_,comdat
	.globl	_ZN7rocprim17ROCPRIM_400000_NS6detail17trampoline_kernelINS0_14default_configENS1_36segmented_radix_sort_config_selectorIalEEZNS1_25segmented_radix_sort_implIS3_Lb0EPKaPaPKlPlN2at6native12_GLOBAL__N_18offset_tEEE10hipError_tPvRmT1_PNSt15iterator_traitsISK_E10value_typeET2_T3_PNSL_ISQ_E10value_typeET4_jRbjT5_SW_jjP12ihipStream_tbEUlT_E1_NS1_11comp_targetILNS1_3genE4ELNS1_11target_archE910ELNS1_3gpuE8ELNS1_3repE0EEENS1_59segmented_radix_sort_warp_sort_small_config_static_selectorELNS0_4arch9wavefront6targetE1EEEvSK_ ; -- Begin function _ZN7rocprim17ROCPRIM_400000_NS6detail17trampoline_kernelINS0_14default_configENS1_36segmented_radix_sort_config_selectorIalEEZNS1_25segmented_radix_sort_implIS3_Lb0EPKaPaPKlPlN2at6native12_GLOBAL__N_18offset_tEEE10hipError_tPvRmT1_PNSt15iterator_traitsISK_E10value_typeET2_T3_PNSL_ISQ_E10value_typeET4_jRbjT5_SW_jjP12ihipStream_tbEUlT_E1_NS1_11comp_targetILNS1_3genE4ELNS1_11target_archE910ELNS1_3gpuE8ELNS1_3repE0EEENS1_59segmented_radix_sort_warp_sort_small_config_static_selectorELNS0_4arch9wavefront6targetE1EEEvSK_
	.p2align	8
	.type	_ZN7rocprim17ROCPRIM_400000_NS6detail17trampoline_kernelINS0_14default_configENS1_36segmented_radix_sort_config_selectorIalEEZNS1_25segmented_radix_sort_implIS3_Lb0EPKaPaPKlPlN2at6native12_GLOBAL__N_18offset_tEEE10hipError_tPvRmT1_PNSt15iterator_traitsISK_E10value_typeET2_T3_PNSL_ISQ_E10value_typeET4_jRbjT5_SW_jjP12ihipStream_tbEUlT_E1_NS1_11comp_targetILNS1_3genE4ELNS1_11target_archE910ELNS1_3gpuE8ELNS1_3repE0EEENS1_59segmented_radix_sort_warp_sort_small_config_static_selectorELNS0_4arch9wavefront6targetE1EEEvSK_,@function
_ZN7rocprim17ROCPRIM_400000_NS6detail17trampoline_kernelINS0_14default_configENS1_36segmented_radix_sort_config_selectorIalEEZNS1_25segmented_radix_sort_implIS3_Lb0EPKaPaPKlPlN2at6native12_GLOBAL__N_18offset_tEEE10hipError_tPvRmT1_PNSt15iterator_traitsISK_E10value_typeET2_T3_PNSL_ISQ_E10value_typeET4_jRbjT5_SW_jjP12ihipStream_tbEUlT_E1_NS1_11comp_targetILNS1_3genE4ELNS1_11target_archE910ELNS1_3gpuE8ELNS1_3repE0EEENS1_59segmented_radix_sort_warp_sort_small_config_static_selectorELNS0_4arch9wavefront6targetE1EEEvSK_: ; @_ZN7rocprim17ROCPRIM_400000_NS6detail17trampoline_kernelINS0_14default_configENS1_36segmented_radix_sort_config_selectorIalEEZNS1_25segmented_radix_sort_implIS3_Lb0EPKaPaPKlPlN2at6native12_GLOBAL__N_18offset_tEEE10hipError_tPvRmT1_PNSt15iterator_traitsISK_E10value_typeET2_T3_PNSL_ISQ_E10value_typeET4_jRbjT5_SW_jjP12ihipStream_tbEUlT_E1_NS1_11comp_targetILNS1_3genE4ELNS1_11target_archE910ELNS1_3gpuE8ELNS1_3repE0EEENS1_59segmented_radix_sort_warp_sort_small_config_static_selectorELNS0_4arch9wavefront6targetE1EEEvSK_
; %bb.0:
	.section	.rodata,"a",@progbits
	.p2align	6, 0x0
	.amdhsa_kernel _ZN7rocprim17ROCPRIM_400000_NS6detail17trampoline_kernelINS0_14default_configENS1_36segmented_radix_sort_config_selectorIalEEZNS1_25segmented_radix_sort_implIS3_Lb0EPKaPaPKlPlN2at6native12_GLOBAL__N_18offset_tEEE10hipError_tPvRmT1_PNSt15iterator_traitsISK_E10value_typeET2_T3_PNSL_ISQ_E10value_typeET4_jRbjT5_SW_jjP12ihipStream_tbEUlT_E1_NS1_11comp_targetILNS1_3genE4ELNS1_11target_archE910ELNS1_3gpuE8ELNS1_3repE0EEENS1_59segmented_radix_sort_warp_sort_small_config_static_selectorELNS0_4arch9wavefront6targetE1EEEvSK_
		.amdhsa_group_segment_fixed_size 0
		.amdhsa_private_segment_fixed_size 0
		.amdhsa_kernarg_size 88
		.amdhsa_user_sgpr_count 6
		.amdhsa_user_sgpr_private_segment_buffer 1
		.amdhsa_user_sgpr_dispatch_ptr 0
		.amdhsa_user_sgpr_queue_ptr 0
		.amdhsa_user_sgpr_kernarg_segment_ptr 1
		.amdhsa_user_sgpr_dispatch_id 0
		.amdhsa_user_sgpr_flat_scratch_init 0
		.amdhsa_user_sgpr_private_segment_size 0
		.amdhsa_uses_dynamic_stack 0
		.amdhsa_system_sgpr_private_segment_wavefront_offset 0
		.amdhsa_system_sgpr_workgroup_id_x 1
		.amdhsa_system_sgpr_workgroup_id_y 0
		.amdhsa_system_sgpr_workgroup_id_z 0
		.amdhsa_system_sgpr_workgroup_info 0
		.amdhsa_system_vgpr_workitem_id 0
		.amdhsa_next_free_vgpr 1
		.amdhsa_next_free_sgpr 0
		.amdhsa_reserve_vcc 0
		.amdhsa_reserve_flat_scratch 0
		.amdhsa_float_round_mode_32 0
		.amdhsa_float_round_mode_16_64 0
		.amdhsa_float_denorm_mode_32 3
		.amdhsa_float_denorm_mode_16_64 3
		.amdhsa_dx10_clamp 1
		.amdhsa_ieee_mode 1
		.amdhsa_fp16_overflow 0
		.amdhsa_exception_fp_ieee_invalid_op 0
		.amdhsa_exception_fp_denorm_src 0
		.amdhsa_exception_fp_ieee_div_zero 0
		.amdhsa_exception_fp_ieee_overflow 0
		.amdhsa_exception_fp_ieee_underflow 0
		.amdhsa_exception_fp_ieee_inexact 0
		.amdhsa_exception_int_div_zero 0
	.end_amdhsa_kernel
	.section	.text._ZN7rocprim17ROCPRIM_400000_NS6detail17trampoline_kernelINS0_14default_configENS1_36segmented_radix_sort_config_selectorIalEEZNS1_25segmented_radix_sort_implIS3_Lb0EPKaPaPKlPlN2at6native12_GLOBAL__N_18offset_tEEE10hipError_tPvRmT1_PNSt15iterator_traitsISK_E10value_typeET2_T3_PNSL_ISQ_E10value_typeET4_jRbjT5_SW_jjP12ihipStream_tbEUlT_E1_NS1_11comp_targetILNS1_3genE4ELNS1_11target_archE910ELNS1_3gpuE8ELNS1_3repE0EEENS1_59segmented_radix_sort_warp_sort_small_config_static_selectorELNS0_4arch9wavefront6targetE1EEEvSK_,"axG",@progbits,_ZN7rocprim17ROCPRIM_400000_NS6detail17trampoline_kernelINS0_14default_configENS1_36segmented_radix_sort_config_selectorIalEEZNS1_25segmented_radix_sort_implIS3_Lb0EPKaPaPKlPlN2at6native12_GLOBAL__N_18offset_tEEE10hipError_tPvRmT1_PNSt15iterator_traitsISK_E10value_typeET2_T3_PNSL_ISQ_E10value_typeET4_jRbjT5_SW_jjP12ihipStream_tbEUlT_E1_NS1_11comp_targetILNS1_3genE4ELNS1_11target_archE910ELNS1_3gpuE8ELNS1_3repE0EEENS1_59segmented_radix_sort_warp_sort_small_config_static_selectorELNS0_4arch9wavefront6targetE1EEEvSK_,comdat
.Lfunc_end415:
	.size	_ZN7rocprim17ROCPRIM_400000_NS6detail17trampoline_kernelINS0_14default_configENS1_36segmented_radix_sort_config_selectorIalEEZNS1_25segmented_radix_sort_implIS3_Lb0EPKaPaPKlPlN2at6native12_GLOBAL__N_18offset_tEEE10hipError_tPvRmT1_PNSt15iterator_traitsISK_E10value_typeET2_T3_PNSL_ISQ_E10value_typeET4_jRbjT5_SW_jjP12ihipStream_tbEUlT_E1_NS1_11comp_targetILNS1_3genE4ELNS1_11target_archE910ELNS1_3gpuE8ELNS1_3repE0EEENS1_59segmented_radix_sort_warp_sort_small_config_static_selectorELNS0_4arch9wavefront6targetE1EEEvSK_, .Lfunc_end415-_ZN7rocprim17ROCPRIM_400000_NS6detail17trampoline_kernelINS0_14default_configENS1_36segmented_radix_sort_config_selectorIalEEZNS1_25segmented_radix_sort_implIS3_Lb0EPKaPaPKlPlN2at6native12_GLOBAL__N_18offset_tEEE10hipError_tPvRmT1_PNSt15iterator_traitsISK_E10value_typeET2_T3_PNSL_ISQ_E10value_typeET4_jRbjT5_SW_jjP12ihipStream_tbEUlT_E1_NS1_11comp_targetILNS1_3genE4ELNS1_11target_archE910ELNS1_3gpuE8ELNS1_3repE0EEENS1_59segmented_radix_sort_warp_sort_small_config_static_selectorELNS0_4arch9wavefront6targetE1EEEvSK_
                                        ; -- End function
	.set _ZN7rocprim17ROCPRIM_400000_NS6detail17trampoline_kernelINS0_14default_configENS1_36segmented_radix_sort_config_selectorIalEEZNS1_25segmented_radix_sort_implIS3_Lb0EPKaPaPKlPlN2at6native12_GLOBAL__N_18offset_tEEE10hipError_tPvRmT1_PNSt15iterator_traitsISK_E10value_typeET2_T3_PNSL_ISQ_E10value_typeET4_jRbjT5_SW_jjP12ihipStream_tbEUlT_E1_NS1_11comp_targetILNS1_3genE4ELNS1_11target_archE910ELNS1_3gpuE8ELNS1_3repE0EEENS1_59segmented_radix_sort_warp_sort_small_config_static_selectorELNS0_4arch9wavefront6targetE1EEEvSK_.num_vgpr, 0
	.set _ZN7rocprim17ROCPRIM_400000_NS6detail17trampoline_kernelINS0_14default_configENS1_36segmented_radix_sort_config_selectorIalEEZNS1_25segmented_radix_sort_implIS3_Lb0EPKaPaPKlPlN2at6native12_GLOBAL__N_18offset_tEEE10hipError_tPvRmT1_PNSt15iterator_traitsISK_E10value_typeET2_T3_PNSL_ISQ_E10value_typeET4_jRbjT5_SW_jjP12ihipStream_tbEUlT_E1_NS1_11comp_targetILNS1_3genE4ELNS1_11target_archE910ELNS1_3gpuE8ELNS1_3repE0EEENS1_59segmented_radix_sort_warp_sort_small_config_static_selectorELNS0_4arch9wavefront6targetE1EEEvSK_.num_agpr, 0
	.set _ZN7rocprim17ROCPRIM_400000_NS6detail17trampoline_kernelINS0_14default_configENS1_36segmented_radix_sort_config_selectorIalEEZNS1_25segmented_radix_sort_implIS3_Lb0EPKaPaPKlPlN2at6native12_GLOBAL__N_18offset_tEEE10hipError_tPvRmT1_PNSt15iterator_traitsISK_E10value_typeET2_T3_PNSL_ISQ_E10value_typeET4_jRbjT5_SW_jjP12ihipStream_tbEUlT_E1_NS1_11comp_targetILNS1_3genE4ELNS1_11target_archE910ELNS1_3gpuE8ELNS1_3repE0EEENS1_59segmented_radix_sort_warp_sort_small_config_static_selectorELNS0_4arch9wavefront6targetE1EEEvSK_.numbered_sgpr, 0
	.set _ZN7rocprim17ROCPRIM_400000_NS6detail17trampoline_kernelINS0_14default_configENS1_36segmented_radix_sort_config_selectorIalEEZNS1_25segmented_radix_sort_implIS3_Lb0EPKaPaPKlPlN2at6native12_GLOBAL__N_18offset_tEEE10hipError_tPvRmT1_PNSt15iterator_traitsISK_E10value_typeET2_T3_PNSL_ISQ_E10value_typeET4_jRbjT5_SW_jjP12ihipStream_tbEUlT_E1_NS1_11comp_targetILNS1_3genE4ELNS1_11target_archE910ELNS1_3gpuE8ELNS1_3repE0EEENS1_59segmented_radix_sort_warp_sort_small_config_static_selectorELNS0_4arch9wavefront6targetE1EEEvSK_.num_named_barrier, 0
	.set _ZN7rocprim17ROCPRIM_400000_NS6detail17trampoline_kernelINS0_14default_configENS1_36segmented_radix_sort_config_selectorIalEEZNS1_25segmented_radix_sort_implIS3_Lb0EPKaPaPKlPlN2at6native12_GLOBAL__N_18offset_tEEE10hipError_tPvRmT1_PNSt15iterator_traitsISK_E10value_typeET2_T3_PNSL_ISQ_E10value_typeET4_jRbjT5_SW_jjP12ihipStream_tbEUlT_E1_NS1_11comp_targetILNS1_3genE4ELNS1_11target_archE910ELNS1_3gpuE8ELNS1_3repE0EEENS1_59segmented_radix_sort_warp_sort_small_config_static_selectorELNS0_4arch9wavefront6targetE1EEEvSK_.private_seg_size, 0
	.set _ZN7rocprim17ROCPRIM_400000_NS6detail17trampoline_kernelINS0_14default_configENS1_36segmented_radix_sort_config_selectorIalEEZNS1_25segmented_radix_sort_implIS3_Lb0EPKaPaPKlPlN2at6native12_GLOBAL__N_18offset_tEEE10hipError_tPvRmT1_PNSt15iterator_traitsISK_E10value_typeET2_T3_PNSL_ISQ_E10value_typeET4_jRbjT5_SW_jjP12ihipStream_tbEUlT_E1_NS1_11comp_targetILNS1_3genE4ELNS1_11target_archE910ELNS1_3gpuE8ELNS1_3repE0EEENS1_59segmented_radix_sort_warp_sort_small_config_static_selectorELNS0_4arch9wavefront6targetE1EEEvSK_.uses_vcc, 0
	.set _ZN7rocprim17ROCPRIM_400000_NS6detail17trampoline_kernelINS0_14default_configENS1_36segmented_radix_sort_config_selectorIalEEZNS1_25segmented_radix_sort_implIS3_Lb0EPKaPaPKlPlN2at6native12_GLOBAL__N_18offset_tEEE10hipError_tPvRmT1_PNSt15iterator_traitsISK_E10value_typeET2_T3_PNSL_ISQ_E10value_typeET4_jRbjT5_SW_jjP12ihipStream_tbEUlT_E1_NS1_11comp_targetILNS1_3genE4ELNS1_11target_archE910ELNS1_3gpuE8ELNS1_3repE0EEENS1_59segmented_radix_sort_warp_sort_small_config_static_selectorELNS0_4arch9wavefront6targetE1EEEvSK_.uses_flat_scratch, 0
	.set _ZN7rocprim17ROCPRIM_400000_NS6detail17trampoline_kernelINS0_14default_configENS1_36segmented_radix_sort_config_selectorIalEEZNS1_25segmented_radix_sort_implIS3_Lb0EPKaPaPKlPlN2at6native12_GLOBAL__N_18offset_tEEE10hipError_tPvRmT1_PNSt15iterator_traitsISK_E10value_typeET2_T3_PNSL_ISQ_E10value_typeET4_jRbjT5_SW_jjP12ihipStream_tbEUlT_E1_NS1_11comp_targetILNS1_3genE4ELNS1_11target_archE910ELNS1_3gpuE8ELNS1_3repE0EEENS1_59segmented_radix_sort_warp_sort_small_config_static_selectorELNS0_4arch9wavefront6targetE1EEEvSK_.has_dyn_sized_stack, 0
	.set _ZN7rocprim17ROCPRIM_400000_NS6detail17trampoline_kernelINS0_14default_configENS1_36segmented_radix_sort_config_selectorIalEEZNS1_25segmented_radix_sort_implIS3_Lb0EPKaPaPKlPlN2at6native12_GLOBAL__N_18offset_tEEE10hipError_tPvRmT1_PNSt15iterator_traitsISK_E10value_typeET2_T3_PNSL_ISQ_E10value_typeET4_jRbjT5_SW_jjP12ihipStream_tbEUlT_E1_NS1_11comp_targetILNS1_3genE4ELNS1_11target_archE910ELNS1_3gpuE8ELNS1_3repE0EEENS1_59segmented_radix_sort_warp_sort_small_config_static_selectorELNS0_4arch9wavefront6targetE1EEEvSK_.has_recursion, 0
	.set _ZN7rocprim17ROCPRIM_400000_NS6detail17trampoline_kernelINS0_14default_configENS1_36segmented_radix_sort_config_selectorIalEEZNS1_25segmented_radix_sort_implIS3_Lb0EPKaPaPKlPlN2at6native12_GLOBAL__N_18offset_tEEE10hipError_tPvRmT1_PNSt15iterator_traitsISK_E10value_typeET2_T3_PNSL_ISQ_E10value_typeET4_jRbjT5_SW_jjP12ihipStream_tbEUlT_E1_NS1_11comp_targetILNS1_3genE4ELNS1_11target_archE910ELNS1_3gpuE8ELNS1_3repE0EEENS1_59segmented_radix_sort_warp_sort_small_config_static_selectorELNS0_4arch9wavefront6targetE1EEEvSK_.has_indirect_call, 0
	.section	.AMDGPU.csdata,"",@progbits
; Kernel info:
; codeLenInByte = 0
; TotalNumSgprs: 4
; NumVgprs: 0
; ScratchSize: 0
; MemoryBound: 0
; FloatMode: 240
; IeeeMode: 1
; LDSByteSize: 0 bytes/workgroup (compile time only)
; SGPRBlocks: 0
; VGPRBlocks: 0
; NumSGPRsForWavesPerEU: 4
; NumVGPRsForWavesPerEU: 1
; Occupancy: 10
; WaveLimiterHint : 0
; COMPUTE_PGM_RSRC2:SCRATCH_EN: 0
; COMPUTE_PGM_RSRC2:USER_SGPR: 6
; COMPUTE_PGM_RSRC2:TRAP_HANDLER: 0
; COMPUTE_PGM_RSRC2:TGID_X_EN: 1
; COMPUTE_PGM_RSRC2:TGID_Y_EN: 0
; COMPUTE_PGM_RSRC2:TGID_Z_EN: 0
; COMPUTE_PGM_RSRC2:TIDIG_COMP_CNT: 0
	.section	.text._ZN7rocprim17ROCPRIM_400000_NS6detail17trampoline_kernelINS0_14default_configENS1_36segmented_radix_sort_config_selectorIalEEZNS1_25segmented_radix_sort_implIS3_Lb0EPKaPaPKlPlN2at6native12_GLOBAL__N_18offset_tEEE10hipError_tPvRmT1_PNSt15iterator_traitsISK_E10value_typeET2_T3_PNSL_ISQ_E10value_typeET4_jRbjT5_SW_jjP12ihipStream_tbEUlT_E1_NS1_11comp_targetILNS1_3genE3ELNS1_11target_archE908ELNS1_3gpuE7ELNS1_3repE0EEENS1_59segmented_radix_sort_warp_sort_small_config_static_selectorELNS0_4arch9wavefront6targetE1EEEvSK_,"axG",@progbits,_ZN7rocprim17ROCPRIM_400000_NS6detail17trampoline_kernelINS0_14default_configENS1_36segmented_radix_sort_config_selectorIalEEZNS1_25segmented_radix_sort_implIS3_Lb0EPKaPaPKlPlN2at6native12_GLOBAL__N_18offset_tEEE10hipError_tPvRmT1_PNSt15iterator_traitsISK_E10value_typeET2_T3_PNSL_ISQ_E10value_typeET4_jRbjT5_SW_jjP12ihipStream_tbEUlT_E1_NS1_11comp_targetILNS1_3genE3ELNS1_11target_archE908ELNS1_3gpuE7ELNS1_3repE0EEENS1_59segmented_radix_sort_warp_sort_small_config_static_selectorELNS0_4arch9wavefront6targetE1EEEvSK_,comdat
	.globl	_ZN7rocprim17ROCPRIM_400000_NS6detail17trampoline_kernelINS0_14default_configENS1_36segmented_radix_sort_config_selectorIalEEZNS1_25segmented_radix_sort_implIS3_Lb0EPKaPaPKlPlN2at6native12_GLOBAL__N_18offset_tEEE10hipError_tPvRmT1_PNSt15iterator_traitsISK_E10value_typeET2_T3_PNSL_ISQ_E10value_typeET4_jRbjT5_SW_jjP12ihipStream_tbEUlT_E1_NS1_11comp_targetILNS1_3genE3ELNS1_11target_archE908ELNS1_3gpuE7ELNS1_3repE0EEENS1_59segmented_radix_sort_warp_sort_small_config_static_selectorELNS0_4arch9wavefront6targetE1EEEvSK_ ; -- Begin function _ZN7rocprim17ROCPRIM_400000_NS6detail17trampoline_kernelINS0_14default_configENS1_36segmented_radix_sort_config_selectorIalEEZNS1_25segmented_radix_sort_implIS3_Lb0EPKaPaPKlPlN2at6native12_GLOBAL__N_18offset_tEEE10hipError_tPvRmT1_PNSt15iterator_traitsISK_E10value_typeET2_T3_PNSL_ISQ_E10value_typeET4_jRbjT5_SW_jjP12ihipStream_tbEUlT_E1_NS1_11comp_targetILNS1_3genE3ELNS1_11target_archE908ELNS1_3gpuE7ELNS1_3repE0EEENS1_59segmented_radix_sort_warp_sort_small_config_static_selectorELNS0_4arch9wavefront6targetE1EEEvSK_
	.p2align	8
	.type	_ZN7rocprim17ROCPRIM_400000_NS6detail17trampoline_kernelINS0_14default_configENS1_36segmented_radix_sort_config_selectorIalEEZNS1_25segmented_radix_sort_implIS3_Lb0EPKaPaPKlPlN2at6native12_GLOBAL__N_18offset_tEEE10hipError_tPvRmT1_PNSt15iterator_traitsISK_E10value_typeET2_T3_PNSL_ISQ_E10value_typeET4_jRbjT5_SW_jjP12ihipStream_tbEUlT_E1_NS1_11comp_targetILNS1_3genE3ELNS1_11target_archE908ELNS1_3gpuE7ELNS1_3repE0EEENS1_59segmented_radix_sort_warp_sort_small_config_static_selectorELNS0_4arch9wavefront6targetE1EEEvSK_,@function
_ZN7rocprim17ROCPRIM_400000_NS6detail17trampoline_kernelINS0_14default_configENS1_36segmented_radix_sort_config_selectorIalEEZNS1_25segmented_radix_sort_implIS3_Lb0EPKaPaPKlPlN2at6native12_GLOBAL__N_18offset_tEEE10hipError_tPvRmT1_PNSt15iterator_traitsISK_E10value_typeET2_T3_PNSL_ISQ_E10value_typeET4_jRbjT5_SW_jjP12ihipStream_tbEUlT_E1_NS1_11comp_targetILNS1_3genE3ELNS1_11target_archE908ELNS1_3gpuE7ELNS1_3repE0EEENS1_59segmented_radix_sort_warp_sort_small_config_static_selectorELNS0_4arch9wavefront6targetE1EEEvSK_: ; @_ZN7rocprim17ROCPRIM_400000_NS6detail17trampoline_kernelINS0_14default_configENS1_36segmented_radix_sort_config_selectorIalEEZNS1_25segmented_radix_sort_implIS3_Lb0EPKaPaPKlPlN2at6native12_GLOBAL__N_18offset_tEEE10hipError_tPvRmT1_PNSt15iterator_traitsISK_E10value_typeET2_T3_PNSL_ISQ_E10value_typeET4_jRbjT5_SW_jjP12ihipStream_tbEUlT_E1_NS1_11comp_targetILNS1_3genE3ELNS1_11target_archE908ELNS1_3gpuE7ELNS1_3repE0EEENS1_59segmented_radix_sort_warp_sort_small_config_static_selectorELNS0_4arch9wavefront6targetE1EEEvSK_
; %bb.0:
	.section	.rodata,"a",@progbits
	.p2align	6, 0x0
	.amdhsa_kernel _ZN7rocprim17ROCPRIM_400000_NS6detail17trampoline_kernelINS0_14default_configENS1_36segmented_radix_sort_config_selectorIalEEZNS1_25segmented_radix_sort_implIS3_Lb0EPKaPaPKlPlN2at6native12_GLOBAL__N_18offset_tEEE10hipError_tPvRmT1_PNSt15iterator_traitsISK_E10value_typeET2_T3_PNSL_ISQ_E10value_typeET4_jRbjT5_SW_jjP12ihipStream_tbEUlT_E1_NS1_11comp_targetILNS1_3genE3ELNS1_11target_archE908ELNS1_3gpuE7ELNS1_3repE0EEENS1_59segmented_radix_sort_warp_sort_small_config_static_selectorELNS0_4arch9wavefront6targetE1EEEvSK_
		.amdhsa_group_segment_fixed_size 0
		.amdhsa_private_segment_fixed_size 0
		.amdhsa_kernarg_size 88
		.amdhsa_user_sgpr_count 6
		.amdhsa_user_sgpr_private_segment_buffer 1
		.amdhsa_user_sgpr_dispatch_ptr 0
		.amdhsa_user_sgpr_queue_ptr 0
		.amdhsa_user_sgpr_kernarg_segment_ptr 1
		.amdhsa_user_sgpr_dispatch_id 0
		.amdhsa_user_sgpr_flat_scratch_init 0
		.amdhsa_user_sgpr_private_segment_size 0
		.amdhsa_uses_dynamic_stack 0
		.amdhsa_system_sgpr_private_segment_wavefront_offset 0
		.amdhsa_system_sgpr_workgroup_id_x 1
		.amdhsa_system_sgpr_workgroup_id_y 0
		.amdhsa_system_sgpr_workgroup_id_z 0
		.amdhsa_system_sgpr_workgroup_info 0
		.amdhsa_system_vgpr_workitem_id 0
		.amdhsa_next_free_vgpr 1
		.amdhsa_next_free_sgpr 0
		.amdhsa_reserve_vcc 0
		.amdhsa_reserve_flat_scratch 0
		.amdhsa_float_round_mode_32 0
		.amdhsa_float_round_mode_16_64 0
		.amdhsa_float_denorm_mode_32 3
		.amdhsa_float_denorm_mode_16_64 3
		.amdhsa_dx10_clamp 1
		.amdhsa_ieee_mode 1
		.amdhsa_fp16_overflow 0
		.amdhsa_exception_fp_ieee_invalid_op 0
		.amdhsa_exception_fp_denorm_src 0
		.amdhsa_exception_fp_ieee_div_zero 0
		.amdhsa_exception_fp_ieee_overflow 0
		.amdhsa_exception_fp_ieee_underflow 0
		.amdhsa_exception_fp_ieee_inexact 0
		.amdhsa_exception_int_div_zero 0
	.end_amdhsa_kernel
	.section	.text._ZN7rocprim17ROCPRIM_400000_NS6detail17trampoline_kernelINS0_14default_configENS1_36segmented_radix_sort_config_selectorIalEEZNS1_25segmented_radix_sort_implIS3_Lb0EPKaPaPKlPlN2at6native12_GLOBAL__N_18offset_tEEE10hipError_tPvRmT1_PNSt15iterator_traitsISK_E10value_typeET2_T3_PNSL_ISQ_E10value_typeET4_jRbjT5_SW_jjP12ihipStream_tbEUlT_E1_NS1_11comp_targetILNS1_3genE3ELNS1_11target_archE908ELNS1_3gpuE7ELNS1_3repE0EEENS1_59segmented_radix_sort_warp_sort_small_config_static_selectorELNS0_4arch9wavefront6targetE1EEEvSK_,"axG",@progbits,_ZN7rocprim17ROCPRIM_400000_NS6detail17trampoline_kernelINS0_14default_configENS1_36segmented_radix_sort_config_selectorIalEEZNS1_25segmented_radix_sort_implIS3_Lb0EPKaPaPKlPlN2at6native12_GLOBAL__N_18offset_tEEE10hipError_tPvRmT1_PNSt15iterator_traitsISK_E10value_typeET2_T3_PNSL_ISQ_E10value_typeET4_jRbjT5_SW_jjP12ihipStream_tbEUlT_E1_NS1_11comp_targetILNS1_3genE3ELNS1_11target_archE908ELNS1_3gpuE7ELNS1_3repE0EEENS1_59segmented_radix_sort_warp_sort_small_config_static_selectorELNS0_4arch9wavefront6targetE1EEEvSK_,comdat
.Lfunc_end416:
	.size	_ZN7rocprim17ROCPRIM_400000_NS6detail17trampoline_kernelINS0_14default_configENS1_36segmented_radix_sort_config_selectorIalEEZNS1_25segmented_radix_sort_implIS3_Lb0EPKaPaPKlPlN2at6native12_GLOBAL__N_18offset_tEEE10hipError_tPvRmT1_PNSt15iterator_traitsISK_E10value_typeET2_T3_PNSL_ISQ_E10value_typeET4_jRbjT5_SW_jjP12ihipStream_tbEUlT_E1_NS1_11comp_targetILNS1_3genE3ELNS1_11target_archE908ELNS1_3gpuE7ELNS1_3repE0EEENS1_59segmented_radix_sort_warp_sort_small_config_static_selectorELNS0_4arch9wavefront6targetE1EEEvSK_, .Lfunc_end416-_ZN7rocprim17ROCPRIM_400000_NS6detail17trampoline_kernelINS0_14default_configENS1_36segmented_radix_sort_config_selectorIalEEZNS1_25segmented_radix_sort_implIS3_Lb0EPKaPaPKlPlN2at6native12_GLOBAL__N_18offset_tEEE10hipError_tPvRmT1_PNSt15iterator_traitsISK_E10value_typeET2_T3_PNSL_ISQ_E10value_typeET4_jRbjT5_SW_jjP12ihipStream_tbEUlT_E1_NS1_11comp_targetILNS1_3genE3ELNS1_11target_archE908ELNS1_3gpuE7ELNS1_3repE0EEENS1_59segmented_radix_sort_warp_sort_small_config_static_selectorELNS0_4arch9wavefront6targetE1EEEvSK_
                                        ; -- End function
	.set _ZN7rocprim17ROCPRIM_400000_NS6detail17trampoline_kernelINS0_14default_configENS1_36segmented_radix_sort_config_selectorIalEEZNS1_25segmented_radix_sort_implIS3_Lb0EPKaPaPKlPlN2at6native12_GLOBAL__N_18offset_tEEE10hipError_tPvRmT1_PNSt15iterator_traitsISK_E10value_typeET2_T3_PNSL_ISQ_E10value_typeET4_jRbjT5_SW_jjP12ihipStream_tbEUlT_E1_NS1_11comp_targetILNS1_3genE3ELNS1_11target_archE908ELNS1_3gpuE7ELNS1_3repE0EEENS1_59segmented_radix_sort_warp_sort_small_config_static_selectorELNS0_4arch9wavefront6targetE1EEEvSK_.num_vgpr, 0
	.set _ZN7rocprim17ROCPRIM_400000_NS6detail17trampoline_kernelINS0_14default_configENS1_36segmented_radix_sort_config_selectorIalEEZNS1_25segmented_radix_sort_implIS3_Lb0EPKaPaPKlPlN2at6native12_GLOBAL__N_18offset_tEEE10hipError_tPvRmT1_PNSt15iterator_traitsISK_E10value_typeET2_T3_PNSL_ISQ_E10value_typeET4_jRbjT5_SW_jjP12ihipStream_tbEUlT_E1_NS1_11comp_targetILNS1_3genE3ELNS1_11target_archE908ELNS1_3gpuE7ELNS1_3repE0EEENS1_59segmented_radix_sort_warp_sort_small_config_static_selectorELNS0_4arch9wavefront6targetE1EEEvSK_.num_agpr, 0
	.set _ZN7rocprim17ROCPRIM_400000_NS6detail17trampoline_kernelINS0_14default_configENS1_36segmented_radix_sort_config_selectorIalEEZNS1_25segmented_radix_sort_implIS3_Lb0EPKaPaPKlPlN2at6native12_GLOBAL__N_18offset_tEEE10hipError_tPvRmT1_PNSt15iterator_traitsISK_E10value_typeET2_T3_PNSL_ISQ_E10value_typeET4_jRbjT5_SW_jjP12ihipStream_tbEUlT_E1_NS1_11comp_targetILNS1_3genE3ELNS1_11target_archE908ELNS1_3gpuE7ELNS1_3repE0EEENS1_59segmented_radix_sort_warp_sort_small_config_static_selectorELNS0_4arch9wavefront6targetE1EEEvSK_.numbered_sgpr, 0
	.set _ZN7rocprim17ROCPRIM_400000_NS6detail17trampoline_kernelINS0_14default_configENS1_36segmented_radix_sort_config_selectorIalEEZNS1_25segmented_radix_sort_implIS3_Lb0EPKaPaPKlPlN2at6native12_GLOBAL__N_18offset_tEEE10hipError_tPvRmT1_PNSt15iterator_traitsISK_E10value_typeET2_T3_PNSL_ISQ_E10value_typeET4_jRbjT5_SW_jjP12ihipStream_tbEUlT_E1_NS1_11comp_targetILNS1_3genE3ELNS1_11target_archE908ELNS1_3gpuE7ELNS1_3repE0EEENS1_59segmented_radix_sort_warp_sort_small_config_static_selectorELNS0_4arch9wavefront6targetE1EEEvSK_.num_named_barrier, 0
	.set _ZN7rocprim17ROCPRIM_400000_NS6detail17trampoline_kernelINS0_14default_configENS1_36segmented_radix_sort_config_selectorIalEEZNS1_25segmented_radix_sort_implIS3_Lb0EPKaPaPKlPlN2at6native12_GLOBAL__N_18offset_tEEE10hipError_tPvRmT1_PNSt15iterator_traitsISK_E10value_typeET2_T3_PNSL_ISQ_E10value_typeET4_jRbjT5_SW_jjP12ihipStream_tbEUlT_E1_NS1_11comp_targetILNS1_3genE3ELNS1_11target_archE908ELNS1_3gpuE7ELNS1_3repE0EEENS1_59segmented_radix_sort_warp_sort_small_config_static_selectorELNS0_4arch9wavefront6targetE1EEEvSK_.private_seg_size, 0
	.set _ZN7rocprim17ROCPRIM_400000_NS6detail17trampoline_kernelINS0_14default_configENS1_36segmented_radix_sort_config_selectorIalEEZNS1_25segmented_radix_sort_implIS3_Lb0EPKaPaPKlPlN2at6native12_GLOBAL__N_18offset_tEEE10hipError_tPvRmT1_PNSt15iterator_traitsISK_E10value_typeET2_T3_PNSL_ISQ_E10value_typeET4_jRbjT5_SW_jjP12ihipStream_tbEUlT_E1_NS1_11comp_targetILNS1_3genE3ELNS1_11target_archE908ELNS1_3gpuE7ELNS1_3repE0EEENS1_59segmented_radix_sort_warp_sort_small_config_static_selectorELNS0_4arch9wavefront6targetE1EEEvSK_.uses_vcc, 0
	.set _ZN7rocprim17ROCPRIM_400000_NS6detail17trampoline_kernelINS0_14default_configENS1_36segmented_radix_sort_config_selectorIalEEZNS1_25segmented_radix_sort_implIS3_Lb0EPKaPaPKlPlN2at6native12_GLOBAL__N_18offset_tEEE10hipError_tPvRmT1_PNSt15iterator_traitsISK_E10value_typeET2_T3_PNSL_ISQ_E10value_typeET4_jRbjT5_SW_jjP12ihipStream_tbEUlT_E1_NS1_11comp_targetILNS1_3genE3ELNS1_11target_archE908ELNS1_3gpuE7ELNS1_3repE0EEENS1_59segmented_radix_sort_warp_sort_small_config_static_selectorELNS0_4arch9wavefront6targetE1EEEvSK_.uses_flat_scratch, 0
	.set _ZN7rocprim17ROCPRIM_400000_NS6detail17trampoline_kernelINS0_14default_configENS1_36segmented_radix_sort_config_selectorIalEEZNS1_25segmented_radix_sort_implIS3_Lb0EPKaPaPKlPlN2at6native12_GLOBAL__N_18offset_tEEE10hipError_tPvRmT1_PNSt15iterator_traitsISK_E10value_typeET2_T3_PNSL_ISQ_E10value_typeET4_jRbjT5_SW_jjP12ihipStream_tbEUlT_E1_NS1_11comp_targetILNS1_3genE3ELNS1_11target_archE908ELNS1_3gpuE7ELNS1_3repE0EEENS1_59segmented_radix_sort_warp_sort_small_config_static_selectorELNS0_4arch9wavefront6targetE1EEEvSK_.has_dyn_sized_stack, 0
	.set _ZN7rocprim17ROCPRIM_400000_NS6detail17trampoline_kernelINS0_14default_configENS1_36segmented_radix_sort_config_selectorIalEEZNS1_25segmented_radix_sort_implIS3_Lb0EPKaPaPKlPlN2at6native12_GLOBAL__N_18offset_tEEE10hipError_tPvRmT1_PNSt15iterator_traitsISK_E10value_typeET2_T3_PNSL_ISQ_E10value_typeET4_jRbjT5_SW_jjP12ihipStream_tbEUlT_E1_NS1_11comp_targetILNS1_3genE3ELNS1_11target_archE908ELNS1_3gpuE7ELNS1_3repE0EEENS1_59segmented_radix_sort_warp_sort_small_config_static_selectorELNS0_4arch9wavefront6targetE1EEEvSK_.has_recursion, 0
	.set _ZN7rocprim17ROCPRIM_400000_NS6detail17trampoline_kernelINS0_14default_configENS1_36segmented_radix_sort_config_selectorIalEEZNS1_25segmented_radix_sort_implIS3_Lb0EPKaPaPKlPlN2at6native12_GLOBAL__N_18offset_tEEE10hipError_tPvRmT1_PNSt15iterator_traitsISK_E10value_typeET2_T3_PNSL_ISQ_E10value_typeET4_jRbjT5_SW_jjP12ihipStream_tbEUlT_E1_NS1_11comp_targetILNS1_3genE3ELNS1_11target_archE908ELNS1_3gpuE7ELNS1_3repE0EEENS1_59segmented_radix_sort_warp_sort_small_config_static_selectorELNS0_4arch9wavefront6targetE1EEEvSK_.has_indirect_call, 0
	.section	.AMDGPU.csdata,"",@progbits
; Kernel info:
; codeLenInByte = 0
; TotalNumSgprs: 4
; NumVgprs: 0
; ScratchSize: 0
; MemoryBound: 0
; FloatMode: 240
; IeeeMode: 1
; LDSByteSize: 0 bytes/workgroup (compile time only)
; SGPRBlocks: 0
; VGPRBlocks: 0
; NumSGPRsForWavesPerEU: 4
; NumVGPRsForWavesPerEU: 1
; Occupancy: 10
; WaveLimiterHint : 0
; COMPUTE_PGM_RSRC2:SCRATCH_EN: 0
; COMPUTE_PGM_RSRC2:USER_SGPR: 6
; COMPUTE_PGM_RSRC2:TRAP_HANDLER: 0
; COMPUTE_PGM_RSRC2:TGID_X_EN: 1
; COMPUTE_PGM_RSRC2:TGID_Y_EN: 0
; COMPUTE_PGM_RSRC2:TGID_Z_EN: 0
; COMPUTE_PGM_RSRC2:TIDIG_COMP_CNT: 0
	.text
	.p2align	2                               ; -- Begin function _ZN7rocprim17ROCPRIM_400000_NS6detail26segmented_warp_sort_helperINS1_20WarpSortHelperConfigILj8ELj4ELj256EEEalLi256ELb0EvE4sortIPKaPaPKlPlEEvT_T0_T1_T2_jjjjRNS5_12storage_typeE
	.type	_ZN7rocprim17ROCPRIM_400000_NS6detail26segmented_warp_sort_helperINS1_20WarpSortHelperConfigILj8ELj4ELj256EEEalLi256ELb0EvE4sortIPKaPaPKlPlEEvT_T0_T1_T2_jjjjRNS5_12storage_typeE,@function
_ZN7rocprim17ROCPRIM_400000_NS6detail26segmented_warp_sort_helperINS1_20WarpSortHelperConfigILj8ELj4ELj256EEEalLi256ELb0EvE4sortIPKaPaPKlPlEEvT_T0_T1_T2_jjjjRNS5_12storage_typeE: ; @_ZN7rocprim17ROCPRIM_400000_NS6detail26segmented_warp_sort_helperINS1_20WarpSortHelperConfigILj8ELj4ELj256EEEalLi256ELb0EvE4sortIPKaPaPKlPlEEvT_T0_T1_T2_jjjjRNS5_12storage_typeE
; %bb.0:
	s_waitcnt vmcnt(0) expcnt(0) lgkmcnt(0)
	v_mbcnt_lo_u32_b32 v15, -1, 0
	v_mbcnt_hi_u32_b32 v15, -1, v15
	v_add_co_u32_e32 v0, vcc, v0, v8
	v_lshlrev_b32_e32 v24, 2, v15
	v_addc_co_u32_e32 v1, vcc, 0, v1, vcc
	v_and_b32_e32 v22, 28, v24
	v_add_co_u32_e32 v0, vcc, v0, v22
	v_sub_u32_e32 v14, v9, v8
	v_addc_co_u32_e32 v1, vcc, 0, v1, vcc
	v_mov_b32_e32 v9, 0
	v_cmp_lt_u32_e32 vcc, v22, v14
	v_mov_b32_e32 v27, 0x7f
	v_mov_b32_e32 v25, 0x7f
	;; [unrolled: 1-line block ×4, first 2 shown]
	s_and_saveexec_b64 s[4:5], vcc
	s_cbranch_execz .LBB417_2
; %bb.1:
	flat_load_ubyte v25, v[0:1]
	v_mov_b32_e32 v27, 0x7f
	v_mov_b32_e32 v26, 0x7f
	;; [unrolled: 1-line block ×3, first 2 shown]
.LBB417_2:
	s_or_b64 exec, exec, s[4:5]
	v_or_b32_e32 v15, 1, v22
	v_cmp_lt_u32_e64 s[4:5], v15, v14
	s_and_saveexec_b64 s[6:7], s[4:5]
	s_cbranch_execz .LBB417_4
; %bb.3:
	flat_load_ubyte v26, v[0:1] offset:1
.LBB417_4:
	s_or_b64 exec, exec, s[6:7]
	v_or_b32_e32 v15, 2, v22
	v_cmp_lt_u32_e64 s[6:7], v15, v14
	s_and_saveexec_b64 s[10:11], s[6:7]
	s_cbranch_execz .LBB417_6
; %bb.5:
	flat_load_ubyte v28, v[0:1] offset:2
.LBB417_6:
	s_or_b64 exec, exec, s[10:11]
	v_or_b32_e32 v15, 3, v22
	v_cmp_lt_u32_e64 s[10:11], v15, v14
	s_and_saveexec_b64 s[14:15], s[10:11]
	s_cbranch_execz .LBB417_8
; %bb.7:
	flat_load_ubyte v27, v[0:1] offset:3
.LBB417_8:
	s_or_b64 exec, exec, s[14:15]
	v_lshlrev_b64 v[0:1], 3, v[8:9]
	v_lshlrev_b32_e32 v23, 3, v22
	v_add_co_u32_e64 v4, s[14:15], v4, v0
	v_addc_co_u32_e64 v5, s[14:15], v5, v1, s[14:15]
	v_add_co_u32_e64 v20, s[14:15], v4, v23
	v_addc_co_u32_e64 v21, s[14:15], 0, v5, s[14:15]
	; wave barrier
                                        ; implicit-def: $vgpr4_vgpr5
	s_and_saveexec_b64 s[14:15], vcc
	s_cbranch_execnz .LBB417_107
; %bb.9:
	s_or_b64 exec, exec, s[14:15]
                                        ; implicit-def: $vgpr14_vgpr15
	s_and_saveexec_b64 s[14:15], s[4:5]
	s_cbranch_execnz .LBB417_108
.LBB417_10:
	s_or_b64 exec, exec, s[14:15]
                                        ; implicit-def: $vgpr18_vgpr19
	s_and_saveexec_b64 s[14:15], s[6:7]
	s_cbranch_execnz .LBB417_109
.LBB417_11:
	s_or_b64 exec, exec, s[14:15]
                                        ; implicit-def: $vgpr16_vgpr17
	s_and_saveexec_b64 s[14:15], s[10:11]
	s_cbranch_execz .LBB417_13
.LBB417_12:
	flat_load_dwordx2 v[16:17], v[20:21] offset:24
.LBB417_13:
	s_or_b64 exec, exec, s[14:15]
	v_cmp_ne_u32_e64 s[14:15], 0, v10
	v_cmp_ne_u32_e64 s[16:17], 8, v11
	s_or_b64 s[14:15], s[14:15], s[16:17]
	v_bfe_u32 v9, v31, 10, 10
	v_bfe_u32 v20, v31, 20, 10
	; wave barrier
	s_and_saveexec_b64 s[16:17], s[14:15]
	s_xor_b64 s[24:25], exec, s[16:17]
	s_cbranch_execz .LBB417_55
; %bb.14:
	s_load_dwordx2 s[14:15], s[8:9], 0x0
	v_mov_b32_e32 v21, 0
	v_lshlrev_b32_e64 v11, v11, -1
	v_lshlrev_b32_e64 v10, v10, -1
	s_waitcnt lgkmcnt(0)
	s_cmp_lt_u32 s13, s15
	s_cselect_b32 s15, 14, 20
	s_add_u32 s16, s8, s15
	s_addc_u32 s17, s9, 0
	s_cmp_lt_u32 s12, s14
	s_cselect_b32 s14, 12, 18
	s_add_u32 s14, s8, s14
	s_addc_u32 s15, s9, 0
	global_load_ushort v29, v21, s[16:17]
	global_load_ushort v30, v21, s[14:15]
	s_movk_i32 s14, 0x400
	s_waitcnt vmcnt(0)
	v_mad_u32_u24 v9, v20, v29, v9
	v_mul_lo_u32 v9, v9, v30
	v_and_b32_e32 v20, 0x3ff, v31
	v_xor_b32_e32 v29, v11, v10
	v_add_lshl_u32 v11, v9, v20, 2
	v_cmp_gt_u32_e64 s[14:15], s14, v11
	s_and_saveexec_b64 s[20:21], s[14:15]
	s_cbranch_execz .LBB417_24
; %bb.15:
	s_mov_b32 s14, 0xc0c0004
	v_perm_b32 v9, v28, v27, s14
	v_lshlrev_b32_e32 v9, 16, v9
	v_perm_b32 v10, v26, v25, s14
	v_perm_b32 v20, v25, v26, s14
	v_or_b32_e32 v10, v10, v9
	v_or_b32_e32 v9, v20, v9
	v_and_b32_e32 v20, v26, v29
	v_and_b32_e32 v21, v25, v29
	v_cmp_gt_i16_sdwa s[16:17], sext(v21), sext(v20) src0_sel:BYTE_0 src1_sel:BYTE_0
	v_cndmask_b32_e64 v25, v9, v10, s[16:17]
	v_lshrrev_b32_e32 v20, 24, v25
	v_lshrrev_b32_e32 v27, 16, v25
	v_and_b32_e32 v9, v20, v29
	v_bfe_i32 v21, v9, 0, 8
	v_and_b32_e32 v9, v27, v29
	v_bfe_i32 v31, v9, 0, 8
	v_mov_b32_e32 v9, v18
	v_lshrrev_b32_e32 v26, 8, v25
	v_cmp_gt_i16_e64 s[14:15], v31, v21
	v_mov_b32_e32 v10, v19
	v_mov_b32_e32 v28, v20
	s_and_saveexec_b64 s[18:19], s[14:15]
; %bb.16:
	v_mov_b32_e32 v9, v16
	v_mov_b32_e32 v10, v17
	v_mov_b32_e32 v16, v18
	v_mov_b32_e32 v28, v27
	v_mov_b32_e32 v17, v19
	v_mov_b32_e32 v27, v20
	v_mov_b32_e32 v31, v21
; %bb.17:
	s_or_b64 exec, exec, s[18:19]
	v_cndmask_b32_e64 v20, v14, v4, s[16:17]
	v_and_b32_e32 v18, v26, v29
	v_cndmask_b32_e64 v21, v15, v5, s[16:17]
	v_bfe_i32 v30, v18, 0, 8
	v_mov_b32_e32 v18, v20
	v_cmp_gt_i16_e64 s[14:15], v30, v31
	v_mov_b32_e32 v19, v21
	s_and_saveexec_b64 s[18:19], s[14:15]
	s_xor_b64 s[14:15], exec, s[18:19]
; %bb.18:
	v_mov_b32_e32 v19, v10
	v_and_b32_e32 v30, v27, v29
	v_mov_b32_e32 v31, v26
	v_mov_b32_e32 v18, v9
	;; [unrolled: 1-line block ×3, first 2 shown]
	v_swap_b32 v26, v27
	v_mov_b32_e32 v10, v21
; %bb.19:
	s_or_b64 exec, exec, s[14:15]
	s_mov_b32 s14, 0xc0c0004
	v_perm_b32 v20, v27, v28, s14
	v_lshlrev_b32_e32 v20, 16, v20
	v_perm_b32 v21, v26, v25, s14
	v_perm_b32 v26, v25, v26, s14
	v_and_b32_e32 v25, v25, v29
	v_or_b32_e32 v21, v21, v20
	v_or_b32_e32 v20, v26, v20
	v_cmp_gt_i16_sdwa s[14:15], sext(v25), sext(v30) src0_sel:BYTE_0 src1_sel:BYTE_0
	v_cndmask_b32_e64 v25, v20, v21, s[14:15]
	v_lshrrev_b32_e32 v31, 24, v25
	v_lshrrev_b32_e32 v28, 16, v25
	v_and_b32_e32 v20, v31, v29
	v_bfe_i32 v32, v20, 0, 8
	v_and_b32_e32 v20, v28, v29
	v_bfe_i32 v30, v20, 0, 8
	v_mov_b32_e32 v21, v10
	v_lshrrev_b32_e32 v26, 8, v25
	v_cmp_gt_i16_e64 s[18:19], v30, v32
	v_mov_b32_e32 v20, v9
	v_mov_b32_e32 v27, v31
	s_and_saveexec_b64 s[22:23], s[18:19]
; %bb.20:
	v_mov_b32_e32 v21, v17
	v_mov_b32_e32 v20, v16
	;; [unrolled: 1-line block ×7, first 2 shown]
; %bb.21:
	s_or_b64 exec, exec, s[22:23]
	v_cndmask_b32_e64 v9, v4, v14, s[16:17]
	v_cndmask_b32_e64 v10, v5, v15, s[16:17]
	;; [unrolled: 1-line block ×6, first 2 shown]
	v_and_b32_e32 v9, v26, v29
	v_mov_b32_e32 v18, v20
	v_cmp_gt_i16_sdwa s[16:17], sext(v9), v30 src0_sel:BYTE_0 src1_sel:DWORD
	v_mov_b32_e32 v19, v21
	s_and_saveexec_b64 s[14:15], s[16:17]
; %bb.22:
	v_mov_b32_e32 v19, v15
	v_mov_b32_e32 v9, v26
	v_swap_b32 v26, v28
	v_mov_b32_e32 v18, v14
	v_mov_b32_e32 v14, v20
	;; [unrolled: 1-line block ×3, first 2 shown]
; %bb.23:
	s_or_b64 exec, exec, s[14:15]
.LBB417_24:
	s_or_b64 exec, exec, s[20:21]
	v_and_b32_e32 v20, 0xffffff00, v11
	v_add_co_u32_e64 v11, s[14:15], v12, v20
	v_addc_co_u32_e64 v12, s[14:15], 0, v13, s[14:15]
	v_mad_u64_u32 v[9:10], s[14:15], v20, 7, v[11:12]
	v_add_co_u32_e64 v12, s[14:15], v11, v24
	s_movk_i32 s16, 0x400
	s_mov_b32 s14, 0xc0c0004
	v_sub_u32_e64 v10, s16, v20 clamp
	v_perm_b32 v20, v25, v26, s14
	v_perm_b32 v21, v28, v27, s14
	v_lshl_add_u32 v13, v24, 3, v9
	v_lshl_or_b32 v20, v21, 16, v20
	ds_write2_b64 v13, v[4:5], v[14:15] offset0:128 offset1:129
	ds_write_b64 v13, v[18:19] offset:1040
	ds_write_b32 v12, v20
	ds_write_b64 v13, v[16:17] offset:1048
	v_or_b32_e32 v20, 4, v24
	v_min_u32_e32 v31, v10, v20
	v_add_u32_e32 v20, 4, v31
	v_and_b32_e32 v33, 0x1f8, v24
	v_min_u32_e32 v32, v10, v20
	v_and_b32_e32 v20, 4, v24
	v_min_u32_e32 v34, v10, v20
	v_sub_u32_e32 v20, v31, v33
	v_sub_u32_e32 v21, v32, v31
	v_sub_u32_e64 v35, v34, v21 clamp
	v_min_u32_e32 v20, v34, v20
	v_cmp_lt_u32_e64 s[14:15], v35, v20
	; wave barrier
	s_and_saveexec_b64 s[16:17], s[14:15]
	s_cbranch_execz .LBB417_28
; %bb.25:
	v_add_co_u32_e64 v21, s[14:15], v11, v33
	v_add_co_u32_e64 v30, s[14:15], v11, v31
	s_mov_b64 s[18:19], 0
.LBB417_26:                             ; =>This Inner Loop Header: Depth=1
	v_add_u32_e32 v36, v20, v35
	v_lshrrev_b32_e32 v36, 1, v36
	v_not_b32_e32 v37, v36
	v_add_u32_e32 v38, v21, v36
	v_add3_u32 v37, v34, v37, v30
	ds_read_u8 v38, v38
	ds_read_u8 v37, v37
	v_add_u32_e32 v39, 1, v36
	s_waitcnt lgkmcnt(1)
	v_and_b32_e32 v38, v38, v29
	s_waitcnt lgkmcnt(0)
	v_and_b32_e32 v37, v37, v29
	v_cmp_gt_i16_sdwa s[14:15], sext(v38), sext(v37) src0_sel:BYTE_0 src1_sel:BYTE_0
	v_cndmask_b32_e64 v20, v20, v36, s[14:15]
	v_cndmask_b32_e64 v35, v39, v35, s[14:15]
	v_cmp_ge_u32_e64 s[14:15], v35, v20
	s_or_b64 s[18:19], s[14:15], s[18:19]
	s_andn2_b64 exec, exec, s[18:19]
	s_cbranch_execnz .LBB417_26
; %bb.27:
	s_or_b64 exec, exec, s[18:19]
.LBB417_28:
	s_or_b64 exec, exec, s[16:17]
	v_add_u32_e32 v34, v31, v34
	v_add_u32_e32 v33, v35, v33
	v_sub_u32_e32 v34, v34, v35
	v_cmp_le_u32_e64 s[14:15], v33, v31
	v_cmp_le_u32_e64 s[16:17], v34, v32
	v_add_u32_e32 v30, 0x400, v13
	v_add_u32_e32 v21, 0x408, v13
	;; [unrolled: 1-line block ×4, first 2 shown]
	s_or_b64 s[14:15], s[14:15], s[16:17]
	s_and_saveexec_b64 s[26:27], s[14:15]
	s_cbranch_execz .LBB417_34
; %bb.29:
	v_cmp_lt_u32_e64 s[16:17], v33, v31
                                        ; implicit-def: $vgpr25
	s_and_saveexec_b64 s[14:15], s[16:17]
; %bb.30:
	v_add_u32_e32 v4, v11, v33
	ds_read_u8 v25, v4
; %bb.31:
	s_or_b64 exec, exec, s[14:15]
	v_cmp_ge_u32_e64 s[14:15], v34, v32
	v_cmp_lt_u32_e64 s[18:19], v34, v32
                                        ; implicit-def: $vgpr26
	s_and_saveexec_b64 s[20:21], s[18:19]
; %bb.32:
	v_add_u32_e32 v4, v11, v34
	ds_read_u8 v26, v4
; %bb.33:
	s_or_b64 exec, exec, s[20:21]
	s_waitcnt lgkmcnt(0)
	v_and_b32_e32 v4, v26, v29
	v_and_b32_e32 v5, v25, v29
	v_cmp_le_i16_sdwa s[18:19], sext(v5), sext(v4) src0_sel:BYTE_0 src1_sel:BYTE_0
	s_and_b64 s[16:17], s[16:17], s[18:19]
	s_or_b64 s[14:15], s[14:15], s[16:17]
	v_cndmask_b32_e64 v4, v34, v33, s[14:15]
	v_cndmask_b32_e64 v5, v32, v31, s[14:15]
	v_add_u32_e32 v14, 1, v4
	v_add_u32_e32 v5, -1, v5
	v_min_u32_e32 v5, v14, v5
	v_add_u32_e32 v5, v11, v5
	ds_read_u8 v5, v5
	v_cndmask_b32_e64 v15, v14, v34, s[14:15]
	v_cndmask_b32_e64 v14, v33, v14, s[14:15]
	v_cmp_lt_u32_e64 s[18:19], v14, v31
	v_cmp_ge_u32_e64 s[16:17], v15, v32
	s_waitcnt lgkmcnt(0)
	v_cndmask_b32_e64 v27, v5, v26, s[14:15]
	v_cndmask_b32_e64 v28, v25, v5, s[14:15]
	v_and_b32_e32 v5, v27, v29
	v_and_b32_e32 v16, v28, v29
	v_cmp_le_i16_sdwa s[20:21], sext(v16), sext(v5) src0_sel:BYTE_0 src1_sel:BYTE_0
	s_and_b64 s[18:19], s[18:19], s[20:21]
	s_or_b64 s[16:17], s[16:17], s[18:19]
	v_cndmask_b32_e64 v16, v15, v14, s[16:17]
	v_cndmask_b32_e64 v5, v32, v31, s[16:17]
	v_add_u32_e32 v17, 1, v16
	v_add_u32_e32 v5, -1, v5
	v_min_u32_e32 v5, v17, v5
	v_add_u32_e32 v5, v11, v5
	ds_read_u8 v18, v5
	v_cndmask_b32_e64 v35, v17, v15, s[16:17]
	v_cndmask_b32_e64 v17, v14, v17, s[16:17]
	v_cmp_lt_u32_e64 s[20:21], v17, v31
	v_cmp_ge_u32_e64 s[18:19], v35, v32
	s_waitcnt lgkmcnt(0)
	v_cndmask_b32_e64 v33, v18, v27, s[16:17]
	v_cndmask_b32_e64 v34, v28, v18, s[16:17]
	v_and_b32_e32 v14, v33, v29
	v_and_b32_e32 v15, v34, v29
	v_cmp_le_i16_sdwa s[22:23], sext(v15), sext(v14) src0_sel:BYTE_0 src1_sel:BYTE_0
	s_and_b64 s[20:21], s[20:21], s[22:23]
	s_or_b64 s[18:19], s[18:19], s[20:21]
	v_cndmask_b32_e64 v18, v35, v17, s[18:19]
	v_cndmask_b32_e64 v14, v32, v31, s[18:19]
	v_add_u32_e32 v36, 1, v18
	v_add_u32_e32 v14, -1, v14
	v_min_u32_e32 v14, v36, v14
	v_add_u32_e32 v14, v11, v14
	ds_read_u8 v37, v14
	v_lshl_add_u32 v14, v16, 3, v9
	v_lshl_add_u32 v16, v18, 3, v9
	ds_read_b64 v[18:19], v16 offset:1024
	v_cndmask_b32_e64 v16, v36, v35, s[18:19]
	s_waitcnt lgkmcnt(1)
	v_cndmask_b32_e64 v38, v37, v33, s[18:19]
	v_cndmask_b32_e64 v37, v34, v37, s[18:19]
	;; [unrolled: 1-line block ×3, first 2 shown]
	v_cmp_ge_u32_e64 s[20:21], v16, v32
	v_cmp_lt_u32_e64 s[22:23], v17, v31
	v_and_b32_e32 v31, v38, v29
	v_and_b32_e32 v32, v37, v29
	v_cmp_le_i16_sdwa s[28:29], sext(v32), sext(v31) src0_sel:BYTE_0 src1_sel:BYTE_0
	s_and_b64 s[22:23], s[22:23], s[28:29]
	s_or_b64 s[20:21], s[20:21], s[22:23]
	v_cndmask_b32_e64 v16, v16, v17, s[20:21]
	v_lshl_add_u32 v4, v4, 3, v9
	v_lshl_add_u32 v16, v16, 3, v9
	ds_read_b64 v[4:5], v4 offset:1024
	ds_read_b64 v[14:15], v14 offset:1024
	ds_read_b64 v[16:17], v16 offset:1024
	v_cndmask_b32_e64 v25, v26, v25, s[14:15]
	v_cndmask_b32_e64 v26, v27, v28, s[16:17]
	;; [unrolled: 1-line block ×4, first 2 shown]
.LBB417_34:
	s_or_b64 exec, exec, s[26:27]
	v_and_b32_e32 v36, 0x1f0, v24
	v_or_b32_e32 v31, 8, v36
	v_min_u32_e32 v31, v10, v31
	v_add_u32_e32 v32, 8, v31
	v_min_u32_e32 v32, v10, v32
	v_and_b32_e32 v33, 12, v24
	v_min_u32_e32 v37, v10, v33
	v_sub_u32_e32 v33, v31, v36
	v_sub_u32_e32 v34, v32, v31
	v_sub_u32_e64 v38, v37, v34 clamp
	v_min_u32_e32 v33, v37, v33
	v_cmp_lt_u32_e64 s[14:15], v38, v33
	; wave barrier
	ds_write_b8 v12, v25
	s_waitcnt lgkmcnt(3)
	ds_write_b64 v30, v[4:5]
	ds_write_b8 v12, v26 offset:1
	s_waitcnt lgkmcnt(4)
	ds_write_b64 v21, v[14:15]
	ds_write_b8 v12, v28 offset:2
	ds_write_b64 v20, v[18:19]
	ds_write_b8 v12, v27 offset:3
	s_waitcnt lgkmcnt(7)
	ds_write_b64 v13, v[16:17]
	; wave barrier
	s_and_saveexec_b64 s[16:17], s[14:15]
	s_cbranch_execz .LBB417_38
; %bb.35:
	v_add_co_u32_e64 v34, s[14:15], v11, v36
	v_add_co_u32_e64 v35, s[14:15], v11, v31
	s_mov_b64 s[18:19], 0
.LBB417_36:                             ; =>This Inner Loop Header: Depth=1
	v_add_u32_e32 v39, v33, v38
	v_lshrrev_b32_e32 v39, 1, v39
	v_not_b32_e32 v48, v39
	v_add_u32_e32 v49, v34, v39
	v_add3_u32 v48, v37, v48, v35
	ds_read_u8 v49, v49
	ds_read_u8 v48, v48
	v_add_u32_e32 v50, 1, v39
	s_waitcnt lgkmcnt(1)
	v_and_b32_e32 v49, v49, v29
	s_waitcnt lgkmcnt(0)
	v_and_b32_e32 v48, v48, v29
	v_cmp_gt_i16_sdwa s[14:15], sext(v49), sext(v48) src0_sel:BYTE_0 src1_sel:BYTE_0
	v_cndmask_b32_e64 v33, v33, v39, s[14:15]
	v_cndmask_b32_e64 v38, v50, v38, s[14:15]
	v_cmp_ge_u32_e64 s[14:15], v38, v33
	s_or_b64 s[18:19], s[14:15], s[18:19]
	s_andn2_b64 exec, exec, s[18:19]
	s_cbranch_execnz .LBB417_36
; %bb.37:
	s_or_b64 exec, exec, s[18:19]
.LBB417_38:
	s_or_b64 exec, exec, s[16:17]
	v_add_u32_e32 v37, v31, v37
	v_add_u32_e32 v36, v38, v36
	v_sub_u32_e32 v37, v37, v38
	v_cmp_le_u32_e64 s[14:15], v36, v31
	v_cmp_le_u32_e64 s[16:17], v37, v32
	v_add_u32_e32 v35, 1, v12
	v_add_u32_e32 v34, 2, v12
	;; [unrolled: 1-line block ×3, first 2 shown]
	s_or_b64 s[14:15], s[14:15], s[16:17]
	s_and_saveexec_b64 s[26:27], s[14:15]
	s_cbranch_execz .LBB417_44
; %bb.39:
	v_cmp_lt_u32_e64 s[16:17], v36, v31
                                        ; implicit-def: $vgpr25
	s_and_saveexec_b64 s[14:15], s[16:17]
; %bb.40:
	v_add_u32_e32 v4, v11, v36
	ds_read_u8 v25, v4
; %bb.41:
	s_or_b64 exec, exec, s[14:15]
	v_cmp_ge_u32_e64 s[14:15], v37, v32
	v_cmp_lt_u32_e64 s[18:19], v37, v32
                                        ; implicit-def: $vgpr26
	s_and_saveexec_b64 s[20:21], s[18:19]
; %bb.42:
	v_add_u32_e32 v4, v11, v37
	ds_read_u8 v26, v4
; %bb.43:
	s_or_b64 exec, exec, s[20:21]
	s_waitcnt lgkmcnt(0)
	v_and_b32_e32 v4, v26, v29
	v_and_b32_e32 v5, v25, v29
	v_cmp_le_i16_sdwa s[18:19], sext(v5), sext(v4) src0_sel:BYTE_0 src1_sel:BYTE_0
	s_and_b64 s[16:17], s[16:17], s[18:19]
	s_or_b64 s[14:15], s[14:15], s[16:17]
	v_cndmask_b32_e64 v4, v37, v36, s[14:15]
	v_cndmask_b32_e64 v5, v32, v31, s[14:15]
	v_add_u32_e32 v14, 1, v4
	v_add_u32_e32 v5, -1, v5
	v_min_u32_e32 v5, v14, v5
	v_add_u32_e32 v5, v11, v5
	ds_read_u8 v5, v5
	v_cndmask_b32_e64 v15, v14, v37, s[14:15]
	v_cndmask_b32_e64 v14, v36, v14, s[14:15]
	v_cmp_lt_u32_e64 s[18:19], v14, v31
	v_cmp_ge_u32_e64 s[16:17], v15, v32
	s_waitcnt lgkmcnt(0)
	v_cndmask_b32_e64 v27, v5, v26, s[14:15]
	v_cndmask_b32_e64 v28, v25, v5, s[14:15]
	v_and_b32_e32 v5, v27, v29
	v_and_b32_e32 v16, v28, v29
	v_cmp_le_i16_sdwa s[20:21], sext(v16), sext(v5) src0_sel:BYTE_0 src1_sel:BYTE_0
	s_and_b64 s[18:19], s[18:19], s[20:21]
	s_or_b64 s[16:17], s[16:17], s[18:19]
	v_cndmask_b32_e64 v16, v15, v14, s[16:17]
	v_cndmask_b32_e64 v5, v32, v31, s[16:17]
	v_add_u32_e32 v17, 1, v16
	v_add_u32_e32 v5, -1, v5
	v_min_u32_e32 v5, v17, v5
	v_add_u32_e32 v5, v11, v5
	ds_read_u8 v18, v5
	v_cndmask_b32_e64 v38, v17, v15, s[16:17]
	v_cndmask_b32_e64 v17, v14, v17, s[16:17]
	v_cmp_lt_u32_e64 s[20:21], v17, v31
	v_cmp_ge_u32_e64 s[18:19], v38, v32
	s_waitcnt lgkmcnt(0)
	v_cndmask_b32_e64 v36, v18, v27, s[16:17]
	v_cndmask_b32_e64 v37, v28, v18, s[16:17]
	v_and_b32_e32 v14, v36, v29
	v_and_b32_e32 v15, v37, v29
	v_cmp_le_i16_sdwa s[22:23], sext(v15), sext(v14) src0_sel:BYTE_0 src1_sel:BYTE_0
	s_and_b64 s[20:21], s[20:21], s[22:23]
	s_or_b64 s[18:19], s[18:19], s[20:21]
	v_cndmask_b32_e64 v18, v38, v17, s[18:19]
	v_cndmask_b32_e64 v14, v32, v31, s[18:19]
	v_add_u32_e32 v39, 1, v18
	v_add_u32_e32 v14, -1, v14
	v_min_u32_e32 v14, v39, v14
	v_add_u32_e32 v14, v11, v14
	ds_read_u8 v48, v14
	v_lshl_add_u32 v14, v16, 3, v9
	v_lshl_add_u32 v16, v18, 3, v9
	ds_read_b64 v[18:19], v16 offset:1024
	v_cndmask_b32_e64 v16, v39, v38, s[18:19]
	s_waitcnt lgkmcnt(1)
	v_cndmask_b32_e64 v49, v48, v36, s[18:19]
	v_cndmask_b32_e64 v48, v37, v48, s[18:19]
	;; [unrolled: 1-line block ×3, first 2 shown]
	v_cmp_ge_u32_e64 s[20:21], v16, v32
	v_cmp_lt_u32_e64 s[22:23], v17, v31
	v_and_b32_e32 v31, v49, v29
	v_and_b32_e32 v32, v48, v29
	v_cmp_le_i16_sdwa s[28:29], sext(v32), sext(v31) src0_sel:BYTE_0 src1_sel:BYTE_0
	s_and_b64 s[22:23], s[22:23], s[28:29]
	s_or_b64 s[20:21], s[20:21], s[22:23]
	v_cndmask_b32_e64 v16, v16, v17, s[20:21]
	v_lshl_add_u32 v4, v4, 3, v9
	v_lshl_add_u32 v16, v16, 3, v9
	ds_read_b64 v[4:5], v4 offset:1024
	ds_read_b64 v[14:15], v14 offset:1024
	;; [unrolled: 1-line block ×3, first 2 shown]
	v_cndmask_b32_e64 v25, v26, v25, s[14:15]
	v_cndmask_b32_e64 v26, v27, v28, s[16:17]
	;; [unrolled: 1-line block ×4, first 2 shown]
.LBB417_44:
	s_or_b64 exec, exec, s[26:27]
	; wave barrier
	ds_write_b8 v12, v25
	s_waitcnt lgkmcnt(3)
	ds_write_b64 v30, v[4:5]
	ds_write_b8 v35, v26
	s_waitcnt lgkmcnt(4)
	ds_write_b64 v21, v[14:15]
	ds_write_b8 v34, v28
	ds_write_b64 v20, v[18:19]
	ds_write_b8 v33, v27
	s_waitcnt lgkmcnt(7)
	ds_write_b64 v13, v[16:17]
	v_and_b32_e32 v20, 0x1e0, v24
	v_or_b32_e32 v12, 16, v20
	v_min_u32_e32 v12, v10, v12
	v_add_u32_e32 v13, 16, v12
	v_min_u32_e32 v13, v10, v13
	v_min_u32_e32 v10, v10, v22
	v_sub_u32_e32 v21, v12, v20
	v_sub_u32_e32 v24, v13, v12
	v_sub_u32_e64 v24, v10, v24 clamp
	v_min_u32_e32 v21, v10, v21
	v_cmp_lt_u32_e64 s[14:15], v24, v21
	; wave barrier
	s_and_saveexec_b64 s[16:17], s[14:15]
	s_cbranch_execz .LBB417_48
; %bb.45:
	v_add_co_u32_e64 v30, s[14:15], v11, v20
	v_add_co_u32_e64 v31, s[14:15], v11, v12
	s_mov_b64 s[18:19], 0
.LBB417_46:                             ; =>This Inner Loop Header: Depth=1
	v_add_u32_e32 v32, v21, v24
	v_lshrrev_b32_e32 v32, 1, v32
	v_not_b32_e32 v33, v32
	v_add_u32_e32 v34, v30, v32
	v_add3_u32 v33, v10, v33, v31
	ds_read_u8 v34, v34
	ds_read_u8 v33, v33
	v_add_u32_e32 v35, 1, v32
	s_waitcnt lgkmcnt(1)
	v_and_b32_e32 v34, v34, v29
	s_waitcnt lgkmcnt(0)
	v_and_b32_e32 v33, v33, v29
	v_cmp_gt_i16_sdwa s[14:15], sext(v34), sext(v33) src0_sel:BYTE_0 src1_sel:BYTE_0
	v_cndmask_b32_e64 v21, v21, v32, s[14:15]
	v_cndmask_b32_e64 v24, v35, v24, s[14:15]
	v_cmp_ge_u32_e64 s[14:15], v24, v21
	s_or_b64 s[18:19], s[14:15], s[18:19]
	s_andn2_b64 exec, exec, s[18:19]
	s_cbranch_execnz .LBB417_46
; %bb.47:
	s_or_b64 exec, exec, s[18:19]
.LBB417_48:
	s_or_b64 exec, exec, s[16:17]
	v_add_u32_e32 v10, v12, v10
	v_add_u32_e32 v21, v24, v20
	v_sub_u32_e32 v24, v10, v24
	v_cmp_le_u32_e64 s[14:15], v21, v12
	v_cmp_le_u32_e64 s[16:17], v24, v13
	s_or_b64 s[14:15], s[14:15], s[16:17]
	s_and_saveexec_b64 s[26:27], s[14:15]
	s_cbranch_execz .LBB417_54
; %bb.49:
	v_cmp_lt_u32_e64 s[16:17], v21, v12
                                        ; implicit-def: $vgpr10
	s_and_saveexec_b64 s[14:15], s[16:17]
; %bb.50:
	v_add_u32_e32 v4, v11, v21
	ds_read_u8 v10, v4
; %bb.51:
	s_or_b64 exec, exec, s[14:15]
	v_cmp_ge_u32_e64 s[14:15], v24, v13
	v_cmp_lt_u32_e64 s[18:19], v24, v13
                                        ; implicit-def: $vgpr20
	s_and_saveexec_b64 s[20:21], s[18:19]
; %bb.52:
	v_add_u32_e32 v4, v11, v24
	ds_read_u8 v20, v4
; %bb.53:
	s_or_b64 exec, exec, s[20:21]
	s_waitcnt lgkmcnt(0)
	v_and_b32_e32 v4, v20, v29
	v_and_b32_e32 v5, v10, v29
	v_cmp_le_i16_sdwa s[18:19], sext(v5), sext(v4) src0_sel:BYTE_0 src1_sel:BYTE_0
	s_and_b64 s[16:17], s[16:17], s[18:19]
	s_or_b64 s[14:15], s[14:15], s[16:17]
	v_cndmask_b32_e64 v4, v24, v21, s[14:15]
	v_cndmask_b32_e64 v5, v13, v12, s[14:15]
	v_add_u32_e32 v14, 1, v4
	v_add_u32_e32 v5, -1, v5
	v_min_u32_e32 v5, v14, v5
	v_add_u32_e32 v5, v11, v5
	ds_read_u8 v5, v5
	v_cndmask_b32_e64 v15, v14, v24, s[14:15]
	v_cndmask_b32_e64 v14, v21, v14, s[14:15]
	v_cmp_lt_u32_e64 s[18:19], v14, v12
	v_cmp_ge_u32_e64 s[16:17], v15, v13
	s_waitcnt lgkmcnt(0)
	v_cndmask_b32_e64 v26, v5, v20, s[14:15]
	v_cndmask_b32_e64 v27, v10, v5, s[14:15]
	v_and_b32_e32 v5, v26, v29
	v_and_b32_e32 v16, v27, v29
	v_cmp_le_i16_sdwa s[20:21], sext(v16), sext(v5) src0_sel:BYTE_0 src1_sel:BYTE_0
	s_and_b64 s[18:19], s[18:19], s[20:21]
	s_or_b64 s[16:17], s[16:17], s[18:19]
	v_cndmask_b32_e64 v16, v15, v14, s[16:17]
	v_cndmask_b32_e64 v5, v13, v12, s[16:17]
	v_add_u32_e32 v17, 1, v16
	v_add_u32_e32 v5, -1, v5
	v_min_u32_e32 v5, v17, v5
	v_add_u32_e32 v5, v11, v5
	ds_read_u8 v18, v5
	v_cndmask_b32_e64 v25, v17, v15, s[16:17]
	v_cndmask_b32_e64 v17, v14, v17, s[16:17]
	v_cmp_lt_u32_e64 s[20:21], v17, v12
	v_cmp_ge_u32_e64 s[18:19], v25, v13
	s_waitcnt lgkmcnt(0)
	v_cndmask_b32_e64 v21, v18, v26, s[16:17]
	v_cndmask_b32_e64 v24, v27, v18, s[16:17]
	v_and_b32_e32 v14, v21, v29
	v_and_b32_e32 v15, v24, v29
	v_cmp_le_i16_sdwa s[22:23], sext(v15), sext(v14) src0_sel:BYTE_0 src1_sel:BYTE_0
	s_and_b64 s[20:21], s[20:21], s[22:23]
	s_or_b64 s[18:19], s[18:19], s[20:21]
	v_cndmask_b32_e64 v18, v25, v17, s[18:19]
	v_cndmask_b32_e64 v14, v13, v12, s[18:19]
	v_add_u32_e32 v28, 1, v18
	v_add_u32_e32 v14, -1, v14
	v_min_u32_e32 v14, v28, v14
	v_add_u32_e32 v11, v11, v14
	ds_read_u8 v11, v11
	v_lshl_add_u32 v14, v16, 3, v9
	v_lshl_add_u32 v16, v18, 3, v9
	ds_read_b64 v[18:19], v16 offset:1024
	v_cndmask_b32_e64 v16, v28, v25, s[18:19]
	s_waitcnt lgkmcnt(1)
	v_cndmask_b32_e64 v30, v11, v21, s[18:19]
	v_cndmask_b32_e64 v11, v24, v11, s[18:19]
	;; [unrolled: 1-line block ×3, first 2 shown]
	v_cmp_ge_u32_e64 s[20:21], v16, v13
	v_cmp_lt_u32_e64 s[22:23], v17, v12
	v_and_b32_e32 v12, v30, v29
	v_and_b32_e32 v13, v11, v29
	v_cmp_le_i16_sdwa s[28:29], sext(v13), sext(v12) src0_sel:BYTE_0 src1_sel:BYTE_0
	s_and_b64 s[22:23], s[22:23], s[28:29]
	s_or_b64 s[20:21], s[20:21], s[22:23]
	v_cndmask_b32_e64 v12, v16, v17, s[20:21]
	v_lshl_add_u32 v4, v4, 3, v9
	v_lshl_add_u32 v9, v12, 3, v9
	ds_read_b64 v[4:5], v4 offset:1024
	ds_read_b64 v[14:15], v14 offset:1024
	ds_read_b64 v[16:17], v9 offset:1024
	v_cndmask_b32_e64 v25, v20, v10, s[14:15]
	v_cndmask_b32_e64 v26, v26, v27, s[16:17]
	;; [unrolled: 1-line block ×4, first 2 shown]
.LBB417_54:
	s_or_b64 exec, exec, s[26:27]
	; wave barrier
	s_waitcnt lgkmcnt(0)
	s_barrier
                                        ; implicit-def: $vgpr24
                                        ; implicit-def: $vgpr12
                                        ; implicit-def: $vgpr13
                                        ; implicit-def: $vgpr31
                                        ; implicit-def: $vgpr9
                                        ; implicit-def: $vgpr20
.LBB417_55:
	s_andn2_saveexec_b64 s[20:21], s[24:25]
	s_cbranch_execz .LBB417_97
; %bb.56:
	s_load_dwordx2 s[14:15], s[8:9], 0x0
	v_mov_b32_e32 v10, 0
	s_waitcnt lgkmcnt(0)
	s_cmp_lt_u32 s13, s15
	s_cselect_b32 s13, 14, 20
	s_add_u32 s16, s8, s13
	s_addc_u32 s17, s9, 0
	s_cmp_lt_u32 s12, s14
	s_cselect_b32 s12, 12, 18
	s_add_u32 s8, s8, s12
	s_addc_u32 s9, s9, 0
	global_load_ushort v11, v10, s[16:17]
	global_load_ushort v21, v10, s[8:9]
	v_and_b32_e32 v10, 0x3ff, v31
	s_movk_i32 s8, 0x400
	s_waitcnt vmcnt(0)
	v_mad_u32_u24 v9, v20, v11, v9
	v_mul_lo_u32 v9, v9, v21
	v_add_lshl_u32 v11, v9, v10, 2
	v_cmp_gt_u32_e64 s[8:9], s8, v11
	s_and_saveexec_b64 s[16:17], s[8:9]
	s_cbranch_execz .LBB417_66
; %bb.57:
	s_mov_b32 s8, 0xc0c0004
	v_perm_b32 v9, v28, v27, s8
	v_lshlrev_b32_e32 v9, 16, v9
	v_perm_b32 v10, v26, v25, s8
	v_perm_b32 v20, v25, v26, s8
	v_or_b32_e32 v10, v10, v9
	v_or_b32_e32 v9, v20, v9
	v_cmp_gt_i16_sdwa s[8:9], sext(v25), sext(v26) src0_sel:BYTE_0 src1_sel:BYTE_0
	v_cndmask_b32_e64 v25, v9, v10, s[8:9]
	v_lshrrev_b32_e32 v28, 16, v25
	v_lshrrev_b32_e32 v27, 24, v25
	v_bfe_i32 v20, v27, 0, 8
	v_bfe_i32 v29, v28, 0, 8
	v_mov_b32_e32 v9, v18
	v_lshrrev_b32_e32 v26, 8, v25
	v_cmp_gt_i16_e64 s[12:13], v29, v20
	v_mov_b32_e32 v10, v19
	s_and_saveexec_b64 s[14:15], s[12:13]
; %bb.58:
	v_mov_b32_e32 v9, v16
	v_mov_b32_e32 v21, v28
	;; [unrolled: 1-line block ×4, first 2 shown]
	v_swap_b32 v28, v27
	v_mov_b32_e32 v17, v19
	v_mov_b32_e32 v29, v20
; %bb.59:
	s_or_b64 exec, exec, s[14:15]
	v_cndmask_b32_e64 v20, v14, v4, s[8:9]
	v_cndmask_b32_e64 v21, v15, v5, s[8:9]
	v_bfe_i32 v30, v26, 0, 8
	v_mov_b32_e32 v18, v20
	v_cmp_gt_i16_e64 s[12:13], v30, v29
	v_mov_b32_e32 v19, v21
	s_and_saveexec_b64 s[14:15], s[12:13]
	s_xor_b64 s[12:13], exec, s[14:15]
; %bb.60:
	v_mov_b32_e32 v19, v10
	v_mov_b32_e32 v18, v9
	;; [unrolled: 1-line block ×7, first 2 shown]
; %bb.61:
	s_or_b64 exec, exec, s[12:13]
	s_mov_b32 s12, 0xc0c0004
	v_perm_b32 v20, v28, v27, s12
	v_lshlrev_b32_e32 v20, 16, v20
	v_perm_b32 v21, v30, v25, s12
	v_perm_b32 v26, v25, v26, s12
	v_or_b32_e32 v21, v21, v20
	v_or_b32_e32 v20, v26, v20
	v_cmp_gt_i16_sdwa s[12:13], sext(v25), v30 src0_sel:BYTE_0 src1_sel:DWORD
	v_cndmask_b32_e64 v25, v20, v21, s[12:13]
	v_lshrrev_b32_e32 v28, 16, v25
	v_lshrrev_b32_e32 v27, 24, v25
	v_bfe_i32 v30, v27, 0, 8
	v_bfe_i32 v29, v28, 0, 8
	v_mov_b32_e32 v21, v10
	v_lshrrev_b32_e32 v26, 8, v25
	v_cmp_gt_i16_e64 s[14:15], v29, v30
	v_mov_b32_e32 v20, v9
	s_and_saveexec_b64 s[18:19], s[14:15]
; %bb.62:
	v_mov_b32_e32 v21, v17
	v_mov_b32_e32 v29, v28
	;; [unrolled: 1-line block ×4, first 2 shown]
	v_swap_b32 v28, v27
	v_mov_b32_e32 v16, v9
	v_mov_b32_e32 v29, v30
; %bb.63:
	s_or_b64 exec, exec, s[18:19]
	v_cndmask_b32_e64 v9, v4, v14, s[8:9]
	v_cndmask_b32_e64 v10, v5, v15, s[8:9]
	;; [unrolled: 1-line block ×6, first 2 shown]
	v_mov_b32_e32 v18, v20
	v_cmp_gt_i16_sdwa s[12:13], sext(v26), v29 src0_sel:BYTE_0 src1_sel:DWORD
	v_mov_b32_e32 v19, v21
	s_and_saveexec_b64 s[8:9], s[12:13]
; %bb.64:
	v_mov_b32_e32 v19, v15
	v_mov_b32_e32 v18, v14
	;; [unrolled: 1-line block ×6, first 2 shown]
; %bb.65:
	s_or_b64 exec, exec, s[8:9]
.LBB417_66:
	s_or_b64 exec, exec, s[16:17]
	v_and_b32_e32 v20, 0xffffff00, v11
	v_add_co_u32_e64 v11, s[8:9], v12, v20
	v_addc_co_u32_e64 v12, s[8:9], 0, v13, s[8:9]
	v_mad_u64_u32 v[9:10], s[8:9], v20, 7, v[11:12]
	v_add_co_u32_e64 v12, s[8:9], v11, v24
	s_movk_i32 s12, 0x400
	s_mov_b32 s8, 0xc0c0004
	v_sub_u32_e64 v10, s12, v20 clamp
	v_perm_b32 v20, v25, v26, s8
	v_perm_b32 v21, v28, v27, s8
	v_lshl_add_u32 v13, v24, 3, v9
	v_lshl_or_b32 v20, v21, 16, v20
	ds_write2_b64 v13, v[4:5], v[14:15] offset0:128 offset1:129
	ds_write_b64 v13, v[18:19] offset:1040
	ds_write_b32 v12, v20
	ds_write_b64 v13, v[16:17] offset:1048
	v_or_b32_e32 v20, 4, v24
	v_min_u32_e32 v30, v10, v20
	v_add_u32_e32 v20, 4, v30
	v_and_b32_e32 v32, 0x1f8, v24
	v_min_u32_e32 v31, v10, v20
	v_and_b32_e32 v20, 4, v24
	v_min_u32_e32 v33, v10, v20
	v_sub_u32_e32 v20, v30, v32
	v_sub_u32_e32 v21, v31, v30
	v_sub_u32_e64 v34, v33, v21 clamp
	v_min_u32_e32 v20, v33, v20
	v_cmp_lt_u32_e64 s[8:9], v34, v20
	; wave barrier
	s_and_saveexec_b64 s[12:13], s[8:9]
	s_cbranch_execz .LBB417_70
; %bb.67:
	v_add_co_u32_e64 v21, s[8:9], v11, v32
	v_add_co_u32_e64 v29, s[8:9], v11, v30
	s_mov_b64 s[14:15], 0
.LBB417_68:                             ; =>This Inner Loop Header: Depth=1
	v_add_u32_e32 v35, v20, v34
	v_lshrrev_b32_e32 v35, 1, v35
	v_not_b32_e32 v36, v35
	v_add_u32_e32 v37, v21, v35
	v_add3_u32 v36, v33, v36, v29
	ds_read_i8 v37, v37
	ds_read_i8 v36, v36
	v_add_u32_e32 v38, 1, v35
	s_waitcnt lgkmcnt(0)
	v_cmp_gt_i16_e64 s[8:9], v37, v36
	v_cndmask_b32_e64 v20, v20, v35, s[8:9]
	v_cndmask_b32_e64 v34, v38, v34, s[8:9]
	v_cmp_ge_u32_e64 s[8:9], v34, v20
	s_or_b64 s[14:15], s[8:9], s[14:15]
	s_andn2_b64 exec, exec, s[14:15]
	s_cbranch_execnz .LBB417_68
; %bb.69:
	s_or_b64 exec, exec, s[14:15]
.LBB417_70:
	s_or_b64 exec, exec, s[12:13]
	v_add_u32_e32 v33, v30, v33
	v_add_u32_e32 v32, v34, v32
	v_sub_u32_e32 v33, v33, v34
	v_cmp_le_u32_e64 s[8:9], v32, v30
	v_cmp_le_u32_e64 s[12:13], v33, v31
	v_add_u32_e32 v29, 0x400, v13
	v_add_u32_e32 v21, 0x408, v13
	;; [unrolled: 1-line block ×4, first 2 shown]
	s_or_b64 s[8:9], s[8:9], s[12:13]
	s_and_saveexec_b64 s[22:23], s[8:9]
	s_cbranch_execz .LBB417_76
; %bb.71:
	v_cmp_lt_u32_e64 s[8:9], v32, v30
                                        ; implicit-def: $vgpr25
	s_and_saveexec_b64 s[12:13], s[8:9]
; %bb.72:
	v_add_u32_e32 v4, v11, v32
	ds_read_u8 v25, v4
; %bb.73:
	s_or_b64 exec, exec, s[12:13]
	v_cmp_ge_u32_e64 s[12:13], v33, v31
	v_cmp_lt_u32_e64 s[14:15], v33, v31
                                        ; implicit-def: $vgpr26
	s_and_saveexec_b64 s[16:17], s[14:15]
; %bb.74:
	v_add_u32_e32 v4, v11, v33
	ds_read_u8 v26, v4
; %bb.75:
	s_or_b64 exec, exec, s[16:17]
	s_waitcnt lgkmcnt(0)
	v_cmp_le_i16_sdwa s[14:15], sext(v25), sext(v26) src0_sel:BYTE_0 src1_sel:BYTE_0
	s_and_b64 s[8:9], s[8:9], s[14:15]
	s_or_b64 s[8:9], s[12:13], s[8:9]
	v_cndmask_b32_e64 v4, v33, v32, s[8:9]
	v_cndmask_b32_e64 v5, v31, v30, s[8:9]
	v_add_u32_e32 v14, 1, v4
	v_add_u32_e32 v5, -1, v5
	v_min_u32_e32 v5, v14, v5
	v_add_u32_e32 v5, v11, v5
	ds_read_u8 v5, v5
	v_cndmask_b32_e64 v15, v14, v33, s[8:9]
	v_cndmask_b32_e64 v14, v32, v14, s[8:9]
	v_cmp_lt_u32_e64 s[14:15], v14, v30
	v_cmp_ge_u32_e64 s[12:13], v15, v31
	s_waitcnt lgkmcnt(0)
	v_cndmask_b32_e64 v27, v5, v26, s[8:9]
	v_cndmask_b32_e64 v28, v25, v5, s[8:9]
	v_cmp_le_i16_sdwa s[16:17], sext(v28), sext(v27) src0_sel:BYTE_0 src1_sel:BYTE_0
	s_and_b64 s[14:15], s[14:15], s[16:17]
	s_or_b64 s[12:13], s[12:13], s[14:15]
	v_cndmask_b32_e64 v16, v15, v14, s[12:13]
	v_cndmask_b32_e64 v5, v31, v30, s[12:13]
	v_add_u32_e32 v17, 1, v16
	v_add_u32_e32 v5, -1, v5
	v_min_u32_e32 v5, v17, v5
	v_add_u32_e32 v5, v11, v5
	ds_read_u8 v18, v5
	v_cndmask_b32_e64 v34, v17, v15, s[12:13]
	v_cndmask_b32_e64 v17, v14, v17, s[12:13]
	v_cmp_lt_u32_e64 s[16:17], v17, v30
	v_cmp_ge_u32_e64 s[14:15], v34, v31
	s_waitcnt lgkmcnt(0)
	v_cndmask_b32_e64 v32, v18, v27, s[12:13]
	v_cndmask_b32_e64 v33, v28, v18, s[12:13]
	v_cmp_le_i16_sdwa s[18:19], sext(v33), sext(v32) src0_sel:BYTE_0 src1_sel:BYTE_0
	s_and_b64 s[16:17], s[16:17], s[18:19]
	s_or_b64 s[14:15], s[14:15], s[16:17]
	v_cndmask_b32_e64 v18, v34, v17, s[14:15]
	v_cndmask_b32_e64 v14, v31, v30, s[14:15]
	v_add_u32_e32 v35, 1, v18
	v_add_u32_e32 v14, -1, v14
	v_min_u32_e32 v14, v35, v14
	v_add_u32_e32 v14, v11, v14
	ds_read_u8 v36, v14
	v_lshl_add_u32 v14, v16, 3, v9
	v_lshl_add_u32 v16, v18, 3, v9
	v_cndmask_b32_e64 v17, v17, v35, s[14:15]
	ds_read_b64 v[18:19], v16 offset:1024
	s_waitcnt lgkmcnt(1)
	v_cndmask_b32_e64 v37, v36, v32, s[14:15]
	v_cndmask_b32_e64 v36, v33, v36, s[14:15]
	;; [unrolled: 1-line block ×3, first 2 shown]
	v_cmp_lt_u32_e64 s[18:19], v17, v30
	v_cmp_le_i16_sdwa s[24:25], sext(v36), sext(v37) src0_sel:BYTE_0 src1_sel:BYTE_0
	v_cmp_ge_u32_e64 s[16:17], v16, v31
	s_and_b64 s[18:19], s[18:19], s[24:25]
	s_or_b64 s[16:17], s[16:17], s[18:19]
	v_cndmask_b32_e64 v16, v16, v17, s[16:17]
	v_lshl_add_u32 v4, v4, 3, v9
	v_lshl_add_u32 v16, v16, 3, v9
	ds_read_b64 v[4:5], v4 offset:1024
	ds_read_b64 v[14:15], v14 offset:1024
	;; [unrolled: 1-line block ×3, first 2 shown]
	v_cndmask_b32_e64 v25, v26, v25, s[8:9]
	v_cndmask_b32_e64 v26, v27, v28, s[12:13]
	;; [unrolled: 1-line block ×4, first 2 shown]
.LBB417_76:
	s_or_b64 exec, exec, s[22:23]
	v_and_b32_e32 v35, 0x1f0, v24
	v_or_b32_e32 v30, 8, v35
	v_min_u32_e32 v30, v10, v30
	v_add_u32_e32 v31, 8, v30
	v_min_u32_e32 v32, v10, v31
	v_and_b32_e32 v31, 12, v24
	v_min_u32_e32 v36, v10, v31
	v_sub_u32_e32 v31, v30, v35
	v_sub_u32_e32 v33, v32, v30
	v_sub_u32_e64 v37, v36, v33 clamp
	v_min_u32_e32 v31, v36, v31
	v_cmp_lt_u32_e64 s[8:9], v37, v31
	; wave barrier
	ds_write_b8 v12, v25
	s_waitcnt lgkmcnt(3)
	ds_write_b64 v29, v[4:5]
	ds_write_b8 v12, v26 offset:1
	s_waitcnt lgkmcnt(4)
	ds_write_b64 v21, v[14:15]
	ds_write_b8 v12, v28 offset:2
	ds_write_b64 v20, v[18:19]
	ds_write_b8 v12, v27 offset:3
	s_waitcnt lgkmcnt(7)
	ds_write_b64 v13, v[16:17]
	; wave barrier
	s_and_saveexec_b64 s[12:13], s[8:9]
	s_cbranch_execz .LBB417_80
; %bb.77:
	v_add_co_u32_e64 v33, s[8:9], v11, v35
	v_add_co_u32_e64 v34, s[8:9], v11, v30
	s_mov_b64 s[14:15], 0
.LBB417_78:                             ; =>This Inner Loop Header: Depth=1
	v_add_u32_e32 v38, v31, v37
	v_lshrrev_b32_e32 v38, 1, v38
	v_not_b32_e32 v39, v38
	v_add_u32_e32 v48, v33, v38
	v_add3_u32 v39, v36, v39, v34
	ds_read_i8 v48, v48
	ds_read_i8 v39, v39
	v_add_u32_e32 v49, 1, v38
	s_waitcnt lgkmcnt(0)
	v_cmp_gt_i16_e64 s[8:9], v48, v39
	v_cndmask_b32_e64 v31, v31, v38, s[8:9]
	v_cndmask_b32_e64 v37, v49, v37, s[8:9]
	v_cmp_ge_u32_e64 s[8:9], v37, v31
	s_or_b64 s[14:15], s[8:9], s[14:15]
	s_andn2_b64 exec, exec, s[14:15]
	s_cbranch_execnz .LBB417_78
; %bb.79:
	s_or_b64 exec, exec, s[14:15]
.LBB417_80:
	s_or_b64 exec, exec, s[12:13]
	v_add_u32_e32 v36, v30, v36
	v_add_u32_e32 v35, v37, v35
	v_sub_u32_e32 v36, v36, v37
	v_cmp_le_u32_e64 s[8:9], v35, v30
	v_cmp_le_u32_e64 s[12:13], v36, v32
	v_add_u32_e32 v34, 1, v12
	v_add_u32_e32 v33, 2, v12
	;; [unrolled: 1-line block ×3, first 2 shown]
	s_or_b64 s[8:9], s[8:9], s[12:13]
	s_and_saveexec_b64 s[22:23], s[8:9]
	s_cbranch_execz .LBB417_86
; %bb.81:
	v_cmp_lt_u32_e64 s[8:9], v35, v30
                                        ; implicit-def: $vgpr25
	s_and_saveexec_b64 s[12:13], s[8:9]
; %bb.82:
	v_add_u32_e32 v4, v11, v35
	ds_read_u8 v25, v4
; %bb.83:
	s_or_b64 exec, exec, s[12:13]
	v_cmp_ge_u32_e64 s[12:13], v36, v32
	v_cmp_lt_u32_e64 s[14:15], v36, v32
                                        ; implicit-def: $vgpr26
	s_and_saveexec_b64 s[16:17], s[14:15]
; %bb.84:
	v_add_u32_e32 v4, v11, v36
	ds_read_u8 v26, v4
; %bb.85:
	s_or_b64 exec, exec, s[16:17]
	s_waitcnt lgkmcnt(0)
	v_cmp_le_i16_sdwa s[14:15], sext(v25), sext(v26) src0_sel:BYTE_0 src1_sel:BYTE_0
	s_and_b64 s[8:9], s[8:9], s[14:15]
	s_or_b64 s[8:9], s[12:13], s[8:9]
	v_cndmask_b32_e64 v4, v36, v35, s[8:9]
	v_cndmask_b32_e64 v5, v32, v30, s[8:9]
	v_add_u32_e32 v14, 1, v4
	v_add_u32_e32 v5, -1, v5
	v_min_u32_e32 v5, v14, v5
	v_add_u32_e32 v5, v11, v5
	ds_read_u8 v5, v5
	v_cndmask_b32_e64 v15, v14, v36, s[8:9]
	v_cndmask_b32_e64 v14, v35, v14, s[8:9]
	v_cmp_lt_u32_e64 s[14:15], v14, v30
	v_cmp_ge_u32_e64 s[12:13], v15, v32
	s_waitcnt lgkmcnt(0)
	v_cndmask_b32_e64 v27, v5, v26, s[8:9]
	v_cndmask_b32_e64 v28, v25, v5, s[8:9]
	v_cmp_le_i16_sdwa s[16:17], sext(v28), sext(v27) src0_sel:BYTE_0 src1_sel:BYTE_0
	s_and_b64 s[14:15], s[14:15], s[16:17]
	s_or_b64 s[12:13], s[12:13], s[14:15]
	v_cndmask_b32_e64 v16, v15, v14, s[12:13]
	v_cndmask_b32_e64 v5, v32, v30, s[12:13]
	v_add_u32_e32 v17, 1, v16
	v_add_u32_e32 v5, -1, v5
	v_min_u32_e32 v5, v17, v5
	v_add_u32_e32 v5, v11, v5
	ds_read_u8 v18, v5
	v_cndmask_b32_e64 v37, v17, v15, s[12:13]
	v_cndmask_b32_e64 v17, v14, v17, s[12:13]
	v_cmp_lt_u32_e64 s[16:17], v17, v30
	v_cmp_ge_u32_e64 s[14:15], v37, v32
	s_waitcnt lgkmcnt(0)
	v_cndmask_b32_e64 v35, v18, v27, s[12:13]
	v_cndmask_b32_e64 v36, v28, v18, s[12:13]
	v_cmp_le_i16_sdwa s[18:19], sext(v36), sext(v35) src0_sel:BYTE_0 src1_sel:BYTE_0
	s_and_b64 s[16:17], s[16:17], s[18:19]
	s_or_b64 s[14:15], s[14:15], s[16:17]
	v_cndmask_b32_e64 v18, v37, v17, s[14:15]
	v_cndmask_b32_e64 v14, v32, v30, s[14:15]
	v_add_u32_e32 v38, 1, v18
	v_add_u32_e32 v14, -1, v14
	v_min_u32_e32 v14, v38, v14
	v_add_u32_e32 v14, v11, v14
	ds_read_u8 v39, v14
	v_lshl_add_u32 v14, v16, 3, v9
	v_lshl_add_u32 v16, v18, 3, v9
	v_cndmask_b32_e64 v17, v17, v38, s[14:15]
	ds_read_b64 v[18:19], v16 offset:1024
	s_waitcnt lgkmcnt(1)
	v_cndmask_b32_e64 v48, v39, v35, s[14:15]
	v_cndmask_b32_e64 v39, v36, v39, s[14:15]
	;; [unrolled: 1-line block ×3, first 2 shown]
	v_cmp_lt_u32_e64 s[18:19], v17, v30
	v_cmp_le_i16_sdwa s[24:25], sext(v39), sext(v48) src0_sel:BYTE_0 src1_sel:BYTE_0
	v_cmp_ge_u32_e64 s[16:17], v16, v32
	s_and_b64 s[18:19], s[18:19], s[24:25]
	s_or_b64 s[16:17], s[16:17], s[18:19]
	v_cndmask_b32_e64 v16, v16, v17, s[16:17]
	v_lshl_add_u32 v4, v4, 3, v9
	v_lshl_add_u32 v16, v16, 3, v9
	ds_read_b64 v[4:5], v4 offset:1024
	ds_read_b64 v[14:15], v14 offset:1024
	;; [unrolled: 1-line block ×3, first 2 shown]
	v_cndmask_b32_e64 v25, v26, v25, s[8:9]
	v_cndmask_b32_e64 v26, v27, v28, s[12:13]
	v_cndmask_b32_e64 v28, v35, v36, s[14:15]
	v_cndmask_b32_e64 v27, v48, v39, s[16:17]
.LBB417_86:
	s_or_b64 exec, exec, s[22:23]
	; wave barrier
	ds_write_b8 v12, v25
	s_waitcnt lgkmcnt(3)
	ds_write_b64 v29, v[4:5]
	ds_write_b8 v34, v26
	s_waitcnt lgkmcnt(4)
	ds_write_b64 v21, v[14:15]
	ds_write_b8 v33, v28
	ds_write_b64 v20, v[18:19]
	ds_write_b8 v31, v27
	s_waitcnt lgkmcnt(7)
	ds_write_b64 v13, v[16:17]
	v_and_b32_e32 v20, 0x1e0, v24
	v_or_b32_e32 v12, 16, v20
	v_min_u32_e32 v12, v10, v12
	v_add_u32_e32 v13, 16, v12
	v_min_u32_e32 v13, v10, v13
	v_min_u32_e32 v10, v10, v22
	v_sub_u32_e32 v21, v12, v20
	v_sub_u32_e32 v24, v13, v12
	v_sub_u32_e64 v24, v10, v24 clamp
	v_min_u32_e32 v21, v10, v21
	v_cmp_lt_u32_e64 s[8:9], v24, v21
	; wave barrier
	s_and_saveexec_b64 s[12:13], s[8:9]
	s_cbranch_execz .LBB417_90
; %bb.87:
	v_add_co_u32_e64 v29, s[8:9], v11, v20
	v_add_co_u32_e64 v30, s[8:9], v11, v12
	s_mov_b64 s[14:15], 0
.LBB417_88:                             ; =>This Inner Loop Header: Depth=1
	v_add_u32_e32 v31, v21, v24
	v_lshrrev_b32_e32 v31, 1, v31
	v_not_b32_e32 v32, v31
	v_add_u32_e32 v33, v29, v31
	v_add3_u32 v32, v10, v32, v30
	ds_read_i8 v33, v33
	ds_read_i8 v32, v32
	v_add_u32_e32 v34, 1, v31
	s_waitcnt lgkmcnt(0)
	v_cmp_gt_i16_e64 s[8:9], v33, v32
	v_cndmask_b32_e64 v21, v21, v31, s[8:9]
	v_cndmask_b32_e64 v24, v34, v24, s[8:9]
	v_cmp_ge_u32_e64 s[8:9], v24, v21
	s_or_b64 s[14:15], s[8:9], s[14:15]
	s_andn2_b64 exec, exec, s[14:15]
	s_cbranch_execnz .LBB417_88
; %bb.89:
	s_or_b64 exec, exec, s[14:15]
.LBB417_90:
	s_or_b64 exec, exec, s[12:13]
	v_add_u32_e32 v10, v12, v10
	v_add_u32_e32 v21, v24, v20
	v_sub_u32_e32 v24, v10, v24
	v_cmp_le_u32_e64 s[8:9], v21, v12
	v_cmp_le_u32_e64 s[12:13], v24, v13
	s_or_b64 s[8:9], s[8:9], s[12:13]
	s_and_saveexec_b64 s[22:23], s[8:9]
	s_cbranch_execz .LBB417_96
; %bb.91:
	v_cmp_lt_u32_e64 s[8:9], v21, v12
                                        ; implicit-def: $vgpr10
	s_and_saveexec_b64 s[12:13], s[8:9]
; %bb.92:
	v_add_u32_e32 v4, v11, v21
	ds_read_u8 v10, v4
; %bb.93:
	s_or_b64 exec, exec, s[12:13]
	v_cmp_ge_u32_e64 s[12:13], v24, v13
	v_cmp_lt_u32_e64 s[14:15], v24, v13
                                        ; implicit-def: $vgpr20
	s_and_saveexec_b64 s[16:17], s[14:15]
; %bb.94:
	v_add_u32_e32 v4, v11, v24
	ds_read_u8 v20, v4
; %bb.95:
	s_or_b64 exec, exec, s[16:17]
	s_waitcnt lgkmcnt(0)
	v_cmp_le_i16_sdwa s[14:15], sext(v10), sext(v20) src0_sel:BYTE_0 src1_sel:BYTE_0
	s_and_b64 s[8:9], s[8:9], s[14:15]
	s_or_b64 s[8:9], s[12:13], s[8:9]
	v_cndmask_b32_e64 v4, v24, v21, s[8:9]
	v_cndmask_b32_e64 v5, v13, v12, s[8:9]
	v_add_u32_e32 v14, 1, v4
	v_add_u32_e32 v5, -1, v5
	v_min_u32_e32 v5, v14, v5
	v_add_u32_e32 v5, v11, v5
	ds_read_u8 v5, v5
	v_cndmask_b32_e64 v15, v14, v24, s[8:9]
	v_cndmask_b32_e64 v14, v21, v14, s[8:9]
	v_cmp_lt_u32_e64 s[14:15], v14, v12
	v_cmp_ge_u32_e64 s[12:13], v15, v13
	s_waitcnt lgkmcnt(0)
	v_cndmask_b32_e64 v24, v5, v20, s[8:9]
	v_cndmask_b32_e64 v26, v10, v5, s[8:9]
	v_cmp_le_i16_sdwa s[16:17], sext(v26), sext(v24) src0_sel:BYTE_0 src1_sel:BYTE_0
	s_and_b64 s[14:15], s[14:15], s[16:17]
	s_or_b64 s[12:13], s[12:13], s[14:15]
	v_cndmask_b32_e64 v16, v15, v14, s[12:13]
	v_cndmask_b32_e64 v5, v13, v12, s[12:13]
	v_add_u32_e32 v17, 1, v16
	v_add_u32_e32 v5, -1, v5
	v_min_u32_e32 v5, v17, v5
	v_add_u32_e32 v5, v11, v5
	ds_read_u8 v18, v5
	v_cndmask_b32_e64 v25, v17, v15, s[12:13]
	v_cndmask_b32_e64 v17, v14, v17, s[12:13]
	v_cmp_lt_u32_e64 s[16:17], v17, v12
	v_cmp_ge_u32_e64 s[14:15], v25, v13
	s_waitcnt lgkmcnt(0)
	v_cndmask_b32_e64 v21, v18, v24, s[12:13]
	v_cndmask_b32_e64 v27, v26, v18, s[12:13]
	v_cmp_le_i16_sdwa s[18:19], sext(v27), sext(v21) src0_sel:BYTE_0 src1_sel:BYTE_0
	s_and_b64 s[16:17], s[16:17], s[18:19]
	s_or_b64 s[14:15], s[14:15], s[16:17]
	v_cndmask_b32_e64 v18, v25, v17, s[14:15]
	v_cndmask_b32_e64 v14, v13, v12, s[14:15]
	v_add_u32_e32 v28, 1, v18
	v_add_u32_e32 v14, -1, v14
	v_min_u32_e32 v14, v28, v14
	v_add_u32_e32 v11, v11, v14
	ds_read_u8 v11, v11
	v_lshl_add_u32 v14, v16, 3, v9
	v_lshl_add_u32 v16, v18, 3, v9
	v_cndmask_b32_e64 v17, v17, v28, s[14:15]
	ds_read_b64 v[18:19], v16 offset:1024
	s_waitcnt lgkmcnt(1)
	v_cndmask_b32_e64 v29, v11, v21, s[14:15]
	v_cndmask_b32_e64 v11, v27, v11, s[14:15]
	;; [unrolled: 1-line block ×3, first 2 shown]
	v_cmp_lt_u32_e64 s[18:19], v17, v12
	v_cmp_le_i16_sdwa s[24:25], sext(v11), sext(v29) src0_sel:BYTE_0 src1_sel:BYTE_0
	v_cmp_ge_u32_e64 s[16:17], v16, v13
	s_and_b64 s[18:19], s[18:19], s[24:25]
	s_or_b64 s[16:17], s[16:17], s[18:19]
	v_cndmask_b32_e64 v12, v16, v17, s[16:17]
	v_lshl_add_u32 v4, v4, 3, v9
	v_lshl_add_u32 v9, v12, 3, v9
	ds_read_b64 v[4:5], v4 offset:1024
	ds_read_b64 v[14:15], v14 offset:1024
	;; [unrolled: 1-line block ×3, first 2 shown]
	v_cndmask_b32_e64 v25, v20, v10, s[8:9]
	v_cndmask_b32_e64 v26, v24, v26, s[12:13]
	v_cndmask_b32_e64 v28, v21, v27, s[14:15]
	v_cndmask_b32_e64 v27, v29, v11, s[16:17]
.LBB417_96:
	s_or_b64 exec, exec, s[22:23]
	; wave barrier
	s_waitcnt lgkmcnt(0)
	s_barrier
.LBB417_97:
	s_or_b64 exec, exec, s[20:21]
	v_add_co_u32_e64 v2, s[8:9], v2, v8
	v_addc_co_u32_e64 v3, s[8:9], 0, v3, s[8:9]
	v_add_co_u32_e64 v2, s[8:9], v2, v22
	v_addc_co_u32_e64 v3, s[8:9], 0, v3, s[8:9]
	s_waitcnt lgkmcnt(0)
	; wave barrier
	s_and_saveexec_b64 s[8:9], vcc
	s_cbranch_execnz .LBB417_110
; %bb.98:
	s_or_b64 exec, exec, s[8:9]
	s_and_saveexec_b64 s[8:9], s[4:5]
	s_cbranch_execnz .LBB417_111
.LBB417_99:
	s_or_b64 exec, exec, s[8:9]
	s_and_saveexec_b64 s[8:9], s[6:7]
	s_cbranch_execnz .LBB417_112
.LBB417_100:
	s_or_b64 exec, exec, s[8:9]
	s_and_saveexec_b64 s[8:9], s[10:11]
	s_cbranch_execz .LBB417_102
.LBB417_101:
	s_waitcnt vmcnt(0)
	flat_store_byte v[2:3], v27 offset:3
.LBB417_102:
	s_or_b64 exec, exec, s[8:9]
	v_add_co_u32_e64 v0, s[8:9], v6, v0
	v_addc_co_u32_e64 v1, s[8:9], v7, v1, s[8:9]
	v_add_co_u32_e64 v0, s[8:9], v0, v23
	v_addc_co_u32_e64 v1, s[8:9], 0, v1, s[8:9]
	; wave barrier
	s_and_saveexec_b64 s[8:9], vcc
	s_cbranch_execnz .LBB417_113
; %bb.103:
	s_or_b64 exec, exec, s[8:9]
	s_and_saveexec_b64 s[8:9], s[4:5]
	s_cbranch_execnz .LBB417_114
.LBB417_104:
	s_or_b64 exec, exec, s[8:9]
	s_and_saveexec_b64 s[4:5], s[6:7]
	s_cbranch_execnz .LBB417_115
.LBB417_105:
	s_or_b64 exec, exec, s[4:5]
	s_and_saveexec_b64 s[4:5], s[10:11]
	s_cbranch_execnz .LBB417_116
.LBB417_106:
	s_or_b64 exec, exec, s[4:5]
	s_waitcnt vmcnt(0) lgkmcnt(0)
	s_setpc_b64 s[30:31]
.LBB417_107:
	flat_load_dwordx2 v[4:5], v[20:21]
	s_or_b64 exec, exec, s[14:15]
                                        ; implicit-def: $vgpr14_vgpr15
	s_and_saveexec_b64 s[14:15], s[4:5]
	s_cbranch_execz .LBB417_10
.LBB417_108:
	flat_load_dwordx2 v[14:15], v[20:21] offset:8
	s_or_b64 exec, exec, s[14:15]
                                        ; implicit-def: $vgpr18_vgpr19
	s_and_saveexec_b64 s[14:15], s[6:7]
	s_cbranch_execz .LBB417_11
.LBB417_109:
	flat_load_dwordx2 v[18:19], v[20:21] offset:16
	s_or_b64 exec, exec, s[14:15]
                                        ; implicit-def: $vgpr16_vgpr17
	s_and_saveexec_b64 s[14:15], s[10:11]
	s_cbranch_execnz .LBB417_12
	s_branch .LBB417_13
.LBB417_110:
	s_waitcnt vmcnt(0)
	flat_store_byte v[2:3], v25
	s_or_b64 exec, exec, s[8:9]
	s_and_saveexec_b64 s[8:9], s[4:5]
	s_cbranch_execz .LBB417_99
.LBB417_111:
	s_waitcnt vmcnt(0)
	flat_store_byte v[2:3], v26 offset:1
	s_or_b64 exec, exec, s[8:9]
	s_and_saveexec_b64 s[8:9], s[6:7]
	s_cbranch_execz .LBB417_100
.LBB417_112:
	s_waitcnt vmcnt(0)
	flat_store_byte v[2:3], v28 offset:2
	s_or_b64 exec, exec, s[8:9]
	s_and_saveexec_b64 s[8:9], s[10:11]
	s_cbranch_execnz .LBB417_101
	s_branch .LBB417_102
.LBB417_113:
	s_waitcnt vmcnt(0)
	flat_store_dwordx2 v[0:1], v[4:5]
	s_or_b64 exec, exec, s[8:9]
	s_and_saveexec_b64 s[8:9], s[4:5]
	s_cbranch_execz .LBB417_104
.LBB417_114:
	s_waitcnt vmcnt(0)
	flat_store_dwordx2 v[0:1], v[14:15] offset:8
	s_or_b64 exec, exec, s[8:9]
	s_and_saveexec_b64 s[4:5], s[6:7]
	s_cbranch_execz .LBB417_105
.LBB417_115:
	s_waitcnt vmcnt(0)
	flat_store_dwordx2 v[0:1], v[18:19] offset:16
	s_or_b64 exec, exec, s[4:5]
	s_and_saveexec_b64 s[4:5], s[10:11]
	s_cbranch_execz .LBB417_106
.LBB417_116:
	s_waitcnt vmcnt(0)
	flat_store_dwordx2 v[0:1], v[16:17] offset:24
	s_or_b64 exec, exec, s[4:5]
	s_waitcnt vmcnt(0) lgkmcnt(0)
	s_setpc_b64 s[30:31]
.Lfunc_end417:
	.size	_ZN7rocprim17ROCPRIM_400000_NS6detail26segmented_warp_sort_helperINS1_20WarpSortHelperConfigILj8ELj4ELj256EEEalLi256ELb0EvE4sortIPKaPaPKlPlEEvT_T0_T1_T2_jjjjRNS5_12storage_typeE, .Lfunc_end417-_ZN7rocprim17ROCPRIM_400000_NS6detail26segmented_warp_sort_helperINS1_20WarpSortHelperConfigILj8ELj4ELj256EEEalLi256ELb0EvE4sortIPKaPaPKlPlEEvT_T0_T1_T2_jjjjRNS5_12storage_typeE
                                        ; -- End function
	.set .L_ZN7rocprim17ROCPRIM_400000_NS6detail26segmented_warp_sort_helperINS1_20WarpSortHelperConfigILj8ELj4ELj256EEEalLi256ELb0EvE4sortIPKaPaPKlPlEEvT_T0_T1_T2_jjjjRNS5_12storage_typeE.num_vgpr, 51
	.set .L_ZN7rocprim17ROCPRIM_400000_NS6detail26segmented_warp_sort_helperINS1_20WarpSortHelperConfigILj8ELj4ELj256EEEalLi256ELb0EvE4sortIPKaPaPKlPlEEvT_T0_T1_T2_jjjjRNS5_12storage_typeE.num_agpr, 0
	.set .L_ZN7rocprim17ROCPRIM_400000_NS6detail26segmented_warp_sort_helperINS1_20WarpSortHelperConfigILj8ELj4ELj256EEEalLi256ELb0EvE4sortIPKaPaPKlPlEEvT_T0_T1_T2_jjjjRNS5_12storage_typeE.numbered_sgpr, 32
	.set .L_ZN7rocprim17ROCPRIM_400000_NS6detail26segmented_warp_sort_helperINS1_20WarpSortHelperConfigILj8ELj4ELj256EEEalLi256ELb0EvE4sortIPKaPaPKlPlEEvT_T0_T1_T2_jjjjRNS5_12storage_typeE.num_named_barrier, 0
	.set .L_ZN7rocprim17ROCPRIM_400000_NS6detail26segmented_warp_sort_helperINS1_20WarpSortHelperConfigILj8ELj4ELj256EEEalLi256ELb0EvE4sortIPKaPaPKlPlEEvT_T0_T1_T2_jjjjRNS5_12storage_typeE.private_seg_size, 0
	.set .L_ZN7rocprim17ROCPRIM_400000_NS6detail26segmented_warp_sort_helperINS1_20WarpSortHelperConfigILj8ELj4ELj256EEEalLi256ELb0EvE4sortIPKaPaPKlPlEEvT_T0_T1_T2_jjjjRNS5_12storage_typeE.uses_vcc, 1
	.set .L_ZN7rocprim17ROCPRIM_400000_NS6detail26segmented_warp_sort_helperINS1_20WarpSortHelperConfigILj8ELj4ELj256EEEalLi256ELb0EvE4sortIPKaPaPKlPlEEvT_T0_T1_T2_jjjjRNS5_12storage_typeE.uses_flat_scratch, 0
	.set .L_ZN7rocprim17ROCPRIM_400000_NS6detail26segmented_warp_sort_helperINS1_20WarpSortHelperConfigILj8ELj4ELj256EEEalLi256ELb0EvE4sortIPKaPaPKlPlEEvT_T0_T1_T2_jjjjRNS5_12storage_typeE.has_dyn_sized_stack, 0
	.set .L_ZN7rocprim17ROCPRIM_400000_NS6detail26segmented_warp_sort_helperINS1_20WarpSortHelperConfigILj8ELj4ELj256EEEalLi256ELb0EvE4sortIPKaPaPKlPlEEvT_T0_T1_T2_jjjjRNS5_12storage_typeE.has_recursion, 0
	.set .L_ZN7rocprim17ROCPRIM_400000_NS6detail26segmented_warp_sort_helperINS1_20WarpSortHelperConfigILj8ELj4ELj256EEEalLi256ELb0EvE4sortIPKaPaPKlPlEEvT_T0_T1_T2_jjjjRNS5_12storage_typeE.has_indirect_call, 0
	.section	.AMDGPU.csdata,"",@progbits
; Function info:
; codeLenInByte = 7276
; TotalNumSgprs: 36
; NumVgprs: 51
; ScratchSize: 0
; MemoryBound: 0
	.section	.text._ZN7rocprim17ROCPRIM_400000_NS6detail17trampoline_kernelINS0_14default_configENS1_36segmented_radix_sort_config_selectorIalEEZNS1_25segmented_radix_sort_implIS3_Lb0EPKaPaPKlPlN2at6native12_GLOBAL__N_18offset_tEEE10hipError_tPvRmT1_PNSt15iterator_traitsISK_E10value_typeET2_T3_PNSL_ISQ_E10value_typeET4_jRbjT5_SW_jjP12ihipStream_tbEUlT_E1_NS1_11comp_targetILNS1_3genE2ELNS1_11target_archE906ELNS1_3gpuE6ELNS1_3repE0EEENS1_59segmented_radix_sort_warp_sort_small_config_static_selectorELNS0_4arch9wavefront6targetE1EEEvSK_,"axG",@progbits,_ZN7rocprim17ROCPRIM_400000_NS6detail17trampoline_kernelINS0_14default_configENS1_36segmented_radix_sort_config_selectorIalEEZNS1_25segmented_radix_sort_implIS3_Lb0EPKaPaPKlPlN2at6native12_GLOBAL__N_18offset_tEEE10hipError_tPvRmT1_PNSt15iterator_traitsISK_E10value_typeET2_T3_PNSL_ISQ_E10value_typeET4_jRbjT5_SW_jjP12ihipStream_tbEUlT_E1_NS1_11comp_targetILNS1_3genE2ELNS1_11target_archE906ELNS1_3gpuE6ELNS1_3repE0EEENS1_59segmented_radix_sort_warp_sort_small_config_static_selectorELNS0_4arch9wavefront6targetE1EEEvSK_,comdat
	.globl	_ZN7rocprim17ROCPRIM_400000_NS6detail17trampoline_kernelINS0_14default_configENS1_36segmented_radix_sort_config_selectorIalEEZNS1_25segmented_radix_sort_implIS3_Lb0EPKaPaPKlPlN2at6native12_GLOBAL__N_18offset_tEEE10hipError_tPvRmT1_PNSt15iterator_traitsISK_E10value_typeET2_T3_PNSL_ISQ_E10value_typeET4_jRbjT5_SW_jjP12ihipStream_tbEUlT_E1_NS1_11comp_targetILNS1_3genE2ELNS1_11target_archE906ELNS1_3gpuE6ELNS1_3repE0EEENS1_59segmented_radix_sort_warp_sort_small_config_static_selectorELNS0_4arch9wavefront6targetE1EEEvSK_ ; -- Begin function _ZN7rocprim17ROCPRIM_400000_NS6detail17trampoline_kernelINS0_14default_configENS1_36segmented_radix_sort_config_selectorIalEEZNS1_25segmented_radix_sort_implIS3_Lb0EPKaPaPKlPlN2at6native12_GLOBAL__N_18offset_tEEE10hipError_tPvRmT1_PNSt15iterator_traitsISK_E10value_typeET2_T3_PNSL_ISQ_E10value_typeET4_jRbjT5_SW_jjP12ihipStream_tbEUlT_E1_NS1_11comp_targetILNS1_3genE2ELNS1_11target_archE906ELNS1_3gpuE6ELNS1_3repE0EEENS1_59segmented_radix_sort_warp_sort_small_config_static_selectorELNS0_4arch9wavefront6targetE1EEEvSK_
	.p2align	8
	.type	_ZN7rocprim17ROCPRIM_400000_NS6detail17trampoline_kernelINS0_14default_configENS1_36segmented_radix_sort_config_selectorIalEEZNS1_25segmented_radix_sort_implIS3_Lb0EPKaPaPKlPlN2at6native12_GLOBAL__N_18offset_tEEE10hipError_tPvRmT1_PNSt15iterator_traitsISK_E10value_typeET2_T3_PNSL_ISQ_E10value_typeET4_jRbjT5_SW_jjP12ihipStream_tbEUlT_E1_NS1_11comp_targetILNS1_3genE2ELNS1_11target_archE906ELNS1_3gpuE6ELNS1_3repE0EEENS1_59segmented_radix_sort_warp_sort_small_config_static_selectorELNS0_4arch9wavefront6targetE1EEEvSK_,@function
_ZN7rocprim17ROCPRIM_400000_NS6detail17trampoline_kernelINS0_14default_configENS1_36segmented_radix_sort_config_selectorIalEEZNS1_25segmented_radix_sort_implIS3_Lb0EPKaPaPKlPlN2at6native12_GLOBAL__N_18offset_tEEE10hipError_tPvRmT1_PNSt15iterator_traitsISK_E10value_typeET2_T3_PNSL_ISQ_E10value_typeET4_jRbjT5_SW_jjP12ihipStream_tbEUlT_E1_NS1_11comp_targetILNS1_3genE2ELNS1_11target_archE906ELNS1_3gpuE6ELNS1_3repE0EEENS1_59segmented_radix_sort_warp_sort_small_config_static_selectorELNS0_4arch9wavefront6targetE1EEEvSK_: ; @_ZN7rocprim17ROCPRIM_400000_NS6detail17trampoline_kernelINS0_14default_configENS1_36segmented_radix_sort_config_selectorIalEEZNS1_25segmented_radix_sort_implIS3_Lb0EPKaPaPKlPlN2at6native12_GLOBAL__N_18offset_tEEE10hipError_tPvRmT1_PNSt15iterator_traitsISK_E10value_typeET2_T3_PNSL_ISQ_E10value_typeET4_jRbjT5_SW_jjP12ihipStream_tbEUlT_E1_NS1_11comp_targetILNS1_3genE2ELNS1_11target_archE906ELNS1_3gpuE6ELNS1_3repE0EEENS1_59segmented_radix_sort_warp_sort_small_config_static_selectorELNS0_4arch9wavefront6targetE1EEEvSK_
; %bb.0:
	s_add_u32 s0, s0, s8
	s_load_dword s8, s[4:5], 0x64
	s_addc_u32 s1, s1, 0
	s_mov_b32 s32, 0
	s_waitcnt lgkmcnt(0)
	s_lshr_b32 s9, s8, 16
	s_and_b32 s8, s8, 0xffff
	v_mad_u32_u24 v3, v2, s9, v1
	v_mad_u64_u32 v[3:4], s[8:9], v3, s8, v[0:1]
	s_load_dword s8, s[4:5], 0x34
	v_lshrrev_b32_e32 v3, 3, v3
	v_lshl_add_u32 v3, s6, 5, v3
	s_waitcnt lgkmcnt(0)
	v_cmp_gt_u32_e32 vcc, s8, v3
	s_and_saveexec_b64 s[8:9], vcc
	s_cbranch_execz .LBB418_6
; %bb.1:
	s_load_dwordx2 s[12:13], s[4:5], 0x38
	s_load_dwordx4 s[8:11], s[4:5], 0x40
	v_mov_b32_e32 v4, 0
	v_lshlrev_b64 v[3:4], 2, v[3:4]
	s_waitcnt lgkmcnt(0)
	v_mov_b32_e32 v5, s13
	v_sub_co_u32_e32 v3, vcc, s12, v3
	v_subb_co_u32_e32 v4, vcc, v5, v4, vcc
	global_load_dword v3, v[3:4], off offset:-4
	s_waitcnt vmcnt(0)
	v_add_u32_e32 v4, s9, v3
	v_add_u32_e32 v3, s11, v3
	v_mul_lo_u32 v8, v4, s8
	v_mul_lo_u32 v40, v3, s10
	v_cmp_gt_u32_e32 vcc, v40, v8
	s_and_b64 exec, exec, vcc
	s_cbranch_execz .LBB418_6
; %bb.2:
	s_load_dword s10, s[4:5], 0x30
	s_load_dwordx4 s[44:47], s[4:5], 0x20
	s_load_dwordx8 s[36:43], s[4:5], 0x0
	s_load_dwordx2 s[34:35], s[4:5], 0x50
	s_mov_b64 s[8:9], -1
	s_waitcnt lgkmcnt(0)
	s_bitcmp0_b32 s10, 0
	v_lshlrev_b32_e32 v42, 20, v2
	v_lshlrev_b32_e32 v43, 10, v1
	s_cbranch_scc0 .LBB418_4
; %bb.3:
	s_add_u32 s8, s4, 0x58
	s_mov_b64 s[10:11], src_shared_base
	s_addc_u32 s9, s5, 0
	s_getpc_b64 s[14:15]
	s_add_u32 s14, s14, _ZN7rocprim17ROCPRIM_400000_NS6detail26segmented_warp_sort_helperINS1_20WarpSortHelperConfigILj8ELj4ELj256EEEalLi256ELb0EvE4sortIPKaPaPKlPlEEvT_T0_T1_T2_jjjjRNS5_12storage_typeE@rel32@lo+4
	s_addc_u32 s15, s15, _ZN7rocprim17ROCPRIM_400000_NS6detail26segmented_warp_sort_helperINS1_20WarpSortHelperConfigILj8ELj4ELj256EEEalLi256ELb0EvE4sortIPKaPaPKlPlEEvT_T0_T1_T2_jjjjRNS5_12storage_typeE@rel32@hi+12
	v_or3_b32 v31, v0, v43, v42
	s_mov_b32 s12, s6
	s_mov_b32 s13, s7
	v_mov_b32_e32 v41, v0
	v_mov_b32_e32 v0, s36
	;; [unrolled: 1-line block ×14, first 2 shown]
	s_mov_b64 s[38:39], s[4:5]
	s_mov_b32 s44, s7
	s_mov_b32 s33, s6
	s_swappc_b64 s[30:31], s[14:15]
	v_mov_b32_e32 v0, v41
	s_mov_b32 s6, s33
	s_mov_b32 s7, s44
	s_mov_b64 s[4:5], s[38:39]
	s_mov_b64 s[8:9], 0
.LBB418_4:
	s_andn2_b64 vcc, exec, s[8:9]
	s_cbranch_vccnz .LBB418_6
; %bb.5:
	s_add_u32 s8, s4, 0x58
	s_mov_b64 s[10:11], src_shared_base
	s_addc_u32 s9, s5, 0
	s_getpc_b64 s[4:5]
	s_add_u32 s4, s4, _ZN7rocprim17ROCPRIM_400000_NS6detail26segmented_warp_sort_helperINS1_20WarpSortHelperConfigILj8ELj4ELj256EEEalLi256ELb0EvE4sortIPKaPaPKlPlEEvT_T0_T1_T2_jjjjRNS5_12storage_typeE@rel32@lo+4
	s_addc_u32 s5, s5, _ZN7rocprim17ROCPRIM_400000_NS6detail26segmented_warp_sort_helperINS1_20WarpSortHelperConfigILj8ELj4ELj256EEEalLi256ELb0EvE4sortIPKaPaPKlPlEEvT_T0_T1_T2_jjjjRNS5_12storage_typeE@rel32@hi+12
	v_or3_b32 v31, v0, v43, v42
	s_mov_b32 s12, s6
	s_mov_b32 s13, s7
	v_mov_b32_e32 v0, s36
	v_mov_b32_e32 v1, s37
	;; [unrolled: 1-line block ×13, first 2 shown]
	s_swappc_b64 s[30:31], s[4:5]
.LBB418_6:
	s_endpgm
	.section	.rodata,"a",@progbits
	.p2align	6, 0x0
	.amdhsa_kernel _ZN7rocprim17ROCPRIM_400000_NS6detail17trampoline_kernelINS0_14default_configENS1_36segmented_radix_sort_config_selectorIalEEZNS1_25segmented_radix_sort_implIS3_Lb0EPKaPaPKlPlN2at6native12_GLOBAL__N_18offset_tEEE10hipError_tPvRmT1_PNSt15iterator_traitsISK_E10value_typeET2_T3_PNSL_ISQ_E10value_typeET4_jRbjT5_SW_jjP12ihipStream_tbEUlT_E1_NS1_11comp_targetILNS1_3genE2ELNS1_11target_archE906ELNS1_3gpuE6ELNS1_3repE0EEENS1_59segmented_radix_sort_warp_sort_small_config_static_selectorELNS0_4arch9wavefront6targetE1EEEvSK_
		.amdhsa_group_segment_fixed_size 9216
		.amdhsa_private_segment_fixed_size 0
		.amdhsa_kernarg_size 344
		.amdhsa_user_sgpr_count 6
		.amdhsa_user_sgpr_private_segment_buffer 1
		.amdhsa_user_sgpr_dispatch_ptr 0
		.amdhsa_user_sgpr_queue_ptr 0
		.amdhsa_user_sgpr_kernarg_segment_ptr 1
		.amdhsa_user_sgpr_dispatch_id 0
		.amdhsa_user_sgpr_flat_scratch_init 0
		.amdhsa_user_sgpr_private_segment_size 0
		.amdhsa_uses_dynamic_stack 0
		.amdhsa_system_sgpr_private_segment_wavefront_offset 0
		.amdhsa_system_sgpr_workgroup_id_x 1
		.amdhsa_system_sgpr_workgroup_id_y 1
		.amdhsa_system_sgpr_workgroup_id_z 0
		.amdhsa_system_sgpr_workgroup_info 0
		.amdhsa_system_vgpr_workitem_id 2
		.amdhsa_next_free_vgpr 51
		.amdhsa_next_free_sgpr 77
		.amdhsa_reserve_vcc 1
		.amdhsa_reserve_flat_scratch 0
		.amdhsa_float_round_mode_32 0
		.amdhsa_float_round_mode_16_64 0
		.amdhsa_float_denorm_mode_32 3
		.amdhsa_float_denorm_mode_16_64 3
		.amdhsa_dx10_clamp 1
		.amdhsa_ieee_mode 1
		.amdhsa_fp16_overflow 0
		.amdhsa_exception_fp_ieee_invalid_op 0
		.amdhsa_exception_fp_denorm_src 0
		.amdhsa_exception_fp_ieee_div_zero 0
		.amdhsa_exception_fp_ieee_overflow 0
		.amdhsa_exception_fp_ieee_underflow 0
		.amdhsa_exception_fp_ieee_inexact 0
		.amdhsa_exception_int_div_zero 0
	.end_amdhsa_kernel
	.section	.text._ZN7rocprim17ROCPRIM_400000_NS6detail17trampoline_kernelINS0_14default_configENS1_36segmented_radix_sort_config_selectorIalEEZNS1_25segmented_radix_sort_implIS3_Lb0EPKaPaPKlPlN2at6native12_GLOBAL__N_18offset_tEEE10hipError_tPvRmT1_PNSt15iterator_traitsISK_E10value_typeET2_T3_PNSL_ISQ_E10value_typeET4_jRbjT5_SW_jjP12ihipStream_tbEUlT_E1_NS1_11comp_targetILNS1_3genE2ELNS1_11target_archE906ELNS1_3gpuE6ELNS1_3repE0EEENS1_59segmented_radix_sort_warp_sort_small_config_static_selectorELNS0_4arch9wavefront6targetE1EEEvSK_,"axG",@progbits,_ZN7rocprim17ROCPRIM_400000_NS6detail17trampoline_kernelINS0_14default_configENS1_36segmented_radix_sort_config_selectorIalEEZNS1_25segmented_radix_sort_implIS3_Lb0EPKaPaPKlPlN2at6native12_GLOBAL__N_18offset_tEEE10hipError_tPvRmT1_PNSt15iterator_traitsISK_E10value_typeET2_T3_PNSL_ISQ_E10value_typeET4_jRbjT5_SW_jjP12ihipStream_tbEUlT_E1_NS1_11comp_targetILNS1_3genE2ELNS1_11target_archE906ELNS1_3gpuE6ELNS1_3repE0EEENS1_59segmented_radix_sort_warp_sort_small_config_static_selectorELNS0_4arch9wavefront6targetE1EEEvSK_,comdat
.Lfunc_end418:
	.size	_ZN7rocprim17ROCPRIM_400000_NS6detail17trampoline_kernelINS0_14default_configENS1_36segmented_radix_sort_config_selectorIalEEZNS1_25segmented_radix_sort_implIS3_Lb0EPKaPaPKlPlN2at6native12_GLOBAL__N_18offset_tEEE10hipError_tPvRmT1_PNSt15iterator_traitsISK_E10value_typeET2_T3_PNSL_ISQ_E10value_typeET4_jRbjT5_SW_jjP12ihipStream_tbEUlT_E1_NS1_11comp_targetILNS1_3genE2ELNS1_11target_archE906ELNS1_3gpuE6ELNS1_3repE0EEENS1_59segmented_radix_sort_warp_sort_small_config_static_selectorELNS0_4arch9wavefront6targetE1EEEvSK_, .Lfunc_end418-_ZN7rocprim17ROCPRIM_400000_NS6detail17trampoline_kernelINS0_14default_configENS1_36segmented_radix_sort_config_selectorIalEEZNS1_25segmented_radix_sort_implIS3_Lb0EPKaPaPKlPlN2at6native12_GLOBAL__N_18offset_tEEE10hipError_tPvRmT1_PNSt15iterator_traitsISK_E10value_typeET2_T3_PNSL_ISQ_E10value_typeET4_jRbjT5_SW_jjP12ihipStream_tbEUlT_E1_NS1_11comp_targetILNS1_3genE2ELNS1_11target_archE906ELNS1_3gpuE6ELNS1_3repE0EEENS1_59segmented_radix_sort_warp_sort_small_config_static_selectorELNS0_4arch9wavefront6targetE1EEEvSK_
                                        ; -- End function
	.set _ZN7rocprim17ROCPRIM_400000_NS6detail17trampoline_kernelINS0_14default_configENS1_36segmented_radix_sort_config_selectorIalEEZNS1_25segmented_radix_sort_implIS3_Lb0EPKaPaPKlPlN2at6native12_GLOBAL__N_18offset_tEEE10hipError_tPvRmT1_PNSt15iterator_traitsISK_E10value_typeET2_T3_PNSL_ISQ_E10value_typeET4_jRbjT5_SW_jjP12ihipStream_tbEUlT_E1_NS1_11comp_targetILNS1_3genE2ELNS1_11target_archE906ELNS1_3gpuE6ELNS1_3repE0EEENS1_59segmented_radix_sort_warp_sort_small_config_static_selectorELNS0_4arch9wavefront6targetE1EEEvSK_.num_vgpr, max(44, .L_ZN7rocprim17ROCPRIM_400000_NS6detail26segmented_warp_sort_helperINS1_20WarpSortHelperConfigILj8ELj4ELj256EEEalLi256ELb0EvE4sortIPKaPaPKlPlEEvT_T0_T1_T2_jjjjRNS5_12storage_typeE.num_vgpr)
	.set _ZN7rocprim17ROCPRIM_400000_NS6detail17trampoline_kernelINS0_14default_configENS1_36segmented_radix_sort_config_selectorIalEEZNS1_25segmented_radix_sort_implIS3_Lb0EPKaPaPKlPlN2at6native12_GLOBAL__N_18offset_tEEE10hipError_tPvRmT1_PNSt15iterator_traitsISK_E10value_typeET2_T3_PNSL_ISQ_E10value_typeET4_jRbjT5_SW_jjP12ihipStream_tbEUlT_E1_NS1_11comp_targetILNS1_3genE2ELNS1_11target_archE906ELNS1_3gpuE6ELNS1_3repE0EEENS1_59segmented_radix_sort_warp_sort_small_config_static_selectorELNS0_4arch9wavefront6targetE1EEEvSK_.num_agpr, max(0, .L_ZN7rocprim17ROCPRIM_400000_NS6detail26segmented_warp_sort_helperINS1_20WarpSortHelperConfigILj8ELj4ELj256EEEalLi256ELb0EvE4sortIPKaPaPKlPlEEvT_T0_T1_T2_jjjjRNS5_12storage_typeE.num_agpr)
	.set _ZN7rocprim17ROCPRIM_400000_NS6detail17trampoline_kernelINS0_14default_configENS1_36segmented_radix_sort_config_selectorIalEEZNS1_25segmented_radix_sort_implIS3_Lb0EPKaPaPKlPlN2at6native12_GLOBAL__N_18offset_tEEE10hipError_tPvRmT1_PNSt15iterator_traitsISK_E10value_typeET2_T3_PNSL_ISQ_E10value_typeET4_jRbjT5_SW_jjP12ihipStream_tbEUlT_E1_NS1_11comp_targetILNS1_3genE2ELNS1_11target_archE906ELNS1_3gpuE6ELNS1_3repE0EEENS1_59segmented_radix_sort_warp_sort_small_config_static_selectorELNS0_4arch9wavefront6targetE1EEEvSK_.numbered_sgpr, max(48, .L_ZN7rocprim17ROCPRIM_400000_NS6detail26segmented_warp_sort_helperINS1_20WarpSortHelperConfigILj8ELj4ELj256EEEalLi256ELb0EvE4sortIPKaPaPKlPlEEvT_T0_T1_T2_jjjjRNS5_12storage_typeE.numbered_sgpr)
	.set _ZN7rocprim17ROCPRIM_400000_NS6detail17trampoline_kernelINS0_14default_configENS1_36segmented_radix_sort_config_selectorIalEEZNS1_25segmented_radix_sort_implIS3_Lb0EPKaPaPKlPlN2at6native12_GLOBAL__N_18offset_tEEE10hipError_tPvRmT1_PNSt15iterator_traitsISK_E10value_typeET2_T3_PNSL_ISQ_E10value_typeET4_jRbjT5_SW_jjP12ihipStream_tbEUlT_E1_NS1_11comp_targetILNS1_3genE2ELNS1_11target_archE906ELNS1_3gpuE6ELNS1_3repE0EEENS1_59segmented_radix_sort_warp_sort_small_config_static_selectorELNS0_4arch9wavefront6targetE1EEEvSK_.num_named_barrier, max(0, .L_ZN7rocprim17ROCPRIM_400000_NS6detail26segmented_warp_sort_helperINS1_20WarpSortHelperConfigILj8ELj4ELj256EEEalLi256ELb0EvE4sortIPKaPaPKlPlEEvT_T0_T1_T2_jjjjRNS5_12storage_typeE.num_named_barrier)
	.set _ZN7rocprim17ROCPRIM_400000_NS6detail17trampoline_kernelINS0_14default_configENS1_36segmented_radix_sort_config_selectorIalEEZNS1_25segmented_radix_sort_implIS3_Lb0EPKaPaPKlPlN2at6native12_GLOBAL__N_18offset_tEEE10hipError_tPvRmT1_PNSt15iterator_traitsISK_E10value_typeET2_T3_PNSL_ISQ_E10value_typeET4_jRbjT5_SW_jjP12ihipStream_tbEUlT_E1_NS1_11comp_targetILNS1_3genE2ELNS1_11target_archE906ELNS1_3gpuE6ELNS1_3repE0EEENS1_59segmented_radix_sort_warp_sort_small_config_static_selectorELNS0_4arch9wavefront6targetE1EEEvSK_.private_seg_size, 0+max(.L_ZN7rocprim17ROCPRIM_400000_NS6detail26segmented_warp_sort_helperINS1_20WarpSortHelperConfigILj8ELj4ELj256EEEalLi256ELb0EvE4sortIPKaPaPKlPlEEvT_T0_T1_T2_jjjjRNS5_12storage_typeE.private_seg_size)
	.set _ZN7rocprim17ROCPRIM_400000_NS6detail17trampoline_kernelINS0_14default_configENS1_36segmented_radix_sort_config_selectorIalEEZNS1_25segmented_radix_sort_implIS3_Lb0EPKaPaPKlPlN2at6native12_GLOBAL__N_18offset_tEEE10hipError_tPvRmT1_PNSt15iterator_traitsISK_E10value_typeET2_T3_PNSL_ISQ_E10value_typeET4_jRbjT5_SW_jjP12ihipStream_tbEUlT_E1_NS1_11comp_targetILNS1_3genE2ELNS1_11target_archE906ELNS1_3gpuE6ELNS1_3repE0EEENS1_59segmented_radix_sort_warp_sort_small_config_static_selectorELNS0_4arch9wavefront6targetE1EEEvSK_.uses_vcc, or(1, .L_ZN7rocprim17ROCPRIM_400000_NS6detail26segmented_warp_sort_helperINS1_20WarpSortHelperConfigILj8ELj4ELj256EEEalLi256ELb0EvE4sortIPKaPaPKlPlEEvT_T0_T1_T2_jjjjRNS5_12storage_typeE.uses_vcc)
	.set _ZN7rocprim17ROCPRIM_400000_NS6detail17trampoline_kernelINS0_14default_configENS1_36segmented_radix_sort_config_selectorIalEEZNS1_25segmented_radix_sort_implIS3_Lb0EPKaPaPKlPlN2at6native12_GLOBAL__N_18offset_tEEE10hipError_tPvRmT1_PNSt15iterator_traitsISK_E10value_typeET2_T3_PNSL_ISQ_E10value_typeET4_jRbjT5_SW_jjP12ihipStream_tbEUlT_E1_NS1_11comp_targetILNS1_3genE2ELNS1_11target_archE906ELNS1_3gpuE6ELNS1_3repE0EEENS1_59segmented_radix_sort_warp_sort_small_config_static_selectorELNS0_4arch9wavefront6targetE1EEEvSK_.uses_flat_scratch, or(0, .L_ZN7rocprim17ROCPRIM_400000_NS6detail26segmented_warp_sort_helperINS1_20WarpSortHelperConfigILj8ELj4ELj256EEEalLi256ELb0EvE4sortIPKaPaPKlPlEEvT_T0_T1_T2_jjjjRNS5_12storage_typeE.uses_flat_scratch)
	.set _ZN7rocprim17ROCPRIM_400000_NS6detail17trampoline_kernelINS0_14default_configENS1_36segmented_radix_sort_config_selectorIalEEZNS1_25segmented_radix_sort_implIS3_Lb0EPKaPaPKlPlN2at6native12_GLOBAL__N_18offset_tEEE10hipError_tPvRmT1_PNSt15iterator_traitsISK_E10value_typeET2_T3_PNSL_ISQ_E10value_typeET4_jRbjT5_SW_jjP12ihipStream_tbEUlT_E1_NS1_11comp_targetILNS1_3genE2ELNS1_11target_archE906ELNS1_3gpuE6ELNS1_3repE0EEENS1_59segmented_radix_sort_warp_sort_small_config_static_selectorELNS0_4arch9wavefront6targetE1EEEvSK_.has_dyn_sized_stack, or(0, .L_ZN7rocprim17ROCPRIM_400000_NS6detail26segmented_warp_sort_helperINS1_20WarpSortHelperConfigILj8ELj4ELj256EEEalLi256ELb0EvE4sortIPKaPaPKlPlEEvT_T0_T1_T2_jjjjRNS5_12storage_typeE.has_dyn_sized_stack)
	.set _ZN7rocprim17ROCPRIM_400000_NS6detail17trampoline_kernelINS0_14default_configENS1_36segmented_radix_sort_config_selectorIalEEZNS1_25segmented_radix_sort_implIS3_Lb0EPKaPaPKlPlN2at6native12_GLOBAL__N_18offset_tEEE10hipError_tPvRmT1_PNSt15iterator_traitsISK_E10value_typeET2_T3_PNSL_ISQ_E10value_typeET4_jRbjT5_SW_jjP12ihipStream_tbEUlT_E1_NS1_11comp_targetILNS1_3genE2ELNS1_11target_archE906ELNS1_3gpuE6ELNS1_3repE0EEENS1_59segmented_radix_sort_warp_sort_small_config_static_selectorELNS0_4arch9wavefront6targetE1EEEvSK_.has_recursion, or(0, .L_ZN7rocprim17ROCPRIM_400000_NS6detail26segmented_warp_sort_helperINS1_20WarpSortHelperConfigILj8ELj4ELj256EEEalLi256ELb0EvE4sortIPKaPaPKlPlEEvT_T0_T1_T2_jjjjRNS5_12storage_typeE.has_recursion)
	.set _ZN7rocprim17ROCPRIM_400000_NS6detail17trampoline_kernelINS0_14default_configENS1_36segmented_radix_sort_config_selectorIalEEZNS1_25segmented_radix_sort_implIS3_Lb0EPKaPaPKlPlN2at6native12_GLOBAL__N_18offset_tEEE10hipError_tPvRmT1_PNSt15iterator_traitsISK_E10value_typeET2_T3_PNSL_ISQ_E10value_typeET4_jRbjT5_SW_jjP12ihipStream_tbEUlT_E1_NS1_11comp_targetILNS1_3genE2ELNS1_11target_archE906ELNS1_3gpuE6ELNS1_3repE0EEENS1_59segmented_radix_sort_warp_sort_small_config_static_selectorELNS0_4arch9wavefront6targetE1EEEvSK_.has_indirect_call, or(0, .L_ZN7rocprim17ROCPRIM_400000_NS6detail26segmented_warp_sort_helperINS1_20WarpSortHelperConfigILj8ELj4ELj256EEEalLi256ELb0EvE4sortIPKaPaPKlPlEEvT_T0_T1_T2_jjjjRNS5_12storage_typeE.has_indirect_call)
	.section	.AMDGPU.csdata,"",@progbits
; Kernel info:
; codeLenInByte = 500
; TotalNumSgprs: 52
; NumVgprs: 51
; ScratchSize: 0
; MemoryBound: 0
; FloatMode: 240
; IeeeMode: 1
; LDSByteSize: 9216 bytes/workgroup (compile time only)
; SGPRBlocks: 10
; VGPRBlocks: 12
; NumSGPRsForWavesPerEU: 81
; NumVGPRsForWavesPerEU: 51
; Occupancy: 4
; WaveLimiterHint : 0
; COMPUTE_PGM_RSRC2:SCRATCH_EN: 0
; COMPUTE_PGM_RSRC2:USER_SGPR: 6
; COMPUTE_PGM_RSRC2:TRAP_HANDLER: 0
; COMPUTE_PGM_RSRC2:TGID_X_EN: 1
; COMPUTE_PGM_RSRC2:TGID_Y_EN: 1
; COMPUTE_PGM_RSRC2:TGID_Z_EN: 0
; COMPUTE_PGM_RSRC2:TIDIG_COMP_CNT: 2
	.section	.text._ZN7rocprim17ROCPRIM_400000_NS6detail17trampoline_kernelINS0_14default_configENS1_36segmented_radix_sort_config_selectorIalEEZNS1_25segmented_radix_sort_implIS3_Lb0EPKaPaPKlPlN2at6native12_GLOBAL__N_18offset_tEEE10hipError_tPvRmT1_PNSt15iterator_traitsISK_E10value_typeET2_T3_PNSL_ISQ_E10value_typeET4_jRbjT5_SW_jjP12ihipStream_tbEUlT_E1_NS1_11comp_targetILNS1_3genE10ELNS1_11target_archE1201ELNS1_3gpuE5ELNS1_3repE0EEENS1_59segmented_radix_sort_warp_sort_small_config_static_selectorELNS0_4arch9wavefront6targetE1EEEvSK_,"axG",@progbits,_ZN7rocprim17ROCPRIM_400000_NS6detail17trampoline_kernelINS0_14default_configENS1_36segmented_radix_sort_config_selectorIalEEZNS1_25segmented_radix_sort_implIS3_Lb0EPKaPaPKlPlN2at6native12_GLOBAL__N_18offset_tEEE10hipError_tPvRmT1_PNSt15iterator_traitsISK_E10value_typeET2_T3_PNSL_ISQ_E10value_typeET4_jRbjT5_SW_jjP12ihipStream_tbEUlT_E1_NS1_11comp_targetILNS1_3genE10ELNS1_11target_archE1201ELNS1_3gpuE5ELNS1_3repE0EEENS1_59segmented_radix_sort_warp_sort_small_config_static_selectorELNS0_4arch9wavefront6targetE1EEEvSK_,comdat
	.globl	_ZN7rocprim17ROCPRIM_400000_NS6detail17trampoline_kernelINS0_14default_configENS1_36segmented_radix_sort_config_selectorIalEEZNS1_25segmented_radix_sort_implIS3_Lb0EPKaPaPKlPlN2at6native12_GLOBAL__N_18offset_tEEE10hipError_tPvRmT1_PNSt15iterator_traitsISK_E10value_typeET2_T3_PNSL_ISQ_E10value_typeET4_jRbjT5_SW_jjP12ihipStream_tbEUlT_E1_NS1_11comp_targetILNS1_3genE10ELNS1_11target_archE1201ELNS1_3gpuE5ELNS1_3repE0EEENS1_59segmented_radix_sort_warp_sort_small_config_static_selectorELNS0_4arch9wavefront6targetE1EEEvSK_ ; -- Begin function _ZN7rocprim17ROCPRIM_400000_NS6detail17trampoline_kernelINS0_14default_configENS1_36segmented_radix_sort_config_selectorIalEEZNS1_25segmented_radix_sort_implIS3_Lb0EPKaPaPKlPlN2at6native12_GLOBAL__N_18offset_tEEE10hipError_tPvRmT1_PNSt15iterator_traitsISK_E10value_typeET2_T3_PNSL_ISQ_E10value_typeET4_jRbjT5_SW_jjP12ihipStream_tbEUlT_E1_NS1_11comp_targetILNS1_3genE10ELNS1_11target_archE1201ELNS1_3gpuE5ELNS1_3repE0EEENS1_59segmented_radix_sort_warp_sort_small_config_static_selectorELNS0_4arch9wavefront6targetE1EEEvSK_
	.p2align	8
	.type	_ZN7rocprim17ROCPRIM_400000_NS6detail17trampoline_kernelINS0_14default_configENS1_36segmented_radix_sort_config_selectorIalEEZNS1_25segmented_radix_sort_implIS3_Lb0EPKaPaPKlPlN2at6native12_GLOBAL__N_18offset_tEEE10hipError_tPvRmT1_PNSt15iterator_traitsISK_E10value_typeET2_T3_PNSL_ISQ_E10value_typeET4_jRbjT5_SW_jjP12ihipStream_tbEUlT_E1_NS1_11comp_targetILNS1_3genE10ELNS1_11target_archE1201ELNS1_3gpuE5ELNS1_3repE0EEENS1_59segmented_radix_sort_warp_sort_small_config_static_selectorELNS0_4arch9wavefront6targetE1EEEvSK_,@function
_ZN7rocprim17ROCPRIM_400000_NS6detail17trampoline_kernelINS0_14default_configENS1_36segmented_radix_sort_config_selectorIalEEZNS1_25segmented_radix_sort_implIS3_Lb0EPKaPaPKlPlN2at6native12_GLOBAL__N_18offset_tEEE10hipError_tPvRmT1_PNSt15iterator_traitsISK_E10value_typeET2_T3_PNSL_ISQ_E10value_typeET4_jRbjT5_SW_jjP12ihipStream_tbEUlT_E1_NS1_11comp_targetILNS1_3genE10ELNS1_11target_archE1201ELNS1_3gpuE5ELNS1_3repE0EEENS1_59segmented_radix_sort_warp_sort_small_config_static_selectorELNS0_4arch9wavefront6targetE1EEEvSK_: ; @_ZN7rocprim17ROCPRIM_400000_NS6detail17trampoline_kernelINS0_14default_configENS1_36segmented_radix_sort_config_selectorIalEEZNS1_25segmented_radix_sort_implIS3_Lb0EPKaPaPKlPlN2at6native12_GLOBAL__N_18offset_tEEE10hipError_tPvRmT1_PNSt15iterator_traitsISK_E10value_typeET2_T3_PNSL_ISQ_E10value_typeET4_jRbjT5_SW_jjP12ihipStream_tbEUlT_E1_NS1_11comp_targetILNS1_3genE10ELNS1_11target_archE1201ELNS1_3gpuE5ELNS1_3repE0EEENS1_59segmented_radix_sort_warp_sort_small_config_static_selectorELNS0_4arch9wavefront6targetE1EEEvSK_
; %bb.0:
	.section	.rodata,"a",@progbits
	.p2align	6, 0x0
	.amdhsa_kernel _ZN7rocprim17ROCPRIM_400000_NS6detail17trampoline_kernelINS0_14default_configENS1_36segmented_radix_sort_config_selectorIalEEZNS1_25segmented_radix_sort_implIS3_Lb0EPKaPaPKlPlN2at6native12_GLOBAL__N_18offset_tEEE10hipError_tPvRmT1_PNSt15iterator_traitsISK_E10value_typeET2_T3_PNSL_ISQ_E10value_typeET4_jRbjT5_SW_jjP12ihipStream_tbEUlT_E1_NS1_11comp_targetILNS1_3genE10ELNS1_11target_archE1201ELNS1_3gpuE5ELNS1_3repE0EEENS1_59segmented_radix_sort_warp_sort_small_config_static_selectorELNS0_4arch9wavefront6targetE1EEEvSK_
		.amdhsa_group_segment_fixed_size 0
		.amdhsa_private_segment_fixed_size 0
		.amdhsa_kernarg_size 88
		.amdhsa_user_sgpr_count 6
		.amdhsa_user_sgpr_private_segment_buffer 1
		.amdhsa_user_sgpr_dispatch_ptr 0
		.amdhsa_user_sgpr_queue_ptr 0
		.amdhsa_user_sgpr_kernarg_segment_ptr 1
		.amdhsa_user_sgpr_dispatch_id 0
		.amdhsa_user_sgpr_flat_scratch_init 0
		.amdhsa_user_sgpr_private_segment_size 0
		.amdhsa_uses_dynamic_stack 0
		.amdhsa_system_sgpr_private_segment_wavefront_offset 0
		.amdhsa_system_sgpr_workgroup_id_x 1
		.amdhsa_system_sgpr_workgroup_id_y 0
		.amdhsa_system_sgpr_workgroup_id_z 0
		.amdhsa_system_sgpr_workgroup_info 0
		.amdhsa_system_vgpr_workitem_id 0
		.amdhsa_next_free_vgpr 1
		.amdhsa_next_free_sgpr 0
		.amdhsa_reserve_vcc 0
		.amdhsa_reserve_flat_scratch 0
		.amdhsa_float_round_mode_32 0
		.amdhsa_float_round_mode_16_64 0
		.amdhsa_float_denorm_mode_32 3
		.amdhsa_float_denorm_mode_16_64 3
		.amdhsa_dx10_clamp 1
		.amdhsa_ieee_mode 1
		.amdhsa_fp16_overflow 0
		.amdhsa_exception_fp_ieee_invalid_op 0
		.amdhsa_exception_fp_denorm_src 0
		.amdhsa_exception_fp_ieee_div_zero 0
		.amdhsa_exception_fp_ieee_overflow 0
		.amdhsa_exception_fp_ieee_underflow 0
		.amdhsa_exception_fp_ieee_inexact 0
		.amdhsa_exception_int_div_zero 0
	.end_amdhsa_kernel
	.section	.text._ZN7rocprim17ROCPRIM_400000_NS6detail17trampoline_kernelINS0_14default_configENS1_36segmented_radix_sort_config_selectorIalEEZNS1_25segmented_radix_sort_implIS3_Lb0EPKaPaPKlPlN2at6native12_GLOBAL__N_18offset_tEEE10hipError_tPvRmT1_PNSt15iterator_traitsISK_E10value_typeET2_T3_PNSL_ISQ_E10value_typeET4_jRbjT5_SW_jjP12ihipStream_tbEUlT_E1_NS1_11comp_targetILNS1_3genE10ELNS1_11target_archE1201ELNS1_3gpuE5ELNS1_3repE0EEENS1_59segmented_radix_sort_warp_sort_small_config_static_selectorELNS0_4arch9wavefront6targetE1EEEvSK_,"axG",@progbits,_ZN7rocprim17ROCPRIM_400000_NS6detail17trampoline_kernelINS0_14default_configENS1_36segmented_radix_sort_config_selectorIalEEZNS1_25segmented_radix_sort_implIS3_Lb0EPKaPaPKlPlN2at6native12_GLOBAL__N_18offset_tEEE10hipError_tPvRmT1_PNSt15iterator_traitsISK_E10value_typeET2_T3_PNSL_ISQ_E10value_typeET4_jRbjT5_SW_jjP12ihipStream_tbEUlT_E1_NS1_11comp_targetILNS1_3genE10ELNS1_11target_archE1201ELNS1_3gpuE5ELNS1_3repE0EEENS1_59segmented_radix_sort_warp_sort_small_config_static_selectorELNS0_4arch9wavefront6targetE1EEEvSK_,comdat
.Lfunc_end419:
	.size	_ZN7rocprim17ROCPRIM_400000_NS6detail17trampoline_kernelINS0_14default_configENS1_36segmented_radix_sort_config_selectorIalEEZNS1_25segmented_radix_sort_implIS3_Lb0EPKaPaPKlPlN2at6native12_GLOBAL__N_18offset_tEEE10hipError_tPvRmT1_PNSt15iterator_traitsISK_E10value_typeET2_T3_PNSL_ISQ_E10value_typeET4_jRbjT5_SW_jjP12ihipStream_tbEUlT_E1_NS1_11comp_targetILNS1_3genE10ELNS1_11target_archE1201ELNS1_3gpuE5ELNS1_3repE0EEENS1_59segmented_radix_sort_warp_sort_small_config_static_selectorELNS0_4arch9wavefront6targetE1EEEvSK_, .Lfunc_end419-_ZN7rocprim17ROCPRIM_400000_NS6detail17trampoline_kernelINS0_14default_configENS1_36segmented_radix_sort_config_selectorIalEEZNS1_25segmented_radix_sort_implIS3_Lb0EPKaPaPKlPlN2at6native12_GLOBAL__N_18offset_tEEE10hipError_tPvRmT1_PNSt15iterator_traitsISK_E10value_typeET2_T3_PNSL_ISQ_E10value_typeET4_jRbjT5_SW_jjP12ihipStream_tbEUlT_E1_NS1_11comp_targetILNS1_3genE10ELNS1_11target_archE1201ELNS1_3gpuE5ELNS1_3repE0EEENS1_59segmented_radix_sort_warp_sort_small_config_static_selectorELNS0_4arch9wavefront6targetE1EEEvSK_
                                        ; -- End function
	.set _ZN7rocprim17ROCPRIM_400000_NS6detail17trampoline_kernelINS0_14default_configENS1_36segmented_radix_sort_config_selectorIalEEZNS1_25segmented_radix_sort_implIS3_Lb0EPKaPaPKlPlN2at6native12_GLOBAL__N_18offset_tEEE10hipError_tPvRmT1_PNSt15iterator_traitsISK_E10value_typeET2_T3_PNSL_ISQ_E10value_typeET4_jRbjT5_SW_jjP12ihipStream_tbEUlT_E1_NS1_11comp_targetILNS1_3genE10ELNS1_11target_archE1201ELNS1_3gpuE5ELNS1_3repE0EEENS1_59segmented_radix_sort_warp_sort_small_config_static_selectorELNS0_4arch9wavefront6targetE1EEEvSK_.num_vgpr, 0
	.set _ZN7rocprim17ROCPRIM_400000_NS6detail17trampoline_kernelINS0_14default_configENS1_36segmented_radix_sort_config_selectorIalEEZNS1_25segmented_radix_sort_implIS3_Lb0EPKaPaPKlPlN2at6native12_GLOBAL__N_18offset_tEEE10hipError_tPvRmT1_PNSt15iterator_traitsISK_E10value_typeET2_T3_PNSL_ISQ_E10value_typeET4_jRbjT5_SW_jjP12ihipStream_tbEUlT_E1_NS1_11comp_targetILNS1_3genE10ELNS1_11target_archE1201ELNS1_3gpuE5ELNS1_3repE0EEENS1_59segmented_radix_sort_warp_sort_small_config_static_selectorELNS0_4arch9wavefront6targetE1EEEvSK_.num_agpr, 0
	.set _ZN7rocprim17ROCPRIM_400000_NS6detail17trampoline_kernelINS0_14default_configENS1_36segmented_radix_sort_config_selectorIalEEZNS1_25segmented_radix_sort_implIS3_Lb0EPKaPaPKlPlN2at6native12_GLOBAL__N_18offset_tEEE10hipError_tPvRmT1_PNSt15iterator_traitsISK_E10value_typeET2_T3_PNSL_ISQ_E10value_typeET4_jRbjT5_SW_jjP12ihipStream_tbEUlT_E1_NS1_11comp_targetILNS1_3genE10ELNS1_11target_archE1201ELNS1_3gpuE5ELNS1_3repE0EEENS1_59segmented_radix_sort_warp_sort_small_config_static_selectorELNS0_4arch9wavefront6targetE1EEEvSK_.numbered_sgpr, 0
	.set _ZN7rocprim17ROCPRIM_400000_NS6detail17trampoline_kernelINS0_14default_configENS1_36segmented_radix_sort_config_selectorIalEEZNS1_25segmented_radix_sort_implIS3_Lb0EPKaPaPKlPlN2at6native12_GLOBAL__N_18offset_tEEE10hipError_tPvRmT1_PNSt15iterator_traitsISK_E10value_typeET2_T3_PNSL_ISQ_E10value_typeET4_jRbjT5_SW_jjP12ihipStream_tbEUlT_E1_NS1_11comp_targetILNS1_3genE10ELNS1_11target_archE1201ELNS1_3gpuE5ELNS1_3repE0EEENS1_59segmented_radix_sort_warp_sort_small_config_static_selectorELNS0_4arch9wavefront6targetE1EEEvSK_.num_named_barrier, 0
	.set _ZN7rocprim17ROCPRIM_400000_NS6detail17trampoline_kernelINS0_14default_configENS1_36segmented_radix_sort_config_selectorIalEEZNS1_25segmented_radix_sort_implIS3_Lb0EPKaPaPKlPlN2at6native12_GLOBAL__N_18offset_tEEE10hipError_tPvRmT1_PNSt15iterator_traitsISK_E10value_typeET2_T3_PNSL_ISQ_E10value_typeET4_jRbjT5_SW_jjP12ihipStream_tbEUlT_E1_NS1_11comp_targetILNS1_3genE10ELNS1_11target_archE1201ELNS1_3gpuE5ELNS1_3repE0EEENS1_59segmented_radix_sort_warp_sort_small_config_static_selectorELNS0_4arch9wavefront6targetE1EEEvSK_.private_seg_size, 0
	.set _ZN7rocprim17ROCPRIM_400000_NS6detail17trampoline_kernelINS0_14default_configENS1_36segmented_radix_sort_config_selectorIalEEZNS1_25segmented_radix_sort_implIS3_Lb0EPKaPaPKlPlN2at6native12_GLOBAL__N_18offset_tEEE10hipError_tPvRmT1_PNSt15iterator_traitsISK_E10value_typeET2_T3_PNSL_ISQ_E10value_typeET4_jRbjT5_SW_jjP12ihipStream_tbEUlT_E1_NS1_11comp_targetILNS1_3genE10ELNS1_11target_archE1201ELNS1_3gpuE5ELNS1_3repE0EEENS1_59segmented_radix_sort_warp_sort_small_config_static_selectorELNS0_4arch9wavefront6targetE1EEEvSK_.uses_vcc, 0
	.set _ZN7rocprim17ROCPRIM_400000_NS6detail17trampoline_kernelINS0_14default_configENS1_36segmented_radix_sort_config_selectorIalEEZNS1_25segmented_radix_sort_implIS3_Lb0EPKaPaPKlPlN2at6native12_GLOBAL__N_18offset_tEEE10hipError_tPvRmT1_PNSt15iterator_traitsISK_E10value_typeET2_T3_PNSL_ISQ_E10value_typeET4_jRbjT5_SW_jjP12ihipStream_tbEUlT_E1_NS1_11comp_targetILNS1_3genE10ELNS1_11target_archE1201ELNS1_3gpuE5ELNS1_3repE0EEENS1_59segmented_radix_sort_warp_sort_small_config_static_selectorELNS0_4arch9wavefront6targetE1EEEvSK_.uses_flat_scratch, 0
	.set _ZN7rocprim17ROCPRIM_400000_NS6detail17trampoline_kernelINS0_14default_configENS1_36segmented_radix_sort_config_selectorIalEEZNS1_25segmented_radix_sort_implIS3_Lb0EPKaPaPKlPlN2at6native12_GLOBAL__N_18offset_tEEE10hipError_tPvRmT1_PNSt15iterator_traitsISK_E10value_typeET2_T3_PNSL_ISQ_E10value_typeET4_jRbjT5_SW_jjP12ihipStream_tbEUlT_E1_NS1_11comp_targetILNS1_3genE10ELNS1_11target_archE1201ELNS1_3gpuE5ELNS1_3repE0EEENS1_59segmented_radix_sort_warp_sort_small_config_static_selectorELNS0_4arch9wavefront6targetE1EEEvSK_.has_dyn_sized_stack, 0
	.set _ZN7rocprim17ROCPRIM_400000_NS6detail17trampoline_kernelINS0_14default_configENS1_36segmented_radix_sort_config_selectorIalEEZNS1_25segmented_radix_sort_implIS3_Lb0EPKaPaPKlPlN2at6native12_GLOBAL__N_18offset_tEEE10hipError_tPvRmT1_PNSt15iterator_traitsISK_E10value_typeET2_T3_PNSL_ISQ_E10value_typeET4_jRbjT5_SW_jjP12ihipStream_tbEUlT_E1_NS1_11comp_targetILNS1_3genE10ELNS1_11target_archE1201ELNS1_3gpuE5ELNS1_3repE0EEENS1_59segmented_radix_sort_warp_sort_small_config_static_selectorELNS0_4arch9wavefront6targetE1EEEvSK_.has_recursion, 0
	.set _ZN7rocprim17ROCPRIM_400000_NS6detail17trampoline_kernelINS0_14default_configENS1_36segmented_radix_sort_config_selectorIalEEZNS1_25segmented_radix_sort_implIS3_Lb0EPKaPaPKlPlN2at6native12_GLOBAL__N_18offset_tEEE10hipError_tPvRmT1_PNSt15iterator_traitsISK_E10value_typeET2_T3_PNSL_ISQ_E10value_typeET4_jRbjT5_SW_jjP12ihipStream_tbEUlT_E1_NS1_11comp_targetILNS1_3genE10ELNS1_11target_archE1201ELNS1_3gpuE5ELNS1_3repE0EEENS1_59segmented_radix_sort_warp_sort_small_config_static_selectorELNS0_4arch9wavefront6targetE1EEEvSK_.has_indirect_call, 0
	.section	.AMDGPU.csdata,"",@progbits
; Kernel info:
; codeLenInByte = 0
; TotalNumSgprs: 4
; NumVgprs: 0
; ScratchSize: 0
; MemoryBound: 0
; FloatMode: 240
; IeeeMode: 1
; LDSByteSize: 0 bytes/workgroup (compile time only)
; SGPRBlocks: 0
; VGPRBlocks: 0
; NumSGPRsForWavesPerEU: 4
; NumVGPRsForWavesPerEU: 1
; Occupancy: 10
; WaveLimiterHint : 0
; COMPUTE_PGM_RSRC2:SCRATCH_EN: 0
; COMPUTE_PGM_RSRC2:USER_SGPR: 6
; COMPUTE_PGM_RSRC2:TRAP_HANDLER: 0
; COMPUTE_PGM_RSRC2:TGID_X_EN: 1
; COMPUTE_PGM_RSRC2:TGID_Y_EN: 0
; COMPUTE_PGM_RSRC2:TGID_Z_EN: 0
; COMPUTE_PGM_RSRC2:TIDIG_COMP_CNT: 0
	.section	.text._ZN7rocprim17ROCPRIM_400000_NS6detail17trampoline_kernelINS0_14default_configENS1_36segmented_radix_sort_config_selectorIalEEZNS1_25segmented_radix_sort_implIS3_Lb0EPKaPaPKlPlN2at6native12_GLOBAL__N_18offset_tEEE10hipError_tPvRmT1_PNSt15iterator_traitsISK_E10value_typeET2_T3_PNSL_ISQ_E10value_typeET4_jRbjT5_SW_jjP12ihipStream_tbEUlT_E1_NS1_11comp_targetILNS1_3genE10ELNS1_11target_archE1200ELNS1_3gpuE4ELNS1_3repE0EEENS1_59segmented_radix_sort_warp_sort_small_config_static_selectorELNS0_4arch9wavefront6targetE1EEEvSK_,"axG",@progbits,_ZN7rocprim17ROCPRIM_400000_NS6detail17trampoline_kernelINS0_14default_configENS1_36segmented_radix_sort_config_selectorIalEEZNS1_25segmented_radix_sort_implIS3_Lb0EPKaPaPKlPlN2at6native12_GLOBAL__N_18offset_tEEE10hipError_tPvRmT1_PNSt15iterator_traitsISK_E10value_typeET2_T3_PNSL_ISQ_E10value_typeET4_jRbjT5_SW_jjP12ihipStream_tbEUlT_E1_NS1_11comp_targetILNS1_3genE10ELNS1_11target_archE1200ELNS1_3gpuE4ELNS1_3repE0EEENS1_59segmented_radix_sort_warp_sort_small_config_static_selectorELNS0_4arch9wavefront6targetE1EEEvSK_,comdat
	.globl	_ZN7rocprim17ROCPRIM_400000_NS6detail17trampoline_kernelINS0_14default_configENS1_36segmented_radix_sort_config_selectorIalEEZNS1_25segmented_radix_sort_implIS3_Lb0EPKaPaPKlPlN2at6native12_GLOBAL__N_18offset_tEEE10hipError_tPvRmT1_PNSt15iterator_traitsISK_E10value_typeET2_T3_PNSL_ISQ_E10value_typeET4_jRbjT5_SW_jjP12ihipStream_tbEUlT_E1_NS1_11comp_targetILNS1_3genE10ELNS1_11target_archE1200ELNS1_3gpuE4ELNS1_3repE0EEENS1_59segmented_radix_sort_warp_sort_small_config_static_selectorELNS0_4arch9wavefront6targetE1EEEvSK_ ; -- Begin function _ZN7rocprim17ROCPRIM_400000_NS6detail17trampoline_kernelINS0_14default_configENS1_36segmented_radix_sort_config_selectorIalEEZNS1_25segmented_radix_sort_implIS3_Lb0EPKaPaPKlPlN2at6native12_GLOBAL__N_18offset_tEEE10hipError_tPvRmT1_PNSt15iterator_traitsISK_E10value_typeET2_T3_PNSL_ISQ_E10value_typeET4_jRbjT5_SW_jjP12ihipStream_tbEUlT_E1_NS1_11comp_targetILNS1_3genE10ELNS1_11target_archE1200ELNS1_3gpuE4ELNS1_3repE0EEENS1_59segmented_radix_sort_warp_sort_small_config_static_selectorELNS0_4arch9wavefront6targetE1EEEvSK_
	.p2align	8
	.type	_ZN7rocprim17ROCPRIM_400000_NS6detail17trampoline_kernelINS0_14default_configENS1_36segmented_radix_sort_config_selectorIalEEZNS1_25segmented_radix_sort_implIS3_Lb0EPKaPaPKlPlN2at6native12_GLOBAL__N_18offset_tEEE10hipError_tPvRmT1_PNSt15iterator_traitsISK_E10value_typeET2_T3_PNSL_ISQ_E10value_typeET4_jRbjT5_SW_jjP12ihipStream_tbEUlT_E1_NS1_11comp_targetILNS1_3genE10ELNS1_11target_archE1200ELNS1_3gpuE4ELNS1_3repE0EEENS1_59segmented_radix_sort_warp_sort_small_config_static_selectorELNS0_4arch9wavefront6targetE1EEEvSK_,@function
_ZN7rocprim17ROCPRIM_400000_NS6detail17trampoline_kernelINS0_14default_configENS1_36segmented_radix_sort_config_selectorIalEEZNS1_25segmented_radix_sort_implIS3_Lb0EPKaPaPKlPlN2at6native12_GLOBAL__N_18offset_tEEE10hipError_tPvRmT1_PNSt15iterator_traitsISK_E10value_typeET2_T3_PNSL_ISQ_E10value_typeET4_jRbjT5_SW_jjP12ihipStream_tbEUlT_E1_NS1_11comp_targetILNS1_3genE10ELNS1_11target_archE1200ELNS1_3gpuE4ELNS1_3repE0EEENS1_59segmented_radix_sort_warp_sort_small_config_static_selectorELNS0_4arch9wavefront6targetE1EEEvSK_: ; @_ZN7rocprim17ROCPRIM_400000_NS6detail17trampoline_kernelINS0_14default_configENS1_36segmented_radix_sort_config_selectorIalEEZNS1_25segmented_radix_sort_implIS3_Lb0EPKaPaPKlPlN2at6native12_GLOBAL__N_18offset_tEEE10hipError_tPvRmT1_PNSt15iterator_traitsISK_E10value_typeET2_T3_PNSL_ISQ_E10value_typeET4_jRbjT5_SW_jjP12ihipStream_tbEUlT_E1_NS1_11comp_targetILNS1_3genE10ELNS1_11target_archE1200ELNS1_3gpuE4ELNS1_3repE0EEENS1_59segmented_radix_sort_warp_sort_small_config_static_selectorELNS0_4arch9wavefront6targetE1EEEvSK_
; %bb.0:
	.section	.rodata,"a",@progbits
	.p2align	6, 0x0
	.amdhsa_kernel _ZN7rocprim17ROCPRIM_400000_NS6detail17trampoline_kernelINS0_14default_configENS1_36segmented_radix_sort_config_selectorIalEEZNS1_25segmented_radix_sort_implIS3_Lb0EPKaPaPKlPlN2at6native12_GLOBAL__N_18offset_tEEE10hipError_tPvRmT1_PNSt15iterator_traitsISK_E10value_typeET2_T3_PNSL_ISQ_E10value_typeET4_jRbjT5_SW_jjP12ihipStream_tbEUlT_E1_NS1_11comp_targetILNS1_3genE10ELNS1_11target_archE1200ELNS1_3gpuE4ELNS1_3repE0EEENS1_59segmented_radix_sort_warp_sort_small_config_static_selectorELNS0_4arch9wavefront6targetE1EEEvSK_
		.amdhsa_group_segment_fixed_size 0
		.amdhsa_private_segment_fixed_size 0
		.amdhsa_kernarg_size 88
		.amdhsa_user_sgpr_count 6
		.amdhsa_user_sgpr_private_segment_buffer 1
		.amdhsa_user_sgpr_dispatch_ptr 0
		.amdhsa_user_sgpr_queue_ptr 0
		.amdhsa_user_sgpr_kernarg_segment_ptr 1
		.amdhsa_user_sgpr_dispatch_id 0
		.amdhsa_user_sgpr_flat_scratch_init 0
		.amdhsa_user_sgpr_private_segment_size 0
		.amdhsa_uses_dynamic_stack 0
		.amdhsa_system_sgpr_private_segment_wavefront_offset 0
		.amdhsa_system_sgpr_workgroup_id_x 1
		.amdhsa_system_sgpr_workgroup_id_y 0
		.amdhsa_system_sgpr_workgroup_id_z 0
		.amdhsa_system_sgpr_workgroup_info 0
		.amdhsa_system_vgpr_workitem_id 0
		.amdhsa_next_free_vgpr 1
		.amdhsa_next_free_sgpr 0
		.amdhsa_reserve_vcc 0
		.amdhsa_reserve_flat_scratch 0
		.amdhsa_float_round_mode_32 0
		.amdhsa_float_round_mode_16_64 0
		.amdhsa_float_denorm_mode_32 3
		.amdhsa_float_denorm_mode_16_64 3
		.amdhsa_dx10_clamp 1
		.amdhsa_ieee_mode 1
		.amdhsa_fp16_overflow 0
		.amdhsa_exception_fp_ieee_invalid_op 0
		.amdhsa_exception_fp_denorm_src 0
		.amdhsa_exception_fp_ieee_div_zero 0
		.amdhsa_exception_fp_ieee_overflow 0
		.amdhsa_exception_fp_ieee_underflow 0
		.amdhsa_exception_fp_ieee_inexact 0
		.amdhsa_exception_int_div_zero 0
	.end_amdhsa_kernel
	.section	.text._ZN7rocprim17ROCPRIM_400000_NS6detail17trampoline_kernelINS0_14default_configENS1_36segmented_radix_sort_config_selectorIalEEZNS1_25segmented_radix_sort_implIS3_Lb0EPKaPaPKlPlN2at6native12_GLOBAL__N_18offset_tEEE10hipError_tPvRmT1_PNSt15iterator_traitsISK_E10value_typeET2_T3_PNSL_ISQ_E10value_typeET4_jRbjT5_SW_jjP12ihipStream_tbEUlT_E1_NS1_11comp_targetILNS1_3genE10ELNS1_11target_archE1200ELNS1_3gpuE4ELNS1_3repE0EEENS1_59segmented_radix_sort_warp_sort_small_config_static_selectorELNS0_4arch9wavefront6targetE1EEEvSK_,"axG",@progbits,_ZN7rocprim17ROCPRIM_400000_NS6detail17trampoline_kernelINS0_14default_configENS1_36segmented_radix_sort_config_selectorIalEEZNS1_25segmented_radix_sort_implIS3_Lb0EPKaPaPKlPlN2at6native12_GLOBAL__N_18offset_tEEE10hipError_tPvRmT1_PNSt15iterator_traitsISK_E10value_typeET2_T3_PNSL_ISQ_E10value_typeET4_jRbjT5_SW_jjP12ihipStream_tbEUlT_E1_NS1_11comp_targetILNS1_3genE10ELNS1_11target_archE1200ELNS1_3gpuE4ELNS1_3repE0EEENS1_59segmented_radix_sort_warp_sort_small_config_static_selectorELNS0_4arch9wavefront6targetE1EEEvSK_,comdat
.Lfunc_end420:
	.size	_ZN7rocprim17ROCPRIM_400000_NS6detail17trampoline_kernelINS0_14default_configENS1_36segmented_radix_sort_config_selectorIalEEZNS1_25segmented_radix_sort_implIS3_Lb0EPKaPaPKlPlN2at6native12_GLOBAL__N_18offset_tEEE10hipError_tPvRmT1_PNSt15iterator_traitsISK_E10value_typeET2_T3_PNSL_ISQ_E10value_typeET4_jRbjT5_SW_jjP12ihipStream_tbEUlT_E1_NS1_11comp_targetILNS1_3genE10ELNS1_11target_archE1200ELNS1_3gpuE4ELNS1_3repE0EEENS1_59segmented_radix_sort_warp_sort_small_config_static_selectorELNS0_4arch9wavefront6targetE1EEEvSK_, .Lfunc_end420-_ZN7rocprim17ROCPRIM_400000_NS6detail17trampoline_kernelINS0_14default_configENS1_36segmented_radix_sort_config_selectorIalEEZNS1_25segmented_radix_sort_implIS3_Lb0EPKaPaPKlPlN2at6native12_GLOBAL__N_18offset_tEEE10hipError_tPvRmT1_PNSt15iterator_traitsISK_E10value_typeET2_T3_PNSL_ISQ_E10value_typeET4_jRbjT5_SW_jjP12ihipStream_tbEUlT_E1_NS1_11comp_targetILNS1_3genE10ELNS1_11target_archE1200ELNS1_3gpuE4ELNS1_3repE0EEENS1_59segmented_radix_sort_warp_sort_small_config_static_selectorELNS0_4arch9wavefront6targetE1EEEvSK_
                                        ; -- End function
	.set _ZN7rocprim17ROCPRIM_400000_NS6detail17trampoline_kernelINS0_14default_configENS1_36segmented_radix_sort_config_selectorIalEEZNS1_25segmented_radix_sort_implIS3_Lb0EPKaPaPKlPlN2at6native12_GLOBAL__N_18offset_tEEE10hipError_tPvRmT1_PNSt15iterator_traitsISK_E10value_typeET2_T3_PNSL_ISQ_E10value_typeET4_jRbjT5_SW_jjP12ihipStream_tbEUlT_E1_NS1_11comp_targetILNS1_3genE10ELNS1_11target_archE1200ELNS1_3gpuE4ELNS1_3repE0EEENS1_59segmented_radix_sort_warp_sort_small_config_static_selectorELNS0_4arch9wavefront6targetE1EEEvSK_.num_vgpr, 0
	.set _ZN7rocprim17ROCPRIM_400000_NS6detail17trampoline_kernelINS0_14default_configENS1_36segmented_radix_sort_config_selectorIalEEZNS1_25segmented_radix_sort_implIS3_Lb0EPKaPaPKlPlN2at6native12_GLOBAL__N_18offset_tEEE10hipError_tPvRmT1_PNSt15iterator_traitsISK_E10value_typeET2_T3_PNSL_ISQ_E10value_typeET4_jRbjT5_SW_jjP12ihipStream_tbEUlT_E1_NS1_11comp_targetILNS1_3genE10ELNS1_11target_archE1200ELNS1_3gpuE4ELNS1_3repE0EEENS1_59segmented_radix_sort_warp_sort_small_config_static_selectorELNS0_4arch9wavefront6targetE1EEEvSK_.num_agpr, 0
	.set _ZN7rocprim17ROCPRIM_400000_NS6detail17trampoline_kernelINS0_14default_configENS1_36segmented_radix_sort_config_selectorIalEEZNS1_25segmented_radix_sort_implIS3_Lb0EPKaPaPKlPlN2at6native12_GLOBAL__N_18offset_tEEE10hipError_tPvRmT1_PNSt15iterator_traitsISK_E10value_typeET2_T3_PNSL_ISQ_E10value_typeET4_jRbjT5_SW_jjP12ihipStream_tbEUlT_E1_NS1_11comp_targetILNS1_3genE10ELNS1_11target_archE1200ELNS1_3gpuE4ELNS1_3repE0EEENS1_59segmented_radix_sort_warp_sort_small_config_static_selectorELNS0_4arch9wavefront6targetE1EEEvSK_.numbered_sgpr, 0
	.set _ZN7rocprim17ROCPRIM_400000_NS6detail17trampoline_kernelINS0_14default_configENS1_36segmented_radix_sort_config_selectorIalEEZNS1_25segmented_radix_sort_implIS3_Lb0EPKaPaPKlPlN2at6native12_GLOBAL__N_18offset_tEEE10hipError_tPvRmT1_PNSt15iterator_traitsISK_E10value_typeET2_T3_PNSL_ISQ_E10value_typeET4_jRbjT5_SW_jjP12ihipStream_tbEUlT_E1_NS1_11comp_targetILNS1_3genE10ELNS1_11target_archE1200ELNS1_3gpuE4ELNS1_3repE0EEENS1_59segmented_radix_sort_warp_sort_small_config_static_selectorELNS0_4arch9wavefront6targetE1EEEvSK_.num_named_barrier, 0
	.set _ZN7rocprim17ROCPRIM_400000_NS6detail17trampoline_kernelINS0_14default_configENS1_36segmented_radix_sort_config_selectorIalEEZNS1_25segmented_radix_sort_implIS3_Lb0EPKaPaPKlPlN2at6native12_GLOBAL__N_18offset_tEEE10hipError_tPvRmT1_PNSt15iterator_traitsISK_E10value_typeET2_T3_PNSL_ISQ_E10value_typeET4_jRbjT5_SW_jjP12ihipStream_tbEUlT_E1_NS1_11comp_targetILNS1_3genE10ELNS1_11target_archE1200ELNS1_3gpuE4ELNS1_3repE0EEENS1_59segmented_radix_sort_warp_sort_small_config_static_selectorELNS0_4arch9wavefront6targetE1EEEvSK_.private_seg_size, 0
	.set _ZN7rocprim17ROCPRIM_400000_NS6detail17trampoline_kernelINS0_14default_configENS1_36segmented_radix_sort_config_selectorIalEEZNS1_25segmented_radix_sort_implIS3_Lb0EPKaPaPKlPlN2at6native12_GLOBAL__N_18offset_tEEE10hipError_tPvRmT1_PNSt15iterator_traitsISK_E10value_typeET2_T3_PNSL_ISQ_E10value_typeET4_jRbjT5_SW_jjP12ihipStream_tbEUlT_E1_NS1_11comp_targetILNS1_3genE10ELNS1_11target_archE1200ELNS1_3gpuE4ELNS1_3repE0EEENS1_59segmented_radix_sort_warp_sort_small_config_static_selectorELNS0_4arch9wavefront6targetE1EEEvSK_.uses_vcc, 0
	.set _ZN7rocprim17ROCPRIM_400000_NS6detail17trampoline_kernelINS0_14default_configENS1_36segmented_radix_sort_config_selectorIalEEZNS1_25segmented_radix_sort_implIS3_Lb0EPKaPaPKlPlN2at6native12_GLOBAL__N_18offset_tEEE10hipError_tPvRmT1_PNSt15iterator_traitsISK_E10value_typeET2_T3_PNSL_ISQ_E10value_typeET4_jRbjT5_SW_jjP12ihipStream_tbEUlT_E1_NS1_11comp_targetILNS1_3genE10ELNS1_11target_archE1200ELNS1_3gpuE4ELNS1_3repE0EEENS1_59segmented_radix_sort_warp_sort_small_config_static_selectorELNS0_4arch9wavefront6targetE1EEEvSK_.uses_flat_scratch, 0
	.set _ZN7rocprim17ROCPRIM_400000_NS6detail17trampoline_kernelINS0_14default_configENS1_36segmented_radix_sort_config_selectorIalEEZNS1_25segmented_radix_sort_implIS3_Lb0EPKaPaPKlPlN2at6native12_GLOBAL__N_18offset_tEEE10hipError_tPvRmT1_PNSt15iterator_traitsISK_E10value_typeET2_T3_PNSL_ISQ_E10value_typeET4_jRbjT5_SW_jjP12ihipStream_tbEUlT_E1_NS1_11comp_targetILNS1_3genE10ELNS1_11target_archE1200ELNS1_3gpuE4ELNS1_3repE0EEENS1_59segmented_radix_sort_warp_sort_small_config_static_selectorELNS0_4arch9wavefront6targetE1EEEvSK_.has_dyn_sized_stack, 0
	.set _ZN7rocprim17ROCPRIM_400000_NS6detail17trampoline_kernelINS0_14default_configENS1_36segmented_radix_sort_config_selectorIalEEZNS1_25segmented_radix_sort_implIS3_Lb0EPKaPaPKlPlN2at6native12_GLOBAL__N_18offset_tEEE10hipError_tPvRmT1_PNSt15iterator_traitsISK_E10value_typeET2_T3_PNSL_ISQ_E10value_typeET4_jRbjT5_SW_jjP12ihipStream_tbEUlT_E1_NS1_11comp_targetILNS1_3genE10ELNS1_11target_archE1200ELNS1_3gpuE4ELNS1_3repE0EEENS1_59segmented_radix_sort_warp_sort_small_config_static_selectorELNS0_4arch9wavefront6targetE1EEEvSK_.has_recursion, 0
	.set _ZN7rocprim17ROCPRIM_400000_NS6detail17trampoline_kernelINS0_14default_configENS1_36segmented_radix_sort_config_selectorIalEEZNS1_25segmented_radix_sort_implIS3_Lb0EPKaPaPKlPlN2at6native12_GLOBAL__N_18offset_tEEE10hipError_tPvRmT1_PNSt15iterator_traitsISK_E10value_typeET2_T3_PNSL_ISQ_E10value_typeET4_jRbjT5_SW_jjP12ihipStream_tbEUlT_E1_NS1_11comp_targetILNS1_3genE10ELNS1_11target_archE1200ELNS1_3gpuE4ELNS1_3repE0EEENS1_59segmented_radix_sort_warp_sort_small_config_static_selectorELNS0_4arch9wavefront6targetE1EEEvSK_.has_indirect_call, 0
	.section	.AMDGPU.csdata,"",@progbits
; Kernel info:
; codeLenInByte = 0
; TotalNumSgprs: 4
; NumVgprs: 0
; ScratchSize: 0
; MemoryBound: 0
; FloatMode: 240
; IeeeMode: 1
; LDSByteSize: 0 bytes/workgroup (compile time only)
; SGPRBlocks: 0
; VGPRBlocks: 0
; NumSGPRsForWavesPerEU: 4
; NumVGPRsForWavesPerEU: 1
; Occupancy: 10
; WaveLimiterHint : 0
; COMPUTE_PGM_RSRC2:SCRATCH_EN: 0
; COMPUTE_PGM_RSRC2:USER_SGPR: 6
; COMPUTE_PGM_RSRC2:TRAP_HANDLER: 0
; COMPUTE_PGM_RSRC2:TGID_X_EN: 1
; COMPUTE_PGM_RSRC2:TGID_Y_EN: 0
; COMPUTE_PGM_RSRC2:TGID_Z_EN: 0
; COMPUTE_PGM_RSRC2:TIDIG_COMP_CNT: 0
	.section	.text._ZN7rocprim17ROCPRIM_400000_NS6detail17trampoline_kernelINS0_14default_configENS1_36segmented_radix_sort_config_selectorIalEEZNS1_25segmented_radix_sort_implIS3_Lb0EPKaPaPKlPlN2at6native12_GLOBAL__N_18offset_tEEE10hipError_tPvRmT1_PNSt15iterator_traitsISK_E10value_typeET2_T3_PNSL_ISQ_E10value_typeET4_jRbjT5_SW_jjP12ihipStream_tbEUlT_E1_NS1_11comp_targetILNS1_3genE9ELNS1_11target_archE1100ELNS1_3gpuE3ELNS1_3repE0EEENS1_59segmented_radix_sort_warp_sort_small_config_static_selectorELNS0_4arch9wavefront6targetE1EEEvSK_,"axG",@progbits,_ZN7rocprim17ROCPRIM_400000_NS6detail17trampoline_kernelINS0_14default_configENS1_36segmented_radix_sort_config_selectorIalEEZNS1_25segmented_radix_sort_implIS3_Lb0EPKaPaPKlPlN2at6native12_GLOBAL__N_18offset_tEEE10hipError_tPvRmT1_PNSt15iterator_traitsISK_E10value_typeET2_T3_PNSL_ISQ_E10value_typeET4_jRbjT5_SW_jjP12ihipStream_tbEUlT_E1_NS1_11comp_targetILNS1_3genE9ELNS1_11target_archE1100ELNS1_3gpuE3ELNS1_3repE0EEENS1_59segmented_radix_sort_warp_sort_small_config_static_selectorELNS0_4arch9wavefront6targetE1EEEvSK_,comdat
	.globl	_ZN7rocprim17ROCPRIM_400000_NS6detail17trampoline_kernelINS0_14default_configENS1_36segmented_radix_sort_config_selectorIalEEZNS1_25segmented_radix_sort_implIS3_Lb0EPKaPaPKlPlN2at6native12_GLOBAL__N_18offset_tEEE10hipError_tPvRmT1_PNSt15iterator_traitsISK_E10value_typeET2_T3_PNSL_ISQ_E10value_typeET4_jRbjT5_SW_jjP12ihipStream_tbEUlT_E1_NS1_11comp_targetILNS1_3genE9ELNS1_11target_archE1100ELNS1_3gpuE3ELNS1_3repE0EEENS1_59segmented_radix_sort_warp_sort_small_config_static_selectorELNS0_4arch9wavefront6targetE1EEEvSK_ ; -- Begin function _ZN7rocprim17ROCPRIM_400000_NS6detail17trampoline_kernelINS0_14default_configENS1_36segmented_radix_sort_config_selectorIalEEZNS1_25segmented_radix_sort_implIS3_Lb0EPKaPaPKlPlN2at6native12_GLOBAL__N_18offset_tEEE10hipError_tPvRmT1_PNSt15iterator_traitsISK_E10value_typeET2_T3_PNSL_ISQ_E10value_typeET4_jRbjT5_SW_jjP12ihipStream_tbEUlT_E1_NS1_11comp_targetILNS1_3genE9ELNS1_11target_archE1100ELNS1_3gpuE3ELNS1_3repE0EEENS1_59segmented_radix_sort_warp_sort_small_config_static_selectorELNS0_4arch9wavefront6targetE1EEEvSK_
	.p2align	8
	.type	_ZN7rocprim17ROCPRIM_400000_NS6detail17trampoline_kernelINS0_14default_configENS1_36segmented_radix_sort_config_selectorIalEEZNS1_25segmented_radix_sort_implIS3_Lb0EPKaPaPKlPlN2at6native12_GLOBAL__N_18offset_tEEE10hipError_tPvRmT1_PNSt15iterator_traitsISK_E10value_typeET2_T3_PNSL_ISQ_E10value_typeET4_jRbjT5_SW_jjP12ihipStream_tbEUlT_E1_NS1_11comp_targetILNS1_3genE9ELNS1_11target_archE1100ELNS1_3gpuE3ELNS1_3repE0EEENS1_59segmented_radix_sort_warp_sort_small_config_static_selectorELNS0_4arch9wavefront6targetE1EEEvSK_,@function
_ZN7rocprim17ROCPRIM_400000_NS6detail17trampoline_kernelINS0_14default_configENS1_36segmented_radix_sort_config_selectorIalEEZNS1_25segmented_radix_sort_implIS3_Lb0EPKaPaPKlPlN2at6native12_GLOBAL__N_18offset_tEEE10hipError_tPvRmT1_PNSt15iterator_traitsISK_E10value_typeET2_T3_PNSL_ISQ_E10value_typeET4_jRbjT5_SW_jjP12ihipStream_tbEUlT_E1_NS1_11comp_targetILNS1_3genE9ELNS1_11target_archE1100ELNS1_3gpuE3ELNS1_3repE0EEENS1_59segmented_radix_sort_warp_sort_small_config_static_selectorELNS0_4arch9wavefront6targetE1EEEvSK_: ; @_ZN7rocprim17ROCPRIM_400000_NS6detail17trampoline_kernelINS0_14default_configENS1_36segmented_radix_sort_config_selectorIalEEZNS1_25segmented_radix_sort_implIS3_Lb0EPKaPaPKlPlN2at6native12_GLOBAL__N_18offset_tEEE10hipError_tPvRmT1_PNSt15iterator_traitsISK_E10value_typeET2_T3_PNSL_ISQ_E10value_typeET4_jRbjT5_SW_jjP12ihipStream_tbEUlT_E1_NS1_11comp_targetILNS1_3genE9ELNS1_11target_archE1100ELNS1_3gpuE3ELNS1_3repE0EEENS1_59segmented_radix_sort_warp_sort_small_config_static_selectorELNS0_4arch9wavefront6targetE1EEEvSK_
; %bb.0:
	.section	.rodata,"a",@progbits
	.p2align	6, 0x0
	.amdhsa_kernel _ZN7rocprim17ROCPRIM_400000_NS6detail17trampoline_kernelINS0_14default_configENS1_36segmented_radix_sort_config_selectorIalEEZNS1_25segmented_radix_sort_implIS3_Lb0EPKaPaPKlPlN2at6native12_GLOBAL__N_18offset_tEEE10hipError_tPvRmT1_PNSt15iterator_traitsISK_E10value_typeET2_T3_PNSL_ISQ_E10value_typeET4_jRbjT5_SW_jjP12ihipStream_tbEUlT_E1_NS1_11comp_targetILNS1_3genE9ELNS1_11target_archE1100ELNS1_3gpuE3ELNS1_3repE0EEENS1_59segmented_radix_sort_warp_sort_small_config_static_selectorELNS0_4arch9wavefront6targetE1EEEvSK_
		.amdhsa_group_segment_fixed_size 0
		.amdhsa_private_segment_fixed_size 0
		.amdhsa_kernarg_size 88
		.amdhsa_user_sgpr_count 6
		.amdhsa_user_sgpr_private_segment_buffer 1
		.amdhsa_user_sgpr_dispatch_ptr 0
		.amdhsa_user_sgpr_queue_ptr 0
		.amdhsa_user_sgpr_kernarg_segment_ptr 1
		.amdhsa_user_sgpr_dispatch_id 0
		.amdhsa_user_sgpr_flat_scratch_init 0
		.amdhsa_user_sgpr_private_segment_size 0
		.amdhsa_uses_dynamic_stack 0
		.amdhsa_system_sgpr_private_segment_wavefront_offset 0
		.amdhsa_system_sgpr_workgroup_id_x 1
		.amdhsa_system_sgpr_workgroup_id_y 0
		.amdhsa_system_sgpr_workgroup_id_z 0
		.amdhsa_system_sgpr_workgroup_info 0
		.amdhsa_system_vgpr_workitem_id 0
		.amdhsa_next_free_vgpr 1
		.amdhsa_next_free_sgpr 0
		.amdhsa_reserve_vcc 0
		.amdhsa_reserve_flat_scratch 0
		.amdhsa_float_round_mode_32 0
		.amdhsa_float_round_mode_16_64 0
		.amdhsa_float_denorm_mode_32 3
		.amdhsa_float_denorm_mode_16_64 3
		.amdhsa_dx10_clamp 1
		.amdhsa_ieee_mode 1
		.amdhsa_fp16_overflow 0
		.amdhsa_exception_fp_ieee_invalid_op 0
		.amdhsa_exception_fp_denorm_src 0
		.amdhsa_exception_fp_ieee_div_zero 0
		.amdhsa_exception_fp_ieee_overflow 0
		.amdhsa_exception_fp_ieee_underflow 0
		.amdhsa_exception_fp_ieee_inexact 0
		.amdhsa_exception_int_div_zero 0
	.end_amdhsa_kernel
	.section	.text._ZN7rocprim17ROCPRIM_400000_NS6detail17trampoline_kernelINS0_14default_configENS1_36segmented_radix_sort_config_selectorIalEEZNS1_25segmented_radix_sort_implIS3_Lb0EPKaPaPKlPlN2at6native12_GLOBAL__N_18offset_tEEE10hipError_tPvRmT1_PNSt15iterator_traitsISK_E10value_typeET2_T3_PNSL_ISQ_E10value_typeET4_jRbjT5_SW_jjP12ihipStream_tbEUlT_E1_NS1_11comp_targetILNS1_3genE9ELNS1_11target_archE1100ELNS1_3gpuE3ELNS1_3repE0EEENS1_59segmented_radix_sort_warp_sort_small_config_static_selectorELNS0_4arch9wavefront6targetE1EEEvSK_,"axG",@progbits,_ZN7rocprim17ROCPRIM_400000_NS6detail17trampoline_kernelINS0_14default_configENS1_36segmented_radix_sort_config_selectorIalEEZNS1_25segmented_radix_sort_implIS3_Lb0EPKaPaPKlPlN2at6native12_GLOBAL__N_18offset_tEEE10hipError_tPvRmT1_PNSt15iterator_traitsISK_E10value_typeET2_T3_PNSL_ISQ_E10value_typeET4_jRbjT5_SW_jjP12ihipStream_tbEUlT_E1_NS1_11comp_targetILNS1_3genE9ELNS1_11target_archE1100ELNS1_3gpuE3ELNS1_3repE0EEENS1_59segmented_radix_sort_warp_sort_small_config_static_selectorELNS0_4arch9wavefront6targetE1EEEvSK_,comdat
.Lfunc_end421:
	.size	_ZN7rocprim17ROCPRIM_400000_NS6detail17trampoline_kernelINS0_14default_configENS1_36segmented_radix_sort_config_selectorIalEEZNS1_25segmented_radix_sort_implIS3_Lb0EPKaPaPKlPlN2at6native12_GLOBAL__N_18offset_tEEE10hipError_tPvRmT1_PNSt15iterator_traitsISK_E10value_typeET2_T3_PNSL_ISQ_E10value_typeET4_jRbjT5_SW_jjP12ihipStream_tbEUlT_E1_NS1_11comp_targetILNS1_3genE9ELNS1_11target_archE1100ELNS1_3gpuE3ELNS1_3repE0EEENS1_59segmented_radix_sort_warp_sort_small_config_static_selectorELNS0_4arch9wavefront6targetE1EEEvSK_, .Lfunc_end421-_ZN7rocprim17ROCPRIM_400000_NS6detail17trampoline_kernelINS0_14default_configENS1_36segmented_radix_sort_config_selectorIalEEZNS1_25segmented_radix_sort_implIS3_Lb0EPKaPaPKlPlN2at6native12_GLOBAL__N_18offset_tEEE10hipError_tPvRmT1_PNSt15iterator_traitsISK_E10value_typeET2_T3_PNSL_ISQ_E10value_typeET4_jRbjT5_SW_jjP12ihipStream_tbEUlT_E1_NS1_11comp_targetILNS1_3genE9ELNS1_11target_archE1100ELNS1_3gpuE3ELNS1_3repE0EEENS1_59segmented_radix_sort_warp_sort_small_config_static_selectorELNS0_4arch9wavefront6targetE1EEEvSK_
                                        ; -- End function
	.set _ZN7rocprim17ROCPRIM_400000_NS6detail17trampoline_kernelINS0_14default_configENS1_36segmented_radix_sort_config_selectorIalEEZNS1_25segmented_radix_sort_implIS3_Lb0EPKaPaPKlPlN2at6native12_GLOBAL__N_18offset_tEEE10hipError_tPvRmT1_PNSt15iterator_traitsISK_E10value_typeET2_T3_PNSL_ISQ_E10value_typeET4_jRbjT5_SW_jjP12ihipStream_tbEUlT_E1_NS1_11comp_targetILNS1_3genE9ELNS1_11target_archE1100ELNS1_3gpuE3ELNS1_3repE0EEENS1_59segmented_radix_sort_warp_sort_small_config_static_selectorELNS0_4arch9wavefront6targetE1EEEvSK_.num_vgpr, 0
	.set _ZN7rocprim17ROCPRIM_400000_NS6detail17trampoline_kernelINS0_14default_configENS1_36segmented_radix_sort_config_selectorIalEEZNS1_25segmented_radix_sort_implIS3_Lb0EPKaPaPKlPlN2at6native12_GLOBAL__N_18offset_tEEE10hipError_tPvRmT1_PNSt15iterator_traitsISK_E10value_typeET2_T3_PNSL_ISQ_E10value_typeET4_jRbjT5_SW_jjP12ihipStream_tbEUlT_E1_NS1_11comp_targetILNS1_3genE9ELNS1_11target_archE1100ELNS1_3gpuE3ELNS1_3repE0EEENS1_59segmented_radix_sort_warp_sort_small_config_static_selectorELNS0_4arch9wavefront6targetE1EEEvSK_.num_agpr, 0
	.set _ZN7rocprim17ROCPRIM_400000_NS6detail17trampoline_kernelINS0_14default_configENS1_36segmented_radix_sort_config_selectorIalEEZNS1_25segmented_radix_sort_implIS3_Lb0EPKaPaPKlPlN2at6native12_GLOBAL__N_18offset_tEEE10hipError_tPvRmT1_PNSt15iterator_traitsISK_E10value_typeET2_T3_PNSL_ISQ_E10value_typeET4_jRbjT5_SW_jjP12ihipStream_tbEUlT_E1_NS1_11comp_targetILNS1_3genE9ELNS1_11target_archE1100ELNS1_3gpuE3ELNS1_3repE0EEENS1_59segmented_radix_sort_warp_sort_small_config_static_selectorELNS0_4arch9wavefront6targetE1EEEvSK_.numbered_sgpr, 0
	.set _ZN7rocprim17ROCPRIM_400000_NS6detail17trampoline_kernelINS0_14default_configENS1_36segmented_radix_sort_config_selectorIalEEZNS1_25segmented_radix_sort_implIS3_Lb0EPKaPaPKlPlN2at6native12_GLOBAL__N_18offset_tEEE10hipError_tPvRmT1_PNSt15iterator_traitsISK_E10value_typeET2_T3_PNSL_ISQ_E10value_typeET4_jRbjT5_SW_jjP12ihipStream_tbEUlT_E1_NS1_11comp_targetILNS1_3genE9ELNS1_11target_archE1100ELNS1_3gpuE3ELNS1_3repE0EEENS1_59segmented_radix_sort_warp_sort_small_config_static_selectorELNS0_4arch9wavefront6targetE1EEEvSK_.num_named_barrier, 0
	.set _ZN7rocprim17ROCPRIM_400000_NS6detail17trampoline_kernelINS0_14default_configENS1_36segmented_radix_sort_config_selectorIalEEZNS1_25segmented_radix_sort_implIS3_Lb0EPKaPaPKlPlN2at6native12_GLOBAL__N_18offset_tEEE10hipError_tPvRmT1_PNSt15iterator_traitsISK_E10value_typeET2_T3_PNSL_ISQ_E10value_typeET4_jRbjT5_SW_jjP12ihipStream_tbEUlT_E1_NS1_11comp_targetILNS1_3genE9ELNS1_11target_archE1100ELNS1_3gpuE3ELNS1_3repE0EEENS1_59segmented_radix_sort_warp_sort_small_config_static_selectorELNS0_4arch9wavefront6targetE1EEEvSK_.private_seg_size, 0
	.set _ZN7rocprim17ROCPRIM_400000_NS6detail17trampoline_kernelINS0_14default_configENS1_36segmented_radix_sort_config_selectorIalEEZNS1_25segmented_radix_sort_implIS3_Lb0EPKaPaPKlPlN2at6native12_GLOBAL__N_18offset_tEEE10hipError_tPvRmT1_PNSt15iterator_traitsISK_E10value_typeET2_T3_PNSL_ISQ_E10value_typeET4_jRbjT5_SW_jjP12ihipStream_tbEUlT_E1_NS1_11comp_targetILNS1_3genE9ELNS1_11target_archE1100ELNS1_3gpuE3ELNS1_3repE0EEENS1_59segmented_radix_sort_warp_sort_small_config_static_selectorELNS0_4arch9wavefront6targetE1EEEvSK_.uses_vcc, 0
	.set _ZN7rocprim17ROCPRIM_400000_NS6detail17trampoline_kernelINS0_14default_configENS1_36segmented_radix_sort_config_selectorIalEEZNS1_25segmented_radix_sort_implIS3_Lb0EPKaPaPKlPlN2at6native12_GLOBAL__N_18offset_tEEE10hipError_tPvRmT1_PNSt15iterator_traitsISK_E10value_typeET2_T3_PNSL_ISQ_E10value_typeET4_jRbjT5_SW_jjP12ihipStream_tbEUlT_E1_NS1_11comp_targetILNS1_3genE9ELNS1_11target_archE1100ELNS1_3gpuE3ELNS1_3repE0EEENS1_59segmented_radix_sort_warp_sort_small_config_static_selectorELNS0_4arch9wavefront6targetE1EEEvSK_.uses_flat_scratch, 0
	.set _ZN7rocprim17ROCPRIM_400000_NS6detail17trampoline_kernelINS0_14default_configENS1_36segmented_radix_sort_config_selectorIalEEZNS1_25segmented_radix_sort_implIS3_Lb0EPKaPaPKlPlN2at6native12_GLOBAL__N_18offset_tEEE10hipError_tPvRmT1_PNSt15iterator_traitsISK_E10value_typeET2_T3_PNSL_ISQ_E10value_typeET4_jRbjT5_SW_jjP12ihipStream_tbEUlT_E1_NS1_11comp_targetILNS1_3genE9ELNS1_11target_archE1100ELNS1_3gpuE3ELNS1_3repE0EEENS1_59segmented_radix_sort_warp_sort_small_config_static_selectorELNS0_4arch9wavefront6targetE1EEEvSK_.has_dyn_sized_stack, 0
	.set _ZN7rocprim17ROCPRIM_400000_NS6detail17trampoline_kernelINS0_14default_configENS1_36segmented_radix_sort_config_selectorIalEEZNS1_25segmented_radix_sort_implIS3_Lb0EPKaPaPKlPlN2at6native12_GLOBAL__N_18offset_tEEE10hipError_tPvRmT1_PNSt15iterator_traitsISK_E10value_typeET2_T3_PNSL_ISQ_E10value_typeET4_jRbjT5_SW_jjP12ihipStream_tbEUlT_E1_NS1_11comp_targetILNS1_3genE9ELNS1_11target_archE1100ELNS1_3gpuE3ELNS1_3repE0EEENS1_59segmented_radix_sort_warp_sort_small_config_static_selectorELNS0_4arch9wavefront6targetE1EEEvSK_.has_recursion, 0
	.set _ZN7rocprim17ROCPRIM_400000_NS6detail17trampoline_kernelINS0_14default_configENS1_36segmented_radix_sort_config_selectorIalEEZNS1_25segmented_radix_sort_implIS3_Lb0EPKaPaPKlPlN2at6native12_GLOBAL__N_18offset_tEEE10hipError_tPvRmT1_PNSt15iterator_traitsISK_E10value_typeET2_T3_PNSL_ISQ_E10value_typeET4_jRbjT5_SW_jjP12ihipStream_tbEUlT_E1_NS1_11comp_targetILNS1_3genE9ELNS1_11target_archE1100ELNS1_3gpuE3ELNS1_3repE0EEENS1_59segmented_radix_sort_warp_sort_small_config_static_selectorELNS0_4arch9wavefront6targetE1EEEvSK_.has_indirect_call, 0
	.section	.AMDGPU.csdata,"",@progbits
; Kernel info:
; codeLenInByte = 0
; TotalNumSgprs: 4
; NumVgprs: 0
; ScratchSize: 0
; MemoryBound: 0
; FloatMode: 240
; IeeeMode: 1
; LDSByteSize: 0 bytes/workgroup (compile time only)
; SGPRBlocks: 0
; VGPRBlocks: 0
; NumSGPRsForWavesPerEU: 4
; NumVGPRsForWavesPerEU: 1
; Occupancy: 10
; WaveLimiterHint : 0
; COMPUTE_PGM_RSRC2:SCRATCH_EN: 0
; COMPUTE_PGM_RSRC2:USER_SGPR: 6
; COMPUTE_PGM_RSRC2:TRAP_HANDLER: 0
; COMPUTE_PGM_RSRC2:TGID_X_EN: 1
; COMPUTE_PGM_RSRC2:TGID_Y_EN: 0
; COMPUTE_PGM_RSRC2:TGID_Z_EN: 0
; COMPUTE_PGM_RSRC2:TIDIG_COMP_CNT: 0
	.section	.text._ZN7rocprim17ROCPRIM_400000_NS6detail17trampoline_kernelINS0_14default_configENS1_36segmented_radix_sort_config_selectorIalEEZNS1_25segmented_radix_sort_implIS3_Lb0EPKaPaPKlPlN2at6native12_GLOBAL__N_18offset_tEEE10hipError_tPvRmT1_PNSt15iterator_traitsISK_E10value_typeET2_T3_PNSL_ISQ_E10value_typeET4_jRbjT5_SW_jjP12ihipStream_tbEUlT_E1_NS1_11comp_targetILNS1_3genE8ELNS1_11target_archE1030ELNS1_3gpuE2ELNS1_3repE0EEENS1_59segmented_radix_sort_warp_sort_small_config_static_selectorELNS0_4arch9wavefront6targetE1EEEvSK_,"axG",@progbits,_ZN7rocprim17ROCPRIM_400000_NS6detail17trampoline_kernelINS0_14default_configENS1_36segmented_radix_sort_config_selectorIalEEZNS1_25segmented_radix_sort_implIS3_Lb0EPKaPaPKlPlN2at6native12_GLOBAL__N_18offset_tEEE10hipError_tPvRmT1_PNSt15iterator_traitsISK_E10value_typeET2_T3_PNSL_ISQ_E10value_typeET4_jRbjT5_SW_jjP12ihipStream_tbEUlT_E1_NS1_11comp_targetILNS1_3genE8ELNS1_11target_archE1030ELNS1_3gpuE2ELNS1_3repE0EEENS1_59segmented_radix_sort_warp_sort_small_config_static_selectorELNS0_4arch9wavefront6targetE1EEEvSK_,comdat
	.globl	_ZN7rocprim17ROCPRIM_400000_NS6detail17trampoline_kernelINS0_14default_configENS1_36segmented_radix_sort_config_selectorIalEEZNS1_25segmented_radix_sort_implIS3_Lb0EPKaPaPKlPlN2at6native12_GLOBAL__N_18offset_tEEE10hipError_tPvRmT1_PNSt15iterator_traitsISK_E10value_typeET2_T3_PNSL_ISQ_E10value_typeET4_jRbjT5_SW_jjP12ihipStream_tbEUlT_E1_NS1_11comp_targetILNS1_3genE8ELNS1_11target_archE1030ELNS1_3gpuE2ELNS1_3repE0EEENS1_59segmented_radix_sort_warp_sort_small_config_static_selectorELNS0_4arch9wavefront6targetE1EEEvSK_ ; -- Begin function _ZN7rocprim17ROCPRIM_400000_NS6detail17trampoline_kernelINS0_14default_configENS1_36segmented_radix_sort_config_selectorIalEEZNS1_25segmented_radix_sort_implIS3_Lb0EPKaPaPKlPlN2at6native12_GLOBAL__N_18offset_tEEE10hipError_tPvRmT1_PNSt15iterator_traitsISK_E10value_typeET2_T3_PNSL_ISQ_E10value_typeET4_jRbjT5_SW_jjP12ihipStream_tbEUlT_E1_NS1_11comp_targetILNS1_3genE8ELNS1_11target_archE1030ELNS1_3gpuE2ELNS1_3repE0EEENS1_59segmented_radix_sort_warp_sort_small_config_static_selectorELNS0_4arch9wavefront6targetE1EEEvSK_
	.p2align	8
	.type	_ZN7rocprim17ROCPRIM_400000_NS6detail17trampoline_kernelINS0_14default_configENS1_36segmented_radix_sort_config_selectorIalEEZNS1_25segmented_radix_sort_implIS3_Lb0EPKaPaPKlPlN2at6native12_GLOBAL__N_18offset_tEEE10hipError_tPvRmT1_PNSt15iterator_traitsISK_E10value_typeET2_T3_PNSL_ISQ_E10value_typeET4_jRbjT5_SW_jjP12ihipStream_tbEUlT_E1_NS1_11comp_targetILNS1_3genE8ELNS1_11target_archE1030ELNS1_3gpuE2ELNS1_3repE0EEENS1_59segmented_radix_sort_warp_sort_small_config_static_selectorELNS0_4arch9wavefront6targetE1EEEvSK_,@function
_ZN7rocprim17ROCPRIM_400000_NS6detail17trampoline_kernelINS0_14default_configENS1_36segmented_radix_sort_config_selectorIalEEZNS1_25segmented_radix_sort_implIS3_Lb0EPKaPaPKlPlN2at6native12_GLOBAL__N_18offset_tEEE10hipError_tPvRmT1_PNSt15iterator_traitsISK_E10value_typeET2_T3_PNSL_ISQ_E10value_typeET4_jRbjT5_SW_jjP12ihipStream_tbEUlT_E1_NS1_11comp_targetILNS1_3genE8ELNS1_11target_archE1030ELNS1_3gpuE2ELNS1_3repE0EEENS1_59segmented_radix_sort_warp_sort_small_config_static_selectorELNS0_4arch9wavefront6targetE1EEEvSK_: ; @_ZN7rocprim17ROCPRIM_400000_NS6detail17trampoline_kernelINS0_14default_configENS1_36segmented_radix_sort_config_selectorIalEEZNS1_25segmented_radix_sort_implIS3_Lb0EPKaPaPKlPlN2at6native12_GLOBAL__N_18offset_tEEE10hipError_tPvRmT1_PNSt15iterator_traitsISK_E10value_typeET2_T3_PNSL_ISQ_E10value_typeET4_jRbjT5_SW_jjP12ihipStream_tbEUlT_E1_NS1_11comp_targetILNS1_3genE8ELNS1_11target_archE1030ELNS1_3gpuE2ELNS1_3repE0EEENS1_59segmented_radix_sort_warp_sort_small_config_static_selectorELNS0_4arch9wavefront6targetE1EEEvSK_
; %bb.0:
	.section	.rodata,"a",@progbits
	.p2align	6, 0x0
	.amdhsa_kernel _ZN7rocprim17ROCPRIM_400000_NS6detail17trampoline_kernelINS0_14default_configENS1_36segmented_radix_sort_config_selectorIalEEZNS1_25segmented_radix_sort_implIS3_Lb0EPKaPaPKlPlN2at6native12_GLOBAL__N_18offset_tEEE10hipError_tPvRmT1_PNSt15iterator_traitsISK_E10value_typeET2_T3_PNSL_ISQ_E10value_typeET4_jRbjT5_SW_jjP12ihipStream_tbEUlT_E1_NS1_11comp_targetILNS1_3genE8ELNS1_11target_archE1030ELNS1_3gpuE2ELNS1_3repE0EEENS1_59segmented_radix_sort_warp_sort_small_config_static_selectorELNS0_4arch9wavefront6targetE1EEEvSK_
		.amdhsa_group_segment_fixed_size 0
		.amdhsa_private_segment_fixed_size 0
		.amdhsa_kernarg_size 88
		.amdhsa_user_sgpr_count 6
		.amdhsa_user_sgpr_private_segment_buffer 1
		.amdhsa_user_sgpr_dispatch_ptr 0
		.amdhsa_user_sgpr_queue_ptr 0
		.amdhsa_user_sgpr_kernarg_segment_ptr 1
		.amdhsa_user_sgpr_dispatch_id 0
		.amdhsa_user_sgpr_flat_scratch_init 0
		.amdhsa_user_sgpr_private_segment_size 0
		.amdhsa_uses_dynamic_stack 0
		.amdhsa_system_sgpr_private_segment_wavefront_offset 0
		.amdhsa_system_sgpr_workgroup_id_x 1
		.amdhsa_system_sgpr_workgroup_id_y 0
		.amdhsa_system_sgpr_workgroup_id_z 0
		.amdhsa_system_sgpr_workgroup_info 0
		.amdhsa_system_vgpr_workitem_id 0
		.amdhsa_next_free_vgpr 1
		.amdhsa_next_free_sgpr 0
		.amdhsa_reserve_vcc 0
		.amdhsa_reserve_flat_scratch 0
		.amdhsa_float_round_mode_32 0
		.amdhsa_float_round_mode_16_64 0
		.amdhsa_float_denorm_mode_32 3
		.amdhsa_float_denorm_mode_16_64 3
		.amdhsa_dx10_clamp 1
		.amdhsa_ieee_mode 1
		.amdhsa_fp16_overflow 0
		.amdhsa_exception_fp_ieee_invalid_op 0
		.amdhsa_exception_fp_denorm_src 0
		.amdhsa_exception_fp_ieee_div_zero 0
		.amdhsa_exception_fp_ieee_overflow 0
		.amdhsa_exception_fp_ieee_underflow 0
		.amdhsa_exception_fp_ieee_inexact 0
		.amdhsa_exception_int_div_zero 0
	.end_amdhsa_kernel
	.section	.text._ZN7rocprim17ROCPRIM_400000_NS6detail17trampoline_kernelINS0_14default_configENS1_36segmented_radix_sort_config_selectorIalEEZNS1_25segmented_radix_sort_implIS3_Lb0EPKaPaPKlPlN2at6native12_GLOBAL__N_18offset_tEEE10hipError_tPvRmT1_PNSt15iterator_traitsISK_E10value_typeET2_T3_PNSL_ISQ_E10value_typeET4_jRbjT5_SW_jjP12ihipStream_tbEUlT_E1_NS1_11comp_targetILNS1_3genE8ELNS1_11target_archE1030ELNS1_3gpuE2ELNS1_3repE0EEENS1_59segmented_radix_sort_warp_sort_small_config_static_selectorELNS0_4arch9wavefront6targetE1EEEvSK_,"axG",@progbits,_ZN7rocprim17ROCPRIM_400000_NS6detail17trampoline_kernelINS0_14default_configENS1_36segmented_radix_sort_config_selectorIalEEZNS1_25segmented_radix_sort_implIS3_Lb0EPKaPaPKlPlN2at6native12_GLOBAL__N_18offset_tEEE10hipError_tPvRmT1_PNSt15iterator_traitsISK_E10value_typeET2_T3_PNSL_ISQ_E10value_typeET4_jRbjT5_SW_jjP12ihipStream_tbEUlT_E1_NS1_11comp_targetILNS1_3genE8ELNS1_11target_archE1030ELNS1_3gpuE2ELNS1_3repE0EEENS1_59segmented_radix_sort_warp_sort_small_config_static_selectorELNS0_4arch9wavefront6targetE1EEEvSK_,comdat
.Lfunc_end422:
	.size	_ZN7rocprim17ROCPRIM_400000_NS6detail17trampoline_kernelINS0_14default_configENS1_36segmented_radix_sort_config_selectorIalEEZNS1_25segmented_radix_sort_implIS3_Lb0EPKaPaPKlPlN2at6native12_GLOBAL__N_18offset_tEEE10hipError_tPvRmT1_PNSt15iterator_traitsISK_E10value_typeET2_T3_PNSL_ISQ_E10value_typeET4_jRbjT5_SW_jjP12ihipStream_tbEUlT_E1_NS1_11comp_targetILNS1_3genE8ELNS1_11target_archE1030ELNS1_3gpuE2ELNS1_3repE0EEENS1_59segmented_radix_sort_warp_sort_small_config_static_selectorELNS0_4arch9wavefront6targetE1EEEvSK_, .Lfunc_end422-_ZN7rocprim17ROCPRIM_400000_NS6detail17trampoline_kernelINS0_14default_configENS1_36segmented_radix_sort_config_selectorIalEEZNS1_25segmented_radix_sort_implIS3_Lb0EPKaPaPKlPlN2at6native12_GLOBAL__N_18offset_tEEE10hipError_tPvRmT1_PNSt15iterator_traitsISK_E10value_typeET2_T3_PNSL_ISQ_E10value_typeET4_jRbjT5_SW_jjP12ihipStream_tbEUlT_E1_NS1_11comp_targetILNS1_3genE8ELNS1_11target_archE1030ELNS1_3gpuE2ELNS1_3repE0EEENS1_59segmented_radix_sort_warp_sort_small_config_static_selectorELNS0_4arch9wavefront6targetE1EEEvSK_
                                        ; -- End function
	.set _ZN7rocprim17ROCPRIM_400000_NS6detail17trampoline_kernelINS0_14default_configENS1_36segmented_radix_sort_config_selectorIalEEZNS1_25segmented_radix_sort_implIS3_Lb0EPKaPaPKlPlN2at6native12_GLOBAL__N_18offset_tEEE10hipError_tPvRmT1_PNSt15iterator_traitsISK_E10value_typeET2_T3_PNSL_ISQ_E10value_typeET4_jRbjT5_SW_jjP12ihipStream_tbEUlT_E1_NS1_11comp_targetILNS1_3genE8ELNS1_11target_archE1030ELNS1_3gpuE2ELNS1_3repE0EEENS1_59segmented_radix_sort_warp_sort_small_config_static_selectorELNS0_4arch9wavefront6targetE1EEEvSK_.num_vgpr, 0
	.set _ZN7rocprim17ROCPRIM_400000_NS6detail17trampoline_kernelINS0_14default_configENS1_36segmented_radix_sort_config_selectorIalEEZNS1_25segmented_radix_sort_implIS3_Lb0EPKaPaPKlPlN2at6native12_GLOBAL__N_18offset_tEEE10hipError_tPvRmT1_PNSt15iterator_traitsISK_E10value_typeET2_T3_PNSL_ISQ_E10value_typeET4_jRbjT5_SW_jjP12ihipStream_tbEUlT_E1_NS1_11comp_targetILNS1_3genE8ELNS1_11target_archE1030ELNS1_3gpuE2ELNS1_3repE0EEENS1_59segmented_radix_sort_warp_sort_small_config_static_selectorELNS0_4arch9wavefront6targetE1EEEvSK_.num_agpr, 0
	.set _ZN7rocprim17ROCPRIM_400000_NS6detail17trampoline_kernelINS0_14default_configENS1_36segmented_radix_sort_config_selectorIalEEZNS1_25segmented_radix_sort_implIS3_Lb0EPKaPaPKlPlN2at6native12_GLOBAL__N_18offset_tEEE10hipError_tPvRmT1_PNSt15iterator_traitsISK_E10value_typeET2_T3_PNSL_ISQ_E10value_typeET4_jRbjT5_SW_jjP12ihipStream_tbEUlT_E1_NS1_11comp_targetILNS1_3genE8ELNS1_11target_archE1030ELNS1_3gpuE2ELNS1_3repE0EEENS1_59segmented_radix_sort_warp_sort_small_config_static_selectorELNS0_4arch9wavefront6targetE1EEEvSK_.numbered_sgpr, 0
	.set _ZN7rocprim17ROCPRIM_400000_NS6detail17trampoline_kernelINS0_14default_configENS1_36segmented_radix_sort_config_selectorIalEEZNS1_25segmented_radix_sort_implIS3_Lb0EPKaPaPKlPlN2at6native12_GLOBAL__N_18offset_tEEE10hipError_tPvRmT1_PNSt15iterator_traitsISK_E10value_typeET2_T3_PNSL_ISQ_E10value_typeET4_jRbjT5_SW_jjP12ihipStream_tbEUlT_E1_NS1_11comp_targetILNS1_3genE8ELNS1_11target_archE1030ELNS1_3gpuE2ELNS1_3repE0EEENS1_59segmented_radix_sort_warp_sort_small_config_static_selectorELNS0_4arch9wavefront6targetE1EEEvSK_.num_named_barrier, 0
	.set _ZN7rocprim17ROCPRIM_400000_NS6detail17trampoline_kernelINS0_14default_configENS1_36segmented_radix_sort_config_selectorIalEEZNS1_25segmented_radix_sort_implIS3_Lb0EPKaPaPKlPlN2at6native12_GLOBAL__N_18offset_tEEE10hipError_tPvRmT1_PNSt15iterator_traitsISK_E10value_typeET2_T3_PNSL_ISQ_E10value_typeET4_jRbjT5_SW_jjP12ihipStream_tbEUlT_E1_NS1_11comp_targetILNS1_3genE8ELNS1_11target_archE1030ELNS1_3gpuE2ELNS1_3repE0EEENS1_59segmented_radix_sort_warp_sort_small_config_static_selectorELNS0_4arch9wavefront6targetE1EEEvSK_.private_seg_size, 0
	.set _ZN7rocprim17ROCPRIM_400000_NS6detail17trampoline_kernelINS0_14default_configENS1_36segmented_radix_sort_config_selectorIalEEZNS1_25segmented_radix_sort_implIS3_Lb0EPKaPaPKlPlN2at6native12_GLOBAL__N_18offset_tEEE10hipError_tPvRmT1_PNSt15iterator_traitsISK_E10value_typeET2_T3_PNSL_ISQ_E10value_typeET4_jRbjT5_SW_jjP12ihipStream_tbEUlT_E1_NS1_11comp_targetILNS1_3genE8ELNS1_11target_archE1030ELNS1_3gpuE2ELNS1_3repE0EEENS1_59segmented_radix_sort_warp_sort_small_config_static_selectorELNS0_4arch9wavefront6targetE1EEEvSK_.uses_vcc, 0
	.set _ZN7rocprim17ROCPRIM_400000_NS6detail17trampoline_kernelINS0_14default_configENS1_36segmented_radix_sort_config_selectorIalEEZNS1_25segmented_radix_sort_implIS3_Lb0EPKaPaPKlPlN2at6native12_GLOBAL__N_18offset_tEEE10hipError_tPvRmT1_PNSt15iterator_traitsISK_E10value_typeET2_T3_PNSL_ISQ_E10value_typeET4_jRbjT5_SW_jjP12ihipStream_tbEUlT_E1_NS1_11comp_targetILNS1_3genE8ELNS1_11target_archE1030ELNS1_3gpuE2ELNS1_3repE0EEENS1_59segmented_radix_sort_warp_sort_small_config_static_selectorELNS0_4arch9wavefront6targetE1EEEvSK_.uses_flat_scratch, 0
	.set _ZN7rocprim17ROCPRIM_400000_NS6detail17trampoline_kernelINS0_14default_configENS1_36segmented_radix_sort_config_selectorIalEEZNS1_25segmented_radix_sort_implIS3_Lb0EPKaPaPKlPlN2at6native12_GLOBAL__N_18offset_tEEE10hipError_tPvRmT1_PNSt15iterator_traitsISK_E10value_typeET2_T3_PNSL_ISQ_E10value_typeET4_jRbjT5_SW_jjP12ihipStream_tbEUlT_E1_NS1_11comp_targetILNS1_3genE8ELNS1_11target_archE1030ELNS1_3gpuE2ELNS1_3repE0EEENS1_59segmented_radix_sort_warp_sort_small_config_static_selectorELNS0_4arch9wavefront6targetE1EEEvSK_.has_dyn_sized_stack, 0
	.set _ZN7rocprim17ROCPRIM_400000_NS6detail17trampoline_kernelINS0_14default_configENS1_36segmented_radix_sort_config_selectorIalEEZNS1_25segmented_radix_sort_implIS3_Lb0EPKaPaPKlPlN2at6native12_GLOBAL__N_18offset_tEEE10hipError_tPvRmT1_PNSt15iterator_traitsISK_E10value_typeET2_T3_PNSL_ISQ_E10value_typeET4_jRbjT5_SW_jjP12ihipStream_tbEUlT_E1_NS1_11comp_targetILNS1_3genE8ELNS1_11target_archE1030ELNS1_3gpuE2ELNS1_3repE0EEENS1_59segmented_radix_sort_warp_sort_small_config_static_selectorELNS0_4arch9wavefront6targetE1EEEvSK_.has_recursion, 0
	.set _ZN7rocprim17ROCPRIM_400000_NS6detail17trampoline_kernelINS0_14default_configENS1_36segmented_radix_sort_config_selectorIalEEZNS1_25segmented_radix_sort_implIS3_Lb0EPKaPaPKlPlN2at6native12_GLOBAL__N_18offset_tEEE10hipError_tPvRmT1_PNSt15iterator_traitsISK_E10value_typeET2_T3_PNSL_ISQ_E10value_typeET4_jRbjT5_SW_jjP12ihipStream_tbEUlT_E1_NS1_11comp_targetILNS1_3genE8ELNS1_11target_archE1030ELNS1_3gpuE2ELNS1_3repE0EEENS1_59segmented_radix_sort_warp_sort_small_config_static_selectorELNS0_4arch9wavefront6targetE1EEEvSK_.has_indirect_call, 0
	.section	.AMDGPU.csdata,"",@progbits
; Kernel info:
; codeLenInByte = 0
; TotalNumSgprs: 4
; NumVgprs: 0
; ScratchSize: 0
; MemoryBound: 0
; FloatMode: 240
; IeeeMode: 1
; LDSByteSize: 0 bytes/workgroup (compile time only)
; SGPRBlocks: 0
; VGPRBlocks: 0
; NumSGPRsForWavesPerEU: 4
; NumVGPRsForWavesPerEU: 1
; Occupancy: 10
; WaveLimiterHint : 0
; COMPUTE_PGM_RSRC2:SCRATCH_EN: 0
; COMPUTE_PGM_RSRC2:USER_SGPR: 6
; COMPUTE_PGM_RSRC2:TRAP_HANDLER: 0
; COMPUTE_PGM_RSRC2:TGID_X_EN: 1
; COMPUTE_PGM_RSRC2:TGID_Y_EN: 0
; COMPUTE_PGM_RSRC2:TGID_Z_EN: 0
; COMPUTE_PGM_RSRC2:TIDIG_COMP_CNT: 0
	.section	.text._ZN7rocprim17ROCPRIM_400000_NS6detail17trampoline_kernelINS0_14default_configENS1_36segmented_radix_sort_config_selectorIalEEZNS1_25segmented_radix_sort_implIS3_Lb0EPKaPaPKlPlN2at6native12_GLOBAL__N_18offset_tEEE10hipError_tPvRmT1_PNSt15iterator_traitsISK_E10value_typeET2_T3_PNSL_ISQ_E10value_typeET4_jRbjT5_SW_jjP12ihipStream_tbEUlT_E2_NS1_11comp_targetILNS1_3genE0ELNS1_11target_archE4294967295ELNS1_3gpuE0ELNS1_3repE0EEENS1_30default_config_static_selectorELNS0_4arch9wavefront6targetE1EEEvSK_,"axG",@progbits,_ZN7rocprim17ROCPRIM_400000_NS6detail17trampoline_kernelINS0_14default_configENS1_36segmented_radix_sort_config_selectorIalEEZNS1_25segmented_radix_sort_implIS3_Lb0EPKaPaPKlPlN2at6native12_GLOBAL__N_18offset_tEEE10hipError_tPvRmT1_PNSt15iterator_traitsISK_E10value_typeET2_T3_PNSL_ISQ_E10value_typeET4_jRbjT5_SW_jjP12ihipStream_tbEUlT_E2_NS1_11comp_targetILNS1_3genE0ELNS1_11target_archE4294967295ELNS1_3gpuE0ELNS1_3repE0EEENS1_30default_config_static_selectorELNS0_4arch9wavefront6targetE1EEEvSK_,comdat
	.globl	_ZN7rocprim17ROCPRIM_400000_NS6detail17trampoline_kernelINS0_14default_configENS1_36segmented_radix_sort_config_selectorIalEEZNS1_25segmented_radix_sort_implIS3_Lb0EPKaPaPKlPlN2at6native12_GLOBAL__N_18offset_tEEE10hipError_tPvRmT1_PNSt15iterator_traitsISK_E10value_typeET2_T3_PNSL_ISQ_E10value_typeET4_jRbjT5_SW_jjP12ihipStream_tbEUlT_E2_NS1_11comp_targetILNS1_3genE0ELNS1_11target_archE4294967295ELNS1_3gpuE0ELNS1_3repE0EEENS1_30default_config_static_selectorELNS0_4arch9wavefront6targetE1EEEvSK_ ; -- Begin function _ZN7rocprim17ROCPRIM_400000_NS6detail17trampoline_kernelINS0_14default_configENS1_36segmented_radix_sort_config_selectorIalEEZNS1_25segmented_radix_sort_implIS3_Lb0EPKaPaPKlPlN2at6native12_GLOBAL__N_18offset_tEEE10hipError_tPvRmT1_PNSt15iterator_traitsISK_E10value_typeET2_T3_PNSL_ISQ_E10value_typeET4_jRbjT5_SW_jjP12ihipStream_tbEUlT_E2_NS1_11comp_targetILNS1_3genE0ELNS1_11target_archE4294967295ELNS1_3gpuE0ELNS1_3repE0EEENS1_30default_config_static_selectorELNS0_4arch9wavefront6targetE1EEEvSK_
	.p2align	8
	.type	_ZN7rocprim17ROCPRIM_400000_NS6detail17trampoline_kernelINS0_14default_configENS1_36segmented_radix_sort_config_selectorIalEEZNS1_25segmented_radix_sort_implIS3_Lb0EPKaPaPKlPlN2at6native12_GLOBAL__N_18offset_tEEE10hipError_tPvRmT1_PNSt15iterator_traitsISK_E10value_typeET2_T3_PNSL_ISQ_E10value_typeET4_jRbjT5_SW_jjP12ihipStream_tbEUlT_E2_NS1_11comp_targetILNS1_3genE0ELNS1_11target_archE4294967295ELNS1_3gpuE0ELNS1_3repE0EEENS1_30default_config_static_selectorELNS0_4arch9wavefront6targetE1EEEvSK_,@function
_ZN7rocprim17ROCPRIM_400000_NS6detail17trampoline_kernelINS0_14default_configENS1_36segmented_radix_sort_config_selectorIalEEZNS1_25segmented_radix_sort_implIS3_Lb0EPKaPaPKlPlN2at6native12_GLOBAL__N_18offset_tEEE10hipError_tPvRmT1_PNSt15iterator_traitsISK_E10value_typeET2_T3_PNSL_ISQ_E10value_typeET4_jRbjT5_SW_jjP12ihipStream_tbEUlT_E2_NS1_11comp_targetILNS1_3genE0ELNS1_11target_archE4294967295ELNS1_3gpuE0ELNS1_3repE0EEENS1_30default_config_static_selectorELNS0_4arch9wavefront6targetE1EEEvSK_: ; @_ZN7rocprim17ROCPRIM_400000_NS6detail17trampoline_kernelINS0_14default_configENS1_36segmented_radix_sort_config_selectorIalEEZNS1_25segmented_radix_sort_implIS3_Lb0EPKaPaPKlPlN2at6native12_GLOBAL__N_18offset_tEEE10hipError_tPvRmT1_PNSt15iterator_traitsISK_E10value_typeET2_T3_PNSL_ISQ_E10value_typeET4_jRbjT5_SW_jjP12ihipStream_tbEUlT_E2_NS1_11comp_targetILNS1_3genE0ELNS1_11target_archE4294967295ELNS1_3gpuE0ELNS1_3repE0EEENS1_30default_config_static_selectorELNS0_4arch9wavefront6targetE1EEEvSK_
; %bb.0:
	.section	.rodata,"a",@progbits
	.p2align	6, 0x0
	.amdhsa_kernel _ZN7rocprim17ROCPRIM_400000_NS6detail17trampoline_kernelINS0_14default_configENS1_36segmented_radix_sort_config_selectorIalEEZNS1_25segmented_radix_sort_implIS3_Lb0EPKaPaPKlPlN2at6native12_GLOBAL__N_18offset_tEEE10hipError_tPvRmT1_PNSt15iterator_traitsISK_E10value_typeET2_T3_PNSL_ISQ_E10value_typeET4_jRbjT5_SW_jjP12ihipStream_tbEUlT_E2_NS1_11comp_targetILNS1_3genE0ELNS1_11target_archE4294967295ELNS1_3gpuE0ELNS1_3repE0EEENS1_30default_config_static_selectorELNS0_4arch9wavefront6targetE1EEEvSK_
		.amdhsa_group_segment_fixed_size 0
		.amdhsa_private_segment_fixed_size 0
		.amdhsa_kernarg_size 80
		.amdhsa_user_sgpr_count 6
		.amdhsa_user_sgpr_private_segment_buffer 1
		.amdhsa_user_sgpr_dispatch_ptr 0
		.amdhsa_user_sgpr_queue_ptr 0
		.amdhsa_user_sgpr_kernarg_segment_ptr 1
		.amdhsa_user_sgpr_dispatch_id 0
		.amdhsa_user_sgpr_flat_scratch_init 0
		.amdhsa_user_sgpr_private_segment_size 0
		.amdhsa_uses_dynamic_stack 0
		.amdhsa_system_sgpr_private_segment_wavefront_offset 0
		.amdhsa_system_sgpr_workgroup_id_x 1
		.amdhsa_system_sgpr_workgroup_id_y 0
		.amdhsa_system_sgpr_workgroup_id_z 0
		.amdhsa_system_sgpr_workgroup_info 0
		.amdhsa_system_vgpr_workitem_id 0
		.amdhsa_next_free_vgpr 1
		.amdhsa_next_free_sgpr 0
		.amdhsa_reserve_vcc 0
		.amdhsa_reserve_flat_scratch 0
		.amdhsa_float_round_mode_32 0
		.amdhsa_float_round_mode_16_64 0
		.amdhsa_float_denorm_mode_32 3
		.amdhsa_float_denorm_mode_16_64 3
		.amdhsa_dx10_clamp 1
		.amdhsa_ieee_mode 1
		.amdhsa_fp16_overflow 0
		.amdhsa_exception_fp_ieee_invalid_op 0
		.amdhsa_exception_fp_denorm_src 0
		.amdhsa_exception_fp_ieee_div_zero 0
		.amdhsa_exception_fp_ieee_overflow 0
		.amdhsa_exception_fp_ieee_underflow 0
		.amdhsa_exception_fp_ieee_inexact 0
		.amdhsa_exception_int_div_zero 0
	.end_amdhsa_kernel
	.section	.text._ZN7rocprim17ROCPRIM_400000_NS6detail17trampoline_kernelINS0_14default_configENS1_36segmented_radix_sort_config_selectorIalEEZNS1_25segmented_radix_sort_implIS3_Lb0EPKaPaPKlPlN2at6native12_GLOBAL__N_18offset_tEEE10hipError_tPvRmT1_PNSt15iterator_traitsISK_E10value_typeET2_T3_PNSL_ISQ_E10value_typeET4_jRbjT5_SW_jjP12ihipStream_tbEUlT_E2_NS1_11comp_targetILNS1_3genE0ELNS1_11target_archE4294967295ELNS1_3gpuE0ELNS1_3repE0EEENS1_30default_config_static_selectorELNS0_4arch9wavefront6targetE1EEEvSK_,"axG",@progbits,_ZN7rocprim17ROCPRIM_400000_NS6detail17trampoline_kernelINS0_14default_configENS1_36segmented_radix_sort_config_selectorIalEEZNS1_25segmented_radix_sort_implIS3_Lb0EPKaPaPKlPlN2at6native12_GLOBAL__N_18offset_tEEE10hipError_tPvRmT1_PNSt15iterator_traitsISK_E10value_typeET2_T3_PNSL_ISQ_E10value_typeET4_jRbjT5_SW_jjP12ihipStream_tbEUlT_E2_NS1_11comp_targetILNS1_3genE0ELNS1_11target_archE4294967295ELNS1_3gpuE0ELNS1_3repE0EEENS1_30default_config_static_selectorELNS0_4arch9wavefront6targetE1EEEvSK_,comdat
.Lfunc_end423:
	.size	_ZN7rocprim17ROCPRIM_400000_NS6detail17trampoline_kernelINS0_14default_configENS1_36segmented_radix_sort_config_selectorIalEEZNS1_25segmented_radix_sort_implIS3_Lb0EPKaPaPKlPlN2at6native12_GLOBAL__N_18offset_tEEE10hipError_tPvRmT1_PNSt15iterator_traitsISK_E10value_typeET2_T3_PNSL_ISQ_E10value_typeET4_jRbjT5_SW_jjP12ihipStream_tbEUlT_E2_NS1_11comp_targetILNS1_3genE0ELNS1_11target_archE4294967295ELNS1_3gpuE0ELNS1_3repE0EEENS1_30default_config_static_selectorELNS0_4arch9wavefront6targetE1EEEvSK_, .Lfunc_end423-_ZN7rocprim17ROCPRIM_400000_NS6detail17trampoline_kernelINS0_14default_configENS1_36segmented_radix_sort_config_selectorIalEEZNS1_25segmented_radix_sort_implIS3_Lb0EPKaPaPKlPlN2at6native12_GLOBAL__N_18offset_tEEE10hipError_tPvRmT1_PNSt15iterator_traitsISK_E10value_typeET2_T3_PNSL_ISQ_E10value_typeET4_jRbjT5_SW_jjP12ihipStream_tbEUlT_E2_NS1_11comp_targetILNS1_3genE0ELNS1_11target_archE4294967295ELNS1_3gpuE0ELNS1_3repE0EEENS1_30default_config_static_selectorELNS0_4arch9wavefront6targetE1EEEvSK_
                                        ; -- End function
	.set _ZN7rocprim17ROCPRIM_400000_NS6detail17trampoline_kernelINS0_14default_configENS1_36segmented_radix_sort_config_selectorIalEEZNS1_25segmented_radix_sort_implIS3_Lb0EPKaPaPKlPlN2at6native12_GLOBAL__N_18offset_tEEE10hipError_tPvRmT1_PNSt15iterator_traitsISK_E10value_typeET2_T3_PNSL_ISQ_E10value_typeET4_jRbjT5_SW_jjP12ihipStream_tbEUlT_E2_NS1_11comp_targetILNS1_3genE0ELNS1_11target_archE4294967295ELNS1_3gpuE0ELNS1_3repE0EEENS1_30default_config_static_selectorELNS0_4arch9wavefront6targetE1EEEvSK_.num_vgpr, 0
	.set _ZN7rocprim17ROCPRIM_400000_NS6detail17trampoline_kernelINS0_14default_configENS1_36segmented_radix_sort_config_selectorIalEEZNS1_25segmented_radix_sort_implIS3_Lb0EPKaPaPKlPlN2at6native12_GLOBAL__N_18offset_tEEE10hipError_tPvRmT1_PNSt15iterator_traitsISK_E10value_typeET2_T3_PNSL_ISQ_E10value_typeET4_jRbjT5_SW_jjP12ihipStream_tbEUlT_E2_NS1_11comp_targetILNS1_3genE0ELNS1_11target_archE4294967295ELNS1_3gpuE0ELNS1_3repE0EEENS1_30default_config_static_selectorELNS0_4arch9wavefront6targetE1EEEvSK_.num_agpr, 0
	.set _ZN7rocprim17ROCPRIM_400000_NS6detail17trampoline_kernelINS0_14default_configENS1_36segmented_radix_sort_config_selectorIalEEZNS1_25segmented_radix_sort_implIS3_Lb0EPKaPaPKlPlN2at6native12_GLOBAL__N_18offset_tEEE10hipError_tPvRmT1_PNSt15iterator_traitsISK_E10value_typeET2_T3_PNSL_ISQ_E10value_typeET4_jRbjT5_SW_jjP12ihipStream_tbEUlT_E2_NS1_11comp_targetILNS1_3genE0ELNS1_11target_archE4294967295ELNS1_3gpuE0ELNS1_3repE0EEENS1_30default_config_static_selectorELNS0_4arch9wavefront6targetE1EEEvSK_.numbered_sgpr, 0
	.set _ZN7rocprim17ROCPRIM_400000_NS6detail17trampoline_kernelINS0_14default_configENS1_36segmented_radix_sort_config_selectorIalEEZNS1_25segmented_radix_sort_implIS3_Lb0EPKaPaPKlPlN2at6native12_GLOBAL__N_18offset_tEEE10hipError_tPvRmT1_PNSt15iterator_traitsISK_E10value_typeET2_T3_PNSL_ISQ_E10value_typeET4_jRbjT5_SW_jjP12ihipStream_tbEUlT_E2_NS1_11comp_targetILNS1_3genE0ELNS1_11target_archE4294967295ELNS1_3gpuE0ELNS1_3repE0EEENS1_30default_config_static_selectorELNS0_4arch9wavefront6targetE1EEEvSK_.num_named_barrier, 0
	.set _ZN7rocprim17ROCPRIM_400000_NS6detail17trampoline_kernelINS0_14default_configENS1_36segmented_radix_sort_config_selectorIalEEZNS1_25segmented_radix_sort_implIS3_Lb0EPKaPaPKlPlN2at6native12_GLOBAL__N_18offset_tEEE10hipError_tPvRmT1_PNSt15iterator_traitsISK_E10value_typeET2_T3_PNSL_ISQ_E10value_typeET4_jRbjT5_SW_jjP12ihipStream_tbEUlT_E2_NS1_11comp_targetILNS1_3genE0ELNS1_11target_archE4294967295ELNS1_3gpuE0ELNS1_3repE0EEENS1_30default_config_static_selectorELNS0_4arch9wavefront6targetE1EEEvSK_.private_seg_size, 0
	.set _ZN7rocprim17ROCPRIM_400000_NS6detail17trampoline_kernelINS0_14default_configENS1_36segmented_radix_sort_config_selectorIalEEZNS1_25segmented_radix_sort_implIS3_Lb0EPKaPaPKlPlN2at6native12_GLOBAL__N_18offset_tEEE10hipError_tPvRmT1_PNSt15iterator_traitsISK_E10value_typeET2_T3_PNSL_ISQ_E10value_typeET4_jRbjT5_SW_jjP12ihipStream_tbEUlT_E2_NS1_11comp_targetILNS1_3genE0ELNS1_11target_archE4294967295ELNS1_3gpuE0ELNS1_3repE0EEENS1_30default_config_static_selectorELNS0_4arch9wavefront6targetE1EEEvSK_.uses_vcc, 0
	.set _ZN7rocprim17ROCPRIM_400000_NS6detail17trampoline_kernelINS0_14default_configENS1_36segmented_radix_sort_config_selectorIalEEZNS1_25segmented_radix_sort_implIS3_Lb0EPKaPaPKlPlN2at6native12_GLOBAL__N_18offset_tEEE10hipError_tPvRmT1_PNSt15iterator_traitsISK_E10value_typeET2_T3_PNSL_ISQ_E10value_typeET4_jRbjT5_SW_jjP12ihipStream_tbEUlT_E2_NS1_11comp_targetILNS1_3genE0ELNS1_11target_archE4294967295ELNS1_3gpuE0ELNS1_3repE0EEENS1_30default_config_static_selectorELNS0_4arch9wavefront6targetE1EEEvSK_.uses_flat_scratch, 0
	.set _ZN7rocprim17ROCPRIM_400000_NS6detail17trampoline_kernelINS0_14default_configENS1_36segmented_radix_sort_config_selectorIalEEZNS1_25segmented_radix_sort_implIS3_Lb0EPKaPaPKlPlN2at6native12_GLOBAL__N_18offset_tEEE10hipError_tPvRmT1_PNSt15iterator_traitsISK_E10value_typeET2_T3_PNSL_ISQ_E10value_typeET4_jRbjT5_SW_jjP12ihipStream_tbEUlT_E2_NS1_11comp_targetILNS1_3genE0ELNS1_11target_archE4294967295ELNS1_3gpuE0ELNS1_3repE0EEENS1_30default_config_static_selectorELNS0_4arch9wavefront6targetE1EEEvSK_.has_dyn_sized_stack, 0
	.set _ZN7rocprim17ROCPRIM_400000_NS6detail17trampoline_kernelINS0_14default_configENS1_36segmented_radix_sort_config_selectorIalEEZNS1_25segmented_radix_sort_implIS3_Lb0EPKaPaPKlPlN2at6native12_GLOBAL__N_18offset_tEEE10hipError_tPvRmT1_PNSt15iterator_traitsISK_E10value_typeET2_T3_PNSL_ISQ_E10value_typeET4_jRbjT5_SW_jjP12ihipStream_tbEUlT_E2_NS1_11comp_targetILNS1_3genE0ELNS1_11target_archE4294967295ELNS1_3gpuE0ELNS1_3repE0EEENS1_30default_config_static_selectorELNS0_4arch9wavefront6targetE1EEEvSK_.has_recursion, 0
	.set _ZN7rocprim17ROCPRIM_400000_NS6detail17trampoline_kernelINS0_14default_configENS1_36segmented_radix_sort_config_selectorIalEEZNS1_25segmented_radix_sort_implIS3_Lb0EPKaPaPKlPlN2at6native12_GLOBAL__N_18offset_tEEE10hipError_tPvRmT1_PNSt15iterator_traitsISK_E10value_typeET2_T3_PNSL_ISQ_E10value_typeET4_jRbjT5_SW_jjP12ihipStream_tbEUlT_E2_NS1_11comp_targetILNS1_3genE0ELNS1_11target_archE4294967295ELNS1_3gpuE0ELNS1_3repE0EEENS1_30default_config_static_selectorELNS0_4arch9wavefront6targetE1EEEvSK_.has_indirect_call, 0
	.section	.AMDGPU.csdata,"",@progbits
; Kernel info:
; codeLenInByte = 0
; TotalNumSgprs: 4
; NumVgprs: 0
; ScratchSize: 0
; MemoryBound: 0
; FloatMode: 240
; IeeeMode: 1
; LDSByteSize: 0 bytes/workgroup (compile time only)
; SGPRBlocks: 0
; VGPRBlocks: 0
; NumSGPRsForWavesPerEU: 4
; NumVGPRsForWavesPerEU: 1
; Occupancy: 10
; WaveLimiterHint : 0
; COMPUTE_PGM_RSRC2:SCRATCH_EN: 0
; COMPUTE_PGM_RSRC2:USER_SGPR: 6
; COMPUTE_PGM_RSRC2:TRAP_HANDLER: 0
; COMPUTE_PGM_RSRC2:TGID_X_EN: 1
; COMPUTE_PGM_RSRC2:TGID_Y_EN: 0
; COMPUTE_PGM_RSRC2:TGID_Z_EN: 0
; COMPUTE_PGM_RSRC2:TIDIG_COMP_CNT: 0
	.section	.text._ZN7rocprim17ROCPRIM_400000_NS6detail17trampoline_kernelINS0_14default_configENS1_36segmented_radix_sort_config_selectorIalEEZNS1_25segmented_radix_sort_implIS3_Lb0EPKaPaPKlPlN2at6native12_GLOBAL__N_18offset_tEEE10hipError_tPvRmT1_PNSt15iterator_traitsISK_E10value_typeET2_T3_PNSL_ISQ_E10value_typeET4_jRbjT5_SW_jjP12ihipStream_tbEUlT_E2_NS1_11comp_targetILNS1_3genE5ELNS1_11target_archE942ELNS1_3gpuE9ELNS1_3repE0EEENS1_30default_config_static_selectorELNS0_4arch9wavefront6targetE1EEEvSK_,"axG",@progbits,_ZN7rocprim17ROCPRIM_400000_NS6detail17trampoline_kernelINS0_14default_configENS1_36segmented_radix_sort_config_selectorIalEEZNS1_25segmented_radix_sort_implIS3_Lb0EPKaPaPKlPlN2at6native12_GLOBAL__N_18offset_tEEE10hipError_tPvRmT1_PNSt15iterator_traitsISK_E10value_typeET2_T3_PNSL_ISQ_E10value_typeET4_jRbjT5_SW_jjP12ihipStream_tbEUlT_E2_NS1_11comp_targetILNS1_3genE5ELNS1_11target_archE942ELNS1_3gpuE9ELNS1_3repE0EEENS1_30default_config_static_selectorELNS0_4arch9wavefront6targetE1EEEvSK_,comdat
	.globl	_ZN7rocprim17ROCPRIM_400000_NS6detail17trampoline_kernelINS0_14default_configENS1_36segmented_radix_sort_config_selectorIalEEZNS1_25segmented_radix_sort_implIS3_Lb0EPKaPaPKlPlN2at6native12_GLOBAL__N_18offset_tEEE10hipError_tPvRmT1_PNSt15iterator_traitsISK_E10value_typeET2_T3_PNSL_ISQ_E10value_typeET4_jRbjT5_SW_jjP12ihipStream_tbEUlT_E2_NS1_11comp_targetILNS1_3genE5ELNS1_11target_archE942ELNS1_3gpuE9ELNS1_3repE0EEENS1_30default_config_static_selectorELNS0_4arch9wavefront6targetE1EEEvSK_ ; -- Begin function _ZN7rocprim17ROCPRIM_400000_NS6detail17trampoline_kernelINS0_14default_configENS1_36segmented_radix_sort_config_selectorIalEEZNS1_25segmented_radix_sort_implIS3_Lb0EPKaPaPKlPlN2at6native12_GLOBAL__N_18offset_tEEE10hipError_tPvRmT1_PNSt15iterator_traitsISK_E10value_typeET2_T3_PNSL_ISQ_E10value_typeET4_jRbjT5_SW_jjP12ihipStream_tbEUlT_E2_NS1_11comp_targetILNS1_3genE5ELNS1_11target_archE942ELNS1_3gpuE9ELNS1_3repE0EEENS1_30default_config_static_selectorELNS0_4arch9wavefront6targetE1EEEvSK_
	.p2align	8
	.type	_ZN7rocprim17ROCPRIM_400000_NS6detail17trampoline_kernelINS0_14default_configENS1_36segmented_radix_sort_config_selectorIalEEZNS1_25segmented_radix_sort_implIS3_Lb0EPKaPaPKlPlN2at6native12_GLOBAL__N_18offset_tEEE10hipError_tPvRmT1_PNSt15iterator_traitsISK_E10value_typeET2_T3_PNSL_ISQ_E10value_typeET4_jRbjT5_SW_jjP12ihipStream_tbEUlT_E2_NS1_11comp_targetILNS1_3genE5ELNS1_11target_archE942ELNS1_3gpuE9ELNS1_3repE0EEENS1_30default_config_static_selectorELNS0_4arch9wavefront6targetE1EEEvSK_,@function
_ZN7rocprim17ROCPRIM_400000_NS6detail17trampoline_kernelINS0_14default_configENS1_36segmented_radix_sort_config_selectorIalEEZNS1_25segmented_radix_sort_implIS3_Lb0EPKaPaPKlPlN2at6native12_GLOBAL__N_18offset_tEEE10hipError_tPvRmT1_PNSt15iterator_traitsISK_E10value_typeET2_T3_PNSL_ISQ_E10value_typeET4_jRbjT5_SW_jjP12ihipStream_tbEUlT_E2_NS1_11comp_targetILNS1_3genE5ELNS1_11target_archE942ELNS1_3gpuE9ELNS1_3repE0EEENS1_30default_config_static_selectorELNS0_4arch9wavefront6targetE1EEEvSK_: ; @_ZN7rocprim17ROCPRIM_400000_NS6detail17trampoline_kernelINS0_14default_configENS1_36segmented_radix_sort_config_selectorIalEEZNS1_25segmented_radix_sort_implIS3_Lb0EPKaPaPKlPlN2at6native12_GLOBAL__N_18offset_tEEE10hipError_tPvRmT1_PNSt15iterator_traitsISK_E10value_typeET2_T3_PNSL_ISQ_E10value_typeET4_jRbjT5_SW_jjP12ihipStream_tbEUlT_E2_NS1_11comp_targetILNS1_3genE5ELNS1_11target_archE942ELNS1_3gpuE9ELNS1_3repE0EEENS1_30default_config_static_selectorELNS0_4arch9wavefront6targetE1EEEvSK_
; %bb.0:
	.section	.rodata,"a",@progbits
	.p2align	6, 0x0
	.amdhsa_kernel _ZN7rocprim17ROCPRIM_400000_NS6detail17trampoline_kernelINS0_14default_configENS1_36segmented_radix_sort_config_selectorIalEEZNS1_25segmented_radix_sort_implIS3_Lb0EPKaPaPKlPlN2at6native12_GLOBAL__N_18offset_tEEE10hipError_tPvRmT1_PNSt15iterator_traitsISK_E10value_typeET2_T3_PNSL_ISQ_E10value_typeET4_jRbjT5_SW_jjP12ihipStream_tbEUlT_E2_NS1_11comp_targetILNS1_3genE5ELNS1_11target_archE942ELNS1_3gpuE9ELNS1_3repE0EEENS1_30default_config_static_selectorELNS0_4arch9wavefront6targetE1EEEvSK_
		.amdhsa_group_segment_fixed_size 0
		.amdhsa_private_segment_fixed_size 0
		.amdhsa_kernarg_size 80
		.amdhsa_user_sgpr_count 6
		.amdhsa_user_sgpr_private_segment_buffer 1
		.amdhsa_user_sgpr_dispatch_ptr 0
		.amdhsa_user_sgpr_queue_ptr 0
		.amdhsa_user_sgpr_kernarg_segment_ptr 1
		.amdhsa_user_sgpr_dispatch_id 0
		.amdhsa_user_sgpr_flat_scratch_init 0
		.amdhsa_user_sgpr_private_segment_size 0
		.amdhsa_uses_dynamic_stack 0
		.amdhsa_system_sgpr_private_segment_wavefront_offset 0
		.amdhsa_system_sgpr_workgroup_id_x 1
		.amdhsa_system_sgpr_workgroup_id_y 0
		.amdhsa_system_sgpr_workgroup_id_z 0
		.amdhsa_system_sgpr_workgroup_info 0
		.amdhsa_system_vgpr_workitem_id 0
		.amdhsa_next_free_vgpr 1
		.amdhsa_next_free_sgpr 0
		.amdhsa_reserve_vcc 0
		.amdhsa_reserve_flat_scratch 0
		.amdhsa_float_round_mode_32 0
		.amdhsa_float_round_mode_16_64 0
		.amdhsa_float_denorm_mode_32 3
		.amdhsa_float_denorm_mode_16_64 3
		.amdhsa_dx10_clamp 1
		.amdhsa_ieee_mode 1
		.amdhsa_fp16_overflow 0
		.amdhsa_exception_fp_ieee_invalid_op 0
		.amdhsa_exception_fp_denorm_src 0
		.amdhsa_exception_fp_ieee_div_zero 0
		.amdhsa_exception_fp_ieee_overflow 0
		.amdhsa_exception_fp_ieee_underflow 0
		.amdhsa_exception_fp_ieee_inexact 0
		.amdhsa_exception_int_div_zero 0
	.end_amdhsa_kernel
	.section	.text._ZN7rocprim17ROCPRIM_400000_NS6detail17trampoline_kernelINS0_14default_configENS1_36segmented_radix_sort_config_selectorIalEEZNS1_25segmented_radix_sort_implIS3_Lb0EPKaPaPKlPlN2at6native12_GLOBAL__N_18offset_tEEE10hipError_tPvRmT1_PNSt15iterator_traitsISK_E10value_typeET2_T3_PNSL_ISQ_E10value_typeET4_jRbjT5_SW_jjP12ihipStream_tbEUlT_E2_NS1_11comp_targetILNS1_3genE5ELNS1_11target_archE942ELNS1_3gpuE9ELNS1_3repE0EEENS1_30default_config_static_selectorELNS0_4arch9wavefront6targetE1EEEvSK_,"axG",@progbits,_ZN7rocprim17ROCPRIM_400000_NS6detail17trampoline_kernelINS0_14default_configENS1_36segmented_radix_sort_config_selectorIalEEZNS1_25segmented_radix_sort_implIS3_Lb0EPKaPaPKlPlN2at6native12_GLOBAL__N_18offset_tEEE10hipError_tPvRmT1_PNSt15iterator_traitsISK_E10value_typeET2_T3_PNSL_ISQ_E10value_typeET4_jRbjT5_SW_jjP12ihipStream_tbEUlT_E2_NS1_11comp_targetILNS1_3genE5ELNS1_11target_archE942ELNS1_3gpuE9ELNS1_3repE0EEENS1_30default_config_static_selectorELNS0_4arch9wavefront6targetE1EEEvSK_,comdat
.Lfunc_end424:
	.size	_ZN7rocprim17ROCPRIM_400000_NS6detail17trampoline_kernelINS0_14default_configENS1_36segmented_radix_sort_config_selectorIalEEZNS1_25segmented_radix_sort_implIS3_Lb0EPKaPaPKlPlN2at6native12_GLOBAL__N_18offset_tEEE10hipError_tPvRmT1_PNSt15iterator_traitsISK_E10value_typeET2_T3_PNSL_ISQ_E10value_typeET4_jRbjT5_SW_jjP12ihipStream_tbEUlT_E2_NS1_11comp_targetILNS1_3genE5ELNS1_11target_archE942ELNS1_3gpuE9ELNS1_3repE0EEENS1_30default_config_static_selectorELNS0_4arch9wavefront6targetE1EEEvSK_, .Lfunc_end424-_ZN7rocprim17ROCPRIM_400000_NS6detail17trampoline_kernelINS0_14default_configENS1_36segmented_radix_sort_config_selectorIalEEZNS1_25segmented_radix_sort_implIS3_Lb0EPKaPaPKlPlN2at6native12_GLOBAL__N_18offset_tEEE10hipError_tPvRmT1_PNSt15iterator_traitsISK_E10value_typeET2_T3_PNSL_ISQ_E10value_typeET4_jRbjT5_SW_jjP12ihipStream_tbEUlT_E2_NS1_11comp_targetILNS1_3genE5ELNS1_11target_archE942ELNS1_3gpuE9ELNS1_3repE0EEENS1_30default_config_static_selectorELNS0_4arch9wavefront6targetE1EEEvSK_
                                        ; -- End function
	.set _ZN7rocprim17ROCPRIM_400000_NS6detail17trampoline_kernelINS0_14default_configENS1_36segmented_radix_sort_config_selectorIalEEZNS1_25segmented_radix_sort_implIS3_Lb0EPKaPaPKlPlN2at6native12_GLOBAL__N_18offset_tEEE10hipError_tPvRmT1_PNSt15iterator_traitsISK_E10value_typeET2_T3_PNSL_ISQ_E10value_typeET4_jRbjT5_SW_jjP12ihipStream_tbEUlT_E2_NS1_11comp_targetILNS1_3genE5ELNS1_11target_archE942ELNS1_3gpuE9ELNS1_3repE0EEENS1_30default_config_static_selectorELNS0_4arch9wavefront6targetE1EEEvSK_.num_vgpr, 0
	.set _ZN7rocprim17ROCPRIM_400000_NS6detail17trampoline_kernelINS0_14default_configENS1_36segmented_radix_sort_config_selectorIalEEZNS1_25segmented_radix_sort_implIS3_Lb0EPKaPaPKlPlN2at6native12_GLOBAL__N_18offset_tEEE10hipError_tPvRmT1_PNSt15iterator_traitsISK_E10value_typeET2_T3_PNSL_ISQ_E10value_typeET4_jRbjT5_SW_jjP12ihipStream_tbEUlT_E2_NS1_11comp_targetILNS1_3genE5ELNS1_11target_archE942ELNS1_3gpuE9ELNS1_3repE0EEENS1_30default_config_static_selectorELNS0_4arch9wavefront6targetE1EEEvSK_.num_agpr, 0
	.set _ZN7rocprim17ROCPRIM_400000_NS6detail17trampoline_kernelINS0_14default_configENS1_36segmented_radix_sort_config_selectorIalEEZNS1_25segmented_radix_sort_implIS3_Lb0EPKaPaPKlPlN2at6native12_GLOBAL__N_18offset_tEEE10hipError_tPvRmT1_PNSt15iterator_traitsISK_E10value_typeET2_T3_PNSL_ISQ_E10value_typeET4_jRbjT5_SW_jjP12ihipStream_tbEUlT_E2_NS1_11comp_targetILNS1_3genE5ELNS1_11target_archE942ELNS1_3gpuE9ELNS1_3repE0EEENS1_30default_config_static_selectorELNS0_4arch9wavefront6targetE1EEEvSK_.numbered_sgpr, 0
	.set _ZN7rocprim17ROCPRIM_400000_NS6detail17trampoline_kernelINS0_14default_configENS1_36segmented_radix_sort_config_selectorIalEEZNS1_25segmented_radix_sort_implIS3_Lb0EPKaPaPKlPlN2at6native12_GLOBAL__N_18offset_tEEE10hipError_tPvRmT1_PNSt15iterator_traitsISK_E10value_typeET2_T3_PNSL_ISQ_E10value_typeET4_jRbjT5_SW_jjP12ihipStream_tbEUlT_E2_NS1_11comp_targetILNS1_3genE5ELNS1_11target_archE942ELNS1_3gpuE9ELNS1_3repE0EEENS1_30default_config_static_selectorELNS0_4arch9wavefront6targetE1EEEvSK_.num_named_barrier, 0
	.set _ZN7rocprim17ROCPRIM_400000_NS6detail17trampoline_kernelINS0_14default_configENS1_36segmented_radix_sort_config_selectorIalEEZNS1_25segmented_radix_sort_implIS3_Lb0EPKaPaPKlPlN2at6native12_GLOBAL__N_18offset_tEEE10hipError_tPvRmT1_PNSt15iterator_traitsISK_E10value_typeET2_T3_PNSL_ISQ_E10value_typeET4_jRbjT5_SW_jjP12ihipStream_tbEUlT_E2_NS1_11comp_targetILNS1_3genE5ELNS1_11target_archE942ELNS1_3gpuE9ELNS1_3repE0EEENS1_30default_config_static_selectorELNS0_4arch9wavefront6targetE1EEEvSK_.private_seg_size, 0
	.set _ZN7rocprim17ROCPRIM_400000_NS6detail17trampoline_kernelINS0_14default_configENS1_36segmented_radix_sort_config_selectorIalEEZNS1_25segmented_radix_sort_implIS3_Lb0EPKaPaPKlPlN2at6native12_GLOBAL__N_18offset_tEEE10hipError_tPvRmT1_PNSt15iterator_traitsISK_E10value_typeET2_T3_PNSL_ISQ_E10value_typeET4_jRbjT5_SW_jjP12ihipStream_tbEUlT_E2_NS1_11comp_targetILNS1_3genE5ELNS1_11target_archE942ELNS1_3gpuE9ELNS1_3repE0EEENS1_30default_config_static_selectorELNS0_4arch9wavefront6targetE1EEEvSK_.uses_vcc, 0
	.set _ZN7rocprim17ROCPRIM_400000_NS6detail17trampoline_kernelINS0_14default_configENS1_36segmented_radix_sort_config_selectorIalEEZNS1_25segmented_radix_sort_implIS3_Lb0EPKaPaPKlPlN2at6native12_GLOBAL__N_18offset_tEEE10hipError_tPvRmT1_PNSt15iterator_traitsISK_E10value_typeET2_T3_PNSL_ISQ_E10value_typeET4_jRbjT5_SW_jjP12ihipStream_tbEUlT_E2_NS1_11comp_targetILNS1_3genE5ELNS1_11target_archE942ELNS1_3gpuE9ELNS1_3repE0EEENS1_30default_config_static_selectorELNS0_4arch9wavefront6targetE1EEEvSK_.uses_flat_scratch, 0
	.set _ZN7rocprim17ROCPRIM_400000_NS6detail17trampoline_kernelINS0_14default_configENS1_36segmented_radix_sort_config_selectorIalEEZNS1_25segmented_radix_sort_implIS3_Lb0EPKaPaPKlPlN2at6native12_GLOBAL__N_18offset_tEEE10hipError_tPvRmT1_PNSt15iterator_traitsISK_E10value_typeET2_T3_PNSL_ISQ_E10value_typeET4_jRbjT5_SW_jjP12ihipStream_tbEUlT_E2_NS1_11comp_targetILNS1_3genE5ELNS1_11target_archE942ELNS1_3gpuE9ELNS1_3repE0EEENS1_30default_config_static_selectorELNS0_4arch9wavefront6targetE1EEEvSK_.has_dyn_sized_stack, 0
	.set _ZN7rocprim17ROCPRIM_400000_NS6detail17trampoline_kernelINS0_14default_configENS1_36segmented_radix_sort_config_selectorIalEEZNS1_25segmented_radix_sort_implIS3_Lb0EPKaPaPKlPlN2at6native12_GLOBAL__N_18offset_tEEE10hipError_tPvRmT1_PNSt15iterator_traitsISK_E10value_typeET2_T3_PNSL_ISQ_E10value_typeET4_jRbjT5_SW_jjP12ihipStream_tbEUlT_E2_NS1_11comp_targetILNS1_3genE5ELNS1_11target_archE942ELNS1_3gpuE9ELNS1_3repE0EEENS1_30default_config_static_selectorELNS0_4arch9wavefront6targetE1EEEvSK_.has_recursion, 0
	.set _ZN7rocprim17ROCPRIM_400000_NS6detail17trampoline_kernelINS0_14default_configENS1_36segmented_radix_sort_config_selectorIalEEZNS1_25segmented_radix_sort_implIS3_Lb0EPKaPaPKlPlN2at6native12_GLOBAL__N_18offset_tEEE10hipError_tPvRmT1_PNSt15iterator_traitsISK_E10value_typeET2_T3_PNSL_ISQ_E10value_typeET4_jRbjT5_SW_jjP12ihipStream_tbEUlT_E2_NS1_11comp_targetILNS1_3genE5ELNS1_11target_archE942ELNS1_3gpuE9ELNS1_3repE0EEENS1_30default_config_static_selectorELNS0_4arch9wavefront6targetE1EEEvSK_.has_indirect_call, 0
	.section	.AMDGPU.csdata,"",@progbits
; Kernel info:
; codeLenInByte = 0
; TotalNumSgprs: 4
; NumVgprs: 0
; ScratchSize: 0
; MemoryBound: 0
; FloatMode: 240
; IeeeMode: 1
; LDSByteSize: 0 bytes/workgroup (compile time only)
; SGPRBlocks: 0
; VGPRBlocks: 0
; NumSGPRsForWavesPerEU: 4
; NumVGPRsForWavesPerEU: 1
; Occupancy: 10
; WaveLimiterHint : 0
; COMPUTE_PGM_RSRC2:SCRATCH_EN: 0
; COMPUTE_PGM_RSRC2:USER_SGPR: 6
; COMPUTE_PGM_RSRC2:TRAP_HANDLER: 0
; COMPUTE_PGM_RSRC2:TGID_X_EN: 1
; COMPUTE_PGM_RSRC2:TGID_Y_EN: 0
; COMPUTE_PGM_RSRC2:TGID_Z_EN: 0
; COMPUTE_PGM_RSRC2:TIDIG_COMP_CNT: 0
	.section	.text._ZN7rocprim17ROCPRIM_400000_NS6detail17trampoline_kernelINS0_14default_configENS1_36segmented_radix_sort_config_selectorIalEEZNS1_25segmented_radix_sort_implIS3_Lb0EPKaPaPKlPlN2at6native12_GLOBAL__N_18offset_tEEE10hipError_tPvRmT1_PNSt15iterator_traitsISK_E10value_typeET2_T3_PNSL_ISQ_E10value_typeET4_jRbjT5_SW_jjP12ihipStream_tbEUlT_E2_NS1_11comp_targetILNS1_3genE4ELNS1_11target_archE910ELNS1_3gpuE8ELNS1_3repE0EEENS1_30default_config_static_selectorELNS0_4arch9wavefront6targetE1EEEvSK_,"axG",@progbits,_ZN7rocprim17ROCPRIM_400000_NS6detail17trampoline_kernelINS0_14default_configENS1_36segmented_radix_sort_config_selectorIalEEZNS1_25segmented_radix_sort_implIS3_Lb0EPKaPaPKlPlN2at6native12_GLOBAL__N_18offset_tEEE10hipError_tPvRmT1_PNSt15iterator_traitsISK_E10value_typeET2_T3_PNSL_ISQ_E10value_typeET4_jRbjT5_SW_jjP12ihipStream_tbEUlT_E2_NS1_11comp_targetILNS1_3genE4ELNS1_11target_archE910ELNS1_3gpuE8ELNS1_3repE0EEENS1_30default_config_static_selectorELNS0_4arch9wavefront6targetE1EEEvSK_,comdat
	.globl	_ZN7rocprim17ROCPRIM_400000_NS6detail17trampoline_kernelINS0_14default_configENS1_36segmented_radix_sort_config_selectorIalEEZNS1_25segmented_radix_sort_implIS3_Lb0EPKaPaPKlPlN2at6native12_GLOBAL__N_18offset_tEEE10hipError_tPvRmT1_PNSt15iterator_traitsISK_E10value_typeET2_T3_PNSL_ISQ_E10value_typeET4_jRbjT5_SW_jjP12ihipStream_tbEUlT_E2_NS1_11comp_targetILNS1_3genE4ELNS1_11target_archE910ELNS1_3gpuE8ELNS1_3repE0EEENS1_30default_config_static_selectorELNS0_4arch9wavefront6targetE1EEEvSK_ ; -- Begin function _ZN7rocprim17ROCPRIM_400000_NS6detail17trampoline_kernelINS0_14default_configENS1_36segmented_radix_sort_config_selectorIalEEZNS1_25segmented_radix_sort_implIS3_Lb0EPKaPaPKlPlN2at6native12_GLOBAL__N_18offset_tEEE10hipError_tPvRmT1_PNSt15iterator_traitsISK_E10value_typeET2_T3_PNSL_ISQ_E10value_typeET4_jRbjT5_SW_jjP12ihipStream_tbEUlT_E2_NS1_11comp_targetILNS1_3genE4ELNS1_11target_archE910ELNS1_3gpuE8ELNS1_3repE0EEENS1_30default_config_static_selectorELNS0_4arch9wavefront6targetE1EEEvSK_
	.p2align	8
	.type	_ZN7rocprim17ROCPRIM_400000_NS6detail17trampoline_kernelINS0_14default_configENS1_36segmented_radix_sort_config_selectorIalEEZNS1_25segmented_radix_sort_implIS3_Lb0EPKaPaPKlPlN2at6native12_GLOBAL__N_18offset_tEEE10hipError_tPvRmT1_PNSt15iterator_traitsISK_E10value_typeET2_T3_PNSL_ISQ_E10value_typeET4_jRbjT5_SW_jjP12ihipStream_tbEUlT_E2_NS1_11comp_targetILNS1_3genE4ELNS1_11target_archE910ELNS1_3gpuE8ELNS1_3repE0EEENS1_30default_config_static_selectorELNS0_4arch9wavefront6targetE1EEEvSK_,@function
_ZN7rocprim17ROCPRIM_400000_NS6detail17trampoline_kernelINS0_14default_configENS1_36segmented_radix_sort_config_selectorIalEEZNS1_25segmented_radix_sort_implIS3_Lb0EPKaPaPKlPlN2at6native12_GLOBAL__N_18offset_tEEE10hipError_tPvRmT1_PNSt15iterator_traitsISK_E10value_typeET2_T3_PNSL_ISQ_E10value_typeET4_jRbjT5_SW_jjP12ihipStream_tbEUlT_E2_NS1_11comp_targetILNS1_3genE4ELNS1_11target_archE910ELNS1_3gpuE8ELNS1_3repE0EEENS1_30default_config_static_selectorELNS0_4arch9wavefront6targetE1EEEvSK_: ; @_ZN7rocprim17ROCPRIM_400000_NS6detail17trampoline_kernelINS0_14default_configENS1_36segmented_radix_sort_config_selectorIalEEZNS1_25segmented_radix_sort_implIS3_Lb0EPKaPaPKlPlN2at6native12_GLOBAL__N_18offset_tEEE10hipError_tPvRmT1_PNSt15iterator_traitsISK_E10value_typeET2_T3_PNSL_ISQ_E10value_typeET4_jRbjT5_SW_jjP12ihipStream_tbEUlT_E2_NS1_11comp_targetILNS1_3genE4ELNS1_11target_archE910ELNS1_3gpuE8ELNS1_3repE0EEENS1_30default_config_static_selectorELNS0_4arch9wavefront6targetE1EEEvSK_
; %bb.0:
	.section	.rodata,"a",@progbits
	.p2align	6, 0x0
	.amdhsa_kernel _ZN7rocprim17ROCPRIM_400000_NS6detail17trampoline_kernelINS0_14default_configENS1_36segmented_radix_sort_config_selectorIalEEZNS1_25segmented_radix_sort_implIS3_Lb0EPKaPaPKlPlN2at6native12_GLOBAL__N_18offset_tEEE10hipError_tPvRmT1_PNSt15iterator_traitsISK_E10value_typeET2_T3_PNSL_ISQ_E10value_typeET4_jRbjT5_SW_jjP12ihipStream_tbEUlT_E2_NS1_11comp_targetILNS1_3genE4ELNS1_11target_archE910ELNS1_3gpuE8ELNS1_3repE0EEENS1_30default_config_static_selectorELNS0_4arch9wavefront6targetE1EEEvSK_
		.amdhsa_group_segment_fixed_size 0
		.amdhsa_private_segment_fixed_size 0
		.amdhsa_kernarg_size 80
		.amdhsa_user_sgpr_count 6
		.amdhsa_user_sgpr_private_segment_buffer 1
		.amdhsa_user_sgpr_dispatch_ptr 0
		.amdhsa_user_sgpr_queue_ptr 0
		.amdhsa_user_sgpr_kernarg_segment_ptr 1
		.amdhsa_user_sgpr_dispatch_id 0
		.amdhsa_user_sgpr_flat_scratch_init 0
		.amdhsa_user_sgpr_private_segment_size 0
		.amdhsa_uses_dynamic_stack 0
		.amdhsa_system_sgpr_private_segment_wavefront_offset 0
		.amdhsa_system_sgpr_workgroup_id_x 1
		.amdhsa_system_sgpr_workgroup_id_y 0
		.amdhsa_system_sgpr_workgroup_id_z 0
		.amdhsa_system_sgpr_workgroup_info 0
		.amdhsa_system_vgpr_workitem_id 0
		.amdhsa_next_free_vgpr 1
		.amdhsa_next_free_sgpr 0
		.amdhsa_reserve_vcc 0
		.amdhsa_reserve_flat_scratch 0
		.amdhsa_float_round_mode_32 0
		.amdhsa_float_round_mode_16_64 0
		.amdhsa_float_denorm_mode_32 3
		.amdhsa_float_denorm_mode_16_64 3
		.amdhsa_dx10_clamp 1
		.amdhsa_ieee_mode 1
		.amdhsa_fp16_overflow 0
		.amdhsa_exception_fp_ieee_invalid_op 0
		.amdhsa_exception_fp_denorm_src 0
		.amdhsa_exception_fp_ieee_div_zero 0
		.amdhsa_exception_fp_ieee_overflow 0
		.amdhsa_exception_fp_ieee_underflow 0
		.amdhsa_exception_fp_ieee_inexact 0
		.amdhsa_exception_int_div_zero 0
	.end_amdhsa_kernel
	.section	.text._ZN7rocprim17ROCPRIM_400000_NS6detail17trampoline_kernelINS0_14default_configENS1_36segmented_radix_sort_config_selectorIalEEZNS1_25segmented_radix_sort_implIS3_Lb0EPKaPaPKlPlN2at6native12_GLOBAL__N_18offset_tEEE10hipError_tPvRmT1_PNSt15iterator_traitsISK_E10value_typeET2_T3_PNSL_ISQ_E10value_typeET4_jRbjT5_SW_jjP12ihipStream_tbEUlT_E2_NS1_11comp_targetILNS1_3genE4ELNS1_11target_archE910ELNS1_3gpuE8ELNS1_3repE0EEENS1_30default_config_static_selectorELNS0_4arch9wavefront6targetE1EEEvSK_,"axG",@progbits,_ZN7rocprim17ROCPRIM_400000_NS6detail17trampoline_kernelINS0_14default_configENS1_36segmented_radix_sort_config_selectorIalEEZNS1_25segmented_radix_sort_implIS3_Lb0EPKaPaPKlPlN2at6native12_GLOBAL__N_18offset_tEEE10hipError_tPvRmT1_PNSt15iterator_traitsISK_E10value_typeET2_T3_PNSL_ISQ_E10value_typeET4_jRbjT5_SW_jjP12ihipStream_tbEUlT_E2_NS1_11comp_targetILNS1_3genE4ELNS1_11target_archE910ELNS1_3gpuE8ELNS1_3repE0EEENS1_30default_config_static_selectorELNS0_4arch9wavefront6targetE1EEEvSK_,comdat
.Lfunc_end425:
	.size	_ZN7rocprim17ROCPRIM_400000_NS6detail17trampoline_kernelINS0_14default_configENS1_36segmented_radix_sort_config_selectorIalEEZNS1_25segmented_radix_sort_implIS3_Lb0EPKaPaPKlPlN2at6native12_GLOBAL__N_18offset_tEEE10hipError_tPvRmT1_PNSt15iterator_traitsISK_E10value_typeET2_T3_PNSL_ISQ_E10value_typeET4_jRbjT5_SW_jjP12ihipStream_tbEUlT_E2_NS1_11comp_targetILNS1_3genE4ELNS1_11target_archE910ELNS1_3gpuE8ELNS1_3repE0EEENS1_30default_config_static_selectorELNS0_4arch9wavefront6targetE1EEEvSK_, .Lfunc_end425-_ZN7rocprim17ROCPRIM_400000_NS6detail17trampoline_kernelINS0_14default_configENS1_36segmented_radix_sort_config_selectorIalEEZNS1_25segmented_radix_sort_implIS3_Lb0EPKaPaPKlPlN2at6native12_GLOBAL__N_18offset_tEEE10hipError_tPvRmT1_PNSt15iterator_traitsISK_E10value_typeET2_T3_PNSL_ISQ_E10value_typeET4_jRbjT5_SW_jjP12ihipStream_tbEUlT_E2_NS1_11comp_targetILNS1_3genE4ELNS1_11target_archE910ELNS1_3gpuE8ELNS1_3repE0EEENS1_30default_config_static_selectorELNS0_4arch9wavefront6targetE1EEEvSK_
                                        ; -- End function
	.set _ZN7rocprim17ROCPRIM_400000_NS6detail17trampoline_kernelINS0_14default_configENS1_36segmented_radix_sort_config_selectorIalEEZNS1_25segmented_radix_sort_implIS3_Lb0EPKaPaPKlPlN2at6native12_GLOBAL__N_18offset_tEEE10hipError_tPvRmT1_PNSt15iterator_traitsISK_E10value_typeET2_T3_PNSL_ISQ_E10value_typeET4_jRbjT5_SW_jjP12ihipStream_tbEUlT_E2_NS1_11comp_targetILNS1_3genE4ELNS1_11target_archE910ELNS1_3gpuE8ELNS1_3repE0EEENS1_30default_config_static_selectorELNS0_4arch9wavefront6targetE1EEEvSK_.num_vgpr, 0
	.set _ZN7rocprim17ROCPRIM_400000_NS6detail17trampoline_kernelINS0_14default_configENS1_36segmented_radix_sort_config_selectorIalEEZNS1_25segmented_radix_sort_implIS3_Lb0EPKaPaPKlPlN2at6native12_GLOBAL__N_18offset_tEEE10hipError_tPvRmT1_PNSt15iterator_traitsISK_E10value_typeET2_T3_PNSL_ISQ_E10value_typeET4_jRbjT5_SW_jjP12ihipStream_tbEUlT_E2_NS1_11comp_targetILNS1_3genE4ELNS1_11target_archE910ELNS1_3gpuE8ELNS1_3repE0EEENS1_30default_config_static_selectorELNS0_4arch9wavefront6targetE1EEEvSK_.num_agpr, 0
	.set _ZN7rocprim17ROCPRIM_400000_NS6detail17trampoline_kernelINS0_14default_configENS1_36segmented_radix_sort_config_selectorIalEEZNS1_25segmented_radix_sort_implIS3_Lb0EPKaPaPKlPlN2at6native12_GLOBAL__N_18offset_tEEE10hipError_tPvRmT1_PNSt15iterator_traitsISK_E10value_typeET2_T3_PNSL_ISQ_E10value_typeET4_jRbjT5_SW_jjP12ihipStream_tbEUlT_E2_NS1_11comp_targetILNS1_3genE4ELNS1_11target_archE910ELNS1_3gpuE8ELNS1_3repE0EEENS1_30default_config_static_selectorELNS0_4arch9wavefront6targetE1EEEvSK_.numbered_sgpr, 0
	.set _ZN7rocprim17ROCPRIM_400000_NS6detail17trampoline_kernelINS0_14default_configENS1_36segmented_radix_sort_config_selectorIalEEZNS1_25segmented_radix_sort_implIS3_Lb0EPKaPaPKlPlN2at6native12_GLOBAL__N_18offset_tEEE10hipError_tPvRmT1_PNSt15iterator_traitsISK_E10value_typeET2_T3_PNSL_ISQ_E10value_typeET4_jRbjT5_SW_jjP12ihipStream_tbEUlT_E2_NS1_11comp_targetILNS1_3genE4ELNS1_11target_archE910ELNS1_3gpuE8ELNS1_3repE0EEENS1_30default_config_static_selectorELNS0_4arch9wavefront6targetE1EEEvSK_.num_named_barrier, 0
	.set _ZN7rocprim17ROCPRIM_400000_NS6detail17trampoline_kernelINS0_14default_configENS1_36segmented_radix_sort_config_selectorIalEEZNS1_25segmented_radix_sort_implIS3_Lb0EPKaPaPKlPlN2at6native12_GLOBAL__N_18offset_tEEE10hipError_tPvRmT1_PNSt15iterator_traitsISK_E10value_typeET2_T3_PNSL_ISQ_E10value_typeET4_jRbjT5_SW_jjP12ihipStream_tbEUlT_E2_NS1_11comp_targetILNS1_3genE4ELNS1_11target_archE910ELNS1_3gpuE8ELNS1_3repE0EEENS1_30default_config_static_selectorELNS0_4arch9wavefront6targetE1EEEvSK_.private_seg_size, 0
	.set _ZN7rocprim17ROCPRIM_400000_NS6detail17trampoline_kernelINS0_14default_configENS1_36segmented_radix_sort_config_selectorIalEEZNS1_25segmented_radix_sort_implIS3_Lb0EPKaPaPKlPlN2at6native12_GLOBAL__N_18offset_tEEE10hipError_tPvRmT1_PNSt15iterator_traitsISK_E10value_typeET2_T3_PNSL_ISQ_E10value_typeET4_jRbjT5_SW_jjP12ihipStream_tbEUlT_E2_NS1_11comp_targetILNS1_3genE4ELNS1_11target_archE910ELNS1_3gpuE8ELNS1_3repE0EEENS1_30default_config_static_selectorELNS0_4arch9wavefront6targetE1EEEvSK_.uses_vcc, 0
	.set _ZN7rocprim17ROCPRIM_400000_NS6detail17trampoline_kernelINS0_14default_configENS1_36segmented_radix_sort_config_selectorIalEEZNS1_25segmented_radix_sort_implIS3_Lb0EPKaPaPKlPlN2at6native12_GLOBAL__N_18offset_tEEE10hipError_tPvRmT1_PNSt15iterator_traitsISK_E10value_typeET2_T3_PNSL_ISQ_E10value_typeET4_jRbjT5_SW_jjP12ihipStream_tbEUlT_E2_NS1_11comp_targetILNS1_3genE4ELNS1_11target_archE910ELNS1_3gpuE8ELNS1_3repE0EEENS1_30default_config_static_selectorELNS0_4arch9wavefront6targetE1EEEvSK_.uses_flat_scratch, 0
	.set _ZN7rocprim17ROCPRIM_400000_NS6detail17trampoline_kernelINS0_14default_configENS1_36segmented_radix_sort_config_selectorIalEEZNS1_25segmented_radix_sort_implIS3_Lb0EPKaPaPKlPlN2at6native12_GLOBAL__N_18offset_tEEE10hipError_tPvRmT1_PNSt15iterator_traitsISK_E10value_typeET2_T3_PNSL_ISQ_E10value_typeET4_jRbjT5_SW_jjP12ihipStream_tbEUlT_E2_NS1_11comp_targetILNS1_3genE4ELNS1_11target_archE910ELNS1_3gpuE8ELNS1_3repE0EEENS1_30default_config_static_selectorELNS0_4arch9wavefront6targetE1EEEvSK_.has_dyn_sized_stack, 0
	.set _ZN7rocprim17ROCPRIM_400000_NS6detail17trampoline_kernelINS0_14default_configENS1_36segmented_radix_sort_config_selectorIalEEZNS1_25segmented_radix_sort_implIS3_Lb0EPKaPaPKlPlN2at6native12_GLOBAL__N_18offset_tEEE10hipError_tPvRmT1_PNSt15iterator_traitsISK_E10value_typeET2_T3_PNSL_ISQ_E10value_typeET4_jRbjT5_SW_jjP12ihipStream_tbEUlT_E2_NS1_11comp_targetILNS1_3genE4ELNS1_11target_archE910ELNS1_3gpuE8ELNS1_3repE0EEENS1_30default_config_static_selectorELNS0_4arch9wavefront6targetE1EEEvSK_.has_recursion, 0
	.set _ZN7rocprim17ROCPRIM_400000_NS6detail17trampoline_kernelINS0_14default_configENS1_36segmented_radix_sort_config_selectorIalEEZNS1_25segmented_radix_sort_implIS3_Lb0EPKaPaPKlPlN2at6native12_GLOBAL__N_18offset_tEEE10hipError_tPvRmT1_PNSt15iterator_traitsISK_E10value_typeET2_T3_PNSL_ISQ_E10value_typeET4_jRbjT5_SW_jjP12ihipStream_tbEUlT_E2_NS1_11comp_targetILNS1_3genE4ELNS1_11target_archE910ELNS1_3gpuE8ELNS1_3repE0EEENS1_30default_config_static_selectorELNS0_4arch9wavefront6targetE1EEEvSK_.has_indirect_call, 0
	.section	.AMDGPU.csdata,"",@progbits
; Kernel info:
; codeLenInByte = 0
; TotalNumSgprs: 4
; NumVgprs: 0
; ScratchSize: 0
; MemoryBound: 0
; FloatMode: 240
; IeeeMode: 1
; LDSByteSize: 0 bytes/workgroup (compile time only)
; SGPRBlocks: 0
; VGPRBlocks: 0
; NumSGPRsForWavesPerEU: 4
; NumVGPRsForWavesPerEU: 1
; Occupancy: 10
; WaveLimiterHint : 0
; COMPUTE_PGM_RSRC2:SCRATCH_EN: 0
; COMPUTE_PGM_RSRC2:USER_SGPR: 6
; COMPUTE_PGM_RSRC2:TRAP_HANDLER: 0
; COMPUTE_PGM_RSRC2:TGID_X_EN: 1
; COMPUTE_PGM_RSRC2:TGID_Y_EN: 0
; COMPUTE_PGM_RSRC2:TGID_Z_EN: 0
; COMPUTE_PGM_RSRC2:TIDIG_COMP_CNT: 0
	.section	.text._ZN7rocprim17ROCPRIM_400000_NS6detail17trampoline_kernelINS0_14default_configENS1_36segmented_radix_sort_config_selectorIalEEZNS1_25segmented_radix_sort_implIS3_Lb0EPKaPaPKlPlN2at6native12_GLOBAL__N_18offset_tEEE10hipError_tPvRmT1_PNSt15iterator_traitsISK_E10value_typeET2_T3_PNSL_ISQ_E10value_typeET4_jRbjT5_SW_jjP12ihipStream_tbEUlT_E2_NS1_11comp_targetILNS1_3genE3ELNS1_11target_archE908ELNS1_3gpuE7ELNS1_3repE0EEENS1_30default_config_static_selectorELNS0_4arch9wavefront6targetE1EEEvSK_,"axG",@progbits,_ZN7rocprim17ROCPRIM_400000_NS6detail17trampoline_kernelINS0_14default_configENS1_36segmented_radix_sort_config_selectorIalEEZNS1_25segmented_radix_sort_implIS3_Lb0EPKaPaPKlPlN2at6native12_GLOBAL__N_18offset_tEEE10hipError_tPvRmT1_PNSt15iterator_traitsISK_E10value_typeET2_T3_PNSL_ISQ_E10value_typeET4_jRbjT5_SW_jjP12ihipStream_tbEUlT_E2_NS1_11comp_targetILNS1_3genE3ELNS1_11target_archE908ELNS1_3gpuE7ELNS1_3repE0EEENS1_30default_config_static_selectorELNS0_4arch9wavefront6targetE1EEEvSK_,comdat
	.globl	_ZN7rocprim17ROCPRIM_400000_NS6detail17trampoline_kernelINS0_14default_configENS1_36segmented_radix_sort_config_selectorIalEEZNS1_25segmented_radix_sort_implIS3_Lb0EPKaPaPKlPlN2at6native12_GLOBAL__N_18offset_tEEE10hipError_tPvRmT1_PNSt15iterator_traitsISK_E10value_typeET2_T3_PNSL_ISQ_E10value_typeET4_jRbjT5_SW_jjP12ihipStream_tbEUlT_E2_NS1_11comp_targetILNS1_3genE3ELNS1_11target_archE908ELNS1_3gpuE7ELNS1_3repE0EEENS1_30default_config_static_selectorELNS0_4arch9wavefront6targetE1EEEvSK_ ; -- Begin function _ZN7rocprim17ROCPRIM_400000_NS6detail17trampoline_kernelINS0_14default_configENS1_36segmented_radix_sort_config_selectorIalEEZNS1_25segmented_radix_sort_implIS3_Lb0EPKaPaPKlPlN2at6native12_GLOBAL__N_18offset_tEEE10hipError_tPvRmT1_PNSt15iterator_traitsISK_E10value_typeET2_T3_PNSL_ISQ_E10value_typeET4_jRbjT5_SW_jjP12ihipStream_tbEUlT_E2_NS1_11comp_targetILNS1_3genE3ELNS1_11target_archE908ELNS1_3gpuE7ELNS1_3repE0EEENS1_30default_config_static_selectorELNS0_4arch9wavefront6targetE1EEEvSK_
	.p2align	8
	.type	_ZN7rocprim17ROCPRIM_400000_NS6detail17trampoline_kernelINS0_14default_configENS1_36segmented_radix_sort_config_selectorIalEEZNS1_25segmented_radix_sort_implIS3_Lb0EPKaPaPKlPlN2at6native12_GLOBAL__N_18offset_tEEE10hipError_tPvRmT1_PNSt15iterator_traitsISK_E10value_typeET2_T3_PNSL_ISQ_E10value_typeET4_jRbjT5_SW_jjP12ihipStream_tbEUlT_E2_NS1_11comp_targetILNS1_3genE3ELNS1_11target_archE908ELNS1_3gpuE7ELNS1_3repE0EEENS1_30default_config_static_selectorELNS0_4arch9wavefront6targetE1EEEvSK_,@function
_ZN7rocprim17ROCPRIM_400000_NS6detail17trampoline_kernelINS0_14default_configENS1_36segmented_radix_sort_config_selectorIalEEZNS1_25segmented_radix_sort_implIS3_Lb0EPKaPaPKlPlN2at6native12_GLOBAL__N_18offset_tEEE10hipError_tPvRmT1_PNSt15iterator_traitsISK_E10value_typeET2_T3_PNSL_ISQ_E10value_typeET4_jRbjT5_SW_jjP12ihipStream_tbEUlT_E2_NS1_11comp_targetILNS1_3genE3ELNS1_11target_archE908ELNS1_3gpuE7ELNS1_3repE0EEENS1_30default_config_static_selectorELNS0_4arch9wavefront6targetE1EEEvSK_: ; @_ZN7rocprim17ROCPRIM_400000_NS6detail17trampoline_kernelINS0_14default_configENS1_36segmented_radix_sort_config_selectorIalEEZNS1_25segmented_radix_sort_implIS3_Lb0EPKaPaPKlPlN2at6native12_GLOBAL__N_18offset_tEEE10hipError_tPvRmT1_PNSt15iterator_traitsISK_E10value_typeET2_T3_PNSL_ISQ_E10value_typeET4_jRbjT5_SW_jjP12ihipStream_tbEUlT_E2_NS1_11comp_targetILNS1_3genE3ELNS1_11target_archE908ELNS1_3gpuE7ELNS1_3repE0EEENS1_30default_config_static_selectorELNS0_4arch9wavefront6targetE1EEEvSK_
; %bb.0:
	.section	.rodata,"a",@progbits
	.p2align	6, 0x0
	.amdhsa_kernel _ZN7rocprim17ROCPRIM_400000_NS6detail17trampoline_kernelINS0_14default_configENS1_36segmented_radix_sort_config_selectorIalEEZNS1_25segmented_radix_sort_implIS3_Lb0EPKaPaPKlPlN2at6native12_GLOBAL__N_18offset_tEEE10hipError_tPvRmT1_PNSt15iterator_traitsISK_E10value_typeET2_T3_PNSL_ISQ_E10value_typeET4_jRbjT5_SW_jjP12ihipStream_tbEUlT_E2_NS1_11comp_targetILNS1_3genE3ELNS1_11target_archE908ELNS1_3gpuE7ELNS1_3repE0EEENS1_30default_config_static_selectorELNS0_4arch9wavefront6targetE1EEEvSK_
		.amdhsa_group_segment_fixed_size 0
		.amdhsa_private_segment_fixed_size 0
		.amdhsa_kernarg_size 80
		.amdhsa_user_sgpr_count 6
		.amdhsa_user_sgpr_private_segment_buffer 1
		.amdhsa_user_sgpr_dispatch_ptr 0
		.amdhsa_user_sgpr_queue_ptr 0
		.amdhsa_user_sgpr_kernarg_segment_ptr 1
		.amdhsa_user_sgpr_dispatch_id 0
		.amdhsa_user_sgpr_flat_scratch_init 0
		.amdhsa_user_sgpr_private_segment_size 0
		.amdhsa_uses_dynamic_stack 0
		.amdhsa_system_sgpr_private_segment_wavefront_offset 0
		.amdhsa_system_sgpr_workgroup_id_x 1
		.amdhsa_system_sgpr_workgroup_id_y 0
		.amdhsa_system_sgpr_workgroup_id_z 0
		.amdhsa_system_sgpr_workgroup_info 0
		.amdhsa_system_vgpr_workitem_id 0
		.amdhsa_next_free_vgpr 1
		.amdhsa_next_free_sgpr 0
		.amdhsa_reserve_vcc 0
		.amdhsa_reserve_flat_scratch 0
		.amdhsa_float_round_mode_32 0
		.amdhsa_float_round_mode_16_64 0
		.amdhsa_float_denorm_mode_32 3
		.amdhsa_float_denorm_mode_16_64 3
		.amdhsa_dx10_clamp 1
		.amdhsa_ieee_mode 1
		.amdhsa_fp16_overflow 0
		.amdhsa_exception_fp_ieee_invalid_op 0
		.amdhsa_exception_fp_denorm_src 0
		.amdhsa_exception_fp_ieee_div_zero 0
		.amdhsa_exception_fp_ieee_overflow 0
		.amdhsa_exception_fp_ieee_underflow 0
		.amdhsa_exception_fp_ieee_inexact 0
		.amdhsa_exception_int_div_zero 0
	.end_amdhsa_kernel
	.section	.text._ZN7rocprim17ROCPRIM_400000_NS6detail17trampoline_kernelINS0_14default_configENS1_36segmented_radix_sort_config_selectorIalEEZNS1_25segmented_radix_sort_implIS3_Lb0EPKaPaPKlPlN2at6native12_GLOBAL__N_18offset_tEEE10hipError_tPvRmT1_PNSt15iterator_traitsISK_E10value_typeET2_T3_PNSL_ISQ_E10value_typeET4_jRbjT5_SW_jjP12ihipStream_tbEUlT_E2_NS1_11comp_targetILNS1_3genE3ELNS1_11target_archE908ELNS1_3gpuE7ELNS1_3repE0EEENS1_30default_config_static_selectorELNS0_4arch9wavefront6targetE1EEEvSK_,"axG",@progbits,_ZN7rocprim17ROCPRIM_400000_NS6detail17trampoline_kernelINS0_14default_configENS1_36segmented_radix_sort_config_selectorIalEEZNS1_25segmented_radix_sort_implIS3_Lb0EPKaPaPKlPlN2at6native12_GLOBAL__N_18offset_tEEE10hipError_tPvRmT1_PNSt15iterator_traitsISK_E10value_typeET2_T3_PNSL_ISQ_E10value_typeET4_jRbjT5_SW_jjP12ihipStream_tbEUlT_E2_NS1_11comp_targetILNS1_3genE3ELNS1_11target_archE908ELNS1_3gpuE7ELNS1_3repE0EEENS1_30default_config_static_selectorELNS0_4arch9wavefront6targetE1EEEvSK_,comdat
.Lfunc_end426:
	.size	_ZN7rocprim17ROCPRIM_400000_NS6detail17trampoline_kernelINS0_14default_configENS1_36segmented_radix_sort_config_selectorIalEEZNS1_25segmented_radix_sort_implIS3_Lb0EPKaPaPKlPlN2at6native12_GLOBAL__N_18offset_tEEE10hipError_tPvRmT1_PNSt15iterator_traitsISK_E10value_typeET2_T3_PNSL_ISQ_E10value_typeET4_jRbjT5_SW_jjP12ihipStream_tbEUlT_E2_NS1_11comp_targetILNS1_3genE3ELNS1_11target_archE908ELNS1_3gpuE7ELNS1_3repE0EEENS1_30default_config_static_selectorELNS0_4arch9wavefront6targetE1EEEvSK_, .Lfunc_end426-_ZN7rocprim17ROCPRIM_400000_NS6detail17trampoline_kernelINS0_14default_configENS1_36segmented_radix_sort_config_selectorIalEEZNS1_25segmented_radix_sort_implIS3_Lb0EPKaPaPKlPlN2at6native12_GLOBAL__N_18offset_tEEE10hipError_tPvRmT1_PNSt15iterator_traitsISK_E10value_typeET2_T3_PNSL_ISQ_E10value_typeET4_jRbjT5_SW_jjP12ihipStream_tbEUlT_E2_NS1_11comp_targetILNS1_3genE3ELNS1_11target_archE908ELNS1_3gpuE7ELNS1_3repE0EEENS1_30default_config_static_selectorELNS0_4arch9wavefront6targetE1EEEvSK_
                                        ; -- End function
	.set _ZN7rocprim17ROCPRIM_400000_NS6detail17trampoline_kernelINS0_14default_configENS1_36segmented_radix_sort_config_selectorIalEEZNS1_25segmented_radix_sort_implIS3_Lb0EPKaPaPKlPlN2at6native12_GLOBAL__N_18offset_tEEE10hipError_tPvRmT1_PNSt15iterator_traitsISK_E10value_typeET2_T3_PNSL_ISQ_E10value_typeET4_jRbjT5_SW_jjP12ihipStream_tbEUlT_E2_NS1_11comp_targetILNS1_3genE3ELNS1_11target_archE908ELNS1_3gpuE7ELNS1_3repE0EEENS1_30default_config_static_selectorELNS0_4arch9wavefront6targetE1EEEvSK_.num_vgpr, 0
	.set _ZN7rocprim17ROCPRIM_400000_NS6detail17trampoline_kernelINS0_14default_configENS1_36segmented_radix_sort_config_selectorIalEEZNS1_25segmented_radix_sort_implIS3_Lb0EPKaPaPKlPlN2at6native12_GLOBAL__N_18offset_tEEE10hipError_tPvRmT1_PNSt15iterator_traitsISK_E10value_typeET2_T3_PNSL_ISQ_E10value_typeET4_jRbjT5_SW_jjP12ihipStream_tbEUlT_E2_NS1_11comp_targetILNS1_3genE3ELNS1_11target_archE908ELNS1_3gpuE7ELNS1_3repE0EEENS1_30default_config_static_selectorELNS0_4arch9wavefront6targetE1EEEvSK_.num_agpr, 0
	.set _ZN7rocprim17ROCPRIM_400000_NS6detail17trampoline_kernelINS0_14default_configENS1_36segmented_radix_sort_config_selectorIalEEZNS1_25segmented_radix_sort_implIS3_Lb0EPKaPaPKlPlN2at6native12_GLOBAL__N_18offset_tEEE10hipError_tPvRmT1_PNSt15iterator_traitsISK_E10value_typeET2_T3_PNSL_ISQ_E10value_typeET4_jRbjT5_SW_jjP12ihipStream_tbEUlT_E2_NS1_11comp_targetILNS1_3genE3ELNS1_11target_archE908ELNS1_3gpuE7ELNS1_3repE0EEENS1_30default_config_static_selectorELNS0_4arch9wavefront6targetE1EEEvSK_.numbered_sgpr, 0
	.set _ZN7rocprim17ROCPRIM_400000_NS6detail17trampoline_kernelINS0_14default_configENS1_36segmented_radix_sort_config_selectorIalEEZNS1_25segmented_radix_sort_implIS3_Lb0EPKaPaPKlPlN2at6native12_GLOBAL__N_18offset_tEEE10hipError_tPvRmT1_PNSt15iterator_traitsISK_E10value_typeET2_T3_PNSL_ISQ_E10value_typeET4_jRbjT5_SW_jjP12ihipStream_tbEUlT_E2_NS1_11comp_targetILNS1_3genE3ELNS1_11target_archE908ELNS1_3gpuE7ELNS1_3repE0EEENS1_30default_config_static_selectorELNS0_4arch9wavefront6targetE1EEEvSK_.num_named_barrier, 0
	.set _ZN7rocprim17ROCPRIM_400000_NS6detail17trampoline_kernelINS0_14default_configENS1_36segmented_radix_sort_config_selectorIalEEZNS1_25segmented_radix_sort_implIS3_Lb0EPKaPaPKlPlN2at6native12_GLOBAL__N_18offset_tEEE10hipError_tPvRmT1_PNSt15iterator_traitsISK_E10value_typeET2_T3_PNSL_ISQ_E10value_typeET4_jRbjT5_SW_jjP12ihipStream_tbEUlT_E2_NS1_11comp_targetILNS1_3genE3ELNS1_11target_archE908ELNS1_3gpuE7ELNS1_3repE0EEENS1_30default_config_static_selectorELNS0_4arch9wavefront6targetE1EEEvSK_.private_seg_size, 0
	.set _ZN7rocprim17ROCPRIM_400000_NS6detail17trampoline_kernelINS0_14default_configENS1_36segmented_radix_sort_config_selectorIalEEZNS1_25segmented_radix_sort_implIS3_Lb0EPKaPaPKlPlN2at6native12_GLOBAL__N_18offset_tEEE10hipError_tPvRmT1_PNSt15iterator_traitsISK_E10value_typeET2_T3_PNSL_ISQ_E10value_typeET4_jRbjT5_SW_jjP12ihipStream_tbEUlT_E2_NS1_11comp_targetILNS1_3genE3ELNS1_11target_archE908ELNS1_3gpuE7ELNS1_3repE0EEENS1_30default_config_static_selectorELNS0_4arch9wavefront6targetE1EEEvSK_.uses_vcc, 0
	.set _ZN7rocprim17ROCPRIM_400000_NS6detail17trampoline_kernelINS0_14default_configENS1_36segmented_radix_sort_config_selectorIalEEZNS1_25segmented_radix_sort_implIS3_Lb0EPKaPaPKlPlN2at6native12_GLOBAL__N_18offset_tEEE10hipError_tPvRmT1_PNSt15iterator_traitsISK_E10value_typeET2_T3_PNSL_ISQ_E10value_typeET4_jRbjT5_SW_jjP12ihipStream_tbEUlT_E2_NS1_11comp_targetILNS1_3genE3ELNS1_11target_archE908ELNS1_3gpuE7ELNS1_3repE0EEENS1_30default_config_static_selectorELNS0_4arch9wavefront6targetE1EEEvSK_.uses_flat_scratch, 0
	.set _ZN7rocprim17ROCPRIM_400000_NS6detail17trampoline_kernelINS0_14default_configENS1_36segmented_radix_sort_config_selectorIalEEZNS1_25segmented_radix_sort_implIS3_Lb0EPKaPaPKlPlN2at6native12_GLOBAL__N_18offset_tEEE10hipError_tPvRmT1_PNSt15iterator_traitsISK_E10value_typeET2_T3_PNSL_ISQ_E10value_typeET4_jRbjT5_SW_jjP12ihipStream_tbEUlT_E2_NS1_11comp_targetILNS1_3genE3ELNS1_11target_archE908ELNS1_3gpuE7ELNS1_3repE0EEENS1_30default_config_static_selectorELNS0_4arch9wavefront6targetE1EEEvSK_.has_dyn_sized_stack, 0
	.set _ZN7rocprim17ROCPRIM_400000_NS6detail17trampoline_kernelINS0_14default_configENS1_36segmented_radix_sort_config_selectorIalEEZNS1_25segmented_radix_sort_implIS3_Lb0EPKaPaPKlPlN2at6native12_GLOBAL__N_18offset_tEEE10hipError_tPvRmT1_PNSt15iterator_traitsISK_E10value_typeET2_T3_PNSL_ISQ_E10value_typeET4_jRbjT5_SW_jjP12ihipStream_tbEUlT_E2_NS1_11comp_targetILNS1_3genE3ELNS1_11target_archE908ELNS1_3gpuE7ELNS1_3repE0EEENS1_30default_config_static_selectorELNS0_4arch9wavefront6targetE1EEEvSK_.has_recursion, 0
	.set _ZN7rocprim17ROCPRIM_400000_NS6detail17trampoline_kernelINS0_14default_configENS1_36segmented_radix_sort_config_selectorIalEEZNS1_25segmented_radix_sort_implIS3_Lb0EPKaPaPKlPlN2at6native12_GLOBAL__N_18offset_tEEE10hipError_tPvRmT1_PNSt15iterator_traitsISK_E10value_typeET2_T3_PNSL_ISQ_E10value_typeET4_jRbjT5_SW_jjP12ihipStream_tbEUlT_E2_NS1_11comp_targetILNS1_3genE3ELNS1_11target_archE908ELNS1_3gpuE7ELNS1_3repE0EEENS1_30default_config_static_selectorELNS0_4arch9wavefront6targetE1EEEvSK_.has_indirect_call, 0
	.section	.AMDGPU.csdata,"",@progbits
; Kernel info:
; codeLenInByte = 0
; TotalNumSgprs: 4
; NumVgprs: 0
; ScratchSize: 0
; MemoryBound: 0
; FloatMode: 240
; IeeeMode: 1
; LDSByteSize: 0 bytes/workgroup (compile time only)
; SGPRBlocks: 0
; VGPRBlocks: 0
; NumSGPRsForWavesPerEU: 4
; NumVGPRsForWavesPerEU: 1
; Occupancy: 10
; WaveLimiterHint : 0
; COMPUTE_PGM_RSRC2:SCRATCH_EN: 0
; COMPUTE_PGM_RSRC2:USER_SGPR: 6
; COMPUTE_PGM_RSRC2:TRAP_HANDLER: 0
; COMPUTE_PGM_RSRC2:TGID_X_EN: 1
; COMPUTE_PGM_RSRC2:TGID_Y_EN: 0
; COMPUTE_PGM_RSRC2:TGID_Z_EN: 0
; COMPUTE_PGM_RSRC2:TIDIG_COMP_CNT: 0
	.section	.text._ZN7rocprim17ROCPRIM_400000_NS6detail17trampoline_kernelINS0_14default_configENS1_36segmented_radix_sort_config_selectorIalEEZNS1_25segmented_radix_sort_implIS3_Lb0EPKaPaPKlPlN2at6native12_GLOBAL__N_18offset_tEEE10hipError_tPvRmT1_PNSt15iterator_traitsISK_E10value_typeET2_T3_PNSL_ISQ_E10value_typeET4_jRbjT5_SW_jjP12ihipStream_tbEUlT_E2_NS1_11comp_targetILNS1_3genE2ELNS1_11target_archE906ELNS1_3gpuE6ELNS1_3repE0EEENS1_30default_config_static_selectorELNS0_4arch9wavefront6targetE1EEEvSK_,"axG",@progbits,_ZN7rocprim17ROCPRIM_400000_NS6detail17trampoline_kernelINS0_14default_configENS1_36segmented_radix_sort_config_selectorIalEEZNS1_25segmented_radix_sort_implIS3_Lb0EPKaPaPKlPlN2at6native12_GLOBAL__N_18offset_tEEE10hipError_tPvRmT1_PNSt15iterator_traitsISK_E10value_typeET2_T3_PNSL_ISQ_E10value_typeET4_jRbjT5_SW_jjP12ihipStream_tbEUlT_E2_NS1_11comp_targetILNS1_3genE2ELNS1_11target_archE906ELNS1_3gpuE6ELNS1_3repE0EEENS1_30default_config_static_selectorELNS0_4arch9wavefront6targetE1EEEvSK_,comdat
	.globl	_ZN7rocprim17ROCPRIM_400000_NS6detail17trampoline_kernelINS0_14default_configENS1_36segmented_radix_sort_config_selectorIalEEZNS1_25segmented_radix_sort_implIS3_Lb0EPKaPaPKlPlN2at6native12_GLOBAL__N_18offset_tEEE10hipError_tPvRmT1_PNSt15iterator_traitsISK_E10value_typeET2_T3_PNSL_ISQ_E10value_typeET4_jRbjT5_SW_jjP12ihipStream_tbEUlT_E2_NS1_11comp_targetILNS1_3genE2ELNS1_11target_archE906ELNS1_3gpuE6ELNS1_3repE0EEENS1_30default_config_static_selectorELNS0_4arch9wavefront6targetE1EEEvSK_ ; -- Begin function _ZN7rocprim17ROCPRIM_400000_NS6detail17trampoline_kernelINS0_14default_configENS1_36segmented_radix_sort_config_selectorIalEEZNS1_25segmented_radix_sort_implIS3_Lb0EPKaPaPKlPlN2at6native12_GLOBAL__N_18offset_tEEE10hipError_tPvRmT1_PNSt15iterator_traitsISK_E10value_typeET2_T3_PNSL_ISQ_E10value_typeET4_jRbjT5_SW_jjP12ihipStream_tbEUlT_E2_NS1_11comp_targetILNS1_3genE2ELNS1_11target_archE906ELNS1_3gpuE6ELNS1_3repE0EEENS1_30default_config_static_selectorELNS0_4arch9wavefront6targetE1EEEvSK_
	.p2align	8
	.type	_ZN7rocprim17ROCPRIM_400000_NS6detail17trampoline_kernelINS0_14default_configENS1_36segmented_radix_sort_config_selectorIalEEZNS1_25segmented_radix_sort_implIS3_Lb0EPKaPaPKlPlN2at6native12_GLOBAL__N_18offset_tEEE10hipError_tPvRmT1_PNSt15iterator_traitsISK_E10value_typeET2_T3_PNSL_ISQ_E10value_typeET4_jRbjT5_SW_jjP12ihipStream_tbEUlT_E2_NS1_11comp_targetILNS1_3genE2ELNS1_11target_archE906ELNS1_3gpuE6ELNS1_3repE0EEENS1_30default_config_static_selectorELNS0_4arch9wavefront6targetE1EEEvSK_,@function
_ZN7rocprim17ROCPRIM_400000_NS6detail17trampoline_kernelINS0_14default_configENS1_36segmented_radix_sort_config_selectorIalEEZNS1_25segmented_radix_sort_implIS3_Lb0EPKaPaPKlPlN2at6native12_GLOBAL__N_18offset_tEEE10hipError_tPvRmT1_PNSt15iterator_traitsISK_E10value_typeET2_T3_PNSL_ISQ_E10value_typeET4_jRbjT5_SW_jjP12ihipStream_tbEUlT_E2_NS1_11comp_targetILNS1_3genE2ELNS1_11target_archE906ELNS1_3gpuE6ELNS1_3repE0EEENS1_30default_config_static_selectorELNS0_4arch9wavefront6targetE1EEEvSK_: ; @_ZN7rocprim17ROCPRIM_400000_NS6detail17trampoline_kernelINS0_14default_configENS1_36segmented_radix_sort_config_selectorIalEEZNS1_25segmented_radix_sort_implIS3_Lb0EPKaPaPKlPlN2at6native12_GLOBAL__N_18offset_tEEE10hipError_tPvRmT1_PNSt15iterator_traitsISK_E10value_typeET2_T3_PNSL_ISQ_E10value_typeET4_jRbjT5_SW_jjP12ihipStream_tbEUlT_E2_NS1_11comp_targetILNS1_3genE2ELNS1_11target_archE906ELNS1_3gpuE6ELNS1_3repE0EEENS1_30default_config_static_selectorELNS0_4arch9wavefront6targetE1EEEvSK_
; %bb.0:
	s_add_u32 s0, s0, s8
	s_load_dwordx4 s[8:11], s[4:5], 0x34
	s_addc_u32 s1, s1, 0
	s_mov_b32 s32, 0
	s_waitcnt lgkmcnt(0)
	s_add_i32 s49, s9, s6
	s_add_i32 s76, s11, s6
	s_mul_i32 s49, s49, s8
	s_mul_i32 s76, s76, s10
	s_cmp_le_u32 s76, s49
	s_cbranch_scc1 .LBB427_422
; %bb.1:
	s_mov_b32 s48, s6
	s_load_dword s6, s[4:5], 0x30
	s_load_dwordx4 s[52:55], s[4:5], 0x20
	s_load_dwordx4 s[72:75], s[4:5], 0x44
	s_load_dwordx8 s[64:71], s[4:5], 0x0
	s_mov_b32 s33, s7
	s_waitcnt lgkmcnt(0)
	s_bitcmp1_b32 s6, 0
	s_cselect_b64 s[50:51], -1, 0
	s_sub_i32 s75, s76, s49
	s_cmpk_lt_u32 s75, 0x401
	s_mov_b64 s[6:7], -1
	s_cbranch_scc0 .LBB427_15
; %bb.2:
	s_cmp_lt_u32 s75, 33
	s_cbranch_scc0 .LBB427_9
; %bb.3:
	s_load_dword s6, s[4:5], 0x5c
	s_waitcnt lgkmcnt(0)
	s_lshr_b32 s7, s6, 16
	s_and_b32 s6, s6, 0xffff
	v_mad_u32_u24 v3, v2, s7, v1
	v_mad_u64_u32 v[3:4], s[6:7], v3, s6, v[0:1]
	v_cmp_gt_u32_e32 vcc, 8, v3
	s_and_saveexec_b64 s[34:35], vcc
	s_cbranch_execz .LBB427_8
; %bb.4:
	s_and_b32 s6, s72, 1
	v_cndmask_b32_e64 v3, 0, 1, s[50:51]
	v_cmp_ne_u32_e32 vcc, s6, v3
	s_mov_b64 s[6:7], -1
	s_cbranch_vccnz .LBB427_6
; %bb.5:
	s_add_u32 s8, s4, 0x50
	s_mov_b64 s[6:7], src_shared_base
	s_addc_u32 s9, s5, 0
	v_lshlrev_b32_e32 v3, 20, v2
	v_lshlrev_b32_e32 v4, 10, v1
	s_getpc_b64 s[10:11]
	s_add_u32 s10, s10, _ZN7rocprim17ROCPRIM_400000_NS6detail26segmented_warp_sort_helperINS1_20WarpSortHelperConfigILj8ELj4ELj256EEEalLi256ELb0EvE4sortIPKaPaPKlPlEEvT_T0_T1_T2_jjjjRNS5_12storage_typeE@rel32@lo+4
	s_addc_u32 s11, s11, _ZN7rocprim17ROCPRIM_400000_NS6detail26segmented_warp_sort_helperINS1_20WarpSortHelperConfigILj8ELj4ELj256EEEalLi256ELb0EvE4sortIPKaPaPKlPlEEvT_T0_T1_T2_jjjjRNS5_12storage_typeE@rel32@hi+12
	v_or3_b32 v31, v0, v4, v3
	s_mov_b32 s12, s48
	s_mov_b32 s13, s33
	v_mov_b32_e32 v40, v0
	v_mov_b32_e32 v0, s64
	;; [unrolled: 1-line block ×17, first 2 shown]
	s_mov_b64 s[36:37], s[4:5]
	s_swappc_b64 s[30:31], s[10:11]
	v_mov_b32_e32 v1, v41
	v_mov_b32_e32 v2, v42
	;; [unrolled: 1-line block ×3, first 2 shown]
	s_mov_b64 s[4:5], s[36:37]
	s_mov_b64 s[6:7], 0
.LBB427_6:
	s_andn2_b64 vcc, exec, s[6:7]
	s_cbranch_vccnz .LBB427_8
; %bb.7:
	s_add_u32 s8, s4, 0x50
	s_mov_b64 s[6:7], src_shared_base
	s_addc_u32 s9, s5, 0
	v_lshlrev_b32_e32 v3, 20, v2
	v_lshlrev_b32_e32 v4, 10, v1
	s_getpc_b64 s[10:11]
	s_add_u32 s10, s10, _ZN7rocprim17ROCPRIM_400000_NS6detail26segmented_warp_sort_helperINS1_20WarpSortHelperConfigILj8ELj4ELj256EEEalLi256ELb0EvE4sortIPKaPaPKlPlEEvT_T0_T1_T2_jjjjRNS5_12storage_typeE@rel32@lo+4
	s_addc_u32 s11, s11, _ZN7rocprim17ROCPRIM_400000_NS6detail26segmented_warp_sort_helperINS1_20WarpSortHelperConfigILj8ELj4ELj256EEEalLi256ELb0EvE4sortIPKaPaPKlPlEEvT_T0_T1_T2_jjjjRNS5_12storage_typeE@rel32@hi+12
	v_or3_b32 v31, v0, v4, v3
	s_mov_b32 s12, s48
	s_mov_b32 s13, s33
	v_mov_b32_e32 v40, v0
	v_mov_b32_e32 v0, s64
	;; [unrolled: 1-line block ×17, first 2 shown]
	s_mov_b64 s[36:37], s[4:5]
	s_swappc_b64 s[30:31], s[10:11]
	v_mov_b32_e32 v1, v41
	v_mov_b32_e32 v2, v42
	;; [unrolled: 1-line block ×3, first 2 shown]
	s_mov_b64 s[4:5], s[36:37]
.LBB427_8:
	s_or_b64 exec, exec, s[34:35]
	s_mov_b64 s[6:7], 0
.LBB427_9:
	s_andn2_b64 vcc, exec, s[6:7]
	s_cbranch_vccnz .LBB427_14
; %bb.10:
	s_and_b32 s6, s72, 1
	v_cndmask_b32_e64 v3, 0, 1, s[50:51]
	v_cmp_ne_u32_e32 vcc, s6, v3
	s_mov_b64 s[6:7], -1
	v_lshlrev_b32_e32 v41, 20, v2
	v_lshlrev_b32_e32 v42, 10, v1
	s_cbranch_vccnz .LBB427_12
; %bb.11:
	s_add_u32 s8, s4, 0x50
	s_mov_b64 s[6:7], src_shared_base
	s_addc_u32 s9, s5, 0
	s_getpc_b64 s[10:11]
	s_add_u32 s10, s10, _ZN7rocprim17ROCPRIM_400000_NS6detail40segmented_radix_sort_single_block_helperIalLj256ELj4ELb0EE4sortIPKaPaPKlPlEEbT_T0_T1_T2_jjjjRNS3_12storage_typeE@rel32@lo+4
	s_addc_u32 s11, s11, _ZN7rocprim17ROCPRIM_400000_NS6detail40segmented_radix_sort_single_block_helperIalLj256ELj4ELb0EE4sortIPKaPaPKlPlEEbT_T0_T1_T2_jjjjRNS3_12storage_typeE@rel32@hi+12
	v_or3_b32 v31, v0, v42, v41
	s_mov_b32 s12, s48
	s_mov_b32 s13, s33
	v_mov_b32_e32 v40, v0
	v_mov_b32_e32 v0, s64
	;; [unrolled: 1-line block ×17, first 2 shown]
	s_mov_b64 s[34:35], s[4:5]
	s_swappc_b64 s[30:31], s[10:11]
	v_mov_b32_e32 v1, v43
	v_mov_b32_e32 v2, v44
	v_mov_b32_e32 v0, v40
	s_mov_b64 s[4:5], s[34:35]
	s_mov_b64 s[6:7], 0
.LBB427_12:
	s_andn2_b64 vcc, exec, s[6:7]
	s_cbranch_vccnz .LBB427_14
; %bb.13:
	s_add_u32 s8, s4, 0x50
	s_mov_b64 s[6:7], src_shared_base
	s_addc_u32 s9, s5, 0
	s_getpc_b64 s[10:11]
	s_add_u32 s10, s10, _ZN7rocprim17ROCPRIM_400000_NS6detail40segmented_radix_sort_single_block_helperIalLj256ELj4ELb0EE4sortIPKaPaPKlPlEEbT_T0_T1_T2_jjjjRNS3_12storage_typeE@rel32@lo+4
	s_addc_u32 s11, s11, _ZN7rocprim17ROCPRIM_400000_NS6detail40segmented_radix_sort_single_block_helperIalLj256ELj4ELb0EE4sortIPKaPaPKlPlEEbT_T0_T1_T2_jjjjRNS3_12storage_typeE@rel32@hi+12
	v_or3_b32 v31, v0, v42, v41
	s_mov_b32 s12, s48
	s_mov_b32 s13, s33
	v_mov_b32_e32 v40, v0
	v_mov_b32_e32 v0, s64
	;; [unrolled: 1-line block ×17, first 2 shown]
	s_mov_b64 s[34:35], s[4:5]
	s_swappc_b64 s[30:31], s[10:11]
	v_mov_b32_e32 v1, v41
	v_mov_b32_e32 v2, v42
	;; [unrolled: 1-line block ×3, first 2 shown]
	s_mov_b64 s[4:5], s[34:35]
.LBB427_14:
	s_mov_b64 s[6:7], 0
.LBB427_15:
	s_andn2_b64 vcc, exec, s[6:7]
	s_cbranch_vccnz .LBB427_422
; %bb.16:
	s_cmp_ge_u32 s73, s74
	s_cbranch_scc1 .LBB427_422
; %bb.17:
	v_and_b32_e32 v3, 3, v0
	s_movk_i32 s6, 0x100
	v_lshlrev_b32_e32 v24, 2, v3
	v_or_b32_e32 v3, 63, v0
	v_lshlrev_b32_e32 v18, 2, v0
	v_mov_b32_e32 v4, s69
	v_add_co_u32_e32 v22, vcc, s68, v0
	s_mov_b64 s[12:13], s[4:5]
	v_cmp_gt_u32_e64 s[4:5], s6, v0
	v_cmp_eq_u32_e64 s[6:7], v0, v3
	v_lshrrev_b32_e32 v3, 4, v0
	v_addc_co_u32_e32 v23, vcc, 0, v4, vcc
	v_and_b32_e32 v26, 12, v3
	v_and_b32_e32 v3, 0x300, v18
	v_lshlrev_b32_e32 v4, 4, v0
	v_sub_u32_e32 v28, 0, v4
	v_lshlrev_b32_e32 v4, 3, v3
	v_mov_b32_e32 v5, s55
	v_add_co_u32_e32 v29, vcc, s54, v4
	v_addc_co_u32_e32 v30, vcc, 0, v5, vcc
	v_mov_b32_e32 v5, s69
	v_add_co_u32_e32 v31, vcc, s68, v3
	v_addc_co_u32_e32 v32, vcc, 0, v5, vcc
	;; [unrolled: 3-line block ×8, first 2 shown]
	v_mbcnt_lo_u32_b32 v4, -1, 0
	v_mbcnt_hi_u32_b32 v45, -1, v4
	v_mad_u32_u24 v25, v0, 12, v18
	v_and_b32_e32 v46, 63, v45
	s_add_u32 s44, s12, 0x50
	s_movk_i32 s14, 0xff
	v_or_b32_e32 v47, v46, v3
	v_add_u32_e32 v50, v25, v18
	v_or_b32_e32 v19, 0x100, v0
	v_or_b32_e32 v20, 0x200, v0
	;; [unrolled: 1-line block ×4, first 2 shown]
	v_cmp_gt_u32_e64 s[8:9], 4, v0
	v_cmp_lt_u32_e64 s[10:11], 63, v0
	s_addc_u32 s45, s13, 0
	s_mov_b32 s47, 0
	v_cmp_eq_u32_e64 s[12:13], 0, v0
	v_cmp_ne_u32_e64 s[14:15], s14, v0
	s_mov_b32 s58, s73
	v_or_b32_e32 v48, 0x2400, v18
	v_add_u32_e32 v49, 0x23fc, v26
	v_mul_u32_u24_e32 v51, 7, v0
	v_mov_b32_e32 v52, 1
	v_add_u32_e32 v53, 0x410, v50
	v_add_u32_e32 v54, 0x418, v50
	v_and_b32_e32 v55, 15, v45
	v_bfe_i32 v56, v45, 4, 1
	v_and_b32_e32 v57, 16, v45
	v_and_b32_e32 v58, 3, v45
	;; [unrolled: 1-line block ×3, first 2 shown]
	v_lshlrev_b32_e32 v60, 3, v46
	v_or_b32_e32 v61, 64, v47
	v_or_b32_e32 v62, 0x80, v47
	;; [unrolled: 1-line block ×3, first 2 shown]
	v_mov_b32_e32 v3, 0
	s_branch .LBB427_20
.LBB427_18:                             ;   in Loop: Header=BB427_20 Depth=1
	s_waitcnt lgkmcnt(0)
	s_barrier
.LBB427_19:                             ;   in Loop: Header=BB427_20 Depth=1
	s_add_i32 s58, s58, 8
	s_cmp_ge_u32 s58, s74
	s_cbranch_scc1 .LBB427_422
.LBB427_20:                             ; =>This Loop Header: Depth=1
                                        ;     Child Loop BB427_24 Depth 2
                                        ;     Child Loop BB427_56 Depth 2
	;; [unrolled: 1-line block ×8, first 2 shown]
	s_sub_i32 s16, s74, s58
	s_min_u32 s16, s16, 8
	s_lshl_b32 s16, -1, s16
	s_xor_b64 s[50:51], s[50:51], -1
	s_not_b32 s59, s16
	s_cmp_lg_u32 s58, s73
	s_mov_b64 s[16:17], -1
	ds_write2st64_b32 v18, v3, v3 offset1:4
	ds_write2st64_b32 v18, v3, v3 offset0:8 offset1:12
	s_waitcnt lgkmcnt(0)
	s_cbranch_scc0 .LBB427_222
; %bb.21:                               ;   in Loop: Header=BB427_20 Depth=1
	s_and_b64 vcc, exec, s[50:51]
	s_cbranch_vccz .LBB427_121
; %bb.22:                               ;   in Loop: Header=BB427_20 Depth=1
	v_mov_b32_e32 v4, 0
	s_mov_b32 s18, s75
	s_mov_b32 s20, s49
	v_mov_b32_e32 v7, 0
	v_mov_b32_e32 v6, 0
	;; [unrolled: 1-line block ×3, first 2 shown]
	s_barrier
	s_branch .LBB427_24
.LBB427_23:                             ;   in Loop: Header=BB427_24 Depth=2
	s_or_b64 exec, exec, s[16:17]
	s_addk_i32 s18, 0xfc00
	s_cmp_ge_u32 s19, s76
	s_mov_b32 s20, s19
	s_cbranch_scc1 .LBB427_44
.LBB427_24:                             ;   Parent Loop BB427_20 Depth=1
                                        ; =>  This Inner Loop Header: Depth=2
	s_add_i32 s19, s20, 0x400
	s_cmp_gt_u32 s19, s76
	s_mov_b64 s[16:17], -1
                                        ; implicit-def: $vgpr8
                                        ; implicit-def: $vgpr9
                                        ; implicit-def: $vgpr10
                                        ; implicit-def: $vgpr11
	s_cbranch_scc1 .LBB427_26
; %bb.25:                               ;   in Loop: Header=BB427_24 Depth=2
	v_add_co_u32_e32 v12, vcc, s20, v22
	v_addc_co_u32_e32 v13, vcc, 0, v23, vcc
	global_load_ubyte v11, v[12:13], off offset:768
	global_load_ubyte v10, v[12:13], off offset:512
	;; [unrolled: 1-line block ×3, first 2 shown]
	global_load_ubyte v8, v[12:13], off
	s_mov_b64 s[16:17], 0
.LBB427_26:                             ;   in Loop: Header=BB427_24 Depth=2
	s_andn2_b64 vcc, exec, s[16:17]
	s_movk_i32 s21, 0x400
	s_cbranch_vccnz .LBB427_33
; %bb.27:                               ;   in Loop: Header=BB427_24 Depth=2
	s_add_u32 s20, s68, s20
	s_addc_u32 s21, s69, 0
	v_cmp_gt_u32_e32 vcc, s18, v0
	s_and_saveexec_b64 s[16:17], vcc
	s_cbranch_execnz .LBB427_41
; %bb.28:                               ;   in Loop: Header=BB427_24 Depth=2
	s_or_b64 exec, exec, s[16:17]
	v_cmp_gt_u32_e32 vcc, s18, v19
	s_and_saveexec_b64 s[16:17], vcc
	s_cbranch_execnz .LBB427_42
.LBB427_29:                             ;   in Loop: Header=BB427_24 Depth=2
	s_or_b64 exec, exec, s[16:17]
	v_cmp_gt_u32_e32 vcc, s18, v20
	s_and_saveexec_b64 s[16:17], vcc
	s_cbranch_execnz .LBB427_43
.LBB427_30:                             ;   in Loop: Header=BB427_24 Depth=2
	s_or_b64 exec, exec, s[16:17]
	v_cmp_gt_u32_e32 vcc, s18, v21
	s_and_saveexec_b64 s[16:17], vcc
	s_cbranch_execz .LBB427_32
.LBB427_31:                             ;   in Loop: Header=BB427_24 Depth=2
	v_mov_b32_e32 v5, s21
	s_waitcnt vmcnt(0)
	v_add_co_u32_e32 v8, vcc, s20, v0
	v_addc_co_u32_e32 v9, vcc, 0, v5, vcc
	global_load_ubyte v5, v[8:9], off offset:768
.LBB427_32:                             ;   in Loop: Header=BB427_24 Depth=2
	s_or_b64 exec, exec, s[16:17]
	s_mov_b32 s21, s18
	s_waitcnt vmcnt(0)
	v_mov_b32_e32 v8, v4
	v_mov_b32_e32 v9, v7
	;; [unrolled: 1-line block ×4, first 2 shown]
.LBB427_33:                             ;   in Loop: Header=BB427_24 Depth=2
	s_waitcnt vmcnt(3)
	v_mov_b32_e32 v5, v11
	s_waitcnt vmcnt(2)
	v_mov_b32_e32 v6, v10
	;; [unrolled: 2-line block ×4, first 2 shown]
	v_cmp_gt_u32_e32 vcc, s21, v0
	s_and_saveexec_b64 s[16:17], vcc
	s_cbranch_execnz .LBB427_37
; %bb.34:                               ;   in Loop: Header=BB427_24 Depth=2
	s_or_b64 exec, exec, s[16:17]
	v_cmp_gt_u32_e32 vcc, s21, v19
	s_and_saveexec_b64 s[16:17], vcc
	s_cbranch_execnz .LBB427_38
.LBB427_35:                             ;   in Loop: Header=BB427_24 Depth=2
	s_or_b64 exec, exec, s[16:17]
	v_cmp_gt_u32_e32 vcc, s21, v20
	s_and_saveexec_b64 s[16:17], vcc
	s_cbranch_execnz .LBB427_39
.LBB427_36:                             ;   in Loop: Header=BB427_24 Depth=2
	s_or_b64 exec, exec, s[16:17]
	v_cmp_gt_u32_e32 vcc, s21, v21
	s_and_saveexec_b64 s[16:17], vcc
	s_cbranch_execz .LBB427_23
	s_branch .LBB427_40
.LBB427_37:                             ;   in Loop: Header=BB427_24 Depth=2
	v_xor_b32_e32 v8, 0x80, v4
	v_lshrrev_b32_sdwa v8, s58, v8 dst_sel:DWORD dst_unused:UNUSED_PAD src0_sel:DWORD src1_sel:BYTE_0
	v_and_b32_e32 v8, s59, v8
	v_lshl_or_b32 v8, v8, 4, v24
	ds_add_u32 v8, v52
	s_or_b64 exec, exec, s[16:17]
	v_cmp_gt_u32_e32 vcc, s21, v19
	s_and_saveexec_b64 s[16:17], vcc
	s_cbranch_execz .LBB427_35
.LBB427_38:                             ;   in Loop: Header=BB427_24 Depth=2
	v_xor_b32_e32 v8, 0x80, v7
	v_lshrrev_b32_sdwa v8, s58, v8 dst_sel:DWORD dst_unused:UNUSED_PAD src0_sel:DWORD src1_sel:BYTE_0
	v_and_b32_e32 v8, s59, v8
	v_lshl_or_b32 v8, v8, 4, v24
	ds_add_u32 v8, v52
	s_or_b64 exec, exec, s[16:17]
	v_cmp_gt_u32_e32 vcc, s21, v20
	s_and_saveexec_b64 s[16:17], vcc
	s_cbranch_execz .LBB427_36
.LBB427_39:                             ;   in Loop: Header=BB427_24 Depth=2
	v_xor_b32_e32 v8, 0x80, v6
	v_lshrrev_b32_sdwa v8, s58, v8 dst_sel:DWORD dst_unused:UNUSED_PAD src0_sel:DWORD src1_sel:BYTE_0
	v_and_b32_e32 v8, s59, v8
	v_lshl_or_b32 v8, v8, 4, v24
	ds_add_u32 v8, v52
	s_or_b64 exec, exec, s[16:17]
	v_cmp_gt_u32_e32 vcc, s21, v21
	s_and_saveexec_b64 s[16:17], vcc
	s_cbranch_execz .LBB427_23
.LBB427_40:                             ;   in Loop: Header=BB427_24 Depth=2
	v_xor_b32_e32 v8, 0x80, v5
	v_lshrrev_b32_sdwa v8, s58, v8 dst_sel:DWORD dst_unused:UNUSED_PAD src0_sel:DWORD src1_sel:BYTE_0
	v_and_b32_e32 v8, s59, v8
	v_lshl_or_b32 v8, v8, 4, v24
	ds_add_u32 v8, v52
	s_branch .LBB427_23
.LBB427_41:                             ;   in Loop: Header=BB427_24 Depth=2
	v_mov_b32_e32 v4, s21
	s_waitcnt vmcnt(0)
	v_add_co_u32_e32 v8, vcc, s20, v0
	v_addc_co_u32_e32 v9, vcc, 0, v4, vcc
	global_load_ubyte v4, v[8:9], off
	s_or_b64 exec, exec, s[16:17]
	v_cmp_gt_u32_e32 vcc, s18, v19
	s_and_saveexec_b64 s[16:17], vcc
	s_cbranch_execz .LBB427_29
.LBB427_42:                             ;   in Loop: Header=BB427_24 Depth=2
	s_waitcnt vmcnt(0)
	v_mov_b32_e32 v8, s21
	v_add_co_u32_e32 v7, vcc, s20, v0
	v_addc_co_u32_e32 v8, vcc, 0, v8, vcc
	global_load_ubyte v7, v[7:8], off offset:256
	s_or_b64 exec, exec, s[16:17]
	v_cmp_gt_u32_e32 vcc, s18, v20
	s_and_saveexec_b64 s[16:17], vcc
	s_cbranch_execz .LBB427_30
.LBB427_43:                             ;   in Loop: Header=BB427_24 Depth=2
	v_mov_b32_e32 v6, s21
	s_waitcnt vmcnt(0)
	v_add_co_u32_e32 v8, vcc, s20, v0
	v_addc_co_u32_e32 v9, vcc, 0, v6, vcc
	global_load_ubyte v6, v[8:9], off offset:512
	s_or_b64 exec, exec, s[16:17]
	v_cmp_gt_u32_e32 vcc, s18, v21
	s_and_saveexec_b64 s[16:17], vcc
	s_cbranch_execnz .LBB427_31
	s_branch .LBB427_32
.LBB427_44:                             ;   in Loop: Header=BB427_20 Depth=1
	v_mov_b32_e32 v4, 0
	s_waitcnt lgkmcnt(0)
	s_barrier
	s_and_saveexec_b64 s[16:17], s[4:5]
	s_cbranch_execz .LBB427_46
; %bb.45:                               ;   in Loop: Header=BB427_20 Depth=1
	ds_read2_b64 v[4:7], v25 offset1:1
	s_waitcnt lgkmcnt(0)
	v_add_u32_e32 v4, v5, v4
	v_add3_u32 v4, v4, v6, v7
.LBB427_46:                             ;   in Loop: Header=BB427_20 Depth=1
	s_or_b64 exec, exec, s[16:17]
	s_nop 0
	v_mov_b32_dpp v5, v4 row_shr:1 row_mask:0xf bank_mask:0xf
	v_cmp_eq_u32_e64 s[16:17], 0, v55
	v_cndmask_b32_e64 v5, v5, 0, s[16:17]
	v_add_u32_e32 v4, v5, v4
	v_cmp_lt_u32_e64 s[18:19], 1, v55
	v_cmp_lt_u32_e64 s[20:21], 3, v55
	v_mov_b32_dpp v5, v4 row_shr:2 row_mask:0xf bank_mask:0xf
	v_cndmask_b32_e64 v5, 0, v5, s[18:19]
	v_add_u32_e32 v4, v4, v5
	v_cmp_lt_u32_e64 s[22:23], 7, v55
	v_cmp_lt_u32_e64 s[26:27], 31, v45
	v_mov_b32_dpp v5, v4 row_shr:4 row_mask:0xf bank_mask:0xf
	v_cndmask_b32_e64 v5, 0, v5, s[20:21]
	v_add_u32_e32 v4, v4, v5
	v_cmp_eq_u32_e64 s[24:25], 0, v57
	s_nop 0
	v_mov_b32_dpp v5, v4 row_shr:8 row_mask:0xf bank_mask:0xf
	v_cndmask_b32_e64 v5, 0, v5, s[22:23]
	v_add_u32_e32 v4, v4, v5
	s_nop 1
	v_mov_b32_dpp v5, v4 row_bcast:15 row_mask:0xf bank_mask:0xf
	v_and_b32_e32 v5, v56, v5
	v_add_u32_e32 v4, v4, v5
	s_nop 1
	v_mov_b32_dpp v5, v4 row_bcast:31 row_mask:0xf bank_mask:0xf
	v_cndmask_b32_e64 v5, 0, v5, s[26:27]
	v_add_u32_e32 v4, v4, v5
	s_and_saveexec_b64 s[28:29], s[6:7]
; %bb.47:                               ;   in Loop: Header=BB427_20 Depth=1
	ds_write_b32 v27, v4
; %bb.48:                               ;   in Loop: Header=BB427_20 Depth=1
	s_or_b64 exec, exec, s[28:29]
	s_waitcnt lgkmcnt(0)
	s_barrier
	s_and_saveexec_b64 s[28:29], s[8:9]
	s_cbranch_execz .LBB427_50
; %bb.49:                               ;   in Loop: Header=BB427_20 Depth=1
	ds_read_b32 v5, v48
	v_cmp_ne_u32_e32 vcc, 0, v58
	s_waitcnt lgkmcnt(0)
	v_mov_b32_dpp v6, v5 row_shr:1 row_mask:0xf bank_mask:0xf
	v_cndmask_b32_e32 v6, 0, v6, vcc
	v_add_u32_e32 v5, v6, v5
	v_cmp_lt_u32_e32 vcc, 1, v58
	s_nop 0
	v_mov_b32_dpp v6, v5 row_shr:2 row_mask:0xf bank_mask:0xf
	v_cndmask_b32_e32 v6, 0, v6, vcc
	v_add_u32_e32 v5, v5, v6
	ds_write_b32 v48, v5
.LBB427_50:                             ;   in Loop: Header=BB427_20 Depth=1
	s_or_b64 exec, exec, s[28:29]
	v_mov_b32_e32 v5, 0
	s_waitcnt lgkmcnt(0)
	s_barrier
	s_and_saveexec_b64 s[28:29], s[10:11]
; %bb.51:                               ;   in Loop: Header=BB427_20 Depth=1
	ds_read_b32 v5, v49
; %bb.52:                               ;   in Loop: Header=BB427_20 Depth=1
	s_or_b64 exec, exec, s[28:29]
	v_subrev_co_u32_e64 v6, s[28:29], 1, v45
	v_cmp_lt_i32_e32 vcc, v6, v59
	v_cndmask_b32_e32 v6, v6, v45, vcc
	s_waitcnt lgkmcnt(0)
	v_add_u32_e32 v4, v5, v4
	v_lshlrev_b32_e32 v64, 2, v6
	ds_bpermute_b32 v4, v64, v4
	s_waitcnt lgkmcnt(0)
	s_barrier
	s_and_saveexec_b64 s[30:31], s[4:5]
; %bb.53:                               ;   in Loop: Header=BB427_20 Depth=1
	v_cndmask_b32_e64 v4, v4, v5, s[28:29]
	v_add_u32_e32 v4, s49, v4
	ds_write_b32 v18, v4
; %bb.54:                               ;   in Loop: Header=BB427_20 Depth=1
	s_or_b64 exec, exec, s[30:31]
	s_load_dword s30, s[44:45], 0x4
	s_load_dword s36, s[44:45], 0xc
	v_add_co_u32_e32 v65, vcc, v29, v60
	v_addc_co_u32_e32 v66, vcc, 0, v30, vcc
	s_waitcnt lgkmcnt(0)
	s_cmp_lt_u32 s33, s30
	s_cselect_b32 s30, 14, 20
	s_add_u32 s30, s44, s30
	s_addc_u32 s31, s45, 0
	global_load_ushort v4, v3, s[30:31]
	s_and_b32 s36, s36, 0xffff
	v_add_co_u32_e32 v67, vcc, v31, v46
	v_cmp_eq_u32_e64 s[30:31], 0, v58
	v_cmp_lt_u32_e64 s[34:35], 1, v58
	v_addc_co_u32_e32 v68, vcc, 0, v32, vcc
	s_mov_b32 s60, s75
	s_mov_b32 s46, s49
                                        ; implicit-def: $vgpr7_vgpr8
                                        ; implicit-def: $vgpr9_vgpr10
                                        ; implicit-def: $vgpr11_vgpr12
                                        ; implicit-def: $vgpr69
                                        ; implicit-def: $vgpr70
                                        ; implicit-def: $vgpr72
                                        ; implicit-def: $vgpr73
	s_waitcnt vmcnt(0)
	v_mad_u32_u24 v4, v2, v4, v1
	v_mad_u64_u32 v[4:5], s[36:37], v4, s36, v[0:1]
                                        ; implicit-def: $vgpr5_vgpr6
	v_lshrrev_b32_e32 v4, 4, v4
	v_and_b32_e32 v71, 0xffffffc, v4
	s_branch .LBB427_56
.LBB427_55:                             ;   in Loop: Header=BB427_56 Depth=2
	s_or_b64 exec, exec, s[36:37]
	s_addk_i32 s60, 0xfc00
	s_cmp_lt_u32 s61, s76
	s_mov_b32 s46, s61
	s_cbranch_scc0 .LBB427_120
.LBB427_56:                             ;   Parent Loop BB427_20 Depth=1
                                        ; =>  This Inner Loop Header: Depth=2
	s_add_i32 s61, s46, 0x400
	s_cmp_gt_u32 s61, s76
	s_cbranch_scc1 .LBB427_58
; %bb.57:                               ;   in Loop: Header=BB427_56 Depth=2
	v_add_co_u32_e32 v13, vcc, s46, v67
	v_addc_co_u32_e32 v14, vcc, 0, v68, vcc
	global_load_ubyte v16, v[13:14], off offset:128
	global_load_ubyte v76, v[13:14], off offset:64
	global_load_ubyte v4, v[13:14], off
	s_mov_b64 s[36:37], -1
	s_movk_i32 s40, 0x400
                                        ; implicit-def: $vgpr15
	s_cbranch_execz .LBB427_59
	s_branch .LBB427_64
.LBB427_58:                             ;   in Loop: Header=BB427_56 Depth=2
	s_mov_b64 s[36:37], 0
                                        ; implicit-def: $vgpr4
                                        ; implicit-def: $vgpr76
                                        ; implicit-def: $vgpr16
	s_movk_i32 s40, 0x400
                                        ; implicit-def: $vgpr15
.LBB427_59:                             ;   in Loop: Header=BB427_56 Depth=2
	v_add_co_u32_e32 v13, vcc, s46, v67
	v_addc_co_u32_e32 v14, vcc, 0, v68, vcc
	v_cmp_gt_u32_e32 vcc, s60, v47
	v_mov_b32_e32 v15, 0x7f
	s_waitcnt vmcnt(0)
	v_mov_b32_e32 v4, 0x7f
	v_mov_b32_e32 v76, 0x7f
	;; [unrolled: 1-line block ×3, first 2 shown]
	s_and_saveexec_b64 s[36:37], vcc
	s_cbranch_execnz .LBB427_118
; %bb.60:                               ;   in Loop: Header=BB427_56 Depth=2
	s_or_b64 exec, exec, s[36:37]
	v_cmp_gt_u32_e32 vcc, s60, v61
	s_and_saveexec_b64 s[36:37], vcc
	s_cbranch_execnz .LBB427_119
.LBB427_61:                             ;   in Loop: Header=BB427_56 Depth=2
	s_or_b64 exec, exec, s[36:37]
	v_cmp_gt_u32_e32 vcc, s60, v62
	s_and_saveexec_b64 s[36:37], vcc
	s_cbranch_execz .LBB427_63
.LBB427_62:                             ;   in Loop: Header=BB427_56 Depth=2
	global_load_ubyte v16, v[13:14], off offset:128
.LBB427_63:                             ;   in Loop: Header=BB427_56 Depth=2
	s_or_b64 exec, exec, s[36:37]
	s_sub_i32 s40, s76, s46
	v_cmp_gt_u32_e64 s[36:37], s60, v63
.LBB427_64:                             ;   in Loop: Header=BB427_56 Depth=2
	v_mov_b32_e32 v74, s60
	s_and_saveexec_b64 s[38:39], s[36:37]
	s_cbranch_execz .LBB427_66
; %bb.65:                               ;   in Loop: Header=BB427_56 Depth=2
	v_mov_b32_e32 v14, s47
	v_add_co_u32_e32 v13, vcc, s46, v67
	v_addc_co_u32_e32 v14, vcc, v68, v14, vcc
	global_load_ubyte v15, v[13:14], off offset:192
	v_mov_b32_e32 v74, s40
.LBB427_66:                             ;   in Loop: Header=BB427_56 Depth=2
	s_or_b64 exec, exec, s[38:39]
	s_waitcnt vmcnt(0)
	v_xor_b32_e32 v17, 0xffffff80, v4
	v_lshrrev_b32_sdwa v4, s58, v17 dst_sel:DWORD dst_unused:UNUSED_PAD src0_sel:DWORD src1_sel:BYTE_0
	v_and_b32_e32 v13, s59, v4
	v_and_b32_e32 v4, 1, v13
	v_add_co_u32_e32 v14, vcc, -1, v4
	v_addc_co_u32_e64 v75, s[36:37], 0, -1, vcc
	v_cmp_ne_u32_e32 vcc, 0, v4
	v_xor_b32_e32 v4, vcc_hi, v75
	v_and_b32_e32 v75, exec_hi, v4
	v_lshlrev_b32_e32 v4, 30, v13
	v_xor_b32_e32 v14, vcc_lo, v14
	v_cmp_gt_i64_e32 vcc, 0, v[3:4]
	v_not_b32_e32 v4, v4
	v_ashrrev_i32_e32 v4, 31, v4
	v_and_b32_e32 v14, exec_lo, v14
	v_xor_b32_e32 v78, vcc_hi, v4
	v_xor_b32_e32 v4, vcc_lo, v4
	v_and_b32_e32 v14, v14, v4
	v_lshlrev_b32_e32 v4, 29, v13
	v_cmp_gt_i64_e32 vcc, 0, v[3:4]
	v_not_b32_e32 v4, v4
	v_ashrrev_i32_e32 v4, 31, v4
	v_and_b32_e32 v75, v75, v78
	v_xor_b32_e32 v78, vcc_hi, v4
	v_xor_b32_e32 v4, vcc_lo, v4
	v_and_b32_e32 v14, v14, v4
	v_lshlrev_b32_e32 v4, 28, v13
	v_cmp_gt_i64_e32 vcc, 0, v[3:4]
	v_not_b32_e32 v4, v4
	v_ashrrev_i32_e32 v4, 31, v4
	v_and_b32_e32 v75, v75, v78
	;; [unrolled: 8-line block ×5, first 2 shown]
	v_xor_b32_e32 v78, vcc_hi, v4
	v_xor_b32_e32 v4, vcc_lo, v4
	v_and_b32_e32 v75, v75, v78
	v_and_b32_e32 v78, v14, v4
	v_lshlrev_b32_e32 v4, 24, v13
	v_cmp_gt_i64_e32 vcc, 0, v[3:4]
	v_not_b32_e32 v4, v4
	v_ashrrev_i32_e32 v4, 31, v4
	v_mul_u32_u24_e32 v77, 20, v13
	v_xor_b32_e32 v13, vcc_hi, v4
	v_xor_b32_e32 v4, vcc_lo, v4
	v_and_b32_e32 v14, v75, v13
	v_and_b32_e32 v13, v78, v4
	v_mbcnt_lo_u32_b32 v4, v13, 0
	v_mbcnt_hi_u32_b32 v75, v14, v4
	v_cmp_ne_u64_e32 vcc, 0, v[13:14]
	v_cmp_eq_u32_e64 s[36:37], 0, v75
	s_and_b64 s[38:39], vcc, s[36:37]
	v_add_u32_e32 v78, v71, v77
	ds_write2_b32 v53, v3, v3 offset1:1
	ds_write2_b32 v54, v3, v3 offset1:1
	ds_write_b32 v50, v3 offset:1056
	s_waitcnt lgkmcnt(0)
	s_barrier
	; wave barrier
	s_and_saveexec_b64 s[36:37], s[38:39]
; %bb.67:                               ;   in Loop: Header=BB427_56 Depth=2
	v_bcnt_u32_b32 v4, v13, 0
	v_bcnt_u32_b32 v4, v14, v4
	ds_write_b32 v78, v4 offset:1040
; %bb.68:                               ;   in Loop: Header=BB427_56 Depth=2
	s_or_b64 exec, exec, s[36:37]
	v_xor_b32_e32 v76, 0xffffff80, v76
	v_lshrrev_b32_sdwa v4, s58, v76 dst_sel:DWORD dst_unused:UNUSED_PAD src0_sel:DWORD src1_sel:BYTE_0
	v_and_b32_e32 v13, s59, v4
	v_mad_u32_u24 v4, v13, 20, v71
	; wave barrier
	ds_read_b32 v77, v4 offset:1040
	v_and_b32_e32 v4, 1, v13
	v_add_co_u32_e32 v14, vcc, -1, v4
	v_addc_co_u32_e64 v79, s[36:37], 0, -1, vcc
	v_cmp_ne_u32_e32 vcc, 0, v4
	v_xor_b32_e32 v4, vcc_hi, v79
	v_and_b32_e32 v79, exec_hi, v4
	v_lshlrev_b32_e32 v4, 30, v13
	v_xor_b32_e32 v14, vcc_lo, v14
	v_cmp_gt_i64_e32 vcc, 0, v[3:4]
	v_not_b32_e32 v4, v4
	v_ashrrev_i32_e32 v4, 31, v4
	v_and_b32_e32 v14, exec_lo, v14
	v_xor_b32_e32 v81, vcc_hi, v4
	v_xor_b32_e32 v4, vcc_lo, v4
	v_and_b32_e32 v14, v14, v4
	v_lshlrev_b32_e32 v4, 29, v13
	v_cmp_gt_i64_e32 vcc, 0, v[3:4]
	v_not_b32_e32 v4, v4
	v_ashrrev_i32_e32 v4, 31, v4
	v_and_b32_e32 v79, v79, v81
	v_xor_b32_e32 v81, vcc_hi, v4
	v_xor_b32_e32 v4, vcc_lo, v4
	v_and_b32_e32 v14, v14, v4
	v_lshlrev_b32_e32 v4, 28, v13
	v_cmp_gt_i64_e32 vcc, 0, v[3:4]
	v_not_b32_e32 v4, v4
	v_ashrrev_i32_e32 v4, 31, v4
	v_and_b32_e32 v79, v79, v81
	;; [unrolled: 8-line block ×5, first 2 shown]
	v_xor_b32_e32 v81, vcc_hi, v4
	v_xor_b32_e32 v4, vcc_lo, v4
	v_and_b32_e32 v79, v79, v81
	v_and_b32_e32 v81, v14, v4
	v_lshlrev_b32_e32 v4, 24, v13
	v_cmp_gt_i64_e32 vcc, 0, v[3:4]
	v_not_b32_e32 v4, v4
	v_ashrrev_i32_e32 v4, 31, v4
	v_mul_u32_u24_e32 v80, 20, v13
	v_xor_b32_e32 v13, vcc_hi, v4
	v_xor_b32_e32 v4, vcc_lo, v4
	v_and_b32_e32 v14, v79, v13
	v_and_b32_e32 v13, v81, v4
	v_mbcnt_lo_u32_b32 v4, v13, 0
	v_mbcnt_hi_u32_b32 v79, v14, v4
	v_cmp_ne_u64_e32 vcc, 0, v[13:14]
	v_cmp_eq_u32_e64 s[36:37], 0, v79
	s_and_b64 s[38:39], vcc, s[36:37]
	v_add_u32_e32 v82, v71, v80
	; wave barrier
	s_and_saveexec_b64 s[36:37], s[38:39]
	s_cbranch_execz .LBB427_70
; %bb.69:                               ;   in Loop: Header=BB427_56 Depth=2
	v_bcnt_u32_b32 v4, v13, 0
	v_bcnt_u32_b32 v4, v14, v4
	s_waitcnt lgkmcnt(0)
	v_add_u32_e32 v4, v77, v4
	ds_write_b32 v82, v4 offset:1040
.LBB427_70:                             ;   in Loop: Header=BB427_56 Depth=2
	s_or_b64 exec, exec, s[36:37]
	v_xor_b32_e32 v80, 0xffffff80, v16
	v_lshrrev_b32_sdwa v4, s58, v80 dst_sel:DWORD dst_unused:UNUSED_PAD src0_sel:DWORD src1_sel:BYTE_0
	v_and_b32_e32 v13, s59, v4
	v_mad_u32_u24 v4, v13, 20, v71
	; wave barrier
	ds_read_b32 v81, v4 offset:1040
	v_and_b32_e32 v4, 1, v13
	v_add_co_u32_e32 v14, vcc, -1, v4
	v_addc_co_u32_e64 v83, s[36:37], 0, -1, vcc
	v_cmp_ne_u32_e32 vcc, 0, v4
	v_xor_b32_e32 v4, vcc_hi, v83
	v_and_b32_e32 v83, exec_hi, v4
	v_lshlrev_b32_e32 v4, 30, v13
	v_xor_b32_e32 v14, vcc_lo, v14
	v_cmp_gt_i64_e32 vcc, 0, v[3:4]
	v_not_b32_e32 v4, v4
	v_ashrrev_i32_e32 v4, 31, v4
	v_and_b32_e32 v14, exec_lo, v14
	v_xor_b32_e32 v84, vcc_hi, v4
	v_xor_b32_e32 v4, vcc_lo, v4
	v_and_b32_e32 v14, v14, v4
	v_lshlrev_b32_e32 v4, 29, v13
	v_cmp_gt_i64_e32 vcc, 0, v[3:4]
	v_not_b32_e32 v4, v4
	v_ashrrev_i32_e32 v4, 31, v4
	v_and_b32_e32 v83, v83, v84
	v_xor_b32_e32 v84, vcc_hi, v4
	v_xor_b32_e32 v4, vcc_lo, v4
	v_and_b32_e32 v14, v14, v4
	v_lshlrev_b32_e32 v4, 28, v13
	v_cmp_gt_i64_e32 vcc, 0, v[3:4]
	v_not_b32_e32 v4, v4
	v_ashrrev_i32_e32 v4, 31, v4
	v_and_b32_e32 v83, v83, v84
	;; [unrolled: 8-line block ×5, first 2 shown]
	v_xor_b32_e32 v84, vcc_hi, v4
	v_xor_b32_e32 v4, vcc_lo, v4
	v_and_b32_e32 v83, v83, v84
	v_and_b32_e32 v84, v14, v4
	v_lshlrev_b32_e32 v4, 24, v13
	v_cmp_gt_i64_e32 vcc, 0, v[3:4]
	v_not_b32_e32 v4, v4
	v_ashrrev_i32_e32 v4, 31, v4
	v_mul_u32_u24_e32 v16, 20, v13
	v_xor_b32_e32 v13, vcc_hi, v4
	v_xor_b32_e32 v4, vcc_lo, v4
	v_and_b32_e32 v14, v83, v13
	v_and_b32_e32 v13, v84, v4
	v_mbcnt_lo_u32_b32 v4, v13, 0
	v_mbcnt_hi_u32_b32 v83, v14, v4
	v_cmp_ne_u64_e32 vcc, 0, v[13:14]
	v_cmp_eq_u32_e64 s[36:37], 0, v83
	s_and_b64 s[38:39], vcc, s[36:37]
	v_add_u32_e32 v86, v71, v16
	; wave barrier
	s_and_saveexec_b64 s[36:37], s[38:39]
	s_cbranch_execz .LBB427_72
; %bb.71:                               ;   in Loop: Header=BB427_56 Depth=2
	v_bcnt_u32_b32 v4, v13, 0
	v_bcnt_u32_b32 v4, v14, v4
	s_waitcnt lgkmcnt(0)
	v_add_u32_e32 v4, v81, v4
	ds_write_b32 v86, v4 offset:1040
.LBB427_72:                             ;   in Loop: Header=BB427_56 Depth=2
	s_or_b64 exec, exec, s[36:37]
	v_xor_b32_e32 v84, 0xffffff80, v15
	v_lshrrev_b32_sdwa v4, s58, v84 dst_sel:DWORD dst_unused:UNUSED_PAD src0_sel:DWORD src1_sel:BYTE_0
	v_and_b32_e32 v13, s59, v4
	v_mad_u32_u24 v4, v13, 20, v71
	; wave barrier
	ds_read_b32 v85, v4 offset:1040
	v_and_b32_e32 v4, 1, v13
	v_add_co_u32_e32 v14, vcc, -1, v4
	v_addc_co_u32_e64 v16, s[36:37], 0, -1, vcc
	v_cmp_ne_u32_e32 vcc, 0, v4
	v_xor_b32_e32 v4, vcc_hi, v16
	v_and_b32_e32 v16, exec_hi, v4
	v_lshlrev_b32_e32 v4, 30, v13
	v_xor_b32_e32 v14, vcc_lo, v14
	v_cmp_gt_i64_e32 vcc, 0, v[3:4]
	v_not_b32_e32 v4, v4
	v_ashrrev_i32_e32 v4, 31, v4
	v_and_b32_e32 v14, exec_lo, v14
	v_xor_b32_e32 v87, vcc_hi, v4
	v_xor_b32_e32 v4, vcc_lo, v4
	v_and_b32_e32 v14, v14, v4
	v_lshlrev_b32_e32 v4, 29, v13
	v_cmp_gt_i64_e32 vcc, 0, v[3:4]
	v_not_b32_e32 v4, v4
	v_ashrrev_i32_e32 v4, 31, v4
	v_and_b32_e32 v16, v16, v87
	v_xor_b32_e32 v87, vcc_hi, v4
	v_xor_b32_e32 v4, vcc_lo, v4
	v_and_b32_e32 v14, v14, v4
	v_lshlrev_b32_e32 v4, 28, v13
	v_cmp_gt_i64_e32 vcc, 0, v[3:4]
	v_not_b32_e32 v4, v4
	v_ashrrev_i32_e32 v4, 31, v4
	v_and_b32_e32 v16, v16, v87
	;; [unrolled: 8-line block ×5, first 2 shown]
	v_xor_b32_e32 v87, vcc_hi, v4
	v_xor_b32_e32 v4, vcc_lo, v4
	v_and_b32_e32 v16, v16, v87
	v_and_b32_e32 v87, v14, v4
	v_lshlrev_b32_e32 v4, 24, v13
	v_cmp_gt_i64_e32 vcc, 0, v[3:4]
	v_not_b32_e32 v4, v4
	v_ashrrev_i32_e32 v4, 31, v4
	v_mul_u32_u24_e32 v15, 20, v13
	v_xor_b32_e32 v13, vcc_hi, v4
	v_xor_b32_e32 v4, vcc_lo, v4
	v_and_b32_e32 v14, v16, v13
	v_and_b32_e32 v13, v87, v4
	v_mbcnt_lo_u32_b32 v4, v13, 0
	v_mbcnt_hi_u32_b32 v4, v14, v4
	v_cmp_ne_u64_e32 vcc, 0, v[13:14]
	v_cmp_eq_u32_e64 s[36:37], 0, v4
	s_and_b64 s[38:39], vcc, s[36:37]
	v_add_u32_e32 v87, v71, v15
	; wave barrier
	s_and_saveexec_b64 s[36:37], s[38:39]
	s_cbranch_execz .LBB427_74
; %bb.73:                               ;   in Loop: Header=BB427_56 Depth=2
	v_bcnt_u32_b32 v13, v13, 0
	v_bcnt_u32_b32 v13, v14, v13
	s_waitcnt lgkmcnt(0)
	v_add_u32_e32 v13, v85, v13
	ds_write_b32 v87, v13 offset:1040
.LBB427_74:                             ;   in Loop: Header=BB427_56 Depth=2
	s_or_b64 exec, exec, s[36:37]
	; wave barrier
	s_waitcnt lgkmcnt(0)
	s_barrier
	ds_read2_b32 v[15:16], v53 offset1:1
	ds_read2_b32 v[13:14], v54 offset1:1
	ds_read_b32 v88, v50 offset:1056
	s_waitcnt lgkmcnt(1)
	v_add3_u32 v89, v16, v15, v13
	s_waitcnt lgkmcnt(0)
	v_add3_u32 v88, v89, v14, v88
	s_nop 1
	v_mov_b32_dpp v89, v88 row_shr:1 row_mask:0xf bank_mask:0xf
	v_cndmask_b32_e64 v89, v89, 0, s[16:17]
	v_add_u32_e32 v88, v89, v88
	s_nop 1
	v_mov_b32_dpp v89, v88 row_shr:2 row_mask:0xf bank_mask:0xf
	v_cndmask_b32_e64 v89, 0, v89, s[18:19]
	v_add_u32_e32 v88, v88, v89
	;; [unrolled: 4-line block ×4, first 2 shown]
	s_nop 1
	v_mov_b32_dpp v89, v88 row_bcast:15 row_mask:0xf bank_mask:0xf
	v_cndmask_b32_e64 v89, v89, 0, s[24:25]
	v_add_u32_e32 v88, v88, v89
	s_nop 1
	v_mov_b32_dpp v89, v88 row_bcast:31 row_mask:0xf bank_mask:0xf
	v_cndmask_b32_e64 v89, 0, v89, s[26:27]
	v_add_u32_e32 v88, v88, v89
	s_and_saveexec_b64 s[36:37], s[6:7]
; %bb.75:                               ;   in Loop: Header=BB427_56 Depth=2
	ds_write_b32 v26, v88 offset:1024
; %bb.76:                               ;   in Loop: Header=BB427_56 Depth=2
	s_or_b64 exec, exec, s[36:37]
	s_waitcnt lgkmcnt(0)
	s_barrier
	s_and_saveexec_b64 s[36:37], s[8:9]
	s_cbranch_execz .LBB427_78
; %bb.77:                               ;   in Loop: Header=BB427_56 Depth=2
	v_add_u32_e32 v89, v50, v28
	ds_read_b32 v90, v89 offset:1024
	s_waitcnt lgkmcnt(0)
	s_nop 0
	v_mov_b32_dpp v91, v90 row_shr:1 row_mask:0xf bank_mask:0xf
	v_cndmask_b32_e64 v91, v91, 0, s[30:31]
	v_add_u32_e32 v90, v91, v90
	s_nop 1
	v_mov_b32_dpp v91, v90 row_shr:2 row_mask:0xf bank_mask:0xf
	v_cndmask_b32_e64 v91, 0, v91, s[34:35]
	v_add_u32_e32 v90, v90, v91
	ds_write_b32 v89, v90 offset:1024
.LBB427_78:                             ;   in Loop: Header=BB427_56 Depth=2
	s_or_b64 exec, exec, s[36:37]
	v_mov_b32_e32 v89, 0
	s_waitcnt lgkmcnt(0)
	s_barrier
	s_and_saveexec_b64 s[36:37], s[10:11]
; %bb.79:                               ;   in Loop: Header=BB427_56 Depth=2
	ds_read_b32 v89, v26 offset:1020
; %bb.80:                               ;   in Loop: Header=BB427_56 Depth=2
	s_or_b64 exec, exec, s[36:37]
	s_waitcnt lgkmcnt(0)
	v_add_u32_e32 v88, v89, v88
	ds_bpermute_b32 v88, v64, v88
	s_waitcnt lgkmcnt(0)
	v_cndmask_b32_e64 v88, v88, v89, s[28:29]
	v_cndmask_b32_e64 v88, v88, 0, s[12:13]
	v_add_u32_e32 v15, v88, v15
	v_add_u32_e32 v16, v15, v16
	;; [unrolled: 1-line block ×4, first 2 shown]
	ds_write2_b32 v53, v88, v15 offset1:1
	ds_write2_b32 v54, v16, v13 offset1:1
	ds_write_b32 v50, v14 offset:1056
	s_waitcnt lgkmcnt(0)
	s_barrier
	ds_read_b32 v13, v78 offset:1040
	ds_read_b32 v14, v82 offset:1040
	;; [unrolled: 1-line block ×5, first 2 shown]
	v_mov_b32_e32 v78, 0x400
	s_and_saveexec_b64 s[36:37], s[14:15]
; %bb.81:                               ;   in Loop: Header=BB427_56 Depth=2
	ds_read_b32 v78, v50 offset:1060
; %bb.82:                               ;   in Loop: Header=BB427_56 Depth=2
	s_or_b64 exec, exec, s[36:37]
	s_waitcnt lgkmcnt(0)
	s_barrier
	s_and_saveexec_b64 s[36:37], s[4:5]
	s_cbranch_execz .LBB427_84
; %bb.83:                               ;   in Loop: Header=BB427_56 Depth=2
	ds_read_b32 v86, v18
	s_waitcnt lgkmcnt(0)
	v_sub_u32_e32 v15, v86, v15
	ds_write_b32 v18, v15
.LBB427_84:                             ;   in Loop: Header=BB427_56 Depth=2
	s_or_b64 exec, exec, s[36:37]
	v_add_u32_e32 v15, v13, v75
	v_add3_u32 v14, v79, v77, v14
	v_add3_u32 v13, v83, v81, v16
	;; [unrolled: 1-line block ×3, first 2 shown]
	v_cmp_lt_u32_e64 s[40:41], v0, v74
	ds_write_b8 v15, v17 offset:1024
	ds_write_b8 v14, v76 offset:1024
	;; [unrolled: 1-line block ×4, first 2 shown]
	s_waitcnt lgkmcnt(0)
	s_barrier
	s_and_saveexec_b64 s[36:37], s[40:41]
	s_cbranch_execnz .LBB427_105
; %bb.85:                               ;   in Loop: Header=BB427_56 Depth=2
	s_or_b64 exec, exec, s[36:37]
	v_cmp_lt_u32_e64 s[38:39], v19, v74
	s_and_saveexec_b64 s[36:37], s[38:39]
	s_cbranch_execnz .LBB427_106
.LBB427_86:                             ;   in Loop: Header=BB427_56 Depth=2
	s_or_b64 exec, exec, s[36:37]
	v_cmp_lt_u32_e64 s[36:37], v20, v74
	s_and_saveexec_b64 s[42:43], s[36:37]
	s_cbranch_execnz .LBB427_107
.LBB427_87:                             ;   in Loop: Header=BB427_56 Depth=2
	s_or_b64 exec, exec, s[42:43]
	v_cmp_lt_u32_e32 vcc, v21, v74
	s_and_saveexec_b64 s[42:43], vcc
	s_cbranch_execz .LBB427_89
.LBB427_88:                             ;   in Loop: Header=BB427_56 Depth=2
	ds_read_u8 v16, v0 offset:1792
	s_waitcnt lgkmcnt(0)
	v_lshrrev_b32_sdwa v17, s58, v16 dst_sel:DWORD dst_unused:UNUSED_PAD src0_sel:DWORD src1_sel:BYTE_0
	v_and_b32_e32 v17, s59, v17
	v_lshlrev_b32_e32 v17, 2, v17
	ds_read_b32 v17, v17
	v_xor_b32_e32 v16, 0x80, v16
	s_waitcnt lgkmcnt(0)
	v_add_u32_e32 v17, v17, v21
	global_store_byte v17, v16, s[66:67]
.LBB427_89:                             ;   in Loop: Header=BB427_56 Depth=2
	s_or_b64 exec, exec, s[42:43]
	s_lshl_b64 s[42:43], s[46:47], 3
	v_mov_b32_e32 v17, s43
	v_add_co_u32_e64 v16, s[42:43], s42, v65
	v_addc_co_u32_e64 v17, s[42:43], v66, v17, s[42:43]
	v_cmp_lt_u32_e64 s[42:43], v47, v74
	s_and_saveexec_b64 s[56:57], s[42:43]
	s_xor_b64 s[42:43], exec, s[56:57]
	s_cbranch_execnz .LBB427_108
; %bb.90:                               ;   in Loop: Header=BB427_56 Depth=2
	s_or_b64 exec, exec, s[42:43]
	v_cmp_lt_u32_e64 s[42:43], v61, v74
	s_and_saveexec_b64 s[56:57], s[42:43]
	s_cbranch_execnz .LBB427_109
.LBB427_91:                             ;   in Loop: Header=BB427_56 Depth=2
	s_or_b64 exec, exec, s[56:57]
	v_cmp_lt_u32_e64 s[42:43], v62, v74
	s_and_saveexec_b64 s[56:57], s[42:43]
	s_cbranch_execnz .LBB427_110
.LBB427_92:                             ;   in Loop: Header=BB427_56 Depth=2
	s_or_b64 exec, exec, s[56:57]
	v_cmp_lt_u32_e64 s[42:43], v63, v74
	s_and_saveexec_b64 s[56:57], s[42:43]
	s_cbranch_execnz .LBB427_111
.LBB427_93:                             ;   in Loop: Header=BB427_56 Depth=2
	s_or_b64 exec, exec, s[56:57]
	s_and_saveexec_b64 s[42:43], s[40:41]
	s_cbranch_execnz .LBB427_112
.LBB427_94:                             ;   in Loop: Header=BB427_56 Depth=2
	s_or_b64 exec, exec, s[42:43]
	s_and_saveexec_b64 s[42:43], s[38:39]
	s_cbranch_execnz .LBB427_113
.LBB427_95:                             ;   in Loop: Header=BB427_56 Depth=2
	s_or_b64 exec, exec, s[42:43]
	s_and_saveexec_b64 s[42:43], s[36:37]
	s_cbranch_execnz .LBB427_114
.LBB427_96:                             ;   in Loop: Header=BB427_56 Depth=2
	s_or_b64 exec, exec, s[42:43]
	s_and_saveexec_b64 s[42:43], vcc
	s_cbranch_execz .LBB427_98
.LBB427_97:                             ;   in Loop: Header=BB427_56 Depth=2
	ds_read_u8 v16, v0 offset:1792
	s_waitcnt lgkmcnt(0)
	v_lshrrev_b32_e32 v16, s58, v16
	v_and_b32_e32 v69, s59, v16
.LBB427_98:                             ;   in Loop: Header=BB427_56 Depth=2
	s_or_b64 exec, exec, s[42:43]
	v_mad_u64_u32 v[15:16], s[42:43], v15, 7, v[15:16]
	s_waitcnt vmcnt(0)
	v_mad_u64_u32 v[74:75], s[42:43], v4, 7, v[4:5]
	v_mad_u64_u32 v[16:17], s[42:43], v14, 7, v[14:15]
	;; [unrolled: 1-line block ×3, first 2 shown]
	s_barrier
	ds_write_b64 v15, v[11:12] offset:1024
	ds_write_b64 v16, v[9:10] offset:1024
	;; [unrolled: 1-line block ×4, first 2 shown]
	s_waitcnt lgkmcnt(0)
	s_barrier
	s_and_saveexec_b64 s[42:43], s[40:41]
	s_cbranch_execnz .LBB427_115
; %bb.99:                               ;   in Loop: Header=BB427_56 Depth=2
	s_or_b64 exec, exec, s[42:43]
	s_and_saveexec_b64 s[40:41], s[38:39]
	s_cbranch_execnz .LBB427_116
.LBB427_100:                            ;   in Loop: Header=BB427_56 Depth=2
	s_or_b64 exec, exec, s[40:41]
	s_and_saveexec_b64 s[38:39], s[36:37]
	s_cbranch_execnz .LBB427_117
.LBB427_101:                            ;   in Loop: Header=BB427_56 Depth=2
	s_or_b64 exec, exec, s[38:39]
	s_and_saveexec_b64 s[36:37], vcc
	s_cbranch_execz .LBB427_103
.LBB427_102:                            ;   in Loop: Header=BB427_56 Depth=2
	v_lshlrev_b32_e32 v4, 2, v69
	ds_read_b32 v4, v4
	v_add_u32_e32 v13, v0, v51
	ds_read_b64 v[13:14], v13 offset:7168
	v_mov_b32_e32 v16, v3
	v_mov_b32_e32 v17, s53
	s_waitcnt lgkmcnt(1)
	v_add_u32_e32 v15, v4, v21
	v_lshlrev_b64 v[15:16], 3, v[15:16]
	v_add_co_u32_e32 v15, vcc, s52, v15
	v_addc_co_u32_e32 v16, vcc, v17, v16, vcc
	s_waitcnt lgkmcnt(0)
	global_store_dwordx2 v[15:16], v[13:14], off
.LBB427_103:                            ;   in Loop: Header=BB427_56 Depth=2
	s_or_b64 exec, exec, s[36:37]
	s_waitcnt vmcnt(0)
	s_barrier
	s_and_saveexec_b64 s[36:37], s[4:5]
	s_cbranch_execz .LBB427_55
; %bb.104:                              ;   in Loop: Header=BB427_56 Depth=2
	ds_read_b32 v4, v18
	s_waitcnt lgkmcnt(0)
	v_add_u32_e32 v4, v4, v78
	ds_write_b32 v18, v4
	s_branch .LBB427_55
.LBB427_105:                            ;   in Loop: Header=BB427_56 Depth=2
	ds_read_u8 v16, v0 offset:1024
	s_waitcnt lgkmcnt(0)
	v_lshrrev_b32_sdwa v17, s58, v16 dst_sel:DWORD dst_unused:UNUSED_PAD src0_sel:DWORD src1_sel:BYTE_0
	v_and_b32_e32 v17, s59, v17
	v_lshlrev_b32_e32 v17, 2, v17
	ds_read_b32 v17, v17
	v_xor_b32_e32 v16, 0x80, v16
	s_waitcnt lgkmcnt(0)
	v_add_u32_e32 v17, v17, v0
	global_store_byte v17, v16, s[66:67]
	s_or_b64 exec, exec, s[36:37]
	v_cmp_lt_u32_e64 s[38:39], v19, v74
	s_and_saveexec_b64 s[36:37], s[38:39]
	s_cbranch_execz .LBB427_86
.LBB427_106:                            ;   in Loop: Header=BB427_56 Depth=2
	ds_read_u8 v16, v0 offset:1280
	s_waitcnt lgkmcnt(0)
	v_lshrrev_b32_sdwa v17, s58, v16 dst_sel:DWORD dst_unused:UNUSED_PAD src0_sel:DWORD src1_sel:BYTE_0
	v_and_b32_e32 v17, s59, v17
	v_lshlrev_b32_e32 v17, 2, v17
	ds_read_b32 v17, v17
	v_xor_b32_e32 v16, 0x80, v16
	s_waitcnt lgkmcnt(0)
	v_add_u32_e32 v17, v17, v19
	global_store_byte v17, v16, s[66:67]
	s_or_b64 exec, exec, s[36:37]
	v_cmp_lt_u32_e64 s[36:37], v20, v74
	s_and_saveexec_b64 s[42:43], s[36:37]
	s_cbranch_execz .LBB427_87
.LBB427_107:                            ;   in Loop: Header=BB427_56 Depth=2
	ds_read_u8 v16, v0 offset:1536
	s_waitcnt lgkmcnt(0)
	v_lshrrev_b32_sdwa v17, s58, v16 dst_sel:DWORD dst_unused:UNUSED_PAD src0_sel:DWORD src1_sel:BYTE_0
	v_and_b32_e32 v17, s59, v17
	v_lshlrev_b32_e32 v17, 2, v17
	ds_read_b32 v17, v17
	v_xor_b32_e32 v16, 0x80, v16
	s_waitcnt lgkmcnt(0)
	v_add_u32_e32 v17, v17, v20
	global_store_byte v17, v16, s[66:67]
	s_or_b64 exec, exec, s[42:43]
	v_cmp_lt_u32_e32 vcc, v21, v74
	s_and_saveexec_b64 s[42:43], vcc
	s_cbranch_execnz .LBB427_88
	s_branch .LBB427_89
.LBB427_108:                            ;   in Loop: Header=BB427_56 Depth=2
	global_load_dwordx2 v[11:12], v[16:17], off
	s_or_b64 exec, exec, s[42:43]
	v_cmp_lt_u32_e64 s[42:43], v61, v74
	s_and_saveexec_b64 s[56:57], s[42:43]
	s_cbranch_execz .LBB427_91
.LBB427_109:                            ;   in Loop: Header=BB427_56 Depth=2
	global_load_dwordx2 v[9:10], v[16:17], off offset:512
	s_or_b64 exec, exec, s[56:57]
	v_cmp_lt_u32_e64 s[42:43], v62, v74
	s_and_saveexec_b64 s[56:57], s[42:43]
	s_cbranch_execz .LBB427_92
.LBB427_110:                            ;   in Loop: Header=BB427_56 Depth=2
	global_load_dwordx2 v[7:8], v[16:17], off offset:1024
	s_or_b64 exec, exec, s[56:57]
	v_cmp_lt_u32_e64 s[42:43], v63, v74
	s_and_saveexec_b64 s[56:57], s[42:43]
	s_cbranch_execz .LBB427_93
.LBB427_111:                            ;   in Loop: Header=BB427_56 Depth=2
	global_load_dwordx2 v[5:6], v[16:17], off offset:1536
	s_or_b64 exec, exec, s[56:57]
	s_and_saveexec_b64 s[42:43], s[40:41]
	s_cbranch_execz .LBB427_94
.LBB427_112:                            ;   in Loop: Header=BB427_56 Depth=2
	ds_read_u8 v16, v0 offset:1024
	s_waitcnt lgkmcnt(0)
	v_lshrrev_b32_e32 v16, s58, v16
	v_and_b32_e32 v73, s59, v16
	s_or_b64 exec, exec, s[42:43]
	s_and_saveexec_b64 s[42:43], s[38:39]
	s_cbranch_execz .LBB427_95
.LBB427_113:                            ;   in Loop: Header=BB427_56 Depth=2
	ds_read_u8 v16, v0 offset:1280
	s_waitcnt lgkmcnt(0)
	v_lshrrev_b32_e32 v16, s58, v16
	v_and_b32_e32 v72, s59, v16
	s_or_b64 exec, exec, s[42:43]
	s_and_saveexec_b64 s[42:43], s[36:37]
	s_cbranch_execz .LBB427_96
.LBB427_114:                            ;   in Loop: Header=BB427_56 Depth=2
	ds_read_u8 v16, v0 offset:1536
	s_waitcnt lgkmcnt(0)
	v_lshrrev_b32_e32 v16, s58, v16
	v_and_b32_e32 v70, s59, v16
	s_or_b64 exec, exec, s[42:43]
	s_and_saveexec_b64 s[42:43], vcc
	s_cbranch_execnz .LBB427_97
	s_branch .LBB427_98
.LBB427_115:                            ;   in Loop: Header=BB427_56 Depth=2
	v_lshlrev_b32_e32 v4, 2, v73
	ds_read_b32 v4, v4
	v_add_u32_e32 v13, v0, v51
	ds_read_b64 v[13:14], v13 offset:1024
	v_mov_b32_e32 v16, v3
	v_mov_b32_e32 v17, s53
	s_waitcnt lgkmcnt(1)
	v_add_u32_e32 v15, v4, v0
	v_lshlrev_b64 v[15:16], 3, v[15:16]
	v_add_co_u32_e64 v15, s[40:41], s52, v15
	v_addc_co_u32_e64 v16, s[40:41], v17, v16, s[40:41]
	s_waitcnt lgkmcnt(0)
	global_store_dwordx2 v[15:16], v[13:14], off
	s_or_b64 exec, exec, s[42:43]
	s_and_saveexec_b64 s[40:41], s[38:39]
	s_cbranch_execz .LBB427_100
.LBB427_116:                            ;   in Loop: Header=BB427_56 Depth=2
	v_lshlrev_b32_e32 v4, 2, v72
	ds_read_b32 v4, v4
	v_add_u32_e32 v13, v0, v51
	ds_read_b64 v[13:14], v13 offset:3072
	v_mov_b32_e32 v16, v3
	v_mov_b32_e32 v17, s53
	s_waitcnt lgkmcnt(1)
	v_add_u32_e32 v15, v4, v19
	v_lshlrev_b64 v[15:16], 3, v[15:16]
	v_add_co_u32_e64 v15, s[38:39], s52, v15
	v_addc_co_u32_e64 v16, s[38:39], v17, v16, s[38:39]
	s_waitcnt lgkmcnt(0)
	global_store_dwordx2 v[15:16], v[13:14], off
	s_or_b64 exec, exec, s[40:41]
	s_and_saveexec_b64 s[38:39], s[36:37]
	s_cbranch_execz .LBB427_101
.LBB427_117:                            ;   in Loop: Header=BB427_56 Depth=2
	v_lshlrev_b32_e32 v4, 2, v70
	ds_read_b32 v4, v4
	v_add_u32_e32 v13, v0, v51
	ds_read_b64 v[13:14], v13 offset:5120
	v_mov_b32_e32 v16, v3
	v_mov_b32_e32 v17, s53
	s_waitcnt lgkmcnt(1)
	v_add_u32_e32 v15, v4, v20
	v_lshlrev_b64 v[15:16], 3, v[15:16]
	v_add_co_u32_e64 v15, s[36:37], s52, v15
	v_addc_co_u32_e64 v16, s[36:37], v17, v16, s[36:37]
	s_waitcnt lgkmcnt(0)
	global_store_dwordx2 v[15:16], v[13:14], off
	s_or_b64 exec, exec, s[38:39]
	s_and_saveexec_b64 s[36:37], vcc
	s_cbranch_execnz .LBB427_102
	s_branch .LBB427_103
.LBB427_118:                            ;   in Loop: Header=BB427_56 Depth=2
	global_load_ubyte v4, v[13:14], off
	v_mov_b32_e32 v15, 0x7f
	v_mov_b32_e32 v76, 0x7f
	v_mov_b32_e32 v16, 0x7f
	s_or_b64 exec, exec, s[36:37]
	v_cmp_gt_u32_e32 vcc, s60, v61
	s_and_saveexec_b64 s[36:37], vcc
	s_cbranch_execz .LBB427_61
.LBB427_119:                            ;   in Loop: Header=BB427_56 Depth=2
	global_load_ubyte v76, v[13:14], off offset:64
	s_or_b64 exec, exec, s[36:37]
	v_cmp_gt_u32_e32 vcc, s60, v62
	s_and_saveexec_b64 s[36:37], vcc
	s_cbranch_execnz .LBB427_62
	s_branch .LBB427_63
.LBB427_120:                            ;   in Loop: Header=BB427_20 Depth=1
	s_waitcnt lgkmcnt(0)
	s_barrier
	s_mov_b64 s[16:17], 0
.LBB427_121:                            ;   in Loop: Header=BB427_20 Depth=1
	s_and_b64 vcc, exec, s[16:17]
	s_cbranch_vccz .LBB427_221
; %bb.122:                              ;   in Loop: Header=BB427_20 Depth=1
	v_mov_b32_e32 v4, 0
	s_mov_b32 s18, s75
	s_mov_b32 s20, s49
	v_mov_b32_e32 v7, 0
	v_mov_b32_e32 v6, 0
	;; [unrolled: 1-line block ×3, first 2 shown]
	s_barrier
	s_branch .LBB427_124
.LBB427_123:                            ;   in Loop: Header=BB427_124 Depth=2
	s_or_b64 exec, exec, s[16:17]
	s_addk_i32 s18, 0xfc00
	s_cmp_ge_u32 s19, s76
	s_mov_b32 s20, s19
	s_cbranch_scc1 .LBB427_144
.LBB427_124:                            ;   Parent Loop BB427_20 Depth=1
                                        ; =>  This Inner Loop Header: Depth=2
	s_add_i32 s19, s20, 0x400
	s_cmp_gt_u32 s19, s76
	s_mov_b64 s[16:17], -1
                                        ; implicit-def: $vgpr8
                                        ; implicit-def: $vgpr9
                                        ; implicit-def: $vgpr10
                                        ; implicit-def: $vgpr11
	s_cbranch_scc1 .LBB427_126
; %bb.125:                              ;   in Loop: Header=BB427_124 Depth=2
	v_add_co_u32_e32 v12, vcc, s20, v33
	v_addc_co_u32_e32 v13, vcc, 0, v34, vcc
	global_load_ubyte v11, v[12:13], off offset:768
	global_load_ubyte v10, v[12:13], off offset:512
	;; [unrolled: 1-line block ×3, first 2 shown]
	global_load_ubyte v8, v[12:13], off
	s_mov_b64 s[16:17], 0
.LBB427_126:                            ;   in Loop: Header=BB427_124 Depth=2
	s_andn2_b64 vcc, exec, s[16:17]
	s_movk_i32 s21, 0x400
	s_cbranch_vccnz .LBB427_133
; %bb.127:                              ;   in Loop: Header=BB427_124 Depth=2
	s_add_u32 s20, s66, s20
	s_addc_u32 s21, s67, 0
	v_cmp_gt_u32_e32 vcc, s18, v0
	s_and_saveexec_b64 s[16:17], vcc
	s_cbranch_execnz .LBB427_141
; %bb.128:                              ;   in Loop: Header=BB427_124 Depth=2
	s_or_b64 exec, exec, s[16:17]
	v_cmp_gt_u32_e32 vcc, s18, v19
	s_and_saveexec_b64 s[16:17], vcc
	s_cbranch_execnz .LBB427_142
.LBB427_129:                            ;   in Loop: Header=BB427_124 Depth=2
	s_or_b64 exec, exec, s[16:17]
	v_cmp_gt_u32_e32 vcc, s18, v20
	s_and_saveexec_b64 s[16:17], vcc
	s_cbranch_execnz .LBB427_143
.LBB427_130:                            ;   in Loop: Header=BB427_124 Depth=2
	s_or_b64 exec, exec, s[16:17]
	v_cmp_gt_u32_e32 vcc, s18, v21
	s_and_saveexec_b64 s[16:17], vcc
	s_cbranch_execz .LBB427_132
.LBB427_131:                            ;   in Loop: Header=BB427_124 Depth=2
	v_mov_b32_e32 v5, s21
	s_waitcnt vmcnt(0)
	v_add_co_u32_e32 v8, vcc, s20, v0
	v_addc_co_u32_e32 v9, vcc, 0, v5, vcc
	global_load_ubyte v5, v[8:9], off offset:768
.LBB427_132:                            ;   in Loop: Header=BB427_124 Depth=2
	s_or_b64 exec, exec, s[16:17]
	s_mov_b32 s21, s18
	s_waitcnt vmcnt(0)
	v_mov_b32_e32 v8, v4
	v_mov_b32_e32 v9, v7
	;; [unrolled: 1-line block ×4, first 2 shown]
.LBB427_133:                            ;   in Loop: Header=BB427_124 Depth=2
	s_waitcnt vmcnt(3)
	v_mov_b32_e32 v5, v11
	s_waitcnt vmcnt(2)
	v_mov_b32_e32 v6, v10
	;; [unrolled: 2-line block ×4, first 2 shown]
	v_cmp_gt_u32_e32 vcc, s21, v0
	s_and_saveexec_b64 s[16:17], vcc
	s_cbranch_execnz .LBB427_137
; %bb.134:                              ;   in Loop: Header=BB427_124 Depth=2
	s_or_b64 exec, exec, s[16:17]
	v_cmp_gt_u32_e32 vcc, s21, v19
	s_and_saveexec_b64 s[16:17], vcc
	s_cbranch_execnz .LBB427_138
.LBB427_135:                            ;   in Loop: Header=BB427_124 Depth=2
	s_or_b64 exec, exec, s[16:17]
	v_cmp_gt_u32_e32 vcc, s21, v20
	s_and_saveexec_b64 s[16:17], vcc
	s_cbranch_execnz .LBB427_139
.LBB427_136:                            ;   in Loop: Header=BB427_124 Depth=2
	s_or_b64 exec, exec, s[16:17]
	v_cmp_gt_u32_e32 vcc, s21, v21
	s_and_saveexec_b64 s[16:17], vcc
	s_cbranch_execz .LBB427_123
	s_branch .LBB427_140
.LBB427_137:                            ;   in Loop: Header=BB427_124 Depth=2
	v_xor_b32_e32 v8, 0x80, v4
	v_lshrrev_b32_sdwa v8, s58, v8 dst_sel:DWORD dst_unused:UNUSED_PAD src0_sel:DWORD src1_sel:BYTE_0
	v_and_b32_e32 v8, s59, v8
	v_lshl_or_b32 v8, v8, 4, v24
	ds_add_u32 v8, v52
	s_or_b64 exec, exec, s[16:17]
	v_cmp_gt_u32_e32 vcc, s21, v19
	s_and_saveexec_b64 s[16:17], vcc
	s_cbranch_execz .LBB427_135
.LBB427_138:                            ;   in Loop: Header=BB427_124 Depth=2
	v_xor_b32_e32 v8, 0x80, v7
	v_lshrrev_b32_sdwa v8, s58, v8 dst_sel:DWORD dst_unused:UNUSED_PAD src0_sel:DWORD src1_sel:BYTE_0
	v_and_b32_e32 v8, s59, v8
	v_lshl_or_b32 v8, v8, 4, v24
	ds_add_u32 v8, v52
	s_or_b64 exec, exec, s[16:17]
	v_cmp_gt_u32_e32 vcc, s21, v20
	s_and_saveexec_b64 s[16:17], vcc
	s_cbranch_execz .LBB427_136
.LBB427_139:                            ;   in Loop: Header=BB427_124 Depth=2
	v_xor_b32_e32 v8, 0x80, v6
	v_lshrrev_b32_sdwa v8, s58, v8 dst_sel:DWORD dst_unused:UNUSED_PAD src0_sel:DWORD src1_sel:BYTE_0
	v_and_b32_e32 v8, s59, v8
	v_lshl_or_b32 v8, v8, 4, v24
	ds_add_u32 v8, v52
	s_or_b64 exec, exec, s[16:17]
	v_cmp_gt_u32_e32 vcc, s21, v21
	s_and_saveexec_b64 s[16:17], vcc
	s_cbranch_execz .LBB427_123
.LBB427_140:                            ;   in Loop: Header=BB427_124 Depth=2
	v_xor_b32_e32 v8, 0x80, v5
	v_lshrrev_b32_sdwa v8, s58, v8 dst_sel:DWORD dst_unused:UNUSED_PAD src0_sel:DWORD src1_sel:BYTE_0
	v_and_b32_e32 v8, s59, v8
	v_lshl_or_b32 v8, v8, 4, v24
	ds_add_u32 v8, v52
	s_branch .LBB427_123
.LBB427_141:                            ;   in Loop: Header=BB427_124 Depth=2
	v_mov_b32_e32 v4, s21
	s_waitcnt vmcnt(0)
	v_add_co_u32_e32 v8, vcc, s20, v0
	v_addc_co_u32_e32 v9, vcc, 0, v4, vcc
	global_load_ubyte v4, v[8:9], off
	s_or_b64 exec, exec, s[16:17]
	v_cmp_gt_u32_e32 vcc, s18, v19
	s_and_saveexec_b64 s[16:17], vcc
	s_cbranch_execz .LBB427_129
.LBB427_142:                            ;   in Loop: Header=BB427_124 Depth=2
	s_waitcnt vmcnt(0)
	v_mov_b32_e32 v8, s21
	v_add_co_u32_e32 v7, vcc, s20, v0
	v_addc_co_u32_e32 v8, vcc, 0, v8, vcc
	global_load_ubyte v7, v[7:8], off offset:256
	s_or_b64 exec, exec, s[16:17]
	v_cmp_gt_u32_e32 vcc, s18, v20
	s_and_saveexec_b64 s[16:17], vcc
	s_cbranch_execz .LBB427_130
.LBB427_143:                            ;   in Loop: Header=BB427_124 Depth=2
	v_mov_b32_e32 v6, s21
	s_waitcnt vmcnt(0)
	v_add_co_u32_e32 v8, vcc, s20, v0
	v_addc_co_u32_e32 v9, vcc, 0, v6, vcc
	global_load_ubyte v6, v[8:9], off offset:512
	s_or_b64 exec, exec, s[16:17]
	v_cmp_gt_u32_e32 vcc, s18, v21
	s_and_saveexec_b64 s[16:17], vcc
	s_cbranch_execnz .LBB427_131
	s_branch .LBB427_132
.LBB427_144:                            ;   in Loop: Header=BB427_20 Depth=1
	v_mov_b32_e32 v4, 0
	s_waitcnt lgkmcnt(0)
	s_barrier
	s_and_saveexec_b64 s[16:17], s[4:5]
	s_cbranch_execz .LBB427_146
; %bb.145:                              ;   in Loop: Header=BB427_20 Depth=1
	ds_read2_b64 v[4:7], v25 offset1:1
	s_waitcnt lgkmcnt(0)
	v_add_u32_e32 v4, v5, v4
	v_add3_u32 v4, v4, v6, v7
.LBB427_146:                            ;   in Loop: Header=BB427_20 Depth=1
	s_or_b64 exec, exec, s[16:17]
	s_nop 0
	v_mov_b32_dpp v5, v4 row_shr:1 row_mask:0xf bank_mask:0xf
	v_cmp_eq_u32_e64 s[16:17], 0, v55
	v_cndmask_b32_e64 v5, v5, 0, s[16:17]
	v_add_u32_e32 v4, v5, v4
	v_cmp_lt_u32_e64 s[18:19], 1, v55
	v_cmp_lt_u32_e64 s[20:21], 3, v55
	v_mov_b32_dpp v5, v4 row_shr:2 row_mask:0xf bank_mask:0xf
	v_cndmask_b32_e64 v5, 0, v5, s[18:19]
	v_add_u32_e32 v4, v4, v5
	v_cmp_lt_u32_e64 s[22:23], 7, v55
	v_cmp_lt_u32_e64 s[26:27], 31, v45
	v_mov_b32_dpp v5, v4 row_shr:4 row_mask:0xf bank_mask:0xf
	v_cndmask_b32_e64 v5, 0, v5, s[20:21]
	v_add_u32_e32 v4, v4, v5
	v_cmp_eq_u32_e64 s[24:25], 0, v57
	s_nop 0
	v_mov_b32_dpp v5, v4 row_shr:8 row_mask:0xf bank_mask:0xf
	v_cndmask_b32_e64 v5, 0, v5, s[22:23]
	v_add_u32_e32 v4, v4, v5
	s_nop 1
	v_mov_b32_dpp v5, v4 row_bcast:15 row_mask:0xf bank_mask:0xf
	v_and_b32_e32 v5, v56, v5
	v_add_u32_e32 v4, v4, v5
	s_nop 1
	v_mov_b32_dpp v5, v4 row_bcast:31 row_mask:0xf bank_mask:0xf
	v_cndmask_b32_e64 v5, 0, v5, s[26:27]
	v_add_u32_e32 v4, v4, v5
	s_and_saveexec_b64 s[28:29], s[6:7]
; %bb.147:                              ;   in Loop: Header=BB427_20 Depth=1
	ds_write_b32 v27, v4
; %bb.148:                              ;   in Loop: Header=BB427_20 Depth=1
	s_or_b64 exec, exec, s[28:29]
	s_waitcnt lgkmcnt(0)
	s_barrier
	s_and_saveexec_b64 s[28:29], s[8:9]
	s_cbranch_execz .LBB427_150
; %bb.149:                              ;   in Loop: Header=BB427_20 Depth=1
	ds_read_b32 v5, v48
	v_cmp_ne_u32_e32 vcc, 0, v58
	s_waitcnt lgkmcnt(0)
	v_mov_b32_dpp v6, v5 row_shr:1 row_mask:0xf bank_mask:0xf
	v_cndmask_b32_e32 v6, 0, v6, vcc
	v_add_u32_e32 v5, v6, v5
	v_cmp_lt_u32_e32 vcc, 1, v58
	s_nop 0
	v_mov_b32_dpp v6, v5 row_shr:2 row_mask:0xf bank_mask:0xf
	v_cndmask_b32_e32 v6, 0, v6, vcc
	v_add_u32_e32 v5, v5, v6
	ds_write_b32 v48, v5
.LBB427_150:                            ;   in Loop: Header=BB427_20 Depth=1
	s_or_b64 exec, exec, s[28:29]
	v_mov_b32_e32 v5, 0
	s_waitcnt lgkmcnt(0)
	s_barrier
	s_and_saveexec_b64 s[28:29], s[10:11]
; %bb.151:                              ;   in Loop: Header=BB427_20 Depth=1
	ds_read_b32 v5, v49
; %bb.152:                              ;   in Loop: Header=BB427_20 Depth=1
	s_or_b64 exec, exec, s[28:29]
	v_subrev_co_u32_e64 v6, s[28:29], 1, v45
	v_cmp_lt_i32_e32 vcc, v6, v59
	v_cndmask_b32_e32 v6, v6, v45, vcc
	s_waitcnt lgkmcnt(0)
	v_add_u32_e32 v4, v5, v4
	v_lshlrev_b32_e32 v64, 2, v6
	ds_bpermute_b32 v4, v64, v4
	s_waitcnt lgkmcnt(0)
	s_barrier
	s_and_saveexec_b64 s[30:31], s[4:5]
; %bb.153:                              ;   in Loop: Header=BB427_20 Depth=1
	v_cndmask_b32_e64 v4, v4, v5, s[28:29]
	v_add_u32_e32 v4, s49, v4
	ds_write_b32 v18, v4
; %bb.154:                              ;   in Loop: Header=BB427_20 Depth=1
	s_or_b64 exec, exec, s[30:31]
	s_load_dwordx2 s[30:31], s[44:45], 0x0
	v_add_co_u32_e32 v65, vcc, v35, v60
	v_addc_co_u32_e32 v66, vcc, 0, v36, vcc
	s_waitcnt lgkmcnt(0)
	s_cmp_lt_u32 s33, s31
	s_cselect_b32 s31, 14, 20
	s_add_u32 s34, s44, s31
	s_addc_u32 s35, s45, 0
	s_cmp_lt_u32 s48, s30
	s_cselect_b32 s30, 12, 18
	s_add_u32 s30, s44, s30
	global_load_ushort v4, v3, s[34:35]
	s_addc_u32 s31, s45, 0
	global_load_ushort v5, v3, s[30:31]
	v_add_co_u32_e32 v67, vcc, v37, v46
	v_cmp_eq_u32_e64 s[30:31], 0, v58
	v_cmp_lt_u32_e64 s[34:35], 1, v58
	v_addc_co_u32_e32 v68, vcc, 0, v38, vcc
	s_mov_b32 s60, s75
	s_mov_b32 s46, s49
                                        ; implicit-def: $vgpr7_vgpr8
                                        ; implicit-def: $vgpr9_vgpr10
                                        ; implicit-def: $vgpr11_vgpr12
                                        ; implicit-def: $vgpr69
                                        ; implicit-def: $vgpr70
                                        ; implicit-def: $vgpr72
                                        ; implicit-def: $vgpr73
	s_waitcnt vmcnt(1)
	v_mad_u32_u24 v4, v2, v4, v1
	s_waitcnt vmcnt(0)
	v_mad_u64_u32 v[4:5], s[36:37], v4, v5, v[0:1]
                                        ; implicit-def: $vgpr5_vgpr6
	v_lshrrev_b32_e32 v4, 4, v4
	v_and_b32_e32 v71, 0xffffffc, v4
	s_branch .LBB427_156
.LBB427_155:                            ;   in Loop: Header=BB427_156 Depth=2
	s_or_b64 exec, exec, s[36:37]
	s_addk_i32 s60, 0xfc00
	s_cmp_lt_u32 s61, s76
	s_mov_b32 s46, s61
	s_cbranch_scc0 .LBB427_220
.LBB427_156:                            ;   Parent Loop BB427_20 Depth=1
                                        ; =>  This Inner Loop Header: Depth=2
	s_add_i32 s61, s46, 0x400
	s_cmp_gt_u32 s61, s76
	s_cbranch_scc1 .LBB427_158
; %bb.157:                              ;   in Loop: Header=BB427_156 Depth=2
	v_add_co_u32_e32 v13, vcc, s46, v67
	v_addc_co_u32_e32 v14, vcc, 0, v68, vcc
	global_load_ubyte v16, v[13:14], off offset:128
	global_load_ubyte v76, v[13:14], off offset:64
	global_load_ubyte v4, v[13:14], off
	s_mov_b64 s[36:37], -1
	s_movk_i32 s40, 0x400
                                        ; implicit-def: $vgpr15
	s_cbranch_execz .LBB427_159
	s_branch .LBB427_164
.LBB427_158:                            ;   in Loop: Header=BB427_156 Depth=2
	s_mov_b64 s[36:37], 0
                                        ; implicit-def: $vgpr4
                                        ; implicit-def: $vgpr76
                                        ; implicit-def: $vgpr16
	s_movk_i32 s40, 0x400
                                        ; implicit-def: $vgpr15
.LBB427_159:                            ;   in Loop: Header=BB427_156 Depth=2
	v_add_co_u32_e32 v13, vcc, s46, v67
	v_addc_co_u32_e32 v14, vcc, 0, v68, vcc
	v_cmp_gt_u32_e32 vcc, s60, v47
	v_mov_b32_e32 v15, 0x7f
	s_waitcnt vmcnt(0)
	v_mov_b32_e32 v4, 0x7f
	v_mov_b32_e32 v76, 0x7f
	;; [unrolled: 1-line block ×3, first 2 shown]
	s_and_saveexec_b64 s[36:37], vcc
	s_cbranch_execnz .LBB427_218
; %bb.160:                              ;   in Loop: Header=BB427_156 Depth=2
	s_or_b64 exec, exec, s[36:37]
	v_cmp_gt_u32_e32 vcc, s60, v61
	s_and_saveexec_b64 s[36:37], vcc
	s_cbranch_execnz .LBB427_219
.LBB427_161:                            ;   in Loop: Header=BB427_156 Depth=2
	s_or_b64 exec, exec, s[36:37]
	v_cmp_gt_u32_e32 vcc, s60, v62
	s_and_saveexec_b64 s[36:37], vcc
	s_cbranch_execz .LBB427_163
.LBB427_162:                            ;   in Loop: Header=BB427_156 Depth=2
	global_load_ubyte v16, v[13:14], off offset:128
.LBB427_163:                            ;   in Loop: Header=BB427_156 Depth=2
	s_or_b64 exec, exec, s[36:37]
	s_sub_i32 s40, s76, s46
	v_cmp_gt_u32_e64 s[36:37], s60, v63
.LBB427_164:                            ;   in Loop: Header=BB427_156 Depth=2
	v_mov_b32_e32 v74, s60
	s_and_saveexec_b64 s[38:39], s[36:37]
	s_cbranch_execz .LBB427_166
; %bb.165:                              ;   in Loop: Header=BB427_156 Depth=2
	v_mov_b32_e32 v14, s47
	v_add_co_u32_e32 v13, vcc, s46, v67
	v_addc_co_u32_e32 v14, vcc, v68, v14, vcc
	global_load_ubyte v15, v[13:14], off offset:192
	v_mov_b32_e32 v74, s40
.LBB427_166:                            ;   in Loop: Header=BB427_156 Depth=2
	s_or_b64 exec, exec, s[38:39]
	s_waitcnt vmcnt(0)
	v_xor_b32_e32 v17, 0xffffff80, v4
	v_lshrrev_b32_sdwa v4, s58, v17 dst_sel:DWORD dst_unused:UNUSED_PAD src0_sel:DWORD src1_sel:BYTE_0
	v_and_b32_e32 v13, s59, v4
	v_and_b32_e32 v4, 1, v13
	v_add_co_u32_e32 v14, vcc, -1, v4
	v_addc_co_u32_e64 v75, s[36:37], 0, -1, vcc
	v_cmp_ne_u32_e32 vcc, 0, v4
	v_xor_b32_e32 v4, vcc_hi, v75
	v_and_b32_e32 v75, exec_hi, v4
	v_lshlrev_b32_e32 v4, 30, v13
	v_xor_b32_e32 v14, vcc_lo, v14
	v_cmp_gt_i64_e32 vcc, 0, v[3:4]
	v_not_b32_e32 v4, v4
	v_ashrrev_i32_e32 v4, 31, v4
	v_and_b32_e32 v14, exec_lo, v14
	v_xor_b32_e32 v78, vcc_hi, v4
	v_xor_b32_e32 v4, vcc_lo, v4
	v_and_b32_e32 v14, v14, v4
	v_lshlrev_b32_e32 v4, 29, v13
	v_cmp_gt_i64_e32 vcc, 0, v[3:4]
	v_not_b32_e32 v4, v4
	v_ashrrev_i32_e32 v4, 31, v4
	v_and_b32_e32 v75, v75, v78
	v_xor_b32_e32 v78, vcc_hi, v4
	v_xor_b32_e32 v4, vcc_lo, v4
	v_and_b32_e32 v14, v14, v4
	v_lshlrev_b32_e32 v4, 28, v13
	v_cmp_gt_i64_e32 vcc, 0, v[3:4]
	v_not_b32_e32 v4, v4
	v_ashrrev_i32_e32 v4, 31, v4
	v_and_b32_e32 v75, v75, v78
	;; [unrolled: 8-line block ×5, first 2 shown]
	v_xor_b32_e32 v78, vcc_hi, v4
	v_xor_b32_e32 v4, vcc_lo, v4
	v_and_b32_e32 v75, v75, v78
	v_and_b32_e32 v78, v14, v4
	v_lshlrev_b32_e32 v4, 24, v13
	v_cmp_gt_i64_e32 vcc, 0, v[3:4]
	v_not_b32_e32 v4, v4
	v_ashrrev_i32_e32 v4, 31, v4
	v_mul_u32_u24_e32 v77, 20, v13
	v_xor_b32_e32 v13, vcc_hi, v4
	v_xor_b32_e32 v4, vcc_lo, v4
	v_and_b32_e32 v14, v75, v13
	v_and_b32_e32 v13, v78, v4
	v_mbcnt_lo_u32_b32 v4, v13, 0
	v_mbcnt_hi_u32_b32 v75, v14, v4
	v_cmp_ne_u64_e32 vcc, 0, v[13:14]
	v_cmp_eq_u32_e64 s[36:37], 0, v75
	s_and_b64 s[38:39], vcc, s[36:37]
	v_add_u32_e32 v78, v71, v77
	ds_write2_b32 v53, v3, v3 offset1:1
	ds_write2_b32 v54, v3, v3 offset1:1
	ds_write_b32 v50, v3 offset:1056
	s_waitcnt lgkmcnt(0)
	s_barrier
	; wave barrier
	s_and_saveexec_b64 s[36:37], s[38:39]
; %bb.167:                              ;   in Loop: Header=BB427_156 Depth=2
	v_bcnt_u32_b32 v4, v13, 0
	v_bcnt_u32_b32 v4, v14, v4
	ds_write_b32 v78, v4 offset:1040
; %bb.168:                              ;   in Loop: Header=BB427_156 Depth=2
	s_or_b64 exec, exec, s[36:37]
	v_xor_b32_e32 v76, 0xffffff80, v76
	v_lshrrev_b32_sdwa v4, s58, v76 dst_sel:DWORD dst_unused:UNUSED_PAD src0_sel:DWORD src1_sel:BYTE_0
	v_and_b32_e32 v13, s59, v4
	v_mad_u32_u24 v4, v13, 20, v71
	; wave barrier
	ds_read_b32 v77, v4 offset:1040
	v_and_b32_e32 v4, 1, v13
	v_add_co_u32_e32 v14, vcc, -1, v4
	v_addc_co_u32_e64 v79, s[36:37], 0, -1, vcc
	v_cmp_ne_u32_e32 vcc, 0, v4
	v_xor_b32_e32 v4, vcc_hi, v79
	v_and_b32_e32 v79, exec_hi, v4
	v_lshlrev_b32_e32 v4, 30, v13
	v_xor_b32_e32 v14, vcc_lo, v14
	v_cmp_gt_i64_e32 vcc, 0, v[3:4]
	v_not_b32_e32 v4, v4
	v_ashrrev_i32_e32 v4, 31, v4
	v_and_b32_e32 v14, exec_lo, v14
	v_xor_b32_e32 v81, vcc_hi, v4
	v_xor_b32_e32 v4, vcc_lo, v4
	v_and_b32_e32 v14, v14, v4
	v_lshlrev_b32_e32 v4, 29, v13
	v_cmp_gt_i64_e32 vcc, 0, v[3:4]
	v_not_b32_e32 v4, v4
	v_ashrrev_i32_e32 v4, 31, v4
	v_and_b32_e32 v79, v79, v81
	v_xor_b32_e32 v81, vcc_hi, v4
	v_xor_b32_e32 v4, vcc_lo, v4
	v_and_b32_e32 v14, v14, v4
	v_lshlrev_b32_e32 v4, 28, v13
	v_cmp_gt_i64_e32 vcc, 0, v[3:4]
	v_not_b32_e32 v4, v4
	v_ashrrev_i32_e32 v4, 31, v4
	v_and_b32_e32 v79, v79, v81
	;; [unrolled: 8-line block ×5, first 2 shown]
	v_xor_b32_e32 v81, vcc_hi, v4
	v_xor_b32_e32 v4, vcc_lo, v4
	v_and_b32_e32 v79, v79, v81
	v_and_b32_e32 v81, v14, v4
	v_lshlrev_b32_e32 v4, 24, v13
	v_cmp_gt_i64_e32 vcc, 0, v[3:4]
	v_not_b32_e32 v4, v4
	v_ashrrev_i32_e32 v4, 31, v4
	v_mul_u32_u24_e32 v80, 20, v13
	v_xor_b32_e32 v13, vcc_hi, v4
	v_xor_b32_e32 v4, vcc_lo, v4
	v_and_b32_e32 v14, v79, v13
	v_and_b32_e32 v13, v81, v4
	v_mbcnt_lo_u32_b32 v4, v13, 0
	v_mbcnt_hi_u32_b32 v79, v14, v4
	v_cmp_ne_u64_e32 vcc, 0, v[13:14]
	v_cmp_eq_u32_e64 s[36:37], 0, v79
	s_and_b64 s[38:39], vcc, s[36:37]
	v_add_u32_e32 v82, v71, v80
	; wave barrier
	s_and_saveexec_b64 s[36:37], s[38:39]
	s_cbranch_execz .LBB427_170
; %bb.169:                              ;   in Loop: Header=BB427_156 Depth=2
	v_bcnt_u32_b32 v4, v13, 0
	v_bcnt_u32_b32 v4, v14, v4
	s_waitcnt lgkmcnt(0)
	v_add_u32_e32 v4, v77, v4
	ds_write_b32 v82, v4 offset:1040
.LBB427_170:                            ;   in Loop: Header=BB427_156 Depth=2
	s_or_b64 exec, exec, s[36:37]
	v_xor_b32_e32 v80, 0xffffff80, v16
	v_lshrrev_b32_sdwa v4, s58, v80 dst_sel:DWORD dst_unused:UNUSED_PAD src0_sel:DWORD src1_sel:BYTE_0
	v_and_b32_e32 v13, s59, v4
	v_mad_u32_u24 v4, v13, 20, v71
	; wave barrier
	ds_read_b32 v81, v4 offset:1040
	v_and_b32_e32 v4, 1, v13
	v_add_co_u32_e32 v14, vcc, -1, v4
	v_addc_co_u32_e64 v83, s[36:37], 0, -1, vcc
	v_cmp_ne_u32_e32 vcc, 0, v4
	v_xor_b32_e32 v4, vcc_hi, v83
	v_and_b32_e32 v83, exec_hi, v4
	v_lshlrev_b32_e32 v4, 30, v13
	v_xor_b32_e32 v14, vcc_lo, v14
	v_cmp_gt_i64_e32 vcc, 0, v[3:4]
	v_not_b32_e32 v4, v4
	v_ashrrev_i32_e32 v4, 31, v4
	v_and_b32_e32 v14, exec_lo, v14
	v_xor_b32_e32 v84, vcc_hi, v4
	v_xor_b32_e32 v4, vcc_lo, v4
	v_and_b32_e32 v14, v14, v4
	v_lshlrev_b32_e32 v4, 29, v13
	v_cmp_gt_i64_e32 vcc, 0, v[3:4]
	v_not_b32_e32 v4, v4
	v_ashrrev_i32_e32 v4, 31, v4
	v_and_b32_e32 v83, v83, v84
	v_xor_b32_e32 v84, vcc_hi, v4
	v_xor_b32_e32 v4, vcc_lo, v4
	v_and_b32_e32 v14, v14, v4
	v_lshlrev_b32_e32 v4, 28, v13
	v_cmp_gt_i64_e32 vcc, 0, v[3:4]
	v_not_b32_e32 v4, v4
	v_ashrrev_i32_e32 v4, 31, v4
	v_and_b32_e32 v83, v83, v84
	;; [unrolled: 8-line block ×5, first 2 shown]
	v_xor_b32_e32 v84, vcc_hi, v4
	v_xor_b32_e32 v4, vcc_lo, v4
	v_and_b32_e32 v83, v83, v84
	v_and_b32_e32 v84, v14, v4
	v_lshlrev_b32_e32 v4, 24, v13
	v_cmp_gt_i64_e32 vcc, 0, v[3:4]
	v_not_b32_e32 v4, v4
	v_ashrrev_i32_e32 v4, 31, v4
	v_mul_u32_u24_e32 v16, 20, v13
	v_xor_b32_e32 v13, vcc_hi, v4
	v_xor_b32_e32 v4, vcc_lo, v4
	v_and_b32_e32 v14, v83, v13
	v_and_b32_e32 v13, v84, v4
	v_mbcnt_lo_u32_b32 v4, v13, 0
	v_mbcnt_hi_u32_b32 v83, v14, v4
	v_cmp_ne_u64_e32 vcc, 0, v[13:14]
	v_cmp_eq_u32_e64 s[36:37], 0, v83
	s_and_b64 s[38:39], vcc, s[36:37]
	v_add_u32_e32 v86, v71, v16
	; wave barrier
	s_and_saveexec_b64 s[36:37], s[38:39]
	s_cbranch_execz .LBB427_172
; %bb.171:                              ;   in Loop: Header=BB427_156 Depth=2
	v_bcnt_u32_b32 v4, v13, 0
	v_bcnt_u32_b32 v4, v14, v4
	s_waitcnt lgkmcnt(0)
	v_add_u32_e32 v4, v81, v4
	ds_write_b32 v86, v4 offset:1040
.LBB427_172:                            ;   in Loop: Header=BB427_156 Depth=2
	s_or_b64 exec, exec, s[36:37]
	v_xor_b32_e32 v84, 0xffffff80, v15
	v_lshrrev_b32_sdwa v4, s58, v84 dst_sel:DWORD dst_unused:UNUSED_PAD src0_sel:DWORD src1_sel:BYTE_0
	v_and_b32_e32 v13, s59, v4
	v_mad_u32_u24 v4, v13, 20, v71
	; wave barrier
	ds_read_b32 v85, v4 offset:1040
	v_and_b32_e32 v4, 1, v13
	v_add_co_u32_e32 v14, vcc, -1, v4
	v_addc_co_u32_e64 v16, s[36:37], 0, -1, vcc
	v_cmp_ne_u32_e32 vcc, 0, v4
	v_xor_b32_e32 v4, vcc_hi, v16
	v_and_b32_e32 v16, exec_hi, v4
	v_lshlrev_b32_e32 v4, 30, v13
	v_xor_b32_e32 v14, vcc_lo, v14
	v_cmp_gt_i64_e32 vcc, 0, v[3:4]
	v_not_b32_e32 v4, v4
	v_ashrrev_i32_e32 v4, 31, v4
	v_and_b32_e32 v14, exec_lo, v14
	v_xor_b32_e32 v87, vcc_hi, v4
	v_xor_b32_e32 v4, vcc_lo, v4
	v_and_b32_e32 v14, v14, v4
	v_lshlrev_b32_e32 v4, 29, v13
	v_cmp_gt_i64_e32 vcc, 0, v[3:4]
	v_not_b32_e32 v4, v4
	v_ashrrev_i32_e32 v4, 31, v4
	v_and_b32_e32 v16, v16, v87
	v_xor_b32_e32 v87, vcc_hi, v4
	v_xor_b32_e32 v4, vcc_lo, v4
	v_and_b32_e32 v14, v14, v4
	v_lshlrev_b32_e32 v4, 28, v13
	v_cmp_gt_i64_e32 vcc, 0, v[3:4]
	v_not_b32_e32 v4, v4
	v_ashrrev_i32_e32 v4, 31, v4
	v_and_b32_e32 v16, v16, v87
	;; [unrolled: 8-line block ×5, first 2 shown]
	v_xor_b32_e32 v87, vcc_hi, v4
	v_xor_b32_e32 v4, vcc_lo, v4
	v_and_b32_e32 v16, v16, v87
	v_and_b32_e32 v87, v14, v4
	v_lshlrev_b32_e32 v4, 24, v13
	v_cmp_gt_i64_e32 vcc, 0, v[3:4]
	v_not_b32_e32 v4, v4
	v_ashrrev_i32_e32 v4, 31, v4
	v_mul_u32_u24_e32 v15, 20, v13
	v_xor_b32_e32 v13, vcc_hi, v4
	v_xor_b32_e32 v4, vcc_lo, v4
	v_and_b32_e32 v14, v16, v13
	v_and_b32_e32 v13, v87, v4
	v_mbcnt_lo_u32_b32 v4, v13, 0
	v_mbcnt_hi_u32_b32 v4, v14, v4
	v_cmp_ne_u64_e32 vcc, 0, v[13:14]
	v_cmp_eq_u32_e64 s[36:37], 0, v4
	s_and_b64 s[38:39], vcc, s[36:37]
	v_add_u32_e32 v87, v71, v15
	; wave barrier
	s_and_saveexec_b64 s[36:37], s[38:39]
	s_cbranch_execz .LBB427_174
; %bb.173:                              ;   in Loop: Header=BB427_156 Depth=2
	v_bcnt_u32_b32 v13, v13, 0
	v_bcnt_u32_b32 v13, v14, v13
	s_waitcnt lgkmcnt(0)
	v_add_u32_e32 v13, v85, v13
	ds_write_b32 v87, v13 offset:1040
.LBB427_174:                            ;   in Loop: Header=BB427_156 Depth=2
	s_or_b64 exec, exec, s[36:37]
	; wave barrier
	s_waitcnt lgkmcnt(0)
	s_barrier
	ds_read2_b32 v[15:16], v53 offset1:1
	ds_read2_b32 v[13:14], v54 offset1:1
	ds_read_b32 v88, v50 offset:1056
	s_waitcnt lgkmcnt(1)
	v_add3_u32 v89, v16, v15, v13
	s_waitcnt lgkmcnt(0)
	v_add3_u32 v88, v89, v14, v88
	s_nop 1
	v_mov_b32_dpp v89, v88 row_shr:1 row_mask:0xf bank_mask:0xf
	v_cndmask_b32_e64 v89, v89, 0, s[16:17]
	v_add_u32_e32 v88, v89, v88
	s_nop 1
	v_mov_b32_dpp v89, v88 row_shr:2 row_mask:0xf bank_mask:0xf
	v_cndmask_b32_e64 v89, 0, v89, s[18:19]
	v_add_u32_e32 v88, v88, v89
	;; [unrolled: 4-line block ×4, first 2 shown]
	s_nop 1
	v_mov_b32_dpp v89, v88 row_bcast:15 row_mask:0xf bank_mask:0xf
	v_cndmask_b32_e64 v89, v89, 0, s[24:25]
	v_add_u32_e32 v88, v88, v89
	s_nop 1
	v_mov_b32_dpp v89, v88 row_bcast:31 row_mask:0xf bank_mask:0xf
	v_cndmask_b32_e64 v89, 0, v89, s[26:27]
	v_add_u32_e32 v88, v88, v89
	s_and_saveexec_b64 s[36:37], s[6:7]
; %bb.175:                              ;   in Loop: Header=BB427_156 Depth=2
	ds_write_b32 v26, v88 offset:1024
; %bb.176:                              ;   in Loop: Header=BB427_156 Depth=2
	s_or_b64 exec, exec, s[36:37]
	s_waitcnt lgkmcnt(0)
	s_barrier
	s_and_saveexec_b64 s[36:37], s[8:9]
	s_cbranch_execz .LBB427_178
; %bb.177:                              ;   in Loop: Header=BB427_156 Depth=2
	v_add_u32_e32 v89, v50, v28
	ds_read_b32 v90, v89 offset:1024
	s_waitcnt lgkmcnt(0)
	s_nop 0
	v_mov_b32_dpp v91, v90 row_shr:1 row_mask:0xf bank_mask:0xf
	v_cndmask_b32_e64 v91, v91, 0, s[30:31]
	v_add_u32_e32 v90, v91, v90
	s_nop 1
	v_mov_b32_dpp v91, v90 row_shr:2 row_mask:0xf bank_mask:0xf
	v_cndmask_b32_e64 v91, 0, v91, s[34:35]
	v_add_u32_e32 v90, v90, v91
	ds_write_b32 v89, v90 offset:1024
.LBB427_178:                            ;   in Loop: Header=BB427_156 Depth=2
	s_or_b64 exec, exec, s[36:37]
	v_mov_b32_e32 v89, 0
	s_waitcnt lgkmcnt(0)
	s_barrier
	s_and_saveexec_b64 s[36:37], s[10:11]
; %bb.179:                              ;   in Loop: Header=BB427_156 Depth=2
	ds_read_b32 v89, v26 offset:1020
; %bb.180:                              ;   in Loop: Header=BB427_156 Depth=2
	s_or_b64 exec, exec, s[36:37]
	s_waitcnt lgkmcnt(0)
	v_add_u32_e32 v88, v89, v88
	ds_bpermute_b32 v88, v64, v88
	s_waitcnt lgkmcnt(0)
	v_cndmask_b32_e64 v88, v88, v89, s[28:29]
	v_cndmask_b32_e64 v88, v88, 0, s[12:13]
	v_add_u32_e32 v15, v88, v15
	v_add_u32_e32 v16, v15, v16
	;; [unrolled: 1-line block ×4, first 2 shown]
	ds_write2_b32 v53, v88, v15 offset1:1
	ds_write2_b32 v54, v16, v13 offset1:1
	ds_write_b32 v50, v14 offset:1056
	s_waitcnt lgkmcnt(0)
	s_barrier
	ds_read_b32 v13, v78 offset:1040
	ds_read_b32 v14, v82 offset:1040
	;; [unrolled: 1-line block ×5, first 2 shown]
	v_mov_b32_e32 v78, 0x400
	s_and_saveexec_b64 s[36:37], s[14:15]
; %bb.181:                              ;   in Loop: Header=BB427_156 Depth=2
	ds_read_b32 v78, v50 offset:1060
; %bb.182:                              ;   in Loop: Header=BB427_156 Depth=2
	s_or_b64 exec, exec, s[36:37]
	s_waitcnt lgkmcnt(0)
	s_barrier
	s_and_saveexec_b64 s[36:37], s[4:5]
	s_cbranch_execz .LBB427_184
; %bb.183:                              ;   in Loop: Header=BB427_156 Depth=2
	ds_read_b32 v86, v18
	s_waitcnt lgkmcnt(0)
	v_sub_u32_e32 v15, v86, v15
	ds_write_b32 v18, v15
.LBB427_184:                            ;   in Loop: Header=BB427_156 Depth=2
	s_or_b64 exec, exec, s[36:37]
	v_add_u32_e32 v15, v13, v75
	v_add3_u32 v14, v79, v77, v14
	v_add3_u32 v13, v83, v81, v16
	;; [unrolled: 1-line block ×3, first 2 shown]
	v_cmp_lt_u32_e64 s[40:41], v0, v74
	ds_write_b8 v15, v17 offset:1024
	ds_write_b8 v14, v76 offset:1024
	;; [unrolled: 1-line block ×4, first 2 shown]
	s_waitcnt lgkmcnt(0)
	s_barrier
	s_and_saveexec_b64 s[36:37], s[40:41]
	s_cbranch_execnz .LBB427_205
; %bb.185:                              ;   in Loop: Header=BB427_156 Depth=2
	s_or_b64 exec, exec, s[36:37]
	v_cmp_lt_u32_e64 s[38:39], v19, v74
	s_and_saveexec_b64 s[36:37], s[38:39]
	s_cbranch_execnz .LBB427_206
.LBB427_186:                            ;   in Loop: Header=BB427_156 Depth=2
	s_or_b64 exec, exec, s[36:37]
	v_cmp_lt_u32_e64 s[36:37], v20, v74
	s_and_saveexec_b64 s[42:43], s[36:37]
	s_cbranch_execnz .LBB427_207
.LBB427_187:                            ;   in Loop: Header=BB427_156 Depth=2
	s_or_b64 exec, exec, s[42:43]
	v_cmp_lt_u32_e32 vcc, v21, v74
	s_and_saveexec_b64 s[42:43], vcc
	s_cbranch_execz .LBB427_189
.LBB427_188:                            ;   in Loop: Header=BB427_156 Depth=2
	ds_read_u8 v16, v0 offset:1792
	s_waitcnt lgkmcnt(0)
	v_lshrrev_b32_sdwa v17, s58, v16 dst_sel:DWORD dst_unused:UNUSED_PAD src0_sel:DWORD src1_sel:BYTE_0
	v_and_b32_e32 v17, s59, v17
	v_lshlrev_b32_e32 v17, 2, v17
	ds_read_b32 v17, v17
	v_xor_b32_e32 v16, 0x80, v16
	s_waitcnt lgkmcnt(0)
	v_add_u32_e32 v17, v17, v21
	global_store_byte v17, v16, s[68:69]
.LBB427_189:                            ;   in Loop: Header=BB427_156 Depth=2
	s_or_b64 exec, exec, s[42:43]
	s_lshl_b64 s[42:43], s[46:47], 3
	v_mov_b32_e32 v17, s43
	v_add_co_u32_e64 v16, s[42:43], s42, v65
	v_addc_co_u32_e64 v17, s[42:43], v66, v17, s[42:43]
	v_cmp_lt_u32_e64 s[42:43], v47, v74
	s_and_saveexec_b64 s[56:57], s[42:43]
	s_xor_b64 s[42:43], exec, s[56:57]
	s_cbranch_execnz .LBB427_208
; %bb.190:                              ;   in Loop: Header=BB427_156 Depth=2
	s_or_b64 exec, exec, s[42:43]
	v_cmp_lt_u32_e64 s[42:43], v61, v74
	s_and_saveexec_b64 s[56:57], s[42:43]
	s_cbranch_execnz .LBB427_209
.LBB427_191:                            ;   in Loop: Header=BB427_156 Depth=2
	s_or_b64 exec, exec, s[56:57]
	v_cmp_lt_u32_e64 s[42:43], v62, v74
	s_and_saveexec_b64 s[56:57], s[42:43]
	s_cbranch_execnz .LBB427_210
.LBB427_192:                            ;   in Loop: Header=BB427_156 Depth=2
	s_or_b64 exec, exec, s[56:57]
	v_cmp_lt_u32_e64 s[42:43], v63, v74
	s_and_saveexec_b64 s[56:57], s[42:43]
	s_cbranch_execnz .LBB427_211
.LBB427_193:                            ;   in Loop: Header=BB427_156 Depth=2
	s_or_b64 exec, exec, s[56:57]
	s_and_saveexec_b64 s[42:43], s[40:41]
	s_cbranch_execnz .LBB427_212
.LBB427_194:                            ;   in Loop: Header=BB427_156 Depth=2
	s_or_b64 exec, exec, s[42:43]
	s_and_saveexec_b64 s[42:43], s[38:39]
	s_cbranch_execnz .LBB427_213
.LBB427_195:                            ;   in Loop: Header=BB427_156 Depth=2
	s_or_b64 exec, exec, s[42:43]
	s_and_saveexec_b64 s[42:43], s[36:37]
	s_cbranch_execnz .LBB427_214
.LBB427_196:                            ;   in Loop: Header=BB427_156 Depth=2
	s_or_b64 exec, exec, s[42:43]
	s_and_saveexec_b64 s[42:43], vcc
	s_cbranch_execz .LBB427_198
.LBB427_197:                            ;   in Loop: Header=BB427_156 Depth=2
	ds_read_u8 v16, v0 offset:1792
	s_waitcnt lgkmcnt(0)
	v_lshrrev_b32_e32 v16, s58, v16
	v_and_b32_e32 v69, s59, v16
.LBB427_198:                            ;   in Loop: Header=BB427_156 Depth=2
	s_or_b64 exec, exec, s[42:43]
	v_mad_u64_u32 v[15:16], s[42:43], v15, 7, v[15:16]
	s_waitcnt vmcnt(0)
	v_mad_u64_u32 v[74:75], s[42:43], v4, 7, v[4:5]
	v_mad_u64_u32 v[16:17], s[42:43], v14, 7, v[14:15]
	;; [unrolled: 1-line block ×3, first 2 shown]
	s_barrier
	ds_write_b64 v15, v[11:12] offset:1024
	ds_write_b64 v16, v[9:10] offset:1024
	;; [unrolled: 1-line block ×4, first 2 shown]
	s_waitcnt lgkmcnt(0)
	s_barrier
	s_and_saveexec_b64 s[42:43], s[40:41]
	s_cbranch_execnz .LBB427_215
; %bb.199:                              ;   in Loop: Header=BB427_156 Depth=2
	s_or_b64 exec, exec, s[42:43]
	s_and_saveexec_b64 s[40:41], s[38:39]
	s_cbranch_execnz .LBB427_216
.LBB427_200:                            ;   in Loop: Header=BB427_156 Depth=2
	s_or_b64 exec, exec, s[40:41]
	s_and_saveexec_b64 s[38:39], s[36:37]
	s_cbranch_execnz .LBB427_217
.LBB427_201:                            ;   in Loop: Header=BB427_156 Depth=2
	s_or_b64 exec, exec, s[38:39]
	s_and_saveexec_b64 s[36:37], vcc
	s_cbranch_execz .LBB427_203
.LBB427_202:                            ;   in Loop: Header=BB427_156 Depth=2
	v_lshlrev_b32_e32 v4, 2, v69
	ds_read_b32 v4, v4
	v_add_u32_e32 v13, v0, v51
	ds_read_b64 v[13:14], v13 offset:7168
	v_mov_b32_e32 v16, v3
	v_mov_b32_e32 v17, s55
	s_waitcnt lgkmcnt(1)
	v_add_u32_e32 v15, v4, v21
	v_lshlrev_b64 v[15:16], 3, v[15:16]
	v_add_co_u32_e32 v15, vcc, s54, v15
	v_addc_co_u32_e32 v16, vcc, v17, v16, vcc
	s_waitcnt lgkmcnt(0)
	global_store_dwordx2 v[15:16], v[13:14], off
.LBB427_203:                            ;   in Loop: Header=BB427_156 Depth=2
	s_or_b64 exec, exec, s[36:37]
	s_waitcnt vmcnt(0)
	s_barrier
	s_and_saveexec_b64 s[36:37], s[4:5]
	s_cbranch_execz .LBB427_155
; %bb.204:                              ;   in Loop: Header=BB427_156 Depth=2
	ds_read_b32 v4, v18
	s_waitcnt lgkmcnt(0)
	v_add_u32_e32 v4, v4, v78
	ds_write_b32 v18, v4
	s_branch .LBB427_155
.LBB427_205:                            ;   in Loop: Header=BB427_156 Depth=2
	ds_read_u8 v16, v0 offset:1024
	s_waitcnt lgkmcnt(0)
	v_lshrrev_b32_sdwa v17, s58, v16 dst_sel:DWORD dst_unused:UNUSED_PAD src0_sel:DWORD src1_sel:BYTE_0
	v_and_b32_e32 v17, s59, v17
	v_lshlrev_b32_e32 v17, 2, v17
	ds_read_b32 v17, v17
	v_xor_b32_e32 v16, 0x80, v16
	s_waitcnt lgkmcnt(0)
	v_add_u32_e32 v17, v17, v0
	global_store_byte v17, v16, s[68:69]
	s_or_b64 exec, exec, s[36:37]
	v_cmp_lt_u32_e64 s[38:39], v19, v74
	s_and_saveexec_b64 s[36:37], s[38:39]
	s_cbranch_execz .LBB427_186
.LBB427_206:                            ;   in Loop: Header=BB427_156 Depth=2
	ds_read_u8 v16, v0 offset:1280
	s_waitcnt lgkmcnt(0)
	v_lshrrev_b32_sdwa v17, s58, v16 dst_sel:DWORD dst_unused:UNUSED_PAD src0_sel:DWORD src1_sel:BYTE_0
	v_and_b32_e32 v17, s59, v17
	v_lshlrev_b32_e32 v17, 2, v17
	ds_read_b32 v17, v17
	v_xor_b32_e32 v16, 0x80, v16
	s_waitcnt lgkmcnt(0)
	v_add_u32_e32 v17, v17, v19
	global_store_byte v17, v16, s[68:69]
	s_or_b64 exec, exec, s[36:37]
	v_cmp_lt_u32_e64 s[36:37], v20, v74
	s_and_saveexec_b64 s[42:43], s[36:37]
	s_cbranch_execz .LBB427_187
.LBB427_207:                            ;   in Loop: Header=BB427_156 Depth=2
	ds_read_u8 v16, v0 offset:1536
	s_waitcnt lgkmcnt(0)
	v_lshrrev_b32_sdwa v17, s58, v16 dst_sel:DWORD dst_unused:UNUSED_PAD src0_sel:DWORD src1_sel:BYTE_0
	v_and_b32_e32 v17, s59, v17
	v_lshlrev_b32_e32 v17, 2, v17
	ds_read_b32 v17, v17
	v_xor_b32_e32 v16, 0x80, v16
	s_waitcnt lgkmcnt(0)
	v_add_u32_e32 v17, v17, v20
	global_store_byte v17, v16, s[68:69]
	s_or_b64 exec, exec, s[42:43]
	v_cmp_lt_u32_e32 vcc, v21, v74
	s_and_saveexec_b64 s[42:43], vcc
	s_cbranch_execnz .LBB427_188
	s_branch .LBB427_189
.LBB427_208:                            ;   in Loop: Header=BB427_156 Depth=2
	global_load_dwordx2 v[11:12], v[16:17], off
	s_or_b64 exec, exec, s[42:43]
	v_cmp_lt_u32_e64 s[42:43], v61, v74
	s_and_saveexec_b64 s[56:57], s[42:43]
	s_cbranch_execz .LBB427_191
.LBB427_209:                            ;   in Loop: Header=BB427_156 Depth=2
	global_load_dwordx2 v[9:10], v[16:17], off offset:512
	s_or_b64 exec, exec, s[56:57]
	v_cmp_lt_u32_e64 s[42:43], v62, v74
	s_and_saveexec_b64 s[56:57], s[42:43]
	s_cbranch_execz .LBB427_192
.LBB427_210:                            ;   in Loop: Header=BB427_156 Depth=2
	global_load_dwordx2 v[7:8], v[16:17], off offset:1024
	s_or_b64 exec, exec, s[56:57]
	v_cmp_lt_u32_e64 s[42:43], v63, v74
	s_and_saveexec_b64 s[56:57], s[42:43]
	s_cbranch_execz .LBB427_193
.LBB427_211:                            ;   in Loop: Header=BB427_156 Depth=2
	global_load_dwordx2 v[5:6], v[16:17], off offset:1536
	s_or_b64 exec, exec, s[56:57]
	s_and_saveexec_b64 s[42:43], s[40:41]
	s_cbranch_execz .LBB427_194
.LBB427_212:                            ;   in Loop: Header=BB427_156 Depth=2
	ds_read_u8 v16, v0 offset:1024
	s_waitcnt lgkmcnt(0)
	v_lshrrev_b32_e32 v16, s58, v16
	v_and_b32_e32 v73, s59, v16
	s_or_b64 exec, exec, s[42:43]
	s_and_saveexec_b64 s[42:43], s[38:39]
	s_cbranch_execz .LBB427_195
.LBB427_213:                            ;   in Loop: Header=BB427_156 Depth=2
	ds_read_u8 v16, v0 offset:1280
	s_waitcnt lgkmcnt(0)
	v_lshrrev_b32_e32 v16, s58, v16
	v_and_b32_e32 v72, s59, v16
	s_or_b64 exec, exec, s[42:43]
	s_and_saveexec_b64 s[42:43], s[36:37]
	s_cbranch_execz .LBB427_196
.LBB427_214:                            ;   in Loop: Header=BB427_156 Depth=2
	ds_read_u8 v16, v0 offset:1536
	s_waitcnt lgkmcnt(0)
	v_lshrrev_b32_e32 v16, s58, v16
	v_and_b32_e32 v70, s59, v16
	s_or_b64 exec, exec, s[42:43]
	s_and_saveexec_b64 s[42:43], vcc
	s_cbranch_execnz .LBB427_197
	s_branch .LBB427_198
.LBB427_215:                            ;   in Loop: Header=BB427_156 Depth=2
	v_lshlrev_b32_e32 v4, 2, v73
	ds_read_b32 v4, v4
	v_add_u32_e32 v13, v0, v51
	ds_read_b64 v[13:14], v13 offset:1024
	v_mov_b32_e32 v16, v3
	v_mov_b32_e32 v17, s55
	s_waitcnt lgkmcnt(1)
	v_add_u32_e32 v15, v4, v0
	v_lshlrev_b64 v[15:16], 3, v[15:16]
	v_add_co_u32_e64 v15, s[40:41], s54, v15
	v_addc_co_u32_e64 v16, s[40:41], v17, v16, s[40:41]
	s_waitcnt lgkmcnt(0)
	global_store_dwordx2 v[15:16], v[13:14], off
	s_or_b64 exec, exec, s[42:43]
	s_and_saveexec_b64 s[40:41], s[38:39]
	s_cbranch_execz .LBB427_200
.LBB427_216:                            ;   in Loop: Header=BB427_156 Depth=2
	v_lshlrev_b32_e32 v4, 2, v72
	ds_read_b32 v4, v4
	v_add_u32_e32 v13, v0, v51
	ds_read_b64 v[13:14], v13 offset:3072
	v_mov_b32_e32 v16, v3
	v_mov_b32_e32 v17, s55
	s_waitcnt lgkmcnt(1)
	v_add_u32_e32 v15, v4, v19
	v_lshlrev_b64 v[15:16], 3, v[15:16]
	v_add_co_u32_e64 v15, s[38:39], s54, v15
	v_addc_co_u32_e64 v16, s[38:39], v17, v16, s[38:39]
	s_waitcnt lgkmcnt(0)
	global_store_dwordx2 v[15:16], v[13:14], off
	s_or_b64 exec, exec, s[40:41]
	s_and_saveexec_b64 s[38:39], s[36:37]
	s_cbranch_execz .LBB427_201
.LBB427_217:                            ;   in Loop: Header=BB427_156 Depth=2
	v_lshlrev_b32_e32 v4, 2, v70
	ds_read_b32 v4, v4
	v_add_u32_e32 v13, v0, v51
	ds_read_b64 v[13:14], v13 offset:5120
	v_mov_b32_e32 v16, v3
	v_mov_b32_e32 v17, s55
	s_waitcnt lgkmcnt(1)
	v_add_u32_e32 v15, v4, v20
	v_lshlrev_b64 v[15:16], 3, v[15:16]
	v_add_co_u32_e64 v15, s[36:37], s54, v15
	v_addc_co_u32_e64 v16, s[36:37], v17, v16, s[36:37]
	s_waitcnt lgkmcnt(0)
	global_store_dwordx2 v[15:16], v[13:14], off
	s_or_b64 exec, exec, s[38:39]
	s_and_saveexec_b64 s[36:37], vcc
	s_cbranch_execnz .LBB427_202
	s_branch .LBB427_203
.LBB427_218:                            ;   in Loop: Header=BB427_156 Depth=2
	global_load_ubyte v4, v[13:14], off
	v_mov_b32_e32 v15, 0x7f
	v_mov_b32_e32 v76, 0x7f
	;; [unrolled: 1-line block ×3, first 2 shown]
	s_or_b64 exec, exec, s[36:37]
	v_cmp_gt_u32_e32 vcc, s60, v61
	s_and_saveexec_b64 s[36:37], vcc
	s_cbranch_execz .LBB427_161
.LBB427_219:                            ;   in Loop: Header=BB427_156 Depth=2
	global_load_ubyte v76, v[13:14], off offset:64
	s_or_b64 exec, exec, s[36:37]
	v_cmp_gt_u32_e32 vcc, s60, v62
	s_and_saveexec_b64 s[36:37], vcc
	s_cbranch_execnz .LBB427_162
	s_branch .LBB427_163
.LBB427_220:                            ;   in Loop: Header=BB427_20 Depth=1
	s_waitcnt lgkmcnt(0)
	s_barrier
.LBB427_221:                            ;   in Loop: Header=BB427_20 Depth=1
	s_mov_b64 s[16:17], 0
.LBB427_222:                            ;   in Loop: Header=BB427_20 Depth=1
	s_andn2_b64 vcc, exec, s[16:17]
	s_cbranch_vccnz .LBB427_19
; %bb.223:                              ;   in Loop: Header=BB427_20 Depth=1
	s_mov_b64 s[16:17], -1
	s_and_b64 vcc, exec, s[50:51]
	s_cbranch_vccz .LBB427_323
; %bb.224:                              ;   in Loop: Header=BB427_20 Depth=1
	v_mov_b32_e32 v4, 0
	s_mov_b32 s18, s75
	s_mov_b32 s20, s49
	v_mov_b32_e32 v7, 0
	v_mov_b32_e32 v6, 0
	v_mov_b32_e32 v5, 0
	s_barrier
	s_branch .LBB427_226
.LBB427_225:                            ;   in Loop: Header=BB427_226 Depth=2
	s_or_b64 exec, exec, s[16:17]
	s_addk_i32 s18, 0xfc00
	s_cmp_ge_u32 s19, s76
	s_mov_b32 s20, s19
	s_cbranch_scc1 .LBB427_246
.LBB427_226:                            ;   Parent Loop BB427_20 Depth=1
                                        ; =>  This Inner Loop Header: Depth=2
	s_add_i32 s19, s20, 0x400
	s_cmp_gt_u32 s19, s76
	s_mov_b64 s[16:17], -1
                                        ; implicit-def: $vgpr8
                                        ; implicit-def: $vgpr9
                                        ; implicit-def: $vgpr10
                                        ; implicit-def: $vgpr11
	s_cbranch_scc1 .LBB427_228
; %bb.227:                              ;   in Loop: Header=BB427_226 Depth=2
	v_add_co_u32_e32 v12, vcc, s20, v39
	v_addc_co_u32_e32 v13, vcc, 0, v40, vcc
	global_load_ubyte v11, v[12:13], off offset:768
	global_load_ubyte v10, v[12:13], off offset:512
	;; [unrolled: 1-line block ×3, first 2 shown]
	global_load_ubyte v8, v[12:13], off
	s_mov_b64 s[16:17], 0
.LBB427_228:                            ;   in Loop: Header=BB427_226 Depth=2
	s_andn2_b64 vcc, exec, s[16:17]
	s_movk_i32 s21, 0x400
	s_cbranch_vccnz .LBB427_235
; %bb.229:                              ;   in Loop: Header=BB427_226 Depth=2
	s_add_u32 s20, s64, s20
	s_addc_u32 s21, s65, 0
	v_cmp_gt_u32_e32 vcc, s18, v0
	s_and_saveexec_b64 s[16:17], vcc
	s_cbranch_execnz .LBB427_243
; %bb.230:                              ;   in Loop: Header=BB427_226 Depth=2
	s_or_b64 exec, exec, s[16:17]
	v_cmp_gt_u32_e32 vcc, s18, v19
	s_and_saveexec_b64 s[16:17], vcc
	s_cbranch_execnz .LBB427_244
.LBB427_231:                            ;   in Loop: Header=BB427_226 Depth=2
	s_or_b64 exec, exec, s[16:17]
	v_cmp_gt_u32_e32 vcc, s18, v20
	s_and_saveexec_b64 s[16:17], vcc
	s_cbranch_execnz .LBB427_245
.LBB427_232:                            ;   in Loop: Header=BB427_226 Depth=2
	s_or_b64 exec, exec, s[16:17]
	v_cmp_gt_u32_e32 vcc, s18, v21
	s_and_saveexec_b64 s[16:17], vcc
	s_cbranch_execz .LBB427_234
.LBB427_233:                            ;   in Loop: Header=BB427_226 Depth=2
	v_mov_b32_e32 v5, s21
	s_waitcnt vmcnt(0)
	v_add_co_u32_e32 v8, vcc, s20, v0
	v_addc_co_u32_e32 v9, vcc, 0, v5, vcc
	global_load_ubyte v5, v[8:9], off offset:768
.LBB427_234:                            ;   in Loop: Header=BB427_226 Depth=2
	s_or_b64 exec, exec, s[16:17]
	s_mov_b32 s21, s18
	s_waitcnt vmcnt(0)
	v_mov_b32_e32 v8, v4
	v_mov_b32_e32 v9, v7
	v_mov_b32_e32 v10, v6
	v_mov_b32_e32 v11, v5
.LBB427_235:                            ;   in Loop: Header=BB427_226 Depth=2
	s_waitcnt vmcnt(3)
	v_mov_b32_e32 v5, v11
	s_waitcnt vmcnt(2)
	v_mov_b32_e32 v6, v10
	;; [unrolled: 2-line block ×4, first 2 shown]
	v_cmp_gt_u32_e32 vcc, s21, v0
	s_and_saveexec_b64 s[16:17], vcc
	s_cbranch_execnz .LBB427_239
; %bb.236:                              ;   in Loop: Header=BB427_226 Depth=2
	s_or_b64 exec, exec, s[16:17]
	v_cmp_gt_u32_e32 vcc, s21, v19
	s_and_saveexec_b64 s[16:17], vcc
	s_cbranch_execnz .LBB427_240
.LBB427_237:                            ;   in Loop: Header=BB427_226 Depth=2
	s_or_b64 exec, exec, s[16:17]
	v_cmp_gt_u32_e32 vcc, s21, v20
	s_and_saveexec_b64 s[16:17], vcc
	s_cbranch_execnz .LBB427_241
.LBB427_238:                            ;   in Loop: Header=BB427_226 Depth=2
	s_or_b64 exec, exec, s[16:17]
	v_cmp_gt_u32_e32 vcc, s21, v21
	s_and_saveexec_b64 s[16:17], vcc
	s_cbranch_execz .LBB427_225
	s_branch .LBB427_242
.LBB427_239:                            ;   in Loop: Header=BB427_226 Depth=2
	v_xor_b32_e32 v8, 0x80, v4
	v_lshrrev_b32_sdwa v8, s73, v8 dst_sel:DWORD dst_unused:UNUSED_PAD src0_sel:DWORD src1_sel:BYTE_0
	v_and_b32_e32 v8, s59, v8
	v_lshl_or_b32 v8, v8, 4, v24
	ds_add_u32 v8, v52
	s_or_b64 exec, exec, s[16:17]
	v_cmp_gt_u32_e32 vcc, s21, v19
	s_and_saveexec_b64 s[16:17], vcc
	s_cbranch_execz .LBB427_237
.LBB427_240:                            ;   in Loop: Header=BB427_226 Depth=2
	v_xor_b32_e32 v8, 0x80, v7
	v_lshrrev_b32_sdwa v8, s73, v8 dst_sel:DWORD dst_unused:UNUSED_PAD src0_sel:DWORD src1_sel:BYTE_0
	v_and_b32_e32 v8, s59, v8
	v_lshl_or_b32 v8, v8, 4, v24
	ds_add_u32 v8, v52
	s_or_b64 exec, exec, s[16:17]
	v_cmp_gt_u32_e32 vcc, s21, v20
	s_and_saveexec_b64 s[16:17], vcc
	s_cbranch_execz .LBB427_238
.LBB427_241:                            ;   in Loop: Header=BB427_226 Depth=2
	v_xor_b32_e32 v8, 0x80, v6
	v_lshrrev_b32_sdwa v8, s73, v8 dst_sel:DWORD dst_unused:UNUSED_PAD src0_sel:DWORD src1_sel:BYTE_0
	v_and_b32_e32 v8, s59, v8
	v_lshl_or_b32 v8, v8, 4, v24
	ds_add_u32 v8, v52
	s_or_b64 exec, exec, s[16:17]
	v_cmp_gt_u32_e32 vcc, s21, v21
	s_and_saveexec_b64 s[16:17], vcc
	s_cbranch_execz .LBB427_225
.LBB427_242:                            ;   in Loop: Header=BB427_226 Depth=2
	v_xor_b32_e32 v8, 0x80, v5
	v_lshrrev_b32_sdwa v8, s73, v8 dst_sel:DWORD dst_unused:UNUSED_PAD src0_sel:DWORD src1_sel:BYTE_0
	v_and_b32_e32 v8, s59, v8
	v_lshl_or_b32 v8, v8, 4, v24
	ds_add_u32 v8, v52
	s_branch .LBB427_225
.LBB427_243:                            ;   in Loop: Header=BB427_226 Depth=2
	v_mov_b32_e32 v4, s21
	s_waitcnt vmcnt(0)
	v_add_co_u32_e32 v8, vcc, s20, v0
	v_addc_co_u32_e32 v9, vcc, 0, v4, vcc
	global_load_ubyte v4, v[8:9], off
	s_or_b64 exec, exec, s[16:17]
	v_cmp_gt_u32_e32 vcc, s18, v19
	s_and_saveexec_b64 s[16:17], vcc
	s_cbranch_execz .LBB427_231
.LBB427_244:                            ;   in Loop: Header=BB427_226 Depth=2
	s_waitcnt vmcnt(0)
	v_mov_b32_e32 v8, s21
	v_add_co_u32_e32 v7, vcc, s20, v0
	v_addc_co_u32_e32 v8, vcc, 0, v8, vcc
	global_load_ubyte v7, v[7:8], off offset:256
	s_or_b64 exec, exec, s[16:17]
	v_cmp_gt_u32_e32 vcc, s18, v20
	s_and_saveexec_b64 s[16:17], vcc
	s_cbranch_execz .LBB427_232
.LBB427_245:                            ;   in Loop: Header=BB427_226 Depth=2
	v_mov_b32_e32 v6, s21
	s_waitcnt vmcnt(0)
	v_add_co_u32_e32 v8, vcc, s20, v0
	v_addc_co_u32_e32 v9, vcc, 0, v6, vcc
	global_load_ubyte v6, v[8:9], off offset:512
	s_or_b64 exec, exec, s[16:17]
	v_cmp_gt_u32_e32 vcc, s18, v21
	s_and_saveexec_b64 s[16:17], vcc
	s_cbranch_execnz .LBB427_233
	s_branch .LBB427_234
.LBB427_246:                            ;   in Loop: Header=BB427_20 Depth=1
	v_mov_b32_e32 v4, 0
	s_waitcnt lgkmcnt(0)
	s_barrier
	s_and_saveexec_b64 s[16:17], s[4:5]
	s_cbranch_execz .LBB427_248
; %bb.247:                              ;   in Loop: Header=BB427_20 Depth=1
	ds_read2_b64 v[4:7], v25 offset1:1
	s_waitcnt lgkmcnt(0)
	v_add_u32_e32 v4, v5, v4
	v_add3_u32 v4, v4, v6, v7
.LBB427_248:                            ;   in Loop: Header=BB427_20 Depth=1
	s_or_b64 exec, exec, s[16:17]
	s_nop 0
	v_mov_b32_dpp v5, v4 row_shr:1 row_mask:0xf bank_mask:0xf
	v_cmp_eq_u32_e64 s[16:17], 0, v55
	v_cndmask_b32_e64 v5, v5, 0, s[16:17]
	v_add_u32_e32 v4, v5, v4
	v_cmp_lt_u32_e64 s[18:19], 1, v55
	v_cmp_lt_u32_e64 s[20:21], 3, v55
	v_mov_b32_dpp v5, v4 row_shr:2 row_mask:0xf bank_mask:0xf
	v_cndmask_b32_e64 v5, 0, v5, s[18:19]
	v_add_u32_e32 v4, v4, v5
	v_cmp_lt_u32_e64 s[22:23], 7, v55
	v_cmp_lt_u32_e64 s[26:27], 31, v45
	v_mov_b32_dpp v5, v4 row_shr:4 row_mask:0xf bank_mask:0xf
	v_cndmask_b32_e64 v5, 0, v5, s[20:21]
	v_add_u32_e32 v4, v4, v5
	v_cmp_eq_u32_e64 s[24:25], 0, v57
	s_nop 0
	v_mov_b32_dpp v5, v4 row_shr:8 row_mask:0xf bank_mask:0xf
	v_cndmask_b32_e64 v5, 0, v5, s[22:23]
	v_add_u32_e32 v4, v4, v5
	s_nop 1
	v_mov_b32_dpp v5, v4 row_bcast:15 row_mask:0xf bank_mask:0xf
	v_and_b32_e32 v5, v56, v5
	v_add_u32_e32 v4, v4, v5
	s_nop 1
	v_mov_b32_dpp v5, v4 row_bcast:31 row_mask:0xf bank_mask:0xf
	v_cndmask_b32_e64 v5, 0, v5, s[26:27]
	v_add_u32_e32 v4, v4, v5
	s_and_saveexec_b64 s[28:29], s[6:7]
; %bb.249:                              ;   in Loop: Header=BB427_20 Depth=1
	ds_write_b32 v27, v4
; %bb.250:                              ;   in Loop: Header=BB427_20 Depth=1
	s_or_b64 exec, exec, s[28:29]
	s_waitcnt lgkmcnt(0)
	s_barrier
	s_and_saveexec_b64 s[28:29], s[8:9]
	s_cbranch_execz .LBB427_252
; %bb.251:                              ;   in Loop: Header=BB427_20 Depth=1
	ds_read_b32 v5, v48
	v_cmp_ne_u32_e32 vcc, 0, v58
	s_waitcnt lgkmcnt(0)
	v_mov_b32_dpp v6, v5 row_shr:1 row_mask:0xf bank_mask:0xf
	v_cndmask_b32_e32 v6, 0, v6, vcc
	v_add_u32_e32 v5, v6, v5
	v_cmp_lt_u32_e32 vcc, 1, v58
	s_nop 0
	v_mov_b32_dpp v6, v5 row_shr:2 row_mask:0xf bank_mask:0xf
	v_cndmask_b32_e32 v6, 0, v6, vcc
	v_add_u32_e32 v5, v5, v6
	ds_write_b32 v48, v5
.LBB427_252:                            ;   in Loop: Header=BB427_20 Depth=1
	s_or_b64 exec, exec, s[28:29]
	v_mov_b32_e32 v5, 0
	s_waitcnt lgkmcnt(0)
	s_barrier
	s_and_saveexec_b64 s[28:29], s[10:11]
; %bb.253:                              ;   in Loop: Header=BB427_20 Depth=1
	ds_read_b32 v5, v49
; %bb.254:                              ;   in Loop: Header=BB427_20 Depth=1
	s_or_b64 exec, exec, s[28:29]
	v_subrev_co_u32_e64 v6, s[28:29], 1, v45
	v_cmp_lt_i32_e32 vcc, v6, v59
	v_cndmask_b32_e32 v6, v6, v45, vcc
	s_waitcnt lgkmcnt(0)
	v_add_u32_e32 v4, v5, v4
	v_lshlrev_b32_e32 v64, 2, v6
	ds_bpermute_b32 v4, v64, v4
	s_waitcnt lgkmcnt(0)
	s_barrier
	s_and_saveexec_b64 s[30:31], s[4:5]
; %bb.255:                              ;   in Loop: Header=BB427_20 Depth=1
	v_cndmask_b32_e64 v4, v4, v5, s[28:29]
	v_add_u32_e32 v4, s49, v4
	ds_write_b32 v18, v4
; %bb.256:                              ;   in Loop: Header=BB427_20 Depth=1
	s_or_b64 exec, exec, s[30:31]
	s_load_dwordx2 s[30:31], s[44:45], 0x0
	v_add_co_u32_e32 v65, vcc, v41, v60
	v_addc_co_u32_e32 v66, vcc, 0, v42, vcc
	s_waitcnt lgkmcnt(0)
	s_cmp_lt_u32 s33, s31
	s_cselect_b32 s31, 14, 20
	s_add_u32 s34, s44, s31
	s_addc_u32 s35, s45, 0
	s_cmp_lt_u32 s48, s30
	s_cselect_b32 s30, 12, 18
	s_add_u32 s30, s44, s30
	global_load_ushort v4, v3, s[34:35]
	s_addc_u32 s31, s45, 0
	global_load_ushort v5, v3, s[30:31]
	v_add_co_u32_e32 v67, vcc, v43, v46
	v_cmp_eq_u32_e64 s[30:31], 0, v58
	v_cmp_lt_u32_e64 s[34:35], 1, v58
	v_addc_co_u32_e32 v68, vcc, 0, v44, vcc
	s_mov_b32 s60, s75
	s_mov_b32 s46, s49
                                        ; implicit-def: $vgpr7_vgpr8
                                        ; implicit-def: $vgpr9_vgpr10
                                        ; implicit-def: $vgpr11_vgpr12
                                        ; implicit-def: $vgpr69
                                        ; implicit-def: $vgpr70
                                        ; implicit-def: $vgpr72
                                        ; implicit-def: $vgpr73
	s_waitcnt vmcnt(1)
	v_mad_u32_u24 v4, v2, v4, v1
	s_waitcnt vmcnt(0)
	v_mad_u64_u32 v[4:5], s[36:37], v4, v5, v[0:1]
                                        ; implicit-def: $vgpr5_vgpr6
	v_lshrrev_b32_e32 v4, 4, v4
	v_and_b32_e32 v71, 0xffffffc, v4
	s_branch .LBB427_258
.LBB427_257:                            ;   in Loop: Header=BB427_258 Depth=2
	s_or_b64 exec, exec, s[36:37]
	s_addk_i32 s60, 0xfc00
	s_cmp_lt_u32 s61, s76
	s_mov_b32 s46, s61
	s_cbranch_scc0 .LBB427_322
.LBB427_258:                            ;   Parent Loop BB427_20 Depth=1
                                        ; =>  This Inner Loop Header: Depth=2
	s_add_i32 s61, s46, 0x400
	s_cmp_gt_u32 s61, s76
	s_cbranch_scc1 .LBB427_260
; %bb.259:                              ;   in Loop: Header=BB427_258 Depth=2
	v_add_co_u32_e32 v13, vcc, s46, v67
	v_addc_co_u32_e32 v14, vcc, 0, v68, vcc
	global_load_ubyte v16, v[13:14], off offset:128
	global_load_ubyte v76, v[13:14], off offset:64
	global_load_ubyte v4, v[13:14], off
	s_mov_b64 s[36:37], -1
	s_movk_i32 s40, 0x400
                                        ; implicit-def: $vgpr15
	s_cbranch_execz .LBB427_261
	s_branch .LBB427_266
.LBB427_260:                            ;   in Loop: Header=BB427_258 Depth=2
	s_mov_b64 s[36:37], 0
                                        ; implicit-def: $vgpr4
                                        ; implicit-def: $vgpr76
                                        ; implicit-def: $vgpr16
	s_movk_i32 s40, 0x400
                                        ; implicit-def: $vgpr15
.LBB427_261:                            ;   in Loop: Header=BB427_258 Depth=2
	v_add_co_u32_e32 v13, vcc, s46, v67
	v_addc_co_u32_e32 v14, vcc, 0, v68, vcc
	v_cmp_gt_u32_e32 vcc, s60, v47
	v_mov_b32_e32 v15, 0x7f
	s_waitcnt vmcnt(0)
	v_mov_b32_e32 v4, 0x7f
	v_mov_b32_e32 v76, 0x7f
	;; [unrolled: 1-line block ×3, first 2 shown]
	s_and_saveexec_b64 s[36:37], vcc
	s_cbranch_execnz .LBB427_320
; %bb.262:                              ;   in Loop: Header=BB427_258 Depth=2
	s_or_b64 exec, exec, s[36:37]
	v_cmp_gt_u32_e32 vcc, s60, v61
	s_and_saveexec_b64 s[36:37], vcc
	s_cbranch_execnz .LBB427_321
.LBB427_263:                            ;   in Loop: Header=BB427_258 Depth=2
	s_or_b64 exec, exec, s[36:37]
	v_cmp_gt_u32_e32 vcc, s60, v62
	s_and_saveexec_b64 s[36:37], vcc
	s_cbranch_execz .LBB427_265
.LBB427_264:                            ;   in Loop: Header=BB427_258 Depth=2
	global_load_ubyte v16, v[13:14], off offset:128
.LBB427_265:                            ;   in Loop: Header=BB427_258 Depth=2
	s_or_b64 exec, exec, s[36:37]
	s_sub_i32 s40, s76, s46
	v_cmp_gt_u32_e64 s[36:37], s60, v63
.LBB427_266:                            ;   in Loop: Header=BB427_258 Depth=2
	v_mov_b32_e32 v74, s60
	s_and_saveexec_b64 s[38:39], s[36:37]
	s_cbranch_execz .LBB427_268
; %bb.267:                              ;   in Loop: Header=BB427_258 Depth=2
	v_mov_b32_e32 v14, s47
	v_add_co_u32_e32 v13, vcc, s46, v67
	v_addc_co_u32_e32 v14, vcc, v68, v14, vcc
	global_load_ubyte v15, v[13:14], off offset:192
	v_mov_b32_e32 v74, s40
.LBB427_268:                            ;   in Loop: Header=BB427_258 Depth=2
	s_or_b64 exec, exec, s[38:39]
	s_waitcnt vmcnt(0)
	v_xor_b32_e32 v17, 0xffffff80, v4
	v_lshrrev_b32_sdwa v4, s73, v17 dst_sel:DWORD dst_unused:UNUSED_PAD src0_sel:DWORD src1_sel:BYTE_0
	v_and_b32_e32 v13, s59, v4
	v_and_b32_e32 v4, 1, v13
	v_add_co_u32_e32 v14, vcc, -1, v4
	v_addc_co_u32_e64 v75, s[36:37], 0, -1, vcc
	v_cmp_ne_u32_e32 vcc, 0, v4
	v_xor_b32_e32 v4, vcc_hi, v75
	v_and_b32_e32 v75, exec_hi, v4
	v_lshlrev_b32_e32 v4, 30, v13
	v_xor_b32_e32 v14, vcc_lo, v14
	v_cmp_gt_i64_e32 vcc, 0, v[3:4]
	v_not_b32_e32 v4, v4
	v_ashrrev_i32_e32 v4, 31, v4
	v_and_b32_e32 v14, exec_lo, v14
	v_xor_b32_e32 v78, vcc_hi, v4
	v_xor_b32_e32 v4, vcc_lo, v4
	v_and_b32_e32 v14, v14, v4
	v_lshlrev_b32_e32 v4, 29, v13
	v_cmp_gt_i64_e32 vcc, 0, v[3:4]
	v_not_b32_e32 v4, v4
	v_ashrrev_i32_e32 v4, 31, v4
	v_and_b32_e32 v75, v75, v78
	v_xor_b32_e32 v78, vcc_hi, v4
	v_xor_b32_e32 v4, vcc_lo, v4
	v_and_b32_e32 v14, v14, v4
	v_lshlrev_b32_e32 v4, 28, v13
	v_cmp_gt_i64_e32 vcc, 0, v[3:4]
	v_not_b32_e32 v4, v4
	v_ashrrev_i32_e32 v4, 31, v4
	v_and_b32_e32 v75, v75, v78
	;; [unrolled: 8-line block ×5, first 2 shown]
	v_xor_b32_e32 v78, vcc_hi, v4
	v_xor_b32_e32 v4, vcc_lo, v4
	v_and_b32_e32 v75, v75, v78
	v_and_b32_e32 v78, v14, v4
	v_lshlrev_b32_e32 v4, 24, v13
	v_cmp_gt_i64_e32 vcc, 0, v[3:4]
	v_not_b32_e32 v4, v4
	v_ashrrev_i32_e32 v4, 31, v4
	v_mul_u32_u24_e32 v77, 20, v13
	v_xor_b32_e32 v13, vcc_hi, v4
	v_xor_b32_e32 v4, vcc_lo, v4
	v_and_b32_e32 v14, v75, v13
	v_and_b32_e32 v13, v78, v4
	v_mbcnt_lo_u32_b32 v4, v13, 0
	v_mbcnt_hi_u32_b32 v75, v14, v4
	v_cmp_ne_u64_e32 vcc, 0, v[13:14]
	v_cmp_eq_u32_e64 s[36:37], 0, v75
	s_and_b64 s[38:39], vcc, s[36:37]
	v_add_u32_e32 v78, v71, v77
	ds_write2_b32 v53, v3, v3 offset1:1
	ds_write2_b32 v54, v3, v3 offset1:1
	ds_write_b32 v50, v3 offset:1056
	s_waitcnt lgkmcnt(0)
	s_barrier
	; wave barrier
	s_and_saveexec_b64 s[36:37], s[38:39]
; %bb.269:                              ;   in Loop: Header=BB427_258 Depth=2
	v_bcnt_u32_b32 v4, v13, 0
	v_bcnt_u32_b32 v4, v14, v4
	ds_write_b32 v78, v4 offset:1040
; %bb.270:                              ;   in Loop: Header=BB427_258 Depth=2
	s_or_b64 exec, exec, s[36:37]
	v_xor_b32_e32 v76, 0xffffff80, v76
	v_lshrrev_b32_sdwa v4, s73, v76 dst_sel:DWORD dst_unused:UNUSED_PAD src0_sel:DWORD src1_sel:BYTE_0
	v_and_b32_e32 v13, s59, v4
	v_mad_u32_u24 v4, v13, 20, v71
	; wave barrier
	ds_read_b32 v77, v4 offset:1040
	v_and_b32_e32 v4, 1, v13
	v_add_co_u32_e32 v14, vcc, -1, v4
	v_addc_co_u32_e64 v79, s[36:37], 0, -1, vcc
	v_cmp_ne_u32_e32 vcc, 0, v4
	v_xor_b32_e32 v4, vcc_hi, v79
	v_and_b32_e32 v79, exec_hi, v4
	v_lshlrev_b32_e32 v4, 30, v13
	v_xor_b32_e32 v14, vcc_lo, v14
	v_cmp_gt_i64_e32 vcc, 0, v[3:4]
	v_not_b32_e32 v4, v4
	v_ashrrev_i32_e32 v4, 31, v4
	v_and_b32_e32 v14, exec_lo, v14
	v_xor_b32_e32 v81, vcc_hi, v4
	v_xor_b32_e32 v4, vcc_lo, v4
	v_and_b32_e32 v14, v14, v4
	v_lshlrev_b32_e32 v4, 29, v13
	v_cmp_gt_i64_e32 vcc, 0, v[3:4]
	v_not_b32_e32 v4, v4
	v_ashrrev_i32_e32 v4, 31, v4
	v_and_b32_e32 v79, v79, v81
	v_xor_b32_e32 v81, vcc_hi, v4
	v_xor_b32_e32 v4, vcc_lo, v4
	v_and_b32_e32 v14, v14, v4
	v_lshlrev_b32_e32 v4, 28, v13
	v_cmp_gt_i64_e32 vcc, 0, v[3:4]
	v_not_b32_e32 v4, v4
	v_ashrrev_i32_e32 v4, 31, v4
	v_and_b32_e32 v79, v79, v81
	;; [unrolled: 8-line block ×5, first 2 shown]
	v_xor_b32_e32 v81, vcc_hi, v4
	v_xor_b32_e32 v4, vcc_lo, v4
	v_and_b32_e32 v79, v79, v81
	v_and_b32_e32 v81, v14, v4
	v_lshlrev_b32_e32 v4, 24, v13
	v_cmp_gt_i64_e32 vcc, 0, v[3:4]
	v_not_b32_e32 v4, v4
	v_ashrrev_i32_e32 v4, 31, v4
	v_mul_u32_u24_e32 v80, 20, v13
	v_xor_b32_e32 v13, vcc_hi, v4
	v_xor_b32_e32 v4, vcc_lo, v4
	v_and_b32_e32 v14, v79, v13
	v_and_b32_e32 v13, v81, v4
	v_mbcnt_lo_u32_b32 v4, v13, 0
	v_mbcnt_hi_u32_b32 v79, v14, v4
	v_cmp_ne_u64_e32 vcc, 0, v[13:14]
	v_cmp_eq_u32_e64 s[36:37], 0, v79
	s_and_b64 s[38:39], vcc, s[36:37]
	v_add_u32_e32 v82, v71, v80
	; wave barrier
	s_and_saveexec_b64 s[36:37], s[38:39]
	s_cbranch_execz .LBB427_272
; %bb.271:                              ;   in Loop: Header=BB427_258 Depth=2
	v_bcnt_u32_b32 v4, v13, 0
	v_bcnt_u32_b32 v4, v14, v4
	s_waitcnt lgkmcnt(0)
	v_add_u32_e32 v4, v77, v4
	ds_write_b32 v82, v4 offset:1040
.LBB427_272:                            ;   in Loop: Header=BB427_258 Depth=2
	s_or_b64 exec, exec, s[36:37]
	v_xor_b32_e32 v80, 0xffffff80, v16
	v_lshrrev_b32_sdwa v4, s73, v80 dst_sel:DWORD dst_unused:UNUSED_PAD src0_sel:DWORD src1_sel:BYTE_0
	v_and_b32_e32 v13, s59, v4
	v_mad_u32_u24 v4, v13, 20, v71
	; wave barrier
	ds_read_b32 v81, v4 offset:1040
	v_and_b32_e32 v4, 1, v13
	v_add_co_u32_e32 v14, vcc, -1, v4
	v_addc_co_u32_e64 v83, s[36:37], 0, -1, vcc
	v_cmp_ne_u32_e32 vcc, 0, v4
	v_xor_b32_e32 v4, vcc_hi, v83
	v_and_b32_e32 v83, exec_hi, v4
	v_lshlrev_b32_e32 v4, 30, v13
	v_xor_b32_e32 v14, vcc_lo, v14
	v_cmp_gt_i64_e32 vcc, 0, v[3:4]
	v_not_b32_e32 v4, v4
	v_ashrrev_i32_e32 v4, 31, v4
	v_and_b32_e32 v14, exec_lo, v14
	v_xor_b32_e32 v84, vcc_hi, v4
	v_xor_b32_e32 v4, vcc_lo, v4
	v_and_b32_e32 v14, v14, v4
	v_lshlrev_b32_e32 v4, 29, v13
	v_cmp_gt_i64_e32 vcc, 0, v[3:4]
	v_not_b32_e32 v4, v4
	v_ashrrev_i32_e32 v4, 31, v4
	v_and_b32_e32 v83, v83, v84
	v_xor_b32_e32 v84, vcc_hi, v4
	v_xor_b32_e32 v4, vcc_lo, v4
	v_and_b32_e32 v14, v14, v4
	v_lshlrev_b32_e32 v4, 28, v13
	v_cmp_gt_i64_e32 vcc, 0, v[3:4]
	v_not_b32_e32 v4, v4
	v_ashrrev_i32_e32 v4, 31, v4
	v_and_b32_e32 v83, v83, v84
	;; [unrolled: 8-line block ×5, first 2 shown]
	v_xor_b32_e32 v84, vcc_hi, v4
	v_xor_b32_e32 v4, vcc_lo, v4
	v_and_b32_e32 v83, v83, v84
	v_and_b32_e32 v84, v14, v4
	v_lshlrev_b32_e32 v4, 24, v13
	v_cmp_gt_i64_e32 vcc, 0, v[3:4]
	v_not_b32_e32 v4, v4
	v_ashrrev_i32_e32 v4, 31, v4
	v_mul_u32_u24_e32 v16, 20, v13
	v_xor_b32_e32 v13, vcc_hi, v4
	v_xor_b32_e32 v4, vcc_lo, v4
	v_and_b32_e32 v14, v83, v13
	v_and_b32_e32 v13, v84, v4
	v_mbcnt_lo_u32_b32 v4, v13, 0
	v_mbcnt_hi_u32_b32 v83, v14, v4
	v_cmp_ne_u64_e32 vcc, 0, v[13:14]
	v_cmp_eq_u32_e64 s[36:37], 0, v83
	s_and_b64 s[38:39], vcc, s[36:37]
	v_add_u32_e32 v86, v71, v16
	; wave barrier
	s_and_saveexec_b64 s[36:37], s[38:39]
	s_cbranch_execz .LBB427_274
; %bb.273:                              ;   in Loop: Header=BB427_258 Depth=2
	v_bcnt_u32_b32 v4, v13, 0
	v_bcnt_u32_b32 v4, v14, v4
	s_waitcnt lgkmcnt(0)
	v_add_u32_e32 v4, v81, v4
	ds_write_b32 v86, v4 offset:1040
.LBB427_274:                            ;   in Loop: Header=BB427_258 Depth=2
	s_or_b64 exec, exec, s[36:37]
	v_xor_b32_e32 v84, 0xffffff80, v15
	v_lshrrev_b32_sdwa v4, s73, v84 dst_sel:DWORD dst_unused:UNUSED_PAD src0_sel:DWORD src1_sel:BYTE_0
	v_and_b32_e32 v13, s59, v4
	v_mad_u32_u24 v4, v13, 20, v71
	; wave barrier
	ds_read_b32 v85, v4 offset:1040
	v_and_b32_e32 v4, 1, v13
	v_add_co_u32_e32 v14, vcc, -1, v4
	v_addc_co_u32_e64 v16, s[36:37], 0, -1, vcc
	v_cmp_ne_u32_e32 vcc, 0, v4
	v_xor_b32_e32 v4, vcc_hi, v16
	v_and_b32_e32 v16, exec_hi, v4
	v_lshlrev_b32_e32 v4, 30, v13
	v_xor_b32_e32 v14, vcc_lo, v14
	v_cmp_gt_i64_e32 vcc, 0, v[3:4]
	v_not_b32_e32 v4, v4
	v_ashrrev_i32_e32 v4, 31, v4
	v_and_b32_e32 v14, exec_lo, v14
	v_xor_b32_e32 v87, vcc_hi, v4
	v_xor_b32_e32 v4, vcc_lo, v4
	v_and_b32_e32 v14, v14, v4
	v_lshlrev_b32_e32 v4, 29, v13
	v_cmp_gt_i64_e32 vcc, 0, v[3:4]
	v_not_b32_e32 v4, v4
	v_ashrrev_i32_e32 v4, 31, v4
	v_and_b32_e32 v16, v16, v87
	v_xor_b32_e32 v87, vcc_hi, v4
	v_xor_b32_e32 v4, vcc_lo, v4
	v_and_b32_e32 v14, v14, v4
	v_lshlrev_b32_e32 v4, 28, v13
	v_cmp_gt_i64_e32 vcc, 0, v[3:4]
	v_not_b32_e32 v4, v4
	v_ashrrev_i32_e32 v4, 31, v4
	v_and_b32_e32 v16, v16, v87
	v_xor_b32_e32 v87, vcc_hi, v4
	v_xor_b32_e32 v4, vcc_lo, v4
	v_and_b32_e32 v14, v14, v4
	v_lshlrev_b32_e32 v4, 27, v13
	v_cmp_gt_i64_e32 vcc, 0, v[3:4]
	v_not_b32_e32 v4, v4
	v_ashrrev_i32_e32 v4, 31, v4
	v_and_b32_e32 v16, v16, v87
	v_xor_b32_e32 v87, vcc_hi, v4
	v_xor_b32_e32 v4, vcc_lo, v4
	v_and_b32_e32 v14, v14, v4
	v_lshlrev_b32_e32 v4, 26, v13
	v_cmp_gt_i64_e32 vcc, 0, v[3:4]
	v_not_b32_e32 v4, v4
	v_ashrrev_i32_e32 v4, 31, v4
	v_and_b32_e32 v16, v16, v87
	v_xor_b32_e32 v87, vcc_hi, v4
	v_xor_b32_e32 v4, vcc_lo, v4
	v_and_b32_e32 v14, v14, v4
	v_lshlrev_b32_e32 v4, 25, v13
	v_cmp_gt_i64_e32 vcc, 0, v[3:4]
	v_not_b32_e32 v4, v4
	v_ashrrev_i32_e32 v4, 31, v4
	v_and_b32_e32 v16, v16, v87
	v_xor_b32_e32 v87, vcc_hi, v4
	v_xor_b32_e32 v4, vcc_lo, v4
	v_and_b32_e32 v16, v16, v87
	v_and_b32_e32 v87, v14, v4
	v_lshlrev_b32_e32 v4, 24, v13
	v_cmp_gt_i64_e32 vcc, 0, v[3:4]
	v_not_b32_e32 v4, v4
	v_ashrrev_i32_e32 v4, 31, v4
	v_mul_u32_u24_e32 v15, 20, v13
	v_xor_b32_e32 v13, vcc_hi, v4
	v_xor_b32_e32 v4, vcc_lo, v4
	v_and_b32_e32 v14, v16, v13
	v_and_b32_e32 v13, v87, v4
	v_mbcnt_lo_u32_b32 v4, v13, 0
	v_mbcnt_hi_u32_b32 v4, v14, v4
	v_cmp_ne_u64_e32 vcc, 0, v[13:14]
	v_cmp_eq_u32_e64 s[36:37], 0, v4
	s_and_b64 s[38:39], vcc, s[36:37]
	v_add_u32_e32 v87, v71, v15
	; wave barrier
	s_and_saveexec_b64 s[36:37], s[38:39]
	s_cbranch_execz .LBB427_276
; %bb.275:                              ;   in Loop: Header=BB427_258 Depth=2
	v_bcnt_u32_b32 v13, v13, 0
	v_bcnt_u32_b32 v13, v14, v13
	s_waitcnt lgkmcnt(0)
	v_add_u32_e32 v13, v85, v13
	ds_write_b32 v87, v13 offset:1040
.LBB427_276:                            ;   in Loop: Header=BB427_258 Depth=2
	s_or_b64 exec, exec, s[36:37]
	; wave barrier
	s_waitcnt lgkmcnt(0)
	s_barrier
	ds_read2_b32 v[15:16], v53 offset1:1
	ds_read2_b32 v[13:14], v54 offset1:1
	ds_read_b32 v88, v50 offset:1056
	s_waitcnt lgkmcnt(1)
	v_add3_u32 v89, v16, v15, v13
	s_waitcnt lgkmcnt(0)
	v_add3_u32 v88, v89, v14, v88
	s_nop 1
	v_mov_b32_dpp v89, v88 row_shr:1 row_mask:0xf bank_mask:0xf
	v_cndmask_b32_e64 v89, v89, 0, s[16:17]
	v_add_u32_e32 v88, v89, v88
	s_nop 1
	v_mov_b32_dpp v89, v88 row_shr:2 row_mask:0xf bank_mask:0xf
	v_cndmask_b32_e64 v89, 0, v89, s[18:19]
	v_add_u32_e32 v88, v88, v89
	;; [unrolled: 4-line block ×4, first 2 shown]
	s_nop 1
	v_mov_b32_dpp v89, v88 row_bcast:15 row_mask:0xf bank_mask:0xf
	v_cndmask_b32_e64 v89, v89, 0, s[24:25]
	v_add_u32_e32 v88, v88, v89
	s_nop 1
	v_mov_b32_dpp v89, v88 row_bcast:31 row_mask:0xf bank_mask:0xf
	v_cndmask_b32_e64 v89, 0, v89, s[26:27]
	v_add_u32_e32 v88, v88, v89
	s_and_saveexec_b64 s[36:37], s[6:7]
; %bb.277:                              ;   in Loop: Header=BB427_258 Depth=2
	ds_write_b32 v26, v88 offset:1024
; %bb.278:                              ;   in Loop: Header=BB427_258 Depth=2
	s_or_b64 exec, exec, s[36:37]
	s_waitcnt lgkmcnt(0)
	s_barrier
	s_and_saveexec_b64 s[36:37], s[8:9]
	s_cbranch_execz .LBB427_280
; %bb.279:                              ;   in Loop: Header=BB427_258 Depth=2
	v_add_u32_e32 v89, v50, v28
	ds_read_b32 v90, v89 offset:1024
	s_waitcnt lgkmcnt(0)
	s_nop 0
	v_mov_b32_dpp v91, v90 row_shr:1 row_mask:0xf bank_mask:0xf
	v_cndmask_b32_e64 v91, v91, 0, s[30:31]
	v_add_u32_e32 v90, v91, v90
	s_nop 1
	v_mov_b32_dpp v91, v90 row_shr:2 row_mask:0xf bank_mask:0xf
	v_cndmask_b32_e64 v91, 0, v91, s[34:35]
	v_add_u32_e32 v90, v90, v91
	ds_write_b32 v89, v90 offset:1024
.LBB427_280:                            ;   in Loop: Header=BB427_258 Depth=2
	s_or_b64 exec, exec, s[36:37]
	v_mov_b32_e32 v89, 0
	s_waitcnt lgkmcnt(0)
	s_barrier
	s_and_saveexec_b64 s[36:37], s[10:11]
; %bb.281:                              ;   in Loop: Header=BB427_258 Depth=2
	ds_read_b32 v89, v26 offset:1020
; %bb.282:                              ;   in Loop: Header=BB427_258 Depth=2
	s_or_b64 exec, exec, s[36:37]
	s_waitcnt lgkmcnt(0)
	v_add_u32_e32 v88, v89, v88
	ds_bpermute_b32 v88, v64, v88
	s_waitcnt lgkmcnt(0)
	v_cndmask_b32_e64 v88, v88, v89, s[28:29]
	v_cndmask_b32_e64 v88, v88, 0, s[12:13]
	v_add_u32_e32 v15, v88, v15
	v_add_u32_e32 v16, v15, v16
	;; [unrolled: 1-line block ×4, first 2 shown]
	ds_write2_b32 v53, v88, v15 offset1:1
	ds_write2_b32 v54, v16, v13 offset1:1
	ds_write_b32 v50, v14 offset:1056
	s_waitcnt lgkmcnt(0)
	s_barrier
	ds_read_b32 v13, v78 offset:1040
	ds_read_b32 v14, v82 offset:1040
	;; [unrolled: 1-line block ×5, first 2 shown]
	v_mov_b32_e32 v78, 0x400
	s_and_saveexec_b64 s[36:37], s[14:15]
; %bb.283:                              ;   in Loop: Header=BB427_258 Depth=2
	ds_read_b32 v78, v50 offset:1060
; %bb.284:                              ;   in Loop: Header=BB427_258 Depth=2
	s_or_b64 exec, exec, s[36:37]
	s_waitcnt lgkmcnt(0)
	s_barrier
	s_and_saveexec_b64 s[36:37], s[4:5]
	s_cbranch_execz .LBB427_286
; %bb.285:                              ;   in Loop: Header=BB427_258 Depth=2
	ds_read_b32 v86, v18
	s_waitcnt lgkmcnt(0)
	v_sub_u32_e32 v15, v86, v15
	ds_write_b32 v18, v15
.LBB427_286:                            ;   in Loop: Header=BB427_258 Depth=2
	s_or_b64 exec, exec, s[36:37]
	v_add_u32_e32 v15, v13, v75
	v_add3_u32 v14, v79, v77, v14
	v_add3_u32 v13, v83, v81, v16
	;; [unrolled: 1-line block ×3, first 2 shown]
	v_cmp_lt_u32_e64 s[40:41], v0, v74
	ds_write_b8 v15, v17 offset:1024
	ds_write_b8 v14, v76 offset:1024
	;; [unrolled: 1-line block ×4, first 2 shown]
	s_waitcnt lgkmcnt(0)
	s_barrier
	s_and_saveexec_b64 s[36:37], s[40:41]
	s_cbranch_execnz .LBB427_307
; %bb.287:                              ;   in Loop: Header=BB427_258 Depth=2
	s_or_b64 exec, exec, s[36:37]
	v_cmp_lt_u32_e64 s[38:39], v19, v74
	s_and_saveexec_b64 s[36:37], s[38:39]
	s_cbranch_execnz .LBB427_308
.LBB427_288:                            ;   in Loop: Header=BB427_258 Depth=2
	s_or_b64 exec, exec, s[36:37]
	v_cmp_lt_u32_e64 s[36:37], v20, v74
	s_and_saveexec_b64 s[42:43], s[36:37]
	s_cbranch_execnz .LBB427_309
.LBB427_289:                            ;   in Loop: Header=BB427_258 Depth=2
	s_or_b64 exec, exec, s[42:43]
	v_cmp_lt_u32_e32 vcc, v21, v74
	s_and_saveexec_b64 s[42:43], vcc
	s_cbranch_execz .LBB427_291
.LBB427_290:                            ;   in Loop: Header=BB427_258 Depth=2
	ds_read_u8 v16, v0 offset:1792
	s_waitcnt lgkmcnt(0)
	v_lshrrev_b32_sdwa v17, s73, v16 dst_sel:DWORD dst_unused:UNUSED_PAD src0_sel:DWORD src1_sel:BYTE_0
	v_and_b32_e32 v17, s59, v17
	v_lshlrev_b32_e32 v17, 2, v17
	ds_read_b32 v17, v17
	v_xor_b32_e32 v16, 0x80, v16
	s_waitcnt lgkmcnt(0)
	v_add_u32_e32 v17, v17, v21
	global_store_byte v17, v16, s[66:67]
.LBB427_291:                            ;   in Loop: Header=BB427_258 Depth=2
	s_or_b64 exec, exec, s[42:43]
	s_lshl_b64 s[42:43], s[46:47], 3
	v_mov_b32_e32 v17, s43
	v_add_co_u32_e64 v16, s[42:43], s42, v65
	v_addc_co_u32_e64 v17, s[42:43], v66, v17, s[42:43]
	v_cmp_lt_u32_e64 s[42:43], v47, v74
	s_and_saveexec_b64 s[56:57], s[42:43]
	s_xor_b64 s[42:43], exec, s[56:57]
	s_cbranch_execnz .LBB427_310
; %bb.292:                              ;   in Loop: Header=BB427_258 Depth=2
	s_or_b64 exec, exec, s[42:43]
	v_cmp_lt_u32_e64 s[42:43], v61, v74
	s_and_saveexec_b64 s[56:57], s[42:43]
	s_cbranch_execnz .LBB427_311
.LBB427_293:                            ;   in Loop: Header=BB427_258 Depth=2
	s_or_b64 exec, exec, s[56:57]
	v_cmp_lt_u32_e64 s[42:43], v62, v74
	s_and_saveexec_b64 s[56:57], s[42:43]
	s_cbranch_execnz .LBB427_312
.LBB427_294:                            ;   in Loop: Header=BB427_258 Depth=2
	s_or_b64 exec, exec, s[56:57]
	v_cmp_lt_u32_e64 s[42:43], v63, v74
	s_and_saveexec_b64 s[56:57], s[42:43]
	s_cbranch_execnz .LBB427_313
.LBB427_295:                            ;   in Loop: Header=BB427_258 Depth=2
	s_or_b64 exec, exec, s[56:57]
	s_and_saveexec_b64 s[42:43], s[40:41]
	s_cbranch_execnz .LBB427_314
.LBB427_296:                            ;   in Loop: Header=BB427_258 Depth=2
	s_or_b64 exec, exec, s[42:43]
	s_and_saveexec_b64 s[42:43], s[38:39]
	s_cbranch_execnz .LBB427_315
.LBB427_297:                            ;   in Loop: Header=BB427_258 Depth=2
	s_or_b64 exec, exec, s[42:43]
	s_and_saveexec_b64 s[42:43], s[36:37]
	s_cbranch_execnz .LBB427_316
.LBB427_298:                            ;   in Loop: Header=BB427_258 Depth=2
	s_or_b64 exec, exec, s[42:43]
	s_and_saveexec_b64 s[42:43], vcc
	s_cbranch_execz .LBB427_300
.LBB427_299:                            ;   in Loop: Header=BB427_258 Depth=2
	ds_read_u8 v16, v0 offset:1792
	s_waitcnt lgkmcnt(0)
	v_lshrrev_b32_e32 v16, s73, v16
	v_and_b32_e32 v69, s59, v16
.LBB427_300:                            ;   in Loop: Header=BB427_258 Depth=2
	s_or_b64 exec, exec, s[42:43]
	v_mad_u64_u32 v[15:16], s[42:43], v15, 7, v[15:16]
	s_waitcnt vmcnt(0)
	v_mad_u64_u32 v[74:75], s[42:43], v4, 7, v[4:5]
	v_mad_u64_u32 v[16:17], s[42:43], v14, 7, v[14:15]
	;; [unrolled: 1-line block ×3, first 2 shown]
	s_barrier
	ds_write_b64 v15, v[11:12] offset:1024
	ds_write_b64 v16, v[9:10] offset:1024
	;; [unrolled: 1-line block ×4, first 2 shown]
	s_waitcnt lgkmcnt(0)
	s_barrier
	s_and_saveexec_b64 s[42:43], s[40:41]
	s_cbranch_execnz .LBB427_317
; %bb.301:                              ;   in Loop: Header=BB427_258 Depth=2
	s_or_b64 exec, exec, s[42:43]
	s_and_saveexec_b64 s[40:41], s[38:39]
	s_cbranch_execnz .LBB427_318
.LBB427_302:                            ;   in Loop: Header=BB427_258 Depth=2
	s_or_b64 exec, exec, s[40:41]
	s_and_saveexec_b64 s[38:39], s[36:37]
	s_cbranch_execnz .LBB427_319
.LBB427_303:                            ;   in Loop: Header=BB427_258 Depth=2
	s_or_b64 exec, exec, s[38:39]
	s_and_saveexec_b64 s[36:37], vcc
	s_cbranch_execz .LBB427_305
.LBB427_304:                            ;   in Loop: Header=BB427_258 Depth=2
	v_lshlrev_b32_e32 v4, 2, v69
	ds_read_b32 v4, v4
	v_add_u32_e32 v13, v0, v51
	ds_read_b64 v[13:14], v13 offset:7168
	v_mov_b32_e32 v16, v3
	v_mov_b32_e32 v17, s53
	s_waitcnt lgkmcnt(1)
	v_add_u32_e32 v15, v4, v21
	v_lshlrev_b64 v[15:16], 3, v[15:16]
	v_add_co_u32_e32 v15, vcc, s52, v15
	v_addc_co_u32_e32 v16, vcc, v17, v16, vcc
	s_waitcnt lgkmcnt(0)
	global_store_dwordx2 v[15:16], v[13:14], off
.LBB427_305:                            ;   in Loop: Header=BB427_258 Depth=2
	s_or_b64 exec, exec, s[36:37]
	s_waitcnt vmcnt(0)
	s_barrier
	s_and_saveexec_b64 s[36:37], s[4:5]
	s_cbranch_execz .LBB427_257
; %bb.306:                              ;   in Loop: Header=BB427_258 Depth=2
	ds_read_b32 v4, v18
	s_waitcnt lgkmcnt(0)
	v_add_u32_e32 v4, v4, v78
	ds_write_b32 v18, v4
	s_branch .LBB427_257
.LBB427_307:                            ;   in Loop: Header=BB427_258 Depth=2
	ds_read_u8 v16, v0 offset:1024
	s_waitcnt lgkmcnt(0)
	v_lshrrev_b32_sdwa v17, s73, v16 dst_sel:DWORD dst_unused:UNUSED_PAD src0_sel:DWORD src1_sel:BYTE_0
	v_and_b32_e32 v17, s59, v17
	v_lshlrev_b32_e32 v17, 2, v17
	ds_read_b32 v17, v17
	v_xor_b32_e32 v16, 0x80, v16
	s_waitcnt lgkmcnt(0)
	v_add_u32_e32 v17, v17, v0
	global_store_byte v17, v16, s[66:67]
	s_or_b64 exec, exec, s[36:37]
	v_cmp_lt_u32_e64 s[38:39], v19, v74
	s_and_saveexec_b64 s[36:37], s[38:39]
	s_cbranch_execz .LBB427_288
.LBB427_308:                            ;   in Loop: Header=BB427_258 Depth=2
	ds_read_u8 v16, v0 offset:1280
	s_waitcnt lgkmcnt(0)
	v_lshrrev_b32_sdwa v17, s73, v16 dst_sel:DWORD dst_unused:UNUSED_PAD src0_sel:DWORD src1_sel:BYTE_0
	v_and_b32_e32 v17, s59, v17
	v_lshlrev_b32_e32 v17, 2, v17
	ds_read_b32 v17, v17
	v_xor_b32_e32 v16, 0x80, v16
	s_waitcnt lgkmcnt(0)
	v_add_u32_e32 v17, v17, v19
	global_store_byte v17, v16, s[66:67]
	s_or_b64 exec, exec, s[36:37]
	v_cmp_lt_u32_e64 s[36:37], v20, v74
	s_and_saveexec_b64 s[42:43], s[36:37]
	s_cbranch_execz .LBB427_289
.LBB427_309:                            ;   in Loop: Header=BB427_258 Depth=2
	ds_read_u8 v16, v0 offset:1536
	s_waitcnt lgkmcnt(0)
	v_lshrrev_b32_sdwa v17, s73, v16 dst_sel:DWORD dst_unused:UNUSED_PAD src0_sel:DWORD src1_sel:BYTE_0
	v_and_b32_e32 v17, s59, v17
	v_lshlrev_b32_e32 v17, 2, v17
	ds_read_b32 v17, v17
	v_xor_b32_e32 v16, 0x80, v16
	s_waitcnt lgkmcnt(0)
	v_add_u32_e32 v17, v17, v20
	global_store_byte v17, v16, s[66:67]
	s_or_b64 exec, exec, s[42:43]
	v_cmp_lt_u32_e32 vcc, v21, v74
	s_and_saveexec_b64 s[42:43], vcc
	s_cbranch_execnz .LBB427_290
	s_branch .LBB427_291
.LBB427_310:                            ;   in Loop: Header=BB427_258 Depth=2
	global_load_dwordx2 v[11:12], v[16:17], off
	s_or_b64 exec, exec, s[42:43]
	v_cmp_lt_u32_e64 s[42:43], v61, v74
	s_and_saveexec_b64 s[56:57], s[42:43]
	s_cbranch_execz .LBB427_293
.LBB427_311:                            ;   in Loop: Header=BB427_258 Depth=2
	global_load_dwordx2 v[9:10], v[16:17], off offset:512
	s_or_b64 exec, exec, s[56:57]
	v_cmp_lt_u32_e64 s[42:43], v62, v74
	s_and_saveexec_b64 s[56:57], s[42:43]
	s_cbranch_execz .LBB427_294
.LBB427_312:                            ;   in Loop: Header=BB427_258 Depth=2
	global_load_dwordx2 v[7:8], v[16:17], off offset:1024
	s_or_b64 exec, exec, s[56:57]
	v_cmp_lt_u32_e64 s[42:43], v63, v74
	s_and_saveexec_b64 s[56:57], s[42:43]
	s_cbranch_execz .LBB427_295
.LBB427_313:                            ;   in Loop: Header=BB427_258 Depth=2
	global_load_dwordx2 v[5:6], v[16:17], off offset:1536
	s_or_b64 exec, exec, s[56:57]
	s_and_saveexec_b64 s[42:43], s[40:41]
	s_cbranch_execz .LBB427_296
.LBB427_314:                            ;   in Loop: Header=BB427_258 Depth=2
	ds_read_u8 v16, v0 offset:1024
	s_waitcnt lgkmcnt(0)
	v_lshrrev_b32_e32 v16, s73, v16
	v_and_b32_e32 v73, s59, v16
	s_or_b64 exec, exec, s[42:43]
	s_and_saveexec_b64 s[42:43], s[38:39]
	s_cbranch_execz .LBB427_297
.LBB427_315:                            ;   in Loop: Header=BB427_258 Depth=2
	ds_read_u8 v16, v0 offset:1280
	s_waitcnt lgkmcnt(0)
	v_lshrrev_b32_e32 v16, s73, v16
	v_and_b32_e32 v72, s59, v16
	s_or_b64 exec, exec, s[42:43]
	s_and_saveexec_b64 s[42:43], s[36:37]
	s_cbranch_execz .LBB427_298
.LBB427_316:                            ;   in Loop: Header=BB427_258 Depth=2
	ds_read_u8 v16, v0 offset:1536
	s_waitcnt lgkmcnt(0)
	v_lshrrev_b32_e32 v16, s73, v16
	v_and_b32_e32 v70, s59, v16
	s_or_b64 exec, exec, s[42:43]
	s_and_saveexec_b64 s[42:43], vcc
	s_cbranch_execnz .LBB427_299
	s_branch .LBB427_300
.LBB427_317:                            ;   in Loop: Header=BB427_258 Depth=2
	v_lshlrev_b32_e32 v4, 2, v73
	ds_read_b32 v4, v4
	v_add_u32_e32 v13, v0, v51
	ds_read_b64 v[13:14], v13 offset:1024
	v_mov_b32_e32 v16, v3
	v_mov_b32_e32 v17, s53
	s_waitcnt lgkmcnt(1)
	v_add_u32_e32 v15, v4, v0
	v_lshlrev_b64 v[15:16], 3, v[15:16]
	v_add_co_u32_e64 v15, s[40:41], s52, v15
	v_addc_co_u32_e64 v16, s[40:41], v17, v16, s[40:41]
	s_waitcnt lgkmcnt(0)
	global_store_dwordx2 v[15:16], v[13:14], off
	s_or_b64 exec, exec, s[42:43]
	s_and_saveexec_b64 s[40:41], s[38:39]
	s_cbranch_execz .LBB427_302
.LBB427_318:                            ;   in Loop: Header=BB427_258 Depth=2
	v_lshlrev_b32_e32 v4, 2, v72
	ds_read_b32 v4, v4
	v_add_u32_e32 v13, v0, v51
	ds_read_b64 v[13:14], v13 offset:3072
	v_mov_b32_e32 v16, v3
	v_mov_b32_e32 v17, s53
	s_waitcnt lgkmcnt(1)
	v_add_u32_e32 v15, v4, v19
	v_lshlrev_b64 v[15:16], 3, v[15:16]
	v_add_co_u32_e64 v15, s[38:39], s52, v15
	v_addc_co_u32_e64 v16, s[38:39], v17, v16, s[38:39]
	s_waitcnt lgkmcnt(0)
	global_store_dwordx2 v[15:16], v[13:14], off
	s_or_b64 exec, exec, s[40:41]
	s_and_saveexec_b64 s[38:39], s[36:37]
	s_cbranch_execz .LBB427_303
.LBB427_319:                            ;   in Loop: Header=BB427_258 Depth=2
	v_lshlrev_b32_e32 v4, 2, v70
	ds_read_b32 v4, v4
	v_add_u32_e32 v13, v0, v51
	ds_read_b64 v[13:14], v13 offset:5120
	v_mov_b32_e32 v16, v3
	v_mov_b32_e32 v17, s53
	s_waitcnt lgkmcnt(1)
	v_add_u32_e32 v15, v4, v20
	v_lshlrev_b64 v[15:16], 3, v[15:16]
	v_add_co_u32_e64 v15, s[36:37], s52, v15
	v_addc_co_u32_e64 v16, s[36:37], v17, v16, s[36:37]
	s_waitcnt lgkmcnt(0)
	global_store_dwordx2 v[15:16], v[13:14], off
	s_or_b64 exec, exec, s[38:39]
	s_and_saveexec_b64 s[36:37], vcc
	s_cbranch_execnz .LBB427_304
	s_branch .LBB427_305
.LBB427_320:                            ;   in Loop: Header=BB427_258 Depth=2
	global_load_ubyte v4, v[13:14], off
	v_mov_b32_e32 v15, 0x7f
	v_mov_b32_e32 v76, 0x7f
	;; [unrolled: 1-line block ×3, first 2 shown]
	s_or_b64 exec, exec, s[36:37]
	v_cmp_gt_u32_e32 vcc, s60, v61
	s_and_saveexec_b64 s[36:37], vcc
	s_cbranch_execz .LBB427_263
.LBB427_321:                            ;   in Loop: Header=BB427_258 Depth=2
	global_load_ubyte v76, v[13:14], off offset:64
	s_or_b64 exec, exec, s[36:37]
	v_cmp_gt_u32_e32 vcc, s60, v62
	s_and_saveexec_b64 s[36:37], vcc
	s_cbranch_execnz .LBB427_264
	s_branch .LBB427_265
.LBB427_322:                            ;   in Loop: Header=BB427_20 Depth=1
	s_waitcnt lgkmcnt(0)
	s_barrier
	s_mov_b64 s[16:17], 0
.LBB427_323:                            ;   in Loop: Header=BB427_20 Depth=1
	s_and_b64 vcc, exec, s[16:17]
	s_cbranch_vccz .LBB427_19
; %bb.324:                              ;   in Loop: Header=BB427_20 Depth=1
	v_mov_b32_e32 v4, 0
	s_mov_b32 s18, s75
	s_mov_b32 s20, s49
	v_mov_b32_e32 v7, 0
	v_mov_b32_e32 v6, 0
	;; [unrolled: 1-line block ×3, first 2 shown]
	s_barrier
	s_branch .LBB427_326
.LBB427_325:                            ;   in Loop: Header=BB427_326 Depth=2
	s_or_b64 exec, exec, s[16:17]
	s_addk_i32 s18, 0xfc00
	s_cmp_ge_u32 s19, s76
	s_mov_b32 s20, s19
	s_cbranch_scc1 .LBB427_346
.LBB427_326:                            ;   Parent Loop BB427_20 Depth=1
                                        ; =>  This Inner Loop Header: Depth=2
	s_add_i32 s19, s20, 0x400
	s_cmp_gt_u32 s19, s76
	s_mov_b64 s[16:17], -1
                                        ; implicit-def: $vgpr8
                                        ; implicit-def: $vgpr9
                                        ; implicit-def: $vgpr10
                                        ; implicit-def: $vgpr11
	s_cbranch_scc1 .LBB427_328
; %bb.327:                              ;   in Loop: Header=BB427_326 Depth=2
	v_add_co_u32_e32 v12, vcc, s20, v39
	v_addc_co_u32_e32 v13, vcc, 0, v40, vcc
	global_load_ubyte v11, v[12:13], off offset:768
	global_load_ubyte v10, v[12:13], off offset:512
	;; [unrolled: 1-line block ×3, first 2 shown]
	global_load_ubyte v8, v[12:13], off
	s_mov_b64 s[16:17], 0
.LBB427_328:                            ;   in Loop: Header=BB427_326 Depth=2
	s_andn2_b64 vcc, exec, s[16:17]
	s_movk_i32 s21, 0x400
	s_cbranch_vccnz .LBB427_335
; %bb.329:                              ;   in Loop: Header=BB427_326 Depth=2
	s_add_u32 s20, s64, s20
	s_addc_u32 s21, s65, 0
	v_cmp_gt_u32_e32 vcc, s18, v0
	s_and_saveexec_b64 s[16:17], vcc
	s_cbranch_execnz .LBB427_343
; %bb.330:                              ;   in Loop: Header=BB427_326 Depth=2
	s_or_b64 exec, exec, s[16:17]
	v_cmp_gt_u32_e32 vcc, s18, v19
	s_and_saveexec_b64 s[16:17], vcc
	s_cbranch_execnz .LBB427_344
.LBB427_331:                            ;   in Loop: Header=BB427_326 Depth=2
	s_or_b64 exec, exec, s[16:17]
	v_cmp_gt_u32_e32 vcc, s18, v20
	s_and_saveexec_b64 s[16:17], vcc
	s_cbranch_execnz .LBB427_345
.LBB427_332:                            ;   in Loop: Header=BB427_326 Depth=2
	s_or_b64 exec, exec, s[16:17]
	v_cmp_gt_u32_e32 vcc, s18, v21
	s_and_saveexec_b64 s[16:17], vcc
	s_cbranch_execz .LBB427_334
.LBB427_333:                            ;   in Loop: Header=BB427_326 Depth=2
	v_mov_b32_e32 v5, s21
	s_waitcnt vmcnt(0)
	v_add_co_u32_e32 v8, vcc, s20, v0
	v_addc_co_u32_e32 v9, vcc, 0, v5, vcc
	global_load_ubyte v5, v[8:9], off offset:768
.LBB427_334:                            ;   in Loop: Header=BB427_326 Depth=2
	s_or_b64 exec, exec, s[16:17]
	s_mov_b32 s21, s18
	s_waitcnt vmcnt(0)
	v_mov_b32_e32 v8, v4
	v_mov_b32_e32 v9, v7
	;; [unrolled: 1-line block ×4, first 2 shown]
.LBB427_335:                            ;   in Loop: Header=BB427_326 Depth=2
	s_waitcnt vmcnt(3)
	v_mov_b32_e32 v5, v11
	s_waitcnt vmcnt(2)
	v_mov_b32_e32 v6, v10
	s_waitcnt vmcnt(1)
	v_mov_b32_e32 v7, v9
	s_waitcnt vmcnt(0)
	v_mov_b32_e32 v4, v8
	v_cmp_gt_u32_e32 vcc, s21, v0
	s_and_saveexec_b64 s[16:17], vcc
	s_cbranch_execnz .LBB427_339
; %bb.336:                              ;   in Loop: Header=BB427_326 Depth=2
	s_or_b64 exec, exec, s[16:17]
	v_cmp_gt_u32_e32 vcc, s21, v19
	s_and_saveexec_b64 s[16:17], vcc
	s_cbranch_execnz .LBB427_340
.LBB427_337:                            ;   in Loop: Header=BB427_326 Depth=2
	s_or_b64 exec, exec, s[16:17]
	v_cmp_gt_u32_e32 vcc, s21, v20
	s_and_saveexec_b64 s[16:17], vcc
	s_cbranch_execnz .LBB427_341
.LBB427_338:                            ;   in Loop: Header=BB427_326 Depth=2
	s_or_b64 exec, exec, s[16:17]
	v_cmp_gt_u32_e32 vcc, s21, v21
	s_and_saveexec_b64 s[16:17], vcc
	s_cbranch_execz .LBB427_325
	s_branch .LBB427_342
.LBB427_339:                            ;   in Loop: Header=BB427_326 Depth=2
	v_xor_b32_e32 v8, 0x80, v4
	v_lshrrev_b32_sdwa v8, s73, v8 dst_sel:DWORD dst_unused:UNUSED_PAD src0_sel:DWORD src1_sel:BYTE_0
	v_and_b32_e32 v8, s59, v8
	v_lshl_or_b32 v8, v8, 4, v24
	ds_add_u32 v8, v52
	s_or_b64 exec, exec, s[16:17]
	v_cmp_gt_u32_e32 vcc, s21, v19
	s_and_saveexec_b64 s[16:17], vcc
	s_cbranch_execz .LBB427_337
.LBB427_340:                            ;   in Loop: Header=BB427_326 Depth=2
	v_xor_b32_e32 v8, 0x80, v7
	v_lshrrev_b32_sdwa v8, s73, v8 dst_sel:DWORD dst_unused:UNUSED_PAD src0_sel:DWORD src1_sel:BYTE_0
	v_and_b32_e32 v8, s59, v8
	v_lshl_or_b32 v8, v8, 4, v24
	ds_add_u32 v8, v52
	s_or_b64 exec, exec, s[16:17]
	v_cmp_gt_u32_e32 vcc, s21, v20
	s_and_saveexec_b64 s[16:17], vcc
	s_cbranch_execz .LBB427_338
.LBB427_341:                            ;   in Loop: Header=BB427_326 Depth=2
	v_xor_b32_e32 v8, 0x80, v6
	v_lshrrev_b32_sdwa v8, s73, v8 dst_sel:DWORD dst_unused:UNUSED_PAD src0_sel:DWORD src1_sel:BYTE_0
	v_and_b32_e32 v8, s59, v8
	v_lshl_or_b32 v8, v8, 4, v24
	ds_add_u32 v8, v52
	s_or_b64 exec, exec, s[16:17]
	v_cmp_gt_u32_e32 vcc, s21, v21
	s_and_saveexec_b64 s[16:17], vcc
	s_cbranch_execz .LBB427_325
.LBB427_342:                            ;   in Loop: Header=BB427_326 Depth=2
	v_xor_b32_e32 v8, 0x80, v5
	v_lshrrev_b32_sdwa v8, s73, v8 dst_sel:DWORD dst_unused:UNUSED_PAD src0_sel:DWORD src1_sel:BYTE_0
	v_and_b32_e32 v8, s59, v8
	v_lshl_or_b32 v8, v8, 4, v24
	ds_add_u32 v8, v52
	s_branch .LBB427_325
.LBB427_343:                            ;   in Loop: Header=BB427_326 Depth=2
	v_mov_b32_e32 v4, s21
	s_waitcnt vmcnt(0)
	v_add_co_u32_e32 v8, vcc, s20, v0
	v_addc_co_u32_e32 v9, vcc, 0, v4, vcc
	global_load_ubyte v4, v[8:9], off
	s_or_b64 exec, exec, s[16:17]
	v_cmp_gt_u32_e32 vcc, s18, v19
	s_and_saveexec_b64 s[16:17], vcc
	s_cbranch_execz .LBB427_331
.LBB427_344:                            ;   in Loop: Header=BB427_326 Depth=2
	s_waitcnt vmcnt(0)
	v_mov_b32_e32 v8, s21
	v_add_co_u32_e32 v7, vcc, s20, v0
	v_addc_co_u32_e32 v8, vcc, 0, v8, vcc
	global_load_ubyte v7, v[7:8], off offset:256
	s_or_b64 exec, exec, s[16:17]
	v_cmp_gt_u32_e32 vcc, s18, v20
	s_and_saveexec_b64 s[16:17], vcc
	s_cbranch_execz .LBB427_332
.LBB427_345:                            ;   in Loop: Header=BB427_326 Depth=2
	v_mov_b32_e32 v6, s21
	s_waitcnt vmcnt(0)
	v_add_co_u32_e32 v8, vcc, s20, v0
	v_addc_co_u32_e32 v9, vcc, 0, v6, vcc
	global_load_ubyte v6, v[8:9], off offset:512
	s_or_b64 exec, exec, s[16:17]
	v_cmp_gt_u32_e32 vcc, s18, v21
	s_and_saveexec_b64 s[16:17], vcc
	s_cbranch_execnz .LBB427_333
	s_branch .LBB427_334
.LBB427_346:                            ;   in Loop: Header=BB427_20 Depth=1
	v_mov_b32_e32 v4, 0
	s_waitcnt lgkmcnt(0)
	s_barrier
	s_and_saveexec_b64 s[16:17], s[4:5]
	s_cbranch_execz .LBB427_348
; %bb.347:                              ;   in Loop: Header=BB427_20 Depth=1
	ds_read2_b64 v[4:7], v25 offset1:1
	s_waitcnt lgkmcnt(0)
	v_add_u32_e32 v4, v5, v4
	v_add3_u32 v4, v4, v6, v7
.LBB427_348:                            ;   in Loop: Header=BB427_20 Depth=1
	s_or_b64 exec, exec, s[16:17]
	s_nop 0
	v_mov_b32_dpp v5, v4 row_shr:1 row_mask:0xf bank_mask:0xf
	v_cmp_eq_u32_e64 s[16:17], 0, v55
	v_cndmask_b32_e64 v5, v5, 0, s[16:17]
	v_add_u32_e32 v4, v5, v4
	v_cmp_lt_u32_e64 s[18:19], 1, v55
	v_cmp_lt_u32_e64 s[20:21], 3, v55
	v_mov_b32_dpp v5, v4 row_shr:2 row_mask:0xf bank_mask:0xf
	v_cndmask_b32_e64 v5, 0, v5, s[18:19]
	v_add_u32_e32 v4, v4, v5
	v_cmp_lt_u32_e64 s[22:23], 7, v55
	v_cmp_lt_u32_e64 s[26:27], 31, v45
	v_mov_b32_dpp v5, v4 row_shr:4 row_mask:0xf bank_mask:0xf
	v_cndmask_b32_e64 v5, 0, v5, s[20:21]
	v_add_u32_e32 v4, v4, v5
	v_cmp_eq_u32_e64 s[24:25], 0, v57
	s_nop 0
	v_mov_b32_dpp v5, v4 row_shr:8 row_mask:0xf bank_mask:0xf
	v_cndmask_b32_e64 v5, 0, v5, s[22:23]
	v_add_u32_e32 v4, v4, v5
	s_nop 1
	v_mov_b32_dpp v5, v4 row_bcast:15 row_mask:0xf bank_mask:0xf
	v_and_b32_e32 v5, v56, v5
	v_add_u32_e32 v4, v4, v5
	s_nop 1
	v_mov_b32_dpp v5, v4 row_bcast:31 row_mask:0xf bank_mask:0xf
	v_cndmask_b32_e64 v5, 0, v5, s[26:27]
	v_add_u32_e32 v4, v4, v5
	s_and_saveexec_b64 s[28:29], s[6:7]
; %bb.349:                              ;   in Loop: Header=BB427_20 Depth=1
	ds_write_b32 v27, v4
; %bb.350:                              ;   in Loop: Header=BB427_20 Depth=1
	s_or_b64 exec, exec, s[28:29]
	s_waitcnt lgkmcnt(0)
	s_barrier
	s_and_saveexec_b64 s[28:29], s[8:9]
	s_cbranch_execz .LBB427_352
; %bb.351:                              ;   in Loop: Header=BB427_20 Depth=1
	ds_read_b32 v5, v48
	v_cmp_ne_u32_e32 vcc, 0, v58
	s_waitcnt lgkmcnt(0)
	v_mov_b32_dpp v6, v5 row_shr:1 row_mask:0xf bank_mask:0xf
	v_cndmask_b32_e32 v6, 0, v6, vcc
	v_add_u32_e32 v5, v6, v5
	v_cmp_lt_u32_e32 vcc, 1, v58
	s_nop 0
	v_mov_b32_dpp v6, v5 row_shr:2 row_mask:0xf bank_mask:0xf
	v_cndmask_b32_e32 v6, 0, v6, vcc
	v_add_u32_e32 v5, v5, v6
	ds_write_b32 v48, v5
.LBB427_352:                            ;   in Loop: Header=BB427_20 Depth=1
	s_or_b64 exec, exec, s[28:29]
	v_mov_b32_e32 v5, 0
	s_waitcnt lgkmcnt(0)
	s_barrier
	s_and_saveexec_b64 s[28:29], s[10:11]
; %bb.353:                              ;   in Loop: Header=BB427_20 Depth=1
	ds_read_b32 v5, v49
; %bb.354:                              ;   in Loop: Header=BB427_20 Depth=1
	s_or_b64 exec, exec, s[28:29]
	v_subrev_co_u32_e64 v6, s[28:29], 1, v45
	v_cmp_lt_i32_e32 vcc, v6, v59
	v_cndmask_b32_e32 v6, v6, v45, vcc
	s_waitcnt lgkmcnt(0)
	v_add_u32_e32 v4, v5, v4
	v_lshlrev_b32_e32 v64, 2, v6
	ds_bpermute_b32 v4, v64, v4
	s_waitcnt lgkmcnt(0)
	s_barrier
	s_and_saveexec_b64 s[30:31], s[4:5]
; %bb.355:                              ;   in Loop: Header=BB427_20 Depth=1
	v_cndmask_b32_e64 v4, v4, v5, s[28:29]
	v_add_u32_e32 v4, s49, v4
	ds_write_b32 v18, v4
; %bb.356:                              ;   in Loop: Header=BB427_20 Depth=1
	s_or_b64 exec, exec, s[30:31]
	s_load_dwordx2 s[30:31], s[44:45], 0x0
	v_add_co_u32_e32 v65, vcc, v41, v60
	v_addc_co_u32_e32 v66, vcc, 0, v42, vcc
	s_waitcnt lgkmcnt(0)
	s_cmp_lt_u32 s33, s31
	s_cselect_b32 s31, 14, 20
	s_add_u32 s34, s44, s31
	s_addc_u32 s35, s45, 0
	s_cmp_lt_u32 s48, s30
	s_cselect_b32 s30, 12, 18
	s_add_u32 s30, s44, s30
	global_load_ushort v4, v3, s[34:35]
	s_addc_u32 s31, s45, 0
	global_load_ushort v5, v3, s[30:31]
	v_add_co_u32_e32 v67, vcc, v43, v46
	v_cmp_eq_u32_e64 s[30:31], 0, v58
	v_cmp_lt_u32_e64 s[34:35], 1, v58
	v_addc_co_u32_e32 v68, vcc, 0, v44, vcc
	s_mov_b32 s60, s75
	s_mov_b32 s46, s49
                                        ; implicit-def: $vgpr7_vgpr8
                                        ; implicit-def: $vgpr9_vgpr10
                                        ; implicit-def: $vgpr11_vgpr12
                                        ; implicit-def: $vgpr69
                                        ; implicit-def: $vgpr70
                                        ; implicit-def: $vgpr72
                                        ; implicit-def: $vgpr73
	s_waitcnt vmcnt(1)
	v_mad_u32_u24 v4, v2, v4, v1
	s_waitcnt vmcnt(0)
	v_mad_u64_u32 v[4:5], s[36:37], v4, v5, v[0:1]
                                        ; implicit-def: $vgpr5_vgpr6
	v_lshrrev_b32_e32 v4, 4, v4
	v_and_b32_e32 v71, 0xffffffc, v4
	s_branch .LBB427_358
.LBB427_357:                            ;   in Loop: Header=BB427_358 Depth=2
	s_or_b64 exec, exec, s[36:37]
	s_addk_i32 s60, 0xfc00
	s_cmp_lt_u32 s61, s76
	s_mov_b32 s46, s61
	s_cbranch_scc0 .LBB427_18
.LBB427_358:                            ;   Parent Loop BB427_20 Depth=1
                                        ; =>  This Inner Loop Header: Depth=2
	s_add_i32 s61, s46, 0x400
	s_cmp_gt_u32 s61, s76
	s_cbranch_scc1 .LBB427_360
; %bb.359:                              ;   in Loop: Header=BB427_358 Depth=2
	v_add_co_u32_e32 v13, vcc, s46, v67
	v_addc_co_u32_e32 v14, vcc, 0, v68, vcc
	global_load_ubyte v16, v[13:14], off offset:128
	global_load_ubyte v76, v[13:14], off offset:64
	global_load_ubyte v4, v[13:14], off
	s_mov_b64 s[36:37], -1
	s_movk_i32 s40, 0x400
                                        ; implicit-def: $vgpr15
	s_cbranch_execz .LBB427_361
	s_branch .LBB427_366
.LBB427_360:                            ;   in Loop: Header=BB427_358 Depth=2
	s_mov_b64 s[36:37], 0
                                        ; implicit-def: $vgpr4
                                        ; implicit-def: $vgpr76
                                        ; implicit-def: $vgpr16
	s_movk_i32 s40, 0x400
                                        ; implicit-def: $vgpr15
.LBB427_361:                            ;   in Loop: Header=BB427_358 Depth=2
	v_add_co_u32_e32 v13, vcc, s46, v67
	v_addc_co_u32_e32 v14, vcc, 0, v68, vcc
	v_cmp_gt_u32_e32 vcc, s60, v47
	v_mov_b32_e32 v15, 0x7f
	s_waitcnt vmcnt(0)
	v_mov_b32_e32 v4, 0x7f
	v_mov_b32_e32 v76, 0x7f
	;; [unrolled: 1-line block ×3, first 2 shown]
	s_and_saveexec_b64 s[36:37], vcc
	s_cbranch_execnz .LBB427_420
; %bb.362:                              ;   in Loop: Header=BB427_358 Depth=2
	s_or_b64 exec, exec, s[36:37]
	v_cmp_gt_u32_e32 vcc, s60, v61
	s_and_saveexec_b64 s[36:37], vcc
	s_cbranch_execnz .LBB427_421
.LBB427_363:                            ;   in Loop: Header=BB427_358 Depth=2
	s_or_b64 exec, exec, s[36:37]
	v_cmp_gt_u32_e32 vcc, s60, v62
	s_and_saveexec_b64 s[36:37], vcc
	s_cbranch_execz .LBB427_365
.LBB427_364:                            ;   in Loop: Header=BB427_358 Depth=2
	global_load_ubyte v16, v[13:14], off offset:128
.LBB427_365:                            ;   in Loop: Header=BB427_358 Depth=2
	s_or_b64 exec, exec, s[36:37]
	s_sub_i32 s40, s76, s46
	v_cmp_gt_u32_e64 s[36:37], s60, v63
.LBB427_366:                            ;   in Loop: Header=BB427_358 Depth=2
	v_mov_b32_e32 v74, s60
	s_and_saveexec_b64 s[38:39], s[36:37]
	s_cbranch_execz .LBB427_368
; %bb.367:                              ;   in Loop: Header=BB427_358 Depth=2
	v_mov_b32_e32 v14, s47
	v_add_co_u32_e32 v13, vcc, s46, v67
	v_addc_co_u32_e32 v14, vcc, v68, v14, vcc
	global_load_ubyte v15, v[13:14], off offset:192
	v_mov_b32_e32 v74, s40
.LBB427_368:                            ;   in Loop: Header=BB427_358 Depth=2
	s_or_b64 exec, exec, s[38:39]
	s_waitcnt vmcnt(0)
	v_xor_b32_e32 v17, 0xffffff80, v4
	v_lshrrev_b32_sdwa v4, s73, v17 dst_sel:DWORD dst_unused:UNUSED_PAD src0_sel:DWORD src1_sel:BYTE_0
	v_and_b32_e32 v13, s59, v4
	v_and_b32_e32 v4, 1, v13
	v_add_co_u32_e32 v14, vcc, -1, v4
	v_addc_co_u32_e64 v75, s[36:37], 0, -1, vcc
	v_cmp_ne_u32_e32 vcc, 0, v4
	v_xor_b32_e32 v4, vcc_hi, v75
	v_and_b32_e32 v75, exec_hi, v4
	v_lshlrev_b32_e32 v4, 30, v13
	v_xor_b32_e32 v14, vcc_lo, v14
	v_cmp_gt_i64_e32 vcc, 0, v[3:4]
	v_not_b32_e32 v4, v4
	v_ashrrev_i32_e32 v4, 31, v4
	v_and_b32_e32 v14, exec_lo, v14
	v_xor_b32_e32 v78, vcc_hi, v4
	v_xor_b32_e32 v4, vcc_lo, v4
	v_and_b32_e32 v14, v14, v4
	v_lshlrev_b32_e32 v4, 29, v13
	v_cmp_gt_i64_e32 vcc, 0, v[3:4]
	v_not_b32_e32 v4, v4
	v_ashrrev_i32_e32 v4, 31, v4
	v_and_b32_e32 v75, v75, v78
	v_xor_b32_e32 v78, vcc_hi, v4
	v_xor_b32_e32 v4, vcc_lo, v4
	v_and_b32_e32 v14, v14, v4
	v_lshlrev_b32_e32 v4, 28, v13
	v_cmp_gt_i64_e32 vcc, 0, v[3:4]
	v_not_b32_e32 v4, v4
	v_ashrrev_i32_e32 v4, 31, v4
	v_and_b32_e32 v75, v75, v78
	;; [unrolled: 8-line block ×5, first 2 shown]
	v_xor_b32_e32 v78, vcc_hi, v4
	v_xor_b32_e32 v4, vcc_lo, v4
	v_and_b32_e32 v75, v75, v78
	v_and_b32_e32 v78, v14, v4
	v_lshlrev_b32_e32 v4, 24, v13
	v_cmp_gt_i64_e32 vcc, 0, v[3:4]
	v_not_b32_e32 v4, v4
	v_ashrrev_i32_e32 v4, 31, v4
	v_mul_u32_u24_e32 v77, 20, v13
	v_xor_b32_e32 v13, vcc_hi, v4
	v_xor_b32_e32 v4, vcc_lo, v4
	v_and_b32_e32 v14, v75, v13
	v_and_b32_e32 v13, v78, v4
	v_mbcnt_lo_u32_b32 v4, v13, 0
	v_mbcnt_hi_u32_b32 v75, v14, v4
	v_cmp_ne_u64_e32 vcc, 0, v[13:14]
	v_cmp_eq_u32_e64 s[36:37], 0, v75
	s_and_b64 s[38:39], vcc, s[36:37]
	v_add_u32_e32 v78, v71, v77
	ds_write2_b32 v53, v3, v3 offset1:1
	ds_write2_b32 v54, v3, v3 offset1:1
	ds_write_b32 v50, v3 offset:1056
	s_waitcnt lgkmcnt(0)
	s_barrier
	; wave barrier
	s_and_saveexec_b64 s[36:37], s[38:39]
; %bb.369:                              ;   in Loop: Header=BB427_358 Depth=2
	v_bcnt_u32_b32 v4, v13, 0
	v_bcnt_u32_b32 v4, v14, v4
	ds_write_b32 v78, v4 offset:1040
; %bb.370:                              ;   in Loop: Header=BB427_358 Depth=2
	s_or_b64 exec, exec, s[36:37]
	v_xor_b32_e32 v76, 0xffffff80, v76
	v_lshrrev_b32_sdwa v4, s73, v76 dst_sel:DWORD dst_unused:UNUSED_PAD src0_sel:DWORD src1_sel:BYTE_0
	v_and_b32_e32 v13, s59, v4
	v_mad_u32_u24 v4, v13, 20, v71
	; wave barrier
	ds_read_b32 v77, v4 offset:1040
	v_and_b32_e32 v4, 1, v13
	v_add_co_u32_e32 v14, vcc, -1, v4
	v_addc_co_u32_e64 v79, s[36:37], 0, -1, vcc
	v_cmp_ne_u32_e32 vcc, 0, v4
	v_xor_b32_e32 v4, vcc_hi, v79
	v_and_b32_e32 v79, exec_hi, v4
	v_lshlrev_b32_e32 v4, 30, v13
	v_xor_b32_e32 v14, vcc_lo, v14
	v_cmp_gt_i64_e32 vcc, 0, v[3:4]
	v_not_b32_e32 v4, v4
	v_ashrrev_i32_e32 v4, 31, v4
	v_and_b32_e32 v14, exec_lo, v14
	v_xor_b32_e32 v81, vcc_hi, v4
	v_xor_b32_e32 v4, vcc_lo, v4
	v_and_b32_e32 v14, v14, v4
	v_lshlrev_b32_e32 v4, 29, v13
	v_cmp_gt_i64_e32 vcc, 0, v[3:4]
	v_not_b32_e32 v4, v4
	v_ashrrev_i32_e32 v4, 31, v4
	v_and_b32_e32 v79, v79, v81
	v_xor_b32_e32 v81, vcc_hi, v4
	v_xor_b32_e32 v4, vcc_lo, v4
	v_and_b32_e32 v14, v14, v4
	v_lshlrev_b32_e32 v4, 28, v13
	v_cmp_gt_i64_e32 vcc, 0, v[3:4]
	v_not_b32_e32 v4, v4
	v_ashrrev_i32_e32 v4, 31, v4
	v_and_b32_e32 v79, v79, v81
	;; [unrolled: 8-line block ×5, first 2 shown]
	v_xor_b32_e32 v81, vcc_hi, v4
	v_xor_b32_e32 v4, vcc_lo, v4
	v_and_b32_e32 v79, v79, v81
	v_and_b32_e32 v81, v14, v4
	v_lshlrev_b32_e32 v4, 24, v13
	v_cmp_gt_i64_e32 vcc, 0, v[3:4]
	v_not_b32_e32 v4, v4
	v_ashrrev_i32_e32 v4, 31, v4
	v_mul_u32_u24_e32 v80, 20, v13
	v_xor_b32_e32 v13, vcc_hi, v4
	v_xor_b32_e32 v4, vcc_lo, v4
	v_and_b32_e32 v14, v79, v13
	v_and_b32_e32 v13, v81, v4
	v_mbcnt_lo_u32_b32 v4, v13, 0
	v_mbcnt_hi_u32_b32 v79, v14, v4
	v_cmp_ne_u64_e32 vcc, 0, v[13:14]
	v_cmp_eq_u32_e64 s[36:37], 0, v79
	s_and_b64 s[38:39], vcc, s[36:37]
	v_add_u32_e32 v82, v71, v80
	; wave barrier
	s_and_saveexec_b64 s[36:37], s[38:39]
	s_cbranch_execz .LBB427_372
; %bb.371:                              ;   in Loop: Header=BB427_358 Depth=2
	v_bcnt_u32_b32 v4, v13, 0
	v_bcnt_u32_b32 v4, v14, v4
	s_waitcnt lgkmcnt(0)
	v_add_u32_e32 v4, v77, v4
	ds_write_b32 v82, v4 offset:1040
.LBB427_372:                            ;   in Loop: Header=BB427_358 Depth=2
	s_or_b64 exec, exec, s[36:37]
	v_xor_b32_e32 v80, 0xffffff80, v16
	v_lshrrev_b32_sdwa v4, s73, v80 dst_sel:DWORD dst_unused:UNUSED_PAD src0_sel:DWORD src1_sel:BYTE_0
	v_and_b32_e32 v13, s59, v4
	v_mad_u32_u24 v4, v13, 20, v71
	; wave barrier
	ds_read_b32 v81, v4 offset:1040
	v_and_b32_e32 v4, 1, v13
	v_add_co_u32_e32 v14, vcc, -1, v4
	v_addc_co_u32_e64 v83, s[36:37], 0, -1, vcc
	v_cmp_ne_u32_e32 vcc, 0, v4
	v_xor_b32_e32 v4, vcc_hi, v83
	v_and_b32_e32 v83, exec_hi, v4
	v_lshlrev_b32_e32 v4, 30, v13
	v_xor_b32_e32 v14, vcc_lo, v14
	v_cmp_gt_i64_e32 vcc, 0, v[3:4]
	v_not_b32_e32 v4, v4
	v_ashrrev_i32_e32 v4, 31, v4
	v_and_b32_e32 v14, exec_lo, v14
	v_xor_b32_e32 v84, vcc_hi, v4
	v_xor_b32_e32 v4, vcc_lo, v4
	v_and_b32_e32 v14, v14, v4
	v_lshlrev_b32_e32 v4, 29, v13
	v_cmp_gt_i64_e32 vcc, 0, v[3:4]
	v_not_b32_e32 v4, v4
	v_ashrrev_i32_e32 v4, 31, v4
	v_and_b32_e32 v83, v83, v84
	v_xor_b32_e32 v84, vcc_hi, v4
	v_xor_b32_e32 v4, vcc_lo, v4
	v_and_b32_e32 v14, v14, v4
	v_lshlrev_b32_e32 v4, 28, v13
	v_cmp_gt_i64_e32 vcc, 0, v[3:4]
	v_not_b32_e32 v4, v4
	v_ashrrev_i32_e32 v4, 31, v4
	v_and_b32_e32 v83, v83, v84
	;; [unrolled: 8-line block ×5, first 2 shown]
	v_xor_b32_e32 v84, vcc_hi, v4
	v_xor_b32_e32 v4, vcc_lo, v4
	v_and_b32_e32 v83, v83, v84
	v_and_b32_e32 v84, v14, v4
	v_lshlrev_b32_e32 v4, 24, v13
	v_cmp_gt_i64_e32 vcc, 0, v[3:4]
	v_not_b32_e32 v4, v4
	v_ashrrev_i32_e32 v4, 31, v4
	v_mul_u32_u24_e32 v16, 20, v13
	v_xor_b32_e32 v13, vcc_hi, v4
	v_xor_b32_e32 v4, vcc_lo, v4
	v_and_b32_e32 v14, v83, v13
	v_and_b32_e32 v13, v84, v4
	v_mbcnt_lo_u32_b32 v4, v13, 0
	v_mbcnt_hi_u32_b32 v83, v14, v4
	v_cmp_ne_u64_e32 vcc, 0, v[13:14]
	v_cmp_eq_u32_e64 s[36:37], 0, v83
	s_and_b64 s[38:39], vcc, s[36:37]
	v_add_u32_e32 v86, v71, v16
	; wave barrier
	s_and_saveexec_b64 s[36:37], s[38:39]
	s_cbranch_execz .LBB427_374
; %bb.373:                              ;   in Loop: Header=BB427_358 Depth=2
	v_bcnt_u32_b32 v4, v13, 0
	v_bcnt_u32_b32 v4, v14, v4
	s_waitcnt lgkmcnt(0)
	v_add_u32_e32 v4, v81, v4
	ds_write_b32 v86, v4 offset:1040
.LBB427_374:                            ;   in Loop: Header=BB427_358 Depth=2
	s_or_b64 exec, exec, s[36:37]
	v_xor_b32_e32 v84, 0xffffff80, v15
	v_lshrrev_b32_sdwa v4, s73, v84 dst_sel:DWORD dst_unused:UNUSED_PAD src0_sel:DWORD src1_sel:BYTE_0
	v_and_b32_e32 v13, s59, v4
	v_mad_u32_u24 v4, v13, 20, v71
	; wave barrier
	ds_read_b32 v85, v4 offset:1040
	v_and_b32_e32 v4, 1, v13
	v_add_co_u32_e32 v14, vcc, -1, v4
	v_addc_co_u32_e64 v16, s[36:37], 0, -1, vcc
	v_cmp_ne_u32_e32 vcc, 0, v4
	v_xor_b32_e32 v4, vcc_hi, v16
	v_and_b32_e32 v16, exec_hi, v4
	v_lshlrev_b32_e32 v4, 30, v13
	v_xor_b32_e32 v14, vcc_lo, v14
	v_cmp_gt_i64_e32 vcc, 0, v[3:4]
	v_not_b32_e32 v4, v4
	v_ashrrev_i32_e32 v4, 31, v4
	v_and_b32_e32 v14, exec_lo, v14
	v_xor_b32_e32 v87, vcc_hi, v4
	v_xor_b32_e32 v4, vcc_lo, v4
	v_and_b32_e32 v14, v14, v4
	v_lshlrev_b32_e32 v4, 29, v13
	v_cmp_gt_i64_e32 vcc, 0, v[3:4]
	v_not_b32_e32 v4, v4
	v_ashrrev_i32_e32 v4, 31, v4
	v_and_b32_e32 v16, v16, v87
	v_xor_b32_e32 v87, vcc_hi, v4
	v_xor_b32_e32 v4, vcc_lo, v4
	v_and_b32_e32 v14, v14, v4
	v_lshlrev_b32_e32 v4, 28, v13
	v_cmp_gt_i64_e32 vcc, 0, v[3:4]
	v_not_b32_e32 v4, v4
	v_ashrrev_i32_e32 v4, 31, v4
	v_and_b32_e32 v16, v16, v87
	;; [unrolled: 8-line block ×5, first 2 shown]
	v_xor_b32_e32 v87, vcc_hi, v4
	v_xor_b32_e32 v4, vcc_lo, v4
	v_and_b32_e32 v16, v16, v87
	v_and_b32_e32 v87, v14, v4
	v_lshlrev_b32_e32 v4, 24, v13
	v_cmp_gt_i64_e32 vcc, 0, v[3:4]
	v_not_b32_e32 v4, v4
	v_ashrrev_i32_e32 v4, 31, v4
	v_mul_u32_u24_e32 v15, 20, v13
	v_xor_b32_e32 v13, vcc_hi, v4
	v_xor_b32_e32 v4, vcc_lo, v4
	v_and_b32_e32 v14, v16, v13
	v_and_b32_e32 v13, v87, v4
	v_mbcnt_lo_u32_b32 v4, v13, 0
	v_mbcnt_hi_u32_b32 v4, v14, v4
	v_cmp_ne_u64_e32 vcc, 0, v[13:14]
	v_cmp_eq_u32_e64 s[36:37], 0, v4
	s_and_b64 s[38:39], vcc, s[36:37]
	v_add_u32_e32 v87, v71, v15
	; wave barrier
	s_and_saveexec_b64 s[36:37], s[38:39]
	s_cbranch_execz .LBB427_376
; %bb.375:                              ;   in Loop: Header=BB427_358 Depth=2
	v_bcnt_u32_b32 v13, v13, 0
	v_bcnt_u32_b32 v13, v14, v13
	s_waitcnt lgkmcnt(0)
	v_add_u32_e32 v13, v85, v13
	ds_write_b32 v87, v13 offset:1040
.LBB427_376:                            ;   in Loop: Header=BB427_358 Depth=2
	s_or_b64 exec, exec, s[36:37]
	; wave barrier
	s_waitcnt lgkmcnt(0)
	s_barrier
	ds_read2_b32 v[15:16], v53 offset1:1
	ds_read2_b32 v[13:14], v54 offset1:1
	ds_read_b32 v88, v50 offset:1056
	s_waitcnt lgkmcnt(1)
	v_add3_u32 v89, v16, v15, v13
	s_waitcnt lgkmcnt(0)
	v_add3_u32 v88, v89, v14, v88
	s_nop 1
	v_mov_b32_dpp v89, v88 row_shr:1 row_mask:0xf bank_mask:0xf
	v_cndmask_b32_e64 v89, v89, 0, s[16:17]
	v_add_u32_e32 v88, v89, v88
	s_nop 1
	v_mov_b32_dpp v89, v88 row_shr:2 row_mask:0xf bank_mask:0xf
	v_cndmask_b32_e64 v89, 0, v89, s[18:19]
	v_add_u32_e32 v88, v88, v89
	;; [unrolled: 4-line block ×4, first 2 shown]
	s_nop 1
	v_mov_b32_dpp v89, v88 row_bcast:15 row_mask:0xf bank_mask:0xf
	v_cndmask_b32_e64 v89, v89, 0, s[24:25]
	v_add_u32_e32 v88, v88, v89
	s_nop 1
	v_mov_b32_dpp v89, v88 row_bcast:31 row_mask:0xf bank_mask:0xf
	v_cndmask_b32_e64 v89, 0, v89, s[26:27]
	v_add_u32_e32 v88, v88, v89
	s_and_saveexec_b64 s[36:37], s[6:7]
; %bb.377:                              ;   in Loop: Header=BB427_358 Depth=2
	ds_write_b32 v26, v88 offset:1024
; %bb.378:                              ;   in Loop: Header=BB427_358 Depth=2
	s_or_b64 exec, exec, s[36:37]
	s_waitcnt lgkmcnt(0)
	s_barrier
	s_and_saveexec_b64 s[36:37], s[8:9]
	s_cbranch_execz .LBB427_380
; %bb.379:                              ;   in Loop: Header=BB427_358 Depth=2
	v_add_u32_e32 v89, v50, v28
	ds_read_b32 v90, v89 offset:1024
	s_waitcnt lgkmcnt(0)
	s_nop 0
	v_mov_b32_dpp v91, v90 row_shr:1 row_mask:0xf bank_mask:0xf
	v_cndmask_b32_e64 v91, v91, 0, s[30:31]
	v_add_u32_e32 v90, v91, v90
	s_nop 1
	v_mov_b32_dpp v91, v90 row_shr:2 row_mask:0xf bank_mask:0xf
	v_cndmask_b32_e64 v91, 0, v91, s[34:35]
	v_add_u32_e32 v90, v90, v91
	ds_write_b32 v89, v90 offset:1024
.LBB427_380:                            ;   in Loop: Header=BB427_358 Depth=2
	s_or_b64 exec, exec, s[36:37]
	v_mov_b32_e32 v89, 0
	s_waitcnt lgkmcnt(0)
	s_barrier
	s_and_saveexec_b64 s[36:37], s[10:11]
; %bb.381:                              ;   in Loop: Header=BB427_358 Depth=2
	ds_read_b32 v89, v26 offset:1020
; %bb.382:                              ;   in Loop: Header=BB427_358 Depth=2
	s_or_b64 exec, exec, s[36:37]
	s_waitcnt lgkmcnt(0)
	v_add_u32_e32 v88, v89, v88
	ds_bpermute_b32 v88, v64, v88
	s_waitcnt lgkmcnt(0)
	v_cndmask_b32_e64 v88, v88, v89, s[28:29]
	v_cndmask_b32_e64 v88, v88, 0, s[12:13]
	v_add_u32_e32 v15, v88, v15
	v_add_u32_e32 v16, v15, v16
	v_add_u32_e32 v13, v16, v13
	v_add_u32_e32 v14, v13, v14
	ds_write2_b32 v53, v88, v15 offset1:1
	ds_write2_b32 v54, v16, v13 offset1:1
	ds_write_b32 v50, v14 offset:1056
	s_waitcnt lgkmcnt(0)
	s_barrier
	ds_read_b32 v13, v78 offset:1040
	ds_read_b32 v14, v82 offset:1040
	;; [unrolled: 1-line block ×5, first 2 shown]
	v_mov_b32_e32 v78, 0x400
	s_and_saveexec_b64 s[36:37], s[14:15]
; %bb.383:                              ;   in Loop: Header=BB427_358 Depth=2
	ds_read_b32 v78, v50 offset:1060
; %bb.384:                              ;   in Loop: Header=BB427_358 Depth=2
	s_or_b64 exec, exec, s[36:37]
	s_waitcnt lgkmcnt(0)
	s_barrier
	s_and_saveexec_b64 s[36:37], s[4:5]
	s_cbranch_execz .LBB427_386
; %bb.385:                              ;   in Loop: Header=BB427_358 Depth=2
	ds_read_b32 v86, v18
	s_waitcnt lgkmcnt(0)
	v_sub_u32_e32 v15, v86, v15
	ds_write_b32 v18, v15
.LBB427_386:                            ;   in Loop: Header=BB427_358 Depth=2
	s_or_b64 exec, exec, s[36:37]
	v_add_u32_e32 v15, v13, v75
	v_add3_u32 v14, v79, v77, v14
	v_add3_u32 v13, v83, v81, v16
	;; [unrolled: 1-line block ×3, first 2 shown]
	v_cmp_lt_u32_e64 s[40:41], v0, v74
	ds_write_b8 v15, v17 offset:1024
	ds_write_b8 v14, v76 offset:1024
	;; [unrolled: 1-line block ×4, first 2 shown]
	s_waitcnt lgkmcnt(0)
	s_barrier
	s_and_saveexec_b64 s[36:37], s[40:41]
	s_cbranch_execnz .LBB427_407
; %bb.387:                              ;   in Loop: Header=BB427_358 Depth=2
	s_or_b64 exec, exec, s[36:37]
	v_cmp_lt_u32_e64 s[38:39], v19, v74
	s_and_saveexec_b64 s[36:37], s[38:39]
	s_cbranch_execnz .LBB427_408
.LBB427_388:                            ;   in Loop: Header=BB427_358 Depth=2
	s_or_b64 exec, exec, s[36:37]
	v_cmp_lt_u32_e64 s[36:37], v20, v74
	s_and_saveexec_b64 s[42:43], s[36:37]
	s_cbranch_execnz .LBB427_409
.LBB427_389:                            ;   in Loop: Header=BB427_358 Depth=2
	s_or_b64 exec, exec, s[42:43]
	v_cmp_lt_u32_e32 vcc, v21, v74
	s_and_saveexec_b64 s[42:43], vcc
	s_cbranch_execz .LBB427_391
.LBB427_390:                            ;   in Loop: Header=BB427_358 Depth=2
	ds_read_u8 v16, v0 offset:1792
	s_waitcnt lgkmcnt(0)
	v_lshrrev_b32_sdwa v17, s73, v16 dst_sel:DWORD dst_unused:UNUSED_PAD src0_sel:DWORD src1_sel:BYTE_0
	v_and_b32_e32 v17, s59, v17
	v_lshlrev_b32_e32 v17, 2, v17
	ds_read_b32 v17, v17
	v_xor_b32_e32 v16, 0x80, v16
	s_waitcnt lgkmcnt(0)
	v_add_u32_e32 v17, v17, v21
	global_store_byte v17, v16, s[68:69]
.LBB427_391:                            ;   in Loop: Header=BB427_358 Depth=2
	s_or_b64 exec, exec, s[42:43]
	s_lshl_b64 s[42:43], s[46:47], 3
	v_mov_b32_e32 v17, s43
	v_add_co_u32_e64 v16, s[42:43], s42, v65
	v_addc_co_u32_e64 v17, s[42:43], v66, v17, s[42:43]
	v_cmp_lt_u32_e64 s[42:43], v47, v74
	s_and_saveexec_b64 s[56:57], s[42:43]
	s_xor_b64 s[42:43], exec, s[56:57]
	s_cbranch_execnz .LBB427_410
; %bb.392:                              ;   in Loop: Header=BB427_358 Depth=2
	s_or_b64 exec, exec, s[42:43]
	v_cmp_lt_u32_e64 s[42:43], v61, v74
	s_and_saveexec_b64 s[56:57], s[42:43]
	s_cbranch_execnz .LBB427_411
.LBB427_393:                            ;   in Loop: Header=BB427_358 Depth=2
	s_or_b64 exec, exec, s[56:57]
	v_cmp_lt_u32_e64 s[42:43], v62, v74
	s_and_saveexec_b64 s[56:57], s[42:43]
	s_cbranch_execnz .LBB427_412
.LBB427_394:                            ;   in Loop: Header=BB427_358 Depth=2
	s_or_b64 exec, exec, s[56:57]
	v_cmp_lt_u32_e64 s[42:43], v63, v74
	s_and_saveexec_b64 s[56:57], s[42:43]
	s_cbranch_execnz .LBB427_413
.LBB427_395:                            ;   in Loop: Header=BB427_358 Depth=2
	s_or_b64 exec, exec, s[56:57]
	s_and_saveexec_b64 s[42:43], s[40:41]
	s_cbranch_execnz .LBB427_414
.LBB427_396:                            ;   in Loop: Header=BB427_358 Depth=2
	s_or_b64 exec, exec, s[42:43]
	s_and_saveexec_b64 s[42:43], s[38:39]
	s_cbranch_execnz .LBB427_415
.LBB427_397:                            ;   in Loop: Header=BB427_358 Depth=2
	s_or_b64 exec, exec, s[42:43]
	s_and_saveexec_b64 s[42:43], s[36:37]
	s_cbranch_execnz .LBB427_416
.LBB427_398:                            ;   in Loop: Header=BB427_358 Depth=2
	s_or_b64 exec, exec, s[42:43]
	s_and_saveexec_b64 s[42:43], vcc
	s_cbranch_execz .LBB427_400
.LBB427_399:                            ;   in Loop: Header=BB427_358 Depth=2
	ds_read_u8 v16, v0 offset:1792
	s_waitcnt lgkmcnt(0)
	v_lshrrev_b32_e32 v16, s73, v16
	v_and_b32_e32 v69, s59, v16
.LBB427_400:                            ;   in Loop: Header=BB427_358 Depth=2
	s_or_b64 exec, exec, s[42:43]
	v_mad_u64_u32 v[15:16], s[42:43], v15, 7, v[15:16]
	s_waitcnt vmcnt(0)
	v_mad_u64_u32 v[74:75], s[42:43], v4, 7, v[4:5]
	v_mad_u64_u32 v[16:17], s[42:43], v14, 7, v[14:15]
	;; [unrolled: 1-line block ×3, first 2 shown]
	v_add_u32_e32 v4, v0, v51
	s_barrier
	ds_write_b64 v15, v[11:12] offset:1024
	ds_write_b64 v16, v[9:10] offset:1024
	;; [unrolled: 1-line block ×4, first 2 shown]
	s_waitcnt lgkmcnt(0)
	s_barrier
	s_and_saveexec_b64 s[42:43], s[40:41]
	s_cbranch_execnz .LBB427_417
; %bb.401:                              ;   in Loop: Header=BB427_358 Depth=2
	s_or_b64 exec, exec, s[42:43]
	s_and_saveexec_b64 s[40:41], s[38:39]
	s_cbranch_execnz .LBB427_418
.LBB427_402:                            ;   in Loop: Header=BB427_358 Depth=2
	s_or_b64 exec, exec, s[40:41]
	s_and_saveexec_b64 s[38:39], s[36:37]
	s_cbranch_execnz .LBB427_419
.LBB427_403:                            ;   in Loop: Header=BB427_358 Depth=2
	s_or_b64 exec, exec, s[38:39]
	s_and_saveexec_b64 s[36:37], vcc
	s_cbranch_execz .LBB427_405
.LBB427_404:                            ;   in Loop: Header=BB427_358 Depth=2
	v_lshlrev_b32_e32 v13, 2, v69
	ds_read_b32 v15, v13
	ds_read_b64 v[13:14], v4 offset:7168
	v_mov_b32_e32 v16, v3
	v_mov_b32_e32 v4, s55
	s_waitcnt lgkmcnt(1)
	v_add_u32_e32 v15, v15, v21
	v_lshlrev_b64 v[15:16], 3, v[15:16]
	v_add_co_u32_e32 v15, vcc, s54, v15
	v_addc_co_u32_e32 v16, vcc, v4, v16, vcc
	s_waitcnt lgkmcnt(0)
	global_store_dwordx2 v[15:16], v[13:14], off
.LBB427_405:                            ;   in Loop: Header=BB427_358 Depth=2
	s_or_b64 exec, exec, s[36:37]
	s_waitcnt vmcnt(0)
	s_barrier
	s_and_saveexec_b64 s[36:37], s[4:5]
	s_cbranch_execz .LBB427_357
; %bb.406:                              ;   in Loop: Header=BB427_358 Depth=2
	ds_read_b32 v4, v18
	s_waitcnt lgkmcnt(0)
	v_add_u32_e32 v4, v4, v78
	ds_write_b32 v18, v4
	s_branch .LBB427_357
.LBB427_407:                            ;   in Loop: Header=BB427_358 Depth=2
	ds_read_u8 v16, v0 offset:1024
	s_waitcnt lgkmcnt(0)
	v_lshrrev_b32_sdwa v17, s73, v16 dst_sel:DWORD dst_unused:UNUSED_PAD src0_sel:DWORD src1_sel:BYTE_0
	v_and_b32_e32 v17, s59, v17
	v_lshlrev_b32_e32 v17, 2, v17
	ds_read_b32 v17, v17
	v_xor_b32_e32 v16, 0x80, v16
	s_waitcnt lgkmcnt(0)
	v_add_u32_e32 v17, v17, v0
	global_store_byte v17, v16, s[68:69]
	s_or_b64 exec, exec, s[36:37]
	v_cmp_lt_u32_e64 s[38:39], v19, v74
	s_and_saveexec_b64 s[36:37], s[38:39]
	s_cbranch_execz .LBB427_388
.LBB427_408:                            ;   in Loop: Header=BB427_358 Depth=2
	ds_read_u8 v16, v0 offset:1280
	s_waitcnt lgkmcnt(0)
	v_lshrrev_b32_sdwa v17, s73, v16 dst_sel:DWORD dst_unused:UNUSED_PAD src0_sel:DWORD src1_sel:BYTE_0
	v_and_b32_e32 v17, s59, v17
	v_lshlrev_b32_e32 v17, 2, v17
	ds_read_b32 v17, v17
	v_xor_b32_e32 v16, 0x80, v16
	s_waitcnt lgkmcnt(0)
	v_add_u32_e32 v17, v17, v19
	global_store_byte v17, v16, s[68:69]
	s_or_b64 exec, exec, s[36:37]
	v_cmp_lt_u32_e64 s[36:37], v20, v74
	s_and_saveexec_b64 s[42:43], s[36:37]
	s_cbranch_execz .LBB427_389
.LBB427_409:                            ;   in Loop: Header=BB427_358 Depth=2
	ds_read_u8 v16, v0 offset:1536
	s_waitcnt lgkmcnt(0)
	v_lshrrev_b32_sdwa v17, s73, v16 dst_sel:DWORD dst_unused:UNUSED_PAD src0_sel:DWORD src1_sel:BYTE_0
	v_and_b32_e32 v17, s59, v17
	v_lshlrev_b32_e32 v17, 2, v17
	ds_read_b32 v17, v17
	v_xor_b32_e32 v16, 0x80, v16
	s_waitcnt lgkmcnt(0)
	v_add_u32_e32 v17, v17, v20
	global_store_byte v17, v16, s[68:69]
	s_or_b64 exec, exec, s[42:43]
	v_cmp_lt_u32_e32 vcc, v21, v74
	s_and_saveexec_b64 s[42:43], vcc
	s_cbranch_execnz .LBB427_390
	s_branch .LBB427_391
.LBB427_410:                            ;   in Loop: Header=BB427_358 Depth=2
	global_load_dwordx2 v[11:12], v[16:17], off
	s_or_b64 exec, exec, s[42:43]
	v_cmp_lt_u32_e64 s[42:43], v61, v74
	s_and_saveexec_b64 s[56:57], s[42:43]
	s_cbranch_execz .LBB427_393
.LBB427_411:                            ;   in Loop: Header=BB427_358 Depth=2
	global_load_dwordx2 v[9:10], v[16:17], off offset:512
	s_or_b64 exec, exec, s[56:57]
	v_cmp_lt_u32_e64 s[42:43], v62, v74
	s_and_saveexec_b64 s[56:57], s[42:43]
	s_cbranch_execz .LBB427_394
.LBB427_412:                            ;   in Loop: Header=BB427_358 Depth=2
	global_load_dwordx2 v[7:8], v[16:17], off offset:1024
	s_or_b64 exec, exec, s[56:57]
	v_cmp_lt_u32_e64 s[42:43], v63, v74
	s_and_saveexec_b64 s[56:57], s[42:43]
	s_cbranch_execz .LBB427_395
.LBB427_413:                            ;   in Loop: Header=BB427_358 Depth=2
	global_load_dwordx2 v[5:6], v[16:17], off offset:1536
	s_or_b64 exec, exec, s[56:57]
	s_and_saveexec_b64 s[42:43], s[40:41]
	s_cbranch_execz .LBB427_396
.LBB427_414:                            ;   in Loop: Header=BB427_358 Depth=2
	ds_read_u8 v16, v0 offset:1024
	s_waitcnt lgkmcnt(0)
	v_lshrrev_b32_e32 v16, s73, v16
	v_and_b32_e32 v73, s59, v16
	s_or_b64 exec, exec, s[42:43]
	s_and_saveexec_b64 s[42:43], s[38:39]
	s_cbranch_execz .LBB427_397
.LBB427_415:                            ;   in Loop: Header=BB427_358 Depth=2
	ds_read_u8 v16, v0 offset:1280
	s_waitcnt lgkmcnt(0)
	v_lshrrev_b32_e32 v16, s73, v16
	v_and_b32_e32 v72, s59, v16
	s_or_b64 exec, exec, s[42:43]
	s_and_saveexec_b64 s[42:43], s[36:37]
	s_cbranch_execz .LBB427_398
.LBB427_416:                            ;   in Loop: Header=BB427_358 Depth=2
	ds_read_u8 v16, v0 offset:1536
	s_waitcnt lgkmcnt(0)
	v_lshrrev_b32_e32 v16, s73, v16
	v_and_b32_e32 v70, s59, v16
	s_or_b64 exec, exec, s[42:43]
	s_and_saveexec_b64 s[42:43], vcc
	s_cbranch_execnz .LBB427_399
	s_branch .LBB427_400
.LBB427_417:                            ;   in Loop: Header=BB427_358 Depth=2
	v_lshlrev_b32_e32 v13, 2, v73
	ds_read_b32 v15, v13
	ds_read_b64 v[13:14], v4 offset:1024
	v_mov_b32_e32 v16, v3
	v_mov_b32_e32 v17, s55
	s_waitcnt lgkmcnt(1)
	v_add_u32_e32 v15, v15, v0
	v_lshlrev_b64 v[15:16], 3, v[15:16]
	v_add_co_u32_e64 v15, s[40:41], s54, v15
	v_addc_co_u32_e64 v16, s[40:41], v17, v16, s[40:41]
	s_waitcnt lgkmcnt(0)
	global_store_dwordx2 v[15:16], v[13:14], off
	s_or_b64 exec, exec, s[42:43]
	s_and_saveexec_b64 s[40:41], s[38:39]
	s_cbranch_execz .LBB427_402
.LBB427_418:                            ;   in Loop: Header=BB427_358 Depth=2
	v_lshlrev_b32_e32 v13, 2, v72
	ds_read_b32 v15, v13
	ds_read_b64 v[13:14], v4 offset:3072
	v_mov_b32_e32 v16, v3
	v_mov_b32_e32 v17, s55
	s_waitcnt lgkmcnt(1)
	v_add_u32_e32 v15, v15, v19
	v_lshlrev_b64 v[15:16], 3, v[15:16]
	v_add_co_u32_e64 v15, s[38:39], s54, v15
	v_addc_co_u32_e64 v16, s[38:39], v17, v16, s[38:39]
	s_waitcnt lgkmcnt(0)
	global_store_dwordx2 v[15:16], v[13:14], off
	s_or_b64 exec, exec, s[40:41]
	s_and_saveexec_b64 s[38:39], s[36:37]
	s_cbranch_execz .LBB427_403
.LBB427_419:                            ;   in Loop: Header=BB427_358 Depth=2
	v_lshlrev_b32_e32 v13, 2, v70
	ds_read_b32 v15, v13
	ds_read_b64 v[13:14], v4 offset:5120
	v_mov_b32_e32 v16, v3
	v_mov_b32_e32 v17, s55
	s_waitcnt lgkmcnt(1)
	v_add_u32_e32 v15, v15, v20
	v_lshlrev_b64 v[15:16], 3, v[15:16]
	v_add_co_u32_e64 v15, s[36:37], s54, v15
	v_addc_co_u32_e64 v16, s[36:37], v17, v16, s[36:37]
	s_waitcnt lgkmcnt(0)
	global_store_dwordx2 v[15:16], v[13:14], off
	s_or_b64 exec, exec, s[38:39]
	s_and_saveexec_b64 s[36:37], vcc
	s_cbranch_execnz .LBB427_404
	s_branch .LBB427_405
.LBB427_420:                            ;   in Loop: Header=BB427_358 Depth=2
	global_load_ubyte v4, v[13:14], off
	v_mov_b32_e32 v15, 0x7f
	v_mov_b32_e32 v76, 0x7f
	;; [unrolled: 1-line block ×3, first 2 shown]
	s_or_b64 exec, exec, s[36:37]
	v_cmp_gt_u32_e32 vcc, s60, v61
	s_and_saveexec_b64 s[36:37], vcc
	s_cbranch_execz .LBB427_363
.LBB427_421:                            ;   in Loop: Header=BB427_358 Depth=2
	global_load_ubyte v76, v[13:14], off offset:64
	s_or_b64 exec, exec, s[36:37]
	v_cmp_gt_u32_e32 vcc, s60, v62
	s_and_saveexec_b64 s[36:37], vcc
	s_cbranch_execnz .LBB427_364
	s_branch .LBB427_365
.LBB427_422:
	s_endpgm
	.section	.rodata,"a",@progbits
	.p2align	6, 0x0
	.amdhsa_kernel _ZN7rocprim17ROCPRIM_400000_NS6detail17trampoline_kernelINS0_14default_configENS1_36segmented_radix_sort_config_selectorIalEEZNS1_25segmented_radix_sort_implIS3_Lb0EPKaPaPKlPlN2at6native12_GLOBAL__N_18offset_tEEE10hipError_tPvRmT1_PNSt15iterator_traitsISK_E10value_typeET2_T3_PNSL_ISQ_E10value_typeET4_jRbjT5_SW_jjP12ihipStream_tbEUlT_E2_NS1_11comp_targetILNS1_3genE2ELNS1_11target_archE906ELNS1_3gpuE6ELNS1_3repE0EEENS1_30default_config_static_selectorELNS0_4arch9wavefront6targetE1EEEvSK_
		.amdhsa_group_segment_fixed_size 9232
		.amdhsa_private_segment_fixed_size 0
		.amdhsa_kernarg_size 336
		.amdhsa_user_sgpr_count 6
		.amdhsa_user_sgpr_private_segment_buffer 1
		.amdhsa_user_sgpr_dispatch_ptr 0
		.amdhsa_user_sgpr_queue_ptr 0
		.amdhsa_user_sgpr_kernarg_segment_ptr 1
		.amdhsa_user_sgpr_dispatch_id 0
		.amdhsa_user_sgpr_flat_scratch_init 0
		.amdhsa_user_sgpr_private_segment_size 0
		.amdhsa_uses_dynamic_stack 0
		.amdhsa_system_sgpr_private_segment_wavefront_offset 0
		.amdhsa_system_sgpr_workgroup_id_x 1
		.amdhsa_system_sgpr_workgroup_id_y 1
		.amdhsa_system_sgpr_workgroup_id_z 0
		.amdhsa_system_sgpr_workgroup_info 0
		.amdhsa_system_vgpr_workitem_id 2
		.amdhsa_next_free_vgpr 97
		.amdhsa_next_free_sgpr 77
		.amdhsa_reserve_vcc 1
		.amdhsa_reserve_flat_scratch 0
		.amdhsa_float_round_mode_32 0
		.amdhsa_float_round_mode_16_64 0
		.amdhsa_float_denorm_mode_32 3
		.amdhsa_float_denorm_mode_16_64 3
		.amdhsa_dx10_clamp 1
		.amdhsa_ieee_mode 1
		.amdhsa_fp16_overflow 0
		.amdhsa_exception_fp_ieee_invalid_op 0
		.amdhsa_exception_fp_denorm_src 0
		.amdhsa_exception_fp_ieee_div_zero 0
		.amdhsa_exception_fp_ieee_overflow 0
		.amdhsa_exception_fp_ieee_underflow 0
		.amdhsa_exception_fp_ieee_inexact 0
		.amdhsa_exception_int_div_zero 0
	.end_amdhsa_kernel
	.section	.text._ZN7rocprim17ROCPRIM_400000_NS6detail17trampoline_kernelINS0_14default_configENS1_36segmented_radix_sort_config_selectorIalEEZNS1_25segmented_radix_sort_implIS3_Lb0EPKaPaPKlPlN2at6native12_GLOBAL__N_18offset_tEEE10hipError_tPvRmT1_PNSt15iterator_traitsISK_E10value_typeET2_T3_PNSL_ISQ_E10value_typeET4_jRbjT5_SW_jjP12ihipStream_tbEUlT_E2_NS1_11comp_targetILNS1_3genE2ELNS1_11target_archE906ELNS1_3gpuE6ELNS1_3repE0EEENS1_30default_config_static_selectorELNS0_4arch9wavefront6targetE1EEEvSK_,"axG",@progbits,_ZN7rocprim17ROCPRIM_400000_NS6detail17trampoline_kernelINS0_14default_configENS1_36segmented_radix_sort_config_selectorIalEEZNS1_25segmented_radix_sort_implIS3_Lb0EPKaPaPKlPlN2at6native12_GLOBAL__N_18offset_tEEE10hipError_tPvRmT1_PNSt15iterator_traitsISK_E10value_typeET2_T3_PNSL_ISQ_E10value_typeET4_jRbjT5_SW_jjP12ihipStream_tbEUlT_E2_NS1_11comp_targetILNS1_3genE2ELNS1_11target_archE906ELNS1_3gpuE6ELNS1_3repE0EEENS1_30default_config_static_selectorELNS0_4arch9wavefront6targetE1EEEvSK_,comdat
.Lfunc_end427:
	.size	_ZN7rocprim17ROCPRIM_400000_NS6detail17trampoline_kernelINS0_14default_configENS1_36segmented_radix_sort_config_selectorIalEEZNS1_25segmented_radix_sort_implIS3_Lb0EPKaPaPKlPlN2at6native12_GLOBAL__N_18offset_tEEE10hipError_tPvRmT1_PNSt15iterator_traitsISK_E10value_typeET2_T3_PNSL_ISQ_E10value_typeET4_jRbjT5_SW_jjP12ihipStream_tbEUlT_E2_NS1_11comp_targetILNS1_3genE2ELNS1_11target_archE906ELNS1_3gpuE6ELNS1_3repE0EEENS1_30default_config_static_selectorELNS0_4arch9wavefront6targetE1EEEvSK_, .Lfunc_end427-_ZN7rocprim17ROCPRIM_400000_NS6detail17trampoline_kernelINS0_14default_configENS1_36segmented_radix_sort_config_selectorIalEEZNS1_25segmented_radix_sort_implIS3_Lb0EPKaPaPKlPlN2at6native12_GLOBAL__N_18offset_tEEE10hipError_tPvRmT1_PNSt15iterator_traitsISK_E10value_typeET2_T3_PNSL_ISQ_E10value_typeET4_jRbjT5_SW_jjP12ihipStream_tbEUlT_E2_NS1_11comp_targetILNS1_3genE2ELNS1_11target_archE906ELNS1_3gpuE6ELNS1_3repE0EEENS1_30default_config_static_selectorELNS0_4arch9wavefront6targetE1EEEvSK_
                                        ; -- End function
	.set _ZN7rocprim17ROCPRIM_400000_NS6detail17trampoline_kernelINS0_14default_configENS1_36segmented_radix_sort_config_selectorIalEEZNS1_25segmented_radix_sort_implIS3_Lb0EPKaPaPKlPlN2at6native12_GLOBAL__N_18offset_tEEE10hipError_tPvRmT1_PNSt15iterator_traitsISK_E10value_typeET2_T3_PNSL_ISQ_E10value_typeET4_jRbjT5_SW_jjP12ihipStream_tbEUlT_E2_NS1_11comp_targetILNS1_3genE2ELNS1_11target_archE906ELNS1_3gpuE6ELNS1_3repE0EEENS1_30default_config_static_selectorELNS0_4arch9wavefront6targetE1EEEvSK_.num_vgpr, max(92, .L_ZN7rocprim17ROCPRIM_400000_NS6detail26segmented_warp_sort_helperINS1_20WarpSortHelperConfigILj8ELj4ELj256EEEalLi256ELb0EvE4sortIPKaPaPKlPlEEvT_T0_T1_T2_jjjjRNS5_12storage_typeE.num_vgpr, .L_ZN7rocprim17ROCPRIM_400000_NS6detail40segmented_radix_sort_single_block_helperIalLj256ELj4ELb0EE4sortIPKaPaPKlPlEEbT_T0_T1_T2_jjjjRNS3_12storage_typeE.num_vgpr)
	.set _ZN7rocprim17ROCPRIM_400000_NS6detail17trampoline_kernelINS0_14default_configENS1_36segmented_radix_sort_config_selectorIalEEZNS1_25segmented_radix_sort_implIS3_Lb0EPKaPaPKlPlN2at6native12_GLOBAL__N_18offset_tEEE10hipError_tPvRmT1_PNSt15iterator_traitsISK_E10value_typeET2_T3_PNSL_ISQ_E10value_typeET4_jRbjT5_SW_jjP12ihipStream_tbEUlT_E2_NS1_11comp_targetILNS1_3genE2ELNS1_11target_archE906ELNS1_3gpuE6ELNS1_3repE0EEENS1_30default_config_static_selectorELNS0_4arch9wavefront6targetE1EEEvSK_.num_agpr, max(0, .L_ZN7rocprim17ROCPRIM_400000_NS6detail26segmented_warp_sort_helperINS1_20WarpSortHelperConfigILj8ELj4ELj256EEEalLi256ELb0EvE4sortIPKaPaPKlPlEEvT_T0_T1_T2_jjjjRNS5_12storage_typeE.num_agpr, .L_ZN7rocprim17ROCPRIM_400000_NS6detail40segmented_radix_sort_single_block_helperIalLj256ELj4ELb0EE4sortIPKaPaPKlPlEEbT_T0_T1_T2_jjjjRNS3_12storage_typeE.num_agpr)
	.set _ZN7rocprim17ROCPRIM_400000_NS6detail17trampoline_kernelINS0_14default_configENS1_36segmented_radix_sort_config_selectorIalEEZNS1_25segmented_radix_sort_implIS3_Lb0EPKaPaPKlPlN2at6native12_GLOBAL__N_18offset_tEEE10hipError_tPvRmT1_PNSt15iterator_traitsISK_E10value_typeET2_T3_PNSL_ISQ_E10value_typeET4_jRbjT5_SW_jjP12ihipStream_tbEUlT_E2_NS1_11comp_targetILNS1_3genE2ELNS1_11target_archE906ELNS1_3gpuE6ELNS1_3repE0EEENS1_30default_config_static_selectorELNS0_4arch9wavefront6targetE1EEEvSK_.numbered_sgpr, max(77, .L_ZN7rocprim17ROCPRIM_400000_NS6detail26segmented_warp_sort_helperINS1_20WarpSortHelperConfigILj8ELj4ELj256EEEalLi256ELb0EvE4sortIPKaPaPKlPlEEvT_T0_T1_T2_jjjjRNS5_12storage_typeE.numbered_sgpr, .L_ZN7rocprim17ROCPRIM_400000_NS6detail40segmented_radix_sort_single_block_helperIalLj256ELj4ELb0EE4sortIPKaPaPKlPlEEbT_T0_T1_T2_jjjjRNS3_12storage_typeE.numbered_sgpr)
	.set _ZN7rocprim17ROCPRIM_400000_NS6detail17trampoline_kernelINS0_14default_configENS1_36segmented_radix_sort_config_selectorIalEEZNS1_25segmented_radix_sort_implIS3_Lb0EPKaPaPKlPlN2at6native12_GLOBAL__N_18offset_tEEE10hipError_tPvRmT1_PNSt15iterator_traitsISK_E10value_typeET2_T3_PNSL_ISQ_E10value_typeET4_jRbjT5_SW_jjP12ihipStream_tbEUlT_E2_NS1_11comp_targetILNS1_3genE2ELNS1_11target_archE906ELNS1_3gpuE6ELNS1_3repE0EEENS1_30default_config_static_selectorELNS0_4arch9wavefront6targetE1EEEvSK_.num_named_barrier, max(0, .L_ZN7rocprim17ROCPRIM_400000_NS6detail26segmented_warp_sort_helperINS1_20WarpSortHelperConfigILj8ELj4ELj256EEEalLi256ELb0EvE4sortIPKaPaPKlPlEEvT_T0_T1_T2_jjjjRNS5_12storage_typeE.num_named_barrier, .L_ZN7rocprim17ROCPRIM_400000_NS6detail40segmented_radix_sort_single_block_helperIalLj256ELj4ELb0EE4sortIPKaPaPKlPlEEbT_T0_T1_T2_jjjjRNS3_12storage_typeE.num_named_barrier)
	.set _ZN7rocprim17ROCPRIM_400000_NS6detail17trampoline_kernelINS0_14default_configENS1_36segmented_radix_sort_config_selectorIalEEZNS1_25segmented_radix_sort_implIS3_Lb0EPKaPaPKlPlN2at6native12_GLOBAL__N_18offset_tEEE10hipError_tPvRmT1_PNSt15iterator_traitsISK_E10value_typeET2_T3_PNSL_ISQ_E10value_typeET4_jRbjT5_SW_jjP12ihipStream_tbEUlT_E2_NS1_11comp_targetILNS1_3genE2ELNS1_11target_archE906ELNS1_3gpuE6ELNS1_3repE0EEENS1_30default_config_static_selectorELNS0_4arch9wavefront6targetE1EEEvSK_.private_seg_size, 0+max(.L_ZN7rocprim17ROCPRIM_400000_NS6detail26segmented_warp_sort_helperINS1_20WarpSortHelperConfigILj8ELj4ELj256EEEalLi256ELb0EvE4sortIPKaPaPKlPlEEvT_T0_T1_T2_jjjjRNS5_12storage_typeE.private_seg_size, .L_ZN7rocprim17ROCPRIM_400000_NS6detail40segmented_radix_sort_single_block_helperIalLj256ELj4ELb0EE4sortIPKaPaPKlPlEEbT_T0_T1_T2_jjjjRNS3_12storage_typeE.private_seg_size)
	.set _ZN7rocprim17ROCPRIM_400000_NS6detail17trampoline_kernelINS0_14default_configENS1_36segmented_radix_sort_config_selectorIalEEZNS1_25segmented_radix_sort_implIS3_Lb0EPKaPaPKlPlN2at6native12_GLOBAL__N_18offset_tEEE10hipError_tPvRmT1_PNSt15iterator_traitsISK_E10value_typeET2_T3_PNSL_ISQ_E10value_typeET4_jRbjT5_SW_jjP12ihipStream_tbEUlT_E2_NS1_11comp_targetILNS1_3genE2ELNS1_11target_archE906ELNS1_3gpuE6ELNS1_3repE0EEENS1_30default_config_static_selectorELNS0_4arch9wavefront6targetE1EEEvSK_.uses_vcc, or(1, .L_ZN7rocprim17ROCPRIM_400000_NS6detail26segmented_warp_sort_helperINS1_20WarpSortHelperConfigILj8ELj4ELj256EEEalLi256ELb0EvE4sortIPKaPaPKlPlEEvT_T0_T1_T2_jjjjRNS5_12storage_typeE.uses_vcc, .L_ZN7rocprim17ROCPRIM_400000_NS6detail40segmented_radix_sort_single_block_helperIalLj256ELj4ELb0EE4sortIPKaPaPKlPlEEbT_T0_T1_T2_jjjjRNS3_12storage_typeE.uses_vcc)
	.set _ZN7rocprim17ROCPRIM_400000_NS6detail17trampoline_kernelINS0_14default_configENS1_36segmented_radix_sort_config_selectorIalEEZNS1_25segmented_radix_sort_implIS3_Lb0EPKaPaPKlPlN2at6native12_GLOBAL__N_18offset_tEEE10hipError_tPvRmT1_PNSt15iterator_traitsISK_E10value_typeET2_T3_PNSL_ISQ_E10value_typeET4_jRbjT5_SW_jjP12ihipStream_tbEUlT_E2_NS1_11comp_targetILNS1_3genE2ELNS1_11target_archE906ELNS1_3gpuE6ELNS1_3repE0EEENS1_30default_config_static_selectorELNS0_4arch9wavefront6targetE1EEEvSK_.uses_flat_scratch, or(0, .L_ZN7rocprim17ROCPRIM_400000_NS6detail26segmented_warp_sort_helperINS1_20WarpSortHelperConfigILj8ELj4ELj256EEEalLi256ELb0EvE4sortIPKaPaPKlPlEEvT_T0_T1_T2_jjjjRNS5_12storage_typeE.uses_flat_scratch, .L_ZN7rocprim17ROCPRIM_400000_NS6detail40segmented_radix_sort_single_block_helperIalLj256ELj4ELb0EE4sortIPKaPaPKlPlEEbT_T0_T1_T2_jjjjRNS3_12storage_typeE.uses_flat_scratch)
	.set _ZN7rocprim17ROCPRIM_400000_NS6detail17trampoline_kernelINS0_14default_configENS1_36segmented_radix_sort_config_selectorIalEEZNS1_25segmented_radix_sort_implIS3_Lb0EPKaPaPKlPlN2at6native12_GLOBAL__N_18offset_tEEE10hipError_tPvRmT1_PNSt15iterator_traitsISK_E10value_typeET2_T3_PNSL_ISQ_E10value_typeET4_jRbjT5_SW_jjP12ihipStream_tbEUlT_E2_NS1_11comp_targetILNS1_3genE2ELNS1_11target_archE906ELNS1_3gpuE6ELNS1_3repE0EEENS1_30default_config_static_selectorELNS0_4arch9wavefront6targetE1EEEvSK_.has_dyn_sized_stack, or(0, .L_ZN7rocprim17ROCPRIM_400000_NS6detail26segmented_warp_sort_helperINS1_20WarpSortHelperConfigILj8ELj4ELj256EEEalLi256ELb0EvE4sortIPKaPaPKlPlEEvT_T0_T1_T2_jjjjRNS5_12storage_typeE.has_dyn_sized_stack, .L_ZN7rocprim17ROCPRIM_400000_NS6detail40segmented_radix_sort_single_block_helperIalLj256ELj4ELb0EE4sortIPKaPaPKlPlEEbT_T0_T1_T2_jjjjRNS3_12storage_typeE.has_dyn_sized_stack)
	.set _ZN7rocprim17ROCPRIM_400000_NS6detail17trampoline_kernelINS0_14default_configENS1_36segmented_radix_sort_config_selectorIalEEZNS1_25segmented_radix_sort_implIS3_Lb0EPKaPaPKlPlN2at6native12_GLOBAL__N_18offset_tEEE10hipError_tPvRmT1_PNSt15iterator_traitsISK_E10value_typeET2_T3_PNSL_ISQ_E10value_typeET4_jRbjT5_SW_jjP12ihipStream_tbEUlT_E2_NS1_11comp_targetILNS1_3genE2ELNS1_11target_archE906ELNS1_3gpuE6ELNS1_3repE0EEENS1_30default_config_static_selectorELNS0_4arch9wavefront6targetE1EEEvSK_.has_recursion, or(0, .L_ZN7rocprim17ROCPRIM_400000_NS6detail26segmented_warp_sort_helperINS1_20WarpSortHelperConfigILj8ELj4ELj256EEEalLi256ELb0EvE4sortIPKaPaPKlPlEEvT_T0_T1_T2_jjjjRNS5_12storage_typeE.has_recursion, .L_ZN7rocprim17ROCPRIM_400000_NS6detail40segmented_radix_sort_single_block_helperIalLj256ELj4ELb0EE4sortIPKaPaPKlPlEEbT_T0_T1_T2_jjjjRNS3_12storage_typeE.has_recursion)
	.set _ZN7rocprim17ROCPRIM_400000_NS6detail17trampoline_kernelINS0_14default_configENS1_36segmented_radix_sort_config_selectorIalEEZNS1_25segmented_radix_sort_implIS3_Lb0EPKaPaPKlPlN2at6native12_GLOBAL__N_18offset_tEEE10hipError_tPvRmT1_PNSt15iterator_traitsISK_E10value_typeET2_T3_PNSL_ISQ_E10value_typeET4_jRbjT5_SW_jjP12ihipStream_tbEUlT_E2_NS1_11comp_targetILNS1_3genE2ELNS1_11target_archE906ELNS1_3gpuE6ELNS1_3repE0EEENS1_30default_config_static_selectorELNS0_4arch9wavefront6targetE1EEEvSK_.has_indirect_call, or(0, .L_ZN7rocprim17ROCPRIM_400000_NS6detail26segmented_warp_sort_helperINS1_20WarpSortHelperConfigILj8ELj4ELj256EEEalLi256ELb0EvE4sortIPKaPaPKlPlEEvT_T0_T1_T2_jjjjRNS5_12storage_typeE.has_indirect_call, .L_ZN7rocprim17ROCPRIM_400000_NS6detail40segmented_radix_sort_single_block_helperIalLj256ELj4ELb0EE4sortIPKaPaPKlPlEEbT_T0_T1_T2_jjjjRNS3_12storage_typeE.has_indirect_call)
	.section	.AMDGPU.csdata,"",@progbits
; Kernel info:
; codeLenInByte = 21172
; TotalNumSgprs: 81
; NumVgprs: 97
; ScratchSize: 0
; MemoryBound: 0
; FloatMode: 240
; IeeeMode: 1
; LDSByteSize: 9232 bytes/workgroup (compile time only)
; SGPRBlocks: 10
; VGPRBlocks: 24
; NumSGPRsForWavesPerEU: 81
; NumVGPRsForWavesPerEU: 97
; Occupancy: 2
; WaveLimiterHint : 1
; COMPUTE_PGM_RSRC2:SCRATCH_EN: 0
; COMPUTE_PGM_RSRC2:USER_SGPR: 6
; COMPUTE_PGM_RSRC2:TRAP_HANDLER: 0
; COMPUTE_PGM_RSRC2:TGID_X_EN: 1
; COMPUTE_PGM_RSRC2:TGID_Y_EN: 1
; COMPUTE_PGM_RSRC2:TGID_Z_EN: 0
; COMPUTE_PGM_RSRC2:TIDIG_COMP_CNT: 2
	.section	.text._ZN7rocprim17ROCPRIM_400000_NS6detail17trampoline_kernelINS0_14default_configENS1_36segmented_radix_sort_config_selectorIalEEZNS1_25segmented_radix_sort_implIS3_Lb0EPKaPaPKlPlN2at6native12_GLOBAL__N_18offset_tEEE10hipError_tPvRmT1_PNSt15iterator_traitsISK_E10value_typeET2_T3_PNSL_ISQ_E10value_typeET4_jRbjT5_SW_jjP12ihipStream_tbEUlT_E2_NS1_11comp_targetILNS1_3genE10ELNS1_11target_archE1201ELNS1_3gpuE5ELNS1_3repE0EEENS1_30default_config_static_selectorELNS0_4arch9wavefront6targetE1EEEvSK_,"axG",@progbits,_ZN7rocprim17ROCPRIM_400000_NS6detail17trampoline_kernelINS0_14default_configENS1_36segmented_radix_sort_config_selectorIalEEZNS1_25segmented_radix_sort_implIS3_Lb0EPKaPaPKlPlN2at6native12_GLOBAL__N_18offset_tEEE10hipError_tPvRmT1_PNSt15iterator_traitsISK_E10value_typeET2_T3_PNSL_ISQ_E10value_typeET4_jRbjT5_SW_jjP12ihipStream_tbEUlT_E2_NS1_11comp_targetILNS1_3genE10ELNS1_11target_archE1201ELNS1_3gpuE5ELNS1_3repE0EEENS1_30default_config_static_selectorELNS0_4arch9wavefront6targetE1EEEvSK_,comdat
	.globl	_ZN7rocprim17ROCPRIM_400000_NS6detail17trampoline_kernelINS0_14default_configENS1_36segmented_radix_sort_config_selectorIalEEZNS1_25segmented_radix_sort_implIS3_Lb0EPKaPaPKlPlN2at6native12_GLOBAL__N_18offset_tEEE10hipError_tPvRmT1_PNSt15iterator_traitsISK_E10value_typeET2_T3_PNSL_ISQ_E10value_typeET4_jRbjT5_SW_jjP12ihipStream_tbEUlT_E2_NS1_11comp_targetILNS1_3genE10ELNS1_11target_archE1201ELNS1_3gpuE5ELNS1_3repE0EEENS1_30default_config_static_selectorELNS0_4arch9wavefront6targetE1EEEvSK_ ; -- Begin function _ZN7rocprim17ROCPRIM_400000_NS6detail17trampoline_kernelINS0_14default_configENS1_36segmented_radix_sort_config_selectorIalEEZNS1_25segmented_radix_sort_implIS3_Lb0EPKaPaPKlPlN2at6native12_GLOBAL__N_18offset_tEEE10hipError_tPvRmT1_PNSt15iterator_traitsISK_E10value_typeET2_T3_PNSL_ISQ_E10value_typeET4_jRbjT5_SW_jjP12ihipStream_tbEUlT_E2_NS1_11comp_targetILNS1_3genE10ELNS1_11target_archE1201ELNS1_3gpuE5ELNS1_3repE0EEENS1_30default_config_static_selectorELNS0_4arch9wavefront6targetE1EEEvSK_
	.p2align	8
	.type	_ZN7rocprim17ROCPRIM_400000_NS6detail17trampoline_kernelINS0_14default_configENS1_36segmented_radix_sort_config_selectorIalEEZNS1_25segmented_radix_sort_implIS3_Lb0EPKaPaPKlPlN2at6native12_GLOBAL__N_18offset_tEEE10hipError_tPvRmT1_PNSt15iterator_traitsISK_E10value_typeET2_T3_PNSL_ISQ_E10value_typeET4_jRbjT5_SW_jjP12ihipStream_tbEUlT_E2_NS1_11comp_targetILNS1_3genE10ELNS1_11target_archE1201ELNS1_3gpuE5ELNS1_3repE0EEENS1_30default_config_static_selectorELNS0_4arch9wavefront6targetE1EEEvSK_,@function
_ZN7rocprim17ROCPRIM_400000_NS6detail17trampoline_kernelINS0_14default_configENS1_36segmented_radix_sort_config_selectorIalEEZNS1_25segmented_radix_sort_implIS3_Lb0EPKaPaPKlPlN2at6native12_GLOBAL__N_18offset_tEEE10hipError_tPvRmT1_PNSt15iterator_traitsISK_E10value_typeET2_T3_PNSL_ISQ_E10value_typeET4_jRbjT5_SW_jjP12ihipStream_tbEUlT_E2_NS1_11comp_targetILNS1_3genE10ELNS1_11target_archE1201ELNS1_3gpuE5ELNS1_3repE0EEENS1_30default_config_static_selectorELNS0_4arch9wavefront6targetE1EEEvSK_: ; @_ZN7rocprim17ROCPRIM_400000_NS6detail17trampoline_kernelINS0_14default_configENS1_36segmented_radix_sort_config_selectorIalEEZNS1_25segmented_radix_sort_implIS3_Lb0EPKaPaPKlPlN2at6native12_GLOBAL__N_18offset_tEEE10hipError_tPvRmT1_PNSt15iterator_traitsISK_E10value_typeET2_T3_PNSL_ISQ_E10value_typeET4_jRbjT5_SW_jjP12ihipStream_tbEUlT_E2_NS1_11comp_targetILNS1_3genE10ELNS1_11target_archE1201ELNS1_3gpuE5ELNS1_3repE0EEENS1_30default_config_static_selectorELNS0_4arch9wavefront6targetE1EEEvSK_
; %bb.0:
	.section	.rodata,"a",@progbits
	.p2align	6, 0x0
	.amdhsa_kernel _ZN7rocprim17ROCPRIM_400000_NS6detail17trampoline_kernelINS0_14default_configENS1_36segmented_radix_sort_config_selectorIalEEZNS1_25segmented_radix_sort_implIS3_Lb0EPKaPaPKlPlN2at6native12_GLOBAL__N_18offset_tEEE10hipError_tPvRmT1_PNSt15iterator_traitsISK_E10value_typeET2_T3_PNSL_ISQ_E10value_typeET4_jRbjT5_SW_jjP12ihipStream_tbEUlT_E2_NS1_11comp_targetILNS1_3genE10ELNS1_11target_archE1201ELNS1_3gpuE5ELNS1_3repE0EEENS1_30default_config_static_selectorELNS0_4arch9wavefront6targetE1EEEvSK_
		.amdhsa_group_segment_fixed_size 0
		.amdhsa_private_segment_fixed_size 0
		.amdhsa_kernarg_size 80
		.amdhsa_user_sgpr_count 6
		.amdhsa_user_sgpr_private_segment_buffer 1
		.amdhsa_user_sgpr_dispatch_ptr 0
		.amdhsa_user_sgpr_queue_ptr 0
		.amdhsa_user_sgpr_kernarg_segment_ptr 1
		.amdhsa_user_sgpr_dispatch_id 0
		.amdhsa_user_sgpr_flat_scratch_init 0
		.amdhsa_user_sgpr_private_segment_size 0
		.amdhsa_uses_dynamic_stack 0
		.amdhsa_system_sgpr_private_segment_wavefront_offset 0
		.amdhsa_system_sgpr_workgroup_id_x 1
		.amdhsa_system_sgpr_workgroup_id_y 0
		.amdhsa_system_sgpr_workgroup_id_z 0
		.amdhsa_system_sgpr_workgroup_info 0
		.amdhsa_system_vgpr_workitem_id 0
		.amdhsa_next_free_vgpr 1
		.amdhsa_next_free_sgpr 0
		.amdhsa_reserve_vcc 0
		.amdhsa_reserve_flat_scratch 0
		.amdhsa_float_round_mode_32 0
		.amdhsa_float_round_mode_16_64 0
		.amdhsa_float_denorm_mode_32 3
		.amdhsa_float_denorm_mode_16_64 3
		.amdhsa_dx10_clamp 1
		.amdhsa_ieee_mode 1
		.amdhsa_fp16_overflow 0
		.amdhsa_exception_fp_ieee_invalid_op 0
		.amdhsa_exception_fp_denorm_src 0
		.amdhsa_exception_fp_ieee_div_zero 0
		.amdhsa_exception_fp_ieee_overflow 0
		.amdhsa_exception_fp_ieee_underflow 0
		.amdhsa_exception_fp_ieee_inexact 0
		.amdhsa_exception_int_div_zero 0
	.end_amdhsa_kernel
	.section	.text._ZN7rocprim17ROCPRIM_400000_NS6detail17trampoline_kernelINS0_14default_configENS1_36segmented_radix_sort_config_selectorIalEEZNS1_25segmented_radix_sort_implIS3_Lb0EPKaPaPKlPlN2at6native12_GLOBAL__N_18offset_tEEE10hipError_tPvRmT1_PNSt15iterator_traitsISK_E10value_typeET2_T3_PNSL_ISQ_E10value_typeET4_jRbjT5_SW_jjP12ihipStream_tbEUlT_E2_NS1_11comp_targetILNS1_3genE10ELNS1_11target_archE1201ELNS1_3gpuE5ELNS1_3repE0EEENS1_30default_config_static_selectorELNS0_4arch9wavefront6targetE1EEEvSK_,"axG",@progbits,_ZN7rocprim17ROCPRIM_400000_NS6detail17trampoline_kernelINS0_14default_configENS1_36segmented_radix_sort_config_selectorIalEEZNS1_25segmented_radix_sort_implIS3_Lb0EPKaPaPKlPlN2at6native12_GLOBAL__N_18offset_tEEE10hipError_tPvRmT1_PNSt15iterator_traitsISK_E10value_typeET2_T3_PNSL_ISQ_E10value_typeET4_jRbjT5_SW_jjP12ihipStream_tbEUlT_E2_NS1_11comp_targetILNS1_3genE10ELNS1_11target_archE1201ELNS1_3gpuE5ELNS1_3repE0EEENS1_30default_config_static_selectorELNS0_4arch9wavefront6targetE1EEEvSK_,comdat
.Lfunc_end428:
	.size	_ZN7rocprim17ROCPRIM_400000_NS6detail17trampoline_kernelINS0_14default_configENS1_36segmented_radix_sort_config_selectorIalEEZNS1_25segmented_radix_sort_implIS3_Lb0EPKaPaPKlPlN2at6native12_GLOBAL__N_18offset_tEEE10hipError_tPvRmT1_PNSt15iterator_traitsISK_E10value_typeET2_T3_PNSL_ISQ_E10value_typeET4_jRbjT5_SW_jjP12ihipStream_tbEUlT_E2_NS1_11comp_targetILNS1_3genE10ELNS1_11target_archE1201ELNS1_3gpuE5ELNS1_3repE0EEENS1_30default_config_static_selectorELNS0_4arch9wavefront6targetE1EEEvSK_, .Lfunc_end428-_ZN7rocprim17ROCPRIM_400000_NS6detail17trampoline_kernelINS0_14default_configENS1_36segmented_radix_sort_config_selectorIalEEZNS1_25segmented_radix_sort_implIS3_Lb0EPKaPaPKlPlN2at6native12_GLOBAL__N_18offset_tEEE10hipError_tPvRmT1_PNSt15iterator_traitsISK_E10value_typeET2_T3_PNSL_ISQ_E10value_typeET4_jRbjT5_SW_jjP12ihipStream_tbEUlT_E2_NS1_11comp_targetILNS1_3genE10ELNS1_11target_archE1201ELNS1_3gpuE5ELNS1_3repE0EEENS1_30default_config_static_selectorELNS0_4arch9wavefront6targetE1EEEvSK_
                                        ; -- End function
	.set _ZN7rocprim17ROCPRIM_400000_NS6detail17trampoline_kernelINS0_14default_configENS1_36segmented_radix_sort_config_selectorIalEEZNS1_25segmented_radix_sort_implIS3_Lb0EPKaPaPKlPlN2at6native12_GLOBAL__N_18offset_tEEE10hipError_tPvRmT1_PNSt15iterator_traitsISK_E10value_typeET2_T3_PNSL_ISQ_E10value_typeET4_jRbjT5_SW_jjP12ihipStream_tbEUlT_E2_NS1_11comp_targetILNS1_3genE10ELNS1_11target_archE1201ELNS1_3gpuE5ELNS1_3repE0EEENS1_30default_config_static_selectorELNS0_4arch9wavefront6targetE1EEEvSK_.num_vgpr, 0
	.set _ZN7rocprim17ROCPRIM_400000_NS6detail17trampoline_kernelINS0_14default_configENS1_36segmented_radix_sort_config_selectorIalEEZNS1_25segmented_radix_sort_implIS3_Lb0EPKaPaPKlPlN2at6native12_GLOBAL__N_18offset_tEEE10hipError_tPvRmT1_PNSt15iterator_traitsISK_E10value_typeET2_T3_PNSL_ISQ_E10value_typeET4_jRbjT5_SW_jjP12ihipStream_tbEUlT_E2_NS1_11comp_targetILNS1_3genE10ELNS1_11target_archE1201ELNS1_3gpuE5ELNS1_3repE0EEENS1_30default_config_static_selectorELNS0_4arch9wavefront6targetE1EEEvSK_.num_agpr, 0
	.set _ZN7rocprim17ROCPRIM_400000_NS6detail17trampoline_kernelINS0_14default_configENS1_36segmented_radix_sort_config_selectorIalEEZNS1_25segmented_radix_sort_implIS3_Lb0EPKaPaPKlPlN2at6native12_GLOBAL__N_18offset_tEEE10hipError_tPvRmT1_PNSt15iterator_traitsISK_E10value_typeET2_T3_PNSL_ISQ_E10value_typeET4_jRbjT5_SW_jjP12ihipStream_tbEUlT_E2_NS1_11comp_targetILNS1_3genE10ELNS1_11target_archE1201ELNS1_3gpuE5ELNS1_3repE0EEENS1_30default_config_static_selectorELNS0_4arch9wavefront6targetE1EEEvSK_.numbered_sgpr, 0
	.set _ZN7rocprim17ROCPRIM_400000_NS6detail17trampoline_kernelINS0_14default_configENS1_36segmented_radix_sort_config_selectorIalEEZNS1_25segmented_radix_sort_implIS3_Lb0EPKaPaPKlPlN2at6native12_GLOBAL__N_18offset_tEEE10hipError_tPvRmT1_PNSt15iterator_traitsISK_E10value_typeET2_T3_PNSL_ISQ_E10value_typeET4_jRbjT5_SW_jjP12ihipStream_tbEUlT_E2_NS1_11comp_targetILNS1_3genE10ELNS1_11target_archE1201ELNS1_3gpuE5ELNS1_3repE0EEENS1_30default_config_static_selectorELNS0_4arch9wavefront6targetE1EEEvSK_.num_named_barrier, 0
	.set _ZN7rocprim17ROCPRIM_400000_NS6detail17trampoline_kernelINS0_14default_configENS1_36segmented_radix_sort_config_selectorIalEEZNS1_25segmented_radix_sort_implIS3_Lb0EPKaPaPKlPlN2at6native12_GLOBAL__N_18offset_tEEE10hipError_tPvRmT1_PNSt15iterator_traitsISK_E10value_typeET2_T3_PNSL_ISQ_E10value_typeET4_jRbjT5_SW_jjP12ihipStream_tbEUlT_E2_NS1_11comp_targetILNS1_3genE10ELNS1_11target_archE1201ELNS1_3gpuE5ELNS1_3repE0EEENS1_30default_config_static_selectorELNS0_4arch9wavefront6targetE1EEEvSK_.private_seg_size, 0
	.set _ZN7rocprim17ROCPRIM_400000_NS6detail17trampoline_kernelINS0_14default_configENS1_36segmented_radix_sort_config_selectorIalEEZNS1_25segmented_radix_sort_implIS3_Lb0EPKaPaPKlPlN2at6native12_GLOBAL__N_18offset_tEEE10hipError_tPvRmT1_PNSt15iterator_traitsISK_E10value_typeET2_T3_PNSL_ISQ_E10value_typeET4_jRbjT5_SW_jjP12ihipStream_tbEUlT_E2_NS1_11comp_targetILNS1_3genE10ELNS1_11target_archE1201ELNS1_3gpuE5ELNS1_3repE0EEENS1_30default_config_static_selectorELNS0_4arch9wavefront6targetE1EEEvSK_.uses_vcc, 0
	.set _ZN7rocprim17ROCPRIM_400000_NS6detail17trampoline_kernelINS0_14default_configENS1_36segmented_radix_sort_config_selectorIalEEZNS1_25segmented_radix_sort_implIS3_Lb0EPKaPaPKlPlN2at6native12_GLOBAL__N_18offset_tEEE10hipError_tPvRmT1_PNSt15iterator_traitsISK_E10value_typeET2_T3_PNSL_ISQ_E10value_typeET4_jRbjT5_SW_jjP12ihipStream_tbEUlT_E2_NS1_11comp_targetILNS1_3genE10ELNS1_11target_archE1201ELNS1_3gpuE5ELNS1_3repE0EEENS1_30default_config_static_selectorELNS0_4arch9wavefront6targetE1EEEvSK_.uses_flat_scratch, 0
	.set _ZN7rocprim17ROCPRIM_400000_NS6detail17trampoline_kernelINS0_14default_configENS1_36segmented_radix_sort_config_selectorIalEEZNS1_25segmented_radix_sort_implIS3_Lb0EPKaPaPKlPlN2at6native12_GLOBAL__N_18offset_tEEE10hipError_tPvRmT1_PNSt15iterator_traitsISK_E10value_typeET2_T3_PNSL_ISQ_E10value_typeET4_jRbjT5_SW_jjP12ihipStream_tbEUlT_E2_NS1_11comp_targetILNS1_3genE10ELNS1_11target_archE1201ELNS1_3gpuE5ELNS1_3repE0EEENS1_30default_config_static_selectorELNS0_4arch9wavefront6targetE1EEEvSK_.has_dyn_sized_stack, 0
	.set _ZN7rocprim17ROCPRIM_400000_NS6detail17trampoline_kernelINS0_14default_configENS1_36segmented_radix_sort_config_selectorIalEEZNS1_25segmented_radix_sort_implIS3_Lb0EPKaPaPKlPlN2at6native12_GLOBAL__N_18offset_tEEE10hipError_tPvRmT1_PNSt15iterator_traitsISK_E10value_typeET2_T3_PNSL_ISQ_E10value_typeET4_jRbjT5_SW_jjP12ihipStream_tbEUlT_E2_NS1_11comp_targetILNS1_3genE10ELNS1_11target_archE1201ELNS1_3gpuE5ELNS1_3repE0EEENS1_30default_config_static_selectorELNS0_4arch9wavefront6targetE1EEEvSK_.has_recursion, 0
	.set _ZN7rocprim17ROCPRIM_400000_NS6detail17trampoline_kernelINS0_14default_configENS1_36segmented_radix_sort_config_selectorIalEEZNS1_25segmented_radix_sort_implIS3_Lb0EPKaPaPKlPlN2at6native12_GLOBAL__N_18offset_tEEE10hipError_tPvRmT1_PNSt15iterator_traitsISK_E10value_typeET2_T3_PNSL_ISQ_E10value_typeET4_jRbjT5_SW_jjP12ihipStream_tbEUlT_E2_NS1_11comp_targetILNS1_3genE10ELNS1_11target_archE1201ELNS1_3gpuE5ELNS1_3repE0EEENS1_30default_config_static_selectorELNS0_4arch9wavefront6targetE1EEEvSK_.has_indirect_call, 0
	.section	.AMDGPU.csdata,"",@progbits
; Kernel info:
; codeLenInByte = 0
; TotalNumSgprs: 4
; NumVgprs: 0
; ScratchSize: 0
; MemoryBound: 0
; FloatMode: 240
; IeeeMode: 1
; LDSByteSize: 0 bytes/workgroup (compile time only)
; SGPRBlocks: 0
; VGPRBlocks: 0
; NumSGPRsForWavesPerEU: 4
; NumVGPRsForWavesPerEU: 1
; Occupancy: 10
; WaveLimiterHint : 0
; COMPUTE_PGM_RSRC2:SCRATCH_EN: 0
; COMPUTE_PGM_RSRC2:USER_SGPR: 6
; COMPUTE_PGM_RSRC2:TRAP_HANDLER: 0
; COMPUTE_PGM_RSRC2:TGID_X_EN: 1
; COMPUTE_PGM_RSRC2:TGID_Y_EN: 0
; COMPUTE_PGM_RSRC2:TGID_Z_EN: 0
; COMPUTE_PGM_RSRC2:TIDIG_COMP_CNT: 0
	.section	.text._ZN7rocprim17ROCPRIM_400000_NS6detail17trampoline_kernelINS0_14default_configENS1_36segmented_radix_sort_config_selectorIalEEZNS1_25segmented_radix_sort_implIS3_Lb0EPKaPaPKlPlN2at6native12_GLOBAL__N_18offset_tEEE10hipError_tPvRmT1_PNSt15iterator_traitsISK_E10value_typeET2_T3_PNSL_ISQ_E10value_typeET4_jRbjT5_SW_jjP12ihipStream_tbEUlT_E2_NS1_11comp_targetILNS1_3genE10ELNS1_11target_archE1200ELNS1_3gpuE4ELNS1_3repE0EEENS1_30default_config_static_selectorELNS0_4arch9wavefront6targetE1EEEvSK_,"axG",@progbits,_ZN7rocprim17ROCPRIM_400000_NS6detail17trampoline_kernelINS0_14default_configENS1_36segmented_radix_sort_config_selectorIalEEZNS1_25segmented_radix_sort_implIS3_Lb0EPKaPaPKlPlN2at6native12_GLOBAL__N_18offset_tEEE10hipError_tPvRmT1_PNSt15iterator_traitsISK_E10value_typeET2_T3_PNSL_ISQ_E10value_typeET4_jRbjT5_SW_jjP12ihipStream_tbEUlT_E2_NS1_11comp_targetILNS1_3genE10ELNS1_11target_archE1200ELNS1_3gpuE4ELNS1_3repE0EEENS1_30default_config_static_selectorELNS0_4arch9wavefront6targetE1EEEvSK_,comdat
	.globl	_ZN7rocprim17ROCPRIM_400000_NS6detail17trampoline_kernelINS0_14default_configENS1_36segmented_radix_sort_config_selectorIalEEZNS1_25segmented_radix_sort_implIS3_Lb0EPKaPaPKlPlN2at6native12_GLOBAL__N_18offset_tEEE10hipError_tPvRmT1_PNSt15iterator_traitsISK_E10value_typeET2_T3_PNSL_ISQ_E10value_typeET4_jRbjT5_SW_jjP12ihipStream_tbEUlT_E2_NS1_11comp_targetILNS1_3genE10ELNS1_11target_archE1200ELNS1_3gpuE4ELNS1_3repE0EEENS1_30default_config_static_selectorELNS0_4arch9wavefront6targetE1EEEvSK_ ; -- Begin function _ZN7rocprim17ROCPRIM_400000_NS6detail17trampoline_kernelINS0_14default_configENS1_36segmented_radix_sort_config_selectorIalEEZNS1_25segmented_radix_sort_implIS3_Lb0EPKaPaPKlPlN2at6native12_GLOBAL__N_18offset_tEEE10hipError_tPvRmT1_PNSt15iterator_traitsISK_E10value_typeET2_T3_PNSL_ISQ_E10value_typeET4_jRbjT5_SW_jjP12ihipStream_tbEUlT_E2_NS1_11comp_targetILNS1_3genE10ELNS1_11target_archE1200ELNS1_3gpuE4ELNS1_3repE0EEENS1_30default_config_static_selectorELNS0_4arch9wavefront6targetE1EEEvSK_
	.p2align	8
	.type	_ZN7rocprim17ROCPRIM_400000_NS6detail17trampoline_kernelINS0_14default_configENS1_36segmented_radix_sort_config_selectorIalEEZNS1_25segmented_radix_sort_implIS3_Lb0EPKaPaPKlPlN2at6native12_GLOBAL__N_18offset_tEEE10hipError_tPvRmT1_PNSt15iterator_traitsISK_E10value_typeET2_T3_PNSL_ISQ_E10value_typeET4_jRbjT5_SW_jjP12ihipStream_tbEUlT_E2_NS1_11comp_targetILNS1_3genE10ELNS1_11target_archE1200ELNS1_3gpuE4ELNS1_3repE0EEENS1_30default_config_static_selectorELNS0_4arch9wavefront6targetE1EEEvSK_,@function
_ZN7rocprim17ROCPRIM_400000_NS6detail17trampoline_kernelINS0_14default_configENS1_36segmented_radix_sort_config_selectorIalEEZNS1_25segmented_radix_sort_implIS3_Lb0EPKaPaPKlPlN2at6native12_GLOBAL__N_18offset_tEEE10hipError_tPvRmT1_PNSt15iterator_traitsISK_E10value_typeET2_T3_PNSL_ISQ_E10value_typeET4_jRbjT5_SW_jjP12ihipStream_tbEUlT_E2_NS1_11comp_targetILNS1_3genE10ELNS1_11target_archE1200ELNS1_3gpuE4ELNS1_3repE0EEENS1_30default_config_static_selectorELNS0_4arch9wavefront6targetE1EEEvSK_: ; @_ZN7rocprim17ROCPRIM_400000_NS6detail17trampoline_kernelINS0_14default_configENS1_36segmented_radix_sort_config_selectorIalEEZNS1_25segmented_radix_sort_implIS3_Lb0EPKaPaPKlPlN2at6native12_GLOBAL__N_18offset_tEEE10hipError_tPvRmT1_PNSt15iterator_traitsISK_E10value_typeET2_T3_PNSL_ISQ_E10value_typeET4_jRbjT5_SW_jjP12ihipStream_tbEUlT_E2_NS1_11comp_targetILNS1_3genE10ELNS1_11target_archE1200ELNS1_3gpuE4ELNS1_3repE0EEENS1_30default_config_static_selectorELNS0_4arch9wavefront6targetE1EEEvSK_
; %bb.0:
	.section	.rodata,"a",@progbits
	.p2align	6, 0x0
	.amdhsa_kernel _ZN7rocprim17ROCPRIM_400000_NS6detail17trampoline_kernelINS0_14default_configENS1_36segmented_radix_sort_config_selectorIalEEZNS1_25segmented_radix_sort_implIS3_Lb0EPKaPaPKlPlN2at6native12_GLOBAL__N_18offset_tEEE10hipError_tPvRmT1_PNSt15iterator_traitsISK_E10value_typeET2_T3_PNSL_ISQ_E10value_typeET4_jRbjT5_SW_jjP12ihipStream_tbEUlT_E2_NS1_11comp_targetILNS1_3genE10ELNS1_11target_archE1200ELNS1_3gpuE4ELNS1_3repE0EEENS1_30default_config_static_selectorELNS0_4arch9wavefront6targetE1EEEvSK_
		.amdhsa_group_segment_fixed_size 0
		.amdhsa_private_segment_fixed_size 0
		.amdhsa_kernarg_size 80
		.amdhsa_user_sgpr_count 6
		.amdhsa_user_sgpr_private_segment_buffer 1
		.amdhsa_user_sgpr_dispatch_ptr 0
		.amdhsa_user_sgpr_queue_ptr 0
		.amdhsa_user_sgpr_kernarg_segment_ptr 1
		.amdhsa_user_sgpr_dispatch_id 0
		.amdhsa_user_sgpr_flat_scratch_init 0
		.amdhsa_user_sgpr_private_segment_size 0
		.amdhsa_uses_dynamic_stack 0
		.amdhsa_system_sgpr_private_segment_wavefront_offset 0
		.amdhsa_system_sgpr_workgroup_id_x 1
		.amdhsa_system_sgpr_workgroup_id_y 0
		.amdhsa_system_sgpr_workgroup_id_z 0
		.amdhsa_system_sgpr_workgroup_info 0
		.amdhsa_system_vgpr_workitem_id 0
		.amdhsa_next_free_vgpr 1
		.amdhsa_next_free_sgpr 0
		.amdhsa_reserve_vcc 0
		.amdhsa_reserve_flat_scratch 0
		.amdhsa_float_round_mode_32 0
		.amdhsa_float_round_mode_16_64 0
		.amdhsa_float_denorm_mode_32 3
		.amdhsa_float_denorm_mode_16_64 3
		.amdhsa_dx10_clamp 1
		.amdhsa_ieee_mode 1
		.amdhsa_fp16_overflow 0
		.amdhsa_exception_fp_ieee_invalid_op 0
		.amdhsa_exception_fp_denorm_src 0
		.amdhsa_exception_fp_ieee_div_zero 0
		.amdhsa_exception_fp_ieee_overflow 0
		.amdhsa_exception_fp_ieee_underflow 0
		.amdhsa_exception_fp_ieee_inexact 0
		.amdhsa_exception_int_div_zero 0
	.end_amdhsa_kernel
	.section	.text._ZN7rocprim17ROCPRIM_400000_NS6detail17trampoline_kernelINS0_14default_configENS1_36segmented_radix_sort_config_selectorIalEEZNS1_25segmented_radix_sort_implIS3_Lb0EPKaPaPKlPlN2at6native12_GLOBAL__N_18offset_tEEE10hipError_tPvRmT1_PNSt15iterator_traitsISK_E10value_typeET2_T3_PNSL_ISQ_E10value_typeET4_jRbjT5_SW_jjP12ihipStream_tbEUlT_E2_NS1_11comp_targetILNS1_3genE10ELNS1_11target_archE1200ELNS1_3gpuE4ELNS1_3repE0EEENS1_30default_config_static_selectorELNS0_4arch9wavefront6targetE1EEEvSK_,"axG",@progbits,_ZN7rocprim17ROCPRIM_400000_NS6detail17trampoline_kernelINS0_14default_configENS1_36segmented_radix_sort_config_selectorIalEEZNS1_25segmented_radix_sort_implIS3_Lb0EPKaPaPKlPlN2at6native12_GLOBAL__N_18offset_tEEE10hipError_tPvRmT1_PNSt15iterator_traitsISK_E10value_typeET2_T3_PNSL_ISQ_E10value_typeET4_jRbjT5_SW_jjP12ihipStream_tbEUlT_E2_NS1_11comp_targetILNS1_3genE10ELNS1_11target_archE1200ELNS1_3gpuE4ELNS1_3repE0EEENS1_30default_config_static_selectorELNS0_4arch9wavefront6targetE1EEEvSK_,comdat
.Lfunc_end429:
	.size	_ZN7rocprim17ROCPRIM_400000_NS6detail17trampoline_kernelINS0_14default_configENS1_36segmented_radix_sort_config_selectorIalEEZNS1_25segmented_radix_sort_implIS3_Lb0EPKaPaPKlPlN2at6native12_GLOBAL__N_18offset_tEEE10hipError_tPvRmT1_PNSt15iterator_traitsISK_E10value_typeET2_T3_PNSL_ISQ_E10value_typeET4_jRbjT5_SW_jjP12ihipStream_tbEUlT_E2_NS1_11comp_targetILNS1_3genE10ELNS1_11target_archE1200ELNS1_3gpuE4ELNS1_3repE0EEENS1_30default_config_static_selectorELNS0_4arch9wavefront6targetE1EEEvSK_, .Lfunc_end429-_ZN7rocprim17ROCPRIM_400000_NS6detail17trampoline_kernelINS0_14default_configENS1_36segmented_radix_sort_config_selectorIalEEZNS1_25segmented_radix_sort_implIS3_Lb0EPKaPaPKlPlN2at6native12_GLOBAL__N_18offset_tEEE10hipError_tPvRmT1_PNSt15iterator_traitsISK_E10value_typeET2_T3_PNSL_ISQ_E10value_typeET4_jRbjT5_SW_jjP12ihipStream_tbEUlT_E2_NS1_11comp_targetILNS1_3genE10ELNS1_11target_archE1200ELNS1_3gpuE4ELNS1_3repE0EEENS1_30default_config_static_selectorELNS0_4arch9wavefront6targetE1EEEvSK_
                                        ; -- End function
	.set _ZN7rocprim17ROCPRIM_400000_NS6detail17trampoline_kernelINS0_14default_configENS1_36segmented_radix_sort_config_selectorIalEEZNS1_25segmented_radix_sort_implIS3_Lb0EPKaPaPKlPlN2at6native12_GLOBAL__N_18offset_tEEE10hipError_tPvRmT1_PNSt15iterator_traitsISK_E10value_typeET2_T3_PNSL_ISQ_E10value_typeET4_jRbjT5_SW_jjP12ihipStream_tbEUlT_E2_NS1_11comp_targetILNS1_3genE10ELNS1_11target_archE1200ELNS1_3gpuE4ELNS1_3repE0EEENS1_30default_config_static_selectorELNS0_4arch9wavefront6targetE1EEEvSK_.num_vgpr, 0
	.set _ZN7rocprim17ROCPRIM_400000_NS6detail17trampoline_kernelINS0_14default_configENS1_36segmented_radix_sort_config_selectorIalEEZNS1_25segmented_radix_sort_implIS3_Lb0EPKaPaPKlPlN2at6native12_GLOBAL__N_18offset_tEEE10hipError_tPvRmT1_PNSt15iterator_traitsISK_E10value_typeET2_T3_PNSL_ISQ_E10value_typeET4_jRbjT5_SW_jjP12ihipStream_tbEUlT_E2_NS1_11comp_targetILNS1_3genE10ELNS1_11target_archE1200ELNS1_3gpuE4ELNS1_3repE0EEENS1_30default_config_static_selectorELNS0_4arch9wavefront6targetE1EEEvSK_.num_agpr, 0
	.set _ZN7rocprim17ROCPRIM_400000_NS6detail17trampoline_kernelINS0_14default_configENS1_36segmented_radix_sort_config_selectorIalEEZNS1_25segmented_radix_sort_implIS3_Lb0EPKaPaPKlPlN2at6native12_GLOBAL__N_18offset_tEEE10hipError_tPvRmT1_PNSt15iterator_traitsISK_E10value_typeET2_T3_PNSL_ISQ_E10value_typeET4_jRbjT5_SW_jjP12ihipStream_tbEUlT_E2_NS1_11comp_targetILNS1_3genE10ELNS1_11target_archE1200ELNS1_3gpuE4ELNS1_3repE0EEENS1_30default_config_static_selectorELNS0_4arch9wavefront6targetE1EEEvSK_.numbered_sgpr, 0
	.set _ZN7rocprim17ROCPRIM_400000_NS6detail17trampoline_kernelINS0_14default_configENS1_36segmented_radix_sort_config_selectorIalEEZNS1_25segmented_radix_sort_implIS3_Lb0EPKaPaPKlPlN2at6native12_GLOBAL__N_18offset_tEEE10hipError_tPvRmT1_PNSt15iterator_traitsISK_E10value_typeET2_T3_PNSL_ISQ_E10value_typeET4_jRbjT5_SW_jjP12ihipStream_tbEUlT_E2_NS1_11comp_targetILNS1_3genE10ELNS1_11target_archE1200ELNS1_3gpuE4ELNS1_3repE0EEENS1_30default_config_static_selectorELNS0_4arch9wavefront6targetE1EEEvSK_.num_named_barrier, 0
	.set _ZN7rocprim17ROCPRIM_400000_NS6detail17trampoline_kernelINS0_14default_configENS1_36segmented_radix_sort_config_selectorIalEEZNS1_25segmented_radix_sort_implIS3_Lb0EPKaPaPKlPlN2at6native12_GLOBAL__N_18offset_tEEE10hipError_tPvRmT1_PNSt15iterator_traitsISK_E10value_typeET2_T3_PNSL_ISQ_E10value_typeET4_jRbjT5_SW_jjP12ihipStream_tbEUlT_E2_NS1_11comp_targetILNS1_3genE10ELNS1_11target_archE1200ELNS1_3gpuE4ELNS1_3repE0EEENS1_30default_config_static_selectorELNS0_4arch9wavefront6targetE1EEEvSK_.private_seg_size, 0
	.set _ZN7rocprim17ROCPRIM_400000_NS6detail17trampoline_kernelINS0_14default_configENS1_36segmented_radix_sort_config_selectorIalEEZNS1_25segmented_radix_sort_implIS3_Lb0EPKaPaPKlPlN2at6native12_GLOBAL__N_18offset_tEEE10hipError_tPvRmT1_PNSt15iterator_traitsISK_E10value_typeET2_T3_PNSL_ISQ_E10value_typeET4_jRbjT5_SW_jjP12ihipStream_tbEUlT_E2_NS1_11comp_targetILNS1_3genE10ELNS1_11target_archE1200ELNS1_3gpuE4ELNS1_3repE0EEENS1_30default_config_static_selectorELNS0_4arch9wavefront6targetE1EEEvSK_.uses_vcc, 0
	.set _ZN7rocprim17ROCPRIM_400000_NS6detail17trampoline_kernelINS0_14default_configENS1_36segmented_radix_sort_config_selectorIalEEZNS1_25segmented_radix_sort_implIS3_Lb0EPKaPaPKlPlN2at6native12_GLOBAL__N_18offset_tEEE10hipError_tPvRmT1_PNSt15iterator_traitsISK_E10value_typeET2_T3_PNSL_ISQ_E10value_typeET4_jRbjT5_SW_jjP12ihipStream_tbEUlT_E2_NS1_11comp_targetILNS1_3genE10ELNS1_11target_archE1200ELNS1_3gpuE4ELNS1_3repE0EEENS1_30default_config_static_selectorELNS0_4arch9wavefront6targetE1EEEvSK_.uses_flat_scratch, 0
	.set _ZN7rocprim17ROCPRIM_400000_NS6detail17trampoline_kernelINS0_14default_configENS1_36segmented_radix_sort_config_selectorIalEEZNS1_25segmented_radix_sort_implIS3_Lb0EPKaPaPKlPlN2at6native12_GLOBAL__N_18offset_tEEE10hipError_tPvRmT1_PNSt15iterator_traitsISK_E10value_typeET2_T3_PNSL_ISQ_E10value_typeET4_jRbjT5_SW_jjP12ihipStream_tbEUlT_E2_NS1_11comp_targetILNS1_3genE10ELNS1_11target_archE1200ELNS1_3gpuE4ELNS1_3repE0EEENS1_30default_config_static_selectorELNS0_4arch9wavefront6targetE1EEEvSK_.has_dyn_sized_stack, 0
	.set _ZN7rocprim17ROCPRIM_400000_NS6detail17trampoline_kernelINS0_14default_configENS1_36segmented_radix_sort_config_selectorIalEEZNS1_25segmented_radix_sort_implIS3_Lb0EPKaPaPKlPlN2at6native12_GLOBAL__N_18offset_tEEE10hipError_tPvRmT1_PNSt15iterator_traitsISK_E10value_typeET2_T3_PNSL_ISQ_E10value_typeET4_jRbjT5_SW_jjP12ihipStream_tbEUlT_E2_NS1_11comp_targetILNS1_3genE10ELNS1_11target_archE1200ELNS1_3gpuE4ELNS1_3repE0EEENS1_30default_config_static_selectorELNS0_4arch9wavefront6targetE1EEEvSK_.has_recursion, 0
	.set _ZN7rocprim17ROCPRIM_400000_NS6detail17trampoline_kernelINS0_14default_configENS1_36segmented_radix_sort_config_selectorIalEEZNS1_25segmented_radix_sort_implIS3_Lb0EPKaPaPKlPlN2at6native12_GLOBAL__N_18offset_tEEE10hipError_tPvRmT1_PNSt15iterator_traitsISK_E10value_typeET2_T3_PNSL_ISQ_E10value_typeET4_jRbjT5_SW_jjP12ihipStream_tbEUlT_E2_NS1_11comp_targetILNS1_3genE10ELNS1_11target_archE1200ELNS1_3gpuE4ELNS1_3repE0EEENS1_30default_config_static_selectorELNS0_4arch9wavefront6targetE1EEEvSK_.has_indirect_call, 0
	.section	.AMDGPU.csdata,"",@progbits
; Kernel info:
; codeLenInByte = 0
; TotalNumSgprs: 4
; NumVgprs: 0
; ScratchSize: 0
; MemoryBound: 0
; FloatMode: 240
; IeeeMode: 1
; LDSByteSize: 0 bytes/workgroup (compile time only)
; SGPRBlocks: 0
; VGPRBlocks: 0
; NumSGPRsForWavesPerEU: 4
; NumVGPRsForWavesPerEU: 1
; Occupancy: 10
; WaveLimiterHint : 0
; COMPUTE_PGM_RSRC2:SCRATCH_EN: 0
; COMPUTE_PGM_RSRC2:USER_SGPR: 6
; COMPUTE_PGM_RSRC2:TRAP_HANDLER: 0
; COMPUTE_PGM_RSRC2:TGID_X_EN: 1
; COMPUTE_PGM_RSRC2:TGID_Y_EN: 0
; COMPUTE_PGM_RSRC2:TGID_Z_EN: 0
; COMPUTE_PGM_RSRC2:TIDIG_COMP_CNT: 0
	.section	.text._ZN7rocprim17ROCPRIM_400000_NS6detail17trampoline_kernelINS0_14default_configENS1_36segmented_radix_sort_config_selectorIalEEZNS1_25segmented_radix_sort_implIS3_Lb0EPKaPaPKlPlN2at6native12_GLOBAL__N_18offset_tEEE10hipError_tPvRmT1_PNSt15iterator_traitsISK_E10value_typeET2_T3_PNSL_ISQ_E10value_typeET4_jRbjT5_SW_jjP12ihipStream_tbEUlT_E2_NS1_11comp_targetILNS1_3genE9ELNS1_11target_archE1100ELNS1_3gpuE3ELNS1_3repE0EEENS1_30default_config_static_selectorELNS0_4arch9wavefront6targetE1EEEvSK_,"axG",@progbits,_ZN7rocprim17ROCPRIM_400000_NS6detail17trampoline_kernelINS0_14default_configENS1_36segmented_radix_sort_config_selectorIalEEZNS1_25segmented_radix_sort_implIS3_Lb0EPKaPaPKlPlN2at6native12_GLOBAL__N_18offset_tEEE10hipError_tPvRmT1_PNSt15iterator_traitsISK_E10value_typeET2_T3_PNSL_ISQ_E10value_typeET4_jRbjT5_SW_jjP12ihipStream_tbEUlT_E2_NS1_11comp_targetILNS1_3genE9ELNS1_11target_archE1100ELNS1_3gpuE3ELNS1_3repE0EEENS1_30default_config_static_selectorELNS0_4arch9wavefront6targetE1EEEvSK_,comdat
	.globl	_ZN7rocprim17ROCPRIM_400000_NS6detail17trampoline_kernelINS0_14default_configENS1_36segmented_radix_sort_config_selectorIalEEZNS1_25segmented_radix_sort_implIS3_Lb0EPKaPaPKlPlN2at6native12_GLOBAL__N_18offset_tEEE10hipError_tPvRmT1_PNSt15iterator_traitsISK_E10value_typeET2_T3_PNSL_ISQ_E10value_typeET4_jRbjT5_SW_jjP12ihipStream_tbEUlT_E2_NS1_11comp_targetILNS1_3genE9ELNS1_11target_archE1100ELNS1_3gpuE3ELNS1_3repE0EEENS1_30default_config_static_selectorELNS0_4arch9wavefront6targetE1EEEvSK_ ; -- Begin function _ZN7rocprim17ROCPRIM_400000_NS6detail17trampoline_kernelINS0_14default_configENS1_36segmented_radix_sort_config_selectorIalEEZNS1_25segmented_radix_sort_implIS3_Lb0EPKaPaPKlPlN2at6native12_GLOBAL__N_18offset_tEEE10hipError_tPvRmT1_PNSt15iterator_traitsISK_E10value_typeET2_T3_PNSL_ISQ_E10value_typeET4_jRbjT5_SW_jjP12ihipStream_tbEUlT_E2_NS1_11comp_targetILNS1_3genE9ELNS1_11target_archE1100ELNS1_3gpuE3ELNS1_3repE0EEENS1_30default_config_static_selectorELNS0_4arch9wavefront6targetE1EEEvSK_
	.p2align	8
	.type	_ZN7rocprim17ROCPRIM_400000_NS6detail17trampoline_kernelINS0_14default_configENS1_36segmented_radix_sort_config_selectorIalEEZNS1_25segmented_radix_sort_implIS3_Lb0EPKaPaPKlPlN2at6native12_GLOBAL__N_18offset_tEEE10hipError_tPvRmT1_PNSt15iterator_traitsISK_E10value_typeET2_T3_PNSL_ISQ_E10value_typeET4_jRbjT5_SW_jjP12ihipStream_tbEUlT_E2_NS1_11comp_targetILNS1_3genE9ELNS1_11target_archE1100ELNS1_3gpuE3ELNS1_3repE0EEENS1_30default_config_static_selectorELNS0_4arch9wavefront6targetE1EEEvSK_,@function
_ZN7rocprim17ROCPRIM_400000_NS6detail17trampoline_kernelINS0_14default_configENS1_36segmented_radix_sort_config_selectorIalEEZNS1_25segmented_radix_sort_implIS3_Lb0EPKaPaPKlPlN2at6native12_GLOBAL__N_18offset_tEEE10hipError_tPvRmT1_PNSt15iterator_traitsISK_E10value_typeET2_T3_PNSL_ISQ_E10value_typeET4_jRbjT5_SW_jjP12ihipStream_tbEUlT_E2_NS1_11comp_targetILNS1_3genE9ELNS1_11target_archE1100ELNS1_3gpuE3ELNS1_3repE0EEENS1_30default_config_static_selectorELNS0_4arch9wavefront6targetE1EEEvSK_: ; @_ZN7rocprim17ROCPRIM_400000_NS6detail17trampoline_kernelINS0_14default_configENS1_36segmented_radix_sort_config_selectorIalEEZNS1_25segmented_radix_sort_implIS3_Lb0EPKaPaPKlPlN2at6native12_GLOBAL__N_18offset_tEEE10hipError_tPvRmT1_PNSt15iterator_traitsISK_E10value_typeET2_T3_PNSL_ISQ_E10value_typeET4_jRbjT5_SW_jjP12ihipStream_tbEUlT_E2_NS1_11comp_targetILNS1_3genE9ELNS1_11target_archE1100ELNS1_3gpuE3ELNS1_3repE0EEENS1_30default_config_static_selectorELNS0_4arch9wavefront6targetE1EEEvSK_
; %bb.0:
	.section	.rodata,"a",@progbits
	.p2align	6, 0x0
	.amdhsa_kernel _ZN7rocprim17ROCPRIM_400000_NS6detail17trampoline_kernelINS0_14default_configENS1_36segmented_radix_sort_config_selectorIalEEZNS1_25segmented_radix_sort_implIS3_Lb0EPKaPaPKlPlN2at6native12_GLOBAL__N_18offset_tEEE10hipError_tPvRmT1_PNSt15iterator_traitsISK_E10value_typeET2_T3_PNSL_ISQ_E10value_typeET4_jRbjT5_SW_jjP12ihipStream_tbEUlT_E2_NS1_11comp_targetILNS1_3genE9ELNS1_11target_archE1100ELNS1_3gpuE3ELNS1_3repE0EEENS1_30default_config_static_selectorELNS0_4arch9wavefront6targetE1EEEvSK_
		.amdhsa_group_segment_fixed_size 0
		.amdhsa_private_segment_fixed_size 0
		.amdhsa_kernarg_size 80
		.amdhsa_user_sgpr_count 6
		.amdhsa_user_sgpr_private_segment_buffer 1
		.amdhsa_user_sgpr_dispatch_ptr 0
		.amdhsa_user_sgpr_queue_ptr 0
		.amdhsa_user_sgpr_kernarg_segment_ptr 1
		.amdhsa_user_sgpr_dispatch_id 0
		.amdhsa_user_sgpr_flat_scratch_init 0
		.amdhsa_user_sgpr_private_segment_size 0
		.amdhsa_uses_dynamic_stack 0
		.amdhsa_system_sgpr_private_segment_wavefront_offset 0
		.amdhsa_system_sgpr_workgroup_id_x 1
		.amdhsa_system_sgpr_workgroup_id_y 0
		.amdhsa_system_sgpr_workgroup_id_z 0
		.amdhsa_system_sgpr_workgroup_info 0
		.amdhsa_system_vgpr_workitem_id 0
		.amdhsa_next_free_vgpr 1
		.amdhsa_next_free_sgpr 0
		.amdhsa_reserve_vcc 0
		.amdhsa_reserve_flat_scratch 0
		.amdhsa_float_round_mode_32 0
		.amdhsa_float_round_mode_16_64 0
		.amdhsa_float_denorm_mode_32 3
		.amdhsa_float_denorm_mode_16_64 3
		.amdhsa_dx10_clamp 1
		.amdhsa_ieee_mode 1
		.amdhsa_fp16_overflow 0
		.amdhsa_exception_fp_ieee_invalid_op 0
		.amdhsa_exception_fp_denorm_src 0
		.amdhsa_exception_fp_ieee_div_zero 0
		.amdhsa_exception_fp_ieee_overflow 0
		.amdhsa_exception_fp_ieee_underflow 0
		.amdhsa_exception_fp_ieee_inexact 0
		.amdhsa_exception_int_div_zero 0
	.end_amdhsa_kernel
	.section	.text._ZN7rocprim17ROCPRIM_400000_NS6detail17trampoline_kernelINS0_14default_configENS1_36segmented_radix_sort_config_selectorIalEEZNS1_25segmented_radix_sort_implIS3_Lb0EPKaPaPKlPlN2at6native12_GLOBAL__N_18offset_tEEE10hipError_tPvRmT1_PNSt15iterator_traitsISK_E10value_typeET2_T3_PNSL_ISQ_E10value_typeET4_jRbjT5_SW_jjP12ihipStream_tbEUlT_E2_NS1_11comp_targetILNS1_3genE9ELNS1_11target_archE1100ELNS1_3gpuE3ELNS1_3repE0EEENS1_30default_config_static_selectorELNS0_4arch9wavefront6targetE1EEEvSK_,"axG",@progbits,_ZN7rocprim17ROCPRIM_400000_NS6detail17trampoline_kernelINS0_14default_configENS1_36segmented_radix_sort_config_selectorIalEEZNS1_25segmented_radix_sort_implIS3_Lb0EPKaPaPKlPlN2at6native12_GLOBAL__N_18offset_tEEE10hipError_tPvRmT1_PNSt15iterator_traitsISK_E10value_typeET2_T3_PNSL_ISQ_E10value_typeET4_jRbjT5_SW_jjP12ihipStream_tbEUlT_E2_NS1_11comp_targetILNS1_3genE9ELNS1_11target_archE1100ELNS1_3gpuE3ELNS1_3repE0EEENS1_30default_config_static_selectorELNS0_4arch9wavefront6targetE1EEEvSK_,comdat
.Lfunc_end430:
	.size	_ZN7rocprim17ROCPRIM_400000_NS6detail17trampoline_kernelINS0_14default_configENS1_36segmented_radix_sort_config_selectorIalEEZNS1_25segmented_radix_sort_implIS3_Lb0EPKaPaPKlPlN2at6native12_GLOBAL__N_18offset_tEEE10hipError_tPvRmT1_PNSt15iterator_traitsISK_E10value_typeET2_T3_PNSL_ISQ_E10value_typeET4_jRbjT5_SW_jjP12ihipStream_tbEUlT_E2_NS1_11comp_targetILNS1_3genE9ELNS1_11target_archE1100ELNS1_3gpuE3ELNS1_3repE0EEENS1_30default_config_static_selectorELNS0_4arch9wavefront6targetE1EEEvSK_, .Lfunc_end430-_ZN7rocprim17ROCPRIM_400000_NS6detail17trampoline_kernelINS0_14default_configENS1_36segmented_radix_sort_config_selectorIalEEZNS1_25segmented_radix_sort_implIS3_Lb0EPKaPaPKlPlN2at6native12_GLOBAL__N_18offset_tEEE10hipError_tPvRmT1_PNSt15iterator_traitsISK_E10value_typeET2_T3_PNSL_ISQ_E10value_typeET4_jRbjT5_SW_jjP12ihipStream_tbEUlT_E2_NS1_11comp_targetILNS1_3genE9ELNS1_11target_archE1100ELNS1_3gpuE3ELNS1_3repE0EEENS1_30default_config_static_selectorELNS0_4arch9wavefront6targetE1EEEvSK_
                                        ; -- End function
	.set _ZN7rocprim17ROCPRIM_400000_NS6detail17trampoline_kernelINS0_14default_configENS1_36segmented_radix_sort_config_selectorIalEEZNS1_25segmented_radix_sort_implIS3_Lb0EPKaPaPKlPlN2at6native12_GLOBAL__N_18offset_tEEE10hipError_tPvRmT1_PNSt15iterator_traitsISK_E10value_typeET2_T3_PNSL_ISQ_E10value_typeET4_jRbjT5_SW_jjP12ihipStream_tbEUlT_E2_NS1_11comp_targetILNS1_3genE9ELNS1_11target_archE1100ELNS1_3gpuE3ELNS1_3repE0EEENS1_30default_config_static_selectorELNS0_4arch9wavefront6targetE1EEEvSK_.num_vgpr, 0
	.set _ZN7rocprim17ROCPRIM_400000_NS6detail17trampoline_kernelINS0_14default_configENS1_36segmented_radix_sort_config_selectorIalEEZNS1_25segmented_radix_sort_implIS3_Lb0EPKaPaPKlPlN2at6native12_GLOBAL__N_18offset_tEEE10hipError_tPvRmT1_PNSt15iterator_traitsISK_E10value_typeET2_T3_PNSL_ISQ_E10value_typeET4_jRbjT5_SW_jjP12ihipStream_tbEUlT_E2_NS1_11comp_targetILNS1_3genE9ELNS1_11target_archE1100ELNS1_3gpuE3ELNS1_3repE0EEENS1_30default_config_static_selectorELNS0_4arch9wavefront6targetE1EEEvSK_.num_agpr, 0
	.set _ZN7rocprim17ROCPRIM_400000_NS6detail17trampoline_kernelINS0_14default_configENS1_36segmented_radix_sort_config_selectorIalEEZNS1_25segmented_radix_sort_implIS3_Lb0EPKaPaPKlPlN2at6native12_GLOBAL__N_18offset_tEEE10hipError_tPvRmT1_PNSt15iterator_traitsISK_E10value_typeET2_T3_PNSL_ISQ_E10value_typeET4_jRbjT5_SW_jjP12ihipStream_tbEUlT_E2_NS1_11comp_targetILNS1_3genE9ELNS1_11target_archE1100ELNS1_3gpuE3ELNS1_3repE0EEENS1_30default_config_static_selectorELNS0_4arch9wavefront6targetE1EEEvSK_.numbered_sgpr, 0
	.set _ZN7rocprim17ROCPRIM_400000_NS6detail17trampoline_kernelINS0_14default_configENS1_36segmented_radix_sort_config_selectorIalEEZNS1_25segmented_radix_sort_implIS3_Lb0EPKaPaPKlPlN2at6native12_GLOBAL__N_18offset_tEEE10hipError_tPvRmT1_PNSt15iterator_traitsISK_E10value_typeET2_T3_PNSL_ISQ_E10value_typeET4_jRbjT5_SW_jjP12ihipStream_tbEUlT_E2_NS1_11comp_targetILNS1_3genE9ELNS1_11target_archE1100ELNS1_3gpuE3ELNS1_3repE0EEENS1_30default_config_static_selectorELNS0_4arch9wavefront6targetE1EEEvSK_.num_named_barrier, 0
	.set _ZN7rocprim17ROCPRIM_400000_NS6detail17trampoline_kernelINS0_14default_configENS1_36segmented_radix_sort_config_selectorIalEEZNS1_25segmented_radix_sort_implIS3_Lb0EPKaPaPKlPlN2at6native12_GLOBAL__N_18offset_tEEE10hipError_tPvRmT1_PNSt15iterator_traitsISK_E10value_typeET2_T3_PNSL_ISQ_E10value_typeET4_jRbjT5_SW_jjP12ihipStream_tbEUlT_E2_NS1_11comp_targetILNS1_3genE9ELNS1_11target_archE1100ELNS1_3gpuE3ELNS1_3repE0EEENS1_30default_config_static_selectorELNS0_4arch9wavefront6targetE1EEEvSK_.private_seg_size, 0
	.set _ZN7rocprim17ROCPRIM_400000_NS6detail17trampoline_kernelINS0_14default_configENS1_36segmented_radix_sort_config_selectorIalEEZNS1_25segmented_radix_sort_implIS3_Lb0EPKaPaPKlPlN2at6native12_GLOBAL__N_18offset_tEEE10hipError_tPvRmT1_PNSt15iterator_traitsISK_E10value_typeET2_T3_PNSL_ISQ_E10value_typeET4_jRbjT5_SW_jjP12ihipStream_tbEUlT_E2_NS1_11comp_targetILNS1_3genE9ELNS1_11target_archE1100ELNS1_3gpuE3ELNS1_3repE0EEENS1_30default_config_static_selectorELNS0_4arch9wavefront6targetE1EEEvSK_.uses_vcc, 0
	.set _ZN7rocprim17ROCPRIM_400000_NS6detail17trampoline_kernelINS0_14default_configENS1_36segmented_radix_sort_config_selectorIalEEZNS1_25segmented_radix_sort_implIS3_Lb0EPKaPaPKlPlN2at6native12_GLOBAL__N_18offset_tEEE10hipError_tPvRmT1_PNSt15iterator_traitsISK_E10value_typeET2_T3_PNSL_ISQ_E10value_typeET4_jRbjT5_SW_jjP12ihipStream_tbEUlT_E2_NS1_11comp_targetILNS1_3genE9ELNS1_11target_archE1100ELNS1_3gpuE3ELNS1_3repE0EEENS1_30default_config_static_selectorELNS0_4arch9wavefront6targetE1EEEvSK_.uses_flat_scratch, 0
	.set _ZN7rocprim17ROCPRIM_400000_NS6detail17trampoline_kernelINS0_14default_configENS1_36segmented_radix_sort_config_selectorIalEEZNS1_25segmented_radix_sort_implIS3_Lb0EPKaPaPKlPlN2at6native12_GLOBAL__N_18offset_tEEE10hipError_tPvRmT1_PNSt15iterator_traitsISK_E10value_typeET2_T3_PNSL_ISQ_E10value_typeET4_jRbjT5_SW_jjP12ihipStream_tbEUlT_E2_NS1_11comp_targetILNS1_3genE9ELNS1_11target_archE1100ELNS1_3gpuE3ELNS1_3repE0EEENS1_30default_config_static_selectorELNS0_4arch9wavefront6targetE1EEEvSK_.has_dyn_sized_stack, 0
	.set _ZN7rocprim17ROCPRIM_400000_NS6detail17trampoline_kernelINS0_14default_configENS1_36segmented_radix_sort_config_selectorIalEEZNS1_25segmented_radix_sort_implIS3_Lb0EPKaPaPKlPlN2at6native12_GLOBAL__N_18offset_tEEE10hipError_tPvRmT1_PNSt15iterator_traitsISK_E10value_typeET2_T3_PNSL_ISQ_E10value_typeET4_jRbjT5_SW_jjP12ihipStream_tbEUlT_E2_NS1_11comp_targetILNS1_3genE9ELNS1_11target_archE1100ELNS1_3gpuE3ELNS1_3repE0EEENS1_30default_config_static_selectorELNS0_4arch9wavefront6targetE1EEEvSK_.has_recursion, 0
	.set _ZN7rocprim17ROCPRIM_400000_NS6detail17trampoline_kernelINS0_14default_configENS1_36segmented_radix_sort_config_selectorIalEEZNS1_25segmented_radix_sort_implIS3_Lb0EPKaPaPKlPlN2at6native12_GLOBAL__N_18offset_tEEE10hipError_tPvRmT1_PNSt15iterator_traitsISK_E10value_typeET2_T3_PNSL_ISQ_E10value_typeET4_jRbjT5_SW_jjP12ihipStream_tbEUlT_E2_NS1_11comp_targetILNS1_3genE9ELNS1_11target_archE1100ELNS1_3gpuE3ELNS1_3repE0EEENS1_30default_config_static_selectorELNS0_4arch9wavefront6targetE1EEEvSK_.has_indirect_call, 0
	.section	.AMDGPU.csdata,"",@progbits
; Kernel info:
; codeLenInByte = 0
; TotalNumSgprs: 4
; NumVgprs: 0
; ScratchSize: 0
; MemoryBound: 0
; FloatMode: 240
; IeeeMode: 1
; LDSByteSize: 0 bytes/workgroup (compile time only)
; SGPRBlocks: 0
; VGPRBlocks: 0
; NumSGPRsForWavesPerEU: 4
; NumVGPRsForWavesPerEU: 1
; Occupancy: 10
; WaveLimiterHint : 0
; COMPUTE_PGM_RSRC2:SCRATCH_EN: 0
; COMPUTE_PGM_RSRC2:USER_SGPR: 6
; COMPUTE_PGM_RSRC2:TRAP_HANDLER: 0
; COMPUTE_PGM_RSRC2:TGID_X_EN: 1
; COMPUTE_PGM_RSRC2:TGID_Y_EN: 0
; COMPUTE_PGM_RSRC2:TGID_Z_EN: 0
; COMPUTE_PGM_RSRC2:TIDIG_COMP_CNT: 0
	.section	.text._ZN7rocprim17ROCPRIM_400000_NS6detail17trampoline_kernelINS0_14default_configENS1_36segmented_radix_sort_config_selectorIalEEZNS1_25segmented_radix_sort_implIS3_Lb0EPKaPaPKlPlN2at6native12_GLOBAL__N_18offset_tEEE10hipError_tPvRmT1_PNSt15iterator_traitsISK_E10value_typeET2_T3_PNSL_ISQ_E10value_typeET4_jRbjT5_SW_jjP12ihipStream_tbEUlT_E2_NS1_11comp_targetILNS1_3genE8ELNS1_11target_archE1030ELNS1_3gpuE2ELNS1_3repE0EEENS1_30default_config_static_selectorELNS0_4arch9wavefront6targetE1EEEvSK_,"axG",@progbits,_ZN7rocprim17ROCPRIM_400000_NS6detail17trampoline_kernelINS0_14default_configENS1_36segmented_radix_sort_config_selectorIalEEZNS1_25segmented_radix_sort_implIS3_Lb0EPKaPaPKlPlN2at6native12_GLOBAL__N_18offset_tEEE10hipError_tPvRmT1_PNSt15iterator_traitsISK_E10value_typeET2_T3_PNSL_ISQ_E10value_typeET4_jRbjT5_SW_jjP12ihipStream_tbEUlT_E2_NS1_11comp_targetILNS1_3genE8ELNS1_11target_archE1030ELNS1_3gpuE2ELNS1_3repE0EEENS1_30default_config_static_selectorELNS0_4arch9wavefront6targetE1EEEvSK_,comdat
	.globl	_ZN7rocprim17ROCPRIM_400000_NS6detail17trampoline_kernelINS0_14default_configENS1_36segmented_radix_sort_config_selectorIalEEZNS1_25segmented_radix_sort_implIS3_Lb0EPKaPaPKlPlN2at6native12_GLOBAL__N_18offset_tEEE10hipError_tPvRmT1_PNSt15iterator_traitsISK_E10value_typeET2_T3_PNSL_ISQ_E10value_typeET4_jRbjT5_SW_jjP12ihipStream_tbEUlT_E2_NS1_11comp_targetILNS1_3genE8ELNS1_11target_archE1030ELNS1_3gpuE2ELNS1_3repE0EEENS1_30default_config_static_selectorELNS0_4arch9wavefront6targetE1EEEvSK_ ; -- Begin function _ZN7rocprim17ROCPRIM_400000_NS6detail17trampoline_kernelINS0_14default_configENS1_36segmented_radix_sort_config_selectorIalEEZNS1_25segmented_radix_sort_implIS3_Lb0EPKaPaPKlPlN2at6native12_GLOBAL__N_18offset_tEEE10hipError_tPvRmT1_PNSt15iterator_traitsISK_E10value_typeET2_T3_PNSL_ISQ_E10value_typeET4_jRbjT5_SW_jjP12ihipStream_tbEUlT_E2_NS1_11comp_targetILNS1_3genE8ELNS1_11target_archE1030ELNS1_3gpuE2ELNS1_3repE0EEENS1_30default_config_static_selectorELNS0_4arch9wavefront6targetE1EEEvSK_
	.p2align	8
	.type	_ZN7rocprim17ROCPRIM_400000_NS6detail17trampoline_kernelINS0_14default_configENS1_36segmented_radix_sort_config_selectorIalEEZNS1_25segmented_radix_sort_implIS3_Lb0EPKaPaPKlPlN2at6native12_GLOBAL__N_18offset_tEEE10hipError_tPvRmT1_PNSt15iterator_traitsISK_E10value_typeET2_T3_PNSL_ISQ_E10value_typeET4_jRbjT5_SW_jjP12ihipStream_tbEUlT_E2_NS1_11comp_targetILNS1_3genE8ELNS1_11target_archE1030ELNS1_3gpuE2ELNS1_3repE0EEENS1_30default_config_static_selectorELNS0_4arch9wavefront6targetE1EEEvSK_,@function
_ZN7rocprim17ROCPRIM_400000_NS6detail17trampoline_kernelINS0_14default_configENS1_36segmented_radix_sort_config_selectorIalEEZNS1_25segmented_radix_sort_implIS3_Lb0EPKaPaPKlPlN2at6native12_GLOBAL__N_18offset_tEEE10hipError_tPvRmT1_PNSt15iterator_traitsISK_E10value_typeET2_T3_PNSL_ISQ_E10value_typeET4_jRbjT5_SW_jjP12ihipStream_tbEUlT_E2_NS1_11comp_targetILNS1_3genE8ELNS1_11target_archE1030ELNS1_3gpuE2ELNS1_3repE0EEENS1_30default_config_static_selectorELNS0_4arch9wavefront6targetE1EEEvSK_: ; @_ZN7rocprim17ROCPRIM_400000_NS6detail17trampoline_kernelINS0_14default_configENS1_36segmented_radix_sort_config_selectorIalEEZNS1_25segmented_radix_sort_implIS3_Lb0EPKaPaPKlPlN2at6native12_GLOBAL__N_18offset_tEEE10hipError_tPvRmT1_PNSt15iterator_traitsISK_E10value_typeET2_T3_PNSL_ISQ_E10value_typeET4_jRbjT5_SW_jjP12ihipStream_tbEUlT_E2_NS1_11comp_targetILNS1_3genE8ELNS1_11target_archE1030ELNS1_3gpuE2ELNS1_3repE0EEENS1_30default_config_static_selectorELNS0_4arch9wavefront6targetE1EEEvSK_
; %bb.0:
	.section	.rodata,"a",@progbits
	.p2align	6, 0x0
	.amdhsa_kernel _ZN7rocprim17ROCPRIM_400000_NS6detail17trampoline_kernelINS0_14default_configENS1_36segmented_radix_sort_config_selectorIalEEZNS1_25segmented_radix_sort_implIS3_Lb0EPKaPaPKlPlN2at6native12_GLOBAL__N_18offset_tEEE10hipError_tPvRmT1_PNSt15iterator_traitsISK_E10value_typeET2_T3_PNSL_ISQ_E10value_typeET4_jRbjT5_SW_jjP12ihipStream_tbEUlT_E2_NS1_11comp_targetILNS1_3genE8ELNS1_11target_archE1030ELNS1_3gpuE2ELNS1_3repE0EEENS1_30default_config_static_selectorELNS0_4arch9wavefront6targetE1EEEvSK_
		.amdhsa_group_segment_fixed_size 0
		.amdhsa_private_segment_fixed_size 0
		.amdhsa_kernarg_size 80
		.amdhsa_user_sgpr_count 6
		.amdhsa_user_sgpr_private_segment_buffer 1
		.amdhsa_user_sgpr_dispatch_ptr 0
		.amdhsa_user_sgpr_queue_ptr 0
		.amdhsa_user_sgpr_kernarg_segment_ptr 1
		.amdhsa_user_sgpr_dispatch_id 0
		.amdhsa_user_sgpr_flat_scratch_init 0
		.amdhsa_user_sgpr_private_segment_size 0
		.amdhsa_uses_dynamic_stack 0
		.amdhsa_system_sgpr_private_segment_wavefront_offset 0
		.amdhsa_system_sgpr_workgroup_id_x 1
		.amdhsa_system_sgpr_workgroup_id_y 0
		.amdhsa_system_sgpr_workgroup_id_z 0
		.amdhsa_system_sgpr_workgroup_info 0
		.amdhsa_system_vgpr_workitem_id 0
		.amdhsa_next_free_vgpr 1
		.amdhsa_next_free_sgpr 0
		.amdhsa_reserve_vcc 0
		.amdhsa_reserve_flat_scratch 0
		.amdhsa_float_round_mode_32 0
		.amdhsa_float_round_mode_16_64 0
		.amdhsa_float_denorm_mode_32 3
		.amdhsa_float_denorm_mode_16_64 3
		.amdhsa_dx10_clamp 1
		.amdhsa_ieee_mode 1
		.amdhsa_fp16_overflow 0
		.amdhsa_exception_fp_ieee_invalid_op 0
		.amdhsa_exception_fp_denorm_src 0
		.amdhsa_exception_fp_ieee_div_zero 0
		.amdhsa_exception_fp_ieee_overflow 0
		.amdhsa_exception_fp_ieee_underflow 0
		.amdhsa_exception_fp_ieee_inexact 0
		.amdhsa_exception_int_div_zero 0
	.end_amdhsa_kernel
	.section	.text._ZN7rocprim17ROCPRIM_400000_NS6detail17trampoline_kernelINS0_14default_configENS1_36segmented_radix_sort_config_selectorIalEEZNS1_25segmented_radix_sort_implIS3_Lb0EPKaPaPKlPlN2at6native12_GLOBAL__N_18offset_tEEE10hipError_tPvRmT1_PNSt15iterator_traitsISK_E10value_typeET2_T3_PNSL_ISQ_E10value_typeET4_jRbjT5_SW_jjP12ihipStream_tbEUlT_E2_NS1_11comp_targetILNS1_3genE8ELNS1_11target_archE1030ELNS1_3gpuE2ELNS1_3repE0EEENS1_30default_config_static_selectorELNS0_4arch9wavefront6targetE1EEEvSK_,"axG",@progbits,_ZN7rocprim17ROCPRIM_400000_NS6detail17trampoline_kernelINS0_14default_configENS1_36segmented_radix_sort_config_selectorIalEEZNS1_25segmented_radix_sort_implIS3_Lb0EPKaPaPKlPlN2at6native12_GLOBAL__N_18offset_tEEE10hipError_tPvRmT1_PNSt15iterator_traitsISK_E10value_typeET2_T3_PNSL_ISQ_E10value_typeET4_jRbjT5_SW_jjP12ihipStream_tbEUlT_E2_NS1_11comp_targetILNS1_3genE8ELNS1_11target_archE1030ELNS1_3gpuE2ELNS1_3repE0EEENS1_30default_config_static_selectorELNS0_4arch9wavefront6targetE1EEEvSK_,comdat
.Lfunc_end431:
	.size	_ZN7rocprim17ROCPRIM_400000_NS6detail17trampoline_kernelINS0_14default_configENS1_36segmented_radix_sort_config_selectorIalEEZNS1_25segmented_radix_sort_implIS3_Lb0EPKaPaPKlPlN2at6native12_GLOBAL__N_18offset_tEEE10hipError_tPvRmT1_PNSt15iterator_traitsISK_E10value_typeET2_T3_PNSL_ISQ_E10value_typeET4_jRbjT5_SW_jjP12ihipStream_tbEUlT_E2_NS1_11comp_targetILNS1_3genE8ELNS1_11target_archE1030ELNS1_3gpuE2ELNS1_3repE0EEENS1_30default_config_static_selectorELNS0_4arch9wavefront6targetE1EEEvSK_, .Lfunc_end431-_ZN7rocprim17ROCPRIM_400000_NS6detail17trampoline_kernelINS0_14default_configENS1_36segmented_radix_sort_config_selectorIalEEZNS1_25segmented_radix_sort_implIS3_Lb0EPKaPaPKlPlN2at6native12_GLOBAL__N_18offset_tEEE10hipError_tPvRmT1_PNSt15iterator_traitsISK_E10value_typeET2_T3_PNSL_ISQ_E10value_typeET4_jRbjT5_SW_jjP12ihipStream_tbEUlT_E2_NS1_11comp_targetILNS1_3genE8ELNS1_11target_archE1030ELNS1_3gpuE2ELNS1_3repE0EEENS1_30default_config_static_selectorELNS0_4arch9wavefront6targetE1EEEvSK_
                                        ; -- End function
	.set _ZN7rocprim17ROCPRIM_400000_NS6detail17trampoline_kernelINS0_14default_configENS1_36segmented_radix_sort_config_selectorIalEEZNS1_25segmented_radix_sort_implIS3_Lb0EPKaPaPKlPlN2at6native12_GLOBAL__N_18offset_tEEE10hipError_tPvRmT1_PNSt15iterator_traitsISK_E10value_typeET2_T3_PNSL_ISQ_E10value_typeET4_jRbjT5_SW_jjP12ihipStream_tbEUlT_E2_NS1_11comp_targetILNS1_3genE8ELNS1_11target_archE1030ELNS1_3gpuE2ELNS1_3repE0EEENS1_30default_config_static_selectorELNS0_4arch9wavefront6targetE1EEEvSK_.num_vgpr, 0
	.set _ZN7rocprim17ROCPRIM_400000_NS6detail17trampoline_kernelINS0_14default_configENS1_36segmented_radix_sort_config_selectorIalEEZNS1_25segmented_radix_sort_implIS3_Lb0EPKaPaPKlPlN2at6native12_GLOBAL__N_18offset_tEEE10hipError_tPvRmT1_PNSt15iterator_traitsISK_E10value_typeET2_T3_PNSL_ISQ_E10value_typeET4_jRbjT5_SW_jjP12ihipStream_tbEUlT_E2_NS1_11comp_targetILNS1_3genE8ELNS1_11target_archE1030ELNS1_3gpuE2ELNS1_3repE0EEENS1_30default_config_static_selectorELNS0_4arch9wavefront6targetE1EEEvSK_.num_agpr, 0
	.set _ZN7rocprim17ROCPRIM_400000_NS6detail17trampoline_kernelINS0_14default_configENS1_36segmented_radix_sort_config_selectorIalEEZNS1_25segmented_radix_sort_implIS3_Lb0EPKaPaPKlPlN2at6native12_GLOBAL__N_18offset_tEEE10hipError_tPvRmT1_PNSt15iterator_traitsISK_E10value_typeET2_T3_PNSL_ISQ_E10value_typeET4_jRbjT5_SW_jjP12ihipStream_tbEUlT_E2_NS1_11comp_targetILNS1_3genE8ELNS1_11target_archE1030ELNS1_3gpuE2ELNS1_3repE0EEENS1_30default_config_static_selectorELNS0_4arch9wavefront6targetE1EEEvSK_.numbered_sgpr, 0
	.set _ZN7rocprim17ROCPRIM_400000_NS6detail17trampoline_kernelINS0_14default_configENS1_36segmented_radix_sort_config_selectorIalEEZNS1_25segmented_radix_sort_implIS3_Lb0EPKaPaPKlPlN2at6native12_GLOBAL__N_18offset_tEEE10hipError_tPvRmT1_PNSt15iterator_traitsISK_E10value_typeET2_T3_PNSL_ISQ_E10value_typeET4_jRbjT5_SW_jjP12ihipStream_tbEUlT_E2_NS1_11comp_targetILNS1_3genE8ELNS1_11target_archE1030ELNS1_3gpuE2ELNS1_3repE0EEENS1_30default_config_static_selectorELNS0_4arch9wavefront6targetE1EEEvSK_.num_named_barrier, 0
	.set _ZN7rocprim17ROCPRIM_400000_NS6detail17trampoline_kernelINS0_14default_configENS1_36segmented_radix_sort_config_selectorIalEEZNS1_25segmented_radix_sort_implIS3_Lb0EPKaPaPKlPlN2at6native12_GLOBAL__N_18offset_tEEE10hipError_tPvRmT1_PNSt15iterator_traitsISK_E10value_typeET2_T3_PNSL_ISQ_E10value_typeET4_jRbjT5_SW_jjP12ihipStream_tbEUlT_E2_NS1_11comp_targetILNS1_3genE8ELNS1_11target_archE1030ELNS1_3gpuE2ELNS1_3repE0EEENS1_30default_config_static_selectorELNS0_4arch9wavefront6targetE1EEEvSK_.private_seg_size, 0
	.set _ZN7rocprim17ROCPRIM_400000_NS6detail17trampoline_kernelINS0_14default_configENS1_36segmented_radix_sort_config_selectorIalEEZNS1_25segmented_radix_sort_implIS3_Lb0EPKaPaPKlPlN2at6native12_GLOBAL__N_18offset_tEEE10hipError_tPvRmT1_PNSt15iterator_traitsISK_E10value_typeET2_T3_PNSL_ISQ_E10value_typeET4_jRbjT5_SW_jjP12ihipStream_tbEUlT_E2_NS1_11comp_targetILNS1_3genE8ELNS1_11target_archE1030ELNS1_3gpuE2ELNS1_3repE0EEENS1_30default_config_static_selectorELNS0_4arch9wavefront6targetE1EEEvSK_.uses_vcc, 0
	.set _ZN7rocprim17ROCPRIM_400000_NS6detail17trampoline_kernelINS0_14default_configENS1_36segmented_radix_sort_config_selectorIalEEZNS1_25segmented_radix_sort_implIS3_Lb0EPKaPaPKlPlN2at6native12_GLOBAL__N_18offset_tEEE10hipError_tPvRmT1_PNSt15iterator_traitsISK_E10value_typeET2_T3_PNSL_ISQ_E10value_typeET4_jRbjT5_SW_jjP12ihipStream_tbEUlT_E2_NS1_11comp_targetILNS1_3genE8ELNS1_11target_archE1030ELNS1_3gpuE2ELNS1_3repE0EEENS1_30default_config_static_selectorELNS0_4arch9wavefront6targetE1EEEvSK_.uses_flat_scratch, 0
	.set _ZN7rocprim17ROCPRIM_400000_NS6detail17trampoline_kernelINS0_14default_configENS1_36segmented_radix_sort_config_selectorIalEEZNS1_25segmented_radix_sort_implIS3_Lb0EPKaPaPKlPlN2at6native12_GLOBAL__N_18offset_tEEE10hipError_tPvRmT1_PNSt15iterator_traitsISK_E10value_typeET2_T3_PNSL_ISQ_E10value_typeET4_jRbjT5_SW_jjP12ihipStream_tbEUlT_E2_NS1_11comp_targetILNS1_3genE8ELNS1_11target_archE1030ELNS1_3gpuE2ELNS1_3repE0EEENS1_30default_config_static_selectorELNS0_4arch9wavefront6targetE1EEEvSK_.has_dyn_sized_stack, 0
	.set _ZN7rocprim17ROCPRIM_400000_NS6detail17trampoline_kernelINS0_14default_configENS1_36segmented_radix_sort_config_selectorIalEEZNS1_25segmented_radix_sort_implIS3_Lb0EPKaPaPKlPlN2at6native12_GLOBAL__N_18offset_tEEE10hipError_tPvRmT1_PNSt15iterator_traitsISK_E10value_typeET2_T3_PNSL_ISQ_E10value_typeET4_jRbjT5_SW_jjP12ihipStream_tbEUlT_E2_NS1_11comp_targetILNS1_3genE8ELNS1_11target_archE1030ELNS1_3gpuE2ELNS1_3repE0EEENS1_30default_config_static_selectorELNS0_4arch9wavefront6targetE1EEEvSK_.has_recursion, 0
	.set _ZN7rocprim17ROCPRIM_400000_NS6detail17trampoline_kernelINS0_14default_configENS1_36segmented_radix_sort_config_selectorIalEEZNS1_25segmented_radix_sort_implIS3_Lb0EPKaPaPKlPlN2at6native12_GLOBAL__N_18offset_tEEE10hipError_tPvRmT1_PNSt15iterator_traitsISK_E10value_typeET2_T3_PNSL_ISQ_E10value_typeET4_jRbjT5_SW_jjP12ihipStream_tbEUlT_E2_NS1_11comp_targetILNS1_3genE8ELNS1_11target_archE1030ELNS1_3gpuE2ELNS1_3repE0EEENS1_30default_config_static_selectorELNS0_4arch9wavefront6targetE1EEEvSK_.has_indirect_call, 0
	.section	.AMDGPU.csdata,"",@progbits
; Kernel info:
; codeLenInByte = 0
; TotalNumSgprs: 4
; NumVgprs: 0
; ScratchSize: 0
; MemoryBound: 0
; FloatMode: 240
; IeeeMode: 1
; LDSByteSize: 0 bytes/workgroup (compile time only)
; SGPRBlocks: 0
; VGPRBlocks: 0
; NumSGPRsForWavesPerEU: 4
; NumVGPRsForWavesPerEU: 1
; Occupancy: 10
; WaveLimiterHint : 0
; COMPUTE_PGM_RSRC2:SCRATCH_EN: 0
; COMPUTE_PGM_RSRC2:USER_SGPR: 6
; COMPUTE_PGM_RSRC2:TRAP_HANDLER: 0
; COMPUTE_PGM_RSRC2:TGID_X_EN: 1
; COMPUTE_PGM_RSRC2:TGID_Y_EN: 0
; COMPUTE_PGM_RSRC2:TGID_Z_EN: 0
; COMPUTE_PGM_RSRC2:TIDIG_COMP_CNT: 0
	.section	.text._ZN2at6native12_GLOBAL__N_123sort_postprocess_kernelIiEEvPKT_PS3_PlPK15HIP_vector_typeIiLj2EEii,"axG",@progbits,_ZN2at6native12_GLOBAL__N_123sort_postprocess_kernelIiEEvPKT_PS3_PlPK15HIP_vector_typeIiLj2EEii,comdat
	.globl	_ZN2at6native12_GLOBAL__N_123sort_postprocess_kernelIiEEvPKT_PS3_PlPK15HIP_vector_typeIiLj2EEii ; -- Begin function _ZN2at6native12_GLOBAL__N_123sort_postprocess_kernelIiEEvPKT_PS3_PlPK15HIP_vector_typeIiLj2EEii
	.p2align	8
	.type	_ZN2at6native12_GLOBAL__N_123sort_postprocess_kernelIiEEvPKT_PS3_PlPK15HIP_vector_typeIiLj2EEii,@function
_ZN2at6native12_GLOBAL__N_123sort_postprocess_kernelIiEEvPKT_PS3_PlPK15HIP_vector_typeIiLj2EEii: ; @_ZN2at6native12_GLOBAL__N_123sort_postprocess_kernelIiEEvPKT_PS3_PlPK15HIP_vector_typeIiLj2EEii
; %bb.0:
	s_load_dword s0, s[4:5], 0x34
	s_load_dwordx2 s[8:9], s[4:5], 0x20
	s_add_u32 s2, s4, 40
	s_addc_u32 s3, s5, 0
	s_waitcnt lgkmcnt(0)
	s_and_b32 s17, s0, 0xffff
	s_mul_hi_u32 s16, s17, s6
	s_mul_i32 s6, s17, s6
	v_mov_b32_e32 v2, s16
	v_add_co_u32_e32 v1, vcc, s6, v0
	s_mul_i32 s0, s9, s8
	v_addc_co_u32_e32 v2, vcc, 0, v2, vcc
	s_ashr_i32 s1, s0, 31
	v_cmp_gt_i64_e32 vcc, s[0:1], v[1:2]
	v_mov_b32_e32 v1, 0
	s_and_saveexec_b64 s[10:11], vcc
	s_cbranch_execz .LBB432_3
; %bb.1:
	s_abs_i32 s7, s9
	v_cvt_f32_u32_e32 v2, s7
	s_load_dword s18, s[2:3], 0x0
	s_load_dwordx8 s[8:15], s[4:5], 0x0
	s_sub_i32 s2, 0, s7
	v_rcp_iflag_f32_e32 v2, v2
	s_waitcnt lgkmcnt(0)
	s_mul_i32 s4, s18, s17
	v_mov_b32_e32 v4, s13
	v_mov_b32_e32 v5, s15
	v_mul_f32_e32 v2, 0x4f7ffffe, v2
	v_cvt_u32_f32_e32 v6, v2
	v_mov_b32_e32 v2, s9
	v_mul_lo_u32 v3, s2, v6
	s_mov_b64 s[2:3], 0
	v_mul_hi_u32 v7, v6, v3
	v_mov_b32_e32 v3, s11
	v_add_u32_e32 v6, v6, v7
	v_mov_b32_e32 v7, s16
.LBB432_2:                              ; =>This Inner Loop Header: Depth=1
	v_add_u32_e32 v8, s6, v0
	v_ashrrev_i32_e32 v9, 31, v8
	v_sub_u32_e32 v10, 0, v8
	v_add_u32_e32 v11, v8, v9
	v_max_i32_e32 v8, v8, v10
	v_mul_hi_u32 v10, v8, v6
	v_mul_lo_u32 v10, v10, s7
	v_sub_u32_e32 v8, v8, v10
	v_subrev_u32_e32 v10, s7, v8
	v_cmp_le_u32_e32 vcc, s7, v8
	v_cndmask_b32_e32 v8, v8, v10, vcc
	v_subrev_u32_e32 v10, s7, v8
	v_cmp_le_u32_e32 vcc, s7, v8
	v_cndmask_b32_e32 v8, v8, v10, vcc
	v_xor_b32_e32 v10, v8, v9
	v_sub_u32_e32 v8, v10, v9
	v_sub_u32_e32 v10, v11, v10
	v_ashrrev_i32_e32 v11, 31, v10
	v_lshlrev_b64 v[12:13], 3, v[10:11]
	v_ashrrev_i32_e32 v9, 31, v8
	v_lshlrev_b64 v[14:15], 3, v[8:9]
	v_add_co_u32_e32 v16, vcc, s14, v12
	v_addc_co_u32_e32 v17, vcc, v5, v13, vcc
	v_add_co_u32_e32 v16, vcc, v16, v14
	v_addc_co_u32_e32 v17, vcc, v17, v15, vcc
	global_load_dword v16, v[16:17], off offset:4
	v_lshlrev_b64 v[10:11], 2, v[10:11]
	v_lshlrev_b64 v[8:9], 2, v[8:9]
	v_add_co_u32_e32 v20, vcc, s8, v10
	v_addc_co_u32_e32 v21, vcc, v2, v11, vcc
	s_waitcnt vmcnt(0)
	v_ashrrev_i32_e32 v17, 31, v16
	v_lshlrev_b64 v[18:19], 2, v[16:17]
	v_add_co_u32_e32 v18, vcc, v20, v18
	v_addc_co_u32_e32 v19, vcc, v21, v19, vcc
	global_load_dword v18, v[18:19], off
	v_add_co_u32_e32 v0, vcc, s4, v0
	v_addc_co_u32_e32 v1, vcc, 0, v1, vcc
	v_add_co_u32_e32 v20, vcc, s6, v0
	v_addc_co_u32_e32 v21, vcc, v7, v1, vcc
	v_cmp_le_i64_e32 vcc, s[0:1], v[20:21]
	s_or_b64 s[2:3], vcc, s[2:3]
	v_add_co_u32_e32 v19, vcc, s10, v10
	v_addc_co_u32_e32 v20, vcc, v3, v11, vcc
	v_add_co_u32_e32 v10, vcc, s12, v12
	v_addc_co_u32_e32 v11, vcc, v4, v13, vcc
	v_add_co_u32_e32 v10, vcc, v10, v14
	v_addc_co_u32_e32 v11, vcc, v11, v15, vcc
	v_add_co_u32_e32 v8, vcc, v19, v8
	v_addc_co_u32_e32 v9, vcc, v20, v9, vcc
	global_store_dwordx2 v[10:11], v[16:17], off
	s_waitcnt vmcnt(1)
	global_store_dword v[8:9], v18, off
	s_andn2_b64 exec, exec, s[2:3]
	s_cbranch_execnz .LBB432_2
.LBB432_3:
	s_endpgm
	.section	.rodata,"a",@progbits
	.p2align	6, 0x0
	.amdhsa_kernel _ZN2at6native12_GLOBAL__N_123sort_postprocess_kernelIiEEvPKT_PS3_PlPK15HIP_vector_typeIiLj2EEii
		.amdhsa_group_segment_fixed_size 0
		.amdhsa_private_segment_fixed_size 0
		.amdhsa_kernarg_size 296
		.amdhsa_user_sgpr_count 6
		.amdhsa_user_sgpr_private_segment_buffer 1
		.amdhsa_user_sgpr_dispatch_ptr 0
		.amdhsa_user_sgpr_queue_ptr 0
		.amdhsa_user_sgpr_kernarg_segment_ptr 1
		.amdhsa_user_sgpr_dispatch_id 0
		.amdhsa_user_sgpr_flat_scratch_init 0
		.amdhsa_user_sgpr_private_segment_size 0
		.amdhsa_uses_dynamic_stack 0
		.amdhsa_system_sgpr_private_segment_wavefront_offset 0
		.amdhsa_system_sgpr_workgroup_id_x 1
		.amdhsa_system_sgpr_workgroup_id_y 0
		.amdhsa_system_sgpr_workgroup_id_z 0
		.amdhsa_system_sgpr_workgroup_info 0
		.amdhsa_system_vgpr_workitem_id 0
		.amdhsa_next_free_vgpr 22
		.amdhsa_next_free_sgpr 19
		.amdhsa_reserve_vcc 1
		.amdhsa_reserve_flat_scratch 0
		.amdhsa_float_round_mode_32 0
		.amdhsa_float_round_mode_16_64 0
		.amdhsa_float_denorm_mode_32 3
		.amdhsa_float_denorm_mode_16_64 3
		.amdhsa_dx10_clamp 1
		.amdhsa_ieee_mode 1
		.amdhsa_fp16_overflow 0
		.amdhsa_exception_fp_ieee_invalid_op 0
		.amdhsa_exception_fp_denorm_src 0
		.amdhsa_exception_fp_ieee_div_zero 0
		.amdhsa_exception_fp_ieee_overflow 0
		.amdhsa_exception_fp_ieee_underflow 0
		.amdhsa_exception_fp_ieee_inexact 0
		.amdhsa_exception_int_div_zero 0
	.end_amdhsa_kernel
	.section	.text._ZN2at6native12_GLOBAL__N_123sort_postprocess_kernelIiEEvPKT_PS3_PlPK15HIP_vector_typeIiLj2EEii,"axG",@progbits,_ZN2at6native12_GLOBAL__N_123sort_postprocess_kernelIiEEvPKT_PS3_PlPK15HIP_vector_typeIiLj2EEii,comdat
.Lfunc_end432:
	.size	_ZN2at6native12_GLOBAL__N_123sort_postprocess_kernelIiEEvPKT_PS3_PlPK15HIP_vector_typeIiLj2EEii, .Lfunc_end432-_ZN2at6native12_GLOBAL__N_123sort_postprocess_kernelIiEEvPKT_PS3_PlPK15HIP_vector_typeIiLj2EEii
                                        ; -- End function
	.set _ZN2at6native12_GLOBAL__N_123sort_postprocess_kernelIiEEvPKT_PS3_PlPK15HIP_vector_typeIiLj2EEii.num_vgpr, 22
	.set _ZN2at6native12_GLOBAL__N_123sort_postprocess_kernelIiEEvPKT_PS3_PlPK15HIP_vector_typeIiLj2EEii.num_agpr, 0
	.set _ZN2at6native12_GLOBAL__N_123sort_postprocess_kernelIiEEvPKT_PS3_PlPK15HIP_vector_typeIiLj2EEii.numbered_sgpr, 19
	.set _ZN2at6native12_GLOBAL__N_123sort_postprocess_kernelIiEEvPKT_PS3_PlPK15HIP_vector_typeIiLj2EEii.num_named_barrier, 0
	.set _ZN2at6native12_GLOBAL__N_123sort_postprocess_kernelIiEEvPKT_PS3_PlPK15HIP_vector_typeIiLj2EEii.private_seg_size, 0
	.set _ZN2at6native12_GLOBAL__N_123sort_postprocess_kernelIiEEvPKT_PS3_PlPK15HIP_vector_typeIiLj2EEii.uses_vcc, 1
	.set _ZN2at6native12_GLOBAL__N_123sort_postprocess_kernelIiEEvPKT_PS3_PlPK15HIP_vector_typeIiLj2EEii.uses_flat_scratch, 0
	.set _ZN2at6native12_GLOBAL__N_123sort_postprocess_kernelIiEEvPKT_PS3_PlPK15HIP_vector_typeIiLj2EEii.has_dyn_sized_stack, 0
	.set _ZN2at6native12_GLOBAL__N_123sort_postprocess_kernelIiEEvPKT_PS3_PlPK15HIP_vector_typeIiLj2EEii.has_recursion, 0
	.set _ZN2at6native12_GLOBAL__N_123sort_postprocess_kernelIiEEvPKT_PS3_PlPK15HIP_vector_typeIiLj2EEii.has_indirect_call, 0
	.section	.AMDGPU.csdata,"",@progbits
; Kernel info:
; codeLenInByte = 444
; TotalNumSgprs: 23
; NumVgprs: 22
; ScratchSize: 0
; MemoryBound: 0
; FloatMode: 240
; IeeeMode: 1
; LDSByteSize: 0 bytes/workgroup (compile time only)
; SGPRBlocks: 2
; VGPRBlocks: 5
; NumSGPRsForWavesPerEU: 23
; NumVGPRsForWavesPerEU: 22
; Occupancy: 10
; WaveLimiterHint : 1
; COMPUTE_PGM_RSRC2:SCRATCH_EN: 0
; COMPUTE_PGM_RSRC2:USER_SGPR: 6
; COMPUTE_PGM_RSRC2:TRAP_HANDLER: 0
; COMPUTE_PGM_RSRC2:TGID_X_EN: 1
; COMPUTE_PGM_RSRC2:TGID_Y_EN: 0
; COMPUTE_PGM_RSRC2:TGID_Z_EN: 0
; COMPUTE_PGM_RSRC2:TIDIG_COMP_CNT: 0
	.section	.text._ZN7rocprim17ROCPRIM_400000_NS6detail17trampoline_kernelINS0_13select_configILj256ELj13ELNS0_17block_load_methodE3ELS4_3ELS4_3ELNS0_20block_scan_algorithmE0ELj4294967295EEENS1_25partition_config_selectorILNS1_17partition_subalgoE4EjNS0_10empty_typeEbEEZZNS1_14partition_implILS8_4ELb0ES6_15HIP_vector_typeIjLj2EENS0_17counting_iteratorIjlEEPS9_SG_NS0_5tupleIJPjSI_NS0_16reverse_iteratorISI_EEEEENSH_IJSG_SG_SG_EEES9_SI_JZNS1_25segmented_radix_sort_implINS0_14default_configELb1EPKiPiPKlPlN2at6native12_GLOBAL__N_18offset_tEEE10hipError_tPvRmT1_PNSt15iterator_traitsIS12_E10value_typeET2_T3_PNS13_IS18_E10value_typeET4_jRbjT5_S1E_jjP12ihipStream_tbEUljE_ZNSN_ISO_Lb1ESQ_SR_ST_SU_SY_EESZ_S10_S11_S12_S16_S17_S18_S1B_S1C_jS1D_jS1E_S1E_jjS1G_bEUljE0_EEESZ_S10_S11_S18_S1C_S1E_T6_T7_T9_mT8_S1G_bDpT10_ENKUlT_T0_E_clISt17integral_constantIbLb0EES1U_EEDaS1P_S1Q_EUlS1P_E_NS1_11comp_targetILNS1_3genE0ELNS1_11target_archE4294967295ELNS1_3gpuE0ELNS1_3repE0EEENS1_30default_config_static_selectorELNS0_4arch9wavefront6targetE1EEEvS12_,"axG",@progbits,_ZN7rocprim17ROCPRIM_400000_NS6detail17trampoline_kernelINS0_13select_configILj256ELj13ELNS0_17block_load_methodE3ELS4_3ELS4_3ELNS0_20block_scan_algorithmE0ELj4294967295EEENS1_25partition_config_selectorILNS1_17partition_subalgoE4EjNS0_10empty_typeEbEEZZNS1_14partition_implILS8_4ELb0ES6_15HIP_vector_typeIjLj2EENS0_17counting_iteratorIjlEEPS9_SG_NS0_5tupleIJPjSI_NS0_16reverse_iteratorISI_EEEEENSH_IJSG_SG_SG_EEES9_SI_JZNS1_25segmented_radix_sort_implINS0_14default_configELb1EPKiPiPKlPlN2at6native12_GLOBAL__N_18offset_tEEE10hipError_tPvRmT1_PNSt15iterator_traitsIS12_E10value_typeET2_T3_PNS13_IS18_E10value_typeET4_jRbjT5_S1E_jjP12ihipStream_tbEUljE_ZNSN_ISO_Lb1ESQ_SR_ST_SU_SY_EESZ_S10_S11_S12_S16_S17_S18_S1B_S1C_jS1D_jS1E_S1E_jjS1G_bEUljE0_EEESZ_S10_S11_S18_S1C_S1E_T6_T7_T9_mT8_S1G_bDpT10_ENKUlT_T0_E_clISt17integral_constantIbLb0EES1U_EEDaS1P_S1Q_EUlS1P_E_NS1_11comp_targetILNS1_3genE0ELNS1_11target_archE4294967295ELNS1_3gpuE0ELNS1_3repE0EEENS1_30default_config_static_selectorELNS0_4arch9wavefront6targetE1EEEvS12_,comdat
	.globl	_ZN7rocprim17ROCPRIM_400000_NS6detail17trampoline_kernelINS0_13select_configILj256ELj13ELNS0_17block_load_methodE3ELS4_3ELS4_3ELNS0_20block_scan_algorithmE0ELj4294967295EEENS1_25partition_config_selectorILNS1_17partition_subalgoE4EjNS0_10empty_typeEbEEZZNS1_14partition_implILS8_4ELb0ES6_15HIP_vector_typeIjLj2EENS0_17counting_iteratorIjlEEPS9_SG_NS0_5tupleIJPjSI_NS0_16reverse_iteratorISI_EEEEENSH_IJSG_SG_SG_EEES9_SI_JZNS1_25segmented_radix_sort_implINS0_14default_configELb1EPKiPiPKlPlN2at6native12_GLOBAL__N_18offset_tEEE10hipError_tPvRmT1_PNSt15iterator_traitsIS12_E10value_typeET2_T3_PNS13_IS18_E10value_typeET4_jRbjT5_S1E_jjP12ihipStream_tbEUljE_ZNSN_ISO_Lb1ESQ_SR_ST_SU_SY_EESZ_S10_S11_S12_S16_S17_S18_S1B_S1C_jS1D_jS1E_S1E_jjS1G_bEUljE0_EEESZ_S10_S11_S18_S1C_S1E_T6_T7_T9_mT8_S1G_bDpT10_ENKUlT_T0_E_clISt17integral_constantIbLb0EES1U_EEDaS1P_S1Q_EUlS1P_E_NS1_11comp_targetILNS1_3genE0ELNS1_11target_archE4294967295ELNS1_3gpuE0ELNS1_3repE0EEENS1_30default_config_static_selectorELNS0_4arch9wavefront6targetE1EEEvS12_ ; -- Begin function _ZN7rocprim17ROCPRIM_400000_NS6detail17trampoline_kernelINS0_13select_configILj256ELj13ELNS0_17block_load_methodE3ELS4_3ELS4_3ELNS0_20block_scan_algorithmE0ELj4294967295EEENS1_25partition_config_selectorILNS1_17partition_subalgoE4EjNS0_10empty_typeEbEEZZNS1_14partition_implILS8_4ELb0ES6_15HIP_vector_typeIjLj2EENS0_17counting_iteratorIjlEEPS9_SG_NS0_5tupleIJPjSI_NS0_16reverse_iteratorISI_EEEEENSH_IJSG_SG_SG_EEES9_SI_JZNS1_25segmented_radix_sort_implINS0_14default_configELb1EPKiPiPKlPlN2at6native12_GLOBAL__N_18offset_tEEE10hipError_tPvRmT1_PNSt15iterator_traitsIS12_E10value_typeET2_T3_PNS13_IS18_E10value_typeET4_jRbjT5_S1E_jjP12ihipStream_tbEUljE_ZNSN_ISO_Lb1ESQ_SR_ST_SU_SY_EESZ_S10_S11_S12_S16_S17_S18_S1B_S1C_jS1D_jS1E_S1E_jjS1G_bEUljE0_EEESZ_S10_S11_S18_S1C_S1E_T6_T7_T9_mT8_S1G_bDpT10_ENKUlT_T0_E_clISt17integral_constantIbLb0EES1U_EEDaS1P_S1Q_EUlS1P_E_NS1_11comp_targetILNS1_3genE0ELNS1_11target_archE4294967295ELNS1_3gpuE0ELNS1_3repE0EEENS1_30default_config_static_selectorELNS0_4arch9wavefront6targetE1EEEvS12_
	.p2align	8
	.type	_ZN7rocprim17ROCPRIM_400000_NS6detail17trampoline_kernelINS0_13select_configILj256ELj13ELNS0_17block_load_methodE3ELS4_3ELS4_3ELNS0_20block_scan_algorithmE0ELj4294967295EEENS1_25partition_config_selectorILNS1_17partition_subalgoE4EjNS0_10empty_typeEbEEZZNS1_14partition_implILS8_4ELb0ES6_15HIP_vector_typeIjLj2EENS0_17counting_iteratorIjlEEPS9_SG_NS0_5tupleIJPjSI_NS0_16reverse_iteratorISI_EEEEENSH_IJSG_SG_SG_EEES9_SI_JZNS1_25segmented_radix_sort_implINS0_14default_configELb1EPKiPiPKlPlN2at6native12_GLOBAL__N_18offset_tEEE10hipError_tPvRmT1_PNSt15iterator_traitsIS12_E10value_typeET2_T3_PNS13_IS18_E10value_typeET4_jRbjT5_S1E_jjP12ihipStream_tbEUljE_ZNSN_ISO_Lb1ESQ_SR_ST_SU_SY_EESZ_S10_S11_S12_S16_S17_S18_S1B_S1C_jS1D_jS1E_S1E_jjS1G_bEUljE0_EEESZ_S10_S11_S18_S1C_S1E_T6_T7_T9_mT8_S1G_bDpT10_ENKUlT_T0_E_clISt17integral_constantIbLb0EES1U_EEDaS1P_S1Q_EUlS1P_E_NS1_11comp_targetILNS1_3genE0ELNS1_11target_archE4294967295ELNS1_3gpuE0ELNS1_3repE0EEENS1_30default_config_static_selectorELNS0_4arch9wavefront6targetE1EEEvS12_,@function
_ZN7rocprim17ROCPRIM_400000_NS6detail17trampoline_kernelINS0_13select_configILj256ELj13ELNS0_17block_load_methodE3ELS4_3ELS4_3ELNS0_20block_scan_algorithmE0ELj4294967295EEENS1_25partition_config_selectorILNS1_17partition_subalgoE4EjNS0_10empty_typeEbEEZZNS1_14partition_implILS8_4ELb0ES6_15HIP_vector_typeIjLj2EENS0_17counting_iteratorIjlEEPS9_SG_NS0_5tupleIJPjSI_NS0_16reverse_iteratorISI_EEEEENSH_IJSG_SG_SG_EEES9_SI_JZNS1_25segmented_radix_sort_implINS0_14default_configELb1EPKiPiPKlPlN2at6native12_GLOBAL__N_18offset_tEEE10hipError_tPvRmT1_PNSt15iterator_traitsIS12_E10value_typeET2_T3_PNS13_IS18_E10value_typeET4_jRbjT5_S1E_jjP12ihipStream_tbEUljE_ZNSN_ISO_Lb1ESQ_SR_ST_SU_SY_EESZ_S10_S11_S12_S16_S17_S18_S1B_S1C_jS1D_jS1E_S1E_jjS1G_bEUljE0_EEESZ_S10_S11_S18_S1C_S1E_T6_T7_T9_mT8_S1G_bDpT10_ENKUlT_T0_E_clISt17integral_constantIbLb0EES1U_EEDaS1P_S1Q_EUlS1P_E_NS1_11comp_targetILNS1_3genE0ELNS1_11target_archE4294967295ELNS1_3gpuE0ELNS1_3repE0EEENS1_30default_config_static_selectorELNS0_4arch9wavefront6targetE1EEEvS12_: ; @_ZN7rocprim17ROCPRIM_400000_NS6detail17trampoline_kernelINS0_13select_configILj256ELj13ELNS0_17block_load_methodE3ELS4_3ELS4_3ELNS0_20block_scan_algorithmE0ELj4294967295EEENS1_25partition_config_selectorILNS1_17partition_subalgoE4EjNS0_10empty_typeEbEEZZNS1_14partition_implILS8_4ELb0ES6_15HIP_vector_typeIjLj2EENS0_17counting_iteratorIjlEEPS9_SG_NS0_5tupleIJPjSI_NS0_16reverse_iteratorISI_EEEEENSH_IJSG_SG_SG_EEES9_SI_JZNS1_25segmented_radix_sort_implINS0_14default_configELb1EPKiPiPKlPlN2at6native12_GLOBAL__N_18offset_tEEE10hipError_tPvRmT1_PNSt15iterator_traitsIS12_E10value_typeET2_T3_PNS13_IS18_E10value_typeET4_jRbjT5_S1E_jjP12ihipStream_tbEUljE_ZNSN_ISO_Lb1ESQ_SR_ST_SU_SY_EESZ_S10_S11_S12_S16_S17_S18_S1B_S1C_jS1D_jS1E_S1E_jjS1G_bEUljE0_EEESZ_S10_S11_S18_S1C_S1E_T6_T7_T9_mT8_S1G_bDpT10_ENKUlT_T0_E_clISt17integral_constantIbLb0EES1U_EEDaS1P_S1Q_EUlS1P_E_NS1_11comp_targetILNS1_3genE0ELNS1_11target_archE4294967295ELNS1_3gpuE0ELNS1_3repE0EEENS1_30default_config_static_selectorELNS0_4arch9wavefront6targetE1EEEvS12_
; %bb.0:
	.section	.rodata,"a",@progbits
	.p2align	6, 0x0
	.amdhsa_kernel _ZN7rocprim17ROCPRIM_400000_NS6detail17trampoline_kernelINS0_13select_configILj256ELj13ELNS0_17block_load_methodE3ELS4_3ELS4_3ELNS0_20block_scan_algorithmE0ELj4294967295EEENS1_25partition_config_selectorILNS1_17partition_subalgoE4EjNS0_10empty_typeEbEEZZNS1_14partition_implILS8_4ELb0ES6_15HIP_vector_typeIjLj2EENS0_17counting_iteratorIjlEEPS9_SG_NS0_5tupleIJPjSI_NS0_16reverse_iteratorISI_EEEEENSH_IJSG_SG_SG_EEES9_SI_JZNS1_25segmented_radix_sort_implINS0_14default_configELb1EPKiPiPKlPlN2at6native12_GLOBAL__N_18offset_tEEE10hipError_tPvRmT1_PNSt15iterator_traitsIS12_E10value_typeET2_T3_PNS13_IS18_E10value_typeET4_jRbjT5_S1E_jjP12ihipStream_tbEUljE_ZNSN_ISO_Lb1ESQ_SR_ST_SU_SY_EESZ_S10_S11_S12_S16_S17_S18_S1B_S1C_jS1D_jS1E_S1E_jjS1G_bEUljE0_EEESZ_S10_S11_S18_S1C_S1E_T6_T7_T9_mT8_S1G_bDpT10_ENKUlT_T0_E_clISt17integral_constantIbLb0EES1U_EEDaS1P_S1Q_EUlS1P_E_NS1_11comp_targetILNS1_3genE0ELNS1_11target_archE4294967295ELNS1_3gpuE0ELNS1_3repE0EEENS1_30default_config_static_selectorELNS0_4arch9wavefront6targetE1EEEvS12_
		.amdhsa_group_segment_fixed_size 0
		.amdhsa_private_segment_fixed_size 0
		.amdhsa_kernarg_size 176
		.amdhsa_user_sgpr_count 6
		.amdhsa_user_sgpr_private_segment_buffer 1
		.amdhsa_user_sgpr_dispatch_ptr 0
		.amdhsa_user_sgpr_queue_ptr 0
		.amdhsa_user_sgpr_kernarg_segment_ptr 1
		.amdhsa_user_sgpr_dispatch_id 0
		.amdhsa_user_sgpr_flat_scratch_init 0
		.amdhsa_user_sgpr_private_segment_size 0
		.amdhsa_uses_dynamic_stack 0
		.amdhsa_system_sgpr_private_segment_wavefront_offset 0
		.amdhsa_system_sgpr_workgroup_id_x 1
		.amdhsa_system_sgpr_workgroup_id_y 0
		.amdhsa_system_sgpr_workgroup_id_z 0
		.amdhsa_system_sgpr_workgroup_info 0
		.amdhsa_system_vgpr_workitem_id 0
		.amdhsa_next_free_vgpr 1
		.amdhsa_next_free_sgpr 0
		.amdhsa_reserve_vcc 0
		.amdhsa_reserve_flat_scratch 0
		.amdhsa_float_round_mode_32 0
		.amdhsa_float_round_mode_16_64 0
		.amdhsa_float_denorm_mode_32 3
		.amdhsa_float_denorm_mode_16_64 3
		.amdhsa_dx10_clamp 1
		.amdhsa_ieee_mode 1
		.amdhsa_fp16_overflow 0
		.amdhsa_exception_fp_ieee_invalid_op 0
		.amdhsa_exception_fp_denorm_src 0
		.amdhsa_exception_fp_ieee_div_zero 0
		.amdhsa_exception_fp_ieee_overflow 0
		.amdhsa_exception_fp_ieee_underflow 0
		.amdhsa_exception_fp_ieee_inexact 0
		.amdhsa_exception_int_div_zero 0
	.end_amdhsa_kernel
	.section	.text._ZN7rocprim17ROCPRIM_400000_NS6detail17trampoline_kernelINS0_13select_configILj256ELj13ELNS0_17block_load_methodE3ELS4_3ELS4_3ELNS0_20block_scan_algorithmE0ELj4294967295EEENS1_25partition_config_selectorILNS1_17partition_subalgoE4EjNS0_10empty_typeEbEEZZNS1_14partition_implILS8_4ELb0ES6_15HIP_vector_typeIjLj2EENS0_17counting_iteratorIjlEEPS9_SG_NS0_5tupleIJPjSI_NS0_16reverse_iteratorISI_EEEEENSH_IJSG_SG_SG_EEES9_SI_JZNS1_25segmented_radix_sort_implINS0_14default_configELb1EPKiPiPKlPlN2at6native12_GLOBAL__N_18offset_tEEE10hipError_tPvRmT1_PNSt15iterator_traitsIS12_E10value_typeET2_T3_PNS13_IS18_E10value_typeET4_jRbjT5_S1E_jjP12ihipStream_tbEUljE_ZNSN_ISO_Lb1ESQ_SR_ST_SU_SY_EESZ_S10_S11_S12_S16_S17_S18_S1B_S1C_jS1D_jS1E_S1E_jjS1G_bEUljE0_EEESZ_S10_S11_S18_S1C_S1E_T6_T7_T9_mT8_S1G_bDpT10_ENKUlT_T0_E_clISt17integral_constantIbLb0EES1U_EEDaS1P_S1Q_EUlS1P_E_NS1_11comp_targetILNS1_3genE0ELNS1_11target_archE4294967295ELNS1_3gpuE0ELNS1_3repE0EEENS1_30default_config_static_selectorELNS0_4arch9wavefront6targetE1EEEvS12_,"axG",@progbits,_ZN7rocprim17ROCPRIM_400000_NS6detail17trampoline_kernelINS0_13select_configILj256ELj13ELNS0_17block_load_methodE3ELS4_3ELS4_3ELNS0_20block_scan_algorithmE0ELj4294967295EEENS1_25partition_config_selectorILNS1_17partition_subalgoE4EjNS0_10empty_typeEbEEZZNS1_14partition_implILS8_4ELb0ES6_15HIP_vector_typeIjLj2EENS0_17counting_iteratorIjlEEPS9_SG_NS0_5tupleIJPjSI_NS0_16reverse_iteratorISI_EEEEENSH_IJSG_SG_SG_EEES9_SI_JZNS1_25segmented_radix_sort_implINS0_14default_configELb1EPKiPiPKlPlN2at6native12_GLOBAL__N_18offset_tEEE10hipError_tPvRmT1_PNSt15iterator_traitsIS12_E10value_typeET2_T3_PNS13_IS18_E10value_typeET4_jRbjT5_S1E_jjP12ihipStream_tbEUljE_ZNSN_ISO_Lb1ESQ_SR_ST_SU_SY_EESZ_S10_S11_S12_S16_S17_S18_S1B_S1C_jS1D_jS1E_S1E_jjS1G_bEUljE0_EEESZ_S10_S11_S18_S1C_S1E_T6_T7_T9_mT8_S1G_bDpT10_ENKUlT_T0_E_clISt17integral_constantIbLb0EES1U_EEDaS1P_S1Q_EUlS1P_E_NS1_11comp_targetILNS1_3genE0ELNS1_11target_archE4294967295ELNS1_3gpuE0ELNS1_3repE0EEENS1_30default_config_static_selectorELNS0_4arch9wavefront6targetE1EEEvS12_,comdat
.Lfunc_end433:
	.size	_ZN7rocprim17ROCPRIM_400000_NS6detail17trampoline_kernelINS0_13select_configILj256ELj13ELNS0_17block_load_methodE3ELS4_3ELS4_3ELNS0_20block_scan_algorithmE0ELj4294967295EEENS1_25partition_config_selectorILNS1_17partition_subalgoE4EjNS0_10empty_typeEbEEZZNS1_14partition_implILS8_4ELb0ES6_15HIP_vector_typeIjLj2EENS0_17counting_iteratorIjlEEPS9_SG_NS0_5tupleIJPjSI_NS0_16reverse_iteratorISI_EEEEENSH_IJSG_SG_SG_EEES9_SI_JZNS1_25segmented_radix_sort_implINS0_14default_configELb1EPKiPiPKlPlN2at6native12_GLOBAL__N_18offset_tEEE10hipError_tPvRmT1_PNSt15iterator_traitsIS12_E10value_typeET2_T3_PNS13_IS18_E10value_typeET4_jRbjT5_S1E_jjP12ihipStream_tbEUljE_ZNSN_ISO_Lb1ESQ_SR_ST_SU_SY_EESZ_S10_S11_S12_S16_S17_S18_S1B_S1C_jS1D_jS1E_S1E_jjS1G_bEUljE0_EEESZ_S10_S11_S18_S1C_S1E_T6_T7_T9_mT8_S1G_bDpT10_ENKUlT_T0_E_clISt17integral_constantIbLb0EES1U_EEDaS1P_S1Q_EUlS1P_E_NS1_11comp_targetILNS1_3genE0ELNS1_11target_archE4294967295ELNS1_3gpuE0ELNS1_3repE0EEENS1_30default_config_static_selectorELNS0_4arch9wavefront6targetE1EEEvS12_, .Lfunc_end433-_ZN7rocprim17ROCPRIM_400000_NS6detail17trampoline_kernelINS0_13select_configILj256ELj13ELNS0_17block_load_methodE3ELS4_3ELS4_3ELNS0_20block_scan_algorithmE0ELj4294967295EEENS1_25partition_config_selectorILNS1_17partition_subalgoE4EjNS0_10empty_typeEbEEZZNS1_14partition_implILS8_4ELb0ES6_15HIP_vector_typeIjLj2EENS0_17counting_iteratorIjlEEPS9_SG_NS0_5tupleIJPjSI_NS0_16reverse_iteratorISI_EEEEENSH_IJSG_SG_SG_EEES9_SI_JZNS1_25segmented_radix_sort_implINS0_14default_configELb1EPKiPiPKlPlN2at6native12_GLOBAL__N_18offset_tEEE10hipError_tPvRmT1_PNSt15iterator_traitsIS12_E10value_typeET2_T3_PNS13_IS18_E10value_typeET4_jRbjT5_S1E_jjP12ihipStream_tbEUljE_ZNSN_ISO_Lb1ESQ_SR_ST_SU_SY_EESZ_S10_S11_S12_S16_S17_S18_S1B_S1C_jS1D_jS1E_S1E_jjS1G_bEUljE0_EEESZ_S10_S11_S18_S1C_S1E_T6_T7_T9_mT8_S1G_bDpT10_ENKUlT_T0_E_clISt17integral_constantIbLb0EES1U_EEDaS1P_S1Q_EUlS1P_E_NS1_11comp_targetILNS1_3genE0ELNS1_11target_archE4294967295ELNS1_3gpuE0ELNS1_3repE0EEENS1_30default_config_static_selectorELNS0_4arch9wavefront6targetE1EEEvS12_
                                        ; -- End function
	.set _ZN7rocprim17ROCPRIM_400000_NS6detail17trampoline_kernelINS0_13select_configILj256ELj13ELNS0_17block_load_methodE3ELS4_3ELS4_3ELNS0_20block_scan_algorithmE0ELj4294967295EEENS1_25partition_config_selectorILNS1_17partition_subalgoE4EjNS0_10empty_typeEbEEZZNS1_14partition_implILS8_4ELb0ES6_15HIP_vector_typeIjLj2EENS0_17counting_iteratorIjlEEPS9_SG_NS0_5tupleIJPjSI_NS0_16reverse_iteratorISI_EEEEENSH_IJSG_SG_SG_EEES9_SI_JZNS1_25segmented_radix_sort_implINS0_14default_configELb1EPKiPiPKlPlN2at6native12_GLOBAL__N_18offset_tEEE10hipError_tPvRmT1_PNSt15iterator_traitsIS12_E10value_typeET2_T3_PNS13_IS18_E10value_typeET4_jRbjT5_S1E_jjP12ihipStream_tbEUljE_ZNSN_ISO_Lb1ESQ_SR_ST_SU_SY_EESZ_S10_S11_S12_S16_S17_S18_S1B_S1C_jS1D_jS1E_S1E_jjS1G_bEUljE0_EEESZ_S10_S11_S18_S1C_S1E_T6_T7_T9_mT8_S1G_bDpT10_ENKUlT_T0_E_clISt17integral_constantIbLb0EES1U_EEDaS1P_S1Q_EUlS1P_E_NS1_11comp_targetILNS1_3genE0ELNS1_11target_archE4294967295ELNS1_3gpuE0ELNS1_3repE0EEENS1_30default_config_static_selectorELNS0_4arch9wavefront6targetE1EEEvS12_.num_vgpr, 0
	.set _ZN7rocprim17ROCPRIM_400000_NS6detail17trampoline_kernelINS0_13select_configILj256ELj13ELNS0_17block_load_methodE3ELS4_3ELS4_3ELNS0_20block_scan_algorithmE0ELj4294967295EEENS1_25partition_config_selectorILNS1_17partition_subalgoE4EjNS0_10empty_typeEbEEZZNS1_14partition_implILS8_4ELb0ES6_15HIP_vector_typeIjLj2EENS0_17counting_iteratorIjlEEPS9_SG_NS0_5tupleIJPjSI_NS0_16reverse_iteratorISI_EEEEENSH_IJSG_SG_SG_EEES9_SI_JZNS1_25segmented_radix_sort_implINS0_14default_configELb1EPKiPiPKlPlN2at6native12_GLOBAL__N_18offset_tEEE10hipError_tPvRmT1_PNSt15iterator_traitsIS12_E10value_typeET2_T3_PNS13_IS18_E10value_typeET4_jRbjT5_S1E_jjP12ihipStream_tbEUljE_ZNSN_ISO_Lb1ESQ_SR_ST_SU_SY_EESZ_S10_S11_S12_S16_S17_S18_S1B_S1C_jS1D_jS1E_S1E_jjS1G_bEUljE0_EEESZ_S10_S11_S18_S1C_S1E_T6_T7_T9_mT8_S1G_bDpT10_ENKUlT_T0_E_clISt17integral_constantIbLb0EES1U_EEDaS1P_S1Q_EUlS1P_E_NS1_11comp_targetILNS1_3genE0ELNS1_11target_archE4294967295ELNS1_3gpuE0ELNS1_3repE0EEENS1_30default_config_static_selectorELNS0_4arch9wavefront6targetE1EEEvS12_.num_agpr, 0
	.set _ZN7rocprim17ROCPRIM_400000_NS6detail17trampoline_kernelINS0_13select_configILj256ELj13ELNS0_17block_load_methodE3ELS4_3ELS4_3ELNS0_20block_scan_algorithmE0ELj4294967295EEENS1_25partition_config_selectorILNS1_17partition_subalgoE4EjNS0_10empty_typeEbEEZZNS1_14partition_implILS8_4ELb0ES6_15HIP_vector_typeIjLj2EENS0_17counting_iteratorIjlEEPS9_SG_NS0_5tupleIJPjSI_NS0_16reverse_iteratorISI_EEEEENSH_IJSG_SG_SG_EEES9_SI_JZNS1_25segmented_radix_sort_implINS0_14default_configELb1EPKiPiPKlPlN2at6native12_GLOBAL__N_18offset_tEEE10hipError_tPvRmT1_PNSt15iterator_traitsIS12_E10value_typeET2_T3_PNS13_IS18_E10value_typeET4_jRbjT5_S1E_jjP12ihipStream_tbEUljE_ZNSN_ISO_Lb1ESQ_SR_ST_SU_SY_EESZ_S10_S11_S12_S16_S17_S18_S1B_S1C_jS1D_jS1E_S1E_jjS1G_bEUljE0_EEESZ_S10_S11_S18_S1C_S1E_T6_T7_T9_mT8_S1G_bDpT10_ENKUlT_T0_E_clISt17integral_constantIbLb0EES1U_EEDaS1P_S1Q_EUlS1P_E_NS1_11comp_targetILNS1_3genE0ELNS1_11target_archE4294967295ELNS1_3gpuE0ELNS1_3repE0EEENS1_30default_config_static_selectorELNS0_4arch9wavefront6targetE1EEEvS12_.numbered_sgpr, 0
	.set _ZN7rocprim17ROCPRIM_400000_NS6detail17trampoline_kernelINS0_13select_configILj256ELj13ELNS0_17block_load_methodE3ELS4_3ELS4_3ELNS0_20block_scan_algorithmE0ELj4294967295EEENS1_25partition_config_selectorILNS1_17partition_subalgoE4EjNS0_10empty_typeEbEEZZNS1_14partition_implILS8_4ELb0ES6_15HIP_vector_typeIjLj2EENS0_17counting_iteratorIjlEEPS9_SG_NS0_5tupleIJPjSI_NS0_16reverse_iteratorISI_EEEEENSH_IJSG_SG_SG_EEES9_SI_JZNS1_25segmented_radix_sort_implINS0_14default_configELb1EPKiPiPKlPlN2at6native12_GLOBAL__N_18offset_tEEE10hipError_tPvRmT1_PNSt15iterator_traitsIS12_E10value_typeET2_T3_PNS13_IS18_E10value_typeET4_jRbjT5_S1E_jjP12ihipStream_tbEUljE_ZNSN_ISO_Lb1ESQ_SR_ST_SU_SY_EESZ_S10_S11_S12_S16_S17_S18_S1B_S1C_jS1D_jS1E_S1E_jjS1G_bEUljE0_EEESZ_S10_S11_S18_S1C_S1E_T6_T7_T9_mT8_S1G_bDpT10_ENKUlT_T0_E_clISt17integral_constantIbLb0EES1U_EEDaS1P_S1Q_EUlS1P_E_NS1_11comp_targetILNS1_3genE0ELNS1_11target_archE4294967295ELNS1_3gpuE0ELNS1_3repE0EEENS1_30default_config_static_selectorELNS0_4arch9wavefront6targetE1EEEvS12_.num_named_barrier, 0
	.set _ZN7rocprim17ROCPRIM_400000_NS6detail17trampoline_kernelINS0_13select_configILj256ELj13ELNS0_17block_load_methodE3ELS4_3ELS4_3ELNS0_20block_scan_algorithmE0ELj4294967295EEENS1_25partition_config_selectorILNS1_17partition_subalgoE4EjNS0_10empty_typeEbEEZZNS1_14partition_implILS8_4ELb0ES6_15HIP_vector_typeIjLj2EENS0_17counting_iteratorIjlEEPS9_SG_NS0_5tupleIJPjSI_NS0_16reverse_iteratorISI_EEEEENSH_IJSG_SG_SG_EEES9_SI_JZNS1_25segmented_radix_sort_implINS0_14default_configELb1EPKiPiPKlPlN2at6native12_GLOBAL__N_18offset_tEEE10hipError_tPvRmT1_PNSt15iterator_traitsIS12_E10value_typeET2_T3_PNS13_IS18_E10value_typeET4_jRbjT5_S1E_jjP12ihipStream_tbEUljE_ZNSN_ISO_Lb1ESQ_SR_ST_SU_SY_EESZ_S10_S11_S12_S16_S17_S18_S1B_S1C_jS1D_jS1E_S1E_jjS1G_bEUljE0_EEESZ_S10_S11_S18_S1C_S1E_T6_T7_T9_mT8_S1G_bDpT10_ENKUlT_T0_E_clISt17integral_constantIbLb0EES1U_EEDaS1P_S1Q_EUlS1P_E_NS1_11comp_targetILNS1_3genE0ELNS1_11target_archE4294967295ELNS1_3gpuE0ELNS1_3repE0EEENS1_30default_config_static_selectorELNS0_4arch9wavefront6targetE1EEEvS12_.private_seg_size, 0
	.set _ZN7rocprim17ROCPRIM_400000_NS6detail17trampoline_kernelINS0_13select_configILj256ELj13ELNS0_17block_load_methodE3ELS4_3ELS4_3ELNS0_20block_scan_algorithmE0ELj4294967295EEENS1_25partition_config_selectorILNS1_17partition_subalgoE4EjNS0_10empty_typeEbEEZZNS1_14partition_implILS8_4ELb0ES6_15HIP_vector_typeIjLj2EENS0_17counting_iteratorIjlEEPS9_SG_NS0_5tupleIJPjSI_NS0_16reverse_iteratorISI_EEEEENSH_IJSG_SG_SG_EEES9_SI_JZNS1_25segmented_radix_sort_implINS0_14default_configELb1EPKiPiPKlPlN2at6native12_GLOBAL__N_18offset_tEEE10hipError_tPvRmT1_PNSt15iterator_traitsIS12_E10value_typeET2_T3_PNS13_IS18_E10value_typeET4_jRbjT5_S1E_jjP12ihipStream_tbEUljE_ZNSN_ISO_Lb1ESQ_SR_ST_SU_SY_EESZ_S10_S11_S12_S16_S17_S18_S1B_S1C_jS1D_jS1E_S1E_jjS1G_bEUljE0_EEESZ_S10_S11_S18_S1C_S1E_T6_T7_T9_mT8_S1G_bDpT10_ENKUlT_T0_E_clISt17integral_constantIbLb0EES1U_EEDaS1P_S1Q_EUlS1P_E_NS1_11comp_targetILNS1_3genE0ELNS1_11target_archE4294967295ELNS1_3gpuE0ELNS1_3repE0EEENS1_30default_config_static_selectorELNS0_4arch9wavefront6targetE1EEEvS12_.uses_vcc, 0
	.set _ZN7rocprim17ROCPRIM_400000_NS6detail17trampoline_kernelINS0_13select_configILj256ELj13ELNS0_17block_load_methodE3ELS4_3ELS4_3ELNS0_20block_scan_algorithmE0ELj4294967295EEENS1_25partition_config_selectorILNS1_17partition_subalgoE4EjNS0_10empty_typeEbEEZZNS1_14partition_implILS8_4ELb0ES6_15HIP_vector_typeIjLj2EENS0_17counting_iteratorIjlEEPS9_SG_NS0_5tupleIJPjSI_NS0_16reverse_iteratorISI_EEEEENSH_IJSG_SG_SG_EEES9_SI_JZNS1_25segmented_radix_sort_implINS0_14default_configELb1EPKiPiPKlPlN2at6native12_GLOBAL__N_18offset_tEEE10hipError_tPvRmT1_PNSt15iterator_traitsIS12_E10value_typeET2_T3_PNS13_IS18_E10value_typeET4_jRbjT5_S1E_jjP12ihipStream_tbEUljE_ZNSN_ISO_Lb1ESQ_SR_ST_SU_SY_EESZ_S10_S11_S12_S16_S17_S18_S1B_S1C_jS1D_jS1E_S1E_jjS1G_bEUljE0_EEESZ_S10_S11_S18_S1C_S1E_T6_T7_T9_mT8_S1G_bDpT10_ENKUlT_T0_E_clISt17integral_constantIbLb0EES1U_EEDaS1P_S1Q_EUlS1P_E_NS1_11comp_targetILNS1_3genE0ELNS1_11target_archE4294967295ELNS1_3gpuE0ELNS1_3repE0EEENS1_30default_config_static_selectorELNS0_4arch9wavefront6targetE1EEEvS12_.uses_flat_scratch, 0
	.set _ZN7rocprim17ROCPRIM_400000_NS6detail17trampoline_kernelINS0_13select_configILj256ELj13ELNS0_17block_load_methodE3ELS4_3ELS4_3ELNS0_20block_scan_algorithmE0ELj4294967295EEENS1_25partition_config_selectorILNS1_17partition_subalgoE4EjNS0_10empty_typeEbEEZZNS1_14partition_implILS8_4ELb0ES6_15HIP_vector_typeIjLj2EENS0_17counting_iteratorIjlEEPS9_SG_NS0_5tupleIJPjSI_NS0_16reverse_iteratorISI_EEEEENSH_IJSG_SG_SG_EEES9_SI_JZNS1_25segmented_radix_sort_implINS0_14default_configELb1EPKiPiPKlPlN2at6native12_GLOBAL__N_18offset_tEEE10hipError_tPvRmT1_PNSt15iterator_traitsIS12_E10value_typeET2_T3_PNS13_IS18_E10value_typeET4_jRbjT5_S1E_jjP12ihipStream_tbEUljE_ZNSN_ISO_Lb1ESQ_SR_ST_SU_SY_EESZ_S10_S11_S12_S16_S17_S18_S1B_S1C_jS1D_jS1E_S1E_jjS1G_bEUljE0_EEESZ_S10_S11_S18_S1C_S1E_T6_T7_T9_mT8_S1G_bDpT10_ENKUlT_T0_E_clISt17integral_constantIbLb0EES1U_EEDaS1P_S1Q_EUlS1P_E_NS1_11comp_targetILNS1_3genE0ELNS1_11target_archE4294967295ELNS1_3gpuE0ELNS1_3repE0EEENS1_30default_config_static_selectorELNS0_4arch9wavefront6targetE1EEEvS12_.has_dyn_sized_stack, 0
	.set _ZN7rocprim17ROCPRIM_400000_NS6detail17trampoline_kernelINS0_13select_configILj256ELj13ELNS0_17block_load_methodE3ELS4_3ELS4_3ELNS0_20block_scan_algorithmE0ELj4294967295EEENS1_25partition_config_selectorILNS1_17partition_subalgoE4EjNS0_10empty_typeEbEEZZNS1_14partition_implILS8_4ELb0ES6_15HIP_vector_typeIjLj2EENS0_17counting_iteratorIjlEEPS9_SG_NS0_5tupleIJPjSI_NS0_16reverse_iteratorISI_EEEEENSH_IJSG_SG_SG_EEES9_SI_JZNS1_25segmented_radix_sort_implINS0_14default_configELb1EPKiPiPKlPlN2at6native12_GLOBAL__N_18offset_tEEE10hipError_tPvRmT1_PNSt15iterator_traitsIS12_E10value_typeET2_T3_PNS13_IS18_E10value_typeET4_jRbjT5_S1E_jjP12ihipStream_tbEUljE_ZNSN_ISO_Lb1ESQ_SR_ST_SU_SY_EESZ_S10_S11_S12_S16_S17_S18_S1B_S1C_jS1D_jS1E_S1E_jjS1G_bEUljE0_EEESZ_S10_S11_S18_S1C_S1E_T6_T7_T9_mT8_S1G_bDpT10_ENKUlT_T0_E_clISt17integral_constantIbLb0EES1U_EEDaS1P_S1Q_EUlS1P_E_NS1_11comp_targetILNS1_3genE0ELNS1_11target_archE4294967295ELNS1_3gpuE0ELNS1_3repE0EEENS1_30default_config_static_selectorELNS0_4arch9wavefront6targetE1EEEvS12_.has_recursion, 0
	.set _ZN7rocprim17ROCPRIM_400000_NS6detail17trampoline_kernelINS0_13select_configILj256ELj13ELNS0_17block_load_methodE3ELS4_3ELS4_3ELNS0_20block_scan_algorithmE0ELj4294967295EEENS1_25partition_config_selectorILNS1_17partition_subalgoE4EjNS0_10empty_typeEbEEZZNS1_14partition_implILS8_4ELb0ES6_15HIP_vector_typeIjLj2EENS0_17counting_iteratorIjlEEPS9_SG_NS0_5tupleIJPjSI_NS0_16reverse_iteratorISI_EEEEENSH_IJSG_SG_SG_EEES9_SI_JZNS1_25segmented_radix_sort_implINS0_14default_configELb1EPKiPiPKlPlN2at6native12_GLOBAL__N_18offset_tEEE10hipError_tPvRmT1_PNSt15iterator_traitsIS12_E10value_typeET2_T3_PNS13_IS18_E10value_typeET4_jRbjT5_S1E_jjP12ihipStream_tbEUljE_ZNSN_ISO_Lb1ESQ_SR_ST_SU_SY_EESZ_S10_S11_S12_S16_S17_S18_S1B_S1C_jS1D_jS1E_S1E_jjS1G_bEUljE0_EEESZ_S10_S11_S18_S1C_S1E_T6_T7_T9_mT8_S1G_bDpT10_ENKUlT_T0_E_clISt17integral_constantIbLb0EES1U_EEDaS1P_S1Q_EUlS1P_E_NS1_11comp_targetILNS1_3genE0ELNS1_11target_archE4294967295ELNS1_3gpuE0ELNS1_3repE0EEENS1_30default_config_static_selectorELNS0_4arch9wavefront6targetE1EEEvS12_.has_indirect_call, 0
	.section	.AMDGPU.csdata,"",@progbits
; Kernel info:
; codeLenInByte = 0
; TotalNumSgprs: 4
; NumVgprs: 0
; ScratchSize: 0
; MemoryBound: 0
; FloatMode: 240
; IeeeMode: 1
; LDSByteSize: 0 bytes/workgroup (compile time only)
; SGPRBlocks: 0
; VGPRBlocks: 0
; NumSGPRsForWavesPerEU: 4
; NumVGPRsForWavesPerEU: 1
; Occupancy: 10
; WaveLimiterHint : 0
; COMPUTE_PGM_RSRC2:SCRATCH_EN: 0
; COMPUTE_PGM_RSRC2:USER_SGPR: 6
; COMPUTE_PGM_RSRC2:TRAP_HANDLER: 0
; COMPUTE_PGM_RSRC2:TGID_X_EN: 1
; COMPUTE_PGM_RSRC2:TGID_Y_EN: 0
; COMPUTE_PGM_RSRC2:TGID_Z_EN: 0
; COMPUTE_PGM_RSRC2:TIDIG_COMP_CNT: 0
	.section	.text._ZN7rocprim17ROCPRIM_400000_NS6detail17trampoline_kernelINS0_13select_configILj256ELj13ELNS0_17block_load_methodE3ELS4_3ELS4_3ELNS0_20block_scan_algorithmE0ELj4294967295EEENS1_25partition_config_selectorILNS1_17partition_subalgoE4EjNS0_10empty_typeEbEEZZNS1_14partition_implILS8_4ELb0ES6_15HIP_vector_typeIjLj2EENS0_17counting_iteratorIjlEEPS9_SG_NS0_5tupleIJPjSI_NS0_16reverse_iteratorISI_EEEEENSH_IJSG_SG_SG_EEES9_SI_JZNS1_25segmented_radix_sort_implINS0_14default_configELb1EPKiPiPKlPlN2at6native12_GLOBAL__N_18offset_tEEE10hipError_tPvRmT1_PNSt15iterator_traitsIS12_E10value_typeET2_T3_PNS13_IS18_E10value_typeET4_jRbjT5_S1E_jjP12ihipStream_tbEUljE_ZNSN_ISO_Lb1ESQ_SR_ST_SU_SY_EESZ_S10_S11_S12_S16_S17_S18_S1B_S1C_jS1D_jS1E_S1E_jjS1G_bEUljE0_EEESZ_S10_S11_S18_S1C_S1E_T6_T7_T9_mT8_S1G_bDpT10_ENKUlT_T0_E_clISt17integral_constantIbLb0EES1U_EEDaS1P_S1Q_EUlS1P_E_NS1_11comp_targetILNS1_3genE5ELNS1_11target_archE942ELNS1_3gpuE9ELNS1_3repE0EEENS1_30default_config_static_selectorELNS0_4arch9wavefront6targetE1EEEvS12_,"axG",@progbits,_ZN7rocprim17ROCPRIM_400000_NS6detail17trampoline_kernelINS0_13select_configILj256ELj13ELNS0_17block_load_methodE3ELS4_3ELS4_3ELNS0_20block_scan_algorithmE0ELj4294967295EEENS1_25partition_config_selectorILNS1_17partition_subalgoE4EjNS0_10empty_typeEbEEZZNS1_14partition_implILS8_4ELb0ES6_15HIP_vector_typeIjLj2EENS0_17counting_iteratorIjlEEPS9_SG_NS0_5tupleIJPjSI_NS0_16reverse_iteratorISI_EEEEENSH_IJSG_SG_SG_EEES9_SI_JZNS1_25segmented_radix_sort_implINS0_14default_configELb1EPKiPiPKlPlN2at6native12_GLOBAL__N_18offset_tEEE10hipError_tPvRmT1_PNSt15iterator_traitsIS12_E10value_typeET2_T3_PNS13_IS18_E10value_typeET4_jRbjT5_S1E_jjP12ihipStream_tbEUljE_ZNSN_ISO_Lb1ESQ_SR_ST_SU_SY_EESZ_S10_S11_S12_S16_S17_S18_S1B_S1C_jS1D_jS1E_S1E_jjS1G_bEUljE0_EEESZ_S10_S11_S18_S1C_S1E_T6_T7_T9_mT8_S1G_bDpT10_ENKUlT_T0_E_clISt17integral_constantIbLb0EES1U_EEDaS1P_S1Q_EUlS1P_E_NS1_11comp_targetILNS1_3genE5ELNS1_11target_archE942ELNS1_3gpuE9ELNS1_3repE0EEENS1_30default_config_static_selectorELNS0_4arch9wavefront6targetE1EEEvS12_,comdat
	.globl	_ZN7rocprim17ROCPRIM_400000_NS6detail17trampoline_kernelINS0_13select_configILj256ELj13ELNS0_17block_load_methodE3ELS4_3ELS4_3ELNS0_20block_scan_algorithmE0ELj4294967295EEENS1_25partition_config_selectorILNS1_17partition_subalgoE4EjNS0_10empty_typeEbEEZZNS1_14partition_implILS8_4ELb0ES6_15HIP_vector_typeIjLj2EENS0_17counting_iteratorIjlEEPS9_SG_NS0_5tupleIJPjSI_NS0_16reverse_iteratorISI_EEEEENSH_IJSG_SG_SG_EEES9_SI_JZNS1_25segmented_radix_sort_implINS0_14default_configELb1EPKiPiPKlPlN2at6native12_GLOBAL__N_18offset_tEEE10hipError_tPvRmT1_PNSt15iterator_traitsIS12_E10value_typeET2_T3_PNS13_IS18_E10value_typeET4_jRbjT5_S1E_jjP12ihipStream_tbEUljE_ZNSN_ISO_Lb1ESQ_SR_ST_SU_SY_EESZ_S10_S11_S12_S16_S17_S18_S1B_S1C_jS1D_jS1E_S1E_jjS1G_bEUljE0_EEESZ_S10_S11_S18_S1C_S1E_T6_T7_T9_mT8_S1G_bDpT10_ENKUlT_T0_E_clISt17integral_constantIbLb0EES1U_EEDaS1P_S1Q_EUlS1P_E_NS1_11comp_targetILNS1_3genE5ELNS1_11target_archE942ELNS1_3gpuE9ELNS1_3repE0EEENS1_30default_config_static_selectorELNS0_4arch9wavefront6targetE1EEEvS12_ ; -- Begin function _ZN7rocprim17ROCPRIM_400000_NS6detail17trampoline_kernelINS0_13select_configILj256ELj13ELNS0_17block_load_methodE3ELS4_3ELS4_3ELNS0_20block_scan_algorithmE0ELj4294967295EEENS1_25partition_config_selectorILNS1_17partition_subalgoE4EjNS0_10empty_typeEbEEZZNS1_14partition_implILS8_4ELb0ES6_15HIP_vector_typeIjLj2EENS0_17counting_iteratorIjlEEPS9_SG_NS0_5tupleIJPjSI_NS0_16reverse_iteratorISI_EEEEENSH_IJSG_SG_SG_EEES9_SI_JZNS1_25segmented_radix_sort_implINS0_14default_configELb1EPKiPiPKlPlN2at6native12_GLOBAL__N_18offset_tEEE10hipError_tPvRmT1_PNSt15iterator_traitsIS12_E10value_typeET2_T3_PNS13_IS18_E10value_typeET4_jRbjT5_S1E_jjP12ihipStream_tbEUljE_ZNSN_ISO_Lb1ESQ_SR_ST_SU_SY_EESZ_S10_S11_S12_S16_S17_S18_S1B_S1C_jS1D_jS1E_S1E_jjS1G_bEUljE0_EEESZ_S10_S11_S18_S1C_S1E_T6_T7_T9_mT8_S1G_bDpT10_ENKUlT_T0_E_clISt17integral_constantIbLb0EES1U_EEDaS1P_S1Q_EUlS1P_E_NS1_11comp_targetILNS1_3genE5ELNS1_11target_archE942ELNS1_3gpuE9ELNS1_3repE0EEENS1_30default_config_static_selectorELNS0_4arch9wavefront6targetE1EEEvS12_
	.p2align	8
	.type	_ZN7rocprim17ROCPRIM_400000_NS6detail17trampoline_kernelINS0_13select_configILj256ELj13ELNS0_17block_load_methodE3ELS4_3ELS4_3ELNS0_20block_scan_algorithmE0ELj4294967295EEENS1_25partition_config_selectorILNS1_17partition_subalgoE4EjNS0_10empty_typeEbEEZZNS1_14partition_implILS8_4ELb0ES6_15HIP_vector_typeIjLj2EENS0_17counting_iteratorIjlEEPS9_SG_NS0_5tupleIJPjSI_NS0_16reverse_iteratorISI_EEEEENSH_IJSG_SG_SG_EEES9_SI_JZNS1_25segmented_radix_sort_implINS0_14default_configELb1EPKiPiPKlPlN2at6native12_GLOBAL__N_18offset_tEEE10hipError_tPvRmT1_PNSt15iterator_traitsIS12_E10value_typeET2_T3_PNS13_IS18_E10value_typeET4_jRbjT5_S1E_jjP12ihipStream_tbEUljE_ZNSN_ISO_Lb1ESQ_SR_ST_SU_SY_EESZ_S10_S11_S12_S16_S17_S18_S1B_S1C_jS1D_jS1E_S1E_jjS1G_bEUljE0_EEESZ_S10_S11_S18_S1C_S1E_T6_T7_T9_mT8_S1G_bDpT10_ENKUlT_T0_E_clISt17integral_constantIbLb0EES1U_EEDaS1P_S1Q_EUlS1P_E_NS1_11comp_targetILNS1_3genE5ELNS1_11target_archE942ELNS1_3gpuE9ELNS1_3repE0EEENS1_30default_config_static_selectorELNS0_4arch9wavefront6targetE1EEEvS12_,@function
_ZN7rocprim17ROCPRIM_400000_NS6detail17trampoline_kernelINS0_13select_configILj256ELj13ELNS0_17block_load_methodE3ELS4_3ELS4_3ELNS0_20block_scan_algorithmE0ELj4294967295EEENS1_25partition_config_selectorILNS1_17partition_subalgoE4EjNS0_10empty_typeEbEEZZNS1_14partition_implILS8_4ELb0ES6_15HIP_vector_typeIjLj2EENS0_17counting_iteratorIjlEEPS9_SG_NS0_5tupleIJPjSI_NS0_16reverse_iteratorISI_EEEEENSH_IJSG_SG_SG_EEES9_SI_JZNS1_25segmented_radix_sort_implINS0_14default_configELb1EPKiPiPKlPlN2at6native12_GLOBAL__N_18offset_tEEE10hipError_tPvRmT1_PNSt15iterator_traitsIS12_E10value_typeET2_T3_PNS13_IS18_E10value_typeET4_jRbjT5_S1E_jjP12ihipStream_tbEUljE_ZNSN_ISO_Lb1ESQ_SR_ST_SU_SY_EESZ_S10_S11_S12_S16_S17_S18_S1B_S1C_jS1D_jS1E_S1E_jjS1G_bEUljE0_EEESZ_S10_S11_S18_S1C_S1E_T6_T7_T9_mT8_S1G_bDpT10_ENKUlT_T0_E_clISt17integral_constantIbLb0EES1U_EEDaS1P_S1Q_EUlS1P_E_NS1_11comp_targetILNS1_3genE5ELNS1_11target_archE942ELNS1_3gpuE9ELNS1_3repE0EEENS1_30default_config_static_selectorELNS0_4arch9wavefront6targetE1EEEvS12_: ; @_ZN7rocprim17ROCPRIM_400000_NS6detail17trampoline_kernelINS0_13select_configILj256ELj13ELNS0_17block_load_methodE3ELS4_3ELS4_3ELNS0_20block_scan_algorithmE0ELj4294967295EEENS1_25partition_config_selectorILNS1_17partition_subalgoE4EjNS0_10empty_typeEbEEZZNS1_14partition_implILS8_4ELb0ES6_15HIP_vector_typeIjLj2EENS0_17counting_iteratorIjlEEPS9_SG_NS0_5tupleIJPjSI_NS0_16reverse_iteratorISI_EEEEENSH_IJSG_SG_SG_EEES9_SI_JZNS1_25segmented_radix_sort_implINS0_14default_configELb1EPKiPiPKlPlN2at6native12_GLOBAL__N_18offset_tEEE10hipError_tPvRmT1_PNSt15iterator_traitsIS12_E10value_typeET2_T3_PNS13_IS18_E10value_typeET4_jRbjT5_S1E_jjP12ihipStream_tbEUljE_ZNSN_ISO_Lb1ESQ_SR_ST_SU_SY_EESZ_S10_S11_S12_S16_S17_S18_S1B_S1C_jS1D_jS1E_S1E_jjS1G_bEUljE0_EEESZ_S10_S11_S18_S1C_S1E_T6_T7_T9_mT8_S1G_bDpT10_ENKUlT_T0_E_clISt17integral_constantIbLb0EES1U_EEDaS1P_S1Q_EUlS1P_E_NS1_11comp_targetILNS1_3genE5ELNS1_11target_archE942ELNS1_3gpuE9ELNS1_3repE0EEENS1_30default_config_static_selectorELNS0_4arch9wavefront6targetE1EEEvS12_
; %bb.0:
	.section	.rodata,"a",@progbits
	.p2align	6, 0x0
	.amdhsa_kernel _ZN7rocprim17ROCPRIM_400000_NS6detail17trampoline_kernelINS0_13select_configILj256ELj13ELNS0_17block_load_methodE3ELS4_3ELS4_3ELNS0_20block_scan_algorithmE0ELj4294967295EEENS1_25partition_config_selectorILNS1_17partition_subalgoE4EjNS0_10empty_typeEbEEZZNS1_14partition_implILS8_4ELb0ES6_15HIP_vector_typeIjLj2EENS0_17counting_iteratorIjlEEPS9_SG_NS0_5tupleIJPjSI_NS0_16reverse_iteratorISI_EEEEENSH_IJSG_SG_SG_EEES9_SI_JZNS1_25segmented_radix_sort_implINS0_14default_configELb1EPKiPiPKlPlN2at6native12_GLOBAL__N_18offset_tEEE10hipError_tPvRmT1_PNSt15iterator_traitsIS12_E10value_typeET2_T3_PNS13_IS18_E10value_typeET4_jRbjT5_S1E_jjP12ihipStream_tbEUljE_ZNSN_ISO_Lb1ESQ_SR_ST_SU_SY_EESZ_S10_S11_S12_S16_S17_S18_S1B_S1C_jS1D_jS1E_S1E_jjS1G_bEUljE0_EEESZ_S10_S11_S18_S1C_S1E_T6_T7_T9_mT8_S1G_bDpT10_ENKUlT_T0_E_clISt17integral_constantIbLb0EES1U_EEDaS1P_S1Q_EUlS1P_E_NS1_11comp_targetILNS1_3genE5ELNS1_11target_archE942ELNS1_3gpuE9ELNS1_3repE0EEENS1_30default_config_static_selectorELNS0_4arch9wavefront6targetE1EEEvS12_
		.amdhsa_group_segment_fixed_size 0
		.amdhsa_private_segment_fixed_size 0
		.amdhsa_kernarg_size 176
		.amdhsa_user_sgpr_count 6
		.amdhsa_user_sgpr_private_segment_buffer 1
		.amdhsa_user_sgpr_dispatch_ptr 0
		.amdhsa_user_sgpr_queue_ptr 0
		.amdhsa_user_sgpr_kernarg_segment_ptr 1
		.amdhsa_user_sgpr_dispatch_id 0
		.amdhsa_user_sgpr_flat_scratch_init 0
		.amdhsa_user_sgpr_private_segment_size 0
		.amdhsa_uses_dynamic_stack 0
		.amdhsa_system_sgpr_private_segment_wavefront_offset 0
		.amdhsa_system_sgpr_workgroup_id_x 1
		.amdhsa_system_sgpr_workgroup_id_y 0
		.amdhsa_system_sgpr_workgroup_id_z 0
		.amdhsa_system_sgpr_workgroup_info 0
		.amdhsa_system_vgpr_workitem_id 0
		.amdhsa_next_free_vgpr 1
		.amdhsa_next_free_sgpr 0
		.amdhsa_reserve_vcc 0
		.amdhsa_reserve_flat_scratch 0
		.amdhsa_float_round_mode_32 0
		.amdhsa_float_round_mode_16_64 0
		.amdhsa_float_denorm_mode_32 3
		.amdhsa_float_denorm_mode_16_64 3
		.amdhsa_dx10_clamp 1
		.amdhsa_ieee_mode 1
		.amdhsa_fp16_overflow 0
		.amdhsa_exception_fp_ieee_invalid_op 0
		.amdhsa_exception_fp_denorm_src 0
		.amdhsa_exception_fp_ieee_div_zero 0
		.amdhsa_exception_fp_ieee_overflow 0
		.amdhsa_exception_fp_ieee_underflow 0
		.amdhsa_exception_fp_ieee_inexact 0
		.amdhsa_exception_int_div_zero 0
	.end_amdhsa_kernel
	.section	.text._ZN7rocprim17ROCPRIM_400000_NS6detail17trampoline_kernelINS0_13select_configILj256ELj13ELNS0_17block_load_methodE3ELS4_3ELS4_3ELNS0_20block_scan_algorithmE0ELj4294967295EEENS1_25partition_config_selectorILNS1_17partition_subalgoE4EjNS0_10empty_typeEbEEZZNS1_14partition_implILS8_4ELb0ES6_15HIP_vector_typeIjLj2EENS0_17counting_iteratorIjlEEPS9_SG_NS0_5tupleIJPjSI_NS0_16reverse_iteratorISI_EEEEENSH_IJSG_SG_SG_EEES9_SI_JZNS1_25segmented_radix_sort_implINS0_14default_configELb1EPKiPiPKlPlN2at6native12_GLOBAL__N_18offset_tEEE10hipError_tPvRmT1_PNSt15iterator_traitsIS12_E10value_typeET2_T3_PNS13_IS18_E10value_typeET4_jRbjT5_S1E_jjP12ihipStream_tbEUljE_ZNSN_ISO_Lb1ESQ_SR_ST_SU_SY_EESZ_S10_S11_S12_S16_S17_S18_S1B_S1C_jS1D_jS1E_S1E_jjS1G_bEUljE0_EEESZ_S10_S11_S18_S1C_S1E_T6_T7_T9_mT8_S1G_bDpT10_ENKUlT_T0_E_clISt17integral_constantIbLb0EES1U_EEDaS1P_S1Q_EUlS1P_E_NS1_11comp_targetILNS1_3genE5ELNS1_11target_archE942ELNS1_3gpuE9ELNS1_3repE0EEENS1_30default_config_static_selectorELNS0_4arch9wavefront6targetE1EEEvS12_,"axG",@progbits,_ZN7rocprim17ROCPRIM_400000_NS6detail17trampoline_kernelINS0_13select_configILj256ELj13ELNS0_17block_load_methodE3ELS4_3ELS4_3ELNS0_20block_scan_algorithmE0ELj4294967295EEENS1_25partition_config_selectorILNS1_17partition_subalgoE4EjNS0_10empty_typeEbEEZZNS1_14partition_implILS8_4ELb0ES6_15HIP_vector_typeIjLj2EENS0_17counting_iteratorIjlEEPS9_SG_NS0_5tupleIJPjSI_NS0_16reverse_iteratorISI_EEEEENSH_IJSG_SG_SG_EEES9_SI_JZNS1_25segmented_radix_sort_implINS0_14default_configELb1EPKiPiPKlPlN2at6native12_GLOBAL__N_18offset_tEEE10hipError_tPvRmT1_PNSt15iterator_traitsIS12_E10value_typeET2_T3_PNS13_IS18_E10value_typeET4_jRbjT5_S1E_jjP12ihipStream_tbEUljE_ZNSN_ISO_Lb1ESQ_SR_ST_SU_SY_EESZ_S10_S11_S12_S16_S17_S18_S1B_S1C_jS1D_jS1E_S1E_jjS1G_bEUljE0_EEESZ_S10_S11_S18_S1C_S1E_T6_T7_T9_mT8_S1G_bDpT10_ENKUlT_T0_E_clISt17integral_constantIbLb0EES1U_EEDaS1P_S1Q_EUlS1P_E_NS1_11comp_targetILNS1_3genE5ELNS1_11target_archE942ELNS1_3gpuE9ELNS1_3repE0EEENS1_30default_config_static_selectorELNS0_4arch9wavefront6targetE1EEEvS12_,comdat
.Lfunc_end434:
	.size	_ZN7rocprim17ROCPRIM_400000_NS6detail17trampoline_kernelINS0_13select_configILj256ELj13ELNS0_17block_load_methodE3ELS4_3ELS4_3ELNS0_20block_scan_algorithmE0ELj4294967295EEENS1_25partition_config_selectorILNS1_17partition_subalgoE4EjNS0_10empty_typeEbEEZZNS1_14partition_implILS8_4ELb0ES6_15HIP_vector_typeIjLj2EENS0_17counting_iteratorIjlEEPS9_SG_NS0_5tupleIJPjSI_NS0_16reverse_iteratorISI_EEEEENSH_IJSG_SG_SG_EEES9_SI_JZNS1_25segmented_radix_sort_implINS0_14default_configELb1EPKiPiPKlPlN2at6native12_GLOBAL__N_18offset_tEEE10hipError_tPvRmT1_PNSt15iterator_traitsIS12_E10value_typeET2_T3_PNS13_IS18_E10value_typeET4_jRbjT5_S1E_jjP12ihipStream_tbEUljE_ZNSN_ISO_Lb1ESQ_SR_ST_SU_SY_EESZ_S10_S11_S12_S16_S17_S18_S1B_S1C_jS1D_jS1E_S1E_jjS1G_bEUljE0_EEESZ_S10_S11_S18_S1C_S1E_T6_T7_T9_mT8_S1G_bDpT10_ENKUlT_T0_E_clISt17integral_constantIbLb0EES1U_EEDaS1P_S1Q_EUlS1P_E_NS1_11comp_targetILNS1_3genE5ELNS1_11target_archE942ELNS1_3gpuE9ELNS1_3repE0EEENS1_30default_config_static_selectorELNS0_4arch9wavefront6targetE1EEEvS12_, .Lfunc_end434-_ZN7rocprim17ROCPRIM_400000_NS6detail17trampoline_kernelINS0_13select_configILj256ELj13ELNS0_17block_load_methodE3ELS4_3ELS4_3ELNS0_20block_scan_algorithmE0ELj4294967295EEENS1_25partition_config_selectorILNS1_17partition_subalgoE4EjNS0_10empty_typeEbEEZZNS1_14partition_implILS8_4ELb0ES6_15HIP_vector_typeIjLj2EENS0_17counting_iteratorIjlEEPS9_SG_NS0_5tupleIJPjSI_NS0_16reverse_iteratorISI_EEEEENSH_IJSG_SG_SG_EEES9_SI_JZNS1_25segmented_radix_sort_implINS0_14default_configELb1EPKiPiPKlPlN2at6native12_GLOBAL__N_18offset_tEEE10hipError_tPvRmT1_PNSt15iterator_traitsIS12_E10value_typeET2_T3_PNS13_IS18_E10value_typeET4_jRbjT5_S1E_jjP12ihipStream_tbEUljE_ZNSN_ISO_Lb1ESQ_SR_ST_SU_SY_EESZ_S10_S11_S12_S16_S17_S18_S1B_S1C_jS1D_jS1E_S1E_jjS1G_bEUljE0_EEESZ_S10_S11_S18_S1C_S1E_T6_T7_T9_mT8_S1G_bDpT10_ENKUlT_T0_E_clISt17integral_constantIbLb0EES1U_EEDaS1P_S1Q_EUlS1P_E_NS1_11comp_targetILNS1_3genE5ELNS1_11target_archE942ELNS1_3gpuE9ELNS1_3repE0EEENS1_30default_config_static_selectorELNS0_4arch9wavefront6targetE1EEEvS12_
                                        ; -- End function
	.set _ZN7rocprim17ROCPRIM_400000_NS6detail17trampoline_kernelINS0_13select_configILj256ELj13ELNS0_17block_load_methodE3ELS4_3ELS4_3ELNS0_20block_scan_algorithmE0ELj4294967295EEENS1_25partition_config_selectorILNS1_17partition_subalgoE4EjNS0_10empty_typeEbEEZZNS1_14partition_implILS8_4ELb0ES6_15HIP_vector_typeIjLj2EENS0_17counting_iteratorIjlEEPS9_SG_NS0_5tupleIJPjSI_NS0_16reverse_iteratorISI_EEEEENSH_IJSG_SG_SG_EEES9_SI_JZNS1_25segmented_radix_sort_implINS0_14default_configELb1EPKiPiPKlPlN2at6native12_GLOBAL__N_18offset_tEEE10hipError_tPvRmT1_PNSt15iterator_traitsIS12_E10value_typeET2_T3_PNS13_IS18_E10value_typeET4_jRbjT5_S1E_jjP12ihipStream_tbEUljE_ZNSN_ISO_Lb1ESQ_SR_ST_SU_SY_EESZ_S10_S11_S12_S16_S17_S18_S1B_S1C_jS1D_jS1E_S1E_jjS1G_bEUljE0_EEESZ_S10_S11_S18_S1C_S1E_T6_T7_T9_mT8_S1G_bDpT10_ENKUlT_T0_E_clISt17integral_constantIbLb0EES1U_EEDaS1P_S1Q_EUlS1P_E_NS1_11comp_targetILNS1_3genE5ELNS1_11target_archE942ELNS1_3gpuE9ELNS1_3repE0EEENS1_30default_config_static_selectorELNS0_4arch9wavefront6targetE1EEEvS12_.num_vgpr, 0
	.set _ZN7rocprim17ROCPRIM_400000_NS6detail17trampoline_kernelINS0_13select_configILj256ELj13ELNS0_17block_load_methodE3ELS4_3ELS4_3ELNS0_20block_scan_algorithmE0ELj4294967295EEENS1_25partition_config_selectorILNS1_17partition_subalgoE4EjNS0_10empty_typeEbEEZZNS1_14partition_implILS8_4ELb0ES6_15HIP_vector_typeIjLj2EENS0_17counting_iteratorIjlEEPS9_SG_NS0_5tupleIJPjSI_NS0_16reverse_iteratorISI_EEEEENSH_IJSG_SG_SG_EEES9_SI_JZNS1_25segmented_radix_sort_implINS0_14default_configELb1EPKiPiPKlPlN2at6native12_GLOBAL__N_18offset_tEEE10hipError_tPvRmT1_PNSt15iterator_traitsIS12_E10value_typeET2_T3_PNS13_IS18_E10value_typeET4_jRbjT5_S1E_jjP12ihipStream_tbEUljE_ZNSN_ISO_Lb1ESQ_SR_ST_SU_SY_EESZ_S10_S11_S12_S16_S17_S18_S1B_S1C_jS1D_jS1E_S1E_jjS1G_bEUljE0_EEESZ_S10_S11_S18_S1C_S1E_T6_T7_T9_mT8_S1G_bDpT10_ENKUlT_T0_E_clISt17integral_constantIbLb0EES1U_EEDaS1P_S1Q_EUlS1P_E_NS1_11comp_targetILNS1_3genE5ELNS1_11target_archE942ELNS1_3gpuE9ELNS1_3repE0EEENS1_30default_config_static_selectorELNS0_4arch9wavefront6targetE1EEEvS12_.num_agpr, 0
	.set _ZN7rocprim17ROCPRIM_400000_NS6detail17trampoline_kernelINS0_13select_configILj256ELj13ELNS0_17block_load_methodE3ELS4_3ELS4_3ELNS0_20block_scan_algorithmE0ELj4294967295EEENS1_25partition_config_selectorILNS1_17partition_subalgoE4EjNS0_10empty_typeEbEEZZNS1_14partition_implILS8_4ELb0ES6_15HIP_vector_typeIjLj2EENS0_17counting_iteratorIjlEEPS9_SG_NS0_5tupleIJPjSI_NS0_16reverse_iteratorISI_EEEEENSH_IJSG_SG_SG_EEES9_SI_JZNS1_25segmented_radix_sort_implINS0_14default_configELb1EPKiPiPKlPlN2at6native12_GLOBAL__N_18offset_tEEE10hipError_tPvRmT1_PNSt15iterator_traitsIS12_E10value_typeET2_T3_PNS13_IS18_E10value_typeET4_jRbjT5_S1E_jjP12ihipStream_tbEUljE_ZNSN_ISO_Lb1ESQ_SR_ST_SU_SY_EESZ_S10_S11_S12_S16_S17_S18_S1B_S1C_jS1D_jS1E_S1E_jjS1G_bEUljE0_EEESZ_S10_S11_S18_S1C_S1E_T6_T7_T9_mT8_S1G_bDpT10_ENKUlT_T0_E_clISt17integral_constantIbLb0EES1U_EEDaS1P_S1Q_EUlS1P_E_NS1_11comp_targetILNS1_3genE5ELNS1_11target_archE942ELNS1_3gpuE9ELNS1_3repE0EEENS1_30default_config_static_selectorELNS0_4arch9wavefront6targetE1EEEvS12_.numbered_sgpr, 0
	.set _ZN7rocprim17ROCPRIM_400000_NS6detail17trampoline_kernelINS0_13select_configILj256ELj13ELNS0_17block_load_methodE3ELS4_3ELS4_3ELNS0_20block_scan_algorithmE0ELj4294967295EEENS1_25partition_config_selectorILNS1_17partition_subalgoE4EjNS0_10empty_typeEbEEZZNS1_14partition_implILS8_4ELb0ES6_15HIP_vector_typeIjLj2EENS0_17counting_iteratorIjlEEPS9_SG_NS0_5tupleIJPjSI_NS0_16reverse_iteratorISI_EEEEENSH_IJSG_SG_SG_EEES9_SI_JZNS1_25segmented_radix_sort_implINS0_14default_configELb1EPKiPiPKlPlN2at6native12_GLOBAL__N_18offset_tEEE10hipError_tPvRmT1_PNSt15iterator_traitsIS12_E10value_typeET2_T3_PNS13_IS18_E10value_typeET4_jRbjT5_S1E_jjP12ihipStream_tbEUljE_ZNSN_ISO_Lb1ESQ_SR_ST_SU_SY_EESZ_S10_S11_S12_S16_S17_S18_S1B_S1C_jS1D_jS1E_S1E_jjS1G_bEUljE0_EEESZ_S10_S11_S18_S1C_S1E_T6_T7_T9_mT8_S1G_bDpT10_ENKUlT_T0_E_clISt17integral_constantIbLb0EES1U_EEDaS1P_S1Q_EUlS1P_E_NS1_11comp_targetILNS1_3genE5ELNS1_11target_archE942ELNS1_3gpuE9ELNS1_3repE0EEENS1_30default_config_static_selectorELNS0_4arch9wavefront6targetE1EEEvS12_.num_named_barrier, 0
	.set _ZN7rocprim17ROCPRIM_400000_NS6detail17trampoline_kernelINS0_13select_configILj256ELj13ELNS0_17block_load_methodE3ELS4_3ELS4_3ELNS0_20block_scan_algorithmE0ELj4294967295EEENS1_25partition_config_selectorILNS1_17partition_subalgoE4EjNS0_10empty_typeEbEEZZNS1_14partition_implILS8_4ELb0ES6_15HIP_vector_typeIjLj2EENS0_17counting_iteratorIjlEEPS9_SG_NS0_5tupleIJPjSI_NS0_16reverse_iteratorISI_EEEEENSH_IJSG_SG_SG_EEES9_SI_JZNS1_25segmented_radix_sort_implINS0_14default_configELb1EPKiPiPKlPlN2at6native12_GLOBAL__N_18offset_tEEE10hipError_tPvRmT1_PNSt15iterator_traitsIS12_E10value_typeET2_T3_PNS13_IS18_E10value_typeET4_jRbjT5_S1E_jjP12ihipStream_tbEUljE_ZNSN_ISO_Lb1ESQ_SR_ST_SU_SY_EESZ_S10_S11_S12_S16_S17_S18_S1B_S1C_jS1D_jS1E_S1E_jjS1G_bEUljE0_EEESZ_S10_S11_S18_S1C_S1E_T6_T7_T9_mT8_S1G_bDpT10_ENKUlT_T0_E_clISt17integral_constantIbLb0EES1U_EEDaS1P_S1Q_EUlS1P_E_NS1_11comp_targetILNS1_3genE5ELNS1_11target_archE942ELNS1_3gpuE9ELNS1_3repE0EEENS1_30default_config_static_selectorELNS0_4arch9wavefront6targetE1EEEvS12_.private_seg_size, 0
	.set _ZN7rocprim17ROCPRIM_400000_NS6detail17trampoline_kernelINS0_13select_configILj256ELj13ELNS0_17block_load_methodE3ELS4_3ELS4_3ELNS0_20block_scan_algorithmE0ELj4294967295EEENS1_25partition_config_selectorILNS1_17partition_subalgoE4EjNS0_10empty_typeEbEEZZNS1_14partition_implILS8_4ELb0ES6_15HIP_vector_typeIjLj2EENS0_17counting_iteratorIjlEEPS9_SG_NS0_5tupleIJPjSI_NS0_16reverse_iteratorISI_EEEEENSH_IJSG_SG_SG_EEES9_SI_JZNS1_25segmented_radix_sort_implINS0_14default_configELb1EPKiPiPKlPlN2at6native12_GLOBAL__N_18offset_tEEE10hipError_tPvRmT1_PNSt15iterator_traitsIS12_E10value_typeET2_T3_PNS13_IS18_E10value_typeET4_jRbjT5_S1E_jjP12ihipStream_tbEUljE_ZNSN_ISO_Lb1ESQ_SR_ST_SU_SY_EESZ_S10_S11_S12_S16_S17_S18_S1B_S1C_jS1D_jS1E_S1E_jjS1G_bEUljE0_EEESZ_S10_S11_S18_S1C_S1E_T6_T7_T9_mT8_S1G_bDpT10_ENKUlT_T0_E_clISt17integral_constantIbLb0EES1U_EEDaS1P_S1Q_EUlS1P_E_NS1_11comp_targetILNS1_3genE5ELNS1_11target_archE942ELNS1_3gpuE9ELNS1_3repE0EEENS1_30default_config_static_selectorELNS0_4arch9wavefront6targetE1EEEvS12_.uses_vcc, 0
	.set _ZN7rocprim17ROCPRIM_400000_NS6detail17trampoline_kernelINS0_13select_configILj256ELj13ELNS0_17block_load_methodE3ELS4_3ELS4_3ELNS0_20block_scan_algorithmE0ELj4294967295EEENS1_25partition_config_selectorILNS1_17partition_subalgoE4EjNS0_10empty_typeEbEEZZNS1_14partition_implILS8_4ELb0ES6_15HIP_vector_typeIjLj2EENS0_17counting_iteratorIjlEEPS9_SG_NS0_5tupleIJPjSI_NS0_16reverse_iteratorISI_EEEEENSH_IJSG_SG_SG_EEES9_SI_JZNS1_25segmented_radix_sort_implINS0_14default_configELb1EPKiPiPKlPlN2at6native12_GLOBAL__N_18offset_tEEE10hipError_tPvRmT1_PNSt15iterator_traitsIS12_E10value_typeET2_T3_PNS13_IS18_E10value_typeET4_jRbjT5_S1E_jjP12ihipStream_tbEUljE_ZNSN_ISO_Lb1ESQ_SR_ST_SU_SY_EESZ_S10_S11_S12_S16_S17_S18_S1B_S1C_jS1D_jS1E_S1E_jjS1G_bEUljE0_EEESZ_S10_S11_S18_S1C_S1E_T6_T7_T9_mT8_S1G_bDpT10_ENKUlT_T0_E_clISt17integral_constantIbLb0EES1U_EEDaS1P_S1Q_EUlS1P_E_NS1_11comp_targetILNS1_3genE5ELNS1_11target_archE942ELNS1_3gpuE9ELNS1_3repE0EEENS1_30default_config_static_selectorELNS0_4arch9wavefront6targetE1EEEvS12_.uses_flat_scratch, 0
	.set _ZN7rocprim17ROCPRIM_400000_NS6detail17trampoline_kernelINS0_13select_configILj256ELj13ELNS0_17block_load_methodE3ELS4_3ELS4_3ELNS0_20block_scan_algorithmE0ELj4294967295EEENS1_25partition_config_selectorILNS1_17partition_subalgoE4EjNS0_10empty_typeEbEEZZNS1_14partition_implILS8_4ELb0ES6_15HIP_vector_typeIjLj2EENS0_17counting_iteratorIjlEEPS9_SG_NS0_5tupleIJPjSI_NS0_16reverse_iteratorISI_EEEEENSH_IJSG_SG_SG_EEES9_SI_JZNS1_25segmented_radix_sort_implINS0_14default_configELb1EPKiPiPKlPlN2at6native12_GLOBAL__N_18offset_tEEE10hipError_tPvRmT1_PNSt15iterator_traitsIS12_E10value_typeET2_T3_PNS13_IS18_E10value_typeET4_jRbjT5_S1E_jjP12ihipStream_tbEUljE_ZNSN_ISO_Lb1ESQ_SR_ST_SU_SY_EESZ_S10_S11_S12_S16_S17_S18_S1B_S1C_jS1D_jS1E_S1E_jjS1G_bEUljE0_EEESZ_S10_S11_S18_S1C_S1E_T6_T7_T9_mT8_S1G_bDpT10_ENKUlT_T0_E_clISt17integral_constantIbLb0EES1U_EEDaS1P_S1Q_EUlS1P_E_NS1_11comp_targetILNS1_3genE5ELNS1_11target_archE942ELNS1_3gpuE9ELNS1_3repE0EEENS1_30default_config_static_selectorELNS0_4arch9wavefront6targetE1EEEvS12_.has_dyn_sized_stack, 0
	.set _ZN7rocprim17ROCPRIM_400000_NS6detail17trampoline_kernelINS0_13select_configILj256ELj13ELNS0_17block_load_methodE3ELS4_3ELS4_3ELNS0_20block_scan_algorithmE0ELj4294967295EEENS1_25partition_config_selectorILNS1_17partition_subalgoE4EjNS0_10empty_typeEbEEZZNS1_14partition_implILS8_4ELb0ES6_15HIP_vector_typeIjLj2EENS0_17counting_iteratorIjlEEPS9_SG_NS0_5tupleIJPjSI_NS0_16reverse_iteratorISI_EEEEENSH_IJSG_SG_SG_EEES9_SI_JZNS1_25segmented_radix_sort_implINS0_14default_configELb1EPKiPiPKlPlN2at6native12_GLOBAL__N_18offset_tEEE10hipError_tPvRmT1_PNSt15iterator_traitsIS12_E10value_typeET2_T3_PNS13_IS18_E10value_typeET4_jRbjT5_S1E_jjP12ihipStream_tbEUljE_ZNSN_ISO_Lb1ESQ_SR_ST_SU_SY_EESZ_S10_S11_S12_S16_S17_S18_S1B_S1C_jS1D_jS1E_S1E_jjS1G_bEUljE0_EEESZ_S10_S11_S18_S1C_S1E_T6_T7_T9_mT8_S1G_bDpT10_ENKUlT_T0_E_clISt17integral_constantIbLb0EES1U_EEDaS1P_S1Q_EUlS1P_E_NS1_11comp_targetILNS1_3genE5ELNS1_11target_archE942ELNS1_3gpuE9ELNS1_3repE0EEENS1_30default_config_static_selectorELNS0_4arch9wavefront6targetE1EEEvS12_.has_recursion, 0
	.set _ZN7rocprim17ROCPRIM_400000_NS6detail17trampoline_kernelINS0_13select_configILj256ELj13ELNS0_17block_load_methodE3ELS4_3ELS4_3ELNS0_20block_scan_algorithmE0ELj4294967295EEENS1_25partition_config_selectorILNS1_17partition_subalgoE4EjNS0_10empty_typeEbEEZZNS1_14partition_implILS8_4ELb0ES6_15HIP_vector_typeIjLj2EENS0_17counting_iteratorIjlEEPS9_SG_NS0_5tupleIJPjSI_NS0_16reverse_iteratorISI_EEEEENSH_IJSG_SG_SG_EEES9_SI_JZNS1_25segmented_radix_sort_implINS0_14default_configELb1EPKiPiPKlPlN2at6native12_GLOBAL__N_18offset_tEEE10hipError_tPvRmT1_PNSt15iterator_traitsIS12_E10value_typeET2_T3_PNS13_IS18_E10value_typeET4_jRbjT5_S1E_jjP12ihipStream_tbEUljE_ZNSN_ISO_Lb1ESQ_SR_ST_SU_SY_EESZ_S10_S11_S12_S16_S17_S18_S1B_S1C_jS1D_jS1E_S1E_jjS1G_bEUljE0_EEESZ_S10_S11_S18_S1C_S1E_T6_T7_T9_mT8_S1G_bDpT10_ENKUlT_T0_E_clISt17integral_constantIbLb0EES1U_EEDaS1P_S1Q_EUlS1P_E_NS1_11comp_targetILNS1_3genE5ELNS1_11target_archE942ELNS1_3gpuE9ELNS1_3repE0EEENS1_30default_config_static_selectorELNS0_4arch9wavefront6targetE1EEEvS12_.has_indirect_call, 0
	.section	.AMDGPU.csdata,"",@progbits
; Kernel info:
; codeLenInByte = 0
; TotalNumSgprs: 4
; NumVgprs: 0
; ScratchSize: 0
; MemoryBound: 0
; FloatMode: 240
; IeeeMode: 1
; LDSByteSize: 0 bytes/workgroup (compile time only)
; SGPRBlocks: 0
; VGPRBlocks: 0
; NumSGPRsForWavesPerEU: 4
; NumVGPRsForWavesPerEU: 1
; Occupancy: 10
; WaveLimiterHint : 0
; COMPUTE_PGM_RSRC2:SCRATCH_EN: 0
; COMPUTE_PGM_RSRC2:USER_SGPR: 6
; COMPUTE_PGM_RSRC2:TRAP_HANDLER: 0
; COMPUTE_PGM_RSRC2:TGID_X_EN: 1
; COMPUTE_PGM_RSRC2:TGID_Y_EN: 0
; COMPUTE_PGM_RSRC2:TGID_Z_EN: 0
; COMPUTE_PGM_RSRC2:TIDIG_COMP_CNT: 0
	.section	.text._ZN7rocprim17ROCPRIM_400000_NS6detail17trampoline_kernelINS0_13select_configILj256ELj13ELNS0_17block_load_methodE3ELS4_3ELS4_3ELNS0_20block_scan_algorithmE0ELj4294967295EEENS1_25partition_config_selectorILNS1_17partition_subalgoE4EjNS0_10empty_typeEbEEZZNS1_14partition_implILS8_4ELb0ES6_15HIP_vector_typeIjLj2EENS0_17counting_iteratorIjlEEPS9_SG_NS0_5tupleIJPjSI_NS0_16reverse_iteratorISI_EEEEENSH_IJSG_SG_SG_EEES9_SI_JZNS1_25segmented_radix_sort_implINS0_14default_configELb1EPKiPiPKlPlN2at6native12_GLOBAL__N_18offset_tEEE10hipError_tPvRmT1_PNSt15iterator_traitsIS12_E10value_typeET2_T3_PNS13_IS18_E10value_typeET4_jRbjT5_S1E_jjP12ihipStream_tbEUljE_ZNSN_ISO_Lb1ESQ_SR_ST_SU_SY_EESZ_S10_S11_S12_S16_S17_S18_S1B_S1C_jS1D_jS1E_S1E_jjS1G_bEUljE0_EEESZ_S10_S11_S18_S1C_S1E_T6_T7_T9_mT8_S1G_bDpT10_ENKUlT_T0_E_clISt17integral_constantIbLb0EES1U_EEDaS1P_S1Q_EUlS1P_E_NS1_11comp_targetILNS1_3genE4ELNS1_11target_archE910ELNS1_3gpuE8ELNS1_3repE0EEENS1_30default_config_static_selectorELNS0_4arch9wavefront6targetE1EEEvS12_,"axG",@progbits,_ZN7rocprim17ROCPRIM_400000_NS6detail17trampoline_kernelINS0_13select_configILj256ELj13ELNS0_17block_load_methodE3ELS4_3ELS4_3ELNS0_20block_scan_algorithmE0ELj4294967295EEENS1_25partition_config_selectorILNS1_17partition_subalgoE4EjNS0_10empty_typeEbEEZZNS1_14partition_implILS8_4ELb0ES6_15HIP_vector_typeIjLj2EENS0_17counting_iteratorIjlEEPS9_SG_NS0_5tupleIJPjSI_NS0_16reverse_iteratorISI_EEEEENSH_IJSG_SG_SG_EEES9_SI_JZNS1_25segmented_radix_sort_implINS0_14default_configELb1EPKiPiPKlPlN2at6native12_GLOBAL__N_18offset_tEEE10hipError_tPvRmT1_PNSt15iterator_traitsIS12_E10value_typeET2_T3_PNS13_IS18_E10value_typeET4_jRbjT5_S1E_jjP12ihipStream_tbEUljE_ZNSN_ISO_Lb1ESQ_SR_ST_SU_SY_EESZ_S10_S11_S12_S16_S17_S18_S1B_S1C_jS1D_jS1E_S1E_jjS1G_bEUljE0_EEESZ_S10_S11_S18_S1C_S1E_T6_T7_T9_mT8_S1G_bDpT10_ENKUlT_T0_E_clISt17integral_constantIbLb0EES1U_EEDaS1P_S1Q_EUlS1P_E_NS1_11comp_targetILNS1_3genE4ELNS1_11target_archE910ELNS1_3gpuE8ELNS1_3repE0EEENS1_30default_config_static_selectorELNS0_4arch9wavefront6targetE1EEEvS12_,comdat
	.globl	_ZN7rocprim17ROCPRIM_400000_NS6detail17trampoline_kernelINS0_13select_configILj256ELj13ELNS0_17block_load_methodE3ELS4_3ELS4_3ELNS0_20block_scan_algorithmE0ELj4294967295EEENS1_25partition_config_selectorILNS1_17partition_subalgoE4EjNS0_10empty_typeEbEEZZNS1_14partition_implILS8_4ELb0ES6_15HIP_vector_typeIjLj2EENS0_17counting_iteratorIjlEEPS9_SG_NS0_5tupleIJPjSI_NS0_16reverse_iteratorISI_EEEEENSH_IJSG_SG_SG_EEES9_SI_JZNS1_25segmented_radix_sort_implINS0_14default_configELb1EPKiPiPKlPlN2at6native12_GLOBAL__N_18offset_tEEE10hipError_tPvRmT1_PNSt15iterator_traitsIS12_E10value_typeET2_T3_PNS13_IS18_E10value_typeET4_jRbjT5_S1E_jjP12ihipStream_tbEUljE_ZNSN_ISO_Lb1ESQ_SR_ST_SU_SY_EESZ_S10_S11_S12_S16_S17_S18_S1B_S1C_jS1D_jS1E_S1E_jjS1G_bEUljE0_EEESZ_S10_S11_S18_S1C_S1E_T6_T7_T9_mT8_S1G_bDpT10_ENKUlT_T0_E_clISt17integral_constantIbLb0EES1U_EEDaS1P_S1Q_EUlS1P_E_NS1_11comp_targetILNS1_3genE4ELNS1_11target_archE910ELNS1_3gpuE8ELNS1_3repE0EEENS1_30default_config_static_selectorELNS0_4arch9wavefront6targetE1EEEvS12_ ; -- Begin function _ZN7rocprim17ROCPRIM_400000_NS6detail17trampoline_kernelINS0_13select_configILj256ELj13ELNS0_17block_load_methodE3ELS4_3ELS4_3ELNS0_20block_scan_algorithmE0ELj4294967295EEENS1_25partition_config_selectorILNS1_17partition_subalgoE4EjNS0_10empty_typeEbEEZZNS1_14partition_implILS8_4ELb0ES6_15HIP_vector_typeIjLj2EENS0_17counting_iteratorIjlEEPS9_SG_NS0_5tupleIJPjSI_NS0_16reverse_iteratorISI_EEEEENSH_IJSG_SG_SG_EEES9_SI_JZNS1_25segmented_radix_sort_implINS0_14default_configELb1EPKiPiPKlPlN2at6native12_GLOBAL__N_18offset_tEEE10hipError_tPvRmT1_PNSt15iterator_traitsIS12_E10value_typeET2_T3_PNS13_IS18_E10value_typeET4_jRbjT5_S1E_jjP12ihipStream_tbEUljE_ZNSN_ISO_Lb1ESQ_SR_ST_SU_SY_EESZ_S10_S11_S12_S16_S17_S18_S1B_S1C_jS1D_jS1E_S1E_jjS1G_bEUljE0_EEESZ_S10_S11_S18_S1C_S1E_T6_T7_T9_mT8_S1G_bDpT10_ENKUlT_T0_E_clISt17integral_constantIbLb0EES1U_EEDaS1P_S1Q_EUlS1P_E_NS1_11comp_targetILNS1_3genE4ELNS1_11target_archE910ELNS1_3gpuE8ELNS1_3repE0EEENS1_30default_config_static_selectorELNS0_4arch9wavefront6targetE1EEEvS12_
	.p2align	8
	.type	_ZN7rocprim17ROCPRIM_400000_NS6detail17trampoline_kernelINS0_13select_configILj256ELj13ELNS0_17block_load_methodE3ELS4_3ELS4_3ELNS0_20block_scan_algorithmE0ELj4294967295EEENS1_25partition_config_selectorILNS1_17partition_subalgoE4EjNS0_10empty_typeEbEEZZNS1_14partition_implILS8_4ELb0ES6_15HIP_vector_typeIjLj2EENS0_17counting_iteratorIjlEEPS9_SG_NS0_5tupleIJPjSI_NS0_16reverse_iteratorISI_EEEEENSH_IJSG_SG_SG_EEES9_SI_JZNS1_25segmented_radix_sort_implINS0_14default_configELb1EPKiPiPKlPlN2at6native12_GLOBAL__N_18offset_tEEE10hipError_tPvRmT1_PNSt15iterator_traitsIS12_E10value_typeET2_T3_PNS13_IS18_E10value_typeET4_jRbjT5_S1E_jjP12ihipStream_tbEUljE_ZNSN_ISO_Lb1ESQ_SR_ST_SU_SY_EESZ_S10_S11_S12_S16_S17_S18_S1B_S1C_jS1D_jS1E_S1E_jjS1G_bEUljE0_EEESZ_S10_S11_S18_S1C_S1E_T6_T7_T9_mT8_S1G_bDpT10_ENKUlT_T0_E_clISt17integral_constantIbLb0EES1U_EEDaS1P_S1Q_EUlS1P_E_NS1_11comp_targetILNS1_3genE4ELNS1_11target_archE910ELNS1_3gpuE8ELNS1_3repE0EEENS1_30default_config_static_selectorELNS0_4arch9wavefront6targetE1EEEvS12_,@function
_ZN7rocprim17ROCPRIM_400000_NS6detail17trampoline_kernelINS0_13select_configILj256ELj13ELNS0_17block_load_methodE3ELS4_3ELS4_3ELNS0_20block_scan_algorithmE0ELj4294967295EEENS1_25partition_config_selectorILNS1_17partition_subalgoE4EjNS0_10empty_typeEbEEZZNS1_14partition_implILS8_4ELb0ES6_15HIP_vector_typeIjLj2EENS0_17counting_iteratorIjlEEPS9_SG_NS0_5tupleIJPjSI_NS0_16reverse_iteratorISI_EEEEENSH_IJSG_SG_SG_EEES9_SI_JZNS1_25segmented_radix_sort_implINS0_14default_configELb1EPKiPiPKlPlN2at6native12_GLOBAL__N_18offset_tEEE10hipError_tPvRmT1_PNSt15iterator_traitsIS12_E10value_typeET2_T3_PNS13_IS18_E10value_typeET4_jRbjT5_S1E_jjP12ihipStream_tbEUljE_ZNSN_ISO_Lb1ESQ_SR_ST_SU_SY_EESZ_S10_S11_S12_S16_S17_S18_S1B_S1C_jS1D_jS1E_S1E_jjS1G_bEUljE0_EEESZ_S10_S11_S18_S1C_S1E_T6_T7_T9_mT8_S1G_bDpT10_ENKUlT_T0_E_clISt17integral_constantIbLb0EES1U_EEDaS1P_S1Q_EUlS1P_E_NS1_11comp_targetILNS1_3genE4ELNS1_11target_archE910ELNS1_3gpuE8ELNS1_3repE0EEENS1_30default_config_static_selectorELNS0_4arch9wavefront6targetE1EEEvS12_: ; @_ZN7rocprim17ROCPRIM_400000_NS6detail17trampoline_kernelINS0_13select_configILj256ELj13ELNS0_17block_load_methodE3ELS4_3ELS4_3ELNS0_20block_scan_algorithmE0ELj4294967295EEENS1_25partition_config_selectorILNS1_17partition_subalgoE4EjNS0_10empty_typeEbEEZZNS1_14partition_implILS8_4ELb0ES6_15HIP_vector_typeIjLj2EENS0_17counting_iteratorIjlEEPS9_SG_NS0_5tupleIJPjSI_NS0_16reverse_iteratorISI_EEEEENSH_IJSG_SG_SG_EEES9_SI_JZNS1_25segmented_radix_sort_implINS0_14default_configELb1EPKiPiPKlPlN2at6native12_GLOBAL__N_18offset_tEEE10hipError_tPvRmT1_PNSt15iterator_traitsIS12_E10value_typeET2_T3_PNS13_IS18_E10value_typeET4_jRbjT5_S1E_jjP12ihipStream_tbEUljE_ZNSN_ISO_Lb1ESQ_SR_ST_SU_SY_EESZ_S10_S11_S12_S16_S17_S18_S1B_S1C_jS1D_jS1E_S1E_jjS1G_bEUljE0_EEESZ_S10_S11_S18_S1C_S1E_T6_T7_T9_mT8_S1G_bDpT10_ENKUlT_T0_E_clISt17integral_constantIbLb0EES1U_EEDaS1P_S1Q_EUlS1P_E_NS1_11comp_targetILNS1_3genE4ELNS1_11target_archE910ELNS1_3gpuE8ELNS1_3repE0EEENS1_30default_config_static_selectorELNS0_4arch9wavefront6targetE1EEEvS12_
; %bb.0:
	.section	.rodata,"a",@progbits
	.p2align	6, 0x0
	.amdhsa_kernel _ZN7rocprim17ROCPRIM_400000_NS6detail17trampoline_kernelINS0_13select_configILj256ELj13ELNS0_17block_load_methodE3ELS4_3ELS4_3ELNS0_20block_scan_algorithmE0ELj4294967295EEENS1_25partition_config_selectorILNS1_17partition_subalgoE4EjNS0_10empty_typeEbEEZZNS1_14partition_implILS8_4ELb0ES6_15HIP_vector_typeIjLj2EENS0_17counting_iteratorIjlEEPS9_SG_NS0_5tupleIJPjSI_NS0_16reverse_iteratorISI_EEEEENSH_IJSG_SG_SG_EEES9_SI_JZNS1_25segmented_radix_sort_implINS0_14default_configELb1EPKiPiPKlPlN2at6native12_GLOBAL__N_18offset_tEEE10hipError_tPvRmT1_PNSt15iterator_traitsIS12_E10value_typeET2_T3_PNS13_IS18_E10value_typeET4_jRbjT5_S1E_jjP12ihipStream_tbEUljE_ZNSN_ISO_Lb1ESQ_SR_ST_SU_SY_EESZ_S10_S11_S12_S16_S17_S18_S1B_S1C_jS1D_jS1E_S1E_jjS1G_bEUljE0_EEESZ_S10_S11_S18_S1C_S1E_T6_T7_T9_mT8_S1G_bDpT10_ENKUlT_T0_E_clISt17integral_constantIbLb0EES1U_EEDaS1P_S1Q_EUlS1P_E_NS1_11comp_targetILNS1_3genE4ELNS1_11target_archE910ELNS1_3gpuE8ELNS1_3repE0EEENS1_30default_config_static_selectorELNS0_4arch9wavefront6targetE1EEEvS12_
		.amdhsa_group_segment_fixed_size 0
		.amdhsa_private_segment_fixed_size 0
		.amdhsa_kernarg_size 176
		.amdhsa_user_sgpr_count 6
		.amdhsa_user_sgpr_private_segment_buffer 1
		.amdhsa_user_sgpr_dispatch_ptr 0
		.amdhsa_user_sgpr_queue_ptr 0
		.amdhsa_user_sgpr_kernarg_segment_ptr 1
		.amdhsa_user_sgpr_dispatch_id 0
		.amdhsa_user_sgpr_flat_scratch_init 0
		.amdhsa_user_sgpr_private_segment_size 0
		.amdhsa_uses_dynamic_stack 0
		.amdhsa_system_sgpr_private_segment_wavefront_offset 0
		.amdhsa_system_sgpr_workgroup_id_x 1
		.amdhsa_system_sgpr_workgroup_id_y 0
		.amdhsa_system_sgpr_workgroup_id_z 0
		.amdhsa_system_sgpr_workgroup_info 0
		.amdhsa_system_vgpr_workitem_id 0
		.amdhsa_next_free_vgpr 1
		.amdhsa_next_free_sgpr 0
		.amdhsa_reserve_vcc 0
		.amdhsa_reserve_flat_scratch 0
		.amdhsa_float_round_mode_32 0
		.amdhsa_float_round_mode_16_64 0
		.amdhsa_float_denorm_mode_32 3
		.amdhsa_float_denorm_mode_16_64 3
		.amdhsa_dx10_clamp 1
		.amdhsa_ieee_mode 1
		.amdhsa_fp16_overflow 0
		.amdhsa_exception_fp_ieee_invalid_op 0
		.amdhsa_exception_fp_denorm_src 0
		.amdhsa_exception_fp_ieee_div_zero 0
		.amdhsa_exception_fp_ieee_overflow 0
		.amdhsa_exception_fp_ieee_underflow 0
		.amdhsa_exception_fp_ieee_inexact 0
		.amdhsa_exception_int_div_zero 0
	.end_amdhsa_kernel
	.section	.text._ZN7rocprim17ROCPRIM_400000_NS6detail17trampoline_kernelINS0_13select_configILj256ELj13ELNS0_17block_load_methodE3ELS4_3ELS4_3ELNS0_20block_scan_algorithmE0ELj4294967295EEENS1_25partition_config_selectorILNS1_17partition_subalgoE4EjNS0_10empty_typeEbEEZZNS1_14partition_implILS8_4ELb0ES6_15HIP_vector_typeIjLj2EENS0_17counting_iteratorIjlEEPS9_SG_NS0_5tupleIJPjSI_NS0_16reverse_iteratorISI_EEEEENSH_IJSG_SG_SG_EEES9_SI_JZNS1_25segmented_radix_sort_implINS0_14default_configELb1EPKiPiPKlPlN2at6native12_GLOBAL__N_18offset_tEEE10hipError_tPvRmT1_PNSt15iterator_traitsIS12_E10value_typeET2_T3_PNS13_IS18_E10value_typeET4_jRbjT5_S1E_jjP12ihipStream_tbEUljE_ZNSN_ISO_Lb1ESQ_SR_ST_SU_SY_EESZ_S10_S11_S12_S16_S17_S18_S1B_S1C_jS1D_jS1E_S1E_jjS1G_bEUljE0_EEESZ_S10_S11_S18_S1C_S1E_T6_T7_T9_mT8_S1G_bDpT10_ENKUlT_T0_E_clISt17integral_constantIbLb0EES1U_EEDaS1P_S1Q_EUlS1P_E_NS1_11comp_targetILNS1_3genE4ELNS1_11target_archE910ELNS1_3gpuE8ELNS1_3repE0EEENS1_30default_config_static_selectorELNS0_4arch9wavefront6targetE1EEEvS12_,"axG",@progbits,_ZN7rocprim17ROCPRIM_400000_NS6detail17trampoline_kernelINS0_13select_configILj256ELj13ELNS0_17block_load_methodE3ELS4_3ELS4_3ELNS0_20block_scan_algorithmE0ELj4294967295EEENS1_25partition_config_selectorILNS1_17partition_subalgoE4EjNS0_10empty_typeEbEEZZNS1_14partition_implILS8_4ELb0ES6_15HIP_vector_typeIjLj2EENS0_17counting_iteratorIjlEEPS9_SG_NS0_5tupleIJPjSI_NS0_16reverse_iteratorISI_EEEEENSH_IJSG_SG_SG_EEES9_SI_JZNS1_25segmented_radix_sort_implINS0_14default_configELb1EPKiPiPKlPlN2at6native12_GLOBAL__N_18offset_tEEE10hipError_tPvRmT1_PNSt15iterator_traitsIS12_E10value_typeET2_T3_PNS13_IS18_E10value_typeET4_jRbjT5_S1E_jjP12ihipStream_tbEUljE_ZNSN_ISO_Lb1ESQ_SR_ST_SU_SY_EESZ_S10_S11_S12_S16_S17_S18_S1B_S1C_jS1D_jS1E_S1E_jjS1G_bEUljE0_EEESZ_S10_S11_S18_S1C_S1E_T6_T7_T9_mT8_S1G_bDpT10_ENKUlT_T0_E_clISt17integral_constantIbLb0EES1U_EEDaS1P_S1Q_EUlS1P_E_NS1_11comp_targetILNS1_3genE4ELNS1_11target_archE910ELNS1_3gpuE8ELNS1_3repE0EEENS1_30default_config_static_selectorELNS0_4arch9wavefront6targetE1EEEvS12_,comdat
.Lfunc_end435:
	.size	_ZN7rocprim17ROCPRIM_400000_NS6detail17trampoline_kernelINS0_13select_configILj256ELj13ELNS0_17block_load_methodE3ELS4_3ELS4_3ELNS0_20block_scan_algorithmE0ELj4294967295EEENS1_25partition_config_selectorILNS1_17partition_subalgoE4EjNS0_10empty_typeEbEEZZNS1_14partition_implILS8_4ELb0ES6_15HIP_vector_typeIjLj2EENS0_17counting_iteratorIjlEEPS9_SG_NS0_5tupleIJPjSI_NS0_16reverse_iteratorISI_EEEEENSH_IJSG_SG_SG_EEES9_SI_JZNS1_25segmented_radix_sort_implINS0_14default_configELb1EPKiPiPKlPlN2at6native12_GLOBAL__N_18offset_tEEE10hipError_tPvRmT1_PNSt15iterator_traitsIS12_E10value_typeET2_T3_PNS13_IS18_E10value_typeET4_jRbjT5_S1E_jjP12ihipStream_tbEUljE_ZNSN_ISO_Lb1ESQ_SR_ST_SU_SY_EESZ_S10_S11_S12_S16_S17_S18_S1B_S1C_jS1D_jS1E_S1E_jjS1G_bEUljE0_EEESZ_S10_S11_S18_S1C_S1E_T6_T7_T9_mT8_S1G_bDpT10_ENKUlT_T0_E_clISt17integral_constantIbLb0EES1U_EEDaS1P_S1Q_EUlS1P_E_NS1_11comp_targetILNS1_3genE4ELNS1_11target_archE910ELNS1_3gpuE8ELNS1_3repE0EEENS1_30default_config_static_selectorELNS0_4arch9wavefront6targetE1EEEvS12_, .Lfunc_end435-_ZN7rocprim17ROCPRIM_400000_NS6detail17trampoline_kernelINS0_13select_configILj256ELj13ELNS0_17block_load_methodE3ELS4_3ELS4_3ELNS0_20block_scan_algorithmE0ELj4294967295EEENS1_25partition_config_selectorILNS1_17partition_subalgoE4EjNS0_10empty_typeEbEEZZNS1_14partition_implILS8_4ELb0ES6_15HIP_vector_typeIjLj2EENS0_17counting_iteratorIjlEEPS9_SG_NS0_5tupleIJPjSI_NS0_16reverse_iteratorISI_EEEEENSH_IJSG_SG_SG_EEES9_SI_JZNS1_25segmented_radix_sort_implINS0_14default_configELb1EPKiPiPKlPlN2at6native12_GLOBAL__N_18offset_tEEE10hipError_tPvRmT1_PNSt15iterator_traitsIS12_E10value_typeET2_T3_PNS13_IS18_E10value_typeET4_jRbjT5_S1E_jjP12ihipStream_tbEUljE_ZNSN_ISO_Lb1ESQ_SR_ST_SU_SY_EESZ_S10_S11_S12_S16_S17_S18_S1B_S1C_jS1D_jS1E_S1E_jjS1G_bEUljE0_EEESZ_S10_S11_S18_S1C_S1E_T6_T7_T9_mT8_S1G_bDpT10_ENKUlT_T0_E_clISt17integral_constantIbLb0EES1U_EEDaS1P_S1Q_EUlS1P_E_NS1_11comp_targetILNS1_3genE4ELNS1_11target_archE910ELNS1_3gpuE8ELNS1_3repE0EEENS1_30default_config_static_selectorELNS0_4arch9wavefront6targetE1EEEvS12_
                                        ; -- End function
	.set _ZN7rocprim17ROCPRIM_400000_NS6detail17trampoline_kernelINS0_13select_configILj256ELj13ELNS0_17block_load_methodE3ELS4_3ELS4_3ELNS0_20block_scan_algorithmE0ELj4294967295EEENS1_25partition_config_selectorILNS1_17partition_subalgoE4EjNS0_10empty_typeEbEEZZNS1_14partition_implILS8_4ELb0ES6_15HIP_vector_typeIjLj2EENS0_17counting_iteratorIjlEEPS9_SG_NS0_5tupleIJPjSI_NS0_16reverse_iteratorISI_EEEEENSH_IJSG_SG_SG_EEES9_SI_JZNS1_25segmented_radix_sort_implINS0_14default_configELb1EPKiPiPKlPlN2at6native12_GLOBAL__N_18offset_tEEE10hipError_tPvRmT1_PNSt15iterator_traitsIS12_E10value_typeET2_T3_PNS13_IS18_E10value_typeET4_jRbjT5_S1E_jjP12ihipStream_tbEUljE_ZNSN_ISO_Lb1ESQ_SR_ST_SU_SY_EESZ_S10_S11_S12_S16_S17_S18_S1B_S1C_jS1D_jS1E_S1E_jjS1G_bEUljE0_EEESZ_S10_S11_S18_S1C_S1E_T6_T7_T9_mT8_S1G_bDpT10_ENKUlT_T0_E_clISt17integral_constantIbLb0EES1U_EEDaS1P_S1Q_EUlS1P_E_NS1_11comp_targetILNS1_3genE4ELNS1_11target_archE910ELNS1_3gpuE8ELNS1_3repE0EEENS1_30default_config_static_selectorELNS0_4arch9wavefront6targetE1EEEvS12_.num_vgpr, 0
	.set _ZN7rocprim17ROCPRIM_400000_NS6detail17trampoline_kernelINS0_13select_configILj256ELj13ELNS0_17block_load_methodE3ELS4_3ELS4_3ELNS0_20block_scan_algorithmE0ELj4294967295EEENS1_25partition_config_selectorILNS1_17partition_subalgoE4EjNS0_10empty_typeEbEEZZNS1_14partition_implILS8_4ELb0ES6_15HIP_vector_typeIjLj2EENS0_17counting_iteratorIjlEEPS9_SG_NS0_5tupleIJPjSI_NS0_16reverse_iteratorISI_EEEEENSH_IJSG_SG_SG_EEES9_SI_JZNS1_25segmented_radix_sort_implINS0_14default_configELb1EPKiPiPKlPlN2at6native12_GLOBAL__N_18offset_tEEE10hipError_tPvRmT1_PNSt15iterator_traitsIS12_E10value_typeET2_T3_PNS13_IS18_E10value_typeET4_jRbjT5_S1E_jjP12ihipStream_tbEUljE_ZNSN_ISO_Lb1ESQ_SR_ST_SU_SY_EESZ_S10_S11_S12_S16_S17_S18_S1B_S1C_jS1D_jS1E_S1E_jjS1G_bEUljE0_EEESZ_S10_S11_S18_S1C_S1E_T6_T7_T9_mT8_S1G_bDpT10_ENKUlT_T0_E_clISt17integral_constantIbLb0EES1U_EEDaS1P_S1Q_EUlS1P_E_NS1_11comp_targetILNS1_3genE4ELNS1_11target_archE910ELNS1_3gpuE8ELNS1_3repE0EEENS1_30default_config_static_selectorELNS0_4arch9wavefront6targetE1EEEvS12_.num_agpr, 0
	.set _ZN7rocprim17ROCPRIM_400000_NS6detail17trampoline_kernelINS0_13select_configILj256ELj13ELNS0_17block_load_methodE3ELS4_3ELS4_3ELNS0_20block_scan_algorithmE0ELj4294967295EEENS1_25partition_config_selectorILNS1_17partition_subalgoE4EjNS0_10empty_typeEbEEZZNS1_14partition_implILS8_4ELb0ES6_15HIP_vector_typeIjLj2EENS0_17counting_iteratorIjlEEPS9_SG_NS0_5tupleIJPjSI_NS0_16reverse_iteratorISI_EEEEENSH_IJSG_SG_SG_EEES9_SI_JZNS1_25segmented_radix_sort_implINS0_14default_configELb1EPKiPiPKlPlN2at6native12_GLOBAL__N_18offset_tEEE10hipError_tPvRmT1_PNSt15iterator_traitsIS12_E10value_typeET2_T3_PNS13_IS18_E10value_typeET4_jRbjT5_S1E_jjP12ihipStream_tbEUljE_ZNSN_ISO_Lb1ESQ_SR_ST_SU_SY_EESZ_S10_S11_S12_S16_S17_S18_S1B_S1C_jS1D_jS1E_S1E_jjS1G_bEUljE0_EEESZ_S10_S11_S18_S1C_S1E_T6_T7_T9_mT8_S1G_bDpT10_ENKUlT_T0_E_clISt17integral_constantIbLb0EES1U_EEDaS1P_S1Q_EUlS1P_E_NS1_11comp_targetILNS1_3genE4ELNS1_11target_archE910ELNS1_3gpuE8ELNS1_3repE0EEENS1_30default_config_static_selectorELNS0_4arch9wavefront6targetE1EEEvS12_.numbered_sgpr, 0
	.set _ZN7rocprim17ROCPRIM_400000_NS6detail17trampoline_kernelINS0_13select_configILj256ELj13ELNS0_17block_load_methodE3ELS4_3ELS4_3ELNS0_20block_scan_algorithmE0ELj4294967295EEENS1_25partition_config_selectorILNS1_17partition_subalgoE4EjNS0_10empty_typeEbEEZZNS1_14partition_implILS8_4ELb0ES6_15HIP_vector_typeIjLj2EENS0_17counting_iteratorIjlEEPS9_SG_NS0_5tupleIJPjSI_NS0_16reverse_iteratorISI_EEEEENSH_IJSG_SG_SG_EEES9_SI_JZNS1_25segmented_radix_sort_implINS0_14default_configELb1EPKiPiPKlPlN2at6native12_GLOBAL__N_18offset_tEEE10hipError_tPvRmT1_PNSt15iterator_traitsIS12_E10value_typeET2_T3_PNS13_IS18_E10value_typeET4_jRbjT5_S1E_jjP12ihipStream_tbEUljE_ZNSN_ISO_Lb1ESQ_SR_ST_SU_SY_EESZ_S10_S11_S12_S16_S17_S18_S1B_S1C_jS1D_jS1E_S1E_jjS1G_bEUljE0_EEESZ_S10_S11_S18_S1C_S1E_T6_T7_T9_mT8_S1G_bDpT10_ENKUlT_T0_E_clISt17integral_constantIbLb0EES1U_EEDaS1P_S1Q_EUlS1P_E_NS1_11comp_targetILNS1_3genE4ELNS1_11target_archE910ELNS1_3gpuE8ELNS1_3repE0EEENS1_30default_config_static_selectorELNS0_4arch9wavefront6targetE1EEEvS12_.num_named_barrier, 0
	.set _ZN7rocprim17ROCPRIM_400000_NS6detail17trampoline_kernelINS0_13select_configILj256ELj13ELNS0_17block_load_methodE3ELS4_3ELS4_3ELNS0_20block_scan_algorithmE0ELj4294967295EEENS1_25partition_config_selectorILNS1_17partition_subalgoE4EjNS0_10empty_typeEbEEZZNS1_14partition_implILS8_4ELb0ES6_15HIP_vector_typeIjLj2EENS0_17counting_iteratorIjlEEPS9_SG_NS0_5tupleIJPjSI_NS0_16reverse_iteratorISI_EEEEENSH_IJSG_SG_SG_EEES9_SI_JZNS1_25segmented_radix_sort_implINS0_14default_configELb1EPKiPiPKlPlN2at6native12_GLOBAL__N_18offset_tEEE10hipError_tPvRmT1_PNSt15iterator_traitsIS12_E10value_typeET2_T3_PNS13_IS18_E10value_typeET4_jRbjT5_S1E_jjP12ihipStream_tbEUljE_ZNSN_ISO_Lb1ESQ_SR_ST_SU_SY_EESZ_S10_S11_S12_S16_S17_S18_S1B_S1C_jS1D_jS1E_S1E_jjS1G_bEUljE0_EEESZ_S10_S11_S18_S1C_S1E_T6_T7_T9_mT8_S1G_bDpT10_ENKUlT_T0_E_clISt17integral_constantIbLb0EES1U_EEDaS1P_S1Q_EUlS1P_E_NS1_11comp_targetILNS1_3genE4ELNS1_11target_archE910ELNS1_3gpuE8ELNS1_3repE0EEENS1_30default_config_static_selectorELNS0_4arch9wavefront6targetE1EEEvS12_.private_seg_size, 0
	.set _ZN7rocprim17ROCPRIM_400000_NS6detail17trampoline_kernelINS0_13select_configILj256ELj13ELNS0_17block_load_methodE3ELS4_3ELS4_3ELNS0_20block_scan_algorithmE0ELj4294967295EEENS1_25partition_config_selectorILNS1_17partition_subalgoE4EjNS0_10empty_typeEbEEZZNS1_14partition_implILS8_4ELb0ES6_15HIP_vector_typeIjLj2EENS0_17counting_iteratorIjlEEPS9_SG_NS0_5tupleIJPjSI_NS0_16reverse_iteratorISI_EEEEENSH_IJSG_SG_SG_EEES9_SI_JZNS1_25segmented_radix_sort_implINS0_14default_configELb1EPKiPiPKlPlN2at6native12_GLOBAL__N_18offset_tEEE10hipError_tPvRmT1_PNSt15iterator_traitsIS12_E10value_typeET2_T3_PNS13_IS18_E10value_typeET4_jRbjT5_S1E_jjP12ihipStream_tbEUljE_ZNSN_ISO_Lb1ESQ_SR_ST_SU_SY_EESZ_S10_S11_S12_S16_S17_S18_S1B_S1C_jS1D_jS1E_S1E_jjS1G_bEUljE0_EEESZ_S10_S11_S18_S1C_S1E_T6_T7_T9_mT8_S1G_bDpT10_ENKUlT_T0_E_clISt17integral_constantIbLb0EES1U_EEDaS1P_S1Q_EUlS1P_E_NS1_11comp_targetILNS1_3genE4ELNS1_11target_archE910ELNS1_3gpuE8ELNS1_3repE0EEENS1_30default_config_static_selectorELNS0_4arch9wavefront6targetE1EEEvS12_.uses_vcc, 0
	.set _ZN7rocprim17ROCPRIM_400000_NS6detail17trampoline_kernelINS0_13select_configILj256ELj13ELNS0_17block_load_methodE3ELS4_3ELS4_3ELNS0_20block_scan_algorithmE0ELj4294967295EEENS1_25partition_config_selectorILNS1_17partition_subalgoE4EjNS0_10empty_typeEbEEZZNS1_14partition_implILS8_4ELb0ES6_15HIP_vector_typeIjLj2EENS0_17counting_iteratorIjlEEPS9_SG_NS0_5tupleIJPjSI_NS0_16reverse_iteratorISI_EEEEENSH_IJSG_SG_SG_EEES9_SI_JZNS1_25segmented_radix_sort_implINS0_14default_configELb1EPKiPiPKlPlN2at6native12_GLOBAL__N_18offset_tEEE10hipError_tPvRmT1_PNSt15iterator_traitsIS12_E10value_typeET2_T3_PNS13_IS18_E10value_typeET4_jRbjT5_S1E_jjP12ihipStream_tbEUljE_ZNSN_ISO_Lb1ESQ_SR_ST_SU_SY_EESZ_S10_S11_S12_S16_S17_S18_S1B_S1C_jS1D_jS1E_S1E_jjS1G_bEUljE0_EEESZ_S10_S11_S18_S1C_S1E_T6_T7_T9_mT8_S1G_bDpT10_ENKUlT_T0_E_clISt17integral_constantIbLb0EES1U_EEDaS1P_S1Q_EUlS1P_E_NS1_11comp_targetILNS1_3genE4ELNS1_11target_archE910ELNS1_3gpuE8ELNS1_3repE0EEENS1_30default_config_static_selectorELNS0_4arch9wavefront6targetE1EEEvS12_.uses_flat_scratch, 0
	.set _ZN7rocprim17ROCPRIM_400000_NS6detail17trampoline_kernelINS0_13select_configILj256ELj13ELNS0_17block_load_methodE3ELS4_3ELS4_3ELNS0_20block_scan_algorithmE0ELj4294967295EEENS1_25partition_config_selectorILNS1_17partition_subalgoE4EjNS0_10empty_typeEbEEZZNS1_14partition_implILS8_4ELb0ES6_15HIP_vector_typeIjLj2EENS0_17counting_iteratorIjlEEPS9_SG_NS0_5tupleIJPjSI_NS0_16reverse_iteratorISI_EEEEENSH_IJSG_SG_SG_EEES9_SI_JZNS1_25segmented_radix_sort_implINS0_14default_configELb1EPKiPiPKlPlN2at6native12_GLOBAL__N_18offset_tEEE10hipError_tPvRmT1_PNSt15iterator_traitsIS12_E10value_typeET2_T3_PNS13_IS18_E10value_typeET4_jRbjT5_S1E_jjP12ihipStream_tbEUljE_ZNSN_ISO_Lb1ESQ_SR_ST_SU_SY_EESZ_S10_S11_S12_S16_S17_S18_S1B_S1C_jS1D_jS1E_S1E_jjS1G_bEUljE0_EEESZ_S10_S11_S18_S1C_S1E_T6_T7_T9_mT8_S1G_bDpT10_ENKUlT_T0_E_clISt17integral_constantIbLb0EES1U_EEDaS1P_S1Q_EUlS1P_E_NS1_11comp_targetILNS1_3genE4ELNS1_11target_archE910ELNS1_3gpuE8ELNS1_3repE0EEENS1_30default_config_static_selectorELNS0_4arch9wavefront6targetE1EEEvS12_.has_dyn_sized_stack, 0
	.set _ZN7rocprim17ROCPRIM_400000_NS6detail17trampoline_kernelINS0_13select_configILj256ELj13ELNS0_17block_load_methodE3ELS4_3ELS4_3ELNS0_20block_scan_algorithmE0ELj4294967295EEENS1_25partition_config_selectorILNS1_17partition_subalgoE4EjNS0_10empty_typeEbEEZZNS1_14partition_implILS8_4ELb0ES6_15HIP_vector_typeIjLj2EENS0_17counting_iteratorIjlEEPS9_SG_NS0_5tupleIJPjSI_NS0_16reverse_iteratorISI_EEEEENSH_IJSG_SG_SG_EEES9_SI_JZNS1_25segmented_radix_sort_implINS0_14default_configELb1EPKiPiPKlPlN2at6native12_GLOBAL__N_18offset_tEEE10hipError_tPvRmT1_PNSt15iterator_traitsIS12_E10value_typeET2_T3_PNS13_IS18_E10value_typeET4_jRbjT5_S1E_jjP12ihipStream_tbEUljE_ZNSN_ISO_Lb1ESQ_SR_ST_SU_SY_EESZ_S10_S11_S12_S16_S17_S18_S1B_S1C_jS1D_jS1E_S1E_jjS1G_bEUljE0_EEESZ_S10_S11_S18_S1C_S1E_T6_T7_T9_mT8_S1G_bDpT10_ENKUlT_T0_E_clISt17integral_constantIbLb0EES1U_EEDaS1P_S1Q_EUlS1P_E_NS1_11comp_targetILNS1_3genE4ELNS1_11target_archE910ELNS1_3gpuE8ELNS1_3repE0EEENS1_30default_config_static_selectorELNS0_4arch9wavefront6targetE1EEEvS12_.has_recursion, 0
	.set _ZN7rocprim17ROCPRIM_400000_NS6detail17trampoline_kernelINS0_13select_configILj256ELj13ELNS0_17block_load_methodE3ELS4_3ELS4_3ELNS0_20block_scan_algorithmE0ELj4294967295EEENS1_25partition_config_selectorILNS1_17partition_subalgoE4EjNS0_10empty_typeEbEEZZNS1_14partition_implILS8_4ELb0ES6_15HIP_vector_typeIjLj2EENS0_17counting_iteratorIjlEEPS9_SG_NS0_5tupleIJPjSI_NS0_16reverse_iteratorISI_EEEEENSH_IJSG_SG_SG_EEES9_SI_JZNS1_25segmented_radix_sort_implINS0_14default_configELb1EPKiPiPKlPlN2at6native12_GLOBAL__N_18offset_tEEE10hipError_tPvRmT1_PNSt15iterator_traitsIS12_E10value_typeET2_T3_PNS13_IS18_E10value_typeET4_jRbjT5_S1E_jjP12ihipStream_tbEUljE_ZNSN_ISO_Lb1ESQ_SR_ST_SU_SY_EESZ_S10_S11_S12_S16_S17_S18_S1B_S1C_jS1D_jS1E_S1E_jjS1G_bEUljE0_EEESZ_S10_S11_S18_S1C_S1E_T6_T7_T9_mT8_S1G_bDpT10_ENKUlT_T0_E_clISt17integral_constantIbLb0EES1U_EEDaS1P_S1Q_EUlS1P_E_NS1_11comp_targetILNS1_3genE4ELNS1_11target_archE910ELNS1_3gpuE8ELNS1_3repE0EEENS1_30default_config_static_selectorELNS0_4arch9wavefront6targetE1EEEvS12_.has_indirect_call, 0
	.section	.AMDGPU.csdata,"",@progbits
; Kernel info:
; codeLenInByte = 0
; TotalNumSgprs: 4
; NumVgprs: 0
; ScratchSize: 0
; MemoryBound: 0
; FloatMode: 240
; IeeeMode: 1
; LDSByteSize: 0 bytes/workgroup (compile time only)
; SGPRBlocks: 0
; VGPRBlocks: 0
; NumSGPRsForWavesPerEU: 4
; NumVGPRsForWavesPerEU: 1
; Occupancy: 10
; WaveLimiterHint : 0
; COMPUTE_PGM_RSRC2:SCRATCH_EN: 0
; COMPUTE_PGM_RSRC2:USER_SGPR: 6
; COMPUTE_PGM_RSRC2:TRAP_HANDLER: 0
; COMPUTE_PGM_RSRC2:TGID_X_EN: 1
; COMPUTE_PGM_RSRC2:TGID_Y_EN: 0
; COMPUTE_PGM_RSRC2:TGID_Z_EN: 0
; COMPUTE_PGM_RSRC2:TIDIG_COMP_CNT: 0
	.section	.text._ZN7rocprim17ROCPRIM_400000_NS6detail17trampoline_kernelINS0_13select_configILj256ELj13ELNS0_17block_load_methodE3ELS4_3ELS4_3ELNS0_20block_scan_algorithmE0ELj4294967295EEENS1_25partition_config_selectorILNS1_17partition_subalgoE4EjNS0_10empty_typeEbEEZZNS1_14partition_implILS8_4ELb0ES6_15HIP_vector_typeIjLj2EENS0_17counting_iteratorIjlEEPS9_SG_NS0_5tupleIJPjSI_NS0_16reverse_iteratorISI_EEEEENSH_IJSG_SG_SG_EEES9_SI_JZNS1_25segmented_radix_sort_implINS0_14default_configELb1EPKiPiPKlPlN2at6native12_GLOBAL__N_18offset_tEEE10hipError_tPvRmT1_PNSt15iterator_traitsIS12_E10value_typeET2_T3_PNS13_IS18_E10value_typeET4_jRbjT5_S1E_jjP12ihipStream_tbEUljE_ZNSN_ISO_Lb1ESQ_SR_ST_SU_SY_EESZ_S10_S11_S12_S16_S17_S18_S1B_S1C_jS1D_jS1E_S1E_jjS1G_bEUljE0_EEESZ_S10_S11_S18_S1C_S1E_T6_T7_T9_mT8_S1G_bDpT10_ENKUlT_T0_E_clISt17integral_constantIbLb0EES1U_EEDaS1P_S1Q_EUlS1P_E_NS1_11comp_targetILNS1_3genE3ELNS1_11target_archE908ELNS1_3gpuE7ELNS1_3repE0EEENS1_30default_config_static_selectorELNS0_4arch9wavefront6targetE1EEEvS12_,"axG",@progbits,_ZN7rocprim17ROCPRIM_400000_NS6detail17trampoline_kernelINS0_13select_configILj256ELj13ELNS0_17block_load_methodE3ELS4_3ELS4_3ELNS0_20block_scan_algorithmE0ELj4294967295EEENS1_25partition_config_selectorILNS1_17partition_subalgoE4EjNS0_10empty_typeEbEEZZNS1_14partition_implILS8_4ELb0ES6_15HIP_vector_typeIjLj2EENS0_17counting_iteratorIjlEEPS9_SG_NS0_5tupleIJPjSI_NS0_16reverse_iteratorISI_EEEEENSH_IJSG_SG_SG_EEES9_SI_JZNS1_25segmented_radix_sort_implINS0_14default_configELb1EPKiPiPKlPlN2at6native12_GLOBAL__N_18offset_tEEE10hipError_tPvRmT1_PNSt15iterator_traitsIS12_E10value_typeET2_T3_PNS13_IS18_E10value_typeET4_jRbjT5_S1E_jjP12ihipStream_tbEUljE_ZNSN_ISO_Lb1ESQ_SR_ST_SU_SY_EESZ_S10_S11_S12_S16_S17_S18_S1B_S1C_jS1D_jS1E_S1E_jjS1G_bEUljE0_EEESZ_S10_S11_S18_S1C_S1E_T6_T7_T9_mT8_S1G_bDpT10_ENKUlT_T0_E_clISt17integral_constantIbLb0EES1U_EEDaS1P_S1Q_EUlS1P_E_NS1_11comp_targetILNS1_3genE3ELNS1_11target_archE908ELNS1_3gpuE7ELNS1_3repE0EEENS1_30default_config_static_selectorELNS0_4arch9wavefront6targetE1EEEvS12_,comdat
	.globl	_ZN7rocprim17ROCPRIM_400000_NS6detail17trampoline_kernelINS0_13select_configILj256ELj13ELNS0_17block_load_methodE3ELS4_3ELS4_3ELNS0_20block_scan_algorithmE0ELj4294967295EEENS1_25partition_config_selectorILNS1_17partition_subalgoE4EjNS0_10empty_typeEbEEZZNS1_14partition_implILS8_4ELb0ES6_15HIP_vector_typeIjLj2EENS0_17counting_iteratorIjlEEPS9_SG_NS0_5tupleIJPjSI_NS0_16reverse_iteratorISI_EEEEENSH_IJSG_SG_SG_EEES9_SI_JZNS1_25segmented_radix_sort_implINS0_14default_configELb1EPKiPiPKlPlN2at6native12_GLOBAL__N_18offset_tEEE10hipError_tPvRmT1_PNSt15iterator_traitsIS12_E10value_typeET2_T3_PNS13_IS18_E10value_typeET4_jRbjT5_S1E_jjP12ihipStream_tbEUljE_ZNSN_ISO_Lb1ESQ_SR_ST_SU_SY_EESZ_S10_S11_S12_S16_S17_S18_S1B_S1C_jS1D_jS1E_S1E_jjS1G_bEUljE0_EEESZ_S10_S11_S18_S1C_S1E_T6_T7_T9_mT8_S1G_bDpT10_ENKUlT_T0_E_clISt17integral_constantIbLb0EES1U_EEDaS1P_S1Q_EUlS1P_E_NS1_11comp_targetILNS1_3genE3ELNS1_11target_archE908ELNS1_3gpuE7ELNS1_3repE0EEENS1_30default_config_static_selectorELNS0_4arch9wavefront6targetE1EEEvS12_ ; -- Begin function _ZN7rocprim17ROCPRIM_400000_NS6detail17trampoline_kernelINS0_13select_configILj256ELj13ELNS0_17block_load_methodE3ELS4_3ELS4_3ELNS0_20block_scan_algorithmE0ELj4294967295EEENS1_25partition_config_selectorILNS1_17partition_subalgoE4EjNS0_10empty_typeEbEEZZNS1_14partition_implILS8_4ELb0ES6_15HIP_vector_typeIjLj2EENS0_17counting_iteratorIjlEEPS9_SG_NS0_5tupleIJPjSI_NS0_16reverse_iteratorISI_EEEEENSH_IJSG_SG_SG_EEES9_SI_JZNS1_25segmented_radix_sort_implINS0_14default_configELb1EPKiPiPKlPlN2at6native12_GLOBAL__N_18offset_tEEE10hipError_tPvRmT1_PNSt15iterator_traitsIS12_E10value_typeET2_T3_PNS13_IS18_E10value_typeET4_jRbjT5_S1E_jjP12ihipStream_tbEUljE_ZNSN_ISO_Lb1ESQ_SR_ST_SU_SY_EESZ_S10_S11_S12_S16_S17_S18_S1B_S1C_jS1D_jS1E_S1E_jjS1G_bEUljE0_EEESZ_S10_S11_S18_S1C_S1E_T6_T7_T9_mT8_S1G_bDpT10_ENKUlT_T0_E_clISt17integral_constantIbLb0EES1U_EEDaS1P_S1Q_EUlS1P_E_NS1_11comp_targetILNS1_3genE3ELNS1_11target_archE908ELNS1_3gpuE7ELNS1_3repE0EEENS1_30default_config_static_selectorELNS0_4arch9wavefront6targetE1EEEvS12_
	.p2align	8
	.type	_ZN7rocprim17ROCPRIM_400000_NS6detail17trampoline_kernelINS0_13select_configILj256ELj13ELNS0_17block_load_methodE3ELS4_3ELS4_3ELNS0_20block_scan_algorithmE0ELj4294967295EEENS1_25partition_config_selectorILNS1_17partition_subalgoE4EjNS0_10empty_typeEbEEZZNS1_14partition_implILS8_4ELb0ES6_15HIP_vector_typeIjLj2EENS0_17counting_iteratorIjlEEPS9_SG_NS0_5tupleIJPjSI_NS0_16reverse_iteratorISI_EEEEENSH_IJSG_SG_SG_EEES9_SI_JZNS1_25segmented_radix_sort_implINS0_14default_configELb1EPKiPiPKlPlN2at6native12_GLOBAL__N_18offset_tEEE10hipError_tPvRmT1_PNSt15iterator_traitsIS12_E10value_typeET2_T3_PNS13_IS18_E10value_typeET4_jRbjT5_S1E_jjP12ihipStream_tbEUljE_ZNSN_ISO_Lb1ESQ_SR_ST_SU_SY_EESZ_S10_S11_S12_S16_S17_S18_S1B_S1C_jS1D_jS1E_S1E_jjS1G_bEUljE0_EEESZ_S10_S11_S18_S1C_S1E_T6_T7_T9_mT8_S1G_bDpT10_ENKUlT_T0_E_clISt17integral_constantIbLb0EES1U_EEDaS1P_S1Q_EUlS1P_E_NS1_11comp_targetILNS1_3genE3ELNS1_11target_archE908ELNS1_3gpuE7ELNS1_3repE0EEENS1_30default_config_static_selectorELNS0_4arch9wavefront6targetE1EEEvS12_,@function
_ZN7rocprim17ROCPRIM_400000_NS6detail17trampoline_kernelINS0_13select_configILj256ELj13ELNS0_17block_load_methodE3ELS4_3ELS4_3ELNS0_20block_scan_algorithmE0ELj4294967295EEENS1_25partition_config_selectorILNS1_17partition_subalgoE4EjNS0_10empty_typeEbEEZZNS1_14partition_implILS8_4ELb0ES6_15HIP_vector_typeIjLj2EENS0_17counting_iteratorIjlEEPS9_SG_NS0_5tupleIJPjSI_NS0_16reverse_iteratorISI_EEEEENSH_IJSG_SG_SG_EEES9_SI_JZNS1_25segmented_radix_sort_implINS0_14default_configELb1EPKiPiPKlPlN2at6native12_GLOBAL__N_18offset_tEEE10hipError_tPvRmT1_PNSt15iterator_traitsIS12_E10value_typeET2_T3_PNS13_IS18_E10value_typeET4_jRbjT5_S1E_jjP12ihipStream_tbEUljE_ZNSN_ISO_Lb1ESQ_SR_ST_SU_SY_EESZ_S10_S11_S12_S16_S17_S18_S1B_S1C_jS1D_jS1E_S1E_jjS1G_bEUljE0_EEESZ_S10_S11_S18_S1C_S1E_T6_T7_T9_mT8_S1G_bDpT10_ENKUlT_T0_E_clISt17integral_constantIbLb0EES1U_EEDaS1P_S1Q_EUlS1P_E_NS1_11comp_targetILNS1_3genE3ELNS1_11target_archE908ELNS1_3gpuE7ELNS1_3repE0EEENS1_30default_config_static_selectorELNS0_4arch9wavefront6targetE1EEEvS12_: ; @_ZN7rocprim17ROCPRIM_400000_NS6detail17trampoline_kernelINS0_13select_configILj256ELj13ELNS0_17block_load_methodE3ELS4_3ELS4_3ELNS0_20block_scan_algorithmE0ELj4294967295EEENS1_25partition_config_selectorILNS1_17partition_subalgoE4EjNS0_10empty_typeEbEEZZNS1_14partition_implILS8_4ELb0ES6_15HIP_vector_typeIjLj2EENS0_17counting_iteratorIjlEEPS9_SG_NS0_5tupleIJPjSI_NS0_16reverse_iteratorISI_EEEEENSH_IJSG_SG_SG_EEES9_SI_JZNS1_25segmented_radix_sort_implINS0_14default_configELb1EPKiPiPKlPlN2at6native12_GLOBAL__N_18offset_tEEE10hipError_tPvRmT1_PNSt15iterator_traitsIS12_E10value_typeET2_T3_PNS13_IS18_E10value_typeET4_jRbjT5_S1E_jjP12ihipStream_tbEUljE_ZNSN_ISO_Lb1ESQ_SR_ST_SU_SY_EESZ_S10_S11_S12_S16_S17_S18_S1B_S1C_jS1D_jS1E_S1E_jjS1G_bEUljE0_EEESZ_S10_S11_S18_S1C_S1E_T6_T7_T9_mT8_S1G_bDpT10_ENKUlT_T0_E_clISt17integral_constantIbLb0EES1U_EEDaS1P_S1Q_EUlS1P_E_NS1_11comp_targetILNS1_3genE3ELNS1_11target_archE908ELNS1_3gpuE7ELNS1_3repE0EEENS1_30default_config_static_selectorELNS0_4arch9wavefront6targetE1EEEvS12_
; %bb.0:
	.section	.rodata,"a",@progbits
	.p2align	6, 0x0
	.amdhsa_kernel _ZN7rocprim17ROCPRIM_400000_NS6detail17trampoline_kernelINS0_13select_configILj256ELj13ELNS0_17block_load_methodE3ELS4_3ELS4_3ELNS0_20block_scan_algorithmE0ELj4294967295EEENS1_25partition_config_selectorILNS1_17partition_subalgoE4EjNS0_10empty_typeEbEEZZNS1_14partition_implILS8_4ELb0ES6_15HIP_vector_typeIjLj2EENS0_17counting_iteratorIjlEEPS9_SG_NS0_5tupleIJPjSI_NS0_16reverse_iteratorISI_EEEEENSH_IJSG_SG_SG_EEES9_SI_JZNS1_25segmented_radix_sort_implINS0_14default_configELb1EPKiPiPKlPlN2at6native12_GLOBAL__N_18offset_tEEE10hipError_tPvRmT1_PNSt15iterator_traitsIS12_E10value_typeET2_T3_PNS13_IS18_E10value_typeET4_jRbjT5_S1E_jjP12ihipStream_tbEUljE_ZNSN_ISO_Lb1ESQ_SR_ST_SU_SY_EESZ_S10_S11_S12_S16_S17_S18_S1B_S1C_jS1D_jS1E_S1E_jjS1G_bEUljE0_EEESZ_S10_S11_S18_S1C_S1E_T6_T7_T9_mT8_S1G_bDpT10_ENKUlT_T0_E_clISt17integral_constantIbLb0EES1U_EEDaS1P_S1Q_EUlS1P_E_NS1_11comp_targetILNS1_3genE3ELNS1_11target_archE908ELNS1_3gpuE7ELNS1_3repE0EEENS1_30default_config_static_selectorELNS0_4arch9wavefront6targetE1EEEvS12_
		.amdhsa_group_segment_fixed_size 0
		.amdhsa_private_segment_fixed_size 0
		.amdhsa_kernarg_size 176
		.amdhsa_user_sgpr_count 6
		.amdhsa_user_sgpr_private_segment_buffer 1
		.amdhsa_user_sgpr_dispatch_ptr 0
		.amdhsa_user_sgpr_queue_ptr 0
		.amdhsa_user_sgpr_kernarg_segment_ptr 1
		.amdhsa_user_sgpr_dispatch_id 0
		.amdhsa_user_sgpr_flat_scratch_init 0
		.amdhsa_user_sgpr_private_segment_size 0
		.amdhsa_uses_dynamic_stack 0
		.amdhsa_system_sgpr_private_segment_wavefront_offset 0
		.amdhsa_system_sgpr_workgroup_id_x 1
		.amdhsa_system_sgpr_workgroup_id_y 0
		.amdhsa_system_sgpr_workgroup_id_z 0
		.amdhsa_system_sgpr_workgroup_info 0
		.amdhsa_system_vgpr_workitem_id 0
		.amdhsa_next_free_vgpr 1
		.amdhsa_next_free_sgpr 0
		.amdhsa_reserve_vcc 0
		.amdhsa_reserve_flat_scratch 0
		.amdhsa_float_round_mode_32 0
		.amdhsa_float_round_mode_16_64 0
		.amdhsa_float_denorm_mode_32 3
		.amdhsa_float_denorm_mode_16_64 3
		.amdhsa_dx10_clamp 1
		.amdhsa_ieee_mode 1
		.amdhsa_fp16_overflow 0
		.amdhsa_exception_fp_ieee_invalid_op 0
		.amdhsa_exception_fp_denorm_src 0
		.amdhsa_exception_fp_ieee_div_zero 0
		.amdhsa_exception_fp_ieee_overflow 0
		.amdhsa_exception_fp_ieee_underflow 0
		.amdhsa_exception_fp_ieee_inexact 0
		.amdhsa_exception_int_div_zero 0
	.end_amdhsa_kernel
	.section	.text._ZN7rocprim17ROCPRIM_400000_NS6detail17trampoline_kernelINS0_13select_configILj256ELj13ELNS0_17block_load_methodE3ELS4_3ELS4_3ELNS0_20block_scan_algorithmE0ELj4294967295EEENS1_25partition_config_selectorILNS1_17partition_subalgoE4EjNS0_10empty_typeEbEEZZNS1_14partition_implILS8_4ELb0ES6_15HIP_vector_typeIjLj2EENS0_17counting_iteratorIjlEEPS9_SG_NS0_5tupleIJPjSI_NS0_16reverse_iteratorISI_EEEEENSH_IJSG_SG_SG_EEES9_SI_JZNS1_25segmented_radix_sort_implINS0_14default_configELb1EPKiPiPKlPlN2at6native12_GLOBAL__N_18offset_tEEE10hipError_tPvRmT1_PNSt15iterator_traitsIS12_E10value_typeET2_T3_PNS13_IS18_E10value_typeET4_jRbjT5_S1E_jjP12ihipStream_tbEUljE_ZNSN_ISO_Lb1ESQ_SR_ST_SU_SY_EESZ_S10_S11_S12_S16_S17_S18_S1B_S1C_jS1D_jS1E_S1E_jjS1G_bEUljE0_EEESZ_S10_S11_S18_S1C_S1E_T6_T7_T9_mT8_S1G_bDpT10_ENKUlT_T0_E_clISt17integral_constantIbLb0EES1U_EEDaS1P_S1Q_EUlS1P_E_NS1_11comp_targetILNS1_3genE3ELNS1_11target_archE908ELNS1_3gpuE7ELNS1_3repE0EEENS1_30default_config_static_selectorELNS0_4arch9wavefront6targetE1EEEvS12_,"axG",@progbits,_ZN7rocprim17ROCPRIM_400000_NS6detail17trampoline_kernelINS0_13select_configILj256ELj13ELNS0_17block_load_methodE3ELS4_3ELS4_3ELNS0_20block_scan_algorithmE0ELj4294967295EEENS1_25partition_config_selectorILNS1_17partition_subalgoE4EjNS0_10empty_typeEbEEZZNS1_14partition_implILS8_4ELb0ES6_15HIP_vector_typeIjLj2EENS0_17counting_iteratorIjlEEPS9_SG_NS0_5tupleIJPjSI_NS0_16reverse_iteratorISI_EEEEENSH_IJSG_SG_SG_EEES9_SI_JZNS1_25segmented_radix_sort_implINS0_14default_configELb1EPKiPiPKlPlN2at6native12_GLOBAL__N_18offset_tEEE10hipError_tPvRmT1_PNSt15iterator_traitsIS12_E10value_typeET2_T3_PNS13_IS18_E10value_typeET4_jRbjT5_S1E_jjP12ihipStream_tbEUljE_ZNSN_ISO_Lb1ESQ_SR_ST_SU_SY_EESZ_S10_S11_S12_S16_S17_S18_S1B_S1C_jS1D_jS1E_S1E_jjS1G_bEUljE0_EEESZ_S10_S11_S18_S1C_S1E_T6_T7_T9_mT8_S1G_bDpT10_ENKUlT_T0_E_clISt17integral_constantIbLb0EES1U_EEDaS1P_S1Q_EUlS1P_E_NS1_11comp_targetILNS1_3genE3ELNS1_11target_archE908ELNS1_3gpuE7ELNS1_3repE0EEENS1_30default_config_static_selectorELNS0_4arch9wavefront6targetE1EEEvS12_,comdat
.Lfunc_end436:
	.size	_ZN7rocprim17ROCPRIM_400000_NS6detail17trampoline_kernelINS0_13select_configILj256ELj13ELNS0_17block_load_methodE3ELS4_3ELS4_3ELNS0_20block_scan_algorithmE0ELj4294967295EEENS1_25partition_config_selectorILNS1_17partition_subalgoE4EjNS0_10empty_typeEbEEZZNS1_14partition_implILS8_4ELb0ES6_15HIP_vector_typeIjLj2EENS0_17counting_iteratorIjlEEPS9_SG_NS0_5tupleIJPjSI_NS0_16reverse_iteratorISI_EEEEENSH_IJSG_SG_SG_EEES9_SI_JZNS1_25segmented_radix_sort_implINS0_14default_configELb1EPKiPiPKlPlN2at6native12_GLOBAL__N_18offset_tEEE10hipError_tPvRmT1_PNSt15iterator_traitsIS12_E10value_typeET2_T3_PNS13_IS18_E10value_typeET4_jRbjT5_S1E_jjP12ihipStream_tbEUljE_ZNSN_ISO_Lb1ESQ_SR_ST_SU_SY_EESZ_S10_S11_S12_S16_S17_S18_S1B_S1C_jS1D_jS1E_S1E_jjS1G_bEUljE0_EEESZ_S10_S11_S18_S1C_S1E_T6_T7_T9_mT8_S1G_bDpT10_ENKUlT_T0_E_clISt17integral_constantIbLb0EES1U_EEDaS1P_S1Q_EUlS1P_E_NS1_11comp_targetILNS1_3genE3ELNS1_11target_archE908ELNS1_3gpuE7ELNS1_3repE0EEENS1_30default_config_static_selectorELNS0_4arch9wavefront6targetE1EEEvS12_, .Lfunc_end436-_ZN7rocprim17ROCPRIM_400000_NS6detail17trampoline_kernelINS0_13select_configILj256ELj13ELNS0_17block_load_methodE3ELS4_3ELS4_3ELNS0_20block_scan_algorithmE0ELj4294967295EEENS1_25partition_config_selectorILNS1_17partition_subalgoE4EjNS0_10empty_typeEbEEZZNS1_14partition_implILS8_4ELb0ES6_15HIP_vector_typeIjLj2EENS0_17counting_iteratorIjlEEPS9_SG_NS0_5tupleIJPjSI_NS0_16reverse_iteratorISI_EEEEENSH_IJSG_SG_SG_EEES9_SI_JZNS1_25segmented_radix_sort_implINS0_14default_configELb1EPKiPiPKlPlN2at6native12_GLOBAL__N_18offset_tEEE10hipError_tPvRmT1_PNSt15iterator_traitsIS12_E10value_typeET2_T3_PNS13_IS18_E10value_typeET4_jRbjT5_S1E_jjP12ihipStream_tbEUljE_ZNSN_ISO_Lb1ESQ_SR_ST_SU_SY_EESZ_S10_S11_S12_S16_S17_S18_S1B_S1C_jS1D_jS1E_S1E_jjS1G_bEUljE0_EEESZ_S10_S11_S18_S1C_S1E_T6_T7_T9_mT8_S1G_bDpT10_ENKUlT_T0_E_clISt17integral_constantIbLb0EES1U_EEDaS1P_S1Q_EUlS1P_E_NS1_11comp_targetILNS1_3genE3ELNS1_11target_archE908ELNS1_3gpuE7ELNS1_3repE0EEENS1_30default_config_static_selectorELNS0_4arch9wavefront6targetE1EEEvS12_
                                        ; -- End function
	.set _ZN7rocprim17ROCPRIM_400000_NS6detail17trampoline_kernelINS0_13select_configILj256ELj13ELNS0_17block_load_methodE3ELS4_3ELS4_3ELNS0_20block_scan_algorithmE0ELj4294967295EEENS1_25partition_config_selectorILNS1_17partition_subalgoE4EjNS0_10empty_typeEbEEZZNS1_14partition_implILS8_4ELb0ES6_15HIP_vector_typeIjLj2EENS0_17counting_iteratorIjlEEPS9_SG_NS0_5tupleIJPjSI_NS0_16reverse_iteratorISI_EEEEENSH_IJSG_SG_SG_EEES9_SI_JZNS1_25segmented_radix_sort_implINS0_14default_configELb1EPKiPiPKlPlN2at6native12_GLOBAL__N_18offset_tEEE10hipError_tPvRmT1_PNSt15iterator_traitsIS12_E10value_typeET2_T3_PNS13_IS18_E10value_typeET4_jRbjT5_S1E_jjP12ihipStream_tbEUljE_ZNSN_ISO_Lb1ESQ_SR_ST_SU_SY_EESZ_S10_S11_S12_S16_S17_S18_S1B_S1C_jS1D_jS1E_S1E_jjS1G_bEUljE0_EEESZ_S10_S11_S18_S1C_S1E_T6_T7_T9_mT8_S1G_bDpT10_ENKUlT_T0_E_clISt17integral_constantIbLb0EES1U_EEDaS1P_S1Q_EUlS1P_E_NS1_11comp_targetILNS1_3genE3ELNS1_11target_archE908ELNS1_3gpuE7ELNS1_3repE0EEENS1_30default_config_static_selectorELNS0_4arch9wavefront6targetE1EEEvS12_.num_vgpr, 0
	.set _ZN7rocprim17ROCPRIM_400000_NS6detail17trampoline_kernelINS0_13select_configILj256ELj13ELNS0_17block_load_methodE3ELS4_3ELS4_3ELNS0_20block_scan_algorithmE0ELj4294967295EEENS1_25partition_config_selectorILNS1_17partition_subalgoE4EjNS0_10empty_typeEbEEZZNS1_14partition_implILS8_4ELb0ES6_15HIP_vector_typeIjLj2EENS0_17counting_iteratorIjlEEPS9_SG_NS0_5tupleIJPjSI_NS0_16reverse_iteratorISI_EEEEENSH_IJSG_SG_SG_EEES9_SI_JZNS1_25segmented_radix_sort_implINS0_14default_configELb1EPKiPiPKlPlN2at6native12_GLOBAL__N_18offset_tEEE10hipError_tPvRmT1_PNSt15iterator_traitsIS12_E10value_typeET2_T3_PNS13_IS18_E10value_typeET4_jRbjT5_S1E_jjP12ihipStream_tbEUljE_ZNSN_ISO_Lb1ESQ_SR_ST_SU_SY_EESZ_S10_S11_S12_S16_S17_S18_S1B_S1C_jS1D_jS1E_S1E_jjS1G_bEUljE0_EEESZ_S10_S11_S18_S1C_S1E_T6_T7_T9_mT8_S1G_bDpT10_ENKUlT_T0_E_clISt17integral_constantIbLb0EES1U_EEDaS1P_S1Q_EUlS1P_E_NS1_11comp_targetILNS1_3genE3ELNS1_11target_archE908ELNS1_3gpuE7ELNS1_3repE0EEENS1_30default_config_static_selectorELNS0_4arch9wavefront6targetE1EEEvS12_.num_agpr, 0
	.set _ZN7rocprim17ROCPRIM_400000_NS6detail17trampoline_kernelINS0_13select_configILj256ELj13ELNS0_17block_load_methodE3ELS4_3ELS4_3ELNS0_20block_scan_algorithmE0ELj4294967295EEENS1_25partition_config_selectorILNS1_17partition_subalgoE4EjNS0_10empty_typeEbEEZZNS1_14partition_implILS8_4ELb0ES6_15HIP_vector_typeIjLj2EENS0_17counting_iteratorIjlEEPS9_SG_NS0_5tupleIJPjSI_NS0_16reverse_iteratorISI_EEEEENSH_IJSG_SG_SG_EEES9_SI_JZNS1_25segmented_radix_sort_implINS0_14default_configELb1EPKiPiPKlPlN2at6native12_GLOBAL__N_18offset_tEEE10hipError_tPvRmT1_PNSt15iterator_traitsIS12_E10value_typeET2_T3_PNS13_IS18_E10value_typeET4_jRbjT5_S1E_jjP12ihipStream_tbEUljE_ZNSN_ISO_Lb1ESQ_SR_ST_SU_SY_EESZ_S10_S11_S12_S16_S17_S18_S1B_S1C_jS1D_jS1E_S1E_jjS1G_bEUljE0_EEESZ_S10_S11_S18_S1C_S1E_T6_T7_T9_mT8_S1G_bDpT10_ENKUlT_T0_E_clISt17integral_constantIbLb0EES1U_EEDaS1P_S1Q_EUlS1P_E_NS1_11comp_targetILNS1_3genE3ELNS1_11target_archE908ELNS1_3gpuE7ELNS1_3repE0EEENS1_30default_config_static_selectorELNS0_4arch9wavefront6targetE1EEEvS12_.numbered_sgpr, 0
	.set _ZN7rocprim17ROCPRIM_400000_NS6detail17trampoline_kernelINS0_13select_configILj256ELj13ELNS0_17block_load_methodE3ELS4_3ELS4_3ELNS0_20block_scan_algorithmE0ELj4294967295EEENS1_25partition_config_selectorILNS1_17partition_subalgoE4EjNS0_10empty_typeEbEEZZNS1_14partition_implILS8_4ELb0ES6_15HIP_vector_typeIjLj2EENS0_17counting_iteratorIjlEEPS9_SG_NS0_5tupleIJPjSI_NS0_16reverse_iteratorISI_EEEEENSH_IJSG_SG_SG_EEES9_SI_JZNS1_25segmented_radix_sort_implINS0_14default_configELb1EPKiPiPKlPlN2at6native12_GLOBAL__N_18offset_tEEE10hipError_tPvRmT1_PNSt15iterator_traitsIS12_E10value_typeET2_T3_PNS13_IS18_E10value_typeET4_jRbjT5_S1E_jjP12ihipStream_tbEUljE_ZNSN_ISO_Lb1ESQ_SR_ST_SU_SY_EESZ_S10_S11_S12_S16_S17_S18_S1B_S1C_jS1D_jS1E_S1E_jjS1G_bEUljE0_EEESZ_S10_S11_S18_S1C_S1E_T6_T7_T9_mT8_S1G_bDpT10_ENKUlT_T0_E_clISt17integral_constantIbLb0EES1U_EEDaS1P_S1Q_EUlS1P_E_NS1_11comp_targetILNS1_3genE3ELNS1_11target_archE908ELNS1_3gpuE7ELNS1_3repE0EEENS1_30default_config_static_selectorELNS0_4arch9wavefront6targetE1EEEvS12_.num_named_barrier, 0
	.set _ZN7rocprim17ROCPRIM_400000_NS6detail17trampoline_kernelINS0_13select_configILj256ELj13ELNS0_17block_load_methodE3ELS4_3ELS4_3ELNS0_20block_scan_algorithmE0ELj4294967295EEENS1_25partition_config_selectorILNS1_17partition_subalgoE4EjNS0_10empty_typeEbEEZZNS1_14partition_implILS8_4ELb0ES6_15HIP_vector_typeIjLj2EENS0_17counting_iteratorIjlEEPS9_SG_NS0_5tupleIJPjSI_NS0_16reverse_iteratorISI_EEEEENSH_IJSG_SG_SG_EEES9_SI_JZNS1_25segmented_radix_sort_implINS0_14default_configELb1EPKiPiPKlPlN2at6native12_GLOBAL__N_18offset_tEEE10hipError_tPvRmT1_PNSt15iterator_traitsIS12_E10value_typeET2_T3_PNS13_IS18_E10value_typeET4_jRbjT5_S1E_jjP12ihipStream_tbEUljE_ZNSN_ISO_Lb1ESQ_SR_ST_SU_SY_EESZ_S10_S11_S12_S16_S17_S18_S1B_S1C_jS1D_jS1E_S1E_jjS1G_bEUljE0_EEESZ_S10_S11_S18_S1C_S1E_T6_T7_T9_mT8_S1G_bDpT10_ENKUlT_T0_E_clISt17integral_constantIbLb0EES1U_EEDaS1P_S1Q_EUlS1P_E_NS1_11comp_targetILNS1_3genE3ELNS1_11target_archE908ELNS1_3gpuE7ELNS1_3repE0EEENS1_30default_config_static_selectorELNS0_4arch9wavefront6targetE1EEEvS12_.private_seg_size, 0
	.set _ZN7rocprim17ROCPRIM_400000_NS6detail17trampoline_kernelINS0_13select_configILj256ELj13ELNS0_17block_load_methodE3ELS4_3ELS4_3ELNS0_20block_scan_algorithmE0ELj4294967295EEENS1_25partition_config_selectorILNS1_17partition_subalgoE4EjNS0_10empty_typeEbEEZZNS1_14partition_implILS8_4ELb0ES6_15HIP_vector_typeIjLj2EENS0_17counting_iteratorIjlEEPS9_SG_NS0_5tupleIJPjSI_NS0_16reverse_iteratorISI_EEEEENSH_IJSG_SG_SG_EEES9_SI_JZNS1_25segmented_radix_sort_implINS0_14default_configELb1EPKiPiPKlPlN2at6native12_GLOBAL__N_18offset_tEEE10hipError_tPvRmT1_PNSt15iterator_traitsIS12_E10value_typeET2_T3_PNS13_IS18_E10value_typeET4_jRbjT5_S1E_jjP12ihipStream_tbEUljE_ZNSN_ISO_Lb1ESQ_SR_ST_SU_SY_EESZ_S10_S11_S12_S16_S17_S18_S1B_S1C_jS1D_jS1E_S1E_jjS1G_bEUljE0_EEESZ_S10_S11_S18_S1C_S1E_T6_T7_T9_mT8_S1G_bDpT10_ENKUlT_T0_E_clISt17integral_constantIbLb0EES1U_EEDaS1P_S1Q_EUlS1P_E_NS1_11comp_targetILNS1_3genE3ELNS1_11target_archE908ELNS1_3gpuE7ELNS1_3repE0EEENS1_30default_config_static_selectorELNS0_4arch9wavefront6targetE1EEEvS12_.uses_vcc, 0
	.set _ZN7rocprim17ROCPRIM_400000_NS6detail17trampoline_kernelINS0_13select_configILj256ELj13ELNS0_17block_load_methodE3ELS4_3ELS4_3ELNS0_20block_scan_algorithmE0ELj4294967295EEENS1_25partition_config_selectorILNS1_17partition_subalgoE4EjNS0_10empty_typeEbEEZZNS1_14partition_implILS8_4ELb0ES6_15HIP_vector_typeIjLj2EENS0_17counting_iteratorIjlEEPS9_SG_NS0_5tupleIJPjSI_NS0_16reverse_iteratorISI_EEEEENSH_IJSG_SG_SG_EEES9_SI_JZNS1_25segmented_radix_sort_implINS0_14default_configELb1EPKiPiPKlPlN2at6native12_GLOBAL__N_18offset_tEEE10hipError_tPvRmT1_PNSt15iterator_traitsIS12_E10value_typeET2_T3_PNS13_IS18_E10value_typeET4_jRbjT5_S1E_jjP12ihipStream_tbEUljE_ZNSN_ISO_Lb1ESQ_SR_ST_SU_SY_EESZ_S10_S11_S12_S16_S17_S18_S1B_S1C_jS1D_jS1E_S1E_jjS1G_bEUljE0_EEESZ_S10_S11_S18_S1C_S1E_T6_T7_T9_mT8_S1G_bDpT10_ENKUlT_T0_E_clISt17integral_constantIbLb0EES1U_EEDaS1P_S1Q_EUlS1P_E_NS1_11comp_targetILNS1_3genE3ELNS1_11target_archE908ELNS1_3gpuE7ELNS1_3repE0EEENS1_30default_config_static_selectorELNS0_4arch9wavefront6targetE1EEEvS12_.uses_flat_scratch, 0
	.set _ZN7rocprim17ROCPRIM_400000_NS6detail17trampoline_kernelINS0_13select_configILj256ELj13ELNS0_17block_load_methodE3ELS4_3ELS4_3ELNS0_20block_scan_algorithmE0ELj4294967295EEENS1_25partition_config_selectorILNS1_17partition_subalgoE4EjNS0_10empty_typeEbEEZZNS1_14partition_implILS8_4ELb0ES6_15HIP_vector_typeIjLj2EENS0_17counting_iteratorIjlEEPS9_SG_NS0_5tupleIJPjSI_NS0_16reverse_iteratorISI_EEEEENSH_IJSG_SG_SG_EEES9_SI_JZNS1_25segmented_radix_sort_implINS0_14default_configELb1EPKiPiPKlPlN2at6native12_GLOBAL__N_18offset_tEEE10hipError_tPvRmT1_PNSt15iterator_traitsIS12_E10value_typeET2_T3_PNS13_IS18_E10value_typeET4_jRbjT5_S1E_jjP12ihipStream_tbEUljE_ZNSN_ISO_Lb1ESQ_SR_ST_SU_SY_EESZ_S10_S11_S12_S16_S17_S18_S1B_S1C_jS1D_jS1E_S1E_jjS1G_bEUljE0_EEESZ_S10_S11_S18_S1C_S1E_T6_T7_T9_mT8_S1G_bDpT10_ENKUlT_T0_E_clISt17integral_constantIbLb0EES1U_EEDaS1P_S1Q_EUlS1P_E_NS1_11comp_targetILNS1_3genE3ELNS1_11target_archE908ELNS1_3gpuE7ELNS1_3repE0EEENS1_30default_config_static_selectorELNS0_4arch9wavefront6targetE1EEEvS12_.has_dyn_sized_stack, 0
	.set _ZN7rocprim17ROCPRIM_400000_NS6detail17trampoline_kernelINS0_13select_configILj256ELj13ELNS0_17block_load_methodE3ELS4_3ELS4_3ELNS0_20block_scan_algorithmE0ELj4294967295EEENS1_25partition_config_selectorILNS1_17partition_subalgoE4EjNS0_10empty_typeEbEEZZNS1_14partition_implILS8_4ELb0ES6_15HIP_vector_typeIjLj2EENS0_17counting_iteratorIjlEEPS9_SG_NS0_5tupleIJPjSI_NS0_16reverse_iteratorISI_EEEEENSH_IJSG_SG_SG_EEES9_SI_JZNS1_25segmented_radix_sort_implINS0_14default_configELb1EPKiPiPKlPlN2at6native12_GLOBAL__N_18offset_tEEE10hipError_tPvRmT1_PNSt15iterator_traitsIS12_E10value_typeET2_T3_PNS13_IS18_E10value_typeET4_jRbjT5_S1E_jjP12ihipStream_tbEUljE_ZNSN_ISO_Lb1ESQ_SR_ST_SU_SY_EESZ_S10_S11_S12_S16_S17_S18_S1B_S1C_jS1D_jS1E_S1E_jjS1G_bEUljE0_EEESZ_S10_S11_S18_S1C_S1E_T6_T7_T9_mT8_S1G_bDpT10_ENKUlT_T0_E_clISt17integral_constantIbLb0EES1U_EEDaS1P_S1Q_EUlS1P_E_NS1_11comp_targetILNS1_3genE3ELNS1_11target_archE908ELNS1_3gpuE7ELNS1_3repE0EEENS1_30default_config_static_selectorELNS0_4arch9wavefront6targetE1EEEvS12_.has_recursion, 0
	.set _ZN7rocprim17ROCPRIM_400000_NS6detail17trampoline_kernelINS0_13select_configILj256ELj13ELNS0_17block_load_methodE3ELS4_3ELS4_3ELNS0_20block_scan_algorithmE0ELj4294967295EEENS1_25partition_config_selectorILNS1_17partition_subalgoE4EjNS0_10empty_typeEbEEZZNS1_14partition_implILS8_4ELb0ES6_15HIP_vector_typeIjLj2EENS0_17counting_iteratorIjlEEPS9_SG_NS0_5tupleIJPjSI_NS0_16reverse_iteratorISI_EEEEENSH_IJSG_SG_SG_EEES9_SI_JZNS1_25segmented_radix_sort_implINS0_14default_configELb1EPKiPiPKlPlN2at6native12_GLOBAL__N_18offset_tEEE10hipError_tPvRmT1_PNSt15iterator_traitsIS12_E10value_typeET2_T3_PNS13_IS18_E10value_typeET4_jRbjT5_S1E_jjP12ihipStream_tbEUljE_ZNSN_ISO_Lb1ESQ_SR_ST_SU_SY_EESZ_S10_S11_S12_S16_S17_S18_S1B_S1C_jS1D_jS1E_S1E_jjS1G_bEUljE0_EEESZ_S10_S11_S18_S1C_S1E_T6_T7_T9_mT8_S1G_bDpT10_ENKUlT_T0_E_clISt17integral_constantIbLb0EES1U_EEDaS1P_S1Q_EUlS1P_E_NS1_11comp_targetILNS1_3genE3ELNS1_11target_archE908ELNS1_3gpuE7ELNS1_3repE0EEENS1_30default_config_static_selectorELNS0_4arch9wavefront6targetE1EEEvS12_.has_indirect_call, 0
	.section	.AMDGPU.csdata,"",@progbits
; Kernel info:
; codeLenInByte = 0
; TotalNumSgprs: 4
; NumVgprs: 0
; ScratchSize: 0
; MemoryBound: 0
; FloatMode: 240
; IeeeMode: 1
; LDSByteSize: 0 bytes/workgroup (compile time only)
; SGPRBlocks: 0
; VGPRBlocks: 0
; NumSGPRsForWavesPerEU: 4
; NumVGPRsForWavesPerEU: 1
; Occupancy: 10
; WaveLimiterHint : 0
; COMPUTE_PGM_RSRC2:SCRATCH_EN: 0
; COMPUTE_PGM_RSRC2:USER_SGPR: 6
; COMPUTE_PGM_RSRC2:TRAP_HANDLER: 0
; COMPUTE_PGM_RSRC2:TGID_X_EN: 1
; COMPUTE_PGM_RSRC2:TGID_Y_EN: 0
; COMPUTE_PGM_RSRC2:TGID_Z_EN: 0
; COMPUTE_PGM_RSRC2:TIDIG_COMP_CNT: 0
	.section	.text._ZN7rocprim17ROCPRIM_400000_NS6detail17trampoline_kernelINS0_13select_configILj256ELj13ELNS0_17block_load_methodE3ELS4_3ELS4_3ELNS0_20block_scan_algorithmE0ELj4294967295EEENS1_25partition_config_selectorILNS1_17partition_subalgoE4EjNS0_10empty_typeEbEEZZNS1_14partition_implILS8_4ELb0ES6_15HIP_vector_typeIjLj2EENS0_17counting_iteratorIjlEEPS9_SG_NS0_5tupleIJPjSI_NS0_16reverse_iteratorISI_EEEEENSH_IJSG_SG_SG_EEES9_SI_JZNS1_25segmented_radix_sort_implINS0_14default_configELb1EPKiPiPKlPlN2at6native12_GLOBAL__N_18offset_tEEE10hipError_tPvRmT1_PNSt15iterator_traitsIS12_E10value_typeET2_T3_PNS13_IS18_E10value_typeET4_jRbjT5_S1E_jjP12ihipStream_tbEUljE_ZNSN_ISO_Lb1ESQ_SR_ST_SU_SY_EESZ_S10_S11_S12_S16_S17_S18_S1B_S1C_jS1D_jS1E_S1E_jjS1G_bEUljE0_EEESZ_S10_S11_S18_S1C_S1E_T6_T7_T9_mT8_S1G_bDpT10_ENKUlT_T0_E_clISt17integral_constantIbLb0EES1U_EEDaS1P_S1Q_EUlS1P_E_NS1_11comp_targetILNS1_3genE2ELNS1_11target_archE906ELNS1_3gpuE6ELNS1_3repE0EEENS1_30default_config_static_selectorELNS0_4arch9wavefront6targetE1EEEvS12_,"axG",@progbits,_ZN7rocprim17ROCPRIM_400000_NS6detail17trampoline_kernelINS0_13select_configILj256ELj13ELNS0_17block_load_methodE3ELS4_3ELS4_3ELNS0_20block_scan_algorithmE0ELj4294967295EEENS1_25partition_config_selectorILNS1_17partition_subalgoE4EjNS0_10empty_typeEbEEZZNS1_14partition_implILS8_4ELb0ES6_15HIP_vector_typeIjLj2EENS0_17counting_iteratorIjlEEPS9_SG_NS0_5tupleIJPjSI_NS0_16reverse_iteratorISI_EEEEENSH_IJSG_SG_SG_EEES9_SI_JZNS1_25segmented_radix_sort_implINS0_14default_configELb1EPKiPiPKlPlN2at6native12_GLOBAL__N_18offset_tEEE10hipError_tPvRmT1_PNSt15iterator_traitsIS12_E10value_typeET2_T3_PNS13_IS18_E10value_typeET4_jRbjT5_S1E_jjP12ihipStream_tbEUljE_ZNSN_ISO_Lb1ESQ_SR_ST_SU_SY_EESZ_S10_S11_S12_S16_S17_S18_S1B_S1C_jS1D_jS1E_S1E_jjS1G_bEUljE0_EEESZ_S10_S11_S18_S1C_S1E_T6_T7_T9_mT8_S1G_bDpT10_ENKUlT_T0_E_clISt17integral_constantIbLb0EES1U_EEDaS1P_S1Q_EUlS1P_E_NS1_11comp_targetILNS1_3genE2ELNS1_11target_archE906ELNS1_3gpuE6ELNS1_3repE0EEENS1_30default_config_static_selectorELNS0_4arch9wavefront6targetE1EEEvS12_,comdat
	.globl	_ZN7rocprim17ROCPRIM_400000_NS6detail17trampoline_kernelINS0_13select_configILj256ELj13ELNS0_17block_load_methodE3ELS4_3ELS4_3ELNS0_20block_scan_algorithmE0ELj4294967295EEENS1_25partition_config_selectorILNS1_17partition_subalgoE4EjNS0_10empty_typeEbEEZZNS1_14partition_implILS8_4ELb0ES6_15HIP_vector_typeIjLj2EENS0_17counting_iteratorIjlEEPS9_SG_NS0_5tupleIJPjSI_NS0_16reverse_iteratorISI_EEEEENSH_IJSG_SG_SG_EEES9_SI_JZNS1_25segmented_radix_sort_implINS0_14default_configELb1EPKiPiPKlPlN2at6native12_GLOBAL__N_18offset_tEEE10hipError_tPvRmT1_PNSt15iterator_traitsIS12_E10value_typeET2_T3_PNS13_IS18_E10value_typeET4_jRbjT5_S1E_jjP12ihipStream_tbEUljE_ZNSN_ISO_Lb1ESQ_SR_ST_SU_SY_EESZ_S10_S11_S12_S16_S17_S18_S1B_S1C_jS1D_jS1E_S1E_jjS1G_bEUljE0_EEESZ_S10_S11_S18_S1C_S1E_T6_T7_T9_mT8_S1G_bDpT10_ENKUlT_T0_E_clISt17integral_constantIbLb0EES1U_EEDaS1P_S1Q_EUlS1P_E_NS1_11comp_targetILNS1_3genE2ELNS1_11target_archE906ELNS1_3gpuE6ELNS1_3repE0EEENS1_30default_config_static_selectorELNS0_4arch9wavefront6targetE1EEEvS12_ ; -- Begin function _ZN7rocprim17ROCPRIM_400000_NS6detail17trampoline_kernelINS0_13select_configILj256ELj13ELNS0_17block_load_methodE3ELS4_3ELS4_3ELNS0_20block_scan_algorithmE0ELj4294967295EEENS1_25partition_config_selectorILNS1_17partition_subalgoE4EjNS0_10empty_typeEbEEZZNS1_14partition_implILS8_4ELb0ES6_15HIP_vector_typeIjLj2EENS0_17counting_iteratorIjlEEPS9_SG_NS0_5tupleIJPjSI_NS0_16reverse_iteratorISI_EEEEENSH_IJSG_SG_SG_EEES9_SI_JZNS1_25segmented_radix_sort_implINS0_14default_configELb1EPKiPiPKlPlN2at6native12_GLOBAL__N_18offset_tEEE10hipError_tPvRmT1_PNSt15iterator_traitsIS12_E10value_typeET2_T3_PNS13_IS18_E10value_typeET4_jRbjT5_S1E_jjP12ihipStream_tbEUljE_ZNSN_ISO_Lb1ESQ_SR_ST_SU_SY_EESZ_S10_S11_S12_S16_S17_S18_S1B_S1C_jS1D_jS1E_S1E_jjS1G_bEUljE0_EEESZ_S10_S11_S18_S1C_S1E_T6_T7_T9_mT8_S1G_bDpT10_ENKUlT_T0_E_clISt17integral_constantIbLb0EES1U_EEDaS1P_S1Q_EUlS1P_E_NS1_11comp_targetILNS1_3genE2ELNS1_11target_archE906ELNS1_3gpuE6ELNS1_3repE0EEENS1_30default_config_static_selectorELNS0_4arch9wavefront6targetE1EEEvS12_
	.p2align	8
	.type	_ZN7rocprim17ROCPRIM_400000_NS6detail17trampoline_kernelINS0_13select_configILj256ELj13ELNS0_17block_load_methodE3ELS4_3ELS4_3ELNS0_20block_scan_algorithmE0ELj4294967295EEENS1_25partition_config_selectorILNS1_17partition_subalgoE4EjNS0_10empty_typeEbEEZZNS1_14partition_implILS8_4ELb0ES6_15HIP_vector_typeIjLj2EENS0_17counting_iteratorIjlEEPS9_SG_NS0_5tupleIJPjSI_NS0_16reverse_iteratorISI_EEEEENSH_IJSG_SG_SG_EEES9_SI_JZNS1_25segmented_radix_sort_implINS0_14default_configELb1EPKiPiPKlPlN2at6native12_GLOBAL__N_18offset_tEEE10hipError_tPvRmT1_PNSt15iterator_traitsIS12_E10value_typeET2_T3_PNS13_IS18_E10value_typeET4_jRbjT5_S1E_jjP12ihipStream_tbEUljE_ZNSN_ISO_Lb1ESQ_SR_ST_SU_SY_EESZ_S10_S11_S12_S16_S17_S18_S1B_S1C_jS1D_jS1E_S1E_jjS1G_bEUljE0_EEESZ_S10_S11_S18_S1C_S1E_T6_T7_T9_mT8_S1G_bDpT10_ENKUlT_T0_E_clISt17integral_constantIbLb0EES1U_EEDaS1P_S1Q_EUlS1P_E_NS1_11comp_targetILNS1_3genE2ELNS1_11target_archE906ELNS1_3gpuE6ELNS1_3repE0EEENS1_30default_config_static_selectorELNS0_4arch9wavefront6targetE1EEEvS12_,@function
_ZN7rocprim17ROCPRIM_400000_NS6detail17trampoline_kernelINS0_13select_configILj256ELj13ELNS0_17block_load_methodE3ELS4_3ELS4_3ELNS0_20block_scan_algorithmE0ELj4294967295EEENS1_25partition_config_selectorILNS1_17partition_subalgoE4EjNS0_10empty_typeEbEEZZNS1_14partition_implILS8_4ELb0ES6_15HIP_vector_typeIjLj2EENS0_17counting_iteratorIjlEEPS9_SG_NS0_5tupleIJPjSI_NS0_16reverse_iteratorISI_EEEEENSH_IJSG_SG_SG_EEES9_SI_JZNS1_25segmented_radix_sort_implINS0_14default_configELb1EPKiPiPKlPlN2at6native12_GLOBAL__N_18offset_tEEE10hipError_tPvRmT1_PNSt15iterator_traitsIS12_E10value_typeET2_T3_PNS13_IS18_E10value_typeET4_jRbjT5_S1E_jjP12ihipStream_tbEUljE_ZNSN_ISO_Lb1ESQ_SR_ST_SU_SY_EESZ_S10_S11_S12_S16_S17_S18_S1B_S1C_jS1D_jS1E_S1E_jjS1G_bEUljE0_EEESZ_S10_S11_S18_S1C_S1E_T6_T7_T9_mT8_S1G_bDpT10_ENKUlT_T0_E_clISt17integral_constantIbLb0EES1U_EEDaS1P_S1Q_EUlS1P_E_NS1_11comp_targetILNS1_3genE2ELNS1_11target_archE906ELNS1_3gpuE6ELNS1_3repE0EEENS1_30default_config_static_selectorELNS0_4arch9wavefront6targetE1EEEvS12_: ; @_ZN7rocprim17ROCPRIM_400000_NS6detail17trampoline_kernelINS0_13select_configILj256ELj13ELNS0_17block_load_methodE3ELS4_3ELS4_3ELNS0_20block_scan_algorithmE0ELj4294967295EEENS1_25partition_config_selectorILNS1_17partition_subalgoE4EjNS0_10empty_typeEbEEZZNS1_14partition_implILS8_4ELb0ES6_15HIP_vector_typeIjLj2EENS0_17counting_iteratorIjlEEPS9_SG_NS0_5tupleIJPjSI_NS0_16reverse_iteratorISI_EEEEENSH_IJSG_SG_SG_EEES9_SI_JZNS1_25segmented_radix_sort_implINS0_14default_configELb1EPKiPiPKlPlN2at6native12_GLOBAL__N_18offset_tEEE10hipError_tPvRmT1_PNSt15iterator_traitsIS12_E10value_typeET2_T3_PNS13_IS18_E10value_typeET4_jRbjT5_S1E_jjP12ihipStream_tbEUljE_ZNSN_ISO_Lb1ESQ_SR_ST_SU_SY_EESZ_S10_S11_S12_S16_S17_S18_S1B_S1C_jS1D_jS1E_S1E_jjS1G_bEUljE0_EEESZ_S10_S11_S18_S1C_S1E_T6_T7_T9_mT8_S1G_bDpT10_ENKUlT_T0_E_clISt17integral_constantIbLb0EES1U_EEDaS1P_S1Q_EUlS1P_E_NS1_11comp_targetILNS1_3genE2ELNS1_11target_archE906ELNS1_3gpuE6ELNS1_3repE0EEENS1_30default_config_static_selectorELNS0_4arch9wavefront6targetE1EEEvS12_
; %bb.0:
	s_load_dwordx2 s[0:1], s[4:5], 0x68
	s_load_dwordx4 s[44:47], s[4:5], 0x58
	s_load_dword s8, s[4:5], 0x8
	s_load_dwordx2 s[56:57], s[4:5], 0x10
	s_load_dword s7, s[4:5], 0x80
	s_load_dwordx2 s[58:59], s[4:5], 0xa8
	s_load_dwordx8 s[36:43], s[4:5], 0x88
	s_waitcnt lgkmcnt(0)
	s_load_dwordx4 s[48:51], s[46:47], 0x0
	s_mul_i32 s33, s6, 0xd00
	s_add_i32 s9, s7, -1
	s_mulk_i32 s7, 0xd00
	s_add_u32 s2, s56, s7
	s_addc_u32 s3, s57, 0
	v_mov_b32_e32 v1, s2
	v_mov_b32_e32 v2, s3
	s_cmp_eq_u32 s6, s9
	v_cmp_gt_u64_e32 vcc, s[0:1], v[1:2]
	s_cselect_b64 s[34:35], -1, 0
	s_cmp_lg_u32 s6, s9
	s_cselect_b64 s[2:3], -1, 0
	s_add_i32 s1, s8, s33
	s_or_b64 s[2:3], s[2:3], vcc
	s_add_i32 s1, s1, s56
	s_mov_b64 s[8:9], -1
	s_and_b64 vcc, exec, s[2:3]
	v_add_u32_e32 v1, s1, v0
	s_cbranch_vccz .LBB437_2
; %bb.1:
	v_add_u32_e32 v2, 0x100, v1
	v_lshlrev_b32_e32 v14, 2, v0
	v_add_u32_e32 v3, 0x200, v1
	v_add_u32_e32 v4, 0x300, v1
	;; [unrolled: 1-line block ×11, first 2 shown]
	ds_write2st64_b32 v14, v1, v2 offset1:4
	ds_write2st64_b32 v14, v3, v4 offset0:8 offset1:12
	ds_write2st64_b32 v14, v5, v6 offset0:16 offset1:20
	;; [unrolled: 1-line block ×5, first 2 shown]
	ds_write_b32 v14, v13 offset:12288
	s_waitcnt lgkmcnt(0)
	s_barrier
	s_mov_b64 s[8:9], 0
.LBB437_2:
	s_andn2_b64 vcc, exec, s[8:9]
	s_add_i32 s7, s7, s56
	s_cbranch_vccnz .LBB437_4
; %bb.3:
	v_add_u32_e32 v2, 0x100, v1
	v_lshlrev_b32_e32 v14, 2, v0
	v_add_u32_e32 v3, 0x200, v1
	v_add_u32_e32 v4, 0x300, v1
	;; [unrolled: 1-line block ×11, first 2 shown]
	ds_write2st64_b32 v14, v1, v2 offset1:4
	ds_write2st64_b32 v14, v3, v4 offset0:8 offset1:12
	ds_write2st64_b32 v14, v5, v6 offset0:16 offset1:20
	;; [unrolled: 1-line block ×5, first 2 shown]
	ds_write_b32 v14, v13 offset:12288
	s_waitcnt lgkmcnt(0)
	s_barrier
.LBB437_4:
	v_mul_u32_u24_e32 v30, 13, v0
	v_lshlrev_b32_e32 v1, 2, v30
	s_load_dwordx4 s[52:55], s[4:5], 0x28
	s_load_dwordx2 s[46:47], s[4:5], 0x38
	s_waitcnt lgkmcnt(0)
	ds_read_b32 v29, v1 offset:48
	ds_read2_b32 v[9:10], v1 offset0:10 offset1:11
	ds_read2_b32 v[11:12], v1 offset0:8 offset1:9
	;; [unrolled: 1-line block ×4, first 2 shown]
	ds_read2_b32 v[19:20], v1 offset1:1
	ds_read2_b32 v[17:18], v1 offset0:2 offset1:3
	v_cndmask_b32_e64 v1, 0, 1, s[2:3]
	s_sub_i32 s7, s0, s7
	v_cmp_ne_u32_e64 s[0:1], 1, v1
	s_andn2_b64 vcc, exec, s[2:3]
	s_waitcnt lgkmcnt(0)
	s_barrier
	s_cbranch_vccnz .LBB437_32
; %bb.5:
	v_add_u32_e32 v1, s37, v19
	v_add_u32_e32 v2, s39, v19
	v_mul_lo_u32 v1, v1, s36
	v_mul_lo_u32 v2, v2, s38
	s_mov_b64 s[62:63], 0
	s_mov_b64 s[60:61], 0
	v_sub_u32_e32 v1, v1, v2
	v_cmp_lt_u32_e32 vcc, s40, v1
	v_cmp_ge_u32_e64 s[2:3], s40, v1
	s_and_saveexec_b64 s[8:9], s[2:3]
	s_cbranch_execz .LBB437_7
; %bb.6:
	v_add_u32_e32 v1, s42, v19
	v_add_u32_e32 v2, s58, v19
	v_mul_lo_u32 v1, v1, s41
	v_mul_lo_u32 v2, v2, s43
	v_sub_u32_e32 v1, v1, v2
	v_cmp_lt_u32_e64 s[2:3], s59, v1
	s_and_b64 s[60:61], s[2:3], exec
.LBB437_7:
	s_or_b64 exec, exec, s[8:9]
	v_add_u32_e32 v1, s37, v20
	v_add_u32_e32 v2, s39, v20
	v_mul_lo_u32 v1, v1, s36
	v_mul_lo_u32 v2, v2, s38
	v_sub_u32_e32 v1, v1, v2
	v_cmp_lt_u32_e64 s[2:3], s40, v1
	v_cmp_ge_u32_e64 s[8:9], s40, v1
	s_and_saveexec_b64 s[10:11], s[8:9]
	s_cbranch_execz .LBB437_9
; %bb.8:
	v_add_u32_e32 v1, s42, v20
	v_add_u32_e32 v2, s58, v20
	v_mul_lo_u32 v1, v1, s41
	v_mul_lo_u32 v2, v2, s43
	v_sub_u32_e32 v1, v1, v2
	v_cmp_lt_u32_e64 s[8:9], s59, v1
	s_and_b64 s[62:63], s[8:9], exec
.LBB437_9:
	s_or_b64 exec, exec, s[10:11]
	v_add_u32_e32 v1, s37, v17
	v_add_u32_e32 v2, s39, v17
	v_mul_lo_u32 v1, v1, s36
	v_mul_lo_u32 v2, v2, s38
	s_mov_b64 s[66:67], 0
	s_mov_b64 s[64:65], 0
	v_sub_u32_e32 v1, v1, v2
	v_cmp_lt_u32_e64 s[28:29], s40, v1
	v_cmp_ge_u32_e64 s[8:9], s40, v1
	s_and_saveexec_b64 s[10:11], s[8:9]
	s_cbranch_execz .LBB437_11
; %bb.10:
	v_add_u32_e32 v1, s42, v17
	v_add_u32_e32 v2, s58, v17
	v_mul_lo_u32 v1, v1, s41
	v_mul_lo_u32 v2, v2, s43
	v_sub_u32_e32 v1, v1, v2
	v_cmp_lt_u32_e64 s[8:9], s59, v1
	s_and_b64 s[64:65], s[8:9], exec
.LBB437_11:
	s_or_b64 exec, exec, s[10:11]
	v_add_u32_e32 v1, s37, v18
	v_add_u32_e32 v2, s39, v18
	v_mul_lo_u32 v1, v1, s36
	v_mul_lo_u32 v2, v2, s38
	v_sub_u32_e32 v1, v1, v2
	v_cmp_lt_u32_e64 s[8:9], s40, v1
	v_cmp_ge_u32_e64 s[10:11], s40, v1
	s_and_saveexec_b64 s[12:13], s[10:11]
	s_cbranch_execz .LBB437_13
; %bb.12:
	v_add_u32_e32 v1, s42, v18
	v_add_u32_e32 v2, s58, v18
	v_mul_lo_u32 v1, v1, s41
	v_mul_lo_u32 v2, v2, s43
	v_sub_u32_e32 v1, v1, v2
	v_cmp_lt_u32_e64 s[10:11], s59, v1
	s_and_b64 s[66:67], s[10:11], exec
.LBB437_13:
	s_or_b64 exec, exec, s[12:13]
	v_add_u32_e32 v1, s37, v15
	v_add_u32_e32 v2, s39, v15
	v_mul_lo_u32 v1, v1, s36
	v_mul_lo_u32 v2, v2, s38
	s_mov_b64 s[70:71], 0
	s_mov_b64 s[68:69], 0
	v_sub_u32_e32 v1, v1, v2
	v_cmp_lt_u32_e64 s[10:11], s40, v1
	;; [unrolled: 40-line block ×6, first 2 shown]
	v_cmp_ge_u32_e64 s[30:31], s40, v1
	s_and_saveexec_b64 s[88:89], s[30:31]
	s_cbranch_execz .LBB437_31
; %bb.30:
	v_add_u32_e32 v1, s42, v29
	v_add_u32_e32 v2, s58, v29
	v_mul_lo_u32 v1, v1, s41
	v_mul_lo_u32 v2, v2, s43
	v_sub_u32_e32 v1, v1, v2
	v_cmp_lt_u32_e64 s[30:31], s59, v1
	s_and_b64 s[86:87], s[30:31], exec
.LBB437_31:
	s_or_b64 exec, exec, s[88:89]
	v_cndmask_b32_e64 v2, 0, 1, s[2:3]
	v_cndmask_b32_e64 v1, 0, 1, vcc
	v_cndmask_b32_e64 v4, 0, 1, s[8:9]
	v_lshlrev_b16_e32 v2, 8, v2
	v_cndmask_b32_e64 v3, 0, 1, s[28:29]
	v_or_b32_e32 v1, v1, v2
	v_lshlrev_b16_e32 v2, 8, v4
	v_cndmask_b32_e64 v6, 0, 1, s[12:13]
	v_cndmask_b32_e64 v8, 0, 1, s[16:17]
	v_or_b32_sdwa v2, v3, v2 dst_sel:WORD_1 dst_unused:UNUSED_PAD src0_sel:DWORD src1_sel:DWORD
	v_cndmask_b32_e64 v5, 0, 1, s[10:11]
	v_cndmask_b32_e64 v7, 0, 1, s[14:15]
	v_or_b32_sdwa v31, v1, v2 dst_sel:DWORD dst_unused:UNUSED_PAD src0_sel:WORD_0 src1_sel:DWORD
	v_lshlrev_b16_e32 v1, 8, v6
	v_lshlrev_b16_e32 v2, 8, v8
	v_cndmask_b32_e64 v22, 0, 1, s[20:21]
	v_cndmask_b32_e64 v25, 0, 1, s[24:25]
	v_or_b32_e32 v1, v5, v1
	v_or_b32_sdwa v2, v7, v2 dst_sel:WORD_1 dst_unused:UNUSED_PAD src0_sel:DWORD src1_sel:DWORD
	v_cndmask_b32_e64 v21, 0, 1, s[18:19]
	v_cndmask_b32_e64 v23, 0, 1, s[22:23]
	v_or_b32_sdwa v33, v1, v2 dst_sel:DWORD dst_unused:UNUSED_PAD src0_sel:WORD_0 src1_sel:DWORD
	v_lshlrev_b16_e32 v1, 8, v22
	v_lshlrev_b16_e32 v2, 8, v25
	v_cndmask_b32_e64 v37, 0, 1, s[64:65]
	v_cndmask_b32_e64 v42, 0, 1, s[60:61]
	v_or_b32_e32 v1, v21, v1
	;; [unrolled: 9-line block ×4, first 2 shown]
	v_or_b32_sdwa v2, v34, v2 dst_sel:WORD_1 dst_unused:UNUSED_PAD src0_sel:DWORD src1_sel:DWORD
	v_cndmask_b32_e64 v26, 0, 1, s[78:79]
	v_cndmask_b32_e64 v28, 0, 1, s[74:75]
	v_or_b32_sdwa v32, v1, v2 dst_sel:DWORD dst_unused:UNUSED_PAD src0_sel:WORD_0 src1_sel:DWORD
	v_lshlrev_b16_e32 v1, 8, v27
	v_lshlrev_b16_e32 v2, 8, v24
	v_or_b32_e32 v1, v28, v1
	v_or_b32_sdwa v2, v26, v2 dst_sel:WORD_1 dst_unused:UNUSED_PAD src0_sel:DWORD src1_sel:DWORD
	v_cndmask_b32_e64 v35, 0, 1, s[82:83]
	v_cndmask_b32_e64 v38, 0, 1, s[86:87]
	v_or_b32_sdwa v34, v1, v2 dst_sel:DWORD dst_unused:UNUSED_PAD src0_sel:WORD_0 src1_sel:DWORD
	s_load_dwordx2 s[12:13], s[4:5], 0x78
	s_add_i32 s18, s7, 0xd00
	s_and_b64 vcc, exec, s[80:81]
	s_cbranch_vccnz .LBB437_33
	s_branch .LBB437_110
.LBB437_32:
                                        ; implicit-def: $vgpr38
                                        ; implicit-def: $vgpr35
                                        ; implicit-def: $vgpr34
                                        ; implicit-def: $vgpr32
                                        ; implicit-def: $vgpr37
                                        ; implicit-def: $vgpr36
                                        ; implicit-def: $vgpr33
                                        ; implicit-def: $vgpr31
	s_load_dwordx2 s[12:13], s[4:5], 0x78
	s_add_i32 s18, s7, 0xd00
	s_cbranch_execz .LBB437_110
.LBB437_33:
	v_cmp_gt_u32_e32 vcc, s18, v30
	v_mov_b32_e32 v2, 0
	v_mov_b32_e32 v1, 0
	s_and_saveexec_b64 s[4:5], vcc
	s_cbranch_execz .LBB437_37
; %bb.34:
	v_add_u32_e32 v1, s37, v19
	v_add_u32_e32 v2, s39, v19
	v_mul_lo_u32 v1, v1, s36
	v_mul_lo_u32 v2, v2, s38
	s_mov_b64 s[10:11], 0
	v_sub_u32_e32 v1, v1, v2
	v_cmp_lt_u32_e32 vcc, s40, v1
	v_cmp_ge_u32_e64 s[2:3], s40, v1
	s_and_saveexec_b64 s[8:9], s[2:3]
	s_cbranch_execz .LBB437_36
; %bb.35:
	v_add_u32_e32 v1, s42, v19
	v_add_u32_e32 v2, s58, v19
	v_mul_lo_u32 v1, v1, s41
	v_mul_lo_u32 v2, v2, s43
	v_sub_u32_e32 v1, v1, v2
	v_cmp_lt_u32_e64 s[2:3], s59, v1
	s_and_b64 s[10:11], s[2:3], exec
.LBB437_36:
	s_or_b64 exec, exec, s[8:9]
	v_cndmask_b32_e64 v2, 0, 1, s[10:11]
	v_cndmask_b32_e64 v1, 0, 1, vcc
.LBB437_37:
	s_or_b64 exec, exec, s[4:5]
	v_lshlrev_b16_e32 v7, 8, v2
	v_add_u32_e32 v2, 1, v30
	v_cmp_le_u32_e32 vcc, s18, v2
	v_lshlrev_b16_e64 v4, 8, 0
                                        ; implicit-def: $vgpr3
                                        ; implicit-def: $vgpr5
                                        ; implicit-def: $vgpr6
                                        ; implicit-def: $vgpr2
                                        ; implicit-def: $vgpr8
	s_and_saveexec_b64 s[2:3], vcc
	s_xor_b64 s[2:3], exec, s[2:3]
; %bb.38:
	v_mov_b32_e32 v2, 8
	v_lshrrev_b32_sdwa v3, v2, v7 dst_sel:BYTE_1 dst_unused:UNUSED_PAD src0_sel:DWORD src1_sel:DWORD
	v_and_b32_e32 v8, 0xff, v1
	v_or_b32_sdwa v1, v7, v3 dst_sel:DWORD dst_unused:UNUSED_PAD src0_sel:BYTE_0 src1_sel:DWORD
	v_mov_b32_e32 v5, 0
	v_lshlrev_b16_e64 v4, 8, 0
	v_lshlrev_b16_e64 v2, 8, 0
	v_and_b32_e32 v6, 0xffff, v1
	v_lshlrev_b16_e64 v3, 8, 0
                                        ; implicit-def: $vgpr1
                                        ; implicit-def: $vgpr7
; %bb.39:
	s_andn2_saveexec_b64 s[4:5], s[2:3]
	s_cbranch_execz .LBB437_43
; %bb.40:
	v_add_u32_e32 v2, s37, v20
	v_add_u32_e32 v3, s39, v20
	v_mul_lo_u32 v2, v2, s36
	v_mul_lo_u32 v3, v3, s38
	s_mov_b64 s[8:9], 0
	v_sub_u32_e32 v2, v2, v3
	v_cmp_lt_u32_e32 vcc, s40, v2
	v_cmp_ge_u32_e64 s[2:3], s40, v2
	s_and_saveexec_b64 s[10:11], s[2:3]
	s_cbranch_execz .LBB437_42
; %bb.41:
	v_add_u32_e32 v2, s42, v20
	v_add_u32_e32 v3, s58, v20
	v_mul_lo_u32 v2, v2, s41
	v_mul_lo_u32 v3, v3, s43
	v_sub_u32_e32 v2, v2, v3
	v_cmp_lt_u32_e64 s[2:3], s59, v2
	s_and_b64 s[8:9], s[2:3], exec
.LBB437_42:
	s_or_b64 exec, exec, s[10:11]
	v_cndmask_b32_e64 v3, 0, 1, vcc
	v_lshlrev_b16_e32 v3, 8, v3
	v_or_b32_sdwa v1, v1, v3 dst_sel:DWORD dst_unused:UNUSED_PAD src0_sel:BYTE_0 src1_sel:DWORD
	v_and_b32_e32 v8, 0xffff, v1
	v_mov_b32_e32 v1, 8
	v_lshrrev_b32_sdwa v1, v1, v7 dst_sel:BYTE_1 dst_unused:UNUSED_PAD src0_sel:DWORD src1_sel:DWORD
	v_or_b32_sdwa v1, v7, v1 dst_sel:DWORD dst_unused:UNUSED_PAD src0_sel:BYTE_0 src1_sel:DWORD
	v_and_b32_e32 v1, 0xffff, v1
	v_cndmask_b32_e64 v3, 0, 1, s[8:9]
	v_mov_b32_e32 v2, 0
	v_mov_b32_e32 v5, 0
	v_lshl_or_b32 v6, v3, 16, v1
	v_lshlrev_b16_e64 v3, 8, 0
.LBB437_43:
	s_or_b64 exec, exec, s[4:5]
	v_add_u32_e32 v1, 2, v30
	v_cmp_le_u32_e32 vcc, s18, v1
	v_lshrrev_b32_e32 v21, 24, v8
                                        ; implicit-def: $vgpr1
                                        ; implicit-def: $vgpr7
	s_and_saveexec_b64 s[2:3], vcc
	s_xor_b64 s[2:3], exec, s[2:3]
	s_cbranch_execz .LBB437_45
; %bb.44:
	s_mov_b32 s4, 0x40c0100
	v_perm_b32 v7, v21, v8, s4
	v_mov_b32_e32 v8, 8
	v_lshrrev_b32_sdwa v8, v8, v7 dst_sel:BYTE_1 dst_unused:UNUSED_PAD src0_sel:DWORD src1_sel:DWORD
	v_or_b32_sdwa v8, v7, v8 dst_sel:DWORD dst_unused:UNUSED_PAD src0_sel:BYTE_0 src1_sel:DWORD
	v_and_b32_e32 v8, 0xffff, v8
	s_mov_b32 s4, 0xff000000
	v_and_or_b32 v7, v7, s4, v8
	s_mov_b32 s4, 0x3060504
	v_and_b32_e32 v1, 0xff0000, v6
	v_perm_b32 v4, v4, v4, s4
	s_mov_b32 s4, 0x3020504
	v_perm_b32 v1, v6, v1, s4
                                        ; implicit-def: $vgpr8
                                        ; implicit-def: $vgpr21
                                        ; implicit-def: $vgpr6
.LBB437_45:
	s_andn2_saveexec_b64 s[4:5], s[2:3]
	s_cbranch_execz .LBB437_49
; %bb.46:
	v_add_u32_e32 v1, s37, v17
	v_add_u32_e32 v7, s39, v17
	v_mul_lo_u32 v1, v1, s36
	v_mul_lo_u32 v7, v7, s38
	s_mov_b64 s[8:9], 0
	v_sub_u32_e32 v1, v1, v7
	v_cmp_lt_u32_e32 vcc, s40, v1
	v_cmp_ge_u32_e64 s[2:3], s40, v1
	s_and_saveexec_b64 s[10:11], s[2:3]
	s_cbranch_execz .LBB437_48
; %bb.47:
	v_add_u32_e32 v1, s42, v17
	v_add_u32_e32 v7, s58, v17
	v_mul_lo_u32 v1, v1, s41
	v_mul_lo_u32 v7, v7, s43
	v_sub_u32_e32 v1, v1, v7
	v_cmp_lt_u32_e64 s[2:3], s59, v1
	s_and_b64 s[8:9], s[2:3], exec
.LBB437_48:
	s_or_b64 exec, exec, s[10:11]
	v_mov_b32_e32 v23, 8
	v_lshrrev_b32_sdwa v7, v23, v8 dst_sel:BYTE_1 dst_unused:UNUSED_PAD src0_sel:DWORD src1_sel:DWORD
	v_cndmask_b32_e64 v1, 0, 1, vcc
	v_or_b32_sdwa v7, v8, v7 dst_sel:DWORD dst_unused:UNUSED_PAD src0_sel:BYTE_0 src1_sel:DWORD
	v_lshlrev_b16_e32 v8, 8, v21
	v_or_b32_sdwa v1, v1, v8 dst_sel:WORD_1 dst_unused:UNUSED_PAD src0_sel:DWORD src1_sel:DWORD
	v_cndmask_b32_e64 v22, 0, 1, s[8:9]
	s_movk_i32 s2, 0xff
	v_or_b32_sdwa v7, v7, v1 dst_sel:DWORD dst_unused:UNUSED_PAD src0_sel:WORD_0 src1_sel:DWORD
	v_lshrrev_b32_sdwa v1, v23, v6 dst_sel:BYTE_1 dst_unused:UNUSED_PAD src0_sel:DWORD src1_sel:DWORD
	v_or_b32_sdwa v1, v6, v1 dst_sel:DWORD dst_unused:UNUSED_PAD src0_sel:BYTE_0 src1_sel:DWORD
	v_lshlrev_b16_e32 v8, 8, v22
	v_and_b32_sdwa v6, v6, s2 dst_sel:DWORD dst_unused:UNUSED_PAD src0_sel:WORD_1 src1_sel:DWORD
	v_or_b32_sdwa v6, v6, v8 dst_sel:WORD_1 dst_unused:UNUSED_PAD src0_sel:DWORD src1_sel:DWORD
	v_or_b32_sdwa v1, v1, v6 dst_sel:DWORD dst_unused:UNUSED_PAD src0_sel:WORD_0 src1_sel:DWORD
.LBB437_49:
	s_or_b64 exec, exec, s[4:5]
	v_add_u32_e32 v6, 3, v30
	v_cmp_le_u32_e32 vcc, s18, v6
	v_lshrrev_b32_e32 v8, 24, v5
                                        ; implicit-def: $vgpr6
                                        ; implicit-def: $vgpr31
	s_and_saveexec_b64 s[2:3], vcc
	s_xor_b64 s[2:3], exec, s[2:3]
	s_cbranch_execz .LBB437_51
; %bb.50:
	v_and_b32_e32 v6, 0xff0000, v7
	s_mov_b32 s4, 0x3020504
	s_movk_i32 s5, 0xff
	v_perm_b32 v31, v7, v6, s4
	v_lshlrev_b16_e32 v6, 8, v8
	v_and_b32_sdwa v7, v5, s5 dst_sel:DWORD dst_unused:UNUSED_PAD src0_sel:WORD_1 src1_sel:DWORD
	s_mov_b32 s4, 0x3060504
	v_or_b32_sdwa v6, v7, v6 dst_sel:WORD_1 dst_unused:UNUSED_PAD src0_sel:DWORD src1_sel:DWORD
	v_mov_b32_e32 v7, 8
	v_perm_b32 v4, v4, v4, s4
	v_lshrrev_b32_sdwa v6, v7, v5 dst_sel:BYTE_1 dst_unused:UNUSED_PRESERVE src0_sel:DWORD src1_sel:DWORD
	v_perm_b32 v3, v3, v3, s4
                                        ; implicit-def: $vgpr7
                                        ; implicit-def: $vgpr8
                                        ; implicit-def: $vgpr5
.LBB437_51:
	s_andn2_saveexec_b64 s[4:5], s[2:3]
	s_cbranch_execz .LBB437_55
; %bb.52:
	v_add_u32_e32 v6, s37, v18
	v_add_u32_e32 v21, s39, v18
	v_mul_lo_u32 v6, v6, s36
	v_mul_lo_u32 v21, v21, s38
	s_mov_b64 s[8:9], 0
	v_sub_u32_e32 v6, v6, v21
	v_cmp_lt_u32_e32 vcc, s40, v6
	v_cmp_ge_u32_e64 s[2:3], s40, v6
	s_and_saveexec_b64 s[10:11], s[2:3]
	s_cbranch_execz .LBB437_54
; %bb.53:
	v_add_u32_e32 v6, s42, v18
	v_add_u32_e32 v21, s58, v18
	v_mul_lo_u32 v6, v6, s41
	v_mul_lo_u32 v21, v21, s43
	v_sub_u32_e32 v6, v6, v21
	v_cmp_lt_u32_e64 s[2:3], s59, v6
	s_and_b64 s[8:9], s[2:3], exec
.LBB437_54:
	s_or_b64 exec, exec, s[10:11]
	v_mov_b32_e32 v22, 8
	v_cndmask_b32_e64 v6, 0, 1, vcc
	s_movk_i32 s2, 0xff
	v_lshrrev_b32_sdwa v23, v22, v7 dst_sel:BYTE_1 dst_unused:UNUSED_PAD src0_sel:DWORD src1_sel:DWORD
	v_or_b32_sdwa v23, v7, v23 dst_sel:DWORD dst_unused:UNUSED_PAD src0_sel:BYTE_0 src1_sel:DWORD
	v_lshlrev_b16_e32 v6, 8, v6
	v_and_b32_sdwa v7, v7, s2 dst_sel:DWORD dst_unused:UNUSED_PAD src0_sel:WORD_1 src1_sel:DWORD
	v_or_b32_sdwa v6, v7, v6 dst_sel:WORD_1 dst_unused:UNUSED_PAD src0_sel:DWORD src1_sel:DWORD
	v_cndmask_b32_e64 v21, 0, 1, s[8:9]
	v_or_b32_sdwa v31, v23, v6 dst_sel:DWORD dst_unused:UNUSED_PAD src0_sel:WORD_0 src1_sel:DWORD
	v_lshlrev_b16_e32 v6, 8, v8
	v_and_b32_sdwa v7, v5, s2 dst_sel:DWORD dst_unused:UNUSED_PAD src0_sel:WORD_1 src1_sel:DWORD
	v_lshrrev_b32_sdwa v5, v22, v5 dst_sel:BYTE_1 dst_unused:UNUSED_PAD src0_sel:DWORD src1_sel:DWORD
	v_or_b32_sdwa v6, v7, v6 dst_sel:WORD_1 dst_unused:UNUSED_PAD src0_sel:DWORD src1_sel:DWORD
	v_or_b32_e32 v5, v21, v5
	v_or_b32_sdwa v6, v5, v6 dst_sel:DWORD dst_unused:UNUSED_PAD src0_sel:WORD_0 src1_sel:DWORD
.LBB437_55:
	s_or_b64 exec, exec, s[4:5]
	v_add_u32_e32 v5, 4, v30
	v_cmp_le_u32_e32 vcc, s18, v5
	v_lshrrev_b32_e32 v21, 24, v4
	v_lshrrev_b32_e32 v8, 24, v6
                                        ; implicit-def: $vgpr7
                                        ; implicit-def: $vgpr5
	s_and_saveexec_b64 s[2:3], vcc
	s_xor_b64 s[2:3], exec, s[2:3]
	s_cbranch_execz .LBB437_57
; %bb.56:
	s_movk_i32 s4, 0xff
	v_lshlrev_b16_e32 v5, 8, v21
	v_and_b32_sdwa v21, v4, s4 dst_sel:DWORD dst_unused:UNUSED_PAD src0_sel:WORD_1 src1_sel:DWORD
	v_mov_b32_e32 v7, 8
	v_or_b32_sdwa v5, v21, v5 dst_sel:WORD_1 dst_unused:UNUSED_PAD src0_sel:DWORD src1_sel:DWORD
	v_lshrrev_b32_sdwa v5, v7, v4 dst_sel:BYTE_1 dst_unused:UNUSED_PRESERVE src0_sel:DWORD src1_sel:DWORD
	v_lshlrev_b16_e32 v4, 8, v8
	v_and_b32_sdwa v7, v6, s4 dst_sel:DWORD dst_unused:UNUSED_PAD src0_sel:WORD_1 src1_sel:DWORD
	v_or_b32_e32 v4, v7, v4
	s_mov_b32 s4, 0x5040c00
	v_perm_b32 v7, v4, v6, s4
	s_mov_b32 s4, 0x3060504
	v_perm_b32 v3, v3, v3, s4
                                        ; implicit-def: $vgpr21
                                        ; implicit-def: $vgpr4
                                        ; implicit-def: $vgpr6
                                        ; implicit-def: $vgpr8
.LBB437_57:
	s_andn2_saveexec_b64 s[4:5], s[2:3]
	s_cbranch_execz .LBB437_61
; %bb.58:
	v_add_u32_e32 v5, s37, v15
	v_add_u32_e32 v7, s39, v15
	v_mul_lo_u32 v5, v5, s36
	v_mul_lo_u32 v7, v7, s38
	s_mov_b64 s[8:9], 0
	v_sub_u32_e32 v5, v5, v7
	v_cmp_lt_u32_e32 vcc, s40, v5
	v_cmp_ge_u32_e64 s[2:3], s40, v5
	s_and_saveexec_b64 s[10:11], s[2:3]
	s_cbranch_execz .LBB437_60
; %bb.59:
	v_add_u32_e32 v5, s42, v15
	v_add_u32_e32 v7, s58, v15
	v_mul_lo_u32 v5, v5, s41
	v_mul_lo_u32 v7, v7, s43
	v_sub_u32_e32 v5, v5, v7
	v_cmp_lt_u32_e64 s[2:3], s59, v5
	s_and_b64 s[8:9], s[2:3], exec
.LBB437_60:
	s_or_b64 exec, exec, s[10:11]
	s_movk_i32 s2, 0xff
	v_lshlrev_b16_e32 v21, 8, v21
	v_and_b32_sdwa v22, v4, s2 dst_sel:DWORD dst_unused:UNUSED_PAD src0_sel:WORD_1 src1_sel:DWORD
	v_or_b32_sdwa v21, v22, v21 dst_sel:WORD_1 dst_unused:UNUSED_PAD src0_sel:DWORD src1_sel:DWORD
	v_mov_b32_e32 v22, 8
	v_cndmask_b32_e64 v5, 0, 1, vcc
	v_lshrrev_b32_sdwa v4, v22, v4 dst_sel:BYTE_1 dst_unused:UNUSED_PAD src0_sel:DWORD src1_sel:DWORD
	v_cndmask_b32_e64 v7, 0, 1, s[8:9]
	v_or_b32_e32 v4, v5, v4
	v_or_b32_sdwa v5, v4, v21 dst_sel:DWORD dst_unused:UNUSED_PAD src0_sel:WORD_0 src1_sel:DWORD
	v_lshlrev_b16_e32 v4, 8, v7
	v_or_b32_sdwa v4, v6, v4 dst_sel:DWORD dst_unused:UNUSED_PAD src0_sel:BYTE_0 src1_sel:DWORD
	v_lshlrev_b16_e32 v7, 8, v8
	v_and_b32_sdwa v6, v6, s2 dst_sel:DWORD dst_unused:UNUSED_PAD src0_sel:WORD_1 src1_sel:DWORD
	v_or_b32_sdwa v6, v6, v7 dst_sel:WORD_1 dst_unused:UNUSED_PAD src0_sel:DWORD src1_sel:DWORD
	v_or_b32_sdwa v7, v4, v6 dst_sel:DWORD dst_unused:UNUSED_PAD src0_sel:WORD_0 src1_sel:DWORD
.LBB437_61:
	s_or_b64 exec, exec, s[4:5]
	v_add_u32_e32 v4, 5, v30
	v_cmp_le_u32_e32 vcc, s18, v4
	v_lshrrev_b32_e32 v8, 24, v7
	v_lshrrev_b32_e32 v21, 24, v5
                                        ; implicit-def: $vgpr4
                                        ; implicit-def: $vgpr6
	s_and_saveexec_b64 s[2:3], vcc
	s_xor_b64 s[2:3], exec, s[2:3]
	s_cbranch_execz .LBB437_63
; %bb.62:
	s_mov_b32 s4, 0x40c0100
	v_perm_b32 v4, v8, v7, s4
	s_movk_i32 s4, 0xff
	v_lshlrev_b16_e32 v6, 8, v21
	v_and_b32_sdwa v7, v5, s4 dst_sel:DWORD dst_unused:UNUSED_PAD src0_sel:WORD_1 src1_sel:DWORD
	v_or_b32_e32 v6, v7, v6
	s_mov_b32 s4, 0x5040c00
	v_perm_b32 v6, v6, v5, s4
	v_mov_b32_e32 v5, 8
	v_lshrrev_b32_sdwa v5, v5, v4 dst_sel:BYTE_1 dst_unused:UNUSED_PAD src0_sel:DWORD src1_sel:DWORD
	v_or_b32_sdwa v5, v4, v5 dst_sel:DWORD dst_unused:UNUSED_PAD src0_sel:BYTE_0 src1_sel:DWORD
	v_and_b32_e32 v5, 0xffff, v5
	s_mov_b32 s4, 0xff000000
	v_and_or_b32 v4, v4, s4, v5
	s_mov_b32 s4, 0x3060504
	v_perm_b32 v3, v3, v3, s4
                                        ; implicit-def: $vgpr5
                                        ; implicit-def: $vgpr21
                                        ; implicit-def: $vgpr7
                                        ; implicit-def: $vgpr8
.LBB437_63:
	s_andn2_saveexec_b64 s[4:5], s[2:3]
	s_cbranch_execz .LBB437_67
; %bb.64:
	v_add_u32_e32 v4, s37, v16
	v_add_u32_e32 v6, s39, v16
	v_mul_lo_u32 v4, v4, s36
	v_mul_lo_u32 v6, v6, s38
	s_mov_b64 s[8:9], 0
	v_sub_u32_e32 v4, v4, v6
	v_cmp_lt_u32_e32 vcc, s40, v4
	v_cmp_ge_u32_e64 s[2:3], s40, v4
	s_and_saveexec_b64 s[10:11], s[2:3]
	s_cbranch_execz .LBB437_66
; %bb.65:
	v_add_u32_e32 v4, s42, v16
	v_add_u32_e32 v6, s58, v16
	v_mul_lo_u32 v4, v4, s41
	v_mul_lo_u32 v6, v6, s43
	v_sub_u32_e32 v4, v4, v6
	v_cmp_lt_u32_e64 s[2:3], s59, v4
	s_and_b64 s[8:9], s[2:3], exec
.LBB437_66:
	s_or_b64 exec, exec, s[10:11]
	v_cndmask_b32_e64 v4, 0, 1, vcc
	v_lshlrev_b16_e32 v4, 8, v4
	s_movk_i32 s2, 0xff
	v_or_b32_sdwa v4, v5, v4 dst_sel:DWORD dst_unused:UNUSED_PAD src0_sel:BYTE_0 src1_sel:DWORD
	v_lshlrev_b16_e32 v6, 8, v21
	v_and_b32_sdwa v5, v5, s2 dst_sel:DWORD dst_unused:UNUSED_PAD src0_sel:WORD_1 src1_sel:DWORD
	v_or_b32_sdwa v5, v5, v6 dst_sel:WORD_1 dst_unused:UNUSED_PAD src0_sel:DWORD src1_sel:DWORD
	v_or_b32_sdwa v6, v4, v5 dst_sel:DWORD dst_unused:UNUSED_PAD src0_sel:WORD_0 src1_sel:DWORD
	v_mov_b32_e32 v4, 8
	v_cndmask_b32_e64 v22, 0, 1, s[8:9]
	v_lshrrev_b32_sdwa v4, v4, v7 dst_sel:BYTE_1 dst_unused:UNUSED_PAD src0_sel:DWORD src1_sel:DWORD
	v_lshlrev_b16_e32 v5, 8, v8
	v_or_b32_sdwa v4, v7, v4 dst_sel:DWORD dst_unused:UNUSED_PAD src0_sel:BYTE_0 src1_sel:DWORD
	v_or_b32_sdwa v5, v22, v5 dst_sel:WORD_1 dst_unused:UNUSED_PAD src0_sel:DWORD src1_sel:DWORD
	v_or_b32_sdwa v4, v4, v5 dst_sel:DWORD dst_unused:UNUSED_PAD src0_sel:WORD_0 src1_sel:DWORD
.LBB437_67:
	s_or_b64 exec, exec, s[4:5]
	v_add_u32_e32 v5, 6, v30
	v_cmp_le_u32_e32 vcc, s18, v5
	v_lshrrev_b32_e32 v7, 24, v6
                                        ; implicit-def: $vgpr32
                                        ; implicit-def: $vgpr5
	s_and_saveexec_b64 s[2:3], vcc
	s_xor_b64 s[2:3], exec, s[2:3]
	s_cbranch_execz .LBB437_69
; %bb.68:
	s_mov_b32 s4, 0x40c0100
	v_perm_b32 v5, v7, v6, s4
	v_mov_b32_e32 v6, 8
	v_lshrrev_b32_sdwa v6, v6, v5 dst_sel:BYTE_1 dst_unused:UNUSED_PAD src0_sel:DWORD src1_sel:DWORD
	v_or_b32_sdwa v6, v5, v6 dst_sel:DWORD dst_unused:UNUSED_PAD src0_sel:BYTE_0 src1_sel:DWORD
	v_and_b32_e32 v6, 0xffff, v6
	s_mov_b32 s4, 0xff000000
	v_and_b32_e32 v8, 0xff0000, v4
	v_and_or_b32 v5, v5, s4, v6
	s_mov_b32 s4, 0x3020504
	v_perm_b32 v32, v4, v8, s4
	s_mov_b32 s4, 0x3060504
	v_perm_b32 v3, v3, v3, s4
                                        ; implicit-def: $vgpr6
                                        ; implicit-def: $vgpr7
                                        ; implicit-def: $vgpr4
.LBB437_69:
	s_andn2_saveexec_b64 s[4:5], s[2:3]
	s_cbranch_execz .LBB437_73
; %bb.70:
	v_add_u32_e32 v5, s37, v13
	v_add_u32_e32 v8, s39, v13
	v_mul_lo_u32 v5, v5, s36
	v_mul_lo_u32 v8, v8, s38
	s_mov_b64 s[8:9], 0
	v_sub_u32_e32 v5, v5, v8
	v_cmp_lt_u32_e32 vcc, s40, v5
	v_cmp_ge_u32_e64 s[2:3], s40, v5
	s_and_saveexec_b64 s[10:11], s[2:3]
	s_cbranch_execz .LBB437_72
; %bb.71:
	v_add_u32_e32 v5, s42, v13
	v_add_u32_e32 v8, s58, v13
	v_mul_lo_u32 v5, v5, s41
	v_mul_lo_u32 v8, v8, s43
	v_sub_u32_e32 v5, v5, v8
	v_cmp_lt_u32_e64 s[2:3], s59, v5
	s_and_b64 s[8:9], s[2:3], exec
.LBB437_72:
	s_or_b64 exec, exec, s[10:11]
	v_mov_b32_e32 v21, 8
	v_cndmask_b32_e64 v5, 0, 1, vcc
	v_lshrrev_b32_sdwa v22, v21, v6 dst_sel:BYTE_1 dst_unused:UNUSED_PAD src0_sel:DWORD src1_sel:DWORD
	v_lshlrev_b16_e32 v7, 8, v7
	v_or_b32_sdwa v6, v6, v22 dst_sel:DWORD dst_unused:UNUSED_PAD src0_sel:BYTE_0 src1_sel:DWORD
	v_or_b32_sdwa v5, v5, v7 dst_sel:WORD_1 dst_unused:UNUSED_PAD src0_sel:DWORD src1_sel:DWORD
	v_cndmask_b32_e64 v8, 0, 1, s[8:9]
	s_movk_i32 s2, 0xff
	v_or_b32_sdwa v5, v6, v5 dst_sel:DWORD dst_unused:UNUSED_PAD src0_sel:WORD_0 src1_sel:DWORD
	v_lshrrev_b32_sdwa v6, v21, v4 dst_sel:BYTE_1 dst_unused:UNUSED_PAD src0_sel:DWORD src1_sel:DWORD
	v_or_b32_sdwa v6, v4, v6 dst_sel:DWORD dst_unused:UNUSED_PAD src0_sel:BYTE_0 src1_sel:DWORD
	v_lshlrev_b16_e32 v7, 8, v8
	v_and_b32_sdwa v4, v4, s2 dst_sel:DWORD dst_unused:UNUSED_PAD src0_sel:WORD_1 src1_sel:DWORD
	v_or_b32_sdwa v4, v4, v7 dst_sel:WORD_1 dst_unused:UNUSED_PAD src0_sel:DWORD src1_sel:DWORD
	v_or_b32_sdwa v32, v6, v4 dst_sel:DWORD dst_unused:UNUSED_PAD src0_sel:WORD_0 src1_sel:DWORD
.LBB437_73:
	s_or_b64 exec, exec, s[4:5]
	v_add_u32_e32 v4, 7, v30
	v_cmp_le_u32_e32 vcc, s18, v4
	v_lshrrev_b32_e32 v6, 24, v3
                                        ; implicit-def: $vgpr4
                                        ; implicit-def: $vgpr33
	s_and_saveexec_b64 s[2:3], vcc
	s_xor_b64 s[2:3], exec, s[2:3]
; %bb.74:
	v_and_b32_e32 v4, 0xff0000, v5
	s_mov_b32 s4, 0x3020504
	v_perm_b32 v33, v5, v4, s4
	s_movk_i32 s4, 0xff
	v_lshlrev_b16_e32 v4, 8, v6
	v_and_b32_sdwa v5, v3, s4 dst_sel:DWORD dst_unused:UNUSED_PAD src0_sel:WORD_1 src1_sel:DWORD
	v_mov_b32_e32 v7, 8
	v_or_b32_sdwa v4, v5, v4 dst_sel:WORD_1 dst_unused:UNUSED_PAD src0_sel:DWORD src1_sel:DWORD
	v_lshrrev_b32_sdwa v4, v7, v3 dst_sel:BYTE_1 dst_unused:UNUSED_PRESERVE src0_sel:DWORD src1_sel:DWORD
                                        ; implicit-def: $vgpr5
                                        ; implicit-def: $vgpr6
                                        ; implicit-def: $vgpr3
; %bb.75:
	s_andn2_saveexec_b64 s[4:5], s[2:3]
	s_cbranch_execz .LBB437_79
; %bb.76:
	v_add_u32_e32 v4, s37, v14
	v_add_u32_e32 v7, s39, v14
	v_mul_lo_u32 v4, v4, s36
	v_mul_lo_u32 v7, v7, s38
	s_mov_b64 s[8:9], 0
	v_sub_u32_e32 v4, v4, v7
	v_cmp_lt_u32_e32 vcc, s40, v4
	v_cmp_ge_u32_e64 s[2:3], s40, v4
	s_and_saveexec_b64 s[10:11], s[2:3]
	s_cbranch_execz .LBB437_78
; %bb.77:
	v_add_u32_e32 v4, s42, v14
	v_add_u32_e32 v7, s58, v14
	v_mul_lo_u32 v4, v4, s41
	v_mul_lo_u32 v7, v7, s43
	v_sub_u32_e32 v4, v4, v7
	v_cmp_lt_u32_e64 s[2:3], s59, v4
	s_and_b64 s[8:9], s[2:3], exec
.LBB437_78:
	s_or_b64 exec, exec, s[10:11]
	v_mov_b32_e32 v8, 8
	v_cndmask_b32_e64 v4, 0, 1, vcc
	s_movk_i32 s2, 0xff
	v_lshrrev_b32_sdwa v21, v8, v5 dst_sel:BYTE_1 dst_unused:UNUSED_PAD src0_sel:DWORD src1_sel:DWORD
	v_or_b32_sdwa v21, v5, v21 dst_sel:DWORD dst_unused:UNUSED_PAD src0_sel:BYTE_0 src1_sel:DWORD
	v_lshlrev_b16_e32 v4, 8, v4
	v_and_b32_sdwa v5, v5, s2 dst_sel:DWORD dst_unused:UNUSED_PAD src0_sel:WORD_1 src1_sel:DWORD
	v_or_b32_sdwa v4, v5, v4 dst_sel:WORD_1 dst_unused:UNUSED_PAD src0_sel:DWORD src1_sel:DWORD
	v_cndmask_b32_e64 v7, 0, 1, s[8:9]
	v_or_b32_sdwa v33, v21, v4 dst_sel:DWORD dst_unused:UNUSED_PAD src0_sel:WORD_0 src1_sel:DWORD
	v_lshlrev_b16_e32 v4, 8, v6
	v_and_b32_sdwa v5, v3, s2 dst_sel:DWORD dst_unused:UNUSED_PAD src0_sel:WORD_1 src1_sel:DWORD
	v_lshrrev_b32_sdwa v3, v8, v3 dst_sel:BYTE_1 dst_unused:UNUSED_PAD src0_sel:DWORD src1_sel:DWORD
	v_or_b32_sdwa v4, v5, v4 dst_sel:WORD_1 dst_unused:UNUSED_PAD src0_sel:DWORD src1_sel:DWORD
	v_or_b32_e32 v3, v7, v3
	v_or_b32_sdwa v4, v3, v4 dst_sel:DWORD dst_unused:UNUSED_PAD src0_sel:WORD_0 src1_sel:DWORD
.LBB437_79:
	s_or_b64 exec, exec, s[4:5]
	v_add_u32_e32 v3, 8, v30
	v_cmp_le_u32_e32 vcc, s18, v3
	v_lshrrev_b32_e32 v6, 24, v4
	v_lshrrev_b32_e32 v7, 24, v2
                                        ; implicit-def: $vgpr5
                                        ; implicit-def: $vgpr3
	s_and_saveexec_b64 s[2:3], vcc
	s_xor_b64 s[2:3], exec, s[2:3]
	s_cbranch_execz .LBB437_81
; %bb.80:
	s_movk_i32 s4, 0xff
	v_lshlrev_b16_e32 v3, 8, v7
	v_and_b32_sdwa v5, v2, s4 dst_sel:DWORD dst_unused:UNUSED_PAD src0_sel:WORD_1 src1_sel:DWORD
	v_or_b32_sdwa v3, v5, v3 dst_sel:WORD_1 dst_unused:UNUSED_PAD src0_sel:DWORD src1_sel:DWORD
	v_mov_b32_e32 v5, 8
	v_lshrrev_b32_sdwa v3, v5, v2 dst_sel:BYTE_1 dst_unused:UNUSED_PRESERVE src0_sel:DWORD src1_sel:DWORD
	v_lshlrev_b16_e32 v2, 8, v6
	v_and_b32_sdwa v5, v4, s4 dst_sel:DWORD dst_unused:UNUSED_PAD src0_sel:WORD_1 src1_sel:DWORD
	s_mov_b32 s5, 0x3060504
	v_or_b32_e32 v2, v5, v2
	s_mov_b32 s4, 0x5040c00
	v_perm_b32 v1, v1, v1, s5
	v_perm_b32 v5, v2, v4, s4
                                        ; implicit-def: $vgpr7
                                        ; implicit-def: $vgpr2
                                        ; implicit-def: $vgpr4
                                        ; implicit-def: $vgpr6
.LBB437_81:
	s_andn2_saveexec_b64 s[4:5], s[2:3]
	s_cbranch_execz .LBB437_85
; %bb.82:
	v_add_u32_e32 v3, s37, v11
	v_add_u32_e32 v5, s39, v11
	v_mul_lo_u32 v3, v3, s36
	v_mul_lo_u32 v5, v5, s38
	s_mov_b64 s[8:9], 0
	v_sub_u32_e32 v3, v3, v5
	v_cmp_lt_u32_e32 vcc, s40, v3
	v_cmp_ge_u32_e64 s[2:3], s40, v3
	s_and_saveexec_b64 s[10:11], s[2:3]
	s_cbranch_execz .LBB437_84
; %bb.83:
	v_add_u32_e32 v3, s42, v11
	v_add_u32_e32 v5, s58, v11
	v_mul_lo_u32 v3, v3, s41
	v_mul_lo_u32 v5, v5, s43
	v_sub_u32_e32 v3, v3, v5
	v_cmp_lt_u32_e64 s[2:3], s59, v3
	s_and_b64 s[8:9], s[2:3], exec
.LBB437_84:
	s_or_b64 exec, exec, s[10:11]
	s_movk_i32 s2, 0xff
	v_lshlrev_b16_e32 v7, 8, v7
	v_and_b32_sdwa v8, v2, s2 dst_sel:DWORD dst_unused:UNUSED_PAD src0_sel:WORD_1 src1_sel:DWORD
	v_or_b32_sdwa v7, v8, v7 dst_sel:WORD_1 dst_unused:UNUSED_PAD src0_sel:DWORD src1_sel:DWORD
	v_mov_b32_e32 v8, 8
	v_cndmask_b32_e64 v3, 0, 1, vcc
	v_lshrrev_b32_sdwa v2, v8, v2 dst_sel:BYTE_1 dst_unused:UNUSED_PAD src0_sel:DWORD src1_sel:DWORD
	v_cndmask_b32_e64 v5, 0, 1, s[8:9]
	v_or_b32_e32 v2, v3, v2
	v_or_b32_sdwa v3, v2, v7 dst_sel:DWORD dst_unused:UNUSED_PAD src0_sel:WORD_0 src1_sel:DWORD
	v_lshlrev_b16_e32 v2, 8, v5
	v_or_b32_sdwa v2, v4, v2 dst_sel:DWORD dst_unused:UNUSED_PAD src0_sel:BYTE_0 src1_sel:DWORD
	v_lshlrev_b16_e32 v5, 8, v6
	v_and_b32_sdwa v4, v4, s2 dst_sel:DWORD dst_unused:UNUSED_PAD src0_sel:WORD_1 src1_sel:DWORD
	v_or_b32_sdwa v4, v4, v5 dst_sel:WORD_1 dst_unused:UNUSED_PAD src0_sel:DWORD src1_sel:DWORD
	v_or_b32_sdwa v5, v2, v4 dst_sel:DWORD dst_unused:UNUSED_PAD src0_sel:WORD_0 src1_sel:DWORD
.LBB437_85:
	s_or_b64 exec, exec, s[4:5]
	v_add_u32_e32 v2, 9, v30
	v_cmp_le_u32_e32 vcc, s18, v2
	v_lshrrev_b32_e32 v6, 24, v5
	v_lshrrev_b32_e32 v7, 24, v3
                                        ; implicit-def: $vgpr2
                                        ; implicit-def: $vgpr4
	s_and_saveexec_b64 s[2:3], vcc
	s_xor_b64 s[2:3], exec, s[2:3]
	s_cbranch_execz .LBB437_87
; %bb.86:
	s_mov_b32 s4, 0x40c0100
	v_perm_b32 v2, v6, v5, s4
	v_mov_b32_e32 v4, 8
	s_movk_i32 s4, 0xff
	v_lshrrev_b32_sdwa v5, v4, v2 dst_sel:BYTE_1 dst_unused:UNUSED_PAD src0_sel:DWORD src1_sel:DWORD
	v_lshlrev_b16_e32 v4, 8, v7
	v_and_b32_sdwa v6, v3, s4 dst_sel:DWORD dst_unused:UNUSED_PAD src0_sel:WORD_1 src1_sel:DWORD
	v_or_b32_e32 v4, v6, v4
	s_mov_b32 s4, 0x5040c00
	v_perm_b32 v4, v4, v3, s4
	s_mov_b32 s4, 0x3060504
	v_or_b32_sdwa v3, v2, v5 dst_sel:DWORD dst_unused:UNUSED_PAD src0_sel:BYTE_0 src1_sel:DWORD
	v_perm_b32 v1, v1, v1, s4
	v_and_b32_e32 v3, 0xffff, v3
	s_mov_b32 s4, 0xff000000
	v_and_or_b32 v2, v2, s4, v3
                                        ; implicit-def: $vgpr3
                                        ; implicit-def: $vgpr7
                                        ; implicit-def: $vgpr5
                                        ; implicit-def: $vgpr6
.LBB437_87:
	s_andn2_saveexec_b64 s[4:5], s[2:3]
	s_cbranch_execz .LBB437_91
; %bb.88:
	v_add_u32_e32 v2, s37, v12
	v_add_u32_e32 v4, s39, v12
	v_mul_lo_u32 v2, v2, s36
	v_mul_lo_u32 v4, v4, s38
	s_mov_b64 s[8:9], 0
	v_sub_u32_e32 v2, v2, v4
	v_cmp_lt_u32_e32 vcc, s40, v2
	v_cmp_ge_u32_e64 s[2:3], s40, v2
	s_and_saveexec_b64 s[10:11], s[2:3]
	s_cbranch_execz .LBB437_90
; %bb.89:
	v_add_u32_e32 v2, s42, v12
	v_add_u32_e32 v4, s58, v12
	v_mul_lo_u32 v2, v2, s41
	v_mul_lo_u32 v4, v4, s43
	v_sub_u32_e32 v2, v2, v4
	v_cmp_lt_u32_e64 s[2:3], s59, v2
	s_and_b64 s[8:9], s[2:3], exec
.LBB437_90:
	s_or_b64 exec, exec, s[10:11]
	v_cndmask_b32_e64 v2, 0, 1, vcc
	v_lshlrev_b16_e32 v2, 8, v2
	s_movk_i32 s2, 0xff
	v_or_b32_sdwa v2, v3, v2 dst_sel:DWORD dst_unused:UNUSED_PAD src0_sel:BYTE_0 src1_sel:DWORD
	v_lshlrev_b16_e32 v4, 8, v7
	v_and_b32_sdwa v3, v3, s2 dst_sel:DWORD dst_unused:UNUSED_PAD src0_sel:WORD_1 src1_sel:DWORD
	v_or_b32_sdwa v3, v3, v4 dst_sel:WORD_1 dst_unused:UNUSED_PAD src0_sel:DWORD src1_sel:DWORD
	v_or_b32_sdwa v4, v2, v3 dst_sel:DWORD dst_unused:UNUSED_PAD src0_sel:WORD_0 src1_sel:DWORD
	v_mov_b32_e32 v2, 8
	v_cndmask_b32_e64 v8, 0, 1, s[8:9]
	v_lshrrev_b32_sdwa v2, v2, v5 dst_sel:BYTE_1 dst_unused:UNUSED_PAD src0_sel:DWORD src1_sel:DWORD
	v_lshlrev_b16_e32 v3, 8, v6
	v_or_b32_sdwa v2, v5, v2 dst_sel:DWORD dst_unused:UNUSED_PAD src0_sel:BYTE_0 src1_sel:DWORD
	v_or_b32_sdwa v3, v8, v3 dst_sel:WORD_1 dst_unused:UNUSED_PAD src0_sel:DWORD src1_sel:DWORD
	v_or_b32_sdwa v2, v2, v3 dst_sel:DWORD dst_unused:UNUSED_PAD src0_sel:WORD_0 src1_sel:DWORD
.LBB437_91:
	s_or_b64 exec, exec, s[4:5]
	v_add_u32_e32 v3, 10, v30
	v_cmp_le_u32_e32 vcc, s18, v3
	v_lshrrev_b32_e32 v5, 24, v4
                                        ; implicit-def: $vgpr34
                                        ; implicit-def: $vgpr3
	s_and_saveexec_b64 s[2:3], vcc
	s_xor_b64 s[2:3], exec, s[2:3]
	s_cbranch_execz .LBB437_93
; %bb.92:
	s_mov_b32 s4, 0x40c0100
	v_perm_b32 v3, v5, v4, s4
	v_mov_b32_e32 v4, 8
	v_lshrrev_b32_sdwa v4, v4, v3 dst_sel:BYTE_1 dst_unused:UNUSED_PAD src0_sel:DWORD src1_sel:DWORD
	v_or_b32_sdwa v4, v3, v4 dst_sel:DWORD dst_unused:UNUSED_PAD src0_sel:BYTE_0 src1_sel:DWORD
	v_and_b32_e32 v4, 0xffff, v4
	s_mov_b32 s4, 0xff000000
	v_and_or_b32 v3, v3, s4, v4
	s_mov_b32 s4, 0x3060504
	v_and_b32_e32 v6, 0xff0000, v2
	v_perm_b32 v1, v1, v1, s4
	s_mov_b32 s4, 0x3020504
	v_perm_b32 v34, v2, v6, s4
                                        ; implicit-def: $vgpr4
                                        ; implicit-def: $vgpr5
                                        ; implicit-def: $vgpr2
.LBB437_93:
	s_andn2_saveexec_b64 s[4:5], s[2:3]
	s_cbranch_execz .LBB437_97
; %bb.94:
	v_add_u32_e32 v3, s37, v9
	v_add_u32_e32 v6, s39, v9
	v_mul_lo_u32 v3, v3, s36
	v_mul_lo_u32 v6, v6, s38
	s_mov_b64 s[8:9], 0
	v_sub_u32_e32 v3, v3, v6
	v_cmp_lt_u32_e32 vcc, s40, v3
	v_cmp_ge_u32_e64 s[2:3], s40, v3
	s_and_saveexec_b64 s[10:11], s[2:3]
	s_cbranch_execz .LBB437_96
; %bb.95:
	v_add_u32_e32 v3, s42, v9
	v_add_u32_e32 v6, s58, v9
	v_mul_lo_u32 v3, v3, s41
	v_mul_lo_u32 v6, v6, s43
	v_sub_u32_e32 v3, v3, v6
	v_cmp_lt_u32_e64 s[2:3], s59, v3
	s_and_b64 s[8:9], s[2:3], exec
.LBB437_96:
	s_or_b64 exec, exec, s[10:11]
	v_mov_b32_e32 v7, 8
	v_cndmask_b32_e64 v3, 0, 1, vcc
	v_lshrrev_b32_sdwa v8, v7, v4 dst_sel:BYTE_1 dst_unused:UNUSED_PAD src0_sel:DWORD src1_sel:DWORD
	v_lshlrev_b16_e32 v5, 8, v5
	v_or_b32_sdwa v4, v4, v8 dst_sel:DWORD dst_unused:UNUSED_PAD src0_sel:BYTE_0 src1_sel:DWORD
	v_or_b32_sdwa v3, v3, v5 dst_sel:WORD_1 dst_unused:UNUSED_PAD src0_sel:DWORD src1_sel:DWORD
	v_cndmask_b32_e64 v6, 0, 1, s[8:9]
	s_movk_i32 s2, 0xff
	v_or_b32_sdwa v3, v4, v3 dst_sel:DWORD dst_unused:UNUSED_PAD src0_sel:WORD_0 src1_sel:DWORD
	v_lshrrev_b32_sdwa v4, v7, v2 dst_sel:BYTE_1 dst_unused:UNUSED_PAD src0_sel:DWORD src1_sel:DWORD
	v_or_b32_sdwa v4, v2, v4 dst_sel:DWORD dst_unused:UNUSED_PAD src0_sel:BYTE_0 src1_sel:DWORD
	v_lshlrev_b16_e32 v5, 8, v6
	v_and_b32_sdwa v2, v2, s2 dst_sel:DWORD dst_unused:UNUSED_PAD src0_sel:WORD_1 src1_sel:DWORD
	v_or_b32_sdwa v2, v2, v5 dst_sel:WORD_1 dst_unused:UNUSED_PAD src0_sel:DWORD src1_sel:DWORD
	v_or_b32_sdwa v34, v4, v2 dst_sel:DWORD dst_unused:UNUSED_PAD src0_sel:WORD_0 src1_sel:DWORD
.LBB437_97:
	s_or_b64 exec, exec, s[4:5]
	v_add_u32_e32 v2, 11, v30
	v_mov_b32_e32 v35, 0
	v_cmp_le_u32_e32 vcc, s18, v2
                                        ; implicit-def: $vgpr36
	s_and_saveexec_b64 s[2:3], vcc
	s_xor_b64 s[2:3], exec, s[2:3]
; %bb.98:
	v_and_b32_e32 v2, 0xff0000, v3
	s_mov_b32 s4, 0x3020504
	v_perm_b32 v36, v3, v2, s4
	s_mov_b32 s4, 0x3060504
	v_perm_b32 v1, v1, v1, s4
                                        ; implicit-def: $vgpr3
; %bb.99:
	s_andn2_saveexec_b64 s[4:5], s[2:3]
	s_cbranch_execz .LBB437_103
; %bb.100:
	v_add_u32_e32 v2, s37, v10
	v_add_u32_e32 v4, s39, v10
	v_mul_lo_u32 v2, v2, s36
	v_mul_lo_u32 v4, v4, s38
	s_mov_b64 s[8:9], 0
	v_sub_u32_e32 v2, v2, v4
	v_cmp_lt_u32_e32 vcc, s40, v2
	v_cmp_ge_u32_e64 s[2:3], s40, v2
	s_and_saveexec_b64 s[10:11], s[2:3]
	s_cbranch_execz .LBB437_102
; %bb.101:
	v_add_u32_e32 v2, s42, v10
	v_add_u32_e32 v4, s58, v10
	v_mul_lo_u32 v2, v2, s41
	v_mul_lo_u32 v4, v4, s43
	v_sub_u32_e32 v2, v2, v4
	v_cmp_lt_u32_e64 s[2:3], s59, v2
	s_and_b64 s[8:9], s[2:3], exec
.LBB437_102:
	s_or_b64 exec, exec, s[10:11]
	v_mov_b32_e32 v4, 8
	v_cndmask_b32_e64 v2, 0, 1, vcc
	s_movk_i32 s2, 0xff
	v_lshrrev_b32_sdwa v4, v4, v3 dst_sel:BYTE_1 dst_unused:UNUSED_PAD src0_sel:DWORD src1_sel:DWORD
	v_or_b32_sdwa v4, v3, v4 dst_sel:DWORD dst_unused:UNUSED_PAD src0_sel:BYTE_0 src1_sel:DWORD
	v_lshlrev_b16_e32 v2, 8, v2
	v_and_b32_sdwa v3, v3, s2 dst_sel:DWORD dst_unused:UNUSED_PAD src0_sel:WORD_1 src1_sel:DWORD
	v_or_b32_sdwa v2, v3, v2 dst_sel:WORD_1 dst_unused:UNUSED_PAD src0_sel:DWORD src1_sel:DWORD
	v_cndmask_b32_e64 v35, 0, 1, s[8:9]
	v_or_b32_sdwa v36, v4, v2 dst_sel:DWORD dst_unused:UNUSED_PAD src0_sel:WORD_0 src1_sel:DWORD
.LBB437_103:
	s_or_b64 exec, exec, s[4:5]
	v_add_u32_e32 v2, 12, v30
	v_cmp_le_u32_e32 vcc, s18, v2
	v_lshrrev_b32_e32 v2, 24, v1
                                        ; implicit-def: $vgpr37
	s_and_saveexec_b64 s[2:3], vcc
	s_xor_b64 s[2:3], exec, s[2:3]
; %bb.104:
	s_movk_i32 s4, 0xff
	v_lshlrev_b16_e32 v2, 8, v2
	v_and_b32_sdwa v4, v1, s4 dst_sel:DWORD dst_unused:UNUSED_PAD src0_sel:WORD_1 src1_sel:DWORD
	v_mov_b32_e32 v3, 8
	v_or_b32_sdwa v37, v4, v2 dst_sel:WORD_1 dst_unused:UNUSED_PAD src0_sel:DWORD src1_sel:DWORD
	v_lshrrev_b32_sdwa v37, v3, v1 dst_sel:BYTE_1 dst_unused:UNUSED_PRESERVE src0_sel:DWORD src1_sel:DWORD
                                        ; implicit-def: $vgpr2
                                        ; implicit-def: $vgpr1
; %bb.105:
	s_or_saveexec_b64 s[4:5], s[2:3]
	v_mov_b32_e32 v38, 0
	s_xor_b64 exec, exec, s[4:5]
	s_cbranch_execz .LBB437_109
; %bb.106:
	v_add_u32_e32 v3, s37, v29
	v_add_u32_e32 v4, s39, v29
	v_mul_lo_u32 v3, v3, s36
	v_mul_lo_u32 v4, v4, s38
	s_mov_b64 s[8:9], 0
	v_sub_u32_e32 v3, v3, v4
	v_cmp_lt_u32_e32 vcc, s40, v3
	v_cmp_ge_u32_e64 s[2:3], s40, v3
	s_and_saveexec_b64 s[10:11], s[2:3]
	s_cbranch_execz .LBB437_108
; %bb.107:
	v_add_u32_e32 v3, s42, v29
	v_add_u32_e32 v4, s58, v29
	v_mul_lo_u32 v3, v3, s41
	v_mul_lo_u32 v4, v4, s43
	v_sub_u32_e32 v3, v3, v4
	v_cmp_lt_u32_e64 s[2:3], s59, v3
	s_and_b64 s[8:9], s[2:3], exec
.LBB437_108:
	s_or_b64 exec, exec, s[10:11]
	s_movk_i32 s2, 0xff
	v_lshlrev_b16_e32 v2, 8, v2
	v_and_b32_sdwa v4, v1, s2 dst_sel:DWORD dst_unused:UNUSED_PAD src0_sel:WORD_1 src1_sel:DWORD
	v_or_b32_sdwa v2, v4, v2 dst_sel:WORD_1 dst_unused:UNUSED_PAD src0_sel:DWORD src1_sel:DWORD
	v_mov_b32_e32 v4, 8
	v_cndmask_b32_e64 v3, 0, 1, vcc
	v_lshrrev_b32_sdwa v1, v4, v1 dst_sel:BYTE_1 dst_unused:UNUSED_PAD src0_sel:DWORD src1_sel:DWORD
	v_or_b32_e32 v1, v3, v1
	v_cndmask_b32_e64 v38, 0, 1, s[8:9]
	v_or_b32_sdwa v37, v1, v2 dst_sel:DWORD dst_unused:UNUSED_PAD src0_sel:WORD_0 src1_sel:DWORD
.LBB437_109:
	s_or_b64 exec, exec, s[4:5]
.LBB437_110:
	v_and_b32_e32 v48, 0xff, v31
	v_bfe_u32 v45, v31, 8, 8
	v_bfe_u32 v50, v31, 16, 8
	v_lshrrev_b32_e32 v43, 24, v31
	v_and_b32_e32 v51, 0xff, v33
	v_add3_u32 v4, v45, v48, v50
	v_bfe_u32 v46, v33, 8, 8
	v_bfe_u32 v53, v33, 16, 8
	v_add3_u32 v4, v4, v43, v51
	v_bfe_u32 v49, v37, 8, 8
	v_bfe_u32 v57, v37, 16, 8
	v_lshrrev_b32_e32 v44, 24, v37
	v_lshrrev_b32_e32 v41, 24, v33
	v_and_b32_e32 v54, 0xff, v36
	v_add3_u32 v4, v4, v46, v53
	v_and_b32_e32 v58, 0xff, v32
	v_bfe_u32 v52, v32, 8, 8
	v_bfe_u32 v47, v36, 8, 8
	;; [unrolled: 1-line block ×3, first 2 shown]
	v_add3_u32 v3, v57, v49, v44
	v_add3_u32 v4, v4, v41, v54
	v_bfe_u32 v59, v32, 16, 8
	v_lshrrev_b32_e32 v42, 24, v32
	v_lshrrev_b32_e32 v39, 24, v36
	v_and_b32_e32 v1, 0xff, v37
	v_add3_u32 v3, v3, v58, v52
	v_add3_u32 v4, v4, v47, v56
	v_and_b32_e32 v60, 0xff, v34
	v_bfe_u32 v55, v34, 8, 8
	v_add3_u32 v3, v3, v59, v42
	v_add3_u32 v68, v4, v39, v1
	v_mbcnt_lo_u32_b32 v1, -1, 0
	v_bfe_u32 v61, v34, 16, 8
	v_lshrrev_b32_e32 v40, 24, v34
	v_add3_u32 v3, v3, v60, v55
	v_mbcnt_hi_u32_b32 v63, -1, v1
	v_and_b32_e32 v62, 0xff, v35
	v_and_b32_e32 v2, 0xff, v38
	v_add3_u32 v3, v3, v61, v40
	v_and_b32_e32 v67, 15, v63
	s_cmp_lg_u32 s6, 0
	v_add3_u32 v69, v3, v62, v2
	v_cmp_eq_u32_e64 s[4:5], 0, v67
	v_cmp_lt_u32_e64 s[2:3], 1, v67
	v_cmp_lt_u32_e64 s[8:9], 3, v67
	v_cmp_lt_u32_e64 s[10:11], 7, v67
	v_and_b32_e32 v66, 16, v63
	v_cmp_lt_u32_e32 vcc, 31, v63
	v_lshrrev_b32_e32 v64, 6, v0
	v_or_b32_e32 v65, 63, v0
	s_cbranch_scc0 .LBB437_132
; %bb.111:
	v_mov_b32_dpp v1, v68 row_shr:1 row_mask:0xf bank_mask:0xf
	v_mov_b32_dpp v2, v69 row_shr:1 row_mask:0xf bank_mask:0xf
	v_add_u32_e32 v1, v1, v68
	v_add_u32_e32 v2, v2, v69
	v_cndmask_b32_e64 v2, v2, v69, s[4:5]
	v_cndmask_b32_e64 v1, v1, v68, s[4:5]
	s_nop 0
	v_mov_b32_dpp v4, v2 row_shr:2 row_mask:0xf bank_mask:0xf
	v_mov_b32_dpp v3, v1 row_shr:2 row_mask:0xf bank_mask:0xf
	v_add_u32_e32 v3, v1, v3
	v_add_u32_e32 v4, v2, v4
	v_cndmask_b32_e64 v2, v2, v4, s[2:3]
	v_cndmask_b32_e64 v1, v1, v3, s[2:3]
	s_nop 0
	v_mov_b32_dpp v4, v2 row_shr:4 row_mask:0xf bank_mask:0xf
	v_mov_b32_dpp v3, v1 row_shr:4 row_mask:0xf bank_mask:0xf
	v_add_u32_e32 v3, v1, v3
	v_add_u32_e32 v4, v2, v4
	v_cndmask_b32_e64 v2, v2, v4, s[8:9]
	v_cndmask_b32_e64 v1, v1, v3, s[8:9]
	v_cmp_eq_u32_e64 s[8:9], 0, v66
	v_mov_b32_dpp v4, v2 row_shr:8 row_mask:0xf bank_mask:0xf
	v_mov_b32_dpp v3, v1 row_shr:8 row_mask:0xf bank_mask:0xf
	v_add_u32_e32 v3, v1, v3
	v_add_u32_e32 v4, v2, v4
	v_cndmask_b32_e64 v2, v2, v4, s[10:11]
	v_cndmask_b32_e64 v3, v1, v3, s[10:11]
	s_nop 0
	v_mov_b32_dpp v4, v2 row_bcast:15 row_mask:0xf bank_mask:0xf
	v_mov_b32_dpp v1, v3 row_bcast:15 row_mask:0xf bank_mask:0xf
	v_add_u32_e32 v5, v3, v1
	v_add_u32_e32 v1, v2, v4
	v_cndmask_b32_e64 v1, v1, v2, s[8:9]
	v_cndmask_b32_e64 v2, v5, v3, s[8:9]
	v_cmp_eq_u32_e64 s[8:9], v0, v65
	v_mov_b32_dpp v3, v1 row_bcast:31 row_mask:0xf bank_mask:0xf
	v_mov_b32_dpp v4, v2 row_bcast:31 row_mask:0xf bank_mask:0xf
	v_add_u32_e32 v3, v1, v3
	v_add_u32_e32 v4, v2, v4
	s_and_saveexec_b64 s[10:11], s[8:9]
; %bb.112:
	v_lshlrev_b32_e32 v7, 3, v64
	v_cndmask_b32_e32 v6, v1, v3, vcc
	v_cndmask_b32_e32 v5, v2, v4, vcc
	ds_write_b64 v7, v[5:6]
; %bb.113:
	s_or_b64 exec, exec, s[10:11]
	v_cmp_gt_u32_e64 s[8:9], 4, v0
	s_waitcnt lgkmcnt(0)
	s_barrier
	s_and_saveexec_b64 s[10:11], s[8:9]
	s_cbranch_execz .LBB437_115
; %bb.114:
	v_lshlrev_b32_e32 v7, 3, v0
	ds_read_b64 v[5:6], v7
	v_and_b32_e32 v8, 3, v63
	v_cmp_eq_u32_e64 s[8:9], 0, v8
	s_waitcnt lgkmcnt(0)
	v_mov_b32_dpp v21, v5 row_shr:1 row_mask:0xf bank_mask:0xf
	v_mov_b32_dpp v22, v6 row_shr:1 row_mask:0xf bank_mask:0xf
	v_add_u32_e32 v21, v21, v5
	v_add_u32_e32 v22, v22, v6
	v_cndmask_b32_e64 v6, v22, v6, s[8:9]
	v_cndmask_b32_e64 v5, v21, v5, s[8:9]
	v_cmp_lt_u32_e64 s[8:9], 1, v8
	v_mov_b32_dpp v22, v6 row_shr:2 row_mask:0xf bank_mask:0xf
	v_mov_b32_dpp v21, v5 row_shr:2 row_mask:0xf bank_mask:0xf
	v_cndmask_b32_e64 v8, 0, v21, s[8:9]
	v_cndmask_b32_e64 v21, 0, v22, s[8:9]
	v_add_u32_e32 v6, v21, v6
	v_add_u32_e32 v5, v8, v5
	ds_write_b64 v7, v[5:6]
.LBB437_115:
	s_or_b64 exec, exec, s[10:11]
	v_cndmask_b32_e32 v1, v1, v3, vcc
	v_cndmask_b32_e32 v2, v2, v4, vcc
	v_cmp_gt_u32_e32 vcc, 64, v0
	v_cmp_lt_u32_e64 s[8:9], 63, v0
	s_waitcnt lgkmcnt(0)
	s_barrier
                                        ; implicit-def: $vgpr21
	s_and_saveexec_b64 s[10:11], s[8:9]
	s_cbranch_execz .LBB437_117
; %bb.116:
	v_lshl_add_u32 v3, v64, 3, -8
	ds_read_b64 v[21:22], v3
	s_waitcnt lgkmcnt(0)
	v_add_u32_e32 v1, v22, v1
	v_add_u32_e32 v2, v21, v2
.LBB437_117:
	s_or_b64 exec, exec, s[10:11]
	v_subrev_co_u32_e64 v3, s[8:9], 1, v63
	v_and_b32_e32 v4, 64, v63
	v_cmp_lt_i32_e64 s[10:11], v3, v4
	v_cndmask_b32_e64 v3, v3, v63, s[10:11]
	v_lshlrev_b32_e32 v3, 2, v3
	ds_bpermute_b32 v70, v3, v2
	ds_bpermute_b32 v71, v3, v1
	s_and_saveexec_b64 s[10:11], vcc
	s_cbranch_execz .LBB437_137
; %bb.118:
	v_mov_b32_e32 v4, 0
	ds_read_b64 v[1:2], v4 offset:24
	s_and_saveexec_b64 s[14:15], s[8:9]
	s_cbranch_execz .LBB437_120
; %bb.119:
	s_add_i32 s16, s6, 64
	s_mov_b32 s17, 0
	s_lshl_b64 s[16:17], s[16:17], 4
	s_add_u32 s16, s12, s16
	s_addc_u32 s17, s13, s17
	v_mov_b32_e32 v5, s16
	v_mov_b32_e32 v3, 1
	;; [unrolled: 1-line block ×3, first 2 shown]
	s_waitcnt lgkmcnt(0)
	;;#ASMSTART
	global_store_dwordx4 v[5:6], v[1:4] off	
s_waitcnt vmcnt(0)
	;;#ASMEND
.LBB437_120:
	s_or_b64 exec, exec, s[14:15]
	v_xad_u32 v23, v63, -1, s6
	v_add_u32_e32 v3, 64, v23
	v_lshlrev_b64 v[5:6], 4, v[3:4]
	v_mov_b32_e32 v3, s13
	v_add_co_u32_e32 v24, vcc, s12, v5
	v_addc_co_u32_e32 v25, vcc, v3, v6, vcc
	;;#ASMSTART
	global_load_dwordx4 v[5:8], v[24:25] off glc	
s_waitcnt vmcnt(0)
	;;#ASMEND
	v_cmp_eq_u16_sdwa s[16:17], v7, v4 src0_sel:BYTE_0 src1_sel:DWORD
	s_and_saveexec_b64 s[14:15], s[16:17]
	s_cbranch_execz .LBB437_124
; %bb.121:
	s_mov_b64 s[16:17], 0
	v_mov_b32_e32 v3, 0
.LBB437_122:                            ; =>This Inner Loop Header: Depth=1
	;;#ASMSTART
	global_load_dwordx4 v[5:8], v[24:25] off glc	
s_waitcnt vmcnt(0)
	;;#ASMEND
	v_cmp_ne_u16_sdwa s[20:21], v7, v3 src0_sel:BYTE_0 src1_sel:DWORD
	s_or_b64 s[16:17], s[20:21], s[16:17]
	s_andn2_b64 exec, exec, s[16:17]
	s_cbranch_execnz .LBB437_122
; %bb.123:
	s_or_b64 exec, exec, s[16:17]
.LBB437_124:
	s_or_b64 exec, exec, s[14:15]
	v_and_b32_e32 v73, 63, v63
	v_cmp_ne_u32_e32 vcc, 63, v73
	v_mov_b32_e32 v72, 2
	v_lshlrev_b64 v[25:26], v63, -1
	v_addc_co_u32_e32 v8, vcc, 0, v63, vcc
	v_cmp_eq_u16_sdwa s[14:15], v7, v72 src0_sel:BYTE_0 src1_sel:DWORD
	v_lshlrev_b32_e32 v74, 2, v8
	v_and_b32_e32 v3, s15, v26
	ds_bpermute_b32 v8, v74, v5
	ds_bpermute_b32 v24, v74, v6
	v_or_b32_e32 v3, 0x80000000, v3
	v_and_b32_e32 v4, s14, v25
	v_ffbl_b32_e32 v3, v3
	v_add_u32_e32 v3, 32, v3
	v_ffbl_b32_e32 v4, v4
	v_min_u32_e32 v3, v4, v3
	s_waitcnt lgkmcnt(1)
	v_add_u32_e32 v4, v8, v5
	s_waitcnt lgkmcnt(0)
	v_add_u32_e32 v8, v24, v6
	v_cmp_lt_u32_e32 vcc, v73, v3
	v_cndmask_b32_e32 v6, v6, v8, vcc
	v_cndmask_b32_e32 v4, v5, v4, vcc
	v_cmp_gt_u32_e32 vcc, 62, v73
	v_cndmask_b32_e64 v5, 0, 2, vcc
	v_add_lshl_u32 v75, v5, v63, 2
	ds_bpermute_b32 v5, v75, v4
	ds_bpermute_b32 v8, v75, v6
	v_add_u32_e32 v76, 2, v73
	v_cmp_gt_u32_e32 vcc, v76, v3
	v_add_u32_e32 v78, 4, v73
	s_waitcnt lgkmcnt(1)
	v_add_u32_e32 v5, v4, v5
	s_waitcnt lgkmcnt(0)
	v_add_u32_e32 v8, v6, v8
	v_cndmask_b32_e32 v6, v8, v6, vcc
	v_cndmask_b32_e32 v4, v5, v4, vcc
	v_cmp_gt_u32_e32 vcc, 60, v73
	v_cndmask_b32_e64 v5, 0, 4, vcc
	v_add_lshl_u32 v77, v5, v63, 2
	ds_bpermute_b32 v5, v77, v4
	ds_bpermute_b32 v8, v77, v6
	v_cmp_gt_u32_e32 vcc, v78, v3
	v_add_u32_e32 v80, 8, v73
	v_add_u32_e32 v82, 16, v73
	s_waitcnt lgkmcnt(1)
	v_add_u32_e32 v5, v4, v5
	s_waitcnt lgkmcnt(0)
	v_add_u32_e32 v8, v6, v8
	v_cndmask_b32_e32 v6, v8, v6, vcc
	v_cndmask_b32_e32 v4, v5, v4, vcc
	v_cmp_gt_u32_e32 vcc, 56, v73
	v_cndmask_b32_e64 v5, 0, 8, vcc
	v_add_lshl_u32 v79, v5, v63, 2
	ds_bpermute_b32 v5, v79, v4
	ds_bpermute_b32 v8, v79, v6
	v_cmp_gt_u32_e32 vcc, v80, v3
	v_add_u32_e32 v84, 32, v73
	v_mov_b32_e32 v24, 0
	s_waitcnt lgkmcnt(1)
	v_add_u32_e32 v5, v4, v5
	s_waitcnt lgkmcnt(0)
	v_add_u32_e32 v8, v6, v8
	v_cndmask_b32_e32 v6, v8, v6, vcc
	v_cndmask_b32_e32 v4, v5, v4, vcc
	v_cmp_gt_u32_e32 vcc, 48, v73
	v_cndmask_b32_e64 v5, 0, 16, vcc
	v_add_lshl_u32 v81, v5, v63, 2
	ds_bpermute_b32 v5, v81, v4
	ds_bpermute_b32 v8, v81, v6
	v_cmp_gt_u32_e32 vcc, v82, v3
	s_waitcnt lgkmcnt(1)
	v_add_u32_e32 v5, v4, v5
	s_waitcnt lgkmcnt(0)
	v_add_u32_e32 v8, v6, v8
	v_cndmask_b32_e32 v4, v5, v4, vcc
	v_mov_b32_e32 v5, 0x80
	v_cndmask_b32_e32 v6, v8, v6, vcc
	v_lshl_or_b32 v83, v63, 2, v5
	ds_bpermute_b32 v5, v83, v4
	ds_bpermute_b32 v8, v83, v6
	v_cmp_le_u32_e32 vcc, v84, v3
	s_waitcnt lgkmcnt(1)
	v_cndmask_b32_e32 v3, 0, v5, vcc
	s_waitcnt lgkmcnt(0)
	v_cndmask_b32_e32 v5, 0, v8, vcc
	v_add_u32_e32 v6, v6, v5
	v_add_u32_e32 v5, v4, v3
	s_branch .LBB437_128
.LBB437_125:                            ;   in Loop: Header=BB437_128 Depth=1
	s_or_b64 exec, exec, s[16:17]
.LBB437_126:                            ;   in Loop: Header=BB437_128 Depth=1
	s_or_b64 exec, exec, s[14:15]
	v_cmp_eq_u16_sdwa s[14:15], v7, v72 src0_sel:BYTE_0 src1_sel:DWORD
	v_and_b32_e32 v8, s15, v26
	ds_bpermute_b32 v28, v74, v5
	ds_bpermute_b32 v85, v74, v6
	v_or_b32_e32 v8, 0x80000000, v8
	v_and_b32_e32 v27, s14, v25
	v_ffbl_b32_e32 v8, v8
	v_add_u32_e32 v8, 32, v8
	v_ffbl_b32_e32 v27, v27
	v_min_u32_e32 v8, v27, v8
	s_waitcnt lgkmcnt(1)
	v_add_u32_e32 v27, v28, v5
	s_waitcnt lgkmcnt(0)
	v_add_u32_e32 v28, v85, v6
	v_cmp_lt_u32_e32 vcc, v73, v8
	v_cndmask_b32_e32 v6, v6, v28, vcc
	v_cndmask_b32_e32 v5, v5, v27, vcc
	ds_bpermute_b32 v27, v75, v5
	ds_bpermute_b32 v28, v75, v6
	v_cmp_gt_u32_e32 vcc, v76, v8
	v_subrev_u32_e32 v23, 64, v23
	s_mov_b64 s[14:15], 0
	s_waitcnt lgkmcnt(1)
	v_add_u32_e32 v27, v5, v27
	s_waitcnt lgkmcnt(0)
	v_add_u32_e32 v28, v6, v28
	v_cndmask_b32_e32 v6, v28, v6, vcc
	v_cndmask_b32_e32 v5, v27, v5, vcc
	ds_bpermute_b32 v27, v77, v5
	ds_bpermute_b32 v28, v77, v6
	v_cmp_gt_u32_e32 vcc, v78, v8
	s_waitcnt lgkmcnt(1)
	v_add_u32_e32 v27, v5, v27
	s_waitcnt lgkmcnt(0)
	v_add_u32_e32 v28, v6, v28
	v_cndmask_b32_e32 v6, v28, v6, vcc
	v_cndmask_b32_e32 v5, v27, v5, vcc
	ds_bpermute_b32 v27, v79, v5
	ds_bpermute_b32 v28, v79, v6
	v_cmp_gt_u32_e32 vcc, v80, v8
	;; [unrolled: 9-line block ×3, first 2 shown]
	s_waitcnt lgkmcnt(1)
	v_add_u32_e32 v27, v5, v27
	s_waitcnt lgkmcnt(0)
	v_add_u32_e32 v28, v6, v28
	v_cndmask_b32_e32 v6, v28, v6, vcc
	v_cndmask_b32_e32 v5, v27, v5, vcc
	ds_bpermute_b32 v27, v83, v5
	ds_bpermute_b32 v28, v83, v6
	v_cmp_le_u32_e32 vcc, v84, v8
	s_waitcnt lgkmcnt(1)
	v_cndmask_b32_e32 v8, 0, v27, vcc
	s_waitcnt lgkmcnt(0)
	v_cndmask_b32_e32 v27, 0, v28, vcc
	v_add3_u32 v6, v27, v4, v6
	v_add3_u32 v5, v8, v3, v5
.LBB437_127:                            ;   in Loop: Header=BB437_128 Depth=1
	s_and_b64 vcc, exec, s[14:15]
	s_cbranch_vccnz .LBB437_133
.LBB437_128:                            ; =>This Loop Header: Depth=1
                                        ;     Child Loop BB437_131 Depth 2
	v_mov_b32_e32 v3, v5
	v_cmp_ne_u16_sdwa s[14:15], v7, v72 src0_sel:BYTE_0 src1_sel:DWORD
	v_mov_b32_e32 v4, v6
	s_cmp_lg_u64 s[14:15], exec
	s_mov_b64 s[14:15], -1
                                        ; implicit-def: $vgpr7
                                        ; implicit-def: $vgpr5_vgpr6
	s_cbranch_scc1 .LBB437_127
; %bb.129:                              ;   in Loop: Header=BB437_128 Depth=1
	v_lshlrev_b64 v[5:6], 4, v[23:24]
	v_mov_b32_e32 v7, s13
	v_add_co_u32_e32 v27, vcc, s12, v5
	v_addc_co_u32_e32 v28, vcc, v7, v6, vcc
	;;#ASMSTART
	global_load_dwordx4 v[5:8], v[27:28] off glc	
s_waitcnt vmcnt(0)
	;;#ASMEND
	v_cmp_eq_u16_sdwa s[16:17], v7, v24 src0_sel:BYTE_0 src1_sel:DWORD
	s_and_saveexec_b64 s[14:15], s[16:17]
	s_cbranch_execz .LBB437_126
; %bb.130:                              ;   in Loop: Header=BB437_128 Depth=1
	s_mov_b64 s[16:17], 0
.LBB437_131:                            ;   Parent Loop BB437_128 Depth=1
                                        ; =>  This Inner Loop Header: Depth=2
	;;#ASMSTART
	global_load_dwordx4 v[5:8], v[27:28] off glc	
s_waitcnt vmcnt(0)
	;;#ASMEND
	v_cmp_ne_u16_sdwa s[20:21], v7, v24 src0_sel:BYTE_0 src1_sel:DWORD
	s_or_b64 s[16:17], s[20:21], s[16:17]
	s_andn2_b64 exec, exec, s[16:17]
	s_cbranch_execnz .LBB437_131
	s_branch .LBB437_125
.LBB437_132:
                                        ; implicit-def: $vgpr22
                                        ; implicit-def: $vgpr3
                                        ; implicit-def: $vgpr23
	s_cbranch_execnz .LBB437_138
	s_branch .LBB437_147
.LBB437_133:
	s_and_saveexec_b64 s[14:15], s[8:9]
	s_cbranch_execnz .LBB437_375
; %bb.134:
	s_or_b64 exec, exec, s[14:15]
	s_and_saveexec_b64 s[6:7], s[8:9]
	s_cbranch_execnz .LBB437_376
.LBB437_135:
	s_or_b64 exec, exec, s[6:7]
	v_cmp_eq_u32_e32 vcc, 0, v0
	s_and_b64 exec, exec, vcc
.LBB437_136:
	v_mov_b32_e32 v1, 0
	ds_write_b64 v1, v[3:4] offset:24
.LBB437_137:
	s_or_b64 exec, exec, s[10:11]
	v_mov_b32_e32 v1, 0
	s_waitcnt lgkmcnt(0)
	s_barrier
	ds_read_b64 v[5:6], v1 offset:24
	v_cndmask_b32_e64 v2, v71, v22, s[8:9]
	v_cndmask_b32_e64 v3, v70, v21, s[8:9]
	s_waitcnt lgkmcnt(0)
	s_barrier
	v_add_u32_e32 v7, v5, v3
	v_add_u32_e32 v8, v6, v2
	ds_read_b128 v[1:4], v1 offset:13312
	v_cmp_eq_u32_e32 vcc, 0, v0
	v_cndmask_b32_e32 v22, v8, v6, vcc
	v_cndmask_b32_e32 v23, v7, v5, vcc
	s_branch .LBB437_147
.LBB437_138:
	s_waitcnt lgkmcnt(0)
	v_mov_b32_dpp v1, v68 row_shr:1 row_mask:0xf bank_mask:0xf
	v_mov_b32_dpp v2, v69 row_shr:1 row_mask:0xf bank_mask:0xf
	v_add_u32_e32 v1, v1, v68
	v_add_u32_e32 v2, v2, v69
	v_cndmask_b32_e64 v2, v2, v69, s[4:5]
	v_cndmask_b32_e64 v1, v1, v68, s[4:5]
	v_cmp_lt_u32_e32 vcc, 3, v67
	v_mov_b32_dpp v4, v2 row_shr:2 row_mask:0xf bank_mask:0xf
	v_mov_b32_dpp v3, v1 row_shr:2 row_mask:0xf bank_mask:0xf
	v_add_u32_e32 v3, v1, v3
	v_add_u32_e32 v4, v2, v4
	v_cndmask_b32_e64 v2, v2, v4, s[2:3]
	v_cndmask_b32_e64 v1, v1, v3, s[2:3]
	v_cmp_eq_u32_e64 s[2:3], v0, v65
	v_mov_b32_dpp v4, v2 row_shr:4 row_mask:0xf bank_mask:0xf
	v_mov_b32_dpp v3, v1 row_shr:4 row_mask:0xf bank_mask:0xf
	v_add_u32_e32 v3, v1, v3
	v_add_u32_e32 v4, v2, v4
	v_cndmask_b32_e32 v2, v2, v4, vcc
	v_cndmask_b32_e32 v1, v1, v3, vcc
	v_cmp_lt_u32_e32 vcc, 7, v67
	v_mov_b32_dpp v4, v2 row_shr:8 row_mask:0xf bank_mask:0xf
	v_mov_b32_dpp v3, v1 row_shr:8 row_mask:0xf bank_mask:0xf
	v_add_u32_e32 v3, v1, v3
	v_add_u32_e32 v4, v2, v4
	v_cndmask_b32_e32 v2, v2, v4, vcc
	v_cndmask_b32_e32 v3, v1, v3, vcc
	v_cmp_eq_u32_e32 vcc, 0, v66
	v_mov_b32_dpp v4, v2 row_bcast:15 row_mask:0xf bank_mask:0xf
	v_mov_b32_dpp v1, v3 row_bcast:15 row_mask:0xf bank_mask:0xf
	v_add_u32_e32 v5, v3, v1
	v_add_u32_e32 v1, v2, v4
	v_cndmask_b32_e32 v1, v1, v2, vcc
	v_cndmask_b32_e32 v2, v5, v3, vcc
	v_cmp_lt_u32_e32 vcc, 31, v63
	v_mov_b32_dpp v3, v1 row_bcast:31 row_mask:0xf bank_mask:0xf
	v_mov_b32_dpp v4, v2 row_bcast:31 row_mask:0xf bank_mask:0xf
	v_add_u32_e32 v3, v1, v3
	v_add_u32_e32 v4, v2, v4
	s_and_saveexec_b64 s[4:5], s[2:3]
; %bb.139:
	v_cndmask_b32_e32 v5, v2, v4, vcc
	v_cndmask_b32_e32 v6, v1, v3, vcc
	v_lshlrev_b32_e32 v7, 3, v64
	ds_write_b64 v7, v[5:6]
; %bb.140:
	s_or_b64 exec, exec, s[4:5]
	v_cmp_gt_u32_e64 s[2:3], 4, v0
	s_waitcnt lgkmcnt(0)
	s_barrier
	s_and_saveexec_b64 s[4:5], s[2:3]
	s_cbranch_execz .LBB437_142
; %bb.141:
	v_lshlrev_b32_e32 v7, 3, v0
	ds_read_b64 v[5:6], v7
	v_and_b32_e32 v8, 3, v63
	v_cmp_eq_u32_e64 s[2:3], 0, v8
	s_waitcnt lgkmcnt(0)
	v_mov_b32_dpp v21, v5 row_shr:1 row_mask:0xf bank_mask:0xf
	v_mov_b32_dpp v22, v6 row_shr:1 row_mask:0xf bank_mask:0xf
	v_add_u32_e32 v21, v21, v5
	v_add_u32_e32 v22, v22, v6
	v_cndmask_b32_e64 v6, v22, v6, s[2:3]
	v_cndmask_b32_e64 v5, v21, v5, s[2:3]
	v_cmp_lt_u32_e64 s[2:3], 1, v8
	v_mov_b32_dpp v22, v6 row_shr:2 row_mask:0xf bank_mask:0xf
	v_mov_b32_dpp v21, v5 row_shr:2 row_mask:0xf bank_mask:0xf
	v_cndmask_b32_e64 v8, 0, v21, s[2:3]
	v_cndmask_b32_e64 v21, 0, v22, s[2:3]
	v_add_u32_e32 v6, v21, v6
	v_add_u32_e32 v5, v8, v5
	ds_write_b64 v7, v[5:6]
.LBB437_142:
	s_or_b64 exec, exec, s[4:5]
	v_cmp_lt_u32_e64 s[2:3], 63, v0
	v_mov_b32_e32 v7, 0
	v_mov_b32_e32 v5, 0
	;; [unrolled: 1-line block ×3, first 2 shown]
	s_waitcnt lgkmcnt(0)
	s_barrier
	s_and_saveexec_b64 s[4:5], s[2:3]
; %bb.143:
	v_lshl_add_u32 v5, v64, 3, -8
	ds_read_b64 v[5:6], v5
; %bb.144:
	s_or_b64 exec, exec, s[4:5]
	v_cndmask_b32_e32 v2, v2, v4, vcc
	v_cndmask_b32_e32 v1, v1, v3, vcc
	v_subrev_co_u32_e32 v3, vcc, 1, v63
	v_and_b32_e32 v4, 64, v63
	v_cmp_lt_i32_e64 s[2:3], v3, v4
	v_cndmask_b32_e64 v3, v3, v63, s[2:3]
	s_waitcnt lgkmcnt(0)
	v_add_u32_e32 v1, v6, v1
	v_add_u32_e32 v2, v5, v2
	v_lshlrev_b32_e32 v3, 2, v3
	ds_bpermute_b32 v8, v3, v2
	ds_bpermute_b32 v21, v3, v1
	ds_read_b64 v[1:2], v7 offset:24
	v_cmp_eq_u32_e64 s[2:3], 0, v0
	s_and_saveexec_b64 s[4:5], s[2:3]
	s_cbranch_execz .LBB437_146
; %bb.145:
	s_add_u32 s6, s12, 0x400
	s_addc_u32 s7, s13, 0
	v_mov_b32_e32 v23, s7
	v_mov_b32_e32 v3, 2
	;; [unrolled: 1-line block ×4, first 2 shown]
	s_waitcnt lgkmcnt(0)
	;;#ASMSTART
	global_store_dwordx4 v[22:23], v[1:4] off	
s_waitcnt vmcnt(0)
	;;#ASMEND
.LBB437_146:
	s_or_b64 exec, exec, s[4:5]
	s_waitcnt lgkmcnt(2)
	v_cndmask_b32_e32 v3, v8, v5, vcc
	s_waitcnt lgkmcnt(1)
	v_cndmask_b32_e32 v4, v21, v6, vcc
	v_cndmask_b32_e64 v22, v4, 0, s[2:3]
	v_cndmask_b32_e64 v23, v3, 0, s[2:3]
	v_mov_b32_e32 v4, 0
	v_mov_b32_e32 v3, 0
	s_waitcnt lgkmcnt(0)
	s_barrier
.LBB437_147:
	v_mov_b32_e32 v6, s49
	s_waitcnt lgkmcnt(0)
	v_add_co_u32_e32 v5, vcc, s48, v3
	v_addc_co_u32_e32 v6, vcc, 0, v6, vcc
	v_mov_b32_e32 v27, s51
	v_sub_co_u32_e32 v28, vcc, s50, v1
	v_subbrev_co_u32_e32 v69, vcc, 0, v27, vcc
	v_add_co_u32_e32 v27, vcc, v28, v4
	v_add_u32_e32 v49, v22, v49
	v_addc_co_u32_e32 v28, vcc, 0, v69, vcc
	v_lshlrev_b32_e32 v69, 1, v1
	v_sub_u32_e32 v22, v22, v4
	v_lshrrev_b32_e32 v26, 8, v37
	v_add_u32_e32 v48, v23, v48
	v_add_u32_e32 v70, v69, v2
	v_sub_u32_e32 v23, v23, v3
	v_add_u32_e32 v22, v22, v1
	v_add_u32_e32 v30, v70, v30
	v_and_b32_e32 v26, 1, v26
	v_add_u32_e32 v71, v23, v22
	v_and_b32_e32 v70, 1, v31
	v_sub_u32_e32 v71, v30, v71
	v_cmp_eq_u32_e32 vcc, 1, v26
	v_cndmask_b32_e32 v22, v71, v22, vcc
	v_cmp_eq_u32_e32 vcc, 1, v70
	v_cndmask_b32_e32 v22, v22, v23, vcc
	v_lshlrev_b32_e32 v22, 2, v22
	v_sub_u32_e32 v23, v49, v4
	v_lshrrev_b32_e32 v25, 8, v31
	ds_write_b32 v22, v19
	v_sub_u32_e32 v19, v48, v3
	v_add_u32_e32 v23, v23, v1
	v_add_u32_e32 v45, v48, v45
	v_and_b32_e32 v22, 1, v25
	v_mov_b32_e32 v25, 1
	v_add_u32_e32 v48, v23, v19
	v_and_b32_sdwa v26, v25, v37 dst_sel:DWORD dst_unused:UNUSED_PAD src0_sel:DWORD src1_sel:WORD_1
	v_sub_u32_e32 v48, v30, v48
	v_add_u32_e32 v48, 1, v48
	v_cmp_eq_u32_e32 vcc, 1, v26
	v_cndmask_b32_e32 v23, v48, v23, vcc
	v_cmp_eq_u32_e32 vcc, 1, v22
	v_add_u32_e32 v57, v49, v57
	v_cndmask_b32_e32 v19, v23, v19, vcc
	v_lshlrev_b32_e32 v19, 2, v19
	v_sub_u32_e32 v22, v57, v4
	ds_write_b32 v19, v20
	v_sub_u32_e32 v19, v45, v3
	v_add_u32_e32 v22, v22, v1
	v_add_u32_e32 v26, v22, v19
	v_and_b32_e32 v23, 1, v44
	v_sub_u32_e32 v26, v30, v26
	v_and_b32_sdwa v20, v25, v31 dst_sel:DWORD dst_unused:UNUSED_PAD src0_sel:DWORD src1_sel:WORD_1
	v_add_u32_e32 v26, 2, v26
	v_cmp_eq_u32_e32 vcc, 1, v23
	v_cndmask_b32_e32 v22, v26, v22, vcc
	v_cmp_eq_u32_e32 vcc, 1, v20
	v_add_u32_e32 v63, v57, v44
	v_cndmask_b32_e32 v19, v22, v19, vcc
	v_add_u32_e32 v50, v45, v50
	v_lshlrev_b32_e32 v19, 2, v19
	v_sub_u32_e32 v20, v63, v4
	ds_write_b32 v19, v17
	v_sub_u32_e32 v17, v50, v3
	v_add_u32_e32 v20, v20, v1
	v_add_u32_e32 v23, v17, v20
	v_and_b32_e32 v22, 1, v32
	v_sub_u32_e32 v23, v30, v23
	v_and_b32_e32 v19, 1, v43
	v_add_u32_e32 v23, 3, v23
	v_cmp_eq_u32_e32 vcc, 1, v22
	v_cndmask_b32_e32 v20, v23, v20, vcc
	v_cmp_eq_u32_e32 vcc, 1, v19
	v_add_u32_e32 v58, v63, v58
	v_cndmask_b32_e32 v17, v20, v17, vcc
	v_add_u32_e32 v64, v50, v43
	v_lshlrev_b32_e32 v17, 2, v17
	v_sub_u32_e32 v19, v58, v4
	ds_write_b32 v17, v18
	v_sub_u32_e32 v17, v64, v3
	v_add_u32_e32 v19, v19, v1
	v_lshrrev_b32_e32 v24, 8, v32
	v_add_u32_e32 v22, v17, v19
	v_and_b32_e32 v20, 1, v24
	v_sub_u32_e32 v22, v30, v22
	v_and_b32_e32 v18, 1, v33
	v_add_u32_e32 v22, 4, v22
	v_cmp_eq_u32_e32 vcc, 1, v20
	v_cndmask_b32_e32 v19, v22, v19, vcc
	v_cmp_eq_u32_e32 vcc, 1, v18
	v_add_u32_e32 v52, v58, v52
	v_cndmask_b32_e32 v17, v19, v17, vcc
	v_add_u32_e32 v51, v64, v51
	v_lshlrev_b32_e32 v17, 2, v17
	v_sub_u32_e32 v18, v52, v4
	ds_write_b32 v17, v15
	v_sub_u32_e32 v15, v51, v3
	v_add_u32_e32 v18, v18, v1
	v_add_u32_e32 v20, v15, v18
	v_lshrrev_b32_e32 v21, 8, v33
	v_and_b32_sdwa v19, v25, v32 dst_sel:DWORD dst_unused:UNUSED_PAD src0_sel:DWORD src1_sel:WORD_1
	v_sub_u32_e32 v20, v30, v20
	v_and_b32_e32 v17, 1, v21
	v_add_u32_e32 v20, 5, v20
	v_cmp_eq_u32_e32 vcc, 1, v19
	v_cndmask_b32_e32 v18, v20, v18, vcc
	v_cmp_eq_u32_e32 vcc, 1, v17
	v_add_u32_e32 v59, v52, v59
	v_cndmask_b32_e32 v15, v18, v15, vcc
	v_add_u32_e32 v46, v51, v46
	v_lshlrev_b32_e32 v15, 2, v15
	v_sub_u32_e32 v17, v59, v4
	ds_write_b32 v15, v16
	v_sub_u32_e32 v15, v46, v3
	v_add_u32_e32 v17, v17, v1
	v_add_u32_e32 v19, v15, v17
	v_and_b32_e32 v18, 1, v42
	v_sub_u32_e32 v19, v30, v19
	v_and_b32_sdwa v16, v25, v33 dst_sel:DWORD dst_unused:UNUSED_PAD src0_sel:DWORD src1_sel:WORD_1
	v_add_u32_e32 v19, 6, v19
	v_cmp_eq_u32_e32 vcc, 1, v18
	v_cndmask_b32_e32 v17, v19, v17, vcc
	v_cmp_eq_u32_e32 vcc, 1, v16
	v_add_u32_e32 v65, v59, v42
	v_cndmask_b32_e32 v15, v17, v15, vcc
	v_add_u32_e32 v53, v46, v53
	v_lshlrev_b32_e32 v15, 2, v15
	v_sub_u32_e32 v16, v65, v4
	ds_write_b32 v15, v13
	v_sub_u32_e32 v13, v53, v3
	v_add_u32_e32 v16, v16, v1
	v_add_u32_e32 v18, v13, v16
	v_and_b32_e32 v17, 1, v34
	v_sub_u32_e32 v18, v30, v18
	v_and_b32_e32 v15, 1, v41
	v_add_u32_e32 v18, 7, v18
	v_cmp_eq_u32_e32 vcc, 1, v17
	v_cndmask_b32_e32 v16, v18, v16, vcc
	v_cmp_eq_u32_e32 vcc, 1, v15
	v_add_u32_e32 v60, v65, v60
	v_cndmask_b32_e32 v13, v16, v13, vcc
	v_add_u32_e32 v66, v53, v41
	v_lshlrev_b32_e32 v13, 2, v13
	v_sub_u32_e32 v15, v60, v4
	ds_write_b32 v13, v14
	v_sub_u32_e32 v13, v66, v3
	v_add_u32_e32 v15, v15, v1
	v_lshrrev_b32_e32 v8, 8, v34
	v_add_u32_e32 v16, v13, v15
	v_and_b32_e32 v8, 1, v8
	v_sub_u32_e32 v16, v30, v16
	v_and_b32_e32 v14, 1, v36
	v_add_u32_e32 v16, 8, v16
	v_cmp_eq_u32_e32 vcc, 1, v8
	v_cndmask_b32_e32 v8, v16, v15, vcc
	v_cmp_eq_u32_e32 vcc, 1, v14
	v_cndmask_b32_e32 v8, v8, v13, vcc
	v_add_u32_e32 v55, v60, v55
	v_lshlrev_b32_e32 v8, 2, v8
	v_add_u32_e32 v54, v66, v54
	ds_write_b32 v8, v11
	v_sub_u32_e32 v11, v55, v4
	v_sub_u32_e32 v8, v54, v3
	v_add_u32_e32 v11, v11, v1
	v_add_u32_e32 v14, v8, v11
	v_lshrrev_b32_e32 v7, 8, v36
	v_and_b32_sdwa v13, v25, v34 dst_sel:DWORD dst_unused:UNUSED_PAD src0_sel:DWORD src1_sel:WORD_1
	v_sub_u32_e32 v14, v30, v14
	v_and_b32_e32 v7, 1, v7
	v_add_u32_e32 v14, 9, v14
	v_cmp_eq_u32_e32 vcc, 1, v13
	v_cndmask_b32_e32 v11, v14, v11, vcc
	v_cmp_eq_u32_e32 vcc, 1, v7
	v_add_u32_e32 v61, v55, v61
	v_cndmask_b32_e32 v7, v11, v8, vcc
	v_add_u32_e32 v47, v54, v47
	v_lshlrev_b32_e32 v7, 2, v7
	v_sub_u32_e32 v11, v61, v4
	ds_write_b32 v7, v12
	v_sub_u32_e32 v7, v47, v3
	v_add_u32_e32 v11, v11, v1
	v_add_u32_e32 v13, v7, v11
	v_and_b32_e32 v12, 1, v40
	v_sub_u32_e32 v13, v30, v13
	v_and_b32_sdwa v8, v25, v36 dst_sel:DWORD dst_unused:UNUSED_PAD src0_sel:DWORD src1_sel:WORD_1
	v_add_u32_e32 v13, 10, v13
	v_cmp_eq_u32_e32 vcc, 1, v12
	v_cndmask_b32_e32 v11, v13, v11, vcc
	v_cmp_eq_u32_e32 vcc, 1, v8
	v_cndmask_b32_e32 v7, v11, v7, vcc
	v_add_u32_e32 v67, v61, v40
	v_lshlrev_b32_e32 v7, 2, v7
	v_add_u32_e32 v56, v47, v56
	ds_write_b32 v7, v9
	v_sub_u32_e32 v9, v67, v4
	v_sub_u32_e32 v7, v56, v3
	v_add_u32_e32 v9, v9, v1
	v_add_u32_e32 v12, v7, v9
	v_and_b32_e32 v11, 1, v35
	v_sub_u32_e32 v12, v30, v12
	v_and_b32_e32 v8, 1, v39
	v_add_u32_e32 v12, 11, v12
	v_cmp_eq_u32_e32 vcc, 1, v11
	v_add_u32_e32 v62, v67, v62
	v_cndmask_b32_e32 v9, v12, v9, vcc
	v_cmp_eq_u32_e32 vcc, 1, v8
	v_add_u32_e32 v68, v56, v39
	v_cndmask_b32_e32 v7, v9, v7, vcc
	v_sub_u32_e32 v8, v62, v4
	v_lshlrev_b32_e32 v7, 2, v7
	v_sub_u32_e32 v3, v68, v3
	v_add_u32_e32 v8, v8, v1
	ds_write_b32 v7, v10
	v_add_u32_e32 v10, v3, v8
	v_and_b32_e32 v9, 1, v38
	v_sub_u32_e32 v10, v30, v10
	v_and_b32_e32 v7, 1, v37
	v_add_u32_e32 v10, 12, v10
	v_cmp_eq_u32_e32 vcc, 1, v9
	v_cndmask_b32_e32 v8, v10, v8, vcc
	v_cmp_eq_u32_e32 vcc, 1, v7
	v_cndmask_b32_e32 v3, v8, v3, vcc
	v_lshlrev_b32_e32 v3, 2, v3
	ds_write_b32 v3, v29
	v_add_co_u32_e32 v3, vcc, v2, v69
	v_addc_co_u32_e64 v7, s[2:3], 0, 0, vcc
	v_add_co_u32_e32 v3, vcc, v3, v27
	v_addc_co_u32_e32 v7, vcc, v7, v28, vcc
	s_add_u32 s4, s56, s33
	v_add_co_u32_e32 v3, vcc, v3, v5
	s_addc_u32 s5, s57, 0
	v_addc_co_u32_e32 v7, vcc, v7, v6, vcc
	v_mov_b32_e32 v8, s5
	v_sub_co_u32_e32 v3, vcc, s4, v3
	v_subb_co_u32_e32 v11, vcc, v8, v7, vcc
	v_lshlrev_b64 v[7:8], 2, v[27:28]
	v_mov_b32_e32 v9, s55
	v_add_co_u32_e32 v7, vcc, s54, v7
	v_addc_co_u32_e32 v8, vcc, v9, v8, vcc
	v_lshlrev_b64 v[9:10], 2, v[5:6]
	v_mov_b32_e32 v13, s53
	v_add_co_u32_e32 v9, vcc, s52, v9
	v_addc_co_u32_e32 v10, vcc, v13, v10, vcc
	v_add_u32_e32 v12, v1, v2
	s_and_b64 vcc, exec, s[0:1]
	s_mov_b64 s[0:1], -1
	s_waitcnt lgkmcnt(0)
	s_barrier
	s_cbranch_vccz .LBB437_151
; %bb.148:
	s_and_b64 vcc, exec, s[0:1]
	s_cbranch_vccnz .LBB437_256
.LBB437_149:
	v_cmp_eq_u32_e32 vcc, 0, v0
	s_and_b64 s[0:1], vcc, s[34:35]
	s_and_saveexec_b64 s[2:3], s[0:1]
	s_cbranch_execnz .LBB437_374
.LBB437_150:
	s_endpgm
.LBB437_151:
	v_cmp_ge_u32_e32 vcc, v0, v1
	s_and_saveexec_b64 s[0:1], vcc
	s_xor_b64 s[0:1], exec, s[0:1]
	s_cbranch_execz .LBB437_157
; %bb.152:
	v_cmp_ge_u32_e32 vcc, v0, v12
	s_and_saveexec_b64 s[2:3], vcc
	s_xor_b64 s[2:3], exec, s[2:3]
	s_cbranch_execz .LBB437_154
; %bb.153:
	v_add_co_u32_e32 v13, vcc, v3, v0
	v_lshlrev_b32_e32 v15, 2, v0
	v_addc_co_u32_e32 v14, vcc, 0, v11, vcc
	ds_read_b32 v15, v15
	v_lshlrev_b64 v[13:14], 2, v[13:14]
	v_mov_b32_e32 v16, s47
	v_sub_co_u32_e32 v13, vcc, s46, v13
	v_subb_co_u32_e32 v14, vcc, v16, v14, vcc
	s_waitcnt lgkmcnt(0)
	global_store_dword v[13:14], v15, off offset:-4
.LBB437_154:
	s_andn2_saveexec_b64 s[2:3], s[2:3]
	s_cbranch_execz .LBB437_156
; %bb.155:
	v_lshlrev_b32_e32 v13, 2, v0
	ds_read_b32 v14, v13
	v_readfirstlane_b32 s4, v7
	v_readfirstlane_b32 s5, v8
	s_waitcnt lgkmcnt(0)
	s_nop 3
	global_store_dword v13, v14, s[4:5]
.LBB437_156:
	s_or_b64 exec, exec, s[2:3]
.LBB437_157:
	s_andn2_saveexec_b64 s[0:1], s[0:1]
	s_cbranch_execz .LBB437_159
; %bb.158:
	v_lshlrev_b32_e32 v13, 2, v0
	ds_read_b32 v14, v13
	v_readfirstlane_b32 s2, v9
	v_readfirstlane_b32 s3, v10
	s_waitcnt lgkmcnt(0)
	s_nop 3
	global_store_dword v13, v14, s[2:3]
.LBB437_159:
	s_or_b64 exec, exec, s[0:1]
	v_or_b32_e32 v13, 0x100, v0
	v_cmp_ge_u32_e32 vcc, v13, v1
	s_and_saveexec_b64 s[0:1], vcc
	s_xor_b64 s[0:1], exec, s[0:1]
	s_cbranch_execz .LBB437_165
; %bb.160:
	v_cmp_ge_u32_e32 vcc, v13, v12
	s_and_saveexec_b64 s[2:3], vcc
	s_xor_b64 s[2:3], exec, s[2:3]
	s_cbranch_execz .LBB437_162
; %bb.161:
	v_lshlrev_b32_e32 v13, 2, v0
	ds_read_b32 v15, v13 offset:1024
	v_add_co_u32_e32 v13, vcc, v3, v0
	v_addc_co_u32_e32 v14, vcc, 0, v11, vcc
	v_lshlrev_b64 v[13:14], 2, v[13:14]
	v_mov_b32_e32 v16, s47
	v_sub_co_u32_e32 v13, vcc, s46, v13
	v_subb_co_u32_e32 v14, vcc, v16, v14, vcc
	s_waitcnt lgkmcnt(0)
	global_store_dword v[13:14], v15, off offset:-1028
.LBB437_162:
	s_andn2_saveexec_b64 s[2:3], s[2:3]
	s_cbranch_execz .LBB437_164
; %bb.163:
	v_lshlrev_b32_e32 v13, 2, v0
	ds_read_b32 v14, v13 offset:1024
	v_readfirstlane_b32 s4, v7
	v_readfirstlane_b32 s5, v8
	s_waitcnt lgkmcnt(0)
	s_nop 3
	global_store_dword v13, v14, s[4:5] offset:1024
.LBB437_164:
	s_or_b64 exec, exec, s[2:3]
.LBB437_165:
	s_andn2_saveexec_b64 s[0:1], s[0:1]
	s_cbranch_execz .LBB437_167
; %bb.166:
	v_lshlrev_b32_e32 v13, 2, v0
	ds_read_b32 v14, v13 offset:1024
	v_readfirstlane_b32 s2, v9
	v_readfirstlane_b32 s3, v10
	s_waitcnt lgkmcnt(0)
	s_nop 3
	global_store_dword v13, v14, s[2:3] offset:1024
.LBB437_167:
	s_or_b64 exec, exec, s[0:1]
	v_or_b32_e32 v13, 0x200, v0
	v_cmp_ge_u32_e32 vcc, v13, v1
	s_and_saveexec_b64 s[0:1], vcc
	s_xor_b64 s[0:1], exec, s[0:1]
	s_cbranch_execz .LBB437_173
; %bb.168:
	v_cmp_ge_u32_e32 vcc, v13, v12
	s_and_saveexec_b64 s[2:3], vcc
	s_xor_b64 s[2:3], exec, s[2:3]
	s_cbranch_execz .LBB437_170
; %bb.169:
	v_lshlrev_b32_e32 v13, 2, v0
	ds_read_b32 v15, v13 offset:2048
	v_add_co_u32_e32 v13, vcc, v3, v0
	v_addc_co_u32_e32 v14, vcc, 0, v11, vcc
	v_lshlrev_b64 v[13:14], 2, v[13:14]
	v_mov_b32_e32 v16, s47
	v_sub_co_u32_e32 v13, vcc, s46, v13
	v_subb_co_u32_e32 v14, vcc, v16, v14, vcc
	s_waitcnt lgkmcnt(0)
	global_store_dword v[13:14], v15, off offset:-2052
.LBB437_170:
	s_andn2_saveexec_b64 s[2:3], s[2:3]
	s_cbranch_execz .LBB437_172
; %bb.171:
	v_lshlrev_b32_e32 v13, 2, v0
	ds_read_b32 v14, v13 offset:2048
	v_readfirstlane_b32 s4, v7
	v_readfirstlane_b32 s5, v8
	s_waitcnt lgkmcnt(0)
	s_nop 3
	global_store_dword v13, v14, s[4:5] offset:2048
.LBB437_172:
	s_or_b64 exec, exec, s[2:3]
.LBB437_173:
	s_andn2_saveexec_b64 s[0:1], s[0:1]
	s_cbranch_execz .LBB437_175
; %bb.174:
	v_lshlrev_b32_e32 v13, 2, v0
	ds_read_b32 v14, v13 offset:2048
	v_readfirstlane_b32 s2, v9
	v_readfirstlane_b32 s3, v10
	s_waitcnt lgkmcnt(0)
	s_nop 3
	global_store_dword v13, v14, s[2:3] offset:2048
.LBB437_175:
	;; [unrolled: 47-line block ×3, first 2 shown]
	s_or_b64 exec, exec, s[0:1]
	v_or_b32_e32 v13, 0x400, v0
	v_cmp_ge_u32_e32 vcc, v13, v1
	s_and_saveexec_b64 s[0:1], vcc
	s_xor_b64 s[0:1], exec, s[0:1]
	s_cbranch_execz .LBB437_189
; %bb.184:
	v_cmp_ge_u32_e32 vcc, v13, v12
	s_and_saveexec_b64 s[2:3], vcc
	s_xor_b64 s[2:3], exec, s[2:3]
	s_cbranch_execz .LBB437_186
; %bb.185:
	v_lshlrev_b32_e32 v13, 2, v0
	ds_read_b32 v15, v13 offset:4096
	v_add_co_u32_e32 v13, vcc, v3, v0
	v_addc_co_u32_e32 v14, vcc, 0, v11, vcc
	v_lshlrev_b64 v[13:14], 2, v[13:14]
	v_mov_b32_e32 v16, s47
	v_sub_co_u32_e32 v13, vcc, s46, v13
	v_subb_co_u32_e32 v14, vcc, v16, v14, vcc
	v_add_co_u32_e32 v13, vcc, 0xfffff000, v13
	v_addc_co_u32_e32 v14, vcc, -1, v14, vcc
	s_waitcnt lgkmcnt(0)
	global_store_dword v[13:14], v15, off offset:-4
                                        ; implicit-def: $vgpr13
.LBB437_186:
	s_andn2_saveexec_b64 s[2:3], s[2:3]
	s_cbranch_execz .LBB437_188
; %bb.187:
	v_lshlrev_b32_e32 v14, 2, v0
	ds_read_b32 v14, v14 offset:4096
	v_lshlrev_b32_e32 v13, 2, v13
	v_readfirstlane_b32 s4, v7
	v_readfirstlane_b32 s5, v8
	s_waitcnt lgkmcnt(0)
	s_nop 3
	global_store_dword v13, v14, s[4:5]
.LBB437_188:
	s_or_b64 exec, exec, s[2:3]
                                        ; implicit-def: $vgpr13
.LBB437_189:
	s_andn2_saveexec_b64 s[0:1], s[0:1]
	s_cbranch_execz .LBB437_191
; %bb.190:
	v_lshlrev_b32_e32 v14, 2, v0
	ds_read_b32 v14, v14 offset:4096
	v_lshlrev_b32_e32 v13, 2, v13
	v_readfirstlane_b32 s2, v9
	v_readfirstlane_b32 s3, v10
	s_waitcnt lgkmcnt(0)
	s_nop 3
	global_store_dword v13, v14, s[2:3]
.LBB437_191:
	s_or_b64 exec, exec, s[0:1]
	v_or_b32_e32 v13, 0x500, v0
	v_cmp_ge_u32_e32 vcc, v13, v1
	s_and_saveexec_b64 s[0:1], vcc
	s_xor_b64 s[0:1], exec, s[0:1]
	s_cbranch_execz .LBB437_197
; %bb.192:
	v_cmp_ge_u32_e32 vcc, v13, v12
	s_and_saveexec_b64 s[2:3], vcc
	s_xor_b64 s[2:3], exec, s[2:3]
	s_cbranch_execz .LBB437_194
; %bb.193:
	v_add_co_u32_e32 v13, vcc, v3, v13
	v_lshlrev_b32_e32 v15, 2, v0
	v_addc_co_u32_e32 v14, vcc, 0, v11, vcc
	ds_read_b32 v15, v15 offset:5120
	v_lshlrev_b64 v[13:14], 2, v[13:14]
	v_mov_b32_e32 v16, s47
	v_sub_co_u32_e32 v13, vcc, s46, v13
	v_subb_co_u32_e32 v14, vcc, v16, v14, vcc
	s_waitcnt lgkmcnt(0)
	global_store_dword v[13:14], v15, off offset:-4
                                        ; implicit-def: $vgpr13
.LBB437_194:
	s_andn2_saveexec_b64 s[2:3], s[2:3]
	s_cbranch_execz .LBB437_196
; %bb.195:
	v_lshlrev_b32_e32 v14, 2, v0
	ds_read_b32 v14, v14 offset:5120
	v_lshlrev_b32_e32 v13, 2, v13
	v_readfirstlane_b32 s4, v7
	v_readfirstlane_b32 s5, v8
	s_waitcnt lgkmcnt(0)
	s_nop 3
	global_store_dword v13, v14, s[4:5]
.LBB437_196:
	s_or_b64 exec, exec, s[2:3]
                                        ; implicit-def: $vgpr13
.LBB437_197:
	s_andn2_saveexec_b64 s[0:1], s[0:1]
	s_cbranch_execz .LBB437_199
; %bb.198:
	v_lshlrev_b32_e32 v14, 2, v0
	ds_read_b32 v14, v14 offset:5120
	v_lshlrev_b32_e32 v13, 2, v13
	v_readfirstlane_b32 s2, v9
	v_readfirstlane_b32 s3, v10
	s_waitcnt lgkmcnt(0)
	s_nop 3
	global_store_dword v13, v14, s[2:3]
.LBB437_199:
	s_or_b64 exec, exec, s[0:1]
	v_or_b32_e32 v13, 0x600, v0
	v_cmp_ge_u32_e32 vcc, v13, v1
	s_and_saveexec_b64 s[0:1], vcc
	s_xor_b64 s[0:1], exec, s[0:1]
	s_cbranch_execz .LBB437_205
; %bb.200:
	v_cmp_ge_u32_e32 vcc, v13, v12
	s_and_saveexec_b64 s[2:3], vcc
	s_xor_b64 s[2:3], exec, s[2:3]
	s_cbranch_execz .LBB437_202
; %bb.201:
	v_add_co_u32_e32 v13, vcc, v3, v13
	v_lshlrev_b32_e32 v15, 2, v0
	v_addc_co_u32_e32 v14, vcc, 0, v11, vcc
	ds_read_b32 v15, v15 offset:6144
	v_lshlrev_b64 v[13:14], 2, v[13:14]
	v_mov_b32_e32 v16, s47
	v_sub_co_u32_e32 v13, vcc, s46, v13
	v_subb_co_u32_e32 v14, vcc, v16, v14, vcc
	s_waitcnt lgkmcnt(0)
	global_store_dword v[13:14], v15, off offset:-4
                                        ; implicit-def: $vgpr13
.LBB437_202:
	s_andn2_saveexec_b64 s[2:3], s[2:3]
	s_cbranch_execz .LBB437_204
; %bb.203:
	v_lshlrev_b32_e32 v14, 2, v0
	ds_read_b32 v14, v14 offset:6144
	v_lshlrev_b32_e32 v13, 2, v13
	v_readfirstlane_b32 s4, v7
	v_readfirstlane_b32 s5, v8
	s_waitcnt lgkmcnt(0)
	s_nop 3
	global_store_dword v13, v14, s[4:5]
.LBB437_204:
	s_or_b64 exec, exec, s[2:3]
                                        ; implicit-def: $vgpr13
.LBB437_205:
	;; [unrolled: 51-line block ×8, first 2 shown]
	s_andn2_saveexec_b64 s[0:1], s[0:1]
	s_cbranch_execz .LBB437_255
; %bb.254:
	v_lshlrev_b32_e32 v14, 2, v0
	ds_read_b32 v14, v14 offset:12288
	v_lshlrev_b32_e32 v13, 2, v13
	v_readfirstlane_b32 s2, v9
	v_readfirstlane_b32 s3, v10
	s_waitcnt lgkmcnt(0)
	s_nop 3
	global_store_dword v13, v14, s[2:3]
.LBB437_255:
	s_or_b64 exec, exec, s[0:1]
	s_branch .LBB437_149
.LBB437_256:
	v_cmp_gt_u32_e32 vcc, s18, v0
	s_and_saveexec_b64 s[0:1], vcc
	s_cbranch_execz .LBB437_265
; %bb.257:
	v_cmp_ge_u32_e32 vcc, v0, v1
	s_and_saveexec_b64 s[2:3], vcc
	s_xor_b64 s[2:3], exec, s[2:3]
	s_cbranch_execz .LBB437_263
; %bb.258:
	v_cmp_ge_u32_e32 vcc, v0, v12
	s_and_saveexec_b64 s[4:5], vcc
	s_xor_b64 s[4:5], exec, s[4:5]
	s_cbranch_execz .LBB437_260
; %bb.259:
	v_add_co_u32_e32 v13, vcc, v3, v0
	v_lshlrev_b32_e32 v15, 2, v0
	v_addc_co_u32_e32 v14, vcc, 0, v11, vcc
	ds_read_b32 v15, v15
	v_lshlrev_b64 v[13:14], 2, v[13:14]
	v_mov_b32_e32 v16, s47
	v_sub_co_u32_e32 v13, vcc, s46, v13
	v_subb_co_u32_e32 v14, vcc, v16, v14, vcc
	s_waitcnt lgkmcnt(0)
	global_store_dword v[13:14], v15, off offset:-4
.LBB437_260:
	s_andn2_saveexec_b64 s[4:5], s[4:5]
	s_cbranch_execz .LBB437_262
; %bb.261:
	v_lshlrev_b32_e32 v13, 2, v0
	ds_read_b32 v14, v13
	v_readfirstlane_b32 s6, v7
	v_readfirstlane_b32 s7, v8
	s_waitcnt lgkmcnt(0)
	s_nop 3
	global_store_dword v13, v14, s[6:7]
.LBB437_262:
	s_or_b64 exec, exec, s[4:5]
.LBB437_263:
	s_andn2_saveexec_b64 s[2:3], s[2:3]
	s_cbranch_execz .LBB437_265
; %bb.264:
	v_lshlrev_b32_e32 v13, 2, v0
	ds_read_b32 v14, v13
	v_readfirstlane_b32 s2, v9
	v_readfirstlane_b32 s3, v10
	s_waitcnt lgkmcnt(0)
	s_nop 3
	global_store_dword v13, v14, s[2:3]
.LBB437_265:
	s_or_b64 exec, exec, s[0:1]
	v_or_b32_e32 v13, 0x100, v0
	v_cmp_gt_u32_e32 vcc, s18, v13
	s_and_saveexec_b64 s[0:1], vcc
	s_cbranch_execz .LBB437_274
; %bb.266:
	v_cmp_ge_u32_e32 vcc, v13, v1
	s_and_saveexec_b64 s[2:3], vcc
	s_xor_b64 s[2:3], exec, s[2:3]
	s_cbranch_execz .LBB437_272
; %bb.267:
	v_cmp_ge_u32_e32 vcc, v13, v12
	s_and_saveexec_b64 s[4:5], vcc
	s_xor_b64 s[4:5], exec, s[4:5]
	s_cbranch_execz .LBB437_269
; %bb.268:
	v_lshlrev_b32_e32 v13, 2, v0
	ds_read_b32 v15, v13 offset:1024
	v_add_co_u32_e32 v13, vcc, v3, v0
	v_addc_co_u32_e32 v14, vcc, 0, v11, vcc
	v_lshlrev_b64 v[13:14], 2, v[13:14]
	v_mov_b32_e32 v16, s47
	v_sub_co_u32_e32 v13, vcc, s46, v13
	v_subb_co_u32_e32 v14, vcc, v16, v14, vcc
	s_waitcnt lgkmcnt(0)
	global_store_dword v[13:14], v15, off offset:-1028
.LBB437_269:
	s_andn2_saveexec_b64 s[4:5], s[4:5]
	s_cbranch_execz .LBB437_271
; %bb.270:
	v_lshlrev_b32_e32 v13, 2, v0
	ds_read_b32 v14, v13 offset:1024
	v_readfirstlane_b32 s6, v7
	v_readfirstlane_b32 s7, v8
	s_waitcnt lgkmcnt(0)
	s_nop 3
	global_store_dword v13, v14, s[6:7] offset:1024
.LBB437_271:
	s_or_b64 exec, exec, s[4:5]
.LBB437_272:
	s_andn2_saveexec_b64 s[2:3], s[2:3]
	s_cbranch_execz .LBB437_274
; %bb.273:
	v_lshlrev_b32_e32 v13, 2, v0
	ds_read_b32 v14, v13 offset:1024
	v_readfirstlane_b32 s2, v9
	v_readfirstlane_b32 s3, v10
	s_waitcnt lgkmcnt(0)
	s_nop 3
	global_store_dword v13, v14, s[2:3] offset:1024
.LBB437_274:
	s_or_b64 exec, exec, s[0:1]
	v_or_b32_e32 v13, 0x200, v0
	v_cmp_gt_u32_e32 vcc, s18, v13
	s_and_saveexec_b64 s[0:1], vcc
	s_cbranch_execz .LBB437_283
; %bb.275:
	v_cmp_ge_u32_e32 vcc, v13, v1
	s_and_saveexec_b64 s[2:3], vcc
	s_xor_b64 s[2:3], exec, s[2:3]
	s_cbranch_execz .LBB437_281
; %bb.276:
	v_cmp_ge_u32_e32 vcc, v13, v12
	s_and_saveexec_b64 s[4:5], vcc
	s_xor_b64 s[4:5], exec, s[4:5]
	s_cbranch_execz .LBB437_278
; %bb.277:
	v_lshlrev_b32_e32 v13, 2, v0
	ds_read_b32 v15, v13 offset:2048
	v_add_co_u32_e32 v13, vcc, v3, v0
	v_addc_co_u32_e32 v14, vcc, 0, v11, vcc
	v_lshlrev_b64 v[13:14], 2, v[13:14]
	v_mov_b32_e32 v16, s47
	v_sub_co_u32_e32 v13, vcc, s46, v13
	v_subb_co_u32_e32 v14, vcc, v16, v14, vcc
	s_waitcnt lgkmcnt(0)
	global_store_dword v[13:14], v15, off offset:-2052
.LBB437_278:
	s_andn2_saveexec_b64 s[4:5], s[4:5]
	s_cbranch_execz .LBB437_280
; %bb.279:
	v_lshlrev_b32_e32 v13, 2, v0
	ds_read_b32 v14, v13 offset:2048
	v_readfirstlane_b32 s6, v7
	v_readfirstlane_b32 s7, v8
	s_waitcnt lgkmcnt(0)
	s_nop 3
	global_store_dword v13, v14, s[6:7] offset:2048
.LBB437_280:
	s_or_b64 exec, exec, s[4:5]
.LBB437_281:
	s_andn2_saveexec_b64 s[2:3], s[2:3]
	s_cbranch_execz .LBB437_283
; %bb.282:
	v_lshlrev_b32_e32 v13, 2, v0
	ds_read_b32 v14, v13 offset:2048
	v_readfirstlane_b32 s2, v9
	v_readfirstlane_b32 s3, v10
	s_waitcnt lgkmcnt(0)
	s_nop 3
	global_store_dword v13, v14, s[2:3] offset:2048
.LBB437_283:
	;; [unrolled: 51-line block ×3, first 2 shown]
	s_or_b64 exec, exec, s[0:1]
	v_or_b32_e32 v13, 0x400, v0
	v_cmp_gt_u32_e32 vcc, s18, v13
	s_and_saveexec_b64 s[0:1], vcc
	s_cbranch_execz .LBB437_301
; %bb.293:
	v_cmp_ge_u32_e32 vcc, v13, v1
	s_and_saveexec_b64 s[2:3], vcc
	s_xor_b64 s[2:3], exec, s[2:3]
	s_cbranch_execz .LBB437_299
; %bb.294:
	v_cmp_ge_u32_e32 vcc, v13, v12
	s_and_saveexec_b64 s[4:5], vcc
	s_xor_b64 s[4:5], exec, s[4:5]
	s_cbranch_execz .LBB437_296
; %bb.295:
	v_lshlrev_b32_e32 v13, 2, v0
	ds_read_b32 v15, v13 offset:4096
	v_add_co_u32_e32 v13, vcc, v3, v0
	v_addc_co_u32_e32 v14, vcc, 0, v11, vcc
	v_lshlrev_b64 v[13:14], 2, v[13:14]
	v_mov_b32_e32 v16, s47
	v_sub_co_u32_e32 v13, vcc, s46, v13
	v_subb_co_u32_e32 v14, vcc, v16, v14, vcc
	v_add_co_u32_e32 v13, vcc, 0xfffff000, v13
	v_addc_co_u32_e32 v14, vcc, -1, v14, vcc
	s_waitcnt lgkmcnt(0)
	global_store_dword v[13:14], v15, off offset:-4
                                        ; implicit-def: $vgpr13
.LBB437_296:
	s_andn2_saveexec_b64 s[4:5], s[4:5]
	s_cbranch_execz .LBB437_298
; %bb.297:
	v_lshlrev_b32_e32 v14, 2, v0
	ds_read_b32 v14, v14 offset:4096
	v_lshlrev_b32_e32 v13, 2, v13
	v_readfirstlane_b32 s6, v7
	v_readfirstlane_b32 s7, v8
	s_waitcnt lgkmcnt(0)
	s_nop 3
	global_store_dword v13, v14, s[6:7]
.LBB437_298:
	s_or_b64 exec, exec, s[4:5]
                                        ; implicit-def: $vgpr13
.LBB437_299:
	s_andn2_saveexec_b64 s[2:3], s[2:3]
	s_cbranch_execz .LBB437_301
; %bb.300:
	v_lshlrev_b32_e32 v14, 2, v0
	ds_read_b32 v14, v14 offset:4096
	v_lshlrev_b32_e32 v13, 2, v13
	v_readfirstlane_b32 s2, v9
	v_readfirstlane_b32 s3, v10
	s_waitcnt lgkmcnt(0)
	s_nop 3
	global_store_dword v13, v14, s[2:3]
.LBB437_301:
	s_or_b64 exec, exec, s[0:1]
	v_or_b32_e32 v13, 0x500, v0
	v_cmp_gt_u32_e32 vcc, s18, v13
	s_and_saveexec_b64 s[0:1], vcc
	s_cbranch_execz .LBB437_310
; %bb.302:
	v_cmp_ge_u32_e32 vcc, v13, v1
	s_and_saveexec_b64 s[2:3], vcc
	s_xor_b64 s[2:3], exec, s[2:3]
	s_cbranch_execz .LBB437_308
; %bb.303:
	v_cmp_ge_u32_e32 vcc, v13, v12
	s_and_saveexec_b64 s[4:5], vcc
	s_xor_b64 s[4:5], exec, s[4:5]
	s_cbranch_execz .LBB437_305
; %bb.304:
	v_add_co_u32_e32 v13, vcc, v3, v13
	v_lshlrev_b32_e32 v15, 2, v0
	v_addc_co_u32_e32 v14, vcc, 0, v11, vcc
	ds_read_b32 v15, v15 offset:5120
	v_lshlrev_b64 v[13:14], 2, v[13:14]
	v_mov_b32_e32 v16, s47
	v_sub_co_u32_e32 v13, vcc, s46, v13
	v_subb_co_u32_e32 v14, vcc, v16, v14, vcc
	s_waitcnt lgkmcnt(0)
	global_store_dword v[13:14], v15, off offset:-4
                                        ; implicit-def: $vgpr13
.LBB437_305:
	s_andn2_saveexec_b64 s[4:5], s[4:5]
	s_cbranch_execz .LBB437_307
; %bb.306:
	v_lshlrev_b32_e32 v14, 2, v0
	ds_read_b32 v14, v14 offset:5120
	v_lshlrev_b32_e32 v13, 2, v13
	v_readfirstlane_b32 s6, v7
	v_readfirstlane_b32 s7, v8
	s_waitcnt lgkmcnt(0)
	s_nop 3
	global_store_dword v13, v14, s[6:7]
.LBB437_307:
	s_or_b64 exec, exec, s[4:5]
                                        ; implicit-def: $vgpr13
.LBB437_308:
	s_andn2_saveexec_b64 s[2:3], s[2:3]
	s_cbranch_execz .LBB437_310
; %bb.309:
	v_lshlrev_b32_e32 v14, 2, v0
	ds_read_b32 v14, v14 offset:5120
	v_lshlrev_b32_e32 v13, 2, v13
	v_readfirstlane_b32 s2, v9
	v_readfirstlane_b32 s3, v10
	s_waitcnt lgkmcnt(0)
	s_nop 3
	global_store_dword v13, v14, s[2:3]
.LBB437_310:
	s_or_b64 exec, exec, s[0:1]
	v_or_b32_e32 v13, 0x600, v0
	v_cmp_gt_u32_e32 vcc, s18, v13
	s_and_saveexec_b64 s[0:1], vcc
	s_cbranch_execz .LBB437_319
; %bb.311:
	v_cmp_ge_u32_e32 vcc, v13, v1
	s_and_saveexec_b64 s[2:3], vcc
	s_xor_b64 s[2:3], exec, s[2:3]
	s_cbranch_execz .LBB437_317
; %bb.312:
	v_cmp_ge_u32_e32 vcc, v13, v12
	s_and_saveexec_b64 s[4:5], vcc
	s_xor_b64 s[4:5], exec, s[4:5]
	s_cbranch_execz .LBB437_314
; %bb.313:
	v_add_co_u32_e32 v13, vcc, v3, v13
	v_lshlrev_b32_e32 v15, 2, v0
	v_addc_co_u32_e32 v14, vcc, 0, v11, vcc
	ds_read_b32 v15, v15 offset:6144
	v_lshlrev_b64 v[13:14], 2, v[13:14]
	v_mov_b32_e32 v16, s47
	v_sub_co_u32_e32 v13, vcc, s46, v13
	v_subb_co_u32_e32 v14, vcc, v16, v14, vcc
	s_waitcnt lgkmcnt(0)
	global_store_dword v[13:14], v15, off offset:-4
                                        ; implicit-def: $vgpr13
.LBB437_314:
	s_andn2_saveexec_b64 s[4:5], s[4:5]
	s_cbranch_execz .LBB437_316
; %bb.315:
	v_lshlrev_b32_e32 v14, 2, v0
	ds_read_b32 v14, v14 offset:6144
	v_lshlrev_b32_e32 v13, 2, v13
	v_readfirstlane_b32 s6, v7
	v_readfirstlane_b32 s7, v8
	s_waitcnt lgkmcnt(0)
	s_nop 3
	global_store_dword v13, v14, s[6:7]
.LBB437_316:
	s_or_b64 exec, exec, s[4:5]
                                        ; implicit-def: $vgpr13
.LBB437_317:
	s_andn2_saveexec_b64 s[2:3], s[2:3]
	s_cbranch_execz .LBB437_319
; %bb.318:
	v_lshlrev_b32_e32 v14, 2, v0
	ds_read_b32 v14, v14 offset:6144
	v_lshlrev_b32_e32 v13, 2, v13
	v_readfirstlane_b32 s2, v9
	v_readfirstlane_b32 s3, v10
	s_waitcnt lgkmcnt(0)
	s_nop 3
	global_store_dword v13, v14, s[2:3]
.LBB437_319:
	;; [unrolled: 55-line block ×7, first 2 shown]
	s_or_b64 exec, exec, s[0:1]
	v_or_b32_e32 v13, 0xc00, v0
	v_cmp_gt_u32_e32 vcc, s18, v13
	s_and_saveexec_b64 s[0:1], vcc
	s_cbranch_execz .LBB437_373
; %bb.365:
	v_cmp_ge_u32_e32 vcc, v13, v1
	s_and_saveexec_b64 s[2:3], vcc
	s_xor_b64 s[2:3], exec, s[2:3]
	s_cbranch_execz .LBB437_371
; %bb.366:
	v_cmp_ge_u32_e32 vcc, v13, v12
	s_and_saveexec_b64 s[4:5], vcc
	s_xor_b64 s[4:5], exec, s[4:5]
	s_cbranch_execz .LBB437_368
; %bb.367:
	v_add_co_u32_e32 v7, vcc, v3, v13
	v_lshlrev_b32_e32 v3, 2, v0
	v_addc_co_u32_e32 v8, vcc, 0, v11, vcc
	ds_read_b32 v3, v3 offset:12288
	v_lshlrev_b64 v[7:8], 2, v[7:8]
	v_mov_b32_e32 v9, s47
	v_sub_co_u32_e32 v7, vcc, s46, v7
	v_subb_co_u32_e32 v8, vcc, v9, v8, vcc
	s_waitcnt lgkmcnt(0)
	global_store_dword v[7:8], v3, off offset:-4
                                        ; implicit-def: $vgpr13
                                        ; implicit-def: $vgpr7_vgpr8
.LBB437_368:
	s_andn2_saveexec_b64 s[4:5], s[4:5]
	s_cbranch_execz .LBB437_370
; %bb.369:
	v_lshlrev_b32_e32 v3, 2, v0
	ds_read_b32 v3, v3 offset:12288
	v_lshlrev_b32_e32 v9, 2, v13
	v_readfirstlane_b32 s6, v7
	v_readfirstlane_b32 s7, v8
	s_waitcnt lgkmcnt(0)
	s_nop 3
	global_store_dword v9, v3, s[6:7]
.LBB437_370:
	s_or_b64 exec, exec, s[4:5]
                                        ; implicit-def: $vgpr13
                                        ; implicit-def: $vgpr9_vgpr10
.LBB437_371:
	s_andn2_saveexec_b64 s[2:3], s[2:3]
	s_cbranch_execz .LBB437_373
; %bb.372:
	v_lshlrev_b32_e32 v3, 2, v0
	ds_read_b32 v3, v3 offset:12288
	v_lshlrev_b32_e32 v7, 2, v13
	v_readfirstlane_b32 s2, v9
	v_readfirstlane_b32 s3, v10
	s_waitcnt lgkmcnt(0)
	s_nop 3
	global_store_dword v7, v3, s[2:3]
.LBB437_373:
	s_or_b64 exec, exec, s[0:1]
	v_cmp_eq_u32_e32 vcc, 0, v0
	s_and_b64 s[0:1], vcc, s[34:35]
	s_and_saveexec_b64 s[2:3], s[0:1]
	s_cbranch_execz .LBB437_150
.LBB437_374:
	v_mov_b32_e32 v0, s51
	v_add_co_u32_e32 v2, vcc, s50, v2
	v_addc_co_u32_e32 v0, vcc, 0, v0, vcc
	v_add_co_u32_e32 v2, vcc, v2, v4
	v_addc_co_u32_e32 v3, vcc, 0, v0, vcc
	v_add_co_u32_e32 v0, vcc, v5, v1
	v_mov_b32_e32 v7, 0
	v_addc_co_u32_e32 v1, vcc, 0, v6, vcc
	global_store_dwordx4 v7, v[0:3], s[44:45]
	s_endpgm
.LBB437_375:
	s_add_i32 s6, s6, 64
	s_mov_b32 s7, 0
	s_lshl_b64 s[6:7], s[6:7], 4
	s_add_u32 s6, s12, s6
	s_addc_u32 s7, s13, s7
	v_mov_b32_e32 v24, s7
	v_add_u32_e32 v6, v4, v2
	v_add_u32_e32 v5, v3, v1
	v_mov_b32_e32 v7, 2
	v_mov_b32_e32 v8, 0
	;; [unrolled: 1-line block ×3, first 2 shown]
	;;#ASMSTART
	global_store_dwordx4 v[23:24], v[5:8] off	
s_waitcnt vmcnt(0)
	;;#ASMEND
	s_or_b64 exec, exec, s[14:15]
	s_and_saveexec_b64 s[6:7], s[8:9]
	s_cbranch_execz .LBB437_135
.LBB437_376:
	v_mov_b32_e32 v5, 0
	ds_write_b128 v5, v[1:4] offset:13312
	s_or_b64 exec, exec, s[6:7]
	v_cmp_eq_u32_e32 vcc, 0, v0
	s_and_b64 exec, exec, vcc
	s_cbranch_execnz .LBB437_136
	s_branch .LBB437_137
	.section	.rodata,"a",@progbits
	.p2align	6, 0x0
	.amdhsa_kernel _ZN7rocprim17ROCPRIM_400000_NS6detail17trampoline_kernelINS0_13select_configILj256ELj13ELNS0_17block_load_methodE3ELS4_3ELS4_3ELNS0_20block_scan_algorithmE0ELj4294967295EEENS1_25partition_config_selectorILNS1_17partition_subalgoE4EjNS0_10empty_typeEbEEZZNS1_14partition_implILS8_4ELb0ES6_15HIP_vector_typeIjLj2EENS0_17counting_iteratorIjlEEPS9_SG_NS0_5tupleIJPjSI_NS0_16reverse_iteratorISI_EEEEENSH_IJSG_SG_SG_EEES9_SI_JZNS1_25segmented_radix_sort_implINS0_14default_configELb1EPKiPiPKlPlN2at6native12_GLOBAL__N_18offset_tEEE10hipError_tPvRmT1_PNSt15iterator_traitsIS12_E10value_typeET2_T3_PNS13_IS18_E10value_typeET4_jRbjT5_S1E_jjP12ihipStream_tbEUljE_ZNSN_ISO_Lb1ESQ_SR_ST_SU_SY_EESZ_S10_S11_S12_S16_S17_S18_S1B_S1C_jS1D_jS1E_S1E_jjS1G_bEUljE0_EEESZ_S10_S11_S18_S1C_S1E_T6_T7_T9_mT8_S1G_bDpT10_ENKUlT_T0_E_clISt17integral_constantIbLb0EES1U_EEDaS1P_S1Q_EUlS1P_E_NS1_11comp_targetILNS1_3genE2ELNS1_11target_archE906ELNS1_3gpuE6ELNS1_3repE0EEENS1_30default_config_static_selectorELNS0_4arch9wavefront6targetE1EEEvS12_
		.amdhsa_group_segment_fixed_size 13328
		.amdhsa_private_segment_fixed_size 0
		.amdhsa_kernarg_size 176
		.amdhsa_user_sgpr_count 6
		.amdhsa_user_sgpr_private_segment_buffer 1
		.amdhsa_user_sgpr_dispatch_ptr 0
		.amdhsa_user_sgpr_queue_ptr 0
		.amdhsa_user_sgpr_kernarg_segment_ptr 1
		.amdhsa_user_sgpr_dispatch_id 0
		.amdhsa_user_sgpr_flat_scratch_init 0
		.amdhsa_user_sgpr_private_segment_size 0
		.amdhsa_uses_dynamic_stack 0
		.amdhsa_system_sgpr_private_segment_wavefront_offset 0
		.amdhsa_system_sgpr_workgroup_id_x 1
		.amdhsa_system_sgpr_workgroup_id_y 0
		.amdhsa_system_sgpr_workgroup_id_z 0
		.amdhsa_system_sgpr_workgroup_info 0
		.amdhsa_system_vgpr_workitem_id 0
		.amdhsa_next_free_vgpr 86
		.amdhsa_next_free_sgpr 98
		.amdhsa_reserve_vcc 1
		.amdhsa_reserve_flat_scratch 0
		.amdhsa_float_round_mode_32 0
		.amdhsa_float_round_mode_16_64 0
		.amdhsa_float_denorm_mode_32 3
		.amdhsa_float_denorm_mode_16_64 3
		.amdhsa_dx10_clamp 1
		.amdhsa_ieee_mode 1
		.amdhsa_fp16_overflow 0
		.amdhsa_exception_fp_ieee_invalid_op 0
		.amdhsa_exception_fp_denorm_src 0
		.amdhsa_exception_fp_ieee_div_zero 0
		.amdhsa_exception_fp_ieee_overflow 0
		.amdhsa_exception_fp_ieee_underflow 0
		.amdhsa_exception_fp_ieee_inexact 0
		.amdhsa_exception_int_div_zero 0
	.end_amdhsa_kernel
	.section	.text._ZN7rocprim17ROCPRIM_400000_NS6detail17trampoline_kernelINS0_13select_configILj256ELj13ELNS0_17block_load_methodE3ELS4_3ELS4_3ELNS0_20block_scan_algorithmE0ELj4294967295EEENS1_25partition_config_selectorILNS1_17partition_subalgoE4EjNS0_10empty_typeEbEEZZNS1_14partition_implILS8_4ELb0ES6_15HIP_vector_typeIjLj2EENS0_17counting_iteratorIjlEEPS9_SG_NS0_5tupleIJPjSI_NS0_16reverse_iteratorISI_EEEEENSH_IJSG_SG_SG_EEES9_SI_JZNS1_25segmented_radix_sort_implINS0_14default_configELb1EPKiPiPKlPlN2at6native12_GLOBAL__N_18offset_tEEE10hipError_tPvRmT1_PNSt15iterator_traitsIS12_E10value_typeET2_T3_PNS13_IS18_E10value_typeET4_jRbjT5_S1E_jjP12ihipStream_tbEUljE_ZNSN_ISO_Lb1ESQ_SR_ST_SU_SY_EESZ_S10_S11_S12_S16_S17_S18_S1B_S1C_jS1D_jS1E_S1E_jjS1G_bEUljE0_EEESZ_S10_S11_S18_S1C_S1E_T6_T7_T9_mT8_S1G_bDpT10_ENKUlT_T0_E_clISt17integral_constantIbLb0EES1U_EEDaS1P_S1Q_EUlS1P_E_NS1_11comp_targetILNS1_3genE2ELNS1_11target_archE906ELNS1_3gpuE6ELNS1_3repE0EEENS1_30default_config_static_selectorELNS0_4arch9wavefront6targetE1EEEvS12_,"axG",@progbits,_ZN7rocprim17ROCPRIM_400000_NS6detail17trampoline_kernelINS0_13select_configILj256ELj13ELNS0_17block_load_methodE3ELS4_3ELS4_3ELNS0_20block_scan_algorithmE0ELj4294967295EEENS1_25partition_config_selectorILNS1_17partition_subalgoE4EjNS0_10empty_typeEbEEZZNS1_14partition_implILS8_4ELb0ES6_15HIP_vector_typeIjLj2EENS0_17counting_iteratorIjlEEPS9_SG_NS0_5tupleIJPjSI_NS0_16reverse_iteratorISI_EEEEENSH_IJSG_SG_SG_EEES9_SI_JZNS1_25segmented_radix_sort_implINS0_14default_configELb1EPKiPiPKlPlN2at6native12_GLOBAL__N_18offset_tEEE10hipError_tPvRmT1_PNSt15iterator_traitsIS12_E10value_typeET2_T3_PNS13_IS18_E10value_typeET4_jRbjT5_S1E_jjP12ihipStream_tbEUljE_ZNSN_ISO_Lb1ESQ_SR_ST_SU_SY_EESZ_S10_S11_S12_S16_S17_S18_S1B_S1C_jS1D_jS1E_S1E_jjS1G_bEUljE0_EEESZ_S10_S11_S18_S1C_S1E_T6_T7_T9_mT8_S1G_bDpT10_ENKUlT_T0_E_clISt17integral_constantIbLb0EES1U_EEDaS1P_S1Q_EUlS1P_E_NS1_11comp_targetILNS1_3genE2ELNS1_11target_archE906ELNS1_3gpuE6ELNS1_3repE0EEENS1_30default_config_static_selectorELNS0_4arch9wavefront6targetE1EEEvS12_,comdat
.Lfunc_end437:
	.size	_ZN7rocprim17ROCPRIM_400000_NS6detail17trampoline_kernelINS0_13select_configILj256ELj13ELNS0_17block_load_methodE3ELS4_3ELS4_3ELNS0_20block_scan_algorithmE0ELj4294967295EEENS1_25partition_config_selectorILNS1_17partition_subalgoE4EjNS0_10empty_typeEbEEZZNS1_14partition_implILS8_4ELb0ES6_15HIP_vector_typeIjLj2EENS0_17counting_iteratorIjlEEPS9_SG_NS0_5tupleIJPjSI_NS0_16reverse_iteratorISI_EEEEENSH_IJSG_SG_SG_EEES9_SI_JZNS1_25segmented_radix_sort_implINS0_14default_configELb1EPKiPiPKlPlN2at6native12_GLOBAL__N_18offset_tEEE10hipError_tPvRmT1_PNSt15iterator_traitsIS12_E10value_typeET2_T3_PNS13_IS18_E10value_typeET4_jRbjT5_S1E_jjP12ihipStream_tbEUljE_ZNSN_ISO_Lb1ESQ_SR_ST_SU_SY_EESZ_S10_S11_S12_S16_S17_S18_S1B_S1C_jS1D_jS1E_S1E_jjS1G_bEUljE0_EEESZ_S10_S11_S18_S1C_S1E_T6_T7_T9_mT8_S1G_bDpT10_ENKUlT_T0_E_clISt17integral_constantIbLb0EES1U_EEDaS1P_S1Q_EUlS1P_E_NS1_11comp_targetILNS1_3genE2ELNS1_11target_archE906ELNS1_3gpuE6ELNS1_3repE0EEENS1_30default_config_static_selectorELNS0_4arch9wavefront6targetE1EEEvS12_, .Lfunc_end437-_ZN7rocprim17ROCPRIM_400000_NS6detail17trampoline_kernelINS0_13select_configILj256ELj13ELNS0_17block_load_methodE3ELS4_3ELS4_3ELNS0_20block_scan_algorithmE0ELj4294967295EEENS1_25partition_config_selectorILNS1_17partition_subalgoE4EjNS0_10empty_typeEbEEZZNS1_14partition_implILS8_4ELb0ES6_15HIP_vector_typeIjLj2EENS0_17counting_iteratorIjlEEPS9_SG_NS0_5tupleIJPjSI_NS0_16reverse_iteratorISI_EEEEENSH_IJSG_SG_SG_EEES9_SI_JZNS1_25segmented_radix_sort_implINS0_14default_configELb1EPKiPiPKlPlN2at6native12_GLOBAL__N_18offset_tEEE10hipError_tPvRmT1_PNSt15iterator_traitsIS12_E10value_typeET2_T3_PNS13_IS18_E10value_typeET4_jRbjT5_S1E_jjP12ihipStream_tbEUljE_ZNSN_ISO_Lb1ESQ_SR_ST_SU_SY_EESZ_S10_S11_S12_S16_S17_S18_S1B_S1C_jS1D_jS1E_S1E_jjS1G_bEUljE0_EEESZ_S10_S11_S18_S1C_S1E_T6_T7_T9_mT8_S1G_bDpT10_ENKUlT_T0_E_clISt17integral_constantIbLb0EES1U_EEDaS1P_S1Q_EUlS1P_E_NS1_11comp_targetILNS1_3genE2ELNS1_11target_archE906ELNS1_3gpuE6ELNS1_3repE0EEENS1_30default_config_static_selectorELNS0_4arch9wavefront6targetE1EEEvS12_
                                        ; -- End function
	.set _ZN7rocprim17ROCPRIM_400000_NS6detail17trampoline_kernelINS0_13select_configILj256ELj13ELNS0_17block_load_methodE3ELS4_3ELS4_3ELNS0_20block_scan_algorithmE0ELj4294967295EEENS1_25partition_config_selectorILNS1_17partition_subalgoE4EjNS0_10empty_typeEbEEZZNS1_14partition_implILS8_4ELb0ES6_15HIP_vector_typeIjLj2EENS0_17counting_iteratorIjlEEPS9_SG_NS0_5tupleIJPjSI_NS0_16reverse_iteratorISI_EEEEENSH_IJSG_SG_SG_EEES9_SI_JZNS1_25segmented_radix_sort_implINS0_14default_configELb1EPKiPiPKlPlN2at6native12_GLOBAL__N_18offset_tEEE10hipError_tPvRmT1_PNSt15iterator_traitsIS12_E10value_typeET2_T3_PNS13_IS18_E10value_typeET4_jRbjT5_S1E_jjP12ihipStream_tbEUljE_ZNSN_ISO_Lb1ESQ_SR_ST_SU_SY_EESZ_S10_S11_S12_S16_S17_S18_S1B_S1C_jS1D_jS1E_S1E_jjS1G_bEUljE0_EEESZ_S10_S11_S18_S1C_S1E_T6_T7_T9_mT8_S1G_bDpT10_ENKUlT_T0_E_clISt17integral_constantIbLb0EES1U_EEDaS1P_S1Q_EUlS1P_E_NS1_11comp_targetILNS1_3genE2ELNS1_11target_archE906ELNS1_3gpuE6ELNS1_3repE0EEENS1_30default_config_static_selectorELNS0_4arch9wavefront6targetE1EEEvS12_.num_vgpr, 86
	.set _ZN7rocprim17ROCPRIM_400000_NS6detail17trampoline_kernelINS0_13select_configILj256ELj13ELNS0_17block_load_methodE3ELS4_3ELS4_3ELNS0_20block_scan_algorithmE0ELj4294967295EEENS1_25partition_config_selectorILNS1_17partition_subalgoE4EjNS0_10empty_typeEbEEZZNS1_14partition_implILS8_4ELb0ES6_15HIP_vector_typeIjLj2EENS0_17counting_iteratorIjlEEPS9_SG_NS0_5tupleIJPjSI_NS0_16reverse_iteratorISI_EEEEENSH_IJSG_SG_SG_EEES9_SI_JZNS1_25segmented_radix_sort_implINS0_14default_configELb1EPKiPiPKlPlN2at6native12_GLOBAL__N_18offset_tEEE10hipError_tPvRmT1_PNSt15iterator_traitsIS12_E10value_typeET2_T3_PNS13_IS18_E10value_typeET4_jRbjT5_S1E_jjP12ihipStream_tbEUljE_ZNSN_ISO_Lb1ESQ_SR_ST_SU_SY_EESZ_S10_S11_S12_S16_S17_S18_S1B_S1C_jS1D_jS1E_S1E_jjS1G_bEUljE0_EEESZ_S10_S11_S18_S1C_S1E_T6_T7_T9_mT8_S1G_bDpT10_ENKUlT_T0_E_clISt17integral_constantIbLb0EES1U_EEDaS1P_S1Q_EUlS1P_E_NS1_11comp_targetILNS1_3genE2ELNS1_11target_archE906ELNS1_3gpuE6ELNS1_3repE0EEENS1_30default_config_static_selectorELNS0_4arch9wavefront6targetE1EEEvS12_.num_agpr, 0
	.set _ZN7rocprim17ROCPRIM_400000_NS6detail17trampoline_kernelINS0_13select_configILj256ELj13ELNS0_17block_load_methodE3ELS4_3ELS4_3ELNS0_20block_scan_algorithmE0ELj4294967295EEENS1_25partition_config_selectorILNS1_17partition_subalgoE4EjNS0_10empty_typeEbEEZZNS1_14partition_implILS8_4ELb0ES6_15HIP_vector_typeIjLj2EENS0_17counting_iteratorIjlEEPS9_SG_NS0_5tupleIJPjSI_NS0_16reverse_iteratorISI_EEEEENSH_IJSG_SG_SG_EEES9_SI_JZNS1_25segmented_radix_sort_implINS0_14default_configELb1EPKiPiPKlPlN2at6native12_GLOBAL__N_18offset_tEEE10hipError_tPvRmT1_PNSt15iterator_traitsIS12_E10value_typeET2_T3_PNS13_IS18_E10value_typeET4_jRbjT5_S1E_jjP12ihipStream_tbEUljE_ZNSN_ISO_Lb1ESQ_SR_ST_SU_SY_EESZ_S10_S11_S12_S16_S17_S18_S1B_S1C_jS1D_jS1E_S1E_jjS1G_bEUljE0_EEESZ_S10_S11_S18_S1C_S1E_T6_T7_T9_mT8_S1G_bDpT10_ENKUlT_T0_E_clISt17integral_constantIbLb0EES1U_EEDaS1P_S1Q_EUlS1P_E_NS1_11comp_targetILNS1_3genE2ELNS1_11target_archE906ELNS1_3gpuE6ELNS1_3repE0EEENS1_30default_config_static_selectorELNS0_4arch9wavefront6targetE1EEEvS12_.numbered_sgpr, 90
	.set _ZN7rocprim17ROCPRIM_400000_NS6detail17trampoline_kernelINS0_13select_configILj256ELj13ELNS0_17block_load_methodE3ELS4_3ELS4_3ELNS0_20block_scan_algorithmE0ELj4294967295EEENS1_25partition_config_selectorILNS1_17partition_subalgoE4EjNS0_10empty_typeEbEEZZNS1_14partition_implILS8_4ELb0ES6_15HIP_vector_typeIjLj2EENS0_17counting_iteratorIjlEEPS9_SG_NS0_5tupleIJPjSI_NS0_16reverse_iteratorISI_EEEEENSH_IJSG_SG_SG_EEES9_SI_JZNS1_25segmented_radix_sort_implINS0_14default_configELb1EPKiPiPKlPlN2at6native12_GLOBAL__N_18offset_tEEE10hipError_tPvRmT1_PNSt15iterator_traitsIS12_E10value_typeET2_T3_PNS13_IS18_E10value_typeET4_jRbjT5_S1E_jjP12ihipStream_tbEUljE_ZNSN_ISO_Lb1ESQ_SR_ST_SU_SY_EESZ_S10_S11_S12_S16_S17_S18_S1B_S1C_jS1D_jS1E_S1E_jjS1G_bEUljE0_EEESZ_S10_S11_S18_S1C_S1E_T6_T7_T9_mT8_S1G_bDpT10_ENKUlT_T0_E_clISt17integral_constantIbLb0EES1U_EEDaS1P_S1Q_EUlS1P_E_NS1_11comp_targetILNS1_3genE2ELNS1_11target_archE906ELNS1_3gpuE6ELNS1_3repE0EEENS1_30default_config_static_selectorELNS0_4arch9wavefront6targetE1EEEvS12_.num_named_barrier, 0
	.set _ZN7rocprim17ROCPRIM_400000_NS6detail17trampoline_kernelINS0_13select_configILj256ELj13ELNS0_17block_load_methodE3ELS4_3ELS4_3ELNS0_20block_scan_algorithmE0ELj4294967295EEENS1_25partition_config_selectorILNS1_17partition_subalgoE4EjNS0_10empty_typeEbEEZZNS1_14partition_implILS8_4ELb0ES6_15HIP_vector_typeIjLj2EENS0_17counting_iteratorIjlEEPS9_SG_NS0_5tupleIJPjSI_NS0_16reverse_iteratorISI_EEEEENSH_IJSG_SG_SG_EEES9_SI_JZNS1_25segmented_radix_sort_implINS0_14default_configELb1EPKiPiPKlPlN2at6native12_GLOBAL__N_18offset_tEEE10hipError_tPvRmT1_PNSt15iterator_traitsIS12_E10value_typeET2_T3_PNS13_IS18_E10value_typeET4_jRbjT5_S1E_jjP12ihipStream_tbEUljE_ZNSN_ISO_Lb1ESQ_SR_ST_SU_SY_EESZ_S10_S11_S12_S16_S17_S18_S1B_S1C_jS1D_jS1E_S1E_jjS1G_bEUljE0_EEESZ_S10_S11_S18_S1C_S1E_T6_T7_T9_mT8_S1G_bDpT10_ENKUlT_T0_E_clISt17integral_constantIbLb0EES1U_EEDaS1P_S1Q_EUlS1P_E_NS1_11comp_targetILNS1_3genE2ELNS1_11target_archE906ELNS1_3gpuE6ELNS1_3repE0EEENS1_30default_config_static_selectorELNS0_4arch9wavefront6targetE1EEEvS12_.private_seg_size, 0
	.set _ZN7rocprim17ROCPRIM_400000_NS6detail17trampoline_kernelINS0_13select_configILj256ELj13ELNS0_17block_load_methodE3ELS4_3ELS4_3ELNS0_20block_scan_algorithmE0ELj4294967295EEENS1_25partition_config_selectorILNS1_17partition_subalgoE4EjNS0_10empty_typeEbEEZZNS1_14partition_implILS8_4ELb0ES6_15HIP_vector_typeIjLj2EENS0_17counting_iteratorIjlEEPS9_SG_NS0_5tupleIJPjSI_NS0_16reverse_iteratorISI_EEEEENSH_IJSG_SG_SG_EEES9_SI_JZNS1_25segmented_radix_sort_implINS0_14default_configELb1EPKiPiPKlPlN2at6native12_GLOBAL__N_18offset_tEEE10hipError_tPvRmT1_PNSt15iterator_traitsIS12_E10value_typeET2_T3_PNS13_IS18_E10value_typeET4_jRbjT5_S1E_jjP12ihipStream_tbEUljE_ZNSN_ISO_Lb1ESQ_SR_ST_SU_SY_EESZ_S10_S11_S12_S16_S17_S18_S1B_S1C_jS1D_jS1E_S1E_jjS1G_bEUljE0_EEESZ_S10_S11_S18_S1C_S1E_T6_T7_T9_mT8_S1G_bDpT10_ENKUlT_T0_E_clISt17integral_constantIbLb0EES1U_EEDaS1P_S1Q_EUlS1P_E_NS1_11comp_targetILNS1_3genE2ELNS1_11target_archE906ELNS1_3gpuE6ELNS1_3repE0EEENS1_30default_config_static_selectorELNS0_4arch9wavefront6targetE1EEEvS12_.uses_vcc, 1
	.set _ZN7rocprim17ROCPRIM_400000_NS6detail17trampoline_kernelINS0_13select_configILj256ELj13ELNS0_17block_load_methodE3ELS4_3ELS4_3ELNS0_20block_scan_algorithmE0ELj4294967295EEENS1_25partition_config_selectorILNS1_17partition_subalgoE4EjNS0_10empty_typeEbEEZZNS1_14partition_implILS8_4ELb0ES6_15HIP_vector_typeIjLj2EENS0_17counting_iteratorIjlEEPS9_SG_NS0_5tupleIJPjSI_NS0_16reverse_iteratorISI_EEEEENSH_IJSG_SG_SG_EEES9_SI_JZNS1_25segmented_radix_sort_implINS0_14default_configELb1EPKiPiPKlPlN2at6native12_GLOBAL__N_18offset_tEEE10hipError_tPvRmT1_PNSt15iterator_traitsIS12_E10value_typeET2_T3_PNS13_IS18_E10value_typeET4_jRbjT5_S1E_jjP12ihipStream_tbEUljE_ZNSN_ISO_Lb1ESQ_SR_ST_SU_SY_EESZ_S10_S11_S12_S16_S17_S18_S1B_S1C_jS1D_jS1E_S1E_jjS1G_bEUljE0_EEESZ_S10_S11_S18_S1C_S1E_T6_T7_T9_mT8_S1G_bDpT10_ENKUlT_T0_E_clISt17integral_constantIbLb0EES1U_EEDaS1P_S1Q_EUlS1P_E_NS1_11comp_targetILNS1_3genE2ELNS1_11target_archE906ELNS1_3gpuE6ELNS1_3repE0EEENS1_30default_config_static_selectorELNS0_4arch9wavefront6targetE1EEEvS12_.uses_flat_scratch, 0
	.set _ZN7rocprim17ROCPRIM_400000_NS6detail17trampoline_kernelINS0_13select_configILj256ELj13ELNS0_17block_load_methodE3ELS4_3ELS4_3ELNS0_20block_scan_algorithmE0ELj4294967295EEENS1_25partition_config_selectorILNS1_17partition_subalgoE4EjNS0_10empty_typeEbEEZZNS1_14partition_implILS8_4ELb0ES6_15HIP_vector_typeIjLj2EENS0_17counting_iteratorIjlEEPS9_SG_NS0_5tupleIJPjSI_NS0_16reverse_iteratorISI_EEEEENSH_IJSG_SG_SG_EEES9_SI_JZNS1_25segmented_radix_sort_implINS0_14default_configELb1EPKiPiPKlPlN2at6native12_GLOBAL__N_18offset_tEEE10hipError_tPvRmT1_PNSt15iterator_traitsIS12_E10value_typeET2_T3_PNS13_IS18_E10value_typeET4_jRbjT5_S1E_jjP12ihipStream_tbEUljE_ZNSN_ISO_Lb1ESQ_SR_ST_SU_SY_EESZ_S10_S11_S12_S16_S17_S18_S1B_S1C_jS1D_jS1E_S1E_jjS1G_bEUljE0_EEESZ_S10_S11_S18_S1C_S1E_T6_T7_T9_mT8_S1G_bDpT10_ENKUlT_T0_E_clISt17integral_constantIbLb0EES1U_EEDaS1P_S1Q_EUlS1P_E_NS1_11comp_targetILNS1_3genE2ELNS1_11target_archE906ELNS1_3gpuE6ELNS1_3repE0EEENS1_30default_config_static_selectorELNS0_4arch9wavefront6targetE1EEEvS12_.has_dyn_sized_stack, 0
	.set _ZN7rocprim17ROCPRIM_400000_NS6detail17trampoline_kernelINS0_13select_configILj256ELj13ELNS0_17block_load_methodE3ELS4_3ELS4_3ELNS0_20block_scan_algorithmE0ELj4294967295EEENS1_25partition_config_selectorILNS1_17partition_subalgoE4EjNS0_10empty_typeEbEEZZNS1_14partition_implILS8_4ELb0ES6_15HIP_vector_typeIjLj2EENS0_17counting_iteratorIjlEEPS9_SG_NS0_5tupleIJPjSI_NS0_16reverse_iteratorISI_EEEEENSH_IJSG_SG_SG_EEES9_SI_JZNS1_25segmented_radix_sort_implINS0_14default_configELb1EPKiPiPKlPlN2at6native12_GLOBAL__N_18offset_tEEE10hipError_tPvRmT1_PNSt15iterator_traitsIS12_E10value_typeET2_T3_PNS13_IS18_E10value_typeET4_jRbjT5_S1E_jjP12ihipStream_tbEUljE_ZNSN_ISO_Lb1ESQ_SR_ST_SU_SY_EESZ_S10_S11_S12_S16_S17_S18_S1B_S1C_jS1D_jS1E_S1E_jjS1G_bEUljE0_EEESZ_S10_S11_S18_S1C_S1E_T6_T7_T9_mT8_S1G_bDpT10_ENKUlT_T0_E_clISt17integral_constantIbLb0EES1U_EEDaS1P_S1Q_EUlS1P_E_NS1_11comp_targetILNS1_3genE2ELNS1_11target_archE906ELNS1_3gpuE6ELNS1_3repE0EEENS1_30default_config_static_selectorELNS0_4arch9wavefront6targetE1EEEvS12_.has_recursion, 0
	.set _ZN7rocprim17ROCPRIM_400000_NS6detail17trampoline_kernelINS0_13select_configILj256ELj13ELNS0_17block_load_methodE3ELS4_3ELS4_3ELNS0_20block_scan_algorithmE0ELj4294967295EEENS1_25partition_config_selectorILNS1_17partition_subalgoE4EjNS0_10empty_typeEbEEZZNS1_14partition_implILS8_4ELb0ES6_15HIP_vector_typeIjLj2EENS0_17counting_iteratorIjlEEPS9_SG_NS0_5tupleIJPjSI_NS0_16reverse_iteratorISI_EEEEENSH_IJSG_SG_SG_EEES9_SI_JZNS1_25segmented_radix_sort_implINS0_14default_configELb1EPKiPiPKlPlN2at6native12_GLOBAL__N_18offset_tEEE10hipError_tPvRmT1_PNSt15iterator_traitsIS12_E10value_typeET2_T3_PNS13_IS18_E10value_typeET4_jRbjT5_S1E_jjP12ihipStream_tbEUljE_ZNSN_ISO_Lb1ESQ_SR_ST_SU_SY_EESZ_S10_S11_S12_S16_S17_S18_S1B_S1C_jS1D_jS1E_S1E_jjS1G_bEUljE0_EEESZ_S10_S11_S18_S1C_S1E_T6_T7_T9_mT8_S1G_bDpT10_ENKUlT_T0_E_clISt17integral_constantIbLb0EES1U_EEDaS1P_S1Q_EUlS1P_E_NS1_11comp_targetILNS1_3genE2ELNS1_11target_archE906ELNS1_3gpuE6ELNS1_3repE0EEENS1_30default_config_static_selectorELNS0_4arch9wavefront6targetE1EEEvS12_.has_indirect_call, 0
	.section	.AMDGPU.csdata,"",@progbits
; Kernel info:
; codeLenInByte = 15480
; TotalNumSgprs: 94
; NumVgprs: 86
; ScratchSize: 0
; MemoryBound: 0
; FloatMode: 240
; IeeeMode: 1
; LDSByteSize: 13328 bytes/workgroup (compile time only)
; SGPRBlocks: 12
; VGPRBlocks: 21
; NumSGPRsForWavesPerEU: 102
; NumVGPRsForWavesPerEU: 86
; Occupancy: 2
; WaveLimiterHint : 1
; COMPUTE_PGM_RSRC2:SCRATCH_EN: 0
; COMPUTE_PGM_RSRC2:USER_SGPR: 6
; COMPUTE_PGM_RSRC2:TRAP_HANDLER: 0
; COMPUTE_PGM_RSRC2:TGID_X_EN: 1
; COMPUTE_PGM_RSRC2:TGID_Y_EN: 0
; COMPUTE_PGM_RSRC2:TGID_Z_EN: 0
; COMPUTE_PGM_RSRC2:TIDIG_COMP_CNT: 0
	.section	.text._ZN7rocprim17ROCPRIM_400000_NS6detail17trampoline_kernelINS0_13select_configILj256ELj13ELNS0_17block_load_methodE3ELS4_3ELS4_3ELNS0_20block_scan_algorithmE0ELj4294967295EEENS1_25partition_config_selectorILNS1_17partition_subalgoE4EjNS0_10empty_typeEbEEZZNS1_14partition_implILS8_4ELb0ES6_15HIP_vector_typeIjLj2EENS0_17counting_iteratorIjlEEPS9_SG_NS0_5tupleIJPjSI_NS0_16reverse_iteratorISI_EEEEENSH_IJSG_SG_SG_EEES9_SI_JZNS1_25segmented_radix_sort_implINS0_14default_configELb1EPKiPiPKlPlN2at6native12_GLOBAL__N_18offset_tEEE10hipError_tPvRmT1_PNSt15iterator_traitsIS12_E10value_typeET2_T3_PNS13_IS18_E10value_typeET4_jRbjT5_S1E_jjP12ihipStream_tbEUljE_ZNSN_ISO_Lb1ESQ_SR_ST_SU_SY_EESZ_S10_S11_S12_S16_S17_S18_S1B_S1C_jS1D_jS1E_S1E_jjS1G_bEUljE0_EEESZ_S10_S11_S18_S1C_S1E_T6_T7_T9_mT8_S1G_bDpT10_ENKUlT_T0_E_clISt17integral_constantIbLb0EES1U_EEDaS1P_S1Q_EUlS1P_E_NS1_11comp_targetILNS1_3genE10ELNS1_11target_archE1200ELNS1_3gpuE4ELNS1_3repE0EEENS1_30default_config_static_selectorELNS0_4arch9wavefront6targetE1EEEvS12_,"axG",@progbits,_ZN7rocprim17ROCPRIM_400000_NS6detail17trampoline_kernelINS0_13select_configILj256ELj13ELNS0_17block_load_methodE3ELS4_3ELS4_3ELNS0_20block_scan_algorithmE0ELj4294967295EEENS1_25partition_config_selectorILNS1_17partition_subalgoE4EjNS0_10empty_typeEbEEZZNS1_14partition_implILS8_4ELb0ES6_15HIP_vector_typeIjLj2EENS0_17counting_iteratorIjlEEPS9_SG_NS0_5tupleIJPjSI_NS0_16reverse_iteratorISI_EEEEENSH_IJSG_SG_SG_EEES9_SI_JZNS1_25segmented_radix_sort_implINS0_14default_configELb1EPKiPiPKlPlN2at6native12_GLOBAL__N_18offset_tEEE10hipError_tPvRmT1_PNSt15iterator_traitsIS12_E10value_typeET2_T3_PNS13_IS18_E10value_typeET4_jRbjT5_S1E_jjP12ihipStream_tbEUljE_ZNSN_ISO_Lb1ESQ_SR_ST_SU_SY_EESZ_S10_S11_S12_S16_S17_S18_S1B_S1C_jS1D_jS1E_S1E_jjS1G_bEUljE0_EEESZ_S10_S11_S18_S1C_S1E_T6_T7_T9_mT8_S1G_bDpT10_ENKUlT_T0_E_clISt17integral_constantIbLb0EES1U_EEDaS1P_S1Q_EUlS1P_E_NS1_11comp_targetILNS1_3genE10ELNS1_11target_archE1200ELNS1_3gpuE4ELNS1_3repE0EEENS1_30default_config_static_selectorELNS0_4arch9wavefront6targetE1EEEvS12_,comdat
	.globl	_ZN7rocprim17ROCPRIM_400000_NS6detail17trampoline_kernelINS0_13select_configILj256ELj13ELNS0_17block_load_methodE3ELS4_3ELS4_3ELNS0_20block_scan_algorithmE0ELj4294967295EEENS1_25partition_config_selectorILNS1_17partition_subalgoE4EjNS0_10empty_typeEbEEZZNS1_14partition_implILS8_4ELb0ES6_15HIP_vector_typeIjLj2EENS0_17counting_iteratorIjlEEPS9_SG_NS0_5tupleIJPjSI_NS0_16reverse_iteratorISI_EEEEENSH_IJSG_SG_SG_EEES9_SI_JZNS1_25segmented_radix_sort_implINS0_14default_configELb1EPKiPiPKlPlN2at6native12_GLOBAL__N_18offset_tEEE10hipError_tPvRmT1_PNSt15iterator_traitsIS12_E10value_typeET2_T3_PNS13_IS18_E10value_typeET4_jRbjT5_S1E_jjP12ihipStream_tbEUljE_ZNSN_ISO_Lb1ESQ_SR_ST_SU_SY_EESZ_S10_S11_S12_S16_S17_S18_S1B_S1C_jS1D_jS1E_S1E_jjS1G_bEUljE0_EEESZ_S10_S11_S18_S1C_S1E_T6_T7_T9_mT8_S1G_bDpT10_ENKUlT_T0_E_clISt17integral_constantIbLb0EES1U_EEDaS1P_S1Q_EUlS1P_E_NS1_11comp_targetILNS1_3genE10ELNS1_11target_archE1200ELNS1_3gpuE4ELNS1_3repE0EEENS1_30default_config_static_selectorELNS0_4arch9wavefront6targetE1EEEvS12_ ; -- Begin function _ZN7rocprim17ROCPRIM_400000_NS6detail17trampoline_kernelINS0_13select_configILj256ELj13ELNS0_17block_load_methodE3ELS4_3ELS4_3ELNS0_20block_scan_algorithmE0ELj4294967295EEENS1_25partition_config_selectorILNS1_17partition_subalgoE4EjNS0_10empty_typeEbEEZZNS1_14partition_implILS8_4ELb0ES6_15HIP_vector_typeIjLj2EENS0_17counting_iteratorIjlEEPS9_SG_NS0_5tupleIJPjSI_NS0_16reverse_iteratorISI_EEEEENSH_IJSG_SG_SG_EEES9_SI_JZNS1_25segmented_radix_sort_implINS0_14default_configELb1EPKiPiPKlPlN2at6native12_GLOBAL__N_18offset_tEEE10hipError_tPvRmT1_PNSt15iterator_traitsIS12_E10value_typeET2_T3_PNS13_IS18_E10value_typeET4_jRbjT5_S1E_jjP12ihipStream_tbEUljE_ZNSN_ISO_Lb1ESQ_SR_ST_SU_SY_EESZ_S10_S11_S12_S16_S17_S18_S1B_S1C_jS1D_jS1E_S1E_jjS1G_bEUljE0_EEESZ_S10_S11_S18_S1C_S1E_T6_T7_T9_mT8_S1G_bDpT10_ENKUlT_T0_E_clISt17integral_constantIbLb0EES1U_EEDaS1P_S1Q_EUlS1P_E_NS1_11comp_targetILNS1_3genE10ELNS1_11target_archE1200ELNS1_3gpuE4ELNS1_3repE0EEENS1_30default_config_static_selectorELNS0_4arch9wavefront6targetE1EEEvS12_
	.p2align	8
	.type	_ZN7rocprim17ROCPRIM_400000_NS6detail17trampoline_kernelINS0_13select_configILj256ELj13ELNS0_17block_load_methodE3ELS4_3ELS4_3ELNS0_20block_scan_algorithmE0ELj4294967295EEENS1_25partition_config_selectorILNS1_17partition_subalgoE4EjNS0_10empty_typeEbEEZZNS1_14partition_implILS8_4ELb0ES6_15HIP_vector_typeIjLj2EENS0_17counting_iteratorIjlEEPS9_SG_NS0_5tupleIJPjSI_NS0_16reverse_iteratorISI_EEEEENSH_IJSG_SG_SG_EEES9_SI_JZNS1_25segmented_radix_sort_implINS0_14default_configELb1EPKiPiPKlPlN2at6native12_GLOBAL__N_18offset_tEEE10hipError_tPvRmT1_PNSt15iterator_traitsIS12_E10value_typeET2_T3_PNS13_IS18_E10value_typeET4_jRbjT5_S1E_jjP12ihipStream_tbEUljE_ZNSN_ISO_Lb1ESQ_SR_ST_SU_SY_EESZ_S10_S11_S12_S16_S17_S18_S1B_S1C_jS1D_jS1E_S1E_jjS1G_bEUljE0_EEESZ_S10_S11_S18_S1C_S1E_T6_T7_T9_mT8_S1G_bDpT10_ENKUlT_T0_E_clISt17integral_constantIbLb0EES1U_EEDaS1P_S1Q_EUlS1P_E_NS1_11comp_targetILNS1_3genE10ELNS1_11target_archE1200ELNS1_3gpuE4ELNS1_3repE0EEENS1_30default_config_static_selectorELNS0_4arch9wavefront6targetE1EEEvS12_,@function
_ZN7rocprim17ROCPRIM_400000_NS6detail17trampoline_kernelINS0_13select_configILj256ELj13ELNS0_17block_load_methodE3ELS4_3ELS4_3ELNS0_20block_scan_algorithmE0ELj4294967295EEENS1_25partition_config_selectorILNS1_17partition_subalgoE4EjNS0_10empty_typeEbEEZZNS1_14partition_implILS8_4ELb0ES6_15HIP_vector_typeIjLj2EENS0_17counting_iteratorIjlEEPS9_SG_NS0_5tupleIJPjSI_NS0_16reverse_iteratorISI_EEEEENSH_IJSG_SG_SG_EEES9_SI_JZNS1_25segmented_radix_sort_implINS0_14default_configELb1EPKiPiPKlPlN2at6native12_GLOBAL__N_18offset_tEEE10hipError_tPvRmT1_PNSt15iterator_traitsIS12_E10value_typeET2_T3_PNS13_IS18_E10value_typeET4_jRbjT5_S1E_jjP12ihipStream_tbEUljE_ZNSN_ISO_Lb1ESQ_SR_ST_SU_SY_EESZ_S10_S11_S12_S16_S17_S18_S1B_S1C_jS1D_jS1E_S1E_jjS1G_bEUljE0_EEESZ_S10_S11_S18_S1C_S1E_T6_T7_T9_mT8_S1G_bDpT10_ENKUlT_T0_E_clISt17integral_constantIbLb0EES1U_EEDaS1P_S1Q_EUlS1P_E_NS1_11comp_targetILNS1_3genE10ELNS1_11target_archE1200ELNS1_3gpuE4ELNS1_3repE0EEENS1_30default_config_static_selectorELNS0_4arch9wavefront6targetE1EEEvS12_: ; @_ZN7rocprim17ROCPRIM_400000_NS6detail17trampoline_kernelINS0_13select_configILj256ELj13ELNS0_17block_load_methodE3ELS4_3ELS4_3ELNS0_20block_scan_algorithmE0ELj4294967295EEENS1_25partition_config_selectorILNS1_17partition_subalgoE4EjNS0_10empty_typeEbEEZZNS1_14partition_implILS8_4ELb0ES6_15HIP_vector_typeIjLj2EENS0_17counting_iteratorIjlEEPS9_SG_NS0_5tupleIJPjSI_NS0_16reverse_iteratorISI_EEEEENSH_IJSG_SG_SG_EEES9_SI_JZNS1_25segmented_radix_sort_implINS0_14default_configELb1EPKiPiPKlPlN2at6native12_GLOBAL__N_18offset_tEEE10hipError_tPvRmT1_PNSt15iterator_traitsIS12_E10value_typeET2_T3_PNS13_IS18_E10value_typeET4_jRbjT5_S1E_jjP12ihipStream_tbEUljE_ZNSN_ISO_Lb1ESQ_SR_ST_SU_SY_EESZ_S10_S11_S12_S16_S17_S18_S1B_S1C_jS1D_jS1E_S1E_jjS1G_bEUljE0_EEESZ_S10_S11_S18_S1C_S1E_T6_T7_T9_mT8_S1G_bDpT10_ENKUlT_T0_E_clISt17integral_constantIbLb0EES1U_EEDaS1P_S1Q_EUlS1P_E_NS1_11comp_targetILNS1_3genE10ELNS1_11target_archE1200ELNS1_3gpuE4ELNS1_3repE0EEENS1_30default_config_static_selectorELNS0_4arch9wavefront6targetE1EEEvS12_
; %bb.0:
	.section	.rodata,"a",@progbits
	.p2align	6, 0x0
	.amdhsa_kernel _ZN7rocprim17ROCPRIM_400000_NS6detail17trampoline_kernelINS0_13select_configILj256ELj13ELNS0_17block_load_methodE3ELS4_3ELS4_3ELNS0_20block_scan_algorithmE0ELj4294967295EEENS1_25partition_config_selectorILNS1_17partition_subalgoE4EjNS0_10empty_typeEbEEZZNS1_14partition_implILS8_4ELb0ES6_15HIP_vector_typeIjLj2EENS0_17counting_iteratorIjlEEPS9_SG_NS0_5tupleIJPjSI_NS0_16reverse_iteratorISI_EEEEENSH_IJSG_SG_SG_EEES9_SI_JZNS1_25segmented_radix_sort_implINS0_14default_configELb1EPKiPiPKlPlN2at6native12_GLOBAL__N_18offset_tEEE10hipError_tPvRmT1_PNSt15iterator_traitsIS12_E10value_typeET2_T3_PNS13_IS18_E10value_typeET4_jRbjT5_S1E_jjP12ihipStream_tbEUljE_ZNSN_ISO_Lb1ESQ_SR_ST_SU_SY_EESZ_S10_S11_S12_S16_S17_S18_S1B_S1C_jS1D_jS1E_S1E_jjS1G_bEUljE0_EEESZ_S10_S11_S18_S1C_S1E_T6_T7_T9_mT8_S1G_bDpT10_ENKUlT_T0_E_clISt17integral_constantIbLb0EES1U_EEDaS1P_S1Q_EUlS1P_E_NS1_11comp_targetILNS1_3genE10ELNS1_11target_archE1200ELNS1_3gpuE4ELNS1_3repE0EEENS1_30default_config_static_selectorELNS0_4arch9wavefront6targetE1EEEvS12_
		.amdhsa_group_segment_fixed_size 0
		.amdhsa_private_segment_fixed_size 0
		.amdhsa_kernarg_size 176
		.amdhsa_user_sgpr_count 6
		.amdhsa_user_sgpr_private_segment_buffer 1
		.amdhsa_user_sgpr_dispatch_ptr 0
		.amdhsa_user_sgpr_queue_ptr 0
		.amdhsa_user_sgpr_kernarg_segment_ptr 1
		.amdhsa_user_sgpr_dispatch_id 0
		.amdhsa_user_sgpr_flat_scratch_init 0
		.amdhsa_user_sgpr_private_segment_size 0
		.amdhsa_uses_dynamic_stack 0
		.amdhsa_system_sgpr_private_segment_wavefront_offset 0
		.amdhsa_system_sgpr_workgroup_id_x 1
		.amdhsa_system_sgpr_workgroup_id_y 0
		.amdhsa_system_sgpr_workgroup_id_z 0
		.amdhsa_system_sgpr_workgroup_info 0
		.amdhsa_system_vgpr_workitem_id 0
		.amdhsa_next_free_vgpr 1
		.amdhsa_next_free_sgpr 0
		.amdhsa_reserve_vcc 0
		.amdhsa_reserve_flat_scratch 0
		.amdhsa_float_round_mode_32 0
		.amdhsa_float_round_mode_16_64 0
		.amdhsa_float_denorm_mode_32 3
		.amdhsa_float_denorm_mode_16_64 3
		.amdhsa_dx10_clamp 1
		.amdhsa_ieee_mode 1
		.amdhsa_fp16_overflow 0
		.amdhsa_exception_fp_ieee_invalid_op 0
		.amdhsa_exception_fp_denorm_src 0
		.amdhsa_exception_fp_ieee_div_zero 0
		.amdhsa_exception_fp_ieee_overflow 0
		.amdhsa_exception_fp_ieee_underflow 0
		.amdhsa_exception_fp_ieee_inexact 0
		.amdhsa_exception_int_div_zero 0
	.end_amdhsa_kernel
	.section	.text._ZN7rocprim17ROCPRIM_400000_NS6detail17trampoline_kernelINS0_13select_configILj256ELj13ELNS0_17block_load_methodE3ELS4_3ELS4_3ELNS0_20block_scan_algorithmE0ELj4294967295EEENS1_25partition_config_selectorILNS1_17partition_subalgoE4EjNS0_10empty_typeEbEEZZNS1_14partition_implILS8_4ELb0ES6_15HIP_vector_typeIjLj2EENS0_17counting_iteratorIjlEEPS9_SG_NS0_5tupleIJPjSI_NS0_16reverse_iteratorISI_EEEEENSH_IJSG_SG_SG_EEES9_SI_JZNS1_25segmented_radix_sort_implINS0_14default_configELb1EPKiPiPKlPlN2at6native12_GLOBAL__N_18offset_tEEE10hipError_tPvRmT1_PNSt15iterator_traitsIS12_E10value_typeET2_T3_PNS13_IS18_E10value_typeET4_jRbjT5_S1E_jjP12ihipStream_tbEUljE_ZNSN_ISO_Lb1ESQ_SR_ST_SU_SY_EESZ_S10_S11_S12_S16_S17_S18_S1B_S1C_jS1D_jS1E_S1E_jjS1G_bEUljE0_EEESZ_S10_S11_S18_S1C_S1E_T6_T7_T9_mT8_S1G_bDpT10_ENKUlT_T0_E_clISt17integral_constantIbLb0EES1U_EEDaS1P_S1Q_EUlS1P_E_NS1_11comp_targetILNS1_3genE10ELNS1_11target_archE1200ELNS1_3gpuE4ELNS1_3repE0EEENS1_30default_config_static_selectorELNS0_4arch9wavefront6targetE1EEEvS12_,"axG",@progbits,_ZN7rocprim17ROCPRIM_400000_NS6detail17trampoline_kernelINS0_13select_configILj256ELj13ELNS0_17block_load_methodE3ELS4_3ELS4_3ELNS0_20block_scan_algorithmE0ELj4294967295EEENS1_25partition_config_selectorILNS1_17partition_subalgoE4EjNS0_10empty_typeEbEEZZNS1_14partition_implILS8_4ELb0ES6_15HIP_vector_typeIjLj2EENS0_17counting_iteratorIjlEEPS9_SG_NS0_5tupleIJPjSI_NS0_16reverse_iteratorISI_EEEEENSH_IJSG_SG_SG_EEES9_SI_JZNS1_25segmented_radix_sort_implINS0_14default_configELb1EPKiPiPKlPlN2at6native12_GLOBAL__N_18offset_tEEE10hipError_tPvRmT1_PNSt15iterator_traitsIS12_E10value_typeET2_T3_PNS13_IS18_E10value_typeET4_jRbjT5_S1E_jjP12ihipStream_tbEUljE_ZNSN_ISO_Lb1ESQ_SR_ST_SU_SY_EESZ_S10_S11_S12_S16_S17_S18_S1B_S1C_jS1D_jS1E_S1E_jjS1G_bEUljE0_EEESZ_S10_S11_S18_S1C_S1E_T6_T7_T9_mT8_S1G_bDpT10_ENKUlT_T0_E_clISt17integral_constantIbLb0EES1U_EEDaS1P_S1Q_EUlS1P_E_NS1_11comp_targetILNS1_3genE10ELNS1_11target_archE1200ELNS1_3gpuE4ELNS1_3repE0EEENS1_30default_config_static_selectorELNS0_4arch9wavefront6targetE1EEEvS12_,comdat
.Lfunc_end438:
	.size	_ZN7rocprim17ROCPRIM_400000_NS6detail17trampoline_kernelINS0_13select_configILj256ELj13ELNS0_17block_load_methodE3ELS4_3ELS4_3ELNS0_20block_scan_algorithmE0ELj4294967295EEENS1_25partition_config_selectorILNS1_17partition_subalgoE4EjNS0_10empty_typeEbEEZZNS1_14partition_implILS8_4ELb0ES6_15HIP_vector_typeIjLj2EENS0_17counting_iteratorIjlEEPS9_SG_NS0_5tupleIJPjSI_NS0_16reverse_iteratorISI_EEEEENSH_IJSG_SG_SG_EEES9_SI_JZNS1_25segmented_radix_sort_implINS0_14default_configELb1EPKiPiPKlPlN2at6native12_GLOBAL__N_18offset_tEEE10hipError_tPvRmT1_PNSt15iterator_traitsIS12_E10value_typeET2_T3_PNS13_IS18_E10value_typeET4_jRbjT5_S1E_jjP12ihipStream_tbEUljE_ZNSN_ISO_Lb1ESQ_SR_ST_SU_SY_EESZ_S10_S11_S12_S16_S17_S18_S1B_S1C_jS1D_jS1E_S1E_jjS1G_bEUljE0_EEESZ_S10_S11_S18_S1C_S1E_T6_T7_T9_mT8_S1G_bDpT10_ENKUlT_T0_E_clISt17integral_constantIbLb0EES1U_EEDaS1P_S1Q_EUlS1P_E_NS1_11comp_targetILNS1_3genE10ELNS1_11target_archE1200ELNS1_3gpuE4ELNS1_3repE0EEENS1_30default_config_static_selectorELNS0_4arch9wavefront6targetE1EEEvS12_, .Lfunc_end438-_ZN7rocprim17ROCPRIM_400000_NS6detail17trampoline_kernelINS0_13select_configILj256ELj13ELNS0_17block_load_methodE3ELS4_3ELS4_3ELNS0_20block_scan_algorithmE0ELj4294967295EEENS1_25partition_config_selectorILNS1_17partition_subalgoE4EjNS0_10empty_typeEbEEZZNS1_14partition_implILS8_4ELb0ES6_15HIP_vector_typeIjLj2EENS0_17counting_iteratorIjlEEPS9_SG_NS0_5tupleIJPjSI_NS0_16reverse_iteratorISI_EEEEENSH_IJSG_SG_SG_EEES9_SI_JZNS1_25segmented_radix_sort_implINS0_14default_configELb1EPKiPiPKlPlN2at6native12_GLOBAL__N_18offset_tEEE10hipError_tPvRmT1_PNSt15iterator_traitsIS12_E10value_typeET2_T3_PNS13_IS18_E10value_typeET4_jRbjT5_S1E_jjP12ihipStream_tbEUljE_ZNSN_ISO_Lb1ESQ_SR_ST_SU_SY_EESZ_S10_S11_S12_S16_S17_S18_S1B_S1C_jS1D_jS1E_S1E_jjS1G_bEUljE0_EEESZ_S10_S11_S18_S1C_S1E_T6_T7_T9_mT8_S1G_bDpT10_ENKUlT_T0_E_clISt17integral_constantIbLb0EES1U_EEDaS1P_S1Q_EUlS1P_E_NS1_11comp_targetILNS1_3genE10ELNS1_11target_archE1200ELNS1_3gpuE4ELNS1_3repE0EEENS1_30default_config_static_selectorELNS0_4arch9wavefront6targetE1EEEvS12_
                                        ; -- End function
	.set _ZN7rocprim17ROCPRIM_400000_NS6detail17trampoline_kernelINS0_13select_configILj256ELj13ELNS0_17block_load_methodE3ELS4_3ELS4_3ELNS0_20block_scan_algorithmE0ELj4294967295EEENS1_25partition_config_selectorILNS1_17partition_subalgoE4EjNS0_10empty_typeEbEEZZNS1_14partition_implILS8_4ELb0ES6_15HIP_vector_typeIjLj2EENS0_17counting_iteratorIjlEEPS9_SG_NS0_5tupleIJPjSI_NS0_16reverse_iteratorISI_EEEEENSH_IJSG_SG_SG_EEES9_SI_JZNS1_25segmented_radix_sort_implINS0_14default_configELb1EPKiPiPKlPlN2at6native12_GLOBAL__N_18offset_tEEE10hipError_tPvRmT1_PNSt15iterator_traitsIS12_E10value_typeET2_T3_PNS13_IS18_E10value_typeET4_jRbjT5_S1E_jjP12ihipStream_tbEUljE_ZNSN_ISO_Lb1ESQ_SR_ST_SU_SY_EESZ_S10_S11_S12_S16_S17_S18_S1B_S1C_jS1D_jS1E_S1E_jjS1G_bEUljE0_EEESZ_S10_S11_S18_S1C_S1E_T6_T7_T9_mT8_S1G_bDpT10_ENKUlT_T0_E_clISt17integral_constantIbLb0EES1U_EEDaS1P_S1Q_EUlS1P_E_NS1_11comp_targetILNS1_3genE10ELNS1_11target_archE1200ELNS1_3gpuE4ELNS1_3repE0EEENS1_30default_config_static_selectorELNS0_4arch9wavefront6targetE1EEEvS12_.num_vgpr, 0
	.set _ZN7rocprim17ROCPRIM_400000_NS6detail17trampoline_kernelINS0_13select_configILj256ELj13ELNS0_17block_load_methodE3ELS4_3ELS4_3ELNS0_20block_scan_algorithmE0ELj4294967295EEENS1_25partition_config_selectorILNS1_17partition_subalgoE4EjNS0_10empty_typeEbEEZZNS1_14partition_implILS8_4ELb0ES6_15HIP_vector_typeIjLj2EENS0_17counting_iteratorIjlEEPS9_SG_NS0_5tupleIJPjSI_NS0_16reverse_iteratorISI_EEEEENSH_IJSG_SG_SG_EEES9_SI_JZNS1_25segmented_radix_sort_implINS0_14default_configELb1EPKiPiPKlPlN2at6native12_GLOBAL__N_18offset_tEEE10hipError_tPvRmT1_PNSt15iterator_traitsIS12_E10value_typeET2_T3_PNS13_IS18_E10value_typeET4_jRbjT5_S1E_jjP12ihipStream_tbEUljE_ZNSN_ISO_Lb1ESQ_SR_ST_SU_SY_EESZ_S10_S11_S12_S16_S17_S18_S1B_S1C_jS1D_jS1E_S1E_jjS1G_bEUljE0_EEESZ_S10_S11_S18_S1C_S1E_T6_T7_T9_mT8_S1G_bDpT10_ENKUlT_T0_E_clISt17integral_constantIbLb0EES1U_EEDaS1P_S1Q_EUlS1P_E_NS1_11comp_targetILNS1_3genE10ELNS1_11target_archE1200ELNS1_3gpuE4ELNS1_3repE0EEENS1_30default_config_static_selectorELNS0_4arch9wavefront6targetE1EEEvS12_.num_agpr, 0
	.set _ZN7rocprim17ROCPRIM_400000_NS6detail17trampoline_kernelINS0_13select_configILj256ELj13ELNS0_17block_load_methodE3ELS4_3ELS4_3ELNS0_20block_scan_algorithmE0ELj4294967295EEENS1_25partition_config_selectorILNS1_17partition_subalgoE4EjNS0_10empty_typeEbEEZZNS1_14partition_implILS8_4ELb0ES6_15HIP_vector_typeIjLj2EENS0_17counting_iteratorIjlEEPS9_SG_NS0_5tupleIJPjSI_NS0_16reverse_iteratorISI_EEEEENSH_IJSG_SG_SG_EEES9_SI_JZNS1_25segmented_radix_sort_implINS0_14default_configELb1EPKiPiPKlPlN2at6native12_GLOBAL__N_18offset_tEEE10hipError_tPvRmT1_PNSt15iterator_traitsIS12_E10value_typeET2_T3_PNS13_IS18_E10value_typeET4_jRbjT5_S1E_jjP12ihipStream_tbEUljE_ZNSN_ISO_Lb1ESQ_SR_ST_SU_SY_EESZ_S10_S11_S12_S16_S17_S18_S1B_S1C_jS1D_jS1E_S1E_jjS1G_bEUljE0_EEESZ_S10_S11_S18_S1C_S1E_T6_T7_T9_mT8_S1G_bDpT10_ENKUlT_T0_E_clISt17integral_constantIbLb0EES1U_EEDaS1P_S1Q_EUlS1P_E_NS1_11comp_targetILNS1_3genE10ELNS1_11target_archE1200ELNS1_3gpuE4ELNS1_3repE0EEENS1_30default_config_static_selectorELNS0_4arch9wavefront6targetE1EEEvS12_.numbered_sgpr, 0
	.set _ZN7rocprim17ROCPRIM_400000_NS6detail17trampoline_kernelINS0_13select_configILj256ELj13ELNS0_17block_load_methodE3ELS4_3ELS4_3ELNS0_20block_scan_algorithmE0ELj4294967295EEENS1_25partition_config_selectorILNS1_17partition_subalgoE4EjNS0_10empty_typeEbEEZZNS1_14partition_implILS8_4ELb0ES6_15HIP_vector_typeIjLj2EENS0_17counting_iteratorIjlEEPS9_SG_NS0_5tupleIJPjSI_NS0_16reverse_iteratorISI_EEEEENSH_IJSG_SG_SG_EEES9_SI_JZNS1_25segmented_radix_sort_implINS0_14default_configELb1EPKiPiPKlPlN2at6native12_GLOBAL__N_18offset_tEEE10hipError_tPvRmT1_PNSt15iterator_traitsIS12_E10value_typeET2_T3_PNS13_IS18_E10value_typeET4_jRbjT5_S1E_jjP12ihipStream_tbEUljE_ZNSN_ISO_Lb1ESQ_SR_ST_SU_SY_EESZ_S10_S11_S12_S16_S17_S18_S1B_S1C_jS1D_jS1E_S1E_jjS1G_bEUljE0_EEESZ_S10_S11_S18_S1C_S1E_T6_T7_T9_mT8_S1G_bDpT10_ENKUlT_T0_E_clISt17integral_constantIbLb0EES1U_EEDaS1P_S1Q_EUlS1P_E_NS1_11comp_targetILNS1_3genE10ELNS1_11target_archE1200ELNS1_3gpuE4ELNS1_3repE0EEENS1_30default_config_static_selectorELNS0_4arch9wavefront6targetE1EEEvS12_.num_named_barrier, 0
	.set _ZN7rocprim17ROCPRIM_400000_NS6detail17trampoline_kernelINS0_13select_configILj256ELj13ELNS0_17block_load_methodE3ELS4_3ELS4_3ELNS0_20block_scan_algorithmE0ELj4294967295EEENS1_25partition_config_selectorILNS1_17partition_subalgoE4EjNS0_10empty_typeEbEEZZNS1_14partition_implILS8_4ELb0ES6_15HIP_vector_typeIjLj2EENS0_17counting_iteratorIjlEEPS9_SG_NS0_5tupleIJPjSI_NS0_16reverse_iteratorISI_EEEEENSH_IJSG_SG_SG_EEES9_SI_JZNS1_25segmented_radix_sort_implINS0_14default_configELb1EPKiPiPKlPlN2at6native12_GLOBAL__N_18offset_tEEE10hipError_tPvRmT1_PNSt15iterator_traitsIS12_E10value_typeET2_T3_PNS13_IS18_E10value_typeET4_jRbjT5_S1E_jjP12ihipStream_tbEUljE_ZNSN_ISO_Lb1ESQ_SR_ST_SU_SY_EESZ_S10_S11_S12_S16_S17_S18_S1B_S1C_jS1D_jS1E_S1E_jjS1G_bEUljE0_EEESZ_S10_S11_S18_S1C_S1E_T6_T7_T9_mT8_S1G_bDpT10_ENKUlT_T0_E_clISt17integral_constantIbLb0EES1U_EEDaS1P_S1Q_EUlS1P_E_NS1_11comp_targetILNS1_3genE10ELNS1_11target_archE1200ELNS1_3gpuE4ELNS1_3repE0EEENS1_30default_config_static_selectorELNS0_4arch9wavefront6targetE1EEEvS12_.private_seg_size, 0
	.set _ZN7rocprim17ROCPRIM_400000_NS6detail17trampoline_kernelINS0_13select_configILj256ELj13ELNS0_17block_load_methodE3ELS4_3ELS4_3ELNS0_20block_scan_algorithmE0ELj4294967295EEENS1_25partition_config_selectorILNS1_17partition_subalgoE4EjNS0_10empty_typeEbEEZZNS1_14partition_implILS8_4ELb0ES6_15HIP_vector_typeIjLj2EENS0_17counting_iteratorIjlEEPS9_SG_NS0_5tupleIJPjSI_NS0_16reverse_iteratorISI_EEEEENSH_IJSG_SG_SG_EEES9_SI_JZNS1_25segmented_radix_sort_implINS0_14default_configELb1EPKiPiPKlPlN2at6native12_GLOBAL__N_18offset_tEEE10hipError_tPvRmT1_PNSt15iterator_traitsIS12_E10value_typeET2_T3_PNS13_IS18_E10value_typeET4_jRbjT5_S1E_jjP12ihipStream_tbEUljE_ZNSN_ISO_Lb1ESQ_SR_ST_SU_SY_EESZ_S10_S11_S12_S16_S17_S18_S1B_S1C_jS1D_jS1E_S1E_jjS1G_bEUljE0_EEESZ_S10_S11_S18_S1C_S1E_T6_T7_T9_mT8_S1G_bDpT10_ENKUlT_T0_E_clISt17integral_constantIbLb0EES1U_EEDaS1P_S1Q_EUlS1P_E_NS1_11comp_targetILNS1_3genE10ELNS1_11target_archE1200ELNS1_3gpuE4ELNS1_3repE0EEENS1_30default_config_static_selectorELNS0_4arch9wavefront6targetE1EEEvS12_.uses_vcc, 0
	.set _ZN7rocprim17ROCPRIM_400000_NS6detail17trampoline_kernelINS0_13select_configILj256ELj13ELNS0_17block_load_methodE3ELS4_3ELS4_3ELNS0_20block_scan_algorithmE0ELj4294967295EEENS1_25partition_config_selectorILNS1_17partition_subalgoE4EjNS0_10empty_typeEbEEZZNS1_14partition_implILS8_4ELb0ES6_15HIP_vector_typeIjLj2EENS0_17counting_iteratorIjlEEPS9_SG_NS0_5tupleIJPjSI_NS0_16reverse_iteratorISI_EEEEENSH_IJSG_SG_SG_EEES9_SI_JZNS1_25segmented_radix_sort_implINS0_14default_configELb1EPKiPiPKlPlN2at6native12_GLOBAL__N_18offset_tEEE10hipError_tPvRmT1_PNSt15iterator_traitsIS12_E10value_typeET2_T3_PNS13_IS18_E10value_typeET4_jRbjT5_S1E_jjP12ihipStream_tbEUljE_ZNSN_ISO_Lb1ESQ_SR_ST_SU_SY_EESZ_S10_S11_S12_S16_S17_S18_S1B_S1C_jS1D_jS1E_S1E_jjS1G_bEUljE0_EEESZ_S10_S11_S18_S1C_S1E_T6_T7_T9_mT8_S1G_bDpT10_ENKUlT_T0_E_clISt17integral_constantIbLb0EES1U_EEDaS1P_S1Q_EUlS1P_E_NS1_11comp_targetILNS1_3genE10ELNS1_11target_archE1200ELNS1_3gpuE4ELNS1_3repE0EEENS1_30default_config_static_selectorELNS0_4arch9wavefront6targetE1EEEvS12_.uses_flat_scratch, 0
	.set _ZN7rocprim17ROCPRIM_400000_NS6detail17trampoline_kernelINS0_13select_configILj256ELj13ELNS0_17block_load_methodE3ELS4_3ELS4_3ELNS0_20block_scan_algorithmE0ELj4294967295EEENS1_25partition_config_selectorILNS1_17partition_subalgoE4EjNS0_10empty_typeEbEEZZNS1_14partition_implILS8_4ELb0ES6_15HIP_vector_typeIjLj2EENS0_17counting_iteratorIjlEEPS9_SG_NS0_5tupleIJPjSI_NS0_16reverse_iteratorISI_EEEEENSH_IJSG_SG_SG_EEES9_SI_JZNS1_25segmented_radix_sort_implINS0_14default_configELb1EPKiPiPKlPlN2at6native12_GLOBAL__N_18offset_tEEE10hipError_tPvRmT1_PNSt15iterator_traitsIS12_E10value_typeET2_T3_PNS13_IS18_E10value_typeET4_jRbjT5_S1E_jjP12ihipStream_tbEUljE_ZNSN_ISO_Lb1ESQ_SR_ST_SU_SY_EESZ_S10_S11_S12_S16_S17_S18_S1B_S1C_jS1D_jS1E_S1E_jjS1G_bEUljE0_EEESZ_S10_S11_S18_S1C_S1E_T6_T7_T9_mT8_S1G_bDpT10_ENKUlT_T0_E_clISt17integral_constantIbLb0EES1U_EEDaS1P_S1Q_EUlS1P_E_NS1_11comp_targetILNS1_3genE10ELNS1_11target_archE1200ELNS1_3gpuE4ELNS1_3repE0EEENS1_30default_config_static_selectorELNS0_4arch9wavefront6targetE1EEEvS12_.has_dyn_sized_stack, 0
	.set _ZN7rocprim17ROCPRIM_400000_NS6detail17trampoline_kernelINS0_13select_configILj256ELj13ELNS0_17block_load_methodE3ELS4_3ELS4_3ELNS0_20block_scan_algorithmE0ELj4294967295EEENS1_25partition_config_selectorILNS1_17partition_subalgoE4EjNS0_10empty_typeEbEEZZNS1_14partition_implILS8_4ELb0ES6_15HIP_vector_typeIjLj2EENS0_17counting_iteratorIjlEEPS9_SG_NS0_5tupleIJPjSI_NS0_16reverse_iteratorISI_EEEEENSH_IJSG_SG_SG_EEES9_SI_JZNS1_25segmented_radix_sort_implINS0_14default_configELb1EPKiPiPKlPlN2at6native12_GLOBAL__N_18offset_tEEE10hipError_tPvRmT1_PNSt15iterator_traitsIS12_E10value_typeET2_T3_PNS13_IS18_E10value_typeET4_jRbjT5_S1E_jjP12ihipStream_tbEUljE_ZNSN_ISO_Lb1ESQ_SR_ST_SU_SY_EESZ_S10_S11_S12_S16_S17_S18_S1B_S1C_jS1D_jS1E_S1E_jjS1G_bEUljE0_EEESZ_S10_S11_S18_S1C_S1E_T6_T7_T9_mT8_S1G_bDpT10_ENKUlT_T0_E_clISt17integral_constantIbLb0EES1U_EEDaS1P_S1Q_EUlS1P_E_NS1_11comp_targetILNS1_3genE10ELNS1_11target_archE1200ELNS1_3gpuE4ELNS1_3repE0EEENS1_30default_config_static_selectorELNS0_4arch9wavefront6targetE1EEEvS12_.has_recursion, 0
	.set _ZN7rocprim17ROCPRIM_400000_NS6detail17trampoline_kernelINS0_13select_configILj256ELj13ELNS0_17block_load_methodE3ELS4_3ELS4_3ELNS0_20block_scan_algorithmE0ELj4294967295EEENS1_25partition_config_selectorILNS1_17partition_subalgoE4EjNS0_10empty_typeEbEEZZNS1_14partition_implILS8_4ELb0ES6_15HIP_vector_typeIjLj2EENS0_17counting_iteratorIjlEEPS9_SG_NS0_5tupleIJPjSI_NS0_16reverse_iteratorISI_EEEEENSH_IJSG_SG_SG_EEES9_SI_JZNS1_25segmented_radix_sort_implINS0_14default_configELb1EPKiPiPKlPlN2at6native12_GLOBAL__N_18offset_tEEE10hipError_tPvRmT1_PNSt15iterator_traitsIS12_E10value_typeET2_T3_PNS13_IS18_E10value_typeET4_jRbjT5_S1E_jjP12ihipStream_tbEUljE_ZNSN_ISO_Lb1ESQ_SR_ST_SU_SY_EESZ_S10_S11_S12_S16_S17_S18_S1B_S1C_jS1D_jS1E_S1E_jjS1G_bEUljE0_EEESZ_S10_S11_S18_S1C_S1E_T6_T7_T9_mT8_S1G_bDpT10_ENKUlT_T0_E_clISt17integral_constantIbLb0EES1U_EEDaS1P_S1Q_EUlS1P_E_NS1_11comp_targetILNS1_3genE10ELNS1_11target_archE1200ELNS1_3gpuE4ELNS1_3repE0EEENS1_30default_config_static_selectorELNS0_4arch9wavefront6targetE1EEEvS12_.has_indirect_call, 0
	.section	.AMDGPU.csdata,"",@progbits
; Kernel info:
; codeLenInByte = 0
; TotalNumSgprs: 4
; NumVgprs: 0
; ScratchSize: 0
; MemoryBound: 0
; FloatMode: 240
; IeeeMode: 1
; LDSByteSize: 0 bytes/workgroup (compile time only)
; SGPRBlocks: 0
; VGPRBlocks: 0
; NumSGPRsForWavesPerEU: 4
; NumVGPRsForWavesPerEU: 1
; Occupancy: 10
; WaveLimiterHint : 0
; COMPUTE_PGM_RSRC2:SCRATCH_EN: 0
; COMPUTE_PGM_RSRC2:USER_SGPR: 6
; COMPUTE_PGM_RSRC2:TRAP_HANDLER: 0
; COMPUTE_PGM_RSRC2:TGID_X_EN: 1
; COMPUTE_PGM_RSRC2:TGID_Y_EN: 0
; COMPUTE_PGM_RSRC2:TGID_Z_EN: 0
; COMPUTE_PGM_RSRC2:TIDIG_COMP_CNT: 0
	.section	.text._ZN7rocprim17ROCPRIM_400000_NS6detail17trampoline_kernelINS0_13select_configILj256ELj13ELNS0_17block_load_methodE3ELS4_3ELS4_3ELNS0_20block_scan_algorithmE0ELj4294967295EEENS1_25partition_config_selectorILNS1_17partition_subalgoE4EjNS0_10empty_typeEbEEZZNS1_14partition_implILS8_4ELb0ES6_15HIP_vector_typeIjLj2EENS0_17counting_iteratorIjlEEPS9_SG_NS0_5tupleIJPjSI_NS0_16reverse_iteratorISI_EEEEENSH_IJSG_SG_SG_EEES9_SI_JZNS1_25segmented_radix_sort_implINS0_14default_configELb1EPKiPiPKlPlN2at6native12_GLOBAL__N_18offset_tEEE10hipError_tPvRmT1_PNSt15iterator_traitsIS12_E10value_typeET2_T3_PNS13_IS18_E10value_typeET4_jRbjT5_S1E_jjP12ihipStream_tbEUljE_ZNSN_ISO_Lb1ESQ_SR_ST_SU_SY_EESZ_S10_S11_S12_S16_S17_S18_S1B_S1C_jS1D_jS1E_S1E_jjS1G_bEUljE0_EEESZ_S10_S11_S18_S1C_S1E_T6_T7_T9_mT8_S1G_bDpT10_ENKUlT_T0_E_clISt17integral_constantIbLb0EES1U_EEDaS1P_S1Q_EUlS1P_E_NS1_11comp_targetILNS1_3genE9ELNS1_11target_archE1100ELNS1_3gpuE3ELNS1_3repE0EEENS1_30default_config_static_selectorELNS0_4arch9wavefront6targetE1EEEvS12_,"axG",@progbits,_ZN7rocprim17ROCPRIM_400000_NS6detail17trampoline_kernelINS0_13select_configILj256ELj13ELNS0_17block_load_methodE3ELS4_3ELS4_3ELNS0_20block_scan_algorithmE0ELj4294967295EEENS1_25partition_config_selectorILNS1_17partition_subalgoE4EjNS0_10empty_typeEbEEZZNS1_14partition_implILS8_4ELb0ES6_15HIP_vector_typeIjLj2EENS0_17counting_iteratorIjlEEPS9_SG_NS0_5tupleIJPjSI_NS0_16reverse_iteratorISI_EEEEENSH_IJSG_SG_SG_EEES9_SI_JZNS1_25segmented_radix_sort_implINS0_14default_configELb1EPKiPiPKlPlN2at6native12_GLOBAL__N_18offset_tEEE10hipError_tPvRmT1_PNSt15iterator_traitsIS12_E10value_typeET2_T3_PNS13_IS18_E10value_typeET4_jRbjT5_S1E_jjP12ihipStream_tbEUljE_ZNSN_ISO_Lb1ESQ_SR_ST_SU_SY_EESZ_S10_S11_S12_S16_S17_S18_S1B_S1C_jS1D_jS1E_S1E_jjS1G_bEUljE0_EEESZ_S10_S11_S18_S1C_S1E_T6_T7_T9_mT8_S1G_bDpT10_ENKUlT_T0_E_clISt17integral_constantIbLb0EES1U_EEDaS1P_S1Q_EUlS1P_E_NS1_11comp_targetILNS1_3genE9ELNS1_11target_archE1100ELNS1_3gpuE3ELNS1_3repE0EEENS1_30default_config_static_selectorELNS0_4arch9wavefront6targetE1EEEvS12_,comdat
	.globl	_ZN7rocprim17ROCPRIM_400000_NS6detail17trampoline_kernelINS0_13select_configILj256ELj13ELNS0_17block_load_methodE3ELS4_3ELS4_3ELNS0_20block_scan_algorithmE0ELj4294967295EEENS1_25partition_config_selectorILNS1_17partition_subalgoE4EjNS0_10empty_typeEbEEZZNS1_14partition_implILS8_4ELb0ES6_15HIP_vector_typeIjLj2EENS0_17counting_iteratorIjlEEPS9_SG_NS0_5tupleIJPjSI_NS0_16reverse_iteratorISI_EEEEENSH_IJSG_SG_SG_EEES9_SI_JZNS1_25segmented_radix_sort_implINS0_14default_configELb1EPKiPiPKlPlN2at6native12_GLOBAL__N_18offset_tEEE10hipError_tPvRmT1_PNSt15iterator_traitsIS12_E10value_typeET2_T3_PNS13_IS18_E10value_typeET4_jRbjT5_S1E_jjP12ihipStream_tbEUljE_ZNSN_ISO_Lb1ESQ_SR_ST_SU_SY_EESZ_S10_S11_S12_S16_S17_S18_S1B_S1C_jS1D_jS1E_S1E_jjS1G_bEUljE0_EEESZ_S10_S11_S18_S1C_S1E_T6_T7_T9_mT8_S1G_bDpT10_ENKUlT_T0_E_clISt17integral_constantIbLb0EES1U_EEDaS1P_S1Q_EUlS1P_E_NS1_11comp_targetILNS1_3genE9ELNS1_11target_archE1100ELNS1_3gpuE3ELNS1_3repE0EEENS1_30default_config_static_selectorELNS0_4arch9wavefront6targetE1EEEvS12_ ; -- Begin function _ZN7rocprim17ROCPRIM_400000_NS6detail17trampoline_kernelINS0_13select_configILj256ELj13ELNS0_17block_load_methodE3ELS4_3ELS4_3ELNS0_20block_scan_algorithmE0ELj4294967295EEENS1_25partition_config_selectorILNS1_17partition_subalgoE4EjNS0_10empty_typeEbEEZZNS1_14partition_implILS8_4ELb0ES6_15HIP_vector_typeIjLj2EENS0_17counting_iteratorIjlEEPS9_SG_NS0_5tupleIJPjSI_NS0_16reverse_iteratorISI_EEEEENSH_IJSG_SG_SG_EEES9_SI_JZNS1_25segmented_radix_sort_implINS0_14default_configELb1EPKiPiPKlPlN2at6native12_GLOBAL__N_18offset_tEEE10hipError_tPvRmT1_PNSt15iterator_traitsIS12_E10value_typeET2_T3_PNS13_IS18_E10value_typeET4_jRbjT5_S1E_jjP12ihipStream_tbEUljE_ZNSN_ISO_Lb1ESQ_SR_ST_SU_SY_EESZ_S10_S11_S12_S16_S17_S18_S1B_S1C_jS1D_jS1E_S1E_jjS1G_bEUljE0_EEESZ_S10_S11_S18_S1C_S1E_T6_T7_T9_mT8_S1G_bDpT10_ENKUlT_T0_E_clISt17integral_constantIbLb0EES1U_EEDaS1P_S1Q_EUlS1P_E_NS1_11comp_targetILNS1_3genE9ELNS1_11target_archE1100ELNS1_3gpuE3ELNS1_3repE0EEENS1_30default_config_static_selectorELNS0_4arch9wavefront6targetE1EEEvS12_
	.p2align	8
	.type	_ZN7rocprim17ROCPRIM_400000_NS6detail17trampoline_kernelINS0_13select_configILj256ELj13ELNS0_17block_load_methodE3ELS4_3ELS4_3ELNS0_20block_scan_algorithmE0ELj4294967295EEENS1_25partition_config_selectorILNS1_17partition_subalgoE4EjNS0_10empty_typeEbEEZZNS1_14partition_implILS8_4ELb0ES6_15HIP_vector_typeIjLj2EENS0_17counting_iteratorIjlEEPS9_SG_NS0_5tupleIJPjSI_NS0_16reverse_iteratorISI_EEEEENSH_IJSG_SG_SG_EEES9_SI_JZNS1_25segmented_radix_sort_implINS0_14default_configELb1EPKiPiPKlPlN2at6native12_GLOBAL__N_18offset_tEEE10hipError_tPvRmT1_PNSt15iterator_traitsIS12_E10value_typeET2_T3_PNS13_IS18_E10value_typeET4_jRbjT5_S1E_jjP12ihipStream_tbEUljE_ZNSN_ISO_Lb1ESQ_SR_ST_SU_SY_EESZ_S10_S11_S12_S16_S17_S18_S1B_S1C_jS1D_jS1E_S1E_jjS1G_bEUljE0_EEESZ_S10_S11_S18_S1C_S1E_T6_T7_T9_mT8_S1G_bDpT10_ENKUlT_T0_E_clISt17integral_constantIbLb0EES1U_EEDaS1P_S1Q_EUlS1P_E_NS1_11comp_targetILNS1_3genE9ELNS1_11target_archE1100ELNS1_3gpuE3ELNS1_3repE0EEENS1_30default_config_static_selectorELNS0_4arch9wavefront6targetE1EEEvS12_,@function
_ZN7rocprim17ROCPRIM_400000_NS6detail17trampoline_kernelINS0_13select_configILj256ELj13ELNS0_17block_load_methodE3ELS4_3ELS4_3ELNS0_20block_scan_algorithmE0ELj4294967295EEENS1_25partition_config_selectorILNS1_17partition_subalgoE4EjNS0_10empty_typeEbEEZZNS1_14partition_implILS8_4ELb0ES6_15HIP_vector_typeIjLj2EENS0_17counting_iteratorIjlEEPS9_SG_NS0_5tupleIJPjSI_NS0_16reverse_iteratorISI_EEEEENSH_IJSG_SG_SG_EEES9_SI_JZNS1_25segmented_radix_sort_implINS0_14default_configELb1EPKiPiPKlPlN2at6native12_GLOBAL__N_18offset_tEEE10hipError_tPvRmT1_PNSt15iterator_traitsIS12_E10value_typeET2_T3_PNS13_IS18_E10value_typeET4_jRbjT5_S1E_jjP12ihipStream_tbEUljE_ZNSN_ISO_Lb1ESQ_SR_ST_SU_SY_EESZ_S10_S11_S12_S16_S17_S18_S1B_S1C_jS1D_jS1E_S1E_jjS1G_bEUljE0_EEESZ_S10_S11_S18_S1C_S1E_T6_T7_T9_mT8_S1G_bDpT10_ENKUlT_T0_E_clISt17integral_constantIbLb0EES1U_EEDaS1P_S1Q_EUlS1P_E_NS1_11comp_targetILNS1_3genE9ELNS1_11target_archE1100ELNS1_3gpuE3ELNS1_3repE0EEENS1_30default_config_static_selectorELNS0_4arch9wavefront6targetE1EEEvS12_: ; @_ZN7rocprim17ROCPRIM_400000_NS6detail17trampoline_kernelINS0_13select_configILj256ELj13ELNS0_17block_load_methodE3ELS4_3ELS4_3ELNS0_20block_scan_algorithmE0ELj4294967295EEENS1_25partition_config_selectorILNS1_17partition_subalgoE4EjNS0_10empty_typeEbEEZZNS1_14partition_implILS8_4ELb0ES6_15HIP_vector_typeIjLj2EENS0_17counting_iteratorIjlEEPS9_SG_NS0_5tupleIJPjSI_NS0_16reverse_iteratorISI_EEEEENSH_IJSG_SG_SG_EEES9_SI_JZNS1_25segmented_radix_sort_implINS0_14default_configELb1EPKiPiPKlPlN2at6native12_GLOBAL__N_18offset_tEEE10hipError_tPvRmT1_PNSt15iterator_traitsIS12_E10value_typeET2_T3_PNS13_IS18_E10value_typeET4_jRbjT5_S1E_jjP12ihipStream_tbEUljE_ZNSN_ISO_Lb1ESQ_SR_ST_SU_SY_EESZ_S10_S11_S12_S16_S17_S18_S1B_S1C_jS1D_jS1E_S1E_jjS1G_bEUljE0_EEESZ_S10_S11_S18_S1C_S1E_T6_T7_T9_mT8_S1G_bDpT10_ENKUlT_T0_E_clISt17integral_constantIbLb0EES1U_EEDaS1P_S1Q_EUlS1P_E_NS1_11comp_targetILNS1_3genE9ELNS1_11target_archE1100ELNS1_3gpuE3ELNS1_3repE0EEENS1_30default_config_static_selectorELNS0_4arch9wavefront6targetE1EEEvS12_
; %bb.0:
	.section	.rodata,"a",@progbits
	.p2align	6, 0x0
	.amdhsa_kernel _ZN7rocprim17ROCPRIM_400000_NS6detail17trampoline_kernelINS0_13select_configILj256ELj13ELNS0_17block_load_methodE3ELS4_3ELS4_3ELNS0_20block_scan_algorithmE0ELj4294967295EEENS1_25partition_config_selectorILNS1_17partition_subalgoE4EjNS0_10empty_typeEbEEZZNS1_14partition_implILS8_4ELb0ES6_15HIP_vector_typeIjLj2EENS0_17counting_iteratorIjlEEPS9_SG_NS0_5tupleIJPjSI_NS0_16reverse_iteratorISI_EEEEENSH_IJSG_SG_SG_EEES9_SI_JZNS1_25segmented_radix_sort_implINS0_14default_configELb1EPKiPiPKlPlN2at6native12_GLOBAL__N_18offset_tEEE10hipError_tPvRmT1_PNSt15iterator_traitsIS12_E10value_typeET2_T3_PNS13_IS18_E10value_typeET4_jRbjT5_S1E_jjP12ihipStream_tbEUljE_ZNSN_ISO_Lb1ESQ_SR_ST_SU_SY_EESZ_S10_S11_S12_S16_S17_S18_S1B_S1C_jS1D_jS1E_S1E_jjS1G_bEUljE0_EEESZ_S10_S11_S18_S1C_S1E_T6_T7_T9_mT8_S1G_bDpT10_ENKUlT_T0_E_clISt17integral_constantIbLb0EES1U_EEDaS1P_S1Q_EUlS1P_E_NS1_11comp_targetILNS1_3genE9ELNS1_11target_archE1100ELNS1_3gpuE3ELNS1_3repE0EEENS1_30default_config_static_selectorELNS0_4arch9wavefront6targetE1EEEvS12_
		.amdhsa_group_segment_fixed_size 0
		.amdhsa_private_segment_fixed_size 0
		.amdhsa_kernarg_size 176
		.amdhsa_user_sgpr_count 6
		.amdhsa_user_sgpr_private_segment_buffer 1
		.amdhsa_user_sgpr_dispatch_ptr 0
		.amdhsa_user_sgpr_queue_ptr 0
		.amdhsa_user_sgpr_kernarg_segment_ptr 1
		.amdhsa_user_sgpr_dispatch_id 0
		.amdhsa_user_sgpr_flat_scratch_init 0
		.amdhsa_user_sgpr_private_segment_size 0
		.amdhsa_uses_dynamic_stack 0
		.amdhsa_system_sgpr_private_segment_wavefront_offset 0
		.amdhsa_system_sgpr_workgroup_id_x 1
		.amdhsa_system_sgpr_workgroup_id_y 0
		.amdhsa_system_sgpr_workgroup_id_z 0
		.amdhsa_system_sgpr_workgroup_info 0
		.amdhsa_system_vgpr_workitem_id 0
		.amdhsa_next_free_vgpr 1
		.amdhsa_next_free_sgpr 0
		.amdhsa_reserve_vcc 0
		.amdhsa_reserve_flat_scratch 0
		.amdhsa_float_round_mode_32 0
		.amdhsa_float_round_mode_16_64 0
		.amdhsa_float_denorm_mode_32 3
		.amdhsa_float_denorm_mode_16_64 3
		.amdhsa_dx10_clamp 1
		.amdhsa_ieee_mode 1
		.amdhsa_fp16_overflow 0
		.amdhsa_exception_fp_ieee_invalid_op 0
		.amdhsa_exception_fp_denorm_src 0
		.amdhsa_exception_fp_ieee_div_zero 0
		.amdhsa_exception_fp_ieee_overflow 0
		.amdhsa_exception_fp_ieee_underflow 0
		.amdhsa_exception_fp_ieee_inexact 0
		.amdhsa_exception_int_div_zero 0
	.end_amdhsa_kernel
	.section	.text._ZN7rocprim17ROCPRIM_400000_NS6detail17trampoline_kernelINS0_13select_configILj256ELj13ELNS0_17block_load_methodE3ELS4_3ELS4_3ELNS0_20block_scan_algorithmE0ELj4294967295EEENS1_25partition_config_selectorILNS1_17partition_subalgoE4EjNS0_10empty_typeEbEEZZNS1_14partition_implILS8_4ELb0ES6_15HIP_vector_typeIjLj2EENS0_17counting_iteratorIjlEEPS9_SG_NS0_5tupleIJPjSI_NS0_16reverse_iteratorISI_EEEEENSH_IJSG_SG_SG_EEES9_SI_JZNS1_25segmented_radix_sort_implINS0_14default_configELb1EPKiPiPKlPlN2at6native12_GLOBAL__N_18offset_tEEE10hipError_tPvRmT1_PNSt15iterator_traitsIS12_E10value_typeET2_T3_PNS13_IS18_E10value_typeET4_jRbjT5_S1E_jjP12ihipStream_tbEUljE_ZNSN_ISO_Lb1ESQ_SR_ST_SU_SY_EESZ_S10_S11_S12_S16_S17_S18_S1B_S1C_jS1D_jS1E_S1E_jjS1G_bEUljE0_EEESZ_S10_S11_S18_S1C_S1E_T6_T7_T9_mT8_S1G_bDpT10_ENKUlT_T0_E_clISt17integral_constantIbLb0EES1U_EEDaS1P_S1Q_EUlS1P_E_NS1_11comp_targetILNS1_3genE9ELNS1_11target_archE1100ELNS1_3gpuE3ELNS1_3repE0EEENS1_30default_config_static_selectorELNS0_4arch9wavefront6targetE1EEEvS12_,"axG",@progbits,_ZN7rocprim17ROCPRIM_400000_NS6detail17trampoline_kernelINS0_13select_configILj256ELj13ELNS0_17block_load_methodE3ELS4_3ELS4_3ELNS0_20block_scan_algorithmE0ELj4294967295EEENS1_25partition_config_selectorILNS1_17partition_subalgoE4EjNS0_10empty_typeEbEEZZNS1_14partition_implILS8_4ELb0ES6_15HIP_vector_typeIjLj2EENS0_17counting_iteratorIjlEEPS9_SG_NS0_5tupleIJPjSI_NS0_16reverse_iteratorISI_EEEEENSH_IJSG_SG_SG_EEES9_SI_JZNS1_25segmented_radix_sort_implINS0_14default_configELb1EPKiPiPKlPlN2at6native12_GLOBAL__N_18offset_tEEE10hipError_tPvRmT1_PNSt15iterator_traitsIS12_E10value_typeET2_T3_PNS13_IS18_E10value_typeET4_jRbjT5_S1E_jjP12ihipStream_tbEUljE_ZNSN_ISO_Lb1ESQ_SR_ST_SU_SY_EESZ_S10_S11_S12_S16_S17_S18_S1B_S1C_jS1D_jS1E_S1E_jjS1G_bEUljE0_EEESZ_S10_S11_S18_S1C_S1E_T6_T7_T9_mT8_S1G_bDpT10_ENKUlT_T0_E_clISt17integral_constantIbLb0EES1U_EEDaS1P_S1Q_EUlS1P_E_NS1_11comp_targetILNS1_3genE9ELNS1_11target_archE1100ELNS1_3gpuE3ELNS1_3repE0EEENS1_30default_config_static_selectorELNS0_4arch9wavefront6targetE1EEEvS12_,comdat
.Lfunc_end439:
	.size	_ZN7rocprim17ROCPRIM_400000_NS6detail17trampoline_kernelINS0_13select_configILj256ELj13ELNS0_17block_load_methodE3ELS4_3ELS4_3ELNS0_20block_scan_algorithmE0ELj4294967295EEENS1_25partition_config_selectorILNS1_17partition_subalgoE4EjNS0_10empty_typeEbEEZZNS1_14partition_implILS8_4ELb0ES6_15HIP_vector_typeIjLj2EENS0_17counting_iteratorIjlEEPS9_SG_NS0_5tupleIJPjSI_NS0_16reverse_iteratorISI_EEEEENSH_IJSG_SG_SG_EEES9_SI_JZNS1_25segmented_radix_sort_implINS0_14default_configELb1EPKiPiPKlPlN2at6native12_GLOBAL__N_18offset_tEEE10hipError_tPvRmT1_PNSt15iterator_traitsIS12_E10value_typeET2_T3_PNS13_IS18_E10value_typeET4_jRbjT5_S1E_jjP12ihipStream_tbEUljE_ZNSN_ISO_Lb1ESQ_SR_ST_SU_SY_EESZ_S10_S11_S12_S16_S17_S18_S1B_S1C_jS1D_jS1E_S1E_jjS1G_bEUljE0_EEESZ_S10_S11_S18_S1C_S1E_T6_T7_T9_mT8_S1G_bDpT10_ENKUlT_T0_E_clISt17integral_constantIbLb0EES1U_EEDaS1P_S1Q_EUlS1P_E_NS1_11comp_targetILNS1_3genE9ELNS1_11target_archE1100ELNS1_3gpuE3ELNS1_3repE0EEENS1_30default_config_static_selectorELNS0_4arch9wavefront6targetE1EEEvS12_, .Lfunc_end439-_ZN7rocprim17ROCPRIM_400000_NS6detail17trampoline_kernelINS0_13select_configILj256ELj13ELNS0_17block_load_methodE3ELS4_3ELS4_3ELNS0_20block_scan_algorithmE0ELj4294967295EEENS1_25partition_config_selectorILNS1_17partition_subalgoE4EjNS0_10empty_typeEbEEZZNS1_14partition_implILS8_4ELb0ES6_15HIP_vector_typeIjLj2EENS0_17counting_iteratorIjlEEPS9_SG_NS0_5tupleIJPjSI_NS0_16reverse_iteratorISI_EEEEENSH_IJSG_SG_SG_EEES9_SI_JZNS1_25segmented_radix_sort_implINS0_14default_configELb1EPKiPiPKlPlN2at6native12_GLOBAL__N_18offset_tEEE10hipError_tPvRmT1_PNSt15iterator_traitsIS12_E10value_typeET2_T3_PNS13_IS18_E10value_typeET4_jRbjT5_S1E_jjP12ihipStream_tbEUljE_ZNSN_ISO_Lb1ESQ_SR_ST_SU_SY_EESZ_S10_S11_S12_S16_S17_S18_S1B_S1C_jS1D_jS1E_S1E_jjS1G_bEUljE0_EEESZ_S10_S11_S18_S1C_S1E_T6_T7_T9_mT8_S1G_bDpT10_ENKUlT_T0_E_clISt17integral_constantIbLb0EES1U_EEDaS1P_S1Q_EUlS1P_E_NS1_11comp_targetILNS1_3genE9ELNS1_11target_archE1100ELNS1_3gpuE3ELNS1_3repE0EEENS1_30default_config_static_selectorELNS0_4arch9wavefront6targetE1EEEvS12_
                                        ; -- End function
	.set _ZN7rocprim17ROCPRIM_400000_NS6detail17trampoline_kernelINS0_13select_configILj256ELj13ELNS0_17block_load_methodE3ELS4_3ELS4_3ELNS0_20block_scan_algorithmE0ELj4294967295EEENS1_25partition_config_selectorILNS1_17partition_subalgoE4EjNS0_10empty_typeEbEEZZNS1_14partition_implILS8_4ELb0ES6_15HIP_vector_typeIjLj2EENS0_17counting_iteratorIjlEEPS9_SG_NS0_5tupleIJPjSI_NS0_16reverse_iteratorISI_EEEEENSH_IJSG_SG_SG_EEES9_SI_JZNS1_25segmented_radix_sort_implINS0_14default_configELb1EPKiPiPKlPlN2at6native12_GLOBAL__N_18offset_tEEE10hipError_tPvRmT1_PNSt15iterator_traitsIS12_E10value_typeET2_T3_PNS13_IS18_E10value_typeET4_jRbjT5_S1E_jjP12ihipStream_tbEUljE_ZNSN_ISO_Lb1ESQ_SR_ST_SU_SY_EESZ_S10_S11_S12_S16_S17_S18_S1B_S1C_jS1D_jS1E_S1E_jjS1G_bEUljE0_EEESZ_S10_S11_S18_S1C_S1E_T6_T7_T9_mT8_S1G_bDpT10_ENKUlT_T0_E_clISt17integral_constantIbLb0EES1U_EEDaS1P_S1Q_EUlS1P_E_NS1_11comp_targetILNS1_3genE9ELNS1_11target_archE1100ELNS1_3gpuE3ELNS1_3repE0EEENS1_30default_config_static_selectorELNS0_4arch9wavefront6targetE1EEEvS12_.num_vgpr, 0
	.set _ZN7rocprim17ROCPRIM_400000_NS6detail17trampoline_kernelINS0_13select_configILj256ELj13ELNS0_17block_load_methodE3ELS4_3ELS4_3ELNS0_20block_scan_algorithmE0ELj4294967295EEENS1_25partition_config_selectorILNS1_17partition_subalgoE4EjNS0_10empty_typeEbEEZZNS1_14partition_implILS8_4ELb0ES6_15HIP_vector_typeIjLj2EENS0_17counting_iteratorIjlEEPS9_SG_NS0_5tupleIJPjSI_NS0_16reverse_iteratorISI_EEEEENSH_IJSG_SG_SG_EEES9_SI_JZNS1_25segmented_radix_sort_implINS0_14default_configELb1EPKiPiPKlPlN2at6native12_GLOBAL__N_18offset_tEEE10hipError_tPvRmT1_PNSt15iterator_traitsIS12_E10value_typeET2_T3_PNS13_IS18_E10value_typeET4_jRbjT5_S1E_jjP12ihipStream_tbEUljE_ZNSN_ISO_Lb1ESQ_SR_ST_SU_SY_EESZ_S10_S11_S12_S16_S17_S18_S1B_S1C_jS1D_jS1E_S1E_jjS1G_bEUljE0_EEESZ_S10_S11_S18_S1C_S1E_T6_T7_T9_mT8_S1G_bDpT10_ENKUlT_T0_E_clISt17integral_constantIbLb0EES1U_EEDaS1P_S1Q_EUlS1P_E_NS1_11comp_targetILNS1_3genE9ELNS1_11target_archE1100ELNS1_3gpuE3ELNS1_3repE0EEENS1_30default_config_static_selectorELNS0_4arch9wavefront6targetE1EEEvS12_.num_agpr, 0
	.set _ZN7rocprim17ROCPRIM_400000_NS6detail17trampoline_kernelINS0_13select_configILj256ELj13ELNS0_17block_load_methodE3ELS4_3ELS4_3ELNS0_20block_scan_algorithmE0ELj4294967295EEENS1_25partition_config_selectorILNS1_17partition_subalgoE4EjNS0_10empty_typeEbEEZZNS1_14partition_implILS8_4ELb0ES6_15HIP_vector_typeIjLj2EENS0_17counting_iteratorIjlEEPS9_SG_NS0_5tupleIJPjSI_NS0_16reverse_iteratorISI_EEEEENSH_IJSG_SG_SG_EEES9_SI_JZNS1_25segmented_radix_sort_implINS0_14default_configELb1EPKiPiPKlPlN2at6native12_GLOBAL__N_18offset_tEEE10hipError_tPvRmT1_PNSt15iterator_traitsIS12_E10value_typeET2_T3_PNS13_IS18_E10value_typeET4_jRbjT5_S1E_jjP12ihipStream_tbEUljE_ZNSN_ISO_Lb1ESQ_SR_ST_SU_SY_EESZ_S10_S11_S12_S16_S17_S18_S1B_S1C_jS1D_jS1E_S1E_jjS1G_bEUljE0_EEESZ_S10_S11_S18_S1C_S1E_T6_T7_T9_mT8_S1G_bDpT10_ENKUlT_T0_E_clISt17integral_constantIbLb0EES1U_EEDaS1P_S1Q_EUlS1P_E_NS1_11comp_targetILNS1_3genE9ELNS1_11target_archE1100ELNS1_3gpuE3ELNS1_3repE0EEENS1_30default_config_static_selectorELNS0_4arch9wavefront6targetE1EEEvS12_.numbered_sgpr, 0
	.set _ZN7rocprim17ROCPRIM_400000_NS6detail17trampoline_kernelINS0_13select_configILj256ELj13ELNS0_17block_load_methodE3ELS4_3ELS4_3ELNS0_20block_scan_algorithmE0ELj4294967295EEENS1_25partition_config_selectorILNS1_17partition_subalgoE4EjNS0_10empty_typeEbEEZZNS1_14partition_implILS8_4ELb0ES6_15HIP_vector_typeIjLj2EENS0_17counting_iteratorIjlEEPS9_SG_NS0_5tupleIJPjSI_NS0_16reverse_iteratorISI_EEEEENSH_IJSG_SG_SG_EEES9_SI_JZNS1_25segmented_radix_sort_implINS0_14default_configELb1EPKiPiPKlPlN2at6native12_GLOBAL__N_18offset_tEEE10hipError_tPvRmT1_PNSt15iterator_traitsIS12_E10value_typeET2_T3_PNS13_IS18_E10value_typeET4_jRbjT5_S1E_jjP12ihipStream_tbEUljE_ZNSN_ISO_Lb1ESQ_SR_ST_SU_SY_EESZ_S10_S11_S12_S16_S17_S18_S1B_S1C_jS1D_jS1E_S1E_jjS1G_bEUljE0_EEESZ_S10_S11_S18_S1C_S1E_T6_T7_T9_mT8_S1G_bDpT10_ENKUlT_T0_E_clISt17integral_constantIbLb0EES1U_EEDaS1P_S1Q_EUlS1P_E_NS1_11comp_targetILNS1_3genE9ELNS1_11target_archE1100ELNS1_3gpuE3ELNS1_3repE0EEENS1_30default_config_static_selectorELNS0_4arch9wavefront6targetE1EEEvS12_.num_named_barrier, 0
	.set _ZN7rocprim17ROCPRIM_400000_NS6detail17trampoline_kernelINS0_13select_configILj256ELj13ELNS0_17block_load_methodE3ELS4_3ELS4_3ELNS0_20block_scan_algorithmE0ELj4294967295EEENS1_25partition_config_selectorILNS1_17partition_subalgoE4EjNS0_10empty_typeEbEEZZNS1_14partition_implILS8_4ELb0ES6_15HIP_vector_typeIjLj2EENS0_17counting_iteratorIjlEEPS9_SG_NS0_5tupleIJPjSI_NS0_16reverse_iteratorISI_EEEEENSH_IJSG_SG_SG_EEES9_SI_JZNS1_25segmented_radix_sort_implINS0_14default_configELb1EPKiPiPKlPlN2at6native12_GLOBAL__N_18offset_tEEE10hipError_tPvRmT1_PNSt15iterator_traitsIS12_E10value_typeET2_T3_PNS13_IS18_E10value_typeET4_jRbjT5_S1E_jjP12ihipStream_tbEUljE_ZNSN_ISO_Lb1ESQ_SR_ST_SU_SY_EESZ_S10_S11_S12_S16_S17_S18_S1B_S1C_jS1D_jS1E_S1E_jjS1G_bEUljE0_EEESZ_S10_S11_S18_S1C_S1E_T6_T7_T9_mT8_S1G_bDpT10_ENKUlT_T0_E_clISt17integral_constantIbLb0EES1U_EEDaS1P_S1Q_EUlS1P_E_NS1_11comp_targetILNS1_3genE9ELNS1_11target_archE1100ELNS1_3gpuE3ELNS1_3repE0EEENS1_30default_config_static_selectorELNS0_4arch9wavefront6targetE1EEEvS12_.private_seg_size, 0
	.set _ZN7rocprim17ROCPRIM_400000_NS6detail17trampoline_kernelINS0_13select_configILj256ELj13ELNS0_17block_load_methodE3ELS4_3ELS4_3ELNS0_20block_scan_algorithmE0ELj4294967295EEENS1_25partition_config_selectorILNS1_17partition_subalgoE4EjNS0_10empty_typeEbEEZZNS1_14partition_implILS8_4ELb0ES6_15HIP_vector_typeIjLj2EENS0_17counting_iteratorIjlEEPS9_SG_NS0_5tupleIJPjSI_NS0_16reverse_iteratorISI_EEEEENSH_IJSG_SG_SG_EEES9_SI_JZNS1_25segmented_radix_sort_implINS0_14default_configELb1EPKiPiPKlPlN2at6native12_GLOBAL__N_18offset_tEEE10hipError_tPvRmT1_PNSt15iterator_traitsIS12_E10value_typeET2_T3_PNS13_IS18_E10value_typeET4_jRbjT5_S1E_jjP12ihipStream_tbEUljE_ZNSN_ISO_Lb1ESQ_SR_ST_SU_SY_EESZ_S10_S11_S12_S16_S17_S18_S1B_S1C_jS1D_jS1E_S1E_jjS1G_bEUljE0_EEESZ_S10_S11_S18_S1C_S1E_T6_T7_T9_mT8_S1G_bDpT10_ENKUlT_T0_E_clISt17integral_constantIbLb0EES1U_EEDaS1P_S1Q_EUlS1P_E_NS1_11comp_targetILNS1_3genE9ELNS1_11target_archE1100ELNS1_3gpuE3ELNS1_3repE0EEENS1_30default_config_static_selectorELNS0_4arch9wavefront6targetE1EEEvS12_.uses_vcc, 0
	.set _ZN7rocprim17ROCPRIM_400000_NS6detail17trampoline_kernelINS0_13select_configILj256ELj13ELNS0_17block_load_methodE3ELS4_3ELS4_3ELNS0_20block_scan_algorithmE0ELj4294967295EEENS1_25partition_config_selectorILNS1_17partition_subalgoE4EjNS0_10empty_typeEbEEZZNS1_14partition_implILS8_4ELb0ES6_15HIP_vector_typeIjLj2EENS0_17counting_iteratorIjlEEPS9_SG_NS0_5tupleIJPjSI_NS0_16reverse_iteratorISI_EEEEENSH_IJSG_SG_SG_EEES9_SI_JZNS1_25segmented_radix_sort_implINS0_14default_configELb1EPKiPiPKlPlN2at6native12_GLOBAL__N_18offset_tEEE10hipError_tPvRmT1_PNSt15iterator_traitsIS12_E10value_typeET2_T3_PNS13_IS18_E10value_typeET4_jRbjT5_S1E_jjP12ihipStream_tbEUljE_ZNSN_ISO_Lb1ESQ_SR_ST_SU_SY_EESZ_S10_S11_S12_S16_S17_S18_S1B_S1C_jS1D_jS1E_S1E_jjS1G_bEUljE0_EEESZ_S10_S11_S18_S1C_S1E_T6_T7_T9_mT8_S1G_bDpT10_ENKUlT_T0_E_clISt17integral_constantIbLb0EES1U_EEDaS1P_S1Q_EUlS1P_E_NS1_11comp_targetILNS1_3genE9ELNS1_11target_archE1100ELNS1_3gpuE3ELNS1_3repE0EEENS1_30default_config_static_selectorELNS0_4arch9wavefront6targetE1EEEvS12_.uses_flat_scratch, 0
	.set _ZN7rocprim17ROCPRIM_400000_NS6detail17trampoline_kernelINS0_13select_configILj256ELj13ELNS0_17block_load_methodE3ELS4_3ELS4_3ELNS0_20block_scan_algorithmE0ELj4294967295EEENS1_25partition_config_selectorILNS1_17partition_subalgoE4EjNS0_10empty_typeEbEEZZNS1_14partition_implILS8_4ELb0ES6_15HIP_vector_typeIjLj2EENS0_17counting_iteratorIjlEEPS9_SG_NS0_5tupleIJPjSI_NS0_16reverse_iteratorISI_EEEEENSH_IJSG_SG_SG_EEES9_SI_JZNS1_25segmented_radix_sort_implINS0_14default_configELb1EPKiPiPKlPlN2at6native12_GLOBAL__N_18offset_tEEE10hipError_tPvRmT1_PNSt15iterator_traitsIS12_E10value_typeET2_T3_PNS13_IS18_E10value_typeET4_jRbjT5_S1E_jjP12ihipStream_tbEUljE_ZNSN_ISO_Lb1ESQ_SR_ST_SU_SY_EESZ_S10_S11_S12_S16_S17_S18_S1B_S1C_jS1D_jS1E_S1E_jjS1G_bEUljE0_EEESZ_S10_S11_S18_S1C_S1E_T6_T7_T9_mT8_S1G_bDpT10_ENKUlT_T0_E_clISt17integral_constantIbLb0EES1U_EEDaS1P_S1Q_EUlS1P_E_NS1_11comp_targetILNS1_3genE9ELNS1_11target_archE1100ELNS1_3gpuE3ELNS1_3repE0EEENS1_30default_config_static_selectorELNS0_4arch9wavefront6targetE1EEEvS12_.has_dyn_sized_stack, 0
	.set _ZN7rocprim17ROCPRIM_400000_NS6detail17trampoline_kernelINS0_13select_configILj256ELj13ELNS0_17block_load_methodE3ELS4_3ELS4_3ELNS0_20block_scan_algorithmE0ELj4294967295EEENS1_25partition_config_selectorILNS1_17partition_subalgoE4EjNS0_10empty_typeEbEEZZNS1_14partition_implILS8_4ELb0ES6_15HIP_vector_typeIjLj2EENS0_17counting_iteratorIjlEEPS9_SG_NS0_5tupleIJPjSI_NS0_16reverse_iteratorISI_EEEEENSH_IJSG_SG_SG_EEES9_SI_JZNS1_25segmented_radix_sort_implINS0_14default_configELb1EPKiPiPKlPlN2at6native12_GLOBAL__N_18offset_tEEE10hipError_tPvRmT1_PNSt15iterator_traitsIS12_E10value_typeET2_T3_PNS13_IS18_E10value_typeET4_jRbjT5_S1E_jjP12ihipStream_tbEUljE_ZNSN_ISO_Lb1ESQ_SR_ST_SU_SY_EESZ_S10_S11_S12_S16_S17_S18_S1B_S1C_jS1D_jS1E_S1E_jjS1G_bEUljE0_EEESZ_S10_S11_S18_S1C_S1E_T6_T7_T9_mT8_S1G_bDpT10_ENKUlT_T0_E_clISt17integral_constantIbLb0EES1U_EEDaS1P_S1Q_EUlS1P_E_NS1_11comp_targetILNS1_3genE9ELNS1_11target_archE1100ELNS1_3gpuE3ELNS1_3repE0EEENS1_30default_config_static_selectorELNS0_4arch9wavefront6targetE1EEEvS12_.has_recursion, 0
	.set _ZN7rocprim17ROCPRIM_400000_NS6detail17trampoline_kernelINS0_13select_configILj256ELj13ELNS0_17block_load_methodE3ELS4_3ELS4_3ELNS0_20block_scan_algorithmE0ELj4294967295EEENS1_25partition_config_selectorILNS1_17partition_subalgoE4EjNS0_10empty_typeEbEEZZNS1_14partition_implILS8_4ELb0ES6_15HIP_vector_typeIjLj2EENS0_17counting_iteratorIjlEEPS9_SG_NS0_5tupleIJPjSI_NS0_16reverse_iteratorISI_EEEEENSH_IJSG_SG_SG_EEES9_SI_JZNS1_25segmented_radix_sort_implINS0_14default_configELb1EPKiPiPKlPlN2at6native12_GLOBAL__N_18offset_tEEE10hipError_tPvRmT1_PNSt15iterator_traitsIS12_E10value_typeET2_T3_PNS13_IS18_E10value_typeET4_jRbjT5_S1E_jjP12ihipStream_tbEUljE_ZNSN_ISO_Lb1ESQ_SR_ST_SU_SY_EESZ_S10_S11_S12_S16_S17_S18_S1B_S1C_jS1D_jS1E_S1E_jjS1G_bEUljE0_EEESZ_S10_S11_S18_S1C_S1E_T6_T7_T9_mT8_S1G_bDpT10_ENKUlT_T0_E_clISt17integral_constantIbLb0EES1U_EEDaS1P_S1Q_EUlS1P_E_NS1_11comp_targetILNS1_3genE9ELNS1_11target_archE1100ELNS1_3gpuE3ELNS1_3repE0EEENS1_30default_config_static_selectorELNS0_4arch9wavefront6targetE1EEEvS12_.has_indirect_call, 0
	.section	.AMDGPU.csdata,"",@progbits
; Kernel info:
; codeLenInByte = 0
; TotalNumSgprs: 4
; NumVgprs: 0
; ScratchSize: 0
; MemoryBound: 0
; FloatMode: 240
; IeeeMode: 1
; LDSByteSize: 0 bytes/workgroup (compile time only)
; SGPRBlocks: 0
; VGPRBlocks: 0
; NumSGPRsForWavesPerEU: 4
; NumVGPRsForWavesPerEU: 1
; Occupancy: 10
; WaveLimiterHint : 0
; COMPUTE_PGM_RSRC2:SCRATCH_EN: 0
; COMPUTE_PGM_RSRC2:USER_SGPR: 6
; COMPUTE_PGM_RSRC2:TRAP_HANDLER: 0
; COMPUTE_PGM_RSRC2:TGID_X_EN: 1
; COMPUTE_PGM_RSRC2:TGID_Y_EN: 0
; COMPUTE_PGM_RSRC2:TGID_Z_EN: 0
; COMPUTE_PGM_RSRC2:TIDIG_COMP_CNT: 0
	.section	.text._ZN7rocprim17ROCPRIM_400000_NS6detail17trampoline_kernelINS0_13select_configILj256ELj13ELNS0_17block_load_methodE3ELS4_3ELS4_3ELNS0_20block_scan_algorithmE0ELj4294967295EEENS1_25partition_config_selectorILNS1_17partition_subalgoE4EjNS0_10empty_typeEbEEZZNS1_14partition_implILS8_4ELb0ES6_15HIP_vector_typeIjLj2EENS0_17counting_iteratorIjlEEPS9_SG_NS0_5tupleIJPjSI_NS0_16reverse_iteratorISI_EEEEENSH_IJSG_SG_SG_EEES9_SI_JZNS1_25segmented_radix_sort_implINS0_14default_configELb1EPKiPiPKlPlN2at6native12_GLOBAL__N_18offset_tEEE10hipError_tPvRmT1_PNSt15iterator_traitsIS12_E10value_typeET2_T3_PNS13_IS18_E10value_typeET4_jRbjT5_S1E_jjP12ihipStream_tbEUljE_ZNSN_ISO_Lb1ESQ_SR_ST_SU_SY_EESZ_S10_S11_S12_S16_S17_S18_S1B_S1C_jS1D_jS1E_S1E_jjS1G_bEUljE0_EEESZ_S10_S11_S18_S1C_S1E_T6_T7_T9_mT8_S1G_bDpT10_ENKUlT_T0_E_clISt17integral_constantIbLb0EES1U_EEDaS1P_S1Q_EUlS1P_E_NS1_11comp_targetILNS1_3genE8ELNS1_11target_archE1030ELNS1_3gpuE2ELNS1_3repE0EEENS1_30default_config_static_selectorELNS0_4arch9wavefront6targetE1EEEvS12_,"axG",@progbits,_ZN7rocprim17ROCPRIM_400000_NS6detail17trampoline_kernelINS0_13select_configILj256ELj13ELNS0_17block_load_methodE3ELS4_3ELS4_3ELNS0_20block_scan_algorithmE0ELj4294967295EEENS1_25partition_config_selectorILNS1_17partition_subalgoE4EjNS0_10empty_typeEbEEZZNS1_14partition_implILS8_4ELb0ES6_15HIP_vector_typeIjLj2EENS0_17counting_iteratorIjlEEPS9_SG_NS0_5tupleIJPjSI_NS0_16reverse_iteratorISI_EEEEENSH_IJSG_SG_SG_EEES9_SI_JZNS1_25segmented_radix_sort_implINS0_14default_configELb1EPKiPiPKlPlN2at6native12_GLOBAL__N_18offset_tEEE10hipError_tPvRmT1_PNSt15iterator_traitsIS12_E10value_typeET2_T3_PNS13_IS18_E10value_typeET4_jRbjT5_S1E_jjP12ihipStream_tbEUljE_ZNSN_ISO_Lb1ESQ_SR_ST_SU_SY_EESZ_S10_S11_S12_S16_S17_S18_S1B_S1C_jS1D_jS1E_S1E_jjS1G_bEUljE0_EEESZ_S10_S11_S18_S1C_S1E_T6_T7_T9_mT8_S1G_bDpT10_ENKUlT_T0_E_clISt17integral_constantIbLb0EES1U_EEDaS1P_S1Q_EUlS1P_E_NS1_11comp_targetILNS1_3genE8ELNS1_11target_archE1030ELNS1_3gpuE2ELNS1_3repE0EEENS1_30default_config_static_selectorELNS0_4arch9wavefront6targetE1EEEvS12_,comdat
	.globl	_ZN7rocprim17ROCPRIM_400000_NS6detail17trampoline_kernelINS0_13select_configILj256ELj13ELNS0_17block_load_methodE3ELS4_3ELS4_3ELNS0_20block_scan_algorithmE0ELj4294967295EEENS1_25partition_config_selectorILNS1_17partition_subalgoE4EjNS0_10empty_typeEbEEZZNS1_14partition_implILS8_4ELb0ES6_15HIP_vector_typeIjLj2EENS0_17counting_iteratorIjlEEPS9_SG_NS0_5tupleIJPjSI_NS0_16reverse_iteratorISI_EEEEENSH_IJSG_SG_SG_EEES9_SI_JZNS1_25segmented_radix_sort_implINS0_14default_configELb1EPKiPiPKlPlN2at6native12_GLOBAL__N_18offset_tEEE10hipError_tPvRmT1_PNSt15iterator_traitsIS12_E10value_typeET2_T3_PNS13_IS18_E10value_typeET4_jRbjT5_S1E_jjP12ihipStream_tbEUljE_ZNSN_ISO_Lb1ESQ_SR_ST_SU_SY_EESZ_S10_S11_S12_S16_S17_S18_S1B_S1C_jS1D_jS1E_S1E_jjS1G_bEUljE0_EEESZ_S10_S11_S18_S1C_S1E_T6_T7_T9_mT8_S1G_bDpT10_ENKUlT_T0_E_clISt17integral_constantIbLb0EES1U_EEDaS1P_S1Q_EUlS1P_E_NS1_11comp_targetILNS1_3genE8ELNS1_11target_archE1030ELNS1_3gpuE2ELNS1_3repE0EEENS1_30default_config_static_selectorELNS0_4arch9wavefront6targetE1EEEvS12_ ; -- Begin function _ZN7rocprim17ROCPRIM_400000_NS6detail17trampoline_kernelINS0_13select_configILj256ELj13ELNS0_17block_load_methodE3ELS4_3ELS4_3ELNS0_20block_scan_algorithmE0ELj4294967295EEENS1_25partition_config_selectorILNS1_17partition_subalgoE4EjNS0_10empty_typeEbEEZZNS1_14partition_implILS8_4ELb0ES6_15HIP_vector_typeIjLj2EENS0_17counting_iteratorIjlEEPS9_SG_NS0_5tupleIJPjSI_NS0_16reverse_iteratorISI_EEEEENSH_IJSG_SG_SG_EEES9_SI_JZNS1_25segmented_radix_sort_implINS0_14default_configELb1EPKiPiPKlPlN2at6native12_GLOBAL__N_18offset_tEEE10hipError_tPvRmT1_PNSt15iterator_traitsIS12_E10value_typeET2_T3_PNS13_IS18_E10value_typeET4_jRbjT5_S1E_jjP12ihipStream_tbEUljE_ZNSN_ISO_Lb1ESQ_SR_ST_SU_SY_EESZ_S10_S11_S12_S16_S17_S18_S1B_S1C_jS1D_jS1E_S1E_jjS1G_bEUljE0_EEESZ_S10_S11_S18_S1C_S1E_T6_T7_T9_mT8_S1G_bDpT10_ENKUlT_T0_E_clISt17integral_constantIbLb0EES1U_EEDaS1P_S1Q_EUlS1P_E_NS1_11comp_targetILNS1_3genE8ELNS1_11target_archE1030ELNS1_3gpuE2ELNS1_3repE0EEENS1_30default_config_static_selectorELNS0_4arch9wavefront6targetE1EEEvS12_
	.p2align	8
	.type	_ZN7rocprim17ROCPRIM_400000_NS6detail17trampoline_kernelINS0_13select_configILj256ELj13ELNS0_17block_load_methodE3ELS4_3ELS4_3ELNS0_20block_scan_algorithmE0ELj4294967295EEENS1_25partition_config_selectorILNS1_17partition_subalgoE4EjNS0_10empty_typeEbEEZZNS1_14partition_implILS8_4ELb0ES6_15HIP_vector_typeIjLj2EENS0_17counting_iteratorIjlEEPS9_SG_NS0_5tupleIJPjSI_NS0_16reverse_iteratorISI_EEEEENSH_IJSG_SG_SG_EEES9_SI_JZNS1_25segmented_radix_sort_implINS0_14default_configELb1EPKiPiPKlPlN2at6native12_GLOBAL__N_18offset_tEEE10hipError_tPvRmT1_PNSt15iterator_traitsIS12_E10value_typeET2_T3_PNS13_IS18_E10value_typeET4_jRbjT5_S1E_jjP12ihipStream_tbEUljE_ZNSN_ISO_Lb1ESQ_SR_ST_SU_SY_EESZ_S10_S11_S12_S16_S17_S18_S1B_S1C_jS1D_jS1E_S1E_jjS1G_bEUljE0_EEESZ_S10_S11_S18_S1C_S1E_T6_T7_T9_mT8_S1G_bDpT10_ENKUlT_T0_E_clISt17integral_constantIbLb0EES1U_EEDaS1P_S1Q_EUlS1P_E_NS1_11comp_targetILNS1_3genE8ELNS1_11target_archE1030ELNS1_3gpuE2ELNS1_3repE0EEENS1_30default_config_static_selectorELNS0_4arch9wavefront6targetE1EEEvS12_,@function
_ZN7rocprim17ROCPRIM_400000_NS6detail17trampoline_kernelINS0_13select_configILj256ELj13ELNS0_17block_load_methodE3ELS4_3ELS4_3ELNS0_20block_scan_algorithmE0ELj4294967295EEENS1_25partition_config_selectorILNS1_17partition_subalgoE4EjNS0_10empty_typeEbEEZZNS1_14partition_implILS8_4ELb0ES6_15HIP_vector_typeIjLj2EENS0_17counting_iteratorIjlEEPS9_SG_NS0_5tupleIJPjSI_NS0_16reverse_iteratorISI_EEEEENSH_IJSG_SG_SG_EEES9_SI_JZNS1_25segmented_radix_sort_implINS0_14default_configELb1EPKiPiPKlPlN2at6native12_GLOBAL__N_18offset_tEEE10hipError_tPvRmT1_PNSt15iterator_traitsIS12_E10value_typeET2_T3_PNS13_IS18_E10value_typeET4_jRbjT5_S1E_jjP12ihipStream_tbEUljE_ZNSN_ISO_Lb1ESQ_SR_ST_SU_SY_EESZ_S10_S11_S12_S16_S17_S18_S1B_S1C_jS1D_jS1E_S1E_jjS1G_bEUljE0_EEESZ_S10_S11_S18_S1C_S1E_T6_T7_T9_mT8_S1G_bDpT10_ENKUlT_T0_E_clISt17integral_constantIbLb0EES1U_EEDaS1P_S1Q_EUlS1P_E_NS1_11comp_targetILNS1_3genE8ELNS1_11target_archE1030ELNS1_3gpuE2ELNS1_3repE0EEENS1_30default_config_static_selectorELNS0_4arch9wavefront6targetE1EEEvS12_: ; @_ZN7rocprim17ROCPRIM_400000_NS6detail17trampoline_kernelINS0_13select_configILj256ELj13ELNS0_17block_load_methodE3ELS4_3ELS4_3ELNS0_20block_scan_algorithmE0ELj4294967295EEENS1_25partition_config_selectorILNS1_17partition_subalgoE4EjNS0_10empty_typeEbEEZZNS1_14partition_implILS8_4ELb0ES6_15HIP_vector_typeIjLj2EENS0_17counting_iteratorIjlEEPS9_SG_NS0_5tupleIJPjSI_NS0_16reverse_iteratorISI_EEEEENSH_IJSG_SG_SG_EEES9_SI_JZNS1_25segmented_radix_sort_implINS0_14default_configELb1EPKiPiPKlPlN2at6native12_GLOBAL__N_18offset_tEEE10hipError_tPvRmT1_PNSt15iterator_traitsIS12_E10value_typeET2_T3_PNS13_IS18_E10value_typeET4_jRbjT5_S1E_jjP12ihipStream_tbEUljE_ZNSN_ISO_Lb1ESQ_SR_ST_SU_SY_EESZ_S10_S11_S12_S16_S17_S18_S1B_S1C_jS1D_jS1E_S1E_jjS1G_bEUljE0_EEESZ_S10_S11_S18_S1C_S1E_T6_T7_T9_mT8_S1G_bDpT10_ENKUlT_T0_E_clISt17integral_constantIbLb0EES1U_EEDaS1P_S1Q_EUlS1P_E_NS1_11comp_targetILNS1_3genE8ELNS1_11target_archE1030ELNS1_3gpuE2ELNS1_3repE0EEENS1_30default_config_static_selectorELNS0_4arch9wavefront6targetE1EEEvS12_
; %bb.0:
	.section	.rodata,"a",@progbits
	.p2align	6, 0x0
	.amdhsa_kernel _ZN7rocprim17ROCPRIM_400000_NS6detail17trampoline_kernelINS0_13select_configILj256ELj13ELNS0_17block_load_methodE3ELS4_3ELS4_3ELNS0_20block_scan_algorithmE0ELj4294967295EEENS1_25partition_config_selectorILNS1_17partition_subalgoE4EjNS0_10empty_typeEbEEZZNS1_14partition_implILS8_4ELb0ES6_15HIP_vector_typeIjLj2EENS0_17counting_iteratorIjlEEPS9_SG_NS0_5tupleIJPjSI_NS0_16reverse_iteratorISI_EEEEENSH_IJSG_SG_SG_EEES9_SI_JZNS1_25segmented_radix_sort_implINS0_14default_configELb1EPKiPiPKlPlN2at6native12_GLOBAL__N_18offset_tEEE10hipError_tPvRmT1_PNSt15iterator_traitsIS12_E10value_typeET2_T3_PNS13_IS18_E10value_typeET4_jRbjT5_S1E_jjP12ihipStream_tbEUljE_ZNSN_ISO_Lb1ESQ_SR_ST_SU_SY_EESZ_S10_S11_S12_S16_S17_S18_S1B_S1C_jS1D_jS1E_S1E_jjS1G_bEUljE0_EEESZ_S10_S11_S18_S1C_S1E_T6_T7_T9_mT8_S1G_bDpT10_ENKUlT_T0_E_clISt17integral_constantIbLb0EES1U_EEDaS1P_S1Q_EUlS1P_E_NS1_11comp_targetILNS1_3genE8ELNS1_11target_archE1030ELNS1_3gpuE2ELNS1_3repE0EEENS1_30default_config_static_selectorELNS0_4arch9wavefront6targetE1EEEvS12_
		.amdhsa_group_segment_fixed_size 0
		.amdhsa_private_segment_fixed_size 0
		.amdhsa_kernarg_size 176
		.amdhsa_user_sgpr_count 6
		.amdhsa_user_sgpr_private_segment_buffer 1
		.amdhsa_user_sgpr_dispatch_ptr 0
		.amdhsa_user_sgpr_queue_ptr 0
		.amdhsa_user_sgpr_kernarg_segment_ptr 1
		.amdhsa_user_sgpr_dispatch_id 0
		.amdhsa_user_sgpr_flat_scratch_init 0
		.amdhsa_user_sgpr_private_segment_size 0
		.amdhsa_uses_dynamic_stack 0
		.amdhsa_system_sgpr_private_segment_wavefront_offset 0
		.amdhsa_system_sgpr_workgroup_id_x 1
		.amdhsa_system_sgpr_workgroup_id_y 0
		.amdhsa_system_sgpr_workgroup_id_z 0
		.amdhsa_system_sgpr_workgroup_info 0
		.amdhsa_system_vgpr_workitem_id 0
		.amdhsa_next_free_vgpr 1
		.amdhsa_next_free_sgpr 0
		.amdhsa_reserve_vcc 0
		.amdhsa_reserve_flat_scratch 0
		.amdhsa_float_round_mode_32 0
		.amdhsa_float_round_mode_16_64 0
		.amdhsa_float_denorm_mode_32 3
		.amdhsa_float_denorm_mode_16_64 3
		.amdhsa_dx10_clamp 1
		.amdhsa_ieee_mode 1
		.amdhsa_fp16_overflow 0
		.amdhsa_exception_fp_ieee_invalid_op 0
		.amdhsa_exception_fp_denorm_src 0
		.amdhsa_exception_fp_ieee_div_zero 0
		.amdhsa_exception_fp_ieee_overflow 0
		.amdhsa_exception_fp_ieee_underflow 0
		.amdhsa_exception_fp_ieee_inexact 0
		.amdhsa_exception_int_div_zero 0
	.end_amdhsa_kernel
	.section	.text._ZN7rocprim17ROCPRIM_400000_NS6detail17trampoline_kernelINS0_13select_configILj256ELj13ELNS0_17block_load_methodE3ELS4_3ELS4_3ELNS0_20block_scan_algorithmE0ELj4294967295EEENS1_25partition_config_selectorILNS1_17partition_subalgoE4EjNS0_10empty_typeEbEEZZNS1_14partition_implILS8_4ELb0ES6_15HIP_vector_typeIjLj2EENS0_17counting_iteratorIjlEEPS9_SG_NS0_5tupleIJPjSI_NS0_16reverse_iteratorISI_EEEEENSH_IJSG_SG_SG_EEES9_SI_JZNS1_25segmented_radix_sort_implINS0_14default_configELb1EPKiPiPKlPlN2at6native12_GLOBAL__N_18offset_tEEE10hipError_tPvRmT1_PNSt15iterator_traitsIS12_E10value_typeET2_T3_PNS13_IS18_E10value_typeET4_jRbjT5_S1E_jjP12ihipStream_tbEUljE_ZNSN_ISO_Lb1ESQ_SR_ST_SU_SY_EESZ_S10_S11_S12_S16_S17_S18_S1B_S1C_jS1D_jS1E_S1E_jjS1G_bEUljE0_EEESZ_S10_S11_S18_S1C_S1E_T6_T7_T9_mT8_S1G_bDpT10_ENKUlT_T0_E_clISt17integral_constantIbLb0EES1U_EEDaS1P_S1Q_EUlS1P_E_NS1_11comp_targetILNS1_3genE8ELNS1_11target_archE1030ELNS1_3gpuE2ELNS1_3repE0EEENS1_30default_config_static_selectorELNS0_4arch9wavefront6targetE1EEEvS12_,"axG",@progbits,_ZN7rocprim17ROCPRIM_400000_NS6detail17trampoline_kernelINS0_13select_configILj256ELj13ELNS0_17block_load_methodE3ELS4_3ELS4_3ELNS0_20block_scan_algorithmE0ELj4294967295EEENS1_25partition_config_selectorILNS1_17partition_subalgoE4EjNS0_10empty_typeEbEEZZNS1_14partition_implILS8_4ELb0ES6_15HIP_vector_typeIjLj2EENS0_17counting_iteratorIjlEEPS9_SG_NS0_5tupleIJPjSI_NS0_16reverse_iteratorISI_EEEEENSH_IJSG_SG_SG_EEES9_SI_JZNS1_25segmented_radix_sort_implINS0_14default_configELb1EPKiPiPKlPlN2at6native12_GLOBAL__N_18offset_tEEE10hipError_tPvRmT1_PNSt15iterator_traitsIS12_E10value_typeET2_T3_PNS13_IS18_E10value_typeET4_jRbjT5_S1E_jjP12ihipStream_tbEUljE_ZNSN_ISO_Lb1ESQ_SR_ST_SU_SY_EESZ_S10_S11_S12_S16_S17_S18_S1B_S1C_jS1D_jS1E_S1E_jjS1G_bEUljE0_EEESZ_S10_S11_S18_S1C_S1E_T6_T7_T9_mT8_S1G_bDpT10_ENKUlT_T0_E_clISt17integral_constantIbLb0EES1U_EEDaS1P_S1Q_EUlS1P_E_NS1_11comp_targetILNS1_3genE8ELNS1_11target_archE1030ELNS1_3gpuE2ELNS1_3repE0EEENS1_30default_config_static_selectorELNS0_4arch9wavefront6targetE1EEEvS12_,comdat
.Lfunc_end440:
	.size	_ZN7rocprim17ROCPRIM_400000_NS6detail17trampoline_kernelINS0_13select_configILj256ELj13ELNS0_17block_load_methodE3ELS4_3ELS4_3ELNS0_20block_scan_algorithmE0ELj4294967295EEENS1_25partition_config_selectorILNS1_17partition_subalgoE4EjNS0_10empty_typeEbEEZZNS1_14partition_implILS8_4ELb0ES6_15HIP_vector_typeIjLj2EENS0_17counting_iteratorIjlEEPS9_SG_NS0_5tupleIJPjSI_NS0_16reverse_iteratorISI_EEEEENSH_IJSG_SG_SG_EEES9_SI_JZNS1_25segmented_radix_sort_implINS0_14default_configELb1EPKiPiPKlPlN2at6native12_GLOBAL__N_18offset_tEEE10hipError_tPvRmT1_PNSt15iterator_traitsIS12_E10value_typeET2_T3_PNS13_IS18_E10value_typeET4_jRbjT5_S1E_jjP12ihipStream_tbEUljE_ZNSN_ISO_Lb1ESQ_SR_ST_SU_SY_EESZ_S10_S11_S12_S16_S17_S18_S1B_S1C_jS1D_jS1E_S1E_jjS1G_bEUljE0_EEESZ_S10_S11_S18_S1C_S1E_T6_T7_T9_mT8_S1G_bDpT10_ENKUlT_T0_E_clISt17integral_constantIbLb0EES1U_EEDaS1P_S1Q_EUlS1P_E_NS1_11comp_targetILNS1_3genE8ELNS1_11target_archE1030ELNS1_3gpuE2ELNS1_3repE0EEENS1_30default_config_static_selectorELNS0_4arch9wavefront6targetE1EEEvS12_, .Lfunc_end440-_ZN7rocprim17ROCPRIM_400000_NS6detail17trampoline_kernelINS0_13select_configILj256ELj13ELNS0_17block_load_methodE3ELS4_3ELS4_3ELNS0_20block_scan_algorithmE0ELj4294967295EEENS1_25partition_config_selectorILNS1_17partition_subalgoE4EjNS0_10empty_typeEbEEZZNS1_14partition_implILS8_4ELb0ES6_15HIP_vector_typeIjLj2EENS0_17counting_iteratorIjlEEPS9_SG_NS0_5tupleIJPjSI_NS0_16reverse_iteratorISI_EEEEENSH_IJSG_SG_SG_EEES9_SI_JZNS1_25segmented_radix_sort_implINS0_14default_configELb1EPKiPiPKlPlN2at6native12_GLOBAL__N_18offset_tEEE10hipError_tPvRmT1_PNSt15iterator_traitsIS12_E10value_typeET2_T3_PNS13_IS18_E10value_typeET4_jRbjT5_S1E_jjP12ihipStream_tbEUljE_ZNSN_ISO_Lb1ESQ_SR_ST_SU_SY_EESZ_S10_S11_S12_S16_S17_S18_S1B_S1C_jS1D_jS1E_S1E_jjS1G_bEUljE0_EEESZ_S10_S11_S18_S1C_S1E_T6_T7_T9_mT8_S1G_bDpT10_ENKUlT_T0_E_clISt17integral_constantIbLb0EES1U_EEDaS1P_S1Q_EUlS1P_E_NS1_11comp_targetILNS1_3genE8ELNS1_11target_archE1030ELNS1_3gpuE2ELNS1_3repE0EEENS1_30default_config_static_selectorELNS0_4arch9wavefront6targetE1EEEvS12_
                                        ; -- End function
	.set _ZN7rocprim17ROCPRIM_400000_NS6detail17trampoline_kernelINS0_13select_configILj256ELj13ELNS0_17block_load_methodE3ELS4_3ELS4_3ELNS0_20block_scan_algorithmE0ELj4294967295EEENS1_25partition_config_selectorILNS1_17partition_subalgoE4EjNS0_10empty_typeEbEEZZNS1_14partition_implILS8_4ELb0ES6_15HIP_vector_typeIjLj2EENS0_17counting_iteratorIjlEEPS9_SG_NS0_5tupleIJPjSI_NS0_16reverse_iteratorISI_EEEEENSH_IJSG_SG_SG_EEES9_SI_JZNS1_25segmented_radix_sort_implINS0_14default_configELb1EPKiPiPKlPlN2at6native12_GLOBAL__N_18offset_tEEE10hipError_tPvRmT1_PNSt15iterator_traitsIS12_E10value_typeET2_T3_PNS13_IS18_E10value_typeET4_jRbjT5_S1E_jjP12ihipStream_tbEUljE_ZNSN_ISO_Lb1ESQ_SR_ST_SU_SY_EESZ_S10_S11_S12_S16_S17_S18_S1B_S1C_jS1D_jS1E_S1E_jjS1G_bEUljE0_EEESZ_S10_S11_S18_S1C_S1E_T6_T7_T9_mT8_S1G_bDpT10_ENKUlT_T0_E_clISt17integral_constantIbLb0EES1U_EEDaS1P_S1Q_EUlS1P_E_NS1_11comp_targetILNS1_3genE8ELNS1_11target_archE1030ELNS1_3gpuE2ELNS1_3repE0EEENS1_30default_config_static_selectorELNS0_4arch9wavefront6targetE1EEEvS12_.num_vgpr, 0
	.set _ZN7rocprim17ROCPRIM_400000_NS6detail17trampoline_kernelINS0_13select_configILj256ELj13ELNS0_17block_load_methodE3ELS4_3ELS4_3ELNS0_20block_scan_algorithmE0ELj4294967295EEENS1_25partition_config_selectorILNS1_17partition_subalgoE4EjNS0_10empty_typeEbEEZZNS1_14partition_implILS8_4ELb0ES6_15HIP_vector_typeIjLj2EENS0_17counting_iteratorIjlEEPS9_SG_NS0_5tupleIJPjSI_NS0_16reverse_iteratorISI_EEEEENSH_IJSG_SG_SG_EEES9_SI_JZNS1_25segmented_radix_sort_implINS0_14default_configELb1EPKiPiPKlPlN2at6native12_GLOBAL__N_18offset_tEEE10hipError_tPvRmT1_PNSt15iterator_traitsIS12_E10value_typeET2_T3_PNS13_IS18_E10value_typeET4_jRbjT5_S1E_jjP12ihipStream_tbEUljE_ZNSN_ISO_Lb1ESQ_SR_ST_SU_SY_EESZ_S10_S11_S12_S16_S17_S18_S1B_S1C_jS1D_jS1E_S1E_jjS1G_bEUljE0_EEESZ_S10_S11_S18_S1C_S1E_T6_T7_T9_mT8_S1G_bDpT10_ENKUlT_T0_E_clISt17integral_constantIbLb0EES1U_EEDaS1P_S1Q_EUlS1P_E_NS1_11comp_targetILNS1_3genE8ELNS1_11target_archE1030ELNS1_3gpuE2ELNS1_3repE0EEENS1_30default_config_static_selectorELNS0_4arch9wavefront6targetE1EEEvS12_.num_agpr, 0
	.set _ZN7rocprim17ROCPRIM_400000_NS6detail17trampoline_kernelINS0_13select_configILj256ELj13ELNS0_17block_load_methodE3ELS4_3ELS4_3ELNS0_20block_scan_algorithmE0ELj4294967295EEENS1_25partition_config_selectorILNS1_17partition_subalgoE4EjNS0_10empty_typeEbEEZZNS1_14partition_implILS8_4ELb0ES6_15HIP_vector_typeIjLj2EENS0_17counting_iteratorIjlEEPS9_SG_NS0_5tupleIJPjSI_NS0_16reverse_iteratorISI_EEEEENSH_IJSG_SG_SG_EEES9_SI_JZNS1_25segmented_radix_sort_implINS0_14default_configELb1EPKiPiPKlPlN2at6native12_GLOBAL__N_18offset_tEEE10hipError_tPvRmT1_PNSt15iterator_traitsIS12_E10value_typeET2_T3_PNS13_IS18_E10value_typeET4_jRbjT5_S1E_jjP12ihipStream_tbEUljE_ZNSN_ISO_Lb1ESQ_SR_ST_SU_SY_EESZ_S10_S11_S12_S16_S17_S18_S1B_S1C_jS1D_jS1E_S1E_jjS1G_bEUljE0_EEESZ_S10_S11_S18_S1C_S1E_T6_T7_T9_mT8_S1G_bDpT10_ENKUlT_T0_E_clISt17integral_constantIbLb0EES1U_EEDaS1P_S1Q_EUlS1P_E_NS1_11comp_targetILNS1_3genE8ELNS1_11target_archE1030ELNS1_3gpuE2ELNS1_3repE0EEENS1_30default_config_static_selectorELNS0_4arch9wavefront6targetE1EEEvS12_.numbered_sgpr, 0
	.set _ZN7rocprim17ROCPRIM_400000_NS6detail17trampoline_kernelINS0_13select_configILj256ELj13ELNS0_17block_load_methodE3ELS4_3ELS4_3ELNS0_20block_scan_algorithmE0ELj4294967295EEENS1_25partition_config_selectorILNS1_17partition_subalgoE4EjNS0_10empty_typeEbEEZZNS1_14partition_implILS8_4ELb0ES6_15HIP_vector_typeIjLj2EENS0_17counting_iteratorIjlEEPS9_SG_NS0_5tupleIJPjSI_NS0_16reverse_iteratorISI_EEEEENSH_IJSG_SG_SG_EEES9_SI_JZNS1_25segmented_radix_sort_implINS0_14default_configELb1EPKiPiPKlPlN2at6native12_GLOBAL__N_18offset_tEEE10hipError_tPvRmT1_PNSt15iterator_traitsIS12_E10value_typeET2_T3_PNS13_IS18_E10value_typeET4_jRbjT5_S1E_jjP12ihipStream_tbEUljE_ZNSN_ISO_Lb1ESQ_SR_ST_SU_SY_EESZ_S10_S11_S12_S16_S17_S18_S1B_S1C_jS1D_jS1E_S1E_jjS1G_bEUljE0_EEESZ_S10_S11_S18_S1C_S1E_T6_T7_T9_mT8_S1G_bDpT10_ENKUlT_T0_E_clISt17integral_constantIbLb0EES1U_EEDaS1P_S1Q_EUlS1P_E_NS1_11comp_targetILNS1_3genE8ELNS1_11target_archE1030ELNS1_3gpuE2ELNS1_3repE0EEENS1_30default_config_static_selectorELNS0_4arch9wavefront6targetE1EEEvS12_.num_named_barrier, 0
	.set _ZN7rocprim17ROCPRIM_400000_NS6detail17trampoline_kernelINS0_13select_configILj256ELj13ELNS0_17block_load_methodE3ELS4_3ELS4_3ELNS0_20block_scan_algorithmE0ELj4294967295EEENS1_25partition_config_selectorILNS1_17partition_subalgoE4EjNS0_10empty_typeEbEEZZNS1_14partition_implILS8_4ELb0ES6_15HIP_vector_typeIjLj2EENS0_17counting_iteratorIjlEEPS9_SG_NS0_5tupleIJPjSI_NS0_16reverse_iteratorISI_EEEEENSH_IJSG_SG_SG_EEES9_SI_JZNS1_25segmented_radix_sort_implINS0_14default_configELb1EPKiPiPKlPlN2at6native12_GLOBAL__N_18offset_tEEE10hipError_tPvRmT1_PNSt15iterator_traitsIS12_E10value_typeET2_T3_PNS13_IS18_E10value_typeET4_jRbjT5_S1E_jjP12ihipStream_tbEUljE_ZNSN_ISO_Lb1ESQ_SR_ST_SU_SY_EESZ_S10_S11_S12_S16_S17_S18_S1B_S1C_jS1D_jS1E_S1E_jjS1G_bEUljE0_EEESZ_S10_S11_S18_S1C_S1E_T6_T7_T9_mT8_S1G_bDpT10_ENKUlT_T0_E_clISt17integral_constantIbLb0EES1U_EEDaS1P_S1Q_EUlS1P_E_NS1_11comp_targetILNS1_3genE8ELNS1_11target_archE1030ELNS1_3gpuE2ELNS1_3repE0EEENS1_30default_config_static_selectorELNS0_4arch9wavefront6targetE1EEEvS12_.private_seg_size, 0
	.set _ZN7rocprim17ROCPRIM_400000_NS6detail17trampoline_kernelINS0_13select_configILj256ELj13ELNS0_17block_load_methodE3ELS4_3ELS4_3ELNS0_20block_scan_algorithmE0ELj4294967295EEENS1_25partition_config_selectorILNS1_17partition_subalgoE4EjNS0_10empty_typeEbEEZZNS1_14partition_implILS8_4ELb0ES6_15HIP_vector_typeIjLj2EENS0_17counting_iteratorIjlEEPS9_SG_NS0_5tupleIJPjSI_NS0_16reverse_iteratorISI_EEEEENSH_IJSG_SG_SG_EEES9_SI_JZNS1_25segmented_radix_sort_implINS0_14default_configELb1EPKiPiPKlPlN2at6native12_GLOBAL__N_18offset_tEEE10hipError_tPvRmT1_PNSt15iterator_traitsIS12_E10value_typeET2_T3_PNS13_IS18_E10value_typeET4_jRbjT5_S1E_jjP12ihipStream_tbEUljE_ZNSN_ISO_Lb1ESQ_SR_ST_SU_SY_EESZ_S10_S11_S12_S16_S17_S18_S1B_S1C_jS1D_jS1E_S1E_jjS1G_bEUljE0_EEESZ_S10_S11_S18_S1C_S1E_T6_T7_T9_mT8_S1G_bDpT10_ENKUlT_T0_E_clISt17integral_constantIbLb0EES1U_EEDaS1P_S1Q_EUlS1P_E_NS1_11comp_targetILNS1_3genE8ELNS1_11target_archE1030ELNS1_3gpuE2ELNS1_3repE0EEENS1_30default_config_static_selectorELNS0_4arch9wavefront6targetE1EEEvS12_.uses_vcc, 0
	.set _ZN7rocprim17ROCPRIM_400000_NS6detail17trampoline_kernelINS0_13select_configILj256ELj13ELNS0_17block_load_methodE3ELS4_3ELS4_3ELNS0_20block_scan_algorithmE0ELj4294967295EEENS1_25partition_config_selectorILNS1_17partition_subalgoE4EjNS0_10empty_typeEbEEZZNS1_14partition_implILS8_4ELb0ES6_15HIP_vector_typeIjLj2EENS0_17counting_iteratorIjlEEPS9_SG_NS0_5tupleIJPjSI_NS0_16reverse_iteratorISI_EEEEENSH_IJSG_SG_SG_EEES9_SI_JZNS1_25segmented_radix_sort_implINS0_14default_configELb1EPKiPiPKlPlN2at6native12_GLOBAL__N_18offset_tEEE10hipError_tPvRmT1_PNSt15iterator_traitsIS12_E10value_typeET2_T3_PNS13_IS18_E10value_typeET4_jRbjT5_S1E_jjP12ihipStream_tbEUljE_ZNSN_ISO_Lb1ESQ_SR_ST_SU_SY_EESZ_S10_S11_S12_S16_S17_S18_S1B_S1C_jS1D_jS1E_S1E_jjS1G_bEUljE0_EEESZ_S10_S11_S18_S1C_S1E_T6_T7_T9_mT8_S1G_bDpT10_ENKUlT_T0_E_clISt17integral_constantIbLb0EES1U_EEDaS1P_S1Q_EUlS1P_E_NS1_11comp_targetILNS1_3genE8ELNS1_11target_archE1030ELNS1_3gpuE2ELNS1_3repE0EEENS1_30default_config_static_selectorELNS0_4arch9wavefront6targetE1EEEvS12_.uses_flat_scratch, 0
	.set _ZN7rocprim17ROCPRIM_400000_NS6detail17trampoline_kernelINS0_13select_configILj256ELj13ELNS0_17block_load_methodE3ELS4_3ELS4_3ELNS0_20block_scan_algorithmE0ELj4294967295EEENS1_25partition_config_selectorILNS1_17partition_subalgoE4EjNS0_10empty_typeEbEEZZNS1_14partition_implILS8_4ELb0ES6_15HIP_vector_typeIjLj2EENS0_17counting_iteratorIjlEEPS9_SG_NS0_5tupleIJPjSI_NS0_16reverse_iteratorISI_EEEEENSH_IJSG_SG_SG_EEES9_SI_JZNS1_25segmented_radix_sort_implINS0_14default_configELb1EPKiPiPKlPlN2at6native12_GLOBAL__N_18offset_tEEE10hipError_tPvRmT1_PNSt15iterator_traitsIS12_E10value_typeET2_T3_PNS13_IS18_E10value_typeET4_jRbjT5_S1E_jjP12ihipStream_tbEUljE_ZNSN_ISO_Lb1ESQ_SR_ST_SU_SY_EESZ_S10_S11_S12_S16_S17_S18_S1B_S1C_jS1D_jS1E_S1E_jjS1G_bEUljE0_EEESZ_S10_S11_S18_S1C_S1E_T6_T7_T9_mT8_S1G_bDpT10_ENKUlT_T0_E_clISt17integral_constantIbLb0EES1U_EEDaS1P_S1Q_EUlS1P_E_NS1_11comp_targetILNS1_3genE8ELNS1_11target_archE1030ELNS1_3gpuE2ELNS1_3repE0EEENS1_30default_config_static_selectorELNS0_4arch9wavefront6targetE1EEEvS12_.has_dyn_sized_stack, 0
	.set _ZN7rocprim17ROCPRIM_400000_NS6detail17trampoline_kernelINS0_13select_configILj256ELj13ELNS0_17block_load_methodE3ELS4_3ELS4_3ELNS0_20block_scan_algorithmE0ELj4294967295EEENS1_25partition_config_selectorILNS1_17partition_subalgoE4EjNS0_10empty_typeEbEEZZNS1_14partition_implILS8_4ELb0ES6_15HIP_vector_typeIjLj2EENS0_17counting_iteratorIjlEEPS9_SG_NS0_5tupleIJPjSI_NS0_16reverse_iteratorISI_EEEEENSH_IJSG_SG_SG_EEES9_SI_JZNS1_25segmented_radix_sort_implINS0_14default_configELb1EPKiPiPKlPlN2at6native12_GLOBAL__N_18offset_tEEE10hipError_tPvRmT1_PNSt15iterator_traitsIS12_E10value_typeET2_T3_PNS13_IS18_E10value_typeET4_jRbjT5_S1E_jjP12ihipStream_tbEUljE_ZNSN_ISO_Lb1ESQ_SR_ST_SU_SY_EESZ_S10_S11_S12_S16_S17_S18_S1B_S1C_jS1D_jS1E_S1E_jjS1G_bEUljE0_EEESZ_S10_S11_S18_S1C_S1E_T6_T7_T9_mT8_S1G_bDpT10_ENKUlT_T0_E_clISt17integral_constantIbLb0EES1U_EEDaS1P_S1Q_EUlS1P_E_NS1_11comp_targetILNS1_3genE8ELNS1_11target_archE1030ELNS1_3gpuE2ELNS1_3repE0EEENS1_30default_config_static_selectorELNS0_4arch9wavefront6targetE1EEEvS12_.has_recursion, 0
	.set _ZN7rocprim17ROCPRIM_400000_NS6detail17trampoline_kernelINS0_13select_configILj256ELj13ELNS0_17block_load_methodE3ELS4_3ELS4_3ELNS0_20block_scan_algorithmE0ELj4294967295EEENS1_25partition_config_selectorILNS1_17partition_subalgoE4EjNS0_10empty_typeEbEEZZNS1_14partition_implILS8_4ELb0ES6_15HIP_vector_typeIjLj2EENS0_17counting_iteratorIjlEEPS9_SG_NS0_5tupleIJPjSI_NS0_16reverse_iteratorISI_EEEEENSH_IJSG_SG_SG_EEES9_SI_JZNS1_25segmented_radix_sort_implINS0_14default_configELb1EPKiPiPKlPlN2at6native12_GLOBAL__N_18offset_tEEE10hipError_tPvRmT1_PNSt15iterator_traitsIS12_E10value_typeET2_T3_PNS13_IS18_E10value_typeET4_jRbjT5_S1E_jjP12ihipStream_tbEUljE_ZNSN_ISO_Lb1ESQ_SR_ST_SU_SY_EESZ_S10_S11_S12_S16_S17_S18_S1B_S1C_jS1D_jS1E_S1E_jjS1G_bEUljE0_EEESZ_S10_S11_S18_S1C_S1E_T6_T7_T9_mT8_S1G_bDpT10_ENKUlT_T0_E_clISt17integral_constantIbLb0EES1U_EEDaS1P_S1Q_EUlS1P_E_NS1_11comp_targetILNS1_3genE8ELNS1_11target_archE1030ELNS1_3gpuE2ELNS1_3repE0EEENS1_30default_config_static_selectorELNS0_4arch9wavefront6targetE1EEEvS12_.has_indirect_call, 0
	.section	.AMDGPU.csdata,"",@progbits
; Kernel info:
; codeLenInByte = 0
; TotalNumSgprs: 4
; NumVgprs: 0
; ScratchSize: 0
; MemoryBound: 0
; FloatMode: 240
; IeeeMode: 1
; LDSByteSize: 0 bytes/workgroup (compile time only)
; SGPRBlocks: 0
; VGPRBlocks: 0
; NumSGPRsForWavesPerEU: 4
; NumVGPRsForWavesPerEU: 1
; Occupancy: 10
; WaveLimiterHint : 0
; COMPUTE_PGM_RSRC2:SCRATCH_EN: 0
; COMPUTE_PGM_RSRC2:USER_SGPR: 6
; COMPUTE_PGM_RSRC2:TRAP_HANDLER: 0
; COMPUTE_PGM_RSRC2:TGID_X_EN: 1
; COMPUTE_PGM_RSRC2:TGID_Y_EN: 0
; COMPUTE_PGM_RSRC2:TGID_Z_EN: 0
; COMPUTE_PGM_RSRC2:TIDIG_COMP_CNT: 0
	.section	.text._ZN7rocprim17ROCPRIM_400000_NS6detail17trampoline_kernelINS0_13select_configILj256ELj13ELNS0_17block_load_methodE3ELS4_3ELS4_3ELNS0_20block_scan_algorithmE0ELj4294967295EEENS1_25partition_config_selectorILNS1_17partition_subalgoE4EjNS0_10empty_typeEbEEZZNS1_14partition_implILS8_4ELb0ES6_15HIP_vector_typeIjLj2EENS0_17counting_iteratorIjlEEPS9_SG_NS0_5tupleIJPjSI_NS0_16reverse_iteratorISI_EEEEENSH_IJSG_SG_SG_EEES9_SI_JZNS1_25segmented_radix_sort_implINS0_14default_configELb1EPKiPiPKlPlN2at6native12_GLOBAL__N_18offset_tEEE10hipError_tPvRmT1_PNSt15iterator_traitsIS12_E10value_typeET2_T3_PNS13_IS18_E10value_typeET4_jRbjT5_S1E_jjP12ihipStream_tbEUljE_ZNSN_ISO_Lb1ESQ_SR_ST_SU_SY_EESZ_S10_S11_S12_S16_S17_S18_S1B_S1C_jS1D_jS1E_S1E_jjS1G_bEUljE0_EEESZ_S10_S11_S18_S1C_S1E_T6_T7_T9_mT8_S1G_bDpT10_ENKUlT_T0_E_clISt17integral_constantIbLb1EES1U_EEDaS1P_S1Q_EUlS1P_E_NS1_11comp_targetILNS1_3genE0ELNS1_11target_archE4294967295ELNS1_3gpuE0ELNS1_3repE0EEENS1_30default_config_static_selectorELNS0_4arch9wavefront6targetE1EEEvS12_,"axG",@progbits,_ZN7rocprim17ROCPRIM_400000_NS6detail17trampoline_kernelINS0_13select_configILj256ELj13ELNS0_17block_load_methodE3ELS4_3ELS4_3ELNS0_20block_scan_algorithmE0ELj4294967295EEENS1_25partition_config_selectorILNS1_17partition_subalgoE4EjNS0_10empty_typeEbEEZZNS1_14partition_implILS8_4ELb0ES6_15HIP_vector_typeIjLj2EENS0_17counting_iteratorIjlEEPS9_SG_NS0_5tupleIJPjSI_NS0_16reverse_iteratorISI_EEEEENSH_IJSG_SG_SG_EEES9_SI_JZNS1_25segmented_radix_sort_implINS0_14default_configELb1EPKiPiPKlPlN2at6native12_GLOBAL__N_18offset_tEEE10hipError_tPvRmT1_PNSt15iterator_traitsIS12_E10value_typeET2_T3_PNS13_IS18_E10value_typeET4_jRbjT5_S1E_jjP12ihipStream_tbEUljE_ZNSN_ISO_Lb1ESQ_SR_ST_SU_SY_EESZ_S10_S11_S12_S16_S17_S18_S1B_S1C_jS1D_jS1E_S1E_jjS1G_bEUljE0_EEESZ_S10_S11_S18_S1C_S1E_T6_T7_T9_mT8_S1G_bDpT10_ENKUlT_T0_E_clISt17integral_constantIbLb1EES1U_EEDaS1P_S1Q_EUlS1P_E_NS1_11comp_targetILNS1_3genE0ELNS1_11target_archE4294967295ELNS1_3gpuE0ELNS1_3repE0EEENS1_30default_config_static_selectorELNS0_4arch9wavefront6targetE1EEEvS12_,comdat
	.globl	_ZN7rocprim17ROCPRIM_400000_NS6detail17trampoline_kernelINS0_13select_configILj256ELj13ELNS0_17block_load_methodE3ELS4_3ELS4_3ELNS0_20block_scan_algorithmE0ELj4294967295EEENS1_25partition_config_selectorILNS1_17partition_subalgoE4EjNS0_10empty_typeEbEEZZNS1_14partition_implILS8_4ELb0ES6_15HIP_vector_typeIjLj2EENS0_17counting_iteratorIjlEEPS9_SG_NS0_5tupleIJPjSI_NS0_16reverse_iteratorISI_EEEEENSH_IJSG_SG_SG_EEES9_SI_JZNS1_25segmented_radix_sort_implINS0_14default_configELb1EPKiPiPKlPlN2at6native12_GLOBAL__N_18offset_tEEE10hipError_tPvRmT1_PNSt15iterator_traitsIS12_E10value_typeET2_T3_PNS13_IS18_E10value_typeET4_jRbjT5_S1E_jjP12ihipStream_tbEUljE_ZNSN_ISO_Lb1ESQ_SR_ST_SU_SY_EESZ_S10_S11_S12_S16_S17_S18_S1B_S1C_jS1D_jS1E_S1E_jjS1G_bEUljE0_EEESZ_S10_S11_S18_S1C_S1E_T6_T7_T9_mT8_S1G_bDpT10_ENKUlT_T0_E_clISt17integral_constantIbLb1EES1U_EEDaS1P_S1Q_EUlS1P_E_NS1_11comp_targetILNS1_3genE0ELNS1_11target_archE4294967295ELNS1_3gpuE0ELNS1_3repE0EEENS1_30default_config_static_selectorELNS0_4arch9wavefront6targetE1EEEvS12_ ; -- Begin function _ZN7rocprim17ROCPRIM_400000_NS6detail17trampoline_kernelINS0_13select_configILj256ELj13ELNS0_17block_load_methodE3ELS4_3ELS4_3ELNS0_20block_scan_algorithmE0ELj4294967295EEENS1_25partition_config_selectorILNS1_17partition_subalgoE4EjNS0_10empty_typeEbEEZZNS1_14partition_implILS8_4ELb0ES6_15HIP_vector_typeIjLj2EENS0_17counting_iteratorIjlEEPS9_SG_NS0_5tupleIJPjSI_NS0_16reverse_iteratorISI_EEEEENSH_IJSG_SG_SG_EEES9_SI_JZNS1_25segmented_radix_sort_implINS0_14default_configELb1EPKiPiPKlPlN2at6native12_GLOBAL__N_18offset_tEEE10hipError_tPvRmT1_PNSt15iterator_traitsIS12_E10value_typeET2_T3_PNS13_IS18_E10value_typeET4_jRbjT5_S1E_jjP12ihipStream_tbEUljE_ZNSN_ISO_Lb1ESQ_SR_ST_SU_SY_EESZ_S10_S11_S12_S16_S17_S18_S1B_S1C_jS1D_jS1E_S1E_jjS1G_bEUljE0_EEESZ_S10_S11_S18_S1C_S1E_T6_T7_T9_mT8_S1G_bDpT10_ENKUlT_T0_E_clISt17integral_constantIbLb1EES1U_EEDaS1P_S1Q_EUlS1P_E_NS1_11comp_targetILNS1_3genE0ELNS1_11target_archE4294967295ELNS1_3gpuE0ELNS1_3repE0EEENS1_30default_config_static_selectorELNS0_4arch9wavefront6targetE1EEEvS12_
	.p2align	8
	.type	_ZN7rocprim17ROCPRIM_400000_NS6detail17trampoline_kernelINS0_13select_configILj256ELj13ELNS0_17block_load_methodE3ELS4_3ELS4_3ELNS0_20block_scan_algorithmE0ELj4294967295EEENS1_25partition_config_selectorILNS1_17partition_subalgoE4EjNS0_10empty_typeEbEEZZNS1_14partition_implILS8_4ELb0ES6_15HIP_vector_typeIjLj2EENS0_17counting_iteratorIjlEEPS9_SG_NS0_5tupleIJPjSI_NS0_16reverse_iteratorISI_EEEEENSH_IJSG_SG_SG_EEES9_SI_JZNS1_25segmented_radix_sort_implINS0_14default_configELb1EPKiPiPKlPlN2at6native12_GLOBAL__N_18offset_tEEE10hipError_tPvRmT1_PNSt15iterator_traitsIS12_E10value_typeET2_T3_PNS13_IS18_E10value_typeET4_jRbjT5_S1E_jjP12ihipStream_tbEUljE_ZNSN_ISO_Lb1ESQ_SR_ST_SU_SY_EESZ_S10_S11_S12_S16_S17_S18_S1B_S1C_jS1D_jS1E_S1E_jjS1G_bEUljE0_EEESZ_S10_S11_S18_S1C_S1E_T6_T7_T9_mT8_S1G_bDpT10_ENKUlT_T0_E_clISt17integral_constantIbLb1EES1U_EEDaS1P_S1Q_EUlS1P_E_NS1_11comp_targetILNS1_3genE0ELNS1_11target_archE4294967295ELNS1_3gpuE0ELNS1_3repE0EEENS1_30default_config_static_selectorELNS0_4arch9wavefront6targetE1EEEvS12_,@function
_ZN7rocprim17ROCPRIM_400000_NS6detail17trampoline_kernelINS0_13select_configILj256ELj13ELNS0_17block_load_methodE3ELS4_3ELS4_3ELNS0_20block_scan_algorithmE0ELj4294967295EEENS1_25partition_config_selectorILNS1_17partition_subalgoE4EjNS0_10empty_typeEbEEZZNS1_14partition_implILS8_4ELb0ES6_15HIP_vector_typeIjLj2EENS0_17counting_iteratorIjlEEPS9_SG_NS0_5tupleIJPjSI_NS0_16reverse_iteratorISI_EEEEENSH_IJSG_SG_SG_EEES9_SI_JZNS1_25segmented_radix_sort_implINS0_14default_configELb1EPKiPiPKlPlN2at6native12_GLOBAL__N_18offset_tEEE10hipError_tPvRmT1_PNSt15iterator_traitsIS12_E10value_typeET2_T3_PNS13_IS18_E10value_typeET4_jRbjT5_S1E_jjP12ihipStream_tbEUljE_ZNSN_ISO_Lb1ESQ_SR_ST_SU_SY_EESZ_S10_S11_S12_S16_S17_S18_S1B_S1C_jS1D_jS1E_S1E_jjS1G_bEUljE0_EEESZ_S10_S11_S18_S1C_S1E_T6_T7_T9_mT8_S1G_bDpT10_ENKUlT_T0_E_clISt17integral_constantIbLb1EES1U_EEDaS1P_S1Q_EUlS1P_E_NS1_11comp_targetILNS1_3genE0ELNS1_11target_archE4294967295ELNS1_3gpuE0ELNS1_3repE0EEENS1_30default_config_static_selectorELNS0_4arch9wavefront6targetE1EEEvS12_: ; @_ZN7rocprim17ROCPRIM_400000_NS6detail17trampoline_kernelINS0_13select_configILj256ELj13ELNS0_17block_load_methodE3ELS4_3ELS4_3ELNS0_20block_scan_algorithmE0ELj4294967295EEENS1_25partition_config_selectorILNS1_17partition_subalgoE4EjNS0_10empty_typeEbEEZZNS1_14partition_implILS8_4ELb0ES6_15HIP_vector_typeIjLj2EENS0_17counting_iteratorIjlEEPS9_SG_NS0_5tupleIJPjSI_NS0_16reverse_iteratorISI_EEEEENSH_IJSG_SG_SG_EEES9_SI_JZNS1_25segmented_radix_sort_implINS0_14default_configELb1EPKiPiPKlPlN2at6native12_GLOBAL__N_18offset_tEEE10hipError_tPvRmT1_PNSt15iterator_traitsIS12_E10value_typeET2_T3_PNS13_IS18_E10value_typeET4_jRbjT5_S1E_jjP12ihipStream_tbEUljE_ZNSN_ISO_Lb1ESQ_SR_ST_SU_SY_EESZ_S10_S11_S12_S16_S17_S18_S1B_S1C_jS1D_jS1E_S1E_jjS1G_bEUljE0_EEESZ_S10_S11_S18_S1C_S1E_T6_T7_T9_mT8_S1G_bDpT10_ENKUlT_T0_E_clISt17integral_constantIbLb1EES1U_EEDaS1P_S1Q_EUlS1P_E_NS1_11comp_targetILNS1_3genE0ELNS1_11target_archE4294967295ELNS1_3gpuE0ELNS1_3repE0EEENS1_30default_config_static_selectorELNS0_4arch9wavefront6targetE1EEEvS12_
; %bb.0:
	.section	.rodata,"a",@progbits
	.p2align	6, 0x0
	.amdhsa_kernel _ZN7rocprim17ROCPRIM_400000_NS6detail17trampoline_kernelINS0_13select_configILj256ELj13ELNS0_17block_load_methodE3ELS4_3ELS4_3ELNS0_20block_scan_algorithmE0ELj4294967295EEENS1_25partition_config_selectorILNS1_17partition_subalgoE4EjNS0_10empty_typeEbEEZZNS1_14partition_implILS8_4ELb0ES6_15HIP_vector_typeIjLj2EENS0_17counting_iteratorIjlEEPS9_SG_NS0_5tupleIJPjSI_NS0_16reverse_iteratorISI_EEEEENSH_IJSG_SG_SG_EEES9_SI_JZNS1_25segmented_radix_sort_implINS0_14default_configELb1EPKiPiPKlPlN2at6native12_GLOBAL__N_18offset_tEEE10hipError_tPvRmT1_PNSt15iterator_traitsIS12_E10value_typeET2_T3_PNS13_IS18_E10value_typeET4_jRbjT5_S1E_jjP12ihipStream_tbEUljE_ZNSN_ISO_Lb1ESQ_SR_ST_SU_SY_EESZ_S10_S11_S12_S16_S17_S18_S1B_S1C_jS1D_jS1E_S1E_jjS1G_bEUljE0_EEESZ_S10_S11_S18_S1C_S1E_T6_T7_T9_mT8_S1G_bDpT10_ENKUlT_T0_E_clISt17integral_constantIbLb1EES1U_EEDaS1P_S1Q_EUlS1P_E_NS1_11comp_targetILNS1_3genE0ELNS1_11target_archE4294967295ELNS1_3gpuE0ELNS1_3repE0EEENS1_30default_config_static_selectorELNS0_4arch9wavefront6targetE1EEEvS12_
		.amdhsa_group_segment_fixed_size 0
		.amdhsa_private_segment_fixed_size 0
		.amdhsa_kernarg_size 184
		.amdhsa_user_sgpr_count 6
		.amdhsa_user_sgpr_private_segment_buffer 1
		.amdhsa_user_sgpr_dispatch_ptr 0
		.amdhsa_user_sgpr_queue_ptr 0
		.amdhsa_user_sgpr_kernarg_segment_ptr 1
		.amdhsa_user_sgpr_dispatch_id 0
		.amdhsa_user_sgpr_flat_scratch_init 0
		.amdhsa_user_sgpr_private_segment_size 0
		.amdhsa_uses_dynamic_stack 0
		.amdhsa_system_sgpr_private_segment_wavefront_offset 0
		.amdhsa_system_sgpr_workgroup_id_x 1
		.amdhsa_system_sgpr_workgroup_id_y 0
		.amdhsa_system_sgpr_workgroup_id_z 0
		.amdhsa_system_sgpr_workgroup_info 0
		.amdhsa_system_vgpr_workitem_id 0
		.amdhsa_next_free_vgpr 1
		.amdhsa_next_free_sgpr 0
		.amdhsa_reserve_vcc 0
		.amdhsa_reserve_flat_scratch 0
		.amdhsa_float_round_mode_32 0
		.amdhsa_float_round_mode_16_64 0
		.amdhsa_float_denorm_mode_32 3
		.amdhsa_float_denorm_mode_16_64 3
		.amdhsa_dx10_clamp 1
		.amdhsa_ieee_mode 1
		.amdhsa_fp16_overflow 0
		.amdhsa_exception_fp_ieee_invalid_op 0
		.amdhsa_exception_fp_denorm_src 0
		.amdhsa_exception_fp_ieee_div_zero 0
		.amdhsa_exception_fp_ieee_overflow 0
		.amdhsa_exception_fp_ieee_underflow 0
		.amdhsa_exception_fp_ieee_inexact 0
		.amdhsa_exception_int_div_zero 0
	.end_amdhsa_kernel
	.section	.text._ZN7rocprim17ROCPRIM_400000_NS6detail17trampoline_kernelINS0_13select_configILj256ELj13ELNS0_17block_load_methodE3ELS4_3ELS4_3ELNS0_20block_scan_algorithmE0ELj4294967295EEENS1_25partition_config_selectorILNS1_17partition_subalgoE4EjNS0_10empty_typeEbEEZZNS1_14partition_implILS8_4ELb0ES6_15HIP_vector_typeIjLj2EENS0_17counting_iteratorIjlEEPS9_SG_NS0_5tupleIJPjSI_NS0_16reverse_iteratorISI_EEEEENSH_IJSG_SG_SG_EEES9_SI_JZNS1_25segmented_radix_sort_implINS0_14default_configELb1EPKiPiPKlPlN2at6native12_GLOBAL__N_18offset_tEEE10hipError_tPvRmT1_PNSt15iterator_traitsIS12_E10value_typeET2_T3_PNS13_IS18_E10value_typeET4_jRbjT5_S1E_jjP12ihipStream_tbEUljE_ZNSN_ISO_Lb1ESQ_SR_ST_SU_SY_EESZ_S10_S11_S12_S16_S17_S18_S1B_S1C_jS1D_jS1E_S1E_jjS1G_bEUljE0_EEESZ_S10_S11_S18_S1C_S1E_T6_T7_T9_mT8_S1G_bDpT10_ENKUlT_T0_E_clISt17integral_constantIbLb1EES1U_EEDaS1P_S1Q_EUlS1P_E_NS1_11comp_targetILNS1_3genE0ELNS1_11target_archE4294967295ELNS1_3gpuE0ELNS1_3repE0EEENS1_30default_config_static_selectorELNS0_4arch9wavefront6targetE1EEEvS12_,"axG",@progbits,_ZN7rocprim17ROCPRIM_400000_NS6detail17trampoline_kernelINS0_13select_configILj256ELj13ELNS0_17block_load_methodE3ELS4_3ELS4_3ELNS0_20block_scan_algorithmE0ELj4294967295EEENS1_25partition_config_selectorILNS1_17partition_subalgoE4EjNS0_10empty_typeEbEEZZNS1_14partition_implILS8_4ELb0ES6_15HIP_vector_typeIjLj2EENS0_17counting_iteratorIjlEEPS9_SG_NS0_5tupleIJPjSI_NS0_16reverse_iteratorISI_EEEEENSH_IJSG_SG_SG_EEES9_SI_JZNS1_25segmented_radix_sort_implINS0_14default_configELb1EPKiPiPKlPlN2at6native12_GLOBAL__N_18offset_tEEE10hipError_tPvRmT1_PNSt15iterator_traitsIS12_E10value_typeET2_T3_PNS13_IS18_E10value_typeET4_jRbjT5_S1E_jjP12ihipStream_tbEUljE_ZNSN_ISO_Lb1ESQ_SR_ST_SU_SY_EESZ_S10_S11_S12_S16_S17_S18_S1B_S1C_jS1D_jS1E_S1E_jjS1G_bEUljE0_EEESZ_S10_S11_S18_S1C_S1E_T6_T7_T9_mT8_S1G_bDpT10_ENKUlT_T0_E_clISt17integral_constantIbLb1EES1U_EEDaS1P_S1Q_EUlS1P_E_NS1_11comp_targetILNS1_3genE0ELNS1_11target_archE4294967295ELNS1_3gpuE0ELNS1_3repE0EEENS1_30default_config_static_selectorELNS0_4arch9wavefront6targetE1EEEvS12_,comdat
.Lfunc_end441:
	.size	_ZN7rocprim17ROCPRIM_400000_NS6detail17trampoline_kernelINS0_13select_configILj256ELj13ELNS0_17block_load_methodE3ELS4_3ELS4_3ELNS0_20block_scan_algorithmE0ELj4294967295EEENS1_25partition_config_selectorILNS1_17partition_subalgoE4EjNS0_10empty_typeEbEEZZNS1_14partition_implILS8_4ELb0ES6_15HIP_vector_typeIjLj2EENS0_17counting_iteratorIjlEEPS9_SG_NS0_5tupleIJPjSI_NS0_16reverse_iteratorISI_EEEEENSH_IJSG_SG_SG_EEES9_SI_JZNS1_25segmented_radix_sort_implINS0_14default_configELb1EPKiPiPKlPlN2at6native12_GLOBAL__N_18offset_tEEE10hipError_tPvRmT1_PNSt15iterator_traitsIS12_E10value_typeET2_T3_PNS13_IS18_E10value_typeET4_jRbjT5_S1E_jjP12ihipStream_tbEUljE_ZNSN_ISO_Lb1ESQ_SR_ST_SU_SY_EESZ_S10_S11_S12_S16_S17_S18_S1B_S1C_jS1D_jS1E_S1E_jjS1G_bEUljE0_EEESZ_S10_S11_S18_S1C_S1E_T6_T7_T9_mT8_S1G_bDpT10_ENKUlT_T0_E_clISt17integral_constantIbLb1EES1U_EEDaS1P_S1Q_EUlS1P_E_NS1_11comp_targetILNS1_3genE0ELNS1_11target_archE4294967295ELNS1_3gpuE0ELNS1_3repE0EEENS1_30default_config_static_selectorELNS0_4arch9wavefront6targetE1EEEvS12_, .Lfunc_end441-_ZN7rocprim17ROCPRIM_400000_NS6detail17trampoline_kernelINS0_13select_configILj256ELj13ELNS0_17block_load_methodE3ELS4_3ELS4_3ELNS0_20block_scan_algorithmE0ELj4294967295EEENS1_25partition_config_selectorILNS1_17partition_subalgoE4EjNS0_10empty_typeEbEEZZNS1_14partition_implILS8_4ELb0ES6_15HIP_vector_typeIjLj2EENS0_17counting_iteratorIjlEEPS9_SG_NS0_5tupleIJPjSI_NS0_16reverse_iteratorISI_EEEEENSH_IJSG_SG_SG_EEES9_SI_JZNS1_25segmented_radix_sort_implINS0_14default_configELb1EPKiPiPKlPlN2at6native12_GLOBAL__N_18offset_tEEE10hipError_tPvRmT1_PNSt15iterator_traitsIS12_E10value_typeET2_T3_PNS13_IS18_E10value_typeET4_jRbjT5_S1E_jjP12ihipStream_tbEUljE_ZNSN_ISO_Lb1ESQ_SR_ST_SU_SY_EESZ_S10_S11_S12_S16_S17_S18_S1B_S1C_jS1D_jS1E_S1E_jjS1G_bEUljE0_EEESZ_S10_S11_S18_S1C_S1E_T6_T7_T9_mT8_S1G_bDpT10_ENKUlT_T0_E_clISt17integral_constantIbLb1EES1U_EEDaS1P_S1Q_EUlS1P_E_NS1_11comp_targetILNS1_3genE0ELNS1_11target_archE4294967295ELNS1_3gpuE0ELNS1_3repE0EEENS1_30default_config_static_selectorELNS0_4arch9wavefront6targetE1EEEvS12_
                                        ; -- End function
	.set _ZN7rocprim17ROCPRIM_400000_NS6detail17trampoline_kernelINS0_13select_configILj256ELj13ELNS0_17block_load_methodE3ELS4_3ELS4_3ELNS0_20block_scan_algorithmE0ELj4294967295EEENS1_25partition_config_selectorILNS1_17partition_subalgoE4EjNS0_10empty_typeEbEEZZNS1_14partition_implILS8_4ELb0ES6_15HIP_vector_typeIjLj2EENS0_17counting_iteratorIjlEEPS9_SG_NS0_5tupleIJPjSI_NS0_16reverse_iteratorISI_EEEEENSH_IJSG_SG_SG_EEES9_SI_JZNS1_25segmented_radix_sort_implINS0_14default_configELb1EPKiPiPKlPlN2at6native12_GLOBAL__N_18offset_tEEE10hipError_tPvRmT1_PNSt15iterator_traitsIS12_E10value_typeET2_T3_PNS13_IS18_E10value_typeET4_jRbjT5_S1E_jjP12ihipStream_tbEUljE_ZNSN_ISO_Lb1ESQ_SR_ST_SU_SY_EESZ_S10_S11_S12_S16_S17_S18_S1B_S1C_jS1D_jS1E_S1E_jjS1G_bEUljE0_EEESZ_S10_S11_S18_S1C_S1E_T6_T7_T9_mT8_S1G_bDpT10_ENKUlT_T0_E_clISt17integral_constantIbLb1EES1U_EEDaS1P_S1Q_EUlS1P_E_NS1_11comp_targetILNS1_3genE0ELNS1_11target_archE4294967295ELNS1_3gpuE0ELNS1_3repE0EEENS1_30default_config_static_selectorELNS0_4arch9wavefront6targetE1EEEvS12_.num_vgpr, 0
	.set _ZN7rocprim17ROCPRIM_400000_NS6detail17trampoline_kernelINS0_13select_configILj256ELj13ELNS0_17block_load_methodE3ELS4_3ELS4_3ELNS0_20block_scan_algorithmE0ELj4294967295EEENS1_25partition_config_selectorILNS1_17partition_subalgoE4EjNS0_10empty_typeEbEEZZNS1_14partition_implILS8_4ELb0ES6_15HIP_vector_typeIjLj2EENS0_17counting_iteratorIjlEEPS9_SG_NS0_5tupleIJPjSI_NS0_16reverse_iteratorISI_EEEEENSH_IJSG_SG_SG_EEES9_SI_JZNS1_25segmented_radix_sort_implINS0_14default_configELb1EPKiPiPKlPlN2at6native12_GLOBAL__N_18offset_tEEE10hipError_tPvRmT1_PNSt15iterator_traitsIS12_E10value_typeET2_T3_PNS13_IS18_E10value_typeET4_jRbjT5_S1E_jjP12ihipStream_tbEUljE_ZNSN_ISO_Lb1ESQ_SR_ST_SU_SY_EESZ_S10_S11_S12_S16_S17_S18_S1B_S1C_jS1D_jS1E_S1E_jjS1G_bEUljE0_EEESZ_S10_S11_S18_S1C_S1E_T6_T7_T9_mT8_S1G_bDpT10_ENKUlT_T0_E_clISt17integral_constantIbLb1EES1U_EEDaS1P_S1Q_EUlS1P_E_NS1_11comp_targetILNS1_3genE0ELNS1_11target_archE4294967295ELNS1_3gpuE0ELNS1_3repE0EEENS1_30default_config_static_selectorELNS0_4arch9wavefront6targetE1EEEvS12_.num_agpr, 0
	.set _ZN7rocprim17ROCPRIM_400000_NS6detail17trampoline_kernelINS0_13select_configILj256ELj13ELNS0_17block_load_methodE3ELS4_3ELS4_3ELNS0_20block_scan_algorithmE0ELj4294967295EEENS1_25partition_config_selectorILNS1_17partition_subalgoE4EjNS0_10empty_typeEbEEZZNS1_14partition_implILS8_4ELb0ES6_15HIP_vector_typeIjLj2EENS0_17counting_iteratorIjlEEPS9_SG_NS0_5tupleIJPjSI_NS0_16reverse_iteratorISI_EEEEENSH_IJSG_SG_SG_EEES9_SI_JZNS1_25segmented_radix_sort_implINS0_14default_configELb1EPKiPiPKlPlN2at6native12_GLOBAL__N_18offset_tEEE10hipError_tPvRmT1_PNSt15iterator_traitsIS12_E10value_typeET2_T3_PNS13_IS18_E10value_typeET4_jRbjT5_S1E_jjP12ihipStream_tbEUljE_ZNSN_ISO_Lb1ESQ_SR_ST_SU_SY_EESZ_S10_S11_S12_S16_S17_S18_S1B_S1C_jS1D_jS1E_S1E_jjS1G_bEUljE0_EEESZ_S10_S11_S18_S1C_S1E_T6_T7_T9_mT8_S1G_bDpT10_ENKUlT_T0_E_clISt17integral_constantIbLb1EES1U_EEDaS1P_S1Q_EUlS1P_E_NS1_11comp_targetILNS1_3genE0ELNS1_11target_archE4294967295ELNS1_3gpuE0ELNS1_3repE0EEENS1_30default_config_static_selectorELNS0_4arch9wavefront6targetE1EEEvS12_.numbered_sgpr, 0
	.set _ZN7rocprim17ROCPRIM_400000_NS6detail17trampoline_kernelINS0_13select_configILj256ELj13ELNS0_17block_load_methodE3ELS4_3ELS4_3ELNS0_20block_scan_algorithmE0ELj4294967295EEENS1_25partition_config_selectorILNS1_17partition_subalgoE4EjNS0_10empty_typeEbEEZZNS1_14partition_implILS8_4ELb0ES6_15HIP_vector_typeIjLj2EENS0_17counting_iteratorIjlEEPS9_SG_NS0_5tupleIJPjSI_NS0_16reverse_iteratorISI_EEEEENSH_IJSG_SG_SG_EEES9_SI_JZNS1_25segmented_radix_sort_implINS0_14default_configELb1EPKiPiPKlPlN2at6native12_GLOBAL__N_18offset_tEEE10hipError_tPvRmT1_PNSt15iterator_traitsIS12_E10value_typeET2_T3_PNS13_IS18_E10value_typeET4_jRbjT5_S1E_jjP12ihipStream_tbEUljE_ZNSN_ISO_Lb1ESQ_SR_ST_SU_SY_EESZ_S10_S11_S12_S16_S17_S18_S1B_S1C_jS1D_jS1E_S1E_jjS1G_bEUljE0_EEESZ_S10_S11_S18_S1C_S1E_T6_T7_T9_mT8_S1G_bDpT10_ENKUlT_T0_E_clISt17integral_constantIbLb1EES1U_EEDaS1P_S1Q_EUlS1P_E_NS1_11comp_targetILNS1_3genE0ELNS1_11target_archE4294967295ELNS1_3gpuE0ELNS1_3repE0EEENS1_30default_config_static_selectorELNS0_4arch9wavefront6targetE1EEEvS12_.num_named_barrier, 0
	.set _ZN7rocprim17ROCPRIM_400000_NS6detail17trampoline_kernelINS0_13select_configILj256ELj13ELNS0_17block_load_methodE3ELS4_3ELS4_3ELNS0_20block_scan_algorithmE0ELj4294967295EEENS1_25partition_config_selectorILNS1_17partition_subalgoE4EjNS0_10empty_typeEbEEZZNS1_14partition_implILS8_4ELb0ES6_15HIP_vector_typeIjLj2EENS0_17counting_iteratorIjlEEPS9_SG_NS0_5tupleIJPjSI_NS0_16reverse_iteratorISI_EEEEENSH_IJSG_SG_SG_EEES9_SI_JZNS1_25segmented_radix_sort_implINS0_14default_configELb1EPKiPiPKlPlN2at6native12_GLOBAL__N_18offset_tEEE10hipError_tPvRmT1_PNSt15iterator_traitsIS12_E10value_typeET2_T3_PNS13_IS18_E10value_typeET4_jRbjT5_S1E_jjP12ihipStream_tbEUljE_ZNSN_ISO_Lb1ESQ_SR_ST_SU_SY_EESZ_S10_S11_S12_S16_S17_S18_S1B_S1C_jS1D_jS1E_S1E_jjS1G_bEUljE0_EEESZ_S10_S11_S18_S1C_S1E_T6_T7_T9_mT8_S1G_bDpT10_ENKUlT_T0_E_clISt17integral_constantIbLb1EES1U_EEDaS1P_S1Q_EUlS1P_E_NS1_11comp_targetILNS1_3genE0ELNS1_11target_archE4294967295ELNS1_3gpuE0ELNS1_3repE0EEENS1_30default_config_static_selectorELNS0_4arch9wavefront6targetE1EEEvS12_.private_seg_size, 0
	.set _ZN7rocprim17ROCPRIM_400000_NS6detail17trampoline_kernelINS0_13select_configILj256ELj13ELNS0_17block_load_methodE3ELS4_3ELS4_3ELNS0_20block_scan_algorithmE0ELj4294967295EEENS1_25partition_config_selectorILNS1_17partition_subalgoE4EjNS0_10empty_typeEbEEZZNS1_14partition_implILS8_4ELb0ES6_15HIP_vector_typeIjLj2EENS0_17counting_iteratorIjlEEPS9_SG_NS0_5tupleIJPjSI_NS0_16reverse_iteratorISI_EEEEENSH_IJSG_SG_SG_EEES9_SI_JZNS1_25segmented_radix_sort_implINS0_14default_configELb1EPKiPiPKlPlN2at6native12_GLOBAL__N_18offset_tEEE10hipError_tPvRmT1_PNSt15iterator_traitsIS12_E10value_typeET2_T3_PNS13_IS18_E10value_typeET4_jRbjT5_S1E_jjP12ihipStream_tbEUljE_ZNSN_ISO_Lb1ESQ_SR_ST_SU_SY_EESZ_S10_S11_S12_S16_S17_S18_S1B_S1C_jS1D_jS1E_S1E_jjS1G_bEUljE0_EEESZ_S10_S11_S18_S1C_S1E_T6_T7_T9_mT8_S1G_bDpT10_ENKUlT_T0_E_clISt17integral_constantIbLb1EES1U_EEDaS1P_S1Q_EUlS1P_E_NS1_11comp_targetILNS1_3genE0ELNS1_11target_archE4294967295ELNS1_3gpuE0ELNS1_3repE0EEENS1_30default_config_static_selectorELNS0_4arch9wavefront6targetE1EEEvS12_.uses_vcc, 0
	.set _ZN7rocprim17ROCPRIM_400000_NS6detail17trampoline_kernelINS0_13select_configILj256ELj13ELNS0_17block_load_methodE3ELS4_3ELS4_3ELNS0_20block_scan_algorithmE0ELj4294967295EEENS1_25partition_config_selectorILNS1_17partition_subalgoE4EjNS0_10empty_typeEbEEZZNS1_14partition_implILS8_4ELb0ES6_15HIP_vector_typeIjLj2EENS0_17counting_iteratorIjlEEPS9_SG_NS0_5tupleIJPjSI_NS0_16reverse_iteratorISI_EEEEENSH_IJSG_SG_SG_EEES9_SI_JZNS1_25segmented_radix_sort_implINS0_14default_configELb1EPKiPiPKlPlN2at6native12_GLOBAL__N_18offset_tEEE10hipError_tPvRmT1_PNSt15iterator_traitsIS12_E10value_typeET2_T3_PNS13_IS18_E10value_typeET4_jRbjT5_S1E_jjP12ihipStream_tbEUljE_ZNSN_ISO_Lb1ESQ_SR_ST_SU_SY_EESZ_S10_S11_S12_S16_S17_S18_S1B_S1C_jS1D_jS1E_S1E_jjS1G_bEUljE0_EEESZ_S10_S11_S18_S1C_S1E_T6_T7_T9_mT8_S1G_bDpT10_ENKUlT_T0_E_clISt17integral_constantIbLb1EES1U_EEDaS1P_S1Q_EUlS1P_E_NS1_11comp_targetILNS1_3genE0ELNS1_11target_archE4294967295ELNS1_3gpuE0ELNS1_3repE0EEENS1_30default_config_static_selectorELNS0_4arch9wavefront6targetE1EEEvS12_.uses_flat_scratch, 0
	.set _ZN7rocprim17ROCPRIM_400000_NS6detail17trampoline_kernelINS0_13select_configILj256ELj13ELNS0_17block_load_methodE3ELS4_3ELS4_3ELNS0_20block_scan_algorithmE0ELj4294967295EEENS1_25partition_config_selectorILNS1_17partition_subalgoE4EjNS0_10empty_typeEbEEZZNS1_14partition_implILS8_4ELb0ES6_15HIP_vector_typeIjLj2EENS0_17counting_iteratorIjlEEPS9_SG_NS0_5tupleIJPjSI_NS0_16reverse_iteratorISI_EEEEENSH_IJSG_SG_SG_EEES9_SI_JZNS1_25segmented_radix_sort_implINS0_14default_configELb1EPKiPiPKlPlN2at6native12_GLOBAL__N_18offset_tEEE10hipError_tPvRmT1_PNSt15iterator_traitsIS12_E10value_typeET2_T3_PNS13_IS18_E10value_typeET4_jRbjT5_S1E_jjP12ihipStream_tbEUljE_ZNSN_ISO_Lb1ESQ_SR_ST_SU_SY_EESZ_S10_S11_S12_S16_S17_S18_S1B_S1C_jS1D_jS1E_S1E_jjS1G_bEUljE0_EEESZ_S10_S11_S18_S1C_S1E_T6_T7_T9_mT8_S1G_bDpT10_ENKUlT_T0_E_clISt17integral_constantIbLb1EES1U_EEDaS1P_S1Q_EUlS1P_E_NS1_11comp_targetILNS1_3genE0ELNS1_11target_archE4294967295ELNS1_3gpuE0ELNS1_3repE0EEENS1_30default_config_static_selectorELNS0_4arch9wavefront6targetE1EEEvS12_.has_dyn_sized_stack, 0
	.set _ZN7rocprim17ROCPRIM_400000_NS6detail17trampoline_kernelINS0_13select_configILj256ELj13ELNS0_17block_load_methodE3ELS4_3ELS4_3ELNS0_20block_scan_algorithmE0ELj4294967295EEENS1_25partition_config_selectorILNS1_17partition_subalgoE4EjNS0_10empty_typeEbEEZZNS1_14partition_implILS8_4ELb0ES6_15HIP_vector_typeIjLj2EENS0_17counting_iteratorIjlEEPS9_SG_NS0_5tupleIJPjSI_NS0_16reverse_iteratorISI_EEEEENSH_IJSG_SG_SG_EEES9_SI_JZNS1_25segmented_radix_sort_implINS0_14default_configELb1EPKiPiPKlPlN2at6native12_GLOBAL__N_18offset_tEEE10hipError_tPvRmT1_PNSt15iterator_traitsIS12_E10value_typeET2_T3_PNS13_IS18_E10value_typeET4_jRbjT5_S1E_jjP12ihipStream_tbEUljE_ZNSN_ISO_Lb1ESQ_SR_ST_SU_SY_EESZ_S10_S11_S12_S16_S17_S18_S1B_S1C_jS1D_jS1E_S1E_jjS1G_bEUljE0_EEESZ_S10_S11_S18_S1C_S1E_T6_T7_T9_mT8_S1G_bDpT10_ENKUlT_T0_E_clISt17integral_constantIbLb1EES1U_EEDaS1P_S1Q_EUlS1P_E_NS1_11comp_targetILNS1_3genE0ELNS1_11target_archE4294967295ELNS1_3gpuE0ELNS1_3repE0EEENS1_30default_config_static_selectorELNS0_4arch9wavefront6targetE1EEEvS12_.has_recursion, 0
	.set _ZN7rocprim17ROCPRIM_400000_NS6detail17trampoline_kernelINS0_13select_configILj256ELj13ELNS0_17block_load_methodE3ELS4_3ELS4_3ELNS0_20block_scan_algorithmE0ELj4294967295EEENS1_25partition_config_selectorILNS1_17partition_subalgoE4EjNS0_10empty_typeEbEEZZNS1_14partition_implILS8_4ELb0ES6_15HIP_vector_typeIjLj2EENS0_17counting_iteratorIjlEEPS9_SG_NS0_5tupleIJPjSI_NS0_16reverse_iteratorISI_EEEEENSH_IJSG_SG_SG_EEES9_SI_JZNS1_25segmented_radix_sort_implINS0_14default_configELb1EPKiPiPKlPlN2at6native12_GLOBAL__N_18offset_tEEE10hipError_tPvRmT1_PNSt15iterator_traitsIS12_E10value_typeET2_T3_PNS13_IS18_E10value_typeET4_jRbjT5_S1E_jjP12ihipStream_tbEUljE_ZNSN_ISO_Lb1ESQ_SR_ST_SU_SY_EESZ_S10_S11_S12_S16_S17_S18_S1B_S1C_jS1D_jS1E_S1E_jjS1G_bEUljE0_EEESZ_S10_S11_S18_S1C_S1E_T6_T7_T9_mT8_S1G_bDpT10_ENKUlT_T0_E_clISt17integral_constantIbLb1EES1U_EEDaS1P_S1Q_EUlS1P_E_NS1_11comp_targetILNS1_3genE0ELNS1_11target_archE4294967295ELNS1_3gpuE0ELNS1_3repE0EEENS1_30default_config_static_selectorELNS0_4arch9wavefront6targetE1EEEvS12_.has_indirect_call, 0
	.section	.AMDGPU.csdata,"",@progbits
; Kernel info:
; codeLenInByte = 0
; TotalNumSgprs: 4
; NumVgprs: 0
; ScratchSize: 0
; MemoryBound: 0
; FloatMode: 240
; IeeeMode: 1
; LDSByteSize: 0 bytes/workgroup (compile time only)
; SGPRBlocks: 0
; VGPRBlocks: 0
; NumSGPRsForWavesPerEU: 4
; NumVGPRsForWavesPerEU: 1
; Occupancy: 10
; WaveLimiterHint : 0
; COMPUTE_PGM_RSRC2:SCRATCH_EN: 0
; COMPUTE_PGM_RSRC2:USER_SGPR: 6
; COMPUTE_PGM_RSRC2:TRAP_HANDLER: 0
; COMPUTE_PGM_RSRC2:TGID_X_EN: 1
; COMPUTE_PGM_RSRC2:TGID_Y_EN: 0
; COMPUTE_PGM_RSRC2:TGID_Z_EN: 0
; COMPUTE_PGM_RSRC2:TIDIG_COMP_CNT: 0
	.section	.text._ZN7rocprim17ROCPRIM_400000_NS6detail17trampoline_kernelINS0_13select_configILj256ELj13ELNS0_17block_load_methodE3ELS4_3ELS4_3ELNS0_20block_scan_algorithmE0ELj4294967295EEENS1_25partition_config_selectorILNS1_17partition_subalgoE4EjNS0_10empty_typeEbEEZZNS1_14partition_implILS8_4ELb0ES6_15HIP_vector_typeIjLj2EENS0_17counting_iteratorIjlEEPS9_SG_NS0_5tupleIJPjSI_NS0_16reverse_iteratorISI_EEEEENSH_IJSG_SG_SG_EEES9_SI_JZNS1_25segmented_radix_sort_implINS0_14default_configELb1EPKiPiPKlPlN2at6native12_GLOBAL__N_18offset_tEEE10hipError_tPvRmT1_PNSt15iterator_traitsIS12_E10value_typeET2_T3_PNS13_IS18_E10value_typeET4_jRbjT5_S1E_jjP12ihipStream_tbEUljE_ZNSN_ISO_Lb1ESQ_SR_ST_SU_SY_EESZ_S10_S11_S12_S16_S17_S18_S1B_S1C_jS1D_jS1E_S1E_jjS1G_bEUljE0_EEESZ_S10_S11_S18_S1C_S1E_T6_T7_T9_mT8_S1G_bDpT10_ENKUlT_T0_E_clISt17integral_constantIbLb1EES1U_EEDaS1P_S1Q_EUlS1P_E_NS1_11comp_targetILNS1_3genE5ELNS1_11target_archE942ELNS1_3gpuE9ELNS1_3repE0EEENS1_30default_config_static_selectorELNS0_4arch9wavefront6targetE1EEEvS12_,"axG",@progbits,_ZN7rocprim17ROCPRIM_400000_NS6detail17trampoline_kernelINS0_13select_configILj256ELj13ELNS0_17block_load_methodE3ELS4_3ELS4_3ELNS0_20block_scan_algorithmE0ELj4294967295EEENS1_25partition_config_selectorILNS1_17partition_subalgoE4EjNS0_10empty_typeEbEEZZNS1_14partition_implILS8_4ELb0ES6_15HIP_vector_typeIjLj2EENS0_17counting_iteratorIjlEEPS9_SG_NS0_5tupleIJPjSI_NS0_16reverse_iteratorISI_EEEEENSH_IJSG_SG_SG_EEES9_SI_JZNS1_25segmented_radix_sort_implINS0_14default_configELb1EPKiPiPKlPlN2at6native12_GLOBAL__N_18offset_tEEE10hipError_tPvRmT1_PNSt15iterator_traitsIS12_E10value_typeET2_T3_PNS13_IS18_E10value_typeET4_jRbjT5_S1E_jjP12ihipStream_tbEUljE_ZNSN_ISO_Lb1ESQ_SR_ST_SU_SY_EESZ_S10_S11_S12_S16_S17_S18_S1B_S1C_jS1D_jS1E_S1E_jjS1G_bEUljE0_EEESZ_S10_S11_S18_S1C_S1E_T6_T7_T9_mT8_S1G_bDpT10_ENKUlT_T0_E_clISt17integral_constantIbLb1EES1U_EEDaS1P_S1Q_EUlS1P_E_NS1_11comp_targetILNS1_3genE5ELNS1_11target_archE942ELNS1_3gpuE9ELNS1_3repE0EEENS1_30default_config_static_selectorELNS0_4arch9wavefront6targetE1EEEvS12_,comdat
	.globl	_ZN7rocprim17ROCPRIM_400000_NS6detail17trampoline_kernelINS0_13select_configILj256ELj13ELNS0_17block_load_methodE3ELS4_3ELS4_3ELNS0_20block_scan_algorithmE0ELj4294967295EEENS1_25partition_config_selectorILNS1_17partition_subalgoE4EjNS0_10empty_typeEbEEZZNS1_14partition_implILS8_4ELb0ES6_15HIP_vector_typeIjLj2EENS0_17counting_iteratorIjlEEPS9_SG_NS0_5tupleIJPjSI_NS0_16reverse_iteratorISI_EEEEENSH_IJSG_SG_SG_EEES9_SI_JZNS1_25segmented_radix_sort_implINS0_14default_configELb1EPKiPiPKlPlN2at6native12_GLOBAL__N_18offset_tEEE10hipError_tPvRmT1_PNSt15iterator_traitsIS12_E10value_typeET2_T3_PNS13_IS18_E10value_typeET4_jRbjT5_S1E_jjP12ihipStream_tbEUljE_ZNSN_ISO_Lb1ESQ_SR_ST_SU_SY_EESZ_S10_S11_S12_S16_S17_S18_S1B_S1C_jS1D_jS1E_S1E_jjS1G_bEUljE0_EEESZ_S10_S11_S18_S1C_S1E_T6_T7_T9_mT8_S1G_bDpT10_ENKUlT_T0_E_clISt17integral_constantIbLb1EES1U_EEDaS1P_S1Q_EUlS1P_E_NS1_11comp_targetILNS1_3genE5ELNS1_11target_archE942ELNS1_3gpuE9ELNS1_3repE0EEENS1_30default_config_static_selectorELNS0_4arch9wavefront6targetE1EEEvS12_ ; -- Begin function _ZN7rocprim17ROCPRIM_400000_NS6detail17trampoline_kernelINS0_13select_configILj256ELj13ELNS0_17block_load_methodE3ELS4_3ELS4_3ELNS0_20block_scan_algorithmE0ELj4294967295EEENS1_25partition_config_selectorILNS1_17partition_subalgoE4EjNS0_10empty_typeEbEEZZNS1_14partition_implILS8_4ELb0ES6_15HIP_vector_typeIjLj2EENS0_17counting_iteratorIjlEEPS9_SG_NS0_5tupleIJPjSI_NS0_16reverse_iteratorISI_EEEEENSH_IJSG_SG_SG_EEES9_SI_JZNS1_25segmented_radix_sort_implINS0_14default_configELb1EPKiPiPKlPlN2at6native12_GLOBAL__N_18offset_tEEE10hipError_tPvRmT1_PNSt15iterator_traitsIS12_E10value_typeET2_T3_PNS13_IS18_E10value_typeET4_jRbjT5_S1E_jjP12ihipStream_tbEUljE_ZNSN_ISO_Lb1ESQ_SR_ST_SU_SY_EESZ_S10_S11_S12_S16_S17_S18_S1B_S1C_jS1D_jS1E_S1E_jjS1G_bEUljE0_EEESZ_S10_S11_S18_S1C_S1E_T6_T7_T9_mT8_S1G_bDpT10_ENKUlT_T0_E_clISt17integral_constantIbLb1EES1U_EEDaS1P_S1Q_EUlS1P_E_NS1_11comp_targetILNS1_3genE5ELNS1_11target_archE942ELNS1_3gpuE9ELNS1_3repE0EEENS1_30default_config_static_selectorELNS0_4arch9wavefront6targetE1EEEvS12_
	.p2align	8
	.type	_ZN7rocprim17ROCPRIM_400000_NS6detail17trampoline_kernelINS0_13select_configILj256ELj13ELNS0_17block_load_methodE3ELS4_3ELS4_3ELNS0_20block_scan_algorithmE0ELj4294967295EEENS1_25partition_config_selectorILNS1_17partition_subalgoE4EjNS0_10empty_typeEbEEZZNS1_14partition_implILS8_4ELb0ES6_15HIP_vector_typeIjLj2EENS0_17counting_iteratorIjlEEPS9_SG_NS0_5tupleIJPjSI_NS0_16reverse_iteratorISI_EEEEENSH_IJSG_SG_SG_EEES9_SI_JZNS1_25segmented_radix_sort_implINS0_14default_configELb1EPKiPiPKlPlN2at6native12_GLOBAL__N_18offset_tEEE10hipError_tPvRmT1_PNSt15iterator_traitsIS12_E10value_typeET2_T3_PNS13_IS18_E10value_typeET4_jRbjT5_S1E_jjP12ihipStream_tbEUljE_ZNSN_ISO_Lb1ESQ_SR_ST_SU_SY_EESZ_S10_S11_S12_S16_S17_S18_S1B_S1C_jS1D_jS1E_S1E_jjS1G_bEUljE0_EEESZ_S10_S11_S18_S1C_S1E_T6_T7_T9_mT8_S1G_bDpT10_ENKUlT_T0_E_clISt17integral_constantIbLb1EES1U_EEDaS1P_S1Q_EUlS1P_E_NS1_11comp_targetILNS1_3genE5ELNS1_11target_archE942ELNS1_3gpuE9ELNS1_3repE0EEENS1_30default_config_static_selectorELNS0_4arch9wavefront6targetE1EEEvS12_,@function
_ZN7rocprim17ROCPRIM_400000_NS6detail17trampoline_kernelINS0_13select_configILj256ELj13ELNS0_17block_load_methodE3ELS4_3ELS4_3ELNS0_20block_scan_algorithmE0ELj4294967295EEENS1_25partition_config_selectorILNS1_17partition_subalgoE4EjNS0_10empty_typeEbEEZZNS1_14partition_implILS8_4ELb0ES6_15HIP_vector_typeIjLj2EENS0_17counting_iteratorIjlEEPS9_SG_NS0_5tupleIJPjSI_NS0_16reverse_iteratorISI_EEEEENSH_IJSG_SG_SG_EEES9_SI_JZNS1_25segmented_radix_sort_implINS0_14default_configELb1EPKiPiPKlPlN2at6native12_GLOBAL__N_18offset_tEEE10hipError_tPvRmT1_PNSt15iterator_traitsIS12_E10value_typeET2_T3_PNS13_IS18_E10value_typeET4_jRbjT5_S1E_jjP12ihipStream_tbEUljE_ZNSN_ISO_Lb1ESQ_SR_ST_SU_SY_EESZ_S10_S11_S12_S16_S17_S18_S1B_S1C_jS1D_jS1E_S1E_jjS1G_bEUljE0_EEESZ_S10_S11_S18_S1C_S1E_T6_T7_T9_mT8_S1G_bDpT10_ENKUlT_T0_E_clISt17integral_constantIbLb1EES1U_EEDaS1P_S1Q_EUlS1P_E_NS1_11comp_targetILNS1_3genE5ELNS1_11target_archE942ELNS1_3gpuE9ELNS1_3repE0EEENS1_30default_config_static_selectorELNS0_4arch9wavefront6targetE1EEEvS12_: ; @_ZN7rocprim17ROCPRIM_400000_NS6detail17trampoline_kernelINS0_13select_configILj256ELj13ELNS0_17block_load_methodE3ELS4_3ELS4_3ELNS0_20block_scan_algorithmE0ELj4294967295EEENS1_25partition_config_selectorILNS1_17partition_subalgoE4EjNS0_10empty_typeEbEEZZNS1_14partition_implILS8_4ELb0ES6_15HIP_vector_typeIjLj2EENS0_17counting_iteratorIjlEEPS9_SG_NS0_5tupleIJPjSI_NS0_16reverse_iteratorISI_EEEEENSH_IJSG_SG_SG_EEES9_SI_JZNS1_25segmented_radix_sort_implINS0_14default_configELb1EPKiPiPKlPlN2at6native12_GLOBAL__N_18offset_tEEE10hipError_tPvRmT1_PNSt15iterator_traitsIS12_E10value_typeET2_T3_PNS13_IS18_E10value_typeET4_jRbjT5_S1E_jjP12ihipStream_tbEUljE_ZNSN_ISO_Lb1ESQ_SR_ST_SU_SY_EESZ_S10_S11_S12_S16_S17_S18_S1B_S1C_jS1D_jS1E_S1E_jjS1G_bEUljE0_EEESZ_S10_S11_S18_S1C_S1E_T6_T7_T9_mT8_S1G_bDpT10_ENKUlT_T0_E_clISt17integral_constantIbLb1EES1U_EEDaS1P_S1Q_EUlS1P_E_NS1_11comp_targetILNS1_3genE5ELNS1_11target_archE942ELNS1_3gpuE9ELNS1_3repE0EEENS1_30default_config_static_selectorELNS0_4arch9wavefront6targetE1EEEvS12_
; %bb.0:
	.section	.rodata,"a",@progbits
	.p2align	6, 0x0
	.amdhsa_kernel _ZN7rocprim17ROCPRIM_400000_NS6detail17trampoline_kernelINS0_13select_configILj256ELj13ELNS0_17block_load_methodE3ELS4_3ELS4_3ELNS0_20block_scan_algorithmE0ELj4294967295EEENS1_25partition_config_selectorILNS1_17partition_subalgoE4EjNS0_10empty_typeEbEEZZNS1_14partition_implILS8_4ELb0ES6_15HIP_vector_typeIjLj2EENS0_17counting_iteratorIjlEEPS9_SG_NS0_5tupleIJPjSI_NS0_16reverse_iteratorISI_EEEEENSH_IJSG_SG_SG_EEES9_SI_JZNS1_25segmented_radix_sort_implINS0_14default_configELb1EPKiPiPKlPlN2at6native12_GLOBAL__N_18offset_tEEE10hipError_tPvRmT1_PNSt15iterator_traitsIS12_E10value_typeET2_T3_PNS13_IS18_E10value_typeET4_jRbjT5_S1E_jjP12ihipStream_tbEUljE_ZNSN_ISO_Lb1ESQ_SR_ST_SU_SY_EESZ_S10_S11_S12_S16_S17_S18_S1B_S1C_jS1D_jS1E_S1E_jjS1G_bEUljE0_EEESZ_S10_S11_S18_S1C_S1E_T6_T7_T9_mT8_S1G_bDpT10_ENKUlT_T0_E_clISt17integral_constantIbLb1EES1U_EEDaS1P_S1Q_EUlS1P_E_NS1_11comp_targetILNS1_3genE5ELNS1_11target_archE942ELNS1_3gpuE9ELNS1_3repE0EEENS1_30default_config_static_selectorELNS0_4arch9wavefront6targetE1EEEvS12_
		.amdhsa_group_segment_fixed_size 0
		.amdhsa_private_segment_fixed_size 0
		.amdhsa_kernarg_size 184
		.amdhsa_user_sgpr_count 6
		.amdhsa_user_sgpr_private_segment_buffer 1
		.amdhsa_user_sgpr_dispatch_ptr 0
		.amdhsa_user_sgpr_queue_ptr 0
		.amdhsa_user_sgpr_kernarg_segment_ptr 1
		.amdhsa_user_sgpr_dispatch_id 0
		.amdhsa_user_sgpr_flat_scratch_init 0
		.amdhsa_user_sgpr_private_segment_size 0
		.amdhsa_uses_dynamic_stack 0
		.amdhsa_system_sgpr_private_segment_wavefront_offset 0
		.amdhsa_system_sgpr_workgroup_id_x 1
		.amdhsa_system_sgpr_workgroup_id_y 0
		.amdhsa_system_sgpr_workgroup_id_z 0
		.amdhsa_system_sgpr_workgroup_info 0
		.amdhsa_system_vgpr_workitem_id 0
		.amdhsa_next_free_vgpr 1
		.amdhsa_next_free_sgpr 0
		.amdhsa_reserve_vcc 0
		.amdhsa_reserve_flat_scratch 0
		.amdhsa_float_round_mode_32 0
		.amdhsa_float_round_mode_16_64 0
		.amdhsa_float_denorm_mode_32 3
		.amdhsa_float_denorm_mode_16_64 3
		.amdhsa_dx10_clamp 1
		.amdhsa_ieee_mode 1
		.amdhsa_fp16_overflow 0
		.amdhsa_exception_fp_ieee_invalid_op 0
		.amdhsa_exception_fp_denorm_src 0
		.amdhsa_exception_fp_ieee_div_zero 0
		.amdhsa_exception_fp_ieee_overflow 0
		.amdhsa_exception_fp_ieee_underflow 0
		.amdhsa_exception_fp_ieee_inexact 0
		.amdhsa_exception_int_div_zero 0
	.end_amdhsa_kernel
	.section	.text._ZN7rocprim17ROCPRIM_400000_NS6detail17trampoline_kernelINS0_13select_configILj256ELj13ELNS0_17block_load_methodE3ELS4_3ELS4_3ELNS0_20block_scan_algorithmE0ELj4294967295EEENS1_25partition_config_selectorILNS1_17partition_subalgoE4EjNS0_10empty_typeEbEEZZNS1_14partition_implILS8_4ELb0ES6_15HIP_vector_typeIjLj2EENS0_17counting_iteratorIjlEEPS9_SG_NS0_5tupleIJPjSI_NS0_16reverse_iteratorISI_EEEEENSH_IJSG_SG_SG_EEES9_SI_JZNS1_25segmented_radix_sort_implINS0_14default_configELb1EPKiPiPKlPlN2at6native12_GLOBAL__N_18offset_tEEE10hipError_tPvRmT1_PNSt15iterator_traitsIS12_E10value_typeET2_T3_PNS13_IS18_E10value_typeET4_jRbjT5_S1E_jjP12ihipStream_tbEUljE_ZNSN_ISO_Lb1ESQ_SR_ST_SU_SY_EESZ_S10_S11_S12_S16_S17_S18_S1B_S1C_jS1D_jS1E_S1E_jjS1G_bEUljE0_EEESZ_S10_S11_S18_S1C_S1E_T6_T7_T9_mT8_S1G_bDpT10_ENKUlT_T0_E_clISt17integral_constantIbLb1EES1U_EEDaS1P_S1Q_EUlS1P_E_NS1_11comp_targetILNS1_3genE5ELNS1_11target_archE942ELNS1_3gpuE9ELNS1_3repE0EEENS1_30default_config_static_selectorELNS0_4arch9wavefront6targetE1EEEvS12_,"axG",@progbits,_ZN7rocprim17ROCPRIM_400000_NS6detail17trampoline_kernelINS0_13select_configILj256ELj13ELNS0_17block_load_methodE3ELS4_3ELS4_3ELNS0_20block_scan_algorithmE0ELj4294967295EEENS1_25partition_config_selectorILNS1_17partition_subalgoE4EjNS0_10empty_typeEbEEZZNS1_14partition_implILS8_4ELb0ES6_15HIP_vector_typeIjLj2EENS0_17counting_iteratorIjlEEPS9_SG_NS0_5tupleIJPjSI_NS0_16reverse_iteratorISI_EEEEENSH_IJSG_SG_SG_EEES9_SI_JZNS1_25segmented_radix_sort_implINS0_14default_configELb1EPKiPiPKlPlN2at6native12_GLOBAL__N_18offset_tEEE10hipError_tPvRmT1_PNSt15iterator_traitsIS12_E10value_typeET2_T3_PNS13_IS18_E10value_typeET4_jRbjT5_S1E_jjP12ihipStream_tbEUljE_ZNSN_ISO_Lb1ESQ_SR_ST_SU_SY_EESZ_S10_S11_S12_S16_S17_S18_S1B_S1C_jS1D_jS1E_S1E_jjS1G_bEUljE0_EEESZ_S10_S11_S18_S1C_S1E_T6_T7_T9_mT8_S1G_bDpT10_ENKUlT_T0_E_clISt17integral_constantIbLb1EES1U_EEDaS1P_S1Q_EUlS1P_E_NS1_11comp_targetILNS1_3genE5ELNS1_11target_archE942ELNS1_3gpuE9ELNS1_3repE0EEENS1_30default_config_static_selectorELNS0_4arch9wavefront6targetE1EEEvS12_,comdat
.Lfunc_end442:
	.size	_ZN7rocprim17ROCPRIM_400000_NS6detail17trampoline_kernelINS0_13select_configILj256ELj13ELNS0_17block_load_methodE3ELS4_3ELS4_3ELNS0_20block_scan_algorithmE0ELj4294967295EEENS1_25partition_config_selectorILNS1_17partition_subalgoE4EjNS0_10empty_typeEbEEZZNS1_14partition_implILS8_4ELb0ES6_15HIP_vector_typeIjLj2EENS0_17counting_iteratorIjlEEPS9_SG_NS0_5tupleIJPjSI_NS0_16reverse_iteratorISI_EEEEENSH_IJSG_SG_SG_EEES9_SI_JZNS1_25segmented_radix_sort_implINS0_14default_configELb1EPKiPiPKlPlN2at6native12_GLOBAL__N_18offset_tEEE10hipError_tPvRmT1_PNSt15iterator_traitsIS12_E10value_typeET2_T3_PNS13_IS18_E10value_typeET4_jRbjT5_S1E_jjP12ihipStream_tbEUljE_ZNSN_ISO_Lb1ESQ_SR_ST_SU_SY_EESZ_S10_S11_S12_S16_S17_S18_S1B_S1C_jS1D_jS1E_S1E_jjS1G_bEUljE0_EEESZ_S10_S11_S18_S1C_S1E_T6_T7_T9_mT8_S1G_bDpT10_ENKUlT_T0_E_clISt17integral_constantIbLb1EES1U_EEDaS1P_S1Q_EUlS1P_E_NS1_11comp_targetILNS1_3genE5ELNS1_11target_archE942ELNS1_3gpuE9ELNS1_3repE0EEENS1_30default_config_static_selectorELNS0_4arch9wavefront6targetE1EEEvS12_, .Lfunc_end442-_ZN7rocprim17ROCPRIM_400000_NS6detail17trampoline_kernelINS0_13select_configILj256ELj13ELNS0_17block_load_methodE3ELS4_3ELS4_3ELNS0_20block_scan_algorithmE0ELj4294967295EEENS1_25partition_config_selectorILNS1_17partition_subalgoE4EjNS0_10empty_typeEbEEZZNS1_14partition_implILS8_4ELb0ES6_15HIP_vector_typeIjLj2EENS0_17counting_iteratorIjlEEPS9_SG_NS0_5tupleIJPjSI_NS0_16reverse_iteratorISI_EEEEENSH_IJSG_SG_SG_EEES9_SI_JZNS1_25segmented_radix_sort_implINS0_14default_configELb1EPKiPiPKlPlN2at6native12_GLOBAL__N_18offset_tEEE10hipError_tPvRmT1_PNSt15iterator_traitsIS12_E10value_typeET2_T3_PNS13_IS18_E10value_typeET4_jRbjT5_S1E_jjP12ihipStream_tbEUljE_ZNSN_ISO_Lb1ESQ_SR_ST_SU_SY_EESZ_S10_S11_S12_S16_S17_S18_S1B_S1C_jS1D_jS1E_S1E_jjS1G_bEUljE0_EEESZ_S10_S11_S18_S1C_S1E_T6_T7_T9_mT8_S1G_bDpT10_ENKUlT_T0_E_clISt17integral_constantIbLb1EES1U_EEDaS1P_S1Q_EUlS1P_E_NS1_11comp_targetILNS1_3genE5ELNS1_11target_archE942ELNS1_3gpuE9ELNS1_3repE0EEENS1_30default_config_static_selectorELNS0_4arch9wavefront6targetE1EEEvS12_
                                        ; -- End function
	.set _ZN7rocprim17ROCPRIM_400000_NS6detail17trampoline_kernelINS0_13select_configILj256ELj13ELNS0_17block_load_methodE3ELS4_3ELS4_3ELNS0_20block_scan_algorithmE0ELj4294967295EEENS1_25partition_config_selectorILNS1_17partition_subalgoE4EjNS0_10empty_typeEbEEZZNS1_14partition_implILS8_4ELb0ES6_15HIP_vector_typeIjLj2EENS0_17counting_iteratorIjlEEPS9_SG_NS0_5tupleIJPjSI_NS0_16reverse_iteratorISI_EEEEENSH_IJSG_SG_SG_EEES9_SI_JZNS1_25segmented_radix_sort_implINS0_14default_configELb1EPKiPiPKlPlN2at6native12_GLOBAL__N_18offset_tEEE10hipError_tPvRmT1_PNSt15iterator_traitsIS12_E10value_typeET2_T3_PNS13_IS18_E10value_typeET4_jRbjT5_S1E_jjP12ihipStream_tbEUljE_ZNSN_ISO_Lb1ESQ_SR_ST_SU_SY_EESZ_S10_S11_S12_S16_S17_S18_S1B_S1C_jS1D_jS1E_S1E_jjS1G_bEUljE0_EEESZ_S10_S11_S18_S1C_S1E_T6_T7_T9_mT8_S1G_bDpT10_ENKUlT_T0_E_clISt17integral_constantIbLb1EES1U_EEDaS1P_S1Q_EUlS1P_E_NS1_11comp_targetILNS1_3genE5ELNS1_11target_archE942ELNS1_3gpuE9ELNS1_3repE0EEENS1_30default_config_static_selectorELNS0_4arch9wavefront6targetE1EEEvS12_.num_vgpr, 0
	.set _ZN7rocprim17ROCPRIM_400000_NS6detail17trampoline_kernelINS0_13select_configILj256ELj13ELNS0_17block_load_methodE3ELS4_3ELS4_3ELNS0_20block_scan_algorithmE0ELj4294967295EEENS1_25partition_config_selectorILNS1_17partition_subalgoE4EjNS0_10empty_typeEbEEZZNS1_14partition_implILS8_4ELb0ES6_15HIP_vector_typeIjLj2EENS0_17counting_iteratorIjlEEPS9_SG_NS0_5tupleIJPjSI_NS0_16reverse_iteratorISI_EEEEENSH_IJSG_SG_SG_EEES9_SI_JZNS1_25segmented_radix_sort_implINS0_14default_configELb1EPKiPiPKlPlN2at6native12_GLOBAL__N_18offset_tEEE10hipError_tPvRmT1_PNSt15iterator_traitsIS12_E10value_typeET2_T3_PNS13_IS18_E10value_typeET4_jRbjT5_S1E_jjP12ihipStream_tbEUljE_ZNSN_ISO_Lb1ESQ_SR_ST_SU_SY_EESZ_S10_S11_S12_S16_S17_S18_S1B_S1C_jS1D_jS1E_S1E_jjS1G_bEUljE0_EEESZ_S10_S11_S18_S1C_S1E_T6_T7_T9_mT8_S1G_bDpT10_ENKUlT_T0_E_clISt17integral_constantIbLb1EES1U_EEDaS1P_S1Q_EUlS1P_E_NS1_11comp_targetILNS1_3genE5ELNS1_11target_archE942ELNS1_3gpuE9ELNS1_3repE0EEENS1_30default_config_static_selectorELNS0_4arch9wavefront6targetE1EEEvS12_.num_agpr, 0
	.set _ZN7rocprim17ROCPRIM_400000_NS6detail17trampoline_kernelINS0_13select_configILj256ELj13ELNS0_17block_load_methodE3ELS4_3ELS4_3ELNS0_20block_scan_algorithmE0ELj4294967295EEENS1_25partition_config_selectorILNS1_17partition_subalgoE4EjNS0_10empty_typeEbEEZZNS1_14partition_implILS8_4ELb0ES6_15HIP_vector_typeIjLj2EENS0_17counting_iteratorIjlEEPS9_SG_NS0_5tupleIJPjSI_NS0_16reverse_iteratorISI_EEEEENSH_IJSG_SG_SG_EEES9_SI_JZNS1_25segmented_radix_sort_implINS0_14default_configELb1EPKiPiPKlPlN2at6native12_GLOBAL__N_18offset_tEEE10hipError_tPvRmT1_PNSt15iterator_traitsIS12_E10value_typeET2_T3_PNS13_IS18_E10value_typeET4_jRbjT5_S1E_jjP12ihipStream_tbEUljE_ZNSN_ISO_Lb1ESQ_SR_ST_SU_SY_EESZ_S10_S11_S12_S16_S17_S18_S1B_S1C_jS1D_jS1E_S1E_jjS1G_bEUljE0_EEESZ_S10_S11_S18_S1C_S1E_T6_T7_T9_mT8_S1G_bDpT10_ENKUlT_T0_E_clISt17integral_constantIbLb1EES1U_EEDaS1P_S1Q_EUlS1P_E_NS1_11comp_targetILNS1_3genE5ELNS1_11target_archE942ELNS1_3gpuE9ELNS1_3repE0EEENS1_30default_config_static_selectorELNS0_4arch9wavefront6targetE1EEEvS12_.numbered_sgpr, 0
	.set _ZN7rocprim17ROCPRIM_400000_NS6detail17trampoline_kernelINS0_13select_configILj256ELj13ELNS0_17block_load_methodE3ELS4_3ELS4_3ELNS0_20block_scan_algorithmE0ELj4294967295EEENS1_25partition_config_selectorILNS1_17partition_subalgoE4EjNS0_10empty_typeEbEEZZNS1_14partition_implILS8_4ELb0ES6_15HIP_vector_typeIjLj2EENS0_17counting_iteratorIjlEEPS9_SG_NS0_5tupleIJPjSI_NS0_16reverse_iteratorISI_EEEEENSH_IJSG_SG_SG_EEES9_SI_JZNS1_25segmented_radix_sort_implINS0_14default_configELb1EPKiPiPKlPlN2at6native12_GLOBAL__N_18offset_tEEE10hipError_tPvRmT1_PNSt15iterator_traitsIS12_E10value_typeET2_T3_PNS13_IS18_E10value_typeET4_jRbjT5_S1E_jjP12ihipStream_tbEUljE_ZNSN_ISO_Lb1ESQ_SR_ST_SU_SY_EESZ_S10_S11_S12_S16_S17_S18_S1B_S1C_jS1D_jS1E_S1E_jjS1G_bEUljE0_EEESZ_S10_S11_S18_S1C_S1E_T6_T7_T9_mT8_S1G_bDpT10_ENKUlT_T0_E_clISt17integral_constantIbLb1EES1U_EEDaS1P_S1Q_EUlS1P_E_NS1_11comp_targetILNS1_3genE5ELNS1_11target_archE942ELNS1_3gpuE9ELNS1_3repE0EEENS1_30default_config_static_selectorELNS0_4arch9wavefront6targetE1EEEvS12_.num_named_barrier, 0
	.set _ZN7rocprim17ROCPRIM_400000_NS6detail17trampoline_kernelINS0_13select_configILj256ELj13ELNS0_17block_load_methodE3ELS4_3ELS4_3ELNS0_20block_scan_algorithmE0ELj4294967295EEENS1_25partition_config_selectorILNS1_17partition_subalgoE4EjNS0_10empty_typeEbEEZZNS1_14partition_implILS8_4ELb0ES6_15HIP_vector_typeIjLj2EENS0_17counting_iteratorIjlEEPS9_SG_NS0_5tupleIJPjSI_NS0_16reverse_iteratorISI_EEEEENSH_IJSG_SG_SG_EEES9_SI_JZNS1_25segmented_radix_sort_implINS0_14default_configELb1EPKiPiPKlPlN2at6native12_GLOBAL__N_18offset_tEEE10hipError_tPvRmT1_PNSt15iterator_traitsIS12_E10value_typeET2_T3_PNS13_IS18_E10value_typeET4_jRbjT5_S1E_jjP12ihipStream_tbEUljE_ZNSN_ISO_Lb1ESQ_SR_ST_SU_SY_EESZ_S10_S11_S12_S16_S17_S18_S1B_S1C_jS1D_jS1E_S1E_jjS1G_bEUljE0_EEESZ_S10_S11_S18_S1C_S1E_T6_T7_T9_mT8_S1G_bDpT10_ENKUlT_T0_E_clISt17integral_constantIbLb1EES1U_EEDaS1P_S1Q_EUlS1P_E_NS1_11comp_targetILNS1_3genE5ELNS1_11target_archE942ELNS1_3gpuE9ELNS1_3repE0EEENS1_30default_config_static_selectorELNS0_4arch9wavefront6targetE1EEEvS12_.private_seg_size, 0
	.set _ZN7rocprim17ROCPRIM_400000_NS6detail17trampoline_kernelINS0_13select_configILj256ELj13ELNS0_17block_load_methodE3ELS4_3ELS4_3ELNS0_20block_scan_algorithmE0ELj4294967295EEENS1_25partition_config_selectorILNS1_17partition_subalgoE4EjNS0_10empty_typeEbEEZZNS1_14partition_implILS8_4ELb0ES6_15HIP_vector_typeIjLj2EENS0_17counting_iteratorIjlEEPS9_SG_NS0_5tupleIJPjSI_NS0_16reverse_iteratorISI_EEEEENSH_IJSG_SG_SG_EEES9_SI_JZNS1_25segmented_radix_sort_implINS0_14default_configELb1EPKiPiPKlPlN2at6native12_GLOBAL__N_18offset_tEEE10hipError_tPvRmT1_PNSt15iterator_traitsIS12_E10value_typeET2_T3_PNS13_IS18_E10value_typeET4_jRbjT5_S1E_jjP12ihipStream_tbEUljE_ZNSN_ISO_Lb1ESQ_SR_ST_SU_SY_EESZ_S10_S11_S12_S16_S17_S18_S1B_S1C_jS1D_jS1E_S1E_jjS1G_bEUljE0_EEESZ_S10_S11_S18_S1C_S1E_T6_T7_T9_mT8_S1G_bDpT10_ENKUlT_T0_E_clISt17integral_constantIbLb1EES1U_EEDaS1P_S1Q_EUlS1P_E_NS1_11comp_targetILNS1_3genE5ELNS1_11target_archE942ELNS1_3gpuE9ELNS1_3repE0EEENS1_30default_config_static_selectorELNS0_4arch9wavefront6targetE1EEEvS12_.uses_vcc, 0
	.set _ZN7rocprim17ROCPRIM_400000_NS6detail17trampoline_kernelINS0_13select_configILj256ELj13ELNS0_17block_load_methodE3ELS4_3ELS4_3ELNS0_20block_scan_algorithmE0ELj4294967295EEENS1_25partition_config_selectorILNS1_17partition_subalgoE4EjNS0_10empty_typeEbEEZZNS1_14partition_implILS8_4ELb0ES6_15HIP_vector_typeIjLj2EENS0_17counting_iteratorIjlEEPS9_SG_NS0_5tupleIJPjSI_NS0_16reverse_iteratorISI_EEEEENSH_IJSG_SG_SG_EEES9_SI_JZNS1_25segmented_radix_sort_implINS0_14default_configELb1EPKiPiPKlPlN2at6native12_GLOBAL__N_18offset_tEEE10hipError_tPvRmT1_PNSt15iterator_traitsIS12_E10value_typeET2_T3_PNS13_IS18_E10value_typeET4_jRbjT5_S1E_jjP12ihipStream_tbEUljE_ZNSN_ISO_Lb1ESQ_SR_ST_SU_SY_EESZ_S10_S11_S12_S16_S17_S18_S1B_S1C_jS1D_jS1E_S1E_jjS1G_bEUljE0_EEESZ_S10_S11_S18_S1C_S1E_T6_T7_T9_mT8_S1G_bDpT10_ENKUlT_T0_E_clISt17integral_constantIbLb1EES1U_EEDaS1P_S1Q_EUlS1P_E_NS1_11comp_targetILNS1_3genE5ELNS1_11target_archE942ELNS1_3gpuE9ELNS1_3repE0EEENS1_30default_config_static_selectorELNS0_4arch9wavefront6targetE1EEEvS12_.uses_flat_scratch, 0
	.set _ZN7rocprim17ROCPRIM_400000_NS6detail17trampoline_kernelINS0_13select_configILj256ELj13ELNS0_17block_load_methodE3ELS4_3ELS4_3ELNS0_20block_scan_algorithmE0ELj4294967295EEENS1_25partition_config_selectorILNS1_17partition_subalgoE4EjNS0_10empty_typeEbEEZZNS1_14partition_implILS8_4ELb0ES6_15HIP_vector_typeIjLj2EENS0_17counting_iteratorIjlEEPS9_SG_NS0_5tupleIJPjSI_NS0_16reverse_iteratorISI_EEEEENSH_IJSG_SG_SG_EEES9_SI_JZNS1_25segmented_radix_sort_implINS0_14default_configELb1EPKiPiPKlPlN2at6native12_GLOBAL__N_18offset_tEEE10hipError_tPvRmT1_PNSt15iterator_traitsIS12_E10value_typeET2_T3_PNS13_IS18_E10value_typeET4_jRbjT5_S1E_jjP12ihipStream_tbEUljE_ZNSN_ISO_Lb1ESQ_SR_ST_SU_SY_EESZ_S10_S11_S12_S16_S17_S18_S1B_S1C_jS1D_jS1E_S1E_jjS1G_bEUljE0_EEESZ_S10_S11_S18_S1C_S1E_T6_T7_T9_mT8_S1G_bDpT10_ENKUlT_T0_E_clISt17integral_constantIbLb1EES1U_EEDaS1P_S1Q_EUlS1P_E_NS1_11comp_targetILNS1_3genE5ELNS1_11target_archE942ELNS1_3gpuE9ELNS1_3repE0EEENS1_30default_config_static_selectorELNS0_4arch9wavefront6targetE1EEEvS12_.has_dyn_sized_stack, 0
	.set _ZN7rocprim17ROCPRIM_400000_NS6detail17trampoline_kernelINS0_13select_configILj256ELj13ELNS0_17block_load_methodE3ELS4_3ELS4_3ELNS0_20block_scan_algorithmE0ELj4294967295EEENS1_25partition_config_selectorILNS1_17partition_subalgoE4EjNS0_10empty_typeEbEEZZNS1_14partition_implILS8_4ELb0ES6_15HIP_vector_typeIjLj2EENS0_17counting_iteratorIjlEEPS9_SG_NS0_5tupleIJPjSI_NS0_16reverse_iteratorISI_EEEEENSH_IJSG_SG_SG_EEES9_SI_JZNS1_25segmented_radix_sort_implINS0_14default_configELb1EPKiPiPKlPlN2at6native12_GLOBAL__N_18offset_tEEE10hipError_tPvRmT1_PNSt15iterator_traitsIS12_E10value_typeET2_T3_PNS13_IS18_E10value_typeET4_jRbjT5_S1E_jjP12ihipStream_tbEUljE_ZNSN_ISO_Lb1ESQ_SR_ST_SU_SY_EESZ_S10_S11_S12_S16_S17_S18_S1B_S1C_jS1D_jS1E_S1E_jjS1G_bEUljE0_EEESZ_S10_S11_S18_S1C_S1E_T6_T7_T9_mT8_S1G_bDpT10_ENKUlT_T0_E_clISt17integral_constantIbLb1EES1U_EEDaS1P_S1Q_EUlS1P_E_NS1_11comp_targetILNS1_3genE5ELNS1_11target_archE942ELNS1_3gpuE9ELNS1_3repE0EEENS1_30default_config_static_selectorELNS0_4arch9wavefront6targetE1EEEvS12_.has_recursion, 0
	.set _ZN7rocprim17ROCPRIM_400000_NS6detail17trampoline_kernelINS0_13select_configILj256ELj13ELNS0_17block_load_methodE3ELS4_3ELS4_3ELNS0_20block_scan_algorithmE0ELj4294967295EEENS1_25partition_config_selectorILNS1_17partition_subalgoE4EjNS0_10empty_typeEbEEZZNS1_14partition_implILS8_4ELb0ES6_15HIP_vector_typeIjLj2EENS0_17counting_iteratorIjlEEPS9_SG_NS0_5tupleIJPjSI_NS0_16reverse_iteratorISI_EEEEENSH_IJSG_SG_SG_EEES9_SI_JZNS1_25segmented_radix_sort_implINS0_14default_configELb1EPKiPiPKlPlN2at6native12_GLOBAL__N_18offset_tEEE10hipError_tPvRmT1_PNSt15iterator_traitsIS12_E10value_typeET2_T3_PNS13_IS18_E10value_typeET4_jRbjT5_S1E_jjP12ihipStream_tbEUljE_ZNSN_ISO_Lb1ESQ_SR_ST_SU_SY_EESZ_S10_S11_S12_S16_S17_S18_S1B_S1C_jS1D_jS1E_S1E_jjS1G_bEUljE0_EEESZ_S10_S11_S18_S1C_S1E_T6_T7_T9_mT8_S1G_bDpT10_ENKUlT_T0_E_clISt17integral_constantIbLb1EES1U_EEDaS1P_S1Q_EUlS1P_E_NS1_11comp_targetILNS1_3genE5ELNS1_11target_archE942ELNS1_3gpuE9ELNS1_3repE0EEENS1_30default_config_static_selectorELNS0_4arch9wavefront6targetE1EEEvS12_.has_indirect_call, 0
	.section	.AMDGPU.csdata,"",@progbits
; Kernel info:
; codeLenInByte = 0
; TotalNumSgprs: 4
; NumVgprs: 0
; ScratchSize: 0
; MemoryBound: 0
; FloatMode: 240
; IeeeMode: 1
; LDSByteSize: 0 bytes/workgroup (compile time only)
; SGPRBlocks: 0
; VGPRBlocks: 0
; NumSGPRsForWavesPerEU: 4
; NumVGPRsForWavesPerEU: 1
; Occupancy: 10
; WaveLimiterHint : 0
; COMPUTE_PGM_RSRC2:SCRATCH_EN: 0
; COMPUTE_PGM_RSRC2:USER_SGPR: 6
; COMPUTE_PGM_RSRC2:TRAP_HANDLER: 0
; COMPUTE_PGM_RSRC2:TGID_X_EN: 1
; COMPUTE_PGM_RSRC2:TGID_Y_EN: 0
; COMPUTE_PGM_RSRC2:TGID_Z_EN: 0
; COMPUTE_PGM_RSRC2:TIDIG_COMP_CNT: 0
	.section	.text._ZN7rocprim17ROCPRIM_400000_NS6detail17trampoline_kernelINS0_13select_configILj256ELj13ELNS0_17block_load_methodE3ELS4_3ELS4_3ELNS0_20block_scan_algorithmE0ELj4294967295EEENS1_25partition_config_selectorILNS1_17partition_subalgoE4EjNS0_10empty_typeEbEEZZNS1_14partition_implILS8_4ELb0ES6_15HIP_vector_typeIjLj2EENS0_17counting_iteratorIjlEEPS9_SG_NS0_5tupleIJPjSI_NS0_16reverse_iteratorISI_EEEEENSH_IJSG_SG_SG_EEES9_SI_JZNS1_25segmented_radix_sort_implINS0_14default_configELb1EPKiPiPKlPlN2at6native12_GLOBAL__N_18offset_tEEE10hipError_tPvRmT1_PNSt15iterator_traitsIS12_E10value_typeET2_T3_PNS13_IS18_E10value_typeET4_jRbjT5_S1E_jjP12ihipStream_tbEUljE_ZNSN_ISO_Lb1ESQ_SR_ST_SU_SY_EESZ_S10_S11_S12_S16_S17_S18_S1B_S1C_jS1D_jS1E_S1E_jjS1G_bEUljE0_EEESZ_S10_S11_S18_S1C_S1E_T6_T7_T9_mT8_S1G_bDpT10_ENKUlT_T0_E_clISt17integral_constantIbLb1EES1U_EEDaS1P_S1Q_EUlS1P_E_NS1_11comp_targetILNS1_3genE4ELNS1_11target_archE910ELNS1_3gpuE8ELNS1_3repE0EEENS1_30default_config_static_selectorELNS0_4arch9wavefront6targetE1EEEvS12_,"axG",@progbits,_ZN7rocprim17ROCPRIM_400000_NS6detail17trampoline_kernelINS0_13select_configILj256ELj13ELNS0_17block_load_methodE3ELS4_3ELS4_3ELNS0_20block_scan_algorithmE0ELj4294967295EEENS1_25partition_config_selectorILNS1_17partition_subalgoE4EjNS0_10empty_typeEbEEZZNS1_14partition_implILS8_4ELb0ES6_15HIP_vector_typeIjLj2EENS0_17counting_iteratorIjlEEPS9_SG_NS0_5tupleIJPjSI_NS0_16reverse_iteratorISI_EEEEENSH_IJSG_SG_SG_EEES9_SI_JZNS1_25segmented_radix_sort_implINS0_14default_configELb1EPKiPiPKlPlN2at6native12_GLOBAL__N_18offset_tEEE10hipError_tPvRmT1_PNSt15iterator_traitsIS12_E10value_typeET2_T3_PNS13_IS18_E10value_typeET4_jRbjT5_S1E_jjP12ihipStream_tbEUljE_ZNSN_ISO_Lb1ESQ_SR_ST_SU_SY_EESZ_S10_S11_S12_S16_S17_S18_S1B_S1C_jS1D_jS1E_S1E_jjS1G_bEUljE0_EEESZ_S10_S11_S18_S1C_S1E_T6_T7_T9_mT8_S1G_bDpT10_ENKUlT_T0_E_clISt17integral_constantIbLb1EES1U_EEDaS1P_S1Q_EUlS1P_E_NS1_11comp_targetILNS1_3genE4ELNS1_11target_archE910ELNS1_3gpuE8ELNS1_3repE0EEENS1_30default_config_static_selectorELNS0_4arch9wavefront6targetE1EEEvS12_,comdat
	.globl	_ZN7rocprim17ROCPRIM_400000_NS6detail17trampoline_kernelINS0_13select_configILj256ELj13ELNS0_17block_load_methodE3ELS4_3ELS4_3ELNS0_20block_scan_algorithmE0ELj4294967295EEENS1_25partition_config_selectorILNS1_17partition_subalgoE4EjNS0_10empty_typeEbEEZZNS1_14partition_implILS8_4ELb0ES6_15HIP_vector_typeIjLj2EENS0_17counting_iteratorIjlEEPS9_SG_NS0_5tupleIJPjSI_NS0_16reverse_iteratorISI_EEEEENSH_IJSG_SG_SG_EEES9_SI_JZNS1_25segmented_radix_sort_implINS0_14default_configELb1EPKiPiPKlPlN2at6native12_GLOBAL__N_18offset_tEEE10hipError_tPvRmT1_PNSt15iterator_traitsIS12_E10value_typeET2_T3_PNS13_IS18_E10value_typeET4_jRbjT5_S1E_jjP12ihipStream_tbEUljE_ZNSN_ISO_Lb1ESQ_SR_ST_SU_SY_EESZ_S10_S11_S12_S16_S17_S18_S1B_S1C_jS1D_jS1E_S1E_jjS1G_bEUljE0_EEESZ_S10_S11_S18_S1C_S1E_T6_T7_T9_mT8_S1G_bDpT10_ENKUlT_T0_E_clISt17integral_constantIbLb1EES1U_EEDaS1P_S1Q_EUlS1P_E_NS1_11comp_targetILNS1_3genE4ELNS1_11target_archE910ELNS1_3gpuE8ELNS1_3repE0EEENS1_30default_config_static_selectorELNS0_4arch9wavefront6targetE1EEEvS12_ ; -- Begin function _ZN7rocprim17ROCPRIM_400000_NS6detail17trampoline_kernelINS0_13select_configILj256ELj13ELNS0_17block_load_methodE3ELS4_3ELS4_3ELNS0_20block_scan_algorithmE0ELj4294967295EEENS1_25partition_config_selectorILNS1_17partition_subalgoE4EjNS0_10empty_typeEbEEZZNS1_14partition_implILS8_4ELb0ES6_15HIP_vector_typeIjLj2EENS0_17counting_iteratorIjlEEPS9_SG_NS0_5tupleIJPjSI_NS0_16reverse_iteratorISI_EEEEENSH_IJSG_SG_SG_EEES9_SI_JZNS1_25segmented_radix_sort_implINS0_14default_configELb1EPKiPiPKlPlN2at6native12_GLOBAL__N_18offset_tEEE10hipError_tPvRmT1_PNSt15iterator_traitsIS12_E10value_typeET2_T3_PNS13_IS18_E10value_typeET4_jRbjT5_S1E_jjP12ihipStream_tbEUljE_ZNSN_ISO_Lb1ESQ_SR_ST_SU_SY_EESZ_S10_S11_S12_S16_S17_S18_S1B_S1C_jS1D_jS1E_S1E_jjS1G_bEUljE0_EEESZ_S10_S11_S18_S1C_S1E_T6_T7_T9_mT8_S1G_bDpT10_ENKUlT_T0_E_clISt17integral_constantIbLb1EES1U_EEDaS1P_S1Q_EUlS1P_E_NS1_11comp_targetILNS1_3genE4ELNS1_11target_archE910ELNS1_3gpuE8ELNS1_3repE0EEENS1_30default_config_static_selectorELNS0_4arch9wavefront6targetE1EEEvS12_
	.p2align	8
	.type	_ZN7rocprim17ROCPRIM_400000_NS6detail17trampoline_kernelINS0_13select_configILj256ELj13ELNS0_17block_load_methodE3ELS4_3ELS4_3ELNS0_20block_scan_algorithmE0ELj4294967295EEENS1_25partition_config_selectorILNS1_17partition_subalgoE4EjNS0_10empty_typeEbEEZZNS1_14partition_implILS8_4ELb0ES6_15HIP_vector_typeIjLj2EENS0_17counting_iteratorIjlEEPS9_SG_NS0_5tupleIJPjSI_NS0_16reverse_iteratorISI_EEEEENSH_IJSG_SG_SG_EEES9_SI_JZNS1_25segmented_radix_sort_implINS0_14default_configELb1EPKiPiPKlPlN2at6native12_GLOBAL__N_18offset_tEEE10hipError_tPvRmT1_PNSt15iterator_traitsIS12_E10value_typeET2_T3_PNS13_IS18_E10value_typeET4_jRbjT5_S1E_jjP12ihipStream_tbEUljE_ZNSN_ISO_Lb1ESQ_SR_ST_SU_SY_EESZ_S10_S11_S12_S16_S17_S18_S1B_S1C_jS1D_jS1E_S1E_jjS1G_bEUljE0_EEESZ_S10_S11_S18_S1C_S1E_T6_T7_T9_mT8_S1G_bDpT10_ENKUlT_T0_E_clISt17integral_constantIbLb1EES1U_EEDaS1P_S1Q_EUlS1P_E_NS1_11comp_targetILNS1_3genE4ELNS1_11target_archE910ELNS1_3gpuE8ELNS1_3repE0EEENS1_30default_config_static_selectorELNS0_4arch9wavefront6targetE1EEEvS12_,@function
_ZN7rocprim17ROCPRIM_400000_NS6detail17trampoline_kernelINS0_13select_configILj256ELj13ELNS0_17block_load_methodE3ELS4_3ELS4_3ELNS0_20block_scan_algorithmE0ELj4294967295EEENS1_25partition_config_selectorILNS1_17partition_subalgoE4EjNS0_10empty_typeEbEEZZNS1_14partition_implILS8_4ELb0ES6_15HIP_vector_typeIjLj2EENS0_17counting_iteratorIjlEEPS9_SG_NS0_5tupleIJPjSI_NS0_16reverse_iteratorISI_EEEEENSH_IJSG_SG_SG_EEES9_SI_JZNS1_25segmented_radix_sort_implINS0_14default_configELb1EPKiPiPKlPlN2at6native12_GLOBAL__N_18offset_tEEE10hipError_tPvRmT1_PNSt15iterator_traitsIS12_E10value_typeET2_T3_PNS13_IS18_E10value_typeET4_jRbjT5_S1E_jjP12ihipStream_tbEUljE_ZNSN_ISO_Lb1ESQ_SR_ST_SU_SY_EESZ_S10_S11_S12_S16_S17_S18_S1B_S1C_jS1D_jS1E_S1E_jjS1G_bEUljE0_EEESZ_S10_S11_S18_S1C_S1E_T6_T7_T9_mT8_S1G_bDpT10_ENKUlT_T0_E_clISt17integral_constantIbLb1EES1U_EEDaS1P_S1Q_EUlS1P_E_NS1_11comp_targetILNS1_3genE4ELNS1_11target_archE910ELNS1_3gpuE8ELNS1_3repE0EEENS1_30default_config_static_selectorELNS0_4arch9wavefront6targetE1EEEvS12_: ; @_ZN7rocprim17ROCPRIM_400000_NS6detail17trampoline_kernelINS0_13select_configILj256ELj13ELNS0_17block_load_methodE3ELS4_3ELS4_3ELNS0_20block_scan_algorithmE0ELj4294967295EEENS1_25partition_config_selectorILNS1_17partition_subalgoE4EjNS0_10empty_typeEbEEZZNS1_14partition_implILS8_4ELb0ES6_15HIP_vector_typeIjLj2EENS0_17counting_iteratorIjlEEPS9_SG_NS0_5tupleIJPjSI_NS0_16reverse_iteratorISI_EEEEENSH_IJSG_SG_SG_EEES9_SI_JZNS1_25segmented_radix_sort_implINS0_14default_configELb1EPKiPiPKlPlN2at6native12_GLOBAL__N_18offset_tEEE10hipError_tPvRmT1_PNSt15iterator_traitsIS12_E10value_typeET2_T3_PNS13_IS18_E10value_typeET4_jRbjT5_S1E_jjP12ihipStream_tbEUljE_ZNSN_ISO_Lb1ESQ_SR_ST_SU_SY_EESZ_S10_S11_S12_S16_S17_S18_S1B_S1C_jS1D_jS1E_S1E_jjS1G_bEUljE0_EEESZ_S10_S11_S18_S1C_S1E_T6_T7_T9_mT8_S1G_bDpT10_ENKUlT_T0_E_clISt17integral_constantIbLb1EES1U_EEDaS1P_S1Q_EUlS1P_E_NS1_11comp_targetILNS1_3genE4ELNS1_11target_archE910ELNS1_3gpuE8ELNS1_3repE0EEENS1_30default_config_static_selectorELNS0_4arch9wavefront6targetE1EEEvS12_
; %bb.0:
	.section	.rodata,"a",@progbits
	.p2align	6, 0x0
	.amdhsa_kernel _ZN7rocprim17ROCPRIM_400000_NS6detail17trampoline_kernelINS0_13select_configILj256ELj13ELNS0_17block_load_methodE3ELS4_3ELS4_3ELNS0_20block_scan_algorithmE0ELj4294967295EEENS1_25partition_config_selectorILNS1_17partition_subalgoE4EjNS0_10empty_typeEbEEZZNS1_14partition_implILS8_4ELb0ES6_15HIP_vector_typeIjLj2EENS0_17counting_iteratorIjlEEPS9_SG_NS0_5tupleIJPjSI_NS0_16reverse_iteratorISI_EEEEENSH_IJSG_SG_SG_EEES9_SI_JZNS1_25segmented_radix_sort_implINS0_14default_configELb1EPKiPiPKlPlN2at6native12_GLOBAL__N_18offset_tEEE10hipError_tPvRmT1_PNSt15iterator_traitsIS12_E10value_typeET2_T3_PNS13_IS18_E10value_typeET4_jRbjT5_S1E_jjP12ihipStream_tbEUljE_ZNSN_ISO_Lb1ESQ_SR_ST_SU_SY_EESZ_S10_S11_S12_S16_S17_S18_S1B_S1C_jS1D_jS1E_S1E_jjS1G_bEUljE0_EEESZ_S10_S11_S18_S1C_S1E_T6_T7_T9_mT8_S1G_bDpT10_ENKUlT_T0_E_clISt17integral_constantIbLb1EES1U_EEDaS1P_S1Q_EUlS1P_E_NS1_11comp_targetILNS1_3genE4ELNS1_11target_archE910ELNS1_3gpuE8ELNS1_3repE0EEENS1_30default_config_static_selectorELNS0_4arch9wavefront6targetE1EEEvS12_
		.amdhsa_group_segment_fixed_size 0
		.amdhsa_private_segment_fixed_size 0
		.amdhsa_kernarg_size 184
		.amdhsa_user_sgpr_count 6
		.amdhsa_user_sgpr_private_segment_buffer 1
		.amdhsa_user_sgpr_dispatch_ptr 0
		.amdhsa_user_sgpr_queue_ptr 0
		.amdhsa_user_sgpr_kernarg_segment_ptr 1
		.amdhsa_user_sgpr_dispatch_id 0
		.amdhsa_user_sgpr_flat_scratch_init 0
		.amdhsa_user_sgpr_private_segment_size 0
		.amdhsa_uses_dynamic_stack 0
		.amdhsa_system_sgpr_private_segment_wavefront_offset 0
		.amdhsa_system_sgpr_workgroup_id_x 1
		.amdhsa_system_sgpr_workgroup_id_y 0
		.amdhsa_system_sgpr_workgroup_id_z 0
		.amdhsa_system_sgpr_workgroup_info 0
		.amdhsa_system_vgpr_workitem_id 0
		.amdhsa_next_free_vgpr 1
		.amdhsa_next_free_sgpr 0
		.amdhsa_reserve_vcc 0
		.amdhsa_reserve_flat_scratch 0
		.amdhsa_float_round_mode_32 0
		.amdhsa_float_round_mode_16_64 0
		.amdhsa_float_denorm_mode_32 3
		.amdhsa_float_denorm_mode_16_64 3
		.amdhsa_dx10_clamp 1
		.amdhsa_ieee_mode 1
		.amdhsa_fp16_overflow 0
		.amdhsa_exception_fp_ieee_invalid_op 0
		.amdhsa_exception_fp_denorm_src 0
		.amdhsa_exception_fp_ieee_div_zero 0
		.amdhsa_exception_fp_ieee_overflow 0
		.amdhsa_exception_fp_ieee_underflow 0
		.amdhsa_exception_fp_ieee_inexact 0
		.amdhsa_exception_int_div_zero 0
	.end_amdhsa_kernel
	.section	.text._ZN7rocprim17ROCPRIM_400000_NS6detail17trampoline_kernelINS0_13select_configILj256ELj13ELNS0_17block_load_methodE3ELS4_3ELS4_3ELNS0_20block_scan_algorithmE0ELj4294967295EEENS1_25partition_config_selectorILNS1_17partition_subalgoE4EjNS0_10empty_typeEbEEZZNS1_14partition_implILS8_4ELb0ES6_15HIP_vector_typeIjLj2EENS0_17counting_iteratorIjlEEPS9_SG_NS0_5tupleIJPjSI_NS0_16reverse_iteratorISI_EEEEENSH_IJSG_SG_SG_EEES9_SI_JZNS1_25segmented_radix_sort_implINS0_14default_configELb1EPKiPiPKlPlN2at6native12_GLOBAL__N_18offset_tEEE10hipError_tPvRmT1_PNSt15iterator_traitsIS12_E10value_typeET2_T3_PNS13_IS18_E10value_typeET4_jRbjT5_S1E_jjP12ihipStream_tbEUljE_ZNSN_ISO_Lb1ESQ_SR_ST_SU_SY_EESZ_S10_S11_S12_S16_S17_S18_S1B_S1C_jS1D_jS1E_S1E_jjS1G_bEUljE0_EEESZ_S10_S11_S18_S1C_S1E_T6_T7_T9_mT8_S1G_bDpT10_ENKUlT_T0_E_clISt17integral_constantIbLb1EES1U_EEDaS1P_S1Q_EUlS1P_E_NS1_11comp_targetILNS1_3genE4ELNS1_11target_archE910ELNS1_3gpuE8ELNS1_3repE0EEENS1_30default_config_static_selectorELNS0_4arch9wavefront6targetE1EEEvS12_,"axG",@progbits,_ZN7rocprim17ROCPRIM_400000_NS6detail17trampoline_kernelINS0_13select_configILj256ELj13ELNS0_17block_load_methodE3ELS4_3ELS4_3ELNS0_20block_scan_algorithmE0ELj4294967295EEENS1_25partition_config_selectorILNS1_17partition_subalgoE4EjNS0_10empty_typeEbEEZZNS1_14partition_implILS8_4ELb0ES6_15HIP_vector_typeIjLj2EENS0_17counting_iteratorIjlEEPS9_SG_NS0_5tupleIJPjSI_NS0_16reverse_iteratorISI_EEEEENSH_IJSG_SG_SG_EEES9_SI_JZNS1_25segmented_radix_sort_implINS0_14default_configELb1EPKiPiPKlPlN2at6native12_GLOBAL__N_18offset_tEEE10hipError_tPvRmT1_PNSt15iterator_traitsIS12_E10value_typeET2_T3_PNS13_IS18_E10value_typeET4_jRbjT5_S1E_jjP12ihipStream_tbEUljE_ZNSN_ISO_Lb1ESQ_SR_ST_SU_SY_EESZ_S10_S11_S12_S16_S17_S18_S1B_S1C_jS1D_jS1E_S1E_jjS1G_bEUljE0_EEESZ_S10_S11_S18_S1C_S1E_T6_T7_T9_mT8_S1G_bDpT10_ENKUlT_T0_E_clISt17integral_constantIbLb1EES1U_EEDaS1P_S1Q_EUlS1P_E_NS1_11comp_targetILNS1_3genE4ELNS1_11target_archE910ELNS1_3gpuE8ELNS1_3repE0EEENS1_30default_config_static_selectorELNS0_4arch9wavefront6targetE1EEEvS12_,comdat
.Lfunc_end443:
	.size	_ZN7rocprim17ROCPRIM_400000_NS6detail17trampoline_kernelINS0_13select_configILj256ELj13ELNS0_17block_load_methodE3ELS4_3ELS4_3ELNS0_20block_scan_algorithmE0ELj4294967295EEENS1_25partition_config_selectorILNS1_17partition_subalgoE4EjNS0_10empty_typeEbEEZZNS1_14partition_implILS8_4ELb0ES6_15HIP_vector_typeIjLj2EENS0_17counting_iteratorIjlEEPS9_SG_NS0_5tupleIJPjSI_NS0_16reverse_iteratorISI_EEEEENSH_IJSG_SG_SG_EEES9_SI_JZNS1_25segmented_radix_sort_implINS0_14default_configELb1EPKiPiPKlPlN2at6native12_GLOBAL__N_18offset_tEEE10hipError_tPvRmT1_PNSt15iterator_traitsIS12_E10value_typeET2_T3_PNS13_IS18_E10value_typeET4_jRbjT5_S1E_jjP12ihipStream_tbEUljE_ZNSN_ISO_Lb1ESQ_SR_ST_SU_SY_EESZ_S10_S11_S12_S16_S17_S18_S1B_S1C_jS1D_jS1E_S1E_jjS1G_bEUljE0_EEESZ_S10_S11_S18_S1C_S1E_T6_T7_T9_mT8_S1G_bDpT10_ENKUlT_T0_E_clISt17integral_constantIbLb1EES1U_EEDaS1P_S1Q_EUlS1P_E_NS1_11comp_targetILNS1_3genE4ELNS1_11target_archE910ELNS1_3gpuE8ELNS1_3repE0EEENS1_30default_config_static_selectorELNS0_4arch9wavefront6targetE1EEEvS12_, .Lfunc_end443-_ZN7rocprim17ROCPRIM_400000_NS6detail17trampoline_kernelINS0_13select_configILj256ELj13ELNS0_17block_load_methodE3ELS4_3ELS4_3ELNS0_20block_scan_algorithmE0ELj4294967295EEENS1_25partition_config_selectorILNS1_17partition_subalgoE4EjNS0_10empty_typeEbEEZZNS1_14partition_implILS8_4ELb0ES6_15HIP_vector_typeIjLj2EENS0_17counting_iteratorIjlEEPS9_SG_NS0_5tupleIJPjSI_NS0_16reverse_iteratorISI_EEEEENSH_IJSG_SG_SG_EEES9_SI_JZNS1_25segmented_radix_sort_implINS0_14default_configELb1EPKiPiPKlPlN2at6native12_GLOBAL__N_18offset_tEEE10hipError_tPvRmT1_PNSt15iterator_traitsIS12_E10value_typeET2_T3_PNS13_IS18_E10value_typeET4_jRbjT5_S1E_jjP12ihipStream_tbEUljE_ZNSN_ISO_Lb1ESQ_SR_ST_SU_SY_EESZ_S10_S11_S12_S16_S17_S18_S1B_S1C_jS1D_jS1E_S1E_jjS1G_bEUljE0_EEESZ_S10_S11_S18_S1C_S1E_T6_T7_T9_mT8_S1G_bDpT10_ENKUlT_T0_E_clISt17integral_constantIbLb1EES1U_EEDaS1P_S1Q_EUlS1P_E_NS1_11comp_targetILNS1_3genE4ELNS1_11target_archE910ELNS1_3gpuE8ELNS1_3repE0EEENS1_30default_config_static_selectorELNS0_4arch9wavefront6targetE1EEEvS12_
                                        ; -- End function
	.set _ZN7rocprim17ROCPRIM_400000_NS6detail17trampoline_kernelINS0_13select_configILj256ELj13ELNS0_17block_load_methodE3ELS4_3ELS4_3ELNS0_20block_scan_algorithmE0ELj4294967295EEENS1_25partition_config_selectorILNS1_17partition_subalgoE4EjNS0_10empty_typeEbEEZZNS1_14partition_implILS8_4ELb0ES6_15HIP_vector_typeIjLj2EENS0_17counting_iteratorIjlEEPS9_SG_NS0_5tupleIJPjSI_NS0_16reverse_iteratorISI_EEEEENSH_IJSG_SG_SG_EEES9_SI_JZNS1_25segmented_radix_sort_implINS0_14default_configELb1EPKiPiPKlPlN2at6native12_GLOBAL__N_18offset_tEEE10hipError_tPvRmT1_PNSt15iterator_traitsIS12_E10value_typeET2_T3_PNS13_IS18_E10value_typeET4_jRbjT5_S1E_jjP12ihipStream_tbEUljE_ZNSN_ISO_Lb1ESQ_SR_ST_SU_SY_EESZ_S10_S11_S12_S16_S17_S18_S1B_S1C_jS1D_jS1E_S1E_jjS1G_bEUljE0_EEESZ_S10_S11_S18_S1C_S1E_T6_T7_T9_mT8_S1G_bDpT10_ENKUlT_T0_E_clISt17integral_constantIbLb1EES1U_EEDaS1P_S1Q_EUlS1P_E_NS1_11comp_targetILNS1_3genE4ELNS1_11target_archE910ELNS1_3gpuE8ELNS1_3repE0EEENS1_30default_config_static_selectorELNS0_4arch9wavefront6targetE1EEEvS12_.num_vgpr, 0
	.set _ZN7rocprim17ROCPRIM_400000_NS6detail17trampoline_kernelINS0_13select_configILj256ELj13ELNS0_17block_load_methodE3ELS4_3ELS4_3ELNS0_20block_scan_algorithmE0ELj4294967295EEENS1_25partition_config_selectorILNS1_17partition_subalgoE4EjNS0_10empty_typeEbEEZZNS1_14partition_implILS8_4ELb0ES6_15HIP_vector_typeIjLj2EENS0_17counting_iteratorIjlEEPS9_SG_NS0_5tupleIJPjSI_NS0_16reverse_iteratorISI_EEEEENSH_IJSG_SG_SG_EEES9_SI_JZNS1_25segmented_radix_sort_implINS0_14default_configELb1EPKiPiPKlPlN2at6native12_GLOBAL__N_18offset_tEEE10hipError_tPvRmT1_PNSt15iterator_traitsIS12_E10value_typeET2_T3_PNS13_IS18_E10value_typeET4_jRbjT5_S1E_jjP12ihipStream_tbEUljE_ZNSN_ISO_Lb1ESQ_SR_ST_SU_SY_EESZ_S10_S11_S12_S16_S17_S18_S1B_S1C_jS1D_jS1E_S1E_jjS1G_bEUljE0_EEESZ_S10_S11_S18_S1C_S1E_T6_T7_T9_mT8_S1G_bDpT10_ENKUlT_T0_E_clISt17integral_constantIbLb1EES1U_EEDaS1P_S1Q_EUlS1P_E_NS1_11comp_targetILNS1_3genE4ELNS1_11target_archE910ELNS1_3gpuE8ELNS1_3repE0EEENS1_30default_config_static_selectorELNS0_4arch9wavefront6targetE1EEEvS12_.num_agpr, 0
	.set _ZN7rocprim17ROCPRIM_400000_NS6detail17trampoline_kernelINS0_13select_configILj256ELj13ELNS0_17block_load_methodE3ELS4_3ELS4_3ELNS0_20block_scan_algorithmE0ELj4294967295EEENS1_25partition_config_selectorILNS1_17partition_subalgoE4EjNS0_10empty_typeEbEEZZNS1_14partition_implILS8_4ELb0ES6_15HIP_vector_typeIjLj2EENS0_17counting_iteratorIjlEEPS9_SG_NS0_5tupleIJPjSI_NS0_16reverse_iteratorISI_EEEEENSH_IJSG_SG_SG_EEES9_SI_JZNS1_25segmented_radix_sort_implINS0_14default_configELb1EPKiPiPKlPlN2at6native12_GLOBAL__N_18offset_tEEE10hipError_tPvRmT1_PNSt15iterator_traitsIS12_E10value_typeET2_T3_PNS13_IS18_E10value_typeET4_jRbjT5_S1E_jjP12ihipStream_tbEUljE_ZNSN_ISO_Lb1ESQ_SR_ST_SU_SY_EESZ_S10_S11_S12_S16_S17_S18_S1B_S1C_jS1D_jS1E_S1E_jjS1G_bEUljE0_EEESZ_S10_S11_S18_S1C_S1E_T6_T7_T9_mT8_S1G_bDpT10_ENKUlT_T0_E_clISt17integral_constantIbLb1EES1U_EEDaS1P_S1Q_EUlS1P_E_NS1_11comp_targetILNS1_3genE4ELNS1_11target_archE910ELNS1_3gpuE8ELNS1_3repE0EEENS1_30default_config_static_selectorELNS0_4arch9wavefront6targetE1EEEvS12_.numbered_sgpr, 0
	.set _ZN7rocprim17ROCPRIM_400000_NS6detail17trampoline_kernelINS0_13select_configILj256ELj13ELNS0_17block_load_methodE3ELS4_3ELS4_3ELNS0_20block_scan_algorithmE0ELj4294967295EEENS1_25partition_config_selectorILNS1_17partition_subalgoE4EjNS0_10empty_typeEbEEZZNS1_14partition_implILS8_4ELb0ES6_15HIP_vector_typeIjLj2EENS0_17counting_iteratorIjlEEPS9_SG_NS0_5tupleIJPjSI_NS0_16reverse_iteratorISI_EEEEENSH_IJSG_SG_SG_EEES9_SI_JZNS1_25segmented_radix_sort_implINS0_14default_configELb1EPKiPiPKlPlN2at6native12_GLOBAL__N_18offset_tEEE10hipError_tPvRmT1_PNSt15iterator_traitsIS12_E10value_typeET2_T3_PNS13_IS18_E10value_typeET4_jRbjT5_S1E_jjP12ihipStream_tbEUljE_ZNSN_ISO_Lb1ESQ_SR_ST_SU_SY_EESZ_S10_S11_S12_S16_S17_S18_S1B_S1C_jS1D_jS1E_S1E_jjS1G_bEUljE0_EEESZ_S10_S11_S18_S1C_S1E_T6_T7_T9_mT8_S1G_bDpT10_ENKUlT_T0_E_clISt17integral_constantIbLb1EES1U_EEDaS1P_S1Q_EUlS1P_E_NS1_11comp_targetILNS1_3genE4ELNS1_11target_archE910ELNS1_3gpuE8ELNS1_3repE0EEENS1_30default_config_static_selectorELNS0_4arch9wavefront6targetE1EEEvS12_.num_named_barrier, 0
	.set _ZN7rocprim17ROCPRIM_400000_NS6detail17trampoline_kernelINS0_13select_configILj256ELj13ELNS0_17block_load_methodE3ELS4_3ELS4_3ELNS0_20block_scan_algorithmE0ELj4294967295EEENS1_25partition_config_selectorILNS1_17partition_subalgoE4EjNS0_10empty_typeEbEEZZNS1_14partition_implILS8_4ELb0ES6_15HIP_vector_typeIjLj2EENS0_17counting_iteratorIjlEEPS9_SG_NS0_5tupleIJPjSI_NS0_16reverse_iteratorISI_EEEEENSH_IJSG_SG_SG_EEES9_SI_JZNS1_25segmented_radix_sort_implINS0_14default_configELb1EPKiPiPKlPlN2at6native12_GLOBAL__N_18offset_tEEE10hipError_tPvRmT1_PNSt15iterator_traitsIS12_E10value_typeET2_T3_PNS13_IS18_E10value_typeET4_jRbjT5_S1E_jjP12ihipStream_tbEUljE_ZNSN_ISO_Lb1ESQ_SR_ST_SU_SY_EESZ_S10_S11_S12_S16_S17_S18_S1B_S1C_jS1D_jS1E_S1E_jjS1G_bEUljE0_EEESZ_S10_S11_S18_S1C_S1E_T6_T7_T9_mT8_S1G_bDpT10_ENKUlT_T0_E_clISt17integral_constantIbLb1EES1U_EEDaS1P_S1Q_EUlS1P_E_NS1_11comp_targetILNS1_3genE4ELNS1_11target_archE910ELNS1_3gpuE8ELNS1_3repE0EEENS1_30default_config_static_selectorELNS0_4arch9wavefront6targetE1EEEvS12_.private_seg_size, 0
	.set _ZN7rocprim17ROCPRIM_400000_NS6detail17trampoline_kernelINS0_13select_configILj256ELj13ELNS0_17block_load_methodE3ELS4_3ELS4_3ELNS0_20block_scan_algorithmE0ELj4294967295EEENS1_25partition_config_selectorILNS1_17partition_subalgoE4EjNS0_10empty_typeEbEEZZNS1_14partition_implILS8_4ELb0ES6_15HIP_vector_typeIjLj2EENS0_17counting_iteratorIjlEEPS9_SG_NS0_5tupleIJPjSI_NS0_16reverse_iteratorISI_EEEEENSH_IJSG_SG_SG_EEES9_SI_JZNS1_25segmented_radix_sort_implINS0_14default_configELb1EPKiPiPKlPlN2at6native12_GLOBAL__N_18offset_tEEE10hipError_tPvRmT1_PNSt15iterator_traitsIS12_E10value_typeET2_T3_PNS13_IS18_E10value_typeET4_jRbjT5_S1E_jjP12ihipStream_tbEUljE_ZNSN_ISO_Lb1ESQ_SR_ST_SU_SY_EESZ_S10_S11_S12_S16_S17_S18_S1B_S1C_jS1D_jS1E_S1E_jjS1G_bEUljE0_EEESZ_S10_S11_S18_S1C_S1E_T6_T7_T9_mT8_S1G_bDpT10_ENKUlT_T0_E_clISt17integral_constantIbLb1EES1U_EEDaS1P_S1Q_EUlS1P_E_NS1_11comp_targetILNS1_3genE4ELNS1_11target_archE910ELNS1_3gpuE8ELNS1_3repE0EEENS1_30default_config_static_selectorELNS0_4arch9wavefront6targetE1EEEvS12_.uses_vcc, 0
	.set _ZN7rocprim17ROCPRIM_400000_NS6detail17trampoline_kernelINS0_13select_configILj256ELj13ELNS0_17block_load_methodE3ELS4_3ELS4_3ELNS0_20block_scan_algorithmE0ELj4294967295EEENS1_25partition_config_selectorILNS1_17partition_subalgoE4EjNS0_10empty_typeEbEEZZNS1_14partition_implILS8_4ELb0ES6_15HIP_vector_typeIjLj2EENS0_17counting_iteratorIjlEEPS9_SG_NS0_5tupleIJPjSI_NS0_16reverse_iteratorISI_EEEEENSH_IJSG_SG_SG_EEES9_SI_JZNS1_25segmented_radix_sort_implINS0_14default_configELb1EPKiPiPKlPlN2at6native12_GLOBAL__N_18offset_tEEE10hipError_tPvRmT1_PNSt15iterator_traitsIS12_E10value_typeET2_T3_PNS13_IS18_E10value_typeET4_jRbjT5_S1E_jjP12ihipStream_tbEUljE_ZNSN_ISO_Lb1ESQ_SR_ST_SU_SY_EESZ_S10_S11_S12_S16_S17_S18_S1B_S1C_jS1D_jS1E_S1E_jjS1G_bEUljE0_EEESZ_S10_S11_S18_S1C_S1E_T6_T7_T9_mT8_S1G_bDpT10_ENKUlT_T0_E_clISt17integral_constantIbLb1EES1U_EEDaS1P_S1Q_EUlS1P_E_NS1_11comp_targetILNS1_3genE4ELNS1_11target_archE910ELNS1_3gpuE8ELNS1_3repE0EEENS1_30default_config_static_selectorELNS0_4arch9wavefront6targetE1EEEvS12_.uses_flat_scratch, 0
	.set _ZN7rocprim17ROCPRIM_400000_NS6detail17trampoline_kernelINS0_13select_configILj256ELj13ELNS0_17block_load_methodE3ELS4_3ELS4_3ELNS0_20block_scan_algorithmE0ELj4294967295EEENS1_25partition_config_selectorILNS1_17partition_subalgoE4EjNS0_10empty_typeEbEEZZNS1_14partition_implILS8_4ELb0ES6_15HIP_vector_typeIjLj2EENS0_17counting_iteratorIjlEEPS9_SG_NS0_5tupleIJPjSI_NS0_16reverse_iteratorISI_EEEEENSH_IJSG_SG_SG_EEES9_SI_JZNS1_25segmented_radix_sort_implINS0_14default_configELb1EPKiPiPKlPlN2at6native12_GLOBAL__N_18offset_tEEE10hipError_tPvRmT1_PNSt15iterator_traitsIS12_E10value_typeET2_T3_PNS13_IS18_E10value_typeET4_jRbjT5_S1E_jjP12ihipStream_tbEUljE_ZNSN_ISO_Lb1ESQ_SR_ST_SU_SY_EESZ_S10_S11_S12_S16_S17_S18_S1B_S1C_jS1D_jS1E_S1E_jjS1G_bEUljE0_EEESZ_S10_S11_S18_S1C_S1E_T6_T7_T9_mT8_S1G_bDpT10_ENKUlT_T0_E_clISt17integral_constantIbLb1EES1U_EEDaS1P_S1Q_EUlS1P_E_NS1_11comp_targetILNS1_3genE4ELNS1_11target_archE910ELNS1_3gpuE8ELNS1_3repE0EEENS1_30default_config_static_selectorELNS0_4arch9wavefront6targetE1EEEvS12_.has_dyn_sized_stack, 0
	.set _ZN7rocprim17ROCPRIM_400000_NS6detail17trampoline_kernelINS0_13select_configILj256ELj13ELNS0_17block_load_methodE3ELS4_3ELS4_3ELNS0_20block_scan_algorithmE0ELj4294967295EEENS1_25partition_config_selectorILNS1_17partition_subalgoE4EjNS0_10empty_typeEbEEZZNS1_14partition_implILS8_4ELb0ES6_15HIP_vector_typeIjLj2EENS0_17counting_iteratorIjlEEPS9_SG_NS0_5tupleIJPjSI_NS0_16reverse_iteratorISI_EEEEENSH_IJSG_SG_SG_EEES9_SI_JZNS1_25segmented_radix_sort_implINS0_14default_configELb1EPKiPiPKlPlN2at6native12_GLOBAL__N_18offset_tEEE10hipError_tPvRmT1_PNSt15iterator_traitsIS12_E10value_typeET2_T3_PNS13_IS18_E10value_typeET4_jRbjT5_S1E_jjP12ihipStream_tbEUljE_ZNSN_ISO_Lb1ESQ_SR_ST_SU_SY_EESZ_S10_S11_S12_S16_S17_S18_S1B_S1C_jS1D_jS1E_S1E_jjS1G_bEUljE0_EEESZ_S10_S11_S18_S1C_S1E_T6_T7_T9_mT8_S1G_bDpT10_ENKUlT_T0_E_clISt17integral_constantIbLb1EES1U_EEDaS1P_S1Q_EUlS1P_E_NS1_11comp_targetILNS1_3genE4ELNS1_11target_archE910ELNS1_3gpuE8ELNS1_3repE0EEENS1_30default_config_static_selectorELNS0_4arch9wavefront6targetE1EEEvS12_.has_recursion, 0
	.set _ZN7rocprim17ROCPRIM_400000_NS6detail17trampoline_kernelINS0_13select_configILj256ELj13ELNS0_17block_load_methodE3ELS4_3ELS4_3ELNS0_20block_scan_algorithmE0ELj4294967295EEENS1_25partition_config_selectorILNS1_17partition_subalgoE4EjNS0_10empty_typeEbEEZZNS1_14partition_implILS8_4ELb0ES6_15HIP_vector_typeIjLj2EENS0_17counting_iteratorIjlEEPS9_SG_NS0_5tupleIJPjSI_NS0_16reverse_iteratorISI_EEEEENSH_IJSG_SG_SG_EEES9_SI_JZNS1_25segmented_radix_sort_implINS0_14default_configELb1EPKiPiPKlPlN2at6native12_GLOBAL__N_18offset_tEEE10hipError_tPvRmT1_PNSt15iterator_traitsIS12_E10value_typeET2_T3_PNS13_IS18_E10value_typeET4_jRbjT5_S1E_jjP12ihipStream_tbEUljE_ZNSN_ISO_Lb1ESQ_SR_ST_SU_SY_EESZ_S10_S11_S12_S16_S17_S18_S1B_S1C_jS1D_jS1E_S1E_jjS1G_bEUljE0_EEESZ_S10_S11_S18_S1C_S1E_T6_T7_T9_mT8_S1G_bDpT10_ENKUlT_T0_E_clISt17integral_constantIbLb1EES1U_EEDaS1P_S1Q_EUlS1P_E_NS1_11comp_targetILNS1_3genE4ELNS1_11target_archE910ELNS1_3gpuE8ELNS1_3repE0EEENS1_30default_config_static_selectorELNS0_4arch9wavefront6targetE1EEEvS12_.has_indirect_call, 0
	.section	.AMDGPU.csdata,"",@progbits
; Kernel info:
; codeLenInByte = 0
; TotalNumSgprs: 4
; NumVgprs: 0
; ScratchSize: 0
; MemoryBound: 0
; FloatMode: 240
; IeeeMode: 1
; LDSByteSize: 0 bytes/workgroup (compile time only)
; SGPRBlocks: 0
; VGPRBlocks: 0
; NumSGPRsForWavesPerEU: 4
; NumVGPRsForWavesPerEU: 1
; Occupancy: 10
; WaveLimiterHint : 0
; COMPUTE_PGM_RSRC2:SCRATCH_EN: 0
; COMPUTE_PGM_RSRC2:USER_SGPR: 6
; COMPUTE_PGM_RSRC2:TRAP_HANDLER: 0
; COMPUTE_PGM_RSRC2:TGID_X_EN: 1
; COMPUTE_PGM_RSRC2:TGID_Y_EN: 0
; COMPUTE_PGM_RSRC2:TGID_Z_EN: 0
; COMPUTE_PGM_RSRC2:TIDIG_COMP_CNT: 0
	.section	.text._ZN7rocprim17ROCPRIM_400000_NS6detail17trampoline_kernelINS0_13select_configILj256ELj13ELNS0_17block_load_methodE3ELS4_3ELS4_3ELNS0_20block_scan_algorithmE0ELj4294967295EEENS1_25partition_config_selectorILNS1_17partition_subalgoE4EjNS0_10empty_typeEbEEZZNS1_14partition_implILS8_4ELb0ES6_15HIP_vector_typeIjLj2EENS0_17counting_iteratorIjlEEPS9_SG_NS0_5tupleIJPjSI_NS0_16reverse_iteratorISI_EEEEENSH_IJSG_SG_SG_EEES9_SI_JZNS1_25segmented_radix_sort_implINS0_14default_configELb1EPKiPiPKlPlN2at6native12_GLOBAL__N_18offset_tEEE10hipError_tPvRmT1_PNSt15iterator_traitsIS12_E10value_typeET2_T3_PNS13_IS18_E10value_typeET4_jRbjT5_S1E_jjP12ihipStream_tbEUljE_ZNSN_ISO_Lb1ESQ_SR_ST_SU_SY_EESZ_S10_S11_S12_S16_S17_S18_S1B_S1C_jS1D_jS1E_S1E_jjS1G_bEUljE0_EEESZ_S10_S11_S18_S1C_S1E_T6_T7_T9_mT8_S1G_bDpT10_ENKUlT_T0_E_clISt17integral_constantIbLb1EES1U_EEDaS1P_S1Q_EUlS1P_E_NS1_11comp_targetILNS1_3genE3ELNS1_11target_archE908ELNS1_3gpuE7ELNS1_3repE0EEENS1_30default_config_static_selectorELNS0_4arch9wavefront6targetE1EEEvS12_,"axG",@progbits,_ZN7rocprim17ROCPRIM_400000_NS6detail17trampoline_kernelINS0_13select_configILj256ELj13ELNS0_17block_load_methodE3ELS4_3ELS4_3ELNS0_20block_scan_algorithmE0ELj4294967295EEENS1_25partition_config_selectorILNS1_17partition_subalgoE4EjNS0_10empty_typeEbEEZZNS1_14partition_implILS8_4ELb0ES6_15HIP_vector_typeIjLj2EENS0_17counting_iteratorIjlEEPS9_SG_NS0_5tupleIJPjSI_NS0_16reverse_iteratorISI_EEEEENSH_IJSG_SG_SG_EEES9_SI_JZNS1_25segmented_radix_sort_implINS0_14default_configELb1EPKiPiPKlPlN2at6native12_GLOBAL__N_18offset_tEEE10hipError_tPvRmT1_PNSt15iterator_traitsIS12_E10value_typeET2_T3_PNS13_IS18_E10value_typeET4_jRbjT5_S1E_jjP12ihipStream_tbEUljE_ZNSN_ISO_Lb1ESQ_SR_ST_SU_SY_EESZ_S10_S11_S12_S16_S17_S18_S1B_S1C_jS1D_jS1E_S1E_jjS1G_bEUljE0_EEESZ_S10_S11_S18_S1C_S1E_T6_T7_T9_mT8_S1G_bDpT10_ENKUlT_T0_E_clISt17integral_constantIbLb1EES1U_EEDaS1P_S1Q_EUlS1P_E_NS1_11comp_targetILNS1_3genE3ELNS1_11target_archE908ELNS1_3gpuE7ELNS1_3repE0EEENS1_30default_config_static_selectorELNS0_4arch9wavefront6targetE1EEEvS12_,comdat
	.globl	_ZN7rocprim17ROCPRIM_400000_NS6detail17trampoline_kernelINS0_13select_configILj256ELj13ELNS0_17block_load_methodE3ELS4_3ELS4_3ELNS0_20block_scan_algorithmE0ELj4294967295EEENS1_25partition_config_selectorILNS1_17partition_subalgoE4EjNS0_10empty_typeEbEEZZNS1_14partition_implILS8_4ELb0ES6_15HIP_vector_typeIjLj2EENS0_17counting_iteratorIjlEEPS9_SG_NS0_5tupleIJPjSI_NS0_16reverse_iteratorISI_EEEEENSH_IJSG_SG_SG_EEES9_SI_JZNS1_25segmented_radix_sort_implINS0_14default_configELb1EPKiPiPKlPlN2at6native12_GLOBAL__N_18offset_tEEE10hipError_tPvRmT1_PNSt15iterator_traitsIS12_E10value_typeET2_T3_PNS13_IS18_E10value_typeET4_jRbjT5_S1E_jjP12ihipStream_tbEUljE_ZNSN_ISO_Lb1ESQ_SR_ST_SU_SY_EESZ_S10_S11_S12_S16_S17_S18_S1B_S1C_jS1D_jS1E_S1E_jjS1G_bEUljE0_EEESZ_S10_S11_S18_S1C_S1E_T6_T7_T9_mT8_S1G_bDpT10_ENKUlT_T0_E_clISt17integral_constantIbLb1EES1U_EEDaS1P_S1Q_EUlS1P_E_NS1_11comp_targetILNS1_3genE3ELNS1_11target_archE908ELNS1_3gpuE7ELNS1_3repE0EEENS1_30default_config_static_selectorELNS0_4arch9wavefront6targetE1EEEvS12_ ; -- Begin function _ZN7rocprim17ROCPRIM_400000_NS6detail17trampoline_kernelINS0_13select_configILj256ELj13ELNS0_17block_load_methodE3ELS4_3ELS4_3ELNS0_20block_scan_algorithmE0ELj4294967295EEENS1_25partition_config_selectorILNS1_17partition_subalgoE4EjNS0_10empty_typeEbEEZZNS1_14partition_implILS8_4ELb0ES6_15HIP_vector_typeIjLj2EENS0_17counting_iteratorIjlEEPS9_SG_NS0_5tupleIJPjSI_NS0_16reverse_iteratorISI_EEEEENSH_IJSG_SG_SG_EEES9_SI_JZNS1_25segmented_radix_sort_implINS0_14default_configELb1EPKiPiPKlPlN2at6native12_GLOBAL__N_18offset_tEEE10hipError_tPvRmT1_PNSt15iterator_traitsIS12_E10value_typeET2_T3_PNS13_IS18_E10value_typeET4_jRbjT5_S1E_jjP12ihipStream_tbEUljE_ZNSN_ISO_Lb1ESQ_SR_ST_SU_SY_EESZ_S10_S11_S12_S16_S17_S18_S1B_S1C_jS1D_jS1E_S1E_jjS1G_bEUljE0_EEESZ_S10_S11_S18_S1C_S1E_T6_T7_T9_mT8_S1G_bDpT10_ENKUlT_T0_E_clISt17integral_constantIbLb1EES1U_EEDaS1P_S1Q_EUlS1P_E_NS1_11comp_targetILNS1_3genE3ELNS1_11target_archE908ELNS1_3gpuE7ELNS1_3repE0EEENS1_30default_config_static_selectorELNS0_4arch9wavefront6targetE1EEEvS12_
	.p2align	8
	.type	_ZN7rocprim17ROCPRIM_400000_NS6detail17trampoline_kernelINS0_13select_configILj256ELj13ELNS0_17block_load_methodE3ELS4_3ELS4_3ELNS0_20block_scan_algorithmE0ELj4294967295EEENS1_25partition_config_selectorILNS1_17partition_subalgoE4EjNS0_10empty_typeEbEEZZNS1_14partition_implILS8_4ELb0ES6_15HIP_vector_typeIjLj2EENS0_17counting_iteratorIjlEEPS9_SG_NS0_5tupleIJPjSI_NS0_16reverse_iteratorISI_EEEEENSH_IJSG_SG_SG_EEES9_SI_JZNS1_25segmented_radix_sort_implINS0_14default_configELb1EPKiPiPKlPlN2at6native12_GLOBAL__N_18offset_tEEE10hipError_tPvRmT1_PNSt15iterator_traitsIS12_E10value_typeET2_T3_PNS13_IS18_E10value_typeET4_jRbjT5_S1E_jjP12ihipStream_tbEUljE_ZNSN_ISO_Lb1ESQ_SR_ST_SU_SY_EESZ_S10_S11_S12_S16_S17_S18_S1B_S1C_jS1D_jS1E_S1E_jjS1G_bEUljE0_EEESZ_S10_S11_S18_S1C_S1E_T6_T7_T9_mT8_S1G_bDpT10_ENKUlT_T0_E_clISt17integral_constantIbLb1EES1U_EEDaS1P_S1Q_EUlS1P_E_NS1_11comp_targetILNS1_3genE3ELNS1_11target_archE908ELNS1_3gpuE7ELNS1_3repE0EEENS1_30default_config_static_selectorELNS0_4arch9wavefront6targetE1EEEvS12_,@function
_ZN7rocprim17ROCPRIM_400000_NS6detail17trampoline_kernelINS0_13select_configILj256ELj13ELNS0_17block_load_methodE3ELS4_3ELS4_3ELNS0_20block_scan_algorithmE0ELj4294967295EEENS1_25partition_config_selectorILNS1_17partition_subalgoE4EjNS0_10empty_typeEbEEZZNS1_14partition_implILS8_4ELb0ES6_15HIP_vector_typeIjLj2EENS0_17counting_iteratorIjlEEPS9_SG_NS0_5tupleIJPjSI_NS0_16reverse_iteratorISI_EEEEENSH_IJSG_SG_SG_EEES9_SI_JZNS1_25segmented_radix_sort_implINS0_14default_configELb1EPKiPiPKlPlN2at6native12_GLOBAL__N_18offset_tEEE10hipError_tPvRmT1_PNSt15iterator_traitsIS12_E10value_typeET2_T3_PNS13_IS18_E10value_typeET4_jRbjT5_S1E_jjP12ihipStream_tbEUljE_ZNSN_ISO_Lb1ESQ_SR_ST_SU_SY_EESZ_S10_S11_S12_S16_S17_S18_S1B_S1C_jS1D_jS1E_S1E_jjS1G_bEUljE0_EEESZ_S10_S11_S18_S1C_S1E_T6_T7_T9_mT8_S1G_bDpT10_ENKUlT_T0_E_clISt17integral_constantIbLb1EES1U_EEDaS1P_S1Q_EUlS1P_E_NS1_11comp_targetILNS1_3genE3ELNS1_11target_archE908ELNS1_3gpuE7ELNS1_3repE0EEENS1_30default_config_static_selectorELNS0_4arch9wavefront6targetE1EEEvS12_: ; @_ZN7rocprim17ROCPRIM_400000_NS6detail17trampoline_kernelINS0_13select_configILj256ELj13ELNS0_17block_load_methodE3ELS4_3ELS4_3ELNS0_20block_scan_algorithmE0ELj4294967295EEENS1_25partition_config_selectorILNS1_17partition_subalgoE4EjNS0_10empty_typeEbEEZZNS1_14partition_implILS8_4ELb0ES6_15HIP_vector_typeIjLj2EENS0_17counting_iteratorIjlEEPS9_SG_NS0_5tupleIJPjSI_NS0_16reverse_iteratorISI_EEEEENSH_IJSG_SG_SG_EEES9_SI_JZNS1_25segmented_radix_sort_implINS0_14default_configELb1EPKiPiPKlPlN2at6native12_GLOBAL__N_18offset_tEEE10hipError_tPvRmT1_PNSt15iterator_traitsIS12_E10value_typeET2_T3_PNS13_IS18_E10value_typeET4_jRbjT5_S1E_jjP12ihipStream_tbEUljE_ZNSN_ISO_Lb1ESQ_SR_ST_SU_SY_EESZ_S10_S11_S12_S16_S17_S18_S1B_S1C_jS1D_jS1E_S1E_jjS1G_bEUljE0_EEESZ_S10_S11_S18_S1C_S1E_T6_T7_T9_mT8_S1G_bDpT10_ENKUlT_T0_E_clISt17integral_constantIbLb1EES1U_EEDaS1P_S1Q_EUlS1P_E_NS1_11comp_targetILNS1_3genE3ELNS1_11target_archE908ELNS1_3gpuE7ELNS1_3repE0EEENS1_30default_config_static_selectorELNS0_4arch9wavefront6targetE1EEEvS12_
; %bb.0:
	.section	.rodata,"a",@progbits
	.p2align	6, 0x0
	.amdhsa_kernel _ZN7rocprim17ROCPRIM_400000_NS6detail17trampoline_kernelINS0_13select_configILj256ELj13ELNS0_17block_load_methodE3ELS4_3ELS4_3ELNS0_20block_scan_algorithmE0ELj4294967295EEENS1_25partition_config_selectorILNS1_17partition_subalgoE4EjNS0_10empty_typeEbEEZZNS1_14partition_implILS8_4ELb0ES6_15HIP_vector_typeIjLj2EENS0_17counting_iteratorIjlEEPS9_SG_NS0_5tupleIJPjSI_NS0_16reverse_iteratorISI_EEEEENSH_IJSG_SG_SG_EEES9_SI_JZNS1_25segmented_radix_sort_implINS0_14default_configELb1EPKiPiPKlPlN2at6native12_GLOBAL__N_18offset_tEEE10hipError_tPvRmT1_PNSt15iterator_traitsIS12_E10value_typeET2_T3_PNS13_IS18_E10value_typeET4_jRbjT5_S1E_jjP12ihipStream_tbEUljE_ZNSN_ISO_Lb1ESQ_SR_ST_SU_SY_EESZ_S10_S11_S12_S16_S17_S18_S1B_S1C_jS1D_jS1E_S1E_jjS1G_bEUljE0_EEESZ_S10_S11_S18_S1C_S1E_T6_T7_T9_mT8_S1G_bDpT10_ENKUlT_T0_E_clISt17integral_constantIbLb1EES1U_EEDaS1P_S1Q_EUlS1P_E_NS1_11comp_targetILNS1_3genE3ELNS1_11target_archE908ELNS1_3gpuE7ELNS1_3repE0EEENS1_30default_config_static_selectorELNS0_4arch9wavefront6targetE1EEEvS12_
		.amdhsa_group_segment_fixed_size 0
		.amdhsa_private_segment_fixed_size 0
		.amdhsa_kernarg_size 184
		.amdhsa_user_sgpr_count 6
		.amdhsa_user_sgpr_private_segment_buffer 1
		.amdhsa_user_sgpr_dispatch_ptr 0
		.amdhsa_user_sgpr_queue_ptr 0
		.amdhsa_user_sgpr_kernarg_segment_ptr 1
		.amdhsa_user_sgpr_dispatch_id 0
		.amdhsa_user_sgpr_flat_scratch_init 0
		.amdhsa_user_sgpr_private_segment_size 0
		.amdhsa_uses_dynamic_stack 0
		.amdhsa_system_sgpr_private_segment_wavefront_offset 0
		.amdhsa_system_sgpr_workgroup_id_x 1
		.amdhsa_system_sgpr_workgroup_id_y 0
		.amdhsa_system_sgpr_workgroup_id_z 0
		.amdhsa_system_sgpr_workgroup_info 0
		.amdhsa_system_vgpr_workitem_id 0
		.amdhsa_next_free_vgpr 1
		.amdhsa_next_free_sgpr 0
		.amdhsa_reserve_vcc 0
		.amdhsa_reserve_flat_scratch 0
		.amdhsa_float_round_mode_32 0
		.amdhsa_float_round_mode_16_64 0
		.amdhsa_float_denorm_mode_32 3
		.amdhsa_float_denorm_mode_16_64 3
		.amdhsa_dx10_clamp 1
		.amdhsa_ieee_mode 1
		.amdhsa_fp16_overflow 0
		.amdhsa_exception_fp_ieee_invalid_op 0
		.amdhsa_exception_fp_denorm_src 0
		.amdhsa_exception_fp_ieee_div_zero 0
		.amdhsa_exception_fp_ieee_overflow 0
		.amdhsa_exception_fp_ieee_underflow 0
		.amdhsa_exception_fp_ieee_inexact 0
		.amdhsa_exception_int_div_zero 0
	.end_amdhsa_kernel
	.section	.text._ZN7rocprim17ROCPRIM_400000_NS6detail17trampoline_kernelINS0_13select_configILj256ELj13ELNS0_17block_load_methodE3ELS4_3ELS4_3ELNS0_20block_scan_algorithmE0ELj4294967295EEENS1_25partition_config_selectorILNS1_17partition_subalgoE4EjNS0_10empty_typeEbEEZZNS1_14partition_implILS8_4ELb0ES6_15HIP_vector_typeIjLj2EENS0_17counting_iteratorIjlEEPS9_SG_NS0_5tupleIJPjSI_NS0_16reverse_iteratorISI_EEEEENSH_IJSG_SG_SG_EEES9_SI_JZNS1_25segmented_radix_sort_implINS0_14default_configELb1EPKiPiPKlPlN2at6native12_GLOBAL__N_18offset_tEEE10hipError_tPvRmT1_PNSt15iterator_traitsIS12_E10value_typeET2_T3_PNS13_IS18_E10value_typeET4_jRbjT5_S1E_jjP12ihipStream_tbEUljE_ZNSN_ISO_Lb1ESQ_SR_ST_SU_SY_EESZ_S10_S11_S12_S16_S17_S18_S1B_S1C_jS1D_jS1E_S1E_jjS1G_bEUljE0_EEESZ_S10_S11_S18_S1C_S1E_T6_T7_T9_mT8_S1G_bDpT10_ENKUlT_T0_E_clISt17integral_constantIbLb1EES1U_EEDaS1P_S1Q_EUlS1P_E_NS1_11comp_targetILNS1_3genE3ELNS1_11target_archE908ELNS1_3gpuE7ELNS1_3repE0EEENS1_30default_config_static_selectorELNS0_4arch9wavefront6targetE1EEEvS12_,"axG",@progbits,_ZN7rocprim17ROCPRIM_400000_NS6detail17trampoline_kernelINS0_13select_configILj256ELj13ELNS0_17block_load_methodE3ELS4_3ELS4_3ELNS0_20block_scan_algorithmE0ELj4294967295EEENS1_25partition_config_selectorILNS1_17partition_subalgoE4EjNS0_10empty_typeEbEEZZNS1_14partition_implILS8_4ELb0ES6_15HIP_vector_typeIjLj2EENS0_17counting_iteratorIjlEEPS9_SG_NS0_5tupleIJPjSI_NS0_16reverse_iteratorISI_EEEEENSH_IJSG_SG_SG_EEES9_SI_JZNS1_25segmented_radix_sort_implINS0_14default_configELb1EPKiPiPKlPlN2at6native12_GLOBAL__N_18offset_tEEE10hipError_tPvRmT1_PNSt15iterator_traitsIS12_E10value_typeET2_T3_PNS13_IS18_E10value_typeET4_jRbjT5_S1E_jjP12ihipStream_tbEUljE_ZNSN_ISO_Lb1ESQ_SR_ST_SU_SY_EESZ_S10_S11_S12_S16_S17_S18_S1B_S1C_jS1D_jS1E_S1E_jjS1G_bEUljE0_EEESZ_S10_S11_S18_S1C_S1E_T6_T7_T9_mT8_S1G_bDpT10_ENKUlT_T0_E_clISt17integral_constantIbLb1EES1U_EEDaS1P_S1Q_EUlS1P_E_NS1_11comp_targetILNS1_3genE3ELNS1_11target_archE908ELNS1_3gpuE7ELNS1_3repE0EEENS1_30default_config_static_selectorELNS0_4arch9wavefront6targetE1EEEvS12_,comdat
.Lfunc_end444:
	.size	_ZN7rocprim17ROCPRIM_400000_NS6detail17trampoline_kernelINS0_13select_configILj256ELj13ELNS0_17block_load_methodE3ELS4_3ELS4_3ELNS0_20block_scan_algorithmE0ELj4294967295EEENS1_25partition_config_selectorILNS1_17partition_subalgoE4EjNS0_10empty_typeEbEEZZNS1_14partition_implILS8_4ELb0ES6_15HIP_vector_typeIjLj2EENS0_17counting_iteratorIjlEEPS9_SG_NS0_5tupleIJPjSI_NS0_16reverse_iteratorISI_EEEEENSH_IJSG_SG_SG_EEES9_SI_JZNS1_25segmented_radix_sort_implINS0_14default_configELb1EPKiPiPKlPlN2at6native12_GLOBAL__N_18offset_tEEE10hipError_tPvRmT1_PNSt15iterator_traitsIS12_E10value_typeET2_T3_PNS13_IS18_E10value_typeET4_jRbjT5_S1E_jjP12ihipStream_tbEUljE_ZNSN_ISO_Lb1ESQ_SR_ST_SU_SY_EESZ_S10_S11_S12_S16_S17_S18_S1B_S1C_jS1D_jS1E_S1E_jjS1G_bEUljE0_EEESZ_S10_S11_S18_S1C_S1E_T6_T7_T9_mT8_S1G_bDpT10_ENKUlT_T0_E_clISt17integral_constantIbLb1EES1U_EEDaS1P_S1Q_EUlS1P_E_NS1_11comp_targetILNS1_3genE3ELNS1_11target_archE908ELNS1_3gpuE7ELNS1_3repE0EEENS1_30default_config_static_selectorELNS0_4arch9wavefront6targetE1EEEvS12_, .Lfunc_end444-_ZN7rocprim17ROCPRIM_400000_NS6detail17trampoline_kernelINS0_13select_configILj256ELj13ELNS0_17block_load_methodE3ELS4_3ELS4_3ELNS0_20block_scan_algorithmE0ELj4294967295EEENS1_25partition_config_selectorILNS1_17partition_subalgoE4EjNS0_10empty_typeEbEEZZNS1_14partition_implILS8_4ELb0ES6_15HIP_vector_typeIjLj2EENS0_17counting_iteratorIjlEEPS9_SG_NS0_5tupleIJPjSI_NS0_16reverse_iteratorISI_EEEEENSH_IJSG_SG_SG_EEES9_SI_JZNS1_25segmented_radix_sort_implINS0_14default_configELb1EPKiPiPKlPlN2at6native12_GLOBAL__N_18offset_tEEE10hipError_tPvRmT1_PNSt15iterator_traitsIS12_E10value_typeET2_T3_PNS13_IS18_E10value_typeET4_jRbjT5_S1E_jjP12ihipStream_tbEUljE_ZNSN_ISO_Lb1ESQ_SR_ST_SU_SY_EESZ_S10_S11_S12_S16_S17_S18_S1B_S1C_jS1D_jS1E_S1E_jjS1G_bEUljE0_EEESZ_S10_S11_S18_S1C_S1E_T6_T7_T9_mT8_S1G_bDpT10_ENKUlT_T0_E_clISt17integral_constantIbLb1EES1U_EEDaS1P_S1Q_EUlS1P_E_NS1_11comp_targetILNS1_3genE3ELNS1_11target_archE908ELNS1_3gpuE7ELNS1_3repE0EEENS1_30default_config_static_selectorELNS0_4arch9wavefront6targetE1EEEvS12_
                                        ; -- End function
	.set _ZN7rocprim17ROCPRIM_400000_NS6detail17trampoline_kernelINS0_13select_configILj256ELj13ELNS0_17block_load_methodE3ELS4_3ELS4_3ELNS0_20block_scan_algorithmE0ELj4294967295EEENS1_25partition_config_selectorILNS1_17partition_subalgoE4EjNS0_10empty_typeEbEEZZNS1_14partition_implILS8_4ELb0ES6_15HIP_vector_typeIjLj2EENS0_17counting_iteratorIjlEEPS9_SG_NS0_5tupleIJPjSI_NS0_16reverse_iteratorISI_EEEEENSH_IJSG_SG_SG_EEES9_SI_JZNS1_25segmented_radix_sort_implINS0_14default_configELb1EPKiPiPKlPlN2at6native12_GLOBAL__N_18offset_tEEE10hipError_tPvRmT1_PNSt15iterator_traitsIS12_E10value_typeET2_T3_PNS13_IS18_E10value_typeET4_jRbjT5_S1E_jjP12ihipStream_tbEUljE_ZNSN_ISO_Lb1ESQ_SR_ST_SU_SY_EESZ_S10_S11_S12_S16_S17_S18_S1B_S1C_jS1D_jS1E_S1E_jjS1G_bEUljE0_EEESZ_S10_S11_S18_S1C_S1E_T6_T7_T9_mT8_S1G_bDpT10_ENKUlT_T0_E_clISt17integral_constantIbLb1EES1U_EEDaS1P_S1Q_EUlS1P_E_NS1_11comp_targetILNS1_3genE3ELNS1_11target_archE908ELNS1_3gpuE7ELNS1_3repE0EEENS1_30default_config_static_selectorELNS0_4arch9wavefront6targetE1EEEvS12_.num_vgpr, 0
	.set _ZN7rocprim17ROCPRIM_400000_NS6detail17trampoline_kernelINS0_13select_configILj256ELj13ELNS0_17block_load_methodE3ELS4_3ELS4_3ELNS0_20block_scan_algorithmE0ELj4294967295EEENS1_25partition_config_selectorILNS1_17partition_subalgoE4EjNS0_10empty_typeEbEEZZNS1_14partition_implILS8_4ELb0ES6_15HIP_vector_typeIjLj2EENS0_17counting_iteratorIjlEEPS9_SG_NS0_5tupleIJPjSI_NS0_16reverse_iteratorISI_EEEEENSH_IJSG_SG_SG_EEES9_SI_JZNS1_25segmented_radix_sort_implINS0_14default_configELb1EPKiPiPKlPlN2at6native12_GLOBAL__N_18offset_tEEE10hipError_tPvRmT1_PNSt15iterator_traitsIS12_E10value_typeET2_T3_PNS13_IS18_E10value_typeET4_jRbjT5_S1E_jjP12ihipStream_tbEUljE_ZNSN_ISO_Lb1ESQ_SR_ST_SU_SY_EESZ_S10_S11_S12_S16_S17_S18_S1B_S1C_jS1D_jS1E_S1E_jjS1G_bEUljE0_EEESZ_S10_S11_S18_S1C_S1E_T6_T7_T9_mT8_S1G_bDpT10_ENKUlT_T0_E_clISt17integral_constantIbLb1EES1U_EEDaS1P_S1Q_EUlS1P_E_NS1_11comp_targetILNS1_3genE3ELNS1_11target_archE908ELNS1_3gpuE7ELNS1_3repE0EEENS1_30default_config_static_selectorELNS0_4arch9wavefront6targetE1EEEvS12_.num_agpr, 0
	.set _ZN7rocprim17ROCPRIM_400000_NS6detail17trampoline_kernelINS0_13select_configILj256ELj13ELNS0_17block_load_methodE3ELS4_3ELS4_3ELNS0_20block_scan_algorithmE0ELj4294967295EEENS1_25partition_config_selectorILNS1_17partition_subalgoE4EjNS0_10empty_typeEbEEZZNS1_14partition_implILS8_4ELb0ES6_15HIP_vector_typeIjLj2EENS0_17counting_iteratorIjlEEPS9_SG_NS0_5tupleIJPjSI_NS0_16reverse_iteratorISI_EEEEENSH_IJSG_SG_SG_EEES9_SI_JZNS1_25segmented_radix_sort_implINS0_14default_configELb1EPKiPiPKlPlN2at6native12_GLOBAL__N_18offset_tEEE10hipError_tPvRmT1_PNSt15iterator_traitsIS12_E10value_typeET2_T3_PNS13_IS18_E10value_typeET4_jRbjT5_S1E_jjP12ihipStream_tbEUljE_ZNSN_ISO_Lb1ESQ_SR_ST_SU_SY_EESZ_S10_S11_S12_S16_S17_S18_S1B_S1C_jS1D_jS1E_S1E_jjS1G_bEUljE0_EEESZ_S10_S11_S18_S1C_S1E_T6_T7_T9_mT8_S1G_bDpT10_ENKUlT_T0_E_clISt17integral_constantIbLb1EES1U_EEDaS1P_S1Q_EUlS1P_E_NS1_11comp_targetILNS1_3genE3ELNS1_11target_archE908ELNS1_3gpuE7ELNS1_3repE0EEENS1_30default_config_static_selectorELNS0_4arch9wavefront6targetE1EEEvS12_.numbered_sgpr, 0
	.set _ZN7rocprim17ROCPRIM_400000_NS6detail17trampoline_kernelINS0_13select_configILj256ELj13ELNS0_17block_load_methodE3ELS4_3ELS4_3ELNS0_20block_scan_algorithmE0ELj4294967295EEENS1_25partition_config_selectorILNS1_17partition_subalgoE4EjNS0_10empty_typeEbEEZZNS1_14partition_implILS8_4ELb0ES6_15HIP_vector_typeIjLj2EENS0_17counting_iteratorIjlEEPS9_SG_NS0_5tupleIJPjSI_NS0_16reverse_iteratorISI_EEEEENSH_IJSG_SG_SG_EEES9_SI_JZNS1_25segmented_radix_sort_implINS0_14default_configELb1EPKiPiPKlPlN2at6native12_GLOBAL__N_18offset_tEEE10hipError_tPvRmT1_PNSt15iterator_traitsIS12_E10value_typeET2_T3_PNS13_IS18_E10value_typeET4_jRbjT5_S1E_jjP12ihipStream_tbEUljE_ZNSN_ISO_Lb1ESQ_SR_ST_SU_SY_EESZ_S10_S11_S12_S16_S17_S18_S1B_S1C_jS1D_jS1E_S1E_jjS1G_bEUljE0_EEESZ_S10_S11_S18_S1C_S1E_T6_T7_T9_mT8_S1G_bDpT10_ENKUlT_T0_E_clISt17integral_constantIbLb1EES1U_EEDaS1P_S1Q_EUlS1P_E_NS1_11comp_targetILNS1_3genE3ELNS1_11target_archE908ELNS1_3gpuE7ELNS1_3repE0EEENS1_30default_config_static_selectorELNS0_4arch9wavefront6targetE1EEEvS12_.num_named_barrier, 0
	.set _ZN7rocprim17ROCPRIM_400000_NS6detail17trampoline_kernelINS0_13select_configILj256ELj13ELNS0_17block_load_methodE3ELS4_3ELS4_3ELNS0_20block_scan_algorithmE0ELj4294967295EEENS1_25partition_config_selectorILNS1_17partition_subalgoE4EjNS0_10empty_typeEbEEZZNS1_14partition_implILS8_4ELb0ES6_15HIP_vector_typeIjLj2EENS0_17counting_iteratorIjlEEPS9_SG_NS0_5tupleIJPjSI_NS0_16reverse_iteratorISI_EEEEENSH_IJSG_SG_SG_EEES9_SI_JZNS1_25segmented_radix_sort_implINS0_14default_configELb1EPKiPiPKlPlN2at6native12_GLOBAL__N_18offset_tEEE10hipError_tPvRmT1_PNSt15iterator_traitsIS12_E10value_typeET2_T3_PNS13_IS18_E10value_typeET4_jRbjT5_S1E_jjP12ihipStream_tbEUljE_ZNSN_ISO_Lb1ESQ_SR_ST_SU_SY_EESZ_S10_S11_S12_S16_S17_S18_S1B_S1C_jS1D_jS1E_S1E_jjS1G_bEUljE0_EEESZ_S10_S11_S18_S1C_S1E_T6_T7_T9_mT8_S1G_bDpT10_ENKUlT_T0_E_clISt17integral_constantIbLb1EES1U_EEDaS1P_S1Q_EUlS1P_E_NS1_11comp_targetILNS1_3genE3ELNS1_11target_archE908ELNS1_3gpuE7ELNS1_3repE0EEENS1_30default_config_static_selectorELNS0_4arch9wavefront6targetE1EEEvS12_.private_seg_size, 0
	.set _ZN7rocprim17ROCPRIM_400000_NS6detail17trampoline_kernelINS0_13select_configILj256ELj13ELNS0_17block_load_methodE3ELS4_3ELS4_3ELNS0_20block_scan_algorithmE0ELj4294967295EEENS1_25partition_config_selectorILNS1_17partition_subalgoE4EjNS0_10empty_typeEbEEZZNS1_14partition_implILS8_4ELb0ES6_15HIP_vector_typeIjLj2EENS0_17counting_iteratorIjlEEPS9_SG_NS0_5tupleIJPjSI_NS0_16reverse_iteratorISI_EEEEENSH_IJSG_SG_SG_EEES9_SI_JZNS1_25segmented_radix_sort_implINS0_14default_configELb1EPKiPiPKlPlN2at6native12_GLOBAL__N_18offset_tEEE10hipError_tPvRmT1_PNSt15iterator_traitsIS12_E10value_typeET2_T3_PNS13_IS18_E10value_typeET4_jRbjT5_S1E_jjP12ihipStream_tbEUljE_ZNSN_ISO_Lb1ESQ_SR_ST_SU_SY_EESZ_S10_S11_S12_S16_S17_S18_S1B_S1C_jS1D_jS1E_S1E_jjS1G_bEUljE0_EEESZ_S10_S11_S18_S1C_S1E_T6_T7_T9_mT8_S1G_bDpT10_ENKUlT_T0_E_clISt17integral_constantIbLb1EES1U_EEDaS1P_S1Q_EUlS1P_E_NS1_11comp_targetILNS1_3genE3ELNS1_11target_archE908ELNS1_3gpuE7ELNS1_3repE0EEENS1_30default_config_static_selectorELNS0_4arch9wavefront6targetE1EEEvS12_.uses_vcc, 0
	.set _ZN7rocprim17ROCPRIM_400000_NS6detail17trampoline_kernelINS0_13select_configILj256ELj13ELNS0_17block_load_methodE3ELS4_3ELS4_3ELNS0_20block_scan_algorithmE0ELj4294967295EEENS1_25partition_config_selectorILNS1_17partition_subalgoE4EjNS0_10empty_typeEbEEZZNS1_14partition_implILS8_4ELb0ES6_15HIP_vector_typeIjLj2EENS0_17counting_iteratorIjlEEPS9_SG_NS0_5tupleIJPjSI_NS0_16reverse_iteratorISI_EEEEENSH_IJSG_SG_SG_EEES9_SI_JZNS1_25segmented_radix_sort_implINS0_14default_configELb1EPKiPiPKlPlN2at6native12_GLOBAL__N_18offset_tEEE10hipError_tPvRmT1_PNSt15iterator_traitsIS12_E10value_typeET2_T3_PNS13_IS18_E10value_typeET4_jRbjT5_S1E_jjP12ihipStream_tbEUljE_ZNSN_ISO_Lb1ESQ_SR_ST_SU_SY_EESZ_S10_S11_S12_S16_S17_S18_S1B_S1C_jS1D_jS1E_S1E_jjS1G_bEUljE0_EEESZ_S10_S11_S18_S1C_S1E_T6_T7_T9_mT8_S1G_bDpT10_ENKUlT_T0_E_clISt17integral_constantIbLb1EES1U_EEDaS1P_S1Q_EUlS1P_E_NS1_11comp_targetILNS1_3genE3ELNS1_11target_archE908ELNS1_3gpuE7ELNS1_3repE0EEENS1_30default_config_static_selectorELNS0_4arch9wavefront6targetE1EEEvS12_.uses_flat_scratch, 0
	.set _ZN7rocprim17ROCPRIM_400000_NS6detail17trampoline_kernelINS0_13select_configILj256ELj13ELNS0_17block_load_methodE3ELS4_3ELS4_3ELNS0_20block_scan_algorithmE0ELj4294967295EEENS1_25partition_config_selectorILNS1_17partition_subalgoE4EjNS0_10empty_typeEbEEZZNS1_14partition_implILS8_4ELb0ES6_15HIP_vector_typeIjLj2EENS0_17counting_iteratorIjlEEPS9_SG_NS0_5tupleIJPjSI_NS0_16reverse_iteratorISI_EEEEENSH_IJSG_SG_SG_EEES9_SI_JZNS1_25segmented_radix_sort_implINS0_14default_configELb1EPKiPiPKlPlN2at6native12_GLOBAL__N_18offset_tEEE10hipError_tPvRmT1_PNSt15iterator_traitsIS12_E10value_typeET2_T3_PNS13_IS18_E10value_typeET4_jRbjT5_S1E_jjP12ihipStream_tbEUljE_ZNSN_ISO_Lb1ESQ_SR_ST_SU_SY_EESZ_S10_S11_S12_S16_S17_S18_S1B_S1C_jS1D_jS1E_S1E_jjS1G_bEUljE0_EEESZ_S10_S11_S18_S1C_S1E_T6_T7_T9_mT8_S1G_bDpT10_ENKUlT_T0_E_clISt17integral_constantIbLb1EES1U_EEDaS1P_S1Q_EUlS1P_E_NS1_11comp_targetILNS1_3genE3ELNS1_11target_archE908ELNS1_3gpuE7ELNS1_3repE0EEENS1_30default_config_static_selectorELNS0_4arch9wavefront6targetE1EEEvS12_.has_dyn_sized_stack, 0
	.set _ZN7rocprim17ROCPRIM_400000_NS6detail17trampoline_kernelINS0_13select_configILj256ELj13ELNS0_17block_load_methodE3ELS4_3ELS4_3ELNS0_20block_scan_algorithmE0ELj4294967295EEENS1_25partition_config_selectorILNS1_17partition_subalgoE4EjNS0_10empty_typeEbEEZZNS1_14partition_implILS8_4ELb0ES6_15HIP_vector_typeIjLj2EENS0_17counting_iteratorIjlEEPS9_SG_NS0_5tupleIJPjSI_NS0_16reverse_iteratorISI_EEEEENSH_IJSG_SG_SG_EEES9_SI_JZNS1_25segmented_radix_sort_implINS0_14default_configELb1EPKiPiPKlPlN2at6native12_GLOBAL__N_18offset_tEEE10hipError_tPvRmT1_PNSt15iterator_traitsIS12_E10value_typeET2_T3_PNS13_IS18_E10value_typeET4_jRbjT5_S1E_jjP12ihipStream_tbEUljE_ZNSN_ISO_Lb1ESQ_SR_ST_SU_SY_EESZ_S10_S11_S12_S16_S17_S18_S1B_S1C_jS1D_jS1E_S1E_jjS1G_bEUljE0_EEESZ_S10_S11_S18_S1C_S1E_T6_T7_T9_mT8_S1G_bDpT10_ENKUlT_T0_E_clISt17integral_constantIbLb1EES1U_EEDaS1P_S1Q_EUlS1P_E_NS1_11comp_targetILNS1_3genE3ELNS1_11target_archE908ELNS1_3gpuE7ELNS1_3repE0EEENS1_30default_config_static_selectorELNS0_4arch9wavefront6targetE1EEEvS12_.has_recursion, 0
	.set _ZN7rocprim17ROCPRIM_400000_NS6detail17trampoline_kernelINS0_13select_configILj256ELj13ELNS0_17block_load_methodE3ELS4_3ELS4_3ELNS0_20block_scan_algorithmE0ELj4294967295EEENS1_25partition_config_selectorILNS1_17partition_subalgoE4EjNS0_10empty_typeEbEEZZNS1_14partition_implILS8_4ELb0ES6_15HIP_vector_typeIjLj2EENS0_17counting_iteratorIjlEEPS9_SG_NS0_5tupleIJPjSI_NS0_16reverse_iteratorISI_EEEEENSH_IJSG_SG_SG_EEES9_SI_JZNS1_25segmented_radix_sort_implINS0_14default_configELb1EPKiPiPKlPlN2at6native12_GLOBAL__N_18offset_tEEE10hipError_tPvRmT1_PNSt15iterator_traitsIS12_E10value_typeET2_T3_PNS13_IS18_E10value_typeET4_jRbjT5_S1E_jjP12ihipStream_tbEUljE_ZNSN_ISO_Lb1ESQ_SR_ST_SU_SY_EESZ_S10_S11_S12_S16_S17_S18_S1B_S1C_jS1D_jS1E_S1E_jjS1G_bEUljE0_EEESZ_S10_S11_S18_S1C_S1E_T6_T7_T9_mT8_S1G_bDpT10_ENKUlT_T0_E_clISt17integral_constantIbLb1EES1U_EEDaS1P_S1Q_EUlS1P_E_NS1_11comp_targetILNS1_3genE3ELNS1_11target_archE908ELNS1_3gpuE7ELNS1_3repE0EEENS1_30default_config_static_selectorELNS0_4arch9wavefront6targetE1EEEvS12_.has_indirect_call, 0
	.section	.AMDGPU.csdata,"",@progbits
; Kernel info:
; codeLenInByte = 0
; TotalNumSgprs: 4
; NumVgprs: 0
; ScratchSize: 0
; MemoryBound: 0
; FloatMode: 240
; IeeeMode: 1
; LDSByteSize: 0 bytes/workgroup (compile time only)
; SGPRBlocks: 0
; VGPRBlocks: 0
; NumSGPRsForWavesPerEU: 4
; NumVGPRsForWavesPerEU: 1
; Occupancy: 10
; WaveLimiterHint : 0
; COMPUTE_PGM_RSRC2:SCRATCH_EN: 0
; COMPUTE_PGM_RSRC2:USER_SGPR: 6
; COMPUTE_PGM_RSRC2:TRAP_HANDLER: 0
; COMPUTE_PGM_RSRC2:TGID_X_EN: 1
; COMPUTE_PGM_RSRC2:TGID_Y_EN: 0
; COMPUTE_PGM_RSRC2:TGID_Z_EN: 0
; COMPUTE_PGM_RSRC2:TIDIG_COMP_CNT: 0
	.section	.text._ZN7rocprim17ROCPRIM_400000_NS6detail17trampoline_kernelINS0_13select_configILj256ELj13ELNS0_17block_load_methodE3ELS4_3ELS4_3ELNS0_20block_scan_algorithmE0ELj4294967295EEENS1_25partition_config_selectorILNS1_17partition_subalgoE4EjNS0_10empty_typeEbEEZZNS1_14partition_implILS8_4ELb0ES6_15HIP_vector_typeIjLj2EENS0_17counting_iteratorIjlEEPS9_SG_NS0_5tupleIJPjSI_NS0_16reverse_iteratorISI_EEEEENSH_IJSG_SG_SG_EEES9_SI_JZNS1_25segmented_radix_sort_implINS0_14default_configELb1EPKiPiPKlPlN2at6native12_GLOBAL__N_18offset_tEEE10hipError_tPvRmT1_PNSt15iterator_traitsIS12_E10value_typeET2_T3_PNS13_IS18_E10value_typeET4_jRbjT5_S1E_jjP12ihipStream_tbEUljE_ZNSN_ISO_Lb1ESQ_SR_ST_SU_SY_EESZ_S10_S11_S12_S16_S17_S18_S1B_S1C_jS1D_jS1E_S1E_jjS1G_bEUljE0_EEESZ_S10_S11_S18_S1C_S1E_T6_T7_T9_mT8_S1G_bDpT10_ENKUlT_T0_E_clISt17integral_constantIbLb1EES1U_EEDaS1P_S1Q_EUlS1P_E_NS1_11comp_targetILNS1_3genE2ELNS1_11target_archE906ELNS1_3gpuE6ELNS1_3repE0EEENS1_30default_config_static_selectorELNS0_4arch9wavefront6targetE1EEEvS12_,"axG",@progbits,_ZN7rocprim17ROCPRIM_400000_NS6detail17trampoline_kernelINS0_13select_configILj256ELj13ELNS0_17block_load_methodE3ELS4_3ELS4_3ELNS0_20block_scan_algorithmE0ELj4294967295EEENS1_25partition_config_selectorILNS1_17partition_subalgoE4EjNS0_10empty_typeEbEEZZNS1_14partition_implILS8_4ELb0ES6_15HIP_vector_typeIjLj2EENS0_17counting_iteratorIjlEEPS9_SG_NS0_5tupleIJPjSI_NS0_16reverse_iteratorISI_EEEEENSH_IJSG_SG_SG_EEES9_SI_JZNS1_25segmented_radix_sort_implINS0_14default_configELb1EPKiPiPKlPlN2at6native12_GLOBAL__N_18offset_tEEE10hipError_tPvRmT1_PNSt15iterator_traitsIS12_E10value_typeET2_T3_PNS13_IS18_E10value_typeET4_jRbjT5_S1E_jjP12ihipStream_tbEUljE_ZNSN_ISO_Lb1ESQ_SR_ST_SU_SY_EESZ_S10_S11_S12_S16_S17_S18_S1B_S1C_jS1D_jS1E_S1E_jjS1G_bEUljE0_EEESZ_S10_S11_S18_S1C_S1E_T6_T7_T9_mT8_S1G_bDpT10_ENKUlT_T0_E_clISt17integral_constantIbLb1EES1U_EEDaS1P_S1Q_EUlS1P_E_NS1_11comp_targetILNS1_3genE2ELNS1_11target_archE906ELNS1_3gpuE6ELNS1_3repE0EEENS1_30default_config_static_selectorELNS0_4arch9wavefront6targetE1EEEvS12_,comdat
	.globl	_ZN7rocprim17ROCPRIM_400000_NS6detail17trampoline_kernelINS0_13select_configILj256ELj13ELNS0_17block_load_methodE3ELS4_3ELS4_3ELNS0_20block_scan_algorithmE0ELj4294967295EEENS1_25partition_config_selectorILNS1_17partition_subalgoE4EjNS0_10empty_typeEbEEZZNS1_14partition_implILS8_4ELb0ES6_15HIP_vector_typeIjLj2EENS0_17counting_iteratorIjlEEPS9_SG_NS0_5tupleIJPjSI_NS0_16reverse_iteratorISI_EEEEENSH_IJSG_SG_SG_EEES9_SI_JZNS1_25segmented_radix_sort_implINS0_14default_configELb1EPKiPiPKlPlN2at6native12_GLOBAL__N_18offset_tEEE10hipError_tPvRmT1_PNSt15iterator_traitsIS12_E10value_typeET2_T3_PNS13_IS18_E10value_typeET4_jRbjT5_S1E_jjP12ihipStream_tbEUljE_ZNSN_ISO_Lb1ESQ_SR_ST_SU_SY_EESZ_S10_S11_S12_S16_S17_S18_S1B_S1C_jS1D_jS1E_S1E_jjS1G_bEUljE0_EEESZ_S10_S11_S18_S1C_S1E_T6_T7_T9_mT8_S1G_bDpT10_ENKUlT_T0_E_clISt17integral_constantIbLb1EES1U_EEDaS1P_S1Q_EUlS1P_E_NS1_11comp_targetILNS1_3genE2ELNS1_11target_archE906ELNS1_3gpuE6ELNS1_3repE0EEENS1_30default_config_static_selectorELNS0_4arch9wavefront6targetE1EEEvS12_ ; -- Begin function _ZN7rocprim17ROCPRIM_400000_NS6detail17trampoline_kernelINS0_13select_configILj256ELj13ELNS0_17block_load_methodE3ELS4_3ELS4_3ELNS0_20block_scan_algorithmE0ELj4294967295EEENS1_25partition_config_selectorILNS1_17partition_subalgoE4EjNS0_10empty_typeEbEEZZNS1_14partition_implILS8_4ELb0ES6_15HIP_vector_typeIjLj2EENS0_17counting_iteratorIjlEEPS9_SG_NS0_5tupleIJPjSI_NS0_16reverse_iteratorISI_EEEEENSH_IJSG_SG_SG_EEES9_SI_JZNS1_25segmented_radix_sort_implINS0_14default_configELb1EPKiPiPKlPlN2at6native12_GLOBAL__N_18offset_tEEE10hipError_tPvRmT1_PNSt15iterator_traitsIS12_E10value_typeET2_T3_PNS13_IS18_E10value_typeET4_jRbjT5_S1E_jjP12ihipStream_tbEUljE_ZNSN_ISO_Lb1ESQ_SR_ST_SU_SY_EESZ_S10_S11_S12_S16_S17_S18_S1B_S1C_jS1D_jS1E_S1E_jjS1G_bEUljE0_EEESZ_S10_S11_S18_S1C_S1E_T6_T7_T9_mT8_S1G_bDpT10_ENKUlT_T0_E_clISt17integral_constantIbLb1EES1U_EEDaS1P_S1Q_EUlS1P_E_NS1_11comp_targetILNS1_3genE2ELNS1_11target_archE906ELNS1_3gpuE6ELNS1_3repE0EEENS1_30default_config_static_selectorELNS0_4arch9wavefront6targetE1EEEvS12_
	.p2align	8
	.type	_ZN7rocprim17ROCPRIM_400000_NS6detail17trampoline_kernelINS0_13select_configILj256ELj13ELNS0_17block_load_methodE3ELS4_3ELS4_3ELNS0_20block_scan_algorithmE0ELj4294967295EEENS1_25partition_config_selectorILNS1_17partition_subalgoE4EjNS0_10empty_typeEbEEZZNS1_14partition_implILS8_4ELb0ES6_15HIP_vector_typeIjLj2EENS0_17counting_iteratorIjlEEPS9_SG_NS0_5tupleIJPjSI_NS0_16reverse_iteratorISI_EEEEENSH_IJSG_SG_SG_EEES9_SI_JZNS1_25segmented_radix_sort_implINS0_14default_configELb1EPKiPiPKlPlN2at6native12_GLOBAL__N_18offset_tEEE10hipError_tPvRmT1_PNSt15iterator_traitsIS12_E10value_typeET2_T3_PNS13_IS18_E10value_typeET4_jRbjT5_S1E_jjP12ihipStream_tbEUljE_ZNSN_ISO_Lb1ESQ_SR_ST_SU_SY_EESZ_S10_S11_S12_S16_S17_S18_S1B_S1C_jS1D_jS1E_S1E_jjS1G_bEUljE0_EEESZ_S10_S11_S18_S1C_S1E_T6_T7_T9_mT8_S1G_bDpT10_ENKUlT_T0_E_clISt17integral_constantIbLb1EES1U_EEDaS1P_S1Q_EUlS1P_E_NS1_11comp_targetILNS1_3genE2ELNS1_11target_archE906ELNS1_3gpuE6ELNS1_3repE0EEENS1_30default_config_static_selectorELNS0_4arch9wavefront6targetE1EEEvS12_,@function
_ZN7rocprim17ROCPRIM_400000_NS6detail17trampoline_kernelINS0_13select_configILj256ELj13ELNS0_17block_load_methodE3ELS4_3ELS4_3ELNS0_20block_scan_algorithmE0ELj4294967295EEENS1_25partition_config_selectorILNS1_17partition_subalgoE4EjNS0_10empty_typeEbEEZZNS1_14partition_implILS8_4ELb0ES6_15HIP_vector_typeIjLj2EENS0_17counting_iteratorIjlEEPS9_SG_NS0_5tupleIJPjSI_NS0_16reverse_iteratorISI_EEEEENSH_IJSG_SG_SG_EEES9_SI_JZNS1_25segmented_radix_sort_implINS0_14default_configELb1EPKiPiPKlPlN2at6native12_GLOBAL__N_18offset_tEEE10hipError_tPvRmT1_PNSt15iterator_traitsIS12_E10value_typeET2_T3_PNS13_IS18_E10value_typeET4_jRbjT5_S1E_jjP12ihipStream_tbEUljE_ZNSN_ISO_Lb1ESQ_SR_ST_SU_SY_EESZ_S10_S11_S12_S16_S17_S18_S1B_S1C_jS1D_jS1E_S1E_jjS1G_bEUljE0_EEESZ_S10_S11_S18_S1C_S1E_T6_T7_T9_mT8_S1G_bDpT10_ENKUlT_T0_E_clISt17integral_constantIbLb1EES1U_EEDaS1P_S1Q_EUlS1P_E_NS1_11comp_targetILNS1_3genE2ELNS1_11target_archE906ELNS1_3gpuE6ELNS1_3repE0EEENS1_30default_config_static_selectorELNS0_4arch9wavefront6targetE1EEEvS12_: ; @_ZN7rocprim17ROCPRIM_400000_NS6detail17trampoline_kernelINS0_13select_configILj256ELj13ELNS0_17block_load_methodE3ELS4_3ELS4_3ELNS0_20block_scan_algorithmE0ELj4294967295EEENS1_25partition_config_selectorILNS1_17partition_subalgoE4EjNS0_10empty_typeEbEEZZNS1_14partition_implILS8_4ELb0ES6_15HIP_vector_typeIjLj2EENS0_17counting_iteratorIjlEEPS9_SG_NS0_5tupleIJPjSI_NS0_16reverse_iteratorISI_EEEEENSH_IJSG_SG_SG_EEES9_SI_JZNS1_25segmented_radix_sort_implINS0_14default_configELb1EPKiPiPKlPlN2at6native12_GLOBAL__N_18offset_tEEE10hipError_tPvRmT1_PNSt15iterator_traitsIS12_E10value_typeET2_T3_PNS13_IS18_E10value_typeET4_jRbjT5_S1E_jjP12ihipStream_tbEUljE_ZNSN_ISO_Lb1ESQ_SR_ST_SU_SY_EESZ_S10_S11_S12_S16_S17_S18_S1B_S1C_jS1D_jS1E_S1E_jjS1G_bEUljE0_EEESZ_S10_S11_S18_S1C_S1E_T6_T7_T9_mT8_S1G_bDpT10_ENKUlT_T0_E_clISt17integral_constantIbLb1EES1U_EEDaS1P_S1Q_EUlS1P_E_NS1_11comp_targetILNS1_3genE2ELNS1_11target_archE906ELNS1_3gpuE6ELNS1_3repE0EEENS1_30default_config_static_selectorELNS0_4arch9wavefront6targetE1EEEvS12_
; %bb.0:
	s_endpgm
	.section	.rodata,"a",@progbits
	.p2align	6, 0x0
	.amdhsa_kernel _ZN7rocprim17ROCPRIM_400000_NS6detail17trampoline_kernelINS0_13select_configILj256ELj13ELNS0_17block_load_methodE3ELS4_3ELS4_3ELNS0_20block_scan_algorithmE0ELj4294967295EEENS1_25partition_config_selectorILNS1_17partition_subalgoE4EjNS0_10empty_typeEbEEZZNS1_14partition_implILS8_4ELb0ES6_15HIP_vector_typeIjLj2EENS0_17counting_iteratorIjlEEPS9_SG_NS0_5tupleIJPjSI_NS0_16reverse_iteratorISI_EEEEENSH_IJSG_SG_SG_EEES9_SI_JZNS1_25segmented_radix_sort_implINS0_14default_configELb1EPKiPiPKlPlN2at6native12_GLOBAL__N_18offset_tEEE10hipError_tPvRmT1_PNSt15iterator_traitsIS12_E10value_typeET2_T3_PNS13_IS18_E10value_typeET4_jRbjT5_S1E_jjP12ihipStream_tbEUljE_ZNSN_ISO_Lb1ESQ_SR_ST_SU_SY_EESZ_S10_S11_S12_S16_S17_S18_S1B_S1C_jS1D_jS1E_S1E_jjS1G_bEUljE0_EEESZ_S10_S11_S18_S1C_S1E_T6_T7_T9_mT8_S1G_bDpT10_ENKUlT_T0_E_clISt17integral_constantIbLb1EES1U_EEDaS1P_S1Q_EUlS1P_E_NS1_11comp_targetILNS1_3genE2ELNS1_11target_archE906ELNS1_3gpuE6ELNS1_3repE0EEENS1_30default_config_static_selectorELNS0_4arch9wavefront6targetE1EEEvS12_
		.amdhsa_group_segment_fixed_size 0
		.amdhsa_private_segment_fixed_size 0
		.amdhsa_kernarg_size 184
		.amdhsa_user_sgpr_count 6
		.amdhsa_user_sgpr_private_segment_buffer 1
		.amdhsa_user_sgpr_dispatch_ptr 0
		.amdhsa_user_sgpr_queue_ptr 0
		.amdhsa_user_sgpr_kernarg_segment_ptr 1
		.amdhsa_user_sgpr_dispatch_id 0
		.amdhsa_user_sgpr_flat_scratch_init 0
		.amdhsa_user_sgpr_private_segment_size 0
		.amdhsa_uses_dynamic_stack 0
		.amdhsa_system_sgpr_private_segment_wavefront_offset 0
		.amdhsa_system_sgpr_workgroup_id_x 1
		.amdhsa_system_sgpr_workgroup_id_y 0
		.amdhsa_system_sgpr_workgroup_id_z 0
		.amdhsa_system_sgpr_workgroup_info 0
		.amdhsa_system_vgpr_workitem_id 0
		.amdhsa_next_free_vgpr 1
		.amdhsa_next_free_sgpr 0
		.amdhsa_reserve_vcc 0
		.amdhsa_reserve_flat_scratch 0
		.amdhsa_float_round_mode_32 0
		.amdhsa_float_round_mode_16_64 0
		.amdhsa_float_denorm_mode_32 3
		.amdhsa_float_denorm_mode_16_64 3
		.amdhsa_dx10_clamp 1
		.amdhsa_ieee_mode 1
		.amdhsa_fp16_overflow 0
		.amdhsa_exception_fp_ieee_invalid_op 0
		.amdhsa_exception_fp_denorm_src 0
		.amdhsa_exception_fp_ieee_div_zero 0
		.amdhsa_exception_fp_ieee_overflow 0
		.amdhsa_exception_fp_ieee_underflow 0
		.amdhsa_exception_fp_ieee_inexact 0
		.amdhsa_exception_int_div_zero 0
	.end_amdhsa_kernel
	.section	.text._ZN7rocprim17ROCPRIM_400000_NS6detail17trampoline_kernelINS0_13select_configILj256ELj13ELNS0_17block_load_methodE3ELS4_3ELS4_3ELNS0_20block_scan_algorithmE0ELj4294967295EEENS1_25partition_config_selectorILNS1_17partition_subalgoE4EjNS0_10empty_typeEbEEZZNS1_14partition_implILS8_4ELb0ES6_15HIP_vector_typeIjLj2EENS0_17counting_iteratorIjlEEPS9_SG_NS0_5tupleIJPjSI_NS0_16reverse_iteratorISI_EEEEENSH_IJSG_SG_SG_EEES9_SI_JZNS1_25segmented_radix_sort_implINS0_14default_configELb1EPKiPiPKlPlN2at6native12_GLOBAL__N_18offset_tEEE10hipError_tPvRmT1_PNSt15iterator_traitsIS12_E10value_typeET2_T3_PNS13_IS18_E10value_typeET4_jRbjT5_S1E_jjP12ihipStream_tbEUljE_ZNSN_ISO_Lb1ESQ_SR_ST_SU_SY_EESZ_S10_S11_S12_S16_S17_S18_S1B_S1C_jS1D_jS1E_S1E_jjS1G_bEUljE0_EEESZ_S10_S11_S18_S1C_S1E_T6_T7_T9_mT8_S1G_bDpT10_ENKUlT_T0_E_clISt17integral_constantIbLb1EES1U_EEDaS1P_S1Q_EUlS1P_E_NS1_11comp_targetILNS1_3genE2ELNS1_11target_archE906ELNS1_3gpuE6ELNS1_3repE0EEENS1_30default_config_static_selectorELNS0_4arch9wavefront6targetE1EEEvS12_,"axG",@progbits,_ZN7rocprim17ROCPRIM_400000_NS6detail17trampoline_kernelINS0_13select_configILj256ELj13ELNS0_17block_load_methodE3ELS4_3ELS4_3ELNS0_20block_scan_algorithmE0ELj4294967295EEENS1_25partition_config_selectorILNS1_17partition_subalgoE4EjNS0_10empty_typeEbEEZZNS1_14partition_implILS8_4ELb0ES6_15HIP_vector_typeIjLj2EENS0_17counting_iteratorIjlEEPS9_SG_NS0_5tupleIJPjSI_NS0_16reverse_iteratorISI_EEEEENSH_IJSG_SG_SG_EEES9_SI_JZNS1_25segmented_radix_sort_implINS0_14default_configELb1EPKiPiPKlPlN2at6native12_GLOBAL__N_18offset_tEEE10hipError_tPvRmT1_PNSt15iterator_traitsIS12_E10value_typeET2_T3_PNS13_IS18_E10value_typeET4_jRbjT5_S1E_jjP12ihipStream_tbEUljE_ZNSN_ISO_Lb1ESQ_SR_ST_SU_SY_EESZ_S10_S11_S12_S16_S17_S18_S1B_S1C_jS1D_jS1E_S1E_jjS1G_bEUljE0_EEESZ_S10_S11_S18_S1C_S1E_T6_T7_T9_mT8_S1G_bDpT10_ENKUlT_T0_E_clISt17integral_constantIbLb1EES1U_EEDaS1P_S1Q_EUlS1P_E_NS1_11comp_targetILNS1_3genE2ELNS1_11target_archE906ELNS1_3gpuE6ELNS1_3repE0EEENS1_30default_config_static_selectorELNS0_4arch9wavefront6targetE1EEEvS12_,comdat
.Lfunc_end445:
	.size	_ZN7rocprim17ROCPRIM_400000_NS6detail17trampoline_kernelINS0_13select_configILj256ELj13ELNS0_17block_load_methodE3ELS4_3ELS4_3ELNS0_20block_scan_algorithmE0ELj4294967295EEENS1_25partition_config_selectorILNS1_17partition_subalgoE4EjNS0_10empty_typeEbEEZZNS1_14partition_implILS8_4ELb0ES6_15HIP_vector_typeIjLj2EENS0_17counting_iteratorIjlEEPS9_SG_NS0_5tupleIJPjSI_NS0_16reverse_iteratorISI_EEEEENSH_IJSG_SG_SG_EEES9_SI_JZNS1_25segmented_radix_sort_implINS0_14default_configELb1EPKiPiPKlPlN2at6native12_GLOBAL__N_18offset_tEEE10hipError_tPvRmT1_PNSt15iterator_traitsIS12_E10value_typeET2_T3_PNS13_IS18_E10value_typeET4_jRbjT5_S1E_jjP12ihipStream_tbEUljE_ZNSN_ISO_Lb1ESQ_SR_ST_SU_SY_EESZ_S10_S11_S12_S16_S17_S18_S1B_S1C_jS1D_jS1E_S1E_jjS1G_bEUljE0_EEESZ_S10_S11_S18_S1C_S1E_T6_T7_T9_mT8_S1G_bDpT10_ENKUlT_T0_E_clISt17integral_constantIbLb1EES1U_EEDaS1P_S1Q_EUlS1P_E_NS1_11comp_targetILNS1_3genE2ELNS1_11target_archE906ELNS1_3gpuE6ELNS1_3repE0EEENS1_30default_config_static_selectorELNS0_4arch9wavefront6targetE1EEEvS12_, .Lfunc_end445-_ZN7rocprim17ROCPRIM_400000_NS6detail17trampoline_kernelINS0_13select_configILj256ELj13ELNS0_17block_load_methodE3ELS4_3ELS4_3ELNS0_20block_scan_algorithmE0ELj4294967295EEENS1_25partition_config_selectorILNS1_17partition_subalgoE4EjNS0_10empty_typeEbEEZZNS1_14partition_implILS8_4ELb0ES6_15HIP_vector_typeIjLj2EENS0_17counting_iteratorIjlEEPS9_SG_NS0_5tupleIJPjSI_NS0_16reverse_iteratorISI_EEEEENSH_IJSG_SG_SG_EEES9_SI_JZNS1_25segmented_radix_sort_implINS0_14default_configELb1EPKiPiPKlPlN2at6native12_GLOBAL__N_18offset_tEEE10hipError_tPvRmT1_PNSt15iterator_traitsIS12_E10value_typeET2_T3_PNS13_IS18_E10value_typeET4_jRbjT5_S1E_jjP12ihipStream_tbEUljE_ZNSN_ISO_Lb1ESQ_SR_ST_SU_SY_EESZ_S10_S11_S12_S16_S17_S18_S1B_S1C_jS1D_jS1E_S1E_jjS1G_bEUljE0_EEESZ_S10_S11_S18_S1C_S1E_T6_T7_T9_mT8_S1G_bDpT10_ENKUlT_T0_E_clISt17integral_constantIbLb1EES1U_EEDaS1P_S1Q_EUlS1P_E_NS1_11comp_targetILNS1_3genE2ELNS1_11target_archE906ELNS1_3gpuE6ELNS1_3repE0EEENS1_30default_config_static_selectorELNS0_4arch9wavefront6targetE1EEEvS12_
                                        ; -- End function
	.set _ZN7rocprim17ROCPRIM_400000_NS6detail17trampoline_kernelINS0_13select_configILj256ELj13ELNS0_17block_load_methodE3ELS4_3ELS4_3ELNS0_20block_scan_algorithmE0ELj4294967295EEENS1_25partition_config_selectorILNS1_17partition_subalgoE4EjNS0_10empty_typeEbEEZZNS1_14partition_implILS8_4ELb0ES6_15HIP_vector_typeIjLj2EENS0_17counting_iteratorIjlEEPS9_SG_NS0_5tupleIJPjSI_NS0_16reverse_iteratorISI_EEEEENSH_IJSG_SG_SG_EEES9_SI_JZNS1_25segmented_radix_sort_implINS0_14default_configELb1EPKiPiPKlPlN2at6native12_GLOBAL__N_18offset_tEEE10hipError_tPvRmT1_PNSt15iterator_traitsIS12_E10value_typeET2_T3_PNS13_IS18_E10value_typeET4_jRbjT5_S1E_jjP12ihipStream_tbEUljE_ZNSN_ISO_Lb1ESQ_SR_ST_SU_SY_EESZ_S10_S11_S12_S16_S17_S18_S1B_S1C_jS1D_jS1E_S1E_jjS1G_bEUljE0_EEESZ_S10_S11_S18_S1C_S1E_T6_T7_T9_mT8_S1G_bDpT10_ENKUlT_T0_E_clISt17integral_constantIbLb1EES1U_EEDaS1P_S1Q_EUlS1P_E_NS1_11comp_targetILNS1_3genE2ELNS1_11target_archE906ELNS1_3gpuE6ELNS1_3repE0EEENS1_30default_config_static_selectorELNS0_4arch9wavefront6targetE1EEEvS12_.num_vgpr, 0
	.set _ZN7rocprim17ROCPRIM_400000_NS6detail17trampoline_kernelINS0_13select_configILj256ELj13ELNS0_17block_load_methodE3ELS4_3ELS4_3ELNS0_20block_scan_algorithmE0ELj4294967295EEENS1_25partition_config_selectorILNS1_17partition_subalgoE4EjNS0_10empty_typeEbEEZZNS1_14partition_implILS8_4ELb0ES6_15HIP_vector_typeIjLj2EENS0_17counting_iteratorIjlEEPS9_SG_NS0_5tupleIJPjSI_NS0_16reverse_iteratorISI_EEEEENSH_IJSG_SG_SG_EEES9_SI_JZNS1_25segmented_radix_sort_implINS0_14default_configELb1EPKiPiPKlPlN2at6native12_GLOBAL__N_18offset_tEEE10hipError_tPvRmT1_PNSt15iterator_traitsIS12_E10value_typeET2_T3_PNS13_IS18_E10value_typeET4_jRbjT5_S1E_jjP12ihipStream_tbEUljE_ZNSN_ISO_Lb1ESQ_SR_ST_SU_SY_EESZ_S10_S11_S12_S16_S17_S18_S1B_S1C_jS1D_jS1E_S1E_jjS1G_bEUljE0_EEESZ_S10_S11_S18_S1C_S1E_T6_T7_T9_mT8_S1G_bDpT10_ENKUlT_T0_E_clISt17integral_constantIbLb1EES1U_EEDaS1P_S1Q_EUlS1P_E_NS1_11comp_targetILNS1_3genE2ELNS1_11target_archE906ELNS1_3gpuE6ELNS1_3repE0EEENS1_30default_config_static_selectorELNS0_4arch9wavefront6targetE1EEEvS12_.num_agpr, 0
	.set _ZN7rocprim17ROCPRIM_400000_NS6detail17trampoline_kernelINS0_13select_configILj256ELj13ELNS0_17block_load_methodE3ELS4_3ELS4_3ELNS0_20block_scan_algorithmE0ELj4294967295EEENS1_25partition_config_selectorILNS1_17partition_subalgoE4EjNS0_10empty_typeEbEEZZNS1_14partition_implILS8_4ELb0ES6_15HIP_vector_typeIjLj2EENS0_17counting_iteratorIjlEEPS9_SG_NS0_5tupleIJPjSI_NS0_16reverse_iteratorISI_EEEEENSH_IJSG_SG_SG_EEES9_SI_JZNS1_25segmented_radix_sort_implINS0_14default_configELb1EPKiPiPKlPlN2at6native12_GLOBAL__N_18offset_tEEE10hipError_tPvRmT1_PNSt15iterator_traitsIS12_E10value_typeET2_T3_PNS13_IS18_E10value_typeET4_jRbjT5_S1E_jjP12ihipStream_tbEUljE_ZNSN_ISO_Lb1ESQ_SR_ST_SU_SY_EESZ_S10_S11_S12_S16_S17_S18_S1B_S1C_jS1D_jS1E_S1E_jjS1G_bEUljE0_EEESZ_S10_S11_S18_S1C_S1E_T6_T7_T9_mT8_S1G_bDpT10_ENKUlT_T0_E_clISt17integral_constantIbLb1EES1U_EEDaS1P_S1Q_EUlS1P_E_NS1_11comp_targetILNS1_3genE2ELNS1_11target_archE906ELNS1_3gpuE6ELNS1_3repE0EEENS1_30default_config_static_selectorELNS0_4arch9wavefront6targetE1EEEvS12_.numbered_sgpr, 0
	.set _ZN7rocprim17ROCPRIM_400000_NS6detail17trampoline_kernelINS0_13select_configILj256ELj13ELNS0_17block_load_methodE3ELS4_3ELS4_3ELNS0_20block_scan_algorithmE0ELj4294967295EEENS1_25partition_config_selectorILNS1_17partition_subalgoE4EjNS0_10empty_typeEbEEZZNS1_14partition_implILS8_4ELb0ES6_15HIP_vector_typeIjLj2EENS0_17counting_iteratorIjlEEPS9_SG_NS0_5tupleIJPjSI_NS0_16reverse_iteratorISI_EEEEENSH_IJSG_SG_SG_EEES9_SI_JZNS1_25segmented_radix_sort_implINS0_14default_configELb1EPKiPiPKlPlN2at6native12_GLOBAL__N_18offset_tEEE10hipError_tPvRmT1_PNSt15iterator_traitsIS12_E10value_typeET2_T3_PNS13_IS18_E10value_typeET4_jRbjT5_S1E_jjP12ihipStream_tbEUljE_ZNSN_ISO_Lb1ESQ_SR_ST_SU_SY_EESZ_S10_S11_S12_S16_S17_S18_S1B_S1C_jS1D_jS1E_S1E_jjS1G_bEUljE0_EEESZ_S10_S11_S18_S1C_S1E_T6_T7_T9_mT8_S1G_bDpT10_ENKUlT_T0_E_clISt17integral_constantIbLb1EES1U_EEDaS1P_S1Q_EUlS1P_E_NS1_11comp_targetILNS1_3genE2ELNS1_11target_archE906ELNS1_3gpuE6ELNS1_3repE0EEENS1_30default_config_static_selectorELNS0_4arch9wavefront6targetE1EEEvS12_.num_named_barrier, 0
	.set _ZN7rocprim17ROCPRIM_400000_NS6detail17trampoline_kernelINS0_13select_configILj256ELj13ELNS0_17block_load_methodE3ELS4_3ELS4_3ELNS0_20block_scan_algorithmE0ELj4294967295EEENS1_25partition_config_selectorILNS1_17partition_subalgoE4EjNS0_10empty_typeEbEEZZNS1_14partition_implILS8_4ELb0ES6_15HIP_vector_typeIjLj2EENS0_17counting_iteratorIjlEEPS9_SG_NS0_5tupleIJPjSI_NS0_16reverse_iteratorISI_EEEEENSH_IJSG_SG_SG_EEES9_SI_JZNS1_25segmented_radix_sort_implINS0_14default_configELb1EPKiPiPKlPlN2at6native12_GLOBAL__N_18offset_tEEE10hipError_tPvRmT1_PNSt15iterator_traitsIS12_E10value_typeET2_T3_PNS13_IS18_E10value_typeET4_jRbjT5_S1E_jjP12ihipStream_tbEUljE_ZNSN_ISO_Lb1ESQ_SR_ST_SU_SY_EESZ_S10_S11_S12_S16_S17_S18_S1B_S1C_jS1D_jS1E_S1E_jjS1G_bEUljE0_EEESZ_S10_S11_S18_S1C_S1E_T6_T7_T9_mT8_S1G_bDpT10_ENKUlT_T0_E_clISt17integral_constantIbLb1EES1U_EEDaS1P_S1Q_EUlS1P_E_NS1_11comp_targetILNS1_3genE2ELNS1_11target_archE906ELNS1_3gpuE6ELNS1_3repE0EEENS1_30default_config_static_selectorELNS0_4arch9wavefront6targetE1EEEvS12_.private_seg_size, 0
	.set _ZN7rocprim17ROCPRIM_400000_NS6detail17trampoline_kernelINS0_13select_configILj256ELj13ELNS0_17block_load_methodE3ELS4_3ELS4_3ELNS0_20block_scan_algorithmE0ELj4294967295EEENS1_25partition_config_selectorILNS1_17partition_subalgoE4EjNS0_10empty_typeEbEEZZNS1_14partition_implILS8_4ELb0ES6_15HIP_vector_typeIjLj2EENS0_17counting_iteratorIjlEEPS9_SG_NS0_5tupleIJPjSI_NS0_16reverse_iteratorISI_EEEEENSH_IJSG_SG_SG_EEES9_SI_JZNS1_25segmented_radix_sort_implINS0_14default_configELb1EPKiPiPKlPlN2at6native12_GLOBAL__N_18offset_tEEE10hipError_tPvRmT1_PNSt15iterator_traitsIS12_E10value_typeET2_T3_PNS13_IS18_E10value_typeET4_jRbjT5_S1E_jjP12ihipStream_tbEUljE_ZNSN_ISO_Lb1ESQ_SR_ST_SU_SY_EESZ_S10_S11_S12_S16_S17_S18_S1B_S1C_jS1D_jS1E_S1E_jjS1G_bEUljE0_EEESZ_S10_S11_S18_S1C_S1E_T6_T7_T9_mT8_S1G_bDpT10_ENKUlT_T0_E_clISt17integral_constantIbLb1EES1U_EEDaS1P_S1Q_EUlS1P_E_NS1_11comp_targetILNS1_3genE2ELNS1_11target_archE906ELNS1_3gpuE6ELNS1_3repE0EEENS1_30default_config_static_selectorELNS0_4arch9wavefront6targetE1EEEvS12_.uses_vcc, 0
	.set _ZN7rocprim17ROCPRIM_400000_NS6detail17trampoline_kernelINS0_13select_configILj256ELj13ELNS0_17block_load_methodE3ELS4_3ELS4_3ELNS0_20block_scan_algorithmE0ELj4294967295EEENS1_25partition_config_selectorILNS1_17partition_subalgoE4EjNS0_10empty_typeEbEEZZNS1_14partition_implILS8_4ELb0ES6_15HIP_vector_typeIjLj2EENS0_17counting_iteratorIjlEEPS9_SG_NS0_5tupleIJPjSI_NS0_16reverse_iteratorISI_EEEEENSH_IJSG_SG_SG_EEES9_SI_JZNS1_25segmented_radix_sort_implINS0_14default_configELb1EPKiPiPKlPlN2at6native12_GLOBAL__N_18offset_tEEE10hipError_tPvRmT1_PNSt15iterator_traitsIS12_E10value_typeET2_T3_PNS13_IS18_E10value_typeET4_jRbjT5_S1E_jjP12ihipStream_tbEUljE_ZNSN_ISO_Lb1ESQ_SR_ST_SU_SY_EESZ_S10_S11_S12_S16_S17_S18_S1B_S1C_jS1D_jS1E_S1E_jjS1G_bEUljE0_EEESZ_S10_S11_S18_S1C_S1E_T6_T7_T9_mT8_S1G_bDpT10_ENKUlT_T0_E_clISt17integral_constantIbLb1EES1U_EEDaS1P_S1Q_EUlS1P_E_NS1_11comp_targetILNS1_3genE2ELNS1_11target_archE906ELNS1_3gpuE6ELNS1_3repE0EEENS1_30default_config_static_selectorELNS0_4arch9wavefront6targetE1EEEvS12_.uses_flat_scratch, 0
	.set _ZN7rocprim17ROCPRIM_400000_NS6detail17trampoline_kernelINS0_13select_configILj256ELj13ELNS0_17block_load_methodE3ELS4_3ELS4_3ELNS0_20block_scan_algorithmE0ELj4294967295EEENS1_25partition_config_selectorILNS1_17partition_subalgoE4EjNS0_10empty_typeEbEEZZNS1_14partition_implILS8_4ELb0ES6_15HIP_vector_typeIjLj2EENS0_17counting_iteratorIjlEEPS9_SG_NS0_5tupleIJPjSI_NS0_16reverse_iteratorISI_EEEEENSH_IJSG_SG_SG_EEES9_SI_JZNS1_25segmented_radix_sort_implINS0_14default_configELb1EPKiPiPKlPlN2at6native12_GLOBAL__N_18offset_tEEE10hipError_tPvRmT1_PNSt15iterator_traitsIS12_E10value_typeET2_T3_PNS13_IS18_E10value_typeET4_jRbjT5_S1E_jjP12ihipStream_tbEUljE_ZNSN_ISO_Lb1ESQ_SR_ST_SU_SY_EESZ_S10_S11_S12_S16_S17_S18_S1B_S1C_jS1D_jS1E_S1E_jjS1G_bEUljE0_EEESZ_S10_S11_S18_S1C_S1E_T6_T7_T9_mT8_S1G_bDpT10_ENKUlT_T0_E_clISt17integral_constantIbLb1EES1U_EEDaS1P_S1Q_EUlS1P_E_NS1_11comp_targetILNS1_3genE2ELNS1_11target_archE906ELNS1_3gpuE6ELNS1_3repE0EEENS1_30default_config_static_selectorELNS0_4arch9wavefront6targetE1EEEvS12_.has_dyn_sized_stack, 0
	.set _ZN7rocprim17ROCPRIM_400000_NS6detail17trampoline_kernelINS0_13select_configILj256ELj13ELNS0_17block_load_methodE3ELS4_3ELS4_3ELNS0_20block_scan_algorithmE0ELj4294967295EEENS1_25partition_config_selectorILNS1_17partition_subalgoE4EjNS0_10empty_typeEbEEZZNS1_14partition_implILS8_4ELb0ES6_15HIP_vector_typeIjLj2EENS0_17counting_iteratorIjlEEPS9_SG_NS0_5tupleIJPjSI_NS0_16reverse_iteratorISI_EEEEENSH_IJSG_SG_SG_EEES9_SI_JZNS1_25segmented_radix_sort_implINS0_14default_configELb1EPKiPiPKlPlN2at6native12_GLOBAL__N_18offset_tEEE10hipError_tPvRmT1_PNSt15iterator_traitsIS12_E10value_typeET2_T3_PNS13_IS18_E10value_typeET4_jRbjT5_S1E_jjP12ihipStream_tbEUljE_ZNSN_ISO_Lb1ESQ_SR_ST_SU_SY_EESZ_S10_S11_S12_S16_S17_S18_S1B_S1C_jS1D_jS1E_S1E_jjS1G_bEUljE0_EEESZ_S10_S11_S18_S1C_S1E_T6_T7_T9_mT8_S1G_bDpT10_ENKUlT_T0_E_clISt17integral_constantIbLb1EES1U_EEDaS1P_S1Q_EUlS1P_E_NS1_11comp_targetILNS1_3genE2ELNS1_11target_archE906ELNS1_3gpuE6ELNS1_3repE0EEENS1_30default_config_static_selectorELNS0_4arch9wavefront6targetE1EEEvS12_.has_recursion, 0
	.set _ZN7rocprim17ROCPRIM_400000_NS6detail17trampoline_kernelINS0_13select_configILj256ELj13ELNS0_17block_load_methodE3ELS4_3ELS4_3ELNS0_20block_scan_algorithmE0ELj4294967295EEENS1_25partition_config_selectorILNS1_17partition_subalgoE4EjNS0_10empty_typeEbEEZZNS1_14partition_implILS8_4ELb0ES6_15HIP_vector_typeIjLj2EENS0_17counting_iteratorIjlEEPS9_SG_NS0_5tupleIJPjSI_NS0_16reverse_iteratorISI_EEEEENSH_IJSG_SG_SG_EEES9_SI_JZNS1_25segmented_radix_sort_implINS0_14default_configELb1EPKiPiPKlPlN2at6native12_GLOBAL__N_18offset_tEEE10hipError_tPvRmT1_PNSt15iterator_traitsIS12_E10value_typeET2_T3_PNS13_IS18_E10value_typeET4_jRbjT5_S1E_jjP12ihipStream_tbEUljE_ZNSN_ISO_Lb1ESQ_SR_ST_SU_SY_EESZ_S10_S11_S12_S16_S17_S18_S1B_S1C_jS1D_jS1E_S1E_jjS1G_bEUljE0_EEESZ_S10_S11_S18_S1C_S1E_T6_T7_T9_mT8_S1G_bDpT10_ENKUlT_T0_E_clISt17integral_constantIbLb1EES1U_EEDaS1P_S1Q_EUlS1P_E_NS1_11comp_targetILNS1_3genE2ELNS1_11target_archE906ELNS1_3gpuE6ELNS1_3repE0EEENS1_30default_config_static_selectorELNS0_4arch9wavefront6targetE1EEEvS12_.has_indirect_call, 0
	.section	.AMDGPU.csdata,"",@progbits
; Kernel info:
; codeLenInByte = 4
; TotalNumSgprs: 4
; NumVgprs: 0
; ScratchSize: 0
; MemoryBound: 0
; FloatMode: 240
; IeeeMode: 1
; LDSByteSize: 0 bytes/workgroup (compile time only)
; SGPRBlocks: 0
; VGPRBlocks: 0
; NumSGPRsForWavesPerEU: 4
; NumVGPRsForWavesPerEU: 1
; Occupancy: 10
; WaveLimiterHint : 0
; COMPUTE_PGM_RSRC2:SCRATCH_EN: 0
; COMPUTE_PGM_RSRC2:USER_SGPR: 6
; COMPUTE_PGM_RSRC2:TRAP_HANDLER: 0
; COMPUTE_PGM_RSRC2:TGID_X_EN: 1
; COMPUTE_PGM_RSRC2:TGID_Y_EN: 0
; COMPUTE_PGM_RSRC2:TGID_Z_EN: 0
; COMPUTE_PGM_RSRC2:TIDIG_COMP_CNT: 0
	.section	.text._ZN7rocprim17ROCPRIM_400000_NS6detail17trampoline_kernelINS0_13select_configILj256ELj13ELNS0_17block_load_methodE3ELS4_3ELS4_3ELNS0_20block_scan_algorithmE0ELj4294967295EEENS1_25partition_config_selectorILNS1_17partition_subalgoE4EjNS0_10empty_typeEbEEZZNS1_14partition_implILS8_4ELb0ES6_15HIP_vector_typeIjLj2EENS0_17counting_iteratorIjlEEPS9_SG_NS0_5tupleIJPjSI_NS0_16reverse_iteratorISI_EEEEENSH_IJSG_SG_SG_EEES9_SI_JZNS1_25segmented_radix_sort_implINS0_14default_configELb1EPKiPiPKlPlN2at6native12_GLOBAL__N_18offset_tEEE10hipError_tPvRmT1_PNSt15iterator_traitsIS12_E10value_typeET2_T3_PNS13_IS18_E10value_typeET4_jRbjT5_S1E_jjP12ihipStream_tbEUljE_ZNSN_ISO_Lb1ESQ_SR_ST_SU_SY_EESZ_S10_S11_S12_S16_S17_S18_S1B_S1C_jS1D_jS1E_S1E_jjS1G_bEUljE0_EEESZ_S10_S11_S18_S1C_S1E_T6_T7_T9_mT8_S1G_bDpT10_ENKUlT_T0_E_clISt17integral_constantIbLb1EES1U_EEDaS1P_S1Q_EUlS1P_E_NS1_11comp_targetILNS1_3genE10ELNS1_11target_archE1200ELNS1_3gpuE4ELNS1_3repE0EEENS1_30default_config_static_selectorELNS0_4arch9wavefront6targetE1EEEvS12_,"axG",@progbits,_ZN7rocprim17ROCPRIM_400000_NS6detail17trampoline_kernelINS0_13select_configILj256ELj13ELNS0_17block_load_methodE3ELS4_3ELS4_3ELNS0_20block_scan_algorithmE0ELj4294967295EEENS1_25partition_config_selectorILNS1_17partition_subalgoE4EjNS0_10empty_typeEbEEZZNS1_14partition_implILS8_4ELb0ES6_15HIP_vector_typeIjLj2EENS0_17counting_iteratorIjlEEPS9_SG_NS0_5tupleIJPjSI_NS0_16reverse_iteratorISI_EEEEENSH_IJSG_SG_SG_EEES9_SI_JZNS1_25segmented_radix_sort_implINS0_14default_configELb1EPKiPiPKlPlN2at6native12_GLOBAL__N_18offset_tEEE10hipError_tPvRmT1_PNSt15iterator_traitsIS12_E10value_typeET2_T3_PNS13_IS18_E10value_typeET4_jRbjT5_S1E_jjP12ihipStream_tbEUljE_ZNSN_ISO_Lb1ESQ_SR_ST_SU_SY_EESZ_S10_S11_S12_S16_S17_S18_S1B_S1C_jS1D_jS1E_S1E_jjS1G_bEUljE0_EEESZ_S10_S11_S18_S1C_S1E_T6_T7_T9_mT8_S1G_bDpT10_ENKUlT_T0_E_clISt17integral_constantIbLb1EES1U_EEDaS1P_S1Q_EUlS1P_E_NS1_11comp_targetILNS1_3genE10ELNS1_11target_archE1200ELNS1_3gpuE4ELNS1_3repE0EEENS1_30default_config_static_selectorELNS0_4arch9wavefront6targetE1EEEvS12_,comdat
	.globl	_ZN7rocprim17ROCPRIM_400000_NS6detail17trampoline_kernelINS0_13select_configILj256ELj13ELNS0_17block_load_methodE3ELS4_3ELS4_3ELNS0_20block_scan_algorithmE0ELj4294967295EEENS1_25partition_config_selectorILNS1_17partition_subalgoE4EjNS0_10empty_typeEbEEZZNS1_14partition_implILS8_4ELb0ES6_15HIP_vector_typeIjLj2EENS0_17counting_iteratorIjlEEPS9_SG_NS0_5tupleIJPjSI_NS0_16reverse_iteratorISI_EEEEENSH_IJSG_SG_SG_EEES9_SI_JZNS1_25segmented_radix_sort_implINS0_14default_configELb1EPKiPiPKlPlN2at6native12_GLOBAL__N_18offset_tEEE10hipError_tPvRmT1_PNSt15iterator_traitsIS12_E10value_typeET2_T3_PNS13_IS18_E10value_typeET4_jRbjT5_S1E_jjP12ihipStream_tbEUljE_ZNSN_ISO_Lb1ESQ_SR_ST_SU_SY_EESZ_S10_S11_S12_S16_S17_S18_S1B_S1C_jS1D_jS1E_S1E_jjS1G_bEUljE0_EEESZ_S10_S11_S18_S1C_S1E_T6_T7_T9_mT8_S1G_bDpT10_ENKUlT_T0_E_clISt17integral_constantIbLb1EES1U_EEDaS1P_S1Q_EUlS1P_E_NS1_11comp_targetILNS1_3genE10ELNS1_11target_archE1200ELNS1_3gpuE4ELNS1_3repE0EEENS1_30default_config_static_selectorELNS0_4arch9wavefront6targetE1EEEvS12_ ; -- Begin function _ZN7rocprim17ROCPRIM_400000_NS6detail17trampoline_kernelINS0_13select_configILj256ELj13ELNS0_17block_load_methodE3ELS4_3ELS4_3ELNS0_20block_scan_algorithmE0ELj4294967295EEENS1_25partition_config_selectorILNS1_17partition_subalgoE4EjNS0_10empty_typeEbEEZZNS1_14partition_implILS8_4ELb0ES6_15HIP_vector_typeIjLj2EENS0_17counting_iteratorIjlEEPS9_SG_NS0_5tupleIJPjSI_NS0_16reverse_iteratorISI_EEEEENSH_IJSG_SG_SG_EEES9_SI_JZNS1_25segmented_radix_sort_implINS0_14default_configELb1EPKiPiPKlPlN2at6native12_GLOBAL__N_18offset_tEEE10hipError_tPvRmT1_PNSt15iterator_traitsIS12_E10value_typeET2_T3_PNS13_IS18_E10value_typeET4_jRbjT5_S1E_jjP12ihipStream_tbEUljE_ZNSN_ISO_Lb1ESQ_SR_ST_SU_SY_EESZ_S10_S11_S12_S16_S17_S18_S1B_S1C_jS1D_jS1E_S1E_jjS1G_bEUljE0_EEESZ_S10_S11_S18_S1C_S1E_T6_T7_T9_mT8_S1G_bDpT10_ENKUlT_T0_E_clISt17integral_constantIbLb1EES1U_EEDaS1P_S1Q_EUlS1P_E_NS1_11comp_targetILNS1_3genE10ELNS1_11target_archE1200ELNS1_3gpuE4ELNS1_3repE0EEENS1_30default_config_static_selectorELNS0_4arch9wavefront6targetE1EEEvS12_
	.p2align	8
	.type	_ZN7rocprim17ROCPRIM_400000_NS6detail17trampoline_kernelINS0_13select_configILj256ELj13ELNS0_17block_load_methodE3ELS4_3ELS4_3ELNS0_20block_scan_algorithmE0ELj4294967295EEENS1_25partition_config_selectorILNS1_17partition_subalgoE4EjNS0_10empty_typeEbEEZZNS1_14partition_implILS8_4ELb0ES6_15HIP_vector_typeIjLj2EENS0_17counting_iteratorIjlEEPS9_SG_NS0_5tupleIJPjSI_NS0_16reverse_iteratorISI_EEEEENSH_IJSG_SG_SG_EEES9_SI_JZNS1_25segmented_radix_sort_implINS0_14default_configELb1EPKiPiPKlPlN2at6native12_GLOBAL__N_18offset_tEEE10hipError_tPvRmT1_PNSt15iterator_traitsIS12_E10value_typeET2_T3_PNS13_IS18_E10value_typeET4_jRbjT5_S1E_jjP12ihipStream_tbEUljE_ZNSN_ISO_Lb1ESQ_SR_ST_SU_SY_EESZ_S10_S11_S12_S16_S17_S18_S1B_S1C_jS1D_jS1E_S1E_jjS1G_bEUljE0_EEESZ_S10_S11_S18_S1C_S1E_T6_T7_T9_mT8_S1G_bDpT10_ENKUlT_T0_E_clISt17integral_constantIbLb1EES1U_EEDaS1P_S1Q_EUlS1P_E_NS1_11comp_targetILNS1_3genE10ELNS1_11target_archE1200ELNS1_3gpuE4ELNS1_3repE0EEENS1_30default_config_static_selectorELNS0_4arch9wavefront6targetE1EEEvS12_,@function
_ZN7rocprim17ROCPRIM_400000_NS6detail17trampoline_kernelINS0_13select_configILj256ELj13ELNS0_17block_load_methodE3ELS4_3ELS4_3ELNS0_20block_scan_algorithmE0ELj4294967295EEENS1_25partition_config_selectorILNS1_17partition_subalgoE4EjNS0_10empty_typeEbEEZZNS1_14partition_implILS8_4ELb0ES6_15HIP_vector_typeIjLj2EENS0_17counting_iteratorIjlEEPS9_SG_NS0_5tupleIJPjSI_NS0_16reverse_iteratorISI_EEEEENSH_IJSG_SG_SG_EEES9_SI_JZNS1_25segmented_radix_sort_implINS0_14default_configELb1EPKiPiPKlPlN2at6native12_GLOBAL__N_18offset_tEEE10hipError_tPvRmT1_PNSt15iterator_traitsIS12_E10value_typeET2_T3_PNS13_IS18_E10value_typeET4_jRbjT5_S1E_jjP12ihipStream_tbEUljE_ZNSN_ISO_Lb1ESQ_SR_ST_SU_SY_EESZ_S10_S11_S12_S16_S17_S18_S1B_S1C_jS1D_jS1E_S1E_jjS1G_bEUljE0_EEESZ_S10_S11_S18_S1C_S1E_T6_T7_T9_mT8_S1G_bDpT10_ENKUlT_T0_E_clISt17integral_constantIbLb1EES1U_EEDaS1P_S1Q_EUlS1P_E_NS1_11comp_targetILNS1_3genE10ELNS1_11target_archE1200ELNS1_3gpuE4ELNS1_3repE0EEENS1_30default_config_static_selectorELNS0_4arch9wavefront6targetE1EEEvS12_: ; @_ZN7rocprim17ROCPRIM_400000_NS6detail17trampoline_kernelINS0_13select_configILj256ELj13ELNS0_17block_load_methodE3ELS4_3ELS4_3ELNS0_20block_scan_algorithmE0ELj4294967295EEENS1_25partition_config_selectorILNS1_17partition_subalgoE4EjNS0_10empty_typeEbEEZZNS1_14partition_implILS8_4ELb0ES6_15HIP_vector_typeIjLj2EENS0_17counting_iteratorIjlEEPS9_SG_NS0_5tupleIJPjSI_NS0_16reverse_iteratorISI_EEEEENSH_IJSG_SG_SG_EEES9_SI_JZNS1_25segmented_radix_sort_implINS0_14default_configELb1EPKiPiPKlPlN2at6native12_GLOBAL__N_18offset_tEEE10hipError_tPvRmT1_PNSt15iterator_traitsIS12_E10value_typeET2_T3_PNS13_IS18_E10value_typeET4_jRbjT5_S1E_jjP12ihipStream_tbEUljE_ZNSN_ISO_Lb1ESQ_SR_ST_SU_SY_EESZ_S10_S11_S12_S16_S17_S18_S1B_S1C_jS1D_jS1E_S1E_jjS1G_bEUljE0_EEESZ_S10_S11_S18_S1C_S1E_T6_T7_T9_mT8_S1G_bDpT10_ENKUlT_T0_E_clISt17integral_constantIbLb1EES1U_EEDaS1P_S1Q_EUlS1P_E_NS1_11comp_targetILNS1_3genE10ELNS1_11target_archE1200ELNS1_3gpuE4ELNS1_3repE0EEENS1_30default_config_static_selectorELNS0_4arch9wavefront6targetE1EEEvS12_
; %bb.0:
	.section	.rodata,"a",@progbits
	.p2align	6, 0x0
	.amdhsa_kernel _ZN7rocprim17ROCPRIM_400000_NS6detail17trampoline_kernelINS0_13select_configILj256ELj13ELNS0_17block_load_methodE3ELS4_3ELS4_3ELNS0_20block_scan_algorithmE0ELj4294967295EEENS1_25partition_config_selectorILNS1_17partition_subalgoE4EjNS0_10empty_typeEbEEZZNS1_14partition_implILS8_4ELb0ES6_15HIP_vector_typeIjLj2EENS0_17counting_iteratorIjlEEPS9_SG_NS0_5tupleIJPjSI_NS0_16reverse_iteratorISI_EEEEENSH_IJSG_SG_SG_EEES9_SI_JZNS1_25segmented_radix_sort_implINS0_14default_configELb1EPKiPiPKlPlN2at6native12_GLOBAL__N_18offset_tEEE10hipError_tPvRmT1_PNSt15iterator_traitsIS12_E10value_typeET2_T3_PNS13_IS18_E10value_typeET4_jRbjT5_S1E_jjP12ihipStream_tbEUljE_ZNSN_ISO_Lb1ESQ_SR_ST_SU_SY_EESZ_S10_S11_S12_S16_S17_S18_S1B_S1C_jS1D_jS1E_S1E_jjS1G_bEUljE0_EEESZ_S10_S11_S18_S1C_S1E_T6_T7_T9_mT8_S1G_bDpT10_ENKUlT_T0_E_clISt17integral_constantIbLb1EES1U_EEDaS1P_S1Q_EUlS1P_E_NS1_11comp_targetILNS1_3genE10ELNS1_11target_archE1200ELNS1_3gpuE4ELNS1_3repE0EEENS1_30default_config_static_selectorELNS0_4arch9wavefront6targetE1EEEvS12_
		.amdhsa_group_segment_fixed_size 0
		.amdhsa_private_segment_fixed_size 0
		.amdhsa_kernarg_size 184
		.amdhsa_user_sgpr_count 6
		.amdhsa_user_sgpr_private_segment_buffer 1
		.amdhsa_user_sgpr_dispatch_ptr 0
		.amdhsa_user_sgpr_queue_ptr 0
		.amdhsa_user_sgpr_kernarg_segment_ptr 1
		.amdhsa_user_sgpr_dispatch_id 0
		.amdhsa_user_sgpr_flat_scratch_init 0
		.amdhsa_user_sgpr_private_segment_size 0
		.amdhsa_uses_dynamic_stack 0
		.amdhsa_system_sgpr_private_segment_wavefront_offset 0
		.amdhsa_system_sgpr_workgroup_id_x 1
		.amdhsa_system_sgpr_workgroup_id_y 0
		.amdhsa_system_sgpr_workgroup_id_z 0
		.amdhsa_system_sgpr_workgroup_info 0
		.amdhsa_system_vgpr_workitem_id 0
		.amdhsa_next_free_vgpr 1
		.amdhsa_next_free_sgpr 0
		.amdhsa_reserve_vcc 0
		.amdhsa_reserve_flat_scratch 0
		.amdhsa_float_round_mode_32 0
		.amdhsa_float_round_mode_16_64 0
		.amdhsa_float_denorm_mode_32 3
		.amdhsa_float_denorm_mode_16_64 3
		.amdhsa_dx10_clamp 1
		.amdhsa_ieee_mode 1
		.amdhsa_fp16_overflow 0
		.amdhsa_exception_fp_ieee_invalid_op 0
		.amdhsa_exception_fp_denorm_src 0
		.amdhsa_exception_fp_ieee_div_zero 0
		.amdhsa_exception_fp_ieee_overflow 0
		.amdhsa_exception_fp_ieee_underflow 0
		.amdhsa_exception_fp_ieee_inexact 0
		.amdhsa_exception_int_div_zero 0
	.end_amdhsa_kernel
	.section	.text._ZN7rocprim17ROCPRIM_400000_NS6detail17trampoline_kernelINS0_13select_configILj256ELj13ELNS0_17block_load_methodE3ELS4_3ELS4_3ELNS0_20block_scan_algorithmE0ELj4294967295EEENS1_25partition_config_selectorILNS1_17partition_subalgoE4EjNS0_10empty_typeEbEEZZNS1_14partition_implILS8_4ELb0ES6_15HIP_vector_typeIjLj2EENS0_17counting_iteratorIjlEEPS9_SG_NS0_5tupleIJPjSI_NS0_16reverse_iteratorISI_EEEEENSH_IJSG_SG_SG_EEES9_SI_JZNS1_25segmented_radix_sort_implINS0_14default_configELb1EPKiPiPKlPlN2at6native12_GLOBAL__N_18offset_tEEE10hipError_tPvRmT1_PNSt15iterator_traitsIS12_E10value_typeET2_T3_PNS13_IS18_E10value_typeET4_jRbjT5_S1E_jjP12ihipStream_tbEUljE_ZNSN_ISO_Lb1ESQ_SR_ST_SU_SY_EESZ_S10_S11_S12_S16_S17_S18_S1B_S1C_jS1D_jS1E_S1E_jjS1G_bEUljE0_EEESZ_S10_S11_S18_S1C_S1E_T6_T7_T9_mT8_S1G_bDpT10_ENKUlT_T0_E_clISt17integral_constantIbLb1EES1U_EEDaS1P_S1Q_EUlS1P_E_NS1_11comp_targetILNS1_3genE10ELNS1_11target_archE1200ELNS1_3gpuE4ELNS1_3repE0EEENS1_30default_config_static_selectorELNS0_4arch9wavefront6targetE1EEEvS12_,"axG",@progbits,_ZN7rocprim17ROCPRIM_400000_NS6detail17trampoline_kernelINS0_13select_configILj256ELj13ELNS0_17block_load_methodE3ELS4_3ELS4_3ELNS0_20block_scan_algorithmE0ELj4294967295EEENS1_25partition_config_selectorILNS1_17partition_subalgoE4EjNS0_10empty_typeEbEEZZNS1_14partition_implILS8_4ELb0ES6_15HIP_vector_typeIjLj2EENS0_17counting_iteratorIjlEEPS9_SG_NS0_5tupleIJPjSI_NS0_16reverse_iteratorISI_EEEEENSH_IJSG_SG_SG_EEES9_SI_JZNS1_25segmented_radix_sort_implINS0_14default_configELb1EPKiPiPKlPlN2at6native12_GLOBAL__N_18offset_tEEE10hipError_tPvRmT1_PNSt15iterator_traitsIS12_E10value_typeET2_T3_PNS13_IS18_E10value_typeET4_jRbjT5_S1E_jjP12ihipStream_tbEUljE_ZNSN_ISO_Lb1ESQ_SR_ST_SU_SY_EESZ_S10_S11_S12_S16_S17_S18_S1B_S1C_jS1D_jS1E_S1E_jjS1G_bEUljE0_EEESZ_S10_S11_S18_S1C_S1E_T6_T7_T9_mT8_S1G_bDpT10_ENKUlT_T0_E_clISt17integral_constantIbLb1EES1U_EEDaS1P_S1Q_EUlS1P_E_NS1_11comp_targetILNS1_3genE10ELNS1_11target_archE1200ELNS1_3gpuE4ELNS1_3repE0EEENS1_30default_config_static_selectorELNS0_4arch9wavefront6targetE1EEEvS12_,comdat
.Lfunc_end446:
	.size	_ZN7rocprim17ROCPRIM_400000_NS6detail17trampoline_kernelINS0_13select_configILj256ELj13ELNS0_17block_load_methodE3ELS4_3ELS4_3ELNS0_20block_scan_algorithmE0ELj4294967295EEENS1_25partition_config_selectorILNS1_17partition_subalgoE4EjNS0_10empty_typeEbEEZZNS1_14partition_implILS8_4ELb0ES6_15HIP_vector_typeIjLj2EENS0_17counting_iteratorIjlEEPS9_SG_NS0_5tupleIJPjSI_NS0_16reverse_iteratorISI_EEEEENSH_IJSG_SG_SG_EEES9_SI_JZNS1_25segmented_radix_sort_implINS0_14default_configELb1EPKiPiPKlPlN2at6native12_GLOBAL__N_18offset_tEEE10hipError_tPvRmT1_PNSt15iterator_traitsIS12_E10value_typeET2_T3_PNS13_IS18_E10value_typeET4_jRbjT5_S1E_jjP12ihipStream_tbEUljE_ZNSN_ISO_Lb1ESQ_SR_ST_SU_SY_EESZ_S10_S11_S12_S16_S17_S18_S1B_S1C_jS1D_jS1E_S1E_jjS1G_bEUljE0_EEESZ_S10_S11_S18_S1C_S1E_T6_T7_T9_mT8_S1G_bDpT10_ENKUlT_T0_E_clISt17integral_constantIbLb1EES1U_EEDaS1P_S1Q_EUlS1P_E_NS1_11comp_targetILNS1_3genE10ELNS1_11target_archE1200ELNS1_3gpuE4ELNS1_3repE0EEENS1_30default_config_static_selectorELNS0_4arch9wavefront6targetE1EEEvS12_, .Lfunc_end446-_ZN7rocprim17ROCPRIM_400000_NS6detail17trampoline_kernelINS0_13select_configILj256ELj13ELNS0_17block_load_methodE3ELS4_3ELS4_3ELNS0_20block_scan_algorithmE0ELj4294967295EEENS1_25partition_config_selectorILNS1_17partition_subalgoE4EjNS0_10empty_typeEbEEZZNS1_14partition_implILS8_4ELb0ES6_15HIP_vector_typeIjLj2EENS0_17counting_iteratorIjlEEPS9_SG_NS0_5tupleIJPjSI_NS0_16reverse_iteratorISI_EEEEENSH_IJSG_SG_SG_EEES9_SI_JZNS1_25segmented_radix_sort_implINS0_14default_configELb1EPKiPiPKlPlN2at6native12_GLOBAL__N_18offset_tEEE10hipError_tPvRmT1_PNSt15iterator_traitsIS12_E10value_typeET2_T3_PNS13_IS18_E10value_typeET4_jRbjT5_S1E_jjP12ihipStream_tbEUljE_ZNSN_ISO_Lb1ESQ_SR_ST_SU_SY_EESZ_S10_S11_S12_S16_S17_S18_S1B_S1C_jS1D_jS1E_S1E_jjS1G_bEUljE0_EEESZ_S10_S11_S18_S1C_S1E_T6_T7_T9_mT8_S1G_bDpT10_ENKUlT_T0_E_clISt17integral_constantIbLb1EES1U_EEDaS1P_S1Q_EUlS1P_E_NS1_11comp_targetILNS1_3genE10ELNS1_11target_archE1200ELNS1_3gpuE4ELNS1_3repE0EEENS1_30default_config_static_selectorELNS0_4arch9wavefront6targetE1EEEvS12_
                                        ; -- End function
	.set _ZN7rocprim17ROCPRIM_400000_NS6detail17trampoline_kernelINS0_13select_configILj256ELj13ELNS0_17block_load_methodE3ELS4_3ELS4_3ELNS0_20block_scan_algorithmE0ELj4294967295EEENS1_25partition_config_selectorILNS1_17partition_subalgoE4EjNS0_10empty_typeEbEEZZNS1_14partition_implILS8_4ELb0ES6_15HIP_vector_typeIjLj2EENS0_17counting_iteratorIjlEEPS9_SG_NS0_5tupleIJPjSI_NS0_16reverse_iteratorISI_EEEEENSH_IJSG_SG_SG_EEES9_SI_JZNS1_25segmented_radix_sort_implINS0_14default_configELb1EPKiPiPKlPlN2at6native12_GLOBAL__N_18offset_tEEE10hipError_tPvRmT1_PNSt15iterator_traitsIS12_E10value_typeET2_T3_PNS13_IS18_E10value_typeET4_jRbjT5_S1E_jjP12ihipStream_tbEUljE_ZNSN_ISO_Lb1ESQ_SR_ST_SU_SY_EESZ_S10_S11_S12_S16_S17_S18_S1B_S1C_jS1D_jS1E_S1E_jjS1G_bEUljE0_EEESZ_S10_S11_S18_S1C_S1E_T6_T7_T9_mT8_S1G_bDpT10_ENKUlT_T0_E_clISt17integral_constantIbLb1EES1U_EEDaS1P_S1Q_EUlS1P_E_NS1_11comp_targetILNS1_3genE10ELNS1_11target_archE1200ELNS1_3gpuE4ELNS1_3repE0EEENS1_30default_config_static_selectorELNS0_4arch9wavefront6targetE1EEEvS12_.num_vgpr, 0
	.set _ZN7rocprim17ROCPRIM_400000_NS6detail17trampoline_kernelINS0_13select_configILj256ELj13ELNS0_17block_load_methodE3ELS4_3ELS4_3ELNS0_20block_scan_algorithmE0ELj4294967295EEENS1_25partition_config_selectorILNS1_17partition_subalgoE4EjNS0_10empty_typeEbEEZZNS1_14partition_implILS8_4ELb0ES6_15HIP_vector_typeIjLj2EENS0_17counting_iteratorIjlEEPS9_SG_NS0_5tupleIJPjSI_NS0_16reverse_iteratorISI_EEEEENSH_IJSG_SG_SG_EEES9_SI_JZNS1_25segmented_radix_sort_implINS0_14default_configELb1EPKiPiPKlPlN2at6native12_GLOBAL__N_18offset_tEEE10hipError_tPvRmT1_PNSt15iterator_traitsIS12_E10value_typeET2_T3_PNS13_IS18_E10value_typeET4_jRbjT5_S1E_jjP12ihipStream_tbEUljE_ZNSN_ISO_Lb1ESQ_SR_ST_SU_SY_EESZ_S10_S11_S12_S16_S17_S18_S1B_S1C_jS1D_jS1E_S1E_jjS1G_bEUljE0_EEESZ_S10_S11_S18_S1C_S1E_T6_T7_T9_mT8_S1G_bDpT10_ENKUlT_T0_E_clISt17integral_constantIbLb1EES1U_EEDaS1P_S1Q_EUlS1P_E_NS1_11comp_targetILNS1_3genE10ELNS1_11target_archE1200ELNS1_3gpuE4ELNS1_3repE0EEENS1_30default_config_static_selectorELNS0_4arch9wavefront6targetE1EEEvS12_.num_agpr, 0
	.set _ZN7rocprim17ROCPRIM_400000_NS6detail17trampoline_kernelINS0_13select_configILj256ELj13ELNS0_17block_load_methodE3ELS4_3ELS4_3ELNS0_20block_scan_algorithmE0ELj4294967295EEENS1_25partition_config_selectorILNS1_17partition_subalgoE4EjNS0_10empty_typeEbEEZZNS1_14partition_implILS8_4ELb0ES6_15HIP_vector_typeIjLj2EENS0_17counting_iteratorIjlEEPS9_SG_NS0_5tupleIJPjSI_NS0_16reverse_iteratorISI_EEEEENSH_IJSG_SG_SG_EEES9_SI_JZNS1_25segmented_radix_sort_implINS0_14default_configELb1EPKiPiPKlPlN2at6native12_GLOBAL__N_18offset_tEEE10hipError_tPvRmT1_PNSt15iterator_traitsIS12_E10value_typeET2_T3_PNS13_IS18_E10value_typeET4_jRbjT5_S1E_jjP12ihipStream_tbEUljE_ZNSN_ISO_Lb1ESQ_SR_ST_SU_SY_EESZ_S10_S11_S12_S16_S17_S18_S1B_S1C_jS1D_jS1E_S1E_jjS1G_bEUljE0_EEESZ_S10_S11_S18_S1C_S1E_T6_T7_T9_mT8_S1G_bDpT10_ENKUlT_T0_E_clISt17integral_constantIbLb1EES1U_EEDaS1P_S1Q_EUlS1P_E_NS1_11comp_targetILNS1_3genE10ELNS1_11target_archE1200ELNS1_3gpuE4ELNS1_3repE0EEENS1_30default_config_static_selectorELNS0_4arch9wavefront6targetE1EEEvS12_.numbered_sgpr, 0
	.set _ZN7rocprim17ROCPRIM_400000_NS6detail17trampoline_kernelINS0_13select_configILj256ELj13ELNS0_17block_load_methodE3ELS4_3ELS4_3ELNS0_20block_scan_algorithmE0ELj4294967295EEENS1_25partition_config_selectorILNS1_17partition_subalgoE4EjNS0_10empty_typeEbEEZZNS1_14partition_implILS8_4ELb0ES6_15HIP_vector_typeIjLj2EENS0_17counting_iteratorIjlEEPS9_SG_NS0_5tupleIJPjSI_NS0_16reverse_iteratorISI_EEEEENSH_IJSG_SG_SG_EEES9_SI_JZNS1_25segmented_radix_sort_implINS0_14default_configELb1EPKiPiPKlPlN2at6native12_GLOBAL__N_18offset_tEEE10hipError_tPvRmT1_PNSt15iterator_traitsIS12_E10value_typeET2_T3_PNS13_IS18_E10value_typeET4_jRbjT5_S1E_jjP12ihipStream_tbEUljE_ZNSN_ISO_Lb1ESQ_SR_ST_SU_SY_EESZ_S10_S11_S12_S16_S17_S18_S1B_S1C_jS1D_jS1E_S1E_jjS1G_bEUljE0_EEESZ_S10_S11_S18_S1C_S1E_T6_T7_T9_mT8_S1G_bDpT10_ENKUlT_T0_E_clISt17integral_constantIbLb1EES1U_EEDaS1P_S1Q_EUlS1P_E_NS1_11comp_targetILNS1_3genE10ELNS1_11target_archE1200ELNS1_3gpuE4ELNS1_3repE0EEENS1_30default_config_static_selectorELNS0_4arch9wavefront6targetE1EEEvS12_.num_named_barrier, 0
	.set _ZN7rocprim17ROCPRIM_400000_NS6detail17trampoline_kernelINS0_13select_configILj256ELj13ELNS0_17block_load_methodE3ELS4_3ELS4_3ELNS0_20block_scan_algorithmE0ELj4294967295EEENS1_25partition_config_selectorILNS1_17partition_subalgoE4EjNS0_10empty_typeEbEEZZNS1_14partition_implILS8_4ELb0ES6_15HIP_vector_typeIjLj2EENS0_17counting_iteratorIjlEEPS9_SG_NS0_5tupleIJPjSI_NS0_16reverse_iteratorISI_EEEEENSH_IJSG_SG_SG_EEES9_SI_JZNS1_25segmented_radix_sort_implINS0_14default_configELb1EPKiPiPKlPlN2at6native12_GLOBAL__N_18offset_tEEE10hipError_tPvRmT1_PNSt15iterator_traitsIS12_E10value_typeET2_T3_PNS13_IS18_E10value_typeET4_jRbjT5_S1E_jjP12ihipStream_tbEUljE_ZNSN_ISO_Lb1ESQ_SR_ST_SU_SY_EESZ_S10_S11_S12_S16_S17_S18_S1B_S1C_jS1D_jS1E_S1E_jjS1G_bEUljE0_EEESZ_S10_S11_S18_S1C_S1E_T6_T7_T9_mT8_S1G_bDpT10_ENKUlT_T0_E_clISt17integral_constantIbLb1EES1U_EEDaS1P_S1Q_EUlS1P_E_NS1_11comp_targetILNS1_3genE10ELNS1_11target_archE1200ELNS1_3gpuE4ELNS1_3repE0EEENS1_30default_config_static_selectorELNS0_4arch9wavefront6targetE1EEEvS12_.private_seg_size, 0
	.set _ZN7rocprim17ROCPRIM_400000_NS6detail17trampoline_kernelINS0_13select_configILj256ELj13ELNS0_17block_load_methodE3ELS4_3ELS4_3ELNS0_20block_scan_algorithmE0ELj4294967295EEENS1_25partition_config_selectorILNS1_17partition_subalgoE4EjNS0_10empty_typeEbEEZZNS1_14partition_implILS8_4ELb0ES6_15HIP_vector_typeIjLj2EENS0_17counting_iteratorIjlEEPS9_SG_NS0_5tupleIJPjSI_NS0_16reverse_iteratorISI_EEEEENSH_IJSG_SG_SG_EEES9_SI_JZNS1_25segmented_radix_sort_implINS0_14default_configELb1EPKiPiPKlPlN2at6native12_GLOBAL__N_18offset_tEEE10hipError_tPvRmT1_PNSt15iterator_traitsIS12_E10value_typeET2_T3_PNS13_IS18_E10value_typeET4_jRbjT5_S1E_jjP12ihipStream_tbEUljE_ZNSN_ISO_Lb1ESQ_SR_ST_SU_SY_EESZ_S10_S11_S12_S16_S17_S18_S1B_S1C_jS1D_jS1E_S1E_jjS1G_bEUljE0_EEESZ_S10_S11_S18_S1C_S1E_T6_T7_T9_mT8_S1G_bDpT10_ENKUlT_T0_E_clISt17integral_constantIbLb1EES1U_EEDaS1P_S1Q_EUlS1P_E_NS1_11comp_targetILNS1_3genE10ELNS1_11target_archE1200ELNS1_3gpuE4ELNS1_3repE0EEENS1_30default_config_static_selectorELNS0_4arch9wavefront6targetE1EEEvS12_.uses_vcc, 0
	.set _ZN7rocprim17ROCPRIM_400000_NS6detail17trampoline_kernelINS0_13select_configILj256ELj13ELNS0_17block_load_methodE3ELS4_3ELS4_3ELNS0_20block_scan_algorithmE0ELj4294967295EEENS1_25partition_config_selectorILNS1_17partition_subalgoE4EjNS0_10empty_typeEbEEZZNS1_14partition_implILS8_4ELb0ES6_15HIP_vector_typeIjLj2EENS0_17counting_iteratorIjlEEPS9_SG_NS0_5tupleIJPjSI_NS0_16reverse_iteratorISI_EEEEENSH_IJSG_SG_SG_EEES9_SI_JZNS1_25segmented_radix_sort_implINS0_14default_configELb1EPKiPiPKlPlN2at6native12_GLOBAL__N_18offset_tEEE10hipError_tPvRmT1_PNSt15iterator_traitsIS12_E10value_typeET2_T3_PNS13_IS18_E10value_typeET4_jRbjT5_S1E_jjP12ihipStream_tbEUljE_ZNSN_ISO_Lb1ESQ_SR_ST_SU_SY_EESZ_S10_S11_S12_S16_S17_S18_S1B_S1C_jS1D_jS1E_S1E_jjS1G_bEUljE0_EEESZ_S10_S11_S18_S1C_S1E_T6_T7_T9_mT8_S1G_bDpT10_ENKUlT_T0_E_clISt17integral_constantIbLb1EES1U_EEDaS1P_S1Q_EUlS1P_E_NS1_11comp_targetILNS1_3genE10ELNS1_11target_archE1200ELNS1_3gpuE4ELNS1_3repE0EEENS1_30default_config_static_selectorELNS0_4arch9wavefront6targetE1EEEvS12_.uses_flat_scratch, 0
	.set _ZN7rocprim17ROCPRIM_400000_NS6detail17trampoline_kernelINS0_13select_configILj256ELj13ELNS0_17block_load_methodE3ELS4_3ELS4_3ELNS0_20block_scan_algorithmE0ELj4294967295EEENS1_25partition_config_selectorILNS1_17partition_subalgoE4EjNS0_10empty_typeEbEEZZNS1_14partition_implILS8_4ELb0ES6_15HIP_vector_typeIjLj2EENS0_17counting_iteratorIjlEEPS9_SG_NS0_5tupleIJPjSI_NS0_16reverse_iteratorISI_EEEEENSH_IJSG_SG_SG_EEES9_SI_JZNS1_25segmented_radix_sort_implINS0_14default_configELb1EPKiPiPKlPlN2at6native12_GLOBAL__N_18offset_tEEE10hipError_tPvRmT1_PNSt15iterator_traitsIS12_E10value_typeET2_T3_PNS13_IS18_E10value_typeET4_jRbjT5_S1E_jjP12ihipStream_tbEUljE_ZNSN_ISO_Lb1ESQ_SR_ST_SU_SY_EESZ_S10_S11_S12_S16_S17_S18_S1B_S1C_jS1D_jS1E_S1E_jjS1G_bEUljE0_EEESZ_S10_S11_S18_S1C_S1E_T6_T7_T9_mT8_S1G_bDpT10_ENKUlT_T0_E_clISt17integral_constantIbLb1EES1U_EEDaS1P_S1Q_EUlS1P_E_NS1_11comp_targetILNS1_3genE10ELNS1_11target_archE1200ELNS1_3gpuE4ELNS1_3repE0EEENS1_30default_config_static_selectorELNS0_4arch9wavefront6targetE1EEEvS12_.has_dyn_sized_stack, 0
	.set _ZN7rocprim17ROCPRIM_400000_NS6detail17trampoline_kernelINS0_13select_configILj256ELj13ELNS0_17block_load_methodE3ELS4_3ELS4_3ELNS0_20block_scan_algorithmE0ELj4294967295EEENS1_25partition_config_selectorILNS1_17partition_subalgoE4EjNS0_10empty_typeEbEEZZNS1_14partition_implILS8_4ELb0ES6_15HIP_vector_typeIjLj2EENS0_17counting_iteratorIjlEEPS9_SG_NS0_5tupleIJPjSI_NS0_16reverse_iteratorISI_EEEEENSH_IJSG_SG_SG_EEES9_SI_JZNS1_25segmented_radix_sort_implINS0_14default_configELb1EPKiPiPKlPlN2at6native12_GLOBAL__N_18offset_tEEE10hipError_tPvRmT1_PNSt15iterator_traitsIS12_E10value_typeET2_T3_PNS13_IS18_E10value_typeET4_jRbjT5_S1E_jjP12ihipStream_tbEUljE_ZNSN_ISO_Lb1ESQ_SR_ST_SU_SY_EESZ_S10_S11_S12_S16_S17_S18_S1B_S1C_jS1D_jS1E_S1E_jjS1G_bEUljE0_EEESZ_S10_S11_S18_S1C_S1E_T6_T7_T9_mT8_S1G_bDpT10_ENKUlT_T0_E_clISt17integral_constantIbLb1EES1U_EEDaS1P_S1Q_EUlS1P_E_NS1_11comp_targetILNS1_3genE10ELNS1_11target_archE1200ELNS1_3gpuE4ELNS1_3repE0EEENS1_30default_config_static_selectorELNS0_4arch9wavefront6targetE1EEEvS12_.has_recursion, 0
	.set _ZN7rocprim17ROCPRIM_400000_NS6detail17trampoline_kernelINS0_13select_configILj256ELj13ELNS0_17block_load_methodE3ELS4_3ELS4_3ELNS0_20block_scan_algorithmE0ELj4294967295EEENS1_25partition_config_selectorILNS1_17partition_subalgoE4EjNS0_10empty_typeEbEEZZNS1_14partition_implILS8_4ELb0ES6_15HIP_vector_typeIjLj2EENS0_17counting_iteratorIjlEEPS9_SG_NS0_5tupleIJPjSI_NS0_16reverse_iteratorISI_EEEEENSH_IJSG_SG_SG_EEES9_SI_JZNS1_25segmented_radix_sort_implINS0_14default_configELb1EPKiPiPKlPlN2at6native12_GLOBAL__N_18offset_tEEE10hipError_tPvRmT1_PNSt15iterator_traitsIS12_E10value_typeET2_T3_PNS13_IS18_E10value_typeET4_jRbjT5_S1E_jjP12ihipStream_tbEUljE_ZNSN_ISO_Lb1ESQ_SR_ST_SU_SY_EESZ_S10_S11_S12_S16_S17_S18_S1B_S1C_jS1D_jS1E_S1E_jjS1G_bEUljE0_EEESZ_S10_S11_S18_S1C_S1E_T6_T7_T9_mT8_S1G_bDpT10_ENKUlT_T0_E_clISt17integral_constantIbLb1EES1U_EEDaS1P_S1Q_EUlS1P_E_NS1_11comp_targetILNS1_3genE10ELNS1_11target_archE1200ELNS1_3gpuE4ELNS1_3repE0EEENS1_30default_config_static_selectorELNS0_4arch9wavefront6targetE1EEEvS12_.has_indirect_call, 0
	.section	.AMDGPU.csdata,"",@progbits
; Kernel info:
; codeLenInByte = 0
; TotalNumSgprs: 4
; NumVgprs: 0
; ScratchSize: 0
; MemoryBound: 0
; FloatMode: 240
; IeeeMode: 1
; LDSByteSize: 0 bytes/workgroup (compile time only)
; SGPRBlocks: 0
; VGPRBlocks: 0
; NumSGPRsForWavesPerEU: 4
; NumVGPRsForWavesPerEU: 1
; Occupancy: 10
; WaveLimiterHint : 0
; COMPUTE_PGM_RSRC2:SCRATCH_EN: 0
; COMPUTE_PGM_RSRC2:USER_SGPR: 6
; COMPUTE_PGM_RSRC2:TRAP_HANDLER: 0
; COMPUTE_PGM_RSRC2:TGID_X_EN: 1
; COMPUTE_PGM_RSRC2:TGID_Y_EN: 0
; COMPUTE_PGM_RSRC2:TGID_Z_EN: 0
; COMPUTE_PGM_RSRC2:TIDIG_COMP_CNT: 0
	.section	.text._ZN7rocprim17ROCPRIM_400000_NS6detail17trampoline_kernelINS0_13select_configILj256ELj13ELNS0_17block_load_methodE3ELS4_3ELS4_3ELNS0_20block_scan_algorithmE0ELj4294967295EEENS1_25partition_config_selectorILNS1_17partition_subalgoE4EjNS0_10empty_typeEbEEZZNS1_14partition_implILS8_4ELb0ES6_15HIP_vector_typeIjLj2EENS0_17counting_iteratorIjlEEPS9_SG_NS0_5tupleIJPjSI_NS0_16reverse_iteratorISI_EEEEENSH_IJSG_SG_SG_EEES9_SI_JZNS1_25segmented_radix_sort_implINS0_14default_configELb1EPKiPiPKlPlN2at6native12_GLOBAL__N_18offset_tEEE10hipError_tPvRmT1_PNSt15iterator_traitsIS12_E10value_typeET2_T3_PNS13_IS18_E10value_typeET4_jRbjT5_S1E_jjP12ihipStream_tbEUljE_ZNSN_ISO_Lb1ESQ_SR_ST_SU_SY_EESZ_S10_S11_S12_S16_S17_S18_S1B_S1C_jS1D_jS1E_S1E_jjS1G_bEUljE0_EEESZ_S10_S11_S18_S1C_S1E_T6_T7_T9_mT8_S1G_bDpT10_ENKUlT_T0_E_clISt17integral_constantIbLb1EES1U_EEDaS1P_S1Q_EUlS1P_E_NS1_11comp_targetILNS1_3genE9ELNS1_11target_archE1100ELNS1_3gpuE3ELNS1_3repE0EEENS1_30default_config_static_selectorELNS0_4arch9wavefront6targetE1EEEvS12_,"axG",@progbits,_ZN7rocprim17ROCPRIM_400000_NS6detail17trampoline_kernelINS0_13select_configILj256ELj13ELNS0_17block_load_methodE3ELS4_3ELS4_3ELNS0_20block_scan_algorithmE0ELj4294967295EEENS1_25partition_config_selectorILNS1_17partition_subalgoE4EjNS0_10empty_typeEbEEZZNS1_14partition_implILS8_4ELb0ES6_15HIP_vector_typeIjLj2EENS0_17counting_iteratorIjlEEPS9_SG_NS0_5tupleIJPjSI_NS0_16reverse_iteratorISI_EEEEENSH_IJSG_SG_SG_EEES9_SI_JZNS1_25segmented_radix_sort_implINS0_14default_configELb1EPKiPiPKlPlN2at6native12_GLOBAL__N_18offset_tEEE10hipError_tPvRmT1_PNSt15iterator_traitsIS12_E10value_typeET2_T3_PNS13_IS18_E10value_typeET4_jRbjT5_S1E_jjP12ihipStream_tbEUljE_ZNSN_ISO_Lb1ESQ_SR_ST_SU_SY_EESZ_S10_S11_S12_S16_S17_S18_S1B_S1C_jS1D_jS1E_S1E_jjS1G_bEUljE0_EEESZ_S10_S11_S18_S1C_S1E_T6_T7_T9_mT8_S1G_bDpT10_ENKUlT_T0_E_clISt17integral_constantIbLb1EES1U_EEDaS1P_S1Q_EUlS1P_E_NS1_11comp_targetILNS1_3genE9ELNS1_11target_archE1100ELNS1_3gpuE3ELNS1_3repE0EEENS1_30default_config_static_selectorELNS0_4arch9wavefront6targetE1EEEvS12_,comdat
	.globl	_ZN7rocprim17ROCPRIM_400000_NS6detail17trampoline_kernelINS0_13select_configILj256ELj13ELNS0_17block_load_methodE3ELS4_3ELS4_3ELNS0_20block_scan_algorithmE0ELj4294967295EEENS1_25partition_config_selectorILNS1_17partition_subalgoE4EjNS0_10empty_typeEbEEZZNS1_14partition_implILS8_4ELb0ES6_15HIP_vector_typeIjLj2EENS0_17counting_iteratorIjlEEPS9_SG_NS0_5tupleIJPjSI_NS0_16reverse_iteratorISI_EEEEENSH_IJSG_SG_SG_EEES9_SI_JZNS1_25segmented_radix_sort_implINS0_14default_configELb1EPKiPiPKlPlN2at6native12_GLOBAL__N_18offset_tEEE10hipError_tPvRmT1_PNSt15iterator_traitsIS12_E10value_typeET2_T3_PNS13_IS18_E10value_typeET4_jRbjT5_S1E_jjP12ihipStream_tbEUljE_ZNSN_ISO_Lb1ESQ_SR_ST_SU_SY_EESZ_S10_S11_S12_S16_S17_S18_S1B_S1C_jS1D_jS1E_S1E_jjS1G_bEUljE0_EEESZ_S10_S11_S18_S1C_S1E_T6_T7_T9_mT8_S1G_bDpT10_ENKUlT_T0_E_clISt17integral_constantIbLb1EES1U_EEDaS1P_S1Q_EUlS1P_E_NS1_11comp_targetILNS1_3genE9ELNS1_11target_archE1100ELNS1_3gpuE3ELNS1_3repE0EEENS1_30default_config_static_selectorELNS0_4arch9wavefront6targetE1EEEvS12_ ; -- Begin function _ZN7rocprim17ROCPRIM_400000_NS6detail17trampoline_kernelINS0_13select_configILj256ELj13ELNS0_17block_load_methodE3ELS4_3ELS4_3ELNS0_20block_scan_algorithmE0ELj4294967295EEENS1_25partition_config_selectorILNS1_17partition_subalgoE4EjNS0_10empty_typeEbEEZZNS1_14partition_implILS8_4ELb0ES6_15HIP_vector_typeIjLj2EENS0_17counting_iteratorIjlEEPS9_SG_NS0_5tupleIJPjSI_NS0_16reverse_iteratorISI_EEEEENSH_IJSG_SG_SG_EEES9_SI_JZNS1_25segmented_radix_sort_implINS0_14default_configELb1EPKiPiPKlPlN2at6native12_GLOBAL__N_18offset_tEEE10hipError_tPvRmT1_PNSt15iterator_traitsIS12_E10value_typeET2_T3_PNS13_IS18_E10value_typeET4_jRbjT5_S1E_jjP12ihipStream_tbEUljE_ZNSN_ISO_Lb1ESQ_SR_ST_SU_SY_EESZ_S10_S11_S12_S16_S17_S18_S1B_S1C_jS1D_jS1E_S1E_jjS1G_bEUljE0_EEESZ_S10_S11_S18_S1C_S1E_T6_T7_T9_mT8_S1G_bDpT10_ENKUlT_T0_E_clISt17integral_constantIbLb1EES1U_EEDaS1P_S1Q_EUlS1P_E_NS1_11comp_targetILNS1_3genE9ELNS1_11target_archE1100ELNS1_3gpuE3ELNS1_3repE0EEENS1_30default_config_static_selectorELNS0_4arch9wavefront6targetE1EEEvS12_
	.p2align	8
	.type	_ZN7rocprim17ROCPRIM_400000_NS6detail17trampoline_kernelINS0_13select_configILj256ELj13ELNS0_17block_load_methodE3ELS4_3ELS4_3ELNS0_20block_scan_algorithmE0ELj4294967295EEENS1_25partition_config_selectorILNS1_17partition_subalgoE4EjNS0_10empty_typeEbEEZZNS1_14partition_implILS8_4ELb0ES6_15HIP_vector_typeIjLj2EENS0_17counting_iteratorIjlEEPS9_SG_NS0_5tupleIJPjSI_NS0_16reverse_iteratorISI_EEEEENSH_IJSG_SG_SG_EEES9_SI_JZNS1_25segmented_radix_sort_implINS0_14default_configELb1EPKiPiPKlPlN2at6native12_GLOBAL__N_18offset_tEEE10hipError_tPvRmT1_PNSt15iterator_traitsIS12_E10value_typeET2_T3_PNS13_IS18_E10value_typeET4_jRbjT5_S1E_jjP12ihipStream_tbEUljE_ZNSN_ISO_Lb1ESQ_SR_ST_SU_SY_EESZ_S10_S11_S12_S16_S17_S18_S1B_S1C_jS1D_jS1E_S1E_jjS1G_bEUljE0_EEESZ_S10_S11_S18_S1C_S1E_T6_T7_T9_mT8_S1G_bDpT10_ENKUlT_T0_E_clISt17integral_constantIbLb1EES1U_EEDaS1P_S1Q_EUlS1P_E_NS1_11comp_targetILNS1_3genE9ELNS1_11target_archE1100ELNS1_3gpuE3ELNS1_3repE0EEENS1_30default_config_static_selectorELNS0_4arch9wavefront6targetE1EEEvS12_,@function
_ZN7rocprim17ROCPRIM_400000_NS6detail17trampoline_kernelINS0_13select_configILj256ELj13ELNS0_17block_load_methodE3ELS4_3ELS4_3ELNS0_20block_scan_algorithmE0ELj4294967295EEENS1_25partition_config_selectorILNS1_17partition_subalgoE4EjNS0_10empty_typeEbEEZZNS1_14partition_implILS8_4ELb0ES6_15HIP_vector_typeIjLj2EENS0_17counting_iteratorIjlEEPS9_SG_NS0_5tupleIJPjSI_NS0_16reverse_iteratorISI_EEEEENSH_IJSG_SG_SG_EEES9_SI_JZNS1_25segmented_radix_sort_implINS0_14default_configELb1EPKiPiPKlPlN2at6native12_GLOBAL__N_18offset_tEEE10hipError_tPvRmT1_PNSt15iterator_traitsIS12_E10value_typeET2_T3_PNS13_IS18_E10value_typeET4_jRbjT5_S1E_jjP12ihipStream_tbEUljE_ZNSN_ISO_Lb1ESQ_SR_ST_SU_SY_EESZ_S10_S11_S12_S16_S17_S18_S1B_S1C_jS1D_jS1E_S1E_jjS1G_bEUljE0_EEESZ_S10_S11_S18_S1C_S1E_T6_T7_T9_mT8_S1G_bDpT10_ENKUlT_T0_E_clISt17integral_constantIbLb1EES1U_EEDaS1P_S1Q_EUlS1P_E_NS1_11comp_targetILNS1_3genE9ELNS1_11target_archE1100ELNS1_3gpuE3ELNS1_3repE0EEENS1_30default_config_static_selectorELNS0_4arch9wavefront6targetE1EEEvS12_: ; @_ZN7rocprim17ROCPRIM_400000_NS6detail17trampoline_kernelINS0_13select_configILj256ELj13ELNS0_17block_load_methodE3ELS4_3ELS4_3ELNS0_20block_scan_algorithmE0ELj4294967295EEENS1_25partition_config_selectorILNS1_17partition_subalgoE4EjNS0_10empty_typeEbEEZZNS1_14partition_implILS8_4ELb0ES6_15HIP_vector_typeIjLj2EENS0_17counting_iteratorIjlEEPS9_SG_NS0_5tupleIJPjSI_NS0_16reverse_iteratorISI_EEEEENSH_IJSG_SG_SG_EEES9_SI_JZNS1_25segmented_radix_sort_implINS0_14default_configELb1EPKiPiPKlPlN2at6native12_GLOBAL__N_18offset_tEEE10hipError_tPvRmT1_PNSt15iterator_traitsIS12_E10value_typeET2_T3_PNS13_IS18_E10value_typeET4_jRbjT5_S1E_jjP12ihipStream_tbEUljE_ZNSN_ISO_Lb1ESQ_SR_ST_SU_SY_EESZ_S10_S11_S12_S16_S17_S18_S1B_S1C_jS1D_jS1E_S1E_jjS1G_bEUljE0_EEESZ_S10_S11_S18_S1C_S1E_T6_T7_T9_mT8_S1G_bDpT10_ENKUlT_T0_E_clISt17integral_constantIbLb1EES1U_EEDaS1P_S1Q_EUlS1P_E_NS1_11comp_targetILNS1_3genE9ELNS1_11target_archE1100ELNS1_3gpuE3ELNS1_3repE0EEENS1_30default_config_static_selectorELNS0_4arch9wavefront6targetE1EEEvS12_
; %bb.0:
	.section	.rodata,"a",@progbits
	.p2align	6, 0x0
	.amdhsa_kernel _ZN7rocprim17ROCPRIM_400000_NS6detail17trampoline_kernelINS0_13select_configILj256ELj13ELNS0_17block_load_methodE3ELS4_3ELS4_3ELNS0_20block_scan_algorithmE0ELj4294967295EEENS1_25partition_config_selectorILNS1_17partition_subalgoE4EjNS0_10empty_typeEbEEZZNS1_14partition_implILS8_4ELb0ES6_15HIP_vector_typeIjLj2EENS0_17counting_iteratorIjlEEPS9_SG_NS0_5tupleIJPjSI_NS0_16reverse_iteratorISI_EEEEENSH_IJSG_SG_SG_EEES9_SI_JZNS1_25segmented_radix_sort_implINS0_14default_configELb1EPKiPiPKlPlN2at6native12_GLOBAL__N_18offset_tEEE10hipError_tPvRmT1_PNSt15iterator_traitsIS12_E10value_typeET2_T3_PNS13_IS18_E10value_typeET4_jRbjT5_S1E_jjP12ihipStream_tbEUljE_ZNSN_ISO_Lb1ESQ_SR_ST_SU_SY_EESZ_S10_S11_S12_S16_S17_S18_S1B_S1C_jS1D_jS1E_S1E_jjS1G_bEUljE0_EEESZ_S10_S11_S18_S1C_S1E_T6_T7_T9_mT8_S1G_bDpT10_ENKUlT_T0_E_clISt17integral_constantIbLb1EES1U_EEDaS1P_S1Q_EUlS1P_E_NS1_11comp_targetILNS1_3genE9ELNS1_11target_archE1100ELNS1_3gpuE3ELNS1_3repE0EEENS1_30default_config_static_selectorELNS0_4arch9wavefront6targetE1EEEvS12_
		.amdhsa_group_segment_fixed_size 0
		.amdhsa_private_segment_fixed_size 0
		.amdhsa_kernarg_size 184
		.amdhsa_user_sgpr_count 6
		.amdhsa_user_sgpr_private_segment_buffer 1
		.amdhsa_user_sgpr_dispatch_ptr 0
		.amdhsa_user_sgpr_queue_ptr 0
		.amdhsa_user_sgpr_kernarg_segment_ptr 1
		.amdhsa_user_sgpr_dispatch_id 0
		.amdhsa_user_sgpr_flat_scratch_init 0
		.amdhsa_user_sgpr_private_segment_size 0
		.amdhsa_uses_dynamic_stack 0
		.amdhsa_system_sgpr_private_segment_wavefront_offset 0
		.amdhsa_system_sgpr_workgroup_id_x 1
		.amdhsa_system_sgpr_workgroup_id_y 0
		.amdhsa_system_sgpr_workgroup_id_z 0
		.amdhsa_system_sgpr_workgroup_info 0
		.amdhsa_system_vgpr_workitem_id 0
		.amdhsa_next_free_vgpr 1
		.amdhsa_next_free_sgpr 0
		.amdhsa_reserve_vcc 0
		.amdhsa_reserve_flat_scratch 0
		.amdhsa_float_round_mode_32 0
		.amdhsa_float_round_mode_16_64 0
		.amdhsa_float_denorm_mode_32 3
		.amdhsa_float_denorm_mode_16_64 3
		.amdhsa_dx10_clamp 1
		.amdhsa_ieee_mode 1
		.amdhsa_fp16_overflow 0
		.amdhsa_exception_fp_ieee_invalid_op 0
		.amdhsa_exception_fp_denorm_src 0
		.amdhsa_exception_fp_ieee_div_zero 0
		.amdhsa_exception_fp_ieee_overflow 0
		.amdhsa_exception_fp_ieee_underflow 0
		.amdhsa_exception_fp_ieee_inexact 0
		.amdhsa_exception_int_div_zero 0
	.end_amdhsa_kernel
	.section	.text._ZN7rocprim17ROCPRIM_400000_NS6detail17trampoline_kernelINS0_13select_configILj256ELj13ELNS0_17block_load_methodE3ELS4_3ELS4_3ELNS0_20block_scan_algorithmE0ELj4294967295EEENS1_25partition_config_selectorILNS1_17partition_subalgoE4EjNS0_10empty_typeEbEEZZNS1_14partition_implILS8_4ELb0ES6_15HIP_vector_typeIjLj2EENS0_17counting_iteratorIjlEEPS9_SG_NS0_5tupleIJPjSI_NS0_16reverse_iteratorISI_EEEEENSH_IJSG_SG_SG_EEES9_SI_JZNS1_25segmented_radix_sort_implINS0_14default_configELb1EPKiPiPKlPlN2at6native12_GLOBAL__N_18offset_tEEE10hipError_tPvRmT1_PNSt15iterator_traitsIS12_E10value_typeET2_T3_PNS13_IS18_E10value_typeET4_jRbjT5_S1E_jjP12ihipStream_tbEUljE_ZNSN_ISO_Lb1ESQ_SR_ST_SU_SY_EESZ_S10_S11_S12_S16_S17_S18_S1B_S1C_jS1D_jS1E_S1E_jjS1G_bEUljE0_EEESZ_S10_S11_S18_S1C_S1E_T6_T7_T9_mT8_S1G_bDpT10_ENKUlT_T0_E_clISt17integral_constantIbLb1EES1U_EEDaS1P_S1Q_EUlS1P_E_NS1_11comp_targetILNS1_3genE9ELNS1_11target_archE1100ELNS1_3gpuE3ELNS1_3repE0EEENS1_30default_config_static_selectorELNS0_4arch9wavefront6targetE1EEEvS12_,"axG",@progbits,_ZN7rocprim17ROCPRIM_400000_NS6detail17trampoline_kernelINS0_13select_configILj256ELj13ELNS0_17block_load_methodE3ELS4_3ELS4_3ELNS0_20block_scan_algorithmE0ELj4294967295EEENS1_25partition_config_selectorILNS1_17partition_subalgoE4EjNS0_10empty_typeEbEEZZNS1_14partition_implILS8_4ELb0ES6_15HIP_vector_typeIjLj2EENS0_17counting_iteratorIjlEEPS9_SG_NS0_5tupleIJPjSI_NS0_16reverse_iteratorISI_EEEEENSH_IJSG_SG_SG_EEES9_SI_JZNS1_25segmented_radix_sort_implINS0_14default_configELb1EPKiPiPKlPlN2at6native12_GLOBAL__N_18offset_tEEE10hipError_tPvRmT1_PNSt15iterator_traitsIS12_E10value_typeET2_T3_PNS13_IS18_E10value_typeET4_jRbjT5_S1E_jjP12ihipStream_tbEUljE_ZNSN_ISO_Lb1ESQ_SR_ST_SU_SY_EESZ_S10_S11_S12_S16_S17_S18_S1B_S1C_jS1D_jS1E_S1E_jjS1G_bEUljE0_EEESZ_S10_S11_S18_S1C_S1E_T6_T7_T9_mT8_S1G_bDpT10_ENKUlT_T0_E_clISt17integral_constantIbLb1EES1U_EEDaS1P_S1Q_EUlS1P_E_NS1_11comp_targetILNS1_3genE9ELNS1_11target_archE1100ELNS1_3gpuE3ELNS1_3repE0EEENS1_30default_config_static_selectorELNS0_4arch9wavefront6targetE1EEEvS12_,comdat
.Lfunc_end447:
	.size	_ZN7rocprim17ROCPRIM_400000_NS6detail17trampoline_kernelINS0_13select_configILj256ELj13ELNS0_17block_load_methodE3ELS4_3ELS4_3ELNS0_20block_scan_algorithmE0ELj4294967295EEENS1_25partition_config_selectorILNS1_17partition_subalgoE4EjNS0_10empty_typeEbEEZZNS1_14partition_implILS8_4ELb0ES6_15HIP_vector_typeIjLj2EENS0_17counting_iteratorIjlEEPS9_SG_NS0_5tupleIJPjSI_NS0_16reverse_iteratorISI_EEEEENSH_IJSG_SG_SG_EEES9_SI_JZNS1_25segmented_radix_sort_implINS0_14default_configELb1EPKiPiPKlPlN2at6native12_GLOBAL__N_18offset_tEEE10hipError_tPvRmT1_PNSt15iterator_traitsIS12_E10value_typeET2_T3_PNS13_IS18_E10value_typeET4_jRbjT5_S1E_jjP12ihipStream_tbEUljE_ZNSN_ISO_Lb1ESQ_SR_ST_SU_SY_EESZ_S10_S11_S12_S16_S17_S18_S1B_S1C_jS1D_jS1E_S1E_jjS1G_bEUljE0_EEESZ_S10_S11_S18_S1C_S1E_T6_T7_T9_mT8_S1G_bDpT10_ENKUlT_T0_E_clISt17integral_constantIbLb1EES1U_EEDaS1P_S1Q_EUlS1P_E_NS1_11comp_targetILNS1_3genE9ELNS1_11target_archE1100ELNS1_3gpuE3ELNS1_3repE0EEENS1_30default_config_static_selectorELNS0_4arch9wavefront6targetE1EEEvS12_, .Lfunc_end447-_ZN7rocprim17ROCPRIM_400000_NS6detail17trampoline_kernelINS0_13select_configILj256ELj13ELNS0_17block_load_methodE3ELS4_3ELS4_3ELNS0_20block_scan_algorithmE0ELj4294967295EEENS1_25partition_config_selectorILNS1_17partition_subalgoE4EjNS0_10empty_typeEbEEZZNS1_14partition_implILS8_4ELb0ES6_15HIP_vector_typeIjLj2EENS0_17counting_iteratorIjlEEPS9_SG_NS0_5tupleIJPjSI_NS0_16reverse_iteratorISI_EEEEENSH_IJSG_SG_SG_EEES9_SI_JZNS1_25segmented_radix_sort_implINS0_14default_configELb1EPKiPiPKlPlN2at6native12_GLOBAL__N_18offset_tEEE10hipError_tPvRmT1_PNSt15iterator_traitsIS12_E10value_typeET2_T3_PNS13_IS18_E10value_typeET4_jRbjT5_S1E_jjP12ihipStream_tbEUljE_ZNSN_ISO_Lb1ESQ_SR_ST_SU_SY_EESZ_S10_S11_S12_S16_S17_S18_S1B_S1C_jS1D_jS1E_S1E_jjS1G_bEUljE0_EEESZ_S10_S11_S18_S1C_S1E_T6_T7_T9_mT8_S1G_bDpT10_ENKUlT_T0_E_clISt17integral_constantIbLb1EES1U_EEDaS1P_S1Q_EUlS1P_E_NS1_11comp_targetILNS1_3genE9ELNS1_11target_archE1100ELNS1_3gpuE3ELNS1_3repE0EEENS1_30default_config_static_selectorELNS0_4arch9wavefront6targetE1EEEvS12_
                                        ; -- End function
	.set _ZN7rocprim17ROCPRIM_400000_NS6detail17trampoline_kernelINS0_13select_configILj256ELj13ELNS0_17block_load_methodE3ELS4_3ELS4_3ELNS0_20block_scan_algorithmE0ELj4294967295EEENS1_25partition_config_selectorILNS1_17partition_subalgoE4EjNS0_10empty_typeEbEEZZNS1_14partition_implILS8_4ELb0ES6_15HIP_vector_typeIjLj2EENS0_17counting_iteratorIjlEEPS9_SG_NS0_5tupleIJPjSI_NS0_16reverse_iteratorISI_EEEEENSH_IJSG_SG_SG_EEES9_SI_JZNS1_25segmented_radix_sort_implINS0_14default_configELb1EPKiPiPKlPlN2at6native12_GLOBAL__N_18offset_tEEE10hipError_tPvRmT1_PNSt15iterator_traitsIS12_E10value_typeET2_T3_PNS13_IS18_E10value_typeET4_jRbjT5_S1E_jjP12ihipStream_tbEUljE_ZNSN_ISO_Lb1ESQ_SR_ST_SU_SY_EESZ_S10_S11_S12_S16_S17_S18_S1B_S1C_jS1D_jS1E_S1E_jjS1G_bEUljE0_EEESZ_S10_S11_S18_S1C_S1E_T6_T7_T9_mT8_S1G_bDpT10_ENKUlT_T0_E_clISt17integral_constantIbLb1EES1U_EEDaS1P_S1Q_EUlS1P_E_NS1_11comp_targetILNS1_3genE9ELNS1_11target_archE1100ELNS1_3gpuE3ELNS1_3repE0EEENS1_30default_config_static_selectorELNS0_4arch9wavefront6targetE1EEEvS12_.num_vgpr, 0
	.set _ZN7rocprim17ROCPRIM_400000_NS6detail17trampoline_kernelINS0_13select_configILj256ELj13ELNS0_17block_load_methodE3ELS4_3ELS4_3ELNS0_20block_scan_algorithmE0ELj4294967295EEENS1_25partition_config_selectorILNS1_17partition_subalgoE4EjNS0_10empty_typeEbEEZZNS1_14partition_implILS8_4ELb0ES6_15HIP_vector_typeIjLj2EENS0_17counting_iteratorIjlEEPS9_SG_NS0_5tupleIJPjSI_NS0_16reverse_iteratorISI_EEEEENSH_IJSG_SG_SG_EEES9_SI_JZNS1_25segmented_radix_sort_implINS0_14default_configELb1EPKiPiPKlPlN2at6native12_GLOBAL__N_18offset_tEEE10hipError_tPvRmT1_PNSt15iterator_traitsIS12_E10value_typeET2_T3_PNS13_IS18_E10value_typeET4_jRbjT5_S1E_jjP12ihipStream_tbEUljE_ZNSN_ISO_Lb1ESQ_SR_ST_SU_SY_EESZ_S10_S11_S12_S16_S17_S18_S1B_S1C_jS1D_jS1E_S1E_jjS1G_bEUljE0_EEESZ_S10_S11_S18_S1C_S1E_T6_T7_T9_mT8_S1G_bDpT10_ENKUlT_T0_E_clISt17integral_constantIbLb1EES1U_EEDaS1P_S1Q_EUlS1P_E_NS1_11comp_targetILNS1_3genE9ELNS1_11target_archE1100ELNS1_3gpuE3ELNS1_3repE0EEENS1_30default_config_static_selectorELNS0_4arch9wavefront6targetE1EEEvS12_.num_agpr, 0
	.set _ZN7rocprim17ROCPRIM_400000_NS6detail17trampoline_kernelINS0_13select_configILj256ELj13ELNS0_17block_load_methodE3ELS4_3ELS4_3ELNS0_20block_scan_algorithmE0ELj4294967295EEENS1_25partition_config_selectorILNS1_17partition_subalgoE4EjNS0_10empty_typeEbEEZZNS1_14partition_implILS8_4ELb0ES6_15HIP_vector_typeIjLj2EENS0_17counting_iteratorIjlEEPS9_SG_NS0_5tupleIJPjSI_NS0_16reverse_iteratorISI_EEEEENSH_IJSG_SG_SG_EEES9_SI_JZNS1_25segmented_radix_sort_implINS0_14default_configELb1EPKiPiPKlPlN2at6native12_GLOBAL__N_18offset_tEEE10hipError_tPvRmT1_PNSt15iterator_traitsIS12_E10value_typeET2_T3_PNS13_IS18_E10value_typeET4_jRbjT5_S1E_jjP12ihipStream_tbEUljE_ZNSN_ISO_Lb1ESQ_SR_ST_SU_SY_EESZ_S10_S11_S12_S16_S17_S18_S1B_S1C_jS1D_jS1E_S1E_jjS1G_bEUljE0_EEESZ_S10_S11_S18_S1C_S1E_T6_T7_T9_mT8_S1G_bDpT10_ENKUlT_T0_E_clISt17integral_constantIbLb1EES1U_EEDaS1P_S1Q_EUlS1P_E_NS1_11comp_targetILNS1_3genE9ELNS1_11target_archE1100ELNS1_3gpuE3ELNS1_3repE0EEENS1_30default_config_static_selectorELNS0_4arch9wavefront6targetE1EEEvS12_.numbered_sgpr, 0
	.set _ZN7rocprim17ROCPRIM_400000_NS6detail17trampoline_kernelINS0_13select_configILj256ELj13ELNS0_17block_load_methodE3ELS4_3ELS4_3ELNS0_20block_scan_algorithmE0ELj4294967295EEENS1_25partition_config_selectorILNS1_17partition_subalgoE4EjNS0_10empty_typeEbEEZZNS1_14partition_implILS8_4ELb0ES6_15HIP_vector_typeIjLj2EENS0_17counting_iteratorIjlEEPS9_SG_NS0_5tupleIJPjSI_NS0_16reverse_iteratorISI_EEEEENSH_IJSG_SG_SG_EEES9_SI_JZNS1_25segmented_radix_sort_implINS0_14default_configELb1EPKiPiPKlPlN2at6native12_GLOBAL__N_18offset_tEEE10hipError_tPvRmT1_PNSt15iterator_traitsIS12_E10value_typeET2_T3_PNS13_IS18_E10value_typeET4_jRbjT5_S1E_jjP12ihipStream_tbEUljE_ZNSN_ISO_Lb1ESQ_SR_ST_SU_SY_EESZ_S10_S11_S12_S16_S17_S18_S1B_S1C_jS1D_jS1E_S1E_jjS1G_bEUljE0_EEESZ_S10_S11_S18_S1C_S1E_T6_T7_T9_mT8_S1G_bDpT10_ENKUlT_T0_E_clISt17integral_constantIbLb1EES1U_EEDaS1P_S1Q_EUlS1P_E_NS1_11comp_targetILNS1_3genE9ELNS1_11target_archE1100ELNS1_3gpuE3ELNS1_3repE0EEENS1_30default_config_static_selectorELNS0_4arch9wavefront6targetE1EEEvS12_.num_named_barrier, 0
	.set _ZN7rocprim17ROCPRIM_400000_NS6detail17trampoline_kernelINS0_13select_configILj256ELj13ELNS0_17block_load_methodE3ELS4_3ELS4_3ELNS0_20block_scan_algorithmE0ELj4294967295EEENS1_25partition_config_selectorILNS1_17partition_subalgoE4EjNS0_10empty_typeEbEEZZNS1_14partition_implILS8_4ELb0ES6_15HIP_vector_typeIjLj2EENS0_17counting_iteratorIjlEEPS9_SG_NS0_5tupleIJPjSI_NS0_16reverse_iteratorISI_EEEEENSH_IJSG_SG_SG_EEES9_SI_JZNS1_25segmented_radix_sort_implINS0_14default_configELb1EPKiPiPKlPlN2at6native12_GLOBAL__N_18offset_tEEE10hipError_tPvRmT1_PNSt15iterator_traitsIS12_E10value_typeET2_T3_PNS13_IS18_E10value_typeET4_jRbjT5_S1E_jjP12ihipStream_tbEUljE_ZNSN_ISO_Lb1ESQ_SR_ST_SU_SY_EESZ_S10_S11_S12_S16_S17_S18_S1B_S1C_jS1D_jS1E_S1E_jjS1G_bEUljE0_EEESZ_S10_S11_S18_S1C_S1E_T6_T7_T9_mT8_S1G_bDpT10_ENKUlT_T0_E_clISt17integral_constantIbLb1EES1U_EEDaS1P_S1Q_EUlS1P_E_NS1_11comp_targetILNS1_3genE9ELNS1_11target_archE1100ELNS1_3gpuE3ELNS1_3repE0EEENS1_30default_config_static_selectorELNS0_4arch9wavefront6targetE1EEEvS12_.private_seg_size, 0
	.set _ZN7rocprim17ROCPRIM_400000_NS6detail17trampoline_kernelINS0_13select_configILj256ELj13ELNS0_17block_load_methodE3ELS4_3ELS4_3ELNS0_20block_scan_algorithmE0ELj4294967295EEENS1_25partition_config_selectorILNS1_17partition_subalgoE4EjNS0_10empty_typeEbEEZZNS1_14partition_implILS8_4ELb0ES6_15HIP_vector_typeIjLj2EENS0_17counting_iteratorIjlEEPS9_SG_NS0_5tupleIJPjSI_NS0_16reverse_iteratorISI_EEEEENSH_IJSG_SG_SG_EEES9_SI_JZNS1_25segmented_radix_sort_implINS0_14default_configELb1EPKiPiPKlPlN2at6native12_GLOBAL__N_18offset_tEEE10hipError_tPvRmT1_PNSt15iterator_traitsIS12_E10value_typeET2_T3_PNS13_IS18_E10value_typeET4_jRbjT5_S1E_jjP12ihipStream_tbEUljE_ZNSN_ISO_Lb1ESQ_SR_ST_SU_SY_EESZ_S10_S11_S12_S16_S17_S18_S1B_S1C_jS1D_jS1E_S1E_jjS1G_bEUljE0_EEESZ_S10_S11_S18_S1C_S1E_T6_T7_T9_mT8_S1G_bDpT10_ENKUlT_T0_E_clISt17integral_constantIbLb1EES1U_EEDaS1P_S1Q_EUlS1P_E_NS1_11comp_targetILNS1_3genE9ELNS1_11target_archE1100ELNS1_3gpuE3ELNS1_3repE0EEENS1_30default_config_static_selectorELNS0_4arch9wavefront6targetE1EEEvS12_.uses_vcc, 0
	.set _ZN7rocprim17ROCPRIM_400000_NS6detail17trampoline_kernelINS0_13select_configILj256ELj13ELNS0_17block_load_methodE3ELS4_3ELS4_3ELNS0_20block_scan_algorithmE0ELj4294967295EEENS1_25partition_config_selectorILNS1_17partition_subalgoE4EjNS0_10empty_typeEbEEZZNS1_14partition_implILS8_4ELb0ES6_15HIP_vector_typeIjLj2EENS0_17counting_iteratorIjlEEPS9_SG_NS0_5tupleIJPjSI_NS0_16reverse_iteratorISI_EEEEENSH_IJSG_SG_SG_EEES9_SI_JZNS1_25segmented_radix_sort_implINS0_14default_configELb1EPKiPiPKlPlN2at6native12_GLOBAL__N_18offset_tEEE10hipError_tPvRmT1_PNSt15iterator_traitsIS12_E10value_typeET2_T3_PNS13_IS18_E10value_typeET4_jRbjT5_S1E_jjP12ihipStream_tbEUljE_ZNSN_ISO_Lb1ESQ_SR_ST_SU_SY_EESZ_S10_S11_S12_S16_S17_S18_S1B_S1C_jS1D_jS1E_S1E_jjS1G_bEUljE0_EEESZ_S10_S11_S18_S1C_S1E_T6_T7_T9_mT8_S1G_bDpT10_ENKUlT_T0_E_clISt17integral_constantIbLb1EES1U_EEDaS1P_S1Q_EUlS1P_E_NS1_11comp_targetILNS1_3genE9ELNS1_11target_archE1100ELNS1_3gpuE3ELNS1_3repE0EEENS1_30default_config_static_selectorELNS0_4arch9wavefront6targetE1EEEvS12_.uses_flat_scratch, 0
	.set _ZN7rocprim17ROCPRIM_400000_NS6detail17trampoline_kernelINS0_13select_configILj256ELj13ELNS0_17block_load_methodE3ELS4_3ELS4_3ELNS0_20block_scan_algorithmE0ELj4294967295EEENS1_25partition_config_selectorILNS1_17partition_subalgoE4EjNS0_10empty_typeEbEEZZNS1_14partition_implILS8_4ELb0ES6_15HIP_vector_typeIjLj2EENS0_17counting_iteratorIjlEEPS9_SG_NS0_5tupleIJPjSI_NS0_16reverse_iteratorISI_EEEEENSH_IJSG_SG_SG_EEES9_SI_JZNS1_25segmented_radix_sort_implINS0_14default_configELb1EPKiPiPKlPlN2at6native12_GLOBAL__N_18offset_tEEE10hipError_tPvRmT1_PNSt15iterator_traitsIS12_E10value_typeET2_T3_PNS13_IS18_E10value_typeET4_jRbjT5_S1E_jjP12ihipStream_tbEUljE_ZNSN_ISO_Lb1ESQ_SR_ST_SU_SY_EESZ_S10_S11_S12_S16_S17_S18_S1B_S1C_jS1D_jS1E_S1E_jjS1G_bEUljE0_EEESZ_S10_S11_S18_S1C_S1E_T6_T7_T9_mT8_S1G_bDpT10_ENKUlT_T0_E_clISt17integral_constantIbLb1EES1U_EEDaS1P_S1Q_EUlS1P_E_NS1_11comp_targetILNS1_3genE9ELNS1_11target_archE1100ELNS1_3gpuE3ELNS1_3repE0EEENS1_30default_config_static_selectorELNS0_4arch9wavefront6targetE1EEEvS12_.has_dyn_sized_stack, 0
	.set _ZN7rocprim17ROCPRIM_400000_NS6detail17trampoline_kernelINS0_13select_configILj256ELj13ELNS0_17block_load_methodE3ELS4_3ELS4_3ELNS0_20block_scan_algorithmE0ELj4294967295EEENS1_25partition_config_selectorILNS1_17partition_subalgoE4EjNS0_10empty_typeEbEEZZNS1_14partition_implILS8_4ELb0ES6_15HIP_vector_typeIjLj2EENS0_17counting_iteratorIjlEEPS9_SG_NS0_5tupleIJPjSI_NS0_16reverse_iteratorISI_EEEEENSH_IJSG_SG_SG_EEES9_SI_JZNS1_25segmented_radix_sort_implINS0_14default_configELb1EPKiPiPKlPlN2at6native12_GLOBAL__N_18offset_tEEE10hipError_tPvRmT1_PNSt15iterator_traitsIS12_E10value_typeET2_T3_PNS13_IS18_E10value_typeET4_jRbjT5_S1E_jjP12ihipStream_tbEUljE_ZNSN_ISO_Lb1ESQ_SR_ST_SU_SY_EESZ_S10_S11_S12_S16_S17_S18_S1B_S1C_jS1D_jS1E_S1E_jjS1G_bEUljE0_EEESZ_S10_S11_S18_S1C_S1E_T6_T7_T9_mT8_S1G_bDpT10_ENKUlT_T0_E_clISt17integral_constantIbLb1EES1U_EEDaS1P_S1Q_EUlS1P_E_NS1_11comp_targetILNS1_3genE9ELNS1_11target_archE1100ELNS1_3gpuE3ELNS1_3repE0EEENS1_30default_config_static_selectorELNS0_4arch9wavefront6targetE1EEEvS12_.has_recursion, 0
	.set _ZN7rocprim17ROCPRIM_400000_NS6detail17trampoline_kernelINS0_13select_configILj256ELj13ELNS0_17block_load_methodE3ELS4_3ELS4_3ELNS0_20block_scan_algorithmE0ELj4294967295EEENS1_25partition_config_selectorILNS1_17partition_subalgoE4EjNS0_10empty_typeEbEEZZNS1_14partition_implILS8_4ELb0ES6_15HIP_vector_typeIjLj2EENS0_17counting_iteratorIjlEEPS9_SG_NS0_5tupleIJPjSI_NS0_16reverse_iteratorISI_EEEEENSH_IJSG_SG_SG_EEES9_SI_JZNS1_25segmented_radix_sort_implINS0_14default_configELb1EPKiPiPKlPlN2at6native12_GLOBAL__N_18offset_tEEE10hipError_tPvRmT1_PNSt15iterator_traitsIS12_E10value_typeET2_T3_PNS13_IS18_E10value_typeET4_jRbjT5_S1E_jjP12ihipStream_tbEUljE_ZNSN_ISO_Lb1ESQ_SR_ST_SU_SY_EESZ_S10_S11_S12_S16_S17_S18_S1B_S1C_jS1D_jS1E_S1E_jjS1G_bEUljE0_EEESZ_S10_S11_S18_S1C_S1E_T6_T7_T9_mT8_S1G_bDpT10_ENKUlT_T0_E_clISt17integral_constantIbLb1EES1U_EEDaS1P_S1Q_EUlS1P_E_NS1_11comp_targetILNS1_3genE9ELNS1_11target_archE1100ELNS1_3gpuE3ELNS1_3repE0EEENS1_30default_config_static_selectorELNS0_4arch9wavefront6targetE1EEEvS12_.has_indirect_call, 0
	.section	.AMDGPU.csdata,"",@progbits
; Kernel info:
; codeLenInByte = 0
; TotalNumSgprs: 4
; NumVgprs: 0
; ScratchSize: 0
; MemoryBound: 0
; FloatMode: 240
; IeeeMode: 1
; LDSByteSize: 0 bytes/workgroup (compile time only)
; SGPRBlocks: 0
; VGPRBlocks: 0
; NumSGPRsForWavesPerEU: 4
; NumVGPRsForWavesPerEU: 1
; Occupancy: 10
; WaveLimiterHint : 0
; COMPUTE_PGM_RSRC2:SCRATCH_EN: 0
; COMPUTE_PGM_RSRC2:USER_SGPR: 6
; COMPUTE_PGM_RSRC2:TRAP_HANDLER: 0
; COMPUTE_PGM_RSRC2:TGID_X_EN: 1
; COMPUTE_PGM_RSRC2:TGID_Y_EN: 0
; COMPUTE_PGM_RSRC2:TGID_Z_EN: 0
; COMPUTE_PGM_RSRC2:TIDIG_COMP_CNT: 0
	.section	.text._ZN7rocprim17ROCPRIM_400000_NS6detail17trampoline_kernelINS0_13select_configILj256ELj13ELNS0_17block_load_methodE3ELS4_3ELS4_3ELNS0_20block_scan_algorithmE0ELj4294967295EEENS1_25partition_config_selectorILNS1_17partition_subalgoE4EjNS0_10empty_typeEbEEZZNS1_14partition_implILS8_4ELb0ES6_15HIP_vector_typeIjLj2EENS0_17counting_iteratorIjlEEPS9_SG_NS0_5tupleIJPjSI_NS0_16reverse_iteratorISI_EEEEENSH_IJSG_SG_SG_EEES9_SI_JZNS1_25segmented_radix_sort_implINS0_14default_configELb1EPKiPiPKlPlN2at6native12_GLOBAL__N_18offset_tEEE10hipError_tPvRmT1_PNSt15iterator_traitsIS12_E10value_typeET2_T3_PNS13_IS18_E10value_typeET4_jRbjT5_S1E_jjP12ihipStream_tbEUljE_ZNSN_ISO_Lb1ESQ_SR_ST_SU_SY_EESZ_S10_S11_S12_S16_S17_S18_S1B_S1C_jS1D_jS1E_S1E_jjS1G_bEUljE0_EEESZ_S10_S11_S18_S1C_S1E_T6_T7_T9_mT8_S1G_bDpT10_ENKUlT_T0_E_clISt17integral_constantIbLb1EES1U_EEDaS1P_S1Q_EUlS1P_E_NS1_11comp_targetILNS1_3genE8ELNS1_11target_archE1030ELNS1_3gpuE2ELNS1_3repE0EEENS1_30default_config_static_selectorELNS0_4arch9wavefront6targetE1EEEvS12_,"axG",@progbits,_ZN7rocprim17ROCPRIM_400000_NS6detail17trampoline_kernelINS0_13select_configILj256ELj13ELNS0_17block_load_methodE3ELS4_3ELS4_3ELNS0_20block_scan_algorithmE0ELj4294967295EEENS1_25partition_config_selectorILNS1_17partition_subalgoE4EjNS0_10empty_typeEbEEZZNS1_14partition_implILS8_4ELb0ES6_15HIP_vector_typeIjLj2EENS0_17counting_iteratorIjlEEPS9_SG_NS0_5tupleIJPjSI_NS0_16reverse_iteratorISI_EEEEENSH_IJSG_SG_SG_EEES9_SI_JZNS1_25segmented_radix_sort_implINS0_14default_configELb1EPKiPiPKlPlN2at6native12_GLOBAL__N_18offset_tEEE10hipError_tPvRmT1_PNSt15iterator_traitsIS12_E10value_typeET2_T3_PNS13_IS18_E10value_typeET4_jRbjT5_S1E_jjP12ihipStream_tbEUljE_ZNSN_ISO_Lb1ESQ_SR_ST_SU_SY_EESZ_S10_S11_S12_S16_S17_S18_S1B_S1C_jS1D_jS1E_S1E_jjS1G_bEUljE0_EEESZ_S10_S11_S18_S1C_S1E_T6_T7_T9_mT8_S1G_bDpT10_ENKUlT_T0_E_clISt17integral_constantIbLb1EES1U_EEDaS1P_S1Q_EUlS1P_E_NS1_11comp_targetILNS1_3genE8ELNS1_11target_archE1030ELNS1_3gpuE2ELNS1_3repE0EEENS1_30default_config_static_selectorELNS0_4arch9wavefront6targetE1EEEvS12_,comdat
	.globl	_ZN7rocprim17ROCPRIM_400000_NS6detail17trampoline_kernelINS0_13select_configILj256ELj13ELNS0_17block_load_methodE3ELS4_3ELS4_3ELNS0_20block_scan_algorithmE0ELj4294967295EEENS1_25partition_config_selectorILNS1_17partition_subalgoE4EjNS0_10empty_typeEbEEZZNS1_14partition_implILS8_4ELb0ES6_15HIP_vector_typeIjLj2EENS0_17counting_iteratorIjlEEPS9_SG_NS0_5tupleIJPjSI_NS0_16reverse_iteratorISI_EEEEENSH_IJSG_SG_SG_EEES9_SI_JZNS1_25segmented_radix_sort_implINS0_14default_configELb1EPKiPiPKlPlN2at6native12_GLOBAL__N_18offset_tEEE10hipError_tPvRmT1_PNSt15iterator_traitsIS12_E10value_typeET2_T3_PNS13_IS18_E10value_typeET4_jRbjT5_S1E_jjP12ihipStream_tbEUljE_ZNSN_ISO_Lb1ESQ_SR_ST_SU_SY_EESZ_S10_S11_S12_S16_S17_S18_S1B_S1C_jS1D_jS1E_S1E_jjS1G_bEUljE0_EEESZ_S10_S11_S18_S1C_S1E_T6_T7_T9_mT8_S1G_bDpT10_ENKUlT_T0_E_clISt17integral_constantIbLb1EES1U_EEDaS1P_S1Q_EUlS1P_E_NS1_11comp_targetILNS1_3genE8ELNS1_11target_archE1030ELNS1_3gpuE2ELNS1_3repE0EEENS1_30default_config_static_selectorELNS0_4arch9wavefront6targetE1EEEvS12_ ; -- Begin function _ZN7rocprim17ROCPRIM_400000_NS6detail17trampoline_kernelINS0_13select_configILj256ELj13ELNS0_17block_load_methodE3ELS4_3ELS4_3ELNS0_20block_scan_algorithmE0ELj4294967295EEENS1_25partition_config_selectorILNS1_17partition_subalgoE4EjNS0_10empty_typeEbEEZZNS1_14partition_implILS8_4ELb0ES6_15HIP_vector_typeIjLj2EENS0_17counting_iteratorIjlEEPS9_SG_NS0_5tupleIJPjSI_NS0_16reverse_iteratorISI_EEEEENSH_IJSG_SG_SG_EEES9_SI_JZNS1_25segmented_radix_sort_implINS0_14default_configELb1EPKiPiPKlPlN2at6native12_GLOBAL__N_18offset_tEEE10hipError_tPvRmT1_PNSt15iterator_traitsIS12_E10value_typeET2_T3_PNS13_IS18_E10value_typeET4_jRbjT5_S1E_jjP12ihipStream_tbEUljE_ZNSN_ISO_Lb1ESQ_SR_ST_SU_SY_EESZ_S10_S11_S12_S16_S17_S18_S1B_S1C_jS1D_jS1E_S1E_jjS1G_bEUljE0_EEESZ_S10_S11_S18_S1C_S1E_T6_T7_T9_mT8_S1G_bDpT10_ENKUlT_T0_E_clISt17integral_constantIbLb1EES1U_EEDaS1P_S1Q_EUlS1P_E_NS1_11comp_targetILNS1_3genE8ELNS1_11target_archE1030ELNS1_3gpuE2ELNS1_3repE0EEENS1_30default_config_static_selectorELNS0_4arch9wavefront6targetE1EEEvS12_
	.p2align	8
	.type	_ZN7rocprim17ROCPRIM_400000_NS6detail17trampoline_kernelINS0_13select_configILj256ELj13ELNS0_17block_load_methodE3ELS4_3ELS4_3ELNS0_20block_scan_algorithmE0ELj4294967295EEENS1_25partition_config_selectorILNS1_17partition_subalgoE4EjNS0_10empty_typeEbEEZZNS1_14partition_implILS8_4ELb0ES6_15HIP_vector_typeIjLj2EENS0_17counting_iteratorIjlEEPS9_SG_NS0_5tupleIJPjSI_NS0_16reverse_iteratorISI_EEEEENSH_IJSG_SG_SG_EEES9_SI_JZNS1_25segmented_radix_sort_implINS0_14default_configELb1EPKiPiPKlPlN2at6native12_GLOBAL__N_18offset_tEEE10hipError_tPvRmT1_PNSt15iterator_traitsIS12_E10value_typeET2_T3_PNS13_IS18_E10value_typeET4_jRbjT5_S1E_jjP12ihipStream_tbEUljE_ZNSN_ISO_Lb1ESQ_SR_ST_SU_SY_EESZ_S10_S11_S12_S16_S17_S18_S1B_S1C_jS1D_jS1E_S1E_jjS1G_bEUljE0_EEESZ_S10_S11_S18_S1C_S1E_T6_T7_T9_mT8_S1G_bDpT10_ENKUlT_T0_E_clISt17integral_constantIbLb1EES1U_EEDaS1P_S1Q_EUlS1P_E_NS1_11comp_targetILNS1_3genE8ELNS1_11target_archE1030ELNS1_3gpuE2ELNS1_3repE0EEENS1_30default_config_static_selectorELNS0_4arch9wavefront6targetE1EEEvS12_,@function
_ZN7rocprim17ROCPRIM_400000_NS6detail17trampoline_kernelINS0_13select_configILj256ELj13ELNS0_17block_load_methodE3ELS4_3ELS4_3ELNS0_20block_scan_algorithmE0ELj4294967295EEENS1_25partition_config_selectorILNS1_17partition_subalgoE4EjNS0_10empty_typeEbEEZZNS1_14partition_implILS8_4ELb0ES6_15HIP_vector_typeIjLj2EENS0_17counting_iteratorIjlEEPS9_SG_NS0_5tupleIJPjSI_NS0_16reverse_iteratorISI_EEEEENSH_IJSG_SG_SG_EEES9_SI_JZNS1_25segmented_radix_sort_implINS0_14default_configELb1EPKiPiPKlPlN2at6native12_GLOBAL__N_18offset_tEEE10hipError_tPvRmT1_PNSt15iterator_traitsIS12_E10value_typeET2_T3_PNS13_IS18_E10value_typeET4_jRbjT5_S1E_jjP12ihipStream_tbEUljE_ZNSN_ISO_Lb1ESQ_SR_ST_SU_SY_EESZ_S10_S11_S12_S16_S17_S18_S1B_S1C_jS1D_jS1E_S1E_jjS1G_bEUljE0_EEESZ_S10_S11_S18_S1C_S1E_T6_T7_T9_mT8_S1G_bDpT10_ENKUlT_T0_E_clISt17integral_constantIbLb1EES1U_EEDaS1P_S1Q_EUlS1P_E_NS1_11comp_targetILNS1_3genE8ELNS1_11target_archE1030ELNS1_3gpuE2ELNS1_3repE0EEENS1_30default_config_static_selectorELNS0_4arch9wavefront6targetE1EEEvS12_: ; @_ZN7rocprim17ROCPRIM_400000_NS6detail17trampoline_kernelINS0_13select_configILj256ELj13ELNS0_17block_load_methodE3ELS4_3ELS4_3ELNS0_20block_scan_algorithmE0ELj4294967295EEENS1_25partition_config_selectorILNS1_17partition_subalgoE4EjNS0_10empty_typeEbEEZZNS1_14partition_implILS8_4ELb0ES6_15HIP_vector_typeIjLj2EENS0_17counting_iteratorIjlEEPS9_SG_NS0_5tupleIJPjSI_NS0_16reverse_iteratorISI_EEEEENSH_IJSG_SG_SG_EEES9_SI_JZNS1_25segmented_radix_sort_implINS0_14default_configELb1EPKiPiPKlPlN2at6native12_GLOBAL__N_18offset_tEEE10hipError_tPvRmT1_PNSt15iterator_traitsIS12_E10value_typeET2_T3_PNS13_IS18_E10value_typeET4_jRbjT5_S1E_jjP12ihipStream_tbEUljE_ZNSN_ISO_Lb1ESQ_SR_ST_SU_SY_EESZ_S10_S11_S12_S16_S17_S18_S1B_S1C_jS1D_jS1E_S1E_jjS1G_bEUljE0_EEESZ_S10_S11_S18_S1C_S1E_T6_T7_T9_mT8_S1G_bDpT10_ENKUlT_T0_E_clISt17integral_constantIbLb1EES1U_EEDaS1P_S1Q_EUlS1P_E_NS1_11comp_targetILNS1_3genE8ELNS1_11target_archE1030ELNS1_3gpuE2ELNS1_3repE0EEENS1_30default_config_static_selectorELNS0_4arch9wavefront6targetE1EEEvS12_
; %bb.0:
	.section	.rodata,"a",@progbits
	.p2align	6, 0x0
	.amdhsa_kernel _ZN7rocprim17ROCPRIM_400000_NS6detail17trampoline_kernelINS0_13select_configILj256ELj13ELNS0_17block_load_methodE3ELS4_3ELS4_3ELNS0_20block_scan_algorithmE0ELj4294967295EEENS1_25partition_config_selectorILNS1_17partition_subalgoE4EjNS0_10empty_typeEbEEZZNS1_14partition_implILS8_4ELb0ES6_15HIP_vector_typeIjLj2EENS0_17counting_iteratorIjlEEPS9_SG_NS0_5tupleIJPjSI_NS0_16reverse_iteratorISI_EEEEENSH_IJSG_SG_SG_EEES9_SI_JZNS1_25segmented_radix_sort_implINS0_14default_configELb1EPKiPiPKlPlN2at6native12_GLOBAL__N_18offset_tEEE10hipError_tPvRmT1_PNSt15iterator_traitsIS12_E10value_typeET2_T3_PNS13_IS18_E10value_typeET4_jRbjT5_S1E_jjP12ihipStream_tbEUljE_ZNSN_ISO_Lb1ESQ_SR_ST_SU_SY_EESZ_S10_S11_S12_S16_S17_S18_S1B_S1C_jS1D_jS1E_S1E_jjS1G_bEUljE0_EEESZ_S10_S11_S18_S1C_S1E_T6_T7_T9_mT8_S1G_bDpT10_ENKUlT_T0_E_clISt17integral_constantIbLb1EES1U_EEDaS1P_S1Q_EUlS1P_E_NS1_11comp_targetILNS1_3genE8ELNS1_11target_archE1030ELNS1_3gpuE2ELNS1_3repE0EEENS1_30default_config_static_selectorELNS0_4arch9wavefront6targetE1EEEvS12_
		.amdhsa_group_segment_fixed_size 0
		.amdhsa_private_segment_fixed_size 0
		.amdhsa_kernarg_size 184
		.amdhsa_user_sgpr_count 6
		.amdhsa_user_sgpr_private_segment_buffer 1
		.amdhsa_user_sgpr_dispatch_ptr 0
		.amdhsa_user_sgpr_queue_ptr 0
		.amdhsa_user_sgpr_kernarg_segment_ptr 1
		.amdhsa_user_sgpr_dispatch_id 0
		.amdhsa_user_sgpr_flat_scratch_init 0
		.amdhsa_user_sgpr_private_segment_size 0
		.amdhsa_uses_dynamic_stack 0
		.amdhsa_system_sgpr_private_segment_wavefront_offset 0
		.amdhsa_system_sgpr_workgroup_id_x 1
		.amdhsa_system_sgpr_workgroup_id_y 0
		.amdhsa_system_sgpr_workgroup_id_z 0
		.amdhsa_system_sgpr_workgroup_info 0
		.amdhsa_system_vgpr_workitem_id 0
		.amdhsa_next_free_vgpr 1
		.amdhsa_next_free_sgpr 0
		.amdhsa_reserve_vcc 0
		.amdhsa_reserve_flat_scratch 0
		.amdhsa_float_round_mode_32 0
		.amdhsa_float_round_mode_16_64 0
		.amdhsa_float_denorm_mode_32 3
		.amdhsa_float_denorm_mode_16_64 3
		.amdhsa_dx10_clamp 1
		.amdhsa_ieee_mode 1
		.amdhsa_fp16_overflow 0
		.amdhsa_exception_fp_ieee_invalid_op 0
		.amdhsa_exception_fp_denorm_src 0
		.amdhsa_exception_fp_ieee_div_zero 0
		.amdhsa_exception_fp_ieee_overflow 0
		.amdhsa_exception_fp_ieee_underflow 0
		.amdhsa_exception_fp_ieee_inexact 0
		.amdhsa_exception_int_div_zero 0
	.end_amdhsa_kernel
	.section	.text._ZN7rocprim17ROCPRIM_400000_NS6detail17trampoline_kernelINS0_13select_configILj256ELj13ELNS0_17block_load_methodE3ELS4_3ELS4_3ELNS0_20block_scan_algorithmE0ELj4294967295EEENS1_25partition_config_selectorILNS1_17partition_subalgoE4EjNS0_10empty_typeEbEEZZNS1_14partition_implILS8_4ELb0ES6_15HIP_vector_typeIjLj2EENS0_17counting_iteratorIjlEEPS9_SG_NS0_5tupleIJPjSI_NS0_16reverse_iteratorISI_EEEEENSH_IJSG_SG_SG_EEES9_SI_JZNS1_25segmented_radix_sort_implINS0_14default_configELb1EPKiPiPKlPlN2at6native12_GLOBAL__N_18offset_tEEE10hipError_tPvRmT1_PNSt15iterator_traitsIS12_E10value_typeET2_T3_PNS13_IS18_E10value_typeET4_jRbjT5_S1E_jjP12ihipStream_tbEUljE_ZNSN_ISO_Lb1ESQ_SR_ST_SU_SY_EESZ_S10_S11_S12_S16_S17_S18_S1B_S1C_jS1D_jS1E_S1E_jjS1G_bEUljE0_EEESZ_S10_S11_S18_S1C_S1E_T6_T7_T9_mT8_S1G_bDpT10_ENKUlT_T0_E_clISt17integral_constantIbLb1EES1U_EEDaS1P_S1Q_EUlS1P_E_NS1_11comp_targetILNS1_3genE8ELNS1_11target_archE1030ELNS1_3gpuE2ELNS1_3repE0EEENS1_30default_config_static_selectorELNS0_4arch9wavefront6targetE1EEEvS12_,"axG",@progbits,_ZN7rocprim17ROCPRIM_400000_NS6detail17trampoline_kernelINS0_13select_configILj256ELj13ELNS0_17block_load_methodE3ELS4_3ELS4_3ELNS0_20block_scan_algorithmE0ELj4294967295EEENS1_25partition_config_selectorILNS1_17partition_subalgoE4EjNS0_10empty_typeEbEEZZNS1_14partition_implILS8_4ELb0ES6_15HIP_vector_typeIjLj2EENS0_17counting_iteratorIjlEEPS9_SG_NS0_5tupleIJPjSI_NS0_16reverse_iteratorISI_EEEEENSH_IJSG_SG_SG_EEES9_SI_JZNS1_25segmented_radix_sort_implINS0_14default_configELb1EPKiPiPKlPlN2at6native12_GLOBAL__N_18offset_tEEE10hipError_tPvRmT1_PNSt15iterator_traitsIS12_E10value_typeET2_T3_PNS13_IS18_E10value_typeET4_jRbjT5_S1E_jjP12ihipStream_tbEUljE_ZNSN_ISO_Lb1ESQ_SR_ST_SU_SY_EESZ_S10_S11_S12_S16_S17_S18_S1B_S1C_jS1D_jS1E_S1E_jjS1G_bEUljE0_EEESZ_S10_S11_S18_S1C_S1E_T6_T7_T9_mT8_S1G_bDpT10_ENKUlT_T0_E_clISt17integral_constantIbLb1EES1U_EEDaS1P_S1Q_EUlS1P_E_NS1_11comp_targetILNS1_3genE8ELNS1_11target_archE1030ELNS1_3gpuE2ELNS1_3repE0EEENS1_30default_config_static_selectorELNS0_4arch9wavefront6targetE1EEEvS12_,comdat
.Lfunc_end448:
	.size	_ZN7rocprim17ROCPRIM_400000_NS6detail17trampoline_kernelINS0_13select_configILj256ELj13ELNS0_17block_load_methodE3ELS4_3ELS4_3ELNS0_20block_scan_algorithmE0ELj4294967295EEENS1_25partition_config_selectorILNS1_17partition_subalgoE4EjNS0_10empty_typeEbEEZZNS1_14partition_implILS8_4ELb0ES6_15HIP_vector_typeIjLj2EENS0_17counting_iteratorIjlEEPS9_SG_NS0_5tupleIJPjSI_NS0_16reverse_iteratorISI_EEEEENSH_IJSG_SG_SG_EEES9_SI_JZNS1_25segmented_radix_sort_implINS0_14default_configELb1EPKiPiPKlPlN2at6native12_GLOBAL__N_18offset_tEEE10hipError_tPvRmT1_PNSt15iterator_traitsIS12_E10value_typeET2_T3_PNS13_IS18_E10value_typeET4_jRbjT5_S1E_jjP12ihipStream_tbEUljE_ZNSN_ISO_Lb1ESQ_SR_ST_SU_SY_EESZ_S10_S11_S12_S16_S17_S18_S1B_S1C_jS1D_jS1E_S1E_jjS1G_bEUljE0_EEESZ_S10_S11_S18_S1C_S1E_T6_T7_T9_mT8_S1G_bDpT10_ENKUlT_T0_E_clISt17integral_constantIbLb1EES1U_EEDaS1P_S1Q_EUlS1P_E_NS1_11comp_targetILNS1_3genE8ELNS1_11target_archE1030ELNS1_3gpuE2ELNS1_3repE0EEENS1_30default_config_static_selectorELNS0_4arch9wavefront6targetE1EEEvS12_, .Lfunc_end448-_ZN7rocprim17ROCPRIM_400000_NS6detail17trampoline_kernelINS0_13select_configILj256ELj13ELNS0_17block_load_methodE3ELS4_3ELS4_3ELNS0_20block_scan_algorithmE0ELj4294967295EEENS1_25partition_config_selectorILNS1_17partition_subalgoE4EjNS0_10empty_typeEbEEZZNS1_14partition_implILS8_4ELb0ES6_15HIP_vector_typeIjLj2EENS0_17counting_iteratorIjlEEPS9_SG_NS0_5tupleIJPjSI_NS0_16reverse_iteratorISI_EEEEENSH_IJSG_SG_SG_EEES9_SI_JZNS1_25segmented_radix_sort_implINS0_14default_configELb1EPKiPiPKlPlN2at6native12_GLOBAL__N_18offset_tEEE10hipError_tPvRmT1_PNSt15iterator_traitsIS12_E10value_typeET2_T3_PNS13_IS18_E10value_typeET4_jRbjT5_S1E_jjP12ihipStream_tbEUljE_ZNSN_ISO_Lb1ESQ_SR_ST_SU_SY_EESZ_S10_S11_S12_S16_S17_S18_S1B_S1C_jS1D_jS1E_S1E_jjS1G_bEUljE0_EEESZ_S10_S11_S18_S1C_S1E_T6_T7_T9_mT8_S1G_bDpT10_ENKUlT_T0_E_clISt17integral_constantIbLb1EES1U_EEDaS1P_S1Q_EUlS1P_E_NS1_11comp_targetILNS1_3genE8ELNS1_11target_archE1030ELNS1_3gpuE2ELNS1_3repE0EEENS1_30default_config_static_selectorELNS0_4arch9wavefront6targetE1EEEvS12_
                                        ; -- End function
	.set _ZN7rocprim17ROCPRIM_400000_NS6detail17trampoline_kernelINS0_13select_configILj256ELj13ELNS0_17block_load_methodE3ELS4_3ELS4_3ELNS0_20block_scan_algorithmE0ELj4294967295EEENS1_25partition_config_selectorILNS1_17partition_subalgoE4EjNS0_10empty_typeEbEEZZNS1_14partition_implILS8_4ELb0ES6_15HIP_vector_typeIjLj2EENS0_17counting_iteratorIjlEEPS9_SG_NS0_5tupleIJPjSI_NS0_16reverse_iteratorISI_EEEEENSH_IJSG_SG_SG_EEES9_SI_JZNS1_25segmented_radix_sort_implINS0_14default_configELb1EPKiPiPKlPlN2at6native12_GLOBAL__N_18offset_tEEE10hipError_tPvRmT1_PNSt15iterator_traitsIS12_E10value_typeET2_T3_PNS13_IS18_E10value_typeET4_jRbjT5_S1E_jjP12ihipStream_tbEUljE_ZNSN_ISO_Lb1ESQ_SR_ST_SU_SY_EESZ_S10_S11_S12_S16_S17_S18_S1B_S1C_jS1D_jS1E_S1E_jjS1G_bEUljE0_EEESZ_S10_S11_S18_S1C_S1E_T6_T7_T9_mT8_S1G_bDpT10_ENKUlT_T0_E_clISt17integral_constantIbLb1EES1U_EEDaS1P_S1Q_EUlS1P_E_NS1_11comp_targetILNS1_3genE8ELNS1_11target_archE1030ELNS1_3gpuE2ELNS1_3repE0EEENS1_30default_config_static_selectorELNS0_4arch9wavefront6targetE1EEEvS12_.num_vgpr, 0
	.set _ZN7rocprim17ROCPRIM_400000_NS6detail17trampoline_kernelINS0_13select_configILj256ELj13ELNS0_17block_load_methodE3ELS4_3ELS4_3ELNS0_20block_scan_algorithmE0ELj4294967295EEENS1_25partition_config_selectorILNS1_17partition_subalgoE4EjNS0_10empty_typeEbEEZZNS1_14partition_implILS8_4ELb0ES6_15HIP_vector_typeIjLj2EENS0_17counting_iteratorIjlEEPS9_SG_NS0_5tupleIJPjSI_NS0_16reverse_iteratorISI_EEEEENSH_IJSG_SG_SG_EEES9_SI_JZNS1_25segmented_radix_sort_implINS0_14default_configELb1EPKiPiPKlPlN2at6native12_GLOBAL__N_18offset_tEEE10hipError_tPvRmT1_PNSt15iterator_traitsIS12_E10value_typeET2_T3_PNS13_IS18_E10value_typeET4_jRbjT5_S1E_jjP12ihipStream_tbEUljE_ZNSN_ISO_Lb1ESQ_SR_ST_SU_SY_EESZ_S10_S11_S12_S16_S17_S18_S1B_S1C_jS1D_jS1E_S1E_jjS1G_bEUljE0_EEESZ_S10_S11_S18_S1C_S1E_T6_T7_T9_mT8_S1G_bDpT10_ENKUlT_T0_E_clISt17integral_constantIbLb1EES1U_EEDaS1P_S1Q_EUlS1P_E_NS1_11comp_targetILNS1_3genE8ELNS1_11target_archE1030ELNS1_3gpuE2ELNS1_3repE0EEENS1_30default_config_static_selectorELNS0_4arch9wavefront6targetE1EEEvS12_.num_agpr, 0
	.set _ZN7rocprim17ROCPRIM_400000_NS6detail17trampoline_kernelINS0_13select_configILj256ELj13ELNS0_17block_load_methodE3ELS4_3ELS4_3ELNS0_20block_scan_algorithmE0ELj4294967295EEENS1_25partition_config_selectorILNS1_17partition_subalgoE4EjNS0_10empty_typeEbEEZZNS1_14partition_implILS8_4ELb0ES6_15HIP_vector_typeIjLj2EENS0_17counting_iteratorIjlEEPS9_SG_NS0_5tupleIJPjSI_NS0_16reverse_iteratorISI_EEEEENSH_IJSG_SG_SG_EEES9_SI_JZNS1_25segmented_radix_sort_implINS0_14default_configELb1EPKiPiPKlPlN2at6native12_GLOBAL__N_18offset_tEEE10hipError_tPvRmT1_PNSt15iterator_traitsIS12_E10value_typeET2_T3_PNS13_IS18_E10value_typeET4_jRbjT5_S1E_jjP12ihipStream_tbEUljE_ZNSN_ISO_Lb1ESQ_SR_ST_SU_SY_EESZ_S10_S11_S12_S16_S17_S18_S1B_S1C_jS1D_jS1E_S1E_jjS1G_bEUljE0_EEESZ_S10_S11_S18_S1C_S1E_T6_T7_T9_mT8_S1G_bDpT10_ENKUlT_T0_E_clISt17integral_constantIbLb1EES1U_EEDaS1P_S1Q_EUlS1P_E_NS1_11comp_targetILNS1_3genE8ELNS1_11target_archE1030ELNS1_3gpuE2ELNS1_3repE0EEENS1_30default_config_static_selectorELNS0_4arch9wavefront6targetE1EEEvS12_.numbered_sgpr, 0
	.set _ZN7rocprim17ROCPRIM_400000_NS6detail17trampoline_kernelINS0_13select_configILj256ELj13ELNS0_17block_load_methodE3ELS4_3ELS4_3ELNS0_20block_scan_algorithmE0ELj4294967295EEENS1_25partition_config_selectorILNS1_17partition_subalgoE4EjNS0_10empty_typeEbEEZZNS1_14partition_implILS8_4ELb0ES6_15HIP_vector_typeIjLj2EENS0_17counting_iteratorIjlEEPS9_SG_NS0_5tupleIJPjSI_NS0_16reverse_iteratorISI_EEEEENSH_IJSG_SG_SG_EEES9_SI_JZNS1_25segmented_radix_sort_implINS0_14default_configELb1EPKiPiPKlPlN2at6native12_GLOBAL__N_18offset_tEEE10hipError_tPvRmT1_PNSt15iterator_traitsIS12_E10value_typeET2_T3_PNS13_IS18_E10value_typeET4_jRbjT5_S1E_jjP12ihipStream_tbEUljE_ZNSN_ISO_Lb1ESQ_SR_ST_SU_SY_EESZ_S10_S11_S12_S16_S17_S18_S1B_S1C_jS1D_jS1E_S1E_jjS1G_bEUljE0_EEESZ_S10_S11_S18_S1C_S1E_T6_T7_T9_mT8_S1G_bDpT10_ENKUlT_T0_E_clISt17integral_constantIbLb1EES1U_EEDaS1P_S1Q_EUlS1P_E_NS1_11comp_targetILNS1_3genE8ELNS1_11target_archE1030ELNS1_3gpuE2ELNS1_3repE0EEENS1_30default_config_static_selectorELNS0_4arch9wavefront6targetE1EEEvS12_.num_named_barrier, 0
	.set _ZN7rocprim17ROCPRIM_400000_NS6detail17trampoline_kernelINS0_13select_configILj256ELj13ELNS0_17block_load_methodE3ELS4_3ELS4_3ELNS0_20block_scan_algorithmE0ELj4294967295EEENS1_25partition_config_selectorILNS1_17partition_subalgoE4EjNS0_10empty_typeEbEEZZNS1_14partition_implILS8_4ELb0ES6_15HIP_vector_typeIjLj2EENS0_17counting_iteratorIjlEEPS9_SG_NS0_5tupleIJPjSI_NS0_16reverse_iteratorISI_EEEEENSH_IJSG_SG_SG_EEES9_SI_JZNS1_25segmented_radix_sort_implINS0_14default_configELb1EPKiPiPKlPlN2at6native12_GLOBAL__N_18offset_tEEE10hipError_tPvRmT1_PNSt15iterator_traitsIS12_E10value_typeET2_T3_PNS13_IS18_E10value_typeET4_jRbjT5_S1E_jjP12ihipStream_tbEUljE_ZNSN_ISO_Lb1ESQ_SR_ST_SU_SY_EESZ_S10_S11_S12_S16_S17_S18_S1B_S1C_jS1D_jS1E_S1E_jjS1G_bEUljE0_EEESZ_S10_S11_S18_S1C_S1E_T6_T7_T9_mT8_S1G_bDpT10_ENKUlT_T0_E_clISt17integral_constantIbLb1EES1U_EEDaS1P_S1Q_EUlS1P_E_NS1_11comp_targetILNS1_3genE8ELNS1_11target_archE1030ELNS1_3gpuE2ELNS1_3repE0EEENS1_30default_config_static_selectorELNS0_4arch9wavefront6targetE1EEEvS12_.private_seg_size, 0
	.set _ZN7rocprim17ROCPRIM_400000_NS6detail17trampoline_kernelINS0_13select_configILj256ELj13ELNS0_17block_load_methodE3ELS4_3ELS4_3ELNS0_20block_scan_algorithmE0ELj4294967295EEENS1_25partition_config_selectorILNS1_17partition_subalgoE4EjNS0_10empty_typeEbEEZZNS1_14partition_implILS8_4ELb0ES6_15HIP_vector_typeIjLj2EENS0_17counting_iteratorIjlEEPS9_SG_NS0_5tupleIJPjSI_NS0_16reverse_iteratorISI_EEEEENSH_IJSG_SG_SG_EEES9_SI_JZNS1_25segmented_radix_sort_implINS0_14default_configELb1EPKiPiPKlPlN2at6native12_GLOBAL__N_18offset_tEEE10hipError_tPvRmT1_PNSt15iterator_traitsIS12_E10value_typeET2_T3_PNS13_IS18_E10value_typeET4_jRbjT5_S1E_jjP12ihipStream_tbEUljE_ZNSN_ISO_Lb1ESQ_SR_ST_SU_SY_EESZ_S10_S11_S12_S16_S17_S18_S1B_S1C_jS1D_jS1E_S1E_jjS1G_bEUljE0_EEESZ_S10_S11_S18_S1C_S1E_T6_T7_T9_mT8_S1G_bDpT10_ENKUlT_T0_E_clISt17integral_constantIbLb1EES1U_EEDaS1P_S1Q_EUlS1P_E_NS1_11comp_targetILNS1_3genE8ELNS1_11target_archE1030ELNS1_3gpuE2ELNS1_3repE0EEENS1_30default_config_static_selectorELNS0_4arch9wavefront6targetE1EEEvS12_.uses_vcc, 0
	.set _ZN7rocprim17ROCPRIM_400000_NS6detail17trampoline_kernelINS0_13select_configILj256ELj13ELNS0_17block_load_methodE3ELS4_3ELS4_3ELNS0_20block_scan_algorithmE0ELj4294967295EEENS1_25partition_config_selectorILNS1_17partition_subalgoE4EjNS0_10empty_typeEbEEZZNS1_14partition_implILS8_4ELb0ES6_15HIP_vector_typeIjLj2EENS0_17counting_iteratorIjlEEPS9_SG_NS0_5tupleIJPjSI_NS0_16reverse_iteratorISI_EEEEENSH_IJSG_SG_SG_EEES9_SI_JZNS1_25segmented_radix_sort_implINS0_14default_configELb1EPKiPiPKlPlN2at6native12_GLOBAL__N_18offset_tEEE10hipError_tPvRmT1_PNSt15iterator_traitsIS12_E10value_typeET2_T3_PNS13_IS18_E10value_typeET4_jRbjT5_S1E_jjP12ihipStream_tbEUljE_ZNSN_ISO_Lb1ESQ_SR_ST_SU_SY_EESZ_S10_S11_S12_S16_S17_S18_S1B_S1C_jS1D_jS1E_S1E_jjS1G_bEUljE0_EEESZ_S10_S11_S18_S1C_S1E_T6_T7_T9_mT8_S1G_bDpT10_ENKUlT_T0_E_clISt17integral_constantIbLb1EES1U_EEDaS1P_S1Q_EUlS1P_E_NS1_11comp_targetILNS1_3genE8ELNS1_11target_archE1030ELNS1_3gpuE2ELNS1_3repE0EEENS1_30default_config_static_selectorELNS0_4arch9wavefront6targetE1EEEvS12_.uses_flat_scratch, 0
	.set _ZN7rocprim17ROCPRIM_400000_NS6detail17trampoline_kernelINS0_13select_configILj256ELj13ELNS0_17block_load_methodE3ELS4_3ELS4_3ELNS0_20block_scan_algorithmE0ELj4294967295EEENS1_25partition_config_selectorILNS1_17partition_subalgoE4EjNS0_10empty_typeEbEEZZNS1_14partition_implILS8_4ELb0ES6_15HIP_vector_typeIjLj2EENS0_17counting_iteratorIjlEEPS9_SG_NS0_5tupleIJPjSI_NS0_16reverse_iteratorISI_EEEEENSH_IJSG_SG_SG_EEES9_SI_JZNS1_25segmented_radix_sort_implINS0_14default_configELb1EPKiPiPKlPlN2at6native12_GLOBAL__N_18offset_tEEE10hipError_tPvRmT1_PNSt15iterator_traitsIS12_E10value_typeET2_T3_PNS13_IS18_E10value_typeET4_jRbjT5_S1E_jjP12ihipStream_tbEUljE_ZNSN_ISO_Lb1ESQ_SR_ST_SU_SY_EESZ_S10_S11_S12_S16_S17_S18_S1B_S1C_jS1D_jS1E_S1E_jjS1G_bEUljE0_EEESZ_S10_S11_S18_S1C_S1E_T6_T7_T9_mT8_S1G_bDpT10_ENKUlT_T0_E_clISt17integral_constantIbLb1EES1U_EEDaS1P_S1Q_EUlS1P_E_NS1_11comp_targetILNS1_3genE8ELNS1_11target_archE1030ELNS1_3gpuE2ELNS1_3repE0EEENS1_30default_config_static_selectorELNS0_4arch9wavefront6targetE1EEEvS12_.has_dyn_sized_stack, 0
	.set _ZN7rocprim17ROCPRIM_400000_NS6detail17trampoline_kernelINS0_13select_configILj256ELj13ELNS0_17block_load_methodE3ELS4_3ELS4_3ELNS0_20block_scan_algorithmE0ELj4294967295EEENS1_25partition_config_selectorILNS1_17partition_subalgoE4EjNS0_10empty_typeEbEEZZNS1_14partition_implILS8_4ELb0ES6_15HIP_vector_typeIjLj2EENS0_17counting_iteratorIjlEEPS9_SG_NS0_5tupleIJPjSI_NS0_16reverse_iteratorISI_EEEEENSH_IJSG_SG_SG_EEES9_SI_JZNS1_25segmented_radix_sort_implINS0_14default_configELb1EPKiPiPKlPlN2at6native12_GLOBAL__N_18offset_tEEE10hipError_tPvRmT1_PNSt15iterator_traitsIS12_E10value_typeET2_T3_PNS13_IS18_E10value_typeET4_jRbjT5_S1E_jjP12ihipStream_tbEUljE_ZNSN_ISO_Lb1ESQ_SR_ST_SU_SY_EESZ_S10_S11_S12_S16_S17_S18_S1B_S1C_jS1D_jS1E_S1E_jjS1G_bEUljE0_EEESZ_S10_S11_S18_S1C_S1E_T6_T7_T9_mT8_S1G_bDpT10_ENKUlT_T0_E_clISt17integral_constantIbLb1EES1U_EEDaS1P_S1Q_EUlS1P_E_NS1_11comp_targetILNS1_3genE8ELNS1_11target_archE1030ELNS1_3gpuE2ELNS1_3repE0EEENS1_30default_config_static_selectorELNS0_4arch9wavefront6targetE1EEEvS12_.has_recursion, 0
	.set _ZN7rocprim17ROCPRIM_400000_NS6detail17trampoline_kernelINS0_13select_configILj256ELj13ELNS0_17block_load_methodE3ELS4_3ELS4_3ELNS0_20block_scan_algorithmE0ELj4294967295EEENS1_25partition_config_selectorILNS1_17partition_subalgoE4EjNS0_10empty_typeEbEEZZNS1_14partition_implILS8_4ELb0ES6_15HIP_vector_typeIjLj2EENS0_17counting_iteratorIjlEEPS9_SG_NS0_5tupleIJPjSI_NS0_16reverse_iteratorISI_EEEEENSH_IJSG_SG_SG_EEES9_SI_JZNS1_25segmented_radix_sort_implINS0_14default_configELb1EPKiPiPKlPlN2at6native12_GLOBAL__N_18offset_tEEE10hipError_tPvRmT1_PNSt15iterator_traitsIS12_E10value_typeET2_T3_PNS13_IS18_E10value_typeET4_jRbjT5_S1E_jjP12ihipStream_tbEUljE_ZNSN_ISO_Lb1ESQ_SR_ST_SU_SY_EESZ_S10_S11_S12_S16_S17_S18_S1B_S1C_jS1D_jS1E_S1E_jjS1G_bEUljE0_EEESZ_S10_S11_S18_S1C_S1E_T6_T7_T9_mT8_S1G_bDpT10_ENKUlT_T0_E_clISt17integral_constantIbLb1EES1U_EEDaS1P_S1Q_EUlS1P_E_NS1_11comp_targetILNS1_3genE8ELNS1_11target_archE1030ELNS1_3gpuE2ELNS1_3repE0EEENS1_30default_config_static_selectorELNS0_4arch9wavefront6targetE1EEEvS12_.has_indirect_call, 0
	.section	.AMDGPU.csdata,"",@progbits
; Kernel info:
; codeLenInByte = 0
; TotalNumSgprs: 4
; NumVgprs: 0
; ScratchSize: 0
; MemoryBound: 0
; FloatMode: 240
; IeeeMode: 1
; LDSByteSize: 0 bytes/workgroup (compile time only)
; SGPRBlocks: 0
; VGPRBlocks: 0
; NumSGPRsForWavesPerEU: 4
; NumVGPRsForWavesPerEU: 1
; Occupancy: 10
; WaveLimiterHint : 0
; COMPUTE_PGM_RSRC2:SCRATCH_EN: 0
; COMPUTE_PGM_RSRC2:USER_SGPR: 6
; COMPUTE_PGM_RSRC2:TRAP_HANDLER: 0
; COMPUTE_PGM_RSRC2:TGID_X_EN: 1
; COMPUTE_PGM_RSRC2:TGID_Y_EN: 0
; COMPUTE_PGM_RSRC2:TGID_Z_EN: 0
; COMPUTE_PGM_RSRC2:TIDIG_COMP_CNT: 0
	.section	.text._ZN7rocprim17ROCPRIM_400000_NS6detail17trampoline_kernelINS0_13select_configILj256ELj13ELNS0_17block_load_methodE3ELS4_3ELS4_3ELNS0_20block_scan_algorithmE0ELj4294967295EEENS1_25partition_config_selectorILNS1_17partition_subalgoE4EjNS0_10empty_typeEbEEZZNS1_14partition_implILS8_4ELb0ES6_15HIP_vector_typeIjLj2EENS0_17counting_iteratorIjlEEPS9_SG_NS0_5tupleIJPjSI_NS0_16reverse_iteratorISI_EEEEENSH_IJSG_SG_SG_EEES9_SI_JZNS1_25segmented_radix_sort_implINS0_14default_configELb1EPKiPiPKlPlN2at6native12_GLOBAL__N_18offset_tEEE10hipError_tPvRmT1_PNSt15iterator_traitsIS12_E10value_typeET2_T3_PNS13_IS18_E10value_typeET4_jRbjT5_S1E_jjP12ihipStream_tbEUljE_ZNSN_ISO_Lb1ESQ_SR_ST_SU_SY_EESZ_S10_S11_S12_S16_S17_S18_S1B_S1C_jS1D_jS1E_S1E_jjS1G_bEUljE0_EEESZ_S10_S11_S18_S1C_S1E_T6_T7_T9_mT8_S1G_bDpT10_ENKUlT_T0_E_clISt17integral_constantIbLb1EES1T_IbLb0EEEEDaS1P_S1Q_EUlS1P_E_NS1_11comp_targetILNS1_3genE0ELNS1_11target_archE4294967295ELNS1_3gpuE0ELNS1_3repE0EEENS1_30default_config_static_selectorELNS0_4arch9wavefront6targetE1EEEvS12_,"axG",@progbits,_ZN7rocprim17ROCPRIM_400000_NS6detail17trampoline_kernelINS0_13select_configILj256ELj13ELNS0_17block_load_methodE3ELS4_3ELS4_3ELNS0_20block_scan_algorithmE0ELj4294967295EEENS1_25partition_config_selectorILNS1_17partition_subalgoE4EjNS0_10empty_typeEbEEZZNS1_14partition_implILS8_4ELb0ES6_15HIP_vector_typeIjLj2EENS0_17counting_iteratorIjlEEPS9_SG_NS0_5tupleIJPjSI_NS0_16reverse_iteratorISI_EEEEENSH_IJSG_SG_SG_EEES9_SI_JZNS1_25segmented_radix_sort_implINS0_14default_configELb1EPKiPiPKlPlN2at6native12_GLOBAL__N_18offset_tEEE10hipError_tPvRmT1_PNSt15iterator_traitsIS12_E10value_typeET2_T3_PNS13_IS18_E10value_typeET4_jRbjT5_S1E_jjP12ihipStream_tbEUljE_ZNSN_ISO_Lb1ESQ_SR_ST_SU_SY_EESZ_S10_S11_S12_S16_S17_S18_S1B_S1C_jS1D_jS1E_S1E_jjS1G_bEUljE0_EEESZ_S10_S11_S18_S1C_S1E_T6_T7_T9_mT8_S1G_bDpT10_ENKUlT_T0_E_clISt17integral_constantIbLb1EES1T_IbLb0EEEEDaS1P_S1Q_EUlS1P_E_NS1_11comp_targetILNS1_3genE0ELNS1_11target_archE4294967295ELNS1_3gpuE0ELNS1_3repE0EEENS1_30default_config_static_selectorELNS0_4arch9wavefront6targetE1EEEvS12_,comdat
	.globl	_ZN7rocprim17ROCPRIM_400000_NS6detail17trampoline_kernelINS0_13select_configILj256ELj13ELNS0_17block_load_methodE3ELS4_3ELS4_3ELNS0_20block_scan_algorithmE0ELj4294967295EEENS1_25partition_config_selectorILNS1_17partition_subalgoE4EjNS0_10empty_typeEbEEZZNS1_14partition_implILS8_4ELb0ES6_15HIP_vector_typeIjLj2EENS0_17counting_iteratorIjlEEPS9_SG_NS0_5tupleIJPjSI_NS0_16reverse_iteratorISI_EEEEENSH_IJSG_SG_SG_EEES9_SI_JZNS1_25segmented_radix_sort_implINS0_14default_configELb1EPKiPiPKlPlN2at6native12_GLOBAL__N_18offset_tEEE10hipError_tPvRmT1_PNSt15iterator_traitsIS12_E10value_typeET2_T3_PNS13_IS18_E10value_typeET4_jRbjT5_S1E_jjP12ihipStream_tbEUljE_ZNSN_ISO_Lb1ESQ_SR_ST_SU_SY_EESZ_S10_S11_S12_S16_S17_S18_S1B_S1C_jS1D_jS1E_S1E_jjS1G_bEUljE0_EEESZ_S10_S11_S18_S1C_S1E_T6_T7_T9_mT8_S1G_bDpT10_ENKUlT_T0_E_clISt17integral_constantIbLb1EES1T_IbLb0EEEEDaS1P_S1Q_EUlS1P_E_NS1_11comp_targetILNS1_3genE0ELNS1_11target_archE4294967295ELNS1_3gpuE0ELNS1_3repE0EEENS1_30default_config_static_selectorELNS0_4arch9wavefront6targetE1EEEvS12_ ; -- Begin function _ZN7rocprim17ROCPRIM_400000_NS6detail17trampoline_kernelINS0_13select_configILj256ELj13ELNS0_17block_load_methodE3ELS4_3ELS4_3ELNS0_20block_scan_algorithmE0ELj4294967295EEENS1_25partition_config_selectorILNS1_17partition_subalgoE4EjNS0_10empty_typeEbEEZZNS1_14partition_implILS8_4ELb0ES6_15HIP_vector_typeIjLj2EENS0_17counting_iteratorIjlEEPS9_SG_NS0_5tupleIJPjSI_NS0_16reverse_iteratorISI_EEEEENSH_IJSG_SG_SG_EEES9_SI_JZNS1_25segmented_radix_sort_implINS0_14default_configELb1EPKiPiPKlPlN2at6native12_GLOBAL__N_18offset_tEEE10hipError_tPvRmT1_PNSt15iterator_traitsIS12_E10value_typeET2_T3_PNS13_IS18_E10value_typeET4_jRbjT5_S1E_jjP12ihipStream_tbEUljE_ZNSN_ISO_Lb1ESQ_SR_ST_SU_SY_EESZ_S10_S11_S12_S16_S17_S18_S1B_S1C_jS1D_jS1E_S1E_jjS1G_bEUljE0_EEESZ_S10_S11_S18_S1C_S1E_T6_T7_T9_mT8_S1G_bDpT10_ENKUlT_T0_E_clISt17integral_constantIbLb1EES1T_IbLb0EEEEDaS1P_S1Q_EUlS1P_E_NS1_11comp_targetILNS1_3genE0ELNS1_11target_archE4294967295ELNS1_3gpuE0ELNS1_3repE0EEENS1_30default_config_static_selectorELNS0_4arch9wavefront6targetE1EEEvS12_
	.p2align	8
	.type	_ZN7rocprim17ROCPRIM_400000_NS6detail17trampoline_kernelINS0_13select_configILj256ELj13ELNS0_17block_load_methodE3ELS4_3ELS4_3ELNS0_20block_scan_algorithmE0ELj4294967295EEENS1_25partition_config_selectorILNS1_17partition_subalgoE4EjNS0_10empty_typeEbEEZZNS1_14partition_implILS8_4ELb0ES6_15HIP_vector_typeIjLj2EENS0_17counting_iteratorIjlEEPS9_SG_NS0_5tupleIJPjSI_NS0_16reverse_iteratorISI_EEEEENSH_IJSG_SG_SG_EEES9_SI_JZNS1_25segmented_radix_sort_implINS0_14default_configELb1EPKiPiPKlPlN2at6native12_GLOBAL__N_18offset_tEEE10hipError_tPvRmT1_PNSt15iterator_traitsIS12_E10value_typeET2_T3_PNS13_IS18_E10value_typeET4_jRbjT5_S1E_jjP12ihipStream_tbEUljE_ZNSN_ISO_Lb1ESQ_SR_ST_SU_SY_EESZ_S10_S11_S12_S16_S17_S18_S1B_S1C_jS1D_jS1E_S1E_jjS1G_bEUljE0_EEESZ_S10_S11_S18_S1C_S1E_T6_T7_T9_mT8_S1G_bDpT10_ENKUlT_T0_E_clISt17integral_constantIbLb1EES1T_IbLb0EEEEDaS1P_S1Q_EUlS1P_E_NS1_11comp_targetILNS1_3genE0ELNS1_11target_archE4294967295ELNS1_3gpuE0ELNS1_3repE0EEENS1_30default_config_static_selectorELNS0_4arch9wavefront6targetE1EEEvS12_,@function
_ZN7rocprim17ROCPRIM_400000_NS6detail17trampoline_kernelINS0_13select_configILj256ELj13ELNS0_17block_load_methodE3ELS4_3ELS4_3ELNS0_20block_scan_algorithmE0ELj4294967295EEENS1_25partition_config_selectorILNS1_17partition_subalgoE4EjNS0_10empty_typeEbEEZZNS1_14partition_implILS8_4ELb0ES6_15HIP_vector_typeIjLj2EENS0_17counting_iteratorIjlEEPS9_SG_NS0_5tupleIJPjSI_NS0_16reverse_iteratorISI_EEEEENSH_IJSG_SG_SG_EEES9_SI_JZNS1_25segmented_radix_sort_implINS0_14default_configELb1EPKiPiPKlPlN2at6native12_GLOBAL__N_18offset_tEEE10hipError_tPvRmT1_PNSt15iterator_traitsIS12_E10value_typeET2_T3_PNS13_IS18_E10value_typeET4_jRbjT5_S1E_jjP12ihipStream_tbEUljE_ZNSN_ISO_Lb1ESQ_SR_ST_SU_SY_EESZ_S10_S11_S12_S16_S17_S18_S1B_S1C_jS1D_jS1E_S1E_jjS1G_bEUljE0_EEESZ_S10_S11_S18_S1C_S1E_T6_T7_T9_mT8_S1G_bDpT10_ENKUlT_T0_E_clISt17integral_constantIbLb1EES1T_IbLb0EEEEDaS1P_S1Q_EUlS1P_E_NS1_11comp_targetILNS1_3genE0ELNS1_11target_archE4294967295ELNS1_3gpuE0ELNS1_3repE0EEENS1_30default_config_static_selectorELNS0_4arch9wavefront6targetE1EEEvS12_: ; @_ZN7rocprim17ROCPRIM_400000_NS6detail17trampoline_kernelINS0_13select_configILj256ELj13ELNS0_17block_load_methodE3ELS4_3ELS4_3ELNS0_20block_scan_algorithmE0ELj4294967295EEENS1_25partition_config_selectorILNS1_17partition_subalgoE4EjNS0_10empty_typeEbEEZZNS1_14partition_implILS8_4ELb0ES6_15HIP_vector_typeIjLj2EENS0_17counting_iteratorIjlEEPS9_SG_NS0_5tupleIJPjSI_NS0_16reverse_iteratorISI_EEEEENSH_IJSG_SG_SG_EEES9_SI_JZNS1_25segmented_radix_sort_implINS0_14default_configELb1EPKiPiPKlPlN2at6native12_GLOBAL__N_18offset_tEEE10hipError_tPvRmT1_PNSt15iterator_traitsIS12_E10value_typeET2_T3_PNS13_IS18_E10value_typeET4_jRbjT5_S1E_jjP12ihipStream_tbEUljE_ZNSN_ISO_Lb1ESQ_SR_ST_SU_SY_EESZ_S10_S11_S12_S16_S17_S18_S1B_S1C_jS1D_jS1E_S1E_jjS1G_bEUljE0_EEESZ_S10_S11_S18_S1C_S1E_T6_T7_T9_mT8_S1G_bDpT10_ENKUlT_T0_E_clISt17integral_constantIbLb1EES1T_IbLb0EEEEDaS1P_S1Q_EUlS1P_E_NS1_11comp_targetILNS1_3genE0ELNS1_11target_archE4294967295ELNS1_3gpuE0ELNS1_3repE0EEENS1_30default_config_static_selectorELNS0_4arch9wavefront6targetE1EEEvS12_
; %bb.0:
	.section	.rodata,"a",@progbits
	.p2align	6, 0x0
	.amdhsa_kernel _ZN7rocprim17ROCPRIM_400000_NS6detail17trampoline_kernelINS0_13select_configILj256ELj13ELNS0_17block_load_methodE3ELS4_3ELS4_3ELNS0_20block_scan_algorithmE0ELj4294967295EEENS1_25partition_config_selectorILNS1_17partition_subalgoE4EjNS0_10empty_typeEbEEZZNS1_14partition_implILS8_4ELb0ES6_15HIP_vector_typeIjLj2EENS0_17counting_iteratorIjlEEPS9_SG_NS0_5tupleIJPjSI_NS0_16reverse_iteratorISI_EEEEENSH_IJSG_SG_SG_EEES9_SI_JZNS1_25segmented_radix_sort_implINS0_14default_configELb1EPKiPiPKlPlN2at6native12_GLOBAL__N_18offset_tEEE10hipError_tPvRmT1_PNSt15iterator_traitsIS12_E10value_typeET2_T3_PNS13_IS18_E10value_typeET4_jRbjT5_S1E_jjP12ihipStream_tbEUljE_ZNSN_ISO_Lb1ESQ_SR_ST_SU_SY_EESZ_S10_S11_S12_S16_S17_S18_S1B_S1C_jS1D_jS1E_S1E_jjS1G_bEUljE0_EEESZ_S10_S11_S18_S1C_S1E_T6_T7_T9_mT8_S1G_bDpT10_ENKUlT_T0_E_clISt17integral_constantIbLb1EES1T_IbLb0EEEEDaS1P_S1Q_EUlS1P_E_NS1_11comp_targetILNS1_3genE0ELNS1_11target_archE4294967295ELNS1_3gpuE0ELNS1_3repE0EEENS1_30default_config_static_selectorELNS0_4arch9wavefront6targetE1EEEvS12_
		.amdhsa_group_segment_fixed_size 0
		.amdhsa_private_segment_fixed_size 0
		.amdhsa_kernarg_size 176
		.amdhsa_user_sgpr_count 6
		.amdhsa_user_sgpr_private_segment_buffer 1
		.amdhsa_user_sgpr_dispatch_ptr 0
		.amdhsa_user_sgpr_queue_ptr 0
		.amdhsa_user_sgpr_kernarg_segment_ptr 1
		.amdhsa_user_sgpr_dispatch_id 0
		.amdhsa_user_sgpr_flat_scratch_init 0
		.amdhsa_user_sgpr_private_segment_size 0
		.amdhsa_uses_dynamic_stack 0
		.amdhsa_system_sgpr_private_segment_wavefront_offset 0
		.amdhsa_system_sgpr_workgroup_id_x 1
		.amdhsa_system_sgpr_workgroup_id_y 0
		.amdhsa_system_sgpr_workgroup_id_z 0
		.amdhsa_system_sgpr_workgroup_info 0
		.amdhsa_system_vgpr_workitem_id 0
		.amdhsa_next_free_vgpr 1
		.amdhsa_next_free_sgpr 0
		.amdhsa_reserve_vcc 0
		.amdhsa_reserve_flat_scratch 0
		.amdhsa_float_round_mode_32 0
		.amdhsa_float_round_mode_16_64 0
		.amdhsa_float_denorm_mode_32 3
		.amdhsa_float_denorm_mode_16_64 3
		.amdhsa_dx10_clamp 1
		.amdhsa_ieee_mode 1
		.amdhsa_fp16_overflow 0
		.amdhsa_exception_fp_ieee_invalid_op 0
		.amdhsa_exception_fp_denorm_src 0
		.amdhsa_exception_fp_ieee_div_zero 0
		.amdhsa_exception_fp_ieee_overflow 0
		.amdhsa_exception_fp_ieee_underflow 0
		.amdhsa_exception_fp_ieee_inexact 0
		.amdhsa_exception_int_div_zero 0
	.end_amdhsa_kernel
	.section	.text._ZN7rocprim17ROCPRIM_400000_NS6detail17trampoline_kernelINS0_13select_configILj256ELj13ELNS0_17block_load_methodE3ELS4_3ELS4_3ELNS0_20block_scan_algorithmE0ELj4294967295EEENS1_25partition_config_selectorILNS1_17partition_subalgoE4EjNS0_10empty_typeEbEEZZNS1_14partition_implILS8_4ELb0ES6_15HIP_vector_typeIjLj2EENS0_17counting_iteratorIjlEEPS9_SG_NS0_5tupleIJPjSI_NS0_16reverse_iteratorISI_EEEEENSH_IJSG_SG_SG_EEES9_SI_JZNS1_25segmented_radix_sort_implINS0_14default_configELb1EPKiPiPKlPlN2at6native12_GLOBAL__N_18offset_tEEE10hipError_tPvRmT1_PNSt15iterator_traitsIS12_E10value_typeET2_T3_PNS13_IS18_E10value_typeET4_jRbjT5_S1E_jjP12ihipStream_tbEUljE_ZNSN_ISO_Lb1ESQ_SR_ST_SU_SY_EESZ_S10_S11_S12_S16_S17_S18_S1B_S1C_jS1D_jS1E_S1E_jjS1G_bEUljE0_EEESZ_S10_S11_S18_S1C_S1E_T6_T7_T9_mT8_S1G_bDpT10_ENKUlT_T0_E_clISt17integral_constantIbLb1EES1T_IbLb0EEEEDaS1P_S1Q_EUlS1P_E_NS1_11comp_targetILNS1_3genE0ELNS1_11target_archE4294967295ELNS1_3gpuE0ELNS1_3repE0EEENS1_30default_config_static_selectorELNS0_4arch9wavefront6targetE1EEEvS12_,"axG",@progbits,_ZN7rocprim17ROCPRIM_400000_NS6detail17trampoline_kernelINS0_13select_configILj256ELj13ELNS0_17block_load_methodE3ELS4_3ELS4_3ELNS0_20block_scan_algorithmE0ELj4294967295EEENS1_25partition_config_selectorILNS1_17partition_subalgoE4EjNS0_10empty_typeEbEEZZNS1_14partition_implILS8_4ELb0ES6_15HIP_vector_typeIjLj2EENS0_17counting_iteratorIjlEEPS9_SG_NS0_5tupleIJPjSI_NS0_16reverse_iteratorISI_EEEEENSH_IJSG_SG_SG_EEES9_SI_JZNS1_25segmented_radix_sort_implINS0_14default_configELb1EPKiPiPKlPlN2at6native12_GLOBAL__N_18offset_tEEE10hipError_tPvRmT1_PNSt15iterator_traitsIS12_E10value_typeET2_T3_PNS13_IS18_E10value_typeET4_jRbjT5_S1E_jjP12ihipStream_tbEUljE_ZNSN_ISO_Lb1ESQ_SR_ST_SU_SY_EESZ_S10_S11_S12_S16_S17_S18_S1B_S1C_jS1D_jS1E_S1E_jjS1G_bEUljE0_EEESZ_S10_S11_S18_S1C_S1E_T6_T7_T9_mT8_S1G_bDpT10_ENKUlT_T0_E_clISt17integral_constantIbLb1EES1T_IbLb0EEEEDaS1P_S1Q_EUlS1P_E_NS1_11comp_targetILNS1_3genE0ELNS1_11target_archE4294967295ELNS1_3gpuE0ELNS1_3repE0EEENS1_30default_config_static_selectorELNS0_4arch9wavefront6targetE1EEEvS12_,comdat
.Lfunc_end449:
	.size	_ZN7rocprim17ROCPRIM_400000_NS6detail17trampoline_kernelINS0_13select_configILj256ELj13ELNS0_17block_load_methodE3ELS4_3ELS4_3ELNS0_20block_scan_algorithmE0ELj4294967295EEENS1_25partition_config_selectorILNS1_17partition_subalgoE4EjNS0_10empty_typeEbEEZZNS1_14partition_implILS8_4ELb0ES6_15HIP_vector_typeIjLj2EENS0_17counting_iteratorIjlEEPS9_SG_NS0_5tupleIJPjSI_NS0_16reverse_iteratorISI_EEEEENSH_IJSG_SG_SG_EEES9_SI_JZNS1_25segmented_radix_sort_implINS0_14default_configELb1EPKiPiPKlPlN2at6native12_GLOBAL__N_18offset_tEEE10hipError_tPvRmT1_PNSt15iterator_traitsIS12_E10value_typeET2_T3_PNS13_IS18_E10value_typeET4_jRbjT5_S1E_jjP12ihipStream_tbEUljE_ZNSN_ISO_Lb1ESQ_SR_ST_SU_SY_EESZ_S10_S11_S12_S16_S17_S18_S1B_S1C_jS1D_jS1E_S1E_jjS1G_bEUljE0_EEESZ_S10_S11_S18_S1C_S1E_T6_T7_T9_mT8_S1G_bDpT10_ENKUlT_T0_E_clISt17integral_constantIbLb1EES1T_IbLb0EEEEDaS1P_S1Q_EUlS1P_E_NS1_11comp_targetILNS1_3genE0ELNS1_11target_archE4294967295ELNS1_3gpuE0ELNS1_3repE0EEENS1_30default_config_static_selectorELNS0_4arch9wavefront6targetE1EEEvS12_, .Lfunc_end449-_ZN7rocprim17ROCPRIM_400000_NS6detail17trampoline_kernelINS0_13select_configILj256ELj13ELNS0_17block_load_methodE3ELS4_3ELS4_3ELNS0_20block_scan_algorithmE0ELj4294967295EEENS1_25partition_config_selectorILNS1_17partition_subalgoE4EjNS0_10empty_typeEbEEZZNS1_14partition_implILS8_4ELb0ES6_15HIP_vector_typeIjLj2EENS0_17counting_iteratorIjlEEPS9_SG_NS0_5tupleIJPjSI_NS0_16reverse_iteratorISI_EEEEENSH_IJSG_SG_SG_EEES9_SI_JZNS1_25segmented_radix_sort_implINS0_14default_configELb1EPKiPiPKlPlN2at6native12_GLOBAL__N_18offset_tEEE10hipError_tPvRmT1_PNSt15iterator_traitsIS12_E10value_typeET2_T3_PNS13_IS18_E10value_typeET4_jRbjT5_S1E_jjP12ihipStream_tbEUljE_ZNSN_ISO_Lb1ESQ_SR_ST_SU_SY_EESZ_S10_S11_S12_S16_S17_S18_S1B_S1C_jS1D_jS1E_S1E_jjS1G_bEUljE0_EEESZ_S10_S11_S18_S1C_S1E_T6_T7_T9_mT8_S1G_bDpT10_ENKUlT_T0_E_clISt17integral_constantIbLb1EES1T_IbLb0EEEEDaS1P_S1Q_EUlS1P_E_NS1_11comp_targetILNS1_3genE0ELNS1_11target_archE4294967295ELNS1_3gpuE0ELNS1_3repE0EEENS1_30default_config_static_selectorELNS0_4arch9wavefront6targetE1EEEvS12_
                                        ; -- End function
	.set _ZN7rocprim17ROCPRIM_400000_NS6detail17trampoline_kernelINS0_13select_configILj256ELj13ELNS0_17block_load_methodE3ELS4_3ELS4_3ELNS0_20block_scan_algorithmE0ELj4294967295EEENS1_25partition_config_selectorILNS1_17partition_subalgoE4EjNS0_10empty_typeEbEEZZNS1_14partition_implILS8_4ELb0ES6_15HIP_vector_typeIjLj2EENS0_17counting_iteratorIjlEEPS9_SG_NS0_5tupleIJPjSI_NS0_16reverse_iteratorISI_EEEEENSH_IJSG_SG_SG_EEES9_SI_JZNS1_25segmented_radix_sort_implINS0_14default_configELb1EPKiPiPKlPlN2at6native12_GLOBAL__N_18offset_tEEE10hipError_tPvRmT1_PNSt15iterator_traitsIS12_E10value_typeET2_T3_PNS13_IS18_E10value_typeET4_jRbjT5_S1E_jjP12ihipStream_tbEUljE_ZNSN_ISO_Lb1ESQ_SR_ST_SU_SY_EESZ_S10_S11_S12_S16_S17_S18_S1B_S1C_jS1D_jS1E_S1E_jjS1G_bEUljE0_EEESZ_S10_S11_S18_S1C_S1E_T6_T7_T9_mT8_S1G_bDpT10_ENKUlT_T0_E_clISt17integral_constantIbLb1EES1T_IbLb0EEEEDaS1P_S1Q_EUlS1P_E_NS1_11comp_targetILNS1_3genE0ELNS1_11target_archE4294967295ELNS1_3gpuE0ELNS1_3repE0EEENS1_30default_config_static_selectorELNS0_4arch9wavefront6targetE1EEEvS12_.num_vgpr, 0
	.set _ZN7rocprim17ROCPRIM_400000_NS6detail17trampoline_kernelINS0_13select_configILj256ELj13ELNS0_17block_load_methodE3ELS4_3ELS4_3ELNS0_20block_scan_algorithmE0ELj4294967295EEENS1_25partition_config_selectorILNS1_17partition_subalgoE4EjNS0_10empty_typeEbEEZZNS1_14partition_implILS8_4ELb0ES6_15HIP_vector_typeIjLj2EENS0_17counting_iteratorIjlEEPS9_SG_NS0_5tupleIJPjSI_NS0_16reverse_iteratorISI_EEEEENSH_IJSG_SG_SG_EEES9_SI_JZNS1_25segmented_radix_sort_implINS0_14default_configELb1EPKiPiPKlPlN2at6native12_GLOBAL__N_18offset_tEEE10hipError_tPvRmT1_PNSt15iterator_traitsIS12_E10value_typeET2_T3_PNS13_IS18_E10value_typeET4_jRbjT5_S1E_jjP12ihipStream_tbEUljE_ZNSN_ISO_Lb1ESQ_SR_ST_SU_SY_EESZ_S10_S11_S12_S16_S17_S18_S1B_S1C_jS1D_jS1E_S1E_jjS1G_bEUljE0_EEESZ_S10_S11_S18_S1C_S1E_T6_T7_T9_mT8_S1G_bDpT10_ENKUlT_T0_E_clISt17integral_constantIbLb1EES1T_IbLb0EEEEDaS1P_S1Q_EUlS1P_E_NS1_11comp_targetILNS1_3genE0ELNS1_11target_archE4294967295ELNS1_3gpuE0ELNS1_3repE0EEENS1_30default_config_static_selectorELNS0_4arch9wavefront6targetE1EEEvS12_.num_agpr, 0
	.set _ZN7rocprim17ROCPRIM_400000_NS6detail17trampoline_kernelINS0_13select_configILj256ELj13ELNS0_17block_load_methodE3ELS4_3ELS4_3ELNS0_20block_scan_algorithmE0ELj4294967295EEENS1_25partition_config_selectorILNS1_17partition_subalgoE4EjNS0_10empty_typeEbEEZZNS1_14partition_implILS8_4ELb0ES6_15HIP_vector_typeIjLj2EENS0_17counting_iteratorIjlEEPS9_SG_NS0_5tupleIJPjSI_NS0_16reverse_iteratorISI_EEEEENSH_IJSG_SG_SG_EEES9_SI_JZNS1_25segmented_radix_sort_implINS0_14default_configELb1EPKiPiPKlPlN2at6native12_GLOBAL__N_18offset_tEEE10hipError_tPvRmT1_PNSt15iterator_traitsIS12_E10value_typeET2_T3_PNS13_IS18_E10value_typeET4_jRbjT5_S1E_jjP12ihipStream_tbEUljE_ZNSN_ISO_Lb1ESQ_SR_ST_SU_SY_EESZ_S10_S11_S12_S16_S17_S18_S1B_S1C_jS1D_jS1E_S1E_jjS1G_bEUljE0_EEESZ_S10_S11_S18_S1C_S1E_T6_T7_T9_mT8_S1G_bDpT10_ENKUlT_T0_E_clISt17integral_constantIbLb1EES1T_IbLb0EEEEDaS1P_S1Q_EUlS1P_E_NS1_11comp_targetILNS1_3genE0ELNS1_11target_archE4294967295ELNS1_3gpuE0ELNS1_3repE0EEENS1_30default_config_static_selectorELNS0_4arch9wavefront6targetE1EEEvS12_.numbered_sgpr, 0
	.set _ZN7rocprim17ROCPRIM_400000_NS6detail17trampoline_kernelINS0_13select_configILj256ELj13ELNS0_17block_load_methodE3ELS4_3ELS4_3ELNS0_20block_scan_algorithmE0ELj4294967295EEENS1_25partition_config_selectorILNS1_17partition_subalgoE4EjNS0_10empty_typeEbEEZZNS1_14partition_implILS8_4ELb0ES6_15HIP_vector_typeIjLj2EENS0_17counting_iteratorIjlEEPS9_SG_NS0_5tupleIJPjSI_NS0_16reverse_iteratorISI_EEEEENSH_IJSG_SG_SG_EEES9_SI_JZNS1_25segmented_radix_sort_implINS0_14default_configELb1EPKiPiPKlPlN2at6native12_GLOBAL__N_18offset_tEEE10hipError_tPvRmT1_PNSt15iterator_traitsIS12_E10value_typeET2_T3_PNS13_IS18_E10value_typeET4_jRbjT5_S1E_jjP12ihipStream_tbEUljE_ZNSN_ISO_Lb1ESQ_SR_ST_SU_SY_EESZ_S10_S11_S12_S16_S17_S18_S1B_S1C_jS1D_jS1E_S1E_jjS1G_bEUljE0_EEESZ_S10_S11_S18_S1C_S1E_T6_T7_T9_mT8_S1G_bDpT10_ENKUlT_T0_E_clISt17integral_constantIbLb1EES1T_IbLb0EEEEDaS1P_S1Q_EUlS1P_E_NS1_11comp_targetILNS1_3genE0ELNS1_11target_archE4294967295ELNS1_3gpuE0ELNS1_3repE0EEENS1_30default_config_static_selectorELNS0_4arch9wavefront6targetE1EEEvS12_.num_named_barrier, 0
	.set _ZN7rocprim17ROCPRIM_400000_NS6detail17trampoline_kernelINS0_13select_configILj256ELj13ELNS0_17block_load_methodE3ELS4_3ELS4_3ELNS0_20block_scan_algorithmE0ELj4294967295EEENS1_25partition_config_selectorILNS1_17partition_subalgoE4EjNS0_10empty_typeEbEEZZNS1_14partition_implILS8_4ELb0ES6_15HIP_vector_typeIjLj2EENS0_17counting_iteratorIjlEEPS9_SG_NS0_5tupleIJPjSI_NS0_16reverse_iteratorISI_EEEEENSH_IJSG_SG_SG_EEES9_SI_JZNS1_25segmented_radix_sort_implINS0_14default_configELb1EPKiPiPKlPlN2at6native12_GLOBAL__N_18offset_tEEE10hipError_tPvRmT1_PNSt15iterator_traitsIS12_E10value_typeET2_T3_PNS13_IS18_E10value_typeET4_jRbjT5_S1E_jjP12ihipStream_tbEUljE_ZNSN_ISO_Lb1ESQ_SR_ST_SU_SY_EESZ_S10_S11_S12_S16_S17_S18_S1B_S1C_jS1D_jS1E_S1E_jjS1G_bEUljE0_EEESZ_S10_S11_S18_S1C_S1E_T6_T7_T9_mT8_S1G_bDpT10_ENKUlT_T0_E_clISt17integral_constantIbLb1EES1T_IbLb0EEEEDaS1P_S1Q_EUlS1P_E_NS1_11comp_targetILNS1_3genE0ELNS1_11target_archE4294967295ELNS1_3gpuE0ELNS1_3repE0EEENS1_30default_config_static_selectorELNS0_4arch9wavefront6targetE1EEEvS12_.private_seg_size, 0
	.set _ZN7rocprim17ROCPRIM_400000_NS6detail17trampoline_kernelINS0_13select_configILj256ELj13ELNS0_17block_load_methodE3ELS4_3ELS4_3ELNS0_20block_scan_algorithmE0ELj4294967295EEENS1_25partition_config_selectorILNS1_17partition_subalgoE4EjNS0_10empty_typeEbEEZZNS1_14partition_implILS8_4ELb0ES6_15HIP_vector_typeIjLj2EENS0_17counting_iteratorIjlEEPS9_SG_NS0_5tupleIJPjSI_NS0_16reverse_iteratorISI_EEEEENSH_IJSG_SG_SG_EEES9_SI_JZNS1_25segmented_radix_sort_implINS0_14default_configELb1EPKiPiPKlPlN2at6native12_GLOBAL__N_18offset_tEEE10hipError_tPvRmT1_PNSt15iterator_traitsIS12_E10value_typeET2_T3_PNS13_IS18_E10value_typeET4_jRbjT5_S1E_jjP12ihipStream_tbEUljE_ZNSN_ISO_Lb1ESQ_SR_ST_SU_SY_EESZ_S10_S11_S12_S16_S17_S18_S1B_S1C_jS1D_jS1E_S1E_jjS1G_bEUljE0_EEESZ_S10_S11_S18_S1C_S1E_T6_T7_T9_mT8_S1G_bDpT10_ENKUlT_T0_E_clISt17integral_constantIbLb1EES1T_IbLb0EEEEDaS1P_S1Q_EUlS1P_E_NS1_11comp_targetILNS1_3genE0ELNS1_11target_archE4294967295ELNS1_3gpuE0ELNS1_3repE0EEENS1_30default_config_static_selectorELNS0_4arch9wavefront6targetE1EEEvS12_.uses_vcc, 0
	.set _ZN7rocprim17ROCPRIM_400000_NS6detail17trampoline_kernelINS0_13select_configILj256ELj13ELNS0_17block_load_methodE3ELS4_3ELS4_3ELNS0_20block_scan_algorithmE0ELj4294967295EEENS1_25partition_config_selectorILNS1_17partition_subalgoE4EjNS0_10empty_typeEbEEZZNS1_14partition_implILS8_4ELb0ES6_15HIP_vector_typeIjLj2EENS0_17counting_iteratorIjlEEPS9_SG_NS0_5tupleIJPjSI_NS0_16reverse_iteratorISI_EEEEENSH_IJSG_SG_SG_EEES9_SI_JZNS1_25segmented_radix_sort_implINS0_14default_configELb1EPKiPiPKlPlN2at6native12_GLOBAL__N_18offset_tEEE10hipError_tPvRmT1_PNSt15iterator_traitsIS12_E10value_typeET2_T3_PNS13_IS18_E10value_typeET4_jRbjT5_S1E_jjP12ihipStream_tbEUljE_ZNSN_ISO_Lb1ESQ_SR_ST_SU_SY_EESZ_S10_S11_S12_S16_S17_S18_S1B_S1C_jS1D_jS1E_S1E_jjS1G_bEUljE0_EEESZ_S10_S11_S18_S1C_S1E_T6_T7_T9_mT8_S1G_bDpT10_ENKUlT_T0_E_clISt17integral_constantIbLb1EES1T_IbLb0EEEEDaS1P_S1Q_EUlS1P_E_NS1_11comp_targetILNS1_3genE0ELNS1_11target_archE4294967295ELNS1_3gpuE0ELNS1_3repE0EEENS1_30default_config_static_selectorELNS0_4arch9wavefront6targetE1EEEvS12_.uses_flat_scratch, 0
	.set _ZN7rocprim17ROCPRIM_400000_NS6detail17trampoline_kernelINS0_13select_configILj256ELj13ELNS0_17block_load_methodE3ELS4_3ELS4_3ELNS0_20block_scan_algorithmE0ELj4294967295EEENS1_25partition_config_selectorILNS1_17partition_subalgoE4EjNS0_10empty_typeEbEEZZNS1_14partition_implILS8_4ELb0ES6_15HIP_vector_typeIjLj2EENS0_17counting_iteratorIjlEEPS9_SG_NS0_5tupleIJPjSI_NS0_16reverse_iteratorISI_EEEEENSH_IJSG_SG_SG_EEES9_SI_JZNS1_25segmented_radix_sort_implINS0_14default_configELb1EPKiPiPKlPlN2at6native12_GLOBAL__N_18offset_tEEE10hipError_tPvRmT1_PNSt15iterator_traitsIS12_E10value_typeET2_T3_PNS13_IS18_E10value_typeET4_jRbjT5_S1E_jjP12ihipStream_tbEUljE_ZNSN_ISO_Lb1ESQ_SR_ST_SU_SY_EESZ_S10_S11_S12_S16_S17_S18_S1B_S1C_jS1D_jS1E_S1E_jjS1G_bEUljE0_EEESZ_S10_S11_S18_S1C_S1E_T6_T7_T9_mT8_S1G_bDpT10_ENKUlT_T0_E_clISt17integral_constantIbLb1EES1T_IbLb0EEEEDaS1P_S1Q_EUlS1P_E_NS1_11comp_targetILNS1_3genE0ELNS1_11target_archE4294967295ELNS1_3gpuE0ELNS1_3repE0EEENS1_30default_config_static_selectorELNS0_4arch9wavefront6targetE1EEEvS12_.has_dyn_sized_stack, 0
	.set _ZN7rocprim17ROCPRIM_400000_NS6detail17trampoline_kernelINS0_13select_configILj256ELj13ELNS0_17block_load_methodE3ELS4_3ELS4_3ELNS0_20block_scan_algorithmE0ELj4294967295EEENS1_25partition_config_selectorILNS1_17partition_subalgoE4EjNS0_10empty_typeEbEEZZNS1_14partition_implILS8_4ELb0ES6_15HIP_vector_typeIjLj2EENS0_17counting_iteratorIjlEEPS9_SG_NS0_5tupleIJPjSI_NS0_16reverse_iteratorISI_EEEEENSH_IJSG_SG_SG_EEES9_SI_JZNS1_25segmented_radix_sort_implINS0_14default_configELb1EPKiPiPKlPlN2at6native12_GLOBAL__N_18offset_tEEE10hipError_tPvRmT1_PNSt15iterator_traitsIS12_E10value_typeET2_T3_PNS13_IS18_E10value_typeET4_jRbjT5_S1E_jjP12ihipStream_tbEUljE_ZNSN_ISO_Lb1ESQ_SR_ST_SU_SY_EESZ_S10_S11_S12_S16_S17_S18_S1B_S1C_jS1D_jS1E_S1E_jjS1G_bEUljE0_EEESZ_S10_S11_S18_S1C_S1E_T6_T7_T9_mT8_S1G_bDpT10_ENKUlT_T0_E_clISt17integral_constantIbLb1EES1T_IbLb0EEEEDaS1P_S1Q_EUlS1P_E_NS1_11comp_targetILNS1_3genE0ELNS1_11target_archE4294967295ELNS1_3gpuE0ELNS1_3repE0EEENS1_30default_config_static_selectorELNS0_4arch9wavefront6targetE1EEEvS12_.has_recursion, 0
	.set _ZN7rocprim17ROCPRIM_400000_NS6detail17trampoline_kernelINS0_13select_configILj256ELj13ELNS0_17block_load_methodE3ELS4_3ELS4_3ELNS0_20block_scan_algorithmE0ELj4294967295EEENS1_25partition_config_selectorILNS1_17partition_subalgoE4EjNS0_10empty_typeEbEEZZNS1_14partition_implILS8_4ELb0ES6_15HIP_vector_typeIjLj2EENS0_17counting_iteratorIjlEEPS9_SG_NS0_5tupleIJPjSI_NS0_16reverse_iteratorISI_EEEEENSH_IJSG_SG_SG_EEES9_SI_JZNS1_25segmented_radix_sort_implINS0_14default_configELb1EPKiPiPKlPlN2at6native12_GLOBAL__N_18offset_tEEE10hipError_tPvRmT1_PNSt15iterator_traitsIS12_E10value_typeET2_T3_PNS13_IS18_E10value_typeET4_jRbjT5_S1E_jjP12ihipStream_tbEUljE_ZNSN_ISO_Lb1ESQ_SR_ST_SU_SY_EESZ_S10_S11_S12_S16_S17_S18_S1B_S1C_jS1D_jS1E_S1E_jjS1G_bEUljE0_EEESZ_S10_S11_S18_S1C_S1E_T6_T7_T9_mT8_S1G_bDpT10_ENKUlT_T0_E_clISt17integral_constantIbLb1EES1T_IbLb0EEEEDaS1P_S1Q_EUlS1P_E_NS1_11comp_targetILNS1_3genE0ELNS1_11target_archE4294967295ELNS1_3gpuE0ELNS1_3repE0EEENS1_30default_config_static_selectorELNS0_4arch9wavefront6targetE1EEEvS12_.has_indirect_call, 0
	.section	.AMDGPU.csdata,"",@progbits
; Kernel info:
; codeLenInByte = 0
; TotalNumSgprs: 4
; NumVgprs: 0
; ScratchSize: 0
; MemoryBound: 0
; FloatMode: 240
; IeeeMode: 1
; LDSByteSize: 0 bytes/workgroup (compile time only)
; SGPRBlocks: 0
; VGPRBlocks: 0
; NumSGPRsForWavesPerEU: 4
; NumVGPRsForWavesPerEU: 1
; Occupancy: 10
; WaveLimiterHint : 0
; COMPUTE_PGM_RSRC2:SCRATCH_EN: 0
; COMPUTE_PGM_RSRC2:USER_SGPR: 6
; COMPUTE_PGM_RSRC2:TRAP_HANDLER: 0
; COMPUTE_PGM_RSRC2:TGID_X_EN: 1
; COMPUTE_PGM_RSRC2:TGID_Y_EN: 0
; COMPUTE_PGM_RSRC2:TGID_Z_EN: 0
; COMPUTE_PGM_RSRC2:TIDIG_COMP_CNT: 0
	.section	.text._ZN7rocprim17ROCPRIM_400000_NS6detail17trampoline_kernelINS0_13select_configILj256ELj13ELNS0_17block_load_methodE3ELS4_3ELS4_3ELNS0_20block_scan_algorithmE0ELj4294967295EEENS1_25partition_config_selectorILNS1_17partition_subalgoE4EjNS0_10empty_typeEbEEZZNS1_14partition_implILS8_4ELb0ES6_15HIP_vector_typeIjLj2EENS0_17counting_iteratorIjlEEPS9_SG_NS0_5tupleIJPjSI_NS0_16reverse_iteratorISI_EEEEENSH_IJSG_SG_SG_EEES9_SI_JZNS1_25segmented_radix_sort_implINS0_14default_configELb1EPKiPiPKlPlN2at6native12_GLOBAL__N_18offset_tEEE10hipError_tPvRmT1_PNSt15iterator_traitsIS12_E10value_typeET2_T3_PNS13_IS18_E10value_typeET4_jRbjT5_S1E_jjP12ihipStream_tbEUljE_ZNSN_ISO_Lb1ESQ_SR_ST_SU_SY_EESZ_S10_S11_S12_S16_S17_S18_S1B_S1C_jS1D_jS1E_S1E_jjS1G_bEUljE0_EEESZ_S10_S11_S18_S1C_S1E_T6_T7_T9_mT8_S1G_bDpT10_ENKUlT_T0_E_clISt17integral_constantIbLb1EES1T_IbLb0EEEEDaS1P_S1Q_EUlS1P_E_NS1_11comp_targetILNS1_3genE5ELNS1_11target_archE942ELNS1_3gpuE9ELNS1_3repE0EEENS1_30default_config_static_selectorELNS0_4arch9wavefront6targetE1EEEvS12_,"axG",@progbits,_ZN7rocprim17ROCPRIM_400000_NS6detail17trampoline_kernelINS0_13select_configILj256ELj13ELNS0_17block_load_methodE3ELS4_3ELS4_3ELNS0_20block_scan_algorithmE0ELj4294967295EEENS1_25partition_config_selectorILNS1_17partition_subalgoE4EjNS0_10empty_typeEbEEZZNS1_14partition_implILS8_4ELb0ES6_15HIP_vector_typeIjLj2EENS0_17counting_iteratorIjlEEPS9_SG_NS0_5tupleIJPjSI_NS0_16reverse_iteratorISI_EEEEENSH_IJSG_SG_SG_EEES9_SI_JZNS1_25segmented_radix_sort_implINS0_14default_configELb1EPKiPiPKlPlN2at6native12_GLOBAL__N_18offset_tEEE10hipError_tPvRmT1_PNSt15iterator_traitsIS12_E10value_typeET2_T3_PNS13_IS18_E10value_typeET4_jRbjT5_S1E_jjP12ihipStream_tbEUljE_ZNSN_ISO_Lb1ESQ_SR_ST_SU_SY_EESZ_S10_S11_S12_S16_S17_S18_S1B_S1C_jS1D_jS1E_S1E_jjS1G_bEUljE0_EEESZ_S10_S11_S18_S1C_S1E_T6_T7_T9_mT8_S1G_bDpT10_ENKUlT_T0_E_clISt17integral_constantIbLb1EES1T_IbLb0EEEEDaS1P_S1Q_EUlS1P_E_NS1_11comp_targetILNS1_3genE5ELNS1_11target_archE942ELNS1_3gpuE9ELNS1_3repE0EEENS1_30default_config_static_selectorELNS0_4arch9wavefront6targetE1EEEvS12_,comdat
	.globl	_ZN7rocprim17ROCPRIM_400000_NS6detail17trampoline_kernelINS0_13select_configILj256ELj13ELNS0_17block_load_methodE3ELS4_3ELS4_3ELNS0_20block_scan_algorithmE0ELj4294967295EEENS1_25partition_config_selectorILNS1_17partition_subalgoE4EjNS0_10empty_typeEbEEZZNS1_14partition_implILS8_4ELb0ES6_15HIP_vector_typeIjLj2EENS0_17counting_iteratorIjlEEPS9_SG_NS0_5tupleIJPjSI_NS0_16reverse_iteratorISI_EEEEENSH_IJSG_SG_SG_EEES9_SI_JZNS1_25segmented_radix_sort_implINS0_14default_configELb1EPKiPiPKlPlN2at6native12_GLOBAL__N_18offset_tEEE10hipError_tPvRmT1_PNSt15iterator_traitsIS12_E10value_typeET2_T3_PNS13_IS18_E10value_typeET4_jRbjT5_S1E_jjP12ihipStream_tbEUljE_ZNSN_ISO_Lb1ESQ_SR_ST_SU_SY_EESZ_S10_S11_S12_S16_S17_S18_S1B_S1C_jS1D_jS1E_S1E_jjS1G_bEUljE0_EEESZ_S10_S11_S18_S1C_S1E_T6_T7_T9_mT8_S1G_bDpT10_ENKUlT_T0_E_clISt17integral_constantIbLb1EES1T_IbLb0EEEEDaS1P_S1Q_EUlS1P_E_NS1_11comp_targetILNS1_3genE5ELNS1_11target_archE942ELNS1_3gpuE9ELNS1_3repE0EEENS1_30default_config_static_selectorELNS0_4arch9wavefront6targetE1EEEvS12_ ; -- Begin function _ZN7rocprim17ROCPRIM_400000_NS6detail17trampoline_kernelINS0_13select_configILj256ELj13ELNS0_17block_load_methodE3ELS4_3ELS4_3ELNS0_20block_scan_algorithmE0ELj4294967295EEENS1_25partition_config_selectorILNS1_17partition_subalgoE4EjNS0_10empty_typeEbEEZZNS1_14partition_implILS8_4ELb0ES6_15HIP_vector_typeIjLj2EENS0_17counting_iteratorIjlEEPS9_SG_NS0_5tupleIJPjSI_NS0_16reverse_iteratorISI_EEEEENSH_IJSG_SG_SG_EEES9_SI_JZNS1_25segmented_radix_sort_implINS0_14default_configELb1EPKiPiPKlPlN2at6native12_GLOBAL__N_18offset_tEEE10hipError_tPvRmT1_PNSt15iterator_traitsIS12_E10value_typeET2_T3_PNS13_IS18_E10value_typeET4_jRbjT5_S1E_jjP12ihipStream_tbEUljE_ZNSN_ISO_Lb1ESQ_SR_ST_SU_SY_EESZ_S10_S11_S12_S16_S17_S18_S1B_S1C_jS1D_jS1E_S1E_jjS1G_bEUljE0_EEESZ_S10_S11_S18_S1C_S1E_T6_T7_T9_mT8_S1G_bDpT10_ENKUlT_T0_E_clISt17integral_constantIbLb1EES1T_IbLb0EEEEDaS1P_S1Q_EUlS1P_E_NS1_11comp_targetILNS1_3genE5ELNS1_11target_archE942ELNS1_3gpuE9ELNS1_3repE0EEENS1_30default_config_static_selectorELNS0_4arch9wavefront6targetE1EEEvS12_
	.p2align	8
	.type	_ZN7rocprim17ROCPRIM_400000_NS6detail17trampoline_kernelINS0_13select_configILj256ELj13ELNS0_17block_load_methodE3ELS4_3ELS4_3ELNS0_20block_scan_algorithmE0ELj4294967295EEENS1_25partition_config_selectorILNS1_17partition_subalgoE4EjNS0_10empty_typeEbEEZZNS1_14partition_implILS8_4ELb0ES6_15HIP_vector_typeIjLj2EENS0_17counting_iteratorIjlEEPS9_SG_NS0_5tupleIJPjSI_NS0_16reverse_iteratorISI_EEEEENSH_IJSG_SG_SG_EEES9_SI_JZNS1_25segmented_radix_sort_implINS0_14default_configELb1EPKiPiPKlPlN2at6native12_GLOBAL__N_18offset_tEEE10hipError_tPvRmT1_PNSt15iterator_traitsIS12_E10value_typeET2_T3_PNS13_IS18_E10value_typeET4_jRbjT5_S1E_jjP12ihipStream_tbEUljE_ZNSN_ISO_Lb1ESQ_SR_ST_SU_SY_EESZ_S10_S11_S12_S16_S17_S18_S1B_S1C_jS1D_jS1E_S1E_jjS1G_bEUljE0_EEESZ_S10_S11_S18_S1C_S1E_T6_T7_T9_mT8_S1G_bDpT10_ENKUlT_T0_E_clISt17integral_constantIbLb1EES1T_IbLb0EEEEDaS1P_S1Q_EUlS1P_E_NS1_11comp_targetILNS1_3genE5ELNS1_11target_archE942ELNS1_3gpuE9ELNS1_3repE0EEENS1_30default_config_static_selectorELNS0_4arch9wavefront6targetE1EEEvS12_,@function
_ZN7rocprim17ROCPRIM_400000_NS6detail17trampoline_kernelINS0_13select_configILj256ELj13ELNS0_17block_load_methodE3ELS4_3ELS4_3ELNS0_20block_scan_algorithmE0ELj4294967295EEENS1_25partition_config_selectorILNS1_17partition_subalgoE4EjNS0_10empty_typeEbEEZZNS1_14partition_implILS8_4ELb0ES6_15HIP_vector_typeIjLj2EENS0_17counting_iteratorIjlEEPS9_SG_NS0_5tupleIJPjSI_NS0_16reverse_iteratorISI_EEEEENSH_IJSG_SG_SG_EEES9_SI_JZNS1_25segmented_radix_sort_implINS0_14default_configELb1EPKiPiPKlPlN2at6native12_GLOBAL__N_18offset_tEEE10hipError_tPvRmT1_PNSt15iterator_traitsIS12_E10value_typeET2_T3_PNS13_IS18_E10value_typeET4_jRbjT5_S1E_jjP12ihipStream_tbEUljE_ZNSN_ISO_Lb1ESQ_SR_ST_SU_SY_EESZ_S10_S11_S12_S16_S17_S18_S1B_S1C_jS1D_jS1E_S1E_jjS1G_bEUljE0_EEESZ_S10_S11_S18_S1C_S1E_T6_T7_T9_mT8_S1G_bDpT10_ENKUlT_T0_E_clISt17integral_constantIbLb1EES1T_IbLb0EEEEDaS1P_S1Q_EUlS1P_E_NS1_11comp_targetILNS1_3genE5ELNS1_11target_archE942ELNS1_3gpuE9ELNS1_3repE0EEENS1_30default_config_static_selectorELNS0_4arch9wavefront6targetE1EEEvS12_: ; @_ZN7rocprim17ROCPRIM_400000_NS6detail17trampoline_kernelINS0_13select_configILj256ELj13ELNS0_17block_load_methodE3ELS4_3ELS4_3ELNS0_20block_scan_algorithmE0ELj4294967295EEENS1_25partition_config_selectorILNS1_17partition_subalgoE4EjNS0_10empty_typeEbEEZZNS1_14partition_implILS8_4ELb0ES6_15HIP_vector_typeIjLj2EENS0_17counting_iteratorIjlEEPS9_SG_NS0_5tupleIJPjSI_NS0_16reverse_iteratorISI_EEEEENSH_IJSG_SG_SG_EEES9_SI_JZNS1_25segmented_radix_sort_implINS0_14default_configELb1EPKiPiPKlPlN2at6native12_GLOBAL__N_18offset_tEEE10hipError_tPvRmT1_PNSt15iterator_traitsIS12_E10value_typeET2_T3_PNS13_IS18_E10value_typeET4_jRbjT5_S1E_jjP12ihipStream_tbEUljE_ZNSN_ISO_Lb1ESQ_SR_ST_SU_SY_EESZ_S10_S11_S12_S16_S17_S18_S1B_S1C_jS1D_jS1E_S1E_jjS1G_bEUljE0_EEESZ_S10_S11_S18_S1C_S1E_T6_T7_T9_mT8_S1G_bDpT10_ENKUlT_T0_E_clISt17integral_constantIbLb1EES1T_IbLb0EEEEDaS1P_S1Q_EUlS1P_E_NS1_11comp_targetILNS1_3genE5ELNS1_11target_archE942ELNS1_3gpuE9ELNS1_3repE0EEENS1_30default_config_static_selectorELNS0_4arch9wavefront6targetE1EEEvS12_
; %bb.0:
	.section	.rodata,"a",@progbits
	.p2align	6, 0x0
	.amdhsa_kernel _ZN7rocprim17ROCPRIM_400000_NS6detail17trampoline_kernelINS0_13select_configILj256ELj13ELNS0_17block_load_methodE3ELS4_3ELS4_3ELNS0_20block_scan_algorithmE0ELj4294967295EEENS1_25partition_config_selectorILNS1_17partition_subalgoE4EjNS0_10empty_typeEbEEZZNS1_14partition_implILS8_4ELb0ES6_15HIP_vector_typeIjLj2EENS0_17counting_iteratorIjlEEPS9_SG_NS0_5tupleIJPjSI_NS0_16reverse_iteratorISI_EEEEENSH_IJSG_SG_SG_EEES9_SI_JZNS1_25segmented_radix_sort_implINS0_14default_configELb1EPKiPiPKlPlN2at6native12_GLOBAL__N_18offset_tEEE10hipError_tPvRmT1_PNSt15iterator_traitsIS12_E10value_typeET2_T3_PNS13_IS18_E10value_typeET4_jRbjT5_S1E_jjP12ihipStream_tbEUljE_ZNSN_ISO_Lb1ESQ_SR_ST_SU_SY_EESZ_S10_S11_S12_S16_S17_S18_S1B_S1C_jS1D_jS1E_S1E_jjS1G_bEUljE0_EEESZ_S10_S11_S18_S1C_S1E_T6_T7_T9_mT8_S1G_bDpT10_ENKUlT_T0_E_clISt17integral_constantIbLb1EES1T_IbLb0EEEEDaS1P_S1Q_EUlS1P_E_NS1_11comp_targetILNS1_3genE5ELNS1_11target_archE942ELNS1_3gpuE9ELNS1_3repE0EEENS1_30default_config_static_selectorELNS0_4arch9wavefront6targetE1EEEvS12_
		.amdhsa_group_segment_fixed_size 0
		.amdhsa_private_segment_fixed_size 0
		.amdhsa_kernarg_size 176
		.amdhsa_user_sgpr_count 6
		.amdhsa_user_sgpr_private_segment_buffer 1
		.amdhsa_user_sgpr_dispatch_ptr 0
		.amdhsa_user_sgpr_queue_ptr 0
		.amdhsa_user_sgpr_kernarg_segment_ptr 1
		.amdhsa_user_sgpr_dispatch_id 0
		.amdhsa_user_sgpr_flat_scratch_init 0
		.amdhsa_user_sgpr_private_segment_size 0
		.amdhsa_uses_dynamic_stack 0
		.amdhsa_system_sgpr_private_segment_wavefront_offset 0
		.amdhsa_system_sgpr_workgroup_id_x 1
		.amdhsa_system_sgpr_workgroup_id_y 0
		.amdhsa_system_sgpr_workgroup_id_z 0
		.amdhsa_system_sgpr_workgroup_info 0
		.amdhsa_system_vgpr_workitem_id 0
		.amdhsa_next_free_vgpr 1
		.amdhsa_next_free_sgpr 0
		.amdhsa_reserve_vcc 0
		.amdhsa_reserve_flat_scratch 0
		.amdhsa_float_round_mode_32 0
		.amdhsa_float_round_mode_16_64 0
		.amdhsa_float_denorm_mode_32 3
		.amdhsa_float_denorm_mode_16_64 3
		.amdhsa_dx10_clamp 1
		.amdhsa_ieee_mode 1
		.amdhsa_fp16_overflow 0
		.amdhsa_exception_fp_ieee_invalid_op 0
		.amdhsa_exception_fp_denorm_src 0
		.amdhsa_exception_fp_ieee_div_zero 0
		.amdhsa_exception_fp_ieee_overflow 0
		.amdhsa_exception_fp_ieee_underflow 0
		.amdhsa_exception_fp_ieee_inexact 0
		.amdhsa_exception_int_div_zero 0
	.end_amdhsa_kernel
	.section	.text._ZN7rocprim17ROCPRIM_400000_NS6detail17trampoline_kernelINS0_13select_configILj256ELj13ELNS0_17block_load_methodE3ELS4_3ELS4_3ELNS0_20block_scan_algorithmE0ELj4294967295EEENS1_25partition_config_selectorILNS1_17partition_subalgoE4EjNS0_10empty_typeEbEEZZNS1_14partition_implILS8_4ELb0ES6_15HIP_vector_typeIjLj2EENS0_17counting_iteratorIjlEEPS9_SG_NS0_5tupleIJPjSI_NS0_16reverse_iteratorISI_EEEEENSH_IJSG_SG_SG_EEES9_SI_JZNS1_25segmented_radix_sort_implINS0_14default_configELb1EPKiPiPKlPlN2at6native12_GLOBAL__N_18offset_tEEE10hipError_tPvRmT1_PNSt15iterator_traitsIS12_E10value_typeET2_T3_PNS13_IS18_E10value_typeET4_jRbjT5_S1E_jjP12ihipStream_tbEUljE_ZNSN_ISO_Lb1ESQ_SR_ST_SU_SY_EESZ_S10_S11_S12_S16_S17_S18_S1B_S1C_jS1D_jS1E_S1E_jjS1G_bEUljE0_EEESZ_S10_S11_S18_S1C_S1E_T6_T7_T9_mT8_S1G_bDpT10_ENKUlT_T0_E_clISt17integral_constantIbLb1EES1T_IbLb0EEEEDaS1P_S1Q_EUlS1P_E_NS1_11comp_targetILNS1_3genE5ELNS1_11target_archE942ELNS1_3gpuE9ELNS1_3repE0EEENS1_30default_config_static_selectorELNS0_4arch9wavefront6targetE1EEEvS12_,"axG",@progbits,_ZN7rocprim17ROCPRIM_400000_NS6detail17trampoline_kernelINS0_13select_configILj256ELj13ELNS0_17block_load_methodE3ELS4_3ELS4_3ELNS0_20block_scan_algorithmE0ELj4294967295EEENS1_25partition_config_selectorILNS1_17partition_subalgoE4EjNS0_10empty_typeEbEEZZNS1_14partition_implILS8_4ELb0ES6_15HIP_vector_typeIjLj2EENS0_17counting_iteratorIjlEEPS9_SG_NS0_5tupleIJPjSI_NS0_16reverse_iteratorISI_EEEEENSH_IJSG_SG_SG_EEES9_SI_JZNS1_25segmented_radix_sort_implINS0_14default_configELb1EPKiPiPKlPlN2at6native12_GLOBAL__N_18offset_tEEE10hipError_tPvRmT1_PNSt15iterator_traitsIS12_E10value_typeET2_T3_PNS13_IS18_E10value_typeET4_jRbjT5_S1E_jjP12ihipStream_tbEUljE_ZNSN_ISO_Lb1ESQ_SR_ST_SU_SY_EESZ_S10_S11_S12_S16_S17_S18_S1B_S1C_jS1D_jS1E_S1E_jjS1G_bEUljE0_EEESZ_S10_S11_S18_S1C_S1E_T6_T7_T9_mT8_S1G_bDpT10_ENKUlT_T0_E_clISt17integral_constantIbLb1EES1T_IbLb0EEEEDaS1P_S1Q_EUlS1P_E_NS1_11comp_targetILNS1_3genE5ELNS1_11target_archE942ELNS1_3gpuE9ELNS1_3repE0EEENS1_30default_config_static_selectorELNS0_4arch9wavefront6targetE1EEEvS12_,comdat
.Lfunc_end450:
	.size	_ZN7rocprim17ROCPRIM_400000_NS6detail17trampoline_kernelINS0_13select_configILj256ELj13ELNS0_17block_load_methodE3ELS4_3ELS4_3ELNS0_20block_scan_algorithmE0ELj4294967295EEENS1_25partition_config_selectorILNS1_17partition_subalgoE4EjNS0_10empty_typeEbEEZZNS1_14partition_implILS8_4ELb0ES6_15HIP_vector_typeIjLj2EENS0_17counting_iteratorIjlEEPS9_SG_NS0_5tupleIJPjSI_NS0_16reverse_iteratorISI_EEEEENSH_IJSG_SG_SG_EEES9_SI_JZNS1_25segmented_radix_sort_implINS0_14default_configELb1EPKiPiPKlPlN2at6native12_GLOBAL__N_18offset_tEEE10hipError_tPvRmT1_PNSt15iterator_traitsIS12_E10value_typeET2_T3_PNS13_IS18_E10value_typeET4_jRbjT5_S1E_jjP12ihipStream_tbEUljE_ZNSN_ISO_Lb1ESQ_SR_ST_SU_SY_EESZ_S10_S11_S12_S16_S17_S18_S1B_S1C_jS1D_jS1E_S1E_jjS1G_bEUljE0_EEESZ_S10_S11_S18_S1C_S1E_T6_T7_T9_mT8_S1G_bDpT10_ENKUlT_T0_E_clISt17integral_constantIbLb1EES1T_IbLb0EEEEDaS1P_S1Q_EUlS1P_E_NS1_11comp_targetILNS1_3genE5ELNS1_11target_archE942ELNS1_3gpuE9ELNS1_3repE0EEENS1_30default_config_static_selectorELNS0_4arch9wavefront6targetE1EEEvS12_, .Lfunc_end450-_ZN7rocprim17ROCPRIM_400000_NS6detail17trampoline_kernelINS0_13select_configILj256ELj13ELNS0_17block_load_methodE3ELS4_3ELS4_3ELNS0_20block_scan_algorithmE0ELj4294967295EEENS1_25partition_config_selectorILNS1_17partition_subalgoE4EjNS0_10empty_typeEbEEZZNS1_14partition_implILS8_4ELb0ES6_15HIP_vector_typeIjLj2EENS0_17counting_iteratorIjlEEPS9_SG_NS0_5tupleIJPjSI_NS0_16reverse_iteratorISI_EEEEENSH_IJSG_SG_SG_EEES9_SI_JZNS1_25segmented_radix_sort_implINS0_14default_configELb1EPKiPiPKlPlN2at6native12_GLOBAL__N_18offset_tEEE10hipError_tPvRmT1_PNSt15iterator_traitsIS12_E10value_typeET2_T3_PNS13_IS18_E10value_typeET4_jRbjT5_S1E_jjP12ihipStream_tbEUljE_ZNSN_ISO_Lb1ESQ_SR_ST_SU_SY_EESZ_S10_S11_S12_S16_S17_S18_S1B_S1C_jS1D_jS1E_S1E_jjS1G_bEUljE0_EEESZ_S10_S11_S18_S1C_S1E_T6_T7_T9_mT8_S1G_bDpT10_ENKUlT_T0_E_clISt17integral_constantIbLb1EES1T_IbLb0EEEEDaS1P_S1Q_EUlS1P_E_NS1_11comp_targetILNS1_3genE5ELNS1_11target_archE942ELNS1_3gpuE9ELNS1_3repE0EEENS1_30default_config_static_selectorELNS0_4arch9wavefront6targetE1EEEvS12_
                                        ; -- End function
	.set _ZN7rocprim17ROCPRIM_400000_NS6detail17trampoline_kernelINS0_13select_configILj256ELj13ELNS0_17block_load_methodE3ELS4_3ELS4_3ELNS0_20block_scan_algorithmE0ELj4294967295EEENS1_25partition_config_selectorILNS1_17partition_subalgoE4EjNS0_10empty_typeEbEEZZNS1_14partition_implILS8_4ELb0ES6_15HIP_vector_typeIjLj2EENS0_17counting_iteratorIjlEEPS9_SG_NS0_5tupleIJPjSI_NS0_16reverse_iteratorISI_EEEEENSH_IJSG_SG_SG_EEES9_SI_JZNS1_25segmented_radix_sort_implINS0_14default_configELb1EPKiPiPKlPlN2at6native12_GLOBAL__N_18offset_tEEE10hipError_tPvRmT1_PNSt15iterator_traitsIS12_E10value_typeET2_T3_PNS13_IS18_E10value_typeET4_jRbjT5_S1E_jjP12ihipStream_tbEUljE_ZNSN_ISO_Lb1ESQ_SR_ST_SU_SY_EESZ_S10_S11_S12_S16_S17_S18_S1B_S1C_jS1D_jS1E_S1E_jjS1G_bEUljE0_EEESZ_S10_S11_S18_S1C_S1E_T6_T7_T9_mT8_S1G_bDpT10_ENKUlT_T0_E_clISt17integral_constantIbLb1EES1T_IbLb0EEEEDaS1P_S1Q_EUlS1P_E_NS1_11comp_targetILNS1_3genE5ELNS1_11target_archE942ELNS1_3gpuE9ELNS1_3repE0EEENS1_30default_config_static_selectorELNS0_4arch9wavefront6targetE1EEEvS12_.num_vgpr, 0
	.set _ZN7rocprim17ROCPRIM_400000_NS6detail17trampoline_kernelINS0_13select_configILj256ELj13ELNS0_17block_load_methodE3ELS4_3ELS4_3ELNS0_20block_scan_algorithmE0ELj4294967295EEENS1_25partition_config_selectorILNS1_17partition_subalgoE4EjNS0_10empty_typeEbEEZZNS1_14partition_implILS8_4ELb0ES6_15HIP_vector_typeIjLj2EENS0_17counting_iteratorIjlEEPS9_SG_NS0_5tupleIJPjSI_NS0_16reverse_iteratorISI_EEEEENSH_IJSG_SG_SG_EEES9_SI_JZNS1_25segmented_radix_sort_implINS0_14default_configELb1EPKiPiPKlPlN2at6native12_GLOBAL__N_18offset_tEEE10hipError_tPvRmT1_PNSt15iterator_traitsIS12_E10value_typeET2_T3_PNS13_IS18_E10value_typeET4_jRbjT5_S1E_jjP12ihipStream_tbEUljE_ZNSN_ISO_Lb1ESQ_SR_ST_SU_SY_EESZ_S10_S11_S12_S16_S17_S18_S1B_S1C_jS1D_jS1E_S1E_jjS1G_bEUljE0_EEESZ_S10_S11_S18_S1C_S1E_T6_T7_T9_mT8_S1G_bDpT10_ENKUlT_T0_E_clISt17integral_constantIbLb1EES1T_IbLb0EEEEDaS1P_S1Q_EUlS1P_E_NS1_11comp_targetILNS1_3genE5ELNS1_11target_archE942ELNS1_3gpuE9ELNS1_3repE0EEENS1_30default_config_static_selectorELNS0_4arch9wavefront6targetE1EEEvS12_.num_agpr, 0
	.set _ZN7rocprim17ROCPRIM_400000_NS6detail17trampoline_kernelINS0_13select_configILj256ELj13ELNS0_17block_load_methodE3ELS4_3ELS4_3ELNS0_20block_scan_algorithmE0ELj4294967295EEENS1_25partition_config_selectorILNS1_17partition_subalgoE4EjNS0_10empty_typeEbEEZZNS1_14partition_implILS8_4ELb0ES6_15HIP_vector_typeIjLj2EENS0_17counting_iteratorIjlEEPS9_SG_NS0_5tupleIJPjSI_NS0_16reverse_iteratorISI_EEEEENSH_IJSG_SG_SG_EEES9_SI_JZNS1_25segmented_radix_sort_implINS0_14default_configELb1EPKiPiPKlPlN2at6native12_GLOBAL__N_18offset_tEEE10hipError_tPvRmT1_PNSt15iterator_traitsIS12_E10value_typeET2_T3_PNS13_IS18_E10value_typeET4_jRbjT5_S1E_jjP12ihipStream_tbEUljE_ZNSN_ISO_Lb1ESQ_SR_ST_SU_SY_EESZ_S10_S11_S12_S16_S17_S18_S1B_S1C_jS1D_jS1E_S1E_jjS1G_bEUljE0_EEESZ_S10_S11_S18_S1C_S1E_T6_T7_T9_mT8_S1G_bDpT10_ENKUlT_T0_E_clISt17integral_constantIbLb1EES1T_IbLb0EEEEDaS1P_S1Q_EUlS1P_E_NS1_11comp_targetILNS1_3genE5ELNS1_11target_archE942ELNS1_3gpuE9ELNS1_3repE0EEENS1_30default_config_static_selectorELNS0_4arch9wavefront6targetE1EEEvS12_.numbered_sgpr, 0
	.set _ZN7rocprim17ROCPRIM_400000_NS6detail17trampoline_kernelINS0_13select_configILj256ELj13ELNS0_17block_load_methodE3ELS4_3ELS4_3ELNS0_20block_scan_algorithmE0ELj4294967295EEENS1_25partition_config_selectorILNS1_17partition_subalgoE4EjNS0_10empty_typeEbEEZZNS1_14partition_implILS8_4ELb0ES6_15HIP_vector_typeIjLj2EENS0_17counting_iteratorIjlEEPS9_SG_NS0_5tupleIJPjSI_NS0_16reverse_iteratorISI_EEEEENSH_IJSG_SG_SG_EEES9_SI_JZNS1_25segmented_radix_sort_implINS0_14default_configELb1EPKiPiPKlPlN2at6native12_GLOBAL__N_18offset_tEEE10hipError_tPvRmT1_PNSt15iterator_traitsIS12_E10value_typeET2_T3_PNS13_IS18_E10value_typeET4_jRbjT5_S1E_jjP12ihipStream_tbEUljE_ZNSN_ISO_Lb1ESQ_SR_ST_SU_SY_EESZ_S10_S11_S12_S16_S17_S18_S1B_S1C_jS1D_jS1E_S1E_jjS1G_bEUljE0_EEESZ_S10_S11_S18_S1C_S1E_T6_T7_T9_mT8_S1G_bDpT10_ENKUlT_T0_E_clISt17integral_constantIbLb1EES1T_IbLb0EEEEDaS1P_S1Q_EUlS1P_E_NS1_11comp_targetILNS1_3genE5ELNS1_11target_archE942ELNS1_3gpuE9ELNS1_3repE0EEENS1_30default_config_static_selectorELNS0_4arch9wavefront6targetE1EEEvS12_.num_named_barrier, 0
	.set _ZN7rocprim17ROCPRIM_400000_NS6detail17trampoline_kernelINS0_13select_configILj256ELj13ELNS0_17block_load_methodE3ELS4_3ELS4_3ELNS0_20block_scan_algorithmE0ELj4294967295EEENS1_25partition_config_selectorILNS1_17partition_subalgoE4EjNS0_10empty_typeEbEEZZNS1_14partition_implILS8_4ELb0ES6_15HIP_vector_typeIjLj2EENS0_17counting_iteratorIjlEEPS9_SG_NS0_5tupleIJPjSI_NS0_16reverse_iteratorISI_EEEEENSH_IJSG_SG_SG_EEES9_SI_JZNS1_25segmented_radix_sort_implINS0_14default_configELb1EPKiPiPKlPlN2at6native12_GLOBAL__N_18offset_tEEE10hipError_tPvRmT1_PNSt15iterator_traitsIS12_E10value_typeET2_T3_PNS13_IS18_E10value_typeET4_jRbjT5_S1E_jjP12ihipStream_tbEUljE_ZNSN_ISO_Lb1ESQ_SR_ST_SU_SY_EESZ_S10_S11_S12_S16_S17_S18_S1B_S1C_jS1D_jS1E_S1E_jjS1G_bEUljE0_EEESZ_S10_S11_S18_S1C_S1E_T6_T7_T9_mT8_S1G_bDpT10_ENKUlT_T0_E_clISt17integral_constantIbLb1EES1T_IbLb0EEEEDaS1P_S1Q_EUlS1P_E_NS1_11comp_targetILNS1_3genE5ELNS1_11target_archE942ELNS1_3gpuE9ELNS1_3repE0EEENS1_30default_config_static_selectorELNS0_4arch9wavefront6targetE1EEEvS12_.private_seg_size, 0
	.set _ZN7rocprim17ROCPRIM_400000_NS6detail17trampoline_kernelINS0_13select_configILj256ELj13ELNS0_17block_load_methodE3ELS4_3ELS4_3ELNS0_20block_scan_algorithmE0ELj4294967295EEENS1_25partition_config_selectorILNS1_17partition_subalgoE4EjNS0_10empty_typeEbEEZZNS1_14partition_implILS8_4ELb0ES6_15HIP_vector_typeIjLj2EENS0_17counting_iteratorIjlEEPS9_SG_NS0_5tupleIJPjSI_NS0_16reverse_iteratorISI_EEEEENSH_IJSG_SG_SG_EEES9_SI_JZNS1_25segmented_radix_sort_implINS0_14default_configELb1EPKiPiPKlPlN2at6native12_GLOBAL__N_18offset_tEEE10hipError_tPvRmT1_PNSt15iterator_traitsIS12_E10value_typeET2_T3_PNS13_IS18_E10value_typeET4_jRbjT5_S1E_jjP12ihipStream_tbEUljE_ZNSN_ISO_Lb1ESQ_SR_ST_SU_SY_EESZ_S10_S11_S12_S16_S17_S18_S1B_S1C_jS1D_jS1E_S1E_jjS1G_bEUljE0_EEESZ_S10_S11_S18_S1C_S1E_T6_T7_T9_mT8_S1G_bDpT10_ENKUlT_T0_E_clISt17integral_constantIbLb1EES1T_IbLb0EEEEDaS1P_S1Q_EUlS1P_E_NS1_11comp_targetILNS1_3genE5ELNS1_11target_archE942ELNS1_3gpuE9ELNS1_3repE0EEENS1_30default_config_static_selectorELNS0_4arch9wavefront6targetE1EEEvS12_.uses_vcc, 0
	.set _ZN7rocprim17ROCPRIM_400000_NS6detail17trampoline_kernelINS0_13select_configILj256ELj13ELNS0_17block_load_methodE3ELS4_3ELS4_3ELNS0_20block_scan_algorithmE0ELj4294967295EEENS1_25partition_config_selectorILNS1_17partition_subalgoE4EjNS0_10empty_typeEbEEZZNS1_14partition_implILS8_4ELb0ES6_15HIP_vector_typeIjLj2EENS0_17counting_iteratorIjlEEPS9_SG_NS0_5tupleIJPjSI_NS0_16reverse_iteratorISI_EEEEENSH_IJSG_SG_SG_EEES9_SI_JZNS1_25segmented_radix_sort_implINS0_14default_configELb1EPKiPiPKlPlN2at6native12_GLOBAL__N_18offset_tEEE10hipError_tPvRmT1_PNSt15iterator_traitsIS12_E10value_typeET2_T3_PNS13_IS18_E10value_typeET4_jRbjT5_S1E_jjP12ihipStream_tbEUljE_ZNSN_ISO_Lb1ESQ_SR_ST_SU_SY_EESZ_S10_S11_S12_S16_S17_S18_S1B_S1C_jS1D_jS1E_S1E_jjS1G_bEUljE0_EEESZ_S10_S11_S18_S1C_S1E_T6_T7_T9_mT8_S1G_bDpT10_ENKUlT_T0_E_clISt17integral_constantIbLb1EES1T_IbLb0EEEEDaS1P_S1Q_EUlS1P_E_NS1_11comp_targetILNS1_3genE5ELNS1_11target_archE942ELNS1_3gpuE9ELNS1_3repE0EEENS1_30default_config_static_selectorELNS0_4arch9wavefront6targetE1EEEvS12_.uses_flat_scratch, 0
	.set _ZN7rocprim17ROCPRIM_400000_NS6detail17trampoline_kernelINS0_13select_configILj256ELj13ELNS0_17block_load_methodE3ELS4_3ELS4_3ELNS0_20block_scan_algorithmE0ELj4294967295EEENS1_25partition_config_selectorILNS1_17partition_subalgoE4EjNS0_10empty_typeEbEEZZNS1_14partition_implILS8_4ELb0ES6_15HIP_vector_typeIjLj2EENS0_17counting_iteratorIjlEEPS9_SG_NS0_5tupleIJPjSI_NS0_16reverse_iteratorISI_EEEEENSH_IJSG_SG_SG_EEES9_SI_JZNS1_25segmented_radix_sort_implINS0_14default_configELb1EPKiPiPKlPlN2at6native12_GLOBAL__N_18offset_tEEE10hipError_tPvRmT1_PNSt15iterator_traitsIS12_E10value_typeET2_T3_PNS13_IS18_E10value_typeET4_jRbjT5_S1E_jjP12ihipStream_tbEUljE_ZNSN_ISO_Lb1ESQ_SR_ST_SU_SY_EESZ_S10_S11_S12_S16_S17_S18_S1B_S1C_jS1D_jS1E_S1E_jjS1G_bEUljE0_EEESZ_S10_S11_S18_S1C_S1E_T6_T7_T9_mT8_S1G_bDpT10_ENKUlT_T0_E_clISt17integral_constantIbLb1EES1T_IbLb0EEEEDaS1P_S1Q_EUlS1P_E_NS1_11comp_targetILNS1_3genE5ELNS1_11target_archE942ELNS1_3gpuE9ELNS1_3repE0EEENS1_30default_config_static_selectorELNS0_4arch9wavefront6targetE1EEEvS12_.has_dyn_sized_stack, 0
	.set _ZN7rocprim17ROCPRIM_400000_NS6detail17trampoline_kernelINS0_13select_configILj256ELj13ELNS0_17block_load_methodE3ELS4_3ELS4_3ELNS0_20block_scan_algorithmE0ELj4294967295EEENS1_25partition_config_selectorILNS1_17partition_subalgoE4EjNS0_10empty_typeEbEEZZNS1_14partition_implILS8_4ELb0ES6_15HIP_vector_typeIjLj2EENS0_17counting_iteratorIjlEEPS9_SG_NS0_5tupleIJPjSI_NS0_16reverse_iteratorISI_EEEEENSH_IJSG_SG_SG_EEES9_SI_JZNS1_25segmented_radix_sort_implINS0_14default_configELb1EPKiPiPKlPlN2at6native12_GLOBAL__N_18offset_tEEE10hipError_tPvRmT1_PNSt15iterator_traitsIS12_E10value_typeET2_T3_PNS13_IS18_E10value_typeET4_jRbjT5_S1E_jjP12ihipStream_tbEUljE_ZNSN_ISO_Lb1ESQ_SR_ST_SU_SY_EESZ_S10_S11_S12_S16_S17_S18_S1B_S1C_jS1D_jS1E_S1E_jjS1G_bEUljE0_EEESZ_S10_S11_S18_S1C_S1E_T6_T7_T9_mT8_S1G_bDpT10_ENKUlT_T0_E_clISt17integral_constantIbLb1EES1T_IbLb0EEEEDaS1P_S1Q_EUlS1P_E_NS1_11comp_targetILNS1_3genE5ELNS1_11target_archE942ELNS1_3gpuE9ELNS1_3repE0EEENS1_30default_config_static_selectorELNS0_4arch9wavefront6targetE1EEEvS12_.has_recursion, 0
	.set _ZN7rocprim17ROCPRIM_400000_NS6detail17trampoline_kernelINS0_13select_configILj256ELj13ELNS0_17block_load_methodE3ELS4_3ELS4_3ELNS0_20block_scan_algorithmE0ELj4294967295EEENS1_25partition_config_selectorILNS1_17partition_subalgoE4EjNS0_10empty_typeEbEEZZNS1_14partition_implILS8_4ELb0ES6_15HIP_vector_typeIjLj2EENS0_17counting_iteratorIjlEEPS9_SG_NS0_5tupleIJPjSI_NS0_16reverse_iteratorISI_EEEEENSH_IJSG_SG_SG_EEES9_SI_JZNS1_25segmented_radix_sort_implINS0_14default_configELb1EPKiPiPKlPlN2at6native12_GLOBAL__N_18offset_tEEE10hipError_tPvRmT1_PNSt15iterator_traitsIS12_E10value_typeET2_T3_PNS13_IS18_E10value_typeET4_jRbjT5_S1E_jjP12ihipStream_tbEUljE_ZNSN_ISO_Lb1ESQ_SR_ST_SU_SY_EESZ_S10_S11_S12_S16_S17_S18_S1B_S1C_jS1D_jS1E_S1E_jjS1G_bEUljE0_EEESZ_S10_S11_S18_S1C_S1E_T6_T7_T9_mT8_S1G_bDpT10_ENKUlT_T0_E_clISt17integral_constantIbLb1EES1T_IbLb0EEEEDaS1P_S1Q_EUlS1P_E_NS1_11comp_targetILNS1_3genE5ELNS1_11target_archE942ELNS1_3gpuE9ELNS1_3repE0EEENS1_30default_config_static_selectorELNS0_4arch9wavefront6targetE1EEEvS12_.has_indirect_call, 0
	.section	.AMDGPU.csdata,"",@progbits
; Kernel info:
; codeLenInByte = 0
; TotalNumSgprs: 4
; NumVgprs: 0
; ScratchSize: 0
; MemoryBound: 0
; FloatMode: 240
; IeeeMode: 1
; LDSByteSize: 0 bytes/workgroup (compile time only)
; SGPRBlocks: 0
; VGPRBlocks: 0
; NumSGPRsForWavesPerEU: 4
; NumVGPRsForWavesPerEU: 1
; Occupancy: 10
; WaveLimiterHint : 0
; COMPUTE_PGM_RSRC2:SCRATCH_EN: 0
; COMPUTE_PGM_RSRC2:USER_SGPR: 6
; COMPUTE_PGM_RSRC2:TRAP_HANDLER: 0
; COMPUTE_PGM_RSRC2:TGID_X_EN: 1
; COMPUTE_PGM_RSRC2:TGID_Y_EN: 0
; COMPUTE_PGM_RSRC2:TGID_Z_EN: 0
; COMPUTE_PGM_RSRC2:TIDIG_COMP_CNT: 0
	.section	.text._ZN7rocprim17ROCPRIM_400000_NS6detail17trampoline_kernelINS0_13select_configILj256ELj13ELNS0_17block_load_methodE3ELS4_3ELS4_3ELNS0_20block_scan_algorithmE0ELj4294967295EEENS1_25partition_config_selectorILNS1_17partition_subalgoE4EjNS0_10empty_typeEbEEZZNS1_14partition_implILS8_4ELb0ES6_15HIP_vector_typeIjLj2EENS0_17counting_iteratorIjlEEPS9_SG_NS0_5tupleIJPjSI_NS0_16reverse_iteratorISI_EEEEENSH_IJSG_SG_SG_EEES9_SI_JZNS1_25segmented_radix_sort_implINS0_14default_configELb1EPKiPiPKlPlN2at6native12_GLOBAL__N_18offset_tEEE10hipError_tPvRmT1_PNSt15iterator_traitsIS12_E10value_typeET2_T3_PNS13_IS18_E10value_typeET4_jRbjT5_S1E_jjP12ihipStream_tbEUljE_ZNSN_ISO_Lb1ESQ_SR_ST_SU_SY_EESZ_S10_S11_S12_S16_S17_S18_S1B_S1C_jS1D_jS1E_S1E_jjS1G_bEUljE0_EEESZ_S10_S11_S18_S1C_S1E_T6_T7_T9_mT8_S1G_bDpT10_ENKUlT_T0_E_clISt17integral_constantIbLb1EES1T_IbLb0EEEEDaS1P_S1Q_EUlS1P_E_NS1_11comp_targetILNS1_3genE4ELNS1_11target_archE910ELNS1_3gpuE8ELNS1_3repE0EEENS1_30default_config_static_selectorELNS0_4arch9wavefront6targetE1EEEvS12_,"axG",@progbits,_ZN7rocprim17ROCPRIM_400000_NS6detail17trampoline_kernelINS0_13select_configILj256ELj13ELNS0_17block_load_methodE3ELS4_3ELS4_3ELNS0_20block_scan_algorithmE0ELj4294967295EEENS1_25partition_config_selectorILNS1_17partition_subalgoE4EjNS0_10empty_typeEbEEZZNS1_14partition_implILS8_4ELb0ES6_15HIP_vector_typeIjLj2EENS0_17counting_iteratorIjlEEPS9_SG_NS0_5tupleIJPjSI_NS0_16reverse_iteratorISI_EEEEENSH_IJSG_SG_SG_EEES9_SI_JZNS1_25segmented_radix_sort_implINS0_14default_configELb1EPKiPiPKlPlN2at6native12_GLOBAL__N_18offset_tEEE10hipError_tPvRmT1_PNSt15iterator_traitsIS12_E10value_typeET2_T3_PNS13_IS18_E10value_typeET4_jRbjT5_S1E_jjP12ihipStream_tbEUljE_ZNSN_ISO_Lb1ESQ_SR_ST_SU_SY_EESZ_S10_S11_S12_S16_S17_S18_S1B_S1C_jS1D_jS1E_S1E_jjS1G_bEUljE0_EEESZ_S10_S11_S18_S1C_S1E_T6_T7_T9_mT8_S1G_bDpT10_ENKUlT_T0_E_clISt17integral_constantIbLb1EES1T_IbLb0EEEEDaS1P_S1Q_EUlS1P_E_NS1_11comp_targetILNS1_3genE4ELNS1_11target_archE910ELNS1_3gpuE8ELNS1_3repE0EEENS1_30default_config_static_selectorELNS0_4arch9wavefront6targetE1EEEvS12_,comdat
	.globl	_ZN7rocprim17ROCPRIM_400000_NS6detail17trampoline_kernelINS0_13select_configILj256ELj13ELNS0_17block_load_methodE3ELS4_3ELS4_3ELNS0_20block_scan_algorithmE0ELj4294967295EEENS1_25partition_config_selectorILNS1_17partition_subalgoE4EjNS0_10empty_typeEbEEZZNS1_14partition_implILS8_4ELb0ES6_15HIP_vector_typeIjLj2EENS0_17counting_iteratorIjlEEPS9_SG_NS0_5tupleIJPjSI_NS0_16reverse_iteratorISI_EEEEENSH_IJSG_SG_SG_EEES9_SI_JZNS1_25segmented_radix_sort_implINS0_14default_configELb1EPKiPiPKlPlN2at6native12_GLOBAL__N_18offset_tEEE10hipError_tPvRmT1_PNSt15iterator_traitsIS12_E10value_typeET2_T3_PNS13_IS18_E10value_typeET4_jRbjT5_S1E_jjP12ihipStream_tbEUljE_ZNSN_ISO_Lb1ESQ_SR_ST_SU_SY_EESZ_S10_S11_S12_S16_S17_S18_S1B_S1C_jS1D_jS1E_S1E_jjS1G_bEUljE0_EEESZ_S10_S11_S18_S1C_S1E_T6_T7_T9_mT8_S1G_bDpT10_ENKUlT_T0_E_clISt17integral_constantIbLb1EES1T_IbLb0EEEEDaS1P_S1Q_EUlS1P_E_NS1_11comp_targetILNS1_3genE4ELNS1_11target_archE910ELNS1_3gpuE8ELNS1_3repE0EEENS1_30default_config_static_selectorELNS0_4arch9wavefront6targetE1EEEvS12_ ; -- Begin function _ZN7rocprim17ROCPRIM_400000_NS6detail17trampoline_kernelINS0_13select_configILj256ELj13ELNS0_17block_load_methodE3ELS4_3ELS4_3ELNS0_20block_scan_algorithmE0ELj4294967295EEENS1_25partition_config_selectorILNS1_17partition_subalgoE4EjNS0_10empty_typeEbEEZZNS1_14partition_implILS8_4ELb0ES6_15HIP_vector_typeIjLj2EENS0_17counting_iteratorIjlEEPS9_SG_NS0_5tupleIJPjSI_NS0_16reverse_iteratorISI_EEEEENSH_IJSG_SG_SG_EEES9_SI_JZNS1_25segmented_radix_sort_implINS0_14default_configELb1EPKiPiPKlPlN2at6native12_GLOBAL__N_18offset_tEEE10hipError_tPvRmT1_PNSt15iterator_traitsIS12_E10value_typeET2_T3_PNS13_IS18_E10value_typeET4_jRbjT5_S1E_jjP12ihipStream_tbEUljE_ZNSN_ISO_Lb1ESQ_SR_ST_SU_SY_EESZ_S10_S11_S12_S16_S17_S18_S1B_S1C_jS1D_jS1E_S1E_jjS1G_bEUljE0_EEESZ_S10_S11_S18_S1C_S1E_T6_T7_T9_mT8_S1G_bDpT10_ENKUlT_T0_E_clISt17integral_constantIbLb1EES1T_IbLb0EEEEDaS1P_S1Q_EUlS1P_E_NS1_11comp_targetILNS1_3genE4ELNS1_11target_archE910ELNS1_3gpuE8ELNS1_3repE0EEENS1_30default_config_static_selectorELNS0_4arch9wavefront6targetE1EEEvS12_
	.p2align	8
	.type	_ZN7rocprim17ROCPRIM_400000_NS6detail17trampoline_kernelINS0_13select_configILj256ELj13ELNS0_17block_load_methodE3ELS4_3ELS4_3ELNS0_20block_scan_algorithmE0ELj4294967295EEENS1_25partition_config_selectorILNS1_17partition_subalgoE4EjNS0_10empty_typeEbEEZZNS1_14partition_implILS8_4ELb0ES6_15HIP_vector_typeIjLj2EENS0_17counting_iteratorIjlEEPS9_SG_NS0_5tupleIJPjSI_NS0_16reverse_iteratorISI_EEEEENSH_IJSG_SG_SG_EEES9_SI_JZNS1_25segmented_radix_sort_implINS0_14default_configELb1EPKiPiPKlPlN2at6native12_GLOBAL__N_18offset_tEEE10hipError_tPvRmT1_PNSt15iterator_traitsIS12_E10value_typeET2_T3_PNS13_IS18_E10value_typeET4_jRbjT5_S1E_jjP12ihipStream_tbEUljE_ZNSN_ISO_Lb1ESQ_SR_ST_SU_SY_EESZ_S10_S11_S12_S16_S17_S18_S1B_S1C_jS1D_jS1E_S1E_jjS1G_bEUljE0_EEESZ_S10_S11_S18_S1C_S1E_T6_T7_T9_mT8_S1G_bDpT10_ENKUlT_T0_E_clISt17integral_constantIbLb1EES1T_IbLb0EEEEDaS1P_S1Q_EUlS1P_E_NS1_11comp_targetILNS1_3genE4ELNS1_11target_archE910ELNS1_3gpuE8ELNS1_3repE0EEENS1_30default_config_static_selectorELNS0_4arch9wavefront6targetE1EEEvS12_,@function
_ZN7rocprim17ROCPRIM_400000_NS6detail17trampoline_kernelINS0_13select_configILj256ELj13ELNS0_17block_load_methodE3ELS4_3ELS4_3ELNS0_20block_scan_algorithmE0ELj4294967295EEENS1_25partition_config_selectorILNS1_17partition_subalgoE4EjNS0_10empty_typeEbEEZZNS1_14partition_implILS8_4ELb0ES6_15HIP_vector_typeIjLj2EENS0_17counting_iteratorIjlEEPS9_SG_NS0_5tupleIJPjSI_NS0_16reverse_iteratorISI_EEEEENSH_IJSG_SG_SG_EEES9_SI_JZNS1_25segmented_radix_sort_implINS0_14default_configELb1EPKiPiPKlPlN2at6native12_GLOBAL__N_18offset_tEEE10hipError_tPvRmT1_PNSt15iterator_traitsIS12_E10value_typeET2_T3_PNS13_IS18_E10value_typeET4_jRbjT5_S1E_jjP12ihipStream_tbEUljE_ZNSN_ISO_Lb1ESQ_SR_ST_SU_SY_EESZ_S10_S11_S12_S16_S17_S18_S1B_S1C_jS1D_jS1E_S1E_jjS1G_bEUljE0_EEESZ_S10_S11_S18_S1C_S1E_T6_T7_T9_mT8_S1G_bDpT10_ENKUlT_T0_E_clISt17integral_constantIbLb1EES1T_IbLb0EEEEDaS1P_S1Q_EUlS1P_E_NS1_11comp_targetILNS1_3genE4ELNS1_11target_archE910ELNS1_3gpuE8ELNS1_3repE0EEENS1_30default_config_static_selectorELNS0_4arch9wavefront6targetE1EEEvS12_: ; @_ZN7rocprim17ROCPRIM_400000_NS6detail17trampoline_kernelINS0_13select_configILj256ELj13ELNS0_17block_load_methodE3ELS4_3ELS4_3ELNS0_20block_scan_algorithmE0ELj4294967295EEENS1_25partition_config_selectorILNS1_17partition_subalgoE4EjNS0_10empty_typeEbEEZZNS1_14partition_implILS8_4ELb0ES6_15HIP_vector_typeIjLj2EENS0_17counting_iteratorIjlEEPS9_SG_NS0_5tupleIJPjSI_NS0_16reverse_iteratorISI_EEEEENSH_IJSG_SG_SG_EEES9_SI_JZNS1_25segmented_radix_sort_implINS0_14default_configELb1EPKiPiPKlPlN2at6native12_GLOBAL__N_18offset_tEEE10hipError_tPvRmT1_PNSt15iterator_traitsIS12_E10value_typeET2_T3_PNS13_IS18_E10value_typeET4_jRbjT5_S1E_jjP12ihipStream_tbEUljE_ZNSN_ISO_Lb1ESQ_SR_ST_SU_SY_EESZ_S10_S11_S12_S16_S17_S18_S1B_S1C_jS1D_jS1E_S1E_jjS1G_bEUljE0_EEESZ_S10_S11_S18_S1C_S1E_T6_T7_T9_mT8_S1G_bDpT10_ENKUlT_T0_E_clISt17integral_constantIbLb1EES1T_IbLb0EEEEDaS1P_S1Q_EUlS1P_E_NS1_11comp_targetILNS1_3genE4ELNS1_11target_archE910ELNS1_3gpuE8ELNS1_3repE0EEENS1_30default_config_static_selectorELNS0_4arch9wavefront6targetE1EEEvS12_
; %bb.0:
	.section	.rodata,"a",@progbits
	.p2align	6, 0x0
	.amdhsa_kernel _ZN7rocprim17ROCPRIM_400000_NS6detail17trampoline_kernelINS0_13select_configILj256ELj13ELNS0_17block_load_methodE3ELS4_3ELS4_3ELNS0_20block_scan_algorithmE0ELj4294967295EEENS1_25partition_config_selectorILNS1_17partition_subalgoE4EjNS0_10empty_typeEbEEZZNS1_14partition_implILS8_4ELb0ES6_15HIP_vector_typeIjLj2EENS0_17counting_iteratorIjlEEPS9_SG_NS0_5tupleIJPjSI_NS0_16reverse_iteratorISI_EEEEENSH_IJSG_SG_SG_EEES9_SI_JZNS1_25segmented_radix_sort_implINS0_14default_configELb1EPKiPiPKlPlN2at6native12_GLOBAL__N_18offset_tEEE10hipError_tPvRmT1_PNSt15iterator_traitsIS12_E10value_typeET2_T3_PNS13_IS18_E10value_typeET4_jRbjT5_S1E_jjP12ihipStream_tbEUljE_ZNSN_ISO_Lb1ESQ_SR_ST_SU_SY_EESZ_S10_S11_S12_S16_S17_S18_S1B_S1C_jS1D_jS1E_S1E_jjS1G_bEUljE0_EEESZ_S10_S11_S18_S1C_S1E_T6_T7_T9_mT8_S1G_bDpT10_ENKUlT_T0_E_clISt17integral_constantIbLb1EES1T_IbLb0EEEEDaS1P_S1Q_EUlS1P_E_NS1_11comp_targetILNS1_3genE4ELNS1_11target_archE910ELNS1_3gpuE8ELNS1_3repE0EEENS1_30default_config_static_selectorELNS0_4arch9wavefront6targetE1EEEvS12_
		.amdhsa_group_segment_fixed_size 0
		.amdhsa_private_segment_fixed_size 0
		.amdhsa_kernarg_size 176
		.amdhsa_user_sgpr_count 6
		.amdhsa_user_sgpr_private_segment_buffer 1
		.amdhsa_user_sgpr_dispatch_ptr 0
		.amdhsa_user_sgpr_queue_ptr 0
		.amdhsa_user_sgpr_kernarg_segment_ptr 1
		.amdhsa_user_sgpr_dispatch_id 0
		.amdhsa_user_sgpr_flat_scratch_init 0
		.amdhsa_user_sgpr_private_segment_size 0
		.amdhsa_uses_dynamic_stack 0
		.amdhsa_system_sgpr_private_segment_wavefront_offset 0
		.amdhsa_system_sgpr_workgroup_id_x 1
		.amdhsa_system_sgpr_workgroup_id_y 0
		.amdhsa_system_sgpr_workgroup_id_z 0
		.amdhsa_system_sgpr_workgroup_info 0
		.amdhsa_system_vgpr_workitem_id 0
		.amdhsa_next_free_vgpr 1
		.amdhsa_next_free_sgpr 0
		.amdhsa_reserve_vcc 0
		.amdhsa_reserve_flat_scratch 0
		.amdhsa_float_round_mode_32 0
		.amdhsa_float_round_mode_16_64 0
		.amdhsa_float_denorm_mode_32 3
		.amdhsa_float_denorm_mode_16_64 3
		.amdhsa_dx10_clamp 1
		.amdhsa_ieee_mode 1
		.amdhsa_fp16_overflow 0
		.amdhsa_exception_fp_ieee_invalid_op 0
		.amdhsa_exception_fp_denorm_src 0
		.amdhsa_exception_fp_ieee_div_zero 0
		.amdhsa_exception_fp_ieee_overflow 0
		.amdhsa_exception_fp_ieee_underflow 0
		.amdhsa_exception_fp_ieee_inexact 0
		.amdhsa_exception_int_div_zero 0
	.end_amdhsa_kernel
	.section	.text._ZN7rocprim17ROCPRIM_400000_NS6detail17trampoline_kernelINS0_13select_configILj256ELj13ELNS0_17block_load_methodE3ELS4_3ELS4_3ELNS0_20block_scan_algorithmE0ELj4294967295EEENS1_25partition_config_selectorILNS1_17partition_subalgoE4EjNS0_10empty_typeEbEEZZNS1_14partition_implILS8_4ELb0ES6_15HIP_vector_typeIjLj2EENS0_17counting_iteratorIjlEEPS9_SG_NS0_5tupleIJPjSI_NS0_16reverse_iteratorISI_EEEEENSH_IJSG_SG_SG_EEES9_SI_JZNS1_25segmented_radix_sort_implINS0_14default_configELb1EPKiPiPKlPlN2at6native12_GLOBAL__N_18offset_tEEE10hipError_tPvRmT1_PNSt15iterator_traitsIS12_E10value_typeET2_T3_PNS13_IS18_E10value_typeET4_jRbjT5_S1E_jjP12ihipStream_tbEUljE_ZNSN_ISO_Lb1ESQ_SR_ST_SU_SY_EESZ_S10_S11_S12_S16_S17_S18_S1B_S1C_jS1D_jS1E_S1E_jjS1G_bEUljE0_EEESZ_S10_S11_S18_S1C_S1E_T6_T7_T9_mT8_S1G_bDpT10_ENKUlT_T0_E_clISt17integral_constantIbLb1EES1T_IbLb0EEEEDaS1P_S1Q_EUlS1P_E_NS1_11comp_targetILNS1_3genE4ELNS1_11target_archE910ELNS1_3gpuE8ELNS1_3repE0EEENS1_30default_config_static_selectorELNS0_4arch9wavefront6targetE1EEEvS12_,"axG",@progbits,_ZN7rocprim17ROCPRIM_400000_NS6detail17trampoline_kernelINS0_13select_configILj256ELj13ELNS0_17block_load_methodE3ELS4_3ELS4_3ELNS0_20block_scan_algorithmE0ELj4294967295EEENS1_25partition_config_selectorILNS1_17partition_subalgoE4EjNS0_10empty_typeEbEEZZNS1_14partition_implILS8_4ELb0ES6_15HIP_vector_typeIjLj2EENS0_17counting_iteratorIjlEEPS9_SG_NS0_5tupleIJPjSI_NS0_16reverse_iteratorISI_EEEEENSH_IJSG_SG_SG_EEES9_SI_JZNS1_25segmented_radix_sort_implINS0_14default_configELb1EPKiPiPKlPlN2at6native12_GLOBAL__N_18offset_tEEE10hipError_tPvRmT1_PNSt15iterator_traitsIS12_E10value_typeET2_T3_PNS13_IS18_E10value_typeET4_jRbjT5_S1E_jjP12ihipStream_tbEUljE_ZNSN_ISO_Lb1ESQ_SR_ST_SU_SY_EESZ_S10_S11_S12_S16_S17_S18_S1B_S1C_jS1D_jS1E_S1E_jjS1G_bEUljE0_EEESZ_S10_S11_S18_S1C_S1E_T6_T7_T9_mT8_S1G_bDpT10_ENKUlT_T0_E_clISt17integral_constantIbLb1EES1T_IbLb0EEEEDaS1P_S1Q_EUlS1P_E_NS1_11comp_targetILNS1_3genE4ELNS1_11target_archE910ELNS1_3gpuE8ELNS1_3repE0EEENS1_30default_config_static_selectorELNS0_4arch9wavefront6targetE1EEEvS12_,comdat
.Lfunc_end451:
	.size	_ZN7rocprim17ROCPRIM_400000_NS6detail17trampoline_kernelINS0_13select_configILj256ELj13ELNS0_17block_load_methodE3ELS4_3ELS4_3ELNS0_20block_scan_algorithmE0ELj4294967295EEENS1_25partition_config_selectorILNS1_17partition_subalgoE4EjNS0_10empty_typeEbEEZZNS1_14partition_implILS8_4ELb0ES6_15HIP_vector_typeIjLj2EENS0_17counting_iteratorIjlEEPS9_SG_NS0_5tupleIJPjSI_NS0_16reverse_iteratorISI_EEEEENSH_IJSG_SG_SG_EEES9_SI_JZNS1_25segmented_radix_sort_implINS0_14default_configELb1EPKiPiPKlPlN2at6native12_GLOBAL__N_18offset_tEEE10hipError_tPvRmT1_PNSt15iterator_traitsIS12_E10value_typeET2_T3_PNS13_IS18_E10value_typeET4_jRbjT5_S1E_jjP12ihipStream_tbEUljE_ZNSN_ISO_Lb1ESQ_SR_ST_SU_SY_EESZ_S10_S11_S12_S16_S17_S18_S1B_S1C_jS1D_jS1E_S1E_jjS1G_bEUljE0_EEESZ_S10_S11_S18_S1C_S1E_T6_T7_T9_mT8_S1G_bDpT10_ENKUlT_T0_E_clISt17integral_constantIbLb1EES1T_IbLb0EEEEDaS1P_S1Q_EUlS1P_E_NS1_11comp_targetILNS1_3genE4ELNS1_11target_archE910ELNS1_3gpuE8ELNS1_3repE0EEENS1_30default_config_static_selectorELNS0_4arch9wavefront6targetE1EEEvS12_, .Lfunc_end451-_ZN7rocprim17ROCPRIM_400000_NS6detail17trampoline_kernelINS0_13select_configILj256ELj13ELNS0_17block_load_methodE3ELS4_3ELS4_3ELNS0_20block_scan_algorithmE0ELj4294967295EEENS1_25partition_config_selectorILNS1_17partition_subalgoE4EjNS0_10empty_typeEbEEZZNS1_14partition_implILS8_4ELb0ES6_15HIP_vector_typeIjLj2EENS0_17counting_iteratorIjlEEPS9_SG_NS0_5tupleIJPjSI_NS0_16reverse_iteratorISI_EEEEENSH_IJSG_SG_SG_EEES9_SI_JZNS1_25segmented_radix_sort_implINS0_14default_configELb1EPKiPiPKlPlN2at6native12_GLOBAL__N_18offset_tEEE10hipError_tPvRmT1_PNSt15iterator_traitsIS12_E10value_typeET2_T3_PNS13_IS18_E10value_typeET4_jRbjT5_S1E_jjP12ihipStream_tbEUljE_ZNSN_ISO_Lb1ESQ_SR_ST_SU_SY_EESZ_S10_S11_S12_S16_S17_S18_S1B_S1C_jS1D_jS1E_S1E_jjS1G_bEUljE0_EEESZ_S10_S11_S18_S1C_S1E_T6_T7_T9_mT8_S1G_bDpT10_ENKUlT_T0_E_clISt17integral_constantIbLb1EES1T_IbLb0EEEEDaS1P_S1Q_EUlS1P_E_NS1_11comp_targetILNS1_3genE4ELNS1_11target_archE910ELNS1_3gpuE8ELNS1_3repE0EEENS1_30default_config_static_selectorELNS0_4arch9wavefront6targetE1EEEvS12_
                                        ; -- End function
	.set _ZN7rocprim17ROCPRIM_400000_NS6detail17trampoline_kernelINS0_13select_configILj256ELj13ELNS0_17block_load_methodE3ELS4_3ELS4_3ELNS0_20block_scan_algorithmE0ELj4294967295EEENS1_25partition_config_selectorILNS1_17partition_subalgoE4EjNS0_10empty_typeEbEEZZNS1_14partition_implILS8_4ELb0ES6_15HIP_vector_typeIjLj2EENS0_17counting_iteratorIjlEEPS9_SG_NS0_5tupleIJPjSI_NS0_16reverse_iteratorISI_EEEEENSH_IJSG_SG_SG_EEES9_SI_JZNS1_25segmented_radix_sort_implINS0_14default_configELb1EPKiPiPKlPlN2at6native12_GLOBAL__N_18offset_tEEE10hipError_tPvRmT1_PNSt15iterator_traitsIS12_E10value_typeET2_T3_PNS13_IS18_E10value_typeET4_jRbjT5_S1E_jjP12ihipStream_tbEUljE_ZNSN_ISO_Lb1ESQ_SR_ST_SU_SY_EESZ_S10_S11_S12_S16_S17_S18_S1B_S1C_jS1D_jS1E_S1E_jjS1G_bEUljE0_EEESZ_S10_S11_S18_S1C_S1E_T6_T7_T9_mT8_S1G_bDpT10_ENKUlT_T0_E_clISt17integral_constantIbLb1EES1T_IbLb0EEEEDaS1P_S1Q_EUlS1P_E_NS1_11comp_targetILNS1_3genE4ELNS1_11target_archE910ELNS1_3gpuE8ELNS1_3repE0EEENS1_30default_config_static_selectorELNS0_4arch9wavefront6targetE1EEEvS12_.num_vgpr, 0
	.set _ZN7rocprim17ROCPRIM_400000_NS6detail17trampoline_kernelINS0_13select_configILj256ELj13ELNS0_17block_load_methodE3ELS4_3ELS4_3ELNS0_20block_scan_algorithmE0ELj4294967295EEENS1_25partition_config_selectorILNS1_17partition_subalgoE4EjNS0_10empty_typeEbEEZZNS1_14partition_implILS8_4ELb0ES6_15HIP_vector_typeIjLj2EENS0_17counting_iteratorIjlEEPS9_SG_NS0_5tupleIJPjSI_NS0_16reverse_iteratorISI_EEEEENSH_IJSG_SG_SG_EEES9_SI_JZNS1_25segmented_radix_sort_implINS0_14default_configELb1EPKiPiPKlPlN2at6native12_GLOBAL__N_18offset_tEEE10hipError_tPvRmT1_PNSt15iterator_traitsIS12_E10value_typeET2_T3_PNS13_IS18_E10value_typeET4_jRbjT5_S1E_jjP12ihipStream_tbEUljE_ZNSN_ISO_Lb1ESQ_SR_ST_SU_SY_EESZ_S10_S11_S12_S16_S17_S18_S1B_S1C_jS1D_jS1E_S1E_jjS1G_bEUljE0_EEESZ_S10_S11_S18_S1C_S1E_T6_T7_T9_mT8_S1G_bDpT10_ENKUlT_T0_E_clISt17integral_constantIbLb1EES1T_IbLb0EEEEDaS1P_S1Q_EUlS1P_E_NS1_11comp_targetILNS1_3genE4ELNS1_11target_archE910ELNS1_3gpuE8ELNS1_3repE0EEENS1_30default_config_static_selectorELNS0_4arch9wavefront6targetE1EEEvS12_.num_agpr, 0
	.set _ZN7rocprim17ROCPRIM_400000_NS6detail17trampoline_kernelINS0_13select_configILj256ELj13ELNS0_17block_load_methodE3ELS4_3ELS4_3ELNS0_20block_scan_algorithmE0ELj4294967295EEENS1_25partition_config_selectorILNS1_17partition_subalgoE4EjNS0_10empty_typeEbEEZZNS1_14partition_implILS8_4ELb0ES6_15HIP_vector_typeIjLj2EENS0_17counting_iteratorIjlEEPS9_SG_NS0_5tupleIJPjSI_NS0_16reverse_iteratorISI_EEEEENSH_IJSG_SG_SG_EEES9_SI_JZNS1_25segmented_radix_sort_implINS0_14default_configELb1EPKiPiPKlPlN2at6native12_GLOBAL__N_18offset_tEEE10hipError_tPvRmT1_PNSt15iterator_traitsIS12_E10value_typeET2_T3_PNS13_IS18_E10value_typeET4_jRbjT5_S1E_jjP12ihipStream_tbEUljE_ZNSN_ISO_Lb1ESQ_SR_ST_SU_SY_EESZ_S10_S11_S12_S16_S17_S18_S1B_S1C_jS1D_jS1E_S1E_jjS1G_bEUljE0_EEESZ_S10_S11_S18_S1C_S1E_T6_T7_T9_mT8_S1G_bDpT10_ENKUlT_T0_E_clISt17integral_constantIbLb1EES1T_IbLb0EEEEDaS1P_S1Q_EUlS1P_E_NS1_11comp_targetILNS1_3genE4ELNS1_11target_archE910ELNS1_3gpuE8ELNS1_3repE0EEENS1_30default_config_static_selectorELNS0_4arch9wavefront6targetE1EEEvS12_.numbered_sgpr, 0
	.set _ZN7rocprim17ROCPRIM_400000_NS6detail17trampoline_kernelINS0_13select_configILj256ELj13ELNS0_17block_load_methodE3ELS4_3ELS4_3ELNS0_20block_scan_algorithmE0ELj4294967295EEENS1_25partition_config_selectorILNS1_17partition_subalgoE4EjNS0_10empty_typeEbEEZZNS1_14partition_implILS8_4ELb0ES6_15HIP_vector_typeIjLj2EENS0_17counting_iteratorIjlEEPS9_SG_NS0_5tupleIJPjSI_NS0_16reverse_iteratorISI_EEEEENSH_IJSG_SG_SG_EEES9_SI_JZNS1_25segmented_radix_sort_implINS0_14default_configELb1EPKiPiPKlPlN2at6native12_GLOBAL__N_18offset_tEEE10hipError_tPvRmT1_PNSt15iterator_traitsIS12_E10value_typeET2_T3_PNS13_IS18_E10value_typeET4_jRbjT5_S1E_jjP12ihipStream_tbEUljE_ZNSN_ISO_Lb1ESQ_SR_ST_SU_SY_EESZ_S10_S11_S12_S16_S17_S18_S1B_S1C_jS1D_jS1E_S1E_jjS1G_bEUljE0_EEESZ_S10_S11_S18_S1C_S1E_T6_T7_T9_mT8_S1G_bDpT10_ENKUlT_T0_E_clISt17integral_constantIbLb1EES1T_IbLb0EEEEDaS1P_S1Q_EUlS1P_E_NS1_11comp_targetILNS1_3genE4ELNS1_11target_archE910ELNS1_3gpuE8ELNS1_3repE0EEENS1_30default_config_static_selectorELNS0_4arch9wavefront6targetE1EEEvS12_.num_named_barrier, 0
	.set _ZN7rocprim17ROCPRIM_400000_NS6detail17trampoline_kernelINS0_13select_configILj256ELj13ELNS0_17block_load_methodE3ELS4_3ELS4_3ELNS0_20block_scan_algorithmE0ELj4294967295EEENS1_25partition_config_selectorILNS1_17partition_subalgoE4EjNS0_10empty_typeEbEEZZNS1_14partition_implILS8_4ELb0ES6_15HIP_vector_typeIjLj2EENS0_17counting_iteratorIjlEEPS9_SG_NS0_5tupleIJPjSI_NS0_16reverse_iteratorISI_EEEEENSH_IJSG_SG_SG_EEES9_SI_JZNS1_25segmented_radix_sort_implINS0_14default_configELb1EPKiPiPKlPlN2at6native12_GLOBAL__N_18offset_tEEE10hipError_tPvRmT1_PNSt15iterator_traitsIS12_E10value_typeET2_T3_PNS13_IS18_E10value_typeET4_jRbjT5_S1E_jjP12ihipStream_tbEUljE_ZNSN_ISO_Lb1ESQ_SR_ST_SU_SY_EESZ_S10_S11_S12_S16_S17_S18_S1B_S1C_jS1D_jS1E_S1E_jjS1G_bEUljE0_EEESZ_S10_S11_S18_S1C_S1E_T6_T7_T9_mT8_S1G_bDpT10_ENKUlT_T0_E_clISt17integral_constantIbLb1EES1T_IbLb0EEEEDaS1P_S1Q_EUlS1P_E_NS1_11comp_targetILNS1_3genE4ELNS1_11target_archE910ELNS1_3gpuE8ELNS1_3repE0EEENS1_30default_config_static_selectorELNS0_4arch9wavefront6targetE1EEEvS12_.private_seg_size, 0
	.set _ZN7rocprim17ROCPRIM_400000_NS6detail17trampoline_kernelINS0_13select_configILj256ELj13ELNS0_17block_load_methodE3ELS4_3ELS4_3ELNS0_20block_scan_algorithmE0ELj4294967295EEENS1_25partition_config_selectorILNS1_17partition_subalgoE4EjNS0_10empty_typeEbEEZZNS1_14partition_implILS8_4ELb0ES6_15HIP_vector_typeIjLj2EENS0_17counting_iteratorIjlEEPS9_SG_NS0_5tupleIJPjSI_NS0_16reverse_iteratorISI_EEEEENSH_IJSG_SG_SG_EEES9_SI_JZNS1_25segmented_radix_sort_implINS0_14default_configELb1EPKiPiPKlPlN2at6native12_GLOBAL__N_18offset_tEEE10hipError_tPvRmT1_PNSt15iterator_traitsIS12_E10value_typeET2_T3_PNS13_IS18_E10value_typeET4_jRbjT5_S1E_jjP12ihipStream_tbEUljE_ZNSN_ISO_Lb1ESQ_SR_ST_SU_SY_EESZ_S10_S11_S12_S16_S17_S18_S1B_S1C_jS1D_jS1E_S1E_jjS1G_bEUljE0_EEESZ_S10_S11_S18_S1C_S1E_T6_T7_T9_mT8_S1G_bDpT10_ENKUlT_T0_E_clISt17integral_constantIbLb1EES1T_IbLb0EEEEDaS1P_S1Q_EUlS1P_E_NS1_11comp_targetILNS1_3genE4ELNS1_11target_archE910ELNS1_3gpuE8ELNS1_3repE0EEENS1_30default_config_static_selectorELNS0_4arch9wavefront6targetE1EEEvS12_.uses_vcc, 0
	.set _ZN7rocprim17ROCPRIM_400000_NS6detail17trampoline_kernelINS0_13select_configILj256ELj13ELNS0_17block_load_methodE3ELS4_3ELS4_3ELNS0_20block_scan_algorithmE0ELj4294967295EEENS1_25partition_config_selectorILNS1_17partition_subalgoE4EjNS0_10empty_typeEbEEZZNS1_14partition_implILS8_4ELb0ES6_15HIP_vector_typeIjLj2EENS0_17counting_iteratorIjlEEPS9_SG_NS0_5tupleIJPjSI_NS0_16reverse_iteratorISI_EEEEENSH_IJSG_SG_SG_EEES9_SI_JZNS1_25segmented_radix_sort_implINS0_14default_configELb1EPKiPiPKlPlN2at6native12_GLOBAL__N_18offset_tEEE10hipError_tPvRmT1_PNSt15iterator_traitsIS12_E10value_typeET2_T3_PNS13_IS18_E10value_typeET4_jRbjT5_S1E_jjP12ihipStream_tbEUljE_ZNSN_ISO_Lb1ESQ_SR_ST_SU_SY_EESZ_S10_S11_S12_S16_S17_S18_S1B_S1C_jS1D_jS1E_S1E_jjS1G_bEUljE0_EEESZ_S10_S11_S18_S1C_S1E_T6_T7_T9_mT8_S1G_bDpT10_ENKUlT_T0_E_clISt17integral_constantIbLb1EES1T_IbLb0EEEEDaS1P_S1Q_EUlS1P_E_NS1_11comp_targetILNS1_3genE4ELNS1_11target_archE910ELNS1_3gpuE8ELNS1_3repE0EEENS1_30default_config_static_selectorELNS0_4arch9wavefront6targetE1EEEvS12_.uses_flat_scratch, 0
	.set _ZN7rocprim17ROCPRIM_400000_NS6detail17trampoline_kernelINS0_13select_configILj256ELj13ELNS0_17block_load_methodE3ELS4_3ELS4_3ELNS0_20block_scan_algorithmE0ELj4294967295EEENS1_25partition_config_selectorILNS1_17partition_subalgoE4EjNS0_10empty_typeEbEEZZNS1_14partition_implILS8_4ELb0ES6_15HIP_vector_typeIjLj2EENS0_17counting_iteratorIjlEEPS9_SG_NS0_5tupleIJPjSI_NS0_16reverse_iteratorISI_EEEEENSH_IJSG_SG_SG_EEES9_SI_JZNS1_25segmented_radix_sort_implINS0_14default_configELb1EPKiPiPKlPlN2at6native12_GLOBAL__N_18offset_tEEE10hipError_tPvRmT1_PNSt15iterator_traitsIS12_E10value_typeET2_T3_PNS13_IS18_E10value_typeET4_jRbjT5_S1E_jjP12ihipStream_tbEUljE_ZNSN_ISO_Lb1ESQ_SR_ST_SU_SY_EESZ_S10_S11_S12_S16_S17_S18_S1B_S1C_jS1D_jS1E_S1E_jjS1G_bEUljE0_EEESZ_S10_S11_S18_S1C_S1E_T6_T7_T9_mT8_S1G_bDpT10_ENKUlT_T0_E_clISt17integral_constantIbLb1EES1T_IbLb0EEEEDaS1P_S1Q_EUlS1P_E_NS1_11comp_targetILNS1_3genE4ELNS1_11target_archE910ELNS1_3gpuE8ELNS1_3repE0EEENS1_30default_config_static_selectorELNS0_4arch9wavefront6targetE1EEEvS12_.has_dyn_sized_stack, 0
	.set _ZN7rocprim17ROCPRIM_400000_NS6detail17trampoline_kernelINS0_13select_configILj256ELj13ELNS0_17block_load_methodE3ELS4_3ELS4_3ELNS0_20block_scan_algorithmE0ELj4294967295EEENS1_25partition_config_selectorILNS1_17partition_subalgoE4EjNS0_10empty_typeEbEEZZNS1_14partition_implILS8_4ELb0ES6_15HIP_vector_typeIjLj2EENS0_17counting_iteratorIjlEEPS9_SG_NS0_5tupleIJPjSI_NS0_16reverse_iteratorISI_EEEEENSH_IJSG_SG_SG_EEES9_SI_JZNS1_25segmented_radix_sort_implINS0_14default_configELb1EPKiPiPKlPlN2at6native12_GLOBAL__N_18offset_tEEE10hipError_tPvRmT1_PNSt15iterator_traitsIS12_E10value_typeET2_T3_PNS13_IS18_E10value_typeET4_jRbjT5_S1E_jjP12ihipStream_tbEUljE_ZNSN_ISO_Lb1ESQ_SR_ST_SU_SY_EESZ_S10_S11_S12_S16_S17_S18_S1B_S1C_jS1D_jS1E_S1E_jjS1G_bEUljE0_EEESZ_S10_S11_S18_S1C_S1E_T6_T7_T9_mT8_S1G_bDpT10_ENKUlT_T0_E_clISt17integral_constantIbLb1EES1T_IbLb0EEEEDaS1P_S1Q_EUlS1P_E_NS1_11comp_targetILNS1_3genE4ELNS1_11target_archE910ELNS1_3gpuE8ELNS1_3repE0EEENS1_30default_config_static_selectorELNS0_4arch9wavefront6targetE1EEEvS12_.has_recursion, 0
	.set _ZN7rocprim17ROCPRIM_400000_NS6detail17trampoline_kernelINS0_13select_configILj256ELj13ELNS0_17block_load_methodE3ELS4_3ELS4_3ELNS0_20block_scan_algorithmE0ELj4294967295EEENS1_25partition_config_selectorILNS1_17partition_subalgoE4EjNS0_10empty_typeEbEEZZNS1_14partition_implILS8_4ELb0ES6_15HIP_vector_typeIjLj2EENS0_17counting_iteratorIjlEEPS9_SG_NS0_5tupleIJPjSI_NS0_16reverse_iteratorISI_EEEEENSH_IJSG_SG_SG_EEES9_SI_JZNS1_25segmented_radix_sort_implINS0_14default_configELb1EPKiPiPKlPlN2at6native12_GLOBAL__N_18offset_tEEE10hipError_tPvRmT1_PNSt15iterator_traitsIS12_E10value_typeET2_T3_PNS13_IS18_E10value_typeET4_jRbjT5_S1E_jjP12ihipStream_tbEUljE_ZNSN_ISO_Lb1ESQ_SR_ST_SU_SY_EESZ_S10_S11_S12_S16_S17_S18_S1B_S1C_jS1D_jS1E_S1E_jjS1G_bEUljE0_EEESZ_S10_S11_S18_S1C_S1E_T6_T7_T9_mT8_S1G_bDpT10_ENKUlT_T0_E_clISt17integral_constantIbLb1EES1T_IbLb0EEEEDaS1P_S1Q_EUlS1P_E_NS1_11comp_targetILNS1_3genE4ELNS1_11target_archE910ELNS1_3gpuE8ELNS1_3repE0EEENS1_30default_config_static_selectorELNS0_4arch9wavefront6targetE1EEEvS12_.has_indirect_call, 0
	.section	.AMDGPU.csdata,"",@progbits
; Kernel info:
; codeLenInByte = 0
; TotalNumSgprs: 4
; NumVgprs: 0
; ScratchSize: 0
; MemoryBound: 0
; FloatMode: 240
; IeeeMode: 1
; LDSByteSize: 0 bytes/workgroup (compile time only)
; SGPRBlocks: 0
; VGPRBlocks: 0
; NumSGPRsForWavesPerEU: 4
; NumVGPRsForWavesPerEU: 1
; Occupancy: 10
; WaveLimiterHint : 0
; COMPUTE_PGM_RSRC2:SCRATCH_EN: 0
; COMPUTE_PGM_RSRC2:USER_SGPR: 6
; COMPUTE_PGM_RSRC2:TRAP_HANDLER: 0
; COMPUTE_PGM_RSRC2:TGID_X_EN: 1
; COMPUTE_PGM_RSRC2:TGID_Y_EN: 0
; COMPUTE_PGM_RSRC2:TGID_Z_EN: 0
; COMPUTE_PGM_RSRC2:TIDIG_COMP_CNT: 0
	.section	.text._ZN7rocprim17ROCPRIM_400000_NS6detail17trampoline_kernelINS0_13select_configILj256ELj13ELNS0_17block_load_methodE3ELS4_3ELS4_3ELNS0_20block_scan_algorithmE0ELj4294967295EEENS1_25partition_config_selectorILNS1_17partition_subalgoE4EjNS0_10empty_typeEbEEZZNS1_14partition_implILS8_4ELb0ES6_15HIP_vector_typeIjLj2EENS0_17counting_iteratorIjlEEPS9_SG_NS0_5tupleIJPjSI_NS0_16reverse_iteratorISI_EEEEENSH_IJSG_SG_SG_EEES9_SI_JZNS1_25segmented_radix_sort_implINS0_14default_configELb1EPKiPiPKlPlN2at6native12_GLOBAL__N_18offset_tEEE10hipError_tPvRmT1_PNSt15iterator_traitsIS12_E10value_typeET2_T3_PNS13_IS18_E10value_typeET4_jRbjT5_S1E_jjP12ihipStream_tbEUljE_ZNSN_ISO_Lb1ESQ_SR_ST_SU_SY_EESZ_S10_S11_S12_S16_S17_S18_S1B_S1C_jS1D_jS1E_S1E_jjS1G_bEUljE0_EEESZ_S10_S11_S18_S1C_S1E_T6_T7_T9_mT8_S1G_bDpT10_ENKUlT_T0_E_clISt17integral_constantIbLb1EES1T_IbLb0EEEEDaS1P_S1Q_EUlS1P_E_NS1_11comp_targetILNS1_3genE3ELNS1_11target_archE908ELNS1_3gpuE7ELNS1_3repE0EEENS1_30default_config_static_selectorELNS0_4arch9wavefront6targetE1EEEvS12_,"axG",@progbits,_ZN7rocprim17ROCPRIM_400000_NS6detail17trampoline_kernelINS0_13select_configILj256ELj13ELNS0_17block_load_methodE3ELS4_3ELS4_3ELNS0_20block_scan_algorithmE0ELj4294967295EEENS1_25partition_config_selectorILNS1_17partition_subalgoE4EjNS0_10empty_typeEbEEZZNS1_14partition_implILS8_4ELb0ES6_15HIP_vector_typeIjLj2EENS0_17counting_iteratorIjlEEPS9_SG_NS0_5tupleIJPjSI_NS0_16reverse_iteratorISI_EEEEENSH_IJSG_SG_SG_EEES9_SI_JZNS1_25segmented_radix_sort_implINS0_14default_configELb1EPKiPiPKlPlN2at6native12_GLOBAL__N_18offset_tEEE10hipError_tPvRmT1_PNSt15iterator_traitsIS12_E10value_typeET2_T3_PNS13_IS18_E10value_typeET4_jRbjT5_S1E_jjP12ihipStream_tbEUljE_ZNSN_ISO_Lb1ESQ_SR_ST_SU_SY_EESZ_S10_S11_S12_S16_S17_S18_S1B_S1C_jS1D_jS1E_S1E_jjS1G_bEUljE0_EEESZ_S10_S11_S18_S1C_S1E_T6_T7_T9_mT8_S1G_bDpT10_ENKUlT_T0_E_clISt17integral_constantIbLb1EES1T_IbLb0EEEEDaS1P_S1Q_EUlS1P_E_NS1_11comp_targetILNS1_3genE3ELNS1_11target_archE908ELNS1_3gpuE7ELNS1_3repE0EEENS1_30default_config_static_selectorELNS0_4arch9wavefront6targetE1EEEvS12_,comdat
	.globl	_ZN7rocprim17ROCPRIM_400000_NS6detail17trampoline_kernelINS0_13select_configILj256ELj13ELNS0_17block_load_methodE3ELS4_3ELS4_3ELNS0_20block_scan_algorithmE0ELj4294967295EEENS1_25partition_config_selectorILNS1_17partition_subalgoE4EjNS0_10empty_typeEbEEZZNS1_14partition_implILS8_4ELb0ES6_15HIP_vector_typeIjLj2EENS0_17counting_iteratorIjlEEPS9_SG_NS0_5tupleIJPjSI_NS0_16reverse_iteratorISI_EEEEENSH_IJSG_SG_SG_EEES9_SI_JZNS1_25segmented_radix_sort_implINS0_14default_configELb1EPKiPiPKlPlN2at6native12_GLOBAL__N_18offset_tEEE10hipError_tPvRmT1_PNSt15iterator_traitsIS12_E10value_typeET2_T3_PNS13_IS18_E10value_typeET4_jRbjT5_S1E_jjP12ihipStream_tbEUljE_ZNSN_ISO_Lb1ESQ_SR_ST_SU_SY_EESZ_S10_S11_S12_S16_S17_S18_S1B_S1C_jS1D_jS1E_S1E_jjS1G_bEUljE0_EEESZ_S10_S11_S18_S1C_S1E_T6_T7_T9_mT8_S1G_bDpT10_ENKUlT_T0_E_clISt17integral_constantIbLb1EES1T_IbLb0EEEEDaS1P_S1Q_EUlS1P_E_NS1_11comp_targetILNS1_3genE3ELNS1_11target_archE908ELNS1_3gpuE7ELNS1_3repE0EEENS1_30default_config_static_selectorELNS0_4arch9wavefront6targetE1EEEvS12_ ; -- Begin function _ZN7rocprim17ROCPRIM_400000_NS6detail17trampoline_kernelINS0_13select_configILj256ELj13ELNS0_17block_load_methodE3ELS4_3ELS4_3ELNS0_20block_scan_algorithmE0ELj4294967295EEENS1_25partition_config_selectorILNS1_17partition_subalgoE4EjNS0_10empty_typeEbEEZZNS1_14partition_implILS8_4ELb0ES6_15HIP_vector_typeIjLj2EENS0_17counting_iteratorIjlEEPS9_SG_NS0_5tupleIJPjSI_NS0_16reverse_iteratorISI_EEEEENSH_IJSG_SG_SG_EEES9_SI_JZNS1_25segmented_radix_sort_implINS0_14default_configELb1EPKiPiPKlPlN2at6native12_GLOBAL__N_18offset_tEEE10hipError_tPvRmT1_PNSt15iterator_traitsIS12_E10value_typeET2_T3_PNS13_IS18_E10value_typeET4_jRbjT5_S1E_jjP12ihipStream_tbEUljE_ZNSN_ISO_Lb1ESQ_SR_ST_SU_SY_EESZ_S10_S11_S12_S16_S17_S18_S1B_S1C_jS1D_jS1E_S1E_jjS1G_bEUljE0_EEESZ_S10_S11_S18_S1C_S1E_T6_T7_T9_mT8_S1G_bDpT10_ENKUlT_T0_E_clISt17integral_constantIbLb1EES1T_IbLb0EEEEDaS1P_S1Q_EUlS1P_E_NS1_11comp_targetILNS1_3genE3ELNS1_11target_archE908ELNS1_3gpuE7ELNS1_3repE0EEENS1_30default_config_static_selectorELNS0_4arch9wavefront6targetE1EEEvS12_
	.p2align	8
	.type	_ZN7rocprim17ROCPRIM_400000_NS6detail17trampoline_kernelINS0_13select_configILj256ELj13ELNS0_17block_load_methodE3ELS4_3ELS4_3ELNS0_20block_scan_algorithmE0ELj4294967295EEENS1_25partition_config_selectorILNS1_17partition_subalgoE4EjNS0_10empty_typeEbEEZZNS1_14partition_implILS8_4ELb0ES6_15HIP_vector_typeIjLj2EENS0_17counting_iteratorIjlEEPS9_SG_NS0_5tupleIJPjSI_NS0_16reverse_iteratorISI_EEEEENSH_IJSG_SG_SG_EEES9_SI_JZNS1_25segmented_radix_sort_implINS0_14default_configELb1EPKiPiPKlPlN2at6native12_GLOBAL__N_18offset_tEEE10hipError_tPvRmT1_PNSt15iterator_traitsIS12_E10value_typeET2_T3_PNS13_IS18_E10value_typeET4_jRbjT5_S1E_jjP12ihipStream_tbEUljE_ZNSN_ISO_Lb1ESQ_SR_ST_SU_SY_EESZ_S10_S11_S12_S16_S17_S18_S1B_S1C_jS1D_jS1E_S1E_jjS1G_bEUljE0_EEESZ_S10_S11_S18_S1C_S1E_T6_T7_T9_mT8_S1G_bDpT10_ENKUlT_T0_E_clISt17integral_constantIbLb1EES1T_IbLb0EEEEDaS1P_S1Q_EUlS1P_E_NS1_11comp_targetILNS1_3genE3ELNS1_11target_archE908ELNS1_3gpuE7ELNS1_3repE0EEENS1_30default_config_static_selectorELNS0_4arch9wavefront6targetE1EEEvS12_,@function
_ZN7rocprim17ROCPRIM_400000_NS6detail17trampoline_kernelINS0_13select_configILj256ELj13ELNS0_17block_load_methodE3ELS4_3ELS4_3ELNS0_20block_scan_algorithmE0ELj4294967295EEENS1_25partition_config_selectorILNS1_17partition_subalgoE4EjNS0_10empty_typeEbEEZZNS1_14partition_implILS8_4ELb0ES6_15HIP_vector_typeIjLj2EENS0_17counting_iteratorIjlEEPS9_SG_NS0_5tupleIJPjSI_NS0_16reverse_iteratorISI_EEEEENSH_IJSG_SG_SG_EEES9_SI_JZNS1_25segmented_radix_sort_implINS0_14default_configELb1EPKiPiPKlPlN2at6native12_GLOBAL__N_18offset_tEEE10hipError_tPvRmT1_PNSt15iterator_traitsIS12_E10value_typeET2_T3_PNS13_IS18_E10value_typeET4_jRbjT5_S1E_jjP12ihipStream_tbEUljE_ZNSN_ISO_Lb1ESQ_SR_ST_SU_SY_EESZ_S10_S11_S12_S16_S17_S18_S1B_S1C_jS1D_jS1E_S1E_jjS1G_bEUljE0_EEESZ_S10_S11_S18_S1C_S1E_T6_T7_T9_mT8_S1G_bDpT10_ENKUlT_T0_E_clISt17integral_constantIbLb1EES1T_IbLb0EEEEDaS1P_S1Q_EUlS1P_E_NS1_11comp_targetILNS1_3genE3ELNS1_11target_archE908ELNS1_3gpuE7ELNS1_3repE0EEENS1_30default_config_static_selectorELNS0_4arch9wavefront6targetE1EEEvS12_: ; @_ZN7rocprim17ROCPRIM_400000_NS6detail17trampoline_kernelINS0_13select_configILj256ELj13ELNS0_17block_load_methodE3ELS4_3ELS4_3ELNS0_20block_scan_algorithmE0ELj4294967295EEENS1_25partition_config_selectorILNS1_17partition_subalgoE4EjNS0_10empty_typeEbEEZZNS1_14partition_implILS8_4ELb0ES6_15HIP_vector_typeIjLj2EENS0_17counting_iteratorIjlEEPS9_SG_NS0_5tupleIJPjSI_NS0_16reverse_iteratorISI_EEEEENSH_IJSG_SG_SG_EEES9_SI_JZNS1_25segmented_radix_sort_implINS0_14default_configELb1EPKiPiPKlPlN2at6native12_GLOBAL__N_18offset_tEEE10hipError_tPvRmT1_PNSt15iterator_traitsIS12_E10value_typeET2_T3_PNS13_IS18_E10value_typeET4_jRbjT5_S1E_jjP12ihipStream_tbEUljE_ZNSN_ISO_Lb1ESQ_SR_ST_SU_SY_EESZ_S10_S11_S12_S16_S17_S18_S1B_S1C_jS1D_jS1E_S1E_jjS1G_bEUljE0_EEESZ_S10_S11_S18_S1C_S1E_T6_T7_T9_mT8_S1G_bDpT10_ENKUlT_T0_E_clISt17integral_constantIbLb1EES1T_IbLb0EEEEDaS1P_S1Q_EUlS1P_E_NS1_11comp_targetILNS1_3genE3ELNS1_11target_archE908ELNS1_3gpuE7ELNS1_3repE0EEENS1_30default_config_static_selectorELNS0_4arch9wavefront6targetE1EEEvS12_
; %bb.0:
	.section	.rodata,"a",@progbits
	.p2align	6, 0x0
	.amdhsa_kernel _ZN7rocprim17ROCPRIM_400000_NS6detail17trampoline_kernelINS0_13select_configILj256ELj13ELNS0_17block_load_methodE3ELS4_3ELS4_3ELNS0_20block_scan_algorithmE0ELj4294967295EEENS1_25partition_config_selectorILNS1_17partition_subalgoE4EjNS0_10empty_typeEbEEZZNS1_14partition_implILS8_4ELb0ES6_15HIP_vector_typeIjLj2EENS0_17counting_iteratorIjlEEPS9_SG_NS0_5tupleIJPjSI_NS0_16reverse_iteratorISI_EEEEENSH_IJSG_SG_SG_EEES9_SI_JZNS1_25segmented_radix_sort_implINS0_14default_configELb1EPKiPiPKlPlN2at6native12_GLOBAL__N_18offset_tEEE10hipError_tPvRmT1_PNSt15iterator_traitsIS12_E10value_typeET2_T3_PNS13_IS18_E10value_typeET4_jRbjT5_S1E_jjP12ihipStream_tbEUljE_ZNSN_ISO_Lb1ESQ_SR_ST_SU_SY_EESZ_S10_S11_S12_S16_S17_S18_S1B_S1C_jS1D_jS1E_S1E_jjS1G_bEUljE0_EEESZ_S10_S11_S18_S1C_S1E_T6_T7_T9_mT8_S1G_bDpT10_ENKUlT_T0_E_clISt17integral_constantIbLb1EES1T_IbLb0EEEEDaS1P_S1Q_EUlS1P_E_NS1_11comp_targetILNS1_3genE3ELNS1_11target_archE908ELNS1_3gpuE7ELNS1_3repE0EEENS1_30default_config_static_selectorELNS0_4arch9wavefront6targetE1EEEvS12_
		.amdhsa_group_segment_fixed_size 0
		.amdhsa_private_segment_fixed_size 0
		.amdhsa_kernarg_size 176
		.amdhsa_user_sgpr_count 6
		.amdhsa_user_sgpr_private_segment_buffer 1
		.amdhsa_user_sgpr_dispatch_ptr 0
		.amdhsa_user_sgpr_queue_ptr 0
		.amdhsa_user_sgpr_kernarg_segment_ptr 1
		.amdhsa_user_sgpr_dispatch_id 0
		.amdhsa_user_sgpr_flat_scratch_init 0
		.amdhsa_user_sgpr_private_segment_size 0
		.amdhsa_uses_dynamic_stack 0
		.amdhsa_system_sgpr_private_segment_wavefront_offset 0
		.amdhsa_system_sgpr_workgroup_id_x 1
		.amdhsa_system_sgpr_workgroup_id_y 0
		.amdhsa_system_sgpr_workgroup_id_z 0
		.amdhsa_system_sgpr_workgroup_info 0
		.amdhsa_system_vgpr_workitem_id 0
		.amdhsa_next_free_vgpr 1
		.amdhsa_next_free_sgpr 0
		.amdhsa_reserve_vcc 0
		.amdhsa_reserve_flat_scratch 0
		.amdhsa_float_round_mode_32 0
		.amdhsa_float_round_mode_16_64 0
		.amdhsa_float_denorm_mode_32 3
		.amdhsa_float_denorm_mode_16_64 3
		.amdhsa_dx10_clamp 1
		.amdhsa_ieee_mode 1
		.amdhsa_fp16_overflow 0
		.amdhsa_exception_fp_ieee_invalid_op 0
		.amdhsa_exception_fp_denorm_src 0
		.amdhsa_exception_fp_ieee_div_zero 0
		.amdhsa_exception_fp_ieee_overflow 0
		.amdhsa_exception_fp_ieee_underflow 0
		.amdhsa_exception_fp_ieee_inexact 0
		.amdhsa_exception_int_div_zero 0
	.end_amdhsa_kernel
	.section	.text._ZN7rocprim17ROCPRIM_400000_NS6detail17trampoline_kernelINS0_13select_configILj256ELj13ELNS0_17block_load_methodE3ELS4_3ELS4_3ELNS0_20block_scan_algorithmE0ELj4294967295EEENS1_25partition_config_selectorILNS1_17partition_subalgoE4EjNS0_10empty_typeEbEEZZNS1_14partition_implILS8_4ELb0ES6_15HIP_vector_typeIjLj2EENS0_17counting_iteratorIjlEEPS9_SG_NS0_5tupleIJPjSI_NS0_16reverse_iteratorISI_EEEEENSH_IJSG_SG_SG_EEES9_SI_JZNS1_25segmented_radix_sort_implINS0_14default_configELb1EPKiPiPKlPlN2at6native12_GLOBAL__N_18offset_tEEE10hipError_tPvRmT1_PNSt15iterator_traitsIS12_E10value_typeET2_T3_PNS13_IS18_E10value_typeET4_jRbjT5_S1E_jjP12ihipStream_tbEUljE_ZNSN_ISO_Lb1ESQ_SR_ST_SU_SY_EESZ_S10_S11_S12_S16_S17_S18_S1B_S1C_jS1D_jS1E_S1E_jjS1G_bEUljE0_EEESZ_S10_S11_S18_S1C_S1E_T6_T7_T9_mT8_S1G_bDpT10_ENKUlT_T0_E_clISt17integral_constantIbLb1EES1T_IbLb0EEEEDaS1P_S1Q_EUlS1P_E_NS1_11comp_targetILNS1_3genE3ELNS1_11target_archE908ELNS1_3gpuE7ELNS1_3repE0EEENS1_30default_config_static_selectorELNS0_4arch9wavefront6targetE1EEEvS12_,"axG",@progbits,_ZN7rocprim17ROCPRIM_400000_NS6detail17trampoline_kernelINS0_13select_configILj256ELj13ELNS0_17block_load_methodE3ELS4_3ELS4_3ELNS0_20block_scan_algorithmE0ELj4294967295EEENS1_25partition_config_selectorILNS1_17partition_subalgoE4EjNS0_10empty_typeEbEEZZNS1_14partition_implILS8_4ELb0ES6_15HIP_vector_typeIjLj2EENS0_17counting_iteratorIjlEEPS9_SG_NS0_5tupleIJPjSI_NS0_16reverse_iteratorISI_EEEEENSH_IJSG_SG_SG_EEES9_SI_JZNS1_25segmented_radix_sort_implINS0_14default_configELb1EPKiPiPKlPlN2at6native12_GLOBAL__N_18offset_tEEE10hipError_tPvRmT1_PNSt15iterator_traitsIS12_E10value_typeET2_T3_PNS13_IS18_E10value_typeET4_jRbjT5_S1E_jjP12ihipStream_tbEUljE_ZNSN_ISO_Lb1ESQ_SR_ST_SU_SY_EESZ_S10_S11_S12_S16_S17_S18_S1B_S1C_jS1D_jS1E_S1E_jjS1G_bEUljE0_EEESZ_S10_S11_S18_S1C_S1E_T6_T7_T9_mT8_S1G_bDpT10_ENKUlT_T0_E_clISt17integral_constantIbLb1EES1T_IbLb0EEEEDaS1P_S1Q_EUlS1P_E_NS1_11comp_targetILNS1_3genE3ELNS1_11target_archE908ELNS1_3gpuE7ELNS1_3repE0EEENS1_30default_config_static_selectorELNS0_4arch9wavefront6targetE1EEEvS12_,comdat
.Lfunc_end452:
	.size	_ZN7rocprim17ROCPRIM_400000_NS6detail17trampoline_kernelINS0_13select_configILj256ELj13ELNS0_17block_load_methodE3ELS4_3ELS4_3ELNS0_20block_scan_algorithmE0ELj4294967295EEENS1_25partition_config_selectorILNS1_17partition_subalgoE4EjNS0_10empty_typeEbEEZZNS1_14partition_implILS8_4ELb0ES6_15HIP_vector_typeIjLj2EENS0_17counting_iteratorIjlEEPS9_SG_NS0_5tupleIJPjSI_NS0_16reverse_iteratorISI_EEEEENSH_IJSG_SG_SG_EEES9_SI_JZNS1_25segmented_radix_sort_implINS0_14default_configELb1EPKiPiPKlPlN2at6native12_GLOBAL__N_18offset_tEEE10hipError_tPvRmT1_PNSt15iterator_traitsIS12_E10value_typeET2_T3_PNS13_IS18_E10value_typeET4_jRbjT5_S1E_jjP12ihipStream_tbEUljE_ZNSN_ISO_Lb1ESQ_SR_ST_SU_SY_EESZ_S10_S11_S12_S16_S17_S18_S1B_S1C_jS1D_jS1E_S1E_jjS1G_bEUljE0_EEESZ_S10_S11_S18_S1C_S1E_T6_T7_T9_mT8_S1G_bDpT10_ENKUlT_T0_E_clISt17integral_constantIbLb1EES1T_IbLb0EEEEDaS1P_S1Q_EUlS1P_E_NS1_11comp_targetILNS1_3genE3ELNS1_11target_archE908ELNS1_3gpuE7ELNS1_3repE0EEENS1_30default_config_static_selectorELNS0_4arch9wavefront6targetE1EEEvS12_, .Lfunc_end452-_ZN7rocprim17ROCPRIM_400000_NS6detail17trampoline_kernelINS0_13select_configILj256ELj13ELNS0_17block_load_methodE3ELS4_3ELS4_3ELNS0_20block_scan_algorithmE0ELj4294967295EEENS1_25partition_config_selectorILNS1_17partition_subalgoE4EjNS0_10empty_typeEbEEZZNS1_14partition_implILS8_4ELb0ES6_15HIP_vector_typeIjLj2EENS0_17counting_iteratorIjlEEPS9_SG_NS0_5tupleIJPjSI_NS0_16reverse_iteratorISI_EEEEENSH_IJSG_SG_SG_EEES9_SI_JZNS1_25segmented_radix_sort_implINS0_14default_configELb1EPKiPiPKlPlN2at6native12_GLOBAL__N_18offset_tEEE10hipError_tPvRmT1_PNSt15iterator_traitsIS12_E10value_typeET2_T3_PNS13_IS18_E10value_typeET4_jRbjT5_S1E_jjP12ihipStream_tbEUljE_ZNSN_ISO_Lb1ESQ_SR_ST_SU_SY_EESZ_S10_S11_S12_S16_S17_S18_S1B_S1C_jS1D_jS1E_S1E_jjS1G_bEUljE0_EEESZ_S10_S11_S18_S1C_S1E_T6_T7_T9_mT8_S1G_bDpT10_ENKUlT_T0_E_clISt17integral_constantIbLb1EES1T_IbLb0EEEEDaS1P_S1Q_EUlS1P_E_NS1_11comp_targetILNS1_3genE3ELNS1_11target_archE908ELNS1_3gpuE7ELNS1_3repE0EEENS1_30default_config_static_selectorELNS0_4arch9wavefront6targetE1EEEvS12_
                                        ; -- End function
	.set _ZN7rocprim17ROCPRIM_400000_NS6detail17trampoline_kernelINS0_13select_configILj256ELj13ELNS0_17block_load_methodE3ELS4_3ELS4_3ELNS0_20block_scan_algorithmE0ELj4294967295EEENS1_25partition_config_selectorILNS1_17partition_subalgoE4EjNS0_10empty_typeEbEEZZNS1_14partition_implILS8_4ELb0ES6_15HIP_vector_typeIjLj2EENS0_17counting_iteratorIjlEEPS9_SG_NS0_5tupleIJPjSI_NS0_16reverse_iteratorISI_EEEEENSH_IJSG_SG_SG_EEES9_SI_JZNS1_25segmented_radix_sort_implINS0_14default_configELb1EPKiPiPKlPlN2at6native12_GLOBAL__N_18offset_tEEE10hipError_tPvRmT1_PNSt15iterator_traitsIS12_E10value_typeET2_T3_PNS13_IS18_E10value_typeET4_jRbjT5_S1E_jjP12ihipStream_tbEUljE_ZNSN_ISO_Lb1ESQ_SR_ST_SU_SY_EESZ_S10_S11_S12_S16_S17_S18_S1B_S1C_jS1D_jS1E_S1E_jjS1G_bEUljE0_EEESZ_S10_S11_S18_S1C_S1E_T6_T7_T9_mT8_S1G_bDpT10_ENKUlT_T0_E_clISt17integral_constantIbLb1EES1T_IbLb0EEEEDaS1P_S1Q_EUlS1P_E_NS1_11comp_targetILNS1_3genE3ELNS1_11target_archE908ELNS1_3gpuE7ELNS1_3repE0EEENS1_30default_config_static_selectorELNS0_4arch9wavefront6targetE1EEEvS12_.num_vgpr, 0
	.set _ZN7rocprim17ROCPRIM_400000_NS6detail17trampoline_kernelINS0_13select_configILj256ELj13ELNS0_17block_load_methodE3ELS4_3ELS4_3ELNS0_20block_scan_algorithmE0ELj4294967295EEENS1_25partition_config_selectorILNS1_17partition_subalgoE4EjNS0_10empty_typeEbEEZZNS1_14partition_implILS8_4ELb0ES6_15HIP_vector_typeIjLj2EENS0_17counting_iteratorIjlEEPS9_SG_NS0_5tupleIJPjSI_NS0_16reverse_iteratorISI_EEEEENSH_IJSG_SG_SG_EEES9_SI_JZNS1_25segmented_radix_sort_implINS0_14default_configELb1EPKiPiPKlPlN2at6native12_GLOBAL__N_18offset_tEEE10hipError_tPvRmT1_PNSt15iterator_traitsIS12_E10value_typeET2_T3_PNS13_IS18_E10value_typeET4_jRbjT5_S1E_jjP12ihipStream_tbEUljE_ZNSN_ISO_Lb1ESQ_SR_ST_SU_SY_EESZ_S10_S11_S12_S16_S17_S18_S1B_S1C_jS1D_jS1E_S1E_jjS1G_bEUljE0_EEESZ_S10_S11_S18_S1C_S1E_T6_T7_T9_mT8_S1G_bDpT10_ENKUlT_T0_E_clISt17integral_constantIbLb1EES1T_IbLb0EEEEDaS1P_S1Q_EUlS1P_E_NS1_11comp_targetILNS1_3genE3ELNS1_11target_archE908ELNS1_3gpuE7ELNS1_3repE0EEENS1_30default_config_static_selectorELNS0_4arch9wavefront6targetE1EEEvS12_.num_agpr, 0
	.set _ZN7rocprim17ROCPRIM_400000_NS6detail17trampoline_kernelINS0_13select_configILj256ELj13ELNS0_17block_load_methodE3ELS4_3ELS4_3ELNS0_20block_scan_algorithmE0ELj4294967295EEENS1_25partition_config_selectorILNS1_17partition_subalgoE4EjNS0_10empty_typeEbEEZZNS1_14partition_implILS8_4ELb0ES6_15HIP_vector_typeIjLj2EENS0_17counting_iteratorIjlEEPS9_SG_NS0_5tupleIJPjSI_NS0_16reverse_iteratorISI_EEEEENSH_IJSG_SG_SG_EEES9_SI_JZNS1_25segmented_radix_sort_implINS0_14default_configELb1EPKiPiPKlPlN2at6native12_GLOBAL__N_18offset_tEEE10hipError_tPvRmT1_PNSt15iterator_traitsIS12_E10value_typeET2_T3_PNS13_IS18_E10value_typeET4_jRbjT5_S1E_jjP12ihipStream_tbEUljE_ZNSN_ISO_Lb1ESQ_SR_ST_SU_SY_EESZ_S10_S11_S12_S16_S17_S18_S1B_S1C_jS1D_jS1E_S1E_jjS1G_bEUljE0_EEESZ_S10_S11_S18_S1C_S1E_T6_T7_T9_mT8_S1G_bDpT10_ENKUlT_T0_E_clISt17integral_constantIbLb1EES1T_IbLb0EEEEDaS1P_S1Q_EUlS1P_E_NS1_11comp_targetILNS1_3genE3ELNS1_11target_archE908ELNS1_3gpuE7ELNS1_3repE0EEENS1_30default_config_static_selectorELNS0_4arch9wavefront6targetE1EEEvS12_.numbered_sgpr, 0
	.set _ZN7rocprim17ROCPRIM_400000_NS6detail17trampoline_kernelINS0_13select_configILj256ELj13ELNS0_17block_load_methodE3ELS4_3ELS4_3ELNS0_20block_scan_algorithmE0ELj4294967295EEENS1_25partition_config_selectorILNS1_17partition_subalgoE4EjNS0_10empty_typeEbEEZZNS1_14partition_implILS8_4ELb0ES6_15HIP_vector_typeIjLj2EENS0_17counting_iteratorIjlEEPS9_SG_NS0_5tupleIJPjSI_NS0_16reverse_iteratorISI_EEEEENSH_IJSG_SG_SG_EEES9_SI_JZNS1_25segmented_radix_sort_implINS0_14default_configELb1EPKiPiPKlPlN2at6native12_GLOBAL__N_18offset_tEEE10hipError_tPvRmT1_PNSt15iterator_traitsIS12_E10value_typeET2_T3_PNS13_IS18_E10value_typeET4_jRbjT5_S1E_jjP12ihipStream_tbEUljE_ZNSN_ISO_Lb1ESQ_SR_ST_SU_SY_EESZ_S10_S11_S12_S16_S17_S18_S1B_S1C_jS1D_jS1E_S1E_jjS1G_bEUljE0_EEESZ_S10_S11_S18_S1C_S1E_T6_T7_T9_mT8_S1G_bDpT10_ENKUlT_T0_E_clISt17integral_constantIbLb1EES1T_IbLb0EEEEDaS1P_S1Q_EUlS1P_E_NS1_11comp_targetILNS1_3genE3ELNS1_11target_archE908ELNS1_3gpuE7ELNS1_3repE0EEENS1_30default_config_static_selectorELNS0_4arch9wavefront6targetE1EEEvS12_.num_named_barrier, 0
	.set _ZN7rocprim17ROCPRIM_400000_NS6detail17trampoline_kernelINS0_13select_configILj256ELj13ELNS0_17block_load_methodE3ELS4_3ELS4_3ELNS0_20block_scan_algorithmE0ELj4294967295EEENS1_25partition_config_selectorILNS1_17partition_subalgoE4EjNS0_10empty_typeEbEEZZNS1_14partition_implILS8_4ELb0ES6_15HIP_vector_typeIjLj2EENS0_17counting_iteratorIjlEEPS9_SG_NS0_5tupleIJPjSI_NS0_16reverse_iteratorISI_EEEEENSH_IJSG_SG_SG_EEES9_SI_JZNS1_25segmented_radix_sort_implINS0_14default_configELb1EPKiPiPKlPlN2at6native12_GLOBAL__N_18offset_tEEE10hipError_tPvRmT1_PNSt15iterator_traitsIS12_E10value_typeET2_T3_PNS13_IS18_E10value_typeET4_jRbjT5_S1E_jjP12ihipStream_tbEUljE_ZNSN_ISO_Lb1ESQ_SR_ST_SU_SY_EESZ_S10_S11_S12_S16_S17_S18_S1B_S1C_jS1D_jS1E_S1E_jjS1G_bEUljE0_EEESZ_S10_S11_S18_S1C_S1E_T6_T7_T9_mT8_S1G_bDpT10_ENKUlT_T0_E_clISt17integral_constantIbLb1EES1T_IbLb0EEEEDaS1P_S1Q_EUlS1P_E_NS1_11comp_targetILNS1_3genE3ELNS1_11target_archE908ELNS1_3gpuE7ELNS1_3repE0EEENS1_30default_config_static_selectorELNS0_4arch9wavefront6targetE1EEEvS12_.private_seg_size, 0
	.set _ZN7rocprim17ROCPRIM_400000_NS6detail17trampoline_kernelINS0_13select_configILj256ELj13ELNS0_17block_load_methodE3ELS4_3ELS4_3ELNS0_20block_scan_algorithmE0ELj4294967295EEENS1_25partition_config_selectorILNS1_17partition_subalgoE4EjNS0_10empty_typeEbEEZZNS1_14partition_implILS8_4ELb0ES6_15HIP_vector_typeIjLj2EENS0_17counting_iteratorIjlEEPS9_SG_NS0_5tupleIJPjSI_NS0_16reverse_iteratorISI_EEEEENSH_IJSG_SG_SG_EEES9_SI_JZNS1_25segmented_radix_sort_implINS0_14default_configELb1EPKiPiPKlPlN2at6native12_GLOBAL__N_18offset_tEEE10hipError_tPvRmT1_PNSt15iterator_traitsIS12_E10value_typeET2_T3_PNS13_IS18_E10value_typeET4_jRbjT5_S1E_jjP12ihipStream_tbEUljE_ZNSN_ISO_Lb1ESQ_SR_ST_SU_SY_EESZ_S10_S11_S12_S16_S17_S18_S1B_S1C_jS1D_jS1E_S1E_jjS1G_bEUljE0_EEESZ_S10_S11_S18_S1C_S1E_T6_T7_T9_mT8_S1G_bDpT10_ENKUlT_T0_E_clISt17integral_constantIbLb1EES1T_IbLb0EEEEDaS1P_S1Q_EUlS1P_E_NS1_11comp_targetILNS1_3genE3ELNS1_11target_archE908ELNS1_3gpuE7ELNS1_3repE0EEENS1_30default_config_static_selectorELNS0_4arch9wavefront6targetE1EEEvS12_.uses_vcc, 0
	.set _ZN7rocprim17ROCPRIM_400000_NS6detail17trampoline_kernelINS0_13select_configILj256ELj13ELNS0_17block_load_methodE3ELS4_3ELS4_3ELNS0_20block_scan_algorithmE0ELj4294967295EEENS1_25partition_config_selectorILNS1_17partition_subalgoE4EjNS0_10empty_typeEbEEZZNS1_14partition_implILS8_4ELb0ES6_15HIP_vector_typeIjLj2EENS0_17counting_iteratorIjlEEPS9_SG_NS0_5tupleIJPjSI_NS0_16reverse_iteratorISI_EEEEENSH_IJSG_SG_SG_EEES9_SI_JZNS1_25segmented_radix_sort_implINS0_14default_configELb1EPKiPiPKlPlN2at6native12_GLOBAL__N_18offset_tEEE10hipError_tPvRmT1_PNSt15iterator_traitsIS12_E10value_typeET2_T3_PNS13_IS18_E10value_typeET4_jRbjT5_S1E_jjP12ihipStream_tbEUljE_ZNSN_ISO_Lb1ESQ_SR_ST_SU_SY_EESZ_S10_S11_S12_S16_S17_S18_S1B_S1C_jS1D_jS1E_S1E_jjS1G_bEUljE0_EEESZ_S10_S11_S18_S1C_S1E_T6_T7_T9_mT8_S1G_bDpT10_ENKUlT_T0_E_clISt17integral_constantIbLb1EES1T_IbLb0EEEEDaS1P_S1Q_EUlS1P_E_NS1_11comp_targetILNS1_3genE3ELNS1_11target_archE908ELNS1_3gpuE7ELNS1_3repE0EEENS1_30default_config_static_selectorELNS0_4arch9wavefront6targetE1EEEvS12_.uses_flat_scratch, 0
	.set _ZN7rocprim17ROCPRIM_400000_NS6detail17trampoline_kernelINS0_13select_configILj256ELj13ELNS0_17block_load_methodE3ELS4_3ELS4_3ELNS0_20block_scan_algorithmE0ELj4294967295EEENS1_25partition_config_selectorILNS1_17partition_subalgoE4EjNS0_10empty_typeEbEEZZNS1_14partition_implILS8_4ELb0ES6_15HIP_vector_typeIjLj2EENS0_17counting_iteratorIjlEEPS9_SG_NS0_5tupleIJPjSI_NS0_16reverse_iteratorISI_EEEEENSH_IJSG_SG_SG_EEES9_SI_JZNS1_25segmented_radix_sort_implINS0_14default_configELb1EPKiPiPKlPlN2at6native12_GLOBAL__N_18offset_tEEE10hipError_tPvRmT1_PNSt15iterator_traitsIS12_E10value_typeET2_T3_PNS13_IS18_E10value_typeET4_jRbjT5_S1E_jjP12ihipStream_tbEUljE_ZNSN_ISO_Lb1ESQ_SR_ST_SU_SY_EESZ_S10_S11_S12_S16_S17_S18_S1B_S1C_jS1D_jS1E_S1E_jjS1G_bEUljE0_EEESZ_S10_S11_S18_S1C_S1E_T6_T7_T9_mT8_S1G_bDpT10_ENKUlT_T0_E_clISt17integral_constantIbLb1EES1T_IbLb0EEEEDaS1P_S1Q_EUlS1P_E_NS1_11comp_targetILNS1_3genE3ELNS1_11target_archE908ELNS1_3gpuE7ELNS1_3repE0EEENS1_30default_config_static_selectorELNS0_4arch9wavefront6targetE1EEEvS12_.has_dyn_sized_stack, 0
	.set _ZN7rocprim17ROCPRIM_400000_NS6detail17trampoline_kernelINS0_13select_configILj256ELj13ELNS0_17block_load_methodE3ELS4_3ELS4_3ELNS0_20block_scan_algorithmE0ELj4294967295EEENS1_25partition_config_selectorILNS1_17partition_subalgoE4EjNS0_10empty_typeEbEEZZNS1_14partition_implILS8_4ELb0ES6_15HIP_vector_typeIjLj2EENS0_17counting_iteratorIjlEEPS9_SG_NS0_5tupleIJPjSI_NS0_16reverse_iteratorISI_EEEEENSH_IJSG_SG_SG_EEES9_SI_JZNS1_25segmented_radix_sort_implINS0_14default_configELb1EPKiPiPKlPlN2at6native12_GLOBAL__N_18offset_tEEE10hipError_tPvRmT1_PNSt15iterator_traitsIS12_E10value_typeET2_T3_PNS13_IS18_E10value_typeET4_jRbjT5_S1E_jjP12ihipStream_tbEUljE_ZNSN_ISO_Lb1ESQ_SR_ST_SU_SY_EESZ_S10_S11_S12_S16_S17_S18_S1B_S1C_jS1D_jS1E_S1E_jjS1G_bEUljE0_EEESZ_S10_S11_S18_S1C_S1E_T6_T7_T9_mT8_S1G_bDpT10_ENKUlT_T0_E_clISt17integral_constantIbLb1EES1T_IbLb0EEEEDaS1P_S1Q_EUlS1P_E_NS1_11comp_targetILNS1_3genE3ELNS1_11target_archE908ELNS1_3gpuE7ELNS1_3repE0EEENS1_30default_config_static_selectorELNS0_4arch9wavefront6targetE1EEEvS12_.has_recursion, 0
	.set _ZN7rocprim17ROCPRIM_400000_NS6detail17trampoline_kernelINS0_13select_configILj256ELj13ELNS0_17block_load_methodE3ELS4_3ELS4_3ELNS0_20block_scan_algorithmE0ELj4294967295EEENS1_25partition_config_selectorILNS1_17partition_subalgoE4EjNS0_10empty_typeEbEEZZNS1_14partition_implILS8_4ELb0ES6_15HIP_vector_typeIjLj2EENS0_17counting_iteratorIjlEEPS9_SG_NS0_5tupleIJPjSI_NS0_16reverse_iteratorISI_EEEEENSH_IJSG_SG_SG_EEES9_SI_JZNS1_25segmented_radix_sort_implINS0_14default_configELb1EPKiPiPKlPlN2at6native12_GLOBAL__N_18offset_tEEE10hipError_tPvRmT1_PNSt15iterator_traitsIS12_E10value_typeET2_T3_PNS13_IS18_E10value_typeET4_jRbjT5_S1E_jjP12ihipStream_tbEUljE_ZNSN_ISO_Lb1ESQ_SR_ST_SU_SY_EESZ_S10_S11_S12_S16_S17_S18_S1B_S1C_jS1D_jS1E_S1E_jjS1G_bEUljE0_EEESZ_S10_S11_S18_S1C_S1E_T6_T7_T9_mT8_S1G_bDpT10_ENKUlT_T0_E_clISt17integral_constantIbLb1EES1T_IbLb0EEEEDaS1P_S1Q_EUlS1P_E_NS1_11comp_targetILNS1_3genE3ELNS1_11target_archE908ELNS1_3gpuE7ELNS1_3repE0EEENS1_30default_config_static_selectorELNS0_4arch9wavefront6targetE1EEEvS12_.has_indirect_call, 0
	.section	.AMDGPU.csdata,"",@progbits
; Kernel info:
; codeLenInByte = 0
; TotalNumSgprs: 4
; NumVgprs: 0
; ScratchSize: 0
; MemoryBound: 0
; FloatMode: 240
; IeeeMode: 1
; LDSByteSize: 0 bytes/workgroup (compile time only)
; SGPRBlocks: 0
; VGPRBlocks: 0
; NumSGPRsForWavesPerEU: 4
; NumVGPRsForWavesPerEU: 1
; Occupancy: 10
; WaveLimiterHint : 0
; COMPUTE_PGM_RSRC2:SCRATCH_EN: 0
; COMPUTE_PGM_RSRC2:USER_SGPR: 6
; COMPUTE_PGM_RSRC2:TRAP_HANDLER: 0
; COMPUTE_PGM_RSRC2:TGID_X_EN: 1
; COMPUTE_PGM_RSRC2:TGID_Y_EN: 0
; COMPUTE_PGM_RSRC2:TGID_Z_EN: 0
; COMPUTE_PGM_RSRC2:TIDIG_COMP_CNT: 0
	.section	.text._ZN7rocprim17ROCPRIM_400000_NS6detail17trampoline_kernelINS0_13select_configILj256ELj13ELNS0_17block_load_methodE3ELS4_3ELS4_3ELNS0_20block_scan_algorithmE0ELj4294967295EEENS1_25partition_config_selectorILNS1_17partition_subalgoE4EjNS0_10empty_typeEbEEZZNS1_14partition_implILS8_4ELb0ES6_15HIP_vector_typeIjLj2EENS0_17counting_iteratorIjlEEPS9_SG_NS0_5tupleIJPjSI_NS0_16reverse_iteratorISI_EEEEENSH_IJSG_SG_SG_EEES9_SI_JZNS1_25segmented_radix_sort_implINS0_14default_configELb1EPKiPiPKlPlN2at6native12_GLOBAL__N_18offset_tEEE10hipError_tPvRmT1_PNSt15iterator_traitsIS12_E10value_typeET2_T3_PNS13_IS18_E10value_typeET4_jRbjT5_S1E_jjP12ihipStream_tbEUljE_ZNSN_ISO_Lb1ESQ_SR_ST_SU_SY_EESZ_S10_S11_S12_S16_S17_S18_S1B_S1C_jS1D_jS1E_S1E_jjS1G_bEUljE0_EEESZ_S10_S11_S18_S1C_S1E_T6_T7_T9_mT8_S1G_bDpT10_ENKUlT_T0_E_clISt17integral_constantIbLb1EES1T_IbLb0EEEEDaS1P_S1Q_EUlS1P_E_NS1_11comp_targetILNS1_3genE2ELNS1_11target_archE906ELNS1_3gpuE6ELNS1_3repE0EEENS1_30default_config_static_selectorELNS0_4arch9wavefront6targetE1EEEvS12_,"axG",@progbits,_ZN7rocprim17ROCPRIM_400000_NS6detail17trampoline_kernelINS0_13select_configILj256ELj13ELNS0_17block_load_methodE3ELS4_3ELS4_3ELNS0_20block_scan_algorithmE0ELj4294967295EEENS1_25partition_config_selectorILNS1_17partition_subalgoE4EjNS0_10empty_typeEbEEZZNS1_14partition_implILS8_4ELb0ES6_15HIP_vector_typeIjLj2EENS0_17counting_iteratorIjlEEPS9_SG_NS0_5tupleIJPjSI_NS0_16reverse_iteratorISI_EEEEENSH_IJSG_SG_SG_EEES9_SI_JZNS1_25segmented_radix_sort_implINS0_14default_configELb1EPKiPiPKlPlN2at6native12_GLOBAL__N_18offset_tEEE10hipError_tPvRmT1_PNSt15iterator_traitsIS12_E10value_typeET2_T3_PNS13_IS18_E10value_typeET4_jRbjT5_S1E_jjP12ihipStream_tbEUljE_ZNSN_ISO_Lb1ESQ_SR_ST_SU_SY_EESZ_S10_S11_S12_S16_S17_S18_S1B_S1C_jS1D_jS1E_S1E_jjS1G_bEUljE0_EEESZ_S10_S11_S18_S1C_S1E_T6_T7_T9_mT8_S1G_bDpT10_ENKUlT_T0_E_clISt17integral_constantIbLb1EES1T_IbLb0EEEEDaS1P_S1Q_EUlS1P_E_NS1_11comp_targetILNS1_3genE2ELNS1_11target_archE906ELNS1_3gpuE6ELNS1_3repE0EEENS1_30default_config_static_selectorELNS0_4arch9wavefront6targetE1EEEvS12_,comdat
	.globl	_ZN7rocprim17ROCPRIM_400000_NS6detail17trampoline_kernelINS0_13select_configILj256ELj13ELNS0_17block_load_methodE3ELS4_3ELS4_3ELNS0_20block_scan_algorithmE0ELj4294967295EEENS1_25partition_config_selectorILNS1_17partition_subalgoE4EjNS0_10empty_typeEbEEZZNS1_14partition_implILS8_4ELb0ES6_15HIP_vector_typeIjLj2EENS0_17counting_iteratorIjlEEPS9_SG_NS0_5tupleIJPjSI_NS0_16reverse_iteratorISI_EEEEENSH_IJSG_SG_SG_EEES9_SI_JZNS1_25segmented_radix_sort_implINS0_14default_configELb1EPKiPiPKlPlN2at6native12_GLOBAL__N_18offset_tEEE10hipError_tPvRmT1_PNSt15iterator_traitsIS12_E10value_typeET2_T3_PNS13_IS18_E10value_typeET4_jRbjT5_S1E_jjP12ihipStream_tbEUljE_ZNSN_ISO_Lb1ESQ_SR_ST_SU_SY_EESZ_S10_S11_S12_S16_S17_S18_S1B_S1C_jS1D_jS1E_S1E_jjS1G_bEUljE0_EEESZ_S10_S11_S18_S1C_S1E_T6_T7_T9_mT8_S1G_bDpT10_ENKUlT_T0_E_clISt17integral_constantIbLb1EES1T_IbLb0EEEEDaS1P_S1Q_EUlS1P_E_NS1_11comp_targetILNS1_3genE2ELNS1_11target_archE906ELNS1_3gpuE6ELNS1_3repE0EEENS1_30default_config_static_selectorELNS0_4arch9wavefront6targetE1EEEvS12_ ; -- Begin function _ZN7rocprim17ROCPRIM_400000_NS6detail17trampoline_kernelINS0_13select_configILj256ELj13ELNS0_17block_load_methodE3ELS4_3ELS4_3ELNS0_20block_scan_algorithmE0ELj4294967295EEENS1_25partition_config_selectorILNS1_17partition_subalgoE4EjNS0_10empty_typeEbEEZZNS1_14partition_implILS8_4ELb0ES6_15HIP_vector_typeIjLj2EENS0_17counting_iteratorIjlEEPS9_SG_NS0_5tupleIJPjSI_NS0_16reverse_iteratorISI_EEEEENSH_IJSG_SG_SG_EEES9_SI_JZNS1_25segmented_radix_sort_implINS0_14default_configELb1EPKiPiPKlPlN2at6native12_GLOBAL__N_18offset_tEEE10hipError_tPvRmT1_PNSt15iterator_traitsIS12_E10value_typeET2_T3_PNS13_IS18_E10value_typeET4_jRbjT5_S1E_jjP12ihipStream_tbEUljE_ZNSN_ISO_Lb1ESQ_SR_ST_SU_SY_EESZ_S10_S11_S12_S16_S17_S18_S1B_S1C_jS1D_jS1E_S1E_jjS1G_bEUljE0_EEESZ_S10_S11_S18_S1C_S1E_T6_T7_T9_mT8_S1G_bDpT10_ENKUlT_T0_E_clISt17integral_constantIbLb1EES1T_IbLb0EEEEDaS1P_S1Q_EUlS1P_E_NS1_11comp_targetILNS1_3genE2ELNS1_11target_archE906ELNS1_3gpuE6ELNS1_3repE0EEENS1_30default_config_static_selectorELNS0_4arch9wavefront6targetE1EEEvS12_
	.p2align	8
	.type	_ZN7rocprim17ROCPRIM_400000_NS6detail17trampoline_kernelINS0_13select_configILj256ELj13ELNS0_17block_load_methodE3ELS4_3ELS4_3ELNS0_20block_scan_algorithmE0ELj4294967295EEENS1_25partition_config_selectorILNS1_17partition_subalgoE4EjNS0_10empty_typeEbEEZZNS1_14partition_implILS8_4ELb0ES6_15HIP_vector_typeIjLj2EENS0_17counting_iteratorIjlEEPS9_SG_NS0_5tupleIJPjSI_NS0_16reverse_iteratorISI_EEEEENSH_IJSG_SG_SG_EEES9_SI_JZNS1_25segmented_radix_sort_implINS0_14default_configELb1EPKiPiPKlPlN2at6native12_GLOBAL__N_18offset_tEEE10hipError_tPvRmT1_PNSt15iterator_traitsIS12_E10value_typeET2_T3_PNS13_IS18_E10value_typeET4_jRbjT5_S1E_jjP12ihipStream_tbEUljE_ZNSN_ISO_Lb1ESQ_SR_ST_SU_SY_EESZ_S10_S11_S12_S16_S17_S18_S1B_S1C_jS1D_jS1E_S1E_jjS1G_bEUljE0_EEESZ_S10_S11_S18_S1C_S1E_T6_T7_T9_mT8_S1G_bDpT10_ENKUlT_T0_E_clISt17integral_constantIbLb1EES1T_IbLb0EEEEDaS1P_S1Q_EUlS1P_E_NS1_11comp_targetILNS1_3genE2ELNS1_11target_archE906ELNS1_3gpuE6ELNS1_3repE0EEENS1_30default_config_static_selectorELNS0_4arch9wavefront6targetE1EEEvS12_,@function
_ZN7rocprim17ROCPRIM_400000_NS6detail17trampoline_kernelINS0_13select_configILj256ELj13ELNS0_17block_load_methodE3ELS4_3ELS4_3ELNS0_20block_scan_algorithmE0ELj4294967295EEENS1_25partition_config_selectorILNS1_17partition_subalgoE4EjNS0_10empty_typeEbEEZZNS1_14partition_implILS8_4ELb0ES6_15HIP_vector_typeIjLj2EENS0_17counting_iteratorIjlEEPS9_SG_NS0_5tupleIJPjSI_NS0_16reverse_iteratorISI_EEEEENSH_IJSG_SG_SG_EEES9_SI_JZNS1_25segmented_radix_sort_implINS0_14default_configELb1EPKiPiPKlPlN2at6native12_GLOBAL__N_18offset_tEEE10hipError_tPvRmT1_PNSt15iterator_traitsIS12_E10value_typeET2_T3_PNS13_IS18_E10value_typeET4_jRbjT5_S1E_jjP12ihipStream_tbEUljE_ZNSN_ISO_Lb1ESQ_SR_ST_SU_SY_EESZ_S10_S11_S12_S16_S17_S18_S1B_S1C_jS1D_jS1E_S1E_jjS1G_bEUljE0_EEESZ_S10_S11_S18_S1C_S1E_T6_T7_T9_mT8_S1G_bDpT10_ENKUlT_T0_E_clISt17integral_constantIbLb1EES1T_IbLb0EEEEDaS1P_S1Q_EUlS1P_E_NS1_11comp_targetILNS1_3genE2ELNS1_11target_archE906ELNS1_3gpuE6ELNS1_3repE0EEENS1_30default_config_static_selectorELNS0_4arch9wavefront6targetE1EEEvS12_: ; @_ZN7rocprim17ROCPRIM_400000_NS6detail17trampoline_kernelINS0_13select_configILj256ELj13ELNS0_17block_load_methodE3ELS4_3ELS4_3ELNS0_20block_scan_algorithmE0ELj4294967295EEENS1_25partition_config_selectorILNS1_17partition_subalgoE4EjNS0_10empty_typeEbEEZZNS1_14partition_implILS8_4ELb0ES6_15HIP_vector_typeIjLj2EENS0_17counting_iteratorIjlEEPS9_SG_NS0_5tupleIJPjSI_NS0_16reverse_iteratorISI_EEEEENSH_IJSG_SG_SG_EEES9_SI_JZNS1_25segmented_radix_sort_implINS0_14default_configELb1EPKiPiPKlPlN2at6native12_GLOBAL__N_18offset_tEEE10hipError_tPvRmT1_PNSt15iterator_traitsIS12_E10value_typeET2_T3_PNS13_IS18_E10value_typeET4_jRbjT5_S1E_jjP12ihipStream_tbEUljE_ZNSN_ISO_Lb1ESQ_SR_ST_SU_SY_EESZ_S10_S11_S12_S16_S17_S18_S1B_S1C_jS1D_jS1E_S1E_jjS1G_bEUljE0_EEESZ_S10_S11_S18_S1C_S1E_T6_T7_T9_mT8_S1G_bDpT10_ENKUlT_T0_E_clISt17integral_constantIbLb1EES1T_IbLb0EEEEDaS1P_S1Q_EUlS1P_E_NS1_11comp_targetILNS1_3genE2ELNS1_11target_archE906ELNS1_3gpuE6ELNS1_3repE0EEENS1_30default_config_static_selectorELNS0_4arch9wavefront6targetE1EEEvS12_
; %bb.0:
	s_endpgm
	.section	.rodata,"a",@progbits
	.p2align	6, 0x0
	.amdhsa_kernel _ZN7rocprim17ROCPRIM_400000_NS6detail17trampoline_kernelINS0_13select_configILj256ELj13ELNS0_17block_load_methodE3ELS4_3ELS4_3ELNS0_20block_scan_algorithmE0ELj4294967295EEENS1_25partition_config_selectorILNS1_17partition_subalgoE4EjNS0_10empty_typeEbEEZZNS1_14partition_implILS8_4ELb0ES6_15HIP_vector_typeIjLj2EENS0_17counting_iteratorIjlEEPS9_SG_NS0_5tupleIJPjSI_NS0_16reverse_iteratorISI_EEEEENSH_IJSG_SG_SG_EEES9_SI_JZNS1_25segmented_radix_sort_implINS0_14default_configELb1EPKiPiPKlPlN2at6native12_GLOBAL__N_18offset_tEEE10hipError_tPvRmT1_PNSt15iterator_traitsIS12_E10value_typeET2_T3_PNS13_IS18_E10value_typeET4_jRbjT5_S1E_jjP12ihipStream_tbEUljE_ZNSN_ISO_Lb1ESQ_SR_ST_SU_SY_EESZ_S10_S11_S12_S16_S17_S18_S1B_S1C_jS1D_jS1E_S1E_jjS1G_bEUljE0_EEESZ_S10_S11_S18_S1C_S1E_T6_T7_T9_mT8_S1G_bDpT10_ENKUlT_T0_E_clISt17integral_constantIbLb1EES1T_IbLb0EEEEDaS1P_S1Q_EUlS1P_E_NS1_11comp_targetILNS1_3genE2ELNS1_11target_archE906ELNS1_3gpuE6ELNS1_3repE0EEENS1_30default_config_static_selectorELNS0_4arch9wavefront6targetE1EEEvS12_
		.amdhsa_group_segment_fixed_size 0
		.amdhsa_private_segment_fixed_size 0
		.amdhsa_kernarg_size 176
		.amdhsa_user_sgpr_count 6
		.amdhsa_user_sgpr_private_segment_buffer 1
		.amdhsa_user_sgpr_dispatch_ptr 0
		.amdhsa_user_sgpr_queue_ptr 0
		.amdhsa_user_sgpr_kernarg_segment_ptr 1
		.amdhsa_user_sgpr_dispatch_id 0
		.amdhsa_user_sgpr_flat_scratch_init 0
		.amdhsa_user_sgpr_private_segment_size 0
		.amdhsa_uses_dynamic_stack 0
		.amdhsa_system_sgpr_private_segment_wavefront_offset 0
		.amdhsa_system_sgpr_workgroup_id_x 1
		.amdhsa_system_sgpr_workgroup_id_y 0
		.amdhsa_system_sgpr_workgroup_id_z 0
		.amdhsa_system_sgpr_workgroup_info 0
		.amdhsa_system_vgpr_workitem_id 0
		.amdhsa_next_free_vgpr 1
		.amdhsa_next_free_sgpr 0
		.amdhsa_reserve_vcc 0
		.amdhsa_reserve_flat_scratch 0
		.amdhsa_float_round_mode_32 0
		.amdhsa_float_round_mode_16_64 0
		.amdhsa_float_denorm_mode_32 3
		.amdhsa_float_denorm_mode_16_64 3
		.amdhsa_dx10_clamp 1
		.amdhsa_ieee_mode 1
		.amdhsa_fp16_overflow 0
		.amdhsa_exception_fp_ieee_invalid_op 0
		.amdhsa_exception_fp_denorm_src 0
		.amdhsa_exception_fp_ieee_div_zero 0
		.amdhsa_exception_fp_ieee_overflow 0
		.amdhsa_exception_fp_ieee_underflow 0
		.amdhsa_exception_fp_ieee_inexact 0
		.amdhsa_exception_int_div_zero 0
	.end_amdhsa_kernel
	.section	.text._ZN7rocprim17ROCPRIM_400000_NS6detail17trampoline_kernelINS0_13select_configILj256ELj13ELNS0_17block_load_methodE3ELS4_3ELS4_3ELNS0_20block_scan_algorithmE0ELj4294967295EEENS1_25partition_config_selectorILNS1_17partition_subalgoE4EjNS0_10empty_typeEbEEZZNS1_14partition_implILS8_4ELb0ES6_15HIP_vector_typeIjLj2EENS0_17counting_iteratorIjlEEPS9_SG_NS0_5tupleIJPjSI_NS0_16reverse_iteratorISI_EEEEENSH_IJSG_SG_SG_EEES9_SI_JZNS1_25segmented_radix_sort_implINS0_14default_configELb1EPKiPiPKlPlN2at6native12_GLOBAL__N_18offset_tEEE10hipError_tPvRmT1_PNSt15iterator_traitsIS12_E10value_typeET2_T3_PNS13_IS18_E10value_typeET4_jRbjT5_S1E_jjP12ihipStream_tbEUljE_ZNSN_ISO_Lb1ESQ_SR_ST_SU_SY_EESZ_S10_S11_S12_S16_S17_S18_S1B_S1C_jS1D_jS1E_S1E_jjS1G_bEUljE0_EEESZ_S10_S11_S18_S1C_S1E_T6_T7_T9_mT8_S1G_bDpT10_ENKUlT_T0_E_clISt17integral_constantIbLb1EES1T_IbLb0EEEEDaS1P_S1Q_EUlS1P_E_NS1_11comp_targetILNS1_3genE2ELNS1_11target_archE906ELNS1_3gpuE6ELNS1_3repE0EEENS1_30default_config_static_selectorELNS0_4arch9wavefront6targetE1EEEvS12_,"axG",@progbits,_ZN7rocprim17ROCPRIM_400000_NS6detail17trampoline_kernelINS0_13select_configILj256ELj13ELNS0_17block_load_methodE3ELS4_3ELS4_3ELNS0_20block_scan_algorithmE0ELj4294967295EEENS1_25partition_config_selectorILNS1_17partition_subalgoE4EjNS0_10empty_typeEbEEZZNS1_14partition_implILS8_4ELb0ES6_15HIP_vector_typeIjLj2EENS0_17counting_iteratorIjlEEPS9_SG_NS0_5tupleIJPjSI_NS0_16reverse_iteratorISI_EEEEENSH_IJSG_SG_SG_EEES9_SI_JZNS1_25segmented_radix_sort_implINS0_14default_configELb1EPKiPiPKlPlN2at6native12_GLOBAL__N_18offset_tEEE10hipError_tPvRmT1_PNSt15iterator_traitsIS12_E10value_typeET2_T3_PNS13_IS18_E10value_typeET4_jRbjT5_S1E_jjP12ihipStream_tbEUljE_ZNSN_ISO_Lb1ESQ_SR_ST_SU_SY_EESZ_S10_S11_S12_S16_S17_S18_S1B_S1C_jS1D_jS1E_S1E_jjS1G_bEUljE0_EEESZ_S10_S11_S18_S1C_S1E_T6_T7_T9_mT8_S1G_bDpT10_ENKUlT_T0_E_clISt17integral_constantIbLb1EES1T_IbLb0EEEEDaS1P_S1Q_EUlS1P_E_NS1_11comp_targetILNS1_3genE2ELNS1_11target_archE906ELNS1_3gpuE6ELNS1_3repE0EEENS1_30default_config_static_selectorELNS0_4arch9wavefront6targetE1EEEvS12_,comdat
.Lfunc_end453:
	.size	_ZN7rocprim17ROCPRIM_400000_NS6detail17trampoline_kernelINS0_13select_configILj256ELj13ELNS0_17block_load_methodE3ELS4_3ELS4_3ELNS0_20block_scan_algorithmE0ELj4294967295EEENS1_25partition_config_selectorILNS1_17partition_subalgoE4EjNS0_10empty_typeEbEEZZNS1_14partition_implILS8_4ELb0ES6_15HIP_vector_typeIjLj2EENS0_17counting_iteratorIjlEEPS9_SG_NS0_5tupleIJPjSI_NS0_16reverse_iteratorISI_EEEEENSH_IJSG_SG_SG_EEES9_SI_JZNS1_25segmented_radix_sort_implINS0_14default_configELb1EPKiPiPKlPlN2at6native12_GLOBAL__N_18offset_tEEE10hipError_tPvRmT1_PNSt15iterator_traitsIS12_E10value_typeET2_T3_PNS13_IS18_E10value_typeET4_jRbjT5_S1E_jjP12ihipStream_tbEUljE_ZNSN_ISO_Lb1ESQ_SR_ST_SU_SY_EESZ_S10_S11_S12_S16_S17_S18_S1B_S1C_jS1D_jS1E_S1E_jjS1G_bEUljE0_EEESZ_S10_S11_S18_S1C_S1E_T6_T7_T9_mT8_S1G_bDpT10_ENKUlT_T0_E_clISt17integral_constantIbLb1EES1T_IbLb0EEEEDaS1P_S1Q_EUlS1P_E_NS1_11comp_targetILNS1_3genE2ELNS1_11target_archE906ELNS1_3gpuE6ELNS1_3repE0EEENS1_30default_config_static_selectorELNS0_4arch9wavefront6targetE1EEEvS12_, .Lfunc_end453-_ZN7rocprim17ROCPRIM_400000_NS6detail17trampoline_kernelINS0_13select_configILj256ELj13ELNS0_17block_load_methodE3ELS4_3ELS4_3ELNS0_20block_scan_algorithmE0ELj4294967295EEENS1_25partition_config_selectorILNS1_17partition_subalgoE4EjNS0_10empty_typeEbEEZZNS1_14partition_implILS8_4ELb0ES6_15HIP_vector_typeIjLj2EENS0_17counting_iteratorIjlEEPS9_SG_NS0_5tupleIJPjSI_NS0_16reverse_iteratorISI_EEEEENSH_IJSG_SG_SG_EEES9_SI_JZNS1_25segmented_radix_sort_implINS0_14default_configELb1EPKiPiPKlPlN2at6native12_GLOBAL__N_18offset_tEEE10hipError_tPvRmT1_PNSt15iterator_traitsIS12_E10value_typeET2_T3_PNS13_IS18_E10value_typeET4_jRbjT5_S1E_jjP12ihipStream_tbEUljE_ZNSN_ISO_Lb1ESQ_SR_ST_SU_SY_EESZ_S10_S11_S12_S16_S17_S18_S1B_S1C_jS1D_jS1E_S1E_jjS1G_bEUljE0_EEESZ_S10_S11_S18_S1C_S1E_T6_T7_T9_mT8_S1G_bDpT10_ENKUlT_T0_E_clISt17integral_constantIbLb1EES1T_IbLb0EEEEDaS1P_S1Q_EUlS1P_E_NS1_11comp_targetILNS1_3genE2ELNS1_11target_archE906ELNS1_3gpuE6ELNS1_3repE0EEENS1_30default_config_static_selectorELNS0_4arch9wavefront6targetE1EEEvS12_
                                        ; -- End function
	.set _ZN7rocprim17ROCPRIM_400000_NS6detail17trampoline_kernelINS0_13select_configILj256ELj13ELNS0_17block_load_methodE3ELS4_3ELS4_3ELNS0_20block_scan_algorithmE0ELj4294967295EEENS1_25partition_config_selectorILNS1_17partition_subalgoE4EjNS0_10empty_typeEbEEZZNS1_14partition_implILS8_4ELb0ES6_15HIP_vector_typeIjLj2EENS0_17counting_iteratorIjlEEPS9_SG_NS0_5tupleIJPjSI_NS0_16reverse_iteratorISI_EEEEENSH_IJSG_SG_SG_EEES9_SI_JZNS1_25segmented_radix_sort_implINS0_14default_configELb1EPKiPiPKlPlN2at6native12_GLOBAL__N_18offset_tEEE10hipError_tPvRmT1_PNSt15iterator_traitsIS12_E10value_typeET2_T3_PNS13_IS18_E10value_typeET4_jRbjT5_S1E_jjP12ihipStream_tbEUljE_ZNSN_ISO_Lb1ESQ_SR_ST_SU_SY_EESZ_S10_S11_S12_S16_S17_S18_S1B_S1C_jS1D_jS1E_S1E_jjS1G_bEUljE0_EEESZ_S10_S11_S18_S1C_S1E_T6_T7_T9_mT8_S1G_bDpT10_ENKUlT_T0_E_clISt17integral_constantIbLb1EES1T_IbLb0EEEEDaS1P_S1Q_EUlS1P_E_NS1_11comp_targetILNS1_3genE2ELNS1_11target_archE906ELNS1_3gpuE6ELNS1_3repE0EEENS1_30default_config_static_selectorELNS0_4arch9wavefront6targetE1EEEvS12_.num_vgpr, 0
	.set _ZN7rocprim17ROCPRIM_400000_NS6detail17trampoline_kernelINS0_13select_configILj256ELj13ELNS0_17block_load_methodE3ELS4_3ELS4_3ELNS0_20block_scan_algorithmE0ELj4294967295EEENS1_25partition_config_selectorILNS1_17partition_subalgoE4EjNS0_10empty_typeEbEEZZNS1_14partition_implILS8_4ELb0ES6_15HIP_vector_typeIjLj2EENS0_17counting_iteratorIjlEEPS9_SG_NS0_5tupleIJPjSI_NS0_16reverse_iteratorISI_EEEEENSH_IJSG_SG_SG_EEES9_SI_JZNS1_25segmented_radix_sort_implINS0_14default_configELb1EPKiPiPKlPlN2at6native12_GLOBAL__N_18offset_tEEE10hipError_tPvRmT1_PNSt15iterator_traitsIS12_E10value_typeET2_T3_PNS13_IS18_E10value_typeET4_jRbjT5_S1E_jjP12ihipStream_tbEUljE_ZNSN_ISO_Lb1ESQ_SR_ST_SU_SY_EESZ_S10_S11_S12_S16_S17_S18_S1B_S1C_jS1D_jS1E_S1E_jjS1G_bEUljE0_EEESZ_S10_S11_S18_S1C_S1E_T6_T7_T9_mT8_S1G_bDpT10_ENKUlT_T0_E_clISt17integral_constantIbLb1EES1T_IbLb0EEEEDaS1P_S1Q_EUlS1P_E_NS1_11comp_targetILNS1_3genE2ELNS1_11target_archE906ELNS1_3gpuE6ELNS1_3repE0EEENS1_30default_config_static_selectorELNS0_4arch9wavefront6targetE1EEEvS12_.num_agpr, 0
	.set _ZN7rocprim17ROCPRIM_400000_NS6detail17trampoline_kernelINS0_13select_configILj256ELj13ELNS0_17block_load_methodE3ELS4_3ELS4_3ELNS0_20block_scan_algorithmE0ELj4294967295EEENS1_25partition_config_selectorILNS1_17partition_subalgoE4EjNS0_10empty_typeEbEEZZNS1_14partition_implILS8_4ELb0ES6_15HIP_vector_typeIjLj2EENS0_17counting_iteratorIjlEEPS9_SG_NS0_5tupleIJPjSI_NS0_16reverse_iteratorISI_EEEEENSH_IJSG_SG_SG_EEES9_SI_JZNS1_25segmented_radix_sort_implINS0_14default_configELb1EPKiPiPKlPlN2at6native12_GLOBAL__N_18offset_tEEE10hipError_tPvRmT1_PNSt15iterator_traitsIS12_E10value_typeET2_T3_PNS13_IS18_E10value_typeET4_jRbjT5_S1E_jjP12ihipStream_tbEUljE_ZNSN_ISO_Lb1ESQ_SR_ST_SU_SY_EESZ_S10_S11_S12_S16_S17_S18_S1B_S1C_jS1D_jS1E_S1E_jjS1G_bEUljE0_EEESZ_S10_S11_S18_S1C_S1E_T6_T7_T9_mT8_S1G_bDpT10_ENKUlT_T0_E_clISt17integral_constantIbLb1EES1T_IbLb0EEEEDaS1P_S1Q_EUlS1P_E_NS1_11comp_targetILNS1_3genE2ELNS1_11target_archE906ELNS1_3gpuE6ELNS1_3repE0EEENS1_30default_config_static_selectorELNS0_4arch9wavefront6targetE1EEEvS12_.numbered_sgpr, 0
	.set _ZN7rocprim17ROCPRIM_400000_NS6detail17trampoline_kernelINS0_13select_configILj256ELj13ELNS0_17block_load_methodE3ELS4_3ELS4_3ELNS0_20block_scan_algorithmE0ELj4294967295EEENS1_25partition_config_selectorILNS1_17partition_subalgoE4EjNS0_10empty_typeEbEEZZNS1_14partition_implILS8_4ELb0ES6_15HIP_vector_typeIjLj2EENS0_17counting_iteratorIjlEEPS9_SG_NS0_5tupleIJPjSI_NS0_16reverse_iteratorISI_EEEEENSH_IJSG_SG_SG_EEES9_SI_JZNS1_25segmented_radix_sort_implINS0_14default_configELb1EPKiPiPKlPlN2at6native12_GLOBAL__N_18offset_tEEE10hipError_tPvRmT1_PNSt15iterator_traitsIS12_E10value_typeET2_T3_PNS13_IS18_E10value_typeET4_jRbjT5_S1E_jjP12ihipStream_tbEUljE_ZNSN_ISO_Lb1ESQ_SR_ST_SU_SY_EESZ_S10_S11_S12_S16_S17_S18_S1B_S1C_jS1D_jS1E_S1E_jjS1G_bEUljE0_EEESZ_S10_S11_S18_S1C_S1E_T6_T7_T9_mT8_S1G_bDpT10_ENKUlT_T0_E_clISt17integral_constantIbLb1EES1T_IbLb0EEEEDaS1P_S1Q_EUlS1P_E_NS1_11comp_targetILNS1_3genE2ELNS1_11target_archE906ELNS1_3gpuE6ELNS1_3repE0EEENS1_30default_config_static_selectorELNS0_4arch9wavefront6targetE1EEEvS12_.num_named_barrier, 0
	.set _ZN7rocprim17ROCPRIM_400000_NS6detail17trampoline_kernelINS0_13select_configILj256ELj13ELNS0_17block_load_methodE3ELS4_3ELS4_3ELNS0_20block_scan_algorithmE0ELj4294967295EEENS1_25partition_config_selectorILNS1_17partition_subalgoE4EjNS0_10empty_typeEbEEZZNS1_14partition_implILS8_4ELb0ES6_15HIP_vector_typeIjLj2EENS0_17counting_iteratorIjlEEPS9_SG_NS0_5tupleIJPjSI_NS0_16reverse_iteratorISI_EEEEENSH_IJSG_SG_SG_EEES9_SI_JZNS1_25segmented_radix_sort_implINS0_14default_configELb1EPKiPiPKlPlN2at6native12_GLOBAL__N_18offset_tEEE10hipError_tPvRmT1_PNSt15iterator_traitsIS12_E10value_typeET2_T3_PNS13_IS18_E10value_typeET4_jRbjT5_S1E_jjP12ihipStream_tbEUljE_ZNSN_ISO_Lb1ESQ_SR_ST_SU_SY_EESZ_S10_S11_S12_S16_S17_S18_S1B_S1C_jS1D_jS1E_S1E_jjS1G_bEUljE0_EEESZ_S10_S11_S18_S1C_S1E_T6_T7_T9_mT8_S1G_bDpT10_ENKUlT_T0_E_clISt17integral_constantIbLb1EES1T_IbLb0EEEEDaS1P_S1Q_EUlS1P_E_NS1_11comp_targetILNS1_3genE2ELNS1_11target_archE906ELNS1_3gpuE6ELNS1_3repE0EEENS1_30default_config_static_selectorELNS0_4arch9wavefront6targetE1EEEvS12_.private_seg_size, 0
	.set _ZN7rocprim17ROCPRIM_400000_NS6detail17trampoline_kernelINS0_13select_configILj256ELj13ELNS0_17block_load_methodE3ELS4_3ELS4_3ELNS0_20block_scan_algorithmE0ELj4294967295EEENS1_25partition_config_selectorILNS1_17partition_subalgoE4EjNS0_10empty_typeEbEEZZNS1_14partition_implILS8_4ELb0ES6_15HIP_vector_typeIjLj2EENS0_17counting_iteratorIjlEEPS9_SG_NS0_5tupleIJPjSI_NS0_16reverse_iteratorISI_EEEEENSH_IJSG_SG_SG_EEES9_SI_JZNS1_25segmented_radix_sort_implINS0_14default_configELb1EPKiPiPKlPlN2at6native12_GLOBAL__N_18offset_tEEE10hipError_tPvRmT1_PNSt15iterator_traitsIS12_E10value_typeET2_T3_PNS13_IS18_E10value_typeET4_jRbjT5_S1E_jjP12ihipStream_tbEUljE_ZNSN_ISO_Lb1ESQ_SR_ST_SU_SY_EESZ_S10_S11_S12_S16_S17_S18_S1B_S1C_jS1D_jS1E_S1E_jjS1G_bEUljE0_EEESZ_S10_S11_S18_S1C_S1E_T6_T7_T9_mT8_S1G_bDpT10_ENKUlT_T0_E_clISt17integral_constantIbLb1EES1T_IbLb0EEEEDaS1P_S1Q_EUlS1P_E_NS1_11comp_targetILNS1_3genE2ELNS1_11target_archE906ELNS1_3gpuE6ELNS1_3repE0EEENS1_30default_config_static_selectorELNS0_4arch9wavefront6targetE1EEEvS12_.uses_vcc, 0
	.set _ZN7rocprim17ROCPRIM_400000_NS6detail17trampoline_kernelINS0_13select_configILj256ELj13ELNS0_17block_load_methodE3ELS4_3ELS4_3ELNS0_20block_scan_algorithmE0ELj4294967295EEENS1_25partition_config_selectorILNS1_17partition_subalgoE4EjNS0_10empty_typeEbEEZZNS1_14partition_implILS8_4ELb0ES6_15HIP_vector_typeIjLj2EENS0_17counting_iteratorIjlEEPS9_SG_NS0_5tupleIJPjSI_NS0_16reverse_iteratorISI_EEEEENSH_IJSG_SG_SG_EEES9_SI_JZNS1_25segmented_radix_sort_implINS0_14default_configELb1EPKiPiPKlPlN2at6native12_GLOBAL__N_18offset_tEEE10hipError_tPvRmT1_PNSt15iterator_traitsIS12_E10value_typeET2_T3_PNS13_IS18_E10value_typeET4_jRbjT5_S1E_jjP12ihipStream_tbEUljE_ZNSN_ISO_Lb1ESQ_SR_ST_SU_SY_EESZ_S10_S11_S12_S16_S17_S18_S1B_S1C_jS1D_jS1E_S1E_jjS1G_bEUljE0_EEESZ_S10_S11_S18_S1C_S1E_T6_T7_T9_mT8_S1G_bDpT10_ENKUlT_T0_E_clISt17integral_constantIbLb1EES1T_IbLb0EEEEDaS1P_S1Q_EUlS1P_E_NS1_11comp_targetILNS1_3genE2ELNS1_11target_archE906ELNS1_3gpuE6ELNS1_3repE0EEENS1_30default_config_static_selectorELNS0_4arch9wavefront6targetE1EEEvS12_.uses_flat_scratch, 0
	.set _ZN7rocprim17ROCPRIM_400000_NS6detail17trampoline_kernelINS0_13select_configILj256ELj13ELNS0_17block_load_methodE3ELS4_3ELS4_3ELNS0_20block_scan_algorithmE0ELj4294967295EEENS1_25partition_config_selectorILNS1_17partition_subalgoE4EjNS0_10empty_typeEbEEZZNS1_14partition_implILS8_4ELb0ES6_15HIP_vector_typeIjLj2EENS0_17counting_iteratorIjlEEPS9_SG_NS0_5tupleIJPjSI_NS0_16reverse_iteratorISI_EEEEENSH_IJSG_SG_SG_EEES9_SI_JZNS1_25segmented_radix_sort_implINS0_14default_configELb1EPKiPiPKlPlN2at6native12_GLOBAL__N_18offset_tEEE10hipError_tPvRmT1_PNSt15iterator_traitsIS12_E10value_typeET2_T3_PNS13_IS18_E10value_typeET4_jRbjT5_S1E_jjP12ihipStream_tbEUljE_ZNSN_ISO_Lb1ESQ_SR_ST_SU_SY_EESZ_S10_S11_S12_S16_S17_S18_S1B_S1C_jS1D_jS1E_S1E_jjS1G_bEUljE0_EEESZ_S10_S11_S18_S1C_S1E_T6_T7_T9_mT8_S1G_bDpT10_ENKUlT_T0_E_clISt17integral_constantIbLb1EES1T_IbLb0EEEEDaS1P_S1Q_EUlS1P_E_NS1_11comp_targetILNS1_3genE2ELNS1_11target_archE906ELNS1_3gpuE6ELNS1_3repE0EEENS1_30default_config_static_selectorELNS0_4arch9wavefront6targetE1EEEvS12_.has_dyn_sized_stack, 0
	.set _ZN7rocprim17ROCPRIM_400000_NS6detail17trampoline_kernelINS0_13select_configILj256ELj13ELNS0_17block_load_methodE3ELS4_3ELS4_3ELNS0_20block_scan_algorithmE0ELj4294967295EEENS1_25partition_config_selectorILNS1_17partition_subalgoE4EjNS0_10empty_typeEbEEZZNS1_14partition_implILS8_4ELb0ES6_15HIP_vector_typeIjLj2EENS0_17counting_iteratorIjlEEPS9_SG_NS0_5tupleIJPjSI_NS0_16reverse_iteratorISI_EEEEENSH_IJSG_SG_SG_EEES9_SI_JZNS1_25segmented_radix_sort_implINS0_14default_configELb1EPKiPiPKlPlN2at6native12_GLOBAL__N_18offset_tEEE10hipError_tPvRmT1_PNSt15iterator_traitsIS12_E10value_typeET2_T3_PNS13_IS18_E10value_typeET4_jRbjT5_S1E_jjP12ihipStream_tbEUljE_ZNSN_ISO_Lb1ESQ_SR_ST_SU_SY_EESZ_S10_S11_S12_S16_S17_S18_S1B_S1C_jS1D_jS1E_S1E_jjS1G_bEUljE0_EEESZ_S10_S11_S18_S1C_S1E_T6_T7_T9_mT8_S1G_bDpT10_ENKUlT_T0_E_clISt17integral_constantIbLb1EES1T_IbLb0EEEEDaS1P_S1Q_EUlS1P_E_NS1_11comp_targetILNS1_3genE2ELNS1_11target_archE906ELNS1_3gpuE6ELNS1_3repE0EEENS1_30default_config_static_selectorELNS0_4arch9wavefront6targetE1EEEvS12_.has_recursion, 0
	.set _ZN7rocprim17ROCPRIM_400000_NS6detail17trampoline_kernelINS0_13select_configILj256ELj13ELNS0_17block_load_methodE3ELS4_3ELS4_3ELNS0_20block_scan_algorithmE0ELj4294967295EEENS1_25partition_config_selectorILNS1_17partition_subalgoE4EjNS0_10empty_typeEbEEZZNS1_14partition_implILS8_4ELb0ES6_15HIP_vector_typeIjLj2EENS0_17counting_iteratorIjlEEPS9_SG_NS0_5tupleIJPjSI_NS0_16reverse_iteratorISI_EEEEENSH_IJSG_SG_SG_EEES9_SI_JZNS1_25segmented_radix_sort_implINS0_14default_configELb1EPKiPiPKlPlN2at6native12_GLOBAL__N_18offset_tEEE10hipError_tPvRmT1_PNSt15iterator_traitsIS12_E10value_typeET2_T3_PNS13_IS18_E10value_typeET4_jRbjT5_S1E_jjP12ihipStream_tbEUljE_ZNSN_ISO_Lb1ESQ_SR_ST_SU_SY_EESZ_S10_S11_S12_S16_S17_S18_S1B_S1C_jS1D_jS1E_S1E_jjS1G_bEUljE0_EEESZ_S10_S11_S18_S1C_S1E_T6_T7_T9_mT8_S1G_bDpT10_ENKUlT_T0_E_clISt17integral_constantIbLb1EES1T_IbLb0EEEEDaS1P_S1Q_EUlS1P_E_NS1_11comp_targetILNS1_3genE2ELNS1_11target_archE906ELNS1_3gpuE6ELNS1_3repE0EEENS1_30default_config_static_selectorELNS0_4arch9wavefront6targetE1EEEvS12_.has_indirect_call, 0
	.section	.AMDGPU.csdata,"",@progbits
; Kernel info:
; codeLenInByte = 4
; TotalNumSgprs: 4
; NumVgprs: 0
; ScratchSize: 0
; MemoryBound: 0
; FloatMode: 240
; IeeeMode: 1
; LDSByteSize: 0 bytes/workgroup (compile time only)
; SGPRBlocks: 0
; VGPRBlocks: 0
; NumSGPRsForWavesPerEU: 4
; NumVGPRsForWavesPerEU: 1
; Occupancy: 10
; WaveLimiterHint : 0
; COMPUTE_PGM_RSRC2:SCRATCH_EN: 0
; COMPUTE_PGM_RSRC2:USER_SGPR: 6
; COMPUTE_PGM_RSRC2:TRAP_HANDLER: 0
; COMPUTE_PGM_RSRC2:TGID_X_EN: 1
; COMPUTE_PGM_RSRC2:TGID_Y_EN: 0
; COMPUTE_PGM_RSRC2:TGID_Z_EN: 0
; COMPUTE_PGM_RSRC2:TIDIG_COMP_CNT: 0
	.section	.text._ZN7rocprim17ROCPRIM_400000_NS6detail17trampoline_kernelINS0_13select_configILj256ELj13ELNS0_17block_load_methodE3ELS4_3ELS4_3ELNS0_20block_scan_algorithmE0ELj4294967295EEENS1_25partition_config_selectorILNS1_17partition_subalgoE4EjNS0_10empty_typeEbEEZZNS1_14partition_implILS8_4ELb0ES6_15HIP_vector_typeIjLj2EENS0_17counting_iteratorIjlEEPS9_SG_NS0_5tupleIJPjSI_NS0_16reverse_iteratorISI_EEEEENSH_IJSG_SG_SG_EEES9_SI_JZNS1_25segmented_radix_sort_implINS0_14default_configELb1EPKiPiPKlPlN2at6native12_GLOBAL__N_18offset_tEEE10hipError_tPvRmT1_PNSt15iterator_traitsIS12_E10value_typeET2_T3_PNS13_IS18_E10value_typeET4_jRbjT5_S1E_jjP12ihipStream_tbEUljE_ZNSN_ISO_Lb1ESQ_SR_ST_SU_SY_EESZ_S10_S11_S12_S16_S17_S18_S1B_S1C_jS1D_jS1E_S1E_jjS1G_bEUljE0_EEESZ_S10_S11_S18_S1C_S1E_T6_T7_T9_mT8_S1G_bDpT10_ENKUlT_T0_E_clISt17integral_constantIbLb1EES1T_IbLb0EEEEDaS1P_S1Q_EUlS1P_E_NS1_11comp_targetILNS1_3genE10ELNS1_11target_archE1200ELNS1_3gpuE4ELNS1_3repE0EEENS1_30default_config_static_selectorELNS0_4arch9wavefront6targetE1EEEvS12_,"axG",@progbits,_ZN7rocprim17ROCPRIM_400000_NS6detail17trampoline_kernelINS0_13select_configILj256ELj13ELNS0_17block_load_methodE3ELS4_3ELS4_3ELNS0_20block_scan_algorithmE0ELj4294967295EEENS1_25partition_config_selectorILNS1_17partition_subalgoE4EjNS0_10empty_typeEbEEZZNS1_14partition_implILS8_4ELb0ES6_15HIP_vector_typeIjLj2EENS0_17counting_iteratorIjlEEPS9_SG_NS0_5tupleIJPjSI_NS0_16reverse_iteratorISI_EEEEENSH_IJSG_SG_SG_EEES9_SI_JZNS1_25segmented_radix_sort_implINS0_14default_configELb1EPKiPiPKlPlN2at6native12_GLOBAL__N_18offset_tEEE10hipError_tPvRmT1_PNSt15iterator_traitsIS12_E10value_typeET2_T3_PNS13_IS18_E10value_typeET4_jRbjT5_S1E_jjP12ihipStream_tbEUljE_ZNSN_ISO_Lb1ESQ_SR_ST_SU_SY_EESZ_S10_S11_S12_S16_S17_S18_S1B_S1C_jS1D_jS1E_S1E_jjS1G_bEUljE0_EEESZ_S10_S11_S18_S1C_S1E_T6_T7_T9_mT8_S1G_bDpT10_ENKUlT_T0_E_clISt17integral_constantIbLb1EES1T_IbLb0EEEEDaS1P_S1Q_EUlS1P_E_NS1_11comp_targetILNS1_3genE10ELNS1_11target_archE1200ELNS1_3gpuE4ELNS1_3repE0EEENS1_30default_config_static_selectorELNS0_4arch9wavefront6targetE1EEEvS12_,comdat
	.globl	_ZN7rocprim17ROCPRIM_400000_NS6detail17trampoline_kernelINS0_13select_configILj256ELj13ELNS0_17block_load_methodE3ELS4_3ELS4_3ELNS0_20block_scan_algorithmE0ELj4294967295EEENS1_25partition_config_selectorILNS1_17partition_subalgoE4EjNS0_10empty_typeEbEEZZNS1_14partition_implILS8_4ELb0ES6_15HIP_vector_typeIjLj2EENS0_17counting_iteratorIjlEEPS9_SG_NS0_5tupleIJPjSI_NS0_16reverse_iteratorISI_EEEEENSH_IJSG_SG_SG_EEES9_SI_JZNS1_25segmented_radix_sort_implINS0_14default_configELb1EPKiPiPKlPlN2at6native12_GLOBAL__N_18offset_tEEE10hipError_tPvRmT1_PNSt15iterator_traitsIS12_E10value_typeET2_T3_PNS13_IS18_E10value_typeET4_jRbjT5_S1E_jjP12ihipStream_tbEUljE_ZNSN_ISO_Lb1ESQ_SR_ST_SU_SY_EESZ_S10_S11_S12_S16_S17_S18_S1B_S1C_jS1D_jS1E_S1E_jjS1G_bEUljE0_EEESZ_S10_S11_S18_S1C_S1E_T6_T7_T9_mT8_S1G_bDpT10_ENKUlT_T0_E_clISt17integral_constantIbLb1EES1T_IbLb0EEEEDaS1P_S1Q_EUlS1P_E_NS1_11comp_targetILNS1_3genE10ELNS1_11target_archE1200ELNS1_3gpuE4ELNS1_3repE0EEENS1_30default_config_static_selectorELNS0_4arch9wavefront6targetE1EEEvS12_ ; -- Begin function _ZN7rocprim17ROCPRIM_400000_NS6detail17trampoline_kernelINS0_13select_configILj256ELj13ELNS0_17block_load_methodE3ELS4_3ELS4_3ELNS0_20block_scan_algorithmE0ELj4294967295EEENS1_25partition_config_selectorILNS1_17partition_subalgoE4EjNS0_10empty_typeEbEEZZNS1_14partition_implILS8_4ELb0ES6_15HIP_vector_typeIjLj2EENS0_17counting_iteratorIjlEEPS9_SG_NS0_5tupleIJPjSI_NS0_16reverse_iteratorISI_EEEEENSH_IJSG_SG_SG_EEES9_SI_JZNS1_25segmented_radix_sort_implINS0_14default_configELb1EPKiPiPKlPlN2at6native12_GLOBAL__N_18offset_tEEE10hipError_tPvRmT1_PNSt15iterator_traitsIS12_E10value_typeET2_T3_PNS13_IS18_E10value_typeET4_jRbjT5_S1E_jjP12ihipStream_tbEUljE_ZNSN_ISO_Lb1ESQ_SR_ST_SU_SY_EESZ_S10_S11_S12_S16_S17_S18_S1B_S1C_jS1D_jS1E_S1E_jjS1G_bEUljE0_EEESZ_S10_S11_S18_S1C_S1E_T6_T7_T9_mT8_S1G_bDpT10_ENKUlT_T0_E_clISt17integral_constantIbLb1EES1T_IbLb0EEEEDaS1P_S1Q_EUlS1P_E_NS1_11comp_targetILNS1_3genE10ELNS1_11target_archE1200ELNS1_3gpuE4ELNS1_3repE0EEENS1_30default_config_static_selectorELNS0_4arch9wavefront6targetE1EEEvS12_
	.p2align	8
	.type	_ZN7rocprim17ROCPRIM_400000_NS6detail17trampoline_kernelINS0_13select_configILj256ELj13ELNS0_17block_load_methodE3ELS4_3ELS4_3ELNS0_20block_scan_algorithmE0ELj4294967295EEENS1_25partition_config_selectorILNS1_17partition_subalgoE4EjNS0_10empty_typeEbEEZZNS1_14partition_implILS8_4ELb0ES6_15HIP_vector_typeIjLj2EENS0_17counting_iteratorIjlEEPS9_SG_NS0_5tupleIJPjSI_NS0_16reverse_iteratorISI_EEEEENSH_IJSG_SG_SG_EEES9_SI_JZNS1_25segmented_radix_sort_implINS0_14default_configELb1EPKiPiPKlPlN2at6native12_GLOBAL__N_18offset_tEEE10hipError_tPvRmT1_PNSt15iterator_traitsIS12_E10value_typeET2_T3_PNS13_IS18_E10value_typeET4_jRbjT5_S1E_jjP12ihipStream_tbEUljE_ZNSN_ISO_Lb1ESQ_SR_ST_SU_SY_EESZ_S10_S11_S12_S16_S17_S18_S1B_S1C_jS1D_jS1E_S1E_jjS1G_bEUljE0_EEESZ_S10_S11_S18_S1C_S1E_T6_T7_T9_mT8_S1G_bDpT10_ENKUlT_T0_E_clISt17integral_constantIbLb1EES1T_IbLb0EEEEDaS1P_S1Q_EUlS1P_E_NS1_11comp_targetILNS1_3genE10ELNS1_11target_archE1200ELNS1_3gpuE4ELNS1_3repE0EEENS1_30default_config_static_selectorELNS0_4arch9wavefront6targetE1EEEvS12_,@function
_ZN7rocprim17ROCPRIM_400000_NS6detail17trampoline_kernelINS0_13select_configILj256ELj13ELNS0_17block_load_methodE3ELS4_3ELS4_3ELNS0_20block_scan_algorithmE0ELj4294967295EEENS1_25partition_config_selectorILNS1_17partition_subalgoE4EjNS0_10empty_typeEbEEZZNS1_14partition_implILS8_4ELb0ES6_15HIP_vector_typeIjLj2EENS0_17counting_iteratorIjlEEPS9_SG_NS0_5tupleIJPjSI_NS0_16reverse_iteratorISI_EEEEENSH_IJSG_SG_SG_EEES9_SI_JZNS1_25segmented_radix_sort_implINS0_14default_configELb1EPKiPiPKlPlN2at6native12_GLOBAL__N_18offset_tEEE10hipError_tPvRmT1_PNSt15iterator_traitsIS12_E10value_typeET2_T3_PNS13_IS18_E10value_typeET4_jRbjT5_S1E_jjP12ihipStream_tbEUljE_ZNSN_ISO_Lb1ESQ_SR_ST_SU_SY_EESZ_S10_S11_S12_S16_S17_S18_S1B_S1C_jS1D_jS1E_S1E_jjS1G_bEUljE0_EEESZ_S10_S11_S18_S1C_S1E_T6_T7_T9_mT8_S1G_bDpT10_ENKUlT_T0_E_clISt17integral_constantIbLb1EES1T_IbLb0EEEEDaS1P_S1Q_EUlS1P_E_NS1_11comp_targetILNS1_3genE10ELNS1_11target_archE1200ELNS1_3gpuE4ELNS1_3repE0EEENS1_30default_config_static_selectorELNS0_4arch9wavefront6targetE1EEEvS12_: ; @_ZN7rocprim17ROCPRIM_400000_NS6detail17trampoline_kernelINS0_13select_configILj256ELj13ELNS0_17block_load_methodE3ELS4_3ELS4_3ELNS0_20block_scan_algorithmE0ELj4294967295EEENS1_25partition_config_selectorILNS1_17partition_subalgoE4EjNS0_10empty_typeEbEEZZNS1_14partition_implILS8_4ELb0ES6_15HIP_vector_typeIjLj2EENS0_17counting_iteratorIjlEEPS9_SG_NS0_5tupleIJPjSI_NS0_16reverse_iteratorISI_EEEEENSH_IJSG_SG_SG_EEES9_SI_JZNS1_25segmented_radix_sort_implINS0_14default_configELb1EPKiPiPKlPlN2at6native12_GLOBAL__N_18offset_tEEE10hipError_tPvRmT1_PNSt15iterator_traitsIS12_E10value_typeET2_T3_PNS13_IS18_E10value_typeET4_jRbjT5_S1E_jjP12ihipStream_tbEUljE_ZNSN_ISO_Lb1ESQ_SR_ST_SU_SY_EESZ_S10_S11_S12_S16_S17_S18_S1B_S1C_jS1D_jS1E_S1E_jjS1G_bEUljE0_EEESZ_S10_S11_S18_S1C_S1E_T6_T7_T9_mT8_S1G_bDpT10_ENKUlT_T0_E_clISt17integral_constantIbLb1EES1T_IbLb0EEEEDaS1P_S1Q_EUlS1P_E_NS1_11comp_targetILNS1_3genE10ELNS1_11target_archE1200ELNS1_3gpuE4ELNS1_3repE0EEENS1_30default_config_static_selectorELNS0_4arch9wavefront6targetE1EEEvS12_
; %bb.0:
	.section	.rodata,"a",@progbits
	.p2align	6, 0x0
	.amdhsa_kernel _ZN7rocprim17ROCPRIM_400000_NS6detail17trampoline_kernelINS0_13select_configILj256ELj13ELNS0_17block_load_methodE3ELS4_3ELS4_3ELNS0_20block_scan_algorithmE0ELj4294967295EEENS1_25partition_config_selectorILNS1_17partition_subalgoE4EjNS0_10empty_typeEbEEZZNS1_14partition_implILS8_4ELb0ES6_15HIP_vector_typeIjLj2EENS0_17counting_iteratorIjlEEPS9_SG_NS0_5tupleIJPjSI_NS0_16reverse_iteratorISI_EEEEENSH_IJSG_SG_SG_EEES9_SI_JZNS1_25segmented_radix_sort_implINS0_14default_configELb1EPKiPiPKlPlN2at6native12_GLOBAL__N_18offset_tEEE10hipError_tPvRmT1_PNSt15iterator_traitsIS12_E10value_typeET2_T3_PNS13_IS18_E10value_typeET4_jRbjT5_S1E_jjP12ihipStream_tbEUljE_ZNSN_ISO_Lb1ESQ_SR_ST_SU_SY_EESZ_S10_S11_S12_S16_S17_S18_S1B_S1C_jS1D_jS1E_S1E_jjS1G_bEUljE0_EEESZ_S10_S11_S18_S1C_S1E_T6_T7_T9_mT8_S1G_bDpT10_ENKUlT_T0_E_clISt17integral_constantIbLb1EES1T_IbLb0EEEEDaS1P_S1Q_EUlS1P_E_NS1_11comp_targetILNS1_3genE10ELNS1_11target_archE1200ELNS1_3gpuE4ELNS1_3repE0EEENS1_30default_config_static_selectorELNS0_4arch9wavefront6targetE1EEEvS12_
		.amdhsa_group_segment_fixed_size 0
		.amdhsa_private_segment_fixed_size 0
		.amdhsa_kernarg_size 176
		.amdhsa_user_sgpr_count 6
		.amdhsa_user_sgpr_private_segment_buffer 1
		.amdhsa_user_sgpr_dispatch_ptr 0
		.amdhsa_user_sgpr_queue_ptr 0
		.amdhsa_user_sgpr_kernarg_segment_ptr 1
		.amdhsa_user_sgpr_dispatch_id 0
		.amdhsa_user_sgpr_flat_scratch_init 0
		.amdhsa_user_sgpr_private_segment_size 0
		.amdhsa_uses_dynamic_stack 0
		.amdhsa_system_sgpr_private_segment_wavefront_offset 0
		.amdhsa_system_sgpr_workgroup_id_x 1
		.amdhsa_system_sgpr_workgroup_id_y 0
		.amdhsa_system_sgpr_workgroup_id_z 0
		.amdhsa_system_sgpr_workgroup_info 0
		.amdhsa_system_vgpr_workitem_id 0
		.amdhsa_next_free_vgpr 1
		.amdhsa_next_free_sgpr 0
		.amdhsa_reserve_vcc 0
		.amdhsa_reserve_flat_scratch 0
		.amdhsa_float_round_mode_32 0
		.amdhsa_float_round_mode_16_64 0
		.amdhsa_float_denorm_mode_32 3
		.amdhsa_float_denorm_mode_16_64 3
		.amdhsa_dx10_clamp 1
		.amdhsa_ieee_mode 1
		.amdhsa_fp16_overflow 0
		.amdhsa_exception_fp_ieee_invalid_op 0
		.amdhsa_exception_fp_denorm_src 0
		.amdhsa_exception_fp_ieee_div_zero 0
		.amdhsa_exception_fp_ieee_overflow 0
		.amdhsa_exception_fp_ieee_underflow 0
		.amdhsa_exception_fp_ieee_inexact 0
		.amdhsa_exception_int_div_zero 0
	.end_amdhsa_kernel
	.section	.text._ZN7rocprim17ROCPRIM_400000_NS6detail17trampoline_kernelINS0_13select_configILj256ELj13ELNS0_17block_load_methodE3ELS4_3ELS4_3ELNS0_20block_scan_algorithmE0ELj4294967295EEENS1_25partition_config_selectorILNS1_17partition_subalgoE4EjNS0_10empty_typeEbEEZZNS1_14partition_implILS8_4ELb0ES6_15HIP_vector_typeIjLj2EENS0_17counting_iteratorIjlEEPS9_SG_NS0_5tupleIJPjSI_NS0_16reverse_iteratorISI_EEEEENSH_IJSG_SG_SG_EEES9_SI_JZNS1_25segmented_radix_sort_implINS0_14default_configELb1EPKiPiPKlPlN2at6native12_GLOBAL__N_18offset_tEEE10hipError_tPvRmT1_PNSt15iterator_traitsIS12_E10value_typeET2_T3_PNS13_IS18_E10value_typeET4_jRbjT5_S1E_jjP12ihipStream_tbEUljE_ZNSN_ISO_Lb1ESQ_SR_ST_SU_SY_EESZ_S10_S11_S12_S16_S17_S18_S1B_S1C_jS1D_jS1E_S1E_jjS1G_bEUljE0_EEESZ_S10_S11_S18_S1C_S1E_T6_T7_T9_mT8_S1G_bDpT10_ENKUlT_T0_E_clISt17integral_constantIbLb1EES1T_IbLb0EEEEDaS1P_S1Q_EUlS1P_E_NS1_11comp_targetILNS1_3genE10ELNS1_11target_archE1200ELNS1_3gpuE4ELNS1_3repE0EEENS1_30default_config_static_selectorELNS0_4arch9wavefront6targetE1EEEvS12_,"axG",@progbits,_ZN7rocprim17ROCPRIM_400000_NS6detail17trampoline_kernelINS0_13select_configILj256ELj13ELNS0_17block_load_methodE3ELS4_3ELS4_3ELNS0_20block_scan_algorithmE0ELj4294967295EEENS1_25partition_config_selectorILNS1_17partition_subalgoE4EjNS0_10empty_typeEbEEZZNS1_14partition_implILS8_4ELb0ES6_15HIP_vector_typeIjLj2EENS0_17counting_iteratorIjlEEPS9_SG_NS0_5tupleIJPjSI_NS0_16reverse_iteratorISI_EEEEENSH_IJSG_SG_SG_EEES9_SI_JZNS1_25segmented_radix_sort_implINS0_14default_configELb1EPKiPiPKlPlN2at6native12_GLOBAL__N_18offset_tEEE10hipError_tPvRmT1_PNSt15iterator_traitsIS12_E10value_typeET2_T3_PNS13_IS18_E10value_typeET4_jRbjT5_S1E_jjP12ihipStream_tbEUljE_ZNSN_ISO_Lb1ESQ_SR_ST_SU_SY_EESZ_S10_S11_S12_S16_S17_S18_S1B_S1C_jS1D_jS1E_S1E_jjS1G_bEUljE0_EEESZ_S10_S11_S18_S1C_S1E_T6_T7_T9_mT8_S1G_bDpT10_ENKUlT_T0_E_clISt17integral_constantIbLb1EES1T_IbLb0EEEEDaS1P_S1Q_EUlS1P_E_NS1_11comp_targetILNS1_3genE10ELNS1_11target_archE1200ELNS1_3gpuE4ELNS1_3repE0EEENS1_30default_config_static_selectorELNS0_4arch9wavefront6targetE1EEEvS12_,comdat
.Lfunc_end454:
	.size	_ZN7rocprim17ROCPRIM_400000_NS6detail17trampoline_kernelINS0_13select_configILj256ELj13ELNS0_17block_load_methodE3ELS4_3ELS4_3ELNS0_20block_scan_algorithmE0ELj4294967295EEENS1_25partition_config_selectorILNS1_17partition_subalgoE4EjNS0_10empty_typeEbEEZZNS1_14partition_implILS8_4ELb0ES6_15HIP_vector_typeIjLj2EENS0_17counting_iteratorIjlEEPS9_SG_NS0_5tupleIJPjSI_NS0_16reverse_iteratorISI_EEEEENSH_IJSG_SG_SG_EEES9_SI_JZNS1_25segmented_radix_sort_implINS0_14default_configELb1EPKiPiPKlPlN2at6native12_GLOBAL__N_18offset_tEEE10hipError_tPvRmT1_PNSt15iterator_traitsIS12_E10value_typeET2_T3_PNS13_IS18_E10value_typeET4_jRbjT5_S1E_jjP12ihipStream_tbEUljE_ZNSN_ISO_Lb1ESQ_SR_ST_SU_SY_EESZ_S10_S11_S12_S16_S17_S18_S1B_S1C_jS1D_jS1E_S1E_jjS1G_bEUljE0_EEESZ_S10_S11_S18_S1C_S1E_T6_T7_T9_mT8_S1G_bDpT10_ENKUlT_T0_E_clISt17integral_constantIbLb1EES1T_IbLb0EEEEDaS1P_S1Q_EUlS1P_E_NS1_11comp_targetILNS1_3genE10ELNS1_11target_archE1200ELNS1_3gpuE4ELNS1_3repE0EEENS1_30default_config_static_selectorELNS0_4arch9wavefront6targetE1EEEvS12_, .Lfunc_end454-_ZN7rocprim17ROCPRIM_400000_NS6detail17trampoline_kernelINS0_13select_configILj256ELj13ELNS0_17block_load_methodE3ELS4_3ELS4_3ELNS0_20block_scan_algorithmE0ELj4294967295EEENS1_25partition_config_selectorILNS1_17partition_subalgoE4EjNS0_10empty_typeEbEEZZNS1_14partition_implILS8_4ELb0ES6_15HIP_vector_typeIjLj2EENS0_17counting_iteratorIjlEEPS9_SG_NS0_5tupleIJPjSI_NS0_16reverse_iteratorISI_EEEEENSH_IJSG_SG_SG_EEES9_SI_JZNS1_25segmented_radix_sort_implINS0_14default_configELb1EPKiPiPKlPlN2at6native12_GLOBAL__N_18offset_tEEE10hipError_tPvRmT1_PNSt15iterator_traitsIS12_E10value_typeET2_T3_PNS13_IS18_E10value_typeET4_jRbjT5_S1E_jjP12ihipStream_tbEUljE_ZNSN_ISO_Lb1ESQ_SR_ST_SU_SY_EESZ_S10_S11_S12_S16_S17_S18_S1B_S1C_jS1D_jS1E_S1E_jjS1G_bEUljE0_EEESZ_S10_S11_S18_S1C_S1E_T6_T7_T9_mT8_S1G_bDpT10_ENKUlT_T0_E_clISt17integral_constantIbLb1EES1T_IbLb0EEEEDaS1P_S1Q_EUlS1P_E_NS1_11comp_targetILNS1_3genE10ELNS1_11target_archE1200ELNS1_3gpuE4ELNS1_3repE0EEENS1_30default_config_static_selectorELNS0_4arch9wavefront6targetE1EEEvS12_
                                        ; -- End function
	.set _ZN7rocprim17ROCPRIM_400000_NS6detail17trampoline_kernelINS0_13select_configILj256ELj13ELNS0_17block_load_methodE3ELS4_3ELS4_3ELNS0_20block_scan_algorithmE0ELj4294967295EEENS1_25partition_config_selectorILNS1_17partition_subalgoE4EjNS0_10empty_typeEbEEZZNS1_14partition_implILS8_4ELb0ES6_15HIP_vector_typeIjLj2EENS0_17counting_iteratorIjlEEPS9_SG_NS0_5tupleIJPjSI_NS0_16reverse_iteratorISI_EEEEENSH_IJSG_SG_SG_EEES9_SI_JZNS1_25segmented_radix_sort_implINS0_14default_configELb1EPKiPiPKlPlN2at6native12_GLOBAL__N_18offset_tEEE10hipError_tPvRmT1_PNSt15iterator_traitsIS12_E10value_typeET2_T3_PNS13_IS18_E10value_typeET4_jRbjT5_S1E_jjP12ihipStream_tbEUljE_ZNSN_ISO_Lb1ESQ_SR_ST_SU_SY_EESZ_S10_S11_S12_S16_S17_S18_S1B_S1C_jS1D_jS1E_S1E_jjS1G_bEUljE0_EEESZ_S10_S11_S18_S1C_S1E_T6_T7_T9_mT8_S1G_bDpT10_ENKUlT_T0_E_clISt17integral_constantIbLb1EES1T_IbLb0EEEEDaS1P_S1Q_EUlS1P_E_NS1_11comp_targetILNS1_3genE10ELNS1_11target_archE1200ELNS1_3gpuE4ELNS1_3repE0EEENS1_30default_config_static_selectorELNS0_4arch9wavefront6targetE1EEEvS12_.num_vgpr, 0
	.set _ZN7rocprim17ROCPRIM_400000_NS6detail17trampoline_kernelINS0_13select_configILj256ELj13ELNS0_17block_load_methodE3ELS4_3ELS4_3ELNS0_20block_scan_algorithmE0ELj4294967295EEENS1_25partition_config_selectorILNS1_17partition_subalgoE4EjNS0_10empty_typeEbEEZZNS1_14partition_implILS8_4ELb0ES6_15HIP_vector_typeIjLj2EENS0_17counting_iteratorIjlEEPS9_SG_NS0_5tupleIJPjSI_NS0_16reverse_iteratorISI_EEEEENSH_IJSG_SG_SG_EEES9_SI_JZNS1_25segmented_radix_sort_implINS0_14default_configELb1EPKiPiPKlPlN2at6native12_GLOBAL__N_18offset_tEEE10hipError_tPvRmT1_PNSt15iterator_traitsIS12_E10value_typeET2_T3_PNS13_IS18_E10value_typeET4_jRbjT5_S1E_jjP12ihipStream_tbEUljE_ZNSN_ISO_Lb1ESQ_SR_ST_SU_SY_EESZ_S10_S11_S12_S16_S17_S18_S1B_S1C_jS1D_jS1E_S1E_jjS1G_bEUljE0_EEESZ_S10_S11_S18_S1C_S1E_T6_T7_T9_mT8_S1G_bDpT10_ENKUlT_T0_E_clISt17integral_constantIbLb1EES1T_IbLb0EEEEDaS1P_S1Q_EUlS1P_E_NS1_11comp_targetILNS1_3genE10ELNS1_11target_archE1200ELNS1_3gpuE4ELNS1_3repE0EEENS1_30default_config_static_selectorELNS0_4arch9wavefront6targetE1EEEvS12_.num_agpr, 0
	.set _ZN7rocprim17ROCPRIM_400000_NS6detail17trampoline_kernelINS0_13select_configILj256ELj13ELNS0_17block_load_methodE3ELS4_3ELS4_3ELNS0_20block_scan_algorithmE0ELj4294967295EEENS1_25partition_config_selectorILNS1_17partition_subalgoE4EjNS0_10empty_typeEbEEZZNS1_14partition_implILS8_4ELb0ES6_15HIP_vector_typeIjLj2EENS0_17counting_iteratorIjlEEPS9_SG_NS0_5tupleIJPjSI_NS0_16reverse_iteratorISI_EEEEENSH_IJSG_SG_SG_EEES9_SI_JZNS1_25segmented_radix_sort_implINS0_14default_configELb1EPKiPiPKlPlN2at6native12_GLOBAL__N_18offset_tEEE10hipError_tPvRmT1_PNSt15iterator_traitsIS12_E10value_typeET2_T3_PNS13_IS18_E10value_typeET4_jRbjT5_S1E_jjP12ihipStream_tbEUljE_ZNSN_ISO_Lb1ESQ_SR_ST_SU_SY_EESZ_S10_S11_S12_S16_S17_S18_S1B_S1C_jS1D_jS1E_S1E_jjS1G_bEUljE0_EEESZ_S10_S11_S18_S1C_S1E_T6_T7_T9_mT8_S1G_bDpT10_ENKUlT_T0_E_clISt17integral_constantIbLb1EES1T_IbLb0EEEEDaS1P_S1Q_EUlS1P_E_NS1_11comp_targetILNS1_3genE10ELNS1_11target_archE1200ELNS1_3gpuE4ELNS1_3repE0EEENS1_30default_config_static_selectorELNS0_4arch9wavefront6targetE1EEEvS12_.numbered_sgpr, 0
	.set _ZN7rocprim17ROCPRIM_400000_NS6detail17trampoline_kernelINS0_13select_configILj256ELj13ELNS0_17block_load_methodE3ELS4_3ELS4_3ELNS0_20block_scan_algorithmE0ELj4294967295EEENS1_25partition_config_selectorILNS1_17partition_subalgoE4EjNS0_10empty_typeEbEEZZNS1_14partition_implILS8_4ELb0ES6_15HIP_vector_typeIjLj2EENS0_17counting_iteratorIjlEEPS9_SG_NS0_5tupleIJPjSI_NS0_16reverse_iteratorISI_EEEEENSH_IJSG_SG_SG_EEES9_SI_JZNS1_25segmented_radix_sort_implINS0_14default_configELb1EPKiPiPKlPlN2at6native12_GLOBAL__N_18offset_tEEE10hipError_tPvRmT1_PNSt15iterator_traitsIS12_E10value_typeET2_T3_PNS13_IS18_E10value_typeET4_jRbjT5_S1E_jjP12ihipStream_tbEUljE_ZNSN_ISO_Lb1ESQ_SR_ST_SU_SY_EESZ_S10_S11_S12_S16_S17_S18_S1B_S1C_jS1D_jS1E_S1E_jjS1G_bEUljE0_EEESZ_S10_S11_S18_S1C_S1E_T6_T7_T9_mT8_S1G_bDpT10_ENKUlT_T0_E_clISt17integral_constantIbLb1EES1T_IbLb0EEEEDaS1P_S1Q_EUlS1P_E_NS1_11comp_targetILNS1_3genE10ELNS1_11target_archE1200ELNS1_3gpuE4ELNS1_3repE0EEENS1_30default_config_static_selectorELNS0_4arch9wavefront6targetE1EEEvS12_.num_named_barrier, 0
	.set _ZN7rocprim17ROCPRIM_400000_NS6detail17trampoline_kernelINS0_13select_configILj256ELj13ELNS0_17block_load_methodE3ELS4_3ELS4_3ELNS0_20block_scan_algorithmE0ELj4294967295EEENS1_25partition_config_selectorILNS1_17partition_subalgoE4EjNS0_10empty_typeEbEEZZNS1_14partition_implILS8_4ELb0ES6_15HIP_vector_typeIjLj2EENS0_17counting_iteratorIjlEEPS9_SG_NS0_5tupleIJPjSI_NS0_16reverse_iteratorISI_EEEEENSH_IJSG_SG_SG_EEES9_SI_JZNS1_25segmented_radix_sort_implINS0_14default_configELb1EPKiPiPKlPlN2at6native12_GLOBAL__N_18offset_tEEE10hipError_tPvRmT1_PNSt15iterator_traitsIS12_E10value_typeET2_T3_PNS13_IS18_E10value_typeET4_jRbjT5_S1E_jjP12ihipStream_tbEUljE_ZNSN_ISO_Lb1ESQ_SR_ST_SU_SY_EESZ_S10_S11_S12_S16_S17_S18_S1B_S1C_jS1D_jS1E_S1E_jjS1G_bEUljE0_EEESZ_S10_S11_S18_S1C_S1E_T6_T7_T9_mT8_S1G_bDpT10_ENKUlT_T0_E_clISt17integral_constantIbLb1EES1T_IbLb0EEEEDaS1P_S1Q_EUlS1P_E_NS1_11comp_targetILNS1_3genE10ELNS1_11target_archE1200ELNS1_3gpuE4ELNS1_3repE0EEENS1_30default_config_static_selectorELNS0_4arch9wavefront6targetE1EEEvS12_.private_seg_size, 0
	.set _ZN7rocprim17ROCPRIM_400000_NS6detail17trampoline_kernelINS0_13select_configILj256ELj13ELNS0_17block_load_methodE3ELS4_3ELS4_3ELNS0_20block_scan_algorithmE0ELj4294967295EEENS1_25partition_config_selectorILNS1_17partition_subalgoE4EjNS0_10empty_typeEbEEZZNS1_14partition_implILS8_4ELb0ES6_15HIP_vector_typeIjLj2EENS0_17counting_iteratorIjlEEPS9_SG_NS0_5tupleIJPjSI_NS0_16reverse_iteratorISI_EEEEENSH_IJSG_SG_SG_EEES9_SI_JZNS1_25segmented_radix_sort_implINS0_14default_configELb1EPKiPiPKlPlN2at6native12_GLOBAL__N_18offset_tEEE10hipError_tPvRmT1_PNSt15iterator_traitsIS12_E10value_typeET2_T3_PNS13_IS18_E10value_typeET4_jRbjT5_S1E_jjP12ihipStream_tbEUljE_ZNSN_ISO_Lb1ESQ_SR_ST_SU_SY_EESZ_S10_S11_S12_S16_S17_S18_S1B_S1C_jS1D_jS1E_S1E_jjS1G_bEUljE0_EEESZ_S10_S11_S18_S1C_S1E_T6_T7_T9_mT8_S1G_bDpT10_ENKUlT_T0_E_clISt17integral_constantIbLb1EES1T_IbLb0EEEEDaS1P_S1Q_EUlS1P_E_NS1_11comp_targetILNS1_3genE10ELNS1_11target_archE1200ELNS1_3gpuE4ELNS1_3repE0EEENS1_30default_config_static_selectorELNS0_4arch9wavefront6targetE1EEEvS12_.uses_vcc, 0
	.set _ZN7rocprim17ROCPRIM_400000_NS6detail17trampoline_kernelINS0_13select_configILj256ELj13ELNS0_17block_load_methodE3ELS4_3ELS4_3ELNS0_20block_scan_algorithmE0ELj4294967295EEENS1_25partition_config_selectorILNS1_17partition_subalgoE4EjNS0_10empty_typeEbEEZZNS1_14partition_implILS8_4ELb0ES6_15HIP_vector_typeIjLj2EENS0_17counting_iteratorIjlEEPS9_SG_NS0_5tupleIJPjSI_NS0_16reverse_iteratorISI_EEEEENSH_IJSG_SG_SG_EEES9_SI_JZNS1_25segmented_radix_sort_implINS0_14default_configELb1EPKiPiPKlPlN2at6native12_GLOBAL__N_18offset_tEEE10hipError_tPvRmT1_PNSt15iterator_traitsIS12_E10value_typeET2_T3_PNS13_IS18_E10value_typeET4_jRbjT5_S1E_jjP12ihipStream_tbEUljE_ZNSN_ISO_Lb1ESQ_SR_ST_SU_SY_EESZ_S10_S11_S12_S16_S17_S18_S1B_S1C_jS1D_jS1E_S1E_jjS1G_bEUljE0_EEESZ_S10_S11_S18_S1C_S1E_T6_T7_T9_mT8_S1G_bDpT10_ENKUlT_T0_E_clISt17integral_constantIbLb1EES1T_IbLb0EEEEDaS1P_S1Q_EUlS1P_E_NS1_11comp_targetILNS1_3genE10ELNS1_11target_archE1200ELNS1_3gpuE4ELNS1_3repE0EEENS1_30default_config_static_selectorELNS0_4arch9wavefront6targetE1EEEvS12_.uses_flat_scratch, 0
	.set _ZN7rocprim17ROCPRIM_400000_NS6detail17trampoline_kernelINS0_13select_configILj256ELj13ELNS0_17block_load_methodE3ELS4_3ELS4_3ELNS0_20block_scan_algorithmE0ELj4294967295EEENS1_25partition_config_selectorILNS1_17partition_subalgoE4EjNS0_10empty_typeEbEEZZNS1_14partition_implILS8_4ELb0ES6_15HIP_vector_typeIjLj2EENS0_17counting_iteratorIjlEEPS9_SG_NS0_5tupleIJPjSI_NS0_16reverse_iteratorISI_EEEEENSH_IJSG_SG_SG_EEES9_SI_JZNS1_25segmented_radix_sort_implINS0_14default_configELb1EPKiPiPKlPlN2at6native12_GLOBAL__N_18offset_tEEE10hipError_tPvRmT1_PNSt15iterator_traitsIS12_E10value_typeET2_T3_PNS13_IS18_E10value_typeET4_jRbjT5_S1E_jjP12ihipStream_tbEUljE_ZNSN_ISO_Lb1ESQ_SR_ST_SU_SY_EESZ_S10_S11_S12_S16_S17_S18_S1B_S1C_jS1D_jS1E_S1E_jjS1G_bEUljE0_EEESZ_S10_S11_S18_S1C_S1E_T6_T7_T9_mT8_S1G_bDpT10_ENKUlT_T0_E_clISt17integral_constantIbLb1EES1T_IbLb0EEEEDaS1P_S1Q_EUlS1P_E_NS1_11comp_targetILNS1_3genE10ELNS1_11target_archE1200ELNS1_3gpuE4ELNS1_3repE0EEENS1_30default_config_static_selectorELNS0_4arch9wavefront6targetE1EEEvS12_.has_dyn_sized_stack, 0
	.set _ZN7rocprim17ROCPRIM_400000_NS6detail17trampoline_kernelINS0_13select_configILj256ELj13ELNS0_17block_load_methodE3ELS4_3ELS4_3ELNS0_20block_scan_algorithmE0ELj4294967295EEENS1_25partition_config_selectorILNS1_17partition_subalgoE4EjNS0_10empty_typeEbEEZZNS1_14partition_implILS8_4ELb0ES6_15HIP_vector_typeIjLj2EENS0_17counting_iteratorIjlEEPS9_SG_NS0_5tupleIJPjSI_NS0_16reverse_iteratorISI_EEEEENSH_IJSG_SG_SG_EEES9_SI_JZNS1_25segmented_radix_sort_implINS0_14default_configELb1EPKiPiPKlPlN2at6native12_GLOBAL__N_18offset_tEEE10hipError_tPvRmT1_PNSt15iterator_traitsIS12_E10value_typeET2_T3_PNS13_IS18_E10value_typeET4_jRbjT5_S1E_jjP12ihipStream_tbEUljE_ZNSN_ISO_Lb1ESQ_SR_ST_SU_SY_EESZ_S10_S11_S12_S16_S17_S18_S1B_S1C_jS1D_jS1E_S1E_jjS1G_bEUljE0_EEESZ_S10_S11_S18_S1C_S1E_T6_T7_T9_mT8_S1G_bDpT10_ENKUlT_T0_E_clISt17integral_constantIbLb1EES1T_IbLb0EEEEDaS1P_S1Q_EUlS1P_E_NS1_11comp_targetILNS1_3genE10ELNS1_11target_archE1200ELNS1_3gpuE4ELNS1_3repE0EEENS1_30default_config_static_selectorELNS0_4arch9wavefront6targetE1EEEvS12_.has_recursion, 0
	.set _ZN7rocprim17ROCPRIM_400000_NS6detail17trampoline_kernelINS0_13select_configILj256ELj13ELNS0_17block_load_methodE3ELS4_3ELS4_3ELNS0_20block_scan_algorithmE0ELj4294967295EEENS1_25partition_config_selectorILNS1_17partition_subalgoE4EjNS0_10empty_typeEbEEZZNS1_14partition_implILS8_4ELb0ES6_15HIP_vector_typeIjLj2EENS0_17counting_iteratorIjlEEPS9_SG_NS0_5tupleIJPjSI_NS0_16reverse_iteratorISI_EEEEENSH_IJSG_SG_SG_EEES9_SI_JZNS1_25segmented_radix_sort_implINS0_14default_configELb1EPKiPiPKlPlN2at6native12_GLOBAL__N_18offset_tEEE10hipError_tPvRmT1_PNSt15iterator_traitsIS12_E10value_typeET2_T3_PNS13_IS18_E10value_typeET4_jRbjT5_S1E_jjP12ihipStream_tbEUljE_ZNSN_ISO_Lb1ESQ_SR_ST_SU_SY_EESZ_S10_S11_S12_S16_S17_S18_S1B_S1C_jS1D_jS1E_S1E_jjS1G_bEUljE0_EEESZ_S10_S11_S18_S1C_S1E_T6_T7_T9_mT8_S1G_bDpT10_ENKUlT_T0_E_clISt17integral_constantIbLb1EES1T_IbLb0EEEEDaS1P_S1Q_EUlS1P_E_NS1_11comp_targetILNS1_3genE10ELNS1_11target_archE1200ELNS1_3gpuE4ELNS1_3repE0EEENS1_30default_config_static_selectorELNS0_4arch9wavefront6targetE1EEEvS12_.has_indirect_call, 0
	.section	.AMDGPU.csdata,"",@progbits
; Kernel info:
; codeLenInByte = 0
; TotalNumSgprs: 4
; NumVgprs: 0
; ScratchSize: 0
; MemoryBound: 0
; FloatMode: 240
; IeeeMode: 1
; LDSByteSize: 0 bytes/workgroup (compile time only)
; SGPRBlocks: 0
; VGPRBlocks: 0
; NumSGPRsForWavesPerEU: 4
; NumVGPRsForWavesPerEU: 1
; Occupancy: 10
; WaveLimiterHint : 0
; COMPUTE_PGM_RSRC2:SCRATCH_EN: 0
; COMPUTE_PGM_RSRC2:USER_SGPR: 6
; COMPUTE_PGM_RSRC2:TRAP_HANDLER: 0
; COMPUTE_PGM_RSRC2:TGID_X_EN: 1
; COMPUTE_PGM_RSRC2:TGID_Y_EN: 0
; COMPUTE_PGM_RSRC2:TGID_Z_EN: 0
; COMPUTE_PGM_RSRC2:TIDIG_COMP_CNT: 0
	.section	.text._ZN7rocprim17ROCPRIM_400000_NS6detail17trampoline_kernelINS0_13select_configILj256ELj13ELNS0_17block_load_methodE3ELS4_3ELS4_3ELNS0_20block_scan_algorithmE0ELj4294967295EEENS1_25partition_config_selectorILNS1_17partition_subalgoE4EjNS0_10empty_typeEbEEZZNS1_14partition_implILS8_4ELb0ES6_15HIP_vector_typeIjLj2EENS0_17counting_iteratorIjlEEPS9_SG_NS0_5tupleIJPjSI_NS0_16reverse_iteratorISI_EEEEENSH_IJSG_SG_SG_EEES9_SI_JZNS1_25segmented_radix_sort_implINS0_14default_configELb1EPKiPiPKlPlN2at6native12_GLOBAL__N_18offset_tEEE10hipError_tPvRmT1_PNSt15iterator_traitsIS12_E10value_typeET2_T3_PNS13_IS18_E10value_typeET4_jRbjT5_S1E_jjP12ihipStream_tbEUljE_ZNSN_ISO_Lb1ESQ_SR_ST_SU_SY_EESZ_S10_S11_S12_S16_S17_S18_S1B_S1C_jS1D_jS1E_S1E_jjS1G_bEUljE0_EEESZ_S10_S11_S18_S1C_S1E_T6_T7_T9_mT8_S1G_bDpT10_ENKUlT_T0_E_clISt17integral_constantIbLb1EES1T_IbLb0EEEEDaS1P_S1Q_EUlS1P_E_NS1_11comp_targetILNS1_3genE9ELNS1_11target_archE1100ELNS1_3gpuE3ELNS1_3repE0EEENS1_30default_config_static_selectorELNS0_4arch9wavefront6targetE1EEEvS12_,"axG",@progbits,_ZN7rocprim17ROCPRIM_400000_NS6detail17trampoline_kernelINS0_13select_configILj256ELj13ELNS0_17block_load_methodE3ELS4_3ELS4_3ELNS0_20block_scan_algorithmE0ELj4294967295EEENS1_25partition_config_selectorILNS1_17partition_subalgoE4EjNS0_10empty_typeEbEEZZNS1_14partition_implILS8_4ELb0ES6_15HIP_vector_typeIjLj2EENS0_17counting_iteratorIjlEEPS9_SG_NS0_5tupleIJPjSI_NS0_16reverse_iteratorISI_EEEEENSH_IJSG_SG_SG_EEES9_SI_JZNS1_25segmented_radix_sort_implINS0_14default_configELb1EPKiPiPKlPlN2at6native12_GLOBAL__N_18offset_tEEE10hipError_tPvRmT1_PNSt15iterator_traitsIS12_E10value_typeET2_T3_PNS13_IS18_E10value_typeET4_jRbjT5_S1E_jjP12ihipStream_tbEUljE_ZNSN_ISO_Lb1ESQ_SR_ST_SU_SY_EESZ_S10_S11_S12_S16_S17_S18_S1B_S1C_jS1D_jS1E_S1E_jjS1G_bEUljE0_EEESZ_S10_S11_S18_S1C_S1E_T6_T7_T9_mT8_S1G_bDpT10_ENKUlT_T0_E_clISt17integral_constantIbLb1EES1T_IbLb0EEEEDaS1P_S1Q_EUlS1P_E_NS1_11comp_targetILNS1_3genE9ELNS1_11target_archE1100ELNS1_3gpuE3ELNS1_3repE0EEENS1_30default_config_static_selectorELNS0_4arch9wavefront6targetE1EEEvS12_,comdat
	.globl	_ZN7rocprim17ROCPRIM_400000_NS6detail17trampoline_kernelINS0_13select_configILj256ELj13ELNS0_17block_load_methodE3ELS4_3ELS4_3ELNS0_20block_scan_algorithmE0ELj4294967295EEENS1_25partition_config_selectorILNS1_17partition_subalgoE4EjNS0_10empty_typeEbEEZZNS1_14partition_implILS8_4ELb0ES6_15HIP_vector_typeIjLj2EENS0_17counting_iteratorIjlEEPS9_SG_NS0_5tupleIJPjSI_NS0_16reverse_iteratorISI_EEEEENSH_IJSG_SG_SG_EEES9_SI_JZNS1_25segmented_radix_sort_implINS0_14default_configELb1EPKiPiPKlPlN2at6native12_GLOBAL__N_18offset_tEEE10hipError_tPvRmT1_PNSt15iterator_traitsIS12_E10value_typeET2_T3_PNS13_IS18_E10value_typeET4_jRbjT5_S1E_jjP12ihipStream_tbEUljE_ZNSN_ISO_Lb1ESQ_SR_ST_SU_SY_EESZ_S10_S11_S12_S16_S17_S18_S1B_S1C_jS1D_jS1E_S1E_jjS1G_bEUljE0_EEESZ_S10_S11_S18_S1C_S1E_T6_T7_T9_mT8_S1G_bDpT10_ENKUlT_T0_E_clISt17integral_constantIbLb1EES1T_IbLb0EEEEDaS1P_S1Q_EUlS1P_E_NS1_11comp_targetILNS1_3genE9ELNS1_11target_archE1100ELNS1_3gpuE3ELNS1_3repE0EEENS1_30default_config_static_selectorELNS0_4arch9wavefront6targetE1EEEvS12_ ; -- Begin function _ZN7rocprim17ROCPRIM_400000_NS6detail17trampoline_kernelINS0_13select_configILj256ELj13ELNS0_17block_load_methodE3ELS4_3ELS4_3ELNS0_20block_scan_algorithmE0ELj4294967295EEENS1_25partition_config_selectorILNS1_17partition_subalgoE4EjNS0_10empty_typeEbEEZZNS1_14partition_implILS8_4ELb0ES6_15HIP_vector_typeIjLj2EENS0_17counting_iteratorIjlEEPS9_SG_NS0_5tupleIJPjSI_NS0_16reverse_iteratorISI_EEEEENSH_IJSG_SG_SG_EEES9_SI_JZNS1_25segmented_radix_sort_implINS0_14default_configELb1EPKiPiPKlPlN2at6native12_GLOBAL__N_18offset_tEEE10hipError_tPvRmT1_PNSt15iterator_traitsIS12_E10value_typeET2_T3_PNS13_IS18_E10value_typeET4_jRbjT5_S1E_jjP12ihipStream_tbEUljE_ZNSN_ISO_Lb1ESQ_SR_ST_SU_SY_EESZ_S10_S11_S12_S16_S17_S18_S1B_S1C_jS1D_jS1E_S1E_jjS1G_bEUljE0_EEESZ_S10_S11_S18_S1C_S1E_T6_T7_T9_mT8_S1G_bDpT10_ENKUlT_T0_E_clISt17integral_constantIbLb1EES1T_IbLb0EEEEDaS1P_S1Q_EUlS1P_E_NS1_11comp_targetILNS1_3genE9ELNS1_11target_archE1100ELNS1_3gpuE3ELNS1_3repE0EEENS1_30default_config_static_selectorELNS0_4arch9wavefront6targetE1EEEvS12_
	.p2align	8
	.type	_ZN7rocprim17ROCPRIM_400000_NS6detail17trampoline_kernelINS0_13select_configILj256ELj13ELNS0_17block_load_methodE3ELS4_3ELS4_3ELNS0_20block_scan_algorithmE0ELj4294967295EEENS1_25partition_config_selectorILNS1_17partition_subalgoE4EjNS0_10empty_typeEbEEZZNS1_14partition_implILS8_4ELb0ES6_15HIP_vector_typeIjLj2EENS0_17counting_iteratorIjlEEPS9_SG_NS0_5tupleIJPjSI_NS0_16reverse_iteratorISI_EEEEENSH_IJSG_SG_SG_EEES9_SI_JZNS1_25segmented_radix_sort_implINS0_14default_configELb1EPKiPiPKlPlN2at6native12_GLOBAL__N_18offset_tEEE10hipError_tPvRmT1_PNSt15iterator_traitsIS12_E10value_typeET2_T3_PNS13_IS18_E10value_typeET4_jRbjT5_S1E_jjP12ihipStream_tbEUljE_ZNSN_ISO_Lb1ESQ_SR_ST_SU_SY_EESZ_S10_S11_S12_S16_S17_S18_S1B_S1C_jS1D_jS1E_S1E_jjS1G_bEUljE0_EEESZ_S10_S11_S18_S1C_S1E_T6_T7_T9_mT8_S1G_bDpT10_ENKUlT_T0_E_clISt17integral_constantIbLb1EES1T_IbLb0EEEEDaS1P_S1Q_EUlS1P_E_NS1_11comp_targetILNS1_3genE9ELNS1_11target_archE1100ELNS1_3gpuE3ELNS1_3repE0EEENS1_30default_config_static_selectorELNS0_4arch9wavefront6targetE1EEEvS12_,@function
_ZN7rocprim17ROCPRIM_400000_NS6detail17trampoline_kernelINS0_13select_configILj256ELj13ELNS0_17block_load_methodE3ELS4_3ELS4_3ELNS0_20block_scan_algorithmE0ELj4294967295EEENS1_25partition_config_selectorILNS1_17partition_subalgoE4EjNS0_10empty_typeEbEEZZNS1_14partition_implILS8_4ELb0ES6_15HIP_vector_typeIjLj2EENS0_17counting_iteratorIjlEEPS9_SG_NS0_5tupleIJPjSI_NS0_16reverse_iteratorISI_EEEEENSH_IJSG_SG_SG_EEES9_SI_JZNS1_25segmented_radix_sort_implINS0_14default_configELb1EPKiPiPKlPlN2at6native12_GLOBAL__N_18offset_tEEE10hipError_tPvRmT1_PNSt15iterator_traitsIS12_E10value_typeET2_T3_PNS13_IS18_E10value_typeET4_jRbjT5_S1E_jjP12ihipStream_tbEUljE_ZNSN_ISO_Lb1ESQ_SR_ST_SU_SY_EESZ_S10_S11_S12_S16_S17_S18_S1B_S1C_jS1D_jS1E_S1E_jjS1G_bEUljE0_EEESZ_S10_S11_S18_S1C_S1E_T6_T7_T9_mT8_S1G_bDpT10_ENKUlT_T0_E_clISt17integral_constantIbLb1EES1T_IbLb0EEEEDaS1P_S1Q_EUlS1P_E_NS1_11comp_targetILNS1_3genE9ELNS1_11target_archE1100ELNS1_3gpuE3ELNS1_3repE0EEENS1_30default_config_static_selectorELNS0_4arch9wavefront6targetE1EEEvS12_: ; @_ZN7rocprim17ROCPRIM_400000_NS6detail17trampoline_kernelINS0_13select_configILj256ELj13ELNS0_17block_load_methodE3ELS4_3ELS4_3ELNS0_20block_scan_algorithmE0ELj4294967295EEENS1_25partition_config_selectorILNS1_17partition_subalgoE4EjNS0_10empty_typeEbEEZZNS1_14partition_implILS8_4ELb0ES6_15HIP_vector_typeIjLj2EENS0_17counting_iteratorIjlEEPS9_SG_NS0_5tupleIJPjSI_NS0_16reverse_iteratorISI_EEEEENSH_IJSG_SG_SG_EEES9_SI_JZNS1_25segmented_radix_sort_implINS0_14default_configELb1EPKiPiPKlPlN2at6native12_GLOBAL__N_18offset_tEEE10hipError_tPvRmT1_PNSt15iterator_traitsIS12_E10value_typeET2_T3_PNS13_IS18_E10value_typeET4_jRbjT5_S1E_jjP12ihipStream_tbEUljE_ZNSN_ISO_Lb1ESQ_SR_ST_SU_SY_EESZ_S10_S11_S12_S16_S17_S18_S1B_S1C_jS1D_jS1E_S1E_jjS1G_bEUljE0_EEESZ_S10_S11_S18_S1C_S1E_T6_T7_T9_mT8_S1G_bDpT10_ENKUlT_T0_E_clISt17integral_constantIbLb1EES1T_IbLb0EEEEDaS1P_S1Q_EUlS1P_E_NS1_11comp_targetILNS1_3genE9ELNS1_11target_archE1100ELNS1_3gpuE3ELNS1_3repE0EEENS1_30default_config_static_selectorELNS0_4arch9wavefront6targetE1EEEvS12_
; %bb.0:
	.section	.rodata,"a",@progbits
	.p2align	6, 0x0
	.amdhsa_kernel _ZN7rocprim17ROCPRIM_400000_NS6detail17trampoline_kernelINS0_13select_configILj256ELj13ELNS0_17block_load_methodE3ELS4_3ELS4_3ELNS0_20block_scan_algorithmE0ELj4294967295EEENS1_25partition_config_selectorILNS1_17partition_subalgoE4EjNS0_10empty_typeEbEEZZNS1_14partition_implILS8_4ELb0ES6_15HIP_vector_typeIjLj2EENS0_17counting_iteratorIjlEEPS9_SG_NS0_5tupleIJPjSI_NS0_16reverse_iteratorISI_EEEEENSH_IJSG_SG_SG_EEES9_SI_JZNS1_25segmented_radix_sort_implINS0_14default_configELb1EPKiPiPKlPlN2at6native12_GLOBAL__N_18offset_tEEE10hipError_tPvRmT1_PNSt15iterator_traitsIS12_E10value_typeET2_T3_PNS13_IS18_E10value_typeET4_jRbjT5_S1E_jjP12ihipStream_tbEUljE_ZNSN_ISO_Lb1ESQ_SR_ST_SU_SY_EESZ_S10_S11_S12_S16_S17_S18_S1B_S1C_jS1D_jS1E_S1E_jjS1G_bEUljE0_EEESZ_S10_S11_S18_S1C_S1E_T6_T7_T9_mT8_S1G_bDpT10_ENKUlT_T0_E_clISt17integral_constantIbLb1EES1T_IbLb0EEEEDaS1P_S1Q_EUlS1P_E_NS1_11comp_targetILNS1_3genE9ELNS1_11target_archE1100ELNS1_3gpuE3ELNS1_3repE0EEENS1_30default_config_static_selectorELNS0_4arch9wavefront6targetE1EEEvS12_
		.amdhsa_group_segment_fixed_size 0
		.amdhsa_private_segment_fixed_size 0
		.amdhsa_kernarg_size 176
		.amdhsa_user_sgpr_count 6
		.amdhsa_user_sgpr_private_segment_buffer 1
		.amdhsa_user_sgpr_dispatch_ptr 0
		.amdhsa_user_sgpr_queue_ptr 0
		.amdhsa_user_sgpr_kernarg_segment_ptr 1
		.amdhsa_user_sgpr_dispatch_id 0
		.amdhsa_user_sgpr_flat_scratch_init 0
		.amdhsa_user_sgpr_private_segment_size 0
		.amdhsa_uses_dynamic_stack 0
		.amdhsa_system_sgpr_private_segment_wavefront_offset 0
		.amdhsa_system_sgpr_workgroup_id_x 1
		.amdhsa_system_sgpr_workgroup_id_y 0
		.amdhsa_system_sgpr_workgroup_id_z 0
		.amdhsa_system_sgpr_workgroup_info 0
		.amdhsa_system_vgpr_workitem_id 0
		.amdhsa_next_free_vgpr 1
		.amdhsa_next_free_sgpr 0
		.amdhsa_reserve_vcc 0
		.amdhsa_reserve_flat_scratch 0
		.amdhsa_float_round_mode_32 0
		.amdhsa_float_round_mode_16_64 0
		.amdhsa_float_denorm_mode_32 3
		.amdhsa_float_denorm_mode_16_64 3
		.amdhsa_dx10_clamp 1
		.amdhsa_ieee_mode 1
		.amdhsa_fp16_overflow 0
		.amdhsa_exception_fp_ieee_invalid_op 0
		.amdhsa_exception_fp_denorm_src 0
		.amdhsa_exception_fp_ieee_div_zero 0
		.amdhsa_exception_fp_ieee_overflow 0
		.amdhsa_exception_fp_ieee_underflow 0
		.amdhsa_exception_fp_ieee_inexact 0
		.amdhsa_exception_int_div_zero 0
	.end_amdhsa_kernel
	.section	.text._ZN7rocprim17ROCPRIM_400000_NS6detail17trampoline_kernelINS0_13select_configILj256ELj13ELNS0_17block_load_methodE3ELS4_3ELS4_3ELNS0_20block_scan_algorithmE0ELj4294967295EEENS1_25partition_config_selectorILNS1_17partition_subalgoE4EjNS0_10empty_typeEbEEZZNS1_14partition_implILS8_4ELb0ES6_15HIP_vector_typeIjLj2EENS0_17counting_iteratorIjlEEPS9_SG_NS0_5tupleIJPjSI_NS0_16reverse_iteratorISI_EEEEENSH_IJSG_SG_SG_EEES9_SI_JZNS1_25segmented_radix_sort_implINS0_14default_configELb1EPKiPiPKlPlN2at6native12_GLOBAL__N_18offset_tEEE10hipError_tPvRmT1_PNSt15iterator_traitsIS12_E10value_typeET2_T3_PNS13_IS18_E10value_typeET4_jRbjT5_S1E_jjP12ihipStream_tbEUljE_ZNSN_ISO_Lb1ESQ_SR_ST_SU_SY_EESZ_S10_S11_S12_S16_S17_S18_S1B_S1C_jS1D_jS1E_S1E_jjS1G_bEUljE0_EEESZ_S10_S11_S18_S1C_S1E_T6_T7_T9_mT8_S1G_bDpT10_ENKUlT_T0_E_clISt17integral_constantIbLb1EES1T_IbLb0EEEEDaS1P_S1Q_EUlS1P_E_NS1_11comp_targetILNS1_3genE9ELNS1_11target_archE1100ELNS1_3gpuE3ELNS1_3repE0EEENS1_30default_config_static_selectorELNS0_4arch9wavefront6targetE1EEEvS12_,"axG",@progbits,_ZN7rocprim17ROCPRIM_400000_NS6detail17trampoline_kernelINS0_13select_configILj256ELj13ELNS0_17block_load_methodE3ELS4_3ELS4_3ELNS0_20block_scan_algorithmE0ELj4294967295EEENS1_25partition_config_selectorILNS1_17partition_subalgoE4EjNS0_10empty_typeEbEEZZNS1_14partition_implILS8_4ELb0ES6_15HIP_vector_typeIjLj2EENS0_17counting_iteratorIjlEEPS9_SG_NS0_5tupleIJPjSI_NS0_16reverse_iteratorISI_EEEEENSH_IJSG_SG_SG_EEES9_SI_JZNS1_25segmented_radix_sort_implINS0_14default_configELb1EPKiPiPKlPlN2at6native12_GLOBAL__N_18offset_tEEE10hipError_tPvRmT1_PNSt15iterator_traitsIS12_E10value_typeET2_T3_PNS13_IS18_E10value_typeET4_jRbjT5_S1E_jjP12ihipStream_tbEUljE_ZNSN_ISO_Lb1ESQ_SR_ST_SU_SY_EESZ_S10_S11_S12_S16_S17_S18_S1B_S1C_jS1D_jS1E_S1E_jjS1G_bEUljE0_EEESZ_S10_S11_S18_S1C_S1E_T6_T7_T9_mT8_S1G_bDpT10_ENKUlT_T0_E_clISt17integral_constantIbLb1EES1T_IbLb0EEEEDaS1P_S1Q_EUlS1P_E_NS1_11comp_targetILNS1_3genE9ELNS1_11target_archE1100ELNS1_3gpuE3ELNS1_3repE0EEENS1_30default_config_static_selectorELNS0_4arch9wavefront6targetE1EEEvS12_,comdat
.Lfunc_end455:
	.size	_ZN7rocprim17ROCPRIM_400000_NS6detail17trampoline_kernelINS0_13select_configILj256ELj13ELNS0_17block_load_methodE3ELS4_3ELS4_3ELNS0_20block_scan_algorithmE0ELj4294967295EEENS1_25partition_config_selectorILNS1_17partition_subalgoE4EjNS0_10empty_typeEbEEZZNS1_14partition_implILS8_4ELb0ES6_15HIP_vector_typeIjLj2EENS0_17counting_iteratorIjlEEPS9_SG_NS0_5tupleIJPjSI_NS0_16reverse_iteratorISI_EEEEENSH_IJSG_SG_SG_EEES9_SI_JZNS1_25segmented_radix_sort_implINS0_14default_configELb1EPKiPiPKlPlN2at6native12_GLOBAL__N_18offset_tEEE10hipError_tPvRmT1_PNSt15iterator_traitsIS12_E10value_typeET2_T3_PNS13_IS18_E10value_typeET4_jRbjT5_S1E_jjP12ihipStream_tbEUljE_ZNSN_ISO_Lb1ESQ_SR_ST_SU_SY_EESZ_S10_S11_S12_S16_S17_S18_S1B_S1C_jS1D_jS1E_S1E_jjS1G_bEUljE0_EEESZ_S10_S11_S18_S1C_S1E_T6_T7_T9_mT8_S1G_bDpT10_ENKUlT_T0_E_clISt17integral_constantIbLb1EES1T_IbLb0EEEEDaS1P_S1Q_EUlS1P_E_NS1_11comp_targetILNS1_3genE9ELNS1_11target_archE1100ELNS1_3gpuE3ELNS1_3repE0EEENS1_30default_config_static_selectorELNS0_4arch9wavefront6targetE1EEEvS12_, .Lfunc_end455-_ZN7rocprim17ROCPRIM_400000_NS6detail17trampoline_kernelINS0_13select_configILj256ELj13ELNS0_17block_load_methodE3ELS4_3ELS4_3ELNS0_20block_scan_algorithmE0ELj4294967295EEENS1_25partition_config_selectorILNS1_17partition_subalgoE4EjNS0_10empty_typeEbEEZZNS1_14partition_implILS8_4ELb0ES6_15HIP_vector_typeIjLj2EENS0_17counting_iteratorIjlEEPS9_SG_NS0_5tupleIJPjSI_NS0_16reverse_iteratorISI_EEEEENSH_IJSG_SG_SG_EEES9_SI_JZNS1_25segmented_radix_sort_implINS0_14default_configELb1EPKiPiPKlPlN2at6native12_GLOBAL__N_18offset_tEEE10hipError_tPvRmT1_PNSt15iterator_traitsIS12_E10value_typeET2_T3_PNS13_IS18_E10value_typeET4_jRbjT5_S1E_jjP12ihipStream_tbEUljE_ZNSN_ISO_Lb1ESQ_SR_ST_SU_SY_EESZ_S10_S11_S12_S16_S17_S18_S1B_S1C_jS1D_jS1E_S1E_jjS1G_bEUljE0_EEESZ_S10_S11_S18_S1C_S1E_T6_T7_T9_mT8_S1G_bDpT10_ENKUlT_T0_E_clISt17integral_constantIbLb1EES1T_IbLb0EEEEDaS1P_S1Q_EUlS1P_E_NS1_11comp_targetILNS1_3genE9ELNS1_11target_archE1100ELNS1_3gpuE3ELNS1_3repE0EEENS1_30default_config_static_selectorELNS0_4arch9wavefront6targetE1EEEvS12_
                                        ; -- End function
	.set _ZN7rocprim17ROCPRIM_400000_NS6detail17trampoline_kernelINS0_13select_configILj256ELj13ELNS0_17block_load_methodE3ELS4_3ELS4_3ELNS0_20block_scan_algorithmE0ELj4294967295EEENS1_25partition_config_selectorILNS1_17partition_subalgoE4EjNS0_10empty_typeEbEEZZNS1_14partition_implILS8_4ELb0ES6_15HIP_vector_typeIjLj2EENS0_17counting_iteratorIjlEEPS9_SG_NS0_5tupleIJPjSI_NS0_16reverse_iteratorISI_EEEEENSH_IJSG_SG_SG_EEES9_SI_JZNS1_25segmented_radix_sort_implINS0_14default_configELb1EPKiPiPKlPlN2at6native12_GLOBAL__N_18offset_tEEE10hipError_tPvRmT1_PNSt15iterator_traitsIS12_E10value_typeET2_T3_PNS13_IS18_E10value_typeET4_jRbjT5_S1E_jjP12ihipStream_tbEUljE_ZNSN_ISO_Lb1ESQ_SR_ST_SU_SY_EESZ_S10_S11_S12_S16_S17_S18_S1B_S1C_jS1D_jS1E_S1E_jjS1G_bEUljE0_EEESZ_S10_S11_S18_S1C_S1E_T6_T7_T9_mT8_S1G_bDpT10_ENKUlT_T0_E_clISt17integral_constantIbLb1EES1T_IbLb0EEEEDaS1P_S1Q_EUlS1P_E_NS1_11comp_targetILNS1_3genE9ELNS1_11target_archE1100ELNS1_3gpuE3ELNS1_3repE0EEENS1_30default_config_static_selectorELNS0_4arch9wavefront6targetE1EEEvS12_.num_vgpr, 0
	.set _ZN7rocprim17ROCPRIM_400000_NS6detail17trampoline_kernelINS0_13select_configILj256ELj13ELNS0_17block_load_methodE3ELS4_3ELS4_3ELNS0_20block_scan_algorithmE0ELj4294967295EEENS1_25partition_config_selectorILNS1_17partition_subalgoE4EjNS0_10empty_typeEbEEZZNS1_14partition_implILS8_4ELb0ES6_15HIP_vector_typeIjLj2EENS0_17counting_iteratorIjlEEPS9_SG_NS0_5tupleIJPjSI_NS0_16reverse_iteratorISI_EEEEENSH_IJSG_SG_SG_EEES9_SI_JZNS1_25segmented_radix_sort_implINS0_14default_configELb1EPKiPiPKlPlN2at6native12_GLOBAL__N_18offset_tEEE10hipError_tPvRmT1_PNSt15iterator_traitsIS12_E10value_typeET2_T3_PNS13_IS18_E10value_typeET4_jRbjT5_S1E_jjP12ihipStream_tbEUljE_ZNSN_ISO_Lb1ESQ_SR_ST_SU_SY_EESZ_S10_S11_S12_S16_S17_S18_S1B_S1C_jS1D_jS1E_S1E_jjS1G_bEUljE0_EEESZ_S10_S11_S18_S1C_S1E_T6_T7_T9_mT8_S1G_bDpT10_ENKUlT_T0_E_clISt17integral_constantIbLb1EES1T_IbLb0EEEEDaS1P_S1Q_EUlS1P_E_NS1_11comp_targetILNS1_3genE9ELNS1_11target_archE1100ELNS1_3gpuE3ELNS1_3repE0EEENS1_30default_config_static_selectorELNS0_4arch9wavefront6targetE1EEEvS12_.num_agpr, 0
	.set _ZN7rocprim17ROCPRIM_400000_NS6detail17trampoline_kernelINS0_13select_configILj256ELj13ELNS0_17block_load_methodE3ELS4_3ELS4_3ELNS0_20block_scan_algorithmE0ELj4294967295EEENS1_25partition_config_selectorILNS1_17partition_subalgoE4EjNS0_10empty_typeEbEEZZNS1_14partition_implILS8_4ELb0ES6_15HIP_vector_typeIjLj2EENS0_17counting_iteratorIjlEEPS9_SG_NS0_5tupleIJPjSI_NS0_16reverse_iteratorISI_EEEEENSH_IJSG_SG_SG_EEES9_SI_JZNS1_25segmented_radix_sort_implINS0_14default_configELb1EPKiPiPKlPlN2at6native12_GLOBAL__N_18offset_tEEE10hipError_tPvRmT1_PNSt15iterator_traitsIS12_E10value_typeET2_T3_PNS13_IS18_E10value_typeET4_jRbjT5_S1E_jjP12ihipStream_tbEUljE_ZNSN_ISO_Lb1ESQ_SR_ST_SU_SY_EESZ_S10_S11_S12_S16_S17_S18_S1B_S1C_jS1D_jS1E_S1E_jjS1G_bEUljE0_EEESZ_S10_S11_S18_S1C_S1E_T6_T7_T9_mT8_S1G_bDpT10_ENKUlT_T0_E_clISt17integral_constantIbLb1EES1T_IbLb0EEEEDaS1P_S1Q_EUlS1P_E_NS1_11comp_targetILNS1_3genE9ELNS1_11target_archE1100ELNS1_3gpuE3ELNS1_3repE0EEENS1_30default_config_static_selectorELNS0_4arch9wavefront6targetE1EEEvS12_.numbered_sgpr, 0
	.set _ZN7rocprim17ROCPRIM_400000_NS6detail17trampoline_kernelINS0_13select_configILj256ELj13ELNS0_17block_load_methodE3ELS4_3ELS4_3ELNS0_20block_scan_algorithmE0ELj4294967295EEENS1_25partition_config_selectorILNS1_17partition_subalgoE4EjNS0_10empty_typeEbEEZZNS1_14partition_implILS8_4ELb0ES6_15HIP_vector_typeIjLj2EENS0_17counting_iteratorIjlEEPS9_SG_NS0_5tupleIJPjSI_NS0_16reverse_iteratorISI_EEEEENSH_IJSG_SG_SG_EEES9_SI_JZNS1_25segmented_radix_sort_implINS0_14default_configELb1EPKiPiPKlPlN2at6native12_GLOBAL__N_18offset_tEEE10hipError_tPvRmT1_PNSt15iterator_traitsIS12_E10value_typeET2_T3_PNS13_IS18_E10value_typeET4_jRbjT5_S1E_jjP12ihipStream_tbEUljE_ZNSN_ISO_Lb1ESQ_SR_ST_SU_SY_EESZ_S10_S11_S12_S16_S17_S18_S1B_S1C_jS1D_jS1E_S1E_jjS1G_bEUljE0_EEESZ_S10_S11_S18_S1C_S1E_T6_T7_T9_mT8_S1G_bDpT10_ENKUlT_T0_E_clISt17integral_constantIbLb1EES1T_IbLb0EEEEDaS1P_S1Q_EUlS1P_E_NS1_11comp_targetILNS1_3genE9ELNS1_11target_archE1100ELNS1_3gpuE3ELNS1_3repE0EEENS1_30default_config_static_selectorELNS0_4arch9wavefront6targetE1EEEvS12_.num_named_barrier, 0
	.set _ZN7rocprim17ROCPRIM_400000_NS6detail17trampoline_kernelINS0_13select_configILj256ELj13ELNS0_17block_load_methodE3ELS4_3ELS4_3ELNS0_20block_scan_algorithmE0ELj4294967295EEENS1_25partition_config_selectorILNS1_17partition_subalgoE4EjNS0_10empty_typeEbEEZZNS1_14partition_implILS8_4ELb0ES6_15HIP_vector_typeIjLj2EENS0_17counting_iteratorIjlEEPS9_SG_NS0_5tupleIJPjSI_NS0_16reverse_iteratorISI_EEEEENSH_IJSG_SG_SG_EEES9_SI_JZNS1_25segmented_radix_sort_implINS0_14default_configELb1EPKiPiPKlPlN2at6native12_GLOBAL__N_18offset_tEEE10hipError_tPvRmT1_PNSt15iterator_traitsIS12_E10value_typeET2_T3_PNS13_IS18_E10value_typeET4_jRbjT5_S1E_jjP12ihipStream_tbEUljE_ZNSN_ISO_Lb1ESQ_SR_ST_SU_SY_EESZ_S10_S11_S12_S16_S17_S18_S1B_S1C_jS1D_jS1E_S1E_jjS1G_bEUljE0_EEESZ_S10_S11_S18_S1C_S1E_T6_T7_T9_mT8_S1G_bDpT10_ENKUlT_T0_E_clISt17integral_constantIbLb1EES1T_IbLb0EEEEDaS1P_S1Q_EUlS1P_E_NS1_11comp_targetILNS1_3genE9ELNS1_11target_archE1100ELNS1_3gpuE3ELNS1_3repE0EEENS1_30default_config_static_selectorELNS0_4arch9wavefront6targetE1EEEvS12_.private_seg_size, 0
	.set _ZN7rocprim17ROCPRIM_400000_NS6detail17trampoline_kernelINS0_13select_configILj256ELj13ELNS0_17block_load_methodE3ELS4_3ELS4_3ELNS0_20block_scan_algorithmE0ELj4294967295EEENS1_25partition_config_selectorILNS1_17partition_subalgoE4EjNS0_10empty_typeEbEEZZNS1_14partition_implILS8_4ELb0ES6_15HIP_vector_typeIjLj2EENS0_17counting_iteratorIjlEEPS9_SG_NS0_5tupleIJPjSI_NS0_16reverse_iteratorISI_EEEEENSH_IJSG_SG_SG_EEES9_SI_JZNS1_25segmented_radix_sort_implINS0_14default_configELb1EPKiPiPKlPlN2at6native12_GLOBAL__N_18offset_tEEE10hipError_tPvRmT1_PNSt15iterator_traitsIS12_E10value_typeET2_T3_PNS13_IS18_E10value_typeET4_jRbjT5_S1E_jjP12ihipStream_tbEUljE_ZNSN_ISO_Lb1ESQ_SR_ST_SU_SY_EESZ_S10_S11_S12_S16_S17_S18_S1B_S1C_jS1D_jS1E_S1E_jjS1G_bEUljE0_EEESZ_S10_S11_S18_S1C_S1E_T6_T7_T9_mT8_S1G_bDpT10_ENKUlT_T0_E_clISt17integral_constantIbLb1EES1T_IbLb0EEEEDaS1P_S1Q_EUlS1P_E_NS1_11comp_targetILNS1_3genE9ELNS1_11target_archE1100ELNS1_3gpuE3ELNS1_3repE0EEENS1_30default_config_static_selectorELNS0_4arch9wavefront6targetE1EEEvS12_.uses_vcc, 0
	.set _ZN7rocprim17ROCPRIM_400000_NS6detail17trampoline_kernelINS0_13select_configILj256ELj13ELNS0_17block_load_methodE3ELS4_3ELS4_3ELNS0_20block_scan_algorithmE0ELj4294967295EEENS1_25partition_config_selectorILNS1_17partition_subalgoE4EjNS0_10empty_typeEbEEZZNS1_14partition_implILS8_4ELb0ES6_15HIP_vector_typeIjLj2EENS0_17counting_iteratorIjlEEPS9_SG_NS0_5tupleIJPjSI_NS0_16reverse_iteratorISI_EEEEENSH_IJSG_SG_SG_EEES9_SI_JZNS1_25segmented_radix_sort_implINS0_14default_configELb1EPKiPiPKlPlN2at6native12_GLOBAL__N_18offset_tEEE10hipError_tPvRmT1_PNSt15iterator_traitsIS12_E10value_typeET2_T3_PNS13_IS18_E10value_typeET4_jRbjT5_S1E_jjP12ihipStream_tbEUljE_ZNSN_ISO_Lb1ESQ_SR_ST_SU_SY_EESZ_S10_S11_S12_S16_S17_S18_S1B_S1C_jS1D_jS1E_S1E_jjS1G_bEUljE0_EEESZ_S10_S11_S18_S1C_S1E_T6_T7_T9_mT8_S1G_bDpT10_ENKUlT_T0_E_clISt17integral_constantIbLb1EES1T_IbLb0EEEEDaS1P_S1Q_EUlS1P_E_NS1_11comp_targetILNS1_3genE9ELNS1_11target_archE1100ELNS1_3gpuE3ELNS1_3repE0EEENS1_30default_config_static_selectorELNS0_4arch9wavefront6targetE1EEEvS12_.uses_flat_scratch, 0
	.set _ZN7rocprim17ROCPRIM_400000_NS6detail17trampoline_kernelINS0_13select_configILj256ELj13ELNS0_17block_load_methodE3ELS4_3ELS4_3ELNS0_20block_scan_algorithmE0ELj4294967295EEENS1_25partition_config_selectorILNS1_17partition_subalgoE4EjNS0_10empty_typeEbEEZZNS1_14partition_implILS8_4ELb0ES6_15HIP_vector_typeIjLj2EENS0_17counting_iteratorIjlEEPS9_SG_NS0_5tupleIJPjSI_NS0_16reverse_iteratorISI_EEEEENSH_IJSG_SG_SG_EEES9_SI_JZNS1_25segmented_radix_sort_implINS0_14default_configELb1EPKiPiPKlPlN2at6native12_GLOBAL__N_18offset_tEEE10hipError_tPvRmT1_PNSt15iterator_traitsIS12_E10value_typeET2_T3_PNS13_IS18_E10value_typeET4_jRbjT5_S1E_jjP12ihipStream_tbEUljE_ZNSN_ISO_Lb1ESQ_SR_ST_SU_SY_EESZ_S10_S11_S12_S16_S17_S18_S1B_S1C_jS1D_jS1E_S1E_jjS1G_bEUljE0_EEESZ_S10_S11_S18_S1C_S1E_T6_T7_T9_mT8_S1G_bDpT10_ENKUlT_T0_E_clISt17integral_constantIbLb1EES1T_IbLb0EEEEDaS1P_S1Q_EUlS1P_E_NS1_11comp_targetILNS1_3genE9ELNS1_11target_archE1100ELNS1_3gpuE3ELNS1_3repE0EEENS1_30default_config_static_selectorELNS0_4arch9wavefront6targetE1EEEvS12_.has_dyn_sized_stack, 0
	.set _ZN7rocprim17ROCPRIM_400000_NS6detail17trampoline_kernelINS0_13select_configILj256ELj13ELNS0_17block_load_methodE3ELS4_3ELS4_3ELNS0_20block_scan_algorithmE0ELj4294967295EEENS1_25partition_config_selectorILNS1_17partition_subalgoE4EjNS0_10empty_typeEbEEZZNS1_14partition_implILS8_4ELb0ES6_15HIP_vector_typeIjLj2EENS0_17counting_iteratorIjlEEPS9_SG_NS0_5tupleIJPjSI_NS0_16reverse_iteratorISI_EEEEENSH_IJSG_SG_SG_EEES9_SI_JZNS1_25segmented_radix_sort_implINS0_14default_configELb1EPKiPiPKlPlN2at6native12_GLOBAL__N_18offset_tEEE10hipError_tPvRmT1_PNSt15iterator_traitsIS12_E10value_typeET2_T3_PNS13_IS18_E10value_typeET4_jRbjT5_S1E_jjP12ihipStream_tbEUljE_ZNSN_ISO_Lb1ESQ_SR_ST_SU_SY_EESZ_S10_S11_S12_S16_S17_S18_S1B_S1C_jS1D_jS1E_S1E_jjS1G_bEUljE0_EEESZ_S10_S11_S18_S1C_S1E_T6_T7_T9_mT8_S1G_bDpT10_ENKUlT_T0_E_clISt17integral_constantIbLb1EES1T_IbLb0EEEEDaS1P_S1Q_EUlS1P_E_NS1_11comp_targetILNS1_3genE9ELNS1_11target_archE1100ELNS1_3gpuE3ELNS1_3repE0EEENS1_30default_config_static_selectorELNS0_4arch9wavefront6targetE1EEEvS12_.has_recursion, 0
	.set _ZN7rocprim17ROCPRIM_400000_NS6detail17trampoline_kernelINS0_13select_configILj256ELj13ELNS0_17block_load_methodE3ELS4_3ELS4_3ELNS0_20block_scan_algorithmE0ELj4294967295EEENS1_25partition_config_selectorILNS1_17partition_subalgoE4EjNS0_10empty_typeEbEEZZNS1_14partition_implILS8_4ELb0ES6_15HIP_vector_typeIjLj2EENS0_17counting_iteratorIjlEEPS9_SG_NS0_5tupleIJPjSI_NS0_16reverse_iteratorISI_EEEEENSH_IJSG_SG_SG_EEES9_SI_JZNS1_25segmented_radix_sort_implINS0_14default_configELb1EPKiPiPKlPlN2at6native12_GLOBAL__N_18offset_tEEE10hipError_tPvRmT1_PNSt15iterator_traitsIS12_E10value_typeET2_T3_PNS13_IS18_E10value_typeET4_jRbjT5_S1E_jjP12ihipStream_tbEUljE_ZNSN_ISO_Lb1ESQ_SR_ST_SU_SY_EESZ_S10_S11_S12_S16_S17_S18_S1B_S1C_jS1D_jS1E_S1E_jjS1G_bEUljE0_EEESZ_S10_S11_S18_S1C_S1E_T6_T7_T9_mT8_S1G_bDpT10_ENKUlT_T0_E_clISt17integral_constantIbLb1EES1T_IbLb0EEEEDaS1P_S1Q_EUlS1P_E_NS1_11comp_targetILNS1_3genE9ELNS1_11target_archE1100ELNS1_3gpuE3ELNS1_3repE0EEENS1_30default_config_static_selectorELNS0_4arch9wavefront6targetE1EEEvS12_.has_indirect_call, 0
	.section	.AMDGPU.csdata,"",@progbits
; Kernel info:
; codeLenInByte = 0
; TotalNumSgprs: 4
; NumVgprs: 0
; ScratchSize: 0
; MemoryBound: 0
; FloatMode: 240
; IeeeMode: 1
; LDSByteSize: 0 bytes/workgroup (compile time only)
; SGPRBlocks: 0
; VGPRBlocks: 0
; NumSGPRsForWavesPerEU: 4
; NumVGPRsForWavesPerEU: 1
; Occupancy: 10
; WaveLimiterHint : 0
; COMPUTE_PGM_RSRC2:SCRATCH_EN: 0
; COMPUTE_PGM_RSRC2:USER_SGPR: 6
; COMPUTE_PGM_RSRC2:TRAP_HANDLER: 0
; COMPUTE_PGM_RSRC2:TGID_X_EN: 1
; COMPUTE_PGM_RSRC2:TGID_Y_EN: 0
; COMPUTE_PGM_RSRC2:TGID_Z_EN: 0
; COMPUTE_PGM_RSRC2:TIDIG_COMP_CNT: 0
	.section	.text._ZN7rocprim17ROCPRIM_400000_NS6detail17trampoline_kernelINS0_13select_configILj256ELj13ELNS0_17block_load_methodE3ELS4_3ELS4_3ELNS0_20block_scan_algorithmE0ELj4294967295EEENS1_25partition_config_selectorILNS1_17partition_subalgoE4EjNS0_10empty_typeEbEEZZNS1_14partition_implILS8_4ELb0ES6_15HIP_vector_typeIjLj2EENS0_17counting_iteratorIjlEEPS9_SG_NS0_5tupleIJPjSI_NS0_16reverse_iteratorISI_EEEEENSH_IJSG_SG_SG_EEES9_SI_JZNS1_25segmented_radix_sort_implINS0_14default_configELb1EPKiPiPKlPlN2at6native12_GLOBAL__N_18offset_tEEE10hipError_tPvRmT1_PNSt15iterator_traitsIS12_E10value_typeET2_T3_PNS13_IS18_E10value_typeET4_jRbjT5_S1E_jjP12ihipStream_tbEUljE_ZNSN_ISO_Lb1ESQ_SR_ST_SU_SY_EESZ_S10_S11_S12_S16_S17_S18_S1B_S1C_jS1D_jS1E_S1E_jjS1G_bEUljE0_EEESZ_S10_S11_S18_S1C_S1E_T6_T7_T9_mT8_S1G_bDpT10_ENKUlT_T0_E_clISt17integral_constantIbLb1EES1T_IbLb0EEEEDaS1P_S1Q_EUlS1P_E_NS1_11comp_targetILNS1_3genE8ELNS1_11target_archE1030ELNS1_3gpuE2ELNS1_3repE0EEENS1_30default_config_static_selectorELNS0_4arch9wavefront6targetE1EEEvS12_,"axG",@progbits,_ZN7rocprim17ROCPRIM_400000_NS6detail17trampoline_kernelINS0_13select_configILj256ELj13ELNS0_17block_load_methodE3ELS4_3ELS4_3ELNS0_20block_scan_algorithmE0ELj4294967295EEENS1_25partition_config_selectorILNS1_17partition_subalgoE4EjNS0_10empty_typeEbEEZZNS1_14partition_implILS8_4ELb0ES6_15HIP_vector_typeIjLj2EENS0_17counting_iteratorIjlEEPS9_SG_NS0_5tupleIJPjSI_NS0_16reverse_iteratorISI_EEEEENSH_IJSG_SG_SG_EEES9_SI_JZNS1_25segmented_radix_sort_implINS0_14default_configELb1EPKiPiPKlPlN2at6native12_GLOBAL__N_18offset_tEEE10hipError_tPvRmT1_PNSt15iterator_traitsIS12_E10value_typeET2_T3_PNS13_IS18_E10value_typeET4_jRbjT5_S1E_jjP12ihipStream_tbEUljE_ZNSN_ISO_Lb1ESQ_SR_ST_SU_SY_EESZ_S10_S11_S12_S16_S17_S18_S1B_S1C_jS1D_jS1E_S1E_jjS1G_bEUljE0_EEESZ_S10_S11_S18_S1C_S1E_T6_T7_T9_mT8_S1G_bDpT10_ENKUlT_T0_E_clISt17integral_constantIbLb1EES1T_IbLb0EEEEDaS1P_S1Q_EUlS1P_E_NS1_11comp_targetILNS1_3genE8ELNS1_11target_archE1030ELNS1_3gpuE2ELNS1_3repE0EEENS1_30default_config_static_selectorELNS0_4arch9wavefront6targetE1EEEvS12_,comdat
	.globl	_ZN7rocprim17ROCPRIM_400000_NS6detail17trampoline_kernelINS0_13select_configILj256ELj13ELNS0_17block_load_methodE3ELS4_3ELS4_3ELNS0_20block_scan_algorithmE0ELj4294967295EEENS1_25partition_config_selectorILNS1_17partition_subalgoE4EjNS0_10empty_typeEbEEZZNS1_14partition_implILS8_4ELb0ES6_15HIP_vector_typeIjLj2EENS0_17counting_iteratorIjlEEPS9_SG_NS0_5tupleIJPjSI_NS0_16reverse_iteratorISI_EEEEENSH_IJSG_SG_SG_EEES9_SI_JZNS1_25segmented_radix_sort_implINS0_14default_configELb1EPKiPiPKlPlN2at6native12_GLOBAL__N_18offset_tEEE10hipError_tPvRmT1_PNSt15iterator_traitsIS12_E10value_typeET2_T3_PNS13_IS18_E10value_typeET4_jRbjT5_S1E_jjP12ihipStream_tbEUljE_ZNSN_ISO_Lb1ESQ_SR_ST_SU_SY_EESZ_S10_S11_S12_S16_S17_S18_S1B_S1C_jS1D_jS1E_S1E_jjS1G_bEUljE0_EEESZ_S10_S11_S18_S1C_S1E_T6_T7_T9_mT8_S1G_bDpT10_ENKUlT_T0_E_clISt17integral_constantIbLb1EES1T_IbLb0EEEEDaS1P_S1Q_EUlS1P_E_NS1_11comp_targetILNS1_3genE8ELNS1_11target_archE1030ELNS1_3gpuE2ELNS1_3repE0EEENS1_30default_config_static_selectorELNS0_4arch9wavefront6targetE1EEEvS12_ ; -- Begin function _ZN7rocprim17ROCPRIM_400000_NS6detail17trampoline_kernelINS0_13select_configILj256ELj13ELNS0_17block_load_methodE3ELS4_3ELS4_3ELNS0_20block_scan_algorithmE0ELj4294967295EEENS1_25partition_config_selectorILNS1_17partition_subalgoE4EjNS0_10empty_typeEbEEZZNS1_14partition_implILS8_4ELb0ES6_15HIP_vector_typeIjLj2EENS0_17counting_iteratorIjlEEPS9_SG_NS0_5tupleIJPjSI_NS0_16reverse_iteratorISI_EEEEENSH_IJSG_SG_SG_EEES9_SI_JZNS1_25segmented_radix_sort_implINS0_14default_configELb1EPKiPiPKlPlN2at6native12_GLOBAL__N_18offset_tEEE10hipError_tPvRmT1_PNSt15iterator_traitsIS12_E10value_typeET2_T3_PNS13_IS18_E10value_typeET4_jRbjT5_S1E_jjP12ihipStream_tbEUljE_ZNSN_ISO_Lb1ESQ_SR_ST_SU_SY_EESZ_S10_S11_S12_S16_S17_S18_S1B_S1C_jS1D_jS1E_S1E_jjS1G_bEUljE0_EEESZ_S10_S11_S18_S1C_S1E_T6_T7_T9_mT8_S1G_bDpT10_ENKUlT_T0_E_clISt17integral_constantIbLb1EES1T_IbLb0EEEEDaS1P_S1Q_EUlS1P_E_NS1_11comp_targetILNS1_3genE8ELNS1_11target_archE1030ELNS1_3gpuE2ELNS1_3repE0EEENS1_30default_config_static_selectorELNS0_4arch9wavefront6targetE1EEEvS12_
	.p2align	8
	.type	_ZN7rocprim17ROCPRIM_400000_NS6detail17trampoline_kernelINS0_13select_configILj256ELj13ELNS0_17block_load_methodE3ELS4_3ELS4_3ELNS0_20block_scan_algorithmE0ELj4294967295EEENS1_25partition_config_selectorILNS1_17partition_subalgoE4EjNS0_10empty_typeEbEEZZNS1_14partition_implILS8_4ELb0ES6_15HIP_vector_typeIjLj2EENS0_17counting_iteratorIjlEEPS9_SG_NS0_5tupleIJPjSI_NS0_16reverse_iteratorISI_EEEEENSH_IJSG_SG_SG_EEES9_SI_JZNS1_25segmented_radix_sort_implINS0_14default_configELb1EPKiPiPKlPlN2at6native12_GLOBAL__N_18offset_tEEE10hipError_tPvRmT1_PNSt15iterator_traitsIS12_E10value_typeET2_T3_PNS13_IS18_E10value_typeET4_jRbjT5_S1E_jjP12ihipStream_tbEUljE_ZNSN_ISO_Lb1ESQ_SR_ST_SU_SY_EESZ_S10_S11_S12_S16_S17_S18_S1B_S1C_jS1D_jS1E_S1E_jjS1G_bEUljE0_EEESZ_S10_S11_S18_S1C_S1E_T6_T7_T9_mT8_S1G_bDpT10_ENKUlT_T0_E_clISt17integral_constantIbLb1EES1T_IbLb0EEEEDaS1P_S1Q_EUlS1P_E_NS1_11comp_targetILNS1_3genE8ELNS1_11target_archE1030ELNS1_3gpuE2ELNS1_3repE0EEENS1_30default_config_static_selectorELNS0_4arch9wavefront6targetE1EEEvS12_,@function
_ZN7rocprim17ROCPRIM_400000_NS6detail17trampoline_kernelINS0_13select_configILj256ELj13ELNS0_17block_load_methodE3ELS4_3ELS4_3ELNS0_20block_scan_algorithmE0ELj4294967295EEENS1_25partition_config_selectorILNS1_17partition_subalgoE4EjNS0_10empty_typeEbEEZZNS1_14partition_implILS8_4ELb0ES6_15HIP_vector_typeIjLj2EENS0_17counting_iteratorIjlEEPS9_SG_NS0_5tupleIJPjSI_NS0_16reverse_iteratorISI_EEEEENSH_IJSG_SG_SG_EEES9_SI_JZNS1_25segmented_radix_sort_implINS0_14default_configELb1EPKiPiPKlPlN2at6native12_GLOBAL__N_18offset_tEEE10hipError_tPvRmT1_PNSt15iterator_traitsIS12_E10value_typeET2_T3_PNS13_IS18_E10value_typeET4_jRbjT5_S1E_jjP12ihipStream_tbEUljE_ZNSN_ISO_Lb1ESQ_SR_ST_SU_SY_EESZ_S10_S11_S12_S16_S17_S18_S1B_S1C_jS1D_jS1E_S1E_jjS1G_bEUljE0_EEESZ_S10_S11_S18_S1C_S1E_T6_T7_T9_mT8_S1G_bDpT10_ENKUlT_T0_E_clISt17integral_constantIbLb1EES1T_IbLb0EEEEDaS1P_S1Q_EUlS1P_E_NS1_11comp_targetILNS1_3genE8ELNS1_11target_archE1030ELNS1_3gpuE2ELNS1_3repE0EEENS1_30default_config_static_selectorELNS0_4arch9wavefront6targetE1EEEvS12_: ; @_ZN7rocprim17ROCPRIM_400000_NS6detail17trampoline_kernelINS0_13select_configILj256ELj13ELNS0_17block_load_methodE3ELS4_3ELS4_3ELNS0_20block_scan_algorithmE0ELj4294967295EEENS1_25partition_config_selectorILNS1_17partition_subalgoE4EjNS0_10empty_typeEbEEZZNS1_14partition_implILS8_4ELb0ES6_15HIP_vector_typeIjLj2EENS0_17counting_iteratorIjlEEPS9_SG_NS0_5tupleIJPjSI_NS0_16reverse_iteratorISI_EEEEENSH_IJSG_SG_SG_EEES9_SI_JZNS1_25segmented_radix_sort_implINS0_14default_configELb1EPKiPiPKlPlN2at6native12_GLOBAL__N_18offset_tEEE10hipError_tPvRmT1_PNSt15iterator_traitsIS12_E10value_typeET2_T3_PNS13_IS18_E10value_typeET4_jRbjT5_S1E_jjP12ihipStream_tbEUljE_ZNSN_ISO_Lb1ESQ_SR_ST_SU_SY_EESZ_S10_S11_S12_S16_S17_S18_S1B_S1C_jS1D_jS1E_S1E_jjS1G_bEUljE0_EEESZ_S10_S11_S18_S1C_S1E_T6_T7_T9_mT8_S1G_bDpT10_ENKUlT_T0_E_clISt17integral_constantIbLb1EES1T_IbLb0EEEEDaS1P_S1Q_EUlS1P_E_NS1_11comp_targetILNS1_3genE8ELNS1_11target_archE1030ELNS1_3gpuE2ELNS1_3repE0EEENS1_30default_config_static_selectorELNS0_4arch9wavefront6targetE1EEEvS12_
; %bb.0:
	.section	.rodata,"a",@progbits
	.p2align	6, 0x0
	.amdhsa_kernel _ZN7rocprim17ROCPRIM_400000_NS6detail17trampoline_kernelINS0_13select_configILj256ELj13ELNS0_17block_load_methodE3ELS4_3ELS4_3ELNS0_20block_scan_algorithmE0ELj4294967295EEENS1_25partition_config_selectorILNS1_17partition_subalgoE4EjNS0_10empty_typeEbEEZZNS1_14partition_implILS8_4ELb0ES6_15HIP_vector_typeIjLj2EENS0_17counting_iteratorIjlEEPS9_SG_NS0_5tupleIJPjSI_NS0_16reverse_iteratorISI_EEEEENSH_IJSG_SG_SG_EEES9_SI_JZNS1_25segmented_radix_sort_implINS0_14default_configELb1EPKiPiPKlPlN2at6native12_GLOBAL__N_18offset_tEEE10hipError_tPvRmT1_PNSt15iterator_traitsIS12_E10value_typeET2_T3_PNS13_IS18_E10value_typeET4_jRbjT5_S1E_jjP12ihipStream_tbEUljE_ZNSN_ISO_Lb1ESQ_SR_ST_SU_SY_EESZ_S10_S11_S12_S16_S17_S18_S1B_S1C_jS1D_jS1E_S1E_jjS1G_bEUljE0_EEESZ_S10_S11_S18_S1C_S1E_T6_T7_T9_mT8_S1G_bDpT10_ENKUlT_T0_E_clISt17integral_constantIbLb1EES1T_IbLb0EEEEDaS1P_S1Q_EUlS1P_E_NS1_11comp_targetILNS1_3genE8ELNS1_11target_archE1030ELNS1_3gpuE2ELNS1_3repE0EEENS1_30default_config_static_selectorELNS0_4arch9wavefront6targetE1EEEvS12_
		.amdhsa_group_segment_fixed_size 0
		.amdhsa_private_segment_fixed_size 0
		.amdhsa_kernarg_size 176
		.amdhsa_user_sgpr_count 6
		.amdhsa_user_sgpr_private_segment_buffer 1
		.amdhsa_user_sgpr_dispatch_ptr 0
		.amdhsa_user_sgpr_queue_ptr 0
		.amdhsa_user_sgpr_kernarg_segment_ptr 1
		.amdhsa_user_sgpr_dispatch_id 0
		.amdhsa_user_sgpr_flat_scratch_init 0
		.amdhsa_user_sgpr_private_segment_size 0
		.amdhsa_uses_dynamic_stack 0
		.amdhsa_system_sgpr_private_segment_wavefront_offset 0
		.amdhsa_system_sgpr_workgroup_id_x 1
		.amdhsa_system_sgpr_workgroup_id_y 0
		.amdhsa_system_sgpr_workgroup_id_z 0
		.amdhsa_system_sgpr_workgroup_info 0
		.amdhsa_system_vgpr_workitem_id 0
		.amdhsa_next_free_vgpr 1
		.amdhsa_next_free_sgpr 0
		.amdhsa_reserve_vcc 0
		.amdhsa_reserve_flat_scratch 0
		.amdhsa_float_round_mode_32 0
		.amdhsa_float_round_mode_16_64 0
		.amdhsa_float_denorm_mode_32 3
		.amdhsa_float_denorm_mode_16_64 3
		.amdhsa_dx10_clamp 1
		.amdhsa_ieee_mode 1
		.amdhsa_fp16_overflow 0
		.amdhsa_exception_fp_ieee_invalid_op 0
		.amdhsa_exception_fp_denorm_src 0
		.amdhsa_exception_fp_ieee_div_zero 0
		.amdhsa_exception_fp_ieee_overflow 0
		.amdhsa_exception_fp_ieee_underflow 0
		.amdhsa_exception_fp_ieee_inexact 0
		.amdhsa_exception_int_div_zero 0
	.end_amdhsa_kernel
	.section	.text._ZN7rocprim17ROCPRIM_400000_NS6detail17trampoline_kernelINS0_13select_configILj256ELj13ELNS0_17block_load_methodE3ELS4_3ELS4_3ELNS0_20block_scan_algorithmE0ELj4294967295EEENS1_25partition_config_selectorILNS1_17partition_subalgoE4EjNS0_10empty_typeEbEEZZNS1_14partition_implILS8_4ELb0ES6_15HIP_vector_typeIjLj2EENS0_17counting_iteratorIjlEEPS9_SG_NS0_5tupleIJPjSI_NS0_16reverse_iteratorISI_EEEEENSH_IJSG_SG_SG_EEES9_SI_JZNS1_25segmented_radix_sort_implINS0_14default_configELb1EPKiPiPKlPlN2at6native12_GLOBAL__N_18offset_tEEE10hipError_tPvRmT1_PNSt15iterator_traitsIS12_E10value_typeET2_T3_PNS13_IS18_E10value_typeET4_jRbjT5_S1E_jjP12ihipStream_tbEUljE_ZNSN_ISO_Lb1ESQ_SR_ST_SU_SY_EESZ_S10_S11_S12_S16_S17_S18_S1B_S1C_jS1D_jS1E_S1E_jjS1G_bEUljE0_EEESZ_S10_S11_S18_S1C_S1E_T6_T7_T9_mT8_S1G_bDpT10_ENKUlT_T0_E_clISt17integral_constantIbLb1EES1T_IbLb0EEEEDaS1P_S1Q_EUlS1P_E_NS1_11comp_targetILNS1_3genE8ELNS1_11target_archE1030ELNS1_3gpuE2ELNS1_3repE0EEENS1_30default_config_static_selectorELNS0_4arch9wavefront6targetE1EEEvS12_,"axG",@progbits,_ZN7rocprim17ROCPRIM_400000_NS6detail17trampoline_kernelINS0_13select_configILj256ELj13ELNS0_17block_load_methodE3ELS4_3ELS4_3ELNS0_20block_scan_algorithmE0ELj4294967295EEENS1_25partition_config_selectorILNS1_17partition_subalgoE4EjNS0_10empty_typeEbEEZZNS1_14partition_implILS8_4ELb0ES6_15HIP_vector_typeIjLj2EENS0_17counting_iteratorIjlEEPS9_SG_NS0_5tupleIJPjSI_NS0_16reverse_iteratorISI_EEEEENSH_IJSG_SG_SG_EEES9_SI_JZNS1_25segmented_radix_sort_implINS0_14default_configELb1EPKiPiPKlPlN2at6native12_GLOBAL__N_18offset_tEEE10hipError_tPvRmT1_PNSt15iterator_traitsIS12_E10value_typeET2_T3_PNS13_IS18_E10value_typeET4_jRbjT5_S1E_jjP12ihipStream_tbEUljE_ZNSN_ISO_Lb1ESQ_SR_ST_SU_SY_EESZ_S10_S11_S12_S16_S17_S18_S1B_S1C_jS1D_jS1E_S1E_jjS1G_bEUljE0_EEESZ_S10_S11_S18_S1C_S1E_T6_T7_T9_mT8_S1G_bDpT10_ENKUlT_T0_E_clISt17integral_constantIbLb1EES1T_IbLb0EEEEDaS1P_S1Q_EUlS1P_E_NS1_11comp_targetILNS1_3genE8ELNS1_11target_archE1030ELNS1_3gpuE2ELNS1_3repE0EEENS1_30default_config_static_selectorELNS0_4arch9wavefront6targetE1EEEvS12_,comdat
.Lfunc_end456:
	.size	_ZN7rocprim17ROCPRIM_400000_NS6detail17trampoline_kernelINS0_13select_configILj256ELj13ELNS0_17block_load_methodE3ELS4_3ELS4_3ELNS0_20block_scan_algorithmE0ELj4294967295EEENS1_25partition_config_selectorILNS1_17partition_subalgoE4EjNS0_10empty_typeEbEEZZNS1_14partition_implILS8_4ELb0ES6_15HIP_vector_typeIjLj2EENS0_17counting_iteratorIjlEEPS9_SG_NS0_5tupleIJPjSI_NS0_16reverse_iteratorISI_EEEEENSH_IJSG_SG_SG_EEES9_SI_JZNS1_25segmented_radix_sort_implINS0_14default_configELb1EPKiPiPKlPlN2at6native12_GLOBAL__N_18offset_tEEE10hipError_tPvRmT1_PNSt15iterator_traitsIS12_E10value_typeET2_T3_PNS13_IS18_E10value_typeET4_jRbjT5_S1E_jjP12ihipStream_tbEUljE_ZNSN_ISO_Lb1ESQ_SR_ST_SU_SY_EESZ_S10_S11_S12_S16_S17_S18_S1B_S1C_jS1D_jS1E_S1E_jjS1G_bEUljE0_EEESZ_S10_S11_S18_S1C_S1E_T6_T7_T9_mT8_S1G_bDpT10_ENKUlT_T0_E_clISt17integral_constantIbLb1EES1T_IbLb0EEEEDaS1P_S1Q_EUlS1P_E_NS1_11comp_targetILNS1_3genE8ELNS1_11target_archE1030ELNS1_3gpuE2ELNS1_3repE0EEENS1_30default_config_static_selectorELNS0_4arch9wavefront6targetE1EEEvS12_, .Lfunc_end456-_ZN7rocprim17ROCPRIM_400000_NS6detail17trampoline_kernelINS0_13select_configILj256ELj13ELNS0_17block_load_methodE3ELS4_3ELS4_3ELNS0_20block_scan_algorithmE0ELj4294967295EEENS1_25partition_config_selectorILNS1_17partition_subalgoE4EjNS0_10empty_typeEbEEZZNS1_14partition_implILS8_4ELb0ES6_15HIP_vector_typeIjLj2EENS0_17counting_iteratorIjlEEPS9_SG_NS0_5tupleIJPjSI_NS0_16reverse_iteratorISI_EEEEENSH_IJSG_SG_SG_EEES9_SI_JZNS1_25segmented_radix_sort_implINS0_14default_configELb1EPKiPiPKlPlN2at6native12_GLOBAL__N_18offset_tEEE10hipError_tPvRmT1_PNSt15iterator_traitsIS12_E10value_typeET2_T3_PNS13_IS18_E10value_typeET4_jRbjT5_S1E_jjP12ihipStream_tbEUljE_ZNSN_ISO_Lb1ESQ_SR_ST_SU_SY_EESZ_S10_S11_S12_S16_S17_S18_S1B_S1C_jS1D_jS1E_S1E_jjS1G_bEUljE0_EEESZ_S10_S11_S18_S1C_S1E_T6_T7_T9_mT8_S1G_bDpT10_ENKUlT_T0_E_clISt17integral_constantIbLb1EES1T_IbLb0EEEEDaS1P_S1Q_EUlS1P_E_NS1_11comp_targetILNS1_3genE8ELNS1_11target_archE1030ELNS1_3gpuE2ELNS1_3repE0EEENS1_30default_config_static_selectorELNS0_4arch9wavefront6targetE1EEEvS12_
                                        ; -- End function
	.set _ZN7rocprim17ROCPRIM_400000_NS6detail17trampoline_kernelINS0_13select_configILj256ELj13ELNS0_17block_load_methodE3ELS4_3ELS4_3ELNS0_20block_scan_algorithmE0ELj4294967295EEENS1_25partition_config_selectorILNS1_17partition_subalgoE4EjNS0_10empty_typeEbEEZZNS1_14partition_implILS8_4ELb0ES6_15HIP_vector_typeIjLj2EENS0_17counting_iteratorIjlEEPS9_SG_NS0_5tupleIJPjSI_NS0_16reverse_iteratorISI_EEEEENSH_IJSG_SG_SG_EEES9_SI_JZNS1_25segmented_radix_sort_implINS0_14default_configELb1EPKiPiPKlPlN2at6native12_GLOBAL__N_18offset_tEEE10hipError_tPvRmT1_PNSt15iterator_traitsIS12_E10value_typeET2_T3_PNS13_IS18_E10value_typeET4_jRbjT5_S1E_jjP12ihipStream_tbEUljE_ZNSN_ISO_Lb1ESQ_SR_ST_SU_SY_EESZ_S10_S11_S12_S16_S17_S18_S1B_S1C_jS1D_jS1E_S1E_jjS1G_bEUljE0_EEESZ_S10_S11_S18_S1C_S1E_T6_T7_T9_mT8_S1G_bDpT10_ENKUlT_T0_E_clISt17integral_constantIbLb1EES1T_IbLb0EEEEDaS1P_S1Q_EUlS1P_E_NS1_11comp_targetILNS1_3genE8ELNS1_11target_archE1030ELNS1_3gpuE2ELNS1_3repE0EEENS1_30default_config_static_selectorELNS0_4arch9wavefront6targetE1EEEvS12_.num_vgpr, 0
	.set _ZN7rocprim17ROCPRIM_400000_NS6detail17trampoline_kernelINS0_13select_configILj256ELj13ELNS0_17block_load_methodE3ELS4_3ELS4_3ELNS0_20block_scan_algorithmE0ELj4294967295EEENS1_25partition_config_selectorILNS1_17partition_subalgoE4EjNS0_10empty_typeEbEEZZNS1_14partition_implILS8_4ELb0ES6_15HIP_vector_typeIjLj2EENS0_17counting_iteratorIjlEEPS9_SG_NS0_5tupleIJPjSI_NS0_16reverse_iteratorISI_EEEEENSH_IJSG_SG_SG_EEES9_SI_JZNS1_25segmented_radix_sort_implINS0_14default_configELb1EPKiPiPKlPlN2at6native12_GLOBAL__N_18offset_tEEE10hipError_tPvRmT1_PNSt15iterator_traitsIS12_E10value_typeET2_T3_PNS13_IS18_E10value_typeET4_jRbjT5_S1E_jjP12ihipStream_tbEUljE_ZNSN_ISO_Lb1ESQ_SR_ST_SU_SY_EESZ_S10_S11_S12_S16_S17_S18_S1B_S1C_jS1D_jS1E_S1E_jjS1G_bEUljE0_EEESZ_S10_S11_S18_S1C_S1E_T6_T7_T9_mT8_S1G_bDpT10_ENKUlT_T0_E_clISt17integral_constantIbLb1EES1T_IbLb0EEEEDaS1P_S1Q_EUlS1P_E_NS1_11comp_targetILNS1_3genE8ELNS1_11target_archE1030ELNS1_3gpuE2ELNS1_3repE0EEENS1_30default_config_static_selectorELNS0_4arch9wavefront6targetE1EEEvS12_.num_agpr, 0
	.set _ZN7rocprim17ROCPRIM_400000_NS6detail17trampoline_kernelINS0_13select_configILj256ELj13ELNS0_17block_load_methodE3ELS4_3ELS4_3ELNS0_20block_scan_algorithmE0ELj4294967295EEENS1_25partition_config_selectorILNS1_17partition_subalgoE4EjNS0_10empty_typeEbEEZZNS1_14partition_implILS8_4ELb0ES6_15HIP_vector_typeIjLj2EENS0_17counting_iteratorIjlEEPS9_SG_NS0_5tupleIJPjSI_NS0_16reverse_iteratorISI_EEEEENSH_IJSG_SG_SG_EEES9_SI_JZNS1_25segmented_radix_sort_implINS0_14default_configELb1EPKiPiPKlPlN2at6native12_GLOBAL__N_18offset_tEEE10hipError_tPvRmT1_PNSt15iterator_traitsIS12_E10value_typeET2_T3_PNS13_IS18_E10value_typeET4_jRbjT5_S1E_jjP12ihipStream_tbEUljE_ZNSN_ISO_Lb1ESQ_SR_ST_SU_SY_EESZ_S10_S11_S12_S16_S17_S18_S1B_S1C_jS1D_jS1E_S1E_jjS1G_bEUljE0_EEESZ_S10_S11_S18_S1C_S1E_T6_T7_T9_mT8_S1G_bDpT10_ENKUlT_T0_E_clISt17integral_constantIbLb1EES1T_IbLb0EEEEDaS1P_S1Q_EUlS1P_E_NS1_11comp_targetILNS1_3genE8ELNS1_11target_archE1030ELNS1_3gpuE2ELNS1_3repE0EEENS1_30default_config_static_selectorELNS0_4arch9wavefront6targetE1EEEvS12_.numbered_sgpr, 0
	.set _ZN7rocprim17ROCPRIM_400000_NS6detail17trampoline_kernelINS0_13select_configILj256ELj13ELNS0_17block_load_methodE3ELS4_3ELS4_3ELNS0_20block_scan_algorithmE0ELj4294967295EEENS1_25partition_config_selectorILNS1_17partition_subalgoE4EjNS0_10empty_typeEbEEZZNS1_14partition_implILS8_4ELb0ES6_15HIP_vector_typeIjLj2EENS0_17counting_iteratorIjlEEPS9_SG_NS0_5tupleIJPjSI_NS0_16reverse_iteratorISI_EEEEENSH_IJSG_SG_SG_EEES9_SI_JZNS1_25segmented_radix_sort_implINS0_14default_configELb1EPKiPiPKlPlN2at6native12_GLOBAL__N_18offset_tEEE10hipError_tPvRmT1_PNSt15iterator_traitsIS12_E10value_typeET2_T3_PNS13_IS18_E10value_typeET4_jRbjT5_S1E_jjP12ihipStream_tbEUljE_ZNSN_ISO_Lb1ESQ_SR_ST_SU_SY_EESZ_S10_S11_S12_S16_S17_S18_S1B_S1C_jS1D_jS1E_S1E_jjS1G_bEUljE0_EEESZ_S10_S11_S18_S1C_S1E_T6_T7_T9_mT8_S1G_bDpT10_ENKUlT_T0_E_clISt17integral_constantIbLb1EES1T_IbLb0EEEEDaS1P_S1Q_EUlS1P_E_NS1_11comp_targetILNS1_3genE8ELNS1_11target_archE1030ELNS1_3gpuE2ELNS1_3repE0EEENS1_30default_config_static_selectorELNS0_4arch9wavefront6targetE1EEEvS12_.num_named_barrier, 0
	.set _ZN7rocprim17ROCPRIM_400000_NS6detail17trampoline_kernelINS0_13select_configILj256ELj13ELNS0_17block_load_methodE3ELS4_3ELS4_3ELNS0_20block_scan_algorithmE0ELj4294967295EEENS1_25partition_config_selectorILNS1_17partition_subalgoE4EjNS0_10empty_typeEbEEZZNS1_14partition_implILS8_4ELb0ES6_15HIP_vector_typeIjLj2EENS0_17counting_iteratorIjlEEPS9_SG_NS0_5tupleIJPjSI_NS0_16reverse_iteratorISI_EEEEENSH_IJSG_SG_SG_EEES9_SI_JZNS1_25segmented_radix_sort_implINS0_14default_configELb1EPKiPiPKlPlN2at6native12_GLOBAL__N_18offset_tEEE10hipError_tPvRmT1_PNSt15iterator_traitsIS12_E10value_typeET2_T3_PNS13_IS18_E10value_typeET4_jRbjT5_S1E_jjP12ihipStream_tbEUljE_ZNSN_ISO_Lb1ESQ_SR_ST_SU_SY_EESZ_S10_S11_S12_S16_S17_S18_S1B_S1C_jS1D_jS1E_S1E_jjS1G_bEUljE0_EEESZ_S10_S11_S18_S1C_S1E_T6_T7_T9_mT8_S1G_bDpT10_ENKUlT_T0_E_clISt17integral_constantIbLb1EES1T_IbLb0EEEEDaS1P_S1Q_EUlS1P_E_NS1_11comp_targetILNS1_3genE8ELNS1_11target_archE1030ELNS1_3gpuE2ELNS1_3repE0EEENS1_30default_config_static_selectorELNS0_4arch9wavefront6targetE1EEEvS12_.private_seg_size, 0
	.set _ZN7rocprim17ROCPRIM_400000_NS6detail17trampoline_kernelINS0_13select_configILj256ELj13ELNS0_17block_load_methodE3ELS4_3ELS4_3ELNS0_20block_scan_algorithmE0ELj4294967295EEENS1_25partition_config_selectorILNS1_17partition_subalgoE4EjNS0_10empty_typeEbEEZZNS1_14partition_implILS8_4ELb0ES6_15HIP_vector_typeIjLj2EENS0_17counting_iteratorIjlEEPS9_SG_NS0_5tupleIJPjSI_NS0_16reverse_iteratorISI_EEEEENSH_IJSG_SG_SG_EEES9_SI_JZNS1_25segmented_radix_sort_implINS0_14default_configELb1EPKiPiPKlPlN2at6native12_GLOBAL__N_18offset_tEEE10hipError_tPvRmT1_PNSt15iterator_traitsIS12_E10value_typeET2_T3_PNS13_IS18_E10value_typeET4_jRbjT5_S1E_jjP12ihipStream_tbEUljE_ZNSN_ISO_Lb1ESQ_SR_ST_SU_SY_EESZ_S10_S11_S12_S16_S17_S18_S1B_S1C_jS1D_jS1E_S1E_jjS1G_bEUljE0_EEESZ_S10_S11_S18_S1C_S1E_T6_T7_T9_mT8_S1G_bDpT10_ENKUlT_T0_E_clISt17integral_constantIbLb1EES1T_IbLb0EEEEDaS1P_S1Q_EUlS1P_E_NS1_11comp_targetILNS1_3genE8ELNS1_11target_archE1030ELNS1_3gpuE2ELNS1_3repE0EEENS1_30default_config_static_selectorELNS0_4arch9wavefront6targetE1EEEvS12_.uses_vcc, 0
	.set _ZN7rocprim17ROCPRIM_400000_NS6detail17trampoline_kernelINS0_13select_configILj256ELj13ELNS0_17block_load_methodE3ELS4_3ELS4_3ELNS0_20block_scan_algorithmE0ELj4294967295EEENS1_25partition_config_selectorILNS1_17partition_subalgoE4EjNS0_10empty_typeEbEEZZNS1_14partition_implILS8_4ELb0ES6_15HIP_vector_typeIjLj2EENS0_17counting_iteratorIjlEEPS9_SG_NS0_5tupleIJPjSI_NS0_16reverse_iteratorISI_EEEEENSH_IJSG_SG_SG_EEES9_SI_JZNS1_25segmented_radix_sort_implINS0_14default_configELb1EPKiPiPKlPlN2at6native12_GLOBAL__N_18offset_tEEE10hipError_tPvRmT1_PNSt15iterator_traitsIS12_E10value_typeET2_T3_PNS13_IS18_E10value_typeET4_jRbjT5_S1E_jjP12ihipStream_tbEUljE_ZNSN_ISO_Lb1ESQ_SR_ST_SU_SY_EESZ_S10_S11_S12_S16_S17_S18_S1B_S1C_jS1D_jS1E_S1E_jjS1G_bEUljE0_EEESZ_S10_S11_S18_S1C_S1E_T6_T7_T9_mT8_S1G_bDpT10_ENKUlT_T0_E_clISt17integral_constantIbLb1EES1T_IbLb0EEEEDaS1P_S1Q_EUlS1P_E_NS1_11comp_targetILNS1_3genE8ELNS1_11target_archE1030ELNS1_3gpuE2ELNS1_3repE0EEENS1_30default_config_static_selectorELNS0_4arch9wavefront6targetE1EEEvS12_.uses_flat_scratch, 0
	.set _ZN7rocprim17ROCPRIM_400000_NS6detail17trampoline_kernelINS0_13select_configILj256ELj13ELNS0_17block_load_methodE3ELS4_3ELS4_3ELNS0_20block_scan_algorithmE0ELj4294967295EEENS1_25partition_config_selectorILNS1_17partition_subalgoE4EjNS0_10empty_typeEbEEZZNS1_14partition_implILS8_4ELb0ES6_15HIP_vector_typeIjLj2EENS0_17counting_iteratorIjlEEPS9_SG_NS0_5tupleIJPjSI_NS0_16reverse_iteratorISI_EEEEENSH_IJSG_SG_SG_EEES9_SI_JZNS1_25segmented_radix_sort_implINS0_14default_configELb1EPKiPiPKlPlN2at6native12_GLOBAL__N_18offset_tEEE10hipError_tPvRmT1_PNSt15iterator_traitsIS12_E10value_typeET2_T3_PNS13_IS18_E10value_typeET4_jRbjT5_S1E_jjP12ihipStream_tbEUljE_ZNSN_ISO_Lb1ESQ_SR_ST_SU_SY_EESZ_S10_S11_S12_S16_S17_S18_S1B_S1C_jS1D_jS1E_S1E_jjS1G_bEUljE0_EEESZ_S10_S11_S18_S1C_S1E_T6_T7_T9_mT8_S1G_bDpT10_ENKUlT_T0_E_clISt17integral_constantIbLb1EES1T_IbLb0EEEEDaS1P_S1Q_EUlS1P_E_NS1_11comp_targetILNS1_3genE8ELNS1_11target_archE1030ELNS1_3gpuE2ELNS1_3repE0EEENS1_30default_config_static_selectorELNS0_4arch9wavefront6targetE1EEEvS12_.has_dyn_sized_stack, 0
	.set _ZN7rocprim17ROCPRIM_400000_NS6detail17trampoline_kernelINS0_13select_configILj256ELj13ELNS0_17block_load_methodE3ELS4_3ELS4_3ELNS0_20block_scan_algorithmE0ELj4294967295EEENS1_25partition_config_selectorILNS1_17partition_subalgoE4EjNS0_10empty_typeEbEEZZNS1_14partition_implILS8_4ELb0ES6_15HIP_vector_typeIjLj2EENS0_17counting_iteratorIjlEEPS9_SG_NS0_5tupleIJPjSI_NS0_16reverse_iteratorISI_EEEEENSH_IJSG_SG_SG_EEES9_SI_JZNS1_25segmented_radix_sort_implINS0_14default_configELb1EPKiPiPKlPlN2at6native12_GLOBAL__N_18offset_tEEE10hipError_tPvRmT1_PNSt15iterator_traitsIS12_E10value_typeET2_T3_PNS13_IS18_E10value_typeET4_jRbjT5_S1E_jjP12ihipStream_tbEUljE_ZNSN_ISO_Lb1ESQ_SR_ST_SU_SY_EESZ_S10_S11_S12_S16_S17_S18_S1B_S1C_jS1D_jS1E_S1E_jjS1G_bEUljE0_EEESZ_S10_S11_S18_S1C_S1E_T6_T7_T9_mT8_S1G_bDpT10_ENKUlT_T0_E_clISt17integral_constantIbLb1EES1T_IbLb0EEEEDaS1P_S1Q_EUlS1P_E_NS1_11comp_targetILNS1_3genE8ELNS1_11target_archE1030ELNS1_3gpuE2ELNS1_3repE0EEENS1_30default_config_static_selectorELNS0_4arch9wavefront6targetE1EEEvS12_.has_recursion, 0
	.set _ZN7rocprim17ROCPRIM_400000_NS6detail17trampoline_kernelINS0_13select_configILj256ELj13ELNS0_17block_load_methodE3ELS4_3ELS4_3ELNS0_20block_scan_algorithmE0ELj4294967295EEENS1_25partition_config_selectorILNS1_17partition_subalgoE4EjNS0_10empty_typeEbEEZZNS1_14partition_implILS8_4ELb0ES6_15HIP_vector_typeIjLj2EENS0_17counting_iteratorIjlEEPS9_SG_NS0_5tupleIJPjSI_NS0_16reverse_iteratorISI_EEEEENSH_IJSG_SG_SG_EEES9_SI_JZNS1_25segmented_radix_sort_implINS0_14default_configELb1EPKiPiPKlPlN2at6native12_GLOBAL__N_18offset_tEEE10hipError_tPvRmT1_PNSt15iterator_traitsIS12_E10value_typeET2_T3_PNS13_IS18_E10value_typeET4_jRbjT5_S1E_jjP12ihipStream_tbEUljE_ZNSN_ISO_Lb1ESQ_SR_ST_SU_SY_EESZ_S10_S11_S12_S16_S17_S18_S1B_S1C_jS1D_jS1E_S1E_jjS1G_bEUljE0_EEESZ_S10_S11_S18_S1C_S1E_T6_T7_T9_mT8_S1G_bDpT10_ENKUlT_T0_E_clISt17integral_constantIbLb1EES1T_IbLb0EEEEDaS1P_S1Q_EUlS1P_E_NS1_11comp_targetILNS1_3genE8ELNS1_11target_archE1030ELNS1_3gpuE2ELNS1_3repE0EEENS1_30default_config_static_selectorELNS0_4arch9wavefront6targetE1EEEvS12_.has_indirect_call, 0
	.section	.AMDGPU.csdata,"",@progbits
; Kernel info:
; codeLenInByte = 0
; TotalNumSgprs: 4
; NumVgprs: 0
; ScratchSize: 0
; MemoryBound: 0
; FloatMode: 240
; IeeeMode: 1
; LDSByteSize: 0 bytes/workgroup (compile time only)
; SGPRBlocks: 0
; VGPRBlocks: 0
; NumSGPRsForWavesPerEU: 4
; NumVGPRsForWavesPerEU: 1
; Occupancy: 10
; WaveLimiterHint : 0
; COMPUTE_PGM_RSRC2:SCRATCH_EN: 0
; COMPUTE_PGM_RSRC2:USER_SGPR: 6
; COMPUTE_PGM_RSRC2:TRAP_HANDLER: 0
; COMPUTE_PGM_RSRC2:TGID_X_EN: 1
; COMPUTE_PGM_RSRC2:TGID_Y_EN: 0
; COMPUTE_PGM_RSRC2:TGID_Z_EN: 0
; COMPUTE_PGM_RSRC2:TIDIG_COMP_CNT: 0
	.section	.text._ZN7rocprim17ROCPRIM_400000_NS6detail17trampoline_kernelINS0_13select_configILj256ELj13ELNS0_17block_load_methodE3ELS4_3ELS4_3ELNS0_20block_scan_algorithmE0ELj4294967295EEENS1_25partition_config_selectorILNS1_17partition_subalgoE4EjNS0_10empty_typeEbEEZZNS1_14partition_implILS8_4ELb0ES6_15HIP_vector_typeIjLj2EENS0_17counting_iteratorIjlEEPS9_SG_NS0_5tupleIJPjSI_NS0_16reverse_iteratorISI_EEEEENSH_IJSG_SG_SG_EEES9_SI_JZNS1_25segmented_radix_sort_implINS0_14default_configELb1EPKiPiPKlPlN2at6native12_GLOBAL__N_18offset_tEEE10hipError_tPvRmT1_PNSt15iterator_traitsIS12_E10value_typeET2_T3_PNS13_IS18_E10value_typeET4_jRbjT5_S1E_jjP12ihipStream_tbEUljE_ZNSN_ISO_Lb1ESQ_SR_ST_SU_SY_EESZ_S10_S11_S12_S16_S17_S18_S1B_S1C_jS1D_jS1E_S1E_jjS1G_bEUljE0_EEESZ_S10_S11_S18_S1C_S1E_T6_T7_T9_mT8_S1G_bDpT10_ENKUlT_T0_E_clISt17integral_constantIbLb0EES1T_IbLb1EEEEDaS1P_S1Q_EUlS1P_E_NS1_11comp_targetILNS1_3genE0ELNS1_11target_archE4294967295ELNS1_3gpuE0ELNS1_3repE0EEENS1_30default_config_static_selectorELNS0_4arch9wavefront6targetE1EEEvS12_,"axG",@progbits,_ZN7rocprim17ROCPRIM_400000_NS6detail17trampoline_kernelINS0_13select_configILj256ELj13ELNS0_17block_load_methodE3ELS4_3ELS4_3ELNS0_20block_scan_algorithmE0ELj4294967295EEENS1_25partition_config_selectorILNS1_17partition_subalgoE4EjNS0_10empty_typeEbEEZZNS1_14partition_implILS8_4ELb0ES6_15HIP_vector_typeIjLj2EENS0_17counting_iteratorIjlEEPS9_SG_NS0_5tupleIJPjSI_NS0_16reverse_iteratorISI_EEEEENSH_IJSG_SG_SG_EEES9_SI_JZNS1_25segmented_radix_sort_implINS0_14default_configELb1EPKiPiPKlPlN2at6native12_GLOBAL__N_18offset_tEEE10hipError_tPvRmT1_PNSt15iterator_traitsIS12_E10value_typeET2_T3_PNS13_IS18_E10value_typeET4_jRbjT5_S1E_jjP12ihipStream_tbEUljE_ZNSN_ISO_Lb1ESQ_SR_ST_SU_SY_EESZ_S10_S11_S12_S16_S17_S18_S1B_S1C_jS1D_jS1E_S1E_jjS1G_bEUljE0_EEESZ_S10_S11_S18_S1C_S1E_T6_T7_T9_mT8_S1G_bDpT10_ENKUlT_T0_E_clISt17integral_constantIbLb0EES1T_IbLb1EEEEDaS1P_S1Q_EUlS1P_E_NS1_11comp_targetILNS1_3genE0ELNS1_11target_archE4294967295ELNS1_3gpuE0ELNS1_3repE0EEENS1_30default_config_static_selectorELNS0_4arch9wavefront6targetE1EEEvS12_,comdat
	.globl	_ZN7rocprim17ROCPRIM_400000_NS6detail17trampoline_kernelINS0_13select_configILj256ELj13ELNS0_17block_load_methodE3ELS4_3ELS4_3ELNS0_20block_scan_algorithmE0ELj4294967295EEENS1_25partition_config_selectorILNS1_17partition_subalgoE4EjNS0_10empty_typeEbEEZZNS1_14partition_implILS8_4ELb0ES6_15HIP_vector_typeIjLj2EENS0_17counting_iteratorIjlEEPS9_SG_NS0_5tupleIJPjSI_NS0_16reverse_iteratorISI_EEEEENSH_IJSG_SG_SG_EEES9_SI_JZNS1_25segmented_radix_sort_implINS0_14default_configELb1EPKiPiPKlPlN2at6native12_GLOBAL__N_18offset_tEEE10hipError_tPvRmT1_PNSt15iterator_traitsIS12_E10value_typeET2_T3_PNS13_IS18_E10value_typeET4_jRbjT5_S1E_jjP12ihipStream_tbEUljE_ZNSN_ISO_Lb1ESQ_SR_ST_SU_SY_EESZ_S10_S11_S12_S16_S17_S18_S1B_S1C_jS1D_jS1E_S1E_jjS1G_bEUljE0_EEESZ_S10_S11_S18_S1C_S1E_T6_T7_T9_mT8_S1G_bDpT10_ENKUlT_T0_E_clISt17integral_constantIbLb0EES1T_IbLb1EEEEDaS1P_S1Q_EUlS1P_E_NS1_11comp_targetILNS1_3genE0ELNS1_11target_archE4294967295ELNS1_3gpuE0ELNS1_3repE0EEENS1_30default_config_static_selectorELNS0_4arch9wavefront6targetE1EEEvS12_ ; -- Begin function _ZN7rocprim17ROCPRIM_400000_NS6detail17trampoline_kernelINS0_13select_configILj256ELj13ELNS0_17block_load_methodE3ELS4_3ELS4_3ELNS0_20block_scan_algorithmE0ELj4294967295EEENS1_25partition_config_selectorILNS1_17partition_subalgoE4EjNS0_10empty_typeEbEEZZNS1_14partition_implILS8_4ELb0ES6_15HIP_vector_typeIjLj2EENS0_17counting_iteratorIjlEEPS9_SG_NS0_5tupleIJPjSI_NS0_16reverse_iteratorISI_EEEEENSH_IJSG_SG_SG_EEES9_SI_JZNS1_25segmented_radix_sort_implINS0_14default_configELb1EPKiPiPKlPlN2at6native12_GLOBAL__N_18offset_tEEE10hipError_tPvRmT1_PNSt15iterator_traitsIS12_E10value_typeET2_T3_PNS13_IS18_E10value_typeET4_jRbjT5_S1E_jjP12ihipStream_tbEUljE_ZNSN_ISO_Lb1ESQ_SR_ST_SU_SY_EESZ_S10_S11_S12_S16_S17_S18_S1B_S1C_jS1D_jS1E_S1E_jjS1G_bEUljE0_EEESZ_S10_S11_S18_S1C_S1E_T6_T7_T9_mT8_S1G_bDpT10_ENKUlT_T0_E_clISt17integral_constantIbLb0EES1T_IbLb1EEEEDaS1P_S1Q_EUlS1P_E_NS1_11comp_targetILNS1_3genE0ELNS1_11target_archE4294967295ELNS1_3gpuE0ELNS1_3repE0EEENS1_30default_config_static_selectorELNS0_4arch9wavefront6targetE1EEEvS12_
	.p2align	8
	.type	_ZN7rocprim17ROCPRIM_400000_NS6detail17trampoline_kernelINS0_13select_configILj256ELj13ELNS0_17block_load_methodE3ELS4_3ELS4_3ELNS0_20block_scan_algorithmE0ELj4294967295EEENS1_25partition_config_selectorILNS1_17partition_subalgoE4EjNS0_10empty_typeEbEEZZNS1_14partition_implILS8_4ELb0ES6_15HIP_vector_typeIjLj2EENS0_17counting_iteratorIjlEEPS9_SG_NS0_5tupleIJPjSI_NS0_16reverse_iteratorISI_EEEEENSH_IJSG_SG_SG_EEES9_SI_JZNS1_25segmented_radix_sort_implINS0_14default_configELb1EPKiPiPKlPlN2at6native12_GLOBAL__N_18offset_tEEE10hipError_tPvRmT1_PNSt15iterator_traitsIS12_E10value_typeET2_T3_PNS13_IS18_E10value_typeET4_jRbjT5_S1E_jjP12ihipStream_tbEUljE_ZNSN_ISO_Lb1ESQ_SR_ST_SU_SY_EESZ_S10_S11_S12_S16_S17_S18_S1B_S1C_jS1D_jS1E_S1E_jjS1G_bEUljE0_EEESZ_S10_S11_S18_S1C_S1E_T6_T7_T9_mT8_S1G_bDpT10_ENKUlT_T0_E_clISt17integral_constantIbLb0EES1T_IbLb1EEEEDaS1P_S1Q_EUlS1P_E_NS1_11comp_targetILNS1_3genE0ELNS1_11target_archE4294967295ELNS1_3gpuE0ELNS1_3repE0EEENS1_30default_config_static_selectorELNS0_4arch9wavefront6targetE1EEEvS12_,@function
_ZN7rocprim17ROCPRIM_400000_NS6detail17trampoline_kernelINS0_13select_configILj256ELj13ELNS0_17block_load_methodE3ELS4_3ELS4_3ELNS0_20block_scan_algorithmE0ELj4294967295EEENS1_25partition_config_selectorILNS1_17partition_subalgoE4EjNS0_10empty_typeEbEEZZNS1_14partition_implILS8_4ELb0ES6_15HIP_vector_typeIjLj2EENS0_17counting_iteratorIjlEEPS9_SG_NS0_5tupleIJPjSI_NS0_16reverse_iteratorISI_EEEEENSH_IJSG_SG_SG_EEES9_SI_JZNS1_25segmented_radix_sort_implINS0_14default_configELb1EPKiPiPKlPlN2at6native12_GLOBAL__N_18offset_tEEE10hipError_tPvRmT1_PNSt15iterator_traitsIS12_E10value_typeET2_T3_PNS13_IS18_E10value_typeET4_jRbjT5_S1E_jjP12ihipStream_tbEUljE_ZNSN_ISO_Lb1ESQ_SR_ST_SU_SY_EESZ_S10_S11_S12_S16_S17_S18_S1B_S1C_jS1D_jS1E_S1E_jjS1G_bEUljE0_EEESZ_S10_S11_S18_S1C_S1E_T6_T7_T9_mT8_S1G_bDpT10_ENKUlT_T0_E_clISt17integral_constantIbLb0EES1T_IbLb1EEEEDaS1P_S1Q_EUlS1P_E_NS1_11comp_targetILNS1_3genE0ELNS1_11target_archE4294967295ELNS1_3gpuE0ELNS1_3repE0EEENS1_30default_config_static_selectorELNS0_4arch9wavefront6targetE1EEEvS12_: ; @_ZN7rocprim17ROCPRIM_400000_NS6detail17trampoline_kernelINS0_13select_configILj256ELj13ELNS0_17block_load_methodE3ELS4_3ELS4_3ELNS0_20block_scan_algorithmE0ELj4294967295EEENS1_25partition_config_selectorILNS1_17partition_subalgoE4EjNS0_10empty_typeEbEEZZNS1_14partition_implILS8_4ELb0ES6_15HIP_vector_typeIjLj2EENS0_17counting_iteratorIjlEEPS9_SG_NS0_5tupleIJPjSI_NS0_16reverse_iteratorISI_EEEEENSH_IJSG_SG_SG_EEES9_SI_JZNS1_25segmented_radix_sort_implINS0_14default_configELb1EPKiPiPKlPlN2at6native12_GLOBAL__N_18offset_tEEE10hipError_tPvRmT1_PNSt15iterator_traitsIS12_E10value_typeET2_T3_PNS13_IS18_E10value_typeET4_jRbjT5_S1E_jjP12ihipStream_tbEUljE_ZNSN_ISO_Lb1ESQ_SR_ST_SU_SY_EESZ_S10_S11_S12_S16_S17_S18_S1B_S1C_jS1D_jS1E_S1E_jjS1G_bEUljE0_EEESZ_S10_S11_S18_S1C_S1E_T6_T7_T9_mT8_S1G_bDpT10_ENKUlT_T0_E_clISt17integral_constantIbLb0EES1T_IbLb1EEEEDaS1P_S1Q_EUlS1P_E_NS1_11comp_targetILNS1_3genE0ELNS1_11target_archE4294967295ELNS1_3gpuE0ELNS1_3repE0EEENS1_30default_config_static_selectorELNS0_4arch9wavefront6targetE1EEEvS12_
; %bb.0:
	.section	.rodata,"a",@progbits
	.p2align	6, 0x0
	.amdhsa_kernel _ZN7rocprim17ROCPRIM_400000_NS6detail17trampoline_kernelINS0_13select_configILj256ELj13ELNS0_17block_load_methodE3ELS4_3ELS4_3ELNS0_20block_scan_algorithmE0ELj4294967295EEENS1_25partition_config_selectorILNS1_17partition_subalgoE4EjNS0_10empty_typeEbEEZZNS1_14partition_implILS8_4ELb0ES6_15HIP_vector_typeIjLj2EENS0_17counting_iteratorIjlEEPS9_SG_NS0_5tupleIJPjSI_NS0_16reverse_iteratorISI_EEEEENSH_IJSG_SG_SG_EEES9_SI_JZNS1_25segmented_radix_sort_implINS0_14default_configELb1EPKiPiPKlPlN2at6native12_GLOBAL__N_18offset_tEEE10hipError_tPvRmT1_PNSt15iterator_traitsIS12_E10value_typeET2_T3_PNS13_IS18_E10value_typeET4_jRbjT5_S1E_jjP12ihipStream_tbEUljE_ZNSN_ISO_Lb1ESQ_SR_ST_SU_SY_EESZ_S10_S11_S12_S16_S17_S18_S1B_S1C_jS1D_jS1E_S1E_jjS1G_bEUljE0_EEESZ_S10_S11_S18_S1C_S1E_T6_T7_T9_mT8_S1G_bDpT10_ENKUlT_T0_E_clISt17integral_constantIbLb0EES1T_IbLb1EEEEDaS1P_S1Q_EUlS1P_E_NS1_11comp_targetILNS1_3genE0ELNS1_11target_archE4294967295ELNS1_3gpuE0ELNS1_3repE0EEENS1_30default_config_static_selectorELNS0_4arch9wavefront6targetE1EEEvS12_
		.amdhsa_group_segment_fixed_size 0
		.amdhsa_private_segment_fixed_size 0
		.amdhsa_kernarg_size 184
		.amdhsa_user_sgpr_count 6
		.amdhsa_user_sgpr_private_segment_buffer 1
		.amdhsa_user_sgpr_dispatch_ptr 0
		.amdhsa_user_sgpr_queue_ptr 0
		.amdhsa_user_sgpr_kernarg_segment_ptr 1
		.amdhsa_user_sgpr_dispatch_id 0
		.amdhsa_user_sgpr_flat_scratch_init 0
		.amdhsa_user_sgpr_private_segment_size 0
		.amdhsa_uses_dynamic_stack 0
		.amdhsa_system_sgpr_private_segment_wavefront_offset 0
		.amdhsa_system_sgpr_workgroup_id_x 1
		.amdhsa_system_sgpr_workgroup_id_y 0
		.amdhsa_system_sgpr_workgroup_id_z 0
		.amdhsa_system_sgpr_workgroup_info 0
		.amdhsa_system_vgpr_workitem_id 0
		.amdhsa_next_free_vgpr 1
		.amdhsa_next_free_sgpr 0
		.amdhsa_reserve_vcc 0
		.amdhsa_reserve_flat_scratch 0
		.amdhsa_float_round_mode_32 0
		.amdhsa_float_round_mode_16_64 0
		.amdhsa_float_denorm_mode_32 3
		.amdhsa_float_denorm_mode_16_64 3
		.amdhsa_dx10_clamp 1
		.amdhsa_ieee_mode 1
		.amdhsa_fp16_overflow 0
		.amdhsa_exception_fp_ieee_invalid_op 0
		.amdhsa_exception_fp_denorm_src 0
		.amdhsa_exception_fp_ieee_div_zero 0
		.amdhsa_exception_fp_ieee_overflow 0
		.amdhsa_exception_fp_ieee_underflow 0
		.amdhsa_exception_fp_ieee_inexact 0
		.amdhsa_exception_int_div_zero 0
	.end_amdhsa_kernel
	.section	.text._ZN7rocprim17ROCPRIM_400000_NS6detail17trampoline_kernelINS0_13select_configILj256ELj13ELNS0_17block_load_methodE3ELS4_3ELS4_3ELNS0_20block_scan_algorithmE0ELj4294967295EEENS1_25partition_config_selectorILNS1_17partition_subalgoE4EjNS0_10empty_typeEbEEZZNS1_14partition_implILS8_4ELb0ES6_15HIP_vector_typeIjLj2EENS0_17counting_iteratorIjlEEPS9_SG_NS0_5tupleIJPjSI_NS0_16reverse_iteratorISI_EEEEENSH_IJSG_SG_SG_EEES9_SI_JZNS1_25segmented_radix_sort_implINS0_14default_configELb1EPKiPiPKlPlN2at6native12_GLOBAL__N_18offset_tEEE10hipError_tPvRmT1_PNSt15iterator_traitsIS12_E10value_typeET2_T3_PNS13_IS18_E10value_typeET4_jRbjT5_S1E_jjP12ihipStream_tbEUljE_ZNSN_ISO_Lb1ESQ_SR_ST_SU_SY_EESZ_S10_S11_S12_S16_S17_S18_S1B_S1C_jS1D_jS1E_S1E_jjS1G_bEUljE0_EEESZ_S10_S11_S18_S1C_S1E_T6_T7_T9_mT8_S1G_bDpT10_ENKUlT_T0_E_clISt17integral_constantIbLb0EES1T_IbLb1EEEEDaS1P_S1Q_EUlS1P_E_NS1_11comp_targetILNS1_3genE0ELNS1_11target_archE4294967295ELNS1_3gpuE0ELNS1_3repE0EEENS1_30default_config_static_selectorELNS0_4arch9wavefront6targetE1EEEvS12_,"axG",@progbits,_ZN7rocprim17ROCPRIM_400000_NS6detail17trampoline_kernelINS0_13select_configILj256ELj13ELNS0_17block_load_methodE3ELS4_3ELS4_3ELNS0_20block_scan_algorithmE0ELj4294967295EEENS1_25partition_config_selectorILNS1_17partition_subalgoE4EjNS0_10empty_typeEbEEZZNS1_14partition_implILS8_4ELb0ES6_15HIP_vector_typeIjLj2EENS0_17counting_iteratorIjlEEPS9_SG_NS0_5tupleIJPjSI_NS0_16reverse_iteratorISI_EEEEENSH_IJSG_SG_SG_EEES9_SI_JZNS1_25segmented_radix_sort_implINS0_14default_configELb1EPKiPiPKlPlN2at6native12_GLOBAL__N_18offset_tEEE10hipError_tPvRmT1_PNSt15iterator_traitsIS12_E10value_typeET2_T3_PNS13_IS18_E10value_typeET4_jRbjT5_S1E_jjP12ihipStream_tbEUljE_ZNSN_ISO_Lb1ESQ_SR_ST_SU_SY_EESZ_S10_S11_S12_S16_S17_S18_S1B_S1C_jS1D_jS1E_S1E_jjS1G_bEUljE0_EEESZ_S10_S11_S18_S1C_S1E_T6_T7_T9_mT8_S1G_bDpT10_ENKUlT_T0_E_clISt17integral_constantIbLb0EES1T_IbLb1EEEEDaS1P_S1Q_EUlS1P_E_NS1_11comp_targetILNS1_3genE0ELNS1_11target_archE4294967295ELNS1_3gpuE0ELNS1_3repE0EEENS1_30default_config_static_selectorELNS0_4arch9wavefront6targetE1EEEvS12_,comdat
.Lfunc_end457:
	.size	_ZN7rocprim17ROCPRIM_400000_NS6detail17trampoline_kernelINS0_13select_configILj256ELj13ELNS0_17block_load_methodE3ELS4_3ELS4_3ELNS0_20block_scan_algorithmE0ELj4294967295EEENS1_25partition_config_selectorILNS1_17partition_subalgoE4EjNS0_10empty_typeEbEEZZNS1_14partition_implILS8_4ELb0ES6_15HIP_vector_typeIjLj2EENS0_17counting_iteratorIjlEEPS9_SG_NS0_5tupleIJPjSI_NS0_16reverse_iteratorISI_EEEEENSH_IJSG_SG_SG_EEES9_SI_JZNS1_25segmented_radix_sort_implINS0_14default_configELb1EPKiPiPKlPlN2at6native12_GLOBAL__N_18offset_tEEE10hipError_tPvRmT1_PNSt15iterator_traitsIS12_E10value_typeET2_T3_PNS13_IS18_E10value_typeET4_jRbjT5_S1E_jjP12ihipStream_tbEUljE_ZNSN_ISO_Lb1ESQ_SR_ST_SU_SY_EESZ_S10_S11_S12_S16_S17_S18_S1B_S1C_jS1D_jS1E_S1E_jjS1G_bEUljE0_EEESZ_S10_S11_S18_S1C_S1E_T6_T7_T9_mT8_S1G_bDpT10_ENKUlT_T0_E_clISt17integral_constantIbLb0EES1T_IbLb1EEEEDaS1P_S1Q_EUlS1P_E_NS1_11comp_targetILNS1_3genE0ELNS1_11target_archE4294967295ELNS1_3gpuE0ELNS1_3repE0EEENS1_30default_config_static_selectorELNS0_4arch9wavefront6targetE1EEEvS12_, .Lfunc_end457-_ZN7rocprim17ROCPRIM_400000_NS6detail17trampoline_kernelINS0_13select_configILj256ELj13ELNS0_17block_load_methodE3ELS4_3ELS4_3ELNS0_20block_scan_algorithmE0ELj4294967295EEENS1_25partition_config_selectorILNS1_17partition_subalgoE4EjNS0_10empty_typeEbEEZZNS1_14partition_implILS8_4ELb0ES6_15HIP_vector_typeIjLj2EENS0_17counting_iteratorIjlEEPS9_SG_NS0_5tupleIJPjSI_NS0_16reverse_iteratorISI_EEEEENSH_IJSG_SG_SG_EEES9_SI_JZNS1_25segmented_radix_sort_implINS0_14default_configELb1EPKiPiPKlPlN2at6native12_GLOBAL__N_18offset_tEEE10hipError_tPvRmT1_PNSt15iterator_traitsIS12_E10value_typeET2_T3_PNS13_IS18_E10value_typeET4_jRbjT5_S1E_jjP12ihipStream_tbEUljE_ZNSN_ISO_Lb1ESQ_SR_ST_SU_SY_EESZ_S10_S11_S12_S16_S17_S18_S1B_S1C_jS1D_jS1E_S1E_jjS1G_bEUljE0_EEESZ_S10_S11_S18_S1C_S1E_T6_T7_T9_mT8_S1G_bDpT10_ENKUlT_T0_E_clISt17integral_constantIbLb0EES1T_IbLb1EEEEDaS1P_S1Q_EUlS1P_E_NS1_11comp_targetILNS1_3genE0ELNS1_11target_archE4294967295ELNS1_3gpuE0ELNS1_3repE0EEENS1_30default_config_static_selectorELNS0_4arch9wavefront6targetE1EEEvS12_
                                        ; -- End function
	.set _ZN7rocprim17ROCPRIM_400000_NS6detail17trampoline_kernelINS0_13select_configILj256ELj13ELNS0_17block_load_methodE3ELS4_3ELS4_3ELNS0_20block_scan_algorithmE0ELj4294967295EEENS1_25partition_config_selectorILNS1_17partition_subalgoE4EjNS0_10empty_typeEbEEZZNS1_14partition_implILS8_4ELb0ES6_15HIP_vector_typeIjLj2EENS0_17counting_iteratorIjlEEPS9_SG_NS0_5tupleIJPjSI_NS0_16reverse_iteratorISI_EEEEENSH_IJSG_SG_SG_EEES9_SI_JZNS1_25segmented_radix_sort_implINS0_14default_configELb1EPKiPiPKlPlN2at6native12_GLOBAL__N_18offset_tEEE10hipError_tPvRmT1_PNSt15iterator_traitsIS12_E10value_typeET2_T3_PNS13_IS18_E10value_typeET4_jRbjT5_S1E_jjP12ihipStream_tbEUljE_ZNSN_ISO_Lb1ESQ_SR_ST_SU_SY_EESZ_S10_S11_S12_S16_S17_S18_S1B_S1C_jS1D_jS1E_S1E_jjS1G_bEUljE0_EEESZ_S10_S11_S18_S1C_S1E_T6_T7_T9_mT8_S1G_bDpT10_ENKUlT_T0_E_clISt17integral_constantIbLb0EES1T_IbLb1EEEEDaS1P_S1Q_EUlS1P_E_NS1_11comp_targetILNS1_3genE0ELNS1_11target_archE4294967295ELNS1_3gpuE0ELNS1_3repE0EEENS1_30default_config_static_selectorELNS0_4arch9wavefront6targetE1EEEvS12_.num_vgpr, 0
	.set _ZN7rocprim17ROCPRIM_400000_NS6detail17trampoline_kernelINS0_13select_configILj256ELj13ELNS0_17block_load_methodE3ELS4_3ELS4_3ELNS0_20block_scan_algorithmE0ELj4294967295EEENS1_25partition_config_selectorILNS1_17partition_subalgoE4EjNS0_10empty_typeEbEEZZNS1_14partition_implILS8_4ELb0ES6_15HIP_vector_typeIjLj2EENS0_17counting_iteratorIjlEEPS9_SG_NS0_5tupleIJPjSI_NS0_16reverse_iteratorISI_EEEEENSH_IJSG_SG_SG_EEES9_SI_JZNS1_25segmented_radix_sort_implINS0_14default_configELb1EPKiPiPKlPlN2at6native12_GLOBAL__N_18offset_tEEE10hipError_tPvRmT1_PNSt15iterator_traitsIS12_E10value_typeET2_T3_PNS13_IS18_E10value_typeET4_jRbjT5_S1E_jjP12ihipStream_tbEUljE_ZNSN_ISO_Lb1ESQ_SR_ST_SU_SY_EESZ_S10_S11_S12_S16_S17_S18_S1B_S1C_jS1D_jS1E_S1E_jjS1G_bEUljE0_EEESZ_S10_S11_S18_S1C_S1E_T6_T7_T9_mT8_S1G_bDpT10_ENKUlT_T0_E_clISt17integral_constantIbLb0EES1T_IbLb1EEEEDaS1P_S1Q_EUlS1P_E_NS1_11comp_targetILNS1_3genE0ELNS1_11target_archE4294967295ELNS1_3gpuE0ELNS1_3repE0EEENS1_30default_config_static_selectorELNS0_4arch9wavefront6targetE1EEEvS12_.num_agpr, 0
	.set _ZN7rocprim17ROCPRIM_400000_NS6detail17trampoline_kernelINS0_13select_configILj256ELj13ELNS0_17block_load_methodE3ELS4_3ELS4_3ELNS0_20block_scan_algorithmE0ELj4294967295EEENS1_25partition_config_selectorILNS1_17partition_subalgoE4EjNS0_10empty_typeEbEEZZNS1_14partition_implILS8_4ELb0ES6_15HIP_vector_typeIjLj2EENS0_17counting_iteratorIjlEEPS9_SG_NS0_5tupleIJPjSI_NS0_16reverse_iteratorISI_EEEEENSH_IJSG_SG_SG_EEES9_SI_JZNS1_25segmented_radix_sort_implINS0_14default_configELb1EPKiPiPKlPlN2at6native12_GLOBAL__N_18offset_tEEE10hipError_tPvRmT1_PNSt15iterator_traitsIS12_E10value_typeET2_T3_PNS13_IS18_E10value_typeET4_jRbjT5_S1E_jjP12ihipStream_tbEUljE_ZNSN_ISO_Lb1ESQ_SR_ST_SU_SY_EESZ_S10_S11_S12_S16_S17_S18_S1B_S1C_jS1D_jS1E_S1E_jjS1G_bEUljE0_EEESZ_S10_S11_S18_S1C_S1E_T6_T7_T9_mT8_S1G_bDpT10_ENKUlT_T0_E_clISt17integral_constantIbLb0EES1T_IbLb1EEEEDaS1P_S1Q_EUlS1P_E_NS1_11comp_targetILNS1_3genE0ELNS1_11target_archE4294967295ELNS1_3gpuE0ELNS1_3repE0EEENS1_30default_config_static_selectorELNS0_4arch9wavefront6targetE1EEEvS12_.numbered_sgpr, 0
	.set _ZN7rocprim17ROCPRIM_400000_NS6detail17trampoline_kernelINS0_13select_configILj256ELj13ELNS0_17block_load_methodE3ELS4_3ELS4_3ELNS0_20block_scan_algorithmE0ELj4294967295EEENS1_25partition_config_selectorILNS1_17partition_subalgoE4EjNS0_10empty_typeEbEEZZNS1_14partition_implILS8_4ELb0ES6_15HIP_vector_typeIjLj2EENS0_17counting_iteratorIjlEEPS9_SG_NS0_5tupleIJPjSI_NS0_16reverse_iteratorISI_EEEEENSH_IJSG_SG_SG_EEES9_SI_JZNS1_25segmented_radix_sort_implINS0_14default_configELb1EPKiPiPKlPlN2at6native12_GLOBAL__N_18offset_tEEE10hipError_tPvRmT1_PNSt15iterator_traitsIS12_E10value_typeET2_T3_PNS13_IS18_E10value_typeET4_jRbjT5_S1E_jjP12ihipStream_tbEUljE_ZNSN_ISO_Lb1ESQ_SR_ST_SU_SY_EESZ_S10_S11_S12_S16_S17_S18_S1B_S1C_jS1D_jS1E_S1E_jjS1G_bEUljE0_EEESZ_S10_S11_S18_S1C_S1E_T6_T7_T9_mT8_S1G_bDpT10_ENKUlT_T0_E_clISt17integral_constantIbLb0EES1T_IbLb1EEEEDaS1P_S1Q_EUlS1P_E_NS1_11comp_targetILNS1_3genE0ELNS1_11target_archE4294967295ELNS1_3gpuE0ELNS1_3repE0EEENS1_30default_config_static_selectorELNS0_4arch9wavefront6targetE1EEEvS12_.num_named_barrier, 0
	.set _ZN7rocprim17ROCPRIM_400000_NS6detail17trampoline_kernelINS0_13select_configILj256ELj13ELNS0_17block_load_methodE3ELS4_3ELS4_3ELNS0_20block_scan_algorithmE0ELj4294967295EEENS1_25partition_config_selectorILNS1_17partition_subalgoE4EjNS0_10empty_typeEbEEZZNS1_14partition_implILS8_4ELb0ES6_15HIP_vector_typeIjLj2EENS0_17counting_iteratorIjlEEPS9_SG_NS0_5tupleIJPjSI_NS0_16reverse_iteratorISI_EEEEENSH_IJSG_SG_SG_EEES9_SI_JZNS1_25segmented_radix_sort_implINS0_14default_configELb1EPKiPiPKlPlN2at6native12_GLOBAL__N_18offset_tEEE10hipError_tPvRmT1_PNSt15iterator_traitsIS12_E10value_typeET2_T3_PNS13_IS18_E10value_typeET4_jRbjT5_S1E_jjP12ihipStream_tbEUljE_ZNSN_ISO_Lb1ESQ_SR_ST_SU_SY_EESZ_S10_S11_S12_S16_S17_S18_S1B_S1C_jS1D_jS1E_S1E_jjS1G_bEUljE0_EEESZ_S10_S11_S18_S1C_S1E_T6_T7_T9_mT8_S1G_bDpT10_ENKUlT_T0_E_clISt17integral_constantIbLb0EES1T_IbLb1EEEEDaS1P_S1Q_EUlS1P_E_NS1_11comp_targetILNS1_3genE0ELNS1_11target_archE4294967295ELNS1_3gpuE0ELNS1_3repE0EEENS1_30default_config_static_selectorELNS0_4arch9wavefront6targetE1EEEvS12_.private_seg_size, 0
	.set _ZN7rocprim17ROCPRIM_400000_NS6detail17trampoline_kernelINS0_13select_configILj256ELj13ELNS0_17block_load_methodE3ELS4_3ELS4_3ELNS0_20block_scan_algorithmE0ELj4294967295EEENS1_25partition_config_selectorILNS1_17partition_subalgoE4EjNS0_10empty_typeEbEEZZNS1_14partition_implILS8_4ELb0ES6_15HIP_vector_typeIjLj2EENS0_17counting_iteratorIjlEEPS9_SG_NS0_5tupleIJPjSI_NS0_16reverse_iteratorISI_EEEEENSH_IJSG_SG_SG_EEES9_SI_JZNS1_25segmented_radix_sort_implINS0_14default_configELb1EPKiPiPKlPlN2at6native12_GLOBAL__N_18offset_tEEE10hipError_tPvRmT1_PNSt15iterator_traitsIS12_E10value_typeET2_T3_PNS13_IS18_E10value_typeET4_jRbjT5_S1E_jjP12ihipStream_tbEUljE_ZNSN_ISO_Lb1ESQ_SR_ST_SU_SY_EESZ_S10_S11_S12_S16_S17_S18_S1B_S1C_jS1D_jS1E_S1E_jjS1G_bEUljE0_EEESZ_S10_S11_S18_S1C_S1E_T6_T7_T9_mT8_S1G_bDpT10_ENKUlT_T0_E_clISt17integral_constantIbLb0EES1T_IbLb1EEEEDaS1P_S1Q_EUlS1P_E_NS1_11comp_targetILNS1_3genE0ELNS1_11target_archE4294967295ELNS1_3gpuE0ELNS1_3repE0EEENS1_30default_config_static_selectorELNS0_4arch9wavefront6targetE1EEEvS12_.uses_vcc, 0
	.set _ZN7rocprim17ROCPRIM_400000_NS6detail17trampoline_kernelINS0_13select_configILj256ELj13ELNS0_17block_load_methodE3ELS4_3ELS4_3ELNS0_20block_scan_algorithmE0ELj4294967295EEENS1_25partition_config_selectorILNS1_17partition_subalgoE4EjNS0_10empty_typeEbEEZZNS1_14partition_implILS8_4ELb0ES6_15HIP_vector_typeIjLj2EENS0_17counting_iteratorIjlEEPS9_SG_NS0_5tupleIJPjSI_NS0_16reverse_iteratorISI_EEEEENSH_IJSG_SG_SG_EEES9_SI_JZNS1_25segmented_radix_sort_implINS0_14default_configELb1EPKiPiPKlPlN2at6native12_GLOBAL__N_18offset_tEEE10hipError_tPvRmT1_PNSt15iterator_traitsIS12_E10value_typeET2_T3_PNS13_IS18_E10value_typeET4_jRbjT5_S1E_jjP12ihipStream_tbEUljE_ZNSN_ISO_Lb1ESQ_SR_ST_SU_SY_EESZ_S10_S11_S12_S16_S17_S18_S1B_S1C_jS1D_jS1E_S1E_jjS1G_bEUljE0_EEESZ_S10_S11_S18_S1C_S1E_T6_T7_T9_mT8_S1G_bDpT10_ENKUlT_T0_E_clISt17integral_constantIbLb0EES1T_IbLb1EEEEDaS1P_S1Q_EUlS1P_E_NS1_11comp_targetILNS1_3genE0ELNS1_11target_archE4294967295ELNS1_3gpuE0ELNS1_3repE0EEENS1_30default_config_static_selectorELNS0_4arch9wavefront6targetE1EEEvS12_.uses_flat_scratch, 0
	.set _ZN7rocprim17ROCPRIM_400000_NS6detail17trampoline_kernelINS0_13select_configILj256ELj13ELNS0_17block_load_methodE3ELS4_3ELS4_3ELNS0_20block_scan_algorithmE0ELj4294967295EEENS1_25partition_config_selectorILNS1_17partition_subalgoE4EjNS0_10empty_typeEbEEZZNS1_14partition_implILS8_4ELb0ES6_15HIP_vector_typeIjLj2EENS0_17counting_iteratorIjlEEPS9_SG_NS0_5tupleIJPjSI_NS0_16reverse_iteratorISI_EEEEENSH_IJSG_SG_SG_EEES9_SI_JZNS1_25segmented_radix_sort_implINS0_14default_configELb1EPKiPiPKlPlN2at6native12_GLOBAL__N_18offset_tEEE10hipError_tPvRmT1_PNSt15iterator_traitsIS12_E10value_typeET2_T3_PNS13_IS18_E10value_typeET4_jRbjT5_S1E_jjP12ihipStream_tbEUljE_ZNSN_ISO_Lb1ESQ_SR_ST_SU_SY_EESZ_S10_S11_S12_S16_S17_S18_S1B_S1C_jS1D_jS1E_S1E_jjS1G_bEUljE0_EEESZ_S10_S11_S18_S1C_S1E_T6_T7_T9_mT8_S1G_bDpT10_ENKUlT_T0_E_clISt17integral_constantIbLb0EES1T_IbLb1EEEEDaS1P_S1Q_EUlS1P_E_NS1_11comp_targetILNS1_3genE0ELNS1_11target_archE4294967295ELNS1_3gpuE0ELNS1_3repE0EEENS1_30default_config_static_selectorELNS0_4arch9wavefront6targetE1EEEvS12_.has_dyn_sized_stack, 0
	.set _ZN7rocprim17ROCPRIM_400000_NS6detail17trampoline_kernelINS0_13select_configILj256ELj13ELNS0_17block_load_methodE3ELS4_3ELS4_3ELNS0_20block_scan_algorithmE0ELj4294967295EEENS1_25partition_config_selectorILNS1_17partition_subalgoE4EjNS0_10empty_typeEbEEZZNS1_14partition_implILS8_4ELb0ES6_15HIP_vector_typeIjLj2EENS0_17counting_iteratorIjlEEPS9_SG_NS0_5tupleIJPjSI_NS0_16reverse_iteratorISI_EEEEENSH_IJSG_SG_SG_EEES9_SI_JZNS1_25segmented_radix_sort_implINS0_14default_configELb1EPKiPiPKlPlN2at6native12_GLOBAL__N_18offset_tEEE10hipError_tPvRmT1_PNSt15iterator_traitsIS12_E10value_typeET2_T3_PNS13_IS18_E10value_typeET4_jRbjT5_S1E_jjP12ihipStream_tbEUljE_ZNSN_ISO_Lb1ESQ_SR_ST_SU_SY_EESZ_S10_S11_S12_S16_S17_S18_S1B_S1C_jS1D_jS1E_S1E_jjS1G_bEUljE0_EEESZ_S10_S11_S18_S1C_S1E_T6_T7_T9_mT8_S1G_bDpT10_ENKUlT_T0_E_clISt17integral_constantIbLb0EES1T_IbLb1EEEEDaS1P_S1Q_EUlS1P_E_NS1_11comp_targetILNS1_3genE0ELNS1_11target_archE4294967295ELNS1_3gpuE0ELNS1_3repE0EEENS1_30default_config_static_selectorELNS0_4arch9wavefront6targetE1EEEvS12_.has_recursion, 0
	.set _ZN7rocprim17ROCPRIM_400000_NS6detail17trampoline_kernelINS0_13select_configILj256ELj13ELNS0_17block_load_methodE3ELS4_3ELS4_3ELNS0_20block_scan_algorithmE0ELj4294967295EEENS1_25partition_config_selectorILNS1_17partition_subalgoE4EjNS0_10empty_typeEbEEZZNS1_14partition_implILS8_4ELb0ES6_15HIP_vector_typeIjLj2EENS0_17counting_iteratorIjlEEPS9_SG_NS0_5tupleIJPjSI_NS0_16reverse_iteratorISI_EEEEENSH_IJSG_SG_SG_EEES9_SI_JZNS1_25segmented_radix_sort_implINS0_14default_configELb1EPKiPiPKlPlN2at6native12_GLOBAL__N_18offset_tEEE10hipError_tPvRmT1_PNSt15iterator_traitsIS12_E10value_typeET2_T3_PNS13_IS18_E10value_typeET4_jRbjT5_S1E_jjP12ihipStream_tbEUljE_ZNSN_ISO_Lb1ESQ_SR_ST_SU_SY_EESZ_S10_S11_S12_S16_S17_S18_S1B_S1C_jS1D_jS1E_S1E_jjS1G_bEUljE0_EEESZ_S10_S11_S18_S1C_S1E_T6_T7_T9_mT8_S1G_bDpT10_ENKUlT_T0_E_clISt17integral_constantIbLb0EES1T_IbLb1EEEEDaS1P_S1Q_EUlS1P_E_NS1_11comp_targetILNS1_3genE0ELNS1_11target_archE4294967295ELNS1_3gpuE0ELNS1_3repE0EEENS1_30default_config_static_selectorELNS0_4arch9wavefront6targetE1EEEvS12_.has_indirect_call, 0
	.section	.AMDGPU.csdata,"",@progbits
; Kernel info:
; codeLenInByte = 0
; TotalNumSgprs: 4
; NumVgprs: 0
; ScratchSize: 0
; MemoryBound: 0
; FloatMode: 240
; IeeeMode: 1
; LDSByteSize: 0 bytes/workgroup (compile time only)
; SGPRBlocks: 0
; VGPRBlocks: 0
; NumSGPRsForWavesPerEU: 4
; NumVGPRsForWavesPerEU: 1
; Occupancy: 10
; WaveLimiterHint : 0
; COMPUTE_PGM_RSRC2:SCRATCH_EN: 0
; COMPUTE_PGM_RSRC2:USER_SGPR: 6
; COMPUTE_PGM_RSRC2:TRAP_HANDLER: 0
; COMPUTE_PGM_RSRC2:TGID_X_EN: 1
; COMPUTE_PGM_RSRC2:TGID_Y_EN: 0
; COMPUTE_PGM_RSRC2:TGID_Z_EN: 0
; COMPUTE_PGM_RSRC2:TIDIG_COMP_CNT: 0
	.section	.text._ZN7rocprim17ROCPRIM_400000_NS6detail17trampoline_kernelINS0_13select_configILj256ELj13ELNS0_17block_load_methodE3ELS4_3ELS4_3ELNS0_20block_scan_algorithmE0ELj4294967295EEENS1_25partition_config_selectorILNS1_17partition_subalgoE4EjNS0_10empty_typeEbEEZZNS1_14partition_implILS8_4ELb0ES6_15HIP_vector_typeIjLj2EENS0_17counting_iteratorIjlEEPS9_SG_NS0_5tupleIJPjSI_NS0_16reverse_iteratorISI_EEEEENSH_IJSG_SG_SG_EEES9_SI_JZNS1_25segmented_radix_sort_implINS0_14default_configELb1EPKiPiPKlPlN2at6native12_GLOBAL__N_18offset_tEEE10hipError_tPvRmT1_PNSt15iterator_traitsIS12_E10value_typeET2_T3_PNS13_IS18_E10value_typeET4_jRbjT5_S1E_jjP12ihipStream_tbEUljE_ZNSN_ISO_Lb1ESQ_SR_ST_SU_SY_EESZ_S10_S11_S12_S16_S17_S18_S1B_S1C_jS1D_jS1E_S1E_jjS1G_bEUljE0_EEESZ_S10_S11_S18_S1C_S1E_T6_T7_T9_mT8_S1G_bDpT10_ENKUlT_T0_E_clISt17integral_constantIbLb0EES1T_IbLb1EEEEDaS1P_S1Q_EUlS1P_E_NS1_11comp_targetILNS1_3genE5ELNS1_11target_archE942ELNS1_3gpuE9ELNS1_3repE0EEENS1_30default_config_static_selectorELNS0_4arch9wavefront6targetE1EEEvS12_,"axG",@progbits,_ZN7rocprim17ROCPRIM_400000_NS6detail17trampoline_kernelINS0_13select_configILj256ELj13ELNS0_17block_load_methodE3ELS4_3ELS4_3ELNS0_20block_scan_algorithmE0ELj4294967295EEENS1_25partition_config_selectorILNS1_17partition_subalgoE4EjNS0_10empty_typeEbEEZZNS1_14partition_implILS8_4ELb0ES6_15HIP_vector_typeIjLj2EENS0_17counting_iteratorIjlEEPS9_SG_NS0_5tupleIJPjSI_NS0_16reverse_iteratorISI_EEEEENSH_IJSG_SG_SG_EEES9_SI_JZNS1_25segmented_radix_sort_implINS0_14default_configELb1EPKiPiPKlPlN2at6native12_GLOBAL__N_18offset_tEEE10hipError_tPvRmT1_PNSt15iterator_traitsIS12_E10value_typeET2_T3_PNS13_IS18_E10value_typeET4_jRbjT5_S1E_jjP12ihipStream_tbEUljE_ZNSN_ISO_Lb1ESQ_SR_ST_SU_SY_EESZ_S10_S11_S12_S16_S17_S18_S1B_S1C_jS1D_jS1E_S1E_jjS1G_bEUljE0_EEESZ_S10_S11_S18_S1C_S1E_T6_T7_T9_mT8_S1G_bDpT10_ENKUlT_T0_E_clISt17integral_constantIbLb0EES1T_IbLb1EEEEDaS1P_S1Q_EUlS1P_E_NS1_11comp_targetILNS1_3genE5ELNS1_11target_archE942ELNS1_3gpuE9ELNS1_3repE0EEENS1_30default_config_static_selectorELNS0_4arch9wavefront6targetE1EEEvS12_,comdat
	.globl	_ZN7rocprim17ROCPRIM_400000_NS6detail17trampoline_kernelINS0_13select_configILj256ELj13ELNS0_17block_load_methodE3ELS4_3ELS4_3ELNS0_20block_scan_algorithmE0ELj4294967295EEENS1_25partition_config_selectorILNS1_17partition_subalgoE4EjNS0_10empty_typeEbEEZZNS1_14partition_implILS8_4ELb0ES6_15HIP_vector_typeIjLj2EENS0_17counting_iteratorIjlEEPS9_SG_NS0_5tupleIJPjSI_NS0_16reverse_iteratorISI_EEEEENSH_IJSG_SG_SG_EEES9_SI_JZNS1_25segmented_radix_sort_implINS0_14default_configELb1EPKiPiPKlPlN2at6native12_GLOBAL__N_18offset_tEEE10hipError_tPvRmT1_PNSt15iterator_traitsIS12_E10value_typeET2_T3_PNS13_IS18_E10value_typeET4_jRbjT5_S1E_jjP12ihipStream_tbEUljE_ZNSN_ISO_Lb1ESQ_SR_ST_SU_SY_EESZ_S10_S11_S12_S16_S17_S18_S1B_S1C_jS1D_jS1E_S1E_jjS1G_bEUljE0_EEESZ_S10_S11_S18_S1C_S1E_T6_T7_T9_mT8_S1G_bDpT10_ENKUlT_T0_E_clISt17integral_constantIbLb0EES1T_IbLb1EEEEDaS1P_S1Q_EUlS1P_E_NS1_11comp_targetILNS1_3genE5ELNS1_11target_archE942ELNS1_3gpuE9ELNS1_3repE0EEENS1_30default_config_static_selectorELNS0_4arch9wavefront6targetE1EEEvS12_ ; -- Begin function _ZN7rocprim17ROCPRIM_400000_NS6detail17trampoline_kernelINS0_13select_configILj256ELj13ELNS0_17block_load_methodE3ELS4_3ELS4_3ELNS0_20block_scan_algorithmE0ELj4294967295EEENS1_25partition_config_selectorILNS1_17partition_subalgoE4EjNS0_10empty_typeEbEEZZNS1_14partition_implILS8_4ELb0ES6_15HIP_vector_typeIjLj2EENS0_17counting_iteratorIjlEEPS9_SG_NS0_5tupleIJPjSI_NS0_16reverse_iteratorISI_EEEEENSH_IJSG_SG_SG_EEES9_SI_JZNS1_25segmented_radix_sort_implINS0_14default_configELb1EPKiPiPKlPlN2at6native12_GLOBAL__N_18offset_tEEE10hipError_tPvRmT1_PNSt15iterator_traitsIS12_E10value_typeET2_T3_PNS13_IS18_E10value_typeET4_jRbjT5_S1E_jjP12ihipStream_tbEUljE_ZNSN_ISO_Lb1ESQ_SR_ST_SU_SY_EESZ_S10_S11_S12_S16_S17_S18_S1B_S1C_jS1D_jS1E_S1E_jjS1G_bEUljE0_EEESZ_S10_S11_S18_S1C_S1E_T6_T7_T9_mT8_S1G_bDpT10_ENKUlT_T0_E_clISt17integral_constantIbLb0EES1T_IbLb1EEEEDaS1P_S1Q_EUlS1P_E_NS1_11comp_targetILNS1_3genE5ELNS1_11target_archE942ELNS1_3gpuE9ELNS1_3repE0EEENS1_30default_config_static_selectorELNS0_4arch9wavefront6targetE1EEEvS12_
	.p2align	8
	.type	_ZN7rocprim17ROCPRIM_400000_NS6detail17trampoline_kernelINS0_13select_configILj256ELj13ELNS0_17block_load_methodE3ELS4_3ELS4_3ELNS0_20block_scan_algorithmE0ELj4294967295EEENS1_25partition_config_selectorILNS1_17partition_subalgoE4EjNS0_10empty_typeEbEEZZNS1_14partition_implILS8_4ELb0ES6_15HIP_vector_typeIjLj2EENS0_17counting_iteratorIjlEEPS9_SG_NS0_5tupleIJPjSI_NS0_16reverse_iteratorISI_EEEEENSH_IJSG_SG_SG_EEES9_SI_JZNS1_25segmented_radix_sort_implINS0_14default_configELb1EPKiPiPKlPlN2at6native12_GLOBAL__N_18offset_tEEE10hipError_tPvRmT1_PNSt15iterator_traitsIS12_E10value_typeET2_T3_PNS13_IS18_E10value_typeET4_jRbjT5_S1E_jjP12ihipStream_tbEUljE_ZNSN_ISO_Lb1ESQ_SR_ST_SU_SY_EESZ_S10_S11_S12_S16_S17_S18_S1B_S1C_jS1D_jS1E_S1E_jjS1G_bEUljE0_EEESZ_S10_S11_S18_S1C_S1E_T6_T7_T9_mT8_S1G_bDpT10_ENKUlT_T0_E_clISt17integral_constantIbLb0EES1T_IbLb1EEEEDaS1P_S1Q_EUlS1P_E_NS1_11comp_targetILNS1_3genE5ELNS1_11target_archE942ELNS1_3gpuE9ELNS1_3repE0EEENS1_30default_config_static_selectorELNS0_4arch9wavefront6targetE1EEEvS12_,@function
_ZN7rocprim17ROCPRIM_400000_NS6detail17trampoline_kernelINS0_13select_configILj256ELj13ELNS0_17block_load_methodE3ELS4_3ELS4_3ELNS0_20block_scan_algorithmE0ELj4294967295EEENS1_25partition_config_selectorILNS1_17partition_subalgoE4EjNS0_10empty_typeEbEEZZNS1_14partition_implILS8_4ELb0ES6_15HIP_vector_typeIjLj2EENS0_17counting_iteratorIjlEEPS9_SG_NS0_5tupleIJPjSI_NS0_16reverse_iteratorISI_EEEEENSH_IJSG_SG_SG_EEES9_SI_JZNS1_25segmented_radix_sort_implINS0_14default_configELb1EPKiPiPKlPlN2at6native12_GLOBAL__N_18offset_tEEE10hipError_tPvRmT1_PNSt15iterator_traitsIS12_E10value_typeET2_T3_PNS13_IS18_E10value_typeET4_jRbjT5_S1E_jjP12ihipStream_tbEUljE_ZNSN_ISO_Lb1ESQ_SR_ST_SU_SY_EESZ_S10_S11_S12_S16_S17_S18_S1B_S1C_jS1D_jS1E_S1E_jjS1G_bEUljE0_EEESZ_S10_S11_S18_S1C_S1E_T6_T7_T9_mT8_S1G_bDpT10_ENKUlT_T0_E_clISt17integral_constantIbLb0EES1T_IbLb1EEEEDaS1P_S1Q_EUlS1P_E_NS1_11comp_targetILNS1_3genE5ELNS1_11target_archE942ELNS1_3gpuE9ELNS1_3repE0EEENS1_30default_config_static_selectorELNS0_4arch9wavefront6targetE1EEEvS12_: ; @_ZN7rocprim17ROCPRIM_400000_NS6detail17trampoline_kernelINS0_13select_configILj256ELj13ELNS0_17block_load_methodE3ELS4_3ELS4_3ELNS0_20block_scan_algorithmE0ELj4294967295EEENS1_25partition_config_selectorILNS1_17partition_subalgoE4EjNS0_10empty_typeEbEEZZNS1_14partition_implILS8_4ELb0ES6_15HIP_vector_typeIjLj2EENS0_17counting_iteratorIjlEEPS9_SG_NS0_5tupleIJPjSI_NS0_16reverse_iteratorISI_EEEEENSH_IJSG_SG_SG_EEES9_SI_JZNS1_25segmented_radix_sort_implINS0_14default_configELb1EPKiPiPKlPlN2at6native12_GLOBAL__N_18offset_tEEE10hipError_tPvRmT1_PNSt15iterator_traitsIS12_E10value_typeET2_T3_PNS13_IS18_E10value_typeET4_jRbjT5_S1E_jjP12ihipStream_tbEUljE_ZNSN_ISO_Lb1ESQ_SR_ST_SU_SY_EESZ_S10_S11_S12_S16_S17_S18_S1B_S1C_jS1D_jS1E_S1E_jjS1G_bEUljE0_EEESZ_S10_S11_S18_S1C_S1E_T6_T7_T9_mT8_S1G_bDpT10_ENKUlT_T0_E_clISt17integral_constantIbLb0EES1T_IbLb1EEEEDaS1P_S1Q_EUlS1P_E_NS1_11comp_targetILNS1_3genE5ELNS1_11target_archE942ELNS1_3gpuE9ELNS1_3repE0EEENS1_30default_config_static_selectorELNS0_4arch9wavefront6targetE1EEEvS12_
; %bb.0:
	.section	.rodata,"a",@progbits
	.p2align	6, 0x0
	.amdhsa_kernel _ZN7rocprim17ROCPRIM_400000_NS6detail17trampoline_kernelINS0_13select_configILj256ELj13ELNS0_17block_load_methodE3ELS4_3ELS4_3ELNS0_20block_scan_algorithmE0ELj4294967295EEENS1_25partition_config_selectorILNS1_17partition_subalgoE4EjNS0_10empty_typeEbEEZZNS1_14partition_implILS8_4ELb0ES6_15HIP_vector_typeIjLj2EENS0_17counting_iteratorIjlEEPS9_SG_NS0_5tupleIJPjSI_NS0_16reverse_iteratorISI_EEEEENSH_IJSG_SG_SG_EEES9_SI_JZNS1_25segmented_radix_sort_implINS0_14default_configELb1EPKiPiPKlPlN2at6native12_GLOBAL__N_18offset_tEEE10hipError_tPvRmT1_PNSt15iterator_traitsIS12_E10value_typeET2_T3_PNS13_IS18_E10value_typeET4_jRbjT5_S1E_jjP12ihipStream_tbEUljE_ZNSN_ISO_Lb1ESQ_SR_ST_SU_SY_EESZ_S10_S11_S12_S16_S17_S18_S1B_S1C_jS1D_jS1E_S1E_jjS1G_bEUljE0_EEESZ_S10_S11_S18_S1C_S1E_T6_T7_T9_mT8_S1G_bDpT10_ENKUlT_T0_E_clISt17integral_constantIbLb0EES1T_IbLb1EEEEDaS1P_S1Q_EUlS1P_E_NS1_11comp_targetILNS1_3genE5ELNS1_11target_archE942ELNS1_3gpuE9ELNS1_3repE0EEENS1_30default_config_static_selectorELNS0_4arch9wavefront6targetE1EEEvS12_
		.amdhsa_group_segment_fixed_size 0
		.amdhsa_private_segment_fixed_size 0
		.amdhsa_kernarg_size 184
		.amdhsa_user_sgpr_count 6
		.amdhsa_user_sgpr_private_segment_buffer 1
		.amdhsa_user_sgpr_dispatch_ptr 0
		.amdhsa_user_sgpr_queue_ptr 0
		.amdhsa_user_sgpr_kernarg_segment_ptr 1
		.amdhsa_user_sgpr_dispatch_id 0
		.amdhsa_user_sgpr_flat_scratch_init 0
		.amdhsa_user_sgpr_private_segment_size 0
		.amdhsa_uses_dynamic_stack 0
		.amdhsa_system_sgpr_private_segment_wavefront_offset 0
		.amdhsa_system_sgpr_workgroup_id_x 1
		.amdhsa_system_sgpr_workgroup_id_y 0
		.amdhsa_system_sgpr_workgroup_id_z 0
		.amdhsa_system_sgpr_workgroup_info 0
		.amdhsa_system_vgpr_workitem_id 0
		.amdhsa_next_free_vgpr 1
		.amdhsa_next_free_sgpr 0
		.amdhsa_reserve_vcc 0
		.amdhsa_reserve_flat_scratch 0
		.amdhsa_float_round_mode_32 0
		.amdhsa_float_round_mode_16_64 0
		.amdhsa_float_denorm_mode_32 3
		.amdhsa_float_denorm_mode_16_64 3
		.amdhsa_dx10_clamp 1
		.amdhsa_ieee_mode 1
		.amdhsa_fp16_overflow 0
		.amdhsa_exception_fp_ieee_invalid_op 0
		.amdhsa_exception_fp_denorm_src 0
		.amdhsa_exception_fp_ieee_div_zero 0
		.amdhsa_exception_fp_ieee_overflow 0
		.amdhsa_exception_fp_ieee_underflow 0
		.amdhsa_exception_fp_ieee_inexact 0
		.amdhsa_exception_int_div_zero 0
	.end_amdhsa_kernel
	.section	.text._ZN7rocprim17ROCPRIM_400000_NS6detail17trampoline_kernelINS0_13select_configILj256ELj13ELNS0_17block_load_methodE3ELS4_3ELS4_3ELNS0_20block_scan_algorithmE0ELj4294967295EEENS1_25partition_config_selectorILNS1_17partition_subalgoE4EjNS0_10empty_typeEbEEZZNS1_14partition_implILS8_4ELb0ES6_15HIP_vector_typeIjLj2EENS0_17counting_iteratorIjlEEPS9_SG_NS0_5tupleIJPjSI_NS0_16reverse_iteratorISI_EEEEENSH_IJSG_SG_SG_EEES9_SI_JZNS1_25segmented_radix_sort_implINS0_14default_configELb1EPKiPiPKlPlN2at6native12_GLOBAL__N_18offset_tEEE10hipError_tPvRmT1_PNSt15iterator_traitsIS12_E10value_typeET2_T3_PNS13_IS18_E10value_typeET4_jRbjT5_S1E_jjP12ihipStream_tbEUljE_ZNSN_ISO_Lb1ESQ_SR_ST_SU_SY_EESZ_S10_S11_S12_S16_S17_S18_S1B_S1C_jS1D_jS1E_S1E_jjS1G_bEUljE0_EEESZ_S10_S11_S18_S1C_S1E_T6_T7_T9_mT8_S1G_bDpT10_ENKUlT_T0_E_clISt17integral_constantIbLb0EES1T_IbLb1EEEEDaS1P_S1Q_EUlS1P_E_NS1_11comp_targetILNS1_3genE5ELNS1_11target_archE942ELNS1_3gpuE9ELNS1_3repE0EEENS1_30default_config_static_selectorELNS0_4arch9wavefront6targetE1EEEvS12_,"axG",@progbits,_ZN7rocprim17ROCPRIM_400000_NS6detail17trampoline_kernelINS0_13select_configILj256ELj13ELNS0_17block_load_methodE3ELS4_3ELS4_3ELNS0_20block_scan_algorithmE0ELj4294967295EEENS1_25partition_config_selectorILNS1_17partition_subalgoE4EjNS0_10empty_typeEbEEZZNS1_14partition_implILS8_4ELb0ES6_15HIP_vector_typeIjLj2EENS0_17counting_iteratorIjlEEPS9_SG_NS0_5tupleIJPjSI_NS0_16reverse_iteratorISI_EEEEENSH_IJSG_SG_SG_EEES9_SI_JZNS1_25segmented_radix_sort_implINS0_14default_configELb1EPKiPiPKlPlN2at6native12_GLOBAL__N_18offset_tEEE10hipError_tPvRmT1_PNSt15iterator_traitsIS12_E10value_typeET2_T3_PNS13_IS18_E10value_typeET4_jRbjT5_S1E_jjP12ihipStream_tbEUljE_ZNSN_ISO_Lb1ESQ_SR_ST_SU_SY_EESZ_S10_S11_S12_S16_S17_S18_S1B_S1C_jS1D_jS1E_S1E_jjS1G_bEUljE0_EEESZ_S10_S11_S18_S1C_S1E_T6_T7_T9_mT8_S1G_bDpT10_ENKUlT_T0_E_clISt17integral_constantIbLb0EES1T_IbLb1EEEEDaS1P_S1Q_EUlS1P_E_NS1_11comp_targetILNS1_3genE5ELNS1_11target_archE942ELNS1_3gpuE9ELNS1_3repE0EEENS1_30default_config_static_selectorELNS0_4arch9wavefront6targetE1EEEvS12_,comdat
.Lfunc_end458:
	.size	_ZN7rocprim17ROCPRIM_400000_NS6detail17trampoline_kernelINS0_13select_configILj256ELj13ELNS0_17block_load_methodE3ELS4_3ELS4_3ELNS0_20block_scan_algorithmE0ELj4294967295EEENS1_25partition_config_selectorILNS1_17partition_subalgoE4EjNS0_10empty_typeEbEEZZNS1_14partition_implILS8_4ELb0ES6_15HIP_vector_typeIjLj2EENS0_17counting_iteratorIjlEEPS9_SG_NS0_5tupleIJPjSI_NS0_16reverse_iteratorISI_EEEEENSH_IJSG_SG_SG_EEES9_SI_JZNS1_25segmented_radix_sort_implINS0_14default_configELb1EPKiPiPKlPlN2at6native12_GLOBAL__N_18offset_tEEE10hipError_tPvRmT1_PNSt15iterator_traitsIS12_E10value_typeET2_T3_PNS13_IS18_E10value_typeET4_jRbjT5_S1E_jjP12ihipStream_tbEUljE_ZNSN_ISO_Lb1ESQ_SR_ST_SU_SY_EESZ_S10_S11_S12_S16_S17_S18_S1B_S1C_jS1D_jS1E_S1E_jjS1G_bEUljE0_EEESZ_S10_S11_S18_S1C_S1E_T6_T7_T9_mT8_S1G_bDpT10_ENKUlT_T0_E_clISt17integral_constantIbLb0EES1T_IbLb1EEEEDaS1P_S1Q_EUlS1P_E_NS1_11comp_targetILNS1_3genE5ELNS1_11target_archE942ELNS1_3gpuE9ELNS1_3repE0EEENS1_30default_config_static_selectorELNS0_4arch9wavefront6targetE1EEEvS12_, .Lfunc_end458-_ZN7rocprim17ROCPRIM_400000_NS6detail17trampoline_kernelINS0_13select_configILj256ELj13ELNS0_17block_load_methodE3ELS4_3ELS4_3ELNS0_20block_scan_algorithmE0ELj4294967295EEENS1_25partition_config_selectorILNS1_17partition_subalgoE4EjNS0_10empty_typeEbEEZZNS1_14partition_implILS8_4ELb0ES6_15HIP_vector_typeIjLj2EENS0_17counting_iteratorIjlEEPS9_SG_NS0_5tupleIJPjSI_NS0_16reverse_iteratorISI_EEEEENSH_IJSG_SG_SG_EEES9_SI_JZNS1_25segmented_radix_sort_implINS0_14default_configELb1EPKiPiPKlPlN2at6native12_GLOBAL__N_18offset_tEEE10hipError_tPvRmT1_PNSt15iterator_traitsIS12_E10value_typeET2_T3_PNS13_IS18_E10value_typeET4_jRbjT5_S1E_jjP12ihipStream_tbEUljE_ZNSN_ISO_Lb1ESQ_SR_ST_SU_SY_EESZ_S10_S11_S12_S16_S17_S18_S1B_S1C_jS1D_jS1E_S1E_jjS1G_bEUljE0_EEESZ_S10_S11_S18_S1C_S1E_T6_T7_T9_mT8_S1G_bDpT10_ENKUlT_T0_E_clISt17integral_constantIbLb0EES1T_IbLb1EEEEDaS1P_S1Q_EUlS1P_E_NS1_11comp_targetILNS1_3genE5ELNS1_11target_archE942ELNS1_3gpuE9ELNS1_3repE0EEENS1_30default_config_static_selectorELNS0_4arch9wavefront6targetE1EEEvS12_
                                        ; -- End function
	.set _ZN7rocprim17ROCPRIM_400000_NS6detail17trampoline_kernelINS0_13select_configILj256ELj13ELNS0_17block_load_methodE3ELS4_3ELS4_3ELNS0_20block_scan_algorithmE0ELj4294967295EEENS1_25partition_config_selectorILNS1_17partition_subalgoE4EjNS0_10empty_typeEbEEZZNS1_14partition_implILS8_4ELb0ES6_15HIP_vector_typeIjLj2EENS0_17counting_iteratorIjlEEPS9_SG_NS0_5tupleIJPjSI_NS0_16reverse_iteratorISI_EEEEENSH_IJSG_SG_SG_EEES9_SI_JZNS1_25segmented_radix_sort_implINS0_14default_configELb1EPKiPiPKlPlN2at6native12_GLOBAL__N_18offset_tEEE10hipError_tPvRmT1_PNSt15iterator_traitsIS12_E10value_typeET2_T3_PNS13_IS18_E10value_typeET4_jRbjT5_S1E_jjP12ihipStream_tbEUljE_ZNSN_ISO_Lb1ESQ_SR_ST_SU_SY_EESZ_S10_S11_S12_S16_S17_S18_S1B_S1C_jS1D_jS1E_S1E_jjS1G_bEUljE0_EEESZ_S10_S11_S18_S1C_S1E_T6_T7_T9_mT8_S1G_bDpT10_ENKUlT_T0_E_clISt17integral_constantIbLb0EES1T_IbLb1EEEEDaS1P_S1Q_EUlS1P_E_NS1_11comp_targetILNS1_3genE5ELNS1_11target_archE942ELNS1_3gpuE9ELNS1_3repE0EEENS1_30default_config_static_selectorELNS0_4arch9wavefront6targetE1EEEvS12_.num_vgpr, 0
	.set _ZN7rocprim17ROCPRIM_400000_NS6detail17trampoline_kernelINS0_13select_configILj256ELj13ELNS0_17block_load_methodE3ELS4_3ELS4_3ELNS0_20block_scan_algorithmE0ELj4294967295EEENS1_25partition_config_selectorILNS1_17partition_subalgoE4EjNS0_10empty_typeEbEEZZNS1_14partition_implILS8_4ELb0ES6_15HIP_vector_typeIjLj2EENS0_17counting_iteratorIjlEEPS9_SG_NS0_5tupleIJPjSI_NS0_16reverse_iteratorISI_EEEEENSH_IJSG_SG_SG_EEES9_SI_JZNS1_25segmented_radix_sort_implINS0_14default_configELb1EPKiPiPKlPlN2at6native12_GLOBAL__N_18offset_tEEE10hipError_tPvRmT1_PNSt15iterator_traitsIS12_E10value_typeET2_T3_PNS13_IS18_E10value_typeET4_jRbjT5_S1E_jjP12ihipStream_tbEUljE_ZNSN_ISO_Lb1ESQ_SR_ST_SU_SY_EESZ_S10_S11_S12_S16_S17_S18_S1B_S1C_jS1D_jS1E_S1E_jjS1G_bEUljE0_EEESZ_S10_S11_S18_S1C_S1E_T6_T7_T9_mT8_S1G_bDpT10_ENKUlT_T0_E_clISt17integral_constantIbLb0EES1T_IbLb1EEEEDaS1P_S1Q_EUlS1P_E_NS1_11comp_targetILNS1_3genE5ELNS1_11target_archE942ELNS1_3gpuE9ELNS1_3repE0EEENS1_30default_config_static_selectorELNS0_4arch9wavefront6targetE1EEEvS12_.num_agpr, 0
	.set _ZN7rocprim17ROCPRIM_400000_NS6detail17trampoline_kernelINS0_13select_configILj256ELj13ELNS0_17block_load_methodE3ELS4_3ELS4_3ELNS0_20block_scan_algorithmE0ELj4294967295EEENS1_25partition_config_selectorILNS1_17partition_subalgoE4EjNS0_10empty_typeEbEEZZNS1_14partition_implILS8_4ELb0ES6_15HIP_vector_typeIjLj2EENS0_17counting_iteratorIjlEEPS9_SG_NS0_5tupleIJPjSI_NS0_16reverse_iteratorISI_EEEEENSH_IJSG_SG_SG_EEES9_SI_JZNS1_25segmented_radix_sort_implINS0_14default_configELb1EPKiPiPKlPlN2at6native12_GLOBAL__N_18offset_tEEE10hipError_tPvRmT1_PNSt15iterator_traitsIS12_E10value_typeET2_T3_PNS13_IS18_E10value_typeET4_jRbjT5_S1E_jjP12ihipStream_tbEUljE_ZNSN_ISO_Lb1ESQ_SR_ST_SU_SY_EESZ_S10_S11_S12_S16_S17_S18_S1B_S1C_jS1D_jS1E_S1E_jjS1G_bEUljE0_EEESZ_S10_S11_S18_S1C_S1E_T6_T7_T9_mT8_S1G_bDpT10_ENKUlT_T0_E_clISt17integral_constantIbLb0EES1T_IbLb1EEEEDaS1P_S1Q_EUlS1P_E_NS1_11comp_targetILNS1_3genE5ELNS1_11target_archE942ELNS1_3gpuE9ELNS1_3repE0EEENS1_30default_config_static_selectorELNS0_4arch9wavefront6targetE1EEEvS12_.numbered_sgpr, 0
	.set _ZN7rocprim17ROCPRIM_400000_NS6detail17trampoline_kernelINS0_13select_configILj256ELj13ELNS0_17block_load_methodE3ELS4_3ELS4_3ELNS0_20block_scan_algorithmE0ELj4294967295EEENS1_25partition_config_selectorILNS1_17partition_subalgoE4EjNS0_10empty_typeEbEEZZNS1_14partition_implILS8_4ELb0ES6_15HIP_vector_typeIjLj2EENS0_17counting_iteratorIjlEEPS9_SG_NS0_5tupleIJPjSI_NS0_16reverse_iteratorISI_EEEEENSH_IJSG_SG_SG_EEES9_SI_JZNS1_25segmented_radix_sort_implINS0_14default_configELb1EPKiPiPKlPlN2at6native12_GLOBAL__N_18offset_tEEE10hipError_tPvRmT1_PNSt15iterator_traitsIS12_E10value_typeET2_T3_PNS13_IS18_E10value_typeET4_jRbjT5_S1E_jjP12ihipStream_tbEUljE_ZNSN_ISO_Lb1ESQ_SR_ST_SU_SY_EESZ_S10_S11_S12_S16_S17_S18_S1B_S1C_jS1D_jS1E_S1E_jjS1G_bEUljE0_EEESZ_S10_S11_S18_S1C_S1E_T6_T7_T9_mT8_S1G_bDpT10_ENKUlT_T0_E_clISt17integral_constantIbLb0EES1T_IbLb1EEEEDaS1P_S1Q_EUlS1P_E_NS1_11comp_targetILNS1_3genE5ELNS1_11target_archE942ELNS1_3gpuE9ELNS1_3repE0EEENS1_30default_config_static_selectorELNS0_4arch9wavefront6targetE1EEEvS12_.num_named_barrier, 0
	.set _ZN7rocprim17ROCPRIM_400000_NS6detail17trampoline_kernelINS0_13select_configILj256ELj13ELNS0_17block_load_methodE3ELS4_3ELS4_3ELNS0_20block_scan_algorithmE0ELj4294967295EEENS1_25partition_config_selectorILNS1_17partition_subalgoE4EjNS0_10empty_typeEbEEZZNS1_14partition_implILS8_4ELb0ES6_15HIP_vector_typeIjLj2EENS0_17counting_iteratorIjlEEPS9_SG_NS0_5tupleIJPjSI_NS0_16reverse_iteratorISI_EEEEENSH_IJSG_SG_SG_EEES9_SI_JZNS1_25segmented_radix_sort_implINS0_14default_configELb1EPKiPiPKlPlN2at6native12_GLOBAL__N_18offset_tEEE10hipError_tPvRmT1_PNSt15iterator_traitsIS12_E10value_typeET2_T3_PNS13_IS18_E10value_typeET4_jRbjT5_S1E_jjP12ihipStream_tbEUljE_ZNSN_ISO_Lb1ESQ_SR_ST_SU_SY_EESZ_S10_S11_S12_S16_S17_S18_S1B_S1C_jS1D_jS1E_S1E_jjS1G_bEUljE0_EEESZ_S10_S11_S18_S1C_S1E_T6_T7_T9_mT8_S1G_bDpT10_ENKUlT_T0_E_clISt17integral_constantIbLb0EES1T_IbLb1EEEEDaS1P_S1Q_EUlS1P_E_NS1_11comp_targetILNS1_3genE5ELNS1_11target_archE942ELNS1_3gpuE9ELNS1_3repE0EEENS1_30default_config_static_selectorELNS0_4arch9wavefront6targetE1EEEvS12_.private_seg_size, 0
	.set _ZN7rocprim17ROCPRIM_400000_NS6detail17trampoline_kernelINS0_13select_configILj256ELj13ELNS0_17block_load_methodE3ELS4_3ELS4_3ELNS0_20block_scan_algorithmE0ELj4294967295EEENS1_25partition_config_selectorILNS1_17partition_subalgoE4EjNS0_10empty_typeEbEEZZNS1_14partition_implILS8_4ELb0ES6_15HIP_vector_typeIjLj2EENS0_17counting_iteratorIjlEEPS9_SG_NS0_5tupleIJPjSI_NS0_16reverse_iteratorISI_EEEEENSH_IJSG_SG_SG_EEES9_SI_JZNS1_25segmented_radix_sort_implINS0_14default_configELb1EPKiPiPKlPlN2at6native12_GLOBAL__N_18offset_tEEE10hipError_tPvRmT1_PNSt15iterator_traitsIS12_E10value_typeET2_T3_PNS13_IS18_E10value_typeET4_jRbjT5_S1E_jjP12ihipStream_tbEUljE_ZNSN_ISO_Lb1ESQ_SR_ST_SU_SY_EESZ_S10_S11_S12_S16_S17_S18_S1B_S1C_jS1D_jS1E_S1E_jjS1G_bEUljE0_EEESZ_S10_S11_S18_S1C_S1E_T6_T7_T9_mT8_S1G_bDpT10_ENKUlT_T0_E_clISt17integral_constantIbLb0EES1T_IbLb1EEEEDaS1P_S1Q_EUlS1P_E_NS1_11comp_targetILNS1_3genE5ELNS1_11target_archE942ELNS1_3gpuE9ELNS1_3repE0EEENS1_30default_config_static_selectorELNS0_4arch9wavefront6targetE1EEEvS12_.uses_vcc, 0
	.set _ZN7rocprim17ROCPRIM_400000_NS6detail17trampoline_kernelINS0_13select_configILj256ELj13ELNS0_17block_load_methodE3ELS4_3ELS4_3ELNS0_20block_scan_algorithmE0ELj4294967295EEENS1_25partition_config_selectorILNS1_17partition_subalgoE4EjNS0_10empty_typeEbEEZZNS1_14partition_implILS8_4ELb0ES6_15HIP_vector_typeIjLj2EENS0_17counting_iteratorIjlEEPS9_SG_NS0_5tupleIJPjSI_NS0_16reverse_iteratorISI_EEEEENSH_IJSG_SG_SG_EEES9_SI_JZNS1_25segmented_radix_sort_implINS0_14default_configELb1EPKiPiPKlPlN2at6native12_GLOBAL__N_18offset_tEEE10hipError_tPvRmT1_PNSt15iterator_traitsIS12_E10value_typeET2_T3_PNS13_IS18_E10value_typeET4_jRbjT5_S1E_jjP12ihipStream_tbEUljE_ZNSN_ISO_Lb1ESQ_SR_ST_SU_SY_EESZ_S10_S11_S12_S16_S17_S18_S1B_S1C_jS1D_jS1E_S1E_jjS1G_bEUljE0_EEESZ_S10_S11_S18_S1C_S1E_T6_T7_T9_mT8_S1G_bDpT10_ENKUlT_T0_E_clISt17integral_constantIbLb0EES1T_IbLb1EEEEDaS1P_S1Q_EUlS1P_E_NS1_11comp_targetILNS1_3genE5ELNS1_11target_archE942ELNS1_3gpuE9ELNS1_3repE0EEENS1_30default_config_static_selectorELNS0_4arch9wavefront6targetE1EEEvS12_.uses_flat_scratch, 0
	.set _ZN7rocprim17ROCPRIM_400000_NS6detail17trampoline_kernelINS0_13select_configILj256ELj13ELNS0_17block_load_methodE3ELS4_3ELS4_3ELNS0_20block_scan_algorithmE0ELj4294967295EEENS1_25partition_config_selectorILNS1_17partition_subalgoE4EjNS0_10empty_typeEbEEZZNS1_14partition_implILS8_4ELb0ES6_15HIP_vector_typeIjLj2EENS0_17counting_iteratorIjlEEPS9_SG_NS0_5tupleIJPjSI_NS0_16reverse_iteratorISI_EEEEENSH_IJSG_SG_SG_EEES9_SI_JZNS1_25segmented_radix_sort_implINS0_14default_configELb1EPKiPiPKlPlN2at6native12_GLOBAL__N_18offset_tEEE10hipError_tPvRmT1_PNSt15iterator_traitsIS12_E10value_typeET2_T3_PNS13_IS18_E10value_typeET4_jRbjT5_S1E_jjP12ihipStream_tbEUljE_ZNSN_ISO_Lb1ESQ_SR_ST_SU_SY_EESZ_S10_S11_S12_S16_S17_S18_S1B_S1C_jS1D_jS1E_S1E_jjS1G_bEUljE0_EEESZ_S10_S11_S18_S1C_S1E_T6_T7_T9_mT8_S1G_bDpT10_ENKUlT_T0_E_clISt17integral_constantIbLb0EES1T_IbLb1EEEEDaS1P_S1Q_EUlS1P_E_NS1_11comp_targetILNS1_3genE5ELNS1_11target_archE942ELNS1_3gpuE9ELNS1_3repE0EEENS1_30default_config_static_selectorELNS0_4arch9wavefront6targetE1EEEvS12_.has_dyn_sized_stack, 0
	.set _ZN7rocprim17ROCPRIM_400000_NS6detail17trampoline_kernelINS0_13select_configILj256ELj13ELNS0_17block_load_methodE3ELS4_3ELS4_3ELNS0_20block_scan_algorithmE0ELj4294967295EEENS1_25partition_config_selectorILNS1_17partition_subalgoE4EjNS0_10empty_typeEbEEZZNS1_14partition_implILS8_4ELb0ES6_15HIP_vector_typeIjLj2EENS0_17counting_iteratorIjlEEPS9_SG_NS0_5tupleIJPjSI_NS0_16reverse_iteratorISI_EEEEENSH_IJSG_SG_SG_EEES9_SI_JZNS1_25segmented_radix_sort_implINS0_14default_configELb1EPKiPiPKlPlN2at6native12_GLOBAL__N_18offset_tEEE10hipError_tPvRmT1_PNSt15iterator_traitsIS12_E10value_typeET2_T3_PNS13_IS18_E10value_typeET4_jRbjT5_S1E_jjP12ihipStream_tbEUljE_ZNSN_ISO_Lb1ESQ_SR_ST_SU_SY_EESZ_S10_S11_S12_S16_S17_S18_S1B_S1C_jS1D_jS1E_S1E_jjS1G_bEUljE0_EEESZ_S10_S11_S18_S1C_S1E_T6_T7_T9_mT8_S1G_bDpT10_ENKUlT_T0_E_clISt17integral_constantIbLb0EES1T_IbLb1EEEEDaS1P_S1Q_EUlS1P_E_NS1_11comp_targetILNS1_3genE5ELNS1_11target_archE942ELNS1_3gpuE9ELNS1_3repE0EEENS1_30default_config_static_selectorELNS0_4arch9wavefront6targetE1EEEvS12_.has_recursion, 0
	.set _ZN7rocprim17ROCPRIM_400000_NS6detail17trampoline_kernelINS0_13select_configILj256ELj13ELNS0_17block_load_methodE3ELS4_3ELS4_3ELNS0_20block_scan_algorithmE0ELj4294967295EEENS1_25partition_config_selectorILNS1_17partition_subalgoE4EjNS0_10empty_typeEbEEZZNS1_14partition_implILS8_4ELb0ES6_15HIP_vector_typeIjLj2EENS0_17counting_iteratorIjlEEPS9_SG_NS0_5tupleIJPjSI_NS0_16reverse_iteratorISI_EEEEENSH_IJSG_SG_SG_EEES9_SI_JZNS1_25segmented_radix_sort_implINS0_14default_configELb1EPKiPiPKlPlN2at6native12_GLOBAL__N_18offset_tEEE10hipError_tPvRmT1_PNSt15iterator_traitsIS12_E10value_typeET2_T3_PNS13_IS18_E10value_typeET4_jRbjT5_S1E_jjP12ihipStream_tbEUljE_ZNSN_ISO_Lb1ESQ_SR_ST_SU_SY_EESZ_S10_S11_S12_S16_S17_S18_S1B_S1C_jS1D_jS1E_S1E_jjS1G_bEUljE0_EEESZ_S10_S11_S18_S1C_S1E_T6_T7_T9_mT8_S1G_bDpT10_ENKUlT_T0_E_clISt17integral_constantIbLb0EES1T_IbLb1EEEEDaS1P_S1Q_EUlS1P_E_NS1_11comp_targetILNS1_3genE5ELNS1_11target_archE942ELNS1_3gpuE9ELNS1_3repE0EEENS1_30default_config_static_selectorELNS0_4arch9wavefront6targetE1EEEvS12_.has_indirect_call, 0
	.section	.AMDGPU.csdata,"",@progbits
; Kernel info:
; codeLenInByte = 0
; TotalNumSgprs: 4
; NumVgprs: 0
; ScratchSize: 0
; MemoryBound: 0
; FloatMode: 240
; IeeeMode: 1
; LDSByteSize: 0 bytes/workgroup (compile time only)
; SGPRBlocks: 0
; VGPRBlocks: 0
; NumSGPRsForWavesPerEU: 4
; NumVGPRsForWavesPerEU: 1
; Occupancy: 10
; WaveLimiterHint : 0
; COMPUTE_PGM_RSRC2:SCRATCH_EN: 0
; COMPUTE_PGM_RSRC2:USER_SGPR: 6
; COMPUTE_PGM_RSRC2:TRAP_HANDLER: 0
; COMPUTE_PGM_RSRC2:TGID_X_EN: 1
; COMPUTE_PGM_RSRC2:TGID_Y_EN: 0
; COMPUTE_PGM_RSRC2:TGID_Z_EN: 0
; COMPUTE_PGM_RSRC2:TIDIG_COMP_CNT: 0
	.section	.text._ZN7rocprim17ROCPRIM_400000_NS6detail17trampoline_kernelINS0_13select_configILj256ELj13ELNS0_17block_load_methodE3ELS4_3ELS4_3ELNS0_20block_scan_algorithmE0ELj4294967295EEENS1_25partition_config_selectorILNS1_17partition_subalgoE4EjNS0_10empty_typeEbEEZZNS1_14partition_implILS8_4ELb0ES6_15HIP_vector_typeIjLj2EENS0_17counting_iteratorIjlEEPS9_SG_NS0_5tupleIJPjSI_NS0_16reverse_iteratorISI_EEEEENSH_IJSG_SG_SG_EEES9_SI_JZNS1_25segmented_radix_sort_implINS0_14default_configELb1EPKiPiPKlPlN2at6native12_GLOBAL__N_18offset_tEEE10hipError_tPvRmT1_PNSt15iterator_traitsIS12_E10value_typeET2_T3_PNS13_IS18_E10value_typeET4_jRbjT5_S1E_jjP12ihipStream_tbEUljE_ZNSN_ISO_Lb1ESQ_SR_ST_SU_SY_EESZ_S10_S11_S12_S16_S17_S18_S1B_S1C_jS1D_jS1E_S1E_jjS1G_bEUljE0_EEESZ_S10_S11_S18_S1C_S1E_T6_T7_T9_mT8_S1G_bDpT10_ENKUlT_T0_E_clISt17integral_constantIbLb0EES1T_IbLb1EEEEDaS1P_S1Q_EUlS1P_E_NS1_11comp_targetILNS1_3genE4ELNS1_11target_archE910ELNS1_3gpuE8ELNS1_3repE0EEENS1_30default_config_static_selectorELNS0_4arch9wavefront6targetE1EEEvS12_,"axG",@progbits,_ZN7rocprim17ROCPRIM_400000_NS6detail17trampoline_kernelINS0_13select_configILj256ELj13ELNS0_17block_load_methodE3ELS4_3ELS4_3ELNS0_20block_scan_algorithmE0ELj4294967295EEENS1_25partition_config_selectorILNS1_17partition_subalgoE4EjNS0_10empty_typeEbEEZZNS1_14partition_implILS8_4ELb0ES6_15HIP_vector_typeIjLj2EENS0_17counting_iteratorIjlEEPS9_SG_NS0_5tupleIJPjSI_NS0_16reverse_iteratorISI_EEEEENSH_IJSG_SG_SG_EEES9_SI_JZNS1_25segmented_radix_sort_implINS0_14default_configELb1EPKiPiPKlPlN2at6native12_GLOBAL__N_18offset_tEEE10hipError_tPvRmT1_PNSt15iterator_traitsIS12_E10value_typeET2_T3_PNS13_IS18_E10value_typeET4_jRbjT5_S1E_jjP12ihipStream_tbEUljE_ZNSN_ISO_Lb1ESQ_SR_ST_SU_SY_EESZ_S10_S11_S12_S16_S17_S18_S1B_S1C_jS1D_jS1E_S1E_jjS1G_bEUljE0_EEESZ_S10_S11_S18_S1C_S1E_T6_T7_T9_mT8_S1G_bDpT10_ENKUlT_T0_E_clISt17integral_constantIbLb0EES1T_IbLb1EEEEDaS1P_S1Q_EUlS1P_E_NS1_11comp_targetILNS1_3genE4ELNS1_11target_archE910ELNS1_3gpuE8ELNS1_3repE0EEENS1_30default_config_static_selectorELNS0_4arch9wavefront6targetE1EEEvS12_,comdat
	.globl	_ZN7rocprim17ROCPRIM_400000_NS6detail17trampoline_kernelINS0_13select_configILj256ELj13ELNS0_17block_load_methodE3ELS4_3ELS4_3ELNS0_20block_scan_algorithmE0ELj4294967295EEENS1_25partition_config_selectorILNS1_17partition_subalgoE4EjNS0_10empty_typeEbEEZZNS1_14partition_implILS8_4ELb0ES6_15HIP_vector_typeIjLj2EENS0_17counting_iteratorIjlEEPS9_SG_NS0_5tupleIJPjSI_NS0_16reverse_iteratorISI_EEEEENSH_IJSG_SG_SG_EEES9_SI_JZNS1_25segmented_radix_sort_implINS0_14default_configELb1EPKiPiPKlPlN2at6native12_GLOBAL__N_18offset_tEEE10hipError_tPvRmT1_PNSt15iterator_traitsIS12_E10value_typeET2_T3_PNS13_IS18_E10value_typeET4_jRbjT5_S1E_jjP12ihipStream_tbEUljE_ZNSN_ISO_Lb1ESQ_SR_ST_SU_SY_EESZ_S10_S11_S12_S16_S17_S18_S1B_S1C_jS1D_jS1E_S1E_jjS1G_bEUljE0_EEESZ_S10_S11_S18_S1C_S1E_T6_T7_T9_mT8_S1G_bDpT10_ENKUlT_T0_E_clISt17integral_constantIbLb0EES1T_IbLb1EEEEDaS1P_S1Q_EUlS1P_E_NS1_11comp_targetILNS1_3genE4ELNS1_11target_archE910ELNS1_3gpuE8ELNS1_3repE0EEENS1_30default_config_static_selectorELNS0_4arch9wavefront6targetE1EEEvS12_ ; -- Begin function _ZN7rocprim17ROCPRIM_400000_NS6detail17trampoline_kernelINS0_13select_configILj256ELj13ELNS0_17block_load_methodE3ELS4_3ELS4_3ELNS0_20block_scan_algorithmE0ELj4294967295EEENS1_25partition_config_selectorILNS1_17partition_subalgoE4EjNS0_10empty_typeEbEEZZNS1_14partition_implILS8_4ELb0ES6_15HIP_vector_typeIjLj2EENS0_17counting_iteratorIjlEEPS9_SG_NS0_5tupleIJPjSI_NS0_16reverse_iteratorISI_EEEEENSH_IJSG_SG_SG_EEES9_SI_JZNS1_25segmented_radix_sort_implINS0_14default_configELb1EPKiPiPKlPlN2at6native12_GLOBAL__N_18offset_tEEE10hipError_tPvRmT1_PNSt15iterator_traitsIS12_E10value_typeET2_T3_PNS13_IS18_E10value_typeET4_jRbjT5_S1E_jjP12ihipStream_tbEUljE_ZNSN_ISO_Lb1ESQ_SR_ST_SU_SY_EESZ_S10_S11_S12_S16_S17_S18_S1B_S1C_jS1D_jS1E_S1E_jjS1G_bEUljE0_EEESZ_S10_S11_S18_S1C_S1E_T6_T7_T9_mT8_S1G_bDpT10_ENKUlT_T0_E_clISt17integral_constantIbLb0EES1T_IbLb1EEEEDaS1P_S1Q_EUlS1P_E_NS1_11comp_targetILNS1_3genE4ELNS1_11target_archE910ELNS1_3gpuE8ELNS1_3repE0EEENS1_30default_config_static_selectorELNS0_4arch9wavefront6targetE1EEEvS12_
	.p2align	8
	.type	_ZN7rocprim17ROCPRIM_400000_NS6detail17trampoline_kernelINS0_13select_configILj256ELj13ELNS0_17block_load_methodE3ELS4_3ELS4_3ELNS0_20block_scan_algorithmE0ELj4294967295EEENS1_25partition_config_selectorILNS1_17partition_subalgoE4EjNS0_10empty_typeEbEEZZNS1_14partition_implILS8_4ELb0ES6_15HIP_vector_typeIjLj2EENS0_17counting_iteratorIjlEEPS9_SG_NS0_5tupleIJPjSI_NS0_16reverse_iteratorISI_EEEEENSH_IJSG_SG_SG_EEES9_SI_JZNS1_25segmented_radix_sort_implINS0_14default_configELb1EPKiPiPKlPlN2at6native12_GLOBAL__N_18offset_tEEE10hipError_tPvRmT1_PNSt15iterator_traitsIS12_E10value_typeET2_T3_PNS13_IS18_E10value_typeET4_jRbjT5_S1E_jjP12ihipStream_tbEUljE_ZNSN_ISO_Lb1ESQ_SR_ST_SU_SY_EESZ_S10_S11_S12_S16_S17_S18_S1B_S1C_jS1D_jS1E_S1E_jjS1G_bEUljE0_EEESZ_S10_S11_S18_S1C_S1E_T6_T7_T9_mT8_S1G_bDpT10_ENKUlT_T0_E_clISt17integral_constantIbLb0EES1T_IbLb1EEEEDaS1P_S1Q_EUlS1P_E_NS1_11comp_targetILNS1_3genE4ELNS1_11target_archE910ELNS1_3gpuE8ELNS1_3repE0EEENS1_30default_config_static_selectorELNS0_4arch9wavefront6targetE1EEEvS12_,@function
_ZN7rocprim17ROCPRIM_400000_NS6detail17trampoline_kernelINS0_13select_configILj256ELj13ELNS0_17block_load_methodE3ELS4_3ELS4_3ELNS0_20block_scan_algorithmE0ELj4294967295EEENS1_25partition_config_selectorILNS1_17partition_subalgoE4EjNS0_10empty_typeEbEEZZNS1_14partition_implILS8_4ELb0ES6_15HIP_vector_typeIjLj2EENS0_17counting_iteratorIjlEEPS9_SG_NS0_5tupleIJPjSI_NS0_16reverse_iteratorISI_EEEEENSH_IJSG_SG_SG_EEES9_SI_JZNS1_25segmented_radix_sort_implINS0_14default_configELb1EPKiPiPKlPlN2at6native12_GLOBAL__N_18offset_tEEE10hipError_tPvRmT1_PNSt15iterator_traitsIS12_E10value_typeET2_T3_PNS13_IS18_E10value_typeET4_jRbjT5_S1E_jjP12ihipStream_tbEUljE_ZNSN_ISO_Lb1ESQ_SR_ST_SU_SY_EESZ_S10_S11_S12_S16_S17_S18_S1B_S1C_jS1D_jS1E_S1E_jjS1G_bEUljE0_EEESZ_S10_S11_S18_S1C_S1E_T6_T7_T9_mT8_S1G_bDpT10_ENKUlT_T0_E_clISt17integral_constantIbLb0EES1T_IbLb1EEEEDaS1P_S1Q_EUlS1P_E_NS1_11comp_targetILNS1_3genE4ELNS1_11target_archE910ELNS1_3gpuE8ELNS1_3repE0EEENS1_30default_config_static_selectorELNS0_4arch9wavefront6targetE1EEEvS12_: ; @_ZN7rocprim17ROCPRIM_400000_NS6detail17trampoline_kernelINS0_13select_configILj256ELj13ELNS0_17block_load_methodE3ELS4_3ELS4_3ELNS0_20block_scan_algorithmE0ELj4294967295EEENS1_25partition_config_selectorILNS1_17partition_subalgoE4EjNS0_10empty_typeEbEEZZNS1_14partition_implILS8_4ELb0ES6_15HIP_vector_typeIjLj2EENS0_17counting_iteratorIjlEEPS9_SG_NS0_5tupleIJPjSI_NS0_16reverse_iteratorISI_EEEEENSH_IJSG_SG_SG_EEES9_SI_JZNS1_25segmented_radix_sort_implINS0_14default_configELb1EPKiPiPKlPlN2at6native12_GLOBAL__N_18offset_tEEE10hipError_tPvRmT1_PNSt15iterator_traitsIS12_E10value_typeET2_T3_PNS13_IS18_E10value_typeET4_jRbjT5_S1E_jjP12ihipStream_tbEUljE_ZNSN_ISO_Lb1ESQ_SR_ST_SU_SY_EESZ_S10_S11_S12_S16_S17_S18_S1B_S1C_jS1D_jS1E_S1E_jjS1G_bEUljE0_EEESZ_S10_S11_S18_S1C_S1E_T6_T7_T9_mT8_S1G_bDpT10_ENKUlT_T0_E_clISt17integral_constantIbLb0EES1T_IbLb1EEEEDaS1P_S1Q_EUlS1P_E_NS1_11comp_targetILNS1_3genE4ELNS1_11target_archE910ELNS1_3gpuE8ELNS1_3repE0EEENS1_30default_config_static_selectorELNS0_4arch9wavefront6targetE1EEEvS12_
; %bb.0:
	.section	.rodata,"a",@progbits
	.p2align	6, 0x0
	.amdhsa_kernel _ZN7rocprim17ROCPRIM_400000_NS6detail17trampoline_kernelINS0_13select_configILj256ELj13ELNS0_17block_load_methodE3ELS4_3ELS4_3ELNS0_20block_scan_algorithmE0ELj4294967295EEENS1_25partition_config_selectorILNS1_17partition_subalgoE4EjNS0_10empty_typeEbEEZZNS1_14partition_implILS8_4ELb0ES6_15HIP_vector_typeIjLj2EENS0_17counting_iteratorIjlEEPS9_SG_NS0_5tupleIJPjSI_NS0_16reverse_iteratorISI_EEEEENSH_IJSG_SG_SG_EEES9_SI_JZNS1_25segmented_radix_sort_implINS0_14default_configELb1EPKiPiPKlPlN2at6native12_GLOBAL__N_18offset_tEEE10hipError_tPvRmT1_PNSt15iterator_traitsIS12_E10value_typeET2_T3_PNS13_IS18_E10value_typeET4_jRbjT5_S1E_jjP12ihipStream_tbEUljE_ZNSN_ISO_Lb1ESQ_SR_ST_SU_SY_EESZ_S10_S11_S12_S16_S17_S18_S1B_S1C_jS1D_jS1E_S1E_jjS1G_bEUljE0_EEESZ_S10_S11_S18_S1C_S1E_T6_T7_T9_mT8_S1G_bDpT10_ENKUlT_T0_E_clISt17integral_constantIbLb0EES1T_IbLb1EEEEDaS1P_S1Q_EUlS1P_E_NS1_11comp_targetILNS1_3genE4ELNS1_11target_archE910ELNS1_3gpuE8ELNS1_3repE0EEENS1_30default_config_static_selectorELNS0_4arch9wavefront6targetE1EEEvS12_
		.amdhsa_group_segment_fixed_size 0
		.amdhsa_private_segment_fixed_size 0
		.amdhsa_kernarg_size 184
		.amdhsa_user_sgpr_count 6
		.amdhsa_user_sgpr_private_segment_buffer 1
		.amdhsa_user_sgpr_dispatch_ptr 0
		.amdhsa_user_sgpr_queue_ptr 0
		.amdhsa_user_sgpr_kernarg_segment_ptr 1
		.amdhsa_user_sgpr_dispatch_id 0
		.amdhsa_user_sgpr_flat_scratch_init 0
		.amdhsa_user_sgpr_private_segment_size 0
		.amdhsa_uses_dynamic_stack 0
		.amdhsa_system_sgpr_private_segment_wavefront_offset 0
		.amdhsa_system_sgpr_workgroup_id_x 1
		.amdhsa_system_sgpr_workgroup_id_y 0
		.amdhsa_system_sgpr_workgroup_id_z 0
		.amdhsa_system_sgpr_workgroup_info 0
		.amdhsa_system_vgpr_workitem_id 0
		.amdhsa_next_free_vgpr 1
		.amdhsa_next_free_sgpr 0
		.amdhsa_reserve_vcc 0
		.amdhsa_reserve_flat_scratch 0
		.amdhsa_float_round_mode_32 0
		.amdhsa_float_round_mode_16_64 0
		.amdhsa_float_denorm_mode_32 3
		.amdhsa_float_denorm_mode_16_64 3
		.amdhsa_dx10_clamp 1
		.amdhsa_ieee_mode 1
		.amdhsa_fp16_overflow 0
		.amdhsa_exception_fp_ieee_invalid_op 0
		.amdhsa_exception_fp_denorm_src 0
		.amdhsa_exception_fp_ieee_div_zero 0
		.amdhsa_exception_fp_ieee_overflow 0
		.amdhsa_exception_fp_ieee_underflow 0
		.amdhsa_exception_fp_ieee_inexact 0
		.amdhsa_exception_int_div_zero 0
	.end_amdhsa_kernel
	.section	.text._ZN7rocprim17ROCPRIM_400000_NS6detail17trampoline_kernelINS0_13select_configILj256ELj13ELNS0_17block_load_methodE3ELS4_3ELS4_3ELNS0_20block_scan_algorithmE0ELj4294967295EEENS1_25partition_config_selectorILNS1_17partition_subalgoE4EjNS0_10empty_typeEbEEZZNS1_14partition_implILS8_4ELb0ES6_15HIP_vector_typeIjLj2EENS0_17counting_iteratorIjlEEPS9_SG_NS0_5tupleIJPjSI_NS0_16reverse_iteratorISI_EEEEENSH_IJSG_SG_SG_EEES9_SI_JZNS1_25segmented_radix_sort_implINS0_14default_configELb1EPKiPiPKlPlN2at6native12_GLOBAL__N_18offset_tEEE10hipError_tPvRmT1_PNSt15iterator_traitsIS12_E10value_typeET2_T3_PNS13_IS18_E10value_typeET4_jRbjT5_S1E_jjP12ihipStream_tbEUljE_ZNSN_ISO_Lb1ESQ_SR_ST_SU_SY_EESZ_S10_S11_S12_S16_S17_S18_S1B_S1C_jS1D_jS1E_S1E_jjS1G_bEUljE0_EEESZ_S10_S11_S18_S1C_S1E_T6_T7_T9_mT8_S1G_bDpT10_ENKUlT_T0_E_clISt17integral_constantIbLb0EES1T_IbLb1EEEEDaS1P_S1Q_EUlS1P_E_NS1_11comp_targetILNS1_3genE4ELNS1_11target_archE910ELNS1_3gpuE8ELNS1_3repE0EEENS1_30default_config_static_selectorELNS0_4arch9wavefront6targetE1EEEvS12_,"axG",@progbits,_ZN7rocprim17ROCPRIM_400000_NS6detail17trampoline_kernelINS0_13select_configILj256ELj13ELNS0_17block_load_methodE3ELS4_3ELS4_3ELNS0_20block_scan_algorithmE0ELj4294967295EEENS1_25partition_config_selectorILNS1_17partition_subalgoE4EjNS0_10empty_typeEbEEZZNS1_14partition_implILS8_4ELb0ES6_15HIP_vector_typeIjLj2EENS0_17counting_iteratorIjlEEPS9_SG_NS0_5tupleIJPjSI_NS0_16reverse_iteratorISI_EEEEENSH_IJSG_SG_SG_EEES9_SI_JZNS1_25segmented_radix_sort_implINS0_14default_configELb1EPKiPiPKlPlN2at6native12_GLOBAL__N_18offset_tEEE10hipError_tPvRmT1_PNSt15iterator_traitsIS12_E10value_typeET2_T3_PNS13_IS18_E10value_typeET4_jRbjT5_S1E_jjP12ihipStream_tbEUljE_ZNSN_ISO_Lb1ESQ_SR_ST_SU_SY_EESZ_S10_S11_S12_S16_S17_S18_S1B_S1C_jS1D_jS1E_S1E_jjS1G_bEUljE0_EEESZ_S10_S11_S18_S1C_S1E_T6_T7_T9_mT8_S1G_bDpT10_ENKUlT_T0_E_clISt17integral_constantIbLb0EES1T_IbLb1EEEEDaS1P_S1Q_EUlS1P_E_NS1_11comp_targetILNS1_3genE4ELNS1_11target_archE910ELNS1_3gpuE8ELNS1_3repE0EEENS1_30default_config_static_selectorELNS0_4arch9wavefront6targetE1EEEvS12_,comdat
.Lfunc_end459:
	.size	_ZN7rocprim17ROCPRIM_400000_NS6detail17trampoline_kernelINS0_13select_configILj256ELj13ELNS0_17block_load_methodE3ELS4_3ELS4_3ELNS0_20block_scan_algorithmE0ELj4294967295EEENS1_25partition_config_selectorILNS1_17partition_subalgoE4EjNS0_10empty_typeEbEEZZNS1_14partition_implILS8_4ELb0ES6_15HIP_vector_typeIjLj2EENS0_17counting_iteratorIjlEEPS9_SG_NS0_5tupleIJPjSI_NS0_16reverse_iteratorISI_EEEEENSH_IJSG_SG_SG_EEES9_SI_JZNS1_25segmented_radix_sort_implINS0_14default_configELb1EPKiPiPKlPlN2at6native12_GLOBAL__N_18offset_tEEE10hipError_tPvRmT1_PNSt15iterator_traitsIS12_E10value_typeET2_T3_PNS13_IS18_E10value_typeET4_jRbjT5_S1E_jjP12ihipStream_tbEUljE_ZNSN_ISO_Lb1ESQ_SR_ST_SU_SY_EESZ_S10_S11_S12_S16_S17_S18_S1B_S1C_jS1D_jS1E_S1E_jjS1G_bEUljE0_EEESZ_S10_S11_S18_S1C_S1E_T6_T7_T9_mT8_S1G_bDpT10_ENKUlT_T0_E_clISt17integral_constantIbLb0EES1T_IbLb1EEEEDaS1P_S1Q_EUlS1P_E_NS1_11comp_targetILNS1_3genE4ELNS1_11target_archE910ELNS1_3gpuE8ELNS1_3repE0EEENS1_30default_config_static_selectorELNS0_4arch9wavefront6targetE1EEEvS12_, .Lfunc_end459-_ZN7rocprim17ROCPRIM_400000_NS6detail17trampoline_kernelINS0_13select_configILj256ELj13ELNS0_17block_load_methodE3ELS4_3ELS4_3ELNS0_20block_scan_algorithmE0ELj4294967295EEENS1_25partition_config_selectorILNS1_17partition_subalgoE4EjNS0_10empty_typeEbEEZZNS1_14partition_implILS8_4ELb0ES6_15HIP_vector_typeIjLj2EENS0_17counting_iteratorIjlEEPS9_SG_NS0_5tupleIJPjSI_NS0_16reverse_iteratorISI_EEEEENSH_IJSG_SG_SG_EEES9_SI_JZNS1_25segmented_radix_sort_implINS0_14default_configELb1EPKiPiPKlPlN2at6native12_GLOBAL__N_18offset_tEEE10hipError_tPvRmT1_PNSt15iterator_traitsIS12_E10value_typeET2_T3_PNS13_IS18_E10value_typeET4_jRbjT5_S1E_jjP12ihipStream_tbEUljE_ZNSN_ISO_Lb1ESQ_SR_ST_SU_SY_EESZ_S10_S11_S12_S16_S17_S18_S1B_S1C_jS1D_jS1E_S1E_jjS1G_bEUljE0_EEESZ_S10_S11_S18_S1C_S1E_T6_T7_T9_mT8_S1G_bDpT10_ENKUlT_T0_E_clISt17integral_constantIbLb0EES1T_IbLb1EEEEDaS1P_S1Q_EUlS1P_E_NS1_11comp_targetILNS1_3genE4ELNS1_11target_archE910ELNS1_3gpuE8ELNS1_3repE0EEENS1_30default_config_static_selectorELNS0_4arch9wavefront6targetE1EEEvS12_
                                        ; -- End function
	.set _ZN7rocprim17ROCPRIM_400000_NS6detail17trampoline_kernelINS0_13select_configILj256ELj13ELNS0_17block_load_methodE3ELS4_3ELS4_3ELNS0_20block_scan_algorithmE0ELj4294967295EEENS1_25partition_config_selectorILNS1_17partition_subalgoE4EjNS0_10empty_typeEbEEZZNS1_14partition_implILS8_4ELb0ES6_15HIP_vector_typeIjLj2EENS0_17counting_iteratorIjlEEPS9_SG_NS0_5tupleIJPjSI_NS0_16reverse_iteratorISI_EEEEENSH_IJSG_SG_SG_EEES9_SI_JZNS1_25segmented_radix_sort_implINS0_14default_configELb1EPKiPiPKlPlN2at6native12_GLOBAL__N_18offset_tEEE10hipError_tPvRmT1_PNSt15iterator_traitsIS12_E10value_typeET2_T3_PNS13_IS18_E10value_typeET4_jRbjT5_S1E_jjP12ihipStream_tbEUljE_ZNSN_ISO_Lb1ESQ_SR_ST_SU_SY_EESZ_S10_S11_S12_S16_S17_S18_S1B_S1C_jS1D_jS1E_S1E_jjS1G_bEUljE0_EEESZ_S10_S11_S18_S1C_S1E_T6_T7_T9_mT8_S1G_bDpT10_ENKUlT_T0_E_clISt17integral_constantIbLb0EES1T_IbLb1EEEEDaS1P_S1Q_EUlS1P_E_NS1_11comp_targetILNS1_3genE4ELNS1_11target_archE910ELNS1_3gpuE8ELNS1_3repE0EEENS1_30default_config_static_selectorELNS0_4arch9wavefront6targetE1EEEvS12_.num_vgpr, 0
	.set _ZN7rocprim17ROCPRIM_400000_NS6detail17trampoline_kernelINS0_13select_configILj256ELj13ELNS0_17block_load_methodE3ELS4_3ELS4_3ELNS0_20block_scan_algorithmE0ELj4294967295EEENS1_25partition_config_selectorILNS1_17partition_subalgoE4EjNS0_10empty_typeEbEEZZNS1_14partition_implILS8_4ELb0ES6_15HIP_vector_typeIjLj2EENS0_17counting_iteratorIjlEEPS9_SG_NS0_5tupleIJPjSI_NS0_16reverse_iteratorISI_EEEEENSH_IJSG_SG_SG_EEES9_SI_JZNS1_25segmented_radix_sort_implINS0_14default_configELb1EPKiPiPKlPlN2at6native12_GLOBAL__N_18offset_tEEE10hipError_tPvRmT1_PNSt15iterator_traitsIS12_E10value_typeET2_T3_PNS13_IS18_E10value_typeET4_jRbjT5_S1E_jjP12ihipStream_tbEUljE_ZNSN_ISO_Lb1ESQ_SR_ST_SU_SY_EESZ_S10_S11_S12_S16_S17_S18_S1B_S1C_jS1D_jS1E_S1E_jjS1G_bEUljE0_EEESZ_S10_S11_S18_S1C_S1E_T6_T7_T9_mT8_S1G_bDpT10_ENKUlT_T0_E_clISt17integral_constantIbLb0EES1T_IbLb1EEEEDaS1P_S1Q_EUlS1P_E_NS1_11comp_targetILNS1_3genE4ELNS1_11target_archE910ELNS1_3gpuE8ELNS1_3repE0EEENS1_30default_config_static_selectorELNS0_4arch9wavefront6targetE1EEEvS12_.num_agpr, 0
	.set _ZN7rocprim17ROCPRIM_400000_NS6detail17trampoline_kernelINS0_13select_configILj256ELj13ELNS0_17block_load_methodE3ELS4_3ELS4_3ELNS0_20block_scan_algorithmE0ELj4294967295EEENS1_25partition_config_selectorILNS1_17partition_subalgoE4EjNS0_10empty_typeEbEEZZNS1_14partition_implILS8_4ELb0ES6_15HIP_vector_typeIjLj2EENS0_17counting_iteratorIjlEEPS9_SG_NS0_5tupleIJPjSI_NS0_16reverse_iteratorISI_EEEEENSH_IJSG_SG_SG_EEES9_SI_JZNS1_25segmented_radix_sort_implINS0_14default_configELb1EPKiPiPKlPlN2at6native12_GLOBAL__N_18offset_tEEE10hipError_tPvRmT1_PNSt15iterator_traitsIS12_E10value_typeET2_T3_PNS13_IS18_E10value_typeET4_jRbjT5_S1E_jjP12ihipStream_tbEUljE_ZNSN_ISO_Lb1ESQ_SR_ST_SU_SY_EESZ_S10_S11_S12_S16_S17_S18_S1B_S1C_jS1D_jS1E_S1E_jjS1G_bEUljE0_EEESZ_S10_S11_S18_S1C_S1E_T6_T7_T9_mT8_S1G_bDpT10_ENKUlT_T0_E_clISt17integral_constantIbLb0EES1T_IbLb1EEEEDaS1P_S1Q_EUlS1P_E_NS1_11comp_targetILNS1_3genE4ELNS1_11target_archE910ELNS1_3gpuE8ELNS1_3repE0EEENS1_30default_config_static_selectorELNS0_4arch9wavefront6targetE1EEEvS12_.numbered_sgpr, 0
	.set _ZN7rocprim17ROCPRIM_400000_NS6detail17trampoline_kernelINS0_13select_configILj256ELj13ELNS0_17block_load_methodE3ELS4_3ELS4_3ELNS0_20block_scan_algorithmE0ELj4294967295EEENS1_25partition_config_selectorILNS1_17partition_subalgoE4EjNS0_10empty_typeEbEEZZNS1_14partition_implILS8_4ELb0ES6_15HIP_vector_typeIjLj2EENS0_17counting_iteratorIjlEEPS9_SG_NS0_5tupleIJPjSI_NS0_16reverse_iteratorISI_EEEEENSH_IJSG_SG_SG_EEES9_SI_JZNS1_25segmented_radix_sort_implINS0_14default_configELb1EPKiPiPKlPlN2at6native12_GLOBAL__N_18offset_tEEE10hipError_tPvRmT1_PNSt15iterator_traitsIS12_E10value_typeET2_T3_PNS13_IS18_E10value_typeET4_jRbjT5_S1E_jjP12ihipStream_tbEUljE_ZNSN_ISO_Lb1ESQ_SR_ST_SU_SY_EESZ_S10_S11_S12_S16_S17_S18_S1B_S1C_jS1D_jS1E_S1E_jjS1G_bEUljE0_EEESZ_S10_S11_S18_S1C_S1E_T6_T7_T9_mT8_S1G_bDpT10_ENKUlT_T0_E_clISt17integral_constantIbLb0EES1T_IbLb1EEEEDaS1P_S1Q_EUlS1P_E_NS1_11comp_targetILNS1_3genE4ELNS1_11target_archE910ELNS1_3gpuE8ELNS1_3repE0EEENS1_30default_config_static_selectorELNS0_4arch9wavefront6targetE1EEEvS12_.num_named_barrier, 0
	.set _ZN7rocprim17ROCPRIM_400000_NS6detail17trampoline_kernelINS0_13select_configILj256ELj13ELNS0_17block_load_methodE3ELS4_3ELS4_3ELNS0_20block_scan_algorithmE0ELj4294967295EEENS1_25partition_config_selectorILNS1_17partition_subalgoE4EjNS0_10empty_typeEbEEZZNS1_14partition_implILS8_4ELb0ES6_15HIP_vector_typeIjLj2EENS0_17counting_iteratorIjlEEPS9_SG_NS0_5tupleIJPjSI_NS0_16reverse_iteratorISI_EEEEENSH_IJSG_SG_SG_EEES9_SI_JZNS1_25segmented_radix_sort_implINS0_14default_configELb1EPKiPiPKlPlN2at6native12_GLOBAL__N_18offset_tEEE10hipError_tPvRmT1_PNSt15iterator_traitsIS12_E10value_typeET2_T3_PNS13_IS18_E10value_typeET4_jRbjT5_S1E_jjP12ihipStream_tbEUljE_ZNSN_ISO_Lb1ESQ_SR_ST_SU_SY_EESZ_S10_S11_S12_S16_S17_S18_S1B_S1C_jS1D_jS1E_S1E_jjS1G_bEUljE0_EEESZ_S10_S11_S18_S1C_S1E_T6_T7_T9_mT8_S1G_bDpT10_ENKUlT_T0_E_clISt17integral_constantIbLb0EES1T_IbLb1EEEEDaS1P_S1Q_EUlS1P_E_NS1_11comp_targetILNS1_3genE4ELNS1_11target_archE910ELNS1_3gpuE8ELNS1_3repE0EEENS1_30default_config_static_selectorELNS0_4arch9wavefront6targetE1EEEvS12_.private_seg_size, 0
	.set _ZN7rocprim17ROCPRIM_400000_NS6detail17trampoline_kernelINS0_13select_configILj256ELj13ELNS0_17block_load_methodE3ELS4_3ELS4_3ELNS0_20block_scan_algorithmE0ELj4294967295EEENS1_25partition_config_selectorILNS1_17partition_subalgoE4EjNS0_10empty_typeEbEEZZNS1_14partition_implILS8_4ELb0ES6_15HIP_vector_typeIjLj2EENS0_17counting_iteratorIjlEEPS9_SG_NS0_5tupleIJPjSI_NS0_16reverse_iteratorISI_EEEEENSH_IJSG_SG_SG_EEES9_SI_JZNS1_25segmented_radix_sort_implINS0_14default_configELb1EPKiPiPKlPlN2at6native12_GLOBAL__N_18offset_tEEE10hipError_tPvRmT1_PNSt15iterator_traitsIS12_E10value_typeET2_T3_PNS13_IS18_E10value_typeET4_jRbjT5_S1E_jjP12ihipStream_tbEUljE_ZNSN_ISO_Lb1ESQ_SR_ST_SU_SY_EESZ_S10_S11_S12_S16_S17_S18_S1B_S1C_jS1D_jS1E_S1E_jjS1G_bEUljE0_EEESZ_S10_S11_S18_S1C_S1E_T6_T7_T9_mT8_S1G_bDpT10_ENKUlT_T0_E_clISt17integral_constantIbLb0EES1T_IbLb1EEEEDaS1P_S1Q_EUlS1P_E_NS1_11comp_targetILNS1_3genE4ELNS1_11target_archE910ELNS1_3gpuE8ELNS1_3repE0EEENS1_30default_config_static_selectorELNS0_4arch9wavefront6targetE1EEEvS12_.uses_vcc, 0
	.set _ZN7rocprim17ROCPRIM_400000_NS6detail17trampoline_kernelINS0_13select_configILj256ELj13ELNS0_17block_load_methodE3ELS4_3ELS4_3ELNS0_20block_scan_algorithmE0ELj4294967295EEENS1_25partition_config_selectorILNS1_17partition_subalgoE4EjNS0_10empty_typeEbEEZZNS1_14partition_implILS8_4ELb0ES6_15HIP_vector_typeIjLj2EENS0_17counting_iteratorIjlEEPS9_SG_NS0_5tupleIJPjSI_NS0_16reverse_iteratorISI_EEEEENSH_IJSG_SG_SG_EEES9_SI_JZNS1_25segmented_radix_sort_implINS0_14default_configELb1EPKiPiPKlPlN2at6native12_GLOBAL__N_18offset_tEEE10hipError_tPvRmT1_PNSt15iterator_traitsIS12_E10value_typeET2_T3_PNS13_IS18_E10value_typeET4_jRbjT5_S1E_jjP12ihipStream_tbEUljE_ZNSN_ISO_Lb1ESQ_SR_ST_SU_SY_EESZ_S10_S11_S12_S16_S17_S18_S1B_S1C_jS1D_jS1E_S1E_jjS1G_bEUljE0_EEESZ_S10_S11_S18_S1C_S1E_T6_T7_T9_mT8_S1G_bDpT10_ENKUlT_T0_E_clISt17integral_constantIbLb0EES1T_IbLb1EEEEDaS1P_S1Q_EUlS1P_E_NS1_11comp_targetILNS1_3genE4ELNS1_11target_archE910ELNS1_3gpuE8ELNS1_3repE0EEENS1_30default_config_static_selectorELNS0_4arch9wavefront6targetE1EEEvS12_.uses_flat_scratch, 0
	.set _ZN7rocprim17ROCPRIM_400000_NS6detail17trampoline_kernelINS0_13select_configILj256ELj13ELNS0_17block_load_methodE3ELS4_3ELS4_3ELNS0_20block_scan_algorithmE0ELj4294967295EEENS1_25partition_config_selectorILNS1_17partition_subalgoE4EjNS0_10empty_typeEbEEZZNS1_14partition_implILS8_4ELb0ES6_15HIP_vector_typeIjLj2EENS0_17counting_iteratorIjlEEPS9_SG_NS0_5tupleIJPjSI_NS0_16reverse_iteratorISI_EEEEENSH_IJSG_SG_SG_EEES9_SI_JZNS1_25segmented_radix_sort_implINS0_14default_configELb1EPKiPiPKlPlN2at6native12_GLOBAL__N_18offset_tEEE10hipError_tPvRmT1_PNSt15iterator_traitsIS12_E10value_typeET2_T3_PNS13_IS18_E10value_typeET4_jRbjT5_S1E_jjP12ihipStream_tbEUljE_ZNSN_ISO_Lb1ESQ_SR_ST_SU_SY_EESZ_S10_S11_S12_S16_S17_S18_S1B_S1C_jS1D_jS1E_S1E_jjS1G_bEUljE0_EEESZ_S10_S11_S18_S1C_S1E_T6_T7_T9_mT8_S1G_bDpT10_ENKUlT_T0_E_clISt17integral_constantIbLb0EES1T_IbLb1EEEEDaS1P_S1Q_EUlS1P_E_NS1_11comp_targetILNS1_3genE4ELNS1_11target_archE910ELNS1_3gpuE8ELNS1_3repE0EEENS1_30default_config_static_selectorELNS0_4arch9wavefront6targetE1EEEvS12_.has_dyn_sized_stack, 0
	.set _ZN7rocprim17ROCPRIM_400000_NS6detail17trampoline_kernelINS0_13select_configILj256ELj13ELNS0_17block_load_methodE3ELS4_3ELS4_3ELNS0_20block_scan_algorithmE0ELj4294967295EEENS1_25partition_config_selectorILNS1_17partition_subalgoE4EjNS0_10empty_typeEbEEZZNS1_14partition_implILS8_4ELb0ES6_15HIP_vector_typeIjLj2EENS0_17counting_iteratorIjlEEPS9_SG_NS0_5tupleIJPjSI_NS0_16reverse_iteratorISI_EEEEENSH_IJSG_SG_SG_EEES9_SI_JZNS1_25segmented_radix_sort_implINS0_14default_configELb1EPKiPiPKlPlN2at6native12_GLOBAL__N_18offset_tEEE10hipError_tPvRmT1_PNSt15iterator_traitsIS12_E10value_typeET2_T3_PNS13_IS18_E10value_typeET4_jRbjT5_S1E_jjP12ihipStream_tbEUljE_ZNSN_ISO_Lb1ESQ_SR_ST_SU_SY_EESZ_S10_S11_S12_S16_S17_S18_S1B_S1C_jS1D_jS1E_S1E_jjS1G_bEUljE0_EEESZ_S10_S11_S18_S1C_S1E_T6_T7_T9_mT8_S1G_bDpT10_ENKUlT_T0_E_clISt17integral_constantIbLb0EES1T_IbLb1EEEEDaS1P_S1Q_EUlS1P_E_NS1_11comp_targetILNS1_3genE4ELNS1_11target_archE910ELNS1_3gpuE8ELNS1_3repE0EEENS1_30default_config_static_selectorELNS0_4arch9wavefront6targetE1EEEvS12_.has_recursion, 0
	.set _ZN7rocprim17ROCPRIM_400000_NS6detail17trampoline_kernelINS0_13select_configILj256ELj13ELNS0_17block_load_methodE3ELS4_3ELS4_3ELNS0_20block_scan_algorithmE0ELj4294967295EEENS1_25partition_config_selectorILNS1_17partition_subalgoE4EjNS0_10empty_typeEbEEZZNS1_14partition_implILS8_4ELb0ES6_15HIP_vector_typeIjLj2EENS0_17counting_iteratorIjlEEPS9_SG_NS0_5tupleIJPjSI_NS0_16reverse_iteratorISI_EEEEENSH_IJSG_SG_SG_EEES9_SI_JZNS1_25segmented_radix_sort_implINS0_14default_configELb1EPKiPiPKlPlN2at6native12_GLOBAL__N_18offset_tEEE10hipError_tPvRmT1_PNSt15iterator_traitsIS12_E10value_typeET2_T3_PNS13_IS18_E10value_typeET4_jRbjT5_S1E_jjP12ihipStream_tbEUljE_ZNSN_ISO_Lb1ESQ_SR_ST_SU_SY_EESZ_S10_S11_S12_S16_S17_S18_S1B_S1C_jS1D_jS1E_S1E_jjS1G_bEUljE0_EEESZ_S10_S11_S18_S1C_S1E_T6_T7_T9_mT8_S1G_bDpT10_ENKUlT_T0_E_clISt17integral_constantIbLb0EES1T_IbLb1EEEEDaS1P_S1Q_EUlS1P_E_NS1_11comp_targetILNS1_3genE4ELNS1_11target_archE910ELNS1_3gpuE8ELNS1_3repE0EEENS1_30default_config_static_selectorELNS0_4arch9wavefront6targetE1EEEvS12_.has_indirect_call, 0
	.section	.AMDGPU.csdata,"",@progbits
; Kernel info:
; codeLenInByte = 0
; TotalNumSgprs: 4
; NumVgprs: 0
; ScratchSize: 0
; MemoryBound: 0
; FloatMode: 240
; IeeeMode: 1
; LDSByteSize: 0 bytes/workgroup (compile time only)
; SGPRBlocks: 0
; VGPRBlocks: 0
; NumSGPRsForWavesPerEU: 4
; NumVGPRsForWavesPerEU: 1
; Occupancy: 10
; WaveLimiterHint : 0
; COMPUTE_PGM_RSRC2:SCRATCH_EN: 0
; COMPUTE_PGM_RSRC2:USER_SGPR: 6
; COMPUTE_PGM_RSRC2:TRAP_HANDLER: 0
; COMPUTE_PGM_RSRC2:TGID_X_EN: 1
; COMPUTE_PGM_RSRC2:TGID_Y_EN: 0
; COMPUTE_PGM_RSRC2:TGID_Z_EN: 0
; COMPUTE_PGM_RSRC2:TIDIG_COMP_CNT: 0
	.section	.text._ZN7rocprim17ROCPRIM_400000_NS6detail17trampoline_kernelINS0_13select_configILj256ELj13ELNS0_17block_load_methodE3ELS4_3ELS4_3ELNS0_20block_scan_algorithmE0ELj4294967295EEENS1_25partition_config_selectorILNS1_17partition_subalgoE4EjNS0_10empty_typeEbEEZZNS1_14partition_implILS8_4ELb0ES6_15HIP_vector_typeIjLj2EENS0_17counting_iteratorIjlEEPS9_SG_NS0_5tupleIJPjSI_NS0_16reverse_iteratorISI_EEEEENSH_IJSG_SG_SG_EEES9_SI_JZNS1_25segmented_radix_sort_implINS0_14default_configELb1EPKiPiPKlPlN2at6native12_GLOBAL__N_18offset_tEEE10hipError_tPvRmT1_PNSt15iterator_traitsIS12_E10value_typeET2_T3_PNS13_IS18_E10value_typeET4_jRbjT5_S1E_jjP12ihipStream_tbEUljE_ZNSN_ISO_Lb1ESQ_SR_ST_SU_SY_EESZ_S10_S11_S12_S16_S17_S18_S1B_S1C_jS1D_jS1E_S1E_jjS1G_bEUljE0_EEESZ_S10_S11_S18_S1C_S1E_T6_T7_T9_mT8_S1G_bDpT10_ENKUlT_T0_E_clISt17integral_constantIbLb0EES1T_IbLb1EEEEDaS1P_S1Q_EUlS1P_E_NS1_11comp_targetILNS1_3genE3ELNS1_11target_archE908ELNS1_3gpuE7ELNS1_3repE0EEENS1_30default_config_static_selectorELNS0_4arch9wavefront6targetE1EEEvS12_,"axG",@progbits,_ZN7rocprim17ROCPRIM_400000_NS6detail17trampoline_kernelINS0_13select_configILj256ELj13ELNS0_17block_load_methodE3ELS4_3ELS4_3ELNS0_20block_scan_algorithmE0ELj4294967295EEENS1_25partition_config_selectorILNS1_17partition_subalgoE4EjNS0_10empty_typeEbEEZZNS1_14partition_implILS8_4ELb0ES6_15HIP_vector_typeIjLj2EENS0_17counting_iteratorIjlEEPS9_SG_NS0_5tupleIJPjSI_NS0_16reverse_iteratorISI_EEEEENSH_IJSG_SG_SG_EEES9_SI_JZNS1_25segmented_radix_sort_implINS0_14default_configELb1EPKiPiPKlPlN2at6native12_GLOBAL__N_18offset_tEEE10hipError_tPvRmT1_PNSt15iterator_traitsIS12_E10value_typeET2_T3_PNS13_IS18_E10value_typeET4_jRbjT5_S1E_jjP12ihipStream_tbEUljE_ZNSN_ISO_Lb1ESQ_SR_ST_SU_SY_EESZ_S10_S11_S12_S16_S17_S18_S1B_S1C_jS1D_jS1E_S1E_jjS1G_bEUljE0_EEESZ_S10_S11_S18_S1C_S1E_T6_T7_T9_mT8_S1G_bDpT10_ENKUlT_T0_E_clISt17integral_constantIbLb0EES1T_IbLb1EEEEDaS1P_S1Q_EUlS1P_E_NS1_11comp_targetILNS1_3genE3ELNS1_11target_archE908ELNS1_3gpuE7ELNS1_3repE0EEENS1_30default_config_static_selectorELNS0_4arch9wavefront6targetE1EEEvS12_,comdat
	.globl	_ZN7rocprim17ROCPRIM_400000_NS6detail17trampoline_kernelINS0_13select_configILj256ELj13ELNS0_17block_load_methodE3ELS4_3ELS4_3ELNS0_20block_scan_algorithmE0ELj4294967295EEENS1_25partition_config_selectorILNS1_17partition_subalgoE4EjNS0_10empty_typeEbEEZZNS1_14partition_implILS8_4ELb0ES6_15HIP_vector_typeIjLj2EENS0_17counting_iteratorIjlEEPS9_SG_NS0_5tupleIJPjSI_NS0_16reverse_iteratorISI_EEEEENSH_IJSG_SG_SG_EEES9_SI_JZNS1_25segmented_radix_sort_implINS0_14default_configELb1EPKiPiPKlPlN2at6native12_GLOBAL__N_18offset_tEEE10hipError_tPvRmT1_PNSt15iterator_traitsIS12_E10value_typeET2_T3_PNS13_IS18_E10value_typeET4_jRbjT5_S1E_jjP12ihipStream_tbEUljE_ZNSN_ISO_Lb1ESQ_SR_ST_SU_SY_EESZ_S10_S11_S12_S16_S17_S18_S1B_S1C_jS1D_jS1E_S1E_jjS1G_bEUljE0_EEESZ_S10_S11_S18_S1C_S1E_T6_T7_T9_mT8_S1G_bDpT10_ENKUlT_T0_E_clISt17integral_constantIbLb0EES1T_IbLb1EEEEDaS1P_S1Q_EUlS1P_E_NS1_11comp_targetILNS1_3genE3ELNS1_11target_archE908ELNS1_3gpuE7ELNS1_3repE0EEENS1_30default_config_static_selectorELNS0_4arch9wavefront6targetE1EEEvS12_ ; -- Begin function _ZN7rocprim17ROCPRIM_400000_NS6detail17trampoline_kernelINS0_13select_configILj256ELj13ELNS0_17block_load_methodE3ELS4_3ELS4_3ELNS0_20block_scan_algorithmE0ELj4294967295EEENS1_25partition_config_selectorILNS1_17partition_subalgoE4EjNS0_10empty_typeEbEEZZNS1_14partition_implILS8_4ELb0ES6_15HIP_vector_typeIjLj2EENS0_17counting_iteratorIjlEEPS9_SG_NS0_5tupleIJPjSI_NS0_16reverse_iteratorISI_EEEEENSH_IJSG_SG_SG_EEES9_SI_JZNS1_25segmented_radix_sort_implINS0_14default_configELb1EPKiPiPKlPlN2at6native12_GLOBAL__N_18offset_tEEE10hipError_tPvRmT1_PNSt15iterator_traitsIS12_E10value_typeET2_T3_PNS13_IS18_E10value_typeET4_jRbjT5_S1E_jjP12ihipStream_tbEUljE_ZNSN_ISO_Lb1ESQ_SR_ST_SU_SY_EESZ_S10_S11_S12_S16_S17_S18_S1B_S1C_jS1D_jS1E_S1E_jjS1G_bEUljE0_EEESZ_S10_S11_S18_S1C_S1E_T6_T7_T9_mT8_S1G_bDpT10_ENKUlT_T0_E_clISt17integral_constantIbLb0EES1T_IbLb1EEEEDaS1P_S1Q_EUlS1P_E_NS1_11comp_targetILNS1_3genE3ELNS1_11target_archE908ELNS1_3gpuE7ELNS1_3repE0EEENS1_30default_config_static_selectorELNS0_4arch9wavefront6targetE1EEEvS12_
	.p2align	8
	.type	_ZN7rocprim17ROCPRIM_400000_NS6detail17trampoline_kernelINS0_13select_configILj256ELj13ELNS0_17block_load_methodE3ELS4_3ELS4_3ELNS0_20block_scan_algorithmE0ELj4294967295EEENS1_25partition_config_selectorILNS1_17partition_subalgoE4EjNS0_10empty_typeEbEEZZNS1_14partition_implILS8_4ELb0ES6_15HIP_vector_typeIjLj2EENS0_17counting_iteratorIjlEEPS9_SG_NS0_5tupleIJPjSI_NS0_16reverse_iteratorISI_EEEEENSH_IJSG_SG_SG_EEES9_SI_JZNS1_25segmented_radix_sort_implINS0_14default_configELb1EPKiPiPKlPlN2at6native12_GLOBAL__N_18offset_tEEE10hipError_tPvRmT1_PNSt15iterator_traitsIS12_E10value_typeET2_T3_PNS13_IS18_E10value_typeET4_jRbjT5_S1E_jjP12ihipStream_tbEUljE_ZNSN_ISO_Lb1ESQ_SR_ST_SU_SY_EESZ_S10_S11_S12_S16_S17_S18_S1B_S1C_jS1D_jS1E_S1E_jjS1G_bEUljE0_EEESZ_S10_S11_S18_S1C_S1E_T6_T7_T9_mT8_S1G_bDpT10_ENKUlT_T0_E_clISt17integral_constantIbLb0EES1T_IbLb1EEEEDaS1P_S1Q_EUlS1P_E_NS1_11comp_targetILNS1_3genE3ELNS1_11target_archE908ELNS1_3gpuE7ELNS1_3repE0EEENS1_30default_config_static_selectorELNS0_4arch9wavefront6targetE1EEEvS12_,@function
_ZN7rocprim17ROCPRIM_400000_NS6detail17trampoline_kernelINS0_13select_configILj256ELj13ELNS0_17block_load_methodE3ELS4_3ELS4_3ELNS0_20block_scan_algorithmE0ELj4294967295EEENS1_25partition_config_selectorILNS1_17partition_subalgoE4EjNS0_10empty_typeEbEEZZNS1_14partition_implILS8_4ELb0ES6_15HIP_vector_typeIjLj2EENS0_17counting_iteratorIjlEEPS9_SG_NS0_5tupleIJPjSI_NS0_16reverse_iteratorISI_EEEEENSH_IJSG_SG_SG_EEES9_SI_JZNS1_25segmented_radix_sort_implINS0_14default_configELb1EPKiPiPKlPlN2at6native12_GLOBAL__N_18offset_tEEE10hipError_tPvRmT1_PNSt15iterator_traitsIS12_E10value_typeET2_T3_PNS13_IS18_E10value_typeET4_jRbjT5_S1E_jjP12ihipStream_tbEUljE_ZNSN_ISO_Lb1ESQ_SR_ST_SU_SY_EESZ_S10_S11_S12_S16_S17_S18_S1B_S1C_jS1D_jS1E_S1E_jjS1G_bEUljE0_EEESZ_S10_S11_S18_S1C_S1E_T6_T7_T9_mT8_S1G_bDpT10_ENKUlT_T0_E_clISt17integral_constantIbLb0EES1T_IbLb1EEEEDaS1P_S1Q_EUlS1P_E_NS1_11comp_targetILNS1_3genE3ELNS1_11target_archE908ELNS1_3gpuE7ELNS1_3repE0EEENS1_30default_config_static_selectorELNS0_4arch9wavefront6targetE1EEEvS12_: ; @_ZN7rocprim17ROCPRIM_400000_NS6detail17trampoline_kernelINS0_13select_configILj256ELj13ELNS0_17block_load_methodE3ELS4_3ELS4_3ELNS0_20block_scan_algorithmE0ELj4294967295EEENS1_25partition_config_selectorILNS1_17partition_subalgoE4EjNS0_10empty_typeEbEEZZNS1_14partition_implILS8_4ELb0ES6_15HIP_vector_typeIjLj2EENS0_17counting_iteratorIjlEEPS9_SG_NS0_5tupleIJPjSI_NS0_16reverse_iteratorISI_EEEEENSH_IJSG_SG_SG_EEES9_SI_JZNS1_25segmented_radix_sort_implINS0_14default_configELb1EPKiPiPKlPlN2at6native12_GLOBAL__N_18offset_tEEE10hipError_tPvRmT1_PNSt15iterator_traitsIS12_E10value_typeET2_T3_PNS13_IS18_E10value_typeET4_jRbjT5_S1E_jjP12ihipStream_tbEUljE_ZNSN_ISO_Lb1ESQ_SR_ST_SU_SY_EESZ_S10_S11_S12_S16_S17_S18_S1B_S1C_jS1D_jS1E_S1E_jjS1G_bEUljE0_EEESZ_S10_S11_S18_S1C_S1E_T6_T7_T9_mT8_S1G_bDpT10_ENKUlT_T0_E_clISt17integral_constantIbLb0EES1T_IbLb1EEEEDaS1P_S1Q_EUlS1P_E_NS1_11comp_targetILNS1_3genE3ELNS1_11target_archE908ELNS1_3gpuE7ELNS1_3repE0EEENS1_30default_config_static_selectorELNS0_4arch9wavefront6targetE1EEEvS12_
; %bb.0:
	.section	.rodata,"a",@progbits
	.p2align	6, 0x0
	.amdhsa_kernel _ZN7rocprim17ROCPRIM_400000_NS6detail17trampoline_kernelINS0_13select_configILj256ELj13ELNS0_17block_load_methodE3ELS4_3ELS4_3ELNS0_20block_scan_algorithmE0ELj4294967295EEENS1_25partition_config_selectorILNS1_17partition_subalgoE4EjNS0_10empty_typeEbEEZZNS1_14partition_implILS8_4ELb0ES6_15HIP_vector_typeIjLj2EENS0_17counting_iteratorIjlEEPS9_SG_NS0_5tupleIJPjSI_NS0_16reverse_iteratorISI_EEEEENSH_IJSG_SG_SG_EEES9_SI_JZNS1_25segmented_radix_sort_implINS0_14default_configELb1EPKiPiPKlPlN2at6native12_GLOBAL__N_18offset_tEEE10hipError_tPvRmT1_PNSt15iterator_traitsIS12_E10value_typeET2_T3_PNS13_IS18_E10value_typeET4_jRbjT5_S1E_jjP12ihipStream_tbEUljE_ZNSN_ISO_Lb1ESQ_SR_ST_SU_SY_EESZ_S10_S11_S12_S16_S17_S18_S1B_S1C_jS1D_jS1E_S1E_jjS1G_bEUljE0_EEESZ_S10_S11_S18_S1C_S1E_T6_T7_T9_mT8_S1G_bDpT10_ENKUlT_T0_E_clISt17integral_constantIbLb0EES1T_IbLb1EEEEDaS1P_S1Q_EUlS1P_E_NS1_11comp_targetILNS1_3genE3ELNS1_11target_archE908ELNS1_3gpuE7ELNS1_3repE0EEENS1_30default_config_static_selectorELNS0_4arch9wavefront6targetE1EEEvS12_
		.amdhsa_group_segment_fixed_size 0
		.amdhsa_private_segment_fixed_size 0
		.amdhsa_kernarg_size 184
		.amdhsa_user_sgpr_count 6
		.amdhsa_user_sgpr_private_segment_buffer 1
		.amdhsa_user_sgpr_dispatch_ptr 0
		.amdhsa_user_sgpr_queue_ptr 0
		.amdhsa_user_sgpr_kernarg_segment_ptr 1
		.amdhsa_user_sgpr_dispatch_id 0
		.amdhsa_user_sgpr_flat_scratch_init 0
		.amdhsa_user_sgpr_private_segment_size 0
		.amdhsa_uses_dynamic_stack 0
		.amdhsa_system_sgpr_private_segment_wavefront_offset 0
		.amdhsa_system_sgpr_workgroup_id_x 1
		.amdhsa_system_sgpr_workgroup_id_y 0
		.amdhsa_system_sgpr_workgroup_id_z 0
		.amdhsa_system_sgpr_workgroup_info 0
		.amdhsa_system_vgpr_workitem_id 0
		.amdhsa_next_free_vgpr 1
		.amdhsa_next_free_sgpr 0
		.amdhsa_reserve_vcc 0
		.amdhsa_reserve_flat_scratch 0
		.amdhsa_float_round_mode_32 0
		.amdhsa_float_round_mode_16_64 0
		.amdhsa_float_denorm_mode_32 3
		.amdhsa_float_denorm_mode_16_64 3
		.amdhsa_dx10_clamp 1
		.amdhsa_ieee_mode 1
		.amdhsa_fp16_overflow 0
		.amdhsa_exception_fp_ieee_invalid_op 0
		.amdhsa_exception_fp_denorm_src 0
		.amdhsa_exception_fp_ieee_div_zero 0
		.amdhsa_exception_fp_ieee_overflow 0
		.amdhsa_exception_fp_ieee_underflow 0
		.amdhsa_exception_fp_ieee_inexact 0
		.amdhsa_exception_int_div_zero 0
	.end_amdhsa_kernel
	.section	.text._ZN7rocprim17ROCPRIM_400000_NS6detail17trampoline_kernelINS0_13select_configILj256ELj13ELNS0_17block_load_methodE3ELS4_3ELS4_3ELNS0_20block_scan_algorithmE0ELj4294967295EEENS1_25partition_config_selectorILNS1_17partition_subalgoE4EjNS0_10empty_typeEbEEZZNS1_14partition_implILS8_4ELb0ES6_15HIP_vector_typeIjLj2EENS0_17counting_iteratorIjlEEPS9_SG_NS0_5tupleIJPjSI_NS0_16reverse_iteratorISI_EEEEENSH_IJSG_SG_SG_EEES9_SI_JZNS1_25segmented_radix_sort_implINS0_14default_configELb1EPKiPiPKlPlN2at6native12_GLOBAL__N_18offset_tEEE10hipError_tPvRmT1_PNSt15iterator_traitsIS12_E10value_typeET2_T3_PNS13_IS18_E10value_typeET4_jRbjT5_S1E_jjP12ihipStream_tbEUljE_ZNSN_ISO_Lb1ESQ_SR_ST_SU_SY_EESZ_S10_S11_S12_S16_S17_S18_S1B_S1C_jS1D_jS1E_S1E_jjS1G_bEUljE0_EEESZ_S10_S11_S18_S1C_S1E_T6_T7_T9_mT8_S1G_bDpT10_ENKUlT_T0_E_clISt17integral_constantIbLb0EES1T_IbLb1EEEEDaS1P_S1Q_EUlS1P_E_NS1_11comp_targetILNS1_3genE3ELNS1_11target_archE908ELNS1_3gpuE7ELNS1_3repE0EEENS1_30default_config_static_selectorELNS0_4arch9wavefront6targetE1EEEvS12_,"axG",@progbits,_ZN7rocprim17ROCPRIM_400000_NS6detail17trampoline_kernelINS0_13select_configILj256ELj13ELNS0_17block_load_methodE3ELS4_3ELS4_3ELNS0_20block_scan_algorithmE0ELj4294967295EEENS1_25partition_config_selectorILNS1_17partition_subalgoE4EjNS0_10empty_typeEbEEZZNS1_14partition_implILS8_4ELb0ES6_15HIP_vector_typeIjLj2EENS0_17counting_iteratorIjlEEPS9_SG_NS0_5tupleIJPjSI_NS0_16reverse_iteratorISI_EEEEENSH_IJSG_SG_SG_EEES9_SI_JZNS1_25segmented_radix_sort_implINS0_14default_configELb1EPKiPiPKlPlN2at6native12_GLOBAL__N_18offset_tEEE10hipError_tPvRmT1_PNSt15iterator_traitsIS12_E10value_typeET2_T3_PNS13_IS18_E10value_typeET4_jRbjT5_S1E_jjP12ihipStream_tbEUljE_ZNSN_ISO_Lb1ESQ_SR_ST_SU_SY_EESZ_S10_S11_S12_S16_S17_S18_S1B_S1C_jS1D_jS1E_S1E_jjS1G_bEUljE0_EEESZ_S10_S11_S18_S1C_S1E_T6_T7_T9_mT8_S1G_bDpT10_ENKUlT_T0_E_clISt17integral_constantIbLb0EES1T_IbLb1EEEEDaS1P_S1Q_EUlS1P_E_NS1_11comp_targetILNS1_3genE3ELNS1_11target_archE908ELNS1_3gpuE7ELNS1_3repE0EEENS1_30default_config_static_selectorELNS0_4arch9wavefront6targetE1EEEvS12_,comdat
.Lfunc_end460:
	.size	_ZN7rocprim17ROCPRIM_400000_NS6detail17trampoline_kernelINS0_13select_configILj256ELj13ELNS0_17block_load_methodE3ELS4_3ELS4_3ELNS0_20block_scan_algorithmE0ELj4294967295EEENS1_25partition_config_selectorILNS1_17partition_subalgoE4EjNS0_10empty_typeEbEEZZNS1_14partition_implILS8_4ELb0ES6_15HIP_vector_typeIjLj2EENS0_17counting_iteratorIjlEEPS9_SG_NS0_5tupleIJPjSI_NS0_16reverse_iteratorISI_EEEEENSH_IJSG_SG_SG_EEES9_SI_JZNS1_25segmented_radix_sort_implINS0_14default_configELb1EPKiPiPKlPlN2at6native12_GLOBAL__N_18offset_tEEE10hipError_tPvRmT1_PNSt15iterator_traitsIS12_E10value_typeET2_T3_PNS13_IS18_E10value_typeET4_jRbjT5_S1E_jjP12ihipStream_tbEUljE_ZNSN_ISO_Lb1ESQ_SR_ST_SU_SY_EESZ_S10_S11_S12_S16_S17_S18_S1B_S1C_jS1D_jS1E_S1E_jjS1G_bEUljE0_EEESZ_S10_S11_S18_S1C_S1E_T6_T7_T9_mT8_S1G_bDpT10_ENKUlT_T0_E_clISt17integral_constantIbLb0EES1T_IbLb1EEEEDaS1P_S1Q_EUlS1P_E_NS1_11comp_targetILNS1_3genE3ELNS1_11target_archE908ELNS1_3gpuE7ELNS1_3repE0EEENS1_30default_config_static_selectorELNS0_4arch9wavefront6targetE1EEEvS12_, .Lfunc_end460-_ZN7rocprim17ROCPRIM_400000_NS6detail17trampoline_kernelINS0_13select_configILj256ELj13ELNS0_17block_load_methodE3ELS4_3ELS4_3ELNS0_20block_scan_algorithmE0ELj4294967295EEENS1_25partition_config_selectorILNS1_17partition_subalgoE4EjNS0_10empty_typeEbEEZZNS1_14partition_implILS8_4ELb0ES6_15HIP_vector_typeIjLj2EENS0_17counting_iteratorIjlEEPS9_SG_NS0_5tupleIJPjSI_NS0_16reverse_iteratorISI_EEEEENSH_IJSG_SG_SG_EEES9_SI_JZNS1_25segmented_radix_sort_implINS0_14default_configELb1EPKiPiPKlPlN2at6native12_GLOBAL__N_18offset_tEEE10hipError_tPvRmT1_PNSt15iterator_traitsIS12_E10value_typeET2_T3_PNS13_IS18_E10value_typeET4_jRbjT5_S1E_jjP12ihipStream_tbEUljE_ZNSN_ISO_Lb1ESQ_SR_ST_SU_SY_EESZ_S10_S11_S12_S16_S17_S18_S1B_S1C_jS1D_jS1E_S1E_jjS1G_bEUljE0_EEESZ_S10_S11_S18_S1C_S1E_T6_T7_T9_mT8_S1G_bDpT10_ENKUlT_T0_E_clISt17integral_constantIbLb0EES1T_IbLb1EEEEDaS1P_S1Q_EUlS1P_E_NS1_11comp_targetILNS1_3genE3ELNS1_11target_archE908ELNS1_3gpuE7ELNS1_3repE0EEENS1_30default_config_static_selectorELNS0_4arch9wavefront6targetE1EEEvS12_
                                        ; -- End function
	.set _ZN7rocprim17ROCPRIM_400000_NS6detail17trampoline_kernelINS0_13select_configILj256ELj13ELNS0_17block_load_methodE3ELS4_3ELS4_3ELNS0_20block_scan_algorithmE0ELj4294967295EEENS1_25partition_config_selectorILNS1_17partition_subalgoE4EjNS0_10empty_typeEbEEZZNS1_14partition_implILS8_4ELb0ES6_15HIP_vector_typeIjLj2EENS0_17counting_iteratorIjlEEPS9_SG_NS0_5tupleIJPjSI_NS0_16reverse_iteratorISI_EEEEENSH_IJSG_SG_SG_EEES9_SI_JZNS1_25segmented_radix_sort_implINS0_14default_configELb1EPKiPiPKlPlN2at6native12_GLOBAL__N_18offset_tEEE10hipError_tPvRmT1_PNSt15iterator_traitsIS12_E10value_typeET2_T3_PNS13_IS18_E10value_typeET4_jRbjT5_S1E_jjP12ihipStream_tbEUljE_ZNSN_ISO_Lb1ESQ_SR_ST_SU_SY_EESZ_S10_S11_S12_S16_S17_S18_S1B_S1C_jS1D_jS1E_S1E_jjS1G_bEUljE0_EEESZ_S10_S11_S18_S1C_S1E_T6_T7_T9_mT8_S1G_bDpT10_ENKUlT_T0_E_clISt17integral_constantIbLb0EES1T_IbLb1EEEEDaS1P_S1Q_EUlS1P_E_NS1_11comp_targetILNS1_3genE3ELNS1_11target_archE908ELNS1_3gpuE7ELNS1_3repE0EEENS1_30default_config_static_selectorELNS0_4arch9wavefront6targetE1EEEvS12_.num_vgpr, 0
	.set _ZN7rocprim17ROCPRIM_400000_NS6detail17trampoline_kernelINS0_13select_configILj256ELj13ELNS0_17block_load_methodE3ELS4_3ELS4_3ELNS0_20block_scan_algorithmE0ELj4294967295EEENS1_25partition_config_selectorILNS1_17partition_subalgoE4EjNS0_10empty_typeEbEEZZNS1_14partition_implILS8_4ELb0ES6_15HIP_vector_typeIjLj2EENS0_17counting_iteratorIjlEEPS9_SG_NS0_5tupleIJPjSI_NS0_16reverse_iteratorISI_EEEEENSH_IJSG_SG_SG_EEES9_SI_JZNS1_25segmented_radix_sort_implINS0_14default_configELb1EPKiPiPKlPlN2at6native12_GLOBAL__N_18offset_tEEE10hipError_tPvRmT1_PNSt15iterator_traitsIS12_E10value_typeET2_T3_PNS13_IS18_E10value_typeET4_jRbjT5_S1E_jjP12ihipStream_tbEUljE_ZNSN_ISO_Lb1ESQ_SR_ST_SU_SY_EESZ_S10_S11_S12_S16_S17_S18_S1B_S1C_jS1D_jS1E_S1E_jjS1G_bEUljE0_EEESZ_S10_S11_S18_S1C_S1E_T6_T7_T9_mT8_S1G_bDpT10_ENKUlT_T0_E_clISt17integral_constantIbLb0EES1T_IbLb1EEEEDaS1P_S1Q_EUlS1P_E_NS1_11comp_targetILNS1_3genE3ELNS1_11target_archE908ELNS1_3gpuE7ELNS1_3repE0EEENS1_30default_config_static_selectorELNS0_4arch9wavefront6targetE1EEEvS12_.num_agpr, 0
	.set _ZN7rocprim17ROCPRIM_400000_NS6detail17trampoline_kernelINS0_13select_configILj256ELj13ELNS0_17block_load_methodE3ELS4_3ELS4_3ELNS0_20block_scan_algorithmE0ELj4294967295EEENS1_25partition_config_selectorILNS1_17partition_subalgoE4EjNS0_10empty_typeEbEEZZNS1_14partition_implILS8_4ELb0ES6_15HIP_vector_typeIjLj2EENS0_17counting_iteratorIjlEEPS9_SG_NS0_5tupleIJPjSI_NS0_16reverse_iteratorISI_EEEEENSH_IJSG_SG_SG_EEES9_SI_JZNS1_25segmented_radix_sort_implINS0_14default_configELb1EPKiPiPKlPlN2at6native12_GLOBAL__N_18offset_tEEE10hipError_tPvRmT1_PNSt15iterator_traitsIS12_E10value_typeET2_T3_PNS13_IS18_E10value_typeET4_jRbjT5_S1E_jjP12ihipStream_tbEUljE_ZNSN_ISO_Lb1ESQ_SR_ST_SU_SY_EESZ_S10_S11_S12_S16_S17_S18_S1B_S1C_jS1D_jS1E_S1E_jjS1G_bEUljE0_EEESZ_S10_S11_S18_S1C_S1E_T6_T7_T9_mT8_S1G_bDpT10_ENKUlT_T0_E_clISt17integral_constantIbLb0EES1T_IbLb1EEEEDaS1P_S1Q_EUlS1P_E_NS1_11comp_targetILNS1_3genE3ELNS1_11target_archE908ELNS1_3gpuE7ELNS1_3repE0EEENS1_30default_config_static_selectorELNS0_4arch9wavefront6targetE1EEEvS12_.numbered_sgpr, 0
	.set _ZN7rocprim17ROCPRIM_400000_NS6detail17trampoline_kernelINS0_13select_configILj256ELj13ELNS0_17block_load_methodE3ELS4_3ELS4_3ELNS0_20block_scan_algorithmE0ELj4294967295EEENS1_25partition_config_selectorILNS1_17partition_subalgoE4EjNS0_10empty_typeEbEEZZNS1_14partition_implILS8_4ELb0ES6_15HIP_vector_typeIjLj2EENS0_17counting_iteratorIjlEEPS9_SG_NS0_5tupleIJPjSI_NS0_16reverse_iteratorISI_EEEEENSH_IJSG_SG_SG_EEES9_SI_JZNS1_25segmented_radix_sort_implINS0_14default_configELb1EPKiPiPKlPlN2at6native12_GLOBAL__N_18offset_tEEE10hipError_tPvRmT1_PNSt15iterator_traitsIS12_E10value_typeET2_T3_PNS13_IS18_E10value_typeET4_jRbjT5_S1E_jjP12ihipStream_tbEUljE_ZNSN_ISO_Lb1ESQ_SR_ST_SU_SY_EESZ_S10_S11_S12_S16_S17_S18_S1B_S1C_jS1D_jS1E_S1E_jjS1G_bEUljE0_EEESZ_S10_S11_S18_S1C_S1E_T6_T7_T9_mT8_S1G_bDpT10_ENKUlT_T0_E_clISt17integral_constantIbLb0EES1T_IbLb1EEEEDaS1P_S1Q_EUlS1P_E_NS1_11comp_targetILNS1_3genE3ELNS1_11target_archE908ELNS1_3gpuE7ELNS1_3repE0EEENS1_30default_config_static_selectorELNS0_4arch9wavefront6targetE1EEEvS12_.num_named_barrier, 0
	.set _ZN7rocprim17ROCPRIM_400000_NS6detail17trampoline_kernelINS0_13select_configILj256ELj13ELNS0_17block_load_methodE3ELS4_3ELS4_3ELNS0_20block_scan_algorithmE0ELj4294967295EEENS1_25partition_config_selectorILNS1_17partition_subalgoE4EjNS0_10empty_typeEbEEZZNS1_14partition_implILS8_4ELb0ES6_15HIP_vector_typeIjLj2EENS0_17counting_iteratorIjlEEPS9_SG_NS0_5tupleIJPjSI_NS0_16reverse_iteratorISI_EEEEENSH_IJSG_SG_SG_EEES9_SI_JZNS1_25segmented_radix_sort_implINS0_14default_configELb1EPKiPiPKlPlN2at6native12_GLOBAL__N_18offset_tEEE10hipError_tPvRmT1_PNSt15iterator_traitsIS12_E10value_typeET2_T3_PNS13_IS18_E10value_typeET4_jRbjT5_S1E_jjP12ihipStream_tbEUljE_ZNSN_ISO_Lb1ESQ_SR_ST_SU_SY_EESZ_S10_S11_S12_S16_S17_S18_S1B_S1C_jS1D_jS1E_S1E_jjS1G_bEUljE0_EEESZ_S10_S11_S18_S1C_S1E_T6_T7_T9_mT8_S1G_bDpT10_ENKUlT_T0_E_clISt17integral_constantIbLb0EES1T_IbLb1EEEEDaS1P_S1Q_EUlS1P_E_NS1_11comp_targetILNS1_3genE3ELNS1_11target_archE908ELNS1_3gpuE7ELNS1_3repE0EEENS1_30default_config_static_selectorELNS0_4arch9wavefront6targetE1EEEvS12_.private_seg_size, 0
	.set _ZN7rocprim17ROCPRIM_400000_NS6detail17trampoline_kernelINS0_13select_configILj256ELj13ELNS0_17block_load_methodE3ELS4_3ELS4_3ELNS0_20block_scan_algorithmE0ELj4294967295EEENS1_25partition_config_selectorILNS1_17partition_subalgoE4EjNS0_10empty_typeEbEEZZNS1_14partition_implILS8_4ELb0ES6_15HIP_vector_typeIjLj2EENS0_17counting_iteratorIjlEEPS9_SG_NS0_5tupleIJPjSI_NS0_16reverse_iteratorISI_EEEEENSH_IJSG_SG_SG_EEES9_SI_JZNS1_25segmented_radix_sort_implINS0_14default_configELb1EPKiPiPKlPlN2at6native12_GLOBAL__N_18offset_tEEE10hipError_tPvRmT1_PNSt15iterator_traitsIS12_E10value_typeET2_T3_PNS13_IS18_E10value_typeET4_jRbjT5_S1E_jjP12ihipStream_tbEUljE_ZNSN_ISO_Lb1ESQ_SR_ST_SU_SY_EESZ_S10_S11_S12_S16_S17_S18_S1B_S1C_jS1D_jS1E_S1E_jjS1G_bEUljE0_EEESZ_S10_S11_S18_S1C_S1E_T6_T7_T9_mT8_S1G_bDpT10_ENKUlT_T0_E_clISt17integral_constantIbLb0EES1T_IbLb1EEEEDaS1P_S1Q_EUlS1P_E_NS1_11comp_targetILNS1_3genE3ELNS1_11target_archE908ELNS1_3gpuE7ELNS1_3repE0EEENS1_30default_config_static_selectorELNS0_4arch9wavefront6targetE1EEEvS12_.uses_vcc, 0
	.set _ZN7rocprim17ROCPRIM_400000_NS6detail17trampoline_kernelINS0_13select_configILj256ELj13ELNS0_17block_load_methodE3ELS4_3ELS4_3ELNS0_20block_scan_algorithmE0ELj4294967295EEENS1_25partition_config_selectorILNS1_17partition_subalgoE4EjNS0_10empty_typeEbEEZZNS1_14partition_implILS8_4ELb0ES6_15HIP_vector_typeIjLj2EENS0_17counting_iteratorIjlEEPS9_SG_NS0_5tupleIJPjSI_NS0_16reverse_iteratorISI_EEEEENSH_IJSG_SG_SG_EEES9_SI_JZNS1_25segmented_radix_sort_implINS0_14default_configELb1EPKiPiPKlPlN2at6native12_GLOBAL__N_18offset_tEEE10hipError_tPvRmT1_PNSt15iterator_traitsIS12_E10value_typeET2_T3_PNS13_IS18_E10value_typeET4_jRbjT5_S1E_jjP12ihipStream_tbEUljE_ZNSN_ISO_Lb1ESQ_SR_ST_SU_SY_EESZ_S10_S11_S12_S16_S17_S18_S1B_S1C_jS1D_jS1E_S1E_jjS1G_bEUljE0_EEESZ_S10_S11_S18_S1C_S1E_T6_T7_T9_mT8_S1G_bDpT10_ENKUlT_T0_E_clISt17integral_constantIbLb0EES1T_IbLb1EEEEDaS1P_S1Q_EUlS1P_E_NS1_11comp_targetILNS1_3genE3ELNS1_11target_archE908ELNS1_3gpuE7ELNS1_3repE0EEENS1_30default_config_static_selectorELNS0_4arch9wavefront6targetE1EEEvS12_.uses_flat_scratch, 0
	.set _ZN7rocprim17ROCPRIM_400000_NS6detail17trampoline_kernelINS0_13select_configILj256ELj13ELNS0_17block_load_methodE3ELS4_3ELS4_3ELNS0_20block_scan_algorithmE0ELj4294967295EEENS1_25partition_config_selectorILNS1_17partition_subalgoE4EjNS0_10empty_typeEbEEZZNS1_14partition_implILS8_4ELb0ES6_15HIP_vector_typeIjLj2EENS0_17counting_iteratorIjlEEPS9_SG_NS0_5tupleIJPjSI_NS0_16reverse_iteratorISI_EEEEENSH_IJSG_SG_SG_EEES9_SI_JZNS1_25segmented_radix_sort_implINS0_14default_configELb1EPKiPiPKlPlN2at6native12_GLOBAL__N_18offset_tEEE10hipError_tPvRmT1_PNSt15iterator_traitsIS12_E10value_typeET2_T3_PNS13_IS18_E10value_typeET4_jRbjT5_S1E_jjP12ihipStream_tbEUljE_ZNSN_ISO_Lb1ESQ_SR_ST_SU_SY_EESZ_S10_S11_S12_S16_S17_S18_S1B_S1C_jS1D_jS1E_S1E_jjS1G_bEUljE0_EEESZ_S10_S11_S18_S1C_S1E_T6_T7_T9_mT8_S1G_bDpT10_ENKUlT_T0_E_clISt17integral_constantIbLb0EES1T_IbLb1EEEEDaS1P_S1Q_EUlS1P_E_NS1_11comp_targetILNS1_3genE3ELNS1_11target_archE908ELNS1_3gpuE7ELNS1_3repE0EEENS1_30default_config_static_selectorELNS0_4arch9wavefront6targetE1EEEvS12_.has_dyn_sized_stack, 0
	.set _ZN7rocprim17ROCPRIM_400000_NS6detail17trampoline_kernelINS0_13select_configILj256ELj13ELNS0_17block_load_methodE3ELS4_3ELS4_3ELNS0_20block_scan_algorithmE0ELj4294967295EEENS1_25partition_config_selectorILNS1_17partition_subalgoE4EjNS0_10empty_typeEbEEZZNS1_14partition_implILS8_4ELb0ES6_15HIP_vector_typeIjLj2EENS0_17counting_iteratorIjlEEPS9_SG_NS0_5tupleIJPjSI_NS0_16reverse_iteratorISI_EEEEENSH_IJSG_SG_SG_EEES9_SI_JZNS1_25segmented_radix_sort_implINS0_14default_configELb1EPKiPiPKlPlN2at6native12_GLOBAL__N_18offset_tEEE10hipError_tPvRmT1_PNSt15iterator_traitsIS12_E10value_typeET2_T3_PNS13_IS18_E10value_typeET4_jRbjT5_S1E_jjP12ihipStream_tbEUljE_ZNSN_ISO_Lb1ESQ_SR_ST_SU_SY_EESZ_S10_S11_S12_S16_S17_S18_S1B_S1C_jS1D_jS1E_S1E_jjS1G_bEUljE0_EEESZ_S10_S11_S18_S1C_S1E_T6_T7_T9_mT8_S1G_bDpT10_ENKUlT_T0_E_clISt17integral_constantIbLb0EES1T_IbLb1EEEEDaS1P_S1Q_EUlS1P_E_NS1_11comp_targetILNS1_3genE3ELNS1_11target_archE908ELNS1_3gpuE7ELNS1_3repE0EEENS1_30default_config_static_selectorELNS0_4arch9wavefront6targetE1EEEvS12_.has_recursion, 0
	.set _ZN7rocprim17ROCPRIM_400000_NS6detail17trampoline_kernelINS0_13select_configILj256ELj13ELNS0_17block_load_methodE3ELS4_3ELS4_3ELNS0_20block_scan_algorithmE0ELj4294967295EEENS1_25partition_config_selectorILNS1_17partition_subalgoE4EjNS0_10empty_typeEbEEZZNS1_14partition_implILS8_4ELb0ES6_15HIP_vector_typeIjLj2EENS0_17counting_iteratorIjlEEPS9_SG_NS0_5tupleIJPjSI_NS0_16reverse_iteratorISI_EEEEENSH_IJSG_SG_SG_EEES9_SI_JZNS1_25segmented_radix_sort_implINS0_14default_configELb1EPKiPiPKlPlN2at6native12_GLOBAL__N_18offset_tEEE10hipError_tPvRmT1_PNSt15iterator_traitsIS12_E10value_typeET2_T3_PNS13_IS18_E10value_typeET4_jRbjT5_S1E_jjP12ihipStream_tbEUljE_ZNSN_ISO_Lb1ESQ_SR_ST_SU_SY_EESZ_S10_S11_S12_S16_S17_S18_S1B_S1C_jS1D_jS1E_S1E_jjS1G_bEUljE0_EEESZ_S10_S11_S18_S1C_S1E_T6_T7_T9_mT8_S1G_bDpT10_ENKUlT_T0_E_clISt17integral_constantIbLb0EES1T_IbLb1EEEEDaS1P_S1Q_EUlS1P_E_NS1_11comp_targetILNS1_3genE3ELNS1_11target_archE908ELNS1_3gpuE7ELNS1_3repE0EEENS1_30default_config_static_selectorELNS0_4arch9wavefront6targetE1EEEvS12_.has_indirect_call, 0
	.section	.AMDGPU.csdata,"",@progbits
; Kernel info:
; codeLenInByte = 0
; TotalNumSgprs: 4
; NumVgprs: 0
; ScratchSize: 0
; MemoryBound: 0
; FloatMode: 240
; IeeeMode: 1
; LDSByteSize: 0 bytes/workgroup (compile time only)
; SGPRBlocks: 0
; VGPRBlocks: 0
; NumSGPRsForWavesPerEU: 4
; NumVGPRsForWavesPerEU: 1
; Occupancy: 10
; WaveLimiterHint : 0
; COMPUTE_PGM_RSRC2:SCRATCH_EN: 0
; COMPUTE_PGM_RSRC2:USER_SGPR: 6
; COMPUTE_PGM_RSRC2:TRAP_HANDLER: 0
; COMPUTE_PGM_RSRC2:TGID_X_EN: 1
; COMPUTE_PGM_RSRC2:TGID_Y_EN: 0
; COMPUTE_PGM_RSRC2:TGID_Z_EN: 0
; COMPUTE_PGM_RSRC2:TIDIG_COMP_CNT: 0
	.section	.text._ZN7rocprim17ROCPRIM_400000_NS6detail17trampoline_kernelINS0_13select_configILj256ELj13ELNS0_17block_load_methodE3ELS4_3ELS4_3ELNS0_20block_scan_algorithmE0ELj4294967295EEENS1_25partition_config_selectorILNS1_17partition_subalgoE4EjNS0_10empty_typeEbEEZZNS1_14partition_implILS8_4ELb0ES6_15HIP_vector_typeIjLj2EENS0_17counting_iteratorIjlEEPS9_SG_NS0_5tupleIJPjSI_NS0_16reverse_iteratorISI_EEEEENSH_IJSG_SG_SG_EEES9_SI_JZNS1_25segmented_radix_sort_implINS0_14default_configELb1EPKiPiPKlPlN2at6native12_GLOBAL__N_18offset_tEEE10hipError_tPvRmT1_PNSt15iterator_traitsIS12_E10value_typeET2_T3_PNS13_IS18_E10value_typeET4_jRbjT5_S1E_jjP12ihipStream_tbEUljE_ZNSN_ISO_Lb1ESQ_SR_ST_SU_SY_EESZ_S10_S11_S12_S16_S17_S18_S1B_S1C_jS1D_jS1E_S1E_jjS1G_bEUljE0_EEESZ_S10_S11_S18_S1C_S1E_T6_T7_T9_mT8_S1G_bDpT10_ENKUlT_T0_E_clISt17integral_constantIbLb0EES1T_IbLb1EEEEDaS1P_S1Q_EUlS1P_E_NS1_11comp_targetILNS1_3genE2ELNS1_11target_archE906ELNS1_3gpuE6ELNS1_3repE0EEENS1_30default_config_static_selectorELNS0_4arch9wavefront6targetE1EEEvS12_,"axG",@progbits,_ZN7rocprim17ROCPRIM_400000_NS6detail17trampoline_kernelINS0_13select_configILj256ELj13ELNS0_17block_load_methodE3ELS4_3ELS4_3ELNS0_20block_scan_algorithmE0ELj4294967295EEENS1_25partition_config_selectorILNS1_17partition_subalgoE4EjNS0_10empty_typeEbEEZZNS1_14partition_implILS8_4ELb0ES6_15HIP_vector_typeIjLj2EENS0_17counting_iteratorIjlEEPS9_SG_NS0_5tupleIJPjSI_NS0_16reverse_iteratorISI_EEEEENSH_IJSG_SG_SG_EEES9_SI_JZNS1_25segmented_radix_sort_implINS0_14default_configELb1EPKiPiPKlPlN2at6native12_GLOBAL__N_18offset_tEEE10hipError_tPvRmT1_PNSt15iterator_traitsIS12_E10value_typeET2_T3_PNS13_IS18_E10value_typeET4_jRbjT5_S1E_jjP12ihipStream_tbEUljE_ZNSN_ISO_Lb1ESQ_SR_ST_SU_SY_EESZ_S10_S11_S12_S16_S17_S18_S1B_S1C_jS1D_jS1E_S1E_jjS1G_bEUljE0_EEESZ_S10_S11_S18_S1C_S1E_T6_T7_T9_mT8_S1G_bDpT10_ENKUlT_T0_E_clISt17integral_constantIbLb0EES1T_IbLb1EEEEDaS1P_S1Q_EUlS1P_E_NS1_11comp_targetILNS1_3genE2ELNS1_11target_archE906ELNS1_3gpuE6ELNS1_3repE0EEENS1_30default_config_static_selectorELNS0_4arch9wavefront6targetE1EEEvS12_,comdat
	.globl	_ZN7rocprim17ROCPRIM_400000_NS6detail17trampoline_kernelINS0_13select_configILj256ELj13ELNS0_17block_load_methodE3ELS4_3ELS4_3ELNS0_20block_scan_algorithmE0ELj4294967295EEENS1_25partition_config_selectorILNS1_17partition_subalgoE4EjNS0_10empty_typeEbEEZZNS1_14partition_implILS8_4ELb0ES6_15HIP_vector_typeIjLj2EENS0_17counting_iteratorIjlEEPS9_SG_NS0_5tupleIJPjSI_NS0_16reverse_iteratorISI_EEEEENSH_IJSG_SG_SG_EEES9_SI_JZNS1_25segmented_radix_sort_implINS0_14default_configELb1EPKiPiPKlPlN2at6native12_GLOBAL__N_18offset_tEEE10hipError_tPvRmT1_PNSt15iterator_traitsIS12_E10value_typeET2_T3_PNS13_IS18_E10value_typeET4_jRbjT5_S1E_jjP12ihipStream_tbEUljE_ZNSN_ISO_Lb1ESQ_SR_ST_SU_SY_EESZ_S10_S11_S12_S16_S17_S18_S1B_S1C_jS1D_jS1E_S1E_jjS1G_bEUljE0_EEESZ_S10_S11_S18_S1C_S1E_T6_T7_T9_mT8_S1G_bDpT10_ENKUlT_T0_E_clISt17integral_constantIbLb0EES1T_IbLb1EEEEDaS1P_S1Q_EUlS1P_E_NS1_11comp_targetILNS1_3genE2ELNS1_11target_archE906ELNS1_3gpuE6ELNS1_3repE0EEENS1_30default_config_static_selectorELNS0_4arch9wavefront6targetE1EEEvS12_ ; -- Begin function _ZN7rocprim17ROCPRIM_400000_NS6detail17trampoline_kernelINS0_13select_configILj256ELj13ELNS0_17block_load_methodE3ELS4_3ELS4_3ELNS0_20block_scan_algorithmE0ELj4294967295EEENS1_25partition_config_selectorILNS1_17partition_subalgoE4EjNS0_10empty_typeEbEEZZNS1_14partition_implILS8_4ELb0ES6_15HIP_vector_typeIjLj2EENS0_17counting_iteratorIjlEEPS9_SG_NS0_5tupleIJPjSI_NS0_16reverse_iteratorISI_EEEEENSH_IJSG_SG_SG_EEES9_SI_JZNS1_25segmented_radix_sort_implINS0_14default_configELb1EPKiPiPKlPlN2at6native12_GLOBAL__N_18offset_tEEE10hipError_tPvRmT1_PNSt15iterator_traitsIS12_E10value_typeET2_T3_PNS13_IS18_E10value_typeET4_jRbjT5_S1E_jjP12ihipStream_tbEUljE_ZNSN_ISO_Lb1ESQ_SR_ST_SU_SY_EESZ_S10_S11_S12_S16_S17_S18_S1B_S1C_jS1D_jS1E_S1E_jjS1G_bEUljE0_EEESZ_S10_S11_S18_S1C_S1E_T6_T7_T9_mT8_S1G_bDpT10_ENKUlT_T0_E_clISt17integral_constantIbLb0EES1T_IbLb1EEEEDaS1P_S1Q_EUlS1P_E_NS1_11comp_targetILNS1_3genE2ELNS1_11target_archE906ELNS1_3gpuE6ELNS1_3repE0EEENS1_30default_config_static_selectorELNS0_4arch9wavefront6targetE1EEEvS12_
	.p2align	8
	.type	_ZN7rocprim17ROCPRIM_400000_NS6detail17trampoline_kernelINS0_13select_configILj256ELj13ELNS0_17block_load_methodE3ELS4_3ELS4_3ELNS0_20block_scan_algorithmE0ELj4294967295EEENS1_25partition_config_selectorILNS1_17partition_subalgoE4EjNS0_10empty_typeEbEEZZNS1_14partition_implILS8_4ELb0ES6_15HIP_vector_typeIjLj2EENS0_17counting_iteratorIjlEEPS9_SG_NS0_5tupleIJPjSI_NS0_16reverse_iteratorISI_EEEEENSH_IJSG_SG_SG_EEES9_SI_JZNS1_25segmented_radix_sort_implINS0_14default_configELb1EPKiPiPKlPlN2at6native12_GLOBAL__N_18offset_tEEE10hipError_tPvRmT1_PNSt15iterator_traitsIS12_E10value_typeET2_T3_PNS13_IS18_E10value_typeET4_jRbjT5_S1E_jjP12ihipStream_tbEUljE_ZNSN_ISO_Lb1ESQ_SR_ST_SU_SY_EESZ_S10_S11_S12_S16_S17_S18_S1B_S1C_jS1D_jS1E_S1E_jjS1G_bEUljE0_EEESZ_S10_S11_S18_S1C_S1E_T6_T7_T9_mT8_S1G_bDpT10_ENKUlT_T0_E_clISt17integral_constantIbLb0EES1T_IbLb1EEEEDaS1P_S1Q_EUlS1P_E_NS1_11comp_targetILNS1_3genE2ELNS1_11target_archE906ELNS1_3gpuE6ELNS1_3repE0EEENS1_30default_config_static_selectorELNS0_4arch9wavefront6targetE1EEEvS12_,@function
_ZN7rocprim17ROCPRIM_400000_NS6detail17trampoline_kernelINS0_13select_configILj256ELj13ELNS0_17block_load_methodE3ELS4_3ELS4_3ELNS0_20block_scan_algorithmE0ELj4294967295EEENS1_25partition_config_selectorILNS1_17partition_subalgoE4EjNS0_10empty_typeEbEEZZNS1_14partition_implILS8_4ELb0ES6_15HIP_vector_typeIjLj2EENS0_17counting_iteratorIjlEEPS9_SG_NS0_5tupleIJPjSI_NS0_16reverse_iteratorISI_EEEEENSH_IJSG_SG_SG_EEES9_SI_JZNS1_25segmented_radix_sort_implINS0_14default_configELb1EPKiPiPKlPlN2at6native12_GLOBAL__N_18offset_tEEE10hipError_tPvRmT1_PNSt15iterator_traitsIS12_E10value_typeET2_T3_PNS13_IS18_E10value_typeET4_jRbjT5_S1E_jjP12ihipStream_tbEUljE_ZNSN_ISO_Lb1ESQ_SR_ST_SU_SY_EESZ_S10_S11_S12_S16_S17_S18_S1B_S1C_jS1D_jS1E_S1E_jjS1G_bEUljE0_EEESZ_S10_S11_S18_S1C_S1E_T6_T7_T9_mT8_S1G_bDpT10_ENKUlT_T0_E_clISt17integral_constantIbLb0EES1T_IbLb1EEEEDaS1P_S1Q_EUlS1P_E_NS1_11comp_targetILNS1_3genE2ELNS1_11target_archE906ELNS1_3gpuE6ELNS1_3repE0EEENS1_30default_config_static_selectorELNS0_4arch9wavefront6targetE1EEEvS12_: ; @_ZN7rocprim17ROCPRIM_400000_NS6detail17trampoline_kernelINS0_13select_configILj256ELj13ELNS0_17block_load_methodE3ELS4_3ELS4_3ELNS0_20block_scan_algorithmE0ELj4294967295EEENS1_25partition_config_selectorILNS1_17partition_subalgoE4EjNS0_10empty_typeEbEEZZNS1_14partition_implILS8_4ELb0ES6_15HIP_vector_typeIjLj2EENS0_17counting_iteratorIjlEEPS9_SG_NS0_5tupleIJPjSI_NS0_16reverse_iteratorISI_EEEEENSH_IJSG_SG_SG_EEES9_SI_JZNS1_25segmented_radix_sort_implINS0_14default_configELb1EPKiPiPKlPlN2at6native12_GLOBAL__N_18offset_tEEE10hipError_tPvRmT1_PNSt15iterator_traitsIS12_E10value_typeET2_T3_PNS13_IS18_E10value_typeET4_jRbjT5_S1E_jjP12ihipStream_tbEUljE_ZNSN_ISO_Lb1ESQ_SR_ST_SU_SY_EESZ_S10_S11_S12_S16_S17_S18_S1B_S1C_jS1D_jS1E_S1E_jjS1G_bEUljE0_EEESZ_S10_S11_S18_S1C_S1E_T6_T7_T9_mT8_S1G_bDpT10_ENKUlT_T0_E_clISt17integral_constantIbLb0EES1T_IbLb1EEEEDaS1P_S1Q_EUlS1P_E_NS1_11comp_targetILNS1_3genE2ELNS1_11target_archE906ELNS1_3gpuE6ELNS1_3repE0EEENS1_30default_config_static_selectorELNS0_4arch9wavefront6targetE1EEEvS12_
; %bb.0:
	s_load_dwordx2 s[52:53], s[4:5], 0x10
	s_load_dwordx4 s[48:51], s[4:5], 0x28
	s_load_dwordx2 s[30:31], s[4:5], 0x38
	s_load_dwordx4 s[44:47], s[4:5], 0x58
	s_load_dwordx2 s[6:7], s[4:5], 0x68
	s_load_dwordx2 s[54:55], s[4:5], 0x78
	s_load_dwordx2 s[56:57], s[4:5], 0xb0
	s_load_dwordx8 s[36:43], s[4:5], 0x90
	v_cmp_eq_u32_e64 s[0:1], 0, v0
	s_and_saveexec_b64 s[2:3], s[0:1]
	s_cbranch_execz .LBB461_4
; %bb.1:
	s_mov_b64 s[10:11], exec
	v_mbcnt_lo_u32_b32 v1, s10, 0
	v_mbcnt_hi_u32_b32 v1, s11, v1
	v_cmp_eq_u32_e32 vcc, 0, v1
                                        ; implicit-def: $vgpr2
	s_and_saveexec_b64 s[8:9], vcc
	s_cbranch_execz .LBB461_3
; %bb.2:
	s_load_dwordx2 s[12:13], s[4:5], 0x88
	s_bcnt1_i32_b64 s10, s[10:11]
	v_mov_b32_e32 v2, 0
	v_mov_b32_e32 v3, s10
	s_waitcnt lgkmcnt(0)
	global_atomic_add v2, v2, v3, s[12:13] glc
.LBB461_3:
	s_or_b64 exec, exec, s[8:9]
	s_waitcnt vmcnt(0)
	v_readfirstlane_b32 s8, v2
	v_add_u32_e32 v1, s8, v1
	v_mov_b32_e32 v2, 0
	ds_write_b32 v2, v1
.LBB461_4:
	s_or_b64 exec, exec, s[2:3]
	v_mov_b32_e32 v1, 0
	s_load_dword s2, s[4:5], 0x8
	s_load_dword s8, s[4:5], 0x80
	s_waitcnt lgkmcnt(0)
	s_barrier
	ds_read_b32 v7, v1
	s_waitcnt lgkmcnt(0)
	s_barrier
	global_load_dwordx4 v[1:4], v1, s[46:47]
	s_add_i32 s9, s2, s52
	s_movk_i32 s2, 0xd00
	s_add_i32 s4, s8, -1
	s_mulk_i32 s8, 0xd00
	v_mul_lo_u32 v33, v7, s2
	s_add_u32 s2, s52, s8
	s_addc_u32 s3, s53, 0
	v_mov_b32_e32 v6, s3
	v_mov_b32_e32 v5, s2
	v_readfirstlane_b32 s33, v7
	v_cmp_gt_u64_e32 vcc, s[6:7], v[5:6]
	s_cmp_eq_u32 s33, s4
	v_cmp_ne_u32_e64 s[2:3], s4, v7
	s_cselect_b64 s[34:35], -1, 0
	s_or_b64 s[4:5], vcc, s[2:3]
	v_add_u32_e32 v5, s9, v33
	s_mov_b64 s[2:3], -1
	s_and_b64 vcc, exec, s[4:5]
	v_add_u32_e32 v5, v5, v0
	s_cbranch_vccz .LBB461_6
; %bb.5:
	v_add_u32_e32 v6, 0x100, v5
	v_lshlrev_b32_e32 v18, 2, v0
	v_add_u32_e32 v7, 0x200, v5
	v_add_u32_e32 v8, 0x300, v5
	;; [unrolled: 1-line block ×11, first 2 shown]
	ds_write2st64_b32 v18, v5, v6 offset1:4
	ds_write2st64_b32 v18, v7, v8 offset0:8 offset1:12
	ds_write2st64_b32 v18, v9, v10 offset0:16 offset1:20
	;; [unrolled: 1-line block ×5, first 2 shown]
	ds_write_b32 v18, v17 offset:12288
	s_waitcnt vmcnt(0) lgkmcnt(0)
	s_barrier
	s_mov_b64 s[2:3], 0
.LBB461_6:
	s_andn2_b64 vcc, exec, s[2:3]
	s_add_i32 s8, s8, s52
	s_cbranch_vccnz .LBB461_8
; %bb.7:
	v_add_u32_e32 v6, 0x100, v5
	v_lshlrev_b32_e32 v18, 2, v0
	v_add_u32_e32 v7, 0x200, v5
	v_add_u32_e32 v8, 0x300, v5
	;; [unrolled: 1-line block ×11, first 2 shown]
	ds_write2st64_b32 v18, v5, v6 offset1:4
	ds_write2st64_b32 v18, v7, v8 offset0:8 offset1:12
	ds_write2st64_b32 v18, v9, v10 offset0:16 offset1:20
	;; [unrolled: 1-line block ×5, first 2 shown]
	ds_write_b32 v18, v17 offset:12288
	s_waitcnt vmcnt(0) lgkmcnt(0)
	s_barrier
.LBB461_8:
	v_mul_u32_u24_e32 v35, 13, v0
	v_lshlrev_b32_e32 v5, 2, v35
	ds_read_b32 v34, v5 offset:48
	ds_read2_b32 v[13:14], v5 offset0:10 offset1:11
	ds_read2_b32 v[15:16], v5 offset0:8 offset1:9
	;; [unrolled: 1-line block ×4, first 2 shown]
	ds_read2_b32 v[23:24], v5 offset1:1
	ds_read2_b32 v[21:22], v5 offset0:2 offset1:3
	v_cndmask_b32_e64 v5, 0, 1, s[4:5]
	s_sub_i32 s86, s6, s8
	v_cmp_ne_u32_e64 s[2:3], 1, v5
	s_andn2_b64 vcc, exec, s[4:5]
	s_waitcnt vmcnt(0) lgkmcnt(0)
	s_barrier
	s_cbranch_vccnz .LBB461_36
; %bb.9:
	v_add_u32_e32 v5, s37, v23
	v_add_u32_e32 v6, s39, v23
	v_mul_lo_u32 v5, v5, s36
	v_mul_lo_u32 v6, v6, s38
	s_mov_b64 s[58:59], 0
	s_mov_b64 s[46:47], 0
	v_sub_u32_e32 v5, v5, v6
	v_cmp_lt_u32_e32 vcc, s40, v5
	v_cmp_ge_u32_e64 s[4:5], s40, v5
	s_and_saveexec_b64 s[6:7], s[4:5]
	s_cbranch_execz .LBB461_11
; %bb.10:
	v_add_u32_e32 v5, s42, v23
	v_add_u32_e32 v6, s56, v23
	v_mul_lo_u32 v5, v5, s41
	v_mul_lo_u32 v6, v6, s43
	v_sub_u32_e32 v5, v5, v6
	v_cmp_lt_u32_e64 s[4:5], s57, v5
	s_and_b64 s[46:47], s[4:5], exec
.LBB461_11:
	s_or_b64 exec, exec, s[6:7]
	v_add_u32_e32 v5, s37, v24
	v_add_u32_e32 v6, s39, v24
	v_mul_lo_u32 v5, v5, s36
	v_mul_lo_u32 v6, v6, s38
	v_sub_u32_e32 v5, v5, v6
	v_cmp_lt_u32_e64 s[4:5], s40, v5
	v_cmp_ge_u32_e64 s[6:7], s40, v5
	s_and_saveexec_b64 s[8:9], s[6:7]
	s_cbranch_execz .LBB461_13
; %bb.12:
	v_add_u32_e32 v5, s42, v24
	v_add_u32_e32 v6, s56, v24
	v_mul_lo_u32 v5, v5, s41
	v_mul_lo_u32 v6, v6, s43
	v_sub_u32_e32 v5, v5, v6
	v_cmp_lt_u32_e64 s[6:7], s57, v5
	s_and_b64 s[58:59], s[6:7], exec
.LBB461_13:
	s_or_b64 exec, exec, s[8:9]
	v_add_u32_e32 v5, s37, v21
	v_add_u32_e32 v6, s39, v21
	v_mul_lo_u32 v5, v5, s36
	v_mul_lo_u32 v6, v6, s38
	s_mov_b64 s[62:63], 0
	s_mov_b64 s[60:61], 0
	v_sub_u32_e32 v5, v5, v6
	v_cmp_lt_u32_e64 s[6:7], s40, v5
	v_cmp_ge_u32_e64 s[8:9], s40, v5
	s_and_saveexec_b64 s[10:11], s[8:9]
	s_cbranch_execz .LBB461_15
; %bb.14:
	v_add_u32_e32 v5, s42, v21
	v_add_u32_e32 v6, s56, v21
	v_mul_lo_u32 v5, v5, s41
	v_mul_lo_u32 v6, v6, s43
	v_sub_u32_e32 v5, v5, v6
	v_cmp_lt_u32_e64 s[8:9], s57, v5
	s_and_b64 s[60:61], s[8:9], exec
.LBB461_15:
	s_or_b64 exec, exec, s[10:11]
	v_add_u32_e32 v5, s37, v22
	v_add_u32_e32 v6, s39, v22
	v_mul_lo_u32 v5, v5, s36
	v_mul_lo_u32 v6, v6, s38
	v_sub_u32_e32 v5, v5, v6
	v_cmp_lt_u32_e64 s[8:9], s40, v5
	v_cmp_ge_u32_e64 s[10:11], s40, v5
	s_and_saveexec_b64 s[12:13], s[10:11]
	s_cbranch_execz .LBB461_17
; %bb.16:
	v_add_u32_e32 v5, s42, v22
	v_add_u32_e32 v6, s56, v22
	v_mul_lo_u32 v5, v5, s41
	v_mul_lo_u32 v6, v6, s43
	v_sub_u32_e32 v5, v5, v6
	v_cmp_lt_u32_e64 s[10:11], s57, v5
	s_and_b64 s[62:63], s[10:11], exec
.LBB461_17:
	s_or_b64 exec, exec, s[12:13]
	v_add_u32_e32 v5, s37, v19
	v_add_u32_e32 v6, s39, v19
	v_mul_lo_u32 v5, v5, s36
	v_mul_lo_u32 v6, v6, s38
	s_mov_b64 s[66:67], 0
	s_mov_b64 s[64:65], 0
	v_sub_u32_e32 v5, v5, v6
	v_cmp_lt_u32_e64 s[10:11], s40, v5
	;; [unrolled: 40-line block ×6, first 2 shown]
	v_cmp_ge_u32_e64 s[28:29], s40, v5
	s_and_saveexec_b64 s[84:85], s[28:29]
	s_cbranch_execz .LBB461_35
; %bb.34:
	v_add_u32_e32 v5, s42, v34
	v_add_u32_e32 v6, s56, v34
	v_mul_lo_u32 v5, v5, s41
	v_mul_lo_u32 v6, v6, s43
	v_sub_u32_e32 v5, v5, v6
	v_cmp_lt_u32_e64 s[28:29], s57, v5
	s_and_b64 s[82:83], s[28:29], exec
.LBB461_35:
	s_or_b64 exec, exec, s[84:85]
	v_cndmask_b32_e64 v6, 0, 1, s[4:5]
	v_cndmask_b32_e64 v5, 0, 1, vcc
	v_cndmask_b32_e64 v8, 0, 1, s[8:9]
	v_lshlrev_b16_e32 v6, 8, v6
	v_cndmask_b32_e64 v7, 0, 1, s[6:7]
	v_or_b32_e32 v5, v5, v6
	v_lshlrev_b16_e32 v6, 8, v8
	v_cndmask_b32_e64 v10, 0, 1, s[12:13]
	v_cndmask_b32_e64 v12, 0, 1, s[16:17]
	v_or_b32_sdwa v6, v7, v6 dst_sel:WORD_1 dst_unused:UNUSED_PAD src0_sel:DWORD src1_sel:DWORD
	v_cndmask_b32_e64 v9, 0, 1, s[10:11]
	v_cndmask_b32_e64 v11, 0, 1, s[14:15]
	v_or_b32_sdwa v36, v5, v6 dst_sel:DWORD dst_unused:UNUSED_PAD src0_sel:WORD_0 src1_sel:DWORD
	v_lshlrev_b16_e32 v5, 8, v10
	v_lshlrev_b16_e32 v6, 8, v12
	v_cndmask_b32_e64 v26, 0, 1, s[20:21]
	v_cndmask_b32_e64 v29, 0, 1, s[24:25]
	v_or_b32_e32 v5, v9, v5
	v_or_b32_sdwa v6, v11, v6 dst_sel:WORD_1 dst_unused:UNUSED_PAD src0_sel:DWORD src1_sel:DWORD
	v_cndmask_b32_e64 v25, 0, 1, s[18:19]
	v_cndmask_b32_e64 v27, 0, 1, s[22:23]
	v_or_b32_sdwa v38, v5, v6 dst_sel:DWORD dst_unused:UNUSED_PAD src0_sel:WORD_0 src1_sel:DWORD
	v_lshlrev_b16_e32 v5, 8, v26
	v_lshlrev_b16_e32 v6, 8, v29
	v_cndmask_b32_e64 v42, 0, 1, s[60:61]
	v_cndmask_b32_e64 v47, 0, 1, s[46:47]
	v_or_b32_e32 v5, v25, v5
	;; [unrolled: 9-line block ×4, first 2 shown]
	v_or_b32_sdwa v6, v39, v6 dst_sel:WORD_1 dst_unused:UNUSED_PAD src0_sel:DWORD src1_sel:DWORD
	v_cndmask_b32_e64 v30, 0, 1, s[74:75]
	v_cndmask_b32_e64 v32, 0, 1, s[70:71]
	v_or_b32_sdwa v37, v5, v6 dst_sel:DWORD dst_unused:UNUSED_PAD src0_sel:WORD_0 src1_sel:DWORD
	v_lshlrev_b16_e32 v5, 8, v31
	v_lshlrev_b16_e32 v6, 8, v28
	v_or_b32_e32 v5, v32, v5
	v_or_b32_sdwa v6, v30, v6 dst_sel:WORD_1 dst_unused:UNUSED_PAD src0_sel:DWORD src1_sel:DWORD
	v_cndmask_b32_e64 v40, 0, 1, s[78:79]
	v_cndmask_b32_e64 v43, 0, 1, s[82:83]
	v_or_b32_sdwa v39, v5, v6 dst_sel:DWORD dst_unused:UNUSED_PAD src0_sel:WORD_0 src1_sel:DWORD
	s_add_i32 s16, s86, 0xd00
	s_and_b64 vcc, exec, s[76:77]
	s_cbranch_vccnz .LBB461_37
	s_branch .LBB461_114
.LBB461_36:
                                        ; implicit-def: $vgpr43
                                        ; implicit-def: $vgpr40
                                        ; implicit-def: $vgpr39
                                        ; implicit-def: $vgpr37
                                        ; implicit-def: $vgpr42
                                        ; implicit-def: $vgpr41
                                        ; implicit-def: $vgpr38
                                        ; implicit-def: $vgpr36
	s_add_i32 s16, s86, 0xd00
	s_cbranch_execz .LBB461_114
.LBB461_37:
	v_cmp_gt_u32_e32 vcc, s16, v35
	v_mov_b32_e32 v6, 0
	v_mov_b32_e32 v5, 0
	s_and_saveexec_b64 s[6:7], vcc
	s_cbranch_execz .LBB461_41
; %bb.38:
	v_add_u32_e32 v5, s37, v23
	v_add_u32_e32 v6, s39, v23
	v_mul_lo_u32 v5, v5, s36
	v_mul_lo_u32 v6, v6, s38
	s_mov_b64 s[10:11], 0
	v_sub_u32_e32 v5, v5, v6
	v_cmp_lt_u32_e32 vcc, s40, v5
	v_cmp_ge_u32_e64 s[4:5], s40, v5
	s_and_saveexec_b64 s[8:9], s[4:5]
	s_cbranch_execz .LBB461_40
; %bb.39:
	v_add_u32_e32 v5, s42, v23
	v_add_u32_e32 v6, s56, v23
	v_mul_lo_u32 v5, v5, s41
	v_mul_lo_u32 v6, v6, s43
	v_sub_u32_e32 v5, v5, v6
	v_cmp_lt_u32_e64 s[4:5], s57, v5
	s_and_b64 s[10:11], s[4:5], exec
.LBB461_40:
	s_or_b64 exec, exec, s[8:9]
	v_cndmask_b32_e64 v6, 0, 1, s[10:11]
	v_cndmask_b32_e64 v5, 0, 1, vcc
.LBB461_41:
	s_or_b64 exec, exec, s[6:7]
	v_lshlrev_b16_e32 v11, 8, v6
	v_add_u32_e32 v6, 1, v35
	v_cmp_le_u32_e32 vcc, s16, v6
	v_lshlrev_b16_e64 v8, 8, 0
                                        ; implicit-def: $vgpr7
                                        ; implicit-def: $vgpr9
                                        ; implicit-def: $vgpr10
                                        ; implicit-def: $vgpr6
                                        ; implicit-def: $vgpr12
	s_and_saveexec_b64 s[4:5], vcc
	s_xor_b64 s[4:5], exec, s[4:5]
; %bb.42:
	v_mov_b32_e32 v6, 8
	v_lshrrev_b32_sdwa v7, v6, v11 dst_sel:BYTE_1 dst_unused:UNUSED_PAD src0_sel:DWORD src1_sel:DWORD
	v_and_b32_e32 v12, 0xff, v5
	v_or_b32_sdwa v5, v11, v7 dst_sel:DWORD dst_unused:UNUSED_PAD src0_sel:BYTE_0 src1_sel:DWORD
	v_mov_b32_e32 v9, 0
	v_lshlrev_b16_e64 v8, 8, 0
	v_lshlrev_b16_e64 v6, 8, 0
	v_and_b32_e32 v10, 0xffff, v5
	v_lshlrev_b16_e64 v7, 8, 0
                                        ; implicit-def: $vgpr5
                                        ; implicit-def: $vgpr11
; %bb.43:
	s_andn2_saveexec_b64 s[6:7], s[4:5]
	s_cbranch_execz .LBB461_47
; %bb.44:
	v_add_u32_e32 v6, s37, v24
	v_add_u32_e32 v7, s39, v24
	v_mul_lo_u32 v6, v6, s36
	v_mul_lo_u32 v7, v7, s38
	s_mov_b64 s[8:9], 0
	v_sub_u32_e32 v6, v6, v7
	v_cmp_lt_u32_e32 vcc, s40, v6
	v_cmp_ge_u32_e64 s[4:5], s40, v6
	s_and_saveexec_b64 s[10:11], s[4:5]
	s_cbranch_execz .LBB461_46
; %bb.45:
	v_add_u32_e32 v6, s42, v24
	v_add_u32_e32 v7, s56, v24
	v_mul_lo_u32 v6, v6, s41
	v_mul_lo_u32 v7, v7, s43
	v_sub_u32_e32 v6, v6, v7
	v_cmp_lt_u32_e64 s[4:5], s57, v6
	s_and_b64 s[8:9], s[4:5], exec
.LBB461_46:
	s_or_b64 exec, exec, s[10:11]
	v_cndmask_b32_e64 v7, 0, 1, vcc
	v_lshlrev_b16_e32 v7, 8, v7
	v_or_b32_sdwa v5, v5, v7 dst_sel:DWORD dst_unused:UNUSED_PAD src0_sel:BYTE_0 src1_sel:DWORD
	v_and_b32_e32 v12, 0xffff, v5
	v_mov_b32_e32 v5, 8
	v_lshrrev_b32_sdwa v5, v5, v11 dst_sel:BYTE_1 dst_unused:UNUSED_PAD src0_sel:DWORD src1_sel:DWORD
	v_or_b32_sdwa v5, v11, v5 dst_sel:DWORD dst_unused:UNUSED_PAD src0_sel:BYTE_0 src1_sel:DWORD
	v_and_b32_e32 v5, 0xffff, v5
	v_cndmask_b32_e64 v7, 0, 1, s[8:9]
	v_mov_b32_e32 v6, 0
	v_mov_b32_e32 v9, 0
	v_lshl_or_b32 v10, v7, 16, v5
	v_lshlrev_b16_e64 v7, 8, 0
.LBB461_47:
	s_or_b64 exec, exec, s[6:7]
	v_add_u32_e32 v5, 2, v35
	v_cmp_le_u32_e32 vcc, s16, v5
	v_lshrrev_b32_e32 v25, 24, v12
                                        ; implicit-def: $vgpr5
                                        ; implicit-def: $vgpr11
	s_and_saveexec_b64 s[4:5], vcc
	s_xor_b64 s[4:5], exec, s[4:5]
	s_cbranch_execz .LBB461_49
; %bb.48:
	s_mov_b32 s6, 0x40c0100
	v_perm_b32 v11, v25, v12, s6
	v_mov_b32_e32 v12, 8
	v_lshrrev_b32_sdwa v12, v12, v11 dst_sel:BYTE_1 dst_unused:UNUSED_PAD src0_sel:DWORD src1_sel:DWORD
	v_or_b32_sdwa v12, v11, v12 dst_sel:DWORD dst_unused:UNUSED_PAD src0_sel:BYTE_0 src1_sel:DWORD
	v_and_b32_e32 v12, 0xffff, v12
	s_mov_b32 s6, 0xff000000
	v_and_or_b32 v11, v11, s6, v12
	s_mov_b32 s6, 0x3060504
	v_and_b32_e32 v5, 0xff0000, v10
	v_perm_b32 v8, v8, v8, s6
	s_mov_b32 s6, 0x3020504
	v_perm_b32 v5, v10, v5, s6
                                        ; implicit-def: $vgpr12
                                        ; implicit-def: $vgpr25
                                        ; implicit-def: $vgpr10
.LBB461_49:
	s_andn2_saveexec_b64 s[6:7], s[4:5]
	s_cbranch_execz .LBB461_53
; %bb.50:
	v_add_u32_e32 v5, s37, v21
	v_add_u32_e32 v11, s39, v21
	v_mul_lo_u32 v5, v5, s36
	v_mul_lo_u32 v11, v11, s38
	s_mov_b64 s[8:9], 0
	v_sub_u32_e32 v5, v5, v11
	v_cmp_lt_u32_e32 vcc, s40, v5
	v_cmp_ge_u32_e64 s[4:5], s40, v5
	s_and_saveexec_b64 s[10:11], s[4:5]
	s_cbranch_execz .LBB461_52
; %bb.51:
	v_add_u32_e32 v5, s42, v21
	v_add_u32_e32 v11, s56, v21
	v_mul_lo_u32 v5, v5, s41
	v_mul_lo_u32 v11, v11, s43
	v_sub_u32_e32 v5, v5, v11
	v_cmp_lt_u32_e64 s[4:5], s57, v5
	s_and_b64 s[8:9], s[4:5], exec
.LBB461_52:
	s_or_b64 exec, exec, s[10:11]
	v_mov_b32_e32 v27, 8
	v_lshrrev_b32_sdwa v11, v27, v12 dst_sel:BYTE_1 dst_unused:UNUSED_PAD src0_sel:DWORD src1_sel:DWORD
	v_cndmask_b32_e64 v5, 0, 1, vcc
	v_or_b32_sdwa v11, v12, v11 dst_sel:DWORD dst_unused:UNUSED_PAD src0_sel:BYTE_0 src1_sel:DWORD
	v_lshlrev_b16_e32 v12, 8, v25
	v_or_b32_sdwa v5, v5, v12 dst_sel:WORD_1 dst_unused:UNUSED_PAD src0_sel:DWORD src1_sel:DWORD
	v_cndmask_b32_e64 v26, 0, 1, s[8:9]
	s_movk_i32 s4, 0xff
	v_or_b32_sdwa v11, v11, v5 dst_sel:DWORD dst_unused:UNUSED_PAD src0_sel:WORD_0 src1_sel:DWORD
	v_lshrrev_b32_sdwa v5, v27, v10 dst_sel:BYTE_1 dst_unused:UNUSED_PAD src0_sel:DWORD src1_sel:DWORD
	v_or_b32_sdwa v5, v10, v5 dst_sel:DWORD dst_unused:UNUSED_PAD src0_sel:BYTE_0 src1_sel:DWORD
	v_lshlrev_b16_e32 v12, 8, v26
	v_and_b32_sdwa v10, v10, s4 dst_sel:DWORD dst_unused:UNUSED_PAD src0_sel:WORD_1 src1_sel:DWORD
	v_or_b32_sdwa v10, v10, v12 dst_sel:WORD_1 dst_unused:UNUSED_PAD src0_sel:DWORD src1_sel:DWORD
	v_or_b32_sdwa v5, v5, v10 dst_sel:DWORD dst_unused:UNUSED_PAD src0_sel:WORD_0 src1_sel:DWORD
.LBB461_53:
	s_or_b64 exec, exec, s[6:7]
	v_add_u32_e32 v10, 3, v35
	v_cmp_le_u32_e32 vcc, s16, v10
	v_lshrrev_b32_e32 v12, 24, v9
                                        ; implicit-def: $vgpr10
                                        ; implicit-def: $vgpr36
	s_and_saveexec_b64 s[4:5], vcc
	s_xor_b64 s[4:5], exec, s[4:5]
	s_cbranch_execz .LBB461_55
; %bb.54:
	v_and_b32_e32 v10, 0xff0000, v11
	s_mov_b32 s6, 0x3020504
	s_movk_i32 s7, 0xff
	v_perm_b32 v36, v11, v10, s6
	v_lshlrev_b16_e32 v10, 8, v12
	v_and_b32_sdwa v11, v9, s7 dst_sel:DWORD dst_unused:UNUSED_PAD src0_sel:WORD_1 src1_sel:DWORD
	s_mov_b32 s6, 0x3060504
	v_or_b32_sdwa v10, v11, v10 dst_sel:WORD_1 dst_unused:UNUSED_PAD src0_sel:DWORD src1_sel:DWORD
	v_mov_b32_e32 v11, 8
	v_perm_b32 v8, v8, v8, s6
	v_lshrrev_b32_sdwa v10, v11, v9 dst_sel:BYTE_1 dst_unused:UNUSED_PRESERVE src0_sel:DWORD src1_sel:DWORD
	v_perm_b32 v7, v7, v7, s6
                                        ; implicit-def: $vgpr11
                                        ; implicit-def: $vgpr12
                                        ; implicit-def: $vgpr9
.LBB461_55:
	s_andn2_saveexec_b64 s[6:7], s[4:5]
	s_cbranch_execz .LBB461_59
; %bb.56:
	v_add_u32_e32 v10, s37, v22
	v_add_u32_e32 v25, s39, v22
	v_mul_lo_u32 v10, v10, s36
	v_mul_lo_u32 v25, v25, s38
	s_mov_b64 s[8:9], 0
	v_sub_u32_e32 v10, v10, v25
	v_cmp_lt_u32_e32 vcc, s40, v10
	v_cmp_ge_u32_e64 s[4:5], s40, v10
	s_and_saveexec_b64 s[10:11], s[4:5]
	s_cbranch_execz .LBB461_58
; %bb.57:
	v_add_u32_e32 v10, s42, v22
	v_add_u32_e32 v25, s56, v22
	v_mul_lo_u32 v10, v10, s41
	v_mul_lo_u32 v25, v25, s43
	v_sub_u32_e32 v10, v10, v25
	v_cmp_lt_u32_e64 s[4:5], s57, v10
	s_and_b64 s[8:9], s[4:5], exec
.LBB461_58:
	s_or_b64 exec, exec, s[10:11]
	v_mov_b32_e32 v26, 8
	v_cndmask_b32_e64 v10, 0, 1, vcc
	s_movk_i32 s4, 0xff
	v_lshrrev_b32_sdwa v27, v26, v11 dst_sel:BYTE_1 dst_unused:UNUSED_PAD src0_sel:DWORD src1_sel:DWORD
	v_or_b32_sdwa v27, v11, v27 dst_sel:DWORD dst_unused:UNUSED_PAD src0_sel:BYTE_0 src1_sel:DWORD
	v_lshlrev_b16_e32 v10, 8, v10
	v_and_b32_sdwa v11, v11, s4 dst_sel:DWORD dst_unused:UNUSED_PAD src0_sel:WORD_1 src1_sel:DWORD
	v_or_b32_sdwa v10, v11, v10 dst_sel:WORD_1 dst_unused:UNUSED_PAD src0_sel:DWORD src1_sel:DWORD
	v_cndmask_b32_e64 v25, 0, 1, s[8:9]
	v_or_b32_sdwa v36, v27, v10 dst_sel:DWORD dst_unused:UNUSED_PAD src0_sel:WORD_0 src1_sel:DWORD
	v_lshlrev_b16_e32 v10, 8, v12
	v_and_b32_sdwa v11, v9, s4 dst_sel:DWORD dst_unused:UNUSED_PAD src0_sel:WORD_1 src1_sel:DWORD
	v_lshrrev_b32_sdwa v9, v26, v9 dst_sel:BYTE_1 dst_unused:UNUSED_PAD src0_sel:DWORD src1_sel:DWORD
	v_or_b32_sdwa v10, v11, v10 dst_sel:WORD_1 dst_unused:UNUSED_PAD src0_sel:DWORD src1_sel:DWORD
	v_or_b32_e32 v9, v25, v9
	v_or_b32_sdwa v10, v9, v10 dst_sel:DWORD dst_unused:UNUSED_PAD src0_sel:WORD_0 src1_sel:DWORD
.LBB461_59:
	s_or_b64 exec, exec, s[6:7]
	v_add_u32_e32 v9, 4, v35
	v_cmp_le_u32_e32 vcc, s16, v9
	v_lshrrev_b32_e32 v25, 24, v8
	v_lshrrev_b32_e32 v12, 24, v10
                                        ; implicit-def: $vgpr11
                                        ; implicit-def: $vgpr9
	s_and_saveexec_b64 s[4:5], vcc
	s_xor_b64 s[4:5], exec, s[4:5]
	s_cbranch_execz .LBB461_61
; %bb.60:
	s_movk_i32 s6, 0xff
	v_lshlrev_b16_e32 v9, 8, v25
	v_and_b32_sdwa v25, v8, s6 dst_sel:DWORD dst_unused:UNUSED_PAD src0_sel:WORD_1 src1_sel:DWORD
	v_mov_b32_e32 v11, 8
	v_or_b32_sdwa v9, v25, v9 dst_sel:WORD_1 dst_unused:UNUSED_PAD src0_sel:DWORD src1_sel:DWORD
	v_lshrrev_b32_sdwa v9, v11, v8 dst_sel:BYTE_1 dst_unused:UNUSED_PRESERVE src0_sel:DWORD src1_sel:DWORD
	v_lshlrev_b16_e32 v8, 8, v12
	v_and_b32_sdwa v11, v10, s6 dst_sel:DWORD dst_unused:UNUSED_PAD src0_sel:WORD_1 src1_sel:DWORD
	v_or_b32_e32 v8, v11, v8
	s_mov_b32 s6, 0x5040c00
	v_perm_b32 v11, v8, v10, s6
	s_mov_b32 s6, 0x3060504
	v_perm_b32 v7, v7, v7, s6
                                        ; implicit-def: $vgpr25
                                        ; implicit-def: $vgpr8
                                        ; implicit-def: $vgpr10
                                        ; implicit-def: $vgpr12
.LBB461_61:
	s_andn2_saveexec_b64 s[6:7], s[4:5]
	s_cbranch_execz .LBB461_65
; %bb.62:
	v_add_u32_e32 v9, s37, v19
	v_add_u32_e32 v11, s39, v19
	v_mul_lo_u32 v9, v9, s36
	v_mul_lo_u32 v11, v11, s38
	s_mov_b64 s[8:9], 0
	v_sub_u32_e32 v9, v9, v11
	v_cmp_lt_u32_e32 vcc, s40, v9
	v_cmp_ge_u32_e64 s[4:5], s40, v9
	s_and_saveexec_b64 s[10:11], s[4:5]
	s_cbranch_execz .LBB461_64
; %bb.63:
	v_add_u32_e32 v9, s42, v19
	v_add_u32_e32 v11, s56, v19
	v_mul_lo_u32 v9, v9, s41
	v_mul_lo_u32 v11, v11, s43
	v_sub_u32_e32 v9, v9, v11
	v_cmp_lt_u32_e64 s[4:5], s57, v9
	s_and_b64 s[8:9], s[4:5], exec
.LBB461_64:
	s_or_b64 exec, exec, s[10:11]
	s_movk_i32 s4, 0xff
	v_lshlrev_b16_e32 v25, 8, v25
	v_and_b32_sdwa v26, v8, s4 dst_sel:DWORD dst_unused:UNUSED_PAD src0_sel:WORD_1 src1_sel:DWORD
	v_or_b32_sdwa v25, v26, v25 dst_sel:WORD_1 dst_unused:UNUSED_PAD src0_sel:DWORD src1_sel:DWORD
	v_mov_b32_e32 v26, 8
	v_cndmask_b32_e64 v9, 0, 1, vcc
	v_lshrrev_b32_sdwa v8, v26, v8 dst_sel:BYTE_1 dst_unused:UNUSED_PAD src0_sel:DWORD src1_sel:DWORD
	v_cndmask_b32_e64 v11, 0, 1, s[8:9]
	v_or_b32_e32 v8, v9, v8
	v_or_b32_sdwa v9, v8, v25 dst_sel:DWORD dst_unused:UNUSED_PAD src0_sel:WORD_0 src1_sel:DWORD
	v_lshlrev_b16_e32 v8, 8, v11
	v_or_b32_sdwa v8, v10, v8 dst_sel:DWORD dst_unused:UNUSED_PAD src0_sel:BYTE_0 src1_sel:DWORD
	v_lshlrev_b16_e32 v11, 8, v12
	v_and_b32_sdwa v10, v10, s4 dst_sel:DWORD dst_unused:UNUSED_PAD src0_sel:WORD_1 src1_sel:DWORD
	v_or_b32_sdwa v10, v10, v11 dst_sel:WORD_1 dst_unused:UNUSED_PAD src0_sel:DWORD src1_sel:DWORD
	v_or_b32_sdwa v11, v8, v10 dst_sel:DWORD dst_unused:UNUSED_PAD src0_sel:WORD_0 src1_sel:DWORD
.LBB461_65:
	s_or_b64 exec, exec, s[6:7]
	v_add_u32_e32 v8, 5, v35
	v_cmp_le_u32_e32 vcc, s16, v8
	v_lshrrev_b32_e32 v12, 24, v11
	v_lshrrev_b32_e32 v25, 24, v9
                                        ; implicit-def: $vgpr8
                                        ; implicit-def: $vgpr10
	s_and_saveexec_b64 s[4:5], vcc
	s_xor_b64 s[4:5], exec, s[4:5]
	s_cbranch_execz .LBB461_67
; %bb.66:
	s_mov_b32 s6, 0x40c0100
	v_perm_b32 v8, v12, v11, s6
	s_movk_i32 s6, 0xff
	v_lshlrev_b16_e32 v10, 8, v25
	v_and_b32_sdwa v11, v9, s6 dst_sel:DWORD dst_unused:UNUSED_PAD src0_sel:WORD_1 src1_sel:DWORD
	v_or_b32_e32 v10, v11, v10
	s_mov_b32 s6, 0x5040c00
	v_perm_b32 v10, v10, v9, s6
	v_mov_b32_e32 v9, 8
	v_lshrrev_b32_sdwa v9, v9, v8 dst_sel:BYTE_1 dst_unused:UNUSED_PAD src0_sel:DWORD src1_sel:DWORD
	v_or_b32_sdwa v9, v8, v9 dst_sel:DWORD dst_unused:UNUSED_PAD src0_sel:BYTE_0 src1_sel:DWORD
	v_and_b32_e32 v9, 0xffff, v9
	s_mov_b32 s6, 0xff000000
	v_and_or_b32 v8, v8, s6, v9
	s_mov_b32 s6, 0x3060504
	v_perm_b32 v7, v7, v7, s6
                                        ; implicit-def: $vgpr9
                                        ; implicit-def: $vgpr25
                                        ; implicit-def: $vgpr11
                                        ; implicit-def: $vgpr12
.LBB461_67:
	s_andn2_saveexec_b64 s[6:7], s[4:5]
	s_cbranch_execz .LBB461_71
; %bb.68:
	v_add_u32_e32 v8, s37, v20
	v_add_u32_e32 v10, s39, v20
	v_mul_lo_u32 v8, v8, s36
	v_mul_lo_u32 v10, v10, s38
	s_mov_b64 s[8:9], 0
	v_sub_u32_e32 v8, v8, v10
	v_cmp_lt_u32_e32 vcc, s40, v8
	v_cmp_ge_u32_e64 s[4:5], s40, v8
	s_and_saveexec_b64 s[10:11], s[4:5]
	s_cbranch_execz .LBB461_70
; %bb.69:
	v_add_u32_e32 v8, s42, v20
	v_add_u32_e32 v10, s56, v20
	v_mul_lo_u32 v8, v8, s41
	v_mul_lo_u32 v10, v10, s43
	v_sub_u32_e32 v8, v8, v10
	v_cmp_lt_u32_e64 s[4:5], s57, v8
	s_and_b64 s[8:9], s[4:5], exec
.LBB461_70:
	s_or_b64 exec, exec, s[10:11]
	v_cndmask_b32_e64 v8, 0, 1, vcc
	v_lshlrev_b16_e32 v8, 8, v8
	s_movk_i32 s4, 0xff
	v_or_b32_sdwa v8, v9, v8 dst_sel:DWORD dst_unused:UNUSED_PAD src0_sel:BYTE_0 src1_sel:DWORD
	v_lshlrev_b16_e32 v10, 8, v25
	v_and_b32_sdwa v9, v9, s4 dst_sel:DWORD dst_unused:UNUSED_PAD src0_sel:WORD_1 src1_sel:DWORD
	v_or_b32_sdwa v9, v9, v10 dst_sel:WORD_1 dst_unused:UNUSED_PAD src0_sel:DWORD src1_sel:DWORD
	v_or_b32_sdwa v10, v8, v9 dst_sel:DWORD dst_unused:UNUSED_PAD src0_sel:WORD_0 src1_sel:DWORD
	v_mov_b32_e32 v8, 8
	v_cndmask_b32_e64 v26, 0, 1, s[8:9]
	v_lshrrev_b32_sdwa v8, v8, v11 dst_sel:BYTE_1 dst_unused:UNUSED_PAD src0_sel:DWORD src1_sel:DWORD
	v_lshlrev_b16_e32 v9, 8, v12
	v_or_b32_sdwa v8, v11, v8 dst_sel:DWORD dst_unused:UNUSED_PAD src0_sel:BYTE_0 src1_sel:DWORD
	v_or_b32_sdwa v9, v26, v9 dst_sel:WORD_1 dst_unused:UNUSED_PAD src0_sel:DWORD src1_sel:DWORD
	v_or_b32_sdwa v8, v8, v9 dst_sel:DWORD dst_unused:UNUSED_PAD src0_sel:WORD_0 src1_sel:DWORD
.LBB461_71:
	s_or_b64 exec, exec, s[6:7]
	v_add_u32_e32 v9, 6, v35
	v_cmp_le_u32_e32 vcc, s16, v9
	v_lshrrev_b32_e32 v11, 24, v10
                                        ; implicit-def: $vgpr37
                                        ; implicit-def: $vgpr9
	s_and_saveexec_b64 s[4:5], vcc
	s_xor_b64 s[4:5], exec, s[4:5]
	s_cbranch_execz .LBB461_73
; %bb.72:
	s_mov_b32 s6, 0x40c0100
	v_perm_b32 v9, v11, v10, s6
	v_mov_b32_e32 v10, 8
	v_lshrrev_b32_sdwa v10, v10, v9 dst_sel:BYTE_1 dst_unused:UNUSED_PAD src0_sel:DWORD src1_sel:DWORD
	v_or_b32_sdwa v10, v9, v10 dst_sel:DWORD dst_unused:UNUSED_PAD src0_sel:BYTE_0 src1_sel:DWORD
	v_and_b32_e32 v10, 0xffff, v10
	s_mov_b32 s6, 0xff000000
	v_and_b32_e32 v12, 0xff0000, v8
	v_and_or_b32 v9, v9, s6, v10
	s_mov_b32 s6, 0x3020504
	v_perm_b32 v37, v8, v12, s6
	s_mov_b32 s6, 0x3060504
	v_perm_b32 v7, v7, v7, s6
                                        ; implicit-def: $vgpr10
                                        ; implicit-def: $vgpr11
                                        ; implicit-def: $vgpr8
.LBB461_73:
	s_andn2_saveexec_b64 s[6:7], s[4:5]
	s_cbranch_execz .LBB461_77
; %bb.74:
	v_add_u32_e32 v9, s37, v17
	v_add_u32_e32 v12, s39, v17
	v_mul_lo_u32 v9, v9, s36
	v_mul_lo_u32 v12, v12, s38
	s_mov_b64 s[8:9], 0
	v_sub_u32_e32 v9, v9, v12
	v_cmp_lt_u32_e32 vcc, s40, v9
	v_cmp_ge_u32_e64 s[4:5], s40, v9
	s_and_saveexec_b64 s[10:11], s[4:5]
	s_cbranch_execz .LBB461_76
; %bb.75:
	v_add_u32_e32 v9, s42, v17
	v_add_u32_e32 v12, s56, v17
	v_mul_lo_u32 v9, v9, s41
	v_mul_lo_u32 v12, v12, s43
	v_sub_u32_e32 v9, v9, v12
	v_cmp_lt_u32_e64 s[4:5], s57, v9
	s_and_b64 s[8:9], s[4:5], exec
.LBB461_76:
	s_or_b64 exec, exec, s[10:11]
	v_mov_b32_e32 v25, 8
	v_cndmask_b32_e64 v9, 0, 1, vcc
	v_lshrrev_b32_sdwa v26, v25, v10 dst_sel:BYTE_1 dst_unused:UNUSED_PAD src0_sel:DWORD src1_sel:DWORD
	v_lshlrev_b16_e32 v11, 8, v11
	v_or_b32_sdwa v10, v10, v26 dst_sel:DWORD dst_unused:UNUSED_PAD src0_sel:BYTE_0 src1_sel:DWORD
	v_or_b32_sdwa v9, v9, v11 dst_sel:WORD_1 dst_unused:UNUSED_PAD src0_sel:DWORD src1_sel:DWORD
	v_cndmask_b32_e64 v12, 0, 1, s[8:9]
	s_movk_i32 s4, 0xff
	v_or_b32_sdwa v9, v10, v9 dst_sel:DWORD dst_unused:UNUSED_PAD src0_sel:WORD_0 src1_sel:DWORD
	v_lshrrev_b32_sdwa v10, v25, v8 dst_sel:BYTE_1 dst_unused:UNUSED_PAD src0_sel:DWORD src1_sel:DWORD
	v_or_b32_sdwa v10, v8, v10 dst_sel:DWORD dst_unused:UNUSED_PAD src0_sel:BYTE_0 src1_sel:DWORD
	v_lshlrev_b16_e32 v11, 8, v12
	v_and_b32_sdwa v8, v8, s4 dst_sel:DWORD dst_unused:UNUSED_PAD src0_sel:WORD_1 src1_sel:DWORD
	v_or_b32_sdwa v8, v8, v11 dst_sel:WORD_1 dst_unused:UNUSED_PAD src0_sel:DWORD src1_sel:DWORD
	v_or_b32_sdwa v37, v10, v8 dst_sel:DWORD dst_unused:UNUSED_PAD src0_sel:WORD_0 src1_sel:DWORD
.LBB461_77:
	s_or_b64 exec, exec, s[6:7]
	v_add_u32_e32 v8, 7, v35
	v_cmp_le_u32_e32 vcc, s16, v8
	v_lshrrev_b32_e32 v10, 24, v7
                                        ; implicit-def: $vgpr8
                                        ; implicit-def: $vgpr38
	s_and_saveexec_b64 s[4:5], vcc
	s_xor_b64 s[4:5], exec, s[4:5]
; %bb.78:
	v_and_b32_e32 v8, 0xff0000, v9
	s_mov_b32 s6, 0x3020504
	v_perm_b32 v38, v9, v8, s6
	s_movk_i32 s6, 0xff
	v_lshlrev_b16_e32 v8, 8, v10
	v_and_b32_sdwa v9, v7, s6 dst_sel:DWORD dst_unused:UNUSED_PAD src0_sel:WORD_1 src1_sel:DWORD
	v_mov_b32_e32 v11, 8
	v_or_b32_sdwa v8, v9, v8 dst_sel:WORD_1 dst_unused:UNUSED_PAD src0_sel:DWORD src1_sel:DWORD
	v_lshrrev_b32_sdwa v8, v11, v7 dst_sel:BYTE_1 dst_unused:UNUSED_PRESERVE src0_sel:DWORD src1_sel:DWORD
                                        ; implicit-def: $vgpr9
                                        ; implicit-def: $vgpr10
                                        ; implicit-def: $vgpr7
; %bb.79:
	s_andn2_saveexec_b64 s[6:7], s[4:5]
	s_cbranch_execz .LBB461_83
; %bb.80:
	v_add_u32_e32 v8, s37, v18
	v_add_u32_e32 v11, s39, v18
	v_mul_lo_u32 v8, v8, s36
	v_mul_lo_u32 v11, v11, s38
	s_mov_b64 s[8:9], 0
	v_sub_u32_e32 v8, v8, v11
	v_cmp_lt_u32_e32 vcc, s40, v8
	v_cmp_ge_u32_e64 s[4:5], s40, v8
	s_and_saveexec_b64 s[10:11], s[4:5]
	s_cbranch_execz .LBB461_82
; %bb.81:
	v_add_u32_e32 v8, s42, v18
	v_add_u32_e32 v11, s56, v18
	v_mul_lo_u32 v8, v8, s41
	v_mul_lo_u32 v11, v11, s43
	v_sub_u32_e32 v8, v8, v11
	v_cmp_lt_u32_e64 s[4:5], s57, v8
	s_and_b64 s[8:9], s[4:5], exec
.LBB461_82:
	s_or_b64 exec, exec, s[10:11]
	v_mov_b32_e32 v12, 8
	v_cndmask_b32_e64 v8, 0, 1, vcc
	s_movk_i32 s4, 0xff
	v_lshrrev_b32_sdwa v25, v12, v9 dst_sel:BYTE_1 dst_unused:UNUSED_PAD src0_sel:DWORD src1_sel:DWORD
	v_or_b32_sdwa v25, v9, v25 dst_sel:DWORD dst_unused:UNUSED_PAD src0_sel:BYTE_0 src1_sel:DWORD
	v_lshlrev_b16_e32 v8, 8, v8
	v_and_b32_sdwa v9, v9, s4 dst_sel:DWORD dst_unused:UNUSED_PAD src0_sel:WORD_1 src1_sel:DWORD
	v_or_b32_sdwa v8, v9, v8 dst_sel:WORD_1 dst_unused:UNUSED_PAD src0_sel:DWORD src1_sel:DWORD
	v_cndmask_b32_e64 v11, 0, 1, s[8:9]
	v_or_b32_sdwa v38, v25, v8 dst_sel:DWORD dst_unused:UNUSED_PAD src0_sel:WORD_0 src1_sel:DWORD
	v_lshlrev_b16_e32 v8, 8, v10
	v_and_b32_sdwa v9, v7, s4 dst_sel:DWORD dst_unused:UNUSED_PAD src0_sel:WORD_1 src1_sel:DWORD
	v_lshrrev_b32_sdwa v7, v12, v7 dst_sel:BYTE_1 dst_unused:UNUSED_PAD src0_sel:DWORD src1_sel:DWORD
	v_or_b32_sdwa v8, v9, v8 dst_sel:WORD_1 dst_unused:UNUSED_PAD src0_sel:DWORD src1_sel:DWORD
	v_or_b32_e32 v7, v11, v7
	v_or_b32_sdwa v8, v7, v8 dst_sel:DWORD dst_unused:UNUSED_PAD src0_sel:WORD_0 src1_sel:DWORD
.LBB461_83:
	s_or_b64 exec, exec, s[6:7]
	v_add_u32_e32 v7, 8, v35
	v_cmp_le_u32_e32 vcc, s16, v7
	v_lshrrev_b32_e32 v10, 24, v8
	v_lshrrev_b32_e32 v11, 24, v6
                                        ; implicit-def: $vgpr9
                                        ; implicit-def: $vgpr7
	s_and_saveexec_b64 s[4:5], vcc
	s_xor_b64 s[4:5], exec, s[4:5]
	s_cbranch_execz .LBB461_85
; %bb.84:
	s_movk_i32 s6, 0xff
	v_lshlrev_b16_e32 v7, 8, v11
	v_and_b32_sdwa v9, v6, s6 dst_sel:DWORD dst_unused:UNUSED_PAD src0_sel:WORD_1 src1_sel:DWORD
	v_or_b32_sdwa v7, v9, v7 dst_sel:WORD_1 dst_unused:UNUSED_PAD src0_sel:DWORD src1_sel:DWORD
	v_mov_b32_e32 v9, 8
	v_lshrrev_b32_sdwa v7, v9, v6 dst_sel:BYTE_1 dst_unused:UNUSED_PRESERVE src0_sel:DWORD src1_sel:DWORD
	v_lshlrev_b16_e32 v6, 8, v10
	v_and_b32_sdwa v9, v8, s6 dst_sel:DWORD dst_unused:UNUSED_PAD src0_sel:WORD_1 src1_sel:DWORD
	s_mov_b32 s7, 0x3060504
	v_or_b32_e32 v6, v9, v6
	s_mov_b32 s6, 0x5040c00
	v_perm_b32 v5, v5, v5, s7
	v_perm_b32 v9, v6, v8, s6
                                        ; implicit-def: $vgpr11
                                        ; implicit-def: $vgpr6
                                        ; implicit-def: $vgpr8
                                        ; implicit-def: $vgpr10
.LBB461_85:
	s_andn2_saveexec_b64 s[6:7], s[4:5]
	s_cbranch_execz .LBB461_89
; %bb.86:
	v_add_u32_e32 v7, s37, v15
	v_add_u32_e32 v9, s39, v15
	v_mul_lo_u32 v7, v7, s36
	v_mul_lo_u32 v9, v9, s38
	s_mov_b64 s[8:9], 0
	v_sub_u32_e32 v7, v7, v9
	v_cmp_lt_u32_e32 vcc, s40, v7
	v_cmp_ge_u32_e64 s[4:5], s40, v7
	s_and_saveexec_b64 s[10:11], s[4:5]
	s_cbranch_execz .LBB461_88
; %bb.87:
	v_add_u32_e32 v7, s42, v15
	v_add_u32_e32 v9, s56, v15
	v_mul_lo_u32 v7, v7, s41
	v_mul_lo_u32 v9, v9, s43
	v_sub_u32_e32 v7, v7, v9
	v_cmp_lt_u32_e64 s[4:5], s57, v7
	s_and_b64 s[8:9], s[4:5], exec
.LBB461_88:
	s_or_b64 exec, exec, s[10:11]
	s_movk_i32 s4, 0xff
	v_lshlrev_b16_e32 v11, 8, v11
	v_and_b32_sdwa v12, v6, s4 dst_sel:DWORD dst_unused:UNUSED_PAD src0_sel:WORD_1 src1_sel:DWORD
	v_or_b32_sdwa v11, v12, v11 dst_sel:WORD_1 dst_unused:UNUSED_PAD src0_sel:DWORD src1_sel:DWORD
	v_mov_b32_e32 v12, 8
	v_cndmask_b32_e64 v7, 0, 1, vcc
	v_lshrrev_b32_sdwa v6, v12, v6 dst_sel:BYTE_1 dst_unused:UNUSED_PAD src0_sel:DWORD src1_sel:DWORD
	v_cndmask_b32_e64 v9, 0, 1, s[8:9]
	v_or_b32_e32 v6, v7, v6
	v_or_b32_sdwa v7, v6, v11 dst_sel:DWORD dst_unused:UNUSED_PAD src0_sel:WORD_0 src1_sel:DWORD
	v_lshlrev_b16_e32 v6, 8, v9
	v_or_b32_sdwa v6, v8, v6 dst_sel:DWORD dst_unused:UNUSED_PAD src0_sel:BYTE_0 src1_sel:DWORD
	v_lshlrev_b16_e32 v9, 8, v10
	v_and_b32_sdwa v8, v8, s4 dst_sel:DWORD dst_unused:UNUSED_PAD src0_sel:WORD_1 src1_sel:DWORD
	v_or_b32_sdwa v8, v8, v9 dst_sel:WORD_1 dst_unused:UNUSED_PAD src0_sel:DWORD src1_sel:DWORD
	v_or_b32_sdwa v9, v6, v8 dst_sel:DWORD dst_unused:UNUSED_PAD src0_sel:WORD_0 src1_sel:DWORD
.LBB461_89:
	s_or_b64 exec, exec, s[6:7]
	v_add_u32_e32 v6, 9, v35
	v_cmp_le_u32_e32 vcc, s16, v6
	v_lshrrev_b32_e32 v10, 24, v9
	v_lshrrev_b32_e32 v11, 24, v7
                                        ; implicit-def: $vgpr6
                                        ; implicit-def: $vgpr8
	s_and_saveexec_b64 s[4:5], vcc
	s_xor_b64 s[4:5], exec, s[4:5]
	s_cbranch_execz .LBB461_91
; %bb.90:
	s_mov_b32 s6, 0x40c0100
	v_perm_b32 v6, v10, v9, s6
	v_mov_b32_e32 v8, 8
	s_movk_i32 s6, 0xff
	v_lshrrev_b32_sdwa v9, v8, v6 dst_sel:BYTE_1 dst_unused:UNUSED_PAD src0_sel:DWORD src1_sel:DWORD
	v_lshlrev_b16_e32 v8, 8, v11
	v_and_b32_sdwa v10, v7, s6 dst_sel:DWORD dst_unused:UNUSED_PAD src0_sel:WORD_1 src1_sel:DWORD
	v_or_b32_e32 v8, v10, v8
	s_mov_b32 s6, 0x5040c00
	v_perm_b32 v8, v8, v7, s6
	s_mov_b32 s6, 0x3060504
	v_or_b32_sdwa v7, v6, v9 dst_sel:DWORD dst_unused:UNUSED_PAD src0_sel:BYTE_0 src1_sel:DWORD
	v_perm_b32 v5, v5, v5, s6
	v_and_b32_e32 v7, 0xffff, v7
	s_mov_b32 s6, 0xff000000
	v_and_or_b32 v6, v6, s6, v7
                                        ; implicit-def: $vgpr7
                                        ; implicit-def: $vgpr11
                                        ; implicit-def: $vgpr9
                                        ; implicit-def: $vgpr10
.LBB461_91:
	s_andn2_saveexec_b64 s[6:7], s[4:5]
	s_cbranch_execz .LBB461_95
; %bb.92:
	v_add_u32_e32 v6, s37, v16
	v_add_u32_e32 v8, s39, v16
	v_mul_lo_u32 v6, v6, s36
	v_mul_lo_u32 v8, v8, s38
	s_mov_b64 s[8:9], 0
	v_sub_u32_e32 v6, v6, v8
	v_cmp_lt_u32_e32 vcc, s40, v6
	v_cmp_ge_u32_e64 s[4:5], s40, v6
	s_and_saveexec_b64 s[10:11], s[4:5]
	s_cbranch_execz .LBB461_94
; %bb.93:
	v_add_u32_e32 v6, s42, v16
	v_add_u32_e32 v8, s56, v16
	v_mul_lo_u32 v6, v6, s41
	v_mul_lo_u32 v8, v8, s43
	v_sub_u32_e32 v6, v6, v8
	v_cmp_lt_u32_e64 s[4:5], s57, v6
	s_and_b64 s[8:9], s[4:5], exec
.LBB461_94:
	s_or_b64 exec, exec, s[10:11]
	v_cndmask_b32_e64 v6, 0, 1, vcc
	v_lshlrev_b16_e32 v6, 8, v6
	s_movk_i32 s4, 0xff
	v_or_b32_sdwa v6, v7, v6 dst_sel:DWORD dst_unused:UNUSED_PAD src0_sel:BYTE_0 src1_sel:DWORD
	v_lshlrev_b16_e32 v8, 8, v11
	v_and_b32_sdwa v7, v7, s4 dst_sel:DWORD dst_unused:UNUSED_PAD src0_sel:WORD_1 src1_sel:DWORD
	v_or_b32_sdwa v7, v7, v8 dst_sel:WORD_1 dst_unused:UNUSED_PAD src0_sel:DWORD src1_sel:DWORD
	v_or_b32_sdwa v8, v6, v7 dst_sel:DWORD dst_unused:UNUSED_PAD src0_sel:WORD_0 src1_sel:DWORD
	v_mov_b32_e32 v6, 8
	v_cndmask_b32_e64 v12, 0, 1, s[8:9]
	v_lshrrev_b32_sdwa v6, v6, v9 dst_sel:BYTE_1 dst_unused:UNUSED_PAD src0_sel:DWORD src1_sel:DWORD
	v_lshlrev_b16_e32 v7, 8, v10
	v_or_b32_sdwa v6, v9, v6 dst_sel:DWORD dst_unused:UNUSED_PAD src0_sel:BYTE_0 src1_sel:DWORD
	v_or_b32_sdwa v7, v12, v7 dst_sel:WORD_1 dst_unused:UNUSED_PAD src0_sel:DWORD src1_sel:DWORD
	v_or_b32_sdwa v6, v6, v7 dst_sel:DWORD dst_unused:UNUSED_PAD src0_sel:WORD_0 src1_sel:DWORD
.LBB461_95:
	s_or_b64 exec, exec, s[6:7]
	v_add_u32_e32 v7, 10, v35
	v_cmp_le_u32_e32 vcc, s16, v7
	v_lshrrev_b32_e32 v9, 24, v8
                                        ; implicit-def: $vgpr39
                                        ; implicit-def: $vgpr7
	s_and_saveexec_b64 s[4:5], vcc
	s_xor_b64 s[4:5], exec, s[4:5]
	s_cbranch_execz .LBB461_97
; %bb.96:
	s_mov_b32 s6, 0x40c0100
	v_perm_b32 v7, v9, v8, s6
	v_mov_b32_e32 v8, 8
	v_lshrrev_b32_sdwa v8, v8, v7 dst_sel:BYTE_1 dst_unused:UNUSED_PAD src0_sel:DWORD src1_sel:DWORD
	v_or_b32_sdwa v8, v7, v8 dst_sel:DWORD dst_unused:UNUSED_PAD src0_sel:BYTE_0 src1_sel:DWORD
	v_and_b32_e32 v8, 0xffff, v8
	s_mov_b32 s6, 0xff000000
	v_and_or_b32 v7, v7, s6, v8
	s_mov_b32 s6, 0x3060504
	v_and_b32_e32 v10, 0xff0000, v6
	v_perm_b32 v5, v5, v5, s6
	s_mov_b32 s6, 0x3020504
	v_perm_b32 v39, v6, v10, s6
                                        ; implicit-def: $vgpr8
                                        ; implicit-def: $vgpr9
                                        ; implicit-def: $vgpr6
.LBB461_97:
	s_andn2_saveexec_b64 s[6:7], s[4:5]
	s_cbranch_execz .LBB461_101
; %bb.98:
	v_add_u32_e32 v7, s37, v13
	v_add_u32_e32 v10, s39, v13
	v_mul_lo_u32 v7, v7, s36
	v_mul_lo_u32 v10, v10, s38
	s_mov_b64 s[8:9], 0
	v_sub_u32_e32 v7, v7, v10
	v_cmp_lt_u32_e32 vcc, s40, v7
	v_cmp_ge_u32_e64 s[4:5], s40, v7
	s_and_saveexec_b64 s[10:11], s[4:5]
	s_cbranch_execz .LBB461_100
; %bb.99:
	v_add_u32_e32 v7, s42, v13
	v_add_u32_e32 v10, s56, v13
	v_mul_lo_u32 v7, v7, s41
	v_mul_lo_u32 v10, v10, s43
	v_sub_u32_e32 v7, v7, v10
	v_cmp_lt_u32_e64 s[4:5], s57, v7
	s_and_b64 s[8:9], s[4:5], exec
.LBB461_100:
	s_or_b64 exec, exec, s[10:11]
	v_mov_b32_e32 v11, 8
	v_cndmask_b32_e64 v7, 0, 1, vcc
	v_lshrrev_b32_sdwa v12, v11, v8 dst_sel:BYTE_1 dst_unused:UNUSED_PAD src0_sel:DWORD src1_sel:DWORD
	v_lshlrev_b16_e32 v9, 8, v9
	v_or_b32_sdwa v8, v8, v12 dst_sel:DWORD dst_unused:UNUSED_PAD src0_sel:BYTE_0 src1_sel:DWORD
	v_or_b32_sdwa v7, v7, v9 dst_sel:WORD_1 dst_unused:UNUSED_PAD src0_sel:DWORD src1_sel:DWORD
	v_cndmask_b32_e64 v10, 0, 1, s[8:9]
	s_movk_i32 s4, 0xff
	v_or_b32_sdwa v7, v8, v7 dst_sel:DWORD dst_unused:UNUSED_PAD src0_sel:WORD_0 src1_sel:DWORD
	v_lshrrev_b32_sdwa v8, v11, v6 dst_sel:BYTE_1 dst_unused:UNUSED_PAD src0_sel:DWORD src1_sel:DWORD
	v_or_b32_sdwa v8, v6, v8 dst_sel:DWORD dst_unused:UNUSED_PAD src0_sel:BYTE_0 src1_sel:DWORD
	v_lshlrev_b16_e32 v9, 8, v10
	v_and_b32_sdwa v6, v6, s4 dst_sel:DWORD dst_unused:UNUSED_PAD src0_sel:WORD_1 src1_sel:DWORD
	v_or_b32_sdwa v6, v6, v9 dst_sel:WORD_1 dst_unused:UNUSED_PAD src0_sel:DWORD src1_sel:DWORD
	v_or_b32_sdwa v39, v8, v6 dst_sel:DWORD dst_unused:UNUSED_PAD src0_sel:WORD_0 src1_sel:DWORD
.LBB461_101:
	s_or_b64 exec, exec, s[6:7]
	v_add_u32_e32 v6, 11, v35
	v_mov_b32_e32 v40, 0
	v_cmp_le_u32_e32 vcc, s16, v6
                                        ; implicit-def: $vgpr41
	s_and_saveexec_b64 s[4:5], vcc
	s_xor_b64 s[4:5], exec, s[4:5]
; %bb.102:
	v_and_b32_e32 v6, 0xff0000, v7
	s_mov_b32 s6, 0x3020504
	v_perm_b32 v41, v7, v6, s6
	s_mov_b32 s6, 0x3060504
	v_perm_b32 v5, v5, v5, s6
                                        ; implicit-def: $vgpr7
; %bb.103:
	s_andn2_saveexec_b64 s[6:7], s[4:5]
	s_cbranch_execz .LBB461_107
; %bb.104:
	v_add_u32_e32 v6, s37, v14
	v_add_u32_e32 v8, s39, v14
	v_mul_lo_u32 v6, v6, s36
	v_mul_lo_u32 v8, v8, s38
	s_mov_b64 s[8:9], 0
	v_sub_u32_e32 v6, v6, v8
	v_cmp_lt_u32_e32 vcc, s40, v6
	v_cmp_ge_u32_e64 s[4:5], s40, v6
	s_and_saveexec_b64 s[10:11], s[4:5]
	s_cbranch_execz .LBB461_106
; %bb.105:
	v_add_u32_e32 v6, s42, v14
	v_add_u32_e32 v8, s56, v14
	v_mul_lo_u32 v6, v6, s41
	v_mul_lo_u32 v8, v8, s43
	v_sub_u32_e32 v6, v6, v8
	v_cmp_lt_u32_e64 s[4:5], s57, v6
	s_and_b64 s[8:9], s[4:5], exec
.LBB461_106:
	s_or_b64 exec, exec, s[10:11]
	v_mov_b32_e32 v8, 8
	v_cndmask_b32_e64 v6, 0, 1, vcc
	s_movk_i32 s4, 0xff
	v_lshrrev_b32_sdwa v8, v8, v7 dst_sel:BYTE_1 dst_unused:UNUSED_PAD src0_sel:DWORD src1_sel:DWORD
	v_or_b32_sdwa v8, v7, v8 dst_sel:DWORD dst_unused:UNUSED_PAD src0_sel:BYTE_0 src1_sel:DWORD
	v_lshlrev_b16_e32 v6, 8, v6
	v_and_b32_sdwa v7, v7, s4 dst_sel:DWORD dst_unused:UNUSED_PAD src0_sel:WORD_1 src1_sel:DWORD
	v_or_b32_sdwa v6, v7, v6 dst_sel:WORD_1 dst_unused:UNUSED_PAD src0_sel:DWORD src1_sel:DWORD
	v_cndmask_b32_e64 v40, 0, 1, s[8:9]
	v_or_b32_sdwa v41, v8, v6 dst_sel:DWORD dst_unused:UNUSED_PAD src0_sel:WORD_0 src1_sel:DWORD
.LBB461_107:
	s_or_b64 exec, exec, s[6:7]
	v_add_u32_e32 v6, 12, v35
	v_cmp_le_u32_e32 vcc, s16, v6
	v_lshrrev_b32_e32 v6, 24, v5
                                        ; implicit-def: $vgpr42
	s_and_saveexec_b64 s[4:5], vcc
	s_xor_b64 s[4:5], exec, s[4:5]
; %bb.108:
	s_movk_i32 s6, 0xff
	v_lshlrev_b16_e32 v6, 8, v6
	v_and_b32_sdwa v8, v5, s6 dst_sel:DWORD dst_unused:UNUSED_PAD src0_sel:WORD_1 src1_sel:DWORD
	v_mov_b32_e32 v7, 8
	v_or_b32_sdwa v42, v8, v6 dst_sel:WORD_1 dst_unused:UNUSED_PAD src0_sel:DWORD src1_sel:DWORD
	v_lshrrev_b32_sdwa v42, v7, v5 dst_sel:BYTE_1 dst_unused:UNUSED_PRESERVE src0_sel:DWORD src1_sel:DWORD
                                        ; implicit-def: $vgpr6
                                        ; implicit-def: $vgpr5
; %bb.109:
	s_or_saveexec_b64 s[6:7], s[4:5]
	v_mov_b32_e32 v43, 0
	s_xor_b64 exec, exec, s[6:7]
	s_cbranch_execz .LBB461_113
; %bb.110:
	v_add_u32_e32 v7, s37, v34
	v_add_u32_e32 v8, s39, v34
	v_mul_lo_u32 v7, v7, s36
	v_mul_lo_u32 v8, v8, s38
	s_mov_b64 s[8:9], 0
	v_sub_u32_e32 v7, v7, v8
	v_cmp_lt_u32_e32 vcc, s40, v7
	v_cmp_ge_u32_e64 s[4:5], s40, v7
	s_and_saveexec_b64 s[10:11], s[4:5]
	s_cbranch_execz .LBB461_112
; %bb.111:
	v_add_u32_e32 v7, s42, v34
	v_add_u32_e32 v8, s56, v34
	v_mul_lo_u32 v7, v7, s41
	v_mul_lo_u32 v8, v8, s43
	v_sub_u32_e32 v7, v7, v8
	v_cmp_lt_u32_e64 s[4:5], s57, v7
	s_and_b64 s[8:9], s[4:5], exec
.LBB461_112:
	s_or_b64 exec, exec, s[10:11]
	s_movk_i32 s4, 0xff
	v_lshlrev_b16_e32 v6, 8, v6
	v_and_b32_sdwa v8, v5, s4 dst_sel:DWORD dst_unused:UNUSED_PAD src0_sel:WORD_1 src1_sel:DWORD
	v_or_b32_sdwa v6, v8, v6 dst_sel:WORD_1 dst_unused:UNUSED_PAD src0_sel:DWORD src1_sel:DWORD
	v_mov_b32_e32 v8, 8
	v_cndmask_b32_e64 v7, 0, 1, vcc
	v_lshrrev_b32_sdwa v5, v8, v5 dst_sel:BYTE_1 dst_unused:UNUSED_PAD src0_sel:DWORD src1_sel:DWORD
	v_or_b32_e32 v5, v7, v5
	v_cndmask_b32_e64 v43, 0, 1, s[8:9]
	v_or_b32_sdwa v42, v5, v6 dst_sel:DWORD dst_unused:UNUSED_PAD src0_sel:WORD_0 src1_sel:DWORD
.LBB461_113:
	s_or_b64 exec, exec, s[6:7]
.LBB461_114:
	v_and_b32_e32 v53, 0xff, v36
	v_bfe_u32 v50, v36, 8, 8
	v_bfe_u32 v55, v36, 16, 8
	v_lshrrev_b32_e32 v48, 24, v36
	v_and_b32_e32 v56, 0xff, v38
	v_add3_u32 v8, v50, v53, v55
	v_bfe_u32 v51, v38, 8, 8
	v_bfe_u32 v58, v38, 16, 8
	v_add3_u32 v8, v8, v48, v56
	v_bfe_u32 v54, v42, 8, 8
	v_bfe_u32 v62, v42, 16, 8
	v_lshrrev_b32_e32 v49, 24, v42
	v_lshrrev_b32_e32 v46, 24, v38
	v_and_b32_e32 v59, 0xff, v41
	v_add3_u32 v8, v8, v51, v58
	v_and_b32_e32 v63, 0xff, v37
	v_bfe_u32 v57, v37, 8, 8
	v_bfe_u32 v52, v41, 8, 8
	;; [unrolled: 1-line block ×3, first 2 shown]
	v_add3_u32 v7, v62, v54, v49
	v_add3_u32 v8, v8, v46, v59
	v_bfe_u32 v64, v37, 16, 8
	v_lshrrev_b32_e32 v47, 24, v37
	v_lshrrev_b32_e32 v44, 24, v41
	v_and_b32_e32 v5, 0xff, v42
	v_add3_u32 v7, v7, v63, v57
	v_add3_u32 v8, v8, v52, v61
	v_and_b32_e32 v65, 0xff, v39
	v_bfe_u32 v60, v39, 8, 8
	v_add3_u32 v7, v7, v64, v47
	v_add3_u32 v73, v8, v44, v5
	v_mbcnt_lo_u32_b32 v5, -1, 0
	v_bfe_u32 v66, v39, 16, 8
	v_lshrrev_b32_e32 v45, 24, v39
	v_add3_u32 v7, v7, v65, v60
	v_mbcnt_hi_u32_b32 v68, -1, v5
	v_and_b32_e32 v67, 0xff, v40
	v_and_b32_e32 v6, 0xff, v43
	v_add3_u32 v7, v7, v66, v45
	v_and_b32_e32 v72, 15, v68
	s_cmp_lg_u32 s33, 0
	v_add3_u32 v74, v7, v67, v6
	v_cmp_eq_u32_e64 s[6:7], 0, v72
	v_cmp_lt_u32_e64 s[4:5], 1, v72
	v_cmp_lt_u32_e64 s[10:11], 3, v72
	;; [unrolled: 1-line block ×3, first 2 shown]
	v_and_b32_e32 v71, 16, v68
	v_cmp_lt_u32_e32 vcc, 31, v68
	v_lshrrev_b32_e32 v69, 6, v0
	v_or_b32_e32 v70, 63, v0
	s_cbranch_scc0 .LBB461_136
; %bb.115:
	v_mov_b32_dpp v5, v73 row_shr:1 row_mask:0xf bank_mask:0xf
	v_mov_b32_dpp v6, v74 row_shr:1 row_mask:0xf bank_mask:0xf
	v_add_u32_e32 v5, v5, v73
	v_add_u32_e32 v6, v6, v74
	v_cndmask_b32_e64 v6, v6, v74, s[6:7]
	v_cndmask_b32_e64 v5, v5, v73, s[6:7]
	s_nop 0
	v_mov_b32_dpp v8, v6 row_shr:2 row_mask:0xf bank_mask:0xf
	v_mov_b32_dpp v7, v5 row_shr:2 row_mask:0xf bank_mask:0xf
	v_add_u32_e32 v7, v5, v7
	v_add_u32_e32 v8, v6, v8
	v_cndmask_b32_e64 v6, v6, v8, s[4:5]
	v_cndmask_b32_e64 v5, v5, v7, s[4:5]
	s_nop 0
	;; [unrolled: 7-line block ×3, first 2 shown]
	v_mov_b32_dpp v8, v6 row_shr:8 row_mask:0xf bank_mask:0xf
	v_mov_b32_dpp v7, v5 row_shr:8 row_mask:0xf bank_mask:0xf
	v_add_u32_e32 v7, v5, v7
	v_add_u32_e32 v8, v6, v8
	v_cndmask_b32_e64 v6, v6, v8, s[8:9]
	v_cndmask_b32_e64 v7, v5, v7, s[8:9]
	v_cmp_eq_u32_e64 s[8:9], 0, v71
	v_mov_b32_dpp v8, v6 row_bcast:15 row_mask:0xf bank_mask:0xf
	v_mov_b32_dpp v5, v7 row_bcast:15 row_mask:0xf bank_mask:0xf
	v_add_u32_e32 v9, v7, v5
	v_add_u32_e32 v5, v6, v8
	v_cndmask_b32_e64 v5, v5, v6, s[8:9]
	v_cndmask_b32_e64 v6, v9, v7, s[8:9]
	v_cmp_eq_u32_e64 s[8:9], v0, v70
	v_mov_b32_dpp v7, v5 row_bcast:31 row_mask:0xf bank_mask:0xf
	v_mov_b32_dpp v8, v6 row_bcast:31 row_mask:0xf bank_mask:0xf
	v_add_u32_e32 v7, v5, v7
	v_add_u32_e32 v8, v6, v8
	s_and_saveexec_b64 s[10:11], s[8:9]
; %bb.116:
	v_lshlrev_b32_e32 v11, 3, v69
	v_cndmask_b32_e32 v10, v5, v7, vcc
	v_cndmask_b32_e32 v9, v6, v8, vcc
	ds_write_b64 v11, v[9:10]
; %bb.117:
	s_or_b64 exec, exec, s[10:11]
	v_cmp_gt_u32_e64 s[8:9], 4, v0
	s_waitcnt lgkmcnt(0)
	s_barrier
	s_and_saveexec_b64 s[10:11], s[8:9]
	s_cbranch_execz .LBB461_119
; %bb.118:
	v_lshlrev_b32_e32 v11, 3, v0
	ds_read_b64 v[9:10], v11
	v_and_b32_e32 v12, 3, v68
	v_cmp_eq_u32_e64 s[8:9], 0, v12
	s_waitcnt lgkmcnt(0)
	v_mov_b32_dpp v25, v9 row_shr:1 row_mask:0xf bank_mask:0xf
	v_mov_b32_dpp v26, v10 row_shr:1 row_mask:0xf bank_mask:0xf
	v_add_u32_e32 v25, v25, v9
	v_add_u32_e32 v26, v26, v10
	v_cndmask_b32_e64 v10, v26, v10, s[8:9]
	v_cndmask_b32_e64 v9, v25, v9, s[8:9]
	v_cmp_lt_u32_e64 s[8:9], 1, v12
	v_mov_b32_dpp v26, v10 row_shr:2 row_mask:0xf bank_mask:0xf
	v_mov_b32_dpp v25, v9 row_shr:2 row_mask:0xf bank_mask:0xf
	v_cndmask_b32_e64 v12, 0, v25, s[8:9]
	v_cndmask_b32_e64 v25, 0, v26, s[8:9]
	v_add_u32_e32 v10, v25, v10
	v_add_u32_e32 v9, v12, v9
	ds_write_b64 v11, v[9:10]
.LBB461_119:
	s_or_b64 exec, exec, s[10:11]
	v_cndmask_b32_e32 v5, v5, v7, vcc
	v_cndmask_b32_e32 v6, v6, v8, vcc
	v_cmp_gt_u32_e32 vcc, 64, v0
	v_cmp_lt_u32_e64 s[8:9], 63, v0
	s_waitcnt lgkmcnt(0)
	s_barrier
                                        ; implicit-def: $vgpr25
	s_and_saveexec_b64 s[10:11], s[8:9]
	s_cbranch_execz .LBB461_121
; %bb.120:
	v_lshl_add_u32 v7, v69, 3, -8
	ds_read_b64 v[25:26], v7
	s_waitcnt lgkmcnt(0)
	v_add_u32_e32 v5, v26, v5
	v_add_u32_e32 v6, v25, v6
.LBB461_121:
	s_or_b64 exec, exec, s[10:11]
	v_subrev_co_u32_e64 v7, s[8:9], 1, v68
	v_and_b32_e32 v8, 64, v68
	v_cmp_lt_i32_e64 s[10:11], v7, v8
	v_cndmask_b32_e64 v7, v7, v68, s[10:11]
	v_lshlrev_b32_e32 v7, 2, v7
	ds_bpermute_b32 v75, v7, v6
	ds_bpermute_b32 v76, v7, v5
	s_and_saveexec_b64 s[10:11], vcc
	s_cbranch_execz .LBB461_141
; %bb.122:
	v_mov_b32_e32 v8, 0
	ds_read_b64 v[5:6], v8 offset:24
	s_and_saveexec_b64 s[12:13], s[8:9]
	s_cbranch_execz .LBB461_124
; %bb.123:
	s_add_i32 s14, s33, 64
	s_mov_b32 s15, 0
	s_lshl_b64 s[14:15], s[14:15], 4
	s_add_u32 s14, s54, s14
	s_addc_u32 s15, s55, s15
	v_mov_b32_e32 v9, s14
	v_mov_b32_e32 v7, 1
	;; [unrolled: 1-line block ×3, first 2 shown]
	s_waitcnt lgkmcnt(0)
	;;#ASMSTART
	global_store_dwordx4 v[9:10], v[5:8] off	
s_waitcnt vmcnt(0)
	;;#ASMEND
.LBB461_124:
	s_or_b64 exec, exec, s[12:13]
	v_xad_u32 v27, v68, -1, s33
	v_add_u32_e32 v7, 64, v27
	v_lshlrev_b64 v[9:10], 4, v[7:8]
	v_mov_b32_e32 v7, s55
	v_add_co_u32_e32 v28, vcc, s54, v9
	v_addc_co_u32_e32 v29, vcc, v7, v10, vcc
	;;#ASMSTART
	global_load_dwordx4 v[9:12], v[28:29] off glc	
s_waitcnt vmcnt(0)
	;;#ASMEND
	v_cmp_eq_u16_sdwa s[14:15], v11, v8 src0_sel:BYTE_0 src1_sel:DWORD
	s_and_saveexec_b64 s[12:13], s[14:15]
	s_cbranch_execz .LBB461_128
; %bb.125:
	s_mov_b64 s[14:15], 0
	v_mov_b32_e32 v7, 0
.LBB461_126:                            ; =>This Inner Loop Header: Depth=1
	;;#ASMSTART
	global_load_dwordx4 v[9:12], v[28:29] off glc	
s_waitcnt vmcnt(0)
	;;#ASMEND
	v_cmp_ne_u16_sdwa s[18:19], v11, v7 src0_sel:BYTE_0 src1_sel:DWORD
	s_or_b64 s[14:15], s[18:19], s[14:15]
	s_andn2_b64 exec, exec, s[14:15]
	s_cbranch_execnz .LBB461_126
; %bb.127:
	s_or_b64 exec, exec, s[14:15]
.LBB461_128:
	s_or_b64 exec, exec, s[12:13]
	v_and_b32_e32 v78, 63, v68
	v_cmp_ne_u32_e32 vcc, 63, v78
	v_mov_b32_e32 v77, 2
	v_lshlrev_b64 v[29:30], v68, -1
	v_addc_co_u32_e32 v12, vcc, 0, v68, vcc
	v_cmp_eq_u16_sdwa s[12:13], v11, v77 src0_sel:BYTE_0 src1_sel:DWORD
	v_lshlrev_b32_e32 v79, 2, v12
	v_and_b32_e32 v7, s13, v30
	ds_bpermute_b32 v12, v79, v9
	ds_bpermute_b32 v28, v79, v10
	v_or_b32_e32 v7, 0x80000000, v7
	v_and_b32_e32 v8, s12, v29
	v_ffbl_b32_e32 v7, v7
	v_add_u32_e32 v7, 32, v7
	v_ffbl_b32_e32 v8, v8
	v_min_u32_e32 v7, v8, v7
	s_waitcnt lgkmcnt(1)
	v_add_u32_e32 v8, v12, v9
	s_waitcnt lgkmcnt(0)
	v_add_u32_e32 v12, v28, v10
	v_cmp_lt_u32_e32 vcc, v78, v7
	v_cndmask_b32_e32 v10, v10, v12, vcc
	v_cndmask_b32_e32 v8, v9, v8, vcc
	v_cmp_gt_u32_e32 vcc, 62, v78
	v_cndmask_b32_e64 v9, 0, 2, vcc
	v_add_lshl_u32 v80, v9, v68, 2
	ds_bpermute_b32 v9, v80, v8
	ds_bpermute_b32 v12, v80, v10
	v_add_u32_e32 v81, 2, v78
	v_cmp_gt_u32_e32 vcc, v81, v7
	v_add_u32_e32 v83, 4, v78
	s_waitcnt lgkmcnt(1)
	v_add_u32_e32 v9, v8, v9
	s_waitcnt lgkmcnt(0)
	v_add_u32_e32 v12, v10, v12
	v_cndmask_b32_e32 v10, v12, v10, vcc
	v_cndmask_b32_e32 v8, v9, v8, vcc
	v_cmp_gt_u32_e32 vcc, 60, v78
	v_cndmask_b32_e64 v9, 0, 4, vcc
	v_add_lshl_u32 v82, v9, v68, 2
	ds_bpermute_b32 v9, v82, v8
	ds_bpermute_b32 v12, v82, v10
	v_cmp_gt_u32_e32 vcc, v83, v7
	v_add_u32_e32 v85, 8, v78
	v_add_u32_e32 v87, 16, v78
	s_waitcnt lgkmcnt(1)
	v_add_u32_e32 v9, v8, v9
	s_waitcnt lgkmcnt(0)
	v_add_u32_e32 v12, v10, v12
	v_cndmask_b32_e32 v10, v12, v10, vcc
	v_cndmask_b32_e32 v8, v9, v8, vcc
	v_cmp_gt_u32_e32 vcc, 56, v78
	v_cndmask_b32_e64 v9, 0, 8, vcc
	v_add_lshl_u32 v84, v9, v68, 2
	ds_bpermute_b32 v9, v84, v8
	ds_bpermute_b32 v12, v84, v10
	v_cmp_gt_u32_e32 vcc, v85, v7
	v_add_u32_e32 v89, 32, v78
	v_mov_b32_e32 v28, 0
	s_waitcnt lgkmcnt(1)
	v_add_u32_e32 v9, v8, v9
	s_waitcnt lgkmcnt(0)
	v_add_u32_e32 v12, v10, v12
	v_cndmask_b32_e32 v10, v12, v10, vcc
	v_cndmask_b32_e32 v8, v9, v8, vcc
	v_cmp_gt_u32_e32 vcc, 48, v78
	v_cndmask_b32_e64 v9, 0, 16, vcc
	v_add_lshl_u32 v86, v9, v68, 2
	ds_bpermute_b32 v9, v86, v8
	ds_bpermute_b32 v12, v86, v10
	v_cmp_gt_u32_e32 vcc, v87, v7
	s_waitcnt lgkmcnt(1)
	v_add_u32_e32 v9, v8, v9
	s_waitcnt lgkmcnt(0)
	v_add_u32_e32 v12, v10, v12
	v_cndmask_b32_e32 v8, v9, v8, vcc
	v_mov_b32_e32 v9, 0x80
	v_cndmask_b32_e32 v10, v12, v10, vcc
	v_lshl_or_b32 v88, v68, 2, v9
	ds_bpermute_b32 v9, v88, v8
	ds_bpermute_b32 v12, v88, v10
	v_cmp_le_u32_e32 vcc, v89, v7
	s_waitcnt lgkmcnt(1)
	v_cndmask_b32_e32 v7, 0, v9, vcc
	s_waitcnt lgkmcnt(0)
	v_cndmask_b32_e32 v9, 0, v12, vcc
	v_add_u32_e32 v10, v10, v9
	v_add_u32_e32 v9, v8, v7
	s_branch .LBB461_132
.LBB461_129:                            ;   in Loop: Header=BB461_132 Depth=1
	s_or_b64 exec, exec, s[14:15]
.LBB461_130:                            ;   in Loop: Header=BB461_132 Depth=1
	s_or_b64 exec, exec, s[12:13]
	v_cmp_eq_u16_sdwa s[12:13], v11, v77 src0_sel:BYTE_0 src1_sel:DWORD
	v_and_b32_e32 v12, s13, v30
	ds_bpermute_b32 v32, v79, v9
	ds_bpermute_b32 v90, v79, v10
	v_or_b32_e32 v12, 0x80000000, v12
	v_and_b32_e32 v31, s12, v29
	v_ffbl_b32_e32 v12, v12
	v_add_u32_e32 v12, 32, v12
	v_ffbl_b32_e32 v31, v31
	v_min_u32_e32 v12, v31, v12
	s_waitcnt lgkmcnt(1)
	v_add_u32_e32 v31, v32, v9
	s_waitcnt lgkmcnt(0)
	v_add_u32_e32 v32, v90, v10
	v_cmp_lt_u32_e32 vcc, v78, v12
	v_cndmask_b32_e32 v10, v10, v32, vcc
	v_cndmask_b32_e32 v9, v9, v31, vcc
	ds_bpermute_b32 v31, v80, v9
	ds_bpermute_b32 v32, v80, v10
	v_cmp_gt_u32_e32 vcc, v81, v12
	v_subrev_u32_e32 v27, 64, v27
	s_mov_b64 s[12:13], 0
	s_waitcnt lgkmcnt(1)
	v_add_u32_e32 v31, v9, v31
	s_waitcnt lgkmcnt(0)
	v_add_u32_e32 v32, v10, v32
	v_cndmask_b32_e32 v10, v32, v10, vcc
	v_cndmask_b32_e32 v9, v31, v9, vcc
	ds_bpermute_b32 v31, v82, v9
	ds_bpermute_b32 v32, v82, v10
	v_cmp_gt_u32_e32 vcc, v83, v12
	s_waitcnt lgkmcnt(1)
	v_add_u32_e32 v31, v9, v31
	s_waitcnt lgkmcnt(0)
	v_add_u32_e32 v32, v10, v32
	v_cndmask_b32_e32 v10, v32, v10, vcc
	v_cndmask_b32_e32 v9, v31, v9, vcc
	ds_bpermute_b32 v31, v84, v9
	ds_bpermute_b32 v32, v84, v10
	v_cmp_gt_u32_e32 vcc, v85, v12
	;; [unrolled: 9-line block ×3, first 2 shown]
	s_waitcnt lgkmcnt(1)
	v_add_u32_e32 v31, v9, v31
	s_waitcnt lgkmcnt(0)
	v_add_u32_e32 v32, v10, v32
	v_cndmask_b32_e32 v10, v32, v10, vcc
	v_cndmask_b32_e32 v9, v31, v9, vcc
	ds_bpermute_b32 v31, v88, v9
	ds_bpermute_b32 v32, v88, v10
	v_cmp_le_u32_e32 vcc, v89, v12
	s_waitcnt lgkmcnt(1)
	v_cndmask_b32_e32 v12, 0, v31, vcc
	s_waitcnt lgkmcnt(0)
	v_cndmask_b32_e32 v31, 0, v32, vcc
	v_add3_u32 v10, v31, v8, v10
	v_add3_u32 v9, v12, v7, v9
.LBB461_131:                            ;   in Loop: Header=BB461_132 Depth=1
	s_and_b64 vcc, exec, s[12:13]
	s_cbranch_vccnz .LBB461_137
.LBB461_132:                            ; =>This Loop Header: Depth=1
                                        ;     Child Loop BB461_135 Depth 2
	v_mov_b32_e32 v7, v9
	v_cmp_ne_u16_sdwa s[12:13], v11, v77 src0_sel:BYTE_0 src1_sel:DWORD
	v_mov_b32_e32 v8, v10
	s_cmp_lg_u64 s[12:13], exec
	s_mov_b64 s[12:13], -1
                                        ; implicit-def: $vgpr11
                                        ; implicit-def: $vgpr9_vgpr10
	s_cbranch_scc1 .LBB461_131
; %bb.133:                              ;   in Loop: Header=BB461_132 Depth=1
	v_lshlrev_b64 v[9:10], 4, v[27:28]
	v_mov_b32_e32 v11, s55
	v_add_co_u32_e32 v31, vcc, s54, v9
	v_addc_co_u32_e32 v32, vcc, v11, v10, vcc
	;;#ASMSTART
	global_load_dwordx4 v[9:12], v[31:32] off glc	
s_waitcnt vmcnt(0)
	;;#ASMEND
	v_cmp_eq_u16_sdwa s[14:15], v11, v28 src0_sel:BYTE_0 src1_sel:DWORD
	s_and_saveexec_b64 s[12:13], s[14:15]
	s_cbranch_execz .LBB461_130
; %bb.134:                              ;   in Loop: Header=BB461_132 Depth=1
	s_mov_b64 s[14:15], 0
.LBB461_135:                            ;   Parent Loop BB461_132 Depth=1
                                        ; =>  This Inner Loop Header: Depth=2
	;;#ASMSTART
	global_load_dwordx4 v[9:12], v[31:32] off glc	
s_waitcnt vmcnt(0)
	;;#ASMEND
	v_cmp_ne_u16_sdwa s[18:19], v11, v28 src0_sel:BYTE_0 src1_sel:DWORD
	s_or_b64 s[14:15], s[18:19], s[14:15]
	s_andn2_b64 exec, exec, s[14:15]
	s_cbranch_execnz .LBB461_135
	s_branch .LBB461_129
.LBB461_136:
                                        ; implicit-def: $vgpr12
                                        ; implicit-def: $vgpr7
                                        ; implicit-def: $vgpr25
	s_cbranch_execnz .LBB461_142
	s_branch .LBB461_151
.LBB461_137:
	s_and_saveexec_b64 s[12:13], s[8:9]
	s_cbranch_execnz .LBB461_379
; %bb.138:
	s_or_b64 exec, exec, s[12:13]
	s_and_saveexec_b64 s[12:13], s[8:9]
	s_cbranch_execnz .LBB461_380
.LBB461_139:
	s_or_b64 exec, exec, s[12:13]
	s_and_b64 exec, exec, s[0:1]
.LBB461_140:
	v_mov_b32_e32 v5, 0
	ds_write_b64 v5, v[7:8] offset:24
.LBB461_141:
	s_or_b64 exec, exec, s[10:11]
	v_mov_b32_e32 v5, 0
	s_waitcnt lgkmcnt(0)
	s_barrier
	ds_read_b64 v[9:10], v5 offset:24
	v_cndmask_b32_e64 v6, v75, v25, s[8:9]
	s_waitcnt lgkmcnt(0)
	s_barrier
	v_add_u32_e32 v25, v9, v6
	ds_read_b128 v[5:8], v5 offset:13312
	v_cndmask_b32_e64 v11, v76, v26, s[8:9]
	v_add_u32_e32 v11, v10, v11
	v_cndmask_b32_e64 v12, v11, v10, s[0:1]
	v_cndmask_b32_e64 v25, v25, v9, s[0:1]
	s_branch .LBB461_151
.LBB461_142:
	s_waitcnt lgkmcnt(0)
	v_mov_b32_dpp v5, v73 row_shr:1 row_mask:0xf bank_mask:0xf
	v_mov_b32_dpp v6, v74 row_shr:1 row_mask:0xf bank_mask:0xf
	v_add_u32_e32 v5, v5, v73
	v_add_u32_e32 v6, v6, v74
	v_cndmask_b32_e64 v6, v6, v74, s[6:7]
	v_cndmask_b32_e64 v5, v5, v73, s[6:7]
	v_cmp_lt_u32_e32 vcc, 3, v72
	v_mov_b32_dpp v8, v6 row_shr:2 row_mask:0xf bank_mask:0xf
	v_mov_b32_dpp v7, v5 row_shr:2 row_mask:0xf bank_mask:0xf
	v_add_u32_e32 v7, v5, v7
	v_add_u32_e32 v8, v6, v8
	v_cndmask_b32_e64 v6, v6, v8, s[4:5]
	v_cndmask_b32_e64 v5, v5, v7, s[4:5]
	v_cmp_eq_u32_e64 s[4:5], v0, v70
	v_mov_b32_dpp v8, v6 row_shr:4 row_mask:0xf bank_mask:0xf
	v_mov_b32_dpp v7, v5 row_shr:4 row_mask:0xf bank_mask:0xf
	v_add_u32_e32 v7, v5, v7
	v_add_u32_e32 v8, v6, v8
	v_cndmask_b32_e32 v6, v6, v8, vcc
	v_cndmask_b32_e32 v5, v5, v7, vcc
	v_cmp_lt_u32_e32 vcc, 7, v72
	v_mov_b32_dpp v8, v6 row_shr:8 row_mask:0xf bank_mask:0xf
	v_mov_b32_dpp v7, v5 row_shr:8 row_mask:0xf bank_mask:0xf
	v_add_u32_e32 v7, v5, v7
	v_add_u32_e32 v8, v6, v8
	v_cndmask_b32_e32 v6, v6, v8, vcc
	v_cndmask_b32_e32 v7, v5, v7, vcc
	v_cmp_eq_u32_e32 vcc, 0, v71
	v_mov_b32_dpp v8, v6 row_bcast:15 row_mask:0xf bank_mask:0xf
	v_mov_b32_dpp v5, v7 row_bcast:15 row_mask:0xf bank_mask:0xf
	v_add_u32_e32 v9, v7, v5
	v_add_u32_e32 v5, v6, v8
	v_cndmask_b32_e32 v5, v5, v6, vcc
	v_cndmask_b32_e32 v6, v9, v7, vcc
	v_cmp_lt_u32_e32 vcc, 31, v68
	v_mov_b32_dpp v7, v5 row_bcast:31 row_mask:0xf bank_mask:0xf
	v_mov_b32_dpp v8, v6 row_bcast:31 row_mask:0xf bank_mask:0xf
	v_add_u32_e32 v7, v5, v7
	v_add_u32_e32 v8, v6, v8
	s_and_saveexec_b64 s[6:7], s[4:5]
; %bb.143:
	v_cndmask_b32_e32 v9, v6, v8, vcc
	v_cndmask_b32_e32 v10, v5, v7, vcc
	v_lshlrev_b32_e32 v11, 3, v69
	ds_write_b64 v11, v[9:10]
; %bb.144:
	s_or_b64 exec, exec, s[6:7]
	v_cmp_gt_u32_e64 s[4:5], 4, v0
	s_waitcnt lgkmcnt(0)
	s_barrier
	s_and_saveexec_b64 s[6:7], s[4:5]
	s_cbranch_execz .LBB461_146
; %bb.145:
	v_lshlrev_b32_e32 v11, 3, v0
	ds_read_b64 v[9:10], v11
	v_and_b32_e32 v12, 3, v68
	v_cmp_eq_u32_e64 s[4:5], 0, v12
	s_waitcnt lgkmcnt(0)
	v_mov_b32_dpp v25, v9 row_shr:1 row_mask:0xf bank_mask:0xf
	v_mov_b32_dpp v26, v10 row_shr:1 row_mask:0xf bank_mask:0xf
	v_add_u32_e32 v25, v25, v9
	v_add_u32_e32 v26, v26, v10
	v_cndmask_b32_e64 v10, v26, v10, s[4:5]
	v_cndmask_b32_e64 v9, v25, v9, s[4:5]
	v_cmp_lt_u32_e64 s[4:5], 1, v12
	v_mov_b32_dpp v26, v10 row_shr:2 row_mask:0xf bank_mask:0xf
	v_mov_b32_dpp v25, v9 row_shr:2 row_mask:0xf bank_mask:0xf
	v_cndmask_b32_e64 v12, 0, v25, s[4:5]
	v_cndmask_b32_e64 v25, 0, v26, s[4:5]
	v_add_u32_e32 v10, v25, v10
	v_add_u32_e32 v9, v12, v9
	ds_write_b64 v11, v[9:10]
.LBB461_146:
	s_or_b64 exec, exec, s[6:7]
	v_cmp_lt_u32_e64 s[4:5], 63, v0
	v_mov_b32_e32 v11, 0
	v_mov_b32_e32 v9, 0
	;; [unrolled: 1-line block ×3, first 2 shown]
	s_waitcnt lgkmcnt(0)
	s_barrier
	s_and_saveexec_b64 s[6:7], s[4:5]
; %bb.147:
	v_lshl_add_u32 v9, v69, 3, -8
	ds_read_b64 v[9:10], v9
; %bb.148:
	s_or_b64 exec, exec, s[6:7]
	v_cndmask_b32_e32 v6, v6, v8, vcc
	v_cndmask_b32_e32 v5, v5, v7, vcc
	v_subrev_co_u32_e32 v7, vcc, 1, v68
	v_and_b32_e32 v8, 64, v68
	v_cmp_lt_i32_e64 s[4:5], v7, v8
	v_cndmask_b32_e64 v7, v7, v68, s[4:5]
	s_waitcnt lgkmcnt(0)
	v_add_u32_e32 v5, v10, v5
	v_add_u32_e32 v6, v9, v6
	v_lshlrev_b32_e32 v7, 2, v7
	ds_bpermute_b32 v12, v7, v6
	ds_bpermute_b32 v25, v7, v5
	ds_read_b64 v[5:6], v11 offset:24
	s_and_saveexec_b64 s[4:5], s[0:1]
	s_cbranch_execz .LBB461_150
; %bb.149:
	s_add_u32 s6, s54, 0x400
	s_addc_u32 s7, s55, 0
	v_mov_b32_e32 v27, s7
	v_mov_b32_e32 v7, 2
	;; [unrolled: 1-line block ×4, first 2 shown]
	s_waitcnt lgkmcnt(0)
	;;#ASMSTART
	global_store_dwordx4 v[26:27], v[5:8] off	
s_waitcnt vmcnt(0)
	;;#ASMEND
.LBB461_150:
	s_or_b64 exec, exec, s[4:5]
	s_waitcnt lgkmcnt(2)
	v_cndmask_b32_e32 v7, v12, v9, vcc
	s_waitcnt lgkmcnt(1)
	v_cndmask_b32_e32 v8, v25, v10, vcc
	v_cndmask_b32_e64 v12, v8, 0, s[0:1]
	v_cndmask_b32_e64 v25, v7, 0, s[0:1]
	v_mov_b32_e32 v8, 0
	v_mov_b32_e32 v7, 0
	s_waitcnt lgkmcnt(0)
	s_barrier
.LBB461_151:
	s_waitcnt lgkmcnt(0)
	v_add_co_u32_e32 v1, vcc, v1, v7
	v_addc_co_u32_e32 v2, vcc, 0, v2, vcc
	v_sub_co_u32_e32 v29, vcc, v3, v5
	v_add_u32_e32 v32, v12, v54
	v_subbrev_co_u32_e32 v30, vcc, 0, v4, vcc
	v_lshlrev_b32_e32 v72, 1, v5
	v_sub_u32_e32 v12, v12, v8
	v_lshrrev_b32_e32 v28, 8, v42
	v_add_u32_e32 v31, v25, v53
	v_add_co_u32_e32 v29, vcc, v29, v8
	v_add_u32_e32 v73, v72, v6
	v_sub_u32_e32 v25, v25, v7
	v_add_u32_e32 v12, v12, v5
	v_addc_co_u32_e32 v30, vcc, 0, v30, vcc
	v_add_u32_e32 v35, v73, v35
	v_and_b32_e32 v28, 1, v28
	v_add_u32_e32 v74, v25, v12
	v_and_b32_e32 v73, 1, v36
	v_sub_u32_e32 v74, v35, v74
	v_cmp_eq_u32_e32 vcc, 1, v28
	v_cndmask_b32_e32 v12, v74, v12, vcc
	v_cmp_eq_u32_e32 vcc, 1, v73
	v_cndmask_b32_e32 v12, v12, v25, vcc
	v_lshlrev_b32_e32 v12, 2, v12
	v_sub_u32_e32 v25, v32, v8
	v_lshrrev_b32_e32 v27, 8, v36
	ds_write_b32 v12, v23
	v_sub_u32_e32 v12, v31, v7
	v_add_u32_e32 v25, v25, v5
	v_add_u32_e32 v50, v31, v50
	v_and_b32_e32 v23, 1, v27
	v_mov_b32_e32 v27, 1
	v_add_u32_e32 v31, v25, v12
	v_and_b32_sdwa v28, v27, v42 dst_sel:DWORD dst_unused:UNUSED_PAD src0_sel:DWORD src1_sel:WORD_1
	v_sub_u32_e32 v31, v35, v31
	v_add_u32_e32 v31, 1, v31
	v_cmp_eq_u32_e32 vcc, 1, v28
	v_cndmask_b32_e32 v25, v31, v25, vcc
	v_cmp_eq_u32_e32 vcc, 1, v23
	v_cndmask_b32_e32 v12, v25, v12, vcc
	v_add_u32_e32 v53, v32, v62
	v_lshlrev_b32_e32 v12, 2, v12
	ds_write_b32 v12, v24
	v_sub_u32_e32 v24, v53, v8
	v_sub_u32_e32 v12, v50, v7
	v_add_u32_e32 v24, v24, v5
	v_add_u32_e32 v28, v24, v12
	v_and_b32_e32 v25, 1, v49
	v_sub_u32_e32 v28, v35, v28
	v_and_b32_sdwa v23, v27, v36 dst_sel:DWORD dst_unused:UNUSED_PAD src0_sel:DWORD src1_sel:WORD_1
	v_add_u32_e32 v28, 2, v28
	v_cmp_eq_u32_e32 vcc, 1, v25
	v_cndmask_b32_e32 v24, v28, v24, vcc
	v_cmp_eq_u32_e32 vcc, 1, v23
	v_add_u32_e32 v54, v50, v55
	v_add_u32_e32 v55, v53, v49
	v_cndmask_b32_e32 v12, v24, v12, vcc
	v_lshlrev_b32_e32 v12, 2, v12
	v_sub_u32_e32 v23, v55, v8
	ds_write_b32 v12, v21
	v_sub_u32_e32 v12, v54, v7
	v_add_u32_e32 v23, v23, v5
	v_add_u32_e32 v25, v12, v23
	v_and_b32_e32 v24, 1, v37
	v_sub_u32_e32 v25, v35, v25
	v_and_b32_e32 v21, 1, v48
	v_add_u32_e32 v25, 3, v25
	v_cmp_eq_u32_e32 vcc, 1, v24
	v_cndmask_b32_e32 v23, v25, v23, vcc
	v_cmp_eq_u32_e32 vcc, 1, v21
	v_cndmask_b32_e32 v12, v23, v12, vcc
	v_add_u32_e32 v62, v55, v63
	v_lshlrev_b32_e32 v12, 2, v12
	v_add_u32_e32 v63, v54, v48
	ds_write_b32 v12, v22
	v_sub_u32_e32 v22, v62, v8
	v_sub_u32_e32 v12, v63, v7
	v_add_u32_e32 v22, v22, v5
	v_lshrrev_b32_e32 v26, 8, v37
	v_add_u32_e32 v24, v12, v22
	v_and_b32_e32 v23, 1, v26
	v_sub_u32_e32 v24, v35, v24
	v_and_b32_e32 v21, 1, v38
	v_add_u32_e32 v24, 4, v24
	v_cmp_eq_u32_e32 vcc, 1, v23
	v_cndmask_b32_e32 v22, v24, v22, vcc
	v_cmp_eq_u32_e32 vcc, 1, v21
	v_cndmask_b32_e32 v12, v22, v12, vcc
	v_add_u32_e32 v57, v62, v57
	v_lshlrev_b32_e32 v12, 2, v12
	v_add_u32_e32 v56, v63, v56
	ds_write_b32 v12, v19
	v_sub_u32_e32 v19, v57, v8
	v_sub_u32_e32 v12, v56, v7
	v_add_u32_e32 v19, v19, v5
	v_add_u32_e32 v22, v12, v19
	v_lshrrev_b32_e32 v11, 8, v38
	v_and_b32_sdwa v21, v27, v37 dst_sel:DWORD dst_unused:UNUSED_PAD src0_sel:DWORD src1_sel:WORD_1
	v_sub_u32_e32 v22, v35, v22
	v_and_b32_e32 v11, 1, v11
	v_add_u32_e32 v22, 5, v22
	v_cmp_eq_u32_e32 vcc, 1, v21
	v_cndmask_b32_e32 v19, v22, v19, vcc
	v_cmp_eq_u32_e32 vcc, 1, v11
	v_add_u32_e32 v64, v57, v64
	v_cndmask_b32_e32 v11, v19, v12, vcc
	v_add_u32_e32 v51, v56, v51
	v_lshlrev_b32_e32 v11, 2, v11
	v_sub_u32_e32 v19, v64, v8
	ds_write_b32 v11, v20
	v_sub_u32_e32 v11, v51, v7
	v_add_u32_e32 v19, v19, v5
	v_add_u32_e32 v21, v11, v19
	v_and_b32_e32 v20, 1, v47
	v_sub_u32_e32 v21, v35, v21
	v_and_b32_sdwa v12, v27, v38 dst_sel:DWORD dst_unused:UNUSED_PAD src0_sel:DWORD src1_sel:WORD_1
	v_add_u32_e32 v21, 6, v21
	v_cmp_eq_u32_e32 vcc, 1, v20
	v_cndmask_b32_e32 v19, v21, v19, vcc
	v_cmp_eq_u32_e32 vcc, 1, v12
	v_cndmask_b32_e32 v11, v19, v11, vcc
	v_add_u32_e32 v68, v64, v47
	v_lshlrev_b32_e32 v11, 2, v11
	v_add_u32_e32 v58, v51, v58
	ds_write_b32 v11, v17
	v_sub_u32_e32 v17, v68, v8
	v_sub_u32_e32 v11, v58, v7
	v_add_u32_e32 v17, v17, v5
	v_add_u32_e32 v20, v11, v17
	v_and_b32_e32 v19, 1, v39
	v_sub_u32_e32 v20, v35, v20
	v_and_b32_e32 v12, 1, v46
	v_add_u32_e32 v20, 7, v20
	v_cmp_eq_u32_e32 vcc, 1, v19
	v_cndmask_b32_e32 v17, v20, v17, vcc
	v_cmp_eq_u32_e32 vcc, 1, v12
	v_add_u32_e32 v65, v68, v65
	v_cndmask_b32_e32 v11, v17, v11, vcc
	v_add_u32_e32 v69, v58, v46
	v_lshlrev_b32_e32 v11, 2, v11
	v_sub_u32_e32 v17, v65, v8
	ds_write_b32 v11, v18
	v_sub_u32_e32 v11, v69, v7
	v_add_u32_e32 v17, v17, v5
	v_lshrrev_b32_e32 v10, 8, v39
	v_add_u32_e32 v18, v11, v17
	v_and_b32_e32 v10, 1, v10
	v_sub_u32_e32 v18, v35, v18
	v_and_b32_e32 v12, 1, v41
	v_add_u32_e32 v18, 8, v18
	v_cmp_eq_u32_e32 vcc, 1, v10
	v_cndmask_b32_e32 v10, v18, v17, vcc
	v_cmp_eq_u32_e32 vcc, 1, v12
	v_add_u32_e32 v60, v65, v60
	v_cndmask_b32_e32 v10, v10, v11, vcc
	v_add_u32_e32 v59, v69, v59
	v_lshlrev_b32_e32 v10, 2, v10
	v_sub_u32_e32 v11, v60, v8
	ds_write_b32 v10, v15
	v_sub_u32_e32 v10, v59, v7
	v_add_u32_e32 v11, v11, v5
	v_add_u32_e32 v15, v10, v11
	v_lshrrev_b32_e32 v9, 8, v41
	v_and_b32_sdwa v12, v27, v39 dst_sel:DWORD dst_unused:UNUSED_PAD src0_sel:DWORD src1_sel:WORD_1
	v_sub_u32_e32 v15, v35, v15
	v_and_b32_e32 v9, 1, v9
	v_add_u32_e32 v15, 9, v15
	v_cmp_eq_u32_e32 vcc, 1, v12
	v_cndmask_b32_e32 v11, v15, v11, vcc
	v_cmp_eq_u32_e32 vcc, 1, v9
	v_add_u32_e32 v66, v60, v66
	v_cndmask_b32_e32 v9, v11, v10, vcc
	v_add_u32_e32 v52, v59, v52
	v_lshlrev_b32_e32 v9, 2, v9
	v_sub_u32_e32 v11, v66, v8
	ds_write_b32 v9, v16
	v_sub_u32_e32 v9, v52, v7
	v_add_u32_e32 v11, v11, v5
	v_add_u32_e32 v15, v9, v11
	v_and_b32_e32 v12, 1, v45
	v_sub_u32_e32 v15, v35, v15
	v_and_b32_sdwa v10, v27, v41 dst_sel:DWORD dst_unused:UNUSED_PAD src0_sel:DWORD src1_sel:WORD_1
	v_add_u32_e32 v15, 10, v15
	v_cmp_eq_u32_e32 vcc, 1, v12
	v_cndmask_b32_e32 v11, v15, v11, vcc
	v_cmp_eq_u32_e32 vcc, 1, v10
	v_add_u32_e32 v70, v66, v45
	v_cndmask_b32_e32 v9, v11, v9, vcc
	v_add_u32_e32 v61, v52, v61
	v_lshlrev_b32_e32 v9, 2, v9
	v_sub_u32_e32 v11, v70, v8
	ds_write_b32 v9, v13
	v_sub_u32_e32 v9, v61, v7
	v_add_u32_e32 v11, v11, v5
	v_add_u32_e32 v13, v9, v11
	v_and_b32_e32 v12, 1, v40
	v_sub_u32_e32 v13, v35, v13
	v_add_u32_e32 v67, v70, v67
	v_and_b32_e32 v10, 1, v44
	v_add_u32_e32 v13, 11, v13
	v_cmp_eq_u32_e32 vcc, 1, v12
	v_add_u32_e32 v71, v61, v44
	v_cndmask_b32_e32 v11, v13, v11, vcc
	v_cmp_eq_u32_e32 vcc, 1, v10
	v_sub_u32_e32 v10, v67, v8
	v_sub_u32_e32 v7, v71, v7
	v_add_u32_e32 v10, v10, v5
	v_cndmask_b32_e32 v9, v11, v9, vcc
	v_add_u32_e32 v12, v7, v10
	v_lshlrev_b32_e32 v9, 2, v9
	v_and_b32_e32 v11, 1, v43
	v_sub_u32_e32 v12, v35, v12
	ds_write_b32 v9, v14
	v_and_b32_e32 v9, 1, v42
	v_add_u32_e32 v12, 12, v12
	v_cmp_eq_u32_e32 vcc, 1, v11
	v_cndmask_b32_e32 v10, v12, v10, vcc
	v_cmp_eq_u32_e32 vcc, 1, v9
	v_cndmask_b32_e32 v7, v10, v7, vcc
	v_lshlrev_b32_e32 v7, 2, v7
	ds_write_b32 v7, v34
	v_mov_b32_e32 v7, s53
	v_add_co_u32_e32 v9, vcc, s52, v33
	v_addc_co_u32_e32 v10, vcc, 0, v7, vcc
	v_add_co_u32_e32 v7, vcc, v6, v72
	v_addc_co_u32_e64 v11, s[4:5], 0, 0, vcc
	v_add_co_u32_e32 v7, vcc, v7, v29
	v_addc_co_u32_e32 v11, vcc, v11, v30, vcc
	v_add_co_u32_e32 v7, vcc, v7, v1
	v_addc_co_u32_e32 v11, vcc, v11, v2, vcc
	v_sub_co_u32_e32 v7, vcc, v9, v7
	v_subb_co_u32_e32 v13, vcc, v10, v11, vcc
	v_lshlrev_b64 v[9:10], 2, v[29:30]
	v_mov_b32_e32 v11, s51
	v_add_co_u32_e32 v9, vcc, s50, v9
	v_addc_co_u32_e32 v10, vcc, v11, v10, vcc
	v_lshlrev_b64 v[11:12], 2, v[1:2]
	v_mov_b32_e32 v15, s49
	v_add_co_u32_e32 v11, vcc, s48, v11
	v_addc_co_u32_e32 v12, vcc, v15, v12, vcc
	v_add_u32_e32 v14, v5, v6
	s_and_b64 vcc, exec, s[2:3]
	s_mov_b64 s[2:3], -1
	s_waitcnt lgkmcnt(0)
	s_barrier
	s_cbranch_vccz .LBB461_155
; %bb.152:
	s_and_b64 vcc, exec, s[2:3]
	s_cbranch_vccnz .LBB461_260
.LBB461_153:
	s_and_b64 s[0:1], s[0:1], s[34:35]
	s_and_saveexec_b64 s[2:3], s[0:1]
	s_cbranch_execnz .LBB461_378
.LBB461_154:
	s_endpgm
.LBB461_155:
	v_cmp_ge_u32_e32 vcc, v0, v5
	s_and_saveexec_b64 s[2:3], vcc
	s_xor_b64 s[2:3], exec, s[2:3]
	s_cbranch_execz .LBB461_161
; %bb.156:
	v_cmp_ge_u32_e32 vcc, v0, v14
	s_and_saveexec_b64 s[4:5], vcc
	s_xor_b64 s[4:5], exec, s[4:5]
	s_cbranch_execz .LBB461_158
; %bb.157:
	v_add_co_u32_e32 v15, vcc, v7, v0
	v_lshlrev_b32_e32 v17, 2, v0
	v_addc_co_u32_e32 v16, vcc, 0, v13, vcc
	ds_read_b32 v17, v17
	v_lshlrev_b64 v[15:16], 2, v[15:16]
	v_mov_b32_e32 v18, s31
	v_sub_co_u32_e32 v15, vcc, s30, v15
	v_subb_co_u32_e32 v16, vcc, v18, v16, vcc
	s_waitcnt lgkmcnt(0)
	global_store_dword v[15:16], v17, off offset:-4
.LBB461_158:
	s_andn2_saveexec_b64 s[4:5], s[4:5]
	s_cbranch_execz .LBB461_160
; %bb.159:
	v_lshlrev_b32_e32 v15, 2, v0
	ds_read_b32 v16, v15
	v_readfirstlane_b32 s6, v9
	v_readfirstlane_b32 s7, v10
	s_waitcnt lgkmcnt(0)
	s_nop 3
	global_store_dword v15, v16, s[6:7]
.LBB461_160:
	s_or_b64 exec, exec, s[4:5]
.LBB461_161:
	s_andn2_saveexec_b64 s[2:3], s[2:3]
	s_cbranch_execz .LBB461_163
; %bb.162:
	v_lshlrev_b32_e32 v15, 2, v0
	ds_read_b32 v16, v15
	v_readfirstlane_b32 s4, v11
	v_readfirstlane_b32 s5, v12
	s_waitcnt lgkmcnt(0)
	s_nop 3
	global_store_dword v15, v16, s[4:5]
.LBB461_163:
	s_or_b64 exec, exec, s[2:3]
	v_or_b32_e32 v15, 0x100, v0
	v_cmp_ge_u32_e32 vcc, v15, v5
	s_and_saveexec_b64 s[2:3], vcc
	s_xor_b64 s[2:3], exec, s[2:3]
	s_cbranch_execz .LBB461_169
; %bb.164:
	v_cmp_ge_u32_e32 vcc, v15, v14
	s_and_saveexec_b64 s[4:5], vcc
	s_xor_b64 s[4:5], exec, s[4:5]
	s_cbranch_execz .LBB461_166
; %bb.165:
	v_lshlrev_b32_e32 v15, 2, v0
	ds_read_b32 v17, v15 offset:1024
	v_add_co_u32_e32 v15, vcc, v7, v0
	v_addc_co_u32_e32 v16, vcc, 0, v13, vcc
	v_lshlrev_b64 v[15:16], 2, v[15:16]
	v_mov_b32_e32 v18, s31
	v_sub_co_u32_e32 v15, vcc, s30, v15
	v_subb_co_u32_e32 v16, vcc, v18, v16, vcc
	s_waitcnt lgkmcnt(0)
	global_store_dword v[15:16], v17, off offset:-1028
.LBB461_166:
	s_andn2_saveexec_b64 s[4:5], s[4:5]
	s_cbranch_execz .LBB461_168
; %bb.167:
	v_lshlrev_b32_e32 v15, 2, v0
	ds_read_b32 v16, v15 offset:1024
	v_readfirstlane_b32 s6, v9
	v_readfirstlane_b32 s7, v10
	s_waitcnt lgkmcnt(0)
	s_nop 3
	global_store_dword v15, v16, s[6:7] offset:1024
.LBB461_168:
	s_or_b64 exec, exec, s[4:5]
.LBB461_169:
	s_andn2_saveexec_b64 s[2:3], s[2:3]
	s_cbranch_execz .LBB461_171
; %bb.170:
	v_lshlrev_b32_e32 v15, 2, v0
	ds_read_b32 v16, v15 offset:1024
	v_readfirstlane_b32 s4, v11
	v_readfirstlane_b32 s5, v12
	s_waitcnt lgkmcnt(0)
	s_nop 3
	global_store_dword v15, v16, s[4:5] offset:1024
.LBB461_171:
	s_or_b64 exec, exec, s[2:3]
	v_or_b32_e32 v15, 0x200, v0
	v_cmp_ge_u32_e32 vcc, v15, v5
	s_and_saveexec_b64 s[2:3], vcc
	s_xor_b64 s[2:3], exec, s[2:3]
	s_cbranch_execz .LBB461_177
; %bb.172:
	v_cmp_ge_u32_e32 vcc, v15, v14
	s_and_saveexec_b64 s[4:5], vcc
	s_xor_b64 s[4:5], exec, s[4:5]
	s_cbranch_execz .LBB461_174
; %bb.173:
	v_lshlrev_b32_e32 v15, 2, v0
	ds_read_b32 v17, v15 offset:2048
	v_add_co_u32_e32 v15, vcc, v7, v0
	v_addc_co_u32_e32 v16, vcc, 0, v13, vcc
	v_lshlrev_b64 v[15:16], 2, v[15:16]
	v_mov_b32_e32 v18, s31
	v_sub_co_u32_e32 v15, vcc, s30, v15
	v_subb_co_u32_e32 v16, vcc, v18, v16, vcc
	s_waitcnt lgkmcnt(0)
	global_store_dword v[15:16], v17, off offset:-2052
.LBB461_174:
	s_andn2_saveexec_b64 s[4:5], s[4:5]
	s_cbranch_execz .LBB461_176
; %bb.175:
	v_lshlrev_b32_e32 v15, 2, v0
	ds_read_b32 v16, v15 offset:2048
	v_readfirstlane_b32 s6, v9
	v_readfirstlane_b32 s7, v10
	s_waitcnt lgkmcnt(0)
	s_nop 3
	global_store_dword v15, v16, s[6:7] offset:2048
.LBB461_176:
	s_or_b64 exec, exec, s[4:5]
.LBB461_177:
	s_andn2_saveexec_b64 s[2:3], s[2:3]
	s_cbranch_execz .LBB461_179
; %bb.178:
	v_lshlrev_b32_e32 v15, 2, v0
	ds_read_b32 v16, v15 offset:2048
	v_readfirstlane_b32 s4, v11
	v_readfirstlane_b32 s5, v12
	s_waitcnt lgkmcnt(0)
	s_nop 3
	global_store_dword v15, v16, s[4:5] offset:2048
.LBB461_179:
	;; [unrolled: 47-line block ×3, first 2 shown]
	s_or_b64 exec, exec, s[2:3]
	v_or_b32_e32 v15, 0x400, v0
	v_cmp_ge_u32_e32 vcc, v15, v5
	s_and_saveexec_b64 s[2:3], vcc
	s_xor_b64 s[2:3], exec, s[2:3]
	s_cbranch_execz .LBB461_193
; %bb.188:
	v_cmp_ge_u32_e32 vcc, v15, v14
	s_and_saveexec_b64 s[4:5], vcc
	s_xor_b64 s[4:5], exec, s[4:5]
	s_cbranch_execz .LBB461_190
; %bb.189:
	v_lshlrev_b32_e32 v15, 2, v0
	ds_read_b32 v17, v15 offset:4096
	v_add_co_u32_e32 v15, vcc, v7, v0
	v_addc_co_u32_e32 v16, vcc, 0, v13, vcc
	v_lshlrev_b64 v[15:16], 2, v[15:16]
	v_mov_b32_e32 v18, s31
	v_sub_co_u32_e32 v15, vcc, s30, v15
	v_subb_co_u32_e32 v16, vcc, v18, v16, vcc
	v_add_co_u32_e32 v15, vcc, 0xfffff000, v15
	v_addc_co_u32_e32 v16, vcc, -1, v16, vcc
	s_waitcnt lgkmcnt(0)
	global_store_dword v[15:16], v17, off offset:-4
                                        ; implicit-def: $vgpr15
.LBB461_190:
	s_andn2_saveexec_b64 s[4:5], s[4:5]
	s_cbranch_execz .LBB461_192
; %bb.191:
	v_lshlrev_b32_e32 v16, 2, v0
	ds_read_b32 v16, v16 offset:4096
	v_lshlrev_b32_e32 v15, 2, v15
	v_readfirstlane_b32 s6, v9
	v_readfirstlane_b32 s7, v10
	s_waitcnt lgkmcnt(0)
	s_nop 3
	global_store_dword v15, v16, s[6:7]
.LBB461_192:
	s_or_b64 exec, exec, s[4:5]
                                        ; implicit-def: $vgpr15
.LBB461_193:
	s_andn2_saveexec_b64 s[2:3], s[2:3]
	s_cbranch_execz .LBB461_195
; %bb.194:
	v_lshlrev_b32_e32 v16, 2, v0
	ds_read_b32 v16, v16 offset:4096
	v_lshlrev_b32_e32 v15, 2, v15
	v_readfirstlane_b32 s4, v11
	v_readfirstlane_b32 s5, v12
	s_waitcnt lgkmcnt(0)
	s_nop 3
	global_store_dword v15, v16, s[4:5]
.LBB461_195:
	s_or_b64 exec, exec, s[2:3]
	v_or_b32_e32 v15, 0x500, v0
	v_cmp_ge_u32_e32 vcc, v15, v5
	s_and_saveexec_b64 s[2:3], vcc
	s_xor_b64 s[2:3], exec, s[2:3]
	s_cbranch_execz .LBB461_201
; %bb.196:
	v_cmp_ge_u32_e32 vcc, v15, v14
	s_and_saveexec_b64 s[4:5], vcc
	s_xor_b64 s[4:5], exec, s[4:5]
	s_cbranch_execz .LBB461_198
; %bb.197:
	v_add_co_u32_e32 v15, vcc, v7, v15
	v_lshlrev_b32_e32 v17, 2, v0
	v_addc_co_u32_e32 v16, vcc, 0, v13, vcc
	ds_read_b32 v17, v17 offset:5120
	v_lshlrev_b64 v[15:16], 2, v[15:16]
	v_mov_b32_e32 v18, s31
	v_sub_co_u32_e32 v15, vcc, s30, v15
	v_subb_co_u32_e32 v16, vcc, v18, v16, vcc
	s_waitcnt lgkmcnt(0)
	global_store_dword v[15:16], v17, off offset:-4
                                        ; implicit-def: $vgpr15
.LBB461_198:
	s_andn2_saveexec_b64 s[4:5], s[4:5]
	s_cbranch_execz .LBB461_200
; %bb.199:
	v_lshlrev_b32_e32 v16, 2, v0
	ds_read_b32 v16, v16 offset:5120
	v_lshlrev_b32_e32 v15, 2, v15
	v_readfirstlane_b32 s6, v9
	v_readfirstlane_b32 s7, v10
	s_waitcnt lgkmcnt(0)
	s_nop 3
	global_store_dword v15, v16, s[6:7]
.LBB461_200:
	s_or_b64 exec, exec, s[4:5]
                                        ; implicit-def: $vgpr15
.LBB461_201:
	s_andn2_saveexec_b64 s[2:3], s[2:3]
	s_cbranch_execz .LBB461_203
; %bb.202:
	v_lshlrev_b32_e32 v16, 2, v0
	ds_read_b32 v16, v16 offset:5120
	v_lshlrev_b32_e32 v15, 2, v15
	v_readfirstlane_b32 s4, v11
	v_readfirstlane_b32 s5, v12
	s_waitcnt lgkmcnt(0)
	s_nop 3
	global_store_dword v15, v16, s[4:5]
.LBB461_203:
	s_or_b64 exec, exec, s[2:3]
	v_or_b32_e32 v15, 0x600, v0
	v_cmp_ge_u32_e32 vcc, v15, v5
	s_and_saveexec_b64 s[2:3], vcc
	s_xor_b64 s[2:3], exec, s[2:3]
	s_cbranch_execz .LBB461_209
; %bb.204:
	v_cmp_ge_u32_e32 vcc, v15, v14
	s_and_saveexec_b64 s[4:5], vcc
	s_xor_b64 s[4:5], exec, s[4:5]
	s_cbranch_execz .LBB461_206
; %bb.205:
	v_add_co_u32_e32 v15, vcc, v7, v15
	v_lshlrev_b32_e32 v17, 2, v0
	v_addc_co_u32_e32 v16, vcc, 0, v13, vcc
	ds_read_b32 v17, v17 offset:6144
	v_lshlrev_b64 v[15:16], 2, v[15:16]
	v_mov_b32_e32 v18, s31
	v_sub_co_u32_e32 v15, vcc, s30, v15
	v_subb_co_u32_e32 v16, vcc, v18, v16, vcc
	s_waitcnt lgkmcnt(0)
	global_store_dword v[15:16], v17, off offset:-4
                                        ; implicit-def: $vgpr15
.LBB461_206:
	s_andn2_saveexec_b64 s[4:5], s[4:5]
	s_cbranch_execz .LBB461_208
; %bb.207:
	v_lshlrev_b32_e32 v16, 2, v0
	ds_read_b32 v16, v16 offset:6144
	v_lshlrev_b32_e32 v15, 2, v15
	v_readfirstlane_b32 s6, v9
	v_readfirstlane_b32 s7, v10
	s_waitcnt lgkmcnt(0)
	s_nop 3
	global_store_dword v15, v16, s[6:7]
.LBB461_208:
	s_or_b64 exec, exec, s[4:5]
                                        ; implicit-def: $vgpr15
.LBB461_209:
	;; [unrolled: 51-line block ×8, first 2 shown]
	s_andn2_saveexec_b64 s[2:3], s[2:3]
	s_cbranch_execz .LBB461_259
; %bb.258:
	v_lshlrev_b32_e32 v16, 2, v0
	ds_read_b32 v16, v16 offset:12288
	v_lshlrev_b32_e32 v15, 2, v15
	v_readfirstlane_b32 s4, v11
	v_readfirstlane_b32 s5, v12
	s_waitcnt lgkmcnt(0)
	s_nop 3
	global_store_dword v15, v16, s[4:5]
.LBB461_259:
	s_or_b64 exec, exec, s[2:3]
	s_branch .LBB461_153
.LBB461_260:
	v_cmp_gt_u32_e32 vcc, s16, v0
	s_and_saveexec_b64 s[2:3], vcc
	s_cbranch_execz .LBB461_269
; %bb.261:
	v_cmp_ge_u32_e32 vcc, v0, v5
	s_and_saveexec_b64 s[4:5], vcc
	s_xor_b64 s[4:5], exec, s[4:5]
	s_cbranch_execz .LBB461_267
; %bb.262:
	v_cmp_ge_u32_e32 vcc, v0, v14
	s_and_saveexec_b64 s[6:7], vcc
	s_xor_b64 s[6:7], exec, s[6:7]
	s_cbranch_execz .LBB461_264
; %bb.263:
	v_add_co_u32_e32 v15, vcc, v7, v0
	v_lshlrev_b32_e32 v17, 2, v0
	v_addc_co_u32_e32 v16, vcc, 0, v13, vcc
	ds_read_b32 v17, v17
	v_lshlrev_b64 v[15:16], 2, v[15:16]
	v_mov_b32_e32 v18, s31
	v_sub_co_u32_e32 v15, vcc, s30, v15
	v_subb_co_u32_e32 v16, vcc, v18, v16, vcc
	s_waitcnt lgkmcnt(0)
	global_store_dword v[15:16], v17, off offset:-4
.LBB461_264:
	s_andn2_saveexec_b64 s[6:7], s[6:7]
	s_cbranch_execz .LBB461_266
; %bb.265:
	v_lshlrev_b32_e32 v15, 2, v0
	ds_read_b32 v16, v15
	v_readfirstlane_b32 s8, v9
	v_readfirstlane_b32 s9, v10
	s_waitcnt lgkmcnt(0)
	s_nop 3
	global_store_dword v15, v16, s[8:9]
.LBB461_266:
	s_or_b64 exec, exec, s[6:7]
.LBB461_267:
	s_andn2_saveexec_b64 s[4:5], s[4:5]
	s_cbranch_execz .LBB461_269
; %bb.268:
	v_lshlrev_b32_e32 v15, 2, v0
	ds_read_b32 v16, v15
	v_readfirstlane_b32 s4, v11
	v_readfirstlane_b32 s5, v12
	s_waitcnt lgkmcnt(0)
	s_nop 3
	global_store_dword v15, v16, s[4:5]
.LBB461_269:
	s_or_b64 exec, exec, s[2:3]
	v_or_b32_e32 v15, 0x100, v0
	v_cmp_gt_u32_e32 vcc, s16, v15
	s_and_saveexec_b64 s[2:3], vcc
	s_cbranch_execz .LBB461_278
; %bb.270:
	v_cmp_ge_u32_e32 vcc, v15, v5
	s_and_saveexec_b64 s[4:5], vcc
	s_xor_b64 s[4:5], exec, s[4:5]
	s_cbranch_execz .LBB461_276
; %bb.271:
	v_cmp_ge_u32_e32 vcc, v15, v14
	s_and_saveexec_b64 s[6:7], vcc
	s_xor_b64 s[6:7], exec, s[6:7]
	s_cbranch_execz .LBB461_273
; %bb.272:
	v_lshlrev_b32_e32 v15, 2, v0
	ds_read_b32 v17, v15 offset:1024
	v_add_co_u32_e32 v15, vcc, v7, v0
	v_addc_co_u32_e32 v16, vcc, 0, v13, vcc
	v_lshlrev_b64 v[15:16], 2, v[15:16]
	v_mov_b32_e32 v18, s31
	v_sub_co_u32_e32 v15, vcc, s30, v15
	v_subb_co_u32_e32 v16, vcc, v18, v16, vcc
	s_waitcnt lgkmcnt(0)
	global_store_dword v[15:16], v17, off offset:-1028
.LBB461_273:
	s_andn2_saveexec_b64 s[6:7], s[6:7]
	s_cbranch_execz .LBB461_275
; %bb.274:
	v_lshlrev_b32_e32 v15, 2, v0
	ds_read_b32 v16, v15 offset:1024
	v_readfirstlane_b32 s8, v9
	v_readfirstlane_b32 s9, v10
	s_waitcnt lgkmcnt(0)
	s_nop 3
	global_store_dword v15, v16, s[8:9] offset:1024
.LBB461_275:
	s_or_b64 exec, exec, s[6:7]
.LBB461_276:
	s_andn2_saveexec_b64 s[4:5], s[4:5]
	s_cbranch_execz .LBB461_278
; %bb.277:
	v_lshlrev_b32_e32 v15, 2, v0
	ds_read_b32 v16, v15 offset:1024
	v_readfirstlane_b32 s4, v11
	v_readfirstlane_b32 s5, v12
	s_waitcnt lgkmcnt(0)
	s_nop 3
	global_store_dword v15, v16, s[4:5] offset:1024
.LBB461_278:
	s_or_b64 exec, exec, s[2:3]
	v_or_b32_e32 v15, 0x200, v0
	v_cmp_gt_u32_e32 vcc, s16, v15
	s_and_saveexec_b64 s[2:3], vcc
	s_cbranch_execz .LBB461_287
; %bb.279:
	v_cmp_ge_u32_e32 vcc, v15, v5
	s_and_saveexec_b64 s[4:5], vcc
	s_xor_b64 s[4:5], exec, s[4:5]
	s_cbranch_execz .LBB461_285
; %bb.280:
	v_cmp_ge_u32_e32 vcc, v15, v14
	s_and_saveexec_b64 s[6:7], vcc
	s_xor_b64 s[6:7], exec, s[6:7]
	s_cbranch_execz .LBB461_282
; %bb.281:
	v_lshlrev_b32_e32 v15, 2, v0
	ds_read_b32 v17, v15 offset:2048
	v_add_co_u32_e32 v15, vcc, v7, v0
	v_addc_co_u32_e32 v16, vcc, 0, v13, vcc
	v_lshlrev_b64 v[15:16], 2, v[15:16]
	v_mov_b32_e32 v18, s31
	v_sub_co_u32_e32 v15, vcc, s30, v15
	v_subb_co_u32_e32 v16, vcc, v18, v16, vcc
	s_waitcnt lgkmcnt(0)
	global_store_dword v[15:16], v17, off offset:-2052
.LBB461_282:
	s_andn2_saveexec_b64 s[6:7], s[6:7]
	s_cbranch_execz .LBB461_284
; %bb.283:
	v_lshlrev_b32_e32 v15, 2, v0
	ds_read_b32 v16, v15 offset:2048
	v_readfirstlane_b32 s8, v9
	v_readfirstlane_b32 s9, v10
	s_waitcnt lgkmcnt(0)
	s_nop 3
	global_store_dword v15, v16, s[8:9] offset:2048
.LBB461_284:
	s_or_b64 exec, exec, s[6:7]
.LBB461_285:
	s_andn2_saveexec_b64 s[4:5], s[4:5]
	s_cbranch_execz .LBB461_287
; %bb.286:
	v_lshlrev_b32_e32 v15, 2, v0
	ds_read_b32 v16, v15 offset:2048
	v_readfirstlane_b32 s4, v11
	v_readfirstlane_b32 s5, v12
	s_waitcnt lgkmcnt(0)
	s_nop 3
	global_store_dword v15, v16, s[4:5] offset:2048
.LBB461_287:
	;; [unrolled: 51-line block ×3, first 2 shown]
	s_or_b64 exec, exec, s[2:3]
	v_or_b32_e32 v15, 0x400, v0
	v_cmp_gt_u32_e32 vcc, s16, v15
	s_and_saveexec_b64 s[2:3], vcc
	s_cbranch_execz .LBB461_305
; %bb.297:
	v_cmp_ge_u32_e32 vcc, v15, v5
	s_and_saveexec_b64 s[4:5], vcc
	s_xor_b64 s[4:5], exec, s[4:5]
	s_cbranch_execz .LBB461_303
; %bb.298:
	v_cmp_ge_u32_e32 vcc, v15, v14
	s_and_saveexec_b64 s[6:7], vcc
	s_xor_b64 s[6:7], exec, s[6:7]
	s_cbranch_execz .LBB461_300
; %bb.299:
	v_lshlrev_b32_e32 v15, 2, v0
	ds_read_b32 v17, v15 offset:4096
	v_add_co_u32_e32 v15, vcc, v7, v0
	v_addc_co_u32_e32 v16, vcc, 0, v13, vcc
	v_lshlrev_b64 v[15:16], 2, v[15:16]
	v_mov_b32_e32 v18, s31
	v_sub_co_u32_e32 v15, vcc, s30, v15
	v_subb_co_u32_e32 v16, vcc, v18, v16, vcc
	v_add_co_u32_e32 v15, vcc, 0xfffff000, v15
	v_addc_co_u32_e32 v16, vcc, -1, v16, vcc
	s_waitcnt lgkmcnt(0)
	global_store_dword v[15:16], v17, off offset:-4
                                        ; implicit-def: $vgpr15
.LBB461_300:
	s_andn2_saveexec_b64 s[6:7], s[6:7]
	s_cbranch_execz .LBB461_302
; %bb.301:
	v_lshlrev_b32_e32 v16, 2, v0
	ds_read_b32 v16, v16 offset:4096
	v_lshlrev_b32_e32 v15, 2, v15
	v_readfirstlane_b32 s8, v9
	v_readfirstlane_b32 s9, v10
	s_waitcnt lgkmcnt(0)
	s_nop 3
	global_store_dword v15, v16, s[8:9]
.LBB461_302:
	s_or_b64 exec, exec, s[6:7]
                                        ; implicit-def: $vgpr15
.LBB461_303:
	s_andn2_saveexec_b64 s[4:5], s[4:5]
	s_cbranch_execz .LBB461_305
; %bb.304:
	v_lshlrev_b32_e32 v16, 2, v0
	ds_read_b32 v16, v16 offset:4096
	v_lshlrev_b32_e32 v15, 2, v15
	v_readfirstlane_b32 s4, v11
	v_readfirstlane_b32 s5, v12
	s_waitcnt lgkmcnt(0)
	s_nop 3
	global_store_dword v15, v16, s[4:5]
.LBB461_305:
	s_or_b64 exec, exec, s[2:3]
	v_or_b32_e32 v15, 0x500, v0
	v_cmp_gt_u32_e32 vcc, s16, v15
	s_and_saveexec_b64 s[2:3], vcc
	s_cbranch_execz .LBB461_314
; %bb.306:
	v_cmp_ge_u32_e32 vcc, v15, v5
	s_and_saveexec_b64 s[4:5], vcc
	s_xor_b64 s[4:5], exec, s[4:5]
	s_cbranch_execz .LBB461_312
; %bb.307:
	v_cmp_ge_u32_e32 vcc, v15, v14
	s_and_saveexec_b64 s[6:7], vcc
	s_xor_b64 s[6:7], exec, s[6:7]
	s_cbranch_execz .LBB461_309
; %bb.308:
	v_add_co_u32_e32 v15, vcc, v7, v15
	v_lshlrev_b32_e32 v17, 2, v0
	v_addc_co_u32_e32 v16, vcc, 0, v13, vcc
	ds_read_b32 v17, v17 offset:5120
	v_lshlrev_b64 v[15:16], 2, v[15:16]
	v_mov_b32_e32 v18, s31
	v_sub_co_u32_e32 v15, vcc, s30, v15
	v_subb_co_u32_e32 v16, vcc, v18, v16, vcc
	s_waitcnt lgkmcnt(0)
	global_store_dword v[15:16], v17, off offset:-4
                                        ; implicit-def: $vgpr15
.LBB461_309:
	s_andn2_saveexec_b64 s[6:7], s[6:7]
	s_cbranch_execz .LBB461_311
; %bb.310:
	v_lshlrev_b32_e32 v16, 2, v0
	ds_read_b32 v16, v16 offset:5120
	v_lshlrev_b32_e32 v15, 2, v15
	v_readfirstlane_b32 s8, v9
	v_readfirstlane_b32 s9, v10
	s_waitcnt lgkmcnt(0)
	s_nop 3
	global_store_dword v15, v16, s[8:9]
.LBB461_311:
	s_or_b64 exec, exec, s[6:7]
                                        ; implicit-def: $vgpr15
.LBB461_312:
	s_andn2_saveexec_b64 s[4:5], s[4:5]
	s_cbranch_execz .LBB461_314
; %bb.313:
	v_lshlrev_b32_e32 v16, 2, v0
	ds_read_b32 v16, v16 offset:5120
	v_lshlrev_b32_e32 v15, 2, v15
	v_readfirstlane_b32 s4, v11
	v_readfirstlane_b32 s5, v12
	s_waitcnt lgkmcnt(0)
	s_nop 3
	global_store_dword v15, v16, s[4:5]
.LBB461_314:
	s_or_b64 exec, exec, s[2:3]
	v_or_b32_e32 v15, 0x600, v0
	v_cmp_gt_u32_e32 vcc, s16, v15
	s_and_saveexec_b64 s[2:3], vcc
	s_cbranch_execz .LBB461_323
; %bb.315:
	v_cmp_ge_u32_e32 vcc, v15, v5
	s_and_saveexec_b64 s[4:5], vcc
	s_xor_b64 s[4:5], exec, s[4:5]
	s_cbranch_execz .LBB461_321
; %bb.316:
	v_cmp_ge_u32_e32 vcc, v15, v14
	s_and_saveexec_b64 s[6:7], vcc
	s_xor_b64 s[6:7], exec, s[6:7]
	s_cbranch_execz .LBB461_318
; %bb.317:
	v_add_co_u32_e32 v15, vcc, v7, v15
	v_lshlrev_b32_e32 v17, 2, v0
	v_addc_co_u32_e32 v16, vcc, 0, v13, vcc
	ds_read_b32 v17, v17 offset:6144
	v_lshlrev_b64 v[15:16], 2, v[15:16]
	v_mov_b32_e32 v18, s31
	v_sub_co_u32_e32 v15, vcc, s30, v15
	v_subb_co_u32_e32 v16, vcc, v18, v16, vcc
	s_waitcnt lgkmcnt(0)
	global_store_dword v[15:16], v17, off offset:-4
                                        ; implicit-def: $vgpr15
.LBB461_318:
	s_andn2_saveexec_b64 s[6:7], s[6:7]
	s_cbranch_execz .LBB461_320
; %bb.319:
	v_lshlrev_b32_e32 v16, 2, v0
	ds_read_b32 v16, v16 offset:6144
	v_lshlrev_b32_e32 v15, 2, v15
	v_readfirstlane_b32 s8, v9
	v_readfirstlane_b32 s9, v10
	s_waitcnt lgkmcnt(0)
	s_nop 3
	global_store_dword v15, v16, s[8:9]
.LBB461_320:
	s_or_b64 exec, exec, s[6:7]
                                        ; implicit-def: $vgpr15
.LBB461_321:
	s_andn2_saveexec_b64 s[4:5], s[4:5]
	s_cbranch_execz .LBB461_323
; %bb.322:
	v_lshlrev_b32_e32 v16, 2, v0
	ds_read_b32 v16, v16 offset:6144
	v_lshlrev_b32_e32 v15, 2, v15
	v_readfirstlane_b32 s4, v11
	v_readfirstlane_b32 s5, v12
	s_waitcnt lgkmcnt(0)
	s_nop 3
	global_store_dword v15, v16, s[4:5]
.LBB461_323:
	;; [unrolled: 55-line block ×7, first 2 shown]
	s_or_b64 exec, exec, s[2:3]
	v_or_b32_e32 v15, 0xc00, v0
	v_cmp_gt_u32_e32 vcc, s16, v15
	s_and_saveexec_b64 s[2:3], vcc
	s_cbranch_execz .LBB461_377
; %bb.369:
	v_cmp_ge_u32_e32 vcc, v15, v5
	s_and_saveexec_b64 s[4:5], vcc
	s_xor_b64 s[4:5], exec, s[4:5]
	s_cbranch_execz .LBB461_375
; %bb.370:
	v_cmp_ge_u32_e32 vcc, v15, v14
	s_and_saveexec_b64 s[6:7], vcc
	s_xor_b64 s[6:7], exec, s[6:7]
	s_cbranch_execz .LBB461_372
; %bb.371:
	v_add_co_u32_e32 v9, vcc, v7, v15
	v_lshlrev_b32_e32 v0, 2, v0
	v_addc_co_u32_e32 v10, vcc, 0, v13, vcc
	ds_read_b32 v0, v0 offset:12288
	v_lshlrev_b64 v[9:10], 2, v[9:10]
	v_mov_b32_e32 v7, s31
	v_sub_co_u32_e32 v9, vcc, s30, v9
	v_subb_co_u32_e32 v10, vcc, v7, v10, vcc
	s_waitcnt lgkmcnt(0)
	global_store_dword v[9:10], v0, off offset:-4
                                        ; implicit-def: $vgpr0
                                        ; implicit-def: $vgpr15
                                        ; implicit-def: $vgpr9_vgpr10
.LBB461_372:
	s_andn2_saveexec_b64 s[6:7], s[6:7]
	s_cbranch_execz .LBB461_374
; %bb.373:
	v_lshlrev_b32_e32 v0, 2, v0
	ds_read_b32 v0, v0 offset:12288
	v_lshlrev_b32_e32 v7, 2, v15
	v_readfirstlane_b32 s8, v9
	v_readfirstlane_b32 s9, v10
	s_waitcnt lgkmcnt(0)
	s_nop 3
	global_store_dword v7, v0, s[8:9]
.LBB461_374:
	s_or_b64 exec, exec, s[6:7]
                                        ; implicit-def: $vgpr0
                                        ; implicit-def: $vgpr15
                                        ; implicit-def: $vgpr11_vgpr12
.LBB461_375:
	s_andn2_saveexec_b64 s[4:5], s[4:5]
	s_cbranch_execz .LBB461_377
; %bb.376:
	v_lshlrev_b32_e32 v0, 2, v0
	ds_read_b32 v0, v0 offset:12288
	v_lshlrev_b32_e32 v7, 2, v15
	v_readfirstlane_b32 s4, v11
	v_readfirstlane_b32 s5, v12
	s_waitcnt lgkmcnt(0)
	s_nop 3
	global_store_dword v7, v0, s[4:5]
.LBB461_377:
	s_or_b64 exec, exec, s[2:3]
	s_and_b64 s[0:1], s[0:1], s[34:35]
	s_and_saveexec_b64 s[2:3], s[0:1]
	s_cbranch_execz .LBB461_154
.LBB461_378:
	v_add_co_u32_e32 v3, vcc, v3, v6
	v_addc_co_u32_e32 v4, vcc, 0, v4, vcc
	v_add_co_u32_e32 v3, vcc, v3, v8
	v_addc_co_u32_e32 v4, vcc, 0, v4, vcc
	v_add_co_u32_e32 v1, vcc, v1, v5
	v_mov_b32_e32 v0, 0
	v_addc_co_u32_e32 v2, vcc, 0, v2, vcc
	global_store_dwordx4 v0, v[1:4], s[44:45]
	s_endpgm
.LBB461_379:
	s_add_i32 s14, s33, 64
	s_mov_b32 s15, 0
	s_lshl_b64 s[14:15], s[14:15], 4
	s_add_u32 s14, s54, s14
	s_addc_u32 s15, s55, s15
	v_mov_b32_e32 v28, s15
	v_add_u32_e32 v10, v8, v6
	v_add_u32_e32 v9, v7, v5
	v_mov_b32_e32 v11, 2
	v_mov_b32_e32 v12, 0
	;; [unrolled: 1-line block ×3, first 2 shown]
	;;#ASMSTART
	global_store_dwordx4 v[27:28], v[9:12] off	
s_waitcnt vmcnt(0)
	;;#ASMEND
	s_or_b64 exec, exec, s[12:13]
	s_and_saveexec_b64 s[12:13], s[8:9]
	s_cbranch_execz .LBB461_139
.LBB461_380:
	v_mov_b32_e32 v9, 0
	ds_write_b128 v9, v[5:8] offset:13312
	s_or_b64 exec, exec, s[12:13]
	s_and_b64 exec, exec, s[0:1]
	s_cbranch_execnz .LBB461_140
	s_branch .LBB461_141
	.section	.rodata,"a",@progbits
	.p2align	6, 0x0
	.amdhsa_kernel _ZN7rocprim17ROCPRIM_400000_NS6detail17trampoline_kernelINS0_13select_configILj256ELj13ELNS0_17block_load_methodE3ELS4_3ELS4_3ELNS0_20block_scan_algorithmE0ELj4294967295EEENS1_25partition_config_selectorILNS1_17partition_subalgoE4EjNS0_10empty_typeEbEEZZNS1_14partition_implILS8_4ELb0ES6_15HIP_vector_typeIjLj2EENS0_17counting_iteratorIjlEEPS9_SG_NS0_5tupleIJPjSI_NS0_16reverse_iteratorISI_EEEEENSH_IJSG_SG_SG_EEES9_SI_JZNS1_25segmented_radix_sort_implINS0_14default_configELb1EPKiPiPKlPlN2at6native12_GLOBAL__N_18offset_tEEE10hipError_tPvRmT1_PNSt15iterator_traitsIS12_E10value_typeET2_T3_PNS13_IS18_E10value_typeET4_jRbjT5_S1E_jjP12ihipStream_tbEUljE_ZNSN_ISO_Lb1ESQ_SR_ST_SU_SY_EESZ_S10_S11_S12_S16_S17_S18_S1B_S1C_jS1D_jS1E_S1E_jjS1G_bEUljE0_EEESZ_S10_S11_S18_S1C_S1E_T6_T7_T9_mT8_S1G_bDpT10_ENKUlT_T0_E_clISt17integral_constantIbLb0EES1T_IbLb1EEEEDaS1P_S1Q_EUlS1P_E_NS1_11comp_targetILNS1_3genE2ELNS1_11target_archE906ELNS1_3gpuE6ELNS1_3repE0EEENS1_30default_config_static_selectorELNS0_4arch9wavefront6targetE1EEEvS12_
		.amdhsa_group_segment_fixed_size 13328
		.amdhsa_private_segment_fixed_size 0
		.amdhsa_kernarg_size 184
		.amdhsa_user_sgpr_count 6
		.amdhsa_user_sgpr_private_segment_buffer 1
		.amdhsa_user_sgpr_dispatch_ptr 0
		.amdhsa_user_sgpr_queue_ptr 0
		.amdhsa_user_sgpr_kernarg_segment_ptr 1
		.amdhsa_user_sgpr_dispatch_id 0
		.amdhsa_user_sgpr_flat_scratch_init 0
		.amdhsa_user_sgpr_private_segment_size 0
		.amdhsa_uses_dynamic_stack 0
		.amdhsa_system_sgpr_private_segment_wavefront_offset 0
		.amdhsa_system_sgpr_workgroup_id_x 1
		.amdhsa_system_sgpr_workgroup_id_y 0
		.amdhsa_system_sgpr_workgroup_id_z 0
		.amdhsa_system_sgpr_workgroup_info 0
		.amdhsa_system_vgpr_workitem_id 0
		.amdhsa_next_free_vgpr 91
		.amdhsa_next_free_sgpr 98
		.amdhsa_reserve_vcc 1
		.amdhsa_reserve_flat_scratch 0
		.amdhsa_float_round_mode_32 0
		.amdhsa_float_round_mode_16_64 0
		.amdhsa_float_denorm_mode_32 3
		.amdhsa_float_denorm_mode_16_64 3
		.amdhsa_dx10_clamp 1
		.amdhsa_ieee_mode 1
		.amdhsa_fp16_overflow 0
		.amdhsa_exception_fp_ieee_invalid_op 0
		.amdhsa_exception_fp_denorm_src 0
		.amdhsa_exception_fp_ieee_div_zero 0
		.amdhsa_exception_fp_ieee_overflow 0
		.amdhsa_exception_fp_ieee_underflow 0
		.amdhsa_exception_fp_ieee_inexact 0
		.amdhsa_exception_int_div_zero 0
	.end_amdhsa_kernel
	.section	.text._ZN7rocprim17ROCPRIM_400000_NS6detail17trampoline_kernelINS0_13select_configILj256ELj13ELNS0_17block_load_methodE3ELS4_3ELS4_3ELNS0_20block_scan_algorithmE0ELj4294967295EEENS1_25partition_config_selectorILNS1_17partition_subalgoE4EjNS0_10empty_typeEbEEZZNS1_14partition_implILS8_4ELb0ES6_15HIP_vector_typeIjLj2EENS0_17counting_iteratorIjlEEPS9_SG_NS0_5tupleIJPjSI_NS0_16reverse_iteratorISI_EEEEENSH_IJSG_SG_SG_EEES9_SI_JZNS1_25segmented_radix_sort_implINS0_14default_configELb1EPKiPiPKlPlN2at6native12_GLOBAL__N_18offset_tEEE10hipError_tPvRmT1_PNSt15iterator_traitsIS12_E10value_typeET2_T3_PNS13_IS18_E10value_typeET4_jRbjT5_S1E_jjP12ihipStream_tbEUljE_ZNSN_ISO_Lb1ESQ_SR_ST_SU_SY_EESZ_S10_S11_S12_S16_S17_S18_S1B_S1C_jS1D_jS1E_S1E_jjS1G_bEUljE0_EEESZ_S10_S11_S18_S1C_S1E_T6_T7_T9_mT8_S1G_bDpT10_ENKUlT_T0_E_clISt17integral_constantIbLb0EES1T_IbLb1EEEEDaS1P_S1Q_EUlS1P_E_NS1_11comp_targetILNS1_3genE2ELNS1_11target_archE906ELNS1_3gpuE6ELNS1_3repE0EEENS1_30default_config_static_selectorELNS0_4arch9wavefront6targetE1EEEvS12_,"axG",@progbits,_ZN7rocprim17ROCPRIM_400000_NS6detail17trampoline_kernelINS0_13select_configILj256ELj13ELNS0_17block_load_methodE3ELS4_3ELS4_3ELNS0_20block_scan_algorithmE0ELj4294967295EEENS1_25partition_config_selectorILNS1_17partition_subalgoE4EjNS0_10empty_typeEbEEZZNS1_14partition_implILS8_4ELb0ES6_15HIP_vector_typeIjLj2EENS0_17counting_iteratorIjlEEPS9_SG_NS0_5tupleIJPjSI_NS0_16reverse_iteratorISI_EEEEENSH_IJSG_SG_SG_EEES9_SI_JZNS1_25segmented_radix_sort_implINS0_14default_configELb1EPKiPiPKlPlN2at6native12_GLOBAL__N_18offset_tEEE10hipError_tPvRmT1_PNSt15iterator_traitsIS12_E10value_typeET2_T3_PNS13_IS18_E10value_typeET4_jRbjT5_S1E_jjP12ihipStream_tbEUljE_ZNSN_ISO_Lb1ESQ_SR_ST_SU_SY_EESZ_S10_S11_S12_S16_S17_S18_S1B_S1C_jS1D_jS1E_S1E_jjS1G_bEUljE0_EEESZ_S10_S11_S18_S1C_S1E_T6_T7_T9_mT8_S1G_bDpT10_ENKUlT_T0_E_clISt17integral_constantIbLb0EES1T_IbLb1EEEEDaS1P_S1Q_EUlS1P_E_NS1_11comp_targetILNS1_3genE2ELNS1_11target_archE906ELNS1_3gpuE6ELNS1_3repE0EEENS1_30default_config_static_selectorELNS0_4arch9wavefront6targetE1EEEvS12_,comdat
.Lfunc_end461:
	.size	_ZN7rocprim17ROCPRIM_400000_NS6detail17trampoline_kernelINS0_13select_configILj256ELj13ELNS0_17block_load_methodE3ELS4_3ELS4_3ELNS0_20block_scan_algorithmE0ELj4294967295EEENS1_25partition_config_selectorILNS1_17partition_subalgoE4EjNS0_10empty_typeEbEEZZNS1_14partition_implILS8_4ELb0ES6_15HIP_vector_typeIjLj2EENS0_17counting_iteratorIjlEEPS9_SG_NS0_5tupleIJPjSI_NS0_16reverse_iteratorISI_EEEEENSH_IJSG_SG_SG_EEES9_SI_JZNS1_25segmented_radix_sort_implINS0_14default_configELb1EPKiPiPKlPlN2at6native12_GLOBAL__N_18offset_tEEE10hipError_tPvRmT1_PNSt15iterator_traitsIS12_E10value_typeET2_T3_PNS13_IS18_E10value_typeET4_jRbjT5_S1E_jjP12ihipStream_tbEUljE_ZNSN_ISO_Lb1ESQ_SR_ST_SU_SY_EESZ_S10_S11_S12_S16_S17_S18_S1B_S1C_jS1D_jS1E_S1E_jjS1G_bEUljE0_EEESZ_S10_S11_S18_S1C_S1E_T6_T7_T9_mT8_S1G_bDpT10_ENKUlT_T0_E_clISt17integral_constantIbLb0EES1T_IbLb1EEEEDaS1P_S1Q_EUlS1P_E_NS1_11comp_targetILNS1_3genE2ELNS1_11target_archE906ELNS1_3gpuE6ELNS1_3repE0EEENS1_30default_config_static_selectorELNS0_4arch9wavefront6targetE1EEEvS12_, .Lfunc_end461-_ZN7rocprim17ROCPRIM_400000_NS6detail17trampoline_kernelINS0_13select_configILj256ELj13ELNS0_17block_load_methodE3ELS4_3ELS4_3ELNS0_20block_scan_algorithmE0ELj4294967295EEENS1_25partition_config_selectorILNS1_17partition_subalgoE4EjNS0_10empty_typeEbEEZZNS1_14partition_implILS8_4ELb0ES6_15HIP_vector_typeIjLj2EENS0_17counting_iteratorIjlEEPS9_SG_NS0_5tupleIJPjSI_NS0_16reverse_iteratorISI_EEEEENSH_IJSG_SG_SG_EEES9_SI_JZNS1_25segmented_radix_sort_implINS0_14default_configELb1EPKiPiPKlPlN2at6native12_GLOBAL__N_18offset_tEEE10hipError_tPvRmT1_PNSt15iterator_traitsIS12_E10value_typeET2_T3_PNS13_IS18_E10value_typeET4_jRbjT5_S1E_jjP12ihipStream_tbEUljE_ZNSN_ISO_Lb1ESQ_SR_ST_SU_SY_EESZ_S10_S11_S12_S16_S17_S18_S1B_S1C_jS1D_jS1E_S1E_jjS1G_bEUljE0_EEESZ_S10_S11_S18_S1C_S1E_T6_T7_T9_mT8_S1G_bDpT10_ENKUlT_T0_E_clISt17integral_constantIbLb0EES1T_IbLb1EEEEDaS1P_S1Q_EUlS1P_E_NS1_11comp_targetILNS1_3genE2ELNS1_11target_archE906ELNS1_3gpuE6ELNS1_3repE0EEENS1_30default_config_static_selectorELNS0_4arch9wavefront6targetE1EEEvS12_
                                        ; -- End function
	.set _ZN7rocprim17ROCPRIM_400000_NS6detail17trampoline_kernelINS0_13select_configILj256ELj13ELNS0_17block_load_methodE3ELS4_3ELS4_3ELNS0_20block_scan_algorithmE0ELj4294967295EEENS1_25partition_config_selectorILNS1_17partition_subalgoE4EjNS0_10empty_typeEbEEZZNS1_14partition_implILS8_4ELb0ES6_15HIP_vector_typeIjLj2EENS0_17counting_iteratorIjlEEPS9_SG_NS0_5tupleIJPjSI_NS0_16reverse_iteratorISI_EEEEENSH_IJSG_SG_SG_EEES9_SI_JZNS1_25segmented_radix_sort_implINS0_14default_configELb1EPKiPiPKlPlN2at6native12_GLOBAL__N_18offset_tEEE10hipError_tPvRmT1_PNSt15iterator_traitsIS12_E10value_typeET2_T3_PNS13_IS18_E10value_typeET4_jRbjT5_S1E_jjP12ihipStream_tbEUljE_ZNSN_ISO_Lb1ESQ_SR_ST_SU_SY_EESZ_S10_S11_S12_S16_S17_S18_S1B_S1C_jS1D_jS1E_S1E_jjS1G_bEUljE0_EEESZ_S10_S11_S18_S1C_S1E_T6_T7_T9_mT8_S1G_bDpT10_ENKUlT_T0_E_clISt17integral_constantIbLb0EES1T_IbLb1EEEEDaS1P_S1Q_EUlS1P_E_NS1_11comp_targetILNS1_3genE2ELNS1_11target_archE906ELNS1_3gpuE6ELNS1_3repE0EEENS1_30default_config_static_selectorELNS0_4arch9wavefront6targetE1EEEvS12_.num_vgpr, 91
	.set _ZN7rocprim17ROCPRIM_400000_NS6detail17trampoline_kernelINS0_13select_configILj256ELj13ELNS0_17block_load_methodE3ELS4_3ELS4_3ELNS0_20block_scan_algorithmE0ELj4294967295EEENS1_25partition_config_selectorILNS1_17partition_subalgoE4EjNS0_10empty_typeEbEEZZNS1_14partition_implILS8_4ELb0ES6_15HIP_vector_typeIjLj2EENS0_17counting_iteratorIjlEEPS9_SG_NS0_5tupleIJPjSI_NS0_16reverse_iteratorISI_EEEEENSH_IJSG_SG_SG_EEES9_SI_JZNS1_25segmented_radix_sort_implINS0_14default_configELb1EPKiPiPKlPlN2at6native12_GLOBAL__N_18offset_tEEE10hipError_tPvRmT1_PNSt15iterator_traitsIS12_E10value_typeET2_T3_PNS13_IS18_E10value_typeET4_jRbjT5_S1E_jjP12ihipStream_tbEUljE_ZNSN_ISO_Lb1ESQ_SR_ST_SU_SY_EESZ_S10_S11_S12_S16_S17_S18_S1B_S1C_jS1D_jS1E_S1E_jjS1G_bEUljE0_EEESZ_S10_S11_S18_S1C_S1E_T6_T7_T9_mT8_S1G_bDpT10_ENKUlT_T0_E_clISt17integral_constantIbLb0EES1T_IbLb1EEEEDaS1P_S1Q_EUlS1P_E_NS1_11comp_targetILNS1_3genE2ELNS1_11target_archE906ELNS1_3gpuE6ELNS1_3repE0EEENS1_30default_config_static_selectorELNS0_4arch9wavefront6targetE1EEEvS12_.num_agpr, 0
	.set _ZN7rocprim17ROCPRIM_400000_NS6detail17trampoline_kernelINS0_13select_configILj256ELj13ELNS0_17block_load_methodE3ELS4_3ELS4_3ELNS0_20block_scan_algorithmE0ELj4294967295EEENS1_25partition_config_selectorILNS1_17partition_subalgoE4EjNS0_10empty_typeEbEEZZNS1_14partition_implILS8_4ELb0ES6_15HIP_vector_typeIjLj2EENS0_17counting_iteratorIjlEEPS9_SG_NS0_5tupleIJPjSI_NS0_16reverse_iteratorISI_EEEEENSH_IJSG_SG_SG_EEES9_SI_JZNS1_25segmented_radix_sort_implINS0_14default_configELb1EPKiPiPKlPlN2at6native12_GLOBAL__N_18offset_tEEE10hipError_tPvRmT1_PNSt15iterator_traitsIS12_E10value_typeET2_T3_PNS13_IS18_E10value_typeET4_jRbjT5_S1E_jjP12ihipStream_tbEUljE_ZNSN_ISO_Lb1ESQ_SR_ST_SU_SY_EESZ_S10_S11_S12_S16_S17_S18_S1B_S1C_jS1D_jS1E_S1E_jjS1G_bEUljE0_EEESZ_S10_S11_S18_S1C_S1E_T6_T7_T9_mT8_S1G_bDpT10_ENKUlT_T0_E_clISt17integral_constantIbLb0EES1T_IbLb1EEEEDaS1P_S1Q_EUlS1P_E_NS1_11comp_targetILNS1_3genE2ELNS1_11target_archE906ELNS1_3gpuE6ELNS1_3repE0EEENS1_30default_config_static_selectorELNS0_4arch9wavefront6targetE1EEEvS12_.numbered_sgpr, 87
	.set _ZN7rocprim17ROCPRIM_400000_NS6detail17trampoline_kernelINS0_13select_configILj256ELj13ELNS0_17block_load_methodE3ELS4_3ELS4_3ELNS0_20block_scan_algorithmE0ELj4294967295EEENS1_25partition_config_selectorILNS1_17partition_subalgoE4EjNS0_10empty_typeEbEEZZNS1_14partition_implILS8_4ELb0ES6_15HIP_vector_typeIjLj2EENS0_17counting_iteratorIjlEEPS9_SG_NS0_5tupleIJPjSI_NS0_16reverse_iteratorISI_EEEEENSH_IJSG_SG_SG_EEES9_SI_JZNS1_25segmented_radix_sort_implINS0_14default_configELb1EPKiPiPKlPlN2at6native12_GLOBAL__N_18offset_tEEE10hipError_tPvRmT1_PNSt15iterator_traitsIS12_E10value_typeET2_T3_PNS13_IS18_E10value_typeET4_jRbjT5_S1E_jjP12ihipStream_tbEUljE_ZNSN_ISO_Lb1ESQ_SR_ST_SU_SY_EESZ_S10_S11_S12_S16_S17_S18_S1B_S1C_jS1D_jS1E_S1E_jjS1G_bEUljE0_EEESZ_S10_S11_S18_S1C_S1E_T6_T7_T9_mT8_S1G_bDpT10_ENKUlT_T0_E_clISt17integral_constantIbLb0EES1T_IbLb1EEEEDaS1P_S1Q_EUlS1P_E_NS1_11comp_targetILNS1_3genE2ELNS1_11target_archE906ELNS1_3gpuE6ELNS1_3repE0EEENS1_30default_config_static_selectorELNS0_4arch9wavefront6targetE1EEEvS12_.num_named_barrier, 0
	.set _ZN7rocprim17ROCPRIM_400000_NS6detail17trampoline_kernelINS0_13select_configILj256ELj13ELNS0_17block_load_methodE3ELS4_3ELS4_3ELNS0_20block_scan_algorithmE0ELj4294967295EEENS1_25partition_config_selectorILNS1_17partition_subalgoE4EjNS0_10empty_typeEbEEZZNS1_14partition_implILS8_4ELb0ES6_15HIP_vector_typeIjLj2EENS0_17counting_iteratorIjlEEPS9_SG_NS0_5tupleIJPjSI_NS0_16reverse_iteratorISI_EEEEENSH_IJSG_SG_SG_EEES9_SI_JZNS1_25segmented_radix_sort_implINS0_14default_configELb1EPKiPiPKlPlN2at6native12_GLOBAL__N_18offset_tEEE10hipError_tPvRmT1_PNSt15iterator_traitsIS12_E10value_typeET2_T3_PNS13_IS18_E10value_typeET4_jRbjT5_S1E_jjP12ihipStream_tbEUljE_ZNSN_ISO_Lb1ESQ_SR_ST_SU_SY_EESZ_S10_S11_S12_S16_S17_S18_S1B_S1C_jS1D_jS1E_S1E_jjS1G_bEUljE0_EEESZ_S10_S11_S18_S1C_S1E_T6_T7_T9_mT8_S1G_bDpT10_ENKUlT_T0_E_clISt17integral_constantIbLb0EES1T_IbLb1EEEEDaS1P_S1Q_EUlS1P_E_NS1_11comp_targetILNS1_3genE2ELNS1_11target_archE906ELNS1_3gpuE6ELNS1_3repE0EEENS1_30default_config_static_selectorELNS0_4arch9wavefront6targetE1EEEvS12_.private_seg_size, 0
	.set _ZN7rocprim17ROCPRIM_400000_NS6detail17trampoline_kernelINS0_13select_configILj256ELj13ELNS0_17block_load_methodE3ELS4_3ELS4_3ELNS0_20block_scan_algorithmE0ELj4294967295EEENS1_25partition_config_selectorILNS1_17partition_subalgoE4EjNS0_10empty_typeEbEEZZNS1_14partition_implILS8_4ELb0ES6_15HIP_vector_typeIjLj2EENS0_17counting_iteratorIjlEEPS9_SG_NS0_5tupleIJPjSI_NS0_16reverse_iteratorISI_EEEEENSH_IJSG_SG_SG_EEES9_SI_JZNS1_25segmented_radix_sort_implINS0_14default_configELb1EPKiPiPKlPlN2at6native12_GLOBAL__N_18offset_tEEE10hipError_tPvRmT1_PNSt15iterator_traitsIS12_E10value_typeET2_T3_PNS13_IS18_E10value_typeET4_jRbjT5_S1E_jjP12ihipStream_tbEUljE_ZNSN_ISO_Lb1ESQ_SR_ST_SU_SY_EESZ_S10_S11_S12_S16_S17_S18_S1B_S1C_jS1D_jS1E_S1E_jjS1G_bEUljE0_EEESZ_S10_S11_S18_S1C_S1E_T6_T7_T9_mT8_S1G_bDpT10_ENKUlT_T0_E_clISt17integral_constantIbLb0EES1T_IbLb1EEEEDaS1P_S1Q_EUlS1P_E_NS1_11comp_targetILNS1_3genE2ELNS1_11target_archE906ELNS1_3gpuE6ELNS1_3repE0EEENS1_30default_config_static_selectorELNS0_4arch9wavefront6targetE1EEEvS12_.uses_vcc, 1
	.set _ZN7rocprim17ROCPRIM_400000_NS6detail17trampoline_kernelINS0_13select_configILj256ELj13ELNS0_17block_load_methodE3ELS4_3ELS4_3ELNS0_20block_scan_algorithmE0ELj4294967295EEENS1_25partition_config_selectorILNS1_17partition_subalgoE4EjNS0_10empty_typeEbEEZZNS1_14partition_implILS8_4ELb0ES6_15HIP_vector_typeIjLj2EENS0_17counting_iteratorIjlEEPS9_SG_NS0_5tupleIJPjSI_NS0_16reverse_iteratorISI_EEEEENSH_IJSG_SG_SG_EEES9_SI_JZNS1_25segmented_radix_sort_implINS0_14default_configELb1EPKiPiPKlPlN2at6native12_GLOBAL__N_18offset_tEEE10hipError_tPvRmT1_PNSt15iterator_traitsIS12_E10value_typeET2_T3_PNS13_IS18_E10value_typeET4_jRbjT5_S1E_jjP12ihipStream_tbEUljE_ZNSN_ISO_Lb1ESQ_SR_ST_SU_SY_EESZ_S10_S11_S12_S16_S17_S18_S1B_S1C_jS1D_jS1E_S1E_jjS1G_bEUljE0_EEESZ_S10_S11_S18_S1C_S1E_T6_T7_T9_mT8_S1G_bDpT10_ENKUlT_T0_E_clISt17integral_constantIbLb0EES1T_IbLb1EEEEDaS1P_S1Q_EUlS1P_E_NS1_11comp_targetILNS1_3genE2ELNS1_11target_archE906ELNS1_3gpuE6ELNS1_3repE0EEENS1_30default_config_static_selectorELNS0_4arch9wavefront6targetE1EEEvS12_.uses_flat_scratch, 0
	.set _ZN7rocprim17ROCPRIM_400000_NS6detail17trampoline_kernelINS0_13select_configILj256ELj13ELNS0_17block_load_methodE3ELS4_3ELS4_3ELNS0_20block_scan_algorithmE0ELj4294967295EEENS1_25partition_config_selectorILNS1_17partition_subalgoE4EjNS0_10empty_typeEbEEZZNS1_14partition_implILS8_4ELb0ES6_15HIP_vector_typeIjLj2EENS0_17counting_iteratorIjlEEPS9_SG_NS0_5tupleIJPjSI_NS0_16reverse_iteratorISI_EEEEENSH_IJSG_SG_SG_EEES9_SI_JZNS1_25segmented_radix_sort_implINS0_14default_configELb1EPKiPiPKlPlN2at6native12_GLOBAL__N_18offset_tEEE10hipError_tPvRmT1_PNSt15iterator_traitsIS12_E10value_typeET2_T3_PNS13_IS18_E10value_typeET4_jRbjT5_S1E_jjP12ihipStream_tbEUljE_ZNSN_ISO_Lb1ESQ_SR_ST_SU_SY_EESZ_S10_S11_S12_S16_S17_S18_S1B_S1C_jS1D_jS1E_S1E_jjS1G_bEUljE0_EEESZ_S10_S11_S18_S1C_S1E_T6_T7_T9_mT8_S1G_bDpT10_ENKUlT_T0_E_clISt17integral_constantIbLb0EES1T_IbLb1EEEEDaS1P_S1Q_EUlS1P_E_NS1_11comp_targetILNS1_3genE2ELNS1_11target_archE906ELNS1_3gpuE6ELNS1_3repE0EEENS1_30default_config_static_selectorELNS0_4arch9wavefront6targetE1EEEvS12_.has_dyn_sized_stack, 0
	.set _ZN7rocprim17ROCPRIM_400000_NS6detail17trampoline_kernelINS0_13select_configILj256ELj13ELNS0_17block_load_methodE3ELS4_3ELS4_3ELNS0_20block_scan_algorithmE0ELj4294967295EEENS1_25partition_config_selectorILNS1_17partition_subalgoE4EjNS0_10empty_typeEbEEZZNS1_14partition_implILS8_4ELb0ES6_15HIP_vector_typeIjLj2EENS0_17counting_iteratorIjlEEPS9_SG_NS0_5tupleIJPjSI_NS0_16reverse_iteratorISI_EEEEENSH_IJSG_SG_SG_EEES9_SI_JZNS1_25segmented_radix_sort_implINS0_14default_configELb1EPKiPiPKlPlN2at6native12_GLOBAL__N_18offset_tEEE10hipError_tPvRmT1_PNSt15iterator_traitsIS12_E10value_typeET2_T3_PNS13_IS18_E10value_typeET4_jRbjT5_S1E_jjP12ihipStream_tbEUljE_ZNSN_ISO_Lb1ESQ_SR_ST_SU_SY_EESZ_S10_S11_S12_S16_S17_S18_S1B_S1C_jS1D_jS1E_S1E_jjS1G_bEUljE0_EEESZ_S10_S11_S18_S1C_S1E_T6_T7_T9_mT8_S1G_bDpT10_ENKUlT_T0_E_clISt17integral_constantIbLb0EES1T_IbLb1EEEEDaS1P_S1Q_EUlS1P_E_NS1_11comp_targetILNS1_3genE2ELNS1_11target_archE906ELNS1_3gpuE6ELNS1_3repE0EEENS1_30default_config_static_selectorELNS0_4arch9wavefront6targetE1EEEvS12_.has_recursion, 0
	.set _ZN7rocprim17ROCPRIM_400000_NS6detail17trampoline_kernelINS0_13select_configILj256ELj13ELNS0_17block_load_methodE3ELS4_3ELS4_3ELNS0_20block_scan_algorithmE0ELj4294967295EEENS1_25partition_config_selectorILNS1_17partition_subalgoE4EjNS0_10empty_typeEbEEZZNS1_14partition_implILS8_4ELb0ES6_15HIP_vector_typeIjLj2EENS0_17counting_iteratorIjlEEPS9_SG_NS0_5tupleIJPjSI_NS0_16reverse_iteratorISI_EEEEENSH_IJSG_SG_SG_EEES9_SI_JZNS1_25segmented_radix_sort_implINS0_14default_configELb1EPKiPiPKlPlN2at6native12_GLOBAL__N_18offset_tEEE10hipError_tPvRmT1_PNSt15iterator_traitsIS12_E10value_typeET2_T3_PNS13_IS18_E10value_typeET4_jRbjT5_S1E_jjP12ihipStream_tbEUljE_ZNSN_ISO_Lb1ESQ_SR_ST_SU_SY_EESZ_S10_S11_S12_S16_S17_S18_S1B_S1C_jS1D_jS1E_S1E_jjS1G_bEUljE0_EEESZ_S10_S11_S18_S1C_S1E_T6_T7_T9_mT8_S1G_bDpT10_ENKUlT_T0_E_clISt17integral_constantIbLb0EES1T_IbLb1EEEEDaS1P_S1Q_EUlS1P_E_NS1_11comp_targetILNS1_3genE2ELNS1_11target_archE906ELNS1_3gpuE6ELNS1_3repE0EEENS1_30default_config_static_selectorELNS0_4arch9wavefront6targetE1EEEvS12_.has_indirect_call, 0
	.section	.AMDGPU.csdata,"",@progbits
; Kernel info:
; codeLenInByte = 15580
; TotalNumSgprs: 91
; NumVgprs: 91
; ScratchSize: 0
; MemoryBound: 0
; FloatMode: 240
; IeeeMode: 1
; LDSByteSize: 13328 bytes/workgroup (compile time only)
; SGPRBlocks: 12
; VGPRBlocks: 22
; NumSGPRsForWavesPerEU: 102
; NumVGPRsForWavesPerEU: 91
; Occupancy: 2
; WaveLimiterHint : 1
; COMPUTE_PGM_RSRC2:SCRATCH_EN: 0
; COMPUTE_PGM_RSRC2:USER_SGPR: 6
; COMPUTE_PGM_RSRC2:TRAP_HANDLER: 0
; COMPUTE_PGM_RSRC2:TGID_X_EN: 1
; COMPUTE_PGM_RSRC2:TGID_Y_EN: 0
; COMPUTE_PGM_RSRC2:TGID_Z_EN: 0
; COMPUTE_PGM_RSRC2:TIDIG_COMP_CNT: 0
	.section	.text._ZN7rocprim17ROCPRIM_400000_NS6detail17trampoline_kernelINS0_13select_configILj256ELj13ELNS0_17block_load_methodE3ELS4_3ELS4_3ELNS0_20block_scan_algorithmE0ELj4294967295EEENS1_25partition_config_selectorILNS1_17partition_subalgoE4EjNS0_10empty_typeEbEEZZNS1_14partition_implILS8_4ELb0ES6_15HIP_vector_typeIjLj2EENS0_17counting_iteratorIjlEEPS9_SG_NS0_5tupleIJPjSI_NS0_16reverse_iteratorISI_EEEEENSH_IJSG_SG_SG_EEES9_SI_JZNS1_25segmented_radix_sort_implINS0_14default_configELb1EPKiPiPKlPlN2at6native12_GLOBAL__N_18offset_tEEE10hipError_tPvRmT1_PNSt15iterator_traitsIS12_E10value_typeET2_T3_PNS13_IS18_E10value_typeET4_jRbjT5_S1E_jjP12ihipStream_tbEUljE_ZNSN_ISO_Lb1ESQ_SR_ST_SU_SY_EESZ_S10_S11_S12_S16_S17_S18_S1B_S1C_jS1D_jS1E_S1E_jjS1G_bEUljE0_EEESZ_S10_S11_S18_S1C_S1E_T6_T7_T9_mT8_S1G_bDpT10_ENKUlT_T0_E_clISt17integral_constantIbLb0EES1T_IbLb1EEEEDaS1P_S1Q_EUlS1P_E_NS1_11comp_targetILNS1_3genE10ELNS1_11target_archE1200ELNS1_3gpuE4ELNS1_3repE0EEENS1_30default_config_static_selectorELNS0_4arch9wavefront6targetE1EEEvS12_,"axG",@progbits,_ZN7rocprim17ROCPRIM_400000_NS6detail17trampoline_kernelINS0_13select_configILj256ELj13ELNS0_17block_load_methodE3ELS4_3ELS4_3ELNS0_20block_scan_algorithmE0ELj4294967295EEENS1_25partition_config_selectorILNS1_17partition_subalgoE4EjNS0_10empty_typeEbEEZZNS1_14partition_implILS8_4ELb0ES6_15HIP_vector_typeIjLj2EENS0_17counting_iteratorIjlEEPS9_SG_NS0_5tupleIJPjSI_NS0_16reverse_iteratorISI_EEEEENSH_IJSG_SG_SG_EEES9_SI_JZNS1_25segmented_radix_sort_implINS0_14default_configELb1EPKiPiPKlPlN2at6native12_GLOBAL__N_18offset_tEEE10hipError_tPvRmT1_PNSt15iterator_traitsIS12_E10value_typeET2_T3_PNS13_IS18_E10value_typeET4_jRbjT5_S1E_jjP12ihipStream_tbEUljE_ZNSN_ISO_Lb1ESQ_SR_ST_SU_SY_EESZ_S10_S11_S12_S16_S17_S18_S1B_S1C_jS1D_jS1E_S1E_jjS1G_bEUljE0_EEESZ_S10_S11_S18_S1C_S1E_T6_T7_T9_mT8_S1G_bDpT10_ENKUlT_T0_E_clISt17integral_constantIbLb0EES1T_IbLb1EEEEDaS1P_S1Q_EUlS1P_E_NS1_11comp_targetILNS1_3genE10ELNS1_11target_archE1200ELNS1_3gpuE4ELNS1_3repE0EEENS1_30default_config_static_selectorELNS0_4arch9wavefront6targetE1EEEvS12_,comdat
	.globl	_ZN7rocprim17ROCPRIM_400000_NS6detail17trampoline_kernelINS0_13select_configILj256ELj13ELNS0_17block_load_methodE3ELS4_3ELS4_3ELNS0_20block_scan_algorithmE0ELj4294967295EEENS1_25partition_config_selectorILNS1_17partition_subalgoE4EjNS0_10empty_typeEbEEZZNS1_14partition_implILS8_4ELb0ES6_15HIP_vector_typeIjLj2EENS0_17counting_iteratorIjlEEPS9_SG_NS0_5tupleIJPjSI_NS0_16reverse_iteratorISI_EEEEENSH_IJSG_SG_SG_EEES9_SI_JZNS1_25segmented_radix_sort_implINS0_14default_configELb1EPKiPiPKlPlN2at6native12_GLOBAL__N_18offset_tEEE10hipError_tPvRmT1_PNSt15iterator_traitsIS12_E10value_typeET2_T3_PNS13_IS18_E10value_typeET4_jRbjT5_S1E_jjP12ihipStream_tbEUljE_ZNSN_ISO_Lb1ESQ_SR_ST_SU_SY_EESZ_S10_S11_S12_S16_S17_S18_S1B_S1C_jS1D_jS1E_S1E_jjS1G_bEUljE0_EEESZ_S10_S11_S18_S1C_S1E_T6_T7_T9_mT8_S1G_bDpT10_ENKUlT_T0_E_clISt17integral_constantIbLb0EES1T_IbLb1EEEEDaS1P_S1Q_EUlS1P_E_NS1_11comp_targetILNS1_3genE10ELNS1_11target_archE1200ELNS1_3gpuE4ELNS1_3repE0EEENS1_30default_config_static_selectorELNS0_4arch9wavefront6targetE1EEEvS12_ ; -- Begin function _ZN7rocprim17ROCPRIM_400000_NS6detail17trampoline_kernelINS0_13select_configILj256ELj13ELNS0_17block_load_methodE3ELS4_3ELS4_3ELNS0_20block_scan_algorithmE0ELj4294967295EEENS1_25partition_config_selectorILNS1_17partition_subalgoE4EjNS0_10empty_typeEbEEZZNS1_14partition_implILS8_4ELb0ES6_15HIP_vector_typeIjLj2EENS0_17counting_iteratorIjlEEPS9_SG_NS0_5tupleIJPjSI_NS0_16reverse_iteratorISI_EEEEENSH_IJSG_SG_SG_EEES9_SI_JZNS1_25segmented_radix_sort_implINS0_14default_configELb1EPKiPiPKlPlN2at6native12_GLOBAL__N_18offset_tEEE10hipError_tPvRmT1_PNSt15iterator_traitsIS12_E10value_typeET2_T3_PNS13_IS18_E10value_typeET4_jRbjT5_S1E_jjP12ihipStream_tbEUljE_ZNSN_ISO_Lb1ESQ_SR_ST_SU_SY_EESZ_S10_S11_S12_S16_S17_S18_S1B_S1C_jS1D_jS1E_S1E_jjS1G_bEUljE0_EEESZ_S10_S11_S18_S1C_S1E_T6_T7_T9_mT8_S1G_bDpT10_ENKUlT_T0_E_clISt17integral_constantIbLb0EES1T_IbLb1EEEEDaS1P_S1Q_EUlS1P_E_NS1_11comp_targetILNS1_3genE10ELNS1_11target_archE1200ELNS1_3gpuE4ELNS1_3repE0EEENS1_30default_config_static_selectorELNS0_4arch9wavefront6targetE1EEEvS12_
	.p2align	8
	.type	_ZN7rocprim17ROCPRIM_400000_NS6detail17trampoline_kernelINS0_13select_configILj256ELj13ELNS0_17block_load_methodE3ELS4_3ELS4_3ELNS0_20block_scan_algorithmE0ELj4294967295EEENS1_25partition_config_selectorILNS1_17partition_subalgoE4EjNS0_10empty_typeEbEEZZNS1_14partition_implILS8_4ELb0ES6_15HIP_vector_typeIjLj2EENS0_17counting_iteratorIjlEEPS9_SG_NS0_5tupleIJPjSI_NS0_16reverse_iteratorISI_EEEEENSH_IJSG_SG_SG_EEES9_SI_JZNS1_25segmented_radix_sort_implINS0_14default_configELb1EPKiPiPKlPlN2at6native12_GLOBAL__N_18offset_tEEE10hipError_tPvRmT1_PNSt15iterator_traitsIS12_E10value_typeET2_T3_PNS13_IS18_E10value_typeET4_jRbjT5_S1E_jjP12ihipStream_tbEUljE_ZNSN_ISO_Lb1ESQ_SR_ST_SU_SY_EESZ_S10_S11_S12_S16_S17_S18_S1B_S1C_jS1D_jS1E_S1E_jjS1G_bEUljE0_EEESZ_S10_S11_S18_S1C_S1E_T6_T7_T9_mT8_S1G_bDpT10_ENKUlT_T0_E_clISt17integral_constantIbLb0EES1T_IbLb1EEEEDaS1P_S1Q_EUlS1P_E_NS1_11comp_targetILNS1_3genE10ELNS1_11target_archE1200ELNS1_3gpuE4ELNS1_3repE0EEENS1_30default_config_static_selectorELNS0_4arch9wavefront6targetE1EEEvS12_,@function
_ZN7rocprim17ROCPRIM_400000_NS6detail17trampoline_kernelINS0_13select_configILj256ELj13ELNS0_17block_load_methodE3ELS4_3ELS4_3ELNS0_20block_scan_algorithmE0ELj4294967295EEENS1_25partition_config_selectorILNS1_17partition_subalgoE4EjNS0_10empty_typeEbEEZZNS1_14partition_implILS8_4ELb0ES6_15HIP_vector_typeIjLj2EENS0_17counting_iteratorIjlEEPS9_SG_NS0_5tupleIJPjSI_NS0_16reverse_iteratorISI_EEEEENSH_IJSG_SG_SG_EEES9_SI_JZNS1_25segmented_radix_sort_implINS0_14default_configELb1EPKiPiPKlPlN2at6native12_GLOBAL__N_18offset_tEEE10hipError_tPvRmT1_PNSt15iterator_traitsIS12_E10value_typeET2_T3_PNS13_IS18_E10value_typeET4_jRbjT5_S1E_jjP12ihipStream_tbEUljE_ZNSN_ISO_Lb1ESQ_SR_ST_SU_SY_EESZ_S10_S11_S12_S16_S17_S18_S1B_S1C_jS1D_jS1E_S1E_jjS1G_bEUljE0_EEESZ_S10_S11_S18_S1C_S1E_T6_T7_T9_mT8_S1G_bDpT10_ENKUlT_T0_E_clISt17integral_constantIbLb0EES1T_IbLb1EEEEDaS1P_S1Q_EUlS1P_E_NS1_11comp_targetILNS1_3genE10ELNS1_11target_archE1200ELNS1_3gpuE4ELNS1_3repE0EEENS1_30default_config_static_selectorELNS0_4arch9wavefront6targetE1EEEvS12_: ; @_ZN7rocprim17ROCPRIM_400000_NS6detail17trampoline_kernelINS0_13select_configILj256ELj13ELNS0_17block_load_methodE3ELS4_3ELS4_3ELNS0_20block_scan_algorithmE0ELj4294967295EEENS1_25partition_config_selectorILNS1_17partition_subalgoE4EjNS0_10empty_typeEbEEZZNS1_14partition_implILS8_4ELb0ES6_15HIP_vector_typeIjLj2EENS0_17counting_iteratorIjlEEPS9_SG_NS0_5tupleIJPjSI_NS0_16reverse_iteratorISI_EEEEENSH_IJSG_SG_SG_EEES9_SI_JZNS1_25segmented_radix_sort_implINS0_14default_configELb1EPKiPiPKlPlN2at6native12_GLOBAL__N_18offset_tEEE10hipError_tPvRmT1_PNSt15iterator_traitsIS12_E10value_typeET2_T3_PNS13_IS18_E10value_typeET4_jRbjT5_S1E_jjP12ihipStream_tbEUljE_ZNSN_ISO_Lb1ESQ_SR_ST_SU_SY_EESZ_S10_S11_S12_S16_S17_S18_S1B_S1C_jS1D_jS1E_S1E_jjS1G_bEUljE0_EEESZ_S10_S11_S18_S1C_S1E_T6_T7_T9_mT8_S1G_bDpT10_ENKUlT_T0_E_clISt17integral_constantIbLb0EES1T_IbLb1EEEEDaS1P_S1Q_EUlS1P_E_NS1_11comp_targetILNS1_3genE10ELNS1_11target_archE1200ELNS1_3gpuE4ELNS1_3repE0EEENS1_30default_config_static_selectorELNS0_4arch9wavefront6targetE1EEEvS12_
; %bb.0:
	.section	.rodata,"a",@progbits
	.p2align	6, 0x0
	.amdhsa_kernel _ZN7rocprim17ROCPRIM_400000_NS6detail17trampoline_kernelINS0_13select_configILj256ELj13ELNS0_17block_load_methodE3ELS4_3ELS4_3ELNS0_20block_scan_algorithmE0ELj4294967295EEENS1_25partition_config_selectorILNS1_17partition_subalgoE4EjNS0_10empty_typeEbEEZZNS1_14partition_implILS8_4ELb0ES6_15HIP_vector_typeIjLj2EENS0_17counting_iteratorIjlEEPS9_SG_NS0_5tupleIJPjSI_NS0_16reverse_iteratorISI_EEEEENSH_IJSG_SG_SG_EEES9_SI_JZNS1_25segmented_radix_sort_implINS0_14default_configELb1EPKiPiPKlPlN2at6native12_GLOBAL__N_18offset_tEEE10hipError_tPvRmT1_PNSt15iterator_traitsIS12_E10value_typeET2_T3_PNS13_IS18_E10value_typeET4_jRbjT5_S1E_jjP12ihipStream_tbEUljE_ZNSN_ISO_Lb1ESQ_SR_ST_SU_SY_EESZ_S10_S11_S12_S16_S17_S18_S1B_S1C_jS1D_jS1E_S1E_jjS1G_bEUljE0_EEESZ_S10_S11_S18_S1C_S1E_T6_T7_T9_mT8_S1G_bDpT10_ENKUlT_T0_E_clISt17integral_constantIbLb0EES1T_IbLb1EEEEDaS1P_S1Q_EUlS1P_E_NS1_11comp_targetILNS1_3genE10ELNS1_11target_archE1200ELNS1_3gpuE4ELNS1_3repE0EEENS1_30default_config_static_selectorELNS0_4arch9wavefront6targetE1EEEvS12_
		.amdhsa_group_segment_fixed_size 0
		.amdhsa_private_segment_fixed_size 0
		.amdhsa_kernarg_size 184
		.amdhsa_user_sgpr_count 6
		.amdhsa_user_sgpr_private_segment_buffer 1
		.amdhsa_user_sgpr_dispatch_ptr 0
		.amdhsa_user_sgpr_queue_ptr 0
		.amdhsa_user_sgpr_kernarg_segment_ptr 1
		.amdhsa_user_sgpr_dispatch_id 0
		.amdhsa_user_sgpr_flat_scratch_init 0
		.amdhsa_user_sgpr_private_segment_size 0
		.amdhsa_uses_dynamic_stack 0
		.amdhsa_system_sgpr_private_segment_wavefront_offset 0
		.amdhsa_system_sgpr_workgroup_id_x 1
		.amdhsa_system_sgpr_workgroup_id_y 0
		.amdhsa_system_sgpr_workgroup_id_z 0
		.amdhsa_system_sgpr_workgroup_info 0
		.amdhsa_system_vgpr_workitem_id 0
		.amdhsa_next_free_vgpr 1
		.amdhsa_next_free_sgpr 0
		.amdhsa_reserve_vcc 0
		.amdhsa_reserve_flat_scratch 0
		.amdhsa_float_round_mode_32 0
		.amdhsa_float_round_mode_16_64 0
		.amdhsa_float_denorm_mode_32 3
		.amdhsa_float_denorm_mode_16_64 3
		.amdhsa_dx10_clamp 1
		.amdhsa_ieee_mode 1
		.amdhsa_fp16_overflow 0
		.amdhsa_exception_fp_ieee_invalid_op 0
		.amdhsa_exception_fp_denorm_src 0
		.amdhsa_exception_fp_ieee_div_zero 0
		.amdhsa_exception_fp_ieee_overflow 0
		.amdhsa_exception_fp_ieee_underflow 0
		.amdhsa_exception_fp_ieee_inexact 0
		.amdhsa_exception_int_div_zero 0
	.end_amdhsa_kernel
	.section	.text._ZN7rocprim17ROCPRIM_400000_NS6detail17trampoline_kernelINS0_13select_configILj256ELj13ELNS0_17block_load_methodE3ELS4_3ELS4_3ELNS0_20block_scan_algorithmE0ELj4294967295EEENS1_25partition_config_selectorILNS1_17partition_subalgoE4EjNS0_10empty_typeEbEEZZNS1_14partition_implILS8_4ELb0ES6_15HIP_vector_typeIjLj2EENS0_17counting_iteratorIjlEEPS9_SG_NS0_5tupleIJPjSI_NS0_16reverse_iteratorISI_EEEEENSH_IJSG_SG_SG_EEES9_SI_JZNS1_25segmented_radix_sort_implINS0_14default_configELb1EPKiPiPKlPlN2at6native12_GLOBAL__N_18offset_tEEE10hipError_tPvRmT1_PNSt15iterator_traitsIS12_E10value_typeET2_T3_PNS13_IS18_E10value_typeET4_jRbjT5_S1E_jjP12ihipStream_tbEUljE_ZNSN_ISO_Lb1ESQ_SR_ST_SU_SY_EESZ_S10_S11_S12_S16_S17_S18_S1B_S1C_jS1D_jS1E_S1E_jjS1G_bEUljE0_EEESZ_S10_S11_S18_S1C_S1E_T6_T7_T9_mT8_S1G_bDpT10_ENKUlT_T0_E_clISt17integral_constantIbLb0EES1T_IbLb1EEEEDaS1P_S1Q_EUlS1P_E_NS1_11comp_targetILNS1_3genE10ELNS1_11target_archE1200ELNS1_3gpuE4ELNS1_3repE0EEENS1_30default_config_static_selectorELNS0_4arch9wavefront6targetE1EEEvS12_,"axG",@progbits,_ZN7rocprim17ROCPRIM_400000_NS6detail17trampoline_kernelINS0_13select_configILj256ELj13ELNS0_17block_load_methodE3ELS4_3ELS4_3ELNS0_20block_scan_algorithmE0ELj4294967295EEENS1_25partition_config_selectorILNS1_17partition_subalgoE4EjNS0_10empty_typeEbEEZZNS1_14partition_implILS8_4ELb0ES6_15HIP_vector_typeIjLj2EENS0_17counting_iteratorIjlEEPS9_SG_NS0_5tupleIJPjSI_NS0_16reverse_iteratorISI_EEEEENSH_IJSG_SG_SG_EEES9_SI_JZNS1_25segmented_radix_sort_implINS0_14default_configELb1EPKiPiPKlPlN2at6native12_GLOBAL__N_18offset_tEEE10hipError_tPvRmT1_PNSt15iterator_traitsIS12_E10value_typeET2_T3_PNS13_IS18_E10value_typeET4_jRbjT5_S1E_jjP12ihipStream_tbEUljE_ZNSN_ISO_Lb1ESQ_SR_ST_SU_SY_EESZ_S10_S11_S12_S16_S17_S18_S1B_S1C_jS1D_jS1E_S1E_jjS1G_bEUljE0_EEESZ_S10_S11_S18_S1C_S1E_T6_T7_T9_mT8_S1G_bDpT10_ENKUlT_T0_E_clISt17integral_constantIbLb0EES1T_IbLb1EEEEDaS1P_S1Q_EUlS1P_E_NS1_11comp_targetILNS1_3genE10ELNS1_11target_archE1200ELNS1_3gpuE4ELNS1_3repE0EEENS1_30default_config_static_selectorELNS0_4arch9wavefront6targetE1EEEvS12_,comdat
.Lfunc_end462:
	.size	_ZN7rocprim17ROCPRIM_400000_NS6detail17trampoline_kernelINS0_13select_configILj256ELj13ELNS0_17block_load_methodE3ELS4_3ELS4_3ELNS0_20block_scan_algorithmE0ELj4294967295EEENS1_25partition_config_selectorILNS1_17partition_subalgoE4EjNS0_10empty_typeEbEEZZNS1_14partition_implILS8_4ELb0ES6_15HIP_vector_typeIjLj2EENS0_17counting_iteratorIjlEEPS9_SG_NS0_5tupleIJPjSI_NS0_16reverse_iteratorISI_EEEEENSH_IJSG_SG_SG_EEES9_SI_JZNS1_25segmented_radix_sort_implINS0_14default_configELb1EPKiPiPKlPlN2at6native12_GLOBAL__N_18offset_tEEE10hipError_tPvRmT1_PNSt15iterator_traitsIS12_E10value_typeET2_T3_PNS13_IS18_E10value_typeET4_jRbjT5_S1E_jjP12ihipStream_tbEUljE_ZNSN_ISO_Lb1ESQ_SR_ST_SU_SY_EESZ_S10_S11_S12_S16_S17_S18_S1B_S1C_jS1D_jS1E_S1E_jjS1G_bEUljE0_EEESZ_S10_S11_S18_S1C_S1E_T6_T7_T9_mT8_S1G_bDpT10_ENKUlT_T0_E_clISt17integral_constantIbLb0EES1T_IbLb1EEEEDaS1P_S1Q_EUlS1P_E_NS1_11comp_targetILNS1_3genE10ELNS1_11target_archE1200ELNS1_3gpuE4ELNS1_3repE0EEENS1_30default_config_static_selectorELNS0_4arch9wavefront6targetE1EEEvS12_, .Lfunc_end462-_ZN7rocprim17ROCPRIM_400000_NS6detail17trampoline_kernelINS0_13select_configILj256ELj13ELNS0_17block_load_methodE3ELS4_3ELS4_3ELNS0_20block_scan_algorithmE0ELj4294967295EEENS1_25partition_config_selectorILNS1_17partition_subalgoE4EjNS0_10empty_typeEbEEZZNS1_14partition_implILS8_4ELb0ES6_15HIP_vector_typeIjLj2EENS0_17counting_iteratorIjlEEPS9_SG_NS0_5tupleIJPjSI_NS0_16reverse_iteratorISI_EEEEENSH_IJSG_SG_SG_EEES9_SI_JZNS1_25segmented_radix_sort_implINS0_14default_configELb1EPKiPiPKlPlN2at6native12_GLOBAL__N_18offset_tEEE10hipError_tPvRmT1_PNSt15iterator_traitsIS12_E10value_typeET2_T3_PNS13_IS18_E10value_typeET4_jRbjT5_S1E_jjP12ihipStream_tbEUljE_ZNSN_ISO_Lb1ESQ_SR_ST_SU_SY_EESZ_S10_S11_S12_S16_S17_S18_S1B_S1C_jS1D_jS1E_S1E_jjS1G_bEUljE0_EEESZ_S10_S11_S18_S1C_S1E_T6_T7_T9_mT8_S1G_bDpT10_ENKUlT_T0_E_clISt17integral_constantIbLb0EES1T_IbLb1EEEEDaS1P_S1Q_EUlS1P_E_NS1_11comp_targetILNS1_3genE10ELNS1_11target_archE1200ELNS1_3gpuE4ELNS1_3repE0EEENS1_30default_config_static_selectorELNS0_4arch9wavefront6targetE1EEEvS12_
                                        ; -- End function
	.set _ZN7rocprim17ROCPRIM_400000_NS6detail17trampoline_kernelINS0_13select_configILj256ELj13ELNS0_17block_load_methodE3ELS4_3ELS4_3ELNS0_20block_scan_algorithmE0ELj4294967295EEENS1_25partition_config_selectorILNS1_17partition_subalgoE4EjNS0_10empty_typeEbEEZZNS1_14partition_implILS8_4ELb0ES6_15HIP_vector_typeIjLj2EENS0_17counting_iteratorIjlEEPS9_SG_NS0_5tupleIJPjSI_NS0_16reverse_iteratorISI_EEEEENSH_IJSG_SG_SG_EEES9_SI_JZNS1_25segmented_radix_sort_implINS0_14default_configELb1EPKiPiPKlPlN2at6native12_GLOBAL__N_18offset_tEEE10hipError_tPvRmT1_PNSt15iterator_traitsIS12_E10value_typeET2_T3_PNS13_IS18_E10value_typeET4_jRbjT5_S1E_jjP12ihipStream_tbEUljE_ZNSN_ISO_Lb1ESQ_SR_ST_SU_SY_EESZ_S10_S11_S12_S16_S17_S18_S1B_S1C_jS1D_jS1E_S1E_jjS1G_bEUljE0_EEESZ_S10_S11_S18_S1C_S1E_T6_T7_T9_mT8_S1G_bDpT10_ENKUlT_T0_E_clISt17integral_constantIbLb0EES1T_IbLb1EEEEDaS1P_S1Q_EUlS1P_E_NS1_11comp_targetILNS1_3genE10ELNS1_11target_archE1200ELNS1_3gpuE4ELNS1_3repE0EEENS1_30default_config_static_selectorELNS0_4arch9wavefront6targetE1EEEvS12_.num_vgpr, 0
	.set _ZN7rocprim17ROCPRIM_400000_NS6detail17trampoline_kernelINS0_13select_configILj256ELj13ELNS0_17block_load_methodE3ELS4_3ELS4_3ELNS0_20block_scan_algorithmE0ELj4294967295EEENS1_25partition_config_selectorILNS1_17partition_subalgoE4EjNS0_10empty_typeEbEEZZNS1_14partition_implILS8_4ELb0ES6_15HIP_vector_typeIjLj2EENS0_17counting_iteratorIjlEEPS9_SG_NS0_5tupleIJPjSI_NS0_16reverse_iteratorISI_EEEEENSH_IJSG_SG_SG_EEES9_SI_JZNS1_25segmented_radix_sort_implINS0_14default_configELb1EPKiPiPKlPlN2at6native12_GLOBAL__N_18offset_tEEE10hipError_tPvRmT1_PNSt15iterator_traitsIS12_E10value_typeET2_T3_PNS13_IS18_E10value_typeET4_jRbjT5_S1E_jjP12ihipStream_tbEUljE_ZNSN_ISO_Lb1ESQ_SR_ST_SU_SY_EESZ_S10_S11_S12_S16_S17_S18_S1B_S1C_jS1D_jS1E_S1E_jjS1G_bEUljE0_EEESZ_S10_S11_S18_S1C_S1E_T6_T7_T9_mT8_S1G_bDpT10_ENKUlT_T0_E_clISt17integral_constantIbLb0EES1T_IbLb1EEEEDaS1P_S1Q_EUlS1P_E_NS1_11comp_targetILNS1_3genE10ELNS1_11target_archE1200ELNS1_3gpuE4ELNS1_3repE0EEENS1_30default_config_static_selectorELNS0_4arch9wavefront6targetE1EEEvS12_.num_agpr, 0
	.set _ZN7rocprim17ROCPRIM_400000_NS6detail17trampoline_kernelINS0_13select_configILj256ELj13ELNS0_17block_load_methodE3ELS4_3ELS4_3ELNS0_20block_scan_algorithmE0ELj4294967295EEENS1_25partition_config_selectorILNS1_17partition_subalgoE4EjNS0_10empty_typeEbEEZZNS1_14partition_implILS8_4ELb0ES6_15HIP_vector_typeIjLj2EENS0_17counting_iteratorIjlEEPS9_SG_NS0_5tupleIJPjSI_NS0_16reverse_iteratorISI_EEEEENSH_IJSG_SG_SG_EEES9_SI_JZNS1_25segmented_radix_sort_implINS0_14default_configELb1EPKiPiPKlPlN2at6native12_GLOBAL__N_18offset_tEEE10hipError_tPvRmT1_PNSt15iterator_traitsIS12_E10value_typeET2_T3_PNS13_IS18_E10value_typeET4_jRbjT5_S1E_jjP12ihipStream_tbEUljE_ZNSN_ISO_Lb1ESQ_SR_ST_SU_SY_EESZ_S10_S11_S12_S16_S17_S18_S1B_S1C_jS1D_jS1E_S1E_jjS1G_bEUljE0_EEESZ_S10_S11_S18_S1C_S1E_T6_T7_T9_mT8_S1G_bDpT10_ENKUlT_T0_E_clISt17integral_constantIbLb0EES1T_IbLb1EEEEDaS1P_S1Q_EUlS1P_E_NS1_11comp_targetILNS1_3genE10ELNS1_11target_archE1200ELNS1_3gpuE4ELNS1_3repE0EEENS1_30default_config_static_selectorELNS0_4arch9wavefront6targetE1EEEvS12_.numbered_sgpr, 0
	.set _ZN7rocprim17ROCPRIM_400000_NS6detail17trampoline_kernelINS0_13select_configILj256ELj13ELNS0_17block_load_methodE3ELS4_3ELS4_3ELNS0_20block_scan_algorithmE0ELj4294967295EEENS1_25partition_config_selectorILNS1_17partition_subalgoE4EjNS0_10empty_typeEbEEZZNS1_14partition_implILS8_4ELb0ES6_15HIP_vector_typeIjLj2EENS0_17counting_iteratorIjlEEPS9_SG_NS0_5tupleIJPjSI_NS0_16reverse_iteratorISI_EEEEENSH_IJSG_SG_SG_EEES9_SI_JZNS1_25segmented_radix_sort_implINS0_14default_configELb1EPKiPiPKlPlN2at6native12_GLOBAL__N_18offset_tEEE10hipError_tPvRmT1_PNSt15iterator_traitsIS12_E10value_typeET2_T3_PNS13_IS18_E10value_typeET4_jRbjT5_S1E_jjP12ihipStream_tbEUljE_ZNSN_ISO_Lb1ESQ_SR_ST_SU_SY_EESZ_S10_S11_S12_S16_S17_S18_S1B_S1C_jS1D_jS1E_S1E_jjS1G_bEUljE0_EEESZ_S10_S11_S18_S1C_S1E_T6_T7_T9_mT8_S1G_bDpT10_ENKUlT_T0_E_clISt17integral_constantIbLb0EES1T_IbLb1EEEEDaS1P_S1Q_EUlS1P_E_NS1_11comp_targetILNS1_3genE10ELNS1_11target_archE1200ELNS1_3gpuE4ELNS1_3repE0EEENS1_30default_config_static_selectorELNS0_4arch9wavefront6targetE1EEEvS12_.num_named_barrier, 0
	.set _ZN7rocprim17ROCPRIM_400000_NS6detail17trampoline_kernelINS0_13select_configILj256ELj13ELNS0_17block_load_methodE3ELS4_3ELS4_3ELNS0_20block_scan_algorithmE0ELj4294967295EEENS1_25partition_config_selectorILNS1_17partition_subalgoE4EjNS0_10empty_typeEbEEZZNS1_14partition_implILS8_4ELb0ES6_15HIP_vector_typeIjLj2EENS0_17counting_iteratorIjlEEPS9_SG_NS0_5tupleIJPjSI_NS0_16reverse_iteratorISI_EEEEENSH_IJSG_SG_SG_EEES9_SI_JZNS1_25segmented_radix_sort_implINS0_14default_configELb1EPKiPiPKlPlN2at6native12_GLOBAL__N_18offset_tEEE10hipError_tPvRmT1_PNSt15iterator_traitsIS12_E10value_typeET2_T3_PNS13_IS18_E10value_typeET4_jRbjT5_S1E_jjP12ihipStream_tbEUljE_ZNSN_ISO_Lb1ESQ_SR_ST_SU_SY_EESZ_S10_S11_S12_S16_S17_S18_S1B_S1C_jS1D_jS1E_S1E_jjS1G_bEUljE0_EEESZ_S10_S11_S18_S1C_S1E_T6_T7_T9_mT8_S1G_bDpT10_ENKUlT_T0_E_clISt17integral_constantIbLb0EES1T_IbLb1EEEEDaS1P_S1Q_EUlS1P_E_NS1_11comp_targetILNS1_3genE10ELNS1_11target_archE1200ELNS1_3gpuE4ELNS1_3repE0EEENS1_30default_config_static_selectorELNS0_4arch9wavefront6targetE1EEEvS12_.private_seg_size, 0
	.set _ZN7rocprim17ROCPRIM_400000_NS6detail17trampoline_kernelINS0_13select_configILj256ELj13ELNS0_17block_load_methodE3ELS4_3ELS4_3ELNS0_20block_scan_algorithmE0ELj4294967295EEENS1_25partition_config_selectorILNS1_17partition_subalgoE4EjNS0_10empty_typeEbEEZZNS1_14partition_implILS8_4ELb0ES6_15HIP_vector_typeIjLj2EENS0_17counting_iteratorIjlEEPS9_SG_NS0_5tupleIJPjSI_NS0_16reverse_iteratorISI_EEEEENSH_IJSG_SG_SG_EEES9_SI_JZNS1_25segmented_radix_sort_implINS0_14default_configELb1EPKiPiPKlPlN2at6native12_GLOBAL__N_18offset_tEEE10hipError_tPvRmT1_PNSt15iterator_traitsIS12_E10value_typeET2_T3_PNS13_IS18_E10value_typeET4_jRbjT5_S1E_jjP12ihipStream_tbEUljE_ZNSN_ISO_Lb1ESQ_SR_ST_SU_SY_EESZ_S10_S11_S12_S16_S17_S18_S1B_S1C_jS1D_jS1E_S1E_jjS1G_bEUljE0_EEESZ_S10_S11_S18_S1C_S1E_T6_T7_T9_mT8_S1G_bDpT10_ENKUlT_T0_E_clISt17integral_constantIbLb0EES1T_IbLb1EEEEDaS1P_S1Q_EUlS1P_E_NS1_11comp_targetILNS1_3genE10ELNS1_11target_archE1200ELNS1_3gpuE4ELNS1_3repE0EEENS1_30default_config_static_selectorELNS0_4arch9wavefront6targetE1EEEvS12_.uses_vcc, 0
	.set _ZN7rocprim17ROCPRIM_400000_NS6detail17trampoline_kernelINS0_13select_configILj256ELj13ELNS0_17block_load_methodE3ELS4_3ELS4_3ELNS0_20block_scan_algorithmE0ELj4294967295EEENS1_25partition_config_selectorILNS1_17partition_subalgoE4EjNS0_10empty_typeEbEEZZNS1_14partition_implILS8_4ELb0ES6_15HIP_vector_typeIjLj2EENS0_17counting_iteratorIjlEEPS9_SG_NS0_5tupleIJPjSI_NS0_16reverse_iteratorISI_EEEEENSH_IJSG_SG_SG_EEES9_SI_JZNS1_25segmented_radix_sort_implINS0_14default_configELb1EPKiPiPKlPlN2at6native12_GLOBAL__N_18offset_tEEE10hipError_tPvRmT1_PNSt15iterator_traitsIS12_E10value_typeET2_T3_PNS13_IS18_E10value_typeET4_jRbjT5_S1E_jjP12ihipStream_tbEUljE_ZNSN_ISO_Lb1ESQ_SR_ST_SU_SY_EESZ_S10_S11_S12_S16_S17_S18_S1B_S1C_jS1D_jS1E_S1E_jjS1G_bEUljE0_EEESZ_S10_S11_S18_S1C_S1E_T6_T7_T9_mT8_S1G_bDpT10_ENKUlT_T0_E_clISt17integral_constantIbLb0EES1T_IbLb1EEEEDaS1P_S1Q_EUlS1P_E_NS1_11comp_targetILNS1_3genE10ELNS1_11target_archE1200ELNS1_3gpuE4ELNS1_3repE0EEENS1_30default_config_static_selectorELNS0_4arch9wavefront6targetE1EEEvS12_.uses_flat_scratch, 0
	.set _ZN7rocprim17ROCPRIM_400000_NS6detail17trampoline_kernelINS0_13select_configILj256ELj13ELNS0_17block_load_methodE3ELS4_3ELS4_3ELNS0_20block_scan_algorithmE0ELj4294967295EEENS1_25partition_config_selectorILNS1_17partition_subalgoE4EjNS0_10empty_typeEbEEZZNS1_14partition_implILS8_4ELb0ES6_15HIP_vector_typeIjLj2EENS0_17counting_iteratorIjlEEPS9_SG_NS0_5tupleIJPjSI_NS0_16reverse_iteratorISI_EEEEENSH_IJSG_SG_SG_EEES9_SI_JZNS1_25segmented_radix_sort_implINS0_14default_configELb1EPKiPiPKlPlN2at6native12_GLOBAL__N_18offset_tEEE10hipError_tPvRmT1_PNSt15iterator_traitsIS12_E10value_typeET2_T3_PNS13_IS18_E10value_typeET4_jRbjT5_S1E_jjP12ihipStream_tbEUljE_ZNSN_ISO_Lb1ESQ_SR_ST_SU_SY_EESZ_S10_S11_S12_S16_S17_S18_S1B_S1C_jS1D_jS1E_S1E_jjS1G_bEUljE0_EEESZ_S10_S11_S18_S1C_S1E_T6_T7_T9_mT8_S1G_bDpT10_ENKUlT_T0_E_clISt17integral_constantIbLb0EES1T_IbLb1EEEEDaS1P_S1Q_EUlS1P_E_NS1_11comp_targetILNS1_3genE10ELNS1_11target_archE1200ELNS1_3gpuE4ELNS1_3repE0EEENS1_30default_config_static_selectorELNS0_4arch9wavefront6targetE1EEEvS12_.has_dyn_sized_stack, 0
	.set _ZN7rocprim17ROCPRIM_400000_NS6detail17trampoline_kernelINS0_13select_configILj256ELj13ELNS0_17block_load_methodE3ELS4_3ELS4_3ELNS0_20block_scan_algorithmE0ELj4294967295EEENS1_25partition_config_selectorILNS1_17partition_subalgoE4EjNS0_10empty_typeEbEEZZNS1_14partition_implILS8_4ELb0ES6_15HIP_vector_typeIjLj2EENS0_17counting_iteratorIjlEEPS9_SG_NS0_5tupleIJPjSI_NS0_16reverse_iteratorISI_EEEEENSH_IJSG_SG_SG_EEES9_SI_JZNS1_25segmented_radix_sort_implINS0_14default_configELb1EPKiPiPKlPlN2at6native12_GLOBAL__N_18offset_tEEE10hipError_tPvRmT1_PNSt15iterator_traitsIS12_E10value_typeET2_T3_PNS13_IS18_E10value_typeET4_jRbjT5_S1E_jjP12ihipStream_tbEUljE_ZNSN_ISO_Lb1ESQ_SR_ST_SU_SY_EESZ_S10_S11_S12_S16_S17_S18_S1B_S1C_jS1D_jS1E_S1E_jjS1G_bEUljE0_EEESZ_S10_S11_S18_S1C_S1E_T6_T7_T9_mT8_S1G_bDpT10_ENKUlT_T0_E_clISt17integral_constantIbLb0EES1T_IbLb1EEEEDaS1P_S1Q_EUlS1P_E_NS1_11comp_targetILNS1_3genE10ELNS1_11target_archE1200ELNS1_3gpuE4ELNS1_3repE0EEENS1_30default_config_static_selectorELNS0_4arch9wavefront6targetE1EEEvS12_.has_recursion, 0
	.set _ZN7rocprim17ROCPRIM_400000_NS6detail17trampoline_kernelINS0_13select_configILj256ELj13ELNS0_17block_load_methodE3ELS4_3ELS4_3ELNS0_20block_scan_algorithmE0ELj4294967295EEENS1_25partition_config_selectorILNS1_17partition_subalgoE4EjNS0_10empty_typeEbEEZZNS1_14partition_implILS8_4ELb0ES6_15HIP_vector_typeIjLj2EENS0_17counting_iteratorIjlEEPS9_SG_NS0_5tupleIJPjSI_NS0_16reverse_iteratorISI_EEEEENSH_IJSG_SG_SG_EEES9_SI_JZNS1_25segmented_radix_sort_implINS0_14default_configELb1EPKiPiPKlPlN2at6native12_GLOBAL__N_18offset_tEEE10hipError_tPvRmT1_PNSt15iterator_traitsIS12_E10value_typeET2_T3_PNS13_IS18_E10value_typeET4_jRbjT5_S1E_jjP12ihipStream_tbEUljE_ZNSN_ISO_Lb1ESQ_SR_ST_SU_SY_EESZ_S10_S11_S12_S16_S17_S18_S1B_S1C_jS1D_jS1E_S1E_jjS1G_bEUljE0_EEESZ_S10_S11_S18_S1C_S1E_T6_T7_T9_mT8_S1G_bDpT10_ENKUlT_T0_E_clISt17integral_constantIbLb0EES1T_IbLb1EEEEDaS1P_S1Q_EUlS1P_E_NS1_11comp_targetILNS1_3genE10ELNS1_11target_archE1200ELNS1_3gpuE4ELNS1_3repE0EEENS1_30default_config_static_selectorELNS0_4arch9wavefront6targetE1EEEvS12_.has_indirect_call, 0
	.section	.AMDGPU.csdata,"",@progbits
; Kernel info:
; codeLenInByte = 0
; TotalNumSgprs: 4
; NumVgprs: 0
; ScratchSize: 0
; MemoryBound: 0
; FloatMode: 240
; IeeeMode: 1
; LDSByteSize: 0 bytes/workgroup (compile time only)
; SGPRBlocks: 0
; VGPRBlocks: 0
; NumSGPRsForWavesPerEU: 4
; NumVGPRsForWavesPerEU: 1
; Occupancy: 10
; WaveLimiterHint : 0
; COMPUTE_PGM_RSRC2:SCRATCH_EN: 0
; COMPUTE_PGM_RSRC2:USER_SGPR: 6
; COMPUTE_PGM_RSRC2:TRAP_HANDLER: 0
; COMPUTE_PGM_RSRC2:TGID_X_EN: 1
; COMPUTE_PGM_RSRC2:TGID_Y_EN: 0
; COMPUTE_PGM_RSRC2:TGID_Z_EN: 0
; COMPUTE_PGM_RSRC2:TIDIG_COMP_CNT: 0
	.section	.text._ZN7rocprim17ROCPRIM_400000_NS6detail17trampoline_kernelINS0_13select_configILj256ELj13ELNS0_17block_load_methodE3ELS4_3ELS4_3ELNS0_20block_scan_algorithmE0ELj4294967295EEENS1_25partition_config_selectorILNS1_17partition_subalgoE4EjNS0_10empty_typeEbEEZZNS1_14partition_implILS8_4ELb0ES6_15HIP_vector_typeIjLj2EENS0_17counting_iteratorIjlEEPS9_SG_NS0_5tupleIJPjSI_NS0_16reverse_iteratorISI_EEEEENSH_IJSG_SG_SG_EEES9_SI_JZNS1_25segmented_radix_sort_implINS0_14default_configELb1EPKiPiPKlPlN2at6native12_GLOBAL__N_18offset_tEEE10hipError_tPvRmT1_PNSt15iterator_traitsIS12_E10value_typeET2_T3_PNS13_IS18_E10value_typeET4_jRbjT5_S1E_jjP12ihipStream_tbEUljE_ZNSN_ISO_Lb1ESQ_SR_ST_SU_SY_EESZ_S10_S11_S12_S16_S17_S18_S1B_S1C_jS1D_jS1E_S1E_jjS1G_bEUljE0_EEESZ_S10_S11_S18_S1C_S1E_T6_T7_T9_mT8_S1G_bDpT10_ENKUlT_T0_E_clISt17integral_constantIbLb0EES1T_IbLb1EEEEDaS1P_S1Q_EUlS1P_E_NS1_11comp_targetILNS1_3genE9ELNS1_11target_archE1100ELNS1_3gpuE3ELNS1_3repE0EEENS1_30default_config_static_selectorELNS0_4arch9wavefront6targetE1EEEvS12_,"axG",@progbits,_ZN7rocprim17ROCPRIM_400000_NS6detail17trampoline_kernelINS0_13select_configILj256ELj13ELNS0_17block_load_methodE3ELS4_3ELS4_3ELNS0_20block_scan_algorithmE0ELj4294967295EEENS1_25partition_config_selectorILNS1_17partition_subalgoE4EjNS0_10empty_typeEbEEZZNS1_14partition_implILS8_4ELb0ES6_15HIP_vector_typeIjLj2EENS0_17counting_iteratorIjlEEPS9_SG_NS0_5tupleIJPjSI_NS0_16reverse_iteratorISI_EEEEENSH_IJSG_SG_SG_EEES9_SI_JZNS1_25segmented_radix_sort_implINS0_14default_configELb1EPKiPiPKlPlN2at6native12_GLOBAL__N_18offset_tEEE10hipError_tPvRmT1_PNSt15iterator_traitsIS12_E10value_typeET2_T3_PNS13_IS18_E10value_typeET4_jRbjT5_S1E_jjP12ihipStream_tbEUljE_ZNSN_ISO_Lb1ESQ_SR_ST_SU_SY_EESZ_S10_S11_S12_S16_S17_S18_S1B_S1C_jS1D_jS1E_S1E_jjS1G_bEUljE0_EEESZ_S10_S11_S18_S1C_S1E_T6_T7_T9_mT8_S1G_bDpT10_ENKUlT_T0_E_clISt17integral_constantIbLb0EES1T_IbLb1EEEEDaS1P_S1Q_EUlS1P_E_NS1_11comp_targetILNS1_3genE9ELNS1_11target_archE1100ELNS1_3gpuE3ELNS1_3repE0EEENS1_30default_config_static_selectorELNS0_4arch9wavefront6targetE1EEEvS12_,comdat
	.globl	_ZN7rocprim17ROCPRIM_400000_NS6detail17trampoline_kernelINS0_13select_configILj256ELj13ELNS0_17block_load_methodE3ELS4_3ELS4_3ELNS0_20block_scan_algorithmE0ELj4294967295EEENS1_25partition_config_selectorILNS1_17partition_subalgoE4EjNS0_10empty_typeEbEEZZNS1_14partition_implILS8_4ELb0ES6_15HIP_vector_typeIjLj2EENS0_17counting_iteratorIjlEEPS9_SG_NS0_5tupleIJPjSI_NS0_16reverse_iteratorISI_EEEEENSH_IJSG_SG_SG_EEES9_SI_JZNS1_25segmented_radix_sort_implINS0_14default_configELb1EPKiPiPKlPlN2at6native12_GLOBAL__N_18offset_tEEE10hipError_tPvRmT1_PNSt15iterator_traitsIS12_E10value_typeET2_T3_PNS13_IS18_E10value_typeET4_jRbjT5_S1E_jjP12ihipStream_tbEUljE_ZNSN_ISO_Lb1ESQ_SR_ST_SU_SY_EESZ_S10_S11_S12_S16_S17_S18_S1B_S1C_jS1D_jS1E_S1E_jjS1G_bEUljE0_EEESZ_S10_S11_S18_S1C_S1E_T6_T7_T9_mT8_S1G_bDpT10_ENKUlT_T0_E_clISt17integral_constantIbLb0EES1T_IbLb1EEEEDaS1P_S1Q_EUlS1P_E_NS1_11comp_targetILNS1_3genE9ELNS1_11target_archE1100ELNS1_3gpuE3ELNS1_3repE0EEENS1_30default_config_static_selectorELNS0_4arch9wavefront6targetE1EEEvS12_ ; -- Begin function _ZN7rocprim17ROCPRIM_400000_NS6detail17trampoline_kernelINS0_13select_configILj256ELj13ELNS0_17block_load_methodE3ELS4_3ELS4_3ELNS0_20block_scan_algorithmE0ELj4294967295EEENS1_25partition_config_selectorILNS1_17partition_subalgoE4EjNS0_10empty_typeEbEEZZNS1_14partition_implILS8_4ELb0ES6_15HIP_vector_typeIjLj2EENS0_17counting_iteratorIjlEEPS9_SG_NS0_5tupleIJPjSI_NS0_16reverse_iteratorISI_EEEEENSH_IJSG_SG_SG_EEES9_SI_JZNS1_25segmented_radix_sort_implINS0_14default_configELb1EPKiPiPKlPlN2at6native12_GLOBAL__N_18offset_tEEE10hipError_tPvRmT1_PNSt15iterator_traitsIS12_E10value_typeET2_T3_PNS13_IS18_E10value_typeET4_jRbjT5_S1E_jjP12ihipStream_tbEUljE_ZNSN_ISO_Lb1ESQ_SR_ST_SU_SY_EESZ_S10_S11_S12_S16_S17_S18_S1B_S1C_jS1D_jS1E_S1E_jjS1G_bEUljE0_EEESZ_S10_S11_S18_S1C_S1E_T6_T7_T9_mT8_S1G_bDpT10_ENKUlT_T0_E_clISt17integral_constantIbLb0EES1T_IbLb1EEEEDaS1P_S1Q_EUlS1P_E_NS1_11comp_targetILNS1_3genE9ELNS1_11target_archE1100ELNS1_3gpuE3ELNS1_3repE0EEENS1_30default_config_static_selectorELNS0_4arch9wavefront6targetE1EEEvS12_
	.p2align	8
	.type	_ZN7rocprim17ROCPRIM_400000_NS6detail17trampoline_kernelINS0_13select_configILj256ELj13ELNS0_17block_load_methodE3ELS4_3ELS4_3ELNS0_20block_scan_algorithmE0ELj4294967295EEENS1_25partition_config_selectorILNS1_17partition_subalgoE4EjNS0_10empty_typeEbEEZZNS1_14partition_implILS8_4ELb0ES6_15HIP_vector_typeIjLj2EENS0_17counting_iteratorIjlEEPS9_SG_NS0_5tupleIJPjSI_NS0_16reverse_iteratorISI_EEEEENSH_IJSG_SG_SG_EEES9_SI_JZNS1_25segmented_radix_sort_implINS0_14default_configELb1EPKiPiPKlPlN2at6native12_GLOBAL__N_18offset_tEEE10hipError_tPvRmT1_PNSt15iterator_traitsIS12_E10value_typeET2_T3_PNS13_IS18_E10value_typeET4_jRbjT5_S1E_jjP12ihipStream_tbEUljE_ZNSN_ISO_Lb1ESQ_SR_ST_SU_SY_EESZ_S10_S11_S12_S16_S17_S18_S1B_S1C_jS1D_jS1E_S1E_jjS1G_bEUljE0_EEESZ_S10_S11_S18_S1C_S1E_T6_T7_T9_mT8_S1G_bDpT10_ENKUlT_T0_E_clISt17integral_constantIbLb0EES1T_IbLb1EEEEDaS1P_S1Q_EUlS1P_E_NS1_11comp_targetILNS1_3genE9ELNS1_11target_archE1100ELNS1_3gpuE3ELNS1_3repE0EEENS1_30default_config_static_selectorELNS0_4arch9wavefront6targetE1EEEvS12_,@function
_ZN7rocprim17ROCPRIM_400000_NS6detail17trampoline_kernelINS0_13select_configILj256ELj13ELNS0_17block_load_methodE3ELS4_3ELS4_3ELNS0_20block_scan_algorithmE0ELj4294967295EEENS1_25partition_config_selectorILNS1_17partition_subalgoE4EjNS0_10empty_typeEbEEZZNS1_14partition_implILS8_4ELb0ES6_15HIP_vector_typeIjLj2EENS0_17counting_iteratorIjlEEPS9_SG_NS0_5tupleIJPjSI_NS0_16reverse_iteratorISI_EEEEENSH_IJSG_SG_SG_EEES9_SI_JZNS1_25segmented_radix_sort_implINS0_14default_configELb1EPKiPiPKlPlN2at6native12_GLOBAL__N_18offset_tEEE10hipError_tPvRmT1_PNSt15iterator_traitsIS12_E10value_typeET2_T3_PNS13_IS18_E10value_typeET4_jRbjT5_S1E_jjP12ihipStream_tbEUljE_ZNSN_ISO_Lb1ESQ_SR_ST_SU_SY_EESZ_S10_S11_S12_S16_S17_S18_S1B_S1C_jS1D_jS1E_S1E_jjS1G_bEUljE0_EEESZ_S10_S11_S18_S1C_S1E_T6_T7_T9_mT8_S1G_bDpT10_ENKUlT_T0_E_clISt17integral_constantIbLb0EES1T_IbLb1EEEEDaS1P_S1Q_EUlS1P_E_NS1_11comp_targetILNS1_3genE9ELNS1_11target_archE1100ELNS1_3gpuE3ELNS1_3repE0EEENS1_30default_config_static_selectorELNS0_4arch9wavefront6targetE1EEEvS12_: ; @_ZN7rocprim17ROCPRIM_400000_NS6detail17trampoline_kernelINS0_13select_configILj256ELj13ELNS0_17block_load_methodE3ELS4_3ELS4_3ELNS0_20block_scan_algorithmE0ELj4294967295EEENS1_25partition_config_selectorILNS1_17partition_subalgoE4EjNS0_10empty_typeEbEEZZNS1_14partition_implILS8_4ELb0ES6_15HIP_vector_typeIjLj2EENS0_17counting_iteratorIjlEEPS9_SG_NS0_5tupleIJPjSI_NS0_16reverse_iteratorISI_EEEEENSH_IJSG_SG_SG_EEES9_SI_JZNS1_25segmented_radix_sort_implINS0_14default_configELb1EPKiPiPKlPlN2at6native12_GLOBAL__N_18offset_tEEE10hipError_tPvRmT1_PNSt15iterator_traitsIS12_E10value_typeET2_T3_PNS13_IS18_E10value_typeET4_jRbjT5_S1E_jjP12ihipStream_tbEUljE_ZNSN_ISO_Lb1ESQ_SR_ST_SU_SY_EESZ_S10_S11_S12_S16_S17_S18_S1B_S1C_jS1D_jS1E_S1E_jjS1G_bEUljE0_EEESZ_S10_S11_S18_S1C_S1E_T6_T7_T9_mT8_S1G_bDpT10_ENKUlT_T0_E_clISt17integral_constantIbLb0EES1T_IbLb1EEEEDaS1P_S1Q_EUlS1P_E_NS1_11comp_targetILNS1_3genE9ELNS1_11target_archE1100ELNS1_3gpuE3ELNS1_3repE0EEENS1_30default_config_static_selectorELNS0_4arch9wavefront6targetE1EEEvS12_
; %bb.0:
	.section	.rodata,"a",@progbits
	.p2align	6, 0x0
	.amdhsa_kernel _ZN7rocprim17ROCPRIM_400000_NS6detail17trampoline_kernelINS0_13select_configILj256ELj13ELNS0_17block_load_methodE3ELS4_3ELS4_3ELNS0_20block_scan_algorithmE0ELj4294967295EEENS1_25partition_config_selectorILNS1_17partition_subalgoE4EjNS0_10empty_typeEbEEZZNS1_14partition_implILS8_4ELb0ES6_15HIP_vector_typeIjLj2EENS0_17counting_iteratorIjlEEPS9_SG_NS0_5tupleIJPjSI_NS0_16reverse_iteratorISI_EEEEENSH_IJSG_SG_SG_EEES9_SI_JZNS1_25segmented_radix_sort_implINS0_14default_configELb1EPKiPiPKlPlN2at6native12_GLOBAL__N_18offset_tEEE10hipError_tPvRmT1_PNSt15iterator_traitsIS12_E10value_typeET2_T3_PNS13_IS18_E10value_typeET4_jRbjT5_S1E_jjP12ihipStream_tbEUljE_ZNSN_ISO_Lb1ESQ_SR_ST_SU_SY_EESZ_S10_S11_S12_S16_S17_S18_S1B_S1C_jS1D_jS1E_S1E_jjS1G_bEUljE0_EEESZ_S10_S11_S18_S1C_S1E_T6_T7_T9_mT8_S1G_bDpT10_ENKUlT_T0_E_clISt17integral_constantIbLb0EES1T_IbLb1EEEEDaS1P_S1Q_EUlS1P_E_NS1_11comp_targetILNS1_3genE9ELNS1_11target_archE1100ELNS1_3gpuE3ELNS1_3repE0EEENS1_30default_config_static_selectorELNS0_4arch9wavefront6targetE1EEEvS12_
		.amdhsa_group_segment_fixed_size 0
		.amdhsa_private_segment_fixed_size 0
		.amdhsa_kernarg_size 184
		.amdhsa_user_sgpr_count 6
		.amdhsa_user_sgpr_private_segment_buffer 1
		.amdhsa_user_sgpr_dispatch_ptr 0
		.amdhsa_user_sgpr_queue_ptr 0
		.amdhsa_user_sgpr_kernarg_segment_ptr 1
		.amdhsa_user_sgpr_dispatch_id 0
		.amdhsa_user_sgpr_flat_scratch_init 0
		.amdhsa_user_sgpr_private_segment_size 0
		.amdhsa_uses_dynamic_stack 0
		.amdhsa_system_sgpr_private_segment_wavefront_offset 0
		.amdhsa_system_sgpr_workgroup_id_x 1
		.amdhsa_system_sgpr_workgroup_id_y 0
		.amdhsa_system_sgpr_workgroup_id_z 0
		.amdhsa_system_sgpr_workgroup_info 0
		.amdhsa_system_vgpr_workitem_id 0
		.amdhsa_next_free_vgpr 1
		.amdhsa_next_free_sgpr 0
		.amdhsa_reserve_vcc 0
		.amdhsa_reserve_flat_scratch 0
		.amdhsa_float_round_mode_32 0
		.amdhsa_float_round_mode_16_64 0
		.amdhsa_float_denorm_mode_32 3
		.amdhsa_float_denorm_mode_16_64 3
		.amdhsa_dx10_clamp 1
		.amdhsa_ieee_mode 1
		.amdhsa_fp16_overflow 0
		.amdhsa_exception_fp_ieee_invalid_op 0
		.amdhsa_exception_fp_denorm_src 0
		.amdhsa_exception_fp_ieee_div_zero 0
		.amdhsa_exception_fp_ieee_overflow 0
		.amdhsa_exception_fp_ieee_underflow 0
		.amdhsa_exception_fp_ieee_inexact 0
		.amdhsa_exception_int_div_zero 0
	.end_amdhsa_kernel
	.section	.text._ZN7rocprim17ROCPRIM_400000_NS6detail17trampoline_kernelINS0_13select_configILj256ELj13ELNS0_17block_load_methodE3ELS4_3ELS4_3ELNS0_20block_scan_algorithmE0ELj4294967295EEENS1_25partition_config_selectorILNS1_17partition_subalgoE4EjNS0_10empty_typeEbEEZZNS1_14partition_implILS8_4ELb0ES6_15HIP_vector_typeIjLj2EENS0_17counting_iteratorIjlEEPS9_SG_NS0_5tupleIJPjSI_NS0_16reverse_iteratorISI_EEEEENSH_IJSG_SG_SG_EEES9_SI_JZNS1_25segmented_radix_sort_implINS0_14default_configELb1EPKiPiPKlPlN2at6native12_GLOBAL__N_18offset_tEEE10hipError_tPvRmT1_PNSt15iterator_traitsIS12_E10value_typeET2_T3_PNS13_IS18_E10value_typeET4_jRbjT5_S1E_jjP12ihipStream_tbEUljE_ZNSN_ISO_Lb1ESQ_SR_ST_SU_SY_EESZ_S10_S11_S12_S16_S17_S18_S1B_S1C_jS1D_jS1E_S1E_jjS1G_bEUljE0_EEESZ_S10_S11_S18_S1C_S1E_T6_T7_T9_mT8_S1G_bDpT10_ENKUlT_T0_E_clISt17integral_constantIbLb0EES1T_IbLb1EEEEDaS1P_S1Q_EUlS1P_E_NS1_11comp_targetILNS1_3genE9ELNS1_11target_archE1100ELNS1_3gpuE3ELNS1_3repE0EEENS1_30default_config_static_selectorELNS0_4arch9wavefront6targetE1EEEvS12_,"axG",@progbits,_ZN7rocprim17ROCPRIM_400000_NS6detail17trampoline_kernelINS0_13select_configILj256ELj13ELNS0_17block_load_methodE3ELS4_3ELS4_3ELNS0_20block_scan_algorithmE0ELj4294967295EEENS1_25partition_config_selectorILNS1_17partition_subalgoE4EjNS0_10empty_typeEbEEZZNS1_14partition_implILS8_4ELb0ES6_15HIP_vector_typeIjLj2EENS0_17counting_iteratorIjlEEPS9_SG_NS0_5tupleIJPjSI_NS0_16reverse_iteratorISI_EEEEENSH_IJSG_SG_SG_EEES9_SI_JZNS1_25segmented_radix_sort_implINS0_14default_configELb1EPKiPiPKlPlN2at6native12_GLOBAL__N_18offset_tEEE10hipError_tPvRmT1_PNSt15iterator_traitsIS12_E10value_typeET2_T3_PNS13_IS18_E10value_typeET4_jRbjT5_S1E_jjP12ihipStream_tbEUljE_ZNSN_ISO_Lb1ESQ_SR_ST_SU_SY_EESZ_S10_S11_S12_S16_S17_S18_S1B_S1C_jS1D_jS1E_S1E_jjS1G_bEUljE0_EEESZ_S10_S11_S18_S1C_S1E_T6_T7_T9_mT8_S1G_bDpT10_ENKUlT_T0_E_clISt17integral_constantIbLb0EES1T_IbLb1EEEEDaS1P_S1Q_EUlS1P_E_NS1_11comp_targetILNS1_3genE9ELNS1_11target_archE1100ELNS1_3gpuE3ELNS1_3repE0EEENS1_30default_config_static_selectorELNS0_4arch9wavefront6targetE1EEEvS12_,comdat
.Lfunc_end463:
	.size	_ZN7rocprim17ROCPRIM_400000_NS6detail17trampoline_kernelINS0_13select_configILj256ELj13ELNS0_17block_load_methodE3ELS4_3ELS4_3ELNS0_20block_scan_algorithmE0ELj4294967295EEENS1_25partition_config_selectorILNS1_17partition_subalgoE4EjNS0_10empty_typeEbEEZZNS1_14partition_implILS8_4ELb0ES6_15HIP_vector_typeIjLj2EENS0_17counting_iteratorIjlEEPS9_SG_NS0_5tupleIJPjSI_NS0_16reverse_iteratorISI_EEEEENSH_IJSG_SG_SG_EEES9_SI_JZNS1_25segmented_radix_sort_implINS0_14default_configELb1EPKiPiPKlPlN2at6native12_GLOBAL__N_18offset_tEEE10hipError_tPvRmT1_PNSt15iterator_traitsIS12_E10value_typeET2_T3_PNS13_IS18_E10value_typeET4_jRbjT5_S1E_jjP12ihipStream_tbEUljE_ZNSN_ISO_Lb1ESQ_SR_ST_SU_SY_EESZ_S10_S11_S12_S16_S17_S18_S1B_S1C_jS1D_jS1E_S1E_jjS1G_bEUljE0_EEESZ_S10_S11_S18_S1C_S1E_T6_T7_T9_mT8_S1G_bDpT10_ENKUlT_T0_E_clISt17integral_constantIbLb0EES1T_IbLb1EEEEDaS1P_S1Q_EUlS1P_E_NS1_11comp_targetILNS1_3genE9ELNS1_11target_archE1100ELNS1_3gpuE3ELNS1_3repE0EEENS1_30default_config_static_selectorELNS0_4arch9wavefront6targetE1EEEvS12_, .Lfunc_end463-_ZN7rocprim17ROCPRIM_400000_NS6detail17trampoline_kernelINS0_13select_configILj256ELj13ELNS0_17block_load_methodE3ELS4_3ELS4_3ELNS0_20block_scan_algorithmE0ELj4294967295EEENS1_25partition_config_selectorILNS1_17partition_subalgoE4EjNS0_10empty_typeEbEEZZNS1_14partition_implILS8_4ELb0ES6_15HIP_vector_typeIjLj2EENS0_17counting_iteratorIjlEEPS9_SG_NS0_5tupleIJPjSI_NS0_16reverse_iteratorISI_EEEEENSH_IJSG_SG_SG_EEES9_SI_JZNS1_25segmented_radix_sort_implINS0_14default_configELb1EPKiPiPKlPlN2at6native12_GLOBAL__N_18offset_tEEE10hipError_tPvRmT1_PNSt15iterator_traitsIS12_E10value_typeET2_T3_PNS13_IS18_E10value_typeET4_jRbjT5_S1E_jjP12ihipStream_tbEUljE_ZNSN_ISO_Lb1ESQ_SR_ST_SU_SY_EESZ_S10_S11_S12_S16_S17_S18_S1B_S1C_jS1D_jS1E_S1E_jjS1G_bEUljE0_EEESZ_S10_S11_S18_S1C_S1E_T6_T7_T9_mT8_S1G_bDpT10_ENKUlT_T0_E_clISt17integral_constantIbLb0EES1T_IbLb1EEEEDaS1P_S1Q_EUlS1P_E_NS1_11comp_targetILNS1_3genE9ELNS1_11target_archE1100ELNS1_3gpuE3ELNS1_3repE0EEENS1_30default_config_static_selectorELNS0_4arch9wavefront6targetE1EEEvS12_
                                        ; -- End function
	.set _ZN7rocprim17ROCPRIM_400000_NS6detail17trampoline_kernelINS0_13select_configILj256ELj13ELNS0_17block_load_methodE3ELS4_3ELS4_3ELNS0_20block_scan_algorithmE0ELj4294967295EEENS1_25partition_config_selectorILNS1_17partition_subalgoE4EjNS0_10empty_typeEbEEZZNS1_14partition_implILS8_4ELb0ES6_15HIP_vector_typeIjLj2EENS0_17counting_iteratorIjlEEPS9_SG_NS0_5tupleIJPjSI_NS0_16reverse_iteratorISI_EEEEENSH_IJSG_SG_SG_EEES9_SI_JZNS1_25segmented_radix_sort_implINS0_14default_configELb1EPKiPiPKlPlN2at6native12_GLOBAL__N_18offset_tEEE10hipError_tPvRmT1_PNSt15iterator_traitsIS12_E10value_typeET2_T3_PNS13_IS18_E10value_typeET4_jRbjT5_S1E_jjP12ihipStream_tbEUljE_ZNSN_ISO_Lb1ESQ_SR_ST_SU_SY_EESZ_S10_S11_S12_S16_S17_S18_S1B_S1C_jS1D_jS1E_S1E_jjS1G_bEUljE0_EEESZ_S10_S11_S18_S1C_S1E_T6_T7_T9_mT8_S1G_bDpT10_ENKUlT_T0_E_clISt17integral_constantIbLb0EES1T_IbLb1EEEEDaS1P_S1Q_EUlS1P_E_NS1_11comp_targetILNS1_3genE9ELNS1_11target_archE1100ELNS1_3gpuE3ELNS1_3repE0EEENS1_30default_config_static_selectorELNS0_4arch9wavefront6targetE1EEEvS12_.num_vgpr, 0
	.set _ZN7rocprim17ROCPRIM_400000_NS6detail17trampoline_kernelINS0_13select_configILj256ELj13ELNS0_17block_load_methodE3ELS4_3ELS4_3ELNS0_20block_scan_algorithmE0ELj4294967295EEENS1_25partition_config_selectorILNS1_17partition_subalgoE4EjNS0_10empty_typeEbEEZZNS1_14partition_implILS8_4ELb0ES6_15HIP_vector_typeIjLj2EENS0_17counting_iteratorIjlEEPS9_SG_NS0_5tupleIJPjSI_NS0_16reverse_iteratorISI_EEEEENSH_IJSG_SG_SG_EEES9_SI_JZNS1_25segmented_radix_sort_implINS0_14default_configELb1EPKiPiPKlPlN2at6native12_GLOBAL__N_18offset_tEEE10hipError_tPvRmT1_PNSt15iterator_traitsIS12_E10value_typeET2_T3_PNS13_IS18_E10value_typeET4_jRbjT5_S1E_jjP12ihipStream_tbEUljE_ZNSN_ISO_Lb1ESQ_SR_ST_SU_SY_EESZ_S10_S11_S12_S16_S17_S18_S1B_S1C_jS1D_jS1E_S1E_jjS1G_bEUljE0_EEESZ_S10_S11_S18_S1C_S1E_T6_T7_T9_mT8_S1G_bDpT10_ENKUlT_T0_E_clISt17integral_constantIbLb0EES1T_IbLb1EEEEDaS1P_S1Q_EUlS1P_E_NS1_11comp_targetILNS1_3genE9ELNS1_11target_archE1100ELNS1_3gpuE3ELNS1_3repE0EEENS1_30default_config_static_selectorELNS0_4arch9wavefront6targetE1EEEvS12_.num_agpr, 0
	.set _ZN7rocprim17ROCPRIM_400000_NS6detail17trampoline_kernelINS0_13select_configILj256ELj13ELNS0_17block_load_methodE3ELS4_3ELS4_3ELNS0_20block_scan_algorithmE0ELj4294967295EEENS1_25partition_config_selectorILNS1_17partition_subalgoE4EjNS0_10empty_typeEbEEZZNS1_14partition_implILS8_4ELb0ES6_15HIP_vector_typeIjLj2EENS0_17counting_iteratorIjlEEPS9_SG_NS0_5tupleIJPjSI_NS0_16reverse_iteratorISI_EEEEENSH_IJSG_SG_SG_EEES9_SI_JZNS1_25segmented_radix_sort_implINS0_14default_configELb1EPKiPiPKlPlN2at6native12_GLOBAL__N_18offset_tEEE10hipError_tPvRmT1_PNSt15iterator_traitsIS12_E10value_typeET2_T3_PNS13_IS18_E10value_typeET4_jRbjT5_S1E_jjP12ihipStream_tbEUljE_ZNSN_ISO_Lb1ESQ_SR_ST_SU_SY_EESZ_S10_S11_S12_S16_S17_S18_S1B_S1C_jS1D_jS1E_S1E_jjS1G_bEUljE0_EEESZ_S10_S11_S18_S1C_S1E_T6_T7_T9_mT8_S1G_bDpT10_ENKUlT_T0_E_clISt17integral_constantIbLb0EES1T_IbLb1EEEEDaS1P_S1Q_EUlS1P_E_NS1_11comp_targetILNS1_3genE9ELNS1_11target_archE1100ELNS1_3gpuE3ELNS1_3repE0EEENS1_30default_config_static_selectorELNS0_4arch9wavefront6targetE1EEEvS12_.numbered_sgpr, 0
	.set _ZN7rocprim17ROCPRIM_400000_NS6detail17trampoline_kernelINS0_13select_configILj256ELj13ELNS0_17block_load_methodE3ELS4_3ELS4_3ELNS0_20block_scan_algorithmE0ELj4294967295EEENS1_25partition_config_selectorILNS1_17partition_subalgoE4EjNS0_10empty_typeEbEEZZNS1_14partition_implILS8_4ELb0ES6_15HIP_vector_typeIjLj2EENS0_17counting_iteratorIjlEEPS9_SG_NS0_5tupleIJPjSI_NS0_16reverse_iteratorISI_EEEEENSH_IJSG_SG_SG_EEES9_SI_JZNS1_25segmented_radix_sort_implINS0_14default_configELb1EPKiPiPKlPlN2at6native12_GLOBAL__N_18offset_tEEE10hipError_tPvRmT1_PNSt15iterator_traitsIS12_E10value_typeET2_T3_PNS13_IS18_E10value_typeET4_jRbjT5_S1E_jjP12ihipStream_tbEUljE_ZNSN_ISO_Lb1ESQ_SR_ST_SU_SY_EESZ_S10_S11_S12_S16_S17_S18_S1B_S1C_jS1D_jS1E_S1E_jjS1G_bEUljE0_EEESZ_S10_S11_S18_S1C_S1E_T6_T7_T9_mT8_S1G_bDpT10_ENKUlT_T0_E_clISt17integral_constantIbLb0EES1T_IbLb1EEEEDaS1P_S1Q_EUlS1P_E_NS1_11comp_targetILNS1_3genE9ELNS1_11target_archE1100ELNS1_3gpuE3ELNS1_3repE0EEENS1_30default_config_static_selectorELNS0_4arch9wavefront6targetE1EEEvS12_.num_named_barrier, 0
	.set _ZN7rocprim17ROCPRIM_400000_NS6detail17trampoline_kernelINS0_13select_configILj256ELj13ELNS0_17block_load_methodE3ELS4_3ELS4_3ELNS0_20block_scan_algorithmE0ELj4294967295EEENS1_25partition_config_selectorILNS1_17partition_subalgoE4EjNS0_10empty_typeEbEEZZNS1_14partition_implILS8_4ELb0ES6_15HIP_vector_typeIjLj2EENS0_17counting_iteratorIjlEEPS9_SG_NS0_5tupleIJPjSI_NS0_16reverse_iteratorISI_EEEEENSH_IJSG_SG_SG_EEES9_SI_JZNS1_25segmented_radix_sort_implINS0_14default_configELb1EPKiPiPKlPlN2at6native12_GLOBAL__N_18offset_tEEE10hipError_tPvRmT1_PNSt15iterator_traitsIS12_E10value_typeET2_T3_PNS13_IS18_E10value_typeET4_jRbjT5_S1E_jjP12ihipStream_tbEUljE_ZNSN_ISO_Lb1ESQ_SR_ST_SU_SY_EESZ_S10_S11_S12_S16_S17_S18_S1B_S1C_jS1D_jS1E_S1E_jjS1G_bEUljE0_EEESZ_S10_S11_S18_S1C_S1E_T6_T7_T9_mT8_S1G_bDpT10_ENKUlT_T0_E_clISt17integral_constantIbLb0EES1T_IbLb1EEEEDaS1P_S1Q_EUlS1P_E_NS1_11comp_targetILNS1_3genE9ELNS1_11target_archE1100ELNS1_3gpuE3ELNS1_3repE0EEENS1_30default_config_static_selectorELNS0_4arch9wavefront6targetE1EEEvS12_.private_seg_size, 0
	.set _ZN7rocprim17ROCPRIM_400000_NS6detail17trampoline_kernelINS0_13select_configILj256ELj13ELNS0_17block_load_methodE3ELS4_3ELS4_3ELNS0_20block_scan_algorithmE0ELj4294967295EEENS1_25partition_config_selectorILNS1_17partition_subalgoE4EjNS0_10empty_typeEbEEZZNS1_14partition_implILS8_4ELb0ES6_15HIP_vector_typeIjLj2EENS0_17counting_iteratorIjlEEPS9_SG_NS0_5tupleIJPjSI_NS0_16reverse_iteratorISI_EEEEENSH_IJSG_SG_SG_EEES9_SI_JZNS1_25segmented_radix_sort_implINS0_14default_configELb1EPKiPiPKlPlN2at6native12_GLOBAL__N_18offset_tEEE10hipError_tPvRmT1_PNSt15iterator_traitsIS12_E10value_typeET2_T3_PNS13_IS18_E10value_typeET4_jRbjT5_S1E_jjP12ihipStream_tbEUljE_ZNSN_ISO_Lb1ESQ_SR_ST_SU_SY_EESZ_S10_S11_S12_S16_S17_S18_S1B_S1C_jS1D_jS1E_S1E_jjS1G_bEUljE0_EEESZ_S10_S11_S18_S1C_S1E_T6_T7_T9_mT8_S1G_bDpT10_ENKUlT_T0_E_clISt17integral_constantIbLb0EES1T_IbLb1EEEEDaS1P_S1Q_EUlS1P_E_NS1_11comp_targetILNS1_3genE9ELNS1_11target_archE1100ELNS1_3gpuE3ELNS1_3repE0EEENS1_30default_config_static_selectorELNS0_4arch9wavefront6targetE1EEEvS12_.uses_vcc, 0
	.set _ZN7rocprim17ROCPRIM_400000_NS6detail17trampoline_kernelINS0_13select_configILj256ELj13ELNS0_17block_load_methodE3ELS4_3ELS4_3ELNS0_20block_scan_algorithmE0ELj4294967295EEENS1_25partition_config_selectorILNS1_17partition_subalgoE4EjNS0_10empty_typeEbEEZZNS1_14partition_implILS8_4ELb0ES6_15HIP_vector_typeIjLj2EENS0_17counting_iteratorIjlEEPS9_SG_NS0_5tupleIJPjSI_NS0_16reverse_iteratorISI_EEEEENSH_IJSG_SG_SG_EEES9_SI_JZNS1_25segmented_radix_sort_implINS0_14default_configELb1EPKiPiPKlPlN2at6native12_GLOBAL__N_18offset_tEEE10hipError_tPvRmT1_PNSt15iterator_traitsIS12_E10value_typeET2_T3_PNS13_IS18_E10value_typeET4_jRbjT5_S1E_jjP12ihipStream_tbEUljE_ZNSN_ISO_Lb1ESQ_SR_ST_SU_SY_EESZ_S10_S11_S12_S16_S17_S18_S1B_S1C_jS1D_jS1E_S1E_jjS1G_bEUljE0_EEESZ_S10_S11_S18_S1C_S1E_T6_T7_T9_mT8_S1G_bDpT10_ENKUlT_T0_E_clISt17integral_constantIbLb0EES1T_IbLb1EEEEDaS1P_S1Q_EUlS1P_E_NS1_11comp_targetILNS1_3genE9ELNS1_11target_archE1100ELNS1_3gpuE3ELNS1_3repE0EEENS1_30default_config_static_selectorELNS0_4arch9wavefront6targetE1EEEvS12_.uses_flat_scratch, 0
	.set _ZN7rocprim17ROCPRIM_400000_NS6detail17trampoline_kernelINS0_13select_configILj256ELj13ELNS0_17block_load_methodE3ELS4_3ELS4_3ELNS0_20block_scan_algorithmE0ELj4294967295EEENS1_25partition_config_selectorILNS1_17partition_subalgoE4EjNS0_10empty_typeEbEEZZNS1_14partition_implILS8_4ELb0ES6_15HIP_vector_typeIjLj2EENS0_17counting_iteratorIjlEEPS9_SG_NS0_5tupleIJPjSI_NS0_16reverse_iteratorISI_EEEEENSH_IJSG_SG_SG_EEES9_SI_JZNS1_25segmented_radix_sort_implINS0_14default_configELb1EPKiPiPKlPlN2at6native12_GLOBAL__N_18offset_tEEE10hipError_tPvRmT1_PNSt15iterator_traitsIS12_E10value_typeET2_T3_PNS13_IS18_E10value_typeET4_jRbjT5_S1E_jjP12ihipStream_tbEUljE_ZNSN_ISO_Lb1ESQ_SR_ST_SU_SY_EESZ_S10_S11_S12_S16_S17_S18_S1B_S1C_jS1D_jS1E_S1E_jjS1G_bEUljE0_EEESZ_S10_S11_S18_S1C_S1E_T6_T7_T9_mT8_S1G_bDpT10_ENKUlT_T0_E_clISt17integral_constantIbLb0EES1T_IbLb1EEEEDaS1P_S1Q_EUlS1P_E_NS1_11comp_targetILNS1_3genE9ELNS1_11target_archE1100ELNS1_3gpuE3ELNS1_3repE0EEENS1_30default_config_static_selectorELNS0_4arch9wavefront6targetE1EEEvS12_.has_dyn_sized_stack, 0
	.set _ZN7rocprim17ROCPRIM_400000_NS6detail17trampoline_kernelINS0_13select_configILj256ELj13ELNS0_17block_load_methodE3ELS4_3ELS4_3ELNS0_20block_scan_algorithmE0ELj4294967295EEENS1_25partition_config_selectorILNS1_17partition_subalgoE4EjNS0_10empty_typeEbEEZZNS1_14partition_implILS8_4ELb0ES6_15HIP_vector_typeIjLj2EENS0_17counting_iteratorIjlEEPS9_SG_NS0_5tupleIJPjSI_NS0_16reverse_iteratorISI_EEEEENSH_IJSG_SG_SG_EEES9_SI_JZNS1_25segmented_radix_sort_implINS0_14default_configELb1EPKiPiPKlPlN2at6native12_GLOBAL__N_18offset_tEEE10hipError_tPvRmT1_PNSt15iterator_traitsIS12_E10value_typeET2_T3_PNS13_IS18_E10value_typeET4_jRbjT5_S1E_jjP12ihipStream_tbEUljE_ZNSN_ISO_Lb1ESQ_SR_ST_SU_SY_EESZ_S10_S11_S12_S16_S17_S18_S1B_S1C_jS1D_jS1E_S1E_jjS1G_bEUljE0_EEESZ_S10_S11_S18_S1C_S1E_T6_T7_T9_mT8_S1G_bDpT10_ENKUlT_T0_E_clISt17integral_constantIbLb0EES1T_IbLb1EEEEDaS1P_S1Q_EUlS1P_E_NS1_11comp_targetILNS1_3genE9ELNS1_11target_archE1100ELNS1_3gpuE3ELNS1_3repE0EEENS1_30default_config_static_selectorELNS0_4arch9wavefront6targetE1EEEvS12_.has_recursion, 0
	.set _ZN7rocprim17ROCPRIM_400000_NS6detail17trampoline_kernelINS0_13select_configILj256ELj13ELNS0_17block_load_methodE3ELS4_3ELS4_3ELNS0_20block_scan_algorithmE0ELj4294967295EEENS1_25partition_config_selectorILNS1_17partition_subalgoE4EjNS0_10empty_typeEbEEZZNS1_14partition_implILS8_4ELb0ES6_15HIP_vector_typeIjLj2EENS0_17counting_iteratorIjlEEPS9_SG_NS0_5tupleIJPjSI_NS0_16reverse_iteratorISI_EEEEENSH_IJSG_SG_SG_EEES9_SI_JZNS1_25segmented_radix_sort_implINS0_14default_configELb1EPKiPiPKlPlN2at6native12_GLOBAL__N_18offset_tEEE10hipError_tPvRmT1_PNSt15iterator_traitsIS12_E10value_typeET2_T3_PNS13_IS18_E10value_typeET4_jRbjT5_S1E_jjP12ihipStream_tbEUljE_ZNSN_ISO_Lb1ESQ_SR_ST_SU_SY_EESZ_S10_S11_S12_S16_S17_S18_S1B_S1C_jS1D_jS1E_S1E_jjS1G_bEUljE0_EEESZ_S10_S11_S18_S1C_S1E_T6_T7_T9_mT8_S1G_bDpT10_ENKUlT_T0_E_clISt17integral_constantIbLb0EES1T_IbLb1EEEEDaS1P_S1Q_EUlS1P_E_NS1_11comp_targetILNS1_3genE9ELNS1_11target_archE1100ELNS1_3gpuE3ELNS1_3repE0EEENS1_30default_config_static_selectorELNS0_4arch9wavefront6targetE1EEEvS12_.has_indirect_call, 0
	.section	.AMDGPU.csdata,"",@progbits
; Kernel info:
; codeLenInByte = 0
; TotalNumSgprs: 4
; NumVgprs: 0
; ScratchSize: 0
; MemoryBound: 0
; FloatMode: 240
; IeeeMode: 1
; LDSByteSize: 0 bytes/workgroup (compile time only)
; SGPRBlocks: 0
; VGPRBlocks: 0
; NumSGPRsForWavesPerEU: 4
; NumVGPRsForWavesPerEU: 1
; Occupancy: 10
; WaveLimiterHint : 0
; COMPUTE_PGM_RSRC2:SCRATCH_EN: 0
; COMPUTE_PGM_RSRC2:USER_SGPR: 6
; COMPUTE_PGM_RSRC2:TRAP_HANDLER: 0
; COMPUTE_PGM_RSRC2:TGID_X_EN: 1
; COMPUTE_PGM_RSRC2:TGID_Y_EN: 0
; COMPUTE_PGM_RSRC2:TGID_Z_EN: 0
; COMPUTE_PGM_RSRC2:TIDIG_COMP_CNT: 0
	.section	.text._ZN7rocprim17ROCPRIM_400000_NS6detail17trampoline_kernelINS0_13select_configILj256ELj13ELNS0_17block_load_methodE3ELS4_3ELS4_3ELNS0_20block_scan_algorithmE0ELj4294967295EEENS1_25partition_config_selectorILNS1_17partition_subalgoE4EjNS0_10empty_typeEbEEZZNS1_14partition_implILS8_4ELb0ES6_15HIP_vector_typeIjLj2EENS0_17counting_iteratorIjlEEPS9_SG_NS0_5tupleIJPjSI_NS0_16reverse_iteratorISI_EEEEENSH_IJSG_SG_SG_EEES9_SI_JZNS1_25segmented_radix_sort_implINS0_14default_configELb1EPKiPiPKlPlN2at6native12_GLOBAL__N_18offset_tEEE10hipError_tPvRmT1_PNSt15iterator_traitsIS12_E10value_typeET2_T3_PNS13_IS18_E10value_typeET4_jRbjT5_S1E_jjP12ihipStream_tbEUljE_ZNSN_ISO_Lb1ESQ_SR_ST_SU_SY_EESZ_S10_S11_S12_S16_S17_S18_S1B_S1C_jS1D_jS1E_S1E_jjS1G_bEUljE0_EEESZ_S10_S11_S18_S1C_S1E_T6_T7_T9_mT8_S1G_bDpT10_ENKUlT_T0_E_clISt17integral_constantIbLb0EES1T_IbLb1EEEEDaS1P_S1Q_EUlS1P_E_NS1_11comp_targetILNS1_3genE8ELNS1_11target_archE1030ELNS1_3gpuE2ELNS1_3repE0EEENS1_30default_config_static_selectorELNS0_4arch9wavefront6targetE1EEEvS12_,"axG",@progbits,_ZN7rocprim17ROCPRIM_400000_NS6detail17trampoline_kernelINS0_13select_configILj256ELj13ELNS0_17block_load_methodE3ELS4_3ELS4_3ELNS0_20block_scan_algorithmE0ELj4294967295EEENS1_25partition_config_selectorILNS1_17partition_subalgoE4EjNS0_10empty_typeEbEEZZNS1_14partition_implILS8_4ELb0ES6_15HIP_vector_typeIjLj2EENS0_17counting_iteratorIjlEEPS9_SG_NS0_5tupleIJPjSI_NS0_16reverse_iteratorISI_EEEEENSH_IJSG_SG_SG_EEES9_SI_JZNS1_25segmented_radix_sort_implINS0_14default_configELb1EPKiPiPKlPlN2at6native12_GLOBAL__N_18offset_tEEE10hipError_tPvRmT1_PNSt15iterator_traitsIS12_E10value_typeET2_T3_PNS13_IS18_E10value_typeET4_jRbjT5_S1E_jjP12ihipStream_tbEUljE_ZNSN_ISO_Lb1ESQ_SR_ST_SU_SY_EESZ_S10_S11_S12_S16_S17_S18_S1B_S1C_jS1D_jS1E_S1E_jjS1G_bEUljE0_EEESZ_S10_S11_S18_S1C_S1E_T6_T7_T9_mT8_S1G_bDpT10_ENKUlT_T0_E_clISt17integral_constantIbLb0EES1T_IbLb1EEEEDaS1P_S1Q_EUlS1P_E_NS1_11comp_targetILNS1_3genE8ELNS1_11target_archE1030ELNS1_3gpuE2ELNS1_3repE0EEENS1_30default_config_static_selectorELNS0_4arch9wavefront6targetE1EEEvS12_,comdat
	.globl	_ZN7rocprim17ROCPRIM_400000_NS6detail17trampoline_kernelINS0_13select_configILj256ELj13ELNS0_17block_load_methodE3ELS4_3ELS4_3ELNS0_20block_scan_algorithmE0ELj4294967295EEENS1_25partition_config_selectorILNS1_17partition_subalgoE4EjNS0_10empty_typeEbEEZZNS1_14partition_implILS8_4ELb0ES6_15HIP_vector_typeIjLj2EENS0_17counting_iteratorIjlEEPS9_SG_NS0_5tupleIJPjSI_NS0_16reverse_iteratorISI_EEEEENSH_IJSG_SG_SG_EEES9_SI_JZNS1_25segmented_radix_sort_implINS0_14default_configELb1EPKiPiPKlPlN2at6native12_GLOBAL__N_18offset_tEEE10hipError_tPvRmT1_PNSt15iterator_traitsIS12_E10value_typeET2_T3_PNS13_IS18_E10value_typeET4_jRbjT5_S1E_jjP12ihipStream_tbEUljE_ZNSN_ISO_Lb1ESQ_SR_ST_SU_SY_EESZ_S10_S11_S12_S16_S17_S18_S1B_S1C_jS1D_jS1E_S1E_jjS1G_bEUljE0_EEESZ_S10_S11_S18_S1C_S1E_T6_T7_T9_mT8_S1G_bDpT10_ENKUlT_T0_E_clISt17integral_constantIbLb0EES1T_IbLb1EEEEDaS1P_S1Q_EUlS1P_E_NS1_11comp_targetILNS1_3genE8ELNS1_11target_archE1030ELNS1_3gpuE2ELNS1_3repE0EEENS1_30default_config_static_selectorELNS0_4arch9wavefront6targetE1EEEvS12_ ; -- Begin function _ZN7rocprim17ROCPRIM_400000_NS6detail17trampoline_kernelINS0_13select_configILj256ELj13ELNS0_17block_load_methodE3ELS4_3ELS4_3ELNS0_20block_scan_algorithmE0ELj4294967295EEENS1_25partition_config_selectorILNS1_17partition_subalgoE4EjNS0_10empty_typeEbEEZZNS1_14partition_implILS8_4ELb0ES6_15HIP_vector_typeIjLj2EENS0_17counting_iteratorIjlEEPS9_SG_NS0_5tupleIJPjSI_NS0_16reverse_iteratorISI_EEEEENSH_IJSG_SG_SG_EEES9_SI_JZNS1_25segmented_radix_sort_implINS0_14default_configELb1EPKiPiPKlPlN2at6native12_GLOBAL__N_18offset_tEEE10hipError_tPvRmT1_PNSt15iterator_traitsIS12_E10value_typeET2_T3_PNS13_IS18_E10value_typeET4_jRbjT5_S1E_jjP12ihipStream_tbEUljE_ZNSN_ISO_Lb1ESQ_SR_ST_SU_SY_EESZ_S10_S11_S12_S16_S17_S18_S1B_S1C_jS1D_jS1E_S1E_jjS1G_bEUljE0_EEESZ_S10_S11_S18_S1C_S1E_T6_T7_T9_mT8_S1G_bDpT10_ENKUlT_T0_E_clISt17integral_constantIbLb0EES1T_IbLb1EEEEDaS1P_S1Q_EUlS1P_E_NS1_11comp_targetILNS1_3genE8ELNS1_11target_archE1030ELNS1_3gpuE2ELNS1_3repE0EEENS1_30default_config_static_selectorELNS0_4arch9wavefront6targetE1EEEvS12_
	.p2align	8
	.type	_ZN7rocprim17ROCPRIM_400000_NS6detail17trampoline_kernelINS0_13select_configILj256ELj13ELNS0_17block_load_methodE3ELS4_3ELS4_3ELNS0_20block_scan_algorithmE0ELj4294967295EEENS1_25partition_config_selectorILNS1_17partition_subalgoE4EjNS0_10empty_typeEbEEZZNS1_14partition_implILS8_4ELb0ES6_15HIP_vector_typeIjLj2EENS0_17counting_iteratorIjlEEPS9_SG_NS0_5tupleIJPjSI_NS0_16reverse_iteratorISI_EEEEENSH_IJSG_SG_SG_EEES9_SI_JZNS1_25segmented_radix_sort_implINS0_14default_configELb1EPKiPiPKlPlN2at6native12_GLOBAL__N_18offset_tEEE10hipError_tPvRmT1_PNSt15iterator_traitsIS12_E10value_typeET2_T3_PNS13_IS18_E10value_typeET4_jRbjT5_S1E_jjP12ihipStream_tbEUljE_ZNSN_ISO_Lb1ESQ_SR_ST_SU_SY_EESZ_S10_S11_S12_S16_S17_S18_S1B_S1C_jS1D_jS1E_S1E_jjS1G_bEUljE0_EEESZ_S10_S11_S18_S1C_S1E_T6_T7_T9_mT8_S1G_bDpT10_ENKUlT_T0_E_clISt17integral_constantIbLb0EES1T_IbLb1EEEEDaS1P_S1Q_EUlS1P_E_NS1_11comp_targetILNS1_3genE8ELNS1_11target_archE1030ELNS1_3gpuE2ELNS1_3repE0EEENS1_30default_config_static_selectorELNS0_4arch9wavefront6targetE1EEEvS12_,@function
_ZN7rocprim17ROCPRIM_400000_NS6detail17trampoline_kernelINS0_13select_configILj256ELj13ELNS0_17block_load_methodE3ELS4_3ELS4_3ELNS0_20block_scan_algorithmE0ELj4294967295EEENS1_25partition_config_selectorILNS1_17partition_subalgoE4EjNS0_10empty_typeEbEEZZNS1_14partition_implILS8_4ELb0ES6_15HIP_vector_typeIjLj2EENS0_17counting_iteratorIjlEEPS9_SG_NS0_5tupleIJPjSI_NS0_16reverse_iteratorISI_EEEEENSH_IJSG_SG_SG_EEES9_SI_JZNS1_25segmented_radix_sort_implINS0_14default_configELb1EPKiPiPKlPlN2at6native12_GLOBAL__N_18offset_tEEE10hipError_tPvRmT1_PNSt15iterator_traitsIS12_E10value_typeET2_T3_PNS13_IS18_E10value_typeET4_jRbjT5_S1E_jjP12ihipStream_tbEUljE_ZNSN_ISO_Lb1ESQ_SR_ST_SU_SY_EESZ_S10_S11_S12_S16_S17_S18_S1B_S1C_jS1D_jS1E_S1E_jjS1G_bEUljE0_EEESZ_S10_S11_S18_S1C_S1E_T6_T7_T9_mT8_S1G_bDpT10_ENKUlT_T0_E_clISt17integral_constantIbLb0EES1T_IbLb1EEEEDaS1P_S1Q_EUlS1P_E_NS1_11comp_targetILNS1_3genE8ELNS1_11target_archE1030ELNS1_3gpuE2ELNS1_3repE0EEENS1_30default_config_static_selectorELNS0_4arch9wavefront6targetE1EEEvS12_: ; @_ZN7rocprim17ROCPRIM_400000_NS6detail17trampoline_kernelINS0_13select_configILj256ELj13ELNS0_17block_load_methodE3ELS4_3ELS4_3ELNS0_20block_scan_algorithmE0ELj4294967295EEENS1_25partition_config_selectorILNS1_17partition_subalgoE4EjNS0_10empty_typeEbEEZZNS1_14partition_implILS8_4ELb0ES6_15HIP_vector_typeIjLj2EENS0_17counting_iteratorIjlEEPS9_SG_NS0_5tupleIJPjSI_NS0_16reverse_iteratorISI_EEEEENSH_IJSG_SG_SG_EEES9_SI_JZNS1_25segmented_radix_sort_implINS0_14default_configELb1EPKiPiPKlPlN2at6native12_GLOBAL__N_18offset_tEEE10hipError_tPvRmT1_PNSt15iterator_traitsIS12_E10value_typeET2_T3_PNS13_IS18_E10value_typeET4_jRbjT5_S1E_jjP12ihipStream_tbEUljE_ZNSN_ISO_Lb1ESQ_SR_ST_SU_SY_EESZ_S10_S11_S12_S16_S17_S18_S1B_S1C_jS1D_jS1E_S1E_jjS1G_bEUljE0_EEESZ_S10_S11_S18_S1C_S1E_T6_T7_T9_mT8_S1G_bDpT10_ENKUlT_T0_E_clISt17integral_constantIbLb0EES1T_IbLb1EEEEDaS1P_S1Q_EUlS1P_E_NS1_11comp_targetILNS1_3genE8ELNS1_11target_archE1030ELNS1_3gpuE2ELNS1_3repE0EEENS1_30default_config_static_selectorELNS0_4arch9wavefront6targetE1EEEvS12_
; %bb.0:
	.section	.rodata,"a",@progbits
	.p2align	6, 0x0
	.amdhsa_kernel _ZN7rocprim17ROCPRIM_400000_NS6detail17trampoline_kernelINS0_13select_configILj256ELj13ELNS0_17block_load_methodE3ELS4_3ELS4_3ELNS0_20block_scan_algorithmE0ELj4294967295EEENS1_25partition_config_selectorILNS1_17partition_subalgoE4EjNS0_10empty_typeEbEEZZNS1_14partition_implILS8_4ELb0ES6_15HIP_vector_typeIjLj2EENS0_17counting_iteratorIjlEEPS9_SG_NS0_5tupleIJPjSI_NS0_16reverse_iteratorISI_EEEEENSH_IJSG_SG_SG_EEES9_SI_JZNS1_25segmented_radix_sort_implINS0_14default_configELb1EPKiPiPKlPlN2at6native12_GLOBAL__N_18offset_tEEE10hipError_tPvRmT1_PNSt15iterator_traitsIS12_E10value_typeET2_T3_PNS13_IS18_E10value_typeET4_jRbjT5_S1E_jjP12ihipStream_tbEUljE_ZNSN_ISO_Lb1ESQ_SR_ST_SU_SY_EESZ_S10_S11_S12_S16_S17_S18_S1B_S1C_jS1D_jS1E_S1E_jjS1G_bEUljE0_EEESZ_S10_S11_S18_S1C_S1E_T6_T7_T9_mT8_S1G_bDpT10_ENKUlT_T0_E_clISt17integral_constantIbLb0EES1T_IbLb1EEEEDaS1P_S1Q_EUlS1P_E_NS1_11comp_targetILNS1_3genE8ELNS1_11target_archE1030ELNS1_3gpuE2ELNS1_3repE0EEENS1_30default_config_static_selectorELNS0_4arch9wavefront6targetE1EEEvS12_
		.amdhsa_group_segment_fixed_size 0
		.amdhsa_private_segment_fixed_size 0
		.amdhsa_kernarg_size 184
		.amdhsa_user_sgpr_count 6
		.amdhsa_user_sgpr_private_segment_buffer 1
		.amdhsa_user_sgpr_dispatch_ptr 0
		.amdhsa_user_sgpr_queue_ptr 0
		.amdhsa_user_sgpr_kernarg_segment_ptr 1
		.amdhsa_user_sgpr_dispatch_id 0
		.amdhsa_user_sgpr_flat_scratch_init 0
		.amdhsa_user_sgpr_private_segment_size 0
		.amdhsa_uses_dynamic_stack 0
		.amdhsa_system_sgpr_private_segment_wavefront_offset 0
		.amdhsa_system_sgpr_workgroup_id_x 1
		.amdhsa_system_sgpr_workgroup_id_y 0
		.amdhsa_system_sgpr_workgroup_id_z 0
		.amdhsa_system_sgpr_workgroup_info 0
		.amdhsa_system_vgpr_workitem_id 0
		.amdhsa_next_free_vgpr 1
		.amdhsa_next_free_sgpr 0
		.amdhsa_reserve_vcc 0
		.amdhsa_reserve_flat_scratch 0
		.amdhsa_float_round_mode_32 0
		.amdhsa_float_round_mode_16_64 0
		.amdhsa_float_denorm_mode_32 3
		.amdhsa_float_denorm_mode_16_64 3
		.amdhsa_dx10_clamp 1
		.amdhsa_ieee_mode 1
		.amdhsa_fp16_overflow 0
		.amdhsa_exception_fp_ieee_invalid_op 0
		.amdhsa_exception_fp_denorm_src 0
		.amdhsa_exception_fp_ieee_div_zero 0
		.amdhsa_exception_fp_ieee_overflow 0
		.amdhsa_exception_fp_ieee_underflow 0
		.amdhsa_exception_fp_ieee_inexact 0
		.amdhsa_exception_int_div_zero 0
	.end_amdhsa_kernel
	.section	.text._ZN7rocprim17ROCPRIM_400000_NS6detail17trampoline_kernelINS0_13select_configILj256ELj13ELNS0_17block_load_methodE3ELS4_3ELS4_3ELNS0_20block_scan_algorithmE0ELj4294967295EEENS1_25partition_config_selectorILNS1_17partition_subalgoE4EjNS0_10empty_typeEbEEZZNS1_14partition_implILS8_4ELb0ES6_15HIP_vector_typeIjLj2EENS0_17counting_iteratorIjlEEPS9_SG_NS0_5tupleIJPjSI_NS0_16reverse_iteratorISI_EEEEENSH_IJSG_SG_SG_EEES9_SI_JZNS1_25segmented_radix_sort_implINS0_14default_configELb1EPKiPiPKlPlN2at6native12_GLOBAL__N_18offset_tEEE10hipError_tPvRmT1_PNSt15iterator_traitsIS12_E10value_typeET2_T3_PNS13_IS18_E10value_typeET4_jRbjT5_S1E_jjP12ihipStream_tbEUljE_ZNSN_ISO_Lb1ESQ_SR_ST_SU_SY_EESZ_S10_S11_S12_S16_S17_S18_S1B_S1C_jS1D_jS1E_S1E_jjS1G_bEUljE0_EEESZ_S10_S11_S18_S1C_S1E_T6_T7_T9_mT8_S1G_bDpT10_ENKUlT_T0_E_clISt17integral_constantIbLb0EES1T_IbLb1EEEEDaS1P_S1Q_EUlS1P_E_NS1_11comp_targetILNS1_3genE8ELNS1_11target_archE1030ELNS1_3gpuE2ELNS1_3repE0EEENS1_30default_config_static_selectorELNS0_4arch9wavefront6targetE1EEEvS12_,"axG",@progbits,_ZN7rocprim17ROCPRIM_400000_NS6detail17trampoline_kernelINS0_13select_configILj256ELj13ELNS0_17block_load_methodE3ELS4_3ELS4_3ELNS0_20block_scan_algorithmE0ELj4294967295EEENS1_25partition_config_selectorILNS1_17partition_subalgoE4EjNS0_10empty_typeEbEEZZNS1_14partition_implILS8_4ELb0ES6_15HIP_vector_typeIjLj2EENS0_17counting_iteratorIjlEEPS9_SG_NS0_5tupleIJPjSI_NS0_16reverse_iteratorISI_EEEEENSH_IJSG_SG_SG_EEES9_SI_JZNS1_25segmented_radix_sort_implINS0_14default_configELb1EPKiPiPKlPlN2at6native12_GLOBAL__N_18offset_tEEE10hipError_tPvRmT1_PNSt15iterator_traitsIS12_E10value_typeET2_T3_PNS13_IS18_E10value_typeET4_jRbjT5_S1E_jjP12ihipStream_tbEUljE_ZNSN_ISO_Lb1ESQ_SR_ST_SU_SY_EESZ_S10_S11_S12_S16_S17_S18_S1B_S1C_jS1D_jS1E_S1E_jjS1G_bEUljE0_EEESZ_S10_S11_S18_S1C_S1E_T6_T7_T9_mT8_S1G_bDpT10_ENKUlT_T0_E_clISt17integral_constantIbLb0EES1T_IbLb1EEEEDaS1P_S1Q_EUlS1P_E_NS1_11comp_targetILNS1_3genE8ELNS1_11target_archE1030ELNS1_3gpuE2ELNS1_3repE0EEENS1_30default_config_static_selectorELNS0_4arch9wavefront6targetE1EEEvS12_,comdat
.Lfunc_end464:
	.size	_ZN7rocprim17ROCPRIM_400000_NS6detail17trampoline_kernelINS0_13select_configILj256ELj13ELNS0_17block_load_methodE3ELS4_3ELS4_3ELNS0_20block_scan_algorithmE0ELj4294967295EEENS1_25partition_config_selectorILNS1_17partition_subalgoE4EjNS0_10empty_typeEbEEZZNS1_14partition_implILS8_4ELb0ES6_15HIP_vector_typeIjLj2EENS0_17counting_iteratorIjlEEPS9_SG_NS0_5tupleIJPjSI_NS0_16reverse_iteratorISI_EEEEENSH_IJSG_SG_SG_EEES9_SI_JZNS1_25segmented_radix_sort_implINS0_14default_configELb1EPKiPiPKlPlN2at6native12_GLOBAL__N_18offset_tEEE10hipError_tPvRmT1_PNSt15iterator_traitsIS12_E10value_typeET2_T3_PNS13_IS18_E10value_typeET4_jRbjT5_S1E_jjP12ihipStream_tbEUljE_ZNSN_ISO_Lb1ESQ_SR_ST_SU_SY_EESZ_S10_S11_S12_S16_S17_S18_S1B_S1C_jS1D_jS1E_S1E_jjS1G_bEUljE0_EEESZ_S10_S11_S18_S1C_S1E_T6_T7_T9_mT8_S1G_bDpT10_ENKUlT_T0_E_clISt17integral_constantIbLb0EES1T_IbLb1EEEEDaS1P_S1Q_EUlS1P_E_NS1_11comp_targetILNS1_3genE8ELNS1_11target_archE1030ELNS1_3gpuE2ELNS1_3repE0EEENS1_30default_config_static_selectorELNS0_4arch9wavefront6targetE1EEEvS12_, .Lfunc_end464-_ZN7rocprim17ROCPRIM_400000_NS6detail17trampoline_kernelINS0_13select_configILj256ELj13ELNS0_17block_load_methodE3ELS4_3ELS4_3ELNS0_20block_scan_algorithmE0ELj4294967295EEENS1_25partition_config_selectorILNS1_17partition_subalgoE4EjNS0_10empty_typeEbEEZZNS1_14partition_implILS8_4ELb0ES6_15HIP_vector_typeIjLj2EENS0_17counting_iteratorIjlEEPS9_SG_NS0_5tupleIJPjSI_NS0_16reverse_iteratorISI_EEEEENSH_IJSG_SG_SG_EEES9_SI_JZNS1_25segmented_radix_sort_implINS0_14default_configELb1EPKiPiPKlPlN2at6native12_GLOBAL__N_18offset_tEEE10hipError_tPvRmT1_PNSt15iterator_traitsIS12_E10value_typeET2_T3_PNS13_IS18_E10value_typeET4_jRbjT5_S1E_jjP12ihipStream_tbEUljE_ZNSN_ISO_Lb1ESQ_SR_ST_SU_SY_EESZ_S10_S11_S12_S16_S17_S18_S1B_S1C_jS1D_jS1E_S1E_jjS1G_bEUljE0_EEESZ_S10_S11_S18_S1C_S1E_T6_T7_T9_mT8_S1G_bDpT10_ENKUlT_T0_E_clISt17integral_constantIbLb0EES1T_IbLb1EEEEDaS1P_S1Q_EUlS1P_E_NS1_11comp_targetILNS1_3genE8ELNS1_11target_archE1030ELNS1_3gpuE2ELNS1_3repE0EEENS1_30default_config_static_selectorELNS0_4arch9wavefront6targetE1EEEvS12_
                                        ; -- End function
	.set _ZN7rocprim17ROCPRIM_400000_NS6detail17trampoline_kernelINS0_13select_configILj256ELj13ELNS0_17block_load_methodE3ELS4_3ELS4_3ELNS0_20block_scan_algorithmE0ELj4294967295EEENS1_25partition_config_selectorILNS1_17partition_subalgoE4EjNS0_10empty_typeEbEEZZNS1_14partition_implILS8_4ELb0ES6_15HIP_vector_typeIjLj2EENS0_17counting_iteratorIjlEEPS9_SG_NS0_5tupleIJPjSI_NS0_16reverse_iteratorISI_EEEEENSH_IJSG_SG_SG_EEES9_SI_JZNS1_25segmented_radix_sort_implINS0_14default_configELb1EPKiPiPKlPlN2at6native12_GLOBAL__N_18offset_tEEE10hipError_tPvRmT1_PNSt15iterator_traitsIS12_E10value_typeET2_T3_PNS13_IS18_E10value_typeET4_jRbjT5_S1E_jjP12ihipStream_tbEUljE_ZNSN_ISO_Lb1ESQ_SR_ST_SU_SY_EESZ_S10_S11_S12_S16_S17_S18_S1B_S1C_jS1D_jS1E_S1E_jjS1G_bEUljE0_EEESZ_S10_S11_S18_S1C_S1E_T6_T7_T9_mT8_S1G_bDpT10_ENKUlT_T0_E_clISt17integral_constantIbLb0EES1T_IbLb1EEEEDaS1P_S1Q_EUlS1P_E_NS1_11comp_targetILNS1_3genE8ELNS1_11target_archE1030ELNS1_3gpuE2ELNS1_3repE0EEENS1_30default_config_static_selectorELNS0_4arch9wavefront6targetE1EEEvS12_.num_vgpr, 0
	.set _ZN7rocprim17ROCPRIM_400000_NS6detail17trampoline_kernelINS0_13select_configILj256ELj13ELNS0_17block_load_methodE3ELS4_3ELS4_3ELNS0_20block_scan_algorithmE0ELj4294967295EEENS1_25partition_config_selectorILNS1_17partition_subalgoE4EjNS0_10empty_typeEbEEZZNS1_14partition_implILS8_4ELb0ES6_15HIP_vector_typeIjLj2EENS0_17counting_iteratorIjlEEPS9_SG_NS0_5tupleIJPjSI_NS0_16reverse_iteratorISI_EEEEENSH_IJSG_SG_SG_EEES9_SI_JZNS1_25segmented_radix_sort_implINS0_14default_configELb1EPKiPiPKlPlN2at6native12_GLOBAL__N_18offset_tEEE10hipError_tPvRmT1_PNSt15iterator_traitsIS12_E10value_typeET2_T3_PNS13_IS18_E10value_typeET4_jRbjT5_S1E_jjP12ihipStream_tbEUljE_ZNSN_ISO_Lb1ESQ_SR_ST_SU_SY_EESZ_S10_S11_S12_S16_S17_S18_S1B_S1C_jS1D_jS1E_S1E_jjS1G_bEUljE0_EEESZ_S10_S11_S18_S1C_S1E_T6_T7_T9_mT8_S1G_bDpT10_ENKUlT_T0_E_clISt17integral_constantIbLb0EES1T_IbLb1EEEEDaS1P_S1Q_EUlS1P_E_NS1_11comp_targetILNS1_3genE8ELNS1_11target_archE1030ELNS1_3gpuE2ELNS1_3repE0EEENS1_30default_config_static_selectorELNS0_4arch9wavefront6targetE1EEEvS12_.num_agpr, 0
	.set _ZN7rocprim17ROCPRIM_400000_NS6detail17trampoline_kernelINS0_13select_configILj256ELj13ELNS0_17block_load_methodE3ELS4_3ELS4_3ELNS0_20block_scan_algorithmE0ELj4294967295EEENS1_25partition_config_selectorILNS1_17partition_subalgoE4EjNS0_10empty_typeEbEEZZNS1_14partition_implILS8_4ELb0ES6_15HIP_vector_typeIjLj2EENS0_17counting_iteratorIjlEEPS9_SG_NS0_5tupleIJPjSI_NS0_16reverse_iteratorISI_EEEEENSH_IJSG_SG_SG_EEES9_SI_JZNS1_25segmented_radix_sort_implINS0_14default_configELb1EPKiPiPKlPlN2at6native12_GLOBAL__N_18offset_tEEE10hipError_tPvRmT1_PNSt15iterator_traitsIS12_E10value_typeET2_T3_PNS13_IS18_E10value_typeET4_jRbjT5_S1E_jjP12ihipStream_tbEUljE_ZNSN_ISO_Lb1ESQ_SR_ST_SU_SY_EESZ_S10_S11_S12_S16_S17_S18_S1B_S1C_jS1D_jS1E_S1E_jjS1G_bEUljE0_EEESZ_S10_S11_S18_S1C_S1E_T6_T7_T9_mT8_S1G_bDpT10_ENKUlT_T0_E_clISt17integral_constantIbLb0EES1T_IbLb1EEEEDaS1P_S1Q_EUlS1P_E_NS1_11comp_targetILNS1_3genE8ELNS1_11target_archE1030ELNS1_3gpuE2ELNS1_3repE0EEENS1_30default_config_static_selectorELNS0_4arch9wavefront6targetE1EEEvS12_.numbered_sgpr, 0
	.set _ZN7rocprim17ROCPRIM_400000_NS6detail17trampoline_kernelINS0_13select_configILj256ELj13ELNS0_17block_load_methodE3ELS4_3ELS4_3ELNS0_20block_scan_algorithmE0ELj4294967295EEENS1_25partition_config_selectorILNS1_17partition_subalgoE4EjNS0_10empty_typeEbEEZZNS1_14partition_implILS8_4ELb0ES6_15HIP_vector_typeIjLj2EENS0_17counting_iteratorIjlEEPS9_SG_NS0_5tupleIJPjSI_NS0_16reverse_iteratorISI_EEEEENSH_IJSG_SG_SG_EEES9_SI_JZNS1_25segmented_radix_sort_implINS0_14default_configELb1EPKiPiPKlPlN2at6native12_GLOBAL__N_18offset_tEEE10hipError_tPvRmT1_PNSt15iterator_traitsIS12_E10value_typeET2_T3_PNS13_IS18_E10value_typeET4_jRbjT5_S1E_jjP12ihipStream_tbEUljE_ZNSN_ISO_Lb1ESQ_SR_ST_SU_SY_EESZ_S10_S11_S12_S16_S17_S18_S1B_S1C_jS1D_jS1E_S1E_jjS1G_bEUljE0_EEESZ_S10_S11_S18_S1C_S1E_T6_T7_T9_mT8_S1G_bDpT10_ENKUlT_T0_E_clISt17integral_constantIbLb0EES1T_IbLb1EEEEDaS1P_S1Q_EUlS1P_E_NS1_11comp_targetILNS1_3genE8ELNS1_11target_archE1030ELNS1_3gpuE2ELNS1_3repE0EEENS1_30default_config_static_selectorELNS0_4arch9wavefront6targetE1EEEvS12_.num_named_barrier, 0
	.set _ZN7rocprim17ROCPRIM_400000_NS6detail17trampoline_kernelINS0_13select_configILj256ELj13ELNS0_17block_load_methodE3ELS4_3ELS4_3ELNS0_20block_scan_algorithmE0ELj4294967295EEENS1_25partition_config_selectorILNS1_17partition_subalgoE4EjNS0_10empty_typeEbEEZZNS1_14partition_implILS8_4ELb0ES6_15HIP_vector_typeIjLj2EENS0_17counting_iteratorIjlEEPS9_SG_NS0_5tupleIJPjSI_NS0_16reverse_iteratorISI_EEEEENSH_IJSG_SG_SG_EEES9_SI_JZNS1_25segmented_radix_sort_implINS0_14default_configELb1EPKiPiPKlPlN2at6native12_GLOBAL__N_18offset_tEEE10hipError_tPvRmT1_PNSt15iterator_traitsIS12_E10value_typeET2_T3_PNS13_IS18_E10value_typeET4_jRbjT5_S1E_jjP12ihipStream_tbEUljE_ZNSN_ISO_Lb1ESQ_SR_ST_SU_SY_EESZ_S10_S11_S12_S16_S17_S18_S1B_S1C_jS1D_jS1E_S1E_jjS1G_bEUljE0_EEESZ_S10_S11_S18_S1C_S1E_T6_T7_T9_mT8_S1G_bDpT10_ENKUlT_T0_E_clISt17integral_constantIbLb0EES1T_IbLb1EEEEDaS1P_S1Q_EUlS1P_E_NS1_11comp_targetILNS1_3genE8ELNS1_11target_archE1030ELNS1_3gpuE2ELNS1_3repE0EEENS1_30default_config_static_selectorELNS0_4arch9wavefront6targetE1EEEvS12_.private_seg_size, 0
	.set _ZN7rocprim17ROCPRIM_400000_NS6detail17trampoline_kernelINS0_13select_configILj256ELj13ELNS0_17block_load_methodE3ELS4_3ELS4_3ELNS0_20block_scan_algorithmE0ELj4294967295EEENS1_25partition_config_selectorILNS1_17partition_subalgoE4EjNS0_10empty_typeEbEEZZNS1_14partition_implILS8_4ELb0ES6_15HIP_vector_typeIjLj2EENS0_17counting_iteratorIjlEEPS9_SG_NS0_5tupleIJPjSI_NS0_16reverse_iteratorISI_EEEEENSH_IJSG_SG_SG_EEES9_SI_JZNS1_25segmented_radix_sort_implINS0_14default_configELb1EPKiPiPKlPlN2at6native12_GLOBAL__N_18offset_tEEE10hipError_tPvRmT1_PNSt15iterator_traitsIS12_E10value_typeET2_T3_PNS13_IS18_E10value_typeET4_jRbjT5_S1E_jjP12ihipStream_tbEUljE_ZNSN_ISO_Lb1ESQ_SR_ST_SU_SY_EESZ_S10_S11_S12_S16_S17_S18_S1B_S1C_jS1D_jS1E_S1E_jjS1G_bEUljE0_EEESZ_S10_S11_S18_S1C_S1E_T6_T7_T9_mT8_S1G_bDpT10_ENKUlT_T0_E_clISt17integral_constantIbLb0EES1T_IbLb1EEEEDaS1P_S1Q_EUlS1P_E_NS1_11comp_targetILNS1_3genE8ELNS1_11target_archE1030ELNS1_3gpuE2ELNS1_3repE0EEENS1_30default_config_static_selectorELNS0_4arch9wavefront6targetE1EEEvS12_.uses_vcc, 0
	.set _ZN7rocprim17ROCPRIM_400000_NS6detail17trampoline_kernelINS0_13select_configILj256ELj13ELNS0_17block_load_methodE3ELS4_3ELS4_3ELNS0_20block_scan_algorithmE0ELj4294967295EEENS1_25partition_config_selectorILNS1_17partition_subalgoE4EjNS0_10empty_typeEbEEZZNS1_14partition_implILS8_4ELb0ES6_15HIP_vector_typeIjLj2EENS0_17counting_iteratorIjlEEPS9_SG_NS0_5tupleIJPjSI_NS0_16reverse_iteratorISI_EEEEENSH_IJSG_SG_SG_EEES9_SI_JZNS1_25segmented_radix_sort_implINS0_14default_configELb1EPKiPiPKlPlN2at6native12_GLOBAL__N_18offset_tEEE10hipError_tPvRmT1_PNSt15iterator_traitsIS12_E10value_typeET2_T3_PNS13_IS18_E10value_typeET4_jRbjT5_S1E_jjP12ihipStream_tbEUljE_ZNSN_ISO_Lb1ESQ_SR_ST_SU_SY_EESZ_S10_S11_S12_S16_S17_S18_S1B_S1C_jS1D_jS1E_S1E_jjS1G_bEUljE0_EEESZ_S10_S11_S18_S1C_S1E_T6_T7_T9_mT8_S1G_bDpT10_ENKUlT_T0_E_clISt17integral_constantIbLb0EES1T_IbLb1EEEEDaS1P_S1Q_EUlS1P_E_NS1_11comp_targetILNS1_3genE8ELNS1_11target_archE1030ELNS1_3gpuE2ELNS1_3repE0EEENS1_30default_config_static_selectorELNS0_4arch9wavefront6targetE1EEEvS12_.uses_flat_scratch, 0
	.set _ZN7rocprim17ROCPRIM_400000_NS6detail17trampoline_kernelINS0_13select_configILj256ELj13ELNS0_17block_load_methodE3ELS4_3ELS4_3ELNS0_20block_scan_algorithmE0ELj4294967295EEENS1_25partition_config_selectorILNS1_17partition_subalgoE4EjNS0_10empty_typeEbEEZZNS1_14partition_implILS8_4ELb0ES6_15HIP_vector_typeIjLj2EENS0_17counting_iteratorIjlEEPS9_SG_NS0_5tupleIJPjSI_NS0_16reverse_iteratorISI_EEEEENSH_IJSG_SG_SG_EEES9_SI_JZNS1_25segmented_radix_sort_implINS0_14default_configELb1EPKiPiPKlPlN2at6native12_GLOBAL__N_18offset_tEEE10hipError_tPvRmT1_PNSt15iterator_traitsIS12_E10value_typeET2_T3_PNS13_IS18_E10value_typeET4_jRbjT5_S1E_jjP12ihipStream_tbEUljE_ZNSN_ISO_Lb1ESQ_SR_ST_SU_SY_EESZ_S10_S11_S12_S16_S17_S18_S1B_S1C_jS1D_jS1E_S1E_jjS1G_bEUljE0_EEESZ_S10_S11_S18_S1C_S1E_T6_T7_T9_mT8_S1G_bDpT10_ENKUlT_T0_E_clISt17integral_constantIbLb0EES1T_IbLb1EEEEDaS1P_S1Q_EUlS1P_E_NS1_11comp_targetILNS1_3genE8ELNS1_11target_archE1030ELNS1_3gpuE2ELNS1_3repE0EEENS1_30default_config_static_selectorELNS0_4arch9wavefront6targetE1EEEvS12_.has_dyn_sized_stack, 0
	.set _ZN7rocprim17ROCPRIM_400000_NS6detail17trampoline_kernelINS0_13select_configILj256ELj13ELNS0_17block_load_methodE3ELS4_3ELS4_3ELNS0_20block_scan_algorithmE0ELj4294967295EEENS1_25partition_config_selectorILNS1_17partition_subalgoE4EjNS0_10empty_typeEbEEZZNS1_14partition_implILS8_4ELb0ES6_15HIP_vector_typeIjLj2EENS0_17counting_iteratorIjlEEPS9_SG_NS0_5tupleIJPjSI_NS0_16reverse_iteratorISI_EEEEENSH_IJSG_SG_SG_EEES9_SI_JZNS1_25segmented_radix_sort_implINS0_14default_configELb1EPKiPiPKlPlN2at6native12_GLOBAL__N_18offset_tEEE10hipError_tPvRmT1_PNSt15iterator_traitsIS12_E10value_typeET2_T3_PNS13_IS18_E10value_typeET4_jRbjT5_S1E_jjP12ihipStream_tbEUljE_ZNSN_ISO_Lb1ESQ_SR_ST_SU_SY_EESZ_S10_S11_S12_S16_S17_S18_S1B_S1C_jS1D_jS1E_S1E_jjS1G_bEUljE0_EEESZ_S10_S11_S18_S1C_S1E_T6_T7_T9_mT8_S1G_bDpT10_ENKUlT_T0_E_clISt17integral_constantIbLb0EES1T_IbLb1EEEEDaS1P_S1Q_EUlS1P_E_NS1_11comp_targetILNS1_3genE8ELNS1_11target_archE1030ELNS1_3gpuE2ELNS1_3repE0EEENS1_30default_config_static_selectorELNS0_4arch9wavefront6targetE1EEEvS12_.has_recursion, 0
	.set _ZN7rocprim17ROCPRIM_400000_NS6detail17trampoline_kernelINS0_13select_configILj256ELj13ELNS0_17block_load_methodE3ELS4_3ELS4_3ELNS0_20block_scan_algorithmE0ELj4294967295EEENS1_25partition_config_selectorILNS1_17partition_subalgoE4EjNS0_10empty_typeEbEEZZNS1_14partition_implILS8_4ELb0ES6_15HIP_vector_typeIjLj2EENS0_17counting_iteratorIjlEEPS9_SG_NS0_5tupleIJPjSI_NS0_16reverse_iteratorISI_EEEEENSH_IJSG_SG_SG_EEES9_SI_JZNS1_25segmented_radix_sort_implINS0_14default_configELb1EPKiPiPKlPlN2at6native12_GLOBAL__N_18offset_tEEE10hipError_tPvRmT1_PNSt15iterator_traitsIS12_E10value_typeET2_T3_PNS13_IS18_E10value_typeET4_jRbjT5_S1E_jjP12ihipStream_tbEUljE_ZNSN_ISO_Lb1ESQ_SR_ST_SU_SY_EESZ_S10_S11_S12_S16_S17_S18_S1B_S1C_jS1D_jS1E_S1E_jjS1G_bEUljE0_EEESZ_S10_S11_S18_S1C_S1E_T6_T7_T9_mT8_S1G_bDpT10_ENKUlT_T0_E_clISt17integral_constantIbLb0EES1T_IbLb1EEEEDaS1P_S1Q_EUlS1P_E_NS1_11comp_targetILNS1_3genE8ELNS1_11target_archE1030ELNS1_3gpuE2ELNS1_3repE0EEENS1_30default_config_static_selectorELNS0_4arch9wavefront6targetE1EEEvS12_.has_indirect_call, 0
	.section	.AMDGPU.csdata,"",@progbits
; Kernel info:
; codeLenInByte = 0
; TotalNumSgprs: 4
; NumVgprs: 0
; ScratchSize: 0
; MemoryBound: 0
; FloatMode: 240
; IeeeMode: 1
; LDSByteSize: 0 bytes/workgroup (compile time only)
; SGPRBlocks: 0
; VGPRBlocks: 0
; NumSGPRsForWavesPerEU: 4
; NumVGPRsForWavesPerEU: 1
; Occupancy: 10
; WaveLimiterHint : 0
; COMPUTE_PGM_RSRC2:SCRATCH_EN: 0
; COMPUTE_PGM_RSRC2:USER_SGPR: 6
; COMPUTE_PGM_RSRC2:TRAP_HANDLER: 0
; COMPUTE_PGM_RSRC2:TGID_X_EN: 1
; COMPUTE_PGM_RSRC2:TGID_Y_EN: 0
; COMPUTE_PGM_RSRC2:TGID_Z_EN: 0
; COMPUTE_PGM_RSRC2:TIDIG_COMP_CNT: 0
	.section	.text._ZN7rocprim17ROCPRIM_400000_NS6detail17trampoline_kernelINS0_13select_configILj256ELj13ELNS0_17block_load_methodE3ELS4_3ELS4_3ELNS0_20block_scan_algorithmE0ELj4294967295EEENS1_25partition_config_selectorILNS1_17partition_subalgoE3EjNS0_10empty_typeEbEEZZNS1_14partition_implILS8_3ELb0ES6_jNS0_17counting_iteratorIjlEEPS9_SE_NS0_5tupleIJPjSE_EEENSF_IJSE_SE_EEES9_SG_JZNS1_25segmented_radix_sort_implINS0_14default_configELb1EPKiPiPKlPlN2at6native12_GLOBAL__N_18offset_tEEE10hipError_tPvRmT1_PNSt15iterator_traitsISY_E10value_typeET2_T3_PNSZ_IS14_E10value_typeET4_jRbjT5_S1A_jjP12ihipStream_tbEUljE_EEESV_SW_SX_S14_S18_S1A_T6_T7_T9_mT8_S1C_bDpT10_ENKUlT_T0_E_clISt17integral_constantIbLb0EES1P_EEDaS1K_S1L_EUlS1K_E_NS1_11comp_targetILNS1_3genE0ELNS1_11target_archE4294967295ELNS1_3gpuE0ELNS1_3repE0EEENS1_30default_config_static_selectorELNS0_4arch9wavefront6targetE1EEEvSY_,"axG",@progbits,_ZN7rocprim17ROCPRIM_400000_NS6detail17trampoline_kernelINS0_13select_configILj256ELj13ELNS0_17block_load_methodE3ELS4_3ELS4_3ELNS0_20block_scan_algorithmE0ELj4294967295EEENS1_25partition_config_selectorILNS1_17partition_subalgoE3EjNS0_10empty_typeEbEEZZNS1_14partition_implILS8_3ELb0ES6_jNS0_17counting_iteratorIjlEEPS9_SE_NS0_5tupleIJPjSE_EEENSF_IJSE_SE_EEES9_SG_JZNS1_25segmented_radix_sort_implINS0_14default_configELb1EPKiPiPKlPlN2at6native12_GLOBAL__N_18offset_tEEE10hipError_tPvRmT1_PNSt15iterator_traitsISY_E10value_typeET2_T3_PNSZ_IS14_E10value_typeET4_jRbjT5_S1A_jjP12ihipStream_tbEUljE_EEESV_SW_SX_S14_S18_S1A_T6_T7_T9_mT8_S1C_bDpT10_ENKUlT_T0_E_clISt17integral_constantIbLb0EES1P_EEDaS1K_S1L_EUlS1K_E_NS1_11comp_targetILNS1_3genE0ELNS1_11target_archE4294967295ELNS1_3gpuE0ELNS1_3repE0EEENS1_30default_config_static_selectorELNS0_4arch9wavefront6targetE1EEEvSY_,comdat
	.globl	_ZN7rocprim17ROCPRIM_400000_NS6detail17trampoline_kernelINS0_13select_configILj256ELj13ELNS0_17block_load_methodE3ELS4_3ELS4_3ELNS0_20block_scan_algorithmE0ELj4294967295EEENS1_25partition_config_selectorILNS1_17partition_subalgoE3EjNS0_10empty_typeEbEEZZNS1_14partition_implILS8_3ELb0ES6_jNS0_17counting_iteratorIjlEEPS9_SE_NS0_5tupleIJPjSE_EEENSF_IJSE_SE_EEES9_SG_JZNS1_25segmented_radix_sort_implINS0_14default_configELb1EPKiPiPKlPlN2at6native12_GLOBAL__N_18offset_tEEE10hipError_tPvRmT1_PNSt15iterator_traitsISY_E10value_typeET2_T3_PNSZ_IS14_E10value_typeET4_jRbjT5_S1A_jjP12ihipStream_tbEUljE_EEESV_SW_SX_S14_S18_S1A_T6_T7_T9_mT8_S1C_bDpT10_ENKUlT_T0_E_clISt17integral_constantIbLb0EES1P_EEDaS1K_S1L_EUlS1K_E_NS1_11comp_targetILNS1_3genE0ELNS1_11target_archE4294967295ELNS1_3gpuE0ELNS1_3repE0EEENS1_30default_config_static_selectorELNS0_4arch9wavefront6targetE1EEEvSY_ ; -- Begin function _ZN7rocprim17ROCPRIM_400000_NS6detail17trampoline_kernelINS0_13select_configILj256ELj13ELNS0_17block_load_methodE3ELS4_3ELS4_3ELNS0_20block_scan_algorithmE0ELj4294967295EEENS1_25partition_config_selectorILNS1_17partition_subalgoE3EjNS0_10empty_typeEbEEZZNS1_14partition_implILS8_3ELb0ES6_jNS0_17counting_iteratorIjlEEPS9_SE_NS0_5tupleIJPjSE_EEENSF_IJSE_SE_EEES9_SG_JZNS1_25segmented_radix_sort_implINS0_14default_configELb1EPKiPiPKlPlN2at6native12_GLOBAL__N_18offset_tEEE10hipError_tPvRmT1_PNSt15iterator_traitsISY_E10value_typeET2_T3_PNSZ_IS14_E10value_typeET4_jRbjT5_S1A_jjP12ihipStream_tbEUljE_EEESV_SW_SX_S14_S18_S1A_T6_T7_T9_mT8_S1C_bDpT10_ENKUlT_T0_E_clISt17integral_constantIbLb0EES1P_EEDaS1K_S1L_EUlS1K_E_NS1_11comp_targetILNS1_3genE0ELNS1_11target_archE4294967295ELNS1_3gpuE0ELNS1_3repE0EEENS1_30default_config_static_selectorELNS0_4arch9wavefront6targetE1EEEvSY_
	.p2align	8
	.type	_ZN7rocprim17ROCPRIM_400000_NS6detail17trampoline_kernelINS0_13select_configILj256ELj13ELNS0_17block_load_methodE3ELS4_3ELS4_3ELNS0_20block_scan_algorithmE0ELj4294967295EEENS1_25partition_config_selectorILNS1_17partition_subalgoE3EjNS0_10empty_typeEbEEZZNS1_14partition_implILS8_3ELb0ES6_jNS0_17counting_iteratorIjlEEPS9_SE_NS0_5tupleIJPjSE_EEENSF_IJSE_SE_EEES9_SG_JZNS1_25segmented_radix_sort_implINS0_14default_configELb1EPKiPiPKlPlN2at6native12_GLOBAL__N_18offset_tEEE10hipError_tPvRmT1_PNSt15iterator_traitsISY_E10value_typeET2_T3_PNSZ_IS14_E10value_typeET4_jRbjT5_S1A_jjP12ihipStream_tbEUljE_EEESV_SW_SX_S14_S18_S1A_T6_T7_T9_mT8_S1C_bDpT10_ENKUlT_T0_E_clISt17integral_constantIbLb0EES1P_EEDaS1K_S1L_EUlS1K_E_NS1_11comp_targetILNS1_3genE0ELNS1_11target_archE4294967295ELNS1_3gpuE0ELNS1_3repE0EEENS1_30default_config_static_selectorELNS0_4arch9wavefront6targetE1EEEvSY_,@function
_ZN7rocprim17ROCPRIM_400000_NS6detail17trampoline_kernelINS0_13select_configILj256ELj13ELNS0_17block_load_methodE3ELS4_3ELS4_3ELNS0_20block_scan_algorithmE0ELj4294967295EEENS1_25partition_config_selectorILNS1_17partition_subalgoE3EjNS0_10empty_typeEbEEZZNS1_14partition_implILS8_3ELb0ES6_jNS0_17counting_iteratorIjlEEPS9_SE_NS0_5tupleIJPjSE_EEENSF_IJSE_SE_EEES9_SG_JZNS1_25segmented_radix_sort_implINS0_14default_configELb1EPKiPiPKlPlN2at6native12_GLOBAL__N_18offset_tEEE10hipError_tPvRmT1_PNSt15iterator_traitsISY_E10value_typeET2_T3_PNSZ_IS14_E10value_typeET4_jRbjT5_S1A_jjP12ihipStream_tbEUljE_EEESV_SW_SX_S14_S18_S1A_T6_T7_T9_mT8_S1C_bDpT10_ENKUlT_T0_E_clISt17integral_constantIbLb0EES1P_EEDaS1K_S1L_EUlS1K_E_NS1_11comp_targetILNS1_3genE0ELNS1_11target_archE4294967295ELNS1_3gpuE0ELNS1_3repE0EEENS1_30default_config_static_selectorELNS0_4arch9wavefront6targetE1EEEvSY_: ; @_ZN7rocprim17ROCPRIM_400000_NS6detail17trampoline_kernelINS0_13select_configILj256ELj13ELNS0_17block_load_methodE3ELS4_3ELS4_3ELNS0_20block_scan_algorithmE0ELj4294967295EEENS1_25partition_config_selectorILNS1_17partition_subalgoE3EjNS0_10empty_typeEbEEZZNS1_14partition_implILS8_3ELb0ES6_jNS0_17counting_iteratorIjlEEPS9_SE_NS0_5tupleIJPjSE_EEENSF_IJSE_SE_EEES9_SG_JZNS1_25segmented_radix_sort_implINS0_14default_configELb1EPKiPiPKlPlN2at6native12_GLOBAL__N_18offset_tEEE10hipError_tPvRmT1_PNSt15iterator_traitsISY_E10value_typeET2_T3_PNSZ_IS14_E10value_typeET4_jRbjT5_S1A_jjP12ihipStream_tbEUljE_EEESV_SW_SX_S14_S18_S1A_T6_T7_T9_mT8_S1C_bDpT10_ENKUlT_T0_E_clISt17integral_constantIbLb0EES1P_EEDaS1K_S1L_EUlS1K_E_NS1_11comp_targetILNS1_3genE0ELNS1_11target_archE4294967295ELNS1_3gpuE0ELNS1_3repE0EEENS1_30default_config_static_selectorELNS0_4arch9wavefront6targetE1EEEvSY_
; %bb.0:
	.section	.rodata,"a",@progbits
	.p2align	6, 0x0
	.amdhsa_kernel _ZN7rocprim17ROCPRIM_400000_NS6detail17trampoline_kernelINS0_13select_configILj256ELj13ELNS0_17block_load_methodE3ELS4_3ELS4_3ELNS0_20block_scan_algorithmE0ELj4294967295EEENS1_25partition_config_selectorILNS1_17partition_subalgoE3EjNS0_10empty_typeEbEEZZNS1_14partition_implILS8_3ELb0ES6_jNS0_17counting_iteratorIjlEEPS9_SE_NS0_5tupleIJPjSE_EEENSF_IJSE_SE_EEES9_SG_JZNS1_25segmented_radix_sort_implINS0_14default_configELb1EPKiPiPKlPlN2at6native12_GLOBAL__N_18offset_tEEE10hipError_tPvRmT1_PNSt15iterator_traitsISY_E10value_typeET2_T3_PNSZ_IS14_E10value_typeET4_jRbjT5_S1A_jjP12ihipStream_tbEUljE_EEESV_SW_SX_S14_S18_S1A_T6_T7_T9_mT8_S1C_bDpT10_ENKUlT_T0_E_clISt17integral_constantIbLb0EES1P_EEDaS1K_S1L_EUlS1K_E_NS1_11comp_targetILNS1_3genE0ELNS1_11target_archE4294967295ELNS1_3gpuE0ELNS1_3repE0EEENS1_30default_config_static_selectorELNS0_4arch9wavefront6targetE1EEEvSY_
		.amdhsa_group_segment_fixed_size 0
		.amdhsa_private_segment_fixed_size 0
		.amdhsa_kernarg_size 144
		.amdhsa_user_sgpr_count 6
		.amdhsa_user_sgpr_private_segment_buffer 1
		.amdhsa_user_sgpr_dispatch_ptr 0
		.amdhsa_user_sgpr_queue_ptr 0
		.amdhsa_user_sgpr_kernarg_segment_ptr 1
		.amdhsa_user_sgpr_dispatch_id 0
		.amdhsa_user_sgpr_flat_scratch_init 0
		.amdhsa_user_sgpr_private_segment_size 0
		.amdhsa_uses_dynamic_stack 0
		.amdhsa_system_sgpr_private_segment_wavefront_offset 0
		.amdhsa_system_sgpr_workgroup_id_x 1
		.amdhsa_system_sgpr_workgroup_id_y 0
		.amdhsa_system_sgpr_workgroup_id_z 0
		.amdhsa_system_sgpr_workgroup_info 0
		.amdhsa_system_vgpr_workitem_id 0
		.amdhsa_next_free_vgpr 1
		.amdhsa_next_free_sgpr 0
		.amdhsa_reserve_vcc 0
		.amdhsa_reserve_flat_scratch 0
		.amdhsa_float_round_mode_32 0
		.amdhsa_float_round_mode_16_64 0
		.amdhsa_float_denorm_mode_32 3
		.amdhsa_float_denorm_mode_16_64 3
		.amdhsa_dx10_clamp 1
		.amdhsa_ieee_mode 1
		.amdhsa_fp16_overflow 0
		.amdhsa_exception_fp_ieee_invalid_op 0
		.amdhsa_exception_fp_denorm_src 0
		.amdhsa_exception_fp_ieee_div_zero 0
		.amdhsa_exception_fp_ieee_overflow 0
		.amdhsa_exception_fp_ieee_underflow 0
		.amdhsa_exception_fp_ieee_inexact 0
		.amdhsa_exception_int_div_zero 0
	.end_amdhsa_kernel
	.section	.text._ZN7rocprim17ROCPRIM_400000_NS6detail17trampoline_kernelINS0_13select_configILj256ELj13ELNS0_17block_load_methodE3ELS4_3ELS4_3ELNS0_20block_scan_algorithmE0ELj4294967295EEENS1_25partition_config_selectorILNS1_17partition_subalgoE3EjNS0_10empty_typeEbEEZZNS1_14partition_implILS8_3ELb0ES6_jNS0_17counting_iteratorIjlEEPS9_SE_NS0_5tupleIJPjSE_EEENSF_IJSE_SE_EEES9_SG_JZNS1_25segmented_radix_sort_implINS0_14default_configELb1EPKiPiPKlPlN2at6native12_GLOBAL__N_18offset_tEEE10hipError_tPvRmT1_PNSt15iterator_traitsISY_E10value_typeET2_T3_PNSZ_IS14_E10value_typeET4_jRbjT5_S1A_jjP12ihipStream_tbEUljE_EEESV_SW_SX_S14_S18_S1A_T6_T7_T9_mT8_S1C_bDpT10_ENKUlT_T0_E_clISt17integral_constantIbLb0EES1P_EEDaS1K_S1L_EUlS1K_E_NS1_11comp_targetILNS1_3genE0ELNS1_11target_archE4294967295ELNS1_3gpuE0ELNS1_3repE0EEENS1_30default_config_static_selectorELNS0_4arch9wavefront6targetE1EEEvSY_,"axG",@progbits,_ZN7rocprim17ROCPRIM_400000_NS6detail17trampoline_kernelINS0_13select_configILj256ELj13ELNS0_17block_load_methodE3ELS4_3ELS4_3ELNS0_20block_scan_algorithmE0ELj4294967295EEENS1_25partition_config_selectorILNS1_17partition_subalgoE3EjNS0_10empty_typeEbEEZZNS1_14partition_implILS8_3ELb0ES6_jNS0_17counting_iteratorIjlEEPS9_SE_NS0_5tupleIJPjSE_EEENSF_IJSE_SE_EEES9_SG_JZNS1_25segmented_radix_sort_implINS0_14default_configELb1EPKiPiPKlPlN2at6native12_GLOBAL__N_18offset_tEEE10hipError_tPvRmT1_PNSt15iterator_traitsISY_E10value_typeET2_T3_PNSZ_IS14_E10value_typeET4_jRbjT5_S1A_jjP12ihipStream_tbEUljE_EEESV_SW_SX_S14_S18_S1A_T6_T7_T9_mT8_S1C_bDpT10_ENKUlT_T0_E_clISt17integral_constantIbLb0EES1P_EEDaS1K_S1L_EUlS1K_E_NS1_11comp_targetILNS1_3genE0ELNS1_11target_archE4294967295ELNS1_3gpuE0ELNS1_3repE0EEENS1_30default_config_static_selectorELNS0_4arch9wavefront6targetE1EEEvSY_,comdat
.Lfunc_end465:
	.size	_ZN7rocprim17ROCPRIM_400000_NS6detail17trampoline_kernelINS0_13select_configILj256ELj13ELNS0_17block_load_methodE3ELS4_3ELS4_3ELNS0_20block_scan_algorithmE0ELj4294967295EEENS1_25partition_config_selectorILNS1_17partition_subalgoE3EjNS0_10empty_typeEbEEZZNS1_14partition_implILS8_3ELb0ES6_jNS0_17counting_iteratorIjlEEPS9_SE_NS0_5tupleIJPjSE_EEENSF_IJSE_SE_EEES9_SG_JZNS1_25segmented_radix_sort_implINS0_14default_configELb1EPKiPiPKlPlN2at6native12_GLOBAL__N_18offset_tEEE10hipError_tPvRmT1_PNSt15iterator_traitsISY_E10value_typeET2_T3_PNSZ_IS14_E10value_typeET4_jRbjT5_S1A_jjP12ihipStream_tbEUljE_EEESV_SW_SX_S14_S18_S1A_T6_T7_T9_mT8_S1C_bDpT10_ENKUlT_T0_E_clISt17integral_constantIbLb0EES1P_EEDaS1K_S1L_EUlS1K_E_NS1_11comp_targetILNS1_3genE0ELNS1_11target_archE4294967295ELNS1_3gpuE0ELNS1_3repE0EEENS1_30default_config_static_selectorELNS0_4arch9wavefront6targetE1EEEvSY_, .Lfunc_end465-_ZN7rocprim17ROCPRIM_400000_NS6detail17trampoline_kernelINS0_13select_configILj256ELj13ELNS0_17block_load_methodE3ELS4_3ELS4_3ELNS0_20block_scan_algorithmE0ELj4294967295EEENS1_25partition_config_selectorILNS1_17partition_subalgoE3EjNS0_10empty_typeEbEEZZNS1_14partition_implILS8_3ELb0ES6_jNS0_17counting_iteratorIjlEEPS9_SE_NS0_5tupleIJPjSE_EEENSF_IJSE_SE_EEES9_SG_JZNS1_25segmented_radix_sort_implINS0_14default_configELb1EPKiPiPKlPlN2at6native12_GLOBAL__N_18offset_tEEE10hipError_tPvRmT1_PNSt15iterator_traitsISY_E10value_typeET2_T3_PNSZ_IS14_E10value_typeET4_jRbjT5_S1A_jjP12ihipStream_tbEUljE_EEESV_SW_SX_S14_S18_S1A_T6_T7_T9_mT8_S1C_bDpT10_ENKUlT_T0_E_clISt17integral_constantIbLb0EES1P_EEDaS1K_S1L_EUlS1K_E_NS1_11comp_targetILNS1_3genE0ELNS1_11target_archE4294967295ELNS1_3gpuE0ELNS1_3repE0EEENS1_30default_config_static_selectorELNS0_4arch9wavefront6targetE1EEEvSY_
                                        ; -- End function
	.set _ZN7rocprim17ROCPRIM_400000_NS6detail17trampoline_kernelINS0_13select_configILj256ELj13ELNS0_17block_load_methodE3ELS4_3ELS4_3ELNS0_20block_scan_algorithmE0ELj4294967295EEENS1_25partition_config_selectorILNS1_17partition_subalgoE3EjNS0_10empty_typeEbEEZZNS1_14partition_implILS8_3ELb0ES6_jNS0_17counting_iteratorIjlEEPS9_SE_NS0_5tupleIJPjSE_EEENSF_IJSE_SE_EEES9_SG_JZNS1_25segmented_radix_sort_implINS0_14default_configELb1EPKiPiPKlPlN2at6native12_GLOBAL__N_18offset_tEEE10hipError_tPvRmT1_PNSt15iterator_traitsISY_E10value_typeET2_T3_PNSZ_IS14_E10value_typeET4_jRbjT5_S1A_jjP12ihipStream_tbEUljE_EEESV_SW_SX_S14_S18_S1A_T6_T7_T9_mT8_S1C_bDpT10_ENKUlT_T0_E_clISt17integral_constantIbLb0EES1P_EEDaS1K_S1L_EUlS1K_E_NS1_11comp_targetILNS1_3genE0ELNS1_11target_archE4294967295ELNS1_3gpuE0ELNS1_3repE0EEENS1_30default_config_static_selectorELNS0_4arch9wavefront6targetE1EEEvSY_.num_vgpr, 0
	.set _ZN7rocprim17ROCPRIM_400000_NS6detail17trampoline_kernelINS0_13select_configILj256ELj13ELNS0_17block_load_methodE3ELS4_3ELS4_3ELNS0_20block_scan_algorithmE0ELj4294967295EEENS1_25partition_config_selectorILNS1_17partition_subalgoE3EjNS0_10empty_typeEbEEZZNS1_14partition_implILS8_3ELb0ES6_jNS0_17counting_iteratorIjlEEPS9_SE_NS0_5tupleIJPjSE_EEENSF_IJSE_SE_EEES9_SG_JZNS1_25segmented_radix_sort_implINS0_14default_configELb1EPKiPiPKlPlN2at6native12_GLOBAL__N_18offset_tEEE10hipError_tPvRmT1_PNSt15iterator_traitsISY_E10value_typeET2_T3_PNSZ_IS14_E10value_typeET4_jRbjT5_S1A_jjP12ihipStream_tbEUljE_EEESV_SW_SX_S14_S18_S1A_T6_T7_T9_mT8_S1C_bDpT10_ENKUlT_T0_E_clISt17integral_constantIbLb0EES1P_EEDaS1K_S1L_EUlS1K_E_NS1_11comp_targetILNS1_3genE0ELNS1_11target_archE4294967295ELNS1_3gpuE0ELNS1_3repE0EEENS1_30default_config_static_selectorELNS0_4arch9wavefront6targetE1EEEvSY_.num_agpr, 0
	.set _ZN7rocprim17ROCPRIM_400000_NS6detail17trampoline_kernelINS0_13select_configILj256ELj13ELNS0_17block_load_methodE3ELS4_3ELS4_3ELNS0_20block_scan_algorithmE0ELj4294967295EEENS1_25partition_config_selectorILNS1_17partition_subalgoE3EjNS0_10empty_typeEbEEZZNS1_14partition_implILS8_3ELb0ES6_jNS0_17counting_iteratorIjlEEPS9_SE_NS0_5tupleIJPjSE_EEENSF_IJSE_SE_EEES9_SG_JZNS1_25segmented_radix_sort_implINS0_14default_configELb1EPKiPiPKlPlN2at6native12_GLOBAL__N_18offset_tEEE10hipError_tPvRmT1_PNSt15iterator_traitsISY_E10value_typeET2_T3_PNSZ_IS14_E10value_typeET4_jRbjT5_S1A_jjP12ihipStream_tbEUljE_EEESV_SW_SX_S14_S18_S1A_T6_T7_T9_mT8_S1C_bDpT10_ENKUlT_T0_E_clISt17integral_constantIbLb0EES1P_EEDaS1K_S1L_EUlS1K_E_NS1_11comp_targetILNS1_3genE0ELNS1_11target_archE4294967295ELNS1_3gpuE0ELNS1_3repE0EEENS1_30default_config_static_selectorELNS0_4arch9wavefront6targetE1EEEvSY_.numbered_sgpr, 0
	.set _ZN7rocprim17ROCPRIM_400000_NS6detail17trampoline_kernelINS0_13select_configILj256ELj13ELNS0_17block_load_methodE3ELS4_3ELS4_3ELNS0_20block_scan_algorithmE0ELj4294967295EEENS1_25partition_config_selectorILNS1_17partition_subalgoE3EjNS0_10empty_typeEbEEZZNS1_14partition_implILS8_3ELb0ES6_jNS0_17counting_iteratorIjlEEPS9_SE_NS0_5tupleIJPjSE_EEENSF_IJSE_SE_EEES9_SG_JZNS1_25segmented_radix_sort_implINS0_14default_configELb1EPKiPiPKlPlN2at6native12_GLOBAL__N_18offset_tEEE10hipError_tPvRmT1_PNSt15iterator_traitsISY_E10value_typeET2_T3_PNSZ_IS14_E10value_typeET4_jRbjT5_S1A_jjP12ihipStream_tbEUljE_EEESV_SW_SX_S14_S18_S1A_T6_T7_T9_mT8_S1C_bDpT10_ENKUlT_T0_E_clISt17integral_constantIbLb0EES1P_EEDaS1K_S1L_EUlS1K_E_NS1_11comp_targetILNS1_3genE0ELNS1_11target_archE4294967295ELNS1_3gpuE0ELNS1_3repE0EEENS1_30default_config_static_selectorELNS0_4arch9wavefront6targetE1EEEvSY_.num_named_barrier, 0
	.set _ZN7rocprim17ROCPRIM_400000_NS6detail17trampoline_kernelINS0_13select_configILj256ELj13ELNS0_17block_load_methodE3ELS4_3ELS4_3ELNS0_20block_scan_algorithmE0ELj4294967295EEENS1_25partition_config_selectorILNS1_17partition_subalgoE3EjNS0_10empty_typeEbEEZZNS1_14partition_implILS8_3ELb0ES6_jNS0_17counting_iteratorIjlEEPS9_SE_NS0_5tupleIJPjSE_EEENSF_IJSE_SE_EEES9_SG_JZNS1_25segmented_radix_sort_implINS0_14default_configELb1EPKiPiPKlPlN2at6native12_GLOBAL__N_18offset_tEEE10hipError_tPvRmT1_PNSt15iterator_traitsISY_E10value_typeET2_T3_PNSZ_IS14_E10value_typeET4_jRbjT5_S1A_jjP12ihipStream_tbEUljE_EEESV_SW_SX_S14_S18_S1A_T6_T7_T9_mT8_S1C_bDpT10_ENKUlT_T0_E_clISt17integral_constantIbLb0EES1P_EEDaS1K_S1L_EUlS1K_E_NS1_11comp_targetILNS1_3genE0ELNS1_11target_archE4294967295ELNS1_3gpuE0ELNS1_3repE0EEENS1_30default_config_static_selectorELNS0_4arch9wavefront6targetE1EEEvSY_.private_seg_size, 0
	.set _ZN7rocprim17ROCPRIM_400000_NS6detail17trampoline_kernelINS0_13select_configILj256ELj13ELNS0_17block_load_methodE3ELS4_3ELS4_3ELNS0_20block_scan_algorithmE0ELj4294967295EEENS1_25partition_config_selectorILNS1_17partition_subalgoE3EjNS0_10empty_typeEbEEZZNS1_14partition_implILS8_3ELb0ES6_jNS0_17counting_iteratorIjlEEPS9_SE_NS0_5tupleIJPjSE_EEENSF_IJSE_SE_EEES9_SG_JZNS1_25segmented_radix_sort_implINS0_14default_configELb1EPKiPiPKlPlN2at6native12_GLOBAL__N_18offset_tEEE10hipError_tPvRmT1_PNSt15iterator_traitsISY_E10value_typeET2_T3_PNSZ_IS14_E10value_typeET4_jRbjT5_S1A_jjP12ihipStream_tbEUljE_EEESV_SW_SX_S14_S18_S1A_T6_T7_T9_mT8_S1C_bDpT10_ENKUlT_T0_E_clISt17integral_constantIbLb0EES1P_EEDaS1K_S1L_EUlS1K_E_NS1_11comp_targetILNS1_3genE0ELNS1_11target_archE4294967295ELNS1_3gpuE0ELNS1_3repE0EEENS1_30default_config_static_selectorELNS0_4arch9wavefront6targetE1EEEvSY_.uses_vcc, 0
	.set _ZN7rocprim17ROCPRIM_400000_NS6detail17trampoline_kernelINS0_13select_configILj256ELj13ELNS0_17block_load_methodE3ELS4_3ELS4_3ELNS0_20block_scan_algorithmE0ELj4294967295EEENS1_25partition_config_selectorILNS1_17partition_subalgoE3EjNS0_10empty_typeEbEEZZNS1_14partition_implILS8_3ELb0ES6_jNS0_17counting_iteratorIjlEEPS9_SE_NS0_5tupleIJPjSE_EEENSF_IJSE_SE_EEES9_SG_JZNS1_25segmented_radix_sort_implINS0_14default_configELb1EPKiPiPKlPlN2at6native12_GLOBAL__N_18offset_tEEE10hipError_tPvRmT1_PNSt15iterator_traitsISY_E10value_typeET2_T3_PNSZ_IS14_E10value_typeET4_jRbjT5_S1A_jjP12ihipStream_tbEUljE_EEESV_SW_SX_S14_S18_S1A_T6_T7_T9_mT8_S1C_bDpT10_ENKUlT_T0_E_clISt17integral_constantIbLb0EES1P_EEDaS1K_S1L_EUlS1K_E_NS1_11comp_targetILNS1_3genE0ELNS1_11target_archE4294967295ELNS1_3gpuE0ELNS1_3repE0EEENS1_30default_config_static_selectorELNS0_4arch9wavefront6targetE1EEEvSY_.uses_flat_scratch, 0
	.set _ZN7rocprim17ROCPRIM_400000_NS6detail17trampoline_kernelINS0_13select_configILj256ELj13ELNS0_17block_load_methodE3ELS4_3ELS4_3ELNS0_20block_scan_algorithmE0ELj4294967295EEENS1_25partition_config_selectorILNS1_17partition_subalgoE3EjNS0_10empty_typeEbEEZZNS1_14partition_implILS8_3ELb0ES6_jNS0_17counting_iteratorIjlEEPS9_SE_NS0_5tupleIJPjSE_EEENSF_IJSE_SE_EEES9_SG_JZNS1_25segmented_radix_sort_implINS0_14default_configELb1EPKiPiPKlPlN2at6native12_GLOBAL__N_18offset_tEEE10hipError_tPvRmT1_PNSt15iterator_traitsISY_E10value_typeET2_T3_PNSZ_IS14_E10value_typeET4_jRbjT5_S1A_jjP12ihipStream_tbEUljE_EEESV_SW_SX_S14_S18_S1A_T6_T7_T9_mT8_S1C_bDpT10_ENKUlT_T0_E_clISt17integral_constantIbLb0EES1P_EEDaS1K_S1L_EUlS1K_E_NS1_11comp_targetILNS1_3genE0ELNS1_11target_archE4294967295ELNS1_3gpuE0ELNS1_3repE0EEENS1_30default_config_static_selectorELNS0_4arch9wavefront6targetE1EEEvSY_.has_dyn_sized_stack, 0
	.set _ZN7rocprim17ROCPRIM_400000_NS6detail17trampoline_kernelINS0_13select_configILj256ELj13ELNS0_17block_load_methodE3ELS4_3ELS4_3ELNS0_20block_scan_algorithmE0ELj4294967295EEENS1_25partition_config_selectorILNS1_17partition_subalgoE3EjNS0_10empty_typeEbEEZZNS1_14partition_implILS8_3ELb0ES6_jNS0_17counting_iteratorIjlEEPS9_SE_NS0_5tupleIJPjSE_EEENSF_IJSE_SE_EEES9_SG_JZNS1_25segmented_radix_sort_implINS0_14default_configELb1EPKiPiPKlPlN2at6native12_GLOBAL__N_18offset_tEEE10hipError_tPvRmT1_PNSt15iterator_traitsISY_E10value_typeET2_T3_PNSZ_IS14_E10value_typeET4_jRbjT5_S1A_jjP12ihipStream_tbEUljE_EEESV_SW_SX_S14_S18_S1A_T6_T7_T9_mT8_S1C_bDpT10_ENKUlT_T0_E_clISt17integral_constantIbLb0EES1P_EEDaS1K_S1L_EUlS1K_E_NS1_11comp_targetILNS1_3genE0ELNS1_11target_archE4294967295ELNS1_3gpuE0ELNS1_3repE0EEENS1_30default_config_static_selectorELNS0_4arch9wavefront6targetE1EEEvSY_.has_recursion, 0
	.set _ZN7rocprim17ROCPRIM_400000_NS6detail17trampoline_kernelINS0_13select_configILj256ELj13ELNS0_17block_load_methodE3ELS4_3ELS4_3ELNS0_20block_scan_algorithmE0ELj4294967295EEENS1_25partition_config_selectorILNS1_17partition_subalgoE3EjNS0_10empty_typeEbEEZZNS1_14partition_implILS8_3ELb0ES6_jNS0_17counting_iteratorIjlEEPS9_SE_NS0_5tupleIJPjSE_EEENSF_IJSE_SE_EEES9_SG_JZNS1_25segmented_radix_sort_implINS0_14default_configELb1EPKiPiPKlPlN2at6native12_GLOBAL__N_18offset_tEEE10hipError_tPvRmT1_PNSt15iterator_traitsISY_E10value_typeET2_T3_PNSZ_IS14_E10value_typeET4_jRbjT5_S1A_jjP12ihipStream_tbEUljE_EEESV_SW_SX_S14_S18_S1A_T6_T7_T9_mT8_S1C_bDpT10_ENKUlT_T0_E_clISt17integral_constantIbLb0EES1P_EEDaS1K_S1L_EUlS1K_E_NS1_11comp_targetILNS1_3genE0ELNS1_11target_archE4294967295ELNS1_3gpuE0ELNS1_3repE0EEENS1_30default_config_static_selectorELNS0_4arch9wavefront6targetE1EEEvSY_.has_indirect_call, 0
	.section	.AMDGPU.csdata,"",@progbits
; Kernel info:
; codeLenInByte = 0
; TotalNumSgprs: 4
; NumVgprs: 0
; ScratchSize: 0
; MemoryBound: 0
; FloatMode: 240
; IeeeMode: 1
; LDSByteSize: 0 bytes/workgroup (compile time only)
; SGPRBlocks: 0
; VGPRBlocks: 0
; NumSGPRsForWavesPerEU: 4
; NumVGPRsForWavesPerEU: 1
; Occupancy: 10
; WaveLimiterHint : 0
; COMPUTE_PGM_RSRC2:SCRATCH_EN: 0
; COMPUTE_PGM_RSRC2:USER_SGPR: 6
; COMPUTE_PGM_RSRC2:TRAP_HANDLER: 0
; COMPUTE_PGM_RSRC2:TGID_X_EN: 1
; COMPUTE_PGM_RSRC2:TGID_Y_EN: 0
; COMPUTE_PGM_RSRC2:TGID_Z_EN: 0
; COMPUTE_PGM_RSRC2:TIDIG_COMP_CNT: 0
	.section	.text._ZN7rocprim17ROCPRIM_400000_NS6detail17trampoline_kernelINS0_13select_configILj256ELj13ELNS0_17block_load_methodE3ELS4_3ELS4_3ELNS0_20block_scan_algorithmE0ELj4294967295EEENS1_25partition_config_selectorILNS1_17partition_subalgoE3EjNS0_10empty_typeEbEEZZNS1_14partition_implILS8_3ELb0ES6_jNS0_17counting_iteratorIjlEEPS9_SE_NS0_5tupleIJPjSE_EEENSF_IJSE_SE_EEES9_SG_JZNS1_25segmented_radix_sort_implINS0_14default_configELb1EPKiPiPKlPlN2at6native12_GLOBAL__N_18offset_tEEE10hipError_tPvRmT1_PNSt15iterator_traitsISY_E10value_typeET2_T3_PNSZ_IS14_E10value_typeET4_jRbjT5_S1A_jjP12ihipStream_tbEUljE_EEESV_SW_SX_S14_S18_S1A_T6_T7_T9_mT8_S1C_bDpT10_ENKUlT_T0_E_clISt17integral_constantIbLb0EES1P_EEDaS1K_S1L_EUlS1K_E_NS1_11comp_targetILNS1_3genE5ELNS1_11target_archE942ELNS1_3gpuE9ELNS1_3repE0EEENS1_30default_config_static_selectorELNS0_4arch9wavefront6targetE1EEEvSY_,"axG",@progbits,_ZN7rocprim17ROCPRIM_400000_NS6detail17trampoline_kernelINS0_13select_configILj256ELj13ELNS0_17block_load_methodE3ELS4_3ELS4_3ELNS0_20block_scan_algorithmE0ELj4294967295EEENS1_25partition_config_selectorILNS1_17partition_subalgoE3EjNS0_10empty_typeEbEEZZNS1_14partition_implILS8_3ELb0ES6_jNS0_17counting_iteratorIjlEEPS9_SE_NS0_5tupleIJPjSE_EEENSF_IJSE_SE_EEES9_SG_JZNS1_25segmented_radix_sort_implINS0_14default_configELb1EPKiPiPKlPlN2at6native12_GLOBAL__N_18offset_tEEE10hipError_tPvRmT1_PNSt15iterator_traitsISY_E10value_typeET2_T3_PNSZ_IS14_E10value_typeET4_jRbjT5_S1A_jjP12ihipStream_tbEUljE_EEESV_SW_SX_S14_S18_S1A_T6_T7_T9_mT8_S1C_bDpT10_ENKUlT_T0_E_clISt17integral_constantIbLb0EES1P_EEDaS1K_S1L_EUlS1K_E_NS1_11comp_targetILNS1_3genE5ELNS1_11target_archE942ELNS1_3gpuE9ELNS1_3repE0EEENS1_30default_config_static_selectorELNS0_4arch9wavefront6targetE1EEEvSY_,comdat
	.globl	_ZN7rocprim17ROCPRIM_400000_NS6detail17trampoline_kernelINS0_13select_configILj256ELj13ELNS0_17block_load_methodE3ELS4_3ELS4_3ELNS0_20block_scan_algorithmE0ELj4294967295EEENS1_25partition_config_selectorILNS1_17partition_subalgoE3EjNS0_10empty_typeEbEEZZNS1_14partition_implILS8_3ELb0ES6_jNS0_17counting_iteratorIjlEEPS9_SE_NS0_5tupleIJPjSE_EEENSF_IJSE_SE_EEES9_SG_JZNS1_25segmented_radix_sort_implINS0_14default_configELb1EPKiPiPKlPlN2at6native12_GLOBAL__N_18offset_tEEE10hipError_tPvRmT1_PNSt15iterator_traitsISY_E10value_typeET2_T3_PNSZ_IS14_E10value_typeET4_jRbjT5_S1A_jjP12ihipStream_tbEUljE_EEESV_SW_SX_S14_S18_S1A_T6_T7_T9_mT8_S1C_bDpT10_ENKUlT_T0_E_clISt17integral_constantIbLb0EES1P_EEDaS1K_S1L_EUlS1K_E_NS1_11comp_targetILNS1_3genE5ELNS1_11target_archE942ELNS1_3gpuE9ELNS1_3repE0EEENS1_30default_config_static_selectorELNS0_4arch9wavefront6targetE1EEEvSY_ ; -- Begin function _ZN7rocprim17ROCPRIM_400000_NS6detail17trampoline_kernelINS0_13select_configILj256ELj13ELNS0_17block_load_methodE3ELS4_3ELS4_3ELNS0_20block_scan_algorithmE0ELj4294967295EEENS1_25partition_config_selectorILNS1_17partition_subalgoE3EjNS0_10empty_typeEbEEZZNS1_14partition_implILS8_3ELb0ES6_jNS0_17counting_iteratorIjlEEPS9_SE_NS0_5tupleIJPjSE_EEENSF_IJSE_SE_EEES9_SG_JZNS1_25segmented_radix_sort_implINS0_14default_configELb1EPKiPiPKlPlN2at6native12_GLOBAL__N_18offset_tEEE10hipError_tPvRmT1_PNSt15iterator_traitsISY_E10value_typeET2_T3_PNSZ_IS14_E10value_typeET4_jRbjT5_S1A_jjP12ihipStream_tbEUljE_EEESV_SW_SX_S14_S18_S1A_T6_T7_T9_mT8_S1C_bDpT10_ENKUlT_T0_E_clISt17integral_constantIbLb0EES1P_EEDaS1K_S1L_EUlS1K_E_NS1_11comp_targetILNS1_3genE5ELNS1_11target_archE942ELNS1_3gpuE9ELNS1_3repE0EEENS1_30default_config_static_selectorELNS0_4arch9wavefront6targetE1EEEvSY_
	.p2align	8
	.type	_ZN7rocprim17ROCPRIM_400000_NS6detail17trampoline_kernelINS0_13select_configILj256ELj13ELNS0_17block_load_methodE3ELS4_3ELS4_3ELNS0_20block_scan_algorithmE0ELj4294967295EEENS1_25partition_config_selectorILNS1_17partition_subalgoE3EjNS0_10empty_typeEbEEZZNS1_14partition_implILS8_3ELb0ES6_jNS0_17counting_iteratorIjlEEPS9_SE_NS0_5tupleIJPjSE_EEENSF_IJSE_SE_EEES9_SG_JZNS1_25segmented_radix_sort_implINS0_14default_configELb1EPKiPiPKlPlN2at6native12_GLOBAL__N_18offset_tEEE10hipError_tPvRmT1_PNSt15iterator_traitsISY_E10value_typeET2_T3_PNSZ_IS14_E10value_typeET4_jRbjT5_S1A_jjP12ihipStream_tbEUljE_EEESV_SW_SX_S14_S18_S1A_T6_T7_T9_mT8_S1C_bDpT10_ENKUlT_T0_E_clISt17integral_constantIbLb0EES1P_EEDaS1K_S1L_EUlS1K_E_NS1_11comp_targetILNS1_3genE5ELNS1_11target_archE942ELNS1_3gpuE9ELNS1_3repE0EEENS1_30default_config_static_selectorELNS0_4arch9wavefront6targetE1EEEvSY_,@function
_ZN7rocprim17ROCPRIM_400000_NS6detail17trampoline_kernelINS0_13select_configILj256ELj13ELNS0_17block_load_methodE3ELS4_3ELS4_3ELNS0_20block_scan_algorithmE0ELj4294967295EEENS1_25partition_config_selectorILNS1_17partition_subalgoE3EjNS0_10empty_typeEbEEZZNS1_14partition_implILS8_3ELb0ES6_jNS0_17counting_iteratorIjlEEPS9_SE_NS0_5tupleIJPjSE_EEENSF_IJSE_SE_EEES9_SG_JZNS1_25segmented_radix_sort_implINS0_14default_configELb1EPKiPiPKlPlN2at6native12_GLOBAL__N_18offset_tEEE10hipError_tPvRmT1_PNSt15iterator_traitsISY_E10value_typeET2_T3_PNSZ_IS14_E10value_typeET4_jRbjT5_S1A_jjP12ihipStream_tbEUljE_EEESV_SW_SX_S14_S18_S1A_T6_T7_T9_mT8_S1C_bDpT10_ENKUlT_T0_E_clISt17integral_constantIbLb0EES1P_EEDaS1K_S1L_EUlS1K_E_NS1_11comp_targetILNS1_3genE5ELNS1_11target_archE942ELNS1_3gpuE9ELNS1_3repE0EEENS1_30default_config_static_selectorELNS0_4arch9wavefront6targetE1EEEvSY_: ; @_ZN7rocprim17ROCPRIM_400000_NS6detail17trampoline_kernelINS0_13select_configILj256ELj13ELNS0_17block_load_methodE3ELS4_3ELS4_3ELNS0_20block_scan_algorithmE0ELj4294967295EEENS1_25partition_config_selectorILNS1_17partition_subalgoE3EjNS0_10empty_typeEbEEZZNS1_14partition_implILS8_3ELb0ES6_jNS0_17counting_iteratorIjlEEPS9_SE_NS0_5tupleIJPjSE_EEENSF_IJSE_SE_EEES9_SG_JZNS1_25segmented_radix_sort_implINS0_14default_configELb1EPKiPiPKlPlN2at6native12_GLOBAL__N_18offset_tEEE10hipError_tPvRmT1_PNSt15iterator_traitsISY_E10value_typeET2_T3_PNSZ_IS14_E10value_typeET4_jRbjT5_S1A_jjP12ihipStream_tbEUljE_EEESV_SW_SX_S14_S18_S1A_T6_T7_T9_mT8_S1C_bDpT10_ENKUlT_T0_E_clISt17integral_constantIbLb0EES1P_EEDaS1K_S1L_EUlS1K_E_NS1_11comp_targetILNS1_3genE5ELNS1_11target_archE942ELNS1_3gpuE9ELNS1_3repE0EEENS1_30default_config_static_selectorELNS0_4arch9wavefront6targetE1EEEvSY_
; %bb.0:
	.section	.rodata,"a",@progbits
	.p2align	6, 0x0
	.amdhsa_kernel _ZN7rocprim17ROCPRIM_400000_NS6detail17trampoline_kernelINS0_13select_configILj256ELj13ELNS0_17block_load_methodE3ELS4_3ELS4_3ELNS0_20block_scan_algorithmE0ELj4294967295EEENS1_25partition_config_selectorILNS1_17partition_subalgoE3EjNS0_10empty_typeEbEEZZNS1_14partition_implILS8_3ELb0ES6_jNS0_17counting_iteratorIjlEEPS9_SE_NS0_5tupleIJPjSE_EEENSF_IJSE_SE_EEES9_SG_JZNS1_25segmented_radix_sort_implINS0_14default_configELb1EPKiPiPKlPlN2at6native12_GLOBAL__N_18offset_tEEE10hipError_tPvRmT1_PNSt15iterator_traitsISY_E10value_typeET2_T3_PNSZ_IS14_E10value_typeET4_jRbjT5_S1A_jjP12ihipStream_tbEUljE_EEESV_SW_SX_S14_S18_S1A_T6_T7_T9_mT8_S1C_bDpT10_ENKUlT_T0_E_clISt17integral_constantIbLb0EES1P_EEDaS1K_S1L_EUlS1K_E_NS1_11comp_targetILNS1_3genE5ELNS1_11target_archE942ELNS1_3gpuE9ELNS1_3repE0EEENS1_30default_config_static_selectorELNS0_4arch9wavefront6targetE1EEEvSY_
		.amdhsa_group_segment_fixed_size 0
		.amdhsa_private_segment_fixed_size 0
		.amdhsa_kernarg_size 144
		.amdhsa_user_sgpr_count 6
		.amdhsa_user_sgpr_private_segment_buffer 1
		.amdhsa_user_sgpr_dispatch_ptr 0
		.amdhsa_user_sgpr_queue_ptr 0
		.amdhsa_user_sgpr_kernarg_segment_ptr 1
		.amdhsa_user_sgpr_dispatch_id 0
		.amdhsa_user_sgpr_flat_scratch_init 0
		.amdhsa_user_sgpr_private_segment_size 0
		.amdhsa_uses_dynamic_stack 0
		.amdhsa_system_sgpr_private_segment_wavefront_offset 0
		.amdhsa_system_sgpr_workgroup_id_x 1
		.amdhsa_system_sgpr_workgroup_id_y 0
		.amdhsa_system_sgpr_workgroup_id_z 0
		.amdhsa_system_sgpr_workgroup_info 0
		.amdhsa_system_vgpr_workitem_id 0
		.amdhsa_next_free_vgpr 1
		.amdhsa_next_free_sgpr 0
		.amdhsa_reserve_vcc 0
		.amdhsa_reserve_flat_scratch 0
		.amdhsa_float_round_mode_32 0
		.amdhsa_float_round_mode_16_64 0
		.amdhsa_float_denorm_mode_32 3
		.amdhsa_float_denorm_mode_16_64 3
		.amdhsa_dx10_clamp 1
		.amdhsa_ieee_mode 1
		.amdhsa_fp16_overflow 0
		.amdhsa_exception_fp_ieee_invalid_op 0
		.amdhsa_exception_fp_denorm_src 0
		.amdhsa_exception_fp_ieee_div_zero 0
		.amdhsa_exception_fp_ieee_overflow 0
		.amdhsa_exception_fp_ieee_underflow 0
		.amdhsa_exception_fp_ieee_inexact 0
		.amdhsa_exception_int_div_zero 0
	.end_amdhsa_kernel
	.section	.text._ZN7rocprim17ROCPRIM_400000_NS6detail17trampoline_kernelINS0_13select_configILj256ELj13ELNS0_17block_load_methodE3ELS4_3ELS4_3ELNS0_20block_scan_algorithmE0ELj4294967295EEENS1_25partition_config_selectorILNS1_17partition_subalgoE3EjNS0_10empty_typeEbEEZZNS1_14partition_implILS8_3ELb0ES6_jNS0_17counting_iteratorIjlEEPS9_SE_NS0_5tupleIJPjSE_EEENSF_IJSE_SE_EEES9_SG_JZNS1_25segmented_radix_sort_implINS0_14default_configELb1EPKiPiPKlPlN2at6native12_GLOBAL__N_18offset_tEEE10hipError_tPvRmT1_PNSt15iterator_traitsISY_E10value_typeET2_T3_PNSZ_IS14_E10value_typeET4_jRbjT5_S1A_jjP12ihipStream_tbEUljE_EEESV_SW_SX_S14_S18_S1A_T6_T7_T9_mT8_S1C_bDpT10_ENKUlT_T0_E_clISt17integral_constantIbLb0EES1P_EEDaS1K_S1L_EUlS1K_E_NS1_11comp_targetILNS1_3genE5ELNS1_11target_archE942ELNS1_3gpuE9ELNS1_3repE0EEENS1_30default_config_static_selectorELNS0_4arch9wavefront6targetE1EEEvSY_,"axG",@progbits,_ZN7rocprim17ROCPRIM_400000_NS6detail17trampoline_kernelINS0_13select_configILj256ELj13ELNS0_17block_load_methodE3ELS4_3ELS4_3ELNS0_20block_scan_algorithmE0ELj4294967295EEENS1_25partition_config_selectorILNS1_17partition_subalgoE3EjNS0_10empty_typeEbEEZZNS1_14partition_implILS8_3ELb0ES6_jNS0_17counting_iteratorIjlEEPS9_SE_NS0_5tupleIJPjSE_EEENSF_IJSE_SE_EEES9_SG_JZNS1_25segmented_radix_sort_implINS0_14default_configELb1EPKiPiPKlPlN2at6native12_GLOBAL__N_18offset_tEEE10hipError_tPvRmT1_PNSt15iterator_traitsISY_E10value_typeET2_T3_PNSZ_IS14_E10value_typeET4_jRbjT5_S1A_jjP12ihipStream_tbEUljE_EEESV_SW_SX_S14_S18_S1A_T6_T7_T9_mT8_S1C_bDpT10_ENKUlT_T0_E_clISt17integral_constantIbLb0EES1P_EEDaS1K_S1L_EUlS1K_E_NS1_11comp_targetILNS1_3genE5ELNS1_11target_archE942ELNS1_3gpuE9ELNS1_3repE0EEENS1_30default_config_static_selectorELNS0_4arch9wavefront6targetE1EEEvSY_,comdat
.Lfunc_end466:
	.size	_ZN7rocprim17ROCPRIM_400000_NS6detail17trampoline_kernelINS0_13select_configILj256ELj13ELNS0_17block_load_methodE3ELS4_3ELS4_3ELNS0_20block_scan_algorithmE0ELj4294967295EEENS1_25partition_config_selectorILNS1_17partition_subalgoE3EjNS0_10empty_typeEbEEZZNS1_14partition_implILS8_3ELb0ES6_jNS0_17counting_iteratorIjlEEPS9_SE_NS0_5tupleIJPjSE_EEENSF_IJSE_SE_EEES9_SG_JZNS1_25segmented_radix_sort_implINS0_14default_configELb1EPKiPiPKlPlN2at6native12_GLOBAL__N_18offset_tEEE10hipError_tPvRmT1_PNSt15iterator_traitsISY_E10value_typeET2_T3_PNSZ_IS14_E10value_typeET4_jRbjT5_S1A_jjP12ihipStream_tbEUljE_EEESV_SW_SX_S14_S18_S1A_T6_T7_T9_mT8_S1C_bDpT10_ENKUlT_T0_E_clISt17integral_constantIbLb0EES1P_EEDaS1K_S1L_EUlS1K_E_NS1_11comp_targetILNS1_3genE5ELNS1_11target_archE942ELNS1_3gpuE9ELNS1_3repE0EEENS1_30default_config_static_selectorELNS0_4arch9wavefront6targetE1EEEvSY_, .Lfunc_end466-_ZN7rocprim17ROCPRIM_400000_NS6detail17trampoline_kernelINS0_13select_configILj256ELj13ELNS0_17block_load_methodE3ELS4_3ELS4_3ELNS0_20block_scan_algorithmE0ELj4294967295EEENS1_25partition_config_selectorILNS1_17partition_subalgoE3EjNS0_10empty_typeEbEEZZNS1_14partition_implILS8_3ELb0ES6_jNS0_17counting_iteratorIjlEEPS9_SE_NS0_5tupleIJPjSE_EEENSF_IJSE_SE_EEES9_SG_JZNS1_25segmented_radix_sort_implINS0_14default_configELb1EPKiPiPKlPlN2at6native12_GLOBAL__N_18offset_tEEE10hipError_tPvRmT1_PNSt15iterator_traitsISY_E10value_typeET2_T3_PNSZ_IS14_E10value_typeET4_jRbjT5_S1A_jjP12ihipStream_tbEUljE_EEESV_SW_SX_S14_S18_S1A_T6_T7_T9_mT8_S1C_bDpT10_ENKUlT_T0_E_clISt17integral_constantIbLb0EES1P_EEDaS1K_S1L_EUlS1K_E_NS1_11comp_targetILNS1_3genE5ELNS1_11target_archE942ELNS1_3gpuE9ELNS1_3repE0EEENS1_30default_config_static_selectorELNS0_4arch9wavefront6targetE1EEEvSY_
                                        ; -- End function
	.set _ZN7rocprim17ROCPRIM_400000_NS6detail17trampoline_kernelINS0_13select_configILj256ELj13ELNS0_17block_load_methodE3ELS4_3ELS4_3ELNS0_20block_scan_algorithmE0ELj4294967295EEENS1_25partition_config_selectorILNS1_17partition_subalgoE3EjNS0_10empty_typeEbEEZZNS1_14partition_implILS8_3ELb0ES6_jNS0_17counting_iteratorIjlEEPS9_SE_NS0_5tupleIJPjSE_EEENSF_IJSE_SE_EEES9_SG_JZNS1_25segmented_radix_sort_implINS0_14default_configELb1EPKiPiPKlPlN2at6native12_GLOBAL__N_18offset_tEEE10hipError_tPvRmT1_PNSt15iterator_traitsISY_E10value_typeET2_T3_PNSZ_IS14_E10value_typeET4_jRbjT5_S1A_jjP12ihipStream_tbEUljE_EEESV_SW_SX_S14_S18_S1A_T6_T7_T9_mT8_S1C_bDpT10_ENKUlT_T0_E_clISt17integral_constantIbLb0EES1P_EEDaS1K_S1L_EUlS1K_E_NS1_11comp_targetILNS1_3genE5ELNS1_11target_archE942ELNS1_3gpuE9ELNS1_3repE0EEENS1_30default_config_static_selectorELNS0_4arch9wavefront6targetE1EEEvSY_.num_vgpr, 0
	.set _ZN7rocprim17ROCPRIM_400000_NS6detail17trampoline_kernelINS0_13select_configILj256ELj13ELNS0_17block_load_methodE3ELS4_3ELS4_3ELNS0_20block_scan_algorithmE0ELj4294967295EEENS1_25partition_config_selectorILNS1_17partition_subalgoE3EjNS0_10empty_typeEbEEZZNS1_14partition_implILS8_3ELb0ES6_jNS0_17counting_iteratorIjlEEPS9_SE_NS0_5tupleIJPjSE_EEENSF_IJSE_SE_EEES9_SG_JZNS1_25segmented_radix_sort_implINS0_14default_configELb1EPKiPiPKlPlN2at6native12_GLOBAL__N_18offset_tEEE10hipError_tPvRmT1_PNSt15iterator_traitsISY_E10value_typeET2_T3_PNSZ_IS14_E10value_typeET4_jRbjT5_S1A_jjP12ihipStream_tbEUljE_EEESV_SW_SX_S14_S18_S1A_T6_T7_T9_mT8_S1C_bDpT10_ENKUlT_T0_E_clISt17integral_constantIbLb0EES1P_EEDaS1K_S1L_EUlS1K_E_NS1_11comp_targetILNS1_3genE5ELNS1_11target_archE942ELNS1_3gpuE9ELNS1_3repE0EEENS1_30default_config_static_selectorELNS0_4arch9wavefront6targetE1EEEvSY_.num_agpr, 0
	.set _ZN7rocprim17ROCPRIM_400000_NS6detail17trampoline_kernelINS0_13select_configILj256ELj13ELNS0_17block_load_methodE3ELS4_3ELS4_3ELNS0_20block_scan_algorithmE0ELj4294967295EEENS1_25partition_config_selectorILNS1_17partition_subalgoE3EjNS0_10empty_typeEbEEZZNS1_14partition_implILS8_3ELb0ES6_jNS0_17counting_iteratorIjlEEPS9_SE_NS0_5tupleIJPjSE_EEENSF_IJSE_SE_EEES9_SG_JZNS1_25segmented_radix_sort_implINS0_14default_configELb1EPKiPiPKlPlN2at6native12_GLOBAL__N_18offset_tEEE10hipError_tPvRmT1_PNSt15iterator_traitsISY_E10value_typeET2_T3_PNSZ_IS14_E10value_typeET4_jRbjT5_S1A_jjP12ihipStream_tbEUljE_EEESV_SW_SX_S14_S18_S1A_T6_T7_T9_mT8_S1C_bDpT10_ENKUlT_T0_E_clISt17integral_constantIbLb0EES1P_EEDaS1K_S1L_EUlS1K_E_NS1_11comp_targetILNS1_3genE5ELNS1_11target_archE942ELNS1_3gpuE9ELNS1_3repE0EEENS1_30default_config_static_selectorELNS0_4arch9wavefront6targetE1EEEvSY_.numbered_sgpr, 0
	.set _ZN7rocprim17ROCPRIM_400000_NS6detail17trampoline_kernelINS0_13select_configILj256ELj13ELNS0_17block_load_methodE3ELS4_3ELS4_3ELNS0_20block_scan_algorithmE0ELj4294967295EEENS1_25partition_config_selectorILNS1_17partition_subalgoE3EjNS0_10empty_typeEbEEZZNS1_14partition_implILS8_3ELb0ES6_jNS0_17counting_iteratorIjlEEPS9_SE_NS0_5tupleIJPjSE_EEENSF_IJSE_SE_EEES9_SG_JZNS1_25segmented_radix_sort_implINS0_14default_configELb1EPKiPiPKlPlN2at6native12_GLOBAL__N_18offset_tEEE10hipError_tPvRmT1_PNSt15iterator_traitsISY_E10value_typeET2_T3_PNSZ_IS14_E10value_typeET4_jRbjT5_S1A_jjP12ihipStream_tbEUljE_EEESV_SW_SX_S14_S18_S1A_T6_T7_T9_mT8_S1C_bDpT10_ENKUlT_T0_E_clISt17integral_constantIbLb0EES1P_EEDaS1K_S1L_EUlS1K_E_NS1_11comp_targetILNS1_3genE5ELNS1_11target_archE942ELNS1_3gpuE9ELNS1_3repE0EEENS1_30default_config_static_selectorELNS0_4arch9wavefront6targetE1EEEvSY_.num_named_barrier, 0
	.set _ZN7rocprim17ROCPRIM_400000_NS6detail17trampoline_kernelINS0_13select_configILj256ELj13ELNS0_17block_load_methodE3ELS4_3ELS4_3ELNS0_20block_scan_algorithmE0ELj4294967295EEENS1_25partition_config_selectorILNS1_17partition_subalgoE3EjNS0_10empty_typeEbEEZZNS1_14partition_implILS8_3ELb0ES6_jNS0_17counting_iteratorIjlEEPS9_SE_NS0_5tupleIJPjSE_EEENSF_IJSE_SE_EEES9_SG_JZNS1_25segmented_radix_sort_implINS0_14default_configELb1EPKiPiPKlPlN2at6native12_GLOBAL__N_18offset_tEEE10hipError_tPvRmT1_PNSt15iterator_traitsISY_E10value_typeET2_T3_PNSZ_IS14_E10value_typeET4_jRbjT5_S1A_jjP12ihipStream_tbEUljE_EEESV_SW_SX_S14_S18_S1A_T6_T7_T9_mT8_S1C_bDpT10_ENKUlT_T0_E_clISt17integral_constantIbLb0EES1P_EEDaS1K_S1L_EUlS1K_E_NS1_11comp_targetILNS1_3genE5ELNS1_11target_archE942ELNS1_3gpuE9ELNS1_3repE0EEENS1_30default_config_static_selectorELNS0_4arch9wavefront6targetE1EEEvSY_.private_seg_size, 0
	.set _ZN7rocprim17ROCPRIM_400000_NS6detail17trampoline_kernelINS0_13select_configILj256ELj13ELNS0_17block_load_methodE3ELS4_3ELS4_3ELNS0_20block_scan_algorithmE0ELj4294967295EEENS1_25partition_config_selectorILNS1_17partition_subalgoE3EjNS0_10empty_typeEbEEZZNS1_14partition_implILS8_3ELb0ES6_jNS0_17counting_iteratorIjlEEPS9_SE_NS0_5tupleIJPjSE_EEENSF_IJSE_SE_EEES9_SG_JZNS1_25segmented_radix_sort_implINS0_14default_configELb1EPKiPiPKlPlN2at6native12_GLOBAL__N_18offset_tEEE10hipError_tPvRmT1_PNSt15iterator_traitsISY_E10value_typeET2_T3_PNSZ_IS14_E10value_typeET4_jRbjT5_S1A_jjP12ihipStream_tbEUljE_EEESV_SW_SX_S14_S18_S1A_T6_T7_T9_mT8_S1C_bDpT10_ENKUlT_T0_E_clISt17integral_constantIbLb0EES1P_EEDaS1K_S1L_EUlS1K_E_NS1_11comp_targetILNS1_3genE5ELNS1_11target_archE942ELNS1_3gpuE9ELNS1_3repE0EEENS1_30default_config_static_selectorELNS0_4arch9wavefront6targetE1EEEvSY_.uses_vcc, 0
	.set _ZN7rocprim17ROCPRIM_400000_NS6detail17trampoline_kernelINS0_13select_configILj256ELj13ELNS0_17block_load_methodE3ELS4_3ELS4_3ELNS0_20block_scan_algorithmE0ELj4294967295EEENS1_25partition_config_selectorILNS1_17partition_subalgoE3EjNS0_10empty_typeEbEEZZNS1_14partition_implILS8_3ELb0ES6_jNS0_17counting_iteratorIjlEEPS9_SE_NS0_5tupleIJPjSE_EEENSF_IJSE_SE_EEES9_SG_JZNS1_25segmented_radix_sort_implINS0_14default_configELb1EPKiPiPKlPlN2at6native12_GLOBAL__N_18offset_tEEE10hipError_tPvRmT1_PNSt15iterator_traitsISY_E10value_typeET2_T3_PNSZ_IS14_E10value_typeET4_jRbjT5_S1A_jjP12ihipStream_tbEUljE_EEESV_SW_SX_S14_S18_S1A_T6_T7_T9_mT8_S1C_bDpT10_ENKUlT_T0_E_clISt17integral_constantIbLb0EES1P_EEDaS1K_S1L_EUlS1K_E_NS1_11comp_targetILNS1_3genE5ELNS1_11target_archE942ELNS1_3gpuE9ELNS1_3repE0EEENS1_30default_config_static_selectorELNS0_4arch9wavefront6targetE1EEEvSY_.uses_flat_scratch, 0
	.set _ZN7rocprim17ROCPRIM_400000_NS6detail17trampoline_kernelINS0_13select_configILj256ELj13ELNS0_17block_load_methodE3ELS4_3ELS4_3ELNS0_20block_scan_algorithmE0ELj4294967295EEENS1_25partition_config_selectorILNS1_17partition_subalgoE3EjNS0_10empty_typeEbEEZZNS1_14partition_implILS8_3ELb0ES6_jNS0_17counting_iteratorIjlEEPS9_SE_NS0_5tupleIJPjSE_EEENSF_IJSE_SE_EEES9_SG_JZNS1_25segmented_radix_sort_implINS0_14default_configELb1EPKiPiPKlPlN2at6native12_GLOBAL__N_18offset_tEEE10hipError_tPvRmT1_PNSt15iterator_traitsISY_E10value_typeET2_T3_PNSZ_IS14_E10value_typeET4_jRbjT5_S1A_jjP12ihipStream_tbEUljE_EEESV_SW_SX_S14_S18_S1A_T6_T7_T9_mT8_S1C_bDpT10_ENKUlT_T0_E_clISt17integral_constantIbLb0EES1P_EEDaS1K_S1L_EUlS1K_E_NS1_11comp_targetILNS1_3genE5ELNS1_11target_archE942ELNS1_3gpuE9ELNS1_3repE0EEENS1_30default_config_static_selectorELNS0_4arch9wavefront6targetE1EEEvSY_.has_dyn_sized_stack, 0
	.set _ZN7rocprim17ROCPRIM_400000_NS6detail17trampoline_kernelINS0_13select_configILj256ELj13ELNS0_17block_load_methodE3ELS4_3ELS4_3ELNS0_20block_scan_algorithmE0ELj4294967295EEENS1_25partition_config_selectorILNS1_17partition_subalgoE3EjNS0_10empty_typeEbEEZZNS1_14partition_implILS8_3ELb0ES6_jNS0_17counting_iteratorIjlEEPS9_SE_NS0_5tupleIJPjSE_EEENSF_IJSE_SE_EEES9_SG_JZNS1_25segmented_radix_sort_implINS0_14default_configELb1EPKiPiPKlPlN2at6native12_GLOBAL__N_18offset_tEEE10hipError_tPvRmT1_PNSt15iterator_traitsISY_E10value_typeET2_T3_PNSZ_IS14_E10value_typeET4_jRbjT5_S1A_jjP12ihipStream_tbEUljE_EEESV_SW_SX_S14_S18_S1A_T6_T7_T9_mT8_S1C_bDpT10_ENKUlT_T0_E_clISt17integral_constantIbLb0EES1P_EEDaS1K_S1L_EUlS1K_E_NS1_11comp_targetILNS1_3genE5ELNS1_11target_archE942ELNS1_3gpuE9ELNS1_3repE0EEENS1_30default_config_static_selectorELNS0_4arch9wavefront6targetE1EEEvSY_.has_recursion, 0
	.set _ZN7rocprim17ROCPRIM_400000_NS6detail17trampoline_kernelINS0_13select_configILj256ELj13ELNS0_17block_load_methodE3ELS4_3ELS4_3ELNS0_20block_scan_algorithmE0ELj4294967295EEENS1_25partition_config_selectorILNS1_17partition_subalgoE3EjNS0_10empty_typeEbEEZZNS1_14partition_implILS8_3ELb0ES6_jNS0_17counting_iteratorIjlEEPS9_SE_NS0_5tupleIJPjSE_EEENSF_IJSE_SE_EEES9_SG_JZNS1_25segmented_radix_sort_implINS0_14default_configELb1EPKiPiPKlPlN2at6native12_GLOBAL__N_18offset_tEEE10hipError_tPvRmT1_PNSt15iterator_traitsISY_E10value_typeET2_T3_PNSZ_IS14_E10value_typeET4_jRbjT5_S1A_jjP12ihipStream_tbEUljE_EEESV_SW_SX_S14_S18_S1A_T6_T7_T9_mT8_S1C_bDpT10_ENKUlT_T0_E_clISt17integral_constantIbLb0EES1P_EEDaS1K_S1L_EUlS1K_E_NS1_11comp_targetILNS1_3genE5ELNS1_11target_archE942ELNS1_3gpuE9ELNS1_3repE0EEENS1_30default_config_static_selectorELNS0_4arch9wavefront6targetE1EEEvSY_.has_indirect_call, 0
	.section	.AMDGPU.csdata,"",@progbits
; Kernel info:
; codeLenInByte = 0
; TotalNumSgprs: 4
; NumVgprs: 0
; ScratchSize: 0
; MemoryBound: 0
; FloatMode: 240
; IeeeMode: 1
; LDSByteSize: 0 bytes/workgroup (compile time only)
; SGPRBlocks: 0
; VGPRBlocks: 0
; NumSGPRsForWavesPerEU: 4
; NumVGPRsForWavesPerEU: 1
; Occupancy: 10
; WaveLimiterHint : 0
; COMPUTE_PGM_RSRC2:SCRATCH_EN: 0
; COMPUTE_PGM_RSRC2:USER_SGPR: 6
; COMPUTE_PGM_RSRC2:TRAP_HANDLER: 0
; COMPUTE_PGM_RSRC2:TGID_X_EN: 1
; COMPUTE_PGM_RSRC2:TGID_Y_EN: 0
; COMPUTE_PGM_RSRC2:TGID_Z_EN: 0
; COMPUTE_PGM_RSRC2:TIDIG_COMP_CNT: 0
	.section	.text._ZN7rocprim17ROCPRIM_400000_NS6detail17trampoline_kernelINS0_13select_configILj256ELj13ELNS0_17block_load_methodE3ELS4_3ELS4_3ELNS0_20block_scan_algorithmE0ELj4294967295EEENS1_25partition_config_selectorILNS1_17partition_subalgoE3EjNS0_10empty_typeEbEEZZNS1_14partition_implILS8_3ELb0ES6_jNS0_17counting_iteratorIjlEEPS9_SE_NS0_5tupleIJPjSE_EEENSF_IJSE_SE_EEES9_SG_JZNS1_25segmented_radix_sort_implINS0_14default_configELb1EPKiPiPKlPlN2at6native12_GLOBAL__N_18offset_tEEE10hipError_tPvRmT1_PNSt15iterator_traitsISY_E10value_typeET2_T3_PNSZ_IS14_E10value_typeET4_jRbjT5_S1A_jjP12ihipStream_tbEUljE_EEESV_SW_SX_S14_S18_S1A_T6_T7_T9_mT8_S1C_bDpT10_ENKUlT_T0_E_clISt17integral_constantIbLb0EES1P_EEDaS1K_S1L_EUlS1K_E_NS1_11comp_targetILNS1_3genE4ELNS1_11target_archE910ELNS1_3gpuE8ELNS1_3repE0EEENS1_30default_config_static_selectorELNS0_4arch9wavefront6targetE1EEEvSY_,"axG",@progbits,_ZN7rocprim17ROCPRIM_400000_NS6detail17trampoline_kernelINS0_13select_configILj256ELj13ELNS0_17block_load_methodE3ELS4_3ELS4_3ELNS0_20block_scan_algorithmE0ELj4294967295EEENS1_25partition_config_selectorILNS1_17partition_subalgoE3EjNS0_10empty_typeEbEEZZNS1_14partition_implILS8_3ELb0ES6_jNS0_17counting_iteratorIjlEEPS9_SE_NS0_5tupleIJPjSE_EEENSF_IJSE_SE_EEES9_SG_JZNS1_25segmented_radix_sort_implINS0_14default_configELb1EPKiPiPKlPlN2at6native12_GLOBAL__N_18offset_tEEE10hipError_tPvRmT1_PNSt15iterator_traitsISY_E10value_typeET2_T3_PNSZ_IS14_E10value_typeET4_jRbjT5_S1A_jjP12ihipStream_tbEUljE_EEESV_SW_SX_S14_S18_S1A_T6_T7_T9_mT8_S1C_bDpT10_ENKUlT_T0_E_clISt17integral_constantIbLb0EES1P_EEDaS1K_S1L_EUlS1K_E_NS1_11comp_targetILNS1_3genE4ELNS1_11target_archE910ELNS1_3gpuE8ELNS1_3repE0EEENS1_30default_config_static_selectorELNS0_4arch9wavefront6targetE1EEEvSY_,comdat
	.globl	_ZN7rocprim17ROCPRIM_400000_NS6detail17trampoline_kernelINS0_13select_configILj256ELj13ELNS0_17block_load_methodE3ELS4_3ELS4_3ELNS0_20block_scan_algorithmE0ELj4294967295EEENS1_25partition_config_selectorILNS1_17partition_subalgoE3EjNS0_10empty_typeEbEEZZNS1_14partition_implILS8_3ELb0ES6_jNS0_17counting_iteratorIjlEEPS9_SE_NS0_5tupleIJPjSE_EEENSF_IJSE_SE_EEES9_SG_JZNS1_25segmented_radix_sort_implINS0_14default_configELb1EPKiPiPKlPlN2at6native12_GLOBAL__N_18offset_tEEE10hipError_tPvRmT1_PNSt15iterator_traitsISY_E10value_typeET2_T3_PNSZ_IS14_E10value_typeET4_jRbjT5_S1A_jjP12ihipStream_tbEUljE_EEESV_SW_SX_S14_S18_S1A_T6_T7_T9_mT8_S1C_bDpT10_ENKUlT_T0_E_clISt17integral_constantIbLb0EES1P_EEDaS1K_S1L_EUlS1K_E_NS1_11comp_targetILNS1_3genE4ELNS1_11target_archE910ELNS1_3gpuE8ELNS1_3repE0EEENS1_30default_config_static_selectorELNS0_4arch9wavefront6targetE1EEEvSY_ ; -- Begin function _ZN7rocprim17ROCPRIM_400000_NS6detail17trampoline_kernelINS0_13select_configILj256ELj13ELNS0_17block_load_methodE3ELS4_3ELS4_3ELNS0_20block_scan_algorithmE0ELj4294967295EEENS1_25partition_config_selectorILNS1_17partition_subalgoE3EjNS0_10empty_typeEbEEZZNS1_14partition_implILS8_3ELb0ES6_jNS0_17counting_iteratorIjlEEPS9_SE_NS0_5tupleIJPjSE_EEENSF_IJSE_SE_EEES9_SG_JZNS1_25segmented_radix_sort_implINS0_14default_configELb1EPKiPiPKlPlN2at6native12_GLOBAL__N_18offset_tEEE10hipError_tPvRmT1_PNSt15iterator_traitsISY_E10value_typeET2_T3_PNSZ_IS14_E10value_typeET4_jRbjT5_S1A_jjP12ihipStream_tbEUljE_EEESV_SW_SX_S14_S18_S1A_T6_T7_T9_mT8_S1C_bDpT10_ENKUlT_T0_E_clISt17integral_constantIbLb0EES1P_EEDaS1K_S1L_EUlS1K_E_NS1_11comp_targetILNS1_3genE4ELNS1_11target_archE910ELNS1_3gpuE8ELNS1_3repE0EEENS1_30default_config_static_selectorELNS0_4arch9wavefront6targetE1EEEvSY_
	.p2align	8
	.type	_ZN7rocprim17ROCPRIM_400000_NS6detail17trampoline_kernelINS0_13select_configILj256ELj13ELNS0_17block_load_methodE3ELS4_3ELS4_3ELNS0_20block_scan_algorithmE0ELj4294967295EEENS1_25partition_config_selectorILNS1_17partition_subalgoE3EjNS0_10empty_typeEbEEZZNS1_14partition_implILS8_3ELb0ES6_jNS0_17counting_iteratorIjlEEPS9_SE_NS0_5tupleIJPjSE_EEENSF_IJSE_SE_EEES9_SG_JZNS1_25segmented_radix_sort_implINS0_14default_configELb1EPKiPiPKlPlN2at6native12_GLOBAL__N_18offset_tEEE10hipError_tPvRmT1_PNSt15iterator_traitsISY_E10value_typeET2_T3_PNSZ_IS14_E10value_typeET4_jRbjT5_S1A_jjP12ihipStream_tbEUljE_EEESV_SW_SX_S14_S18_S1A_T6_T7_T9_mT8_S1C_bDpT10_ENKUlT_T0_E_clISt17integral_constantIbLb0EES1P_EEDaS1K_S1L_EUlS1K_E_NS1_11comp_targetILNS1_3genE4ELNS1_11target_archE910ELNS1_3gpuE8ELNS1_3repE0EEENS1_30default_config_static_selectorELNS0_4arch9wavefront6targetE1EEEvSY_,@function
_ZN7rocprim17ROCPRIM_400000_NS6detail17trampoline_kernelINS0_13select_configILj256ELj13ELNS0_17block_load_methodE3ELS4_3ELS4_3ELNS0_20block_scan_algorithmE0ELj4294967295EEENS1_25partition_config_selectorILNS1_17partition_subalgoE3EjNS0_10empty_typeEbEEZZNS1_14partition_implILS8_3ELb0ES6_jNS0_17counting_iteratorIjlEEPS9_SE_NS0_5tupleIJPjSE_EEENSF_IJSE_SE_EEES9_SG_JZNS1_25segmented_radix_sort_implINS0_14default_configELb1EPKiPiPKlPlN2at6native12_GLOBAL__N_18offset_tEEE10hipError_tPvRmT1_PNSt15iterator_traitsISY_E10value_typeET2_T3_PNSZ_IS14_E10value_typeET4_jRbjT5_S1A_jjP12ihipStream_tbEUljE_EEESV_SW_SX_S14_S18_S1A_T6_T7_T9_mT8_S1C_bDpT10_ENKUlT_T0_E_clISt17integral_constantIbLb0EES1P_EEDaS1K_S1L_EUlS1K_E_NS1_11comp_targetILNS1_3genE4ELNS1_11target_archE910ELNS1_3gpuE8ELNS1_3repE0EEENS1_30default_config_static_selectorELNS0_4arch9wavefront6targetE1EEEvSY_: ; @_ZN7rocprim17ROCPRIM_400000_NS6detail17trampoline_kernelINS0_13select_configILj256ELj13ELNS0_17block_load_methodE3ELS4_3ELS4_3ELNS0_20block_scan_algorithmE0ELj4294967295EEENS1_25partition_config_selectorILNS1_17partition_subalgoE3EjNS0_10empty_typeEbEEZZNS1_14partition_implILS8_3ELb0ES6_jNS0_17counting_iteratorIjlEEPS9_SE_NS0_5tupleIJPjSE_EEENSF_IJSE_SE_EEES9_SG_JZNS1_25segmented_radix_sort_implINS0_14default_configELb1EPKiPiPKlPlN2at6native12_GLOBAL__N_18offset_tEEE10hipError_tPvRmT1_PNSt15iterator_traitsISY_E10value_typeET2_T3_PNSZ_IS14_E10value_typeET4_jRbjT5_S1A_jjP12ihipStream_tbEUljE_EEESV_SW_SX_S14_S18_S1A_T6_T7_T9_mT8_S1C_bDpT10_ENKUlT_T0_E_clISt17integral_constantIbLb0EES1P_EEDaS1K_S1L_EUlS1K_E_NS1_11comp_targetILNS1_3genE4ELNS1_11target_archE910ELNS1_3gpuE8ELNS1_3repE0EEENS1_30default_config_static_selectorELNS0_4arch9wavefront6targetE1EEEvSY_
; %bb.0:
	.section	.rodata,"a",@progbits
	.p2align	6, 0x0
	.amdhsa_kernel _ZN7rocprim17ROCPRIM_400000_NS6detail17trampoline_kernelINS0_13select_configILj256ELj13ELNS0_17block_load_methodE3ELS4_3ELS4_3ELNS0_20block_scan_algorithmE0ELj4294967295EEENS1_25partition_config_selectorILNS1_17partition_subalgoE3EjNS0_10empty_typeEbEEZZNS1_14partition_implILS8_3ELb0ES6_jNS0_17counting_iteratorIjlEEPS9_SE_NS0_5tupleIJPjSE_EEENSF_IJSE_SE_EEES9_SG_JZNS1_25segmented_radix_sort_implINS0_14default_configELb1EPKiPiPKlPlN2at6native12_GLOBAL__N_18offset_tEEE10hipError_tPvRmT1_PNSt15iterator_traitsISY_E10value_typeET2_T3_PNSZ_IS14_E10value_typeET4_jRbjT5_S1A_jjP12ihipStream_tbEUljE_EEESV_SW_SX_S14_S18_S1A_T6_T7_T9_mT8_S1C_bDpT10_ENKUlT_T0_E_clISt17integral_constantIbLb0EES1P_EEDaS1K_S1L_EUlS1K_E_NS1_11comp_targetILNS1_3genE4ELNS1_11target_archE910ELNS1_3gpuE8ELNS1_3repE0EEENS1_30default_config_static_selectorELNS0_4arch9wavefront6targetE1EEEvSY_
		.amdhsa_group_segment_fixed_size 0
		.amdhsa_private_segment_fixed_size 0
		.amdhsa_kernarg_size 144
		.amdhsa_user_sgpr_count 6
		.amdhsa_user_sgpr_private_segment_buffer 1
		.amdhsa_user_sgpr_dispatch_ptr 0
		.amdhsa_user_sgpr_queue_ptr 0
		.amdhsa_user_sgpr_kernarg_segment_ptr 1
		.amdhsa_user_sgpr_dispatch_id 0
		.amdhsa_user_sgpr_flat_scratch_init 0
		.amdhsa_user_sgpr_private_segment_size 0
		.amdhsa_uses_dynamic_stack 0
		.amdhsa_system_sgpr_private_segment_wavefront_offset 0
		.amdhsa_system_sgpr_workgroup_id_x 1
		.amdhsa_system_sgpr_workgroup_id_y 0
		.amdhsa_system_sgpr_workgroup_id_z 0
		.amdhsa_system_sgpr_workgroup_info 0
		.amdhsa_system_vgpr_workitem_id 0
		.amdhsa_next_free_vgpr 1
		.amdhsa_next_free_sgpr 0
		.amdhsa_reserve_vcc 0
		.amdhsa_reserve_flat_scratch 0
		.amdhsa_float_round_mode_32 0
		.amdhsa_float_round_mode_16_64 0
		.amdhsa_float_denorm_mode_32 3
		.amdhsa_float_denorm_mode_16_64 3
		.amdhsa_dx10_clamp 1
		.amdhsa_ieee_mode 1
		.amdhsa_fp16_overflow 0
		.amdhsa_exception_fp_ieee_invalid_op 0
		.amdhsa_exception_fp_denorm_src 0
		.amdhsa_exception_fp_ieee_div_zero 0
		.amdhsa_exception_fp_ieee_overflow 0
		.amdhsa_exception_fp_ieee_underflow 0
		.amdhsa_exception_fp_ieee_inexact 0
		.amdhsa_exception_int_div_zero 0
	.end_amdhsa_kernel
	.section	.text._ZN7rocprim17ROCPRIM_400000_NS6detail17trampoline_kernelINS0_13select_configILj256ELj13ELNS0_17block_load_methodE3ELS4_3ELS4_3ELNS0_20block_scan_algorithmE0ELj4294967295EEENS1_25partition_config_selectorILNS1_17partition_subalgoE3EjNS0_10empty_typeEbEEZZNS1_14partition_implILS8_3ELb0ES6_jNS0_17counting_iteratorIjlEEPS9_SE_NS0_5tupleIJPjSE_EEENSF_IJSE_SE_EEES9_SG_JZNS1_25segmented_radix_sort_implINS0_14default_configELb1EPKiPiPKlPlN2at6native12_GLOBAL__N_18offset_tEEE10hipError_tPvRmT1_PNSt15iterator_traitsISY_E10value_typeET2_T3_PNSZ_IS14_E10value_typeET4_jRbjT5_S1A_jjP12ihipStream_tbEUljE_EEESV_SW_SX_S14_S18_S1A_T6_T7_T9_mT8_S1C_bDpT10_ENKUlT_T0_E_clISt17integral_constantIbLb0EES1P_EEDaS1K_S1L_EUlS1K_E_NS1_11comp_targetILNS1_3genE4ELNS1_11target_archE910ELNS1_3gpuE8ELNS1_3repE0EEENS1_30default_config_static_selectorELNS0_4arch9wavefront6targetE1EEEvSY_,"axG",@progbits,_ZN7rocprim17ROCPRIM_400000_NS6detail17trampoline_kernelINS0_13select_configILj256ELj13ELNS0_17block_load_methodE3ELS4_3ELS4_3ELNS0_20block_scan_algorithmE0ELj4294967295EEENS1_25partition_config_selectorILNS1_17partition_subalgoE3EjNS0_10empty_typeEbEEZZNS1_14partition_implILS8_3ELb0ES6_jNS0_17counting_iteratorIjlEEPS9_SE_NS0_5tupleIJPjSE_EEENSF_IJSE_SE_EEES9_SG_JZNS1_25segmented_radix_sort_implINS0_14default_configELb1EPKiPiPKlPlN2at6native12_GLOBAL__N_18offset_tEEE10hipError_tPvRmT1_PNSt15iterator_traitsISY_E10value_typeET2_T3_PNSZ_IS14_E10value_typeET4_jRbjT5_S1A_jjP12ihipStream_tbEUljE_EEESV_SW_SX_S14_S18_S1A_T6_T7_T9_mT8_S1C_bDpT10_ENKUlT_T0_E_clISt17integral_constantIbLb0EES1P_EEDaS1K_S1L_EUlS1K_E_NS1_11comp_targetILNS1_3genE4ELNS1_11target_archE910ELNS1_3gpuE8ELNS1_3repE0EEENS1_30default_config_static_selectorELNS0_4arch9wavefront6targetE1EEEvSY_,comdat
.Lfunc_end467:
	.size	_ZN7rocprim17ROCPRIM_400000_NS6detail17trampoline_kernelINS0_13select_configILj256ELj13ELNS0_17block_load_methodE3ELS4_3ELS4_3ELNS0_20block_scan_algorithmE0ELj4294967295EEENS1_25partition_config_selectorILNS1_17partition_subalgoE3EjNS0_10empty_typeEbEEZZNS1_14partition_implILS8_3ELb0ES6_jNS0_17counting_iteratorIjlEEPS9_SE_NS0_5tupleIJPjSE_EEENSF_IJSE_SE_EEES9_SG_JZNS1_25segmented_radix_sort_implINS0_14default_configELb1EPKiPiPKlPlN2at6native12_GLOBAL__N_18offset_tEEE10hipError_tPvRmT1_PNSt15iterator_traitsISY_E10value_typeET2_T3_PNSZ_IS14_E10value_typeET4_jRbjT5_S1A_jjP12ihipStream_tbEUljE_EEESV_SW_SX_S14_S18_S1A_T6_T7_T9_mT8_S1C_bDpT10_ENKUlT_T0_E_clISt17integral_constantIbLb0EES1P_EEDaS1K_S1L_EUlS1K_E_NS1_11comp_targetILNS1_3genE4ELNS1_11target_archE910ELNS1_3gpuE8ELNS1_3repE0EEENS1_30default_config_static_selectorELNS0_4arch9wavefront6targetE1EEEvSY_, .Lfunc_end467-_ZN7rocprim17ROCPRIM_400000_NS6detail17trampoline_kernelINS0_13select_configILj256ELj13ELNS0_17block_load_methodE3ELS4_3ELS4_3ELNS0_20block_scan_algorithmE0ELj4294967295EEENS1_25partition_config_selectorILNS1_17partition_subalgoE3EjNS0_10empty_typeEbEEZZNS1_14partition_implILS8_3ELb0ES6_jNS0_17counting_iteratorIjlEEPS9_SE_NS0_5tupleIJPjSE_EEENSF_IJSE_SE_EEES9_SG_JZNS1_25segmented_radix_sort_implINS0_14default_configELb1EPKiPiPKlPlN2at6native12_GLOBAL__N_18offset_tEEE10hipError_tPvRmT1_PNSt15iterator_traitsISY_E10value_typeET2_T3_PNSZ_IS14_E10value_typeET4_jRbjT5_S1A_jjP12ihipStream_tbEUljE_EEESV_SW_SX_S14_S18_S1A_T6_T7_T9_mT8_S1C_bDpT10_ENKUlT_T0_E_clISt17integral_constantIbLb0EES1P_EEDaS1K_S1L_EUlS1K_E_NS1_11comp_targetILNS1_3genE4ELNS1_11target_archE910ELNS1_3gpuE8ELNS1_3repE0EEENS1_30default_config_static_selectorELNS0_4arch9wavefront6targetE1EEEvSY_
                                        ; -- End function
	.set _ZN7rocprim17ROCPRIM_400000_NS6detail17trampoline_kernelINS0_13select_configILj256ELj13ELNS0_17block_load_methodE3ELS4_3ELS4_3ELNS0_20block_scan_algorithmE0ELj4294967295EEENS1_25partition_config_selectorILNS1_17partition_subalgoE3EjNS0_10empty_typeEbEEZZNS1_14partition_implILS8_3ELb0ES6_jNS0_17counting_iteratorIjlEEPS9_SE_NS0_5tupleIJPjSE_EEENSF_IJSE_SE_EEES9_SG_JZNS1_25segmented_radix_sort_implINS0_14default_configELb1EPKiPiPKlPlN2at6native12_GLOBAL__N_18offset_tEEE10hipError_tPvRmT1_PNSt15iterator_traitsISY_E10value_typeET2_T3_PNSZ_IS14_E10value_typeET4_jRbjT5_S1A_jjP12ihipStream_tbEUljE_EEESV_SW_SX_S14_S18_S1A_T6_T7_T9_mT8_S1C_bDpT10_ENKUlT_T0_E_clISt17integral_constantIbLb0EES1P_EEDaS1K_S1L_EUlS1K_E_NS1_11comp_targetILNS1_3genE4ELNS1_11target_archE910ELNS1_3gpuE8ELNS1_3repE0EEENS1_30default_config_static_selectorELNS0_4arch9wavefront6targetE1EEEvSY_.num_vgpr, 0
	.set _ZN7rocprim17ROCPRIM_400000_NS6detail17trampoline_kernelINS0_13select_configILj256ELj13ELNS0_17block_load_methodE3ELS4_3ELS4_3ELNS0_20block_scan_algorithmE0ELj4294967295EEENS1_25partition_config_selectorILNS1_17partition_subalgoE3EjNS0_10empty_typeEbEEZZNS1_14partition_implILS8_3ELb0ES6_jNS0_17counting_iteratorIjlEEPS9_SE_NS0_5tupleIJPjSE_EEENSF_IJSE_SE_EEES9_SG_JZNS1_25segmented_radix_sort_implINS0_14default_configELb1EPKiPiPKlPlN2at6native12_GLOBAL__N_18offset_tEEE10hipError_tPvRmT1_PNSt15iterator_traitsISY_E10value_typeET2_T3_PNSZ_IS14_E10value_typeET4_jRbjT5_S1A_jjP12ihipStream_tbEUljE_EEESV_SW_SX_S14_S18_S1A_T6_T7_T9_mT8_S1C_bDpT10_ENKUlT_T0_E_clISt17integral_constantIbLb0EES1P_EEDaS1K_S1L_EUlS1K_E_NS1_11comp_targetILNS1_3genE4ELNS1_11target_archE910ELNS1_3gpuE8ELNS1_3repE0EEENS1_30default_config_static_selectorELNS0_4arch9wavefront6targetE1EEEvSY_.num_agpr, 0
	.set _ZN7rocprim17ROCPRIM_400000_NS6detail17trampoline_kernelINS0_13select_configILj256ELj13ELNS0_17block_load_methodE3ELS4_3ELS4_3ELNS0_20block_scan_algorithmE0ELj4294967295EEENS1_25partition_config_selectorILNS1_17partition_subalgoE3EjNS0_10empty_typeEbEEZZNS1_14partition_implILS8_3ELb0ES6_jNS0_17counting_iteratorIjlEEPS9_SE_NS0_5tupleIJPjSE_EEENSF_IJSE_SE_EEES9_SG_JZNS1_25segmented_radix_sort_implINS0_14default_configELb1EPKiPiPKlPlN2at6native12_GLOBAL__N_18offset_tEEE10hipError_tPvRmT1_PNSt15iterator_traitsISY_E10value_typeET2_T3_PNSZ_IS14_E10value_typeET4_jRbjT5_S1A_jjP12ihipStream_tbEUljE_EEESV_SW_SX_S14_S18_S1A_T6_T7_T9_mT8_S1C_bDpT10_ENKUlT_T0_E_clISt17integral_constantIbLb0EES1P_EEDaS1K_S1L_EUlS1K_E_NS1_11comp_targetILNS1_3genE4ELNS1_11target_archE910ELNS1_3gpuE8ELNS1_3repE0EEENS1_30default_config_static_selectorELNS0_4arch9wavefront6targetE1EEEvSY_.numbered_sgpr, 0
	.set _ZN7rocprim17ROCPRIM_400000_NS6detail17trampoline_kernelINS0_13select_configILj256ELj13ELNS0_17block_load_methodE3ELS4_3ELS4_3ELNS0_20block_scan_algorithmE0ELj4294967295EEENS1_25partition_config_selectorILNS1_17partition_subalgoE3EjNS0_10empty_typeEbEEZZNS1_14partition_implILS8_3ELb0ES6_jNS0_17counting_iteratorIjlEEPS9_SE_NS0_5tupleIJPjSE_EEENSF_IJSE_SE_EEES9_SG_JZNS1_25segmented_radix_sort_implINS0_14default_configELb1EPKiPiPKlPlN2at6native12_GLOBAL__N_18offset_tEEE10hipError_tPvRmT1_PNSt15iterator_traitsISY_E10value_typeET2_T3_PNSZ_IS14_E10value_typeET4_jRbjT5_S1A_jjP12ihipStream_tbEUljE_EEESV_SW_SX_S14_S18_S1A_T6_T7_T9_mT8_S1C_bDpT10_ENKUlT_T0_E_clISt17integral_constantIbLb0EES1P_EEDaS1K_S1L_EUlS1K_E_NS1_11comp_targetILNS1_3genE4ELNS1_11target_archE910ELNS1_3gpuE8ELNS1_3repE0EEENS1_30default_config_static_selectorELNS0_4arch9wavefront6targetE1EEEvSY_.num_named_barrier, 0
	.set _ZN7rocprim17ROCPRIM_400000_NS6detail17trampoline_kernelINS0_13select_configILj256ELj13ELNS0_17block_load_methodE3ELS4_3ELS4_3ELNS0_20block_scan_algorithmE0ELj4294967295EEENS1_25partition_config_selectorILNS1_17partition_subalgoE3EjNS0_10empty_typeEbEEZZNS1_14partition_implILS8_3ELb0ES6_jNS0_17counting_iteratorIjlEEPS9_SE_NS0_5tupleIJPjSE_EEENSF_IJSE_SE_EEES9_SG_JZNS1_25segmented_radix_sort_implINS0_14default_configELb1EPKiPiPKlPlN2at6native12_GLOBAL__N_18offset_tEEE10hipError_tPvRmT1_PNSt15iterator_traitsISY_E10value_typeET2_T3_PNSZ_IS14_E10value_typeET4_jRbjT5_S1A_jjP12ihipStream_tbEUljE_EEESV_SW_SX_S14_S18_S1A_T6_T7_T9_mT8_S1C_bDpT10_ENKUlT_T0_E_clISt17integral_constantIbLb0EES1P_EEDaS1K_S1L_EUlS1K_E_NS1_11comp_targetILNS1_3genE4ELNS1_11target_archE910ELNS1_3gpuE8ELNS1_3repE0EEENS1_30default_config_static_selectorELNS0_4arch9wavefront6targetE1EEEvSY_.private_seg_size, 0
	.set _ZN7rocprim17ROCPRIM_400000_NS6detail17trampoline_kernelINS0_13select_configILj256ELj13ELNS0_17block_load_methodE3ELS4_3ELS4_3ELNS0_20block_scan_algorithmE0ELj4294967295EEENS1_25partition_config_selectorILNS1_17partition_subalgoE3EjNS0_10empty_typeEbEEZZNS1_14partition_implILS8_3ELb0ES6_jNS0_17counting_iteratorIjlEEPS9_SE_NS0_5tupleIJPjSE_EEENSF_IJSE_SE_EEES9_SG_JZNS1_25segmented_radix_sort_implINS0_14default_configELb1EPKiPiPKlPlN2at6native12_GLOBAL__N_18offset_tEEE10hipError_tPvRmT1_PNSt15iterator_traitsISY_E10value_typeET2_T3_PNSZ_IS14_E10value_typeET4_jRbjT5_S1A_jjP12ihipStream_tbEUljE_EEESV_SW_SX_S14_S18_S1A_T6_T7_T9_mT8_S1C_bDpT10_ENKUlT_T0_E_clISt17integral_constantIbLb0EES1P_EEDaS1K_S1L_EUlS1K_E_NS1_11comp_targetILNS1_3genE4ELNS1_11target_archE910ELNS1_3gpuE8ELNS1_3repE0EEENS1_30default_config_static_selectorELNS0_4arch9wavefront6targetE1EEEvSY_.uses_vcc, 0
	.set _ZN7rocprim17ROCPRIM_400000_NS6detail17trampoline_kernelINS0_13select_configILj256ELj13ELNS0_17block_load_methodE3ELS4_3ELS4_3ELNS0_20block_scan_algorithmE0ELj4294967295EEENS1_25partition_config_selectorILNS1_17partition_subalgoE3EjNS0_10empty_typeEbEEZZNS1_14partition_implILS8_3ELb0ES6_jNS0_17counting_iteratorIjlEEPS9_SE_NS0_5tupleIJPjSE_EEENSF_IJSE_SE_EEES9_SG_JZNS1_25segmented_radix_sort_implINS0_14default_configELb1EPKiPiPKlPlN2at6native12_GLOBAL__N_18offset_tEEE10hipError_tPvRmT1_PNSt15iterator_traitsISY_E10value_typeET2_T3_PNSZ_IS14_E10value_typeET4_jRbjT5_S1A_jjP12ihipStream_tbEUljE_EEESV_SW_SX_S14_S18_S1A_T6_T7_T9_mT8_S1C_bDpT10_ENKUlT_T0_E_clISt17integral_constantIbLb0EES1P_EEDaS1K_S1L_EUlS1K_E_NS1_11comp_targetILNS1_3genE4ELNS1_11target_archE910ELNS1_3gpuE8ELNS1_3repE0EEENS1_30default_config_static_selectorELNS0_4arch9wavefront6targetE1EEEvSY_.uses_flat_scratch, 0
	.set _ZN7rocprim17ROCPRIM_400000_NS6detail17trampoline_kernelINS0_13select_configILj256ELj13ELNS0_17block_load_methodE3ELS4_3ELS4_3ELNS0_20block_scan_algorithmE0ELj4294967295EEENS1_25partition_config_selectorILNS1_17partition_subalgoE3EjNS0_10empty_typeEbEEZZNS1_14partition_implILS8_3ELb0ES6_jNS0_17counting_iteratorIjlEEPS9_SE_NS0_5tupleIJPjSE_EEENSF_IJSE_SE_EEES9_SG_JZNS1_25segmented_radix_sort_implINS0_14default_configELb1EPKiPiPKlPlN2at6native12_GLOBAL__N_18offset_tEEE10hipError_tPvRmT1_PNSt15iterator_traitsISY_E10value_typeET2_T3_PNSZ_IS14_E10value_typeET4_jRbjT5_S1A_jjP12ihipStream_tbEUljE_EEESV_SW_SX_S14_S18_S1A_T6_T7_T9_mT8_S1C_bDpT10_ENKUlT_T0_E_clISt17integral_constantIbLb0EES1P_EEDaS1K_S1L_EUlS1K_E_NS1_11comp_targetILNS1_3genE4ELNS1_11target_archE910ELNS1_3gpuE8ELNS1_3repE0EEENS1_30default_config_static_selectorELNS0_4arch9wavefront6targetE1EEEvSY_.has_dyn_sized_stack, 0
	.set _ZN7rocprim17ROCPRIM_400000_NS6detail17trampoline_kernelINS0_13select_configILj256ELj13ELNS0_17block_load_methodE3ELS4_3ELS4_3ELNS0_20block_scan_algorithmE0ELj4294967295EEENS1_25partition_config_selectorILNS1_17partition_subalgoE3EjNS0_10empty_typeEbEEZZNS1_14partition_implILS8_3ELb0ES6_jNS0_17counting_iteratorIjlEEPS9_SE_NS0_5tupleIJPjSE_EEENSF_IJSE_SE_EEES9_SG_JZNS1_25segmented_radix_sort_implINS0_14default_configELb1EPKiPiPKlPlN2at6native12_GLOBAL__N_18offset_tEEE10hipError_tPvRmT1_PNSt15iterator_traitsISY_E10value_typeET2_T3_PNSZ_IS14_E10value_typeET4_jRbjT5_S1A_jjP12ihipStream_tbEUljE_EEESV_SW_SX_S14_S18_S1A_T6_T7_T9_mT8_S1C_bDpT10_ENKUlT_T0_E_clISt17integral_constantIbLb0EES1P_EEDaS1K_S1L_EUlS1K_E_NS1_11comp_targetILNS1_3genE4ELNS1_11target_archE910ELNS1_3gpuE8ELNS1_3repE0EEENS1_30default_config_static_selectorELNS0_4arch9wavefront6targetE1EEEvSY_.has_recursion, 0
	.set _ZN7rocprim17ROCPRIM_400000_NS6detail17trampoline_kernelINS0_13select_configILj256ELj13ELNS0_17block_load_methodE3ELS4_3ELS4_3ELNS0_20block_scan_algorithmE0ELj4294967295EEENS1_25partition_config_selectorILNS1_17partition_subalgoE3EjNS0_10empty_typeEbEEZZNS1_14partition_implILS8_3ELb0ES6_jNS0_17counting_iteratorIjlEEPS9_SE_NS0_5tupleIJPjSE_EEENSF_IJSE_SE_EEES9_SG_JZNS1_25segmented_radix_sort_implINS0_14default_configELb1EPKiPiPKlPlN2at6native12_GLOBAL__N_18offset_tEEE10hipError_tPvRmT1_PNSt15iterator_traitsISY_E10value_typeET2_T3_PNSZ_IS14_E10value_typeET4_jRbjT5_S1A_jjP12ihipStream_tbEUljE_EEESV_SW_SX_S14_S18_S1A_T6_T7_T9_mT8_S1C_bDpT10_ENKUlT_T0_E_clISt17integral_constantIbLb0EES1P_EEDaS1K_S1L_EUlS1K_E_NS1_11comp_targetILNS1_3genE4ELNS1_11target_archE910ELNS1_3gpuE8ELNS1_3repE0EEENS1_30default_config_static_selectorELNS0_4arch9wavefront6targetE1EEEvSY_.has_indirect_call, 0
	.section	.AMDGPU.csdata,"",@progbits
; Kernel info:
; codeLenInByte = 0
; TotalNumSgprs: 4
; NumVgprs: 0
; ScratchSize: 0
; MemoryBound: 0
; FloatMode: 240
; IeeeMode: 1
; LDSByteSize: 0 bytes/workgroup (compile time only)
; SGPRBlocks: 0
; VGPRBlocks: 0
; NumSGPRsForWavesPerEU: 4
; NumVGPRsForWavesPerEU: 1
; Occupancy: 10
; WaveLimiterHint : 0
; COMPUTE_PGM_RSRC2:SCRATCH_EN: 0
; COMPUTE_PGM_RSRC2:USER_SGPR: 6
; COMPUTE_PGM_RSRC2:TRAP_HANDLER: 0
; COMPUTE_PGM_RSRC2:TGID_X_EN: 1
; COMPUTE_PGM_RSRC2:TGID_Y_EN: 0
; COMPUTE_PGM_RSRC2:TGID_Z_EN: 0
; COMPUTE_PGM_RSRC2:TIDIG_COMP_CNT: 0
	.section	.text._ZN7rocprim17ROCPRIM_400000_NS6detail17trampoline_kernelINS0_13select_configILj256ELj13ELNS0_17block_load_methodE3ELS4_3ELS4_3ELNS0_20block_scan_algorithmE0ELj4294967295EEENS1_25partition_config_selectorILNS1_17partition_subalgoE3EjNS0_10empty_typeEbEEZZNS1_14partition_implILS8_3ELb0ES6_jNS0_17counting_iteratorIjlEEPS9_SE_NS0_5tupleIJPjSE_EEENSF_IJSE_SE_EEES9_SG_JZNS1_25segmented_radix_sort_implINS0_14default_configELb1EPKiPiPKlPlN2at6native12_GLOBAL__N_18offset_tEEE10hipError_tPvRmT1_PNSt15iterator_traitsISY_E10value_typeET2_T3_PNSZ_IS14_E10value_typeET4_jRbjT5_S1A_jjP12ihipStream_tbEUljE_EEESV_SW_SX_S14_S18_S1A_T6_T7_T9_mT8_S1C_bDpT10_ENKUlT_T0_E_clISt17integral_constantIbLb0EES1P_EEDaS1K_S1L_EUlS1K_E_NS1_11comp_targetILNS1_3genE3ELNS1_11target_archE908ELNS1_3gpuE7ELNS1_3repE0EEENS1_30default_config_static_selectorELNS0_4arch9wavefront6targetE1EEEvSY_,"axG",@progbits,_ZN7rocprim17ROCPRIM_400000_NS6detail17trampoline_kernelINS0_13select_configILj256ELj13ELNS0_17block_load_methodE3ELS4_3ELS4_3ELNS0_20block_scan_algorithmE0ELj4294967295EEENS1_25partition_config_selectorILNS1_17partition_subalgoE3EjNS0_10empty_typeEbEEZZNS1_14partition_implILS8_3ELb0ES6_jNS0_17counting_iteratorIjlEEPS9_SE_NS0_5tupleIJPjSE_EEENSF_IJSE_SE_EEES9_SG_JZNS1_25segmented_radix_sort_implINS0_14default_configELb1EPKiPiPKlPlN2at6native12_GLOBAL__N_18offset_tEEE10hipError_tPvRmT1_PNSt15iterator_traitsISY_E10value_typeET2_T3_PNSZ_IS14_E10value_typeET4_jRbjT5_S1A_jjP12ihipStream_tbEUljE_EEESV_SW_SX_S14_S18_S1A_T6_T7_T9_mT8_S1C_bDpT10_ENKUlT_T0_E_clISt17integral_constantIbLb0EES1P_EEDaS1K_S1L_EUlS1K_E_NS1_11comp_targetILNS1_3genE3ELNS1_11target_archE908ELNS1_3gpuE7ELNS1_3repE0EEENS1_30default_config_static_selectorELNS0_4arch9wavefront6targetE1EEEvSY_,comdat
	.globl	_ZN7rocprim17ROCPRIM_400000_NS6detail17trampoline_kernelINS0_13select_configILj256ELj13ELNS0_17block_load_methodE3ELS4_3ELS4_3ELNS0_20block_scan_algorithmE0ELj4294967295EEENS1_25partition_config_selectorILNS1_17partition_subalgoE3EjNS0_10empty_typeEbEEZZNS1_14partition_implILS8_3ELb0ES6_jNS0_17counting_iteratorIjlEEPS9_SE_NS0_5tupleIJPjSE_EEENSF_IJSE_SE_EEES9_SG_JZNS1_25segmented_radix_sort_implINS0_14default_configELb1EPKiPiPKlPlN2at6native12_GLOBAL__N_18offset_tEEE10hipError_tPvRmT1_PNSt15iterator_traitsISY_E10value_typeET2_T3_PNSZ_IS14_E10value_typeET4_jRbjT5_S1A_jjP12ihipStream_tbEUljE_EEESV_SW_SX_S14_S18_S1A_T6_T7_T9_mT8_S1C_bDpT10_ENKUlT_T0_E_clISt17integral_constantIbLb0EES1P_EEDaS1K_S1L_EUlS1K_E_NS1_11comp_targetILNS1_3genE3ELNS1_11target_archE908ELNS1_3gpuE7ELNS1_3repE0EEENS1_30default_config_static_selectorELNS0_4arch9wavefront6targetE1EEEvSY_ ; -- Begin function _ZN7rocprim17ROCPRIM_400000_NS6detail17trampoline_kernelINS0_13select_configILj256ELj13ELNS0_17block_load_methodE3ELS4_3ELS4_3ELNS0_20block_scan_algorithmE0ELj4294967295EEENS1_25partition_config_selectorILNS1_17partition_subalgoE3EjNS0_10empty_typeEbEEZZNS1_14partition_implILS8_3ELb0ES6_jNS0_17counting_iteratorIjlEEPS9_SE_NS0_5tupleIJPjSE_EEENSF_IJSE_SE_EEES9_SG_JZNS1_25segmented_radix_sort_implINS0_14default_configELb1EPKiPiPKlPlN2at6native12_GLOBAL__N_18offset_tEEE10hipError_tPvRmT1_PNSt15iterator_traitsISY_E10value_typeET2_T3_PNSZ_IS14_E10value_typeET4_jRbjT5_S1A_jjP12ihipStream_tbEUljE_EEESV_SW_SX_S14_S18_S1A_T6_T7_T9_mT8_S1C_bDpT10_ENKUlT_T0_E_clISt17integral_constantIbLb0EES1P_EEDaS1K_S1L_EUlS1K_E_NS1_11comp_targetILNS1_3genE3ELNS1_11target_archE908ELNS1_3gpuE7ELNS1_3repE0EEENS1_30default_config_static_selectorELNS0_4arch9wavefront6targetE1EEEvSY_
	.p2align	8
	.type	_ZN7rocprim17ROCPRIM_400000_NS6detail17trampoline_kernelINS0_13select_configILj256ELj13ELNS0_17block_load_methodE3ELS4_3ELS4_3ELNS0_20block_scan_algorithmE0ELj4294967295EEENS1_25partition_config_selectorILNS1_17partition_subalgoE3EjNS0_10empty_typeEbEEZZNS1_14partition_implILS8_3ELb0ES6_jNS0_17counting_iteratorIjlEEPS9_SE_NS0_5tupleIJPjSE_EEENSF_IJSE_SE_EEES9_SG_JZNS1_25segmented_radix_sort_implINS0_14default_configELb1EPKiPiPKlPlN2at6native12_GLOBAL__N_18offset_tEEE10hipError_tPvRmT1_PNSt15iterator_traitsISY_E10value_typeET2_T3_PNSZ_IS14_E10value_typeET4_jRbjT5_S1A_jjP12ihipStream_tbEUljE_EEESV_SW_SX_S14_S18_S1A_T6_T7_T9_mT8_S1C_bDpT10_ENKUlT_T0_E_clISt17integral_constantIbLb0EES1P_EEDaS1K_S1L_EUlS1K_E_NS1_11comp_targetILNS1_3genE3ELNS1_11target_archE908ELNS1_3gpuE7ELNS1_3repE0EEENS1_30default_config_static_selectorELNS0_4arch9wavefront6targetE1EEEvSY_,@function
_ZN7rocprim17ROCPRIM_400000_NS6detail17trampoline_kernelINS0_13select_configILj256ELj13ELNS0_17block_load_methodE3ELS4_3ELS4_3ELNS0_20block_scan_algorithmE0ELj4294967295EEENS1_25partition_config_selectorILNS1_17partition_subalgoE3EjNS0_10empty_typeEbEEZZNS1_14partition_implILS8_3ELb0ES6_jNS0_17counting_iteratorIjlEEPS9_SE_NS0_5tupleIJPjSE_EEENSF_IJSE_SE_EEES9_SG_JZNS1_25segmented_radix_sort_implINS0_14default_configELb1EPKiPiPKlPlN2at6native12_GLOBAL__N_18offset_tEEE10hipError_tPvRmT1_PNSt15iterator_traitsISY_E10value_typeET2_T3_PNSZ_IS14_E10value_typeET4_jRbjT5_S1A_jjP12ihipStream_tbEUljE_EEESV_SW_SX_S14_S18_S1A_T6_T7_T9_mT8_S1C_bDpT10_ENKUlT_T0_E_clISt17integral_constantIbLb0EES1P_EEDaS1K_S1L_EUlS1K_E_NS1_11comp_targetILNS1_3genE3ELNS1_11target_archE908ELNS1_3gpuE7ELNS1_3repE0EEENS1_30default_config_static_selectorELNS0_4arch9wavefront6targetE1EEEvSY_: ; @_ZN7rocprim17ROCPRIM_400000_NS6detail17trampoline_kernelINS0_13select_configILj256ELj13ELNS0_17block_load_methodE3ELS4_3ELS4_3ELNS0_20block_scan_algorithmE0ELj4294967295EEENS1_25partition_config_selectorILNS1_17partition_subalgoE3EjNS0_10empty_typeEbEEZZNS1_14partition_implILS8_3ELb0ES6_jNS0_17counting_iteratorIjlEEPS9_SE_NS0_5tupleIJPjSE_EEENSF_IJSE_SE_EEES9_SG_JZNS1_25segmented_radix_sort_implINS0_14default_configELb1EPKiPiPKlPlN2at6native12_GLOBAL__N_18offset_tEEE10hipError_tPvRmT1_PNSt15iterator_traitsISY_E10value_typeET2_T3_PNSZ_IS14_E10value_typeET4_jRbjT5_S1A_jjP12ihipStream_tbEUljE_EEESV_SW_SX_S14_S18_S1A_T6_T7_T9_mT8_S1C_bDpT10_ENKUlT_T0_E_clISt17integral_constantIbLb0EES1P_EEDaS1K_S1L_EUlS1K_E_NS1_11comp_targetILNS1_3genE3ELNS1_11target_archE908ELNS1_3gpuE7ELNS1_3repE0EEENS1_30default_config_static_selectorELNS0_4arch9wavefront6targetE1EEEvSY_
; %bb.0:
	.section	.rodata,"a",@progbits
	.p2align	6, 0x0
	.amdhsa_kernel _ZN7rocprim17ROCPRIM_400000_NS6detail17trampoline_kernelINS0_13select_configILj256ELj13ELNS0_17block_load_methodE3ELS4_3ELS4_3ELNS0_20block_scan_algorithmE0ELj4294967295EEENS1_25partition_config_selectorILNS1_17partition_subalgoE3EjNS0_10empty_typeEbEEZZNS1_14partition_implILS8_3ELb0ES6_jNS0_17counting_iteratorIjlEEPS9_SE_NS0_5tupleIJPjSE_EEENSF_IJSE_SE_EEES9_SG_JZNS1_25segmented_radix_sort_implINS0_14default_configELb1EPKiPiPKlPlN2at6native12_GLOBAL__N_18offset_tEEE10hipError_tPvRmT1_PNSt15iterator_traitsISY_E10value_typeET2_T3_PNSZ_IS14_E10value_typeET4_jRbjT5_S1A_jjP12ihipStream_tbEUljE_EEESV_SW_SX_S14_S18_S1A_T6_T7_T9_mT8_S1C_bDpT10_ENKUlT_T0_E_clISt17integral_constantIbLb0EES1P_EEDaS1K_S1L_EUlS1K_E_NS1_11comp_targetILNS1_3genE3ELNS1_11target_archE908ELNS1_3gpuE7ELNS1_3repE0EEENS1_30default_config_static_selectorELNS0_4arch9wavefront6targetE1EEEvSY_
		.amdhsa_group_segment_fixed_size 0
		.amdhsa_private_segment_fixed_size 0
		.amdhsa_kernarg_size 144
		.amdhsa_user_sgpr_count 6
		.amdhsa_user_sgpr_private_segment_buffer 1
		.amdhsa_user_sgpr_dispatch_ptr 0
		.amdhsa_user_sgpr_queue_ptr 0
		.amdhsa_user_sgpr_kernarg_segment_ptr 1
		.amdhsa_user_sgpr_dispatch_id 0
		.amdhsa_user_sgpr_flat_scratch_init 0
		.amdhsa_user_sgpr_private_segment_size 0
		.amdhsa_uses_dynamic_stack 0
		.amdhsa_system_sgpr_private_segment_wavefront_offset 0
		.amdhsa_system_sgpr_workgroup_id_x 1
		.amdhsa_system_sgpr_workgroup_id_y 0
		.amdhsa_system_sgpr_workgroup_id_z 0
		.amdhsa_system_sgpr_workgroup_info 0
		.amdhsa_system_vgpr_workitem_id 0
		.amdhsa_next_free_vgpr 1
		.amdhsa_next_free_sgpr 0
		.amdhsa_reserve_vcc 0
		.amdhsa_reserve_flat_scratch 0
		.amdhsa_float_round_mode_32 0
		.amdhsa_float_round_mode_16_64 0
		.amdhsa_float_denorm_mode_32 3
		.amdhsa_float_denorm_mode_16_64 3
		.amdhsa_dx10_clamp 1
		.amdhsa_ieee_mode 1
		.amdhsa_fp16_overflow 0
		.amdhsa_exception_fp_ieee_invalid_op 0
		.amdhsa_exception_fp_denorm_src 0
		.amdhsa_exception_fp_ieee_div_zero 0
		.amdhsa_exception_fp_ieee_overflow 0
		.amdhsa_exception_fp_ieee_underflow 0
		.amdhsa_exception_fp_ieee_inexact 0
		.amdhsa_exception_int_div_zero 0
	.end_amdhsa_kernel
	.section	.text._ZN7rocprim17ROCPRIM_400000_NS6detail17trampoline_kernelINS0_13select_configILj256ELj13ELNS0_17block_load_methodE3ELS4_3ELS4_3ELNS0_20block_scan_algorithmE0ELj4294967295EEENS1_25partition_config_selectorILNS1_17partition_subalgoE3EjNS0_10empty_typeEbEEZZNS1_14partition_implILS8_3ELb0ES6_jNS0_17counting_iteratorIjlEEPS9_SE_NS0_5tupleIJPjSE_EEENSF_IJSE_SE_EEES9_SG_JZNS1_25segmented_radix_sort_implINS0_14default_configELb1EPKiPiPKlPlN2at6native12_GLOBAL__N_18offset_tEEE10hipError_tPvRmT1_PNSt15iterator_traitsISY_E10value_typeET2_T3_PNSZ_IS14_E10value_typeET4_jRbjT5_S1A_jjP12ihipStream_tbEUljE_EEESV_SW_SX_S14_S18_S1A_T6_T7_T9_mT8_S1C_bDpT10_ENKUlT_T0_E_clISt17integral_constantIbLb0EES1P_EEDaS1K_S1L_EUlS1K_E_NS1_11comp_targetILNS1_3genE3ELNS1_11target_archE908ELNS1_3gpuE7ELNS1_3repE0EEENS1_30default_config_static_selectorELNS0_4arch9wavefront6targetE1EEEvSY_,"axG",@progbits,_ZN7rocprim17ROCPRIM_400000_NS6detail17trampoline_kernelINS0_13select_configILj256ELj13ELNS0_17block_load_methodE3ELS4_3ELS4_3ELNS0_20block_scan_algorithmE0ELj4294967295EEENS1_25partition_config_selectorILNS1_17partition_subalgoE3EjNS0_10empty_typeEbEEZZNS1_14partition_implILS8_3ELb0ES6_jNS0_17counting_iteratorIjlEEPS9_SE_NS0_5tupleIJPjSE_EEENSF_IJSE_SE_EEES9_SG_JZNS1_25segmented_radix_sort_implINS0_14default_configELb1EPKiPiPKlPlN2at6native12_GLOBAL__N_18offset_tEEE10hipError_tPvRmT1_PNSt15iterator_traitsISY_E10value_typeET2_T3_PNSZ_IS14_E10value_typeET4_jRbjT5_S1A_jjP12ihipStream_tbEUljE_EEESV_SW_SX_S14_S18_S1A_T6_T7_T9_mT8_S1C_bDpT10_ENKUlT_T0_E_clISt17integral_constantIbLb0EES1P_EEDaS1K_S1L_EUlS1K_E_NS1_11comp_targetILNS1_3genE3ELNS1_11target_archE908ELNS1_3gpuE7ELNS1_3repE0EEENS1_30default_config_static_selectorELNS0_4arch9wavefront6targetE1EEEvSY_,comdat
.Lfunc_end468:
	.size	_ZN7rocprim17ROCPRIM_400000_NS6detail17trampoline_kernelINS0_13select_configILj256ELj13ELNS0_17block_load_methodE3ELS4_3ELS4_3ELNS0_20block_scan_algorithmE0ELj4294967295EEENS1_25partition_config_selectorILNS1_17partition_subalgoE3EjNS0_10empty_typeEbEEZZNS1_14partition_implILS8_3ELb0ES6_jNS0_17counting_iteratorIjlEEPS9_SE_NS0_5tupleIJPjSE_EEENSF_IJSE_SE_EEES9_SG_JZNS1_25segmented_radix_sort_implINS0_14default_configELb1EPKiPiPKlPlN2at6native12_GLOBAL__N_18offset_tEEE10hipError_tPvRmT1_PNSt15iterator_traitsISY_E10value_typeET2_T3_PNSZ_IS14_E10value_typeET4_jRbjT5_S1A_jjP12ihipStream_tbEUljE_EEESV_SW_SX_S14_S18_S1A_T6_T7_T9_mT8_S1C_bDpT10_ENKUlT_T0_E_clISt17integral_constantIbLb0EES1P_EEDaS1K_S1L_EUlS1K_E_NS1_11comp_targetILNS1_3genE3ELNS1_11target_archE908ELNS1_3gpuE7ELNS1_3repE0EEENS1_30default_config_static_selectorELNS0_4arch9wavefront6targetE1EEEvSY_, .Lfunc_end468-_ZN7rocprim17ROCPRIM_400000_NS6detail17trampoline_kernelINS0_13select_configILj256ELj13ELNS0_17block_load_methodE3ELS4_3ELS4_3ELNS0_20block_scan_algorithmE0ELj4294967295EEENS1_25partition_config_selectorILNS1_17partition_subalgoE3EjNS0_10empty_typeEbEEZZNS1_14partition_implILS8_3ELb0ES6_jNS0_17counting_iteratorIjlEEPS9_SE_NS0_5tupleIJPjSE_EEENSF_IJSE_SE_EEES9_SG_JZNS1_25segmented_radix_sort_implINS0_14default_configELb1EPKiPiPKlPlN2at6native12_GLOBAL__N_18offset_tEEE10hipError_tPvRmT1_PNSt15iterator_traitsISY_E10value_typeET2_T3_PNSZ_IS14_E10value_typeET4_jRbjT5_S1A_jjP12ihipStream_tbEUljE_EEESV_SW_SX_S14_S18_S1A_T6_T7_T9_mT8_S1C_bDpT10_ENKUlT_T0_E_clISt17integral_constantIbLb0EES1P_EEDaS1K_S1L_EUlS1K_E_NS1_11comp_targetILNS1_3genE3ELNS1_11target_archE908ELNS1_3gpuE7ELNS1_3repE0EEENS1_30default_config_static_selectorELNS0_4arch9wavefront6targetE1EEEvSY_
                                        ; -- End function
	.set _ZN7rocprim17ROCPRIM_400000_NS6detail17trampoline_kernelINS0_13select_configILj256ELj13ELNS0_17block_load_methodE3ELS4_3ELS4_3ELNS0_20block_scan_algorithmE0ELj4294967295EEENS1_25partition_config_selectorILNS1_17partition_subalgoE3EjNS0_10empty_typeEbEEZZNS1_14partition_implILS8_3ELb0ES6_jNS0_17counting_iteratorIjlEEPS9_SE_NS0_5tupleIJPjSE_EEENSF_IJSE_SE_EEES9_SG_JZNS1_25segmented_radix_sort_implINS0_14default_configELb1EPKiPiPKlPlN2at6native12_GLOBAL__N_18offset_tEEE10hipError_tPvRmT1_PNSt15iterator_traitsISY_E10value_typeET2_T3_PNSZ_IS14_E10value_typeET4_jRbjT5_S1A_jjP12ihipStream_tbEUljE_EEESV_SW_SX_S14_S18_S1A_T6_T7_T9_mT8_S1C_bDpT10_ENKUlT_T0_E_clISt17integral_constantIbLb0EES1P_EEDaS1K_S1L_EUlS1K_E_NS1_11comp_targetILNS1_3genE3ELNS1_11target_archE908ELNS1_3gpuE7ELNS1_3repE0EEENS1_30default_config_static_selectorELNS0_4arch9wavefront6targetE1EEEvSY_.num_vgpr, 0
	.set _ZN7rocprim17ROCPRIM_400000_NS6detail17trampoline_kernelINS0_13select_configILj256ELj13ELNS0_17block_load_methodE3ELS4_3ELS4_3ELNS0_20block_scan_algorithmE0ELj4294967295EEENS1_25partition_config_selectorILNS1_17partition_subalgoE3EjNS0_10empty_typeEbEEZZNS1_14partition_implILS8_3ELb0ES6_jNS0_17counting_iteratorIjlEEPS9_SE_NS0_5tupleIJPjSE_EEENSF_IJSE_SE_EEES9_SG_JZNS1_25segmented_radix_sort_implINS0_14default_configELb1EPKiPiPKlPlN2at6native12_GLOBAL__N_18offset_tEEE10hipError_tPvRmT1_PNSt15iterator_traitsISY_E10value_typeET2_T3_PNSZ_IS14_E10value_typeET4_jRbjT5_S1A_jjP12ihipStream_tbEUljE_EEESV_SW_SX_S14_S18_S1A_T6_T7_T9_mT8_S1C_bDpT10_ENKUlT_T0_E_clISt17integral_constantIbLb0EES1P_EEDaS1K_S1L_EUlS1K_E_NS1_11comp_targetILNS1_3genE3ELNS1_11target_archE908ELNS1_3gpuE7ELNS1_3repE0EEENS1_30default_config_static_selectorELNS0_4arch9wavefront6targetE1EEEvSY_.num_agpr, 0
	.set _ZN7rocprim17ROCPRIM_400000_NS6detail17trampoline_kernelINS0_13select_configILj256ELj13ELNS0_17block_load_methodE3ELS4_3ELS4_3ELNS0_20block_scan_algorithmE0ELj4294967295EEENS1_25partition_config_selectorILNS1_17partition_subalgoE3EjNS0_10empty_typeEbEEZZNS1_14partition_implILS8_3ELb0ES6_jNS0_17counting_iteratorIjlEEPS9_SE_NS0_5tupleIJPjSE_EEENSF_IJSE_SE_EEES9_SG_JZNS1_25segmented_radix_sort_implINS0_14default_configELb1EPKiPiPKlPlN2at6native12_GLOBAL__N_18offset_tEEE10hipError_tPvRmT1_PNSt15iterator_traitsISY_E10value_typeET2_T3_PNSZ_IS14_E10value_typeET4_jRbjT5_S1A_jjP12ihipStream_tbEUljE_EEESV_SW_SX_S14_S18_S1A_T6_T7_T9_mT8_S1C_bDpT10_ENKUlT_T0_E_clISt17integral_constantIbLb0EES1P_EEDaS1K_S1L_EUlS1K_E_NS1_11comp_targetILNS1_3genE3ELNS1_11target_archE908ELNS1_3gpuE7ELNS1_3repE0EEENS1_30default_config_static_selectorELNS0_4arch9wavefront6targetE1EEEvSY_.numbered_sgpr, 0
	.set _ZN7rocprim17ROCPRIM_400000_NS6detail17trampoline_kernelINS0_13select_configILj256ELj13ELNS0_17block_load_methodE3ELS4_3ELS4_3ELNS0_20block_scan_algorithmE0ELj4294967295EEENS1_25partition_config_selectorILNS1_17partition_subalgoE3EjNS0_10empty_typeEbEEZZNS1_14partition_implILS8_3ELb0ES6_jNS0_17counting_iteratorIjlEEPS9_SE_NS0_5tupleIJPjSE_EEENSF_IJSE_SE_EEES9_SG_JZNS1_25segmented_radix_sort_implINS0_14default_configELb1EPKiPiPKlPlN2at6native12_GLOBAL__N_18offset_tEEE10hipError_tPvRmT1_PNSt15iterator_traitsISY_E10value_typeET2_T3_PNSZ_IS14_E10value_typeET4_jRbjT5_S1A_jjP12ihipStream_tbEUljE_EEESV_SW_SX_S14_S18_S1A_T6_T7_T9_mT8_S1C_bDpT10_ENKUlT_T0_E_clISt17integral_constantIbLb0EES1P_EEDaS1K_S1L_EUlS1K_E_NS1_11comp_targetILNS1_3genE3ELNS1_11target_archE908ELNS1_3gpuE7ELNS1_3repE0EEENS1_30default_config_static_selectorELNS0_4arch9wavefront6targetE1EEEvSY_.num_named_barrier, 0
	.set _ZN7rocprim17ROCPRIM_400000_NS6detail17trampoline_kernelINS0_13select_configILj256ELj13ELNS0_17block_load_methodE3ELS4_3ELS4_3ELNS0_20block_scan_algorithmE0ELj4294967295EEENS1_25partition_config_selectorILNS1_17partition_subalgoE3EjNS0_10empty_typeEbEEZZNS1_14partition_implILS8_3ELb0ES6_jNS0_17counting_iteratorIjlEEPS9_SE_NS0_5tupleIJPjSE_EEENSF_IJSE_SE_EEES9_SG_JZNS1_25segmented_radix_sort_implINS0_14default_configELb1EPKiPiPKlPlN2at6native12_GLOBAL__N_18offset_tEEE10hipError_tPvRmT1_PNSt15iterator_traitsISY_E10value_typeET2_T3_PNSZ_IS14_E10value_typeET4_jRbjT5_S1A_jjP12ihipStream_tbEUljE_EEESV_SW_SX_S14_S18_S1A_T6_T7_T9_mT8_S1C_bDpT10_ENKUlT_T0_E_clISt17integral_constantIbLb0EES1P_EEDaS1K_S1L_EUlS1K_E_NS1_11comp_targetILNS1_3genE3ELNS1_11target_archE908ELNS1_3gpuE7ELNS1_3repE0EEENS1_30default_config_static_selectorELNS0_4arch9wavefront6targetE1EEEvSY_.private_seg_size, 0
	.set _ZN7rocprim17ROCPRIM_400000_NS6detail17trampoline_kernelINS0_13select_configILj256ELj13ELNS0_17block_load_methodE3ELS4_3ELS4_3ELNS0_20block_scan_algorithmE0ELj4294967295EEENS1_25partition_config_selectorILNS1_17partition_subalgoE3EjNS0_10empty_typeEbEEZZNS1_14partition_implILS8_3ELb0ES6_jNS0_17counting_iteratorIjlEEPS9_SE_NS0_5tupleIJPjSE_EEENSF_IJSE_SE_EEES9_SG_JZNS1_25segmented_radix_sort_implINS0_14default_configELb1EPKiPiPKlPlN2at6native12_GLOBAL__N_18offset_tEEE10hipError_tPvRmT1_PNSt15iterator_traitsISY_E10value_typeET2_T3_PNSZ_IS14_E10value_typeET4_jRbjT5_S1A_jjP12ihipStream_tbEUljE_EEESV_SW_SX_S14_S18_S1A_T6_T7_T9_mT8_S1C_bDpT10_ENKUlT_T0_E_clISt17integral_constantIbLb0EES1P_EEDaS1K_S1L_EUlS1K_E_NS1_11comp_targetILNS1_3genE3ELNS1_11target_archE908ELNS1_3gpuE7ELNS1_3repE0EEENS1_30default_config_static_selectorELNS0_4arch9wavefront6targetE1EEEvSY_.uses_vcc, 0
	.set _ZN7rocprim17ROCPRIM_400000_NS6detail17trampoline_kernelINS0_13select_configILj256ELj13ELNS0_17block_load_methodE3ELS4_3ELS4_3ELNS0_20block_scan_algorithmE0ELj4294967295EEENS1_25partition_config_selectorILNS1_17partition_subalgoE3EjNS0_10empty_typeEbEEZZNS1_14partition_implILS8_3ELb0ES6_jNS0_17counting_iteratorIjlEEPS9_SE_NS0_5tupleIJPjSE_EEENSF_IJSE_SE_EEES9_SG_JZNS1_25segmented_radix_sort_implINS0_14default_configELb1EPKiPiPKlPlN2at6native12_GLOBAL__N_18offset_tEEE10hipError_tPvRmT1_PNSt15iterator_traitsISY_E10value_typeET2_T3_PNSZ_IS14_E10value_typeET4_jRbjT5_S1A_jjP12ihipStream_tbEUljE_EEESV_SW_SX_S14_S18_S1A_T6_T7_T9_mT8_S1C_bDpT10_ENKUlT_T0_E_clISt17integral_constantIbLb0EES1P_EEDaS1K_S1L_EUlS1K_E_NS1_11comp_targetILNS1_3genE3ELNS1_11target_archE908ELNS1_3gpuE7ELNS1_3repE0EEENS1_30default_config_static_selectorELNS0_4arch9wavefront6targetE1EEEvSY_.uses_flat_scratch, 0
	.set _ZN7rocprim17ROCPRIM_400000_NS6detail17trampoline_kernelINS0_13select_configILj256ELj13ELNS0_17block_load_methodE3ELS4_3ELS4_3ELNS0_20block_scan_algorithmE0ELj4294967295EEENS1_25partition_config_selectorILNS1_17partition_subalgoE3EjNS0_10empty_typeEbEEZZNS1_14partition_implILS8_3ELb0ES6_jNS0_17counting_iteratorIjlEEPS9_SE_NS0_5tupleIJPjSE_EEENSF_IJSE_SE_EEES9_SG_JZNS1_25segmented_radix_sort_implINS0_14default_configELb1EPKiPiPKlPlN2at6native12_GLOBAL__N_18offset_tEEE10hipError_tPvRmT1_PNSt15iterator_traitsISY_E10value_typeET2_T3_PNSZ_IS14_E10value_typeET4_jRbjT5_S1A_jjP12ihipStream_tbEUljE_EEESV_SW_SX_S14_S18_S1A_T6_T7_T9_mT8_S1C_bDpT10_ENKUlT_T0_E_clISt17integral_constantIbLb0EES1P_EEDaS1K_S1L_EUlS1K_E_NS1_11comp_targetILNS1_3genE3ELNS1_11target_archE908ELNS1_3gpuE7ELNS1_3repE0EEENS1_30default_config_static_selectorELNS0_4arch9wavefront6targetE1EEEvSY_.has_dyn_sized_stack, 0
	.set _ZN7rocprim17ROCPRIM_400000_NS6detail17trampoline_kernelINS0_13select_configILj256ELj13ELNS0_17block_load_methodE3ELS4_3ELS4_3ELNS0_20block_scan_algorithmE0ELj4294967295EEENS1_25partition_config_selectorILNS1_17partition_subalgoE3EjNS0_10empty_typeEbEEZZNS1_14partition_implILS8_3ELb0ES6_jNS0_17counting_iteratorIjlEEPS9_SE_NS0_5tupleIJPjSE_EEENSF_IJSE_SE_EEES9_SG_JZNS1_25segmented_radix_sort_implINS0_14default_configELb1EPKiPiPKlPlN2at6native12_GLOBAL__N_18offset_tEEE10hipError_tPvRmT1_PNSt15iterator_traitsISY_E10value_typeET2_T3_PNSZ_IS14_E10value_typeET4_jRbjT5_S1A_jjP12ihipStream_tbEUljE_EEESV_SW_SX_S14_S18_S1A_T6_T7_T9_mT8_S1C_bDpT10_ENKUlT_T0_E_clISt17integral_constantIbLb0EES1P_EEDaS1K_S1L_EUlS1K_E_NS1_11comp_targetILNS1_3genE3ELNS1_11target_archE908ELNS1_3gpuE7ELNS1_3repE0EEENS1_30default_config_static_selectorELNS0_4arch9wavefront6targetE1EEEvSY_.has_recursion, 0
	.set _ZN7rocprim17ROCPRIM_400000_NS6detail17trampoline_kernelINS0_13select_configILj256ELj13ELNS0_17block_load_methodE3ELS4_3ELS4_3ELNS0_20block_scan_algorithmE0ELj4294967295EEENS1_25partition_config_selectorILNS1_17partition_subalgoE3EjNS0_10empty_typeEbEEZZNS1_14partition_implILS8_3ELb0ES6_jNS0_17counting_iteratorIjlEEPS9_SE_NS0_5tupleIJPjSE_EEENSF_IJSE_SE_EEES9_SG_JZNS1_25segmented_radix_sort_implINS0_14default_configELb1EPKiPiPKlPlN2at6native12_GLOBAL__N_18offset_tEEE10hipError_tPvRmT1_PNSt15iterator_traitsISY_E10value_typeET2_T3_PNSZ_IS14_E10value_typeET4_jRbjT5_S1A_jjP12ihipStream_tbEUljE_EEESV_SW_SX_S14_S18_S1A_T6_T7_T9_mT8_S1C_bDpT10_ENKUlT_T0_E_clISt17integral_constantIbLb0EES1P_EEDaS1K_S1L_EUlS1K_E_NS1_11comp_targetILNS1_3genE3ELNS1_11target_archE908ELNS1_3gpuE7ELNS1_3repE0EEENS1_30default_config_static_selectorELNS0_4arch9wavefront6targetE1EEEvSY_.has_indirect_call, 0
	.section	.AMDGPU.csdata,"",@progbits
; Kernel info:
; codeLenInByte = 0
; TotalNumSgprs: 4
; NumVgprs: 0
; ScratchSize: 0
; MemoryBound: 0
; FloatMode: 240
; IeeeMode: 1
; LDSByteSize: 0 bytes/workgroup (compile time only)
; SGPRBlocks: 0
; VGPRBlocks: 0
; NumSGPRsForWavesPerEU: 4
; NumVGPRsForWavesPerEU: 1
; Occupancy: 10
; WaveLimiterHint : 0
; COMPUTE_PGM_RSRC2:SCRATCH_EN: 0
; COMPUTE_PGM_RSRC2:USER_SGPR: 6
; COMPUTE_PGM_RSRC2:TRAP_HANDLER: 0
; COMPUTE_PGM_RSRC2:TGID_X_EN: 1
; COMPUTE_PGM_RSRC2:TGID_Y_EN: 0
; COMPUTE_PGM_RSRC2:TGID_Z_EN: 0
; COMPUTE_PGM_RSRC2:TIDIG_COMP_CNT: 0
	.section	.text._ZN7rocprim17ROCPRIM_400000_NS6detail17trampoline_kernelINS0_13select_configILj256ELj13ELNS0_17block_load_methodE3ELS4_3ELS4_3ELNS0_20block_scan_algorithmE0ELj4294967295EEENS1_25partition_config_selectorILNS1_17partition_subalgoE3EjNS0_10empty_typeEbEEZZNS1_14partition_implILS8_3ELb0ES6_jNS0_17counting_iteratorIjlEEPS9_SE_NS0_5tupleIJPjSE_EEENSF_IJSE_SE_EEES9_SG_JZNS1_25segmented_radix_sort_implINS0_14default_configELb1EPKiPiPKlPlN2at6native12_GLOBAL__N_18offset_tEEE10hipError_tPvRmT1_PNSt15iterator_traitsISY_E10value_typeET2_T3_PNSZ_IS14_E10value_typeET4_jRbjT5_S1A_jjP12ihipStream_tbEUljE_EEESV_SW_SX_S14_S18_S1A_T6_T7_T9_mT8_S1C_bDpT10_ENKUlT_T0_E_clISt17integral_constantIbLb0EES1P_EEDaS1K_S1L_EUlS1K_E_NS1_11comp_targetILNS1_3genE2ELNS1_11target_archE906ELNS1_3gpuE6ELNS1_3repE0EEENS1_30default_config_static_selectorELNS0_4arch9wavefront6targetE1EEEvSY_,"axG",@progbits,_ZN7rocprim17ROCPRIM_400000_NS6detail17trampoline_kernelINS0_13select_configILj256ELj13ELNS0_17block_load_methodE3ELS4_3ELS4_3ELNS0_20block_scan_algorithmE0ELj4294967295EEENS1_25partition_config_selectorILNS1_17partition_subalgoE3EjNS0_10empty_typeEbEEZZNS1_14partition_implILS8_3ELb0ES6_jNS0_17counting_iteratorIjlEEPS9_SE_NS0_5tupleIJPjSE_EEENSF_IJSE_SE_EEES9_SG_JZNS1_25segmented_radix_sort_implINS0_14default_configELb1EPKiPiPKlPlN2at6native12_GLOBAL__N_18offset_tEEE10hipError_tPvRmT1_PNSt15iterator_traitsISY_E10value_typeET2_T3_PNSZ_IS14_E10value_typeET4_jRbjT5_S1A_jjP12ihipStream_tbEUljE_EEESV_SW_SX_S14_S18_S1A_T6_T7_T9_mT8_S1C_bDpT10_ENKUlT_T0_E_clISt17integral_constantIbLb0EES1P_EEDaS1K_S1L_EUlS1K_E_NS1_11comp_targetILNS1_3genE2ELNS1_11target_archE906ELNS1_3gpuE6ELNS1_3repE0EEENS1_30default_config_static_selectorELNS0_4arch9wavefront6targetE1EEEvSY_,comdat
	.globl	_ZN7rocprim17ROCPRIM_400000_NS6detail17trampoline_kernelINS0_13select_configILj256ELj13ELNS0_17block_load_methodE3ELS4_3ELS4_3ELNS0_20block_scan_algorithmE0ELj4294967295EEENS1_25partition_config_selectorILNS1_17partition_subalgoE3EjNS0_10empty_typeEbEEZZNS1_14partition_implILS8_3ELb0ES6_jNS0_17counting_iteratorIjlEEPS9_SE_NS0_5tupleIJPjSE_EEENSF_IJSE_SE_EEES9_SG_JZNS1_25segmented_radix_sort_implINS0_14default_configELb1EPKiPiPKlPlN2at6native12_GLOBAL__N_18offset_tEEE10hipError_tPvRmT1_PNSt15iterator_traitsISY_E10value_typeET2_T3_PNSZ_IS14_E10value_typeET4_jRbjT5_S1A_jjP12ihipStream_tbEUljE_EEESV_SW_SX_S14_S18_S1A_T6_T7_T9_mT8_S1C_bDpT10_ENKUlT_T0_E_clISt17integral_constantIbLb0EES1P_EEDaS1K_S1L_EUlS1K_E_NS1_11comp_targetILNS1_3genE2ELNS1_11target_archE906ELNS1_3gpuE6ELNS1_3repE0EEENS1_30default_config_static_selectorELNS0_4arch9wavefront6targetE1EEEvSY_ ; -- Begin function _ZN7rocprim17ROCPRIM_400000_NS6detail17trampoline_kernelINS0_13select_configILj256ELj13ELNS0_17block_load_methodE3ELS4_3ELS4_3ELNS0_20block_scan_algorithmE0ELj4294967295EEENS1_25partition_config_selectorILNS1_17partition_subalgoE3EjNS0_10empty_typeEbEEZZNS1_14partition_implILS8_3ELb0ES6_jNS0_17counting_iteratorIjlEEPS9_SE_NS0_5tupleIJPjSE_EEENSF_IJSE_SE_EEES9_SG_JZNS1_25segmented_radix_sort_implINS0_14default_configELb1EPKiPiPKlPlN2at6native12_GLOBAL__N_18offset_tEEE10hipError_tPvRmT1_PNSt15iterator_traitsISY_E10value_typeET2_T3_PNSZ_IS14_E10value_typeET4_jRbjT5_S1A_jjP12ihipStream_tbEUljE_EEESV_SW_SX_S14_S18_S1A_T6_T7_T9_mT8_S1C_bDpT10_ENKUlT_T0_E_clISt17integral_constantIbLb0EES1P_EEDaS1K_S1L_EUlS1K_E_NS1_11comp_targetILNS1_3genE2ELNS1_11target_archE906ELNS1_3gpuE6ELNS1_3repE0EEENS1_30default_config_static_selectorELNS0_4arch9wavefront6targetE1EEEvSY_
	.p2align	8
	.type	_ZN7rocprim17ROCPRIM_400000_NS6detail17trampoline_kernelINS0_13select_configILj256ELj13ELNS0_17block_load_methodE3ELS4_3ELS4_3ELNS0_20block_scan_algorithmE0ELj4294967295EEENS1_25partition_config_selectorILNS1_17partition_subalgoE3EjNS0_10empty_typeEbEEZZNS1_14partition_implILS8_3ELb0ES6_jNS0_17counting_iteratorIjlEEPS9_SE_NS0_5tupleIJPjSE_EEENSF_IJSE_SE_EEES9_SG_JZNS1_25segmented_radix_sort_implINS0_14default_configELb1EPKiPiPKlPlN2at6native12_GLOBAL__N_18offset_tEEE10hipError_tPvRmT1_PNSt15iterator_traitsISY_E10value_typeET2_T3_PNSZ_IS14_E10value_typeET4_jRbjT5_S1A_jjP12ihipStream_tbEUljE_EEESV_SW_SX_S14_S18_S1A_T6_T7_T9_mT8_S1C_bDpT10_ENKUlT_T0_E_clISt17integral_constantIbLb0EES1P_EEDaS1K_S1L_EUlS1K_E_NS1_11comp_targetILNS1_3genE2ELNS1_11target_archE906ELNS1_3gpuE6ELNS1_3repE0EEENS1_30default_config_static_selectorELNS0_4arch9wavefront6targetE1EEEvSY_,@function
_ZN7rocprim17ROCPRIM_400000_NS6detail17trampoline_kernelINS0_13select_configILj256ELj13ELNS0_17block_load_methodE3ELS4_3ELS4_3ELNS0_20block_scan_algorithmE0ELj4294967295EEENS1_25partition_config_selectorILNS1_17partition_subalgoE3EjNS0_10empty_typeEbEEZZNS1_14partition_implILS8_3ELb0ES6_jNS0_17counting_iteratorIjlEEPS9_SE_NS0_5tupleIJPjSE_EEENSF_IJSE_SE_EEES9_SG_JZNS1_25segmented_radix_sort_implINS0_14default_configELb1EPKiPiPKlPlN2at6native12_GLOBAL__N_18offset_tEEE10hipError_tPvRmT1_PNSt15iterator_traitsISY_E10value_typeET2_T3_PNSZ_IS14_E10value_typeET4_jRbjT5_S1A_jjP12ihipStream_tbEUljE_EEESV_SW_SX_S14_S18_S1A_T6_T7_T9_mT8_S1C_bDpT10_ENKUlT_T0_E_clISt17integral_constantIbLb0EES1P_EEDaS1K_S1L_EUlS1K_E_NS1_11comp_targetILNS1_3genE2ELNS1_11target_archE906ELNS1_3gpuE6ELNS1_3repE0EEENS1_30default_config_static_selectorELNS0_4arch9wavefront6targetE1EEEvSY_: ; @_ZN7rocprim17ROCPRIM_400000_NS6detail17trampoline_kernelINS0_13select_configILj256ELj13ELNS0_17block_load_methodE3ELS4_3ELS4_3ELNS0_20block_scan_algorithmE0ELj4294967295EEENS1_25partition_config_selectorILNS1_17partition_subalgoE3EjNS0_10empty_typeEbEEZZNS1_14partition_implILS8_3ELb0ES6_jNS0_17counting_iteratorIjlEEPS9_SE_NS0_5tupleIJPjSE_EEENSF_IJSE_SE_EEES9_SG_JZNS1_25segmented_radix_sort_implINS0_14default_configELb1EPKiPiPKlPlN2at6native12_GLOBAL__N_18offset_tEEE10hipError_tPvRmT1_PNSt15iterator_traitsISY_E10value_typeET2_T3_PNSZ_IS14_E10value_typeET4_jRbjT5_S1A_jjP12ihipStream_tbEUljE_EEESV_SW_SX_S14_S18_S1A_T6_T7_T9_mT8_S1C_bDpT10_ENKUlT_T0_E_clISt17integral_constantIbLb0EES1P_EEDaS1K_S1L_EUlS1K_E_NS1_11comp_targetILNS1_3genE2ELNS1_11target_archE906ELNS1_3gpuE6ELNS1_3repE0EEENS1_30default_config_static_selectorELNS0_4arch9wavefront6targetE1EEEvSY_
; %bb.0:
	s_load_dwordx2 s[28:29], s[4:5], 0x58
	s_load_dwordx4 s[24:27], s[4:5], 0x48
	s_load_dword s12, s[4:5], 0x8
	s_load_dwordx2 s[30:31], s[4:5], 0x10
	s_load_dword s0, s[4:5], 0x70
	s_load_dword s7, s[4:5], 0x88
	s_load_dwordx4 s[8:11], s[4:5], 0x78
	s_waitcnt lgkmcnt(0)
	s_load_dwordx2 s[34:35], s[26:27], 0x0
	s_mul_i32 s44, s6, 0xd00
	s_add_i32 s2, s0, -1
	s_mulk_i32 s0, 0xd00
	s_add_i32 s1, s0, s30
	s_sub_i32 s33, s28, s1
	s_addk_i32 s33, 0xd00
	s_add_u32 s0, s30, s0
	s_addc_u32 s1, s31, 0
	v_mov_b32_e32 v2, s1
	v_mov_b32_e32 v1, s0
	s_cmp_eq_u32 s6, s2
	v_cmp_gt_u64_e32 vcc, s[28:29], v[1:2]
	s_cselect_b64 s[22:23], -1, 0
	s_cmp_lg_u32 s6, s2
	s_cselect_b64 s[0:1], -1, 0
	s_add_i32 s12, s12, s44
	s_or_b64 s[2:3], s[0:1], vcc
	s_add_i32 s12, s12, s30
	s_mov_b64 s[0:1], -1
	s_and_b64 vcc, exec, s[2:3]
	v_add_u32_e32 v1, s12, v0
	v_lshlrev_b32_e32 v23, 2, v0
	s_cbranch_vccz .LBB469_2
; %bb.1:
	v_add_u32_e32 v2, 0x100, v1
	v_add_u32_e32 v3, 0x200, v1
	;; [unrolled: 1-line block ×12, first 2 shown]
	ds_write2st64_b32 v23, v1, v2 offset1:4
	ds_write2st64_b32 v23, v3, v4 offset0:8 offset1:12
	ds_write2st64_b32 v23, v5, v6 offset0:16 offset1:20
	;; [unrolled: 1-line block ×5, first 2 shown]
	ds_write_b32 v23, v13 offset:12288
	s_waitcnt lgkmcnt(0)
	s_barrier
	s_mov_b64 s[0:1], 0
.LBB469_2:
	s_andn2_b64 vcc, exec, s[0:1]
	v_cmp_gt_u32_e64 s[0:1], s33, v0
	s_cbranch_vccnz .LBB469_4
; %bb.3:
	v_or_b32_e32 v2, 0x100, v0
	v_add_u32_e32 v3, s12, v2
	v_cmp_gt_u32_e32 vcc, s33, v2
	v_cndmask_b32_e32 v2, 0, v3, vcc
	v_or_b32_e32 v3, 0x200, v0
	v_add_u32_e32 v4, s12, v3
	v_cmp_gt_u32_e32 vcc, s33, v3
	v_cndmask_b32_e32 v3, 0, v4, vcc
	;; [unrolled: 4-line block ×11, first 2 shown]
	v_or_b32_e32 v13, 0xc00, v0
	v_cndmask_b32_e64 v1, 0, v1, s[0:1]
	v_add_u32_e32 v14, s12, v13
	v_cmp_gt_u32_e32 vcc, s33, v13
	v_cndmask_b32_e32 v13, 0, v14, vcc
	ds_write2st64_b32 v23, v1, v2 offset1:4
	ds_write2st64_b32 v23, v3, v4 offset0:8 offset1:12
	ds_write2st64_b32 v23, v5, v6 offset0:16 offset1:20
	;; [unrolled: 1-line block ×5, first 2 shown]
	ds_write_b32 v23, v13 offset:12288
	s_waitcnt lgkmcnt(0)
	s_barrier
.LBB469_4:
	v_mul_u32_u24_e32 v25, 13, v0
	v_lshlrev_b32_e32 v1, 2, v25
	s_waitcnt lgkmcnt(0)
	ds_read2_b32 v[13:14], v1 offset1:1
	ds_read2_b32 v[11:12], v1 offset0:2 offset1:3
	ds_read2_b32 v[9:10], v1 offset0:4 offset1:5
	;; [unrolled: 1-line block ×5, first 2 shown]
	ds_read_b32 v24, v1 offset:48
	v_cndmask_b32_e64 v1, 0, 1, s[2:3]
	v_cmp_ne_u32_e64 s[0:1], 1, v1
	s_andn2_b64 vcc, exec, s[2:3]
	s_waitcnt lgkmcnt(0)
	s_barrier
	s_cbranch_vccnz .LBB469_6
; %bb.5:
	v_add_u32_e32 v1, s9, v13
	v_add_u32_e32 v2, s11, v13
	v_mul_lo_u32 v1, v1, s8
	v_mul_lo_u32 v2, v2, s10
	v_add_u32_e32 v15, s9, v11
	v_add_u32_e32 v16, s11, v11
	v_mul_lo_u32 v15, v15, s8
	v_sub_u32_e32 v1, v1, v2
	v_cmp_lt_u32_e32 vcc, s7, v1
	v_add_u32_e32 v1, s9, v14
	v_add_u32_e32 v2, s11, v14
	v_mul_lo_u32 v1, v1, s8
	v_mul_lo_u32 v2, v2, s10
	;; [unrolled: 1-line block ×3, first 2 shown]
	v_cndmask_b32_e64 v26, 0, 1, vcc
	v_sub_u32_e32 v1, v1, v2
	v_cmp_lt_u32_e32 vcc, s7, v1
	v_sub_u32_e32 v1, v15, v16
	v_cndmask_b32_e64 v27, 0, 1, vcc
	v_cmp_lt_u32_e32 vcc, s7, v1
	v_add_u32_e32 v1, s9, v12
	v_add_u32_e32 v2, s11, v12
	v_mul_lo_u32 v1, v1, s8
	v_mul_lo_u32 v2, v2, s10
	v_add_u32_e32 v15, s9, v9
	v_add_u32_e32 v16, s11, v9
	v_mul_lo_u32 v15, v15, s8
	v_mul_lo_u32 v16, v16, s10
	v_sub_u32_e32 v1, v1, v2
	v_cndmask_b32_e64 v28, 0, 1, vcc
	v_cmp_lt_u32_e32 vcc, s7, v1
	v_sub_u32_e32 v1, v15, v16
	v_cndmask_b32_e64 v29, 0, 1, vcc
	v_cmp_lt_u32_e32 vcc, s7, v1
	v_add_u32_e32 v1, s9, v10
	v_add_u32_e32 v2, s11, v10
	v_mul_lo_u32 v1, v1, s8
	v_mul_lo_u32 v2, v2, s10
	v_add_u32_e32 v15, s9, v7
	v_add_u32_e32 v16, s11, v7
	v_mul_lo_u32 v15, v15, s8
	v_mul_lo_u32 v16, v16, s10
	v_sub_u32_e32 v1, v1, v2
	v_cndmask_b32_e64 v30, 0, 1, vcc
	v_cmp_lt_u32_e32 vcc, s7, v1
	v_sub_u32_e32 v1, v15, v16
	v_cndmask_b32_e64 v31, 0, 1, vcc
	v_cmp_lt_u32_e32 vcc, s7, v1
	v_add_u32_e32 v1, s9, v8
	v_add_u32_e32 v2, s11, v8
	v_mul_lo_u32 v1, v1, s8
	v_mul_lo_u32 v2, v2, s10
	v_add_u32_e32 v15, s9, v5
	v_add_u32_e32 v16, s11, v5
	v_mul_lo_u32 v15, v15, s8
	v_mul_lo_u32 v16, v16, s10
	v_sub_u32_e32 v1, v1, v2
	v_cndmask_b32_e64 v32, 0, 1, vcc
	v_cmp_lt_u32_e32 vcc, s7, v1
	v_sub_u32_e32 v1, v15, v16
	v_cndmask_b32_e64 v33, 0, 1, vcc
	v_cmp_lt_u32_e32 vcc, s7, v1
	v_add_u32_e32 v1, s9, v6
	v_add_u32_e32 v2, s11, v6
	v_mul_lo_u32 v1, v1, s8
	v_mul_lo_u32 v2, v2, s10
	v_add_u32_e32 v15, s9, v3
	v_add_u32_e32 v16, s11, v3
	v_mul_lo_u32 v15, v15, s8
	v_mul_lo_u32 v16, v16, s10
	v_sub_u32_e32 v1, v1, v2
	v_cndmask_b32_e64 v34, 0, 1, vcc
	v_cmp_lt_u32_e32 vcc, s7, v1
	v_sub_u32_e32 v1, v15, v16
	v_cndmask_b32_e64 v35, 0, 1, vcc
	v_cmp_lt_u32_e32 vcc, s7, v1
	v_add_u32_e32 v1, s9, v4
	v_add_u32_e32 v2, s11, v4
	v_mul_lo_u32 v1, v1, s8
	v_mul_lo_u32 v2, v2, s10
	v_add_u32_e32 v15, s9, v24
	v_add_u32_e32 v16, s11, v24
	v_mul_lo_u32 v15, v15, s8
	v_mul_lo_u32 v16, v16, s10
	v_sub_u32_e32 v1, v1, v2
	v_cndmask_b32_e64 v36, 0, 1, vcc
	v_cmp_lt_u32_e32 vcc, s7, v1
	v_sub_u32_e32 v1, v15, v16
	v_cndmask_b32_e64 v37, 0, 1, vcc
	v_cmp_lt_u32_e64 s[38:39], s7, v1
	s_load_dwordx2 s[26:27], s[4:5], 0x28
	s_load_dwordx2 s[36:37], s[4:5], 0x68
	s_cbranch_execz .LBB469_7
	s_branch .LBB469_34
.LBB469_6:
                                        ; implicit-def: $sgpr38_sgpr39
                                        ; implicit-def: $vgpr37
                                        ; implicit-def: $vgpr36
                                        ; implicit-def: $vgpr35
                                        ; implicit-def: $vgpr34
                                        ; implicit-def: $vgpr33
                                        ; implicit-def: $vgpr32
                                        ; implicit-def: $vgpr31
                                        ; implicit-def: $vgpr30
                                        ; implicit-def: $vgpr26
                                        ; implicit-def: $vgpr27
                                        ; implicit-def: $vgpr28
                                        ; implicit-def: $vgpr29
	s_load_dwordx2 s[26:27], s[4:5], 0x28
	s_load_dwordx2 s[36:37], s[4:5], 0x68
.LBB469_7:
	v_cmp_gt_u32_e32 vcc, s33, v25
	v_mov_b32_e32 v27, 0
	v_mov_b32_e32 v26, 0
	s_and_saveexec_b64 s[2:3], vcc
	s_cbranch_execz .LBB469_9
; %bb.8:
	v_add_u32_e32 v1, s9, v13
	v_add_u32_e32 v2, s11, v13
	v_mul_lo_u32 v1, v1, s8
	v_mul_lo_u32 v2, v2, s10
	v_sub_u32_e32 v1, v1, v2
	v_cmp_lt_u32_e32 vcc, s7, v1
	v_cndmask_b32_e64 v26, 0, 1, vcc
.LBB469_9:
	s_or_b64 exec, exec, s[2:3]
	v_add_u32_e32 v1, 1, v25
	v_cmp_gt_u32_e32 vcc, s33, v1
	s_and_saveexec_b64 s[2:3], vcc
	s_cbranch_execz .LBB469_11
; %bb.10:
	v_add_u32_e32 v1, s9, v14
	v_add_u32_e32 v2, s11, v14
	v_mul_lo_u32 v1, v1, s8
	v_mul_lo_u32 v2, v2, s10
	v_sub_u32_e32 v1, v1, v2
	v_cmp_lt_u32_e32 vcc, s7, v1
	v_cndmask_b32_e64 v27, 0, 1, vcc
.LBB469_11:
	s_or_b64 exec, exec, s[2:3]
	v_add_u32_e32 v1, 2, v25
	v_cmp_gt_u32_e32 vcc, s33, v1
	v_mov_b32_e32 v29, 0
	v_mov_b32_e32 v28, 0
	s_and_saveexec_b64 s[2:3], vcc
	s_cbranch_execz .LBB469_13
; %bb.12:
	v_add_u32_e32 v1, s9, v11
	v_add_u32_e32 v2, s11, v11
	v_mul_lo_u32 v1, v1, s8
	v_mul_lo_u32 v2, v2, s10
	v_sub_u32_e32 v1, v1, v2
	v_cmp_lt_u32_e32 vcc, s7, v1
	v_cndmask_b32_e64 v28, 0, 1, vcc
.LBB469_13:
	s_or_b64 exec, exec, s[2:3]
	v_add_u32_e32 v1, 3, v25
	v_cmp_gt_u32_e32 vcc, s33, v1
	s_and_saveexec_b64 s[2:3], vcc
	s_cbranch_execz .LBB469_15
; %bb.14:
	v_add_u32_e32 v1, s9, v12
	v_add_u32_e32 v2, s11, v12
	v_mul_lo_u32 v1, v1, s8
	v_mul_lo_u32 v2, v2, s10
	v_sub_u32_e32 v1, v1, v2
	v_cmp_lt_u32_e32 vcc, s7, v1
	v_cndmask_b32_e64 v29, 0, 1, vcc
.LBB469_15:
	s_or_b64 exec, exec, s[2:3]
	v_add_u32_e32 v1, 4, v25
	v_cmp_gt_u32_e32 vcc, s33, v1
	v_mov_b32_e32 v31, 0
	v_mov_b32_e32 v30, 0
	s_and_saveexec_b64 s[2:3], vcc
	s_cbranch_execz .LBB469_17
; %bb.16:
	v_add_u32_e32 v1, s9, v9
	v_add_u32_e32 v2, s11, v9
	v_mul_lo_u32 v1, v1, s8
	v_mul_lo_u32 v2, v2, s10
	v_sub_u32_e32 v1, v1, v2
	v_cmp_lt_u32_e32 vcc, s7, v1
	v_cndmask_b32_e64 v30, 0, 1, vcc
.LBB469_17:
	s_or_b64 exec, exec, s[2:3]
	v_add_u32_e32 v1, 5, v25
	v_cmp_gt_u32_e32 vcc, s33, v1
	s_and_saveexec_b64 s[2:3], vcc
	s_cbranch_execz .LBB469_19
; %bb.18:
	v_add_u32_e32 v1, s9, v10
	v_add_u32_e32 v2, s11, v10
	v_mul_lo_u32 v1, v1, s8
	v_mul_lo_u32 v2, v2, s10
	v_sub_u32_e32 v1, v1, v2
	v_cmp_lt_u32_e32 vcc, s7, v1
	v_cndmask_b32_e64 v31, 0, 1, vcc
.LBB469_19:
	s_or_b64 exec, exec, s[2:3]
	v_add_u32_e32 v1, 6, v25
	v_cmp_gt_u32_e32 vcc, s33, v1
	v_mov_b32_e32 v33, 0
	v_mov_b32_e32 v32, 0
	s_and_saveexec_b64 s[2:3], vcc
	s_cbranch_execz .LBB469_21
; %bb.20:
	v_add_u32_e32 v1, s9, v7
	v_add_u32_e32 v2, s11, v7
	v_mul_lo_u32 v1, v1, s8
	v_mul_lo_u32 v2, v2, s10
	v_sub_u32_e32 v1, v1, v2
	v_cmp_lt_u32_e32 vcc, s7, v1
	v_cndmask_b32_e64 v32, 0, 1, vcc
.LBB469_21:
	s_or_b64 exec, exec, s[2:3]
	v_add_u32_e32 v1, 7, v25
	v_cmp_gt_u32_e32 vcc, s33, v1
	s_and_saveexec_b64 s[2:3], vcc
	s_cbranch_execz .LBB469_23
; %bb.22:
	v_add_u32_e32 v1, s9, v8
	v_add_u32_e32 v2, s11, v8
	v_mul_lo_u32 v1, v1, s8
	v_mul_lo_u32 v2, v2, s10
	v_sub_u32_e32 v1, v1, v2
	v_cmp_lt_u32_e32 vcc, s7, v1
	v_cndmask_b32_e64 v33, 0, 1, vcc
.LBB469_23:
	s_or_b64 exec, exec, s[2:3]
	v_add_u32_e32 v1, 8, v25
	v_cmp_gt_u32_e32 vcc, s33, v1
	v_mov_b32_e32 v35, 0
	v_mov_b32_e32 v34, 0
	s_and_saveexec_b64 s[2:3], vcc
	s_cbranch_execz .LBB469_25
; %bb.24:
	v_add_u32_e32 v1, s9, v5
	v_add_u32_e32 v2, s11, v5
	v_mul_lo_u32 v1, v1, s8
	v_mul_lo_u32 v2, v2, s10
	v_sub_u32_e32 v1, v1, v2
	v_cmp_lt_u32_e32 vcc, s7, v1
	v_cndmask_b32_e64 v34, 0, 1, vcc
.LBB469_25:
	s_or_b64 exec, exec, s[2:3]
	v_add_u32_e32 v1, 9, v25
	v_cmp_gt_u32_e32 vcc, s33, v1
	s_and_saveexec_b64 s[2:3], vcc
	s_cbranch_execz .LBB469_27
; %bb.26:
	v_add_u32_e32 v1, s9, v6
	v_add_u32_e32 v2, s11, v6
	v_mul_lo_u32 v1, v1, s8
	v_mul_lo_u32 v2, v2, s10
	v_sub_u32_e32 v1, v1, v2
	v_cmp_lt_u32_e32 vcc, s7, v1
	v_cndmask_b32_e64 v35, 0, 1, vcc
.LBB469_27:
	s_or_b64 exec, exec, s[2:3]
	v_add_u32_e32 v1, 10, v25
	v_cmp_gt_u32_e32 vcc, s33, v1
	v_mov_b32_e32 v37, 0
	v_mov_b32_e32 v36, 0
	s_and_saveexec_b64 s[2:3], vcc
	s_cbranch_execz .LBB469_29
; %bb.28:
	v_add_u32_e32 v1, s9, v3
	v_add_u32_e32 v2, s11, v3
	v_mul_lo_u32 v1, v1, s8
	v_mul_lo_u32 v2, v2, s10
	v_sub_u32_e32 v1, v1, v2
	v_cmp_lt_u32_e32 vcc, s7, v1
	v_cndmask_b32_e64 v36, 0, 1, vcc
.LBB469_29:
	s_or_b64 exec, exec, s[2:3]
	v_add_u32_e32 v1, 11, v25
	v_cmp_gt_u32_e32 vcc, s33, v1
	s_and_saveexec_b64 s[2:3], vcc
	s_cbranch_execz .LBB469_31
; %bb.30:
	v_add_u32_e32 v1, s9, v4
	v_add_u32_e32 v2, s11, v4
	v_mul_lo_u32 v2, v2, s10
	v_mul_lo_u32 v1, v1, s8
	v_sub_u32_e32 v1, v1, v2
	v_cmp_lt_u32_e32 vcc, s7, v1
	v_cndmask_b32_e64 v37, 0, 1, vcc
.LBB469_31:
	s_or_b64 exec, exec, s[2:3]
	v_add_u32_e32 v1, 12, v25
	v_cmp_gt_u32_e32 vcc, s33, v1
	s_mov_b64 s[38:39], 0
	s_and_saveexec_b64 s[2:3], vcc
	s_cbranch_execz .LBB469_33
; %bb.32:
	v_add_u32_e32 v1, s9, v24
	v_add_u32_e32 v2, s11, v24
	v_mul_lo_u32 v1, v1, s8
	v_mul_lo_u32 v2, v2, s10
	v_sub_u32_e32 v1, v1, v2
	v_cmp_lt_u32_e32 vcc, s7, v1
	s_and_b64 s[38:39], vcc, exec
.LBB469_33:
	s_or_b64 exec, exec, s[2:3]
.LBB469_34:
	v_and_b32_e32 v40, 0xff, v27
	v_and_b32_e32 v41, 0xff, v28
	v_and_b32_e32 v42, 0xff, v29
	v_and_b32_e32 v39, 0xff, v26
	v_and_b32_e32 v43, 0xff, v30
	v_add3_u32 v2, v41, v42, v40
	v_and_b32_e32 v44, 0xff, v31
	v_and_b32_e32 v45, 0xff, v32
	v_add3_u32 v2, v2, v39, v43
	v_and_b32_e32 v46, 0xff, v33
	v_and_b32_e32 v47, 0xff, v34
	;; [unrolled: 3-line block ×3, first 2 shown]
	v_add3_u32 v2, v2, v46, v47
	v_and_b32_e32 v38, 0xff, v37
	v_cndmask_b32_e64 v1, 0, 1, s[38:39]
	v_add3_u32 v2, v2, v48, v49
	v_add3_u32 v52, v2, v38, v1
	v_mbcnt_lo_u32_b32 v1, -1, 0
	v_mbcnt_hi_u32_b32 v50, -1, v1
	v_and_b32_e32 v1, 15, v50
	v_cmp_eq_u32_e64 s[14:15], 0, v1
	v_cmp_lt_u32_e64 s[12:13], 1, v1
	v_cmp_lt_u32_e64 s[10:11], 3, v1
	v_cmp_lt_u32_e64 s[8:9], 7, v1
	v_and_b32_e32 v1, 16, v50
	v_cmp_eq_u32_e64 s[18:19], 0, v1
	v_or_b32_e32 v1, 63, v0
	s_cmp_lg_u32 s6, 0
	v_cmp_lt_u32_e64 s[2:3], 31, v50
	v_lshrrev_b32_e32 v51, 6, v0
	v_cmp_eq_u32_e64 s[4:5], v0, v1
	s_cbranch_scc0 .LBB469_56
; %bb.35:
	v_mov_b32_dpp v1, v52 row_shr:1 row_mask:0xf bank_mask:0xf
	v_cndmask_b32_e64 v1, v1, 0, s[14:15]
	v_add_u32_e32 v1, v1, v52
	s_nop 1
	v_mov_b32_dpp v2, v1 row_shr:2 row_mask:0xf bank_mask:0xf
	v_cndmask_b32_e64 v2, 0, v2, s[12:13]
	v_add_u32_e32 v1, v1, v2
	s_nop 1
	;; [unrolled: 4-line block ×4, first 2 shown]
	v_mov_b32_dpp v2, v1 row_bcast:15 row_mask:0xf bank_mask:0xf
	v_cndmask_b32_e64 v2, v2, 0, s[18:19]
	v_add_u32_e32 v1, v1, v2
	s_nop 1
	v_mov_b32_dpp v2, v1 row_bcast:31 row_mask:0xf bank_mask:0xf
	v_cndmask_b32_e64 v2, 0, v2, s[2:3]
	v_add_u32_e32 v1, v1, v2
	s_and_saveexec_b64 s[16:17], s[4:5]
; %bb.36:
	v_lshlrev_b32_e32 v2, 2, v51
	ds_write_b32 v2, v1
; %bb.37:
	s_or_b64 exec, exec, s[16:17]
	v_cmp_gt_u32_e32 vcc, 4, v0
	s_waitcnt lgkmcnt(0)
	s_barrier
	s_and_saveexec_b64 s[16:17], vcc
	s_cbranch_execz .LBB469_39
; %bb.38:
	ds_read_b32 v2, v23
	v_and_b32_e32 v15, 3, v50
	v_cmp_ne_u32_e32 vcc, 0, v15
	s_waitcnt lgkmcnt(0)
	v_mov_b32_dpp v16, v2 row_shr:1 row_mask:0xf bank_mask:0xf
	v_cndmask_b32_e32 v16, 0, v16, vcc
	v_add_u32_e32 v2, v16, v2
	v_cmp_lt_u32_e32 vcc, 1, v15
	s_nop 0
	v_mov_b32_dpp v16, v2 row_shr:2 row_mask:0xf bank_mask:0xf
	v_cndmask_b32_e32 v15, 0, v16, vcc
	v_add_u32_e32 v2, v2, v15
	ds_write_b32 v23, v2
.LBB469_39:
	s_or_b64 exec, exec, s[16:17]
	v_cmp_gt_u32_e32 vcc, 64, v0
	v_cmp_lt_u32_e64 s[16:17], 63, v0
	s_waitcnt lgkmcnt(0)
	s_barrier
                                        ; implicit-def: $vgpr53
	s_and_saveexec_b64 s[20:21], s[16:17]
	s_cbranch_execz .LBB469_41
; %bb.40:
	v_lshl_add_u32 v2, v51, 2, -4
	ds_read_b32 v53, v2
	s_waitcnt lgkmcnt(0)
	v_add_u32_e32 v1, v53, v1
.LBB469_41:
	s_or_b64 exec, exec, s[20:21]
	v_subrev_co_u32_e64 v2, s[16:17], 1, v50
	v_and_b32_e32 v15, 64, v50
	v_cmp_lt_i32_e64 s[20:21], v2, v15
	v_cndmask_b32_e64 v2, v2, v50, s[20:21]
	v_lshlrev_b32_e32 v2, 2, v2
	ds_bpermute_b32 v54, v2, v1
	s_and_saveexec_b64 s[20:21], vcc
	s_cbranch_execz .LBB469_61
; %bb.42:
	v_mov_b32_e32 v19, 0
	ds_read_b32 v1, v19 offset:12
	s_and_saveexec_b64 s[40:41], s[16:17]
	s_cbranch_execz .LBB469_44
; %bb.43:
	s_add_i32 s42, s6, 64
	s_mov_b32 s43, 0
	s_lshl_b64 s[42:43], s[42:43], 3
	s_add_u32 s42, s36, s42
	v_mov_b32_e32 v2, 1
	s_addc_u32 s43, s37, s43
	s_waitcnt lgkmcnt(0)
	global_store_dwordx2 v19, v[1:2], s[42:43]
.LBB469_44:
	s_or_b64 exec, exec, s[40:41]
	v_xad_u32 v15, v50, -1, s6
	v_add_u32_e32 v18, 64, v15
	v_lshlrev_b64 v[16:17], 3, v[18:19]
	v_mov_b32_e32 v2, s37
	v_add_co_u32_e32 v20, vcc, s36, v16
	v_addc_co_u32_e32 v21, vcc, v2, v17, vcc
	global_load_dwordx2 v[17:18], v[20:21], off glc
	s_waitcnt vmcnt(0)
	v_cmp_eq_u16_sdwa s[42:43], v18, v19 src0_sel:BYTE_0 src1_sel:DWORD
	s_and_saveexec_b64 s[40:41], s[42:43]
	s_cbranch_execz .LBB469_48
; %bb.45:
	s_mov_b64 s[42:43], 0
	v_mov_b32_e32 v2, 0
.LBB469_46:                             ; =>This Inner Loop Header: Depth=1
	global_load_dwordx2 v[17:18], v[20:21], off glc
	s_waitcnt vmcnt(0)
	v_cmp_ne_u16_sdwa s[46:47], v18, v2 src0_sel:BYTE_0 src1_sel:DWORD
	s_or_b64 s[42:43], s[46:47], s[42:43]
	s_andn2_b64 exec, exec, s[42:43]
	s_cbranch_execnz .LBB469_46
; %bb.47:
	s_or_b64 exec, exec, s[42:43]
.LBB469_48:
	s_or_b64 exec, exec, s[40:41]
	v_and_b32_e32 v56, 63, v50
	v_mov_b32_e32 v55, 2
	v_lshlrev_b64 v[19:20], v50, -1
	v_cmp_ne_u32_e32 vcc, 63, v56
	v_cmp_eq_u16_sdwa s[40:41], v18, v55 src0_sel:BYTE_0 src1_sel:DWORD
	v_addc_co_u32_e32 v21, vcc, 0, v50, vcc
	v_and_b32_e32 v2, s41, v20
	v_lshlrev_b32_e32 v57, 2, v21
	v_or_b32_e32 v2, 0x80000000, v2
	ds_bpermute_b32 v21, v57, v17
	v_and_b32_e32 v16, s40, v19
	v_ffbl_b32_e32 v2, v2
	v_add_u32_e32 v2, 32, v2
	v_ffbl_b32_e32 v16, v16
	v_min_u32_e32 v2, v16, v2
	v_cmp_lt_u32_e32 vcc, v56, v2
	s_waitcnt lgkmcnt(0)
	v_cndmask_b32_e32 v16, 0, v21, vcc
	v_cmp_gt_u32_e32 vcc, 62, v56
	v_add_u32_e32 v16, v16, v17
	v_cndmask_b32_e64 v17, 0, 2, vcc
	v_add_lshl_u32 v58, v17, v50, 2
	ds_bpermute_b32 v17, v58, v16
	v_add_u32_e32 v59, 2, v56
	v_cmp_le_u32_e32 vcc, v59, v2
	v_add_u32_e32 v61, 4, v56
	v_add_u32_e32 v63, 8, v56
	s_waitcnt lgkmcnt(0)
	v_cndmask_b32_e32 v17, 0, v17, vcc
	v_cmp_gt_u32_e32 vcc, 60, v56
	v_add_u32_e32 v16, v16, v17
	v_cndmask_b32_e64 v17, 0, 4, vcc
	v_add_lshl_u32 v60, v17, v50, 2
	ds_bpermute_b32 v17, v60, v16
	v_cmp_le_u32_e32 vcc, v61, v2
	v_add_u32_e32 v65, 16, v56
	v_add_u32_e32 v67, 32, v56
	s_waitcnt lgkmcnt(0)
	v_cndmask_b32_e32 v17, 0, v17, vcc
	v_cmp_gt_u32_e32 vcc, 56, v56
	v_add_u32_e32 v16, v16, v17
	v_cndmask_b32_e64 v17, 0, 8, vcc
	v_add_lshl_u32 v62, v17, v50, 2
	ds_bpermute_b32 v17, v62, v16
	v_cmp_le_u32_e32 vcc, v63, v2
	s_waitcnt lgkmcnt(0)
	v_cndmask_b32_e32 v17, 0, v17, vcc
	v_cmp_gt_u32_e32 vcc, 48, v56
	v_add_u32_e32 v16, v16, v17
	v_cndmask_b32_e64 v17, 0, 16, vcc
	v_add_lshl_u32 v64, v17, v50, 2
	ds_bpermute_b32 v17, v64, v16
	v_cmp_le_u32_e32 vcc, v65, v2
	s_waitcnt lgkmcnt(0)
	v_cndmask_b32_e32 v17, 0, v17, vcc
	v_add_u32_e32 v16, v16, v17
	v_mov_b32_e32 v17, 0x80
	v_lshl_or_b32 v66, v50, 2, v17
	ds_bpermute_b32 v17, v66, v16
	v_cmp_le_u32_e32 vcc, v67, v2
	s_waitcnt lgkmcnt(0)
	v_cndmask_b32_e32 v2, 0, v17, vcc
	v_add_u32_e32 v17, v16, v2
	v_mov_b32_e32 v16, 0
	s_branch .LBB469_52
.LBB469_49:                             ;   in Loop: Header=BB469_52 Depth=1
	s_or_b64 exec, exec, s[42:43]
.LBB469_50:                             ;   in Loop: Header=BB469_52 Depth=1
	s_or_b64 exec, exec, s[40:41]
	v_cmp_eq_u16_sdwa s[40:41], v18, v55 src0_sel:BYTE_0 src1_sel:DWORD
	v_and_b32_e32 v21, s41, v20
	v_or_b32_e32 v21, 0x80000000, v21
	ds_bpermute_b32 v68, v57, v17
	v_and_b32_e32 v22, s40, v19
	v_ffbl_b32_e32 v21, v21
	v_add_u32_e32 v21, 32, v21
	v_ffbl_b32_e32 v22, v22
	v_min_u32_e32 v21, v22, v21
	v_cmp_lt_u32_e32 vcc, v56, v21
	s_waitcnt lgkmcnt(0)
	v_cndmask_b32_e32 v22, 0, v68, vcc
	v_add_u32_e32 v17, v22, v17
	ds_bpermute_b32 v22, v58, v17
	v_cmp_le_u32_e32 vcc, v59, v21
	v_subrev_u32_e32 v15, 64, v15
	s_mov_b64 s[40:41], 0
	s_waitcnt lgkmcnt(0)
	v_cndmask_b32_e32 v22, 0, v22, vcc
	v_add_u32_e32 v17, v17, v22
	ds_bpermute_b32 v22, v60, v17
	v_cmp_le_u32_e32 vcc, v61, v21
	s_waitcnt lgkmcnt(0)
	v_cndmask_b32_e32 v22, 0, v22, vcc
	v_add_u32_e32 v17, v17, v22
	ds_bpermute_b32 v22, v62, v17
	v_cmp_le_u32_e32 vcc, v63, v21
	;; [unrolled: 5-line block ×4, first 2 shown]
	s_waitcnt lgkmcnt(0)
	v_cndmask_b32_e32 v21, 0, v22, vcc
	v_add3_u32 v17, v21, v2, v17
.LBB469_51:                             ;   in Loop: Header=BB469_52 Depth=1
	s_and_b64 vcc, exec, s[40:41]
	s_cbranch_vccnz .LBB469_57
.LBB469_52:                             ; =>This Loop Header: Depth=1
                                        ;     Child Loop BB469_55 Depth 2
	v_cmp_ne_u16_sdwa s[40:41], v18, v55 src0_sel:BYTE_0 src1_sel:DWORD
	v_mov_b32_e32 v2, v17
	s_cmp_lg_u64 s[40:41], exec
	s_mov_b64 s[40:41], -1
                                        ; implicit-def: $vgpr17
                                        ; implicit-def: $vgpr18
	s_cbranch_scc1 .LBB469_51
; %bb.53:                               ;   in Loop: Header=BB469_52 Depth=1
	v_lshlrev_b64 v[17:18], 3, v[15:16]
	v_mov_b32_e32 v22, s37
	v_add_co_u32_e32 v21, vcc, s36, v17
	v_addc_co_u32_e32 v22, vcc, v22, v18, vcc
	global_load_dwordx2 v[17:18], v[21:22], off glc
	s_waitcnt vmcnt(0)
	v_cmp_eq_u16_sdwa s[42:43], v18, v16 src0_sel:BYTE_0 src1_sel:DWORD
	s_and_saveexec_b64 s[40:41], s[42:43]
	s_cbranch_execz .LBB469_50
; %bb.54:                               ;   in Loop: Header=BB469_52 Depth=1
	s_mov_b64 s[42:43], 0
.LBB469_55:                             ;   Parent Loop BB469_52 Depth=1
                                        ; =>  This Inner Loop Header: Depth=2
	global_load_dwordx2 v[17:18], v[21:22], off glc
	s_waitcnt vmcnt(0)
	v_cmp_ne_u16_sdwa s[46:47], v18, v16 src0_sel:BYTE_0 src1_sel:DWORD
	s_or_b64 s[42:43], s[46:47], s[42:43]
	s_andn2_b64 exec, exec, s[42:43]
	s_cbranch_execnz .LBB469_55
	s_branch .LBB469_49
.LBB469_56:
                                        ; implicit-def: $vgpr2
                                        ; implicit-def: $vgpr15
	s_cbranch_execnz .LBB469_62
	s_branch .LBB469_71
.LBB469_57:
	s_and_saveexec_b64 s[40:41], s[16:17]
	s_cbranch_execz .LBB469_59
; %bb.58:
	s_add_i32 s6, s6, 64
	s_mov_b32 s7, 0
	s_lshl_b64 s[6:7], s[6:7], 3
	s_add_u32 s6, s36, s6
	v_add_u32_e32 v15, v2, v1
	v_mov_b32_e32 v16, 2
	s_addc_u32 s7, s37, s7
	v_mov_b32_e32 v17, 0
	global_store_dwordx2 v17, v[15:16], s[6:7]
	ds_write_b64 v17, v[1:2] offset:13312
.LBB469_59:
	s_or_b64 exec, exec, s[40:41]
	v_cmp_eq_u32_e32 vcc, 0, v0
	s_and_b64 exec, exec, vcc
; %bb.60:
	v_mov_b32_e32 v1, 0
	ds_write_b32 v1, v2 offset:12
.LBB469_61:
	s_or_b64 exec, exec, s[20:21]
	v_mov_b32_e32 v1, 0
	s_waitcnt vmcnt(0) lgkmcnt(0)
	s_barrier
	ds_read_b32 v16, v1 offset:12
	s_waitcnt lgkmcnt(0)
	s_barrier
	ds_read_b64 v[1:2], v1 offset:13312
	v_cndmask_b32_e64 v15, v54, v53, s[16:17]
	v_cmp_ne_u32_e32 vcc, 0, v0
	v_cndmask_b32_e32 v15, 0, v15, vcc
	v_add_u32_e32 v15, v16, v15
	s_branch .LBB469_71
.LBB469_62:
	s_waitcnt lgkmcnt(0)
	v_mov_b32_dpp v1, v52 row_shr:1 row_mask:0xf bank_mask:0xf
	v_cndmask_b32_e64 v1, v1, 0, s[14:15]
	v_add_u32_e32 v1, v1, v52
	s_nop 1
	v_mov_b32_dpp v2, v1 row_shr:2 row_mask:0xf bank_mask:0xf
	v_cndmask_b32_e64 v2, 0, v2, s[12:13]
	v_add_u32_e32 v1, v1, v2
	s_nop 1
	;; [unrolled: 4-line block ×4, first 2 shown]
	v_mov_b32_dpp v2, v1 row_bcast:15 row_mask:0xf bank_mask:0xf
	v_cndmask_b32_e64 v2, v2, 0, s[18:19]
	v_add_u32_e32 v1, v1, v2
	s_nop 1
	v_mov_b32_dpp v2, v1 row_bcast:31 row_mask:0xf bank_mask:0xf
	v_cndmask_b32_e64 v2, 0, v2, s[2:3]
	v_add_u32_e32 v1, v1, v2
	s_and_saveexec_b64 s[2:3], s[4:5]
; %bb.63:
	v_lshlrev_b32_e32 v2, 2, v51
	ds_write_b32 v2, v1
; %bb.64:
	s_or_b64 exec, exec, s[2:3]
	v_cmp_gt_u32_e32 vcc, 4, v0
	s_waitcnt lgkmcnt(0)
	s_barrier
	s_and_saveexec_b64 s[2:3], vcc
	s_cbranch_execz .LBB469_66
; %bb.65:
	ds_read_b32 v2, v23
	v_and_b32_e32 v15, 3, v50
	v_cmp_ne_u32_e32 vcc, 0, v15
	s_waitcnt lgkmcnt(0)
	v_mov_b32_dpp v16, v2 row_shr:1 row_mask:0xf bank_mask:0xf
	v_cndmask_b32_e32 v16, 0, v16, vcc
	v_add_u32_e32 v2, v16, v2
	v_cmp_lt_u32_e32 vcc, 1, v15
	s_nop 0
	v_mov_b32_dpp v16, v2 row_shr:2 row_mask:0xf bank_mask:0xf
	v_cndmask_b32_e32 v15, 0, v16, vcc
	v_add_u32_e32 v2, v2, v15
	ds_write_b32 v23, v2
.LBB469_66:
	s_or_b64 exec, exec, s[2:3]
	v_cmp_lt_u32_e32 vcc, 63, v0
	v_mov_b32_e32 v2, 0
	v_mov_b32_e32 v15, 0
	s_waitcnt lgkmcnt(0)
	s_barrier
	s_and_saveexec_b64 s[2:3], vcc
; %bb.67:
	v_lshl_add_u32 v15, v51, 2, -4
	ds_read_b32 v15, v15
; %bb.68:
	s_or_b64 exec, exec, s[2:3]
	v_subrev_co_u32_e32 v16, vcc, 1, v50
	v_and_b32_e32 v17, 64, v50
	v_cmp_lt_i32_e64 s[2:3], v16, v17
	v_cndmask_b32_e64 v16, v16, v50, s[2:3]
	s_waitcnt lgkmcnt(0)
	v_add_u32_e32 v1, v15, v1
	v_lshlrev_b32_e32 v16, 2, v16
	ds_bpermute_b32 v16, v16, v1
	ds_read_b32 v1, v2 offset:12
	v_cmp_eq_u32_e64 s[2:3], 0, v0
	s_and_saveexec_b64 s[4:5], s[2:3]
	s_cbranch_execz .LBB469_70
; %bb.69:
	v_mov_b32_e32 v17, 0
	v_mov_b32_e32 v2, 2
	s_waitcnt lgkmcnt(0)
	global_store_dwordx2 v17, v[1:2], s[36:37] offset:512
.LBB469_70:
	s_or_b64 exec, exec, s[4:5]
	s_waitcnt lgkmcnt(1)
	v_cndmask_b32_e32 v2, v16, v15, vcc
	v_cndmask_b32_e64 v15, v2, 0, s[2:3]
	s_waitcnt vmcnt(0) lgkmcnt(0)
	s_barrier
	v_mov_b32_e32 v2, 0
.LBB469_71:
	v_add_u32_e32 v16, v15, v39
	v_add_u32_e32 v17, v16, v40
	;; [unrolled: 1-line block ×4, first 2 shown]
	s_waitcnt lgkmcnt(0)
	v_add_u32_e32 v25, v1, v25
	v_sub_u32_e32 v15, v15, v2
	v_and_b32_e32 v26, 1, v26
	v_add_u32_e32 v20, v19, v43
	v_sub_u32_e32 v43, v25, v15
	v_cmp_eq_u32_e32 vcc, 1, v26
	v_cndmask_b32_e32 v15, v43, v15, vcc
	v_lshlrev_b32_e32 v15, 2, v15
	ds_write_b32 v15, v13
	v_sub_u32_e32 v13, v16, v2
	v_sub_u32_e32 v15, v25, v13
	v_and_b32_e32 v16, 1, v27
	v_add_u32_e32 v15, 1, v15
	v_cmp_eq_u32_e32 vcc, 1, v16
	v_cndmask_b32_e32 v13, v15, v13, vcc
	v_lshlrev_b32_e32 v13, 2, v13
	ds_write_b32 v13, v14
	v_sub_u32_e32 v13, v17, v2
	v_sub_u32_e32 v14, v25, v13
	v_and_b32_e32 v15, 1, v28
	v_add_u32_e32 v14, 2, v14
	;; [unrolled: 8-line block ×5, first 2 shown]
	v_cmp_eq_u32_e32 vcc, 1, v12
	v_cndmask_b32_e32 v9, v11, v9, vcc
	v_add_u32_e32 v21, v20, v44
	v_lshlrev_b32_e32 v9, 2, v9
	ds_write_b32 v9, v10
	v_sub_u32_e32 v9, v21, v2
	v_sub_u32_e32 v10, v25, v9
	v_and_b32_e32 v11, 1, v32
	v_add_u32_e32 v10, 6, v10
	v_cmp_eq_u32_e32 vcc, 1, v11
	v_cndmask_b32_e32 v9, v10, v9, vcc
	v_add_u32_e32 v22, v21, v45
	v_lshlrev_b32_e32 v9, 2, v9
	ds_write_b32 v9, v7
	v_sub_u32_e32 v7, v22, v2
	v_sub_u32_e32 v9, v25, v7
	v_and_b32_e32 v10, 1, v33
	v_add_u32_e32 v9, 7, v9
	;; [unrolled: 9-line block ×6, first 2 shown]
	v_cmp_eq_u32_e32 vcc, 1, v6
	v_cndmask_b32_e32 v3, v5, v3, vcc
	v_lshlrev_b32_e32 v3, 2, v3
	ds_write_b32 v3, v4
	v_sub_u32_e32 v3, v38, v2
	v_add_u32_e32 v3, v42, v3
	v_sub_u32_e32 v4, v25, v3
	v_add_u32_e32 v4, 12, v4
	v_cndmask_b32_e64 v3, v4, v3, s[38:39]
	v_lshlrev_b32_e32 v3, 2, v3
	ds_write_b32 v3, v24
	s_waitcnt lgkmcnt(0)
	s_barrier
	ds_read2st64_b32 v[13:14], v23 offset1:4
	ds_read2st64_b32 v[11:12], v23 offset0:8 offset1:12
	ds_read2st64_b32 v[9:10], v23 offset0:16 offset1:20
	;; [unrolled: 1-line block ×5, first 2 shown]
	ds_read_b32 v19, v23 offset:12288
	v_mov_b32_e32 v15, s35
	s_and_b64 vcc, exec, s[0:1]
	v_add_co_u32_e64 v17, s[0:1], s34, v2
	v_or_b32_e32 v33, 0x100, v0
	v_or_b32_e32 v31, 0x200, v0
	v_or_b32_e32 v30, 0x300, v0
	v_or_b32_e32 v29, 0x400, v0
	v_or_b32_e32 v28, 0x500, v0
	v_or_b32_e32 v27, 0x600, v0
	v_or_b32_e32 v26, 0x700, v0
	v_or_b32_e32 v25, 0x800, v0
	v_or_b32_e32 v24, 0x900, v0
	v_or_b32_e32 v22, 0xa00, v0
	v_or_b32_e32 v21, 0xb00, v0
	v_or_b32_e32 v20, 0xc00, v0
	v_addc_co_u32_e64 v18, s[0:1], 0, v15, s[0:1]
	s_cbranch_vccnz .LBB469_125
; %bb.72:
	v_mov_b32_e32 v2, s31
	v_subrev_co_u32_e32 v15, vcc, s30, v17
	s_sub_u32 s0, s28, s44
	v_subb_co_u32_e32 v16, vcc, v18, v2, vcc
	s_subb_u32 s1, s29, 0
	v_mov_b32_e32 v2, s1
	v_add_co_u32_e32 v23, vcc, s0, v1
	v_addc_co_u32_e32 v32, vcc, 0, v2, vcc
	v_add_co_u32_e32 v2, vcc, v23, v15
	v_addc_co_u32_e32 v23, vcc, v32, v16, vcc
	v_cmp_ge_u32_e32 vcc, v0, v1
                                        ; implicit-def: $vgpr15_vgpr16
	s_and_saveexec_b64 s[0:1], vcc
	s_xor_b64 s[0:1], exec, s[0:1]
; %bb.73:
	v_not_b32_e32 v15, v0
	v_ashrrev_i32_e32 v16, 31, v15
	v_add_co_u32_e32 v15, vcc, v2, v15
	v_addc_co_u32_e32 v16, vcc, v23, v16, vcc
; %bb.74:
	s_andn2_saveexec_b64 s[0:1], s[0:1]
; %bb.75:
	v_add_co_u32_e32 v15, vcc, v17, v0
	v_addc_co_u32_e32 v16, vcc, 0, v18, vcc
; %bb.76:
	s_or_b64 exec, exec, s[0:1]
	v_lshlrev_b64 v[15:16], 2, v[15:16]
	v_mov_b32_e32 v32, s27
	v_add_co_u32_e32 v15, vcc, s26, v15
	v_addc_co_u32_e32 v16, vcc, v32, v16, vcc
	v_cmp_ge_u32_e32 vcc, v33, v1
	s_waitcnt lgkmcnt(6)
	global_store_dword v[15:16], v13, off
                                        ; implicit-def: $vgpr15_vgpr16
	s_and_saveexec_b64 s[0:1], vcc
	s_xor_b64 s[0:1], exec, s[0:1]
; %bb.77:
	v_xor_b32_e32 v15, 0xfffffeff, v0
	v_ashrrev_i32_e32 v16, 31, v15
	v_add_co_u32_e32 v15, vcc, v2, v15
	v_addc_co_u32_e32 v16, vcc, v23, v16, vcc
; %bb.78:
	s_andn2_saveexec_b64 s[0:1], s[0:1]
; %bb.79:
	v_add_co_u32_e32 v15, vcc, v17, v33
	v_addc_co_u32_e32 v16, vcc, 0, v18, vcc
; %bb.80:
	s_or_b64 exec, exec, s[0:1]
	v_lshlrev_b64 v[15:16], 2, v[15:16]
	v_mov_b32_e32 v32, s27
	v_add_co_u32_e32 v15, vcc, s26, v15
	v_addc_co_u32_e32 v16, vcc, v32, v16, vcc
	v_cmp_ge_u32_e32 vcc, v31, v1
	global_store_dword v[15:16], v14, off
                                        ; implicit-def: $vgpr15_vgpr16
	s_and_saveexec_b64 s[0:1], vcc
	s_xor_b64 s[0:1], exec, s[0:1]
; %bb.81:
	v_xor_b32_e32 v15, 0xfffffdff, v0
	v_ashrrev_i32_e32 v16, 31, v15
	v_add_co_u32_e32 v15, vcc, v2, v15
	v_addc_co_u32_e32 v16, vcc, v23, v16, vcc
; %bb.82:
	s_andn2_saveexec_b64 s[0:1], s[0:1]
; %bb.83:
	v_add_co_u32_e32 v15, vcc, v17, v31
	v_addc_co_u32_e32 v16, vcc, 0, v18, vcc
; %bb.84:
	s_or_b64 exec, exec, s[0:1]
	v_lshlrev_b64 v[15:16], 2, v[15:16]
	v_mov_b32_e32 v32, s27
	v_add_co_u32_e32 v15, vcc, s26, v15
	v_addc_co_u32_e32 v16, vcc, v32, v16, vcc
	v_cmp_ge_u32_e32 vcc, v30, v1
	s_waitcnt lgkmcnt(5)
	global_store_dword v[15:16], v11, off
                                        ; implicit-def: $vgpr15_vgpr16
	s_and_saveexec_b64 s[0:1], vcc
	s_xor_b64 s[0:1], exec, s[0:1]
; %bb.85:
	v_xor_b32_e32 v15, 0xfffffcff, v0
	v_ashrrev_i32_e32 v16, 31, v15
	v_add_co_u32_e32 v15, vcc, v2, v15
	v_addc_co_u32_e32 v16, vcc, v23, v16, vcc
; %bb.86:
	s_andn2_saveexec_b64 s[0:1], s[0:1]
; %bb.87:
	v_add_co_u32_e32 v15, vcc, v17, v30
	v_addc_co_u32_e32 v16, vcc, 0, v18, vcc
; %bb.88:
	s_or_b64 exec, exec, s[0:1]
	v_lshlrev_b64 v[15:16], 2, v[15:16]
	v_mov_b32_e32 v32, s27
	v_add_co_u32_e32 v15, vcc, s26, v15
	v_addc_co_u32_e32 v16, vcc, v32, v16, vcc
	v_cmp_ge_u32_e32 vcc, v29, v1
	global_store_dword v[15:16], v12, off
                                        ; implicit-def: $vgpr15_vgpr16
	s_and_saveexec_b64 s[0:1], vcc
	s_xor_b64 s[0:1], exec, s[0:1]
; %bb.89:
	v_xor_b32_e32 v15, 0xfffffbff, v0
	;; [unrolled: 43-line block ×6, first 2 shown]
	v_ashrrev_i32_e32 v16, 31, v15
	v_add_co_u32_e32 v15, vcc, v2, v15
	v_addc_co_u32_e32 v16, vcc, v23, v16, vcc
; %bb.122:
	s_andn2_saveexec_b64 s[0:1], s[0:1]
; %bb.123:
	v_add_co_u32_e32 v15, vcc, v17, v20
	v_addc_co_u32_e32 v16, vcc, 0, v18, vcc
; %bb.124:
	s_or_b64 exec, exec, s[0:1]
	s_mov_b64 s[0:1], -1
	s_branch .LBB469_205
.LBB469_125:
	s_mov_b64 s[0:1], 0
                                        ; implicit-def: $vgpr15_vgpr16
	s_cbranch_execz .LBB469_205
; %bb.126:
	s_add_u32 s2, s30, s44
	s_addc_u32 s3, s31, 0
	s_sub_u32 s2, s28, s2
	s_subb_u32 s3, s29, s3
	v_mov_b32_e32 v2, s3
	v_add_co_u32_e32 v15, vcc, s2, v1
	v_addc_co_u32_e32 v2, vcc, 0, v2, vcc
	v_add_co_u32_e32 v23, vcc, v15, v17
	v_addc_co_u32_e32 v32, vcc, v2, v18, vcc
	v_cmp_gt_u32_e32 vcc, s33, v0
	s_and_saveexec_b64 s[2:3], vcc
	s_cbranch_execz .LBB469_162
; %bb.127:
	v_cmp_ge_u32_e32 vcc, v0, v1
                                        ; implicit-def: $vgpr15_vgpr16
	s_and_saveexec_b64 s[4:5], vcc
	s_xor_b64 s[4:5], exec, s[4:5]
; %bb.128:
	v_not_b32_e32 v2, v0
	v_ashrrev_i32_e32 v16, 31, v2
	v_add_co_u32_e32 v15, vcc, v23, v2
	v_addc_co_u32_e32 v16, vcc, v32, v16, vcc
; %bb.129:
	s_andn2_saveexec_b64 s[4:5], s[4:5]
; %bb.130:
	v_add_co_u32_e32 v15, vcc, v17, v0
	v_addc_co_u32_e32 v16, vcc, 0, v18, vcc
; %bb.131:
	s_or_b64 exec, exec, s[4:5]
	v_lshlrev_b64 v[15:16], 2, v[15:16]
	v_mov_b32_e32 v2, s27
	v_add_co_u32_e32 v15, vcc, s26, v15
	v_addc_co_u32_e32 v16, vcc, v2, v16, vcc
	s_waitcnt lgkmcnt(6)
	global_store_dword v[15:16], v13, off
	s_or_b64 exec, exec, s[2:3]
	v_cmp_gt_u32_e32 vcc, s33, v33
	s_and_saveexec_b64 s[2:3], vcc
	s_cbranch_execnz .LBB469_163
.LBB469_132:
	s_or_b64 exec, exec, s[2:3]
	v_cmp_gt_u32_e32 vcc, s33, v31
	s_and_saveexec_b64 s[2:3], vcc
	s_cbranch_execz .LBB469_168
.LBB469_133:
	v_cmp_ge_u32_e32 vcc, v31, v1
                                        ; implicit-def: $vgpr13_vgpr14
	s_and_saveexec_b64 s[4:5], vcc
	s_xor_b64 s[4:5], exec, s[4:5]
	s_cbranch_execz .LBB469_135
; %bb.134:
	v_xor_b32_e32 v2, 0xfffffdff, v0
	s_waitcnt lgkmcnt(6)
	v_ashrrev_i32_e32 v14, 31, v2
	v_add_co_u32_e32 v13, vcc, v23, v2
	v_addc_co_u32_e32 v14, vcc, v32, v14, vcc
                                        ; implicit-def: $vgpr31
.LBB469_135:
	s_andn2_saveexec_b64 s[4:5], s[4:5]
	s_cbranch_execz .LBB469_137
; %bb.136:
	s_waitcnt lgkmcnt(6)
	v_add_co_u32_e32 v13, vcc, v17, v31
	v_addc_co_u32_e32 v14, vcc, 0, v18, vcc
.LBB469_137:
	s_or_b64 exec, exec, s[4:5]
	s_waitcnt lgkmcnt(6)
	v_lshlrev_b64 v[13:14], 2, v[13:14]
	v_mov_b32_e32 v2, s27
	v_add_co_u32_e32 v13, vcc, s26, v13
	v_addc_co_u32_e32 v14, vcc, v2, v14, vcc
	s_waitcnt lgkmcnt(5)
	global_store_dword v[13:14], v11, off
	s_or_b64 exec, exec, s[2:3]
	v_cmp_gt_u32_e32 vcc, s33, v30
	s_and_saveexec_b64 s[2:3], vcc
	s_cbranch_execnz .LBB469_169
.LBB469_138:
	s_or_b64 exec, exec, s[2:3]
	v_cmp_gt_u32_e32 vcc, s33, v29
	s_and_saveexec_b64 s[2:3], vcc
	s_cbranch_execz .LBB469_174
.LBB469_139:
	v_cmp_ge_u32_e32 vcc, v29, v1
                                        ; implicit-def: $vgpr11_vgpr12
	s_and_saveexec_b64 s[4:5], vcc
	s_xor_b64 s[4:5], exec, s[4:5]
	s_cbranch_execz .LBB469_141
; %bb.140:
	v_xor_b32_e32 v2, 0xfffffbff, v0
	s_waitcnt lgkmcnt(5)
	v_ashrrev_i32_e32 v12, 31, v2
	v_add_co_u32_e32 v11, vcc, v23, v2
	v_addc_co_u32_e32 v12, vcc, v32, v12, vcc
                                        ; implicit-def: $vgpr29
.LBB469_141:
	s_andn2_saveexec_b64 s[4:5], s[4:5]
	s_cbranch_execz .LBB469_143
; %bb.142:
	s_waitcnt lgkmcnt(5)
	v_add_co_u32_e32 v11, vcc, v17, v29
	v_addc_co_u32_e32 v12, vcc, 0, v18, vcc
.LBB469_143:
	s_or_b64 exec, exec, s[4:5]
	s_waitcnt lgkmcnt(5)
	v_lshlrev_b64 v[11:12], 2, v[11:12]
	v_mov_b32_e32 v2, s27
	v_add_co_u32_e32 v11, vcc, s26, v11
	v_addc_co_u32_e32 v12, vcc, v2, v12, vcc
	s_waitcnt lgkmcnt(4)
	global_store_dword v[11:12], v9, off
	s_or_b64 exec, exec, s[2:3]
	v_cmp_gt_u32_e32 vcc, s33, v28
	s_and_saveexec_b64 s[2:3], vcc
	s_cbranch_execnz .LBB469_175
.LBB469_144:
	s_or_b64 exec, exec, s[2:3]
	v_cmp_gt_u32_e32 vcc, s33, v27
	s_and_saveexec_b64 s[2:3], vcc
	s_cbranch_execz .LBB469_180
.LBB469_145:
	v_cmp_ge_u32_e32 vcc, v27, v1
                                        ; implicit-def: $vgpr9_vgpr10
	s_and_saveexec_b64 s[4:5], vcc
	s_xor_b64 s[4:5], exec, s[4:5]
	s_cbranch_execz .LBB469_147
; %bb.146:
	v_xor_b32_e32 v2, 0xfffff9ff, v0
	s_waitcnt lgkmcnt(4)
	v_ashrrev_i32_e32 v10, 31, v2
	v_add_co_u32_e32 v9, vcc, v23, v2
	v_addc_co_u32_e32 v10, vcc, v32, v10, vcc
                                        ; implicit-def: $vgpr27
.LBB469_147:
	s_andn2_saveexec_b64 s[4:5], s[4:5]
	s_cbranch_execz .LBB469_149
; %bb.148:
	s_waitcnt lgkmcnt(4)
	v_add_co_u32_e32 v9, vcc, v17, v27
	v_addc_co_u32_e32 v10, vcc, 0, v18, vcc
.LBB469_149:
	s_or_b64 exec, exec, s[4:5]
	s_waitcnt lgkmcnt(4)
	v_lshlrev_b64 v[9:10], 2, v[9:10]
	v_mov_b32_e32 v2, s27
	v_add_co_u32_e32 v9, vcc, s26, v9
	v_addc_co_u32_e32 v10, vcc, v2, v10, vcc
	s_waitcnt lgkmcnt(3)
	global_store_dword v[9:10], v7, off
	s_or_b64 exec, exec, s[2:3]
	v_cmp_gt_u32_e32 vcc, s33, v26
	s_and_saveexec_b64 s[2:3], vcc
	s_cbranch_execnz .LBB469_181
.LBB469_150:
	s_or_b64 exec, exec, s[2:3]
	v_cmp_gt_u32_e32 vcc, s33, v25
	s_and_saveexec_b64 s[2:3], vcc
	s_cbranch_execz .LBB469_186
.LBB469_151:
	v_cmp_ge_u32_e32 vcc, v25, v1
                                        ; implicit-def: $vgpr7_vgpr8
	s_and_saveexec_b64 s[4:5], vcc
	s_xor_b64 s[4:5], exec, s[4:5]
	s_cbranch_execz .LBB469_153
; %bb.152:
	v_xor_b32_e32 v2, 0xfffff7ff, v0
	s_waitcnt lgkmcnt(3)
	v_ashrrev_i32_e32 v8, 31, v2
	v_add_co_u32_e32 v7, vcc, v23, v2
	v_addc_co_u32_e32 v8, vcc, v32, v8, vcc
                                        ; implicit-def: $vgpr25
.LBB469_153:
	s_andn2_saveexec_b64 s[4:5], s[4:5]
	s_cbranch_execz .LBB469_155
; %bb.154:
	s_waitcnt lgkmcnt(3)
	v_add_co_u32_e32 v7, vcc, v17, v25
	v_addc_co_u32_e32 v8, vcc, 0, v18, vcc
.LBB469_155:
	s_or_b64 exec, exec, s[4:5]
	s_waitcnt lgkmcnt(3)
	v_lshlrev_b64 v[7:8], 2, v[7:8]
	v_mov_b32_e32 v2, s27
	v_add_co_u32_e32 v7, vcc, s26, v7
	v_addc_co_u32_e32 v8, vcc, v2, v8, vcc
	s_waitcnt lgkmcnt(2)
	global_store_dword v[7:8], v5, off
	s_or_b64 exec, exec, s[2:3]
	v_cmp_gt_u32_e32 vcc, s33, v24
	s_and_saveexec_b64 s[2:3], vcc
	s_cbranch_execnz .LBB469_187
.LBB469_156:
	s_or_b64 exec, exec, s[2:3]
	v_cmp_gt_u32_e32 vcc, s33, v22
	s_and_saveexec_b64 s[2:3], vcc
	s_cbranch_execz .LBB469_192
.LBB469_157:
	v_cmp_ge_u32_e32 vcc, v22, v1
                                        ; implicit-def: $vgpr5_vgpr6
	s_and_saveexec_b64 s[4:5], vcc
	s_xor_b64 s[4:5], exec, s[4:5]
	s_cbranch_execz .LBB469_159
; %bb.158:
	v_xor_b32_e32 v2, 0xfffff5ff, v0
	s_waitcnt lgkmcnt(2)
	v_ashrrev_i32_e32 v6, 31, v2
	v_add_co_u32_e32 v5, vcc, v23, v2
	v_addc_co_u32_e32 v6, vcc, v32, v6, vcc
                                        ; implicit-def: $vgpr22
.LBB469_159:
	s_andn2_saveexec_b64 s[4:5], s[4:5]
	s_cbranch_execz .LBB469_161
; %bb.160:
	s_waitcnt lgkmcnt(2)
	v_add_co_u32_e32 v5, vcc, v17, v22
	v_addc_co_u32_e32 v6, vcc, 0, v18, vcc
.LBB469_161:
	s_or_b64 exec, exec, s[4:5]
	s_waitcnt lgkmcnt(2)
	v_lshlrev_b64 v[5:6], 2, v[5:6]
	v_mov_b32_e32 v2, s27
	v_add_co_u32_e32 v5, vcc, s26, v5
	v_addc_co_u32_e32 v6, vcc, v2, v6, vcc
	s_waitcnt lgkmcnt(1)
	global_store_dword v[5:6], v3, off
	s_or_b64 exec, exec, s[2:3]
	v_cmp_gt_u32_e32 vcc, s33, v21
	s_and_saveexec_b64 s[2:3], vcc
	s_cbranch_execz .LBB469_198
	s_branch .LBB469_193
.LBB469_162:
	s_or_b64 exec, exec, s[2:3]
	v_cmp_gt_u32_e32 vcc, s33, v33
	s_and_saveexec_b64 s[2:3], vcc
	s_cbranch_execz .LBB469_132
.LBB469_163:
	v_cmp_ge_u32_e32 vcc, v33, v1
                                        ; implicit-def: $vgpr15_vgpr16
	s_and_saveexec_b64 s[4:5], vcc
	s_xor_b64 s[4:5], exec, s[4:5]
	s_cbranch_execz .LBB469_165
; %bb.164:
	v_xor_b32_e32 v2, 0xfffffeff, v0
	s_waitcnt lgkmcnt(6)
	v_ashrrev_i32_e32 v13, 31, v2
	v_add_co_u32_e32 v15, vcc, v23, v2
	v_addc_co_u32_e32 v16, vcc, v32, v13, vcc
                                        ; implicit-def: $vgpr33
.LBB469_165:
	s_andn2_saveexec_b64 s[4:5], s[4:5]
; %bb.166:
	v_add_co_u32_e32 v15, vcc, v17, v33
	v_addc_co_u32_e32 v16, vcc, 0, v18, vcc
; %bb.167:
	s_or_b64 exec, exec, s[4:5]
	v_lshlrev_b64 v[15:16], 2, v[15:16]
	v_mov_b32_e32 v2, s27
	v_add_co_u32_e32 v15, vcc, s26, v15
	v_addc_co_u32_e32 v16, vcc, v2, v16, vcc
	s_waitcnt lgkmcnt(6)
	global_store_dword v[15:16], v14, off
	s_or_b64 exec, exec, s[2:3]
	v_cmp_gt_u32_e32 vcc, s33, v31
	s_and_saveexec_b64 s[2:3], vcc
	s_cbranch_execnz .LBB469_133
.LBB469_168:
	s_or_b64 exec, exec, s[2:3]
	v_cmp_gt_u32_e32 vcc, s33, v30
	s_and_saveexec_b64 s[2:3], vcc
	s_cbranch_execz .LBB469_138
.LBB469_169:
	v_cmp_ge_u32_e32 vcc, v30, v1
                                        ; implicit-def: $vgpr13_vgpr14
	s_and_saveexec_b64 s[4:5], vcc
	s_xor_b64 s[4:5], exec, s[4:5]
	s_cbranch_execz .LBB469_171
; %bb.170:
	v_xor_b32_e32 v2, 0xfffffcff, v0
	s_waitcnt lgkmcnt(5)
	v_ashrrev_i32_e32 v11, 31, v2
	v_add_co_u32_e32 v13, vcc, v23, v2
	v_addc_co_u32_e32 v14, vcc, v32, v11, vcc
                                        ; implicit-def: $vgpr30
.LBB469_171:
	s_andn2_saveexec_b64 s[4:5], s[4:5]
	s_cbranch_execz .LBB469_173
; %bb.172:
	s_waitcnt lgkmcnt(6)
	v_add_co_u32_e32 v13, vcc, v17, v30
	v_addc_co_u32_e32 v14, vcc, 0, v18, vcc
.LBB469_173:
	s_or_b64 exec, exec, s[4:5]
	s_waitcnt lgkmcnt(6)
	v_lshlrev_b64 v[13:14], 2, v[13:14]
	v_mov_b32_e32 v2, s27
	v_add_co_u32_e32 v13, vcc, s26, v13
	v_addc_co_u32_e32 v14, vcc, v2, v14, vcc
	s_waitcnt lgkmcnt(5)
	global_store_dword v[13:14], v12, off
	s_or_b64 exec, exec, s[2:3]
	v_cmp_gt_u32_e32 vcc, s33, v29
	s_and_saveexec_b64 s[2:3], vcc
	s_cbranch_execnz .LBB469_139
.LBB469_174:
	s_or_b64 exec, exec, s[2:3]
	v_cmp_gt_u32_e32 vcc, s33, v28
	s_and_saveexec_b64 s[2:3], vcc
	s_cbranch_execz .LBB469_144
.LBB469_175:
	v_cmp_ge_u32_e32 vcc, v28, v1
                                        ; implicit-def: $vgpr11_vgpr12
	s_and_saveexec_b64 s[4:5], vcc
	s_xor_b64 s[4:5], exec, s[4:5]
	s_cbranch_execz .LBB469_177
; %bb.176:
	v_xor_b32_e32 v2, 0xfffffaff, v0
	s_waitcnt lgkmcnt(4)
	v_ashrrev_i32_e32 v9, 31, v2
	v_add_co_u32_e32 v11, vcc, v23, v2
	v_addc_co_u32_e32 v12, vcc, v32, v9, vcc
                                        ; implicit-def: $vgpr28
.LBB469_177:
	s_andn2_saveexec_b64 s[4:5], s[4:5]
	s_cbranch_execz .LBB469_179
; %bb.178:
	s_waitcnt lgkmcnt(5)
	v_add_co_u32_e32 v11, vcc, v17, v28
	v_addc_co_u32_e32 v12, vcc, 0, v18, vcc
.LBB469_179:
	s_or_b64 exec, exec, s[4:5]
	s_waitcnt lgkmcnt(5)
	v_lshlrev_b64 v[11:12], 2, v[11:12]
	v_mov_b32_e32 v2, s27
	v_add_co_u32_e32 v11, vcc, s26, v11
	v_addc_co_u32_e32 v12, vcc, v2, v12, vcc
	s_waitcnt lgkmcnt(4)
	global_store_dword v[11:12], v10, off
	s_or_b64 exec, exec, s[2:3]
	v_cmp_gt_u32_e32 vcc, s33, v27
	s_and_saveexec_b64 s[2:3], vcc
	s_cbranch_execnz .LBB469_145
.LBB469_180:
	s_or_b64 exec, exec, s[2:3]
	v_cmp_gt_u32_e32 vcc, s33, v26
	s_and_saveexec_b64 s[2:3], vcc
	s_cbranch_execz .LBB469_150
.LBB469_181:
	v_cmp_ge_u32_e32 vcc, v26, v1
                                        ; implicit-def: $vgpr9_vgpr10
	s_and_saveexec_b64 s[4:5], vcc
	s_xor_b64 s[4:5], exec, s[4:5]
	s_cbranch_execz .LBB469_183
; %bb.182:
	v_xor_b32_e32 v2, 0xfffff8ff, v0
	s_waitcnt lgkmcnt(3)
	v_ashrrev_i32_e32 v7, 31, v2
	v_add_co_u32_e32 v9, vcc, v23, v2
	v_addc_co_u32_e32 v10, vcc, v32, v7, vcc
                                        ; implicit-def: $vgpr26
.LBB469_183:
	s_andn2_saveexec_b64 s[4:5], s[4:5]
	s_cbranch_execz .LBB469_185
; %bb.184:
	s_waitcnt lgkmcnt(4)
	v_add_co_u32_e32 v9, vcc, v17, v26
	v_addc_co_u32_e32 v10, vcc, 0, v18, vcc
.LBB469_185:
	s_or_b64 exec, exec, s[4:5]
	s_waitcnt lgkmcnt(4)
	v_lshlrev_b64 v[9:10], 2, v[9:10]
	v_mov_b32_e32 v2, s27
	v_add_co_u32_e32 v9, vcc, s26, v9
	v_addc_co_u32_e32 v10, vcc, v2, v10, vcc
	s_waitcnt lgkmcnt(3)
	global_store_dword v[9:10], v8, off
	s_or_b64 exec, exec, s[2:3]
	v_cmp_gt_u32_e32 vcc, s33, v25
	s_and_saveexec_b64 s[2:3], vcc
	s_cbranch_execnz .LBB469_151
.LBB469_186:
	s_or_b64 exec, exec, s[2:3]
	v_cmp_gt_u32_e32 vcc, s33, v24
	s_and_saveexec_b64 s[2:3], vcc
	s_cbranch_execz .LBB469_156
.LBB469_187:
	v_cmp_ge_u32_e32 vcc, v24, v1
                                        ; implicit-def: $vgpr7_vgpr8
	s_and_saveexec_b64 s[4:5], vcc
	s_xor_b64 s[4:5], exec, s[4:5]
	s_cbranch_execz .LBB469_189
; %bb.188:
	v_xor_b32_e32 v2, 0xfffff6ff, v0
	s_waitcnt lgkmcnt(2)
	v_ashrrev_i32_e32 v5, 31, v2
	v_add_co_u32_e32 v7, vcc, v23, v2
	v_addc_co_u32_e32 v8, vcc, v32, v5, vcc
                                        ; implicit-def: $vgpr24
.LBB469_189:
	s_andn2_saveexec_b64 s[4:5], s[4:5]
	s_cbranch_execz .LBB469_191
; %bb.190:
	s_waitcnt lgkmcnt(3)
	v_add_co_u32_e32 v7, vcc, v17, v24
	v_addc_co_u32_e32 v8, vcc, 0, v18, vcc
.LBB469_191:
	s_or_b64 exec, exec, s[4:5]
	s_waitcnt lgkmcnt(3)
	v_lshlrev_b64 v[7:8], 2, v[7:8]
	v_mov_b32_e32 v2, s27
	v_add_co_u32_e32 v7, vcc, s26, v7
	v_addc_co_u32_e32 v8, vcc, v2, v8, vcc
	s_waitcnt lgkmcnt(2)
	global_store_dword v[7:8], v6, off
	s_or_b64 exec, exec, s[2:3]
	v_cmp_gt_u32_e32 vcc, s33, v22
	s_and_saveexec_b64 s[2:3], vcc
	s_cbranch_execnz .LBB469_157
.LBB469_192:
	s_or_b64 exec, exec, s[2:3]
	v_cmp_gt_u32_e32 vcc, s33, v21
	s_and_saveexec_b64 s[2:3], vcc
	s_cbranch_execz .LBB469_198
.LBB469_193:
	v_cmp_ge_u32_e32 vcc, v21, v1
                                        ; implicit-def: $vgpr2_vgpr3
	s_and_saveexec_b64 s[4:5], vcc
	s_xor_b64 s[4:5], exec, s[4:5]
	s_cbranch_execz .LBB469_195
; %bb.194:
	v_xor_b32_e32 v2, 0xfffff4ff, v0
	s_waitcnt lgkmcnt(1)
	v_ashrrev_i32_e32 v3, 31, v2
	v_add_co_u32_e32 v2, vcc, v23, v2
	v_addc_co_u32_e32 v3, vcc, v32, v3, vcc
                                        ; implicit-def: $vgpr21
.LBB469_195:
	s_andn2_saveexec_b64 s[4:5], s[4:5]
	s_cbranch_execz .LBB469_197
; %bb.196:
	v_add_co_u32_e32 v2, vcc, v17, v21
	s_waitcnt lgkmcnt(1)
	v_addc_co_u32_e32 v3, vcc, 0, v18, vcc
.LBB469_197:
	s_or_b64 exec, exec, s[4:5]
	s_waitcnt lgkmcnt(1)
	v_lshlrev_b64 v[2:3], 2, v[2:3]
	v_mov_b32_e32 v5, s27
	v_add_co_u32_e32 v2, vcc, s26, v2
	v_addc_co_u32_e32 v3, vcc, v5, v3, vcc
	global_store_dword v[2:3], v4, off
.LBB469_198:
	s_or_b64 exec, exec, s[2:3]
	v_cmp_gt_u32_e32 vcc, s33, v20
                                        ; implicit-def: $vgpr15_vgpr16
	s_and_saveexec_b64 s[2:3], vcc
	s_cbranch_execz .LBB469_204
; %bb.199:
	v_cmp_ge_u32_e32 vcc, v20, v1
                                        ; implicit-def: $vgpr15_vgpr16
	s_and_saveexec_b64 s[4:5], vcc
	s_xor_b64 s[4:5], exec, s[4:5]
	s_cbranch_execz .LBB469_201
; %bb.200:
	v_xor_b32_e32 v2, 0xfffff3ff, v0
	s_waitcnt lgkmcnt(1)
	v_ashrrev_i32_e32 v3, 31, v2
	v_add_co_u32_e32 v15, vcc, v23, v2
	v_addc_co_u32_e32 v16, vcc, v32, v3, vcc
                                        ; implicit-def: $vgpr20
.LBB469_201:
	s_andn2_saveexec_b64 s[4:5], s[4:5]
; %bb.202:
	v_add_co_u32_e32 v15, vcc, v17, v20
	v_addc_co_u32_e32 v16, vcc, 0, v18, vcc
; %bb.203:
	s_or_b64 exec, exec, s[4:5]
	s_or_b64 s[0:1], s[0:1], exec
.LBB469_204:
	s_or_b64 exec, exec, s[2:3]
.LBB469_205:
	s_and_saveexec_b64 s[2:3], s[0:1]
	s_cbranch_execz .LBB469_207
; %bb.206:
	s_waitcnt lgkmcnt(1)
	v_lshlrev_b64 v[2:3], 2, v[15:16]
	v_mov_b32_e32 v4, s27
	v_add_co_u32_e32 v2, vcc, s26, v2
	v_addc_co_u32_e32 v3, vcc, v4, v3, vcc
	s_waitcnt lgkmcnt(0)
	global_store_dword v[2:3], v19, off
.LBB469_207:
	s_or_b64 exec, exec, s[2:3]
	v_cmp_eq_u32_e32 vcc, 0, v0
	s_and_b64 s[0:1], vcc, s[22:23]
	s_and_saveexec_b64 s[2:3], s[0:1]
	s_cbranch_execz .LBB469_209
; %bb.208:
	v_add_co_u32_e32 v0, vcc, v17, v1
	v_mov_b32_e32 v2, 0
	v_addc_co_u32_e32 v1, vcc, 0, v18, vcc
	global_store_dwordx2 v2, v[0:1], s[24:25]
.LBB469_209:
	s_endpgm
	.section	.rodata,"a",@progbits
	.p2align	6, 0x0
	.amdhsa_kernel _ZN7rocprim17ROCPRIM_400000_NS6detail17trampoline_kernelINS0_13select_configILj256ELj13ELNS0_17block_load_methodE3ELS4_3ELS4_3ELNS0_20block_scan_algorithmE0ELj4294967295EEENS1_25partition_config_selectorILNS1_17partition_subalgoE3EjNS0_10empty_typeEbEEZZNS1_14partition_implILS8_3ELb0ES6_jNS0_17counting_iteratorIjlEEPS9_SE_NS0_5tupleIJPjSE_EEENSF_IJSE_SE_EEES9_SG_JZNS1_25segmented_radix_sort_implINS0_14default_configELb1EPKiPiPKlPlN2at6native12_GLOBAL__N_18offset_tEEE10hipError_tPvRmT1_PNSt15iterator_traitsISY_E10value_typeET2_T3_PNSZ_IS14_E10value_typeET4_jRbjT5_S1A_jjP12ihipStream_tbEUljE_EEESV_SW_SX_S14_S18_S1A_T6_T7_T9_mT8_S1C_bDpT10_ENKUlT_T0_E_clISt17integral_constantIbLb0EES1P_EEDaS1K_S1L_EUlS1K_E_NS1_11comp_targetILNS1_3genE2ELNS1_11target_archE906ELNS1_3gpuE6ELNS1_3repE0EEENS1_30default_config_static_selectorELNS0_4arch9wavefront6targetE1EEEvSY_
		.amdhsa_group_segment_fixed_size 13320
		.amdhsa_private_segment_fixed_size 0
		.amdhsa_kernarg_size 144
		.amdhsa_user_sgpr_count 6
		.amdhsa_user_sgpr_private_segment_buffer 1
		.amdhsa_user_sgpr_dispatch_ptr 0
		.amdhsa_user_sgpr_queue_ptr 0
		.amdhsa_user_sgpr_kernarg_segment_ptr 1
		.amdhsa_user_sgpr_dispatch_id 0
		.amdhsa_user_sgpr_flat_scratch_init 0
		.amdhsa_user_sgpr_private_segment_size 0
		.amdhsa_uses_dynamic_stack 0
		.amdhsa_system_sgpr_private_segment_wavefront_offset 0
		.amdhsa_system_sgpr_workgroup_id_x 1
		.amdhsa_system_sgpr_workgroup_id_y 0
		.amdhsa_system_sgpr_workgroup_id_z 0
		.amdhsa_system_sgpr_workgroup_info 0
		.amdhsa_system_vgpr_workitem_id 0
		.amdhsa_next_free_vgpr 69
		.amdhsa_next_free_sgpr 98
		.amdhsa_reserve_vcc 1
		.amdhsa_reserve_flat_scratch 0
		.amdhsa_float_round_mode_32 0
		.amdhsa_float_round_mode_16_64 0
		.amdhsa_float_denorm_mode_32 3
		.amdhsa_float_denorm_mode_16_64 3
		.amdhsa_dx10_clamp 1
		.amdhsa_ieee_mode 1
		.amdhsa_fp16_overflow 0
		.amdhsa_exception_fp_ieee_invalid_op 0
		.amdhsa_exception_fp_denorm_src 0
		.amdhsa_exception_fp_ieee_div_zero 0
		.amdhsa_exception_fp_ieee_overflow 0
		.amdhsa_exception_fp_ieee_underflow 0
		.amdhsa_exception_fp_ieee_inexact 0
		.amdhsa_exception_int_div_zero 0
	.end_amdhsa_kernel
	.section	.text._ZN7rocprim17ROCPRIM_400000_NS6detail17trampoline_kernelINS0_13select_configILj256ELj13ELNS0_17block_load_methodE3ELS4_3ELS4_3ELNS0_20block_scan_algorithmE0ELj4294967295EEENS1_25partition_config_selectorILNS1_17partition_subalgoE3EjNS0_10empty_typeEbEEZZNS1_14partition_implILS8_3ELb0ES6_jNS0_17counting_iteratorIjlEEPS9_SE_NS0_5tupleIJPjSE_EEENSF_IJSE_SE_EEES9_SG_JZNS1_25segmented_radix_sort_implINS0_14default_configELb1EPKiPiPKlPlN2at6native12_GLOBAL__N_18offset_tEEE10hipError_tPvRmT1_PNSt15iterator_traitsISY_E10value_typeET2_T3_PNSZ_IS14_E10value_typeET4_jRbjT5_S1A_jjP12ihipStream_tbEUljE_EEESV_SW_SX_S14_S18_S1A_T6_T7_T9_mT8_S1C_bDpT10_ENKUlT_T0_E_clISt17integral_constantIbLb0EES1P_EEDaS1K_S1L_EUlS1K_E_NS1_11comp_targetILNS1_3genE2ELNS1_11target_archE906ELNS1_3gpuE6ELNS1_3repE0EEENS1_30default_config_static_selectorELNS0_4arch9wavefront6targetE1EEEvSY_,"axG",@progbits,_ZN7rocprim17ROCPRIM_400000_NS6detail17trampoline_kernelINS0_13select_configILj256ELj13ELNS0_17block_load_methodE3ELS4_3ELS4_3ELNS0_20block_scan_algorithmE0ELj4294967295EEENS1_25partition_config_selectorILNS1_17partition_subalgoE3EjNS0_10empty_typeEbEEZZNS1_14partition_implILS8_3ELb0ES6_jNS0_17counting_iteratorIjlEEPS9_SE_NS0_5tupleIJPjSE_EEENSF_IJSE_SE_EEES9_SG_JZNS1_25segmented_radix_sort_implINS0_14default_configELb1EPKiPiPKlPlN2at6native12_GLOBAL__N_18offset_tEEE10hipError_tPvRmT1_PNSt15iterator_traitsISY_E10value_typeET2_T3_PNSZ_IS14_E10value_typeET4_jRbjT5_S1A_jjP12ihipStream_tbEUljE_EEESV_SW_SX_S14_S18_S1A_T6_T7_T9_mT8_S1C_bDpT10_ENKUlT_T0_E_clISt17integral_constantIbLb0EES1P_EEDaS1K_S1L_EUlS1K_E_NS1_11comp_targetILNS1_3genE2ELNS1_11target_archE906ELNS1_3gpuE6ELNS1_3repE0EEENS1_30default_config_static_selectorELNS0_4arch9wavefront6targetE1EEEvSY_,comdat
.Lfunc_end469:
	.size	_ZN7rocprim17ROCPRIM_400000_NS6detail17trampoline_kernelINS0_13select_configILj256ELj13ELNS0_17block_load_methodE3ELS4_3ELS4_3ELNS0_20block_scan_algorithmE0ELj4294967295EEENS1_25partition_config_selectorILNS1_17partition_subalgoE3EjNS0_10empty_typeEbEEZZNS1_14partition_implILS8_3ELb0ES6_jNS0_17counting_iteratorIjlEEPS9_SE_NS0_5tupleIJPjSE_EEENSF_IJSE_SE_EEES9_SG_JZNS1_25segmented_radix_sort_implINS0_14default_configELb1EPKiPiPKlPlN2at6native12_GLOBAL__N_18offset_tEEE10hipError_tPvRmT1_PNSt15iterator_traitsISY_E10value_typeET2_T3_PNSZ_IS14_E10value_typeET4_jRbjT5_S1A_jjP12ihipStream_tbEUljE_EEESV_SW_SX_S14_S18_S1A_T6_T7_T9_mT8_S1C_bDpT10_ENKUlT_T0_E_clISt17integral_constantIbLb0EES1P_EEDaS1K_S1L_EUlS1K_E_NS1_11comp_targetILNS1_3genE2ELNS1_11target_archE906ELNS1_3gpuE6ELNS1_3repE0EEENS1_30default_config_static_selectorELNS0_4arch9wavefront6targetE1EEEvSY_, .Lfunc_end469-_ZN7rocprim17ROCPRIM_400000_NS6detail17trampoline_kernelINS0_13select_configILj256ELj13ELNS0_17block_load_methodE3ELS4_3ELS4_3ELNS0_20block_scan_algorithmE0ELj4294967295EEENS1_25partition_config_selectorILNS1_17partition_subalgoE3EjNS0_10empty_typeEbEEZZNS1_14partition_implILS8_3ELb0ES6_jNS0_17counting_iteratorIjlEEPS9_SE_NS0_5tupleIJPjSE_EEENSF_IJSE_SE_EEES9_SG_JZNS1_25segmented_radix_sort_implINS0_14default_configELb1EPKiPiPKlPlN2at6native12_GLOBAL__N_18offset_tEEE10hipError_tPvRmT1_PNSt15iterator_traitsISY_E10value_typeET2_T3_PNSZ_IS14_E10value_typeET4_jRbjT5_S1A_jjP12ihipStream_tbEUljE_EEESV_SW_SX_S14_S18_S1A_T6_T7_T9_mT8_S1C_bDpT10_ENKUlT_T0_E_clISt17integral_constantIbLb0EES1P_EEDaS1K_S1L_EUlS1K_E_NS1_11comp_targetILNS1_3genE2ELNS1_11target_archE906ELNS1_3gpuE6ELNS1_3repE0EEENS1_30default_config_static_selectorELNS0_4arch9wavefront6targetE1EEEvSY_
                                        ; -- End function
	.set _ZN7rocprim17ROCPRIM_400000_NS6detail17trampoline_kernelINS0_13select_configILj256ELj13ELNS0_17block_load_methodE3ELS4_3ELS4_3ELNS0_20block_scan_algorithmE0ELj4294967295EEENS1_25partition_config_selectorILNS1_17partition_subalgoE3EjNS0_10empty_typeEbEEZZNS1_14partition_implILS8_3ELb0ES6_jNS0_17counting_iteratorIjlEEPS9_SE_NS0_5tupleIJPjSE_EEENSF_IJSE_SE_EEES9_SG_JZNS1_25segmented_radix_sort_implINS0_14default_configELb1EPKiPiPKlPlN2at6native12_GLOBAL__N_18offset_tEEE10hipError_tPvRmT1_PNSt15iterator_traitsISY_E10value_typeET2_T3_PNSZ_IS14_E10value_typeET4_jRbjT5_S1A_jjP12ihipStream_tbEUljE_EEESV_SW_SX_S14_S18_S1A_T6_T7_T9_mT8_S1C_bDpT10_ENKUlT_T0_E_clISt17integral_constantIbLb0EES1P_EEDaS1K_S1L_EUlS1K_E_NS1_11comp_targetILNS1_3genE2ELNS1_11target_archE906ELNS1_3gpuE6ELNS1_3repE0EEENS1_30default_config_static_selectorELNS0_4arch9wavefront6targetE1EEEvSY_.num_vgpr, 69
	.set _ZN7rocprim17ROCPRIM_400000_NS6detail17trampoline_kernelINS0_13select_configILj256ELj13ELNS0_17block_load_methodE3ELS4_3ELS4_3ELNS0_20block_scan_algorithmE0ELj4294967295EEENS1_25partition_config_selectorILNS1_17partition_subalgoE3EjNS0_10empty_typeEbEEZZNS1_14partition_implILS8_3ELb0ES6_jNS0_17counting_iteratorIjlEEPS9_SE_NS0_5tupleIJPjSE_EEENSF_IJSE_SE_EEES9_SG_JZNS1_25segmented_radix_sort_implINS0_14default_configELb1EPKiPiPKlPlN2at6native12_GLOBAL__N_18offset_tEEE10hipError_tPvRmT1_PNSt15iterator_traitsISY_E10value_typeET2_T3_PNSZ_IS14_E10value_typeET4_jRbjT5_S1A_jjP12ihipStream_tbEUljE_EEESV_SW_SX_S14_S18_S1A_T6_T7_T9_mT8_S1C_bDpT10_ENKUlT_T0_E_clISt17integral_constantIbLb0EES1P_EEDaS1K_S1L_EUlS1K_E_NS1_11comp_targetILNS1_3genE2ELNS1_11target_archE906ELNS1_3gpuE6ELNS1_3repE0EEENS1_30default_config_static_selectorELNS0_4arch9wavefront6targetE1EEEvSY_.num_agpr, 0
	.set _ZN7rocprim17ROCPRIM_400000_NS6detail17trampoline_kernelINS0_13select_configILj256ELj13ELNS0_17block_load_methodE3ELS4_3ELS4_3ELNS0_20block_scan_algorithmE0ELj4294967295EEENS1_25partition_config_selectorILNS1_17partition_subalgoE3EjNS0_10empty_typeEbEEZZNS1_14partition_implILS8_3ELb0ES6_jNS0_17counting_iteratorIjlEEPS9_SE_NS0_5tupleIJPjSE_EEENSF_IJSE_SE_EEES9_SG_JZNS1_25segmented_radix_sort_implINS0_14default_configELb1EPKiPiPKlPlN2at6native12_GLOBAL__N_18offset_tEEE10hipError_tPvRmT1_PNSt15iterator_traitsISY_E10value_typeET2_T3_PNSZ_IS14_E10value_typeET4_jRbjT5_S1A_jjP12ihipStream_tbEUljE_EEESV_SW_SX_S14_S18_S1A_T6_T7_T9_mT8_S1C_bDpT10_ENKUlT_T0_E_clISt17integral_constantIbLb0EES1P_EEDaS1K_S1L_EUlS1K_E_NS1_11comp_targetILNS1_3genE2ELNS1_11target_archE906ELNS1_3gpuE6ELNS1_3repE0EEENS1_30default_config_static_selectorELNS0_4arch9wavefront6targetE1EEEvSY_.numbered_sgpr, 48
	.set _ZN7rocprim17ROCPRIM_400000_NS6detail17trampoline_kernelINS0_13select_configILj256ELj13ELNS0_17block_load_methodE3ELS4_3ELS4_3ELNS0_20block_scan_algorithmE0ELj4294967295EEENS1_25partition_config_selectorILNS1_17partition_subalgoE3EjNS0_10empty_typeEbEEZZNS1_14partition_implILS8_3ELb0ES6_jNS0_17counting_iteratorIjlEEPS9_SE_NS0_5tupleIJPjSE_EEENSF_IJSE_SE_EEES9_SG_JZNS1_25segmented_radix_sort_implINS0_14default_configELb1EPKiPiPKlPlN2at6native12_GLOBAL__N_18offset_tEEE10hipError_tPvRmT1_PNSt15iterator_traitsISY_E10value_typeET2_T3_PNSZ_IS14_E10value_typeET4_jRbjT5_S1A_jjP12ihipStream_tbEUljE_EEESV_SW_SX_S14_S18_S1A_T6_T7_T9_mT8_S1C_bDpT10_ENKUlT_T0_E_clISt17integral_constantIbLb0EES1P_EEDaS1K_S1L_EUlS1K_E_NS1_11comp_targetILNS1_3genE2ELNS1_11target_archE906ELNS1_3gpuE6ELNS1_3repE0EEENS1_30default_config_static_selectorELNS0_4arch9wavefront6targetE1EEEvSY_.num_named_barrier, 0
	.set _ZN7rocprim17ROCPRIM_400000_NS6detail17trampoline_kernelINS0_13select_configILj256ELj13ELNS0_17block_load_methodE3ELS4_3ELS4_3ELNS0_20block_scan_algorithmE0ELj4294967295EEENS1_25partition_config_selectorILNS1_17partition_subalgoE3EjNS0_10empty_typeEbEEZZNS1_14partition_implILS8_3ELb0ES6_jNS0_17counting_iteratorIjlEEPS9_SE_NS0_5tupleIJPjSE_EEENSF_IJSE_SE_EEES9_SG_JZNS1_25segmented_radix_sort_implINS0_14default_configELb1EPKiPiPKlPlN2at6native12_GLOBAL__N_18offset_tEEE10hipError_tPvRmT1_PNSt15iterator_traitsISY_E10value_typeET2_T3_PNSZ_IS14_E10value_typeET4_jRbjT5_S1A_jjP12ihipStream_tbEUljE_EEESV_SW_SX_S14_S18_S1A_T6_T7_T9_mT8_S1C_bDpT10_ENKUlT_T0_E_clISt17integral_constantIbLb0EES1P_EEDaS1K_S1L_EUlS1K_E_NS1_11comp_targetILNS1_3genE2ELNS1_11target_archE906ELNS1_3gpuE6ELNS1_3repE0EEENS1_30default_config_static_selectorELNS0_4arch9wavefront6targetE1EEEvSY_.private_seg_size, 0
	.set _ZN7rocprim17ROCPRIM_400000_NS6detail17trampoline_kernelINS0_13select_configILj256ELj13ELNS0_17block_load_methodE3ELS4_3ELS4_3ELNS0_20block_scan_algorithmE0ELj4294967295EEENS1_25partition_config_selectorILNS1_17partition_subalgoE3EjNS0_10empty_typeEbEEZZNS1_14partition_implILS8_3ELb0ES6_jNS0_17counting_iteratorIjlEEPS9_SE_NS0_5tupleIJPjSE_EEENSF_IJSE_SE_EEES9_SG_JZNS1_25segmented_radix_sort_implINS0_14default_configELb1EPKiPiPKlPlN2at6native12_GLOBAL__N_18offset_tEEE10hipError_tPvRmT1_PNSt15iterator_traitsISY_E10value_typeET2_T3_PNSZ_IS14_E10value_typeET4_jRbjT5_S1A_jjP12ihipStream_tbEUljE_EEESV_SW_SX_S14_S18_S1A_T6_T7_T9_mT8_S1C_bDpT10_ENKUlT_T0_E_clISt17integral_constantIbLb0EES1P_EEDaS1K_S1L_EUlS1K_E_NS1_11comp_targetILNS1_3genE2ELNS1_11target_archE906ELNS1_3gpuE6ELNS1_3repE0EEENS1_30default_config_static_selectorELNS0_4arch9wavefront6targetE1EEEvSY_.uses_vcc, 1
	.set _ZN7rocprim17ROCPRIM_400000_NS6detail17trampoline_kernelINS0_13select_configILj256ELj13ELNS0_17block_load_methodE3ELS4_3ELS4_3ELNS0_20block_scan_algorithmE0ELj4294967295EEENS1_25partition_config_selectorILNS1_17partition_subalgoE3EjNS0_10empty_typeEbEEZZNS1_14partition_implILS8_3ELb0ES6_jNS0_17counting_iteratorIjlEEPS9_SE_NS0_5tupleIJPjSE_EEENSF_IJSE_SE_EEES9_SG_JZNS1_25segmented_radix_sort_implINS0_14default_configELb1EPKiPiPKlPlN2at6native12_GLOBAL__N_18offset_tEEE10hipError_tPvRmT1_PNSt15iterator_traitsISY_E10value_typeET2_T3_PNSZ_IS14_E10value_typeET4_jRbjT5_S1A_jjP12ihipStream_tbEUljE_EEESV_SW_SX_S14_S18_S1A_T6_T7_T9_mT8_S1C_bDpT10_ENKUlT_T0_E_clISt17integral_constantIbLb0EES1P_EEDaS1K_S1L_EUlS1K_E_NS1_11comp_targetILNS1_3genE2ELNS1_11target_archE906ELNS1_3gpuE6ELNS1_3repE0EEENS1_30default_config_static_selectorELNS0_4arch9wavefront6targetE1EEEvSY_.uses_flat_scratch, 0
	.set _ZN7rocprim17ROCPRIM_400000_NS6detail17trampoline_kernelINS0_13select_configILj256ELj13ELNS0_17block_load_methodE3ELS4_3ELS4_3ELNS0_20block_scan_algorithmE0ELj4294967295EEENS1_25partition_config_selectorILNS1_17partition_subalgoE3EjNS0_10empty_typeEbEEZZNS1_14partition_implILS8_3ELb0ES6_jNS0_17counting_iteratorIjlEEPS9_SE_NS0_5tupleIJPjSE_EEENSF_IJSE_SE_EEES9_SG_JZNS1_25segmented_radix_sort_implINS0_14default_configELb1EPKiPiPKlPlN2at6native12_GLOBAL__N_18offset_tEEE10hipError_tPvRmT1_PNSt15iterator_traitsISY_E10value_typeET2_T3_PNSZ_IS14_E10value_typeET4_jRbjT5_S1A_jjP12ihipStream_tbEUljE_EEESV_SW_SX_S14_S18_S1A_T6_T7_T9_mT8_S1C_bDpT10_ENKUlT_T0_E_clISt17integral_constantIbLb0EES1P_EEDaS1K_S1L_EUlS1K_E_NS1_11comp_targetILNS1_3genE2ELNS1_11target_archE906ELNS1_3gpuE6ELNS1_3repE0EEENS1_30default_config_static_selectorELNS0_4arch9wavefront6targetE1EEEvSY_.has_dyn_sized_stack, 0
	.set _ZN7rocprim17ROCPRIM_400000_NS6detail17trampoline_kernelINS0_13select_configILj256ELj13ELNS0_17block_load_methodE3ELS4_3ELS4_3ELNS0_20block_scan_algorithmE0ELj4294967295EEENS1_25partition_config_selectorILNS1_17partition_subalgoE3EjNS0_10empty_typeEbEEZZNS1_14partition_implILS8_3ELb0ES6_jNS0_17counting_iteratorIjlEEPS9_SE_NS0_5tupleIJPjSE_EEENSF_IJSE_SE_EEES9_SG_JZNS1_25segmented_radix_sort_implINS0_14default_configELb1EPKiPiPKlPlN2at6native12_GLOBAL__N_18offset_tEEE10hipError_tPvRmT1_PNSt15iterator_traitsISY_E10value_typeET2_T3_PNSZ_IS14_E10value_typeET4_jRbjT5_S1A_jjP12ihipStream_tbEUljE_EEESV_SW_SX_S14_S18_S1A_T6_T7_T9_mT8_S1C_bDpT10_ENKUlT_T0_E_clISt17integral_constantIbLb0EES1P_EEDaS1K_S1L_EUlS1K_E_NS1_11comp_targetILNS1_3genE2ELNS1_11target_archE906ELNS1_3gpuE6ELNS1_3repE0EEENS1_30default_config_static_selectorELNS0_4arch9wavefront6targetE1EEEvSY_.has_recursion, 0
	.set _ZN7rocprim17ROCPRIM_400000_NS6detail17trampoline_kernelINS0_13select_configILj256ELj13ELNS0_17block_load_methodE3ELS4_3ELS4_3ELNS0_20block_scan_algorithmE0ELj4294967295EEENS1_25partition_config_selectorILNS1_17partition_subalgoE3EjNS0_10empty_typeEbEEZZNS1_14partition_implILS8_3ELb0ES6_jNS0_17counting_iteratorIjlEEPS9_SE_NS0_5tupleIJPjSE_EEENSF_IJSE_SE_EEES9_SG_JZNS1_25segmented_radix_sort_implINS0_14default_configELb1EPKiPiPKlPlN2at6native12_GLOBAL__N_18offset_tEEE10hipError_tPvRmT1_PNSt15iterator_traitsISY_E10value_typeET2_T3_PNSZ_IS14_E10value_typeET4_jRbjT5_S1A_jjP12ihipStream_tbEUljE_EEESV_SW_SX_S14_S18_S1A_T6_T7_T9_mT8_S1C_bDpT10_ENKUlT_T0_E_clISt17integral_constantIbLb0EES1P_EEDaS1K_S1L_EUlS1K_E_NS1_11comp_targetILNS1_3genE2ELNS1_11target_archE906ELNS1_3gpuE6ELNS1_3repE0EEENS1_30default_config_static_selectorELNS0_4arch9wavefront6targetE1EEEvSY_.has_indirect_call, 0
	.section	.AMDGPU.csdata,"",@progbits
; Kernel info:
; codeLenInByte = 7612
; TotalNumSgprs: 52
; NumVgprs: 69
; ScratchSize: 0
; MemoryBound: 0
; FloatMode: 240
; IeeeMode: 1
; LDSByteSize: 13320 bytes/workgroup (compile time only)
; SGPRBlocks: 12
; VGPRBlocks: 17
; NumSGPRsForWavesPerEU: 102
; NumVGPRsForWavesPerEU: 69
; Occupancy: 3
; WaveLimiterHint : 0
; COMPUTE_PGM_RSRC2:SCRATCH_EN: 0
; COMPUTE_PGM_RSRC2:USER_SGPR: 6
; COMPUTE_PGM_RSRC2:TRAP_HANDLER: 0
; COMPUTE_PGM_RSRC2:TGID_X_EN: 1
; COMPUTE_PGM_RSRC2:TGID_Y_EN: 0
; COMPUTE_PGM_RSRC2:TGID_Z_EN: 0
; COMPUTE_PGM_RSRC2:TIDIG_COMP_CNT: 0
	.section	.text._ZN7rocprim17ROCPRIM_400000_NS6detail17trampoline_kernelINS0_13select_configILj256ELj13ELNS0_17block_load_methodE3ELS4_3ELS4_3ELNS0_20block_scan_algorithmE0ELj4294967295EEENS1_25partition_config_selectorILNS1_17partition_subalgoE3EjNS0_10empty_typeEbEEZZNS1_14partition_implILS8_3ELb0ES6_jNS0_17counting_iteratorIjlEEPS9_SE_NS0_5tupleIJPjSE_EEENSF_IJSE_SE_EEES9_SG_JZNS1_25segmented_radix_sort_implINS0_14default_configELb1EPKiPiPKlPlN2at6native12_GLOBAL__N_18offset_tEEE10hipError_tPvRmT1_PNSt15iterator_traitsISY_E10value_typeET2_T3_PNSZ_IS14_E10value_typeET4_jRbjT5_S1A_jjP12ihipStream_tbEUljE_EEESV_SW_SX_S14_S18_S1A_T6_T7_T9_mT8_S1C_bDpT10_ENKUlT_T0_E_clISt17integral_constantIbLb0EES1P_EEDaS1K_S1L_EUlS1K_E_NS1_11comp_targetILNS1_3genE10ELNS1_11target_archE1200ELNS1_3gpuE4ELNS1_3repE0EEENS1_30default_config_static_selectorELNS0_4arch9wavefront6targetE1EEEvSY_,"axG",@progbits,_ZN7rocprim17ROCPRIM_400000_NS6detail17trampoline_kernelINS0_13select_configILj256ELj13ELNS0_17block_load_methodE3ELS4_3ELS4_3ELNS0_20block_scan_algorithmE0ELj4294967295EEENS1_25partition_config_selectorILNS1_17partition_subalgoE3EjNS0_10empty_typeEbEEZZNS1_14partition_implILS8_3ELb0ES6_jNS0_17counting_iteratorIjlEEPS9_SE_NS0_5tupleIJPjSE_EEENSF_IJSE_SE_EEES9_SG_JZNS1_25segmented_radix_sort_implINS0_14default_configELb1EPKiPiPKlPlN2at6native12_GLOBAL__N_18offset_tEEE10hipError_tPvRmT1_PNSt15iterator_traitsISY_E10value_typeET2_T3_PNSZ_IS14_E10value_typeET4_jRbjT5_S1A_jjP12ihipStream_tbEUljE_EEESV_SW_SX_S14_S18_S1A_T6_T7_T9_mT8_S1C_bDpT10_ENKUlT_T0_E_clISt17integral_constantIbLb0EES1P_EEDaS1K_S1L_EUlS1K_E_NS1_11comp_targetILNS1_3genE10ELNS1_11target_archE1200ELNS1_3gpuE4ELNS1_3repE0EEENS1_30default_config_static_selectorELNS0_4arch9wavefront6targetE1EEEvSY_,comdat
	.globl	_ZN7rocprim17ROCPRIM_400000_NS6detail17trampoline_kernelINS0_13select_configILj256ELj13ELNS0_17block_load_methodE3ELS4_3ELS4_3ELNS0_20block_scan_algorithmE0ELj4294967295EEENS1_25partition_config_selectorILNS1_17partition_subalgoE3EjNS0_10empty_typeEbEEZZNS1_14partition_implILS8_3ELb0ES6_jNS0_17counting_iteratorIjlEEPS9_SE_NS0_5tupleIJPjSE_EEENSF_IJSE_SE_EEES9_SG_JZNS1_25segmented_radix_sort_implINS0_14default_configELb1EPKiPiPKlPlN2at6native12_GLOBAL__N_18offset_tEEE10hipError_tPvRmT1_PNSt15iterator_traitsISY_E10value_typeET2_T3_PNSZ_IS14_E10value_typeET4_jRbjT5_S1A_jjP12ihipStream_tbEUljE_EEESV_SW_SX_S14_S18_S1A_T6_T7_T9_mT8_S1C_bDpT10_ENKUlT_T0_E_clISt17integral_constantIbLb0EES1P_EEDaS1K_S1L_EUlS1K_E_NS1_11comp_targetILNS1_3genE10ELNS1_11target_archE1200ELNS1_3gpuE4ELNS1_3repE0EEENS1_30default_config_static_selectorELNS0_4arch9wavefront6targetE1EEEvSY_ ; -- Begin function _ZN7rocprim17ROCPRIM_400000_NS6detail17trampoline_kernelINS0_13select_configILj256ELj13ELNS0_17block_load_methodE3ELS4_3ELS4_3ELNS0_20block_scan_algorithmE0ELj4294967295EEENS1_25partition_config_selectorILNS1_17partition_subalgoE3EjNS0_10empty_typeEbEEZZNS1_14partition_implILS8_3ELb0ES6_jNS0_17counting_iteratorIjlEEPS9_SE_NS0_5tupleIJPjSE_EEENSF_IJSE_SE_EEES9_SG_JZNS1_25segmented_radix_sort_implINS0_14default_configELb1EPKiPiPKlPlN2at6native12_GLOBAL__N_18offset_tEEE10hipError_tPvRmT1_PNSt15iterator_traitsISY_E10value_typeET2_T3_PNSZ_IS14_E10value_typeET4_jRbjT5_S1A_jjP12ihipStream_tbEUljE_EEESV_SW_SX_S14_S18_S1A_T6_T7_T9_mT8_S1C_bDpT10_ENKUlT_T0_E_clISt17integral_constantIbLb0EES1P_EEDaS1K_S1L_EUlS1K_E_NS1_11comp_targetILNS1_3genE10ELNS1_11target_archE1200ELNS1_3gpuE4ELNS1_3repE0EEENS1_30default_config_static_selectorELNS0_4arch9wavefront6targetE1EEEvSY_
	.p2align	8
	.type	_ZN7rocprim17ROCPRIM_400000_NS6detail17trampoline_kernelINS0_13select_configILj256ELj13ELNS0_17block_load_methodE3ELS4_3ELS4_3ELNS0_20block_scan_algorithmE0ELj4294967295EEENS1_25partition_config_selectorILNS1_17partition_subalgoE3EjNS0_10empty_typeEbEEZZNS1_14partition_implILS8_3ELb0ES6_jNS0_17counting_iteratorIjlEEPS9_SE_NS0_5tupleIJPjSE_EEENSF_IJSE_SE_EEES9_SG_JZNS1_25segmented_radix_sort_implINS0_14default_configELb1EPKiPiPKlPlN2at6native12_GLOBAL__N_18offset_tEEE10hipError_tPvRmT1_PNSt15iterator_traitsISY_E10value_typeET2_T3_PNSZ_IS14_E10value_typeET4_jRbjT5_S1A_jjP12ihipStream_tbEUljE_EEESV_SW_SX_S14_S18_S1A_T6_T7_T9_mT8_S1C_bDpT10_ENKUlT_T0_E_clISt17integral_constantIbLb0EES1P_EEDaS1K_S1L_EUlS1K_E_NS1_11comp_targetILNS1_3genE10ELNS1_11target_archE1200ELNS1_3gpuE4ELNS1_3repE0EEENS1_30default_config_static_selectorELNS0_4arch9wavefront6targetE1EEEvSY_,@function
_ZN7rocprim17ROCPRIM_400000_NS6detail17trampoline_kernelINS0_13select_configILj256ELj13ELNS0_17block_load_methodE3ELS4_3ELS4_3ELNS0_20block_scan_algorithmE0ELj4294967295EEENS1_25partition_config_selectorILNS1_17partition_subalgoE3EjNS0_10empty_typeEbEEZZNS1_14partition_implILS8_3ELb0ES6_jNS0_17counting_iteratorIjlEEPS9_SE_NS0_5tupleIJPjSE_EEENSF_IJSE_SE_EEES9_SG_JZNS1_25segmented_radix_sort_implINS0_14default_configELb1EPKiPiPKlPlN2at6native12_GLOBAL__N_18offset_tEEE10hipError_tPvRmT1_PNSt15iterator_traitsISY_E10value_typeET2_T3_PNSZ_IS14_E10value_typeET4_jRbjT5_S1A_jjP12ihipStream_tbEUljE_EEESV_SW_SX_S14_S18_S1A_T6_T7_T9_mT8_S1C_bDpT10_ENKUlT_T0_E_clISt17integral_constantIbLb0EES1P_EEDaS1K_S1L_EUlS1K_E_NS1_11comp_targetILNS1_3genE10ELNS1_11target_archE1200ELNS1_3gpuE4ELNS1_3repE0EEENS1_30default_config_static_selectorELNS0_4arch9wavefront6targetE1EEEvSY_: ; @_ZN7rocprim17ROCPRIM_400000_NS6detail17trampoline_kernelINS0_13select_configILj256ELj13ELNS0_17block_load_methodE3ELS4_3ELS4_3ELNS0_20block_scan_algorithmE0ELj4294967295EEENS1_25partition_config_selectorILNS1_17partition_subalgoE3EjNS0_10empty_typeEbEEZZNS1_14partition_implILS8_3ELb0ES6_jNS0_17counting_iteratorIjlEEPS9_SE_NS0_5tupleIJPjSE_EEENSF_IJSE_SE_EEES9_SG_JZNS1_25segmented_radix_sort_implINS0_14default_configELb1EPKiPiPKlPlN2at6native12_GLOBAL__N_18offset_tEEE10hipError_tPvRmT1_PNSt15iterator_traitsISY_E10value_typeET2_T3_PNSZ_IS14_E10value_typeET4_jRbjT5_S1A_jjP12ihipStream_tbEUljE_EEESV_SW_SX_S14_S18_S1A_T6_T7_T9_mT8_S1C_bDpT10_ENKUlT_T0_E_clISt17integral_constantIbLb0EES1P_EEDaS1K_S1L_EUlS1K_E_NS1_11comp_targetILNS1_3genE10ELNS1_11target_archE1200ELNS1_3gpuE4ELNS1_3repE0EEENS1_30default_config_static_selectorELNS0_4arch9wavefront6targetE1EEEvSY_
; %bb.0:
	.section	.rodata,"a",@progbits
	.p2align	6, 0x0
	.amdhsa_kernel _ZN7rocprim17ROCPRIM_400000_NS6detail17trampoline_kernelINS0_13select_configILj256ELj13ELNS0_17block_load_methodE3ELS4_3ELS4_3ELNS0_20block_scan_algorithmE0ELj4294967295EEENS1_25partition_config_selectorILNS1_17partition_subalgoE3EjNS0_10empty_typeEbEEZZNS1_14partition_implILS8_3ELb0ES6_jNS0_17counting_iteratorIjlEEPS9_SE_NS0_5tupleIJPjSE_EEENSF_IJSE_SE_EEES9_SG_JZNS1_25segmented_radix_sort_implINS0_14default_configELb1EPKiPiPKlPlN2at6native12_GLOBAL__N_18offset_tEEE10hipError_tPvRmT1_PNSt15iterator_traitsISY_E10value_typeET2_T3_PNSZ_IS14_E10value_typeET4_jRbjT5_S1A_jjP12ihipStream_tbEUljE_EEESV_SW_SX_S14_S18_S1A_T6_T7_T9_mT8_S1C_bDpT10_ENKUlT_T0_E_clISt17integral_constantIbLb0EES1P_EEDaS1K_S1L_EUlS1K_E_NS1_11comp_targetILNS1_3genE10ELNS1_11target_archE1200ELNS1_3gpuE4ELNS1_3repE0EEENS1_30default_config_static_selectorELNS0_4arch9wavefront6targetE1EEEvSY_
		.amdhsa_group_segment_fixed_size 0
		.amdhsa_private_segment_fixed_size 0
		.amdhsa_kernarg_size 144
		.amdhsa_user_sgpr_count 6
		.amdhsa_user_sgpr_private_segment_buffer 1
		.amdhsa_user_sgpr_dispatch_ptr 0
		.amdhsa_user_sgpr_queue_ptr 0
		.amdhsa_user_sgpr_kernarg_segment_ptr 1
		.amdhsa_user_sgpr_dispatch_id 0
		.amdhsa_user_sgpr_flat_scratch_init 0
		.amdhsa_user_sgpr_private_segment_size 0
		.amdhsa_uses_dynamic_stack 0
		.amdhsa_system_sgpr_private_segment_wavefront_offset 0
		.amdhsa_system_sgpr_workgroup_id_x 1
		.amdhsa_system_sgpr_workgroup_id_y 0
		.amdhsa_system_sgpr_workgroup_id_z 0
		.amdhsa_system_sgpr_workgroup_info 0
		.amdhsa_system_vgpr_workitem_id 0
		.amdhsa_next_free_vgpr 1
		.amdhsa_next_free_sgpr 0
		.amdhsa_reserve_vcc 0
		.amdhsa_reserve_flat_scratch 0
		.amdhsa_float_round_mode_32 0
		.amdhsa_float_round_mode_16_64 0
		.amdhsa_float_denorm_mode_32 3
		.amdhsa_float_denorm_mode_16_64 3
		.amdhsa_dx10_clamp 1
		.amdhsa_ieee_mode 1
		.amdhsa_fp16_overflow 0
		.amdhsa_exception_fp_ieee_invalid_op 0
		.amdhsa_exception_fp_denorm_src 0
		.amdhsa_exception_fp_ieee_div_zero 0
		.amdhsa_exception_fp_ieee_overflow 0
		.amdhsa_exception_fp_ieee_underflow 0
		.amdhsa_exception_fp_ieee_inexact 0
		.amdhsa_exception_int_div_zero 0
	.end_amdhsa_kernel
	.section	.text._ZN7rocprim17ROCPRIM_400000_NS6detail17trampoline_kernelINS0_13select_configILj256ELj13ELNS0_17block_load_methodE3ELS4_3ELS4_3ELNS0_20block_scan_algorithmE0ELj4294967295EEENS1_25partition_config_selectorILNS1_17partition_subalgoE3EjNS0_10empty_typeEbEEZZNS1_14partition_implILS8_3ELb0ES6_jNS0_17counting_iteratorIjlEEPS9_SE_NS0_5tupleIJPjSE_EEENSF_IJSE_SE_EEES9_SG_JZNS1_25segmented_radix_sort_implINS0_14default_configELb1EPKiPiPKlPlN2at6native12_GLOBAL__N_18offset_tEEE10hipError_tPvRmT1_PNSt15iterator_traitsISY_E10value_typeET2_T3_PNSZ_IS14_E10value_typeET4_jRbjT5_S1A_jjP12ihipStream_tbEUljE_EEESV_SW_SX_S14_S18_S1A_T6_T7_T9_mT8_S1C_bDpT10_ENKUlT_T0_E_clISt17integral_constantIbLb0EES1P_EEDaS1K_S1L_EUlS1K_E_NS1_11comp_targetILNS1_3genE10ELNS1_11target_archE1200ELNS1_3gpuE4ELNS1_3repE0EEENS1_30default_config_static_selectorELNS0_4arch9wavefront6targetE1EEEvSY_,"axG",@progbits,_ZN7rocprim17ROCPRIM_400000_NS6detail17trampoline_kernelINS0_13select_configILj256ELj13ELNS0_17block_load_methodE3ELS4_3ELS4_3ELNS0_20block_scan_algorithmE0ELj4294967295EEENS1_25partition_config_selectorILNS1_17partition_subalgoE3EjNS0_10empty_typeEbEEZZNS1_14partition_implILS8_3ELb0ES6_jNS0_17counting_iteratorIjlEEPS9_SE_NS0_5tupleIJPjSE_EEENSF_IJSE_SE_EEES9_SG_JZNS1_25segmented_radix_sort_implINS0_14default_configELb1EPKiPiPKlPlN2at6native12_GLOBAL__N_18offset_tEEE10hipError_tPvRmT1_PNSt15iterator_traitsISY_E10value_typeET2_T3_PNSZ_IS14_E10value_typeET4_jRbjT5_S1A_jjP12ihipStream_tbEUljE_EEESV_SW_SX_S14_S18_S1A_T6_T7_T9_mT8_S1C_bDpT10_ENKUlT_T0_E_clISt17integral_constantIbLb0EES1P_EEDaS1K_S1L_EUlS1K_E_NS1_11comp_targetILNS1_3genE10ELNS1_11target_archE1200ELNS1_3gpuE4ELNS1_3repE0EEENS1_30default_config_static_selectorELNS0_4arch9wavefront6targetE1EEEvSY_,comdat
.Lfunc_end470:
	.size	_ZN7rocprim17ROCPRIM_400000_NS6detail17trampoline_kernelINS0_13select_configILj256ELj13ELNS0_17block_load_methodE3ELS4_3ELS4_3ELNS0_20block_scan_algorithmE0ELj4294967295EEENS1_25partition_config_selectorILNS1_17partition_subalgoE3EjNS0_10empty_typeEbEEZZNS1_14partition_implILS8_3ELb0ES6_jNS0_17counting_iteratorIjlEEPS9_SE_NS0_5tupleIJPjSE_EEENSF_IJSE_SE_EEES9_SG_JZNS1_25segmented_radix_sort_implINS0_14default_configELb1EPKiPiPKlPlN2at6native12_GLOBAL__N_18offset_tEEE10hipError_tPvRmT1_PNSt15iterator_traitsISY_E10value_typeET2_T3_PNSZ_IS14_E10value_typeET4_jRbjT5_S1A_jjP12ihipStream_tbEUljE_EEESV_SW_SX_S14_S18_S1A_T6_T7_T9_mT8_S1C_bDpT10_ENKUlT_T0_E_clISt17integral_constantIbLb0EES1P_EEDaS1K_S1L_EUlS1K_E_NS1_11comp_targetILNS1_3genE10ELNS1_11target_archE1200ELNS1_3gpuE4ELNS1_3repE0EEENS1_30default_config_static_selectorELNS0_4arch9wavefront6targetE1EEEvSY_, .Lfunc_end470-_ZN7rocprim17ROCPRIM_400000_NS6detail17trampoline_kernelINS0_13select_configILj256ELj13ELNS0_17block_load_methodE3ELS4_3ELS4_3ELNS0_20block_scan_algorithmE0ELj4294967295EEENS1_25partition_config_selectorILNS1_17partition_subalgoE3EjNS0_10empty_typeEbEEZZNS1_14partition_implILS8_3ELb0ES6_jNS0_17counting_iteratorIjlEEPS9_SE_NS0_5tupleIJPjSE_EEENSF_IJSE_SE_EEES9_SG_JZNS1_25segmented_radix_sort_implINS0_14default_configELb1EPKiPiPKlPlN2at6native12_GLOBAL__N_18offset_tEEE10hipError_tPvRmT1_PNSt15iterator_traitsISY_E10value_typeET2_T3_PNSZ_IS14_E10value_typeET4_jRbjT5_S1A_jjP12ihipStream_tbEUljE_EEESV_SW_SX_S14_S18_S1A_T6_T7_T9_mT8_S1C_bDpT10_ENKUlT_T0_E_clISt17integral_constantIbLb0EES1P_EEDaS1K_S1L_EUlS1K_E_NS1_11comp_targetILNS1_3genE10ELNS1_11target_archE1200ELNS1_3gpuE4ELNS1_3repE0EEENS1_30default_config_static_selectorELNS0_4arch9wavefront6targetE1EEEvSY_
                                        ; -- End function
	.set _ZN7rocprim17ROCPRIM_400000_NS6detail17trampoline_kernelINS0_13select_configILj256ELj13ELNS0_17block_load_methodE3ELS4_3ELS4_3ELNS0_20block_scan_algorithmE0ELj4294967295EEENS1_25partition_config_selectorILNS1_17partition_subalgoE3EjNS0_10empty_typeEbEEZZNS1_14partition_implILS8_3ELb0ES6_jNS0_17counting_iteratorIjlEEPS9_SE_NS0_5tupleIJPjSE_EEENSF_IJSE_SE_EEES9_SG_JZNS1_25segmented_radix_sort_implINS0_14default_configELb1EPKiPiPKlPlN2at6native12_GLOBAL__N_18offset_tEEE10hipError_tPvRmT1_PNSt15iterator_traitsISY_E10value_typeET2_T3_PNSZ_IS14_E10value_typeET4_jRbjT5_S1A_jjP12ihipStream_tbEUljE_EEESV_SW_SX_S14_S18_S1A_T6_T7_T9_mT8_S1C_bDpT10_ENKUlT_T0_E_clISt17integral_constantIbLb0EES1P_EEDaS1K_S1L_EUlS1K_E_NS1_11comp_targetILNS1_3genE10ELNS1_11target_archE1200ELNS1_3gpuE4ELNS1_3repE0EEENS1_30default_config_static_selectorELNS0_4arch9wavefront6targetE1EEEvSY_.num_vgpr, 0
	.set _ZN7rocprim17ROCPRIM_400000_NS6detail17trampoline_kernelINS0_13select_configILj256ELj13ELNS0_17block_load_methodE3ELS4_3ELS4_3ELNS0_20block_scan_algorithmE0ELj4294967295EEENS1_25partition_config_selectorILNS1_17partition_subalgoE3EjNS0_10empty_typeEbEEZZNS1_14partition_implILS8_3ELb0ES6_jNS0_17counting_iteratorIjlEEPS9_SE_NS0_5tupleIJPjSE_EEENSF_IJSE_SE_EEES9_SG_JZNS1_25segmented_radix_sort_implINS0_14default_configELb1EPKiPiPKlPlN2at6native12_GLOBAL__N_18offset_tEEE10hipError_tPvRmT1_PNSt15iterator_traitsISY_E10value_typeET2_T3_PNSZ_IS14_E10value_typeET4_jRbjT5_S1A_jjP12ihipStream_tbEUljE_EEESV_SW_SX_S14_S18_S1A_T6_T7_T9_mT8_S1C_bDpT10_ENKUlT_T0_E_clISt17integral_constantIbLb0EES1P_EEDaS1K_S1L_EUlS1K_E_NS1_11comp_targetILNS1_3genE10ELNS1_11target_archE1200ELNS1_3gpuE4ELNS1_3repE0EEENS1_30default_config_static_selectorELNS0_4arch9wavefront6targetE1EEEvSY_.num_agpr, 0
	.set _ZN7rocprim17ROCPRIM_400000_NS6detail17trampoline_kernelINS0_13select_configILj256ELj13ELNS0_17block_load_methodE3ELS4_3ELS4_3ELNS0_20block_scan_algorithmE0ELj4294967295EEENS1_25partition_config_selectorILNS1_17partition_subalgoE3EjNS0_10empty_typeEbEEZZNS1_14partition_implILS8_3ELb0ES6_jNS0_17counting_iteratorIjlEEPS9_SE_NS0_5tupleIJPjSE_EEENSF_IJSE_SE_EEES9_SG_JZNS1_25segmented_radix_sort_implINS0_14default_configELb1EPKiPiPKlPlN2at6native12_GLOBAL__N_18offset_tEEE10hipError_tPvRmT1_PNSt15iterator_traitsISY_E10value_typeET2_T3_PNSZ_IS14_E10value_typeET4_jRbjT5_S1A_jjP12ihipStream_tbEUljE_EEESV_SW_SX_S14_S18_S1A_T6_T7_T9_mT8_S1C_bDpT10_ENKUlT_T0_E_clISt17integral_constantIbLb0EES1P_EEDaS1K_S1L_EUlS1K_E_NS1_11comp_targetILNS1_3genE10ELNS1_11target_archE1200ELNS1_3gpuE4ELNS1_3repE0EEENS1_30default_config_static_selectorELNS0_4arch9wavefront6targetE1EEEvSY_.numbered_sgpr, 0
	.set _ZN7rocprim17ROCPRIM_400000_NS6detail17trampoline_kernelINS0_13select_configILj256ELj13ELNS0_17block_load_methodE3ELS4_3ELS4_3ELNS0_20block_scan_algorithmE0ELj4294967295EEENS1_25partition_config_selectorILNS1_17partition_subalgoE3EjNS0_10empty_typeEbEEZZNS1_14partition_implILS8_3ELb0ES6_jNS0_17counting_iteratorIjlEEPS9_SE_NS0_5tupleIJPjSE_EEENSF_IJSE_SE_EEES9_SG_JZNS1_25segmented_radix_sort_implINS0_14default_configELb1EPKiPiPKlPlN2at6native12_GLOBAL__N_18offset_tEEE10hipError_tPvRmT1_PNSt15iterator_traitsISY_E10value_typeET2_T3_PNSZ_IS14_E10value_typeET4_jRbjT5_S1A_jjP12ihipStream_tbEUljE_EEESV_SW_SX_S14_S18_S1A_T6_T7_T9_mT8_S1C_bDpT10_ENKUlT_T0_E_clISt17integral_constantIbLb0EES1P_EEDaS1K_S1L_EUlS1K_E_NS1_11comp_targetILNS1_3genE10ELNS1_11target_archE1200ELNS1_3gpuE4ELNS1_3repE0EEENS1_30default_config_static_selectorELNS0_4arch9wavefront6targetE1EEEvSY_.num_named_barrier, 0
	.set _ZN7rocprim17ROCPRIM_400000_NS6detail17trampoline_kernelINS0_13select_configILj256ELj13ELNS0_17block_load_methodE3ELS4_3ELS4_3ELNS0_20block_scan_algorithmE0ELj4294967295EEENS1_25partition_config_selectorILNS1_17partition_subalgoE3EjNS0_10empty_typeEbEEZZNS1_14partition_implILS8_3ELb0ES6_jNS0_17counting_iteratorIjlEEPS9_SE_NS0_5tupleIJPjSE_EEENSF_IJSE_SE_EEES9_SG_JZNS1_25segmented_radix_sort_implINS0_14default_configELb1EPKiPiPKlPlN2at6native12_GLOBAL__N_18offset_tEEE10hipError_tPvRmT1_PNSt15iterator_traitsISY_E10value_typeET2_T3_PNSZ_IS14_E10value_typeET4_jRbjT5_S1A_jjP12ihipStream_tbEUljE_EEESV_SW_SX_S14_S18_S1A_T6_T7_T9_mT8_S1C_bDpT10_ENKUlT_T0_E_clISt17integral_constantIbLb0EES1P_EEDaS1K_S1L_EUlS1K_E_NS1_11comp_targetILNS1_3genE10ELNS1_11target_archE1200ELNS1_3gpuE4ELNS1_3repE0EEENS1_30default_config_static_selectorELNS0_4arch9wavefront6targetE1EEEvSY_.private_seg_size, 0
	.set _ZN7rocprim17ROCPRIM_400000_NS6detail17trampoline_kernelINS0_13select_configILj256ELj13ELNS0_17block_load_methodE3ELS4_3ELS4_3ELNS0_20block_scan_algorithmE0ELj4294967295EEENS1_25partition_config_selectorILNS1_17partition_subalgoE3EjNS0_10empty_typeEbEEZZNS1_14partition_implILS8_3ELb0ES6_jNS0_17counting_iteratorIjlEEPS9_SE_NS0_5tupleIJPjSE_EEENSF_IJSE_SE_EEES9_SG_JZNS1_25segmented_radix_sort_implINS0_14default_configELb1EPKiPiPKlPlN2at6native12_GLOBAL__N_18offset_tEEE10hipError_tPvRmT1_PNSt15iterator_traitsISY_E10value_typeET2_T3_PNSZ_IS14_E10value_typeET4_jRbjT5_S1A_jjP12ihipStream_tbEUljE_EEESV_SW_SX_S14_S18_S1A_T6_T7_T9_mT8_S1C_bDpT10_ENKUlT_T0_E_clISt17integral_constantIbLb0EES1P_EEDaS1K_S1L_EUlS1K_E_NS1_11comp_targetILNS1_3genE10ELNS1_11target_archE1200ELNS1_3gpuE4ELNS1_3repE0EEENS1_30default_config_static_selectorELNS0_4arch9wavefront6targetE1EEEvSY_.uses_vcc, 0
	.set _ZN7rocprim17ROCPRIM_400000_NS6detail17trampoline_kernelINS0_13select_configILj256ELj13ELNS0_17block_load_methodE3ELS4_3ELS4_3ELNS0_20block_scan_algorithmE0ELj4294967295EEENS1_25partition_config_selectorILNS1_17partition_subalgoE3EjNS0_10empty_typeEbEEZZNS1_14partition_implILS8_3ELb0ES6_jNS0_17counting_iteratorIjlEEPS9_SE_NS0_5tupleIJPjSE_EEENSF_IJSE_SE_EEES9_SG_JZNS1_25segmented_radix_sort_implINS0_14default_configELb1EPKiPiPKlPlN2at6native12_GLOBAL__N_18offset_tEEE10hipError_tPvRmT1_PNSt15iterator_traitsISY_E10value_typeET2_T3_PNSZ_IS14_E10value_typeET4_jRbjT5_S1A_jjP12ihipStream_tbEUljE_EEESV_SW_SX_S14_S18_S1A_T6_T7_T9_mT8_S1C_bDpT10_ENKUlT_T0_E_clISt17integral_constantIbLb0EES1P_EEDaS1K_S1L_EUlS1K_E_NS1_11comp_targetILNS1_3genE10ELNS1_11target_archE1200ELNS1_3gpuE4ELNS1_3repE0EEENS1_30default_config_static_selectorELNS0_4arch9wavefront6targetE1EEEvSY_.uses_flat_scratch, 0
	.set _ZN7rocprim17ROCPRIM_400000_NS6detail17trampoline_kernelINS0_13select_configILj256ELj13ELNS0_17block_load_methodE3ELS4_3ELS4_3ELNS0_20block_scan_algorithmE0ELj4294967295EEENS1_25partition_config_selectorILNS1_17partition_subalgoE3EjNS0_10empty_typeEbEEZZNS1_14partition_implILS8_3ELb0ES6_jNS0_17counting_iteratorIjlEEPS9_SE_NS0_5tupleIJPjSE_EEENSF_IJSE_SE_EEES9_SG_JZNS1_25segmented_radix_sort_implINS0_14default_configELb1EPKiPiPKlPlN2at6native12_GLOBAL__N_18offset_tEEE10hipError_tPvRmT1_PNSt15iterator_traitsISY_E10value_typeET2_T3_PNSZ_IS14_E10value_typeET4_jRbjT5_S1A_jjP12ihipStream_tbEUljE_EEESV_SW_SX_S14_S18_S1A_T6_T7_T9_mT8_S1C_bDpT10_ENKUlT_T0_E_clISt17integral_constantIbLb0EES1P_EEDaS1K_S1L_EUlS1K_E_NS1_11comp_targetILNS1_3genE10ELNS1_11target_archE1200ELNS1_3gpuE4ELNS1_3repE0EEENS1_30default_config_static_selectorELNS0_4arch9wavefront6targetE1EEEvSY_.has_dyn_sized_stack, 0
	.set _ZN7rocprim17ROCPRIM_400000_NS6detail17trampoline_kernelINS0_13select_configILj256ELj13ELNS0_17block_load_methodE3ELS4_3ELS4_3ELNS0_20block_scan_algorithmE0ELj4294967295EEENS1_25partition_config_selectorILNS1_17partition_subalgoE3EjNS0_10empty_typeEbEEZZNS1_14partition_implILS8_3ELb0ES6_jNS0_17counting_iteratorIjlEEPS9_SE_NS0_5tupleIJPjSE_EEENSF_IJSE_SE_EEES9_SG_JZNS1_25segmented_radix_sort_implINS0_14default_configELb1EPKiPiPKlPlN2at6native12_GLOBAL__N_18offset_tEEE10hipError_tPvRmT1_PNSt15iterator_traitsISY_E10value_typeET2_T3_PNSZ_IS14_E10value_typeET4_jRbjT5_S1A_jjP12ihipStream_tbEUljE_EEESV_SW_SX_S14_S18_S1A_T6_T7_T9_mT8_S1C_bDpT10_ENKUlT_T0_E_clISt17integral_constantIbLb0EES1P_EEDaS1K_S1L_EUlS1K_E_NS1_11comp_targetILNS1_3genE10ELNS1_11target_archE1200ELNS1_3gpuE4ELNS1_3repE0EEENS1_30default_config_static_selectorELNS0_4arch9wavefront6targetE1EEEvSY_.has_recursion, 0
	.set _ZN7rocprim17ROCPRIM_400000_NS6detail17trampoline_kernelINS0_13select_configILj256ELj13ELNS0_17block_load_methodE3ELS4_3ELS4_3ELNS0_20block_scan_algorithmE0ELj4294967295EEENS1_25partition_config_selectorILNS1_17partition_subalgoE3EjNS0_10empty_typeEbEEZZNS1_14partition_implILS8_3ELb0ES6_jNS0_17counting_iteratorIjlEEPS9_SE_NS0_5tupleIJPjSE_EEENSF_IJSE_SE_EEES9_SG_JZNS1_25segmented_radix_sort_implINS0_14default_configELb1EPKiPiPKlPlN2at6native12_GLOBAL__N_18offset_tEEE10hipError_tPvRmT1_PNSt15iterator_traitsISY_E10value_typeET2_T3_PNSZ_IS14_E10value_typeET4_jRbjT5_S1A_jjP12ihipStream_tbEUljE_EEESV_SW_SX_S14_S18_S1A_T6_T7_T9_mT8_S1C_bDpT10_ENKUlT_T0_E_clISt17integral_constantIbLb0EES1P_EEDaS1K_S1L_EUlS1K_E_NS1_11comp_targetILNS1_3genE10ELNS1_11target_archE1200ELNS1_3gpuE4ELNS1_3repE0EEENS1_30default_config_static_selectorELNS0_4arch9wavefront6targetE1EEEvSY_.has_indirect_call, 0
	.section	.AMDGPU.csdata,"",@progbits
; Kernel info:
; codeLenInByte = 0
; TotalNumSgprs: 4
; NumVgprs: 0
; ScratchSize: 0
; MemoryBound: 0
; FloatMode: 240
; IeeeMode: 1
; LDSByteSize: 0 bytes/workgroup (compile time only)
; SGPRBlocks: 0
; VGPRBlocks: 0
; NumSGPRsForWavesPerEU: 4
; NumVGPRsForWavesPerEU: 1
; Occupancy: 10
; WaveLimiterHint : 0
; COMPUTE_PGM_RSRC2:SCRATCH_EN: 0
; COMPUTE_PGM_RSRC2:USER_SGPR: 6
; COMPUTE_PGM_RSRC2:TRAP_HANDLER: 0
; COMPUTE_PGM_RSRC2:TGID_X_EN: 1
; COMPUTE_PGM_RSRC2:TGID_Y_EN: 0
; COMPUTE_PGM_RSRC2:TGID_Z_EN: 0
; COMPUTE_PGM_RSRC2:TIDIG_COMP_CNT: 0
	.section	.text._ZN7rocprim17ROCPRIM_400000_NS6detail17trampoline_kernelINS0_13select_configILj256ELj13ELNS0_17block_load_methodE3ELS4_3ELS4_3ELNS0_20block_scan_algorithmE0ELj4294967295EEENS1_25partition_config_selectorILNS1_17partition_subalgoE3EjNS0_10empty_typeEbEEZZNS1_14partition_implILS8_3ELb0ES6_jNS0_17counting_iteratorIjlEEPS9_SE_NS0_5tupleIJPjSE_EEENSF_IJSE_SE_EEES9_SG_JZNS1_25segmented_radix_sort_implINS0_14default_configELb1EPKiPiPKlPlN2at6native12_GLOBAL__N_18offset_tEEE10hipError_tPvRmT1_PNSt15iterator_traitsISY_E10value_typeET2_T3_PNSZ_IS14_E10value_typeET4_jRbjT5_S1A_jjP12ihipStream_tbEUljE_EEESV_SW_SX_S14_S18_S1A_T6_T7_T9_mT8_S1C_bDpT10_ENKUlT_T0_E_clISt17integral_constantIbLb0EES1P_EEDaS1K_S1L_EUlS1K_E_NS1_11comp_targetILNS1_3genE9ELNS1_11target_archE1100ELNS1_3gpuE3ELNS1_3repE0EEENS1_30default_config_static_selectorELNS0_4arch9wavefront6targetE1EEEvSY_,"axG",@progbits,_ZN7rocprim17ROCPRIM_400000_NS6detail17trampoline_kernelINS0_13select_configILj256ELj13ELNS0_17block_load_methodE3ELS4_3ELS4_3ELNS0_20block_scan_algorithmE0ELj4294967295EEENS1_25partition_config_selectorILNS1_17partition_subalgoE3EjNS0_10empty_typeEbEEZZNS1_14partition_implILS8_3ELb0ES6_jNS0_17counting_iteratorIjlEEPS9_SE_NS0_5tupleIJPjSE_EEENSF_IJSE_SE_EEES9_SG_JZNS1_25segmented_radix_sort_implINS0_14default_configELb1EPKiPiPKlPlN2at6native12_GLOBAL__N_18offset_tEEE10hipError_tPvRmT1_PNSt15iterator_traitsISY_E10value_typeET2_T3_PNSZ_IS14_E10value_typeET4_jRbjT5_S1A_jjP12ihipStream_tbEUljE_EEESV_SW_SX_S14_S18_S1A_T6_T7_T9_mT8_S1C_bDpT10_ENKUlT_T0_E_clISt17integral_constantIbLb0EES1P_EEDaS1K_S1L_EUlS1K_E_NS1_11comp_targetILNS1_3genE9ELNS1_11target_archE1100ELNS1_3gpuE3ELNS1_3repE0EEENS1_30default_config_static_selectorELNS0_4arch9wavefront6targetE1EEEvSY_,comdat
	.globl	_ZN7rocprim17ROCPRIM_400000_NS6detail17trampoline_kernelINS0_13select_configILj256ELj13ELNS0_17block_load_methodE3ELS4_3ELS4_3ELNS0_20block_scan_algorithmE0ELj4294967295EEENS1_25partition_config_selectorILNS1_17partition_subalgoE3EjNS0_10empty_typeEbEEZZNS1_14partition_implILS8_3ELb0ES6_jNS0_17counting_iteratorIjlEEPS9_SE_NS0_5tupleIJPjSE_EEENSF_IJSE_SE_EEES9_SG_JZNS1_25segmented_radix_sort_implINS0_14default_configELb1EPKiPiPKlPlN2at6native12_GLOBAL__N_18offset_tEEE10hipError_tPvRmT1_PNSt15iterator_traitsISY_E10value_typeET2_T3_PNSZ_IS14_E10value_typeET4_jRbjT5_S1A_jjP12ihipStream_tbEUljE_EEESV_SW_SX_S14_S18_S1A_T6_T7_T9_mT8_S1C_bDpT10_ENKUlT_T0_E_clISt17integral_constantIbLb0EES1P_EEDaS1K_S1L_EUlS1K_E_NS1_11comp_targetILNS1_3genE9ELNS1_11target_archE1100ELNS1_3gpuE3ELNS1_3repE0EEENS1_30default_config_static_selectorELNS0_4arch9wavefront6targetE1EEEvSY_ ; -- Begin function _ZN7rocprim17ROCPRIM_400000_NS6detail17trampoline_kernelINS0_13select_configILj256ELj13ELNS0_17block_load_methodE3ELS4_3ELS4_3ELNS0_20block_scan_algorithmE0ELj4294967295EEENS1_25partition_config_selectorILNS1_17partition_subalgoE3EjNS0_10empty_typeEbEEZZNS1_14partition_implILS8_3ELb0ES6_jNS0_17counting_iteratorIjlEEPS9_SE_NS0_5tupleIJPjSE_EEENSF_IJSE_SE_EEES9_SG_JZNS1_25segmented_radix_sort_implINS0_14default_configELb1EPKiPiPKlPlN2at6native12_GLOBAL__N_18offset_tEEE10hipError_tPvRmT1_PNSt15iterator_traitsISY_E10value_typeET2_T3_PNSZ_IS14_E10value_typeET4_jRbjT5_S1A_jjP12ihipStream_tbEUljE_EEESV_SW_SX_S14_S18_S1A_T6_T7_T9_mT8_S1C_bDpT10_ENKUlT_T0_E_clISt17integral_constantIbLb0EES1P_EEDaS1K_S1L_EUlS1K_E_NS1_11comp_targetILNS1_3genE9ELNS1_11target_archE1100ELNS1_3gpuE3ELNS1_3repE0EEENS1_30default_config_static_selectorELNS0_4arch9wavefront6targetE1EEEvSY_
	.p2align	8
	.type	_ZN7rocprim17ROCPRIM_400000_NS6detail17trampoline_kernelINS0_13select_configILj256ELj13ELNS0_17block_load_methodE3ELS4_3ELS4_3ELNS0_20block_scan_algorithmE0ELj4294967295EEENS1_25partition_config_selectorILNS1_17partition_subalgoE3EjNS0_10empty_typeEbEEZZNS1_14partition_implILS8_3ELb0ES6_jNS0_17counting_iteratorIjlEEPS9_SE_NS0_5tupleIJPjSE_EEENSF_IJSE_SE_EEES9_SG_JZNS1_25segmented_radix_sort_implINS0_14default_configELb1EPKiPiPKlPlN2at6native12_GLOBAL__N_18offset_tEEE10hipError_tPvRmT1_PNSt15iterator_traitsISY_E10value_typeET2_T3_PNSZ_IS14_E10value_typeET4_jRbjT5_S1A_jjP12ihipStream_tbEUljE_EEESV_SW_SX_S14_S18_S1A_T6_T7_T9_mT8_S1C_bDpT10_ENKUlT_T0_E_clISt17integral_constantIbLb0EES1P_EEDaS1K_S1L_EUlS1K_E_NS1_11comp_targetILNS1_3genE9ELNS1_11target_archE1100ELNS1_3gpuE3ELNS1_3repE0EEENS1_30default_config_static_selectorELNS0_4arch9wavefront6targetE1EEEvSY_,@function
_ZN7rocprim17ROCPRIM_400000_NS6detail17trampoline_kernelINS0_13select_configILj256ELj13ELNS0_17block_load_methodE3ELS4_3ELS4_3ELNS0_20block_scan_algorithmE0ELj4294967295EEENS1_25partition_config_selectorILNS1_17partition_subalgoE3EjNS0_10empty_typeEbEEZZNS1_14partition_implILS8_3ELb0ES6_jNS0_17counting_iteratorIjlEEPS9_SE_NS0_5tupleIJPjSE_EEENSF_IJSE_SE_EEES9_SG_JZNS1_25segmented_radix_sort_implINS0_14default_configELb1EPKiPiPKlPlN2at6native12_GLOBAL__N_18offset_tEEE10hipError_tPvRmT1_PNSt15iterator_traitsISY_E10value_typeET2_T3_PNSZ_IS14_E10value_typeET4_jRbjT5_S1A_jjP12ihipStream_tbEUljE_EEESV_SW_SX_S14_S18_S1A_T6_T7_T9_mT8_S1C_bDpT10_ENKUlT_T0_E_clISt17integral_constantIbLb0EES1P_EEDaS1K_S1L_EUlS1K_E_NS1_11comp_targetILNS1_3genE9ELNS1_11target_archE1100ELNS1_3gpuE3ELNS1_3repE0EEENS1_30default_config_static_selectorELNS0_4arch9wavefront6targetE1EEEvSY_: ; @_ZN7rocprim17ROCPRIM_400000_NS6detail17trampoline_kernelINS0_13select_configILj256ELj13ELNS0_17block_load_methodE3ELS4_3ELS4_3ELNS0_20block_scan_algorithmE0ELj4294967295EEENS1_25partition_config_selectorILNS1_17partition_subalgoE3EjNS0_10empty_typeEbEEZZNS1_14partition_implILS8_3ELb0ES6_jNS0_17counting_iteratorIjlEEPS9_SE_NS0_5tupleIJPjSE_EEENSF_IJSE_SE_EEES9_SG_JZNS1_25segmented_radix_sort_implINS0_14default_configELb1EPKiPiPKlPlN2at6native12_GLOBAL__N_18offset_tEEE10hipError_tPvRmT1_PNSt15iterator_traitsISY_E10value_typeET2_T3_PNSZ_IS14_E10value_typeET4_jRbjT5_S1A_jjP12ihipStream_tbEUljE_EEESV_SW_SX_S14_S18_S1A_T6_T7_T9_mT8_S1C_bDpT10_ENKUlT_T0_E_clISt17integral_constantIbLb0EES1P_EEDaS1K_S1L_EUlS1K_E_NS1_11comp_targetILNS1_3genE9ELNS1_11target_archE1100ELNS1_3gpuE3ELNS1_3repE0EEENS1_30default_config_static_selectorELNS0_4arch9wavefront6targetE1EEEvSY_
; %bb.0:
	.section	.rodata,"a",@progbits
	.p2align	6, 0x0
	.amdhsa_kernel _ZN7rocprim17ROCPRIM_400000_NS6detail17trampoline_kernelINS0_13select_configILj256ELj13ELNS0_17block_load_methodE3ELS4_3ELS4_3ELNS0_20block_scan_algorithmE0ELj4294967295EEENS1_25partition_config_selectorILNS1_17partition_subalgoE3EjNS0_10empty_typeEbEEZZNS1_14partition_implILS8_3ELb0ES6_jNS0_17counting_iteratorIjlEEPS9_SE_NS0_5tupleIJPjSE_EEENSF_IJSE_SE_EEES9_SG_JZNS1_25segmented_radix_sort_implINS0_14default_configELb1EPKiPiPKlPlN2at6native12_GLOBAL__N_18offset_tEEE10hipError_tPvRmT1_PNSt15iterator_traitsISY_E10value_typeET2_T3_PNSZ_IS14_E10value_typeET4_jRbjT5_S1A_jjP12ihipStream_tbEUljE_EEESV_SW_SX_S14_S18_S1A_T6_T7_T9_mT8_S1C_bDpT10_ENKUlT_T0_E_clISt17integral_constantIbLb0EES1P_EEDaS1K_S1L_EUlS1K_E_NS1_11comp_targetILNS1_3genE9ELNS1_11target_archE1100ELNS1_3gpuE3ELNS1_3repE0EEENS1_30default_config_static_selectorELNS0_4arch9wavefront6targetE1EEEvSY_
		.amdhsa_group_segment_fixed_size 0
		.amdhsa_private_segment_fixed_size 0
		.amdhsa_kernarg_size 144
		.amdhsa_user_sgpr_count 6
		.amdhsa_user_sgpr_private_segment_buffer 1
		.amdhsa_user_sgpr_dispatch_ptr 0
		.amdhsa_user_sgpr_queue_ptr 0
		.amdhsa_user_sgpr_kernarg_segment_ptr 1
		.amdhsa_user_sgpr_dispatch_id 0
		.amdhsa_user_sgpr_flat_scratch_init 0
		.amdhsa_user_sgpr_private_segment_size 0
		.amdhsa_uses_dynamic_stack 0
		.amdhsa_system_sgpr_private_segment_wavefront_offset 0
		.amdhsa_system_sgpr_workgroup_id_x 1
		.amdhsa_system_sgpr_workgroup_id_y 0
		.amdhsa_system_sgpr_workgroup_id_z 0
		.amdhsa_system_sgpr_workgroup_info 0
		.amdhsa_system_vgpr_workitem_id 0
		.amdhsa_next_free_vgpr 1
		.amdhsa_next_free_sgpr 0
		.amdhsa_reserve_vcc 0
		.amdhsa_reserve_flat_scratch 0
		.amdhsa_float_round_mode_32 0
		.amdhsa_float_round_mode_16_64 0
		.amdhsa_float_denorm_mode_32 3
		.amdhsa_float_denorm_mode_16_64 3
		.amdhsa_dx10_clamp 1
		.amdhsa_ieee_mode 1
		.amdhsa_fp16_overflow 0
		.amdhsa_exception_fp_ieee_invalid_op 0
		.amdhsa_exception_fp_denorm_src 0
		.amdhsa_exception_fp_ieee_div_zero 0
		.amdhsa_exception_fp_ieee_overflow 0
		.amdhsa_exception_fp_ieee_underflow 0
		.amdhsa_exception_fp_ieee_inexact 0
		.amdhsa_exception_int_div_zero 0
	.end_amdhsa_kernel
	.section	.text._ZN7rocprim17ROCPRIM_400000_NS6detail17trampoline_kernelINS0_13select_configILj256ELj13ELNS0_17block_load_methodE3ELS4_3ELS4_3ELNS0_20block_scan_algorithmE0ELj4294967295EEENS1_25partition_config_selectorILNS1_17partition_subalgoE3EjNS0_10empty_typeEbEEZZNS1_14partition_implILS8_3ELb0ES6_jNS0_17counting_iteratorIjlEEPS9_SE_NS0_5tupleIJPjSE_EEENSF_IJSE_SE_EEES9_SG_JZNS1_25segmented_radix_sort_implINS0_14default_configELb1EPKiPiPKlPlN2at6native12_GLOBAL__N_18offset_tEEE10hipError_tPvRmT1_PNSt15iterator_traitsISY_E10value_typeET2_T3_PNSZ_IS14_E10value_typeET4_jRbjT5_S1A_jjP12ihipStream_tbEUljE_EEESV_SW_SX_S14_S18_S1A_T6_T7_T9_mT8_S1C_bDpT10_ENKUlT_T0_E_clISt17integral_constantIbLb0EES1P_EEDaS1K_S1L_EUlS1K_E_NS1_11comp_targetILNS1_3genE9ELNS1_11target_archE1100ELNS1_3gpuE3ELNS1_3repE0EEENS1_30default_config_static_selectorELNS0_4arch9wavefront6targetE1EEEvSY_,"axG",@progbits,_ZN7rocprim17ROCPRIM_400000_NS6detail17trampoline_kernelINS0_13select_configILj256ELj13ELNS0_17block_load_methodE3ELS4_3ELS4_3ELNS0_20block_scan_algorithmE0ELj4294967295EEENS1_25partition_config_selectorILNS1_17partition_subalgoE3EjNS0_10empty_typeEbEEZZNS1_14partition_implILS8_3ELb0ES6_jNS0_17counting_iteratorIjlEEPS9_SE_NS0_5tupleIJPjSE_EEENSF_IJSE_SE_EEES9_SG_JZNS1_25segmented_radix_sort_implINS0_14default_configELb1EPKiPiPKlPlN2at6native12_GLOBAL__N_18offset_tEEE10hipError_tPvRmT1_PNSt15iterator_traitsISY_E10value_typeET2_T3_PNSZ_IS14_E10value_typeET4_jRbjT5_S1A_jjP12ihipStream_tbEUljE_EEESV_SW_SX_S14_S18_S1A_T6_T7_T9_mT8_S1C_bDpT10_ENKUlT_T0_E_clISt17integral_constantIbLb0EES1P_EEDaS1K_S1L_EUlS1K_E_NS1_11comp_targetILNS1_3genE9ELNS1_11target_archE1100ELNS1_3gpuE3ELNS1_3repE0EEENS1_30default_config_static_selectorELNS0_4arch9wavefront6targetE1EEEvSY_,comdat
.Lfunc_end471:
	.size	_ZN7rocprim17ROCPRIM_400000_NS6detail17trampoline_kernelINS0_13select_configILj256ELj13ELNS0_17block_load_methodE3ELS4_3ELS4_3ELNS0_20block_scan_algorithmE0ELj4294967295EEENS1_25partition_config_selectorILNS1_17partition_subalgoE3EjNS0_10empty_typeEbEEZZNS1_14partition_implILS8_3ELb0ES6_jNS0_17counting_iteratorIjlEEPS9_SE_NS0_5tupleIJPjSE_EEENSF_IJSE_SE_EEES9_SG_JZNS1_25segmented_radix_sort_implINS0_14default_configELb1EPKiPiPKlPlN2at6native12_GLOBAL__N_18offset_tEEE10hipError_tPvRmT1_PNSt15iterator_traitsISY_E10value_typeET2_T3_PNSZ_IS14_E10value_typeET4_jRbjT5_S1A_jjP12ihipStream_tbEUljE_EEESV_SW_SX_S14_S18_S1A_T6_T7_T9_mT8_S1C_bDpT10_ENKUlT_T0_E_clISt17integral_constantIbLb0EES1P_EEDaS1K_S1L_EUlS1K_E_NS1_11comp_targetILNS1_3genE9ELNS1_11target_archE1100ELNS1_3gpuE3ELNS1_3repE0EEENS1_30default_config_static_selectorELNS0_4arch9wavefront6targetE1EEEvSY_, .Lfunc_end471-_ZN7rocprim17ROCPRIM_400000_NS6detail17trampoline_kernelINS0_13select_configILj256ELj13ELNS0_17block_load_methodE3ELS4_3ELS4_3ELNS0_20block_scan_algorithmE0ELj4294967295EEENS1_25partition_config_selectorILNS1_17partition_subalgoE3EjNS0_10empty_typeEbEEZZNS1_14partition_implILS8_3ELb0ES6_jNS0_17counting_iteratorIjlEEPS9_SE_NS0_5tupleIJPjSE_EEENSF_IJSE_SE_EEES9_SG_JZNS1_25segmented_radix_sort_implINS0_14default_configELb1EPKiPiPKlPlN2at6native12_GLOBAL__N_18offset_tEEE10hipError_tPvRmT1_PNSt15iterator_traitsISY_E10value_typeET2_T3_PNSZ_IS14_E10value_typeET4_jRbjT5_S1A_jjP12ihipStream_tbEUljE_EEESV_SW_SX_S14_S18_S1A_T6_T7_T9_mT8_S1C_bDpT10_ENKUlT_T0_E_clISt17integral_constantIbLb0EES1P_EEDaS1K_S1L_EUlS1K_E_NS1_11comp_targetILNS1_3genE9ELNS1_11target_archE1100ELNS1_3gpuE3ELNS1_3repE0EEENS1_30default_config_static_selectorELNS0_4arch9wavefront6targetE1EEEvSY_
                                        ; -- End function
	.set _ZN7rocprim17ROCPRIM_400000_NS6detail17trampoline_kernelINS0_13select_configILj256ELj13ELNS0_17block_load_methodE3ELS4_3ELS4_3ELNS0_20block_scan_algorithmE0ELj4294967295EEENS1_25partition_config_selectorILNS1_17partition_subalgoE3EjNS0_10empty_typeEbEEZZNS1_14partition_implILS8_3ELb0ES6_jNS0_17counting_iteratorIjlEEPS9_SE_NS0_5tupleIJPjSE_EEENSF_IJSE_SE_EEES9_SG_JZNS1_25segmented_radix_sort_implINS0_14default_configELb1EPKiPiPKlPlN2at6native12_GLOBAL__N_18offset_tEEE10hipError_tPvRmT1_PNSt15iterator_traitsISY_E10value_typeET2_T3_PNSZ_IS14_E10value_typeET4_jRbjT5_S1A_jjP12ihipStream_tbEUljE_EEESV_SW_SX_S14_S18_S1A_T6_T7_T9_mT8_S1C_bDpT10_ENKUlT_T0_E_clISt17integral_constantIbLb0EES1P_EEDaS1K_S1L_EUlS1K_E_NS1_11comp_targetILNS1_3genE9ELNS1_11target_archE1100ELNS1_3gpuE3ELNS1_3repE0EEENS1_30default_config_static_selectorELNS0_4arch9wavefront6targetE1EEEvSY_.num_vgpr, 0
	.set _ZN7rocprim17ROCPRIM_400000_NS6detail17trampoline_kernelINS0_13select_configILj256ELj13ELNS0_17block_load_methodE3ELS4_3ELS4_3ELNS0_20block_scan_algorithmE0ELj4294967295EEENS1_25partition_config_selectorILNS1_17partition_subalgoE3EjNS0_10empty_typeEbEEZZNS1_14partition_implILS8_3ELb0ES6_jNS0_17counting_iteratorIjlEEPS9_SE_NS0_5tupleIJPjSE_EEENSF_IJSE_SE_EEES9_SG_JZNS1_25segmented_radix_sort_implINS0_14default_configELb1EPKiPiPKlPlN2at6native12_GLOBAL__N_18offset_tEEE10hipError_tPvRmT1_PNSt15iterator_traitsISY_E10value_typeET2_T3_PNSZ_IS14_E10value_typeET4_jRbjT5_S1A_jjP12ihipStream_tbEUljE_EEESV_SW_SX_S14_S18_S1A_T6_T7_T9_mT8_S1C_bDpT10_ENKUlT_T0_E_clISt17integral_constantIbLb0EES1P_EEDaS1K_S1L_EUlS1K_E_NS1_11comp_targetILNS1_3genE9ELNS1_11target_archE1100ELNS1_3gpuE3ELNS1_3repE0EEENS1_30default_config_static_selectorELNS0_4arch9wavefront6targetE1EEEvSY_.num_agpr, 0
	.set _ZN7rocprim17ROCPRIM_400000_NS6detail17trampoline_kernelINS0_13select_configILj256ELj13ELNS0_17block_load_methodE3ELS4_3ELS4_3ELNS0_20block_scan_algorithmE0ELj4294967295EEENS1_25partition_config_selectorILNS1_17partition_subalgoE3EjNS0_10empty_typeEbEEZZNS1_14partition_implILS8_3ELb0ES6_jNS0_17counting_iteratorIjlEEPS9_SE_NS0_5tupleIJPjSE_EEENSF_IJSE_SE_EEES9_SG_JZNS1_25segmented_radix_sort_implINS0_14default_configELb1EPKiPiPKlPlN2at6native12_GLOBAL__N_18offset_tEEE10hipError_tPvRmT1_PNSt15iterator_traitsISY_E10value_typeET2_T3_PNSZ_IS14_E10value_typeET4_jRbjT5_S1A_jjP12ihipStream_tbEUljE_EEESV_SW_SX_S14_S18_S1A_T6_T7_T9_mT8_S1C_bDpT10_ENKUlT_T0_E_clISt17integral_constantIbLb0EES1P_EEDaS1K_S1L_EUlS1K_E_NS1_11comp_targetILNS1_3genE9ELNS1_11target_archE1100ELNS1_3gpuE3ELNS1_3repE0EEENS1_30default_config_static_selectorELNS0_4arch9wavefront6targetE1EEEvSY_.numbered_sgpr, 0
	.set _ZN7rocprim17ROCPRIM_400000_NS6detail17trampoline_kernelINS0_13select_configILj256ELj13ELNS0_17block_load_methodE3ELS4_3ELS4_3ELNS0_20block_scan_algorithmE0ELj4294967295EEENS1_25partition_config_selectorILNS1_17partition_subalgoE3EjNS0_10empty_typeEbEEZZNS1_14partition_implILS8_3ELb0ES6_jNS0_17counting_iteratorIjlEEPS9_SE_NS0_5tupleIJPjSE_EEENSF_IJSE_SE_EEES9_SG_JZNS1_25segmented_radix_sort_implINS0_14default_configELb1EPKiPiPKlPlN2at6native12_GLOBAL__N_18offset_tEEE10hipError_tPvRmT1_PNSt15iterator_traitsISY_E10value_typeET2_T3_PNSZ_IS14_E10value_typeET4_jRbjT5_S1A_jjP12ihipStream_tbEUljE_EEESV_SW_SX_S14_S18_S1A_T6_T7_T9_mT8_S1C_bDpT10_ENKUlT_T0_E_clISt17integral_constantIbLb0EES1P_EEDaS1K_S1L_EUlS1K_E_NS1_11comp_targetILNS1_3genE9ELNS1_11target_archE1100ELNS1_3gpuE3ELNS1_3repE0EEENS1_30default_config_static_selectorELNS0_4arch9wavefront6targetE1EEEvSY_.num_named_barrier, 0
	.set _ZN7rocprim17ROCPRIM_400000_NS6detail17trampoline_kernelINS0_13select_configILj256ELj13ELNS0_17block_load_methodE3ELS4_3ELS4_3ELNS0_20block_scan_algorithmE0ELj4294967295EEENS1_25partition_config_selectorILNS1_17partition_subalgoE3EjNS0_10empty_typeEbEEZZNS1_14partition_implILS8_3ELb0ES6_jNS0_17counting_iteratorIjlEEPS9_SE_NS0_5tupleIJPjSE_EEENSF_IJSE_SE_EEES9_SG_JZNS1_25segmented_radix_sort_implINS0_14default_configELb1EPKiPiPKlPlN2at6native12_GLOBAL__N_18offset_tEEE10hipError_tPvRmT1_PNSt15iterator_traitsISY_E10value_typeET2_T3_PNSZ_IS14_E10value_typeET4_jRbjT5_S1A_jjP12ihipStream_tbEUljE_EEESV_SW_SX_S14_S18_S1A_T6_T7_T9_mT8_S1C_bDpT10_ENKUlT_T0_E_clISt17integral_constantIbLb0EES1P_EEDaS1K_S1L_EUlS1K_E_NS1_11comp_targetILNS1_3genE9ELNS1_11target_archE1100ELNS1_3gpuE3ELNS1_3repE0EEENS1_30default_config_static_selectorELNS0_4arch9wavefront6targetE1EEEvSY_.private_seg_size, 0
	.set _ZN7rocprim17ROCPRIM_400000_NS6detail17trampoline_kernelINS0_13select_configILj256ELj13ELNS0_17block_load_methodE3ELS4_3ELS4_3ELNS0_20block_scan_algorithmE0ELj4294967295EEENS1_25partition_config_selectorILNS1_17partition_subalgoE3EjNS0_10empty_typeEbEEZZNS1_14partition_implILS8_3ELb0ES6_jNS0_17counting_iteratorIjlEEPS9_SE_NS0_5tupleIJPjSE_EEENSF_IJSE_SE_EEES9_SG_JZNS1_25segmented_radix_sort_implINS0_14default_configELb1EPKiPiPKlPlN2at6native12_GLOBAL__N_18offset_tEEE10hipError_tPvRmT1_PNSt15iterator_traitsISY_E10value_typeET2_T3_PNSZ_IS14_E10value_typeET4_jRbjT5_S1A_jjP12ihipStream_tbEUljE_EEESV_SW_SX_S14_S18_S1A_T6_T7_T9_mT8_S1C_bDpT10_ENKUlT_T0_E_clISt17integral_constantIbLb0EES1P_EEDaS1K_S1L_EUlS1K_E_NS1_11comp_targetILNS1_3genE9ELNS1_11target_archE1100ELNS1_3gpuE3ELNS1_3repE0EEENS1_30default_config_static_selectorELNS0_4arch9wavefront6targetE1EEEvSY_.uses_vcc, 0
	.set _ZN7rocprim17ROCPRIM_400000_NS6detail17trampoline_kernelINS0_13select_configILj256ELj13ELNS0_17block_load_methodE3ELS4_3ELS4_3ELNS0_20block_scan_algorithmE0ELj4294967295EEENS1_25partition_config_selectorILNS1_17partition_subalgoE3EjNS0_10empty_typeEbEEZZNS1_14partition_implILS8_3ELb0ES6_jNS0_17counting_iteratorIjlEEPS9_SE_NS0_5tupleIJPjSE_EEENSF_IJSE_SE_EEES9_SG_JZNS1_25segmented_radix_sort_implINS0_14default_configELb1EPKiPiPKlPlN2at6native12_GLOBAL__N_18offset_tEEE10hipError_tPvRmT1_PNSt15iterator_traitsISY_E10value_typeET2_T3_PNSZ_IS14_E10value_typeET4_jRbjT5_S1A_jjP12ihipStream_tbEUljE_EEESV_SW_SX_S14_S18_S1A_T6_T7_T9_mT8_S1C_bDpT10_ENKUlT_T0_E_clISt17integral_constantIbLb0EES1P_EEDaS1K_S1L_EUlS1K_E_NS1_11comp_targetILNS1_3genE9ELNS1_11target_archE1100ELNS1_3gpuE3ELNS1_3repE0EEENS1_30default_config_static_selectorELNS0_4arch9wavefront6targetE1EEEvSY_.uses_flat_scratch, 0
	.set _ZN7rocprim17ROCPRIM_400000_NS6detail17trampoline_kernelINS0_13select_configILj256ELj13ELNS0_17block_load_methodE3ELS4_3ELS4_3ELNS0_20block_scan_algorithmE0ELj4294967295EEENS1_25partition_config_selectorILNS1_17partition_subalgoE3EjNS0_10empty_typeEbEEZZNS1_14partition_implILS8_3ELb0ES6_jNS0_17counting_iteratorIjlEEPS9_SE_NS0_5tupleIJPjSE_EEENSF_IJSE_SE_EEES9_SG_JZNS1_25segmented_radix_sort_implINS0_14default_configELb1EPKiPiPKlPlN2at6native12_GLOBAL__N_18offset_tEEE10hipError_tPvRmT1_PNSt15iterator_traitsISY_E10value_typeET2_T3_PNSZ_IS14_E10value_typeET4_jRbjT5_S1A_jjP12ihipStream_tbEUljE_EEESV_SW_SX_S14_S18_S1A_T6_T7_T9_mT8_S1C_bDpT10_ENKUlT_T0_E_clISt17integral_constantIbLb0EES1P_EEDaS1K_S1L_EUlS1K_E_NS1_11comp_targetILNS1_3genE9ELNS1_11target_archE1100ELNS1_3gpuE3ELNS1_3repE0EEENS1_30default_config_static_selectorELNS0_4arch9wavefront6targetE1EEEvSY_.has_dyn_sized_stack, 0
	.set _ZN7rocprim17ROCPRIM_400000_NS6detail17trampoline_kernelINS0_13select_configILj256ELj13ELNS0_17block_load_methodE3ELS4_3ELS4_3ELNS0_20block_scan_algorithmE0ELj4294967295EEENS1_25partition_config_selectorILNS1_17partition_subalgoE3EjNS0_10empty_typeEbEEZZNS1_14partition_implILS8_3ELb0ES6_jNS0_17counting_iteratorIjlEEPS9_SE_NS0_5tupleIJPjSE_EEENSF_IJSE_SE_EEES9_SG_JZNS1_25segmented_radix_sort_implINS0_14default_configELb1EPKiPiPKlPlN2at6native12_GLOBAL__N_18offset_tEEE10hipError_tPvRmT1_PNSt15iterator_traitsISY_E10value_typeET2_T3_PNSZ_IS14_E10value_typeET4_jRbjT5_S1A_jjP12ihipStream_tbEUljE_EEESV_SW_SX_S14_S18_S1A_T6_T7_T9_mT8_S1C_bDpT10_ENKUlT_T0_E_clISt17integral_constantIbLb0EES1P_EEDaS1K_S1L_EUlS1K_E_NS1_11comp_targetILNS1_3genE9ELNS1_11target_archE1100ELNS1_3gpuE3ELNS1_3repE0EEENS1_30default_config_static_selectorELNS0_4arch9wavefront6targetE1EEEvSY_.has_recursion, 0
	.set _ZN7rocprim17ROCPRIM_400000_NS6detail17trampoline_kernelINS0_13select_configILj256ELj13ELNS0_17block_load_methodE3ELS4_3ELS4_3ELNS0_20block_scan_algorithmE0ELj4294967295EEENS1_25partition_config_selectorILNS1_17partition_subalgoE3EjNS0_10empty_typeEbEEZZNS1_14partition_implILS8_3ELb0ES6_jNS0_17counting_iteratorIjlEEPS9_SE_NS0_5tupleIJPjSE_EEENSF_IJSE_SE_EEES9_SG_JZNS1_25segmented_radix_sort_implINS0_14default_configELb1EPKiPiPKlPlN2at6native12_GLOBAL__N_18offset_tEEE10hipError_tPvRmT1_PNSt15iterator_traitsISY_E10value_typeET2_T3_PNSZ_IS14_E10value_typeET4_jRbjT5_S1A_jjP12ihipStream_tbEUljE_EEESV_SW_SX_S14_S18_S1A_T6_T7_T9_mT8_S1C_bDpT10_ENKUlT_T0_E_clISt17integral_constantIbLb0EES1P_EEDaS1K_S1L_EUlS1K_E_NS1_11comp_targetILNS1_3genE9ELNS1_11target_archE1100ELNS1_3gpuE3ELNS1_3repE0EEENS1_30default_config_static_selectorELNS0_4arch9wavefront6targetE1EEEvSY_.has_indirect_call, 0
	.section	.AMDGPU.csdata,"",@progbits
; Kernel info:
; codeLenInByte = 0
; TotalNumSgprs: 4
; NumVgprs: 0
; ScratchSize: 0
; MemoryBound: 0
; FloatMode: 240
; IeeeMode: 1
; LDSByteSize: 0 bytes/workgroup (compile time only)
; SGPRBlocks: 0
; VGPRBlocks: 0
; NumSGPRsForWavesPerEU: 4
; NumVGPRsForWavesPerEU: 1
; Occupancy: 10
; WaveLimiterHint : 0
; COMPUTE_PGM_RSRC2:SCRATCH_EN: 0
; COMPUTE_PGM_RSRC2:USER_SGPR: 6
; COMPUTE_PGM_RSRC2:TRAP_HANDLER: 0
; COMPUTE_PGM_RSRC2:TGID_X_EN: 1
; COMPUTE_PGM_RSRC2:TGID_Y_EN: 0
; COMPUTE_PGM_RSRC2:TGID_Z_EN: 0
; COMPUTE_PGM_RSRC2:TIDIG_COMP_CNT: 0
	.section	.text._ZN7rocprim17ROCPRIM_400000_NS6detail17trampoline_kernelINS0_13select_configILj256ELj13ELNS0_17block_load_methodE3ELS4_3ELS4_3ELNS0_20block_scan_algorithmE0ELj4294967295EEENS1_25partition_config_selectorILNS1_17partition_subalgoE3EjNS0_10empty_typeEbEEZZNS1_14partition_implILS8_3ELb0ES6_jNS0_17counting_iteratorIjlEEPS9_SE_NS0_5tupleIJPjSE_EEENSF_IJSE_SE_EEES9_SG_JZNS1_25segmented_radix_sort_implINS0_14default_configELb1EPKiPiPKlPlN2at6native12_GLOBAL__N_18offset_tEEE10hipError_tPvRmT1_PNSt15iterator_traitsISY_E10value_typeET2_T3_PNSZ_IS14_E10value_typeET4_jRbjT5_S1A_jjP12ihipStream_tbEUljE_EEESV_SW_SX_S14_S18_S1A_T6_T7_T9_mT8_S1C_bDpT10_ENKUlT_T0_E_clISt17integral_constantIbLb0EES1P_EEDaS1K_S1L_EUlS1K_E_NS1_11comp_targetILNS1_3genE8ELNS1_11target_archE1030ELNS1_3gpuE2ELNS1_3repE0EEENS1_30default_config_static_selectorELNS0_4arch9wavefront6targetE1EEEvSY_,"axG",@progbits,_ZN7rocprim17ROCPRIM_400000_NS6detail17trampoline_kernelINS0_13select_configILj256ELj13ELNS0_17block_load_methodE3ELS4_3ELS4_3ELNS0_20block_scan_algorithmE0ELj4294967295EEENS1_25partition_config_selectorILNS1_17partition_subalgoE3EjNS0_10empty_typeEbEEZZNS1_14partition_implILS8_3ELb0ES6_jNS0_17counting_iteratorIjlEEPS9_SE_NS0_5tupleIJPjSE_EEENSF_IJSE_SE_EEES9_SG_JZNS1_25segmented_radix_sort_implINS0_14default_configELb1EPKiPiPKlPlN2at6native12_GLOBAL__N_18offset_tEEE10hipError_tPvRmT1_PNSt15iterator_traitsISY_E10value_typeET2_T3_PNSZ_IS14_E10value_typeET4_jRbjT5_S1A_jjP12ihipStream_tbEUljE_EEESV_SW_SX_S14_S18_S1A_T6_T7_T9_mT8_S1C_bDpT10_ENKUlT_T0_E_clISt17integral_constantIbLb0EES1P_EEDaS1K_S1L_EUlS1K_E_NS1_11comp_targetILNS1_3genE8ELNS1_11target_archE1030ELNS1_3gpuE2ELNS1_3repE0EEENS1_30default_config_static_selectorELNS0_4arch9wavefront6targetE1EEEvSY_,comdat
	.globl	_ZN7rocprim17ROCPRIM_400000_NS6detail17trampoline_kernelINS0_13select_configILj256ELj13ELNS0_17block_load_methodE3ELS4_3ELS4_3ELNS0_20block_scan_algorithmE0ELj4294967295EEENS1_25partition_config_selectorILNS1_17partition_subalgoE3EjNS0_10empty_typeEbEEZZNS1_14partition_implILS8_3ELb0ES6_jNS0_17counting_iteratorIjlEEPS9_SE_NS0_5tupleIJPjSE_EEENSF_IJSE_SE_EEES9_SG_JZNS1_25segmented_radix_sort_implINS0_14default_configELb1EPKiPiPKlPlN2at6native12_GLOBAL__N_18offset_tEEE10hipError_tPvRmT1_PNSt15iterator_traitsISY_E10value_typeET2_T3_PNSZ_IS14_E10value_typeET4_jRbjT5_S1A_jjP12ihipStream_tbEUljE_EEESV_SW_SX_S14_S18_S1A_T6_T7_T9_mT8_S1C_bDpT10_ENKUlT_T0_E_clISt17integral_constantIbLb0EES1P_EEDaS1K_S1L_EUlS1K_E_NS1_11comp_targetILNS1_3genE8ELNS1_11target_archE1030ELNS1_3gpuE2ELNS1_3repE0EEENS1_30default_config_static_selectorELNS0_4arch9wavefront6targetE1EEEvSY_ ; -- Begin function _ZN7rocprim17ROCPRIM_400000_NS6detail17trampoline_kernelINS0_13select_configILj256ELj13ELNS0_17block_load_methodE3ELS4_3ELS4_3ELNS0_20block_scan_algorithmE0ELj4294967295EEENS1_25partition_config_selectorILNS1_17partition_subalgoE3EjNS0_10empty_typeEbEEZZNS1_14partition_implILS8_3ELb0ES6_jNS0_17counting_iteratorIjlEEPS9_SE_NS0_5tupleIJPjSE_EEENSF_IJSE_SE_EEES9_SG_JZNS1_25segmented_radix_sort_implINS0_14default_configELb1EPKiPiPKlPlN2at6native12_GLOBAL__N_18offset_tEEE10hipError_tPvRmT1_PNSt15iterator_traitsISY_E10value_typeET2_T3_PNSZ_IS14_E10value_typeET4_jRbjT5_S1A_jjP12ihipStream_tbEUljE_EEESV_SW_SX_S14_S18_S1A_T6_T7_T9_mT8_S1C_bDpT10_ENKUlT_T0_E_clISt17integral_constantIbLb0EES1P_EEDaS1K_S1L_EUlS1K_E_NS1_11comp_targetILNS1_3genE8ELNS1_11target_archE1030ELNS1_3gpuE2ELNS1_3repE0EEENS1_30default_config_static_selectorELNS0_4arch9wavefront6targetE1EEEvSY_
	.p2align	8
	.type	_ZN7rocprim17ROCPRIM_400000_NS6detail17trampoline_kernelINS0_13select_configILj256ELj13ELNS0_17block_load_methodE3ELS4_3ELS4_3ELNS0_20block_scan_algorithmE0ELj4294967295EEENS1_25partition_config_selectorILNS1_17partition_subalgoE3EjNS0_10empty_typeEbEEZZNS1_14partition_implILS8_3ELb0ES6_jNS0_17counting_iteratorIjlEEPS9_SE_NS0_5tupleIJPjSE_EEENSF_IJSE_SE_EEES9_SG_JZNS1_25segmented_radix_sort_implINS0_14default_configELb1EPKiPiPKlPlN2at6native12_GLOBAL__N_18offset_tEEE10hipError_tPvRmT1_PNSt15iterator_traitsISY_E10value_typeET2_T3_PNSZ_IS14_E10value_typeET4_jRbjT5_S1A_jjP12ihipStream_tbEUljE_EEESV_SW_SX_S14_S18_S1A_T6_T7_T9_mT8_S1C_bDpT10_ENKUlT_T0_E_clISt17integral_constantIbLb0EES1P_EEDaS1K_S1L_EUlS1K_E_NS1_11comp_targetILNS1_3genE8ELNS1_11target_archE1030ELNS1_3gpuE2ELNS1_3repE0EEENS1_30default_config_static_selectorELNS0_4arch9wavefront6targetE1EEEvSY_,@function
_ZN7rocprim17ROCPRIM_400000_NS6detail17trampoline_kernelINS0_13select_configILj256ELj13ELNS0_17block_load_methodE3ELS4_3ELS4_3ELNS0_20block_scan_algorithmE0ELj4294967295EEENS1_25partition_config_selectorILNS1_17partition_subalgoE3EjNS0_10empty_typeEbEEZZNS1_14partition_implILS8_3ELb0ES6_jNS0_17counting_iteratorIjlEEPS9_SE_NS0_5tupleIJPjSE_EEENSF_IJSE_SE_EEES9_SG_JZNS1_25segmented_radix_sort_implINS0_14default_configELb1EPKiPiPKlPlN2at6native12_GLOBAL__N_18offset_tEEE10hipError_tPvRmT1_PNSt15iterator_traitsISY_E10value_typeET2_T3_PNSZ_IS14_E10value_typeET4_jRbjT5_S1A_jjP12ihipStream_tbEUljE_EEESV_SW_SX_S14_S18_S1A_T6_T7_T9_mT8_S1C_bDpT10_ENKUlT_T0_E_clISt17integral_constantIbLb0EES1P_EEDaS1K_S1L_EUlS1K_E_NS1_11comp_targetILNS1_3genE8ELNS1_11target_archE1030ELNS1_3gpuE2ELNS1_3repE0EEENS1_30default_config_static_selectorELNS0_4arch9wavefront6targetE1EEEvSY_: ; @_ZN7rocprim17ROCPRIM_400000_NS6detail17trampoline_kernelINS0_13select_configILj256ELj13ELNS0_17block_load_methodE3ELS4_3ELS4_3ELNS0_20block_scan_algorithmE0ELj4294967295EEENS1_25partition_config_selectorILNS1_17partition_subalgoE3EjNS0_10empty_typeEbEEZZNS1_14partition_implILS8_3ELb0ES6_jNS0_17counting_iteratorIjlEEPS9_SE_NS0_5tupleIJPjSE_EEENSF_IJSE_SE_EEES9_SG_JZNS1_25segmented_radix_sort_implINS0_14default_configELb1EPKiPiPKlPlN2at6native12_GLOBAL__N_18offset_tEEE10hipError_tPvRmT1_PNSt15iterator_traitsISY_E10value_typeET2_T3_PNSZ_IS14_E10value_typeET4_jRbjT5_S1A_jjP12ihipStream_tbEUljE_EEESV_SW_SX_S14_S18_S1A_T6_T7_T9_mT8_S1C_bDpT10_ENKUlT_T0_E_clISt17integral_constantIbLb0EES1P_EEDaS1K_S1L_EUlS1K_E_NS1_11comp_targetILNS1_3genE8ELNS1_11target_archE1030ELNS1_3gpuE2ELNS1_3repE0EEENS1_30default_config_static_selectorELNS0_4arch9wavefront6targetE1EEEvSY_
; %bb.0:
	.section	.rodata,"a",@progbits
	.p2align	6, 0x0
	.amdhsa_kernel _ZN7rocprim17ROCPRIM_400000_NS6detail17trampoline_kernelINS0_13select_configILj256ELj13ELNS0_17block_load_methodE3ELS4_3ELS4_3ELNS0_20block_scan_algorithmE0ELj4294967295EEENS1_25partition_config_selectorILNS1_17partition_subalgoE3EjNS0_10empty_typeEbEEZZNS1_14partition_implILS8_3ELb0ES6_jNS0_17counting_iteratorIjlEEPS9_SE_NS0_5tupleIJPjSE_EEENSF_IJSE_SE_EEES9_SG_JZNS1_25segmented_radix_sort_implINS0_14default_configELb1EPKiPiPKlPlN2at6native12_GLOBAL__N_18offset_tEEE10hipError_tPvRmT1_PNSt15iterator_traitsISY_E10value_typeET2_T3_PNSZ_IS14_E10value_typeET4_jRbjT5_S1A_jjP12ihipStream_tbEUljE_EEESV_SW_SX_S14_S18_S1A_T6_T7_T9_mT8_S1C_bDpT10_ENKUlT_T0_E_clISt17integral_constantIbLb0EES1P_EEDaS1K_S1L_EUlS1K_E_NS1_11comp_targetILNS1_3genE8ELNS1_11target_archE1030ELNS1_3gpuE2ELNS1_3repE0EEENS1_30default_config_static_selectorELNS0_4arch9wavefront6targetE1EEEvSY_
		.amdhsa_group_segment_fixed_size 0
		.amdhsa_private_segment_fixed_size 0
		.amdhsa_kernarg_size 144
		.amdhsa_user_sgpr_count 6
		.amdhsa_user_sgpr_private_segment_buffer 1
		.amdhsa_user_sgpr_dispatch_ptr 0
		.amdhsa_user_sgpr_queue_ptr 0
		.amdhsa_user_sgpr_kernarg_segment_ptr 1
		.amdhsa_user_sgpr_dispatch_id 0
		.amdhsa_user_sgpr_flat_scratch_init 0
		.amdhsa_user_sgpr_private_segment_size 0
		.amdhsa_uses_dynamic_stack 0
		.amdhsa_system_sgpr_private_segment_wavefront_offset 0
		.amdhsa_system_sgpr_workgroup_id_x 1
		.amdhsa_system_sgpr_workgroup_id_y 0
		.amdhsa_system_sgpr_workgroup_id_z 0
		.amdhsa_system_sgpr_workgroup_info 0
		.amdhsa_system_vgpr_workitem_id 0
		.amdhsa_next_free_vgpr 1
		.amdhsa_next_free_sgpr 0
		.amdhsa_reserve_vcc 0
		.amdhsa_reserve_flat_scratch 0
		.amdhsa_float_round_mode_32 0
		.amdhsa_float_round_mode_16_64 0
		.amdhsa_float_denorm_mode_32 3
		.amdhsa_float_denorm_mode_16_64 3
		.amdhsa_dx10_clamp 1
		.amdhsa_ieee_mode 1
		.amdhsa_fp16_overflow 0
		.amdhsa_exception_fp_ieee_invalid_op 0
		.amdhsa_exception_fp_denorm_src 0
		.amdhsa_exception_fp_ieee_div_zero 0
		.amdhsa_exception_fp_ieee_overflow 0
		.amdhsa_exception_fp_ieee_underflow 0
		.amdhsa_exception_fp_ieee_inexact 0
		.amdhsa_exception_int_div_zero 0
	.end_amdhsa_kernel
	.section	.text._ZN7rocprim17ROCPRIM_400000_NS6detail17trampoline_kernelINS0_13select_configILj256ELj13ELNS0_17block_load_methodE3ELS4_3ELS4_3ELNS0_20block_scan_algorithmE0ELj4294967295EEENS1_25partition_config_selectorILNS1_17partition_subalgoE3EjNS0_10empty_typeEbEEZZNS1_14partition_implILS8_3ELb0ES6_jNS0_17counting_iteratorIjlEEPS9_SE_NS0_5tupleIJPjSE_EEENSF_IJSE_SE_EEES9_SG_JZNS1_25segmented_radix_sort_implINS0_14default_configELb1EPKiPiPKlPlN2at6native12_GLOBAL__N_18offset_tEEE10hipError_tPvRmT1_PNSt15iterator_traitsISY_E10value_typeET2_T3_PNSZ_IS14_E10value_typeET4_jRbjT5_S1A_jjP12ihipStream_tbEUljE_EEESV_SW_SX_S14_S18_S1A_T6_T7_T9_mT8_S1C_bDpT10_ENKUlT_T0_E_clISt17integral_constantIbLb0EES1P_EEDaS1K_S1L_EUlS1K_E_NS1_11comp_targetILNS1_3genE8ELNS1_11target_archE1030ELNS1_3gpuE2ELNS1_3repE0EEENS1_30default_config_static_selectorELNS0_4arch9wavefront6targetE1EEEvSY_,"axG",@progbits,_ZN7rocprim17ROCPRIM_400000_NS6detail17trampoline_kernelINS0_13select_configILj256ELj13ELNS0_17block_load_methodE3ELS4_3ELS4_3ELNS0_20block_scan_algorithmE0ELj4294967295EEENS1_25partition_config_selectorILNS1_17partition_subalgoE3EjNS0_10empty_typeEbEEZZNS1_14partition_implILS8_3ELb0ES6_jNS0_17counting_iteratorIjlEEPS9_SE_NS0_5tupleIJPjSE_EEENSF_IJSE_SE_EEES9_SG_JZNS1_25segmented_radix_sort_implINS0_14default_configELb1EPKiPiPKlPlN2at6native12_GLOBAL__N_18offset_tEEE10hipError_tPvRmT1_PNSt15iterator_traitsISY_E10value_typeET2_T3_PNSZ_IS14_E10value_typeET4_jRbjT5_S1A_jjP12ihipStream_tbEUljE_EEESV_SW_SX_S14_S18_S1A_T6_T7_T9_mT8_S1C_bDpT10_ENKUlT_T0_E_clISt17integral_constantIbLb0EES1P_EEDaS1K_S1L_EUlS1K_E_NS1_11comp_targetILNS1_3genE8ELNS1_11target_archE1030ELNS1_3gpuE2ELNS1_3repE0EEENS1_30default_config_static_selectorELNS0_4arch9wavefront6targetE1EEEvSY_,comdat
.Lfunc_end472:
	.size	_ZN7rocprim17ROCPRIM_400000_NS6detail17trampoline_kernelINS0_13select_configILj256ELj13ELNS0_17block_load_methodE3ELS4_3ELS4_3ELNS0_20block_scan_algorithmE0ELj4294967295EEENS1_25partition_config_selectorILNS1_17partition_subalgoE3EjNS0_10empty_typeEbEEZZNS1_14partition_implILS8_3ELb0ES6_jNS0_17counting_iteratorIjlEEPS9_SE_NS0_5tupleIJPjSE_EEENSF_IJSE_SE_EEES9_SG_JZNS1_25segmented_radix_sort_implINS0_14default_configELb1EPKiPiPKlPlN2at6native12_GLOBAL__N_18offset_tEEE10hipError_tPvRmT1_PNSt15iterator_traitsISY_E10value_typeET2_T3_PNSZ_IS14_E10value_typeET4_jRbjT5_S1A_jjP12ihipStream_tbEUljE_EEESV_SW_SX_S14_S18_S1A_T6_T7_T9_mT8_S1C_bDpT10_ENKUlT_T0_E_clISt17integral_constantIbLb0EES1P_EEDaS1K_S1L_EUlS1K_E_NS1_11comp_targetILNS1_3genE8ELNS1_11target_archE1030ELNS1_3gpuE2ELNS1_3repE0EEENS1_30default_config_static_selectorELNS0_4arch9wavefront6targetE1EEEvSY_, .Lfunc_end472-_ZN7rocprim17ROCPRIM_400000_NS6detail17trampoline_kernelINS0_13select_configILj256ELj13ELNS0_17block_load_methodE3ELS4_3ELS4_3ELNS0_20block_scan_algorithmE0ELj4294967295EEENS1_25partition_config_selectorILNS1_17partition_subalgoE3EjNS0_10empty_typeEbEEZZNS1_14partition_implILS8_3ELb0ES6_jNS0_17counting_iteratorIjlEEPS9_SE_NS0_5tupleIJPjSE_EEENSF_IJSE_SE_EEES9_SG_JZNS1_25segmented_radix_sort_implINS0_14default_configELb1EPKiPiPKlPlN2at6native12_GLOBAL__N_18offset_tEEE10hipError_tPvRmT1_PNSt15iterator_traitsISY_E10value_typeET2_T3_PNSZ_IS14_E10value_typeET4_jRbjT5_S1A_jjP12ihipStream_tbEUljE_EEESV_SW_SX_S14_S18_S1A_T6_T7_T9_mT8_S1C_bDpT10_ENKUlT_T0_E_clISt17integral_constantIbLb0EES1P_EEDaS1K_S1L_EUlS1K_E_NS1_11comp_targetILNS1_3genE8ELNS1_11target_archE1030ELNS1_3gpuE2ELNS1_3repE0EEENS1_30default_config_static_selectorELNS0_4arch9wavefront6targetE1EEEvSY_
                                        ; -- End function
	.set _ZN7rocprim17ROCPRIM_400000_NS6detail17trampoline_kernelINS0_13select_configILj256ELj13ELNS0_17block_load_methodE3ELS4_3ELS4_3ELNS0_20block_scan_algorithmE0ELj4294967295EEENS1_25partition_config_selectorILNS1_17partition_subalgoE3EjNS0_10empty_typeEbEEZZNS1_14partition_implILS8_3ELb0ES6_jNS0_17counting_iteratorIjlEEPS9_SE_NS0_5tupleIJPjSE_EEENSF_IJSE_SE_EEES9_SG_JZNS1_25segmented_radix_sort_implINS0_14default_configELb1EPKiPiPKlPlN2at6native12_GLOBAL__N_18offset_tEEE10hipError_tPvRmT1_PNSt15iterator_traitsISY_E10value_typeET2_T3_PNSZ_IS14_E10value_typeET4_jRbjT5_S1A_jjP12ihipStream_tbEUljE_EEESV_SW_SX_S14_S18_S1A_T6_T7_T9_mT8_S1C_bDpT10_ENKUlT_T0_E_clISt17integral_constantIbLb0EES1P_EEDaS1K_S1L_EUlS1K_E_NS1_11comp_targetILNS1_3genE8ELNS1_11target_archE1030ELNS1_3gpuE2ELNS1_3repE0EEENS1_30default_config_static_selectorELNS0_4arch9wavefront6targetE1EEEvSY_.num_vgpr, 0
	.set _ZN7rocprim17ROCPRIM_400000_NS6detail17trampoline_kernelINS0_13select_configILj256ELj13ELNS0_17block_load_methodE3ELS4_3ELS4_3ELNS0_20block_scan_algorithmE0ELj4294967295EEENS1_25partition_config_selectorILNS1_17partition_subalgoE3EjNS0_10empty_typeEbEEZZNS1_14partition_implILS8_3ELb0ES6_jNS0_17counting_iteratorIjlEEPS9_SE_NS0_5tupleIJPjSE_EEENSF_IJSE_SE_EEES9_SG_JZNS1_25segmented_radix_sort_implINS0_14default_configELb1EPKiPiPKlPlN2at6native12_GLOBAL__N_18offset_tEEE10hipError_tPvRmT1_PNSt15iterator_traitsISY_E10value_typeET2_T3_PNSZ_IS14_E10value_typeET4_jRbjT5_S1A_jjP12ihipStream_tbEUljE_EEESV_SW_SX_S14_S18_S1A_T6_T7_T9_mT8_S1C_bDpT10_ENKUlT_T0_E_clISt17integral_constantIbLb0EES1P_EEDaS1K_S1L_EUlS1K_E_NS1_11comp_targetILNS1_3genE8ELNS1_11target_archE1030ELNS1_3gpuE2ELNS1_3repE0EEENS1_30default_config_static_selectorELNS0_4arch9wavefront6targetE1EEEvSY_.num_agpr, 0
	.set _ZN7rocprim17ROCPRIM_400000_NS6detail17trampoline_kernelINS0_13select_configILj256ELj13ELNS0_17block_load_methodE3ELS4_3ELS4_3ELNS0_20block_scan_algorithmE0ELj4294967295EEENS1_25partition_config_selectorILNS1_17partition_subalgoE3EjNS0_10empty_typeEbEEZZNS1_14partition_implILS8_3ELb0ES6_jNS0_17counting_iteratorIjlEEPS9_SE_NS0_5tupleIJPjSE_EEENSF_IJSE_SE_EEES9_SG_JZNS1_25segmented_radix_sort_implINS0_14default_configELb1EPKiPiPKlPlN2at6native12_GLOBAL__N_18offset_tEEE10hipError_tPvRmT1_PNSt15iterator_traitsISY_E10value_typeET2_T3_PNSZ_IS14_E10value_typeET4_jRbjT5_S1A_jjP12ihipStream_tbEUljE_EEESV_SW_SX_S14_S18_S1A_T6_T7_T9_mT8_S1C_bDpT10_ENKUlT_T0_E_clISt17integral_constantIbLb0EES1P_EEDaS1K_S1L_EUlS1K_E_NS1_11comp_targetILNS1_3genE8ELNS1_11target_archE1030ELNS1_3gpuE2ELNS1_3repE0EEENS1_30default_config_static_selectorELNS0_4arch9wavefront6targetE1EEEvSY_.numbered_sgpr, 0
	.set _ZN7rocprim17ROCPRIM_400000_NS6detail17trampoline_kernelINS0_13select_configILj256ELj13ELNS0_17block_load_methodE3ELS4_3ELS4_3ELNS0_20block_scan_algorithmE0ELj4294967295EEENS1_25partition_config_selectorILNS1_17partition_subalgoE3EjNS0_10empty_typeEbEEZZNS1_14partition_implILS8_3ELb0ES6_jNS0_17counting_iteratorIjlEEPS9_SE_NS0_5tupleIJPjSE_EEENSF_IJSE_SE_EEES9_SG_JZNS1_25segmented_radix_sort_implINS0_14default_configELb1EPKiPiPKlPlN2at6native12_GLOBAL__N_18offset_tEEE10hipError_tPvRmT1_PNSt15iterator_traitsISY_E10value_typeET2_T3_PNSZ_IS14_E10value_typeET4_jRbjT5_S1A_jjP12ihipStream_tbEUljE_EEESV_SW_SX_S14_S18_S1A_T6_T7_T9_mT8_S1C_bDpT10_ENKUlT_T0_E_clISt17integral_constantIbLb0EES1P_EEDaS1K_S1L_EUlS1K_E_NS1_11comp_targetILNS1_3genE8ELNS1_11target_archE1030ELNS1_3gpuE2ELNS1_3repE0EEENS1_30default_config_static_selectorELNS0_4arch9wavefront6targetE1EEEvSY_.num_named_barrier, 0
	.set _ZN7rocprim17ROCPRIM_400000_NS6detail17trampoline_kernelINS0_13select_configILj256ELj13ELNS0_17block_load_methodE3ELS4_3ELS4_3ELNS0_20block_scan_algorithmE0ELj4294967295EEENS1_25partition_config_selectorILNS1_17partition_subalgoE3EjNS0_10empty_typeEbEEZZNS1_14partition_implILS8_3ELb0ES6_jNS0_17counting_iteratorIjlEEPS9_SE_NS0_5tupleIJPjSE_EEENSF_IJSE_SE_EEES9_SG_JZNS1_25segmented_radix_sort_implINS0_14default_configELb1EPKiPiPKlPlN2at6native12_GLOBAL__N_18offset_tEEE10hipError_tPvRmT1_PNSt15iterator_traitsISY_E10value_typeET2_T3_PNSZ_IS14_E10value_typeET4_jRbjT5_S1A_jjP12ihipStream_tbEUljE_EEESV_SW_SX_S14_S18_S1A_T6_T7_T9_mT8_S1C_bDpT10_ENKUlT_T0_E_clISt17integral_constantIbLb0EES1P_EEDaS1K_S1L_EUlS1K_E_NS1_11comp_targetILNS1_3genE8ELNS1_11target_archE1030ELNS1_3gpuE2ELNS1_3repE0EEENS1_30default_config_static_selectorELNS0_4arch9wavefront6targetE1EEEvSY_.private_seg_size, 0
	.set _ZN7rocprim17ROCPRIM_400000_NS6detail17trampoline_kernelINS0_13select_configILj256ELj13ELNS0_17block_load_methodE3ELS4_3ELS4_3ELNS0_20block_scan_algorithmE0ELj4294967295EEENS1_25partition_config_selectorILNS1_17partition_subalgoE3EjNS0_10empty_typeEbEEZZNS1_14partition_implILS8_3ELb0ES6_jNS0_17counting_iteratorIjlEEPS9_SE_NS0_5tupleIJPjSE_EEENSF_IJSE_SE_EEES9_SG_JZNS1_25segmented_radix_sort_implINS0_14default_configELb1EPKiPiPKlPlN2at6native12_GLOBAL__N_18offset_tEEE10hipError_tPvRmT1_PNSt15iterator_traitsISY_E10value_typeET2_T3_PNSZ_IS14_E10value_typeET4_jRbjT5_S1A_jjP12ihipStream_tbEUljE_EEESV_SW_SX_S14_S18_S1A_T6_T7_T9_mT8_S1C_bDpT10_ENKUlT_T0_E_clISt17integral_constantIbLb0EES1P_EEDaS1K_S1L_EUlS1K_E_NS1_11comp_targetILNS1_3genE8ELNS1_11target_archE1030ELNS1_3gpuE2ELNS1_3repE0EEENS1_30default_config_static_selectorELNS0_4arch9wavefront6targetE1EEEvSY_.uses_vcc, 0
	.set _ZN7rocprim17ROCPRIM_400000_NS6detail17trampoline_kernelINS0_13select_configILj256ELj13ELNS0_17block_load_methodE3ELS4_3ELS4_3ELNS0_20block_scan_algorithmE0ELj4294967295EEENS1_25partition_config_selectorILNS1_17partition_subalgoE3EjNS0_10empty_typeEbEEZZNS1_14partition_implILS8_3ELb0ES6_jNS0_17counting_iteratorIjlEEPS9_SE_NS0_5tupleIJPjSE_EEENSF_IJSE_SE_EEES9_SG_JZNS1_25segmented_radix_sort_implINS0_14default_configELb1EPKiPiPKlPlN2at6native12_GLOBAL__N_18offset_tEEE10hipError_tPvRmT1_PNSt15iterator_traitsISY_E10value_typeET2_T3_PNSZ_IS14_E10value_typeET4_jRbjT5_S1A_jjP12ihipStream_tbEUljE_EEESV_SW_SX_S14_S18_S1A_T6_T7_T9_mT8_S1C_bDpT10_ENKUlT_T0_E_clISt17integral_constantIbLb0EES1P_EEDaS1K_S1L_EUlS1K_E_NS1_11comp_targetILNS1_3genE8ELNS1_11target_archE1030ELNS1_3gpuE2ELNS1_3repE0EEENS1_30default_config_static_selectorELNS0_4arch9wavefront6targetE1EEEvSY_.uses_flat_scratch, 0
	.set _ZN7rocprim17ROCPRIM_400000_NS6detail17trampoline_kernelINS0_13select_configILj256ELj13ELNS0_17block_load_methodE3ELS4_3ELS4_3ELNS0_20block_scan_algorithmE0ELj4294967295EEENS1_25partition_config_selectorILNS1_17partition_subalgoE3EjNS0_10empty_typeEbEEZZNS1_14partition_implILS8_3ELb0ES6_jNS0_17counting_iteratorIjlEEPS9_SE_NS0_5tupleIJPjSE_EEENSF_IJSE_SE_EEES9_SG_JZNS1_25segmented_radix_sort_implINS0_14default_configELb1EPKiPiPKlPlN2at6native12_GLOBAL__N_18offset_tEEE10hipError_tPvRmT1_PNSt15iterator_traitsISY_E10value_typeET2_T3_PNSZ_IS14_E10value_typeET4_jRbjT5_S1A_jjP12ihipStream_tbEUljE_EEESV_SW_SX_S14_S18_S1A_T6_T7_T9_mT8_S1C_bDpT10_ENKUlT_T0_E_clISt17integral_constantIbLb0EES1P_EEDaS1K_S1L_EUlS1K_E_NS1_11comp_targetILNS1_3genE8ELNS1_11target_archE1030ELNS1_3gpuE2ELNS1_3repE0EEENS1_30default_config_static_selectorELNS0_4arch9wavefront6targetE1EEEvSY_.has_dyn_sized_stack, 0
	.set _ZN7rocprim17ROCPRIM_400000_NS6detail17trampoline_kernelINS0_13select_configILj256ELj13ELNS0_17block_load_methodE3ELS4_3ELS4_3ELNS0_20block_scan_algorithmE0ELj4294967295EEENS1_25partition_config_selectorILNS1_17partition_subalgoE3EjNS0_10empty_typeEbEEZZNS1_14partition_implILS8_3ELb0ES6_jNS0_17counting_iteratorIjlEEPS9_SE_NS0_5tupleIJPjSE_EEENSF_IJSE_SE_EEES9_SG_JZNS1_25segmented_radix_sort_implINS0_14default_configELb1EPKiPiPKlPlN2at6native12_GLOBAL__N_18offset_tEEE10hipError_tPvRmT1_PNSt15iterator_traitsISY_E10value_typeET2_T3_PNSZ_IS14_E10value_typeET4_jRbjT5_S1A_jjP12ihipStream_tbEUljE_EEESV_SW_SX_S14_S18_S1A_T6_T7_T9_mT8_S1C_bDpT10_ENKUlT_T0_E_clISt17integral_constantIbLb0EES1P_EEDaS1K_S1L_EUlS1K_E_NS1_11comp_targetILNS1_3genE8ELNS1_11target_archE1030ELNS1_3gpuE2ELNS1_3repE0EEENS1_30default_config_static_selectorELNS0_4arch9wavefront6targetE1EEEvSY_.has_recursion, 0
	.set _ZN7rocprim17ROCPRIM_400000_NS6detail17trampoline_kernelINS0_13select_configILj256ELj13ELNS0_17block_load_methodE3ELS4_3ELS4_3ELNS0_20block_scan_algorithmE0ELj4294967295EEENS1_25partition_config_selectorILNS1_17partition_subalgoE3EjNS0_10empty_typeEbEEZZNS1_14partition_implILS8_3ELb0ES6_jNS0_17counting_iteratorIjlEEPS9_SE_NS0_5tupleIJPjSE_EEENSF_IJSE_SE_EEES9_SG_JZNS1_25segmented_radix_sort_implINS0_14default_configELb1EPKiPiPKlPlN2at6native12_GLOBAL__N_18offset_tEEE10hipError_tPvRmT1_PNSt15iterator_traitsISY_E10value_typeET2_T3_PNSZ_IS14_E10value_typeET4_jRbjT5_S1A_jjP12ihipStream_tbEUljE_EEESV_SW_SX_S14_S18_S1A_T6_T7_T9_mT8_S1C_bDpT10_ENKUlT_T0_E_clISt17integral_constantIbLb0EES1P_EEDaS1K_S1L_EUlS1K_E_NS1_11comp_targetILNS1_3genE8ELNS1_11target_archE1030ELNS1_3gpuE2ELNS1_3repE0EEENS1_30default_config_static_selectorELNS0_4arch9wavefront6targetE1EEEvSY_.has_indirect_call, 0
	.section	.AMDGPU.csdata,"",@progbits
; Kernel info:
; codeLenInByte = 0
; TotalNumSgprs: 4
; NumVgprs: 0
; ScratchSize: 0
; MemoryBound: 0
; FloatMode: 240
; IeeeMode: 1
; LDSByteSize: 0 bytes/workgroup (compile time only)
; SGPRBlocks: 0
; VGPRBlocks: 0
; NumSGPRsForWavesPerEU: 4
; NumVGPRsForWavesPerEU: 1
; Occupancy: 10
; WaveLimiterHint : 0
; COMPUTE_PGM_RSRC2:SCRATCH_EN: 0
; COMPUTE_PGM_RSRC2:USER_SGPR: 6
; COMPUTE_PGM_RSRC2:TRAP_HANDLER: 0
; COMPUTE_PGM_RSRC2:TGID_X_EN: 1
; COMPUTE_PGM_RSRC2:TGID_Y_EN: 0
; COMPUTE_PGM_RSRC2:TGID_Z_EN: 0
; COMPUTE_PGM_RSRC2:TIDIG_COMP_CNT: 0
	.section	.text._ZN7rocprim17ROCPRIM_400000_NS6detail17trampoline_kernelINS0_13select_configILj256ELj13ELNS0_17block_load_methodE3ELS4_3ELS4_3ELNS0_20block_scan_algorithmE0ELj4294967295EEENS1_25partition_config_selectorILNS1_17partition_subalgoE3EjNS0_10empty_typeEbEEZZNS1_14partition_implILS8_3ELb0ES6_jNS0_17counting_iteratorIjlEEPS9_SE_NS0_5tupleIJPjSE_EEENSF_IJSE_SE_EEES9_SG_JZNS1_25segmented_radix_sort_implINS0_14default_configELb1EPKiPiPKlPlN2at6native12_GLOBAL__N_18offset_tEEE10hipError_tPvRmT1_PNSt15iterator_traitsISY_E10value_typeET2_T3_PNSZ_IS14_E10value_typeET4_jRbjT5_S1A_jjP12ihipStream_tbEUljE_EEESV_SW_SX_S14_S18_S1A_T6_T7_T9_mT8_S1C_bDpT10_ENKUlT_T0_E_clISt17integral_constantIbLb1EES1P_EEDaS1K_S1L_EUlS1K_E_NS1_11comp_targetILNS1_3genE0ELNS1_11target_archE4294967295ELNS1_3gpuE0ELNS1_3repE0EEENS1_30default_config_static_selectorELNS0_4arch9wavefront6targetE1EEEvSY_,"axG",@progbits,_ZN7rocprim17ROCPRIM_400000_NS6detail17trampoline_kernelINS0_13select_configILj256ELj13ELNS0_17block_load_methodE3ELS4_3ELS4_3ELNS0_20block_scan_algorithmE0ELj4294967295EEENS1_25partition_config_selectorILNS1_17partition_subalgoE3EjNS0_10empty_typeEbEEZZNS1_14partition_implILS8_3ELb0ES6_jNS0_17counting_iteratorIjlEEPS9_SE_NS0_5tupleIJPjSE_EEENSF_IJSE_SE_EEES9_SG_JZNS1_25segmented_radix_sort_implINS0_14default_configELb1EPKiPiPKlPlN2at6native12_GLOBAL__N_18offset_tEEE10hipError_tPvRmT1_PNSt15iterator_traitsISY_E10value_typeET2_T3_PNSZ_IS14_E10value_typeET4_jRbjT5_S1A_jjP12ihipStream_tbEUljE_EEESV_SW_SX_S14_S18_S1A_T6_T7_T9_mT8_S1C_bDpT10_ENKUlT_T0_E_clISt17integral_constantIbLb1EES1P_EEDaS1K_S1L_EUlS1K_E_NS1_11comp_targetILNS1_3genE0ELNS1_11target_archE4294967295ELNS1_3gpuE0ELNS1_3repE0EEENS1_30default_config_static_selectorELNS0_4arch9wavefront6targetE1EEEvSY_,comdat
	.globl	_ZN7rocprim17ROCPRIM_400000_NS6detail17trampoline_kernelINS0_13select_configILj256ELj13ELNS0_17block_load_methodE3ELS4_3ELS4_3ELNS0_20block_scan_algorithmE0ELj4294967295EEENS1_25partition_config_selectorILNS1_17partition_subalgoE3EjNS0_10empty_typeEbEEZZNS1_14partition_implILS8_3ELb0ES6_jNS0_17counting_iteratorIjlEEPS9_SE_NS0_5tupleIJPjSE_EEENSF_IJSE_SE_EEES9_SG_JZNS1_25segmented_radix_sort_implINS0_14default_configELb1EPKiPiPKlPlN2at6native12_GLOBAL__N_18offset_tEEE10hipError_tPvRmT1_PNSt15iterator_traitsISY_E10value_typeET2_T3_PNSZ_IS14_E10value_typeET4_jRbjT5_S1A_jjP12ihipStream_tbEUljE_EEESV_SW_SX_S14_S18_S1A_T6_T7_T9_mT8_S1C_bDpT10_ENKUlT_T0_E_clISt17integral_constantIbLb1EES1P_EEDaS1K_S1L_EUlS1K_E_NS1_11comp_targetILNS1_3genE0ELNS1_11target_archE4294967295ELNS1_3gpuE0ELNS1_3repE0EEENS1_30default_config_static_selectorELNS0_4arch9wavefront6targetE1EEEvSY_ ; -- Begin function _ZN7rocprim17ROCPRIM_400000_NS6detail17trampoline_kernelINS0_13select_configILj256ELj13ELNS0_17block_load_methodE3ELS4_3ELS4_3ELNS0_20block_scan_algorithmE0ELj4294967295EEENS1_25partition_config_selectorILNS1_17partition_subalgoE3EjNS0_10empty_typeEbEEZZNS1_14partition_implILS8_3ELb0ES6_jNS0_17counting_iteratorIjlEEPS9_SE_NS0_5tupleIJPjSE_EEENSF_IJSE_SE_EEES9_SG_JZNS1_25segmented_radix_sort_implINS0_14default_configELb1EPKiPiPKlPlN2at6native12_GLOBAL__N_18offset_tEEE10hipError_tPvRmT1_PNSt15iterator_traitsISY_E10value_typeET2_T3_PNSZ_IS14_E10value_typeET4_jRbjT5_S1A_jjP12ihipStream_tbEUljE_EEESV_SW_SX_S14_S18_S1A_T6_T7_T9_mT8_S1C_bDpT10_ENKUlT_T0_E_clISt17integral_constantIbLb1EES1P_EEDaS1K_S1L_EUlS1K_E_NS1_11comp_targetILNS1_3genE0ELNS1_11target_archE4294967295ELNS1_3gpuE0ELNS1_3repE0EEENS1_30default_config_static_selectorELNS0_4arch9wavefront6targetE1EEEvSY_
	.p2align	8
	.type	_ZN7rocprim17ROCPRIM_400000_NS6detail17trampoline_kernelINS0_13select_configILj256ELj13ELNS0_17block_load_methodE3ELS4_3ELS4_3ELNS0_20block_scan_algorithmE0ELj4294967295EEENS1_25partition_config_selectorILNS1_17partition_subalgoE3EjNS0_10empty_typeEbEEZZNS1_14partition_implILS8_3ELb0ES6_jNS0_17counting_iteratorIjlEEPS9_SE_NS0_5tupleIJPjSE_EEENSF_IJSE_SE_EEES9_SG_JZNS1_25segmented_radix_sort_implINS0_14default_configELb1EPKiPiPKlPlN2at6native12_GLOBAL__N_18offset_tEEE10hipError_tPvRmT1_PNSt15iterator_traitsISY_E10value_typeET2_T3_PNSZ_IS14_E10value_typeET4_jRbjT5_S1A_jjP12ihipStream_tbEUljE_EEESV_SW_SX_S14_S18_S1A_T6_T7_T9_mT8_S1C_bDpT10_ENKUlT_T0_E_clISt17integral_constantIbLb1EES1P_EEDaS1K_S1L_EUlS1K_E_NS1_11comp_targetILNS1_3genE0ELNS1_11target_archE4294967295ELNS1_3gpuE0ELNS1_3repE0EEENS1_30default_config_static_selectorELNS0_4arch9wavefront6targetE1EEEvSY_,@function
_ZN7rocprim17ROCPRIM_400000_NS6detail17trampoline_kernelINS0_13select_configILj256ELj13ELNS0_17block_load_methodE3ELS4_3ELS4_3ELNS0_20block_scan_algorithmE0ELj4294967295EEENS1_25partition_config_selectorILNS1_17partition_subalgoE3EjNS0_10empty_typeEbEEZZNS1_14partition_implILS8_3ELb0ES6_jNS0_17counting_iteratorIjlEEPS9_SE_NS0_5tupleIJPjSE_EEENSF_IJSE_SE_EEES9_SG_JZNS1_25segmented_radix_sort_implINS0_14default_configELb1EPKiPiPKlPlN2at6native12_GLOBAL__N_18offset_tEEE10hipError_tPvRmT1_PNSt15iterator_traitsISY_E10value_typeET2_T3_PNSZ_IS14_E10value_typeET4_jRbjT5_S1A_jjP12ihipStream_tbEUljE_EEESV_SW_SX_S14_S18_S1A_T6_T7_T9_mT8_S1C_bDpT10_ENKUlT_T0_E_clISt17integral_constantIbLb1EES1P_EEDaS1K_S1L_EUlS1K_E_NS1_11comp_targetILNS1_3genE0ELNS1_11target_archE4294967295ELNS1_3gpuE0ELNS1_3repE0EEENS1_30default_config_static_selectorELNS0_4arch9wavefront6targetE1EEEvSY_: ; @_ZN7rocprim17ROCPRIM_400000_NS6detail17trampoline_kernelINS0_13select_configILj256ELj13ELNS0_17block_load_methodE3ELS4_3ELS4_3ELNS0_20block_scan_algorithmE0ELj4294967295EEENS1_25partition_config_selectorILNS1_17partition_subalgoE3EjNS0_10empty_typeEbEEZZNS1_14partition_implILS8_3ELb0ES6_jNS0_17counting_iteratorIjlEEPS9_SE_NS0_5tupleIJPjSE_EEENSF_IJSE_SE_EEES9_SG_JZNS1_25segmented_radix_sort_implINS0_14default_configELb1EPKiPiPKlPlN2at6native12_GLOBAL__N_18offset_tEEE10hipError_tPvRmT1_PNSt15iterator_traitsISY_E10value_typeET2_T3_PNSZ_IS14_E10value_typeET4_jRbjT5_S1A_jjP12ihipStream_tbEUljE_EEESV_SW_SX_S14_S18_S1A_T6_T7_T9_mT8_S1C_bDpT10_ENKUlT_T0_E_clISt17integral_constantIbLb1EES1P_EEDaS1K_S1L_EUlS1K_E_NS1_11comp_targetILNS1_3genE0ELNS1_11target_archE4294967295ELNS1_3gpuE0ELNS1_3repE0EEENS1_30default_config_static_selectorELNS0_4arch9wavefront6targetE1EEEvSY_
; %bb.0:
	.section	.rodata,"a",@progbits
	.p2align	6, 0x0
	.amdhsa_kernel _ZN7rocprim17ROCPRIM_400000_NS6detail17trampoline_kernelINS0_13select_configILj256ELj13ELNS0_17block_load_methodE3ELS4_3ELS4_3ELNS0_20block_scan_algorithmE0ELj4294967295EEENS1_25partition_config_selectorILNS1_17partition_subalgoE3EjNS0_10empty_typeEbEEZZNS1_14partition_implILS8_3ELb0ES6_jNS0_17counting_iteratorIjlEEPS9_SE_NS0_5tupleIJPjSE_EEENSF_IJSE_SE_EEES9_SG_JZNS1_25segmented_radix_sort_implINS0_14default_configELb1EPKiPiPKlPlN2at6native12_GLOBAL__N_18offset_tEEE10hipError_tPvRmT1_PNSt15iterator_traitsISY_E10value_typeET2_T3_PNSZ_IS14_E10value_typeET4_jRbjT5_S1A_jjP12ihipStream_tbEUljE_EEESV_SW_SX_S14_S18_S1A_T6_T7_T9_mT8_S1C_bDpT10_ENKUlT_T0_E_clISt17integral_constantIbLb1EES1P_EEDaS1K_S1L_EUlS1K_E_NS1_11comp_targetILNS1_3genE0ELNS1_11target_archE4294967295ELNS1_3gpuE0ELNS1_3repE0EEENS1_30default_config_static_selectorELNS0_4arch9wavefront6targetE1EEEvSY_
		.amdhsa_group_segment_fixed_size 0
		.amdhsa_private_segment_fixed_size 0
		.amdhsa_kernarg_size 152
		.amdhsa_user_sgpr_count 6
		.amdhsa_user_sgpr_private_segment_buffer 1
		.amdhsa_user_sgpr_dispatch_ptr 0
		.amdhsa_user_sgpr_queue_ptr 0
		.amdhsa_user_sgpr_kernarg_segment_ptr 1
		.amdhsa_user_sgpr_dispatch_id 0
		.amdhsa_user_sgpr_flat_scratch_init 0
		.amdhsa_user_sgpr_private_segment_size 0
		.amdhsa_uses_dynamic_stack 0
		.amdhsa_system_sgpr_private_segment_wavefront_offset 0
		.amdhsa_system_sgpr_workgroup_id_x 1
		.amdhsa_system_sgpr_workgroup_id_y 0
		.amdhsa_system_sgpr_workgroup_id_z 0
		.amdhsa_system_sgpr_workgroup_info 0
		.amdhsa_system_vgpr_workitem_id 0
		.amdhsa_next_free_vgpr 1
		.amdhsa_next_free_sgpr 0
		.amdhsa_reserve_vcc 0
		.amdhsa_reserve_flat_scratch 0
		.amdhsa_float_round_mode_32 0
		.amdhsa_float_round_mode_16_64 0
		.amdhsa_float_denorm_mode_32 3
		.amdhsa_float_denorm_mode_16_64 3
		.amdhsa_dx10_clamp 1
		.amdhsa_ieee_mode 1
		.amdhsa_fp16_overflow 0
		.amdhsa_exception_fp_ieee_invalid_op 0
		.amdhsa_exception_fp_denorm_src 0
		.amdhsa_exception_fp_ieee_div_zero 0
		.amdhsa_exception_fp_ieee_overflow 0
		.amdhsa_exception_fp_ieee_underflow 0
		.amdhsa_exception_fp_ieee_inexact 0
		.amdhsa_exception_int_div_zero 0
	.end_amdhsa_kernel
	.section	.text._ZN7rocprim17ROCPRIM_400000_NS6detail17trampoline_kernelINS0_13select_configILj256ELj13ELNS0_17block_load_methodE3ELS4_3ELS4_3ELNS0_20block_scan_algorithmE0ELj4294967295EEENS1_25partition_config_selectorILNS1_17partition_subalgoE3EjNS0_10empty_typeEbEEZZNS1_14partition_implILS8_3ELb0ES6_jNS0_17counting_iteratorIjlEEPS9_SE_NS0_5tupleIJPjSE_EEENSF_IJSE_SE_EEES9_SG_JZNS1_25segmented_radix_sort_implINS0_14default_configELb1EPKiPiPKlPlN2at6native12_GLOBAL__N_18offset_tEEE10hipError_tPvRmT1_PNSt15iterator_traitsISY_E10value_typeET2_T3_PNSZ_IS14_E10value_typeET4_jRbjT5_S1A_jjP12ihipStream_tbEUljE_EEESV_SW_SX_S14_S18_S1A_T6_T7_T9_mT8_S1C_bDpT10_ENKUlT_T0_E_clISt17integral_constantIbLb1EES1P_EEDaS1K_S1L_EUlS1K_E_NS1_11comp_targetILNS1_3genE0ELNS1_11target_archE4294967295ELNS1_3gpuE0ELNS1_3repE0EEENS1_30default_config_static_selectorELNS0_4arch9wavefront6targetE1EEEvSY_,"axG",@progbits,_ZN7rocprim17ROCPRIM_400000_NS6detail17trampoline_kernelINS0_13select_configILj256ELj13ELNS0_17block_load_methodE3ELS4_3ELS4_3ELNS0_20block_scan_algorithmE0ELj4294967295EEENS1_25partition_config_selectorILNS1_17partition_subalgoE3EjNS0_10empty_typeEbEEZZNS1_14partition_implILS8_3ELb0ES6_jNS0_17counting_iteratorIjlEEPS9_SE_NS0_5tupleIJPjSE_EEENSF_IJSE_SE_EEES9_SG_JZNS1_25segmented_radix_sort_implINS0_14default_configELb1EPKiPiPKlPlN2at6native12_GLOBAL__N_18offset_tEEE10hipError_tPvRmT1_PNSt15iterator_traitsISY_E10value_typeET2_T3_PNSZ_IS14_E10value_typeET4_jRbjT5_S1A_jjP12ihipStream_tbEUljE_EEESV_SW_SX_S14_S18_S1A_T6_T7_T9_mT8_S1C_bDpT10_ENKUlT_T0_E_clISt17integral_constantIbLb1EES1P_EEDaS1K_S1L_EUlS1K_E_NS1_11comp_targetILNS1_3genE0ELNS1_11target_archE4294967295ELNS1_3gpuE0ELNS1_3repE0EEENS1_30default_config_static_selectorELNS0_4arch9wavefront6targetE1EEEvSY_,comdat
.Lfunc_end473:
	.size	_ZN7rocprim17ROCPRIM_400000_NS6detail17trampoline_kernelINS0_13select_configILj256ELj13ELNS0_17block_load_methodE3ELS4_3ELS4_3ELNS0_20block_scan_algorithmE0ELj4294967295EEENS1_25partition_config_selectorILNS1_17partition_subalgoE3EjNS0_10empty_typeEbEEZZNS1_14partition_implILS8_3ELb0ES6_jNS0_17counting_iteratorIjlEEPS9_SE_NS0_5tupleIJPjSE_EEENSF_IJSE_SE_EEES9_SG_JZNS1_25segmented_radix_sort_implINS0_14default_configELb1EPKiPiPKlPlN2at6native12_GLOBAL__N_18offset_tEEE10hipError_tPvRmT1_PNSt15iterator_traitsISY_E10value_typeET2_T3_PNSZ_IS14_E10value_typeET4_jRbjT5_S1A_jjP12ihipStream_tbEUljE_EEESV_SW_SX_S14_S18_S1A_T6_T7_T9_mT8_S1C_bDpT10_ENKUlT_T0_E_clISt17integral_constantIbLb1EES1P_EEDaS1K_S1L_EUlS1K_E_NS1_11comp_targetILNS1_3genE0ELNS1_11target_archE4294967295ELNS1_3gpuE0ELNS1_3repE0EEENS1_30default_config_static_selectorELNS0_4arch9wavefront6targetE1EEEvSY_, .Lfunc_end473-_ZN7rocprim17ROCPRIM_400000_NS6detail17trampoline_kernelINS0_13select_configILj256ELj13ELNS0_17block_load_methodE3ELS4_3ELS4_3ELNS0_20block_scan_algorithmE0ELj4294967295EEENS1_25partition_config_selectorILNS1_17partition_subalgoE3EjNS0_10empty_typeEbEEZZNS1_14partition_implILS8_3ELb0ES6_jNS0_17counting_iteratorIjlEEPS9_SE_NS0_5tupleIJPjSE_EEENSF_IJSE_SE_EEES9_SG_JZNS1_25segmented_radix_sort_implINS0_14default_configELb1EPKiPiPKlPlN2at6native12_GLOBAL__N_18offset_tEEE10hipError_tPvRmT1_PNSt15iterator_traitsISY_E10value_typeET2_T3_PNSZ_IS14_E10value_typeET4_jRbjT5_S1A_jjP12ihipStream_tbEUljE_EEESV_SW_SX_S14_S18_S1A_T6_T7_T9_mT8_S1C_bDpT10_ENKUlT_T0_E_clISt17integral_constantIbLb1EES1P_EEDaS1K_S1L_EUlS1K_E_NS1_11comp_targetILNS1_3genE0ELNS1_11target_archE4294967295ELNS1_3gpuE0ELNS1_3repE0EEENS1_30default_config_static_selectorELNS0_4arch9wavefront6targetE1EEEvSY_
                                        ; -- End function
	.set _ZN7rocprim17ROCPRIM_400000_NS6detail17trampoline_kernelINS0_13select_configILj256ELj13ELNS0_17block_load_methodE3ELS4_3ELS4_3ELNS0_20block_scan_algorithmE0ELj4294967295EEENS1_25partition_config_selectorILNS1_17partition_subalgoE3EjNS0_10empty_typeEbEEZZNS1_14partition_implILS8_3ELb0ES6_jNS0_17counting_iteratorIjlEEPS9_SE_NS0_5tupleIJPjSE_EEENSF_IJSE_SE_EEES9_SG_JZNS1_25segmented_radix_sort_implINS0_14default_configELb1EPKiPiPKlPlN2at6native12_GLOBAL__N_18offset_tEEE10hipError_tPvRmT1_PNSt15iterator_traitsISY_E10value_typeET2_T3_PNSZ_IS14_E10value_typeET4_jRbjT5_S1A_jjP12ihipStream_tbEUljE_EEESV_SW_SX_S14_S18_S1A_T6_T7_T9_mT8_S1C_bDpT10_ENKUlT_T0_E_clISt17integral_constantIbLb1EES1P_EEDaS1K_S1L_EUlS1K_E_NS1_11comp_targetILNS1_3genE0ELNS1_11target_archE4294967295ELNS1_3gpuE0ELNS1_3repE0EEENS1_30default_config_static_selectorELNS0_4arch9wavefront6targetE1EEEvSY_.num_vgpr, 0
	.set _ZN7rocprim17ROCPRIM_400000_NS6detail17trampoline_kernelINS0_13select_configILj256ELj13ELNS0_17block_load_methodE3ELS4_3ELS4_3ELNS0_20block_scan_algorithmE0ELj4294967295EEENS1_25partition_config_selectorILNS1_17partition_subalgoE3EjNS0_10empty_typeEbEEZZNS1_14partition_implILS8_3ELb0ES6_jNS0_17counting_iteratorIjlEEPS9_SE_NS0_5tupleIJPjSE_EEENSF_IJSE_SE_EEES9_SG_JZNS1_25segmented_radix_sort_implINS0_14default_configELb1EPKiPiPKlPlN2at6native12_GLOBAL__N_18offset_tEEE10hipError_tPvRmT1_PNSt15iterator_traitsISY_E10value_typeET2_T3_PNSZ_IS14_E10value_typeET4_jRbjT5_S1A_jjP12ihipStream_tbEUljE_EEESV_SW_SX_S14_S18_S1A_T6_T7_T9_mT8_S1C_bDpT10_ENKUlT_T0_E_clISt17integral_constantIbLb1EES1P_EEDaS1K_S1L_EUlS1K_E_NS1_11comp_targetILNS1_3genE0ELNS1_11target_archE4294967295ELNS1_3gpuE0ELNS1_3repE0EEENS1_30default_config_static_selectorELNS0_4arch9wavefront6targetE1EEEvSY_.num_agpr, 0
	.set _ZN7rocprim17ROCPRIM_400000_NS6detail17trampoline_kernelINS0_13select_configILj256ELj13ELNS0_17block_load_methodE3ELS4_3ELS4_3ELNS0_20block_scan_algorithmE0ELj4294967295EEENS1_25partition_config_selectorILNS1_17partition_subalgoE3EjNS0_10empty_typeEbEEZZNS1_14partition_implILS8_3ELb0ES6_jNS0_17counting_iteratorIjlEEPS9_SE_NS0_5tupleIJPjSE_EEENSF_IJSE_SE_EEES9_SG_JZNS1_25segmented_radix_sort_implINS0_14default_configELb1EPKiPiPKlPlN2at6native12_GLOBAL__N_18offset_tEEE10hipError_tPvRmT1_PNSt15iterator_traitsISY_E10value_typeET2_T3_PNSZ_IS14_E10value_typeET4_jRbjT5_S1A_jjP12ihipStream_tbEUljE_EEESV_SW_SX_S14_S18_S1A_T6_T7_T9_mT8_S1C_bDpT10_ENKUlT_T0_E_clISt17integral_constantIbLb1EES1P_EEDaS1K_S1L_EUlS1K_E_NS1_11comp_targetILNS1_3genE0ELNS1_11target_archE4294967295ELNS1_3gpuE0ELNS1_3repE0EEENS1_30default_config_static_selectorELNS0_4arch9wavefront6targetE1EEEvSY_.numbered_sgpr, 0
	.set _ZN7rocprim17ROCPRIM_400000_NS6detail17trampoline_kernelINS0_13select_configILj256ELj13ELNS0_17block_load_methodE3ELS4_3ELS4_3ELNS0_20block_scan_algorithmE0ELj4294967295EEENS1_25partition_config_selectorILNS1_17partition_subalgoE3EjNS0_10empty_typeEbEEZZNS1_14partition_implILS8_3ELb0ES6_jNS0_17counting_iteratorIjlEEPS9_SE_NS0_5tupleIJPjSE_EEENSF_IJSE_SE_EEES9_SG_JZNS1_25segmented_radix_sort_implINS0_14default_configELb1EPKiPiPKlPlN2at6native12_GLOBAL__N_18offset_tEEE10hipError_tPvRmT1_PNSt15iterator_traitsISY_E10value_typeET2_T3_PNSZ_IS14_E10value_typeET4_jRbjT5_S1A_jjP12ihipStream_tbEUljE_EEESV_SW_SX_S14_S18_S1A_T6_T7_T9_mT8_S1C_bDpT10_ENKUlT_T0_E_clISt17integral_constantIbLb1EES1P_EEDaS1K_S1L_EUlS1K_E_NS1_11comp_targetILNS1_3genE0ELNS1_11target_archE4294967295ELNS1_3gpuE0ELNS1_3repE0EEENS1_30default_config_static_selectorELNS0_4arch9wavefront6targetE1EEEvSY_.num_named_barrier, 0
	.set _ZN7rocprim17ROCPRIM_400000_NS6detail17trampoline_kernelINS0_13select_configILj256ELj13ELNS0_17block_load_methodE3ELS4_3ELS4_3ELNS0_20block_scan_algorithmE0ELj4294967295EEENS1_25partition_config_selectorILNS1_17partition_subalgoE3EjNS0_10empty_typeEbEEZZNS1_14partition_implILS8_3ELb0ES6_jNS0_17counting_iteratorIjlEEPS9_SE_NS0_5tupleIJPjSE_EEENSF_IJSE_SE_EEES9_SG_JZNS1_25segmented_radix_sort_implINS0_14default_configELb1EPKiPiPKlPlN2at6native12_GLOBAL__N_18offset_tEEE10hipError_tPvRmT1_PNSt15iterator_traitsISY_E10value_typeET2_T3_PNSZ_IS14_E10value_typeET4_jRbjT5_S1A_jjP12ihipStream_tbEUljE_EEESV_SW_SX_S14_S18_S1A_T6_T7_T9_mT8_S1C_bDpT10_ENKUlT_T0_E_clISt17integral_constantIbLb1EES1P_EEDaS1K_S1L_EUlS1K_E_NS1_11comp_targetILNS1_3genE0ELNS1_11target_archE4294967295ELNS1_3gpuE0ELNS1_3repE0EEENS1_30default_config_static_selectorELNS0_4arch9wavefront6targetE1EEEvSY_.private_seg_size, 0
	.set _ZN7rocprim17ROCPRIM_400000_NS6detail17trampoline_kernelINS0_13select_configILj256ELj13ELNS0_17block_load_methodE3ELS4_3ELS4_3ELNS0_20block_scan_algorithmE0ELj4294967295EEENS1_25partition_config_selectorILNS1_17partition_subalgoE3EjNS0_10empty_typeEbEEZZNS1_14partition_implILS8_3ELb0ES6_jNS0_17counting_iteratorIjlEEPS9_SE_NS0_5tupleIJPjSE_EEENSF_IJSE_SE_EEES9_SG_JZNS1_25segmented_radix_sort_implINS0_14default_configELb1EPKiPiPKlPlN2at6native12_GLOBAL__N_18offset_tEEE10hipError_tPvRmT1_PNSt15iterator_traitsISY_E10value_typeET2_T3_PNSZ_IS14_E10value_typeET4_jRbjT5_S1A_jjP12ihipStream_tbEUljE_EEESV_SW_SX_S14_S18_S1A_T6_T7_T9_mT8_S1C_bDpT10_ENKUlT_T0_E_clISt17integral_constantIbLb1EES1P_EEDaS1K_S1L_EUlS1K_E_NS1_11comp_targetILNS1_3genE0ELNS1_11target_archE4294967295ELNS1_3gpuE0ELNS1_3repE0EEENS1_30default_config_static_selectorELNS0_4arch9wavefront6targetE1EEEvSY_.uses_vcc, 0
	.set _ZN7rocprim17ROCPRIM_400000_NS6detail17trampoline_kernelINS0_13select_configILj256ELj13ELNS0_17block_load_methodE3ELS4_3ELS4_3ELNS0_20block_scan_algorithmE0ELj4294967295EEENS1_25partition_config_selectorILNS1_17partition_subalgoE3EjNS0_10empty_typeEbEEZZNS1_14partition_implILS8_3ELb0ES6_jNS0_17counting_iteratorIjlEEPS9_SE_NS0_5tupleIJPjSE_EEENSF_IJSE_SE_EEES9_SG_JZNS1_25segmented_radix_sort_implINS0_14default_configELb1EPKiPiPKlPlN2at6native12_GLOBAL__N_18offset_tEEE10hipError_tPvRmT1_PNSt15iterator_traitsISY_E10value_typeET2_T3_PNSZ_IS14_E10value_typeET4_jRbjT5_S1A_jjP12ihipStream_tbEUljE_EEESV_SW_SX_S14_S18_S1A_T6_T7_T9_mT8_S1C_bDpT10_ENKUlT_T0_E_clISt17integral_constantIbLb1EES1P_EEDaS1K_S1L_EUlS1K_E_NS1_11comp_targetILNS1_3genE0ELNS1_11target_archE4294967295ELNS1_3gpuE0ELNS1_3repE0EEENS1_30default_config_static_selectorELNS0_4arch9wavefront6targetE1EEEvSY_.uses_flat_scratch, 0
	.set _ZN7rocprim17ROCPRIM_400000_NS6detail17trampoline_kernelINS0_13select_configILj256ELj13ELNS0_17block_load_methodE3ELS4_3ELS4_3ELNS0_20block_scan_algorithmE0ELj4294967295EEENS1_25partition_config_selectorILNS1_17partition_subalgoE3EjNS0_10empty_typeEbEEZZNS1_14partition_implILS8_3ELb0ES6_jNS0_17counting_iteratorIjlEEPS9_SE_NS0_5tupleIJPjSE_EEENSF_IJSE_SE_EEES9_SG_JZNS1_25segmented_radix_sort_implINS0_14default_configELb1EPKiPiPKlPlN2at6native12_GLOBAL__N_18offset_tEEE10hipError_tPvRmT1_PNSt15iterator_traitsISY_E10value_typeET2_T3_PNSZ_IS14_E10value_typeET4_jRbjT5_S1A_jjP12ihipStream_tbEUljE_EEESV_SW_SX_S14_S18_S1A_T6_T7_T9_mT8_S1C_bDpT10_ENKUlT_T0_E_clISt17integral_constantIbLb1EES1P_EEDaS1K_S1L_EUlS1K_E_NS1_11comp_targetILNS1_3genE0ELNS1_11target_archE4294967295ELNS1_3gpuE0ELNS1_3repE0EEENS1_30default_config_static_selectorELNS0_4arch9wavefront6targetE1EEEvSY_.has_dyn_sized_stack, 0
	.set _ZN7rocprim17ROCPRIM_400000_NS6detail17trampoline_kernelINS0_13select_configILj256ELj13ELNS0_17block_load_methodE3ELS4_3ELS4_3ELNS0_20block_scan_algorithmE0ELj4294967295EEENS1_25partition_config_selectorILNS1_17partition_subalgoE3EjNS0_10empty_typeEbEEZZNS1_14partition_implILS8_3ELb0ES6_jNS0_17counting_iteratorIjlEEPS9_SE_NS0_5tupleIJPjSE_EEENSF_IJSE_SE_EEES9_SG_JZNS1_25segmented_radix_sort_implINS0_14default_configELb1EPKiPiPKlPlN2at6native12_GLOBAL__N_18offset_tEEE10hipError_tPvRmT1_PNSt15iterator_traitsISY_E10value_typeET2_T3_PNSZ_IS14_E10value_typeET4_jRbjT5_S1A_jjP12ihipStream_tbEUljE_EEESV_SW_SX_S14_S18_S1A_T6_T7_T9_mT8_S1C_bDpT10_ENKUlT_T0_E_clISt17integral_constantIbLb1EES1P_EEDaS1K_S1L_EUlS1K_E_NS1_11comp_targetILNS1_3genE0ELNS1_11target_archE4294967295ELNS1_3gpuE0ELNS1_3repE0EEENS1_30default_config_static_selectorELNS0_4arch9wavefront6targetE1EEEvSY_.has_recursion, 0
	.set _ZN7rocprim17ROCPRIM_400000_NS6detail17trampoline_kernelINS0_13select_configILj256ELj13ELNS0_17block_load_methodE3ELS4_3ELS4_3ELNS0_20block_scan_algorithmE0ELj4294967295EEENS1_25partition_config_selectorILNS1_17partition_subalgoE3EjNS0_10empty_typeEbEEZZNS1_14partition_implILS8_3ELb0ES6_jNS0_17counting_iteratorIjlEEPS9_SE_NS0_5tupleIJPjSE_EEENSF_IJSE_SE_EEES9_SG_JZNS1_25segmented_radix_sort_implINS0_14default_configELb1EPKiPiPKlPlN2at6native12_GLOBAL__N_18offset_tEEE10hipError_tPvRmT1_PNSt15iterator_traitsISY_E10value_typeET2_T3_PNSZ_IS14_E10value_typeET4_jRbjT5_S1A_jjP12ihipStream_tbEUljE_EEESV_SW_SX_S14_S18_S1A_T6_T7_T9_mT8_S1C_bDpT10_ENKUlT_T0_E_clISt17integral_constantIbLb1EES1P_EEDaS1K_S1L_EUlS1K_E_NS1_11comp_targetILNS1_3genE0ELNS1_11target_archE4294967295ELNS1_3gpuE0ELNS1_3repE0EEENS1_30default_config_static_selectorELNS0_4arch9wavefront6targetE1EEEvSY_.has_indirect_call, 0
	.section	.AMDGPU.csdata,"",@progbits
; Kernel info:
; codeLenInByte = 0
; TotalNumSgprs: 4
; NumVgprs: 0
; ScratchSize: 0
; MemoryBound: 0
; FloatMode: 240
; IeeeMode: 1
; LDSByteSize: 0 bytes/workgroup (compile time only)
; SGPRBlocks: 0
; VGPRBlocks: 0
; NumSGPRsForWavesPerEU: 4
; NumVGPRsForWavesPerEU: 1
; Occupancy: 10
; WaveLimiterHint : 0
; COMPUTE_PGM_RSRC2:SCRATCH_EN: 0
; COMPUTE_PGM_RSRC2:USER_SGPR: 6
; COMPUTE_PGM_RSRC2:TRAP_HANDLER: 0
; COMPUTE_PGM_RSRC2:TGID_X_EN: 1
; COMPUTE_PGM_RSRC2:TGID_Y_EN: 0
; COMPUTE_PGM_RSRC2:TGID_Z_EN: 0
; COMPUTE_PGM_RSRC2:TIDIG_COMP_CNT: 0
	.section	.text._ZN7rocprim17ROCPRIM_400000_NS6detail17trampoline_kernelINS0_13select_configILj256ELj13ELNS0_17block_load_methodE3ELS4_3ELS4_3ELNS0_20block_scan_algorithmE0ELj4294967295EEENS1_25partition_config_selectorILNS1_17partition_subalgoE3EjNS0_10empty_typeEbEEZZNS1_14partition_implILS8_3ELb0ES6_jNS0_17counting_iteratorIjlEEPS9_SE_NS0_5tupleIJPjSE_EEENSF_IJSE_SE_EEES9_SG_JZNS1_25segmented_radix_sort_implINS0_14default_configELb1EPKiPiPKlPlN2at6native12_GLOBAL__N_18offset_tEEE10hipError_tPvRmT1_PNSt15iterator_traitsISY_E10value_typeET2_T3_PNSZ_IS14_E10value_typeET4_jRbjT5_S1A_jjP12ihipStream_tbEUljE_EEESV_SW_SX_S14_S18_S1A_T6_T7_T9_mT8_S1C_bDpT10_ENKUlT_T0_E_clISt17integral_constantIbLb1EES1P_EEDaS1K_S1L_EUlS1K_E_NS1_11comp_targetILNS1_3genE5ELNS1_11target_archE942ELNS1_3gpuE9ELNS1_3repE0EEENS1_30default_config_static_selectorELNS0_4arch9wavefront6targetE1EEEvSY_,"axG",@progbits,_ZN7rocprim17ROCPRIM_400000_NS6detail17trampoline_kernelINS0_13select_configILj256ELj13ELNS0_17block_load_methodE3ELS4_3ELS4_3ELNS0_20block_scan_algorithmE0ELj4294967295EEENS1_25partition_config_selectorILNS1_17partition_subalgoE3EjNS0_10empty_typeEbEEZZNS1_14partition_implILS8_3ELb0ES6_jNS0_17counting_iteratorIjlEEPS9_SE_NS0_5tupleIJPjSE_EEENSF_IJSE_SE_EEES9_SG_JZNS1_25segmented_radix_sort_implINS0_14default_configELb1EPKiPiPKlPlN2at6native12_GLOBAL__N_18offset_tEEE10hipError_tPvRmT1_PNSt15iterator_traitsISY_E10value_typeET2_T3_PNSZ_IS14_E10value_typeET4_jRbjT5_S1A_jjP12ihipStream_tbEUljE_EEESV_SW_SX_S14_S18_S1A_T6_T7_T9_mT8_S1C_bDpT10_ENKUlT_T0_E_clISt17integral_constantIbLb1EES1P_EEDaS1K_S1L_EUlS1K_E_NS1_11comp_targetILNS1_3genE5ELNS1_11target_archE942ELNS1_3gpuE9ELNS1_3repE0EEENS1_30default_config_static_selectorELNS0_4arch9wavefront6targetE1EEEvSY_,comdat
	.globl	_ZN7rocprim17ROCPRIM_400000_NS6detail17trampoline_kernelINS0_13select_configILj256ELj13ELNS0_17block_load_methodE3ELS4_3ELS4_3ELNS0_20block_scan_algorithmE0ELj4294967295EEENS1_25partition_config_selectorILNS1_17partition_subalgoE3EjNS0_10empty_typeEbEEZZNS1_14partition_implILS8_3ELb0ES6_jNS0_17counting_iteratorIjlEEPS9_SE_NS0_5tupleIJPjSE_EEENSF_IJSE_SE_EEES9_SG_JZNS1_25segmented_radix_sort_implINS0_14default_configELb1EPKiPiPKlPlN2at6native12_GLOBAL__N_18offset_tEEE10hipError_tPvRmT1_PNSt15iterator_traitsISY_E10value_typeET2_T3_PNSZ_IS14_E10value_typeET4_jRbjT5_S1A_jjP12ihipStream_tbEUljE_EEESV_SW_SX_S14_S18_S1A_T6_T7_T9_mT8_S1C_bDpT10_ENKUlT_T0_E_clISt17integral_constantIbLb1EES1P_EEDaS1K_S1L_EUlS1K_E_NS1_11comp_targetILNS1_3genE5ELNS1_11target_archE942ELNS1_3gpuE9ELNS1_3repE0EEENS1_30default_config_static_selectorELNS0_4arch9wavefront6targetE1EEEvSY_ ; -- Begin function _ZN7rocprim17ROCPRIM_400000_NS6detail17trampoline_kernelINS0_13select_configILj256ELj13ELNS0_17block_load_methodE3ELS4_3ELS4_3ELNS0_20block_scan_algorithmE0ELj4294967295EEENS1_25partition_config_selectorILNS1_17partition_subalgoE3EjNS0_10empty_typeEbEEZZNS1_14partition_implILS8_3ELb0ES6_jNS0_17counting_iteratorIjlEEPS9_SE_NS0_5tupleIJPjSE_EEENSF_IJSE_SE_EEES9_SG_JZNS1_25segmented_radix_sort_implINS0_14default_configELb1EPKiPiPKlPlN2at6native12_GLOBAL__N_18offset_tEEE10hipError_tPvRmT1_PNSt15iterator_traitsISY_E10value_typeET2_T3_PNSZ_IS14_E10value_typeET4_jRbjT5_S1A_jjP12ihipStream_tbEUljE_EEESV_SW_SX_S14_S18_S1A_T6_T7_T9_mT8_S1C_bDpT10_ENKUlT_T0_E_clISt17integral_constantIbLb1EES1P_EEDaS1K_S1L_EUlS1K_E_NS1_11comp_targetILNS1_3genE5ELNS1_11target_archE942ELNS1_3gpuE9ELNS1_3repE0EEENS1_30default_config_static_selectorELNS0_4arch9wavefront6targetE1EEEvSY_
	.p2align	8
	.type	_ZN7rocprim17ROCPRIM_400000_NS6detail17trampoline_kernelINS0_13select_configILj256ELj13ELNS0_17block_load_methodE3ELS4_3ELS4_3ELNS0_20block_scan_algorithmE0ELj4294967295EEENS1_25partition_config_selectorILNS1_17partition_subalgoE3EjNS0_10empty_typeEbEEZZNS1_14partition_implILS8_3ELb0ES6_jNS0_17counting_iteratorIjlEEPS9_SE_NS0_5tupleIJPjSE_EEENSF_IJSE_SE_EEES9_SG_JZNS1_25segmented_radix_sort_implINS0_14default_configELb1EPKiPiPKlPlN2at6native12_GLOBAL__N_18offset_tEEE10hipError_tPvRmT1_PNSt15iterator_traitsISY_E10value_typeET2_T3_PNSZ_IS14_E10value_typeET4_jRbjT5_S1A_jjP12ihipStream_tbEUljE_EEESV_SW_SX_S14_S18_S1A_T6_T7_T9_mT8_S1C_bDpT10_ENKUlT_T0_E_clISt17integral_constantIbLb1EES1P_EEDaS1K_S1L_EUlS1K_E_NS1_11comp_targetILNS1_3genE5ELNS1_11target_archE942ELNS1_3gpuE9ELNS1_3repE0EEENS1_30default_config_static_selectorELNS0_4arch9wavefront6targetE1EEEvSY_,@function
_ZN7rocprim17ROCPRIM_400000_NS6detail17trampoline_kernelINS0_13select_configILj256ELj13ELNS0_17block_load_methodE3ELS4_3ELS4_3ELNS0_20block_scan_algorithmE0ELj4294967295EEENS1_25partition_config_selectorILNS1_17partition_subalgoE3EjNS0_10empty_typeEbEEZZNS1_14partition_implILS8_3ELb0ES6_jNS0_17counting_iteratorIjlEEPS9_SE_NS0_5tupleIJPjSE_EEENSF_IJSE_SE_EEES9_SG_JZNS1_25segmented_radix_sort_implINS0_14default_configELb1EPKiPiPKlPlN2at6native12_GLOBAL__N_18offset_tEEE10hipError_tPvRmT1_PNSt15iterator_traitsISY_E10value_typeET2_T3_PNSZ_IS14_E10value_typeET4_jRbjT5_S1A_jjP12ihipStream_tbEUljE_EEESV_SW_SX_S14_S18_S1A_T6_T7_T9_mT8_S1C_bDpT10_ENKUlT_T0_E_clISt17integral_constantIbLb1EES1P_EEDaS1K_S1L_EUlS1K_E_NS1_11comp_targetILNS1_3genE5ELNS1_11target_archE942ELNS1_3gpuE9ELNS1_3repE0EEENS1_30default_config_static_selectorELNS0_4arch9wavefront6targetE1EEEvSY_: ; @_ZN7rocprim17ROCPRIM_400000_NS6detail17trampoline_kernelINS0_13select_configILj256ELj13ELNS0_17block_load_methodE3ELS4_3ELS4_3ELNS0_20block_scan_algorithmE0ELj4294967295EEENS1_25partition_config_selectorILNS1_17partition_subalgoE3EjNS0_10empty_typeEbEEZZNS1_14partition_implILS8_3ELb0ES6_jNS0_17counting_iteratorIjlEEPS9_SE_NS0_5tupleIJPjSE_EEENSF_IJSE_SE_EEES9_SG_JZNS1_25segmented_radix_sort_implINS0_14default_configELb1EPKiPiPKlPlN2at6native12_GLOBAL__N_18offset_tEEE10hipError_tPvRmT1_PNSt15iterator_traitsISY_E10value_typeET2_T3_PNSZ_IS14_E10value_typeET4_jRbjT5_S1A_jjP12ihipStream_tbEUljE_EEESV_SW_SX_S14_S18_S1A_T6_T7_T9_mT8_S1C_bDpT10_ENKUlT_T0_E_clISt17integral_constantIbLb1EES1P_EEDaS1K_S1L_EUlS1K_E_NS1_11comp_targetILNS1_3genE5ELNS1_11target_archE942ELNS1_3gpuE9ELNS1_3repE0EEENS1_30default_config_static_selectorELNS0_4arch9wavefront6targetE1EEEvSY_
; %bb.0:
	.section	.rodata,"a",@progbits
	.p2align	6, 0x0
	.amdhsa_kernel _ZN7rocprim17ROCPRIM_400000_NS6detail17trampoline_kernelINS0_13select_configILj256ELj13ELNS0_17block_load_methodE3ELS4_3ELS4_3ELNS0_20block_scan_algorithmE0ELj4294967295EEENS1_25partition_config_selectorILNS1_17partition_subalgoE3EjNS0_10empty_typeEbEEZZNS1_14partition_implILS8_3ELb0ES6_jNS0_17counting_iteratorIjlEEPS9_SE_NS0_5tupleIJPjSE_EEENSF_IJSE_SE_EEES9_SG_JZNS1_25segmented_radix_sort_implINS0_14default_configELb1EPKiPiPKlPlN2at6native12_GLOBAL__N_18offset_tEEE10hipError_tPvRmT1_PNSt15iterator_traitsISY_E10value_typeET2_T3_PNSZ_IS14_E10value_typeET4_jRbjT5_S1A_jjP12ihipStream_tbEUljE_EEESV_SW_SX_S14_S18_S1A_T6_T7_T9_mT8_S1C_bDpT10_ENKUlT_T0_E_clISt17integral_constantIbLb1EES1P_EEDaS1K_S1L_EUlS1K_E_NS1_11comp_targetILNS1_3genE5ELNS1_11target_archE942ELNS1_3gpuE9ELNS1_3repE0EEENS1_30default_config_static_selectorELNS0_4arch9wavefront6targetE1EEEvSY_
		.amdhsa_group_segment_fixed_size 0
		.amdhsa_private_segment_fixed_size 0
		.amdhsa_kernarg_size 152
		.amdhsa_user_sgpr_count 6
		.amdhsa_user_sgpr_private_segment_buffer 1
		.amdhsa_user_sgpr_dispatch_ptr 0
		.amdhsa_user_sgpr_queue_ptr 0
		.amdhsa_user_sgpr_kernarg_segment_ptr 1
		.amdhsa_user_sgpr_dispatch_id 0
		.amdhsa_user_sgpr_flat_scratch_init 0
		.amdhsa_user_sgpr_private_segment_size 0
		.amdhsa_uses_dynamic_stack 0
		.amdhsa_system_sgpr_private_segment_wavefront_offset 0
		.amdhsa_system_sgpr_workgroup_id_x 1
		.amdhsa_system_sgpr_workgroup_id_y 0
		.amdhsa_system_sgpr_workgroup_id_z 0
		.amdhsa_system_sgpr_workgroup_info 0
		.amdhsa_system_vgpr_workitem_id 0
		.amdhsa_next_free_vgpr 1
		.amdhsa_next_free_sgpr 0
		.amdhsa_reserve_vcc 0
		.amdhsa_reserve_flat_scratch 0
		.amdhsa_float_round_mode_32 0
		.amdhsa_float_round_mode_16_64 0
		.amdhsa_float_denorm_mode_32 3
		.amdhsa_float_denorm_mode_16_64 3
		.amdhsa_dx10_clamp 1
		.amdhsa_ieee_mode 1
		.amdhsa_fp16_overflow 0
		.amdhsa_exception_fp_ieee_invalid_op 0
		.amdhsa_exception_fp_denorm_src 0
		.amdhsa_exception_fp_ieee_div_zero 0
		.amdhsa_exception_fp_ieee_overflow 0
		.amdhsa_exception_fp_ieee_underflow 0
		.amdhsa_exception_fp_ieee_inexact 0
		.amdhsa_exception_int_div_zero 0
	.end_amdhsa_kernel
	.section	.text._ZN7rocprim17ROCPRIM_400000_NS6detail17trampoline_kernelINS0_13select_configILj256ELj13ELNS0_17block_load_methodE3ELS4_3ELS4_3ELNS0_20block_scan_algorithmE0ELj4294967295EEENS1_25partition_config_selectorILNS1_17partition_subalgoE3EjNS0_10empty_typeEbEEZZNS1_14partition_implILS8_3ELb0ES6_jNS0_17counting_iteratorIjlEEPS9_SE_NS0_5tupleIJPjSE_EEENSF_IJSE_SE_EEES9_SG_JZNS1_25segmented_radix_sort_implINS0_14default_configELb1EPKiPiPKlPlN2at6native12_GLOBAL__N_18offset_tEEE10hipError_tPvRmT1_PNSt15iterator_traitsISY_E10value_typeET2_T3_PNSZ_IS14_E10value_typeET4_jRbjT5_S1A_jjP12ihipStream_tbEUljE_EEESV_SW_SX_S14_S18_S1A_T6_T7_T9_mT8_S1C_bDpT10_ENKUlT_T0_E_clISt17integral_constantIbLb1EES1P_EEDaS1K_S1L_EUlS1K_E_NS1_11comp_targetILNS1_3genE5ELNS1_11target_archE942ELNS1_3gpuE9ELNS1_3repE0EEENS1_30default_config_static_selectorELNS0_4arch9wavefront6targetE1EEEvSY_,"axG",@progbits,_ZN7rocprim17ROCPRIM_400000_NS6detail17trampoline_kernelINS0_13select_configILj256ELj13ELNS0_17block_load_methodE3ELS4_3ELS4_3ELNS0_20block_scan_algorithmE0ELj4294967295EEENS1_25partition_config_selectorILNS1_17partition_subalgoE3EjNS0_10empty_typeEbEEZZNS1_14partition_implILS8_3ELb0ES6_jNS0_17counting_iteratorIjlEEPS9_SE_NS0_5tupleIJPjSE_EEENSF_IJSE_SE_EEES9_SG_JZNS1_25segmented_radix_sort_implINS0_14default_configELb1EPKiPiPKlPlN2at6native12_GLOBAL__N_18offset_tEEE10hipError_tPvRmT1_PNSt15iterator_traitsISY_E10value_typeET2_T3_PNSZ_IS14_E10value_typeET4_jRbjT5_S1A_jjP12ihipStream_tbEUljE_EEESV_SW_SX_S14_S18_S1A_T6_T7_T9_mT8_S1C_bDpT10_ENKUlT_T0_E_clISt17integral_constantIbLb1EES1P_EEDaS1K_S1L_EUlS1K_E_NS1_11comp_targetILNS1_3genE5ELNS1_11target_archE942ELNS1_3gpuE9ELNS1_3repE0EEENS1_30default_config_static_selectorELNS0_4arch9wavefront6targetE1EEEvSY_,comdat
.Lfunc_end474:
	.size	_ZN7rocprim17ROCPRIM_400000_NS6detail17trampoline_kernelINS0_13select_configILj256ELj13ELNS0_17block_load_methodE3ELS4_3ELS4_3ELNS0_20block_scan_algorithmE0ELj4294967295EEENS1_25partition_config_selectorILNS1_17partition_subalgoE3EjNS0_10empty_typeEbEEZZNS1_14partition_implILS8_3ELb0ES6_jNS0_17counting_iteratorIjlEEPS9_SE_NS0_5tupleIJPjSE_EEENSF_IJSE_SE_EEES9_SG_JZNS1_25segmented_radix_sort_implINS0_14default_configELb1EPKiPiPKlPlN2at6native12_GLOBAL__N_18offset_tEEE10hipError_tPvRmT1_PNSt15iterator_traitsISY_E10value_typeET2_T3_PNSZ_IS14_E10value_typeET4_jRbjT5_S1A_jjP12ihipStream_tbEUljE_EEESV_SW_SX_S14_S18_S1A_T6_T7_T9_mT8_S1C_bDpT10_ENKUlT_T0_E_clISt17integral_constantIbLb1EES1P_EEDaS1K_S1L_EUlS1K_E_NS1_11comp_targetILNS1_3genE5ELNS1_11target_archE942ELNS1_3gpuE9ELNS1_3repE0EEENS1_30default_config_static_selectorELNS0_4arch9wavefront6targetE1EEEvSY_, .Lfunc_end474-_ZN7rocprim17ROCPRIM_400000_NS6detail17trampoline_kernelINS0_13select_configILj256ELj13ELNS0_17block_load_methodE3ELS4_3ELS4_3ELNS0_20block_scan_algorithmE0ELj4294967295EEENS1_25partition_config_selectorILNS1_17partition_subalgoE3EjNS0_10empty_typeEbEEZZNS1_14partition_implILS8_3ELb0ES6_jNS0_17counting_iteratorIjlEEPS9_SE_NS0_5tupleIJPjSE_EEENSF_IJSE_SE_EEES9_SG_JZNS1_25segmented_radix_sort_implINS0_14default_configELb1EPKiPiPKlPlN2at6native12_GLOBAL__N_18offset_tEEE10hipError_tPvRmT1_PNSt15iterator_traitsISY_E10value_typeET2_T3_PNSZ_IS14_E10value_typeET4_jRbjT5_S1A_jjP12ihipStream_tbEUljE_EEESV_SW_SX_S14_S18_S1A_T6_T7_T9_mT8_S1C_bDpT10_ENKUlT_T0_E_clISt17integral_constantIbLb1EES1P_EEDaS1K_S1L_EUlS1K_E_NS1_11comp_targetILNS1_3genE5ELNS1_11target_archE942ELNS1_3gpuE9ELNS1_3repE0EEENS1_30default_config_static_selectorELNS0_4arch9wavefront6targetE1EEEvSY_
                                        ; -- End function
	.set _ZN7rocprim17ROCPRIM_400000_NS6detail17trampoline_kernelINS0_13select_configILj256ELj13ELNS0_17block_load_methodE3ELS4_3ELS4_3ELNS0_20block_scan_algorithmE0ELj4294967295EEENS1_25partition_config_selectorILNS1_17partition_subalgoE3EjNS0_10empty_typeEbEEZZNS1_14partition_implILS8_3ELb0ES6_jNS0_17counting_iteratorIjlEEPS9_SE_NS0_5tupleIJPjSE_EEENSF_IJSE_SE_EEES9_SG_JZNS1_25segmented_radix_sort_implINS0_14default_configELb1EPKiPiPKlPlN2at6native12_GLOBAL__N_18offset_tEEE10hipError_tPvRmT1_PNSt15iterator_traitsISY_E10value_typeET2_T3_PNSZ_IS14_E10value_typeET4_jRbjT5_S1A_jjP12ihipStream_tbEUljE_EEESV_SW_SX_S14_S18_S1A_T6_T7_T9_mT8_S1C_bDpT10_ENKUlT_T0_E_clISt17integral_constantIbLb1EES1P_EEDaS1K_S1L_EUlS1K_E_NS1_11comp_targetILNS1_3genE5ELNS1_11target_archE942ELNS1_3gpuE9ELNS1_3repE0EEENS1_30default_config_static_selectorELNS0_4arch9wavefront6targetE1EEEvSY_.num_vgpr, 0
	.set _ZN7rocprim17ROCPRIM_400000_NS6detail17trampoline_kernelINS0_13select_configILj256ELj13ELNS0_17block_load_methodE3ELS4_3ELS4_3ELNS0_20block_scan_algorithmE0ELj4294967295EEENS1_25partition_config_selectorILNS1_17partition_subalgoE3EjNS0_10empty_typeEbEEZZNS1_14partition_implILS8_3ELb0ES6_jNS0_17counting_iteratorIjlEEPS9_SE_NS0_5tupleIJPjSE_EEENSF_IJSE_SE_EEES9_SG_JZNS1_25segmented_radix_sort_implINS0_14default_configELb1EPKiPiPKlPlN2at6native12_GLOBAL__N_18offset_tEEE10hipError_tPvRmT1_PNSt15iterator_traitsISY_E10value_typeET2_T3_PNSZ_IS14_E10value_typeET4_jRbjT5_S1A_jjP12ihipStream_tbEUljE_EEESV_SW_SX_S14_S18_S1A_T6_T7_T9_mT8_S1C_bDpT10_ENKUlT_T0_E_clISt17integral_constantIbLb1EES1P_EEDaS1K_S1L_EUlS1K_E_NS1_11comp_targetILNS1_3genE5ELNS1_11target_archE942ELNS1_3gpuE9ELNS1_3repE0EEENS1_30default_config_static_selectorELNS0_4arch9wavefront6targetE1EEEvSY_.num_agpr, 0
	.set _ZN7rocprim17ROCPRIM_400000_NS6detail17trampoline_kernelINS0_13select_configILj256ELj13ELNS0_17block_load_methodE3ELS4_3ELS4_3ELNS0_20block_scan_algorithmE0ELj4294967295EEENS1_25partition_config_selectorILNS1_17partition_subalgoE3EjNS0_10empty_typeEbEEZZNS1_14partition_implILS8_3ELb0ES6_jNS0_17counting_iteratorIjlEEPS9_SE_NS0_5tupleIJPjSE_EEENSF_IJSE_SE_EEES9_SG_JZNS1_25segmented_radix_sort_implINS0_14default_configELb1EPKiPiPKlPlN2at6native12_GLOBAL__N_18offset_tEEE10hipError_tPvRmT1_PNSt15iterator_traitsISY_E10value_typeET2_T3_PNSZ_IS14_E10value_typeET4_jRbjT5_S1A_jjP12ihipStream_tbEUljE_EEESV_SW_SX_S14_S18_S1A_T6_T7_T9_mT8_S1C_bDpT10_ENKUlT_T0_E_clISt17integral_constantIbLb1EES1P_EEDaS1K_S1L_EUlS1K_E_NS1_11comp_targetILNS1_3genE5ELNS1_11target_archE942ELNS1_3gpuE9ELNS1_3repE0EEENS1_30default_config_static_selectorELNS0_4arch9wavefront6targetE1EEEvSY_.numbered_sgpr, 0
	.set _ZN7rocprim17ROCPRIM_400000_NS6detail17trampoline_kernelINS0_13select_configILj256ELj13ELNS0_17block_load_methodE3ELS4_3ELS4_3ELNS0_20block_scan_algorithmE0ELj4294967295EEENS1_25partition_config_selectorILNS1_17partition_subalgoE3EjNS0_10empty_typeEbEEZZNS1_14partition_implILS8_3ELb0ES6_jNS0_17counting_iteratorIjlEEPS9_SE_NS0_5tupleIJPjSE_EEENSF_IJSE_SE_EEES9_SG_JZNS1_25segmented_radix_sort_implINS0_14default_configELb1EPKiPiPKlPlN2at6native12_GLOBAL__N_18offset_tEEE10hipError_tPvRmT1_PNSt15iterator_traitsISY_E10value_typeET2_T3_PNSZ_IS14_E10value_typeET4_jRbjT5_S1A_jjP12ihipStream_tbEUljE_EEESV_SW_SX_S14_S18_S1A_T6_T7_T9_mT8_S1C_bDpT10_ENKUlT_T0_E_clISt17integral_constantIbLb1EES1P_EEDaS1K_S1L_EUlS1K_E_NS1_11comp_targetILNS1_3genE5ELNS1_11target_archE942ELNS1_3gpuE9ELNS1_3repE0EEENS1_30default_config_static_selectorELNS0_4arch9wavefront6targetE1EEEvSY_.num_named_barrier, 0
	.set _ZN7rocprim17ROCPRIM_400000_NS6detail17trampoline_kernelINS0_13select_configILj256ELj13ELNS0_17block_load_methodE3ELS4_3ELS4_3ELNS0_20block_scan_algorithmE0ELj4294967295EEENS1_25partition_config_selectorILNS1_17partition_subalgoE3EjNS0_10empty_typeEbEEZZNS1_14partition_implILS8_3ELb0ES6_jNS0_17counting_iteratorIjlEEPS9_SE_NS0_5tupleIJPjSE_EEENSF_IJSE_SE_EEES9_SG_JZNS1_25segmented_radix_sort_implINS0_14default_configELb1EPKiPiPKlPlN2at6native12_GLOBAL__N_18offset_tEEE10hipError_tPvRmT1_PNSt15iterator_traitsISY_E10value_typeET2_T3_PNSZ_IS14_E10value_typeET4_jRbjT5_S1A_jjP12ihipStream_tbEUljE_EEESV_SW_SX_S14_S18_S1A_T6_T7_T9_mT8_S1C_bDpT10_ENKUlT_T0_E_clISt17integral_constantIbLb1EES1P_EEDaS1K_S1L_EUlS1K_E_NS1_11comp_targetILNS1_3genE5ELNS1_11target_archE942ELNS1_3gpuE9ELNS1_3repE0EEENS1_30default_config_static_selectorELNS0_4arch9wavefront6targetE1EEEvSY_.private_seg_size, 0
	.set _ZN7rocprim17ROCPRIM_400000_NS6detail17trampoline_kernelINS0_13select_configILj256ELj13ELNS0_17block_load_methodE3ELS4_3ELS4_3ELNS0_20block_scan_algorithmE0ELj4294967295EEENS1_25partition_config_selectorILNS1_17partition_subalgoE3EjNS0_10empty_typeEbEEZZNS1_14partition_implILS8_3ELb0ES6_jNS0_17counting_iteratorIjlEEPS9_SE_NS0_5tupleIJPjSE_EEENSF_IJSE_SE_EEES9_SG_JZNS1_25segmented_radix_sort_implINS0_14default_configELb1EPKiPiPKlPlN2at6native12_GLOBAL__N_18offset_tEEE10hipError_tPvRmT1_PNSt15iterator_traitsISY_E10value_typeET2_T3_PNSZ_IS14_E10value_typeET4_jRbjT5_S1A_jjP12ihipStream_tbEUljE_EEESV_SW_SX_S14_S18_S1A_T6_T7_T9_mT8_S1C_bDpT10_ENKUlT_T0_E_clISt17integral_constantIbLb1EES1P_EEDaS1K_S1L_EUlS1K_E_NS1_11comp_targetILNS1_3genE5ELNS1_11target_archE942ELNS1_3gpuE9ELNS1_3repE0EEENS1_30default_config_static_selectorELNS0_4arch9wavefront6targetE1EEEvSY_.uses_vcc, 0
	.set _ZN7rocprim17ROCPRIM_400000_NS6detail17trampoline_kernelINS0_13select_configILj256ELj13ELNS0_17block_load_methodE3ELS4_3ELS4_3ELNS0_20block_scan_algorithmE0ELj4294967295EEENS1_25partition_config_selectorILNS1_17partition_subalgoE3EjNS0_10empty_typeEbEEZZNS1_14partition_implILS8_3ELb0ES6_jNS0_17counting_iteratorIjlEEPS9_SE_NS0_5tupleIJPjSE_EEENSF_IJSE_SE_EEES9_SG_JZNS1_25segmented_radix_sort_implINS0_14default_configELb1EPKiPiPKlPlN2at6native12_GLOBAL__N_18offset_tEEE10hipError_tPvRmT1_PNSt15iterator_traitsISY_E10value_typeET2_T3_PNSZ_IS14_E10value_typeET4_jRbjT5_S1A_jjP12ihipStream_tbEUljE_EEESV_SW_SX_S14_S18_S1A_T6_T7_T9_mT8_S1C_bDpT10_ENKUlT_T0_E_clISt17integral_constantIbLb1EES1P_EEDaS1K_S1L_EUlS1K_E_NS1_11comp_targetILNS1_3genE5ELNS1_11target_archE942ELNS1_3gpuE9ELNS1_3repE0EEENS1_30default_config_static_selectorELNS0_4arch9wavefront6targetE1EEEvSY_.uses_flat_scratch, 0
	.set _ZN7rocprim17ROCPRIM_400000_NS6detail17trampoline_kernelINS0_13select_configILj256ELj13ELNS0_17block_load_methodE3ELS4_3ELS4_3ELNS0_20block_scan_algorithmE0ELj4294967295EEENS1_25partition_config_selectorILNS1_17partition_subalgoE3EjNS0_10empty_typeEbEEZZNS1_14partition_implILS8_3ELb0ES6_jNS0_17counting_iteratorIjlEEPS9_SE_NS0_5tupleIJPjSE_EEENSF_IJSE_SE_EEES9_SG_JZNS1_25segmented_radix_sort_implINS0_14default_configELb1EPKiPiPKlPlN2at6native12_GLOBAL__N_18offset_tEEE10hipError_tPvRmT1_PNSt15iterator_traitsISY_E10value_typeET2_T3_PNSZ_IS14_E10value_typeET4_jRbjT5_S1A_jjP12ihipStream_tbEUljE_EEESV_SW_SX_S14_S18_S1A_T6_T7_T9_mT8_S1C_bDpT10_ENKUlT_T0_E_clISt17integral_constantIbLb1EES1P_EEDaS1K_S1L_EUlS1K_E_NS1_11comp_targetILNS1_3genE5ELNS1_11target_archE942ELNS1_3gpuE9ELNS1_3repE0EEENS1_30default_config_static_selectorELNS0_4arch9wavefront6targetE1EEEvSY_.has_dyn_sized_stack, 0
	.set _ZN7rocprim17ROCPRIM_400000_NS6detail17trampoline_kernelINS0_13select_configILj256ELj13ELNS0_17block_load_methodE3ELS4_3ELS4_3ELNS0_20block_scan_algorithmE0ELj4294967295EEENS1_25partition_config_selectorILNS1_17partition_subalgoE3EjNS0_10empty_typeEbEEZZNS1_14partition_implILS8_3ELb0ES6_jNS0_17counting_iteratorIjlEEPS9_SE_NS0_5tupleIJPjSE_EEENSF_IJSE_SE_EEES9_SG_JZNS1_25segmented_radix_sort_implINS0_14default_configELb1EPKiPiPKlPlN2at6native12_GLOBAL__N_18offset_tEEE10hipError_tPvRmT1_PNSt15iterator_traitsISY_E10value_typeET2_T3_PNSZ_IS14_E10value_typeET4_jRbjT5_S1A_jjP12ihipStream_tbEUljE_EEESV_SW_SX_S14_S18_S1A_T6_T7_T9_mT8_S1C_bDpT10_ENKUlT_T0_E_clISt17integral_constantIbLb1EES1P_EEDaS1K_S1L_EUlS1K_E_NS1_11comp_targetILNS1_3genE5ELNS1_11target_archE942ELNS1_3gpuE9ELNS1_3repE0EEENS1_30default_config_static_selectorELNS0_4arch9wavefront6targetE1EEEvSY_.has_recursion, 0
	.set _ZN7rocprim17ROCPRIM_400000_NS6detail17trampoline_kernelINS0_13select_configILj256ELj13ELNS0_17block_load_methodE3ELS4_3ELS4_3ELNS0_20block_scan_algorithmE0ELj4294967295EEENS1_25partition_config_selectorILNS1_17partition_subalgoE3EjNS0_10empty_typeEbEEZZNS1_14partition_implILS8_3ELb0ES6_jNS0_17counting_iteratorIjlEEPS9_SE_NS0_5tupleIJPjSE_EEENSF_IJSE_SE_EEES9_SG_JZNS1_25segmented_radix_sort_implINS0_14default_configELb1EPKiPiPKlPlN2at6native12_GLOBAL__N_18offset_tEEE10hipError_tPvRmT1_PNSt15iterator_traitsISY_E10value_typeET2_T3_PNSZ_IS14_E10value_typeET4_jRbjT5_S1A_jjP12ihipStream_tbEUljE_EEESV_SW_SX_S14_S18_S1A_T6_T7_T9_mT8_S1C_bDpT10_ENKUlT_T0_E_clISt17integral_constantIbLb1EES1P_EEDaS1K_S1L_EUlS1K_E_NS1_11comp_targetILNS1_3genE5ELNS1_11target_archE942ELNS1_3gpuE9ELNS1_3repE0EEENS1_30default_config_static_selectorELNS0_4arch9wavefront6targetE1EEEvSY_.has_indirect_call, 0
	.section	.AMDGPU.csdata,"",@progbits
; Kernel info:
; codeLenInByte = 0
; TotalNumSgprs: 4
; NumVgprs: 0
; ScratchSize: 0
; MemoryBound: 0
; FloatMode: 240
; IeeeMode: 1
; LDSByteSize: 0 bytes/workgroup (compile time only)
; SGPRBlocks: 0
; VGPRBlocks: 0
; NumSGPRsForWavesPerEU: 4
; NumVGPRsForWavesPerEU: 1
; Occupancy: 10
; WaveLimiterHint : 0
; COMPUTE_PGM_RSRC2:SCRATCH_EN: 0
; COMPUTE_PGM_RSRC2:USER_SGPR: 6
; COMPUTE_PGM_RSRC2:TRAP_HANDLER: 0
; COMPUTE_PGM_RSRC2:TGID_X_EN: 1
; COMPUTE_PGM_RSRC2:TGID_Y_EN: 0
; COMPUTE_PGM_RSRC2:TGID_Z_EN: 0
; COMPUTE_PGM_RSRC2:TIDIG_COMP_CNT: 0
	.section	.text._ZN7rocprim17ROCPRIM_400000_NS6detail17trampoline_kernelINS0_13select_configILj256ELj13ELNS0_17block_load_methodE3ELS4_3ELS4_3ELNS0_20block_scan_algorithmE0ELj4294967295EEENS1_25partition_config_selectorILNS1_17partition_subalgoE3EjNS0_10empty_typeEbEEZZNS1_14partition_implILS8_3ELb0ES6_jNS0_17counting_iteratorIjlEEPS9_SE_NS0_5tupleIJPjSE_EEENSF_IJSE_SE_EEES9_SG_JZNS1_25segmented_radix_sort_implINS0_14default_configELb1EPKiPiPKlPlN2at6native12_GLOBAL__N_18offset_tEEE10hipError_tPvRmT1_PNSt15iterator_traitsISY_E10value_typeET2_T3_PNSZ_IS14_E10value_typeET4_jRbjT5_S1A_jjP12ihipStream_tbEUljE_EEESV_SW_SX_S14_S18_S1A_T6_T7_T9_mT8_S1C_bDpT10_ENKUlT_T0_E_clISt17integral_constantIbLb1EES1P_EEDaS1K_S1L_EUlS1K_E_NS1_11comp_targetILNS1_3genE4ELNS1_11target_archE910ELNS1_3gpuE8ELNS1_3repE0EEENS1_30default_config_static_selectorELNS0_4arch9wavefront6targetE1EEEvSY_,"axG",@progbits,_ZN7rocprim17ROCPRIM_400000_NS6detail17trampoline_kernelINS0_13select_configILj256ELj13ELNS0_17block_load_methodE3ELS4_3ELS4_3ELNS0_20block_scan_algorithmE0ELj4294967295EEENS1_25partition_config_selectorILNS1_17partition_subalgoE3EjNS0_10empty_typeEbEEZZNS1_14partition_implILS8_3ELb0ES6_jNS0_17counting_iteratorIjlEEPS9_SE_NS0_5tupleIJPjSE_EEENSF_IJSE_SE_EEES9_SG_JZNS1_25segmented_radix_sort_implINS0_14default_configELb1EPKiPiPKlPlN2at6native12_GLOBAL__N_18offset_tEEE10hipError_tPvRmT1_PNSt15iterator_traitsISY_E10value_typeET2_T3_PNSZ_IS14_E10value_typeET4_jRbjT5_S1A_jjP12ihipStream_tbEUljE_EEESV_SW_SX_S14_S18_S1A_T6_T7_T9_mT8_S1C_bDpT10_ENKUlT_T0_E_clISt17integral_constantIbLb1EES1P_EEDaS1K_S1L_EUlS1K_E_NS1_11comp_targetILNS1_3genE4ELNS1_11target_archE910ELNS1_3gpuE8ELNS1_3repE0EEENS1_30default_config_static_selectorELNS0_4arch9wavefront6targetE1EEEvSY_,comdat
	.globl	_ZN7rocprim17ROCPRIM_400000_NS6detail17trampoline_kernelINS0_13select_configILj256ELj13ELNS0_17block_load_methodE3ELS4_3ELS4_3ELNS0_20block_scan_algorithmE0ELj4294967295EEENS1_25partition_config_selectorILNS1_17partition_subalgoE3EjNS0_10empty_typeEbEEZZNS1_14partition_implILS8_3ELb0ES6_jNS0_17counting_iteratorIjlEEPS9_SE_NS0_5tupleIJPjSE_EEENSF_IJSE_SE_EEES9_SG_JZNS1_25segmented_radix_sort_implINS0_14default_configELb1EPKiPiPKlPlN2at6native12_GLOBAL__N_18offset_tEEE10hipError_tPvRmT1_PNSt15iterator_traitsISY_E10value_typeET2_T3_PNSZ_IS14_E10value_typeET4_jRbjT5_S1A_jjP12ihipStream_tbEUljE_EEESV_SW_SX_S14_S18_S1A_T6_T7_T9_mT8_S1C_bDpT10_ENKUlT_T0_E_clISt17integral_constantIbLb1EES1P_EEDaS1K_S1L_EUlS1K_E_NS1_11comp_targetILNS1_3genE4ELNS1_11target_archE910ELNS1_3gpuE8ELNS1_3repE0EEENS1_30default_config_static_selectorELNS0_4arch9wavefront6targetE1EEEvSY_ ; -- Begin function _ZN7rocprim17ROCPRIM_400000_NS6detail17trampoline_kernelINS0_13select_configILj256ELj13ELNS0_17block_load_methodE3ELS4_3ELS4_3ELNS0_20block_scan_algorithmE0ELj4294967295EEENS1_25partition_config_selectorILNS1_17partition_subalgoE3EjNS0_10empty_typeEbEEZZNS1_14partition_implILS8_3ELb0ES6_jNS0_17counting_iteratorIjlEEPS9_SE_NS0_5tupleIJPjSE_EEENSF_IJSE_SE_EEES9_SG_JZNS1_25segmented_radix_sort_implINS0_14default_configELb1EPKiPiPKlPlN2at6native12_GLOBAL__N_18offset_tEEE10hipError_tPvRmT1_PNSt15iterator_traitsISY_E10value_typeET2_T3_PNSZ_IS14_E10value_typeET4_jRbjT5_S1A_jjP12ihipStream_tbEUljE_EEESV_SW_SX_S14_S18_S1A_T6_T7_T9_mT8_S1C_bDpT10_ENKUlT_T0_E_clISt17integral_constantIbLb1EES1P_EEDaS1K_S1L_EUlS1K_E_NS1_11comp_targetILNS1_3genE4ELNS1_11target_archE910ELNS1_3gpuE8ELNS1_3repE0EEENS1_30default_config_static_selectorELNS0_4arch9wavefront6targetE1EEEvSY_
	.p2align	8
	.type	_ZN7rocprim17ROCPRIM_400000_NS6detail17trampoline_kernelINS0_13select_configILj256ELj13ELNS0_17block_load_methodE3ELS4_3ELS4_3ELNS0_20block_scan_algorithmE0ELj4294967295EEENS1_25partition_config_selectorILNS1_17partition_subalgoE3EjNS0_10empty_typeEbEEZZNS1_14partition_implILS8_3ELb0ES6_jNS0_17counting_iteratorIjlEEPS9_SE_NS0_5tupleIJPjSE_EEENSF_IJSE_SE_EEES9_SG_JZNS1_25segmented_radix_sort_implINS0_14default_configELb1EPKiPiPKlPlN2at6native12_GLOBAL__N_18offset_tEEE10hipError_tPvRmT1_PNSt15iterator_traitsISY_E10value_typeET2_T3_PNSZ_IS14_E10value_typeET4_jRbjT5_S1A_jjP12ihipStream_tbEUljE_EEESV_SW_SX_S14_S18_S1A_T6_T7_T9_mT8_S1C_bDpT10_ENKUlT_T0_E_clISt17integral_constantIbLb1EES1P_EEDaS1K_S1L_EUlS1K_E_NS1_11comp_targetILNS1_3genE4ELNS1_11target_archE910ELNS1_3gpuE8ELNS1_3repE0EEENS1_30default_config_static_selectorELNS0_4arch9wavefront6targetE1EEEvSY_,@function
_ZN7rocprim17ROCPRIM_400000_NS6detail17trampoline_kernelINS0_13select_configILj256ELj13ELNS0_17block_load_methodE3ELS4_3ELS4_3ELNS0_20block_scan_algorithmE0ELj4294967295EEENS1_25partition_config_selectorILNS1_17partition_subalgoE3EjNS0_10empty_typeEbEEZZNS1_14partition_implILS8_3ELb0ES6_jNS0_17counting_iteratorIjlEEPS9_SE_NS0_5tupleIJPjSE_EEENSF_IJSE_SE_EEES9_SG_JZNS1_25segmented_radix_sort_implINS0_14default_configELb1EPKiPiPKlPlN2at6native12_GLOBAL__N_18offset_tEEE10hipError_tPvRmT1_PNSt15iterator_traitsISY_E10value_typeET2_T3_PNSZ_IS14_E10value_typeET4_jRbjT5_S1A_jjP12ihipStream_tbEUljE_EEESV_SW_SX_S14_S18_S1A_T6_T7_T9_mT8_S1C_bDpT10_ENKUlT_T0_E_clISt17integral_constantIbLb1EES1P_EEDaS1K_S1L_EUlS1K_E_NS1_11comp_targetILNS1_3genE4ELNS1_11target_archE910ELNS1_3gpuE8ELNS1_3repE0EEENS1_30default_config_static_selectorELNS0_4arch9wavefront6targetE1EEEvSY_: ; @_ZN7rocprim17ROCPRIM_400000_NS6detail17trampoline_kernelINS0_13select_configILj256ELj13ELNS0_17block_load_methodE3ELS4_3ELS4_3ELNS0_20block_scan_algorithmE0ELj4294967295EEENS1_25partition_config_selectorILNS1_17partition_subalgoE3EjNS0_10empty_typeEbEEZZNS1_14partition_implILS8_3ELb0ES6_jNS0_17counting_iteratorIjlEEPS9_SE_NS0_5tupleIJPjSE_EEENSF_IJSE_SE_EEES9_SG_JZNS1_25segmented_radix_sort_implINS0_14default_configELb1EPKiPiPKlPlN2at6native12_GLOBAL__N_18offset_tEEE10hipError_tPvRmT1_PNSt15iterator_traitsISY_E10value_typeET2_T3_PNSZ_IS14_E10value_typeET4_jRbjT5_S1A_jjP12ihipStream_tbEUljE_EEESV_SW_SX_S14_S18_S1A_T6_T7_T9_mT8_S1C_bDpT10_ENKUlT_T0_E_clISt17integral_constantIbLb1EES1P_EEDaS1K_S1L_EUlS1K_E_NS1_11comp_targetILNS1_3genE4ELNS1_11target_archE910ELNS1_3gpuE8ELNS1_3repE0EEENS1_30default_config_static_selectorELNS0_4arch9wavefront6targetE1EEEvSY_
; %bb.0:
	.section	.rodata,"a",@progbits
	.p2align	6, 0x0
	.amdhsa_kernel _ZN7rocprim17ROCPRIM_400000_NS6detail17trampoline_kernelINS0_13select_configILj256ELj13ELNS0_17block_load_methodE3ELS4_3ELS4_3ELNS0_20block_scan_algorithmE0ELj4294967295EEENS1_25partition_config_selectorILNS1_17partition_subalgoE3EjNS0_10empty_typeEbEEZZNS1_14partition_implILS8_3ELb0ES6_jNS0_17counting_iteratorIjlEEPS9_SE_NS0_5tupleIJPjSE_EEENSF_IJSE_SE_EEES9_SG_JZNS1_25segmented_radix_sort_implINS0_14default_configELb1EPKiPiPKlPlN2at6native12_GLOBAL__N_18offset_tEEE10hipError_tPvRmT1_PNSt15iterator_traitsISY_E10value_typeET2_T3_PNSZ_IS14_E10value_typeET4_jRbjT5_S1A_jjP12ihipStream_tbEUljE_EEESV_SW_SX_S14_S18_S1A_T6_T7_T9_mT8_S1C_bDpT10_ENKUlT_T0_E_clISt17integral_constantIbLb1EES1P_EEDaS1K_S1L_EUlS1K_E_NS1_11comp_targetILNS1_3genE4ELNS1_11target_archE910ELNS1_3gpuE8ELNS1_3repE0EEENS1_30default_config_static_selectorELNS0_4arch9wavefront6targetE1EEEvSY_
		.amdhsa_group_segment_fixed_size 0
		.amdhsa_private_segment_fixed_size 0
		.amdhsa_kernarg_size 152
		.amdhsa_user_sgpr_count 6
		.amdhsa_user_sgpr_private_segment_buffer 1
		.amdhsa_user_sgpr_dispatch_ptr 0
		.amdhsa_user_sgpr_queue_ptr 0
		.amdhsa_user_sgpr_kernarg_segment_ptr 1
		.amdhsa_user_sgpr_dispatch_id 0
		.amdhsa_user_sgpr_flat_scratch_init 0
		.amdhsa_user_sgpr_private_segment_size 0
		.amdhsa_uses_dynamic_stack 0
		.amdhsa_system_sgpr_private_segment_wavefront_offset 0
		.amdhsa_system_sgpr_workgroup_id_x 1
		.amdhsa_system_sgpr_workgroup_id_y 0
		.amdhsa_system_sgpr_workgroup_id_z 0
		.amdhsa_system_sgpr_workgroup_info 0
		.amdhsa_system_vgpr_workitem_id 0
		.amdhsa_next_free_vgpr 1
		.amdhsa_next_free_sgpr 0
		.amdhsa_reserve_vcc 0
		.amdhsa_reserve_flat_scratch 0
		.amdhsa_float_round_mode_32 0
		.amdhsa_float_round_mode_16_64 0
		.amdhsa_float_denorm_mode_32 3
		.amdhsa_float_denorm_mode_16_64 3
		.amdhsa_dx10_clamp 1
		.amdhsa_ieee_mode 1
		.amdhsa_fp16_overflow 0
		.amdhsa_exception_fp_ieee_invalid_op 0
		.amdhsa_exception_fp_denorm_src 0
		.amdhsa_exception_fp_ieee_div_zero 0
		.amdhsa_exception_fp_ieee_overflow 0
		.amdhsa_exception_fp_ieee_underflow 0
		.amdhsa_exception_fp_ieee_inexact 0
		.amdhsa_exception_int_div_zero 0
	.end_amdhsa_kernel
	.section	.text._ZN7rocprim17ROCPRIM_400000_NS6detail17trampoline_kernelINS0_13select_configILj256ELj13ELNS0_17block_load_methodE3ELS4_3ELS4_3ELNS0_20block_scan_algorithmE0ELj4294967295EEENS1_25partition_config_selectorILNS1_17partition_subalgoE3EjNS0_10empty_typeEbEEZZNS1_14partition_implILS8_3ELb0ES6_jNS0_17counting_iteratorIjlEEPS9_SE_NS0_5tupleIJPjSE_EEENSF_IJSE_SE_EEES9_SG_JZNS1_25segmented_radix_sort_implINS0_14default_configELb1EPKiPiPKlPlN2at6native12_GLOBAL__N_18offset_tEEE10hipError_tPvRmT1_PNSt15iterator_traitsISY_E10value_typeET2_T3_PNSZ_IS14_E10value_typeET4_jRbjT5_S1A_jjP12ihipStream_tbEUljE_EEESV_SW_SX_S14_S18_S1A_T6_T7_T9_mT8_S1C_bDpT10_ENKUlT_T0_E_clISt17integral_constantIbLb1EES1P_EEDaS1K_S1L_EUlS1K_E_NS1_11comp_targetILNS1_3genE4ELNS1_11target_archE910ELNS1_3gpuE8ELNS1_3repE0EEENS1_30default_config_static_selectorELNS0_4arch9wavefront6targetE1EEEvSY_,"axG",@progbits,_ZN7rocprim17ROCPRIM_400000_NS6detail17trampoline_kernelINS0_13select_configILj256ELj13ELNS0_17block_load_methodE3ELS4_3ELS4_3ELNS0_20block_scan_algorithmE0ELj4294967295EEENS1_25partition_config_selectorILNS1_17partition_subalgoE3EjNS0_10empty_typeEbEEZZNS1_14partition_implILS8_3ELb0ES6_jNS0_17counting_iteratorIjlEEPS9_SE_NS0_5tupleIJPjSE_EEENSF_IJSE_SE_EEES9_SG_JZNS1_25segmented_radix_sort_implINS0_14default_configELb1EPKiPiPKlPlN2at6native12_GLOBAL__N_18offset_tEEE10hipError_tPvRmT1_PNSt15iterator_traitsISY_E10value_typeET2_T3_PNSZ_IS14_E10value_typeET4_jRbjT5_S1A_jjP12ihipStream_tbEUljE_EEESV_SW_SX_S14_S18_S1A_T6_T7_T9_mT8_S1C_bDpT10_ENKUlT_T0_E_clISt17integral_constantIbLb1EES1P_EEDaS1K_S1L_EUlS1K_E_NS1_11comp_targetILNS1_3genE4ELNS1_11target_archE910ELNS1_3gpuE8ELNS1_3repE0EEENS1_30default_config_static_selectorELNS0_4arch9wavefront6targetE1EEEvSY_,comdat
.Lfunc_end475:
	.size	_ZN7rocprim17ROCPRIM_400000_NS6detail17trampoline_kernelINS0_13select_configILj256ELj13ELNS0_17block_load_methodE3ELS4_3ELS4_3ELNS0_20block_scan_algorithmE0ELj4294967295EEENS1_25partition_config_selectorILNS1_17partition_subalgoE3EjNS0_10empty_typeEbEEZZNS1_14partition_implILS8_3ELb0ES6_jNS0_17counting_iteratorIjlEEPS9_SE_NS0_5tupleIJPjSE_EEENSF_IJSE_SE_EEES9_SG_JZNS1_25segmented_radix_sort_implINS0_14default_configELb1EPKiPiPKlPlN2at6native12_GLOBAL__N_18offset_tEEE10hipError_tPvRmT1_PNSt15iterator_traitsISY_E10value_typeET2_T3_PNSZ_IS14_E10value_typeET4_jRbjT5_S1A_jjP12ihipStream_tbEUljE_EEESV_SW_SX_S14_S18_S1A_T6_T7_T9_mT8_S1C_bDpT10_ENKUlT_T0_E_clISt17integral_constantIbLb1EES1P_EEDaS1K_S1L_EUlS1K_E_NS1_11comp_targetILNS1_3genE4ELNS1_11target_archE910ELNS1_3gpuE8ELNS1_3repE0EEENS1_30default_config_static_selectorELNS0_4arch9wavefront6targetE1EEEvSY_, .Lfunc_end475-_ZN7rocprim17ROCPRIM_400000_NS6detail17trampoline_kernelINS0_13select_configILj256ELj13ELNS0_17block_load_methodE3ELS4_3ELS4_3ELNS0_20block_scan_algorithmE0ELj4294967295EEENS1_25partition_config_selectorILNS1_17partition_subalgoE3EjNS0_10empty_typeEbEEZZNS1_14partition_implILS8_3ELb0ES6_jNS0_17counting_iteratorIjlEEPS9_SE_NS0_5tupleIJPjSE_EEENSF_IJSE_SE_EEES9_SG_JZNS1_25segmented_radix_sort_implINS0_14default_configELb1EPKiPiPKlPlN2at6native12_GLOBAL__N_18offset_tEEE10hipError_tPvRmT1_PNSt15iterator_traitsISY_E10value_typeET2_T3_PNSZ_IS14_E10value_typeET4_jRbjT5_S1A_jjP12ihipStream_tbEUljE_EEESV_SW_SX_S14_S18_S1A_T6_T7_T9_mT8_S1C_bDpT10_ENKUlT_T0_E_clISt17integral_constantIbLb1EES1P_EEDaS1K_S1L_EUlS1K_E_NS1_11comp_targetILNS1_3genE4ELNS1_11target_archE910ELNS1_3gpuE8ELNS1_3repE0EEENS1_30default_config_static_selectorELNS0_4arch9wavefront6targetE1EEEvSY_
                                        ; -- End function
	.set _ZN7rocprim17ROCPRIM_400000_NS6detail17trampoline_kernelINS0_13select_configILj256ELj13ELNS0_17block_load_methodE3ELS4_3ELS4_3ELNS0_20block_scan_algorithmE0ELj4294967295EEENS1_25partition_config_selectorILNS1_17partition_subalgoE3EjNS0_10empty_typeEbEEZZNS1_14partition_implILS8_3ELb0ES6_jNS0_17counting_iteratorIjlEEPS9_SE_NS0_5tupleIJPjSE_EEENSF_IJSE_SE_EEES9_SG_JZNS1_25segmented_radix_sort_implINS0_14default_configELb1EPKiPiPKlPlN2at6native12_GLOBAL__N_18offset_tEEE10hipError_tPvRmT1_PNSt15iterator_traitsISY_E10value_typeET2_T3_PNSZ_IS14_E10value_typeET4_jRbjT5_S1A_jjP12ihipStream_tbEUljE_EEESV_SW_SX_S14_S18_S1A_T6_T7_T9_mT8_S1C_bDpT10_ENKUlT_T0_E_clISt17integral_constantIbLb1EES1P_EEDaS1K_S1L_EUlS1K_E_NS1_11comp_targetILNS1_3genE4ELNS1_11target_archE910ELNS1_3gpuE8ELNS1_3repE0EEENS1_30default_config_static_selectorELNS0_4arch9wavefront6targetE1EEEvSY_.num_vgpr, 0
	.set _ZN7rocprim17ROCPRIM_400000_NS6detail17trampoline_kernelINS0_13select_configILj256ELj13ELNS0_17block_load_methodE3ELS4_3ELS4_3ELNS0_20block_scan_algorithmE0ELj4294967295EEENS1_25partition_config_selectorILNS1_17partition_subalgoE3EjNS0_10empty_typeEbEEZZNS1_14partition_implILS8_3ELb0ES6_jNS0_17counting_iteratorIjlEEPS9_SE_NS0_5tupleIJPjSE_EEENSF_IJSE_SE_EEES9_SG_JZNS1_25segmented_radix_sort_implINS0_14default_configELb1EPKiPiPKlPlN2at6native12_GLOBAL__N_18offset_tEEE10hipError_tPvRmT1_PNSt15iterator_traitsISY_E10value_typeET2_T3_PNSZ_IS14_E10value_typeET4_jRbjT5_S1A_jjP12ihipStream_tbEUljE_EEESV_SW_SX_S14_S18_S1A_T6_T7_T9_mT8_S1C_bDpT10_ENKUlT_T0_E_clISt17integral_constantIbLb1EES1P_EEDaS1K_S1L_EUlS1K_E_NS1_11comp_targetILNS1_3genE4ELNS1_11target_archE910ELNS1_3gpuE8ELNS1_3repE0EEENS1_30default_config_static_selectorELNS0_4arch9wavefront6targetE1EEEvSY_.num_agpr, 0
	.set _ZN7rocprim17ROCPRIM_400000_NS6detail17trampoline_kernelINS0_13select_configILj256ELj13ELNS0_17block_load_methodE3ELS4_3ELS4_3ELNS0_20block_scan_algorithmE0ELj4294967295EEENS1_25partition_config_selectorILNS1_17partition_subalgoE3EjNS0_10empty_typeEbEEZZNS1_14partition_implILS8_3ELb0ES6_jNS0_17counting_iteratorIjlEEPS9_SE_NS0_5tupleIJPjSE_EEENSF_IJSE_SE_EEES9_SG_JZNS1_25segmented_radix_sort_implINS0_14default_configELb1EPKiPiPKlPlN2at6native12_GLOBAL__N_18offset_tEEE10hipError_tPvRmT1_PNSt15iterator_traitsISY_E10value_typeET2_T3_PNSZ_IS14_E10value_typeET4_jRbjT5_S1A_jjP12ihipStream_tbEUljE_EEESV_SW_SX_S14_S18_S1A_T6_T7_T9_mT8_S1C_bDpT10_ENKUlT_T0_E_clISt17integral_constantIbLb1EES1P_EEDaS1K_S1L_EUlS1K_E_NS1_11comp_targetILNS1_3genE4ELNS1_11target_archE910ELNS1_3gpuE8ELNS1_3repE0EEENS1_30default_config_static_selectorELNS0_4arch9wavefront6targetE1EEEvSY_.numbered_sgpr, 0
	.set _ZN7rocprim17ROCPRIM_400000_NS6detail17trampoline_kernelINS0_13select_configILj256ELj13ELNS0_17block_load_methodE3ELS4_3ELS4_3ELNS0_20block_scan_algorithmE0ELj4294967295EEENS1_25partition_config_selectorILNS1_17partition_subalgoE3EjNS0_10empty_typeEbEEZZNS1_14partition_implILS8_3ELb0ES6_jNS0_17counting_iteratorIjlEEPS9_SE_NS0_5tupleIJPjSE_EEENSF_IJSE_SE_EEES9_SG_JZNS1_25segmented_radix_sort_implINS0_14default_configELb1EPKiPiPKlPlN2at6native12_GLOBAL__N_18offset_tEEE10hipError_tPvRmT1_PNSt15iterator_traitsISY_E10value_typeET2_T3_PNSZ_IS14_E10value_typeET4_jRbjT5_S1A_jjP12ihipStream_tbEUljE_EEESV_SW_SX_S14_S18_S1A_T6_T7_T9_mT8_S1C_bDpT10_ENKUlT_T0_E_clISt17integral_constantIbLb1EES1P_EEDaS1K_S1L_EUlS1K_E_NS1_11comp_targetILNS1_3genE4ELNS1_11target_archE910ELNS1_3gpuE8ELNS1_3repE0EEENS1_30default_config_static_selectorELNS0_4arch9wavefront6targetE1EEEvSY_.num_named_barrier, 0
	.set _ZN7rocprim17ROCPRIM_400000_NS6detail17trampoline_kernelINS0_13select_configILj256ELj13ELNS0_17block_load_methodE3ELS4_3ELS4_3ELNS0_20block_scan_algorithmE0ELj4294967295EEENS1_25partition_config_selectorILNS1_17partition_subalgoE3EjNS0_10empty_typeEbEEZZNS1_14partition_implILS8_3ELb0ES6_jNS0_17counting_iteratorIjlEEPS9_SE_NS0_5tupleIJPjSE_EEENSF_IJSE_SE_EEES9_SG_JZNS1_25segmented_radix_sort_implINS0_14default_configELb1EPKiPiPKlPlN2at6native12_GLOBAL__N_18offset_tEEE10hipError_tPvRmT1_PNSt15iterator_traitsISY_E10value_typeET2_T3_PNSZ_IS14_E10value_typeET4_jRbjT5_S1A_jjP12ihipStream_tbEUljE_EEESV_SW_SX_S14_S18_S1A_T6_T7_T9_mT8_S1C_bDpT10_ENKUlT_T0_E_clISt17integral_constantIbLb1EES1P_EEDaS1K_S1L_EUlS1K_E_NS1_11comp_targetILNS1_3genE4ELNS1_11target_archE910ELNS1_3gpuE8ELNS1_3repE0EEENS1_30default_config_static_selectorELNS0_4arch9wavefront6targetE1EEEvSY_.private_seg_size, 0
	.set _ZN7rocprim17ROCPRIM_400000_NS6detail17trampoline_kernelINS0_13select_configILj256ELj13ELNS0_17block_load_methodE3ELS4_3ELS4_3ELNS0_20block_scan_algorithmE0ELj4294967295EEENS1_25partition_config_selectorILNS1_17partition_subalgoE3EjNS0_10empty_typeEbEEZZNS1_14partition_implILS8_3ELb0ES6_jNS0_17counting_iteratorIjlEEPS9_SE_NS0_5tupleIJPjSE_EEENSF_IJSE_SE_EEES9_SG_JZNS1_25segmented_radix_sort_implINS0_14default_configELb1EPKiPiPKlPlN2at6native12_GLOBAL__N_18offset_tEEE10hipError_tPvRmT1_PNSt15iterator_traitsISY_E10value_typeET2_T3_PNSZ_IS14_E10value_typeET4_jRbjT5_S1A_jjP12ihipStream_tbEUljE_EEESV_SW_SX_S14_S18_S1A_T6_T7_T9_mT8_S1C_bDpT10_ENKUlT_T0_E_clISt17integral_constantIbLb1EES1P_EEDaS1K_S1L_EUlS1K_E_NS1_11comp_targetILNS1_3genE4ELNS1_11target_archE910ELNS1_3gpuE8ELNS1_3repE0EEENS1_30default_config_static_selectorELNS0_4arch9wavefront6targetE1EEEvSY_.uses_vcc, 0
	.set _ZN7rocprim17ROCPRIM_400000_NS6detail17trampoline_kernelINS0_13select_configILj256ELj13ELNS0_17block_load_methodE3ELS4_3ELS4_3ELNS0_20block_scan_algorithmE0ELj4294967295EEENS1_25partition_config_selectorILNS1_17partition_subalgoE3EjNS0_10empty_typeEbEEZZNS1_14partition_implILS8_3ELb0ES6_jNS0_17counting_iteratorIjlEEPS9_SE_NS0_5tupleIJPjSE_EEENSF_IJSE_SE_EEES9_SG_JZNS1_25segmented_radix_sort_implINS0_14default_configELb1EPKiPiPKlPlN2at6native12_GLOBAL__N_18offset_tEEE10hipError_tPvRmT1_PNSt15iterator_traitsISY_E10value_typeET2_T3_PNSZ_IS14_E10value_typeET4_jRbjT5_S1A_jjP12ihipStream_tbEUljE_EEESV_SW_SX_S14_S18_S1A_T6_T7_T9_mT8_S1C_bDpT10_ENKUlT_T0_E_clISt17integral_constantIbLb1EES1P_EEDaS1K_S1L_EUlS1K_E_NS1_11comp_targetILNS1_3genE4ELNS1_11target_archE910ELNS1_3gpuE8ELNS1_3repE0EEENS1_30default_config_static_selectorELNS0_4arch9wavefront6targetE1EEEvSY_.uses_flat_scratch, 0
	.set _ZN7rocprim17ROCPRIM_400000_NS6detail17trampoline_kernelINS0_13select_configILj256ELj13ELNS0_17block_load_methodE3ELS4_3ELS4_3ELNS0_20block_scan_algorithmE0ELj4294967295EEENS1_25partition_config_selectorILNS1_17partition_subalgoE3EjNS0_10empty_typeEbEEZZNS1_14partition_implILS8_3ELb0ES6_jNS0_17counting_iteratorIjlEEPS9_SE_NS0_5tupleIJPjSE_EEENSF_IJSE_SE_EEES9_SG_JZNS1_25segmented_radix_sort_implINS0_14default_configELb1EPKiPiPKlPlN2at6native12_GLOBAL__N_18offset_tEEE10hipError_tPvRmT1_PNSt15iterator_traitsISY_E10value_typeET2_T3_PNSZ_IS14_E10value_typeET4_jRbjT5_S1A_jjP12ihipStream_tbEUljE_EEESV_SW_SX_S14_S18_S1A_T6_T7_T9_mT8_S1C_bDpT10_ENKUlT_T0_E_clISt17integral_constantIbLb1EES1P_EEDaS1K_S1L_EUlS1K_E_NS1_11comp_targetILNS1_3genE4ELNS1_11target_archE910ELNS1_3gpuE8ELNS1_3repE0EEENS1_30default_config_static_selectorELNS0_4arch9wavefront6targetE1EEEvSY_.has_dyn_sized_stack, 0
	.set _ZN7rocprim17ROCPRIM_400000_NS6detail17trampoline_kernelINS0_13select_configILj256ELj13ELNS0_17block_load_methodE3ELS4_3ELS4_3ELNS0_20block_scan_algorithmE0ELj4294967295EEENS1_25partition_config_selectorILNS1_17partition_subalgoE3EjNS0_10empty_typeEbEEZZNS1_14partition_implILS8_3ELb0ES6_jNS0_17counting_iteratorIjlEEPS9_SE_NS0_5tupleIJPjSE_EEENSF_IJSE_SE_EEES9_SG_JZNS1_25segmented_radix_sort_implINS0_14default_configELb1EPKiPiPKlPlN2at6native12_GLOBAL__N_18offset_tEEE10hipError_tPvRmT1_PNSt15iterator_traitsISY_E10value_typeET2_T3_PNSZ_IS14_E10value_typeET4_jRbjT5_S1A_jjP12ihipStream_tbEUljE_EEESV_SW_SX_S14_S18_S1A_T6_T7_T9_mT8_S1C_bDpT10_ENKUlT_T0_E_clISt17integral_constantIbLb1EES1P_EEDaS1K_S1L_EUlS1K_E_NS1_11comp_targetILNS1_3genE4ELNS1_11target_archE910ELNS1_3gpuE8ELNS1_3repE0EEENS1_30default_config_static_selectorELNS0_4arch9wavefront6targetE1EEEvSY_.has_recursion, 0
	.set _ZN7rocprim17ROCPRIM_400000_NS6detail17trampoline_kernelINS0_13select_configILj256ELj13ELNS0_17block_load_methodE3ELS4_3ELS4_3ELNS0_20block_scan_algorithmE0ELj4294967295EEENS1_25partition_config_selectorILNS1_17partition_subalgoE3EjNS0_10empty_typeEbEEZZNS1_14partition_implILS8_3ELb0ES6_jNS0_17counting_iteratorIjlEEPS9_SE_NS0_5tupleIJPjSE_EEENSF_IJSE_SE_EEES9_SG_JZNS1_25segmented_radix_sort_implINS0_14default_configELb1EPKiPiPKlPlN2at6native12_GLOBAL__N_18offset_tEEE10hipError_tPvRmT1_PNSt15iterator_traitsISY_E10value_typeET2_T3_PNSZ_IS14_E10value_typeET4_jRbjT5_S1A_jjP12ihipStream_tbEUljE_EEESV_SW_SX_S14_S18_S1A_T6_T7_T9_mT8_S1C_bDpT10_ENKUlT_T0_E_clISt17integral_constantIbLb1EES1P_EEDaS1K_S1L_EUlS1K_E_NS1_11comp_targetILNS1_3genE4ELNS1_11target_archE910ELNS1_3gpuE8ELNS1_3repE0EEENS1_30default_config_static_selectorELNS0_4arch9wavefront6targetE1EEEvSY_.has_indirect_call, 0
	.section	.AMDGPU.csdata,"",@progbits
; Kernel info:
; codeLenInByte = 0
; TotalNumSgprs: 4
; NumVgprs: 0
; ScratchSize: 0
; MemoryBound: 0
; FloatMode: 240
; IeeeMode: 1
; LDSByteSize: 0 bytes/workgroup (compile time only)
; SGPRBlocks: 0
; VGPRBlocks: 0
; NumSGPRsForWavesPerEU: 4
; NumVGPRsForWavesPerEU: 1
; Occupancy: 10
; WaveLimiterHint : 0
; COMPUTE_PGM_RSRC2:SCRATCH_EN: 0
; COMPUTE_PGM_RSRC2:USER_SGPR: 6
; COMPUTE_PGM_RSRC2:TRAP_HANDLER: 0
; COMPUTE_PGM_RSRC2:TGID_X_EN: 1
; COMPUTE_PGM_RSRC2:TGID_Y_EN: 0
; COMPUTE_PGM_RSRC2:TGID_Z_EN: 0
; COMPUTE_PGM_RSRC2:TIDIG_COMP_CNT: 0
	.section	.text._ZN7rocprim17ROCPRIM_400000_NS6detail17trampoline_kernelINS0_13select_configILj256ELj13ELNS0_17block_load_methodE3ELS4_3ELS4_3ELNS0_20block_scan_algorithmE0ELj4294967295EEENS1_25partition_config_selectorILNS1_17partition_subalgoE3EjNS0_10empty_typeEbEEZZNS1_14partition_implILS8_3ELb0ES6_jNS0_17counting_iteratorIjlEEPS9_SE_NS0_5tupleIJPjSE_EEENSF_IJSE_SE_EEES9_SG_JZNS1_25segmented_radix_sort_implINS0_14default_configELb1EPKiPiPKlPlN2at6native12_GLOBAL__N_18offset_tEEE10hipError_tPvRmT1_PNSt15iterator_traitsISY_E10value_typeET2_T3_PNSZ_IS14_E10value_typeET4_jRbjT5_S1A_jjP12ihipStream_tbEUljE_EEESV_SW_SX_S14_S18_S1A_T6_T7_T9_mT8_S1C_bDpT10_ENKUlT_T0_E_clISt17integral_constantIbLb1EES1P_EEDaS1K_S1L_EUlS1K_E_NS1_11comp_targetILNS1_3genE3ELNS1_11target_archE908ELNS1_3gpuE7ELNS1_3repE0EEENS1_30default_config_static_selectorELNS0_4arch9wavefront6targetE1EEEvSY_,"axG",@progbits,_ZN7rocprim17ROCPRIM_400000_NS6detail17trampoline_kernelINS0_13select_configILj256ELj13ELNS0_17block_load_methodE3ELS4_3ELS4_3ELNS0_20block_scan_algorithmE0ELj4294967295EEENS1_25partition_config_selectorILNS1_17partition_subalgoE3EjNS0_10empty_typeEbEEZZNS1_14partition_implILS8_3ELb0ES6_jNS0_17counting_iteratorIjlEEPS9_SE_NS0_5tupleIJPjSE_EEENSF_IJSE_SE_EEES9_SG_JZNS1_25segmented_radix_sort_implINS0_14default_configELb1EPKiPiPKlPlN2at6native12_GLOBAL__N_18offset_tEEE10hipError_tPvRmT1_PNSt15iterator_traitsISY_E10value_typeET2_T3_PNSZ_IS14_E10value_typeET4_jRbjT5_S1A_jjP12ihipStream_tbEUljE_EEESV_SW_SX_S14_S18_S1A_T6_T7_T9_mT8_S1C_bDpT10_ENKUlT_T0_E_clISt17integral_constantIbLb1EES1P_EEDaS1K_S1L_EUlS1K_E_NS1_11comp_targetILNS1_3genE3ELNS1_11target_archE908ELNS1_3gpuE7ELNS1_3repE0EEENS1_30default_config_static_selectorELNS0_4arch9wavefront6targetE1EEEvSY_,comdat
	.globl	_ZN7rocprim17ROCPRIM_400000_NS6detail17trampoline_kernelINS0_13select_configILj256ELj13ELNS0_17block_load_methodE3ELS4_3ELS4_3ELNS0_20block_scan_algorithmE0ELj4294967295EEENS1_25partition_config_selectorILNS1_17partition_subalgoE3EjNS0_10empty_typeEbEEZZNS1_14partition_implILS8_3ELb0ES6_jNS0_17counting_iteratorIjlEEPS9_SE_NS0_5tupleIJPjSE_EEENSF_IJSE_SE_EEES9_SG_JZNS1_25segmented_radix_sort_implINS0_14default_configELb1EPKiPiPKlPlN2at6native12_GLOBAL__N_18offset_tEEE10hipError_tPvRmT1_PNSt15iterator_traitsISY_E10value_typeET2_T3_PNSZ_IS14_E10value_typeET4_jRbjT5_S1A_jjP12ihipStream_tbEUljE_EEESV_SW_SX_S14_S18_S1A_T6_T7_T9_mT8_S1C_bDpT10_ENKUlT_T0_E_clISt17integral_constantIbLb1EES1P_EEDaS1K_S1L_EUlS1K_E_NS1_11comp_targetILNS1_3genE3ELNS1_11target_archE908ELNS1_3gpuE7ELNS1_3repE0EEENS1_30default_config_static_selectorELNS0_4arch9wavefront6targetE1EEEvSY_ ; -- Begin function _ZN7rocprim17ROCPRIM_400000_NS6detail17trampoline_kernelINS0_13select_configILj256ELj13ELNS0_17block_load_methodE3ELS4_3ELS4_3ELNS0_20block_scan_algorithmE0ELj4294967295EEENS1_25partition_config_selectorILNS1_17partition_subalgoE3EjNS0_10empty_typeEbEEZZNS1_14partition_implILS8_3ELb0ES6_jNS0_17counting_iteratorIjlEEPS9_SE_NS0_5tupleIJPjSE_EEENSF_IJSE_SE_EEES9_SG_JZNS1_25segmented_radix_sort_implINS0_14default_configELb1EPKiPiPKlPlN2at6native12_GLOBAL__N_18offset_tEEE10hipError_tPvRmT1_PNSt15iterator_traitsISY_E10value_typeET2_T3_PNSZ_IS14_E10value_typeET4_jRbjT5_S1A_jjP12ihipStream_tbEUljE_EEESV_SW_SX_S14_S18_S1A_T6_T7_T9_mT8_S1C_bDpT10_ENKUlT_T0_E_clISt17integral_constantIbLb1EES1P_EEDaS1K_S1L_EUlS1K_E_NS1_11comp_targetILNS1_3genE3ELNS1_11target_archE908ELNS1_3gpuE7ELNS1_3repE0EEENS1_30default_config_static_selectorELNS0_4arch9wavefront6targetE1EEEvSY_
	.p2align	8
	.type	_ZN7rocprim17ROCPRIM_400000_NS6detail17trampoline_kernelINS0_13select_configILj256ELj13ELNS0_17block_load_methodE3ELS4_3ELS4_3ELNS0_20block_scan_algorithmE0ELj4294967295EEENS1_25partition_config_selectorILNS1_17partition_subalgoE3EjNS0_10empty_typeEbEEZZNS1_14partition_implILS8_3ELb0ES6_jNS0_17counting_iteratorIjlEEPS9_SE_NS0_5tupleIJPjSE_EEENSF_IJSE_SE_EEES9_SG_JZNS1_25segmented_radix_sort_implINS0_14default_configELb1EPKiPiPKlPlN2at6native12_GLOBAL__N_18offset_tEEE10hipError_tPvRmT1_PNSt15iterator_traitsISY_E10value_typeET2_T3_PNSZ_IS14_E10value_typeET4_jRbjT5_S1A_jjP12ihipStream_tbEUljE_EEESV_SW_SX_S14_S18_S1A_T6_T7_T9_mT8_S1C_bDpT10_ENKUlT_T0_E_clISt17integral_constantIbLb1EES1P_EEDaS1K_S1L_EUlS1K_E_NS1_11comp_targetILNS1_3genE3ELNS1_11target_archE908ELNS1_3gpuE7ELNS1_3repE0EEENS1_30default_config_static_selectorELNS0_4arch9wavefront6targetE1EEEvSY_,@function
_ZN7rocprim17ROCPRIM_400000_NS6detail17trampoline_kernelINS0_13select_configILj256ELj13ELNS0_17block_load_methodE3ELS4_3ELS4_3ELNS0_20block_scan_algorithmE0ELj4294967295EEENS1_25partition_config_selectorILNS1_17partition_subalgoE3EjNS0_10empty_typeEbEEZZNS1_14partition_implILS8_3ELb0ES6_jNS0_17counting_iteratorIjlEEPS9_SE_NS0_5tupleIJPjSE_EEENSF_IJSE_SE_EEES9_SG_JZNS1_25segmented_radix_sort_implINS0_14default_configELb1EPKiPiPKlPlN2at6native12_GLOBAL__N_18offset_tEEE10hipError_tPvRmT1_PNSt15iterator_traitsISY_E10value_typeET2_T3_PNSZ_IS14_E10value_typeET4_jRbjT5_S1A_jjP12ihipStream_tbEUljE_EEESV_SW_SX_S14_S18_S1A_T6_T7_T9_mT8_S1C_bDpT10_ENKUlT_T0_E_clISt17integral_constantIbLb1EES1P_EEDaS1K_S1L_EUlS1K_E_NS1_11comp_targetILNS1_3genE3ELNS1_11target_archE908ELNS1_3gpuE7ELNS1_3repE0EEENS1_30default_config_static_selectorELNS0_4arch9wavefront6targetE1EEEvSY_: ; @_ZN7rocprim17ROCPRIM_400000_NS6detail17trampoline_kernelINS0_13select_configILj256ELj13ELNS0_17block_load_methodE3ELS4_3ELS4_3ELNS0_20block_scan_algorithmE0ELj4294967295EEENS1_25partition_config_selectorILNS1_17partition_subalgoE3EjNS0_10empty_typeEbEEZZNS1_14partition_implILS8_3ELb0ES6_jNS0_17counting_iteratorIjlEEPS9_SE_NS0_5tupleIJPjSE_EEENSF_IJSE_SE_EEES9_SG_JZNS1_25segmented_radix_sort_implINS0_14default_configELb1EPKiPiPKlPlN2at6native12_GLOBAL__N_18offset_tEEE10hipError_tPvRmT1_PNSt15iterator_traitsISY_E10value_typeET2_T3_PNSZ_IS14_E10value_typeET4_jRbjT5_S1A_jjP12ihipStream_tbEUljE_EEESV_SW_SX_S14_S18_S1A_T6_T7_T9_mT8_S1C_bDpT10_ENKUlT_T0_E_clISt17integral_constantIbLb1EES1P_EEDaS1K_S1L_EUlS1K_E_NS1_11comp_targetILNS1_3genE3ELNS1_11target_archE908ELNS1_3gpuE7ELNS1_3repE0EEENS1_30default_config_static_selectorELNS0_4arch9wavefront6targetE1EEEvSY_
; %bb.0:
	.section	.rodata,"a",@progbits
	.p2align	6, 0x0
	.amdhsa_kernel _ZN7rocprim17ROCPRIM_400000_NS6detail17trampoline_kernelINS0_13select_configILj256ELj13ELNS0_17block_load_methodE3ELS4_3ELS4_3ELNS0_20block_scan_algorithmE0ELj4294967295EEENS1_25partition_config_selectorILNS1_17partition_subalgoE3EjNS0_10empty_typeEbEEZZNS1_14partition_implILS8_3ELb0ES6_jNS0_17counting_iteratorIjlEEPS9_SE_NS0_5tupleIJPjSE_EEENSF_IJSE_SE_EEES9_SG_JZNS1_25segmented_radix_sort_implINS0_14default_configELb1EPKiPiPKlPlN2at6native12_GLOBAL__N_18offset_tEEE10hipError_tPvRmT1_PNSt15iterator_traitsISY_E10value_typeET2_T3_PNSZ_IS14_E10value_typeET4_jRbjT5_S1A_jjP12ihipStream_tbEUljE_EEESV_SW_SX_S14_S18_S1A_T6_T7_T9_mT8_S1C_bDpT10_ENKUlT_T0_E_clISt17integral_constantIbLb1EES1P_EEDaS1K_S1L_EUlS1K_E_NS1_11comp_targetILNS1_3genE3ELNS1_11target_archE908ELNS1_3gpuE7ELNS1_3repE0EEENS1_30default_config_static_selectorELNS0_4arch9wavefront6targetE1EEEvSY_
		.amdhsa_group_segment_fixed_size 0
		.amdhsa_private_segment_fixed_size 0
		.amdhsa_kernarg_size 152
		.amdhsa_user_sgpr_count 6
		.amdhsa_user_sgpr_private_segment_buffer 1
		.amdhsa_user_sgpr_dispatch_ptr 0
		.amdhsa_user_sgpr_queue_ptr 0
		.amdhsa_user_sgpr_kernarg_segment_ptr 1
		.amdhsa_user_sgpr_dispatch_id 0
		.amdhsa_user_sgpr_flat_scratch_init 0
		.amdhsa_user_sgpr_private_segment_size 0
		.amdhsa_uses_dynamic_stack 0
		.amdhsa_system_sgpr_private_segment_wavefront_offset 0
		.amdhsa_system_sgpr_workgroup_id_x 1
		.amdhsa_system_sgpr_workgroup_id_y 0
		.amdhsa_system_sgpr_workgroup_id_z 0
		.amdhsa_system_sgpr_workgroup_info 0
		.amdhsa_system_vgpr_workitem_id 0
		.amdhsa_next_free_vgpr 1
		.amdhsa_next_free_sgpr 0
		.amdhsa_reserve_vcc 0
		.amdhsa_reserve_flat_scratch 0
		.amdhsa_float_round_mode_32 0
		.amdhsa_float_round_mode_16_64 0
		.amdhsa_float_denorm_mode_32 3
		.amdhsa_float_denorm_mode_16_64 3
		.amdhsa_dx10_clamp 1
		.amdhsa_ieee_mode 1
		.amdhsa_fp16_overflow 0
		.amdhsa_exception_fp_ieee_invalid_op 0
		.amdhsa_exception_fp_denorm_src 0
		.amdhsa_exception_fp_ieee_div_zero 0
		.amdhsa_exception_fp_ieee_overflow 0
		.amdhsa_exception_fp_ieee_underflow 0
		.amdhsa_exception_fp_ieee_inexact 0
		.amdhsa_exception_int_div_zero 0
	.end_amdhsa_kernel
	.section	.text._ZN7rocprim17ROCPRIM_400000_NS6detail17trampoline_kernelINS0_13select_configILj256ELj13ELNS0_17block_load_methodE3ELS4_3ELS4_3ELNS0_20block_scan_algorithmE0ELj4294967295EEENS1_25partition_config_selectorILNS1_17partition_subalgoE3EjNS0_10empty_typeEbEEZZNS1_14partition_implILS8_3ELb0ES6_jNS0_17counting_iteratorIjlEEPS9_SE_NS0_5tupleIJPjSE_EEENSF_IJSE_SE_EEES9_SG_JZNS1_25segmented_radix_sort_implINS0_14default_configELb1EPKiPiPKlPlN2at6native12_GLOBAL__N_18offset_tEEE10hipError_tPvRmT1_PNSt15iterator_traitsISY_E10value_typeET2_T3_PNSZ_IS14_E10value_typeET4_jRbjT5_S1A_jjP12ihipStream_tbEUljE_EEESV_SW_SX_S14_S18_S1A_T6_T7_T9_mT8_S1C_bDpT10_ENKUlT_T0_E_clISt17integral_constantIbLb1EES1P_EEDaS1K_S1L_EUlS1K_E_NS1_11comp_targetILNS1_3genE3ELNS1_11target_archE908ELNS1_3gpuE7ELNS1_3repE0EEENS1_30default_config_static_selectorELNS0_4arch9wavefront6targetE1EEEvSY_,"axG",@progbits,_ZN7rocprim17ROCPRIM_400000_NS6detail17trampoline_kernelINS0_13select_configILj256ELj13ELNS0_17block_load_methodE3ELS4_3ELS4_3ELNS0_20block_scan_algorithmE0ELj4294967295EEENS1_25partition_config_selectorILNS1_17partition_subalgoE3EjNS0_10empty_typeEbEEZZNS1_14partition_implILS8_3ELb0ES6_jNS0_17counting_iteratorIjlEEPS9_SE_NS0_5tupleIJPjSE_EEENSF_IJSE_SE_EEES9_SG_JZNS1_25segmented_radix_sort_implINS0_14default_configELb1EPKiPiPKlPlN2at6native12_GLOBAL__N_18offset_tEEE10hipError_tPvRmT1_PNSt15iterator_traitsISY_E10value_typeET2_T3_PNSZ_IS14_E10value_typeET4_jRbjT5_S1A_jjP12ihipStream_tbEUljE_EEESV_SW_SX_S14_S18_S1A_T6_T7_T9_mT8_S1C_bDpT10_ENKUlT_T0_E_clISt17integral_constantIbLb1EES1P_EEDaS1K_S1L_EUlS1K_E_NS1_11comp_targetILNS1_3genE3ELNS1_11target_archE908ELNS1_3gpuE7ELNS1_3repE0EEENS1_30default_config_static_selectorELNS0_4arch9wavefront6targetE1EEEvSY_,comdat
.Lfunc_end476:
	.size	_ZN7rocprim17ROCPRIM_400000_NS6detail17trampoline_kernelINS0_13select_configILj256ELj13ELNS0_17block_load_methodE3ELS4_3ELS4_3ELNS0_20block_scan_algorithmE0ELj4294967295EEENS1_25partition_config_selectorILNS1_17partition_subalgoE3EjNS0_10empty_typeEbEEZZNS1_14partition_implILS8_3ELb0ES6_jNS0_17counting_iteratorIjlEEPS9_SE_NS0_5tupleIJPjSE_EEENSF_IJSE_SE_EEES9_SG_JZNS1_25segmented_radix_sort_implINS0_14default_configELb1EPKiPiPKlPlN2at6native12_GLOBAL__N_18offset_tEEE10hipError_tPvRmT1_PNSt15iterator_traitsISY_E10value_typeET2_T3_PNSZ_IS14_E10value_typeET4_jRbjT5_S1A_jjP12ihipStream_tbEUljE_EEESV_SW_SX_S14_S18_S1A_T6_T7_T9_mT8_S1C_bDpT10_ENKUlT_T0_E_clISt17integral_constantIbLb1EES1P_EEDaS1K_S1L_EUlS1K_E_NS1_11comp_targetILNS1_3genE3ELNS1_11target_archE908ELNS1_3gpuE7ELNS1_3repE0EEENS1_30default_config_static_selectorELNS0_4arch9wavefront6targetE1EEEvSY_, .Lfunc_end476-_ZN7rocprim17ROCPRIM_400000_NS6detail17trampoline_kernelINS0_13select_configILj256ELj13ELNS0_17block_load_methodE3ELS4_3ELS4_3ELNS0_20block_scan_algorithmE0ELj4294967295EEENS1_25partition_config_selectorILNS1_17partition_subalgoE3EjNS0_10empty_typeEbEEZZNS1_14partition_implILS8_3ELb0ES6_jNS0_17counting_iteratorIjlEEPS9_SE_NS0_5tupleIJPjSE_EEENSF_IJSE_SE_EEES9_SG_JZNS1_25segmented_radix_sort_implINS0_14default_configELb1EPKiPiPKlPlN2at6native12_GLOBAL__N_18offset_tEEE10hipError_tPvRmT1_PNSt15iterator_traitsISY_E10value_typeET2_T3_PNSZ_IS14_E10value_typeET4_jRbjT5_S1A_jjP12ihipStream_tbEUljE_EEESV_SW_SX_S14_S18_S1A_T6_T7_T9_mT8_S1C_bDpT10_ENKUlT_T0_E_clISt17integral_constantIbLb1EES1P_EEDaS1K_S1L_EUlS1K_E_NS1_11comp_targetILNS1_3genE3ELNS1_11target_archE908ELNS1_3gpuE7ELNS1_3repE0EEENS1_30default_config_static_selectorELNS0_4arch9wavefront6targetE1EEEvSY_
                                        ; -- End function
	.set _ZN7rocprim17ROCPRIM_400000_NS6detail17trampoline_kernelINS0_13select_configILj256ELj13ELNS0_17block_load_methodE3ELS4_3ELS4_3ELNS0_20block_scan_algorithmE0ELj4294967295EEENS1_25partition_config_selectorILNS1_17partition_subalgoE3EjNS0_10empty_typeEbEEZZNS1_14partition_implILS8_3ELb0ES6_jNS0_17counting_iteratorIjlEEPS9_SE_NS0_5tupleIJPjSE_EEENSF_IJSE_SE_EEES9_SG_JZNS1_25segmented_radix_sort_implINS0_14default_configELb1EPKiPiPKlPlN2at6native12_GLOBAL__N_18offset_tEEE10hipError_tPvRmT1_PNSt15iterator_traitsISY_E10value_typeET2_T3_PNSZ_IS14_E10value_typeET4_jRbjT5_S1A_jjP12ihipStream_tbEUljE_EEESV_SW_SX_S14_S18_S1A_T6_T7_T9_mT8_S1C_bDpT10_ENKUlT_T0_E_clISt17integral_constantIbLb1EES1P_EEDaS1K_S1L_EUlS1K_E_NS1_11comp_targetILNS1_3genE3ELNS1_11target_archE908ELNS1_3gpuE7ELNS1_3repE0EEENS1_30default_config_static_selectorELNS0_4arch9wavefront6targetE1EEEvSY_.num_vgpr, 0
	.set _ZN7rocprim17ROCPRIM_400000_NS6detail17trampoline_kernelINS0_13select_configILj256ELj13ELNS0_17block_load_methodE3ELS4_3ELS4_3ELNS0_20block_scan_algorithmE0ELj4294967295EEENS1_25partition_config_selectorILNS1_17partition_subalgoE3EjNS0_10empty_typeEbEEZZNS1_14partition_implILS8_3ELb0ES6_jNS0_17counting_iteratorIjlEEPS9_SE_NS0_5tupleIJPjSE_EEENSF_IJSE_SE_EEES9_SG_JZNS1_25segmented_radix_sort_implINS0_14default_configELb1EPKiPiPKlPlN2at6native12_GLOBAL__N_18offset_tEEE10hipError_tPvRmT1_PNSt15iterator_traitsISY_E10value_typeET2_T3_PNSZ_IS14_E10value_typeET4_jRbjT5_S1A_jjP12ihipStream_tbEUljE_EEESV_SW_SX_S14_S18_S1A_T6_T7_T9_mT8_S1C_bDpT10_ENKUlT_T0_E_clISt17integral_constantIbLb1EES1P_EEDaS1K_S1L_EUlS1K_E_NS1_11comp_targetILNS1_3genE3ELNS1_11target_archE908ELNS1_3gpuE7ELNS1_3repE0EEENS1_30default_config_static_selectorELNS0_4arch9wavefront6targetE1EEEvSY_.num_agpr, 0
	.set _ZN7rocprim17ROCPRIM_400000_NS6detail17trampoline_kernelINS0_13select_configILj256ELj13ELNS0_17block_load_methodE3ELS4_3ELS4_3ELNS0_20block_scan_algorithmE0ELj4294967295EEENS1_25partition_config_selectorILNS1_17partition_subalgoE3EjNS0_10empty_typeEbEEZZNS1_14partition_implILS8_3ELb0ES6_jNS0_17counting_iteratorIjlEEPS9_SE_NS0_5tupleIJPjSE_EEENSF_IJSE_SE_EEES9_SG_JZNS1_25segmented_radix_sort_implINS0_14default_configELb1EPKiPiPKlPlN2at6native12_GLOBAL__N_18offset_tEEE10hipError_tPvRmT1_PNSt15iterator_traitsISY_E10value_typeET2_T3_PNSZ_IS14_E10value_typeET4_jRbjT5_S1A_jjP12ihipStream_tbEUljE_EEESV_SW_SX_S14_S18_S1A_T6_T7_T9_mT8_S1C_bDpT10_ENKUlT_T0_E_clISt17integral_constantIbLb1EES1P_EEDaS1K_S1L_EUlS1K_E_NS1_11comp_targetILNS1_3genE3ELNS1_11target_archE908ELNS1_3gpuE7ELNS1_3repE0EEENS1_30default_config_static_selectorELNS0_4arch9wavefront6targetE1EEEvSY_.numbered_sgpr, 0
	.set _ZN7rocprim17ROCPRIM_400000_NS6detail17trampoline_kernelINS0_13select_configILj256ELj13ELNS0_17block_load_methodE3ELS4_3ELS4_3ELNS0_20block_scan_algorithmE0ELj4294967295EEENS1_25partition_config_selectorILNS1_17partition_subalgoE3EjNS0_10empty_typeEbEEZZNS1_14partition_implILS8_3ELb0ES6_jNS0_17counting_iteratorIjlEEPS9_SE_NS0_5tupleIJPjSE_EEENSF_IJSE_SE_EEES9_SG_JZNS1_25segmented_radix_sort_implINS0_14default_configELb1EPKiPiPKlPlN2at6native12_GLOBAL__N_18offset_tEEE10hipError_tPvRmT1_PNSt15iterator_traitsISY_E10value_typeET2_T3_PNSZ_IS14_E10value_typeET4_jRbjT5_S1A_jjP12ihipStream_tbEUljE_EEESV_SW_SX_S14_S18_S1A_T6_T7_T9_mT8_S1C_bDpT10_ENKUlT_T0_E_clISt17integral_constantIbLb1EES1P_EEDaS1K_S1L_EUlS1K_E_NS1_11comp_targetILNS1_3genE3ELNS1_11target_archE908ELNS1_3gpuE7ELNS1_3repE0EEENS1_30default_config_static_selectorELNS0_4arch9wavefront6targetE1EEEvSY_.num_named_barrier, 0
	.set _ZN7rocprim17ROCPRIM_400000_NS6detail17trampoline_kernelINS0_13select_configILj256ELj13ELNS0_17block_load_methodE3ELS4_3ELS4_3ELNS0_20block_scan_algorithmE0ELj4294967295EEENS1_25partition_config_selectorILNS1_17partition_subalgoE3EjNS0_10empty_typeEbEEZZNS1_14partition_implILS8_3ELb0ES6_jNS0_17counting_iteratorIjlEEPS9_SE_NS0_5tupleIJPjSE_EEENSF_IJSE_SE_EEES9_SG_JZNS1_25segmented_radix_sort_implINS0_14default_configELb1EPKiPiPKlPlN2at6native12_GLOBAL__N_18offset_tEEE10hipError_tPvRmT1_PNSt15iterator_traitsISY_E10value_typeET2_T3_PNSZ_IS14_E10value_typeET4_jRbjT5_S1A_jjP12ihipStream_tbEUljE_EEESV_SW_SX_S14_S18_S1A_T6_T7_T9_mT8_S1C_bDpT10_ENKUlT_T0_E_clISt17integral_constantIbLb1EES1P_EEDaS1K_S1L_EUlS1K_E_NS1_11comp_targetILNS1_3genE3ELNS1_11target_archE908ELNS1_3gpuE7ELNS1_3repE0EEENS1_30default_config_static_selectorELNS0_4arch9wavefront6targetE1EEEvSY_.private_seg_size, 0
	.set _ZN7rocprim17ROCPRIM_400000_NS6detail17trampoline_kernelINS0_13select_configILj256ELj13ELNS0_17block_load_methodE3ELS4_3ELS4_3ELNS0_20block_scan_algorithmE0ELj4294967295EEENS1_25partition_config_selectorILNS1_17partition_subalgoE3EjNS0_10empty_typeEbEEZZNS1_14partition_implILS8_3ELb0ES6_jNS0_17counting_iteratorIjlEEPS9_SE_NS0_5tupleIJPjSE_EEENSF_IJSE_SE_EEES9_SG_JZNS1_25segmented_radix_sort_implINS0_14default_configELb1EPKiPiPKlPlN2at6native12_GLOBAL__N_18offset_tEEE10hipError_tPvRmT1_PNSt15iterator_traitsISY_E10value_typeET2_T3_PNSZ_IS14_E10value_typeET4_jRbjT5_S1A_jjP12ihipStream_tbEUljE_EEESV_SW_SX_S14_S18_S1A_T6_T7_T9_mT8_S1C_bDpT10_ENKUlT_T0_E_clISt17integral_constantIbLb1EES1P_EEDaS1K_S1L_EUlS1K_E_NS1_11comp_targetILNS1_3genE3ELNS1_11target_archE908ELNS1_3gpuE7ELNS1_3repE0EEENS1_30default_config_static_selectorELNS0_4arch9wavefront6targetE1EEEvSY_.uses_vcc, 0
	.set _ZN7rocprim17ROCPRIM_400000_NS6detail17trampoline_kernelINS0_13select_configILj256ELj13ELNS0_17block_load_methodE3ELS4_3ELS4_3ELNS0_20block_scan_algorithmE0ELj4294967295EEENS1_25partition_config_selectorILNS1_17partition_subalgoE3EjNS0_10empty_typeEbEEZZNS1_14partition_implILS8_3ELb0ES6_jNS0_17counting_iteratorIjlEEPS9_SE_NS0_5tupleIJPjSE_EEENSF_IJSE_SE_EEES9_SG_JZNS1_25segmented_radix_sort_implINS0_14default_configELb1EPKiPiPKlPlN2at6native12_GLOBAL__N_18offset_tEEE10hipError_tPvRmT1_PNSt15iterator_traitsISY_E10value_typeET2_T3_PNSZ_IS14_E10value_typeET4_jRbjT5_S1A_jjP12ihipStream_tbEUljE_EEESV_SW_SX_S14_S18_S1A_T6_T7_T9_mT8_S1C_bDpT10_ENKUlT_T0_E_clISt17integral_constantIbLb1EES1P_EEDaS1K_S1L_EUlS1K_E_NS1_11comp_targetILNS1_3genE3ELNS1_11target_archE908ELNS1_3gpuE7ELNS1_3repE0EEENS1_30default_config_static_selectorELNS0_4arch9wavefront6targetE1EEEvSY_.uses_flat_scratch, 0
	.set _ZN7rocprim17ROCPRIM_400000_NS6detail17trampoline_kernelINS0_13select_configILj256ELj13ELNS0_17block_load_methodE3ELS4_3ELS4_3ELNS0_20block_scan_algorithmE0ELj4294967295EEENS1_25partition_config_selectorILNS1_17partition_subalgoE3EjNS0_10empty_typeEbEEZZNS1_14partition_implILS8_3ELb0ES6_jNS0_17counting_iteratorIjlEEPS9_SE_NS0_5tupleIJPjSE_EEENSF_IJSE_SE_EEES9_SG_JZNS1_25segmented_radix_sort_implINS0_14default_configELb1EPKiPiPKlPlN2at6native12_GLOBAL__N_18offset_tEEE10hipError_tPvRmT1_PNSt15iterator_traitsISY_E10value_typeET2_T3_PNSZ_IS14_E10value_typeET4_jRbjT5_S1A_jjP12ihipStream_tbEUljE_EEESV_SW_SX_S14_S18_S1A_T6_T7_T9_mT8_S1C_bDpT10_ENKUlT_T0_E_clISt17integral_constantIbLb1EES1P_EEDaS1K_S1L_EUlS1K_E_NS1_11comp_targetILNS1_3genE3ELNS1_11target_archE908ELNS1_3gpuE7ELNS1_3repE0EEENS1_30default_config_static_selectorELNS0_4arch9wavefront6targetE1EEEvSY_.has_dyn_sized_stack, 0
	.set _ZN7rocprim17ROCPRIM_400000_NS6detail17trampoline_kernelINS0_13select_configILj256ELj13ELNS0_17block_load_methodE3ELS4_3ELS4_3ELNS0_20block_scan_algorithmE0ELj4294967295EEENS1_25partition_config_selectorILNS1_17partition_subalgoE3EjNS0_10empty_typeEbEEZZNS1_14partition_implILS8_3ELb0ES6_jNS0_17counting_iteratorIjlEEPS9_SE_NS0_5tupleIJPjSE_EEENSF_IJSE_SE_EEES9_SG_JZNS1_25segmented_radix_sort_implINS0_14default_configELb1EPKiPiPKlPlN2at6native12_GLOBAL__N_18offset_tEEE10hipError_tPvRmT1_PNSt15iterator_traitsISY_E10value_typeET2_T3_PNSZ_IS14_E10value_typeET4_jRbjT5_S1A_jjP12ihipStream_tbEUljE_EEESV_SW_SX_S14_S18_S1A_T6_T7_T9_mT8_S1C_bDpT10_ENKUlT_T0_E_clISt17integral_constantIbLb1EES1P_EEDaS1K_S1L_EUlS1K_E_NS1_11comp_targetILNS1_3genE3ELNS1_11target_archE908ELNS1_3gpuE7ELNS1_3repE0EEENS1_30default_config_static_selectorELNS0_4arch9wavefront6targetE1EEEvSY_.has_recursion, 0
	.set _ZN7rocprim17ROCPRIM_400000_NS6detail17trampoline_kernelINS0_13select_configILj256ELj13ELNS0_17block_load_methodE3ELS4_3ELS4_3ELNS0_20block_scan_algorithmE0ELj4294967295EEENS1_25partition_config_selectorILNS1_17partition_subalgoE3EjNS0_10empty_typeEbEEZZNS1_14partition_implILS8_3ELb0ES6_jNS0_17counting_iteratorIjlEEPS9_SE_NS0_5tupleIJPjSE_EEENSF_IJSE_SE_EEES9_SG_JZNS1_25segmented_radix_sort_implINS0_14default_configELb1EPKiPiPKlPlN2at6native12_GLOBAL__N_18offset_tEEE10hipError_tPvRmT1_PNSt15iterator_traitsISY_E10value_typeET2_T3_PNSZ_IS14_E10value_typeET4_jRbjT5_S1A_jjP12ihipStream_tbEUljE_EEESV_SW_SX_S14_S18_S1A_T6_T7_T9_mT8_S1C_bDpT10_ENKUlT_T0_E_clISt17integral_constantIbLb1EES1P_EEDaS1K_S1L_EUlS1K_E_NS1_11comp_targetILNS1_3genE3ELNS1_11target_archE908ELNS1_3gpuE7ELNS1_3repE0EEENS1_30default_config_static_selectorELNS0_4arch9wavefront6targetE1EEEvSY_.has_indirect_call, 0
	.section	.AMDGPU.csdata,"",@progbits
; Kernel info:
; codeLenInByte = 0
; TotalNumSgprs: 4
; NumVgprs: 0
; ScratchSize: 0
; MemoryBound: 0
; FloatMode: 240
; IeeeMode: 1
; LDSByteSize: 0 bytes/workgroup (compile time only)
; SGPRBlocks: 0
; VGPRBlocks: 0
; NumSGPRsForWavesPerEU: 4
; NumVGPRsForWavesPerEU: 1
; Occupancy: 10
; WaveLimiterHint : 0
; COMPUTE_PGM_RSRC2:SCRATCH_EN: 0
; COMPUTE_PGM_RSRC2:USER_SGPR: 6
; COMPUTE_PGM_RSRC2:TRAP_HANDLER: 0
; COMPUTE_PGM_RSRC2:TGID_X_EN: 1
; COMPUTE_PGM_RSRC2:TGID_Y_EN: 0
; COMPUTE_PGM_RSRC2:TGID_Z_EN: 0
; COMPUTE_PGM_RSRC2:TIDIG_COMP_CNT: 0
	.section	.text._ZN7rocprim17ROCPRIM_400000_NS6detail17trampoline_kernelINS0_13select_configILj256ELj13ELNS0_17block_load_methodE3ELS4_3ELS4_3ELNS0_20block_scan_algorithmE0ELj4294967295EEENS1_25partition_config_selectorILNS1_17partition_subalgoE3EjNS0_10empty_typeEbEEZZNS1_14partition_implILS8_3ELb0ES6_jNS0_17counting_iteratorIjlEEPS9_SE_NS0_5tupleIJPjSE_EEENSF_IJSE_SE_EEES9_SG_JZNS1_25segmented_radix_sort_implINS0_14default_configELb1EPKiPiPKlPlN2at6native12_GLOBAL__N_18offset_tEEE10hipError_tPvRmT1_PNSt15iterator_traitsISY_E10value_typeET2_T3_PNSZ_IS14_E10value_typeET4_jRbjT5_S1A_jjP12ihipStream_tbEUljE_EEESV_SW_SX_S14_S18_S1A_T6_T7_T9_mT8_S1C_bDpT10_ENKUlT_T0_E_clISt17integral_constantIbLb1EES1P_EEDaS1K_S1L_EUlS1K_E_NS1_11comp_targetILNS1_3genE2ELNS1_11target_archE906ELNS1_3gpuE6ELNS1_3repE0EEENS1_30default_config_static_selectorELNS0_4arch9wavefront6targetE1EEEvSY_,"axG",@progbits,_ZN7rocprim17ROCPRIM_400000_NS6detail17trampoline_kernelINS0_13select_configILj256ELj13ELNS0_17block_load_methodE3ELS4_3ELS4_3ELNS0_20block_scan_algorithmE0ELj4294967295EEENS1_25partition_config_selectorILNS1_17partition_subalgoE3EjNS0_10empty_typeEbEEZZNS1_14partition_implILS8_3ELb0ES6_jNS0_17counting_iteratorIjlEEPS9_SE_NS0_5tupleIJPjSE_EEENSF_IJSE_SE_EEES9_SG_JZNS1_25segmented_radix_sort_implINS0_14default_configELb1EPKiPiPKlPlN2at6native12_GLOBAL__N_18offset_tEEE10hipError_tPvRmT1_PNSt15iterator_traitsISY_E10value_typeET2_T3_PNSZ_IS14_E10value_typeET4_jRbjT5_S1A_jjP12ihipStream_tbEUljE_EEESV_SW_SX_S14_S18_S1A_T6_T7_T9_mT8_S1C_bDpT10_ENKUlT_T0_E_clISt17integral_constantIbLb1EES1P_EEDaS1K_S1L_EUlS1K_E_NS1_11comp_targetILNS1_3genE2ELNS1_11target_archE906ELNS1_3gpuE6ELNS1_3repE0EEENS1_30default_config_static_selectorELNS0_4arch9wavefront6targetE1EEEvSY_,comdat
	.globl	_ZN7rocprim17ROCPRIM_400000_NS6detail17trampoline_kernelINS0_13select_configILj256ELj13ELNS0_17block_load_methodE3ELS4_3ELS4_3ELNS0_20block_scan_algorithmE0ELj4294967295EEENS1_25partition_config_selectorILNS1_17partition_subalgoE3EjNS0_10empty_typeEbEEZZNS1_14partition_implILS8_3ELb0ES6_jNS0_17counting_iteratorIjlEEPS9_SE_NS0_5tupleIJPjSE_EEENSF_IJSE_SE_EEES9_SG_JZNS1_25segmented_radix_sort_implINS0_14default_configELb1EPKiPiPKlPlN2at6native12_GLOBAL__N_18offset_tEEE10hipError_tPvRmT1_PNSt15iterator_traitsISY_E10value_typeET2_T3_PNSZ_IS14_E10value_typeET4_jRbjT5_S1A_jjP12ihipStream_tbEUljE_EEESV_SW_SX_S14_S18_S1A_T6_T7_T9_mT8_S1C_bDpT10_ENKUlT_T0_E_clISt17integral_constantIbLb1EES1P_EEDaS1K_S1L_EUlS1K_E_NS1_11comp_targetILNS1_3genE2ELNS1_11target_archE906ELNS1_3gpuE6ELNS1_3repE0EEENS1_30default_config_static_selectorELNS0_4arch9wavefront6targetE1EEEvSY_ ; -- Begin function _ZN7rocprim17ROCPRIM_400000_NS6detail17trampoline_kernelINS0_13select_configILj256ELj13ELNS0_17block_load_methodE3ELS4_3ELS4_3ELNS0_20block_scan_algorithmE0ELj4294967295EEENS1_25partition_config_selectorILNS1_17partition_subalgoE3EjNS0_10empty_typeEbEEZZNS1_14partition_implILS8_3ELb0ES6_jNS0_17counting_iteratorIjlEEPS9_SE_NS0_5tupleIJPjSE_EEENSF_IJSE_SE_EEES9_SG_JZNS1_25segmented_radix_sort_implINS0_14default_configELb1EPKiPiPKlPlN2at6native12_GLOBAL__N_18offset_tEEE10hipError_tPvRmT1_PNSt15iterator_traitsISY_E10value_typeET2_T3_PNSZ_IS14_E10value_typeET4_jRbjT5_S1A_jjP12ihipStream_tbEUljE_EEESV_SW_SX_S14_S18_S1A_T6_T7_T9_mT8_S1C_bDpT10_ENKUlT_T0_E_clISt17integral_constantIbLb1EES1P_EEDaS1K_S1L_EUlS1K_E_NS1_11comp_targetILNS1_3genE2ELNS1_11target_archE906ELNS1_3gpuE6ELNS1_3repE0EEENS1_30default_config_static_selectorELNS0_4arch9wavefront6targetE1EEEvSY_
	.p2align	8
	.type	_ZN7rocprim17ROCPRIM_400000_NS6detail17trampoline_kernelINS0_13select_configILj256ELj13ELNS0_17block_load_methodE3ELS4_3ELS4_3ELNS0_20block_scan_algorithmE0ELj4294967295EEENS1_25partition_config_selectorILNS1_17partition_subalgoE3EjNS0_10empty_typeEbEEZZNS1_14partition_implILS8_3ELb0ES6_jNS0_17counting_iteratorIjlEEPS9_SE_NS0_5tupleIJPjSE_EEENSF_IJSE_SE_EEES9_SG_JZNS1_25segmented_radix_sort_implINS0_14default_configELb1EPKiPiPKlPlN2at6native12_GLOBAL__N_18offset_tEEE10hipError_tPvRmT1_PNSt15iterator_traitsISY_E10value_typeET2_T3_PNSZ_IS14_E10value_typeET4_jRbjT5_S1A_jjP12ihipStream_tbEUljE_EEESV_SW_SX_S14_S18_S1A_T6_T7_T9_mT8_S1C_bDpT10_ENKUlT_T0_E_clISt17integral_constantIbLb1EES1P_EEDaS1K_S1L_EUlS1K_E_NS1_11comp_targetILNS1_3genE2ELNS1_11target_archE906ELNS1_3gpuE6ELNS1_3repE0EEENS1_30default_config_static_selectorELNS0_4arch9wavefront6targetE1EEEvSY_,@function
_ZN7rocprim17ROCPRIM_400000_NS6detail17trampoline_kernelINS0_13select_configILj256ELj13ELNS0_17block_load_methodE3ELS4_3ELS4_3ELNS0_20block_scan_algorithmE0ELj4294967295EEENS1_25partition_config_selectorILNS1_17partition_subalgoE3EjNS0_10empty_typeEbEEZZNS1_14partition_implILS8_3ELb0ES6_jNS0_17counting_iteratorIjlEEPS9_SE_NS0_5tupleIJPjSE_EEENSF_IJSE_SE_EEES9_SG_JZNS1_25segmented_radix_sort_implINS0_14default_configELb1EPKiPiPKlPlN2at6native12_GLOBAL__N_18offset_tEEE10hipError_tPvRmT1_PNSt15iterator_traitsISY_E10value_typeET2_T3_PNSZ_IS14_E10value_typeET4_jRbjT5_S1A_jjP12ihipStream_tbEUljE_EEESV_SW_SX_S14_S18_S1A_T6_T7_T9_mT8_S1C_bDpT10_ENKUlT_T0_E_clISt17integral_constantIbLb1EES1P_EEDaS1K_S1L_EUlS1K_E_NS1_11comp_targetILNS1_3genE2ELNS1_11target_archE906ELNS1_3gpuE6ELNS1_3repE0EEENS1_30default_config_static_selectorELNS0_4arch9wavefront6targetE1EEEvSY_: ; @_ZN7rocprim17ROCPRIM_400000_NS6detail17trampoline_kernelINS0_13select_configILj256ELj13ELNS0_17block_load_methodE3ELS4_3ELS4_3ELNS0_20block_scan_algorithmE0ELj4294967295EEENS1_25partition_config_selectorILNS1_17partition_subalgoE3EjNS0_10empty_typeEbEEZZNS1_14partition_implILS8_3ELb0ES6_jNS0_17counting_iteratorIjlEEPS9_SE_NS0_5tupleIJPjSE_EEENSF_IJSE_SE_EEES9_SG_JZNS1_25segmented_radix_sort_implINS0_14default_configELb1EPKiPiPKlPlN2at6native12_GLOBAL__N_18offset_tEEE10hipError_tPvRmT1_PNSt15iterator_traitsISY_E10value_typeET2_T3_PNSZ_IS14_E10value_typeET4_jRbjT5_S1A_jjP12ihipStream_tbEUljE_EEESV_SW_SX_S14_S18_S1A_T6_T7_T9_mT8_S1C_bDpT10_ENKUlT_T0_E_clISt17integral_constantIbLb1EES1P_EEDaS1K_S1L_EUlS1K_E_NS1_11comp_targetILNS1_3genE2ELNS1_11target_archE906ELNS1_3gpuE6ELNS1_3repE0EEENS1_30default_config_static_selectorELNS0_4arch9wavefront6targetE1EEEvSY_
; %bb.0:
	s_endpgm
	.section	.rodata,"a",@progbits
	.p2align	6, 0x0
	.amdhsa_kernel _ZN7rocprim17ROCPRIM_400000_NS6detail17trampoline_kernelINS0_13select_configILj256ELj13ELNS0_17block_load_methodE3ELS4_3ELS4_3ELNS0_20block_scan_algorithmE0ELj4294967295EEENS1_25partition_config_selectorILNS1_17partition_subalgoE3EjNS0_10empty_typeEbEEZZNS1_14partition_implILS8_3ELb0ES6_jNS0_17counting_iteratorIjlEEPS9_SE_NS0_5tupleIJPjSE_EEENSF_IJSE_SE_EEES9_SG_JZNS1_25segmented_radix_sort_implINS0_14default_configELb1EPKiPiPKlPlN2at6native12_GLOBAL__N_18offset_tEEE10hipError_tPvRmT1_PNSt15iterator_traitsISY_E10value_typeET2_T3_PNSZ_IS14_E10value_typeET4_jRbjT5_S1A_jjP12ihipStream_tbEUljE_EEESV_SW_SX_S14_S18_S1A_T6_T7_T9_mT8_S1C_bDpT10_ENKUlT_T0_E_clISt17integral_constantIbLb1EES1P_EEDaS1K_S1L_EUlS1K_E_NS1_11comp_targetILNS1_3genE2ELNS1_11target_archE906ELNS1_3gpuE6ELNS1_3repE0EEENS1_30default_config_static_selectorELNS0_4arch9wavefront6targetE1EEEvSY_
		.amdhsa_group_segment_fixed_size 0
		.amdhsa_private_segment_fixed_size 0
		.amdhsa_kernarg_size 152
		.amdhsa_user_sgpr_count 6
		.amdhsa_user_sgpr_private_segment_buffer 1
		.amdhsa_user_sgpr_dispatch_ptr 0
		.amdhsa_user_sgpr_queue_ptr 0
		.amdhsa_user_sgpr_kernarg_segment_ptr 1
		.amdhsa_user_sgpr_dispatch_id 0
		.amdhsa_user_sgpr_flat_scratch_init 0
		.amdhsa_user_sgpr_private_segment_size 0
		.amdhsa_uses_dynamic_stack 0
		.amdhsa_system_sgpr_private_segment_wavefront_offset 0
		.amdhsa_system_sgpr_workgroup_id_x 1
		.amdhsa_system_sgpr_workgroup_id_y 0
		.amdhsa_system_sgpr_workgroup_id_z 0
		.amdhsa_system_sgpr_workgroup_info 0
		.amdhsa_system_vgpr_workitem_id 0
		.amdhsa_next_free_vgpr 1
		.amdhsa_next_free_sgpr 0
		.amdhsa_reserve_vcc 0
		.amdhsa_reserve_flat_scratch 0
		.amdhsa_float_round_mode_32 0
		.amdhsa_float_round_mode_16_64 0
		.amdhsa_float_denorm_mode_32 3
		.amdhsa_float_denorm_mode_16_64 3
		.amdhsa_dx10_clamp 1
		.amdhsa_ieee_mode 1
		.amdhsa_fp16_overflow 0
		.amdhsa_exception_fp_ieee_invalid_op 0
		.amdhsa_exception_fp_denorm_src 0
		.amdhsa_exception_fp_ieee_div_zero 0
		.amdhsa_exception_fp_ieee_overflow 0
		.amdhsa_exception_fp_ieee_underflow 0
		.amdhsa_exception_fp_ieee_inexact 0
		.amdhsa_exception_int_div_zero 0
	.end_amdhsa_kernel
	.section	.text._ZN7rocprim17ROCPRIM_400000_NS6detail17trampoline_kernelINS0_13select_configILj256ELj13ELNS0_17block_load_methodE3ELS4_3ELS4_3ELNS0_20block_scan_algorithmE0ELj4294967295EEENS1_25partition_config_selectorILNS1_17partition_subalgoE3EjNS0_10empty_typeEbEEZZNS1_14partition_implILS8_3ELb0ES6_jNS0_17counting_iteratorIjlEEPS9_SE_NS0_5tupleIJPjSE_EEENSF_IJSE_SE_EEES9_SG_JZNS1_25segmented_radix_sort_implINS0_14default_configELb1EPKiPiPKlPlN2at6native12_GLOBAL__N_18offset_tEEE10hipError_tPvRmT1_PNSt15iterator_traitsISY_E10value_typeET2_T3_PNSZ_IS14_E10value_typeET4_jRbjT5_S1A_jjP12ihipStream_tbEUljE_EEESV_SW_SX_S14_S18_S1A_T6_T7_T9_mT8_S1C_bDpT10_ENKUlT_T0_E_clISt17integral_constantIbLb1EES1P_EEDaS1K_S1L_EUlS1K_E_NS1_11comp_targetILNS1_3genE2ELNS1_11target_archE906ELNS1_3gpuE6ELNS1_3repE0EEENS1_30default_config_static_selectorELNS0_4arch9wavefront6targetE1EEEvSY_,"axG",@progbits,_ZN7rocprim17ROCPRIM_400000_NS6detail17trampoline_kernelINS0_13select_configILj256ELj13ELNS0_17block_load_methodE3ELS4_3ELS4_3ELNS0_20block_scan_algorithmE0ELj4294967295EEENS1_25partition_config_selectorILNS1_17partition_subalgoE3EjNS0_10empty_typeEbEEZZNS1_14partition_implILS8_3ELb0ES6_jNS0_17counting_iteratorIjlEEPS9_SE_NS0_5tupleIJPjSE_EEENSF_IJSE_SE_EEES9_SG_JZNS1_25segmented_radix_sort_implINS0_14default_configELb1EPKiPiPKlPlN2at6native12_GLOBAL__N_18offset_tEEE10hipError_tPvRmT1_PNSt15iterator_traitsISY_E10value_typeET2_T3_PNSZ_IS14_E10value_typeET4_jRbjT5_S1A_jjP12ihipStream_tbEUljE_EEESV_SW_SX_S14_S18_S1A_T6_T7_T9_mT8_S1C_bDpT10_ENKUlT_T0_E_clISt17integral_constantIbLb1EES1P_EEDaS1K_S1L_EUlS1K_E_NS1_11comp_targetILNS1_3genE2ELNS1_11target_archE906ELNS1_3gpuE6ELNS1_3repE0EEENS1_30default_config_static_selectorELNS0_4arch9wavefront6targetE1EEEvSY_,comdat
.Lfunc_end477:
	.size	_ZN7rocprim17ROCPRIM_400000_NS6detail17trampoline_kernelINS0_13select_configILj256ELj13ELNS0_17block_load_methodE3ELS4_3ELS4_3ELNS0_20block_scan_algorithmE0ELj4294967295EEENS1_25partition_config_selectorILNS1_17partition_subalgoE3EjNS0_10empty_typeEbEEZZNS1_14partition_implILS8_3ELb0ES6_jNS0_17counting_iteratorIjlEEPS9_SE_NS0_5tupleIJPjSE_EEENSF_IJSE_SE_EEES9_SG_JZNS1_25segmented_radix_sort_implINS0_14default_configELb1EPKiPiPKlPlN2at6native12_GLOBAL__N_18offset_tEEE10hipError_tPvRmT1_PNSt15iterator_traitsISY_E10value_typeET2_T3_PNSZ_IS14_E10value_typeET4_jRbjT5_S1A_jjP12ihipStream_tbEUljE_EEESV_SW_SX_S14_S18_S1A_T6_T7_T9_mT8_S1C_bDpT10_ENKUlT_T0_E_clISt17integral_constantIbLb1EES1P_EEDaS1K_S1L_EUlS1K_E_NS1_11comp_targetILNS1_3genE2ELNS1_11target_archE906ELNS1_3gpuE6ELNS1_3repE0EEENS1_30default_config_static_selectorELNS0_4arch9wavefront6targetE1EEEvSY_, .Lfunc_end477-_ZN7rocprim17ROCPRIM_400000_NS6detail17trampoline_kernelINS0_13select_configILj256ELj13ELNS0_17block_load_methodE3ELS4_3ELS4_3ELNS0_20block_scan_algorithmE0ELj4294967295EEENS1_25partition_config_selectorILNS1_17partition_subalgoE3EjNS0_10empty_typeEbEEZZNS1_14partition_implILS8_3ELb0ES6_jNS0_17counting_iteratorIjlEEPS9_SE_NS0_5tupleIJPjSE_EEENSF_IJSE_SE_EEES9_SG_JZNS1_25segmented_radix_sort_implINS0_14default_configELb1EPKiPiPKlPlN2at6native12_GLOBAL__N_18offset_tEEE10hipError_tPvRmT1_PNSt15iterator_traitsISY_E10value_typeET2_T3_PNSZ_IS14_E10value_typeET4_jRbjT5_S1A_jjP12ihipStream_tbEUljE_EEESV_SW_SX_S14_S18_S1A_T6_T7_T9_mT8_S1C_bDpT10_ENKUlT_T0_E_clISt17integral_constantIbLb1EES1P_EEDaS1K_S1L_EUlS1K_E_NS1_11comp_targetILNS1_3genE2ELNS1_11target_archE906ELNS1_3gpuE6ELNS1_3repE0EEENS1_30default_config_static_selectorELNS0_4arch9wavefront6targetE1EEEvSY_
                                        ; -- End function
	.set _ZN7rocprim17ROCPRIM_400000_NS6detail17trampoline_kernelINS0_13select_configILj256ELj13ELNS0_17block_load_methodE3ELS4_3ELS4_3ELNS0_20block_scan_algorithmE0ELj4294967295EEENS1_25partition_config_selectorILNS1_17partition_subalgoE3EjNS0_10empty_typeEbEEZZNS1_14partition_implILS8_3ELb0ES6_jNS0_17counting_iteratorIjlEEPS9_SE_NS0_5tupleIJPjSE_EEENSF_IJSE_SE_EEES9_SG_JZNS1_25segmented_radix_sort_implINS0_14default_configELb1EPKiPiPKlPlN2at6native12_GLOBAL__N_18offset_tEEE10hipError_tPvRmT1_PNSt15iterator_traitsISY_E10value_typeET2_T3_PNSZ_IS14_E10value_typeET4_jRbjT5_S1A_jjP12ihipStream_tbEUljE_EEESV_SW_SX_S14_S18_S1A_T6_T7_T9_mT8_S1C_bDpT10_ENKUlT_T0_E_clISt17integral_constantIbLb1EES1P_EEDaS1K_S1L_EUlS1K_E_NS1_11comp_targetILNS1_3genE2ELNS1_11target_archE906ELNS1_3gpuE6ELNS1_3repE0EEENS1_30default_config_static_selectorELNS0_4arch9wavefront6targetE1EEEvSY_.num_vgpr, 0
	.set _ZN7rocprim17ROCPRIM_400000_NS6detail17trampoline_kernelINS0_13select_configILj256ELj13ELNS0_17block_load_methodE3ELS4_3ELS4_3ELNS0_20block_scan_algorithmE0ELj4294967295EEENS1_25partition_config_selectorILNS1_17partition_subalgoE3EjNS0_10empty_typeEbEEZZNS1_14partition_implILS8_3ELb0ES6_jNS0_17counting_iteratorIjlEEPS9_SE_NS0_5tupleIJPjSE_EEENSF_IJSE_SE_EEES9_SG_JZNS1_25segmented_radix_sort_implINS0_14default_configELb1EPKiPiPKlPlN2at6native12_GLOBAL__N_18offset_tEEE10hipError_tPvRmT1_PNSt15iterator_traitsISY_E10value_typeET2_T3_PNSZ_IS14_E10value_typeET4_jRbjT5_S1A_jjP12ihipStream_tbEUljE_EEESV_SW_SX_S14_S18_S1A_T6_T7_T9_mT8_S1C_bDpT10_ENKUlT_T0_E_clISt17integral_constantIbLb1EES1P_EEDaS1K_S1L_EUlS1K_E_NS1_11comp_targetILNS1_3genE2ELNS1_11target_archE906ELNS1_3gpuE6ELNS1_3repE0EEENS1_30default_config_static_selectorELNS0_4arch9wavefront6targetE1EEEvSY_.num_agpr, 0
	.set _ZN7rocprim17ROCPRIM_400000_NS6detail17trampoline_kernelINS0_13select_configILj256ELj13ELNS0_17block_load_methodE3ELS4_3ELS4_3ELNS0_20block_scan_algorithmE0ELj4294967295EEENS1_25partition_config_selectorILNS1_17partition_subalgoE3EjNS0_10empty_typeEbEEZZNS1_14partition_implILS8_3ELb0ES6_jNS0_17counting_iteratorIjlEEPS9_SE_NS0_5tupleIJPjSE_EEENSF_IJSE_SE_EEES9_SG_JZNS1_25segmented_radix_sort_implINS0_14default_configELb1EPKiPiPKlPlN2at6native12_GLOBAL__N_18offset_tEEE10hipError_tPvRmT1_PNSt15iterator_traitsISY_E10value_typeET2_T3_PNSZ_IS14_E10value_typeET4_jRbjT5_S1A_jjP12ihipStream_tbEUljE_EEESV_SW_SX_S14_S18_S1A_T6_T7_T9_mT8_S1C_bDpT10_ENKUlT_T0_E_clISt17integral_constantIbLb1EES1P_EEDaS1K_S1L_EUlS1K_E_NS1_11comp_targetILNS1_3genE2ELNS1_11target_archE906ELNS1_3gpuE6ELNS1_3repE0EEENS1_30default_config_static_selectorELNS0_4arch9wavefront6targetE1EEEvSY_.numbered_sgpr, 0
	.set _ZN7rocprim17ROCPRIM_400000_NS6detail17trampoline_kernelINS0_13select_configILj256ELj13ELNS0_17block_load_methodE3ELS4_3ELS4_3ELNS0_20block_scan_algorithmE0ELj4294967295EEENS1_25partition_config_selectorILNS1_17partition_subalgoE3EjNS0_10empty_typeEbEEZZNS1_14partition_implILS8_3ELb0ES6_jNS0_17counting_iteratorIjlEEPS9_SE_NS0_5tupleIJPjSE_EEENSF_IJSE_SE_EEES9_SG_JZNS1_25segmented_radix_sort_implINS0_14default_configELb1EPKiPiPKlPlN2at6native12_GLOBAL__N_18offset_tEEE10hipError_tPvRmT1_PNSt15iterator_traitsISY_E10value_typeET2_T3_PNSZ_IS14_E10value_typeET4_jRbjT5_S1A_jjP12ihipStream_tbEUljE_EEESV_SW_SX_S14_S18_S1A_T6_T7_T9_mT8_S1C_bDpT10_ENKUlT_T0_E_clISt17integral_constantIbLb1EES1P_EEDaS1K_S1L_EUlS1K_E_NS1_11comp_targetILNS1_3genE2ELNS1_11target_archE906ELNS1_3gpuE6ELNS1_3repE0EEENS1_30default_config_static_selectorELNS0_4arch9wavefront6targetE1EEEvSY_.num_named_barrier, 0
	.set _ZN7rocprim17ROCPRIM_400000_NS6detail17trampoline_kernelINS0_13select_configILj256ELj13ELNS0_17block_load_methodE3ELS4_3ELS4_3ELNS0_20block_scan_algorithmE0ELj4294967295EEENS1_25partition_config_selectorILNS1_17partition_subalgoE3EjNS0_10empty_typeEbEEZZNS1_14partition_implILS8_3ELb0ES6_jNS0_17counting_iteratorIjlEEPS9_SE_NS0_5tupleIJPjSE_EEENSF_IJSE_SE_EEES9_SG_JZNS1_25segmented_radix_sort_implINS0_14default_configELb1EPKiPiPKlPlN2at6native12_GLOBAL__N_18offset_tEEE10hipError_tPvRmT1_PNSt15iterator_traitsISY_E10value_typeET2_T3_PNSZ_IS14_E10value_typeET4_jRbjT5_S1A_jjP12ihipStream_tbEUljE_EEESV_SW_SX_S14_S18_S1A_T6_T7_T9_mT8_S1C_bDpT10_ENKUlT_T0_E_clISt17integral_constantIbLb1EES1P_EEDaS1K_S1L_EUlS1K_E_NS1_11comp_targetILNS1_3genE2ELNS1_11target_archE906ELNS1_3gpuE6ELNS1_3repE0EEENS1_30default_config_static_selectorELNS0_4arch9wavefront6targetE1EEEvSY_.private_seg_size, 0
	.set _ZN7rocprim17ROCPRIM_400000_NS6detail17trampoline_kernelINS0_13select_configILj256ELj13ELNS0_17block_load_methodE3ELS4_3ELS4_3ELNS0_20block_scan_algorithmE0ELj4294967295EEENS1_25partition_config_selectorILNS1_17partition_subalgoE3EjNS0_10empty_typeEbEEZZNS1_14partition_implILS8_3ELb0ES6_jNS0_17counting_iteratorIjlEEPS9_SE_NS0_5tupleIJPjSE_EEENSF_IJSE_SE_EEES9_SG_JZNS1_25segmented_radix_sort_implINS0_14default_configELb1EPKiPiPKlPlN2at6native12_GLOBAL__N_18offset_tEEE10hipError_tPvRmT1_PNSt15iterator_traitsISY_E10value_typeET2_T3_PNSZ_IS14_E10value_typeET4_jRbjT5_S1A_jjP12ihipStream_tbEUljE_EEESV_SW_SX_S14_S18_S1A_T6_T7_T9_mT8_S1C_bDpT10_ENKUlT_T0_E_clISt17integral_constantIbLb1EES1P_EEDaS1K_S1L_EUlS1K_E_NS1_11comp_targetILNS1_3genE2ELNS1_11target_archE906ELNS1_3gpuE6ELNS1_3repE0EEENS1_30default_config_static_selectorELNS0_4arch9wavefront6targetE1EEEvSY_.uses_vcc, 0
	.set _ZN7rocprim17ROCPRIM_400000_NS6detail17trampoline_kernelINS0_13select_configILj256ELj13ELNS0_17block_load_methodE3ELS4_3ELS4_3ELNS0_20block_scan_algorithmE0ELj4294967295EEENS1_25partition_config_selectorILNS1_17partition_subalgoE3EjNS0_10empty_typeEbEEZZNS1_14partition_implILS8_3ELb0ES6_jNS0_17counting_iteratorIjlEEPS9_SE_NS0_5tupleIJPjSE_EEENSF_IJSE_SE_EEES9_SG_JZNS1_25segmented_radix_sort_implINS0_14default_configELb1EPKiPiPKlPlN2at6native12_GLOBAL__N_18offset_tEEE10hipError_tPvRmT1_PNSt15iterator_traitsISY_E10value_typeET2_T3_PNSZ_IS14_E10value_typeET4_jRbjT5_S1A_jjP12ihipStream_tbEUljE_EEESV_SW_SX_S14_S18_S1A_T6_T7_T9_mT8_S1C_bDpT10_ENKUlT_T0_E_clISt17integral_constantIbLb1EES1P_EEDaS1K_S1L_EUlS1K_E_NS1_11comp_targetILNS1_3genE2ELNS1_11target_archE906ELNS1_3gpuE6ELNS1_3repE0EEENS1_30default_config_static_selectorELNS0_4arch9wavefront6targetE1EEEvSY_.uses_flat_scratch, 0
	.set _ZN7rocprim17ROCPRIM_400000_NS6detail17trampoline_kernelINS0_13select_configILj256ELj13ELNS0_17block_load_methodE3ELS4_3ELS4_3ELNS0_20block_scan_algorithmE0ELj4294967295EEENS1_25partition_config_selectorILNS1_17partition_subalgoE3EjNS0_10empty_typeEbEEZZNS1_14partition_implILS8_3ELb0ES6_jNS0_17counting_iteratorIjlEEPS9_SE_NS0_5tupleIJPjSE_EEENSF_IJSE_SE_EEES9_SG_JZNS1_25segmented_radix_sort_implINS0_14default_configELb1EPKiPiPKlPlN2at6native12_GLOBAL__N_18offset_tEEE10hipError_tPvRmT1_PNSt15iterator_traitsISY_E10value_typeET2_T3_PNSZ_IS14_E10value_typeET4_jRbjT5_S1A_jjP12ihipStream_tbEUljE_EEESV_SW_SX_S14_S18_S1A_T6_T7_T9_mT8_S1C_bDpT10_ENKUlT_T0_E_clISt17integral_constantIbLb1EES1P_EEDaS1K_S1L_EUlS1K_E_NS1_11comp_targetILNS1_3genE2ELNS1_11target_archE906ELNS1_3gpuE6ELNS1_3repE0EEENS1_30default_config_static_selectorELNS0_4arch9wavefront6targetE1EEEvSY_.has_dyn_sized_stack, 0
	.set _ZN7rocprim17ROCPRIM_400000_NS6detail17trampoline_kernelINS0_13select_configILj256ELj13ELNS0_17block_load_methodE3ELS4_3ELS4_3ELNS0_20block_scan_algorithmE0ELj4294967295EEENS1_25partition_config_selectorILNS1_17partition_subalgoE3EjNS0_10empty_typeEbEEZZNS1_14partition_implILS8_3ELb0ES6_jNS0_17counting_iteratorIjlEEPS9_SE_NS0_5tupleIJPjSE_EEENSF_IJSE_SE_EEES9_SG_JZNS1_25segmented_radix_sort_implINS0_14default_configELb1EPKiPiPKlPlN2at6native12_GLOBAL__N_18offset_tEEE10hipError_tPvRmT1_PNSt15iterator_traitsISY_E10value_typeET2_T3_PNSZ_IS14_E10value_typeET4_jRbjT5_S1A_jjP12ihipStream_tbEUljE_EEESV_SW_SX_S14_S18_S1A_T6_T7_T9_mT8_S1C_bDpT10_ENKUlT_T0_E_clISt17integral_constantIbLb1EES1P_EEDaS1K_S1L_EUlS1K_E_NS1_11comp_targetILNS1_3genE2ELNS1_11target_archE906ELNS1_3gpuE6ELNS1_3repE0EEENS1_30default_config_static_selectorELNS0_4arch9wavefront6targetE1EEEvSY_.has_recursion, 0
	.set _ZN7rocprim17ROCPRIM_400000_NS6detail17trampoline_kernelINS0_13select_configILj256ELj13ELNS0_17block_load_methodE3ELS4_3ELS4_3ELNS0_20block_scan_algorithmE0ELj4294967295EEENS1_25partition_config_selectorILNS1_17partition_subalgoE3EjNS0_10empty_typeEbEEZZNS1_14partition_implILS8_3ELb0ES6_jNS0_17counting_iteratorIjlEEPS9_SE_NS0_5tupleIJPjSE_EEENSF_IJSE_SE_EEES9_SG_JZNS1_25segmented_radix_sort_implINS0_14default_configELb1EPKiPiPKlPlN2at6native12_GLOBAL__N_18offset_tEEE10hipError_tPvRmT1_PNSt15iterator_traitsISY_E10value_typeET2_T3_PNSZ_IS14_E10value_typeET4_jRbjT5_S1A_jjP12ihipStream_tbEUljE_EEESV_SW_SX_S14_S18_S1A_T6_T7_T9_mT8_S1C_bDpT10_ENKUlT_T0_E_clISt17integral_constantIbLb1EES1P_EEDaS1K_S1L_EUlS1K_E_NS1_11comp_targetILNS1_3genE2ELNS1_11target_archE906ELNS1_3gpuE6ELNS1_3repE0EEENS1_30default_config_static_selectorELNS0_4arch9wavefront6targetE1EEEvSY_.has_indirect_call, 0
	.section	.AMDGPU.csdata,"",@progbits
; Kernel info:
; codeLenInByte = 4
; TotalNumSgprs: 4
; NumVgprs: 0
; ScratchSize: 0
; MemoryBound: 0
; FloatMode: 240
; IeeeMode: 1
; LDSByteSize: 0 bytes/workgroup (compile time only)
; SGPRBlocks: 0
; VGPRBlocks: 0
; NumSGPRsForWavesPerEU: 4
; NumVGPRsForWavesPerEU: 1
; Occupancy: 10
; WaveLimiterHint : 0
; COMPUTE_PGM_RSRC2:SCRATCH_EN: 0
; COMPUTE_PGM_RSRC2:USER_SGPR: 6
; COMPUTE_PGM_RSRC2:TRAP_HANDLER: 0
; COMPUTE_PGM_RSRC2:TGID_X_EN: 1
; COMPUTE_PGM_RSRC2:TGID_Y_EN: 0
; COMPUTE_PGM_RSRC2:TGID_Z_EN: 0
; COMPUTE_PGM_RSRC2:TIDIG_COMP_CNT: 0
	.section	.text._ZN7rocprim17ROCPRIM_400000_NS6detail17trampoline_kernelINS0_13select_configILj256ELj13ELNS0_17block_load_methodE3ELS4_3ELS4_3ELNS0_20block_scan_algorithmE0ELj4294967295EEENS1_25partition_config_selectorILNS1_17partition_subalgoE3EjNS0_10empty_typeEbEEZZNS1_14partition_implILS8_3ELb0ES6_jNS0_17counting_iteratorIjlEEPS9_SE_NS0_5tupleIJPjSE_EEENSF_IJSE_SE_EEES9_SG_JZNS1_25segmented_radix_sort_implINS0_14default_configELb1EPKiPiPKlPlN2at6native12_GLOBAL__N_18offset_tEEE10hipError_tPvRmT1_PNSt15iterator_traitsISY_E10value_typeET2_T3_PNSZ_IS14_E10value_typeET4_jRbjT5_S1A_jjP12ihipStream_tbEUljE_EEESV_SW_SX_S14_S18_S1A_T6_T7_T9_mT8_S1C_bDpT10_ENKUlT_T0_E_clISt17integral_constantIbLb1EES1P_EEDaS1K_S1L_EUlS1K_E_NS1_11comp_targetILNS1_3genE10ELNS1_11target_archE1200ELNS1_3gpuE4ELNS1_3repE0EEENS1_30default_config_static_selectorELNS0_4arch9wavefront6targetE1EEEvSY_,"axG",@progbits,_ZN7rocprim17ROCPRIM_400000_NS6detail17trampoline_kernelINS0_13select_configILj256ELj13ELNS0_17block_load_methodE3ELS4_3ELS4_3ELNS0_20block_scan_algorithmE0ELj4294967295EEENS1_25partition_config_selectorILNS1_17partition_subalgoE3EjNS0_10empty_typeEbEEZZNS1_14partition_implILS8_3ELb0ES6_jNS0_17counting_iteratorIjlEEPS9_SE_NS0_5tupleIJPjSE_EEENSF_IJSE_SE_EEES9_SG_JZNS1_25segmented_radix_sort_implINS0_14default_configELb1EPKiPiPKlPlN2at6native12_GLOBAL__N_18offset_tEEE10hipError_tPvRmT1_PNSt15iterator_traitsISY_E10value_typeET2_T3_PNSZ_IS14_E10value_typeET4_jRbjT5_S1A_jjP12ihipStream_tbEUljE_EEESV_SW_SX_S14_S18_S1A_T6_T7_T9_mT8_S1C_bDpT10_ENKUlT_T0_E_clISt17integral_constantIbLb1EES1P_EEDaS1K_S1L_EUlS1K_E_NS1_11comp_targetILNS1_3genE10ELNS1_11target_archE1200ELNS1_3gpuE4ELNS1_3repE0EEENS1_30default_config_static_selectorELNS0_4arch9wavefront6targetE1EEEvSY_,comdat
	.globl	_ZN7rocprim17ROCPRIM_400000_NS6detail17trampoline_kernelINS0_13select_configILj256ELj13ELNS0_17block_load_methodE3ELS4_3ELS4_3ELNS0_20block_scan_algorithmE0ELj4294967295EEENS1_25partition_config_selectorILNS1_17partition_subalgoE3EjNS0_10empty_typeEbEEZZNS1_14partition_implILS8_3ELb0ES6_jNS0_17counting_iteratorIjlEEPS9_SE_NS0_5tupleIJPjSE_EEENSF_IJSE_SE_EEES9_SG_JZNS1_25segmented_radix_sort_implINS0_14default_configELb1EPKiPiPKlPlN2at6native12_GLOBAL__N_18offset_tEEE10hipError_tPvRmT1_PNSt15iterator_traitsISY_E10value_typeET2_T3_PNSZ_IS14_E10value_typeET4_jRbjT5_S1A_jjP12ihipStream_tbEUljE_EEESV_SW_SX_S14_S18_S1A_T6_T7_T9_mT8_S1C_bDpT10_ENKUlT_T0_E_clISt17integral_constantIbLb1EES1P_EEDaS1K_S1L_EUlS1K_E_NS1_11comp_targetILNS1_3genE10ELNS1_11target_archE1200ELNS1_3gpuE4ELNS1_3repE0EEENS1_30default_config_static_selectorELNS0_4arch9wavefront6targetE1EEEvSY_ ; -- Begin function _ZN7rocprim17ROCPRIM_400000_NS6detail17trampoline_kernelINS0_13select_configILj256ELj13ELNS0_17block_load_methodE3ELS4_3ELS4_3ELNS0_20block_scan_algorithmE0ELj4294967295EEENS1_25partition_config_selectorILNS1_17partition_subalgoE3EjNS0_10empty_typeEbEEZZNS1_14partition_implILS8_3ELb0ES6_jNS0_17counting_iteratorIjlEEPS9_SE_NS0_5tupleIJPjSE_EEENSF_IJSE_SE_EEES9_SG_JZNS1_25segmented_radix_sort_implINS0_14default_configELb1EPKiPiPKlPlN2at6native12_GLOBAL__N_18offset_tEEE10hipError_tPvRmT1_PNSt15iterator_traitsISY_E10value_typeET2_T3_PNSZ_IS14_E10value_typeET4_jRbjT5_S1A_jjP12ihipStream_tbEUljE_EEESV_SW_SX_S14_S18_S1A_T6_T7_T9_mT8_S1C_bDpT10_ENKUlT_T0_E_clISt17integral_constantIbLb1EES1P_EEDaS1K_S1L_EUlS1K_E_NS1_11comp_targetILNS1_3genE10ELNS1_11target_archE1200ELNS1_3gpuE4ELNS1_3repE0EEENS1_30default_config_static_selectorELNS0_4arch9wavefront6targetE1EEEvSY_
	.p2align	8
	.type	_ZN7rocprim17ROCPRIM_400000_NS6detail17trampoline_kernelINS0_13select_configILj256ELj13ELNS0_17block_load_methodE3ELS4_3ELS4_3ELNS0_20block_scan_algorithmE0ELj4294967295EEENS1_25partition_config_selectorILNS1_17partition_subalgoE3EjNS0_10empty_typeEbEEZZNS1_14partition_implILS8_3ELb0ES6_jNS0_17counting_iteratorIjlEEPS9_SE_NS0_5tupleIJPjSE_EEENSF_IJSE_SE_EEES9_SG_JZNS1_25segmented_radix_sort_implINS0_14default_configELb1EPKiPiPKlPlN2at6native12_GLOBAL__N_18offset_tEEE10hipError_tPvRmT1_PNSt15iterator_traitsISY_E10value_typeET2_T3_PNSZ_IS14_E10value_typeET4_jRbjT5_S1A_jjP12ihipStream_tbEUljE_EEESV_SW_SX_S14_S18_S1A_T6_T7_T9_mT8_S1C_bDpT10_ENKUlT_T0_E_clISt17integral_constantIbLb1EES1P_EEDaS1K_S1L_EUlS1K_E_NS1_11comp_targetILNS1_3genE10ELNS1_11target_archE1200ELNS1_3gpuE4ELNS1_3repE0EEENS1_30default_config_static_selectorELNS0_4arch9wavefront6targetE1EEEvSY_,@function
_ZN7rocprim17ROCPRIM_400000_NS6detail17trampoline_kernelINS0_13select_configILj256ELj13ELNS0_17block_load_methodE3ELS4_3ELS4_3ELNS0_20block_scan_algorithmE0ELj4294967295EEENS1_25partition_config_selectorILNS1_17partition_subalgoE3EjNS0_10empty_typeEbEEZZNS1_14partition_implILS8_3ELb0ES6_jNS0_17counting_iteratorIjlEEPS9_SE_NS0_5tupleIJPjSE_EEENSF_IJSE_SE_EEES9_SG_JZNS1_25segmented_radix_sort_implINS0_14default_configELb1EPKiPiPKlPlN2at6native12_GLOBAL__N_18offset_tEEE10hipError_tPvRmT1_PNSt15iterator_traitsISY_E10value_typeET2_T3_PNSZ_IS14_E10value_typeET4_jRbjT5_S1A_jjP12ihipStream_tbEUljE_EEESV_SW_SX_S14_S18_S1A_T6_T7_T9_mT8_S1C_bDpT10_ENKUlT_T0_E_clISt17integral_constantIbLb1EES1P_EEDaS1K_S1L_EUlS1K_E_NS1_11comp_targetILNS1_3genE10ELNS1_11target_archE1200ELNS1_3gpuE4ELNS1_3repE0EEENS1_30default_config_static_selectorELNS0_4arch9wavefront6targetE1EEEvSY_: ; @_ZN7rocprim17ROCPRIM_400000_NS6detail17trampoline_kernelINS0_13select_configILj256ELj13ELNS0_17block_load_methodE3ELS4_3ELS4_3ELNS0_20block_scan_algorithmE0ELj4294967295EEENS1_25partition_config_selectorILNS1_17partition_subalgoE3EjNS0_10empty_typeEbEEZZNS1_14partition_implILS8_3ELb0ES6_jNS0_17counting_iteratorIjlEEPS9_SE_NS0_5tupleIJPjSE_EEENSF_IJSE_SE_EEES9_SG_JZNS1_25segmented_radix_sort_implINS0_14default_configELb1EPKiPiPKlPlN2at6native12_GLOBAL__N_18offset_tEEE10hipError_tPvRmT1_PNSt15iterator_traitsISY_E10value_typeET2_T3_PNSZ_IS14_E10value_typeET4_jRbjT5_S1A_jjP12ihipStream_tbEUljE_EEESV_SW_SX_S14_S18_S1A_T6_T7_T9_mT8_S1C_bDpT10_ENKUlT_T0_E_clISt17integral_constantIbLb1EES1P_EEDaS1K_S1L_EUlS1K_E_NS1_11comp_targetILNS1_3genE10ELNS1_11target_archE1200ELNS1_3gpuE4ELNS1_3repE0EEENS1_30default_config_static_selectorELNS0_4arch9wavefront6targetE1EEEvSY_
; %bb.0:
	.section	.rodata,"a",@progbits
	.p2align	6, 0x0
	.amdhsa_kernel _ZN7rocprim17ROCPRIM_400000_NS6detail17trampoline_kernelINS0_13select_configILj256ELj13ELNS0_17block_load_methodE3ELS4_3ELS4_3ELNS0_20block_scan_algorithmE0ELj4294967295EEENS1_25partition_config_selectorILNS1_17partition_subalgoE3EjNS0_10empty_typeEbEEZZNS1_14partition_implILS8_3ELb0ES6_jNS0_17counting_iteratorIjlEEPS9_SE_NS0_5tupleIJPjSE_EEENSF_IJSE_SE_EEES9_SG_JZNS1_25segmented_radix_sort_implINS0_14default_configELb1EPKiPiPKlPlN2at6native12_GLOBAL__N_18offset_tEEE10hipError_tPvRmT1_PNSt15iterator_traitsISY_E10value_typeET2_T3_PNSZ_IS14_E10value_typeET4_jRbjT5_S1A_jjP12ihipStream_tbEUljE_EEESV_SW_SX_S14_S18_S1A_T6_T7_T9_mT8_S1C_bDpT10_ENKUlT_T0_E_clISt17integral_constantIbLb1EES1P_EEDaS1K_S1L_EUlS1K_E_NS1_11comp_targetILNS1_3genE10ELNS1_11target_archE1200ELNS1_3gpuE4ELNS1_3repE0EEENS1_30default_config_static_selectorELNS0_4arch9wavefront6targetE1EEEvSY_
		.amdhsa_group_segment_fixed_size 0
		.amdhsa_private_segment_fixed_size 0
		.amdhsa_kernarg_size 152
		.amdhsa_user_sgpr_count 6
		.amdhsa_user_sgpr_private_segment_buffer 1
		.amdhsa_user_sgpr_dispatch_ptr 0
		.amdhsa_user_sgpr_queue_ptr 0
		.amdhsa_user_sgpr_kernarg_segment_ptr 1
		.amdhsa_user_sgpr_dispatch_id 0
		.amdhsa_user_sgpr_flat_scratch_init 0
		.amdhsa_user_sgpr_private_segment_size 0
		.amdhsa_uses_dynamic_stack 0
		.amdhsa_system_sgpr_private_segment_wavefront_offset 0
		.amdhsa_system_sgpr_workgroup_id_x 1
		.amdhsa_system_sgpr_workgroup_id_y 0
		.amdhsa_system_sgpr_workgroup_id_z 0
		.amdhsa_system_sgpr_workgroup_info 0
		.amdhsa_system_vgpr_workitem_id 0
		.amdhsa_next_free_vgpr 1
		.amdhsa_next_free_sgpr 0
		.amdhsa_reserve_vcc 0
		.amdhsa_reserve_flat_scratch 0
		.amdhsa_float_round_mode_32 0
		.amdhsa_float_round_mode_16_64 0
		.amdhsa_float_denorm_mode_32 3
		.amdhsa_float_denorm_mode_16_64 3
		.amdhsa_dx10_clamp 1
		.amdhsa_ieee_mode 1
		.amdhsa_fp16_overflow 0
		.amdhsa_exception_fp_ieee_invalid_op 0
		.amdhsa_exception_fp_denorm_src 0
		.amdhsa_exception_fp_ieee_div_zero 0
		.amdhsa_exception_fp_ieee_overflow 0
		.amdhsa_exception_fp_ieee_underflow 0
		.amdhsa_exception_fp_ieee_inexact 0
		.amdhsa_exception_int_div_zero 0
	.end_amdhsa_kernel
	.section	.text._ZN7rocprim17ROCPRIM_400000_NS6detail17trampoline_kernelINS0_13select_configILj256ELj13ELNS0_17block_load_methodE3ELS4_3ELS4_3ELNS0_20block_scan_algorithmE0ELj4294967295EEENS1_25partition_config_selectorILNS1_17partition_subalgoE3EjNS0_10empty_typeEbEEZZNS1_14partition_implILS8_3ELb0ES6_jNS0_17counting_iteratorIjlEEPS9_SE_NS0_5tupleIJPjSE_EEENSF_IJSE_SE_EEES9_SG_JZNS1_25segmented_radix_sort_implINS0_14default_configELb1EPKiPiPKlPlN2at6native12_GLOBAL__N_18offset_tEEE10hipError_tPvRmT1_PNSt15iterator_traitsISY_E10value_typeET2_T3_PNSZ_IS14_E10value_typeET4_jRbjT5_S1A_jjP12ihipStream_tbEUljE_EEESV_SW_SX_S14_S18_S1A_T6_T7_T9_mT8_S1C_bDpT10_ENKUlT_T0_E_clISt17integral_constantIbLb1EES1P_EEDaS1K_S1L_EUlS1K_E_NS1_11comp_targetILNS1_3genE10ELNS1_11target_archE1200ELNS1_3gpuE4ELNS1_3repE0EEENS1_30default_config_static_selectorELNS0_4arch9wavefront6targetE1EEEvSY_,"axG",@progbits,_ZN7rocprim17ROCPRIM_400000_NS6detail17trampoline_kernelINS0_13select_configILj256ELj13ELNS0_17block_load_methodE3ELS4_3ELS4_3ELNS0_20block_scan_algorithmE0ELj4294967295EEENS1_25partition_config_selectorILNS1_17partition_subalgoE3EjNS0_10empty_typeEbEEZZNS1_14partition_implILS8_3ELb0ES6_jNS0_17counting_iteratorIjlEEPS9_SE_NS0_5tupleIJPjSE_EEENSF_IJSE_SE_EEES9_SG_JZNS1_25segmented_radix_sort_implINS0_14default_configELb1EPKiPiPKlPlN2at6native12_GLOBAL__N_18offset_tEEE10hipError_tPvRmT1_PNSt15iterator_traitsISY_E10value_typeET2_T3_PNSZ_IS14_E10value_typeET4_jRbjT5_S1A_jjP12ihipStream_tbEUljE_EEESV_SW_SX_S14_S18_S1A_T6_T7_T9_mT8_S1C_bDpT10_ENKUlT_T0_E_clISt17integral_constantIbLb1EES1P_EEDaS1K_S1L_EUlS1K_E_NS1_11comp_targetILNS1_3genE10ELNS1_11target_archE1200ELNS1_3gpuE4ELNS1_3repE0EEENS1_30default_config_static_selectorELNS0_4arch9wavefront6targetE1EEEvSY_,comdat
.Lfunc_end478:
	.size	_ZN7rocprim17ROCPRIM_400000_NS6detail17trampoline_kernelINS0_13select_configILj256ELj13ELNS0_17block_load_methodE3ELS4_3ELS4_3ELNS0_20block_scan_algorithmE0ELj4294967295EEENS1_25partition_config_selectorILNS1_17partition_subalgoE3EjNS0_10empty_typeEbEEZZNS1_14partition_implILS8_3ELb0ES6_jNS0_17counting_iteratorIjlEEPS9_SE_NS0_5tupleIJPjSE_EEENSF_IJSE_SE_EEES9_SG_JZNS1_25segmented_radix_sort_implINS0_14default_configELb1EPKiPiPKlPlN2at6native12_GLOBAL__N_18offset_tEEE10hipError_tPvRmT1_PNSt15iterator_traitsISY_E10value_typeET2_T3_PNSZ_IS14_E10value_typeET4_jRbjT5_S1A_jjP12ihipStream_tbEUljE_EEESV_SW_SX_S14_S18_S1A_T6_T7_T9_mT8_S1C_bDpT10_ENKUlT_T0_E_clISt17integral_constantIbLb1EES1P_EEDaS1K_S1L_EUlS1K_E_NS1_11comp_targetILNS1_3genE10ELNS1_11target_archE1200ELNS1_3gpuE4ELNS1_3repE0EEENS1_30default_config_static_selectorELNS0_4arch9wavefront6targetE1EEEvSY_, .Lfunc_end478-_ZN7rocprim17ROCPRIM_400000_NS6detail17trampoline_kernelINS0_13select_configILj256ELj13ELNS0_17block_load_methodE3ELS4_3ELS4_3ELNS0_20block_scan_algorithmE0ELj4294967295EEENS1_25partition_config_selectorILNS1_17partition_subalgoE3EjNS0_10empty_typeEbEEZZNS1_14partition_implILS8_3ELb0ES6_jNS0_17counting_iteratorIjlEEPS9_SE_NS0_5tupleIJPjSE_EEENSF_IJSE_SE_EEES9_SG_JZNS1_25segmented_radix_sort_implINS0_14default_configELb1EPKiPiPKlPlN2at6native12_GLOBAL__N_18offset_tEEE10hipError_tPvRmT1_PNSt15iterator_traitsISY_E10value_typeET2_T3_PNSZ_IS14_E10value_typeET4_jRbjT5_S1A_jjP12ihipStream_tbEUljE_EEESV_SW_SX_S14_S18_S1A_T6_T7_T9_mT8_S1C_bDpT10_ENKUlT_T0_E_clISt17integral_constantIbLb1EES1P_EEDaS1K_S1L_EUlS1K_E_NS1_11comp_targetILNS1_3genE10ELNS1_11target_archE1200ELNS1_3gpuE4ELNS1_3repE0EEENS1_30default_config_static_selectorELNS0_4arch9wavefront6targetE1EEEvSY_
                                        ; -- End function
	.set _ZN7rocprim17ROCPRIM_400000_NS6detail17trampoline_kernelINS0_13select_configILj256ELj13ELNS0_17block_load_methodE3ELS4_3ELS4_3ELNS0_20block_scan_algorithmE0ELj4294967295EEENS1_25partition_config_selectorILNS1_17partition_subalgoE3EjNS0_10empty_typeEbEEZZNS1_14partition_implILS8_3ELb0ES6_jNS0_17counting_iteratorIjlEEPS9_SE_NS0_5tupleIJPjSE_EEENSF_IJSE_SE_EEES9_SG_JZNS1_25segmented_radix_sort_implINS0_14default_configELb1EPKiPiPKlPlN2at6native12_GLOBAL__N_18offset_tEEE10hipError_tPvRmT1_PNSt15iterator_traitsISY_E10value_typeET2_T3_PNSZ_IS14_E10value_typeET4_jRbjT5_S1A_jjP12ihipStream_tbEUljE_EEESV_SW_SX_S14_S18_S1A_T6_T7_T9_mT8_S1C_bDpT10_ENKUlT_T0_E_clISt17integral_constantIbLb1EES1P_EEDaS1K_S1L_EUlS1K_E_NS1_11comp_targetILNS1_3genE10ELNS1_11target_archE1200ELNS1_3gpuE4ELNS1_3repE0EEENS1_30default_config_static_selectorELNS0_4arch9wavefront6targetE1EEEvSY_.num_vgpr, 0
	.set _ZN7rocprim17ROCPRIM_400000_NS6detail17trampoline_kernelINS0_13select_configILj256ELj13ELNS0_17block_load_methodE3ELS4_3ELS4_3ELNS0_20block_scan_algorithmE0ELj4294967295EEENS1_25partition_config_selectorILNS1_17partition_subalgoE3EjNS0_10empty_typeEbEEZZNS1_14partition_implILS8_3ELb0ES6_jNS0_17counting_iteratorIjlEEPS9_SE_NS0_5tupleIJPjSE_EEENSF_IJSE_SE_EEES9_SG_JZNS1_25segmented_radix_sort_implINS0_14default_configELb1EPKiPiPKlPlN2at6native12_GLOBAL__N_18offset_tEEE10hipError_tPvRmT1_PNSt15iterator_traitsISY_E10value_typeET2_T3_PNSZ_IS14_E10value_typeET4_jRbjT5_S1A_jjP12ihipStream_tbEUljE_EEESV_SW_SX_S14_S18_S1A_T6_T7_T9_mT8_S1C_bDpT10_ENKUlT_T0_E_clISt17integral_constantIbLb1EES1P_EEDaS1K_S1L_EUlS1K_E_NS1_11comp_targetILNS1_3genE10ELNS1_11target_archE1200ELNS1_3gpuE4ELNS1_3repE0EEENS1_30default_config_static_selectorELNS0_4arch9wavefront6targetE1EEEvSY_.num_agpr, 0
	.set _ZN7rocprim17ROCPRIM_400000_NS6detail17trampoline_kernelINS0_13select_configILj256ELj13ELNS0_17block_load_methodE3ELS4_3ELS4_3ELNS0_20block_scan_algorithmE0ELj4294967295EEENS1_25partition_config_selectorILNS1_17partition_subalgoE3EjNS0_10empty_typeEbEEZZNS1_14partition_implILS8_3ELb0ES6_jNS0_17counting_iteratorIjlEEPS9_SE_NS0_5tupleIJPjSE_EEENSF_IJSE_SE_EEES9_SG_JZNS1_25segmented_radix_sort_implINS0_14default_configELb1EPKiPiPKlPlN2at6native12_GLOBAL__N_18offset_tEEE10hipError_tPvRmT1_PNSt15iterator_traitsISY_E10value_typeET2_T3_PNSZ_IS14_E10value_typeET4_jRbjT5_S1A_jjP12ihipStream_tbEUljE_EEESV_SW_SX_S14_S18_S1A_T6_T7_T9_mT8_S1C_bDpT10_ENKUlT_T0_E_clISt17integral_constantIbLb1EES1P_EEDaS1K_S1L_EUlS1K_E_NS1_11comp_targetILNS1_3genE10ELNS1_11target_archE1200ELNS1_3gpuE4ELNS1_3repE0EEENS1_30default_config_static_selectorELNS0_4arch9wavefront6targetE1EEEvSY_.numbered_sgpr, 0
	.set _ZN7rocprim17ROCPRIM_400000_NS6detail17trampoline_kernelINS0_13select_configILj256ELj13ELNS0_17block_load_methodE3ELS4_3ELS4_3ELNS0_20block_scan_algorithmE0ELj4294967295EEENS1_25partition_config_selectorILNS1_17partition_subalgoE3EjNS0_10empty_typeEbEEZZNS1_14partition_implILS8_3ELb0ES6_jNS0_17counting_iteratorIjlEEPS9_SE_NS0_5tupleIJPjSE_EEENSF_IJSE_SE_EEES9_SG_JZNS1_25segmented_radix_sort_implINS0_14default_configELb1EPKiPiPKlPlN2at6native12_GLOBAL__N_18offset_tEEE10hipError_tPvRmT1_PNSt15iterator_traitsISY_E10value_typeET2_T3_PNSZ_IS14_E10value_typeET4_jRbjT5_S1A_jjP12ihipStream_tbEUljE_EEESV_SW_SX_S14_S18_S1A_T6_T7_T9_mT8_S1C_bDpT10_ENKUlT_T0_E_clISt17integral_constantIbLb1EES1P_EEDaS1K_S1L_EUlS1K_E_NS1_11comp_targetILNS1_3genE10ELNS1_11target_archE1200ELNS1_3gpuE4ELNS1_3repE0EEENS1_30default_config_static_selectorELNS0_4arch9wavefront6targetE1EEEvSY_.num_named_barrier, 0
	.set _ZN7rocprim17ROCPRIM_400000_NS6detail17trampoline_kernelINS0_13select_configILj256ELj13ELNS0_17block_load_methodE3ELS4_3ELS4_3ELNS0_20block_scan_algorithmE0ELj4294967295EEENS1_25partition_config_selectorILNS1_17partition_subalgoE3EjNS0_10empty_typeEbEEZZNS1_14partition_implILS8_3ELb0ES6_jNS0_17counting_iteratorIjlEEPS9_SE_NS0_5tupleIJPjSE_EEENSF_IJSE_SE_EEES9_SG_JZNS1_25segmented_radix_sort_implINS0_14default_configELb1EPKiPiPKlPlN2at6native12_GLOBAL__N_18offset_tEEE10hipError_tPvRmT1_PNSt15iterator_traitsISY_E10value_typeET2_T3_PNSZ_IS14_E10value_typeET4_jRbjT5_S1A_jjP12ihipStream_tbEUljE_EEESV_SW_SX_S14_S18_S1A_T6_T7_T9_mT8_S1C_bDpT10_ENKUlT_T0_E_clISt17integral_constantIbLb1EES1P_EEDaS1K_S1L_EUlS1K_E_NS1_11comp_targetILNS1_3genE10ELNS1_11target_archE1200ELNS1_3gpuE4ELNS1_3repE0EEENS1_30default_config_static_selectorELNS0_4arch9wavefront6targetE1EEEvSY_.private_seg_size, 0
	.set _ZN7rocprim17ROCPRIM_400000_NS6detail17trampoline_kernelINS0_13select_configILj256ELj13ELNS0_17block_load_methodE3ELS4_3ELS4_3ELNS0_20block_scan_algorithmE0ELj4294967295EEENS1_25partition_config_selectorILNS1_17partition_subalgoE3EjNS0_10empty_typeEbEEZZNS1_14partition_implILS8_3ELb0ES6_jNS0_17counting_iteratorIjlEEPS9_SE_NS0_5tupleIJPjSE_EEENSF_IJSE_SE_EEES9_SG_JZNS1_25segmented_radix_sort_implINS0_14default_configELb1EPKiPiPKlPlN2at6native12_GLOBAL__N_18offset_tEEE10hipError_tPvRmT1_PNSt15iterator_traitsISY_E10value_typeET2_T3_PNSZ_IS14_E10value_typeET4_jRbjT5_S1A_jjP12ihipStream_tbEUljE_EEESV_SW_SX_S14_S18_S1A_T6_T7_T9_mT8_S1C_bDpT10_ENKUlT_T0_E_clISt17integral_constantIbLb1EES1P_EEDaS1K_S1L_EUlS1K_E_NS1_11comp_targetILNS1_3genE10ELNS1_11target_archE1200ELNS1_3gpuE4ELNS1_3repE0EEENS1_30default_config_static_selectorELNS0_4arch9wavefront6targetE1EEEvSY_.uses_vcc, 0
	.set _ZN7rocprim17ROCPRIM_400000_NS6detail17trampoline_kernelINS0_13select_configILj256ELj13ELNS0_17block_load_methodE3ELS4_3ELS4_3ELNS0_20block_scan_algorithmE0ELj4294967295EEENS1_25partition_config_selectorILNS1_17partition_subalgoE3EjNS0_10empty_typeEbEEZZNS1_14partition_implILS8_3ELb0ES6_jNS0_17counting_iteratorIjlEEPS9_SE_NS0_5tupleIJPjSE_EEENSF_IJSE_SE_EEES9_SG_JZNS1_25segmented_radix_sort_implINS0_14default_configELb1EPKiPiPKlPlN2at6native12_GLOBAL__N_18offset_tEEE10hipError_tPvRmT1_PNSt15iterator_traitsISY_E10value_typeET2_T3_PNSZ_IS14_E10value_typeET4_jRbjT5_S1A_jjP12ihipStream_tbEUljE_EEESV_SW_SX_S14_S18_S1A_T6_T7_T9_mT8_S1C_bDpT10_ENKUlT_T0_E_clISt17integral_constantIbLb1EES1P_EEDaS1K_S1L_EUlS1K_E_NS1_11comp_targetILNS1_3genE10ELNS1_11target_archE1200ELNS1_3gpuE4ELNS1_3repE0EEENS1_30default_config_static_selectorELNS0_4arch9wavefront6targetE1EEEvSY_.uses_flat_scratch, 0
	.set _ZN7rocprim17ROCPRIM_400000_NS6detail17trampoline_kernelINS0_13select_configILj256ELj13ELNS0_17block_load_methodE3ELS4_3ELS4_3ELNS0_20block_scan_algorithmE0ELj4294967295EEENS1_25partition_config_selectorILNS1_17partition_subalgoE3EjNS0_10empty_typeEbEEZZNS1_14partition_implILS8_3ELb0ES6_jNS0_17counting_iteratorIjlEEPS9_SE_NS0_5tupleIJPjSE_EEENSF_IJSE_SE_EEES9_SG_JZNS1_25segmented_radix_sort_implINS0_14default_configELb1EPKiPiPKlPlN2at6native12_GLOBAL__N_18offset_tEEE10hipError_tPvRmT1_PNSt15iterator_traitsISY_E10value_typeET2_T3_PNSZ_IS14_E10value_typeET4_jRbjT5_S1A_jjP12ihipStream_tbEUljE_EEESV_SW_SX_S14_S18_S1A_T6_T7_T9_mT8_S1C_bDpT10_ENKUlT_T0_E_clISt17integral_constantIbLb1EES1P_EEDaS1K_S1L_EUlS1K_E_NS1_11comp_targetILNS1_3genE10ELNS1_11target_archE1200ELNS1_3gpuE4ELNS1_3repE0EEENS1_30default_config_static_selectorELNS0_4arch9wavefront6targetE1EEEvSY_.has_dyn_sized_stack, 0
	.set _ZN7rocprim17ROCPRIM_400000_NS6detail17trampoline_kernelINS0_13select_configILj256ELj13ELNS0_17block_load_methodE3ELS4_3ELS4_3ELNS0_20block_scan_algorithmE0ELj4294967295EEENS1_25partition_config_selectorILNS1_17partition_subalgoE3EjNS0_10empty_typeEbEEZZNS1_14partition_implILS8_3ELb0ES6_jNS0_17counting_iteratorIjlEEPS9_SE_NS0_5tupleIJPjSE_EEENSF_IJSE_SE_EEES9_SG_JZNS1_25segmented_radix_sort_implINS0_14default_configELb1EPKiPiPKlPlN2at6native12_GLOBAL__N_18offset_tEEE10hipError_tPvRmT1_PNSt15iterator_traitsISY_E10value_typeET2_T3_PNSZ_IS14_E10value_typeET4_jRbjT5_S1A_jjP12ihipStream_tbEUljE_EEESV_SW_SX_S14_S18_S1A_T6_T7_T9_mT8_S1C_bDpT10_ENKUlT_T0_E_clISt17integral_constantIbLb1EES1P_EEDaS1K_S1L_EUlS1K_E_NS1_11comp_targetILNS1_3genE10ELNS1_11target_archE1200ELNS1_3gpuE4ELNS1_3repE0EEENS1_30default_config_static_selectorELNS0_4arch9wavefront6targetE1EEEvSY_.has_recursion, 0
	.set _ZN7rocprim17ROCPRIM_400000_NS6detail17trampoline_kernelINS0_13select_configILj256ELj13ELNS0_17block_load_methodE3ELS4_3ELS4_3ELNS0_20block_scan_algorithmE0ELj4294967295EEENS1_25partition_config_selectorILNS1_17partition_subalgoE3EjNS0_10empty_typeEbEEZZNS1_14partition_implILS8_3ELb0ES6_jNS0_17counting_iteratorIjlEEPS9_SE_NS0_5tupleIJPjSE_EEENSF_IJSE_SE_EEES9_SG_JZNS1_25segmented_radix_sort_implINS0_14default_configELb1EPKiPiPKlPlN2at6native12_GLOBAL__N_18offset_tEEE10hipError_tPvRmT1_PNSt15iterator_traitsISY_E10value_typeET2_T3_PNSZ_IS14_E10value_typeET4_jRbjT5_S1A_jjP12ihipStream_tbEUljE_EEESV_SW_SX_S14_S18_S1A_T6_T7_T9_mT8_S1C_bDpT10_ENKUlT_T0_E_clISt17integral_constantIbLb1EES1P_EEDaS1K_S1L_EUlS1K_E_NS1_11comp_targetILNS1_3genE10ELNS1_11target_archE1200ELNS1_3gpuE4ELNS1_3repE0EEENS1_30default_config_static_selectorELNS0_4arch9wavefront6targetE1EEEvSY_.has_indirect_call, 0
	.section	.AMDGPU.csdata,"",@progbits
; Kernel info:
; codeLenInByte = 0
; TotalNumSgprs: 4
; NumVgprs: 0
; ScratchSize: 0
; MemoryBound: 0
; FloatMode: 240
; IeeeMode: 1
; LDSByteSize: 0 bytes/workgroup (compile time only)
; SGPRBlocks: 0
; VGPRBlocks: 0
; NumSGPRsForWavesPerEU: 4
; NumVGPRsForWavesPerEU: 1
; Occupancy: 10
; WaveLimiterHint : 0
; COMPUTE_PGM_RSRC2:SCRATCH_EN: 0
; COMPUTE_PGM_RSRC2:USER_SGPR: 6
; COMPUTE_PGM_RSRC2:TRAP_HANDLER: 0
; COMPUTE_PGM_RSRC2:TGID_X_EN: 1
; COMPUTE_PGM_RSRC2:TGID_Y_EN: 0
; COMPUTE_PGM_RSRC2:TGID_Z_EN: 0
; COMPUTE_PGM_RSRC2:TIDIG_COMP_CNT: 0
	.section	.text._ZN7rocprim17ROCPRIM_400000_NS6detail17trampoline_kernelINS0_13select_configILj256ELj13ELNS0_17block_load_methodE3ELS4_3ELS4_3ELNS0_20block_scan_algorithmE0ELj4294967295EEENS1_25partition_config_selectorILNS1_17partition_subalgoE3EjNS0_10empty_typeEbEEZZNS1_14partition_implILS8_3ELb0ES6_jNS0_17counting_iteratorIjlEEPS9_SE_NS0_5tupleIJPjSE_EEENSF_IJSE_SE_EEES9_SG_JZNS1_25segmented_radix_sort_implINS0_14default_configELb1EPKiPiPKlPlN2at6native12_GLOBAL__N_18offset_tEEE10hipError_tPvRmT1_PNSt15iterator_traitsISY_E10value_typeET2_T3_PNSZ_IS14_E10value_typeET4_jRbjT5_S1A_jjP12ihipStream_tbEUljE_EEESV_SW_SX_S14_S18_S1A_T6_T7_T9_mT8_S1C_bDpT10_ENKUlT_T0_E_clISt17integral_constantIbLb1EES1P_EEDaS1K_S1L_EUlS1K_E_NS1_11comp_targetILNS1_3genE9ELNS1_11target_archE1100ELNS1_3gpuE3ELNS1_3repE0EEENS1_30default_config_static_selectorELNS0_4arch9wavefront6targetE1EEEvSY_,"axG",@progbits,_ZN7rocprim17ROCPRIM_400000_NS6detail17trampoline_kernelINS0_13select_configILj256ELj13ELNS0_17block_load_methodE3ELS4_3ELS4_3ELNS0_20block_scan_algorithmE0ELj4294967295EEENS1_25partition_config_selectorILNS1_17partition_subalgoE3EjNS0_10empty_typeEbEEZZNS1_14partition_implILS8_3ELb0ES6_jNS0_17counting_iteratorIjlEEPS9_SE_NS0_5tupleIJPjSE_EEENSF_IJSE_SE_EEES9_SG_JZNS1_25segmented_radix_sort_implINS0_14default_configELb1EPKiPiPKlPlN2at6native12_GLOBAL__N_18offset_tEEE10hipError_tPvRmT1_PNSt15iterator_traitsISY_E10value_typeET2_T3_PNSZ_IS14_E10value_typeET4_jRbjT5_S1A_jjP12ihipStream_tbEUljE_EEESV_SW_SX_S14_S18_S1A_T6_T7_T9_mT8_S1C_bDpT10_ENKUlT_T0_E_clISt17integral_constantIbLb1EES1P_EEDaS1K_S1L_EUlS1K_E_NS1_11comp_targetILNS1_3genE9ELNS1_11target_archE1100ELNS1_3gpuE3ELNS1_3repE0EEENS1_30default_config_static_selectorELNS0_4arch9wavefront6targetE1EEEvSY_,comdat
	.globl	_ZN7rocprim17ROCPRIM_400000_NS6detail17trampoline_kernelINS0_13select_configILj256ELj13ELNS0_17block_load_methodE3ELS4_3ELS4_3ELNS0_20block_scan_algorithmE0ELj4294967295EEENS1_25partition_config_selectorILNS1_17partition_subalgoE3EjNS0_10empty_typeEbEEZZNS1_14partition_implILS8_3ELb0ES6_jNS0_17counting_iteratorIjlEEPS9_SE_NS0_5tupleIJPjSE_EEENSF_IJSE_SE_EEES9_SG_JZNS1_25segmented_radix_sort_implINS0_14default_configELb1EPKiPiPKlPlN2at6native12_GLOBAL__N_18offset_tEEE10hipError_tPvRmT1_PNSt15iterator_traitsISY_E10value_typeET2_T3_PNSZ_IS14_E10value_typeET4_jRbjT5_S1A_jjP12ihipStream_tbEUljE_EEESV_SW_SX_S14_S18_S1A_T6_T7_T9_mT8_S1C_bDpT10_ENKUlT_T0_E_clISt17integral_constantIbLb1EES1P_EEDaS1K_S1L_EUlS1K_E_NS1_11comp_targetILNS1_3genE9ELNS1_11target_archE1100ELNS1_3gpuE3ELNS1_3repE0EEENS1_30default_config_static_selectorELNS0_4arch9wavefront6targetE1EEEvSY_ ; -- Begin function _ZN7rocprim17ROCPRIM_400000_NS6detail17trampoline_kernelINS0_13select_configILj256ELj13ELNS0_17block_load_methodE3ELS4_3ELS4_3ELNS0_20block_scan_algorithmE0ELj4294967295EEENS1_25partition_config_selectorILNS1_17partition_subalgoE3EjNS0_10empty_typeEbEEZZNS1_14partition_implILS8_3ELb0ES6_jNS0_17counting_iteratorIjlEEPS9_SE_NS0_5tupleIJPjSE_EEENSF_IJSE_SE_EEES9_SG_JZNS1_25segmented_radix_sort_implINS0_14default_configELb1EPKiPiPKlPlN2at6native12_GLOBAL__N_18offset_tEEE10hipError_tPvRmT1_PNSt15iterator_traitsISY_E10value_typeET2_T3_PNSZ_IS14_E10value_typeET4_jRbjT5_S1A_jjP12ihipStream_tbEUljE_EEESV_SW_SX_S14_S18_S1A_T6_T7_T9_mT8_S1C_bDpT10_ENKUlT_T0_E_clISt17integral_constantIbLb1EES1P_EEDaS1K_S1L_EUlS1K_E_NS1_11comp_targetILNS1_3genE9ELNS1_11target_archE1100ELNS1_3gpuE3ELNS1_3repE0EEENS1_30default_config_static_selectorELNS0_4arch9wavefront6targetE1EEEvSY_
	.p2align	8
	.type	_ZN7rocprim17ROCPRIM_400000_NS6detail17trampoline_kernelINS0_13select_configILj256ELj13ELNS0_17block_load_methodE3ELS4_3ELS4_3ELNS0_20block_scan_algorithmE0ELj4294967295EEENS1_25partition_config_selectorILNS1_17partition_subalgoE3EjNS0_10empty_typeEbEEZZNS1_14partition_implILS8_3ELb0ES6_jNS0_17counting_iteratorIjlEEPS9_SE_NS0_5tupleIJPjSE_EEENSF_IJSE_SE_EEES9_SG_JZNS1_25segmented_radix_sort_implINS0_14default_configELb1EPKiPiPKlPlN2at6native12_GLOBAL__N_18offset_tEEE10hipError_tPvRmT1_PNSt15iterator_traitsISY_E10value_typeET2_T3_PNSZ_IS14_E10value_typeET4_jRbjT5_S1A_jjP12ihipStream_tbEUljE_EEESV_SW_SX_S14_S18_S1A_T6_T7_T9_mT8_S1C_bDpT10_ENKUlT_T0_E_clISt17integral_constantIbLb1EES1P_EEDaS1K_S1L_EUlS1K_E_NS1_11comp_targetILNS1_3genE9ELNS1_11target_archE1100ELNS1_3gpuE3ELNS1_3repE0EEENS1_30default_config_static_selectorELNS0_4arch9wavefront6targetE1EEEvSY_,@function
_ZN7rocprim17ROCPRIM_400000_NS6detail17trampoline_kernelINS0_13select_configILj256ELj13ELNS0_17block_load_methodE3ELS4_3ELS4_3ELNS0_20block_scan_algorithmE0ELj4294967295EEENS1_25partition_config_selectorILNS1_17partition_subalgoE3EjNS0_10empty_typeEbEEZZNS1_14partition_implILS8_3ELb0ES6_jNS0_17counting_iteratorIjlEEPS9_SE_NS0_5tupleIJPjSE_EEENSF_IJSE_SE_EEES9_SG_JZNS1_25segmented_radix_sort_implINS0_14default_configELb1EPKiPiPKlPlN2at6native12_GLOBAL__N_18offset_tEEE10hipError_tPvRmT1_PNSt15iterator_traitsISY_E10value_typeET2_T3_PNSZ_IS14_E10value_typeET4_jRbjT5_S1A_jjP12ihipStream_tbEUljE_EEESV_SW_SX_S14_S18_S1A_T6_T7_T9_mT8_S1C_bDpT10_ENKUlT_T0_E_clISt17integral_constantIbLb1EES1P_EEDaS1K_S1L_EUlS1K_E_NS1_11comp_targetILNS1_3genE9ELNS1_11target_archE1100ELNS1_3gpuE3ELNS1_3repE0EEENS1_30default_config_static_selectorELNS0_4arch9wavefront6targetE1EEEvSY_: ; @_ZN7rocprim17ROCPRIM_400000_NS6detail17trampoline_kernelINS0_13select_configILj256ELj13ELNS0_17block_load_methodE3ELS4_3ELS4_3ELNS0_20block_scan_algorithmE0ELj4294967295EEENS1_25partition_config_selectorILNS1_17partition_subalgoE3EjNS0_10empty_typeEbEEZZNS1_14partition_implILS8_3ELb0ES6_jNS0_17counting_iteratorIjlEEPS9_SE_NS0_5tupleIJPjSE_EEENSF_IJSE_SE_EEES9_SG_JZNS1_25segmented_radix_sort_implINS0_14default_configELb1EPKiPiPKlPlN2at6native12_GLOBAL__N_18offset_tEEE10hipError_tPvRmT1_PNSt15iterator_traitsISY_E10value_typeET2_T3_PNSZ_IS14_E10value_typeET4_jRbjT5_S1A_jjP12ihipStream_tbEUljE_EEESV_SW_SX_S14_S18_S1A_T6_T7_T9_mT8_S1C_bDpT10_ENKUlT_T0_E_clISt17integral_constantIbLb1EES1P_EEDaS1K_S1L_EUlS1K_E_NS1_11comp_targetILNS1_3genE9ELNS1_11target_archE1100ELNS1_3gpuE3ELNS1_3repE0EEENS1_30default_config_static_selectorELNS0_4arch9wavefront6targetE1EEEvSY_
; %bb.0:
	.section	.rodata,"a",@progbits
	.p2align	6, 0x0
	.amdhsa_kernel _ZN7rocprim17ROCPRIM_400000_NS6detail17trampoline_kernelINS0_13select_configILj256ELj13ELNS0_17block_load_methodE3ELS4_3ELS4_3ELNS0_20block_scan_algorithmE0ELj4294967295EEENS1_25partition_config_selectorILNS1_17partition_subalgoE3EjNS0_10empty_typeEbEEZZNS1_14partition_implILS8_3ELb0ES6_jNS0_17counting_iteratorIjlEEPS9_SE_NS0_5tupleIJPjSE_EEENSF_IJSE_SE_EEES9_SG_JZNS1_25segmented_radix_sort_implINS0_14default_configELb1EPKiPiPKlPlN2at6native12_GLOBAL__N_18offset_tEEE10hipError_tPvRmT1_PNSt15iterator_traitsISY_E10value_typeET2_T3_PNSZ_IS14_E10value_typeET4_jRbjT5_S1A_jjP12ihipStream_tbEUljE_EEESV_SW_SX_S14_S18_S1A_T6_T7_T9_mT8_S1C_bDpT10_ENKUlT_T0_E_clISt17integral_constantIbLb1EES1P_EEDaS1K_S1L_EUlS1K_E_NS1_11comp_targetILNS1_3genE9ELNS1_11target_archE1100ELNS1_3gpuE3ELNS1_3repE0EEENS1_30default_config_static_selectorELNS0_4arch9wavefront6targetE1EEEvSY_
		.amdhsa_group_segment_fixed_size 0
		.amdhsa_private_segment_fixed_size 0
		.amdhsa_kernarg_size 152
		.amdhsa_user_sgpr_count 6
		.amdhsa_user_sgpr_private_segment_buffer 1
		.amdhsa_user_sgpr_dispatch_ptr 0
		.amdhsa_user_sgpr_queue_ptr 0
		.amdhsa_user_sgpr_kernarg_segment_ptr 1
		.amdhsa_user_sgpr_dispatch_id 0
		.amdhsa_user_sgpr_flat_scratch_init 0
		.amdhsa_user_sgpr_private_segment_size 0
		.amdhsa_uses_dynamic_stack 0
		.amdhsa_system_sgpr_private_segment_wavefront_offset 0
		.amdhsa_system_sgpr_workgroup_id_x 1
		.amdhsa_system_sgpr_workgroup_id_y 0
		.amdhsa_system_sgpr_workgroup_id_z 0
		.amdhsa_system_sgpr_workgroup_info 0
		.amdhsa_system_vgpr_workitem_id 0
		.amdhsa_next_free_vgpr 1
		.amdhsa_next_free_sgpr 0
		.amdhsa_reserve_vcc 0
		.amdhsa_reserve_flat_scratch 0
		.amdhsa_float_round_mode_32 0
		.amdhsa_float_round_mode_16_64 0
		.amdhsa_float_denorm_mode_32 3
		.amdhsa_float_denorm_mode_16_64 3
		.amdhsa_dx10_clamp 1
		.amdhsa_ieee_mode 1
		.amdhsa_fp16_overflow 0
		.amdhsa_exception_fp_ieee_invalid_op 0
		.amdhsa_exception_fp_denorm_src 0
		.amdhsa_exception_fp_ieee_div_zero 0
		.amdhsa_exception_fp_ieee_overflow 0
		.amdhsa_exception_fp_ieee_underflow 0
		.amdhsa_exception_fp_ieee_inexact 0
		.amdhsa_exception_int_div_zero 0
	.end_amdhsa_kernel
	.section	.text._ZN7rocprim17ROCPRIM_400000_NS6detail17trampoline_kernelINS0_13select_configILj256ELj13ELNS0_17block_load_methodE3ELS4_3ELS4_3ELNS0_20block_scan_algorithmE0ELj4294967295EEENS1_25partition_config_selectorILNS1_17partition_subalgoE3EjNS0_10empty_typeEbEEZZNS1_14partition_implILS8_3ELb0ES6_jNS0_17counting_iteratorIjlEEPS9_SE_NS0_5tupleIJPjSE_EEENSF_IJSE_SE_EEES9_SG_JZNS1_25segmented_radix_sort_implINS0_14default_configELb1EPKiPiPKlPlN2at6native12_GLOBAL__N_18offset_tEEE10hipError_tPvRmT1_PNSt15iterator_traitsISY_E10value_typeET2_T3_PNSZ_IS14_E10value_typeET4_jRbjT5_S1A_jjP12ihipStream_tbEUljE_EEESV_SW_SX_S14_S18_S1A_T6_T7_T9_mT8_S1C_bDpT10_ENKUlT_T0_E_clISt17integral_constantIbLb1EES1P_EEDaS1K_S1L_EUlS1K_E_NS1_11comp_targetILNS1_3genE9ELNS1_11target_archE1100ELNS1_3gpuE3ELNS1_3repE0EEENS1_30default_config_static_selectorELNS0_4arch9wavefront6targetE1EEEvSY_,"axG",@progbits,_ZN7rocprim17ROCPRIM_400000_NS6detail17trampoline_kernelINS0_13select_configILj256ELj13ELNS0_17block_load_methodE3ELS4_3ELS4_3ELNS0_20block_scan_algorithmE0ELj4294967295EEENS1_25partition_config_selectorILNS1_17partition_subalgoE3EjNS0_10empty_typeEbEEZZNS1_14partition_implILS8_3ELb0ES6_jNS0_17counting_iteratorIjlEEPS9_SE_NS0_5tupleIJPjSE_EEENSF_IJSE_SE_EEES9_SG_JZNS1_25segmented_radix_sort_implINS0_14default_configELb1EPKiPiPKlPlN2at6native12_GLOBAL__N_18offset_tEEE10hipError_tPvRmT1_PNSt15iterator_traitsISY_E10value_typeET2_T3_PNSZ_IS14_E10value_typeET4_jRbjT5_S1A_jjP12ihipStream_tbEUljE_EEESV_SW_SX_S14_S18_S1A_T6_T7_T9_mT8_S1C_bDpT10_ENKUlT_T0_E_clISt17integral_constantIbLb1EES1P_EEDaS1K_S1L_EUlS1K_E_NS1_11comp_targetILNS1_3genE9ELNS1_11target_archE1100ELNS1_3gpuE3ELNS1_3repE0EEENS1_30default_config_static_selectorELNS0_4arch9wavefront6targetE1EEEvSY_,comdat
.Lfunc_end479:
	.size	_ZN7rocprim17ROCPRIM_400000_NS6detail17trampoline_kernelINS0_13select_configILj256ELj13ELNS0_17block_load_methodE3ELS4_3ELS4_3ELNS0_20block_scan_algorithmE0ELj4294967295EEENS1_25partition_config_selectorILNS1_17partition_subalgoE3EjNS0_10empty_typeEbEEZZNS1_14partition_implILS8_3ELb0ES6_jNS0_17counting_iteratorIjlEEPS9_SE_NS0_5tupleIJPjSE_EEENSF_IJSE_SE_EEES9_SG_JZNS1_25segmented_radix_sort_implINS0_14default_configELb1EPKiPiPKlPlN2at6native12_GLOBAL__N_18offset_tEEE10hipError_tPvRmT1_PNSt15iterator_traitsISY_E10value_typeET2_T3_PNSZ_IS14_E10value_typeET4_jRbjT5_S1A_jjP12ihipStream_tbEUljE_EEESV_SW_SX_S14_S18_S1A_T6_T7_T9_mT8_S1C_bDpT10_ENKUlT_T0_E_clISt17integral_constantIbLb1EES1P_EEDaS1K_S1L_EUlS1K_E_NS1_11comp_targetILNS1_3genE9ELNS1_11target_archE1100ELNS1_3gpuE3ELNS1_3repE0EEENS1_30default_config_static_selectorELNS0_4arch9wavefront6targetE1EEEvSY_, .Lfunc_end479-_ZN7rocprim17ROCPRIM_400000_NS6detail17trampoline_kernelINS0_13select_configILj256ELj13ELNS0_17block_load_methodE3ELS4_3ELS4_3ELNS0_20block_scan_algorithmE0ELj4294967295EEENS1_25partition_config_selectorILNS1_17partition_subalgoE3EjNS0_10empty_typeEbEEZZNS1_14partition_implILS8_3ELb0ES6_jNS0_17counting_iteratorIjlEEPS9_SE_NS0_5tupleIJPjSE_EEENSF_IJSE_SE_EEES9_SG_JZNS1_25segmented_radix_sort_implINS0_14default_configELb1EPKiPiPKlPlN2at6native12_GLOBAL__N_18offset_tEEE10hipError_tPvRmT1_PNSt15iterator_traitsISY_E10value_typeET2_T3_PNSZ_IS14_E10value_typeET4_jRbjT5_S1A_jjP12ihipStream_tbEUljE_EEESV_SW_SX_S14_S18_S1A_T6_T7_T9_mT8_S1C_bDpT10_ENKUlT_T0_E_clISt17integral_constantIbLb1EES1P_EEDaS1K_S1L_EUlS1K_E_NS1_11comp_targetILNS1_3genE9ELNS1_11target_archE1100ELNS1_3gpuE3ELNS1_3repE0EEENS1_30default_config_static_selectorELNS0_4arch9wavefront6targetE1EEEvSY_
                                        ; -- End function
	.set _ZN7rocprim17ROCPRIM_400000_NS6detail17trampoline_kernelINS0_13select_configILj256ELj13ELNS0_17block_load_methodE3ELS4_3ELS4_3ELNS0_20block_scan_algorithmE0ELj4294967295EEENS1_25partition_config_selectorILNS1_17partition_subalgoE3EjNS0_10empty_typeEbEEZZNS1_14partition_implILS8_3ELb0ES6_jNS0_17counting_iteratorIjlEEPS9_SE_NS0_5tupleIJPjSE_EEENSF_IJSE_SE_EEES9_SG_JZNS1_25segmented_radix_sort_implINS0_14default_configELb1EPKiPiPKlPlN2at6native12_GLOBAL__N_18offset_tEEE10hipError_tPvRmT1_PNSt15iterator_traitsISY_E10value_typeET2_T3_PNSZ_IS14_E10value_typeET4_jRbjT5_S1A_jjP12ihipStream_tbEUljE_EEESV_SW_SX_S14_S18_S1A_T6_T7_T9_mT8_S1C_bDpT10_ENKUlT_T0_E_clISt17integral_constantIbLb1EES1P_EEDaS1K_S1L_EUlS1K_E_NS1_11comp_targetILNS1_3genE9ELNS1_11target_archE1100ELNS1_3gpuE3ELNS1_3repE0EEENS1_30default_config_static_selectorELNS0_4arch9wavefront6targetE1EEEvSY_.num_vgpr, 0
	.set _ZN7rocprim17ROCPRIM_400000_NS6detail17trampoline_kernelINS0_13select_configILj256ELj13ELNS0_17block_load_methodE3ELS4_3ELS4_3ELNS0_20block_scan_algorithmE0ELj4294967295EEENS1_25partition_config_selectorILNS1_17partition_subalgoE3EjNS0_10empty_typeEbEEZZNS1_14partition_implILS8_3ELb0ES6_jNS0_17counting_iteratorIjlEEPS9_SE_NS0_5tupleIJPjSE_EEENSF_IJSE_SE_EEES9_SG_JZNS1_25segmented_radix_sort_implINS0_14default_configELb1EPKiPiPKlPlN2at6native12_GLOBAL__N_18offset_tEEE10hipError_tPvRmT1_PNSt15iterator_traitsISY_E10value_typeET2_T3_PNSZ_IS14_E10value_typeET4_jRbjT5_S1A_jjP12ihipStream_tbEUljE_EEESV_SW_SX_S14_S18_S1A_T6_T7_T9_mT8_S1C_bDpT10_ENKUlT_T0_E_clISt17integral_constantIbLb1EES1P_EEDaS1K_S1L_EUlS1K_E_NS1_11comp_targetILNS1_3genE9ELNS1_11target_archE1100ELNS1_3gpuE3ELNS1_3repE0EEENS1_30default_config_static_selectorELNS0_4arch9wavefront6targetE1EEEvSY_.num_agpr, 0
	.set _ZN7rocprim17ROCPRIM_400000_NS6detail17trampoline_kernelINS0_13select_configILj256ELj13ELNS0_17block_load_methodE3ELS4_3ELS4_3ELNS0_20block_scan_algorithmE0ELj4294967295EEENS1_25partition_config_selectorILNS1_17partition_subalgoE3EjNS0_10empty_typeEbEEZZNS1_14partition_implILS8_3ELb0ES6_jNS0_17counting_iteratorIjlEEPS9_SE_NS0_5tupleIJPjSE_EEENSF_IJSE_SE_EEES9_SG_JZNS1_25segmented_radix_sort_implINS0_14default_configELb1EPKiPiPKlPlN2at6native12_GLOBAL__N_18offset_tEEE10hipError_tPvRmT1_PNSt15iterator_traitsISY_E10value_typeET2_T3_PNSZ_IS14_E10value_typeET4_jRbjT5_S1A_jjP12ihipStream_tbEUljE_EEESV_SW_SX_S14_S18_S1A_T6_T7_T9_mT8_S1C_bDpT10_ENKUlT_T0_E_clISt17integral_constantIbLb1EES1P_EEDaS1K_S1L_EUlS1K_E_NS1_11comp_targetILNS1_3genE9ELNS1_11target_archE1100ELNS1_3gpuE3ELNS1_3repE0EEENS1_30default_config_static_selectorELNS0_4arch9wavefront6targetE1EEEvSY_.numbered_sgpr, 0
	.set _ZN7rocprim17ROCPRIM_400000_NS6detail17trampoline_kernelINS0_13select_configILj256ELj13ELNS0_17block_load_methodE3ELS4_3ELS4_3ELNS0_20block_scan_algorithmE0ELj4294967295EEENS1_25partition_config_selectorILNS1_17partition_subalgoE3EjNS0_10empty_typeEbEEZZNS1_14partition_implILS8_3ELb0ES6_jNS0_17counting_iteratorIjlEEPS9_SE_NS0_5tupleIJPjSE_EEENSF_IJSE_SE_EEES9_SG_JZNS1_25segmented_radix_sort_implINS0_14default_configELb1EPKiPiPKlPlN2at6native12_GLOBAL__N_18offset_tEEE10hipError_tPvRmT1_PNSt15iterator_traitsISY_E10value_typeET2_T3_PNSZ_IS14_E10value_typeET4_jRbjT5_S1A_jjP12ihipStream_tbEUljE_EEESV_SW_SX_S14_S18_S1A_T6_T7_T9_mT8_S1C_bDpT10_ENKUlT_T0_E_clISt17integral_constantIbLb1EES1P_EEDaS1K_S1L_EUlS1K_E_NS1_11comp_targetILNS1_3genE9ELNS1_11target_archE1100ELNS1_3gpuE3ELNS1_3repE0EEENS1_30default_config_static_selectorELNS0_4arch9wavefront6targetE1EEEvSY_.num_named_barrier, 0
	.set _ZN7rocprim17ROCPRIM_400000_NS6detail17trampoline_kernelINS0_13select_configILj256ELj13ELNS0_17block_load_methodE3ELS4_3ELS4_3ELNS0_20block_scan_algorithmE0ELj4294967295EEENS1_25partition_config_selectorILNS1_17partition_subalgoE3EjNS0_10empty_typeEbEEZZNS1_14partition_implILS8_3ELb0ES6_jNS0_17counting_iteratorIjlEEPS9_SE_NS0_5tupleIJPjSE_EEENSF_IJSE_SE_EEES9_SG_JZNS1_25segmented_radix_sort_implINS0_14default_configELb1EPKiPiPKlPlN2at6native12_GLOBAL__N_18offset_tEEE10hipError_tPvRmT1_PNSt15iterator_traitsISY_E10value_typeET2_T3_PNSZ_IS14_E10value_typeET4_jRbjT5_S1A_jjP12ihipStream_tbEUljE_EEESV_SW_SX_S14_S18_S1A_T6_T7_T9_mT8_S1C_bDpT10_ENKUlT_T0_E_clISt17integral_constantIbLb1EES1P_EEDaS1K_S1L_EUlS1K_E_NS1_11comp_targetILNS1_3genE9ELNS1_11target_archE1100ELNS1_3gpuE3ELNS1_3repE0EEENS1_30default_config_static_selectorELNS0_4arch9wavefront6targetE1EEEvSY_.private_seg_size, 0
	.set _ZN7rocprim17ROCPRIM_400000_NS6detail17trampoline_kernelINS0_13select_configILj256ELj13ELNS0_17block_load_methodE3ELS4_3ELS4_3ELNS0_20block_scan_algorithmE0ELj4294967295EEENS1_25partition_config_selectorILNS1_17partition_subalgoE3EjNS0_10empty_typeEbEEZZNS1_14partition_implILS8_3ELb0ES6_jNS0_17counting_iteratorIjlEEPS9_SE_NS0_5tupleIJPjSE_EEENSF_IJSE_SE_EEES9_SG_JZNS1_25segmented_radix_sort_implINS0_14default_configELb1EPKiPiPKlPlN2at6native12_GLOBAL__N_18offset_tEEE10hipError_tPvRmT1_PNSt15iterator_traitsISY_E10value_typeET2_T3_PNSZ_IS14_E10value_typeET4_jRbjT5_S1A_jjP12ihipStream_tbEUljE_EEESV_SW_SX_S14_S18_S1A_T6_T7_T9_mT8_S1C_bDpT10_ENKUlT_T0_E_clISt17integral_constantIbLb1EES1P_EEDaS1K_S1L_EUlS1K_E_NS1_11comp_targetILNS1_3genE9ELNS1_11target_archE1100ELNS1_3gpuE3ELNS1_3repE0EEENS1_30default_config_static_selectorELNS0_4arch9wavefront6targetE1EEEvSY_.uses_vcc, 0
	.set _ZN7rocprim17ROCPRIM_400000_NS6detail17trampoline_kernelINS0_13select_configILj256ELj13ELNS0_17block_load_methodE3ELS4_3ELS4_3ELNS0_20block_scan_algorithmE0ELj4294967295EEENS1_25partition_config_selectorILNS1_17partition_subalgoE3EjNS0_10empty_typeEbEEZZNS1_14partition_implILS8_3ELb0ES6_jNS0_17counting_iteratorIjlEEPS9_SE_NS0_5tupleIJPjSE_EEENSF_IJSE_SE_EEES9_SG_JZNS1_25segmented_radix_sort_implINS0_14default_configELb1EPKiPiPKlPlN2at6native12_GLOBAL__N_18offset_tEEE10hipError_tPvRmT1_PNSt15iterator_traitsISY_E10value_typeET2_T3_PNSZ_IS14_E10value_typeET4_jRbjT5_S1A_jjP12ihipStream_tbEUljE_EEESV_SW_SX_S14_S18_S1A_T6_T7_T9_mT8_S1C_bDpT10_ENKUlT_T0_E_clISt17integral_constantIbLb1EES1P_EEDaS1K_S1L_EUlS1K_E_NS1_11comp_targetILNS1_3genE9ELNS1_11target_archE1100ELNS1_3gpuE3ELNS1_3repE0EEENS1_30default_config_static_selectorELNS0_4arch9wavefront6targetE1EEEvSY_.uses_flat_scratch, 0
	.set _ZN7rocprim17ROCPRIM_400000_NS6detail17trampoline_kernelINS0_13select_configILj256ELj13ELNS0_17block_load_methodE3ELS4_3ELS4_3ELNS0_20block_scan_algorithmE0ELj4294967295EEENS1_25partition_config_selectorILNS1_17partition_subalgoE3EjNS0_10empty_typeEbEEZZNS1_14partition_implILS8_3ELb0ES6_jNS0_17counting_iteratorIjlEEPS9_SE_NS0_5tupleIJPjSE_EEENSF_IJSE_SE_EEES9_SG_JZNS1_25segmented_radix_sort_implINS0_14default_configELb1EPKiPiPKlPlN2at6native12_GLOBAL__N_18offset_tEEE10hipError_tPvRmT1_PNSt15iterator_traitsISY_E10value_typeET2_T3_PNSZ_IS14_E10value_typeET4_jRbjT5_S1A_jjP12ihipStream_tbEUljE_EEESV_SW_SX_S14_S18_S1A_T6_T7_T9_mT8_S1C_bDpT10_ENKUlT_T0_E_clISt17integral_constantIbLb1EES1P_EEDaS1K_S1L_EUlS1K_E_NS1_11comp_targetILNS1_3genE9ELNS1_11target_archE1100ELNS1_3gpuE3ELNS1_3repE0EEENS1_30default_config_static_selectorELNS0_4arch9wavefront6targetE1EEEvSY_.has_dyn_sized_stack, 0
	.set _ZN7rocprim17ROCPRIM_400000_NS6detail17trampoline_kernelINS0_13select_configILj256ELj13ELNS0_17block_load_methodE3ELS4_3ELS4_3ELNS0_20block_scan_algorithmE0ELj4294967295EEENS1_25partition_config_selectorILNS1_17partition_subalgoE3EjNS0_10empty_typeEbEEZZNS1_14partition_implILS8_3ELb0ES6_jNS0_17counting_iteratorIjlEEPS9_SE_NS0_5tupleIJPjSE_EEENSF_IJSE_SE_EEES9_SG_JZNS1_25segmented_radix_sort_implINS0_14default_configELb1EPKiPiPKlPlN2at6native12_GLOBAL__N_18offset_tEEE10hipError_tPvRmT1_PNSt15iterator_traitsISY_E10value_typeET2_T3_PNSZ_IS14_E10value_typeET4_jRbjT5_S1A_jjP12ihipStream_tbEUljE_EEESV_SW_SX_S14_S18_S1A_T6_T7_T9_mT8_S1C_bDpT10_ENKUlT_T0_E_clISt17integral_constantIbLb1EES1P_EEDaS1K_S1L_EUlS1K_E_NS1_11comp_targetILNS1_3genE9ELNS1_11target_archE1100ELNS1_3gpuE3ELNS1_3repE0EEENS1_30default_config_static_selectorELNS0_4arch9wavefront6targetE1EEEvSY_.has_recursion, 0
	.set _ZN7rocprim17ROCPRIM_400000_NS6detail17trampoline_kernelINS0_13select_configILj256ELj13ELNS0_17block_load_methodE3ELS4_3ELS4_3ELNS0_20block_scan_algorithmE0ELj4294967295EEENS1_25partition_config_selectorILNS1_17partition_subalgoE3EjNS0_10empty_typeEbEEZZNS1_14partition_implILS8_3ELb0ES6_jNS0_17counting_iteratorIjlEEPS9_SE_NS0_5tupleIJPjSE_EEENSF_IJSE_SE_EEES9_SG_JZNS1_25segmented_radix_sort_implINS0_14default_configELb1EPKiPiPKlPlN2at6native12_GLOBAL__N_18offset_tEEE10hipError_tPvRmT1_PNSt15iterator_traitsISY_E10value_typeET2_T3_PNSZ_IS14_E10value_typeET4_jRbjT5_S1A_jjP12ihipStream_tbEUljE_EEESV_SW_SX_S14_S18_S1A_T6_T7_T9_mT8_S1C_bDpT10_ENKUlT_T0_E_clISt17integral_constantIbLb1EES1P_EEDaS1K_S1L_EUlS1K_E_NS1_11comp_targetILNS1_3genE9ELNS1_11target_archE1100ELNS1_3gpuE3ELNS1_3repE0EEENS1_30default_config_static_selectorELNS0_4arch9wavefront6targetE1EEEvSY_.has_indirect_call, 0
	.section	.AMDGPU.csdata,"",@progbits
; Kernel info:
; codeLenInByte = 0
; TotalNumSgprs: 4
; NumVgprs: 0
; ScratchSize: 0
; MemoryBound: 0
; FloatMode: 240
; IeeeMode: 1
; LDSByteSize: 0 bytes/workgroup (compile time only)
; SGPRBlocks: 0
; VGPRBlocks: 0
; NumSGPRsForWavesPerEU: 4
; NumVGPRsForWavesPerEU: 1
; Occupancy: 10
; WaveLimiterHint : 0
; COMPUTE_PGM_RSRC2:SCRATCH_EN: 0
; COMPUTE_PGM_RSRC2:USER_SGPR: 6
; COMPUTE_PGM_RSRC2:TRAP_HANDLER: 0
; COMPUTE_PGM_RSRC2:TGID_X_EN: 1
; COMPUTE_PGM_RSRC2:TGID_Y_EN: 0
; COMPUTE_PGM_RSRC2:TGID_Z_EN: 0
; COMPUTE_PGM_RSRC2:TIDIG_COMP_CNT: 0
	.section	.text._ZN7rocprim17ROCPRIM_400000_NS6detail17trampoline_kernelINS0_13select_configILj256ELj13ELNS0_17block_load_methodE3ELS4_3ELS4_3ELNS0_20block_scan_algorithmE0ELj4294967295EEENS1_25partition_config_selectorILNS1_17partition_subalgoE3EjNS0_10empty_typeEbEEZZNS1_14partition_implILS8_3ELb0ES6_jNS0_17counting_iteratorIjlEEPS9_SE_NS0_5tupleIJPjSE_EEENSF_IJSE_SE_EEES9_SG_JZNS1_25segmented_radix_sort_implINS0_14default_configELb1EPKiPiPKlPlN2at6native12_GLOBAL__N_18offset_tEEE10hipError_tPvRmT1_PNSt15iterator_traitsISY_E10value_typeET2_T3_PNSZ_IS14_E10value_typeET4_jRbjT5_S1A_jjP12ihipStream_tbEUljE_EEESV_SW_SX_S14_S18_S1A_T6_T7_T9_mT8_S1C_bDpT10_ENKUlT_T0_E_clISt17integral_constantIbLb1EES1P_EEDaS1K_S1L_EUlS1K_E_NS1_11comp_targetILNS1_3genE8ELNS1_11target_archE1030ELNS1_3gpuE2ELNS1_3repE0EEENS1_30default_config_static_selectorELNS0_4arch9wavefront6targetE1EEEvSY_,"axG",@progbits,_ZN7rocprim17ROCPRIM_400000_NS6detail17trampoline_kernelINS0_13select_configILj256ELj13ELNS0_17block_load_methodE3ELS4_3ELS4_3ELNS0_20block_scan_algorithmE0ELj4294967295EEENS1_25partition_config_selectorILNS1_17partition_subalgoE3EjNS0_10empty_typeEbEEZZNS1_14partition_implILS8_3ELb0ES6_jNS0_17counting_iteratorIjlEEPS9_SE_NS0_5tupleIJPjSE_EEENSF_IJSE_SE_EEES9_SG_JZNS1_25segmented_radix_sort_implINS0_14default_configELb1EPKiPiPKlPlN2at6native12_GLOBAL__N_18offset_tEEE10hipError_tPvRmT1_PNSt15iterator_traitsISY_E10value_typeET2_T3_PNSZ_IS14_E10value_typeET4_jRbjT5_S1A_jjP12ihipStream_tbEUljE_EEESV_SW_SX_S14_S18_S1A_T6_T7_T9_mT8_S1C_bDpT10_ENKUlT_T0_E_clISt17integral_constantIbLb1EES1P_EEDaS1K_S1L_EUlS1K_E_NS1_11comp_targetILNS1_3genE8ELNS1_11target_archE1030ELNS1_3gpuE2ELNS1_3repE0EEENS1_30default_config_static_selectorELNS0_4arch9wavefront6targetE1EEEvSY_,comdat
	.globl	_ZN7rocprim17ROCPRIM_400000_NS6detail17trampoline_kernelINS0_13select_configILj256ELj13ELNS0_17block_load_methodE3ELS4_3ELS4_3ELNS0_20block_scan_algorithmE0ELj4294967295EEENS1_25partition_config_selectorILNS1_17partition_subalgoE3EjNS0_10empty_typeEbEEZZNS1_14partition_implILS8_3ELb0ES6_jNS0_17counting_iteratorIjlEEPS9_SE_NS0_5tupleIJPjSE_EEENSF_IJSE_SE_EEES9_SG_JZNS1_25segmented_radix_sort_implINS0_14default_configELb1EPKiPiPKlPlN2at6native12_GLOBAL__N_18offset_tEEE10hipError_tPvRmT1_PNSt15iterator_traitsISY_E10value_typeET2_T3_PNSZ_IS14_E10value_typeET4_jRbjT5_S1A_jjP12ihipStream_tbEUljE_EEESV_SW_SX_S14_S18_S1A_T6_T7_T9_mT8_S1C_bDpT10_ENKUlT_T0_E_clISt17integral_constantIbLb1EES1P_EEDaS1K_S1L_EUlS1K_E_NS1_11comp_targetILNS1_3genE8ELNS1_11target_archE1030ELNS1_3gpuE2ELNS1_3repE0EEENS1_30default_config_static_selectorELNS0_4arch9wavefront6targetE1EEEvSY_ ; -- Begin function _ZN7rocprim17ROCPRIM_400000_NS6detail17trampoline_kernelINS0_13select_configILj256ELj13ELNS0_17block_load_methodE3ELS4_3ELS4_3ELNS0_20block_scan_algorithmE0ELj4294967295EEENS1_25partition_config_selectorILNS1_17partition_subalgoE3EjNS0_10empty_typeEbEEZZNS1_14partition_implILS8_3ELb0ES6_jNS0_17counting_iteratorIjlEEPS9_SE_NS0_5tupleIJPjSE_EEENSF_IJSE_SE_EEES9_SG_JZNS1_25segmented_radix_sort_implINS0_14default_configELb1EPKiPiPKlPlN2at6native12_GLOBAL__N_18offset_tEEE10hipError_tPvRmT1_PNSt15iterator_traitsISY_E10value_typeET2_T3_PNSZ_IS14_E10value_typeET4_jRbjT5_S1A_jjP12ihipStream_tbEUljE_EEESV_SW_SX_S14_S18_S1A_T6_T7_T9_mT8_S1C_bDpT10_ENKUlT_T0_E_clISt17integral_constantIbLb1EES1P_EEDaS1K_S1L_EUlS1K_E_NS1_11comp_targetILNS1_3genE8ELNS1_11target_archE1030ELNS1_3gpuE2ELNS1_3repE0EEENS1_30default_config_static_selectorELNS0_4arch9wavefront6targetE1EEEvSY_
	.p2align	8
	.type	_ZN7rocprim17ROCPRIM_400000_NS6detail17trampoline_kernelINS0_13select_configILj256ELj13ELNS0_17block_load_methodE3ELS4_3ELS4_3ELNS0_20block_scan_algorithmE0ELj4294967295EEENS1_25partition_config_selectorILNS1_17partition_subalgoE3EjNS0_10empty_typeEbEEZZNS1_14partition_implILS8_3ELb0ES6_jNS0_17counting_iteratorIjlEEPS9_SE_NS0_5tupleIJPjSE_EEENSF_IJSE_SE_EEES9_SG_JZNS1_25segmented_radix_sort_implINS0_14default_configELb1EPKiPiPKlPlN2at6native12_GLOBAL__N_18offset_tEEE10hipError_tPvRmT1_PNSt15iterator_traitsISY_E10value_typeET2_T3_PNSZ_IS14_E10value_typeET4_jRbjT5_S1A_jjP12ihipStream_tbEUljE_EEESV_SW_SX_S14_S18_S1A_T6_T7_T9_mT8_S1C_bDpT10_ENKUlT_T0_E_clISt17integral_constantIbLb1EES1P_EEDaS1K_S1L_EUlS1K_E_NS1_11comp_targetILNS1_3genE8ELNS1_11target_archE1030ELNS1_3gpuE2ELNS1_3repE0EEENS1_30default_config_static_selectorELNS0_4arch9wavefront6targetE1EEEvSY_,@function
_ZN7rocprim17ROCPRIM_400000_NS6detail17trampoline_kernelINS0_13select_configILj256ELj13ELNS0_17block_load_methodE3ELS4_3ELS4_3ELNS0_20block_scan_algorithmE0ELj4294967295EEENS1_25partition_config_selectorILNS1_17partition_subalgoE3EjNS0_10empty_typeEbEEZZNS1_14partition_implILS8_3ELb0ES6_jNS0_17counting_iteratorIjlEEPS9_SE_NS0_5tupleIJPjSE_EEENSF_IJSE_SE_EEES9_SG_JZNS1_25segmented_radix_sort_implINS0_14default_configELb1EPKiPiPKlPlN2at6native12_GLOBAL__N_18offset_tEEE10hipError_tPvRmT1_PNSt15iterator_traitsISY_E10value_typeET2_T3_PNSZ_IS14_E10value_typeET4_jRbjT5_S1A_jjP12ihipStream_tbEUljE_EEESV_SW_SX_S14_S18_S1A_T6_T7_T9_mT8_S1C_bDpT10_ENKUlT_T0_E_clISt17integral_constantIbLb1EES1P_EEDaS1K_S1L_EUlS1K_E_NS1_11comp_targetILNS1_3genE8ELNS1_11target_archE1030ELNS1_3gpuE2ELNS1_3repE0EEENS1_30default_config_static_selectorELNS0_4arch9wavefront6targetE1EEEvSY_: ; @_ZN7rocprim17ROCPRIM_400000_NS6detail17trampoline_kernelINS0_13select_configILj256ELj13ELNS0_17block_load_methodE3ELS4_3ELS4_3ELNS0_20block_scan_algorithmE0ELj4294967295EEENS1_25partition_config_selectorILNS1_17partition_subalgoE3EjNS0_10empty_typeEbEEZZNS1_14partition_implILS8_3ELb0ES6_jNS0_17counting_iteratorIjlEEPS9_SE_NS0_5tupleIJPjSE_EEENSF_IJSE_SE_EEES9_SG_JZNS1_25segmented_radix_sort_implINS0_14default_configELb1EPKiPiPKlPlN2at6native12_GLOBAL__N_18offset_tEEE10hipError_tPvRmT1_PNSt15iterator_traitsISY_E10value_typeET2_T3_PNSZ_IS14_E10value_typeET4_jRbjT5_S1A_jjP12ihipStream_tbEUljE_EEESV_SW_SX_S14_S18_S1A_T6_T7_T9_mT8_S1C_bDpT10_ENKUlT_T0_E_clISt17integral_constantIbLb1EES1P_EEDaS1K_S1L_EUlS1K_E_NS1_11comp_targetILNS1_3genE8ELNS1_11target_archE1030ELNS1_3gpuE2ELNS1_3repE0EEENS1_30default_config_static_selectorELNS0_4arch9wavefront6targetE1EEEvSY_
; %bb.0:
	.section	.rodata,"a",@progbits
	.p2align	6, 0x0
	.amdhsa_kernel _ZN7rocprim17ROCPRIM_400000_NS6detail17trampoline_kernelINS0_13select_configILj256ELj13ELNS0_17block_load_methodE3ELS4_3ELS4_3ELNS0_20block_scan_algorithmE0ELj4294967295EEENS1_25partition_config_selectorILNS1_17partition_subalgoE3EjNS0_10empty_typeEbEEZZNS1_14partition_implILS8_3ELb0ES6_jNS0_17counting_iteratorIjlEEPS9_SE_NS0_5tupleIJPjSE_EEENSF_IJSE_SE_EEES9_SG_JZNS1_25segmented_radix_sort_implINS0_14default_configELb1EPKiPiPKlPlN2at6native12_GLOBAL__N_18offset_tEEE10hipError_tPvRmT1_PNSt15iterator_traitsISY_E10value_typeET2_T3_PNSZ_IS14_E10value_typeET4_jRbjT5_S1A_jjP12ihipStream_tbEUljE_EEESV_SW_SX_S14_S18_S1A_T6_T7_T9_mT8_S1C_bDpT10_ENKUlT_T0_E_clISt17integral_constantIbLb1EES1P_EEDaS1K_S1L_EUlS1K_E_NS1_11comp_targetILNS1_3genE8ELNS1_11target_archE1030ELNS1_3gpuE2ELNS1_3repE0EEENS1_30default_config_static_selectorELNS0_4arch9wavefront6targetE1EEEvSY_
		.amdhsa_group_segment_fixed_size 0
		.amdhsa_private_segment_fixed_size 0
		.amdhsa_kernarg_size 152
		.amdhsa_user_sgpr_count 6
		.amdhsa_user_sgpr_private_segment_buffer 1
		.amdhsa_user_sgpr_dispatch_ptr 0
		.amdhsa_user_sgpr_queue_ptr 0
		.amdhsa_user_sgpr_kernarg_segment_ptr 1
		.amdhsa_user_sgpr_dispatch_id 0
		.amdhsa_user_sgpr_flat_scratch_init 0
		.amdhsa_user_sgpr_private_segment_size 0
		.amdhsa_uses_dynamic_stack 0
		.amdhsa_system_sgpr_private_segment_wavefront_offset 0
		.amdhsa_system_sgpr_workgroup_id_x 1
		.amdhsa_system_sgpr_workgroup_id_y 0
		.amdhsa_system_sgpr_workgroup_id_z 0
		.amdhsa_system_sgpr_workgroup_info 0
		.amdhsa_system_vgpr_workitem_id 0
		.amdhsa_next_free_vgpr 1
		.amdhsa_next_free_sgpr 0
		.amdhsa_reserve_vcc 0
		.amdhsa_reserve_flat_scratch 0
		.amdhsa_float_round_mode_32 0
		.amdhsa_float_round_mode_16_64 0
		.amdhsa_float_denorm_mode_32 3
		.amdhsa_float_denorm_mode_16_64 3
		.amdhsa_dx10_clamp 1
		.amdhsa_ieee_mode 1
		.amdhsa_fp16_overflow 0
		.amdhsa_exception_fp_ieee_invalid_op 0
		.amdhsa_exception_fp_denorm_src 0
		.amdhsa_exception_fp_ieee_div_zero 0
		.amdhsa_exception_fp_ieee_overflow 0
		.amdhsa_exception_fp_ieee_underflow 0
		.amdhsa_exception_fp_ieee_inexact 0
		.amdhsa_exception_int_div_zero 0
	.end_amdhsa_kernel
	.section	.text._ZN7rocprim17ROCPRIM_400000_NS6detail17trampoline_kernelINS0_13select_configILj256ELj13ELNS0_17block_load_methodE3ELS4_3ELS4_3ELNS0_20block_scan_algorithmE0ELj4294967295EEENS1_25partition_config_selectorILNS1_17partition_subalgoE3EjNS0_10empty_typeEbEEZZNS1_14partition_implILS8_3ELb0ES6_jNS0_17counting_iteratorIjlEEPS9_SE_NS0_5tupleIJPjSE_EEENSF_IJSE_SE_EEES9_SG_JZNS1_25segmented_radix_sort_implINS0_14default_configELb1EPKiPiPKlPlN2at6native12_GLOBAL__N_18offset_tEEE10hipError_tPvRmT1_PNSt15iterator_traitsISY_E10value_typeET2_T3_PNSZ_IS14_E10value_typeET4_jRbjT5_S1A_jjP12ihipStream_tbEUljE_EEESV_SW_SX_S14_S18_S1A_T6_T7_T9_mT8_S1C_bDpT10_ENKUlT_T0_E_clISt17integral_constantIbLb1EES1P_EEDaS1K_S1L_EUlS1K_E_NS1_11comp_targetILNS1_3genE8ELNS1_11target_archE1030ELNS1_3gpuE2ELNS1_3repE0EEENS1_30default_config_static_selectorELNS0_4arch9wavefront6targetE1EEEvSY_,"axG",@progbits,_ZN7rocprim17ROCPRIM_400000_NS6detail17trampoline_kernelINS0_13select_configILj256ELj13ELNS0_17block_load_methodE3ELS4_3ELS4_3ELNS0_20block_scan_algorithmE0ELj4294967295EEENS1_25partition_config_selectorILNS1_17partition_subalgoE3EjNS0_10empty_typeEbEEZZNS1_14partition_implILS8_3ELb0ES6_jNS0_17counting_iteratorIjlEEPS9_SE_NS0_5tupleIJPjSE_EEENSF_IJSE_SE_EEES9_SG_JZNS1_25segmented_radix_sort_implINS0_14default_configELb1EPKiPiPKlPlN2at6native12_GLOBAL__N_18offset_tEEE10hipError_tPvRmT1_PNSt15iterator_traitsISY_E10value_typeET2_T3_PNSZ_IS14_E10value_typeET4_jRbjT5_S1A_jjP12ihipStream_tbEUljE_EEESV_SW_SX_S14_S18_S1A_T6_T7_T9_mT8_S1C_bDpT10_ENKUlT_T0_E_clISt17integral_constantIbLb1EES1P_EEDaS1K_S1L_EUlS1K_E_NS1_11comp_targetILNS1_3genE8ELNS1_11target_archE1030ELNS1_3gpuE2ELNS1_3repE0EEENS1_30default_config_static_selectorELNS0_4arch9wavefront6targetE1EEEvSY_,comdat
.Lfunc_end480:
	.size	_ZN7rocprim17ROCPRIM_400000_NS6detail17trampoline_kernelINS0_13select_configILj256ELj13ELNS0_17block_load_methodE3ELS4_3ELS4_3ELNS0_20block_scan_algorithmE0ELj4294967295EEENS1_25partition_config_selectorILNS1_17partition_subalgoE3EjNS0_10empty_typeEbEEZZNS1_14partition_implILS8_3ELb0ES6_jNS0_17counting_iteratorIjlEEPS9_SE_NS0_5tupleIJPjSE_EEENSF_IJSE_SE_EEES9_SG_JZNS1_25segmented_radix_sort_implINS0_14default_configELb1EPKiPiPKlPlN2at6native12_GLOBAL__N_18offset_tEEE10hipError_tPvRmT1_PNSt15iterator_traitsISY_E10value_typeET2_T3_PNSZ_IS14_E10value_typeET4_jRbjT5_S1A_jjP12ihipStream_tbEUljE_EEESV_SW_SX_S14_S18_S1A_T6_T7_T9_mT8_S1C_bDpT10_ENKUlT_T0_E_clISt17integral_constantIbLb1EES1P_EEDaS1K_S1L_EUlS1K_E_NS1_11comp_targetILNS1_3genE8ELNS1_11target_archE1030ELNS1_3gpuE2ELNS1_3repE0EEENS1_30default_config_static_selectorELNS0_4arch9wavefront6targetE1EEEvSY_, .Lfunc_end480-_ZN7rocprim17ROCPRIM_400000_NS6detail17trampoline_kernelINS0_13select_configILj256ELj13ELNS0_17block_load_methodE3ELS4_3ELS4_3ELNS0_20block_scan_algorithmE0ELj4294967295EEENS1_25partition_config_selectorILNS1_17partition_subalgoE3EjNS0_10empty_typeEbEEZZNS1_14partition_implILS8_3ELb0ES6_jNS0_17counting_iteratorIjlEEPS9_SE_NS0_5tupleIJPjSE_EEENSF_IJSE_SE_EEES9_SG_JZNS1_25segmented_radix_sort_implINS0_14default_configELb1EPKiPiPKlPlN2at6native12_GLOBAL__N_18offset_tEEE10hipError_tPvRmT1_PNSt15iterator_traitsISY_E10value_typeET2_T3_PNSZ_IS14_E10value_typeET4_jRbjT5_S1A_jjP12ihipStream_tbEUljE_EEESV_SW_SX_S14_S18_S1A_T6_T7_T9_mT8_S1C_bDpT10_ENKUlT_T0_E_clISt17integral_constantIbLb1EES1P_EEDaS1K_S1L_EUlS1K_E_NS1_11comp_targetILNS1_3genE8ELNS1_11target_archE1030ELNS1_3gpuE2ELNS1_3repE0EEENS1_30default_config_static_selectorELNS0_4arch9wavefront6targetE1EEEvSY_
                                        ; -- End function
	.set _ZN7rocprim17ROCPRIM_400000_NS6detail17trampoline_kernelINS0_13select_configILj256ELj13ELNS0_17block_load_methodE3ELS4_3ELS4_3ELNS0_20block_scan_algorithmE0ELj4294967295EEENS1_25partition_config_selectorILNS1_17partition_subalgoE3EjNS0_10empty_typeEbEEZZNS1_14partition_implILS8_3ELb0ES6_jNS0_17counting_iteratorIjlEEPS9_SE_NS0_5tupleIJPjSE_EEENSF_IJSE_SE_EEES9_SG_JZNS1_25segmented_radix_sort_implINS0_14default_configELb1EPKiPiPKlPlN2at6native12_GLOBAL__N_18offset_tEEE10hipError_tPvRmT1_PNSt15iterator_traitsISY_E10value_typeET2_T3_PNSZ_IS14_E10value_typeET4_jRbjT5_S1A_jjP12ihipStream_tbEUljE_EEESV_SW_SX_S14_S18_S1A_T6_T7_T9_mT8_S1C_bDpT10_ENKUlT_T0_E_clISt17integral_constantIbLb1EES1P_EEDaS1K_S1L_EUlS1K_E_NS1_11comp_targetILNS1_3genE8ELNS1_11target_archE1030ELNS1_3gpuE2ELNS1_3repE0EEENS1_30default_config_static_selectorELNS0_4arch9wavefront6targetE1EEEvSY_.num_vgpr, 0
	.set _ZN7rocprim17ROCPRIM_400000_NS6detail17trampoline_kernelINS0_13select_configILj256ELj13ELNS0_17block_load_methodE3ELS4_3ELS4_3ELNS0_20block_scan_algorithmE0ELj4294967295EEENS1_25partition_config_selectorILNS1_17partition_subalgoE3EjNS0_10empty_typeEbEEZZNS1_14partition_implILS8_3ELb0ES6_jNS0_17counting_iteratorIjlEEPS9_SE_NS0_5tupleIJPjSE_EEENSF_IJSE_SE_EEES9_SG_JZNS1_25segmented_radix_sort_implINS0_14default_configELb1EPKiPiPKlPlN2at6native12_GLOBAL__N_18offset_tEEE10hipError_tPvRmT1_PNSt15iterator_traitsISY_E10value_typeET2_T3_PNSZ_IS14_E10value_typeET4_jRbjT5_S1A_jjP12ihipStream_tbEUljE_EEESV_SW_SX_S14_S18_S1A_T6_T7_T9_mT8_S1C_bDpT10_ENKUlT_T0_E_clISt17integral_constantIbLb1EES1P_EEDaS1K_S1L_EUlS1K_E_NS1_11comp_targetILNS1_3genE8ELNS1_11target_archE1030ELNS1_3gpuE2ELNS1_3repE0EEENS1_30default_config_static_selectorELNS0_4arch9wavefront6targetE1EEEvSY_.num_agpr, 0
	.set _ZN7rocprim17ROCPRIM_400000_NS6detail17trampoline_kernelINS0_13select_configILj256ELj13ELNS0_17block_load_methodE3ELS4_3ELS4_3ELNS0_20block_scan_algorithmE0ELj4294967295EEENS1_25partition_config_selectorILNS1_17partition_subalgoE3EjNS0_10empty_typeEbEEZZNS1_14partition_implILS8_3ELb0ES6_jNS0_17counting_iteratorIjlEEPS9_SE_NS0_5tupleIJPjSE_EEENSF_IJSE_SE_EEES9_SG_JZNS1_25segmented_radix_sort_implINS0_14default_configELb1EPKiPiPKlPlN2at6native12_GLOBAL__N_18offset_tEEE10hipError_tPvRmT1_PNSt15iterator_traitsISY_E10value_typeET2_T3_PNSZ_IS14_E10value_typeET4_jRbjT5_S1A_jjP12ihipStream_tbEUljE_EEESV_SW_SX_S14_S18_S1A_T6_T7_T9_mT8_S1C_bDpT10_ENKUlT_T0_E_clISt17integral_constantIbLb1EES1P_EEDaS1K_S1L_EUlS1K_E_NS1_11comp_targetILNS1_3genE8ELNS1_11target_archE1030ELNS1_3gpuE2ELNS1_3repE0EEENS1_30default_config_static_selectorELNS0_4arch9wavefront6targetE1EEEvSY_.numbered_sgpr, 0
	.set _ZN7rocprim17ROCPRIM_400000_NS6detail17trampoline_kernelINS0_13select_configILj256ELj13ELNS0_17block_load_methodE3ELS4_3ELS4_3ELNS0_20block_scan_algorithmE0ELj4294967295EEENS1_25partition_config_selectorILNS1_17partition_subalgoE3EjNS0_10empty_typeEbEEZZNS1_14partition_implILS8_3ELb0ES6_jNS0_17counting_iteratorIjlEEPS9_SE_NS0_5tupleIJPjSE_EEENSF_IJSE_SE_EEES9_SG_JZNS1_25segmented_radix_sort_implINS0_14default_configELb1EPKiPiPKlPlN2at6native12_GLOBAL__N_18offset_tEEE10hipError_tPvRmT1_PNSt15iterator_traitsISY_E10value_typeET2_T3_PNSZ_IS14_E10value_typeET4_jRbjT5_S1A_jjP12ihipStream_tbEUljE_EEESV_SW_SX_S14_S18_S1A_T6_T7_T9_mT8_S1C_bDpT10_ENKUlT_T0_E_clISt17integral_constantIbLb1EES1P_EEDaS1K_S1L_EUlS1K_E_NS1_11comp_targetILNS1_3genE8ELNS1_11target_archE1030ELNS1_3gpuE2ELNS1_3repE0EEENS1_30default_config_static_selectorELNS0_4arch9wavefront6targetE1EEEvSY_.num_named_barrier, 0
	.set _ZN7rocprim17ROCPRIM_400000_NS6detail17trampoline_kernelINS0_13select_configILj256ELj13ELNS0_17block_load_methodE3ELS4_3ELS4_3ELNS0_20block_scan_algorithmE0ELj4294967295EEENS1_25partition_config_selectorILNS1_17partition_subalgoE3EjNS0_10empty_typeEbEEZZNS1_14partition_implILS8_3ELb0ES6_jNS0_17counting_iteratorIjlEEPS9_SE_NS0_5tupleIJPjSE_EEENSF_IJSE_SE_EEES9_SG_JZNS1_25segmented_radix_sort_implINS0_14default_configELb1EPKiPiPKlPlN2at6native12_GLOBAL__N_18offset_tEEE10hipError_tPvRmT1_PNSt15iterator_traitsISY_E10value_typeET2_T3_PNSZ_IS14_E10value_typeET4_jRbjT5_S1A_jjP12ihipStream_tbEUljE_EEESV_SW_SX_S14_S18_S1A_T6_T7_T9_mT8_S1C_bDpT10_ENKUlT_T0_E_clISt17integral_constantIbLb1EES1P_EEDaS1K_S1L_EUlS1K_E_NS1_11comp_targetILNS1_3genE8ELNS1_11target_archE1030ELNS1_3gpuE2ELNS1_3repE0EEENS1_30default_config_static_selectorELNS0_4arch9wavefront6targetE1EEEvSY_.private_seg_size, 0
	.set _ZN7rocprim17ROCPRIM_400000_NS6detail17trampoline_kernelINS0_13select_configILj256ELj13ELNS0_17block_load_methodE3ELS4_3ELS4_3ELNS0_20block_scan_algorithmE0ELj4294967295EEENS1_25partition_config_selectorILNS1_17partition_subalgoE3EjNS0_10empty_typeEbEEZZNS1_14partition_implILS8_3ELb0ES6_jNS0_17counting_iteratorIjlEEPS9_SE_NS0_5tupleIJPjSE_EEENSF_IJSE_SE_EEES9_SG_JZNS1_25segmented_radix_sort_implINS0_14default_configELb1EPKiPiPKlPlN2at6native12_GLOBAL__N_18offset_tEEE10hipError_tPvRmT1_PNSt15iterator_traitsISY_E10value_typeET2_T3_PNSZ_IS14_E10value_typeET4_jRbjT5_S1A_jjP12ihipStream_tbEUljE_EEESV_SW_SX_S14_S18_S1A_T6_T7_T9_mT8_S1C_bDpT10_ENKUlT_T0_E_clISt17integral_constantIbLb1EES1P_EEDaS1K_S1L_EUlS1K_E_NS1_11comp_targetILNS1_3genE8ELNS1_11target_archE1030ELNS1_3gpuE2ELNS1_3repE0EEENS1_30default_config_static_selectorELNS0_4arch9wavefront6targetE1EEEvSY_.uses_vcc, 0
	.set _ZN7rocprim17ROCPRIM_400000_NS6detail17trampoline_kernelINS0_13select_configILj256ELj13ELNS0_17block_load_methodE3ELS4_3ELS4_3ELNS0_20block_scan_algorithmE0ELj4294967295EEENS1_25partition_config_selectorILNS1_17partition_subalgoE3EjNS0_10empty_typeEbEEZZNS1_14partition_implILS8_3ELb0ES6_jNS0_17counting_iteratorIjlEEPS9_SE_NS0_5tupleIJPjSE_EEENSF_IJSE_SE_EEES9_SG_JZNS1_25segmented_radix_sort_implINS0_14default_configELb1EPKiPiPKlPlN2at6native12_GLOBAL__N_18offset_tEEE10hipError_tPvRmT1_PNSt15iterator_traitsISY_E10value_typeET2_T3_PNSZ_IS14_E10value_typeET4_jRbjT5_S1A_jjP12ihipStream_tbEUljE_EEESV_SW_SX_S14_S18_S1A_T6_T7_T9_mT8_S1C_bDpT10_ENKUlT_T0_E_clISt17integral_constantIbLb1EES1P_EEDaS1K_S1L_EUlS1K_E_NS1_11comp_targetILNS1_3genE8ELNS1_11target_archE1030ELNS1_3gpuE2ELNS1_3repE0EEENS1_30default_config_static_selectorELNS0_4arch9wavefront6targetE1EEEvSY_.uses_flat_scratch, 0
	.set _ZN7rocprim17ROCPRIM_400000_NS6detail17trampoline_kernelINS0_13select_configILj256ELj13ELNS0_17block_load_methodE3ELS4_3ELS4_3ELNS0_20block_scan_algorithmE0ELj4294967295EEENS1_25partition_config_selectorILNS1_17partition_subalgoE3EjNS0_10empty_typeEbEEZZNS1_14partition_implILS8_3ELb0ES6_jNS0_17counting_iteratorIjlEEPS9_SE_NS0_5tupleIJPjSE_EEENSF_IJSE_SE_EEES9_SG_JZNS1_25segmented_radix_sort_implINS0_14default_configELb1EPKiPiPKlPlN2at6native12_GLOBAL__N_18offset_tEEE10hipError_tPvRmT1_PNSt15iterator_traitsISY_E10value_typeET2_T3_PNSZ_IS14_E10value_typeET4_jRbjT5_S1A_jjP12ihipStream_tbEUljE_EEESV_SW_SX_S14_S18_S1A_T6_T7_T9_mT8_S1C_bDpT10_ENKUlT_T0_E_clISt17integral_constantIbLb1EES1P_EEDaS1K_S1L_EUlS1K_E_NS1_11comp_targetILNS1_3genE8ELNS1_11target_archE1030ELNS1_3gpuE2ELNS1_3repE0EEENS1_30default_config_static_selectorELNS0_4arch9wavefront6targetE1EEEvSY_.has_dyn_sized_stack, 0
	.set _ZN7rocprim17ROCPRIM_400000_NS6detail17trampoline_kernelINS0_13select_configILj256ELj13ELNS0_17block_load_methodE3ELS4_3ELS4_3ELNS0_20block_scan_algorithmE0ELj4294967295EEENS1_25partition_config_selectorILNS1_17partition_subalgoE3EjNS0_10empty_typeEbEEZZNS1_14partition_implILS8_3ELb0ES6_jNS0_17counting_iteratorIjlEEPS9_SE_NS0_5tupleIJPjSE_EEENSF_IJSE_SE_EEES9_SG_JZNS1_25segmented_radix_sort_implINS0_14default_configELb1EPKiPiPKlPlN2at6native12_GLOBAL__N_18offset_tEEE10hipError_tPvRmT1_PNSt15iterator_traitsISY_E10value_typeET2_T3_PNSZ_IS14_E10value_typeET4_jRbjT5_S1A_jjP12ihipStream_tbEUljE_EEESV_SW_SX_S14_S18_S1A_T6_T7_T9_mT8_S1C_bDpT10_ENKUlT_T0_E_clISt17integral_constantIbLb1EES1P_EEDaS1K_S1L_EUlS1K_E_NS1_11comp_targetILNS1_3genE8ELNS1_11target_archE1030ELNS1_3gpuE2ELNS1_3repE0EEENS1_30default_config_static_selectorELNS0_4arch9wavefront6targetE1EEEvSY_.has_recursion, 0
	.set _ZN7rocprim17ROCPRIM_400000_NS6detail17trampoline_kernelINS0_13select_configILj256ELj13ELNS0_17block_load_methodE3ELS4_3ELS4_3ELNS0_20block_scan_algorithmE0ELj4294967295EEENS1_25partition_config_selectorILNS1_17partition_subalgoE3EjNS0_10empty_typeEbEEZZNS1_14partition_implILS8_3ELb0ES6_jNS0_17counting_iteratorIjlEEPS9_SE_NS0_5tupleIJPjSE_EEENSF_IJSE_SE_EEES9_SG_JZNS1_25segmented_radix_sort_implINS0_14default_configELb1EPKiPiPKlPlN2at6native12_GLOBAL__N_18offset_tEEE10hipError_tPvRmT1_PNSt15iterator_traitsISY_E10value_typeET2_T3_PNSZ_IS14_E10value_typeET4_jRbjT5_S1A_jjP12ihipStream_tbEUljE_EEESV_SW_SX_S14_S18_S1A_T6_T7_T9_mT8_S1C_bDpT10_ENKUlT_T0_E_clISt17integral_constantIbLb1EES1P_EEDaS1K_S1L_EUlS1K_E_NS1_11comp_targetILNS1_3genE8ELNS1_11target_archE1030ELNS1_3gpuE2ELNS1_3repE0EEENS1_30default_config_static_selectorELNS0_4arch9wavefront6targetE1EEEvSY_.has_indirect_call, 0
	.section	.AMDGPU.csdata,"",@progbits
; Kernel info:
; codeLenInByte = 0
; TotalNumSgprs: 4
; NumVgprs: 0
; ScratchSize: 0
; MemoryBound: 0
; FloatMode: 240
; IeeeMode: 1
; LDSByteSize: 0 bytes/workgroup (compile time only)
; SGPRBlocks: 0
; VGPRBlocks: 0
; NumSGPRsForWavesPerEU: 4
; NumVGPRsForWavesPerEU: 1
; Occupancy: 10
; WaveLimiterHint : 0
; COMPUTE_PGM_RSRC2:SCRATCH_EN: 0
; COMPUTE_PGM_RSRC2:USER_SGPR: 6
; COMPUTE_PGM_RSRC2:TRAP_HANDLER: 0
; COMPUTE_PGM_RSRC2:TGID_X_EN: 1
; COMPUTE_PGM_RSRC2:TGID_Y_EN: 0
; COMPUTE_PGM_RSRC2:TGID_Z_EN: 0
; COMPUTE_PGM_RSRC2:TIDIG_COMP_CNT: 0
	.section	.text._ZN7rocprim17ROCPRIM_400000_NS6detail17trampoline_kernelINS0_13select_configILj256ELj13ELNS0_17block_load_methodE3ELS4_3ELS4_3ELNS0_20block_scan_algorithmE0ELj4294967295EEENS1_25partition_config_selectorILNS1_17partition_subalgoE3EjNS0_10empty_typeEbEEZZNS1_14partition_implILS8_3ELb0ES6_jNS0_17counting_iteratorIjlEEPS9_SE_NS0_5tupleIJPjSE_EEENSF_IJSE_SE_EEES9_SG_JZNS1_25segmented_radix_sort_implINS0_14default_configELb1EPKiPiPKlPlN2at6native12_GLOBAL__N_18offset_tEEE10hipError_tPvRmT1_PNSt15iterator_traitsISY_E10value_typeET2_T3_PNSZ_IS14_E10value_typeET4_jRbjT5_S1A_jjP12ihipStream_tbEUljE_EEESV_SW_SX_S14_S18_S1A_T6_T7_T9_mT8_S1C_bDpT10_ENKUlT_T0_E_clISt17integral_constantIbLb1EES1O_IbLb0EEEEDaS1K_S1L_EUlS1K_E_NS1_11comp_targetILNS1_3genE0ELNS1_11target_archE4294967295ELNS1_3gpuE0ELNS1_3repE0EEENS1_30default_config_static_selectorELNS0_4arch9wavefront6targetE1EEEvSY_,"axG",@progbits,_ZN7rocprim17ROCPRIM_400000_NS6detail17trampoline_kernelINS0_13select_configILj256ELj13ELNS0_17block_load_methodE3ELS4_3ELS4_3ELNS0_20block_scan_algorithmE0ELj4294967295EEENS1_25partition_config_selectorILNS1_17partition_subalgoE3EjNS0_10empty_typeEbEEZZNS1_14partition_implILS8_3ELb0ES6_jNS0_17counting_iteratorIjlEEPS9_SE_NS0_5tupleIJPjSE_EEENSF_IJSE_SE_EEES9_SG_JZNS1_25segmented_radix_sort_implINS0_14default_configELb1EPKiPiPKlPlN2at6native12_GLOBAL__N_18offset_tEEE10hipError_tPvRmT1_PNSt15iterator_traitsISY_E10value_typeET2_T3_PNSZ_IS14_E10value_typeET4_jRbjT5_S1A_jjP12ihipStream_tbEUljE_EEESV_SW_SX_S14_S18_S1A_T6_T7_T9_mT8_S1C_bDpT10_ENKUlT_T0_E_clISt17integral_constantIbLb1EES1O_IbLb0EEEEDaS1K_S1L_EUlS1K_E_NS1_11comp_targetILNS1_3genE0ELNS1_11target_archE4294967295ELNS1_3gpuE0ELNS1_3repE0EEENS1_30default_config_static_selectorELNS0_4arch9wavefront6targetE1EEEvSY_,comdat
	.globl	_ZN7rocprim17ROCPRIM_400000_NS6detail17trampoline_kernelINS0_13select_configILj256ELj13ELNS0_17block_load_methodE3ELS4_3ELS4_3ELNS0_20block_scan_algorithmE0ELj4294967295EEENS1_25partition_config_selectorILNS1_17partition_subalgoE3EjNS0_10empty_typeEbEEZZNS1_14partition_implILS8_3ELb0ES6_jNS0_17counting_iteratorIjlEEPS9_SE_NS0_5tupleIJPjSE_EEENSF_IJSE_SE_EEES9_SG_JZNS1_25segmented_radix_sort_implINS0_14default_configELb1EPKiPiPKlPlN2at6native12_GLOBAL__N_18offset_tEEE10hipError_tPvRmT1_PNSt15iterator_traitsISY_E10value_typeET2_T3_PNSZ_IS14_E10value_typeET4_jRbjT5_S1A_jjP12ihipStream_tbEUljE_EEESV_SW_SX_S14_S18_S1A_T6_T7_T9_mT8_S1C_bDpT10_ENKUlT_T0_E_clISt17integral_constantIbLb1EES1O_IbLb0EEEEDaS1K_S1L_EUlS1K_E_NS1_11comp_targetILNS1_3genE0ELNS1_11target_archE4294967295ELNS1_3gpuE0ELNS1_3repE0EEENS1_30default_config_static_selectorELNS0_4arch9wavefront6targetE1EEEvSY_ ; -- Begin function _ZN7rocprim17ROCPRIM_400000_NS6detail17trampoline_kernelINS0_13select_configILj256ELj13ELNS0_17block_load_methodE3ELS4_3ELS4_3ELNS0_20block_scan_algorithmE0ELj4294967295EEENS1_25partition_config_selectorILNS1_17partition_subalgoE3EjNS0_10empty_typeEbEEZZNS1_14partition_implILS8_3ELb0ES6_jNS0_17counting_iteratorIjlEEPS9_SE_NS0_5tupleIJPjSE_EEENSF_IJSE_SE_EEES9_SG_JZNS1_25segmented_radix_sort_implINS0_14default_configELb1EPKiPiPKlPlN2at6native12_GLOBAL__N_18offset_tEEE10hipError_tPvRmT1_PNSt15iterator_traitsISY_E10value_typeET2_T3_PNSZ_IS14_E10value_typeET4_jRbjT5_S1A_jjP12ihipStream_tbEUljE_EEESV_SW_SX_S14_S18_S1A_T6_T7_T9_mT8_S1C_bDpT10_ENKUlT_T0_E_clISt17integral_constantIbLb1EES1O_IbLb0EEEEDaS1K_S1L_EUlS1K_E_NS1_11comp_targetILNS1_3genE0ELNS1_11target_archE4294967295ELNS1_3gpuE0ELNS1_3repE0EEENS1_30default_config_static_selectorELNS0_4arch9wavefront6targetE1EEEvSY_
	.p2align	8
	.type	_ZN7rocprim17ROCPRIM_400000_NS6detail17trampoline_kernelINS0_13select_configILj256ELj13ELNS0_17block_load_methodE3ELS4_3ELS4_3ELNS0_20block_scan_algorithmE0ELj4294967295EEENS1_25partition_config_selectorILNS1_17partition_subalgoE3EjNS0_10empty_typeEbEEZZNS1_14partition_implILS8_3ELb0ES6_jNS0_17counting_iteratorIjlEEPS9_SE_NS0_5tupleIJPjSE_EEENSF_IJSE_SE_EEES9_SG_JZNS1_25segmented_radix_sort_implINS0_14default_configELb1EPKiPiPKlPlN2at6native12_GLOBAL__N_18offset_tEEE10hipError_tPvRmT1_PNSt15iterator_traitsISY_E10value_typeET2_T3_PNSZ_IS14_E10value_typeET4_jRbjT5_S1A_jjP12ihipStream_tbEUljE_EEESV_SW_SX_S14_S18_S1A_T6_T7_T9_mT8_S1C_bDpT10_ENKUlT_T0_E_clISt17integral_constantIbLb1EES1O_IbLb0EEEEDaS1K_S1L_EUlS1K_E_NS1_11comp_targetILNS1_3genE0ELNS1_11target_archE4294967295ELNS1_3gpuE0ELNS1_3repE0EEENS1_30default_config_static_selectorELNS0_4arch9wavefront6targetE1EEEvSY_,@function
_ZN7rocprim17ROCPRIM_400000_NS6detail17trampoline_kernelINS0_13select_configILj256ELj13ELNS0_17block_load_methodE3ELS4_3ELS4_3ELNS0_20block_scan_algorithmE0ELj4294967295EEENS1_25partition_config_selectorILNS1_17partition_subalgoE3EjNS0_10empty_typeEbEEZZNS1_14partition_implILS8_3ELb0ES6_jNS0_17counting_iteratorIjlEEPS9_SE_NS0_5tupleIJPjSE_EEENSF_IJSE_SE_EEES9_SG_JZNS1_25segmented_radix_sort_implINS0_14default_configELb1EPKiPiPKlPlN2at6native12_GLOBAL__N_18offset_tEEE10hipError_tPvRmT1_PNSt15iterator_traitsISY_E10value_typeET2_T3_PNSZ_IS14_E10value_typeET4_jRbjT5_S1A_jjP12ihipStream_tbEUljE_EEESV_SW_SX_S14_S18_S1A_T6_T7_T9_mT8_S1C_bDpT10_ENKUlT_T0_E_clISt17integral_constantIbLb1EES1O_IbLb0EEEEDaS1K_S1L_EUlS1K_E_NS1_11comp_targetILNS1_3genE0ELNS1_11target_archE4294967295ELNS1_3gpuE0ELNS1_3repE0EEENS1_30default_config_static_selectorELNS0_4arch9wavefront6targetE1EEEvSY_: ; @_ZN7rocprim17ROCPRIM_400000_NS6detail17trampoline_kernelINS0_13select_configILj256ELj13ELNS0_17block_load_methodE3ELS4_3ELS4_3ELNS0_20block_scan_algorithmE0ELj4294967295EEENS1_25partition_config_selectorILNS1_17partition_subalgoE3EjNS0_10empty_typeEbEEZZNS1_14partition_implILS8_3ELb0ES6_jNS0_17counting_iteratorIjlEEPS9_SE_NS0_5tupleIJPjSE_EEENSF_IJSE_SE_EEES9_SG_JZNS1_25segmented_radix_sort_implINS0_14default_configELb1EPKiPiPKlPlN2at6native12_GLOBAL__N_18offset_tEEE10hipError_tPvRmT1_PNSt15iterator_traitsISY_E10value_typeET2_T3_PNSZ_IS14_E10value_typeET4_jRbjT5_S1A_jjP12ihipStream_tbEUljE_EEESV_SW_SX_S14_S18_S1A_T6_T7_T9_mT8_S1C_bDpT10_ENKUlT_T0_E_clISt17integral_constantIbLb1EES1O_IbLb0EEEEDaS1K_S1L_EUlS1K_E_NS1_11comp_targetILNS1_3genE0ELNS1_11target_archE4294967295ELNS1_3gpuE0ELNS1_3repE0EEENS1_30default_config_static_selectorELNS0_4arch9wavefront6targetE1EEEvSY_
; %bb.0:
	.section	.rodata,"a",@progbits
	.p2align	6, 0x0
	.amdhsa_kernel _ZN7rocprim17ROCPRIM_400000_NS6detail17trampoline_kernelINS0_13select_configILj256ELj13ELNS0_17block_load_methodE3ELS4_3ELS4_3ELNS0_20block_scan_algorithmE0ELj4294967295EEENS1_25partition_config_selectorILNS1_17partition_subalgoE3EjNS0_10empty_typeEbEEZZNS1_14partition_implILS8_3ELb0ES6_jNS0_17counting_iteratorIjlEEPS9_SE_NS0_5tupleIJPjSE_EEENSF_IJSE_SE_EEES9_SG_JZNS1_25segmented_radix_sort_implINS0_14default_configELb1EPKiPiPKlPlN2at6native12_GLOBAL__N_18offset_tEEE10hipError_tPvRmT1_PNSt15iterator_traitsISY_E10value_typeET2_T3_PNSZ_IS14_E10value_typeET4_jRbjT5_S1A_jjP12ihipStream_tbEUljE_EEESV_SW_SX_S14_S18_S1A_T6_T7_T9_mT8_S1C_bDpT10_ENKUlT_T0_E_clISt17integral_constantIbLb1EES1O_IbLb0EEEEDaS1K_S1L_EUlS1K_E_NS1_11comp_targetILNS1_3genE0ELNS1_11target_archE4294967295ELNS1_3gpuE0ELNS1_3repE0EEENS1_30default_config_static_selectorELNS0_4arch9wavefront6targetE1EEEvSY_
		.amdhsa_group_segment_fixed_size 0
		.amdhsa_private_segment_fixed_size 0
		.amdhsa_kernarg_size 144
		.amdhsa_user_sgpr_count 6
		.amdhsa_user_sgpr_private_segment_buffer 1
		.amdhsa_user_sgpr_dispatch_ptr 0
		.amdhsa_user_sgpr_queue_ptr 0
		.amdhsa_user_sgpr_kernarg_segment_ptr 1
		.amdhsa_user_sgpr_dispatch_id 0
		.amdhsa_user_sgpr_flat_scratch_init 0
		.amdhsa_user_sgpr_private_segment_size 0
		.amdhsa_uses_dynamic_stack 0
		.amdhsa_system_sgpr_private_segment_wavefront_offset 0
		.amdhsa_system_sgpr_workgroup_id_x 1
		.amdhsa_system_sgpr_workgroup_id_y 0
		.amdhsa_system_sgpr_workgroup_id_z 0
		.amdhsa_system_sgpr_workgroup_info 0
		.amdhsa_system_vgpr_workitem_id 0
		.amdhsa_next_free_vgpr 1
		.amdhsa_next_free_sgpr 0
		.amdhsa_reserve_vcc 0
		.amdhsa_reserve_flat_scratch 0
		.amdhsa_float_round_mode_32 0
		.amdhsa_float_round_mode_16_64 0
		.amdhsa_float_denorm_mode_32 3
		.amdhsa_float_denorm_mode_16_64 3
		.amdhsa_dx10_clamp 1
		.amdhsa_ieee_mode 1
		.amdhsa_fp16_overflow 0
		.amdhsa_exception_fp_ieee_invalid_op 0
		.amdhsa_exception_fp_denorm_src 0
		.amdhsa_exception_fp_ieee_div_zero 0
		.amdhsa_exception_fp_ieee_overflow 0
		.amdhsa_exception_fp_ieee_underflow 0
		.amdhsa_exception_fp_ieee_inexact 0
		.amdhsa_exception_int_div_zero 0
	.end_amdhsa_kernel
	.section	.text._ZN7rocprim17ROCPRIM_400000_NS6detail17trampoline_kernelINS0_13select_configILj256ELj13ELNS0_17block_load_methodE3ELS4_3ELS4_3ELNS0_20block_scan_algorithmE0ELj4294967295EEENS1_25partition_config_selectorILNS1_17partition_subalgoE3EjNS0_10empty_typeEbEEZZNS1_14partition_implILS8_3ELb0ES6_jNS0_17counting_iteratorIjlEEPS9_SE_NS0_5tupleIJPjSE_EEENSF_IJSE_SE_EEES9_SG_JZNS1_25segmented_radix_sort_implINS0_14default_configELb1EPKiPiPKlPlN2at6native12_GLOBAL__N_18offset_tEEE10hipError_tPvRmT1_PNSt15iterator_traitsISY_E10value_typeET2_T3_PNSZ_IS14_E10value_typeET4_jRbjT5_S1A_jjP12ihipStream_tbEUljE_EEESV_SW_SX_S14_S18_S1A_T6_T7_T9_mT8_S1C_bDpT10_ENKUlT_T0_E_clISt17integral_constantIbLb1EES1O_IbLb0EEEEDaS1K_S1L_EUlS1K_E_NS1_11comp_targetILNS1_3genE0ELNS1_11target_archE4294967295ELNS1_3gpuE0ELNS1_3repE0EEENS1_30default_config_static_selectorELNS0_4arch9wavefront6targetE1EEEvSY_,"axG",@progbits,_ZN7rocprim17ROCPRIM_400000_NS6detail17trampoline_kernelINS0_13select_configILj256ELj13ELNS0_17block_load_methodE3ELS4_3ELS4_3ELNS0_20block_scan_algorithmE0ELj4294967295EEENS1_25partition_config_selectorILNS1_17partition_subalgoE3EjNS0_10empty_typeEbEEZZNS1_14partition_implILS8_3ELb0ES6_jNS0_17counting_iteratorIjlEEPS9_SE_NS0_5tupleIJPjSE_EEENSF_IJSE_SE_EEES9_SG_JZNS1_25segmented_radix_sort_implINS0_14default_configELb1EPKiPiPKlPlN2at6native12_GLOBAL__N_18offset_tEEE10hipError_tPvRmT1_PNSt15iterator_traitsISY_E10value_typeET2_T3_PNSZ_IS14_E10value_typeET4_jRbjT5_S1A_jjP12ihipStream_tbEUljE_EEESV_SW_SX_S14_S18_S1A_T6_T7_T9_mT8_S1C_bDpT10_ENKUlT_T0_E_clISt17integral_constantIbLb1EES1O_IbLb0EEEEDaS1K_S1L_EUlS1K_E_NS1_11comp_targetILNS1_3genE0ELNS1_11target_archE4294967295ELNS1_3gpuE0ELNS1_3repE0EEENS1_30default_config_static_selectorELNS0_4arch9wavefront6targetE1EEEvSY_,comdat
.Lfunc_end481:
	.size	_ZN7rocprim17ROCPRIM_400000_NS6detail17trampoline_kernelINS0_13select_configILj256ELj13ELNS0_17block_load_methodE3ELS4_3ELS4_3ELNS0_20block_scan_algorithmE0ELj4294967295EEENS1_25partition_config_selectorILNS1_17partition_subalgoE3EjNS0_10empty_typeEbEEZZNS1_14partition_implILS8_3ELb0ES6_jNS0_17counting_iteratorIjlEEPS9_SE_NS0_5tupleIJPjSE_EEENSF_IJSE_SE_EEES9_SG_JZNS1_25segmented_radix_sort_implINS0_14default_configELb1EPKiPiPKlPlN2at6native12_GLOBAL__N_18offset_tEEE10hipError_tPvRmT1_PNSt15iterator_traitsISY_E10value_typeET2_T3_PNSZ_IS14_E10value_typeET4_jRbjT5_S1A_jjP12ihipStream_tbEUljE_EEESV_SW_SX_S14_S18_S1A_T6_T7_T9_mT8_S1C_bDpT10_ENKUlT_T0_E_clISt17integral_constantIbLb1EES1O_IbLb0EEEEDaS1K_S1L_EUlS1K_E_NS1_11comp_targetILNS1_3genE0ELNS1_11target_archE4294967295ELNS1_3gpuE0ELNS1_3repE0EEENS1_30default_config_static_selectorELNS0_4arch9wavefront6targetE1EEEvSY_, .Lfunc_end481-_ZN7rocprim17ROCPRIM_400000_NS6detail17trampoline_kernelINS0_13select_configILj256ELj13ELNS0_17block_load_methodE3ELS4_3ELS4_3ELNS0_20block_scan_algorithmE0ELj4294967295EEENS1_25partition_config_selectorILNS1_17partition_subalgoE3EjNS0_10empty_typeEbEEZZNS1_14partition_implILS8_3ELb0ES6_jNS0_17counting_iteratorIjlEEPS9_SE_NS0_5tupleIJPjSE_EEENSF_IJSE_SE_EEES9_SG_JZNS1_25segmented_radix_sort_implINS0_14default_configELb1EPKiPiPKlPlN2at6native12_GLOBAL__N_18offset_tEEE10hipError_tPvRmT1_PNSt15iterator_traitsISY_E10value_typeET2_T3_PNSZ_IS14_E10value_typeET4_jRbjT5_S1A_jjP12ihipStream_tbEUljE_EEESV_SW_SX_S14_S18_S1A_T6_T7_T9_mT8_S1C_bDpT10_ENKUlT_T0_E_clISt17integral_constantIbLb1EES1O_IbLb0EEEEDaS1K_S1L_EUlS1K_E_NS1_11comp_targetILNS1_3genE0ELNS1_11target_archE4294967295ELNS1_3gpuE0ELNS1_3repE0EEENS1_30default_config_static_selectorELNS0_4arch9wavefront6targetE1EEEvSY_
                                        ; -- End function
	.set _ZN7rocprim17ROCPRIM_400000_NS6detail17trampoline_kernelINS0_13select_configILj256ELj13ELNS0_17block_load_methodE3ELS4_3ELS4_3ELNS0_20block_scan_algorithmE0ELj4294967295EEENS1_25partition_config_selectorILNS1_17partition_subalgoE3EjNS0_10empty_typeEbEEZZNS1_14partition_implILS8_3ELb0ES6_jNS0_17counting_iteratorIjlEEPS9_SE_NS0_5tupleIJPjSE_EEENSF_IJSE_SE_EEES9_SG_JZNS1_25segmented_radix_sort_implINS0_14default_configELb1EPKiPiPKlPlN2at6native12_GLOBAL__N_18offset_tEEE10hipError_tPvRmT1_PNSt15iterator_traitsISY_E10value_typeET2_T3_PNSZ_IS14_E10value_typeET4_jRbjT5_S1A_jjP12ihipStream_tbEUljE_EEESV_SW_SX_S14_S18_S1A_T6_T7_T9_mT8_S1C_bDpT10_ENKUlT_T0_E_clISt17integral_constantIbLb1EES1O_IbLb0EEEEDaS1K_S1L_EUlS1K_E_NS1_11comp_targetILNS1_3genE0ELNS1_11target_archE4294967295ELNS1_3gpuE0ELNS1_3repE0EEENS1_30default_config_static_selectorELNS0_4arch9wavefront6targetE1EEEvSY_.num_vgpr, 0
	.set _ZN7rocprim17ROCPRIM_400000_NS6detail17trampoline_kernelINS0_13select_configILj256ELj13ELNS0_17block_load_methodE3ELS4_3ELS4_3ELNS0_20block_scan_algorithmE0ELj4294967295EEENS1_25partition_config_selectorILNS1_17partition_subalgoE3EjNS0_10empty_typeEbEEZZNS1_14partition_implILS8_3ELb0ES6_jNS0_17counting_iteratorIjlEEPS9_SE_NS0_5tupleIJPjSE_EEENSF_IJSE_SE_EEES9_SG_JZNS1_25segmented_radix_sort_implINS0_14default_configELb1EPKiPiPKlPlN2at6native12_GLOBAL__N_18offset_tEEE10hipError_tPvRmT1_PNSt15iterator_traitsISY_E10value_typeET2_T3_PNSZ_IS14_E10value_typeET4_jRbjT5_S1A_jjP12ihipStream_tbEUljE_EEESV_SW_SX_S14_S18_S1A_T6_T7_T9_mT8_S1C_bDpT10_ENKUlT_T0_E_clISt17integral_constantIbLb1EES1O_IbLb0EEEEDaS1K_S1L_EUlS1K_E_NS1_11comp_targetILNS1_3genE0ELNS1_11target_archE4294967295ELNS1_3gpuE0ELNS1_3repE0EEENS1_30default_config_static_selectorELNS0_4arch9wavefront6targetE1EEEvSY_.num_agpr, 0
	.set _ZN7rocprim17ROCPRIM_400000_NS6detail17trampoline_kernelINS0_13select_configILj256ELj13ELNS0_17block_load_methodE3ELS4_3ELS4_3ELNS0_20block_scan_algorithmE0ELj4294967295EEENS1_25partition_config_selectorILNS1_17partition_subalgoE3EjNS0_10empty_typeEbEEZZNS1_14partition_implILS8_3ELb0ES6_jNS0_17counting_iteratorIjlEEPS9_SE_NS0_5tupleIJPjSE_EEENSF_IJSE_SE_EEES9_SG_JZNS1_25segmented_radix_sort_implINS0_14default_configELb1EPKiPiPKlPlN2at6native12_GLOBAL__N_18offset_tEEE10hipError_tPvRmT1_PNSt15iterator_traitsISY_E10value_typeET2_T3_PNSZ_IS14_E10value_typeET4_jRbjT5_S1A_jjP12ihipStream_tbEUljE_EEESV_SW_SX_S14_S18_S1A_T6_T7_T9_mT8_S1C_bDpT10_ENKUlT_T0_E_clISt17integral_constantIbLb1EES1O_IbLb0EEEEDaS1K_S1L_EUlS1K_E_NS1_11comp_targetILNS1_3genE0ELNS1_11target_archE4294967295ELNS1_3gpuE0ELNS1_3repE0EEENS1_30default_config_static_selectorELNS0_4arch9wavefront6targetE1EEEvSY_.numbered_sgpr, 0
	.set _ZN7rocprim17ROCPRIM_400000_NS6detail17trampoline_kernelINS0_13select_configILj256ELj13ELNS0_17block_load_methodE3ELS4_3ELS4_3ELNS0_20block_scan_algorithmE0ELj4294967295EEENS1_25partition_config_selectorILNS1_17partition_subalgoE3EjNS0_10empty_typeEbEEZZNS1_14partition_implILS8_3ELb0ES6_jNS0_17counting_iteratorIjlEEPS9_SE_NS0_5tupleIJPjSE_EEENSF_IJSE_SE_EEES9_SG_JZNS1_25segmented_radix_sort_implINS0_14default_configELb1EPKiPiPKlPlN2at6native12_GLOBAL__N_18offset_tEEE10hipError_tPvRmT1_PNSt15iterator_traitsISY_E10value_typeET2_T3_PNSZ_IS14_E10value_typeET4_jRbjT5_S1A_jjP12ihipStream_tbEUljE_EEESV_SW_SX_S14_S18_S1A_T6_T7_T9_mT8_S1C_bDpT10_ENKUlT_T0_E_clISt17integral_constantIbLb1EES1O_IbLb0EEEEDaS1K_S1L_EUlS1K_E_NS1_11comp_targetILNS1_3genE0ELNS1_11target_archE4294967295ELNS1_3gpuE0ELNS1_3repE0EEENS1_30default_config_static_selectorELNS0_4arch9wavefront6targetE1EEEvSY_.num_named_barrier, 0
	.set _ZN7rocprim17ROCPRIM_400000_NS6detail17trampoline_kernelINS0_13select_configILj256ELj13ELNS0_17block_load_methodE3ELS4_3ELS4_3ELNS0_20block_scan_algorithmE0ELj4294967295EEENS1_25partition_config_selectorILNS1_17partition_subalgoE3EjNS0_10empty_typeEbEEZZNS1_14partition_implILS8_3ELb0ES6_jNS0_17counting_iteratorIjlEEPS9_SE_NS0_5tupleIJPjSE_EEENSF_IJSE_SE_EEES9_SG_JZNS1_25segmented_radix_sort_implINS0_14default_configELb1EPKiPiPKlPlN2at6native12_GLOBAL__N_18offset_tEEE10hipError_tPvRmT1_PNSt15iterator_traitsISY_E10value_typeET2_T3_PNSZ_IS14_E10value_typeET4_jRbjT5_S1A_jjP12ihipStream_tbEUljE_EEESV_SW_SX_S14_S18_S1A_T6_T7_T9_mT8_S1C_bDpT10_ENKUlT_T0_E_clISt17integral_constantIbLb1EES1O_IbLb0EEEEDaS1K_S1L_EUlS1K_E_NS1_11comp_targetILNS1_3genE0ELNS1_11target_archE4294967295ELNS1_3gpuE0ELNS1_3repE0EEENS1_30default_config_static_selectorELNS0_4arch9wavefront6targetE1EEEvSY_.private_seg_size, 0
	.set _ZN7rocprim17ROCPRIM_400000_NS6detail17trampoline_kernelINS0_13select_configILj256ELj13ELNS0_17block_load_methodE3ELS4_3ELS4_3ELNS0_20block_scan_algorithmE0ELj4294967295EEENS1_25partition_config_selectorILNS1_17partition_subalgoE3EjNS0_10empty_typeEbEEZZNS1_14partition_implILS8_3ELb0ES6_jNS0_17counting_iteratorIjlEEPS9_SE_NS0_5tupleIJPjSE_EEENSF_IJSE_SE_EEES9_SG_JZNS1_25segmented_radix_sort_implINS0_14default_configELb1EPKiPiPKlPlN2at6native12_GLOBAL__N_18offset_tEEE10hipError_tPvRmT1_PNSt15iterator_traitsISY_E10value_typeET2_T3_PNSZ_IS14_E10value_typeET4_jRbjT5_S1A_jjP12ihipStream_tbEUljE_EEESV_SW_SX_S14_S18_S1A_T6_T7_T9_mT8_S1C_bDpT10_ENKUlT_T0_E_clISt17integral_constantIbLb1EES1O_IbLb0EEEEDaS1K_S1L_EUlS1K_E_NS1_11comp_targetILNS1_3genE0ELNS1_11target_archE4294967295ELNS1_3gpuE0ELNS1_3repE0EEENS1_30default_config_static_selectorELNS0_4arch9wavefront6targetE1EEEvSY_.uses_vcc, 0
	.set _ZN7rocprim17ROCPRIM_400000_NS6detail17trampoline_kernelINS0_13select_configILj256ELj13ELNS0_17block_load_methodE3ELS4_3ELS4_3ELNS0_20block_scan_algorithmE0ELj4294967295EEENS1_25partition_config_selectorILNS1_17partition_subalgoE3EjNS0_10empty_typeEbEEZZNS1_14partition_implILS8_3ELb0ES6_jNS0_17counting_iteratorIjlEEPS9_SE_NS0_5tupleIJPjSE_EEENSF_IJSE_SE_EEES9_SG_JZNS1_25segmented_radix_sort_implINS0_14default_configELb1EPKiPiPKlPlN2at6native12_GLOBAL__N_18offset_tEEE10hipError_tPvRmT1_PNSt15iterator_traitsISY_E10value_typeET2_T3_PNSZ_IS14_E10value_typeET4_jRbjT5_S1A_jjP12ihipStream_tbEUljE_EEESV_SW_SX_S14_S18_S1A_T6_T7_T9_mT8_S1C_bDpT10_ENKUlT_T0_E_clISt17integral_constantIbLb1EES1O_IbLb0EEEEDaS1K_S1L_EUlS1K_E_NS1_11comp_targetILNS1_3genE0ELNS1_11target_archE4294967295ELNS1_3gpuE0ELNS1_3repE0EEENS1_30default_config_static_selectorELNS0_4arch9wavefront6targetE1EEEvSY_.uses_flat_scratch, 0
	.set _ZN7rocprim17ROCPRIM_400000_NS6detail17trampoline_kernelINS0_13select_configILj256ELj13ELNS0_17block_load_methodE3ELS4_3ELS4_3ELNS0_20block_scan_algorithmE0ELj4294967295EEENS1_25partition_config_selectorILNS1_17partition_subalgoE3EjNS0_10empty_typeEbEEZZNS1_14partition_implILS8_3ELb0ES6_jNS0_17counting_iteratorIjlEEPS9_SE_NS0_5tupleIJPjSE_EEENSF_IJSE_SE_EEES9_SG_JZNS1_25segmented_radix_sort_implINS0_14default_configELb1EPKiPiPKlPlN2at6native12_GLOBAL__N_18offset_tEEE10hipError_tPvRmT1_PNSt15iterator_traitsISY_E10value_typeET2_T3_PNSZ_IS14_E10value_typeET4_jRbjT5_S1A_jjP12ihipStream_tbEUljE_EEESV_SW_SX_S14_S18_S1A_T6_T7_T9_mT8_S1C_bDpT10_ENKUlT_T0_E_clISt17integral_constantIbLb1EES1O_IbLb0EEEEDaS1K_S1L_EUlS1K_E_NS1_11comp_targetILNS1_3genE0ELNS1_11target_archE4294967295ELNS1_3gpuE0ELNS1_3repE0EEENS1_30default_config_static_selectorELNS0_4arch9wavefront6targetE1EEEvSY_.has_dyn_sized_stack, 0
	.set _ZN7rocprim17ROCPRIM_400000_NS6detail17trampoline_kernelINS0_13select_configILj256ELj13ELNS0_17block_load_methodE3ELS4_3ELS4_3ELNS0_20block_scan_algorithmE0ELj4294967295EEENS1_25partition_config_selectorILNS1_17partition_subalgoE3EjNS0_10empty_typeEbEEZZNS1_14partition_implILS8_3ELb0ES6_jNS0_17counting_iteratorIjlEEPS9_SE_NS0_5tupleIJPjSE_EEENSF_IJSE_SE_EEES9_SG_JZNS1_25segmented_radix_sort_implINS0_14default_configELb1EPKiPiPKlPlN2at6native12_GLOBAL__N_18offset_tEEE10hipError_tPvRmT1_PNSt15iterator_traitsISY_E10value_typeET2_T3_PNSZ_IS14_E10value_typeET4_jRbjT5_S1A_jjP12ihipStream_tbEUljE_EEESV_SW_SX_S14_S18_S1A_T6_T7_T9_mT8_S1C_bDpT10_ENKUlT_T0_E_clISt17integral_constantIbLb1EES1O_IbLb0EEEEDaS1K_S1L_EUlS1K_E_NS1_11comp_targetILNS1_3genE0ELNS1_11target_archE4294967295ELNS1_3gpuE0ELNS1_3repE0EEENS1_30default_config_static_selectorELNS0_4arch9wavefront6targetE1EEEvSY_.has_recursion, 0
	.set _ZN7rocprim17ROCPRIM_400000_NS6detail17trampoline_kernelINS0_13select_configILj256ELj13ELNS0_17block_load_methodE3ELS4_3ELS4_3ELNS0_20block_scan_algorithmE0ELj4294967295EEENS1_25partition_config_selectorILNS1_17partition_subalgoE3EjNS0_10empty_typeEbEEZZNS1_14partition_implILS8_3ELb0ES6_jNS0_17counting_iteratorIjlEEPS9_SE_NS0_5tupleIJPjSE_EEENSF_IJSE_SE_EEES9_SG_JZNS1_25segmented_radix_sort_implINS0_14default_configELb1EPKiPiPKlPlN2at6native12_GLOBAL__N_18offset_tEEE10hipError_tPvRmT1_PNSt15iterator_traitsISY_E10value_typeET2_T3_PNSZ_IS14_E10value_typeET4_jRbjT5_S1A_jjP12ihipStream_tbEUljE_EEESV_SW_SX_S14_S18_S1A_T6_T7_T9_mT8_S1C_bDpT10_ENKUlT_T0_E_clISt17integral_constantIbLb1EES1O_IbLb0EEEEDaS1K_S1L_EUlS1K_E_NS1_11comp_targetILNS1_3genE0ELNS1_11target_archE4294967295ELNS1_3gpuE0ELNS1_3repE0EEENS1_30default_config_static_selectorELNS0_4arch9wavefront6targetE1EEEvSY_.has_indirect_call, 0
	.section	.AMDGPU.csdata,"",@progbits
; Kernel info:
; codeLenInByte = 0
; TotalNumSgprs: 4
; NumVgprs: 0
; ScratchSize: 0
; MemoryBound: 0
; FloatMode: 240
; IeeeMode: 1
; LDSByteSize: 0 bytes/workgroup (compile time only)
; SGPRBlocks: 0
; VGPRBlocks: 0
; NumSGPRsForWavesPerEU: 4
; NumVGPRsForWavesPerEU: 1
; Occupancy: 10
; WaveLimiterHint : 0
; COMPUTE_PGM_RSRC2:SCRATCH_EN: 0
; COMPUTE_PGM_RSRC2:USER_SGPR: 6
; COMPUTE_PGM_RSRC2:TRAP_HANDLER: 0
; COMPUTE_PGM_RSRC2:TGID_X_EN: 1
; COMPUTE_PGM_RSRC2:TGID_Y_EN: 0
; COMPUTE_PGM_RSRC2:TGID_Z_EN: 0
; COMPUTE_PGM_RSRC2:TIDIG_COMP_CNT: 0
	.section	.text._ZN7rocprim17ROCPRIM_400000_NS6detail17trampoline_kernelINS0_13select_configILj256ELj13ELNS0_17block_load_methodE3ELS4_3ELS4_3ELNS0_20block_scan_algorithmE0ELj4294967295EEENS1_25partition_config_selectorILNS1_17partition_subalgoE3EjNS0_10empty_typeEbEEZZNS1_14partition_implILS8_3ELb0ES6_jNS0_17counting_iteratorIjlEEPS9_SE_NS0_5tupleIJPjSE_EEENSF_IJSE_SE_EEES9_SG_JZNS1_25segmented_radix_sort_implINS0_14default_configELb1EPKiPiPKlPlN2at6native12_GLOBAL__N_18offset_tEEE10hipError_tPvRmT1_PNSt15iterator_traitsISY_E10value_typeET2_T3_PNSZ_IS14_E10value_typeET4_jRbjT5_S1A_jjP12ihipStream_tbEUljE_EEESV_SW_SX_S14_S18_S1A_T6_T7_T9_mT8_S1C_bDpT10_ENKUlT_T0_E_clISt17integral_constantIbLb1EES1O_IbLb0EEEEDaS1K_S1L_EUlS1K_E_NS1_11comp_targetILNS1_3genE5ELNS1_11target_archE942ELNS1_3gpuE9ELNS1_3repE0EEENS1_30default_config_static_selectorELNS0_4arch9wavefront6targetE1EEEvSY_,"axG",@progbits,_ZN7rocprim17ROCPRIM_400000_NS6detail17trampoline_kernelINS0_13select_configILj256ELj13ELNS0_17block_load_methodE3ELS4_3ELS4_3ELNS0_20block_scan_algorithmE0ELj4294967295EEENS1_25partition_config_selectorILNS1_17partition_subalgoE3EjNS0_10empty_typeEbEEZZNS1_14partition_implILS8_3ELb0ES6_jNS0_17counting_iteratorIjlEEPS9_SE_NS0_5tupleIJPjSE_EEENSF_IJSE_SE_EEES9_SG_JZNS1_25segmented_radix_sort_implINS0_14default_configELb1EPKiPiPKlPlN2at6native12_GLOBAL__N_18offset_tEEE10hipError_tPvRmT1_PNSt15iterator_traitsISY_E10value_typeET2_T3_PNSZ_IS14_E10value_typeET4_jRbjT5_S1A_jjP12ihipStream_tbEUljE_EEESV_SW_SX_S14_S18_S1A_T6_T7_T9_mT8_S1C_bDpT10_ENKUlT_T0_E_clISt17integral_constantIbLb1EES1O_IbLb0EEEEDaS1K_S1L_EUlS1K_E_NS1_11comp_targetILNS1_3genE5ELNS1_11target_archE942ELNS1_3gpuE9ELNS1_3repE0EEENS1_30default_config_static_selectorELNS0_4arch9wavefront6targetE1EEEvSY_,comdat
	.globl	_ZN7rocprim17ROCPRIM_400000_NS6detail17trampoline_kernelINS0_13select_configILj256ELj13ELNS0_17block_load_methodE3ELS4_3ELS4_3ELNS0_20block_scan_algorithmE0ELj4294967295EEENS1_25partition_config_selectorILNS1_17partition_subalgoE3EjNS0_10empty_typeEbEEZZNS1_14partition_implILS8_3ELb0ES6_jNS0_17counting_iteratorIjlEEPS9_SE_NS0_5tupleIJPjSE_EEENSF_IJSE_SE_EEES9_SG_JZNS1_25segmented_radix_sort_implINS0_14default_configELb1EPKiPiPKlPlN2at6native12_GLOBAL__N_18offset_tEEE10hipError_tPvRmT1_PNSt15iterator_traitsISY_E10value_typeET2_T3_PNSZ_IS14_E10value_typeET4_jRbjT5_S1A_jjP12ihipStream_tbEUljE_EEESV_SW_SX_S14_S18_S1A_T6_T7_T9_mT8_S1C_bDpT10_ENKUlT_T0_E_clISt17integral_constantIbLb1EES1O_IbLb0EEEEDaS1K_S1L_EUlS1K_E_NS1_11comp_targetILNS1_3genE5ELNS1_11target_archE942ELNS1_3gpuE9ELNS1_3repE0EEENS1_30default_config_static_selectorELNS0_4arch9wavefront6targetE1EEEvSY_ ; -- Begin function _ZN7rocprim17ROCPRIM_400000_NS6detail17trampoline_kernelINS0_13select_configILj256ELj13ELNS0_17block_load_methodE3ELS4_3ELS4_3ELNS0_20block_scan_algorithmE0ELj4294967295EEENS1_25partition_config_selectorILNS1_17partition_subalgoE3EjNS0_10empty_typeEbEEZZNS1_14partition_implILS8_3ELb0ES6_jNS0_17counting_iteratorIjlEEPS9_SE_NS0_5tupleIJPjSE_EEENSF_IJSE_SE_EEES9_SG_JZNS1_25segmented_radix_sort_implINS0_14default_configELb1EPKiPiPKlPlN2at6native12_GLOBAL__N_18offset_tEEE10hipError_tPvRmT1_PNSt15iterator_traitsISY_E10value_typeET2_T3_PNSZ_IS14_E10value_typeET4_jRbjT5_S1A_jjP12ihipStream_tbEUljE_EEESV_SW_SX_S14_S18_S1A_T6_T7_T9_mT8_S1C_bDpT10_ENKUlT_T0_E_clISt17integral_constantIbLb1EES1O_IbLb0EEEEDaS1K_S1L_EUlS1K_E_NS1_11comp_targetILNS1_3genE5ELNS1_11target_archE942ELNS1_3gpuE9ELNS1_3repE0EEENS1_30default_config_static_selectorELNS0_4arch9wavefront6targetE1EEEvSY_
	.p2align	8
	.type	_ZN7rocprim17ROCPRIM_400000_NS6detail17trampoline_kernelINS0_13select_configILj256ELj13ELNS0_17block_load_methodE3ELS4_3ELS4_3ELNS0_20block_scan_algorithmE0ELj4294967295EEENS1_25partition_config_selectorILNS1_17partition_subalgoE3EjNS0_10empty_typeEbEEZZNS1_14partition_implILS8_3ELb0ES6_jNS0_17counting_iteratorIjlEEPS9_SE_NS0_5tupleIJPjSE_EEENSF_IJSE_SE_EEES9_SG_JZNS1_25segmented_radix_sort_implINS0_14default_configELb1EPKiPiPKlPlN2at6native12_GLOBAL__N_18offset_tEEE10hipError_tPvRmT1_PNSt15iterator_traitsISY_E10value_typeET2_T3_PNSZ_IS14_E10value_typeET4_jRbjT5_S1A_jjP12ihipStream_tbEUljE_EEESV_SW_SX_S14_S18_S1A_T6_T7_T9_mT8_S1C_bDpT10_ENKUlT_T0_E_clISt17integral_constantIbLb1EES1O_IbLb0EEEEDaS1K_S1L_EUlS1K_E_NS1_11comp_targetILNS1_3genE5ELNS1_11target_archE942ELNS1_3gpuE9ELNS1_3repE0EEENS1_30default_config_static_selectorELNS0_4arch9wavefront6targetE1EEEvSY_,@function
_ZN7rocprim17ROCPRIM_400000_NS6detail17trampoline_kernelINS0_13select_configILj256ELj13ELNS0_17block_load_methodE3ELS4_3ELS4_3ELNS0_20block_scan_algorithmE0ELj4294967295EEENS1_25partition_config_selectorILNS1_17partition_subalgoE3EjNS0_10empty_typeEbEEZZNS1_14partition_implILS8_3ELb0ES6_jNS0_17counting_iteratorIjlEEPS9_SE_NS0_5tupleIJPjSE_EEENSF_IJSE_SE_EEES9_SG_JZNS1_25segmented_radix_sort_implINS0_14default_configELb1EPKiPiPKlPlN2at6native12_GLOBAL__N_18offset_tEEE10hipError_tPvRmT1_PNSt15iterator_traitsISY_E10value_typeET2_T3_PNSZ_IS14_E10value_typeET4_jRbjT5_S1A_jjP12ihipStream_tbEUljE_EEESV_SW_SX_S14_S18_S1A_T6_T7_T9_mT8_S1C_bDpT10_ENKUlT_T0_E_clISt17integral_constantIbLb1EES1O_IbLb0EEEEDaS1K_S1L_EUlS1K_E_NS1_11comp_targetILNS1_3genE5ELNS1_11target_archE942ELNS1_3gpuE9ELNS1_3repE0EEENS1_30default_config_static_selectorELNS0_4arch9wavefront6targetE1EEEvSY_: ; @_ZN7rocprim17ROCPRIM_400000_NS6detail17trampoline_kernelINS0_13select_configILj256ELj13ELNS0_17block_load_methodE3ELS4_3ELS4_3ELNS0_20block_scan_algorithmE0ELj4294967295EEENS1_25partition_config_selectorILNS1_17partition_subalgoE3EjNS0_10empty_typeEbEEZZNS1_14partition_implILS8_3ELb0ES6_jNS0_17counting_iteratorIjlEEPS9_SE_NS0_5tupleIJPjSE_EEENSF_IJSE_SE_EEES9_SG_JZNS1_25segmented_radix_sort_implINS0_14default_configELb1EPKiPiPKlPlN2at6native12_GLOBAL__N_18offset_tEEE10hipError_tPvRmT1_PNSt15iterator_traitsISY_E10value_typeET2_T3_PNSZ_IS14_E10value_typeET4_jRbjT5_S1A_jjP12ihipStream_tbEUljE_EEESV_SW_SX_S14_S18_S1A_T6_T7_T9_mT8_S1C_bDpT10_ENKUlT_T0_E_clISt17integral_constantIbLb1EES1O_IbLb0EEEEDaS1K_S1L_EUlS1K_E_NS1_11comp_targetILNS1_3genE5ELNS1_11target_archE942ELNS1_3gpuE9ELNS1_3repE0EEENS1_30default_config_static_selectorELNS0_4arch9wavefront6targetE1EEEvSY_
; %bb.0:
	.section	.rodata,"a",@progbits
	.p2align	6, 0x0
	.amdhsa_kernel _ZN7rocprim17ROCPRIM_400000_NS6detail17trampoline_kernelINS0_13select_configILj256ELj13ELNS0_17block_load_methodE3ELS4_3ELS4_3ELNS0_20block_scan_algorithmE0ELj4294967295EEENS1_25partition_config_selectorILNS1_17partition_subalgoE3EjNS0_10empty_typeEbEEZZNS1_14partition_implILS8_3ELb0ES6_jNS0_17counting_iteratorIjlEEPS9_SE_NS0_5tupleIJPjSE_EEENSF_IJSE_SE_EEES9_SG_JZNS1_25segmented_radix_sort_implINS0_14default_configELb1EPKiPiPKlPlN2at6native12_GLOBAL__N_18offset_tEEE10hipError_tPvRmT1_PNSt15iterator_traitsISY_E10value_typeET2_T3_PNSZ_IS14_E10value_typeET4_jRbjT5_S1A_jjP12ihipStream_tbEUljE_EEESV_SW_SX_S14_S18_S1A_T6_T7_T9_mT8_S1C_bDpT10_ENKUlT_T0_E_clISt17integral_constantIbLb1EES1O_IbLb0EEEEDaS1K_S1L_EUlS1K_E_NS1_11comp_targetILNS1_3genE5ELNS1_11target_archE942ELNS1_3gpuE9ELNS1_3repE0EEENS1_30default_config_static_selectorELNS0_4arch9wavefront6targetE1EEEvSY_
		.amdhsa_group_segment_fixed_size 0
		.amdhsa_private_segment_fixed_size 0
		.amdhsa_kernarg_size 144
		.amdhsa_user_sgpr_count 6
		.amdhsa_user_sgpr_private_segment_buffer 1
		.amdhsa_user_sgpr_dispatch_ptr 0
		.amdhsa_user_sgpr_queue_ptr 0
		.amdhsa_user_sgpr_kernarg_segment_ptr 1
		.amdhsa_user_sgpr_dispatch_id 0
		.amdhsa_user_sgpr_flat_scratch_init 0
		.amdhsa_user_sgpr_private_segment_size 0
		.amdhsa_uses_dynamic_stack 0
		.amdhsa_system_sgpr_private_segment_wavefront_offset 0
		.amdhsa_system_sgpr_workgroup_id_x 1
		.amdhsa_system_sgpr_workgroup_id_y 0
		.amdhsa_system_sgpr_workgroup_id_z 0
		.amdhsa_system_sgpr_workgroup_info 0
		.amdhsa_system_vgpr_workitem_id 0
		.amdhsa_next_free_vgpr 1
		.amdhsa_next_free_sgpr 0
		.amdhsa_reserve_vcc 0
		.amdhsa_reserve_flat_scratch 0
		.amdhsa_float_round_mode_32 0
		.amdhsa_float_round_mode_16_64 0
		.amdhsa_float_denorm_mode_32 3
		.amdhsa_float_denorm_mode_16_64 3
		.amdhsa_dx10_clamp 1
		.amdhsa_ieee_mode 1
		.amdhsa_fp16_overflow 0
		.amdhsa_exception_fp_ieee_invalid_op 0
		.amdhsa_exception_fp_denorm_src 0
		.amdhsa_exception_fp_ieee_div_zero 0
		.amdhsa_exception_fp_ieee_overflow 0
		.amdhsa_exception_fp_ieee_underflow 0
		.amdhsa_exception_fp_ieee_inexact 0
		.amdhsa_exception_int_div_zero 0
	.end_amdhsa_kernel
	.section	.text._ZN7rocprim17ROCPRIM_400000_NS6detail17trampoline_kernelINS0_13select_configILj256ELj13ELNS0_17block_load_methodE3ELS4_3ELS4_3ELNS0_20block_scan_algorithmE0ELj4294967295EEENS1_25partition_config_selectorILNS1_17partition_subalgoE3EjNS0_10empty_typeEbEEZZNS1_14partition_implILS8_3ELb0ES6_jNS0_17counting_iteratorIjlEEPS9_SE_NS0_5tupleIJPjSE_EEENSF_IJSE_SE_EEES9_SG_JZNS1_25segmented_radix_sort_implINS0_14default_configELb1EPKiPiPKlPlN2at6native12_GLOBAL__N_18offset_tEEE10hipError_tPvRmT1_PNSt15iterator_traitsISY_E10value_typeET2_T3_PNSZ_IS14_E10value_typeET4_jRbjT5_S1A_jjP12ihipStream_tbEUljE_EEESV_SW_SX_S14_S18_S1A_T6_T7_T9_mT8_S1C_bDpT10_ENKUlT_T0_E_clISt17integral_constantIbLb1EES1O_IbLb0EEEEDaS1K_S1L_EUlS1K_E_NS1_11comp_targetILNS1_3genE5ELNS1_11target_archE942ELNS1_3gpuE9ELNS1_3repE0EEENS1_30default_config_static_selectorELNS0_4arch9wavefront6targetE1EEEvSY_,"axG",@progbits,_ZN7rocprim17ROCPRIM_400000_NS6detail17trampoline_kernelINS0_13select_configILj256ELj13ELNS0_17block_load_methodE3ELS4_3ELS4_3ELNS0_20block_scan_algorithmE0ELj4294967295EEENS1_25partition_config_selectorILNS1_17partition_subalgoE3EjNS0_10empty_typeEbEEZZNS1_14partition_implILS8_3ELb0ES6_jNS0_17counting_iteratorIjlEEPS9_SE_NS0_5tupleIJPjSE_EEENSF_IJSE_SE_EEES9_SG_JZNS1_25segmented_radix_sort_implINS0_14default_configELb1EPKiPiPKlPlN2at6native12_GLOBAL__N_18offset_tEEE10hipError_tPvRmT1_PNSt15iterator_traitsISY_E10value_typeET2_T3_PNSZ_IS14_E10value_typeET4_jRbjT5_S1A_jjP12ihipStream_tbEUljE_EEESV_SW_SX_S14_S18_S1A_T6_T7_T9_mT8_S1C_bDpT10_ENKUlT_T0_E_clISt17integral_constantIbLb1EES1O_IbLb0EEEEDaS1K_S1L_EUlS1K_E_NS1_11comp_targetILNS1_3genE5ELNS1_11target_archE942ELNS1_3gpuE9ELNS1_3repE0EEENS1_30default_config_static_selectorELNS0_4arch9wavefront6targetE1EEEvSY_,comdat
.Lfunc_end482:
	.size	_ZN7rocprim17ROCPRIM_400000_NS6detail17trampoline_kernelINS0_13select_configILj256ELj13ELNS0_17block_load_methodE3ELS4_3ELS4_3ELNS0_20block_scan_algorithmE0ELj4294967295EEENS1_25partition_config_selectorILNS1_17partition_subalgoE3EjNS0_10empty_typeEbEEZZNS1_14partition_implILS8_3ELb0ES6_jNS0_17counting_iteratorIjlEEPS9_SE_NS0_5tupleIJPjSE_EEENSF_IJSE_SE_EEES9_SG_JZNS1_25segmented_radix_sort_implINS0_14default_configELb1EPKiPiPKlPlN2at6native12_GLOBAL__N_18offset_tEEE10hipError_tPvRmT1_PNSt15iterator_traitsISY_E10value_typeET2_T3_PNSZ_IS14_E10value_typeET4_jRbjT5_S1A_jjP12ihipStream_tbEUljE_EEESV_SW_SX_S14_S18_S1A_T6_T7_T9_mT8_S1C_bDpT10_ENKUlT_T0_E_clISt17integral_constantIbLb1EES1O_IbLb0EEEEDaS1K_S1L_EUlS1K_E_NS1_11comp_targetILNS1_3genE5ELNS1_11target_archE942ELNS1_3gpuE9ELNS1_3repE0EEENS1_30default_config_static_selectorELNS0_4arch9wavefront6targetE1EEEvSY_, .Lfunc_end482-_ZN7rocprim17ROCPRIM_400000_NS6detail17trampoline_kernelINS0_13select_configILj256ELj13ELNS0_17block_load_methodE3ELS4_3ELS4_3ELNS0_20block_scan_algorithmE0ELj4294967295EEENS1_25partition_config_selectorILNS1_17partition_subalgoE3EjNS0_10empty_typeEbEEZZNS1_14partition_implILS8_3ELb0ES6_jNS0_17counting_iteratorIjlEEPS9_SE_NS0_5tupleIJPjSE_EEENSF_IJSE_SE_EEES9_SG_JZNS1_25segmented_radix_sort_implINS0_14default_configELb1EPKiPiPKlPlN2at6native12_GLOBAL__N_18offset_tEEE10hipError_tPvRmT1_PNSt15iterator_traitsISY_E10value_typeET2_T3_PNSZ_IS14_E10value_typeET4_jRbjT5_S1A_jjP12ihipStream_tbEUljE_EEESV_SW_SX_S14_S18_S1A_T6_T7_T9_mT8_S1C_bDpT10_ENKUlT_T0_E_clISt17integral_constantIbLb1EES1O_IbLb0EEEEDaS1K_S1L_EUlS1K_E_NS1_11comp_targetILNS1_3genE5ELNS1_11target_archE942ELNS1_3gpuE9ELNS1_3repE0EEENS1_30default_config_static_selectorELNS0_4arch9wavefront6targetE1EEEvSY_
                                        ; -- End function
	.set _ZN7rocprim17ROCPRIM_400000_NS6detail17trampoline_kernelINS0_13select_configILj256ELj13ELNS0_17block_load_methodE3ELS4_3ELS4_3ELNS0_20block_scan_algorithmE0ELj4294967295EEENS1_25partition_config_selectorILNS1_17partition_subalgoE3EjNS0_10empty_typeEbEEZZNS1_14partition_implILS8_3ELb0ES6_jNS0_17counting_iteratorIjlEEPS9_SE_NS0_5tupleIJPjSE_EEENSF_IJSE_SE_EEES9_SG_JZNS1_25segmented_radix_sort_implINS0_14default_configELb1EPKiPiPKlPlN2at6native12_GLOBAL__N_18offset_tEEE10hipError_tPvRmT1_PNSt15iterator_traitsISY_E10value_typeET2_T3_PNSZ_IS14_E10value_typeET4_jRbjT5_S1A_jjP12ihipStream_tbEUljE_EEESV_SW_SX_S14_S18_S1A_T6_T7_T9_mT8_S1C_bDpT10_ENKUlT_T0_E_clISt17integral_constantIbLb1EES1O_IbLb0EEEEDaS1K_S1L_EUlS1K_E_NS1_11comp_targetILNS1_3genE5ELNS1_11target_archE942ELNS1_3gpuE9ELNS1_3repE0EEENS1_30default_config_static_selectorELNS0_4arch9wavefront6targetE1EEEvSY_.num_vgpr, 0
	.set _ZN7rocprim17ROCPRIM_400000_NS6detail17trampoline_kernelINS0_13select_configILj256ELj13ELNS0_17block_load_methodE3ELS4_3ELS4_3ELNS0_20block_scan_algorithmE0ELj4294967295EEENS1_25partition_config_selectorILNS1_17partition_subalgoE3EjNS0_10empty_typeEbEEZZNS1_14partition_implILS8_3ELb0ES6_jNS0_17counting_iteratorIjlEEPS9_SE_NS0_5tupleIJPjSE_EEENSF_IJSE_SE_EEES9_SG_JZNS1_25segmented_radix_sort_implINS0_14default_configELb1EPKiPiPKlPlN2at6native12_GLOBAL__N_18offset_tEEE10hipError_tPvRmT1_PNSt15iterator_traitsISY_E10value_typeET2_T3_PNSZ_IS14_E10value_typeET4_jRbjT5_S1A_jjP12ihipStream_tbEUljE_EEESV_SW_SX_S14_S18_S1A_T6_T7_T9_mT8_S1C_bDpT10_ENKUlT_T0_E_clISt17integral_constantIbLb1EES1O_IbLb0EEEEDaS1K_S1L_EUlS1K_E_NS1_11comp_targetILNS1_3genE5ELNS1_11target_archE942ELNS1_3gpuE9ELNS1_3repE0EEENS1_30default_config_static_selectorELNS0_4arch9wavefront6targetE1EEEvSY_.num_agpr, 0
	.set _ZN7rocprim17ROCPRIM_400000_NS6detail17trampoline_kernelINS0_13select_configILj256ELj13ELNS0_17block_load_methodE3ELS4_3ELS4_3ELNS0_20block_scan_algorithmE0ELj4294967295EEENS1_25partition_config_selectorILNS1_17partition_subalgoE3EjNS0_10empty_typeEbEEZZNS1_14partition_implILS8_3ELb0ES6_jNS0_17counting_iteratorIjlEEPS9_SE_NS0_5tupleIJPjSE_EEENSF_IJSE_SE_EEES9_SG_JZNS1_25segmented_radix_sort_implINS0_14default_configELb1EPKiPiPKlPlN2at6native12_GLOBAL__N_18offset_tEEE10hipError_tPvRmT1_PNSt15iterator_traitsISY_E10value_typeET2_T3_PNSZ_IS14_E10value_typeET4_jRbjT5_S1A_jjP12ihipStream_tbEUljE_EEESV_SW_SX_S14_S18_S1A_T6_T7_T9_mT8_S1C_bDpT10_ENKUlT_T0_E_clISt17integral_constantIbLb1EES1O_IbLb0EEEEDaS1K_S1L_EUlS1K_E_NS1_11comp_targetILNS1_3genE5ELNS1_11target_archE942ELNS1_3gpuE9ELNS1_3repE0EEENS1_30default_config_static_selectorELNS0_4arch9wavefront6targetE1EEEvSY_.numbered_sgpr, 0
	.set _ZN7rocprim17ROCPRIM_400000_NS6detail17trampoline_kernelINS0_13select_configILj256ELj13ELNS0_17block_load_methodE3ELS4_3ELS4_3ELNS0_20block_scan_algorithmE0ELj4294967295EEENS1_25partition_config_selectorILNS1_17partition_subalgoE3EjNS0_10empty_typeEbEEZZNS1_14partition_implILS8_3ELb0ES6_jNS0_17counting_iteratorIjlEEPS9_SE_NS0_5tupleIJPjSE_EEENSF_IJSE_SE_EEES9_SG_JZNS1_25segmented_radix_sort_implINS0_14default_configELb1EPKiPiPKlPlN2at6native12_GLOBAL__N_18offset_tEEE10hipError_tPvRmT1_PNSt15iterator_traitsISY_E10value_typeET2_T3_PNSZ_IS14_E10value_typeET4_jRbjT5_S1A_jjP12ihipStream_tbEUljE_EEESV_SW_SX_S14_S18_S1A_T6_T7_T9_mT8_S1C_bDpT10_ENKUlT_T0_E_clISt17integral_constantIbLb1EES1O_IbLb0EEEEDaS1K_S1L_EUlS1K_E_NS1_11comp_targetILNS1_3genE5ELNS1_11target_archE942ELNS1_3gpuE9ELNS1_3repE0EEENS1_30default_config_static_selectorELNS0_4arch9wavefront6targetE1EEEvSY_.num_named_barrier, 0
	.set _ZN7rocprim17ROCPRIM_400000_NS6detail17trampoline_kernelINS0_13select_configILj256ELj13ELNS0_17block_load_methodE3ELS4_3ELS4_3ELNS0_20block_scan_algorithmE0ELj4294967295EEENS1_25partition_config_selectorILNS1_17partition_subalgoE3EjNS0_10empty_typeEbEEZZNS1_14partition_implILS8_3ELb0ES6_jNS0_17counting_iteratorIjlEEPS9_SE_NS0_5tupleIJPjSE_EEENSF_IJSE_SE_EEES9_SG_JZNS1_25segmented_radix_sort_implINS0_14default_configELb1EPKiPiPKlPlN2at6native12_GLOBAL__N_18offset_tEEE10hipError_tPvRmT1_PNSt15iterator_traitsISY_E10value_typeET2_T3_PNSZ_IS14_E10value_typeET4_jRbjT5_S1A_jjP12ihipStream_tbEUljE_EEESV_SW_SX_S14_S18_S1A_T6_T7_T9_mT8_S1C_bDpT10_ENKUlT_T0_E_clISt17integral_constantIbLb1EES1O_IbLb0EEEEDaS1K_S1L_EUlS1K_E_NS1_11comp_targetILNS1_3genE5ELNS1_11target_archE942ELNS1_3gpuE9ELNS1_3repE0EEENS1_30default_config_static_selectorELNS0_4arch9wavefront6targetE1EEEvSY_.private_seg_size, 0
	.set _ZN7rocprim17ROCPRIM_400000_NS6detail17trampoline_kernelINS0_13select_configILj256ELj13ELNS0_17block_load_methodE3ELS4_3ELS4_3ELNS0_20block_scan_algorithmE0ELj4294967295EEENS1_25partition_config_selectorILNS1_17partition_subalgoE3EjNS0_10empty_typeEbEEZZNS1_14partition_implILS8_3ELb0ES6_jNS0_17counting_iteratorIjlEEPS9_SE_NS0_5tupleIJPjSE_EEENSF_IJSE_SE_EEES9_SG_JZNS1_25segmented_radix_sort_implINS0_14default_configELb1EPKiPiPKlPlN2at6native12_GLOBAL__N_18offset_tEEE10hipError_tPvRmT1_PNSt15iterator_traitsISY_E10value_typeET2_T3_PNSZ_IS14_E10value_typeET4_jRbjT5_S1A_jjP12ihipStream_tbEUljE_EEESV_SW_SX_S14_S18_S1A_T6_T7_T9_mT8_S1C_bDpT10_ENKUlT_T0_E_clISt17integral_constantIbLb1EES1O_IbLb0EEEEDaS1K_S1L_EUlS1K_E_NS1_11comp_targetILNS1_3genE5ELNS1_11target_archE942ELNS1_3gpuE9ELNS1_3repE0EEENS1_30default_config_static_selectorELNS0_4arch9wavefront6targetE1EEEvSY_.uses_vcc, 0
	.set _ZN7rocprim17ROCPRIM_400000_NS6detail17trampoline_kernelINS0_13select_configILj256ELj13ELNS0_17block_load_methodE3ELS4_3ELS4_3ELNS0_20block_scan_algorithmE0ELj4294967295EEENS1_25partition_config_selectorILNS1_17partition_subalgoE3EjNS0_10empty_typeEbEEZZNS1_14partition_implILS8_3ELb0ES6_jNS0_17counting_iteratorIjlEEPS9_SE_NS0_5tupleIJPjSE_EEENSF_IJSE_SE_EEES9_SG_JZNS1_25segmented_radix_sort_implINS0_14default_configELb1EPKiPiPKlPlN2at6native12_GLOBAL__N_18offset_tEEE10hipError_tPvRmT1_PNSt15iterator_traitsISY_E10value_typeET2_T3_PNSZ_IS14_E10value_typeET4_jRbjT5_S1A_jjP12ihipStream_tbEUljE_EEESV_SW_SX_S14_S18_S1A_T6_T7_T9_mT8_S1C_bDpT10_ENKUlT_T0_E_clISt17integral_constantIbLb1EES1O_IbLb0EEEEDaS1K_S1L_EUlS1K_E_NS1_11comp_targetILNS1_3genE5ELNS1_11target_archE942ELNS1_3gpuE9ELNS1_3repE0EEENS1_30default_config_static_selectorELNS0_4arch9wavefront6targetE1EEEvSY_.uses_flat_scratch, 0
	.set _ZN7rocprim17ROCPRIM_400000_NS6detail17trampoline_kernelINS0_13select_configILj256ELj13ELNS0_17block_load_methodE3ELS4_3ELS4_3ELNS0_20block_scan_algorithmE0ELj4294967295EEENS1_25partition_config_selectorILNS1_17partition_subalgoE3EjNS0_10empty_typeEbEEZZNS1_14partition_implILS8_3ELb0ES6_jNS0_17counting_iteratorIjlEEPS9_SE_NS0_5tupleIJPjSE_EEENSF_IJSE_SE_EEES9_SG_JZNS1_25segmented_radix_sort_implINS0_14default_configELb1EPKiPiPKlPlN2at6native12_GLOBAL__N_18offset_tEEE10hipError_tPvRmT1_PNSt15iterator_traitsISY_E10value_typeET2_T3_PNSZ_IS14_E10value_typeET4_jRbjT5_S1A_jjP12ihipStream_tbEUljE_EEESV_SW_SX_S14_S18_S1A_T6_T7_T9_mT8_S1C_bDpT10_ENKUlT_T0_E_clISt17integral_constantIbLb1EES1O_IbLb0EEEEDaS1K_S1L_EUlS1K_E_NS1_11comp_targetILNS1_3genE5ELNS1_11target_archE942ELNS1_3gpuE9ELNS1_3repE0EEENS1_30default_config_static_selectorELNS0_4arch9wavefront6targetE1EEEvSY_.has_dyn_sized_stack, 0
	.set _ZN7rocprim17ROCPRIM_400000_NS6detail17trampoline_kernelINS0_13select_configILj256ELj13ELNS0_17block_load_methodE3ELS4_3ELS4_3ELNS0_20block_scan_algorithmE0ELj4294967295EEENS1_25partition_config_selectorILNS1_17partition_subalgoE3EjNS0_10empty_typeEbEEZZNS1_14partition_implILS8_3ELb0ES6_jNS0_17counting_iteratorIjlEEPS9_SE_NS0_5tupleIJPjSE_EEENSF_IJSE_SE_EEES9_SG_JZNS1_25segmented_radix_sort_implINS0_14default_configELb1EPKiPiPKlPlN2at6native12_GLOBAL__N_18offset_tEEE10hipError_tPvRmT1_PNSt15iterator_traitsISY_E10value_typeET2_T3_PNSZ_IS14_E10value_typeET4_jRbjT5_S1A_jjP12ihipStream_tbEUljE_EEESV_SW_SX_S14_S18_S1A_T6_T7_T9_mT8_S1C_bDpT10_ENKUlT_T0_E_clISt17integral_constantIbLb1EES1O_IbLb0EEEEDaS1K_S1L_EUlS1K_E_NS1_11comp_targetILNS1_3genE5ELNS1_11target_archE942ELNS1_3gpuE9ELNS1_3repE0EEENS1_30default_config_static_selectorELNS0_4arch9wavefront6targetE1EEEvSY_.has_recursion, 0
	.set _ZN7rocprim17ROCPRIM_400000_NS6detail17trampoline_kernelINS0_13select_configILj256ELj13ELNS0_17block_load_methodE3ELS4_3ELS4_3ELNS0_20block_scan_algorithmE0ELj4294967295EEENS1_25partition_config_selectorILNS1_17partition_subalgoE3EjNS0_10empty_typeEbEEZZNS1_14partition_implILS8_3ELb0ES6_jNS0_17counting_iteratorIjlEEPS9_SE_NS0_5tupleIJPjSE_EEENSF_IJSE_SE_EEES9_SG_JZNS1_25segmented_radix_sort_implINS0_14default_configELb1EPKiPiPKlPlN2at6native12_GLOBAL__N_18offset_tEEE10hipError_tPvRmT1_PNSt15iterator_traitsISY_E10value_typeET2_T3_PNSZ_IS14_E10value_typeET4_jRbjT5_S1A_jjP12ihipStream_tbEUljE_EEESV_SW_SX_S14_S18_S1A_T6_T7_T9_mT8_S1C_bDpT10_ENKUlT_T0_E_clISt17integral_constantIbLb1EES1O_IbLb0EEEEDaS1K_S1L_EUlS1K_E_NS1_11comp_targetILNS1_3genE5ELNS1_11target_archE942ELNS1_3gpuE9ELNS1_3repE0EEENS1_30default_config_static_selectorELNS0_4arch9wavefront6targetE1EEEvSY_.has_indirect_call, 0
	.section	.AMDGPU.csdata,"",@progbits
; Kernel info:
; codeLenInByte = 0
; TotalNumSgprs: 4
; NumVgprs: 0
; ScratchSize: 0
; MemoryBound: 0
; FloatMode: 240
; IeeeMode: 1
; LDSByteSize: 0 bytes/workgroup (compile time only)
; SGPRBlocks: 0
; VGPRBlocks: 0
; NumSGPRsForWavesPerEU: 4
; NumVGPRsForWavesPerEU: 1
; Occupancy: 10
; WaveLimiterHint : 0
; COMPUTE_PGM_RSRC2:SCRATCH_EN: 0
; COMPUTE_PGM_RSRC2:USER_SGPR: 6
; COMPUTE_PGM_RSRC2:TRAP_HANDLER: 0
; COMPUTE_PGM_RSRC2:TGID_X_EN: 1
; COMPUTE_PGM_RSRC2:TGID_Y_EN: 0
; COMPUTE_PGM_RSRC2:TGID_Z_EN: 0
; COMPUTE_PGM_RSRC2:TIDIG_COMP_CNT: 0
	.section	.text._ZN7rocprim17ROCPRIM_400000_NS6detail17trampoline_kernelINS0_13select_configILj256ELj13ELNS0_17block_load_methodE3ELS4_3ELS4_3ELNS0_20block_scan_algorithmE0ELj4294967295EEENS1_25partition_config_selectorILNS1_17partition_subalgoE3EjNS0_10empty_typeEbEEZZNS1_14partition_implILS8_3ELb0ES6_jNS0_17counting_iteratorIjlEEPS9_SE_NS0_5tupleIJPjSE_EEENSF_IJSE_SE_EEES9_SG_JZNS1_25segmented_radix_sort_implINS0_14default_configELb1EPKiPiPKlPlN2at6native12_GLOBAL__N_18offset_tEEE10hipError_tPvRmT1_PNSt15iterator_traitsISY_E10value_typeET2_T3_PNSZ_IS14_E10value_typeET4_jRbjT5_S1A_jjP12ihipStream_tbEUljE_EEESV_SW_SX_S14_S18_S1A_T6_T7_T9_mT8_S1C_bDpT10_ENKUlT_T0_E_clISt17integral_constantIbLb1EES1O_IbLb0EEEEDaS1K_S1L_EUlS1K_E_NS1_11comp_targetILNS1_3genE4ELNS1_11target_archE910ELNS1_3gpuE8ELNS1_3repE0EEENS1_30default_config_static_selectorELNS0_4arch9wavefront6targetE1EEEvSY_,"axG",@progbits,_ZN7rocprim17ROCPRIM_400000_NS6detail17trampoline_kernelINS0_13select_configILj256ELj13ELNS0_17block_load_methodE3ELS4_3ELS4_3ELNS0_20block_scan_algorithmE0ELj4294967295EEENS1_25partition_config_selectorILNS1_17partition_subalgoE3EjNS0_10empty_typeEbEEZZNS1_14partition_implILS8_3ELb0ES6_jNS0_17counting_iteratorIjlEEPS9_SE_NS0_5tupleIJPjSE_EEENSF_IJSE_SE_EEES9_SG_JZNS1_25segmented_radix_sort_implINS0_14default_configELb1EPKiPiPKlPlN2at6native12_GLOBAL__N_18offset_tEEE10hipError_tPvRmT1_PNSt15iterator_traitsISY_E10value_typeET2_T3_PNSZ_IS14_E10value_typeET4_jRbjT5_S1A_jjP12ihipStream_tbEUljE_EEESV_SW_SX_S14_S18_S1A_T6_T7_T9_mT8_S1C_bDpT10_ENKUlT_T0_E_clISt17integral_constantIbLb1EES1O_IbLb0EEEEDaS1K_S1L_EUlS1K_E_NS1_11comp_targetILNS1_3genE4ELNS1_11target_archE910ELNS1_3gpuE8ELNS1_3repE0EEENS1_30default_config_static_selectorELNS0_4arch9wavefront6targetE1EEEvSY_,comdat
	.globl	_ZN7rocprim17ROCPRIM_400000_NS6detail17trampoline_kernelINS0_13select_configILj256ELj13ELNS0_17block_load_methodE3ELS4_3ELS4_3ELNS0_20block_scan_algorithmE0ELj4294967295EEENS1_25partition_config_selectorILNS1_17partition_subalgoE3EjNS0_10empty_typeEbEEZZNS1_14partition_implILS8_3ELb0ES6_jNS0_17counting_iteratorIjlEEPS9_SE_NS0_5tupleIJPjSE_EEENSF_IJSE_SE_EEES9_SG_JZNS1_25segmented_radix_sort_implINS0_14default_configELb1EPKiPiPKlPlN2at6native12_GLOBAL__N_18offset_tEEE10hipError_tPvRmT1_PNSt15iterator_traitsISY_E10value_typeET2_T3_PNSZ_IS14_E10value_typeET4_jRbjT5_S1A_jjP12ihipStream_tbEUljE_EEESV_SW_SX_S14_S18_S1A_T6_T7_T9_mT8_S1C_bDpT10_ENKUlT_T0_E_clISt17integral_constantIbLb1EES1O_IbLb0EEEEDaS1K_S1L_EUlS1K_E_NS1_11comp_targetILNS1_3genE4ELNS1_11target_archE910ELNS1_3gpuE8ELNS1_3repE0EEENS1_30default_config_static_selectorELNS0_4arch9wavefront6targetE1EEEvSY_ ; -- Begin function _ZN7rocprim17ROCPRIM_400000_NS6detail17trampoline_kernelINS0_13select_configILj256ELj13ELNS0_17block_load_methodE3ELS4_3ELS4_3ELNS0_20block_scan_algorithmE0ELj4294967295EEENS1_25partition_config_selectorILNS1_17partition_subalgoE3EjNS0_10empty_typeEbEEZZNS1_14partition_implILS8_3ELb0ES6_jNS0_17counting_iteratorIjlEEPS9_SE_NS0_5tupleIJPjSE_EEENSF_IJSE_SE_EEES9_SG_JZNS1_25segmented_radix_sort_implINS0_14default_configELb1EPKiPiPKlPlN2at6native12_GLOBAL__N_18offset_tEEE10hipError_tPvRmT1_PNSt15iterator_traitsISY_E10value_typeET2_T3_PNSZ_IS14_E10value_typeET4_jRbjT5_S1A_jjP12ihipStream_tbEUljE_EEESV_SW_SX_S14_S18_S1A_T6_T7_T9_mT8_S1C_bDpT10_ENKUlT_T0_E_clISt17integral_constantIbLb1EES1O_IbLb0EEEEDaS1K_S1L_EUlS1K_E_NS1_11comp_targetILNS1_3genE4ELNS1_11target_archE910ELNS1_3gpuE8ELNS1_3repE0EEENS1_30default_config_static_selectorELNS0_4arch9wavefront6targetE1EEEvSY_
	.p2align	8
	.type	_ZN7rocprim17ROCPRIM_400000_NS6detail17trampoline_kernelINS0_13select_configILj256ELj13ELNS0_17block_load_methodE3ELS4_3ELS4_3ELNS0_20block_scan_algorithmE0ELj4294967295EEENS1_25partition_config_selectorILNS1_17partition_subalgoE3EjNS0_10empty_typeEbEEZZNS1_14partition_implILS8_3ELb0ES6_jNS0_17counting_iteratorIjlEEPS9_SE_NS0_5tupleIJPjSE_EEENSF_IJSE_SE_EEES9_SG_JZNS1_25segmented_radix_sort_implINS0_14default_configELb1EPKiPiPKlPlN2at6native12_GLOBAL__N_18offset_tEEE10hipError_tPvRmT1_PNSt15iterator_traitsISY_E10value_typeET2_T3_PNSZ_IS14_E10value_typeET4_jRbjT5_S1A_jjP12ihipStream_tbEUljE_EEESV_SW_SX_S14_S18_S1A_T6_T7_T9_mT8_S1C_bDpT10_ENKUlT_T0_E_clISt17integral_constantIbLb1EES1O_IbLb0EEEEDaS1K_S1L_EUlS1K_E_NS1_11comp_targetILNS1_3genE4ELNS1_11target_archE910ELNS1_3gpuE8ELNS1_3repE0EEENS1_30default_config_static_selectorELNS0_4arch9wavefront6targetE1EEEvSY_,@function
_ZN7rocprim17ROCPRIM_400000_NS6detail17trampoline_kernelINS0_13select_configILj256ELj13ELNS0_17block_load_methodE3ELS4_3ELS4_3ELNS0_20block_scan_algorithmE0ELj4294967295EEENS1_25partition_config_selectorILNS1_17partition_subalgoE3EjNS0_10empty_typeEbEEZZNS1_14partition_implILS8_3ELb0ES6_jNS0_17counting_iteratorIjlEEPS9_SE_NS0_5tupleIJPjSE_EEENSF_IJSE_SE_EEES9_SG_JZNS1_25segmented_radix_sort_implINS0_14default_configELb1EPKiPiPKlPlN2at6native12_GLOBAL__N_18offset_tEEE10hipError_tPvRmT1_PNSt15iterator_traitsISY_E10value_typeET2_T3_PNSZ_IS14_E10value_typeET4_jRbjT5_S1A_jjP12ihipStream_tbEUljE_EEESV_SW_SX_S14_S18_S1A_T6_T7_T9_mT8_S1C_bDpT10_ENKUlT_T0_E_clISt17integral_constantIbLb1EES1O_IbLb0EEEEDaS1K_S1L_EUlS1K_E_NS1_11comp_targetILNS1_3genE4ELNS1_11target_archE910ELNS1_3gpuE8ELNS1_3repE0EEENS1_30default_config_static_selectorELNS0_4arch9wavefront6targetE1EEEvSY_: ; @_ZN7rocprim17ROCPRIM_400000_NS6detail17trampoline_kernelINS0_13select_configILj256ELj13ELNS0_17block_load_methodE3ELS4_3ELS4_3ELNS0_20block_scan_algorithmE0ELj4294967295EEENS1_25partition_config_selectorILNS1_17partition_subalgoE3EjNS0_10empty_typeEbEEZZNS1_14partition_implILS8_3ELb0ES6_jNS0_17counting_iteratorIjlEEPS9_SE_NS0_5tupleIJPjSE_EEENSF_IJSE_SE_EEES9_SG_JZNS1_25segmented_radix_sort_implINS0_14default_configELb1EPKiPiPKlPlN2at6native12_GLOBAL__N_18offset_tEEE10hipError_tPvRmT1_PNSt15iterator_traitsISY_E10value_typeET2_T3_PNSZ_IS14_E10value_typeET4_jRbjT5_S1A_jjP12ihipStream_tbEUljE_EEESV_SW_SX_S14_S18_S1A_T6_T7_T9_mT8_S1C_bDpT10_ENKUlT_T0_E_clISt17integral_constantIbLb1EES1O_IbLb0EEEEDaS1K_S1L_EUlS1K_E_NS1_11comp_targetILNS1_3genE4ELNS1_11target_archE910ELNS1_3gpuE8ELNS1_3repE0EEENS1_30default_config_static_selectorELNS0_4arch9wavefront6targetE1EEEvSY_
; %bb.0:
	.section	.rodata,"a",@progbits
	.p2align	6, 0x0
	.amdhsa_kernel _ZN7rocprim17ROCPRIM_400000_NS6detail17trampoline_kernelINS0_13select_configILj256ELj13ELNS0_17block_load_methodE3ELS4_3ELS4_3ELNS0_20block_scan_algorithmE0ELj4294967295EEENS1_25partition_config_selectorILNS1_17partition_subalgoE3EjNS0_10empty_typeEbEEZZNS1_14partition_implILS8_3ELb0ES6_jNS0_17counting_iteratorIjlEEPS9_SE_NS0_5tupleIJPjSE_EEENSF_IJSE_SE_EEES9_SG_JZNS1_25segmented_radix_sort_implINS0_14default_configELb1EPKiPiPKlPlN2at6native12_GLOBAL__N_18offset_tEEE10hipError_tPvRmT1_PNSt15iterator_traitsISY_E10value_typeET2_T3_PNSZ_IS14_E10value_typeET4_jRbjT5_S1A_jjP12ihipStream_tbEUljE_EEESV_SW_SX_S14_S18_S1A_T6_T7_T9_mT8_S1C_bDpT10_ENKUlT_T0_E_clISt17integral_constantIbLb1EES1O_IbLb0EEEEDaS1K_S1L_EUlS1K_E_NS1_11comp_targetILNS1_3genE4ELNS1_11target_archE910ELNS1_3gpuE8ELNS1_3repE0EEENS1_30default_config_static_selectorELNS0_4arch9wavefront6targetE1EEEvSY_
		.amdhsa_group_segment_fixed_size 0
		.amdhsa_private_segment_fixed_size 0
		.amdhsa_kernarg_size 144
		.amdhsa_user_sgpr_count 6
		.amdhsa_user_sgpr_private_segment_buffer 1
		.amdhsa_user_sgpr_dispatch_ptr 0
		.amdhsa_user_sgpr_queue_ptr 0
		.amdhsa_user_sgpr_kernarg_segment_ptr 1
		.amdhsa_user_sgpr_dispatch_id 0
		.amdhsa_user_sgpr_flat_scratch_init 0
		.amdhsa_user_sgpr_private_segment_size 0
		.amdhsa_uses_dynamic_stack 0
		.amdhsa_system_sgpr_private_segment_wavefront_offset 0
		.amdhsa_system_sgpr_workgroup_id_x 1
		.amdhsa_system_sgpr_workgroup_id_y 0
		.amdhsa_system_sgpr_workgroup_id_z 0
		.amdhsa_system_sgpr_workgroup_info 0
		.amdhsa_system_vgpr_workitem_id 0
		.amdhsa_next_free_vgpr 1
		.amdhsa_next_free_sgpr 0
		.amdhsa_reserve_vcc 0
		.amdhsa_reserve_flat_scratch 0
		.amdhsa_float_round_mode_32 0
		.amdhsa_float_round_mode_16_64 0
		.amdhsa_float_denorm_mode_32 3
		.amdhsa_float_denorm_mode_16_64 3
		.amdhsa_dx10_clamp 1
		.amdhsa_ieee_mode 1
		.amdhsa_fp16_overflow 0
		.amdhsa_exception_fp_ieee_invalid_op 0
		.amdhsa_exception_fp_denorm_src 0
		.amdhsa_exception_fp_ieee_div_zero 0
		.amdhsa_exception_fp_ieee_overflow 0
		.amdhsa_exception_fp_ieee_underflow 0
		.amdhsa_exception_fp_ieee_inexact 0
		.amdhsa_exception_int_div_zero 0
	.end_amdhsa_kernel
	.section	.text._ZN7rocprim17ROCPRIM_400000_NS6detail17trampoline_kernelINS0_13select_configILj256ELj13ELNS0_17block_load_methodE3ELS4_3ELS4_3ELNS0_20block_scan_algorithmE0ELj4294967295EEENS1_25partition_config_selectorILNS1_17partition_subalgoE3EjNS0_10empty_typeEbEEZZNS1_14partition_implILS8_3ELb0ES6_jNS0_17counting_iteratorIjlEEPS9_SE_NS0_5tupleIJPjSE_EEENSF_IJSE_SE_EEES9_SG_JZNS1_25segmented_radix_sort_implINS0_14default_configELb1EPKiPiPKlPlN2at6native12_GLOBAL__N_18offset_tEEE10hipError_tPvRmT1_PNSt15iterator_traitsISY_E10value_typeET2_T3_PNSZ_IS14_E10value_typeET4_jRbjT5_S1A_jjP12ihipStream_tbEUljE_EEESV_SW_SX_S14_S18_S1A_T6_T7_T9_mT8_S1C_bDpT10_ENKUlT_T0_E_clISt17integral_constantIbLb1EES1O_IbLb0EEEEDaS1K_S1L_EUlS1K_E_NS1_11comp_targetILNS1_3genE4ELNS1_11target_archE910ELNS1_3gpuE8ELNS1_3repE0EEENS1_30default_config_static_selectorELNS0_4arch9wavefront6targetE1EEEvSY_,"axG",@progbits,_ZN7rocprim17ROCPRIM_400000_NS6detail17trampoline_kernelINS0_13select_configILj256ELj13ELNS0_17block_load_methodE3ELS4_3ELS4_3ELNS0_20block_scan_algorithmE0ELj4294967295EEENS1_25partition_config_selectorILNS1_17partition_subalgoE3EjNS0_10empty_typeEbEEZZNS1_14partition_implILS8_3ELb0ES6_jNS0_17counting_iteratorIjlEEPS9_SE_NS0_5tupleIJPjSE_EEENSF_IJSE_SE_EEES9_SG_JZNS1_25segmented_radix_sort_implINS0_14default_configELb1EPKiPiPKlPlN2at6native12_GLOBAL__N_18offset_tEEE10hipError_tPvRmT1_PNSt15iterator_traitsISY_E10value_typeET2_T3_PNSZ_IS14_E10value_typeET4_jRbjT5_S1A_jjP12ihipStream_tbEUljE_EEESV_SW_SX_S14_S18_S1A_T6_T7_T9_mT8_S1C_bDpT10_ENKUlT_T0_E_clISt17integral_constantIbLb1EES1O_IbLb0EEEEDaS1K_S1L_EUlS1K_E_NS1_11comp_targetILNS1_3genE4ELNS1_11target_archE910ELNS1_3gpuE8ELNS1_3repE0EEENS1_30default_config_static_selectorELNS0_4arch9wavefront6targetE1EEEvSY_,comdat
.Lfunc_end483:
	.size	_ZN7rocprim17ROCPRIM_400000_NS6detail17trampoline_kernelINS0_13select_configILj256ELj13ELNS0_17block_load_methodE3ELS4_3ELS4_3ELNS0_20block_scan_algorithmE0ELj4294967295EEENS1_25partition_config_selectorILNS1_17partition_subalgoE3EjNS0_10empty_typeEbEEZZNS1_14partition_implILS8_3ELb0ES6_jNS0_17counting_iteratorIjlEEPS9_SE_NS0_5tupleIJPjSE_EEENSF_IJSE_SE_EEES9_SG_JZNS1_25segmented_radix_sort_implINS0_14default_configELb1EPKiPiPKlPlN2at6native12_GLOBAL__N_18offset_tEEE10hipError_tPvRmT1_PNSt15iterator_traitsISY_E10value_typeET2_T3_PNSZ_IS14_E10value_typeET4_jRbjT5_S1A_jjP12ihipStream_tbEUljE_EEESV_SW_SX_S14_S18_S1A_T6_T7_T9_mT8_S1C_bDpT10_ENKUlT_T0_E_clISt17integral_constantIbLb1EES1O_IbLb0EEEEDaS1K_S1L_EUlS1K_E_NS1_11comp_targetILNS1_3genE4ELNS1_11target_archE910ELNS1_3gpuE8ELNS1_3repE0EEENS1_30default_config_static_selectorELNS0_4arch9wavefront6targetE1EEEvSY_, .Lfunc_end483-_ZN7rocprim17ROCPRIM_400000_NS6detail17trampoline_kernelINS0_13select_configILj256ELj13ELNS0_17block_load_methodE3ELS4_3ELS4_3ELNS0_20block_scan_algorithmE0ELj4294967295EEENS1_25partition_config_selectorILNS1_17partition_subalgoE3EjNS0_10empty_typeEbEEZZNS1_14partition_implILS8_3ELb0ES6_jNS0_17counting_iteratorIjlEEPS9_SE_NS0_5tupleIJPjSE_EEENSF_IJSE_SE_EEES9_SG_JZNS1_25segmented_radix_sort_implINS0_14default_configELb1EPKiPiPKlPlN2at6native12_GLOBAL__N_18offset_tEEE10hipError_tPvRmT1_PNSt15iterator_traitsISY_E10value_typeET2_T3_PNSZ_IS14_E10value_typeET4_jRbjT5_S1A_jjP12ihipStream_tbEUljE_EEESV_SW_SX_S14_S18_S1A_T6_T7_T9_mT8_S1C_bDpT10_ENKUlT_T0_E_clISt17integral_constantIbLb1EES1O_IbLb0EEEEDaS1K_S1L_EUlS1K_E_NS1_11comp_targetILNS1_3genE4ELNS1_11target_archE910ELNS1_3gpuE8ELNS1_3repE0EEENS1_30default_config_static_selectorELNS0_4arch9wavefront6targetE1EEEvSY_
                                        ; -- End function
	.set _ZN7rocprim17ROCPRIM_400000_NS6detail17trampoline_kernelINS0_13select_configILj256ELj13ELNS0_17block_load_methodE3ELS4_3ELS4_3ELNS0_20block_scan_algorithmE0ELj4294967295EEENS1_25partition_config_selectorILNS1_17partition_subalgoE3EjNS0_10empty_typeEbEEZZNS1_14partition_implILS8_3ELb0ES6_jNS0_17counting_iteratorIjlEEPS9_SE_NS0_5tupleIJPjSE_EEENSF_IJSE_SE_EEES9_SG_JZNS1_25segmented_radix_sort_implINS0_14default_configELb1EPKiPiPKlPlN2at6native12_GLOBAL__N_18offset_tEEE10hipError_tPvRmT1_PNSt15iterator_traitsISY_E10value_typeET2_T3_PNSZ_IS14_E10value_typeET4_jRbjT5_S1A_jjP12ihipStream_tbEUljE_EEESV_SW_SX_S14_S18_S1A_T6_T7_T9_mT8_S1C_bDpT10_ENKUlT_T0_E_clISt17integral_constantIbLb1EES1O_IbLb0EEEEDaS1K_S1L_EUlS1K_E_NS1_11comp_targetILNS1_3genE4ELNS1_11target_archE910ELNS1_3gpuE8ELNS1_3repE0EEENS1_30default_config_static_selectorELNS0_4arch9wavefront6targetE1EEEvSY_.num_vgpr, 0
	.set _ZN7rocprim17ROCPRIM_400000_NS6detail17trampoline_kernelINS0_13select_configILj256ELj13ELNS0_17block_load_methodE3ELS4_3ELS4_3ELNS0_20block_scan_algorithmE0ELj4294967295EEENS1_25partition_config_selectorILNS1_17partition_subalgoE3EjNS0_10empty_typeEbEEZZNS1_14partition_implILS8_3ELb0ES6_jNS0_17counting_iteratorIjlEEPS9_SE_NS0_5tupleIJPjSE_EEENSF_IJSE_SE_EEES9_SG_JZNS1_25segmented_radix_sort_implINS0_14default_configELb1EPKiPiPKlPlN2at6native12_GLOBAL__N_18offset_tEEE10hipError_tPvRmT1_PNSt15iterator_traitsISY_E10value_typeET2_T3_PNSZ_IS14_E10value_typeET4_jRbjT5_S1A_jjP12ihipStream_tbEUljE_EEESV_SW_SX_S14_S18_S1A_T6_T7_T9_mT8_S1C_bDpT10_ENKUlT_T0_E_clISt17integral_constantIbLb1EES1O_IbLb0EEEEDaS1K_S1L_EUlS1K_E_NS1_11comp_targetILNS1_3genE4ELNS1_11target_archE910ELNS1_3gpuE8ELNS1_3repE0EEENS1_30default_config_static_selectorELNS0_4arch9wavefront6targetE1EEEvSY_.num_agpr, 0
	.set _ZN7rocprim17ROCPRIM_400000_NS6detail17trampoline_kernelINS0_13select_configILj256ELj13ELNS0_17block_load_methodE3ELS4_3ELS4_3ELNS0_20block_scan_algorithmE0ELj4294967295EEENS1_25partition_config_selectorILNS1_17partition_subalgoE3EjNS0_10empty_typeEbEEZZNS1_14partition_implILS8_3ELb0ES6_jNS0_17counting_iteratorIjlEEPS9_SE_NS0_5tupleIJPjSE_EEENSF_IJSE_SE_EEES9_SG_JZNS1_25segmented_radix_sort_implINS0_14default_configELb1EPKiPiPKlPlN2at6native12_GLOBAL__N_18offset_tEEE10hipError_tPvRmT1_PNSt15iterator_traitsISY_E10value_typeET2_T3_PNSZ_IS14_E10value_typeET4_jRbjT5_S1A_jjP12ihipStream_tbEUljE_EEESV_SW_SX_S14_S18_S1A_T6_T7_T9_mT8_S1C_bDpT10_ENKUlT_T0_E_clISt17integral_constantIbLb1EES1O_IbLb0EEEEDaS1K_S1L_EUlS1K_E_NS1_11comp_targetILNS1_3genE4ELNS1_11target_archE910ELNS1_3gpuE8ELNS1_3repE0EEENS1_30default_config_static_selectorELNS0_4arch9wavefront6targetE1EEEvSY_.numbered_sgpr, 0
	.set _ZN7rocprim17ROCPRIM_400000_NS6detail17trampoline_kernelINS0_13select_configILj256ELj13ELNS0_17block_load_methodE3ELS4_3ELS4_3ELNS0_20block_scan_algorithmE0ELj4294967295EEENS1_25partition_config_selectorILNS1_17partition_subalgoE3EjNS0_10empty_typeEbEEZZNS1_14partition_implILS8_3ELb0ES6_jNS0_17counting_iteratorIjlEEPS9_SE_NS0_5tupleIJPjSE_EEENSF_IJSE_SE_EEES9_SG_JZNS1_25segmented_radix_sort_implINS0_14default_configELb1EPKiPiPKlPlN2at6native12_GLOBAL__N_18offset_tEEE10hipError_tPvRmT1_PNSt15iterator_traitsISY_E10value_typeET2_T3_PNSZ_IS14_E10value_typeET4_jRbjT5_S1A_jjP12ihipStream_tbEUljE_EEESV_SW_SX_S14_S18_S1A_T6_T7_T9_mT8_S1C_bDpT10_ENKUlT_T0_E_clISt17integral_constantIbLb1EES1O_IbLb0EEEEDaS1K_S1L_EUlS1K_E_NS1_11comp_targetILNS1_3genE4ELNS1_11target_archE910ELNS1_3gpuE8ELNS1_3repE0EEENS1_30default_config_static_selectorELNS0_4arch9wavefront6targetE1EEEvSY_.num_named_barrier, 0
	.set _ZN7rocprim17ROCPRIM_400000_NS6detail17trampoline_kernelINS0_13select_configILj256ELj13ELNS0_17block_load_methodE3ELS4_3ELS4_3ELNS0_20block_scan_algorithmE0ELj4294967295EEENS1_25partition_config_selectorILNS1_17partition_subalgoE3EjNS0_10empty_typeEbEEZZNS1_14partition_implILS8_3ELb0ES6_jNS0_17counting_iteratorIjlEEPS9_SE_NS0_5tupleIJPjSE_EEENSF_IJSE_SE_EEES9_SG_JZNS1_25segmented_radix_sort_implINS0_14default_configELb1EPKiPiPKlPlN2at6native12_GLOBAL__N_18offset_tEEE10hipError_tPvRmT1_PNSt15iterator_traitsISY_E10value_typeET2_T3_PNSZ_IS14_E10value_typeET4_jRbjT5_S1A_jjP12ihipStream_tbEUljE_EEESV_SW_SX_S14_S18_S1A_T6_T7_T9_mT8_S1C_bDpT10_ENKUlT_T0_E_clISt17integral_constantIbLb1EES1O_IbLb0EEEEDaS1K_S1L_EUlS1K_E_NS1_11comp_targetILNS1_3genE4ELNS1_11target_archE910ELNS1_3gpuE8ELNS1_3repE0EEENS1_30default_config_static_selectorELNS0_4arch9wavefront6targetE1EEEvSY_.private_seg_size, 0
	.set _ZN7rocprim17ROCPRIM_400000_NS6detail17trampoline_kernelINS0_13select_configILj256ELj13ELNS0_17block_load_methodE3ELS4_3ELS4_3ELNS0_20block_scan_algorithmE0ELj4294967295EEENS1_25partition_config_selectorILNS1_17partition_subalgoE3EjNS0_10empty_typeEbEEZZNS1_14partition_implILS8_3ELb0ES6_jNS0_17counting_iteratorIjlEEPS9_SE_NS0_5tupleIJPjSE_EEENSF_IJSE_SE_EEES9_SG_JZNS1_25segmented_radix_sort_implINS0_14default_configELb1EPKiPiPKlPlN2at6native12_GLOBAL__N_18offset_tEEE10hipError_tPvRmT1_PNSt15iterator_traitsISY_E10value_typeET2_T3_PNSZ_IS14_E10value_typeET4_jRbjT5_S1A_jjP12ihipStream_tbEUljE_EEESV_SW_SX_S14_S18_S1A_T6_T7_T9_mT8_S1C_bDpT10_ENKUlT_T0_E_clISt17integral_constantIbLb1EES1O_IbLb0EEEEDaS1K_S1L_EUlS1K_E_NS1_11comp_targetILNS1_3genE4ELNS1_11target_archE910ELNS1_3gpuE8ELNS1_3repE0EEENS1_30default_config_static_selectorELNS0_4arch9wavefront6targetE1EEEvSY_.uses_vcc, 0
	.set _ZN7rocprim17ROCPRIM_400000_NS6detail17trampoline_kernelINS0_13select_configILj256ELj13ELNS0_17block_load_methodE3ELS4_3ELS4_3ELNS0_20block_scan_algorithmE0ELj4294967295EEENS1_25partition_config_selectorILNS1_17partition_subalgoE3EjNS0_10empty_typeEbEEZZNS1_14partition_implILS8_3ELb0ES6_jNS0_17counting_iteratorIjlEEPS9_SE_NS0_5tupleIJPjSE_EEENSF_IJSE_SE_EEES9_SG_JZNS1_25segmented_radix_sort_implINS0_14default_configELb1EPKiPiPKlPlN2at6native12_GLOBAL__N_18offset_tEEE10hipError_tPvRmT1_PNSt15iterator_traitsISY_E10value_typeET2_T3_PNSZ_IS14_E10value_typeET4_jRbjT5_S1A_jjP12ihipStream_tbEUljE_EEESV_SW_SX_S14_S18_S1A_T6_T7_T9_mT8_S1C_bDpT10_ENKUlT_T0_E_clISt17integral_constantIbLb1EES1O_IbLb0EEEEDaS1K_S1L_EUlS1K_E_NS1_11comp_targetILNS1_3genE4ELNS1_11target_archE910ELNS1_3gpuE8ELNS1_3repE0EEENS1_30default_config_static_selectorELNS0_4arch9wavefront6targetE1EEEvSY_.uses_flat_scratch, 0
	.set _ZN7rocprim17ROCPRIM_400000_NS6detail17trampoline_kernelINS0_13select_configILj256ELj13ELNS0_17block_load_methodE3ELS4_3ELS4_3ELNS0_20block_scan_algorithmE0ELj4294967295EEENS1_25partition_config_selectorILNS1_17partition_subalgoE3EjNS0_10empty_typeEbEEZZNS1_14partition_implILS8_3ELb0ES6_jNS0_17counting_iteratorIjlEEPS9_SE_NS0_5tupleIJPjSE_EEENSF_IJSE_SE_EEES9_SG_JZNS1_25segmented_radix_sort_implINS0_14default_configELb1EPKiPiPKlPlN2at6native12_GLOBAL__N_18offset_tEEE10hipError_tPvRmT1_PNSt15iterator_traitsISY_E10value_typeET2_T3_PNSZ_IS14_E10value_typeET4_jRbjT5_S1A_jjP12ihipStream_tbEUljE_EEESV_SW_SX_S14_S18_S1A_T6_T7_T9_mT8_S1C_bDpT10_ENKUlT_T0_E_clISt17integral_constantIbLb1EES1O_IbLb0EEEEDaS1K_S1L_EUlS1K_E_NS1_11comp_targetILNS1_3genE4ELNS1_11target_archE910ELNS1_3gpuE8ELNS1_3repE0EEENS1_30default_config_static_selectorELNS0_4arch9wavefront6targetE1EEEvSY_.has_dyn_sized_stack, 0
	.set _ZN7rocprim17ROCPRIM_400000_NS6detail17trampoline_kernelINS0_13select_configILj256ELj13ELNS0_17block_load_methodE3ELS4_3ELS4_3ELNS0_20block_scan_algorithmE0ELj4294967295EEENS1_25partition_config_selectorILNS1_17partition_subalgoE3EjNS0_10empty_typeEbEEZZNS1_14partition_implILS8_3ELb0ES6_jNS0_17counting_iteratorIjlEEPS9_SE_NS0_5tupleIJPjSE_EEENSF_IJSE_SE_EEES9_SG_JZNS1_25segmented_radix_sort_implINS0_14default_configELb1EPKiPiPKlPlN2at6native12_GLOBAL__N_18offset_tEEE10hipError_tPvRmT1_PNSt15iterator_traitsISY_E10value_typeET2_T3_PNSZ_IS14_E10value_typeET4_jRbjT5_S1A_jjP12ihipStream_tbEUljE_EEESV_SW_SX_S14_S18_S1A_T6_T7_T9_mT8_S1C_bDpT10_ENKUlT_T0_E_clISt17integral_constantIbLb1EES1O_IbLb0EEEEDaS1K_S1L_EUlS1K_E_NS1_11comp_targetILNS1_3genE4ELNS1_11target_archE910ELNS1_3gpuE8ELNS1_3repE0EEENS1_30default_config_static_selectorELNS0_4arch9wavefront6targetE1EEEvSY_.has_recursion, 0
	.set _ZN7rocprim17ROCPRIM_400000_NS6detail17trampoline_kernelINS0_13select_configILj256ELj13ELNS0_17block_load_methodE3ELS4_3ELS4_3ELNS0_20block_scan_algorithmE0ELj4294967295EEENS1_25partition_config_selectorILNS1_17partition_subalgoE3EjNS0_10empty_typeEbEEZZNS1_14partition_implILS8_3ELb0ES6_jNS0_17counting_iteratorIjlEEPS9_SE_NS0_5tupleIJPjSE_EEENSF_IJSE_SE_EEES9_SG_JZNS1_25segmented_radix_sort_implINS0_14default_configELb1EPKiPiPKlPlN2at6native12_GLOBAL__N_18offset_tEEE10hipError_tPvRmT1_PNSt15iterator_traitsISY_E10value_typeET2_T3_PNSZ_IS14_E10value_typeET4_jRbjT5_S1A_jjP12ihipStream_tbEUljE_EEESV_SW_SX_S14_S18_S1A_T6_T7_T9_mT8_S1C_bDpT10_ENKUlT_T0_E_clISt17integral_constantIbLb1EES1O_IbLb0EEEEDaS1K_S1L_EUlS1K_E_NS1_11comp_targetILNS1_3genE4ELNS1_11target_archE910ELNS1_3gpuE8ELNS1_3repE0EEENS1_30default_config_static_selectorELNS0_4arch9wavefront6targetE1EEEvSY_.has_indirect_call, 0
	.section	.AMDGPU.csdata,"",@progbits
; Kernel info:
; codeLenInByte = 0
; TotalNumSgprs: 4
; NumVgprs: 0
; ScratchSize: 0
; MemoryBound: 0
; FloatMode: 240
; IeeeMode: 1
; LDSByteSize: 0 bytes/workgroup (compile time only)
; SGPRBlocks: 0
; VGPRBlocks: 0
; NumSGPRsForWavesPerEU: 4
; NumVGPRsForWavesPerEU: 1
; Occupancy: 10
; WaveLimiterHint : 0
; COMPUTE_PGM_RSRC2:SCRATCH_EN: 0
; COMPUTE_PGM_RSRC2:USER_SGPR: 6
; COMPUTE_PGM_RSRC2:TRAP_HANDLER: 0
; COMPUTE_PGM_RSRC2:TGID_X_EN: 1
; COMPUTE_PGM_RSRC2:TGID_Y_EN: 0
; COMPUTE_PGM_RSRC2:TGID_Z_EN: 0
; COMPUTE_PGM_RSRC2:TIDIG_COMP_CNT: 0
	.section	.text._ZN7rocprim17ROCPRIM_400000_NS6detail17trampoline_kernelINS0_13select_configILj256ELj13ELNS0_17block_load_methodE3ELS4_3ELS4_3ELNS0_20block_scan_algorithmE0ELj4294967295EEENS1_25partition_config_selectorILNS1_17partition_subalgoE3EjNS0_10empty_typeEbEEZZNS1_14partition_implILS8_3ELb0ES6_jNS0_17counting_iteratorIjlEEPS9_SE_NS0_5tupleIJPjSE_EEENSF_IJSE_SE_EEES9_SG_JZNS1_25segmented_radix_sort_implINS0_14default_configELb1EPKiPiPKlPlN2at6native12_GLOBAL__N_18offset_tEEE10hipError_tPvRmT1_PNSt15iterator_traitsISY_E10value_typeET2_T3_PNSZ_IS14_E10value_typeET4_jRbjT5_S1A_jjP12ihipStream_tbEUljE_EEESV_SW_SX_S14_S18_S1A_T6_T7_T9_mT8_S1C_bDpT10_ENKUlT_T0_E_clISt17integral_constantIbLb1EES1O_IbLb0EEEEDaS1K_S1L_EUlS1K_E_NS1_11comp_targetILNS1_3genE3ELNS1_11target_archE908ELNS1_3gpuE7ELNS1_3repE0EEENS1_30default_config_static_selectorELNS0_4arch9wavefront6targetE1EEEvSY_,"axG",@progbits,_ZN7rocprim17ROCPRIM_400000_NS6detail17trampoline_kernelINS0_13select_configILj256ELj13ELNS0_17block_load_methodE3ELS4_3ELS4_3ELNS0_20block_scan_algorithmE0ELj4294967295EEENS1_25partition_config_selectorILNS1_17partition_subalgoE3EjNS0_10empty_typeEbEEZZNS1_14partition_implILS8_3ELb0ES6_jNS0_17counting_iteratorIjlEEPS9_SE_NS0_5tupleIJPjSE_EEENSF_IJSE_SE_EEES9_SG_JZNS1_25segmented_radix_sort_implINS0_14default_configELb1EPKiPiPKlPlN2at6native12_GLOBAL__N_18offset_tEEE10hipError_tPvRmT1_PNSt15iterator_traitsISY_E10value_typeET2_T3_PNSZ_IS14_E10value_typeET4_jRbjT5_S1A_jjP12ihipStream_tbEUljE_EEESV_SW_SX_S14_S18_S1A_T6_T7_T9_mT8_S1C_bDpT10_ENKUlT_T0_E_clISt17integral_constantIbLb1EES1O_IbLb0EEEEDaS1K_S1L_EUlS1K_E_NS1_11comp_targetILNS1_3genE3ELNS1_11target_archE908ELNS1_3gpuE7ELNS1_3repE0EEENS1_30default_config_static_selectorELNS0_4arch9wavefront6targetE1EEEvSY_,comdat
	.globl	_ZN7rocprim17ROCPRIM_400000_NS6detail17trampoline_kernelINS0_13select_configILj256ELj13ELNS0_17block_load_methodE3ELS4_3ELS4_3ELNS0_20block_scan_algorithmE0ELj4294967295EEENS1_25partition_config_selectorILNS1_17partition_subalgoE3EjNS0_10empty_typeEbEEZZNS1_14partition_implILS8_3ELb0ES6_jNS0_17counting_iteratorIjlEEPS9_SE_NS0_5tupleIJPjSE_EEENSF_IJSE_SE_EEES9_SG_JZNS1_25segmented_radix_sort_implINS0_14default_configELb1EPKiPiPKlPlN2at6native12_GLOBAL__N_18offset_tEEE10hipError_tPvRmT1_PNSt15iterator_traitsISY_E10value_typeET2_T3_PNSZ_IS14_E10value_typeET4_jRbjT5_S1A_jjP12ihipStream_tbEUljE_EEESV_SW_SX_S14_S18_S1A_T6_T7_T9_mT8_S1C_bDpT10_ENKUlT_T0_E_clISt17integral_constantIbLb1EES1O_IbLb0EEEEDaS1K_S1L_EUlS1K_E_NS1_11comp_targetILNS1_3genE3ELNS1_11target_archE908ELNS1_3gpuE7ELNS1_3repE0EEENS1_30default_config_static_selectorELNS0_4arch9wavefront6targetE1EEEvSY_ ; -- Begin function _ZN7rocprim17ROCPRIM_400000_NS6detail17trampoline_kernelINS0_13select_configILj256ELj13ELNS0_17block_load_methodE3ELS4_3ELS4_3ELNS0_20block_scan_algorithmE0ELj4294967295EEENS1_25partition_config_selectorILNS1_17partition_subalgoE3EjNS0_10empty_typeEbEEZZNS1_14partition_implILS8_3ELb0ES6_jNS0_17counting_iteratorIjlEEPS9_SE_NS0_5tupleIJPjSE_EEENSF_IJSE_SE_EEES9_SG_JZNS1_25segmented_radix_sort_implINS0_14default_configELb1EPKiPiPKlPlN2at6native12_GLOBAL__N_18offset_tEEE10hipError_tPvRmT1_PNSt15iterator_traitsISY_E10value_typeET2_T3_PNSZ_IS14_E10value_typeET4_jRbjT5_S1A_jjP12ihipStream_tbEUljE_EEESV_SW_SX_S14_S18_S1A_T6_T7_T9_mT8_S1C_bDpT10_ENKUlT_T0_E_clISt17integral_constantIbLb1EES1O_IbLb0EEEEDaS1K_S1L_EUlS1K_E_NS1_11comp_targetILNS1_3genE3ELNS1_11target_archE908ELNS1_3gpuE7ELNS1_3repE0EEENS1_30default_config_static_selectorELNS0_4arch9wavefront6targetE1EEEvSY_
	.p2align	8
	.type	_ZN7rocprim17ROCPRIM_400000_NS6detail17trampoline_kernelINS0_13select_configILj256ELj13ELNS0_17block_load_methodE3ELS4_3ELS4_3ELNS0_20block_scan_algorithmE0ELj4294967295EEENS1_25partition_config_selectorILNS1_17partition_subalgoE3EjNS0_10empty_typeEbEEZZNS1_14partition_implILS8_3ELb0ES6_jNS0_17counting_iteratorIjlEEPS9_SE_NS0_5tupleIJPjSE_EEENSF_IJSE_SE_EEES9_SG_JZNS1_25segmented_radix_sort_implINS0_14default_configELb1EPKiPiPKlPlN2at6native12_GLOBAL__N_18offset_tEEE10hipError_tPvRmT1_PNSt15iterator_traitsISY_E10value_typeET2_T3_PNSZ_IS14_E10value_typeET4_jRbjT5_S1A_jjP12ihipStream_tbEUljE_EEESV_SW_SX_S14_S18_S1A_T6_T7_T9_mT8_S1C_bDpT10_ENKUlT_T0_E_clISt17integral_constantIbLb1EES1O_IbLb0EEEEDaS1K_S1L_EUlS1K_E_NS1_11comp_targetILNS1_3genE3ELNS1_11target_archE908ELNS1_3gpuE7ELNS1_3repE0EEENS1_30default_config_static_selectorELNS0_4arch9wavefront6targetE1EEEvSY_,@function
_ZN7rocprim17ROCPRIM_400000_NS6detail17trampoline_kernelINS0_13select_configILj256ELj13ELNS0_17block_load_methodE3ELS4_3ELS4_3ELNS0_20block_scan_algorithmE0ELj4294967295EEENS1_25partition_config_selectorILNS1_17partition_subalgoE3EjNS0_10empty_typeEbEEZZNS1_14partition_implILS8_3ELb0ES6_jNS0_17counting_iteratorIjlEEPS9_SE_NS0_5tupleIJPjSE_EEENSF_IJSE_SE_EEES9_SG_JZNS1_25segmented_radix_sort_implINS0_14default_configELb1EPKiPiPKlPlN2at6native12_GLOBAL__N_18offset_tEEE10hipError_tPvRmT1_PNSt15iterator_traitsISY_E10value_typeET2_T3_PNSZ_IS14_E10value_typeET4_jRbjT5_S1A_jjP12ihipStream_tbEUljE_EEESV_SW_SX_S14_S18_S1A_T6_T7_T9_mT8_S1C_bDpT10_ENKUlT_T0_E_clISt17integral_constantIbLb1EES1O_IbLb0EEEEDaS1K_S1L_EUlS1K_E_NS1_11comp_targetILNS1_3genE3ELNS1_11target_archE908ELNS1_3gpuE7ELNS1_3repE0EEENS1_30default_config_static_selectorELNS0_4arch9wavefront6targetE1EEEvSY_: ; @_ZN7rocprim17ROCPRIM_400000_NS6detail17trampoline_kernelINS0_13select_configILj256ELj13ELNS0_17block_load_methodE3ELS4_3ELS4_3ELNS0_20block_scan_algorithmE0ELj4294967295EEENS1_25partition_config_selectorILNS1_17partition_subalgoE3EjNS0_10empty_typeEbEEZZNS1_14partition_implILS8_3ELb0ES6_jNS0_17counting_iteratorIjlEEPS9_SE_NS0_5tupleIJPjSE_EEENSF_IJSE_SE_EEES9_SG_JZNS1_25segmented_radix_sort_implINS0_14default_configELb1EPKiPiPKlPlN2at6native12_GLOBAL__N_18offset_tEEE10hipError_tPvRmT1_PNSt15iterator_traitsISY_E10value_typeET2_T3_PNSZ_IS14_E10value_typeET4_jRbjT5_S1A_jjP12ihipStream_tbEUljE_EEESV_SW_SX_S14_S18_S1A_T6_T7_T9_mT8_S1C_bDpT10_ENKUlT_T0_E_clISt17integral_constantIbLb1EES1O_IbLb0EEEEDaS1K_S1L_EUlS1K_E_NS1_11comp_targetILNS1_3genE3ELNS1_11target_archE908ELNS1_3gpuE7ELNS1_3repE0EEENS1_30default_config_static_selectorELNS0_4arch9wavefront6targetE1EEEvSY_
; %bb.0:
	.section	.rodata,"a",@progbits
	.p2align	6, 0x0
	.amdhsa_kernel _ZN7rocprim17ROCPRIM_400000_NS6detail17trampoline_kernelINS0_13select_configILj256ELj13ELNS0_17block_load_methodE3ELS4_3ELS4_3ELNS0_20block_scan_algorithmE0ELj4294967295EEENS1_25partition_config_selectorILNS1_17partition_subalgoE3EjNS0_10empty_typeEbEEZZNS1_14partition_implILS8_3ELb0ES6_jNS0_17counting_iteratorIjlEEPS9_SE_NS0_5tupleIJPjSE_EEENSF_IJSE_SE_EEES9_SG_JZNS1_25segmented_radix_sort_implINS0_14default_configELb1EPKiPiPKlPlN2at6native12_GLOBAL__N_18offset_tEEE10hipError_tPvRmT1_PNSt15iterator_traitsISY_E10value_typeET2_T3_PNSZ_IS14_E10value_typeET4_jRbjT5_S1A_jjP12ihipStream_tbEUljE_EEESV_SW_SX_S14_S18_S1A_T6_T7_T9_mT8_S1C_bDpT10_ENKUlT_T0_E_clISt17integral_constantIbLb1EES1O_IbLb0EEEEDaS1K_S1L_EUlS1K_E_NS1_11comp_targetILNS1_3genE3ELNS1_11target_archE908ELNS1_3gpuE7ELNS1_3repE0EEENS1_30default_config_static_selectorELNS0_4arch9wavefront6targetE1EEEvSY_
		.amdhsa_group_segment_fixed_size 0
		.amdhsa_private_segment_fixed_size 0
		.amdhsa_kernarg_size 144
		.amdhsa_user_sgpr_count 6
		.amdhsa_user_sgpr_private_segment_buffer 1
		.amdhsa_user_sgpr_dispatch_ptr 0
		.amdhsa_user_sgpr_queue_ptr 0
		.amdhsa_user_sgpr_kernarg_segment_ptr 1
		.amdhsa_user_sgpr_dispatch_id 0
		.amdhsa_user_sgpr_flat_scratch_init 0
		.amdhsa_user_sgpr_private_segment_size 0
		.amdhsa_uses_dynamic_stack 0
		.amdhsa_system_sgpr_private_segment_wavefront_offset 0
		.amdhsa_system_sgpr_workgroup_id_x 1
		.amdhsa_system_sgpr_workgroup_id_y 0
		.amdhsa_system_sgpr_workgroup_id_z 0
		.amdhsa_system_sgpr_workgroup_info 0
		.amdhsa_system_vgpr_workitem_id 0
		.amdhsa_next_free_vgpr 1
		.amdhsa_next_free_sgpr 0
		.amdhsa_reserve_vcc 0
		.amdhsa_reserve_flat_scratch 0
		.amdhsa_float_round_mode_32 0
		.amdhsa_float_round_mode_16_64 0
		.amdhsa_float_denorm_mode_32 3
		.amdhsa_float_denorm_mode_16_64 3
		.amdhsa_dx10_clamp 1
		.amdhsa_ieee_mode 1
		.amdhsa_fp16_overflow 0
		.amdhsa_exception_fp_ieee_invalid_op 0
		.amdhsa_exception_fp_denorm_src 0
		.amdhsa_exception_fp_ieee_div_zero 0
		.amdhsa_exception_fp_ieee_overflow 0
		.amdhsa_exception_fp_ieee_underflow 0
		.amdhsa_exception_fp_ieee_inexact 0
		.amdhsa_exception_int_div_zero 0
	.end_amdhsa_kernel
	.section	.text._ZN7rocprim17ROCPRIM_400000_NS6detail17trampoline_kernelINS0_13select_configILj256ELj13ELNS0_17block_load_methodE3ELS4_3ELS4_3ELNS0_20block_scan_algorithmE0ELj4294967295EEENS1_25partition_config_selectorILNS1_17partition_subalgoE3EjNS0_10empty_typeEbEEZZNS1_14partition_implILS8_3ELb0ES6_jNS0_17counting_iteratorIjlEEPS9_SE_NS0_5tupleIJPjSE_EEENSF_IJSE_SE_EEES9_SG_JZNS1_25segmented_radix_sort_implINS0_14default_configELb1EPKiPiPKlPlN2at6native12_GLOBAL__N_18offset_tEEE10hipError_tPvRmT1_PNSt15iterator_traitsISY_E10value_typeET2_T3_PNSZ_IS14_E10value_typeET4_jRbjT5_S1A_jjP12ihipStream_tbEUljE_EEESV_SW_SX_S14_S18_S1A_T6_T7_T9_mT8_S1C_bDpT10_ENKUlT_T0_E_clISt17integral_constantIbLb1EES1O_IbLb0EEEEDaS1K_S1L_EUlS1K_E_NS1_11comp_targetILNS1_3genE3ELNS1_11target_archE908ELNS1_3gpuE7ELNS1_3repE0EEENS1_30default_config_static_selectorELNS0_4arch9wavefront6targetE1EEEvSY_,"axG",@progbits,_ZN7rocprim17ROCPRIM_400000_NS6detail17trampoline_kernelINS0_13select_configILj256ELj13ELNS0_17block_load_methodE3ELS4_3ELS4_3ELNS0_20block_scan_algorithmE0ELj4294967295EEENS1_25partition_config_selectorILNS1_17partition_subalgoE3EjNS0_10empty_typeEbEEZZNS1_14partition_implILS8_3ELb0ES6_jNS0_17counting_iteratorIjlEEPS9_SE_NS0_5tupleIJPjSE_EEENSF_IJSE_SE_EEES9_SG_JZNS1_25segmented_radix_sort_implINS0_14default_configELb1EPKiPiPKlPlN2at6native12_GLOBAL__N_18offset_tEEE10hipError_tPvRmT1_PNSt15iterator_traitsISY_E10value_typeET2_T3_PNSZ_IS14_E10value_typeET4_jRbjT5_S1A_jjP12ihipStream_tbEUljE_EEESV_SW_SX_S14_S18_S1A_T6_T7_T9_mT8_S1C_bDpT10_ENKUlT_T0_E_clISt17integral_constantIbLb1EES1O_IbLb0EEEEDaS1K_S1L_EUlS1K_E_NS1_11comp_targetILNS1_3genE3ELNS1_11target_archE908ELNS1_3gpuE7ELNS1_3repE0EEENS1_30default_config_static_selectorELNS0_4arch9wavefront6targetE1EEEvSY_,comdat
.Lfunc_end484:
	.size	_ZN7rocprim17ROCPRIM_400000_NS6detail17trampoline_kernelINS0_13select_configILj256ELj13ELNS0_17block_load_methodE3ELS4_3ELS4_3ELNS0_20block_scan_algorithmE0ELj4294967295EEENS1_25partition_config_selectorILNS1_17partition_subalgoE3EjNS0_10empty_typeEbEEZZNS1_14partition_implILS8_3ELb0ES6_jNS0_17counting_iteratorIjlEEPS9_SE_NS0_5tupleIJPjSE_EEENSF_IJSE_SE_EEES9_SG_JZNS1_25segmented_radix_sort_implINS0_14default_configELb1EPKiPiPKlPlN2at6native12_GLOBAL__N_18offset_tEEE10hipError_tPvRmT1_PNSt15iterator_traitsISY_E10value_typeET2_T3_PNSZ_IS14_E10value_typeET4_jRbjT5_S1A_jjP12ihipStream_tbEUljE_EEESV_SW_SX_S14_S18_S1A_T6_T7_T9_mT8_S1C_bDpT10_ENKUlT_T0_E_clISt17integral_constantIbLb1EES1O_IbLb0EEEEDaS1K_S1L_EUlS1K_E_NS1_11comp_targetILNS1_3genE3ELNS1_11target_archE908ELNS1_3gpuE7ELNS1_3repE0EEENS1_30default_config_static_selectorELNS0_4arch9wavefront6targetE1EEEvSY_, .Lfunc_end484-_ZN7rocprim17ROCPRIM_400000_NS6detail17trampoline_kernelINS0_13select_configILj256ELj13ELNS0_17block_load_methodE3ELS4_3ELS4_3ELNS0_20block_scan_algorithmE0ELj4294967295EEENS1_25partition_config_selectorILNS1_17partition_subalgoE3EjNS0_10empty_typeEbEEZZNS1_14partition_implILS8_3ELb0ES6_jNS0_17counting_iteratorIjlEEPS9_SE_NS0_5tupleIJPjSE_EEENSF_IJSE_SE_EEES9_SG_JZNS1_25segmented_radix_sort_implINS0_14default_configELb1EPKiPiPKlPlN2at6native12_GLOBAL__N_18offset_tEEE10hipError_tPvRmT1_PNSt15iterator_traitsISY_E10value_typeET2_T3_PNSZ_IS14_E10value_typeET4_jRbjT5_S1A_jjP12ihipStream_tbEUljE_EEESV_SW_SX_S14_S18_S1A_T6_T7_T9_mT8_S1C_bDpT10_ENKUlT_T0_E_clISt17integral_constantIbLb1EES1O_IbLb0EEEEDaS1K_S1L_EUlS1K_E_NS1_11comp_targetILNS1_3genE3ELNS1_11target_archE908ELNS1_3gpuE7ELNS1_3repE0EEENS1_30default_config_static_selectorELNS0_4arch9wavefront6targetE1EEEvSY_
                                        ; -- End function
	.set _ZN7rocprim17ROCPRIM_400000_NS6detail17trampoline_kernelINS0_13select_configILj256ELj13ELNS0_17block_load_methodE3ELS4_3ELS4_3ELNS0_20block_scan_algorithmE0ELj4294967295EEENS1_25partition_config_selectorILNS1_17partition_subalgoE3EjNS0_10empty_typeEbEEZZNS1_14partition_implILS8_3ELb0ES6_jNS0_17counting_iteratorIjlEEPS9_SE_NS0_5tupleIJPjSE_EEENSF_IJSE_SE_EEES9_SG_JZNS1_25segmented_radix_sort_implINS0_14default_configELb1EPKiPiPKlPlN2at6native12_GLOBAL__N_18offset_tEEE10hipError_tPvRmT1_PNSt15iterator_traitsISY_E10value_typeET2_T3_PNSZ_IS14_E10value_typeET4_jRbjT5_S1A_jjP12ihipStream_tbEUljE_EEESV_SW_SX_S14_S18_S1A_T6_T7_T9_mT8_S1C_bDpT10_ENKUlT_T0_E_clISt17integral_constantIbLb1EES1O_IbLb0EEEEDaS1K_S1L_EUlS1K_E_NS1_11comp_targetILNS1_3genE3ELNS1_11target_archE908ELNS1_3gpuE7ELNS1_3repE0EEENS1_30default_config_static_selectorELNS0_4arch9wavefront6targetE1EEEvSY_.num_vgpr, 0
	.set _ZN7rocprim17ROCPRIM_400000_NS6detail17trampoline_kernelINS0_13select_configILj256ELj13ELNS0_17block_load_methodE3ELS4_3ELS4_3ELNS0_20block_scan_algorithmE0ELj4294967295EEENS1_25partition_config_selectorILNS1_17partition_subalgoE3EjNS0_10empty_typeEbEEZZNS1_14partition_implILS8_3ELb0ES6_jNS0_17counting_iteratorIjlEEPS9_SE_NS0_5tupleIJPjSE_EEENSF_IJSE_SE_EEES9_SG_JZNS1_25segmented_radix_sort_implINS0_14default_configELb1EPKiPiPKlPlN2at6native12_GLOBAL__N_18offset_tEEE10hipError_tPvRmT1_PNSt15iterator_traitsISY_E10value_typeET2_T3_PNSZ_IS14_E10value_typeET4_jRbjT5_S1A_jjP12ihipStream_tbEUljE_EEESV_SW_SX_S14_S18_S1A_T6_T7_T9_mT8_S1C_bDpT10_ENKUlT_T0_E_clISt17integral_constantIbLb1EES1O_IbLb0EEEEDaS1K_S1L_EUlS1K_E_NS1_11comp_targetILNS1_3genE3ELNS1_11target_archE908ELNS1_3gpuE7ELNS1_3repE0EEENS1_30default_config_static_selectorELNS0_4arch9wavefront6targetE1EEEvSY_.num_agpr, 0
	.set _ZN7rocprim17ROCPRIM_400000_NS6detail17trampoline_kernelINS0_13select_configILj256ELj13ELNS0_17block_load_methodE3ELS4_3ELS4_3ELNS0_20block_scan_algorithmE0ELj4294967295EEENS1_25partition_config_selectorILNS1_17partition_subalgoE3EjNS0_10empty_typeEbEEZZNS1_14partition_implILS8_3ELb0ES6_jNS0_17counting_iteratorIjlEEPS9_SE_NS0_5tupleIJPjSE_EEENSF_IJSE_SE_EEES9_SG_JZNS1_25segmented_radix_sort_implINS0_14default_configELb1EPKiPiPKlPlN2at6native12_GLOBAL__N_18offset_tEEE10hipError_tPvRmT1_PNSt15iterator_traitsISY_E10value_typeET2_T3_PNSZ_IS14_E10value_typeET4_jRbjT5_S1A_jjP12ihipStream_tbEUljE_EEESV_SW_SX_S14_S18_S1A_T6_T7_T9_mT8_S1C_bDpT10_ENKUlT_T0_E_clISt17integral_constantIbLb1EES1O_IbLb0EEEEDaS1K_S1L_EUlS1K_E_NS1_11comp_targetILNS1_3genE3ELNS1_11target_archE908ELNS1_3gpuE7ELNS1_3repE0EEENS1_30default_config_static_selectorELNS0_4arch9wavefront6targetE1EEEvSY_.numbered_sgpr, 0
	.set _ZN7rocprim17ROCPRIM_400000_NS6detail17trampoline_kernelINS0_13select_configILj256ELj13ELNS0_17block_load_methodE3ELS4_3ELS4_3ELNS0_20block_scan_algorithmE0ELj4294967295EEENS1_25partition_config_selectorILNS1_17partition_subalgoE3EjNS0_10empty_typeEbEEZZNS1_14partition_implILS8_3ELb0ES6_jNS0_17counting_iteratorIjlEEPS9_SE_NS0_5tupleIJPjSE_EEENSF_IJSE_SE_EEES9_SG_JZNS1_25segmented_radix_sort_implINS0_14default_configELb1EPKiPiPKlPlN2at6native12_GLOBAL__N_18offset_tEEE10hipError_tPvRmT1_PNSt15iterator_traitsISY_E10value_typeET2_T3_PNSZ_IS14_E10value_typeET4_jRbjT5_S1A_jjP12ihipStream_tbEUljE_EEESV_SW_SX_S14_S18_S1A_T6_T7_T9_mT8_S1C_bDpT10_ENKUlT_T0_E_clISt17integral_constantIbLb1EES1O_IbLb0EEEEDaS1K_S1L_EUlS1K_E_NS1_11comp_targetILNS1_3genE3ELNS1_11target_archE908ELNS1_3gpuE7ELNS1_3repE0EEENS1_30default_config_static_selectorELNS0_4arch9wavefront6targetE1EEEvSY_.num_named_barrier, 0
	.set _ZN7rocprim17ROCPRIM_400000_NS6detail17trampoline_kernelINS0_13select_configILj256ELj13ELNS0_17block_load_methodE3ELS4_3ELS4_3ELNS0_20block_scan_algorithmE0ELj4294967295EEENS1_25partition_config_selectorILNS1_17partition_subalgoE3EjNS0_10empty_typeEbEEZZNS1_14partition_implILS8_3ELb0ES6_jNS0_17counting_iteratorIjlEEPS9_SE_NS0_5tupleIJPjSE_EEENSF_IJSE_SE_EEES9_SG_JZNS1_25segmented_radix_sort_implINS0_14default_configELb1EPKiPiPKlPlN2at6native12_GLOBAL__N_18offset_tEEE10hipError_tPvRmT1_PNSt15iterator_traitsISY_E10value_typeET2_T3_PNSZ_IS14_E10value_typeET4_jRbjT5_S1A_jjP12ihipStream_tbEUljE_EEESV_SW_SX_S14_S18_S1A_T6_T7_T9_mT8_S1C_bDpT10_ENKUlT_T0_E_clISt17integral_constantIbLb1EES1O_IbLb0EEEEDaS1K_S1L_EUlS1K_E_NS1_11comp_targetILNS1_3genE3ELNS1_11target_archE908ELNS1_3gpuE7ELNS1_3repE0EEENS1_30default_config_static_selectorELNS0_4arch9wavefront6targetE1EEEvSY_.private_seg_size, 0
	.set _ZN7rocprim17ROCPRIM_400000_NS6detail17trampoline_kernelINS0_13select_configILj256ELj13ELNS0_17block_load_methodE3ELS4_3ELS4_3ELNS0_20block_scan_algorithmE0ELj4294967295EEENS1_25partition_config_selectorILNS1_17partition_subalgoE3EjNS0_10empty_typeEbEEZZNS1_14partition_implILS8_3ELb0ES6_jNS0_17counting_iteratorIjlEEPS9_SE_NS0_5tupleIJPjSE_EEENSF_IJSE_SE_EEES9_SG_JZNS1_25segmented_radix_sort_implINS0_14default_configELb1EPKiPiPKlPlN2at6native12_GLOBAL__N_18offset_tEEE10hipError_tPvRmT1_PNSt15iterator_traitsISY_E10value_typeET2_T3_PNSZ_IS14_E10value_typeET4_jRbjT5_S1A_jjP12ihipStream_tbEUljE_EEESV_SW_SX_S14_S18_S1A_T6_T7_T9_mT8_S1C_bDpT10_ENKUlT_T0_E_clISt17integral_constantIbLb1EES1O_IbLb0EEEEDaS1K_S1L_EUlS1K_E_NS1_11comp_targetILNS1_3genE3ELNS1_11target_archE908ELNS1_3gpuE7ELNS1_3repE0EEENS1_30default_config_static_selectorELNS0_4arch9wavefront6targetE1EEEvSY_.uses_vcc, 0
	.set _ZN7rocprim17ROCPRIM_400000_NS6detail17trampoline_kernelINS0_13select_configILj256ELj13ELNS0_17block_load_methodE3ELS4_3ELS4_3ELNS0_20block_scan_algorithmE0ELj4294967295EEENS1_25partition_config_selectorILNS1_17partition_subalgoE3EjNS0_10empty_typeEbEEZZNS1_14partition_implILS8_3ELb0ES6_jNS0_17counting_iteratorIjlEEPS9_SE_NS0_5tupleIJPjSE_EEENSF_IJSE_SE_EEES9_SG_JZNS1_25segmented_radix_sort_implINS0_14default_configELb1EPKiPiPKlPlN2at6native12_GLOBAL__N_18offset_tEEE10hipError_tPvRmT1_PNSt15iterator_traitsISY_E10value_typeET2_T3_PNSZ_IS14_E10value_typeET4_jRbjT5_S1A_jjP12ihipStream_tbEUljE_EEESV_SW_SX_S14_S18_S1A_T6_T7_T9_mT8_S1C_bDpT10_ENKUlT_T0_E_clISt17integral_constantIbLb1EES1O_IbLb0EEEEDaS1K_S1L_EUlS1K_E_NS1_11comp_targetILNS1_3genE3ELNS1_11target_archE908ELNS1_3gpuE7ELNS1_3repE0EEENS1_30default_config_static_selectorELNS0_4arch9wavefront6targetE1EEEvSY_.uses_flat_scratch, 0
	.set _ZN7rocprim17ROCPRIM_400000_NS6detail17trampoline_kernelINS0_13select_configILj256ELj13ELNS0_17block_load_methodE3ELS4_3ELS4_3ELNS0_20block_scan_algorithmE0ELj4294967295EEENS1_25partition_config_selectorILNS1_17partition_subalgoE3EjNS0_10empty_typeEbEEZZNS1_14partition_implILS8_3ELb0ES6_jNS0_17counting_iteratorIjlEEPS9_SE_NS0_5tupleIJPjSE_EEENSF_IJSE_SE_EEES9_SG_JZNS1_25segmented_radix_sort_implINS0_14default_configELb1EPKiPiPKlPlN2at6native12_GLOBAL__N_18offset_tEEE10hipError_tPvRmT1_PNSt15iterator_traitsISY_E10value_typeET2_T3_PNSZ_IS14_E10value_typeET4_jRbjT5_S1A_jjP12ihipStream_tbEUljE_EEESV_SW_SX_S14_S18_S1A_T6_T7_T9_mT8_S1C_bDpT10_ENKUlT_T0_E_clISt17integral_constantIbLb1EES1O_IbLb0EEEEDaS1K_S1L_EUlS1K_E_NS1_11comp_targetILNS1_3genE3ELNS1_11target_archE908ELNS1_3gpuE7ELNS1_3repE0EEENS1_30default_config_static_selectorELNS0_4arch9wavefront6targetE1EEEvSY_.has_dyn_sized_stack, 0
	.set _ZN7rocprim17ROCPRIM_400000_NS6detail17trampoline_kernelINS0_13select_configILj256ELj13ELNS0_17block_load_methodE3ELS4_3ELS4_3ELNS0_20block_scan_algorithmE0ELj4294967295EEENS1_25partition_config_selectorILNS1_17partition_subalgoE3EjNS0_10empty_typeEbEEZZNS1_14partition_implILS8_3ELb0ES6_jNS0_17counting_iteratorIjlEEPS9_SE_NS0_5tupleIJPjSE_EEENSF_IJSE_SE_EEES9_SG_JZNS1_25segmented_radix_sort_implINS0_14default_configELb1EPKiPiPKlPlN2at6native12_GLOBAL__N_18offset_tEEE10hipError_tPvRmT1_PNSt15iterator_traitsISY_E10value_typeET2_T3_PNSZ_IS14_E10value_typeET4_jRbjT5_S1A_jjP12ihipStream_tbEUljE_EEESV_SW_SX_S14_S18_S1A_T6_T7_T9_mT8_S1C_bDpT10_ENKUlT_T0_E_clISt17integral_constantIbLb1EES1O_IbLb0EEEEDaS1K_S1L_EUlS1K_E_NS1_11comp_targetILNS1_3genE3ELNS1_11target_archE908ELNS1_3gpuE7ELNS1_3repE0EEENS1_30default_config_static_selectorELNS0_4arch9wavefront6targetE1EEEvSY_.has_recursion, 0
	.set _ZN7rocprim17ROCPRIM_400000_NS6detail17trampoline_kernelINS0_13select_configILj256ELj13ELNS0_17block_load_methodE3ELS4_3ELS4_3ELNS0_20block_scan_algorithmE0ELj4294967295EEENS1_25partition_config_selectorILNS1_17partition_subalgoE3EjNS0_10empty_typeEbEEZZNS1_14partition_implILS8_3ELb0ES6_jNS0_17counting_iteratorIjlEEPS9_SE_NS0_5tupleIJPjSE_EEENSF_IJSE_SE_EEES9_SG_JZNS1_25segmented_radix_sort_implINS0_14default_configELb1EPKiPiPKlPlN2at6native12_GLOBAL__N_18offset_tEEE10hipError_tPvRmT1_PNSt15iterator_traitsISY_E10value_typeET2_T3_PNSZ_IS14_E10value_typeET4_jRbjT5_S1A_jjP12ihipStream_tbEUljE_EEESV_SW_SX_S14_S18_S1A_T6_T7_T9_mT8_S1C_bDpT10_ENKUlT_T0_E_clISt17integral_constantIbLb1EES1O_IbLb0EEEEDaS1K_S1L_EUlS1K_E_NS1_11comp_targetILNS1_3genE3ELNS1_11target_archE908ELNS1_3gpuE7ELNS1_3repE0EEENS1_30default_config_static_selectorELNS0_4arch9wavefront6targetE1EEEvSY_.has_indirect_call, 0
	.section	.AMDGPU.csdata,"",@progbits
; Kernel info:
; codeLenInByte = 0
; TotalNumSgprs: 4
; NumVgprs: 0
; ScratchSize: 0
; MemoryBound: 0
; FloatMode: 240
; IeeeMode: 1
; LDSByteSize: 0 bytes/workgroup (compile time only)
; SGPRBlocks: 0
; VGPRBlocks: 0
; NumSGPRsForWavesPerEU: 4
; NumVGPRsForWavesPerEU: 1
; Occupancy: 10
; WaveLimiterHint : 0
; COMPUTE_PGM_RSRC2:SCRATCH_EN: 0
; COMPUTE_PGM_RSRC2:USER_SGPR: 6
; COMPUTE_PGM_RSRC2:TRAP_HANDLER: 0
; COMPUTE_PGM_RSRC2:TGID_X_EN: 1
; COMPUTE_PGM_RSRC2:TGID_Y_EN: 0
; COMPUTE_PGM_RSRC2:TGID_Z_EN: 0
; COMPUTE_PGM_RSRC2:TIDIG_COMP_CNT: 0
	.section	.text._ZN7rocprim17ROCPRIM_400000_NS6detail17trampoline_kernelINS0_13select_configILj256ELj13ELNS0_17block_load_methodE3ELS4_3ELS4_3ELNS0_20block_scan_algorithmE0ELj4294967295EEENS1_25partition_config_selectorILNS1_17partition_subalgoE3EjNS0_10empty_typeEbEEZZNS1_14partition_implILS8_3ELb0ES6_jNS0_17counting_iteratorIjlEEPS9_SE_NS0_5tupleIJPjSE_EEENSF_IJSE_SE_EEES9_SG_JZNS1_25segmented_radix_sort_implINS0_14default_configELb1EPKiPiPKlPlN2at6native12_GLOBAL__N_18offset_tEEE10hipError_tPvRmT1_PNSt15iterator_traitsISY_E10value_typeET2_T3_PNSZ_IS14_E10value_typeET4_jRbjT5_S1A_jjP12ihipStream_tbEUljE_EEESV_SW_SX_S14_S18_S1A_T6_T7_T9_mT8_S1C_bDpT10_ENKUlT_T0_E_clISt17integral_constantIbLb1EES1O_IbLb0EEEEDaS1K_S1L_EUlS1K_E_NS1_11comp_targetILNS1_3genE2ELNS1_11target_archE906ELNS1_3gpuE6ELNS1_3repE0EEENS1_30default_config_static_selectorELNS0_4arch9wavefront6targetE1EEEvSY_,"axG",@progbits,_ZN7rocprim17ROCPRIM_400000_NS6detail17trampoline_kernelINS0_13select_configILj256ELj13ELNS0_17block_load_methodE3ELS4_3ELS4_3ELNS0_20block_scan_algorithmE0ELj4294967295EEENS1_25partition_config_selectorILNS1_17partition_subalgoE3EjNS0_10empty_typeEbEEZZNS1_14partition_implILS8_3ELb0ES6_jNS0_17counting_iteratorIjlEEPS9_SE_NS0_5tupleIJPjSE_EEENSF_IJSE_SE_EEES9_SG_JZNS1_25segmented_radix_sort_implINS0_14default_configELb1EPKiPiPKlPlN2at6native12_GLOBAL__N_18offset_tEEE10hipError_tPvRmT1_PNSt15iterator_traitsISY_E10value_typeET2_T3_PNSZ_IS14_E10value_typeET4_jRbjT5_S1A_jjP12ihipStream_tbEUljE_EEESV_SW_SX_S14_S18_S1A_T6_T7_T9_mT8_S1C_bDpT10_ENKUlT_T0_E_clISt17integral_constantIbLb1EES1O_IbLb0EEEEDaS1K_S1L_EUlS1K_E_NS1_11comp_targetILNS1_3genE2ELNS1_11target_archE906ELNS1_3gpuE6ELNS1_3repE0EEENS1_30default_config_static_selectorELNS0_4arch9wavefront6targetE1EEEvSY_,comdat
	.globl	_ZN7rocprim17ROCPRIM_400000_NS6detail17trampoline_kernelINS0_13select_configILj256ELj13ELNS0_17block_load_methodE3ELS4_3ELS4_3ELNS0_20block_scan_algorithmE0ELj4294967295EEENS1_25partition_config_selectorILNS1_17partition_subalgoE3EjNS0_10empty_typeEbEEZZNS1_14partition_implILS8_3ELb0ES6_jNS0_17counting_iteratorIjlEEPS9_SE_NS0_5tupleIJPjSE_EEENSF_IJSE_SE_EEES9_SG_JZNS1_25segmented_radix_sort_implINS0_14default_configELb1EPKiPiPKlPlN2at6native12_GLOBAL__N_18offset_tEEE10hipError_tPvRmT1_PNSt15iterator_traitsISY_E10value_typeET2_T3_PNSZ_IS14_E10value_typeET4_jRbjT5_S1A_jjP12ihipStream_tbEUljE_EEESV_SW_SX_S14_S18_S1A_T6_T7_T9_mT8_S1C_bDpT10_ENKUlT_T0_E_clISt17integral_constantIbLb1EES1O_IbLb0EEEEDaS1K_S1L_EUlS1K_E_NS1_11comp_targetILNS1_3genE2ELNS1_11target_archE906ELNS1_3gpuE6ELNS1_3repE0EEENS1_30default_config_static_selectorELNS0_4arch9wavefront6targetE1EEEvSY_ ; -- Begin function _ZN7rocprim17ROCPRIM_400000_NS6detail17trampoline_kernelINS0_13select_configILj256ELj13ELNS0_17block_load_methodE3ELS4_3ELS4_3ELNS0_20block_scan_algorithmE0ELj4294967295EEENS1_25partition_config_selectorILNS1_17partition_subalgoE3EjNS0_10empty_typeEbEEZZNS1_14partition_implILS8_3ELb0ES6_jNS0_17counting_iteratorIjlEEPS9_SE_NS0_5tupleIJPjSE_EEENSF_IJSE_SE_EEES9_SG_JZNS1_25segmented_radix_sort_implINS0_14default_configELb1EPKiPiPKlPlN2at6native12_GLOBAL__N_18offset_tEEE10hipError_tPvRmT1_PNSt15iterator_traitsISY_E10value_typeET2_T3_PNSZ_IS14_E10value_typeET4_jRbjT5_S1A_jjP12ihipStream_tbEUljE_EEESV_SW_SX_S14_S18_S1A_T6_T7_T9_mT8_S1C_bDpT10_ENKUlT_T0_E_clISt17integral_constantIbLb1EES1O_IbLb0EEEEDaS1K_S1L_EUlS1K_E_NS1_11comp_targetILNS1_3genE2ELNS1_11target_archE906ELNS1_3gpuE6ELNS1_3repE0EEENS1_30default_config_static_selectorELNS0_4arch9wavefront6targetE1EEEvSY_
	.p2align	8
	.type	_ZN7rocprim17ROCPRIM_400000_NS6detail17trampoline_kernelINS0_13select_configILj256ELj13ELNS0_17block_load_methodE3ELS4_3ELS4_3ELNS0_20block_scan_algorithmE0ELj4294967295EEENS1_25partition_config_selectorILNS1_17partition_subalgoE3EjNS0_10empty_typeEbEEZZNS1_14partition_implILS8_3ELb0ES6_jNS0_17counting_iteratorIjlEEPS9_SE_NS0_5tupleIJPjSE_EEENSF_IJSE_SE_EEES9_SG_JZNS1_25segmented_radix_sort_implINS0_14default_configELb1EPKiPiPKlPlN2at6native12_GLOBAL__N_18offset_tEEE10hipError_tPvRmT1_PNSt15iterator_traitsISY_E10value_typeET2_T3_PNSZ_IS14_E10value_typeET4_jRbjT5_S1A_jjP12ihipStream_tbEUljE_EEESV_SW_SX_S14_S18_S1A_T6_T7_T9_mT8_S1C_bDpT10_ENKUlT_T0_E_clISt17integral_constantIbLb1EES1O_IbLb0EEEEDaS1K_S1L_EUlS1K_E_NS1_11comp_targetILNS1_3genE2ELNS1_11target_archE906ELNS1_3gpuE6ELNS1_3repE0EEENS1_30default_config_static_selectorELNS0_4arch9wavefront6targetE1EEEvSY_,@function
_ZN7rocprim17ROCPRIM_400000_NS6detail17trampoline_kernelINS0_13select_configILj256ELj13ELNS0_17block_load_methodE3ELS4_3ELS4_3ELNS0_20block_scan_algorithmE0ELj4294967295EEENS1_25partition_config_selectorILNS1_17partition_subalgoE3EjNS0_10empty_typeEbEEZZNS1_14partition_implILS8_3ELb0ES6_jNS0_17counting_iteratorIjlEEPS9_SE_NS0_5tupleIJPjSE_EEENSF_IJSE_SE_EEES9_SG_JZNS1_25segmented_radix_sort_implINS0_14default_configELb1EPKiPiPKlPlN2at6native12_GLOBAL__N_18offset_tEEE10hipError_tPvRmT1_PNSt15iterator_traitsISY_E10value_typeET2_T3_PNSZ_IS14_E10value_typeET4_jRbjT5_S1A_jjP12ihipStream_tbEUljE_EEESV_SW_SX_S14_S18_S1A_T6_T7_T9_mT8_S1C_bDpT10_ENKUlT_T0_E_clISt17integral_constantIbLb1EES1O_IbLb0EEEEDaS1K_S1L_EUlS1K_E_NS1_11comp_targetILNS1_3genE2ELNS1_11target_archE906ELNS1_3gpuE6ELNS1_3repE0EEENS1_30default_config_static_selectorELNS0_4arch9wavefront6targetE1EEEvSY_: ; @_ZN7rocprim17ROCPRIM_400000_NS6detail17trampoline_kernelINS0_13select_configILj256ELj13ELNS0_17block_load_methodE3ELS4_3ELS4_3ELNS0_20block_scan_algorithmE0ELj4294967295EEENS1_25partition_config_selectorILNS1_17partition_subalgoE3EjNS0_10empty_typeEbEEZZNS1_14partition_implILS8_3ELb0ES6_jNS0_17counting_iteratorIjlEEPS9_SE_NS0_5tupleIJPjSE_EEENSF_IJSE_SE_EEES9_SG_JZNS1_25segmented_radix_sort_implINS0_14default_configELb1EPKiPiPKlPlN2at6native12_GLOBAL__N_18offset_tEEE10hipError_tPvRmT1_PNSt15iterator_traitsISY_E10value_typeET2_T3_PNSZ_IS14_E10value_typeET4_jRbjT5_S1A_jjP12ihipStream_tbEUljE_EEESV_SW_SX_S14_S18_S1A_T6_T7_T9_mT8_S1C_bDpT10_ENKUlT_T0_E_clISt17integral_constantIbLb1EES1O_IbLb0EEEEDaS1K_S1L_EUlS1K_E_NS1_11comp_targetILNS1_3genE2ELNS1_11target_archE906ELNS1_3gpuE6ELNS1_3repE0EEENS1_30default_config_static_selectorELNS0_4arch9wavefront6targetE1EEEvSY_
; %bb.0:
	s_endpgm
	.section	.rodata,"a",@progbits
	.p2align	6, 0x0
	.amdhsa_kernel _ZN7rocprim17ROCPRIM_400000_NS6detail17trampoline_kernelINS0_13select_configILj256ELj13ELNS0_17block_load_methodE3ELS4_3ELS4_3ELNS0_20block_scan_algorithmE0ELj4294967295EEENS1_25partition_config_selectorILNS1_17partition_subalgoE3EjNS0_10empty_typeEbEEZZNS1_14partition_implILS8_3ELb0ES6_jNS0_17counting_iteratorIjlEEPS9_SE_NS0_5tupleIJPjSE_EEENSF_IJSE_SE_EEES9_SG_JZNS1_25segmented_radix_sort_implINS0_14default_configELb1EPKiPiPKlPlN2at6native12_GLOBAL__N_18offset_tEEE10hipError_tPvRmT1_PNSt15iterator_traitsISY_E10value_typeET2_T3_PNSZ_IS14_E10value_typeET4_jRbjT5_S1A_jjP12ihipStream_tbEUljE_EEESV_SW_SX_S14_S18_S1A_T6_T7_T9_mT8_S1C_bDpT10_ENKUlT_T0_E_clISt17integral_constantIbLb1EES1O_IbLb0EEEEDaS1K_S1L_EUlS1K_E_NS1_11comp_targetILNS1_3genE2ELNS1_11target_archE906ELNS1_3gpuE6ELNS1_3repE0EEENS1_30default_config_static_selectorELNS0_4arch9wavefront6targetE1EEEvSY_
		.amdhsa_group_segment_fixed_size 0
		.amdhsa_private_segment_fixed_size 0
		.amdhsa_kernarg_size 144
		.amdhsa_user_sgpr_count 6
		.amdhsa_user_sgpr_private_segment_buffer 1
		.amdhsa_user_sgpr_dispatch_ptr 0
		.amdhsa_user_sgpr_queue_ptr 0
		.amdhsa_user_sgpr_kernarg_segment_ptr 1
		.amdhsa_user_sgpr_dispatch_id 0
		.amdhsa_user_sgpr_flat_scratch_init 0
		.amdhsa_user_sgpr_private_segment_size 0
		.amdhsa_uses_dynamic_stack 0
		.amdhsa_system_sgpr_private_segment_wavefront_offset 0
		.amdhsa_system_sgpr_workgroup_id_x 1
		.amdhsa_system_sgpr_workgroup_id_y 0
		.amdhsa_system_sgpr_workgroup_id_z 0
		.amdhsa_system_sgpr_workgroup_info 0
		.amdhsa_system_vgpr_workitem_id 0
		.amdhsa_next_free_vgpr 1
		.amdhsa_next_free_sgpr 0
		.amdhsa_reserve_vcc 0
		.amdhsa_reserve_flat_scratch 0
		.amdhsa_float_round_mode_32 0
		.amdhsa_float_round_mode_16_64 0
		.amdhsa_float_denorm_mode_32 3
		.amdhsa_float_denorm_mode_16_64 3
		.amdhsa_dx10_clamp 1
		.amdhsa_ieee_mode 1
		.amdhsa_fp16_overflow 0
		.amdhsa_exception_fp_ieee_invalid_op 0
		.amdhsa_exception_fp_denorm_src 0
		.amdhsa_exception_fp_ieee_div_zero 0
		.amdhsa_exception_fp_ieee_overflow 0
		.amdhsa_exception_fp_ieee_underflow 0
		.amdhsa_exception_fp_ieee_inexact 0
		.amdhsa_exception_int_div_zero 0
	.end_amdhsa_kernel
	.section	.text._ZN7rocprim17ROCPRIM_400000_NS6detail17trampoline_kernelINS0_13select_configILj256ELj13ELNS0_17block_load_methodE3ELS4_3ELS4_3ELNS0_20block_scan_algorithmE0ELj4294967295EEENS1_25partition_config_selectorILNS1_17partition_subalgoE3EjNS0_10empty_typeEbEEZZNS1_14partition_implILS8_3ELb0ES6_jNS0_17counting_iteratorIjlEEPS9_SE_NS0_5tupleIJPjSE_EEENSF_IJSE_SE_EEES9_SG_JZNS1_25segmented_radix_sort_implINS0_14default_configELb1EPKiPiPKlPlN2at6native12_GLOBAL__N_18offset_tEEE10hipError_tPvRmT1_PNSt15iterator_traitsISY_E10value_typeET2_T3_PNSZ_IS14_E10value_typeET4_jRbjT5_S1A_jjP12ihipStream_tbEUljE_EEESV_SW_SX_S14_S18_S1A_T6_T7_T9_mT8_S1C_bDpT10_ENKUlT_T0_E_clISt17integral_constantIbLb1EES1O_IbLb0EEEEDaS1K_S1L_EUlS1K_E_NS1_11comp_targetILNS1_3genE2ELNS1_11target_archE906ELNS1_3gpuE6ELNS1_3repE0EEENS1_30default_config_static_selectorELNS0_4arch9wavefront6targetE1EEEvSY_,"axG",@progbits,_ZN7rocprim17ROCPRIM_400000_NS6detail17trampoline_kernelINS0_13select_configILj256ELj13ELNS0_17block_load_methodE3ELS4_3ELS4_3ELNS0_20block_scan_algorithmE0ELj4294967295EEENS1_25partition_config_selectorILNS1_17partition_subalgoE3EjNS0_10empty_typeEbEEZZNS1_14partition_implILS8_3ELb0ES6_jNS0_17counting_iteratorIjlEEPS9_SE_NS0_5tupleIJPjSE_EEENSF_IJSE_SE_EEES9_SG_JZNS1_25segmented_radix_sort_implINS0_14default_configELb1EPKiPiPKlPlN2at6native12_GLOBAL__N_18offset_tEEE10hipError_tPvRmT1_PNSt15iterator_traitsISY_E10value_typeET2_T3_PNSZ_IS14_E10value_typeET4_jRbjT5_S1A_jjP12ihipStream_tbEUljE_EEESV_SW_SX_S14_S18_S1A_T6_T7_T9_mT8_S1C_bDpT10_ENKUlT_T0_E_clISt17integral_constantIbLb1EES1O_IbLb0EEEEDaS1K_S1L_EUlS1K_E_NS1_11comp_targetILNS1_3genE2ELNS1_11target_archE906ELNS1_3gpuE6ELNS1_3repE0EEENS1_30default_config_static_selectorELNS0_4arch9wavefront6targetE1EEEvSY_,comdat
.Lfunc_end485:
	.size	_ZN7rocprim17ROCPRIM_400000_NS6detail17trampoline_kernelINS0_13select_configILj256ELj13ELNS0_17block_load_methodE3ELS4_3ELS4_3ELNS0_20block_scan_algorithmE0ELj4294967295EEENS1_25partition_config_selectorILNS1_17partition_subalgoE3EjNS0_10empty_typeEbEEZZNS1_14partition_implILS8_3ELb0ES6_jNS0_17counting_iteratorIjlEEPS9_SE_NS0_5tupleIJPjSE_EEENSF_IJSE_SE_EEES9_SG_JZNS1_25segmented_radix_sort_implINS0_14default_configELb1EPKiPiPKlPlN2at6native12_GLOBAL__N_18offset_tEEE10hipError_tPvRmT1_PNSt15iterator_traitsISY_E10value_typeET2_T3_PNSZ_IS14_E10value_typeET4_jRbjT5_S1A_jjP12ihipStream_tbEUljE_EEESV_SW_SX_S14_S18_S1A_T6_T7_T9_mT8_S1C_bDpT10_ENKUlT_T0_E_clISt17integral_constantIbLb1EES1O_IbLb0EEEEDaS1K_S1L_EUlS1K_E_NS1_11comp_targetILNS1_3genE2ELNS1_11target_archE906ELNS1_3gpuE6ELNS1_3repE0EEENS1_30default_config_static_selectorELNS0_4arch9wavefront6targetE1EEEvSY_, .Lfunc_end485-_ZN7rocprim17ROCPRIM_400000_NS6detail17trampoline_kernelINS0_13select_configILj256ELj13ELNS0_17block_load_methodE3ELS4_3ELS4_3ELNS0_20block_scan_algorithmE0ELj4294967295EEENS1_25partition_config_selectorILNS1_17partition_subalgoE3EjNS0_10empty_typeEbEEZZNS1_14partition_implILS8_3ELb0ES6_jNS0_17counting_iteratorIjlEEPS9_SE_NS0_5tupleIJPjSE_EEENSF_IJSE_SE_EEES9_SG_JZNS1_25segmented_radix_sort_implINS0_14default_configELb1EPKiPiPKlPlN2at6native12_GLOBAL__N_18offset_tEEE10hipError_tPvRmT1_PNSt15iterator_traitsISY_E10value_typeET2_T3_PNSZ_IS14_E10value_typeET4_jRbjT5_S1A_jjP12ihipStream_tbEUljE_EEESV_SW_SX_S14_S18_S1A_T6_T7_T9_mT8_S1C_bDpT10_ENKUlT_T0_E_clISt17integral_constantIbLb1EES1O_IbLb0EEEEDaS1K_S1L_EUlS1K_E_NS1_11comp_targetILNS1_3genE2ELNS1_11target_archE906ELNS1_3gpuE6ELNS1_3repE0EEENS1_30default_config_static_selectorELNS0_4arch9wavefront6targetE1EEEvSY_
                                        ; -- End function
	.set _ZN7rocprim17ROCPRIM_400000_NS6detail17trampoline_kernelINS0_13select_configILj256ELj13ELNS0_17block_load_methodE3ELS4_3ELS4_3ELNS0_20block_scan_algorithmE0ELj4294967295EEENS1_25partition_config_selectorILNS1_17partition_subalgoE3EjNS0_10empty_typeEbEEZZNS1_14partition_implILS8_3ELb0ES6_jNS0_17counting_iteratorIjlEEPS9_SE_NS0_5tupleIJPjSE_EEENSF_IJSE_SE_EEES9_SG_JZNS1_25segmented_radix_sort_implINS0_14default_configELb1EPKiPiPKlPlN2at6native12_GLOBAL__N_18offset_tEEE10hipError_tPvRmT1_PNSt15iterator_traitsISY_E10value_typeET2_T3_PNSZ_IS14_E10value_typeET4_jRbjT5_S1A_jjP12ihipStream_tbEUljE_EEESV_SW_SX_S14_S18_S1A_T6_T7_T9_mT8_S1C_bDpT10_ENKUlT_T0_E_clISt17integral_constantIbLb1EES1O_IbLb0EEEEDaS1K_S1L_EUlS1K_E_NS1_11comp_targetILNS1_3genE2ELNS1_11target_archE906ELNS1_3gpuE6ELNS1_3repE0EEENS1_30default_config_static_selectorELNS0_4arch9wavefront6targetE1EEEvSY_.num_vgpr, 0
	.set _ZN7rocprim17ROCPRIM_400000_NS6detail17trampoline_kernelINS0_13select_configILj256ELj13ELNS0_17block_load_methodE3ELS4_3ELS4_3ELNS0_20block_scan_algorithmE0ELj4294967295EEENS1_25partition_config_selectorILNS1_17partition_subalgoE3EjNS0_10empty_typeEbEEZZNS1_14partition_implILS8_3ELb0ES6_jNS0_17counting_iteratorIjlEEPS9_SE_NS0_5tupleIJPjSE_EEENSF_IJSE_SE_EEES9_SG_JZNS1_25segmented_radix_sort_implINS0_14default_configELb1EPKiPiPKlPlN2at6native12_GLOBAL__N_18offset_tEEE10hipError_tPvRmT1_PNSt15iterator_traitsISY_E10value_typeET2_T3_PNSZ_IS14_E10value_typeET4_jRbjT5_S1A_jjP12ihipStream_tbEUljE_EEESV_SW_SX_S14_S18_S1A_T6_T7_T9_mT8_S1C_bDpT10_ENKUlT_T0_E_clISt17integral_constantIbLb1EES1O_IbLb0EEEEDaS1K_S1L_EUlS1K_E_NS1_11comp_targetILNS1_3genE2ELNS1_11target_archE906ELNS1_3gpuE6ELNS1_3repE0EEENS1_30default_config_static_selectorELNS0_4arch9wavefront6targetE1EEEvSY_.num_agpr, 0
	.set _ZN7rocprim17ROCPRIM_400000_NS6detail17trampoline_kernelINS0_13select_configILj256ELj13ELNS0_17block_load_methodE3ELS4_3ELS4_3ELNS0_20block_scan_algorithmE0ELj4294967295EEENS1_25partition_config_selectorILNS1_17partition_subalgoE3EjNS0_10empty_typeEbEEZZNS1_14partition_implILS8_3ELb0ES6_jNS0_17counting_iteratorIjlEEPS9_SE_NS0_5tupleIJPjSE_EEENSF_IJSE_SE_EEES9_SG_JZNS1_25segmented_radix_sort_implINS0_14default_configELb1EPKiPiPKlPlN2at6native12_GLOBAL__N_18offset_tEEE10hipError_tPvRmT1_PNSt15iterator_traitsISY_E10value_typeET2_T3_PNSZ_IS14_E10value_typeET4_jRbjT5_S1A_jjP12ihipStream_tbEUljE_EEESV_SW_SX_S14_S18_S1A_T6_T7_T9_mT8_S1C_bDpT10_ENKUlT_T0_E_clISt17integral_constantIbLb1EES1O_IbLb0EEEEDaS1K_S1L_EUlS1K_E_NS1_11comp_targetILNS1_3genE2ELNS1_11target_archE906ELNS1_3gpuE6ELNS1_3repE0EEENS1_30default_config_static_selectorELNS0_4arch9wavefront6targetE1EEEvSY_.numbered_sgpr, 0
	.set _ZN7rocprim17ROCPRIM_400000_NS6detail17trampoline_kernelINS0_13select_configILj256ELj13ELNS0_17block_load_methodE3ELS4_3ELS4_3ELNS0_20block_scan_algorithmE0ELj4294967295EEENS1_25partition_config_selectorILNS1_17partition_subalgoE3EjNS0_10empty_typeEbEEZZNS1_14partition_implILS8_3ELb0ES6_jNS0_17counting_iteratorIjlEEPS9_SE_NS0_5tupleIJPjSE_EEENSF_IJSE_SE_EEES9_SG_JZNS1_25segmented_radix_sort_implINS0_14default_configELb1EPKiPiPKlPlN2at6native12_GLOBAL__N_18offset_tEEE10hipError_tPvRmT1_PNSt15iterator_traitsISY_E10value_typeET2_T3_PNSZ_IS14_E10value_typeET4_jRbjT5_S1A_jjP12ihipStream_tbEUljE_EEESV_SW_SX_S14_S18_S1A_T6_T7_T9_mT8_S1C_bDpT10_ENKUlT_T0_E_clISt17integral_constantIbLb1EES1O_IbLb0EEEEDaS1K_S1L_EUlS1K_E_NS1_11comp_targetILNS1_3genE2ELNS1_11target_archE906ELNS1_3gpuE6ELNS1_3repE0EEENS1_30default_config_static_selectorELNS0_4arch9wavefront6targetE1EEEvSY_.num_named_barrier, 0
	.set _ZN7rocprim17ROCPRIM_400000_NS6detail17trampoline_kernelINS0_13select_configILj256ELj13ELNS0_17block_load_methodE3ELS4_3ELS4_3ELNS0_20block_scan_algorithmE0ELj4294967295EEENS1_25partition_config_selectorILNS1_17partition_subalgoE3EjNS0_10empty_typeEbEEZZNS1_14partition_implILS8_3ELb0ES6_jNS0_17counting_iteratorIjlEEPS9_SE_NS0_5tupleIJPjSE_EEENSF_IJSE_SE_EEES9_SG_JZNS1_25segmented_radix_sort_implINS0_14default_configELb1EPKiPiPKlPlN2at6native12_GLOBAL__N_18offset_tEEE10hipError_tPvRmT1_PNSt15iterator_traitsISY_E10value_typeET2_T3_PNSZ_IS14_E10value_typeET4_jRbjT5_S1A_jjP12ihipStream_tbEUljE_EEESV_SW_SX_S14_S18_S1A_T6_T7_T9_mT8_S1C_bDpT10_ENKUlT_T0_E_clISt17integral_constantIbLb1EES1O_IbLb0EEEEDaS1K_S1L_EUlS1K_E_NS1_11comp_targetILNS1_3genE2ELNS1_11target_archE906ELNS1_3gpuE6ELNS1_3repE0EEENS1_30default_config_static_selectorELNS0_4arch9wavefront6targetE1EEEvSY_.private_seg_size, 0
	.set _ZN7rocprim17ROCPRIM_400000_NS6detail17trampoline_kernelINS0_13select_configILj256ELj13ELNS0_17block_load_methodE3ELS4_3ELS4_3ELNS0_20block_scan_algorithmE0ELj4294967295EEENS1_25partition_config_selectorILNS1_17partition_subalgoE3EjNS0_10empty_typeEbEEZZNS1_14partition_implILS8_3ELb0ES6_jNS0_17counting_iteratorIjlEEPS9_SE_NS0_5tupleIJPjSE_EEENSF_IJSE_SE_EEES9_SG_JZNS1_25segmented_radix_sort_implINS0_14default_configELb1EPKiPiPKlPlN2at6native12_GLOBAL__N_18offset_tEEE10hipError_tPvRmT1_PNSt15iterator_traitsISY_E10value_typeET2_T3_PNSZ_IS14_E10value_typeET4_jRbjT5_S1A_jjP12ihipStream_tbEUljE_EEESV_SW_SX_S14_S18_S1A_T6_T7_T9_mT8_S1C_bDpT10_ENKUlT_T0_E_clISt17integral_constantIbLb1EES1O_IbLb0EEEEDaS1K_S1L_EUlS1K_E_NS1_11comp_targetILNS1_3genE2ELNS1_11target_archE906ELNS1_3gpuE6ELNS1_3repE0EEENS1_30default_config_static_selectorELNS0_4arch9wavefront6targetE1EEEvSY_.uses_vcc, 0
	.set _ZN7rocprim17ROCPRIM_400000_NS6detail17trampoline_kernelINS0_13select_configILj256ELj13ELNS0_17block_load_methodE3ELS4_3ELS4_3ELNS0_20block_scan_algorithmE0ELj4294967295EEENS1_25partition_config_selectorILNS1_17partition_subalgoE3EjNS0_10empty_typeEbEEZZNS1_14partition_implILS8_3ELb0ES6_jNS0_17counting_iteratorIjlEEPS9_SE_NS0_5tupleIJPjSE_EEENSF_IJSE_SE_EEES9_SG_JZNS1_25segmented_radix_sort_implINS0_14default_configELb1EPKiPiPKlPlN2at6native12_GLOBAL__N_18offset_tEEE10hipError_tPvRmT1_PNSt15iterator_traitsISY_E10value_typeET2_T3_PNSZ_IS14_E10value_typeET4_jRbjT5_S1A_jjP12ihipStream_tbEUljE_EEESV_SW_SX_S14_S18_S1A_T6_T7_T9_mT8_S1C_bDpT10_ENKUlT_T0_E_clISt17integral_constantIbLb1EES1O_IbLb0EEEEDaS1K_S1L_EUlS1K_E_NS1_11comp_targetILNS1_3genE2ELNS1_11target_archE906ELNS1_3gpuE6ELNS1_3repE0EEENS1_30default_config_static_selectorELNS0_4arch9wavefront6targetE1EEEvSY_.uses_flat_scratch, 0
	.set _ZN7rocprim17ROCPRIM_400000_NS6detail17trampoline_kernelINS0_13select_configILj256ELj13ELNS0_17block_load_methodE3ELS4_3ELS4_3ELNS0_20block_scan_algorithmE0ELj4294967295EEENS1_25partition_config_selectorILNS1_17partition_subalgoE3EjNS0_10empty_typeEbEEZZNS1_14partition_implILS8_3ELb0ES6_jNS0_17counting_iteratorIjlEEPS9_SE_NS0_5tupleIJPjSE_EEENSF_IJSE_SE_EEES9_SG_JZNS1_25segmented_radix_sort_implINS0_14default_configELb1EPKiPiPKlPlN2at6native12_GLOBAL__N_18offset_tEEE10hipError_tPvRmT1_PNSt15iterator_traitsISY_E10value_typeET2_T3_PNSZ_IS14_E10value_typeET4_jRbjT5_S1A_jjP12ihipStream_tbEUljE_EEESV_SW_SX_S14_S18_S1A_T6_T7_T9_mT8_S1C_bDpT10_ENKUlT_T0_E_clISt17integral_constantIbLb1EES1O_IbLb0EEEEDaS1K_S1L_EUlS1K_E_NS1_11comp_targetILNS1_3genE2ELNS1_11target_archE906ELNS1_3gpuE6ELNS1_3repE0EEENS1_30default_config_static_selectorELNS0_4arch9wavefront6targetE1EEEvSY_.has_dyn_sized_stack, 0
	.set _ZN7rocprim17ROCPRIM_400000_NS6detail17trampoline_kernelINS0_13select_configILj256ELj13ELNS0_17block_load_methodE3ELS4_3ELS4_3ELNS0_20block_scan_algorithmE0ELj4294967295EEENS1_25partition_config_selectorILNS1_17partition_subalgoE3EjNS0_10empty_typeEbEEZZNS1_14partition_implILS8_3ELb0ES6_jNS0_17counting_iteratorIjlEEPS9_SE_NS0_5tupleIJPjSE_EEENSF_IJSE_SE_EEES9_SG_JZNS1_25segmented_radix_sort_implINS0_14default_configELb1EPKiPiPKlPlN2at6native12_GLOBAL__N_18offset_tEEE10hipError_tPvRmT1_PNSt15iterator_traitsISY_E10value_typeET2_T3_PNSZ_IS14_E10value_typeET4_jRbjT5_S1A_jjP12ihipStream_tbEUljE_EEESV_SW_SX_S14_S18_S1A_T6_T7_T9_mT8_S1C_bDpT10_ENKUlT_T0_E_clISt17integral_constantIbLb1EES1O_IbLb0EEEEDaS1K_S1L_EUlS1K_E_NS1_11comp_targetILNS1_3genE2ELNS1_11target_archE906ELNS1_3gpuE6ELNS1_3repE0EEENS1_30default_config_static_selectorELNS0_4arch9wavefront6targetE1EEEvSY_.has_recursion, 0
	.set _ZN7rocprim17ROCPRIM_400000_NS6detail17trampoline_kernelINS0_13select_configILj256ELj13ELNS0_17block_load_methodE3ELS4_3ELS4_3ELNS0_20block_scan_algorithmE0ELj4294967295EEENS1_25partition_config_selectorILNS1_17partition_subalgoE3EjNS0_10empty_typeEbEEZZNS1_14partition_implILS8_3ELb0ES6_jNS0_17counting_iteratorIjlEEPS9_SE_NS0_5tupleIJPjSE_EEENSF_IJSE_SE_EEES9_SG_JZNS1_25segmented_radix_sort_implINS0_14default_configELb1EPKiPiPKlPlN2at6native12_GLOBAL__N_18offset_tEEE10hipError_tPvRmT1_PNSt15iterator_traitsISY_E10value_typeET2_T3_PNSZ_IS14_E10value_typeET4_jRbjT5_S1A_jjP12ihipStream_tbEUljE_EEESV_SW_SX_S14_S18_S1A_T6_T7_T9_mT8_S1C_bDpT10_ENKUlT_T0_E_clISt17integral_constantIbLb1EES1O_IbLb0EEEEDaS1K_S1L_EUlS1K_E_NS1_11comp_targetILNS1_3genE2ELNS1_11target_archE906ELNS1_3gpuE6ELNS1_3repE0EEENS1_30default_config_static_selectorELNS0_4arch9wavefront6targetE1EEEvSY_.has_indirect_call, 0
	.section	.AMDGPU.csdata,"",@progbits
; Kernel info:
; codeLenInByte = 4
; TotalNumSgprs: 4
; NumVgprs: 0
; ScratchSize: 0
; MemoryBound: 0
; FloatMode: 240
; IeeeMode: 1
; LDSByteSize: 0 bytes/workgroup (compile time only)
; SGPRBlocks: 0
; VGPRBlocks: 0
; NumSGPRsForWavesPerEU: 4
; NumVGPRsForWavesPerEU: 1
; Occupancy: 10
; WaveLimiterHint : 0
; COMPUTE_PGM_RSRC2:SCRATCH_EN: 0
; COMPUTE_PGM_RSRC2:USER_SGPR: 6
; COMPUTE_PGM_RSRC2:TRAP_HANDLER: 0
; COMPUTE_PGM_RSRC2:TGID_X_EN: 1
; COMPUTE_PGM_RSRC2:TGID_Y_EN: 0
; COMPUTE_PGM_RSRC2:TGID_Z_EN: 0
; COMPUTE_PGM_RSRC2:TIDIG_COMP_CNT: 0
	.section	.text._ZN7rocprim17ROCPRIM_400000_NS6detail17trampoline_kernelINS0_13select_configILj256ELj13ELNS0_17block_load_methodE3ELS4_3ELS4_3ELNS0_20block_scan_algorithmE0ELj4294967295EEENS1_25partition_config_selectorILNS1_17partition_subalgoE3EjNS0_10empty_typeEbEEZZNS1_14partition_implILS8_3ELb0ES6_jNS0_17counting_iteratorIjlEEPS9_SE_NS0_5tupleIJPjSE_EEENSF_IJSE_SE_EEES9_SG_JZNS1_25segmented_radix_sort_implINS0_14default_configELb1EPKiPiPKlPlN2at6native12_GLOBAL__N_18offset_tEEE10hipError_tPvRmT1_PNSt15iterator_traitsISY_E10value_typeET2_T3_PNSZ_IS14_E10value_typeET4_jRbjT5_S1A_jjP12ihipStream_tbEUljE_EEESV_SW_SX_S14_S18_S1A_T6_T7_T9_mT8_S1C_bDpT10_ENKUlT_T0_E_clISt17integral_constantIbLb1EES1O_IbLb0EEEEDaS1K_S1L_EUlS1K_E_NS1_11comp_targetILNS1_3genE10ELNS1_11target_archE1200ELNS1_3gpuE4ELNS1_3repE0EEENS1_30default_config_static_selectorELNS0_4arch9wavefront6targetE1EEEvSY_,"axG",@progbits,_ZN7rocprim17ROCPRIM_400000_NS6detail17trampoline_kernelINS0_13select_configILj256ELj13ELNS0_17block_load_methodE3ELS4_3ELS4_3ELNS0_20block_scan_algorithmE0ELj4294967295EEENS1_25partition_config_selectorILNS1_17partition_subalgoE3EjNS0_10empty_typeEbEEZZNS1_14partition_implILS8_3ELb0ES6_jNS0_17counting_iteratorIjlEEPS9_SE_NS0_5tupleIJPjSE_EEENSF_IJSE_SE_EEES9_SG_JZNS1_25segmented_radix_sort_implINS0_14default_configELb1EPKiPiPKlPlN2at6native12_GLOBAL__N_18offset_tEEE10hipError_tPvRmT1_PNSt15iterator_traitsISY_E10value_typeET2_T3_PNSZ_IS14_E10value_typeET4_jRbjT5_S1A_jjP12ihipStream_tbEUljE_EEESV_SW_SX_S14_S18_S1A_T6_T7_T9_mT8_S1C_bDpT10_ENKUlT_T0_E_clISt17integral_constantIbLb1EES1O_IbLb0EEEEDaS1K_S1L_EUlS1K_E_NS1_11comp_targetILNS1_3genE10ELNS1_11target_archE1200ELNS1_3gpuE4ELNS1_3repE0EEENS1_30default_config_static_selectorELNS0_4arch9wavefront6targetE1EEEvSY_,comdat
	.globl	_ZN7rocprim17ROCPRIM_400000_NS6detail17trampoline_kernelINS0_13select_configILj256ELj13ELNS0_17block_load_methodE3ELS4_3ELS4_3ELNS0_20block_scan_algorithmE0ELj4294967295EEENS1_25partition_config_selectorILNS1_17partition_subalgoE3EjNS0_10empty_typeEbEEZZNS1_14partition_implILS8_3ELb0ES6_jNS0_17counting_iteratorIjlEEPS9_SE_NS0_5tupleIJPjSE_EEENSF_IJSE_SE_EEES9_SG_JZNS1_25segmented_radix_sort_implINS0_14default_configELb1EPKiPiPKlPlN2at6native12_GLOBAL__N_18offset_tEEE10hipError_tPvRmT1_PNSt15iterator_traitsISY_E10value_typeET2_T3_PNSZ_IS14_E10value_typeET4_jRbjT5_S1A_jjP12ihipStream_tbEUljE_EEESV_SW_SX_S14_S18_S1A_T6_T7_T9_mT8_S1C_bDpT10_ENKUlT_T0_E_clISt17integral_constantIbLb1EES1O_IbLb0EEEEDaS1K_S1L_EUlS1K_E_NS1_11comp_targetILNS1_3genE10ELNS1_11target_archE1200ELNS1_3gpuE4ELNS1_3repE0EEENS1_30default_config_static_selectorELNS0_4arch9wavefront6targetE1EEEvSY_ ; -- Begin function _ZN7rocprim17ROCPRIM_400000_NS6detail17trampoline_kernelINS0_13select_configILj256ELj13ELNS0_17block_load_methodE3ELS4_3ELS4_3ELNS0_20block_scan_algorithmE0ELj4294967295EEENS1_25partition_config_selectorILNS1_17partition_subalgoE3EjNS0_10empty_typeEbEEZZNS1_14partition_implILS8_3ELb0ES6_jNS0_17counting_iteratorIjlEEPS9_SE_NS0_5tupleIJPjSE_EEENSF_IJSE_SE_EEES9_SG_JZNS1_25segmented_radix_sort_implINS0_14default_configELb1EPKiPiPKlPlN2at6native12_GLOBAL__N_18offset_tEEE10hipError_tPvRmT1_PNSt15iterator_traitsISY_E10value_typeET2_T3_PNSZ_IS14_E10value_typeET4_jRbjT5_S1A_jjP12ihipStream_tbEUljE_EEESV_SW_SX_S14_S18_S1A_T6_T7_T9_mT8_S1C_bDpT10_ENKUlT_T0_E_clISt17integral_constantIbLb1EES1O_IbLb0EEEEDaS1K_S1L_EUlS1K_E_NS1_11comp_targetILNS1_3genE10ELNS1_11target_archE1200ELNS1_3gpuE4ELNS1_3repE0EEENS1_30default_config_static_selectorELNS0_4arch9wavefront6targetE1EEEvSY_
	.p2align	8
	.type	_ZN7rocprim17ROCPRIM_400000_NS6detail17trampoline_kernelINS0_13select_configILj256ELj13ELNS0_17block_load_methodE3ELS4_3ELS4_3ELNS0_20block_scan_algorithmE0ELj4294967295EEENS1_25partition_config_selectorILNS1_17partition_subalgoE3EjNS0_10empty_typeEbEEZZNS1_14partition_implILS8_3ELb0ES6_jNS0_17counting_iteratorIjlEEPS9_SE_NS0_5tupleIJPjSE_EEENSF_IJSE_SE_EEES9_SG_JZNS1_25segmented_radix_sort_implINS0_14default_configELb1EPKiPiPKlPlN2at6native12_GLOBAL__N_18offset_tEEE10hipError_tPvRmT1_PNSt15iterator_traitsISY_E10value_typeET2_T3_PNSZ_IS14_E10value_typeET4_jRbjT5_S1A_jjP12ihipStream_tbEUljE_EEESV_SW_SX_S14_S18_S1A_T6_T7_T9_mT8_S1C_bDpT10_ENKUlT_T0_E_clISt17integral_constantIbLb1EES1O_IbLb0EEEEDaS1K_S1L_EUlS1K_E_NS1_11comp_targetILNS1_3genE10ELNS1_11target_archE1200ELNS1_3gpuE4ELNS1_3repE0EEENS1_30default_config_static_selectorELNS0_4arch9wavefront6targetE1EEEvSY_,@function
_ZN7rocprim17ROCPRIM_400000_NS6detail17trampoline_kernelINS0_13select_configILj256ELj13ELNS0_17block_load_methodE3ELS4_3ELS4_3ELNS0_20block_scan_algorithmE0ELj4294967295EEENS1_25partition_config_selectorILNS1_17partition_subalgoE3EjNS0_10empty_typeEbEEZZNS1_14partition_implILS8_3ELb0ES6_jNS0_17counting_iteratorIjlEEPS9_SE_NS0_5tupleIJPjSE_EEENSF_IJSE_SE_EEES9_SG_JZNS1_25segmented_radix_sort_implINS0_14default_configELb1EPKiPiPKlPlN2at6native12_GLOBAL__N_18offset_tEEE10hipError_tPvRmT1_PNSt15iterator_traitsISY_E10value_typeET2_T3_PNSZ_IS14_E10value_typeET4_jRbjT5_S1A_jjP12ihipStream_tbEUljE_EEESV_SW_SX_S14_S18_S1A_T6_T7_T9_mT8_S1C_bDpT10_ENKUlT_T0_E_clISt17integral_constantIbLb1EES1O_IbLb0EEEEDaS1K_S1L_EUlS1K_E_NS1_11comp_targetILNS1_3genE10ELNS1_11target_archE1200ELNS1_3gpuE4ELNS1_3repE0EEENS1_30default_config_static_selectorELNS0_4arch9wavefront6targetE1EEEvSY_: ; @_ZN7rocprim17ROCPRIM_400000_NS6detail17trampoline_kernelINS0_13select_configILj256ELj13ELNS0_17block_load_methodE3ELS4_3ELS4_3ELNS0_20block_scan_algorithmE0ELj4294967295EEENS1_25partition_config_selectorILNS1_17partition_subalgoE3EjNS0_10empty_typeEbEEZZNS1_14partition_implILS8_3ELb0ES6_jNS0_17counting_iteratorIjlEEPS9_SE_NS0_5tupleIJPjSE_EEENSF_IJSE_SE_EEES9_SG_JZNS1_25segmented_radix_sort_implINS0_14default_configELb1EPKiPiPKlPlN2at6native12_GLOBAL__N_18offset_tEEE10hipError_tPvRmT1_PNSt15iterator_traitsISY_E10value_typeET2_T3_PNSZ_IS14_E10value_typeET4_jRbjT5_S1A_jjP12ihipStream_tbEUljE_EEESV_SW_SX_S14_S18_S1A_T6_T7_T9_mT8_S1C_bDpT10_ENKUlT_T0_E_clISt17integral_constantIbLb1EES1O_IbLb0EEEEDaS1K_S1L_EUlS1K_E_NS1_11comp_targetILNS1_3genE10ELNS1_11target_archE1200ELNS1_3gpuE4ELNS1_3repE0EEENS1_30default_config_static_selectorELNS0_4arch9wavefront6targetE1EEEvSY_
; %bb.0:
	.section	.rodata,"a",@progbits
	.p2align	6, 0x0
	.amdhsa_kernel _ZN7rocprim17ROCPRIM_400000_NS6detail17trampoline_kernelINS0_13select_configILj256ELj13ELNS0_17block_load_methodE3ELS4_3ELS4_3ELNS0_20block_scan_algorithmE0ELj4294967295EEENS1_25partition_config_selectorILNS1_17partition_subalgoE3EjNS0_10empty_typeEbEEZZNS1_14partition_implILS8_3ELb0ES6_jNS0_17counting_iteratorIjlEEPS9_SE_NS0_5tupleIJPjSE_EEENSF_IJSE_SE_EEES9_SG_JZNS1_25segmented_radix_sort_implINS0_14default_configELb1EPKiPiPKlPlN2at6native12_GLOBAL__N_18offset_tEEE10hipError_tPvRmT1_PNSt15iterator_traitsISY_E10value_typeET2_T3_PNSZ_IS14_E10value_typeET4_jRbjT5_S1A_jjP12ihipStream_tbEUljE_EEESV_SW_SX_S14_S18_S1A_T6_T7_T9_mT8_S1C_bDpT10_ENKUlT_T0_E_clISt17integral_constantIbLb1EES1O_IbLb0EEEEDaS1K_S1L_EUlS1K_E_NS1_11comp_targetILNS1_3genE10ELNS1_11target_archE1200ELNS1_3gpuE4ELNS1_3repE0EEENS1_30default_config_static_selectorELNS0_4arch9wavefront6targetE1EEEvSY_
		.amdhsa_group_segment_fixed_size 0
		.amdhsa_private_segment_fixed_size 0
		.amdhsa_kernarg_size 144
		.amdhsa_user_sgpr_count 6
		.amdhsa_user_sgpr_private_segment_buffer 1
		.amdhsa_user_sgpr_dispatch_ptr 0
		.amdhsa_user_sgpr_queue_ptr 0
		.amdhsa_user_sgpr_kernarg_segment_ptr 1
		.amdhsa_user_sgpr_dispatch_id 0
		.amdhsa_user_sgpr_flat_scratch_init 0
		.amdhsa_user_sgpr_private_segment_size 0
		.amdhsa_uses_dynamic_stack 0
		.amdhsa_system_sgpr_private_segment_wavefront_offset 0
		.amdhsa_system_sgpr_workgroup_id_x 1
		.amdhsa_system_sgpr_workgroup_id_y 0
		.amdhsa_system_sgpr_workgroup_id_z 0
		.amdhsa_system_sgpr_workgroup_info 0
		.amdhsa_system_vgpr_workitem_id 0
		.amdhsa_next_free_vgpr 1
		.amdhsa_next_free_sgpr 0
		.amdhsa_reserve_vcc 0
		.amdhsa_reserve_flat_scratch 0
		.amdhsa_float_round_mode_32 0
		.amdhsa_float_round_mode_16_64 0
		.amdhsa_float_denorm_mode_32 3
		.amdhsa_float_denorm_mode_16_64 3
		.amdhsa_dx10_clamp 1
		.amdhsa_ieee_mode 1
		.amdhsa_fp16_overflow 0
		.amdhsa_exception_fp_ieee_invalid_op 0
		.amdhsa_exception_fp_denorm_src 0
		.amdhsa_exception_fp_ieee_div_zero 0
		.amdhsa_exception_fp_ieee_overflow 0
		.amdhsa_exception_fp_ieee_underflow 0
		.amdhsa_exception_fp_ieee_inexact 0
		.amdhsa_exception_int_div_zero 0
	.end_amdhsa_kernel
	.section	.text._ZN7rocprim17ROCPRIM_400000_NS6detail17trampoline_kernelINS0_13select_configILj256ELj13ELNS0_17block_load_methodE3ELS4_3ELS4_3ELNS0_20block_scan_algorithmE0ELj4294967295EEENS1_25partition_config_selectorILNS1_17partition_subalgoE3EjNS0_10empty_typeEbEEZZNS1_14partition_implILS8_3ELb0ES6_jNS0_17counting_iteratorIjlEEPS9_SE_NS0_5tupleIJPjSE_EEENSF_IJSE_SE_EEES9_SG_JZNS1_25segmented_radix_sort_implINS0_14default_configELb1EPKiPiPKlPlN2at6native12_GLOBAL__N_18offset_tEEE10hipError_tPvRmT1_PNSt15iterator_traitsISY_E10value_typeET2_T3_PNSZ_IS14_E10value_typeET4_jRbjT5_S1A_jjP12ihipStream_tbEUljE_EEESV_SW_SX_S14_S18_S1A_T6_T7_T9_mT8_S1C_bDpT10_ENKUlT_T0_E_clISt17integral_constantIbLb1EES1O_IbLb0EEEEDaS1K_S1L_EUlS1K_E_NS1_11comp_targetILNS1_3genE10ELNS1_11target_archE1200ELNS1_3gpuE4ELNS1_3repE0EEENS1_30default_config_static_selectorELNS0_4arch9wavefront6targetE1EEEvSY_,"axG",@progbits,_ZN7rocprim17ROCPRIM_400000_NS6detail17trampoline_kernelINS0_13select_configILj256ELj13ELNS0_17block_load_methodE3ELS4_3ELS4_3ELNS0_20block_scan_algorithmE0ELj4294967295EEENS1_25partition_config_selectorILNS1_17partition_subalgoE3EjNS0_10empty_typeEbEEZZNS1_14partition_implILS8_3ELb0ES6_jNS0_17counting_iteratorIjlEEPS9_SE_NS0_5tupleIJPjSE_EEENSF_IJSE_SE_EEES9_SG_JZNS1_25segmented_radix_sort_implINS0_14default_configELb1EPKiPiPKlPlN2at6native12_GLOBAL__N_18offset_tEEE10hipError_tPvRmT1_PNSt15iterator_traitsISY_E10value_typeET2_T3_PNSZ_IS14_E10value_typeET4_jRbjT5_S1A_jjP12ihipStream_tbEUljE_EEESV_SW_SX_S14_S18_S1A_T6_T7_T9_mT8_S1C_bDpT10_ENKUlT_T0_E_clISt17integral_constantIbLb1EES1O_IbLb0EEEEDaS1K_S1L_EUlS1K_E_NS1_11comp_targetILNS1_3genE10ELNS1_11target_archE1200ELNS1_3gpuE4ELNS1_3repE0EEENS1_30default_config_static_selectorELNS0_4arch9wavefront6targetE1EEEvSY_,comdat
.Lfunc_end486:
	.size	_ZN7rocprim17ROCPRIM_400000_NS6detail17trampoline_kernelINS0_13select_configILj256ELj13ELNS0_17block_load_methodE3ELS4_3ELS4_3ELNS0_20block_scan_algorithmE0ELj4294967295EEENS1_25partition_config_selectorILNS1_17partition_subalgoE3EjNS0_10empty_typeEbEEZZNS1_14partition_implILS8_3ELb0ES6_jNS0_17counting_iteratorIjlEEPS9_SE_NS0_5tupleIJPjSE_EEENSF_IJSE_SE_EEES9_SG_JZNS1_25segmented_radix_sort_implINS0_14default_configELb1EPKiPiPKlPlN2at6native12_GLOBAL__N_18offset_tEEE10hipError_tPvRmT1_PNSt15iterator_traitsISY_E10value_typeET2_T3_PNSZ_IS14_E10value_typeET4_jRbjT5_S1A_jjP12ihipStream_tbEUljE_EEESV_SW_SX_S14_S18_S1A_T6_T7_T9_mT8_S1C_bDpT10_ENKUlT_T0_E_clISt17integral_constantIbLb1EES1O_IbLb0EEEEDaS1K_S1L_EUlS1K_E_NS1_11comp_targetILNS1_3genE10ELNS1_11target_archE1200ELNS1_3gpuE4ELNS1_3repE0EEENS1_30default_config_static_selectorELNS0_4arch9wavefront6targetE1EEEvSY_, .Lfunc_end486-_ZN7rocprim17ROCPRIM_400000_NS6detail17trampoline_kernelINS0_13select_configILj256ELj13ELNS0_17block_load_methodE3ELS4_3ELS4_3ELNS0_20block_scan_algorithmE0ELj4294967295EEENS1_25partition_config_selectorILNS1_17partition_subalgoE3EjNS0_10empty_typeEbEEZZNS1_14partition_implILS8_3ELb0ES6_jNS0_17counting_iteratorIjlEEPS9_SE_NS0_5tupleIJPjSE_EEENSF_IJSE_SE_EEES9_SG_JZNS1_25segmented_radix_sort_implINS0_14default_configELb1EPKiPiPKlPlN2at6native12_GLOBAL__N_18offset_tEEE10hipError_tPvRmT1_PNSt15iterator_traitsISY_E10value_typeET2_T3_PNSZ_IS14_E10value_typeET4_jRbjT5_S1A_jjP12ihipStream_tbEUljE_EEESV_SW_SX_S14_S18_S1A_T6_T7_T9_mT8_S1C_bDpT10_ENKUlT_T0_E_clISt17integral_constantIbLb1EES1O_IbLb0EEEEDaS1K_S1L_EUlS1K_E_NS1_11comp_targetILNS1_3genE10ELNS1_11target_archE1200ELNS1_3gpuE4ELNS1_3repE0EEENS1_30default_config_static_selectorELNS0_4arch9wavefront6targetE1EEEvSY_
                                        ; -- End function
	.set _ZN7rocprim17ROCPRIM_400000_NS6detail17trampoline_kernelINS0_13select_configILj256ELj13ELNS0_17block_load_methodE3ELS4_3ELS4_3ELNS0_20block_scan_algorithmE0ELj4294967295EEENS1_25partition_config_selectorILNS1_17partition_subalgoE3EjNS0_10empty_typeEbEEZZNS1_14partition_implILS8_3ELb0ES6_jNS0_17counting_iteratorIjlEEPS9_SE_NS0_5tupleIJPjSE_EEENSF_IJSE_SE_EEES9_SG_JZNS1_25segmented_radix_sort_implINS0_14default_configELb1EPKiPiPKlPlN2at6native12_GLOBAL__N_18offset_tEEE10hipError_tPvRmT1_PNSt15iterator_traitsISY_E10value_typeET2_T3_PNSZ_IS14_E10value_typeET4_jRbjT5_S1A_jjP12ihipStream_tbEUljE_EEESV_SW_SX_S14_S18_S1A_T6_T7_T9_mT8_S1C_bDpT10_ENKUlT_T0_E_clISt17integral_constantIbLb1EES1O_IbLb0EEEEDaS1K_S1L_EUlS1K_E_NS1_11comp_targetILNS1_3genE10ELNS1_11target_archE1200ELNS1_3gpuE4ELNS1_3repE0EEENS1_30default_config_static_selectorELNS0_4arch9wavefront6targetE1EEEvSY_.num_vgpr, 0
	.set _ZN7rocprim17ROCPRIM_400000_NS6detail17trampoline_kernelINS0_13select_configILj256ELj13ELNS0_17block_load_methodE3ELS4_3ELS4_3ELNS0_20block_scan_algorithmE0ELj4294967295EEENS1_25partition_config_selectorILNS1_17partition_subalgoE3EjNS0_10empty_typeEbEEZZNS1_14partition_implILS8_3ELb0ES6_jNS0_17counting_iteratorIjlEEPS9_SE_NS0_5tupleIJPjSE_EEENSF_IJSE_SE_EEES9_SG_JZNS1_25segmented_radix_sort_implINS0_14default_configELb1EPKiPiPKlPlN2at6native12_GLOBAL__N_18offset_tEEE10hipError_tPvRmT1_PNSt15iterator_traitsISY_E10value_typeET2_T3_PNSZ_IS14_E10value_typeET4_jRbjT5_S1A_jjP12ihipStream_tbEUljE_EEESV_SW_SX_S14_S18_S1A_T6_T7_T9_mT8_S1C_bDpT10_ENKUlT_T0_E_clISt17integral_constantIbLb1EES1O_IbLb0EEEEDaS1K_S1L_EUlS1K_E_NS1_11comp_targetILNS1_3genE10ELNS1_11target_archE1200ELNS1_3gpuE4ELNS1_3repE0EEENS1_30default_config_static_selectorELNS0_4arch9wavefront6targetE1EEEvSY_.num_agpr, 0
	.set _ZN7rocprim17ROCPRIM_400000_NS6detail17trampoline_kernelINS0_13select_configILj256ELj13ELNS0_17block_load_methodE3ELS4_3ELS4_3ELNS0_20block_scan_algorithmE0ELj4294967295EEENS1_25partition_config_selectorILNS1_17partition_subalgoE3EjNS0_10empty_typeEbEEZZNS1_14partition_implILS8_3ELb0ES6_jNS0_17counting_iteratorIjlEEPS9_SE_NS0_5tupleIJPjSE_EEENSF_IJSE_SE_EEES9_SG_JZNS1_25segmented_radix_sort_implINS0_14default_configELb1EPKiPiPKlPlN2at6native12_GLOBAL__N_18offset_tEEE10hipError_tPvRmT1_PNSt15iterator_traitsISY_E10value_typeET2_T3_PNSZ_IS14_E10value_typeET4_jRbjT5_S1A_jjP12ihipStream_tbEUljE_EEESV_SW_SX_S14_S18_S1A_T6_T7_T9_mT8_S1C_bDpT10_ENKUlT_T0_E_clISt17integral_constantIbLb1EES1O_IbLb0EEEEDaS1K_S1L_EUlS1K_E_NS1_11comp_targetILNS1_3genE10ELNS1_11target_archE1200ELNS1_3gpuE4ELNS1_3repE0EEENS1_30default_config_static_selectorELNS0_4arch9wavefront6targetE1EEEvSY_.numbered_sgpr, 0
	.set _ZN7rocprim17ROCPRIM_400000_NS6detail17trampoline_kernelINS0_13select_configILj256ELj13ELNS0_17block_load_methodE3ELS4_3ELS4_3ELNS0_20block_scan_algorithmE0ELj4294967295EEENS1_25partition_config_selectorILNS1_17partition_subalgoE3EjNS0_10empty_typeEbEEZZNS1_14partition_implILS8_3ELb0ES6_jNS0_17counting_iteratorIjlEEPS9_SE_NS0_5tupleIJPjSE_EEENSF_IJSE_SE_EEES9_SG_JZNS1_25segmented_radix_sort_implINS0_14default_configELb1EPKiPiPKlPlN2at6native12_GLOBAL__N_18offset_tEEE10hipError_tPvRmT1_PNSt15iterator_traitsISY_E10value_typeET2_T3_PNSZ_IS14_E10value_typeET4_jRbjT5_S1A_jjP12ihipStream_tbEUljE_EEESV_SW_SX_S14_S18_S1A_T6_T7_T9_mT8_S1C_bDpT10_ENKUlT_T0_E_clISt17integral_constantIbLb1EES1O_IbLb0EEEEDaS1K_S1L_EUlS1K_E_NS1_11comp_targetILNS1_3genE10ELNS1_11target_archE1200ELNS1_3gpuE4ELNS1_3repE0EEENS1_30default_config_static_selectorELNS0_4arch9wavefront6targetE1EEEvSY_.num_named_barrier, 0
	.set _ZN7rocprim17ROCPRIM_400000_NS6detail17trampoline_kernelINS0_13select_configILj256ELj13ELNS0_17block_load_methodE3ELS4_3ELS4_3ELNS0_20block_scan_algorithmE0ELj4294967295EEENS1_25partition_config_selectorILNS1_17partition_subalgoE3EjNS0_10empty_typeEbEEZZNS1_14partition_implILS8_3ELb0ES6_jNS0_17counting_iteratorIjlEEPS9_SE_NS0_5tupleIJPjSE_EEENSF_IJSE_SE_EEES9_SG_JZNS1_25segmented_radix_sort_implINS0_14default_configELb1EPKiPiPKlPlN2at6native12_GLOBAL__N_18offset_tEEE10hipError_tPvRmT1_PNSt15iterator_traitsISY_E10value_typeET2_T3_PNSZ_IS14_E10value_typeET4_jRbjT5_S1A_jjP12ihipStream_tbEUljE_EEESV_SW_SX_S14_S18_S1A_T6_T7_T9_mT8_S1C_bDpT10_ENKUlT_T0_E_clISt17integral_constantIbLb1EES1O_IbLb0EEEEDaS1K_S1L_EUlS1K_E_NS1_11comp_targetILNS1_3genE10ELNS1_11target_archE1200ELNS1_3gpuE4ELNS1_3repE0EEENS1_30default_config_static_selectorELNS0_4arch9wavefront6targetE1EEEvSY_.private_seg_size, 0
	.set _ZN7rocprim17ROCPRIM_400000_NS6detail17trampoline_kernelINS0_13select_configILj256ELj13ELNS0_17block_load_methodE3ELS4_3ELS4_3ELNS0_20block_scan_algorithmE0ELj4294967295EEENS1_25partition_config_selectorILNS1_17partition_subalgoE3EjNS0_10empty_typeEbEEZZNS1_14partition_implILS8_3ELb0ES6_jNS0_17counting_iteratorIjlEEPS9_SE_NS0_5tupleIJPjSE_EEENSF_IJSE_SE_EEES9_SG_JZNS1_25segmented_radix_sort_implINS0_14default_configELb1EPKiPiPKlPlN2at6native12_GLOBAL__N_18offset_tEEE10hipError_tPvRmT1_PNSt15iterator_traitsISY_E10value_typeET2_T3_PNSZ_IS14_E10value_typeET4_jRbjT5_S1A_jjP12ihipStream_tbEUljE_EEESV_SW_SX_S14_S18_S1A_T6_T7_T9_mT8_S1C_bDpT10_ENKUlT_T0_E_clISt17integral_constantIbLb1EES1O_IbLb0EEEEDaS1K_S1L_EUlS1K_E_NS1_11comp_targetILNS1_3genE10ELNS1_11target_archE1200ELNS1_3gpuE4ELNS1_3repE0EEENS1_30default_config_static_selectorELNS0_4arch9wavefront6targetE1EEEvSY_.uses_vcc, 0
	.set _ZN7rocprim17ROCPRIM_400000_NS6detail17trampoline_kernelINS0_13select_configILj256ELj13ELNS0_17block_load_methodE3ELS4_3ELS4_3ELNS0_20block_scan_algorithmE0ELj4294967295EEENS1_25partition_config_selectorILNS1_17partition_subalgoE3EjNS0_10empty_typeEbEEZZNS1_14partition_implILS8_3ELb0ES6_jNS0_17counting_iteratorIjlEEPS9_SE_NS0_5tupleIJPjSE_EEENSF_IJSE_SE_EEES9_SG_JZNS1_25segmented_radix_sort_implINS0_14default_configELb1EPKiPiPKlPlN2at6native12_GLOBAL__N_18offset_tEEE10hipError_tPvRmT1_PNSt15iterator_traitsISY_E10value_typeET2_T3_PNSZ_IS14_E10value_typeET4_jRbjT5_S1A_jjP12ihipStream_tbEUljE_EEESV_SW_SX_S14_S18_S1A_T6_T7_T9_mT8_S1C_bDpT10_ENKUlT_T0_E_clISt17integral_constantIbLb1EES1O_IbLb0EEEEDaS1K_S1L_EUlS1K_E_NS1_11comp_targetILNS1_3genE10ELNS1_11target_archE1200ELNS1_3gpuE4ELNS1_3repE0EEENS1_30default_config_static_selectorELNS0_4arch9wavefront6targetE1EEEvSY_.uses_flat_scratch, 0
	.set _ZN7rocprim17ROCPRIM_400000_NS6detail17trampoline_kernelINS0_13select_configILj256ELj13ELNS0_17block_load_methodE3ELS4_3ELS4_3ELNS0_20block_scan_algorithmE0ELj4294967295EEENS1_25partition_config_selectorILNS1_17partition_subalgoE3EjNS0_10empty_typeEbEEZZNS1_14partition_implILS8_3ELb0ES6_jNS0_17counting_iteratorIjlEEPS9_SE_NS0_5tupleIJPjSE_EEENSF_IJSE_SE_EEES9_SG_JZNS1_25segmented_radix_sort_implINS0_14default_configELb1EPKiPiPKlPlN2at6native12_GLOBAL__N_18offset_tEEE10hipError_tPvRmT1_PNSt15iterator_traitsISY_E10value_typeET2_T3_PNSZ_IS14_E10value_typeET4_jRbjT5_S1A_jjP12ihipStream_tbEUljE_EEESV_SW_SX_S14_S18_S1A_T6_T7_T9_mT8_S1C_bDpT10_ENKUlT_T0_E_clISt17integral_constantIbLb1EES1O_IbLb0EEEEDaS1K_S1L_EUlS1K_E_NS1_11comp_targetILNS1_3genE10ELNS1_11target_archE1200ELNS1_3gpuE4ELNS1_3repE0EEENS1_30default_config_static_selectorELNS0_4arch9wavefront6targetE1EEEvSY_.has_dyn_sized_stack, 0
	.set _ZN7rocprim17ROCPRIM_400000_NS6detail17trampoline_kernelINS0_13select_configILj256ELj13ELNS0_17block_load_methodE3ELS4_3ELS4_3ELNS0_20block_scan_algorithmE0ELj4294967295EEENS1_25partition_config_selectorILNS1_17partition_subalgoE3EjNS0_10empty_typeEbEEZZNS1_14partition_implILS8_3ELb0ES6_jNS0_17counting_iteratorIjlEEPS9_SE_NS0_5tupleIJPjSE_EEENSF_IJSE_SE_EEES9_SG_JZNS1_25segmented_radix_sort_implINS0_14default_configELb1EPKiPiPKlPlN2at6native12_GLOBAL__N_18offset_tEEE10hipError_tPvRmT1_PNSt15iterator_traitsISY_E10value_typeET2_T3_PNSZ_IS14_E10value_typeET4_jRbjT5_S1A_jjP12ihipStream_tbEUljE_EEESV_SW_SX_S14_S18_S1A_T6_T7_T9_mT8_S1C_bDpT10_ENKUlT_T0_E_clISt17integral_constantIbLb1EES1O_IbLb0EEEEDaS1K_S1L_EUlS1K_E_NS1_11comp_targetILNS1_3genE10ELNS1_11target_archE1200ELNS1_3gpuE4ELNS1_3repE0EEENS1_30default_config_static_selectorELNS0_4arch9wavefront6targetE1EEEvSY_.has_recursion, 0
	.set _ZN7rocprim17ROCPRIM_400000_NS6detail17trampoline_kernelINS0_13select_configILj256ELj13ELNS0_17block_load_methodE3ELS4_3ELS4_3ELNS0_20block_scan_algorithmE0ELj4294967295EEENS1_25partition_config_selectorILNS1_17partition_subalgoE3EjNS0_10empty_typeEbEEZZNS1_14partition_implILS8_3ELb0ES6_jNS0_17counting_iteratorIjlEEPS9_SE_NS0_5tupleIJPjSE_EEENSF_IJSE_SE_EEES9_SG_JZNS1_25segmented_radix_sort_implINS0_14default_configELb1EPKiPiPKlPlN2at6native12_GLOBAL__N_18offset_tEEE10hipError_tPvRmT1_PNSt15iterator_traitsISY_E10value_typeET2_T3_PNSZ_IS14_E10value_typeET4_jRbjT5_S1A_jjP12ihipStream_tbEUljE_EEESV_SW_SX_S14_S18_S1A_T6_T7_T9_mT8_S1C_bDpT10_ENKUlT_T0_E_clISt17integral_constantIbLb1EES1O_IbLb0EEEEDaS1K_S1L_EUlS1K_E_NS1_11comp_targetILNS1_3genE10ELNS1_11target_archE1200ELNS1_3gpuE4ELNS1_3repE0EEENS1_30default_config_static_selectorELNS0_4arch9wavefront6targetE1EEEvSY_.has_indirect_call, 0
	.section	.AMDGPU.csdata,"",@progbits
; Kernel info:
; codeLenInByte = 0
; TotalNumSgprs: 4
; NumVgprs: 0
; ScratchSize: 0
; MemoryBound: 0
; FloatMode: 240
; IeeeMode: 1
; LDSByteSize: 0 bytes/workgroup (compile time only)
; SGPRBlocks: 0
; VGPRBlocks: 0
; NumSGPRsForWavesPerEU: 4
; NumVGPRsForWavesPerEU: 1
; Occupancy: 10
; WaveLimiterHint : 0
; COMPUTE_PGM_RSRC2:SCRATCH_EN: 0
; COMPUTE_PGM_RSRC2:USER_SGPR: 6
; COMPUTE_PGM_RSRC2:TRAP_HANDLER: 0
; COMPUTE_PGM_RSRC2:TGID_X_EN: 1
; COMPUTE_PGM_RSRC2:TGID_Y_EN: 0
; COMPUTE_PGM_RSRC2:TGID_Z_EN: 0
; COMPUTE_PGM_RSRC2:TIDIG_COMP_CNT: 0
	.section	.text._ZN7rocprim17ROCPRIM_400000_NS6detail17trampoline_kernelINS0_13select_configILj256ELj13ELNS0_17block_load_methodE3ELS4_3ELS4_3ELNS0_20block_scan_algorithmE0ELj4294967295EEENS1_25partition_config_selectorILNS1_17partition_subalgoE3EjNS0_10empty_typeEbEEZZNS1_14partition_implILS8_3ELb0ES6_jNS0_17counting_iteratorIjlEEPS9_SE_NS0_5tupleIJPjSE_EEENSF_IJSE_SE_EEES9_SG_JZNS1_25segmented_radix_sort_implINS0_14default_configELb1EPKiPiPKlPlN2at6native12_GLOBAL__N_18offset_tEEE10hipError_tPvRmT1_PNSt15iterator_traitsISY_E10value_typeET2_T3_PNSZ_IS14_E10value_typeET4_jRbjT5_S1A_jjP12ihipStream_tbEUljE_EEESV_SW_SX_S14_S18_S1A_T6_T7_T9_mT8_S1C_bDpT10_ENKUlT_T0_E_clISt17integral_constantIbLb1EES1O_IbLb0EEEEDaS1K_S1L_EUlS1K_E_NS1_11comp_targetILNS1_3genE9ELNS1_11target_archE1100ELNS1_3gpuE3ELNS1_3repE0EEENS1_30default_config_static_selectorELNS0_4arch9wavefront6targetE1EEEvSY_,"axG",@progbits,_ZN7rocprim17ROCPRIM_400000_NS6detail17trampoline_kernelINS0_13select_configILj256ELj13ELNS0_17block_load_methodE3ELS4_3ELS4_3ELNS0_20block_scan_algorithmE0ELj4294967295EEENS1_25partition_config_selectorILNS1_17partition_subalgoE3EjNS0_10empty_typeEbEEZZNS1_14partition_implILS8_3ELb0ES6_jNS0_17counting_iteratorIjlEEPS9_SE_NS0_5tupleIJPjSE_EEENSF_IJSE_SE_EEES9_SG_JZNS1_25segmented_radix_sort_implINS0_14default_configELb1EPKiPiPKlPlN2at6native12_GLOBAL__N_18offset_tEEE10hipError_tPvRmT1_PNSt15iterator_traitsISY_E10value_typeET2_T3_PNSZ_IS14_E10value_typeET4_jRbjT5_S1A_jjP12ihipStream_tbEUljE_EEESV_SW_SX_S14_S18_S1A_T6_T7_T9_mT8_S1C_bDpT10_ENKUlT_T0_E_clISt17integral_constantIbLb1EES1O_IbLb0EEEEDaS1K_S1L_EUlS1K_E_NS1_11comp_targetILNS1_3genE9ELNS1_11target_archE1100ELNS1_3gpuE3ELNS1_3repE0EEENS1_30default_config_static_selectorELNS0_4arch9wavefront6targetE1EEEvSY_,comdat
	.globl	_ZN7rocprim17ROCPRIM_400000_NS6detail17trampoline_kernelINS0_13select_configILj256ELj13ELNS0_17block_load_methodE3ELS4_3ELS4_3ELNS0_20block_scan_algorithmE0ELj4294967295EEENS1_25partition_config_selectorILNS1_17partition_subalgoE3EjNS0_10empty_typeEbEEZZNS1_14partition_implILS8_3ELb0ES6_jNS0_17counting_iteratorIjlEEPS9_SE_NS0_5tupleIJPjSE_EEENSF_IJSE_SE_EEES9_SG_JZNS1_25segmented_radix_sort_implINS0_14default_configELb1EPKiPiPKlPlN2at6native12_GLOBAL__N_18offset_tEEE10hipError_tPvRmT1_PNSt15iterator_traitsISY_E10value_typeET2_T3_PNSZ_IS14_E10value_typeET4_jRbjT5_S1A_jjP12ihipStream_tbEUljE_EEESV_SW_SX_S14_S18_S1A_T6_T7_T9_mT8_S1C_bDpT10_ENKUlT_T0_E_clISt17integral_constantIbLb1EES1O_IbLb0EEEEDaS1K_S1L_EUlS1K_E_NS1_11comp_targetILNS1_3genE9ELNS1_11target_archE1100ELNS1_3gpuE3ELNS1_3repE0EEENS1_30default_config_static_selectorELNS0_4arch9wavefront6targetE1EEEvSY_ ; -- Begin function _ZN7rocprim17ROCPRIM_400000_NS6detail17trampoline_kernelINS0_13select_configILj256ELj13ELNS0_17block_load_methodE3ELS4_3ELS4_3ELNS0_20block_scan_algorithmE0ELj4294967295EEENS1_25partition_config_selectorILNS1_17partition_subalgoE3EjNS0_10empty_typeEbEEZZNS1_14partition_implILS8_3ELb0ES6_jNS0_17counting_iteratorIjlEEPS9_SE_NS0_5tupleIJPjSE_EEENSF_IJSE_SE_EEES9_SG_JZNS1_25segmented_radix_sort_implINS0_14default_configELb1EPKiPiPKlPlN2at6native12_GLOBAL__N_18offset_tEEE10hipError_tPvRmT1_PNSt15iterator_traitsISY_E10value_typeET2_T3_PNSZ_IS14_E10value_typeET4_jRbjT5_S1A_jjP12ihipStream_tbEUljE_EEESV_SW_SX_S14_S18_S1A_T6_T7_T9_mT8_S1C_bDpT10_ENKUlT_T0_E_clISt17integral_constantIbLb1EES1O_IbLb0EEEEDaS1K_S1L_EUlS1K_E_NS1_11comp_targetILNS1_3genE9ELNS1_11target_archE1100ELNS1_3gpuE3ELNS1_3repE0EEENS1_30default_config_static_selectorELNS0_4arch9wavefront6targetE1EEEvSY_
	.p2align	8
	.type	_ZN7rocprim17ROCPRIM_400000_NS6detail17trampoline_kernelINS0_13select_configILj256ELj13ELNS0_17block_load_methodE3ELS4_3ELS4_3ELNS0_20block_scan_algorithmE0ELj4294967295EEENS1_25partition_config_selectorILNS1_17partition_subalgoE3EjNS0_10empty_typeEbEEZZNS1_14partition_implILS8_3ELb0ES6_jNS0_17counting_iteratorIjlEEPS9_SE_NS0_5tupleIJPjSE_EEENSF_IJSE_SE_EEES9_SG_JZNS1_25segmented_radix_sort_implINS0_14default_configELb1EPKiPiPKlPlN2at6native12_GLOBAL__N_18offset_tEEE10hipError_tPvRmT1_PNSt15iterator_traitsISY_E10value_typeET2_T3_PNSZ_IS14_E10value_typeET4_jRbjT5_S1A_jjP12ihipStream_tbEUljE_EEESV_SW_SX_S14_S18_S1A_T6_T7_T9_mT8_S1C_bDpT10_ENKUlT_T0_E_clISt17integral_constantIbLb1EES1O_IbLb0EEEEDaS1K_S1L_EUlS1K_E_NS1_11comp_targetILNS1_3genE9ELNS1_11target_archE1100ELNS1_3gpuE3ELNS1_3repE0EEENS1_30default_config_static_selectorELNS0_4arch9wavefront6targetE1EEEvSY_,@function
_ZN7rocprim17ROCPRIM_400000_NS6detail17trampoline_kernelINS0_13select_configILj256ELj13ELNS0_17block_load_methodE3ELS4_3ELS4_3ELNS0_20block_scan_algorithmE0ELj4294967295EEENS1_25partition_config_selectorILNS1_17partition_subalgoE3EjNS0_10empty_typeEbEEZZNS1_14partition_implILS8_3ELb0ES6_jNS0_17counting_iteratorIjlEEPS9_SE_NS0_5tupleIJPjSE_EEENSF_IJSE_SE_EEES9_SG_JZNS1_25segmented_radix_sort_implINS0_14default_configELb1EPKiPiPKlPlN2at6native12_GLOBAL__N_18offset_tEEE10hipError_tPvRmT1_PNSt15iterator_traitsISY_E10value_typeET2_T3_PNSZ_IS14_E10value_typeET4_jRbjT5_S1A_jjP12ihipStream_tbEUljE_EEESV_SW_SX_S14_S18_S1A_T6_T7_T9_mT8_S1C_bDpT10_ENKUlT_T0_E_clISt17integral_constantIbLb1EES1O_IbLb0EEEEDaS1K_S1L_EUlS1K_E_NS1_11comp_targetILNS1_3genE9ELNS1_11target_archE1100ELNS1_3gpuE3ELNS1_3repE0EEENS1_30default_config_static_selectorELNS0_4arch9wavefront6targetE1EEEvSY_: ; @_ZN7rocprim17ROCPRIM_400000_NS6detail17trampoline_kernelINS0_13select_configILj256ELj13ELNS0_17block_load_methodE3ELS4_3ELS4_3ELNS0_20block_scan_algorithmE0ELj4294967295EEENS1_25partition_config_selectorILNS1_17partition_subalgoE3EjNS0_10empty_typeEbEEZZNS1_14partition_implILS8_3ELb0ES6_jNS0_17counting_iteratorIjlEEPS9_SE_NS0_5tupleIJPjSE_EEENSF_IJSE_SE_EEES9_SG_JZNS1_25segmented_radix_sort_implINS0_14default_configELb1EPKiPiPKlPlN2at6native12_GLOBAL__N_18offset_tEEE10hipError_tPvRmT1_PNSt15iterator_traitsISY_E10value_typeET2_T3_PNSZ_IS14_E10value_typeET4_jRbjT5_S1A_jjP12ihipStream_tbEUljE_EEESV_SW_SX_S14_S18_S1A_T6_T7_T9_mT8_S1C_bDpT10_ENKUlT_T0_E_clISt17integral_constantIbLb1EES1O_IbLb0EEEEDaS1K_S1L_EUlS1K_E_NS1_11comp_targetILNS1_3genE9ELNS1_11target_archE1100ELNS1_3gpuE3ELNS1_3repE0EEENS1_30default_config_static_selectorELNS0_4arch9wavefront6targetE1EEEvSY_
; %bb.0:
	.section	.rodata,"a",@progbits
	.p2align	6, 0x0
	.amdhsa_kernel _ZN7rocprim17ROCPRIM_400000_NS6detail17trampoline_kernelINS0_13select_configILj256ELj13ELNS0_17block_load_methodE3ELS4_3ELS4_3ELNS0_20block_scan_algorithmE0ELj4294967295EEENS1_25partition_config_selectorILNS1_17partition_subalgoE3EjNS0_10empty_typeEbEEZZNS1_14partition_implILS8_3ELb0ES6_jNS0_17counting_iteratorIjlEEPS9_SE_NS0_5tupleIJPjSE_EEENSF_IJSE_SE_EEES9_SG_JZNS1_25segmented_radix_sort_implINS0_14default_configELb1EPKiPiPKlPlN2at6native12_GLOBAL__N_18offset_tEEE10hipError_tPvRmT1_PNSt15iterator_traitsISY_E10value_typeET2_T3_PNSZ_IS14_E10value_typeET4_jRbjT5_S1A_jjP12ihipStream_tbEUljE_EEESV_SW_SX_S14_S18_S1A_T6_T7_T9_mT8_S1C_bDpT10_ENKUlT_T0_E_clISt17integral_constantIbLb1EES1O_IbLb0EEEEDaS1K_S1L_EUlS1K_E_NS1_11comp_targetILNS1_3genE9ELNS1_11target_archE1100ELNS1_3gpuE3ELNS1_3repE0EEENS1_30default_config_static_selectorELNS0_4arch9wavefront6targetE1EEEvSY_
		.amdhsa_group_segment_fixed_size 0
		.amdhsa_private_segment_fixed_size 0
		.amdhsa_kernarg_size 144
		.amdhsa_user_sgpr_count 6
		.amdhsa_user_sgpr_private_segment_buffer 1
		.amdhsa_user_sgpr_dispatch_ptr 0
		.amdhsa_user_sgpr_queue_ptr 0
		.amdhsa_user_sgpr_kernarg_segment_ptr 1
		.amdhsa_user_sgpr_dispatch_id 0
		.amdhsa_user_sgpr_flat_scratch_init 0
		.amdhsa_user_sgpr_private_segment_size 0
		.amdhsa_uses_dynamic_stack 0
		.amdhsa_system_sgpr_private_segment_wavefront_offset 0
		.amdhsa_system_sgpr_workgroup_id_x 1
		.amdhsa_system_sgpr_workgroup_id_y 0
		.amdhsa_system_sgpr_workgroup_id_z 0
		.amdhsa_system_sgpr_workgroup_info 0
		.amdhsa_system_vgpr_workitem_id 0
		.amdhsa_next_free_vgpr 1
		.amdhsa_next_free_sgpr 0
		.amdhsa_reserve_vcc 0
		.amdhsa_reserve_flat_scratch 0
		.amdhsa_float_round_mode_32 0
		.amdhsa_float_round_mode_16_64 0
		.amdhsa_float_denorm_mode_32 3
		.amdhsa_float_denorm_mode_16_64 3
		.amdhsa_dx10_clamp 1
		.amdhsa_ieee_mode 1
		.amdhsa_fp16_overflow 0
		.amdhsa_exception_fp_ieee_invalid_op 0
		.amdhsa_exception_fp_denorm_src 0
		.amdhsa_exception_fp_ieee_div_zero 0
		.amdhsa_exception_fp_ieee_overflow 0
		.amdhsa_exception_fp_ieee_underflow 0
		.amdhsa_exception_fp_ieee_inexact 0
		.amdhsa_exception_int_div_zero 0
	.end_amdhsa_kernel
	.section	.text._ZN7rocprim17ROCPRIM_400000_NS6detail17trampoline_kernelINS0_13select_configILj256ELj13ELNS0_17block_load_methodE3ELS4_3ELS4_3ELNS0_20block_scan_algorithmE0ELj4294967295EEENS1_25partition_config_selectorILNS1_17partition_subalgoE3EjNS0_10empty_typeEbEEZZNS1_14partition_implILS8_3ELb0ES6_jNS0_17counting_iteratorIjlEEPS9_SE_NS0_5tupleIJPjSE_EEENSF_IJSE_SE_EEES9_SG_JZNS1_25segmented_radix_sort_implINS0_14default_configELb1EPKiPiPKlPlN2at6native12_GLOBAL__N_18offset_tEEE10hipError_tPvRmT1_PNSt15iterator_traitsISY_E10value_typeET2_T3_PNSZ_IS14_E10value_typeET4_jRbjT5_S1A_jjP12ihipStream_tbEUljE_EEESV_SW_SX_S14_S18_S1A_T6_T7_T9_mT8_S1C_bDpT10_ENKUlT_T0_E_clISt17integral_constantIbLb1EES1O_IbLb0EEEEDaS1K_S1L_EUlS1K_E_NS1_11comp_targetILNS1_3genE9ELNS1_11target_archE1100ELNS1_3gpuE3ELNS1_3repE0EEENS1_30default_config_static_selectorELNS0_4arch9wavefront6targetE1EEEvSY_,"axG",@progbits,_ZN7rocprim17ROCPRIM_400000_NS6detail17trampoline_kernelINS0_13select_configILj256ELj13ELNS0_17block_load_methodE3ELS4_3ELS4_3ELNS0_20block_scan_algorithmE0ELj4294967295EEENS1_25partition_config_selectorILNS1_17partition_subalgoE3EjNS0_10empty_typeEbEEZZNS1_14partition_implILS8_3ELb0ES6_jNS0_17counting_iteratorIjlEEPS9_SE_NS0_5tupleIJPjSE_EEENSF_IJSE_SE_EEES9_SG_JZNS1_25segmented_radix_sort_implINS0_14default_configELb1EPKiPiPKlPlN2at6native12_GLOBAL__N_18offset_tEEE10hipError_tPvRmT1_PNSt15iterator_traitsISY_E10value_typeET2_T3_PNSZ_IS14_E10value_typeET4_jRbjT5_S1A_jjP12ihipStream_tbEUljE_EEESV_SW_SX_S14_S18_S1A_T6_T7_T9_mT8_S1C_bDpT10_ENKUlT_T0_E_clISt17integral_constantIbLb1EES1O_IbLb0EEEEDaS1K_S1L_EUlS1K_E_NS1_11comp_targetILNS1_3genE9ELNS1_11target_archE1100ELNS1_3gpuE3ELNS1_3repE0EEENS1_30default_config_static_selectorELNS0_4arch9wavefront6targetE1EEEvSY_,comdat
.Lfunc_end487:
	.size	_ZN7rocprim17ROCPRIM_400000_NS6detail17trampoline_kernelINS0_13select_configILj256ELj13ELNS0_17block_load_methodE3ELS4_3ELS4_3ELNS0_20block_scan_algorithmE0ELj4294967295EEENS1_25partition_config_selectorILNS1_17partition_subalgoE3EjNS0_10empty_typeEbEEZZNS1_14partition_implILS8_3ELb0ES6_jNS0_17counting_iteratorIjlEEPS9_SE_NS0_5tupleIJPjSE_EEENSF_IJSE_SE_EEES9_SG_JZNS1_25segmented_radix_sort_implINS0_14default_configELb1EPKiPiPKlPlN2at6native12_GLOBAL__N_18offset_tEEE10hipError_tPvRmT1_PNSt15iterator_traitsISY_E10value_typeET2_T3_PNSZ_IS14_E10value_typeET4_jRbjT5_S1A_jjP12ihipStream_tbEUljE_EEESV_SW_SX_S14_S18_S1A_T6_T7_T9_mT8_S1C_bDpT10_ENKUlT_T0_E_clISt17integral_constantIbLb1EES1O_IbLb0EEEEDaS1K_S1L_EUlS1K_E_NS1_11comp_targetILNS1_3genE9ELNS1_11target_archE1100ELNS1_3gpuE3ELNS1_3repE0EEENS1_30default_config_static_selectorELNS0_4arch9wavefront6targetE1EEEvSY_, .Lfunc_end487-_ZN7rocprim17ROCPRIM_400000_NS6detail17trampoline_kernelINS0_13select_configILj256ELj13ELNS0_17block_load_methodE3ELS4_3ELS4_3ELNS0_20block_scan_algorithmE0ELj4294967295EEENS1_25partition_config_selectorILNS1_17partition_subalgoE3EjNS0_10empty_typeEbEEZZNS1_14partition_implILS8_3ELb0ES6_jNS0_17counting_iteratorIjlEEPS9_SE_NS0_5tupleIJPjSE_EEENSF_IJSE_SE_EEES9_SG_JZNS1_25segmented_radix_sort_implINS0_14default_configELb1EPKiPiPKlPlN2at6native12_GLOBAL__N_18offset_tEEE10hipError_tPvRmT1_PNSt15iterator_traitsISY_E10value_typeET2_T3_PNSZ_IS14_E10value_typeET4_jRbjT5_S1A_jjP12ihipStream_tbEUljE_EEESV_SW_SX_S14_S18_S1A_T6_T7_T9_mT8_S1C_bDpT10_ENKUlT_T0_E_clISt17integral_constantIbLb1EES1O_IbLb0EEEEDaS1K_S1L_EUlS1K_E_NS1_11comp_targetILNS1_3genE9ELNS1_11target_archE1100ELNS1_3gpuE3ELNS1_3repE0EEENS1_30default_config_static_selectorELNS0_4arch9wavefront6targetE1EEEvSY_
                                        ; -- End function
	.set _ZN7rocprim17ROCPRIM_400000_NS6detail17trampoline_kernelINS0_13select_configILj256ELj13ELNS0_17block_load_methodE3ELS4_3ELS4_3ELNS0_20block_scan_algorithmE0ELj4294967295EEENS1_25partition_config_selectorILNS1_17partition_subalgoE3EjNS0_10empty_typeEbEEZZNS1_14partition_implILS8_3ELb0ES6_jNS0_17counting_iteratorIjlEEPS9_SE_NS0_5tupleIJPjSE_EEENSF_IJSE_SE_EEES9_SG_JZNS1_25segmented_radix_sort_implINS0_14default_configELb1EPKiPiPKlPlN2at6native12_GLOBAL__N_18offset_tEEE10hipError_tPvRmT1_PNSt15iterator_traitsISY_E10value_typeET2_T3_PNSZ_IS14_E10value_typeET4_jRbjT5_S1A_jjP12ihipStream_tbEUljE_EEESV_SW_SX_S14_S18_S1A_T6_T7_T9_mT8_S1C_bDpT10_ENKUlT_T0_E_clISt17integral_constantIbLb1EES1O_IbLb0EEEEDaS1K_S1L_EUlS1K_E_NS1_11comp_targetILNS1_3genE9ELNS1_11target_archE1100ELNS1_3gpuE3ELNS1_3repE0EEENS1_30default_config_static_selectorELNS0_4arch9wavefront6targetE1EEEvSY_.num_vgpr, 0
	.set _ZN7rocprim17ROCPRIM_400000_NS6detail17trampoline_kernelINS0_13select_configILj256ELj13ELNS0_17block_load_methodE3ELS4_3ELS4_3ELNS0_20block_scan_algorithmE0ELj4294967295EEENS1_25partition_config_selectorILNS1_17partition_subalgoE3EjNS0_10empty_typeEbEEZZNS1_14partition_implILS8_3ELb0ES6_jNS0_17counting_iteratorIjlEEPS9_SE_NS0_5tupleIJPjSE_EEENSF_IJSE_SE_EEES9_SG_JZNS1_25segmented_radix_sort_implINS0_14default_configELb1EPKiPiPKlPlN2at6native12_GLOBAL__N_18offset_tEEE10hipError_tPvRmT1_PNSt15iterator_traitsISY_E10value_typeET2_T3_PNSZ_IS14_E10value_typeET4_jRbjT5_S1A_jjP12ihipStream_tbEUljE_EEESV_SW_SX_S14_S18_S1A_T6_T7_T9_mT8_S1C_bDpT10_ENKUlT_T0_E_clISt17integral_constantIbLb1EES1O_IbLb0EEEEDaS1K_S1L_EUlS1K_E_NS1_11comp_targetILNS1_3genE9ELNS1_11target_archE1100ELNS1_3gpuE3ELNS1_3repE0EEENS1_30default_config_static_selectorELNS0_4arch9wavefront6targetE1EEEvSY_.num_agpr, 0
	.set _ZN7rocprim17ROCPRIM_400000_NS6detail17trampoline_kernelINS0_13select_configILj256ELj13ELNS0_17block_load_methodE3ELS4_3ELS4_3ELNS0_20block_scan_algorithmE0ELj4294967295EEENS1_25partition_config_selectorILNS1_17partition_subalgoE3EjNS0_10empty_typeEbEEZZNS1_14partition_implILS8_3ELb0ES6_jNS0_17counting_iteratorIjlEEPS9_SE_NS0_5tupleIJPjSE_EEENSF_IJSE_SE_EEES9_SG_JZNS1_25segmented_radix_sort_implINS0_14default_configELb1EPKiPiPKlPlN2at6native12_GLOBAL__N_18offset_tEEE10hipError_tPvRmT1_PNSt15iterator_traitsISY_E10value_typeET2_T3_PNSZ_IS14_E10value_typeET4_jRbjT5_S1A_jjP12ihipStream_tbEUljE_EEESV_SW_SX_S14_S18_S1A_T6_T7_T9_mT8_S1C_bDpT10_ENKUlT_T0_E_clISt17integral_constantIbLb1EES1O_IbLb0EEEEDaS1K_S1L_EUlS1K_E_NS1_11comp_targetILNS1_3genE9ELNS1_11target_archE1100ELNS1_3gpuE3ELNS1_3repE0EEENS1_30default_config_static_selectorELNS0_4arch9wavefront6targetE1EEEvSY_.numbered_sgpr, 0
	.set _ZN7rocprim17ROCPRIM_400000_NS6detail17trampoline_kernelINS0_13select_configILj256ELj13ELNS0_17block_load_methodE3ELS4_3ELS4_3ELNS0_20block_scan_algorithmE0ELj4294967295EEENS1_25partition_config_selectorILNS1_17partition_subalgoE3EjNS0_10empty_typeEbEEZZNS1_14partition_implILS8_3ELb0ES6_jNS0_17counting_iteratorIjlEEPS9_SE_NS0_5tupleIJPjSE_EEENSF_IJSE_SE_EEES9_SG_JZNS1_25segmented_radix_sort_implINS0_14default_configELb1EPKiPiPKlPlN2at6native12_GLOBAL__N_18offset_tEEE10hipError_tPvRmT1_PNSt15iterator_traitsISY_E10value_typeET2_T3_PNSZ_IS14_E10value_typeET4_jRbjT5_S1A_jjP12ihipStream_tbEUljE_EEESV_SW_SX_S14_S18_S1A_T6_T7_T9_mT8_S1C_bDpT10_ENKUlT_T0_E_clISt17integral_constantIbLb1EES1O_IbLb0EEEEDaS1K_S1L_EUlS1K_E_NS1_11comp_targetILNS1_3genE9ELNS1_11target_archE1100ELNS1_3gpuE3ELNS1_3repE0EEENS1_30default_config_static_selectorELNS0_4arch9wavefront6targetE1EEEvSY_.num_named_barrier, 0
	.set _ZN7rocprim17ROCPRIM_400000_NS6detail17trampoline_kernelINS0_13select_configILj256ELj13ELNS0_17block_load_methodE3ELS4_3ELS4_3ELNS0_20block_scan_algorithmE0ELj4294967295EEENS1_25partition_config_selectorILNS1_17partition_subalgoE3EjNS0_10empty_typeEbEEZZNS1_14partition_implILS8_3ELb0ES6_jNS0_17counting_iteratorIjlEEPS9_SE_NS0_5tupleIJPjSE_EEENSF_IJSE_SE_EEES9_SG_JZNS1_25segmented_radix_sort_implINS0_14default_configELb1EPKiPiPKlPlN2at6native12_GLOBAL__N_18offset_tEEE10hipError_tPvRmT1_PNSt15iterator_traitsISY_E10value_typeET2_T3_PNSZ_IS14_E10value_typeET4_jRbjT5_S1A_jjP12ihipStream_tbEUljE_EEESV_SW_SX_S14_S18_S1A_T6_T7_T9_mT8_S1C_bDpT10_ENKUlT_T0_E_clISt17integral_constantIbLb1EES1O_IbLb0EEEEDaS1K_S1L_EUlS1K_E_NS1_11comp_targetILNS1_3genE9ELNS1_11target_archE1100ELNS1_3gpuE3ELNS1_3repE0EEENS1_30default_config_static_selectorELNS0_4arch9wavefront6targetE1EEEvSY_.private_seg_size, 0
	.set _ZN7rocprim17ROCPRIM_400000_NS6detail17trampoline_kernelINS0_13select_configILj256ELj13ELNS0_17block_load_methodE3ELS4_3ELS4_3ELNS0_20block_scan_algorithmE0ELj4294967295EEENS1_25partition_config_selectorILNS1_17partition_subalgoE3EjNS0_10empty_typeEbEEZZNS1_14partition_implILS8_3ELb0ES6_jNS0_17counting_iteratorIjlEEPS9_SE_NS0_5tupleIJPjSE_EEENSF_IJSE_SE_EEES9_SG_JZNS1_25segmented_radix_sort_implINS0_14default_configELb1EPKiPiPKlPlN2at6native12_GLOBAL__N_18offset_tEEE10hipError_tPvRmT1_PNSt15iterator_traitsISY_E10value_typeET2_T3_PNSZ_IS14_E10value_typeET4_jRbjT5_S1A_jjP12ihipStream_tbEUljE_EEESV_SW_SX_S14_S18_S1A_T6_T7_T9_mT8_S1C_bDpT10_ENKUlT_T0_E_clISt17integral_constantIbLb1EES1O_IbLb0EEEEDaS1K_S1L_EUlS1K_E_NS1_11comp_targetILNS1_3genE9ELNS1_11target_archE1100ELNS1_3gpuE3ELNS1_3repE0EEENS1_30default_config_static_selectorELNS0_4arch9wavefront6targetE1EEEvSY_.uses_vcc, 0
	.set _ZN7rocprim17ROCPRIM_400000_NS6detail17trampoline_kernelINS0_13select_configILj256ELj13ELNS0_17block_load_methodE3ELS4_3ELS4_3ELNS0_20block_scan_algorithmE0ELj4294967295EEENS1_25partition_config_selectorILNS1_17partition_subalgoE3EjNS0_10empty_typeEbEEZZNS1_14partition_implILS8_3ELb0ES6_jNS0_17counting_iteratorIjlEEPS9_SE_NS0_5tupleIJPjSE_EEENSF_IJSE_SE_EEES9_SG_JZNS1_25segmented_radix_sort_implINS0_14default_configELb1EPKiPiPKlPlN2at6native12_GLOBAL__N_18offset_tEEE10hipError_tPvRmT1_PNSt15iterator_traitsISY_E10value_typeET2_T3_PNSZ_IS14_E10value_typeET4_jRbjT5_S1A_jjP12ihipStream_tbEUljE_EEESV_SW_SX_S14_S18_S1A_T6_T7_T9_mT8_S1C_bDpT10_ENKUlT_T0_E_clISt17integral_constantIbLb1EES1O_IbLb0EEEEDaS1K_S1L_EUlS1K_E_NS1_11comp_targetILNS1_3genE9ELNS1_11target_archE1100ELNS1_3gpuE3ELNS1_3repE0EEENS1_30default_config_static_selectorELNS0_4arch9wavefront6targetE1EEEvSY_.uses_flat_scratch, 0
	.set _ZN7rocprim17ROCPRIM_400000_NS6detail17trampoline_kernelINS0_13select_configILj256ELj13ELNS0_17block_load_methodE3ELS4_3ELS4_3ELNS0_20block_scan_algorithmE0ELj4294967295EEENS1_25partition_config_selectorILNS1_17partition_subalgoE3EjNS0_10empty_typeEbEEZZNS1_14partition_implILS8_3ELb0ES6_jNS0_17counting_iteratorIjlEEPS9_SE_NS0_5tupleIJPjSE_EEENSF_IJSE_SE_EEES9_SG_JZNS1_25segmented_radix_sort_implINS0_14default_configELb1EPKiPiPKlPlN2at6native12_GLOBAL__N_18offset_tEEE10hipError_tPvRmT1_PNSt15iterator_traitsISY_E10value_typeET2_T3_PNSZ_IS14_E10value_typeET4_jRbjT5_S1A_jjP12ihipStream_tbEUljE_EEESV_SW_SX_S14_S18_S1A_T6_T7_T9_mT8_S1C_bDpT10_ENKUlT_T0_E_clISt17integral_constantIbLb1EES1O_IbLb0EEEEDaS1K_S1L_EUlS1K_E_NS1_11comp_targetILNS1_3genE9ELNS1_11target_archE1100ELNS1_3gpuE3ELNS1_3repE0EEENS1_30default_config_static_selectorELNS0_4arch9wavefront6targetE1EEEvSY_.has_dyn_sized_stack, 0
	.set _ZN7rocprim17ROCPRIM_400000_NS6detail17trampoline_kernelINS0_13select_configILj256ELj13ELNS0_17block_load_methodE3ELS4_3ELS4_3ELNS0_20block_scan_algorithmE0ELj4294967295EEENS1_25partition_config_selectorILNS1_17partition_subalgoE3EjNS0_10empty_typeEbEEZZNS1_14partition_implILS8_3ELb0ES6_jNS0_17counting_iteratorIjlEEPS9_SE_NS0_5tupleIJPjSE_EEENSF_IJSE_SE_EEES9_SG_JZNS1_25segmented_radix_sort_implINS0_14default_configELb1EPKiPiPKlPlN2at6native12_GLOBAL__N_18offset_tEEE10hipError_tPvRmT1_PNSt15iterator_traitsISY_E10value_typeET2_T3_PNSZ_IS14_E10value_typeET4_jRbjT5_S1A_jjP12ihipStream_tbEUljE_EEESV_SW_SX_S14_S18_S1A_T6_T7_T9_mT8_S1C_bDpT10_ENKUlT_T0_E_clISt17integral_constantIbLb1EES1O_IbLb0EEEEDaS1K_S1L_EUlS1K_E_NS1_11comp_targetILNS1_3genE9ELNS1_11target_archE1100ELNS1_3gpuE3ELNS1_3repE0EEENS1_30default_config_static_selectorELNS0_4arch9wavefront6targetE1EEEvSY_.has_recursion, 0
	.set _ZN7rocprim17ROCPRIM_400000_NS6detail17trampoline_kernelINS0_13select_configILj256ELj13ELNS0_17block_load_methodE3ELS4_3ELS4_3ELNS0_20block_scan_algorithmE0ELj4294967295EEENS1_25partition_config_selectorILNS1_17partition_subalgoE3EjNS0_10empty_typeEbEEZZNS1_14partition_implILS8_3ELb0ES6_jNS0_17counting_iteratorIjlEEPS9_SE_NS0_5tupleIJPjSE_EEENSF_IJSE_SE_EEES9_SG_JZNS1_25segmented_radix_sort_implINS0_14default_configELb1EPKiPiPKlPlN2at6native12_GLOBAL__N_18offset_tEEE10hipError_tPvRmT1_PNSt15iterator_traitsISY_E10value_typeET2_T3_PNSZ_IS14_E10value_typeET4_jRbjT5_S1A_jjP12ihipStream_tbEUljE_EEESV_SW_SX_S14_S18_S1A_T6_T7_T9_mT8_S1C_bDpT10_ENKUlT_T0_E_clISt17integral_constantIbLb1EES1O_IbLb0EEEEDaS1K_S1L_EUlS1K_E_NS1_11comp_targetILNS1_3genE9ELNS1_11target_archE1100ELNS1_3gpuE3ELNS1_3repE0EEENS1_30default_config_static_selectorELNS0_4arch9wavefront6targetE1EEEvSY_.has_indirect_call, 0
	.section	.AMDGPU.csdata,"",@progbits
; Kernel info:
; codeLenInByte = 0
; TotalNumSgprs: 4
; NumVgprs: 0
; ScratchSize: 0
; MemoryBound: 0
; FloatMode: 240
; IeeeMode: 1
; LDSByteSize: 0 bytes/workgroup (compile time only)
; SGPRBlocks: 0
; VGPRBlocks: 0
; NumSGPRsForWavesPerEU: 4
; NumVGPRsForWavesPerEU: 1
; Occupancy: 10
; WaveLimiterHint : 0
; COMPUTE_PGM_RSRC2:SCRATCH_EN: 0
; COMPUTE_PGM_RSRC2:USER_SGPR: 6
; COMPUTE_PGM_RSRC2:TRAP_HANDLER: 0
; COMPUTE_PGM_RSRC2:TGID_X_EN: 1
; COMPUTE_PGM_RSRC2:TGID_Y_EN: 0
; COMPUTE_PGM_RSRC2:TGID_Z_EN: 0
; COMPUTE_PGM_RSRC2:TIDIG_COMP_CNT: 0
	.section	.text._ZN7rocprim17ROCPRIM_400000_NS6detail17trampoline_kernelINS0_13select_configILj256ELj13ELNS0_17block_load_methodE3ELS4_3ELS4_3ELNS0_20block_scan_algorithmE0ELj4294967295EEENS1_25partition_config_selectorILNS1_17partition_subalgoE3EjNS0_10empty_typeEbEEZZNS1_14partition_implILS8_3ELb0ES6_jNS0_17counting_iteratorIjlEEPS9_SE_NS0_5tupleIJPjSE_EEENSF_IJSE_SE_EEES9_SG_JZNS1_25segmented_radix_sort_implINS0_14default_configELb1EPKiPiPKlPlN2at6native12_GLOBAL__N_18offset_tEEE10hipError_tPvRmT1_PNSt15iterator_traitsISY_E10value_typeET2_T3_PNSZ_IS14_E10value_typeET4_jRbjT5_S1A_jjP12ihipStream_tbEUljE_EEESV_SW_SX_S14_S18_S1A_T6_T7_T9_mT8_S1C_bDpT10_ENKUlT_T0_E_clISt17integral_constantIbLb1EES1O_IbLb0EEEEDaS1K_S1L_EUlS1K_E_NS1_11comp_targetILNS1_3genE8ELNS1_11target_archE1030ELNS1_3gpuE2ELNS1_3repE0EEENS1_30default_config_static_selectorELNS0_4arch9wavefront6targetE1EEEvSY_,"axG",@progbits,_ZN7rocprim17ROCPRIM_400000_NS6detail17trampoline_kernelINS0_13select_configILj256ELj13ELNS0_17block_load_methodE3ELS4_3ELS4_3ELNS0_20block_scan_algorithmE0ELj4294967295EEENS1_25partition_config_selectorILNS1_17partition_subalgoE3EjNS0_10empty_typeEbEEZZNS1_14partition_implILS8_3ELb0ES6_jNS0_17counting_iteratorIjlEEPS9_SE_NS0_5tupleIJPjSE_EEENSF_IJSE_SE_EEES9_SG_JZNS1_25segmented_radix_sort_implINS0_14default_configELb1EPKiPiPKlPlN2at6native12_GLOBAL__N_18offset_tEEE10hipError_tPvRmT1_PNSt15iterator_traitsISY_E10value_typeET2_T3_PNSZ_IS14_E10value_typeET4_jRbjT5_S1A_jjP12ihipStream_tbEUljE_EEESV_SW_SX_S14_S18_S1A_T6_T7_T9_mT8_S1C_bDpT10_ENKUlT_T0_E_clISt17integral_constantIbLb1EES1O_IbLb0EEEEDaS1K_S1L_EUlS1K_E_NS1_11comp_targetILNS1_3genE8ELNS1_11target_archE1030ELNS1_3gpuE2ELNS1_3repE0EEENS1_30default_config_static_selectorELNS0_4arch9wavefront6targetE1EEEvSY_,comdat
	.globl	_ZN7rocprim17ROCPRIM_400000_NS6detail17trampoline_kernelINS0_13select_configILj256ELj13ELNS0_17block_load_methodE3ELS4_3ELS4_3ELNS0_20block_scan_algorithmE0ELj4294967295EEENS1_25partition_config_selectorILNS1_17partition_subalgoE3EjNS0_10empty_typeEbEEZZNS1_14partition_implILS8_3ELb0ES6_jNS0_17counting_iteratorIjlEEPS9_SE_NS0_5tupleIJPjSE_EEENSF_IJSE_SE_EEES9_SG_JZNS1_25segmented_radix_sort_implINS0_14default_configELb1EPKiPiPKlPlN2at6native12_GLOBAL__N_18offset_tEEE10hipError_tPvRmT1_PNSt15iterator_traitsISY_E10value_typeET2_T3_PNSZ_IS14_E10value_typeET4_jRbjT5_S1A_jjP12ihipStream_tbEUljE_EEESV_SW_SX_S14_S18_S1A_T6_T7_T9_mT8_S1C_bDpT10_ENKUlT_T0_E_clISt17integral_constantIbLb1EES1O_IbLb0EEEEDaS1K_S1L_EUlS1K_E_NS1_11comp_targetILNS1_3genE8ELNS1_11target_archE1030ELNS1_3gpuE2ELNS1_3repE0EEENS1_30default_config_static_selectorELNS0_4arch9wavefront6targetE1EEEvSY_ ; -- Begin function _ZN7rocprim17ROCPRIM_400000_NS6detail17trampoline_kernelINS0_13select_configILj256ELj13ELNS0_17block_load_methodE3ELS4_3ELS4_3ELNS0_20block_scan_algorithmE0ELj4294967295EEENS1_25partition_config_selectorILNS1_17partition_subalgoE3EjNS0_10empty_typeEbEEZZNS1_14partition_implILS8_3ELb0ES6_jNS0_17counting_iteratorIjlEEPS9_SE_NS0_5tupleIJPjSE_EEENSF_IJSE_SE_EEES9_SG_JZNS1_25segmented_radix_sort_implINS0_14default_configELb1EPKiPiPKlPlN2at6native12_GLOBAL__N_18offset_tEEE10hipError_tPvRmT1_PNSt15iterator_traitsISY_E10value_typeET2_T3_PNSZ_IS14_E10value_typeET4_jRbjT5_S1A_jjP12ihipStream_tbEUljE_EEESV_SW_SX_S14_S18_S1A_T6_T7_T9_mT8_S1C_bDpT10_ENKUlT_T0_E_clISt17integral_constantIbLb1EES1O_IbLb0EEEEDaS1K_S1L_EUlS1K_E_NS1_11comp_targetILNS1_3genE8ELNS1_11target_archE1030ELNS1_3gpuE2ELNS1_3repE0EEENS1_30default_config_static_selectorELNS0_4arch9wavefront6targetE1EEEvSY_
	.p2align	8
	.type	_ZN7rocprim17ROCPRIM_400000_NS6detail17trampoline_kernelINS0_13select_configILj256ELj13ELNS0_17block_load_methodE3ELS4_3ELS4_3ELNS0_20block_scan_algorithmE0ELj4294967295EEENS1_25partition_config_selectorILNS1_17partition_subalgoE3EjNS0_10empty_typeEbEEZZNS1_14partition_implILS8_3ELb0ES6_jNS0_17counting_iteratorIjlEEPS9_SE_NS0_5tupleIJPjSE_EEENSF_IJSE_SE_EEES9_SG_JZNS1_25segmented_radix_sort_implINS0_14default_configELb1EPKiPiPKlPlN2at6native12_GLOBAL__N_18offset_tEEE10hipError_tPvRmT1_PNSt15iterator_traitsISY_E10value_typeET2_T3_PNSZ_IS14_E10value_typeET4_jRbjT5_S1A_jjP12ihipStream_tbEUljE_EEESV_SW_SX_S14_S18_S1A_T6_T7_T9_mT8_S1C_bDpT10_ENKUlT_T0_E_clISt17integral_constantIbLb1EES1O_IbLb0EEEEDaS1K_S1L_EUlS1K_E_NS1_11comp_targetILNS1_3genE8ELNS1_11target_archE1030ELNS1_3gpuE2ELNS1_3repE0EEENS1_30default_config_static_selectorELNS0_4arch9wavefront6targetE1EEEvSY_,@function
_ZN7rocprim17ROCPRIM_400000_NS6detail17trampoline_kernelINS0_13select_configILj256ELj13ELNS0_17block_load_methodE3ELS4_3ELS4_3ELNS0_20block_scan_algorithmE0ELj4294967295EEENS1_25partition_config_selectorILNS1_17partition_subalgoE3EjNS0_10empty_typeEbEEZZNS1_14partition_implILS8_3ELb0ES6_jNS0_17counting_iteratorIjlEEPS9_SE_NS0_5tupleIJPjSE_EEENSF_IJSE_SE_EEES9_SG_JZNS1_25segmented_radix_sort_implINS0_14default_configELb1EPKiPiPKlPlN2at6native12_GLOBAL__N_18offset_tEEE10hipError_tPvRmT1_PNSt15iterator_traitsISY_E10value_typeET2_T3_PNSZ_IS14_E10value_typeET4_jRbjT5_S1A_jjP12ihipStream_tbEUljE_EEESV_SW_SX_S14_S18_S1A_T6_T7_T9_mT8_S1C_bDpT10_ENKUlT_T0_E_clISt17integral_constantIbLb1EES1O_IbLb0EEEEDaS1K_S1L_EUlS1K_E_NS1_11comp_targetILNS1_3genE8ELNS1_11target_archE1030ELNS1_3gpuE2ELNS1_3repE0EEENS1_30default_config_static_selectorELNS0_4arch9wavefront6targetE1EEEvSY_: ; @_ZN7rocprim17ROCPRIM_400000_NS6detail17trampoline_kernelINS0_13select_configILj256ELj13ELNS0_17block_load_methodE3ELS4_3ELS4_3ELNS0_20block_scan_algorithmE0ELj4294967295EEENS1_25partition_config_selectorILNS1_17partition_subalgoE3EjNS0_10empty_typeEbEEZZNS1_14partition_implILS8_3ELb0ES6_jNS0_17counting_iteratorIjlEEPS9_SE_NS0_5tupleIJPjSE_EEENSF_IJSE_SE_EEES9_SG_JZNS1_25segmented_radix_sort_implINS0_14default_configELb1EPKiPiPKlPlN2at6native12_GLOBAL__N_18offset_tEEE10hipError_tPvRmT1_PNSt15iterator_traitsISY_E10value_typeET2_T3_PNSZ_IS14_E10value_typeET4_jRbjT5_S1A_jjP12ihipStream_tbEUljE_EEESV_SW_SX_S14_S18_S1A_T6_T7_T9_mT8_S1C_bDpT10_ENKUlT_T0_E_clISt17integral_constantIbLb1EES1O_IbLb0EEEEDaS1K_S1L_EUlS1K_E_NS1_11comp_targetILNS1_3genE8ELNS1_11target_archE1030ELNS1_3gpuE2ELNS1_3repE0EEENS1_30default_config_static_selectorELNS0_4arch9wavefront6targetE1EEEvSY_
; %bb.0:
	.section	.rodata,"a",@progbits
	.p2align	6, 0x0
	.amdhsa_kernel _ZN7rocprim17ROCPRIM_400000_NS6detail17trampoline_kernelINS0_13select_configILj256ELj13ELNS0_17block_load_methodE3ELS4_3ELS4_3ELNS0_20block_scan_algorithmE0ELj4294967295EEENS1_25partition_config_selectorILNS1_17partition_subalgoE3EjNS0_10empty_typeEbEEZZNS1_14partition_implILS8_3ELb0ES6_jNS0_17counting_iteratorIjlEEPS9_SE_NS0_5tupleIJPjSE_EEENSF_IJSE_SE_EEES9_SG_JZNS1_25segmented_radix_sort_implINS0_14default_configELb1EPKiPiPKlPlN2at6native12_GLOBAL__N_18offset_tEEE10hipError_tPvRmT1_PNSt15iterator_traitsISY_E10value_typeET2_T3_PNSZ_IS14_E10value_typeET4_jRbjT5_S1A_jjP12ihipStream_tbEUljE_EEESV_SW_SX_S14_S18_S1A_T6_T7_T9_mT8_S1C_bDpT10_ENKUlT_T0_E_clISt17integral_constantIbLb1EES1O_IbLb0EEEEDaS1K_S1L_EUlS1K_E_NS1_11comp_targetILNS1_3genE8ELNS1_11target_archE1030ELNS1_3gpuE2ELNS1_3repE0EEENS1_30default_config_static_selectorELNS0_4arch9wavefront6targetE1EEEvSY_
		.amdhsa_group_segment_fixed_size 0
		.amdhsa_private_segment_fixed_size 0
		.amdhsa_kernarg_size 144
		.amdhsa_user_sgpr_count 6
		.amdhsa_user_sgpr_private_segment_buffer 1
		.amdhsa_user_sgpr_dispatch_ptr 0
		.amdhsa_user_sgpr_queue_ptr 0
		.amdhsa_user_sgpr_kernarg_segment_ptr 1
		.amdhsa_user_sgpr_dispatch_id 0
		.amdhsa_user_sgpr_flat_scratch_init 0
		.amdhsa_user_sgpr_private_segment_size 0
		.amdhsa_uses_dynamic_stack 0
		.amdhsa_system_sgpr_private_segment_wavefront_offset 0
		.amdhsa_system_sgpr_workgroup_id_x 1
		.amdhsa_system_sgpr_workgroup_id_y 0
		.amdhsa_system_sgpr_workgroup_id_z 0
		.amdhsa_system_sgpr_workgroup_info 0
		.amdhsa_system_vgpr_workitem_id 0
		.amdhsa_next_free_vgpr 1
		.amdhsa_next_free_sgpr 0
		.amdhsa_reserve_vcc 0
		.amdhsa_reserve_flat_scratch 0
		.amdhsa_float_round_mode_32 0
		.amdhsa_float_round_mode_16_64 0
		.amdhsa_float_denorm_mode_32 3
		.amdhsa_float_denorm_mode_16_64 3
		.amdhsa_dx10_clamp 1
		.amdhsa_ieee_mode 1
		.amdhsa_fp16_overflow 0
		.amdhsa_exception_fp_ieee_invalid_op 0
		.amdhsa_exception_fp_denorm_src 0
		.amdhsa_exception_fp_ieee_div_zero 0
		.amdhsa_exception_fp_ieee_overflow 0
		.amdhsa_exception_fp_ieee_underflow 0
		.amdhsa_exception_fp_ieee_inexact 0
		.amdhsa_exception_int_div_zero 0
	.end_amdhsa_kernel
	.section	.text._ZN7rocprim17ROCPRIM_400000_NS6detail17trampoline_kernelINS0_13select_configILj256ELj13ELNS0_17block_load_methodE3ELS4_3ELS4_3ELNS0_20block_scan_algorithmE0ELj4294967295EEENS1_25partition_config_selectorILNS1_17partition_subalgoE3EjNS0_10empty_typeEbEEZZNS1_14partition_implILS8_3ELb0ES6_jNS0_17counting_iteratorIjlEEPS9_SE_NS0_5tupleIJPjSE_EEENSF_IJSE_SE_EEES9_SG_JZNS1_25segmented_radix_sort_implINS0_14default_configELb1EPKiPiPKlPlN2at6native12_GLOBAL__N_18offset_tEEE10hipError_tPvRmT1_PNSt15iterator_traitsISY_E10value_typeET2_T3_PNSZ_IS14_E10value_typeET4_jRbjT5_S1A_jjP12ihipStream_tbEUljE_EEESV_SW_SX_S14_S18_S1A_T6_T7_T9_mT8_S1C_bDpT10_ENKUlT_T0_E_clISt17integral_constantIbLb1EES1O_IbLb0EEEEDaS1K_S1L_EUlS1K_E_NS1_11comp_targetILNS1_3genE8ELNS1_11target_archE1030ELNS1_3gpuE2ELNS1_3repE0EEENS1_30default_config_static_selectorELNS0_4arch9wavefront6targetE1EEEvSY_,"axG",@progbits,_ZN7rocprim17ROCPRIM_400000_NS6detail17trampoline_kernelINS0_13select_configILj256ELj13ELNS0_17block_load_methodE3ELS4_3ELS4_3ELNS0_20block_scan_algorithmE0ELj4294967295EEENS1_25partition_config_selectorILNS1_17partition_subalgoE3EjNS0_10empty_typeEbEEZZNS1_14partition_implILS8_3ELb0ES6_jNS0_17counting_iteratorIjlEEPS9_SE_NS0_5tupleIJPjSE_EEENSF_IJSE_SE_EEES9_SG_JZNS1_25segmented_radix_sort_implINS0_14default_configELb1EPKiPiPKlPlN2at6native12_GLOBAL__N_18offset_tEEE10hipError_tPvRmT1_PNSt15iterator_traitsISY_E10value_typeET2_T3_PNSZ_IS14_E10value_typeET4_jRbjT5_S1A_jjP12ihipStream_tbEUljE_EEESV_SW_SX_S14_S18_S1A_T6_T7_T9_mT8_S1C_bDpT10_ENKUlT_T0_E_clISt17integral_constantIbLb1EES1O_IbLb0EEEEDaS1K_S1L_EUlS1K_E_NS1_11comp_targetILNS1_3genE8ELNS1_11target_archE1030ELNS1_3gpuE2ELNS1_3repE0EEENS1_30default_config_static_selectorELNS0_4arch9wavefront6targetE1EEEvSY_,comdat
.Lfunc_end488:
	.size	_ZN7rocprim17ROCPRIM_400000_NS6detail17trampoline_kernelINS0_13select_configILj256ELj13ELNS0_17block_load_methodE3ELS4_3ELS4_3ELNS0_20block_scan_algorithmE0ELj4294967295EEENS1_25partition_config_selectorILNS1_17partition_subalgoE3EjNS0_10empty_typeEbEEZZNS1_14partition_implILS8_3ELb0ES6_jNS0_17counting_iteratorIjlEEPS9_SE_NS0_5tupleIJPjSE_EEENSF_IJSE_SE_EEES9_SG_JZNS1_25segmented_radix_sort_implINS0_14default_configELb1EPKiPiPKlPlN2at6native12_GLOBAL__N_18offset_tEEE10hipError_tPvRmT1_PNSt15iterator_traitsISY_E10value_typeET2_T3_PNSZ_IS14_E10value_typeET4_jRbjT5_S1A_jjP12ihipStream_tbEUljE_EEESV_SW_SX_S14_S18_S1A_T6_T7_T9_mT8_S1C_bDpT10_ENKUlT_T0_E_clISt17integral_constantIbLb1EES1O_IbLb0EEEEDaS1K_S1L_EUlS1K_E_NS1_11comp_targetILNS1_3genE8ELNS1_11target_archE1030ELNS1_3gpuE2ELNS1_3repE0EEENS1_30default_config_static_selectorELNS0_4arch9wavefront6targetE1EEEvSY_, .Lfunc_end488-_ZN7rocprim17ROCPRIM_400000_NS6detail17trampoline_kernelINS0_13select_configILj256ELj13ELNS0_17block_load_methodE3ELS4_3ELS4_3ELNS0_20block_scan_algorithmE0ELj4294967295EEENS1_25partition_config_selectorILNS1_17partition_subalgoE3EjNS0_10empty_typeEbEEZZNS1_14partition_implILS8_3ELb0ES6_jNS0_17counting_iteratorIjlEEPS9_SE_NS0_5tupleIJPjSE_EEENSF_IJSE_SE_EEES9_SG_JZNS1_25segmented_radix_sort_implINS0_14default_configELb1EPKiPiPKlPlN2at6native12_GLOBAL__N_18offset_tEEE10hipError_tPvRmT1_PNSt15iterator_traitsISY_E10value_typeET2_T3_PNSZ_IS14_E10value_typeET4_jRbjT5_S1A_jjP12ihipStream_tbEUljE_EEESV_SW_SX_S14_S18_S1A_T6_T7_T9_mT8_S1C_bDpT10_ENKUlT_T0_E_clISt17integral_constantIbLb1EES1O_IbLb0EEEEDaS1K_S1L_EUlS1K_E_NS1_11comp_targetILNS1_3genE8ELNS1_11target_archE1030ELNS1_3gpuE2ELNS1_3repE0EEENS1_30default_config_static_selectorELNS0_4arch9wavefront6targetE1EEEvSY_
                                        ; -- End function
	.set _ZN7rocprim17ROCPRIM_400000_NS6detail17trampoline_kernelINS0_13select_configILj256ELj13ELNS0_17block_load_methodE3ELS4_3ELS4_3ELNS0_20block_scan_algorithmE0ELj4294967295EEENS1_25partition_config_selectorILNS1_17partition_subalgoE3EjNS0_10empty_typeEbEEZZNS1_14partition_implILS8_3ELb0ES6_jNS0_17counting_iteratorIjlEEPS9_SE_NS0_5tupleIJPjSE_EEENSF_IJSE_SE_EEES9_SG_JZNS1_25segmented_radix_sort_implINS0_14default_configELb1EPKiPiPKlPlN2at6native12_GLOBAL__N_18offset_tEEE10hipError_tPvRmT1_PNSt15iterator_traitsISY_E10value_typeET2_T3_PNSZ_IS14_E10value_typeET4_jRbjT5_S1A_jjP12ihipStream_tbEUljE_EEESV_SW_SX_S14_S18_S1A_T6_T7_T9_mT8_S1C_bDpT10_ENKUlT_T0_E_clISt17integral_constantIbLb1EES1O_IbLb0EEEEDaS1K_S1L_EUlS1K_E_NS1_11comp_targetILNS1_3genE8ELNS1_11target_archE1030ELNS1_3gpuE2ELNS1_3repE0EEENS1_30default_config_static_selectorELNS0_4arch9wavefront6targetE1EEEvSY_.num_vgpr, 0
	.set _ZN7rocprim17ROCPRIM_400000_NS6detail17trampoline_kernelINS0_13select_configILj256ELj13ELNS0_17block_load_methodE3ELS4_3ELS4_3ELNS0_20block_scan_algorithmE0ELj4294967295EEENS1_25partition_config_selectorILNS1_17partition_subalgoE3EjNS0_10empty_typeEbEEZZNS1_14partition_implILS8_3ELb0ES6_jNS0_17counting_iteratorIjlEEPS9_SE_NS0_5tupleIJPjSE_EEENSF_IJSE_SE_EEES9_SG_JZNS1_25segmented_radix_sort_implINS0_14default_configELb1EPKiPiPKlPlN2at6native12_GLOBAL__N_18offset_tEEE10hipError_tPvRmT1_PNSt15iterator_traitsISY_E10value_typeET2_T3_PNSZ_IS14_E10value_typeET4_jRbjT5_S1A_jjP12ihipStream_tbEUljE_EEESV_SW_SX_S14_S18_S1A_T6_T7_T9_mT8_S1C_bDpT10_ENKUlT_T0_E_clISt17integral_constantIbLb1EES1O_IbLb0EEEEDaS1K_S1L_EUlS1K_E_NS1_11comp_targetILNS1_3genE8ELNS1_11target_archE1030ELNS1_3gpuE2ELNS1_3repE0EEENS1_30default_config_static_selectorELNS0_4arch9wavefront6targetE1EEEvSY_.num_agpr, 0
	.set _ZN7rocprim17ROCPRIM_400000_NS6detail17trampoline_kernelINS0_13select_configILj256ELj13ELNS0_17block_load_methodE3ELS4_3ELS4_3ELNS0_20block_scan_algorithmE0ELj4294967295EEENS1_25partition_config_selectorILNS1_17partition_subalgoE3EjNS0_10empty_typeEbEEZZNS1_14partition_implILS8_3ELb0ES6_jNS0_17counting_iteratorIjlEEPS9_SE_NS0_5tupleIJPjSE_EEENSF_IJSE_SE_EEES9_SG_JZNS1_25segmented_radix_sort_implINS0_14default_configELb1EPKiPiPKlPlN2at6native12_GLOBAL__N_18offset_tEEE10hipError_tPvRmT1_PNSt15iterator_traitsISY_E10value_typeET2_T3_PNSZ_IS14_E10value_typeET4_jRbjT5_S1A_jjP12ihipStream_tbEUljE_EEESV_SW_SX_S14_S18_S1A_T6_T7_T9_mT8_S1C_bDpT10_ENKUlT_T0_E_clISt17integral_constantIbLb1EES1O_IbLb0EEEEDaS1K_S1L_EUlS1K_E_NS1_11comp_targetILNS1_3genE8ELNS1_11target_archE1030ELNS1_3gpuE2ELNS1_3repE0EEENS1_30default_config_static_selectorELNS0_4arch9wavefront6targetE1EEEvSY_.numbered_sgpr, 0
	.set _ZN7rocprim17ROCPRIM_400000_NS6detail17trampoline_kernelINS0_13select_configILj256ELj13ELNS0_17block_load_methodE3ELS4_3ELS4_3ELNS0_20block_scan_algorithmE0ELj4294967295EEENS1_25partition_config_selectorILNS1_17partition_subalgoE3EjNS0_10empty_typeEbEEZZNS1_14partition_implILS8_3ELb0ES6_jNS0_17counting_iteratorIjlEEPS9_SE_NS0_5tupleIJPjSE_EEENSF_IJSE_SE_EEES9_SG_JZNS1_25segmented_radix_sort_implINS0_14default_configELb1EPKiPiPKlPlN2at6native12_GLOBAL__N_18offset_tEEE10hipError_tPvRmT1_PNSt15iterator_traitsISY_E10value_typeET2_T3_PNSZ_IS14_E10value_typeET4_jRbjT5_S1A_jjP12ihipStream_tbEUljE_EEESV_SW_SX_S14_S18_S1A_T6_T7_T9_mT8_S1C_bDpT10_ENKUlT_T0_E_clISt17integral_constantIbLb1EES1O_IbLb0EEEEDaS1K_S1L_EUlS1K_E_NS1_11comp_targetILNS1_3genE8ELNS1_11target_archE1030ELNS1_3gpuE2ELNS1_3repE0EEENS1_30default_config_static_selectorELNS0_4arch9wavefront6targetE1EEEvSY_.num_named_barrier, 0
	.set _ZN7rocprim17ROCPRIM_400000_NS6detail17trampoline_kernelINS0_13select_configILj256ELj13ELNS0_17block_load_methodE3ELS4_3ELS4_3ELNS0_20block_scan_algorithmE0ELj4294967295EEENS1_25partition_config_selectorILNS1_17partition_subalgoE3EjNS0_10empty_typeEbEEZZNS1_14partition_implILS8_3ELb0ES6_jNS0_17counting_iteratorIjlEEPS9_SE_NS0_5tupleIJPjSE_EEENSF_IJSE_SE_EEES9_SG_JZNS1_25segmented_radix_sort_implINS0_14default_configELb1EPKiPiPKlPlN2at6native12_GLOBAL__N_18offset_tEEE10hipError_tPvRmT1_PNSt15iterator_traitsISY_E10value_typeET2_T3_PNSZ_IS14_E10value_typeET4_jRbjT5_S1A_jjP12ihipStream_tbEUljE_EEESV_SW_SX_S14_S18_S1A_T6_T7_T9_mT8_S1C_bDpT10_ENKUlT_T0_E_clISt17integral_constantIbLb1EES1O_IbLb0EEEEDaS1K_S1L_EUlS1K_E_NS1_11comp_targetILNS1_3genE8ELNS1_11target_archE1030ELNS1_3gpuE2ELNS1_3repE0EEENS1_30default_config_static_selectorELNS0_4arch9wavefront6targetE1EEEvSY_.private_seg_size, 0
	.set _ZN7rocprim17ROCPRIM_400000_NS6detail17trampoline_kernelINS0_13select_configILj256ELj13ELNS0_17block_load_methodE3ELS4_3ELS4_3ELNS0_20block_scan_algorithmE0ELj4294967295EEENS1_25partition_config_selectorILNS1_17partition_subalgoE3EjNS0_10empty_typeEbEEZZNS1_14partition_implILS8_3ELb0ES6_jNS0_17counting_iteratorIjlEEPS9_SE_NS0_5tupleIJPjSE_EEENSF_IJSE_SE_EEES9_SG_JZNS1_25segmented_radix_sort_implINS0_14default_configELb1EPKiPiPKlPlN2at6native12_GLOBAL__N_18offset_tEEE10hipError_tPvRmT1_PNSt15iterator_traitsISY_E10value_typeET2_T3_PNSZ_IS14_E10value_typeET4_jRbjT5_S1A_jjP12ihipStream_tbEUljE_EEESV_SW_SX_S14_S18_S1A_T6_T7_T9_mT8_S1C_bDpT10_ENKUlT_T0_E_clISt17integral_constantIbLb1EES1O_IbLb0EEEEDaS1K_S1L_EUlS1K_E_NS1_11comp_targetILNS1_3genE8ELNS1_11target_archE1030ELNS1_3gpuE2ELNS1_3repE0EEENS1_30default_config_static_selectorELNS0_4arch9wavefront6targetE1EEEvSY_.uses_vcc, 0
	.set _ZN7rocprim17ROCPRIM_400000_NS6detail17trampoline_kernelINS0_13select_configILj256ELj13ELNS0_17block_load_methodE3ELS4_3ELS4_3ELNS0_20block_scan_algorithmE0ELj4294967295EEENS1_25partition_config_selectorILNS1_17partition_subalgoE3EjNS0_10empty_typeEbEEZZNS1_14partition_implILS8_3ELb0ES6_jNS0_17counting_iteratorIjlEEPS9_SE_NS0_5tupleIJPjSE_EEENSF_IJSE_SE_EEES9_SG_JZNS1_25segmented_radix_sort_implINS0_14default_configELb1EPKiPiPKlPlN2at6native12_GLOBAL__N_18offset_tEEE10hipError_tPvRmT1_PNSt15iterator_traitsISY_E10value_typeET2_T3_PNSZ_IS14_E10value_typeET4_jRbjT5_S1A_jjP12ihipStream_tbEUljE_EEESV_SW_SX_S14_S18_S1A_T6_T7_T9_mT8_S1C_bDpT10_ENKUlT_T0_E_clISt17integral_constantIbLb1EES1O_IbLb0EEEEDaS1K_S1L_EUlS1K_E_NS1_11comp_targetILNS1_3genE8ELNS1_11target_archE1030ELNS1_3gpuE2ELNS1_3repE0EEENS1_30default_config_static_selectorELNS0_4arch9wavefront6targetE1EEEvSY_.uses_flat_scratch, 0
	.set _ZN7rocprim17ROCPRIM_400000_NS6detail17trampoline_kernelINS0_13select_configILj256ELj13ELNS0_17block_load_methodE3ELS4_3ELS4_3ELNS0_20block_scan_algorithmE0ELj4294967295EEENS1_25partition_config_selectorILNS1_17partition_subalgoE3EjNS0_10empty_typeEbEEZZNS1_14partition_implILS8_3ELb0ES6_jNS0_17counting_iteratorIjlEEPS9_SE_NS0_5tupleIJPjSE_EEENSF_IJSE_SE_EEES9_SG_JZNS1_25segmented_radix_sort_implINS0_14default_configELb1EPKiPiPKlPlN2at6native12_GLOBAL__N_18offset_tEEE10hipError_tPvRmT1_PNSt15iterator_traitsISY_E10value_typeET2_T3_PNSZ_IS14_E10value_typeET4_jRbjT5_S1A_jjP12ihipStream_tbEUljE_EEESV_SW_SX_S14_S18_S1A_T6_T7_T9_mT8_S1C_bDpT10_ENKUlT_T0_E_clISt17integral_constantIbLb1EES1O_IbLb0EEEEDaS1K_S1L_EUlS1K_E_NS1_11comp_targetILNS1_3genE8ELNS1_11target_archE1030ELNS1_3gpuE2ELNS1_3repE0EEENS1_30default_config_static_selectorELNS0_4arch9wavefront6targetE1EEEvSY_.has_dyn_sized_stack, 0
	.set _ZN7rocprim17ROCPRIM_400000_NS6detail17trampoline_kernelINS0_13select_configILj256ELj13ELNS0_17block_load_methodE3ELS4_3ELS4_3ELNS0_20block_scan_algorithmE0ELj4294967295EEENS1_25partition_config_selectorILNS1_17partition_subalgoE3EjNS0_10empty_typeEbEEZZNS1_14partition_implILS8_3ELb0ES6_jNS0_17counting_iteratorIjlEEPS9_SE_NS0_5tupleIJPjSE_EEENSF_IJSE_SE_EEES9_SG_JZNS1_25segmented_radix_sort_implINS0_14default_configELb1EPKiPiPKlPlN2at6native12_GLOBAL__N_18offset_tEEE10hipError_tPvRmT1_PNSt15iterator_traitsISY_E10value_typeET2_T3_PNSZ_IS14_E10value_typeET4_jRbjT5_S1A_jjP12ihipStream_tbEUljE_EEESV_SW_SX_S14_S18_S1A_T6_T7_T9_mT8_S1C_bDpT10_ENKUlT_T0_E_clISt17integral_constantIbLb1EES1O_IbLb0EEEEDaS1K_S1L_EUlS1K_E_NS1_11comp_targetILNS1_3genE8ELNS1_11target_archE1030ELNS1_3gpuE2ELNS1_3repE0EEENS1_30default_config_static_selectorELNS0_4arch9wavefront6targetE1EEEvSY_.has_recursion, 0
	.set _ZN7rocprim17ROCPRIM_400000_NS6detail17trampoline_kernelINS0_13select_configILj256ELj13ELNS0_17block_load_methodE3ELS4_3ELS4_3ELNS0_20block_scan_algorithmE0ELj4294967295EEENS1_25partition_config_selectorILNS1_17partition_subalgoE3EjNS0_10empty_typeEbEEZZNS1_14partition_implILS8_3ELb0ES6_jNS0_17counting_iteratorIjlEEPS9_SE_NS0_5tupleIJPjSE_EEENSF_IJSE_SE_EEES9_SG_JZNS1_25segmented_radix_sort_implINS0_14default_configELb1EPKiPiPKlPlN2at6native12_GLOBAL__N_18offset_tEEE10hipError_tPvRmT1_PNSt15iterator_traitsISY_E10value_typeET2_T3_PNSZ_IS14_E10value_typeET4_jRbjT5_S1A_jjP12ihipStream_tbEUljE_EEESV_SW_SX_S14_S18_S1A_T6_T7_T9_mT8_S1C_bDpT10_ENKUlT_T0_E_clISt17integral_constantIbLb1EES1O_IbLb0EEEEDaS1K_S1L_EUlS1K_E_NS1_11comp_targetILNS1_3genE8ELNS1_11target_archE1030ELNS1_3gpuE2ELNS1_3repE0EEENS1_30default_config_static_selectorELNS0_4arch9wavefront6targetE1EEEvSY_.has_indirect_call, 0
	.section	.AMDGPU.csdata,"",@progbits
; Kernel info:
; codeLenInByte = 0
; TotalNumSgprs: 4
; NumVgprs: 0
; ScratchSize: 0
; MemoryBound: 0
; FloatMode: 240
; IeeeMode: 1
; LDSByteSize: 0 bytes/workgroup (compile time only)
; SGPRBlocks: 0
; VGPRBlocks: 0
; NumSGPRsForWavesPerEU: 4
; NumVGPRsForWavesPerEU: 1
; Occupancy: 10
; WaveLimiterHint : 0
; COMPUTE_PGM_RSRC2:SCRATCH_EN: 0
; COMPUTE_PGM_RSRC2:USER_SGPR: 6
; COMPUTE_PGM_RSRC2:TRAP_HANDLER: 0
; COMPUTE_PGM_RSRC2:TGID_X_EN: 1
; COMPUTE_PGM_RSRC2:TGID_Y_EN: 0
; COMPUTE_PGM_RSRC2:TGID_Z_EN: 0
; COMPUTE_PGM_RSRC2:TIDIG_COMP_CNT: 0
	.section	.text._ZN7rocprim17ROCPRIM_400000_NS6detail17trampoline_kernelINS0_13select_configILj256ELj13ELNS0_17block_load_methodE3ELS4_3ELS4_3ELNS0_20block_scan_algorithmE0ELj4294967295EEENS1_25partition_config_selectorILNS1_17partition_subalgoE3EjNS0_10empty_typeEbEEZZNS1_14partition_implILS8_3ELb0ES6_jNS0_17counting_iteratorIjlEEPS9_SE_NS0_5tupleIJPjSE_EEENSF_IJSE_SE_EEES9_SG_JZNS1_25segmented_radix_sort_implINS0_14default_configELb1EPKiPiPKlPlN2at6native12_GLOBAL__N_18offset_tEEE10hipError_tPvRmT1_PNSt15iterator_traitsISY_E10value_typeET2_T3_PNSZ_IS14_E10value_typeET4_jRbjT5_S1A_jjP12ihipStream_tbEUljE_EEESV_SW_SX_S14_S18_S1A_T6_T7_T9_mT8_S1C_bDpT10_ENKUlT_T0_E_clISt17integral_constantIbLb0EES1O_IbLb1EEEEDaS1K_S1L_EUlS1K_E_NS1_11comp_targetILNS1_3genE0ELNS1_11target_archE4294967295ELNS1_3gpuE0ELNS1_3repE0EEENS1_30default_config_static_selectorELNS0_4arch9wavefront6targetE1EEEvSY_,"axG",@progbits,_ZN7rocprim17ROCPRIM_400000_NS6detail17trampoline_kernelINS0_13select_configILj256ELj13ELNS0_17block_load_methodE3ELS4_3ELS4_3ELNS0_20block_scan_algorithmE0ELj4294967295EEENS1_25partition_config_selectorILNS1_17partition_subalgoE3EjNS0_10empty_typeEbEEZZNS1_14partition_implILS8_3ELb0ES6_jNS0_17counting_iteratorIjlEEPS9_SE_NS0_5tupleIJPjSE_EEENSF_IJSE_SE_EEES9_SG_JZNS1_25segmented_radix_sort_implINS0_14default_configELb1EPKiPiPKlPlN2at6native12_GLOBAL__N_18offset_tEEE10hipError_tPvRmT1_PNSt15iterator_traitsISY_E10value_typeET2_T3_PNSZ_IS14_E10value_typeET4_jRbjT5_S1A_jjP12ihipStream_tbEUljE_EEESV_SW_SX_S14_S18_S1A_T6_T7_T9_mT8_S1C_bDpT10_ENKUlT_T0_E_clISt17integral_constantIbLb0EES1O_IbLb1EEEEDaS1K_S1L_EUlS1K_E_NS1_11comp_targetILNS1_3genE0ELNS1_11target_archE4294967295ELNS1_3gpuE0ELNS1_3repE0EEENS1_30default_config_static_selectorELNS0_4arch9wavefront6targetE1EEEvSY_,comdat
	.globl	_ZN7rocprim17ROCPRIM_400000_NS6detail17trampoline_kernelINS0_13select_configILj256ELj13ELNS0_17block_load_methodE3ELS4_3ELS4_3ELNS0_20block_scan_algorithmE0ELj4294967295EEENS1_25partition_config_selectorILNS1_17partition_subalgoE3EjNS0_10empty_typeEbEEZZNS1_14partition_implILS8_3ELb0ES6_jNS0_17counting_iteratorIjlEEPS9_SE_NS0_5tupleIJPjSE_EEENSF_IJSE_SE_EEES9_SG_JZNS1_25segmented_radix_sort_implINS0_14default_configELb1EPKiPiPKlPlN2at6native12_GLOBAL__N_18offset_tEEE10hipError_tPvRmT1_PNSt15iterator_traitsISY_E10value_typeET2_T3_PNSZ_IS14_E10value_typeET4_jRbjT5_S1A_jjP12ihipStream_tbEUljE_EEESV_SW_SX_S14_S18_S1A_T6_T7_T9_mT8_S1C_bDpT10_ENKUlT_T0_E_clISt17integral_constantIbLb0EES1O_IbLb1EEEEDaS1K_S1L_EUlS1K_E_NS1_11comp_targetILNS1_3genE0ELNS1_11target_archE4294967295ELNS1_3gpuE0ELNS1_3repE0EEENS1_30default_config_static_selectorELNS0_4arch9wavefront6targetE1EEEvSY_ ; -- Begin function _ZN7rocprim17ROCPRIM_400000_NS6detail17trampoline_kernelINS0_13select_configILj256ELj13ELNS0_17block_load_methodE3ELS4_3ELS4_3ELNS0_20block_scan_algorithmE0ELj4294967295EEENS1_25partition_config_selectorILNS1_17partition_subalgoE3EjNS0_10empty_typeEbEEZZNS1_14partition_implILS8_3ELb0ES6_jNS0_17counting_iteratorIjlEEPS9_SE_NS0_5tupleIJPjSE_EEENSF_IJSE_SE_EEES9_SG_JZNS1_25segmented_radix_sort_implINS0_14default_configELb1EPKiPiPKlPlN2at6native12_GLOBAL__N_18offset_tEEE10hipError_tPvRmT1_PNSt15iterator_traitsISY_E10value_typeET2_T3_PNSZ_IS14_E10value_typeET4_jRbjT5_S1A_jjP12ihipStream_tbEUljE_EEESV_SW_SX_S14_S18_S1A_T6_T7_T9_mT8_S1C_bDpT10_ENKUlT_T0_E_clISt17integral_constantIbLb0EES1O_IbLb1EEEEDaS1K_S1L_EUlS1K_E_NS1_11comp_targetILNS1_3genE0ELNS1_11target_archE4294967295ELNS1_3gpuE0ELNS1_3repE0EEENS1_30default_config_static_selectorELNS0_4arch9wavefront6targetE1EEEvSY_
	.p2align	8
	.type	_ZN7rocprim17ROCPRIM_400000_NS6detail17trampoline_kernelINS0_13select_configILj256ELj13ELNS0_17block_load_methodE3ELS4_3ELS4_3ELNS0_20block_scan_algorithmE0ELj4294967295EEENS1_25partition_config_selectorILNS1_17partition_subalgoE3EjNS0_10empty_typeEbEEZZNS1_14partition_implILS8_3ELb0ES6_jNS0_17counting_iteratorIjlEEPS9_SE_NS0_5tupleIJPjSE_EEENSF_IJSE_SE_EEES9_SG_JZNS1_25segmented_radix_sort_implINS0_14default_configELb1EPKiPiPKlPlN2at6native12_GLOBAL__N_18offset_tEEE10hipError_tPvRmT1_PNSt15iterator_traitsISY_E10value_typeET2_T3_PNSZ_IS14_E10value_typeET4_jRbjT5_S1A_jjP12ihipStream_tbEUljE_EEESV_SW_SX_S14_S18_S1A_T6_T7_T9_mT8_S1C_bDpT10_ENKUlT_T0_E_clISt17integral_constantIbLb0EES1O_IbLb1EEEEDaS1K_S1L_EUlS1K_E_NS1_11comp_targetILNS1_3genE0ELNS1_11target_archE4294967295ELNS1_3gpuE0ELNS1_3repE0EEENS1_30default_config_static_selectorELNS0_4arch9wavefront6targetE1EEEvSY_,@function
_ZN7rocprim17ROCPRIM_400000_NS6detail17trampoline_kernelINS0_13select_configILj256ELj13ELNS0_17block_load_methodE3ELS4_3ELS4_3ELNS0_20block_scan_algorithmE0ELj4294967295EEENS1_25partition_config_selectorILNS1_17partition_subalgoE3EjNS0_10empty_typeEbEEZZNS1_14partition_implILS8_3ELb0ES6_jNS0_17counting_iteratorIjlEEPS9_SE_NS0_5tupleIJPjSE_EEENSF_IJSE_SE_EEES9_SG_JZNS1_25segmented_radix_sort_implINS0_14default_configELb1EPKiPiPKlPlN2at6native12_GLOBAL__N_18offset_tEEE10hipError_tPvRmT1_PNSt15iterator_traitsISY_E10value_typeET2_T3_PNSZ_IS14_E10value_typeET4_jRbjT5_S1A_jjP12ihipStream_tbEUljE_EEESV_SW_SX_S14_S18_S1A_T6_T7_T9_mT8_S1C_bDpT10_ENKUlT_T0_E_clISt17integral_constantIbLb0EES1O_IbLb1EEEEDaS1K_S1L_EUlS1K_E_NS1_11comp_targetILNS1_3genE0ELNS1_11target_archE4294967295ELNS1_3gpuE0ELNS1_3repE0EEENS1_30default_config_static_selectorELNS0_4arch9wavefront6targetE1EEEvSY_: ; @_ZN7rocprim17ROCPRIM_400000_NS6detail17trampoline_kernelINS0_13select_configILj256ELj13ELNS0_17block_load_methodE3ELS4_3ELS4_3ELNS0_20block_scan_algorithmE0ELj4294967295EEENS1_25partition_config_selectorILNS1_17partition_subalgoE3EjNS0_10empty_typeEbEEZZNS1_14partition_implILS8_3ELb0ES6_jNS0_17counting_iteratorIjlEEPS9_SE_NS0_5tupleIJPjSE_EEENSF_IJSE_SE_EEES9_SG_JZNS1_25segmented_radix_sort_implINS0_14default_configELb1EPKiPiPKlPlN2at6native12_GLOBAL__N_18offset_tEEE10hipError_tPvRmT1_PNSt15iterator_traitsISY_E10value_typeET2_T3_PNSZ_IS14_E10value_typeET4_jRbjT5_S1A_jjP12ihipStream_tbEUljE_EEESV_SW_SX_S14_S18_S1A_T6_T7_T9_mT8_S1C_bDpT10_ENKUlT_T0_E_clISt17integral_constantIbLb0EES1O_IbLb1EEEEDaS1K_S1L_EUlS1K_E_NS1_11comp_targetILNS1_3genE0ELNS1_11target_archE4294967295ELNS1_3gpuE0ELNS1_3repE0EEENS1_30default_config_static_selectorELNS0_4arch9wavefront6targetE1EEEvSY_
; %bb.0:
	.section	.rodata,"a",@progbits
	.p2align	6, 0x0
	.amdhsa_kernel _ZN7rocprim17ROCPRIM_400000_NS6detail17trampoline_kernelINS0_13select_configILj256ELj13ELNS0_17block_load_methodE3ELS4_3ELS4_3ELNS0_20block_scan_algorithmE0ELj4294967295EEENS1_25partition_config_selectorILNS1_17partition_subalgoE3EjNS0_10empty_typeEbEEZZNS1_14partition_implILS8_3ELb0ES6_jNS0_17counting_iteratorIjlEEPS9_SE_NS0_5tupleIJPjSE_EEENSF_IJSE_SE_EEES9_SG_JZNS1_25segmented_radix_sort_implINS0_14default_configELb1EPKiPiPKlPlN2at6native12_GLOBAL__N_18offset_tEEE10hipError_tPvRmT1_PNSt15iterator_traitsISY_E10value_typeET2_T3_PNSZ_IS14_E10value_typeET4_jRbjT5_S1A_jjP12ihipStream_tbEUljE_EEESV_SW_SX_S14_S18_S1A_T6_T7_T9_mT8_S1C_bDpT10_ENKUlT_T0_E_clISt17integral_constantIbLb0EES1O_IbLb1EEEEDaS1K_S1L_EUlS1K_E_NS1_11comp_targetILNS1_3genE0ELNS1_11target_archE4294967295ELNS1_3gpuE0ELNS1_3repE0EEENS1_30default_config_static_selectorELNS0_4arch9wavefront6targetE1EEEvSY_
		.amdhsa_group_segment_fixed_size 0
		.amdhsa_private_segment_fixed_size 0
		.amdhsa_kernarg_size 152
		.amdhsa_user_sgpr_count 6
		.amdhsa_user_sgpr_private_segment_buffer 1
		.amdhsa_user_sgpr_dispatch_ptr 0
		.amdhsa_user_sgpr_queue_ptr 0
		.amdhsa_user_sgpr_kernarg_segment_ptr 1
		.amdhsa_user_sgpr_dispatch_id 0
		.amdhsa_user_sgpr_flat_scratch_init 0
		.amdhsa_user_sgpr_private_segment_size 0
		.amdhsa_uses_dynamic_stack 0
		.amdhsa_system_sgpr_private_segment_wavefront_offset 0
		.amdhsa_system_sgpr_workgroup_id_x 1
		.amdhsa_system_sgpr_workgroup_id_y 0
		.amdhsa_system_sgpr_workgroup_id_z 0
		.amdhsa_system_sgpr_workgroup_info 0
		.amdhsa_system_vgpr_workitem_id 0
		.amdhsa_next_free_vgpr 1
		.amdhsa_next_free_sgpr 0
		.amdhsa_reserve_vcc 0
		.amdhsa_reserve_flat_scratch 0
		.amdhsa_float_round_mode_32 0
		.amdhsa_float_round_mode_16_64 0
		.amdhsa_float_denorm_mode_32 3
		.amdhsa_float_denorm_mode_16_64 3
		.amdhsa_dx10_clamp 1
		.amdhsa_ieee_mode 1
		.amdhsa_fp16_overflow 0
		.amdhsa_exception_fp_ieee_invalid_op 0
		.amdhsa_exception_fp_denorm_src 0
		.amdhsa_exception_fp_ieee_div_zero 0
		.amdhsa_exception_fp_ieee_overflow 0
		.amdhsa_exception_fp_ieee_underflow 0
		.amdhsa_exception_fp_ieee_inexact 0
		.amdhsa_exception_int_div_zero 0
	.end_amdhsa_kernel
	.section	.text._ZN7rocprim17ROCPRIM_400000_NS6detail17trampoline_kernelINS0_13select_configILj256ELj13ELNS0_17block_load_methodE3ELS4_3ELS4_3ELNS0_20block_scan_algorithmE0ELj4294967295EEENS1_25partition_config_selectorILNS1_17partition_subalgoE3EjNS0_10empty_typeEbEEZZNS1_14partition_implILS8_3ELb0ES6_jNS0_17counting_iteratorIjlEEPS9_SE_NS0_5tupleIJPjSE_EEENSF_IJSE_SE_EEES9_SG_JZNS1_25segmented_radix_sort_implINS0_14default_configELb1EPKiPiPKlPlN2at6native12_GLOBAL__N_18offset_tEEE10hipError_tPvRmT1_PNSt15iterator_traitsISY_E10value_typeET2_T3_PNSZ_IS14_E10value_typeET4_jRbjT5_S1A_jjP12ihipStream_tbEUljE_EEESV_SW_SX_S14_S18_S1A_T6_T7_T9_mT8_S1C_bDpT10_ENKUlT_T0_E_clISt17integral_constantIbLb0EES1O_IbLb1EEEEDaS1K_S1L_EUlS1K_E_NS1_11comp_targetILNS1_3genE0ELNS1_11target_archE4294967295ELNS1_3gpuE0ELNS1_3repE0EEENS1_30default_config_static_selectorELNS0_4arch9wavefront6targetE1EEEvSY_,"axG",@progbits,_ZN7rocprim17ROCPRIM_400000_NS6detail17trampoline_kernelINS0_13select_configILj256ELj13ELNS0_17block_load_methodE3ELS4_3ELS4_3ELNS0_20block_scan_algorithmE0ELj4294967295EEENS1_25partition_config_selectorILNS1_17partition_subalgoE3EjNS0_10empty_typeEbEEZZNS1_14partition_implILS8_3ELb0ES6_jNS0_17counting_iteratorIjlEEPS9_SE_NS0_5tupleIJPjSE_EEENSF_IJSE_SE_EEES9_SG_JZNS1_25segmented_radix_sort_implINS0_14default_configELb1EPKiPiPKlPlN2at6native12_GLOBAL__N_18offset_tEEE10hipError_tPvRmT1_PNSt15iterator_traitsISY_E10value_typeET2_T3_PNSZ_IS14_E10value_typeET4_jRbjT5_S1A_jjP12ihipStream_tbEUljE_EEESV_SW_SX_S14_S18_S1A_T6_T7_T9_mT8_S1C_bDpT10_ENKUlT_T0_E_clISt17integral_constantIbLb0EES1O_IbLb1EEEEDaS1K_S1L_EUlS1K_E_NS1_11comp_targetILNS1_3genE0ELNS1_11target_archE4294967295ELNS1_3gpuE0ELNS1_3repE0EEENS1_30default_config_static_selectorELNS0_4arch9wavefront6targetE1EEEvSY_,comdat
.Lfunc_end489:
	.size	_ZN7rocprim17ROCPRIM_400000_NS6detail17trampoline_kernelINS0_13select_configILj256ELj13ELNS0_17block_load_methodE3ELS4_3ELS4_3ELNS0_20block_scan_algorithmE0ELj4294967295EEENS1_25partition_config_selectorILNS1_17partition_subalgoE3EjNS0_10empty_typeEbEEZZNS1_14partition_implILS8_3ELb0ES6_jNS0_17counting_iteratorIjlEEPS9_SE_NS0_5tupleIJPjSE_EEENSF_IJSE_SE_EEES9_SG_JZNS1_25segmented_radix_sort_implINS0_14default_configELb1EPKiPiPKlPlN2at6native12_GLOBAL__N_18offset_tEEE10hipError_tPvRmT1_PNSt15iterator_traitsISY_E10value_typeET2_T3_PNSZ_IS14_E10value_typeET4_jRbjT5_S1A_jjP12ihipStream_tbEUljE_EEESV_SW_SX_S14_S18_S1A_T6_T7_T9_mT8_S1C_bDpT10_ENKUlT_T0_E_clISt17integral_constantIbLb0EES1O_IbLb1EEEEDaS1K_S1L_EUlS1K_E_NS1_11comp_targetILNS1_3genE0ELNS1_11target_archE4294967295ELNS1_3gpuE0ELNS1_3repE0EEENS1_30default_config_static_selectorELNS0_4arch9wavefront6targetE1EEEvSY_, .Lfunc_end489-_ZN7rocprim17ROCPRIM_400000_NS6detail17trampoline_kernelINS0_13select_configILj256ELj13ELNS0_17block_load_methodE3ELS4_3ELS4_3ELNS0_20block_scan_algorithmE0ELj4294967295EEENS1_25partition_config_selectorILNS1_17partition_subalgoE3EjNS0_10empty_typeEbEEZZNS1_14partition_implILS8_3ELb0ES6_jNS0_17counting_iteratorIjlEEPS9_SE_NS0_5tupleIJPjSE_EEENSF_IJSE_SE_EEES9_SG_JZNS1_25segmented_radix_sort_implINS0_14default_configELb1EPKiPiPKlPlN2at6native12_GLOBAL__N_18offset_tEEE10hipError_tPvRmT1_PNSt15iterator_traitsISY_E10value_typeET2_T3_PNSZ_IS14_E10value_typeET4_jRbjT5_S1A_jjP12ihipStream_tbEUljE_EEESV_SW_SX_S14_S18_S1A_T6_T7_T9_mT8_S1C_bDpT10_ENKUlT_T0_E_clISt17integral_constantIbLb0EES1O_IbLb1EEEEDaS1K_S1L_EUlS1K_E_NS1_11comp_targetILNS1_3genE0ELNS1_11target_archE4294967295ELNS1_3gpuE0ELNS1_3repE0EEENS1_30default_config_static_selectorELNS0_4arch9wavefront6targetE1EEEvSY_
                                        ; -- End function
	.set _ZN7rocprim17ROCPRIM_400000_NS6detail17trampoline_kernelINS0_13select_configILj256ELj13ELNS0_17block_load_methodE3ELS4_3ELS4_3ELNS0_20block_scan_algorithmE0ELj4294967295EEENS1_25partition_config_selectorILNS1_17partition_subalgoE3EjNS0_10empty_typeEbEEZZNS1_14partition_implILS8_3ELb0ES6_jNS0_17counting_iteratorIjlEEPS9_SE_NS0_5tupleIJPjSE_EEENSF_IJSE_SE_EEES9_SG_JZNS1_25segmented_radix_sort_implINS0_14default_configELb1EPKiPiPKlPlN2at6native12_GLOBAL__N_18offset_tEEE10hipError_tPvRmT1_PNSt15iterator_traitsISY_E10value_typeET2_T3_PNSZ_IS14_E10value_typeET4_jRbjT5_S1A_jjP12ihipStream_tbEUljE_EEESV_SW_SX_S14_S18_S1A_T6_T7_T9_mT8_S1C_bDpT10_ENKUlT_T0_E_clISt17integral_constantIbLb0EES1O_IbLb1EEEEDaS1K_S1L_EUlS1K_E_NS1_11comp_targetILNS1_3genE0ELNS1_11target_archE4294967295ELNS1_3gpuE0ELNS1_3repE0EEENS1_30default_config_static_selectorELNS0_4arch9wavefront6targetE1EEEvSY_.num_vgpr, 0
	.set _ZN7rocprim17ROCPRIM_400000_NS6detail17trampoline_kernelINS0_13select_configILj256ELj13ELNS0_17block_load_methodE3ELS4_3ELS4_3ELNS0_20block_scan_algorithmE0ELj4294967295EEENS1_25partition_config_selectorILNS1_17partition_subalgoE3EjNS0_10empty_typeEbEEZZNS1_14partition_implILS8_3ELb0ES6_jNS0_17counting_iteratorIjlEEPS9_SE_NS0_5tupleIJPjSE_EEENSF_IJSE_SE_EEES9_SG_JZNS1_25segmented_radix_sort_implINS0_14default_configELb1EPKiPiPKlPlN2at6native12_GLOBAL__N_18offset_tEEE10hipError_tPvRmT1_PNSt15iterator_traitsISY_E10value_typeET2_T3_PNSZ_IS14_E10value_typeET4_jRbjT5_S1A_jjP12ihipStream_tbEUljE_EEESV_SW_SX_S14_S18_S1A_T6_T7_T9_mT8_S1C_bDpT10_ENKUlT_T0_E_clISt17integral_constantIbLb0EES1O_IbLb1EEEEDaS1K_S1L_EUlS1K_E_NS1_11comp_targetILNS1_3genE0ELNS1_11target_archE4294967295ELNS1_3gpuE0ELNS1_3repE0EEENS1_30default_config_static_selectorELNS0_4arch9wavefront6targetE1EEEvSY_.num_agpr, 0
	.set _ZN7rocprim17ROCPRIM_400000_NS6detail17trampoline_kernelINS0_13select_configILj256ELj13ELNS0_17block_load_methodE3ELS4_3ELS4_3ELNS0_20block_scan_algorithmE0ELj4294967295EEENS1_25partition_config_selectorILNS1_17partition_subalgoE3EjNS0_10empty_typeEbEEZZNS1_14partition_implILS8_3ELb0ES6_jNS0_17counting_iteratorIjlEEPS9_SE_NS0_5tupleIJPjSE_EEENSF_IJSE_SE_EEES9_SG_JZNS1_25segmented_radix_sort_implINS0_14default_configELb1EPKiPiPKlPlN2at6native12_GLOBAL__N_18offset_tEEE10hipError_tPvRmT1_PNSt15iterator_traitsISY_E10value_typeET2_T3_PNSZ_IS14_E10value_typeET4_jRbjT5_S1A_jjP12ihipStream_tbEUljE_EEESV_SW_SX_S14_S18_S1A_T6_T7_T9_mT8_S1C_bDpT10_ENKUlT_T0_E_clISt17integral_constantIbLb0EES1O_IbLb1EEEEDaS1K_S1L_EUlS1K_E_NS1_11comp_targetILNS1_3genE0ELNS1_11target_archE4294967295ELNS1_3gpuE0ELNS1_3repE0EEENS1_30default_config_static_selectorELNS0_4arch9wavefront6targetE1EEEvSY_.numbered_sgpr, 0
	.set _ZN7rocprim17ROCPRIM_400000_NS6detail17trampoline_kernelINS0_13select_configILj256ELj13ELNS0_17block_load_methodE3ELS4_3ELS4_3ELNS0_20block_scan_algorithmE0ELj4294967295EEENS1_25partition_config_selectorILNS1_17partition_subalgoE3EjNS0_10empty_typeEbEEZZNS1_14partition_implILS8_3ELb0ES6_jNS0_17counting_iteratorIjlEEPS9_SE_NS0_5tupleIJPjSE_EEENSF_IJSE_SE_EEES9_SG_JZNS1_25segmented_radix_sort_implINS0_14default_configELb1EPKiPiPKlPlN2at6native12_GLOBAL__N_18offset_tEEE10hipError_tPvRmT1_PNSt15iterator_traitsISY_E10value_typeET2_T3_PNSZ_IS14_E10value_typeET4_jRbjT5_S1A_jjP12ihipStream_tbEUljE_EEESV_SW_SX_S14_S18_S1A_T6_T7_T9_mT8_S1C_bDpT10_ENKUlT_T0_E_clISt17integral_constantIbLb0EES1O_IbLb1EEEEDaS1K_S1L_EUlS1K_E_NS1_11comp_targetILNS1_3genE0ELNS1_11target_archE4294967295ELNS1_3gpuE0ELNS1_3repE0EEENS1_30default_config_static_selectorELNS0_4arch9wavefront6targetE1EEEvSY_.num_named_barrier, 0
	.set _ZN7rocprim17ROCPRIM_400000_NS6detail17trampoline_kernelINS0_13select_configILj256ELj13ELNS0_17block_load_methodE3ELS4_3ELS4_3ELNS0_20block_scan_algorithmE0ELj4294967295EEENS1_25partition_config_selectorILNS1_17partition_subalgoE3EjNS0_10empty_typeEbEEZZNS1_14partition_implILS8_3ELb0ES6_jNS0_17counting_iteratorIjlEEPS9_SE_NS0_5tupleIJPjSE_EEENSF_IJSE_SE_EEES9_SG_JZNS1_25segmented_radix_sort_implINS0_14default_configELb1EPKiPiPKlPlN2at6native12_GLOBAL__N_18offset_tEEE10hipError_tPvRmT1_PNSt15iterator_traitsISY_E10value_typeET2_T3_PNSZ_IS14_E10value_typeET4_jRbjT5_S1A_jjP12ihipStream_tbEUljE_EEESV_SW_SX_S14_S18_S1A_T6_T7_T9_mT8_S1C_bDpT10_ENKUlT_T0_E_clISt17integral_constantIbLb0EES1O_IbLb1EEEEDaS1K_S1L_EUlS1K_E_NS1_11comp_targetILNS1_3genE0ELNS1_11target_archE4294967295ELNS1_3gpuE0ELNS1_3repE0EEENS1_30default_config_static_selectorELNS0_4arch9wavefront6targetE1EEEvSY_.private_seg_size, 0
	.set _ZN7rocprim17ROCPRIM_400000_NS6detail17trampoline_kernelINS0_13select_configILj256ELj13ELNS0_17block_load_methodE3ELS4_3ELS4_3ELNS0_20block_scan_algorithmE0ELj4294967295EEENS1_25partition_config_selectorILNS1_17partition_subalgoE3EjNS0_10empty_typeEbEEZZNS1_14partition_implILS8_3ELb0ES6_jNS0_17counting_iteratorIjlEEPS9_SE_NS0_5tupleIJPjSE_EEENSF_IJSE_SE_EEES9_SG_JZNS1_25segmented_radix_sort_implINS0_14default_configELb1EPKiPiPKlPlN2at6native12_GLOBAL__N_18offset_tEEE10hipError_tPvRmT1_PNSt15iterator_traitsISY_E10value_typeET2_T3_PNSZ_IS14_E10value_typeET4_jRbjT5_S1A_jjP12ihipStream_tbEUljE_EEESV_SW_SX_S14_S18_S1A_T6_T7_T9_mT8_S1C_bDpT10_ENKUlT_T0_E_clISt17integral_constantIbLb0EES1O_IbLb1EEEEDaS1K_S1L_EUlS1K_E_NS1_11comp_targetILNS1_3genE0ELNS1_11target_archE4294967295ELNS1_3gpuE0ELNS1_3repE0EEENS1_30default_config_static_selectorELNS0_4arch9wavefront6targetE1EEEvSY_.uses_vcc, 0
	.set _ZN7rocprim17ROCPRIM_400000_NS6detail17trampoline_kernelINS0_13select_configILj256ELj13ELNS0_17block_load_methodE3ELS4_3ELS4_3ELNS0_20block_scan_algorithmE0ELj4294967295EEENS1_25partition_config_selectorILNS1_17partition_subalgoE3EjNS0_10empty_typeEbEEZZNS1_14partition_implILS8_3ELb0ES6_jNS0_17counting_iteratorIjlEEPS9_SE_NS0_5tupleIJPjSE_EEENSF_IJSE_SE_EEES9_SG_JZNS1_25segmented_radix_sort_implINS0_14default_configELb1EPKiPiPKlPlN2at6native12_GLOBAL__N_18offset_tEEE10hipError_tPvRmT1_PNSt15iterator_traitsISY_E10value_typeET2_T3_PNSZ_IS14_E10value_typeET4_jRbjT5_S1A_jjP12ihipStream_tbEUljE_EEESV_SW_SX_S14_S18_S1A_T6_T7_T9_mT8_S1C_bDpT10_ENKUlT_T0_E_clISt17integral_constantIbLb0EES1O_IbLb1EEEEDaS1K_S1L_EUlS1K_E_NS1_11comp_targetILNS1_3genE0ELNS1_11target_archE4294967295ELNS1_3gpuE0ELNS1_3repE0EEENS1_30default_config_static_selectorELNS0_4arch9wavefront6targetE1EEEvSY_.uses_flat_scratch, 0
	.set _ZN7rocprim17ROCPRIM_400000_NS6detail17trampoline_kernelINS0_13select_configILj256ELj13ELNS0_17block_load_methodE3ELS4_3ELS4_3ELNS0_20block_scan_algorithmE0ELj4294967295EEENS1_25partition_config_selectorILNS1_17partition_subalgoE3EjNS0_10empty_typeEbEEZZNS1_14partition_implILS8_3ELb0ES6_jNS0_17counting_iteratorIjlEEPS9_SE_NS0_5tupleIJPjSE_EEENSF_IJSE_SE_EEES9_SG_JZNS1_25segmented_radix_sort_implINS0_14default_configELb1EPKiPiPKlPlN2at6native12_GLOBAL__N_18offset_tEEE10hipError_tPvRmT1_PNSt15iterator_traitsISY_E10value_typeET2_T3_PNSZ_IS14_E10value_typeET4_jRbjT5_S1A_jjP12ihipStream_tbEUljE_EEESV_SW_SX_S14_S18_S1A_T6_T7_T9_mT8_S1C_bDpT10_ENKUlT_T0_E_clISt17integral_constantIbLb0EES1O_IbLb1EEEEDaS1K_S1L_EUlS1K_E_NS1_11comp_targetILNS1_3genE0ELNS1_11target_archE4294967295ELNS1_3gpuE0ELNS1_3repE0EEENS1_30default_config_static_selectorELNS0_4arch9wavefront6targetE1EEEvSY_.has_dyn_sized_stack, 0
	.set _ZN7rocprim17ROCPRIM_400000_NS6detail17trampoline_kernelINS0_13select_configILj256ELj13ELNS0_17block_load_methodE3ELS4_3ELS4_3ELNS0_20block_scan_algorithmE0ELj4294967295EEENS1_25partition_config_selectorILNS1_17partition_subalgoE3EjNS0_10empty_typeEbEEZZNS1_14partition_implILS8_3ELb0ES6_jNS0_17counting_iteratorIjlEEPS9_SE_NS0_5tupleIJPjSE_EEENSF_IJSE_SE_EEES9_SG_JZNS1_25segmented_radix_sort_implINS0_14default_configELb1EPKiPiPKlPlN2at6native12_GLOBAL__N_18offset_tEEE10hipError_tPvRmT1_PNSt15iterator_traitsISY_E10value_typeET2_T3_PNSZ_IS14_E10value_typeET4_jRbjT5_S1A_jjP12ihipStream_tbEUljE_EEESV_SW_SX_S14_S18_S1A_T6_T7_T9_mT8_S1C_bDpT10_ENKUlT_T0_E_clISt17integral_constantIbLb0EES1O_IbLb1EEEEDaS1K_S1L_EUlS1K_E_NS1_11comp_targetILNS1_3genE0ELNS1_11target_archE4294967295ELNS1_3gpuE0ELNS1_3repE0EEENS1_30default_config_static_selectorELNS0_4arch9wavefront6targetE1EEEvSY_.has_recursion, 0
	.set _ZN7rocprim17ROCPRIM_400000_NS6detail17trampoline_kernelINS0_13select_configILj256ELj13ELNS0_17block_load_methodE3ELS4_3ELS4_3ELNS0_20block_scan_algorithmE0ELj4294967295EEENS1_25partition_config_selectorILNS1_17partition_subalgoE3EjNS0_10empty_typeEbEEZZNS1_14partition_implILS8_3ELb0ES6_jNS0_17counting_iteratorIjlEEPS9_SE_NS0_5tupleIJPjSE_EEENSF_IJSE_SE_EEES9_SG_JZNS1_25segmented_radix_sort_implINS0_14default_configELb1EPKiPiPKlPlN2at6native12_GLOBAL__N_18offset_tEEE10hipError_tPvRmT1_PNSt15iterator_traitsISY_E10value_typeET2_T3_PNSZ_IS14_E10value_typeET4_jRbjT5_S1A_jjP12ihipStream_tbEUljE_EEESV_SW_SX_S14_S18_S1A_T6_T7_T9_mT8_S1C_bDpT10_ENKUlT_T0_E_clISt17integral_constantIbLb0EES1O_IbLb1EEEEDaS1K_S1L_EUlS1K_E_NS1_11comp_targetILNS1_3genE0ELNS1_11target_archE4294967295ELNS1_3gpuE0ELNS1_3repE0EEENS1_30default_config_static_selectorELNS0_4arch9wavefront6targetE1EEEvSY_.has_indirect_call, 0
	.section	.AMDGPU.csdata,"",@progbits
; Kernel info:
; codeLenInByte = 0
; TotalNumSgprs: 4
; NumVgprs: 0
; ScratchSize: 0
; MemoryBound: 0
; FloatMode: 240
; IeeeMode: 1
; LDSByteSize: 0 bytes/workgroup (compile time only)
; SGPRBlocks: 0
; VGPRBlocks: 0
; NumSGPRsForWavesPerEU: 4
; NumVGPRsForWavesPerEU: 1
; Occupancy: 10
; WaveLimiterHint : 0
; COMPUTE_PGM_RSRC2:SCRATCH_EN: 0
; COMPUTE_PGM_RSRC2:USER_SGPR: 6
; COMPUTE_PGM_RSRC2:TRAP_HANDLER: 0
; COMPUTE_PGM_RSRC2:TGID_X_EN: 1
; COMPUTE_PGM_RSRC2:TGID_Y_EN: 0
; COMPUTE_PGM_RSRC2:TGID_Z_EN: 0
; COMPUTE_PGM_RSRC2:TIDIG_COMP_CNT: 0
	.section	.text._ZN7rocprim17ROCPRIM_400000_NS6detail17trampoline_kernelINS0_13select_configILj256ELj13ELNS0_17block_load_methodE3ELS4_3ELS4_3ELNS0_20block_scan_algorithmE0ELj4294967295EEENS1_25partition_config_selectorILNS1_17partition_subalgoE3EjNS0_10empty_typeEbEEZZNS1_14partition_implILS8_3ELb0ES6_jNS0_17counting_iteratorIjlEEPS9_SE_NS0_5tupleIJPjSE_EEENSF_IJSE_SE_EEES9_SG_JZNS1_25segmented_radix_sort_implINS0_14default_configELb1EPKiPiPKlPlN2at6native12_GLOBAL__N_18offset_tEEE10hipError_tPvRmT1_PNSt15iterator_traitsISY_E10value_typeET2_T3_PNSZ_IS14_E10value_typeET4_jRbjT5_S1A_jjP12ihipStream_tbEUljE_EEESV_SW_SX_S14_S18_S1A_T6_T7_T9_mT8_S1C_bDpT10_ENKUlT_T0_E_clISt17integral_constantIbLb0EES1O_IbLb1EEEEDaS1K_S1L_EUlS1K_E_NS1_11comp_targetILNS1_3genE5ELNS1_11target_archE942ELNS1_3gpuE9ELNS1_3repE0EEENS1_30default_config_static_selectorELNS0_4arch9wavefront6targetE1EEEvSY_,"axG",@progbits,_ZN7rocprim17ROCPRIM_400000_NS6detail17trampoline_kernelINS0_13select_configILj256ELj13ELNS0_17block_load_methodE3ELS4_3ELS4_3ELNS0_20block_scan_algorithmE0ELj4294967295EEENS1_25partition_config_selectorILNS1_17partition_subalgoE3EjNS0_10empty_typeEbEEZZNS1_14partition_implILS8_3ELb0ES6_jNS0_17counting_iteratorIjlEEPS9_SE_NS0_5tupleIJPjSE_EEENSF_IJSE_SE_EEES9_SG_JZNS1_25segmented_radix_sort_implINS0_14default_configELb1EPKiPiPKlPlN2at6native12_GLOBAL__N_18offset_tEEE10hipError_tPvRmT1_PNSt15iterator_traitsISY_E10value_typeET2_T3_PNSZ_IS14_E10value_typeET4_jRbjT5_S1A_jjP12ihipStream_tbEUljE_EEESV_SW_SX_S14_S18_S1A_T6_T7_T9_mT8_S1C_bDpT10_ENKUlT_T0_E_clISt17integral_constantIbLb0EES1O_IbLb1EEEEDaS1K_S1L_EUlS1K_E_NS1_11comp_targetILNS1_3genE5ELNS1_11target_archE942ELNS1_3gpuE9ELNS1_3repE0EEENS1_30default_config_static_selectorELNS0_4arch9wavefront6targetE1EEEvSY_,comdat
	.globl	_ZN7rocprim17ROCPRIM_400000_NS6detail17trampoline_kernelINS0_13select_configILj256ELj13ELNS0_17block_load_methodE3ELS4_3ELS4_3ELNS0_20block_scan_algorithmE0ELj4294967295EEENS1_25partition_config_selectorILNS1_17partition_subalgoE3EjNS0_10empty_typeEbEEZZNS1_14partition_implILS8_3ELb0ES6_jNS0_17counting_iteratorIjlEEPS9_SE_NS0_5tupleIJPjSE_EEENSF_IJSE_SE_EEES9_SG_JZNS1_25segmented_radix_sort_implINS0_14default_configELb1EPKiPiPKlPlN2at6native12_GLOBAL__N_18offset_tEEE10hipError_tPvRmT1_PNSt15iterator_traitsISY_E10value_typeET2_T3_PNSZ_IS14_E10value_typeET4_jRbjT5_S1A_jjP12ihipStream_tbEUljE_EEESV_SW_SX_S14_S18_S1A_T6_T7_T9_mT8_S1C_bDpT10_ENKUlT_T0_E_clISt17integral_constantIbLb0EES1O_IbLb1EEEEDaS1K_S1L_EUlS1K_E_NS1_11comp_targetILNS1_3genE5ELNS1_11target_archE942ELNS1_3gpuE9ELNS1_3repE0EEENS1_30default_config_static_selectorELNS0_4arch9wavefront6targetE1EEEvSY_ ; -- Begin function _ZN7rocprim17ROCPRIM_400000_NS6detail17trampoline_kernelINS0_13select_configILj256ELj13ELNS0_17block_load_methodE3ELS4_3ELS4_3ELNS0_20block_scan_algorithmE0ELj4294967295EEENS1_25partition_config_selectorILNS1_17partition_subalgoE3EjNS0_10empty_typeEbEEZZNS1_14partition_implILS8_3ELb0ES6_jNS0_17counting_iteratorIjlEEPS9_SE_NS0_5tupleIJPjSE_EEENSF_IJSE_SE_EEES9_SG_JZNS1_25segmented_radix_sort_implINS0_14default_configELb1EPKiPiPKlPlN2at6native12_GLOBAL__N_18offset_tEEE10hipError_tPvRmT1_PNSt15iterator_traitsISY_E10value_typeET2_T3_PNSZ_IS14_E10value_typeET4_jRbjT5_S1A_jjP12ihipStream_tbEUljE_EEESV_SW_SX_S14_S18_S1A_T6_T7_T9_mT8_S1C_bDpT10_ENKUlT_T0_E_clISt17integral_constantIbLb0EES1O_IbLb1EEEEDaS1K_S1L_EUlS1K_E_NS1_11comp_targetILNS1_3genE5ELNS1_11target_archE942ELNS1_3gpuE9ELNS1_3repE0EEENS1_30default_config_static_selectorELNS0_4arch9wavefront6targetE1EEEvSY_
	.p2align	8
	.type	_ZN7rocprim17ROCPRIM_400000_NS6detail17trampoline_kernelINS0_13select_configILj256ELj13ELNS0_17block_load_methodE3ELS4_3ELS4_3ELNS0_20block_scan_algorithmE0ELj4294967295EEENS1_25partition_config_selectorILNS1_17partition_subalgoE3EjNS0_10empty_typeEbEEZZNS1_14partition_implILS8_3ELb0ES6_jNS0_17counting_iteratorIjlEEPS9_SE_NS0_5tupleIJPjSE_EEENSF_IJSE_SE_EEES9_SG_JZNS1_25segmented_radix_sort_implINS0_14default_configELb1EPKiPiPKlPlN2at6native12_GLOBAL__N_18offset_tEEE10hipError_tPvRmT1_PNSt15iterator_traitsISY_E10value_typeET2_T3_PNSZ_IS14_E10value_typeET4_jRbjT5_S1A_jjP12ihipStream_tbEUljE_EEESV_SW_SX_S14_S18_S1A_T6_T7_T9_mT8_S1C_bDpT10_ENKUlT_T0_E_clISt17integral_constantIbLb0EES1O_IbLb1EEEEDaS1K_S1L_EUlS1K_E_NS1_11comp_targetILNS1_3genE5ELNS1_11target_archE942ELNS1_3gpuE9ELNS1_3repE0EEENS1_30default_config_static_selectorELNS0_4arch9wavefront6targetE1EEEvSY_,@function
_ZN7rocprim17ROCPRIM_400000_NS6detail17trampoline_kernelINS0_13select_configILj256ELj13ELNS0_17block_load_methodE3ELS4_3ELS4_3ELNS0_20block_scan_algorithmE0ELj4294967295EEENS1_25partition_config_selectorILNS1_17partition_subalgoE3EjNS0_10empty_typeEbEEZZNS1_14partition_implILS8_3ELb0ES6_jNS0_17counting_iteratorIjlEEPS9_SE_NS0_5tupleIJPjSE_EEENSF_IJSE_SE_EEES9_SG_JZNS1_25segmented_radix_sort_implINS0_14default_configELb1EPKiPiPKlPlN2at6native12_GLOBAL__N_18offset_tEEE10hipError_tPvRmT1_PNSt15iterator_traitsISY_E10value_typeET2_T3_PNSZ_IS14_E10value_typeET4_jRbjT5_S1A_jjP12ihipStream_tbEUljE_EEESV_SW_SX_S14_S18_S1A_T6_T7_T9_mT8_S1C_bDpT10_ENKUlT_T0_E_clISt17integral_constantIbLb0EES1O_IbLb1EEEEDaS1K_S1L_EUlS1K_E_NS1_11comp_targetILNS1_3genE5ELNS1_11target_archE942ELNS1_3gpuE9ELNS1_3repE0EEENS1_30default_config_static_selectorELNS0_4arch9wavefront6targetE1EEEvSY_: ; @_ZN7rocprim17ROCPRIM_400000_NS6detail17trampoline_kernelINS0_13select_configILj256ELj13ELNS0_17block_load_methodE3ELS4_3ELS4_3ELNS0_20block_scan_algorithmE0ELj4294967295EEENS1_25partition_config_selectorILNS1_17partition_subalgoE3EjNS0_10empty_typeEbEEZZNS1_14partition_implILS8_3ELb0ES6_jNS0_17counting_iteratorIjlEEPS9_SE_NS0_5tupleIJPjSE_EEENSF_IJSE_SE_EEES9_SG_JZNS1_25segmented_radix_sort_implINS0_14default_configELb1EPKiPiPKlPlN2at6native12_GLOBAL__N_18offset_tEEE10hipError_tPvRmT1_PNSt15iterator_traitsISY_E10value_typeET2_T3_PNSZ_IS14_E10value_typeET4_jRbjT5_S1A_jjP12ihipStream_tbEUljE_EEESV_SW_SX_S14_S18_S1A_T6_T7_T9_mT8_S1C_bDpT10_ENKUlT_T0_E_clISt17integral_constantIbLb0EES1O_IbLb1EEEEDaS1K_S1L_EUlS1K_E_NS1_11comp_targetILNS1_3genE5ELNS1_11target_archE942ELNS1_3gpuE9ELNS1_3repE0EEENS1_30default_config_static_selectorELNS0_4arch9wavefront6targetE1EEEvSY_
; %bb.0:
	.section	.rodata,"a",@progbits
	.p2align	6, 0x0
	.amdhsa_kernel _ZN7rocprim17ROCPRIM_400000_NS6detail17trampoline_kernelINS0_13select_configILj256ELj13ELNS0_17block_load_methodE3ELS4_3ELS4_3ELNS0_20block_scan_algorithmE0ELj4294967295EEENS1_25partition_config_selectorILNS1_17partition_subalgoE3EjNS0_10empty_typeEbEEZZNS1_14partition_implILS8_3ELb0ES6_jNS0_17counting_iteratorIjlEEPS9_SE_NS0_5tupleIJPjSE_EEENSF_IJSE_SE_EEES9_SG_JZNS1_25segmented_radix_sort_implINS0_14default_configELb1EPKiPiPKlPlN2at6native12_GLOBAL__N_18offset_tEEE10hipError_tPvRmT1_PNSt15iterator_traitsISY_E10value_typeET2_T3_PNSZ_IS14_E10value_typeET4_jRbjT5_S1A_jjP12ihipStream_tbEUljE_EEESV_SW_SX_S14_S18_S1A_T6_T7_T9_mT8_S1C_bDpT10_ENKUlT_T0_E_clISt17integral_constantIbLb0EES1O_IbLb1EEEEDaS1K_S1L_EUlS1K_E_NS1_11comp_targetILNS1_3genE5ELNS1_11target_archE942ELNS1_3gpuE9ELNS1_3repE0EEENS1_30default_config_static_selectorELNS0_4arch9wavefront6targetE1EEEvSY_
		.amdhsa_group_segment_fixed_size 0
		.amdhsa_private_segment_fixed_size 0
		.amdhsa_kernarg_size 152
		.amdhsa_user_sgpr_count 6
		.amdhsa_user_sgpr_private_segment_buffer 1
		.amdhsa_user_sgpr_dispatch_ptr 0
		.amdhsa_user_sgpr_queue_ptr 0
		.amdhsa_user_sgpr_kernarg_segment_ptr 1
		.amdhsa_user_sgpr_dispatch_id 0
		.amdhsa_user_sgpr_flat_scratch_init 0
		.amdhsa_user_sgpr_private_segment_size 0
		.amdhsa_uses_dynamic_stack 0
		.amdhsa_system_sgpr_private_segment_wavefront_offset 0
		.amdhsa_system_sgpr_workgroup_id_x 1
		.amdhsa_system_sgpr_workgroup_id_y 0
		.amdhsa_system_sgpr_workgroup_id_z 0
		.amdhsa_system_sgpr_workgroup_info 0
		.amdhsa_system_vgpr_workitem_id 0
		.amdhsa_next_free_vgpr 1
		.amdhsa_next_free_sgpr 0
		.amdhsa_reserve_vcc 0
		.amdhsa_reserve_flat_scratch 0
		.amdhsa_float_round_mode_32 0
		.amdhsa_float_round_mode_16_64 0
		.amdhsa_float_denorm_mode_32 3
		.amdhsa_float_denorm_mode_16_64 3
		.amdhsa_dx10_clamp 1
		.amdhsa_ieee_mode 1
		.amdhsa_fp16_overflow 0
		.amdhsa_exception_fp_ieee_invalid_op 0
		.amdhsa_exception_fp_denorm_src 0
		.amdhsa_exception_fp_ieee_div_zero 0
		.amdhsa_exception_fp_ieee_overflow 0
		.amdhsa_exception_fp_ieee_underflow 0
		.amdhsa_exception_fp_ieee_inexact 0
		.amdhsa_exception_int_div_zero 0
	.end_amdhsa_kernel
	.section	.text._ZN7rocprim17ROCPRIM_400000_NS6detail17trampoline_kernelINS0_13select_configILj256ELj13ELNS0_17block_load_methodE3ELS4_3ELS4_3ELNS0_20block_scan_algorithmE0ELj4294967295EEENS1_25partition_config_selectorILNS1_17partition_subalgoE3EjNS0_10empty_typeEbEEZZNS1_14partition_implILS8_3ELb0ES6_jNS0_17counting_iteratorIjlEEPS9_SE_NS0_5tupleIJPjSE_EEENSF_IJSE_SE_EEES9_SG_JZNS1_25segmented_radix_sort_implINS0_14default_configELb1EPKiPiPKlPlN2at6native12_GLOBAL__N_18offset_tEEE10hipError_tPvRmT1_PNSt15iterator_traitsISY_E10value_typeET2_T3_PNSZ_IS14_E10value_typeET4_jRbjT5_S1A_jjP12ihipStream_tbEUljE_EEESV_SW_SX_S14_S18_S1A_T6_T7_T9_mT8_S1C_bDpT10_ENKUlT_T0_E_clISt17integral_constantIbLb0EES1O_IbLb1EEEEDaS1K_S1L_EUlS1K_E_NS1_11comp_targetILNS1_3genE5ELNS1_11target_archE942ELNS1_3gpuE9ELNS1_3repE0EEENS1_30default_config_static_selectorELNS0_4arch9wavefront6targetE1EEEvSY_,"axG",@progbits,_ZN7rocprim17ROCPRIM_400000_NS6detail17trampoline_kernelINS0_13select_configILj256ELj13ELNS0_17block_load_methodE3ELS4_3ELS4_3ELNS0_20block_scan_algorithmE0ELj4294967295EEENS1_25partition_config_selectorILNS1_17partition_subalgoE3EjNS0_10empty_typeEbEEZZNS1_14partition_implILS8_3ELb0ES6_jNS0_17counting_iteratorIjlEEPS9_SE_NS0_5tupleIJPjSE_EEENSF_IJSE_SE_EEES9_SG_JZNS1_25segmented_radix_sort_implINS0_14default_configELb1EPKiPiPKlPlN2at6native12_GLOBAL__N_18offset_tEEE10hipError_tPvRmT1_PNSt15iterator_traitsISY_E10value_typeET2_T3_PNSZ_IS14_E10value_typeET4_jRbjT5_S1A_jjP12ihipStream_tbEUljE_EEESV_SW_SX_S14_S18_S1A_T6_T7_T9_mT8_S1C_bDpT10_ENKUlT_T0_E_clISt17integral_constantIbLb0EES1O_IbLb1EEEEDaS1K_S1L_EUlS1K_E_NS1_11comp_targetILNS1_3genE5ELNS1_11target_archE942ELNS1_3gpuE9ELNS1_3repE0EEENS1_30default_config_static_selectorELNS0_4arch9wavefront6targetE1EEEvSY_,comdat
.Lfunc_end490:
	.size	_ZN7rocprim17ROCPRIM_400000_NS6detail17trampoline_kernelINS0_13select_configILj256ELj13ELNS0_17block_load_methodE3ELS4_3ELS4_3ELNS0_20block_scan_algorithmE0ELj4294967295EEENS1_25partition_config_selectorILNS1_17partition_subalgoE3EjNS0_10empty_typeEbEEZZNS1_14partition_implILS8_3ELb0ES6_jNS0_17counting_iteratorIjlEEPS9_SE_NS0_5tupleIJPjSE_EEENSF_IJSE_SE_EEES9_SG_JZNS1_25segmented_radix_sort_implINS0_14default_configELb1EPKiPiPKlPlN2at6native12_GLOBAL__N_18offset_tEEE10hipError_tPvRmT1_PNSt15iterator_traitsISY_E10value_typeET2_T3_PNSZ_IS14_E10value_typeET4_jRbjT5_S1A_jjP12ihipStream_tbEUljE_EEESV_SW_SX_S14_S18_S1A_T6_T7_T9_mT8_S1C_bDpT10_ENKUlT_T0_E_clISt17integral_constantIbLb0EES1O_IbLb1EEEEDaS1K_S1L_EUlS1K_E_NS1_11comp_targetILNS1_3genE5ELNS1_11target_archE942ELNS1_3gpuE9ELNS1_3repE0EEENS1_30default_config_static_selectorELNS0_4arch9wavefront6targetE1EEEvSY_, .Lfunc_end490-_ZN7rocprim17ROCPRIM_400000_NS6detail17trampoline_kernelINS0_13select_configILj256ELj13ELNS0_17block_load_methodE3ELS4_3ELS4_3ELNS0_20block_scan_algorithmE0ELj4294967295EEENS1_25partition_config_selectorILNS1_17partition_subalgoE3EjNS0_10empty_typeEbEEZZNS1_14partition_implILS8_3ELb0ES6_jNS0_17counting_iteratorIjlEEPS9_SE_NS0_5tupleIJPjSE_EEENSF_IJSE_SE_EEES9_SG_JZNS1_25segmented_radix_sort_implINS0_14default_configELb1EPKiPiPKlPlN2at6native12_GLOBAL__N_18offset_tEEE10hipError_tPvRmT1_PNSt15iterator_traitsISY_E10value_typeET2_T3_PNSZ_IS14_E10value_typeET4_jRbjT5_S1A_jjP12ihipStream_tbEUljE_EEESV_SW_SX_S14_S18_S1A_T6_T7_T9_mT8_S1C_bDpT10_ENKUlT_T0_E_clISt17integral_constantIbLb0EES1O_IbLb1EEEEDaS1K_S1L_EUlS1K_E_NS1_11comp_targetILNS1_3genE5ELNS1_11target_archE942ELNS1_3gpuE9ELNS1_3repE0EEENS1_30default_config_static_selectorELNS0_4arch9wavefront6targetE1EEEvSY_
                                        ; -- End function
	.set _ZN7rocprim17ROCPRIM_400000_NS6detail17trampoline_kernelINS0_13select_configILj256ELj13ELNS0_17block_load_methodE3ELS4_3ELS4_3ELNS0_20block_scan_algorithmE0ELj4294967295EEENS1_25partition_config_selectorILNS1_17partition_subalgoE3EjNS0_10empty_typeEbEEZZNS1_14partition_implILS8_3ELb0ES6_jNS0_17counting_iteratorIjlEEPS9_SE_NS0_5tupleIJPjSE_EEENSF_IJSE_SE_EEES9_SG_JZNS1_25segmented_radix_sort_implINS0_14default_configELb1EPKiPiPKlPlN2at6native12_GLOBAL__N_18offset_tEEE10hipError_tPvRmT1_PNSt15iterator_traitsISY_E10value_typeET2_T3_PNSZ_IS14_E10value_typeET4_jRbjT5_S1A_jjP12ihipStream_tbEUljE_EEESV_SW_SX_S14_S18_S1A_T6_T7_T9_mT8_S1C_bDpT10_ENKUlT_T0_E_clISt17integral_constantIbLb0EES1O_IbLb1EEEEDaS1K_S1L_EUlS1K_E_NS1_11comp_targetILNS1_3genE5ELNS1_11target_archE942ELNS1_3gpuE9ELNS1_3repE0EEENS1_30default_config_static_selectorELNS0_4arch9wavefront6targetE1EEEvSY_.num_vgpr, 0
	.set _ZN7rocprim17ROCPRIM_400000_NS6detail17trampoline_kernelINS0_13select_configILj256ELj13ELNS0_17block_load_methodE3ELS4_3ELS4_3ELNS0_20block_scan_algorithmE0ELj4294967295EEENS1_25partition_config_selectorILNS1_17partition_subalgoE3EjNS0_10empty_typeEbEEZZNS1_14partition_implILS8_3ELb0ES6_jNS0_17counting_iteratorIjlEEPS9_SE_NS0_5tupleIJPjSE_EEENSF_IJSE_SE_EEES9_SG_JZNS1_25segmented_radix_sort_implINS0_14default_configELb1EPKiPiPKlPlN2at6native12_GLOBAL__N_18offset_tEEE10hipError_tPvRmT1_PNSt15iterator_traitsISY_E10value_typeET2_T3_PNSZ_IS14_E10value_typeET4_jRbjT5_S1A_jjP12ihipStream_tbEUljE_EEESV_SW_SX_S14_S18_S1A_T6_T7_T9_mT8_S1C_bDpT10_ENKUlT_T0_E_clISt17integral_constantIbLb0EES1O_IbLb1EEEEDaS1K_S1L_EUlS1K_E_NS1_11comp_targetILNS1_3genE5ELNS1_11target_archE942ELNS1_3gpuE9ELNS1_3repE0EEENS1_30default_config_static_selectorELNS0_4arch9wavefront6targetE1EEEvSY_.num_agpr, 0
	.set _ZN7rocprim17ROCPRIM_400000_NS6detail17trampoline_kernelINS0_13select_configILj256ELj13ELNS0_17block_load_methodE3ELS4_3ELS4_3ELNS0_20block_scan_algorithmE0ELj4294967295EEENS1_25partition_config_selectorILNS1_17partition_subalgoE3EjNS0_10empty_typeEbEEZZNS1_14partition_implILS8_3ELb0ES6_jNS0_17counting_iteratorIjlEEPS9_SE_NS0_5tupleIJPjSE_EEENSF_IJSE_SE_EEES9_SG_JZNS1_25segmented_radix_sort_implINS0_14default_configELb1EPKiPiPKlPlN2at6native12_GLOBAL__N_18offset_tEEE10hipError_tPvRmT1_PNSt15iterator_traitsISY_E10value_typeET2_T3_PNSZ_IS14_E10value_typeET4_jRbjT5_S1A_jjP12ihipStream_tbEUljE_EEESV_SW_SX_S14_S18_S1A_T6_T7_T9_mT8_S1C_bDpT10_ENKUlT_T0_E_clISt17integral_constantIbLb0EES1O_IbLb1EEEEDaS1K_S1L_EUlS1K_E_NS1_11comp_targetILNS1_3genE5ELNS1_11target_archE942ELNS1_3gpuE9ELNS1_3repE0EEENS1_30default_config_static_selectorELNS0_4arch9wavefront6targetE1EEEvSY_.numbered_sgpr, 0
	.set _ZN7rocprim17ROCPRIM_400000_NS6detail17trampoline_kernelINS0_13select_configILj256ELj13ELNS0_17block_load_methodE3ELS4_3ELS4_3ELNS0_20block_scan_algorithmE0ELj4294967295EEENS1_25partition_config_selectorILNS1_17partition_subalgoE3EjNS0_10empty_typeEbEEZZNS1_14partition_implILS8_3ELb0ES6_jNS0_17counting_iteratorIjlEEPS9_SE_NS0_5tupleIJPjSE_EEENSF_IJSE_SE_EEES9_SG_JZNS1_25segmented_radix_sort_implINS0_14default_configELb1EPKiPiPKlPlN2at6native12_GLOBAL__N_18offset_tEEE10hipError_tPvRmT1_PNSt15iterator_traitsISY_E10value_typeET2_T3_PNSZ_IS14_E10value_typeET4_jRbjT5_S1A_jjP12ihipStream_tbEUljE_EEESV_SW_SX_S14_S18_S1A_T6_T7_T9_mT8_S1C_bDpT10_ENKUlT_T0_E_clISt17integral_constantIbLb0EES1O_IbLb1EEEEDaS1K_S1L_EUlS1K_E_NS1_11comp_targetILNS1_3genE5ELNS1_11target_archE942ELNS1_3gpuE9ELNS1_3repE0EEENS1_30default_config_static_selectorELNS0_4arch9wavefront6targetE1EEEvSY_.num_named_barrier, 0
	.set _ZN7rocprim17ROCPRIM_400000_NS6detail17trampoline_kernelINS0_13select_configILj256ELj13ELNS0_17block_load_methodE3ELS4_3ELS4_3ELNS0_20block_scan_algorithmE0ELj4294967295EEENS1_25partition_config_selectorILNS1_17partition_subalgoE3EjNS0_10empty_typeEbEEZZNS1_14partition_implILS8_3ELb0ES6_jNS0_17counting_iteratorIjlEEPS9_SE_NS0_5tupleIJPjSE_EEENSF_IJSE_SE_EEES9_SG_JZNS1_25segmented_radix_sort_implINS0_14default_configELb1EPKiPiPKlPlN2at6native12_GLOBAL__N_18offset_tEEE10hipError_tPvRmT1_PNSt15iterator_traitsISY_E10value_typeET2_T3_PNSZ_IS14_E10value_typeET4_jRbjT5_S1A_jjP12ihipStream_tbEUljE_EEESV_SW_SX_S14_S18_S1A_T6_T7_T9_mT8_S1C_bDpT10_ENKUlT_T0_E_clISt17integral_constantIbLb0EES1O_IbLb1EEEEDaS1K_S1L_EUlS1K_E_NS1_11comp_targetILNS1_3genE5ELNS1_11target_archE942ELNS1_3gpuE9ELNS1_3repE0EEENS1_30default_config_static_selectorELNS0_4arch9wavefront6targetE1EEEvSY_.private_seg_size, 0
	.set _ZN7rocprim17ROCPRIM_400000_NS6detail17trampoline_kernelINS0_13select_configILj256ELj13ELNS0_17block_load_methodE3ELS4_3ELS4_3ELNS0_20block_scan_algorithmE0ELj4294967295EEENS1_25partition_config_selectorILNS1_17partition_subalgoE3EjNS0_10empty_typeEbEEZZNS1_14partition_implILS8_3ELb0ES6_jNS0_17counting_iteratorIjlEEPS9_SE_NS0_5tupleIJPjSE_EEENSF_IJSE_SE_EEES9_SG_JZNS1_25segmented_radix_sort_implINS0_14default_configELb1EPKiPiPKlPlN2at6native12_GLOBAL__N_18offset_tEEE10hipError_tPvRmT1_PNSt15iterator_traitsISY_E10value_typeET2_T3_PNSZ_IS14_E10value_typeET4_jRbjT5_S1A_jjP12ihipStream_tbEUljE_EEESV_SW_SX_S14_S18_S1A_T6_T7_T9_mT8_S1C_bDpT10_ENKUlT_T0_E_clISt17integral_constantIbLb0EES1O_IbLb1EEEEDaS1K_S1L_EUlS1K_E_NS1_11comp_targetILNS1_3genE5ELNS1_11target_archE942ELNS1_3gpuE9ELNS1_3repE0EEENS1_30default_config_static_selectorELNS0_4arch9wavefront6targetE1EEEvSY_.uses_vcc, 0
	.set _ZN7rocprim17ROCPRIM_400000_NS6detail17trampoline_kernelINS0_13select_configILj256ELj13ELNS0_17block_load_methodE3ELS4_3ELS4_3ELNS0_20block_scan_algorithmE0ELj4294967295EEENS1_25partition_config_selectorILNS1_17partition_subalgoE3EjNS0_10empty_typeEbEEZZNS1_14partition_implILS8_3ELb0ES6_jNS0_17counting_iteratorIjlEEPS9_SE_NS0_5tupleIJPjSE_EEENSF_IJSE_SE_EEES9_SG_JZNS1_25segmented_radix_sort_implINS0_14default_configELb1EPKiPiPKlPlN2at6native12_GLOBAL__N_18offset_tEEE10hipError_tPvRmT1_PNSt15iterator_traitsISY_E10value_typeET2_T3_PNSZ_IS14_E10value_typeET4_jRbjT5_S1A_jjP12ihipStream_tbEUljE_EEESV_SW_SX_S14_S18_S1A_T6_T7_T9_mT8_S1C_bDpT10_ENKUlT_T0_E_clISt17integral_constantIbLb0EES1O_IbLb1EEEEDaS1K_S1L_EUlS1K_E_NS1_11comp_targetILNS1_3genE5ELNS1_11target_archE942ELNS1_3gpuE9ELNS1_3repE0EEENS1_30default_config_static_selectorELNS0_4arch9wavefront6targetE1EEEvSY_.uses_flat_scratch, 0
	.set _ZN7rocprim17ROCPRIM_400000_NS6detail17trampoline_kernelINS0_13select_configILj256ELj13ELNS0_17block_load_methodE3ELS4_3ELS4_3ELNS0_20block_scan_algorithmE0ELj4294967295EEENS1_25partition_config_selectorILNS1_17partition_subalgoE3EjNS0_10empty_typeEbEEZZNS1_14partition_implILS8_3ELb0ES6_jNS0_17counting_iteratorIjlEEPS9_SE_NS0_5tupleIJPjSE_EEENSF_IJSE_SE_EEES9_SG_JZNS1_25segmented_radix_sort_implINS0_14default_configELb1EPKiPiPKlPlN2at6native12_GLOBAL__N_18offset_tEEE10hipError_tPvRmT1_PNSt15iterator_traitsISY_E10value_typeET2_T3_PNSZ_IS14_E10value_typeET4_jRbjT5_S1A_jjP12ihipStream_tbEUljE_EEESV_SW_SX_S14_S18_S1A_T6_T7_T9_mT8_S1C_bDpT10_ENKUlT_T0_E_clISt17integral_constantIbLb0EES1O_IbLb1EEEEDaS1K_S1L_EUlS1K_E_NS1_11comp_targetILNS1_3genE5ELNS1_11target_archE942ELNS1_3gpuE9ELNS1_3repE0EEENS1_30default_config_static_selectorELNS0_4arch9wavefront6targetE1EEEvSY_.has_dyn_sized_stack, 0
	.set _ZN7rocprim17ROCPRIM_400000_NS6detail17trampoline_kernelINS0_13select_configILj256ELj13ELNS0_17block_load_methodE3ELS4_3ELS4_3ELNS0_20block_scan_algorithmE0ELj4294967295EEENS1_25partition_config_selectorILNS1_17partition_subalgoE3EjNS0_10empty_typeEbEEZZNS1_14partition_implILS8_3ELb0ES6_jNS0_17counting_iteratorIjlEEPS9_SE_NS0_5tupleIJPjSE_EEENSF_IJSE_SE_EEES9_SG_JZNS1_25segmented_radix_sort_implINS0_14default_configELb1EPKiPiPKlPlN2at6native12_GLOBAL__N_18offset_tEEE10hipError_tPvRmT1_PNSt15iterator_traitsISY_E10value_typeET2_T3_PNSZ_IS14_E10value_typeET4_jRbjT5_S1A_jjP12ihipStream_tbEUljE_EEESV_SW_SX_S14_S18_S1A_T6_T7_T9_mT8_S1C_bDpT10_ENKUlT_T0_E_clISt17integral_constantIbLb0EES1O_IbLb1EEEEDaS1K_S1L_EUlS1K_E_NS1_11comp_targetILNS1_3genE5ELNS1_11target_archE942ELNS1_3gpuE9ELNS1_3repE0EEENS1_30default_config_static_selectorELNS0_4arch9wavefront6targetE1EEEvSY_.has_recursion, 0
	.set _ZN7rocprim17ROCPRIM_400000_NS6detail17trampoline_kernelINS0_13select_configILj256ELj13ELNS0_17block_load_methodE3ELS4_3ELS4_3ELNS0_20block_scan_algorithmE0ELj4294967295EEENS1_25partition_config_selectorILNS1_17partition_subalgoE3EjNS0_10empty_typeEbEEZZNS1_14partition_implILS8_3ELb0ES6_jNS0_17counting_iteratorIjlEEPS9_SE_NS0_5tupleIJPjSE_EEENSF_IJSE_SE_EEES9_SG_JZNS1_25segmented_radix_sort_implINS0_14default_configELb1EPKiPiPKlPlN2at6native12_GLOBAL__N_18offset_tEEE10hipError_tPvRmT1_PNSt15iterator_traitsISY_E10value_typeET2_T3_PNSZ_IS14_E10value_typeET4_jRbjT5_S1A_jjP12ihipStream_tbEUljE_EEESV_SW_SX_S14_S18_S1A_T6_T7_T9_mT8_S1C_bDpT10_ENKUlT_T0_E_clISt17integral_constantIbLb0EES1O_IbLb1EEEEDaS1K_S1L_EUlS1K_E_NS1_11comp_targetILNS1_3genE5ELNS1_11target_archE942ELNS1_3gpuE9ELNS1_3repE0EEENS1_30default_config_static_selectorELNS0_4arch9wavefront6targetE1EEEvSY_.has_indirect_call, 0
	.section	.AMDGPU.csdata,"",@progbits
; Kernel info:
; codeLenInByte = 0
; TotalNumSgprs: 4
; NumVgprs: 0
; ScratchSize: 0
; MemoryBound: 0
; FloatMode: 240
; IeeeMode: 1
; LDSByteSize: 0 bytes/workgroup (compile time only)
; SGPRBlocks: 0
; VGPRBlocks: 0
; NumSGPRsForWavesPerEU: 4
; NumVGPRsForWavesPerEU: 1
; Occupancy: 10
; WaveLimiterHint : 0
; COMPUTE_PGM_RSRC2:SCRATCH_EN: 0
; COMPUTE_PGM_RSRC2:USER_SGPR: 6
; COMPUTE_PGM_RSRC2:TRAP_HANDLER: 0
; COMPUTE_PGM_RSRC2:TGID_X_EN: 1
; COMPUTE_PGM_RSRC2:TGID_Y_EN: 0
; COMPUTE_PGM_RSRC2:TGID_Z_EN: 0
; COMPUTE_PGM_RSRC2:TIDIG_COMP_CNT: 0
	.section	.text._ZN7rocprim17ROCPRIM_400000_NS6detail17trampoline_kernelINS0_13select_configILj256ELj13ELNS0_17block_load_methodE3ELS4_3ELS4_3ELNS0_20block_scan_algorithmE0ELj4294967295EEENS1_25partition_config_selectorILNS1_17partition_subalgoE3EjNS0_10empty_typeEbEEZZNS1_14partition_implILS8_3ELb0ES6_jNS0_17counting_iteratorIjlEEPS9_SE_NS0_5tupleIJPjSE_EEENSF_IJSE_SE_EEES9_SG_JZNS1_25segmented_radix_sort_implINS0_14default_configELb1EPKiPiPKlPlN2at6native12_GLOBAL__N_18offset_tEEE10hipError_tPvRmT1_PNSt15iterator_traitsISY_E10value_typeET2_T3_PNSZ_IS14_E10value_typeET4_jRbjT5_S1A_jjP12ihipStream_tbEUljE_EEESV_SW_SX_S14_S18_S1A_T6_T7_T9_mT8_S1C_bDpT10_ENKUlT_T0_E_clISt17integral_constantIbLb0EES1O_IbLb1EEEEDaS1K_S1L_EUlS1K_E_NS1_11comp_targetILNS1_3genE4ELNS1_11target_archE910ELNS1_3gpuE8ELNS1_3repE0EEENS1_30default_config_static_selectorELNS0_4arch9wavefront6targetE1EEEvSY_,"axG",@progbits,_ZN7rocprim17ROCPRIM_400000_NS6detail17trampoline_kernelINS0_13select_configILj256ELj13ELNS0_17block_load_methodE3ELS4_3ELS4_3ELNS0_20block_scan_algorithmE0ELj4294967295EEENS1_25partition_config_selectorILNS1_17partition_subalgoE3EjNS0_10empty_typeEbEEZZNS1_14partition_implILS8_3ELb0ES6_jNS0_17counting_iteratorIjlEEPS9_SE_NS0_5tupleIJPjSE_EEENSF_IJSE_SE_EEES9_SG_JZNS1_25segmented_radix_sort_implINS0_14default_configELb1EPKiPiPKlPlN2at6native12_GLOBAL__N_18offset_tEEE10hipError_tPvRmT1_PNSt15iterator_traitsISY_E10value_typeET2_T3_PNSZ_IS14_E10value_typeET4_jRbjT5_S1A_jjP12ihipStream_tbEUljE_EEESV_SW_SX_S14_S18_S1A_T6_T7_T9_mT8_S1C_bDpT10_ENKUlT_T0_E_clISt17integral_constantIbLb0EES1O_IbLb1EEEEDaS1K_S1L_EUlS1K_E_NS1_11comp_targetILNS1_3genE4ELNS1_11target_archE910ELNS1_3gpuE8ELNS1_3repE0EEENS1_30default_config_static_selectorELNS0_4arch9wavefront6targetE1EEEvSY_,comdat
	.globl	_ZN7rocprim17ROCPRIM_400000_NS6detail17trampoline_kernelINS0_13select_configILj256ELj13ELNS0_17block_load_methodE3ELS4_3ELS4_3ELNS0_20block_scan_algorithmE0ELj4294967295EEENS1_25partition_config_selectorILNS1_17partition_subalgoE3EjNS0_10empty_typeEbEEZZNS1_14partition_implILS8_3ELb0ES6_jNS0_17counting_iteratorIjlEEPS9_SE_NS0_5tupleIJPjSE_EEENSF_IJSE_SE_EEES9_SG_JZNS1_25segmented_radix_sort_implINS0_14default_configELb1EPKiPiPKlPlN2at6native12_GLOBAL__N_18offset_tEEE10hipError_tPvRmT1_PNSt15iterator_traitsISY_E10value_typeET2_T3_PNSZ_IS14_E10value_typeET4_jRbjT5_S1A_jjP12ihipStream_tbEUljE_EEESV_SW_SX_S14_S18_S1A_T6_T7_T9_mT8_S1C_bDpT10_ENKUlT_T0_E_clISt17integral_constantIbLb0EES1O_IbLb1EEEEDaS1K_S1L_EUlS1K_E_NS1_11comp_targetILNS1_3genE4ELNS1_11target_archE910ELNS1_3gpuE8ELNS1_3repE0EEENS1_30default_config_static_selectorELNS0_4arch9wavefront6targetE1EEEvSY_ ; -- Begin function _ZN7rocprim17ROCPRIM_400000_NS6detail17trampoline_kernelINS0_13select_configILj256ELj13ELNS0_17block_load_methodE3ELS4_3ELS4_3ELNS0_20block_scan_algorithmE0ELj4294967295EEENS1_25partition_config_selectorILNS1_17partition_subalgoE3EjNS0_10empty_typeEbEEZZNS1_14partition_implILS8_3ELb0ES6_jNS0_17counting_iteratorIjlEEPS9_SE_NS0_5tupleIJPjSE_EEENSF_IJSE_SE_EEES9_SG_JZNS1_25segmented_radix_sort_implINS0_14default_configELb1EPKiPiPKlPlN2at6native12_GLOBAL__N_18offset_tEEE10hipError_tPvRmT1_PNSt15iterator_traitsISY_E10value_typeET2_T3_PNSZ_IS14_E10value_typeET4_jRbjT5_S1A_jjP12ihipStream_tbEUljE_EEESV_SW_SX_S14_S18_S1A_T6_T7_T9_mT8_S1C_bDpT10_ENKUlT_T0_E_clISt17integral_constantIbLb0EES1O_IbLb1EEEEDaS1K_S1L_EUlS1K_E_NS1_11comp_targetILNS1_3genE4ELNS1_11target_archE910ELNS1_3gpuE8ELNS1_3repE0EEENS1_30default_config_static_selectorELNS0_4arch9wavefront6targetE1EEEvSY_
	.p2align	8
	.type	_ZN7rocprim17ROCPRIM_400000_NS6detail17trampoline_kernelINS0_13select_configILj256ELj13ELNS0_17block_load_methodE3ELS4_3ELS4_3ELNS0_20block_scan_algorithmE0ELj4294967295EEENS1_25partition_config_selectorILNS1_17partition_subalgoE3EjNS0_10empty_typeEbEEZZNS1_14partition_implILS8_3ELb0ES6_jNS0_17counting_iteratorIjlEEPS9_SE_NS0_5tupleIJPjSE_EEENSF_IJSE_SE_EEES9_SG_JZNS1_25segmented_radix_sort_implINS0_14default_configELb1EPKiPiPKlPlN2at6native12_GLOBAL__N_18offset_tEEE10hipError_tPvRmT1_PNSt15iterator_traitsISY_E10value_typeET2_T3_PNSZ_IS14_E10value_typeET4_jRbjT5_S1A_jjP12ihipStream_tbEUljE_EEESV_SW_SX_S14_S18_S1A_T6_T7_T9_mT8_S1C_bDpT10_ENKUlT_T0_E_clISt17integral_constantIbLb0EES1O_IbLb1EEEEDaS1K_S1L_EUlS1K_E_NS1_11comp_targetILNS1_3genE4ELNS1_11target_archE910ELNS1_3gpuE8ELNS1_3repE0EEENS1_30default_config_static_selectorELNS0_4arch9wavefront6targetE1EEEvSY_,@function
_ZN7rocprim17ROCPRIM_400000_NS6detail17trampoline_kernelINS0_13select_configILj256ELj13ELNS0_17block_load_methodE3ELS4_3ELS4_3ELNS0_20block_scan_algorithmE0ELj4294967295EEENS1_25partition_config_selectorILNS1_17partition_subalgoE3EjNS0_10empty_typeEbEEZZNS1_14partition_implILS8_3ELb0ES6_jNS0_17counting_iteratorIjlEEPS9_SE_NS0_5tupleIJPjSE_EEENSF_IJSE_SE_EEES9_SG_JZNS1_25segmented_radix_sort_implINS0_14default_configELb1EPKiPiPKlPlN2at6native12_GLOBAL__N_18offset_tEEE10hipError_tPvRmT1_PNSt15iterator_traitsISY_E10value_typeET2_T3_PNSZ_IS14_E10value_typeET4_jRbjT5_S1A_jjP12ihipStream_tbEUljE_EEESV_SW_SX_S14_S18_S1A_T6_T7_T9_mT8_S1C_bDpT10_ENKUlT_T0_E_clISt17integral_constantIbLb0EES1O_IbLb1EEEEDaS1K_S1L_EUlS1K_E_NS1_11comp_targetILNS1_3genE4ELNS1_11target_archE910ELNS1_3gpuE8ELNS1_3repE0EEENS1_30default_config_static_selectorELNS0_4arch9wavefront6targetE1EEEvSY_: ; @_ZN7rocprim17ROCPRIM_400000_NS6detail17trampoline_kernelINS0_13select_configILj256ELj13ELNS0_17block_load_methodE3ELS4_3ELS4_3ELNS0_20block_scan_algorithmE0ELj4294967295EEENS1_25partition_config_selectorILNS1_17partition_subalgoE3EjNS0_10empty_typeEbEEZZNS1_14partition_implILS8_3ELb0ES6_jNS0_17counting_iteratorIjlEEPS9_SE_NS0_5tupleIJPjSE_EEENSF_IJSE_SE_EEES9_SG_JZNS1_25segmented_radix_sort_implINS0_14default_configELb1EPKiPiPKlPlN2at6native12_GLOBAL__N_18offset_tEEE10hipError_tPvRmT1_PNSt15iterator_traitsISY_E10value_typeET2_T3_PNSZ_IS14_E10value_typeET4_jRbjT5_S1A_jjP12ihipStream_tbEUljE_EEESV_SW_SX_S14_S18_S1A_T6_T7_T9_mT8_S1C_bDpT10_ENKUlT_T0_E_clISt17integral_constantIbLb0EES1O_IbLb1EEEEDaS1K_S1L_EUlS1K_E_NS1_11comp_targetILNS1_3genE4ELNS1_11target_archE910ELNS1_3gpuE8ELNS1_3repE0EEENS1_30default_config_static_selectorELNS0_4arch9wavefront6targetE1EEEvSY_
; %bb.0:
	.section	.rodata,"a",@progbits
	.p2align	6, 0x0
	.amdhsa_kernel _ZN7rocprim17ROCPRIM_400000_NS6detail17trampoline_kernelINS0_13select_configILj256ELj13ELNS0_17block_load_methodE3ELS4_3ELS4_3ELNS0_20block_scan_algorithmE0ELj4294967295EEENS1_25partition_config_selectorILNS1_17partition_subalgoE3EjNS0_10empty_typeEbEEZZNS1_14partition_implILS8_3ELb0ES6_jNS0_17counting_iteratorIjlEEPS9_SE_NS0_5tupleIJPjSE_EEENSF_IJSE_SE_EEES9_SG_JZNS1_25segmented_radix_sort_implINS0_14default_configELb1EPKiPiPKlPlN2at6native12_GLOBAL__N_18offset_tEEE10hipError_tPvRmT1_PNSt15iterator_traitsISY_E10value_typeET2_T3_PNSZ_IS14_E10value_typeET4_jRbjT5_S1A_jjP12ihipStream_tbEUljE_EEESV_SW_SX_S14_S18_S1A_T6_T7_T9_mT8_S1C_bDpT10_ENKUlT_T0_E_clISt17integral_constantIbLb0EES1O_IbLb1EEEEDaS1K_S1L_EUlS1K_E_NS1_11comp_targetILNS1_3genE4ELNS1_11target_archE910ELNS1_3gpuE8ELNS1_3repE0EEENS1_30default_config_static_selectorELNS0_4arch9wavefront6targetE1EEEvSY_
		.amdhsa_group_segment_fixed_size 0
		.amdhsa_private_segment_fixed_size 0
		.amdhsa_kernarg_size 152
		.amdhsa_user_sgpr_count 6
		.amdhsa_user_sgpr_private_segment_buffer 1
		.amdhsa_user_sgpr_dispatch_ptr 0
		.amdhsa_user_sgpr_queue_ptr 0
		.amdhsa_user_sgpr_kernarg_segment_ptr 1
		.amdhsa_user_sgpr_dispatch_id 0
		.amdhsa_user_sgpr_flat_scratch_init 0
		.amdhsa_user_sgpr_private_segment_size 0
		.amdhsa_uses_dynamic_stack 0
		.amdhsa_system_sgpr_private_segment_wavefront_offset 0
		.amdhsa_system_sgpr_workgroup_id_x 1
		.amdhsa_system_sgpr_workgroup_id_y 0
		.amdhsa_system_sgpr_workgroup_id_z 0
		.amdhsa_system_sgpr_workgroup_info 0
		.amdhsa_system_vgpr_workitem_id 0
		.amdhsa_next_free_vgpr 1
		.amdhsa_next_free_sgpr 0
		.amdhsa_reserve_vcc 0
		.amdhsa_reserve_flat_scratch 0
		.amdhsa_float_round_mode_32 0
		.amdhsa_float_round_mode_16_64 0
		.amdhsa_float_denorm_mode_32 3
		.amdhsa_float_denorm_mode_16_64 3
		.amdhsa_dx10_clamp 1
		.amdhsa_ieee_mode 1
		.amdhsa_fp16_overflow 0
		.amdhsa_exception_fp_ieee_invalid_op 0
		.amdhsa_exception_fp_denorm_src 0
		.amdhsa_exception_fp_ieee_div_zero 0
		.amdhsa_exception_fp_ieee_overflow 0
		.amdhsa_exception_fp_ieee_underflow 0
		.amdhsa_exception_fp_ieee_inexact 0
		.amdhsa_exception_int_div_zero 0
	.end_amdhsa_kernel
	.section	.text._ZN7rocprim17ROCPRIM_400000_NS6detail17trampoline_kernelINS0_13select_configILj256ELj13ELNS0_17block_load_methodE3ELS4_3ELS4_3ELNS0_20block_scan_algorithmE0ELj4294967295EEENS1_25partition_config_selectorILNS1_17partition_subalgoE3EjNS0_10empty_typeEbEEZZNS1_14partition_implILS8_3ELb0ES6_jNS0_17counting_iteratorIjlEEPS9_SE_NS0_5tupleIJPjSE_EEENSF_IJSE_SE_EEES9_SG_JZNS1_25segmented_radix_sort_implINS0_14default_configELb1EPKiPiPKlPlN2at6native12_GLOBAL__N_18offset_tEEE10hipError_tPvRmT1_PNSt15iterator_traitsISY_E10value_typeET2_T3_PNSZ_IS14_E10value_typeET4_jRbjT5_S1A_jjP12ihipStream_tbEUljE_EEESV_SW_SX_S14_S18_S1A_T6_T7_T9_mT8_S1C_bDpT10_ENKUlT_T0_E_clISt17integral_constantIbLb0EES1O_IbLb1EEEEDaS1K_S1L_EUlS1K_E_NS1_11comp_targetILNS1_3genE4ELNS1_11target_archE910ELNS1_3gpuE8ELNS1_3repE0EEENS1_30default_config_static_selectorELNS0_4arch9wavefront6targetE1EEEvSY_,"axG",@progbits,_ZN7rocprim17ROCPRIM_400000_NS6detail17trampoline_kernelINS0_13select_configILj256ELj13ELNS0_17block_load_methodE3ELS4_3ELS4_3ELNS0_20block_scan_algorithmE0ELj4294967295EEENS1_25partition_config_selectorILNS1_17partition_subalgoE3EjNS0_10empty_typeEbEEZZNS1_14partition_implILS8_3ELb0ES6_jNS0_17counting_iteratorIjlEEPS9_SE_NS0_5tupleIJPjSE_EEENSF_IJSE_SE_EEES9_SG_JZNS1_25segmented_radix_sort_implINS0_14default_configELb1EPKiPiPKlPlN2at6native12_GLOBAL__N_18offset_tEEE10hipError_tPvRmT1_PNSt15iterator_traitsISY_E10value_typeET2_T3_PNSZ_IS14_E10value_typeET4_jRbjT5_S1A_jjP12ihipStream_tbEUljE_EEESV_SW_SX_S14_S18_S1A_T6_T7_T9_mT8_S1C_bDpT10_ENKUlT_T0_E_clISt17integral_constantIbLb0EES1O_IbLb1EEEEDaS1K_S1L_EUlS1K_E_NS1_11comp_targetILNS1_3genE4ELNS1_11target_archE910ELNS1_3gpuE8ELNS1_3repE0EEENS1_30default_config_static_selectorELNS0_4arch9wavefront6targetE1EEEvSY_,comdat
.Lfunc_end491:
	.size	_ZN7rocprim17ROCPRIM_400000_NS6detail17trampoline_kernelINS0_13select_configILj256ELj13ELNS0_17block_load_methodE3ELS4_3ELS4_3ELNS0_20block_scan_algorithmE0ELj4294967295EEENS1_25partition_config_selectorILNS1_17partition_subalgoE3EjNS0_10empty_typeEbEEZZNS1_14partition_implILS8_3ELb0ES6_jNS0_17counting_iteratorIjlEEPS9_SE_NS0_5tupleIJPjSE_EEENSF_IJSE_SE_EEES9_SG_JZNS1_25segmented_radix_sort_implINS0_14default_configELb1EPKiPiPKlPlN2at6native12_GLOBAL__N_18offset_tEEE10hipError_tPvRmT1_PNSt15iterator_traitsISY_E10value_typeET2_T3_PNSZ_IS14_E10value_typeET4_jRbjT5_S1A_jjP12ihipStream_tbEUljE_EEESV_SW_SX_S14_S18_S1A_T6_T7_T9_mT8_S1C_bDpT10_ENKUlT_T0_E_clISt17integral_constantIbLb0EES1O_IbLb1EEEEDaS1K_S1L_EUlS1K_E_NS1_11comp_targetILNS1_3genE4ELNS1_11target_archE910ELNS1_3gpuE8ELNS1_3repE0EEENS1_30default_config_static_selectorELNS0_4arch9wavefront6targetE1EEEvSY_, .Lfunc_end491-_ZN7rocprim17ROCPRIM_400000_NS6detail17trampoline_kernelINS0_13select_configILj256ELj13ELNS0_17block_load_methodE3ELS4_3ELS4_3ELNS0_20block_scan_algorithmE0ELj4294967295EEENS1_25partition_config_selectorILNS1_17partition_subalgoE3EjNS0_10empty_typeEbEEZZNS1_14partition_implILS8_3ELb0ES6_jNS0_17counting_iteratorIjlEEPS9_SE_NS0_5tupleIJPjSE_EEENSF_IJSE_SE_EEES9_SG_JZNS1_25segmented_radix_sort_implINS0_14default_configELb1EPKiPiPKlPlN2at6native12_GLOBAL__N_18offset_tEEE10hipError_tPvRmT1_PNSt15iterator_traitsISY_E10value_typeET2_T3_PNSZ_IS14_E10value_typeET4_jRbjT5_S1A_jjP12ihipStream_tbEUljE_EEESV_SW_SX_S14_S18_S1A_T6_T7_T9_mT8_S1C_bDpT10_ENKUlT_T0_E_clISt17integral_constantIbLb0EES1O_IbLb1EEEEDaS1K_S1L_EUlS1K_E_NS1_11comp_targetILNS1_3genE4ELNS1_11target_archE910ELNS1_3gpuE8ELNS1_3repE0EEENS1_30default_config_static_selectorELNS0_4arch9wavefront6targetE1EEEvSY_
                                        ; -- End function
	.set _ZN7rocprim17ROCPRIM_400000_NS6detail17trampoline_kernelINS0_13select_configILj256ELj13ELNS0_17block_load_methodE3ELS4_3ELS4_3ELNS0_20block_scan_algorithmE0ELj4294967295EEENS1_25partition_config_selectorILNS1_17partition_subalgoE3EjNS0_10empty_typeEbEEZZNS1_14partition_implILS8_3ELb0ES6_jNS0_17counting_iteratorIjlEEPS9_SE_NS0_5tupleIJPjSE_EEENSF_IJSE_SE_EEES9_SG_JZNS1_25segmented_radix_sort_implINS0_14default_configELb1EPKiPiPKlPlN2at6native12_GLOBAL__N_18offset_tEEE10hipError_tPvRmT1_PNSt15iterator_traitsISY_E10value_typeET2_T3_PNSZ_IS14_E10value_typeET4_jRbjT5_S1A_jjP12ihipStream_tbEUljE_EEESV_SW_SX_S14_S18_S1A_T6_T7_T9_mT8_S1C_bDpT10_ENKUlT_T0_E_clISt17integral_constantIbLb0EES1O_IbLb1EEEEDaS1K_S1L_EUlS1K_E_NS1_11comp_targetILNS1_3genE4ELNS1_11target_archE910ELNS1_3gpuE8ELNS1_3repE0EEENS1_30default_config_static_selectorELNS0_4arch9wavefront6targetE1EEEvSY_.num_vgpr, 0
	.set _ZN7rocprim17ROCPRIM_400000_NS6detail17trampoline_kernelINS0_13select_configILj256ELj13ELNS0_17block_load_methodE3ELS4_3ELS4_3ELNS0_20block_scan_algorithmE0ELj4294967295EEENS1_25partition_config_selectorILNS1_17partition_subalgoE3EjNS0_10empty_typeEbEEZZNS1_14partition_implILS8_3ELb0ES6_jNS0_17counting_iteratorIjlEEPS9_SE_NS0_5tupleIJPjSE_EEENSF_IJSE_SE_EEES9_SG_JZNS1_25segmented_radix_sort_implINS0_14default_configELb1EPKiPiPKlPlN2at6native12_GLOBAL__N_18offset_tEEE10hipError_tPvRmT1_PNSt15iterator_traitsISY_E10value_typeET2_T3_PNSZ_IS14_E10value_typeET4_jRbjT5_S1A_jjP12ihipStream_tbEUljE_EEESV_SW_SX_S14_S18_S1A_T6_T7_T9_mT8_S1C_bDpT10_ENKUlT_T0_E_clISt17integral_constantIbLb0EES1O_IbLb1EEEEDaS1K_S1L_EUlS1K_E_NS1_11comp_targetILNS1_3genE4ELNS1_11target_archE910ELNS1_3gpuE8ELNS1_3repE0EEENS1_30default_config_static_selectorELNS0_4arch9wavefront6targetE1EEEvSY_.num_agpr, 0
	.set _ZN7rocprim17ROCPRIM_400000_NS6detail17trampoline_kernelINS0_13select_configILj256ELj13ELNS0_17block_load_methodE3ELS4_3ELS4_3ELNS0_20block_scan_algorithmE0ELj4294967295EEENS1_25partition_config_selectorILNS1_17partition_subalgoE3EjNS0_10empty_typeEbEEZZNS1_14partition_implILS8_3ELb0ES6_jNS0_17counting_iteratorIjlEEPS9_SE_NS0_5tupleIJPjSE_EEENSF_IJSE_SE_EEES9_SG_JZNS1_25segmented_radix_sort_implINS0_14default_configELb1EPKiPiPKlPlN2at6native12_GLOBAL__N_18offset_tEEE10hipError_tPvRmT1_PNSt15iterator_traitsISY_E10value_typeET2_T3_PNSZ_IS14_E10value_typeET4_jRbjT5_S1A_jjP12ihipStream_tbEUljE_EEESV_SW_SX_S14_S18_S1A_T6_T7_T9_mT8_S1C_bDpT10_ENKUlT_T0_E_clISt17integral_constantIbLb0EES1O_IbLb1EEEEDaS1K_S1L_EUlS1K_E_NS1_11comp_targetILNS1_3genE4ELNS1_11target_archE910ELNS1_3gpuE8ELNS1_3repE0EEENS1_30default_config_static_selectorELNS0_4arch9wavefront6targetE1EEEvSY_.numbered_sgpr, 0
	.set _ZN7rocprim17ROCPRIM_400000_NS6detail17trampoline_kernelINS0_13select_configILj256ELj13ELNS0_17block_load_methodE3ELS4_3ELS4_3ELNS0_20block_scan_algorithmE0ELj4294967295EEENS1_25partition_config_selectorILNS1_17partition_subalgoE3EjNS0_10empty_typeEbEEZZNS1_14partition_implILS8_3ELb0ES6_jNS0_17counting_iteratorIjlEEPS9_SE_NS0_5tupleIJPjSE_EEENSF_IJSE_SE_EEES9_SG_JZNS1_25segmented_radix_sort_implINS0_14default_configELb1EPKiPiPKlPlN2at6native12_GLOBAL__N_18offset_tEEE10hipError_tPvRmT1_PNSt15iterator_traitsISY_E10value_typeET2_T3_PNSZ_IS14_E10value_typeET4_jRbjT5_S1A_jjP12ihipStream_tbEUljE_EEESV_SW_SX_S14_S18_S1A_T6_T7_T9_mT8_S1C_bDpT10_ENKUlT_T0_E_clISt17integral_constantIbLb0EES1O_IbLb1EEEEDaS1K_S1L_EUlS1K_E_NS1_11comp_targetILNS1_3genE4ELNS1_11target_archE910ELNS1_3gpuE8ELNS1_3repE0EEENS1_30default_config_static_selectorELNS0_4arch9wavefront6targetE1EEEvSY_.num_named_barrier, 0
	.set _ZN7rocprim17ROCPRIM_400000_NS6detail17trampoline_kernelINS0_13select_configILj256ELj13ELNS0_17block_load_methodE3ELS4_3ELS4_3ELNS0_20block_scan_algorithmE0ELj4294967295EEENS1_25partition_config_selectorILNS1_17partition_subalgoE3EjNS0_10empty_typeEbEEZZNS1_14partition_implILS8_3ELb0ES6_jNS0_17counting_iteratorIjlEEPS9_SE_NS0_5tupleIJPjSE_EEENSF_IJSE_SE_EEES9_SG_JZNS1_25segmented_radix_sort_implINS0_14default_configELb1EPKiPiPKlPlN2at6native12_GLOBAL__N_18offset_tEEE10hipError_tPvRmT1_PNSt15iterator_traitsISY_E10value_typeET2_T3_PNSZ_IS14_E10value_typeET4_jRbjT5_S1A_jjP12ihipStream_tbEUljE_EEESV_SW_SX_S14_S18_S1A_T6_T7_T9_mT8_S1C_bDpT10_ENKUlT_T0_E_clISt17integral_constantIbLb0EES1O_IbLb1EEEEDaS1K_S1L_EUlS1K_E_NS1_11comp_targetILNS1_3genE4ELNS1_11target_archE910ELNS1_3gpuE8ELNS1_3repE0EEENS1_30default_config_static_selectorELNS0_4arch9wavefront6targetE1EEEvSY_.private_seg_size, 0
	.set _ZN7rocprim17ROCPRIM_400000_NS6detail17trampoline_kernelINS0_13select_configILj256ELj13ELNS0_17block_load_methodE3ELS4_3ELS4_3ELNS0_20block_scan_algorithmE0ELj4294967295EEENS1_25partition_config_selectorILNS1_17partition_subalgoE3EjNS0_10empty_typeEbEEZZNS1_14partition_implILS8_3ELb0ES6_jNS0_17counting_iteratorIjlEEPS9_SE_NS0_5tupleIJPjSE_EEENSF_IJSE_SE_EEES9_SG_JZNS1_25segmented_radix_sort_implINS0_14default_configELb1EPKiPiPKlPlN2at6native12_GLOBAL__N_18offset_tEEE10hipError_tPvRmT1_PNSt15iterator_traitsISY_E10value_typeET2_T3_PNSZ_IS14_E10value_typeET4_jRbjT5_S1A_jjP12ihipStream_tbEUljE_EEESV_SW_SX_S14_S18_S1A_T6_T7_T9_mT8_S1C_bDpT10_ENKUlT_T0_E_clISt17integral_constantIbLb0EES1O_IbLb1EEEEDaS1K_S1L_EUlS1K_E_NS1_11comp_targetILNS1_3genE4ELNS1_11target_archE910ELNS1_3gpuE8ELNS1_3repE0EEENS1_30default_config_static_selectorELNS0_4arch9wavefront6targetE1EEEvSY_.uses_vcc, 0
	.set _ZN7rocprim17ROCPRIM_400000_NS6detail17trampoline_kernelINS0_13select_configILj256ELj13ELNS0_17block_load_methodE3ELS4_3ELS4_3ELNS0_20block_scan_algorithmE0ELj4294967295EEENS1_25partition_config_selectorILNS1_17partition_subalgoE3EjNS0_10empty_typeEbEEZZNS1_14partition_implILS8_3ELb0ES6_jNS0_17counting_iteratorIjlEEPS9_SE_NS0_5tupleIJPjSE_EEENSF_IJSE_SE_EEES9_SG_JZNS1_25segmented_radix_sort_implINS0_14default_configELb1EPKiPiPKlPlN2at6native12_GLOBAL__N_18offset_tEEE10hipError_tPvRmT1_PNSt15iterator_traitsISY_E10value_typeET2_T3_PNSZ_IS14_E10value_typeET4_jRbjT5_S1A_jjP12ihipStream_tbEUljE_EEESV_SW_SX_S14_S18_S1A_T6_T7_T9_mT8_S1C_bDpT10_ENKUlT_T0_E_clISt17integral_constantIbLb0EES1O_IbLb1EEEEDaS1K_S1L_EUlS1K_E_NS1_11comp_targetILNS1_3genE4ELNS1_11target_archE910ELNS1_3gpuE8ELNS1_3repE0EEENS1_30default_config_static_selectorELNS0_4arch9wavefront6targetE1EEEvSY_.uses_flat_scratch, 0
	.set _ZN7rocprim17ROCPRIM_400000_NS6detail17trampoline_kernelINS0_13select_configILj256ELj13ELNS0_17block_load_methodE3ELS4_3ELS4_3ELNS0_20block_scan_algorithmE0ELj4294967295EEENS1_25partition_config_selectorILNS1_17partition_subalgoE3EjNS0_10empty_typeEbEEZZNS1_14partition_implILS8_3ELb0ES6_jNS0_17counting_iteratorIjlEEPS9_SE_NS0_5tupleIJPjSE_EEENSF_IJSE_SE_EEES9_SG_JZNS1_25segmented_radix_sort_implINS0_14default_configELb1EPKiPiPKlPlN2at6native12_GLOBAL__N_18offset_tEEE10hipError_tPvRmT1_PNSt15iterator_traitsISY_E10value_typeET2_T3_PNSZ_IS14_E10value_typeET4_jRbjT5_S1A_jjP12ihipStream_tbEUljE_EEESV_SW_SX_S14_S18_S1A_T6_T7_T9_mT8_S1C_bDpT10_ENKUlT_T0_E_clISt17integral_constantIbLb0EES1O_IbLb1EEEEDaS1K_S1L_EUlS1K_E_NS1_11comp_targetILNS1_3genE4ELNS1_11target_archE910ELNS1_3gpuE8ELNS1_3repE0EEENS1_30default_config_static_selectorELNS0_4arch9wavefront6targetE1EEEvSY_.has_dyn_sized_stack, 0
	.set _ZN7rocprim17ROCPRIM_400000_NS6detail17trampoline_kernelINS0_13select_configILj256ELj13ELNS0_17block_load_methodE3ELS4_3ELS4_3ELNS0_20block_scan_algorithmE0ELj4294967295EEENS1_25partition_config_selectorILNS1_17partition_subalgoE3EjNS0_10empty_typeEbEEZZNS1_14partition_implILS8_3ELb0ES6_jNS0_17counting_iteratorIjlEEPS9_SE_NS0_5tupleIJPjSE_EEENSF_IJSE_SE_EEES9_SG_JZNS1_25segmented_radix_sort_implINS0_14default_configELb1EPKiPiPKlPlN2at6native12_GLOBAL__N_18offset_tEEE10hipError_tPvRmT1_PNSt15iterator_traitsISY_E10value_typeET2_T3_PNSZ_IS14_E10value_typeET4_jRbjT5_S1A_jjP12ihipStream_tbEUljE_EEESV_SW_SX_S14_S18_S1A_T6_T7_T9_mT8_S1C_bDpT10_ENKUlT_T0_E_clISt17integral_constantIbLb0EES1O_IbLb1EEEEDaS1K_S1L_EUlS1K_E_NS1_11comp_targetILNS1_3genE4ELNS1_11target_archE910ELNS1_3gpuE8ELNS1_3repE0EEENS1_30default_config_static_selectorELNS0_4arch9wavefront6targetE1EEEvSY_.has_recursion, 0
	.set _ZN7rocprim17ROCPRIM_400000_NS6detail17trampoline_kernelINS0_13select_configILj256ELj13ELNS0_17block_load_methodE3ELS4_3ELS4_3ELNS0_20block_scan_algorithmE0ELj4294967295EEENS1_25partition_config_selectorILNS1_17partition_subalgoE3EjNS0_10empty_typeEbEEZZNS1_14partition_implILS8_3ELb0ES6_jNS0_17counting_iteratorIjlEEPS9_SE_NS0_5tupleIJPjSE_EEENSF_IJSE_SE_EEES9_SG_JZNS1_25segmented_radix_sort_implINS0_14default_configELb1EPKiPiPKlPlN2at6native12_GLOBAL__N_18offset_tEEE10hipError_tPvRmT1_PNSt15iterator_traitsISY_E10value_typeET2_T3_PNSZ_IS14_E10value_typeET4_jRbjT5_S1A_jjP12ihipStream_tbEUljE_EEESV_SW_SX_S14_S18_S1A_T6_T7_T9_mT8_S1C_bDpT10_ENKUlT_T0_E_clISt17integral_constantIbLb0EES1O_IbLb1EEEEDaS1K_S1L_EUlS1K_E_NS1_11comp_targetILNS1_3genE4ELNS1_11target_archE910ELNS1_3gpuE8ELNS1_3repE0EEENS1_30default_config_static_selectorELNS0_4arch9wavefront6targetE1EEEvSY_.has_indirect_call, 0
	.section	.AMDGPU.csdata,"",@progbits
; Kernel info:
; codeLenInByte = 0
; TotalNumSgprs: 4
; NumVgprs: 0
; ScratchSize: 0
; MemoryBound: 0
; FloatMode: 240
; IeeeMode: 1
; LDSByteSize: 0 bytes/workgroup (compile time only)
; SGPRBlocks: 0
; VGPRBlocks: 0
; NumSGPRsForWavesPerEU: 4
; NumVGPRsForWavesPerEU: 1
; Occupancy: 10
; WaveLimiterHint : 0
; COMPUTE_PGM_RSRC2:SCRATCH_EN: 0
; COMPUTE_PGM_RSRC2:USER_SGPR: 6
; COMPUTE_PGM_RSRC2:TRAP_HANDLER: 0
; COMPUTE_PGM_RSRC2:TGID_X_EN: 1
; COMPUTE_PGM_RSRC2:TGID_Y_EN: 0
; COMPUTE_PGM_RSRC2:TGID_Z_EN: 0
; COMPUTE_PGM_RSRC2:TIDIG_COMP_CNT: 0
	.section	.text._ZN7rocprim17ROCPRIM_400000_NS6detail17trampoline_kernelINS0_13select_configILj256ELj13ELNS0_17block_load_methodE3ELS4_3ELS4_3ELNS0_20block_scan_algorithmE0ELj4294967295EEENS1_25partition_config_selectorILNS1_17partition_subalgoE3EjNS0_10empty_typeEbEEZZNS1_14partition_implILS8_3ELb0ES6_jNS0_17counting_iteratorIjlEEPS9_SE_NS0_5tupleIJPjSE_EEENSF_IJSE_SE_EEES9_SG_JZNS1_25segmented_radix_sort_implINS0_14default_configELb1EPKiPiPKlPlN2at6native12_GLOBAL__N_18offset_tEEE10hipError_tPvRmT1_PNSt15iterator_traitsISY_E10value_typeET2_T3_PNSZ_IS14_E10value_typeET4_jRbjT5_S1A_jjP12ihipStream_tbEUljE_EEESV_SW_SX_S14_S18_S1A_T6_T7_T9_mT8_S1C_bDpT10_ENKUlT_T0_E_clISt17integral_constantIbLb0EES1O_IbLb1EEEEDaS1K_S1L_EUlS1K_E_NS1_11comp_targetILNS1_3genE3ELNS1_11target_archE908ELNS1_3gpuE7ELNS1_3repE0EEENS1_30default_config_static_selectorELNS0_4arch9wavefront6targetE1EEEvSY_,"axG",@progbits,_ZN7rocprim17ROCPRIM_400000_NS6detail17trampoline_kernelINS0_13select_configILj256ELj13ELNS0_17block_load_methodE3ELS4_3ELS4_3ELNS0_20block_scan_algorithmE0ELj4294967295EEENS1_25partition_config_selectorILNS1_17partition_subalgoE3EjNS0_10empty_typeEbEEZZNS1_14partition_implILS8_3ELb0ES6_jNS0_17counting_iteratorIjlEEPS9_SE_NS0_5tupleIJPjSE_EEENSF_IJSE_SE_EEES9_SG_JZNS1_25segmented_radix_sort_implINS0_14default_configELb1EPKiPiPKlPlN2at6native12_GLOBAL__N_18offset_tEEE10hipError_tPvRmT1_PNSt15iterator_traitsISY_E10value_typeET2_T3_PNSZ_IS14_E10value_typeET4_jRbjT5_S1A_jjP12ihipStream_tbEUljE_EEESV_SW_SX_S14_S18_S1A_T6_T7_T9_mT8_S1C_bDpT10_ENKUlT_T0_E_clISt17integral_constantIbLb0EES1O_IbLb1EEEEDaS1K_S1L_EUlS1K_E_NS1_11comp_targetILNS1_3genE3ELNS1_11target_archE908ELNS1_3gpuE7ELNS1_3repE0EEENS1_30default_config_static_selectorELNS0_4arch9wavefront6targetE1EEEvSY_,comdat
	.globl	_ZN7rocprim17ROCPRIM_400000_NS6detail17trampoline_kernelINS0_13select_configILj256ELj13ELNS0_17block_load_methodE3ELS4_3ELS4_3ELNS0_20block_scan_algorithmE0ELj4294967295EEENS1_25partition_config_selectorILNS1_17partition_subalgoE3EjNS0_10empty_typeEbEEZZNS1_14partition_implILS8_3ELb0ES6_jNS0_17counting_iteratorIjlEEPS9_SE_NS0_5tupleIJPjSE_EEENSF_IJSE_SE_EEES9_SG_JZNS1_25segmented_radix_sort_implINS0_14default_configELb1EPKiPiPKlPlN2at6native12_GLOBAL__N_18offset_tEEE10hipError_tPvRmT1_PNSt15iterator_traitsISY_E10value_typeET2_T3_PNSZ_IS14_E10value_typeET4_jRbjT5_S1A_jjP12ihipStream_tbEUljE_EEESV_SW_SX_S14_S18_S1A_T6_T7_T9_mT8_S1C_bDpT10_ENKUlT_T0_E_clISt17integral_constantIbLb0EES1O_IbLb1EEEEDaS1K_S1L_EUlS1K_E_NS1_11comp_targetILNS1_3genE3ELNS1_11target_archE908ELNS1_3gpuE7ELNS1_3repE0EEENS1_30default_config_static_selectorELNS0_4arch9wavefront6targetE1EEEvSY_ ; -- Begin function _ZN7rocprim17ROCPRIM_400000_NS6detail17trampoline_kernelINS0_13select_configILj256ELj13ELNS0_17block_load_methodE3ELS4_3ELS4_3ELNS0_20block_scan_algorithmE0ELj4294967295EEENS1_25partition_config_selectorILNS1_17partition_subalgoE3EjNS0_10empty_typeEbEEZZNS1_14partition_implILS8_3ELb0ES6_jNS0_17counting_iteratorIjlEEPS9_SE_NS0_5tupleIJPjSE_EEENSF_IJSE_SE_EEES9_SG_JZNS1_25segmented_radix_sort_implINS0_14default_configELb1EPKiPiPKlPlN2at6native12_GLOBAL__N_18offset_tEEE10hipError_tPvRmT1_PNSt15iterator_traitsISY_E10value_typeET2_T3_PNSZ_IS14_E10value_typeET4_jRbjT5_S1A_jjP12ihipStream_tbEUljE_EEESV_SW_SX_S14_S18_S1A_T6_T7_T9_mT8_S1C_bDpT10_ENKUlT_T0_E_clISt17integral_constantIbLb0EES1O_IbLb1EEEEDaS1K_S1L_EUlS1K_E_NS1_11comp_targetILNS1_3genE3ELNS1_11target_archE908ELNS1_3gpuE7ELNS1_3repE0EEENS1_30default_config_static_selectorELNS0_4arch9wavefront6targetE1EEEvSY_
	.p2align	8
	.type	_ZN7rocprim17ROCPRIM_400000_NS6detail17trampoline_kernelINS0_13select_configILj256ELj13ELNS0_17block_load_methodE3ELS4_3ELS4_3ELNS0_20block_scan_algorithmE0ELj4294967295EEENS1_25partition_config_selectorILNS1_17partition_subalgoE3EjNS0_10empty_typeEbEEZZNS1_14partition_implILS8_3ELb0ES6_jNS0_17counting_iteratorIjlEEPS9_SE_NS0_5tupleIJPjSE_EEENSF_IJSE_SE_EEES9_SG_JZNS1_25segmented_radix_sort_implINS0_14default_configELb1EPKiPiPKlPlN2at6native12_GLOBAL__N_18offset_tEEE10hipError_tPvRmT1_PNSt15iterator_traitsISY_E10value_typeET2_T3_PNSZ_IS14_E10value_typeET4_jRbjT5_S1A_jjP12ihipStream_tbEUljE_EEESV_SW_SX_S14_S18_S1A_T6_T7_T9_mT8_S1C_bDpT10_ENKUlT_T0_E_clISt17integral_constantIbLb0EES1O_IbLb1EEEEDaS1K_S1L_EUlS1K_E_NS1_11comp_targetILNS1_3genE3ELNS1_11target_archE908ELNS1_3gpuE7ELNS1_3repE0EEENS1_30default_config_static_selectorELNS0_4arch9wavefront6targetE1EEEvSY_,@function
_ZN7rocprim17ROCPRIM_400000_NS6detail17trampoline_kernelINS0_13select_configILj256ELj13ELNS0_17block_load_methodE3ELS4_3ELS4_3ELNS0_20block_scan_algorithmE0ELj4294967295EEENS1_25partition_config_selectorILNS1_17partition_subalgoE3EjNS0_10empty_typeEbEEZZNS1_14partition_implILS8_3ELb0ES6_jNS0_17counting_iteratorIjlEEPS9_SE_NS0_5tupleIJPjSE_EEENSF_IJSE_SE_EEES9_SG_JZNS1_25segmented_radix_sort_implINS0_14default_configELb1EPKiPiPKlPlN2at6native12_GLOBAL__N_18offset_tEEE10hipError_tPvRmT1_PNSt15iterator_traitsISY_E10value_typeET2_T3_PNSZ_IS14_E10value_typeET4_jRbjT5_S1A_jjP12ihipStream_tbEUljE_EEESV_SW_SX_S14_S18_S1A_T6_T7_T9_mT8_S1C_bDpT10_ENKUlT_T0_E_clISt17integral_constantIbLb0EES1O_IbLb1EEEEDaS1K_S1L_EUlS1K_E_NS1_11comp_targetILNS1_3genE3ELNS1_11target_archE908ELNS1_3gpuE7ELNS1_3repE0EEENS1_30default_config_static_selectorELNS0_4arch9wavefront6targetE1EEEvSY_: ; @_ZN7rocprim17ROCPRIM_400000_NS6detail17trampoline_kernelINS0_13select_configILj256ELj13ELNS0_17block_load_methodE3ELS4_3ELS4_3ELNS0_20block_scan_algorithmE0ELj4294967295EEENS1_25partition_config_selectorILNS1_17partition_subalgoE3EjNS0_10empty_typeEbEEZZNS1_14partition_implILS8_3ELb0ES6_jNS0_17counting_iteratorIjlEEPS9_SE_NS0_5tupleIJPjSE_EEENSF_IJSE_SE_EEES9_SG_JZNS1_25segmented_radix_sort_implINS0_14default_configELb1EPKiPiPKlPlN2at6native12_GLOBAL__N_18offset_tEEE10hipError_tPvRmT1_PNSt15iterator_traitsISY_E10value_typeET2_T3_PNSZ_IS14_E10value_typeET4_jRbjT5_S1A_jjP12ihipStream_tbEUljE_EEESV_SW_SX_S14_S18_S1A_T6_T7_T9_mT8_S1C_bDpT10_ENKUlT_T0_E_clISt17integral_constantIbLb0EES1O_IbLb1EEEEDaS1K_S1L_EUlS1K_E_NS1_11comp_targetILNS1_3genE3ELNS1_11target_archE908ELNS1_3gpuE7ELNS1_3repE0EEENS1_30default_config_static_selectorELNS0_4arch9wavefront6targetE1EEEvSY_
; %bb.0:
	.section	.rodata,"a",@progbits
	.p2align	6, 0x0
	.amdhsa_kernel _ZN7rocprim17ROCPRIM_400000_NS6detail17trampoline_kernelINS0_13select_configILj256ELj13ELNS0_17block_load_methodE3ELS4_3ELS4_3ELNS0_20block_scan_algorithmE0ELj4294967295EEENS1_25partition_config_selectorILNS1_17partition_subalgoE3EjNS0_10empty_typeEbEEZZNS1_14partition_implILS8_3ELb0ES6_jNS0_17counting_iteratorIjlEEPS9_SE_NS0_5tupleIJPjSE_EEENSF_IJSE_SE_EEES9_SG_JZNS1_25segmented_radix_sort_implINS0_14default_configELb1EPKiPiPKlPlN2at6native12_GLOBAL__N_18offset_tEEE10hipError_tPvRmT1_PNSt15iterator_traitsISY_E10value_typeET2_T3_PNSZ_IS14_E10value_typeET4_jRbjT5_S1A_jjP12ihipStream_tbEUljE_EEESV_SW_SX_S14_S18_S1A_T6_T7_T9_mT8_S1C_bDpT10_ENKUlT_T0_E_clISt17integral_constantIbLb0EES1O_IbLb1EEEEDaS1K_S1L_EUlS1K_E_NS1_11comp_targetILNS1_3genE3ELNS1_11target_archE908ELNS1_3gpuE7ELNS1_3repE0EEENS1_30default_config_static_selectorELNS0_4arch9wavefront6targetE1EEEvSY_
		.amdhsa_group_segment_fixed_size 0
		.amdhsa_private_segment_fixed_size 0
		.amdhsa_kernarg_size 152
		.amdhsa_user_sgpr_count 6
		.amdhsa_user_sgpr_private_segment_buffer 1
		.amdhsa_user_sgpr_dispatch_ptr 0
		.amdhsa_user_sgpr_queue_ptr 0
		.amdhsa_user_sgpr_kernarg_segment_ptr 1
		.amdhsa_user_sgpr_dispatch_id 0
		.amdhsa_user_sgpr_flat_scratch_init 0
		.amdhsa_user_sgpr_private_segment_size 0
		.amdhsa_uses_dynamic_stack 0
		.amdhsa_system_sgpr_private_segment_wavefront_offset 0
		.amdhsa_system_sgpr_workgroup_id_x 1
		.amdhsa_system_sgpr_workgroup_id_y 0
		.amdhsa_system_sgpr_workgroup_id_z 0
		.amdhsa_system_sgpr_workgroup_info 0
		.amdhsa_system_vgpr_workitem_id 0
		.amdhsa_next_free_vgpr 1
		.amdhsa_next_free_sgpr 0
		.amdhsa_reserve_vcc 0
		.amdhsa_reserve_flat_scratch 0
		.amdhsa_float_round_mode_32 0
		.amdhsa_float_round_mode_16_64 0
		.amdhsa_float_denorm_mode_32 3
		.amdhsa_float_denorm_mode_16_64 3
		.amdhsa_dx10_clamp 1
		.amdhsa_ieee_mode 1
		.amdhsa_fp16_overflow 0
		.amdhsa_exception_fp_ieee_invalid_op 0
		.amdhsa_exception_fp_denorm_src 0
		.amdhsa_exception_fp_ieee_div_zero 0
		.amdhsa_exception_fp_ieee_overflow 0
		.amdhsa_exception_fp_ieee_underflow 0
		.amdhsa_exception_fp_ieee_inexact 0
		.amdhsa_exception_int_div_zero 0
	.end_amdhsa_kernel
	.section	.text._ZN7rocprim17ROCPRIM_400000_NS6detail17trampoline_kernelINS0_13select_configILj256ELj13ELNS0_17block_load_methodE3ELS4_3ELS4_3ELNS0_20block_scan_algorithmE0ELj4294967295EEENS1_25partition_config_selectorILNS1_17partition_subalgoE3EjNS0_10empty_typeEbEEZZNS1_14partition_implILS8_3ELb0ES6_jNS0_17counting_iteratorIjlEEPS9_SE_NS0_5tupleIJPjSE_EEENSF_IJSE_SE_EEES9_SG_JZNS1_25segmented_radix_sort_implINS0_14default_configELb1EPKiPiPKlPlN2at6native12_GLOBAL__N_18offset_tEEE10hipError_tPvRmT1_PNSt15iterator_traitsISY_E10value_typeET2_T3_PNSZ_IS14_E10value_typeET4_jRbjT5_S1A_jjP12ihipStream_tbEUljE_EEESV_SW_SX_S14_S18_S1A_T6_T7_T9_mT8_S1C_bDpT10_ENKUlT_T0_E_clISt17integral_constantIbLb0EES1O_IbLb1EEEEDaS1K_S1L_EUlS1K_E_NS1_11comp_targetILNS1_3genE3ELNS1_11target_archE908ELNS1_3gpuE7ELNS1_3repE0EEENS1_30default_config_static_selectorELNS0_4arch9wavefront6targetE1EEEvSY_,"axG",@progbits,_ZN7rocprim17ROCPRIM_400000_NS6detail17trampoline_kernelINS0_13select_configILj256ELj13ELNS0_17block_load_methodE3ELS4_3ELS4_3ELNS0_20block_scan_algorithmE0ELj4294967295EEENS1_25partition_config_selectorILNS1_17partition_subalgoE3EjNS0_10empty_typeEbEEZZNS1_14partition_implILS8_3ELb0ES6_jNS0_17counting_iteratorIjlEEPS9_SE_NS0_5tupleIJPjSE_EEENSF_IJSE_SE_EEES9_SG_JZNS1_25segmented_radix_sort_implINS0_14default_configELb1EPKiPiPKlPlN2at6native12_GLOBAL__N_18offset_tEEE10hipError_tPvRmT1_PNSt15iterator_traitsISY_E10value_typeET2_T3_PNSZ_IS14_E10value_typeET4_jRbjT5_S1A_jjP12ihipStream_tbEUljE_EEESV_SW_SX_S14_S18_S1A_T6_T7_T9_mT8_S1C_bDpT10_ENKUlT_T0_E_clISt17integral_constantIbLb0EES1O_IbLb1EEEEDaS1K_S1L_EUlS1K_E_NS1_11comp_targetILNS1_3genE3ELNS1_11target_archE908ELNS1_3gpuE7ELNS1_3repE0EEENS1_30default_config_static_selectorELNS0_4arch9wavefront6targetE1EEEvSY_,comdat
.Lfunc_end492:
	.size	_ZN7rocprim17ROCPRIM_400000_NS6detail17trampoline_kernelINS0_13select_configILj256ELj13ELNS0_17block_load_methodE3ELS4_3ELS4_3ELNS0_20block_scan_algorithmE0ELj4294967295EEENS1_25partition_config_selectorILNS1_17partition_subalgoE3EjNS0_10empty_typeEbEEZZNS1_14partition_implILS8_3ELb0ES6_jNS0_17counting_iteratorIjlEEPS9_SE_NS0_5tupleIJPjSE_EEENSF_IJSE_SE_EEES9_SG_JZNS1_25segmented_radix_sort_implINS0_14default_configELb1EPKiPiPKlPlN2at6native12_GLOBAL__N_18offset_tEEE10hipError_tPvRmT1_PNSt15iterator_traitsISY_E10value_typeET2_T3_PNSZ_IS14_E10value_typeET4_jRbjT5_S1A_jjP12ihipStream_tbEUljE_EEESV_SW_SX_S14_S18_S1A_T6_T7_T9_mT8_S1C_bDpT10_ENKUlT_T0_E_clISt17integral_constantIbLb0EES1O_IbLb1EEEEDaS1K_S1L_EUlS1K_E_NS1_11comp_targetILNS1_3genE3ELNS1_11target_archE908ELNS1_3gpuE7ELNS1_3repE0EEENS1_30default_config_static_selectorELNS0_4arch9wavefront6targetE1EEEvSY_, .Lfunc_end492-_ZN7rocprim17ROCPRIM_400000_NS6detail17trampoline_kernelINS0_13select_configILj256ELj13ELNS0_17block_load_methodE3ELS4_3ELS4_3ELNS0_20block_scan_algorithmE0ELj4294967295EEENS1_25partition_config_selectorILNS1_17partition_subalgoE3EjNS0_10empty_typeEbEEZZNS1_14partition_implILS8_3ELb0ES6_jNS0_17counting_iteratorIjlEEPS9_SE_NS0_5tupleIJPjSE_EEENSF_IJSE_SE_EEES9_SG_JZNS1_25segmented_radix_sort_implINS0_14default_configELb1EPKiPiPKlPlN2at6native12_GLOBAL__N_18offset_tEEE10hipError_tPvRmT1_PNSt15iterator_traitsISY_E10value_typeET2_T3_PNSZ_IS14_E10value_typeET4_jRbjT5_S1A_jjP12ihipStream_tbEUljE_EEESV_SW_SX_S14_S18_S1A_T6_T7_T9_mT8_S1C_bDpT10_ENKUlT_T0_E_clISt17integral_constantIbLb0EES1O_IbLb1EEEEDaS1K_S1L_EUlS1K_E_NS1_11comp_targetILNS1_3genE3ELNS1_11target_archE908ELNS1_3gpuE7ELNS1_3repE0EEENS1_30default_config_static_selectorELNS0_4arch9wavefront6targetE1EEEvSY_
                                        ; -- End function
	.set _ZN7rocprim17ROCPRIM_400000_NS6detail17trampoline_kernelINS0_13select_configILj256ELj13ELNS0_17block_load_methodE3ELS4_3ELS4_3ELNS0_20block_scan_algorithmE0ELj4294967295EEENS1_25partition_config_selectorILNS1_17partition_subalgoE3EjNS0_10empty_typeEbEEZZNS1_14partition_implILS8_3ELb0ES6_jNS0_17counting_iteratorIjlEEPS9_SE_NS0_5tupleIJPjSE_EEENSF_IJSE_SE_EEES9_SG_JZNS1_25segmented_radix_sort_implINS0_14default_configELb1EPKiPiPKlPlN2at6native12_GLOBAL__N_18offset_tEEE10hipError_tPvRmT1_PNSt15iterator_traitsISY_E10value_typeET2_T3_PNSZ_IS14_E10value_typeET4_jRbjT5_S1A_jjP12ihipStream_tbEUljE_EEESV_SW_SX_S14_S18_S1A_T6_T7_T9_mT8_S1C_bDpT10_ENKUlT_T0_E_clISt17integral_constantIbLb0EES1O_IbLb1EEEEDaS1K_S1L_EUlS1K_E_NS1_11comp_targetILNS1_3genE3ELNS1_11target_archE908ELNS1_3gpuE7ELNS1_3repE0EEENS1_30default_config_static_selectorELNS0_4arch9wavefront6targetE1EEEvSY_.num_vgpr, 0
	.set _ZN7rocprim17ROCPRIM_400000_NS6detail17trampoline_kernelINS0_13select_configILj256ELj13ELNS0_17block_load_methodE3ELS4_3ELS4_3ELNS0_20block_scan_algorithmE0ELj4294967295EEENS1_25partition_config_selectorILNS1_17partition_subalgoE3EjNS0_10empty_typeEbEEZZNS1_14partition_implILS8_3ELb0ES6_jNS0_17counting_iteratorIjlEEPS9_SE_NS0_5tupleIJPjSE_EEENSF_IJSE_SE_EEES9_SG_JZNS1_25segmented_radix_sort_implINS0_14default_configELb1EPKiPiPKlPlN2at6native12_GLOBAL__N_18offset_tEEE10hipError_tPvRmT1_PNSt15iterator_traitsISY_E10value_typeET2_T3_PNSZ_IS14_E10value_typeET4_jRbjT5_S1A_jjP12ihipStream_tbEUljE_EEESV_SW_SX_S14_S18_S1A_T6_T7_T9_mT8_S1C_bDpT10_ENKUlT_T0_E_clISt17integral_constantIbLb0EES1O_IbLb1EEEEDaS1K_S1L_EUlS1K_E_NS1_11comp_targetILNS1_3genE3ELNS1_11target_archE908ELNS1_3gpuE7ELNS1_3repE0EEENS1_30default_config_static_selectorELNS0_4arch9wavefront6targetE1EEEvSY_.num_agpr, 0
	.set _ZN7rocprim17ROCPRIM_400000_NS6detail17trampoline_kernelINS0_13select_configILj256ELj13ELNS0_17block_load_methodE3ELS4_3ELS4_3ELNS0_20block_scan_algorithmE0ELj4294967295EEENS1_25partition_config_selectorILNS1_17partition_subalgoE3EjNS0_10empty_typeEbEEZZNS1_14partition_implILS8_3ELb0ES6_jNS0_17counting_iteratorIjlEEPS9_SE_NS0_5tupleIJPjSE_EEENSF_IJSE_SE_EEES9_SG_JZNS1_25segmented_radix_sort_implINS0_14default_configELb1EPKiPiPKlPlN2at6native12_GLOBAL__N_18offset_tEEE10hipError_tPvRmT1_PNSt15iterator_traitsISY_E10value_typeET2_T3_PNSZ_IS14_E10value_typeET4_jRbjT5_S1A_jjP12ihipStream_tbEUljE_EEESV_SW_SX_S14_S18_S1A_T6_T7_T9_mT8_S1C_bDpT10_ENKUlT_T0_E_clISt17integral_constantIbLb0EES1O_IbLb1EEEEDaS1K_S1L_EUlS1K_E_NS1_11comp_targetILNS1_3genE3ELNS1_11target_archE908ELNS1_3gpuE7ELNS1_3repE0EEENS1_30default_config_static_selectorELNS0_4arch9wavefront6targetE1EEEvSY_.numbered_sgpr, 0
	.set _ZN7rocprim17ROCPRIM_400000_NS6detail17trampoline_kernelINS0_13select_configILj256ELj13ELNS0_17block_load_methodE3ELS4_3ELS4_3ELNS0_20block_scan_algorithmE0ELj4294967295EEENS1_25partition_config_selectorILNS1_17partition_subalgoE3EjNS0_10empty_typeEbEEZZNS1_14partition_implILS8_3ELb0ES6_jNS0_17counting_iteratorIjlEEPS9_SE_NS0_5tupleIJPjSE_EEENSF_IJSE_SE_EEES9_SG_JZNS1_25segmented_radix_sort_implINS0_14default_configELb1EPKiPiPKlPlN2at6native12_GLOBAL__N_18offset_tEEE10hipError_tPvRmT1_PNSt15iterator_traitsISY_E10value_typeET2_T3_PNSZ_IS14_E10value_typeET4_jRbjT5_S1A_jjP12ihipStream_tbEUljE_EEESV_SW_SX_S14_S18_S1A_T6_T7_T9_mT8_S1C_bDpT10_ENKUlT_T0_E_clISt17integral_constantIbLb0EES1O_IbLb1EEEEDaS1K_S1L_EUlS1K_E_NS1_11comp_targetILNS1_3genE3ELNS1_11target_archE908ELNS1_3gpuE7ELNS1_3repE0EEENS1_30default_config_static_selectorELNS0_4arch9wavefront6targetE1EEEvSY_.num_named_barrier, 0
	.set _ZN7rocprim17ROCPRIM_400000_NS6detail17trampoline_kernelINS0_13select_configILj256ELj13ELNS0_17block_load_methodE3ELS4_3ELS4_3ELNS0_20block_scan_algorithmE0ELj4294967295EEENS1_25partition_config_selectorILNS1_17partition_subalgoE3EjNS0_10empty_typeEbEEZZNS1_14partition_implILS8_3ELb0ES6_jNS0_17counting_iteratorIjlEEPS9_SE_NS0_5tupleIJPjSE_EEENSF_IJSE_SE_EEES9_SG_JZNS1_25segmented_radix_sort_implINS0_14default_configELb1EPKiPiPKlPlN2at6native12_GLOBAL__N_18offset_tEEE10hipError_tPvRmT1_PNSt15iterator_traitsISY_E10value_typeET2_T3_PNSZ_IS14_E10value_typeET4_jRbjT5_S1A_jjP12ihipStream_tbEUljE_EEESV_SW_SX_S14_S18_S1A_T6_T7_T9_mT8_S1C_bDpT10_ENKUlT_T0_E_clISt17integral_constantIbLb0EES1O_IbLb1EEEEDaS1K_S1L_EUlS1K_E_NS1_11comp_targetILNS1_3genE3ELNS1_11target_archE908ELNS1_3gpuE7ELNS1_3repE0EEENS1_30default_config_static_selectorELNS0_4arch9wavefront6targetE1EEEvSY_.private_seg_size, 0
	.set _ZN7rocprim17ROCPRIM_400000_NS6detail17trampoline_kernelINS0_13select_configILj256ELj13ELNS0_17block_load_methodE3ELS4_3ELS4_3ELNS0_20block_scan_algorithmE0ELj4294967295EEENS1_25partition_config_selectorILNS1_17partition_subalgoE3EjNS0_10empty_typeEbEEZZNS1_14partition_implILS8_3ELb0ES6_jNS0_17counting_iteratorIjlEEPS9_SE_NS0_5tupleIJPjSE_EEENSF_IJSE_SE_EEES9_SG_JZNS1_25segmented_radix_sort_implINS0_14default_configELb1EPKiPiPKlPlN2at6native12_GLOBAL__N_18offset_tEEE10hipError_tPvRmT1_PNSt15iterator_traitsISY_E10value_typeET2_T3_PNSZ_IS14_E10value_typeET4_jRbjT5_S1A_jjP12ihipStream_tbEUljE_EEESV_SW_SX_S14_S18_S1A_T6_T7_T9_mT8_S1C_bDpT10_ENKUlT_T0_E_clISt17integral_constantIbLb0EES1O_IbLb1EEEEDaS1K_S1L_EUlS1K_E_NS1_11comp_targetILNS1_3genE3ELNS1_11target_archE908ELNS1_3gpuE7ELNS1_3repE0EEENS1_30default_config_static_selectorELNS0_4arch9wavefront6targetE1EEEvSY_.uses_vcc, 0
	.set _ZN7rocprim17ROCPRIM_400000_NS6detail17trampoline_kernelINS0_13select_configILj256ELj13ELNS0_17block_load_methodE3ELS4_3ELS4_3ELNS0_20block_scan_algorithmE0ELj4294967295EEENS1_25partition_config_selectorILNS1_17partition_subalgoE3EjNS0_10empty_typeEbEEZZNS1_14partition_implILS8_3ELb0ES6_jNS0_17counting_iteratorIjlEEPS9_SE_NS0_5tupleIJPjSE_EEENSF_IJSE_SE_EEES9_SG_JZNS1_25segmented_radix_sort_implINS0_14default_configELb1EPKiPiPKlPlN2at6native12_GLOBAL__N_18offset_tEEE10hipError_tPvRmT1_PNSt15iterator_traitsISY_E10value_typeET2_T3_PNSZ_IS14_E10value_typeET4_jRbjT5_S1A_jjP12ihipStream_tbEUljE_EEESV_SW_SX_S14_S18_S1A_T6_T7_T9_mT8_S1C_bDpT10_ENKUlT_T0_E_clISt17integral_constantIbLb0EES1O_IbLb1EEEEDaS1K_S1L_EUlS1K_E_NS1_11comp_targetILNS1_3genE3ELNS1_11target_archE908ELNS1_3gpuE7ELNS1_3repE0EEENS1_30default_config_static_selectorELNS0_4arch9wavefront6targetE1EEEvSY_.uses_flat_scratch, 0
	.set _ZN7rocprim17ROCPRIM_400000_NS6detail17trampoline_kernelINS0_13select_configILj256ELj13ELNS0_17block_load_methodE3ELS4_3ELS4_3ELNS0_20block_scan_algorithmE0ELj4294967295EEENS1_25partition_config_selectorILNS1_17partition_subalgoE3EjNS0_10empty_typeEbEEZZNS1_14partition_implILS8_3ELb0ES6_jNS0_17counting_iteratorIjlEEPS9_SE_NS0_5tupleIJPjSE_EEENSF_IJSE_SE_EEES9_SG_JZNS1_25segmented_radix_sort_implINS0_14default_configELb1EPKiPiPKlPlN2at6native12_GLOBAL__N_18offset_tEEE10hipError_tPvRmT1_PNSt15iterator_traitsISY_E10value_typeET2_T3_PNSZ_IS14_E10value_typeET4_jRbjT5_S1A_jjP12ihipStream_tbEUljE_EEESV_SW_SX_S14_S18_S1A_T6_T7_T9_mT8_S1C_bDpT10_ENKUlT_T0_E_clISt17integral_constantIbLb0EES1O_IbLb1EEEEDaS1K_S1L_EUlS1K_E_NS1_11comp_targetILNS1_3genE3ELNS1_11target_archE908ELNS1_3gpuE7ELNS1_3repE0EEENS1_30default_config_static_selectorELNS0_4arch9wavefront6targetE1EEEvSY_.has_dyn_sized_stack, 0
	.set _ZN7rocprim17ROCPRIM_400000_NS6detail17trampoline_kernelINS0_13select_configILj256ELj13ELNS0_17block_load_methodE3ELS4_3ELS4_3ELNS0_20block_scan_algorithmE0ELj4294967295EEENS1_25partition_config_selectorILNS1_17partition_subalgoE3EjNS0_10empty_typeEbEEZZNS1_14partition_implILS8_3ELb0ES6_jNS0_17counting_iteratorIjlEEPS9_SE_NS0_5tupleIJPjSE_EEENSF_IJSE_SE_EEES9_SG_JZNS1_25segmented_radix_sort_implINS0_14default_configELb1EPKiPiPKlPlN2at6native12_GLOBAL__N_18offset_tEEE10hipError_tPvRmT1_PNSt15iterator_traitsISY_E10value_typeET2_T3_PNSZ_IS14_E10value_typeET4_jRbjT5_S1A_jjP12ihipStream_tbEUljE_EEESV_SW_SX_S14_S18_S1A_T6_T7_T9_mT8_S1C_bDpT10_ENKUlT_T0_E_clISt17integral_constantIbLb0EES1O_IbLb1EEEEDaS1K_S1L_EUlS1K_E_NS1_11comp_targetILNS1_3genE3ELNS1_11target_archE908ELNS1_3gpuE7ELNS1_3repE0EEENS1_30default_config_static_selectorELNS0_4arch9wavefront6targetE1EEEvSY_.has_recursion, 0
	.set _ZN7rocprim17ROCPRIM_400000_NS6detail17trampoline_kernelINS0_13select_configILj256ELj13ELNS0_17block_load_methodE3ELS4_3ELS4_3ELNS0_20block_scan_algorithmE0ELj4294967295EEENS1_25partition_config_selectorILNS1_17partition_subalgoE3EjNS0_10empty_typeEbEEZZNS1_14partition_implILS8_3ELb0ES6_jNS0_17counting_iteratorIjlEEPS9_SE_NS0_5tupleIJPjSE_EEENSF_IJSE_SE_EEES9_SG_JZNS1_25segmented_radix_sort_implINS0_14default_configELb1EPKiPiPKlPlN2at6native12_GLOBAL__N_18offset_tEEE10hipError_tPvRmT1_PNSt15iterator_traitsISY_E10value_typeET2_T3_PNSZ_IS14_E10value_typeET4_jRbjT5_S1A_jjP12ihipStream_tbEUljE_EEESV_SW_SX_S14_S18_S1A_T6_T7_T9_mT8_S1C_bDpT10_ENKUlT_T0_E_clISt17integral_constantIbLb0EES1O_IbLb1EEEEDaS1K_S1L_EUlS1K_E_NS1_11comp_targetILNS1_3genE3ELNS1_11target_archE908ELNS1_3gpuE7ELNS1_3repE0EEENS1_30default_config_static_selectorELNS0_4arch9wavefront6targetE1EEEvSY_.has_indirect_call, 0
	.section	.AMDGPU.csdata,"",@progbits
; Kernel info:
; codeLenInByte = 0
; TotalNumSgprs: 4
; NumVgprs: 0
; ScratchSize: 0
; MemoryBound: 0
; FloatMode: 240
; IeeeMode: 1
; LDSByteSize: 0 bytes/workgroup (compile time only)
; SGPRBlocks: 0
; VGPRBlocks: 0
; NumSGPRsForWavesPerEU: 4
; NumVGPRsForWavesPerEU: 1
; Occupancy: 10
; WaveLimiterHint : 0
; COMPUTE_PGM_RSRC2:SCRATCH_EN: 0
; COMPUTE_PGM_RSRC2:USER_SGPR: 6
; COMPUTE_PGM_RSRC2:TRAP_HANDLER: 0
; COMPUTE_PGM_RSRC2:TGID_X_EN: 1
; COMPUTE_PGM_RSRC2:TGID_Y_EN: 0
; COMPUTE_PGM_RSRC2:TGID_Z_EN: 0
; COMPUTE_PGM_RSRC2:TIDIG_COMP_CNT: 0
	.section	.text._ZN7rocprim17ROCPRIM_400000_NS6detail17trampoline_kernelINS0_13select_configILj256ELj13ELNS0_17block_load_methodE3ELS4_3ELS4_3ELNS0_20block_scan_algorithmE0ELj4294967295EEENS1_25partition_config_selectorILNS1_17partition_subalgoE3EjNS0_10empty_typeEbEEZZNS1_14partition_implILS8_3ELb0ES6_jNS0_17counting_iteratorIjlEEPS9_SE_NS0_5tupleIJPjSE_EEENSF_IJSE_SE_EEES9_SG_JZNS1_25segmented_radix_sort_implINS0_14default_configELb1EPKiPiPKlPlN2at6native12_GLOBAL__N_18offset_tEEE10hipError_tPvRmT1_PNSt15iterator_traitsISY_E10value_typeET2_T3_PNSZ_IS14_E10value_typeET4_jRbjT5_S1A_jjP12ihipStream_tbEUljE_EEESV_SW_SX_S14_S18_S1A_T6_T7_T9_mT8_S1C_bDpT10_ENKUlT_T0_E_clISt17integral_constantIbLb0EES1O_IbLb1EEEEDaS1K_S1L_EUlS1K_E_NS1_11comp_targetILNS1_3genE2ELNS1_11target_archE906ELNS1_3gpuE6ELNS1_3repE0EEENS1_30default_config_static_selectorELNS0_4arch9wavefront6targetE1EEEvSY_,"axG",@progbits,_ZN7rocprim17ROCPRIM_400000_NS6detail17trampoline_kernelINS0_13select_configILj256ELj13ELNS0_17block_load_methodE3ELS4_3ELS4_3ELNS0_20block_scan_algorithmE0ELj4294967295EEENS1_25partition_config_selectorILNS1_17partition_subalgoE3EjNS0_10empty_typeEbEEZZNS1_14partition_implILS8_3ELb0ES6_jNS0_17counting_iteratorIjlEEPS9_SE_NS0_5tupleIJPjSE_EEENSF_IJSE_SE_EEES9_SG_JZNS1_25segmented_radix_sort_implINS0_14default_configELb1EPKiPiPKlPlN2at6native12_GLOBAL__N_18offset_tEEE10hipError_tPvRmT1_PNSt15iterator_traitsISY_E10value_typeET2_T3_PNSZ_IS14_E10value_typeET4_jRbjT5_S1A_jjP12ihipStream_tbEUljE_EEESV_SW_SX_S14_S18_S1A_T6_T7_T9_mT8_S1C_bDpT10_ENKUlT_T0_E_clISt17integral_constantIbLb0EES1O_IbLb1EEEEDaS1K_S1L_EUlS1K_E_NS1_11comp_targetILNS1_3genE2ELNS1_11target_archE906ELNS1_3gpuE6ELNS1_3repE0EEENS1_30default_config_static_selectorELNS0_4arch9wavefront6targetE1EEEvSY_,comdat
	.globl	_ZN7rocprim17ROCPRIM_400000_NS6detail17trampoline_kernelINS0_13select_configILj256ELj13ELNS0_17block_load_methodE3ELS4_3ELS4_3ELNS0_20block_scan_algorithmE0ELj4294967295EEENS1_25partition_config_selectorILNS1_17partition_subalgoE3EjNS0_10empty_typeEbEEZZNS1_14partition_implILS8_3ELb0ES6_jNS0_17counting_iteratorIjlEEPS9_SE_NS0_5tupleIJPjSE_EEENSF_IJSE_SE_EEES9_SG_JZNS1_25segmented_radix_sort_implINS0_14default_configELb1EPKiPiPKlPlN2at6native12_GLOBAL__N_18offset_tEEE10hipError_tPvRmT1_PNSt15iterator_traitsISY_E10value_typeET2_T3_PNSZ_IS14_E10value_typeET4_jRbjT5_S1A_jjP12ihipStream_tbEUljE_EEESV_SW_SX_S14_S18_S1A_T6_T7_T9_mT8_S1C_bDpT10_ENKUlT_T0_E_clISt17integral_constantIbLb0EES1O_IbLb1EEEEDaS1K_S1L_EUlS1K_E_NS1_11comp_targetILNS1_3genE2ELNS1_11target_archE906ELNS1_3gpuE6ELNS1_3repE0EEENS1_30default_config_static_selectorELNS0_4arch9wavefront6targetE1EEEvSY_ ; -- Begin function _ZN7rocprim17ROCPRIM_400000_NS6detail17trampoline_kernelINS0_13select_configILj256ELj13ELNS0_17block_load_methodE3ELS4_3ELS4_3ELNS0_20block_scan_algorithmE0ELj4294967295EEENS1_25partition_config_selectorILNS1_17partition_subalgoE3EjNS0_10empty_typeEbEEZZNS1_14partition_implILS8_3ELb0ES6_jNS0_17counting_iteratorIjlEEPS9_SE_NS0_5tupleIJPjSE_EEENSF_IJSE_SE_EEES9_SG_JZNS1_25segmented_radix_sort_implINS0_14default_configELb1EPKiPiPKlPlN2at6native12_GLOBAL__N_18offset_tEEE10hipError_tPvRmT1_PNSt15iterator_traitsISY_E10value_typeET2_T3_PNSZ_IS14_E10value_typeET4_jRbjT5_S1A_jjP12ihipStream_tbEUljE_EEESV_SW_SX_S14_S18_S1A_T6_T7_T9_mT8_S1C_bDpT10_ENKUlT_T0_E_clISt17integral_constantIbLb0EES1O_IbLb1EEEEDaS1K_S1L_EUlS1K_E_NS1_11comp_targetILNS1_3genE2ELNS1_11target_archE906ELNS1_3gpuE6ELNS1_3repE0EEENS1_30default_config_static_selectorELNS0_4arch9wavefront6targetE1EEEvSY_
	.p2align	8
	.type	_ZN7rocprim17ROCPRIM_400000_NS6detail17trampoline_kernelINS0_13select_configILj256ELj13ELNS0_17block_load_methodE3ELS4_3ELS4_3ELNS0_20block_scan_algorithmE0ELj4294967295EEENS1_25partition_config_selectorILNS1_17partition_subalgoE3EjNS0_10empty_typeEbEEZZNS1_14partition_implILS8_3ELb0ES6_jNS0_17counting_iteratorIjlEEPS9_SE_NS0_5tupleIJPjSE_EEENSF_IJSE_SE_EEES9_SG_JZNS1_25segmented_radix_sort_implINS0_14default_configELb1EPKiPiPKlPlN2at6native12_GLOBAL__N_18offset_tEEE10hipError_tPvRmT1_PNSt15iterator_traitsISY_E10value_typeET2_T3_PNSZ_IS14_E10value_typeET4_jRbjT5_S1A_jjP12ihipStream_tbEUljE_EEESV_SW_SX_S14_S18_S1A_T6_T7_T9_mT8_S1C_bDpT10_ENKUlT_T0_E_clISt17integral_constantIbLb0EES1O_IbLb1EEEEDaS1K_S1L_EUlS1K_E_NS1_11comp_targetILNS1_3genE2ELNS1_11target_archE906ELNS1_3gpuE6ELNS1_3repE0EEENS1_30default_config_static_selectorELNS0_4arch9wavefront6targetE1EEEvSY_,@function
_ZN7rocprim17ROCPRIM_400000_NS6detail17trampoline_kernelINS0_13select_configILj256ELj13ELNS0_17block_load_methodE3ELS4_3ELS4_3ELNS0_20block_scan_algorithmE0ELj4294967295EEENS1_25partition_config_selectorILNS1_17partition_subalgoE3EjNS0_10empty_typeEbEEZZNS1_14partition_implILS8_3ELb0ES6_jNS0_17counting_iteratorIjlEEPS9_SE_NS0_5tupleIJPjSE_EEENSF_IJSE_SE_EEES9_SG_JZNS1_25segmented_radix_sort_implINS0_14default_configELb1EPKiPiPKlPlN2at6native12_GLOBAL__N_18offset_tEEE10hipError_tPvRmT1_PNSt15iterator_traitsISY_E10value_typeET2_T3_PNSZ_IS14_E10value_typeET4_jRbjT5_S1A_jjP12ihipStream_tbEUljE_EEESV_SW_SX_S14_S18_S1A_T6_T7_T9_mT8_S1C_bDpT10_ENKUlT_T0_E_clISt17integral_constantIbLb0EES1O_IbLb1EEEEDaS1K_S1L_EUlS1K_E_NS1_11comp_targetILNS1_3genE2ELNS1_11target_archE906ELNS1_3gpuE6ELNS1_3repE0EEENS1_30default_config_static_selectorELNS0_4arch9wavefront6targetE1EEEvSY_: ; @_ZN7rocprim17ROCPRIM_400000_NS6detail17trampoline_kernelINS0_13select_configILj256ELj13ELNS0_17block_load_methodE3ELS4_3ELS4_3ELNS0_20block_scan_algorithmE0ELj4294967295EEENS1_25partition_config_selectorILNS1_17partition_subalgoE3EjNS0_10empty_typeEbEEZZNS1_14partition_implILS8_3ELb0ES6_jNS0_17counting_iteratorIjlEEPS9_SE_NS0_5tupleIJPjSE_EEENSF_IJSE_SE_EEES9_SG_JZNS1_25segmented_radix_sort_implINS0_14default_configELb1EPKiPiPKlPlN2at6native12_GLOBAL__N_18offset_tEEE10hipError_tPvRmT1_PNSt15iterator_traitsISY_E10value_typeET2_T3_PNSZ_IS14_E10value_typeET4_jRbjT5_S1A_jjP12ihipStream_tbEUljE_EEESV_SW_SX_S14_S18_S1A_T6_T7_T9_mT8_S1C_bDpT10_ENKUlT_T0_E_clISt17integral_constantIbLb0EES1O_IbLb1EEEEDaS1K_S1L_EUlS1K_E_NS1_11comp_targetILNS1_3genE2ELNS1_11target_archE906ELNS1_3gpuE6ELNS1_3repE0EEENS1_30default_config_static_selectorELNS0_4arch9wavefront6targetE1EEEvSY_
; %bb.0:
	s_load_dwordx2 s[28:29], s[4:5], 0x10
	s_load_dwordx2 s[22:23], s[4:5], 0x28
	;; [unrolled: 1-line block ×3, first 2 shown]
	s_load_dwordx4 s[24:27], s[4:5], 0x48
	s_load_dword s14, s[4:5], 0x90
	s_load_dwordx2 s[34:35], s[4:5], 0x68
	s_load_dwordx4 s[8:11], s[4:5], 0x80
	v_cmp_eq_u32_e64 s[0:1], 0, v0
	s_and_saveexec_b64 s[2:3], s[0:1]
	s_cbranch_execz .LBB493_4
; %bb.1:
	s_mov_b64 s[12:13], exec
	v_mbcnt_lo_u32_b32 v1, s12, 0
	v_mbcnt_hi_u32_b32 v1, s13, v1
	v_cmp_eq_u32_e32 vcc, 0, v1
                                        ; implicit-def: $vgpr2
	s_and_saveexec_b64 s[6:7], vcc
	s_cbranch_execz .LBB493_3
; %bb.2:
	s_load_dwordx2 s[16:17], s[4:5], 0x78
	s_bcnt1_i32_b64 s12, s[12:13]
	v_mov_b32_e32 v2, 0
	v_mov_b32_e32 v3, s12
	s_waitcnt lgkmcnt(0)
	global_atomic_add v2, v2, v3, s[16:17] glc
.LBB493_3:
	s_or_b64 exec, exec, s[6:7]
	s_waitcnt vmcnt(0)
	v_readfirstlane_b32 s6, v2
	v_add_u32_e32 v1, s6, v1
	v_mov_b32_e32 v2, 0
	ds_write_b32 v2, v1
.LBB493_4:
	s_or_b64 exec, exec, s[2:3]
	v_mov_b32_e32 v1, 0
	s_load_dword s6, s[4:5], 0x8
	s_load_dword s2, s[4:5], 0x70
	s_waitcnt lgkmcnt(0)
	s_barrier
	ds_read_b32 v5, v1
	s_waitcnt lgkmcnt(0)
	s_barrier
	global_load_dwordx2 v[3:4], v1, s[26:27]
	s_add_i32 s4, s2, -1
	s_mulk_i32 s2, 0xd00
	s_add_i32 s3, s2, s28
	s_sub_i32 s33, s30, s3
	s_add_i32 s6, s6, s28
	s_addk_i32 s33, 0xd00
	s_add_u32 s2, s28, s2
	s_addc_u32 s3, s29, 0
	v_mov_b32_e32 v1, s2
	v_mov_b32_e32 v2, s3
	v_readfirstlane_b32 s43, v5
	v_cmp_gt_u64_e32 vcc, s[30:31], v[1:2]
	s_cmp_eq_u32 s43, s4
	v_cmp_ne_u32_e64 s[2:3], s4, v5
	s_cselect_b64 s[26:27], -1, 0
	s_or_b64 s[4:5], vcc, s[2:3]
	s_mul_i32 s42, s43, 0xd00
	s_mov_b64 s[2:3], -1
	s_and_b64 vcc, exec, s[4:5]
	v_lshlrev_b32_e32 v25, 2, v0
	s_cbranch_vccz .LBB493_6
; %bb.5:
	s_add_i32 s2, s42, s6
	v_add_u32_e32 v1, s2, v0
	v_add_u32_e32 v2, 0x100, v1
	;; [unrolled: 1-line block ×13, first 2 shown]
	ds_write2st64_b32 v25, v1, v2 offset1:4
	ds_write2st64_b32 v25, v5, v6 offset0:8 offset1:12
	ds_write2st64_b32 v25, v7, v8 offset0:16 offset1:20
	;; [unrolled: 1-line block ×5, first 2 shown]
	ds_write_b32 v25, v15 offset:12288
	s_waitcnt vmcnt(0) lgkmcnt(0)
	s_barrier
	s_mov_b64 s[2:3], 0
.LBB493_6:
	s_andn2_b64 vcc, exec, s[2:3]
	v_cmp_gt_u32_e64 s[2:3], s33, v0
	s_cbranch_vccnz .LBB493_8
; %bb.7:
	s_add_i32 s6, s42, s6
	v_or_b32_e32 v2, 0x100, v0
	v_add_u32_e32 v5, s6, v2
	v_cmp_gt_u32_e32 vcc, s33, v2
	v_cndmask_b32_e32 v2, 0, v5, vcc
	v_or_b32_e32 v5, 0x200, v0
	v_add_u32_e32 v6, s6, v5
	v_cmp_gt_u32_e32 vcc, s33, v5
	v_cndmask_b32_e32 v5, 0, v6, vcc
	;; [unrolled: 4-line block ×10, first 2 shown]
	v_or_b32_e32 v14, 0xb00, v0
	v_add_u32_e32 v15, s6, v14
	v_cmp_gt_u32_e32 vcc, s33, v14
	v_add_u32_e32 v1, s6, v0
	v_cndmask_b32_e32 v14, 0, v15, vcc
	v_or_b32_e32 v15, 0xc00, v0
	v_cndmask_b32_e64 v1, 0, v1, s[2:3]
	v_add_u32_e32 v16, s6, v15
	v_cmp_gt_u32_e32 vcc, s33, v15
	v_cndmask_b32_e32 v15, 0, v16, vcc
	ds_write2st64_b32 v25, v1, v2 offset1:4
	ds_write2st64_b32 v25, v5, v6 offset0:8 offset1:12
	ds_write2st64_b32 v25, v7, v8 offset0:16 offset1:20
	;; [unrolled: 1-line block ×5, first 2 shown]
	ds_write_b32 v25, v15 offset:12288
	s_waitcnt vmcnt(0) lgkmcnt(0)
	s_barrier
.LBB493_8:
	v_mul_u32_u24_e32 v27, 13, v0
	v_lshlrev_b32_e32 v1, 2, v27
	ds_read2_b32 v[15:16], v1 offset1:1
	ds_read2_b32 v[13:14], v1 offset0:2 offset1:3
	ds_read2_b32 v[11:12], v1 offset0:4 offset1:5
	;; [unrolled: 1-line block ×5, first 2 shown]
	ds_read_b32 v26, v1 offset:48
	v_cndmask_b32_e64 v1, 0, 1, s[4:5]
	v_cmp_ne_u32_e64 s[2:3], 1, v1
	s_andn2_b64 vcc, exec, s[4:5]
	s_waitcnt vmcnt(0) lgkmcnt(0)
	s_barrier
	s_cbranch_vccnz .LBB493_10
; %bb.9:
	v_add_u32_e32 v1, s9, v15
	v_add_u32_e32 v2, s11, v15
	v_mul_lo_u32 v1, v1, s8
	v_mul_lo_u32 v2, v2, s10
	v_add_u32_e32 v17, s9, v13
	v_add_u32_e32 v18, s11, v13
	v_mul_lo_u32 v17, v17, s8
	v_sub_u32_e32 v1, v1, v2
	v_cmp_lt_u32_e32 vcc, s14, v1
	v_add_u32_e32 v1, s9, v16
	v_add_u32_e32 v2, s11, v16
	v_mul_lo_u32 v1, v1, s8
	v_mul_lo_u32 v2, v2, s10
	;; [unrolled: 1-line block ×3, first 2 shown]
	v_cndmask_b32_e64 v28, 0, 1, vcc
	v_sub_u32_e32 v1, v1, v2
	v_cmp_lt_u32_e32 vcc, s14, v1
	v_sub_u32_e32 v1, v17, v18
	v_cndmask_b32_e64 v29, 0, 1, vcc
	v_cmp_lt_u32_e32 vcc, s14, v1
	v_add_u32_e32 v1, s9, v14
	v_add_u32_e32 v2, s11, v14
	v_mul_lo_u32 v1, v1, s8
	v_mul_lo_u32 v2, v2, s10
	v_add_u32_e32 v17, s9, v11
	v_add_u32_e32 v18, s11, v11
	v_mul_lo_u32 v17, v17, s8
	v_mul_lo_u32 v18, v18, s10
	v_sub_u32_e32 v1, v1, v2
	v_cndmask_b32_e64 v30, 0, 1, vcc
	v_cmp_lt_u32_e32 vcc, s14, v1
	v_sub_u32_e32 v1, v17, v18
	v_cndmask_b32_e64 v31, 0, 1, vcc
	v_cmp_lt_u32_e32 vcc, s14, v1
	v_add_u32_e32 v1, s9, v12
	v_add_u32_e32 v2, s11, v12
	v_mul_lo_u32 v1, v1, s8
	v_mul_lo_u32 v2, v2, s10
	v_add_u32_e32 v17, s9, v9
	v_add_u32_e32 v18, s11, v9
	v_mul_lo_u32 v17, v17, s8
	v_mul_lo_u32 v18, v18, s10
	v_sub_u32_e32 v1, v1, v2
	v_cndmask_b32_e64 v32, 0, 1, vcc
	;; [unrolled: 14-line block ×5, first 2 shown]
	v_cmp_lt_u32_e32 vcc, s14, v1
	v_sub_u32_e32 v1, v17, v18
	v_cndmask_b32_e64 v39, 0, 1, vcc
	v_cmp_lt_u32_e64 s[36:37], s14, v1
	s_cbranch_execz .LBB493_11
	s_branch .LBB493_38
.LBB493_10:
                                        ; implicit-def: $sgpr36_sgpr37
                                        ; implicit-def: $vgpr39
                                        ; implicit-def: $vgpr38
                                        ; implicit-def: $vgpr37
                                        ; implicit-def: $vgpr36
                                        ; implicit-def: $vgpr35
                                        ; implicit-def: $vgpr34
                                        ; implicit-def: $vgpr33
                                        ; implicit-def: $vgpr32
                                        ; implicit-def: $vgpr28
                                        ; implicit-def: $vgpr29
                                        ; implicit-def: $vgpr30
                                        ; implicit-def: $vgpr31
.LBB493_11:
	v_cmp_gt_u32_e32 vcc, s33, v27
	v_mov_b32_e32 v29, 0
	v_mov_b32_e32 v28, 0
	s_and_saveexec_b64 s[4:5], vcc
	s_cbranch_execz .LBB493_13
; %bb.12:
	v_add_u32_e32 v1, s9, v15
	v_add_u32_e32 v2, s11, v15
	v_mul_lo_u32 v1, v1, s8
	v_mul_lo_u32 v2, v2, s10
	v_sub_u32_e32 v1, v1, v2
	v_cmp_lt_u32_e32 vcc, s14, v1
	v_cndmask_b32_e64 v28, 0, 1, vcc
.LBB493_13:
	s_or_b64 exec, exec, s[4:5]
	v_add_u32_e32 v1, 1, v27
	v_cmp_gt_u32_e32 vcc, s33, v1
	s_and_saveexec_b64 s[4:5], vcc
	s_cbranch_execz .LBB493_15
; %bb.14:
	v_add_u32_e32 v1, s9, v16
	v_add_u32_e32 v2, s11, v16
	v_mul_lo_u32 v1, v1, s8
	v_mul_lo_u32 v2, v2, s10
	v_sub_u32_e32 v1, v1, v2
	v_cmp_lt_u32_e32 vcc, s14, v1
	v_cndmask_b32_e64 v29, 0, 1, vcc
.LBB493_15:
	s_or_b64 exec, exec, s[4:5]
	v_add_u32_e32 v1, 2, v27
	v_cmp_gt_u32_e32 vcc, s33, v1
	v_mov_b32_e32 v31, 0
	v_mov_b32_e32 v30, 0
	s_and_saveexec_b64 s[4:5], vcc
	s_cbranch_execz .LBB493_17
; %bb.16:
	v_add_u32_e32 v1, s9, v13
	v_add_u32_e32 v2, s11, v13
	v_mul_lo_u32 v1, v1, s8
	v_mul_lo_u32 v2, v2, s10
	v_sub_u32_e32 v1, v1, v2
	v_cmp_lt_u32_e32 vcc, s14, v1
	v_cndmask_b32_e64 v30, 0, 1, vcc
.LBB493_17:
	s_or_b64 exec, exec, s[4:5]
	v_add_u32_e32 v1, 3, v27
	v_cmp_gt_u32_e32 vcc, s33, v1
	s_and_saveexec_b64 s[4:5], vcc
	s_cbranch_execz .LBB493_19
; %bb.18:
	v_add_u32_e32 v1, s9, v14
	v_add_u32_e32 v2, s11, v14
	v_mul_lo_u32 v1, v1, s8
	v_mul_lo_u32 v2, v2, s10
	v_sub_u32_e32 v1, v1, v2
	v_cmp_lt_u32_e32 vcc, s14, v1
	v_cndmask_b32_e64 v31, 0, 1, vcc
.LBB493_19:
	s_or_b64 exec, exec, s[4:5]
	v_add_u32_e32 v1, 4, v27
	;; [unrolled: 30-line block ×6, first 2 shown]
	v_cmp_gt_u32_e32 vcc, s33, v1
	s_mov_b64 s[36:37], 0
	s_and_saveexec_b64 s[4:5], vcc
	s_cbranch_execz .LBB493_37
; %bb.36:
	v_add_u32_e32 v1, s9, v26
	v_add_u32_e32 v2, s11, v26
	v_mul_lo_u32 v1, v1, s8
	v_mul_lo_u32 v2, v2, s10
	v_sub_u32_e32 v1, v1, v2
	v_cmp_lt_u32_e32 vcc, s14, v1
	s_and_b64 s[36:37], vcc, exec
.LBB493_37:
	s_or_b64 exec, exec, s[4:5]
.LBB493_38:
	v_and_b32_e32 v42, 0xff, v29
	v_and_b32_e32 v43, 0xff, v30
	v_and_b32_e32 v44, 0xff, v31
	v_and_b32_e32 v41, 0xff, v28
	v_and_b32_e32 v45, 0xff, v32
	v_add3_u32 v2, v43, v44, v42
	v_and_b32_e32 v46, 0xff, v33
	v_and_b32_e32 v47, 0xff, v34
	v_add3_u32 v2, v2, v41, v45
	v_and_b32_e32 v48, 0xff, v35
	v_and_b32_e32 v49, 0xff, v36
	;; [unrolled: 3-line block ×3, first 2 shown]
	v_add3_u32 v2, v2, v48, v49
	v_and_b32_e32 v40, 0xff, v39
	v_cndmask_b32_e64 v1, 0, 1, s[36:37]
	v_add3_u32 v2, v2, v50, v51
	v_add3_u32 v54, v2, v40, v1
	v_mbcnt_lo_u32_b32 v1, -1, 0
	v_mbcnt_hi_u32_b32 v52, -1, v1
	v_and_b32_e32 v1, 15, v52
	v_cmp_eq_u32_e64 s[16:17], 0, v1
	v_cmp_lt_u32_e64 s[14:15], 1, v1
	v_cmp_lt_u32_e64 s[12:13], 3, v1
	;; [unrolled: 1-line block ×3, first 2 shown]
	v_and_b32_e32 v1, 16, v52
	v_cmp_eq_u32_e64 s[8:9], 0, v1
	v_or_b32_e32 v1, 63, v0
	s_cmp_lg_u32 s43, 0
	v_cmp_lt_u32_e64 s[4:5], 31, v52
	v_lshrrev_b32_e32 v53, 6, v0
	v_cmp_eq_u32_e64 s[6:7], v0, v1
	s_cbranch_scc0 .LBB493_60
; %bb.39:
	v_mov_b32_dpp v1, v54 row_shr:1 row_mask:0xf bank_mask:0xf
	v_cndmask_b32_e64 v1, v1, 0, s[16:17]
	v_add_u32_e32 v1, v1, v54
	s_nop 1
	v_mov_b32_dpp v2, v1 row_shr:2 row_mask:0xf bank_mask:0xf
	v_cndmask_b32_e64 v2, 0, v2, s[14:15]
	v_add_u32_e32 v1, v1, v2
	s_nop 1
	;; [unrolled: 4-line block ×4, first 2 shown]
	v_mov_b32_dpp v2, v1 row_bcast:15 row_mask:0xf bank_mask:0xf
	v_cndmask_b32_e64 v2, v2, 0, s[8:9]
	v_add_u32_e32 v1, v1, v2
	s_nop 1
	v_mov_b32_dpp v2, v1 row_bcast:31 row_mask:0xf bank_mask:0xf
	v_cndmask_b32_e64 v2, 0, v2, s[4:5]
	v_add_u32_e32 v1, v1, v2
	s_and_saveexec_b64 s[18:19], s[6:7]
; %bb.40:
	v_lshlrev_b32_e32 v2, 2, v53
	ds_write_b32 v2, v1
; %bb.41:
	s_or_b64 exec, exec, s[18:19]
	v_cmp_gt_u32_e32 vcc, 4, v0
	s_waitcnt lgkmcnt(0)
	s_barrier
	s_and_saveexec_b64 s[18:19], vcc
	s_cbranch_execz .LBB493_43
; %bb.42:
	ds_read_b32 v2, v25
	v_and_b32_e32 v17, 3, v52
	v_cmp_ne_u32_e32 vcc, 0, v17
	s_waitcnt lgkmcnt(0)
	v_mov_b32_dpp v18, v2 row_shr:1 row_mask:0xf bank_mask:0xf
	v_cndmask_b32_e32 v18, 0, v18, vcc
	v_add_u32_e32 v2, v18, v2
	v_cmp_lt_u32_e32 vcc, 1, v17
	s_nop 0
	v_mov_b32_dpp v18, v2 row_shr:2 row_mask:0xf bank_mask:0xf
	v_cndmask_b32_e32 v17, 0, v18, vcc
	v_add_u32_e32 v2, v2, v17
	ds_write_b32 v25, v2
.LBB493_43:
	s_or_b64 exec, exec, s[18:19]
	v_cmp_gt_u32_e32 vcc, 64, v0
	v_cmp_lt_u32_e64 s[18:19], 63, v0
	s_waitcnt lgkmcnt(0)
	s_barrier
                                        ; implicit-def: $vgpr55
	s_and_saveexec_b64 s[20:21], s[18:19]
	s_cbranch_execz .LBB493_45
; %bb.44:
	v_lshl_add_u32 v2, v53, 2, -4
	ds_read_b32 v55, v2
	s_waitcnt lgkmcnt(0)
	v_add_u32_e32 v1, v55, v1
.LBB493_45:
	s_or_b64 exec, exec, s[20:21]
	v_subrev_co_u32_e64 v2, s[18:19], 1, v52
	v_and_b32_e32 v17, 64, v52
	v_cmp_lt_i32_e64 s[20:21], v2, v17
	v_cndmask_b32_e64 v2, v2, v52, s[20:21]
	v_lshlrev_b32_e32 v2, 2, v2
	ds_bpermute_b32 v56, v2, v1
	s_and_saveexec_b64 s[20:21], vcc
	s_cbranch_execz .LBB493_65
; %bb.46:
	v_mov_b32_e32 v21, 0
	ds_read_b32 v1, v21 offset:12
	s_and_saveexec_b64 s[38:39], s[18:19]
	s_cbranch_execz .LBB493_48
; %bb.47:
	s_add_i32 s40, s43, 64
	s_mov_b32 s41, 0
	s_lshl_b64 s[40:41], s[40:41], 3
	s_add_u32 s40, s34, s40
	v_mov_b32_e32 v2, 1
	s_addc_u32 s41, s35, s41
	s_waitcnt lgkmcnt(0)
	global_store_dwordx2 v21, v[1:2], s[40:41]
.LBB493_48:
	s_or_b64 exec, exec, s[38:39]
	v_xad_u32 v17, v52, -1, s43
	v_add_u32_e32 v20, 64, v17
	v_lshlrev_b64 v[18:19], 3, v[20:21]
	v_mov_b32_e32 v2, s35
	v_add_co_u32_e32 v22, vcc, s34, v18
	v_addc_co_u32_e32 v23, vcc, v2, v19, vcc
	global_load_dwordx2 v[19:20], v[22:23], off glc
	s_waitcnt vmcnt(0)
	v_cmp_eq_u16_sdwa s[40:41], v20, v21 src0_sel:BYTE_0 src1_sel:DWORD
	s_and_saveexec_b64 s[38:39], s[40:41]
	s_cbranch_execz .LBB493_52
; %bb.49:
	s_mov_b64 s[40:41], 0
	v_mov_b32_e32 v2, 0
.LBB493_50:                             ; =>This Inner Loop Header: Depth=1
	global_load_dwordx2 v[19:20], v[22:23], off glc
	s_waitcnt vmcnt(0)
	v_cmp_ne_u16_sdwa s[44:45], v20, v2 src0_sel:BYTE_0 src1_sel:DWORD
	s_or_b64 s[40:41], s[44:45], s[40:41]
	s_andn2_b64 exec, exec, s[40:41]
	s_cbranch_execnz .LBB493_50
; %bb.51:
	s_or_b64 exec, exec, s[40:41]
.LBB493_52:
	s_or_b64 exec, exec, s[38:39]
	v_and_b32_e32 v58, 63, v52
	v_mov_b32_e32 v57, 2
	v_lshlrev_b64 v[21:22], v52, -1
	v_cmp_ne_u32_e32 vcc, 63, v58
	v_cmp_eq_u16_sdwa s[38:39], v20, v57 src0_sel:BYTE_0 src1_sel:DWORD
	v_addc_co_u32_e32 v23, vcc, 0, v52, vcc
	v_and_b32_e32 v2, s39, v22
	v_lshlrev_b32_e32 v59, 2, v23
	v_or_b32_e32 v2, 0x80000000, v2
	ds_bpermute_b32 v23, v59, v19
	v_and_b32_e32 v18, s38, v21
	v_ffbl_b32_e32 v2, v2
	v_add_u32_e32 v2, 32, v2
	v_ffbl_b32_e32 v18, v18
	v_min_u32_e32 v2, v18, v2
	v_cmp_lt_u32_e32 vcc, v58, v2
	s_waitcnt lgkmcnt(0)
	v_cndmask_b32_e32 v18, 0, v23, vcc
	v_cmp_gt_u32_e32 vcc, 62, v58
	v_add_u32_e32 v18, v18, v19
	v_cndmask_b32_e64 v19, 0, 2, vcc
	v_add_lshl_u32 v60, v19, v52, 2
	ds_bpermute_b32 v19, v60, v18
	v_add_u32_e32 v61, 2, v58
	v_cmp_le_u32_e32 vcc, v61, v2
	v_add_u32_e32 v63, 4, v58
	v_add_u32_e32 v65, 8, v58
	s_waitcnt lgkmcnt(0)
	v_cndmask_b32_e32 v19, 0, v19, vcc
	v_cmp_gt_u32_e32 vcc, 60, v58
	v_add_u32_e32 v18, v18, v19
	v_cndmask_b32_e64 v19, 0, 4, vcc
	v_add_lshl_u32 v62, v19, v52, 2
	ds_bpermute_b32 v19, v62, v18
	v_cmp_le_u32_e32 vcc, v63, v2
	v_add_u32_e32 v67, 16, v58
	v_add_u32_e32 v69, 32, v58
	s_waitcnt lgkmcnt(0)
	v_cndmask_b32_e32 v19, 0, v19, vcc
	v_cmp_gt_u32_e32 vcc, 56, v58
	v_add_u32_e32 v18, v18, v19
	v_cndmask_b32_e64 v19, 0, 8, vcc
	v_add_lshl_u32 v64, v19, v52, 2
	ds_bpermute_b32 v19, v64, v18
	v_cmp_le_u32_e32 vcc, v65, v2
	s_waitcnt lgkmcnt(0)
	v_cndmask_b32_e32 v19, 0, v19, vcc
	v_cmp_gt_u32_e32 vcc, 48, v58
	v_add_u32_e32 v18, v18, v19
	v_cndmask_b32_e64 v19, 0, 16, vcc
	v_add_lshl_u32 v66, v19, v52, 2
	ds_bpermute_b32 v19, v66, v18
	v_cmp_le_u32_e32 vcc, v67, v2
	s_waitcnt lgkmcnt(0)
	v_cndmask_b32_e32 v19, 0, v19, vcc
	v_add_u32_e32 v18, v18, v19
	v_mov_b32_e32 v19, 0x80
	v_lshl_or_b32 v68, v52, 2, v19
	ds_bpermute_b32 v19, v68, v18
	v_cmp_le_u32_e32 vcc, v69, v2
	s_waitcnt lgkmcnt(0)
	v_cndmask_b32_e32 v2, 0, v19, vcc
	v_add_u32_e32 v19, v18, v2
	v_mov_b32_e32 v18, 0
	s_branch .LBB493_56
.LBB493_53:                             ;   in Loop: Header=BB493_56 Depth=1
	s_or_b64 exec, exec, s[40:41]
.LBB493_54:                             ;   in Loop: Header=BB493_56 Depth=1
	s_or_b64 exec, exec, s[38:39]
	v_cmp_eq_u16_sdwa s[38:39], v20, v57 src0_sel:BYTE_0 src1_sel:DWORD
	v_and_b32_e32 v23, s39, v22
	v_or_b32_e32 v23, 0x80000000, v23
	ds_bpermute_b32 v70, v59, v19
	v_and_b32_e32 v24, s38, v21
	v_ffbl_b32_e32 v23, v23
	v_add_u32_e32 v23, 32, v23
	v_ffbl_b32_e32 v24, v24
	v_min_u32_e32 v23, v24, v23
	v_cmp_lt_u32_e32 vcc, v58, v23
	s_waitcnt lgkmcnt(0)
	v_cndmask_b32_e32 v24, 0, v70, vcc
	v_add_u32_e32 v19, v24, v19
	ds_bpermute_b32 v24, v60, v19
	v_cmp_le_u32_e32 vcc, v61, v23
	v_subrev_u32_e32 v17, 64, v17
	s_mov_b64 s[38:39], 0
	s_waitcnt lgkmcnt(0)
	v_cndmask_b32_e32 v24, 0, v24, vcc
	v_add_u32_e32 v19, v19, v24
	ds_bpermute_b32 v24, v62, v19
	v_cmp_le_u32_e32 vcc, v63, v23
	s_waitcnt lgkmcnt(0)
	v_cndmask_b32_e32 v24, 0, v24, vcc
	v_add_u32_e32 v19, v19, v24
	ds_bpermute_b32 v24, v64, v19
	v_cmp_le_u32_e32 vcc, v65, v23
	;; [unrolled: 5-line block ×4, first 2 shown]
	s_waitcnt lgkmcnt(0)
	v_cndmask_b32_e32 v23, 0, v24, vcc
	v_add3_u32 v19, v23, v2, v19
.LBB493_55:                             ;   in Loop: Header=BB493_56 Depth=1
	s_and_b64 vcc, exec, s[38:39]
	s_cbranch_vccnz .LBB493_61
.LBB493_56:                             ; =>This Loop Header: Depth=1
                                        ;     Child Loop BB493_59 Depth 2
	v_cmp_ne_u16_sdwa s[38:39], v20, v57 src0_sel:BYTE_0 src1_sel:DWORD
	v_mov_b32_e32 v2, v19
	s_cmp_lg_u64 s[38:39], exec
	s_mov_b64 s[38:39], -1
                                        ; implicit-def: $vgpr19
                                        ; implicit-def: $vgpr20
	s_cbranch_scc1 .LBB493_55
; %bb.57:                               ;   in Loop: Header=BB493_56 Depth=1
	v_lshlrev_b64 v[19:20], 3, v[17:18]
	v_mov_b32_e32 v24, s35
	v_add_co_u32_e32 v23, vcc, s34, v19
	v_addc_co_u32_e32 v24, vcc, v24, v20, vcc
	global_load_dwordx2 v[19:20], v[23:24], off glc
	s_waitcnt vmcnt(0)
	v_cmp_eq_u16_sdwa s[40:41], v20, v18 src0_sel:BYTE_0 src1_sel:DWORD
	s_and_saveexec_b64 s[38:39], s[40:41]
	s_cbranch_execz .LBB493_54
; %bb.58:                               ;   in Loop: Header=BB493_56 Depth=1
	s_mov_b64 s[40:41], 0
.LBB493_59:                             ;   Parent Loop BB493_56 Depth=1
                                        ; =>  This Inner Loop Header: Depth=2
	global_load_dwordx2 v[19:20], v[23:24], off glc
	s_waitcnt vmcnt(0)
	v_cmp_ne_u16_sdwa s[44:45], v20, v18 src0_sel:BYTE_0 src1_sel:DWORD
	s_or_b64 s[40:41], s[44:45], s[40:41]
	s_andn2_b64 exec, exec, s[40:41]
	s_cbranch_execnz .LBB493_59
	s_branch .LBB493_53
.LBB493_60:
                                        ; implicit-def: $vgpr2
                                        ; implicit-def: $vgpr17
	s_cbranch_execnz .LBB493_66
	s_branch .LBB493_75
.LBB493_61:
	s_and_saveexec_b64 s[38:39], s[18:19]
	s_cbranch_execz .LBB493_63
; %bb.62:
	s_add_i32 s40, s43, 64
	s_mov_b32 s41, 0
	s_lshl_b64 s[40:41], s[40:41], 3
	s_add_u32 s40, s34, s40
	v_add_u32_e32 v17, v2, v1
	v_mov_b32_e32 v18, 2
	s_addc_u32 s41, s35, s41
	v_mov_b32_e32 v19, 0
	global_store_dwordx2 v19, v[17:18], s[40:41]
	ds_write_b64 v19, v[1:2] offset:13312
.LBB493_63:
	s_or_b64 exec, exec, s[38:39]
	s_and_b64 exec, exec, s[0:1]
; %bb.64:
	v_mov_b32_e32 v1, 0
	ds_write_b32 v1, v2 offset:12
.LBB493_65:
	s_or_b64 exec, exec, s[20:21]
	v_mov_b32_e32 v1, 0
	s_waitcnt vmcnt(0) lgkmcnt(0)
	s_barrier
	ds_read_b32 v17, v1 offset:12
	s_waitcnt lgkmcnt(0)
	s_barrier
	ds_read_b64 v[1:2], v1 offset:13312
	v_cndmask_b32_e64 v18, v56, v55, s[18:19]
	v_cndmask_b32_e64 v18, v18, 0, s[0:1]
	v_add_u32_e32 v17, v17, v18
	s_branch .LBB493_75
.LBB493_66:
	s_waitcnt lgkmcnt(0)
	v_mov_b32_dpp v1, v54 row_shr:1 row_mask:0xf bank_mask:0xf
	v_cndmask_b32_e64 v1, v1, 0, s[16:17]
	v_add_u32_e32 v1, v1, v54
	s_nop 1
	v_mov_b32_dpp v2, v1 row_shr:2 row_mask:0xf bank_mask:0xf
	v_cndmask_b32_e64 v2, 0, v2, s[14:15]
	v_add_u32_e32 v1, v1, v2
	s_nop 1
	;; [unrolled: 4-line block ×4, first 2 shown]
	v_mov_b32_dpp v2, v1 row_bcast:15 row_mask:0xf bank_mask:0xf
	v_cndmask_b32_e64 v2, v2, 0, s[8:9]
	v_add_u32_e32 v1, v1, v2
	s_nop 1
	v_mov_b32_dpp v2, v1 row_bcast:31 row_mask:0xf bank_mask:0xf
	v_cndmask_b32_e64 v2, 0, v2, s[4:5]
	v_add_u32_e32 v1, v1, v2
	s_and_saveexec_b64 s[4:5], s[6:7]
; %bb.67:
	v_lshlrev_b32_e32 v2, 2, v53
	ds_write_b32 v2, v1
; %bb.68:
	s_or_b64 exec, exec, s[4:5]
	v_cmp_gt_u32_e32 vcc, 4, v0
	s_waitcnt lgkmcnt(0)
	s_barrier
	s_and_saveexec_b64 s[4:5], vcc
	s_cbranch_execz .LBB493_70
; %bb.69:
	ds_read_b32 v2, v25
	v_and_b32_e32 v17, 3, v52
	v_cmp_ne_u32_e32 vcc, 0, v17
	s_waitcnt lgkmcnt(0)
	v_mov_b32_dpp v18, v2 row_shr:1 row_mask:0xf bank_mask:0xf
	v_cndmask_b32_e32 v18, 0, v18, vcc
	v_add_u32_e32 v2, v18, v2
	v_cmp_lt_u32_e32 vcc, 1, v17
	s_nop 0
	v_mov_b32_dpp v18, v2 row_shr:2 row_mask:0xf bank_mask:0xf
	v_cndmask_b32_e32 v17, 0, v18, vcc
	v_add_u32_e32 v2, v2, v17
	ds_write_b32 v25, v2
.LBB493_70:
	s_or_b64 exec, exec, s[4:5]
	v_cmp_lt_u32_e32 vcc, 63, v0
	v_mov_b32_e32 v2, 0
	v_mov_b32_e32 v17, 0
	s_waitcnt lgkmcnt(0)
	s_barrier
	s_and_saveexec_b64 s[4:5], vcc
; %bb.71:
	v_lshl_add_u32 v17, v53, 2, -4
	ds_read_b32 v17, v17
; %bb.72:
	s_or_b64 exec, exec, s[4:5]
	v_subrev_co_u32_e32 v18, vcc, 1, v52
	v_and_b32_e32 v19, 64, v52
	v_cmp_lt_i32_e64 s[4:5], v18, v19
	v_cndmask_b32_e64 v18, v18, v52, s[4:5]
	s_waitcnt lgkmcnt(0)
	v_add_u32_e32 v1, v17, v1
	v_lshlrev_b32_e32 v18, 2, v18
	ds_bpermute_b32 v18, v18, v1
	ds_read_b32 v1, v2 offset:12
	s_and_saveexec_b64 s[4:5], s[0:1]
	s_cbranch_execz .LBB493_74
; %bb.73:
	v_mov_b32_e32 v19, 0
	v_mov_b32_e32 v2, 2
	s_waitcnt lgkmcnt(0)
	global_store_dwordx2 v19, v[1:2], s[34:35] offset:512
.LBB493_74:
	s_or_b64 exec, exec, s[4:5]
	s_waitcnt lgkmcnt(1)
	v_cndmask_b32_e32 v2, v18, v17, vcc
	v_cndmask_b32_e64 v17, v2, 0, s[0:1]
	s_waitcnt vmcnt(0) lgkmcnt(0)
	s_barrier
	v_mov_b32_e32 v2, 0
.LBB493_75:
	v_add_u32_e32 v18, v17, v41
	v_add_u32_e32 v19, v18, v42
	v_add_u32_e32 v20, v19, v43
	v_add_u32_e32 v21, v20, v44
	s_waitcnt lgkmcnt(0)
	v_add_u32_e32 v27, v1, v27
	v_sub_u32_e32 v17, v17, v2
	v_and_b32_e32 v28, 1, v28
	v_add_u32_e32 v22, v21, v45
	v_sub_u32_e32 v45, v27, v17
	v_cmp_eq_u32_e32 vcc, 1, v28
	v_cndmask_b32_e32 v17, v45, v17, vcc
	v_lshlrev_b32_e32 v17, 2, v17
	ds_write_b32 v17, v15
	v_sub_u32_e32 v15, v18, v2
	v_sub_u32_e32 v17, v27, v15
	v_and_b32_e32 v18, 1, v29
	v_add_u32_e32 v17, 1, v17
	v_cmp_eq_u32_e32 vcc, 1, v18
	v_cndmask_b32_e32 v15, v17, v15, vcc
	v_lshlrev_b32_e32 v15, 2, v15
	ds_write_b32 v15, v16
	v_sub_u32_e32 v15, v19, v2
	v_sub_u32_e32 v16, v27, v15
	v_and_b32_e32 v17, 1, v30
	v_add_u32_e32 v16, 2, v16
	;; [unrolled: 8-line block ×5, first 2 shown]
	v_cmp_eq_u32_e32 vcc, 1, v14
	v_cndmask_b32_e32 v11, v13, v11, vcc
	v_add_u32_e32 v23, v22, v46
	v_lshlrev_b32_e32 v11, 2, v11
	ds_write_b32 v11, v12
	v_sub_u32_e32 v11, v23, v2
	v_sub_u32_e32 v12, v27, v11
	v_and_b32_e32 v13, 1, v34
	v_add_u32_e32 v12, 6, v12
	v_cmp_eq_u32_e32 vcc, 1, v13
	v_cndmask_b32_e32 v11, v12, v11, vcc
	v_add_u32_e32 v24, v23, v47
	v_lshlrev_b32_e32 v11, 2, v11
	ds_write_b32 v11, v9
	v_sub_u32_e32 v9, v24, v2
	v_sub_u32_e32 v11, v27, v9
	v_and_b32_e32 v12, 1, v35
	v_add_u32_e32 v11, 7, v11
	;; [unrolled: 9-line block ×6, first 2 shown]
	v_cmp_eq_u32_e32 vcc, 1, v8
	v_cndmask_b32_e32 v5, v7, v5, vcc
	v_lshlrev_b32_e32 v5, 2, v5
	ds_write_b32 v5, v6
	v_sub_u32_e32 v5, v40, v2
	v_add_u32_e32 v5, v44, v5
	v_sub_u32_e32 v6, v27, v5
	v_add_u32_e32 v6, 12, v6
	v_cndmask_b32_e64 v5, v6, v5, s[36:37]
	v_lshlrev_b32_e32 v5, 2, v5
	ds_write_b32 v5, v26
	s_waitcnt lgkmcnt(0)
	s_barrier
	ds_read2st64_b32 v[15:16], v25 offset1:4
	ds_read2st64_b32 v[13:14], v25 offset0:8 offset1:12
	ds_read2st64_b32 v[11:12], v25 offset0:16 offset1:20
	;; [unrolled: 1-line block ×5, first 2 shown]
	ds_read_b32 v18, v25 offset:12288
	s_and_b64 vcc, exec, s[2:3]
	v_add_co_u32_e64 v17, s[2:3], v3, v2
	v_or_b32_e32 v32, 0x100, v0
	v_or_b32_e32 v30, 0x200, v0
	;; [unrolled: 1-line block ×12, first 2 shown]
	v_addc_co_u32_e64 v4, s[2:3], 0, v4, s[2:3]
	s_cbranch_vccnz .LBB493_132
; %bb.76:
	v_mov_b32_e32 v2, s29
	v_subrev_co_u32_e32 v3, vcc, s28, v17
	s_sub_u32 s2, s30, s42
	v_subb_co_u32_e32 v2, vcc, v4, v2, vcc
	s_subb_u32 s3, s31, 0
	v_mov_b32_e32 v25, s3
	v_add_co_u32_e32 v31, vcc, s2, v1
	v_addc_co_u32_e32 v33, vcc, 0, v25, vcc
	v_add_co_u32_e32 v25, vcc, v31, v3
	v_addc_co_u32_e32 v31, vcc, v33, v2, vcc
	v_cmp_ge_u32_e32 vcc, v0, v1
                                        ; implicit-def: $vgpr2_vgpr3
	s_and_saveexec_b64 s[2:3], vcc
	s_xor_b64 s[2:3], exec, s[2:3]
; %bb.77:
	v_not_b32_e32 v2, v0
	v_ashrrev_i32_e32 v3, 31, v2
	v_add_co_u32_e32 v2, vcc, v25, v2
	v_addc_co_u32_e32 v3, vcc, v31, v3, vcc
; %bb.78:
	s_andn2_saveexec_b64 s[2:3], s[2:3]
; %bb.79:
	v_add_co_u32_e32 v2, vcc, v17, v0
	v_addc_co_u32_e32 v3, vcc, 0, v4, vcc
; %bb.80:
	s_or_b64 exec, exec, s[2:3]
	v_lshlrev_b64 v[2:3], 2, v[2:3]
	v_mov_b32_e32 v33, s23
	v_add_co_u32_e32 v2, vcc, s22, v2
	v_addc_co_u32_e32 v3, vcc, v33, v3, vcc
	v_cmp_ge_u32_e32 vcc, v32, v1
	s_waitcnt lgkmcnt(6)
	global_store_dword v[2:3], v15, off
                                        ; implicit-def: $vgpr2_vgpr3
	s_and_saveexec_b64 s[2:3], vcc
	s_xor_b64 s[2:3], exec, s[2:3]
; %bb.81:
	v_xor_b32_e32 v2, 0xfffffeff, v0
	v_ashrrev_i32_e32 v3, 31, v2
	v_add_co_u32_e32 v2, vcc, v25, v2
	v_addc_co_u32_e32 v3, vcc, v31, v3, vcc
; %bb.82:
	s_andn2_saveexec_b64 s[2:3], s[2:3]
; %bb.83:
	v_add_co_u32_e32 v2, vcc, v17, v32
	v_addc_co_u32_e32 v3, vcc, 0, v4, vcc
; %bb.84:
	s_or_b64 exec, exec, s[2:3]
	v_lshlrev_b64 v[2:3], 2, v[2:3]
	v_mov_b32_e32 v33, s23
	v_add_co_u32_e32 v2, vcc, s22, v2
	v_addc_co_u32_e32 v3, vcc, v33, v3, vcc
	v_cmp_ge_u32_e32 vcc, v30, v1
	global_store_dword v[2:3], v16, off
                                        ; implicit-def: $vgpr2_vgpr3
	s_and_saveexec_b64 s[2:3], vcc
	s_xor_b64 s[2:3], exec, s[2:3]
; %bb.85:
	v_xor_b32_e32 v2, 0xfffffdff, v0
	v_ashrrev_i32_e32 v3, 31, v2
	v_add_co_u32_e32 v2, vcc, v25, v2
	v_addc_co_u32_e32 v3, vcc, v31, v3, vcc
; %bb.86:
	s_andn2_saveexec_b64 s[2:3], s[2:3]
; %bb.87:
	v_add_co_u32_e32 v2, vcc, v17, v30
	v_addc_co_u32_e32 v3, vcc, 0, v4, vcc
; %bb.88:
	s_or_b64 exec, exec, s[2:3]
	v_lshlrev_b64 v[2:3], 2, v[2:3]
	v_mov_b32_e32 v33, s23
	v_add_co_u32_e32 v2, vcc, s22, v2
	v_addc_co_u32_e32 v3, vcc, v33, v3, vcc
	v_cmp_ge_u32_e32 vcc, v29, v1
	s_waitcnt lgkmcnt(5)
	global_store_dword v[2:3], v13, off
                                        ; implicit-def: $vgpr2_vgpr3
	s_and_saveexec_b64 s[2:3], vcc
	s_xor_b64 s[2:3], exec, s[2:3]
; %bb.89:
	v_xor_b32_e32 v2, 0xfffffcff, v0
	v_ashrrev_i32_e32 v3, 31, v2
	v_add_co_u32_e32 v2, vcc, v25, v2
	v_addc_co_u32_e32 v3, vcc, v31, v3, vcc
; %bb.90:
	s_andn2_saveexec_b64 s[2:3], s[2:3]
; %bb.91:
	v_add_co_u32_e32 v2, vcc, v17, v29
	v_addc_co_u32_e32 v3, vcc, 0, v4, vcc
; %bb.92:
	s_or_b64 exec, exec, s[2:3]
	v_lshlrev_b64 v[2:3], 2, v[2:3]
	v_mov_b32_e32 v33, s23
	v_add_co_u32_e32 v2, vcc, s22, v2
	v_addc_co_u32_e32 v3, vcc, v33, v3, vcc
	v_cmp_ge_u32_e32 vcc, v28, v1
	global_store_dword v[2:3], v14, off
                                        ; implicit-def: $vgpr2_vgpr3
	s_and_saveexec_b64 s[2:3], vcc
	s_xor_b64 s[2:3], exec, s[2:3]
; %bb.93:
	v_xor_b32_e32 v2, 0xfffffbff, v0
	;; [unrolled: 43-line block ×6, first 2 shown]
	v_ashrrev_i32_e32 v3, 31, v2
	v_add_co_u32_e32 v2, vcc, v25, v2
	v_addc_co_u32_e32 v3, vcc, v31, v3, vcc
; %bb.126:
	s_andn2_saveexec_b64 s[2:3], s[2:3]
; %bb.127:
	v_add_co_u32_e32 v2, vcc, v17, v19
	v_addc_co_u32_e32 v3, vcc, 0, v4, vcc
; %bb.128:
	s_or_b64 exec, exec, s[2:3]
	s_mov_b64 s[2:3], -1
.LBB493_129:
	s_and_saveexec_b64 s[4:5], s[2:3]
	s_cbranch_execz .LBB493_212
.LBB493_130:
	v_lshlrev_b64 v[2:3], 2, v[2:3]
	v_mov_b32_e32 v0, s23
	v_add_co_u32_e32 v2, vcc, s22, v2
	v_addc_co_u32_e32 v3, vcc, v0, v3, vcc
	s_waitcnt lgkmcnt(0)
	global_store_dword v[2:3], v18, off
	s_or_b64 exec, exec, s[4:5]
	s_and_b64 s[0:1], s[0:1], s[26:27]
	s_and_saveexec_b64 s[2:3], s[0:1]
	s_cbranch_execnz .LBB493_213
.LBB493_131:
	s_endpgm
.LBB493_132:
	s_mov_b64 s[2:3], 0
                                        ; implicit-def: $vgpr2_vgpr3
	s_cbranch_execz .LBB493_129
; %bb.133:
	s_add_u32 s4, s28, s42
	s_addc_u32 s5, s29, 0
	s_sub_u32 s4, s30, s4
	s_subb_u32 s5, s31, s5
	v_mov_b32_e32 v2, s5
	v_add_co_u32_e32 v3, vcc, s4, v1
	v_addc_co_u32_e32 v2, vcc, 0, v2, vcc
	v_add_co_u32_e32 v25, vcc, v3, v17
	v_addc_co_u32_e32 v31, vcc, v2, v4, vcc
	v_cmp_gt_u32_e32 vcc, s33, v0
	s_and_saveexec_b64 s[4:5], vcc
	s_cbranch_execz .LBB493_169
; %bb.134:
	v_cmp_ge_u32_e32 vcc, v0, v1
                                        ; implicit-def: $vgpr2_vgpr3
	s_and_saveexec_b64 s[6:7], vcc
	s_xor_b64 s[6:7], exec, s[6:7]
; %bb.135:
	v_not_b32_e32 v2, v0
	v_ashrrev_i32_e32 v3, 31, v2
	v_add_co_u32_e32 v2, vcc, v25, v2
	v_addc_co_u32_e32 v3, vcc, v31, v3, vcc
; %bb.136:
	s_andn2_saveexec_b64 s[6:7], s[6:7]
; %bb.137:
	v_add_co_u32_e32 v2, vcc, v17, v0
	v_addc_co_u32_e32 v3, vcc, 0, v4, vcc
; %bb.138:
	s_or_b64 exec, exec, s[6:7]
	v_lshlrev_b64 v[2:3], 2, v[2:3]
	v_mov_b32_e32 v33, s23
	v_add_co_u32_e32 v2, vcc, s22, v2
	v_addc_co_u32_e32 v3, vcc, v33, v3, vcc
	s_waitcnt lgkmcnt(6)
	global_store_dword v[2:3], v15, off
	s_or_b64 exec, exec, s[4:5]
	v_cmp_gt_u32_e32 vcc, s33, v32
	s_and_saveexec_b64 s[4:5], vcc
	s_cbranch_execnz .LBB493_170
.LBB493_139:
	s_or_b64 exec, exec, s[4:5]
	v_cmp_gt_u32_e32 vcc, s33, v30
	s_and_saveexec_b64 s[4:5], vcc
	s_cbranch_execz .LBB493_175
.LBB493_140:
	v_cmp_ge_u32_e32 vcc, v30, v1
                                        ; implicit-def: $vgpr2_vgpr3
	s_and_saveexec_b64 s[6:7], vcc
	s_xor_b64 s[6:7], exec, s[6:7]
; %bb.141:
	v_xor_b32_e32 v2, 0xfffffdff, v0
	v_ashrrev_i32_e32 v3, 31, v2
	v_add_co_u32_e32 v2, vcc, v25, v2
	v_addc_co_u32_e32 v3, vcc, v31, v3, vcc
                                        ; implicit-def: $vgpr30
; %bb.142:
	s_andn2_saveexec_b64 s[6:7], s[6:7]
; %bb.143:
	v_add_co_u32_e32 v2, vcc, v17, v30
	v_addc_co_u32_e32 v3, vcc, 0, v4, vcc
; %bb.144:
	s_or_b64 exec, exec, s[6:7]
	v_lshlrev_b64 v[2:3], 2, v[2:3]
	s_waitcnt lgkmcnt(6)
	v_mov_b32_e32 v15, s23
	v_add_co_u32_e32 v2, vcc, s22, v2
	v_addc_co_u32_e32 v3, vcc, v15, v3, vcc
	s_waitcnt lgkmcnt(5)
	global_store_dword v[2:3], v13, off
	s_or_b64 exec, exec, s[4:5]
	v_cmp_gt_u32_e32 vcc, s33, v29
	s_and_saveexec_b64 s[4:5], vcc
	s_cbranch_execnz .LBB493_176
.LBB493_145:
	s_or_b64 exec, exec, s[4:5]
	v_cmp_gt_u32_e32 vcc, s33, v28
	s_and_saveexec_b64 s[4:5], vcc
	s_cbranch_execz .LBB493_181
.LBB493_146:
	v_cmp_ge_u32_e32 vcc, v28, v1
                                        ; implicit-def: $vgpr2_vgpr3
	s_and_saveexec_b64 s[6:7], vcc
	s_xor_b64 s[6:7], exec, s[6:7]
; %bb.147:
	v_xor_b32_e32 v2, 0xfffffbff, v0
	v_ashrrev_i32_e32 v3, 31, v2
	v_add_co_u32_e32 v2, vcc, v25, v2
	v_addc_co_u32_e32 v3, vcc, v31, v3, vcc
                                        ; implicit-def: $vgpr28
; %bb.148:
	s_andn2_saveexec_b64 s[6:7], s[6:7]
; %bb.149:
	v_add_co_u32_e32 v2, vcc, v17, v28
	v_addc_co_u32_e32 v3, vcc, 0, v4, vcc
; %bb.150:
	s_or_b64 exec, exec, s[6:7]
	v_lshlrev_b64 v[2:3], 2, v[2:3]
	s_waitcnt lgkmcnt(5)
	v_mov_b32_e32 v13, s23
	v_add_co_u32_e32 v2, vcc, s22, v2
	v_addc_co_u32_e32 v3, vcc, v13, v3, vcc
	s_waitcnt lgkmcnt(4)
	global_store_dword v[2:3], v11, off
	s_or_b64 exec, exec, s[4:5]
	v_cmp_gt_u32_e32 vcc, s33, v27
	s_and_saveexec_b64 s[4:5], vcc
	s_cbranch_execnz .LBB493_182
.LBB493_151:
	s_or_b64 exec, exec, s[4:5]
	v_cmp_gt_u32_e32 vcc, s33, v26
	s_and_saveexec_b64 s[4:5], vcc
	s_cbranch_execz .LBB493_187
.LBB493_152:
	v_cmp_ge_u32_e32 vcc, v26, v1
                                        ; implicit-def: $vgpr2_vgpr3
	s_and_saveexec_b64 s[6:7], vcc
	s_xor_b64 s[6:7], exec, s[6:7]
; %bb.153:
	v_xor_b32_e32 v2, 0xfffff9ff, v0
	v_ashrrev_i32_e32 v3, 31, v2
	v_add_co_u32_e32 v2, vcc, v25, v2
	v_addc_co_u32_e32 v3, vcc, v31, v3, vcc
                                        ; implicit-def: $vgpr26
; %bb.154:
	s_andn2_saveexec_b64 s[6:7], s[6:7]
; %bb.155:
	v_add_co_u32_e32 v2, vcc, v17, v26
	v_addc_co_u32_e32 v3, vcc, 0, v4, vcc
; %bb.156:
	s_or_b64 exec, exec, s[6:7]
	v_lshlrev_b64 v[2:3], 2, v[2:3]
	s_waitcnt lgkmcnt(4)
	v_mov_b32_e32 v11, s23
	v_add_co_u32_e32 v2, vcc, s22, v2
	v_addc_co_u32_e32 v3, vcc, v11, v3, vcc
	s_waitcnt lgkmcnt(3)
	global_store_dword v[2:3], v9, off
	s_or_b64 exec, exec, s[4:5]
	v_cmp_gt_u32_e32 vcc, s33, v24
	s_and_saveexec_b64 s[4:5], vcc
	s_cbranch_execnz .LBB493_188
.LBB493_157:
	s_or_b64 exec, exec, s[4:5]
	v_cmp_gt_u32_e32 vcc, s33, v23
	s_and_saveexec_b64 s[4:5], vcc
	s_cbranch_execz .LBB493_193
.LBB493_158:
	v_cmp_ge_u32_e32 vcc, v23, v1
                                        ; implicit-def: $vgpr2_vgpr3
	s_and_saveexec_b64 s[6:7], vcc
	s_xor_b64 s[6:7], exec, s[6:7]
; %bb.159:
	v_xor_b32_e32 v2, 0xfffff7ff, v0
	v_ashrrev_i32_e32 v3, 31, v2
	v_add_co_u32_e32 v2, vcc, v25, v2
	v_addc_co_u32_e32 v3, vcc, v31, v3, vcc
                                        ; implicit-def: $vgpr23
; %bb.160:
	s_andn2_saveexec_b64 s[6:7], s[6:7]
; %bb.161:
	v_add_co_u32_e32 v2, vcc, v17, v23
	v_addc_co_u32_e32 v3, vcc, 0, v4, vcc
; %bb.162:
	s_or_b64 exec, exec, s[6:7]
	v_lshlrev_b64 v[2:3], 2, v[2:3]
	s_waitcnt lgkmcnt(3)
	v_mov_b32_e32 v9, s23
	v_add_co_u32_e32 v2, vcc, s22, v2
	v_addc_co_u32_e32 v3, vcc, v9, v3, vcc
	s_waitcnt lgkmcnt(2)
	global_store_dword v[2:3], v7, off
	s_or_b64 exec, exec, s[4:5]
	v_cmp_gt_u32_e32 vcc, s33, v22
	s_and_saveexec_b64 s[4:5], vcc
	s_cbranch_execnz .LBB493_194
.LBB493_163:
	s_or_b64 exec, exec, s[4:5]
	v_cmp_gt_u32_e32 vcc, s33, v21
	s_and_saveexec_b64 s[4:5], vcc
	s_cbranch_execz .LBB493_199
.LBB493_164:
	v_cmp_ge_u32_e32 vcc, v21, v1
                                        ; implicit-def: $vgpr2_vgpr3
	s_and_saveexec_b64 s[6:7], vcc
	s_xor_b64 s[6:7], exec, s[6:7]
; %bb.165:
	v_xor_b32_e32 v2, 0xfffff5ff, v0
	v_ashrrev_i32_e32 v3, 31, v2
	v_add_co_u32_e32 v2, vcc, v25, v2
	v_addc_co_u32_e32 v3, vcc, v31, v3, vcc
                                        ; implicit-def: $vgpr21
; %bb.166:
	s_andn2_saveexec_b64 s[6:7], s[6:7]
; %bb.167:
	v_add_co_u32_e32 v2, vcc, v17, v21
	v_addc_co_u32_e32 v3, vcc, 0, v4, vcc
; %bb.168:
	s_or_b64 exec, exec, s[6:7]
	v_lshlrev_b64 v[2:3], 2, v[2:3]
	s_waitcnt lgkmcnt(2)
	v_mov_b32_e32 v7, s23
	v_add_co_u32_e32 v2, vcc, s22, v2
	v_addc_co_u32_e32 v3, vcc, v7, v3, vcc
	s_waitcnt lgkmcnt(1)
	global_store_dword v[2:3], v5, off
	s_or_b64 exec, exec, s[4:5]
	v_cmp_gt_u32_e32 vcc, s33, v20
	s_and_saveexec_b64 s[4:5], vcc
	s_cbranch_execz .LBB493_205
	s_branch .LBB493_200
.LBB493_169:
	s_or_b64 exec, exec, s[4:5]
	v_cmp_gt_u32_e32 vcc, s33, v32
	s_and_saveexec_b64 s[4:5], vcc
	s_cbranch_execz .LBB493_139
.LBB493_170:
	v_cmp_ge_u32_e32 vcc, v32, v1
                                        ; implicit-def: $vgpr2_vgpr3
	s_and_saveexec_b64 s[6:7], vcc
	s_xor_b64 s[6:7], exec, s[6:7]
; %bb.171:
	v_xor_b32_e32 v2, 0xfffffeff, v0
	v_ashrrev_i32_e32 v3, 31, v2
	v_add_co_u32_e32 v2, vcc, v25, v2
	v_addc_co_u32_e32 v3, vcc, v31, v3, vcc
                                        ; implicit-def: $vgpr32
; %bb.172:
	s_andn2_saveexec_b64 s[6:7], s[6:7]
; %bb.173:
	v_add_co_u32_e32 v2, vcc, v17, v32
	v_addc_co_u32_e32 v3, vcc, 0, v4, vcc
; %bb.174:
	s_or_b64 exec, exec, s[6:7]
	v_lshlrev_b64 v[2:3], 2, v[2:3]
	s_waitcnt lgkmcnt(6)
	v_mov_b32_e32 v15, s23
	v_add_co_u32_e32 v2, vcc, s22, v2
	v_addc_co_u32_e32 v3, vcc, v15, v3, vcc
	global_store_dword v[2:3], v16, off
	s_or_b64 exec, exec, s[4:5]
	v_cmp_gt_u32_e32 vcc, s33, v30
	s_and_saveexec_b64 s[4:5], vcc
	s_cbranch_execnz .LBB493_140
.LBB493_175:
	s_or_b64 exec, exec, s[4:5]
	v_cmp_gt_u32_e32 vcc, s33, v29
	s_and_saveexec_b64 s[4:5], vcc
	s_cbranch_execz .LBB493_145
.LBB493_176:
	v_cmp_ge_u32_e32 vcc, v29, v1
                                        ; implicit-def: $vgpr2_vgpr3
	s_and_saveexec_b64 s[6:7], vcc
	s_xor_b64 s[6:7], exec, s[6:7]
; %bb.177:
	v_xor_b32_e32 v2, 0xfffffcff, v0
	v_ashrrev_i32_e32 v3, 31, v2
	v_add_co_u32_e32 v2, vcc, v25, v2
	v_addc_co_u32_e32 v3, vcc, v31, v3, vcc
                                        ; implicit-def: $vgpr29
; %bb.178:
	s_andn2_saveexec_b64 s[6:7], s[6:7]
; %bb.179:
	v_add_co_u32_e32 v2, vcc, v17, v29
	v_addc_co_u32_e32 v3, vcc, 0, v4, vcc
; %bb.180:
	s_or_b64 exec, exec, s[6:7]
	v_lshlrev_b64 v[2:3], 2, v[2:3]
	s_waitcnt lgkmcnt(5)
	v_mov_b32_e32 v13, s23
	v_add_co_u32_e32 v2, vcc, s22, v2
	v_addc_co_u32_e32 v3, vcc, v13, v3, vcc
	global_store_dword v[2:3], v14, off
	s_or_b64 exec, exec, s[4:5]
	v_cmp_gt_u32_e32 vcc, s33, v28
	s_and_saveexec_b64 s[4:5], vcc
	s_cbranch_execnz .LBB493_146
.LBB493_181:
	s_or_b64 exec, exec, s[4:5]
	v_cmp_gt_u32_e32 vcc, s33, v27
	s_and_saveexec_b64 s[4:5], vcc
	s_cbranch_execz .LBB493_151
.LBB493_182:
	v_cmp_ge_u32_e32 vcc, v27, v1
                                        ; implicit-def: $vgpr2_vgpr3
	s_and_saveexec_b64 s[6:7], vcc
	s_xor_b64 s[6:7], exec, s[6:7]
; %bb.183:
	v_xor_b32_e32 v2, 0xfffffaff, v0
	v_ashrrev_i32_e32 v3, 31, v2
	v_add_co_u32_e32 v2, vcc, v25, v2
	v_addc_co_u32_e32 v3, vcc, v31, v3, vcc
                                        ; implicit-def: $vgpr27
; %bb.184:
	s_andn2_saveexec_b64 s[6:7], s[6:7]
; %bb.185:
	v_add_co_u32_e32 v2, vcc, v17, v27
	v_addc_co_u32_e32 v3, vcc, 0, v4, vcc
; %bb.186:
	s_or_b64 exec, exec, s[6:7]
	v_lshlrev_b64 v[2:3], 2, v[2:3]
	s_waitcnt lgkmcnt(4)
	v_mov_b32_e32 v11, s23
	v_add_co_u32_e32 v2, vcc, s22, v2
	v_addc_co_u32_e32 v3, vcc, v11, v3, vcc
	global_store_dword v[2:3], v12, off
	s_or_b64 exec, exec, s[4:5]
	v_cmp_gt_u32_e32 vcc, s33, v26
	s_and_saveexec_b64 s[4:5], vcc
	s_cbranch_execnz .LBB493_152
.LBB493_187:
	s_or_b64 exec, exec, s[4:5]
	v_cmp_gt_u32_e32 vcc, s33, v24
	s_and_saveexec_b64 s[4:5], vcc
	s_cbranch_execz .LBB493_157
.LBB493_188:
	v_cmp_ge_u32_e32 vcc, v24, v1
                                        ; implicit-def: $vgpr2_vgpr3
	s_and_saveexec_b64 s[6:7], vcc
	s_xor_b64 s[6:7], exec, s[6:7]
; %bb.189:
	v_xor_b32_e32 v2, 0xfffff8ff, v0
	v_ashrrev_i32_e32 v3, 31, v2
	v_add_co_u32_e32 v2, vcc, v25, v2
	v_addc_co_u32_e32 v3, vcc, v31, v3, vcc
                                        ; implicit-def: $vgpr24
; %bb.190:
	s_andn2_saveexec_b64 s[6:7], s[6:7]
; %bb.191:
	v_add_co_u32_e32 v2, vcc, v17, v24
	v_addc_co_u32_e32 v3, vcc, 0, v4, vcc
; %bb.192:
	s_or_b64 exec, exec, s[6:7]
	v_lshlrev_b64 v[2:3], 2, v[2:3]
	s_waitcnt lgkmcnt(3)
	v_mov_b32_e32 v9, s23
	v_add_co_u32_e32 v2, vcc, s22, v2
	v_addc_co_u32_e32 v3, vcc, v9, v3, vcc
	global_store_dword v[2:3], v10, off
	s_or_b64 exec, exec, s[4:5]
	v_cmp_gt_u32_e32 vcc, s33, v23
	s_and_saveexec_b64 s[4:5], vcc
	s_cbranch_execnz .LBB493_158
.LBB493_193:
	s_or_b64 exec, exec, s[4:5]
	v_cmp_gt_u32_e32 vcc, s33, v22
	s_and_saveexec_b64 s[4:5], vcc
	s_cbranch_execz .LBB493_163
.LBB493_194:
	v_cmp_ge_u32_e32 vcc, v22, v1
                                        ; implicit-def: $vgpr2_vgpr3
	s_and_saveexec_b64 s[6:7], vcc
	s_xor_b64 s[6:7], exec, s[6:7]
; %bb.195:
	v_xor_b32_e32 v2, 0xfffff6ff, v0
	v_ashrrev_i32_e32 v3, 31, v2
	v_add_co_u32_e32 v2, vcc, v25, v2
	v_addc_co_u32_e32 v3, vcc, v31, v3, vcc
                                        ; implicit-def: $vgpr22
; %bb.196:
	s_andn2_saveexec_b64 s[6:7], s[6:7]
; %bb.197:
	v_add_co_u32_e32 v2, vcc, v17, v22
	v_addc_co_u32_e32 v3, vcc, 0, v4, vcc
; %bb.198:
	s_or_b64 exec, exec, s[6:7]
	v_lshlrev_b64 v[2:3], 2, v[2:3]
	s_waitcnt lgkmcnt(2)
	v_mov_b32_e32 v7, s23
	v_add_co_u32_e32 v2, vcc, s22, v2
	v_addc_co_u32_e32 v3, vcc, v7, v3, vcc
	global_store_dword v[2:3], v8, off
	s_or_b64 exec, exec, s[4:5]
	v_cmp_gt_u32_e32 vcc, s33, v21
	s_and_saveexec_b64 s[4:5], vcc
	s_cbranch_execnz .LBB493_164
.LBB493_199:
	s_or_b64 exec, exec, s[4:5]
	v_cmp_gt_u32_e32 vcc, s33, v20
	s_and_saveexec_b64 s[4:5], vcc
	s_cbranch_execz .LBB493_205
.LBB493_200:
	v_cmp_ge_u32_e32 vcc, v20, v1
                                        ; implicit-def: $vgpr2_vgpr3
	s_and_saveexec_b64 s[6:7], vcc
	s_xor_b64 s[6:7], exec, s[6:7]
; %bb.201:
	v_xor_b32_e32 v2, 0xfffff4ff, v0
	v_ashrrev_i32_e32 v3, 31, v2
	v_add_co_u32_e32 v2, vcc, v25, v2
	v_addc_co_u32_e32 v3, vcc, v31, v3, vcc
                                        ; implicit-def: $vgpr20
; %bb.202:
	s_andn2_saveexec_b64 s[6:7], s[6:7]
; %bb.203:
	v_add_co_u32_e32 v2, vcc, v17, v20
	v_addc_co_u32_e32 v3, vcc, 0, v4, vcc
; %bb.204:
	s_or_b64 exec, exec, s[6:7]
	v_lshlrev_b64 v[2:3], 2, v[2:3]
	s_waitcnt lgkmcnt(1)
	v_mov_b32_e32 v5, s23
	v_add_co_u32_e32 v2, vcc, s22, v2
	v_addc_co_u32_e32 v3, vcc, v5, v3, vcc
	global_store_dword v[2:3], v6, off
.LBB493_205:
	s_or_b64 exec, exec, s[4:5]
	v_cmp_gt_u32_e32 vcc, s33, v19
                                        ; implicit-def: $vgpr2_vgpr3
	s_and_saveexec_b64 s[4:5], vcc
	s_cbranch_execz .LBB493_211
; %bb.206:
	v_cmp_ge_u32_e32 vcc, v19, v1
                                        ; implicit-def: $vgpr2_vgpr3
	s_and_saveexec_b64 s[6:7], vcc
	s_xor_b64 s[6:7], exec, s[6:7]
; %bb.207:
	v_xor_b32_e32 v0, 0xfffff3ff, v0
	v_ashrrev_i32_e32 v3, 31, v0
	v_add_co_u32_e32 v2, vcc, v25, v0
	v_addc_co_u32_e32 v3, vcc, v31, v3, vcc
                                        ; implicit-def: $vgpr19
; %bb.208:
	s_andn2_saveexec_b64 s[6:7], s[6:7]
; %bb.209:
	v_add_co_u32_e32 v2, vcc, v17, v19
	v_addc_co_u32_e32 v3, vcc, 0, v4, vcc
; %bb.210:
	s_or_b64 exec, exec, s[6:7]
	s_or_b64 s[2:3], s[2:3], exec
.LBB493_211:
	s_or_b64 exec, exec, s[4:5]
	s_and_saveexec_b64 s[4:5], s[2:3]
	s_cbranch_execnz .LBB493_130
.LBB493_212:
	s_or_b64 exec, exec, s[4:5]
	s_and_b64 s[0:1], s[0:1], s[26:27]
	s_and_saveexec_b64 s[2:3], s[0:1]
	s_cbranch_execz .LBB493_131
.LBB493_213:
	v_add_co_u32_e32 v0, vcc, v17, v1
	v_mov_b32_e32 v2, 0
	v_addc_co_u32_e32 v1, vcc, 0, v4, vcc
	global_store_dwordx2 v2, v[0:1], s[24:25]
	s_endpgm
	.section	.rodata,"a",@progbits
	.p2align	6, 0x0
	.amdhsa_kernel _ZN7rocprim17ROCPRIM_400000_NS6detail17trampoline_kernelINS0_13select_configILj256ELj13ELNS0_17block_load_methodE3ELS4_3ELS4_3ELNS0_20block_scan_algorithmE0ELj4294967295EEENS1_25partition_config_selectorILNS1_17partition_subalgoE3EjNS0_10empty_typeEbEEZZNS1_14partition_implILS8_3ELb0ES6_jNS0_17counting_iteratorIjlEEPS9_SE_NS0_5tupleIJPjSE_EEENSF_IJSE_SE_EEES9_SG_JZNS1_25segmented_radix_sort_implINS0_14default_configELb1EPKiPiPKlPlN2at6native12_GLOBAL__N_18offset_tEEE10hipError_tPvRmT1_PNSt15iterator_traitsISY_E10value_typeET2_T3_PNSZ_IS14_E10value_typeET4_jRbjT5_S1A_jjP12ihipStream_tbEUljE_EEESV_SW_SX_S14_S18_S1A_T6_T7_T9_mT8_S1C_bDpT10_ENKUlT_T0_E_clISt17integral_constantIbLb0EES1O_IbLb1EEEEDaS1K_S1L_EUlS1K_E_NS1_11comp_targetILNS1_3genE2ELNS1_11target_archE906ELNS1_3gpuE6ELNS1_3repE0EEENS1_30default_config_static_selectorELNS0_4arch9wavefront6targetE1EEEvSY_
		.amdhsa_group_segment_fixed_size 13320
		.amdhsa_private_segment_fixed_size 0
		.amdhsa_kernarg_size 152
		.amdhsa_user_sgpr_count 6
		.amdhsa_user_sgpr_private_segment_buffer 1
		.amdhsa_user_sgpr_dispatch_ptr 0
		.amdhsa_user_sgpr_queue_ptr 0
		.amdhsa_user_sgpr_kernarg_segment_ptr 1
		.amdhsa_user_sgpr_dispatch_id 0
		.amdhsa_user_sgpr_flat_scratch_init 0
		.amdhsa_user_sgpr_private_segment_size 0
		.amdhsa_uses_dynamic_stack 0
		.amdhsa_system_sgpr_private_segment_wavefront_offset 0
		.amdhsa_system_sgpr_workgroup_id_x 1
		.amdhsa_system_sgpr_workgroup_id_y 0
		.amdhsa_system_sgpr_workgroup_id_z 0
		.amdhsa_system_sgpr_workgroup_info 0
		.amdhsa_system_vgpr_workitem_id 0
		.amdhsa_next_free_vgpr 71
		.amdhsa_next_free_sgpr 98
		.amdhsa_reserve_vcc 1
		.amdhsa_reserve_flat_scratch 0
		.amdhsa_float_round_mode_32 0
		.amdhsa_float_round_mode_16_64 0
		.amdhsa_float_denorm_mode_32 3
		.amdhsa_float_denorm_mode_16_64 3
		.amdhsa_dx10_clamp 1
		.amdhsa_ieee_mode 1
		.amdhsa_fp16_overflow 0
		.amdhsa_exception_fp_ieee_invalid_op 0
		.amdhsa_exception_fp_denorm_src 0
		.amdhsa_exception_fp_ieee_div_zero 0
		.amdhsa_exception_fp_ieee_overflow 0
		.amdhsa_exception_fp_ieee_underflow 0
		.amdhsa_exception_fp_ieee_inexact 0
		.amdhsa_exception_int_div_zero 0
	.end_amdhsa_kernel
	.section	.text._ZN7rocprim17ROCPRIM_400000_NS6detail17trampoline_kernelINS0_13select_configILj256ELj13ELNS0_17block_load_methodE3ELS4_3ELS4_3ELNS0_20block_scan_algorithmE0ELj4294967295EEENS1_25partition_config_selectorILNS1_17partition_subalgoE3EjNS0_10empty_typeEbEEZZNS1_14partition_implILS8_3ELb0ES6_jNS0_17counting_iteratorIjlEEPS9_SE_NS0_5tupleIJPjSE_EEENSF_IJSE_SE_EEES9_SG_JZNS1_25segmented_radix_sort_implINS0_14default_configELb1EPKiPiPKlPlN2at6native12_GLOBAL__N_18offset_tEEE10hipError_tPvRmT1_PNSt15iterator_traitsISY_E10value_typeET2_T3_PNSZ_IS14_E10value_typeET4_jRbjT5_S1A_jjP12ihipStream_tbEUljE_EEESV_SW_SX_S14_S18_S1A_T6_T7_T9_mT8_S1C_bDpT10_ENKUlT_T0_E_clISt17integral_constantIbLb0EES1O_IbLb1EEEEDaS1K_S1L_EUlS1K_E_NS1_11comp_targetILNS1_3genE2ELNS1_11target_archE906ELNS1_3gpuE6ELNS1_3repE0EEENS1_30default_config_static_selectorELNS0_4arch9wavefront6targetE1EEEvSY_,"axG",@progbits,_ZN7rocprim17ROCPRIM_400000_NS6detail17trampoline_kernelINS0_13select_configILj256ELj13ELNS0_17block_load_methodE3ELS4_3ELS4_3ELNS0_20block_scan_algorithmE0ELj4294967295EEENS1_25partition_config_selectorILNS1_17partition_subalgoE3EjNS0_10empty_typeEbEEZZNS1_14partition_implILS8_3ELb0ES6_jNS0_17counting_iteratorIjlEEPS9_SE_NS0_5tupleIJPjSE_EEENSF_IJSE_SE_EEES9_SG_JZNS1_25segmented_radix_sort_implINS0_14default_configELb1EPKiPiPKlPlN2at6native12_GLOBAL__N_18offset_tEEE10hipError_tPvRmT1_PNSt15iterator_traitsISY_E10value_typeET2_T3_PNSZ_IS14_E10value_typeET4_jRbjT5_S1A_jjP12ihipStream_tbEUljE_EEESV_SW_SX_S14_S18_S1A_T6_T7_T9_mT8_S1C_bDpT10_ENKUlT_T0_E_clISt17integral_constantIbLb0EES1O_IbLb1EEEEDaS1K_S1L_EUlS1K_E_NS1_11comp_targetILNS1_3genE2ELNS1_11target_archE906ELNS1_3gpuE6ELNS1_3repE0EEENS1_30default_config_static_selectorELNS0_4arch9wavefront6targetE1EEEvSY_,comdat
.Lfunc_end493:
	.size	_ZN7rocprim17ROCPRIM_400000_NS6detail17trampoline_kernelINS0_13select_configILj256ELj13ELNS0_17block_load_methodE3ELS4_3ELS4_3ELNS0_20block_scan_algorithmE0ELj4294967295EEENS1_25partition_config_selectorILNS1_17partition_subalgoE3EjNS0_10empty_typeEbEEZZNS1_14partition_implILS8_3ELb0ES6_jNS0_17counting_iteratorIjlEEPS9_SE_NS0_5tupleIJPjSE_EEENSF_IJSE_SE_EEES9_SG_JZNS1_25segmented_radix_sort_implINS0_14default_configELb1EPKiPiPKlPlN2at6native12_GLOBAL__N_18offset_tEEE10hipError_tPvRmT1_PNSt15iterator_traitsISY_E10value_typeET2_T3_PNSZ_IS14_E10value_typeET4_jRbjT5_S1A_jjP12ihipStream_tbEUljE_EEESV_SW_SX_S14_S18_S1A_T6_T7_T9_mT8_S1C_bDpT10_ENKUlT_T0_E_clISt17integral_constantIbLb0EES1O_IbLb1EEEEDaS1K_S1L_EUlS1K_E_NS1_11comp_targetILNS1_3genE2ELNS1_11target_archE906ELNS1_3gpuE6ELNS1_3repE0EEENS1_30default_config_static_selectorELNS0_4arch9wavefront6targetE1EEEvSY_, .Lfunc_end493-_ZN7rocprim17ROCPRIM_400000_NS6detail17trampoline_kernelINS0_13select_configILj256ELj13ELNS0_17block_load_methodE3ELS4_3ELS4_3ELNS0_20block_scan_algorithmE0ELj4294967295EEENS1_25partition_config_selectorILNS1_17partition_subalgoE3EjNS0_10empty_typeEbEEZZNS1_14partition_implILS8_3ELb0ES6_jNS0_17counting_iteratorIjlEEPS9_SE_NS0_5tupleIJPjSE_EEENSF_IJSE_SE_EEES9_SG_JZNS1_25segmented_radix_sort_implINS0_14default_configELb1EPKiPiPKlPlN2at6native12_GLOBAL__N_18offset_tEEE10hipError_tPvRmT1_PNSt15iterator_traitsISY_E10value_typeET2_T3_PNSZ_IS14_E10value_typeET4_jRbjT5_S1A_jjP12ihipStream_tbEUljE_EEESV_SW_SX_S14_S18_S1A_T6_T7_T9_mT8_S1C_bDpT10_ENKUlT_T0_E_clISt17integral_constantIbLb0EES1O_IbLb1EEEEDaS1K_S1L_EUlS1K_E_NS1_11comp_targetILNS1_3genE2ELNS1_11target_archE906ELNS1_3gpuE6ELNS1_3repE0EEENS1_30default_config_static_selectorELNS0_4arch9wavefront6targetE1EEEvSY_
                                        ; -- End function
	.set _ZN7rocprim17ROCPRIM_400000_NS6detail17trampoline_kernelINS0_13select_configILj256ELj13ELNS0_17block_load_methodE3ELS4_3ELS4_3ELNS0_20block_scan_algorithmE0ELj4294967295EEENS1_25partition_config_selectorILNS1_17partition_subalgoE3EjNS0_10empty_typeEbEEZZNS1_14partition_implILS8_3ELb0ES6_jNS0_17counting_iteratorIjlEEPS9_SE_NS0_5tupleIJPjSE_EEENSF_IJSE_SE_EEES9_SG_JZNS1_25segmented_radix_sort_implINS0_14default_configELb1EPKiPiPKlPlN2at6native12_GLOBAL__N_18offset_tEEE10hipError_tPvRmT1_PNSt15iterator_traitsISY_E10value_typeET2_T3_PNSZ_IS14_E10value_typeET4_jRbjT5_S1A_jjP12ihipStream_tbEUljE_EEESV_SW_SX_S14_S18_S1A_T6_T7_T9_mT8_S1C_bDpT10_ENKUlT_T0_E_clISt17integral_constantIbLb0EES1O_IbLb1EEEEDaS1K_S1L_EUlS1K_E_NS1_11comp_targetILNS1_3genE2ELNS1_11target_archE906ELNS1_3gpuE6ELNS1_3repE0EEENS1_30default_config_static_selectorELNS0_4arch9wavefront6targetE1EEEvSY_.num_vgpr, 71
	.set _ZN7rocprim17ROCPRIM_400000_NS6detail17trampoline_kernelINS0_13select_configILj256ELj13ELNS0_17block_load_methodE3ELS4_3ELS4_3ELNS0_20block_scan_algorithmE0ELj4294967295EEENS1_25partition_config_selectorILNS1_17partition_subalgoE3EjNS0_10empty_typeEbEEZZNS1_14partition_implILS8_3ELb0ES6_jNS0_17counting_iteratorIjlEEPS9_SE_NS0_5tupleIJPjSE_EEENSF_IJSE_SE_EEES9_SG_JZNS1_25segmented_radix_sort_implINS0_14default_configELb1EPKiPiPKlPlN2at6native12_GLOBAL__N_18offset_tEEE10hipError_tPvRmT1_PNSt15iterator_traitsISY_E10value_typeET2_T3_PNSZ_IS14_E10value_typeET4_jRbjT5_S1A_jjP12ihipStream_tbEUljE_EEESV_SW_SX_S14_S18_S1A_T6_T7_T9_mT8_S1C_bDpT10_ENKUlT_T0_E_clISt17integral_constantIbLb0EES1O_IbLb1EEEEDaS1K_S1L_EUlS1K_E_NS1_11comp_targetILNS1_3genE2ELNS1_11target_archE906ELNS1_3gpuE6ELNS1_3repE0EEENS1_30default_config_static_selectorELNS0_4arch9wavefront6targetE1EEEvSY_.num_agpr, 0
	.set _ZN7rocprim17ROCPRIM_400000_NS6detail17trampoline_kernelINS0_13select_configILj256ELj13ELNS0_17block_load_methodE3ELS4_3ELS4_3ELNS0_20block_scan_algorithmE0ELj4294967295EEENS1_25partition_config_selectorILNS1_17partition_subalgoE3EjNS0_10empty_typeEbEEZZNS1_14partition_implILS8_3ELb0ES6_jNS0_17counting_iteratorIjlEEPS9_SE_NS0_5tupleIJPjSE_EEENSF_IJSE_SE_EEES9_SG_JZNS1_25segmented_radix_sort_implINS0_14default_configELb1EPKiPiPKlPlN2at6native12_GLOBAL__N_18offset_tEEE10hipError_tPvRmT1_PNSt15iterator_traitsISY_E10value_typeET2_T3_PNSZ_IS14_E10value_typeET4_jRbjT5_S1A_jjP12ihipStream_tbEUljE_EEESV_SW_SX_S14_S18_S1A_T6_T7_T9_mT8_S1C_bDpT10_ENKUlT_T0_E_clISt17integral_constantIbLb0EES1O_IbLb1EEEEDaS1K_S1L_EUlS1K_E_NS1_11comp_targetILNS1_3genE2ELNS1_11target_archE906ELNS1_3gpuE6ELNS1_3repE0EEENS1_30default_config_static_selectorELNS0_4arch9wavefront6targetE1EEEvSY_.numbered_sgpr, 46
	.set _ZN7rocprim17ROCPRIM_400000_NS6detail17trampoline_kernelINS0_13select_configILj256ELj13ELNS0_17block_load_methodE3ELS4_3ELS4_3ELNS0_20block_scan_algorithmE0ELj4294967295EEENS1_25partition_config_selectorILNS1_17partition_subalgoE3EjNS0_10empty_typeEbEEZZNS1_14partition_implILS8_3ELb0ES6_jNS0_17counting_iteratorIjlEEPS9_SE_NS0_5tupleIJPjSE_EEENSF_IJSE_SE_EEES9_SG_JZNS1_25segmented_radix_sort_implINS0_14default_configELb1EPKiPiPKlPlN2at6native12_GLOBAL__N_18offset_tEEE10hipError_tPvRmT1_PNSt15iterator_traitsISY_E10value_typeET2_T3_PNSZ_IS14_E10value_typeET4_jRbjT5_S1A_jjP12ihipStream_tbEUljE_EEESV_SW_SX_S14_S18_S1A_T6_T7_T9_mT8_S1C_bDpT10_ENKUlT_T0_E_clISt17integral_constantIbLb0EES1O_IbLb1EEEEDaS1K_S1L_EUlS1K_E_NS1_11comp_targetILNS1_3genE2ELNS1_11target_archE906ELNS1_3gpuE6ELNS1_3repE0EEENS1_30default_config_static_selectorELNS0_4arch9wavefront6targetE1EEEvSY_.num_named_barrier, 0
	.set _ZN7rocprim17ROCPRIM_400000_NS6detail17trampoline_kernelINS0_13select_configILj256ELj13ELNS0_17block_load_methodE3ELS4_3ELS4_3ELNS0_20block_scan_algorithmE0ELj4294967295EEENS1_25partition_config_selectorILNS1_17partition_subalgoE3EjNS0_10empty_typeEbEEZZNS1_14partition_implILS8_3ELb0ES6_jNS0_17counting_iteratorIjlEEPS9_SE_NS0_5tupleIJPjSE_EEENSF_IJSE_SE_EEES9_SG_JZNS1_25segmented_radix_sort_implINS0_14default_configELb1EPKiPiPKlPlN2at6native12_GLOBAL__N_18offset_tEEE10hipError_tPvRmT1_PNSt15iterator_traitsISY_E10value_typeET2_T3_PNSZ_IS14_E10value_typeET4_jRbjT5_S1A_jjP12ihipStream_tbEUljE_EEESV_SW_SX_S14_S18_S1A_T6_T7_T9_mT8_S1C_bDpT10_ENKUlT_T0_E_clISt17integral_constantIbLb0EES1O_IbLb1EEEEDaS1K_S1L_EUlS1K_E_NS1_11comp_targetILNS1_3genE2ELNS1_11target_archE906ELNS1_3gpuE6ELNS1_3repE0EEENS1_30default_config_static_selectorELNS0_4arch9wavefront6targetE1EEEvSY_.private_seg_size, 0
	.set _ZN7rocprim17ROCPRIM_400000_NS6detail17trampoline_kernelINS0_13select_configILj256ELj13ELNS0_17block_load_methodE3ELS4_3ELS4_3ELNS0_20block_scan_algorithmE0ELj4294967295EEENS1_25partition_config_selectorILNS1_17partition_subalgoE3EjNS0_10empty_typeEbEEZZNS1_14partition_implILS8_3ELb0ES6_jNS0_17counting_iteratorIjlEEPS9_SE_NS0_5tupleIJPjSE_EEENSF_IJSE_SE_EEES9_SG_JZNS1_25segmented_radix_sort_implINS0_14default_configELb1EPKiPiPKlPlN2at6native12_GLOBAL__N_18offset_tEEE10hipError_tPvRmT1_PNSt15iterator_traitsISY_E10value_typeET2_T3_PNSZ_IS14_E10value_typeET4_jRbjT5_S1A_jjP12ihipStream_tbEUljE_EEESV_SW_SX_S14_S18_S1A_T6_T7_T9_mT8_S1C_bDpT10_ENKUlT_T0_E_clISt17integral_constantIbLb0EES1O_IbLb1EEEEDaS1K_S1L_EUlS1K_E_NS1_11comp_targetILNS1_3genE2ELNS1_11target_archE906ELNS1_3gpuE6ELNS1_3repE0EEENS1_30default_config_static_selectorELNS0_4arch9wavefront6targetE1EEEvSY_.uses_vcc, 1
	.set _ZN7rocprim17ROCPRIM_400000_NS6detail17trampoline_kernelINS0_13select_configILj256ELj13ELNS0_17block_load_methodE3ELS4_3ELS4_3ELNS0_20block_scan_algorithmE0ELj4294967295EEENS1_25partition_config_selectorILNS1_17partition_subalgoE3EjNS0_10empty_typeEbEEZZNS1_14partition_implILS8_3ELb0ES6_jNS0_17counting_iteratorIjlEEPS9_SE_NS0_5tupleIJPjSE_EEENSF_IJSE_SE_EEES9_SG_JZNS1_25segmented_radix_sort_implINS0_14default_configELb1EPKiPiPKlPlN2at6native12_GLOBAL__N_18offset_tEEE10hipError_tPvRmT1_PNSt15iterator_traitsISY_E10value_typeET2_T3_PNSZ_IS14_E10value_typeET4_jRbjT5_S1A_jjP12ihipStream_tbEUljE_EEESV_SW_SX_S14_S18_S1A_T6_T7_T9_mT8_S1C_bDpT10_ENKUlT_T0_E_clISt17integral_constantIbLb0EES1O_IbLb1EEEEDaS1K_S1L_EUlS1K_E_NS1_11comp_targetILNS1_3genE2ELNS1_11target_archE906ELNS1_3gpuE6ELNS1_3repE0EEENS1_30default_config_static_selectorELNS0_4arch9wavefront6targetE1EEEvSY_.uses_flat_scratch, 0
	.set _ZN7rocprim17ROCPRIM_400000_NS6detail17trampoline_kernelINS0_13select_configILj256ELj13ELNS0_17block_load_methodE3ELS4_3ELS4_3ELNS0_20block_scan_algorithmE0ELj4294967295EEENS1_25partition_config_selectorILNS1_17partition_subalgoE3EjNS0_10empty_typeEbEEZZNS1_14partition_implILS8_3ELb0ES6_jNS0_17counting_iteratorIjlEEPS9_SE_NS0_5tupleIJPjSE_EEENSF_IJSE_SE_EEES9_SG_JZNS1_25segmented_radix_sort_implINS0_14default_configELb1EPKiPiPKlPlN2at6native12_GLOBAL__N_18offset_tEEE10hipError_tPvRmT1_PNSt15iterator_traitsISY_E10value_typeET2_T3_PNSZ_IS14_E10value_typeET4_jRbjT5_S1A_jjP12ihipStream_tbEUljE_EEESV_SW_SX_S14_S18_S1A_T6_T7_T9_mT8_S1C_bDpT10_ENKUlT_T0_E_clISt17integral_constantIbLb0EES1O_IbLb1EEEEDaS1K_S1L_EUlS1K_E_NS1_11comp_targetILNS1_3genE2ELNS1_11target_archE906ELNS1_3gpuE6ELNS1_3repE0EEENS1_30default_config_static_selectorELNS0_4arch9wavefront6targetE1EEEvSY_.has_dyn_sized_stack, 0
	.set _ZN7rocprim17ROCPRIM_400000_NS6detail17trampoline_kernelINS0_13select_configILj256ELj13ELNS0_17block_load_methodE3ELS4_3ELS4_3ELNS0_20block_scan_algorithmE0ELj4294967295EEENS1_25partition_config_selectorILNS1_17partition_subalgoE3EjNS0_10empty_typeEbEEZZNS1_14partition_implILS8_3ELb0ES6_jNS0_17counting_iteratorIjlEEPS9_SE_NS0_5tupleIJPjSE_EEENSF_IJSE_SE_EEES9_SG_JZNS1_25segmented_radix_sort_implINS0_14default_configELb1EPKiPiPKlPlN2at6native12_GLOBAL__N_18offset_tEEE10hipError_tPvRmT1_PNSt15iterator_traitsISY_E10value_typeET2_T3_PNSZ_IS14_E10value_typeET4_jRbjT5_S1A_jjP12ihipStream_tbEUljE_EEESV_SW_SX_S14_S18_S1A_T6_T7_T9_mT8_S1C_bDpT10_ENKUlT_T0_E_clISt17integral_constantIbLb0EES1O_IbLb1EEEEDaS1K_S1L_EUlS1K_E_NS1_11comp_targetILNS1_3genE2ELNS1_11target_archE906ELNS1_3gpuE6ELNS1_3repE0EEENS1_30default_config_static_selectorELNS0_4arch9wavefront6targetE1EEEvSY_.has_recursion, 0
	.set _ZN7rocprim17ROCPRIM_400000_NS6detail17trampoline_kernelINS0_13select_configILj256ELj13ELNS0_17block_load_methodE3ELS4_3ELS4_3ELNS0_20block_scan_algorithmE0ELj4294967295EEENS1_25partition_config_selectorILNS1_17partition_subalgoE3EjNS0_10empty_typeEbEEZZNS1_14partition_implILS8_3ELb0ES6_jNS0_17counting_iteratorIjlEEPS9_SE_NS0_5tupleIJPjSE_EEENSF_IJSE_SE_EEES9_SG_JZNS1_25segmented_radix_sort_implINS0_14default_configELb1EPKiPiPKlPlN2at6native12_GLOBAL__N_18offset_tEEE10hipError_tPvRmT1_PNSt15iterator_traitsISY_E10value_typeET2_T3_PNSZ_IS14_E10value_typeET4_jRbjT5_S1A_jjP12ihipStream_tbEUljE_EEESV_SW_SX_S14_S18_S1A_T6_T7_T9_mT8_S1C_bDpT10_ENKUlT_T0_E_clISt17integral_constantIbLb0EES1O_IbLb1EEEEDaS1K_S1L_EUlS1K_E_NS1_11comp_targetILNS1_3genE2ELNS1_11target_archE906ELNS1_3gpuE6ELNS1_3repE0EEENS1_30default_config_static_selectorELNS0_4arch9wavefront6targetE1EEEvSY_.has_indirect_call, 0
	.section	.AMDGPU.csdata,"",@progbits
; Kernel info:
; codeLenInByte = 7548
; TotalNumSgprs: 50
; NumVgprs: 71
; ScratchSize: 0
; MemoryBound: 0
; FloatMode: 240
; IeeeMode: 1
; LDSByteSize: 13320 bytes/workgroup (compile time only)
; SGPRBlocks: 12
; VGPRBlocks: 17
; NumSGPRsForWavesPerEU: 102
; NumVGPRsForWavesPerEU: 71
; Occupancy: 3
; WaveLimiterHint : 0
; COMPUTE_PGM_RSRC2:SCRATCH_EN: 0
; COMPUTE_PGM_RSRC2:USER_SGPR: 6
; COMPUTE_PGM_RSRC2:TRAP_HANDLER: 0
; COMPUTE_PGM_RSRC2:TGID_X_EN: 1
; COMPUTE_PGM_RSRC2:TGID_Y_EN: 0
; COMPUTE_PGM_RSRC2:TGID_Z_EN: 0
; COMPUTE_PGM_RSRC2:TIDIG_COMP_CNT: 0
	.section	.text._ZN7rocprim17ROCPRIM_400000_NS6detail17trampoline_kernelINS0_13select_configILj256ELj13ELNS0_17block_load_methodE3ELS4_3ELS4_3ELNS0_20block_scan_algorithmE0ELj4294967295EEENS1_25partition_config_selectorILNS1_17partition_subalgoE3EjNS0_10empty_typeEbEEZZNS1_14partition_implILS8_3ELb0ES6_jNS0_17counting_iteratorIjlEEPS9_SE_NS0_5tupleIJPjSE_EEENSF_IJSE_SE_EEES9_SG_JZNS1_25segmented_radix_sort_implINS0_14default_configELb1EPKiPiPKlPlN2at6native12_GLOBAL__N_18offset_tEEE10hipError_tPvRmT1_PNSt15iterator_traitsISY_E10value_typeET2_T3_PNSZ_IS14_E10value_typeET4_jRbjT5_S1A_jjP12ihipStream_tbEUljE_EEESV_SW_SX_S14_S18_S1A_T6_T7_T9_mT8_S1C_bDpT10_ENKUlT_T0_E_clISt17integral_constantIbLb0EES1O_IbLb1EEEEDaS1K_S1L_EUlS1K_E_NS1_11comp_targetILNS1_3genE10ELNS1_11target_archE1200ELNS1_3gpuE4ELNS1_3repE0EEENS1_30default_config_static_selectorELNS0_4arch9wavefront6targetE1EEEvSY_,"axG",@progbits,_ZN7rocprim17ROCPRIM_400000_NS6detail17trampoline_kernelINS0_13select_configILj256ELj13ELNS0_17block_load_methodE3ELS4_3ELS4_3ELNS0_20block_scan_algorithmE0ELj4294967295EEENS1_25partition_config_selectorILNS1_17partition_subalgoE3EjNS0_10empty_typeEbEEZZNS1_14partition_implILS8_3ELb0ES6_jNS0_17counting_iteratorIjlEEPS9_SE_NS0_5tupleIJPjSE_EEENSF_IJSE_SE_EEES9_SG_JZNS1_25segmented_radix_sort_implINS0_14default_configELb1EPKiPiPKlPlN2at6native12_GLOBAL__N_18offset_tEEE10hipError_tPvRmT1_PNSt15iterator_traitsISY_E10value_typeET2_T3_PNSZ_IS14_E10value_typeET4_jRbjT5_S1A_jjP12ihipStream_tbEUljE_EEESV_SW_SX_S14_S18_S1A_T6_T7_T9_mT8_S1C_bDpT10_ENKUlT_T0_E_clISt17integral_constantIbLb0EES1O_IbLb1EEEEDaS1K_S1L_EUlS1K_E_NS1_11comp_targetILNS1_3genE10ELNS1_11target_archE1200ELNS1_3gpuE4ELNS1_3repE0EEENS1_30default_config_static_selectorELNS0_4arch9wavefront6targetE1EEEvSY_,comdat
	.globl	_ZN7rocprim17ROCPRIM_400000_NS6detail17trampoline_kernelINS0_13select_configILj256ELj13ELNS0_17block_load_methodE3ELS4_3ELS4_3ELNS0_20block_scan_algorithmE0ELj4294967295EEENS1_25partition_config_selectorILNS1_17partition_subalgoE3EjNS0_10empty_typeEbEEZZNS1_14partition_implILS8_3ELb0ES6_jNS0_17counting_iteratorIjlEEPS9_SE_NS0_5tupleIJPjSE_EEENSF_IJSE_SE_EEES9_SG_JZNS1_25segmented_radix_sort_implINS0_14default_configELb1EPKiPiPKlPlN2at6native12_GLOBAL__N_18offset_tEEE10hipError_tPvRmT1_PNSt15iterator_traitsISY_E10value_typeET2_T3_PNSZ_IS14_E10value_typeET4_jRbjT5_S1A_jjP12ihipStream_tbEUljE_EEESV_SW_SX_S14_S18_S1A_T6_T7_T9_mT8_S1C_bDpT10_ENKUlT_T0_E_clISt17integral_constantIbLb0EES1O_IbLb1EEEEDaS1K_S1L_EUlS1K_E_NS1_11comp_targetILNS1_3genE10ELNS1_11target_archE1200ELNS1_3gpuE4ELNS1_3repE0EEENS1_30default_config_static_selectorELNS0_4arch9wavefront6targetE1EEEvSY_ ; -- Begin function _ZN7rocprim17ROCPRIM_400000_NS6detail17trampoline_kernelINS0_13select_configILj256ELj13ELNS0_17block_load_methodE3ELS4_3ELS4_3ELNS0_20block_scan_algorithmE0ELj4294967295EEENS1_25partition_config_selectorILNS1_17partition_subalgoE3EjNS0_10empty_typeEbEEZZNS1_14partition_implILS8_3ELb0ES6_jNS0_17counting_iteratorIjlEEPS9_SE_NS0_5tupleIJPjSE_EEENSF_IJSE_SE_EEES9_SG_JZNS1_25segmented_radix_sort_implINS0_14default_configELb1EPKiPiPKlPlN2at6native12_GLOBAL__N_18offset_tEEE10hipError_tPvRmT1_PNSt15iterator_traitsISY_E10value_typeET2_T3_PNSZ_IS14_E10value_typeET4_jRbjT5_S1A_jjP12ihipStream_tbEUljE_EEESV_SW_SX_S14_S18_S1A_T6_T7_T9_mT8_S1C_bDpT10_ENKUlT_T0_E_clISt17integral_constantIbLb0EES1O_IbLb1EEEEDaS1K_S1L_EUlS1K_E_NS1_11comp_targetILNS1_3genE10ELNS1_11target_archE1200ELNS1_3gpuE4ELNS1_3repE0EEENS1_30default_config_static_selectorELNS0_4arch9wavefront6targetE1EEEvSY_
	.p2align	8
	.type	_ZN7rocprim17ROCPRIM_400000_NS6detail17trampoline_kernelINS0_13select_configILj256ELj13ELNS0_17block_load_methodE3ELS4_3ELS4_3ELNS0_20block_scan_algorithmE0ELj4294967295EEENS1_25partition_config_selectorILNS1_17partition_subalgoE3EjNS0_10empty_typeEbEEZZNS1_14partition_implILS8_3ELb0ES6_jNS0_17counting_iteratorIjlEEPS9_SE_NS0_5tupleIJPjSE_EEENSF_IJSE_SE_EEES9_SG_JZNS1_25segmented_radix_sort_implINS0_14default_configELb1EPKiPiPKlPlN2at6native12_GLOBAL__N_18offset_tEEE10hipError_tPvRmT1_PNSt15iterator_traitsISY_E10value_typeET2_T3_PNSZ_IS14_E10value_typeET4_jRbjT5_S1A_jjP12ihipStream_tbEUljE_EEESV_SW_SX_S14_S18_S1A_T6_T7_T9_mT8_S1C_bDpT10_ENKUlT_T0_E_clISt17integral_constantIbLb0EES1O_IbLb1EEEEDaS1K_S1L_EUlS1K_E_NS1_11comp_targetILNS1_3genE10ELNS1_11target_archE1200ELNS1_3gpuE4ELNS1_3repE0EEENS1_30default_config_static_selectorELNS0_4arch9wavefront6targetE1EEEvSY_,@function
_ZN7rocprim17ROCPRIM_400000_NS6detail17trampoline_kernelINS0_13select_configILj256ELj13ELNS0_17block_load_methodE3ELS4_3ELS4_3ELNS0_20block_scan_algorithmE0ELj4294967295EEENS1_25partition_config_selectorILNS1_17partition_subalgoE3EjNS0_10empty_typeEbEEZZNS1_14partition_implILS8_3ELb0ES6_jNS0_17counting_iteratorIjlEEPS9_SE_NS0_5tupleIJPjSE_EEENSF_IJSE_SE_EEES9_SG_JZNS1_25segmented_radix_sort_implINS0_14default_configELb1EPKiPiPKlPlN2at6native12_GLOBAL__N_18offset_tEEE10hipError_tPvRmT1_PNSt15iterator_traitsISY_E10value_typeET2_T3_PNSZ_IS14_E10value_typeET4_jRbjT5_S1A_jjP12ihipStream_tbEUljE_EEESV_SW_SX_S14_S18_S1A_T6_T7_T9_mT8_S1C_bDpT10_ENKUlT_T0_E_clISt17integral_constantIbLb0EES1O_IbLb1EEEEDaS1K_S1L_EUlS1K_E_NS1_11comp_targetILNS1_3genE10ELNS1_11target_archE1200ELNS1_3gpuE4ELNS1_3repE0EEENS1_30default_config_static_selectorELNS0_4arch9wavefront6targetE1EEEvSY_: ; @_ZN7rocprim17ROCPRIM_400000_NS6detail17trampoline_kernelINS0_13select_configILj256ELj13ELNS0_17block_load_methodE3ELS4_3ELS4_3ELNS0_20block_scan_algorithmE0ELj4294967295EEENS1_25partition_config_selectorILNS1_17partition_subalgoE3EjNS0_10empty_typeEbEEZZNS1_14partition_implILS8_3ELb0ES6_jNS0_17counting_iteratorIjlEEPS9_SE_NS0_5tupleIJPjSE_EEENSF_IJSE_SE_EEES9_SG_JZNS1_25segmented_radix_sort_implINS0_14default_configELb1EPKiPiPKlPlN2at6native12_GLOBAL__N_18offset_tEEE10hipError_tPvRmT1_PNSt15iterator_traitsISY_E10value_typeET2_T3_PNSZ_IS14_E10value_typeET4_jRbjT5_S1A_jjP12ihipStream_tbEUljE_EEESV_SW_SX_S14_S18_S1A_T6_T7_T9_mT8_S1C_bDpT10_ENKUlT_T0_E_clISt17integral_constantIbLb0EES1O_IbLb1EEEEDaS1K_S1L_EUlS1K_E_NS1_11comp_targetILNS1_3genE10ELNS1_11target_archE1200ELNS1_3gpuE4ELNS1_3repE0EEENS1_30default_config_static_selectorELNS0_4arch9wavefront6targetE1EEEvSY_
; %bb.0:
	.section	.rodata,"a",@progbits
	.p2align	6, 0x0
	.amdhsa_kernel _ZN7rocprim17ROCPRIM_400000_NS6detail17trampoline_kernelINS0_13select_configILj256ELj13ELNS0_17block_load_methodE3ELS4_3ELS4_3ELNS0_20block_scan_algorithmE0ELj4294967295EEENS1_25partition_config_selectorILNS1_17partition_subalgoE3EjNS0_10empty_typeEbEEZZNS1_14partition_implILS8_3ELb0ES6_jNS0_17counting_iteratorIjlEEPS9_SE_NS0_5tupleIJPjSE_EEENSF_IJSE_SE_EEES9_SG_JZNS1_25segmented_radix_sort_implINS0_14default_configELb1EPKiPiPKlPlN2at6native12_GLOBAL__N_18offset_tEEE10hipError_tPvRmT1_PNSt15iterator_traitsISY_E10value_typeET2_T3_PNSZ_IS14_E10value_typeET4_jRbjT5_S1A_jjP12ihipStream_tbEUljE_EEESV_SW_SX_S14_S18_S1A_T6_T7_T9_mT8_S1C_bDpT10_ENKUlT_T0_E_clISt17integral_constantIbLb0EES1O_IbLb1EEEEDaS1K_S1L_EUlS1K_E_NS1_11comp_targetILNS1_3genE10ELNS1_11target_archE1200ELNS1_3gpuE4ELNS1_3repE0EEENS1_30default_config_static_selectorELNS0_4arch9wavefront6targetE1EEEvSY_
		.amdhsa_group_segment_fixed_size 0
		.amdhsa_private_segment_fixed_size 0
		.amdhsa_kernarg_size 152
		.amdhsa_user_sgpr_count 6
		.amdhsa_user_sgpr_private_segment_buffer 1
		.amdhsa_user_sgpr_dispatch_ptr 0
		.amdhsa_user_sgpr_queue_ptr 0
		.amdhsa_user_sgpr_kernarg_segment_ptr 1
		.amdhsa_user_sgpr_dispatch_id 0
		.amdhsa_user_sgpr_flat_scratch_init 0
		.amdhsa_user_sgpr_private_segment_size 0
		.amdhsa_uses_dynamic_stack 0
		.amdhsa_system_sgpr_private_segment_wavefront_offset 0
		.amdhsa_system_sgpr_workgroup_id_x 1
		.amdhsa_system_sgpr_workgroup_id_y 0
		.amdhsa_system_sgpr_workgroup_id_z 0
		.amdhsa_system_sgpr_workgroup_info 0
		.amdhsa_system_vgpr_workitem_id 0
		.amdhsa_next_free_vgpr 1
		.amdhsa_next_free_sgpr 0
		.amdhsa_reserve_vcc 0
		.amdhsa_reserve_flat_scratch 0
		.amdhsa_float_round_mode_32 0
		.amdhsa_float_round_mode_16_64 0
		.amdhsa_float_denorm_mode_32 3
		.amdhsa_float_denorm_mode_16_64 3
		.amdhsa_dx10_clamp 1
		.amdhsa_ieee_mode 1
		.amdhsa_fp16_overflow 0
		.amdhsa_exception_fp_ieee_invalid_op 0
		.amdhsa_exception_fp_denorm_src 0
		.amdhsa_exception_fp_ieee_div_zero 0
		.amdhsa_exception_fp_ieee_overflow 0
		.amdhsa_exception_fp_ieee_underflow 0
		.amdhsa_exception_fp_ieee_inexact 0
		.amdhsa_exception_int_div_zero 0
	.end_amdhsa_kernel
	.section	.text._ZN7rocprim17ROCPRIM_400000_NS6detail17trampoline_kernelINS0_13select_configILj256ELj13ELNS0_17block_load_methodE3ELS4_3ELS4_3ELNS0_20block_scan_algorithmE0ELj4294967295EEENS1_25partition_config_selectorILNS1_17partition_subalgoE3EjNS0_10empty_typeEbEEZZNS1_14partition_implILS8_3ELb0ES6_jNS0_17counting_iteratorIjlEEPS9_SE_NS0_5tupleIJPjSE_EEENSF_IJSE_SE_EEES9_SG_JZNS1_25segmented_radix_sort_implINS0_14default_configELb1EPKiPiPKlPlN2at6native12_GLOBAL__N_18offset_tEEE10hipError_tPvRmT1_PNSt15iterator_traitsISY_E10value_typeET2_T3_PNSZ_IS14_E10value_typeET4_jRbjT5_S1A_jjP12ihipStream_tbEUljE_EEESV_SW_SX_S14_S18_S1A_T6_T7_T9_mT8_S1C_bDpT10_ENKUlT_T0_E_clISt17integral_constantIbLb0EES1O_IbLb1EEEEDaS1K_S1L_EUlS1K_E_NS1_11comp_targetILNS1_3genE10ELNS1_11target_archE1200ELNS1_3gpuE4ELNS1_3repE0EEENS1_30default_config_static_selectorELNS0_4arch9wavefront6targetE1EEEvSY_,"axG",@progbits,_ZN7rocprim17ROCPRIM_400000_NS6detail17trampoline_kernelINS0_13select_configILj256ELj13ELNS0_17block_load_methodE3ELS4_3ELS4_3ELNS0_20block_scan_algorithmE0ELj4294967295EEENS1_25partition_config_selectorILNS1_17partition_subalgoE3EjNS0_10empty_typeEbEEZZNS1_14partition_implILS8_3ELb0ES6_jNS0_17counting_iteratorIjlEEPS9_SE_NS0_5tupleIJPjSE_EEENSF_IJSE_SE_EEES9_SG_JZNS1_25segmented_radix_sort_implINS0_14default_configELb1EPKiPiPKlPlN2at6native12_GLOBAL__N_18offset_tEEE10hipError_tPvRmT1_PNSt15iterator_traitsISY_E10value_typeET2_T3_PNSZ_IS14_E10value_typeET4_jRbjT5_S1A_jjP12ihipStream_tbEUljE_EEESV_SW_SX_S14_S18_S1A_T6_T7_T9_mT8_S1C_bDpT10_ENKUlT_T0_E_clISt17integral_constantIbLb0EES1O_IbLb1EEEEDaS1K_S1L_EUlS1K_E_NS1_11comp_targetILNS1_3genE10ELNS1_11target_archE1200ELNS1_3gpuE4ELNS1_3repE0EEENS1_30default_config_static_selectorELNS0_4arch9wavefront6targetE1EEEvSY_,comdat
.Lfunc_end494:
	.size	_ZN7rocprim17ROCPRIM_400000_NS6detail17trampoline_kernelINS0_13select_configILj256ELj13ELNS0_17block_load_methodE3ELS4_3ELS4_3ELNS0_20block_scan_algorithmE0ELj4294967295EEENS1_25partition_config_selectorILNS1_17partition_subalgoE3EjNS0_10empty_typeEbEEZZNS1_14partition_implILS8_3ELb0ES6_jNS0_17counting_iteratorIjlEEPS9_SE_NS0_5tupleIJPjSE_EEENSF_IJSE_SE_EEES9_SG_JZNS1_25segmented_radix_sort_implINS0_14default_configELb1EPKiPiPKlPlN2at6native12_GLOBAL__N_18offset_tEEE10hipError_tPvRmT1_PNSt15iterator_traitsISY_E10value_typeET2_T3_PNSZ_IS14_E10value_typeET4_jRbjT5_S1A_jjP12ihipStream_tbEUljE_EEESV_SW_SX_S14_S18_S1A_T6_T7_T9_mT8_S1C_bDpT10_ENKUlT_T0_E_clISt17integral_constantIbLb0EES1O_IbLb1EEEEDaS1K_S1L_EUlS1K_E_NS1_11comp_targetILNS1_3genE10ELNS1_11target_archE1200ELNS1_3gpuE4ELNS1_3repE0EEENS1_30default_config_static_selectorELNS0_4arch9wavefront6targetE1EEEvSY_, .Lfunc_end494-_ZN7rocprim17ROCPRIM_400000_NS6detail17trampoline_kernelINS0_13select_configILj256ELj13ELNS0_17block_load_methodE3ELS4_3ELS4_3ELNS0_20block_scan_algorithmE0ELj4294967295EEENS1_25partition_config_selectorILNS1_17partition_subalgoE3EjNS0_10empty_typeEbEEZZNS1_14partition_implILS8_3ELb0ES6_jNS0_17counting_iteratorIjlEEPS9_SE_NS0_5tupleIJPjSE_EEENSF_IJSE_SE_EEES9_SG_JZNS1_25segmented_radix_sort_implINS0_14default_configELb1EPKiPiPKlPlN2at6native12_GLOBAL__N_18offset_tEEE10hipError_tPvRmT1_PNSt15iterator_traitsISY_E10value_typeET2_T3_PNSZ_IS14_E10value_typeET4_jRbjT5_S1A_jjP12ihipStream_tbEUljE_EEESV_SW_SX_S14_S18_S1A_T6_T7_T9_mT8_S1C_bDpT10_ENKUlT_T0_E_clISt17integral_constantIbLb0EES1O_IbLb1EEEEDaS1K_S1L_EUlS1K_E_NS1_11comp_targetILNS1_3genE10ELNS1_11target_archE1200ELNS1_3gpuE4ELNS1_3repE0EEENS1_30default_config_static_selectorELNS0_4arch9wavefront6targetE1EEEvSY_
                                        ; -- End function
	.set _ZN7rocprim17ROCPRIM_400000_NS6detail17trampoline_kernelINS0_13select_configILj256ELj13ELNS0_17block_load_methodE3ELS4_3ELS4_3ELNS0_20block_scan_algorithmE0ELj4294967295EEENS1_25partition_config_selectorILNS1_17partition_subalgoE3EjNS0_10empty_typeEbEEZZNS1_14partition_implILS8_3ELb0ES6_jNS0_17counting_iteratorIjlEEPS9_SE_NS0_5tupleIJPjSE_EEENSF_IJSE_SE_EEES9_SG_JZNS1_25segmented_radix_sort_implINS0_14default_configELb1EPKiPiPKlPlN2at6native12_GLOBAL__N_18offset_tEEE10hipError_tPvRmT1_PNSt15iterator_traitsISY_E10value_typeET2_T3_PNSZ_IS14_E10value_typeET4_jRbjT5_S1A_jjP12ihipStream_tbEUljE_EEESV_SW_SX_S14_S18_S1A_T6_T7_T9_mT8_S1C_bDpT10_ENKUlT_T0_E_clISt17integral_constantIbLb0EES1O_IbLb1EEEEDaS1K_S1L_EUlS1K_E_NS1_11comp_targetILNS1_3genE10ELNS1_11target_archE1200ELNS1_3gpuE4ELNS1_3repE0EEENS1_30default_config_static_selectorELNS0_4arch9wavefront6targetE1EEEvSY_.num_vgpr, 0
	.set _ZN7rocprim17ROCPRIM_400000_NS6detail17trampoline_kernelINS0_13select_configILj256ELj13ELNS0_17block_load_methodE3ELS4_3ELS4_3ELNS0_20block_scan_algorithmE0ELj4294967295EEENS1_25partition_config_selectorILNS1_17partition_subalgoE3EjNS0_10empty_typeEbEEZZNS1_14partition_implILS8_3ELb0ES6_jNS0_17counting_iteratorIjlEEPS9_SE_NS0_5tupleIJPjSE_EEENSF_IJSE_SE_EEES9_SG_JZNS1_25segmented_radix_sort_implINS0_14default_configELb1EPKiPiPKlPlN2at6native12_GLOBAL__N_18offset_tEEE10hipError_tPvRmT1_PNSt15iterator_traitsISY_E10value_typeET2_T3_PNSZ_IS14_E10value_typeET4_jRbjT5_S1A_jjP12ihipStream_tbEUljE_EEESV_SW_SX_S14_S18_S1A_T6_T7_T9_mT8_S1C_bDpT10_ENKUlT_T0_E_clISt17integral_constantIbLb0EES1O_IbLb1EEEEDaS1K_S1L_EUlS1K_E_NS1_11comp_targetILNS1_3genE10ELNS1_11target_archE1200ELNS1_3gpuE4ELNS1_3repE0EEENS1_30default_config_static_selectorELNS0_4arch9wavefront6targetE1EEEvSY_.num_agpr, 0
	.set _ZN7rocprim17ROCPRIM_400000_NS6detail17trampoline_kernelINS0_13select_configILj256ELj13ELNS0_17block_load_methodE3ELS4_3ELS4_3ELNS0_20block_scan_algorithmE0ELj4294967295EEENS1_25partition_config_selectorILNS1_17partition_subalgoE3EjNS0_10empty_typeEbEEZZNS1_14partition_implILS8_3ELb0ES6_jNS0_17counting_iteratorIjlEEPS9_SE_NS0_5tupleIJPjSE_EEENSF_IJSE_SE_EEES9_SG_JZNS1_25segmented_radix_sort_implINS0_14default_configELb1EPKiPiPKlPlN2at6native12_GLOBAL__N_18offset_tEEE10hipError_tPvRmT1_PNSt15iterator_traitsISY_E10value_typeET2_T3_PNSZ_IS14_E10value_typeET4_jRbjT5_S1A_jjP12ihipStream_tbEUljE_EEESV_SW_SX_S14_S18_S1A_T6_T7_T9_mT8_S1C_bDpT10_ENKUlT_T0_E_clISt17integral_constantIbLb0EES1O_IbLb1EEEEDaS1K_S1L_EUlS1K_E_NS1_11comp_targetILNS1_3genE10ELNS1_11target_archE1200ELNS1_3gpuE4ELNS1_3repE0EEENS1_30default_config_static_selectorELNS0_4arch9wavefront6targetE1EEEvSY_.numbered_sgpr, 0
	.set _ZN7rocprim17ROCPRIM_400000_NS6detail17trampoline_kernelINS0_13select_configILj256ELj13ELNS0_17block_load_methodE3ELS4_3ELS4_3ELNS0_20block_scan_algorithmE0ELj4294967295EEENS1_25partition_config_selectorILNS1_17partition_subalgoE3EjNS0_10empty_typeEbEEZZNS1_14partition_implILS8_3ELb0ES6_jNS0_17counting_iteratorIjlEEPS9_SE_NS0_5tupleIJPjSE_EEENSF_IJSE_SE_EEES9_SG_JZNS1_25segmented_radix_sort_implINS0_14default_configELb1EPKiPiPKlPlN2at6native12_GLOBAL__N_18offset_tEEE10hipError_tPvRmT1_PNSt15iterator_traitsISY_E10value_typeET2_T3_PNSZ_IS14_E10value_typeET4_jRbjT5_S1A_jjP12ihipStream_tbEUljE_EEESV_SW_SX_S14_S18_S1A_T6_T7_T9_mT8_S1C_bDpT10_ENKUlT_T0_E_clISt17integral_constantIbLb0EES1O_IbLb1EEEEDaS1K_S1L_EUlS1K_E_NS1_11comp_targetILNS1_3genE10ELNS1_11target_archE1200ELNS1_3gpuE4ELNS1_3repE0EEENS1_30default_config_static_selectorELNS0_4arch9wavefront6targetE1EEEvSY_.num_named_barrier, 0
	.set _ZN7rocprim17ROCPRIM_400000_NS6detail17trampoline_kernelINS0_13select_configILj256ELj13ELNS0_17block_load_methodE3ELS4_3ELS4_3ELNS0_20block_scan_algorithmE0ELj4294967295EEENS1_25partition_config_selectorILNS1_17partition_subalgoE3EjNS0_10empty_typeEbEEZZNS1_14partition_implILS8_3ELb0ES6_jNS0_17counting_iteratorIjlEEPS9_SE_NS0_5tupleIJPjSE_EEENSF_IJSE_SE_EEES9_SG_JZNS1_25segmented_radix_sort_implINS0_14default_configELb1EPKiPiPKlPlN2at6native12_GLOBAL__N_18offset_tEEE10hipError_tPvRmT1_PNSt15iterator_traitsISY_E10value_typeET2_T3_PNSZ_IS14_E10value_typeET4_jRbjT5_S1A_jjP12ihipStream_tbEUljE_EEESV_SW_SX_S14_S18_S1A_T6_T7_T9_mT8_S1C_bDpT10_ENKUlT_T0_E_clISt17integral_constantIbLb0EES1O_IbLb1EEEEDaS1K_S1L_EUlS1K_E_NS1_11comp_targetILNS1_3genE10ELNS1_11target_archE1200ELNS1_3gpuE4ELNS1_3repE0EEENS1_30default_config_static_selectorELNS0_4arch9wavefront6targetE1EEEvSY_.private_seg_size, 0
	.set _ZN7rocprim17ROCPRIM_400000_NS6detail17trampoline_kernelINS0_13select_configILj256ELj13ELNS0_17block_load_methodE3ELS4_3ELS4_3ELNS0_20block_scan_algorithmE0ELj4294967295EEENS1_25partition_config_selectorILNS1_17partition_subalgoE3EjNS0_10empty_typeEbEEZZNS1_14partition_implILS8_3ELb0ES6_jNS0_17counting_iteratorIjlEEPS9_SE_NS0_5tupleIJPjSE_EEENSF_IJSE_SE_EEES9_SG_JZNS1_25segmented_radix_sort_implINS0_14default_configELb1EPKiPiPKlPlN2at6native12_GLOBAL__N_18offset_tEEE10hipError_tPvRmT1_PNSt15iterator_traitsISY_E10value_typeET2_T3_PNSZ_IS14_E10value_typeET4_jRbjT5_S1A_jjP12ihipStream_tbEUljE_EEESV_SW_SX_S14_S18_S1A_T6_T7_T9_mT8_S1C_bDpT10_ENKUlT_T0_E_clISt17integral_constantIbLb0EES1O_IbLb1EEEEDaS1K_S1L_EUlS1K_E_NS1_11comp_targetILNS1_3genE10ELNS1_11target_archE1200ELNS1_3gpuE4ELNS1_3repE0EEENS1_30default_config_static_selectorELNS0_4arch9wavefront6targetE1EEEvSY_.uses_vcc, 0
	.set _ZN7rocprim17ROCPRIM_400000_NS6detail17trampoline_kernelINS0_13select_configILj256ELj13ELNS0_17block_load_methodE3ELS4_3ELS4_3ELNS0_20block_scan_algorithmE0ELj4294967295EEENS1_25partition_config_selectorILNS1_17partition_subalgoE3EjNS0_10empty_typeEbEEZZNS1_14partition_implILS8_3ELb0ES6_jNS0_17counting_iteratorIjlEEPS9_SE_NS0_5tupleIJPjSE_EEENSF_IJSE_SE_EEES9_SG_JZNS1_25segmented_radix_sort_implINS0_14default_configELb1EPKiPiPKlPlN2at6native12_GLOBAL__N_18offset_tEEE10hipError_tPvRmT1_PNSt15iterator_traitsISY_E10value_typeET2_T3_PNSZ_IS14_E10value_typeET4_jRbjT5_S1A_jjP12ihipStream_tbEUljE_EEESV_SW_SX_S14_S18_S1A_T6_T7_T9_mT8_S1C_bDpT10_ENKUlT_T0_E_clISt17integral_constantIbLb0EES1O_IbLb1EEEEDaS1K_S1L_EUlS1K_E_NS1_11comp_targetILNS1_3genE10ELNS1_11target_archE1200ELNS1_3gpuE4ELNS1_3repE0EEENS1_30default_config_static_selectorELNS0_4arch9wavefront6targetE1EEEvSY_.uses_flat_scratch, 0
	.set _ZN7rocprim17ROCPRIM_400000_NS6detail17trampoline_kernelINS0_13select_configILj256ELj13ELNS0_17block_load_methodE3ELS4_3ELS4_3ELNS0_20block_scan_algorithmE0ELj4294967295EEENS1_25partition_config_selectorILNS1_17partition_subalgoE3EjNS0_10empty_typeEbEEZZNS1_14partition_implILS8_3ELb0ES6_jNS0_17counting_iteratorIjlEEPS9_SE_NS0_5tupleIJPjSE_EEENSF_IJSE_SE_EEES9_SG_JZNS1_25segmented_radix_sort_implINS0_14default_configELb1EPKiPiPKlPlN2at6native12_GLOBAL__N_18offset_tEEE10hipError_tPvRmT1_PNSt15iterator_traitsISY_E10value_typeET2_T3_PNSZ_IS14_E10value_typeET4_jRbjT5_S1A_jjP12ihipStream_tbEUljE_EEESV_SW_SX_S14_S18_S1A_T6_T7_T9_mT8_S1C_bDpT10_ENKUlT_T0_E_clISt17integral_constantIbLb0EES1O_IbLb1EEEEDaS1K_S1L_EUlS1K_E_NS1_11comp_targetILNS1_3genE10ELNS1_11target_archE1200ELNS1_3gpuE4ELNS1_3repE0EEENS1_30default_config_static_selectorELNS0_4arch9wavefront6targetE1EEEvSY_.has_dyn_sized_stack, 0
	.set _ZN7rocprim17ROCPRIM_400000_NS6detail17trampoline_kernelINS0_13select_configILj256ELj13ELNS0_17block_load_methodE3ELS4_3ELS4_3ELNS0_20block_scan_algorithmE0ELj4294967295EEENS1_25partition_config_selectorILNS1_17partition_subalgoE3EjNS0_10empty_typeEbEEZZNS1_14partition_implILS8_3ELb0ES6_jNS0_17counting_iteratorIjlEEPS9_SE_NS0_5tupleIJPjSE_EEENSF_IJSE_SE_EEES9_SG_JZNS1_25segmented_radix_sort_implINS0_14default_configELb1EPKiPiPKlPlN2at6native12_GLOBAL__N_18offset_tEEE10hipError_tPvRmT1_PNSt15iterator_traitsISY_E10value_typeET2_T3_PNSZ_IS14_E10value_typeET4_jRbjT5_S1A_jjP12ihipStream_tbEUljE_EEESV_SW_SX_S14_S18_S1A_T6_T7_T9_mT8_S1C_bDpT10_ENKUlT_T0_E_clISt17integral_constantIbLb0EES1O_IbLb1EEEEDaS1K_S1L_EUlS1K_E_NS1_11comp_targetILNS1_3genE10ELNS1_11target_archE1200ELNS1_3gpuE4ELNS1_3repE0EEENS1_30default_config_static_selectorELNS0_4arch9wavefront6targetE1EEEvSY_.has_recursion, 0
	.set _ZN7rocprim17ROCPRIM_400000_NS6detail17trampoline_kernelINS0_13select_configILj256ELj13ELNS0_17block_load_methodE3ELS4_3ELS4_3ELNS0_20block_scan_algorithmE0ELj4294967295EEENS1_25partition_config_selectorILNS1_17partition_subalgoE3EjNS0_10empty_typeEbEEZZNS1_14partition_implILS8_3ELb0ES6_jNS0_17counting_iteratorIjlEEPS9_SE_NS0_5tupleIJPjSE_EEENSF_IJSE_SE_EEES9_SG_JZNS1_25segmented_radix_sort_implINS0_14default_configELb1EPKiPiPKlPlN2at6native12_GLOBAL__N_18offset_tEEE10hipError_tPvRmT1_PNSt15iterator_traitsISY_E10value_typeET2_T3_PNSZ_IS14_E10value_typeET4_jRbjT5_S1A_jjP12ihipStream_tbEUljE_EEESV_SW_SX_S14_S18_S1A_T6_T7_T9_mT8_S1C_bDpT10_ENKUlT_T0_E_clISt17integral_constantIbLb0EES1O_IbLb1EEEEDaS1K_S1L_EUlS1K_E_NS1_11comp_targetILNS1_3genE10ELNS1_11target_archE1200ELNS1_3gpuE4ELNS1_3repE0EEENS1_30default_config_static_selectorELNS0_4arch9wavefront6targetE1EEEvSY_.has_indirect_call, 0
	.section	.AMDGPU.csdata,"",@progbits
; Kernel info:
; codeLenInByte = 0
; TotalNumSgprs: 4
; NumVgprs: 0
; ScratchSize: 0
; MemoryBound: 0
; FloatMode: 240
; IeeeMode: 1
; LDSByteSize: 0 bytes/workgroup (compile time only)
; SGPRBlocks: 0
; VGPRBlocks: 0
; NumSGPRsForWavesPerEU: 4
; NumVGPRsForWavesPerEU: 1
; Occupancy: 10
; WaveLimiterHint : 0
; COMPUTE_PGM_RSRC2:SCRATCH_EN: 0
; COMPUTE_PGM_RSRC2:USER_SGPR: 6
; COMPUTE_PGM_RSRC2:TRAP_HANDLER: 0
; COMPUTE_PGM_RSRC2:TGID_X_EN: 1
; COMPUTE_PGM_RSRC2:TGID_Y_EN: 0
; COMPUTE_PGM_RSRC2:TGID_Z_EN: 0
; COMPUTE_PGM_RSRC2:TIDIG_COMP_CNT: 0
	.section	.text._ZN7rocprim17ROCPRIM_400000_NS6detail17trampoline_kernelINS0_13select_configILj256ELj13ELNS0_17block_load_methodE3ELS4_3ELS4_3ELNS0_20block_scan_algorithmE0ELj4294967295EEENS1_25partition_config_selectorILNS1_17partition_subalgoE3EjNS0_10empty_typeEbEEZZNS1_14partition_implILS8_3ELb0ES6_jNS0_17counting_iteratorIjlEEPS9_SE_NS0_5tupleIJPjSE_EEENSF_IJSE_SE_EEES9_SG_JZNS1_25segmented_radix_sort_implINS0_14default_configELb1EPKiPiPKlPlN2at6native12_GLOBAL__N_18offset_tEEE10hipError_tPvRmT1_PNSt15iterator_traitsISY_E10value_typeET2_T3_PNSZ_IS14_E10value_typeET4_jRbjT5_S1A_jjP12ihipStream_tbEUljE_EEESV_SW_SX_S14_S18_S1A_T6_T7_T9_mT8_S1C_bDpT10_ENKUlT_T0_E_clISt17integral_constantIbLb0EES1O_IbLb1EEEEDaS1K_S1L_EUlS1K_E_NS1_11comp_targetILNS1_3genE9ELNS1_11target_archE1100ELNS1_3gpuE3ELNS1_3repE0EEENS1_30default_config_static_selectorELNS0_4arch9wavefront6targetE1EEEvSY_,"axG",@progbits,_ZN7rocprim17ROCPRIM_400000_NS6detail17trampoline_kernelINS0_13select_configILj256ELj13ELNS0_17block_load_methodE3ELS4_3ELS4_3ELNS0_20block_scan_algorithmE0ELj4294967295EEENS1_25partition_config_selectorILNS1_17partition_subalgoE3EjNS0_10empty_typeEbEEZZNS1_14partition_implILS8_3ELb0ES6_jNS0_17counting_iteratorIjlEEPS9_SE_NS0_5tupleIJPjSE_EEENSF_IJSE_SE_EEES9_SG_JZNS1_25segmented_radix_sort_implINS0_14default_configELb1EPKiPiPKlPlN2at6native12_GLOBAL__N_18offset_tEEE10hipError_tPvRmT1_PNSt15iterator_traitsISY_E10value_typeET2_T3_PNSZ_IS14_E10value_typeET4_jRbjT5_S1A_jjP12ihipStream_tbEUljE_EEESV_SW_SX_S14_S18_S1A_T6_T7_T9_mT8_S1C_bDpT10_ENKUlT_T0_E_clISt17integral_constantIbLb0EES1O_IbLb1EEEEDaS1K_S1L_EUlS1K_E_NS1_11comp_targetILNS1_3genE9ELNS1_11target_archE1100ELNS1_3gpuE3ELNS1_3repE0EEENS1_30default_config_static_selectorELNS0_4arch9wavefront6targetE1EEEvSY_,comdat
	.globl	_ZN7rocprim17ROCPRIM_400000_NS6detail17trampoline_kernelINS0_13select_configILj256ELj13ELNS0_17block_load_methodE3ELS4_3ELS4_3ELNS0_20block_scan_algorithmE0ELj4294967295EEENS1_25partition_config_selectorILNS1_17partition_subalgoE3EjNS0_10empty_typeEbEEZZNS1_14partition_implILS8_3ELb0ES6_jNS0_17counting_iteratorIjlEEPS9_SE_NS0_5tupleIJPjSE_EEENSF_IJSE_SE_EEES9_SG_JZNS1_25segmented_radix_sort_implINS0_14default_configELb1EPKiPiPKlPlN2at6native12_GLOBAL__N_18offset_tEEE10hipError_tPvRmT1_PNSt15iterator_traitsISY_E10value_typeET2_T3_PNSZ_IS14_E10value_typeET4_jRbjT5_S1A_jjP12ihipStream_tbEUljE_EEESV_SW_SX_S14_S18_S1A_T6_T7_T9_mT8_S1C_bDpT10_ENKUlT_T0_E_clISt17integral_constantIbLb0EES1O_IbLb1EEEEDaS1K_S1L_EUlS1K_E_NS1_11comp_targetILNS1_3genE9ELNS1_11target_archE1100ELNS1_3gpuE3ELNS1_3repE0EEENS1_30default_config_static_selectorELNS0_4arch9wavefront6targetE1EEEvSY_ ; -- Begin function _ZN7rocprim17ROCPRIM_400000_NS6detail17trampoline_kernelINS0_13select_configILj256ELj13ELNS0_17block_load_methodE3ELS4_3ELS4_3ELNS0_20block_scan_algorithmE0ELj4294967295EEENS1_25partition_config_selectorILNS1_17partition_subalgoE3EjNS0_10empty_typeEbEEZZNS1_14partition_implILS8_3ELb0ES6_jNS0_17counting_iteratorIjlEEPS9_SE_NS0_5tupleIJPjSE_EEENSF_IJSE_SE_EEES9_SG_JZNS1_25segmented_radix_sort_implINS0_14default_configELb1EPKiPiPKlPlN2at6native12_GLOBAL__N_18offset_tEEE10hipError_tPvRmT1_PNSt15iterator_traitsISY_E10value_typeET2_T3_PNSZ_IS14_E10value_typeET4_jRbjT5_S1A_jjP12ihipStream_tbEUljE_EEESV_SW_SX_S14_S18_S1A_T6_T7_T9_mT8_S1C_bDpT10_ENKUlT_T0_E_clISt17integral_constantIbLb0EES1O_IbLb1EEEEDaS1K_S1L_EUlS1K_E_NS1_11comp_targetILNS1_3genE9ELNS1_11target_archE1100ELNS1_3gpuE3ELNS1_3repE0EEENS1_30default_config_static_selectorELNS0_4arch9wavefront6targetE1EEEvSY_
	.p2align	8
	.type	_ZN7rocprim17ROCPRIM_400000_NS6detail17trampoline_kernelINS0_13select_configILj256ELj13ELNS0_17block_load_methodE3ELS4_3ELS4_3ELNS0_20block_scan_algorithmE0ELj4294967295EEENS1_25partition_config_selectorILNS1_17partition_subalgoE3EjNS0_10empty_typeEbEEZZNS1_14partition_implILS8_3ELb0ES6_jNS0_17counting_iteratorIjlEEPS9_SE_NS0_5tupleIJPjSE_EEENSF_IJSE_SE_EEES9_SG_JZNS1_25segmented_radix_sort_implINS0_14default_configELb1EPKiPiPKlPlN2at6native12_GLOBAL__N_18offset_tEEE10hipError_tPvRmT1_PNSt15iterator_traitsISY_E10value_typeET2_T3_PNSZ_IS14_E10value_typeET4_jRbjT5_S1A_jjP12ihipStream_tbEUljE_EEESV_SW_SX_S14_S18_S1A_T6_T7_T9_mT8_S1C_bDpT10_ENKUlT_T0_E_clISt17integral_constantIbLb0EES1O_IbLb1EEEEDaS1K_S1L_EUlS1K_E_NS1_11comp_targetILNS1_3genE9ELNS1_11target_archE1100ELNS1_3gpuE3ELNS1_3repE0EEENS1_30default_config_static_selectorELNS0_4arch9wavefront6targetE1EEEvSY_,@function
_ZN7rocprim17ROCPRIM_400000_NS6detail17trampoline_kernelINS0_13select_configILj256ELj13ELNS0_17block_load_methodE3ELS4_3ELS4_3ELNS0_20block_scan_algorithmE0ELj4294967295EEENS1_25partition_config_selectorILNS1_17partition_subalgoE3EjNS0_10empty_typeEbEEZZNS1_14partition_implILS8_3ELb0ES6_jNS0_17counting_iteratorIjlEEPS9_SE_NS0_5tupleIJPjSE_EEENSF_IJSE_SE_EEES9_SG_JZNS1_25segmented_radix_sort_implINS0_14default_configELb1EPKiPiPKlPlN2at6native12_GLOBAL__N_18offset_tEEE10hipError_tPvRmT1_PNSt15iterator_traitsISY_E10value_typeET2_T3_PNSZ_IS14_E10value_typeET4_jRbjT5_S1A_jjP12ihipStream_tbEUljE_EEESV_SW_SX_S14_S18_S1A_T6_T7_T9_mT8_S1C_bDpT10_ENKUlT_T0_E_clISt17integral_constantIbLb0EES1O_IbLb1EEEEDaS1K_S1L_EUlS1K_E_NS1_11comp_targetILNS1_3genE9ELNS1_11target_archE1100ELNS1_3gpuE3ELNS1_3repE0EEENS1_30default_config_static_selectorELNS0_4arch9wavefront6targetE1EEEvSY_: ; @_ZN7rocprim17ROCPRIM_400000_NS6detail17trampoline_kernelINS0_13select_configILj256ELj13ELNS0_17block_load_methodE3ELS4_3ELS4_3ELNS0_20block_scan_algorithmE0ELj4294967295EEENS1_25partition_config_selectorILNS1_17partition_subalgoE3EjNS0_10empty_typeEbEEZZNS1_14partition_implILS8_3ELb0ES6_jNS0_17counting_iteratorIjlEEPS9_SE_NS0_5tupleIJPjSE_EEENSF_IJSE_SE_EEES9_SG_JZNS1_25segmented_radix_sort_implINS0_14default_configELb1EPKiPiPKlPlN2at6native12_GLOBAL__N_18offset_tEEE10hipError_tPvRmT1_PNSt15iterator_traitsISY_E10value_typeET2_T3_PNSZ_IS14_E10value_typeET4_jRbjT5_S1A_jjP12ihipStream_tbEUljE_EEESV_SW_SX_S14_S18_S1A_T6_T7_T9_mT8_S1C_bDpT10_ENKUlT_T0_E_clISt17integral_constantIbLb0EES1O_IbLb1EEEEDaS1K_S1L_EUlS1K_E_NS1_11comp_targetILNS1_3genE9ELNS1_11target_archE1100ELNS1_3gpuE3ELNS1_3repE0EEENS1_30default_config_static_selectorELNS0_4arch9wavefront6targetE1EEEvSY_
; %bb.0:
	.section	.rodata,"a",@progbits
	.p2align	6, 0x0
	.amdhsa_kernel _ZN7rocprim17ROCPRIM_400000_NS6detail17trampoline_kernelINS0_13select_configILj256ELj13ELNS0_17block_load_methodE3ELS4_3ELS4_3ELNS0_20block_scan_algorithmE0ELj4294967295EEENS1_25partition_config_selectorILNS1_17partition_subalgoE3EjNS0_10empty_typeEbEEZZNS1_14partition_implILS8_3ELb0ES6_jNS0_17counting_iteratorIjlEEPS9_SE_NS0_5tupleIJPjSE_EEENSF_IJSE_SE_EEES9_SG_JZNS1_25segmented_radix_sort_implINS0_14default_configELb1EPKiPiPKlPlN2at6native12_GLOBAL__N_18offset_tEEE10hipError_tPvRmT1_PNSt15iterator_traitsISY_E10value_typeET2_T3_PNSZ_IS14_E10value_typeET4_jRbjT5_S1A_jjP12ihipStream_tbEUljE_EEESV_SW_SX_S14_S18_S1A_T6_T7_T9_mT8_S1C_bDpT10_ENKUlT_T0_E_clISt17integral_constantIbLb0EES1O_IbLb1EEEEDaS1K_S1L_EUlS1K_E_NS1_11comp_targetILNS1_3genE9ELNS1_11target_archE1100ELNS1_3gpuE3ELNS1_3repE0EEENS1_30default_config_static_selectorELNS0_4arch9wavefront6targetE1EEEvSY_
		.amdhsa_group_segment_fixed_size 0
		.amdhsa_private_segment_fixed_size 0
		.amdhsa_kernarg_size 152
		.amdhsa_user_sgpr_count 6
		.amdhsa_user_sgpr_private_segment_buffer 1
		.amdhsa_user_sgpr_dispatch_ptr 0
		.amdhsa_user_sgpr_queue_ptr 0
		.amdhsa_user_sgpr_kernarg_segment_ptr 1
		.amdhsa_user_sgpr_dispatch_id 0
		.amdhsa_user_sgpr_flat_scratch_init 0
		.amdhsa_user_sgpr_private_segment_size 0
		.amdhsa_uses_dynamic_stack 0
		.amdhsa_system_sgpr_private_segment_wavefront_offset 0
		.amdhsa_system_sgpr_workgroup_id_x 1
		.amdhsa_system_sgpr_workgroup_id_y 0
		.amdhsa_system_sgpr_workgroup_id_z 0
		.amdhsa_system_sgpr_workgroup_info 0
		.amdhsa_system_vgpr_workitem_id 0
		.amdhsa_next_free_vgpr 1
		.amdhsa_next_free_sgpr 0
		.amdhsa_reserve_vcc 0
		.amdhsa_reserve_flat_scratch 0
		.amdhsa_float_round_mode_32 0
		.amdhsa_float_round_mode_16_64 0
		.amdhsa_float_denorm_mode_32 3
		.amdhsa_float_denorm_mode_16_64 3
		.amdhsa_dx10_clamp 1
		.amdhsa_ieee_mode 1
		.amdhsa_fp16_overflow 0
		.amdhsa_exception_fp_ieee_invalid_op 0
		.amdhsa_exception_fp_denorm_src 0
		.amdhsa_exception_fp_ieee_div_zero 0
		.amdhsa_exception_fp_ieee_overflow 0
		.amdhsa_exception_fp_ieee_underflow 0
		.amdhsa_exception_fp_ieee_inexact 0
		.amdhsa_exception_int_div_zero 0
	.end_amdhsa_kernel
	.section	.text._ZN7rocprim17ROCPRIM_400000_NS6detail17trampoline_kernelINS0_13select_configILj256ELj13ELNS0_17block_load_methodE3ELS4_3ELS4_3ELNS0_20block_scan_algorithmE0ELj4294967295EEENS1_25partition_config_selectorILNS1_17partition_subalgoE3EjNS0_10empty_typeEbEEZZNS1_14partition_implILS8_3ELb0ES6_jNS0_17counting_iteratorIjlEEPS9_SE_NS0_5tupleIJPjSE_EEENSF_IJSE_SE_EEES9_SG_JZNS1_25segmented_radix_sort_implINS0_14default_configELb1EPKiPiPKlPlN2at6native12_GLOBAL__N_18offset_tEEE10hipError_tPvRmT1_PNSt15iterator_traitsISY_E10value_typeET2_T3_PNSZ_IS14_E10value_typeET4_jRbjT5_S1A_jjP12ihipStream_tbEUljE_EEESV_SW_SX_S14_S18_S1A_T6_T7_T9_mT8_S1C_bDpT10_ENKUlT_T0_E_clISt17integral_constantIbLb0EES1O_IbLb1EEEEDaS1K_S1L_EUlS1K_E_NS1_11comp_targetILNS1_3genE9ELNS1_11target_archE1100ELNS1_3gpuE3ELNS1_3repE0EEENS1_30default_config_static_selectorELNS0_4arch9wavefront6targetE1EEEvSY_,"axG",@progbits,_ZN7rocprim17ROCPRIM_400000_NS6detail17trampoline_kernelINS0_13select_configILj256ELj13ELNS0_17block_load_methodE3ELS4_3ELS4_3ELNS0_20block_scan_algorithmE0ELj4294967295EEENS1_25partition_config_selectorILNS1_17partition_subalgoE3EjNS0_10empty_typeEbEEZZNS1_14partition_implILS8_3ELb0ES6_jNS0_17counting_iteratorIjlEEPS9_SE_NS0_5tupleIJPjSE_EEENSF_IJSE_SE_EEES9_SG_JZNS1_25segmented_radix_sort_implINS0_14default_configELb1EPKiPiPKlPlN2at6native12_GLOBAL__N_18offset_tEEE10hipError_tPvRmT1_PNSt15iterator_traitsISY_E10value_typeET2_T3_PNSZ_IS14_E10value_typeET4_jRbjT5_S1A_jjP12ihipStream_tbEUljE_EEESV_SW_SX_S14_S18_S1A_T6_T7_T9_mT8_S1C_bDpT10_ENKUlT_T0_E_clISt17integral_constantIbLb0EES1O_IbLb1EEEEDaS1K_S1L_EUlS1K_E_NS1_11comp_targetILNS1_3genE9ELNS1_11target_archE1100ELNS1_3gpuE3ELNS1_3repE0EEENS1_30default_config_static_selectorELNS0_4arch9wavefront6targetE1EEEvSY_,comdat
.Lfunc_end495:
	.size	_ZN7rocprim17ROCPRIM_400000_NS6detail17trampoline_kernelINS0_13select_configILj256ELj13ELNS0_17block_load_methodE3ELS4_3ELS4_3ELNS0_20block_scan_algorithmE0ELj4294967295EEENS1_25partition_config_selectorILNS1_17partition_subalgoE3EjNS0_10empty_typeEbEEZZNS1_14partition_implILS8_3ELb0ES6_jNS0_17counting_iteratorIjlEEPS9_SE_NS0_5tupleIJPjSE_EEENSF_IJSE_SE_EEES9_SG_JZNS1_25segmented_radix_sort_implINS0_14default_configELb1EPKiPiPKlPlN2at6native12_GLOBAL__N_18offset_tEEE10hipError_tPvRmT1_PNSt15iterator_traitsISY_E10value_typeET2_T3_PNSZ_IS14_E10value_typeET4_jRbjT5_S1A_jjP12ihipStream_tbEUljE_EEESV_SW_SX_S14_S18_S1A_T6_T7_T9_mT8_S1C_bDpT10_ENKUlT_T0_E_clISt17integral_constantIbLb0EES1O_IbLb1EEEEDaS1K_S1L_EUlS1K_E_NS1_11comp_targetILNS1_3genE9ELNS1_11target_archE1100ELNS1_3gpuE3ELNS1_3repE0EEENS1_30default_config_static_selectorELNS0_4arch9wavefront6targetE1EEEvSY_, .Lfunc_end495-_ZN7rocprim17ROCPRIM_400000_NS6detail17trampoline_kernelINS0_13select_configILj256ELj13ELNS0_17block_load_methodE3ELS4_3ELS4_3ELNS0_20block_scan_algorithmE0ELj4294967295EEENS1_25partition_config_selectorILNS1_17partition_subalgoE3EjNS0_10empty_typeEbEEZZNS1_14partition_implILS8_3ELb0ES6_jNS0_17counting_iteratorIjlEEPS9_SE_NS0_5tupleIJPjSE_EEENSF_IJSE_SE_EEES9_SG_JZNS1_25segmented_radix_sort_implINS0_14default_configELb1EPKiPiPKlPlN2at6native12_GLOBAL__N_18offset_tEEE10hipError_tPvRmT1_PNSt15iterator_traitsISY_E10value_typeET2_T3_PNSZ_IS14_E10value_typeET4_jRbjT5_S1A_jjP12ihipStream_tbEUljE_EEESV_SW_SX_S14_S18_S1A_T6_T7_T9_mT8_S1C_bDpT10_ENKUlT_T0_E_clISt17integral_constantIbLb0EES1O_IbLb1EEEEDaS1K_S1L_EUlS1K_E_NS1_11comp_targetILNS1_3genE9ELNS1_11target_archE1100ELNS1_3gpuE3ELNS1_3repE0EEENS1_30default_config_static_selectorELNS0_4arch9wavefront6targetE1EEEvSY_
                                        ; -- End function
	.set _ZN7rocprim17ROCPRIM_400000_NS6detail17trampoline_kernelINS0_13select_configILj256ELj13ELNS0_17block_load_methodE3ELS4_3ELS4_3ELNS0_20block_scan_algorithmE0ELj4294967295EEENS1_25partition_config_selectorILNS1_17partition_subalgoE3EjNS0_10empty_typeEbEEZZNS1_14partition_implILS8_3ELb0ES6_jNS0_17counting_iteratorIjlEEPS9_SE_NS0_5tupleIJPjSE_EEENSF_IJSE_SE_EEES9_SG_JZNS1_25segmented_radix_sort_implINS0_14default_configELb1EPKiPiPKlPlN2at6native12_GLOBAL__N_18offset_tEEE10hipError_tPvRmT1_PNSt15iterator_traitsISY_E10value_typeET2_T3_PNSZ_IS14_E10value_typeET4_jRbjT5_S1A_jjP12ihipStream_tbEUljE_EEESV_SW_SX_S14_S18_S1A_T6_T7_T9_mT8_S1C_bDpT10_ENKUlT_T0_E_clISt17integral_constantIbLb0EES1O_IbLb1EEEEDaS1K_S1L_EUlS1K_E_NS1_11comp_targetILNS1_3genE9ELNS1_11target_archE1100ELNS1_3gpuE3ELNS1_3repE0EEENS1_30default_config_static_selectorELNS0_4arch9wavefront6targetE1EEEvSY_.num_vgpr, 0
	.set _ZN7rocprim17ROCPRIM_400000_NS6detail17trampoline_kernelINS0_13select_configILj256ELj13ELNS0_17block_load_methodE3ELS4_3ELS4_3ELNS0_20block_scan_algorithmE0ELj4294967295EEENS1_25partition_config_selectorILNS1_17partition_subalgoE3EjNS0_10empty_typeEbEEZZNS1_14partition_implILS8_3ELb0ES6_jNS0_17counting_iteratorIjlEEPS9_SE_NS0_5tupleIJPjSE_EEENSF_IJSE_SE_EEES9_SG_JZNS1_25segmented_radix_sort_implINS0_14default_configELb1EPKiPiPKlPlN2at6native12_GLOBAL__N_18offset_tEEE10hipError_tPvRmT1_PNSt15iterator_traitsISY_E10value_typeET2_T3_PNSZ_IS14_E10value_typeET4_jRbjT5_S1A_jjP12ihipStream_tbEUljE_EEESV_SW_SX_S14_S18_S1A_T6_T7_T9_mT8_S1C_bDpT10_ENKUlT_T0_E_clISt17integral_constantIbLb0EES1O_IbLb1EEEEDaS1K_S1L_EUlS1K_E_NS1_11comp_targetILNS1_3genE9ELNS1_11target_archE1100ELNS1_3gpuE3ELNS1_3repE0EEENS1_30default_config_static_selectorELNS0_4arch9wavefront6targetE1EEEvSY_.num_agpr, 0
	.set _ZN7rocprim17ROCPRIM_400000_NS6detail17trampoline_kernelINS0_13select_configILj256ELj13ELNS0_17block_load_methodE3ELS4_3ELS4_3ELNS0_20block_scan_algorithmE0ELj4294967295EEENS1_25partition_config_selectorILNS1_17partition_subalgoE3EjNS0_10empty_typeEbEEZZNS1_14partition_implILS8_3ELb0ES6_jNS0_17counting_iteratorIjlEEPS9_SE_NS0_5tupleIJPjSE_EEENSF_IJSE_SE_EEES9_SG_JZNS1_25segmented_radix_sort_implINS0_14default_configELb1EPKiPiPKlPlN2at6native12_GLOBAL__N_18offset_tEEE10hipError_tPvRmT1_PNSt15iterator_traitsISY_E10value_typeET2_T3_PNSZ_IS14_E10value_typeET4_jRbjT5_S1A_jjP12ihipStream_tbEUljE_EEESV_SW_SX_S14_S18_S1A_T6_T7_T9_mT8_S1C_bDpT10_ENKUlT_T0_E_clISt17integral_constantIbLb0EES1O_IbLb1EEEEDaS1K_S1L_EUlS1K_E_NS1_11comp_targetILNS1_3genE9ELNS1_11target_archE1100ELNS1_3gpuE3ELNS1_3repE0EEENS1_30default_config_static_selectorELNS0_4arch9wavefront6targetE1EEEvSY_.numbered_sgpr, 0
	.set _ZN7rocprim17ROCPRIM_400000_NS6detail17trampoline_kernelINS0_13select_configILj256ELj13ELNS0_17block_load_methodE3ELS4_3ELS4_3ELNS0_20block_scan_algorithmE0ELj4294967295EEENS1_25partition_config_selectorILNS1_17partition_subalgoE3EjNS0_10empty_typeEbEEZZNS1_14partition_implILS8_3ELb0ES6_jNS0_17counting_iteratorIjlEEPS9_SE_NS0_5tupleIJPjSE_EEENSF_IJSE_SE_EEES9_SG_JZNS1_25segmented_radix_sort_implINS0_14default_configELb1EPKiPiPKlPlN2at6native12_GLOBAL__N_18offset_tEEE10hipError_tPvRmT1_PNSt15iterator_traitsISY_E10value_typeET2_T3_PNSZ_IS14_E10value_typeET4_jRbjT5_S1A_jjP12ihipStream_tbEUljE_EEESV_SW_SX_S14_S18_S1A_T6_T7_T9_mT8_S1C_bDpT10_ENKUlT_T0_E_clISt17integral_constantIbLb0EES1O_IbLb1EEEEDaS1K_S1L_EUlS1K_E_NS1_11comp_targetILNS1_3genE9ELNS1_11target_archE1100ELNS1_3gpuE3ELNS1_3repE0EEENS1_30default_config_static_selectorELNS0_4arch9wavefront6targetE1EEEvSY_.num_named_barrier, 0
	.set _ZN7rocprim17ROCPRIM_400000_NS6detail17trampoline_kernelINS0_13select_configILj256ELj13ELNS0_17block_load_methodE3ELS4_3ELS4_3ELNS0_20block_scan_algorithmE0ELj4294967295EEENS1_25partition_config_selectorILNS1_17partition_subalgoE3EjNS0_10empty_typeEbEEZZNS1_14partition_implILS8_3ELb0ES6_jNS0_17counting_iteratorIjlEEPS9_SE_NS0_5tupleIJPjSE_EEENSF_IJSE_SE_EEES9_SG_JZNS1_25segmented_radix_sort_implINS0_14default_configELb1EPKiPiPKlPlN2at6native12_GLOBAL__N_18offset_tEEE10hipError_tPvRmT1_PNSt15iterator_traitsISY_E10value_typeET2_T3_PNSZ_IS14_E10value_typeET4_jRbjT5_S1A_jjP12ihipStream_tbEUljE_EEESV_SW_SX_S14_S18_S1A_T6_T7_T9_mT8_S1C_bDpT10_ENKUlT_T0_E_clISt17integral_constantIbLb0EES1O_IbLb1EEEEDaS1K_S1L_EUlS1K_E_NS1_11comp_targetILNS1_3genE9ELNS1_11target_archE1100ELNS1_3gpuE3ELNS1_3repE0EEENS1_30default_config_static_selectorELNS0_4arch9wavefront6targetE1EEEvSY_.private_seg_size, 0
	.set _ZN7rocprim17ROCPRIM_400000_NS6detail17trampoline_kernelINS0_13select_configILj256ELj13ELNS0_17block_load_methodE3ELS4_3ELS4_3ELNS0_20block_scan_algorithmE0ELj4294967295EEENS1_25partition_config_selectorILNS1_17partition_subalgoE3EjNS0_10empty_typeEbEEZZNS1_14partition_implILS8_3ELb0ES6_jNS0_17counting_iteratorIjlEEPS9_SE_NS0_5tupleIJPjSE_EEENSF_IJSE_SE_EEES9_SG_JZNS1_25segmented_radix_sort_implINS0_14default_configELb1EPKiPiPKlPlN2at6native12_GLOBAL__N_18offset_tEEE10hipError_tPvRmT1_PNSt15iterator_traitsISY_E10value_typeET2_T3_PNSZ_IS14_E10value_typeET4_jRbjT5_S1A_jjP12ihipStream_tbEUljE_EEESV_SW_SX_S14_S18_S1A_T6_T7_T9_mT8_S1C_bDpT10_ENKUlT_T0_E_clISt17integral_constantIbLb0EES1O_IbLb1EEEEDaS1K_S1L_EUlS1K_E_NS1_11comp_targetILNS1_3genE9ELNS1_11target_archE1100ELNS1_3gpuE3ELNS1_3repE0EEENS1_30default_config_static_selectorELNS0_4arch9wavefront6targetE1EEEvSY_.uses_vcc, 0
	.set _ZN7rocprim17ROCPRIM_400000_NS6detail17trampoline_kernelINS0_13select_configILj256ELj13ELNS0_17block_load_methodE3ELS4_3ELS4_3ELNS0_20block_scan_algorithmE0ELj4294967295EEENS1_25partition_config_selectorILNS1_17partition_subalgoE3EjNS0_10empty_typeEbEEZZNS1_14partition_implILS8_3ELb0ES6_jNS0_17counting_iteratorIjlEEPS9_SE_NS0_5tupleIJPjSE_EEENSF_IJSE_SE_EEES9_SG_JZNS1_25segmented_radix_sort_implINS0_14default_configELb1EPKiPiPKlPlN2at6native12_GLOBAL__N_18offset_tEEE10hipError_tPvRmT1_PNSt15iterator_traitsISY_E10value_typeET2_T3_PNSZ_IS14_E10value_typeET4_jRbjT5_S1A_jjP12ihipStream_tbEUljE_EEESV_SW_SX_S14_S18_S1A_T6_T7_T9_mT8_S1C_bDpT10_ENKUlT_T0_E_clISt17integral_constantIbLb0EES1O_IbLb1EEEEDaS1K_S1L_EUlS1K_E_NS1_11comp_targetILNS1_3genE9ELNS1_11target_archE1100ELNS1_3gpuE3ELNS1_3repE0EEENS1_30default_config_static_selectorELNS0_4arch9wavefront6targetE1EEEvSY_.uses_flat_scratch, 0
	.set _ZN7rocprim17ROCPRIM_400000_NS6detail17trampoline_kernelINS0_13select_configILj256ELj13ELNS0_17block_load_methodE3ELS4_3ELS4_3ELNS0_20block_scan_algorithmE0ELj4294967295EEENS1_25partition_config_selectorILNS1_17partition_subalgoE3EjNS0_10empty_typeEbEEZZNS1_14partition_implILS8_3ELb0ES6_jNS0_17counting_iteratorIjlEEPS9_SE_NS0_5tupleIJPjSE_EEENSF_IJSE_SE_EEES9_SG_JZNS1_25segmented_radix_sort_implINS0_14default_configELb1EPKiPiPKlPlN2at6native12_GLOBAL__N_18offset_tEEE10hipError_tPvRmT1_PNSt15iterator_traitsISY_E10value_typeET2_T3_PNSZ_IS14_E10value_typeET4_jRbjT5_S1A_jjP12ihipStream_tbEUljE_EEESV_SW_SX_S14_S18_S1A_T6_T7_T9_mT8_S1C_bDpT10_ENKUlT_T0_E_clISt17integral_constantIbLb0EES1O_IbLb1EEEEDaS1K_S1L_EUlS1K_E_NS1_11comp_targetILNS1_3genE9ELNS1_11target_archE1100ELNS1_3gpuE3ELNS1_3repE0EEENS1_30default_config_static_selectorELNS0_4arch9wavefront6targetE1EEEvSY_.has_dyn_sized_stack, 0
	.set _ZN7rocprim17ROCPRIM_400000_NS6detail17trampoline_kernelINS0_13select_configILj256ELj13ELNS0_17block_load_methodE3ELS4_3ELS4_3ELNS0_20block_scan_algorithmE0ELj4294967295EEENS1_25partition_config_selectorILNS1_17partition_subalgoE3EjNS0_10empty_typeEbEEZZNS1_14partition_implILS8_3ELb0ES6_jNS0_17counting_iteratorIjlEEPS9_SE_NS0_5tupleIJPjSE_EEENSF_IJSE_SE_EEES9_SG_JZNS1_25segmented_radix_sort_implINS0_14default_configELb1EPKiPiPKlPlN2at6native12_GLOBAL__N_18offset_tEEE10hipError_tPvRmT1_PNSt15iterator_traitsISY_E10value_typeET2_T3_PNSZ_IS14_E10value_typeET4_jRbjT5_S1A_jjP12ihipStream_tbEUljE_EEESV_SW_SX_S14_S18_S1A_T6_T7_T9_mT8_S1C_bDpT10_ENKUlT_T0_E_clISt17integral_constantIbLb0EES1O_IbLb1EEEEDaS1K_S1L_EUlS1K_E_NS1_11comp_targetILNS1_3genE9ELNS1_11target_archE1100ELNS1_3gpuE3ELNS1_3repE0EEENS1_30default_config_static_selectorELNS0_4arch9wavefront6targetE1EEEvSY_.has_recursion, 0
	.set _ZN7rocprim17ROCPRIM_400000_NS6detail17trampoline_kernelINS0_13select_configILj256ELj13ELNS0_17block_load_methodE3ELS4_3ELS4_3ELNS0_20block_scan_algorithmE0ELj4294967295EEENS1_25partition_config_selectorILNS1_17partition_subalgoE3EjNS0_10empty_typeEbEEZZNS1_14partition_implILS8_3ELb0ES6_jNS0_17counting_iteratorIjlEEPS9_SE_NS0_5tupleIJPjSE_EEENSF_IJSE_SE_EEES9_SG_JZNS1_25segmented_radix_sort_implINS0_14default_configELb1EPKiPiPKlPlN2at6native12_GLOBAL__N_18offset_tEEE10hipError_tPvRmT1_PNSt15iterator_traitsISY_E10value_typeET2_T3_PNSZ_IS14_E10value_typeET4_jRbjT5_S1A_jjP12ihipStream_tbEUljE_EEESV_SW_SX_S14_S18_S1A_T6_T7_T9_mT8_S1C_bDpT10_ENKUlT_T0_E_clISt17integral_constantIbLb0EES1O_IbLb1EEEEDaS1K_S1L_EUlS1K_E_NS1_11comp_targetILNS1_3genE9ELNS1_11target_archE1100ELNS1_3gpuE3ELNS1_3repE0EEENS1_30default_config_static_selectorELNS0_4arch9wavefront6targetE1EEEvSY_.has_indirect_call, 0
	.section	.AMDGPU.csdata,"",@progbits
; Kernel info:
; codeLenInByte = 0
; TotalNumSgprs: 4
; NumVgprs: 0
; ScratchSize: 0
; MemoryBound: 0
; FloatMode: 240
; IeeeMode: 1
; LDSByteSize: 0 bytes/workgroup (compile time only)
; SGPRBlocks: 0
; VGPRBlocks: 0
; NumSGPRsForWavesPerEU: 4
; NumVGPRsForWavesPerEU: 1
; Occupancy: 10
; WaveLimiterHint : 0
; COMPUTE_PGM_RSRC2:SCRATCH_EN: 0
; COMPUTE_PGM_RSRC2:USER_SGPR: 6
; COMPUTE_PGM_RSRC2:TRAP_HANDLER: 0
; COMPUTE_PGM_RSRC2:TGID_X_EN: 1
; COMPUTE_PGM_RSRC2:TGID_Y_EN: 0
; COMPUTE_PGM_RSRC2:TGID_Z_EN: 0
; COMPUTE_PGM_RSRC2:TIDIG_COMP_CNT: 0
	.section	.text._ZN7rocprim17ROCPRIM_400000_NS6detail17trampoline_kernelINS0_13select_configILj256ELj13ELNS0_17block_load_methodE3ELS4_3ELS4_3ELNS0_20block_scan_algorithmE0ELj4294967295EEENS1_25partition_config_selectorILNS1_17partition_subalgoE3EjNS0_10empty_typeEbEEZZNS1_14partition_implILS8_3ELb0ES6_jNS0_17counting_iteratorIjlEEPS9_SE_NS0_5tupleIJPjSE_EEENSF_IJSE_SE_EEES9_SG_JZNS1_25segmented_radix_sort_implINS0_14default_configELb1EPKiPiPKlPlN2at6native12_GLOBAL__N_18offset_tEEE10hipError_tPvRmT1_PNSt15iterator_traitsISY_E10value_typeET2_T3_PNSZ_IS14_E10value_typeET4_jRbjT5_S1A_jjP12ihipStream_tbEUljE_EEESV_SW_SX_S14_S18_S1A_T6_T7_T9_mT8_S1C_bDpT10_ENKUlT_T0_E_clISt17integral_constantIbLb0EES1O_IbLb1EEEEDaS1K_S1L_EUlS1K_E_NS1_11comp_targetILNS1_3genE8ELNS1_11target_archE1030ELNS1_3gpuE2ELNS1_3repE0EEENS1_30default_config_static_selectorELNS0_4arch9wavefront6targetE1EEEvSY_,"axG",@progbits,_ZN7rocprim17ROCPRIM_400000_NS6detail17trampoline_kernelINS0_13select_configILj256ELj13ELNS0_17block_load_methodE3ELS4_3ELS4_3ELNS0_20block_scan_algorithmE0ELj4294967295EEENS1_25partition_config_selectorILNS1_17partition_subalgoE3EjNS0_10empty_typeEbEEZZNS1_14partition_implILS8_3ELb0ES6_jNS0_17counting_iteratorIjlEEPS9_SE_NS0_5tupleIJPjSE_EEENSF_IJSE_SE_EEES9_SG_JZNS1_25segmented_radix_sort_implINS0_14default_configELb1EPKiPiPKlPlN2at6native12_GLOBAL__N_18offset_tEEE10hipError_tPvRmT1_PNSt15iterator_traitsISY_E10value_typeET2_T3_PNSZ_IS14_E10value_typeET4_jRbjT5_S1A_jjP12ihipStream_tbEUljE_EEESV_SW_SX_S14_S18_S1A_T6_T7_T9_mT8_S1C_bDpT10_ENKUlT_T0_E_clISt17integral_constantIbLb0EES1O_IbLb1EEEEDaS1K_S1L_EUlS1K_E_NS1_11comp_targetILNS1_3genE8ELNS1_11target_archE1030ELNS1_3gpuE2ELNS1_3repE0EEENS1_30default_config_static_selectorELNS0_4arch9wavefront6targetE1EEEvSY_,comdat
	.globl	_ZN7rocprim17ROCPRIM_400000_NS6detail17trampoline_kernelINS0_13select_configILj256ELj13ELNS0_17block_load_methodE3ELS4_3ELS4_3ELNS0_20block_scan_algorithmE0ELj4294967295EEENS1_25partition_config_selectorILNS1_17partition_subalgoE3EjNS0_10empty_typeEbEEZZNS1_14partition_implILS8_3ELb0ES6_jNS0_17counting_iteratorIjlEEPS9_SE_NS0_5tupleIJPjSE_EEENSF_IJSE_SE_EEES9_SG_JZNS1_25segmented_radix_sort_implINS0_14default_configELb1EPKiPiPKlPlN2at6native12_GLOBAL__N_18offset_tEEE10hipError_tPvRmT1_PNSt15iterator_traitsISY_E10value_typeET2_T3_PNSZ_IS14_E10value_typeET4_jRbjT5_S1A_jjP12ihipStream_tbEUljE_EEESV_SW_SX_S14_S18_S1A_T6_T7_T9_mT8_S1C_bDpT10_ENKUlT_T0_E_clISt17integral_constantIbLb0EES1O_IbLb1EEEEDaS1K_S1L_EUlS1K_E_NS1_11comp_targetILNS1_3genE8ELNS1_11target_archE1030ELNS1_3gpuE2ELNS1_3repE0EEENS1_30default_config_static_selectorELNS0_4arch9wavefront6targetE1EEEvSY_ ; -- Begin function _ZN7rocprim17ROCPRIM_400000_NS6detail17trampoline_kernelINS0_13select_configILj256ELj13ELNS0_17block_load_methodE3ELS4_3ELS4_3ELNS0_20block_scan_algorithmE0ELj4294967295EEENS1_25partition_config_selectorILNS1_17partition_subalgoE3EjNS0_10empty_typeEbEEZZNS1_14partition_implILS8_3ELb0ES6_jNS0_17counting_iteratorIjlEEPS9_SE_NS0_5tupleIJPjSE_EEENSF_IJSE_SE_EEES9_SG_JZNS1_25segmented_radix_sort_implINS0_14default_configELb1EPKiPiPKlPlN2at6native12_GLOBAL__N_18offset_tEEE10hipError_tPvRmT1_PNSt15iterator_traitsISY_E10value_typeET2_T3_PNSZ_IS14_E10value_typeET4_jRbjT5_S1A_jjP12ihipStream_tbEUljE_EEESV_SW_SX_S14_S18_S1A_T6_T7_T9_mT8_S1C_bDpT10_ENKUlT_T0_E_clISt17integral_constantIbLb0EES1O_IbLb1EEEEDaS1K_S1L_EUlS1K_E_NS1_11comp_targetILNS1_3genE8ELNS1_11target_archE1030ELNS1_3gpuE2ELNS1_3repE0EEENS1_30default_config_static_selectorELNS0_4arch9wavefront6targetE1EEEvSY_
	.p2align	8
	.type	_ZN7rocprim17ROCPRIM_400000_NS6detail17trampoline_kernelINS0_13select_configILj256ELj13ELNS0_17block_load_methodE3ELS4_3ELS4_3ELNS0_20block_scan_algorithmE0ELj4294967295EEENS1_25partition_config_selectorILNS1_17partition_subalgoE3EjNS0_10empty_typeEbEEZZNS1_14partition_implILS8_3ELb0ES6_jNS0_17counting_iteratorIjlEEPS9_SE_NS0_5tupleIJPjSE_EEENSF_IJSE_SE_EEES9_SG_JZNS1_25segmented_radix_sort_implINS0_14default_configELb1EPKiPiPKlPlN2at6native12_GLOBAL__N_18offset_tEEE10hipError_tPvRmT1_PNSt15iterator_traitsISY_E10value_typeET2_T3_PNSZ_IS14_E10value_typeET4_jRbjT5_S1A_jjP12ihipStream_tbEUljE_EEESV_SW_SX_S14_S18_S1A_T6_T7_T9_mT8_S1C_bDpT10_ENKUlT_T0_E_clISt17integral_constantIbLb0EES1O_IbLb1EEEEDaS1K_S1L_EUlS1K_E_NS1_11comp_targetILNS1_3genE8ELNS1_11target_archE1030ELNS1_3gpuE2ELNS1_3repE0EEENS1_30default_config_static_selectorELNS0_4arch9wavefront6targetE1EEEvSY_,@function
_ZN7rocprim17ROCPRIM_400000_NS6detail17trampoline_kernelINS0_13select_configILj256ELj13ELNS0_17block_load_methodE3ELS4_3ELS4_3ELNS0_20block_scan_algorithmE0ELj4294967295EEENS1_25partition_config_selectorILNS1_17partition_subalgoE3EjNS0_10empty_typeEbEEZZNS1_14partition_implILS8_3ELb0ES6_jNS0_17counting_iteratorIjlEEPS9_SE_NS0_5tupleIJPjSE_EEENSF_IJSE_SE_EEES9_SG_JZNS1_25segmented_radix_sort_implINS0_14default_configELb1EPKiPiPKlPlN2at6native12_GLOBAL__N_18offset_tEEE10hipError_tPvRmT1_PNSt15iterator_traitsISY_E10value_typeET2_T3_PNSZ_IS14_E10value_typeET4_jRbjT5_S1A_jjP12ihipStream_tbEUljE_EEESV_SW_SX_S14_S18_S1A_T6_T7_T9_mT8_S1C_bDpT10_ENKUlT_T0_E_clISt17integral_constantIbLb0EES1O_IbLb1EEEEDaS1K_S1L_EUlS1K_E_NS1_11comp_targetILNS1_3genE8ELNS1_11target_archE1030ELNS1_3gpuE2ELNS1_3repE0EEENS1_30default_config_static_selectorELNS0_4arch9wavefront6targetE1EEEvSY_: ; @_ZN7rocprim17ROCPRIM_400000_NS6detail17trampoline_kernelINS0_13select_configILj256ELj13ELNS0_17block_load_methodE3ELS4_3ELS4_3ELNS0_20block_scan_algorithmE0ELj4294967295EEENS1_25partition_config_selectorILNS1_17partition_subalgoE3EjNS0_10empty_typeEbEEZZNS1_14partition_implILS8_3ELb0ES6_jNS0_17counting_iteratorIjlEEPS9_SE_NS0_5tupleIJPjSE_EEENSF_IJSE_SE_EEES9_SG_JZNS1_25segmented_radix_sort_implINS0_14default_configELb1EPKiPiPKlPlN2at6native12_GLOBAL__N_18offset_tEEE10hipError_tPvRmT1_PNSt15iterator_traitsISY_E10value_typeET2_T3_PNSZ_IS14_E10value_typeET4_jRbjT5_S1A_jjP12ihipStream_tbEUljE_EEESV_SW_SX_S14_S18_S1A_T6_T7_T9_mT8_S1C_bDpT10_ENKUlT_T0_E_clISt17integral_constantIbLb0EES1O_IbLb1EEEEDaS1K_S1L_EUlS1K_E_NS1_11comp_targetILNS1_3genE8ELNS1_11target_archE1030ELNS1_3gpuE2ELNS1_3repE0EEENS1_30default_config_static_selectorELNS0_4arch9wavefront6targetE1EEEvSY_
; %bb.0:
	.section	.rodata,"a",@progbits
	.p2align	6, 0x0
	.amdhsa_kernel _ZN7rocprim17ROCPRIM_400000_NS6detail17trampoline_kernelINS0_13select_configILj256ELj13ELNS0_17block_load_methodE3ELS4_3ELS4_3ELNS0_20block_scan_algorithmE0ELj4294967295EEENS1_25partition_config_selectorILNS1_17partition_subalgoE3EjNS0_10empty_typeEbEEZZNS1_14partition_implILS8_3ELb0ES6_jNS0_17counting_iteratorIjlEEPS9_SE_NS0_5tupleIJPjSE_EEENSF_IJSE_SE_EEES9_SG_JZNS1_25segmented_radix_sort_implINS0_14default_configELb1EPKiPiPKlPlN2at6native12_GLOBAL__N_18offset_tEEE10hipError_tPvRmT1_PNSt15iterator_traitsISY_E10value_typeET2_T3_PNSZ_IS14_E10value_typeET4_jRbjT5_S1A_jjP12ihipStream_tbEUljE_EEESV_SW_SX_S14_S18_S1A_T6_T7_T9_mT8_S1C_bDpT10_ENKUlT_T0_E_clISt17integral_constantIbLb0EES1O_IbLb1EEEEDaS1K_S1L_EUlS1K_E_NS1_11comp_targetILNS1_3genE8ELNS1_11target_archE1030ELNS1_3gpuE2ELNS1_3repE0EEENS1_30default_config_static_selectorELNS0_4arch9wavefront6targetE1EEEvSY_
		.amdhsa_group_segment_fixed_size 0
		.amdhsa_private_segment_fixed_size 0
		.amdhsa_kernarg_size 152
		.amdhsa_user_sgpr_count 6
		.amdhsa_user_sgpr_private_segment_buffer 1
		.amdhsa_user_sgpr_dispatch_ptr 0
		.amdhsa_user_sgpr_queue_ptr 0
		.amdhsa_user_sgpr_kernarg_segment_ptr 1
		.amdhsa_user_sgpr_dispatch_id 0
		.amdhsa_user_sgpr_flat_scratch_init 0
		.amdhsa_user_sgpr_private_segment_size 0
		.amdhsa_uses_dynamic_stack 0
		.amdhsa_system_sgpr_private_segment_wavefront_offset 0
		.amdhsa_system_sgpr_workgroup_id_x 1
		.amdhsa_system_sgpr_workgroup_id_y 0
		.amdhsa_system_sgpr_workgroup_id_z 0
		.amdhsa_system_sgpr_workgroup_info 0
		.amdhsa_system_vgpr_workitem_id 0
		.amdhsa_next_free_vgpr 1
		.amdhsa_next_free_sgpr 0
		.amdhsa_reserve_vcc 0
		.amdhsa_reserve_flat_scratch 0
		.amdhsa_float_round_mode_32 0
		.amdhsa_float_round_mode_16_64 0
		.amdhsa_float_denorm_mode_32 3
		.amdhsa_float_denorm_mode_16_64 3
		.amdhsa_dx10_clamp 1
		.amdhsa_ieee_mode 1
		.amdhsa_fp16_overflow 0
		.amdhsa_exception_fp_ieee_invalid_op 0
		.amdhsa_exception_fp_denorm_src 0
		.amdhsa_exception_fp_ieee_div_zero 0
		.amdhsa_exception_fp_ieee_overflow 0
		.amdhsa_exception_fp_ieee_underflow 0
		.amdhsa_exception_fp_ieee_inexact 0
		.amdhsa_exception_int_div_zero 0
	.end_amdhsa_kernel
	.section	.text._ZN7rocprim17ROCPRIM_400000_NS6detail17trampoline_kernelINS0_13select_configILj256ELj13ELNS0_17block_load_methodE3ELS4_3ELS4_3ELNS0_20block_scan_algorithmE0ELj4294967295EEENS1_25partition_config_selectorILNS1_17partition_subalgoE3EjNS0_10empty_typeEbEEZZNS1_14partition_implILS8_3ELb0ES6_jNS0_17counting_iteratorIjlEEPS9_SE_NS0_5tupleIJPjSE_EEENSF_IJSE_SE_EEES9_SG_JZNS1_25segmented_radix_sort_implINS0_14default_configELb1EPKiPiPKlPlN2at6native12_GLOBAL__N_18offset_tEEE10hipError_tPvRmT1_PNSt15iterator_traitsISY_E10value_typeET2_T3_PNSZ_IS14_E10value_typeET4_jRbjT5_S1A_jjP12ihipStream_tbEUljE_EEESV_SW_SX_S14_S18_S1A_T6_T7_T9_mT8_S1C_bDpT10_ENKUlT_T0_E_clISt17integral_constantIbLb0EES1O_IbLb1EEEEDaS1K_S1L_EUlS1K_E_NS1_11comp_targetILNS1_3genE8ELNS1_11target_archE1030ELNS1_3gpuE2ELNS1_3repE0EEENS1_30default_config_static_selectorELNS0_4arch9wavefront6targetE1EEEvSY_,"axG",@progbits,_ZN7rocprim17ROCPRIM_400000_NS6detail17trampoline_kernelINS0_13select_configILj256ELj13ELNS0_17block_load_methodE3ELS4_3ELS4_3ELNS0_20block_scan_algorithmE0ELj4294967295EEENS1_25partition_config_selectorILNS1_17partition_subalgoE3EjNS0_10empty_typeEbEEZZNS1_14partition_implILS8_3ELb0ES6_jNS0_17counting_iteratorIjlEEPS9_SE_NS0_5tupleIJPjSE_EEENSF_IJSE_SE_EEES9_SG_JZNS1_25segmented_radix_sort_implINS0_14default_configELb1EPKiPiPKlPlN2at6native12_GLOBAL__N_18offset_tEEE10hipError_tPvRmT1_PNSt15iterator_traitsISY_E10value_typeET2_T3_PNSZ_IS14_E10value_typeET4_jRbjT5_S1A_jjP12ihipStream_tbEUljE_EEESV_SW_SX_S14_S18_S1A_T6_T7_T9_mT8_S1C_bDpT10_ENKUlT_T0_E_clISt17integral_constantIbLb0EES1O_IbLb1EEEEDaS1K_S1L_EUlS1K_E_NS1_11comp_targetILNS1_3genE8ELNS1_11target_archE1030ELNS1_3gpuE2ELNS1_3repE0EEENS1_30default_config_static_selectorELNS0_4arch9wavefront6targetE1EEEvSY_,comdat
.Lfunc_end496:
	.size	_ZN7rocprim17ROCPRIM_400000_NS6detail17trampoline_kernelINS0_13select_configILj256ELj13ELNS0_17block_load_methodE3ELS4_3ELS4_3ELNS0_20block_scan_algorithmE0ELj4294967295EEENS1_25partition_config_selectorILNS1_17partition_subalgoE3EjNS0_10empty_typeEbEEZZNS1_14partition_implILS8_3ELb0ES6_jNS0_17counting_iteratorIjlEEPS9_SE_NS0_5tupleIJPjSE_EEENSF_IJSE_SE_EEES9_SG_JZNS1_25segmented_radix_sort_implINS0_14default_configELb1EPKiPiPKlPlN2at6native12_GLOBAL__N_18offset_tEEE10hipError_tPvRmT1_PNSt15iterator_traitsISY_E10value_typeET2_T3_PNSZ_IS14_E10value_typeET4_jRbjT5_S1A_jjP12ihipStream_tbEUljE_EEESV_SW_SX_S14_S18_S1A_T6_T7_T9_mT8_S1C_bDpT10_ENKUlT_T0_E_clISt17integral_constantIbLb0EES1O_IbLb1EEEEDaS1K_S1L_EUlS1K_E_NS1_11comp_targetILNS1_3genE8ELNS1_11target_archE1030ELNS1_3gpuE2ELNS1_3repE0EEENS1_30default_config_static_selectorELNS0_4arch9wavefront6targetE1EEEvSY_, .Lfunc_end496-_ZN7rocprim17ROCPRIM_400000_NS6detail17trampoline_kernelINS0_13select_configILj256ELj13ELNS0_17block_load_methodE3ELS4_3ELS4_3ELNS0_20block_scan_algorithmE0ELj4294967295EEENS1_25partition_config_selectorILNS1_17partition_subalgoE3EjNS0_10empty_typeEbEEZZNS1_14partition_implILS8_3ELb0ES6_jNS0_17counting_iteratorIjlEEPS9_SE_NS0_5tupleIJPjSE_EEENSF_IJSE_SE_EEES9_SG_JZNS1_25segmented_radix_sort_implINS0_14default_configELb1EPKiPiPKlPlN2at6native12_GLOBAL__N_18offset_tEEE10hipError_tPvRmT1_PNSt15iterator_traitsISY_E10value_typeET2_T3_PNSZ_IS14_E10value_typeET4_jRbjT5_S1A_jjP12ihipStream_tbEUljE_EEESV_SW_SX_S14_S18_S1A_T6_T7_T9_mT8_S1C_bDpT10_ENKUlT_T0_E_clISt17integral_constantIbLb0EES1O_IbLb1EEEEDaS1K_S1L_EUlS1K_E_NS1_11comp_targetILNS1_3genE8ELNS1_11target_archE1030ELNS1_3gpuE2ELNS1_3repE0EEENS1_30default_config_static_selectorELNS0_4arch9wavefront6targetE1EEEvSY_
                                        ; -- End function
	.set _ZN7rocprim17ROCPRIM_400000_NS6detail17trampoline_kernelINS0_13select_configILj256ELj13ELNS0_17block_load_methodE3ELS4_3ELS4_3ELNS0_20block_scan_algorithmE0ELj4294967295EEENS1_25partition_config_selectorILNS1_17partition_subalgoE3EjNS0_10empty_typeEbEEZZNS1_14partition_implILS8_3ELb0ES6_jNS0_17counting_iteratorIjlEEPS9_SE_NS0_5tupleIJPjSE_EEENSF_IJSE_SE_EEES9_SG_JZNS1_25segmented_radix_sort_implINS0_14default_configELb1EPKiPiPKlPlN2at6native12_GLOBAL__N_18offset_tEEE10hipError_tPvRmT1_PNSt15iterator_traitsISY_E10value_typeET2_T3_PNSZ_IS14_E10value_typeET4_jRbjT5_S1A_jjP12ihipStream_tbEUljE_EEESV_SW_SX_S14_S18_S1A_T6_T7_T9_mT8_S1C_bDpT10_ENKUlT_T0_E_clISt17integral_constantIbLb0EES1O_IbLb1EEEEDaS1K_S1L_EUlS1K_E_NS1_11comp_targetILNS1_3genE8ELNS1_11target_archE1030ELNS1_3gpuE2ELNS1_3repE0EEENS1_30default_config_static_selectorELNS0_4arch9wavefront6targetE1EEEvSY_.num_vgpr, 0
	.set _ZN7rocprim17ROCPRIM_400000_NS6detail17trampoline_kernelINS0_13select_configILj256ELj13ELNS0_17block_load_methodE3ELS4_3ELS4_3ELNS0_20block_scan_algorithmE0ELj4294967295EEENS1_25partition_config_selectorILNS1_17partition_subalgoE3EjNS0_10empty_typeEbEEZZNS1_14partition_implILS8_3ELb0ES6_jNS0_17counting_iteratorIjlEEPS9_SE_NS0_5tupleIJPjSE_EEENSF_IJSE_SE_EEES9_SG_JZNS1_25segmented_radix_sort_implINS0_14default_configELb1EPKiPiPKlPlN2at6native12_GLOBAL__N_18offset_tEEE10hipError_tPvRmT1_PNSt15iterator_traitsISY_E10value_typeET2_T3_PNSZ_IS14_E10value_typeET4_jRbjT5_S1A_jjP12ihipStream_tbEUljE_EEESV_SW_SX_S14_S18_S1A_T6_T7_T9_mT8_S1C_bDpT10_ENKUlT_T0_E_clISt17integral_constantIbLb0EES1O_IbLb1EEEEDaS1K_S1L_EUlS1K_E_NS1_11comp_targetILNS1_3genE8ELNS1_11target_archE1030ELNS1_3gpuE2ELNS1_3repE0EEENS1_30default_config_static_selectorELNS0_4arch9wavefront6targetE1EEEvSY_.num_agpr, 0
	.set _ZN7rocprim17ROCPRIM_400000_NS6detail17trampoline_kernelINS0_13select_configILj256ELj13ELNS0_17block_load_methodE3ELS4_3ELS4_3ELNS0_20block_scan_algorithmE0ELj4294967295EEENS1_25partition_config_selectorILNS1_17partition_subalgoE3EjNS0_10empty_typeEbEEZZNS1_14partition_implILS8_3ELb0ES6_jNS0_17counting_iteratorIjlEEPS9_SE_NS0_5tupleIJPjSE_EEENSF_IJSE_SE_EEES9_SG_JZNS1_25segmented_radix_sort_implINS0_14default_configELb1EPKiPiPKlPlN2at6native12_GLOBAL__N_18offset_tEEE10hipError_tPvRmT1_PNSt15iterator_traitsISY_E10value_typeET2_T3_PNSZ_IS14_E10value_typeET4_jRbjT5_S1A_jjP12ihipStream_tbEUljE_EEESV_SW_SX_S14_S18_S1A_T6_T7_T9_mT8_S1C_bDpT10_ENKUlT_T0_E_clISt17integral_constantIbLb0EES1O_IbLb1EEEEDaS1K_S1L_EUlS1K_E_NS1_11comp_targetILNS1_3genE8ELNS1_11target_archE1030ELNS1_3gpuE2ELNS1_3repE0EEENS1_30default_config_static_selectorELNS0_4arch9wavefront6targetE1EEEvSY_.numbered_sgpr, 0
	.set _ZN7rocprim17ROCPRIM_400000_NS6detail17trampoline_kernelINS0_13select_configILj256ELj13ELNS0_17block_load_methodE3ELS4_3ELS4_3ELNS0_20block_scan_algorithmE0ELj4294967295EEENS1_25partition_config_selectorILNS1_17partition_subalgoE3EjNS0_10empty_typeEbEEZZNS1_14partition_implILS8_3ELb0ES6_jNS0_17counting_iteratorIjlEEPS9_SE_NS0_5tupleIJPjSE_EEENSF_IJSE_SE_EEES9_SG_JZNS1_25segmented_radix_sort_implINS0_14default_configELb1EPKiPiPKlPlN2at6native12_GLOBAL__N_18offset_tEEE10hipError_tPvRmT1_PNSt15iterator_traitsISY_E10value_typeET2_T3_PNSZ_IS14_E10value_typeET4_jRbjT5_S1A_jjP12ihipStream_tbEUljE_EEESV_SW_SX_S14_S18_S1A_T6_T7_T9_mT8_S1C_bDpT10_ENKUlT_T0_E_clISt17integral_constantIbLb0EES1O_IbLb1EEEEDaS1K_S1L_EUlS1K_E_NS1_11comp_targetILNS1_3genE8ELNS1_11target_archE1030ELNS1_3gpuE2ELNS1_3repE0EEENS1_30default_config_static_selectorELNS0_4arch9wavefront6targetE1EEEvSY_.num_named_barrier, 0
	.set _ZN7rocprim17ROCPRIM_400000_NS6detail17trampoline_kernelINS0_13select_configILj256ELj13ELNS0_17block_load_methodE3ELS4_3ELS4_3ELNS0_20block_scan_algorithmE0ELj4294967295EEENS1_25partition_config_selectorILNS1_17partition_subalgoE3EjNS0_10empty_typeEbEEZZNS1_14partition_implILS8_3ELb0ES6_jNS0_17counting_iteratorIjlEEPS9_SE_NS0_5tupleIJPjSE_EEENSF_IJSE_SE_EEES9_SG_JZNS1_25segmented_radix_sort_implINS0_14default_configELb1EPKiPiPKlPlN2at6native12_GLOBAL__N_18offset_tEEE10hipError_tPvRmT1_PNSt15iterator_traitsISY_E10value_typeET2_T3_PNSZ_IS14_E10value_typeET4_jRbjT5_S1A_jjP12ihipStream_tbEUljE_EEESV_SW_SX_S14_S18_S1A_T6_T7_T9_mT8_S1C_bDpT10_ENKUlT_T0_E_clISt17integral_constantIbLb0EES1O_IbLb1EEEEDaS1K_S1L_EUlS1K_E_NS1_11comp_targetILNS1_3genE8ELNS1_11target_archE1030ELNS1_3gpuE2ELNS1_3repE0EEENS1_30default_config_static_selectorELNS0_4arch9wavefront6targetE1EEEvSY_.private_seg_size, 0
	.set _ZN7rocprim17ROCPRIM_400000_NS6detail17trampoline_kernelINS0_13select_configILj256ELj13ELNS0_17block_load_methodE3ELS4_3ELS4_3ELNS0_20block_scan_algorithmE0ELj4294967295EEENS1_25partition_config_selectorILNS1_17partition_subalgoE3EjNS0_10empty_typeEbEEZZNS1_14partition_implILS8_3ELb0ES6_jNS0_17counting_iteratorIjlEEPS9_SE_NS0_5tupleIJPjSE_EEENSF_IJSE_SE_EEES9_SG_JZNS1_25segmented_radix_sort_implINS0_14default_configELb1EPKiPiPKlPlN2at6native12_GLOBAL__N_18offset_tEEE10hipError_tPvRmT1_PNSt15iterator_traitsISY_E10value_typeET2_T3_PNSZ_IS14_E10value_typeET4_jRbjT5_S1A_jjP12ihipStream_tbEUljE_EEESV_SW_SX_S14_S18_S1A_T6_T7_T9_mT8_S1C_bDpT10_ENKUlT_T0_E_clISt17integral_constantIbLb0EES1O_IbLb1EEEEDaS1K_S1L_EUlS1K_E_NS1_11comp_targetILNS1_3genE8ELNS1_11target_archE1030ELNS1_3gpuE2ELNS1_3repE0EEENS1_30default_config_static_selectorELNS0_4arch9wavefront6targetE1EEEvSY_.uses_vcc, 0
	.set _ZN7rocprim17ROCPRIM_400000_NS6detail17trampoline_kernelINS0_13select_configILj256ELj13ELNS0_17block_load_methodE3ELS4_3ELS4_3ELNS0_20block_scan_algorithmE0ELj4294967295EEENS1_25partition_config_selectorILNS1_17partition_subalgoE3EjNS0_10empty_typeEbEEZZNS1_14partition_implILS8_3ELb0ES6_jNS0_17counting_iteratorIjlEEPS9_SE_NS0_5tupleIJPjSE_EEENSF_IJSE_SE_EEES9_SG_JZNS1_25segmented_radix_sort_implINS0_14default_configELb1EPKiPiPKlPlN2at6native12_GLOBAL__N_18offset_tEEE10hipError_tPvRmT1_PNSt15iterator_traitsISY_E10value_typeET2_T3_PNSZ_IS14_E10value_typeET4_jRbjT5_S1A_jjP12ihipStream_tbEUljE_EEESV_SW_SX_S14_S18_S1A_T6_T7_T9_mT8_S1C_bDpT10_ENKUlT_T0_E_clISt17integral_constantIbLb0EES1O_IbLb1EEEEDaS1K_S1L_EUlS1K_E_NS1_11comp_targetILNS1_3genE8ELNS1_11target_archE1030ELNS1_3gpuE2ELNS1_3repE0EEENS1_30default_config_static_selectorELNS0_4arch9wavefront6targetE1EEEvSY_.uses_flat_scratch, 0
	.set _ZN7rocprim17ROCPRIM_400000_NS6detail17trampoline_kernelINS0_13select_configILj256ELj13ELNS0_17block_load_methodE3ELS4_3ELS4_3ELNS0_20block_scan_algorithmE0ELj4294967295EEENS1_25partition_config_selectorILNS1_17partition_subalgoE3EjNS0_10empty_typeEbEEZZNS1_14partition_implILS8_3ELb0ES6_jNS0_17counting_iteratorIjlEEPS9_SE_NS0_5tupleIJPjSE_EEENSF_IJSE_SE_EEES9_SG_JZNS1_25segmented_radix_sort_implINS0_14default_configELb1EPKiPiPKlPlN2at6native12_GLOBAL__N_18offset_tEEE10hipError_tPvRmT1_PNSt15iterator_traitsISY_E10value_typeET2_T3_PNSZ_IS14_E10value_typeET4_jRbjT5_S1A_jjP12ihipStream_tbEUljE_EEESV_SW_SX_S14_S18_S1A_T6_T7_T9_mT8_S1C_bDpT10_ENKUlT_T0_E_clISt17integral_constantIbLb0EES1O_IbLb1EEEEDaS1K_S1L_EUlS1K_E_NS1_11comp_targetILNS1_3genE8ELNS1_11target_archE1030ELNS1_3gpuE2ELNS1_3repE0EEENS1_30default_config_static_selectorELNS0_4arch9wavefront6targetE1EEEvSY_.has_dyn_sized_stack, 0
	.set _ZN7rocprim17ROCPRIM_400000_NS6detail17trampoline_kernelINS0_13select_configILj256ELj13ELNS0_17block_load_methodE3ELS4_3ELS4_3ELNS0_20block_scan_algorithmE0ELj4294967295EEENS1_25partition_config_selectorILNS1_17partition_subalgoE3EjNS0_10empty_typeEbEEZZNS1_14partition_implILS8_3ELb0ES6_jNS0_17counting_iteratorIjlEEPS9_SE_NS0_5tupleIJPjSE_EEENSF_IJSE_SE_EEES9_SG_JZNS1_25segmented_radix_sort_implINS0_14default_configELb1EPKiPiPKlPlN2at6native12_GLOBAL__N_18offset_tEEE10hipError_tPvRmT1_PNSt15iterator_traitsISY_E10value_typeET2_T3_PNSZ_IS14_E10value_typeET4_jRbjT5_S1A_jjP12ihipStream_tbEUljE_EEESV_SW_SX_S14_S18_S1A_T6_T7_T9_mT8_S1C_bDpT10_ENKUlT_T0_E_clISt17integral_constantIbLb0EES1O_IbLb1EEEEDaS1K_S1L_EUlS1K_E_NS1_11comp_targetILNS1_3genE8ELNS1_11target_archE1030ELNS1_3gpuE2ELNS1_3repE0EEENS1_30default_config_static_selectorELNS0_4arch9wavefront6targetE1EEEvSY_.has_recursion, 0
	.set _ZN7rocprim17ROCPRIM_400000_NS6detail17trampoline_kernelINS0_13select_configILj256ELj13ELNS0_17block_load_methodE3ELS4_3ELS4_3ELNS0_20block_scan_algorithmE0ELj4294967295EEENS1_25partition_config_selectorILNS1_17partition_subalgoE3EjNS0_10empty_typeEbEEZZNS1_14partition_implILS8_3ELb0ES6_jNS0_17counting_iteratorIjlEEPS9_SE_NS0_5tupleIJPjSE_EEENSF_IJSE_SE_EEES9_SG_JZNS1_25segmented_radix_sort_implINS0_14default_configELb1EPKiPiPKlPlN2at6native12_GLOBAL__N_18offset_tEEE10hipError_tPvRmT1_PNSt15iterator_traitsISY_E10value_typeET2_T3_PNSZ_IS14_E10value_typeET4_jRbjT5_S1A_jjP12ihipStream_tbEUljE_EEESV_SW_SX_S14_S18_S1A_T6_T7_T9_mT8_S1C_bDpT10_ENKUlT_T0_E_clISt17integral_constantIbLb0EES1O_IbLb1EEEEDaS1K_S1L_EUlS1K_E_NS1_11comp_targetILNS1_3genE8ELNS1_11target_archE1030ELNS1_3gpuE2ELNS1_3repE0EEENS1_30default_config_static_selectorELNS0_4arch9wavefront6targetE1EEEvSY_.has_indirect_call, 0
	.section	.AMDGPU.csdata,"",@progbits
; Kernel info:
; codeLenInByte = 0
; TotalNumSgprs: 4
; NumVgprs: 0
; ScratchSize: 0
; MemoryBound: 0
; FloatMode: 240
; IeeeMode: 1
; LDSByteSize: 0 bytes/workgroup (compile time only)
; SGPRBlocks: 0
; VGPRBlocks: 0
; NumSGPRsForWavesPerEU: 4
; NumVGPRsForWavesPerEU: 1
; Occupancy: 10
; WaveLimiterHint : 0
; COMPUTE_PGM_RSRC2:SCRATCH_EN: 0
; COMPUTE_PGM_RSRC2:USER_SGPR: 6
; COMPUTE_PGM_RSRC2:TRAP_HANDLER: 0
; COMPUTE_PGM_RSRC2:TGID_X_EN: 1
; COMPUTE_PGM_RSRC2:TGID_Y_EN: 0
; COMPUTE_PGM_RSRC2:TGID_Z_EN: 0
; COMPUTE_PGM_RSRC2:TIDIG_COMP_CNT: 0
	.section	.text._ZN7rocprim17ROCPRIM_400000_NS6detail17trampoline_kernelINS0_14default_configENS1_36segmented_radix_sort_config_selectorIilEEZNS1_25segmented_radix_sort_implIS3_Lb1EPKiPiPKlPlN2at6native12_GLOBAL__N_18offset_tEEE10hipError_tPvRmT1_PNSt15iterator_traitsISK_E10value_typeET2_T3_PNSL_ISQ_E10value_typeET4_jRbjT5_SW_jjP12ihipStream_tbEUlT_E_NS1_11comp_targetILNS1_3genE0ELNS1_11target_archE4294967295ELNS1_3gpuE0ELNS1_3repE0EEENS1_30default_config_static_selectorELNS0_4arch9wavefront6targetE1EEEvSK_,"axG",@progbits,_ZN7rocprim17ROCPRIM_400000_NS6detail17trampoline_kernelINS0_14default_configENS1_36segmented_radix_sort_config_selectorIilEEZNS1_25segmented_radix_sort_implIS3_Lb1EPKiPiPKlPlN2at6native12_GLOBAL__N_18offset_tEEE10hipError_tPvRmT1_PNSt15iterator_traitsISK_E10value_typeET2_T3_PNSL_ISQ_E10value_typeET4_jRbjT5_SW_jjP12ihipStream_tbEUlT_E_NS1_11comp_targetILNS1_3genE0ELNS1_11target_archE4294967295ELNS1_3gpuE0ELNS1_3repE0EEENS1_30default_config_static_selectorELNS0_4arch9wavefront6targetE1EEEvSK_,comdat
	.globl	_ZN7rocprim17ROCPRIM_400000_NS6detail17trampoline_kernelINS0_14default_configENS1_36segmented_radix_sort_config_selectorIilEEZNS1_25segmented_radix_sort_implIS3_Lb1EPKiPiPKlPlN2at6native12_GLOBAL__N_18offset_tEEE10hipError_tPvRmT1_PNSt15iterator_traitsISK_E10value_typeET2_T3_PNSL_ISQ_E10value_typeET4_jRbjT5_SW_jjP12ihipStream_tbEUlT_E_NS1_11comp_targetILNS1_3genE0ELNS1_11target_archE4294967295ELNS1_3gpuE0ELNS1_3repE0EEENS1_30default_config_static_selectorELNS0_4arch9wavefront6targetE1EEEvSK_ ; -- Begin function _ZN7rocprim17ROCPRIM_400000_NS6detail17trampoline_kernelINS0_14default_configENS1_36segmented_radix_sort_config_selectorIilEEZNS1_25segmented_radix_sort_implIS3_Lb1EPKiPiPKlPlN2at6native12_GLOBAL__N_18offset_tEEE10hipError_tPvRmT1_PNSt15iterator_traitsISK_E10value_typeET2_T3_PNSL_ISQ_E10value_typeET4_jRbjT5_SW_jjP12ihipStream_tbEUlT_E_NS1_11comp_targetILNS1_3genE0ELNS1_11target_archE4294967295ELNS1_3gpuE0ELNS1_3repE0EEENS1_30default_config_static_selectorELNS0_4arch9wavefront6targetE1EEEvSK_
	.p2align	8
	.type	_ZN7rocprim17ROCPRIM_400000_NS6detail17trampoline_kernelINS0_14default_configENS1_36segmented_radix_sort_config_selectorIilEEZNS1_25segmented_radix_sort_implIS3_Lb1EPKiPiPKlPlN2at6native12_GLOBAL__N_18offset_tEEE10hipError_tPvRmT1_PNSt15iterator_traitsISK_E10value_typeET2_T3_PNSL_ISQ_E10value_typeET4_jRbjT5_SW_jjP12ihipStream_tbEUlT_E_NS1_11comp_targetILNS1_3genE0ELNS1_11target_archE4294967295ELNS1_3gpuE0ELNS1_3repE0EEENS1_30default_config_static_selectorELNS0_4arch9wavefront6targetE1EEEvSK_,@function
_ZN7rocprim17ROCPRIM_400000_NS6detail17trampoline_kernelINS0_14default_configENS1_36segmented_radix_sort_config_selectorIilEEZNS1_25segmented_radix_sort_implIS3_Lb1EPKiPiPKlPlN2at6native12_GLOBAL__N_18offset_tEEE10hipError_tPvRmT1_PNSt15iterator_traitsISK_E10value_typeET2_T3_PNSL_ISQ_E10value_typeET4_jRbjT5_SW_jjP12ihipStream_tbEUlT_E_NS1_11comp_targetILNS1_3genE0ELNS1_11target_archE4294967295ELNS1_3gpuE0ELNS1_3repE0EEENS1_30default_config_static_selectorELNS0_4arch9wavefront6targetE1EEEvSK_: ; @_ZN7rocprim17ROCPRIM_400000_NS6detail17trampoline_kernelINS0_14default_configENS1_36segmented_radix_sort_config_selectorIilEEZNS1_25segmented_radix_sort_implIS3_Lb1EPKiPiPKlPlN2at6native12_GLOBAL__N_18offset_tEEE10hipError_tPvRmT1_PNSt15iterator_traitsISK_E10value_typeET2_T3_PNSL_ISQ_E10value_typeET4_jRbjT5_SW_jjP12ihipStream_tbEUlT_E_NS1_11comp_targetILNS1_3genE0ELNS1_11target_archE4294967295ELNS1_3gpuE0ELNS1_3repE0EEENS1_30default_config_static_selectorELNS0_4arch9wavefront6targetE1EEEvSK_
; %bb.0:
	.section	.rodata,"a",@progbits
	.p2align	6, 0x0
	.amdhsa_kernel _ZN7rocprim17ROCPRIM_400000_NS6detail17trampoline_kernelINS0_14default_configENS1_36segmented_radix_sort_config_selectorIilEEZNS1_25segmented_radix_sort_implIS3_Lb1EPKiPiPKlPlN2at6native12_GLOBAL__N_18offset_tEEE10hipError_tPvRmT1_PNSt15iterator_traitsISK_E10value_typeET2_T3_PNSL_ISQ_E10value_typeET4_jRbjT5_SW_jjP12ihipStream_tbEUlT_E_NS1_11comp_targetILNS1_3genE0ELNS1_11target_archE4294967295ELNS1_3gpuE0ELNS1_3repE0EEENS1_30default_config_static_selectorELNS0_4arch9wavefront6targetE1EEEvSK_
		.amdhsa_group_segment_fixed_size 0
		.amdhsa_private_segment_fixed_size 0
		.amdhsa_kernarg_size 96
		.amdhsa_user_sgpr_count 6
		.amdhsa_user_sgpr_private_segment_buffer 1
		.amdhsa_user_sgpr_dispatch_ptr 0
		.amdhsa_user_sgpr_queue_ptr 0
		.amdhsa_user_sgpr_kernarg_segment_ptr 1
		.amdhsa_user_sgpr_dispatch_id 0
		.amdhsa_user_sgpr_flat_scratch_init 0
		.amdhsa_user_sgpr_private_segment_size 0
		.amdhsa_uses_dynamic_stack 0
		.amdhsa_system_sgpr_private_segment_wavefront_offset 0
		.amdhsa_system_sgpr_workgroup_id_x 1
		.amdhsa_system_sgpr_workgroup_id_y 0
		.amdhsa_system_sgpr_workgroup_id_z 0
		.amdhsa_system_sgpr_workgroup_info 0
		.amdhsa_system_vgpr_workitem_id 0
		.amdhsa_next_free_vgpr 1
		.amdhsa_next_free_sgpr 0
		.amdhsa_reserve_vcc 0
		.amdhsa_reserve_flat_scratch 0
		.amdhsa_float_round_mode_32 0
		.amdhsa_float_round_mode_16_64 0
		.amdhsa_float_denorm_mode_32 3
		.amdhsa_float_denorm_mode_16_64 3
		.amdhsa_dx10_clamp 1
		.amdhsa_ieee_mode 1
		.amdhsa_fp16_overflow 0
		.amdhsa_exception_fp_ieee_invalid_op 0
		.amdhsa_exception_fp_denorm_src 0
		.amdhsa_exception_fp_ieee_div_zero 0
		.amdhsa_exception_fp_ieee_overflow 0
		.amdhsa_exception_fp_ieee_underflow 0
		.amdhsa_exception_fp_ieee_inexact 0
		.amdhsa_exception_int_div_zero 0
	.end_amdhsa_kernel
	.section	.text._ZN7rocprim17ROCPRIM_400000_NS6detail17trampoline_kernelINS0_14default_configENS1_36segmented_radix_sort_config_selectorIilEEZNS1_25segmented_radix_sort_implIS3_Lb1EPKiPiPKlPlN2at6native12_GLOBAL__N_18offset_tEEE10hipError_tPvRmT1_PNSt15iterator_traitsISK_E10value_typeET2_T3_PNSL_ISQ_E10value_typeET4_jRbjT5_SW_jjP12ihipStream_tbEUlT_E_NS1_11comp_targetILNS1_3genE0ELNS1_11target_archE4294967295ELNS1_3gpuE0ELNS1_3repE0EEENS1_30default_config_static_selectorELNS0_4arch9wavefront6targetE1EEEvSK_,"axG",@progbits,_ZN7rocprim17ROCPRIM_400000_NS6detail17trampoline_kernelINS0_14default_configENS1_36segmented_radix_sort_config_selectorIilEEZNS1_25segmented_radix_sort_implIS3_Lb1EPKiPiPKlPlN2at6native12_GLOBAL__N_18offset_tEEE10hipError_tPvRmT1_PNSt15iterator_traitsISK_E10value_typeET2_T3_PNSL_ISQ_E10value_typeET4_jRbjT5_SW_jjP12ihipStream_tbEUlT_E_NS1_11comp_targetILNS1_3genE0ELNS1_11target_archE4294967295ELNS1_3gpuE0ELNS1_3repE0EEENS1_30default_config_static_selectorELNS0_4arch9wavefront6targetE1EEEvSK_,comdat
.Lfunc_end497:
	.size	_ZN7rocprim17ROCPRIM_400000_NS6detail17trampoline_kernelINS0_14default_configENS1_36segmented_radix_sort_config_selectorIilEEZNS1_25segmented_radix_sort_implIS3_Lb1EPKiPiPKlPlN2at6native12_GLOBAL__N_18offset_tEEE10hipError_tPvRmT1_PNSt15iterator_traitsISK_E10value_typeET2_T3_PNSL_ISQ_E10value_typeET4_jRbjT5_SW_jjP12ihipStream_tbEUlT_E_NS1_11comp_targetILNS1_3genE0ELNS1_11target_archE4294967295ELNS1_3gpuE0ELNS1_3repE0EEENS1_30default_config_static_selectorELNS0_4arch9wavefront6targetE1EEEvSK_, .Lfunc_end497-_ZN7rocprim17ROCPRIM_400000_NS6detail17trampoline_kernelINS0_14default_configENS1_36segmented_radix_sort_config_selectorIilEEZNS1_25segmented_radix_sort_implIS3_Lb1EPKiPiPKlPlN2at6native12_GLOBAL__N_18offset_tEEE10hipError_tPvRmT1_PNSt15iterator_traitsISK_E10value_typeET2_T3_PNSL_ISQ_E10value_typeET4_jRbjT5_SW_jjP12ihipStream_tbEUlT_E_NS1_11comp_targetILNS1_3genE0ELNS1_11target_archE4294967295ELNS1_3gpuE0ELNS1_3repE0EEENS1_30default_config_static_selectorELNS0_4arch9wavefront6targetE1EEEvSK_
                                        ; -- End function
	.set _ZN7rocprim17ROCPRIM_400000_NS6detail17trampoline_kernelINS0_14default_configENS1_36segmented_radix_sort_config_selectorIilEEZNS1_25segmented_radix_sort_implIS3_Lb1EPKiPiPKlPlN2at6native12_GLOBAL__N_18offset_tEEE10hipError_tPvRmT1_PNSt15iterator_traitsISK_E10value_typeET2_T3_PNSL_ISQ_E10value_typeET4_jRbjT5_SW_jjP12ihipStream_tbEUlT_E_NS1_11comp_targetILNS1_3genE0ELNS1_11target_archE4294967295ELNS1_3gpuE0ELNS1_3repE0EEENS1_30default_config_static_selectorELNS0_4arch9wavefront6targetE1EEEvSK_.num_vgpr, 0
	.set _ZN7rocprim17ROCPRIM_400000_NS6detail17trampoline_kernelINS0_14default_configENS1_36segmented_radix_sort_config_selectorIilEEZNS1_25segmented_radix_sort_implIS3_Lb1EPKiPiPKlPlN2at6native12_GLOBAL__N_18offset_tEEE10hipError_tPvRmT1_PNSt15iterator_traitsISK_E10value_typeET2_T3_PNSL_ISQ_E10value_typeET4_jRbjT5_SW_jjP12ihipStream_tbEUlT_E_NS1_11comp_targetILNS1_3genE0ELNS1_11target_archE4294967295ELNS1_3gpuE0ELNS1_3repE0EEENS1_30default_config_static_selectorELNS0_4arch9wavefront6targetE1EEEvSK_.num_agpr, 0
	.set _ZN7rocprim17ROCPRIM_400000_NS6detail17trampoline_kernelINS0_14default_configENS1_36segmented_radix_sort_config_selectorIilEEZNS1_25segmented_radix_sort_implIS3_Lb1EPKiPiPKlPlN2at6native12_GLOBAL__N_18offset_tEEE10hipError_tPvRmT1_PNSt15iterator_traitsISK_E10value_typeET2_T3_PNSL_ISQ_E10value_typeET4_jRbjT5_SW_jjP12ihipStream_tbEUlT_E_NS1_11comp_targetILNS1_3genE0ELNS1_11target_archE4294967295ELNS1_3gpuE0ELNS1_3repE0EEENS1_30default_config_static_selectorELNS0_4arch9wavefront6targetE1EEEvSK_.numbered_sgpr, 0
	.set _ZN7rocprim17ROCPRIM_400000_NS6detail17trampoline_kernelINS0_14default_configENS1_36segmented_radix_sort_config_selectorIilEEZNS1_25segmented_radix_sort_implIS3_Lb1EPKiPiPKlPlN2at6native12_GLOBAL__N_18offset_tEEE10hipError_tPvRmT1_PNSt15iterator_traitsISK_E10value_typeET2_T3_PNSL_ISQ_E10value_typeET4_jRbjT5_SW_jjP12ihipStream_tbEUlT_E_NS1_11comp_targetILNS1_3genE0ELNS1_11target_archE4294967295ELNS1_3gpuE0ELNS1_3repE0EEENS1_30default_config_static_selectorELNS0_4arch9wavefront6targetE1EEEvSK_.num_named_barrier, 0
	.set _ZN7rocprim17ROCPRIM_400000_NS6detail17trampoline_kernelINS0_14default_configENS1_36segmented_radix_sort_config_selectorIilEEZNS1_25segmented_radix_sort_implIS3_Lb1EPKiPiPKlPlN2at6native12_GLOBAL__N_18offset_tEEE10hipError_tPvRmT1_PNSt15iterator_traitsISK_E10value_typeET2_T3_PNSL_ISQ_E10value_typeET4_jRbjT5_SW_jjP12ihipStream_tbEUlT_E_NS1_11comp_targetILNS1_3genE0ELNS1_11target_archE4294967295ELNS1_3gpuE0ELNS1_3repE0EEENS1_30default_config_static_selectorELNS0_4arch9wavefront6targetE1EEEvSK_.private_seg_size, 0
	.set _ZN7rocprim17ROCPRIM_400000_NS6detail17trampoline_kernelINS0_14default_configENS1_36segmented_radix_sort_config_selectorIilEEZNS1_25segmented_radix_sort_implIS3_Lb1EPKiPiPKlPlN2at6native12_GLOBAL__N_18offset_tEEE10hipError_tPvRmT1_PNSt15iterator_traitsISK_E10value_typeET2_T3_PNSL_ISQ_E10value_typeET4_jRbjT5_SW_jjP12ihipStream_tbEUlT_E_NS1_11comp_targetILNS1_3genE0ELNS1_11target_archE4294967295ELNS1_3gpuE0ELNS1_3repE0EEENS1_30default_config_static_selectorELNS0_4arch9wavefront6targetE1EEEvSK_.uses_vcc, 0
	.set _ZN7rocprim17ROCPRIM_400000_NS6detail17trampoline_kernelINS0_14default_configENS1_36segmented_radix_sort_config_selectorIilEEZNS1_25segmented_radix_sort_implIS3_Lb1EPKiPiPKlPlN2at6native12_GLOBAL__N_18offset_tEEE10hipError_tPvRmT1_PNSt15iterator_traitsISK_E10value_typeET2_T3_PNSL_ISQ_E10value_typeET4_jRbjT5_SW_jjP12ihipStream_tbEUlT_E_NS1_11comp_targetILNS1_3genE0ELNS1_11target_archE4294967295ELNS1_3gpuE0ELNS1_3repE0EEENS1_30default_config_static_selectorELNS0_4arch9wavefront6targetE1EEEvSK_.uses_flat_scratch, 0
	.set _ZN7rocprim17ROCPRIM_400000_NS6detail17trampoline_kernelINS0_14default_configENS1_36segmented_radix_sort_config_selectorIilEEZNS1_25segmented_radix_sort_implIS3_Lb1EPKiPiPKlPlN2at6native12_GLOBAL__N_18offset_tEEE10hipError_tPvRmT1_PNSt15iterator_traitsISK_E10value_typeET2_T3_PNSL_ISQ_E10value_typeET4_jRbjT5_SW_jjP12ihipStream_tbEUlT_E_NS1_11comp_targetILNS1_3genE0ELNS1_11target_archE4294967295ELNS1_3gpuE0ELNS1_3repE0EEENS1_30default_config_static_selectorELNS0_4arch9wavefront6targetE1EEEvSK_.has_dyn_sized_stack, 0
	.set _ZN7rocprim17ROCPRIM_400000_NS6detail17trampoline_kernelINS0_14default_configENS1_36segmented_radix_sort_config_selectorIilEEZNS1_25segmented_radix_sort_implIS3_Lb1EPKiPiPKlPlN2at6native12_GLOBAL__N_18offset_tEEE10hipError_tPvRmT1_PNSt15iterator_traitsISK_E10value_typeET2_T3_PNSL_ISQ_E10value_typeET4_jRbjT5_SW_jjP12ihipStream_tbEUlT_E_NS1_11comp_targetILNS1_3genE0ELNS1_11target_archE4294967295ELNS1_3gpuE0ELNS1_3repE0EEENS1_30default_config_static_selectorELNS0_4arch9wavefront6targetE1EEEvSK_.has_recursion, 0
	.set _ZN7rocprim17ROCPRIM_400000_NS6detail17trampoline_kernelINS0_14default_configENS1_36segmented_radix_sort_config_selectorIilEEZNS1_25segmented_radix_sort_implIS3_Lb1EPKiPiPKlPlN2at6native12_GLOBAL__N_18offset_tEEE10hipError_tPvRmT1_PNSt15iterator_traitsISK_E10value_typeET2_T3_PNSL_ISQ_E10value_typeET4_jRbjT5_SW_jjP12ihipStream_tbEUlT_E_NS1_11comp_targetILNS1_3genE0ELNS1_11target_archE4294967295ELNS1_3gpuE0ELNS1_3repE0EEENS1_30default_config_static_selectorELNS0_4arch9wavefront6targetE1EEEvSK_.has_indirect_call, 0
	.section	.AMDGPU.csdata,"",@progbits
; Kernel info:
; codeLenInByte = 0
; TotalNumSgprs: 4
; NumVgprs: 0
; ScratchSize: 0
; MemoryBound: 0
; FloatMode: 240
; IeeeMode: 1
; LDSByteSize: 0 bytes/workgroup (compile time only)
; SGPRBlocks: 0
; VGPRBlocks: 0
; NumSGPRsForWavesPerEU: 4
; NumVGPRsForWavesPerEU: 1
; Occupancy: 10
; WaveLimiterHint : 0
; COMPUTE_PGM_RSRC2:SCRATCH_EN: 0
; COMPUTE_PGM_RSRC2:USER_SGPR: 6
; COMPUTE_PGM_RSRC2:TRAP_HANDLER: 0
; COMPUTE_PGM_RSRC2:TGID_X_EN: 1
; COMPUTE_PGM_RSRC2:TGID_Y_EN: 0
; COMPUTE_PGM_RSRC2:TGID_Z_EN: 0
; COMPUTE_PGM_RSRC2:TIDIG_COMP_CNT: 0
	.section	.text._ZN7rocprim17ROCPRIM_400000_NS6detail17trampoline_kernelINS0_14default_configENS1_36segmented_radix_sort_config_selectorIilEEZNS1_25segmented_radix_sort_implIS3_Lb1EPKiPiPKlPlN2at6native12_GLOBAL__N_18offset_tEEE10hipError_tPvRmT1_PNSt15iterator_traitsISK_E10value_typeET2_T3_PNSL_ISQ_E10value_typeET4_jRbjT5_SW_jjP12ihipStream_tbEUlT_E_NS1_11comp_targetILNS1_3genE5ELNS1_11target_archE942ELNS1_3gpuE9ELNS1_3repE0EEENS1_30default_config_static_selectorELNS0_4arch9wavefront6targetE1EEEvSK_,"axG",@progbits,_ZN7rocprim17ROCPRIM_400000_NS6detail17trampoline_kernelINS0_14default_configENS1_36segmented_radix_sort_config_selectorIilEEZNS1_25segmented_radix_sort_implIS3_Lb1EPKiPiPKlPlN2at6native12_GLOBAL__N_18offset_tEEE10hipError_tPvRmT1_PNSt15iterator_traitsISK_E10value_typeET2_T3_PNSL_ISQ_E10value_typeET4_jRbjT5_SW_jjP12ihipStream_tbEUlT_E_NS1_11comp_targetILNS1_3genE5ELNS1_11target_archE942ELNS1_3gpuE9ELNS1_3repE0EEENS1_30default_config_static_selectorELNS0_4arch9wavefront6targetE1EEEvSK_,comdat
	.globl	_ZN7rocprim17ROCPRIM_400000_NS6detail17trampoline_kernelINS0_14default_configENS1_36segmented_radix_sort_config_selectorIilEEZNS1_25segmented_radix_sort_implIS3_Lb1EPKiPiPKlPlN2at6native12_GLOBAL__N_18offset_tEEE10hipError_tPvRmT1_PNSt15iterator_traitsISK_E10value_typeET2_T3_PNSL_ISQ_E10value_typeET4_jRbjT5_SW_jjP12ihipStream_tbEUlT_E_NS1_11comp_targetILNS1_3genE5ELNS1_11target_archE942ELNS1_3gpuE9ELNS1_3repE0EEENS1_30default_config_static_selectorELNS0_4arch9wavefront6targetE1EEEvSK_ ; -- Begin function _ZN7rocprim17ROCPRIM_400000_NS6detail17trampoline_kernelINS0_14default_configENS1_36segmented_radix_sort_config_selectorIilEEZNS1_25segmented_radix_sort_implIS3_Lb1EPKiPiPKlPlN2at6native12_GLOBAL__N_18offset_tEEE10hipError_tPvRmT1_PNSt15iterator_traitsISK_E10value_typeET2_T3_PNSL_ISQ_E10value_typeET4_jRbjT5_SW_jjP12ihipStream_tbEUlT_E_NS1_11comp_targetILNS1_3genE5ELNS1_11target_archE942ELNS1_3gpuE9ELNS1_3repE0EEENS1_30default_config_static_selectorELNS0_4arch9wavefront6targetE1EEEvSK_
	.p2align	8
	.type	_ZN7rocprim17ROCPRIM_400000_NS6detail17trampoline_kernelINS0_14default_configENS1_36segmented_radix_sort_config_selectorIilEEZNS1_25segmented_radix_sort_implIS3_Lb1EPKiPiPKlPlN2at6native12_GLOBAL__N_18offset_tEEE10hipError_tPvRmT1_PNSt15iterator_traitsISK_E10value_typeET2_T3_PNSL_ISQ_E10value_typeET4_jRbjT5_SW_jjP12ihipStream_tbEUlT_E_NS1_11comp_targetILNS1_3genE5ELNS1_11target_archE942ELNS1_3gpuE9ELNS1_3repE0EEENS1_30default_config_static_selectorELNS0_4arch9wavefront6targetE1EEEvSK_,@function
_ZN7rocprim17ROCPRIM_400000_NS6detail17trampoline_kernelINS0_14default_configENS1_36segmented_radix_sort_config_selectorIilEEZNS1_25segmented_radix_sort_implIS3_Lb1EPKiPiPKlPlN2at6native12_GLOBAL__N_18offset_tEEE10hipError_tPvRmT1_PNSt15iterator_traitsISK_E10value_typeET2_T3_PNSL_ISQ_E10value_typeET4_jRbjT5_SW_jjP12ihipStream_tbEUlT_E_NS1_11comp_targetILNS1_3genE5ELNS1_11target_archE942ELNS1_3gpuE9ELNS1_3repE0EEENS1_30default_config_static_selectorELNS0_4arch9wavefront6targetE1EEEvSK_: ; @_ZN7rocprim17ROCPRIM_400000_NS6detail17trampoline_kernelINS0_14default_configENS1_36segmented_radix_sort_config_selectorIilEEZNS1_25segmented_radix_sort_implIS3_Lb1EPKiPiPKlPlN2at6native12_GLOBAL__N_18offset_tEEE10hipError_tPvRmT1_PNSt15iterator_traitsISK_E10value_typeET2_T3_PNSL_ISQ_E10value_typeET4_jRbjT5_SW_jjP12ihipStream_tbEUlT_E_NS1_11comp_targetILNS1_3genE5ELNS1_11target_archE942ELNS1_3gpuE9ELNS1_3repE0EEENS1_30default_config_static_selectorELNS0_4arch9wavefront6targetE1EEEvSK_
; %bb.0:
	.section	.rodata,"a",@progbits
	.p2align	6, 0x0
	.amdhsa_kernel _ZN7rocprim17ROCPRIM_400000_NS6detail17trampoline_kernelINS0_14default_configENS1_36segmented_radix_sort_config_selectorIilEEZNS1_25segmented_radix_sort_implIS3_Lb1EPKiPiPKlPlN2at6native12_GLOBAL__N_18offset_tEEE10hipError_tPvRmT1_PNSt15iterator_traitsISK_E10value_typeET2_T3_PNSL_ISQ_E10value_typeET4_jRbjT5_SW_jjP12ihipStream_tbEUlT_E_NS1_11comp_targetILNS1_3genE5ELNS1_11target_archE942ELNS1_3gpuE9ELNS1_3repE0EEENS1_30default_config_static_selectorELNS0_4arch9wavefront6targetE1EEEvSK_
		.amdhsa_group_segment_fixed_size 0
		.amdhsa_private_segment_fixed_size 0
		.amdhsa_kernarg_size 96
		.amdhsa_user_sgpr_count 6
		.amdhsa_user_sgpr_private_segment_buffer 1
		.amdhsa_user_sgpr_dispatch_ptr 0
		.amdhsa_user_sgpr_queue_ptr 0
		.amdhsa_user_sgpr_kernarg_segment_ptr 1
		.amdhsa_user_sgpr_dispatch_id 0
		.amdhsa_user_sgpr_flat_scratch_init 0
		.amdhsa_user_sgpr_private_segment_size 0
		.amdhsa_uses_dynamic_stack 0
		.amdhsa_system_sgpr_private_segment_wavefront_offset 0
		.amdhsa_system_sgpr_workgroup_id_x 1
		.amdhsa_system_sgpr_workgroup_id_y 0
		.amdhsa_system_sgpr_workgroup_id_z 0
		.amdhsa_system_sgpr_workgroup_info 0
		.amdhsa_system_vgpr_workitem_id 0
		.amdhsa_next_free_vgpr 1
		.amdhsa_next_free_sgpr 0
		.amdhsa_reserve_vcc 0
		.amdhsa_reserve_flat_scratch 0
		.amdhsa_float_round_mode_32 0
		.amdhsa_float_round_mode_16_64 0
		.amdhsa_float_denorm_mode_32 3
		.amdhsa_float_denorm_mode_16_64 3
		.amdhsa_dx10_clamp 1
		.amdhsa_ieee_mode 1
		.amdhsa_fp16_overflow 0
		.amdhsa_exception_fp_ieee_invalid_op 0
		.amdhsa_exception_fp_denorm_src 0
		.amdhsa_exception_fp_ieee_div_zero 0
		.amdhsa_exception_fp_ieee_overflow 0
		.amdhsa_exception_fp_ieee_underflow 0
		.amdhsa_exception_fp_ieee_inexact 0
		.amdhsa_exception_int_div_zero 0
	.end_amdhsa_kernel
	.section	.text._ZN7rocprim17ROCPRIM_400000_NS6detail17trampoline_kernelINS0_14default_configENS1_36segmented_radix_sort_config_selectorIilEEZNS1_25segmented_radix_sort_implIS3_Lb1EPKiPiPKlPlN2at6native12_GLOBAL__N_18offset_tEEE10hipError_tPvRmT1_PNSt15iterator_traitsISK_E10value_typeET2_T3_PNSL_ISQ_E10value_typeET4_jRbjT5_SW_jjP12ihipStream_tbEUlT_E_NS1_11comp_targetILNS1_3genE5ELNS1_11target_archE942ELNS1_3gpuE9ELNS1_3repE0EEENS1_30default_config_static_selectorELNS0_4arch9wavefront6targetE1EEEvSK_,"axG",@progbits,_ZN7rocprim17ROCPRIM_400000_NS6detail17trampoline_kernelINS0_14default_configENS1_36segmented_radix_sort_config_selectorIilEEZNS1_25segmented_radix_sort_implIS3_Lb1EPKiPiPKlPlN2at6native12_GLOBAL__N_18offset_tEEE10hipError_tPvRmT1_PNSt15iterator_traitsISK_E10value_typeET2_T3_PNSL_ISQ_E10value_typeET4_jRbjT5_SW_jjP12ihipStream_tbEUlT_E_NS1_11comp_targetILNS1_3genE5ELNS1_11target_archE942ELNS1_3gpuE9ELNS1_3repE0EEENS1_30default_config_static_selectorELNS0_4arch9wavefront6targetE1EEEvSK_,comdat
.Lfunc_end498:
	.size	_ZN7rocprim17ROCPRIM_400000_NS6detail17trampoline_kernelINS0_14default_configENS1_36segmented_radix_sort_config_selectorIilEEZNS1_25segmented_radix_sort_implIS3_Lb1EPKiPiPKlPlN2at6native12_GLOBAL__N_18offset_tEEE10hipError_tPvRmT1_PNSt15iterator_traitsISK_E10value_typeET2_T3_PNSL_ISQ_E10value_typeET4_jRbjT5_SW_jjP12ihipStream_tbEUlT_E_NS1_11comp_targetILNS1_3genE5ELNS1_11target_archE942ELNS1_3gpuE9ELNS1_3repE0EEENS1_30default_config_static_selectorELNS0_4arch9wavefront6targetE1EEEvSK_, .Lfunc_end498-_ZN7rocprim17ROCPRIM_400000_NS6detail17trampoline_kernelINS0_14default_configENS1_36segmented_radix_sort_config_selectorIilEEZNS1_25segmented_radix_sort_implIS3_Lb1EPKiPiPKlPlN2at6native12_GLOBAL__N_18offset_tEEE10hipError_tPvRmT1_PNSt15iterator_traitsISK_E10value_typeET2_T3_PNSL_ISQ_E10value_typeET4_jRbjT5_SW_jjP12ihipStream_tbEUlT_E_NS1_11comp_targetILNS1_3genE5ELNS1_11target_archE942ELNS1_3gpuE9ELNS1_3repE0EEENS1_30default_config_static_selectorELNS0_4arch9wavefront6targetE1EEEvSK_
                                        ; -- End function
	.set _ZN7rocprim17ROCPRIM_400000_NS6detail17trampoline_kernelINS0_14default_configENS1_36segmented_radix_sort_config_selectorIilEEZNS1_25segmented_radix_sort_implIS3_Lb1EPKiPiPKlPlN2at6native12_GLOBAL__N_18offset_tEEE10hipError_tPvRmT1_PNSt15iterator_traitsISK_E10value_typeET2_T3_PNSL_ISQ_E10value_typeET4_jRbjT5_SW_jjP12ihipStream_tbEUlT_E_NS1_11comp_targetILNS1_3genE5ELNS1_11target_archE942ELNS1_3gpuE9ELNS1_3repE0EEENS1_30default_config_static_selectorELNS0_4arch9wavefront6targetE1EEEvSK_.num_vgpr, 0
	.set _ZN7rocprim17ROCPRIM_400000_NS6detail17trampoline_kernelINS0_14default_configENS1_36segmented_radix_sort_config_selectorIilEEZNS1_25segmented_radix_sort_implIS3_Lb1EPKiPiPKlPlN2at6native12_GLOBAL__N_18offset_tEEE10hipError_tPvRmT1_PNSt15iterator_traitsISK_E10value_typeET2_T3_PNSL_ISQ_E10value_typeET4_jRbjT5_SW_jjP12ihipStream_tbEUlT_E_NS1_11comp_targetILNS1_3genE5ELNS1_11target_archE942ELNS1_3gpuE9ELNS1_3repE0EEENS1_30default_config_static_selectorELNS0_4arch9wavefront6targetE1EEEvSK_.num_agpr, 0
	.set _ZN7rocprim17ROCPRIM_400000_NS6detail17trampoline_kernelINS0_14default_configENS1_36segmented_radix_sort_config_selectorIilEEZNS1_25segmented_radix_sort_implIS3_Lb1EPKiPiPKlPlN2at6native12_GLOBAL__N_18offset_tEEE10hipError_tPvRmT1_PNSt15iterator_traitsISK_E10value_typeET2_T3_PNSL_ISQ_E10value_typeET4_jRbjT5_SW_jjP12ihipStream_tbEUlT_E_NS1_11comp_targetILNS1_3genE5ELNS1_11target_archE942ELNS1_3gpuE9ELNS1_3repE0EEENS1_30default_config_static_selectorELNS0_4arch9wavefront6targetE1EEEvSK_.numbered_sgpr, 0
	.set _ZN7rocprim17ROCPRIM_400000_NS6detail17trampoline_kernelINS0_14default_configENS1_36segmented_radix_sort_config_selectorIilEEZNS1_25segmented_radix_sort_implIS3_Lb1EPKiPiPKlPlN2at6native12_GLOBAL__N_18offset_tEEE10hipError_tPvRmT1_PNSt15iterator_traitsISK_E10value_typeET2_T3_PNSL_ISQ_E10value_typeET4_jRbjT5_SW_jjP12ihipStream_tbEUlT_E_NS1_11comp_targetILNS1_3genE5ELNS1_11target_archE942ELNS1_3gpuE9ELNS1_3repE0EEENS1_30default_config_static_selectorELNS0_4arch9wavefront6targetE1EEEvSK_.num_named_barrier, 0
	.set _ZN7rocprim17ROCPRIM_400000_NS6detail17trampoline_kernelINS0_14default_configENS1_36segmented_radix_sort_config_selectorIilEEZNS1_25segmented_radix_sort_implIS3_Lb1EPKiPiPKlPlN2at6native12_GLOBAL__N_18offset_tEEE10hipError_tPvRmT1_PNSt15iterator_traitsISK_E10value_typeET2_T3_PNSL_ISQ_E10value_typeET4_jRbjT5_SW_jjP12ihipStream_tbEUlT_E_NS1_11comp_targetILNS1_3genE5ELNS1_11target_archE942ELNS1_3gpuE9ELNS1_3repE0EEENS1_30default_config_static_selectorELNS0_4arch9wavefront6targetE1EEEvSK_.private_seg_size, 0
	.set _ZN7rocprim17ROCPRIM_400000_NS6detail17trampoline_kernelINS0_14default_configENS1_36segmented_radix_sort_config_selectorIilEEZNS1_25segmented_radix_sort_implIS3_Lb1EPKiPiPKlPlN2at6native12_GLOBAL__N_18offset_tEEE10hipError_tPvRmT1_PNSt15iterator_traitsISK_E10value_typeET2_T3_PNSL_ISQ_E10value_typeET4_jRbjT5_SW_jjP12ihipStream_tbEUlT_E_NS1_11comp_targetILNS1_3genE5ELNS1_11target_archE942ELNS1_3gpuE9ELNS1_3repE0EEENS1_30default_config_static_selectorELNS0_4arch9wavefront6targetE1EEEvSK_.uses_vcc, 0
	.set _ZN7rocprim17ROCPRIM_400000_NS6detail17trampoline_kernelINS0_14default_configENS1_36segmented_radix_sort_config_selectorIilEEZNS1_25segmented_radix_sort_implIS3_Lb1EPKiPiPKlPlN2at6native12_GLOBAL__N_18offset_tEEE10hipError_tPvRmT1_PNSt15iterator_traitsISK_E10value_typeET2_T3_PNSL_ISQ_E10value_typeET4_jRbjT5_SW_jjP12ihipStream_tbEUlT_E_NS1_11comp_targetILNS1_3genE5ELNS1_11target_archE942ELNS1_3gpuE9ELNS1_3repE0EEENS1_30default_config_static_selectorELNS0_4arch9wavefront6targetE1EEEvSK_.uses_flat_scratch, 0
	.set _ZN7rocprim17ROCPRIM_400000_NS6detail17trampoline_kernelINS0_14default_configENS1_36segmented_radix_sort_config_selectorIilEEZNS1_25segmented_radix_sort_implIS3_Lb1EPKiPiPKlPlN2at6native12_GLOBAL__N_18offset_tEEE10hipError_tPvRmT1_PNSt15iterator_traitsISK_E10value_typeET2_T3_PNSL_ISQ_E10value_typeET4_jRbjT5_SW_jjP12ihipStream_tbEUlT_E_NS1_11comp_targetILNS1_3genE5ELNS1_11target_archE942ELNS1_3gpuE9ELNS1_3repE0EEENS1_30default_config_static_selectorELNS0_4arch9wavefront6targetE1EEEvSK_.has_dyn_sized_stack, 0
	.set _ZN7rocprim17ROCPRIM_400000_NS6detail17trampoline_kernelINS0_14default_configENS1_36segmented_radix_sort_config_selectorIilEEZNS1_25segmented_radix_sort_implIS3_Lb1EPKiPiPKlPlN2at6native12_GLOBAL__N_18offset_tEEE10hipError_tPvRmT1_PNSt15iterator_traitsISK_E10value_typeET2_T3_PNSL_ISQ_E10value_typeET4_jRbjT5_SW_jjP12ihipStream_tbEUlT_E_NS1_11comp_targetILNS1_3genE5ELNS1_11target_archE942ELNS1_3gpuE9ELNS1_3repE0EEENS1_30default_config_static_selectorELNS0_4arch9wavefront6targetE1EEEvSK_.has_recursion, 0
	.set _ZN7rocprim17ROCPRIM_400000_NS6detail17trampoline_kernelINS0_14default_configENS1_36segmented_radix_sort_config_selectorIilEEZNS1_25segmented_radix_sort_implIS3_Lb1EPKiPiPKlPlN2at6native12_GLOBAL__N_18offset_tEEE10hipError_tPvRmT1_PNSt15iterator_traitsISK_E10value_typeET2_T3_PNSL_ISQ_E10value_typeET4_jRbjT5_SW_jjP12ihipStream_tbEUlT_E_NS1_11comp_targetILNS1_3genE5ELNS1_11target_archE942ELNS1_3gpuE9ELNS1_3repE0EEENS1_30default_config_static_selectorELNS0_4arch9wavefront6targetE1EEEvSK_.has_indirect_call, 0
	.section	.AMDGPU.csdata,"",@progbits
; Kernel info:
; codeLenInByte = 0
; TotalNumSgprs: 4
; NumVgprs: 0
; ScratchSize: 0
; MemoryBound: 0
; FloatMode: 240
; IeeeMode: 1
; LDSByteSize: 0 bytes/workgroup (compile time only)
; SGPRBlocks: 0
; VGPRBlocks: 0
; NumSGPRsForWavesPerEU: 4
; NumVGPRsForWavesPerEU: 1
; Occupancy: 10
; WaveLimiterHint : 0
; COMPUTE_PGM_RSRC2:SCRATCH_EN: 0
; COMPUTE_PGM_RSRC2:USER_SGPR: 6
; COMPUTE_PGM_RSRC2:TRAP_HANDLER: 0
; COMPUTE_PGM_RSRC2:TGID_X_EN: 1
; COMPUTE_PGM_RSRC2:TGID_Y_EN: 0
; COMPUTE_PGM_RSRC2:TGID_Z_EN: 0
; COMPUTE_PGM_RSRC2:TIDIG_COMP_CNT: 0
	.section	.text._ZN7rocprim17ROCPRIM_400000_NS6detail17trampoline_kernelINS0_14default_configENS1_36segmented_radix_sort_config_selectorIilEEZNS1_25segmented_radix_sort_implIS3_Lb1EPKiPiPKlPlN2at6native12_GLOBAL__N_18offset_tEEE10hipError_tPvRmT1_PNSt15iterator_traitsISK_E10value_typeET2_T3_PNSL_ISQ_E10value_typeET4_jRbjT5_SW_jjP12ihipStream_tbEUlT_E_NS1_11comp_targetILNS1_3genE4ELNS1_11target_archE910ELNS1_3gpuE8ELNS1_3repE0EEENS1_30default_config_static_selectorELNS0_4arch9wavefront6targetE1EEEvSK_,"axG",@progbits,_ZN7rocprim17ROCPRIM_400000_NS6detail17trampoline_kernelINS0_14default_configENS1_36segmented_radix_sort_config_selectorIilEEZNS1_25segmented_radix_sort_implIS3_Lb1EPKiPiPKlPlN2at6native12_GLOBAL__N_18offset_tEEE10hipError_tPvRmT1_PNSt15iterator_traitsISK_E10value_typeET2_T3_PNSL_ISQ_E10value_typeET4_jRbjT5_SW_jjP12ihipStream_tbEUlT_E_NS1_11comp_targetILNS1_3genE4ELNS1_11target_archE910ELNS1_3gpuE8ELNS1_3repE0EEENS1_30default_config_static_selectorELNS0_4arch9wavefront6targetE1EEEvSK_,comdat
	.globl	_ZN7rocprim17ROCPRIM_400000_NS6detail17trampoline_kernelINS0_14default_configENS1_36segmented_radix_sort_config_selectorIilEEZNS1_25segmented_radix_sort_implIS3_Lb1EPKiPiPKlPlN2at6native12_GLOBAL__N_18offset_tEEE10hipError_tPvRmT1_PNSt15iterator_traitsISK_E10value_typeET2_T3_PNSL_ISQ_E10value_typeET4_jRbjT5_SW_jjP12ihipStream_tbEUlT_E_NS1_11comp_targetILNS1_3genE4ELNS1_11target_archE910ELNS1_3gpuE8ELNS1_3repE0EEENS1_30default_config_static_selectorELNS0_4arch9wavefront6targetE1EEEvSK_ ; -- Begin function _ZN7rocprim17ROCPRIM_400000_NS6detail17trampoline_kernelINS0_14default_configENS1_36segmented_radix_sort_config_selectorIilEEZNS1_25segmented_radix_sort_implIS3_Lb1EPKiPiPKlPlN2at6native12_GLOBAL__N_18offset_tEEE10hipError_tPvRmT1_PNSt15iterator_traitsISK_E10value_typeET2_T3_PNSL_ISQ_E10value_typeET4_jRbjT5_SW_jjP12ihipStream_tbEUlT_E_NS1_11comp_targetILNS1_3genE4ELNS1_11target_archE910ELNS1_3gpuE8ELNS1_3repE0EEENS1_30default_config_static_selectorELNS0_4arch9wavefront6targetE1EEEvSK_
	.p2align	8
	.type	_ZN7rocprim17ROCPRIM_400000_NS6detail17trampoline_kernelINS0_14default_configENS1_36segmented_radix_sort_config_selectorIilEEZNS1_25segmented_radix_sort_implIS3_Lb1EPKiPiPKlPlN2at6native12_GLOBAL__N_18offset_tEEE10hipError_tPvRmT1_PNSt15iterator_traitsISK_E10value_typeET2_T3_PNSL_ISQ_E10value_typeET4_jRbjT5_SW_jjP12ihipStream_tbEUlT_E_NS1_11comp_targetILNS1_3genE4ELNS1_11target_archE910ELNS1_3gpuE8ELNS1_3repE0EEENS1_30default_config_static_selectorELNS0_4arch9wavefront6targetE1EEEvSK_,@function
_ZN7rocprim17ROCPRIM_400000_NS6detail17trampoline_kernelINS0_14default_configENS1_36segmented_radix_sort_config_selectorIilEEZNS1_25segmented_radix_sort_implIS3_Lb1EPKiPiPKlPlN2at6native12_GLOBAL__N_18offset_tEEE10hipError_tPvRmT1_PNSt15iterator_traitsISK_E10value_typeET2_T3_PNSL_ISQ_E10value_typeET4_jRbjT5_SW_jjP12ihipStream_tbEUlT_E_NS1_11comp_targetILNS1_3genE4ELNS1_11target_archE910ELNS1_3gpuE8ELNS1_3repE0EEENS1_30default_config_static_selectorELNS0_4arch9wavefront6targetE1EEEvSK_: ; @_ZN7rocprim17ROCPRIM_400000_NS6detail17trampoline_kernelINS0_14default_configENS1_36segmented_radix_sort_config_selectorIilEEZNS1_25segmented_radix_sort_implIS3_Lb1EPKiPiPKlPlN2at6native12_GLOBAL__N_18offset_tEEE10hipError_tPvRmT1_PNSt15iterator_traitsISK_E10value_typeET2_T3_PNSL_ISQ_E10value_typeET4_jRbjT5_SW_jjP12ihipStream_tbEUlT_E_NS1_11comp_targetILNS1_3genE4ELNS1_11target_archE910ELNS1_3gpuE8ELNS1_3repE0EEENS1_30default_config_static_selectorELNS0_4arch9wavefront6targetE1EEEvSK_
; %bb.0:
	.section	.rodata,"a",@progbits
	.p2align	6, 0x0
	.amdhsa_kernel _ZN7rocprim17ROCPRIM_400000_NS6detail17trampoline_kernelINS0_14default_configENS1_36segmented_radix_sort_config_selectorIilEEZNS1_25segmented_radix_sort_implIS3_Lb1EPKiPiPKlPlN2at6native12_GLOBAL__N_18offset_tEEE10hipError_tPvRmT1_PNSt15iterator_traitsISK_E10value_typeET2_T3_PNSL_ISQ_E10value_typeET4_jRbjT5_SW_jjP12ihipStream_tbEUlT_E_NS1_11comp_targetILNS1_3genE4ELNS1_11target_archE910ELNS1_3gpuE8ELNS1_3repE0EEENS1_30default_config_static_selectorELNS0_4arch9wavefront6targetE1EEEvSK_
		.amdhsa_group_segment_fixed_size 0
		.amdhsa_private_segment_fixed_size 0
		.amdhsa_kernarg_size 96
		.amdhsa_user_sgpr_count 6
		.amdhsa_user_sgpr_private_segment_buffer 1
		.amdhsa_user_sgpr_dispatch_ptr 0
		.amdhsa_user_sgpr_queue_ptr 0
		.amdhsa_user_sgpr_kernarg_segment_ptr 1
		.amdhsa_user_sgpr_dispatch_id 0
		.amdhsa_user_sgpr_flat_scratch_init 0
		.amdhsa_user_sgpr_private_segment_size 0
		.amdhsa_uses_dynamic_stack 0
		.amdhsa_system_sgpr_private_segment_wavefront_offset 0
		.amdhsa_system_sgpr_workgroup_id_x 1
		.amdhsa_system_sgpr_workgroup_id_y 0
		.amdhsa_system_sgpr_workgroup_id_z 0
		.amdhsa_system_sgpr_workgroup_info 0
		.amdhsa_system_vgpr_workitem_id 0
		.amdhsa_next_free_vgpr 1
		.amdhsa_next_free_sgpr 0
		.amdhsa_reserve_vcc 0
		.amdhsa_reserve_flat_scratch 0
		.amdhsa_float_round_mode_32 0
		.amdhsa_float_round_mode_16_64 0
		.amdhsa_float_denorm_mode_32 3
		.amdhsa_float_denorm_mode_16_64 3
		.amdhsa_dx10_clamp 1
		.amdhsa_ieee_mode 1
		.amdhsa_fp16_overflow 0
		.amdhsa_exception_fp_ieee_invalid_op 0
		.amdhsa_exception_fp_denorm_src 0
		.amdhsa_exception_fp_ieee_div_zero 0
		.amdhsa_exception_fp_ieee_overflow 0
		.amdhsa_exception_fp_ieee_underflow 0
		.amdhsa_exception_fp_ieee_inexact 0
		.amdhsa_exception_int_div_zero 0
	.end_amdhsa_kernel
	.section	.text._ZN7rocprim17ROCPRIM_400000_NS6detail17trampoline_kernelINS0_14default_configENS1_36segmented_radix_sort_config_selectorIilEEZNS1_25segmented_radix_sort_implIS3_Lb1EPKiPiPKlPlN2at6native12_GLOBAL__N_18offset_tEEE10hipError_tPvRmT1_PNSt15iterator_traitsISK_E10value_typeET2_T3_PNSL_ISQ_E10value_typeET4_jRbjT5_SW_jjP12ihipStream_tbEUlT_E_NS1_11comp_targetILNS1_3genE4ELNS1_11target_archE910ELNS1_3gpuE8ELNS1_3repE0EEENS1_30default_config_static_selectorELNS0_4arch9wavefront6targetE1EEEvSK_,"axG",@progbits,_ZN7rocprim17ROCPRIM_400000_NS6detail17trampoline_kernelINS0_14default_configENS1_36segmented_radix_sort_config_selectorIilEEZNS1_25segmented_radix_sort_implIS3_Lb1EPKiPiPKlPlN2at6native12_GLOBAL__N_18offset_tEEE10hipError_tPvRmT1_PNSt15iterator_traitsISK_E10value_typeET2_T3_PNSL_ISQ_E10value_typeET4_jRbjT5_SW_jjP12ihipStream_tbEUlT_E_NS1_11comp_targetILNS1_3genE4ELNS1_11target_archE910ELNS1_3gpuE8ELNS1_3repE0EEENS1_30default_config_static_selectorELNS0_4arch9wavefront6targetE1EEEvSK_,comdat
.Lfunc_end499:
	.size	_ZN7rocprim17ROCPRIM_400000_NS6detail17trampoline_kernelINS0_14default_configENS1_36segmented_radix_sort_config_selectorIilEEZNS1_25segmented_radix_sort_implIS3_Lb1EPKiPiPKlPlN2at6native12_GLOBAL__N_18offset_tEEE10hipError_tPvRmT1_PNSt15iterator_traitsISK_E10value_typeET2_T3_PNSL_ISQ_E10value_typeET4_jRbjT5_SW_jjP12ihipStream_tbEUlT_E_NS1_11comp_targetILNS1_3genE4ELNS1_11target_archE910ELNS1_3gpuE8ELNS1_3repE0EEENS1_30default_config_static_selectorELNS0_4arch9wavefront6targetE1EEEvSK_, .Lfunc_end499-_ZN7rocprim17ROCPRIM_400000_NS6detail17trampoline_kernelINS0_14default_configENS1_36segmented_radix_sort_config_selectorIilEEZNS1_25segmented_radix_sort_implIS3_Lb1EPKiPiPKlPlN2at6native12_GLOBAL__N_18offset_tEEE10hipError_tPvRmT1_PNSt15iterator_traitsISK_E10value_typeET2_T3_PNSL_ISQ_E10value_typeET4_jRbjT5_SW_jjP12ihipStream_tbEUlT_E_NS1_11comp_targetILNS1_3genE4ELNS1_11target_archE910ELNS1_3gpuE8ELNS1_3repE0EEENS1_30default_config_static_selectorELNS0_4arch9wavefront6targetE1EEEvSK_
                                        ; -- End function
	.set _ZN7rocprim17ROCPRIM_400000_NS6detail17trampoline_kernelINS0_14default_configENS1_36segmented_radix_sort_config_selectorIilEEZNS1_25segmented_radix_sort_implIS3_Lb1EPKiPiPKlPlN2at6native12_GLOBAL__N_18offset_tEEE10hipError_tPvRmT1_PNSt15iterator_traitsISK_E10value_typeET2_T3_PNSL_ISQ_E10value_typeET4_jRbjT5_SW_jjP12ihipStream_tbEUlT_E_NS1_11comp_targetILNS1_3genE4ELNS1_11target_archE910ELNS1_3gpuE8ELNS1_3repE0EEENS1_30default_config_static_selectorELNS0_4arch9wavefront6targetE1EEEvSK_.num_vgpr, 0
	.set _ZN7rocprim17ROCPRIM_400000_NS6detail17trampoline_kernelINS0_14default_configENS1_36segmented_radix_sort_config_selectorIilEEZNS1_25segmented_radix_sort_implIS3_Lb1EPKiPiPKlPlN2at6native12_GLOBAL__N_18offset_tEEE10hipError_tPvRmT1_PNSt15iterator_traitsISK_E10value_typeET2_T3_PNSL_ISQ_E10value_typeET4_jRbjT5_SW_jjP12ihipStream_tbEUlT_E_NS1_11comp_targetILNS1_3genE4ELNS1_11target_archE910ELNS1_3gpuE8ELNS1_3repE0EEENS1_30default_config_static_selectorELNS0_4arch9wavefront6targetE1EEEvSK_.num_agpr, 0
	.set _ZN7rocprim17ROCPRIM_400000_NS6detail17trampoline_kernelINS0_14default_configENS1_36segmented_radix_sort_config_selectorIilEEZNS1_25segmented_radix_sort_implIS3_Lb1EPKiPiPKlPlN2at6native12_GLOBAL__N_18offset_tEEE10hipError_tPvRmT1_PNSt15iterator_traitsISK_E10value_typeET2_T3_PNSL_ISQ_E10value_typeET4_jRbjT5_SW_jjP12ihipStream_tbEUlT_E_NS1_11comp_targetILNS1_3genE4ELNS1_11target_archE910ELNS1_3gpuE8ELNS1_3repE0EEENS1_30default_config_static_selectorELNS0_4arch9wavefront6targetE1EEEvSK_.numbered_sgpr, 0
	.set _ZN7rocprim17ROCPRIM_400000_NS6detail17trampoline_kernelINS0_14default_configENS1_36segmented_radix_sort_config_selectorIilEEZNS1_25segmented_radix_sort_implIS3_Lb1EPKiPiPKlPlN2at6native12_GLOBAL__N_18offset_tEEE10hipError_tPvRmT1_PNSt15iterator_traitsISK_E10value_typeET2_T3_PNSL_ISQ_E10value_typeET4_jRbjT5_SW_jjP12ihipStream_tbEUlT_E_NS1_11comp_targetILNS1_3genE4ELNS1_11target_archE910ELNS1_3gpuE8ELNS1_3repE0EEENS1_30default_config_static_selectorELNS0_4arch9wavefront6targetE1EEEvSK_.num_named_barrier, 0
	.set _ZN7rocprim17ROCPRIM_400000_NS6detail17trampoline_kernelINS0_14default_configENS1_36segmented_radix_sort_config_selectorIilEEZNS1_25segmented_radix_sort_implIS3_Lb1EPKiPiPKlPlN2at6native12_GLOBAL__N_18offset_tEEE10hipError_tPvRmT1_PNSt15iterator_traitsISK_E10value_typeET2_T3_PNSL_ISQ_E10value_typeET4_jRbjT5_SW_jjP12ihipStream_tbEUlT_E_NS1_11comp_targetILNS1_3genE4ELNS1_11target_archE910ELNS1_3gpuE8ELNS1_3repE0EEENS1_30default_config_static_selectorELNS0_4arch9wavefront6targetE1EEEvSK_.private_seg_size, 0
	.set _ZN7rocprim17ROCPRIM_400000_NS6detail17trampoline_kernelINS0_14default_configENS1_36segmented_radix_sort_config_selectorIilEEZNS1_25segmented_radix_sort_implIS3_Lb1EPKiPiPKlPlN2at6native12_GLOBAL__N_18offset_tEEE10hipError_tPvRmT1_PNSt15iterator_traitsISK_E10value_typeET2_T3_PNSL_ISQ_E10value_typeET4_jRbjT5_SW_jjP12ihipStream_tbEUlT_E_NS1_11comp_targetILNS1_3genE4ELNS1_11target_archE910ELNS1_3gpuE8ELNS1_3repE0EEENS1_30default_config_static_selectorELNS0_4arch9wavefront6targetE1EEEvSK_.uses_vcc, 0
	.set _ZN7rocprim17ROCPRIM_400000_NS6detail17trampoline_kernelINS0_14default_configENS1_36segmented_radix_sort_config_selectorIilEEZNS1_25segmented_radix_sort_implIS3_Lb1EPKiPiPKlPlN2at6native12_GLOBAL__N_18offset_tEEE10hipError_tPvRmT1_PNSt15iterator_traitsISK_E10value_typeET2_T3_PNSL_ISQ_E10value_typeET4_jRbjT5_SW_jjP12ihipStream_tbEUlT_E_NS1_11comp_targetILNS1_3genE4ELNS1_11target_archE910ELNS1_3gpuE8ELNS1_3repE0EEENS1_30default_config_static_selectorELNS0_4arch9wavefront6targetE1EEEvSK_.uses_flat_scratch, 0
	.set _ZN7rocprim17ROCPRIM_400000_NS6detail17trampoline_kernelINS0_14default_configENS1_36segmented_radix_sort_config_selectorIilEEZNS1_25segmented_radix_sort_implIS3_Lb1EPKiPiPKlPlN2at6native12_GLOBAL__N_18offset_tEEE10hipError_tPvRmT1_PNSt15iterator_traitsISK_E10value_typeET2_T3_PNSL_ISQ_E10value_typeET4_jRbjT5_SW_jjP12ihipStream_tbEUlT_E_NS1_11comp_targetILNS1_3genE4ELNS1_11target_archE910ELNS1_3gpuE8ELNS1_3repE0EEENS1_30default_config_static_selectorELNS0_4arch9wavefront6targetE1EEEvSK_.has_dyn_sized_stack, 0
	.set _ZN7rocprim17ROCPRIM_400000_NS6detail17trampoline_kernelINS0_14default_configENS1_36segmented_radix_sort_config_selectorIilEEZNS1_25segmented_radix_sort_implIS3_Lb1EPKiPiPKlPlN2at6native12_GLOBAL__N_18offset_tEEE10hipError_tPvRmT1_PNSt15iterator_traitsISK_E10value_typeET2_T3_PNSL_ISQ_E10value_typeET4_jRbjT5_SW_jjP12ihipStream_tbEUlT_E_NS1_11comp_targetILNS1_3genE4ELNS1_11target_archE910ELNS1_3gpuE8ELNS1_3repE0EEENS1_30default_config_static_selectorELNS0_4arch9wavefront6targetE1EEEvSK_.has_recursion, 0
	.set _ZN7rocprim17ROCPRIM_400000_NS6detail17trampoline_kernelINS0_14default_configENS1_36segmented_radix_sort_config_selectorIilEEZNS1_25segmented_radix_sort_implIS3_Lb1EPKiPiPKlPlN2at6native12_GLOBAL__N_18offset_tEEE10hipError_tPvRmT1_PNSt15iterator_traitsISK_E10value_typeET2_T3_PNSL_ISQ_E10value_typeET4_jRbjT5_SW_jjP12ihipStream_tbEUlT_E_NS1_11comp_targetILNS1_3genE4ELNS1_11target_archE910ELNS1_3gpuE8ELNS1_3repE0EEENS1_30default_config_static_selectorELNS0_4arch9wavefront6targetE1EEEvSK_.has_indirect_call, 0
	.section	.AMDGPU.csdata,"",@progbits
; Kernel info:
; codeLenInByte = 0
; TotalNumSgprs: 4
; NumVgprs: 0
; ScratchSize: 0
; MemoryBound: 0
; FloatMode: 240
; IeeeMode: 1
; LDSByteSize: 0 bytes/workgroup (compile time only)
; SGPRBlocks: 0
; VGPRBlocks: 0
; NumSGPRsForWavesPerEU: 4
; NumVGPRsForWavesPerEU: 1
; Occupancy: 10
; WaveLimiterHint : 0
; COMPUTE_PGM_RSRC2:SCRATCH_EN: 0
; COMPUTE_PGM_RSRC2:USER_SGPR: 6
; COMPUTE_PGM_RSRC2:TRAP_HANDLER: 0
; COMPUTE_PGM_RSRC2:TGID_X_EN: 1
; COMPUTE_PGM_RSRC2:TGID_Y_EN: 0
; COMPUTE_PGM_RSRC2:TGID_Z_EN: 0
; COMPUTE_PGM_RSRC2:TIDIG_COMP_CNT: 0
	.section	.text._ZN7rocprim17ROCPRIM_400000_NS6detail17trampoline_kernelINS0_14default_configENS1_36segmented_radix_sort_config_selectorIilEEZNS1_25segmented_radix_sort_implIS3_Lb1EPKiPiPKlPlN2at6native12_GLOBAL__N_18offset_tEEE10hipError_tPvRmT1_PNSt15iterator_traitsISK_E10value_typeET2_T3_PNSL_ISQ_E10value_typeET4_jRbjT5_SW_jjP12ihipStream_tbEUlT_E_NS1_11comp_targetILNS1_3genE3ELNS1_11target_archE908ELNS1_3gpuE7ELNS1_3repE0EEENS1_30default_config_static_selectorELNS0_4arch9wavefront6targetE1EEEvSK_,"axG",@progbits,_ZN7rocprim17ROCPRIM_400000_NS6detail17trampoline_kernelINS0_14default_configENS1_36segmented_radix_sort_config_selectorIilEEZNS1_25segmented_radix_sort_implIS3_Lb1EPKiPiPKlPlN2at6native12_GLOBAL__N_18offset_tEEE10hipError_tPvRmT1_PNSt15iterator_traitsISK_E10value_typeET2_T3_PNSL_ISQ_E10value_typeET4_jRbjT5_SW_jjP12ihipStream_tbEUlT_E_NS1_11comp_targetILNS1_3genE3ELNS1_11target_archE908ELNS1_3gpuE7ELNS1_3repE0EEENS1_30default_config_static_selectorELNS0_4arch9wavefront6targetE1EEEvSK_,comdat
	.globl	_ZN7rocprim17ROCPRIM_400000_NS6detail17trampoline_kernelINS0_14default_configENS1_36segmented_radix_sort_config_selectorIilEEZNS1_25segmented_radix_sort_implIS3_Lb1EPKiPiPKlPlN2at6native12_GLOBAL__N_18offset_tEEE10hipError_tPvRmT1_PNSt15iterator_traitsISK_E10value_typeET2_T3_PNSL_ISQ_E10value_typeET4_jRbjT5_SW_jjP12ihipStream_tbEUlT_E_NS1_11comp_targetILNS1_3genE3ELNS1_11target_archE908ELNS1_3gpuE7ELNS1_3repE0EEENS1_30default_config_static_selectorELNS0_4arch9wavefront6targetE1EEEvSK_ ; -- Begin function _ZN7rocprim17ROCPRIM_400000_NS6detail17trampoline_kernelINS0_14default_configENS1_36segmented_radix_sort_config_selectorIilEEZNS1_25segmented_radix_sort_implIS3_Lb1EPKiPiPKlPlN2at6native12_GLOBAL__N_18offset_tEEE10hipError_tPvRmT1_PNSt15iterator_traitsISK_E10value_typeET2_T3_PNSL_ISQ_E10value_typeET4_jRbjT5_SW_jjP12ihipStream_tbEUlT_E_NS1_11comp_targetILNS1_3genE3ELNS1_11target_archE908ELNS1_3gpuE7ELNS1_3repE0EEENS1_30default_config_static_selectorELNS0_4arch9wavefront6targetE1EEEvSK_
	.p2align	8
	.type	_ZN7rocprim17ROCPRIM_400000_NS6detail17trampoline_kernelINS0_14default_configENS1_36segmented_radix_sort_config_selectorIilEEZNS1_25segmented_radix_sort_implIS3_Lb1EPKiPiPKlPlN2at6native12_GLOBAL__N_18offset_tEEE10hipError_tPvRmT1_PNSt15iterator_traitsISK_E10value_typeET2_T3_PNSL_ISQ_E10value_typeET4_jRbjT5_SW_jjP12ihipStream_tbEUlT_E_NS1_11comp_targetILNS1_3genE3ELNS1_11target_archE908ELNS1_3gpuE7ELNS1_3repE0EEENS1_30default_config_static_selectorELNS0_4arch9wavefront6targetE1EEEvSK_,@function
_ZN7rocprim17ROCPRIM_400000_NS6detail17trampoline_kernelINS0_14default_configENS1_36segmented_radix_sort_config_selectorIilEEZNS1_25segmented_radix_sort_implIS3_Lb1EPKiPiPKlPlN2at6native12_GLOBAL__N_18offset_tEEE10hipError_tPvRmT1_PNSt15iterator_traitsISK_E10value_typeET2_T3_PNSL_ISQ_E10value_typeET4_jRbjT5_SW_jjP12ihipStream_tbEUlT_E_NS1_11comp_targetILNS1_3genE3ELNS1_11target_archE908ELNS1_3gpuE7ELNS1_3repE0EEENS1_30default_config_static_selectorELNS0_4arch9wavefront6targetE1EEEvSK_: ; @_ZN7rocprim17ROCPRIM_400000_NS6detail17trampoline_kernelINS0_14default_configENS1_36segmented_radix_sort_config_selectorIilEEZNS1_25segmented_radix_sort_implIS3_Lb1EPKiPiPKlPlN2at6native12_GLOBAL__N_18offset_tEEE10hipError_tPvRmT1_PNSt15iterator_traitsISK_E10value_typeET2_T3_PNSL_ISQ_E10value_typeET4_jRbjT5_SW_jjP12ihipStream_tbEUlT_E_NS1_11comp_targetILNS1_3genE3ELNS1_11target_archE908ELNS1_3gpuE7ELNS1_3repE0EEENS1_30default_config_static_selectorELNS0_4arch9wavefront6targetE1EEEvSK_
; %bb.0:
	.section	.rodata,"a",@progbits
	.p2align	6, 0x0
	.amdhsa_kernel _ZN7rocprim17ROCPRIM_400000_NS6detail17trampoline_kernelINS0_14default_configENS1_36segmented_radix_sort_config_selectorIilEEZNS1_25segmented_radix_sort_implIS3_Lb1EPKiPiPKlPlN2at6native12_GLOBAL__N_18offset_tEEE10hipError_tPvRmT1_PNSt15iterator_traitsISK_E10value_typeET2_T3_PNSL_ISQ_E10value_typeET4_jRbjT5_SW_jjP12ihipStream_tbEUlT_E_NS1_11comp_targetILNS1_3genE3ELNS1_11target_archE908ELNS1_3gpuE7ELNS1_3repE0EEENS1_30default_config_static_selectorELNS0_4arch9wavefront6targetE1EEEvSK_
		.amdhsa_group_segment_fixed_size 0
		.amdhsa_private_segment_fixed_size 0
		.amdhsa_kernarg_size 96
		.amdhsa_user_sgpr_count 6
		.amdhsa_user_sgpr_private_segment_buffer 1
		.amdhsa_user_sgpr_dispatch_ptr 0
		.amdhsa_user_sgpr_queue_ptr 0
		.amdhsa_user_sgpr_kernarg_segment_ptr 1
		.amdhsa_user_sgpr_dispatch_id 0
		.amdhsa_user_sgpr_flat_scratch_init 0
		.amdhsa_user_sgpr_private_segment_size 0
		.amdhsa_uses_dynamic_stack 0
		.amdhsa_system_sgpr_private_segment_wavefront_offset 0
		.amdhsa_system_sgpr_workgroup_id_x 1
		.amdhsa_system_sgpr_workgroup_id_y 0
		.amdhsa_system_sgpr_workgroup_id_z 0
		.amdhsa_system_sgpr_workgroup_info 0
		.amdhsa_system_vgpr_workitem_id 0
		.amdhsa_next_free_vgpr 1
		.amdhsa_next_free_sgpr 0
		.amdhsa_reserve_vcc 0
		.amdhsa_reserve_flat_scratch 0
		.amdhsa_float_round_mode_32 0
		.amdhsa_float_round_mode_16_64 0
		.amdhsa_float_denorm_mode_32 3
		.amdhsa_float_denorm_mode_16_64 3
		.amdhsa_dx10_clamp 1
		.amdhsa_ieee_mode 1
		.amdhsa_fp16_overflow 0
		.amdhsa_exception_fp_ieee_invalid_op 0
		.amdhsa_exception_fp_denorm_src 0
		.amdhsa_exception_fp_ieee_div_zero 0
		.amdhsa_exception_fp_ieee_overflow 0
		.amdhsa_exception_fp_ieee_underflow 0
		.amdhsa_exception_fp_ieee_inexact 0
		.amdhsa_exception_int_div_zero 0
	.end_amdhsa_kernel
	.section	.text._ZN7rocprim17ROCPRIM_400000_NS6detail17trampoline_kernelINS0_14default_configENS1_36segmented_radix_sort_config_selectorIilEEZNS1_25segmented_radix_sort_implIS3_Lb1EPKiPiPKlPlN2at6native12_GLOBAL__N_18offset_tEEE10hipError_tPvRmT1_PNSt15iterator_traitsISK_E10value_typeET2_T3_PNSL_ISQ_E10value_typeET4_jRbjT5_SW_jjP12ihipStream_tbEUlT_E_NS1_11comp_targetILNS1_3genE3ELNS1_11target_archE908ELNS1_3gpuE7ELNS1_3repE0EEENS1_30default_config_static_selectorELNS0_4arch9wavefront6targetE1EEEvSK_,"axG",@progbits,_ZN7rocprim17ROCPRIM_400000_NS6detail17trampoline_kernelINS0_14default_configENS1_36segmented_radix_sort_config_selectorIilEEZNS1_25segmented_radix_sort_implIS3_Lb1EPKiPiPKlPlN2at6native12_GLOBAL__N_18offset_tEEE10hipError_tPvRmT1_PNSt15iterator_traitsISK_E10value_typeET2_T3_PNSL_ISQ_E10value_typeET4_jRbjT5_SW_jjP12ihipStream_tbEUlT_E_NS1_11comp_targetILNS1_3genE3ELNS1_11target_archE908ELNS1_3gpuE7ELNS1_3repE0EEENS1_30default_config_static_selectorELNS0_4arch9wavefront6targetE1EEEvSK_,comdat
.Lfunc_end500:
	.size	_ZN7rocprim17ROCPRIM_400000_NS6detail17trampoline_kernelINS0_14default_configENS1_36segmented_radix_sort_config_selectorIilEEZNS1_25segmented_radix_sort_implIS3_Lb1EPKiPiPKlPlN2at6native12_GLOBAL__N_18offset_tEEE10hipError_tPvRmT1_PNSt15iterator_traitsISK_E10value_typeET2_T3_PNSL_ISQ_E10value_typeET4_jRbjT5_SW_jjP12ihipStream_tbEUlT_E_NS1_11comp_targetILNS1_3genE3ELNS1_11target_archE908ELNS1_3gpuE7ELNS1_3repE0EEENS1_30default_config_static_selectorELNS0_4arch9wavefront6targetE1EEEvSK_, .Lfunc_end500-_ZN7rocprim17ROCPRIM_400000_NS6detail17trampoline_kernelINS0_14default_configENS1_36segmented_radix_sort_config_selectorIilEEZNS1_25segmented_radix_sort_implIS3_Lb1EPKiPiPKlPlN2at6native12_GLOBAL__N_18offset_tEEE10hipError_tPvRmT1_PNSt15iterator_traitsISK_E10value_typeET2_T3_PNSL_ISQ_E10value_typeET4_jRbjT5_SW_jjP12ihipStream_tbEUlT_E_NS1_11comp_targetILNS1_3genE3ELNS1_11target_archE908ELNS1_3gpuE7ELNS1_3repE0EEENS1_30default_config_static_selectorELNS0_4arch9wavefront6targetE1EEEvSK_
                                        ; -- End function
	.set _ZN7rocprim17ROCPRIM_400000_NS6detail17trampoline_kernelINS0_14default_configENS1_36segmented_radix_sort_config_selectorIilEEZNS1_25segmented_radix_sort_implIS3_Lb1EPKiPiPKlPlN2at6native12_GLOBAL__N_18offset_tEEE10hipError_tPvRmT1_PNSt15iterator_traitsISK_E10value_typeET2_T3_PNSL_ISQ_E10value_typeET4_jRbjT5_SW_jjP12ihipStream_tbEUlT_E_NS1_11comp_targetILNS1_3genE3ELNS1_11target_archE908ELNS1_3gpuE7ELNS1_3repE0EEENS1_30default_config_static_selectorELNS0_4arch9wavefront6targetE1EEEvSK_.num_vgpr, 0
	.set _ZN7rocprim17ROCPRIM_400000_NS6detail17trampoline_kernelINS0_14default_configENS1_36segmented_radix_sort_config_selectorIilEEZNS1_25segmented_radix_sort_implIS3_Lb1EPKiPiPKlPlN2at6native12_GLOBAL__N_18offset_tEEE10hipError_tPvRmT1_PNSt15iterator_traitsISK_E10value_typeET2_T3_PNSL_ISQ_E10value_typeET4_jRbjT5_SW_jjP12ihipStream_tbEUlT_E_NS1_11comp_targetILNS1_3genE3ELNS1_11target_archE908ELNS1_3gpuE7ELNS1_3repE0EEENS1_30default_config_static_selectorELNS0_4arch9wavefront6targetE1EEEvSK_.num_agpr, 0
	.set _ZN7rocprim17ROCPRIM_400000_NS6detail17trampoline_kernelINS0_14default_configENS1_36segmented_radix_sort_config_selectorIilEEZNS1_25segmented_radix_sort_implIS3_Lb1EPKiPiPKlPlN2at6native12_GLOBAL__N_18offset_tEEE10hipError_tPvRmT1_PNSt15iterator_traitsISK_E10value_typeET2_T3_PNSL_ISQ_E10value_typeET4_jRbjT5_SW_jjP12ihipStream_tbEUlT_E_NS1_11comp_targetILNS1_3genE3ELNS1_11target_archE908ELNS1_3gpuE7ELNS1_3repE0EEENS1_30default_config_static_selectorELNS0_4arch9wavefront6targetE1EEEvSK_.numbered_sgpr, 0
	.set _ZN7rocprim17ROCPRIM_400000_NS6detail17trampoline_kernelINS0_14default_configENS1_36segmented_radix_sort_config_selectorIilEEZNS1_25segmented_radix_sort_implIS3_Lb1EPKiPiPKlPlN2at6native12_GLOBAL__N_18offset_tEEE10hipError_tPvRmT1_PNSt15iterator_traitsISK_E10value_typeET2_T3_PNSL_ISQ_E10value_typeET4_jRbjT5_SW_jjP12ihipStream_tbEUlT_E_NS1_11comp_targetILNS1_3genE3ELNS1_11target_archE908ELNS1_3gpuE7ELNS1_3repE0EEENS1_30default_config_static_selectorELNS0_4arch9wavefront6targetE1EEEvSK_.num_named_barrier, 0
	.set _ZN7rocprim17ROCPRIM_400000_NS6detail17trampoline_kernelINS0_14default_configENS1_36segmented_radix_sort_config_selectorIilEEZNS1_25segmented_radix_sort_implIS3_Lb1EPKiPiPKlPlN2at6native12_GLOBAL__N_18offset_tEEE10hipError_tPvRmT1_PNSt15iterator_traitsISK_E10value_typeET2_T3_PNSL_ISQ_E10value_typeET4_jRbjT5_SW_jjP12ihipStream_tbEUlT_E_NS1_11comp_targetILNS1_3genE3ELNS1_11target_archE908ELNS1_3gpuE7ELNS1_3repE0EEENS1_30default_config_static_selectorELNS0_4arch9wavefront6targetE1EEEvSK_.private_seg_size, 0
	.set _ZN7rocprim17ROCPRIM_400000_NS6detail17trampoline_kernelINS0_14default_configENS1_36segmented_radix_sort_config_selectorIilEEZNS1_25segmented_radix_sort_implIS3_Lb1EPKiPiPKlPlN2at6native12_GLOBAL__N_18offset_tEEE10hipError_tPvRmT1_PNSt15iterator_traitsISK_E10value_typeET2_T3_PNSL_ISQ_E10value_typeET4_jRbjT5_SW_jjP12ihipStream_tbEUlT_E_NS1_11comp_targetILNS1_3genE3ELNS1_11target_archE908ELNS1_3gpuE7ELNS1_3repE0EEENS1_30default_config_static_selectorELNS0_4arch9wavefront6targetE1EEEvSK_.uses_vcc, 0
	.set _ZN7rocprim17ROCPRIM_400000_NS6detail17trampoline_kernelINS0_14default_configENS1_36segmented_radix_sort_config_selectorIilEEZNS1_25segmented_radix_sort_implIS3_Lb1EPKiPiPKlPlN2at6native12_GLOBAL__N_18offset_tEEE10hipError_tPvRmT1_PNSt15iterator_traitsISK_E10value_typeET2_T3_PNSL_ISQ_E10value_typeET4_jRbjT5_SW_jjP12ihipStream_tbEUlT_E_NS1_11comp_targetILNS1_3genE3ELNS1_11target_archE908ELNS1_3gpuE7ELNS1_3repE0EEENS1_30default_config_static_selectorELNS0_4arch9wavefront6targetE1EEEvSK_.uses_flat_scratch, 0
	.set _ZN7rocprim17ROCPRIM_400000_NS6detail17trampoline_kernelINS0_14default_configENS1_36segmented_radix_sort_config_selectorIilEEZNS1_25segmented_radix_sort_implIS3_Lb1EPKiPiPKlPlN2at6native12_GLOBAL__N_18offset_tEEE10hipError_tPvRmT1_PNSt15iterator_traitsISK_E10value_typeET2_T3_PNSL_ISQ_E10value_typeET4_jRbjT5_SW_jjP12ihipStream_tbEUlT_E_NS1_11comp_targetILNS1_3genE3ELNS1_11target_archE908ELNS1_3gpuE7ELNS1_3repE0EEENS1_30default_config_static_selectorELNS0_4arch9wavefront6targetE1EEEvSK_.has_dyn_sized_stack, 0
	.set _ZN7rocprim17ROCPRIM_400000_NS6detail17trampoline_kernelINS0_14default_configENS1_36segmented_radix_sort_config_selectorIilEEZNS1_25segmented_radix_sort_implIS3_Lb1EPKiPiPKlPlN2at6native12_GLOBAL__N_18offset_tEEE10hipError_tPvRmT1_PNSt15iterator_traitsISK_E10value_typeET2_T3_PNSL_ISQ_E10value_typeET4_jRbjT5_SW_jjP12ihipStream_tbEUlT_E_NS1_11comp_targetILNS1_3genE3ELNS1_11target_archE908ELNS1_3gpuE7ELNS1_3repE0EEENS1_30default_config_static_selectorELNS0_4arch9wavefront6targetE1EEEvSK_.has_recursion, 0
	.set _ZN7rocprim17ROCPRIM_400000_NS6detail17trampoline_kernelINS0_14default_configENS1_36segmented_radix_sort_config_selectorIilEEZNS1_25segmented_radix_sort_implIS3_Lb1EPKiPiPKlPlN2at6native12_GLOBAL__N_18offset_tEEE10hipError_tPvRmT1_PNSt15iterator_traitsISK_E10value_typeET2_T3_PNSL_ISQ_E10value_typeET4_jRbjT5_SW_jjP12ihipStream_tbEUlT_E_NS1_11comp_targetILNS1_3genE3ELNS1_11target_archE908ELNS1_3gpuE7ELNS1_3repE0EEENS1_30default_config_static_selectorELNS0_4arch9wavefront6targetE1EEEvSK_.has_indirect_call, 0
	.section	.AMDGPU.csdata,"",@progbits
; Kernel info:
; codeLenInByte = 0
; TotalNumSgprs: 4
; NumVgprs: 0
; ScratchSize: 0
; MemoryBound: 0
; FloatMode: 240
; IeeeMode: 1
; LDSByteSize: 0 bytes/workgroup (compile time only)
; SGPRBlocks: 0
; VGPRBlocks: 0
; NumSGPRsForWavesPerEU: 4
; NumVGPRsForWavesPerEU: 1
; Occupancy: 10
; WaveLimiterHint : 0
; COMPUTE_PGM_RSRC2:SCRATCH_EN: 0
; COMPUTE_PGM_RSRC2:USER_SGPR: 6
; COMPUTE_PGM_RSRC2:TRAP_HANDLER: 0
; COMPUTE_PGM_RSRC2:TGID_X_EN: 1
; COMPUTE_PGM_RSRC2:TGID_Y_EN: 0
; COMPUTE_PGM_RSRC2:TGID_Z_EN: 0
; COMPUTE_PGM_RSRC2:TIDIG_COMP_CNT: 0
	.text
	.p2align	2                               ; -- Begin function _ZN7rocprim17ROCPRIM_400000_NS6detail40segmented_radix_sort_single_block_helperIilLj256ELj8ELb1EE4sortIPKiPiPKlPlEEbT_T0_T1_T2_jjjjRNS3_12storage_typeE
	.type	_ZN7rocprim17ROCPRIM_400000_NS6detail40segmented_radix_sort_single_block_helperIilLj256ELj8ELb1EE4sortIPKiPiPKlPlEEbT_T0_T1_T2_jjjjRNS3_12storage_typeE,@function
_ZN7rocprim17ROCPRIM_400000_NS6detail40segmented_radix_sort_single_block_helperIilLj256ELj8ELb1EE4sortIPKiPiPKlPlEEbT_T0_T1_T2_jjjjRNS3_12storage_typeE: ; @_ZN7rocprim17ROCPRIM_400000_NS6detail40segmented_radix_sort_single_block_helperIilLj256ELj8ELb1EE4sortIPKiPiPKlPlEEbT_T0_T1_T2_jjjjRNS3_12storage_typeE
; %bb.0:
	s_waitcnt vmcnt(0) expcnt(0) lgkmcnt(0)
	v_sub_u32_e32 v85, v9, v8
	s_movk_i32 s4, 0x801
	v_cmp_gt_u32_e32 vcc, s4, v85
	s_and_saveexec_b64 s[46:47], vcc
	s_cbranch_execz .LBB501_199
; %bb.1:
	s_movk_i32 s4, 0x400
	v_cmp_lt_u32_e32 vcc, s4, v85
	v_bfe_u32 v20, v31, 10, 10
	v_bfe_u32 v22, v31, 20, 10
	v_mbcnt_lo_u32_b32 v18, -1, 0
	s_and_saveexec_b64 s[4:5], vcc
	s_xor_b64 s[56:57], exec, s[4:5]
	s_cbranch_execz .LBB501_79
; %bb.2:
	s_load_dwordx2 s[4:5], s[8:9], 0x0
	v_mov_b32_e32 v9, 0
	v_lshlrev_b64 v[24:25], 2, v[8:9]
	v_and_b32_e32 v21, 0x3ff, v31
	v_add_co_u32_e32 v31, vcc, v0, v24
	s_waitcnt lgkmcnt(0)
	s_cmp_lt_u32 s13, s5
	s_cselect_b32 s5, 14, 20
	s_add_u32 s6, s8, s5
	s_addc_u32 s7, s9, 0
	s_cmp_lt_u32 s12, s4
	s_cselect_b32 s4, 12, 18
	s_add_u32 s4, s8, s4
	global_load_ushort v26, v9, s[6:7]
	s_addc_u32 s5, s9, 0
	global_load_ushort v27, v9, s[4:5]
	v_addc_co_u32_e32 v32, vcc, v1, v25, vcc
	v_mbcnt_hi_u32_b32 v28, -1, v18
	v_and_b32_e32 v29, 63, v28
	v_mov_b32_e32 v23, v9
	v_lshlrev_b32_e32 v30, 2, v29
	v_bfrev_b32_e32 v13, 1
	v_mov_b32_e32 v14, v13
	v_mov_b32_e32 v15, v13
	;; [unrolled: 1-line block ×6, first 2 shown]
	s_waitcnt vmcnt(1)
	v_mad_u32_u24 v0, v22, v26, v20
	v_add_co_u32_e32 v20, vcc, v31, v30
	s_waitcnt vmcnt(0)
	v_mad_u64_u32 v[0:1], s[4:5], v0, v27, v[21:22]
	v_addc_co_u32_e32 v30, vcc, 0, v32, vcc
	v_lshlrev_b32_e32 v1, 3, v0
	v_and_b32_e32 v22, 0xfffffe00, v1
	v_lshlrev_b64 v[26:27], 2, v[22:23]
	v_or_b32_e32 v1, v22, v29
	v_add_co_u32_e64 v26, s[4:5], v20, v26
	v_cmp_lt_u32_e32 vcc, v1, v85
	v_addc_co_u32_e64 v27, s[4:5], v30, v27, s[4:5]
	v_mov_b32_e32 v20, v13
	s_and_saveexec_b64 s[4:5], vcc
	s_cbranch_execz .LBB501_4
; %bb.3:
	flat_load_dword v30, v[26:27]
	v_mov_b32_e32 v31, v13
	v_mov_b32_e32 v32, v13
	;; [unrolled: 1-line block ×7, first 2 shown]
	s_waitcnt vmcnt(0) lgkmcnt(0)
	v_mov_b32_e32 v13, v30
	v_mov_b32_e32 v14, v31
	;; [unrolled: 1-line block ×8, first 2 shown]
.LBB501_4:
	s_or_b64 exec, exec, s[4:5]
	v_or_b32_e32 v30, 64, v1
	v_cmp_lt_u32_e64 s[4:5], v30, v85
	s_and_saveexec_b64 s[6:7], s[4:5]
	s_cbranch_execz .LBB501_6
; %bb.5:
	flat_load_dword v14, v[26:27] offset:256
.LBB501_6:
	s_or_b64 exec, exec, s[6:7]
	v_or_b32_e32 v30, 0x80, v1
	v_cmp_lt_u32_e64 s[6:7], v30, v85
	s_and_saveexec_b64 s[10:11], s[6:7]
	s_cbranch_execz .LBB501_8
; %bb.7:
	flat_load_dword v15, v[26:27] offset:512
.LBB501_8:
	s_or_b64 exec, exec, s[10:11]
	v_or_b32_e32 v30, 0xc0, v1
	v_cmp_lt_u32_e64 s[10:11], v30, v85
	s_and_saveexec_b64 s[14:15], s[10:11]
	s_cbranch_execz .LBB501_10
; %bb.9:
	flat_load_dword v16, v[26:27] offset:768
.LBB501_10:
	s_or_b64 exec, exec, s[14:15]
	v_or_b32_e32 v30, 0x100, v1
	v_cmp_lt_u32_e64 s[20:21], v30, v85
	s_and_saveexec_b64 s[14:15], s[20:21]
	s_cbranch_execz .LBB501_12
; %bb.11:
	flat_load_dword v17, v[26:27] offset:1024
.LBB501_12:
	s_or_b64 exec, exec, s[14:15]
	v_or_b32_e32 v30, 0x140, v1
	v_cmp_lt_u32_e64 s[14:15], v30, v85
	s_and_saveexec_b64 s[16:17], s[14:15]
	s_cbranch_execz .LBB501_14
; %bb.13:
	flat_load_dword v18, v[26:27] offset:1280
.LBB501_14:
	s_or_b64 exec, exec, s[16:17]
	v_or_b32_e32 v30, 0x180, v1
	v_cmp_lt_u32_e64 s[16:17], v30, v85
	s_and_saveexec_b64 s[18:19], s[16:17]
	s_cbranch_execz .LBB501_16
; %bb.15:
	flat_load_dword v19, v[26:27] offset:1536
.LBB501_16:
	s_or_b64 exec, exec, s[18:19]
	v_or_b32_e32 v1, 0x1c0, v1
	v_cmp_lt_u32_e64 s[18:19], v1, v85
	s_and_saveexec_b64 s[22:23], s[18:19]
	s_cbranch_execz .LBB501_18
; %bb.17:
	flat_load_dword v20, v[26:27] offset:1792
.LBB501_18:
	s_or_b64 exec, exec, s[22:23]
	v_lshlrev_b64 v[26:27], 3, v[8:9]
                                        ; implicit-def: $vgpr32_vgpr33
	v_add_co_u32_e64 v1, s[22:23], v4, v26
	v_addc_co_u32_e64 v4, s[22:23], v5, v27, s[22:23]
	v_lshlrev_b32_e32 v5, 3, v29
	v_add_co_u32_e64 v1, s[22:23], v1, v5
	v_addc_co_u32_e64 v8, s[22:23], 0, v4, s[22:23]
	v_lshlrev_b64 v[4:5], 3, v[22:23]
	v_add_co_u32_e64 v4, s[22:23], v1, v4
	v_addc_co_u32_e64 v5, s[22:23], v8, v5, s[22:23]
	s_and_saveexec_b64 s[22:23], vcc
	s_cbranch_execnz .LBB501_112
; %bb.19:
	s_or_b64 exec, exec, s[22:23]
                                        ; implicit-def: $vgpr34_vgpr35
	s_and_saveexec_b64 s[22:23], s[4:5]
	s_cbranch_execnz .LBB501_113
.LBB501_20:
	s_or_b64 exec, exec, s[22:23]
                                        ; implicit-def: $vgpr36_vgpr37
	s_and_saveexec_b64 s[4:5], s[6:7]
	s_cbranch_execnz .LBB501_114
.LBB501_21:
	s_or_b64 exec, exec, s[4:5]
                                        ; implicit-def: $vgpr38_vgpr39
	s_and_saveexec_b64 s[4:5], s[10:11]
	s_cbranch_execnz .LBB501_115
.LBB501_22:
	s_or_b64 exec, exec, s[4:5]
                                        ; implicit-def: $vgpr48_vgpr49
	s_and_saveexec_b64 s[4:5], s[20:21]
	s_cbranch_execnz .LBB501_116
.LBB501_23:
	s_or_b64 exec, exec, s[4:5]
                                        ; implicit-def: $vgpr50_vgpr51
	s_and_saveexec_b64 s[4:5], s[14:15]
	s_cbranch_execnz .LBB501_117
.LBB501_24:
	s_or_b64 exec, exec, s[4:5]
                                        ; implicit-def: $vgpr81_vgpr82
	s_and_saveexec_b64 s[4:5], s[16:17]
	s_cbranch_execnz .LBB501_118
.LBB501_25:
	s_or_b64 exec, exec, s[4:5]
                                        ; implicit-def: $vgpr83_vgpr84
	s_and_saveexec_b64 s[4:5], s[18:19]
	s_cbranch_execz .LBB501_27
.LBB501_26:
	flat_load_dwordx2 v[83:84], v[4:5] offset:3584
.LBB501_27:
	s_or_b64 exec, exec, s[4:5]
	v_lshl_add_u32 v8, v21, 4, v12
	s_getpc_b64 s[4:5]
	s_add_u32 s4, s4, _ZN7rocprim17ROCPRIM_400000_NS16block_radix_sortIiLj256ELj8ElLj1ELj1ELj8ELNS0_26block_radix_rank_algorithmE2ELNS0_18block_padding_hintE2ELNS0_4arch9wavefront6targetE1EE19radix_bits_per_passE@rel32@lo+4
	s_addc_u32 s5, s5, _ZN7rocprim17ROCPRIM_400000_NS16block_radix_sortIiLj256ELj8ElLj1ELj1ELj8ELNS0_26block_radix_rank_algorithmE2ELNS0_18block_padding_hintE2ELNS0_4arch9wavefront6targetE1EE19radix_bits_per_passE@rel32@hi+12
	v_add_u32_e32 v1, 16, v8
	v_add_u32_e32 v86, 20, v8
	;; [unrolled: 1-line block ×4, first 2 shown]
	v_and_b32_e32 v8, 15, v28
	s_load_dword s62, s[4:5], 0x0
	v_cmp_eq_u32_e32 vcc, 0, v8
	v_cmp_lt_u32_e64 s[4:5], 1, v8
	v_cmp_lt_u32_e64 s[6:7], 3, v8
	;; [unrolled: 1-line block ×3, first 2 shown]
	v_and_b32_e32 v8, 16, v28
	v_cmp_eq_u32_e64 s[40:41], 0, v8
	v_and_b32_e32 v8, 0x3c0, v21
	v_min_u32_e32 v8, 0xc0, v8
	v_lshlrev_b32_e32 v4, 2, v21
	v_or_b32_e32 v8, 63, v8
	v_cmp_eq_u32_e64 s[16:17], v21, v8
	v_subrev_co_u32_e64 v8, s[22:23], 1, v28
	v_and_b32_e32 v9, 64, v28
	v_add_co_u32_e64 v98, s[26:27], v12, v4
	v_and_b32_e32 v4, 3, v28
	v_cmp_lt_i32_e64 s[24:25], v8, v9
	v_cmp_eq_u32_e64 s[26:27], 0, v4
	v_cmp_lt_u32_e64 s[28:29], 1, v4
	v_lshlrev_b32_e32 v4, 3, v21
	s_movk_i32 s42, 0x1e00
	v_cndmask_b32_e64 v8, v8, v28, s[24:25]
	v_and_or_b32 v4, v4, s42, v29
	v_lshlrev_b32_e32 v99, 2, v8
	v_lshrrev_b32_e32 v8, 4, v21
	v_lshlrev_b32_e32 v4, 2, v4
	v_and_b32_e32 v8, 60, v8
	v_add_u32_e32 v102, v12, v4
	v_add_u32_e32 v100, v12, v8
	;; [unrolled: 1-line block ×3, first 2 shown]
	v_xor_b32_e32 v53, 0x7fffffff, v13
	s_waitcnt vmcnt(0) lgkmcnt(0)
	v_xor_b32_e32 v55, 0x7fffffff, v14
	v_xor_b32_e32 v65, 0x7fffffff, v15
	;; [unrolled: 1-line block ×7, first 2 shown]
	v_mov_b32_e32 v5, 0
	v_lshrrev_b32_e32 v97, 6, v0
	v_cmp_lt_u32_e64 s[14:15], 31, v28
	v_cmp_gt_u32_e64 s[18:19], 4, v21
	v_cmp_lt_u32_e64 s[20:21], 63, v21
	v_cmp_eq_u32_e64 s[24:25], 0, v21
	v_add_u32_e32 v101, -4, v100
	v_add_u32_e32 v103, 0x100, v102
	v_add_u32_e32 v112, 0x200, v102
	;; [unrolled: 1-line block ×14, first 2 shown]
	v_sub_u32_e32 v134, v11, v10
	s_mov_b64 s[58:59], 0
	s_barrier
	s_branch .LBB501_29
.LBB501_28:                             ;   in Loop: Header=BB501_29 Depth=1
	s_or_b64 exec, exec, s[44:45]
	s_and_b64 s[42:43], exec, s[60:61]
	s_or_b64 s[58:59], s[42:43], s[58:59]
	s_andn2_b64 exec, exec, s[58:59]
	s_cbranch_execz .LBB501_53
.LBB501_29:                             ; =>This Inner Loop Header: Depth=1
	v_min_u32_e32 v4, s62, v134
	v_mov_b32_e32 v150, v53
	v_mov_b32_e32 v22, v36
	v_lshlrev_b32_e64 v4, v4, -1
	v_mov_b32_e32 v28, v34
	v_mov_b32_e32 v23, v37
	v_not_b32_e32 v37, v4
	v_lshrrev_b32_e32 v4, v10, v150
	v_mov_b32_e32 v29, v35
	v_and_b32_e32 v34, v4, v37
	v_mov_b32_e32 v30, v32
	v_lshl_add_u32 v4, v34, 2, v97
	v_mov_b32_e32 v31, v33
	v_lshlrev_b64 v[32:33], 2, v[4:5]
	v_mov_b32_e32 v19, v38
	v_add_co_u32_e64 v4, s[42:43], v12, v32
	v_add_co_u32_e64 v4, s[42:43], 16, v4
	v_and_b32_e32 v32, 1, v34
	v_add_co_u32_e64 v33, s[42:43], -1, v32
	v_addc_co_u32_e64 v35, s[42:43], 0, -1, s[42:43]
	v_cmp_ne_u32_e64 s[42:43], 0, v32
	v_xor_b32_e32 v32, s43, v35
	v_xor_b32_e32 v33, s42, v33
	v_and_b32_e32 v35, exec_hi, v32
	v_and_b32_e32 v36, exec_lo, v33
	v_lshlrev_b32_e32 v33, 30, v34
	v_mov_b32_e32 v32, v5
	v_cmp_gt_i64_e64 s[42:43], 0, v[32:33]
	v_not_b32_e32 v32, v33
	v_ashrrev_i32_e32 v32, 31, v32
	v_xor_b32_e32 v33, s43, v32
	v_xor_b32_e32 v32, s42, v32
	v_and_b32_e32 v35, v35, v33
	v_and_b32_e32 v36, v36, v32
	v_lshlrev_b32_e32 v33, 29, v34
	v_mov_b32_e32 v32, v5
	v_cmp_gt_i64_e64 s[42:43], 0, v[32:33]
	v_not_b32_e32 v32, v33
	v_ashrrev_i32_e32 v32, 31, v32
	v_xor_b32_e32 v33, s43, v32
	v_xor_b32_e32 v32, s42, v32
	v_and_b32_e32 v35, v35, v33
	v_and_b32_e32 v36, v36, v32
	;; [unrolled: 9-line block ×7, first 2 shown]
	v_mbcnt_lo_u32_b32 v34, v32, 0
	v_mbcnt_hi_u32_b32 v34, v33, v34
	v_cmp_ne_u64_e64 s[42:43], 0, v[32:33]
	v_mov_b32_e32 v17, v48
	v_mov_b32_e32 v15, v50
	;; [unrolled: 1-line block ×4, first 2 shown]
	v_cmp_eq_u32_e64 s[44:45], 0, v34
	v_mov_b32_e32 v135, v160
	v_mov_b32_e32 v144, v151
	v_mov_b32_e32 v145, v71
	v_mov_b32_e32 v146, v69
	v_mov_b32_e32 v147, v67
	v_mov_b32_e32 v148, v65
	v_mov_b32_e32 v149, v55
	v_mov_b32_e32 v20, v39
	v_mov_b32_e32 v18, v49
	v_mov_b32_e32 v16, v51
	v_mov_b32_e32 v14, v82
	v_mov_b32_e32 v9, v84
	s_and_b64 s[44:45], s[42:43], s[44:45]
	ds_write_b32 v1, v5
	ds_write_b32 v86, v5
	;; [unrolled: 1-line block ×4, first 2 shown]
	s_waitcnt lgkmcnt(0)
	s_barrier
	; wave barrier
	s_and_saveexec_b64 s[42:43], s[44:45]
; %bb.30:                               ;   in Loop: Header=BB501_29 Depth=1
	v_bcnt_u32_b32 v32, v32, 0
	v_bcnt_u32_b32 v32, v33, v32
	ds_write_b32 v4, v32
; %bb.31:                               ;   in Loop: Header=BB501_29 Depth=1
	s_or_b64 exec, exec, s[42:43]
	v_lshrrev_b32_e32 v32, v10, v149
	v_and_b32_e32 v38, v32, v37
	v_lshl_add_u32 v32, v38, 2, v97
	v_lshl_add_u32 v32, v32, 2, v12
	; wave barrier
	v_add_u32_e32 v36, 16, v32
	ds_read_b32 v35, v32 offset:16
	v_and_b32_e32 v32, 1, v38
	v_add_co_u32_e64 v33, s[42:43], -1, v32
	v_addc_co_u32_e64 v39, s[42:43], 0, -1, s[42:43]
	v_cmp_ne_u32_e64 s[42:43], 0, v32
	v_xor_b32_e32 v32, s43, v39
	v_xor_b32_e32 v33, s42, v33
	v_and_b32_e32 v39, exec_hi, v32
	v_and_b32_e32 v48, exec_lo, v33
	v_lshlrev_b32_e32 v33, 30, v38
	v_mov_b32_e32 v32, v5
	v_cmp_gt_i64_e64 s[42:43], 0, v[32:33]
	v_not_b32_e32 v32, v33
	v_ashrrev_i32_e32 v32, 31, v32
	v_xor_b32_e32 v33, s43, v32
	v_xor_b32_e32 v32, s42, v32
	v_and_b32_e32 v39, v39, v33
	v_and_b32_e32 v48, v48, v32
	v_lshlrev_b32_e32 v33, 29, v38
	v_mov_b32_e32 v32, v5
	v_cmp_gt_i64_e64 s[42:43], 0, v[32:33]
	v_not_b32_e32 v32, v33
	v_ashrrev_i32_e32 v32, 31, v32
	v_xor_b32_e32 v33, s43, v32
	v_xor_b32_e32 v32, s42, v32
	v_and_b32_e32 v39, v39, v33
	v_and_b32_e32 v48, v48, v32
	;; [unrolled: 9-line block ×7, first 2 shown]
	v_mbcnt_lo_u32_b32 v38, v32, 0
	v_mbcnt_hi_u32_b32 v38, v33, v38
	v_cmp_ne_u64_e64 s[42:43], 0, v[32:33]
	v_cmp_eq_u32_e64 s[44:45], 0, v38
	s_and_b64 s[44:45], s[42:43], s[44:45]
	; wave barrier
	s_and_saveexec_b64 s[42:43], s[44:45]
	s_cbranch_execz .LBB501_33
; %bb.32:                               ;   in Loop: Header=BB501_29 Depth=1
	v_bcnt_u32_b32 v32, v32, 0
	v_bcnt_u32_b32 v32, v33, v32
	s_waitcnt lgkmcnt(0)
	v_add_u32_e32 v32, v35, v32
	ds_write_b32 v36, v32
.LBB501_33:                             ;   in Loop: Header=BB501_29 Depth=1
	s_or_b64 exec, exec, s[42:43]
	v_lshrrev_b32_e32 v32, v10, v148
	v_and_b32_e32 v49, v32, v37
	v_lshl_add_u32 v32, v49, 2, v97
	v_lshl_add_u32 v32, v32, 2, v12
	; wave barrier
	v_add_u32_e32 v48, 16, v32
	ds_read_b32 v39, v32 offset:16
	v_and_b32_e32 v32, 1, v49
	v_add_co_u32_e64 v33, s[42:43], -1, v32
	v_addc_co_u32_e64 v50, s[42:43], 0, -1, s[42:43]
	v_cmp_ne_u32_e64 s[42:43], 0, v32
	v_xor_b32_e32 v32, s43, v50
	v_xor_b32_e32 v33, s42, v33
	v_and_b32_e32 v50, exec_hi, v32
	v_and_b32_e32 v51, exec_lo, v33
	v_lshlrev_b32_e32 v33, 30, v49
	v_mov_b32_e32 v32, v5
	v_cmp_gt_i64_e64 s[42:43], 0, v[32:33]
	v_not_b32_e32 v32, v33
	v_ashrrev_i32_e32 v32, 31, v32
	v_xor_b32_e32 v33, s43, v32
	v_xor_b32_e32 v32, s42, v32
	v_and_b32_e32 v50, v50, v33
	v_and_b32_e32 v51, v51, v32
	v_lshlrev_b32_e32 v33, 29, v49
	v_mov_b32_e32 v32, v5
	v_cmp_gt_i64_e64 s[42:43], 0, v[32:33]
	v_not_b32_e32 v32, v33
	v_ashrrev_i32_e32 v32, 31, v32
	v_xor_b32_e32 v33, s43, v32
	v_xor_b32_e32 v32, s42, v32
	v_and_b32_e32 v50, v50, v33
	v_and_b32_e32 v51, v51, v32
	v_lshlrev_b32_e32 v33, 28, v49
	v_mov_b32_e32 v32, v5
	v_cmp_gt_i64_e64 s[42:43], 0, v[32:33]
	v_not_b32_e32 v32, v33
	v_ashrrev_i32_e32 v32, 31, v32
	v_xor_b32_e32 v33, s43, v32
	v_xor_b32_e32 v32, s42, v32
	v_and_b32_e32 v50, v50, v33
	v_and_b32_e32 v51, v51, v32
	v_lshlrev_b32_e32 v33, 27, v49
	v_mov_b32_e32 v32, v5
	v_cmp_gt_i64_e64 s[42:43], 0, v[32:33]
	v_not_b32_e32 v32, v33
	v_ashrrev_i32_e32 v32, 31, v32
	v_xor_b32_e32 v33, s43, v32
	v_xor_b32_e32 v32, s42, v32
	v_and_b32_e32 v50, v50, v33
	v_and_b32_e32 v51, v51, v32
	v_lshlrev_b32_e32 v33, 26, v49
	v_mov_b32_e32 v32, v5
	v_cmp_gt_i64_e64 s[42:43], 0, v[32:33]
	v_not_b32_e32 v32, v33
	v_ashrrev_i32_e32 v32, 31, v32
	v_xor_b32_e32 v33, s43, v32
	v_xor_b32_e32 v32, s42, v32
	v_and_b32_e32 v50, v50, v33
	v_and_b32_e32 v51, v51, v32
	v_lshlrev_b32_e32 v33, 25, v49
	v_mov_b32_e32 v32, v5
	v_cmp_gt_i64_e64 s[42:43], 0, v[32:33]
	v_not_b32_e32 v32, v33
	v_ashrrev_i32_e32 v32, 31, v32
	v_xor_b32_e32 v33, s43, v32
	v_xor_b32_e32 v32, s42, v32
	v_and_b32_e32 v50, v50, v33
	v_and_b32_e32 v51, v51, v32
	v_lshlrev_b32_e32 v33, 24, v49
	v_mov_b32_e32 v32, v5
	v_cmp_gt_i64_e64 s[42:43], 0, v[32:33]
	v_not_b32_e32 v32, v33
	v_ashrrev_i32_e32 v32, 31, v32
	v_xor_b32_e32 v33, s43, v32
	v_xor_b32_e32 v32, s42, v32
	v_and_b32_e32 v32, v51, v32
	v_and_b32_e32 v33, v50, v33
	v_mbcnt_lo_u32_b32 v49, v32, 0
	v_mbcnt_hi_u32_b32 v49, v33, v49
	v_cmp_ne_u64_e64 s[42:43], 0, v[32:33]
	v_cmp_eq_u32_e64 s[44:45], 0, v49
	s_and_b64 s[44:45], s[42:43], s[44:45]
	; wave barrier
	s_and_saveexec_b64 s[42:43], s[44:45]
	s_cbranch_execz .LBB501_35
; %bb.34:                               ;   in Loop: Header=BB501_29 Depth=1
	v_bcnt_u32_b32 v32, v32, 0
	v_bcnt_u32_b32 v32, v33, v32
	s_waitcnt lgkmcnt(0)
	v_add_u32_e32 v32, v39, v32
	ds_write_b32 v48, v32
.LBB501_35:                             ;   in Loop: Header=BB501_29 Depth=1
	s_or_b64 exec, exec, s[42:43]
	v_lshrrev_b32_e32 v32, v10, v147
	v_and_b32_e32 v52, v32, v37
	v_lshl_add_u32 v32, v52, 2, v97
	v_lshl_add_u32 v32, v32, 2, v12
	; wave barrier
	v_add_u32_e32 v51, 16, v32
	ds_read_b32 v50, v32 offset:16
	v_and_b32_e32 v32, 1, v52
	v_add_co_u32_e64 v33, s[42:43], -1, v32
	v_addc_co_u32_e64 v53, s[42:43], 0, -1, s[42:43]
	v_cmp_ne_u32_e64 s[42:43], 0, v32
	v_xor_b32_e32 v32, s43, v53
	v_xor_b32_e32 v33, s42, v33
	v_and_b32_e32 v53, exec_hi, v32
	v_and_b32_e32 v54, exec_lo, v33
	v_lshlrev_b32_e32 v33, 30, v52
	v_mov_b32_e32 v32, v5
	v_cmp_gt_i64_e64 s[42:43], 0, v[32:33]
	v_not_b32_e32 v32, v33
	v_ashrrev_i32_e32 v32, 31, v32
	v_xor_b32_e32 v33, s43, v32
	v_xor_b32_e32 v32, s42, v32
	v_and_b32_e32 v53, v53, v33
	v_and_b32_e32 v54, v54, v32
	v_lshlrev_b32_e32 v33, 29, v52
	v_mov_b32_e32 v32, v5
	v_cmp_gt_i64_e64 s[42:43], 0, v[32:33]
	v_not_b32_e32 v32, v33
	v_ashrrev_i32_e32 v32, 31, v32
	v_xor_b32_e32 v33, s43, v32
	v_xor_b32_e32 v32, s42, v32
	v_and_b32_e32 v53, v53, v33
	v_and_b32_e32 v54, v54, v32
	;; [unrolled: 9-line block ×7, first 2 shown]
	v_mbcnt_lo_u32_b32 v52, v32, 0
	v_mbcnt_hi_u32_b32 v53, v33, v52
	v_cmp_ne_u64_e64 s[42:43], 0, v[32:33]
	v_cmp_eq_u32_e64 s[44:45], 0, v53
	s_and_b64 s[44:45], s[42:43], s[44:45]
	; wave barrier
	s_and_saveexec_b64 s[42:43], s[44:45]
	s_cbranch_execz .LBB501_37
; %bb.36:                               ;   in Loop: Header=BB501_29 Depth=1
	v_bcnt_u32_b32 v32, v32, 0
	v_bcnt_u32_b32 v32, v33, v32
	s_waitcnt lgkmcnt(0)
	v_add_u32_e32 v32, v50, v32
	ds_write_b32 v51, v32
.LBB501_37:                             ;   in Loop: Header=BB501_29 Depth=1
	s_or_b64 exec, exec, s[42:43]
	v_lshrrev_b32_e32 v32, v10, v146
	v_and_b32_e32 v52, v32, v37
	v_lshl_add_u32 v32, v52, 2, v97
	v_lshl_add_u32 v32, v32, 2, v12
	; wave barrier
	v_add_u32_e32 v64, 16, v32
	ds_read_b32 v55, v32 offset:16
	v_and_b32_e32 v32, 1, v52
	v_add_co_u32_e64 v33, s[42:43], -1, v32
	v_addc_co_u32_e64 v54, s[42:43], 0, -1, s[42:43]
	v_cmp_ne_u32_e64 s[42:43], 0, v32
	v_xor_b32_e32 v32, s43, v54
	v_xor_b32_e32 v33, s42, v33
	v_and_b32_e32 v54, exec_hi, v32
	v_and_b32_e32 v65, exec_lo, v33
	v_lshlrev_b32_e32 v33, 30, v52
	v_mov_b32_e32 v32, v5
	v_cmp_gt_i64_e64 s[42:43], 0, v[32:33]
	v_not_b32_e32 v32, v33
	v_ashrrev_i32_e32 v32, 31, v32
	v_xor_b32_e32 v33, s43, v32
	v_xor_b32_e32 v32, s42, v32
	v_and_b32_e32 v54, v54, v33
	v_and_b32_e32 v65, v65, v32
	v_lshlrev_b32_e32 v33, 29, v52
	v_mov_b32_e32 v32, v5
	v_cmp_gt_i64_e64 s[42:43], 0, v[32:33]
	v_not_b32_e32 v32, v33
	v_ashrrev_i32_e32 v32, 31, v32
	v_xor_b32_e32 v33, s43, v32
	v_xor_b32_e32 v32, s42, v32
	v_and_b32_e32 v54, v54, v33
	v_and_b32_e32 v65, v65, v32
	;; [unrolled: 9-line block ×7, first 2 shown]
	v_mbcnt_lo_u32_b32 v52, v32, 0
	v_mbcnt_hi_u32_b32 v65, v33, v52
	v_cmp_ne_u64_e64 s[42:43], 0, v[32:33]
	v_cmp_eq_u32_e64 s[44:45], 0, v65
	s_and_b64 s[44:45], s[42:43], s[44:45]
	; wave barrier
	s_and_saveexec_b64 s[42:43], s[44:45]
	s_cbranch_execz .LBB501_39
; %bb.38:                               ;   in Loop: Header=BB501_29 Depth=1
	v_bcnt_u32_b32 v32, v32, 0
	v_bcnt_u32_b32 v32, v33, v32
	s_waitcnt lgkmcnt(0)
	v_add_u32_e32 v32, v55, v32
	ds_write_b32 v64, v32
.LBB501_39:                             ;   in Loop: Header=BB501_29 Depth=1
	s_or_b64 exec, exec, s[42:43]
	v_lshrrev_b32_e32 v32, v10, v145
	v_and_b32_e32 v52, v32, v37
	v_lshl_add_u32 v32, v52, 2, v97
	v_lshl_add_u32 v32, v32, 2, v12
	; wave barrier
	v_add_u32_e32 v67, 16, v32
	ds_read_b32 v66, v32 offset:16
	v_and_b32_e32 v32, 1, v52
	v_add_co_u32_e64 v33, s[42:43], -1, v32
	v_addc_co_u32_e64 v54, s[42:43], 0, -1, s[42:43]
	v_cmp_ne_u32_e64 s[42:43], 0, v32
	v_xor_b32_e32 v32, s43, v54
	v_xor_b32_e32 v33, s42, v33
	v_and_b32_e32 v54, exec_hi, v32
	v_and_b32_e32 v68, exec_lo, v33
	v_lshlrev_b32_e32 v33, 30, v52
	v_mov_b32_e32 v32, v5
	v_cmp_gt_i64_e64 s[42:43], 0, v[32:33]
	v_not_b32_e32 v32, v33
	v_ashrrev_i32_e32 v32, 31, v32
	v_xor_b32_e32 v33, s43, v32
	v_xor_b32_e32 v32, s42, v32
	v_and_b32_e32 v54, v54, v33
	v_and_b32_e32 v68, v68, v32
	v_lshlrev_b32_e32 v33, 29, v52
	v_mov_b32_e32 v32, v5
	v_cmp_gt_i64_e64 s[42:43], 0, v[32:33]
	v_not_b32_e32 v32, v33
	v_ashrrev_i32_e32 v32, 31, v32
	v_xor_b32_e32 v33, s43, v32
	v_xor_b32_e32 v32, s42, v32
	v_and_b32_e32 v54, v54, v33
	v_and_b32_e32 v68, v68, v32
	;; [unrolled: 9-line block ×7, first 2 shown]
	v_mbcnt_lo_u32_b32 v52, v32, 0
	v_mbcnt_hi_u32_b32 v68, v33, v52
	v_cmp_ne_u64_e64 s[42:43], 0, v[32:33]
	v_cmp_eq_u32_e64 s[44:45], 0, v68
	s_and_b64 s[44:45], s[42:43], s[44:45]
	; wave barrier
	s_and_saveexec_b64 s[42:43], s[44:45]
	s_cbranch_execz .LBB501_41
; %bb.40:                               ;   in Loop: Header=BB501_29 Depth=1
	v_bcnt_u32_b32 v32, v32, 0
	v_bcnt_u32_b32 v32, v33, v32
	s_waitcnt lgkmcnt(0)
	v_add_u32_e32 v32, v66, v32
	ds_write_b32 v67, v32
.LBB501_41:                             ;   in Loop: Header=BB501_29 Depth=1
	s_or_b64 exec, exec, s[42:43]
	v_lshrrev_b32_e32 v32, v10, v144
	v_and_b32_e32 v52, v32, v37
	v_lshl_add_u32 v32, v52, 2, v97
	v_lshl_add_u32 v32, v32, 2, v12
	; wave barrier
	v_add_u32_e32 v70, 16, v32
	ds_read_b32 v69, v32 offset:16
	v_and_b32_e32 v32, 1, v52
	v_add_co_u32_e64 v33, s[42:43], -1, v32
	v_addc_co_u32_e64 v54, s[42:43], 0, -1, s[42:43]
	v_cmp_ne_u32_e64 s[42:43], 0, v32
	v_xor_b32_e32 v32, s43, v54
	v_xor_b32_e32 v33, s42, v33
	v_and_b32_e32 v54, exec_hi, v32
	v_and_b32_e32 v71, exec_lo, v33
	v_lshlrev_b32_e32 v33, 30, v52
	v_mov_b32_e32 v32, v5
	v_cmp_gt_i64_e64 s[42:43], 0, v[32:33]
	v_not_b32_e32 v32, v33
	v_ashrrev_i32_e32 v32, 31, v32
	v_xor_b32_e32 v33, s43, v32
	v_xor_b32_e32 v32, s42, v32
	v_and_b32_e32 v54, v54, v33
	v_and_b32_e32 v71, v71, v32
	v_lshlrev_b32_e32 v33, 29, v52
	v_mov_b32_e32 v32, v5
	v_cmp_gt_i64_e64 s[42:43], 0, v[32:33]
	v_not_b32_e32 v32, v33
	v_ashrrev_i32_e32 v32, 31, v32
	v_xor_b32_e32 v33, s43, v32
	v_xor_b32_e32 v32, s42, v32
	v_and_b32_e32 v54, v54, v33
	v_and_b32_e32 v71, v71, v32
	;; [unrolled: 9-line block ×7, first 2 shown]
	v_mbcnt_lo_u32_b32 v52, v32, 0
	v_mbcnt_hi_u32_b32 v71, v33, v52
	v_cmp_ne_u64_e64 s[42:43], 0, v[32:33]
	v_cmp_eq_u32_e64 s[44:45], 0, v71
	s_and_b64 s[44:45], s[42:43], s[44:45]
	; wave barrier
	s_and_saveexec_b64 s[42:43], s[44:45]
	s_cbranch_execz .LBB501_43
; %bb.42:                               ;   in Loop: Header=BB501_29 Depth=1
	v_bcnt_u32_b32 v32, v32, 0
	v_bcnt_u32_b32 v32, v33, v32
	s_waitcnt lgkmcnt(0)
	v_add_u32_e32 v32, v69, v32
	ds_write_b32 v70, v32
.LBB501_43:                             ;   in Loop: Header=BB501_29 Depth=1
	s_or_b64 exec, exec, s[42:43]
	v_lshrrev_b32_e32 v32, v10, v135
	v_and_b32_e32 v52, v32, v37
	v_lshl_add_u32 v32, v52, 2, v97
	v_lshl_add_u32 v32, v32, 2, v12
	; wave barrier
	v_add_u32_e32 v80, 16, v32
	ds_read_b32 v37, v32 offset:16
	v_and_b32_e32 v32, 1, v52
	v_add_co_u32_e64 v33, s[42:43], -1, v32
	v_addc_co_u32_e64 v54, s[42:43], 0, -1, s[42:43]
	v_cmp_ne_u32_e64 s[42:43], 0, v32
	v_xor_b32_e32 v32, s43, v54
	v_xor_b32_e32 v33, s42, v33
	v_and_b32_e32 v54, exec_hi, v32
	v_and_b32_e32 v81, exec_lo, v33
	v_lshlrev_b32_e32 v33, 30, v52
	v_mov_b32_e32 v32, v5
	v_cmp_gt_i64_e64 s[42:43], 0, v[32:33]
	v_not_b32_e32 v32, v33
	v_ashrrev_i32_e32 v32, 31, v32
	v_xor_b32_e32 v33, s43, v32
	v_xor_b32_e32 v32, s42, v32
	v_and_b32_e32 v54, v54, v33
	v_and_b32_e32 v81, v81, v32
	v_lshlrev_b32_e32 v33, 29, v52
	v_mov_b32_e32 v32, v5
	v_cmp_gt_i64_e64 s[42:43], 0, v[32:33]
	v_not_b32_e32 v32, v33
	v_ashrrev_i32_e32 v32, 31, v32
	v_xor_b32_e32 v33, s43, v32
	v_xor_b32_e32 v32, s42, v32
	v_and_b32_e32 v54, v54, v33
	v_and_b32_e32 v81, v81, v32
	;; [unrolled: 9-line block ×7, first 2 shown]
	v_mbcnt_lo_u32_b32 v52, v32, 0
	v_mbcnt_hi_u32_b32 v81, v33, v52
	v_cmp_ne_u64_e64 s[42:43], 0, v[32:33]
	v_cmp_eq_u32_e64 s[44:45], 0, v81
	s_and_b64 s[44:45], s[42:43], s[44:45]
	; wave barrier
	s_and_saveexec_b64 s[42:43], s[44:45]
	s_cbranch_execz .LBB501_45
; %bb.44:                               ;   in Loop: Header=BB501_29 Depth=1
	v_bcnt_u32_b32 v32, v32, 0
	v_bcnt_u32_b32 v32, v33, v32
	s_waitcnt lgkmcnt(0)
	v_add_u32_e32 v32, v37, v32
	ds_write_b32 v80, v32
.LBB501_45:                             ;   in Loop: Header=BB501_29 Depth=1
	s_or_b64 exec, exec, s[42:43]
	; wave barrier
	s_waitcnt lgkmcnt(0)
	s_barrier
	ds_read_b32 v52, v1
	ds_read_b32 v33, v86
	;; [unrolled: 1-line block ×4, first 2 shown]
	s_waitcnt lgkmcnt(2)
	v_add_u32_e32 v82, v33, v52
	s_waitcnt lgkmcnt(0)
	v_add3_u32 v54, v82, v32, v54
	s_nop 1
	v_mov_b32_dpp v82, v54 row_shr:1 row_mask:0xf bank_mask:0xf
	v_cndmask_b32_e64 v82, v82, 0, vcc
	v_add_u32_e32 v54, v82, v54
	s_nop 1
	v_mov_b32_dpp v82, v54 row_shr:2 row_mask:0xf bank_mask:0xf
	v_cndmask_b32_e64 v82, 0, v82, s[4:5]
	v_add_u32_e32 v54, v54, v82
	s_nop 1
	v_mov_b32_dpp v82, v54 row_shr:4 row_mask:0xf bank_mask:0xf
	v_cndmask_b32_e64 v82, 0, v82, s[6:7]
	v_add_u32_e32 v54, v54, v82
	s_nop 1
	v_mov_b32_dpp v82, v54 row_shr:8 row_mask:0xf bank_mask:0xf
	v_cndmask_b32_e64 v82, 0, v82, s[10:11]
	v_add_u32_e32 v54, v54, v82
	s_nop 1
	v_mov_b32_dpp v82, v54 row_bcast:15 row_mask:0xf bank_mask:0xf
	v_cndmask_b32_e64 v82, v82, 0, s[40:41]
	v_add_u32_e32 v54, v54, v82
	s_nop 1
	v_mov_b32_dpp v82, v54 row_bcast:31 row_mask:0xf bank_mask:0xf
	v_cndmask_b32_e64 v82, 0, v82, s[14:15]
	v_add_u32_e32 v54, v54, v82
	s_and_saveexec_b64 s[42:43], s[16:17]
; %bb.46:                               ;   in Loop: Header=BB501_29 Depth=1
	ds_write_b32 v100, v54
; %bb.47:                               ;   in Loop: Header=BB501_29 Depth=1
	s_or_b64 exec, exec, s[42:43]
	s_waitcnt lgkmcnt(0)
	s_barrier
	s_and_saveexec_b64 s[42:43], s[18:19]
	s_cbranch_execz .LBB501_49
; %bb.48:                               ;   in Loop: Header=BB501_29 Depth=1
	ds_read_b32 v82, v98
	s_waitcnt lgkmcnt(0)
	s_nop 0
	v_mov_b32_dpp v83, v82 row_shr:1 row_mask:0xf bank_mask:0xf
	v_cndmask_b32_e64 v83, v83, 0, s[26:27]
	v_add_u32_e32 v82, v83, v82
	s_nop 1
	v_mov_b32_dpp v83, v82 row_shr:2 row_mask:0xf bank_mask:0xf
	v_cndmask_b32_e64 v83, 0, v83, s[28:29]
	v_add_u32_e32 v82, v82, v83
	ds_write_b32 v98, v82
.LBB501_49:                             ;   in Loop: Header=BB501_29 Depth=1
	s_or_b64 exec, exec, s[42:43]
	v_mov_b32_e32 v82, 0
	s_waitcnt lgkmcnt(0)
	s_barrier
	s_and_saveexec_b64 s[42:43], s[20:21]
; %bb.50:                               ;   in Loop: Header=BB501_29 Depth=1
	ds_read_b32 v82, v101
; %bb.51:                               ;   in Loop: Header=BB501_29 Depth=1
	s_or_b64 exec, exec, s[42:43]
	s_waitcnt lgkmcnt(0)
	v_add_u32_e32 v54, v82, v54
	ds_bpermute_b32 v54, v99, v54
	v_add_u32_e32 v10, 8, v10
	v_cmp_lt_u32_e64 s[42:43], v10, v11
	s_mov_b64 s[60:61], -1
                                        ; implicit-def: $vgpr160
                                        ; implicit-def: $vgpr151
                                        ; implicit-def: $vgpr83_vgpr84
	s_waitcnt lgkmcnt(0)
	v_cndmask_b32_e64 v54, v54, v82, s[22:23]
	v_cndmask_b32_e64 v54, v54, 0, s[24:25]
	v_add_u32_e32 v52, v54, v52
	v_add_u32_e32 v33, v52, v33
	;; [unrolled: 1-line block ×3, first 2 shown]
	ds_write_b32 v1, v54
	ds_write_b32 v86, v52
	ds_write_b32 v87, v33
	ds_write_b32 v96, v32
	s_waitcnt lgkmcnt(0)
	s_barrier
	ds_read_b32 v4, v4
	ds_read_b32 v32, v36
	ds_read_b32 v33, v48
	s_waitcnt lgkmcnt(2)
	v_add_u32_e32 v4, v4, v34
	s_waitcnt lgkmcnt(1)
	v_add3_u32 v54, v38, v35, v32
	s_waitcnt lgkmcnt(0)
	v_add3_u32 v52, v49, v39, v33
	ds_read_b32 v32, v51
	ds_read_b32 v33, v64
	;; [unrolled: 1-line block ×5, first 2 shown]
	s_waitcnt lgkmcnt(4)
	v_add3_u32 v80, v53, v50, v32
	s_waitcnt lgkmcnt(3)
	v_add3_u32 v70, v65, v55, v33
	v_lshlrev_b64 v[32:33], 2, v[4:5]
	v_mov_b32_e32 v55, v5
	v_add_co_u32_e64 v161, s[44:45], v12, v32
	v_lshlrev_b64 v[32:33], 2, v[54:55]
	v_mov_b32_e32 v53, v5
	v_add_co_u32_e64 v162, s[44:45], v12, v32
	v_lshlrev_b64 v[32:33], 2, v[52:53]
	s_waitcnt lgkmcnt(0)
	v_add3_u32 v64, v81, v37, v36
	v_mov_b32_e32 v81, v5
	v_add_co_u32_e64 v163, s[44:45], v12, v32
	v_lshlrev_b64 v[32:33], 2, v[80:81]
	v_add3_u32 v68, v68, v66, v34
	v_add3_u32 v66, v71, v69, v35
	v_mov_b32_e32 v71, v5
	v_add_co_u32_e64 v164, s[44:45], v12, v32
	v_lshlrev_b64 v[32:33], 2, v[70:71]
	v_mov_b32_e32 v69, v5
	v_add_co_u32_e64 v165, s[44:45], v12, v32
	v_lshlrev_b64 v[32:33], 2, v[68:69]
	;; [unrolled: 3-line block ×4, first 2 shown]
	v_add_co_u32_e64 v176, s[44:45], v12, v32
                                        ; implicit-def: $vgpr71
                                        ; implicit-def: $vgpr69
                                        ; implicit-def: $vgpr67
                                        ; implicit-def: $vgpr65
                                        ; implicit-def: $vgpr55
                                        ; implicit-def: $vgpr53
                                        ; implicit-def: $vgpr32_vgpr33
                                        ; implicit-def: $vgpr34_vgpr35
                                        ; implicit-def: $vgpr36_vgpr37
                                        ; implicit-def: $vgpr38_vgpr39
                                        ; implicit-def: $vgpr48_vgpr49
                                        ; implicit-def: $vgpr50_vgpr51
                                        ; implicit-def: $vgpr81_vgpr82
	s_and_saveexec_b64 s[44:45], s[42:43]
	s_cbranch_execz .LBB501_28
; %bb.52:                               ;   in Loop: Header=BB501_29 Depth=1
	v_lshl_add_u32 v32, v4, 2, v161
	s_barrier
	ds_write_b32 v161, v150
	ds_write_b32 v162, v149
	;; [unrolled: 1-line block ×8, first 2 shown]
	s_waitcnt lgkmcnt(0)
	s_barrier
	ds_read_b32 v53, v102
	ds_read_b32 v55, v103
	;; [unrolled: 1-line block ×8, first 2 shown]
	s_waitcnt lgkmcnt(0)
	s_barrier
	ds_write_b64 v32, v[30:31]
	v_lshl_add_u32 v32, v54, 2, v162
	ds_write_b64 v32, v[28:29]
	v_lshl_add_u32 v32, v52, 2, v163
	ds_write_b64 v32, v[22:23]
	v_lshl_add_u32 v32, v80, 2, v164
	ds_write_b64 v32, v[19:20]
	v_lshl_add_u32 v32, v70, 2, v165
	ds_write_b64 v32, v[17:18]
	v_lshl_add_u32 v32, v68, 2, v166
	ds_write_b64 v32, v[15:16]
	v_lshl_add_u32 v32, v66, 2, v167
	ds_write_b64 v32, v[13:14]
	v_lshl_add_u32 v32, v64, 2, v176
	ds_write_b64 v32, v[8:9]
	s_waitcnt lgkmcnt(0)
	s_barrier
	ds_read_b64 v[32:33], v118
	ds_read_b64 v[34:35], v119
	;; [unrolled: 1-line block ×8, first 2 shown]
	v_add_u32_e32 v134, -8, v134
	s_xor_b64 s[60:61], exec, -1
	s_waitcnt lgkmcnt(0)
	s_barrier
	s_branch .LBB501_28
.LBB501_53:
	s_or_b64 exec, exec, s[58:59]
	v_lshl_add_u32 v1, v4, 2, v161
	s_barrier
	ds_write_b32 v161, v150
	ds_write_b32 v162, v149
	;; [unrolled: 1-line block ×8, first 2 shown]
	s_waitcnt lgkmcnt(0)
	s_barrier
	ds_read2st64_b32 v[38:39], v98 offset1:4
	ds_read2st64_b32 v[36:37], v98 offset0:8 offset1:12
	ds_read2st64_b32 v[34:35], v98 offset0:16 offset1:20
	;; [unrolled: 1-line block ×3, first 2 shown]
	s_waitcnt lgkmcnt(0)
	s_barrier
	ds_write_b64 v1, v[30:31]
	v_lshl_add_u32 v1, v54, 2, v162
	ds_write_b64 v1, v[28:29]
	v_lshl_add_u32 v1, v52, 2, v163
	;; [unrolled: 2-line block ×8, first 2 shown]
	s_waitcnt lgkmcnt(0)
	s_barrier
	ds_read2st64_b64 v[20:23], v1 offset1:4
	ds_read2st64_b64 v[16:19], v1 offset0:8 offset1:12
	ds_read2st64_b64 v[12:15], v1 offset0:16 offset1:20
	;; [unrolled: 1-line block ×3, first 2 shown]
	v_add_co_u32_e32 v4, vcc, v2, v24
	v_mov_b32_e32 v1, 0
	v_addc_co_u32_e32 v5, vcc, v3, v25, vcc
	v_lshlrev_b64 v[2:3], 2, v[0:1]
	v_cmp_lt_u32_e64 s[4:5], v0, v85
	v_add_co_u32_e32 v2, vcc, v4, v2
	v_addc_co_u32_e32 v3, vcc, v5, v3, vcc
	s_waitcnt lgkmcnt(0)
	s_barrier
	s_and_saveexec_b64 s[6:7], s[4:5]
	s_cbranch_execz .LBB501_55
; %bb.54:
	v_xor_b32_e32 v4, 0x7fffffff, v38
	flat_store_dword v[2:3], v4
.LBB501_55:
	s_or_b64 exec, exec, s[6:7]
	v_add_u32_e32 v4, 0x100, v0
	v_cmp_lt_u32_e64 s[10:11], v4, v85
	s_and_saveexec_b64 s[6:7], s[10:11]
	s_cbranch_execz .LBB501_57
; %bb.56:
	v_xor_b32_e32 v4, 0x7fffffff, v39
	flat_store_dword v[2:3], v4 offset:1024
.LBB501_57:
	s_or_b64 exec, exec, s[6:7]
	v_add_u32_e32 v4, 0x200, v0
	v_cmp_lt_u32_e64 s[16:17], v4, v85
	s_and_saveexec_b64 s[6:7], s[16:17]
	s_cbranch_execz .LBB501_59
; %bb.58:
	v_xor_b32_e32 v4, 0x7fffffff, v36
	flat_store_dword v[2:3], v4 offset:2048
.LBB501_59:
	;; [unrolled: 9-line block ×3, first 2 shown]
	s_or_b64 exec, exec, s[6:7]
	v_add_u32_e32 v4, 0x400, v0
	v_cmp_lt_u32_e64 s[6:7], v4, v85
	s_and_saveexec_b64 s[14:15], s[6:7]
	s_cbranch_execz .LBB501_63
; %bb.62:
	v_add_co_u32_e32 v4, vcc, 0x1000, v2
	v_xor_b32_e32 v24, 0x7fffffff, v34
	v_addc_co_u32_e32 v5, vcc, 0, v3, vcc
	flat_store_dword v[4:5], v24
.LBB501_63:
	s_or_b64 exec, exec, s[14:15]
	v_add_u32_e32 v4, 0x500, v0
	v_cmp_lt_u32_e64 s[14:15], v4, v85
	s_and_saveexec_b64 s[18:19], s[14:15]
	s_cbranch_execz .LBB501_65
; %bb.64:
	v_add_co_u32_e32 v4, vcc, 0x1000, v2
	v_xor_b32_e32 v24, 0x7fffffff, v35
	v_addc_co_u32_e32 v5, vcc, 0, v3, vcc
	flat_store_dword v[4:5], v24 offset:1024
.LBB501_65:
	s_or_b64 exec, exec, s[18:19]
	v_add_u32_e32 v4, 0x600, v0
	v_cmp_lt_u32_e64 s[18:19], v4, v85
	s_and_saveexec_b64 s[20:21], s[18:19]
	s_cbranch_execz .LBB501_67
; %bb.66:
	v_add_co_u32_e32 v4, vcc, 0x1000, v2
	v_xor_b32_e32 v24, 0x7fffffff, v32
	v_addc_co_u32_e32 v5, vcc, 0, v3, vcc
	flat_store_dword v[4:5], v24 offset:2048
.LBB501_67:
	;; [unrolled: 11-line block ×3, first 2 shown]
	s_or_b64 exec, exec, s[24:25]
	v_add_co_u32_e32 v2, vcc, v6, v26
	v_lshlrev_b64 v[0:1], 3, v[0:1]
	v_addc_co_u32_e32 v3, vcc, v7, v27, vcc
	v_add_co_u32_e32 v0, vcc, v2, v0
	v_addc_co_u32_e32 v1, vcc, v3, v1, vcc
	s_and_saveexec_b64 s[24:25], s[4:5]
	s_cbranch_execnz .LBB501_119
; %bb.70:
	s_or_b64 exec, exec, s[24:25]
	s_and_saveexec_b64 s[4:5], s[10:11]
	s_cbranch_execnz .LBB501_120
.LBB501_71:
	s_or_b64 exec, exec, s[4:5]
	s_and_saveexec_b64 s[4:5], s[16:17]
	s_cbranch_execnz .LBB501_121
.LBB501_72:
	s_or_b64 exec, exec, s[4:5]
	s_and_saveexec_b64 s[4:5], s[22:23]
	s_cbranch_execnz .LBB501_122
.LBB501_73:
	s_or_b64 exec, exec, s[4:5]
	s_and_saveexec_b64 s[4:5], s[6:7]
	s_cbranch_execnz .LBB501_123
.LBB501_74:
	s_or_b64 exec, exec, s[4:5]
	s_and_saveexec_b64 s[4:5], s[14:15]
	s_cbranch_execnz .LBB501_124
.LBB501_75:
	s_or_b64 exec, exec, s[4:5]
	s_and_saveexec_b64 s[4:5], s[18:19]
	s_cbranch_execnz .LBB501_125
.LBB501_76:
	s_or_b64 exec, exec, s[4:5]
	s_and_saveexec_b64 s[4:5], s[20:21]
	s_cbranch_execz .LBB501_78
.LBB501_77:
	v_add_co_u32_e32 v0, vcc, 0x3000, v0
	v_addc_co_u32_e32 v1, vcc, 0, v1, vcc
	flat_store_dwordx2 v[0:1], v[10:11] offset:2048
.LBB501_78:
	s_or_b64 exec, exec, s[4:5]
                                        ; implicit-def: $vgpr85
                                        ; implicit-def: $vgpr0
                                        ; implicit-def: $vgpr1
                                        ; implicit-def: $vgpr2
                                        ; implicit-def: $vgpr3
                                        ; implicit-def: $vgpr4
                                        ; implicit-def: $vgpr5
                                        ; implicit-def: $vgpr6
                                        ; implicit-def: $vgpr7
                                        ; implicit-def: $vgpr8
                                        ; implicit-def: $vgpr10
                                        ; implicit-def: $vgpr11
                                        ; implicit-def: $vgpr12
                                        ; implicit-def: $vgpr31
                                        ; implicit-def: $vgpr20
                                        ; implicit-def: $vgpr22
                                        ; implicit-def: $vgpr18
.LBB501_79:
	s_andn2_saveexec_b64 s[4:5], s[56:57]
	s_cbranch_execz .LBB501_199
; %bb.80:
	s_movk_i32 s4, 0x200
	v_cmp_lt_u32_e32 vcc, s4, v85
	s_and_saveexec_b64 s[4:5], vcc
	s_xor_b64 s[56:57], exec, s[4:5]
	s_cbranch_execz .LBB501_140
; %bb.81:
	s_load_dwordx2 s[4:5], s[8:9], 0x0
	v_mov_b32_e32 v9, 0
	v_mbcnt_hi_u32_b32 v32, -1, v18
	v_lshlrev_b64 v[18:19], 2, v[8:9]
	v_and_b32_e32 v17, 0x3ff, v31
	s_waitcnt lgkmcnt(0)
	s_cmp_lt_u32 s13, s5
	s_cselect_b32 s5, 14, 20
	s_add_u32 s6, s8, s5
	s_addc_u32 s7, s9, 0
	s_cmp_lt_u32 s12, s4
	s_cselect_b32 s4, 12, 18
	s_add_u32 s4, s8, s4
	global_load_ushort v16, v9, s[6:7]
	s_addc_u32 s5, s9, 0
	global_load_ushort v21, v9, s[4:5]
	v_add_co_u32_e32 v25, vcc, v0, v18
	v_addc_co_u32_e32 v26, vcc, v1, v19, vcc
	v_and_b32_e32 v33, 63, v32
	v_mov_b32_e32 v23, v9
	v_lshlrev_b32_e32 v24, 2, v33
	v_bfrev_b32_e32 v13, 1
	v_mov_b32_e32 v14, v13
	v_mov_b32_e32 v15, v13
	s_waitcnt vmcnt(0)
	v_mad_u32_u24 v0, v22, v16, v20
	v_add_co_u32_e32 v16, vcc, v25, v24
	v_mad_u64_u32 v[0:1], s[4:5], v0, v21, v[17:18]
	v_addc_co_u32_e32 v24, vcc, 0, v26, vcc
	v_lshlrev_b32_e32 v1, 2, v0
	v_and_b32_e32 v22, 0xffffff00, v1
	v_lshlrev_b64 v[20:21], 2, v[22:23]
	v_or_b32_e32 v1, v22, v33
	v_add_co_u32_e64 v20, s[4:5], v16, v20
	v_cmp_lt_u32_e32 vcc, v1, v85
	v_addc_co_u32_e64 v21, s[4:5], v24, v21, s[4:5]
	v_mov_b32_e32 v16, v13
	s_and_saveexec_b64 s[4:5], vcc
	s_cbranch_execz .LBB501_83
; %bb.82:
	flat_load_dword v24, v[20:21]
	v_mov_b32_e32 v25, v13
	v_mov_b32_e32 v26, v13
	;; [unrolled: 1-line block ×3, first 2 shown]
	s_waitcnt vmcnt(0) lgkmcnt(0)
	v_mov_b32_e32 v13, v24
	v_mov_b32_e32 v14, v25
	;; [unrolled: 1-line block ×4, first 2 shown]
.LBB501_83:
	s_or_b64 exec, exec, s[4:5]
	v_or_b32_e32 v24, 64, v1
	v_cmp_lt_u32_e64 s[4:5], v24, v85
	s_and_saveexec_b64 s[6:7], s[4:5]
	s_cbranch_execz .LBB501_85
; %bb.84:
	flat_load_dword v14, v[20:21] offset:256
.LBB501_85:
	s_or_b64 exec, exec, s[6:7]
	v_or_b32_e32 v24, 0x80, v1
	v_cmp_lt_u32_e64 s[6:7], v24, v85
	s_and_saveexec_b64 s[10:11], s[6:7]
	s_cbranch_execz .LBB501_87
; %bb.86:
	flat_load_dword v15, v[20:21] offset:512
.LBB501_87:
	;; [unrolled: 8-line block ×3, first 2 shown]
	s_or_b64 exec, exec, s[14:15]
	v_lshlrev_b64 v[20:21], 3, v[8:9]
                                        ; implicit-def: $vgpr24_vgpr25
	v_add_co_u32_e64 v1, s[14:15], v4, v20
	v_addc_co_u32_e64 v4, s[14:15], v5, v21, s[14:15]
	v_lshlrev_b32_e32 v5, 3, v33
	v_add_co_u32_e64 v1, s[14:15], v1, v5
	v_addc_co_u32_e64 v8, s[14:15], 0, v4, s[14:15]
	v_lshlrev_b64 v[4:5], 3, v[22:23]
	v_add_co_u32_e64 v4, s[14:15], v1, v4
	v_addc_co_u32_e64 v5, s[14:15], v8, v5, s[14:15]
	s_and_saveexec_b64 s[14:15], vcc
	s_cbranch_execnz .LBB501_164
; %bb.90:
	s_or_b64 exec, exec, s[14:15]
                                        ; implicit-def: $vgpr26_vgpr27
	s_and_saveexec_b64 s[14:15], s[4:5]
	s_cbranch_execnz .LBB501_165
.LBB501_91:
	s_or_b64 exec, exec, s[14:15]
                                        ; implicit-def: $vgpr28_vgpr29
	s_and_saveexec_b64 s[4:5], s[6:7]
	s_cbranch_execnz .LBB501_166
.LBB501_92:
	s_or_b64 exec, exec, s[4:5]
                                        ; implicit-def: $vgpr30_vgpr31
	s_and_saveexec_b64 s[4:5], s[10:11]
	s_cbranch_execz .LBB501_94
.LBB501_93:
	flat_load_dwordx2 v[30:31], v[4:5] offset:1536
.LBB501_94:
	s_or_b64 exec, exec, s[4:5]
	v_lshl_add_u32 v8, v17, 4, v12
	s_getpc_b64 s[4:5]
	s_add_u32 s4, s4, _ZN7rocprim17ROCPRIM_400000_NS16block_radix_sortIiLj256ELj4ElLj1ELj1ELj8ELNS0_26block_radix_rank_algorithmE2ELNS0_18block_padding_hintE2ELNS0_4arch9wavefront6targetE1EE19radix_bits_per_passE@rel32@lo+4
	s_addc_u32 s5, s5, _ZN7rocprim17ROCPRIM_400000_NS16block_radix_sortIiLj256ELj4ElLj1ELj1ELj8ELNS0_26block_radix_rank_algorithmE2ELNS0_18block_padding_hintE2ELNS0_4arch9wavefront6targetE1EE19radix_bits_per_passE@rel32@hi+12
	v_add_u32_e32 v1, 16, v8
	v_add_u32_e32 v38, 20, v8
	;; [unrolled: 1-line block ×4, first 2 shown]
	v_and_b32_e32 v8, 15, v32
	s_load_dword s62, s[4:5], 0x0
	v_cmp_eq_u32_e32 vcc, 0, v8
	v_cmp_lt_u32_e64 s[4:5], 1, v8
	v_cmp_lt_u32_e64 s[6:7], 3, v8
	;; [unrolled: 1-line block ×3, first 2 shown]
	v_and_b32_e32 v8, 16, v32
	v_cmp_eq_u32_e64 s[40:41], 0, v8
	v_and_b32_e32 v8, 0x3c0, v17
	v_min_u32_e32 v8, 0xc0, v8
	v_or_b32_e32 v8, 63, v8
	v_cmp_eq_u32_e64 s[16:17], v17, v8
	v_subrev_co_u32_e64 v8, s[22:23], 1, v32
	v_and_b32_e32 v9, 64, v32
	v_lshlrev_b32_e32 v4, 2, v17
	v_cmp_lt_i32_e64 s[24:25], v8, v9
	s_movk_i32 s42, 0xf00
	v_cndmask_b32_e64 v8, v8, v32, s[24:25]
	v_add_co_u32_e64 v50, s[26:27], v12, v4
	v_and_or_b32 v4, v4, s42, v33
	v_lshlrev_b32_e32 v51, 2, v8
	v_lshrrev_b32_e32 v8, 4, v17
	v_lshlrev_b32_e32 v4, 2, v4
	v_and_b32_e32 v8, 60, v8
	v_add_u32_e32 v54, v12, v4
	v_add_u32_e32 v52, v12, v8
	v_and_b32_e32 v8, 3, v32
	v_add_u32_e32 v66, v54, v4
	v_xor_b32_e32 v35, 0x7fffffff, v13
	s_waitcnt vmcnt(0) lgkmcnt(0)
	v_xor_b32_e32 v37, 0x7fffffff, v14
	v_xor_b32_e32 v83, 0x7fffffff, v15
	;; [unrolled: 1-line block ×3, first 2 shown]
	v_mov_b32_e32 v5, 0
	v_lshrrev_b32_e32 v49, 6, v0
	v_cmp_lt_u32_e64 s[14:15], 31, v32
	v_cmp_gt_u32_e64 s[18:19], 4, v17
	v_cmp_lt_u32_e64 s[20:21], 63, v17
	v_cmp_eq_u32_e64 s[24:25], 0, v17
	v_cmp_eq_u32_e64 s[26:27], 0, v8
	v_cmp_lt_u32_e64 s[28:29], 1, v8
	v_add_u32_e32 v53, -4, v52
	v_add_u32_e32 v55, 0x100, v54
	v_add_u32_e32 v64, 0x200, v54
	v_add_u32_e32 v65, 0x300, v54
	v_add_u32_e32 v67, 0x200, v66
	v_add_u32_e32 v68, 0x400, v66
	v_add_u32_e32 v69, 0x600, v66
	v_sub_u32_e32 v70, v11, v10
	s_mov_b64 s[58:59], 0
	s_barrier
	s_branch .LBB501_96
.LBB501_95:                             ;   in Loop: Header=BB501_96 Depth=1
	s_or_b64 exec, exec, s[44:45]
	s_and_b64 s[42:43], exec, s[60:61]
	s_or_b64 s[58:59], s[42:43], s[58:59]
	s_andn2_b64 exec, exec, s[58:59]
	s_cbranch_execz .LBB501_126
.LBB501_96:                             ; =>This Inner Loop Header: Depth=1
	v_min_u32_e32 v4, s62, v70
	v_mov_b32_e32 v82, v35
	v_mov_b32_e32 v8, v30
	v_lshlrev_b32_e64 v4, v4, -1
	v_mov_b32_e32 v15, v26
	v_mov_b32_e32 v9, v31
	v_not_b32_e32 v30, v4
	v_lshrrev_b32_e32 v4, v10, v82
	v_mov_b32_e32 v16, v27
	v_and_b32_e32 v26, v4, v30
	v_mov_b32_e32 v22, v24
	v_lshl_add_u32 v4, v26, 2, v49
	v_mov_b32_e32 v23, v25
	v_lshlrev_b64 v[24:25], 2, v[4:5]
	v_mov_b32_e32 v13, v28
	v_add_co_u32_e64 v4, s[42:43], v12, v24
	v_add_co_u32_e64 v4, s[42:43], 16, v4
	v_and_b32_e32 v24, 1, v26
	v_add_co_u32_e64 v25, s[42:43], -1, v24
	v_addc_co_u32_e64 v27, s[42:43], 0, -1, s[42:43]
	v_cmp_ne_u32_e64 s[42:43], 0, v24
	v_xor_b32_e32 v24, s43, v27
	v_xor_b32_e32 v25, s42, v25
	v_mov_b32_e32 v14, v29
	v_and_b32_e32 v27, exec_hi, v24
	v_and_b32_e32 v28, exec_lo, v25
	v_lshlrev_b32_e32 v25, 30, v26
	v_mov_b32_e32 v24, v5
	v_cmp_gt_i64_e64 s[42:43], 0, v[24:25]
	v_not_b32_e32 v24, v25
	v_ashrrev_i32_e32 v24, 31, v24
	v_xor_b32_e32 v25, s43, v24
	v_xor_b32_e32 v24, s42, v24
	v_and_b32_e32 v27, v27, v25
	v_and_b32_e32 v28, v28, v24
	v_lshlrev_b32_e32 v25, 29, v26
	v_mov_b32_e32 v24, v5
	v_cmp_gt_i64_e64 s[42:43], 0, v[24:25]
	v_not_b32_e32 v24, v25
	v_ashrrev_i32_e32 v24, 31, v24
	v_xor_b32_e32 v25, s43, v24
	v_xor_b32_e32 v24, s42, v24
	v_and_b32_e32 v27, v27, v25
	v_and_b32_e32 v28, v28, v24
	v_lshlrev_b32_e32 v25, 28, v26
	v_mov_b32_e32 v24, v5
	v_cmp_gt_i64_e64 s[42:43], 0, v[24:25]
	v_not_b32_e32 v24, v25
	v_ashrrev_i32_e32 v24, 31, v24
	v_xor_b32_e32 v25, s43, v24
	v_xor_b32_e32 v24, s42, v24
	v_and_b32_e32 v27, v27, v25
	v_and_b32_e32 v28, v28, v24
	v_lshlrev_b32_e32 v25, 27, v26
	v_mov_b32_e32 v24, v5
	v_cmp_gt_i64_e64 s[42:43], 0, v[24:25]
	v_not_b32_e32 v24, v25
	v_ashrrev_i32_e32 v24, 31, v24
	v_xor_b32_e32 v25, s43, v24
	v_xor_b32_e32 v24, s42, v24
	v_and_b32_e32 v27, v27, v25
	v_and_b32_e32 v28, v28, v24
	v_lshlrev_b32_e32 v25, 26, v26
	v_mov_b32_e32 v24, v5
	v_cmp_gt_i64_e64 s[42:43], 0, v[24:25]
	v_not_b32_e32 v24, v25
	v_ashrrev_i32_e32 v24, 31, v24
	v_xor_b32_e32 v25, s43, v24
	v_xor_b32_e32 v24, s42, v24
	v_and_b32_e32 v27, v27, v25
	v_and_b32_e32 v28, v28, v24
	v_lshlrev_b32_e32 v25, 25, v26
	v_mov_b32_e32 v24, v5
	v_cmp_gt_i64_e64 s[42:43], 0, v[24:25]
	v_not_b32_e32 v24, v25
	v_ashrrev_i32_e32 v24, 31, v24
	v_xor_b32_e32 v25, s43, v24
	v_xor_b32_e32 v24, s42, v24
	v_and_b32_e32 v27, v27, v25
	v_and_b32_e32 v28, v28, v24
	v_lshlrev_b32_e32 v25, 24, v26
	v_mov_b32_e32 v24, v5
	v_cmp_gt_i64_e64 s[42:43], 0, v[24:25]
	v_not_b32_e32 v24, v25
	v_ashrrev_i32_e32 v24, 31, v24
	v_xor_b32_e32 v25, s43, v24
	v_xor_b32_e32 v24, s42, v24
	v_and_b32_e32 v24, v28, v24
	v_and_b32_e32 v25, v27, v25
	v_mbcnt_lo_u32_b32 v26, v24, 0
	v_mbcnt_hi_u32_b32 v26, v25, v26
	v_cmp_ne_u64_e64 s[42:43], 0, v[24:25]
	v_cmp_eq_u32_e64 s[44:45], 0, v26
	v_mov_b32_e32 v71, v84
	v_mov_b32_e32 v80, v83
	;; [unrolled: 1-line block ×3, first 2 shown]
	s_and_b64 s[44:45], s[42:43], s[44:45]
	ds_write_b32 v1, v5
	ds_write_b32 v38, v5
	;; [unrolled: 1-line block ×4, first 2 shown]
	s_waitcnt lgkmcnt(0)
	s_barrier
	; wave barrier
	s_and_saveexec_b64 s[42:43], s[44:45]
; %bb.97:                               ;   in Loop: Header=BB501_96 Depth=1
	v_bcnt_u32_b32 v24, v24, 0
	v_bcnt_u32_b32 v24, v25, v24
	ds_write_b32 v4, v24
; %bb.98:                               ;   in Loop: Header=BB501_96 Depth=1
	s_or_b64 exec, exec, s[42:43]
	v_lshrrev_b32_e32 v24, v10, v81
	v_and_b32_e32 v29, v24, v30
	v_lshl_add_u32 v24, v29, 2, v49
	v_lshl_add_u32 v24, v24, 2, v12
	; wave barrier
	v_add_u32_e32 v28, 16, v24
	ds_read_b32 v27, v24 offset:16
	v_and_b32_e32 v24, 1, v29
	v_add_co_u32_e64 v25, s[42:43], -1, v24
	v_addc_co_u32_e64 v31, s[42:43], 0, -1, s[42:43]
	v_cmp_ne_u32_e64 s[42:43], 0, v24
	v_xor_b32_e32 v24, s43, v31
	v_xor_b32_e32 v25, s42, v25
	v_and_b32_e32 v31, exec_hi, v24
	v_and_b32_e32 v32, exec_lo, v25
	v_lshlrev_b32_e32 v25, 30, v29
	v_mov_b32_e32 v24, v5
	v_cmp_gt_i64_e64 s[42:43], 0, v[24:25]
	v_not_b32_e32 v24, v25
	v_ashrrev_i32_e32 v24, 31, v24
	v_xor_b32_e32 v25, s43, v24
	v_xor_b32_e32 v24, s42, v24
	v_and_b32_e32 v31, v31, v25
	v_and_b32_e32 v32, v32, v24
	v_lshlrev_b32_e32 v25, 29, v29
	v_mov_b32_e32 v24, v5
	v_cmp_gt_i64_e64 s[42:43], 0, v[24:25]
	v_not_b32_e32 v24, v25
	v_ashrrev_i32_e32 v24, 31, v24
	v_xor_b32_e32 v25, s43, v24
	v_xor_b32_e32 v24, s42, v24
	v_and_b32_e32 v31, v31, v25
	v_and_b32_e32 v32, v32, v24
	v_lshlrev_b32_e32 v25, 28, v29
	v_mov_b32_e32 v24, v5
	v_cmp_gt_i64_e64 s[42:43], 0, v[24:25]
	v_not_b32_e32 v24, v25
	v_ashrrev_i32_e32 v24, 31, v24
	v_xor_b32_e32 v25, s43, v24
	v_xor_b32_e32 v24, s42, v24
	v_and_b32_e32 v31, v31, v25
	v_and_b32_e32 v32, v32, v24
	v_lshlrev_b32_e32 v25, 27, v29
	v_mov_b32_e32 v24, v5
	v_cmp_gt_i64_e64 s[42:43], 0, v[24:25]
	v_not_b32_e32 v24, v25
	v_ashrrev_i32_e32 v24, 31, v24
	v_xor_b32_e32 v25, s43, v24
	v_xor_b32_e32 v24, s42, v24
	v_and_b32_e32 v31, v31, v25
	v_and_b32_e32 v32, v32, v24
	v_lshlrev_b32_e32 v25, 26, v29
	v_mov_b32_e32 v24, v5
	v_cmp_gt_i64_e64 s[42:43], 0, v[24:25]
	v_not_b32_e32 v24, v25
	v_ashrrev_i32_e32 v24, 31, v24
	v_xor_b32_e32 v25, s43, v24
	v_xor_b32_e32 v24, s42, v24
	v_and_b32_e32 v31, v31, v25
	v_and_b32_e32 v32, v32, v24
	v_lshlrev_b32_e32 v25, 25, v29
	v_mov_b32_e32 v24, v5
	v_cmp_gt_i64_e64 s[42:43], 0, v[24:25]
	v_not_b32_e32 v24, v25
	v_ashrrev_i32_e32 v24, 31, v24
	v_xor_b32_e32 v25, s43, v24
	v_xor_b32_e32 v24, s42, v24
	v_and_b32_e32 v31, v31, v25
	v_and_b32_e32 v32, v32, v24
	v_lshlrev_b32_e32 v25, 24, v29
	v_mov_b32_e32 v24, v5
	v_cmp_gt_i64_e64 s[42:43], 0, v[24:25]
	v_not_b32_e32 v24, v25
	v_ashrrev_i32_e32 v24, 31, v24
	v_xor_b32_e32 v25, s43, v24
	v_xor_b32_e32 v24, s42, v24
	v_and_b32_e32 v24, v32, v24
	v_and_b32_e32 v25, v31, v25
	v_mbcnt_lo_u32_b32 v29, v24, 0
	v_mbcnt_hi_u32_b32 v29, v25, v29
	v_cmp_ne_u64_e64 s[42:43], 0, v[24:25]
	v_cmp_eq_u32_e64 s[44:45], 0, v29
	s_and_b64 s[44:45], s[42:43], s[44:45]
	; wave barrier
	s_and_saveexec_b64 s[42:43], s[44:45]
	s_cbranch_execz .LBB501_100
; %bb.99:                               ;   in Loop: Header=BB501_96 Depth=1
	v_bcnt_u32_b32 v24, v24, 0
	v_bcnt_u32_b32 v24, v25, v24
	s_waitcnt lgkmcnt(0)
	v_add_u32_e32 v24, v27, v24
	ds_write_b32 v28, v24
.LBB501_100:                            ;   in Loop: Header=BB501_96 Depth=1
	s_or_b64 exec, exec, s[42:43]
	v_lshrrev_b32_e32 v24, v10, v80
	v_and_b32_e32 v33, v24, v30
	v_lshl_add_u32 v24, v33, 2, v49
	v_lshl_add_u32 v24, v24, 2, v12
	; wave barrier
	v_add_u32_e32 v32, 16, v24
	ds_read_b32 v31, v24 offset:16
	v_and_b32_e32 v24, 1, v33
	v_add_co_u32_e64 v25, s[42:43], -1, v24
	v_addc_co_u32_e64 v34, s[42:43], 0, -1, s[42:43]
	v_cmp_ne_u32_e64 s[42:43], 0, v24
	v_xor_b32_e32 v24, s43, v34
	v_xor_b32_e32 v25, s42, v25
	v_and_b32_e32 v34, exec_hi, v24
	v_and_b32_e32 v35, exec_lo, v25
	v_lshlrev_b32_e32 v25, 30, v33
	v_mov_b32_e32 v24, v5
	v_cmp_gt_i64_e64 s[42:43], 0, v[24:25]
	v_not_b32_e32 v24, v25
	v_ashrrev_i32_e32 v24, 31, v24
	v_xor_b32_e32 v25, s43, v24
	v_xor_b32_e32 v24, s42, v24
	v_and_b32_e32 v34, v34, v25
	v_and_b32_e32 v35, v35, v24
	v_lshlrev_b32_e32 v25, 29, v33
	v_mov_b32_e32 v24, v5
	v_cmp_gt_i64_e64 s[42:43], 0, v[24:25]
	v_not_b32_e32 v24, v25
	v_ashrrev_i32_e32 v24, 31, v24
	v_xor_b32_e32 v25, s43, v24
	v_xor_b32_e32 v24, s42, v24
	v_and_b32_e32 v34, v34, v25
	v_and_b32_e32 v35, v35, v24
	v_lshlrev_b32_e32 v25, 28, v33
	v_mov_b32_e32 v24, v5
	v_cmp_gt_i64_e64 s[42:43], 0, v[24:25]
	v_not_b32_e32 v24, v25
	v_ashrrev_i32_e32 v24, 31, v24
	v_xor_b32_e32 v25, s43, v24
	v_xor_b32_e32 v24, s42, v24
	v_and_b32_e32 v34, v34, v25
	v_and_b32_e32 v35, v35, v24
	v_lshlrev_b32_e32 v25, 27, v33
	v_mov_b32_e32 v24, v5
	v_cmp_gt_i64_e64 s[42:43], 0, v[24:25]
	v_not_b32_e32 v24, v25
	v_ashrrev_i32_e32 v24, 31, v24
	v_xor_b32_e32 v25, s43, v24
	v_xor_b32_e32 v24, s42, v24
	v_and_b32_e32 v34, v34, v25
	v_and_b32_e32 v35, v35, v24
	v_lshlrev_b32_e32 v25, 26, v33
	v_mov_b32_e32 v24, v5
	v_cmp_gt_i64_e64 s[42:43], 0, v[24:25]
	v_not_b32_e32 v24, v25
	v_ashrrev_i32_e32 v24, 31, v24
	v_xor_b32_e32 v25, s43, v24
	v_xor_b32_e32 v24, s42, v24
	v_and_b32_e32 v34, v34, v25
	v_and_b32_e32 v35, v35, v24
	v_lshlrev_b32_e32 v25, 25, v33
	v_mov_b32_e32 v24, v5
	v_cmp_gt_i64_e64 s[42:43], 0, v[24:25]
	v_not_b32_e32 v24, v25
	v_ashrrev_i32_e32 v24, 31, v24
	v_xor_b32_e32 v25, s43, v24
	v_xor_b32_e32 v24, s42, v24
	v_and_b32_e32 v34, v34, v25
	v_and_b32_e32 v35, v35, v24
	v_lshlrev_b32_e32 v25, 24, v33
	v_mov_b32_e32 v24, v5
	v_cmp_gt_i64_e64 s[42:43], 0, v[24:25]
	v_not_b32_e32 v24, v25
	v_ashrrev_i32_e32 v24, 31, v24
	v_xor_b32_e32 v25, s43, v24
	v_xor_b32_e32 v24, s42, v24
	v_and_b32_e32 v24, v35, v24
	v_and_b32_e32 v25, v34, v25
	v_mbcnt_lo_u32_b32 v33, v24, 0
	v_mbcnt_hi_u32_b32 v33, v25, v33
	v_cmp_ne_u64_e64 s[42:43], 0, v[24:25]
	v_cmp_eq_u32_e64 s[44:45], 0, v33
	s_and_b64 s[44:45], s[42:43], s[44:45]
	; wave barrier
	s_and_saveexec_b64 s[42:43], s[44:45]
	s_cbranch_execz .LBB501_102
; %bb.101:                              ;   in Loop: Header=BB501_96 Depth=1
	v_bcnt_u32_b32 v24, v24, 0
	v_bcnt_u32_b32 v24, v25, v24
	s_waitcnt lgkmcnt(0)
	v_add_u32_e32 v24, v31, v24
	ds_write_b32 v32, v24
.LBB501_102:                            ;   in Loop: Header=BB501_96 Depth=1
	s_or_b64 exec, exec, s[42:43]
	v_lshrrev_b32_e32 v24, v10, v71
	v_and_b32_e32 v35, v24, v30
	v_lshl_add_u32 v24, v35, 2, v49
	v_lshl_add_u32 v24, v24, 2, v12
	; wave barrier
	v_add_u32_e32 v34, 16, v24
	ds_read_b32 v30, v24 offset:16
	v_and_b32_e32 v24, 1, v35
	v_add_co_u32_e64 v25, s[42:43], -1, v24
	v_addc_co_u32_e64 v36, s[42:43], 0, -1, s[42:43]
	v_cmp_ne_u32_e64 s[42:43], 0, v24
	v_xor_b32_e32 v24, s43, v36
	v_xor_b32_e32 v25, s42, v25
	v_and_b32_e32 v36, exec_hi, v24
	v_and_b32_e32 v37, exec_lo, v25
	v_lshlrev_b32_e32 v25, 30, v35
	v_mov_b32_e32 v24, v5
	v_cmp_gt_i64_e64 s[42:43], 0, v[24:25]
	v_not_b32_e32 v24, v25
	v_ashrrev_i32_e32 v24, 31, v24
	v_xor_b32_e32 v25, s43, v24
	v_xor_b32_e32 v24, s42, v24
	v_and_b32_e32 v36, v36, v25
	v_and_b32_e32 v37, v37, v24
	v_lshlrev_b32_e32 v25, 29, v35
	v_mov_b32_e32 v24, v5
	v_cmp_gt_i64_e64 s[42:43], 0, v[24:25]
	v_not_b32_e32 v24, v25
	v_ashrrev_i32_e32 v24, 31, v24
	v_xor_b32_e32 v25, s43, v24
	v_xor_b32_e32 v24, s42, v24
	v_and_b32_e32 v36, v36, v25
	v_and_b32_e32 v37, v37, v24
	;; [unrolled: 9-line block ×7, first 2 shown]
	v_mbcnt_lo_u32_b32 v35, v24, 0
	v_mbcnt_hi_u32_b32 v35, v25, v35
	v_cmp_ne_u64_e64 s[42:43], 0, v[24:25]
	v_cmp_eq_u32_e64 s[44:45], 0, v35
	s_and_b64 s[44:45], s[42:43], s[44:45]
	; wave barrier
	s_and_saveexec_b64 s[42:43], s[44:45]
	s_cbranch_execz .LBB501_104
; %bb.103:                              ;   in Loop: Header=BB501_96 Depth=1
	v_bcnt_u32_b32 v24, v24, 0
	v_bcnt_u32_b32 v24, v25, v24
	s_waitcnt lgkmcnt(0)
	v_add_u32_e32 v24, v30, v24
	ds_write_b32 v34, v24
.LBB501_104:                            ;   in Loop: Header=BB501_96 Depth=1
	s_or_b64 exec, exec, s[42:43]
	; wave barrier
	s_waitcnt lgkmcnt(0)
	s_barrier
	ds_read_b32 v36, v1
	ds_read_b32 v25, v38
	;; [unrolled: 1-line block ×4, first 2 shown]
	s_waitcnt lgkmcnt(2)
	v_add_u32_e32 v83, v25, v36
	s_waitcnt lgkmcnt(0)
	v_add3_u32 v37, v83, v24, v37
	s_nop 1
	v_mov_b32_dpp v83, v37 row_shr:1 row_mask:0xf bank_mask:0xf
	v_cndmask_b32_e64 v83, v83, 0, vcc
	v_add_u32_e32 v37, v83, v37
	s_nop 1
	v_mov_b32_dpp v83, v37 row_shr:2 row_mask:0xf bank_mask:0xf
	v_cndmask_b32_e64 v83, 0, v83, s[4:5]
	v_add_u32_e32 v37, v37, v83
	s_nop 1
	v_mov_b32_dpp v83, v37 row_shr:4 row_mask:0xf bank_mask:0xf
	v_cndmask_b32_e64 v83, 0, v83, s[6:7]
	v_add_u32_e32 v37, v37, v83
	s_nop 1
	v_mov_b32_dpp v83, v37 row_shr:8 row_mask:0xf bank_mask:0xf
	v_cndmask_b32_e64 v83, 0, v83, s[10:11]
	v_add_u32_e32 v37, v37, v83
	s_nop 1
	v_mov_b32_dpp v83, v37 row_bcast:15 row_mask:0xf bank_mask:0xf
	v_cndmask_b32_e64 v83, v83, 0, s[40:41]
	v_add_u32_e32 v37, v37, v83
	s_nop 1
	v_mov_b32_dpp v83, v37 row_bcast:31 row_mask:0xf bank_mask:0xf
	v_cndmask_b32_e64 v83, 0, v83, s[14:15]
	v_add_u32_e32 v37, v37, v83
	s_and_saveexec_b64 s[42:43], s[16:17]
; %bb.105:                              ;   in Loop: Header=BB501_96 Depth=1
	ds_write_b32 v52, v37
; %bb.106:                              ;   in Loop: Header=BB501_96 Depth=1
	s_or_b64 exec, exec, s[42:43]
	s_waitcnt lgkmcnt(0)
	s_barrier
	s_and_saveexec_b64 s[42:43], s[18:19]
	s_cbranch_execz .LBB501_108
; %bb.107:                              ;   in Loop: Header=BB501_96 Depth=1
	ds_read_b32 v83, v50
	s_waitcnt lgkmcnt(0)
	s_nop 0
	v_mov_b32_dpp v84, v83 row_shr:1 row_mask:0xf bank_mask:0xf
	v_cndmask_b32_e64 v84, v84, 0, s[26:27]
	v_add_u32_e32 v83, v84, v83
	s_nop 1
	v_mov_b32_dpp v84, v83 row_shr:2 row_mask:0xf bank_mask:0xf
	v_cndmask_b32_e64 v84, 0, v84, s[28:29]
	v_add_u32_e32 v83, v83, v84
	ds_write_b32 v50, v83
.LBB501_108:                            ;   in Loop: Header=BB501_96 Depth=1
	s_or_b64 exec, exec, s[42:43]
	v_mov_b32_e32 v83, 0
	s_waitcnt lgkmcnt(0)
	s_barrier
	s_and_saveexec_b64 s[42:43], s[20:21]
; %bb.109:                              ;   in Loop: Header=BB501_96 Depth=1
	ds_read_b32 v83, v53
; %bb.110:                              ;   in Loop: Header=BB501_96 Depth=1
	s_or_b64 exec, exec, s[42:43]
	s_waitcnt lgkmcnt(0)
	v_add_u32_e32 v37, v83, v37
	ds_bpermute_b32 v37, v51, v37
	v_add_u32_e32 v10, 8, v10
	v_cmp_lt_u32_e64 s[42:43], v10, v11
	s_mov_b64 s[60:61], -1
                                        ; implicit-def: $vgpr84
	s_waitcnt lgkmcnt(0)
	v_cndmask_b32_e64 v37, v37, v83, s[22:23]
	v_cndmask_b32_e64 v37, v37, 0, s[24:25]
	v_add_u32_e32 v36, v37, v36
	v_add_u32_e32 v25, v36, v25
	;; [unrolled: 1-line block ×3, first 2 shown]
	ds_write_b32 v1, v37
	ds_write_b32 v38, v36
	;; [unrolled: 1-line block ×4, first 2 shown]
	s_waitcnt lgkmcnt(0)
	s_barrier
	ds_read_b32 v4, v4
	ds_read_b32 v24, v28
	;; [unrolled: 1-line block ×4, first 2 shown]
	v_mov_b32_e32 v37, v5
	s_waitcnt lgkmcnt(3)
	v_add_u32_e32 v4, v4, v26
	s_waitcnt lgkmcnt(2)
	v_add3_u32 v36, v29, v27, v24
	s_waitcnt lgkmcnt(1)
	v_add3_u32 v34, v33, v31, v25
	v_lshlrev_b64 v[24:25], 2, v[4:5]
	s_waitcnt lgkmcnt(0)
	v_add3_u32 v32, v35, v30, v28
	v_add_co_u32_e64 v86, s[44:45], v12, v24
	v_lshlrev_b64 v[24:25], 2, v[36:37]
	v_mov_b32_e32 v35, v5
	v_add_co_u32_e64 v87, s[44:45], v12, v24
	v_lshlrev_b64 v[24:25], 2, v[34:35]
	v_mov_b32_e32 v33, v5
	v_add_co_u32_e64 v96, s[44:45], v12, v24
	v_lshlrev_b64 v[24:25], 2, v[32:33]
	v_add_co_u32_e64 v33, s[44:45], v12, v24
                                        ; implicit-def: $vgpr83
                                        ; implicit-def: $vgpr37
                                        ; implicit-def: $vgpr35
                                        ; implicit-def: $vgpr24_vgpr25
                                        ; implicit-def: $vgpr26_vgpr27
                                        ; implicit-def: $vgpr28_vgpr29
                                        ; implicit-def: $vgpr30_vgpr31
	s_and_saveexec_b64 s[44:45], s[42:43]
	s_cbranch_execz .LBB501_95
; %bb.111:                              ;   in Loop: Header=BB501_96 Depth=1
	v_lshl_add_u32 v24, v4, 2, v86
	s_barrier
	ds_write_b32 v86, v82
	ds_write_b32 v87, v81
	;; [unrolled: 1-line block ×4, first 2 shown]
	s_waitcnt lgkmcnt(0)
	s_barrier
	ds_read_b32 v35, v54
	ds_read_b32 v37, v55
	;; [unrolled: 1-line block ×4, first 2 shown]
	s_waitcnt lgkmcnt(0)
	s_barrier
	ds_write_b64 v24, v[22:23]
	v_lshl_add_u32 v24, v36, 2, v87
	ds_write_b64 v24, v[15:16]
	v_lshl_add_u32 v24, v34, 2, v96
	;; [unrolled: 2-line block ×3, first 2 shown]
	ds_write_b64 v24, v[8:9]
	s_waitcnt lgkmcnt(0)
	s_barrier
	ds_read_b64 v[24:25], v66
	ds_read_b64 v[26:27], v67
	;; [unrolled: 1-line block ×4, first 2 shown]
	v_add_u32_e32 v70, -8, v70
	s_xor_b64 s[60:61], exec, -1
	s_waitcnt lgkmcnt(0)
	s_barrier
	s_branch .LBB501_95
.LBB501_112:
	flat_load_dwordx2 v[32:33], v[4:5]
	s_or_b64 exec, exec, s[22:23]
                                        ; implicit-def: $vgpr34_vgpr35
	s_and_saveexec_b64 s[22:23], s[4:5]
	s_cbranch_execz .LBB501_20
.LBB501_113:
	flat_load_dwordx2 v[34:35], v[4:5] offset:512
	s_or_b64 exec, exec, s[22:23]
                                        ; implicit-def: $vgpr36_vgpr37
	s_and_saveexec_b64 s[4:5], s[6:7]
	s_cbranch_execz .LBB501_21
.LBB501_114:
	flat_load_dwordx2 v[36:37], v[4:5] offset:1024
	s_or_b64 exec, exec, s[4:5]
                                        ; implicit-def: $vgpr38_vgpr39
	s_and_saveexec_b64 s[4:5], s[10:11]
	s_cbranch_execz .LBB501_22
.LBB501_115:
	flat_load_dwordx2 v[38:39], v[4:5] offset:1536
	s_or_b64 exec, exec, s[4:5]
                                        ; implicit-def: $vgpr48_vgpr49
	s_and_saveexec_b64 s[4:5], s[20:21]
	s_cbranch_execz .LBB501_23
.LBB501_116:
	flat_load_dwordx2 v[48:49], v[4:5] offset:2048
	s_or_b64 exec, exec, s[4:5]
                                        ; implicit-def: $vgpr50_vgpr51
	s_and_saveexec_b64 s[4:5], s[14:15]
	s_cbranch_execz .LBB501_24
.LBB501_117:
	flat_load_dwordx2 v[50:51], v[4:5] offset:2560
	s_or_b64 exec, exec, s[4:5]
                                        ; implicit-def: $vgpr81_vgpr82
	s_and_saveexec_b64 s[4:5], s[16:17]
	s_cbranch_execz .LBB501_25
.LBB501_118:
	flat_load_dwordx2 v[81:82], v[4:5] offset:3072
	s_or_b64 exec, exec, s[4:5]
                                        ; implicit-def: $vgpr83_vgpr84
	s_and_saveexec_b64 s[4:5], s[18:19]
	s_cbranch_execnz .LBB501_26
	s_branch .LBB501_27
.LBB501_119:
	flat_store_dwordx2 v[0:1], v[20:21]
	s_or_b64 exec, exec, s[24:25]
	s_and_saveexec_b64 s[4:5], s[10:11]
	s_cbranch_execz .LBB501_71
.LBB501_120:
	flat_store_dwordx2 v[0:1], v[22:23] offset:2048
	s_or_b64 exec, exec, s[4:5]
	s_and_saveexec_b64 s[4:5], s[16:17]
	s_cbranch_execz .LBB501_72
.LBB501_121:
	v_add_co_u32_e32 v2, vcc, 0x1000, v0
	v_addc_co_u32_e32 v3, vcc, 0, v1, vcc
	flat_store_dwordx2 v[2:3], v[16:17]
	s_or_b64 exec, exec, s[4:5]
	s_and_saveexec_b64 s[4:5], s[22:23]
	s_cbranch_execz .LBB501_73
.LBB501_122:
	v_add_co_u32_e32 v2, vcc, 0x1000, v0
	v_addc_co_u32_e32 v3, vcc, 0, v1, vcc
	flat_store_dwordx2 v[2:3], v[18:19] offset:2048
	s_or_b64 exec, exec, s[4:5]
	s_and_saveexec_b64 s[4:5], s[6:7]
	s_cbranch_execz .LBB501_74
.LBB501_123:
	v_add_co_u32_e32 v2, vcc, 0x2000, v0
	v_addc_co_u32_e32 v3, vcc, 0, v1, vcc
	flat_store_dwordx2 v[2:3], v[12:13]
	s_or_b64 exec, exec, s[4:5]
	s_and_saveexec_b64 s[4:5], s[14:15]
	s_cbranch_execz .LBB501_75
.LBB501_124:
	v_add_co_u32_e32 v2, vcc, 0x2000, v0
	v_addc_co_u32_e32 v3, vcc, 0, v1, vcc
	flat_store_dwordx2 v[2:3], v[14:15] offset:2048
	s_or_b64 exec, exec, s[4:5]
	s_and_saveexec_b64 s[4:5], s[18:19]
	s_cbranch_execz .LBB501_76
.LBB501_125:
	v_add_co_u32_e32 v2, vcc, 0x3000, v0
	v_addc_co_u32_e32 v3, vcc, 0, v1, vcc
	flat_store_dwordx2 v[2:3], v[8:9]
	s_or_b64 exec, exec, s[4:5]
	s_and_saveexec_b64 s[4:5], s[20:21]
	s_cbranch_execnz .LBB501_77
	s_branch .LBB501_78
.LBB501_126:
	s_or_b64 exec, exec, s[58:59]
	v_lshl_add_u32 v1, v4, 2, v86
	s_barrier
	ds_write_b32 v86, v82
	ds_write_b32 v87, v81
	;; [unrolled: 1-line block ×4, first 2 shown]
	s_waitcnt lgkmcnt(0)
	s_barrier
	ds_read2st64_b32 v[26:27], v50 offset1:4
	ds_read2st64_b32 v[24:25], v50 offset0:8 offset1:12
	s_waitcnt lgkmcnt(0)
	s_barrier
	ds_write_b64 v1, v[22:23]
	v_lshl_add_u32 v1, v36, 2, v87
	ds_write_b64 v1, v[15:16]
	v_lshl_add_u32 v1, v34, 2, v96
	;; [unrolled: 2-line block ×4, first 2 shown]
	s_waitcnt lgkmcnt(0)
	s_barrier
	ds_read2st64_b64 v[12:15], v1 offset1:4
	ds_read2st64_b64 v[8:11], v1 offset0:8 offset1:12
	v_add_co_u32_e32 v4, vcc, v2, v18
	v_mov_b32_e32 v1, 0
	v_addc_co_u32_e32 v5, vcc, v3, v19, vcc
	v_lshlrev_b64 v[2:3], 2, v[0:1]
	s_waitcnt lgkmcnt(0)
	v_add_co_u32_e32 v2, vcc, v4, v2
	v_addc_co_u32_e32 v3, vcc, v5, v3, vcc
	v_cmp_lt_u32_e32 vcc, v0, v85
	s_barrier
	s_and_saveexec_b64 s[4:5], vcc
	s_cbranch_execz .LBB501_128
; %bb.127:
	v_xor_b32_e32 v4, 0x7fffffff, v26
	flat_store_dword v[2:3], v4
.LBB501_128:
	s_or_b64 exec, exec, s[4:5]
	v_add_u32_e32 v4, 0x100, v0
	v_cmp_lt_u32_e64 s[4:5], v4, v85
	s_and_saveexec_b64 s[6:7], s[4:5]
	s_cbranch_execz .LBB501_130
; %bb.129:
	v_xor_b32_e32 v4, 0x7fffffff, v27
	flat_store_dword v[2:3], v4 offset:1024
.LBB501_130:
	s_or_b64 exec, exec, s[6:7]
	v_add_u32_e32 v4, 0x200, v0
	v_cmp_lt_u32_e64 s[10:11], v4, v85
	s_and_saveexec_b64 s[6:7], s[10:11]
	s_cbranch_execz .LBB501_132
; %bb.131:
	v_xor_b32_e32 v4, 0x7fffffff, v24
	flat_store_dword v[2:3], v4 offset:2048
.LBB501_132:
	;; [unrolled: 9-line block ×3, first 2 shown]
	s_or_b64 exec, exec, s[14:15]
	v_add_co_u32_e64 v2, s[14:15], v6, v20
	v_lshlrev_b64 v[0:1], 3, v[0:1]
	v_addc_co_u32_e64 v3, s[14:15], v7, v21, s[14:15]
	v_add_co_u32_e64 v0, s[14:15], v2, v0
	v_addc_co_u32_e64 v1, s[14:15], v3, v1, s[14:15]
	s_and_saveexec_b64 s[14:15], vcc
	s_cbranch_execnz .LBB501_167
; %bb.135:
	s_or_b64 exec, exec, s[14:15]
	s_and_saveexec_b64 s[14:15], s[4:5]
	s_cbranch_execnz .LBB501_168
.LBB501_136:
	s_or_b64 exec, exec, s[14:15]
	s_and_saveexec_b64 s[4:5], s[10:11]
	s_cbranch_execnz .LBB501_169
.LBB501_137:
	s_or_b64 exec, exec, s[4:5]
	s_and_saveexec_b64 s[4:5], s[6:7]
	s_cbranch_execz .LBB501_139
.LBB501_138:
	v_add_co_u32_e32 v0, vcc, 0x1000, v0
	v_addc_co_u32_e32 v1, vcc, 0, v1, vcc
	flat_store_dwordx2 v[0:1], v[10:11] offset:2048
.LBB501_139:
	s_or_b64 exec, exec, s[4:5]
                                        ; implicit-def: $vgpr85
                                        ; implicit-def: $vgpr0
                                        ; implicit-def: $vgpr1
                                        ; implicit-def: $vgpr2
                                        ; implicit-def: $vgpr3
                                        ; implicit-def: $vgpr4
                                        ; implicit-def: $vgpr5
                                        ; implicit-def: $vgpr6
                                        ; implicit-def: $vgpr7
                                        ; implicit-def: $vgpr8
                                        ; implicit-def: $vgpr10
                                        ; implicit-def: $vgpr11
                                        ; implicit-def: $vgpr12
                                        ; implicit-def: $vgpr31
                                        ; implicit-def: $vgpr20
                                        ; implicit-def: $vgpr22
                                        ; implicit-def: $vgpr18
.LBB501_140:
	s_andn2_saveexec_b64 s[4:5], s[56:57]
	s_cbranch_execz .LBB501_199
; %bb.141:
	s_load_dwordx2 s[4:5], s[8:9], 0x0
	v_mov_b32_e32 v9, 0
	v_and_b32_e32 v17, 0x3ff, v31
	v_lshlrev_b64 v[15:16], 2, v[8:9]
	s_waitcnt lgkmcnt(0)
	s_cmp_lt_u32 s13, s5
	s_cselect_b32 s5, 14, 20
	s_add_u32 s6, s8, s5
	s_addc_u32 s7, s9, 0
	s_cmp_lt_u32 s12, s4
	s_cselect_b32 s4, 12, 18
	s_add_u32 s4, s8, s4
	global_load_ushort v13, v9, s[6:7]
	s_addc_u32 s5, s9, 0
	global_load_ushort v14, v9, s[4:5]
	s_waitcnt vmcnt(0)
	v_mad_u32_u24 v13, v22, v13, v20
	v_mad_u64_u32 v[13:14], s[4:5], v13, v14, v[17:18]
	s_movk_i32 s4, 0x100
	v_cmp_lt_u32_e32 vcc, s4, v85
	s_and_saveexec_b64 s[4:5], vcc
	s_xor_b64 s[42:43], exec, s[4:5]
	s_cbranch_execz .LBB501_179
; %bb.142:
	v_mbcnt_hi_u32_b32 v25, -1, v18
	v_add_co_u32_e32 v0, vcc, v0, v15
	v_and_b32_e32 v24, 63, v25
	v_lshlrev_b32_e32 v14, 1, v13
	v_addc_co_u32_e32 v1, vcc, v1, v16, vcc
	v_and_b32_e32 v20, 0xffffff80, v14
	v_lshlrev_b32_e32 v14, 2, v24
	v_add_co_u32_e32 v14, vcc, v0, v14
	v_mov_b32_e32 v21, v9
	v_addc_co_u32_e32 v18, vcc, 0, v1, vcc
	v_lshlrev_b64 v[0:1], 2, v[20:21]
	v_add_co_u32_e32 v0, vcc, v14, v0
	v_addc_co_u32_e32 v1, vcc, v18, v1, vcc
	v_or_b32_e32 v14, v24, v20
	v_bfrev_b32_e32 v18, 1
	v_cmp_lt_u32_e32 vcc, v14, v85
	v_mov_b32_e32 v19, v18
	s_and_saveexec_b64 s[4:5], vcc
	s_cbranch_execz .LBB501_144
; %bb.143:
	flat_load_dword v22, v[0:1]
	v_mov_b32_e32 v23, v18
	s_waitcnt vmcnt(0) lgkmcnt(0)
	v_mov_b32_e32 v18, v22
	v_mov_b32_e32 v19, v23
.LBB501_144:
	s_or_b64 exec, exec, s[4:5]
	v_or_b32_e32 v14, 64, v14
	v_cmp_lt_u32_e64 s[4:5], v14, v85
	s_and_saveexec_b64 s[6:7], s[4:5]
	s_cbranch_execz .LBB501_146
; %bb.145:
	flat_load_dword v19, v[0:1] offset:256
.LBB501_146:
	s_or_b64 exec, exec, s[6:7]
	v_lshlrev_b64 v[0:1], 3, v[8:9]
	v_lshlrev_b32_e32 v8, 3, v24
	v_add_co_u32_e64 v4, s[6:7], v4, v0
	v_addc_co_u32_e64 v5, s[6:7], v5, v1, s[6:7]
	v_add_co_u32_e64 v8, s[6:7], v4, v8
	v_addc_co_u32_e64 v9, s[6:7], 0, v5, s[6:7]
	v_lshlrev_b64 v[4:5], 3, v[20:21]
	v_mov_b32_e32 v22, 0
	v_mov_b32_e32 v20, 0
	v_add_co_u32_e64 v4, s[6:7], v8, v4
	v_mov_b32_e32 v23, 0
	v_mov_b32_e32 v21, 0
	v_addc_co_u32_e64 v5, s[6:7], v9, v5, s[6:7]
	s_and_saveexec_b64 s[6:7], vcc
	s_cbranch_execz .LBB501_148
; %bb.147:
	flat_load_dwordx2 v[20:21], v[4:5]
.LBB501_148:
	s_or_b64 exec, exec, s[6:7]
	s_and_saveexec_b64 s[6:7], s[4:5]
	s_cbranch_execz .LBB501_150
; %bb.149:
	flat_load_dwordx2 v[22:23], v[4:5] offset:512
.LBB501_150:
	s_or_b64 exec, exec, s[6:7]
	v_lshl_add_u32 v8, v17, 4, v12
	s_getpc_b64 s[4:5]
	s_add_u32 s4, s4, _ZN7rocprim17ROCPRIM_400000_NS16block_radix_sortIiLj256ELj2ElLj1ELj1ELj8ELNS0_26block_radix_rank_algorithmE2ELNS0_18block_padding_hintE2ELNS0_4arch9wavefront6targetE1EE19radix_bits_per_passE@rel32@lo+4
	s_addc_u32 s5, s5, _ZN7rocprim17ROCPRIM_400000_NS16block_radix_sortIiLj256ELj2ElLj1ELj1ELj8ELNS0_26block_radix_rank_algorithmE2ELNS0_18block_padding_hintE2ELNS0_4arch9wavefront6targetE1EE19radix_bits_per_passE@rel32@hi+12
	v_add_u32_e32 v14, 16, v8
	v_add_u32_e32 v26, 20, v8
	;; [unrolled: 1-line block ×4, first 2 shown]
	v_and_b32_e32 v8, 15, v25
	s_load_dword s58, s[4:5], 0x0
	v_cmp_eq_u32_e32 vcc, 0, v8
	v_cmp_lt_u32_e64 s[4:5], 1, v8
	v_cmp_lt_u32_e64 s[6:7], 3, v8
	;; [unrolled: 1-line block ×3, first 2 shown]
	v_and_b32_e32 v8, 16, v25
	v_cmp_eq_u32_e64 s[10:11], 0, v8
	v_and_b32_e32 v8, 0x3c0, v17
	v_min_u32_e32 v8, 0xc0, v8
	v_lshlrev_b32_e32 v4, 2, v17
	v_or_b32_e32 v8, 63, v8
	v_cmp_eq_u32_e64 s[14:15], v17, v8
	v_subrev_co_u32_e64 v8, s[20:21], 1, v25
	v_and_b32_e32 v9, 64, v25
	v_add_co_u32_e64 v30, s[24:25], v12, v4
	v_and_b32_e32 v4, 3, v25
	v_cmp_lt_i32_e64 s[22:23], v8, v9
	v_cmp_eq_u32_e64 s[24:25], 0, v4
	v_cmp_lt_u32_e64 s[26:27], 1, v4
	v_lshlrev_b32_e32 v4, 1, v17
	s_movk_i32 s28, 0x780
	v_cndmask_b32_e64 v8, v8, v25, s[22:23]
	v_and_or_b32 v4, v4, s28, v24
	v_lshlrev_b32_e32 v31, 2, v8
	v_lshrrev_b32_e32 v8, 4, v17
	v_lshlrev_b32_e32 v4, 2, v4
	v_and_b32_e32 v8, 60, v8
	v_add_u32_e32 v34, v12, v4
	v_add_u32_e32 v32, v12, v8
	v_add_u32_e32 v36, v34, v4
	v_xor_b32_e32 v49, 0x7fffffff, v18
	s_waitcnt vmcnt(0) lgkmcnt(0)
	v_xor_b32_e32 v50, 0x7fffffff, v19
	v_mov_b32_e32 v5, 0
	v_lshrrev_b32_e32 v29, 6, v13
	v_cmp_lt_u32_e64 s[12:13], 31, v25
	v_cmp_gt_u32_e64 s[16:17], 4, v17
	v_cmp_lt_u32_e64 s[18:19], 63, v17
	v_cmp_eq_u32_e64 s[22:23], 0, v17
	v_add_u32_e32 v33, -4, v32
	v_add_u32_e32 v35, 0x100, v34
	v_add_u32_e32 v37, 0x200, v36
	v_sub_u32_e32 v38, v11, v10
	s_mov_b64 s[44:45], 0
	s_barrier
	s_branch .LBB501_152
.LBB501_151:                            ;   in Loop: Header=BB501_152 Depth=1
	s_or_b64 exec, exec, s[40:41]
	s_and_b64 s[28:29], exec, s[56:57]
	s_or_b64 s[44:45], s[28:29], s[44:45]
	s_andn2_b64 exec, exec, s[44:45]
	s_cbranch_execz .LBB501_170
.LBB501_152:                            ; =>This Inner Loop Header: Depth=1
	v_min_u32_e32 v4, s58, v38
	v_mov_b32_e32 v48, v49
	v_mov_b32_e32 v8, v22
	v_lshlrev_b32_e64 v4, v4, -1
	v_mov_b32_e32 v9, v23
	v_not_b32_e32 v23, v4
	v_lshrrev_b32_e32 v4, v10, v48
	v_and_b32_e32 v22, v4, v23
	v_mov_b32_e32 v18, v20
	v_lshl_add_u32 v4, v22, 2, v29
	v_mov_b32_e32 v19, v21
	v_lshlrev_b64 v[20:21], 2, v[4:5]
	v_mov_b32_e32 v39, v50
	v_add_co_u32_e64 v4, s[28:29], v12, v20
	v_add_co_u32_e64 v4, s[28:29], 16, v4
	v_and_b32_e32 v20, 1, v22
	v_add_co_u32_e64 v21, s[28:29], -1, v20
	v_addc_co_u32_e64 v24, s[28:29], 0, -1, s[28:29]
	v_cmp_ne_u32_e64 s[28:29], 0, v20
	v_xor_b32_e32 v20, s29, v24
	v_xor_b32_e32 v21, s28, v21
	v_and_b32_e32 v24, exec_hi, v20
	v_and_b32_e32 v25, exec_lo, v21
	v_lshlrev_b32_e32 v21, 30, v22
	v_mov_b32_e32 v20, v5
	v_cmp_gt_i64_e64 s[28:29], 0, v[20:21]
	v_not_b32_e32 v20, v21
	v_ashrrev_i32_e32 v20, 31, v20
	v_xor_b32_e32 v21, s29, v20
	v_xor_b32_e32 v20, s28, v20
	v_and_b32_e32 v24, v24, v21
	v_and_b32_e32 v25, v25, v20
	v_lshlrev_b32_e32 v21, 29, v22
	v_mov_b32_e32 v20, v5
	v_cmp_gt_i64_e64 s[28:29], 0, v[20:21]
	v_not_b32_e32 v20, v21
	v_ashrrev_i32_e32 v20, 31, v20
	v_xor_b32_e32 v21, s29, v20
	v_xor_b32_e32 v20, s28, v20
	v_and_b32_e32 v24, v24, v21
	v_and_b32_e32 v25, v25, v20
	v_lshlrev_b32_e32 v21, 28, v22
	v_mov_b32_e32 v20, v5
	v_cmp_gt_i64_e64 s[28:29], 0, v[20:21]
	v_not_b32_e32 v20, v21
	v_ashrrev_i32_e32 v20, 31, v20
	v_xor_b32_e32 v21, s29, v20
	v_xor_b32_e32 v20, s28, v20
	v_and_b32_e32 v24, v24, v21
	v_and_b32_e32 v25, v25, v20
	v_lshlrev_b32_e32 v21, 27, v22
	v_mov_b32_e32 v20, v5
	v_cmp_gt_i64_e64 s[28:29], 0, v[20:21]
	v_not_b32_e32 v20, v21
	v_ashrrev_i32_e32 v20, 31, v20
	v_xor_b32_e32 v21, s29, v20
	v_xor_b32_e32 v20, s28, v20
	v_and_b32_e32 v24, v24, v21
	v_and_b32_e32 v25, v25, v20
	v_lshlrev_b32_e32 v21, 26, v22
	v_mov_b32_e32 v20, v5
	v_cmp_gt_i64_e64 s[28:29], 0, v[20:21]
	v_not_b32_e32 v20, v21
	v_ashrrev_i32_e32 v20, 31, v20
	v_xor_b32_e32 v21, s29, v20
	v_xor_b32_e32 v20, s28, v20
	v_and_b32_e32 v24, v24, v21
	v_and_b32_e32 v25, v25, v20
	v_lshlrev_b32_e32 v21, 25, v22
	v_mov_b32_e32 v20, v5
	v_cmp_gt_i64_e64 s[28:29], 0, v[20:21]
	v_not_b32_e32 v20, v21
	v_ashrrev_i32_e32 v20, 31, v20
	v_xor_b32_e32 v21, s29, v20
	v_xor_b32_e32 v20, s28, v20
	v_and_b32_e32 v24, v24, v21
	v_and_b32_e32 v25, v25, v20
	v_lshlrev_b32_e32 v21, 24, v22
	v_mov_b32_e32 v20, v5
	v_cmp_gt_i64_e64 s[28:29], 0, v[20:21]
	v_not_b32_e32 v20, v21
	v_ashrrev_i32_e32 v20, 31, v20
	v_xor_b32_e32 v21, s29, v20
	v_xor_b32_e32 v20, s28, v20
	v_and_b32_e32 v20, v25, v20
	v_and_b32_e32 v21, v24, v21
	v_mbcnt_lo_u32_b32 v22, v20, 0
	v_mbcnt_hi_u32_b32 v22, v21, v22
	v_cmp_ne_u64_e64 s[28:29], 0, v[20:21]
	v_cmp_eq_u32_e64 s[40:41], 0, v22
	s_and_b64 s[40:41], s[28:29], s[40:41]
	ds_write_b32 v14, v5
	ds_write_b32 v26, v5
	;; [unrolled: 1-line block ×4, first 2 shown]
	s_waitcnt lgkmcnt(0)
	s_barrier
	; wave barrier
	s_and_saveexec_b64 s[28:29], s[40:41]
; %bb.153:                              ;   in Loop: Header=BB501_152 Depth=1
	v_bcnt_u32_b32 v20, v20, 0
	v_bcnt_u32_b32 v20, v21, v20
	ds_write_b32 v4, v20
; %bb.154:                              ;   in Loop: Header=BB501_152 Depth=1
	s_or_b64 exec, exec, s[28:29]
	v_lshrrev_b32_e32 v20, v10, v39
	v_and_b32_e32 v25, v20, v23
	v_lshl_add_u32 v20, v25, 2, v29
	v_lshl_add_u32 v20, v20, 2, v12
	; wave barrier
	v_add_u32_e32 v24, 16, v20
	ds_read_b32 v23, v20 offset:16
	v_and_b32_e32 v20, 1, v25
	v_add_co_u32_e64 v21, s[28:29], -1, v20
	v_addc_co_u32_e64 v49, s[28:29], 0, -1, s[28:29]
	v_cmp_ne_u32_e64 s[28:29], 0, v20
	v_xor_b32_e32 v20, s29, v49
	v_xor_b32_e32 v21, s28, v21
	v_and_b32_e32 v49, exec_hi, v20
	v_and_b32_e32 v50, exec_lo, v21
	v_lshlrev_b32_e32 v21, 30, v25
	v_mov_b32_e32 v20, v5
	v_cmp_gt_i64_e64 s[28:29], 0, v[20:21]
	v_not_b32_e32 v20, v21
	v_ashrrev_i32_e32 v20, 31, v20
	v_xor_b32_e32 v21, s29, v20
	v_xor_b32_e32 v20, s28, v20
	v_and_b32_e32 v49, v49, v21
	v_and_b32_e32 v50, v50, v20
	v_lshlrev_b32_e32 v21, 29, v25
	v_mov_b32_e32 v20, v5
	v_cmp_gt_i64_e64 s[28:29], 0, v[20:21]
	v_not_b32_e32 v20, v21
	v_ashrrev_i32_e32 v20, 31, v20
	v_xor_b32_e32 v21, s29, v20
	v_xor_b32_e32 v20, s28, v20
	v_and_b32_e32 v49, v49, v21
	v_and_b32_e32 v50, v50, v20
	;; [unrolled: 9-line block ×7, first 2 shown]
	v_mbcnt_lo_u32_b32 v25, v20, 0
	v_mbcnt_hi_u32_b32 v25, v21, v25
	v_cmp_ne_u64_e64 s[28:29], 0, v[20:21]
	v_cmp_eq_u32_e64 s[40:41], 0, v25
	s_and_b64 s[40:41], s[28:29], s[40:41]
	; wave barrier
	s_and_saveexec_b64 s[28:29], s[40:41]
	s_cbranch_execz .LBB501_156
; %bb.155:                              ;   in Loop: Header=BB501_152 Depth=1
	v_bcnt_u32_b32 v20, v20, 0
	v_bcnt_u32_b32 v20, v21, v20
	s_waitcnt lgkmcnt(0)
	v_add_u32_e32 v20, v23, v20
	ds_write_b32 v24, v20
.LBB501_156:                            ;   in Loop: Header=BB501_152 Depth=1
	s_or_b64 exec, exec, s[28:29]
	; wave barrier
	s_waitcnt lgkmcnt(0)
	s_barrier
	ds_read_b32 v49, v14
	ds_read_b32 v21, v26
	;; [unrolled: 1-line block ×4, first 2 shown]
	s_waitcnt lgkmcnt(2)
	v_add_u32_e32 v51, v21, v49
	s_waitcnt lgkmcnt(0)
	v_add3_u32 v50, v51, v20, v50
	s_nop 1
	v_mov_b32_dpp v51, v50 row_shr:1 row_mask:0xf bank_mask:0xf
	v_cndmask_b32_e64 v51, v51, 0, vcc
	v_add_u32_e32 v50, v51, v50
	s_nop 1
	v_mov_b32_dpp v51, v50 row_shr:2 row_mask:0xf bank_mask:0xf
	v_cndmask_b32_e64 v51, 0, v51, s[4:5]
	v_add_u32_e32 v50, v50, v51
	s_nop 1
	v_mov_b32_dpp v51, v50 row_shr:4 row_mask:0xf bank_mask:0xf
	v_cndmask_b32_e64 v51, 0, v51, s[6:7]
	;; [unrolled: 4-line block ×3, first 2 shown]
	v_add_u32_e32 v50, v50, v51
	s_nop 1
	v_mov_b32_dpp v51, v50 row_bcast:15 row_mask:0xf bank_mask:0xf
	v_cndmask_b32_e64 v51, v51, 0, s[10:11]
	v_add_u32_e32 v50, v50, v51
	s_nop 1
	v_mov_b32_dpp v51, v50 row_bcast:31 row_mask:0xf bank_mask:0xf
	v_cndmask_b32_e64 v51, 0, v51, s[12:13]
	v_add_u32_e32 v50, v50, v51
	s_and_saveexec_b64 s[28:29], s[14:15]
; %bb.157:                              ;   in Loop: Header=BB501_152 Depth=1
	ds_write_b32 v32, v50
; %bb.158:                              ;   in Loop: Header=BB501_152 Depth=1
	s_or_b64 exec, exec, s[28:29]
	s_waitcnt lgkmcnt(0)
	s_barrier
	s_and_saveexec_b64 s[28:29], s[16:17]
	s_cbranch_execz .LBB501_160
; %bb.159:                              ;   in Loop: Header=BB501_152 Depth=1
	ds_read_b32 v51, v30
	s_waitcnt lgkmcnt(0)
	s_nop 0
	v_mov_b32_dpp v52, v51 row_shr:1 row_mask:0xf bank_mask:0xf
	v_cndmask_b32_e64 v52, v52, 0, s[24:25]
	v_add_u32_e32 v51, v52, v51
	s_nop 1
	v_mov_b32_dpp v52, v51 row_shr:2 row_mask:0xf bank_mask:0xf
	v_cndmask_b32_e64 v52, 0, v52, s[26:27]
	v_add_u32_e32 v51, v51, v52
	ds_write_b32 v30, v51
.LBB501_160:                            ;   in Loop: Header=BB501_152 Depth=1
	s_or_b64 exec, exec, s[28:29]
	v_mov_b32_e32 v51, 0
	s_waitcnt lgkmcnt(0)
	s_barrier
	s_and_saveexec_b64 s[28:29], s[18:19]
; %bb.161:                              ;   in Loop: Header=BB501_152 Depth=1
	ds_read_b32 v51, v33
; %bb.162:                              ;   in Loop: Header=BB501_152 Depth=1
	s_or_b64 exec, exec, s[28:29]
	s_waitcnt lgkmcnt(0)
	v_add_u32_e32 v50, v51, v50
	ds_bpermute_b32 v50, v31, v50
	v_add_u32_e32 v10, 8, v10
	v_cmp_lt_u32_e64 s[28:29], v10, v11
	s_mov_b64 s[56:57], -1
	s_waitcnt lgkmcnt(0)
	v_cndmask_b32_e64 v50, v50, v51, s[20:21]
	v_cndmask_b32_e64 v50, v50, 0, s[22:23]
	v_add_u32_e32 v49, v50, v49
	v_add_u32_e32 v21, v49, v21
	;; [unrolled: 1-line block ×3, first 2 shown]
	ds_write_b32 v14, v50
	ds_write_b32 v26, v49
	;; [unrolled: 1-line block ×4, first 2 shown]
	s_waitcnt lgkmcnt(0)
	s_barrier
	ds_read_b32 v4, v4
	ds_read_b32 v20, v24
	s_waitcnt lgkmcnt(0)
                                        ; implicit-def: $vgpr50
                                        ; implicit-def: $vgpr49
	v_add_u32_e32 v4, v4, v22
	v_add3_u32 v24, v25, v23, v20
	v_lshlrev_b64 v[20:21], 2, v[4:5]
	v_mov_b32_e32 v25, v5
	v_add_co_u32_e64 v51, s[40:41], v12, v20
	v_lshlrev_b64 v[20:21], 2, v[24:25]
                                        ; implicit-def: $vgpr22_vgpr23
	v_add_co_u32_e64 v25, s[40:41], v12, v20
                                        ; implicit-def: $vgpr20_vgpr21
	s_and_saveexec_b64 s[40:41], s[28:29]
	s_cbranch_execz .LBB501_151
; %bb.163:                              ;   in Loop: Header=BB501_152 Depth=1
	v_lshl_add_u32 v20, v4, 2, v51
	s_barrier
	ds_write_b32 v51, v48
	ds_write_b32 v25, v39
	s_waitcnt lgkmcnt(0)
	s_barrier
	ds_read_b32 v49, v34
	ds_read_b32 v50, v35
	s_waitcnt lgkmcnt(0)
	s_barrier
	ds_write_b64 v20, v[18:19]
	v_lshl_add_u32 v20, v24, 2, v25
	ds_write_b64 v20, v[8:9]
	s_waitcnt lgkmcnt(0)
	s_barrier
	ds_read_b64 v[20:21], v36
	ds_read_b64 v[22:23], v37
	v_add_u32_e32 v38, -8, v38
	s_xor_b64 s[56:57], exec, -1
	s_waitcnt lgkmcnt(0)
	s_barrier
	s_branch .LBB501_151
.LBB501_164:
	flat_load_dwordx2 v[24:25], v[4:5]
	s_or_b64 exec, exec, s[14:15]
                                        ; implicit-def: $vgpr26_vgpr27
	s_and_saveexec_b64 s[14:15], s[4:5]
	s_cbranch_execz .LBB501_91
.LBB501_165:
	flat_load_dwordx2 v[26:27], v[4:5] offset:512
	s_or_b64 exec, exec, s[14:15]
                                        ; implicit-def: $vgpr28_vgpr29
	s_and_saveexec_b64 s[4:5], s[6:7]
	s_cbranch_execz .LBB501_92
.LBB501_166:
	flat_load_dwordx2 v[28:29], v[4:5] offset:1024
	s_or_b64 exec, exec, s[4:5]
                                        ; implicit-def: $vgpr30_vgpr31
	s_and_saveexec_b64 s[4:5], s[10:11]
	s_cbranch_execnz .LBB501_93
	s_branch .LBB501_94
.LBB501_167:
	flat_store_dwordx2 v[0:1], v[12:13]
	s_or_b64 exec, exec, s[14:15]
	s_and_saveexec_b64 s[14:15], s[4:5]
	s_cbranch_execz .LBB501_136
.LBB501_168:
	flat_store_dwordx2 v[0:1], v[14:15] offset:2048
	s_or_b64 exec, exec, s[14:15]
	s_and_saveexec_b64 s[4:5], s[10:11]
	s_cbranch_execz .LBB501_137
.LBB501_169:
	v_add_co_u32_e32 v2, vcc, 0x1000, v0
	v_addc_co_u32_e32 v3, vcc, 0, v1, vcc
	flat_store_dwordx2 v[2:3], v[8:9]
	s_or_b64 exec, exec, s[4:5]
	s_and_saveexec_b64 s[4:5], s[6:7]
	s_cbranch_execnz .LBB501_138
	s_branch .LBB501_139
.LBB501_170:
	s_or_b64 exec, exec, s[44:45]
	v_lshl_add_u32 v4, v4, 2, v51
	s_barrier
	ds_write_b32 v51, v48
	ds_write_b32 v25, v39
	s_waitcnt lgkmcnt(0)
	s_barrier
	ds_read2st64_b32 v[20:21], v30 offset1:4
	s_waitcnt lgkmcnt(0)
	s_barrier
	ds_write_b64 v4, v[18:19]
	v_lshl_add_u32 v4, v24, 2, v25
	ds_write_b64 v4, v[8:9]
	v_lshl_add_u32 v4, v17, 3, v12
	s_waitcnt lgkmcnt(0)
	s_barrier
	ds_read2st64_b64 v[8:11], v4 offset1:4
	v_add_co_u32_e32 v4, vcc, v2, v15
	v_mov_b32_e32 v14, 0
	v_addc_co_u32_e32 v5, vcc, v3, v16, vcc
	v_lshlrev_b64 v[2:3], 2, v[13:14]
	s_waitcnt lgkmcnt(0)
	v_add_co_u32_e32 v2, vcc, v4, v2
	v_addc_co_u32_e32 v3, vcc, v5, v3, vcc
	v_cmp_lt_u32_e32 vcc, v13, v85
	s_barrier
	s_and_saveexec_b64 s[4:5], vcc
	s_cbranch_execz .LBB501_172
; %bb.171:
	v_xor_b32_e32 v4, 0x7fffffff, v20
	flat_store_dword v[2:3], v4
.LBB501_172:
	s_or_b64 exec, exec, s[4:5]
	v_add_u32_e32 v4, 0x100, v13
	v_cmp_lt_u32_e64 s[4:5], v4, v85
	s_and_saveexec_b64 s[6:7], s[4:5]
	s_cbranch_execz .LBB501_174
; %bb.173:
	v_xor_b32_e32 v4, 0x7fffffff, v21
	flat_store_dword v[2:3], v4 offset:1024
.LBB501_174:
	s_or_b64 exec, exec, s[6:7]
	v_add_co_u32_e64 v2, s[6:7], v6, v0
	v_addc_co_u32_e64 v3, s[6:7], v7, v1, s[6:7]
	v_lshlrev_b64 v[0:1], 3, v[13:14]
	v_add_co_u32_e64 v0, s[6:7], v2, v0
	v_addc_co_u32_e64 v1, s[6:7], v3, v1, s[6:7]
	s_and_saveexec_b64 s[6:7], vcc
	s_cbranch_execz .LBB501_176
; %bb.175:
	flat_store_dwordx2 v[0:1], v[8:9]
.LBB501_176:
	s_or_b64 exec, exec, s[6:7]
	s_and_saveexec_b64 s[6:7], s[4:5]
	s_cbranch_execz .LBB501_178
; %bb.177:
	flat_store_dwordx2 v[0:1], v[10:11] offset:2048
.LBB501_178:
	s_or_b64 exec, exec, s[6:7]
                                        ; implicit-def: $vgpr17
                                        ; implicit-def: $vgpr13_vgpr14
                                        ; implicit-def: $vgpr8_vgpr9
                                        ; implicit-def: $vgpr15_vgpr16
                                        ; implicit-def: $vgpr85
                                        ; implicit-def: $vgpr0
                                        ; implicit-def: $vgpr1
                                        ; implicit-def: $vgpr2
                                        ; implicit-def: $vgpr3
                                        ; implicit-def: $vgpr4
                                        ; implicit-def: $vgpr5
                                        ; implicit-def: $vgpr6
                                        ; implicit-def: $vgpr7
                                        ; implicit-def: $vgpr10
                                        ; implicit-def: $vgpr11
                                        ; implicit-def: $vgpr12
                                        ; implicit-def: $vgpr18
.LBB501_179:
	s_andn2_saveexec_b64 s[4:5], s[42:43]
	s_cbranch_execz .LBB501_199
; %bb.180:
	v_mbcnt_hi_u32_b32 v27, -1, v18
	v_bfi_b32 v14, 63, v27, v13
	v_mov_b32_e32 v32, -1
	v_and_b32_e32 v28, 63, v27
	v_and_b32_e32 v20, 0xffffffc0, v13
	v_cmp_lt_u32_e32 vcc, v14, v85
	s_and_saveexec_b64 s[6:7], vcc
	s_cbranch_execz .LBB501_182
; %bb.181:
	v_add_co_u32_e64 v0, s[4:5], v0, v15
	v_addc_co_u32_e64 v1, s[4:5], v1, v16, s[4:5]
	v_lshlrev_b32_e32 v14, 2, v28
	v_mov_b32_e32 v21, 0
	v_add_co_u32_e64 v14, s[4:5], v0, v14
	v_addc_co_u32_e64 v18, s[4:5], 0, v1, s[4:5]
	v_lshlrev_b64 v[0:1], 2, v[20:21]
	v_add_co_u32_e64 v0, s[4:5], v14, v0
	v_addc_co_u32_e64 v1, s[4:5], v18, v1, s[4:5]
	flat_load_dword v0, v[0:1]
	s_waitcnt vmcnt(0) lgkmcnt(0)
	v_xor_b32_e32 v32, 0x7fffffff, v0
.LBB501_182:
	s_or_b64 exec, exec, s[6:7]
	v_lshlrev_b64 v[0:1], 3, v[8:9]
                                        ; implicit-def: $vgpr18_vgpr19
	s_and_saveexec_b64 s[4:5], vcc
	s_cbranch_execz .LBB501_184
; %bb.183:
	v_add_co_u32_e32 v4, vcc, v4, v0
	v_addc_co_u32_e32 v5, vcc, v5, v1, vcc
	v_lshlrev_b32_e32 v8, 3, v28
	v_mov_b32_e32 v21, 0
	v_add_co_u32_e32 v8, vcc, v4, v8
	v_addc_co_u32_e32 v9, vcc, 0, v5, vcc
	v_lshlrev_b64 v[4:5], 3, v[20:21]
	v_add_co_u32_e32 v4, vcc, v8, v4
	v_addc_co_u32_e32 v5, vcc, v9, v5, vcc
	flat_load_dwordx2 v[18:19], v[4:5]
.LBB501_184:
	s_or_b64 exec, exec, s[4:5]
	v_lshl_add_u32 v8, v17, 4, v12
	s_getpc_b64 s[4:5]
	s_add_u32 s4, s4, _ZN7rocprim17ROCPRIM_400000_NS16block_radix_sortIiLj256ELj1ElLj1ELj1ELj8ELNS0_26block_radix_rank_algorithmE2ELNS0_18block_padding_hintE2ELNS0_4arch9wavefront6targetE1EE19radix_bits_per_passE@rel32@lo+4
	s_addc_u32 s5, s5, _ZN7rocprim17ROCPRIM_400000_NS16block_radix_sortIiLj256ELj1ElLj1ELj1ELj8ELNS0_26block_radix_rank_algorithmE2ELNS0_18block_padding_hintE2ELNS0_4arch9wavefront6targetE1EE19radix_bits_per_passE@rel32@hi+12
	v_add_u32_e32 v14, 16, v8
	v_add_u32_e32 v20, 20, v8
	;; [unrolled: 1-line block ×4, first 2 shown]
	v_and_b32_e32 v8, 15, v27
	s_load_dword s56, s[4:5], 0x0
	v_cmp_eq_u32_e32 vcc, 0, v8
	v_cmp_lt_u32_e64 s[4:5], 1, v8
	v_cmp_lt_u32_e64 s[6:7], 3, v8
	;; [unrolled: 1-line block ×3, first 2 shown]
	v_and_b32_e32 v8, 16, v27
	v_cmp_eq_u32_e64 s[10:11], 0, v8
	v_and_b32_e32 v8, 0x3c0, v17
	v_min_u32_e32 v9, 0xc0, v8
	v_or_b32_e32 v9, 63, v9
	v_cmp_eq_u32_e64 s[14:15], v17, v9
	v_subrev_co_u32_e64 v9, s[20:21], 1, v27
	v_and_b32_e32 v24, 64, v27
	v_lshlrev_b32_e32 v4, 2, v17
	v_cmp_lt_i32_e64 s[22:23], v9, v24
	v_cndmask_b32_e64 v9, v9, v27, s[22:23]
	v_add_co_u32_e64 v24, s[24:25], v12, v4
	v_and_b32_e32 v4, 3, v27
	v_lshlrev_b32_e32 v25, 2, v9
	v_lshrrev_b32_e32 v9, 4, v17
	v_cmp_eq_u32_e64 s[24:25], 0, v4
	v_cmp_lt_u32_e64 s[26:27], 1, v4
	v_or_b32_e32 v4, v28, v8
	v_and_b32_e32 v9, 60, v9
	v_lshlrev_b32_e32 v4, 2, v4
	v_add_u32_e32 v26, v12, v9
	v_add_u32_e32 v28, v12, v4
	v_mov_b32_e32 v5, 0
	v_lshrrev_b32_e32 v23, 6, v13
	v_cmp_lt_u32_e64 s[12:13], 31, v27
	v_cmp_gt_u32_e64 s[16:17], 4, v17
	v_cmp_lt_u32_e64 s[18:19], 63, v17
	v_cmp_eq_u32_e64 s[22:23], 0, v17
	v_add_u32_e32 v27, -4, v26
	v_add_u32_e32 v29, v28, v4
	s_mov_b64 s[42:43], 0
	v_sub_u32_e32 v30, v11, v10
	s_waitcnt vmcnt(0) lgkmcnt(0)
	s_barrier
	s_branch .LBB501_186
.LBB501_185:                            ;   in Loop: Header=BB501_186 Depth=1
	s_or_b64 exec, exec, s[40:41]
	s_and_b64 s[28:29], exec, s[44:45]
	s_or_b64 s[42:43], s[28:29], s[42:43]
	s_andn2_b64 exec, exec, s[42:43]
	s_cbranch_execz .LBB501_196
.LBB501_186:                            ; =>This Inner Loop Header: Depth=1
	v_mov_b32_e32 v8, v18
	v_mov_b32_e32 v31, v32
	;; [unrolled: 1-line block ×3, first 2 shown]
	v_min_u32_e32 v4, s56, v30
	v_lshrrev_b32_e32 v18, v10, v31
	v_bfe_u32 v32, v18, 0, v4
	v_lshl_add_u32 v4, v32, 2, v23
	v_lshlrev_b64 v[18:19], 2, v[4:5]
	ds_write_b32 v14, v5
	ds_write_b32 v20, v5
	;; [unrolled: 1-line block ×4, first 2 shown]
	v_add_co_u32_e64 v4, s[28:29], v12, v18
	v_add_co_u32_e64 v4, s[28:29], 16, v4
	v_and_b32_e32 v18, 1, v32
	v_add_co_u32_e64 v19, s[28:29], -1, v18
	v_addc_co_u32_e64 v33, s[28:29], 0, -1, s[28:29]
	v_cmp_ne_u32_e64 s[28:29], 0, v18
	v_xor_b32_e32 v18, s29, v33
	v_xor_b32_e32 v19, s28, v19
	v_and_b32_e32 v33, exec_hi, v18
	v_and_b32_e32 v34, exec_lo, v19
	v_lshlrev_b32_e32 v19, 30, v32
	v_mov_b32_e32 v18, v5
	v_cmp_gt_i64_e64 s[28:29], 0, v[18:19]
	v_not_b32_e32 v18, v19
	v_ashrrev_i32_e32 v18, 31, v18
	v_xor_b32_e32 v19, s29, v18
	v_xor_b32_e32 v18, s28, v18
	v_and_b32_e32 v33, v33, v19
	v_and_b32_e32 v34, v34, v18
	v_lshlrev_b32_e32 v19, 29, v32
	v_mov_b32_e32 v18, v5
	v_cmp_gt_i64_e64 s[28:29], 0, v[18:19]
	v_not_b32_e32 v18, v19
	v_ashrrev_i32_e32 v18, 31, v18
	v_xor_b32_e32 v19, s29, v18
	v_xor_b32_e32 v18, s28, v18
	v_and_b32_e32 v33, v33, v19
	v_and_b32_e32 v34, v34, v18
	;; [unrolled: 9-line block ×7, first 2 shown]
	v_mbcnt_lo_u32_b32 v32, v18, 0
	v_mbcnt_hi_u32_b32 v32, v19, v32
	v_cmp_ne_u64_e64 s[28:29], 0, v[18:19]
	v_cmp_eq_u32_e64 s[40:41], 0, v32
	s_and_b64 s[40:41], s[28:29], s[40:41]
	s_waitcnt lgkmcnt(0)
	s_barrier
	; wave barrier
	s_and_saveexec_b64 s[28:29], s[40:41]
; %bb.187:                              ;   in Loop: Header=BB501_186 Depth=1
	v_bcnt_u32_b32 v18, v18, 0
	v_bcnt_u32_b32 v18, v19, v18
	ds_write_b32 v4, v18
; %bb.188:                              ;   in Loop: Header=BB501_186 Depth=1
	s_or_b64 exec, exec, s[28:29]
	; wave barrier
	s_waitcnt lgkmcnt(0)
	s_barrier
	ds_read_b32 v33, v14
	ds_read_b32 v19, v20
	;; [unrolled: 1-line block ×4, first 2 shown]
	s_waitcnt lgkmcnt(2)
	v_add_u32_e32 v35, v19, v33
	s_waitcnt lgkmcnt(0)
	v_add3_u32 v34, v35, v18, v34
	s_nop 1
	v_mov_b32_dpp v35, v34 row_shr:1 row_mask:0xf bank_mask:0xf
	v_cndmask_b32_e64 v35, v35, 0, vcc
	v_add_u32_e32 v34, v35, v34
	s_nop 1
	v_mov_b32_dpp v35, v34 row_shr:2 row_mask:0xf bank_mask:0xf
	v_cndmask_b32_e64 v35, 0, v35, s[4:5]
	v_add_u32_e32 v34, v34, v35
	s_nop 1
	v_mov_b32_dpp v35, v34 row_shr:4 row_mask:0xf bank_mask:0xf
	v_cndmask_b32_e64 v35, 0, v35, s[6:7]
	;; [unrolled: 4-line block ×3, first 2 shown]
	v_add_u32_e32 v34, v34, v35
	s_nop 1
	v_mov_b32_dpp v35, v34 row_bcast:15 row_mask:0xf bank_mask:0xf
	v_cndmask_b32_e64 v35, v35, 0, s[10:11]
	v_add_u32_e32 v34, v34, v35
	s_nop 1
	v_mov_b32_dpp v35, v34 row_bcast:31 row_mask:0xf bank_mask:0xf
	v_cndmask_b32_e64 v35, 0, v35, s[12:13]
	v_add_u32_e32 v34, v34, v35
	s_and_saveexec_b64 s[28:29], s[14:15]
; %bb.189:                              ;   in Loop: Header=BB501_186 Depth=1
	ds_write_b32 v26, v34
; %bb.190:                              ;   in Loop: Header=BB501_186 Depth=1
	s_or_b64 exec, exec, s[28:29]
	s_waitcnt lgkmcnt(0)
	s_barrier
	s_and_saveexec_b64 s[28:29], s[16:17]
	s_cbranch_execz .LBB501_192
; %bb.191:                              ;   in Loop: Header=BB501_186 Depth=1
	ds_read_b32 v35, v24
	s_waitcnt lgkmcnt(0)
	s_nop 0
	v_mov_b32_dpp v36, v35 row_shr:1 row_mask:0xf bank_mask:0xf
	v_cndmask_b32_e64 v36, v36, 0, s[24:25]
	v_add_u32_e32 v35, v36, v35
	s_nop 1
	v_mov_b32_dpp v36, v35 row_shr:2 row_mask:0xf bank_mask:0xf
	v_cndmask_b32_e64 v36, 0, v36, s[26:27]
	v_add_u32_e32 v35, v35, v36
	ds_write_b32 v24, v35
.LBB501_192:                            ;   in Loop: Header=BB501_186 Depth=1
	s_or_b64 exec, exec, s[28:29]
	v_mov_b32_e32 v35, 0
	s_waitcnt lgkmcnt(0)
	s_barrier
	s_and_saveexec_b64 s[28:29], s[18:19]
; %bb.193:                              ;   in Loop: Header=BB501_186 Depth=1
	ds_read_b32 v35, v27
; %bb.194:                              ;   in Loop: Header=BB501_186 Depth=1
	s_or_b64 exec, exec, s[28:29]
	s_waitcnt lgkmcnt(0)
	v_add_u32_e32 v34, v35, v34
	ds_bpermute_b32 v34, v25, v34
	v_add_u32_e32 v10, 8, v10
	v_cmp_lt_u32_e64 s[28:29], v10, v11
	s_mov_b64 s[44:45], -1
	s_waitcnt lgkmcnt(0)
	v_cndmask_b32_e64 v34, v34, v35, s[20:21]
	v_cndmask_b32_e64 v34, v34, 0, s[22:23]
	v_add_u32_e32 v33, v34, v33
	v_add_u32_e32 v19, v33, v19
	ds_write_b32 v14, v34
	ds_write_b32 v20, v33
	v_add_u32_e32 v18, v19, v18
	ds_write_b32 v21, v19
	ds_write_b32 v22, v18
	s_waitcnt lgkmcnt(0)
	s_barrier
	ds_read_b32 v4, v4
	s_waitcnt lgkmcnt(0)
	v_add_u32_e32 v4, v4, v32
	v_lshlrev_b64 v[18:19], 2, v[4:5]
                                        ; implicit-def: $vgpr32
	v_add_co_u32_e64 v33, s[40:41], v12, v18
	v_add_co_u32_e64 v4, s[40:41], v33, v18
                                        ; implicit-def: $vgpr18_vgpr19
	s_and_saveexec_b64 s[40:41], s[28:29]
	s_cbranch_execz .LBB501_185
; %bb.195:                              ;   in Loop: Header=BB501_186 Depth=1
	s_barrier
	ds_write_b32 v33, v31
	s_waitcnt lgkmcnt(0)
	s_barrier
	ds_read_b32 v32, v28
	s_waitcnt lgkmcnt(0)
	s_barrier
	ds_write_b64 v4, v[8:9]
	s_waitcnt lgkmcnt(0)
	s_barrier
	ds_read_b64 v[18:19], v29
	v_add_u32_e32 v30, -8, v30
	s_xor_b64 s[44:45], exec, -1
	s_waitcnt lgkmcnt(0)
	s_barrier
	s_branch .LBB501_185
.LBB501_196:
	s_or_b64 exec, exec, s[42:43]
	s_barrier
	ds_write_b32 v33, v31
	s_waitcnt lgkmcnt(0)
	s_barrier
	ds_read_b32 v10, v24
	s_waitcnt lgkmcnt(0)
	s_barrier
	ds_write_b64 v4, v[8:9]
	v_lshl_add_u32 v4, v17, 2, v24
	s_waitcnt lgkmcnt(0)
	s_barrier
	ds_read_b64 v[4:5], v4
	v_cmp_lt_u32_e32 vcc, v13, v85
	s_waitcnt lgkmcnt(0)
	s_barrier
	s_and_saveexec_b64 s[4:5], vcc
	s_cbranch_execz .LBB501_198
; %bb.197:
	v_add_co_u32_e32 v6, vcc, v6, v0
	v_mov_b32_e32 v14, 0
	v_addc_co_u32_e32 v7, vcc, v7, v1, vcc
	v_lshlrev_b64 v[0:1], 3, v[13:14]
	v_add_co_u32_e32 v0, vcc, v6, v0
	v_addc_co_u32_e32 v1, vcc, v7, v1, vcc
	v_add_co_u32_e32 v7, vcc, v2, v15
	v_addc_co_u32_e32 v8, vcc, v3, v16, vcc
	v_lshlrev_b64 v[2:3], 2, v[13:14]
	v_xor_b32_e32 v6, 0x7fffffff, v10
	v_add_co_u32_e32 v2, vcc, v7, v2
	v_addc_co_u32_e32 v3, vcc, v8, v3, vcc
	flat_store_dword v[2:3], v6
	flat_store_dwordx2 v[0:1], v[4:5]
.LBB501_198:
	s_or_b64 exec, exec, s[4:5]
.LBB501_199:
	s_or_b64 exec, exec, s[46:47]
	s_waitcnt vmcnt(0) lgkmcnt(0)
	s_setpc_b64 s[30:31]
.Lfunc_end501:
	.size	_ZN7rocprim17ROCPRIM_400000_NS6detail40segmented_radix_sort_single_block_helperIilLj256ELj8ELb1EE4sortIPKiPiPKlPlEEbT_T0_T1_T2_jjjjRNS3_12storage_typeE, .Lfunc_end501-_ZN7rocprim17ROCPRIM_400000_NS6detail40segmented_radix_sort_single_block_helperIilLj256ELj8ELb1EE4sortIPKiPiPKlPlEEbT_T0_T1_T2_jjjjRNS3_12storage_typeE
                                        ; -- End function
	.set .L_ZN7rocprim17ROCPRIM_400000_NS6detail40segmented_radix_sort_single_block_helperIilLj256ELj8ELb1EE4sortIPKiPiPKlPlEEbT_T0_T1_T2_jjjjRNS3_12storage_typeE.num_vgpr, 177
	.set .L_ZN7rocprim17ROCPRIM_400000_NS6detail40segmented_radix_sort_single_block_helperIilLj256ELj8ELb1EE4sortIPKiPiPKlPlEEbT_T0_T1_T2_jjjjRNS3_12storage_typeE.num_agpr, 0
	.set .L_ZN7rocprim17ROCPRIM_400000_NS6detail40segmented_radix_sort_single_block_helperIilLj256ELj8ELb1EE4sortIPKiPiPKlPlEEbT_T0_T1_T2_jjjjRNS3_12storage_typeE.numbered_sgpr, 63
	.set .L_ZN7rocprim17ROCPRIM_400000_NS6detail40segmented_radix_sort_single_block_helperIilLj256ELj8ELb1EE4sortIPKiPiPKlPlEEbT_T0_T1_T2_jjjjRNS3_12storage_typeE.num_named_barrier, 0
	.set .L_ZN7rocprim17ROCPRIM_400000_NS6detail40segmented_radix_sort_single_block_helperIilLj256ELj8ELb1EE4sortIPKiPiPKlPlEEbT_T0_T1_T2_jjjjRNS3_12storage_typeE.private_seg_size, 0
	.set .L_ZN7rocprim17ROCPRIM_400000_NS6detail40segmented_radix_sort_single_block_helperIilLj256ELj8ELb1EE4sortIPKiPiPKlPlEEbT_T0_T1_T2_jjjjRNS3_12storage_typeE.uses_vcc, 1
	.set .L_ZN7rocprim17ROCPRIM_400000_NS6detail40segmented_radix_sort_single_block_helperIilLj256ELj8ELb1EE4sortIPKiPiPKlPlEEbT_T0_T1_T2_jjjjRNS3_12storage_typeE.uses_flat_scratch, 0
	.set .L_ZN7rocprim17ROCPRIM_400000_NS6detail40segmented_radix_sort_single_block_helperIilLj256ELj8ELb1EE4sortIPKiPiPKlPlEEbT_T0_T1_T2_jjjjRNS3_12storage_typeE.has_dyn_sized_stack, 0
	.set .L_ZN7rocprim17ROCPRIM_400000_NS6detail40segmented_radix_sort_single_block_helperIilLj256ELj8ELb1EE4sortIPKiPiPKlPlEEbT_T0_T1_T2_jjjjRNS3_12storage_typeE.has_recursion, 0
	.set .L_ZN7rocprim17ROCPRIM_400000_NS6detail40segmented_radix_sort_single_block_helperIilLj256ELj8ELb1EE4sortIPKiPiPKlPlEEbT_T0_T1_T2_jjjjRNS3_12storage_typeE.has_indirect_call, 0
	.section	.AMDGPU.csdata,"",@progbits
; Function info:
; codeLenInByte = 15832
; TotalNumSgprs: 67
; NumVgprs: 177
; ScratchSize: 0
; MemoryBound: 1
	.section	.text._ZN7rocprim17ROCPRIM_400000_NS6detail17trampoline_kernelINS0_14default_configENS1_36segmented_radix_sort_config_selectorIilEEZNS1_25segmented_radix_sort_implIS3_Lb1EPKiPiPKlPlN2at6native12_GLOBAL__N_18offset_tEEE10hipError_tPvRmT1_PNSt15iterator_traitsISK_E10value_typeET2_T3_PNSL_ISQ_E10value_typeET4_jRbjT5_SW_jjP12ihipStream_tbEUlT_E_NS1_11comp_targetILNS1_3genE2ELNS1_11target_archE906ELNS1_3gpuE6ELNS1_3repE0EEENS1_30default_config_static_selectorELNS0_4arch9wavefront6targetE1EEEvSK_,"axG",@progbits,_ZN7rocprim17ROCPRIM_400000_NS6detail17trampoline_kernelINS0_14default_configENS1_36segmented_radix_sort_config_selectorIilEEZNS1_25segmented_radix_sort_implIS3_Lb1EPKiPiPKlPlN2at6native12_GLOBAL__N_18offset_tEEE10hipError_tPvRmT1_PNSt15iterator_traitsISK_E10value_typeET2_T3_PNSL_ISQ_E10value_typeET4_jRbjT5_SW_jjP12ihipStream_tbEUlT_E_NS1_11comp_targetILNS1_3genE2ELNS1_11target_archE906ELNS1_3gpuE6ELNS1_3repE0EEENS1_30default_config_static_selectorELNS0_4arch9wavefront6targetE1EEEvSK_,comdat
	.globl	_ZN7rocprim17ROCPRIM_400000_NS6detail17trampoline_kernelINS0_14default_configENS1_36segmented_radix_sort_config_selectorIilEEZNS1_25segmented_radix_sort_implIS3_Lb1EPKiPiPKlPlN2at6native12_GLOBAL__N_18offset_tEEE10hipError_tPvRmT1_PNSt15iterator_traitsISK_E10value_typeET2_T3_PNSL_ISQ_E10value_typeET4_jRbjT5_SW_jjP12ihipStream_tbEUlT_E_NS1_11comp_targetILNS1_3genE2ELNS1_11target_archE906ELNS1_3gpuE6ELNS1_3repE0EEENS1_30default_config_static_selectorELNS0_4arch9wavefront6targetE1EEEvSK_ ; -- Begin function _ZN7rocprim17ROCPRIM_400000_NS6detail17trampoline_kernelINS0_14default_configENS1_36segmented_radix_sort_config_selectorIilEEZNS1_25segmented_radix_sort_implIS3_Lb1EPKiPiPKlPlN2at6native12_GLOBAL__N_18offset_tEEE10hipError_tPvRmT1_PNSt15iterator_traitsISK_E10value_typeET2_T3_PNSL_ISQ_E10value_typeET4_jRbjT5_SW_jjP12ihipStream_tbEUlT_E_NS1_11comp_targetILNS1_3genE2ELNS1_11target_archE906ELNS1_3gpuE6ELNS1_3repE0EEENS1_30default_config_static_selectorELNS0_4arch9wavefront6targetE1EEEvSK_
	.p2align	8
	.type	_ZN7rocprim17ROCPRIM_400000_NS6detail17trampoline_kernelINS0_14default_configENS1_36segmented_radix_sort_config_selectorIilEEZNS1_25segmented_radix_sort_implIS3_Lb1EPKiPiPKlPlN2at6native12_GLOBAL__N_18offset_tEEE10hipError_tPvRmT1_PNSt15iterator_traitsISK_E10value_typeET2_T3_PNSL_ISQ_E10value_typeET4_jRbjT5_SW_jjP12ihipStream_tbEUlT_E_NS1_11comp_targetILNS1_3genE2ELNS1_11target_archE906ELNS1_3gpuE6ELNS1_3repE0EEENS1_30default_config_static_selectorELNS0_4arch9wavefront6targetE1EEEvSK_,@function
_ZN7rocprim17ROCPRIM_400000_NS6detail17trampoline_kernelINS0_14default_configENS1_36segmented_radix_sort_config_selectorIilEEZNS1_25segmented_radix_sort_implIS3_Lb1EPKiPiPKlPlN2at6native12_GLOBAL__N_18offset_tEEE10hipError_tPvRmT1_PNSt15iterator_traitsISK_E10value_typeET2_T3_PNSL_ISQ_E10value_typeET4_jRbjT5_SW_jjP12ihipStream_tbEUlT_E_NS1_11comp_targetILNS1_3genE2ELNS1_11target_archE906ELNS1_3gpuE6ELNS1_3repE0EEENS1_30default_config_static_selectorELNS0_4arch9wavefront6targetE1EEEvSK_: ; @_ZN7rocprim17ROCPRIM_400000_NS6detail17trampoline_kernelINS0_14default_configENS1_36segmented_radix_sort_config_selectorIilEEZNS1_25segmented_radix_sort_implIS3_Lb1EPKiPiPKlPlN2at6native12_GLOBAL__N_18offset_tEEE10hipError_tPvRmT1_PNSt15iterator_traitsISK_E10value_typeET2_T3_PNSL_ISQ_E10value_typeET4_jRbjT5_SW_jjP12ihipStream_tbEUlT_E_NS1_11comp_targetILNS1_3genE2ELNS1_11target_archE906ELNS1_3gpuE6ELNS1_3repE0EEENS1_30default_config_static_selectorELNS0_4arch9wavefront6targetE1EEEvSK_
; %bb.0:
	s_add_u32 s0, s0, s8
	s_mov_b64 s[34:35], s[4:5]
	s_load_dwordx2 s[4:5], s[4:5], 0x38
	s_nop 0
	s_load_dwordx4 s[8:11], s[34:35], 0x40
	s_mov_b32 s33, s7
	s_mov_b32 s7, 0
	s_addc_u32 s1, s1, 0
	s_lshl_b64 s[12:13], s[6:7], 2
	s_waitcnt lgkmcnt(0)
	s_add_u32 s4, s4, s12
	s_addc_u32 s5, s5, s13
	s_load_dword s4, s[4:5], 0x0
	s_mov_b32 s32, 0
	s_waitcnt lgkmcnt(0)
	s_add_i32 s63, s4, s9
	s_add_i32 s80, s4, s11
	s_mul_i32 s63, s63, s8
	s_mul_i32 s80, s80, s10
	s_cmp_le_u32 s80, s63
	s_cbranch_scc1 .LBB502_670
; %bb.1:
	s_load_dword s4, s[34:35], 0x30
	s_load_dwordx4 s[72:75], s[34:35], 0x20
	s_load_dwordx4 s[76:79], s[34:35], 0x50
	s_load_dwordx8 s[64:71], s[34:35], 0x0
	s_waitcnt lgkmcnt(0)
	s_bitcmp1_b32 s4, 0
	s_cselect_b64 s[54:55], -1, 0
	s_sub_i32 s79, s80, s63
	s_cmpk_lt_u32 s79, 0x801
	s_mov_b64 s[4:5], -1
	s_cbranch_scc0 .LBB502_7
; %bb.2:
	s_and_b32 s4, s76, 1
	v_cndmask_b32_e64 v3, 0, 1, s[54:55]
	v_cmp_ne_u32_e32 vcc, s4, v3
	s_mov_b64 s[4:5], -1
	v_lshlrev_b32_e32 v41, 20, v2
	v_lshlrev_b32_e32 v42, 10, v1
	s_cbranch_vccnz .LBB502_4
; %bb.3:
	s_add_u32 s8, s34, 0x60
	s_mov_b64 s[4:5], src_shared_base
	s_addc_u32 s9, s35, 0
	s_getpc_b64 s[10:11]
	s_add_u32 s10, s10, _ZN7rocprim17ROCPRIM_400000_NS6detail40segmented_radix_sort_single_block_helperIilLj256ELj8ELb1EE4sortIPKiPiPKlPlEEbT_T0_T1_T2_jjjjRNS3_12storage_typeE@rel32@lo+4
	s_addc_u32 s11, s11, _ZN7rocprim17ROCPRIM_400000_NS6detail40segmented_radix_sort_single_block_helperIilLj256ELj8ELb1EE4sortIPKiPiPKlPlEEbT_T0_T1_T2_jjjjRNS3_12storage_typeE@rel32@hi+12
	v_or3_b32 v31, v0, v42, v41
	s_mov_b32 s12, s6
	s_mov_b32 s13, s33
	v_mov_b32_e32 v40, v0
	v_mov_b32_e32 v0, s64
	;; [unrolled: 1-line block ×17, first 2 shown]
	s_mov_b32 s36, s6
	s_swappc_b64 s[30:31], s[10:11]
	v_mov_b32_e32 v1, v43
	v_mov_b32_e32 v2, v44
	;; [unrolled: 1-line block ×3, first 2 shown]
	s_mov_b32 s6, s36
	s_mov_b64 s[4:5], 0
.LBB502_4:
	s_andn2_b64 vcc, exec, s[4:5]
	s_cbranch_vccnz .LBB502_6
; %bb.5:
	s_add_u32 s8, s34, 0x60
	s_mov_b64 s[4:5], src_shared_base
	s_addc_u32 s9, s35, 0
	s_getpc_b64 s[10:11]
	s_add_u32 s10, s10, _ZN7rocprim17ROCPRIM_400000_NS6detail40segmented_radix_sort_single_block_helperIilLj256ELj8ELb1EE4sortIPKiPiPKlPlEEbT_T0_T1_T2_jjjjRNS3_12storage_typeE@rel32@lo+4
	s_addc_u32 s11, s11, _ZN7rocprim17ROCPRIM_400000_NS6detail40segmented_radix_sort_single_block_helperIilLj256ELj8ELb1EE4sortIPKiPiPKlPlEEbT_T0_T1_T2_jjjjRNS3_12storage_typeE@rel32@hi+12
	v_or3_b32 v31, v0, v42, v41
	s_mov_b32 s12, s6
	s_mov_b32 s13, s33
	v_mov_b32_e32 v40, v0
	v_mov_b32_e32 v0, s64
	;; [unrolled: 1-line block ×17, first 2 shown]
	s_mov_b32 s36, s6
	s_swappc_b64 s[30:31], s[10:11]
	v_mov_b32_e32 v1, v41
	v_mov_b32_e32 v2, v42
	;; [unrolled: 1-line block ×3, first 2 shown]
	s_mov_b32 s6, s36
.LBB502_6:
	s_mov_b64 s[4:5], 0
.LBB502_7:
	s_andn2_b64 vcc, exec, s[4:5]
	s_cbranch_vccnz .LBB502_670
; %bb.8:
	s_cmp_ge_u32 s77, s78
	s_cbranch_scc1 .LBB502_670
; %bb.9:
	v_and_b32_e32 v4, 3, v0
	v_lshlrev_b32_e32 v42, 2, v4
	v_or_b32_e32 v4, 63, v0
	v_lshlrev_b32_e32 v32, 2, v0
	v_cmp_eq_u32_e64 s[8:9], v0, v4
	v_lshrrev_b32_e32 v4, 4, v0
	v_mov_b32_e32 v5, s69
	v_add_co_u32_e32 v36, vcc, s68, v32
	v_mad_u32_u24 v43, v0, 12, v32
	v_and_b32_e32 v44, 12, v4
	v_lshlrev_b32_e32 v4, 3, v0
	v_addc_co_u32_e32 v37, vcc, 0, v5, vcc
	v_and_b32_e32 v4, 0x600, v4
	v_add_u32_e32 v48, v43, v32
	v_lshlrev_b32_e32 v5, 4, v0
	v_sub_u32_e32 v49, v48, v5
	v_lshlrev_b32_e32 v5, 3, v4
	v_mov_b32_e32 v6, s75
	v_add_co_u32_e32 v50, vcc, s74, v5
	v_addc_co_u32_e32 v51, vcc, 0, v6, vcc
	v_lshlrev_b32_e32 v6, 2, v4
	v_mov_b32_e32 v7, s69
	v_add_co_u32_e32 v52, vcc, s68, v6
	v_addc_co_u32_e32 v53, vcc, 0, v7, vcc
	v_mov_b32_e32 v7, s67
	v_add_co_u32_e32 v54, vcc, s66, v32
	v_addc_co_u32_e32 v55, vcc, 0, v7, vcc
	v_mov_b32_e32 v7, s73
	v_add_co_u32_e32 v56, vcc, s72, v5
	v_addc_co_u32_e32 v57, vcc, 0, v7, vcc
	v_mov_b32_e32 v7, s67
	v_add_co_u32_e32 v58, vcc, s66, v6
	v_addc_co_u32_e32 v59, vcc, 0, v7, vcc
	v_mov_b32_e32 v7, s65
	v_add_co_u32_e32 v60, vcc, s64, v32
	v_addc_co_u32_e32 v61, vcc, 0, v7, vcc
	v_mov_b32_e32 v7, s71
	v_add_co_u32_e32 v62, vcc, s70, v5
	v_addc_co_u32_e32 v63, vcc, 0, v7, vcc
	v_mov_b32_e32 v5, s65
	v_add_co_u32_e32 v64, vcc, s64, v6
	v_addc_co_u32_e32 v65, vcc, 0, v5, vcc
	v_mbcnt_lo_u32_b32 v5, -1, 0
	v_mbcnt_hi_u32_b32 v72, -1, v5
	v_and_b32_e32 v78, 63, v72
	s_movk_i32 s4, 0x100
	v_or_b32_e32 v38, 0x400, v0
	v_or_b32_e32 v39, 0x500, v0
	;; [unrolled: 1-line block ×4, first 2 shown]
	s_add_u32 s56, s34, 0x60
	s_movk_i32 s7, 0xff
	v_or_b32_e32 v80, v78, v4
	v_mov_b32_e32 v3, 0
	v_or_b32_e32 v33, 0x100, v0
	v_or_b32_e32 v34, 0x200, v0
	;; [unrolled: 1-line block ×3, first 2 shown]
	v_cmp_gt_u32_e64 s[4:5], s4, v0
	v_or_b32_e32 v45, 0x4400, v44
	v_cmp_gt_u32_e64 s[10:11], 4, v0
	v_or_b32_e32 v46, 0x4400, v32
	v_cmp_lt_u32_e64 s[12:13], 63, v0
	v_add_u32_e32 v47, 0x43fc, v44
	s_addc_u32 s57, s35, 0
	s_mov_b32 s59, 0
	v_cmp_eq_u32_e64 s[14:15], 0, v0
	v_cmp_ne_u32_e64 s[16:17], s7, v0
	v_mov_b32_e32 v66, 1
	v_lshlrev_b32_e32 v67, 2, v0
	v_lshlrev_b32_e32 v68, 2, v38
	;; [unrolled: 1-line block ×5, first 2 shown]
	v_and_b32_e32 v73, 15, v72
	v_bfe_i32 v74, v72, 4, 1
	v_and_b32_e32 v75, 16, v72
	v_and_b32_e32 v76, 3, v72
	;; [unrolled: 1-line block ×3, first 2 shown]
	v_lshlrev_b32_e32 v79, 3, v78
	v_or_b32_e32 v81, 64, v80
	v_or_b32_e32 v82, 0x80, v80
	;; [unrolled: 1-line block ×3, first 2 shown]
	v_bfrev_b32_e32 v11, 1
	s_mov_b32 s7, s77
	s_branch .LBB502_12
.LBB502_10:                             ;   in Loop: Header=BB502_12 Depth=1
	s_waitcnt lgkmcnt(0)
	s_barrier
.LBB502_11:                             ;   in Loop: Header=BB502_12 Depth=1
	s_add_i32 s7, s7, 8
	s_cmp_ge_u32 s7, s78
	s_cbranch_scc1 .LBB502_670
.LBB502_12:                             ; =>This Loop Header: Depth=1
                                        ;     Child Loop BB502_16 Depth 2
                                        ;     Child Loop BB502_64 Depth 2
	;; [unrolled: 1-line block ×8, first 2 shown]
	s_sub_i32 s18, s78, s7
	s_min_u32 s18, s18, 8
	s_lshl_b32 s18, -1, s18
	s_xor_b64 s[54:55], s[54:55], -1
	s_not_b32 s62, s18
	s_cmp_lg_u32 s7, s77
	s_mov_b64 s[18:19], -1
	ds_write2st64_b32 v32, v3, v3 offset1:4
	ds_write2st64_b32 v32, v3, v3 offset0:8 offset1:12
	s_waitcnt lgkmcnt(0)
	s_cbranch_scc0 .LBB502_342
; %bb.13:                               ;   in Loop: Header=BB502_12 Depth=1
	s_and_b64 vcc, exec, s[54:55]
	s_cbranch_vccz .LBB502_177
; %bb.14:                               ;   in Loop: Header=BB502_12 Depth=1
	v_mov_b32_e32 v10, v3
	v_mov_b32_e32 v4, v3
	;; [unrolled: 1-line block ×8, first 2 shown]
	s_mov_b32 s22, s79
	s_mov_b32 s58, s63
	v_mov_b32_e32 v18, v9
	v_mov_b32_e32 v17, v8
	;; [unrolled: 1-line block ×7, first 2 shown]
	s_barrier
	s_branch .LBB502_16
.LBB502_15:                             ;   in Loop: Header=BB502_16 Depth=2
	s_or_b64 exec, exec, s[18:19]
	s_addk_i32 s22, 0xf800
	s_cmp_ge_u32 s23, s80
	s_mov_b32 s58, s23
	s_cbranch_scc1 .LBB502_52
.LBB502_16:                             ;   Parent Loop BB502_12 Depth=1
                                        ; =>  This Inner Loop Header: Depth=2
	s_add_i32 s23, s58, 0x800
	s_cmp_gt_u32 s23, s80
	s_mov_b64 s[18:19], -1
                                        ; implicit-def: $vgpr20_vgpr21_vgpr22_vgpr23_vgpr24_vgpr25_vgpr26_vgpr27
	s_cbranch_scc1 .LBB502_18
; %bb.17:                               ;   in Loop: Header=BB502_16 Depth=2
	s_lshl_b64 s[18:19], s[58:59], 2
	v_mov_b32_e32 v5, s19
	v_add_co_u32_e32 v4, vcc, s18, v36
	v_addc_co_u32_e32 v5, vcc, v37, v5, vcc
	v_add_co_u32_e32 v6, vcc, 0x1000, v4
	v_addc_co_u32_e32 v7, vcc, 0, v5, vcc
	global_load_dword v20, v[4:5], off
	global_load_dword v21, v[4:5], off offset:1024
	global_load_dword v22, v[4:5], off offset:2048
	;; [unrolled: 1-line block ×3, first 2 shown]
	global_load_dword v24, v[6:7], off
	global_load_dword v25, v[6:7], off offset:1024
	global_load_dword v26, v[6:7], off offset:2048
	global_load_dword v27, v[6:7], off offset:3072
	s_mov_b64 s[18:19], 0
.LBB502_18:                             ;   in Loop: Header=BB502_16 Depth=2
	s_andn2_b64 vcc, exec, s[18:19]
	s_movk_i32 s20, 0x800
	s_cbranch_vccnz .LBB502_29
; %bb.19:                               ;   in Loop: Header=BB502_16 Depth=2
	s_lshl_b64 s[18:19], s[58:59], 2
	s_add_u32 s18, s68, s18
	s_addc_u32 s19, s69, s19
	v_cmp_gt_u32_e32 vcc, s22, v0
	s_and_saveexec_b64 s[20:21], vcc
	s_cbranch_execnz .LBB502_45
; %bb.20:                               ;   in Loop: Header=BB502_16 Depth=2
	s_or_b64 exec, exec, s[20:21]
	v_cmp_gt_u32_e32 vcc, s22, v33
	s_and_saveexec_b64 s[20:21], vcc
	s_cbranch_execnz .LBB502_46
.LBB502_21:                             ;   in Loop: Header=BB502_16 Depth=2
	s_or_b64 exec, exec, s[20:21]
	v_cmp_gt_u32_e32 vcc, s22, v34
	s_and_saveexec_b64 s[20:21], vcc
	s_cbranch_execnz .LBB502_47
.LBB502_22:                             ;   in Loop: Header=BB502_16 Depth=2
	s_or_b64 exec, exec, s[20:21]
	v_cmp_gt_u32_e32 vcc, s22, v35
	s_and_saveexec_b64 s[20:21], vcc
	s_cbranch_execnz .LBB502_48
.LBB502_23:                             ;   in Loop: Header=BB502_16 Depth=2
	s_or_b64 exec, exec, s[20:21]
	v_cmp_gt_u32_e32 vcc, s22, v38
	s_and_saveexec_b64 s[20:21], vcc
	s_cbranch_execnz .LBB502_49
.LBB502_24:                             ;   in Loop: Header=BB502_16 Depth=2
	s_or_b64 exec, exec, s[20:21]
	v_cmp_gt_u32_e32 vcc, s22, v39
	s_and_saveexec_b64 s[20:21], vcc
	s_cbranch_execnz .LBB502_50
.LBB502_25:                             ;   in Loop: Header=BB502_16 Depth=2
	s_or_b64 exec, exec, s[20:21]
	v_cmp_gt_u32_e32 vcc, s22, v40
	s_and_saveexec_b64 s[20:21], vcc
	s_cbranch_execnz .LBB502_51
.LBB502_26:                             ;   in Loop: Header=BB502_16 Depth=2
	s_or_b64 exec, exec, s[20:21]
	v_cmp_gt_u32_e32 vcc, s22, v41
	s_and_saveexec_b64 s[20:21], vcc
	s_cbranch_execz .LBB502_28
.LBB502_27:                             ;   in Loop: Header=BB502_16 Depth=2
	global_load_dword v19, v71, s[18:19]
.LBB502_28:                             ;   in Loop: Header=BB502_16 Depth=2
	s_or_b64 exec, exec, s[20:21]
	s_waitcnt vmcnt(0)
	v_mov_b32_e32 v27, v19
	s_mov_b32 s20, s22
	v_mov_b32_e32 v26, v18
	v_mov_b32_e32 v25, v17
	;; [unrolled: 1-line block ×7, first 2 shown]
.LBB502_29:                             ;   in Loop: Header=BB502_16 Depth=2
	s_waitcnt vmcnt(0)
	v_mov_b32_e32 v12, v20
	v_mov_b32_e32 v13, v21
	v_mov_b32_e32 v14, v22
	v_mov_b32_e32 v15, v23
	v_mov_b32_e32 v16, v24
	v_mov_b32_e32 v17, v25
	v_mov_b32_e32 v18, v26
	v_mov_b32_e32 v19, v27
	v_cmp_gt_u32_e32 vcc, s20, v0
	s_and_saveexec_b64 s[18:19], vcc
	s_cbranch_execnz .LBB502_37
; %bb.30:                               ;   in Loop: Header=BB502_16 Depth=2
	s_or_b64 exec, exec, s[18:19]
	v_cmp_gt_u32_e32 vcc, s20, v33
	s_and_saveexec_b64 s[18:19], vcc
	s_cbranch_execnz .LBB502_38
.LBB502_31:                             ;   in Loop: Header=BB502_16 Depth=2
	s_or_b64 exec, exec, s[18:19]
	v_cmp_gt_u32_e32 vcc, s20, v34
	s_and_saveexec_b64 s[18:19], vcc
	s_cbranch_execnz .LBB502_39
.LBB502_32:                             ;   in Loop: Header=BB502_16 Depth=2
	s_or_b64 exec, exec, s[18:19]
	v_cmp_gt_u32_e32 vcc, s20, v35
	s_and_saveexec_b64 s[18:19], vcc
	s_cbranch_execnz .LBB502_40
.LBB502_33:                             ;   in Loop: Header=BB502_16 Depth=2
	s_or_b64 exec, exec, s[18:19]
	v_cmp_gt_u32_e32 vcc, s20, v38
	s_and_saveexec_b64 s[18:19], vcc
	s_cbranch_execnz .LBB502_41
.LBB502_34:                             ;   in Loop: Header=BB502_16 Depth=2
	s_or_b64 exec, exec, s[18:19]
	v_cmp_gt_u32_e32 vcc, s20, v39
	s_and_saveexec_b64 s[18:19], vcc
	s_cbranch_execnz .LBB502_42
.LBB502_35:                             ;   in Loop: Header=BB502_16 Depth=2
	s_or_b64 exec, exec, s[18:19]
	v_cmp_gt_u32_e32 vcc, s20, v40
	s_and_saveexec_b64 s[18:19], vcc
	s_cbranch_execnz .LBB502_43
.LBB502_36:                             ;   in Loop: Header=BB502_16 Depth=2
	s_or_b64 exec, exec, s[18:19]
	v_cmp_gt_u32_e32 vcc, s20, v41
	s_and_saveexec_b64 s[18:19], vcc
	s_cbranch_execz .LBB502_15
	s_branch .LBB502_44
.LBB502_37:                             ;   in Loop: Header=BB502_16 Depth=2
	v_xor_b32_e32 v4, 0x7fffffff, v12
	v_lshrrev_b32_e32 v4, s7, v4
	v_and_b32_e32 v4, s62, v4
	v_lshl_or_b32 v4, v4, 4, v42
	ds_add_u32 v4, v66
	s_or_b64 exec, exec, s[18:19]
	v_cmp_gt_u32_e32 vcc, s20, v33
	s_and_saveexec_b64 s[18:19], vcc
	s_cbranch_execz .LBB502_31
.LBB502_38:                             ;   in Loop: Header=BB502_16 Depth=2
	v_xor_b32_e32 v4, 0x7fffffff, v13
	v_lshrrev_b32_e32 v4, s7, v4
	v_and_b32_e32 v4, s62, v4
	v_lshl_or_b32 v4, v4, 4, v42
	ds_add_u32 v4, v66
	s_or_b64 exec, exec, s[18:19]
	v_cmp_gt_u32_e32 vcc, s20, v34
	s_and_saveexec_b64 s[18:19], vcc
	s_cbranch_execz .LBB502_32
.LBB502_39:                             ;   in Loop: Header=BB502_16 Depth=2
	v_xor_b32_e32 v4, 0x7fffffff, v14
	v_lshrrev_b32_e32 v4, s7, v4
	v_and_b32_e32 v4, s62, v4
	v_lshl_or_b32 v4, v4, 4, v42
	ds_add_u32 v4, v66
	s_or_b64 exec, exec, s[18:19]
	v_cmp_gt_u32_e32 vcc, s20, v35
	s_and_saveexec_b64 s[18:19], vcc
	s_cbranch_execz .LBB502_33
.LBB502_40:                             ;   in Loop: Header=BB502_16 Depth=2
	v_xor_b32_e32 v4, 0x7fffffff, v15
	v_lshrrev_b32_e32 v4, s7, v4
	v_and_b32_e32 v4, s62, v4
	v_lshl_or_b32 v4, v4, 4, v42
	ds_add_u32 v4, v66
	s_or_b64 exec, exec, s[18:19]
	v_cmp_gt_u32_e32 vcc, s20, v38
	s_and_saveexec_b64 s[18:19], vcc
	s_cbranch_execz .LBB502_34
.LBB502_41:                             ;   in Loop: Header=BB502_16 Depth=2
	v_xor_b32_e32 v4, 0x7fffffff, v16
	v_lshrrev_b32_e32 v4, s7, v4
	v_and_b32_e32 v4, s62, v4
	v_lshl_or_b32 v4, v4, 4, v42
	ds_add_u32 v4, v66
	s_or_b64 exec, exec, s[18:19]
	v_cmp_gt_u32_e32 vcc, s20, v39
	s_and_saveexec_b64 s[18:19], vcc
	s_cbranch_execz .LBB502_35
.LBB502_42:                             ;   in Loop: Header=BB502_16 Depth=2
	v_xor_b32_e32 v4, 0x7fffffff, v17
	v_lshrrev_b32_e32 v4, s7, v4
	v_and_b32_e32 v4, s62, v4
	v_lshl_or_b32 v4, v4, 4, v42
	ds_add_u32 v4, v66
	s_or_b64 exec, exec, s[18:19]
	v_cmp_gt_u32_e32 vcc, s20, v40
	s_and_saveexec_b64 s[18:19], vcc
	s_cbranch_execz .LBB502_36
.LBB502_43:                             ;   in Loop: Header=BB502_16 Depth=2
	v_xor_b32_e32 v4, 0x7fffffff, v18
	v_lshrrev_b32_e32 v4, s7, v4
	v_and_b32_e32 v4, s62, v4
	v_lshl_or_b32 v4, v4, 4, v42
	ds_add_u32 v4, v66
	s_or_b64 exec, exec, s[18:19]
	v_cmp_gt_u32_e32 vcc, s20, v41
	s_and_saveexec_b64 s[18:19], vcc
	s_cbranch_execz .LBB502_15
.LBB502_44:                             ;   in Loop: Header=BB502_16 Depth=2
	v_xor_b32_e32 v4, 0x7fffffff, v19
	v_lshrrev_b32_e32 v4, s7, v4
	v_and_b32_e32 v4, s62, v4
	v_lshl_or_b32 v4, v4, 4, v42
	ds_add_u32 v4, v66
	s_branch .LBB502_15
.LBB502_45:                             ;   in Loop: Header=BB502_16 Depth=2
	global_load_dword v12, v67, s[18:19]
	s_or_b64 exec, exec, s[20:21]
	v_cmp_gt_u32_e32 vcc, s22, v33
	s_and_saveexec_b64 s[20:21], vcc
	s_cbranch_execz .LBB502_21
.LBB502_46:                             ;   in Loop: Header=BB502_16 Depth=2
	global_load_dword v13, v67, s[18:19] offset:1024
	s_or_b64 exec, exec, s[20:21]
	v_cmp_gt_u32_e32 vcc, s22, v34
	s_and_saveexec_b64 s[20:21], vcc
	s_cbranch_execz .LBB502_22
.LBB502_47:                             ;   in Loop: Header=BB502_16 Depth=2
	global_load_dword v14, v67, s[18:19] offset:2048
	s_or_b64 exec, exec, s[20:21]
	v_cmp_gt_u32_e32 vcc, s22, v35
	s_and_saveexec_b64 s[20:21], vcc
	s_cbranch_execz .LBB502_23
.LBB502_48:                             ;   in Loop: Header=BB502_16 Depth=2
	global_load_dword v15, v67, s[18:19] offset:3072
	s_or_b64 exec, exec, s[20:21]
	v_cmp_gt_u32_e32 vcc, s22, v38
	s_and_saveexec_b64 s[20:21], vcc
	s_cbranch_execz .LBB502_24
.LBB502_49:                             ;   in Loop: Header=BB502_16 Depth=2
	global_load_dword v16, v68, s[18:19]
	s_or_b64 exec, exec, s[20:21]
	v_cmp_gt_u32_e32 vcc, s22, v39
	s_and_saveexec_b64 s[20:21], vcc
	s_cbranch_execz .LBB502_25
.LBB502_50:                             ;   in Loop: Header=BB502_16 Depth=2
	global_load_dword v17, v69, s[18:19]
	s_or_b64 exec, exec, s[20:21]
	v_cmp_gt_u32_e32 vcc, s22, v40
	s_and_saveexec_b64 s[20:21], vcc
	s_cbranch_execz .LBB502_26
.LBB502_51:                             ;   in Loop: Header=BB502_16 Depth=2
	global_load_dword v18, v70, s[18:19]
	s_or_b64 exec, exec, s[20:21]
	v_cmp_gt_u32_e32 vcc, s22, v41
	s_and_saveexec_b64 s[20:21], vcc
	s_cbranch_execnz .LBB502_27
	s_branch .LBB502_28
.LBB502_52:                             ;   in Loop: Header=BB502_12 Depth=1
	v_mov_b32_e32 v4, 0
	s_waitcnt lgkmcnt(0)
	s_barrier
	s_and_saveexec_b64 s[18:19], s[4:5]
	s_cbranch_execz .LBB502_54
; %bb.53:                               ;   in Loop: Header=BB502_12 Depth=1
	ds_read2_b64 v[4:7], v43 offset1:1
	s_waitcnt lgkmcnt(0)
	v_add_u32_e32 v4, v5, v4
	v_add3_u32 v4, v4, v6, v7
.LBB502_54:                             ;   in Loop: Header=BB502_12 Depth=1
	s_or_b64 exec, exec, s[18:19]
	s_nop 0
	v_mov_b32_dpp v5, v4 row_shr:1 row_mask:0xf bank_mask:0xf
	v_cmp_eq_u32_e64 s[18:19], 0, v73
	v_cndmask_b32_e64 v5, v5, 0, s[18:19]
	v_add_u32_e32 v4, v5, v4
	v_cmp_lt_u32_e64 s[20:21], 1, v73
	v_cmp_lt_u32_e64 s[22:23], 3, v73
	v_mov_b32_dpp v5, v4 row_shr:2 row_mask:0xf bank_mask:0xf
	v_cndmask_b32_e64 v5, 0, v5, s[20:21]
	v_add_u32_e32 v4, v4, v5
	v_cmp_lt_u32_e64 s[24:25], 7, v73
	v_cmp_lt_u32_e64 s[28:29], 31, v72
	v_mov_b32_dpp v5, v4 row_shr:4 row_mask:0xf bank_mask:0xf
	v_cndmask_b32_e64 v5, 0, v5, s[22:23]
	v_add_u32_e32 v4, v4, v5
	v_cmp_eq_u32_e64 s[26:27], 0, v75
	s_nop 0
	v_mov_b32_dpp v5, v4 row_shr:8 row_mask:0xf bank_mask:0xf
	v_cndmask_b32_e64 v5, 0, v5, s[24:25]
	v_add_u32_e32 v4, v4, v5
	s_nop 1
	v_mov_b32_dpp v5, v4 row_bcast:15 row_mask:0xf bank_mask:0xf
	v_and_b32_e32 v5, v74, v5
	v_add_u32_e32 v4, v4, v5
	s_nop 1
	v_mov_b32_dpp v5, v4 row_bcast:31 row_mask:0xf bank_mask:0xf
	v_cndmask_b32_e64 v5, 0, v5, s[28:29]
	v_add_u32_e32 v4, v4, v5
	s_and_saveexec_b64 s[30:31], s[8:9]
; %bb.55:                               ;   in Loop: Header=BB502_12 Depth=1
	ds_write_b32 v45, v4
; %bb.56:                               ;   in Loop: Header=BB502_12 Depth=1
	s_or_b64 exec, exec, s[30:31]
	s_waitcnt lgkmcnt(0)
	s_barrier
	s_and_saveexec_b64 s[30:31], s[10:11]
	s_cbranch_execz .LBB502_58
; %bb.57:                               ;   in Loop: Header=BB502_12 Depth=1
	ds_read_b32 v5, v46
	v_cmp_ne_u32_e32 vcc, 0, v76
	s_waitcnt lgkmcnt(0)
	v_mov_b32_dpp v6, v5 row_shr:1 row_mask:0xf bank_mask:0xf
	v_cndmask_b32_e32 v6, 0, v6, vcc
	v_add_u32_e32 v5, v6, v5
	v_cmp_lt_u32_e32 vcc, 1, v76
	s_nop 0
	v_mov_b32_dpp v6, v5 row_shr:2 row_mask:0xf bank_mask:0xf
	v_cndmask_b32_e32 v6, 0, v6, vcc
	v_add_u32_e32 v5, v5, v6
	ds_write_b32 v46, v5
.LBB502_58:                             ;   in Loop: Header=BB502_12 Depth=1
	s_or_b64 exec, exec, s[30:31]
	v_mov_b32_e32 v5, 0
	s_waitcnt lgkmcnt(0)
	s_barrier
	s_and_saveexec_b64 s[30:31], s[12:13]
; %bb.59:                               ;   in Loop: Header=BB502_12 Depth=1
	ds_read_b32 v5, v47
; %bb.60:                               ;   in Loop: Header=BB502_12 Depth=1
	s_or_b64 exec, exec, s[30:31]
	v_subrev_co_u32_e64 v6, s[30:31], 1, v72
	v_cmp_lt_i32_e32 vcc, v6, v77
	v_cndmask_b32_e32 v6, v6, v72, vcc
	s_waitcnt lgkmcnt(0)
	v_add_u32_e32 v4, v5, v4
	v_lshlrev_b32_e32 v84, 2, v6
	ds_bpermute_b32 v4, v84, v4
	s_waitcnt lgkmcnt(0)
	s_barrier
	s_and_saveexec_b64 s[34:35], s[4:5]
; %bb.61:                               ;   in Loop: Header=BB502_12 Depth=1
	v_cndmask_b32_e64 v4, v4, v5, s[30:31]
	v_add_u32_e32 v4, s63, v4
	ds_write_b32 v32, v4
; %bb.62:                               ;   in Loop: Header=BB502_12 Depth=1
	s_or_b64 exec, exec, s[34:35]
	s_load_dword s34, s[56:57], 0x4
	s_load_dword s38, s[56:57], 0xc
	v_add_co_u32_e32 v85, vcc, v50, v79
	v_addc_co_u32_e32 v86, vcc, 0, v51, vcc
	s_waitcnt lgkmcnt(0)
	s_cmp_lt_u32 s33, s34
	s_cselect_b32 s34, 14, 20
	s_add_u32 s34, s56, s34
	s_addc_u32 s35, s57, 0
	global_load_ushort v4, v3, s[34:35]
	s_and_b32 s38, s38, 0xffff
	v_lshlrev_b32_e32 v14, 2, v78
	v_add_co_u32_e32 v99, vcc, v52, v14
	v_cmp_eq_u32_e64 s[34:35], 0, v76
	v_cmp_lt_u32_e64 s[36:37], 1, v76
	v_or_b32_e32 v87, 0x100, v80
	v_or_b32_e32 v88, 0x140, v80
	;; [unrolled: 1-line block ×4, first 2 shown]
	s_mov_b32 s70, s79
	v_addc_co_u32_e32 v100, vcc, 0, v53, vcc
	s_mov_b32 s58, s63
                                        ; implicit-def: $vgpr5_vgpr6
                                        ; implicit-def: $vgpr7_vgpr8
                                        ; implicit-def: $vgpr9_vgpr10
                                        ; implicit-def: $vgpr20_vgpr21
                                        ; implicit-def: $vgpr22_vgpr23
                                        ; implicit-def: $vgpr24_vgpr25
                                        ; implicit-def: $vgpr26_vgpr27
                                        ; implicit-def: $vgpr28_vgpr29
                                        ; implicit-def: $vgpr91
                                        ; implicit-def: $vgpr92
                                        ; implicit-def: $vgpr93
                                        ; implicit-def: $vgpr94
                                        ; implicit-def: $vgpr95
                                        ; implicit-def: $vgpr96
                                        ; implicit-def: $vgpr97
                                        ; implicit-def: $vgpr98
	s_waitcnt vmcnt(0)
	v_mad_u32_u24 v4, v2, v4, v1
	v_mad_u64_u32 v[12:13], s[38:39], v4, s38, v[0:1]
	v_lshrrev_b32_e32 v4, 4, v12
	v_and_b32_e32 v101, 0xffffffc, v4
	s_branch .LBB502_64
.LBB502_63:                             ;   in Loop: Header=BB502_64 Depth=2
	s_or_b64 exec, exec, s[38:39]
	s_addk_i32 s70, 0xf800
	s_cmp_lt_u32 s71, s80
	s_mov_b32 s58, s71
	s_cbranch_scc0 .LBB502_176
.LBB502_64:                             ;   Parent Loop BB502_12 Depth=1
                                        ; =>  This Inner Loop Header: Depth=2
	s_add_i32 s71, s58, 0x800
	s_cmp_gt_u32 s71, s80
	s_cbranch_scc1 .LBB502_66
; %bb.65:                               ;   in Loop: Header=BB502_64 Depth=2
	s_lshl_b64 s[38:39], s[58:59], 2
	v_mov_b32_e32 v4, s39
	v_add_co_u32_e32 v18, vcc, s38, v99
	v_addc_co_u32_e32 v19, vcc, v100, v4, vcc
	global_load_dword v12, v[18:19], off
	global_load_dword v13, v[18:19], off offset:256
	global_load_dword v14, v[18:19], off offset:512
	;; [unrolled: 1-line block ×5, first 2 shown]
	s_nop 0
	global_load_dword v18, v[18:19], off offset:1536
	s_mov_b64 s[38:39], -1
	s_movk_i32 s42, 0x800
	s_cbranch_execz .LBB502_67
	s_branch .LBB502_76
.LBB502_66:                             ;   in Loop: Header=BB502_64 Depth=2
	s_mov_b64 s[38:39], 0
                                        ; implicit-def: $vgpr12_vgpr13_vgpr14_vgpr15_vgpr16_vgpr17_vgpr18_vgpr19
	s_movk_i32 s42, 0x800
.LBB502_67:                             ;   in Loop: Header=BB502_64 Depth=2
	s_lshl_b64 s[38:39], s[58:59], 2
	v_mov_b32_e32 v4, s39
	v_add_co_u32_e32 v30, vcc, s38, v99
	s_waitcnt vmcnt(6)
	v_mov_b32_e32 v12, v11
	s_waitcnt vmcnt(5)
	v_mov_b32_e32 v13, v11
	;; [unrolled: 2-line block ×7, first 2 shown]
	v_addc_co_u32_e32 v31, vcc, v100, v4, vcc
	v_mov_b32_e32 v19, v18
	v_cmp_gt_u32_e32 vcc, s70, v80
	v_mov_b32_e32 v18, v17
	v_mov_b32_e32 v17, v16
	;; [unrolled: 1-line block ×7, first 2 shown]
	s_and_saveexec_b64 s[38:39], vcc
	s_cbranch_execnz .LBB502_170
; %bb.68:                               ;   in Loop: Header=BB502_64 Depth=2
	s_or_b64 exec, exec, s[38:39]
	v_cmp_gt_u32_e32 vcc, s70, v81
	s_and_saveexec_b64 s[38:39], vcc
	s_cbranch_execnz .LBB502_171
.LBB502_69:                             ;   in Loop: Header=BB502_64 Depth=2
	s_or_b64 exec, exec, s[38:39]
	v_cmp_gt_u32_e32 vcc, s70, v82
	s_and_saveexec_b64 s[38:39], vcc
	s_cbranch_execnz .LBB502_172
.LBB502_70:                             ;   in Loop: Header=BB502_64 Depth=2
	s_or_b64 exec, exec, s[38:39]
	v_cmp_gt_u32_e32 vcc, s70, v83
	s_and_saveexec_b64 s[38:39], vcc
	s_cbranch_execnz .LBB502_173
.LBB502_71:                             ;   in Loop: Header=BB502_64 Depth=2
	s_or_b64 exec, exec, s[38:39]
	v_cmp_gt_u32_e32 vcc, s70, v87
	s_and_saveexec_b64 s[38:39], vcc
	s_cbranch_execnz .LBB502_174
.LBB502_72:                             ;   in Loop: Header=BB502_64 Depth=2
	s_or_b64 exec, exec, s[38:39]
	v_cmp_gt_u32_e32 vcc, s70, v88
	s_and_saveexec_b64 s[38:39], vcc
	s_cbranch_execnz .LBB502_175
.LBB502_73:                             ;   in Loop: Header=BB502_64 Depth=2
	s_or_b64 exec, exec, s[38:39]
	v_cmp_gt_u32_e32 vcc, s70, v89
	s_and_saveexec_b64 s[38:39], vcc
	s_cbranch_execz .LBB502_75
.LBB502_74:                             ;   in Loop: Header=BB502_64 Depth=2
	global_load_dword v18, v[30:31], off offset:1536
.LBB502_75:                             ;   in Loop: Header=BB502_64 Depth=2
	s_or_b64 exec, exec, s[38:39]
	s_sub_i32 s42, s80, s58
	v_cmp_gt_u32_e64 s[38:39], s70, v90
.LBB502_76:                             ;   in Loop: Header=BB502_64 Depth=2
	v_mov_b32_e32 v102, s70
	s_and_saveexec_b64 s[40:41], s[38:39]
	s_cbranch_execz .LBB502_78
; %bb.77:                               ;   in Loop: Header=BB502_64 Depth=2
	s_lshl_b64 s[38:39], s[58:59], 2
	v_mov_b32_e32 v4, s39
	v_add_co_u32_e32 v30, vcc, s38, v99
	v_addc_co_u32_e32 v31, vcc, v100, v4, vcc
	global_load_dword v19, v[30:31], off offset:1792
	v_mov_b32_e32 v102, s42
.LBB502_78:                             ;   in Loop: Header=BB502_64 Depth=2
	s_or_b64 exec, exec, s[40:41]
	s_waitcnt vmcnt(0)
	v_xor_b32_e32 v103, 0x7fffffff, v12
	v_lshrrev_b32_e32 v4, s7, v103
	v_and_b32_e32 v12, s62, v4
	v_and_b32_e32 v4, 1, v12
	v_add_co_u32_e32 v30, vcc, -1, v4
	v_addc_co_u32_e64 v31, s[38:39], 0, -1, vcc
	v_cmp_ne_u32_e32 vcc, 0, v4
	v_xor_b32_e32 v4, vcc_hi, v31
	v_and_b32_e32 v31, exec_hi, v4
	v_lshlrev_b32_e32 v4, 30, v12
	v_xor_b32_e32 v30, vcc_lo, v30
	v_cmp_gt_i64_e32 vcc, 0, v[3:4]
	v_not_b32_e32 v4, v4
	v_ashrrev_i32_e32 v4, 31, v4
	v_and_b32_e32 v30, exec_lo, v30
	v_xor_b32_e32 v106, vcc_hi, v4
	v_xor_b32_e32 v4, vcc_lo, v4
	v_and_b32_e32 v30, v30, v4
	v_lshlrev_b32_e32 v4, 29, v12
	v_cmp_gt_i64_e32 vcc, 0, v[3:4]
	v_not_b32_e32 v4, v4
	v_ashrrev_i32_e32 v4, 31, v4
	v_and_b32_e32 v31, v31, v106
	v_xor_b32_e32 v106, vcc_hi, v4
	v_xor_b32_e32 v4, vcc_lo, v4
	v_and_b32_e32 v30, v30, v4
	v_lshlrev_b32_e32 v4, 28, v12
	v_cmp_gt_i64_e32 vcc, 0, v[3:4]
	v_not_b32_e32 v4, v4
	v_ashrrev_i32_e32 v4, 31, v4
	v_and_b32_e32 v31, v31, v106
	;; [unrolled: 8-line block ×5, first 2 shown]
	v_xor_b32_e32 v106, vcc_hi, v4
	v_xor_b32_e32 v4, vcc_lo, v4
	v_and_b32_e32 v30, v30, v4
	v_lshlrev_b32_e32 v4, 24, v12
	v_cmp_gt_i64_e32 vcc, 0, v[3:4]
	v_not_b32_e32 v4, v4
	v_ashrrev_i32_e32 v4, 31, v4
	v_mul_u32_u24_e32 v107, 20, v12
	v_xor_b32_e32 v12, vcc_hi, v4
	v_xor_b32_e32 v4, vcc_lo, v4
	v_and_b32_e32 v31, v31, v106
	v_and_b32_e32 v30, v30, v4
	;; [unrolled: 1-line block ×3, first 2 shown]
	v_mbcnt_lo_u32_b32 v4, v30, 0
	v_mbcnt_hi_u32_b32 v106, v31, v4
	v_cmp_ne_u64_e32 vcc, 0, v[30:31]
	v_cmp_eq_u32_e64 s[38:39], 0, v106
	v_add_u32_e32 v105, 0x410, v48
	v_add_u32_e32 v104, 0x418, v48
	s_and_b64 s[40:41], vcc, s[38:39]
	v_add_u32_e32 v107, v101, v107
	ds_write2_b32 v105, v3, v3 offset1:1
	ds_write2_b32 v104, v3, v3 offset1:1
	ds_write_b32 v48, v3 offset:1056
	s_waitcnt lgkmcnt(0)
	s_barrier
	; wave barrier
	s_and_saveexec_b64 s[38:39], s[40:41]
; %bb.79:                               ;   in Loop: Header=BB502_64 Depth=2
	v_bcnt_u32_b32 v4, v30, 0
	v_bcnt_u32_b32 v4, v31, v4
	ds_write_b32 v107, v4 offset:1040
; %bb.80:                               ;   in Loop: Header=BB502_64 Depth=2
	s_or_b64 exec, exec, s[38:39]
	v_xor_b32_e32 v30, 0x7fffffff, v13
	v_lshrrev_b32_e32 v4, s7, v30
	v_and_b32_e32 v12, s62, v4
	v_mad_u32_u24 v4, v12, 20, v101
	; wave barrier
	ds_read_b32 v31, v4 offset:1040
	v_and_b32_e32 v4, 1, v12
	v_add_co_u32_e32 v13, vcc, -1, v4
	v_addc_co_u32_e64 v108, s[38:39], 0, -1, vcc
	v_cmp_ne_u32_e32 vcc, 0, v4
	v_xor_b32_e32 v4, vcc_hi, v108
	v_and_b32_e32 v108, exec_hi, v4
	v_lshlrev_b32_e32 v4, 30, v12
	v_xor_b32_e32 v13, vcc_lo, v13
	v_cmp_gt_i64_e32 vcc, 0, v[3:4]
	v_not_b32_e32 v4, v4
	v_ashrrev_i32_e32 v4, 31, v4
	v_and_b32_e32 v13, exec_lo, v13
	v_xor_b32_e32 v110, vcc_hi, v4
	v_xor_b32_e32 v4, vcc_lo, v4
	v_and_b32_e32 v13, v13, v4
	v_lshlrev_b32_e32 v4, 29, v12
	v_cmp_gt_i64_e32 vcc, 0, v[3:4]
	v_not_b32_e32 v4, v4
	v_ashrrev_i32_e32 v4, 31, v4
	v_and_b32_e32 v108, v108, v110
	v_xor_b32_e32 v110, vcc_hi, v4
	v_xor_b32_e32 v4, vcc_lo, v4
	v_and_b32_e32 v13, v13, v4
	v_lshlrev_b32_e32 v4, 28, v12
	v_cmp_gt_i64_e32 vcc, 0, v[3:4]
	v_not_b32_e32 v4, v4
	v_ashrrev_i32_e32 v4, 31, v4
	v_and_b32_e32 v108, v108, v110
	;; [unrolled: 8-line block ×5, first 2 shown]
	v_xor_b32_e32 v110, vcc_hi, v4
	v_xor_b32_e32 v4, vcc_lo, v4
	v_and_b32_e32 v108, v108, v110
	v_and_b32_e32 v110, v13, v4
	v_lshlrev_b32_e32 v4, 24, v12
	v_cmp_gt_i64_e32 vcc, 0, v[3:4]
	v_not_b32_e32 v4, v4
	v_ashrrev_i32_e32 v4, 31, v4
	v_mul_u32_u24_e32 v109, 20, v12
	v_xor_b32_e32 v12, vcc_hi, v4
	v_xor_b32_e32 v4, vcc_lo, v4
	v_and_b32_e32 v13, v108, v12
	v_and_b32_e32 v12, v110, v4
	v_mbcnt_lo_u32_b32 v4, v12, 0
	v_mbcnt_hi_u32_b32 v108, v13, v4
	v_cmp_ne_u64_e32 vcc, 0, v[12:13]
	v_cmp_eq_u32_e64 s[38:39], 0, v108
	s_and_b64 s[40:41], vcc, s[38:39]
	v_add_u32_e32 v111, v101, v109
	; wave barrier
	s_and_saveexec_b64 s[38:39], s[40:41]
	s_cbranch_execz .LBB502_82
; %bb.81:                               ;   in Loop: Header=BB502_64 Depth=2
	v_bcnt_u32_b32 v4, v12, 0
	v_bcnt_u32_b32 v4, v13, v4
	s_waitcnt lgkmcnt(0)
	v_add_u32_e32 v4, v31, v4
	ds_write_b32 v111, v4 offset:1040
.LBB502_82:                             ;   in Loop: Header=BB502_64 Depth=2
	s_or_b64 exec, exec, s[38:39]
	v_xor_b32_e32 v109, 0x7fffffff, v14
	v_lshrrev_b32_e32 v4, s7, v109
	v_and_b32_e32 v12, s62, v4
	v_mad_u32_u24 v4, v12, 20, v101
	; wave barrier
	ds_read_b32 v110, v4 offset:1040
	v_and_b32_e32 v4, 1, v12
	v_add_co_u32_e32 v13, vcc, -1, v4
	v_addc_co_u32_e64 v112, s[38:39], 0, -1, vcc
	v_cmp_ne_u32_e32 vcc, 0, v4
	v_xor_b32_e32 v4, vcc_hi, v112
	v_and_b32_e32 v112, exec_hi, v4
	v_lshlrev_b32_e32 v4, 30, v12
	v_xor_b32_e32 v13, vcc_lo, v13
	v_cmp_gt_i64_e32 vcc, 0, v[3:4]
	v_not_b32_e32 v4, v4
	v_ashrrev_i32_e32 v4, 31, v4
	v_and_b32_e32 v13, exec_lo, v13
	v_xor_b32_e32 v113, vcc_hi, v4
	v_xor_b32_e32 v4, vcc_lo, v4
	v_and_b32_e32 v13, v13, v4
	v_lshlrev_b32_e32 v4, 29, v12
	v_cmp_gt_i64_e32 vcc, 0, v[3:4]
	v_not_b32_e32 v4, v4
	v_ashrrev_i32_e32 v4, 31, v4
	v_and_b32_e32 v112, v112, v113
	v_xor_b32_e32 v113, vcc_hi, v4
	v_xor_b32_e32 v4, vcc_lo, v4
	v_and_b32_e32 v13, v13, v4
	v_lshlrev_b32_e32 v4, 28, v12
	v_cmp_gt_i64_e32 vcc, 0, v[3:4]
	v_not_b32_e32 v4, v4
	v_ashrrev_i32_e32 v4, 31, v4
	v_and_b32_e32 v112, v112, v113
	;; [unrolled: 8-line block ×5, first 2 shown]
	v_xor_b32_e32 v113, vcc_hi, v4
	v_xor_b32_e32 v4, vcc_lo, v4
	v_and_b32_e32 v112, v112, v113
	v_and_b32_e32 v113, v13, v4
	v_lshlrev_b32_e32 v4, 24, v12
	v_cmp_gt_i64_e32 vcc, 0, v[3:4]
	v_not_b32_e32 v4, v4
	v_ashrrev_i32_e32 v4, 31, v4
	v_mul_u32_u24_e32 v14, 20, v12
	v_xor_b32_e32 v12, vcc_hi, v4
	v_xor_b32_e32 v4, vcc_lo, v4
	v_and_b32_e32 v13, v112, v12
	v_and_b32_e32 v12, v113, v4
	v_mbcnt_lo_u32_b32 v4, v12, 0
	v_mbcnt_hi_u32_b32 v112, v13, v4
	v_cmp_ne_u64_e32 vcc, 0, v[12:13]
	v_cmp_eq_u32_e64 s[38:39], 0, v112
	s_and_b64 s[40:41], vcc, s[38:39]
	v_add_u32_e32 v115, v101, v14
	; wave barrier
	s_and_saveexec_b64 s[38:39], s[40:41]
	s_cbranch_execz .LBB502_84
; %bb.83:                               ;   in Loop: Header=BB502_64 Depth=2
	v_bcnt_u32_b32 v4, v12, 0
	v_bcnt_u32_b32 v4, v13, v4
	s_waitcnt lgkmcnt(0)
	v_add_u32_e32 v4, v110, v4
	ds_write_b32 v115, v4 offset:1040
.LBB502_84:                             ;   in Loop: Header=BB502_64 Depth=2
	s_or_b64 exec, exec, s[38:39]
	v_xor_b32_e32 v113, 0x7fffffff, v15
	v_lshrrev_b32_e32 v4, s7, v113
	v_and_b32_e32 v12, s62, v4
	v_mad_u32_u24 v4, v12, 20, v101
	; wave barrier
	ds_read_b32 v114, v4 offset:1040
	v_and_b32_e32 v4, 1, v12
	v_add_co_u32_e32 v13, vcc, -1, v4
	v_addc_co_u32_e64 v15, s[38:39], 0, -1, vcc
	v_cmp_ne_u32_e32 vcc, 0, v4
	v_xor_b32_e32 v4, vcc_hi, v15
	v_and_b32_e32 v15, exec_hi, v4
	v_lshlrev_b32_e32 v4, 30, v12
	v_xor_b32_e32 v13, vcc_lo, v13
	v_cmp_gt_i64_e32 vcc, 0, v[3:4]
	v_not_b32_e32 v4, v4
	v_ashrrev_i32_e32 v4, 31, v4
	v_and_b32_e32 v13, exec_lo, v13
	v_xor_b32_e32 v116, vcc_hi, v4
	v_xor_b32_e32 v4, vcc_lo, v4
	v_and_b32_e32 v13, v13, v4
	v_lshlrev_b32_e32 v4, 29, v12
	v_cmp_gt_i64_e32 vcc, 0, v[3:4]
	v_not_b32_e32 v4, v4
	v_ashrrev_i32_e32 v4, 31, v4
	v_and_b32_e32 v15, v15, v116
	v_xor_b32_e32 v116, vcc_hi, v4
	v_xor_b32_e32 v4, vcc_lo, v4
	v_and_b32_e32 v13, v13, v4
	v_lshlrev_b32_e32 v4, 28, v12
	v_cmp_gt_i64_e32 vcc, 0, v[3:4]
	v_not_b32_e32 v4, v4
	v_ashrrev_i32_e32 v4, 31, v4
	v_and_b32_e32 v15, v15, v116
	;; [unrolled: 8-line block ×5, first 2 shown]
	v_xor_b32_e32 v116, vcc_hi, v4
	v_xor_b32_e32 v4, vcc_lo, v4
	v_and_b32_e32 v15, v15, v116
	v_and_b32_e32 v116, v13, v4
	v_lshlrev_b32_e32 v4, 24, v12
	v_cmp_gt_i64_e32 vcc, 0, v[3:4]
	v_not_b32_e32 v4, v4
	v_ashrrev_i32_e32 v4, 31, v4
	v_mul_u32_u24_e32 v14, 20, v12
	v_xor_b32_e32 v12, vcc_hi, v4
	v_xor_b32_e32 v4, vcc_lo, v4
	v_and_b32_e32 v13, v15, v12
	v_and_b32_e32 v12, v116, v4
	v_mbcnt_lo_u32_b32 v4, v12, 0
	v_mbcnt_hi_u32_b32 v116, v13, v4
	v_cmp_ne_u64_e32 vcc, 0, v[12:13]
	v_cmp_eq_u32_e64 s[38:39], 0, v116
	s_and_b64 s[40:41], vcc, s[38:39]
	v_add_u32_e32 v118, v101, v14
	; wave barrier
	s_and_saveexec_b64 s[38:39], s[40:41]
	s_cbranch_execz .LBB502_86
; %bb.85:                               ;   in Loop: Header=BB502_64 Depth=2
	v_bcnt_u32_b32 v4, v12, 0
	v_bcnt_u32_b32 v4, v13, v4
	s_waitcnt lgkmcnt(0)
	v_add_u32_e32 v4, v114, v4
	ds_write_b32 v118, v4 offset:1040
.LBB502_86:                             ;   in Loop: Header=BB502_64 Depth=2
	s_or_b64 exec, exec, s[38:39]
	v_xor_b32_e32 v16, 0x7fffffff, v16
	v_lshrrev_b32_e32 v4, s7, v16
	v_and_b32_e32 v12, s62, v4
	v_mad_u32_u24 v4, v12, 20, v101
	; wave barrier
	ds_read_b32 v117, v4 offset:1040
	v_and_b32_e32 v4, 1, v12
	v_add_co_u32_e32 v13, vcc, -1, v4
	v_addc_co_u32_e64 v15, s[38:39], 0, -1, vcc
	v_cmp_ne_u32_e32 vcc, 0, v4
	v_xor_b32_e32 v4, vcc_hi, v15
	v_and_b32_e32 v15, exec_hi, v4
	v_lshlrev_b32_e32 v4, 30, v12
	v_xor_b32_e32 v13, vcc_lo, v13
	v_cmp_gt_i64_e32 vcc, 0, v[3:4]
	v_not_b32_e32 v4, v4
	v_ashrrev_i32_e32 v4, 31, v4
	v_and_b32_e32 v13, exec_lo, v13
	v_xor_b32_e32 v119, vcc_hi, v4
	v_xor_b32_e32 v4, vcc_lo, v4
	v_and_b32_e32 v13, v13, v4
	v_lshlrev_b32_e32 v4, 29, v12
	v_cmp_gt_i64_e32 vcc, 0, v[3:4]
	v_not_b32_e32 v4, v4
	v_ashrrev_i32_e32 v4, 31, v4
	v_and_b32_e32 v15, v15, v119
	v_xor_b32_e32 v119, vcc_hi, v4
	v_xor_b32_e32 v4, vcc_lo, v4
	v_and_b32_e32 v13, v13, v4
	v_lshlrev_b32_e32 v4, 28, v12
	v_cmp_gt_i64_e32 vcc, 0, v[3:4]
	v_not_b32_e32 v4, v4
	v_ashrrev_i32_e32 v4, 31, v4
	v_and_b32_e32 v15, v15, v119
	;; [unrolled: 8-line block ×5, first 2 shown]
	v_xor_b32_e32 v119, vcc_hi, v4
	v_xor_b32_e32 v4, vcc_lo, v4
	v_and_b32_e32 v15, v15, v119
	v_and_b32_e32 v119, v13, v4
	v_lshlrev_b32_e32 v4, 24, v12
	v_cmp_gt_i64_e32 vcc, 0, v[3:4]
	v_not_b32_e32 v4, v4
	v_ashrrev_i32_e32 v4, 31, v4
	v_mul_u32_u24_e32 v14, 20, v12
	v_xor_b32_e32 v12, vcc_hi, v4
	v_xor_b32_e32 v4, vcc_lo, v4
	v_and_b32_e32 v13, v15, v12
	v_and_b32_e32 v12, v119, v4
	v_mbcnt_lo_u32_b32 v4, v12, 0
	v_mbcnt_hi_u32_b32 v119, v13, v4
	v_cmp_ne_u64_e32 vcc, 0, v[12:13]
	v_cmp_eq_u32_e64 s[38:39], 0, v119
	s_and_b64 s[40:41], vcc, s[38:39]
	v_add_u32_e32 v121, v101, v14
	; wave barrier
	s_and_saveexec_b64 s[38:39], s[40:41]
	s_cbranch_execz .LBB502_88
; %bb.87:                               ;   in Loop: Header=BB502_64 Depth=2
	v_bcnt_u32_b32 v4, v12, 0
	v_bcnt_u32_b32 v4, v13, v4
	s_waitcnt lgkmcnt(0)
	v_add_u32_e32 v4, v117, v4
	ds_write_b32 v121, v4 offset:1040
.LBB502_88:                             ;   in Loop: Header=BB502_64 Depth=2
	s_or_b64 exec, exec, s[38:39]
	v_xor_b32_e32 v120, 0x7fffffff, v17
	v_lshrrev_b32_e32 v4, s7, v120
	v_and_b32_e32 v12, s62, v4
	v_mad_u32_u24 v4, v12, 20, v101
	; wave barrier
	ds_read_b32 v17, v4 offset:1040
	v_and_b32_e32 v4, 1, v12
	v_add_co_u32_e32 v13, vcc, -1, v4
	v_addc_co_u32_e64 v15, s[38:39], 0, -1, vcc
	v_cmp_ne_u32_e32 vcc, 0, v4
	v_xor_b32_e32 v4, vcc_hi, v15
	v_and_b32_e32 v15, exec_hi, v4
	v_lshlrev_b32_e32 v4, 30, v12
	v_xor_b32_e32 v13, vcc_lo, v13
	v_cmp_gt_i64_e32 vcc, 0, v[3:4]
	v_not_b32_e32 v4, v4
	v_ashrrev_i32_e32 v4, 31, v4
	v_and_b32_e32 v13, exec_lo, v13
	v_xor_b32_e32 v122, vcc_hi, v4
	v_xor_b32_e32 v4, vcc_lo, v4
	v_and_b32_e32 v13, v13, v4
	v_lshlrev_b32_e32 v4, 29, v12
	v_cmp_gt_i64_e32 vcc, 0, v[3:4]
	v_not_b32_e32 v4, v4
	v_ashrrev_i32_e32 v4, 31, v4
	v_and_b32_e32 v15, v15, v122
	v_xor_b32_e32 v122, vcc_hi, v4
	v_xor_b32_e32 v4, vcc_lo, v4
	v_and_b32_e32 v13, v13, v4
	v_lshlrev_b32_e32 v4, 28, v12
	v_cmp_gt_i64_e32 vcc, 0, v[3:4]
	v_not_b32_e32 v4, v4
	v_ashrrev_i32_e32 v4, 31, v4
	v_and_b32_e32 v15, v15, v122
	;; [unrolled: 8-line block ×5, first 2 shown]
	v_xor_b32_e32 v122, vcc_hi, v4
	v_xor_b32_e32 v4, vcc_lo, v4
	v_and_b32_e32 v15, v15, v122
	v_and_b32_e32 v122, v13, v4
	v_lshlrev_b32_e32 v4, 24, v12
	v_cmp_gt_i64_e32 vcc, 0, v[3:4]
	v_not_b32_e32 v4, v4
	v_ashrrev_i32_e32 v4, 31, v4
	v_mul_u32_u24_e32 v14, 20, v12
	v_xor_b32_e32 v12, vcc_hi, v4
	v_xor_b32_e32 v4, vcc_lo, v4
	v_and_b32_e32 v13, v15, v12
	v_and_b32_e32 v12, v122, v4
	v_mbcnt_lo_u32_b32 v4, v12, 0
	v_mbcnt_hi_u32_b32 v122, v13, v4
	v_cmp_ne_u64_e32 vcc, 0, v[12:13]
	v_cmp_eq_u32_e64 s[38:39], 0, v122
	s_and_b64 s[40:41], vcc, s[38:39]
	v_add_u32_e32 v125, v101, v14
	; wave barrier
	s_and_saveexec_b64 s[38:39], s[40:41]
	s_cbranch_execz .LBB502_90
; %bb.89:                               ;   in Loop: Header=BB502_64 Depth=2
	v_bcnt_u32_b32 v4, v12, 0
	v_bcnt_u32_b32 v4, v13, v4
	s_waitcnt lgkmcnt(0)
	v_add_u32_e32 v4, v17, v4
	ds_write_b32 v125, v4 offset:1040
.LBB502_90:                             ;   in Loop: Header=BB502_64 Depth=2
	s_or_b64 exec, exec, s[38:39]
	v_xor_b32_e32 v123, 0x7fffffff, v18
	v_lshrrev_b32_e32 v4, s7, v123
	v_and_b32_e32 v12, s62, v4
	v_mad_u32_u24 v4, v12, 20, v101
	; wave barrier
	ds_read_b32 v124, v4 offset:1040
	v_and_b32_e32 v4, 1, v12
	v_add_co_u32_e32 v13, vcc, -1, v4
	v_addc_co_u32_e64 v15, s[38:39], 0, -1, vcc
	v_cmp_ne_u32_e32 vcc, 0, v4
	v_xor_b32_e32 v4, vcc_hi, v15
	v_and_b32_e32 v15, exec_hi, v4
	v_lshlrev_b32_e32 v4, 30, v12
	v_xor_b32_e32 v13, vcc_lo, v13
	v_cmp_gt_i64_e32 vcc, 0, v[3:4]
	v_not_b32_e32 v4, v4
	v_ashrrev_i32_e32 v4, 31, v4
	v_and_b32_e32 v13, exec_lo, v13
	v_xor_b32_e32 v18, vcc_hi, v4
	v_xor_b32_e32 v4, vcc_lo, v4
	v_and_b32_e32 v13, v13, v4
	v_lshlrev_b32_e32 v4, 29, v12
	v_cmp_gt_i64_e32 vcc, 0, v[3:4]
	v_not_b32_e32 v4, v4
	v_ashrrev_i32_e32 v4, 31, v4
	v_and_b32_e32 v15, v15, v18
	v_xor_b32_e32 v18, vcc_hi, v4
	v_xor_b32_e32 v4, vcc_lo, v4
	v_and_b32_e32 v13, v13, v4
	v_lshlrev_b32_e32 v4, 28, v12
	v_cmp_gt_i64_e32 vcc, 0, v[3:4]
	v_not_b32_e32 v4, v4
	v_ashrrev_i32_e32 v4, 31, v4
	v_and_b32_e32 v15, v15, v18
	;; [unrolled: 8-line block ×5, first 2 shown]
	v_xor_b32_e32 v18, vcc_hi, v4
	v_xor_b32_e32 v4, vcc_lo, v4
	v_and_b32_e32 v15, v15, v18
	v_and_b32_e32 v18, v13, v4
	v_lshlrev_b32_e32 v4, 24, v12
	v_cmp_gt_i64_e32 vcc, 0, v[3:4]
	v_not_b32_e32 v4, v4
	v_ashrrev_i32_e32 v4, 31, v4
	v_mul_u32_u24_e32 v14, 20, v12
	v_xor_b32_e32 v12, vcc_hi, v4
	v_xor_b32_e32 v4, vcc_lo, v4
	v_and_b32_e32 v13, v15, v12
	v_and_b32_e32 v12, v18, v4
	v_mbcnt_lo_u32_b32 v4, v12, 0
	v_mbcnt_hi_u32_b32 v126, v13, v4
	v_cmp_ne_u64_e32 vcc, 0, v[12:13]
	v_cmp_eq_u32_e64 s[38:39], 0, v126
	s_and_b64 s[40:41], vcc, s[38:39]
	v_add_u32_e32 v18, v101, v14
	; wave barrier
	s_and_saveexec_b64 s[38:39], s[40:41]
	s_cbranch_execz .LBB502_92
; %bb.91:                               ;   in Loop: Header=BB502_64 Depth=2
	v_bcnt_u32_b32 v4, v12, 0
	v_bcnt_u32_b32 v4, v13, v4
	s_waitcnt lgkmcnt(0)
	v_add_u32_e32 v4, v124, v4
	ds_write_b32 v18, v4 offset:1040
.LBB502_92:                             ;   in Loop: Header=BB502_64 Depth=2
	s_or_b64 exec, exec, s[38:39]
	v_xor_b32_e32 v127, 0x7fffffff, v19
	v_lshrrev_b32_e32 v4, s7, v127
	v_and_b32_e32 v12, s62, v4
	v_mad_u32_u24 v4, v12, 20, v101
	; wave barrier
	ds_read_b32 v128, v4 offset:1040
	v_and_b32_e32 v4, 1, v12
	v_add_co_u32_e32 v13, vcc, -1, v4
	v_addc_co_u32_e64 v15, s[38:39], 0, -1, vcc
	v_cmp_ne_u32_e32 vcc, 0, v4
	v_xor_b32_e32 v4, vcc_hi, v15
	v_and_b32_e32 v15, exec_hi, v4
	v_lshlrev_b32_e32 v4, 30, v12
	v_xor_b32_e32 v13, vcc_lo, v13
	v_cmp_gt_i64_e32 vcc, 0, v[3:4]
	v_not_b32_e32 v4, v4
	v_ashrrev_i32_e32 v4, 31, v4
	v_and_b32_e32 v13, exec_lo, v13
	v_xor_b32_e32 v19, vcc_hi, v4
	v_xor_b32_e32 v4, vcc_lo, v4
	v_and_b32_e32 v13, v13, v4
	v_lshlrev_b32_e32 v4, 29, v12
	v_cmp_gt_i64_e32 vcc, 0, v[3:4]
	v_not_b32_e32 v4, v4
	v_ashrrev_i32_e32 v4, 31, v4
	v_and_b32_e32 v15, v15, v19
	v_xor_b32_e32 v19, vcc_hi, v4
	v_xor_b32_e32 v4, vcc_lo, v4
	v_and_b32_e32 v13, v13, v4
	v_lshlrev_b32_e32 v4, 28, v12
	v_cmp_gt_i64_e32 vcc, 0, v[3:4]
	v_not_b32_e32 v4, v4
	v_ashrrev_i32_e32 v4, 31, v4
	v_and_b32_e32 v15, v15, v19
	;; [unrolled: 8-line block ×5, first 2 shown]
	v_xor_b32_e32 v19, vcc_hi, v4
	v_xor_b32_e32 v4, vcc_lo, v4
	v_and_b32_e32 v15, v15, v19
	v_and_b32_e32 v19, v13, v4
	v_lshlrev_b32_e32 v4, 24, v12
	v_cmp_gt_i64_e32 vcc, 0, v[3:4]
	v_not_b32_e32 v4, v4
	v_ashrrev_i32_e32 v4, 31, v4
	v_mul_u32_u24_e32 v14, 20, v12
	v_xor_b32_e32 v12, vcc_hi, v4
	v_xor_b32_e32 v4, vcc_lo, v4
	v_and_b32_e32 v13, v15, v12
	v_and_b32_e32 v12, v19, v4
	v_mbcnt_lo_u32_b32 v4, v12, 0
	v_mbcnt_hi_u32_b32 v129, v13, v4
	v_cmp_ne_u64_e32 vcc, 0, v[12:13]
	v_cmp_eq_u32_e64 s[38:39], 0, v129
	s_and_b64 s[40:41], vcc, s[38:39]
	v_add_u32_e32 v4, v101, v14
	; wave barrier
	s_and_saveexec_b64 s[38:39], s[40:41]
	s_cbranch_execz .LBB502_94
; %bb.93:                               ;   in Loop: Header=BB502_64 Depth=2
	v_bcnt_u32_b32 v12, v12, 0
	v_bcnt_u32_b32 v12, v13, v12
	s_waitcnt lgkmcnt(0)
	v_add_u32_e32 v12, v128, v12
	ds_write_b32 v4, v12 offset:1040
.LBB502_94:                             ;   in Loop: Header=BB502_64 Depth=2
	s_or_b64 exec, exec, s[38:39]
	; wave barrier
	s_waitcnt lgkmcnt(0)
	s_barrier
	ds_read2_b32 v[14:15], v105 offset1:1
	ds_read2_b32 v[12:13], v104 offset1:1
	ds_read_b32 v19, v48 offset:1056
	s_waitcnt lgkmcnt(1)
	v_add3_u32 v130, v15, v14, v12
	s_waitcnt lgkmcnt(0)
	v_add3_u32 v19, v130, v13, v19
	s_nop 1
	v_mov_b32_dpp v130, v19 row_shr:1 row_mask:0xf bank_mask:0xf
	v_cndmask_b32_e64 v130, v130, 0, s[18:19]
	v_add_u32_e32 v19, v130, v19
	s_nop 1
	v_mov_b32_dpp v130, v19 row_shr:2 row_mask:0xf bank_mask:0xf
	v_cndmask_b32_e64 v130, 0, v130, s[20:21]
	v_add_u32_e32 v19, v19, v130
	;; [unrolled: 4-line block ×4, first 2 shown]
	s_nop 1
	v_mov_b32_dpp v130, v19 row_bcast:15 row_mask:0xf bank_mask:0xf
	v_cndmask_b32_e64 v130, v130, 0, s[26:27]
	v_add_u32_e32 v19, v19, v130
	s_nop 1
	v_mov_b32_dpp v130, v19 row_bcast:31 row_mask:0xf bank_mask:0xf
	v_cndmask_b32_e64 v130, 0, v130, s[28:29]
	v_add_u32_e32 v19, v19, v130
	s_and_saveexec_b64 s[38:39], s[8:9]
; %bb.95:                               ;   in Loop: Header=BB502_64 Depth=2
	ds_write_b32 v44, v19 offset:1024
; %bb.96:                               ;   in Loop: Header=BB502_64 Depth=2
	s_or_b64 exec, exec, s[38:39]
	s_waitcnt lgkmcnt(0)
	s_barrier
	s_and_saveexec_b64 s[38:39], s[10:11]
	s_cbranch_execz .LBB502_98
; %bb.97:                               ;   in Loop: Header=BB502_64 Depth=2
	ds_read_b32 v130, v49 offset:1024
	s_waitcnt lgkmcnt(0)
	s_nop 0
	v_mov_b32_dpp v131, v130 row_shr:1 row_mask:0xf bank_mask:0xf
	v_cndmask_b32_e64 v131, v131, 0, s[34:35]
	v_add_u32_e32 v130, v131, v130
	s_nop 1
	v_mov_b32_dpp v131, v130 row_shr:2 row_mask:0xf bank_mask:0xf
	v_cndmask_b32_e64 v131, 0, v131, s[36:37]
	v_add_u32_e32 v130, v130, v131
	ds_write_b32 v49, v130 offset:1024
.LBB502_98:                             ;   in Loop: Header=BB502_64 Depth=2
	s_or_b64 exec, exec, s[38:39]
	v_mov_b32_e32 v130, 0
	s_waitcnt lgkmcnt(0)
	s_barrier
	s_and_saveexec_b64 s[38:39], s[12:13]
; %bb.99:                               ;   in Loop: Header=BB502_64 Depth=2
	ds_read_b32 v130, v44 offset:1020
; %bb.100:                              ;   in Loop: Header=BB502_64 Depth=2
	s_or_b64 exec, exec, s[38:39]
	s_waitcnt lgkmcnt(0)
	v_add_u32_e32 v19, v130, v19
	ds_bpermute_b32 v19, v84, v19
	s_waitcnt lgkmcnt(0)
	v_cndmask_b32_e64 v19, v19, v130, s[30:31]
	v_cndmask_b32_e64 v19, v19, 0, s[14:15]
	v_add_u32_e32 v14, v19, v14
	v_add_u32_e32 v15, v14, v15
	;; [unrolled: 1-line block ×4, first 2 shown]
	ds_write2_b32 v105, v19, v14 offset1:1
	ds_write2_b32 v104, v15, v12 offset1:1
	ds_write_b32 v48, v13 offset:1056
	s_waitcnt lgkmcnt(0)
	s_barrier
	ds_read_b32 v12, v107 offset:1040
	ds_read_b32 v13, v111 offset:1040
	;; [unrolled: 1-line block ×9, first 2 shown]
	v_mov_b32_e32 v4, 0x800
	s_and_saveexec_b64 s[38:39], s[16:17]
; %bb.101:                              ;   in Loop: Header=BB502_64 Depth=2
	ds_read_b32 v4, v48 offset:1060
; %bb.102:                              ;   in Loop: Header=BB502_64 Depth=2
	s_or_b64 exec, exec, s[38:39]
	s_waitcnt lgkmcnt(0)
	s_barrier
	s_and_saveexec_b64 s[38:39], s[4:5]
	s_cbranch_execz .LBB502_104
; %bb.103:                              ;   in Loop: Header=BB502_64 Depth=2
	ds_read_b32 v19, v32
	s_waitcnt lgkmcnt(0)
	v_sub_u32_e32 v18, v19, v18
	ds_write_b32 v32, v18
.LBB502_104:                            ;   in Loop: Header=BB502_64 Depth=2
	s_or_b64 exec, exec, s[38:39]
	v_add_u32_e32 v105, v12, v106
	v_add3_u32 v104, v108, v31, v13
	v_lshlrev_b32_e32 v12, 2, v105
	v_add3_u32 v31, v112, v110, v14
	ds_write_b32 v12, v103 offset:1024
	v_lshlrev_b32_e32 v12, 2, v104
	v_add3_u32 v19, v116, v114, v15
	ds_write_b32 v12, v30 offset:1024
	;; [unrolled: 3-line block ×6, first 2 shown]
	v_lshlrev_b32_e32 v12, 2, v15
	ds_write_b32 v12, v123 offset:1024
	v_lshlrev_b32_e32 v12, 2, v14
	v_cmp_lt_u32_e32 vcc, v0, v102
	ds_write_b32 v12, v127 offset:1024
	s_waitcnt lgkmcnt(0)
	s_barrier
	s_and_saveexec_b64 s[40:41], vcc
	s_cbranch_execnz .LBB502_141
; %bb.105:                              ;   in Loop: Header=BB502_64 Depth=2
	s_or_b64 exec, exec, s[40:41]
	v_cmp_lt_u32_e64 s[38:39], v33, v102
	s_and_saveexec_b64 s[42:43], s[38:39]
	s_cbranch_execnz .LBB502_142
.LBB502_106:                            ;   in Loop: Header=BB502_64 Depth=2
	s_or_b64 exec, exec, s[42:43]
	v_cmp_lt_u32_e64 s[40:41], v34, v102
	s_and_saveexec_b64 s[44:45], s[40:41]
	s_cbranch_execnz .LBB502_143
.LBB502_107:                            ;   in Loop: Header=BB502_64 Depth=2
	s_or_b64 exec, exec, s[44:45]
	v_cmp_lt_u32_e64 s[42:43], v35, v102
	s_and_saveexec_b64 s[46:47], s[42:43]
	s_cbranch_execnz .LBB502_144
.LBB502_108:                            ;   in Loop: Header=BB502_64 Depth=2
	s_or_b64 exec, exec, s[46:47]
	v_cmp_lt_u32_e64 s[44:45], v38, v102
	s_and_saveexec_b64 s[48:49], s[44:45]
	s_cbranch_execnz .LBB502_145
.LBB502_109:                            ;   in Loop: Header=BB502_64 Depth=2
	s_or_b64 exec, exec, s[48:49]
	v_cmp_lt_u32_e64 s[46:47], v39, v102
	s_and_saveexec_b64 s[50:51], s[46:47]
	s_cbranch_execnz .LBB502_146
.LBB502_110:                            ;   in Loop: Header=BB502_64 Depth=2
	s_or_b64 exec, exec, s[50:51]
	v_cmp_lt_u32_e64 s[48:49], v40, v102
	s_and_saveexec_b64 s[52:53], s[48:49]
	s_cbranch_execnz .LBB502_147
.LBB502_111:                            ;   in Loop: Header=BB502_64 Depth=2
	s_or_b64 exec, exec, s[52:53]
	v_cmp_lt_u32_e64 s[50:51], v41, v102
	s_and_saveexec_b64 s[60:61], s[50:51]
	s_cbranch_execz .LBB502_113
.LBB502_112:                            ;   in Loop: Header=BB502_64 Depth=2
	ds_read_b32 v12, v49 offset:8192
	v_mov_b32_e32 v30, s67
	s_waitcnt lgkmcnt(0)
	v_lshrrev_b32_e32 v13, s7, v12
	v_and_b32_e32 v13, s62, v13
	v_lshlrev_b32_e32 v13, 2, v13
	ds_read_b32 v16, v13
	v_mov_b32_e32 v13, v3
	v_xor_b32_e32 v103, 0x7fffffff, v12
	s_waitcnt lgkmcnt(0)
	v_add_u32_e32 v12, v16, v41
	v_lshlrev_b64 v[12:13], 2, v[12:13]
	v_add_co_u32_e64 v12, s[52:53], s66, v12
	v_addc_co_u32_e64 v13, s[52:53], v30, v13, s[52:53]
	global_store_dword v[12:13], v103, off
.LBB502_113:                            ;   in Loop: Header=BB502_64 Depth=2
	s_or_b64 exec, exec, s[60:61]
	s_lshl_b64 s[52:53], s[58:59], 3
	v_mov_b32_e32 v13, s53
	v_add_co_u32_e64 v12, s[52:53], s52, v85
	v_addc_co_u32_e64 v13, s[52:53], v86, v13, s[52:53]
	v_cmp_lt_u32_e64 s[52:53], v80, v102
	s_and_saveexec_b64 s[60:61], s[52:53]
	s_xor_b64 s[52:53], exec, s[60:61]
	s_cbranch_execnz .LBB502_148
; %bb.114:                              ;   in Loop: Header=BB502_64 Depth=2
	s_or_b64 exec, exec, s[52:53]
	v_cmp_lt_u32_e64 s[52:53], v81, v102
	s_and_saveexec_b64 s[60:61], s[52:53]
	s_cbranch_execnz .LBB502_149
.LBB502_115:                            ;   in Loop: Header=BB502_64 Depth=2
	s_or_b64 exec, exec, s[60:61]
	v_cmp_lt_u32_e64 s[52:53], v82, v102
	s_and_saveexec_b64 s[60:61], s[52:53]
	s_cbranch_execnz .LBB502_150
.LBB502_116:                            ;   in Loop: Header=BB502_64 Depth=2
	s_or_b64 exec, exec, s[60:61]
	v_cmp_lt_u32_e64 s[52:53], v83, v102
	s_and_saveexec_b64 s[60:61], s[52:53]
	s_cbranch_execnz .LBB502_151
.LBB502_117:                            ;   in Loop: Header=BB502_64 Depth=2
	s_or_b64 exec, exec, s[60:61]
	v_cmp_lt_u32_e64 s[52:53], v87, v102
	s_and_saveexec_b64 s[60:61], s[52:53]
	s_cbranch_execnz .LBB502_152
.LBB502_118:                            ;   in Loop: Header=BB502_64 Depth=2
	s_or_b64 exec, exec, s[60:61]
	v_cmp_lt_u32_e64 s[52:53], v88, v102
	s_and_saveexec_b64 s[60:61], s[52:53]
	s_cbranch_execnz .LBB502_153
.LBB502_119:                            ;   in Loop: Header=BB502_64 Depth=2
	s_or_b64 exec, exec, s[60:61]
	v_cmp_lt_u32_e64 s[52:53], v89, v102
	s_and_saveexec_b64 s[60:61], s[52:53]
	s_cbranch_execnz .LBB502_154
.LBB502_120:                            ;   in Loop: Header=BB502_64 Depth=2
	s_or_b64 exec, exec, s[60:61]
	v_cmp_lt_u32_e64 s[52:53], v90, v102
	s_and_saveexec_b64 s[60:61], s[52:53]
	s_cbranch_execnz .LBB502_155
.LBB502_121:                            ;   in Loop: Header=BB502_64 Depth=2
	s_or_b64 exec, exec, s[60:61]
	s_and_saveexec_b64 s[52:53], vcc
	s_cbranch_execnz .LBB502_156
.LBB502_122:                            ;   in Loop: Header=BB502_64 Depth=2
	s_or_b64 exec, exec, s[52:53]
	s_and_saveexec_b64 s[52:53], s[38:39]
	s_cbranch_execnz .LBB502_157
.LBB502_123:                            ;   in Loop: Header=BB502_64 Depth=2
	s_or_b64 exec, exec, s[52:53]
	s_and_saveexec_b64 s[52:53], s[40:41]
	s_cbranch_execnz .LBB502_158
.LBB502_124:                            ;   in Loop: Header=BB502_64 Depth=2
	s_or_b64 exec, exec, s[52:53]
	s_and_saveexec_b64 s[52:53], s[42:43]
	s_cbranch_execnz .LBB502_159
.LBB502_125:                            ;   in Loop: Header=BB502_64 Depth=2
	s_or_b64 exec, exec, s[52:53]
	s_and_saveexec_b64 s[52:53], s[44:45]
	s_cbranch_execnz .LBB502_160
.LBB502_126:                            ;   in Loop: Header=BB502_64 Depth=2
	s_or_b64 exec, exec, s[52:53]
	s_and_saveexec_b64 s[52:53], s[46:47]
	s_cbranch_execnz .LBB502_161
.LBB502_127:                            ;   in Loop: Header=BB502_64 Depth=2
	s_or_b64 exec, exec, s[52:53]
	s_and_saveexec_b64 s[52:53], s[48:49]
	s_cbranch_execnz .LBB502_162
.LBB502_128:                            ;   in Loop: Header=BB502_64 Depth=2
	s_or_b64 exec, exec, s[52:53]
	s_and_saveexec_b64 s[52:53], s[50:51]
	s_cbranch_execz .LBB502_130
.LBB502_129:                            ;   in Loop: Header=BB502_64 Depth=2
	ds_read_b32 v12, v49 offset:8192
	s_waitcnt lgkmcnt(0)
	v_lshrrev_b32_e32 v12, s7, v12
	v_and_b32_e32 v91, s62, v12
.LBB502_130:                            ;   in Loop: Header=BB502_64 Depth=2
	s_or_b64 exec, exec, s[52:53]
	v_lshlrev_b32_e32 v12, 3, v105
	s_waitcnt vmcnt(0)
	s_barrier
	ds_write_b64 v12, v[28:29] offset:1024
	v_lshlrev_b32_e32 v12, 3, v104
	ds_write_b64 v12, v[26:27] offset:1024
	v_lshlrev_b32_e32 v12, 3, v31
	;; [unrolled: 2-line block ×7, first 2 shown]
	ds_write_b64 v12, v[5:6] offset:1024
	s_waitcnt lgkmcnt(0)
	s_barrier
	s_and_saveexec_b64 s[52:53], vcc
	s_cbranch_execnz .LBB502_163
; %bb.131:                              ;   in Loop: Header=BB502_64 Depth=2
	s_or_b64 exec, exec, s[52:53]
	s_and_saveexec_b64 s[52:53], s[38:39]
	s_cbranch_execnz .LBB502_164
.LBB502_132:                            ;   in Loop: Header=BB502_64 Depth=2
	s_or_b64 exec, exec, s[52:53]
	s_and_saveexec_b64 s[38:39], s[40:41]
	s_cbranch_execnz .LBB502_165
.LBB502_133:                            ;   in Loop: Header=BB502_64 Depth=2
	s_or_b64 exec, exec, s[38:39]
	s_and_saveexec_b64 s[38:39], s[42:43]
	s_cbranch_execnz .LBB502_166
.LBB502_134:                            ;   in Loop: Header=BB502_64 Depth=2
	s_or_b64 exec, exec, s[38:39]
	s_and_saveexec_b64 s[38:39], s[44:45]
	s_cbranch_execnz .LBB502_167
.LBB502_135:                            ;   in Loop: Header=BB502_64 Depth=2
	s_or_b64 exec, exec, s[38:39]
	s_and_saveexec_b64 s[38:39], s[46:47]
	s_cbranch_execnz .LBB502_168
.LBB502_136:                            ;   in Loop: Header=BB502_64 Depth=2
	s_or_b64 exec, exec, s[38:39]
	s_and_saveexec_b64 s[38:39], s[48:49]
	s_cbranch_execnz .LBB502_169
.LBB502_137:                            ;   in Loop: Header=BB502_64 Depth=2
	s_or_b64 exec, exec, s[38:39]
	s_and_saveexec_b64 s[38:39], s[50:51]
	s_cbranch_execz .LBB502_139
.LBB502_138:                            ;   in Loop: Header=BB502_64 Depth=2
	v_lshlrev_b32_e32 v12, 2, v91
	ds_read_b32 v14, v12
	v_add_u32_e32 v12, v49, v32
	ds_read_b64 v[12:13], v12 offset:15360
	v_mov_b32_e32 v15, v3
	v_mov_b32_e32 v16, s73
	s_waitcnt lgkmcnt(1)
	v_add_u32_e32 v14, v14, v41
	v_lshlrev_b64 v[14:15], 3, v[14:15]
	v_add_co_u32_e32 v14, vcc, s72, v14
	v_addc_co_u32_e32 v15, vcc, v16, v15, vcc
	s_waitcnt lgkmcnt(0)
	global_store_dwordx2 v[14:15], v[12:13], off
.LBB502_139:                            ;   in Loop: Header=BB502_64 Depth=2
	s_or_b64 exec, exec, s[38:39]
	s_waitcnt vmcnt(0)
	s_barrier
	s_and_saveexec_b64 s[38:39], s[4:5]
	s_cbranch_execz .LBB502_63
; %bb.140:                              ;   in Loop: Header=BB502_64 Depth=2
	ds_read_b32 v12, v32
	s_waitcnt lgkmcnt(0)
	v_add_u32_e32 v4, v12, v4
	ds_write_b32 v32, v4
	s_branch .LBB502_63
.LBB502_141:                            ;   in Loop: Header=BB502_64 Depth=2
	ds_read_b32 v12, v49 offset:1024
	v_mov_b32_e32 v30, s67
	s_waitcnt lgkmcnt(0)
	v_lshrrev_b32_e32 v13, s7, v12
	v_and_b32_e32 v13, s62, v13
	v_lshlrev_b32_e32 v13, 2, v13
	ds_read_b32 v16, v13
	v_mov_b32_e32 v13, v3
	v_xor_b32_e32 v103, 0x7fffffff, v12
	s_waitcnt lgkmcnt(0)
	v_add_u32_e32 v12, v16, v0
	v_lshlrev_b64 v[12:13], 2, v[12:13]
	v_add_co_u32_e64 v12, s[38:39], s66, v12
	v_addc_co_u32_e64 v13, s[38:39], v30, v13, s[38:39]
	global_store_dword v[12:13], v103, off
	s_or_b64 exec, exec, s[40:41]
	v_cmp_lt_u32_e64 s[38:39], v33, v102
	s_and_saveexec_b64 s[42:43], s[38:39]
	s_cbranch_execz .LBB502_106
.LBB502_142:                            ;   in Loop: Header=BB502_64 Depth=2
	ds_read_b32 v12, v49 offset:2048
	v_mov_b32_e32 v30, s67
	s_waitcnt lgkmcnt(0)
	v_lshrrev_b32_e32 v13, s7, v12
	v_and_b32_e32 v13, s62, v13
	v_lshlrev_b32_e32 v13, 2, v13
	ds_read_b32 v16, v13
	v_mov_b32_e32 v13, v3
	v_xor_b32_e32 v103, 0x7fffffff, v12
	s_waitcnt lgkmcnt(0)
	v_add_u32_e32 v12, v16, v33
	v_lshlrev_b64 v[12:13], 2, v[12:13]
	v_add_co_u32_e64 v12, s[40:41], s66, v12
	v_addc_co_u32_e64 v13, s[40:41], v30, v13, s[40:41]
	global_store_dword v[12:13], v103, off
	s_or_b64 exec, exec, s[42:43]
	v_cmp_lt_u32_e64 s[40:41], v34, v102
	s_and_saveexec_b64 s[44:45], s[40:41]
	s_cbranch_execz .LBB502_107
.LBB502_143:                            ;   in Loop: Header=BB502_64 Depth=2
	ds_read_b32 v12, v49 offset:3072
	v_mov_b32_e32 v30, s67
	s_waitcnt lgkmcnt(0)
	v_lshrrev_b32_e32 v13, s7, v12
	v_and_b32_e32 v13, s62, v13
	v_lshlrev_b32_e32 v13, 2, v13
	ds_read_b32 v16, v13
	v_mov_b32_e32 v13, v3
	v_xor_b32_e32 v103, 0x7fffffff, v12
	s_waitcnt lgkmcnt(0)
	v_add_u32_e32 v12, v16, v34
	v_lshlrev_b64 v[12:13], 2, v[12:13]
	v_add_co_u32_e64 v12, s[42:43], s66, v12
	v_addc_co_u32_e64 v13, s[42:43], v30, v13, s[42:43]
	global_store_dword v[12:13], v103, off
	s_or_b64 exec, exec, s[44:45]
	v_cmp_lt_u32_e64 s[42:43], v35, v102
	s_and_saveexec_b64 s[46:47], s[42:43]
	s_cbranch_execz .LBB502_108
.LBB502_144:                            ;   in Loop: Header=BB502_64 Depth=2
	ds_read_b32 v12, v49 offset:4096
	v_mov_b32_e32 v30, s67
	s_waitcnt lgkmcnt(0)
	v_lshrrev_b32_e32 v13, s7, v12
	v_and_b32_e32 v13, s62, v13
	v_lshlrev_b32_e32 v13, 2, v13
	ds_read_b32 v16, v13
	v_mov_b32_e32 v13, v3
	v_xor_b32_e32 v103, 0x7fffffff, v12
	s_waitcnt lgkmcnt(0)
	v_add_u32_e32 v12, v16, v35
	v_lshlrev_b64 v[12:13], 2, v[12:13]
	v_add_co_u32_e64 v12, s[44:45], s66, v12
	v_addc_co_u32_e64 v13, s[44:45], v30, v13, s[44:45]
	global_store_dword v[12:13], v103, off
	s_or_b64 exec, exec, s[46:47]
	v_cmp_lt_u32_e64 s[44:45], v38, v102
	s_and_saveexec_b64 s[48:49], s[44:45]
	s_cbranch_execz .LBB502_109
.LBB502_145:                            ;   in Loop: Header=BB502_64 Depth=2
	ds_read_b32 v12, v49 offset:5120
	v_mov_b32_e32 v30, s67
	s_waitcnt lgkmcnt(0)
	v_lshrrev_b32_e32 v13, s7, v12
	v_and_b32_e32 v13, s62, v13
	v_lshlrev_b32_e32 v13, 2, v13
	ds_read_b32 v16, v13
	v_mov_b32_e32 v13, v3
	v_xor_b32_e32 v103, 0x7fffffff, v12
	s_waitcnt lgkmcnt(0)
	v_add_u32_e32 v12, v16, v38
	v_lshlrev_b64 v[12:13], 2, v[12:13]
	v_add_co_u32_e64 v12, s[46:47], s66, v12
	v_addc_co_u32_e64 v13, s[46:47], v30, v13, s[46:47]
	global_store_dword v[12:13], v103, off
	s_or_b64 exec, exec, s[48:49]
	v_cmp_lt_u32_e64 s[46:47], v39, v102
	s_and_saveexec_b64 s[50:51], s[46:47]
	s_cbranch_execz .LBB502_110
.LBB502_146:                            ;   in Loop: Header=BB502_64 Depth=2
	ds_read_b32 v12, v49 offset:6144
	v_mov_b32_e32 v30, s67
	s_waitcnt lgkmcnt(0)
	v_lshrrev_b32_e32 v13, s7, v12
	v_and_b32_e32 v13, s62, v13
	v_lshlrev_b32_e32 v13, 2, v13
	ds_read_b32 v16, v13
	v_mov_b32_e32 v13, v3
	v_xor_b32_e32 v103, 0x7fffffff, v12
	s_waitcnt lgkmcnt(0)
	v_add_u32_e32 v12, v16, v39
	v_lshlrev_b64 v[12:13], 2, v[12:13]
	v_add_co_u32_e64 v12, s[48:49], s66, v12
	v_addc_co_u32_e64 v13, s[48:49], v30, v13, s[48:49]
	global_store_dword v[12:13], v103, off
	s_or_b64 exec, exec, s[50:51]
	v_cmp_lt_u32_e64 s[48:49], v40, v102
	s_and_saveexec_b64 s[52:53], s[48:49]
	s_cbranch_execz .LBB502_111
.LBB502_147:                            ;   in Loop: Header=BB502_64 Depth=2
	ds_read_b32 v12, v49 offset:7168
	v_mov_b32_e32 v30, s67
	s_waitcnt lgkmcnt(0)
	v_lshrrev_b32_e32 v13, s7, v12
	v_and_b32_e32 v13, s62, v13
	v_lshlrev_b32_e32 v13, 2, v13
	ds_read_b32 v16, v13
	v_mov_b32_e32 v13, v3
	v_xor_b32_e32 v103, 0x7fffffff, v12
	s_waitcnt lgkmcnt(0)
	v_add_u32_e32 v12, v16, v40
	v_lshlrev_b64 v[12:13], 2, v[12:13]
	v_add_co_u32_e64 v12, s[50:51], s66, v12
	v_addc_co_u32_e64 v13, s[50:51], v30, v13, s[50:51]
	global_store_dword v[12:13], v103, off
	s_or_b64 exec, exec, s[52:53]
	v_cmp_lt_u32_e64 s[50:51], v41, v102
	s_and_saveexec_b64 s[60:61], s[50:51]
	s_cbranch_execnz .LBB502_112
	s_branch .LBB502_113
.LBB502_148:                            ;   in Loop: Header=BB502_64 Depth=2
	global_load_dwordx2 v[28:29], v[12:13], off
	s_or_b64 exec, exec, s[52:53]
	v_cmp_lt_u32_e64 s[52:53], v81, v102
	s_and_saveexec_b64 s[60:61], s[52:53]
	s_cbranch_execz .LBB502_115
.LBB502_149:                            ;   in Loop: Header=BB502_64 Depth=2
	global_load_dwordx2 v[26:27], v[12:13], off offset:512
	s_or_b64 exec, exec, s[60:61]
	v_cmp_lt_u32_e64 s[52:53], v82, v102
	s_and_saveexec_b64 s[60:61], s[52:53]
	s_cbranch_execz .LBB502_116
.LBB502_150:                            ;   in Loop: Header=BB502_64 Depth=2
	global_load_dwordx2 v[24:25], v[12:13], off offset:1024
	s_or_b64 exec, exec, s[60:61]
	v_cmp_lt_u32_e64 s[52:53], v83, v102
	s_and_saveexec_b64 s[60:61], s[52:53]
	s_cbranch_execz .LBB502_117
.LBB502_151:                            ;   in Loop: Header=BB502_64 Depth=2
	global_load_dwordx2 v[22:23], v[12:13], off offset:1536
	s_or_b64 exec, exec, s[60:61]
	v_cmp_lt_u32_e64 s[52:53], v87, v102
	s_and_saveexec_b64 s[60:61], s[52:53]
	s_cbranch_execz .LBB502_118
.LBB502_152:                            ;   in Loop: Header=BB502_64 Depth=2
	global_load_dwordx2 v[20:21], v[12:13], off offset:2048
	s_or_b64 exec, exec, s[60:61]
	v_cmp_lt_u32_e64 s[52:53], v88, v102
	s_and_saveexec_b64 s[60:61], s[52:53]
	s_cbranch_execz .LBB502_119
.LBB502_153:                            ;   in Loop: Header=BB502_64 Depth=2
	global_load_dwordx2 v[9:10], v[12:13], off offset:2560
	s_or_b64 exec, exec, s[60:61]
	v_cmp_lt_u32_e64 s[52:53], v89, v102
	s_and_saveexec_b64 s[60:61], s[52:53]
	s_cbranch_execz .LBB502_120
.LBB502_154:                            ;   in Loop: Header=BB502_64 Depth=2
	global_load_dwordx2 v[7:8], v[12:13], off offset:3072
	s_or_b64 exec, exec, s[60:61]
	v_cmp_lt_u32_e64 s[52:53], v90, v102
	s_and_saveexec_b64 s[60:61], s[52:53]
	s_cbranch_execz .LBB502_121
.LBB502_155:                            ;   in Loop: Header=BB502_64 Depth=2
	global_load_dwordx2 v[5:6], v[12:13], off offset:3584
	s_or_b64 exec, exec, s[60:61]
	s_and_saveexec_b64 s[52:53], vcc
	s_cbranch_execz .LBB502_122
.LBB502_156:                            ;   in Loop: Header=BB502_64 Depth=2
	ds_read_b32 v12, v49 offset:1024
	s_waitcnt lgkmcnt(0)
	v_lshrrev_b32_e32 v12, s7, v12
	v_and_b32_e32 v98, s62, v12
	s_or_b64 exec, exec, s[52:53]
	s_and_saveexec_b64 s[52:53], s[38:39]
	s_cbranch_execz .LBB502_123
.LBB502_157:                            ;   in Loop: Header=BB502_64 Depth=2
	ds_read_b32 v12, v49 offset:2048
	s_waitcnt lgkmcnt(0)
	v_lshrrev_b32_e32 v12, s7, v12
	v_and_b32_e32 v97, s62, v12
	s_or_b64 exec, exec, s[52:53]
	s_and_saveexec_b64 s[52:53], s[40:41]
	s_cbranch_execz .LBB502_124
.LBB502_158:                            ;   in Loop: Header=BB502_64 Depth=2
	ds_read_b32 v12, v49 offset:3072
	s_waitcnt lgkmcnt(0)
	v_lshrrev_b32_e32 v12, s7, v12
	v_and_b32_e32 v96, s62, v12
	s_or_b64 exec, exec, s[52:53]
	s_and_saveexec_b64 s[52:53], s[42:43]
	s_cbranch_execz .LBB502_125
.LBB502_159:                            ;   in Loop: Header=BB502_64 Depth=2
	ds_read_b32 v12, v49 offset:4096
	s_waitcnt lgkmcnt(0)
	v_lshrrev_b32_e32 v12, s7, v12
	v_and_b32_e32 v95, s62, v12
	s_or_b64 exec, exec, s[52:53]
	s_and_saveexec_b64 s[52:53], s[44:45]
	s_cbranch_execz .LBB502_126
.LBB502_160:                            ;   in Loop: Header=BB502_64 Depth=2
	ds_read_b32 v12, v49 offset:5120
	s_waitcnt lgkmcnt(0)
	v_lshrrev_b32_e32 v12, s7, v12
	v_and_b32_e32 v94, s62, v12
	s_or_b64 exec, exec, s[52:53]
	s_and_saveexec_b64 s[52:53], s[46:47]
	s_cbranch_execz .LBB502_127
.LBB502_161:                            ;   in Loop: Header=BB502_64 Depth=2
	ds_read_b32 v12, v49 offset:6144
	s_waitcnt lgkmcnt(0)
	v_lshrrev_b32_e32 v12, s7, v12
	v_and_b32_e32 v93, s62, v12
	s_or_b64 exec, exec, s[52:53]
	s_and_saveexec_b64 s[52:53], s[48:49]
	s_cbranch_execz .LBB502_128
.LBB502_162:                            ;   in Loop: Header=BB502_64 Depth=2
	ds_read_b32 v12, v49 offset:7168
	s_waitcnt lgkmcnt(0)
	v_lshrrev_b32_e32 v12, s7, v12
	v_and_b32_e32 v92, s62, v12
	s_or_b64 exec, exec, s[52:53]
	s_and_saveexec_b64 s[52:53], s[50:51]
	s_cbranch_execnz .LBB502_129
	s_branch .LBB502_130
.LBB502_163:                            ;   in Loop: Header=BB502_64 Depth=2
	v_lshlrev_b32_e32 v12, 2, v98
	ds_read_b32 v14, v12
	v_add_u32_e32 v12, v49, v32
	ds_read_b64 v[12:13], v12 offset:1024
	v_mov_b32_e32 v15, v3
	v_mov_b32_e32 v16, s73
	s_waitcnt lgkmcnt(1)
	v_add_u32_e32 v14, v14, v0
	v_lshlrev_b64 v[14:15], 3, v[14:15]
	v_add_co_u32_e32 v14, vcc, s72, v14
	v_addc_co_u32_e32 v15, vcc, v16, v15, vcc
	s_waitcnt lgkmcnt(0)
	global_store_dwordx2 v[14:15], v[12:13], off
	s_or_b64 exec, exec, s[52:53]
	s_and_saveexec_b64 s[52:53], s[38:39]
	s_cbranch_execz .LBB502_132
.LBB502_164:                            ;   in Loop: Header=BB502_64 Depth=2
	v_lshlrev_b32_e32 v12, 2, v97
	ds_read_b32 v14, v12
	v_add_u32_e32 v12, v49, v32
	ds_read_b64 v[12:13], v12 offset:3072
	v_mov_b32_e32 v15, v3
	v_mov_b32_e32 v16, s73
	s_waitcnt lgkmcnt(1)
	v_add_u32_e32 v14, v14, v33
	v_lshlrev_b64 v[14:15], 3, v[14:15]
	v_add_co_u32_e32 v14, vcc, s72, v14
	v_addc_co_u32_e32 v15, vcc, v16, v15, vcc
	s_waitcnt lgkmcnt(0)
	global_store_dwordx2 v[14:15], v[12:13], off
	s_or_b64 exec, exec, s[52:53]
	s_and_saveexec_b64 s[38:39], s[40:41]
	s_cbranch_execz .LBB502_133
.LBB502_165:                            ;   in Loop: Header=BB502_64 Depth=2
	v_lshlrev_b32_e32 v12, 2, v96
	ds_read_b32 v14, v12
	v_add_u32_e32 v12, v49, v32
	ds_read_b64 v[12:13], v12 offset:5120
	v_mov_b32_e32 v15, v3
	v_mov_b32_e32 v16, s73
	s_waitcnt lgkmcnt(1)
	v_add_u32_e32 v14, v14, v34
	v_lshlrev_b64 v[14:15], 3, v[14:15]
	v_add_co_u32_e32 v14, vcc, s72, v14
	v_addc_co_u32_e32 v15, vcc, v16, v15, vcc
	s_waitcnt lgkmcnt(0)
	global_store_dwordx2 v[14:15], v[12:13], off
	s_or_b64 exec, exec, s[38:39]
	s_and_saveexec_b64 s[38:39], s[42:43]
	s_cbranch_execz .LBB502_134
.LBB502_166:                            ;   in Loop: Header=BB502_64 Depth=2
	v_lshlrev_b32_e32 v12, 2, v95
	ds_read_b32 v14, v12
	v_add_u32_e32 v12, v49, v32
	ds_read_b64 v[12:13], v12 offset:7168
	v_mov_b32_e32 v15, v3
	v_mov_b32_e32 v16, s73
	s_waitcnt lgkmcnt(1)
	v_add_u32_e32 v14, v14, v35
	v_lshlrev_b64 v[14:15], 3, v[14:15]
	v_add_co_u32_e32 v14, vcc, s72, v14
	v_addc_co_u32_e32 v15, vcc, v16, v15, vcc
	s_waitcnt lgkmcnt(0)
	global_store_dwordx2 v[14:15], v[12:13], off
	s_or_b64 exec, exec, s[38:39]
	s_and_saveexec_b64 s[38:39], s[44:45]
	s_cbranch_execz .LBB502_135
.LBB502_167:                            ;   in Loop: Header=BB502_64 Depth=2
	v_lshlrev_b32_e32 v12, 2, v94
	ds_read_b32 v14, v12
	v_add_u32_e32 v12, v49, v32
	ds_read_b64 v[12:13], v12 offset:9216
	v_mov_b32_e32 v15, v3
	v_mov_b32_e32 v16, s73
	s_waitcnt lgkmcnt(1)
	v_add_u32_e32 v14, v14, v38
	v_lshlrev_b64 v[14:15], 3, v[14:15]
	v_add_co_u32_e32 v14, vcc, s72, v14
	v_addc_co_u32_e32 v15, vcc, v16, v15, vcc
	s_waitcnt lgkmcnt(0)
	global_store_dwordx2 v[14:15], v[12:13], off
	s_or_b64 exec, exec, s[38:39]
	s_and_saveexec_b64 s[38:39], s[46:47]
	s_cbranch_execz .LBB502_136
.LBB502_168:                            ;   in Loop: Header=BB502_64 Depth=2
	v_lshlrev_b32_e32 v12, 2, v93
	ds_read_b32 v14, v12
	v_add_u32_e32 v12, v49, v32
	ds_read_b64 v[12:13], v12 offset:11264
	v_mov_b32_e32 v15, v3
	v_mov_b32_e32 v16, s73
	s_waitcnt lgkmcnt(1)
	v_add_u32_e32 v14, v14, v39
	v_lshlrev_b64 v[14:15], 3, v[14:15]
	v_add_co_u32_e32 v14, vcc, s72, v14
	v_addc_co_u32_e32 v15, vcc, v16, v15, vcc
	s_waitcnt lgkmcnt(0)
	global_store_dwordx2 v[14:15], v[12:13], off
	s_or_b64 exec, exec, s[38:39]
	s_and_saveexec_b64 s[38:39], s[48:49]
	s_cbranch_execz .LBB502_137
.LBB502_169:                            ;   in Loop: Header=BB502_64 Depth=2
	v_lshlrev_b32_e32 v12, 2, v92
	ds_read_b32 v14, v12
	v_add_u32_e32 v12, v49, v32
	ds_read_b64 v[12:13], v12 offset:13312
	v_mov_b32_e32 v15, v3
	v_mov_b32_e32 v16, s73
	s_waitcnt lgkmcnt(1)
	v_add_u32_e32 v14, v14, v40
	v_lshlrev_b64 v[14:15], 3, v[14:15]
	v_add_co_u32_e32 v14, vcc, s72, v14
	v_addc_co_u32_e32 v15, vcc, v16, v15, vcc
	s_waitcnt lgkmcnt(0)
	global_store_dwordx2 v[14:15], v[12:13], off
	s_or_b64 exec, exec, s[38:39]
	s_and_saveexec_b64 s[38:39], s[50:51]
	s_cbranch_execnz .LBB502_138
	s_branch .LBB502_139
.LBB502_170:                            ;   in Loop: Header=BB502_64 Depth=2
	global_load_dword v12, v[30:31], off
	v_mov_b32_e32 v13, v11
	v_mov_b32_e32 v14, v11
	;; [unrolled: 1-line block ×7, first 2 shown]
	s_or_b64 exec, exec, s[38:39]
	v_cmp_gt_u32_e32 vcc, s70, v81
	s_and_saveexec_b64 s[38:39], vcc
	s_cbranch_execz .LBB502_69
.LBB502_171:                            ;   in Loop: Header=BB502_64 Depth=2
	global_load_dword v13, v[30:31], off offset:256
	s_or_b64 exec, exec, s[38:39]
	v_cmp_gt_u32_e32 vcc, s70, v82
	s_and_saveexec_b64 s[38:39], vcc
	s_cbranch_execz .LBB502_70
.LBB502_172:                            ;   in Loop: Header=BB502_64 Depth=2
	global_load_dword v14, v[30:31], off offset:512
	s_or_b64 exec, exec, s[38:39]
	v_cmp_gt_u32_e32 vcc, s70, v83
	s_and_saveexec_b64 s[38:39], vcc
	s_cbranch_execz .LBB502_71
.LBB502_173:                            ;   in Loop: Header=BB502_64 Depth=2
	global_load_dword v15, v[30:31], off offset:768
	s_or_b64 exec, exec, s[38:39]
	v_cmp_gt_u32_e32 vcc, s70, v87
	s_and_saveexec_b64 s[38:39], vcc
	s_cbranch_execz .LBB502_72
.LBB502_174:                            ;   in Loop: Header=BB502_64 Depth=2
	global_load_dword v16, v[30:31], off offset:1024
	s_or_b64 exec, exec, s[38:39]
	v_cmp_gt_u32_e32 vcc, s70, v88
	s_and_saveexec_b64 s[38:39], vcc
	s_cbranch_execz .LBB502_73
.LBB502_175:                            ;   in Loop: Header=BB502_64 Depth=2
	global_load_dword v17, v[30:31], off offset:1280
	s_or_b64 exec, exec, s[38:39]
	v_cmp_gt_u32_e32 vcc, s70, v89
	s_and_saveexec_b64 s[38:39], vcc
	s_cbranch_execnz .LBB502_74
	s_branch .LBB502_75
.LBB502_176:                            ;   in Loop: Header=BB502_12 Depth=1
	s_waitcnt lgkmcnt(0)
	s_barrier
	s_mov_b64 s[18:19], 0
.LBB502_177:                            ;   in Loop: Header=BB502_12 Depth=1
	s_and_b64 vcc, exec, s[18:19]
	s_cbranch_vccz .LBB502_341
; %bb.178:                              ;   in Loop: Header=BB502_12 Depth=1
	v_mov_b32_e32 v10, v3
	v_mov_b32_e32 v4, v3
	;; [unrolled: 1-line block ×8, first 2 shown]
	s_mov_b32 s22, s79
	s_mov_b32 s58, s63
	v_mov_b32_e32 v18, v9
	v_mov_b32_e32 v17, v8
	;; [unrolled: 1-line block ×7, first 2 shown]
	s_barrier
	s_branch .LBB502_180
.LBB502_179:                            ;   in Loop: Header=BB502_180 Depth=2
	s_or_b64 exec, exec, s[18:19]
	s_addk_i32 s22, 0xf800
	s_cmp_ge_u32 s23, s80
	s_mov_b32 s58, s23
	s_cbranch_scc1 .LBB502_216
.LBB502_180:                            ;   Parent Loop BB502_12 Depth=1
                                        ; =>  This Inner Loop Header: Depth=2
	s_add_i32 s23, s58, 0x800
	s_cmp_gt_u32 s23, s80
	s_mov_b64 s[18:19], -1
                                        ; implicit-def: $vgpr20_vgpr21_vgpr22_vgpr23_vgpr24_vgpr25_vgpr26_vgpr27
	s_cbranch_scc1 .LBB502_182
; %bb.181:                              ;   in Loop: Header=BB502_180 Depth=2
	s_lshl_b64 s[18:19], s[58:59], 2
	v_mov_b32_e32 v5, s19
	v_add_co_u32_e32 v4, vcc, s18, v54
	v_addc_co_u32_e32 v5, vcc, v55, v5, vcc
	v_add_co_u32_e32 v6, vcc, 0x1000, v4
	v_addc_co_u32_e32 v7, vcc, 0, v5, vcc
	global_load_dword v20, v[4:5], off
	global_load_dword v21, v[4:5], off offset:1024
	global_load_dword v22, v[4:5], off offset:2048
	global_load_dword v23, v[4:5], off offset:3072
	global_load_dword v24, v[6:7], off
	global_load_dword v25, v[6:7], off offset:1024
	global_load_dword v26, v[6:7], off offset:2048
	;; [unrolled: 1-line block ×3, first 2 shown]
	s_mov_b64 s[18:19], 0
.LBB502_182:                            ;   in Loop: Header=BB502_180 Depth=2
	s_andn2_b64 vcc, exec, s[18:19]
	s_movk_i32 s20, 0x800
	s_cbranch_vccnz .LBB502_193
; %bb.183:                              ;   in Loop: Header=BB502_180 Depth=2
	s_lshl_b64 s[18:19], s[58:59], 2
	s_add_u32 s18, s66, s18
	s_addc_u32 s19, s67, s19
	v_cmp_gt_u32_e32 vcc, s22, v0
	s_and_saveexec_b64 s[20:21], vcc
	s_cbranch_execnz .LBB502_209
; %bb.184:                              ;   in Loop: Header=BB502_180 Depth=2
	s_or_b64 exec, exec, s[20:21]
	v_cmp_gt_u32_e32 vcc, s22, v33
	s_and_saveexec_b64 s[20:21], vcc
	s_cbranch_execnz .LBB502_210
.LBB502_185:                            ;   in Loop: Header=BB502_180 Depth=2
	s_or_b64 exec, exec, s[20:21]
	v_cmp_gt_u32_e32 vcc, s22, v34
	s_and_saveexec_b64 s[20:21], vcc
	s_cbranch_execnz .LBB502_211
.LBB502_186:                            ;   in Loop: Header=BB502_180 Depth=2
	s_or_b64 exec, exec, s[20:21]
	v_cmp_gt_u32_e32 vcc, s22, v35
	s_and_saveexec_b64 s[20:21], vcc
	s_cbranch_execnz .LBB502_212
.LBB502_187:                            ;   in Loop: Header=BB502_180 Depth=2
	s_or_b64 exec, exec, s[20:21]
	v_cmp_gt_u32_e32 vcc, s22, v38
	s_and_saveexec_b64 s[20:21], vcc
	s_cbranch_execnz .LBB502_213
.LBB502_188:                            ;   in Loop: Header=BB502_180 Depth=2
	s_or_b64 exec, exec, s[20:21]
	v_cmp_gt_u32_e32 vcc, s22, v39
	s_and_saveexec_b64 s[20:21], vcc
	s_cbranch_execnz .LBB502_214
.LBB502_189:                            ;   in Loop: Header=BB502_180 Depth=2
	s_or_b64 exec, exec, s[20:21]
	v_cmp_gt_u32_e32 vcc, s22, v40
	s_and_saveexec_b64 s[20:21], vcc
	s_cbranch_execnz .LBB502_215
.LBB502_190:                            ;   in Loop: Header=BB502_180 Depth=2
	s_or_b64 exec, exec, s[20:21]
	v_cmp_gt_u32_e32 vcc, s22, v41
	s_and_saveexec_b64 s[20:21], vcc
	s_cbranch_execz .LBB502_192
.LBB502_191:                            ;   in Loop: Header=BB502_180 Depth=2
	global_load_dword v19, v71, s[18:19]
.LBB502_192:                            ;   in Loop: Header=BB502_180 Depth=2
	s_or_b64 exec, exec, s[20:21]
	s_waitcnt vmcnt(0)
	v_mov_b32_e32 v27, v19
	s_mov_b32 s20, s22
	v_mov_b32_e32 v26, v18
	v_mov_b32_e32 v25, v17
	;; [unrolled: 1-line block ×7, first 2 shown]
.LBB502_193:                            ;   in Loop: Header=BB502_180 Depth=2
	s_waitcnt vmcnt(0)
	v_mov_b32_e32 v12, v20
	v_mov_b32_e32 v13, v21
	;; [unrolled: 1-line block ×8, first 2 shown]
	v_cmp_gt_u32_e32 vcc, s20, v0
	s_and_saveexec_b64 s[18:19], vcc
	s_cbranch_execnz .LBB502_201
; %bb.194:                              ;   in Loop: Header=BB502_180 Depth=2
	s_or_b64 exec, exec, s[18:19]
	v_cmp_gt_u32_e32 vcc, s20, v33
	s_and_saveexec_b64 s[18:19], vcc
	s_cbranch_execnz .LBB502_202
.LBB502_195:                            ;   in Loop: Header=BB502_180 Depth=2
	s_or_b64 exec, exec, s[18:19]
	v_cmp_gt_u32_e32 vcc, s20, v34
	s_and_saveexec_b64 s[18:19], vcc
	s_cbranch_execnz .LBB502_203
.LBB502_196:                            ;   in Loop: Header=BB502_180 Depth=2
	s_or_b64 exec, exec, s[18:19]
	v_cmp_gt_u32_e32 vcc, s20, v35
	s_and_saveexec_b64 s[18:19], vcc
	s_cbranch_execnz .LBB502_204
.LBB502_197:                            ;   in Loop: Header=BB502_180 Depth=2
	s_or_b64 exec, exec, s[18:19]
	v_cmp_gt_u32_e32 vcc, s20, v38
	s_and_saveexec_b64 s[18:19], vcc
	s_cbranch_execnz .LBB502_205
.LBB502_198:                            ;   in Loop: Header=BB502_180 Depth=2
	s_or_b64 exec, exec, s[18:19]
	v_cmp_gt_u32_e32 vcc, s20, v39
	s_and_saveexec_b64 s[18:19], vcc
	s_cbranch_execnz .LBB502_206
.LBB502_199:                            ;   in Loop: Header=BB502_180 Depth=2
	s_or_b64 exec, exec, s[18:19]
	v_cmp_gt_u32_e32 vcc, s20, v40
	s_and_saveexec_b64 s[18:19], vcc
	s_cbranch_execnz .LBB502_207
.LBB502_200:                            ;   in Loop: Header=BB502_180 Depth=2
	s_or_b64 exec, exec, s[18:19]
	v_cmp_gt_u32_e32 vcc, s20, v41
	s_and_saveexec_b64 s[18:19], vcc
	s_cbranch_execz .LBB502_179
	s_branch .LBB502_208
.LBB502_201:                            ;   in Loop: Header=BB502_180 Depth=2
	v_xor_b32_e32 v4, 0x7fffffff, v12
	v_lshrrev_b32_e32 v4, s7, v4
	v_and_b32_e32 v4, s62, v4
	v_lshl_or_b32 v4, v4, 4, v42
	ds_add_u32 v4, v66
	s_or_b64 exec, exec, s[18:19]
	v_cmp_gt_u32_e32 vcc, s20, v33
	s_and_saveexec_b64 s[18:19], vcc
	s_cbranch_execz .LBB502_195
.LBB502_202:                            ;   in Loop: Header=BB502_180 Depth=2
	v_xor_b32_e32 v4, 0x7fffffff, v13
	v_lshrrev_b32_e32 v4, s7, v4
	v_and_b32_e32 v4, s62, v4
	v_lshl_or_b32 v4, v4, 4, v42
	ds_add_u32 v4, v66
	s_or_b64 exec, exec, s[18:19]
	v_cmp_gt_u32_e32 vcc, s20, v34
	s_and_saveexec_b64 s[18:19], vcc
	s_cbranch_execz .LBB502_196
.LBB502_203:                            ;   in Loop: Header=BB502_180 Depth=2
	v_xor_b32_e32 v4, 0x7fffffff, v14
	v_lshrrev_b32_e32 v4, s7, v4
	v_and_b32_e32 v4, s62, v4
	v_lshl_or_b32 v4, v4, 4, v42
	ds_add_u32 v4, v66
	s_or_b64 exec, exec, s[18:19]
	v_cmp_gt_u32_e32 vcc, s20, v35
	s_and_saveexec_b64 s[18:19], vcc
	s_cbranch_execz .LBB502_197
.LBB502_204:                            ;   in Loop: Header=BB502_180 Depth=2
	v_xor_b32_e32 v4, 0x7fffffff, v15
	v_lshrrev_b32_e32 v4, s7, v4
	v_and_b32_e32 v4, s62, v4
	v_lshl_or_b32 v4, v4, 4, v42
	ds_add_u32 v4, v66
	s_or_b64 exec, exec, s[18:19]
	v_cmp_gt_u32_e32 vcc, s20, v38
	s_and_saveexec_b64 s[18:19], vcc
	s_cbranch_execz .LBB502_198
.LBB502_205:                            ;   in Loop: Header=BB502_180 Depth=2
	v_xor_b32_e32 v4, 0x7fffffff, v16
	v_lshrrev_b32_e32 v4, s7, v4
	v_and_b32_e32 v4, s62, v4
	v_lshl_or_b32 v4, v4, 4, v42
	ds_add_u32 v4, v66
	s_or_b64 exec, exec, s[18:19]
	v_cmp_gt_u32_e32 vcc, s20, v39
	s_and_saveexec_b64 s[18:19], vcc
	s_cbranch_execz .LBB502_199
.LBB502_206:                            ;   in Loop: Header=BB502_180 Depth=2
	v_xor_b32_e32 v4, 0x7fffffff, v17
	v_lshrrev_b32_e32 v4, s7, v4
	v_and_b32_e32 v4, s62, v4
	v_lshl_or_b32 v4, v4, 4, v42
	ds_add_u32 v4, v66
	s_or_b64 exec, exec, s[18:19]
	v_cmp_gt_u32_e32 vcc, s20, v40
	s_and_saveexec_b64 s[18:19], vcc
	s_cbranch_execz .LBB502_200
.LBB502_207:                            ;   in Loop: Header=BB502_180 Depth=2
	v_xor_b32_e32 v4, 0x7fffffff, v18
	v_lshrrev_b32_e32 v4, s7, v4
	v_and_b32_e32 v4, s62, v4
	v_lshl_or_b32 v4, v4, 4, v42
	ds_add_u32 v4, v66
	s_or_b64 exec, exec, s[18:19]
	v_cmp_gt_u32_e32 vcc, s20, v41
	s_and_saveexec_b64 s[18:19], vcc
	s_cbranch_execz .LBB502_179
.LBB502_208:                            ;   in Loop: Header=BB502_180 Depth=2
	v_xor_b32_e32 v4, 0x7fffffff, v19
	v_lshrrev_b32_e32 v4, s7, v4
	v_and_b32_e32 v4, s62, v4
	v_lshl_or_b32 v4, v4, 4, v42
	ds_add_u32 v4, v66
	s_branch .LBB502_179
.LBB502_209:                            ;   in Loop: Header=BB502_180 Depth=2
	global_load_dword v12, v67, s[18:19]
	s_or_b64 exec, exec, s[20:21]
	v_cmp_gt_u32_e32 vcc, s22, v33
	s_and_saveexec_b64 s[20:21], vcc
	s_cbranch_execz .LBB502_185
.LBB502_210:                            ;   in Loop: Header=BB502_180 Depth=2
	global_load_dword v13, v67, s[18:19] offset:1024
	s_or_b64 exec, exec, s[20:21]
	v_cmp_gt_u32_e32 vcc, s22, v34
	s_and_saveexec_b64 s[20:21], vcc
	s_cbranch_execz .LBB502_186
.LBB502_211:                            ;   in Loop: Header=BB502_180 Depth=2
	global_load_dword v14, v67, s[18:19] offset:2048
	s_or_b64 exec, exec, s[20:21]
	v_cmp_gt_u32_e32 vcc, s22, v35
	s_and_saveexec_b64 s[20:21], vcc
	s_cbranch_execz .LBB502_187
.LBB502_212:                            ;   in Loop: Header=BB502_180 Depth=2
	global_load_dword v15, v67, s[18:19] offset:3072
	s_or_b64 exec, exec, s[20:21]
	v_cmp_gt_u32_e32 vcc, s22, v38
	s_and_saveexec_b64 s[20:21], vcc
	s_cbranch_execz .LBB502_188
.LBB502_213:                            ;   in Loop: Header=BB502_180 Depth=2
	global_load_dword v16, v68, s[18:19]
	s_or_b64 exec, exec, s[20:21]
	v_cmp_gt_u32_e32 vcc, s22, v39
	s_and_saveexec_b64 s[20:21], vcc
	s_cbranch_execz .LBB502_189
.LBB502_214:                            ;   in Loop: Header=BB502_180 Depth=2
	global_load_dword v17, v69, s[18:19]
	s_or_b64 exec, exec, s[20:21]
	v_cmp_gt_u32_e32 vcc, s22, v40
	s_and_saveexec_b64 s[20:21], vcc
	s_cbranch_execz .LBB502_190
.LBB502_215:                            ;   in Loop: Header=BB502_180 Depth=2
	global_load_dword v18, v70, s[18:19]
	s_or_b64 exec, exec, s[20:21]
	v_cmp_gt_u32_e32 vcc, s22, v41
	s_and_saveexec_b64 s[20:21], vcc
	s_cbranch_execnz .LBB502_191
	s_branch .LBB502_192
.LBB502_216:                            ;   in Loop: Header=BB502_12 Depth=1
	v_mov_b32_e32 v4, 0
	s_waitcnt lgkmcnt(0)
	s_barrier
	s_and_saveexec_b64 s[18:19], s[4:5]
	s_cbranch_execz .LBB502_218
; %bb.217:                              ;   in Loop: Header=BB502_12 Depth=1
	ds_read2_b64 v[4:7], v43 offset1:1
	s_waitcnt lgkmcnt(0)
	v_add_u32_e32 v4, v5, v4
	v_add3_u32 v4, v4, v6, v7
.LBB502_218:                            ;   in Loop: Header=BB502_12 Depth=1
	s_or_b64 exec, exec, s[18:19]
	s_nop 0
	v_mov_b32_dpp v5, v4 row_shr:1 row_mask:0xf bank_mask:0xf
	v_cmp_eq_u32_e64 s[18:19], 0, v73
	v_cndmask_b32_e64 v5, v5, 0, s[18:19]
	v_add_u32_e32 v4, v5, v4
	v_cmp_lt_u32_e64 s[20:21], 1, v73
	v_cmp_lt_u32_e64 s[22:23], 3, v73
	v_mov_b32_dpp v5, v4 row_shr:2 row_mask:0xf bank_mask:0xf
	v_cndmask_b32_e64 v5, 0, v5, s[20:21]
	v_add_u32_e32 v4, v4, v5
	v_cmp_lt_u32_e64 s[24:25], 7, v73
	v_cmp_lt_u32_e64 s[28:29], 31, v72
	v_mov_b32_dpp v5, v4 row_shr:4 row_mask:0xf bank_mask:0xf
	v_cndmask_b32_e64 v5, 0, v5, s[22:23]
	v_add_u32_e32 v4, v4, v5
	v_cmp_eq_u32_e64 s[26:27], 0, v75
	s_nop 0
	v_mov_b32_dpp v5, v4 row_shr:8 row_mask:0xf bank_mask:0xf
	v_cndmask_b32_e64 v5, 0, v5, s[24:25]
	v_add_u32_e32 v4, v4, v5
	s_nop 1
	v_mov_b32_dpp v5, v4 row_bcast:15 row_mask:0xf bank_mask:0xf
	v_and_b32_e32 v5, v74, v5
	v_add_u32_e32 v4, v4, v5
	s_nop 1
	v_mov_b32_dpp v5, v4 row_bcast:31 row_mask:0xf bank_mask:0xf
	v_cndmask_b32_e64 v5, 0, v5, s[28:29]
	v_add_u32_e32 v4, v4, v5
	s_and_saveexec_b64 s[30:31], s[8:9]
; %bb.219:                              ;   in Loop: Header=BB502_12 Depth=1
	ds_write_b32 v45, v4
; %bb.220:                              ;   in Loop: Header=BB502_12 Depth=1
	s_or_b64 exec, exec, s[30:31]
	s_waitcnt lgkmcnt(0)
	s_barrier
	s_and_saveexec_b64 s[30:31], s[10:11]
	s_cbranch_execz .LBB502_222
; %bb.221:                              ;   in Loop: Header=BB502_12 Depth=1
	ds_read_b32 v5, v46
	v_cmp_ne_u32_e32 vcc, 0, v76
	s_waitcnt lgkmcnt(0)
	v_mov_b32_dpp v6, v5 row_shr:1 row_mask:0xf bank_mask:0xf
	v_cndmask_b32_e32 v6, 0, v6, vcc
	v_add_u32_e32 v5, v6, v5
	v_cmp_lt_u32_e32 vcc, 1, v76
	s_nop 0
	v_mov_b32_dpp v6, v5 row_shr:2 row_mask:0xf bank_mask:0xf
	v_cndmask_b32_e32 v6, 0, v6, vcc
	v_add_u32_e32 v5, v5, v6
	ds_write_b32 v46, v5
.LBB502_222:                            ;   in Loop: Header=BB502_12 Depth=1
	s_or_b64 exec, exec, s[30:31]
	v_mov_b32_e32 v5, 0
	s_waitcnt lgkmcnt(0)
	s_barrier
	s_and_saveexec_b64 s[30:31], s[12:13]
; %bb.223:                              ;   in Loop: Header=BB502_12 Depth=1
	ds_read_b32 v5, v47
; %bb.224:                              ;   in Loop: Header=BB502_12 Depth=1
	s_or_b64 exec, exec, s[30:31]
	v_subrev_co_u32_e64 v6, s[30:31], 1, v72
	v_cmp_lt_i32_e32 vcc, v6, v77
	v_cndmask_b32_e32 v6, v6, v72, vcc
	s_waitcnt lgkmcnt(0)
	v_add_u32_e32 v4, v5, v4
	v_lshlrev_b32_e32 v84, 2, v6
	ds_bpermute_b32 v4, v84, v4
	s_waitcnt lgkmcnt(0)
	s_barrier
	s_and_saveexec_b64 s[34:35], s[4:5]
; %bb.225:                              ;   in Loop: Header=BB502_12 Depth=1
	v_cndmask_b32_e64 v4, v4, v5, s[30:31]
	v_add_u32_e32 v4, s63, v4
	ds_write_b32 v32, v4
; %bb.226:                              ;   in Loop: Header=BB502_12 Depth=1
	s_or_b64 exec, exec, s[34:35]
	s_load_dwordx2 s[34:35], s[56:57], 0x0
	v_add_co_u32_e32 v85, vcc, v56, v79
	v_addc_co_u32_e32 v86, vcc, 0, v57, vcc
	s_waitcnt lgkmcnt(0)
	s_cmp_lt_u32 s33, s35
	s_cselect_b32 s35, 14, 20
	s_add_u32 s36, s56, s35
	s_addc_u32 s37, s57, 0
	s_cmp_lt_u32 s6, s34
	s_cselect_b32 s34, 12, 18
	s_add_u32 s34, s56, s34
	global_load_ushort v4, v3, s[36:37]
	s_addc_u32 s35, s57, 0
	global_load_ushort v12, v3, s[34:35]
	v_lshlrev_b32_e32 v14, 2, v78
	v_add_co_u32_e32 v98, vcc, v58, v14
	v_cmp_eq_u32_e64 s[34:35], 0, v76
	v_cmp_lt_u32_e64 s[36:37], 1, v76
	v_or_b32_e32 v87, 0x100, v80
	v_or_b32_e32 v88, 0x140, v80
	;; [unrolled: 1-line block ×4, first 2 shown]
	s_mov_b32 s70, s79
	v_addc_co_u32_e32 v100, vcc, 0, v59, vcc
	s_mov_b32 s58, s63
                                        ; implicit-def: $vgpr5_vgpr6
                                        ; implicit-def: $vgpr7_vgpr8
                                        ; implicit-def: $vgpr9_vgpr10
                                        ; implicit-def: $vgpr20_vgpr21
                                        ; implicit-def: $vgpr22_vgpr23
                                        ; implicit-def: $vgpr24_vgpr25
                                        ; implicit-def: $vgpr26_vgpr27
                                        ; implicit-def: $vgpr28_vgpr29
                                        ; implicit-def: $vgpr91
                                        ; implicit-def: $vgpr92
                                        ; implicit-def: $vgpr93
                                        ; implicit-def: $vgpr94
                                        ; implicit-def: $vgpr95
                                        ; implicit-def: $vgpr96
                                        ; implicit-def: $vgpr97
                                        ; implicit-def: $vgpr99
	s_waitcnt vmcnt(1)
	v_mad_u32_u24 v4, v2, v4, v1
	s_waitcnt vmcnt(0)
	v_mad_u64_u32 v[12:13], s[38:39], v4, v12, v[0:1]
	v_lshrrev_b32_e32 v4, 4, v12
	v_and_b32_e32 v101, 0xffffffc, v4
	s_branch .LBB502_228
.LBB502_227:                            ;   in Loop: Header=BB502_228 Depth=2
	s_or_b64 exec, exec, s[38:39]
	s_addk_i32 s70, 0xf800
	s_cmp_lt_u32 s71, s80
	s_mov_b32 s58, s71
	s_cbranch_scc0 .LBB502_340
.LBB502_228:                            ;   Parent Loop BB502_12 Depth=1
                                        ; =>  This Inner Loop Header: Depth=2
	s_add_i32 s71, s58, 0x800
	s_cmp_gt_u32 s71, s80
	s_cbranch_scc1 .LBB502_230
; %bb.229:                              ;   in Loop: Header=BB502_228 Depth=2
	s_lshl_b64 s[38:39], s[58:59], 2
	v_mov_b32_e32 v4, s39
	v_add_co_u32_e32 v18, vcc, s38, v98
	v_addc_co_u32_e32 v19, vcc, v100, v4, vcc
	global_load_dword v12, v[18:19], off
	global_load_dword v13, v[18:19], off offset:256
	global_load_dword v14, v[18:19], off offset:512
	global_load_dword v15, v[18:19], off offset:768
	global_load_dword v16, v[18:19], off offset:1024
	global_load_dword v17, v[18:19], off offset:1280
	s_nop 0
	global_load_dword v18, v[18:19], off offset:1536
	s_mov_b64 s[38:39], -1
	s_movk_i32 s42, 0x800
	s_cbranch_execz .LBB502_231
	s_branch .LBB502_240
.LBB502_230:                            ;   in Loop: Header=BB502_228 Depth=2
	s_mov_b64 s[38:39], 0
                                        ; implicit-def: $vgpr12_vgpr13_vgpr14_vgpr15_vgpr16_vgpr17_vgpr18_vgpr19
	s_movk_i32 s42, 0x800
.LBB502_231:                            ;   in Loop: Header=BB502_228 Depth=2
	s_lshl_b64 s[38:39], s[58:59], 2
	v_mov_b32_e32 v4, s39
	v_add_co_u32_e32 v30, vcc, s38, v98
	s_waitcnt vmcnt(6)
	v_mov_b32_e32 v12, v11
	s_waitcnt vmcnt(5)
	v_mov_b32_e32 v13, v11
	;; [unrolled: 2-line block ×7, first 2 shown]
	v_addc_co_u32_e32 v31, vcc, v100, v4, vcc
	v_mov_b32_e32 v19, v18
	v_cmp_gt_u32_e32 vcc, s70, v80
	v_mov_b32_e32 v18, v17
	v_mov_b32_e32 v17, v16
	;; [unrolled: 1-line block ×7, first 2 shown]
	s_and_saveexec_b64 s[38:39], vcc
	s_cbranch_execnz .LBB502_334
; %bb.232:                              ;   in Loop: Header=BB502_228 Depth=2
	s_or_b64 exec, exec, s[38:39]
	v_cmp_gt_u32_e32 vcc, s70, v81
	s_and_saveexec_b64 s[38:39], vcc
	s_cbranch_execnz .LBB502_335
.LBB502_233:                            ;   in Loop: Header=BB502_228 Depth=2
	s_or_b64 exec, exec, s[38:39]
	v_cmp_gt_u32_e32 vcc, s70, v82
	s_and_saveexec_b64 s[38:39], vcc
	s_cbranch_execnz .LBB502_336
.LBB502_234:                            ;   in Loop: Header=BB502_228 Depth=2
	s_or_b64 exec, exec, s[38:39]
	v_cmp_gt_u32_e32 vcc, s70, v83
	s_and_saveexec_b64 s[38:39], vcc
	s_cbranch_execnz .LBB502_337
.LBB502_235:                            ;   in Loop: Header=BB502_228 Depth=2
	s_or_b64 exec, exec, s[38:39]
	v_cmp_gt_u32_e32 vcc, s70, v87
	s_and_saveexec_b64 s[38:39], vcc
	s_cbranch_execnz .LBB502_338
.LBB502_236:                            ;   in Loop: Header=BB502_228 Depth=2
	s_or_b64 exec, exec, s[38:39]
	v_cmp_gt_u32_e32 vcc, s70, v88
	s_and_saveexec_b64 s[38:39], vcc
	s_cbranch_execnz .LBB502_339
.LBB502_237:                            ;   in Loop: Header=BB502_228 Depth=2
	s_or_b64 exec, exec, s[38:39]
	v_cmp_gt_u32_e32 vcc, s70, v89
	s_and_saveexec_b64 s[38:39], vcc
	s_cbranch_execz .LBB502_239
.LBB502_238:                            ;   in Loop: Header=BB502_228 Depth=2
	global_load_dword v18, v[30:31], off offset:1536
.LBB502_239:                            ;   in Loop: Header=BB502_228 Depth=2
	s_or_b64 exec, exec, s[38:39]
	s_sub_i32 s42, s80, s58
	v_cmp_gt_u32_e64 s[38:39], s70, v90
.LBB502_240:                            ;   in Loop: Header=BB502_228 Depth=2
	v_mov_b32_e32 v102, s70
	s_and_saveexec_b64 s[40:41], s[38:39]
	s_cbranch_execz .LBB502_242
; %bb.241:                              ;   in Loop: Header=BB502_228 Depth=2
	s_lshl_b64 s[38:39], s[58:59], 2
	v_mov_b32_e32 v4, s39
	v_add_co_u32_e32 v30, vcc, s38, v98
	v_addc_co_u32_e32 v31, vcc, v100, v4, vcc
	global_load_dword v19, v[30:31], off offset:1792
	v_mov_b32_e32 v102, s42
.LBB502_242:                            ;   in Loop: Header=BB502_228 Depth=2
	s_or_b64 exec, exec, s[40:41]
	s_waitcnt vmcnt(0)
	v_xor_b32_e32 v103, 0x7fffffff, v12
	v_lshrrev_b32_e32 v4, s7, v103
	v_and_b32_e32 v12, s62, v4
	v_and_b32_e32 v4, 1, v12
	v_add_co_u32_e32 v30, vcc, -1, v4
	v_addc_co_u32_e64 v31, s[38:39], 0, -1, vcc
	v_cmp_ne_u32_e32 vcc, 0, v4
	v_xor_b32_e32 v4, vcc_hi, v31
	v_and_b32_e32 v31, exec_hi, v4
	v_lshlrev_b32_e32 v4, 30, v12
	v_xor_b32_e32 v30, vcc_lo, v30
	v_cmp_gt_i64_e32 vcc, 0, v[3:4]
	v_not_b32_e32 v4, v4
	v_ashrrev_i32_e32 v4, 31, v4
	v_and_b32_e32 v30, exec_lo, v30
	v_xor_b32_e32 v106, vcc_hi, v4
	v_xor_b32_e32 v4, vcc_lo, v4
	v_and_b32_e32 v30, v30, v4
	v_lshlrev_b32_e32 v4, 29, v12
	v_cmp_gt_i64_e32 vcc, 0, v[3:4]
	v_not_b32_e32 v4, v4
	v_ashrrev_i32_e32 v4, 31, v4
	v_and_b32_e32 v31, v31, v106
	v_xor_b32_e32 v106, vcc_hi, v4
	v_xor_b32_e32 v4, vcc_lo, v4
	v_and_b32_e32 v30, v30, v4
	v_lshlrev_b32_e32 v4, 28, v12
	v_cmp_gt_i64_e32 vcc, 0, v[3:4]
	v_not_b32_e32 v4, v4
	v_ashrrev_i32_e32 v4, 31, v4
	v_and_b32_e32 v31, v31, v106
	;; [unrolled: 8-line block ×5, first 2 shown]
	v_xor_b32_e32 v106, vcc_hi, v4
	v_xor_b32_e32 v4, vcc_lo, v4
	v_and_b32_e32 v30, v30, v4
	v_lshlrev_b32_e32 v4, 24, v12
	v_cmp_gt_i64_e32 vcc, 0, v[3:4]
	v_not_b32_e32 v4, v4
	v_ashrrev_i32_e32 v4, 31, v4
	v_mul_u32_u24_e32 v107, 20, v12
	v_xor_b32_e32 v12, vcc_hi, v4
	v_xor_b32_e32 v4, vcc_lo, v4
	v_and_b32_e32 v31, v31, v106
	v_and_b32_e32 v30, v30, v4
	;; [unrolled: 1-line block ×3, first 2 shown]
	v_mbcnt_lo_u32_b32 v4, v30, 0
	v_mbcnt_hi_u32_b32 v106, v31, v4
	v_cmp_ne_u64_e32 vcc, 0, v[30:31]
	v_cmp_eq_u32_e64 s[38:39], 0, v106
	v_add_u32_e32 v105, 0x410, v48
	v_add_u32_e32 v104, 0x418, v48
	s_and_b64 s[40:41], vcc, s[38:39]
	v_add_u32_e32 v107, v101, v107
	ds_write2_b32 v105, v3, v3 offset1:1
	ds_write2_b32 v104, v3, v3 offset1:1
	ds_write_b32 v48, v3 offset:1056
	s_waitcnt lgkmcnt(0)
	s_barrier
	; wave barrier
	s_and_saveexec_b64 s[38:39], s[40:41]
; %bb.243:                              ;   in Loop: Header=BB502_228 Depth=2
	v_bcnt_u32_b32 v4, v30, 0
	v_bcnt_u32_b32 v4, v31, v4
	ds_write_b32 v107, v4 offset:1040
; %bb.244:                              ;   in Loop: Header=BB502_228 Depth=2
	s_or_b64 exec, exec, s[38:39]
	v_xor_b32_e32 v30, 0x7fffffff, v13
	v_lshrrev_b32_e32 v4, s7, v30
	v_and_b32_e32 v12, s62, v4
	v_mad_u32_u24 v4, v12, 20, v101
	; wave barrier
	ds_read_b32 v31, v4 offset:1040
	v_and_b32_e32 v4, 1, v12
	v_add_co_u32_e32 v13, vcc, -1, v4
	v_addc_co_u32_e64 v108, s[38:39], 0, -1, vcc
	v_cmp_ne_u32_e32 vcc, 0, v4
	v_xor_b32_e32 v4, vcc_hi, v108
	v_and_b32_e32 v108, exec_hi, v4
	v_lshlrev_b32_e32 v4, 30, v12
	v_xor_b32_e32 v13, vcc_lo, v13
	v_cmp_gt_i64_e32 vcc, 0, v[3:4]
	v_not_b32_e32 v4, v4
	v_ashrrev_i32_e32 v4, 31, v4
	v_and_b32_e32 v13, exec_lo, v13
	v_xor_b32_e32 v110, vcc_hi, v4
	v_xor_b32_e32 v4, vcc_lo, v4
	v_and_b32_e32 v13, v13, v4
	v_lshlrev_b32_e32 v4, 29, v12
	v_cmp_gt_i64_e32 vcc, 0, v[3:4]
	v_not_b32_e32 v4, v4
	v_ashrrev_i32_e32 v4, 31, v4
	v_and_b32_e32 v108, v108, v110
	v_xor_b32_e32 v110, vcc_hi, v4
	v_xor_b32_e32 v4, vcc_lo, v4
	v_and_b32_e32 v13, v13, v4
	v_lshlrev_b32_e32 v4, 28, v12
	v_cmp_gt_i64_e32 vcc, 0, v[3:4]
	v_not_b32_e32 v4, v4
	v_ashrrev_i32_e32 v4, 31, v4
	v_and_b32_e32 v108, v108, v110
	;; [unrolled: 8-line block ×5, first 2 shown]
	v_xor_b32_e32 v110, vcc_hi, v4
	v_xor_b32_e32 v4, vcc_lo, v4
	v_and_b32_e32 v108, v108, v110
	v_and_b32_e32 v110, v13, v4
	v_lshlrev_b32_e32 v4, 24, v12
	v_cmp_gt_i64_e32 vcc, 0, v[3:4]
	v_not_b32_e32 v4, v4
	v_ashrrev_i32_e32 v4, 31, v4
	v_mul_u32_u24_e32 v109, 20, v12
	v_xor_b32_e32 v12, vcc_hi, v4
	v_xor_b32_e32 v4, vcc_lo, v4
	v_and_b32_e32 v13, v108, v12
	v_and_b32_e32 v12, v110, v4
	v_mbcnt_lo_u32_b32 v4, v12, 0
	v_mbcnt_hi_u32_b32 v108, v13, v4
	v_cmp_ne_u64_e32 vcc, 0, v[12:13]
	v_cmp_eq_u32_e64 s[38:39], 0, v108
	s_and_b64 s[40:41], vcc, s[38:39]
	v_add_u32_e32 v111, v101, v109
	; wave barrier
	s_and_saveexec_b64 s[38:39], s[40:41]
	s_cbranch_execz .LBB502_246
; %bb.245:                              ;   in Loop: Header=BB502_228 Depth=2
	v_bcnt_u32_b32 v4, v12, 0
	v_bcnt_u32_b32 v4, v13, v4
	s_waitcnt lgkmcnt(0)
	v_add_u32_e32 v4, v31, v4
	ds_write_b32 v111, v4 offset:1040
.LBB502_246:                            ;   in Loop: Header=BB502_228 Depth=2
	s_or_b64 exec, exec, s[38:39]
	v_xor_b32_e32 v109, 0x7fffffff, v14
	v_lshrrev_b32_e32 v4, s7, v109
	v_and_b32_e32 v12, s62, v4
	v_mad_u32_u24 v4, v12, 20, v101
	; wave barrier
	ds_read_b32 v110, v4 offset:1040
	v_and_b32_e32 v4, 1, v12
	v_add_co_u32_e32 v13, vcc, -1, v4
	v_addc_co_u32_e64 v112, s[38:39], 0, -1, vcc
	v_cmp_ne_u32_e32 vcc, 0, v4
	v_xor_b32_e32 v4, vcc_hi, v112
	v_and_b32_e32 v112, exec_hi, v4
	v_lshlrev_b32_e32 v4, 30, v12
	v_xor_b32_e32 v13, vcc_lo, v13
	v_cmp_gt_i64_e32 vcc, 0, v[3:4]
	v_not_b32_e32 v4, v4
	v_ashrrev_i32_e32 v4, 31, v4
	v_and_b32_e32 v13, exec_lo, v13
	v_xor_b32_e32 v113, vcc_hi, v4
	v_xor_b32_e32 v4, vcc_lo, v4
	v_and_b32_e32 v13, v13, v4
	v_lshlrev_b32_e32 v4, 29, v12
	v_cmp_gt_i64_e32 vcc, 0, v[3:4]
	v_not_b32_e32 v4, v4
	v_ashrrev_i32_e32 v4, 31, v4
	v_and_b32_e32 v112, v112, v113
	v_xor_b32_e32 v113, vcc_hi, v4
	v_xor_b32_e32 v4, vcc_lo, v4
	v_and_b32_e32 v13, v13, v4
	v_lshlrev_b32_e32 v4, 28, v12
	v_cmp_gt_i64_e32 vcc, 0, v[3:4]
	v_not_b32_e32 v4, v4
	v_ashrrev_i32_e32 v4, 31, v4
	v_and_b32_e32 v112, v112, v113
	;; [unrolled: 8-line block ×5, first 2 shown]
	v_xor_b32_e32 v113, vcc_hi, v4
	v_xor_b32_e32 v4, vcc_lo, v4
	v_and_b32_e32 v112, v112, v113
	v_and_b32_e32 v113, v13, v4
	v_lshlrev_b32_e32 v4, 24, v12
	v_cmp_gt_i64_e32 vcc, 0, v[3:4]
	v_not_b32_e32 v4, v4
	v_ashrrev_i32_e32 v4, 31, v4
	v_mul_u32_u24_e32 v14, 20, v12
	v_xor_b32_e32 v12, vcc_hi, v4
	v_xor_b32_e32 v4, vcc_lo, v4
	v_and_b32_e32 v13, v112, v12
	v_and_b32_e32 v12, v113, v4
	v_mbcnt_lo_u32_b32 v4, v12, 0
	v_mbcnt_hi_u32_b32 v112, v13, v4
	v_cmp_ne_u64_e32 vcc, 0, v[12:13]
	v_cmp_eq_u32_e64 s[38:39], 0, v112
	s_and_b64 s[40:41], vcc, s[38:39]
	v_add_u32_e32 v115, v101, v14
	; wave barrier
	s_and_saveexec_b64 s[38:39], s[40:41]
	s_cbranch_execz .LBB502_248
; %bb.247:                              ;   in Loop: Header=BB502_228 Depth=2
	v_bcnt_u32_b32 v4, v12, 0
	v_bcnt_u32_b32 v4, v13, v4
	s_waitcnt lgkmcnt(0)
	v_add_u32_e32 v4, v110, v4
	ds_write_b32 v115, v4 offset:1040
.LBB502_248:                            ;   in Loop: Header=BB502_228 Depth=2
	s_or_b64 exec, exec, s[38:39]
	v_xor_b32_e32 v113, 0x7fffffff, v15
	v_lshrrev_b32_e32 v4, s7, v113
	v_and_b32_e32 v12, s62, v4
	v_mad_u32_u24 v4, v12, 20, v101
	; wave barrier
	ds_read_b32 v114, v4 offset:1040
	v_and_b32_e32 v4, 1, v12
	v_add_co_u32_e32 v13, vcc, -1, v4
	v_addc_co_u32_e64 v15, s[38:39], 0, -1, vcc
	v_cmp_ne_u32_e32 vcc, 0, v4
	v_xor_b32_e32 v4, vcc_hi, v15
	v_and_b32_e32 v15, exec_hi, v4
	v_lshlrev_b32_e32 v4, 30, v12
	v_xor_b32_e32 v13, vcc_lo, v13
	v_cmp_gt_i64_e32 vcc, 0, v[3:4]
	v_not_b32_e32 v4, v4
	v_ashrrev_i32_e32 v4, 31, v4
	v_and_b32_e32 v13, exec_lo, v13
	v_xor_b32_e32 v116, vcc_hi, v4
	v_xor_b32_e32 v4, vcc_lo, v4
	v_and_b32_e32 v13, v13, v4
	v_lshlrev_b32_e32 v4, 29, v12
	v_cmp_gt_i64_e32 vcc, 0, v[3:4]
	v_not_b32_e32 v4, v4
	v_ashrrev_i32_e32 v4, 31, v4
	v_and_b32_e32 v15, v15, v116
	v_xor_b32_e32 v116, vcc_hi, v4
	v_xor_b32_e32 v4, vcc_lo, v4
	v_and_b32_e32 v13, v13, v4
	v_lshlrev_b32_e32 v4, 28, v12
	v_cmp_gt_i64_e32 vcc, 0, v[3:4]
	v_not_b32_e32 v4, v4
	v_ashrrev_i32_e32 v4, 31, v4
	v_and_b32_e32 v15, v15, v116
	;; [unrolled: 8-line block ×5, first 2 shown]
	v_xor_b32_e32 v116, vcc_hi, v4
	v_xor_b32_e32 v4, vcc_lo, v4
	v_and_b32_e32 v15, v15, v116
	v_and_b32_e32 v116, v13, v4
	v_lshlrev_b32_e32 v4, 24, v12
	v_cmp_gt_i64_e32 vcc, 0, v[3:4]
	v_not_b32_e32 v4, v4
	v_ashrrev_i32_e32 v4, 31, v4
	v_mul_u32_u24_e32 v14, 20, v12
	v_xor_b32_e32 v12, vcc_hi, v4
	v_xor_b32_e32 v4, vcc_lo, v4
	v_and_b32_e32 v13, v15, v12
	v_and_b32_e32 v12, v116, v4
	v_mbcnt_lo_u32_b32 v4, v12, 0
	v_mbcnt_hi_u32_b32 v116, v13, v4
	v_cmp_ne_u64_e32 vcc, 0, v[12:13]
	v_cmp_eq_u32_e64 s[38:39], 0, v116
	s_and_b64 s[40:41], vcc, s[38:39]
	v_add_u32_e32 v118, v101, v14
	; wave barrier
	s_and_saveexec_b64 s[38:39], s[40:41]
	s_cbranch_execz .LBB502_250
; %bb.249:                              ;   in Loop: Header=BB502_228 Depth=2
	v_bcnt_u32_b32 v4, v12, 0
	v_bcnt_u32_b32 v4, v13, v4
	s_waitcnt lgkmcnt(0)
	v_add_u32_e32 v4, v114, v4
	ds_write_b32 v118, v4 offset:1040
.LBB502_250:                            ;   in Loop: Header=BB502_228 Depth=2
	s_or_b64 exec, exec, s[38:39]
	v_xor_b32_e32 v16, 0x7fffffff, v16
	v_lshrrev_b32_e32 v4, s7, v16
	v_and_b32_e32 v12, s62, v4
	v_mad_u32_u24 v4, v12, 20, v101
	; wave barrier
	ds_read_b32 v117, v4 offset:1040
	v_and_b32_e32 v4, 1, v12
	v_add_co_u32_e32 v13, vcc, -1, v4
	v_addc_co_u32_e64 v15, s[38:39], 0, -1, vcc
	v_cmp_ne_u32_e32 vcc, 0, v4
	v_xor_b32_e32 v4, vcc_hi, v15
	v_and_b32_e32 v15, exec_hi, v4
	v_lshlrev_b32_e32 v4, 30, v12
	v_xor_b32_e32 v13, vcc_lo, v13
	v_cmp_gt_i64_e32 vcc, 0, v[3:4]
	v_not_b32_e32 v4, v4
	v_ashrrev_i32_e32 v4, 31, v4
	v_and_b32_e32 v13, exec_lo, v13
	v_xor_b32_e32 v119, vcc_hi, v4
	v_xor_b32_e32 v4, vcc_lo, v4
	v_and_b32_e32 v13, v13, v4
	v_lshlrev_b32_e32 v4, 29, v12
	v_cmp_gt_i64_e32 vcc, 0, v[3:4]
	v_not_b32_e32 v4, v4
	v_ashrrev_i32_e32 v4, 31, v4
	v_and_b32_e32 v15, v15, v119
	v_xor_b32_e32 v119, vcc_hi, v4
	v_xor_b32_e32 v4, vcc_lo, v4
	v_and_b32_e32 v13, v13, v4
	v_lshlrev_b32_e32 v4, 28, v12
	v_cmp_gt_i64_e32 vcc, 0, v[3:4]
	v_not_b32_e32 v4, v4
	v_ashrrev_i32_e32 v4, 31, v4
	v_and_b32_e32 v15, v15, v119
	;; [unrolled: 8-line block ×5, first 2 shown]
	v_xor_b32_e32 v119, vcc_hi, v4
	v_xor_b32_e32 v4, vcc_lo, v4
	v_and_b32_e32 v15, v15, v119
	v_and_b32_e32 v119, v13, v4
	v_lshlrev_b32_e32 v4, 24, v12
	v_cmp_gt_i64_e32 vcc, 0, v[3:4]
	v_not_b32_e32 v4, v4
	v_ashrrev_i32_e32 v4, 31, v4
	v_mul_u32_u24_e32 v14, 20, v12
	v_xor_b32_e32 v12, vcc_hi, v4
	v_xor_b32_e32 v4, vcc_lo, v4
	v_and_b32_e32 v13, v15, v12
	v_and_b32_e32 v12, v119, v4
	v_mbcnt_lo_u32_b32 v4, v12, 0
	v_mbcnt_hi_u32_b32 v119, v13, v4
	v_cmp_ne_u64_e32 vcc, 0, v[12:13]
	v_cmp_eq_u32_e64 s[38:39], 0, v119
	s_and_b64 s[40:41], vcc, s[38:39]
	v_add_u32_e32 v121, v101, v14
	; wave barrier
	s_and_saveexec_b64 s[38:39], s[40:41]
	s_cbranch_execz .LBB502_252
; %bb.251:                              ;   in Loop: Header=BB502_228 Depth=2
	v_bcnt_u32_b32 v4, v12, 0
	v_bcnt_u32_b32 v4, v13, v4
	s_waitcnt lgkmcnt(0)
	v_add_u32_e32 v4, v117, v4
	ds_write_b32 v121, v4 offset:1040
.LBB502_252:                            ;   in Loop: Header=BB502_228 Depth=2
	s_or_b64 exec, exec, s[38:39]
	v_xor_b32_e32 v120, 0x7fffffff, v17
	v_lshrrev_b32_e32 v4, s7, v120
	v_and_b32_e32 v12, s62, v4
	v_mad_u32_u24 v4, v12, 20, v101
	; wave barrier
	ds_read_b32 v17, v4 offset:1040
	v_and_b32_e32 v4, 1, v12
	v_add_co_u32_e32 v13, vcc, -1, v4
	v_addc_co_u32_e64 v15, s[38:39], 0, -1, vcc
	v_cmp_ne_u32_e32 vcc, 0, v4
	v_xor_b32_e32 v4, vcc_hi, v15
	v_and_b32_e32 v15, exec_hi, v4
	v_lshlrev_b32_e32 v4, 30, v12
	v_xor_b32_e32 v13, vcc_lo, v13
	v_cmp_gt_i64_e32 vcc, 0, v[3:4]
	v_not_b32_e32 v4, v4
	v_ashrrev_i32_e32 v4, 31, v4
	v_and_b32_e32 v13, exec_lo, v13
	v_xor_b32_e32 v122, vcc_hi, v4
	v_xor_b32_e32 v4, vcc_lo, v4
	v_and_b32_e32 v13, v13, v4
	v_lshlrev_b32_e32 v4, 29, v12
	v_cmp_gt_i64_e32 vcc, 0, v[3:4]
	v_not_b32_e32 v4, v4
	v_ashrrev_i32_e32 v4, 31, v4
	v_and_b32_e32 v15, v15, v122
	v_xor_b32_e32 v122, vcc_hi, v4
	v_xor_b32_e32 v4, vcc_lo, v4
	v_and_b32_e32 v13, v13, v4
	v_lshlrev_b32_e32 v4, 28, v12
	v_cmp_gt_i64_e32 vcc, 0, v[3:4]
	v_not_b32_e32 v4, v4
	v_ashrrev_i32_e32 v4, 31, v4
	v_and_b32_e32 v15, v15, v122
	v_xor_b32_e32 v122, vcc_hi, v4
	v_xor_b32_e32 v4, vcc_lo, v4
	v_and_b32_e32 v13, v13, v4
	v_lshlrev_b32_e32 v4, 27, v12
	v_cmp_gt_i64_e32 vcc, 0, v[3:4]
	v_not_b32_e32 v4, v4
	v_ashrrev_i32_e32 v4, 31, v4
	v_and_b32_e32 v15, v15, v122
	v_xor_b32_e32 v122, vcc_hi, v4
	v_xor_b32_e32 v4, vcc_lo, v4
	v_and_b32_e32 v13, v13, v4
	v_lshlrev_b32_e32 v4, 26, v12
	v_cmp_gt_i64_e32 vcc, 0, v[3:4]
	v_not_b32_e32 v4, v4
	v_ashrrev_i32_e32 v4, 31, v4
	v_and_b32_e32 v15, v15, v122
	v_xor_b32_e32 v122, vcc_hi, v4
	v_xor_b32_e32 v4, vcc_lo, v4
	v_and_b32_e32 v13, v13, v4
	v_lshlrev_b32_e32 v4, 25, v12
	v_cmp_gt_i64_e32 vcc, 0, v[3:4]
	v_not_b32_e32 v4, v4
	v_ashrrev_i32_e32 v4, 31, v4
	v_and_b32_e32 v15, v15, v122
	v_xor_b32_e32 v122, vcc_hi, v4
	v_xor_b32_e32 v4, vcc_lo, v4
	v_and_b32_e32 v15, v15, v122
	v_and_b32_e32 v122, v13, v4
	v_lshlrev_b32_e32 v4, 24, v12
	v_cmp_gt_i64_e32 vcc, 0, v[3:4]
	v_not_b32_e32 v4, v4
	v_ashrrev_i32_e32 v4, 31, v4
	v_mul_u32_u24_e32 v14, 20, v12
	v_xor_b32_e32 v12, vcc_hi, v4
	v_xor_b32_e32 v4, vcc_lo, v4
	v_and_b32_e32 v13, v15, v12
	v_and_b32_e32 v12, v122, v4
	v_mbcnt_lo_u32_b32 v4, v12, 0
	v_mbcnt_hi_u32_b32 v122, v13, v4
	v_cmp_ne_u64_e32 vcc, 0, v[12:13]
	v_cmp_eq_u32_e64 s[38:39], 0, v122
	s_and_b64 s[40:41], vcc, s[38:39]
	v_add_u32_e32 v125, v101, v14
	; wave barrier
	s_and_saveexec_b64 s[38:39], s[40:41]
	s_cbranch_execz .LBB502_254
; %bb.253:                              ;   in Loop: Header=BB502_228 Depth=2
	v_bcnt_u32_b32 v4, v12, 0
	v_bcnt_u32_b32 v4, v13, v4
	s_waitcnt lgkmcnt(0)
	v_add_u32_e32 v4, v17, v4
	ds_write_b32 v125, v4 offset:1040
.LBB502_254:                            ;   in Loop: Header=BB502_228 Depth=2
	s_or_b64 exec, exec, s[38:39]
	v_xor_b32_e32 v123, 0x7fffffff, v18
	v_lshrrev_b32_e32 v4, s7, v123
	v_and_b32_e32 v12, s62, v4
	v_mad_u32_u24 v4, v12, 20, v101
	; wave barrier
	ds_read_b32 v124, v4 offset:1040
	v_and_b32_e32 v4, 1, v12
	v_add_co_u32_e32 v13, vcc, -1, v4
	v_addc_co_u32_e64 v15, s[38:39], 0, -1, vcc
	v_cmp_ne_u32_e32 vcc, 0, v4
	v_xor_b32_e32 v4, vcc_hi, v15
	v_and_b32_e32 v15, exec_hi, v4
	v_lshlrev_b32_e32 v4, 30, v12
	v_xor_b32_e32 v13, vcc_lo, v13
	v_cmp_gt_i64_e32 vcc, 0, v[3:4]
	v_not_b32_e32 v4, v4
	v_ashrrev_i32_e32 v4, 31, v4
	v_and_b32_e32 v13, exec_lo, v13
	v_xor_b32_e32 v18, vcc_hi, v4
	v_xor_b32_e32 v4, vcc_lo, v4
	v_and_b32_e32 v13, v13, v4
	v_lshlrev_b32_e32 v4, 29, v12
	v_cmp_gt_i64_e32 vcc, 0, v[3:4]
	v_not_b32_e32 v4, v4
	v_ashrrev_i32_e32 v4, 31, v4
	v_and_b32_e32 v15, v15, v18
	v_xor_b32_e32 v18, vcc_hi, v4
	v_xor_b32_e32 v4, vcc_lo, v4
	v_and_b32_e32 v13, v13, v4
	v_lshlrev_b32_e32 v4, 28, v12
	v_cmp_gt_i64_e32 vcc, 0, v[3:4]
	v_not_b32_e32 v4, v4
	v_ashrrev_i32_e32 v4, 31, v4
	v_and_b32_e32 v15, v15, v18
	;; [unrolled: 8-line block ×5, first 2 shown]
	v_xor_b32_e32 v18, vcc_hi, v4
	v_xor_b32_e32 v4, vcc_lo, v4
	v_and_b32_e32 v15, v15, v18
	v_and_b32_e32 v18, v13, v4
	v_lshlrev_b32_e32 v4, 24, v12
	v_cmp_gt_i64_e32 vcc, 0, v[3:4]
	v_not_b32_e32 v4, v4
	v_ashrrev_i32_e32 v4, 31, v4
	v_mul_u32_u24_e32 v14, 20, v12
	v_xor_b32_e32 v12, vcc_hi, v4
	v_xor_b32_e32 v4, vcc_lo, v4
	v_and_b32_e32 v13, v15, v12
	v_and_b32_e32 v12, v18, v4
	v_mbcnt_lo_u32_b32 v4, v12, 0
	v_mbcnt_hi_u32_b32 v126, v13, v4
	v_cmp_ne_u64_e32 vcc, 0, v[12:13]
	v_cmp_eq_u32_e64 s[38:39], 0, v126
	s_and_b64 s[40:41], vcc, s[38:39]
	v_add_u32_e32 v18, v101, v14
	; wave barrier
	s_and_saveexec_b64 s[38:39], s[40:41]
	s_cbranch_execz .LBB502_256
; %bb.255:                              ;   in Loop: Header=BB502_228 Depth=2
	v_bcnt_u32_b32 v4, v12, 0
	v_bcnt_u32_b32 v4, v13, v4
	s_waitcnt lgkmcnt(0)
	v_add_u32_e32 v4, v124, v4
	ds_write_b32 v18, v4 offset:1040
.LBB502_256:                            ;   in Loop: Header=BB502_228 Depth=2
	s_or_b64 exec, exec, s[38:39]
	v_xor_b32_e32 v127, 0x7fffffff, v19
	v_lshrrev_b32_e32 v4, s7, v127
	v_and_b32_e32 v12, s62, v4
	v_mad_u32_u24 v4, v12, 20, v101
	; wave barrier
	ds_read_b32 v128, v4 offset:1040
	v_and_b32_e32 v4, 1, v12
	v_add_co_u32_e32 v13, vcc, -1, v4
	v_addc_co_u32_e64 v15, s[38:39], 0, -1, vcc
	v_cmp_ne_u32_e32 vcc, 0, v4
	v_xor_b32_e32 v4, vcc_hi, v15
	v_and_b32_e32 v15, exec_hi, v4
	v_lshlrev_b32_e32 v4, 30, v12
	v_xor_b32_e32 v13, vcc_lo, v13
	v_cmp_gt_i64_e32 vcc, 0, v[3:4]
	v_not_b32_e32 v4, v4
	v_ashrrev_i32_e32 v4, 31, v4
	v_and_b32_e32 v13, exec_lo, v13
	v_xor_b32_e32 v19, vcc_hi, v4
	v_xor_b32_e32 v4, vcc_lo, v4
	v_and_b32_e32 v13, v13, v4
	v_lshlrev_b32_e32 v4, 29, v12
	v_cmp_gt_i64_e32 vcc, 0, v[3:4]
	v_not_b32_e32 v4, v4
	v_ashrrev_i32_e32 v4, 31, v4
	v_and_b32_e32 v15, v15, v19
	v_xor_b32_e32 v19, vcc_hi, v4
	v_xor_b32_e32 v4, vcc_lo, v4
	v_and_b32_e32 v13, v13, v4
	v_lshlrev_b32_e32 v4, 28, v12
	v_cmp_gt_i64_e32 vcc, 0, v[3:4]
	v_not_b32_e32 v4, v4
	v_ashrrev_i32_e32 v4, 31, v4
	v_and_b32_e32 v15, v15, v19
	;; [unrolled: 8-line block ×5, first 2 shown]
	v_xor_b32_e32 v19, vcc_hi, v4
	v_xor_b32_e32 v4, vcc_lo, v4
	v_and_b32_e32 v15, v15, v19
	v_and_b32_e32 v19, v13, v4
	v_lshlrev_b32_e32 v4, 24, v12
	v_cmp_gt_i64_e32 vcc, 0, v[3:4]
	v_not_b32_e32 v4, v4
	v_ashrrev_i32_e32 v4, 31, v4
	v_mul_u32_u24_e32 v14, 20, v12
	v_xor_b32_e32 v12, vcc_hi, v4
	v_xor_b32_e32 v4, vcc_lo, v4
	v_and_b32_e32 v13, v15, v12
	v_and_b32_e32 v12, v19, v4
	v_mbcnt_lo_u32_b32 v4, v12, 0
	v_mbcnt_hi_u32_b32 v129, v13, v4
	v_cmp_ne_u64_e32 vcc, 0, v[12:13]
	v_cmp_eq_u32_e64 s[38:39], 0, v129
	s_and_b64 s[40:41], vcc, s[38:39]
	v_add_u32_e32 v4, v101, v14
	; wave barrier
	s_and_saveexec_b64 s[38:39], s[40:41]
	s_cbranch_execz .LBB502_258
; %bb.257:                              ;   in Loop: Header=BB502_228 Depth=2
	v_bcnt_u32_b32 v12, v12, 0
	v_bcnt_u32_b32 v12, v13, v12
	s_waitcnt lgkmcnt(0)
	v_add_u32_e32 v12, v128, v12
	ds_write_b32 v4, v12 offset:1040
.LBB502_258:                            ;   in Loop: Header=BB502_228 Depth=2
	s_or_b64 exec, exec, s[38:39]
	; wave barrier
	s_waitcnt lgkmcnt(0)
	s_barrier
	ds_read2_b32 v[14:15], v105 offset1:1
	ds_read2_b32 v[12:13], v104 offset1:1
	ds_read_b32 v19, v48 offset:1056
	s_waitcnt lgkmcnt(1)
	v_add3_u32 v130, v15, v14, v12
	s_waitcnt lgkmcnt(0)
	v_add3_u32 v19, v130, v13, v19
	s_nop 1
	v_mov_b32_dpp v130, v19 row_shr:1 row_mask:0xf bank_mask:0xf
	v_cndmask_b32_e64 v130, v130, 0, s[18:19]
	v_add_u32_e32 v19, v130, v19
	s_nop 1
	v_mov_b32_dpp v130, v19 row_shr:2 row_mask:0xf bank_mask:0xf
	v_cndmask_b32_e64 v130, 0, v130, s[20:21]
	v_add_u32_e32 v19, v19, v130
	s_nop 1
	v_mov_b32_dpp v130, v19 row_shr:4 row_mask:0xf bank_mask:0xf
	v_cndmask_b32_e64 v130, 0, v130, s[22:23]
	v_add_u32_e32 v19, v19, v130
	s_nop 1
	v_mov_b32_dpp v130, v19 row_shr:8 row_mask:0xf bank_mask:0xf
	v_cndmask_b32_e64 v130, 0, v130, s[24:25]
	v_add_u32_e32 v19, v19, v130
	s_nop 1
	v_mov_b32_dpp v130, v19 row_bcast:15 row_mask:0xf bank_mask:0xf
	v_cndmask_b32_e64 v130, v130, 0, s[26:27]
	v_add_u32_e32 v19, v19, v130
	s_nop 1
	v_mov_b32_dpp v130, v19 row_bcast:31 row_mask:0xf bank_mask:0xf
	v_cndmask_b32_e64 v130, 0, v130, s[28:29]
	v_add_u32_e32 v19, v19, v130
	s_and_saveexec_b64 s[38:39], s[8:9]
; %bb.259:                              ;   in Loop: Header=BB502_228 Depth=2
	ds_write_b32 v44, v19 offset:1024
; %bb.260:                              ;   in Loop: Header=BB502_228 Depth=2
	s_or_b64 exec, exec, s[38:39]
	s_waitcnt lgkmcnt(0)
	s_barrier
	s_and_saveexec_b64 s[38:39], s[10:11]
	s_cbranch_execz .LBB502_262
; %bb.261:                              ;   in Loop: Header=BB502_228 Depth=2
	ds_read_b32 v130, v49 offset:1024
	s_waitcnt lgkmcnt(0)
	s_nop 0
	v_mov_b32_dpp v131, v130 row_shr:1 row_mask:0xf bank_mask:0xf
	v_cndmask_b32_e64 v131, v131, 0, s[34:35]
	v_add_u32_e32 v130, v131, v130
	s_nop 1
	v_mov_b32_dpp v131, v130 row_shr:2 row_mask:0xf bank_mask:0xf
	v_cndmask_b32_e64 v131, 0, v131, s[36:37]
	v_add_u32_e32 v130, v130, v131
	ds_write_b32 v49, v130 offset:1024
.LBB502_262:                            ;   in Loop: Header=BB502_228 Depth=2
	s_or_b64 exec, exec, s[38:39]
	v_mov_b32_e32 v130, 0
	s_waitcnt lgkmcnt(0)
	s_barrier
	s_and_saveexec_b64 s[38:39], s[12:13]
; %bb.263:                              ;   in Loop: Header=BB502_228 Depth=2
	ds_read_b32 v130, v44 offset:1020
; %bb.264:                              ;   in Loop: Header=BB502_228 Depth=2
	s_or_b64 exec, exec, s[38:39]
	s_waitcnt lgkmcnt(0)
	v_add_u32_e32 v19, v130, v19
	ds_bpermute_b32 v19, v84, v19
	s_waitcnt lgkmcnt(0)
	v_cndmask_b32_e64 v19, v19, v130, s[30:31]
	v_cndmask_b32_e64 v19, v19, 0, s[14:15]
	v_add_u32_e32 v14, v19, v14
	v_add_u32_e32 v15, v14, v15
	;; [unrolled: 1-line block ×4, first 2 shown]
	ds_write2_b32 v105, v19, v14 offset1:1
	ds_write2_b32 v104, v15, v12 offset1:1
	ds_write_b32 v48, v13 offset:1056
	s_waitcnt lgkmcnt(0)
	s_barrier
	ds_read_b32 v12, v107 offset:1040
	ds_read_b32 v13, v111 offset:1040
	;; [unrolled: 1-line block ×9, first 2 shown]
	v_mov_b32_e32 v4, 0x800
	s_and_saveexec_b64 s[38:39], s[16:17]
; %bb.265:                              ;   in Loop: Header=BB502_228 Depth=2
	ds_read_b32 v4, v48 offset:1060
; %bb.266:                              ;   in Loop: Header=BB502_228 Depth=2
	s_or_b64 exec, exec, s[38:39]
	s_waitcnt lgkmcnt(0)
	s_barrier
	s_and_saveexec_b64 s[38:39], s[4:5]
	s_cbranch_execz .LBB502_268
; %bb.267:                              ;   in Loop: Header=BB502_228 Depth=2
	ds_read_b32 v19, v32
	s_waitcnt lgkmcnt(0)
	v_sub_u32_e32 v18, v19, v18
	ds_write_b32 v32, v18
.LBB502_268:                            ;   in Loop: Header=BB502_228 Depth=2
	s_or_b64 exec, exec, s[38:39]
	v_add_u32_e32 v105, v12, v106
	v_add3_u32 v104, v108, v31, v13
	v_lshlrev_b32_e32 v12, 2, v105
	v_add3_u32 v31, v112, v110, v14
	ds_write_b32 v12, v103 offset:1024
	v_lshlrev_b32_e32 v12, 2, v104
	v_add3_u32 v19, v116, v114, v15
	ds_write_b32 v12, v30 offset:1024
	;; [unrolled: 3-line block ×6, first 2 shown]
	v_lshlrev_b32_e32 v12, 2, v15
	ds_write_b32 v12, v123 offset:1024
	v_lshlrev_b32_e32 v12, 2, v14
	v_cmp_lt_u32_e32 vcc, v0, v102
	ds_write_b32 v12, v127 offset:1024
	s_waitcnt lgkmcnt(0)
	s_barrier
	s_and_saveexec_b64 s[40:41], vcc
	s_cbranch_execnz .LBB502_305
; %bb.269:                              ;   in Loop: Header=BB502_228 Depth=2
	s_or_b64 exec, exec, s[40:41]
	v_cmp_lt_u32_e64 s[38:39], v33, v102
	s_and_saveexec_b64 s[42:43], s[38:39]
	s_cbranch_execnz .LBB502_306
.LBB502_270:                            ;   in Loop: Header=BB502_228 Depth=2
	s_or_b64 exec, exec, s[42:43]
	v_cmp_lt_u32_e64 s[40:41], v34, v102
	s_and_saveexec_b64 s[44:45], s[40:41]
	s_cbranch_execnz .LBB502_307
.LBB502_271:                            ;   in Loop: Header=BB502_228 Depth=2
	s_or_b64 exec, exec, s[44:45]
	v_cmp_lt_u32_e64 s[42:43], v35, v102
	s_and_saveexec_b64 s[46:47], s[42:43]
	s_cbranch_execnz .LBB502_308
.LBB502_272:                            ;   in Loop: Header=BB502_228 Depth=2
	s_or_b64 exec, exec, s[46:47]
	v_cmp_lt_u32_e64 s[44:45], v38, v102
	s_and_saveexec_b64 s[48:49], s[44:45]
	s_cbranch_execnz .LBB502_309
.LBB502_273:                            ;   in Loop: Header=BB502_228 Depth=2
	s_or_b64 exec, exec, s[48:49]
	v_cmp_lt_u32_e64 s[46:47], v39, v102
	s_and_saveexec_b64 s[50:51], s[46:47]
	s_cbranch_execnz .LBB502_310
.LBB502_274:                            ;   in Loop: Header=BB502_228 Depth=2
	s_or_b64 exec, exec, s[50:51]
	v_cmp_lt_u32_e64 s[48:49], v40, v102
	s_and_saveexec_b64 s[52:53], s[48:49]
	s_cbranch_execnz .LBB502_311
.LBB502_275:                            ;   in Loop: Header=BB502_228 Depth=2
	s_or_b64 exec, exec, s[52:53]
	v_cmp_lt_u32_e64 s[50:51], v41, v102
	s_and_saveexec_b64 s[60:61], s[50:51]
	s_cbranch_execz .LBB502_277
.LBB502_276:                            ;   in Loop: Header=BB502_228 Depth=2
	ds_read_b32 v12, v49 offset:8192
	v_mov_b32_e32 v30, s69
	s_waitcnt lgkmcnt(0)
	v_lshrrev_b32_e32 v13, s7, v12
	v_and_b32_e32 v13, s62, v13
	v_lshlrev_b32_e32 v13, 2, v13
	ds_read_b32 v16, v13
	v_mov_b32_e32 v13, v3
	v_xor_b32_e32 v103, 0x7fffffff, v12
	s_waitcnt lgkmcnt(0)
	v_add_u32_e32 v12, v16, v41
	v_lshlrev_b64 v[12:13], 2, v[12:13]
	v_add_co_u32_e64 v12, s[52:53], s68, v12
	v_addc_co_u32_e64 v13, s[52:53], v30, v13, s[52:53]
	global_store_dword v[12:13], v103, off
.LBB502_277:                            ;   in Loop: Header=BB502_228 Depth=2
	s_or_b64 exec, exec, s[60:61]
	s_lshl_b64 s[52:53], s[58:59], 3
	v_mov_b32_e32 v13, s53
	v_add_co_u32_e64 v12, s[52:53], s52, v85
	v_addc_co_u32_e64 v13, s[52:53], v86, v13, s[52:53]
	v_cmp_lt_u32_e64 s[52:53], v80, v102
	s_and_saveexec_b64 s[60:61], s[52:53]
	s_xor_b64 s[52:53], exec, s[60:61]
	s_cbranch_execnz .LBB502_312
; %bb.278:                              ;   in Loop: Header=BB502_228 Depth=2
	s_or_b64 exec, exec, s[52:53]
	v_cmp_lt_u32_e64 s[52:53], v81, v102
	s_and_saveexec_b64 s[60:61], s[52:53]
	s_cbranch_execnz .LBB502_313
.LBB502_279:                            ;   in Loop: Header=BB502_228 Depth=2
	s_or_b64 exec, exec, s[60:61]
	v_cmp_lt_u32_e64 s[52:53], v82, v102
	s_and_saveexec_b64 s[60:61], s[52:53]
	s_cbranch_execnz .LBB502_314
.LBB502_280:                            ;   in Loop: Header=BB502_228 Depth=2
	s_or_b64 exec, exec, s[60:61]
	v_cmp_lt_u32_e64 s[52:53], v83, v102
	s_and_saveexec_b64 s[60:61], s[52:53]
	s_cbranch_execnz .LBB502_315
.LBB502_281:                            ;   in Loop: Header=BB502_228 Depth=2
	s_or_b64 exec, exec, s[60:61]
	v_cmp_lt_u32_e64 s[52:53], v87, v102
	s_and_saveexec_b64 s[60:61], s[52:53]
	s_cbranch_execnz .LBB502_316
.LBB502_282:                            ;   in Loop: Header=BB502_228 Depth=2
	s_or_b64 exec, exec, s[60:61]
	v_cmp_lt_u32_e64 s[52:53], v88, v102
	s_and_saveexec_b64 s[60:61], s[52:53]
	s_cbranch_execnz .LBB502_317
.LBB502_283:                            ;   in Loop: Header=BB502_228 Depth=2
	s_or_b64 exec, exec, s[60:61]
	v_cmp_lt_u32_e64 s[52:53], v89, v102
	s_and_saveexec_b64 s[60:61], s[52:53]
	s_cbranch_execnz .LBB502_318
.LBB502_284:                            ;   in Loop: Header=BB502_228 Depth=2
	s_or_b64 exec, exec, s[60:61]
	v_cmp_lt_u32_e64 s[52:53], v90, v102
	s_and_saveexec_b64 s[60:61], s[52:53]
	s_cbranch_execnz .LBB502_319
.LBB502_285:                            ;   in Loop: Header=BB502_228 Depth=2
	s_or_b64 exec, exec, s[60:61]
	s_and_saveexec_b64 s[52:53], vcc
	s_cbranch_execnz .LBB502_320
.LBB502_286:                            ;   in Loop: Header=BB502_228 Depth=2
	s_or_b64 exec, exec, s[52:53]
	s_and_saveexec_b64 s[52:53], s[38:39]
	s_cbranch_execnz .LBB502_321
.LBB502_287:                            ;   in Loop: Header=BB502_228 Depth=2
	s_or_b64 exec, exec, s[52:53]
	s_and_saveexec_b64 s[52:53], s[40:41]
	s_cbranch_execnz .LBB502_322
.LBB502_288:                            ;   in Loop: Header=BB502_228 Depth=2
	s_or_b64 exec, exec, s[52:53]
	s_and_saveexec_b64 s[52:53], s[42:43]
	s_cbranch_execnz .LBB502_323
.LBB502_289:                            ;   in Loop: Header=BB502_228 Depth=2
	s_or_b64 exec, exec, s[52:53]
	s_and_saveexec_b64 s[52:53], s[44:45]
	s_cbranch_execnz .LBB502_324
.LBB502_290:                            ;   in Loop: Header=BB502_228 Depth=2
	s_or_b64 exec, exec, s[52:53]
	s_and_saveexec_b64 s[52:53], s[46:47]
	s_cbranch_execnz .LBB502_325
.LBB502_291:                            ;   in Loop: Header=BB502_228 Depth=2
	s_or_b64 exec, exec, s[52:53]
	s_and_saveexec_b64 s[52:53], s[48:49]
	s_cbranch_execnz .LBB502_326
.LBB502_292:                            ;   in Loop: Header=BB502_228 Depth=2
	s_or_b64 exec, exec, s[52:53]
	s_and_saveexec_b64 s[52:53], s[50:51]
	s_cbranch_execz .LBB502_294
.LBB502_293:                            ;   in Loop: Header=BB502_228 Depth=2
	ds_read_b32 v12, v49 offset:8192
	s_waitcnt lgkmcnt(0)
	v_lshrrev_b32_e32 v12, s7, v12
	v_and_b32_e32 v91, s62, v12
.LBB502_294:                            ;   in Loop: Header=BB502_228 Depth=2
	s_or_b64 exec, exec, s[52:53]
	v_lshlrev_b32_e32 v12, 3, v105
	s_waitcnt vmcnt(0)
	s_barrier
	ds_write_b64 v12, v[28:29] offset:1024
	v_lshlrev_b32_e32 v12, 3, v104
	ds_write_b64 v12, v[26:27] offset:1024
	v_lshlrev_b32_e32 v12, 3, v31
	ds_write_b64 v12, v[24:25] offset:1024
	v_lshlrev_b32_e32 v12, 3, v19
	ds_write_b64 v12, v[22:23] offset:1024
	v_lshlrev_b32_e32 v12, 3, v18
	ds_write_b64 v12, v[20:21] offset:1024
	v_lshlrev_b32_e32 v12, 3, v17
	ds_write_b64 v12, v[9:10] offset:1024
	v_lshlrev_b32_e32 v12, 3, v15
	ds_write_b64 v12, v[7:8] offset:1024
	v_lshlrev_b32_e32 v12, 3, v14
	ds_write_b64 v12, v[5:6] offset:1024
	s_waitcnt lgkmcnt(0)
	s_barrier
	s_and_saveexec_b64 s[52:53], vcc
	s_cbranch_execnz .LBB502_327
; %bb.295:                              ;   in Loop: Header=BB502_228 Depth=2
	s_or_b64 exec, exec, s[52:53]
	s_and_saveexec_b64 s[52:53], s[38:39]
	s_cbranch_execnz .LBB502_328
.LBB502_296:                            ;   in Loop: Header=BB502_228 Depth=2
	s_or_b64 exec, exec, s[52:53]
	s_and_saveexec_b64 s[38:39], s[40:41]
	s_cbranch_execnz .LBB502_329
.LBB502_297:                            ;   in Loop: Header=BB502_228 Depth=2
	s_or_b64 exec, exec, s[38:39]
	s_and_saveexec_b64 s[38:39], s[42:43]
	s_cbranch_execnz .LBB502_330
.LBB502_298:                            ;   in Loop: Header=BB502_228 Depth=2
	s_or_b64 exec, exec, s[38:39]
	s_and_saveexec_b64 s[38:39], s[44:45]
	s_cbranch_execnz .LBB502_331
.LBB502_299:                            ;   in Loop: Header=BB502_228 Depth=2
	s_or_b64 exec, exec, s[38:39]
	s_and_saveexec_b64 s[38:39], s[46:47]
	s_cbranch_execnz .LBB502_332
.LBB502_300:                            ;   in Loop: Header=BB502_228 Depth=2
	s_or_b64 exec, exec, s[38:39]
	s_and_saveexec_b64 s[38:39], s[48:49]
	s_cbranch_execnz .LBB502_333
.LBB502_301:                            ;   in Loop: Header=BB502_228 Depth=2
	s_or_b64 exec, exec, s[38:39]
	s_and_saveexec_b64 s[38:39], s[50:51]
	s_cbranch_execz .LBB502_303
.LBB502_302:                            ;   in Loop: Header=BB502_228 Depth=2
	v_lshlrev_b32_e32 v12, 2, v91
	ds_read_b32 v14, v12
	v_add_u32_e32 v12, v49, v32
	ds_read_b64 v[12:13], v12 offset:15360
	v_mov_b32_e32 v15, v3
	v_mov_b32_e32 v16, s75
	s_waitcnt lgkmcnt(1)
	v_add_u32_e32 v14, v14, v41
	v_lshlrev_b64 v[14:15], 3, v[14:15]
	v_add_co_u32_e32 v14, vcc, s74, v14
	v_addc_co_u32_e32 v15, vcc, v16, v15, vcc
	s_waitcnt lgkmcnt(0)
	global_store_dwordx2 v[14:15], v[12:13], off
.LBB502_303:                            ;   in Loop: Header=BB502_228 Depth=2
	s_or_b64 exec, exec, s[38:39]
	s_waitcnt vmcnt(0)
	s_barrier
	s_and_saveexec_b64 s[38:39], s[4:5]
	s_cbranch_execz .LBB502_227
; %bb.304:                              ;   in Loop: Header=BB502_228 Depth=2
	ds_read_b32 v12, v32
	s_waitcnt lgkmcnt(0)
	v_add_u32_e32 v4, v12, v4
	ds_write_b32 v32, v4
	s_branch .LBB502_227
.LBB502_305:                            ;   in Loop: Header=BB502_228 Depth=2
	ds_read_b32 v12, v49 offset:1024
	v_mov_b32_e32 v30, s69
	s_waitcnt lgkmcnt(0)
	v_lshrrev_b32_e32 v13, s7, v12
	v_and_b32_e32 v13, s62, v13
	v_lshlrev_b32_e32 v13, 2, v13
	ds_read_b32 v16, v13
	v_mov_b32_e32 v13, v3
	v_xor_b32_e32 v103, 0x7fffffff, v12
	s_waitcnt lgkmcnt(0)
	v_add_u32_e32 v12, v16, v0
	v_lshlrev_b64 v[12:13], 2, v[12:13]
	v_add_co_u32_e64 v12, s[38:39], s68, v12
	v_addc_co_u32_e64 v13, s[38:39], v30, v13, s[38:39]
	global_store_dword v[12:13], v103, off
	s_or_b64 exec, exec, s[40:41]
	v_cmp_lt_u32_e64 s[38:39], v33, v102
	s_and_saveexec_b64 s[42:43], s[38:39]
	s_cbranch_execz .LBB502_270
.LBB502_306:                            ;   in Loop: Header=BB502_228 Depth=2
	ds_read_b32 v12, v49 offset:2048
	v_mov_b32_e32 v30, s69
	s_waitcnt lgkmcnt(0)
	v_lshrrev_b32_e32 v13, s7, v12
	v_and_b32_e32 v13, s62, v13
	v_lshlrev_b32_e32 v13, 2, v13
	ds_read_b32 v16, v13
	v_mov_b32_e32 v13, v3
	v_xor_b32_e32 v103, 0x7fffffff, v12
	s_waitcnt lgkmcnt(0)
	v_add_u32_e32 v12, v16, v33
	v_lshlrev_b64 v[12:13], 2, v[12:13]
	v_add_co_u32_e64 v12, s[40:41], s68, v12
	v_addc_co_u32_e64 v13, s[40:41], v30, v13, s[40:41]
	global_store_dword v[12:13], v103, off
	s_or_b64 exec, exec, s[42:43]
	v_cmp_lt_u32_e64 s[40:41], v34, v102
	s_and_saveexec_b64 s[44:45], s[40:41]
	s_cbranch_execz .LBB502_271
.LBB502_307:                            ;   in Loop: Header=BB502_228 Depth=2
	ds_read_b32 v12, v49 offset:3072
	v_mov_b32_e32 v30, s69
	s_waitcnt lgkmcnt(0)
	v_lshrrev_b32_e32 v13, s7, v12
	v_and_b32_e32 v13, s62, v13
	v_lshlrev_b32_e32 v13, 2, v13
	ds_read_b32 v16, v13
	v_mov_b32_e32 v13, v3
	v_xor_b32_e32 v103, 0x7fffffff, v12
	s_waitcnt lgkmcnt(0)
	v_add_u32_e32 v12, v16, v34
	v_lshlrev_b64 v[12:13], 2, v[12:13]
	v_add_co_u32_e64 v12, s[42:43], s68, v12
	v_addc_co_u32_e64 v13, s[42:43], v30, v13, s[42:43]
	global_store_dword v[12:13], v103, off
	s_or_b64 exec, exec, s[44:45]
	v_cmp_lt_u32_e64 s[42:43], v35, v102
	s_and_saveexec_b64 s[46:47], s[42:43]
	s_cbranch_execz .LBB502_272
.LBB502_308:                            ;   in Loop: Header=BB502_228 Depth=2
	ds_read_b32 v12, v49 offset:4096
	v_mov_b32_e32 v30, s69
	s_waitcnt lgkmcnt(0)
	v_lshrrev_b32_e32 v13, s7, v12
	v_and_b32_e32 v13, s62, v13
	v_lshlrev_b32_e32 v13, 2, v13
	ds_read_b32 v16, v13
	v_mov_b32_e32 v13, v3
	v_xor_b32_e32 v103, 0x7fffffff, v12
	s_waitcnt lgkmcnt(0)
	v_add_u32_e32 v12, v16, v35
	v_lshlrev_b64 v[12:13], 2, v[12:13]
	v_add_co_u32_e64 v12, s[44:45], s68, v12
	v_addc_co_u32_e64 v13, s[44:45], v30, v13, s[44:45]
	global_store_dword v[12:13], v103, off
	s_or_b64 exec, exec, s[46:47]
	v_cmp_lt_u32_e64 s[44:45], v38, v102
	s_and_saveexec_b64 s[48:49], s[44:45]
	s_cbranch_execz .LBB502_273
.LBB502_309:                            ;   in Loop: Header=BB502_228 Depth=2
	ds_read_b32 v12, v49 offset:5120
	v_mov_b32_e32 v30, s69
	s_waitcnt lgkmcnt(0)
	v_lshrrev_b32_e32 v13, s7, v12
	v_and_b32_e32 v13, s62, v13
	v_lshlrev_b32_e32 v13, 2, v13
	ds_read_b32 v16, v13
	v_mov_b32_e32 v13, v3
	v_xor_b32_e32 v103, 0x7fffffff, v12
	s_waitcnt lgkmcnt(0)
	v_add_u32_e32 v12, v16, v38
	v_lshlrev_b64 v[12:13], 2, v[12:13]
	v_add_co_u32_e64 v12, s[46:47], s68, v12
	v_addc_co_u32_e64 v13, s[46:47], v30, v13, s[46:47]
	global_store_dword v[12:13], v103, off
	s_or_b64 exec, exec, s[48:49]
	v_cmp_lt_u32_e64 s[46:47], v39, v102
	s_and_saveexec_b64 s[50:51], s[46:47]
	s_cbranch_execz .LBB502_274
.LBB502_310:                            ;   in Loop: Header=BB502_228 Depth=2
	ds_read_b32 v12, v49 offset:6144
	v_mov_b32_e32 v30, s69
	s_waitcnt lgkmcnt(0)
	v_lshrrev_b32_e32 v13, s7, v12
	v_and_b32_e32 v13, s62, v13
	v_lshlrev_b32_e32 v13, 2, v13
	ds_read_b32 v16, v13
	v_mov_b32_e32 v13, v3
	v_xor_b32_e32 v103, 0x7fffffff, v12
	s_waitcnt lgkmcnt(0)
	v_add_u32_e32 v12, v16, v39
	v_lshlrev_b64 v[12:13], 2, v[12:13]
	v_add_co_u32_e64 v12, s[48:49], s68, v12
	v_addc_co_u32_e64 v13, s[48:49], v30, v13, s[48:49]
	global_store_dword v[12:13], v103, off
	s_or_b64 exec, exec, s[50:51]
	v_cmp_lt_u32_e64 s[48:49], v40, v102
	s_and_saveexec_b64 s[52:53], s[48:49]
	s_cbranch_execz .LBB502_275
.LBB502_311:                            ;   in Loop: Header=BB502_228 Depth=2
	ds_read_b32 v12, v49 offset:7168
	v_mov_b32_e32 v30, s69
	s_waitcnt lgkmcnt(0)
	v_lshrrev_b32_e32 v13, s7, v12
	v_and_b32_e32 v13, s62, v13
	v_lshlrev_b32_e32 v13, 2, v13
	ds_read_b32 v16, v13
	v_mov_b32_e32 v13, v3
	v_xor_b32_e32 v103, 0x7fffffff, v12
	s_waitcnt lgkmcnt(0)
	v_add_u32_e32 v12, v16, v40
	v_lshlrev_b64 v[12:13], 2, v[12:13]
	v_add_co_u32_e64 v12, s[50:51], s68, v12
	v_addc_co_u32_e64 v13, s[50:51], v30, v13, s[50:51]
	global_store_dword v[12:13], v103, off
	s_or_b64 exec, exec, s[52:53]
	v_cmp_lt_u32_e64 s[50:51], v41, v102
	s_and_saveexec_b64 s[60:61], s[50:51]
	s_cbranch_execnz .LBB502_276
	s_branch .LBB502_277
.LBB502_312:                            ;   in Loop: Header=BB502_228 Depth=2
	global_load_dwordx2 v[28:29], v[12:13], off
	s_or_b64 exec, exec, s[52:53]
	v_cmp_lt_u32_e64 s[52:53], v81, v102
	s_and_saveexec_b64 s[60:61], s[52:53]
	s_cbranch_execz .LBB502_279
.LBB502_313:                            ;   in Loop: Header=BB502_228 Depth=2
	global_load_dwordx2 v[26:27], v[12:13], off offset:512
	s_or_b64 exec, exec, s[60:61]
	v_cmp_lt_u32_e64 s[52:53], v82, v102
	s_and_saveexec_b64 s[60:61], s[52:53]
	s_cbranch_execz .LBB502_280
.LBB502_314:                            ;   in Loop: Header=BB502_228 Depth=2
	global_load_dwordx2 v[24:25], v[12:13], off offset:1024
	s_or_b64 exec, exec, s[60:61]
	v_cmp_lt_u32_e64 s[52:53], v83, v102
	s_and_saveexec_b64 s[60:61], s[52:53]
	s_cbranch_execz .LBB502_281
.LBB502_315:                            ;   in Loop: Header=BB502_228 Depth=2
	global_load_dwordx2 v[22:23], v[12:13], off offset:1536
	s_or_b64 exec, exec, s[60:61]
	v_cmp_lt_u32_e64 s[52:53], v87, v102
	s_and_saveexec_b64 s[60:61], s[52:53]
	s_cbranch_execz .LBB502_282
.LBB502_316:                            ;   in Loop: Header=BB502_228 Depth=2
	global_load_dwordx2 v[20:21], v[12:13], off offset:2048
	s_or_b64 exec, exec, s[60:61]
	v_cmp_lt_u32_e64 s[52:53], v88, v102
	s_and_saveexec_b64 s[60:61], s[52:53]
	s_cbranch_execz .LBB502_283
.LBB502_317:                            ;   in Loop: Header=BB502_228 Depth=2
	global_load_dwordx2 v[9:10], v[12:13], off offset:2560
	s_or_b64 exec, exec, s[60:61]
	v_cmp_lt_u32_e64 s[52:53], v89, v102
	s_and_saveexec_b64 s[60:61], s[52:53]
	s_cbranch_execz .LBB502_284
.LBB502_318:                            ;   in Loop: Header=BB502_228 Depth=2
	global_load_dwordx2 v[7:8], v[12:13], off offset:3072
	s_or_b64 exec, exec, s[60:61]
	v_cmp_lt_u32_e64 s[52:53], v90, v102
	s_and_saveexec_b64 s[60:61], s[52:53]
	s_cbranch_execz .LBB502_285
.LBB502_319:                            ;   in Loop: Header=BB502_228 Depth=2
	global_load_dwordx2 v[5:6], v[12:13], off offset:3584
	s_or_b64 exec, exec, s[60:61]
	s_and_saveexec_b64 s[52:53], vcc
	s_cbranch_execz .LBB502_286
.LBB502_320:                            ;   in Loop: Header=BB502_228 Depth=2
	ds_read_b32 v12, v49 offset:1024
	s_waitcnt lgkmcnt(0)
	v_lshrrev_b32_e32 v12, s7, v12
	v_and_b32_e32 v99, s62, v12
	s_or_b64 exec, exec, s[52:53]
	s_and_saveexec_b64 s[52:53], s[38:39]
	s_cbranch_execz .LBB502_287
.LBB502_321:                            ;   in Loop: Header=BB502_228 Depth=2
	ds_read_b32 v12, v49 offset:2048
	s_waitcnt lgkmcnt(0)
	v_lshrrev_b32_e32 v12, s7, v12
	v_and_b32_e32 v97, s62, v12
	s_or_b64 exec, exec, s[52:53]
	s_and_saveexec_b64 s[52:53], s[40:41]
	s_cbranch_execz .LBB502_288
.LBB502_322:                            ;   in Loop: Header=BB502_228 Depth=2
	ds_read_b32 v12, v49 offset:3072
	s_waitcnt lgkmcnt(0)
	v_lshrrev_b32_e32 v12, s7, v12
	v_and_b32_e32 v96, s62, v12
	s_or_b64 exec, exec, s[52:53]
	s_and_saveexec_b64 s[52:53], s[42:43]
	s_cbranch_execz .LBB502_289
.LBB502_323:                            ;   in Loop: Header=BB502_228 Depth=2
	ds_read_b32 v12, v49 offset:4096
	s_waitcnt lgkmcnt(0)
	v_lshrrev_b32_e32 v12, s7, v12
	v_and_b32_e32 v95, s62, v12
	s_or_b64 exec, exec, s[52:53]
	s_and_saveexec_b64 s[52:53], s[44:45]
	s_cbranch_execz .LBB502_290
.LBB502_324:                            ;   in Loop: Header=BB502_228 Depth=2
	ds_read_b32 v12, v49 offset:5120
	s_waitcnt lgkmcnt(0)
	v_lshrrev_b32_e32 v12, s7, v12
	v_and_b32_e32 v94, s62, v12
	s_or_b64 exec, exec, s[52:53]
	s_and_saveexec_b64 s[52:53], s[46:47]
	s_cbranch_execz .LBB502_291
.LBB502_325:                            ;   in Loop: Header=BB502_228 Depth=2
	ds_read_b32 v12, v49 offset:6144
	s_waitcnt lgkmcnt(0)
	v_lshrrev_b32_e32 v12, s7, v12
	v_and_b32_e32 v93, s62, v12
	s_or_b64 exec, exec, s[52:53]
	s_and_saveexec_b64 s[52:53], s[48:49]
	s_cbranch_execz .LBB502_292
.LBB502_326:                            ;   in Loop: Header=BB502_228 Depth=2
	ds_read_b32 v12, v49 offset:7168
	s_waitcnt lgkmcnt(0)
	v_lshrrev_b32_e32 v12, s7, v12
	v_and_b32_e32 v92, s62, v12
	s_or_b64 exec, exec, s[52:53]
	s_and_saveexec_b64 s[52:53], s[50:51]
	s_cbranch_execnz .LBB502_293
	s_branch .LBB502_294
.LBB502_327:                            ;   in Loop: Header=BB502_228 Depth=2
	v_lshlrev_b32_e32 v12, 2, v99
	ds_read_b32 v14, v12
	v_add_u32_e32 v12, v49, v32
	ds_read_b64 v[12:13], v12 offset:1024
	v_mov_b32_e32 v15, v3
	v_mov_b32_e32 v16, s75
	s_waitcnt lgkmcnt(1)
	v_add_u32_e32 v14, v14, v0
	v_lshlrev_b64 v[14:15], 3, v[14:15]
	v_add_co_u32_e32 v14, vcc, s74, v14
	v_addc_co_u32_e32 v15, vcc, v16, v15, vcc
	s_waitcnt lgkmcnt(0)
	global_store_dwordx2 v[14:15], v[12:13], off
	s_or_b64 exec, exec, s[52:53]
	s_and_saveexec_b64 s[52:53], s[38:39]
	s_cbranch_execz .LBB502_296
.LBB502_328:                            ;   in Loop: Header=BB502_228 Depth=2
	v_lshlrev_b32_e32 v12, 2, v97
	ds_read_b32 v14, v12
	v_add_u32_e32 v12, v49, v32
	ds_read_b64 v[12:13], v12 offset:3072
	v_mov_b32_e32 v15, v3
	v_mov_b32_e32 v16, s75
	s_waitcnt lgkmcnt(1)
	v_add_u32_e32 v14, v14, v33
	v_lshlrev_b64 v[14:15], 3, v[14:15]
	v_add_co_u32_e32 v14, vcc, s74, v14
	v_addc_co_u32_e32 v15, vcc, v16, v15, vcc
	s_waitcnt lgkmcnt(0)
	global_store_dwordx2 v[14:15], v[12:13], off
	s_or_b64 exec, exec, s[52:53]
	s_and_saveexec_b64 s[38:39], s[40:41]
	s_cbranch_execz .LBB502_297
.LBB502_329:                            ;   in Loop: Header=BB502_228 Depth=2
	v_lshlrev_b32_e32 v12, 2, v96
	ds_read_b32 v14, v12
	v_add_u32_e32 v12, v49, v32
	ds_read_b64 v[12:13], v12 offset:5120
	v_mov_b32_e32 v15, v3
	v_mov_b32_e32 v16, s75
	s_waitcnt lgkmcnt(1)
	v_add_u32_e32 v14, v14, v34
	v_lshlrev_b64 v[14:15], 3, v[14:15]
	v_add_co_u32_e32 v14, vcc, s74, v14
	v_addc_co_u32_e32 v15, vcc, v16, v15, vcc
	s_waitcnt lgkmcnt(0)
	global_store_dwordx2 v[14:15], v[12:13], off
	s_or_b64 exec, exec, s[38:39]
	s_and_saveexec_b64 s[38:39], s[42:43]
	s_cbranch_execz .LBB502_298
.LBB502_330:                            ;   in Loop: Header=BB502_228 Depth=2
	v_lshlrev_b32_e32 v12, 2, v95
	ds_read_b32 v14, v12
	v_add_u32_e32 v12, v49, v32
	ds_read_b64 v[12:13], v12 offset:7168
	v_mov_b32_e32 v15, v3
	v_mov_b32_e32 v16, s75
	s_waitcnt lgkmcnt(1)
	v_add_u32_e32 v14, v14, v35
	v_lshlrev_b64 v[14:15], 3, v[14:15]
	v_add_co_u32_e32 v14, vcc, s74, v14
	v_addc_co_u32_e32 v15, vcc, v16, v15, vcc
	s_waitcnt lgkmcnt(0)
	global_store_dwordx2 v[14:15], v[12:13], off
	s_or_b64 exec, exec, s[38:39]
	s_and_saveexec_b64 s[38:39], s[44:45]
	s_cbranch_execz .LBB502_299
.LBB502_331:                            ;   in Loop: Header=BB502_228 Depth=2
	v_lshlrev_b32_e32 v12, 2, v94
	ds_read_b32 v14, v12
	v_add_u32_e32 v12, v49, v32
	ds_read_b64 v[12:13], v12 offset:9216
	v_mov_b32_e32 v15, v3
	v_mov_b32_e32 v16, s75
	s_waitcnt lgkmcnt(1)
	v_add_u32_e32 v14, v14, v38
	v_lshlrev_b64 v[14:15], 3, v[14:15]
	v_add_co_u32_e32 v14, vcc, s74, v14
	v_addc_co_u32_e32 v15, vcc, v16, v15, vcc
	s_waitcnt lgkmcnt(0)
	global_store_dwordx2 v[14:15], v[12:13], off
	s_or_b64 exec, exec, s[38:39]
	s_and_saveexec_b64 s[38:39], s[46:47]
	s_cbranch_execz .LBB502_300
.LBB502_332:                            ;   in Loop: Header=BB502_228 Depth=2
	v_lshlrev_b32_e32 v12, 2, v93
	ds_read_b32 v14, v12
	v_add_u32_e32 v12, v49, v32
	ds_read_b64 v[12:13], v12 offset:11264
	v_mov_b32_e32 v15, v3
	v_mov_b32_e32 v16, s75
	s_waitcnt lgkmcnt(1)
	v_add_u32_e32 v14, v14, v39
	v_lshlrev_b64 v[14:15], 3, v[14:15]
	v_add_co_u32_e32 v14, vcc, s74, v14
	v_addc_co_u32_e32 v15, vcc, v16, v15, vcc
	s_waitcnt lgkmcnt(0)
	global_store_dwordx2 v[14:15], v[12:13], off
	s_or_b64 exec, exec, s[38:39]
	s_and_saveexec_b64 s[38:39], s[48:49]
	s_cbranch_execz .LBB502_301
.LBB502_333:                            ;   in Loop: Header=BB502_228 Depth=2
	v_lshlrev_b32_e32 v12, 2, v92
	ds_read_b32 v14, v12
	v_add_u32_e32 v12, v49, v32
	ds_read_b64 v[12:13], v12 offset:13312
	v_mov_b32_e32 v15, v3
	v_mov_b32_e32 v16, s75
	s_waitcnt lgkmcnt(1)
	v_add_u32_e32 v14, v14, v40
	v_lshlrev_b64 v[14:15], 3, v[14:15]
	v_add_co_u32_e32 v14, vcc, s74, v14
	v_addc_co_u32_e32 v15, vcc, v16, v15, vcc
	s_waitcnt lgkmcnt(0)
	global_store_dwordx2 v[14:15], v[12:13], off
	s_or_b64 exec, exec, s[38:39]
	s_and_saveexec_b64 s[38:39], s[50:51]
	s_cbranch_execnz .LBB502_302
	s_branch .LBB502_303
.LBB502_334:                            ;   in Loop: Header=BB502_228 Depth=2
	global_load_dword v12, v[30:31], off
	v_mov_b32_e32 v13, v11
	v_mov_b32_e32 v14, v11
	;; [unrolled: 1-line block ×7, first 2 shown]
	s_or_b64 exec, exec, s[38:39]
	v_cmp_gt_u32_e32 vcc, s70, v81
	s_and_saveexec_b64 s[38:39], vcc
	s_cbranch_execz .LBB502_233
.LBB502_335:                            ;   in Loop: Header=BB502_228 Depth=2
	global_load_dword v13, v[30:31], off offset:256
	s_or_b64 exec, exec, s[38:39]
	v_cmp_gt_u32_e32 vcc, s70, v82
	s_and_saveexec_b64 s[38:39], vcc
	s_cbranch_execz .LBB502_234
.LBB502_336:                            ;   in Loop: Header=BB502_228 Depth=2
	global_load_dword v14, v[30:31], off offset:512
	s_or_b64 exec, exec, s[38:39]
	v_cmp_gt_u32_e32 vcc, s70, v83
	s_and_saveexec_b64 s[38:39], vcc
	s_cbranch_execz .LBB502_235
.LBB502_337:                            ;   in Loop: Header=BB502_228 Depth=2
	global_load_dword v15, v[30:31], off offset:768
	s_or_b64 exec, exec, s[38:39]
	v_cmp_gt_u32_e32 vcc, s70, v87
	s_and_saveexec_b64 s[38:39], vcc
	s_cbranch_execz .LBB502_236
.LBB502_338:                            ;   in Loop: Header=BB502_228 Depth=2
	global_load_dword v16, v[30:31], off offset:1024
	s_or_b64 exec, exec, s[38:39]
	v_cmp_gt_u32_e32 vcc, s70, v88
	s_and_saveexec_b64 s[38:39], vcc
	s_cbranch_execz .LBB502_237
.LBB502_339:                            ;   in Loop: Header=BB502_228 Depth=2
	global_load_dword v17, v[30:31], off offset:1280
	s_or_b64 exec, exec, s[38:39]
	v_cmp_gt_u32_e32 vcc, s70, v89
	s_and_saveexec_b64 s[38:39], vcc
	s_cbranch_execnz .LBB502_238
	s_branch .LBB502_239
.LBB502_340:                            ;   in Loop: Header=BB502_12 Depth=1
	s_waitcnt lgkmcnt(0)
	s_barrier
.LBB502_341:                            ;   in Loop: Header=BB502_12 Depth=1
	s_mov_b64 s[18:19], 0
.LBB502_342:                            ;   in Loop: Header=BB502_12 Depth=1
	s_andn2_b64 vcc, exec, s[18:19]
	s_cbranch_vccnz .LBB502_11
; %bb.343:                              ;   in Loop: Header=BB502_12 Depth=1
	s_mov_b64 s[18:19], -1
	s_and_b64 vcc, exec, s[54:55]
	s_cbranch_vccz .LBB502_507
; %bb.344:                              ;   in Loop: Header=BB502_12 Depth=1
	v_mov_b32_e32 v10, v3
	v_mov_b32_e32 v4, v3
	;; [unrolled: 1-line block ×8, first 2 shown]
	s_mov_b32 s22, s79
	s_mov_b32 s58, s63
	v_mov_b32_e32 v18, v9
	v_mov_b32_e32 v17, v8
	;; [unrolled: 1-line block ×7, first 2 shown]
	s_barrier
	s_branch .LBB502_346
.LBB502_345:                            ;   in Loop: Header=BB502_346 Depth=2
	s_or_b64 exec, exec, s[18:19]
	s_addk_i32 s22, 0xf800
	s_cmp_ge_u32 s23, s80
	s_mov_b32 s58, s23
	s_cbranch_scc1 .LBB502_382
.LBB502_346:                            ;   Parent Loop BB502_12 Depth=1
                                        ; =>  This Inner Loop Header: Depth=2
	s_add_i32 s23, s58, 0x800
	s_cmp_gt_u32 s23, s80
	s_mov_b64 s[18:19], -1
                                        ; implicit-def: $vgpr20_vgpr21_vgpr22_vgpr23_vgpr24_vgpr25_vgpr26_vgpr27
	s_cbranch_scc1 .LBB502_348
; %bb.347:                              ;   in Loop: Header=BB502_346 Depth=2
	s_lshl_b64 s[18:19], s[58:59], 2
	v_mov_b32_e32 v5, s19
	v_add_co_u32_e32 v4, vcc, s18, v60
	v_addc_co_u32_e32 v5, vcc, v61, v5, vcc
	v_add_co_u32_e32 v6, vcc, 0x1000, v4
	v_addc_co_u32_e32 v7, vcc, 0, v5, vcc
	global_load_dword v20, v[4:5], off
	global_load_dword v21, v[4:5], off offset:1024
	global_load_dword v22, v[4:5], off offset:2048
	;; [unrolled: 1-line block ×3, first 2 shown]
	global_load_dword v24, v[6:7], off
	global_load_dword v25, v[6:7], off offset:1024
	global_load_dword v26, v[6:7], off offset:2048
	;; [unrolled: 1-line block ×3, first 2 shown]
	s_mov_b64 s[18:19], 0
.LBB502_348:                            ;   in Loop: Header=BB502_346 Depth=2
	s_andn2_b64 vcc, exec, s[18:19]
	s_movk_i32 s20, 0x800
	s_cbranch_vccnz .LBB502_359
; %bb.349:                              ;   in Loop: Header=BB502_346 Depth=2
	s_lshl_b64 s[18:19], s[58:59], 2
	s_add_u32 s18, s64, s18
	s_addc_u32 s19, s65, s19
	v_cmp_gt_u32_e32 vcc, s22, v0
	s_and_saveexec_b64 s[20:21], vcc
	s_cbranch_execnz .LBB502_375
; %bb.350:                              ;   in Loop: Header=BB502_346 Depth=2
	s_or_b64 exec, exec, s[20:21]
	v_cmp_gt_u32_e32 vcc, s22, v33
	s_and_saveexec_b64 s[20:21], vcc
	s_cbranch_execnz .LBB502_376
.LBB502_351:                            ;   in Loop: Header=BB502_346 Depth=2
	s_or_b64 exec, exec, s[20:21]
	v_cmp_gt_u32_e32 vcc, s22, v34
	s_and_saveexec_b64 s[20:21], vcc
	s_cbranch_execnz .LBB502_377
.LBB502_352:                            ;   in Loop: Header=BB502_346 Depth=2
	s_or_b64 exec, exec, s[20:21]
	v_cmp_gt_u32_e32 vcc, s22, v35
	s_and_saveexec_b64 s[20:21], vcc
	s_cbranch_execnz .LBB502_378
.LBB502_353:                            ;   in Loop: Header=BB502_346 Depth=2
	s_or_b64 exec, exec, s[20:21]
	v_cmp_gt_u32_e32 vcc, s22, v38
	s_and_saveexec_b64 s[20:21], vcc
	s_cbranch_execnz .LBB502_379
.LBB502_354:                            ;   in Loop: Header=BB502_346 Depth=2
	s_or_b64 exec, exec, s[20:21]
	v_cmp_gt_u32_e32 vcc, s22, v39
	s_and_saveexec_b64 s[20:21], vcc
	s_cbranch_execnz .LBB502_380
.LBB502_355:                            ;   in Loop: Header=BB502_346 Depth=2
	s_or_b64 exec, exec, s[20:21]
	v_cmp_gt_u32_e32 vcc, s22, v40
	s_and_saveexec_b64 s[20:21], vcc
	s_cbranch_execnz .LBB502_381
.LBB502_356:                            ;   in Loop: Header=BB502_346 Depth=2
	s_or_b64 exec, exec, s[20:21]
	v_cmp_gt_u32_e32 vcc, s22, v41
	s_and_saveexec_b64 s[20:21], vcc
	s_cbranch_execz .LBB502_358
.LBB502_357:                            ;   in Loop: Header=BB502_346 Depth=2
	global_load_dword v19, v71, s[18:19]
.LBB502_358:                            ;   in Loop: Header=BB502_346 Depth=2
	s_or_b64 exec, exec, s[20:21]
	s_waitcnt vmcnt(0)
	v_mov_b32_e32 v27, v19
	s_mov_b32 s20, s22
	v_mov_b32_e32 v26, v18
	v_mov_b32_e32 v25, v17
	;; [unrolled: 1-line block ×7, first 2 shown]
.LBB502_359:                            ;   in Loop: Header=BB502_346 Depth=2
	s_waitcnt vmcnt(0)
	v_mov_b32_e32 v12, v20
	v_mov_b32_e32 v13, v21
	;; [unrolled: 1-line block ×8, first 2 shown]
	v_cmp_gt_u32_e32 vcc, s20, v0
	s_and_saveexec_b64 s[18:19], vcc
	s_cbranch_execnz .LBB502_367
; %bb.360:                              ;   in Loop: Header=BB502_346 Depth=2
	s_or_b64 exec, exec, s[18:19]
	v_cmp_gt_u32_e32 vcc, s20, v33
	s_and_saveexec_b64 s[18:19], vcc
	s_cbranch_execnz .LBB502_368
.LBB502_361:                            ;   in Loop: Header=BB502_346 Depth=2
	s_or_b64 exec, exec, s[18:19]
	v_cmp_gt_u32_e32 vcc, s20, v34
	s_and_saveexec_b64 s[18:19], vcc
	s_cbranch_execnz .LBB502_369
.LBB502_362:                            ;   in Loop: Header=BB502_346 Depth=2
	s_or_b64 exec, exec, s[18:19]
	v_cmp_gt_u32_e32 vcc, s20, v35
	s_and_saveexec_b64 s[18:19], vcc
	s_cbranch_execnz .LBB502_370
.LBB502_363:                            ;   in Loop: Header=BB502_346 Depth=2
	s_or_b64 exec, exec, s[18:19]
	v_cmp_gt_u32_e32 vcc, s20, v38
	s_and_saveexec_b64 s[18:19], vcc
	s_cbranch_execnz .LBB502_371
.LBB502_364:                            ;   in Loop: Header=BB502_346 Depth=2
	s_or_b64 exec, exec, s[18:19]
	v_cmp_gt_u32_e32 vcc, s20, v39
	s_and_saveexec_b64 s[18:19], vcc
	s_cbranch_execnz .LBB502_372
.LBB502_365:                            ;   in Loop: Header=BB502_346 Depth=2
	s_or_b64 exec, exec, s[18:19]
	v_cmp_gt_u32_e32 vcc, s20, v40
	s_and_saveexec_b64 s[18:19], vcc
	s_cbranch_execnz .LBB502_373
.LBB502_366:                            ;   in Loop: Header=BB502_346 Depth=2
	s_or_b64 exec, exec, s[18:19]
	v_cmp_gt_u32_e32 vcc, s20, v41
	s_and_saveexec_b64 s[18:19], vcc
	s_cbranch_execz .LBB502_345
	s_branch .LBB502_374
.LBB502_367:                            ;   in Loop: Header=BB502_346 Depth=2
	v_xor_b32_e32 v4, 0x7fffffff, v12
	v_lshrrev_b32_e32 v4, s77, v4
	v_and_b32_e32 v4, s62, v4
	v_lshl_or_b32 v4, v4, 4, v42
	ds_add_u32 v4, v66
	s_or_b64 exec, exec, s[18:19]
	v_cmp_gt_u32_e32 vcc, s20, v33
	s_and_saveexec_b64 s[18:19], vcc
	s_cbranch_execz .LBB502_361
.LBB502_368:                            ;   in Loop: Header=BB502_346 Depth=2
	v_xor_b32_e32 v4, 0x7fffffff, v13
	v_lshrrev_b32_e32 v4, s77, v4
	v_and_b32_e32 v4, s62, v4
	v_lshl_or_b32 v4, v4, 4, v42
	ds_add_u32 v4, v66
	s_or_b64 exec, exec, s[18:19]
	v_cmp_gt_u32_e32 vcc, s20, v34
	s_and_saveexec_b64 s[18:19], vcc
	s_cbranch_execz .LBB502_362
.LBB502_369:                            ;   in Loop: Header=BB502_346 Depth=2
	v_xor_b32_e32 v4, 0x7fffffff, v14
	v_lshrrev_b32_e32 v4, s77, v4
	v_and_b32_e32 v4, s62, v4
	v_lshl_or_b32 v4, v4, 4, v42
	ds_add_u32 v4, v66
	s_or_b64 exec, exec, s[18:19]
	v_cmp_gt_u32_e32 vcc, s20, v35
	s_and_saveexec_b64 s[18:19], vcc
	s_cbranch_execz .LBB502_363
.LBB502_370:                            ;   in Loop: Header=BB502_346 Depth=2
	v_xor_b32_e32 v4, 0x7fffffff, v15
	v_lshrrev_b32_e32 v4, s77, v4
	v_and_b32_e32 v4, s62, v4
	v_lshl_or_b32 v4, v4, 4, v42
	ds_add_u32 v4, v66
	s_or_b64 exec, exec, s[18:19]
	v_cmp_gt_u32_e32 vcc, s20, v38
	s_and_saveexec_b64 s[18:19], vcc
	s_cbranch_execz .LBB502_364
.LBB502_371:                            ;   in Loop: Header=BB502_346 Depth=2
	v_xor_b32_e32 v4, 0x7fffffff, v16
	v_lshrrev_b32_e32 v4, s77, v4
	v_and_b32_e32 v4, s62, v4
	v_lshl_or_b32 v4, v4, 4, v42
	ds_add_u32 v4, v66
	s_or_b64 exec, exec, s[18:19]
	v_cmp_gt_u32_e32 vcc, s20, v39
	s_and_saveexec_b64 s[18:19], vcc
	s_cbranch_execz .LBB502_365
.LBB502_372:                            ;   in Loop: Header=BB502_346 Depth=2
	v_xor_b32_e32 v4, 0x7fffffff, v17
	v_lshrrev_b32_e32 v4, s77, v4
	v_and_b32_e32 v4, s62, v4
	v_lshl_or_b32 v4, v4, 4, v42
	ds_add_u32 v4, v66
	s_or_b64 exec, exec, s[18:19]
	v_cmp_gt_u32_e32 vcc, s20, v40
	s_and_saveexec_b64 s[18:19], vcc
	s_cbranch_execz .LBB502_366
.LBB502_373:                            ;   in Loop: Header=BB502_346 Depth=2
	v_xor_b32_e32 v4, 0x7fffffff, v18
	v_lshrrev_b32_e32 v4, s77, v4
	v_and_b32_e32 v4, s62, v4
	v_lshl_or_b32 v4, v4, 4, v42
	ds_add_u32 v4, v66
	s_or_b64 exec, exec, s[18:19]
	v_cmp_gt_u32_e32 vcc, s20, v41
	s_and_saveexec_b64 s[18:19], vcc
	s_cbranch_execz .LBB502_345
.LBB502_374:                            ;   in Loop: Header=BB502_346 Depth=2
	v_xor_b32_e32 v4, 0x7fffffff, v19
	v_lshrrev_b32_e32 v4, s77, v4
	v_and_b32_e32 v4, s62, v4
	v_lshl_or_b32 v4, v4, 4, v42
	ds_add_u32 v4, v66
	s_branch .LBB502_345
.LBB502_375:                            ;   in Loop: Header=BB502_346 Depth=2
	global_load_dword v12, v67, s[18:19]
	s_or_b64 exec, exec, s[20:21]
	v_cmp_gt_u32_e32 vcc, s22, v33
	s_and_saveexec_b64 s[20:21], vcc
	s_cbranch_execz .LBB502_351
.LBB502_376:                            ;   in Loop: Header=BB502_346 Depth=2
	global_load_dword v13, v67, s[18:19] offset:1024
	s_or_b64 exec, exec, s[20:21]
	v_cmp_gt_u32_e32 vcc, s22, v34
	s_and_saveexec_b64 s[20:21], vcc
	s_cbranch_execz .LBB502_352
.LBB502_377:                            ;   in Loop: Header=BB502_346 Depth=2
	global_load_dword v14, v67, s[18:19] offset:2048
	s_or_b64 exec, exec, s[20:21]
	v_cmp_gt_u32_e32 vcc, s22, v35
	s_and_saveexec_b64 s[20:21], vcc
	s_cbranch_execz .LBB502_353
.LBB502_378:                            ;   in Loop: Header=BB502_346 Depth=2
	global_load_dword v15, v67, s[18:19] offset:3072
	s_or_b64 exec, exec, s[20:21]
	v_cmp_gt_u32_e32 vcc, s22, v38
	s_and_saveexec_b64 s[20:21], vcc
	s_cbranch_execz .LBB502_354
.LBB502_379:                            ;   in Loop: Header=BB502_346 Depth=2
	global_load_dword v16, v68, s[18:19]
	s_or_b64 exec, exec, s[20:21]
	v_cmp_gt_u32_e32 vcc, s22, v39
	s_and_saveexec_b64 s[20:21], vcc
	s_cbranch_execz .LBB502_355
.LBB502_380:                            ;   in Loop: Header=BB502_346 Depth=2
	global_load_dword v17, v69, s[18:19]
	s_or_b64 exec, exec, s[20:21]
	v_cmp_gt_u32_e32 vcc, s22, v40
	s_and_saveexec_b64 s[20:21], vcc
	s_cbranch_execz .LBB502_356
.LBB502_381:                            ;   in Loop: Header=BB502_346 Depth=2
	global_load_dword v18, v70, s[18:19]
	s_or_b64 exec, exec, s[20:21]
	v_cmp_gt_u32_e32 vcc, s22, v41
	s_and_saveexec_b64 s[20:21], vcc
	s_cbranch_execnz .LBB502_357
	s_branch .LBB502_358
.LBB502_382:                            ;   in Loop: Header=BB502_12 Depth=1
	v_mov_b32_e32 v4, 0
	s_waitcnt lgkmcnt(0)
	s_barrier
	s_and_saveexec_b64 s[18:19], s[4:5]
	s_cbranch_execz .LBB502_384
; %bb.383:                              ;   in Loop: Header=BB502_12 Depth=1
	ds_read2_b64 v[4:7], v43 offset1:1
	s_waitcnt lgkmcnt(0)
	v_add_u32_e32 v4, v5, v4
	v_add3_u32 v4, v4, v6, v7
.LBB502_384:                            ;   in Loop: Header=BB502_12 Depth=1
	s_or_b64 exec, exec, s[18:19]
	s_nop 0
	v_mov_b32_dpp v5, v4 row_shr:1 row_mask:0xf bank_mask:0xf
	v_cmp_eq_u32_e64 s[18:19], 0, v73
	v_cndmask_b32_e64 v5, v5, 0, s[18:19]
	v_add_u32_e32 v4, v5, v4
	v_cmp_lt_u32_e64 s[20:21], 1, v73
	v_cmp_lt_u32_e64 s[22:23], 3, v73
	v_mov_b32_dpp v5, v4 row_shr:2 row_mask:0xf bank_mask:0xf
	v_cndmask_b32_e64 v5, 0, v5, s[20:21]
	v_add_u32_e32 v4, v4, v5
	v_cmp_lt_u32_e64 s[24:25], 7, v73
	v_cmp_lt_u32_e64 s[28:29], 31, v72
	v_mov_b32_dpp v5, v4 row_shr:4 row_mask:0xf bank_mask:0xf
	v_cndmask_b32_e64 v5, 0, v5, s[22:23]
	v_add_u32_e32 v4, v4, v5
	v_cmp_eq_u32_e64 s[26:27], 0, v75
	s_nop 0
	v_mov_b32_dpp v5, v4 row_shr:8 row_mask:0xf bank_mask:0xf
	v_cndmask_b32_e64 v5, 0, v5, s[24:25]
	v_add_u32_e32 v4, v4, v5
	s_nop 1
	v_mov_b32_dpp v5, v4 row_bcast:15 row_mask:0xf bank_mask:0xf
	v_and_b32_e32 v5, v74, v5
	v_add_u32_e32 v4, v4, v5
	s_nop 1
	v_mov_b32_dpp v5, v4 row_bcast:31 row_mask:0xf bank_mask:0xf
	v_cndmask_b32_e64 v5, 0, v5, s[28:29]
	v_add_u32_e32 v4, v4, v5
	s_and_saveexec_b64 s[30:31], s[8:9]
; %bb.385:                              ;   in Loop: Header=BB502_12 Depth=1
	ds_write_b32 v45, v4
; %bb.386:                              ;   in Loop: Header=BB502_12 Depth=1
	s_or_b64 exec, exec, s[30:31]
	s_waitcnt lgkmcnt(0)
	s_barrier
	s_and_saveexec_b64 s[30:31], s[10:11]
	s_cbranch_execz .LBB502_388
; %bb.387:                              ;   in Loop: Header=BB502_12 Depth=1
	ds_read_b32 v5, v46
	v_cmp_ne_u32_e32 vcc, 0, v76
	s_waitcnt lgkmcnt(0)
	v_mov_b32_dpp v6, v5 row_shr:1 row_mask:0xf bank_mask:0xf
	v_cndmask_b32_e32 v6, 0, v6, vcc
	v_add_u32_e32 v5, v6, v5
	v_cmp_lt_u32_e32 vcc, 1, v76
	s_nop 0
	v_mov_b32_dpp v6, v5 row_shr:2 row_mask:0xf bank_mask:0xf
	v_cndmask_b32_e32 v6, 0, v6, vcc
	v_add_u32_e32 v5, v5, v6
	ds_write_b32 v46, v5
.LBB502_388:                            ;   in Loop: Header=BB502_12 Depth=1
	s_or_b64 exec, exec, s[30:31]
	v_mov_b32_e32 v5, 0
	s_waitcnt lgkmcnt(0)
	s_barrier
	s_and_saveexec_b64 s[30:31], s[12:13]
; %bb.389:                              ;   in Loop: Header=BB502_12 Depth=1
	ds_read_b32 v5, v47
; %bb.390:                              ;   in Loop: Header=BB502_12 Depth=1
	s_or_b64 exec, exec, s[30:31]
	v_subrev_co_u32_e64 v6, s[30:31], 1, v72
	v_cmp_lt_i32_e32 vcc, v6, v77
	v_cndmask_b32_e32 v6, v6, v72, vcc
	s_waitcnt lgkmcnt(0)
	v_add_u32_e32 v4, v5, v4
	v_lshlrev_b32_e32 v84, 2, v6
	ds_bpermute_b32 v4, v84, v4
	s_waitcnt lgkmcnt(0)
	s_barrier
	s_and_saveexec_b64 s[34:35], s[4:5]
; %bb.391:                              ;   in Loop: Header=BB502_12 Depth=1
	v_cndmask_b32_e64 v4, v4, v5, s[30:31]
	v_add_u32_e32 v4, s63, v4
	ds_write_b32 v32, v4
; %bb.392:                              ;   in Loop: Header=BB502_12 Depth=1
	s_or_b64 exec, exec, s[34:35]
	s_load_dwordx2 s[34:35], s[56:57], 0x0
	v_add_co_u32_e32 v85, vcc, v62, v79
	v_addc_co_u32_e32 v86, vcc, 0, v63, vcc
	s_waitcnt lgkmcnt(0)
	s_cmp_lt_u32 s33, s35
	s_cselect_b32 s35, 14, 20
	s_add_u32 s36, s56, s35
	s_addc_u32 s37, s57, 0
	s_cmp_lt_u32 s6, s34
	s_cselect_b32 s34, 12, 18
	s_add_u32 s34, s56, s34
	global_load_ushort v4, v3, s[36:37]
	s_addc_u32 s35, s57, 0
	global_load_ushort v12, v3, s[34:35]
	v_lshlrev_b32_e32 v14, 2, v78
	v_add_co_u32_e32 v98, vcc, v64, v14
	v_cmp_eq_u32_e64 s[34:35], 0, v76
	v_cmp_lt_u32_e64 s[36:37], 1, v76
	v_or_b32_e32 v87, 0x100, v80
	v_or_b32_e32 v88, 0x140, v80
	v_or_b32_e32 v89, 0x180, v80
	v_or_b32_e32 v90, 0x1c0, v80
	s_mov_b32 s70, s79
	v_addc_co_u32_e32 v100, vcc, 0, v65, vcc
	s_mov_b32 s58, s63
                                        ; implicit-def: $vgpr5_vgpr6
                                        ; implicit-def: $vgpr7_vgpr8
                                        ; implicit-def: $vgpr9_vgpr10
                                        ; implicit-def: $vgpr20_vgpr21
                                        ; implicit-def: $vgpr22_vgpr23
                                        ; implicit-def: $vgpr24_vgpr25
                                        ; implicit-def: $vgpr26_vgpr27
                                        ; implicit-def: $vgpr28_vgpr29
                                        ; implicit-def: $vgpr91
                                        ; implicit-def: $vgpr92
                                        ; implicit-def: $vgpr93
                                        ; implicit-def: $vgpr94
                                        ; implicit-def: $vgpr95
                                        ; implicit-def: $vgpr96
                                        ; implicit-def: $vgpr97
                                        ; implicit-def: $vgpr99
	s_waitcnt vmcnt(1)
	v_mad_u32_u24 v4, v2, v4, v1
	s_waitcnt vmcnt(0)
	v_mad_u64_u32 v[12:13], s[38:39], v4, v12, v[0:1]
	v_lshrrev_b32_e32 v4, 4, v12
	v_and_b32_e32 v101, 0xffffffc, v4
	s_branch .LBB502_394
.LBB502_393:                            ;   in Loop: Header=BB502_394 Depth=2
	s_or_b64 exec, exec, s[38:39]
	s_addk_i32 s70, 0xf800
	s_cmp_lt_u32 s71, s80
	s_mov_b32 s58, s71
	s_cbranch_scc0 .LBB502_506
.LBB502_394:                            ;   Parent Loop BB502_12 Depth=1
                                        ; =>  This Inner Loop Header: Depth=2
	s_add_i32 s71, s58, 0x800
	s_cmp_gt_u32 s71, s80
	s_cbranch_scc1 .LBB502_396
; %bb.395:                              ;   in Loop: Header=BB502_394 Depth=2
	s_lshl_b64 s[38:39], s[58:59], 2
	v_mov_b32_e32 v4, s39
	v_add_co_u32_e32 v18, vcc, s38, v98
	v_addc_co_u32_e32 v19, vcc, v100, v4, vcc
	global_load_dword v12, v[18:19], off
	global_load_dword v13, v[18:19], off offset:256
	global_load_dword v14, v[18:19], off offset:512
	;; [unrolled: 1-line block ×5, first 2 shown]
	s_nop 0
	global_load_dword v18, v[18:19], off offset:1536
	s_mov_b64 s[38:39], -1
	s_movk_i32 s42, 0x800
	s_cbranch_execz .LBB502_397
	s_branch .LBB502_406
.LBB502_396:                            ;   in Loop: Header=BB502_394 Depth=2
	s_mov_b64 s[38:39], 0
                                        ; implicit-def: $vgpr12_vgpr13_vgpr14_vgpr15_vgpr16_vgpr17_vgpr18_vgpr19
	s_movk_i32 s42, 0x800
.LBB502_397:                            ;   in Loop: Header=BB502_394 Depth=2
	s_lshl_b64 s[38:39], s[58:59], 2
	v_mov_b32_e32 v4, s39
	v_add_co_u32_e32 v30, vcc, s38, v98
	s_waitcnt vmcnt(6)
	v_mov_b32_e32 v12, v11
	s_waitcnt vmcnt(5)
	v_mov_b32_e32 v13, v11
	s_waitcnt vmcnt(4)
	v_mov_b32_e32 v14, v11
	s_waitcnt vmcnt(3)
	v_mov_b32_e32 v15, v11
	s_waitcnt vmcnt(2)
	v_mov_b32_e32 v16, v11
	s_waitcnt vmcnt(1)
	v_mov_b32_e32 v17, v11
	s_waitcnt vmcnt(0)
	v_mov_b32_e32 v18, v11
	v_addc_co_u32_e32 v31, vcc, v100, v4, vcc
	v_mov_b32_e32 v19, v18
	v_cmp_gt_u32_e32 vcc, s70, v80
	v_mov_b32_e32 v18, v17
	v_mov_b32_e32 v17, v16
	;; [unrolled: 1-line block ×7, first 2 shown]
	s_and_saveexec_b64 s[38:39], vcc
	s_cbranch_execnz .LBB502_500
; %bb.398:                              ;   in Loop: Header=BB502_394 Depth=2
	s_or_b64 exec, exec, s[38:39]
	v_cmp_gt_u32_e32 vcc, s70, v81
	s_and_saveexec_b64 s[38:39], vcc
	s_cbranch_execnz .LBB502_501
.LBB502_399:                            ;   in Loop: Header=BB502_394 Depth=2
	s_or_b64 exec, exec, s[38:39]
	v_cmp_gt_u32_e32 vcc, s70, v82
	s_and_saveexec_b64 s[38:39], vcc
	s_cbranch_execnz .LBB502_502
.LBB502_400:                            ;   in Loop: Header=BB502_394 Depth=2
	s_or_b64 exec, exec, s[38:39]
	v_cmp_gt_u32_e32 vcc, s70, v83
	s_and_saveexec_b64 s[38:39], vcc
	s_cbranch_execnz .LBB502_503
.LBB502_401:                            ;   in Loop: Header=BB502_394 Depth=2
	s_or_b64 exec, exec, s[38:39]
	v_cmp_gt_u32_e32 vcc, s70, v87
	s_and_saveexec_b64 s[38:39], vcc
	s_cbranch_execnz .LBB502_504
.LBB502_402:                            ;   in Loop: Header=BB502_394 Depth=2
	s_or_b64 exec, exec, s[38:39]
	v_cmp_gt_u32_e32 vcc, s70, v88
	s_and_saveexec_b64 s[38:39], vcc
	s_cbranch_execnz .LBB502_505
.LBB502_403:                            ;   in Loop: Header=BB502_394 Depth=2
	s_or_b64 exec, exec, s[38:39]
	v_cmp_gt_u32_e32 vcc, s70, v89
	s_and_saveexec_b64 s[38:39], vcc
	s_cbranch_execz .LBB502_405
.LBB502_404:                            ;   in Loop: Header=BB502_394 Depth=2
	global_load_dword v18, v[30:31], off offset:1536
.LBB502_405:                            ;   in Loop: Header=BB502_394 Depth=2
	s_or_b64 exec, exec, s[38:39]
	s_sub_i32 s42, s80, s58
	v_cmp_gt_u32_e64 s[38:39], s70, v90
.LBB502_406:                            ;   in Loop: Header=BB502_394 Depth=2
	v_mov_b32_e32 v102, s70
	s_and_saveexec_b64 s[40:41], s[38:39]
	s_cbranch_execz .LBB502_408
; %bb.407:                              ;   in Loop: Header=BB502_394 Depth=2
	s_lshl_b64 s[38:39], s[58:59], 2
	v_mov_b32_e32 v4, s39
	v_add_co_u32_e32 v30, vcc, s38, v98
	v_addc_co_u32_e32 v31, vcc, v100, v4, vcc
	global_load_dword v19, v[30:31], off offset:1792
	v_mov_b32_e32 v102, s42
.LBB502_408:                            ;   in Loop: Header=BB502_394 Depth=2
	s_or_b64 exec, exec, s[40:41]
	s_waitcnt vmcnt(0)
	v_xor_b32_e32 v103, 0x7fffffff, v12
	v_lshrrev_b32_e32 v4, s77, v103
	v_and_b32_e32 v12, s62, v4
	v_and_b32_e32 v4, 1, v12
	v_add_co_u32_e32 v30, vcc, -1, v4
	v_addc_co_u32_e64 v31, s[38:39], 0, -1, vcc
	v_cmp_ne_u32_e32 vcc, 0, v4
	v_xor_b32_e32 v4, vcc_hi, v31
	v_and_b32_e32 v31, exec_hi, v4
	v_lshlrev_b32_e32 v4, 30, v12
	v_xor_b32_e32 v30, vcc_lo, v30
	v_cmp_gt_i64_e32 vcc, 0, v[3:4]
	v_not_b32_e32 v4, v4
	v_ashrrev_i32_e32 v4, 31, v4
	v_and_b32_e32 v30, exec_lo, v30
	v_xor_b32_e32 v106, vcc_hi, v4
	v_xor_b32_e32 v4, vcc_lo, v4
	v_and_b32_e32 v30, v30, v4
	v_lshlrev_b32_e32 v4, 29, v12
	v_cmp_gt_i64_e32 vcc, 0, v[3:4]
	v_not_b32_e32 v4, v4
	v_ashrrev_i32_e32 v4, 31, v4
	v_and_b32_e32 v31, v31, v106
	v_xor_b32_e32 v106, vcc_hi, v4
	v_xor_b32_e32 v4, vcc_lo, v4
	v_and_b32_e32 v30, v30, v4
	v_lshlrev_b32_e32 v4, 28, v12
	v_cmp_gt_i64_e32 vcc, 0, v[3:4]
	v_not_b32_e32 v4, v4
	v_ashrrev_i32_e32 v4, 31, v4
	v_and_b32_e32 v31, v31, v106
	v_xor_b32_e32 v106, vcc_hi, v4
	v_xor_b32_e32 v4, vcc_lo, v4
	v_and_b32_e32 v30, v30, v4
	v_lshlrev_b32_e32 v4, 27, v12
	v_cmp_gt_i64_e32 vcc, 0, v[3:4]
	v_not_b32_e32 v4, v4
	v_ashrrev_i32_e32 v4, 31, v4
	v_and_b32_e32 v31, v31, v106
	v_xor_b32_e32 v106, vcc_hi, v4
	v_xor_b32_e32 v4, vcc_lo, v4
	v_and_b32_e32 v30, v30, v4
	v_lshlrev_b32_e32 v4, 26, v12
	v_cmp_gt_i64_e32 vcc, 0, v[3:4]
	v_not_b32_e32 v4, v4
	v_ashrrev_i32_e32 v4, 31, v4
	v_and_b32_e32 v31, v31, v106
	v_xor_b32_e32 v106, vcc_hi, v4
	v_xor_b32_e32 v4, vcc_lo, v4
	v_and_b32_e32 v30, v30, v4
	v_lshlrev_b32_e32 v4, 25, v12
	v_cmp_gt_i64_e32 vcc, 0, v[3:4]
	v_not_b32_e32 v4, v4
	v_ashrrev_i32_e32 v4, 31, v4
	v_and_b32_e32 v31, v31, v106
	v_xor_b32_e32 v106, vcc_hi, v4
	v_xor_b32_e32 v4, vcc_lo, v4
	v_and_b32_e32 v30, v30, v4
	v_lshlrev_b32_e32 v4, 24, v12
	v_cmp_gt_i64_e32 vcc, 0, v[3:4]
	v_not_b32_e32 v4, v4
	v_ashrrev_i32_e32 v4, 31, v4
	v_mul_u32_u24_e32 v107, 20, v12
	v_xor_b32_e32 v12, vcc_hi, v4
	v_xor_b32_e32 v4, vcc_lo, v4
	v_and_b32_e32 v31, v31, v106
	v_and_b32_e32 v30, v30, v4
	;; [unrolled: 1-line block ×3, first 2 shown]
	v_mbcnt_lo_u32_b32 v4, v30, 0
	v_mbcnt_hi_u32_b32 v106, v31, v4
	v_cmp_ne_u64_e32 vcc, 0, v[30:31]
	v_cmp_eq_u32_e64 s[38:39], 0, v106
	v_add_u32_e32 v105, 0x410, v48
	v_add_u32_e32 v104, 0x418, v48
	s_and_b64 s[40:41], vcc, s[38:39]
	v_add_u32_e32 v107, v101, v107
	ds_write2_b32 v105, v3, v3 offset1:1
	ds_write2_b32 v104, v3, v3 offset1:1
	ds_write_b32 v48, v3 offset:1056
	s_waitcnt lgkmcnt(0)
	s_barrier
	; wave barrier
	s_and_saveexec_b64 s[38:39], s[40:41]
; %bb.409:                              ;   in Loop: Header=BB502_394 Depth=2
	v_bcnt_u32_b32 v4, v30, 0
	v_bcnt_u32_b32 v4, v31, v4
	ds_write_b32 v107, v4 offset:1040
; %bb.410:                              ;   in Loop: Header=BB502_394 Depth=2
	s_or_b64 exec, exec, s[38:39]
	v_xor_b32_e32 v30, 0x7fffffff, v13
	v_lshrrev_b32_e32 v4, s77, v30
	v_and_b32_e32 v12, s62, v4
	v_mad_u32_u24 v4, v12, 20, v101
	; wave barrier
	ds_read_b32 v31, v4 offset:1040
	v_and_b32_e32 v4, 1, v12
	v_add_co_u32_e32 v13, vcc, -1, v4
	v_addc_co_u32_e64 v108, s[38:39], 0, -1, vcc
	v_cmp_ne_u32_e32 vcc, 0, v4
	v_xor_b32_e32 v4, vcc_hi, v108
	v_and_b32_e32 v108, exec_hi, v4
	v_lshlrev_b32_e32 v4, 30, v12
	v_xor_b32_e32 v13, vcc_lo, v13
	v_cmp_gt_i64_e32 vcc, 0, v[3:4]
	v_not_b32_e32 v4, v4
	v_ashrrev_i32_e32 v4, 31, v4
	v_and_b32_e32 v13, exec_lo, v13
	v_xor_b32_e32 v110, vcc_hi, v4
	v_xor_b32_e32 v4, vcc_lo, v4
	v_and_b32_e32 v13, v13, v4
	v_lshlrev_b32_e32 v4, 29, v12
	v_cmp_gt_i64_e32 vcc, 0, v[3:4]
	v_not_b32_e32 v4, v4
	v_ashrrev_i32_e32 v4, 31, v4
	v_and_b32_e32 v108, v108, v110
	v_xor_b32_e32 v110, vcc_hi, v4
	v_xor_b32_e32 v4, vcc_lo, v4
	v_and_b32_e32 v13, v13, v4
	v_lshlrev_b32_e32 v4, 28, v12
	v_cmp_gt_i64_e32 vcc, 0, v[3:4]
	v_not_b32_e32 v4, v4
	v_ashrrev_i32_e32 v4, 31, v4
	v_and_b32_e32 v108, v108, v110
	;; [unrolled: 8-line block ×5, first 2 shown]
	v_xor_b32_e32 v110, vcc_hi, v4
	v_xor_b32_e32 v4, vcc_lo, v4
	v_and_b32_e32 v108, v108, v110
	v_and_b32_e32 v110, v13, v4
	v_lshlrev_b32_e32 v4, 24, v12
	v_cmp_gt_i64_e32 vcc, 0, v[3:4]
	v_not_b32_e32 v4, v4
	v_ashrrev_i32_e32 v4, 31, v4
	v_mul_u32_u24_e32 v109, 20, v12
	v_xor_b32_e32 v12, vcc_hi, v4
	v_xor_b32_e32 v4, vcc_lo, v4
	v_and_b32_e32 v13, v108, v12
	v_and_b32_e32 v12, v110, v4
	v_mbcnt_lo_u32_b32 v4, v12, 0
	v_mbcnt_hi_u32_b32 v108, v13, v4
	v_cmp_ne_u64_e32 vcc, 0, v[12:13]
	v_cmp_eq_u32_e64 s[38:39], 0, v108
	s_and_b64 s[40:41], vcc, s[38:39]
	v_add_u32_e32 v111, v101, v109
	; wave barrier
	s_and_saveexec_b64 s[38:39], s[40:41]
	s_cbranch_execz .LBB502_412
; %bb.411:                              ;   in Loop: Header=BB502_394 Depth=2
	v_bcnt_u32_b32 v4, v12, 0
	v_bcnt_u32_b32 v4, v13, v4
	s_waitcnt lgkmcnt(0)
	v_add_u32_e32 v4, v31, v4
	ds_write_b32 v111, v4 offset:1040
.LBB502_412:                            ;   in Loop: Header=BB502_394 Depth=2
	s_or_b64 exec, exec, s[38:39]
	v_xor_b32_e32 v109, 0x7fffffff, v14
	v_lshrrev_b32_e32 v4, s77, v109
	v_and_b32_e32 v12, s62, v4
	v_mad_u32_u24 v4, v12, 20, v101
	; wave barrier
	ds_read_b32 v110, v4 offset:1040
	v_and_b32_e32 v4, 1, v12
	v_add_co_u32_e32 v13, vcc, -1, v4
	v_addc_co_u32_e64 v112, s[38:39], 0, -1, vcc
	v_cmp_ne_u32_e32 vcc, 0, v4
	v_xor_b32_e32 v4, vcc_hi, v112
	v_and_b32_e32 v112, exec_hi, v4
	v_lshlrev_b32_e32 v4, 30, v12
	v_xor_b32_e32 v13, vcc_lo, v13
	v_cmp_gt_i64_e32 vcc, 0, v[3:4]
	v_not_b32_e32 v4, v4
	v_ashrrev_i32_e32 v4, 31, v4
	v_and_b32_e32 v13, exec_lo, v13
	v_xor_b32_e32 v113, vcc_hi, v4
	v_xor_b32_e32 v4, vcc_lo, v4
	v_and_b32_e32 v13, v13, v4
	v_lshlrev_b32_e32 v4, 29, v12
	v_cmp_gt_i64_e32 vcc, 0, v[3:4]
	v_not_b32_e32 v4, v4
	v_ashrrev_i32_e32 v4, 31, v4
	v_and_b32_e32 v112, v112, v113
	v_xor_b32_e32 v113, vcc_hi, v4
	v_xor_b32_e32 v4, vcc_lo, v4
	v_and_b32_e32 v13, v13, v4
	v_lshlrev_b32_e32 v4, 28, v12
	v_cmp_gt_i64_e32 vcc, 0, v[3:4]
	v_not_b32_e32 v4, v4
	v_ashrrev_i32_e32 v4, 31, v4
	v_and_b32_e32 v112, v112, v113
	;; [unrolled: 8-line block ×5, first 2 shown]
	v_xor_b32_e32 v113, vcc_hi, v4
	v_xor_b32_e32 v4, vcc_lo, v4
	v_and_b32_e32 v112, v112, v113
	v_and_b32_e32 v113, v13, v4
	v_lshlrev_b32_e32 v4, 24, v12
	v_cmp_gt_i64_e32 vcc, 0, v[3:4]
	v_not_b32_e32 v4, v4
	v_ashrrev_i32_e32 v4, 31, v4
	v_mul_u32_u24_e32 v14, 20, v12
	v_xor_b32_e32 v12, vcc_hi, v4
	v_xor_b32_e32 v4, vcc_lo, v4
	v_and_b32_e32 v13, v112, v12
	v_and_b32_e32 v12, v113, v4
	v_mbcnt_lo_u32_b32 v4, v12, 0
	v_mbcnt_hi_u32_b32 v112, v13, v4
	v_cmp_ne_u64_e32 vcc, 0, v[12:13]
	v_cmp_eq_u32_e64 s[38:39], 0, v112
	s_and_b64 s[40:41], vcc, s[38:39]
	v_add_u32_e32 v115, v101, v14
	; wave barrier
	s_and_saveexec_b64 s[38:39], s[40:41]
	s_cbranch_execz .LBB502_414
; %bb.413:                              ;   in Loop: Header=BB502_394 Depth=2
	v_bcnt_u32_b32 v4, v12, 0
	v_bcnt_u32_b32 v4, v13, v4
	s_waitcnt lgkmcnt(0)
	v_add_u32_e32 v4, v110, v4
	ds_write_b32 v115, v4 offset:1040
.LBB502_414:                            ;   in Loop: Header=BB502_394 Depth=2
	s_or_b64 exec, exec, s[38:39]
	v_xor_b32_e32 v113, 0x7fffffff, v15
	v_lshrrev_b32_e32 v4, s77, v113
	v_and_b32_e32 v12, s62, v4
	v_mad_u32_u24 v4, v12, 20, v101
	; wave barrier
	ds_read_b32 v114, v4 offset:1040
	v_and_b32_e32 v4, 1, v12
	v_add_co_u32_e32 v13, vcc, -1, v4
	v_addc_co_u32_e64 v15, s[38:39], 0, -1, vcc
	v_cmp_ne_u32_e32 vcc, 0, v4
	v_xor_b32_e32 v4, vcc_hi, v15
	v_and_b32_e32 v15, exec_hi, v4
	v_lshlrev_b32_e32 v4, 30, v12
	v_xor_b32_e32 v13, vcc_lo, v13
	v_cmp_gt_i64_e32 vcc, 0, v[3:4]
	v_not_b32_e32 v4, v4
	v_ashrrev_i32_e32 v4, 31, v4
	v_and_b32_e32 v13, exec_lo, v13
	v_xor_b32_e32 v116, vcc_hi, v4
	v_xor_b32_e32 v4, vcc_lo, v4
	v_and_b32_e32 v13, v13, v4
	v_lshlrev_b32_e32 v4, 29, v12
	v_cmp_gt_i64_e32 vcc, 0, v[3:4]
	v_not_b32_e32 v4, v4
	v_ashrrev_i32_e32 v4, 31, v4
	v_and_b32_e32 v15, v15, v116
	v_xor_b32_e32 v116, vcc_hi, v4
	v_xor_b32_e32 v4, vcc_lo, v4
	v_and_b32_e32 v13, v13, v4
	v_lshlrev_b32_e32 v4, 28, v12
	v_cmp_gt_i64_e32 vcc, 0, v[3:4]
	v_not_b32_e32 v4, v4
	v_ashrrev_i32_e32 v4, 31, v4
	v_and_b32_e32 v15, v15, v116
	;; [unrolled: 8-line block ×5, first 2 shown]
	v_xor_b32_e32 v116, vcc_hi, v4
	v_xor_b32_e32 v4, vcc_lo, v4
	v_and_b32_e32 v15, v15, v116
	v_and_b32_e32 v116, v13, v4
	v_lshlrev_b32_e32 v4, 24, v12
	v_cmp_gt_i64_e32 vcc, 0, v[3:4]
	v_not_b32_e32 v4, v4
	v_ashrrev_i32_e32 v4, 31, v4
	v_mul_u32_u24_e32 v14, 20, v12
	v_xor_b32_e32 v12, vcc_hi, v4
	v_xor_b32_e32 v4, vcc_lo, v4
	v_and_b32_e32 v13, v15, v12
	v_and_b32_e32 v12, v116, v4
	v_mbcnt_lo_u32_b32 v4, v12, 0
	v_mbcnt_hi_u32_b32 v116, v13, v4
	v_cmp_ne_u64_e32 vcc, 0, v[12:13]
	v_cmp_eq_u32_e64 s[38:39], 0, v116
	s_and_b64 s[40:41], vcc, s[38:39]
	v_add_u32_e32 v118, v101, v14
	; wave barrier
	s_and_saveexec_b64 s[38:39], s[40:41]
	s_cbranch_execz .LBB502_416
; %bb.415:                              ;   in Loop: Header=BB502_394 Depth=2
	v_bcnt_u32_b32 v4, v12, 0
	v_bcnt_u32_b32 v4, v13, v4
	s_waitcnt lgkmcnt(0)
	v_add_u32_e32 v4, v114, v4
	ds_write_b32 v118, v4 offset:1040
.LBB502_416:                            ;   in Loop: Header=BB502_394 Depth=2
	s_or_b64 exec, exec, s[38:39]
	v_xor_b32_e32 v16, 0x7fffffff, v16
	v_lshrrev_b32_e32 v4, s77, v16
	v_and_b32_e32 v12, s62, v4
	v_mad_u32_u24 v4, v12, 20, v101
	; wave barrier
	ds_read_b32 v117, v4 offset:1040
	v_and_b32_e32 v4, 1, v12
	v_add_co_u32_e32 v13, vcc, -1, v4
	v_addc_co_u32_e64 v15, s[38:39], 0, -1, vcc
	v_cmp_ne_u32_e32 vcc, 0, v4
	v_xor_b32_e32 v4, vcc_hi, v15
	v_and_b32_e32 v15, exec_hi, v4
	v_lshlrev_b32_e32 v4, 30, v12
	v_xor_b32_e32 v13, vcc_lo, v13
	v_cmp_gt_i64_e32 vcc, 0, v[3:4]
	v_not_b32_e32 v4, v4
	v_ashrrev_i32_e32 v4, 31, v4
	v_and_b32_e32 v13, exec_lo, v13
	v_xor_b32_e32 v119, vcc_hi, v4
	v_xor_b32_e32 v4, vcc_lo, v4
	v_and_b32_e32 v13, v13, v4
	v_lshlrev_b32_e32 v4, 29, v12
	v_cmp_gt_i64_e32 vcc, 0, v[3:4]
	v_not_b32_e32 v4, v4
	v_ashrrev_i32_e32 v4, 31, v4
	v_and_b32_e32 v15, v15, v119
	v_xor_b32_e32 v119, vcc_hi, v4
	v_xor_b32_e32 v4, vcc_lo, v4
	v_and_b32_e32 v13, v13, v4
	v_lshlrev_b32_e32 v4, 28, v12
	v_cmp_gt_i64_e32 vcc, 0, v[3:4]
	v_not_b32_e32 v4, v4
	v_ashrrev_i32_e32 v4, 31, v4
	v_and_b32_e32 v15, v15, v119
	;; [unrolled: 8-line block ×5, first 2 shown]
	v_xor_b32_e32 v119, vcc_hi, v4
	v_xor_b32_e32 v4, vcc_lo, v4
	v_and_b32_e32 v15, v15, v119
	v_and_b32_e32 v119, v13, v4
	v_lshlrev_b32_e32 v4, 24, v12
	v_cmp_gt_i64_e32 vcc, 0, v[3:4]
	v_not_b32_e32 v4, v4
	v_ashrrev_i32_e32 v4, 31, v4
	v_mul_u32_u24_e32 v14, 20, v12
	v_xor_b32_e32 v12, vcc_hi, v4
	v_xor_b32_e32 v4, vcc_lo, v4
	v_and_b32_e32 v13, v15, v12
	v_and_b32_e32 v12, v119, v4
	v_mbcnt_lo_u32_b32 v4, v12, 0
	v_mbcnt_hi_u32_b32 v119, v13, v4
	v_cmp_ne_u64_e32 vcc, 0, v[12:13]
	v_cmp_eq_u32_e64 s[38:39], 0, v119
	s_and_b64 s[40:41], vcc, s[38:39]
	v_add_u32_e32 v121, v101, v14
	; wave barrier
	s_and_saveexec_b64 s[38:39], s[40:41]
	s_cbranch_execz .LBB502_418
; %bb.417:                              ;   in Loop: Header=BB502_394 Depth=2
	v_bcnt_u32_b32 v4, v12, 0
	v_bcnt_u32_b32 v4, v13, v4
	s_waitcnt lgkmcnt(0)
	v_add_u32_e32 v4, v117, v4
	ds_write_b32 v121, v4 offset:1040
.LBB502_418:                            ;   in Loop: Header=BB502_394 Depth=2
	s_or_b64 exec, exec, s[38:39]
	v_xor_b32_e32 v120, 0x7fffffff, v17
	v_lshrrev_b32_e32 v4, s77, v120
	v_and_b32_e32 v12, s62, v4
	v_mad_u32_u24 v4, v12, 20, v101
	; wave barrier
	ds_read_b32 v17, v4 offset:1040
	v_and_b32_e32 v4, 1, v12
	v_add_co_u32_e32 v13, vcc, -1, v4
	v_addc_co_u32_e64 v15, s[38:39], 0, -1, vcc
	v_cmp_ne_u32_e32 vcc, 0, v4
	v_xor_b32_e32 v4, vcc_hi, v15
	v_and_b32_e32 v15, exec_hi, v4
	v_lshlrev_b32_e32 v4, 30, v12
	v_xor_b32_e32 v13, vcc_lo, v13
	v_cmp_gt_i64_e32 vcc, 0, v[3:4]
	v_not_b32_e32 v4, v4
	v_ashrrev_i32_e32 v4, 31, v4
	v_and_b32_e32 v13, exec_lo, v13
	v_xor_b32_e32 v122, vcc_hi, v4
	v_xor_b32_e32 v4, vcc_lo, v4
	v_and_b32_e32 v13, v13, v4
	v_lshlrev_b32_e32 v4, 29, v12
	v_cmp_gt_i64_e32 vcc, 0, v[3:4]
	v_not_b32_e32 v4, v4
	v_ashrrev_i32_e32 v4, 31, v4
	v_and_b32_e32 v15, v15, v122
	v_xor_b32_e32 v122, vcc_hi, v4
	v_xor_b32_e32 v4, vcc_lo, v4
	v_and_b32_e32 v13, v13, v4
	v_lshlrev_b32_e32 v4, 28, v12
	v_cmp_gt_i64_e32 vcc, 0, v[3:4]
	v_not_b32_e32 v4, v4
	v_ashrrev_i32_e32 v4, 31, v4
	v_and_b32_e32 v15, v15, v122
	;; [unrolled: 8-line block ×5, first 2 shown]
	v_xor_b32_e32 v122, vcc_hi, v4
	v_xor_b32_e32 v4, vcc_lo, v4
	v_and_b32_e32 v15, v15, v122
	v_and_b32_e32 v122, v13, v4
	v_lshlrev_b32_e32 v4, 24, v12
	v_cmp_gt_i64_e32 vcc, 0, v[3:4]
	v_not_b32_e32 v4, v4
	v_ashrrev_i32_e32 v4, 31, v4
	v_mul_u32_u24_e32 v14, 20, v12
	v_xor_b32_e32 v12, vcc_hi, v4
	v_xor_b32_e32 v4, vcc_lo, v4
	v_and_b32_e32 v13, v15, v12
	v_and_b32_e32 v12, v122, v4
	v_mbcnt_lo_u32_b32 v4, v12, 0
	v_mbcnt_hi_u32_b32 v122, v13, v4
	v_cmp_ne_u64_e32 vcc, 0, v[12:13]
	v_cmp_eq_u32_e64 s[38:39], 0, v122
	s_and_b64 s[40:41], vcc, s[38:39]
	v_add_u32_e32 v125, v101, v14
	; wave barrier
	s_and_saveexec_b64 s[38:39], s[40:41]
	s_cbranch_execz .LBB502_420
; %bb.419:                              ;   in Loop: Header=BB502_394 Depth=2
	v_bcnt_u32_b32 v4, v12, 0
	v_bcnt_u32_b32 v4, v13, v4
	s_waitcnt lgkmcnt(0)
	v_add_u32_e32 v4, v17, v4
	ds_write_b32 v125, v4 offset:1040
.LBB502_420:                            ;   in Loop: Header=BB502_394 Depth=2
	s_or_b64 exec, exec, s[38:39]
	v_xor_b32_e32 v123, 0x7fffffff, v18
	v_lshrrev_b32_e32 v4, s77, v123
	v_and_b32_e32 v12, s62, v4
	v_mad_u32_u24 v4, v12, 20, v101
	; wave barrier
	ds_read_b32 v124, v4 offset:1040
	v_and_b32_e32 v4, 1, v12
	v_add_co_u32_e32 v13, vcc, -1, v4
	v_addc_co_u32_e64 v15, s[38:39], 0, -1, vcc
	v_cmp_ne_u32_e32 vcc, 0, v4
	v_xor_b32_e32 v4, vcc_hi, v15
	v_and_b32_e32 v15, exec_hi, v4
	v_lshlrev_b32_e32 v4, 30, v12
	v_xor_b32_e32 v13, vcc_lo, v13
	v_cmp_gt_i64_e32 vcc, 0, v[3:4]
	v_not_b32_e32 v4, v4
	v_ashrrev_i32_e32 v4, 31, v4
	v_and_b32_e32 v13, exec_lo, v13
	v_xor_b32_e32 v18, vcc_hi, v4
	v_xor_b32_e32 v4, vcc_lo, v4
	v_and_b32_e32 v13, v13, v4
	v_lshlrev_b32_e32 v4, 29, v12
	v_cmp_gt_i64_e32 vcc, 0, v[3:4]
	v_not_b32_e32 v4, v4
	v_ashrrev_i32_e32 v4, 31, v4
	v_and_b32_e32 v15, v15, v18
	v_xor_b32_e32 v18, vcc_hi, v4
	v_xor_b32_e32 v4, vcc_lo, v4
	v_and_b32_e32 v13, v13, v4
	v_lshlrev_b32_e32 v4, 28, v12
	v_cmp_gt_i64_e32 vcc, 0, v[3:4]
	v_not_b32_e32 v4, v4
	v_ashrrev_i32_e32 v4, 31, v4
	v_and_b32_e32 v15, v15, v18
	;; [unrolled: 8-line block ×5, first 2 shown]
	v_xor_b32_e32 v18, vcc_hi, v4
	v_xor_b32_e32 v4, vcc_lo, v4
	v_and_b32_e32 v15, v15, v18
	v_and_b32_e32 v18, v13, v4
	v_lshlrev_b32_e32 v4, 24, v12
	v_cmp_gt_i64_e32 vcc, 0, v[3:4]
	v_not_b32_e32 v4, v4
	v_ashrrev_i32_e32 v4, 31, v4
	v_mul_u32_u24_e32 v14, 20, v12
	v_xor_b32_e32 v12, vcc_hi, v4
	v_xor_b32_e32 v4, vcc_lo, v4
	v_and_b32_e32 v13, v15, v12
	v_and_b32_e32 v12, v18, v4
	v_mbcnt_lo_u32_b32 v4, v12, 0
	v_mbcnt_hi_u32_b32 v126, v13, v4
	v_cmp_ne_u64_e32 vcc, 0, v[12:13]
	v_cmp_eq_u32_e64 s[38:39], 0, v126
	s_and_b64 s[40:41], vcc, s[38:39]
	v_add_u32_e32 v18, v101, v14
	; wave barrier
	s_and_saveexec_b64 s[38:39], s[40:41]
	s_cbranch_execz .LBB502_422
; %bb.421:                              ;   in Loop: Header=BB502_394 Depth=2
	v_bcnt_u32_b32 v4, v12, 0
	v_bcnt_u32_b32 v4, v13, v4
	s_waitcnt lgkmcnt(0)
	v_add_u32_e32 v4, v124, v4
	ds_write_b32 v18, v4 offset:1040
.LBB502_422:                            ;   in Loop: Header=BB502_394 Depth=2
	s_or_b64 exec, exec, s[38:39]
	v_xor_b32_e32 v127, 0x7fffffff, v19
	v_lshrrev_b32_e32 v4, s77, v127
	v_and_b32_e32 v12, s62, v4
	v_mad_u32_u24 v4, v12, 20, v101
	; wave barrier
	ds_read_b32 v128, v4 offset:1040
	v_and_b32_e32 v4, 1, v12
	v_add_co_u32_e32 v13, vcc, -1, v4
	v_addc_co_u32_e64 v15, s[38:39], 0, -1, vcc
	v_cmp_ne_u32_e32 vcc, 0, v4
	v_xor_b32_e32 v4, vcc_hi, v15
	v_and_b32_e32 v15, exec_hi, v4
	v_lshlrev_b32_e32 v4, 30, v12
	v_xor_b32_e32 v13, vcc_lo, v13
	v_cmp_gt_i64_e32 vcc, 0, v[3:4]
	v_not_b32_e32 v4, v4
	v_ashrrev_i32_e32 v4, 31, v4
	v_and_b32_e32 v13, exec_lo, v13
	v_xor_b32_e32 v19, vcc_hi, v4
	v_xor_b32_e32 v4, vcc_lo, v4
	v_and_b32_e32 v13, v13, v4
	v_lshlrev_b32_e32 v4, 29, v12
	v_cmp_gt_i64_e32 vcc, 0, v[3:4]
	v_not_b32_e32 v4, v4
	v_ashrrev_i32_e32 v4, 31, v4
	v_and_b32_e32 v15, v15, v19
	v_xor_b32_e32 v19, vcc_hi, v4
	v_xor_b32_e32 v4, vcc_lo, v4
	v_and_b32_e32 v13, v13, v4
	v_lshlrev_b32_e32 v4, 28, v12
	v_cmp_gt_i64_e32 vcc, 0, v[3:4]
	v_not_b32_e32 v4, v4
	v_ashrrev_i32_e32 v4, 31, v4
	v_and_b32_e32 v15, v15, v19
	;; [unrolled: 8-line block ×5, first 2 shown]
	v_xor_b32_e32 v19, vcc_hi, v4
	v_xor_b32_e32 v4, vcc_lo, v4
	v_and_b32_e32 v15, v15, v19
	v_and_b32_e32 v19, v13, v4
	v_lshlrev_b32_e32 v4, 24, v12
	v_cmp_gt_i64_e32 vcc, 0, v[3:4]
	v_not_b32_e32 v4, v4
	v_ashrrev_i32_e32 v4, 31, v4
	v_mul_u32_u24_e32 v14, 20, v12
	v_xor_b32_e32 v12, vcc_hi, v4
	v_xor_b32_e32 v4, vcc_lo, v4
	v_and_b32_e32 v13, v15, v12
	v_and_b32_e32 v12, v19, v4
	v_mbcnt_lo_u32_b32 v4, v12, 0
	v_mbcnt_hi_u32_b32 v129, v13, v4
	v_cmp_ne_u64_e32 vcc, 0, v[12:13]
	v_cmp_eq_u32_e64 s[38:39], 0, v129
	s_and_b64 s[40:41], vcc, s[38:39]
	v_add_u32_e32 v4, v101, v14
	; wave barrier
	s_and_saveexec_b64 s[38:39], s[40:41]
	s_cbranch_execz .LBB502_424
; %bb.423:                              ;   in Loop: Header=BB502_394 Depth=2
	v_bcnt_u32_b32 v12, v12, 0
	v_bcnt_u32_b32 v12, v13, v12
	s_waitcnt lgkmcnt(0)
	v_add_u32_e32 v12, v128, v12
	ds_write_b32 v4, v12 offset:1040
.LBB502_424:                            ;   in Loop: Header=BB502_394 Depth=2
	s_or_b64 exec, exec, s[38:39]
	; wave barrier
	s_waitcnt lgkmcnt(0)
	s_barrier
	ds_read2_b32 v[14:15], v105 offset1:1
	ds_read2_b32 v[12:13], v104 offset1:1
	ds_read_b32 v19, v48 offset:1056
	s_waitcnt lgkmcnt(1)
	v_add3_u32 v130, v15, v14, v12
	s_waitcnt lgkmcnt(0)
	v_add3_u32 v19, v130, v13, v19
	s_nop 1
	v_mov_b32_dpp v130, v19 row_shr:1 row_mask:0xf bank_mask:0xf
	v_cndmask_b32_e64 v130, v130, 0, s[18:19]
	v_add_u32_e32 v19, v130, v19
	s_nop 1
	v_mov_b32_dpp v130, v19 row_shr:2 row_mask:0xf bank_mask:0xf
	v_cndmask_b32_e64 v130, 0, v130, s[20:21]
	v_add_u32_e32 v19, v19, v130
	;; [unrolled: 4-line block ×4, first 2 shown]
	s_nop 1
	v_mov_b32_dpp v130, v19 row_bcast:15 row_mask:0xf bank_mask:0xf
	v_cndmask_b32_e64 v130, v130, 0, s[26:27]
	v_add_u32_e32 v19, v19, v130
	s_nop 1
	v_mov_b32_dpp v130, v19 row_bcast:31 row_mask:0xf bank_mask:0xf
	v_cndmask_b32_e64 v130, 0, v130, s[28:29]
	v_add_u32_e32 v19, v19, v130
	s_and_saveexec_b64 s[38:39], s[8:9]
; %bb.425:                              ;   in Loop: Header=BB502_394 Depth=2
	ds_write_b32 v44, v19 offset:1024
; %bb.426:                              ;   in Loop: Header=BB502_394 Depth=2
	s_or_b64 exec, exec, s[38:39]
	s_waitcnt lgkmcnt(0)
	s_barrier
	s_and_saveexec_b64 s[38:39], s[10:11]
	s_cbranch_execz .LBB502_428
; %bb.427:                              ;   in Loop: Header=BB502_394 Depth=2
	ds_read_b32 v130, v49 offset:1024
	s_waitcnt lgkmcnt(0)
	s_nop 0
	v_mov_b32_dpp v131, v130 row_shr:1 row_mask:0xf bank_mask:0xf
	v_cndmask_b32_e64 v131, v131, 0, s[34:35]
	v_add_u32_e32 v130, v131, v130
	s_nop 1
	v_mov_b32_dpp v131, v130 row_shr:2 row_mask:0xf bank_mask:0xf
	v_cndmask_b32_e64 v131, 0, v131, s[36:37]
	v_add_u32_e32 v130, v130, v131
	ds_write_b32 v49, v130 offset:1024
.LBB502_428:                            ;   in Loop: Header=BB502_394 Depth=2
	s_or_b64 exec, exec, s[38:39]
	v_mov_b32_e32 v130, 0
	s_waitcnt lgkmcnt(0)
	s_barrier
	s_and_saveexec_b64 s[38:39], s[12:13]
; %bb.429:                              ;   in Loop: Header=BB502_394 Depth=2
	ds_read_b32 v130, v44 offset:1020
; %bb.430:                              ;   in Loop: Header=BB502_394 Depth=2
	s_or_b64 exec, exec, s[38:39]
	s_waitcnt lgkmcnt(0)
	v_add_u32_e32 v19, v130, v19
	ds_bpermute_b32 v19, v84, v19
	s_waitcnt lgkmcnt(0)
	v_cndmask_b32_e64 v19, v19, v130, s[30:31]
	v_cndmask_b32_e64 v19, v19, 0, s[14:15]
	v_add_u32_e32 v14, v19, v14
	v_add_u32_e32 v15, v14, v15
	;; [unrolled: 1-line block ×4, first 2 shown]
	ds_write2_b32 v105, v19, v14 offset1:1
	ds_write2_b32 v104, v15, v12 offset1:1
	ds_write_b32 v48, v13 offset:1056
	s_waitcnt lgkmcnt(0)
	s_barrier
	ds_read_b32 v12, v107 offset:1040
	ds_read_b32 v13, v111 offset:1040
	;; [unrolled: 1-line block ×9, first 2 shown]
	v_mov_b32_e32 v4, 0x800
	s_and_saveexec_b64 s[38:39], s[16:17]
; %bb.431:                              ;   in Loop: Header=BB502_394 Depth=2
	ds_read_b32 v4, v48 offset:1060
; %bb.432:                              ;   in Loop: Header=BB502_394 Depth=2
	s_or_b64 exec, exec, s[38:39]
	s_waitcnt lgkmcnt(0)
	s_barrier
	s_and_saveexec_b64 s[38:39], s[4:5]
	s_cbranch_execz .LBB502_434
; %bb.433:                              ;   in Loop: Header=BB502_394 Depth=2
	ds_read_b32 v19, v32
	s_waitcnt lgkmcnt(0)
	v_sub_u32_e32 v18, v19, v18
	ds_write_b32 v32, v18
.LBB502_434:                            ;   in Loop: Header=BB502_394 Depth=2
	s_or_b64 exec, exec, s[38:39]
	v_add_u32_e32 v105, v12, v106
	v_add3_u32 v104, v108, v31, v13
	v_lshlrev_b32_e32 v12, 2, v105
	v_add3_u32 v31, v112, v110, v14
	ds_write_b32 v12, v103 offset:1024
	v_lshlrev_b32_e32 v12, 2, v104
	v_add3_u32 v19, v116, v114, v15
	ds_write_b32 v12, v30 offset:1024
	;; [unrolled: 3-line block ×6, first 2 shown]
	v_lshlrev_b32_e32 v12, 2, v15
	ds_write_b32 v12, v123 offset:1024
	v_lshlrev_b32_e32 v12, 2, v14
	v_cmp_lt_u32_e32 vcc, v0, v102
	ds_write_b32 v12, v127 offset:1024
	s_waitcnt lgkmcnt(0)
	s_barrier
	s_and_saveexec_b64 s[40:41], vcc
	s_cbranch_execnz .LBB502_471
; %bb.435:                              ;   in Loop: Header=BB502_394 Depth=2
	s_or_b64 exec, exec, s[40:41]
	v_cmp_lt_u32_e64 s[38:39], v33, v102
	s_and_saveexec_b64 s[42:43], s[38:39]
	s_cbranch_execnz .LBB502_472
.LBB502_436:                            ;   in Loop: Header=BB502_394 Depth=2
	s_or_b64 exec, exec, s[42:43]
	v_cmp_lt_u32_e64 s[40:41], v34, v102
	s_and_saveexec_b64 s[44:45], s[40:41]
	s_cbranch_execnz .LBB502_473
.LBB502_437:                            ;   in Loop: Header=BB502_394 Depth=2
	s_or_b64 exec, exec, s[44:45]
	v_cmp_lt_u32_e64 s[42:43], v35, v102
	s_and_saveexec_b64 s[46:47], s[42:43]
	s_cbranch_execnz .LBB502_474
.LBB502_438:                            ;   in Loop: Header=BB502_394 Depth=2
	s_or_b64 exec, exec, s[46:47]
	v_cmp_lt_u32_e64 s[44:45], v38, v102
	s_and_saveexec_b64 s[48:49], s[44:45]
	s_cbranch_execnz .LBB502_475
.LBB502_439:                            ;   in Loop: Header=BB502_394 Depth=2
	s_or_b64 exec, exec, s[48:49]
	v_cmp_lt_u32_e64 s[46:47], v39, v102
	s_and_saveexec_b64 s[50:51], s[46:47]
	s_cbranch_execnz .LBB502_476
.LBB502_440:                            ;   in Loop: Header=BB502_394 Depth=2
	s_or_b64 exec, exec, s[50:51]
	v_cmp_lt_u32_e64 s[48:49], v40, v102
	s_and_saveexec_b64 s[52:53], s[48:49]
	s_cbranch_execnz .LBB502_477
.LBB502_441:                            ;   in Loop: Header=BB502_394 Depth=2
	s_or_b64 exec, exec, s[52:53]
	v_cmp_lt_u32_e64 s[50:51], v41, v102
	s_and_saveexec_b64 s[60:61], s[50:51]
	s_cbranch_execz .LBB502_443
.LBB502_442:                            ;   in Loop: Header=BB502_394 Depth=2
	ds_read_b32 v12, v49 offset:8192
	v_mov_b32_e32 v30, s67
	s_waitcnt lgkmcnt(0)
	v_lshrrev_b32_e32 v13, s77, v12
	v_and_b32_e32 v13, s62, v13
	v_lshlrev_b32_e32 v13, 2, v13
	ds_read_b32 v16, v13
	v_mov_b32_e32 v13, v3
	v_xor_b32_e32 v103, 0x7fffffff, v12
	s_waitcnt lgkmcnt(0)
	v_add_u32_e32 v12, v16, v41
	v_lshlrev_b64 v[12:13], 2, v[12:13]
	v_add_co_u32_e64 v12, s[52:53], s66, v12
	v_addc_co_u32_e64 v13, s[52:53], v30, v13, s[52:53]
	global_store_dword v[12:13], v103, off
.LBB502_443:                            ;   in Loop: Header=BB502_394 Depth=2
	s_or_b64 exec, exec, s[60:61]
	s_lshl_b64 s[52:53], s[58:59], 3
	v_mov_b32_e32 v13, s53
	v_add_co_u32_e64 v12, s[52:53], s52, v85
	v_addc_co_u32_e64 v13, s[52:53], v86, v13, s[52:53]
	v_cmp_lt_u32_e64 s[52:53], v80, v102
	s_and_saveexec_b64 s[60:61], s[52:53]
	s_xor_b64 s[52:53], exec, s[60:61]
	s_cbranch_execnz .LBB502_478
; %bb.444:                              ;   in Loop: Header=BB502_394 Depth=2
	s_or_b64 exec, exec, s[52:53]
	v_cmp_lt_u32_e64 s[52:53], v81, v102
	s_and_saveexec_b64 s[60:61], s[52:53]
	s_cbranch_execnz .LBB502_479
.LBB502_445:                            ;   in Loop: Header=BB502_394 Depth=2
	s_or_b64 exec, exec, s[60:61]
	v_cmp_lt_u32_e64 s[52:53], v82, v102
	s_and_saveexec_b64 s[60:61], s[52:53]
	s_cbranch_execnz .LBB502_480
.LBB502_446:                            ;   in Loop: Header=BB502_394 Depth=2
	s_or_b64 exec, exec, s[60:61]
	v_cmp_lt_u32_e64 s[52:53], v83, v102
	s_and_saveexec_b64 s[60:61], s[52:53]
	s_cbranch_execnz .LBB502_481
.LBB502_447:                            ;   in Loop: Header=BB502_394 Depth=2
	s_or_b64 exec, exec, s[60:61]
	v_cmp_lt_u32_e64 s[52:53], v87, v102
	s_and_saveexec_b64 s[60:61], s[52:53]
	s_cbranch_execnz .LBB502_482
.LBB502_448:                            ;   in Loop: Header=BB502_394 Depth=2
	s_or_b64 exec, exec, s[60:61]
	v_cmp_lt_u32_e64 s[52:53], v88, v102
	s_and_saveexec_b64 s[60:61], s[52:53]
	s_cbranch_execnz .LBB502_483
.LBB502_449:                            ;   in Loop: Header=BB502_394 Depth=2
	s_or_b64 exec, exec, s[60:61]
	v_cmp_lt_u32_e64 s[52:53], v89, v102
	s_and_saveexec_b64 s[60:61], s[52:53]
	s_cbranch_execnz .LBB502_484
.LBB502_450:                            ;   in Loop: Header=BB502_394 Depth=2
	s_or_b64 exec, exec, s[60:61]
	v_cmp_lt_u32_e64 s[52:53], v90, v102
	s_and_saveexec_b64 s[60:61], s[52:53]
	s_cbranch_execnz .LBB502_485
.LBB502_451:                            ;   in Loop: Header=BB502_394 Depth=2
	s_or_b64 exec, exec, s[60:61]
	s_and_saveexec_b64 s[52:53], vcc
	s_cbranch_execnz .LBB502_486
.LBB502_452:                            ;   in Loop: Header=BB502_394 Depth=2
	s_or_b64 exec, exec, s[52:53]
	s_and_saveexec_b64 s[52:53], s[38:39]
	s_cbranch_execnz .LBB502_487
.LBB502_453:                            ;   in Loop: Header=BB502_394 Depth=2
	s_or_b64 exec, exec, s[52:53]
	s_and_saveexec_b64 s[52:53], s[40:41]
	s_cbranch_execnz .LBB502_488
.LBB502_454:                            ;   in Loop: Header=BB502_394 Depth=2
	s_or_b64 exec, exec, s[52:53]
	s_and_saveexec_b64 s[52:53], s[42:43]
	s_cbranch_execnz .LBB502_489
.LBB502_455:                            ;   in Loop: Header=BB502_394 Depth=2
	s_or_b64 exec, exec, s[52:53]
	s_and_saveexec_b64 s[52:53], s[44:45]
	s_cbranch_execnz .LBB502_490
.LBB502_456:                            ;   in Loop: Header=BB502_394 Depth=2
	s_or_b64 exec, exec, s[52:53]
	s_and_saveexec_b64 s[52:53], s[46:47]
	s_cbranch_execnz .LBB502_491
.LBB502_457:                            ;   in Loop: Header=BB502_394 Depth=2
	s_or_b64 exec, exec, s[52:53]
	s_and_saveexec_b64 s[52:53], s[48:49]
	s_cbranch_execnz .LBB502_492
.LBB502_458:                            ;   in Loop: Header=BB502_394 Depth=2
	s_or_b64 exec, exec, s[52:53]
	s_and_saveexec_b64 s[52:53], s[50:51]
	s_cbranch_execz .LBB502_460
.LBB502_459:                            ;   in Loop: Header=BB502_394 Depth=2
	ds_read_b32 v12, v49 offset:8192
	s_waitcnt lgkmcnt(0)
	v_lshrrev_b32_e32 v12, s77, v12
	v_and_b32_e32 v91, s62, v12
.LBB502_460:                            ;   in Loop: Header=BB502_394 Depth=2
	s_or_b64 exec, exec, s[52:53]
	v_lshlrev_b32_e32 v12, 3, v105
	s_waitcnt vmcnt(0)
	s_barrier
	ds_write_b64 v12, v[28:29] offset:1024
	v_lshlrev_b32_e32 v12, 3, v104
	ds_write_b64 v12, v[26:27] offset:1024
	v_lshlrev_b32_e32 v12, 3, v31
	ds_write_b64 v12, v[24:25] offset:1024
	v_lshlrev_b32_e32 v12, 3, v19
	ds_write_b64 v12, v[22:23] offset:1024
	v_lshlrev_b32_e32 v12, 3, v18
	ds_write_b64 v12, v[20:21] offset:1024
	v_lshlrev_b32_e32 v12, 3, v17
	ds_write_b64 v12, v[9:10] offset:1024
	v_lshlrev_b32_e32 v12, 3, v15
	ds_write_b64 v12, v[7:8] offset:1024
	v_lshlrev_b32_e32 v12, 3, v14
	ds_write_b64 v12, v[5:6] offset:1024
	s_waitcnt lgkmcnt(0)
	s_barrier
	s_and_saveexec_b64 s[52:53], vcc
	s_cbranch_execnz .LBB502_493
; %bb.461:                              ;   in Loop: Header=BB502_394 Depth=2
	s_or_b64 exec, exec, s[52:53]
	s_and_saveexec_b64 s[52:53], s[38:39]
	s_cbranch_execnz .LBB502_494
.LBB502_462:                            ;   in Loop: Header=BB502_394 Depth=2
	s_or_b64 exec, exec, s[52:53]
	s_and_saveexec_b64 s[38:39], s[40:41]
	s_cbranch_execnz .LBB502_495
.LBB502_463:                            ;   in Loop: Header=BB502_394 Depth=2
	s_or_b64 exec, exec, s[38:39]
	s_and_saveexec_b64 s[38:39], s[42:43]
	s_cbranch_execnz .LBB502_496
.LBB502_464:                            ;   in Loop: Header=BB502_394 Depth=2
	s_or_b64 exec, exec, s[38:39]
	s_and_saveexec_b64 s[38:39], s[44:45]
	s_cbranch_execnz .LBB502_497
.LBB502_465:                            ;   in Loop: Header=BB502_394 Depth=2
	s_or_b64 exec, exec, s[38:39]
	s_and_saveexec_b64 s[38:39], s[46:47]
	s_cbranch_execnz .LBB502_498
.LBB502_466:                            ;   in Loop: Header=BB502_394 Depth=2
	s_or_b64 exec, exec, s[38:39]
	s_and_saveexec_b64 s[38:39], s[48:49]
	s_cbranch_execnz .LBB502_499
.LBB502_467:                            ;   in Loop: Header=BB502_394 Depth=2
	s_or_b64 exec, exec, s[38:39]
	s_and_saveexec_b64 s[38:39], s[50:51]
	s_cbranch_execz .LBB502_469
.LBB502_468:                            ;   in Loop: Header=BB502_394 Depth=2
	v_lshlrev_b32_e32 v12, 2, v91
	ds_read_b32 v14, v12
	v_add_u32_e32 v12, v49, v32
	ds_read_b64 v[12:13], v12 offset:15360
	v_mov_b32_e32 v15, v3
	v_mov_b32_e32 v16, s73
	s_waitcnt lgkmcnt(1)
	v_add_u32_e32 v14, v14, v41
	v_lshlrev_b64 v[14:15], 3, v[14:15]
	v_add_co_u32_e32 v14, vcc, s72, v14
	v_addc_co_u32_e32 v15, vcc, v16, v15, vcc
	s_waitcnt lgkmcnt(0)
	global_store_dwordx2 v[14:15], v[12:13], off
.LBB502_469:                            ;   in Loop: Header=BB502_394 Depth=2
	s_or_b64 exec, exec, s[38:39]
	s_waitcnt vmcnt(0)
	s_barrier
	s_and_saveexec_b64 s[38:39], s[4:5]
	s_cbranch_execz .LBB502_393
; %bb.470:                              ;   in Loop: Header=BB502_394 Depth=2
	ds_read_b32 v12, v32
	s_waitcnt lgkmcnt(0)
	v_add_u32_e32 v4, v12, v4
	ds_write_b32 v32, v4
	s_branch .LBB502_393
.LBB502_471:                            ;   in Loop: Header=BB502_394 Depth=2
	ds_read_b32 v12, v49 offset:1024
	v_mov_b32_e32 v30, s67
	s_waitcnt lgkmcnt(0)
	v_lshrrev_b32_e32 v13, s77, v12
	v_and_b32_e32 v13, s62, v13
	v_lshlrev_b32_e32 v13, 2, v13
	ds_read_b32 v16, v13
	v_mov_b32_e32 v13, v3
	v_xor_b32_e32 v103, 0x7fffffff, v12
	s_waitcnt lgkmcnt(0)
	v_add_u32_e32 v12, v16, v0
	v_lshlrev_b64 v[12:13], 2, v[12:13]
	v_add_co_u32_e64 v12, s[38:39], s66, v12
	v_addc_co_u32_e64 v13, s[38:39], v30, v13, s[38:39]
	global_store_dword v[12:13], v103, off
	s_or_b64 exec, exec, s[40:41]
	v_cmp_lt_u32_e64 s[38:39], v33, v102
	s_and_saveexec_b64 s[42:43], s[38:39]
	s_cbranch_execz .LBB502_436
.LBB502_472:                            ;   in Loop: Header=BB502_394 Depth=2
	ds_read_b32 v12, v49 offset:2048
	v_mov_b32_e32 v30, s67
	s_waitcnt lgkmcnt(0)
	v_lshrrev_b32_e32 v13, s77, v12
	v_and_b32_e32 v13, s62, v13
	v_lshlrev_b32_e32 v13, 2, v13
	ds_read_b32 v16, v13
	v_mov_b32_e32 v13, v3
	v_xor_b32_e32 v103, 0x7fffffff, v12
	s_waitcnt lgkmcnt(0)
	v_add_u32_e32 v12, v16, v33
	v_lshlrev_b64 v[12:13], 2, v[12:13]
	v_add_co_u32_e64 v12, s[40:41], s66, v12
	v_addc_co_u32_e64 v13, s[40:41], v30, v13, s[40:41]
	global_store_dword v[12:13], v103, off
	s_or_b64 exec, exec, s[42:43]
	v_cmp_lt_u32_e64 s[40:41], v34, v102
	s_and_saveexec_b64 s[44:45], s[40:41]
	s_cbranch_execz .LBB502_437
.LBB502_473:                            ;   in Loop: Header=BB502_394 Depth=2
	ds_read_b32 v12, v49 offset:3072
	v_mov_b32_e32 v30, s67
	s_waitcnt lgkmcnt(0)
	v_lshrrev_b32_e32 v13, s77, v12
	v_and_b32_e32 v13, s62, v13
	v_lshlrev_b32_e32 v13, 2, v13
	ds_read_b32 v16, v13
	v_mov_b32_e32 v13, v3
	v_xor_b32_e32 v103, 0x7fffffff, v12
	s_waitcnt lgkmcnt(0)
	v_add_u32_e32 v12, v16, v34
	v_lshlrev_b64 v[12:13], 2, v[12:13]
	v_add_co_u32_e64 v12, s[42:43], s66, v12
	v_addc_co_u32_e64 v13, s[42:43], v30, v13, s[42:43]
	global_store_dword v[12:13], v103, off
	s_or_b64 exec, exec, s[44:45]
	v_cmp_lt_u32_e64 s[42:43], v35, v102
	s_and_saveexec_b64 s[46:47], s[42:43]
	s_cbranch_execz .LBB502_438
.LBB502_474:                            ;   in Loop: Header=BB502_394 Depth=2
	ds_read_b32 v12, v49 offset:4096
	v_mov_b32_e32 v30, s67
	s_waitcnt lgkmcnt(0)
	v_lshrrev_b32_e32 v13, s77, v12
	v_and_b32_e32 v13, s62, v13
	v_lshlrev_b32_e32 v13, 2, v13
	ds_read_b32 v16, v13
	v_mov_b32_e32 v13, v3
	v_xor_b32_e32 v103, 0x7fffffff, v12
	s_waitcnt lgkmcnt(0)
	v_add_u32_e32 v12, v16, v35
	v_lshlrev_b64 v[12:13], 2, v[12:13]
	v_add_co_u32_e64 v12, s[44:45], s66, v12
	v_addc_co_u32_e64 v13, s[44:45], v30, v13, s[44:45]
	global_store_dword v[12:13], v103, off
	s_or_b64 exec, exec, s[46:47]
	v_cmp_lt_u32_e64 s[44:45], v38, v102
	s_and_saveexec_b64 s[48:49], s[44:45]
	s_cbranch_execz .LBB502_439
.LBB502_475:                            ;   in Loop: Header=BB502_394 Depth=2
	ds_read_b32 v12, v49 offset:5120
	v_mov_b32_e32 v30, s67
	s_waitcnt lgkmcnt(0)
	v_lshrrev_b32_e32 v13, s77, v12
	v_and_b32_e32 v13, s62, v13
	v_lshlrev_b32_e32 v13, 2, v13
	ds_read_b32 v16, v13
	v_mov_b32_e32 v13, v3
	v_xor_b32_e32 v103, 0x7fffffff, v12
	s_waitcnt lgkmcnt(0)
	v_add_u32_e32 v12, v16, v38
	v_lshlrev_b64 v[12:13], 2, v[12:13]
	v_add_co_u32_e64 v12, s[46:47], s66, v12
	v_addc_co_u32_e64 v13, s[46:47], v30, v13, s[46:47]
	global_store_dword v[12:13], v103, off
	s_or_b64 exec, exec, s[48:49]
	v_cmp_lt_u32_e64 s[46:47], v39, v102
	s_and_saveexec_b64 s[50:51], s[46:47]
	s_cbranch_execz .LBB502_440
.LBB502_476:                            ;   in Loop: Header=BB502_394 Depth=2
	ds_read_b32 v12, v49 offset:6144
	v_mov_b32_e32 v30, s67
	s_waitcnt lgkmcnt(0)
	v_lshrrev_b32_e32 v13, s77, v12
	v_and_b32_e32 v13, s62, v13
	v_lshlrev_b32_e32 v13, 2, v13
	ds_read_b32 v16, v13
	v_mov_b32_e32 v13, v3
	v_xor_b32_e32 v103, 0x7fffffff, v12
	s_waitcnt lgkmcnt(0)
	v_add_u32_e32 v12, v16, v39
	v_lshlrev_b64 v[12:13], 2, v[12:13]
	v_add_co_u32_e64 v12, s[48:49], s66, v12
	v_addc_co_u32_e64 v13, s[48:49], v30, v13, s[48:49]
	global_store_dword v[12:13], v103, off
	s_or_b64 exec, exec, s[50:51]
	v_cmp_lt_u32_e64 s[48:49], v40, v102
	s_and_saveexec_b64 s[52:53], s[48:49]
	s_cbranch_execz .LBB502_441
.LBB502_477:                            ;   in Loop: Header=BB502_394 Depth=2
	ds_read_b32 v12, v49 offset:7168
	v_mov_b32_e32 v30, s67
	s_waitcnt lgkmcnt(0)
	v_lshrrev_b32_e32 v13, s77, v12
	v_and_b32_e32 v13, s62, v13
	v_lshlrev_b32_e32 v13, 2, v13
	ds_read_b32 v16, v13
	v_mov_b32_e32 v13, v3
	v_xor_b32_e32 v103, 0x7fffffff, v12
	s_waitcnt lgkmcnt(0)
	v_add_u32_e32 v12, v16, v40
	v_lshlrev_b64 v[12:13], 2, v[12:13]
	v_add_co_u32_e64 v12, s[50:51], s66, v12
	v_addc_co_u32_e64 v13, s[50:51], v30, v13, s[50:51]
	global_store_dword v[12:13], v103, off
	s_or_b64 exec, exec, s[52:53]
	v_cmp_lt_u32_e64 s[50:51], v41, v102
	s_and_saveexec_b64 s[60:61], s[50:51]
	s_cbranch_execnz .LBB502_442
	s_branch .LBB502_443
.LBB502_478:                            ;   in Loop: Header=BB502_394 Depth=2
	global_load_dwordx2 v[28:29], v[12:13], off
	s_or_b64 exec, exec, s[52:53]
	v_cmp_lt_u32_e64 s[52:53], v81, v102
	s_and_saveexec_b64 s[60:61], s[52:53]
	s_cbranch_execz .LBB502_445
.LBB502_479:                            ;   in Loop: Header=BB502_394 Depth=2
	global_load_dwordx2 v[26:27], v[12:13], off offset:512
	s_or_b64 exec, exec, s[60:61]
	v_cmp_lt_u32_e64 s[52:53], v82, v102
	s_and_saveexec_b64 s[60:61], s[52:53]
	s_cbranch_execz .LBB502_446
.LBB502_480:                            ;   in Loop: Header=BB502_394 Depth=2
	global_load_dwordx2 v[24:25], v[12:13], off offset:1024
	s_or_b64 exec, exec, s[60:61]
	v_cmp_lt_u32_e64 s[52:53], v83, v102
	s_and_saveexec_b64 s[60:61], s[52:53]
	s_cbranch_execz .LBB502_447
.LBB502_481:                            ;   in Loop: Header=BB502_394 Depth=2
	global_load_dwordx2 v[22:23], v[12:13], off offset:1536
	s_or_b64 exec, exec, s[60:61]
	v_cmp_lt_u32_e64 s[52:53], v87, v102
	s_and_saveexec_b64 s[60:61], s[52:53]
	s_cbranch_execz .LBB502_448
.LBB502_482:                            ;   in Loop: Header=BB502_394 Depth=2
	global_load_dwordx2 v[20:21], v[12:13], off offset:2048
	s_or_b64 exec, exec, s[60:61]
	v_cmp_lt_u32_e64 s[52:53], v88, v102
	s_and_saveexec_b64 s[60:61], s[52:53]
	s_cbranch_execz .LBB502_449
.LBB502_483:                            ;   in Loop: Header=BB502_394 Depth=2
	global_load_dwordx2 v[9:10], v[12:13], off offset:2560
	s_or_b64 exec, exec, s[60:61]
	v_cmp_lt_u32_e64 s[52:53], v89, v102
	s_and_saveexec_b64 s[60:61], s[52:53]
	s_cbranch_execz .LBB502_450
.LBB502_484:                            ;   in Loop: Header=BB502_394 Depth=2
	global_load_dwordx2 v[7:8], v[12:13], off offset:3072
	s_or_b64 exec, exec, s[60:61]
	v_cmp_lt_u32_e64 s[52:53], v90, v102
	s_and_saveexec_b64 s[60:61], s[52:53]
	s_cbranch_execz .LBB502_451
.LBB502_485:                            ;   in Loop: Header=BB502_394 Depth=2
	global_load_dwordx2 v[5:6], v[12:13], off offset:3584
	s_or_b64 exec, exec, s[60:61]
	s_and_saveexec_b64 s[52:53], vcc
	s_cbranch_execz .LBB502_452
.LBB502_486:                            ;   in Loop: Header=BB502_394 Depth=2
	ds_read_b32 v12, v49 offset:1024
	s_waitcnt lgkmcnt(0)
	v_lshrrev_b32_e32 v12, s77, v12
	v_and_b32_e32 v99, s62, v12
	s_or_b64 exec, exec, s[52:53]
	s_and_saveexec_b64 s[52:53], s[38:39]
	s_cbranch_execz .LBB502_453
.LBB502_487:                            ;   in Loop: Header=BB502_394 Depth=2
	ds_read_b32 v12, v49 offset:2048
	s_waitcnt lgkmcnt(0)
	v_lshrrev_b32_e32 v12, s77, v12
	v_and_b32_e32 v97, s62, v12
	s_or_b64 exec, exec, s[52:53]
	s_and_saveexec_b64 s[52:53], s[40:41]
	s_cbranch_execz .LBB502_454
.LBB502_488:                            ;   in Loop: Header=BB502_394 Depth=2
	ds_read_b32 v12, v49 offset:3072
	s_waitcnt lgkmcnt(0)
	v_lshrrev_b32_e32 v12, s77, v12
	v_and_b32_e32 v96, s62, v12
	s_or_b64 exec, exec, s[52:53]
	s_and_saveexec_b64 s[52:53], s[42:43]
	s_cbranch_execz .LBB502_455
.LBB502_489:                            ;   in Loop: Header=BB502_394 Depth=2
	ds_read_b32 v12, v49 offset:4096
	s_waitcnt lgkmcnt(0)
	v_lshrrev_b32_e32 v12, s77, v12
	v_and_b32_e32 v95, s62, v12
	s_or_b64 exec, exec, s[52:53]
	s_and_saveexec_b64 s[52:53], s[44:45]
	s_cbranch_execz .LBB502_456
.LBB502_490:                            ;   in Loop: Header=BB502_394 Depth=2
	ds_read_b32 v12, v49 offset:5120
	s_waitcnt lgkmcnt(0)
	v_lshrrev_b32_e32 v12, s77, v12
	v_and_b32_e32 v94, s62, v12
	s_or_b64 exec, exec, s[52:53]
	s_and_saveexec_b64 s[52:53], s[46:47]
	s_cbranch_execz .LBB502_457
.LBB502_491:                            ;   in Loop: Header=BB502_394 Depth=2
	ds_read_b32 v12, v49 offset:6144
	s_waitcnt lgkmcnt(0)
	v_lshrrev_b32_e32 v12, s77, v12
	v_and_b32_e32 v93, s62, v12
	s_or_b64 exec, exec, s[52:53]
	s_and_saveexec_b64 s[52:53], s[48:49]
	s_cbranch_execz .LBB502_458
.LBB502_492:                            ;   in Loop: Header=BB502_394 Depth=2
	ds_read_b32 v12, v49 offset:7168
	s_waitcnt lgkmcnt(0)
	v_lshrrev_b32_e32 v12, s77, v12
	v_and_b32_e32 v92, s62, v12
	s_or_b64 exec, exec, s[52:53]
	s_and_saveexec_b64 s[52:53], s[50:51]
	s_cbranch_execnz .LBB502_459
	s_branch .LBB502_460
.LBB502_493:                            ;   in Loop: Header=BB502_394 Depth=2
	v_lshlrev_b32_e32 v12, 2, v99
	ds_read_b32 v14, v12
	v_add_u32_e32 v12, v49, v32
	ds_read_b64 v[12:13], v12 offset:1024
	v_mov_b32_e32 v15, v3
	v_mov_b32_e32 v16, s73
	s_waitcnt lgkmcnt(1)
	v_add_u32_e32 v14, v14, v0
	v_lshlrev_b64 v[14:15], 3, v[14:15]
	v_add_co_u32_e32 v14, vcc, s72, v14
	v_addc_co_u32_e32 v15, vcc, v16, v15, vcc
	s_waitcnt lgkmcnt(0)
	global_store_dwordx2 v[14:15], v[12:13], off
	s_or_b64 exec, exec, s[52:53]
	s_and_saveexec_b64 s[52:53], s[38:39]
	s_cbranch_execz .LBB502_462
.LBB502_494:                            ;   in Loop: Header=BB502_394 Depth=2
	v_lshlrev_b32_e32 v12, 2, v97
	ds_read_b32 v14, v12
	v_add_u32_e32 v12, v49, v32
	ds_read_b64 v[12:13], v12 offset:3072
	v_mov_b32_e32 v15, v3
	v_mov_b32_e32 v16, s73
	s_waitcnt lgkmcnt(1)
	v_add_u32_e32 v14, v14, v33
	v_lshlrev_b64 v[14:15], 3, v[14:15]
	v_add_co_u32_e32 v14, vcc, s72, v14
	v_addc_co_u32_e32 v15, vcc, v16, v15, vcc
	s_waitcnt lgkmcnt(0)
	global_store_dwordx2 v[14:15], v[12:13], off
	s_or_b64 exec, exec, s[52:53]
	s_and_saveexec_b64 s[38:39], s[40:41]
	s_cbranch_execz .LBB502_463
.LBB502_495:                            ;   in Loop: Header=BB502_394 Depth=2
	v_lshlrev_b32_e32 v12, 2, v96
	ds_read_b32 v14, v12
	v_add_u32_e32 v12, v49, v32
	ds_read_b64 v[12:13], v12 offset:5120
	v_mov_b32_e32 v15, v3
	v_mov_b32_e32 v16, s73
	s_waitcnt lgkmcnt(1)
	v_add_u32_e32 v14, v14, v34
	v_lshlrev_b64 v[14:15], 3, v[14:15]
	v_add_co_u32_e32 v14, vcc, s72, v14
	v_addc_co_u32_e32 v15, vcc, v16, v15, vcc
	s_waitcnt lgkmcnt(0)
	global_store_dwordx2 v[14:15], v[12:13], off
	s_or_b64 exec, exec, s[38:39]
	s_and_saveexec_b64 s[38:39], s[42:43]
	s_cbranch_execz .LBB502_464
.LBB502_496:                            ;   in Loop: Header=BB502_394 Depth=2
	v_lshlrev_b32_e32 v12, 2, v95
	ds_read_b32 v14, v12
	v_add_u32_e32 v12, v49, v32
	ds_read_b64 v[12:13], v12 offset:7168
	v_mov_b32_e32 v15, v3
	v_mov_b32_e32 v16, s73
	s_waitcnt lgkmcnt(1)
	v_add_u32_e32 v14, v14, v35
	v_lshlrev_b64 v[14:15], 3, v[14:15]
	v_add_co_u32_e32 v14, vcc, s72, v14
	v_addc_co_u32_e32 v15, vcc, v16, v15, vcc
	s_waitcnt lgkmcnt(0)
	global_store_dwordx2 v[14:15], v[12:13], off
	s_or_b64 exec, exec, s[38:39]
	s_and_saveexec_b64 s[38:39], s[44:45]
	s_cbranch_execz .LBB502_465
.LBB502_497:                            ;   in Loop: Header=BB502_394 Depth=2
	v_lshlrev_b32_e32 v12, 2, v94
	ds_read_b32 v14, v12
	v_add_u32_e32 v12, v49, v32
	ds_read_b64 v[12:13], v12 offset:9216
	v_mov_b32_e32 v15, v3
	v_mov_b32_e32 v16, s73
	s_waitcnt lgkmcnt(1)
	v_add_u32_e32 v14, v14, v38
	v_lshlrev_b64 v[14:15], 3, v[14:15]
	v_add_co_u32_e32 v14, vcc, s72, v14
	v_addc_co_u32_e32 v15, vcc, v16, v15, vcc
	s_waitcnt lgkmcnt(0)
	global_store_dwordx2 v[14:15], v[12:13], off
	s_or_b64 exec, exec, s[38:39]
	s_and_saveexec_b64 s[38:39], s[46:47]
	s_cbranch_execz .LBB502_466
.LBB502_498:                            ;   in Loop: Header=BB502_394 Depth=2
	v_lshlrev_b32_e32 v12, 2, v93
	ds_read_b32 v14, v12
	v_add_u32_e32 v12, v49, v32
	ds_read_b64 v[12:13], v12 offset:11264
	v_mov_b32_e32 v15, v3
	v_mov_b32_e32 v16, s73
	s_waitcnt lgkmcnt(1)
	v_add_u32_e32 v14, v14, v39
	v_lshlrev_b64 v[14:15], 3, v[14:15]
	v_add_co_u32_e32 v14, vcc, s72, v14
	v_addc_co_u32_e32 v15, vcc, v16, v15, vcc
	s_waitcnt lgkmcnt(0)
	global_store_dwordx2 v[14:15], v[12:13], off
	s_or_b64 exec, exec, s[38:39]
	s_and_saveexec_b64 s[38:39], s[48:49]
	s_cbranch_execz .LBB502_467
.LBB502_499:                            ;   in Loop: Header=BB502_394 Depth=2
	v_lshlrev_b32_e32 v12, 2, v92
	ds_read_b32 v14, v12
	v_add_u32_e32 v12, v49, v32
	ds_read_b64 v[12:13], v12 offset:13312
	v_mov_b32_e32 v15, v3
	v_mov_b32_e32 v16, s73
	s_waitcnt lgkmcnt(1)
	v_add_u32_e32 v14, v14, v40
	v_lshlrev_b64 v[14:15], 3, v[14:15]
	v_add_co_u32_e32 v14, vcc, s72, v14
	v_addc_co_u32_e32 v15, vcc, v16, v15, vcc
	s_waitcnt lgkmcnt(0)
	global_store_dwordx2 v[14:15], v[12:13], off
	s_or_b64 exec, exec, s[38:39]
	s_and_saveexec_b64 s[38:39], s[50:51]
	s_cbranch_execnz .LBB502_468
	s_branch .LBB502_469
.LBB502_500:                            ;   in Loop: Header=BB502_394 Depth=2
	global_load_dword v12, v[30:31], off
	v_mov_b32_e32 v13, v11
	v_mov_b32_e32 v14, v11
	;; [unrolled: 1-line block ×7, first 2 shown]
	s_or_b64 exec, exec, s[38:39]
	v_cmp_gt_u32_e32 vcc, s70, v81
	s_and_saveexec_b64 s[38:39], vcc
	s_cbranch_execz .LBB502_399
.LBB502_501:                            ;   in Loop: Header=BB502_394 Depth=2
	global_load_dword v13, v[30:31], off offset:256
	s_or_b64 exec, exec, s[38:39]
	v_cmp_gt_u32_e32 vcc, s70, v82
	s_and_saveexec_b64 s[38:39], vcc
	s_cbranch_execz .LBB502_400
.LBB502_502:                            ;   in Loop: Header=BB502_394 Depth=2
	global_load_dword v14, v[30:31], off offset:512
	s_or_b64 exec, exec, s[38:39]
	v_cmp_gt_u32_e32 vcc, s70, v83
	s_and_saveexec_b64 s[38:39], vcc
	s_cbranch_execz .LBB502_401
.LBB502_503:                            ;   in Loop: Header=BB502_394 Depth=2
	global_load_dword v15, v[30:31], off offset:768
	s_or_b64 exec, exec, s[38:39]
	v_cmp_gt_u32_e32 vcc, s70, v87
	s_and_saveexec_b64 s[38:39], vcc
	s_cbranch_execz .LBB502_402
.LBB502_504:                            ;   in Loop: Header=BB502_394 Depth=2
	global_load_dword v16, v[30:31], off offset:1024
	s_or_b64 exec, exec, s[38:39]
	v_cmp_gt_u32_e32 vcc, s70, v88
	s_and_saveexec_b64 s[38:39], vcc
	s_cbranch_execz .LBB502_403
.LBB502_505:                            ;   in Loop: Header=BB502_394 Depth=2
	global_load_dword v17, v[30:31], off offset:1280
	s_or_b64 exec, exec, s[38:39]
	v_cmp_gt_u32_e32 vcc, s70, v89
	s_and_saveexec_b64 s[38:39], vcc
	s_cbranch_execnz .LBB502_404
	s_branch .LBB502_405
.LBB502_506:                            ;   in Loop: Header=BB502_12 Depth=1
	s_waitcnt lgkmcnt(0)
	s_barrier
	s_mov_b64 s[18:19], 0
.LBB502_507:                            ;   in Loop: Header=BB502_12 Depth=1
	s_and_b64 vcc, exec, s[18:19]
	s_cbranch_vccz .LBB502_11
; %bb.508:                              ;   in Loop: Header=BB502_12 Depth=1
	v_mov_b32_e32 v10, v3
	v_mov_b32_e32 v4, v3
	;; [unrolled: 1-line block ×8, first 2 shown]
	s_mov_b32 s22, s79
	s_mov_b32 s58, s63
	v_mov_b32_e32 v18, v9
	v_mov_b32_e32 v17, v8
	;; [unrolled: 1-line block ×7, first 2 shown]
	s_barrier
	s_branch .LBB502_510
.LBB502_509:                            ;   in Loop: Header=BB502_510 Depth=2
	s_or_b64 exec, exec, s[18:19]
	s_addk_i32 s22, 0xf800
	s_cmp_ge_u32 s23, s80
	s_mov_b32 s58, s23
	s_cbranch_scc1 .LBB502_546
.LBB502_510:                            ;   Parent Loop BB502_12 Depth=1
                                        ; =>  This Inner Loop Header: Depth=2
	s_add_i32 s23, s58, 0x800
	s_cmp_gt_u32 s23, s80
	s_mov_b64 s[18:19], -1
                                        ; implicit-def: $vgpr20_vgpr21_vgpr22_vgpr23_vgpr24_vgpr25_vgpr26_vgpr27
	s_cbranch_scc1 .LBB502_512
; %bb.511:                              ;   in Loop: Header=BB502_510 Depth=2
	s_lshl_b64 s[18:19], s[58:59], 2
	v_mov_b32_e32 v5, s19
	v_add_co_u32_e32 v4, vcc, s18, v60
	v_addc_co_u32_e32 v5, vcc, v61, v5, vcc
	v_add_co_u32_e32 v6, vcc, 0x1000, v4
	v_addc_co_u32_e32 v7, vcc, 0, v5, vcc
	global_load_dword v20, v[4:5], off
	global_load_dword v21, v[4:5], off offset:1024
	global_load_dword v22, v[4:5], off offset:2048
	;; [unrolled: 1-line block ×3, first 2 shown]
	global_load_dword v24, v[6:7], off
	global_load_dword v25, v[6:7], off offset:1024
	global_load_dword v26, v[6:7], off offset:2048
	;; [unrolled: 1-line block ×3, first 2 shown]
	s_mov_b64 s[18:19], 0
.LBB502_512:                            ;   in Loop: Header=BB502_510 Depth=2
	s_andn2_b64 vcc, exec, s[18:19]
	s_movk_i32 s20, 0x800
	s_cbranch_vccnz .LBB502_523
; %bb.513:                              ;   in Loop: Header=BB502_510 Depth=2
	s_lshl_b64 s[18:19], s[58:59], 2
	s_add_u32 s18, s64, s18
	s_addc_u32 s19, s65, s19
	v_cmp_gt_u32_e32 vcc, s22, v0
	s_and_saveexec_b64 s[20:21], vcc
	s_cbranch_execnz .LBB502_539
; %bb.514:                              ;   in Loop: Header=BB502_510 Depth=2
	s_or_b64 exec, exec, s[20:21]
	v_cmp_gt_u32_e32 vcc, s22, v33
	s_and_saveexec_b64 s[20:21], vcc
	s_cbranch_execnz .LBB502_540
.LBB502_515:                            ;   in Loop: Header=BB502_510 Depth=2
	s_or_b64 exec, exec, s[20:21]
	v_cmp_gt_u32_e32 vcc, s22, v34
	s_and_saveexec_b64 s[20:21], vcc
	s_cbranch_execnz .LBB502_541
.LBB502_516:                            ;   in Loop: Header=BB502_510 Depth=2
	s_or_b64 exec, exec, s[20:21]
	v_cmp_gt_u32_e32 vcc, s22, v35
	s_and_saveexec_b64 s[20:21], vcc
	s_cbranch_execnz .LBB502_542
.LBB502_517:                            ;   in Loop: Header=BB502_510 Depth=2
	s_or_b64 exec, exec, s[20:21]
	v_cmp_gt_u32_e32 vcc, s22, v38
	s_and_saveexec_b64 s[20:21], vcc
	s_cbranch_execnz .LBB502_543
.LBB502_518:                            ;   in Loop: Header=BB502_510 Depth=2
	s_or_b64 exec, exec, s[20:21]
	v_cmp_gt_u32_e32 vcc, s22, v39
	s_and_saveexec_b64 s[20:21], vcc
	s_cbranch_execnz .LBB502_544
.LBB502_519:                            ;   in Loop: Header=BB502_510 Depth=2
	s_or_b64 exec, exec, s[20:21]
	v_cmp_gt_u32_e32 vcc, s22, v40
	s_and_saveexec_b64 s[20:21], vcc
	s_cbranch_execnz .LBB502_545
.LBB502_520:                            ;   in Loop: Header=BB502_510 Depth=2
	s_or_b64 exec, exec, s[20:21]
	v_cmp_gt_u32_e32 vcc, s22, v41
	s_and_saveexec_b64 s[20:21], vcc
	s_cbranch_execz .LBB502_522
.LBB502_521:                            ;   in Loop: Header=BB502_510 Depth=2
	global_load_dword v19, v71, s[18:19]
.LBB502_522:                            ;   in Loop: Header=BB502_510 Depth=2
	s_or_b64 exec, exec, s[20:21]
	s_waitcnt vmcnt(0)
	v_mov_b32_e32 v27, v19
	s_mov_b32 s20, s22
	v_mov_b32_e32 v26, v18
	v_mov_b32_e32 v25, v17
	;; [unrolled: 1-line block ×7, first 2 shown]
.LBB502_523:                            ;   in Loop: Header=BB502_510 Depth=2
	s_waitcnt vmcnt(0)
	v_mov_b32_e32 v12, v20
	v_mov_b32_e32 v13, v21
	;; [unrolled: 1-line block ×8, first 2 shown]
	v_cmp_gt_u32_e32 vcc, s20, v0
	s_and_saveexec_b64 s[18:19], vcc
	s_cbranch_execnz .LBB502_531
; %bb.524:                              ;   in Loop: Header=BB502_510 Depth=2
	s_or_b64 exec, exec, s[18:19]
	v_cmp_gt_u32_e32 vcc, s20, v33
	s_and_saveexec_b64 s[18:19], vcc
	s_cbranch_execnz .LBB502_532
.LBB502_525:                            ;   in Loop: Header=BB502_510 Depth=2
	s_or_b64 exec, exec, s[18:19]
	v_cmp_gt_u32_e32 vcc, s20, v34
	s_and_saveexec_b64 s[18:19], vcc
	s_cbranch_execnz .LBB502_533
.LBB502_526:                            ;   in Loop: Header=BB502_510 Depth=2
	s_or_b64 exec, exec, s[18:19]
	v_cmp_gt_u32_e32 vcc, s20, v35
	s_and_saveexec_b64 s[18:19], vcc
	s_cbranch_execnz .LBB502_534
.LBB502_527:                            ;   in Loop: Header=BB502_510 Depth=2
	s_or_b64 exec, exec, s[18:19]
	v_cmp_gt_u32_e32 vcc, s20, v38
	s_and_saveexec_b64 s[18:19], vcc
	s_cbranch_execnz .LBB502_535
.LBB502_528:                            ;   in Loop: Header=BB502_510 Depth=2
	s_or_b64 exec, exec, s[18:19]
	v_cmp_gt_u32_e32 vcc, s20, v39
	s_and_saveexec_b64 s[18:19], vcc
	s_cbranch_execnz .LBB502_536
.LBB502_529:                            ;   in Loop: Header=BB502_510 Depth=2
	s_or_b64 exec, exec, s[18:19]
	v_cmp_gt_u32_e32 vcc, s20, v40
	s_and_saveexec_b64 s[18:19], vcc
	s_cbranch_execnz .LBB502_537
.LBB502_530:                            ;   in Loop: Header=BB502_510 Depth=2
	s_or_b64 exec, exec, s[18:19]
	v_cmp_gt_u32_e32 vcc, s20, v41
	s_and_saveexec_b64 s[18:19], vcc
	s_cbranch_execz .LBB502_509
	s_branch .LBB502_538
.LBB502_531:                            ;   in Loop: Header=BB502_510 Depth=2
	v_xor_b32_e32 v4, 0x7fffffff, v12
	v_lshrrev_b32_e32 v4, s77, v4
	v_and_b32_e32 v4, s62, v4
	v_lshl_or_b32 v4, v4, 4, v42
	ds_add_u32 v4, v66
	s_or_b64 exec, exec, s[18:19]
	v_cmp_gt_u32_e32 vcc, s20, v33
	s_and_saveexec_b64 s[18:19], vcc
	s_cbranch_execz .LBB502_525
.LBB502_532:                            ;   in Loop: Header=BB502_510 Depth=2
	v_xor_b32_e32 v4, 0x7fffffff, v13
	v_lshrrev_b32_e32 v4, s77, v4
	v_and_b32_e32 v4, s62, v4
	v_lshl_or_b32 v4, v4, 4, v42
	ds_add_u32 v4, v66
	s_or_b64 exec, exec, s[18:19]
	v_cmp_gt_u32_e32 vcc, s20, v34
	s_and_saveexec_b64 s[18:19], vcc
	s_cbranch_execz .LBB502_526
.LBB502_533:                            ;   in Loop: Header=BB502_510 Depth=2
	v_xor_b32_e32 v4, 0x7fffffff, v14
	v_lshrrev_b32_e32 v4, s77, v4
	v_and_b32_e32 v4, s62, v4
	v_lshl_or_b32 v4, v4, 4, v42
	ds_add_u32 v4, v66
	s_or_b64 exec, exec, s[18:19]
	v_cmp_gt_u32_e32 vcc, s20, v35
	s_and_saveexec_b64 s[18:19], vcc
	s_cbranch_execz .LBB502_527
.LBB502_534:                            ;   in Loop: Header=BB502_510 Depth=2
	v_xor_b32_e32 v4, 0x7fffffff, v15
	v_lshrrev_b32_e32 v4, s77, v4
	v_and_b32_e32 v4, s62, v4
	v_lshl_or_b32 v4, v4, 4, v42
	ds_add_u32 v4, v66
	s_or_b64 exec, exec, s[18:19]
	v_cmp_gt_u32_e32 vcc, s20, v38
	s_and_saveexec_b64 s[18:19], vcc
	s_cbranch_execz .LBB502_528
.LBB502_535:                            ;   in Loop: Header=BB502_510 Depth=2
	v_xor_b32_e32 v4, 0x7fffffff, v16
	v_lshrrev_b32_e32 v4, s77, v4
	v_and_b32_e32 v4, s62, v4
	v_lshl_or_b32 v4, v4, 4, v42
	ds_add_u32 v4, v66
	s_or_b64 exec, exec, s[18:19]
	v_cmp_gt_u32_e32 vcc, s20, v39
	s_and_saveexec_b64 s[18:19], vcc
	s_cbranch_execz .LBB502_529
.LBB502_536:                            ;   in Loop: Header=BB502_510 Depth=2
	v_xor_b32_e32 v4, 0x7fffffff, v17
	v_lshrrev_b32_e32 v4, s77, v4
	v_and_b32_e32 v4, s62, v4
	v_lshl_or_b32 v4, v4, 4, v42
	ds_add_u32 v4, v66
	s_or_b64 exec, exec, s[18:19]
	v_cmp_gt_u32_e32 vcc, s20, v40
	s_and_saveexec_b64 s[18:19], vcc
	s_cbranch_execz .LBB502_530
.LBB502_537:                            ;   in Loop: Header=BB502_510 Depth=2
	v_xor_b32_e32 v4, 0x7fffffff, v18
	v_lshrrev_b32_e32 v4, s77, v4
	v_and_b32_e32 v4, s62, v4
	v_lshl_or_b32 v4, v4, 4, v42
	ds_add_u32 v4, v66
	s_or_b64 exec, exec, s[18:19]
	v_cmp_gt_u32_e32 vcc, s20, v41
	s_and_saveexec_b64 s[18:19], vcc
	s_cbranch_execz .LBB502_509
.LBB502_538:                            ;   in Loop: Header=BB502_510 Depth=2
	v_xor_b32_e32 v4, 0x7fffffff, v19
	v_lshrrev_b32_e32 v4, s77, v4
	v_and_b32_e32 v4, s62, v4
	v_lshl_or_b32 v4, v4, 4, v42
	ds_add_u32 v4, v66
	s_branch .LBB502_509
.LBB502_539:                            ;   in Loop: Header=BB502_510 Depth=2
	global_load_dword v12, v67, s[18:19]
	s_or_b64 exec, exec, s[20:21]
	v_cmp_gt_u32_e32 vcc, s22, v33
	s_and_saveexec_b64 s[20:21], vcc
	s_cbranch_execz .LBB502_515
.LBB502_540:                            ;   in Loop: Header=BB502_510 Depth=2
	global_load_dword v13, v67, s[18:19] offset:1024
	s_or_b64 exec, exec, s[20:21]
	v_cmp_gt_u32_e32 vcc, s22, v34
	s_and_saveexec_b64 s[20:21], vcc
	s_cbranch_execz .LBB502_516
.LBB502_541:                            ;   in Loop: Header=BB502_510 Depth=2
	global_load_dword v14, v67, s[18:19] offset:2048
	s_or_b64 exec, exec, s[20:21]
	v_cmp_gt_u32_e32 vcc, s22, v35
	s_and_saveexec_b64 s[20:21], vcc
	s_cbranch_execz .LBB502_517
.LBB502_542:                            ;   in Loop: Header=BB502_510 Depth=2
	global_load_dword v15, v67, s[18:19] offset:3072
	s_or_b64 exec, exec, s[20:21]
	v_cmp_gt_u32_e32 vcc, s22, v38
	s_and_saveexec_b64 s[20:21], vcc
	s_cbranch_execz .LBB502_518
.LBB502_543:                            ;   in Loop: Header=BB502_510 Depth=2
	global_load_dword v16, v68, s[18:19]
	s_or_b64 exec, exec, s[20:21]
	v_cmp_gt_u32_e32 vcc, s22, v39
	s_and_saveexec_b64 s[20:21], vcc
	s_cbranch_execz .LBB502_519
.LBB502_544:                            ;   in Loop: Header=BB502_510 Depth=2
	global_load_dword v17, v69, s[18:19]
	s_or_b64 exec, exec, s[20:21]
	v_cmp_gt_u32_e32 vcc, s22, v40
	s_and_saveexec_b64 s[20:21], vcc
	s_cbranch_execz .LBB502_520
.LBB502_545:                            ;   in Loop: Header=BB502_510 Depth=2
	global_load_dword v18, v70, s[18:19]
	s_or_b64 exec, exec, s[20:21]
	v_cmp_gt_u32_e32 vcc, s22, v41
	s_and_saveexec_b64 s[20:21], vcc
	s_cbranch_execnz .LBB502_521
	s_branch .LBB502_522
.LBB502_546:                            ;   in Loop: Header=BB502_12 Depth=1
	v_mov_b32_e32 v4, 0
	s_waitcnt lgkmcnt(0)
	s_barrier
	s_and_saveexec_b64 s[18:19], s[4:5]
	s_cbranch_execz .LBB502_548
; %bb.547:                              ;   in Loop: Header=BB502_12 Depth=1
	ds_read2_b64 v[4:7], v43 offset1:1
	s_waitcnt lgkmcnt(0)
	v_add_u32_e32 v4, v5, v4
	v_add3_u32 v4, v4, v6, v7
.LBB502_548:                            ;   in Loop: Header=BB502_12 Depth=1
	s_or_b64 exec, exec, s[18:19]
	s_nop 0
	v_mov_b32_dpp v5, v4 row_shr:1 row_mask:0xf bank_mask:0xf
	v_cmp_eq_u32_e64 s[18:19], 0, v73
	v_cndmask_b32_e64 v5, v5, 0, s[18:19]
	v_add_u32_e32 v4, v5, v4
	v_cmp_lt_u32_e64 s[20:21], 1, v73
	v_cmp_lt_u32_e64 s[22:23], 3, v73
	v_mov_b32_dpp v5, v4 row_shr:2 row_mask:0xf bank_mask:0xf
	v_cndmask_b32_e64 v5, 0, v5, s[20:21]
	v_add_u32_e32 v4, v4, v5
	v_cmp_lt_u32_e64 s[24:25], 7, v73
	v_cmp_lt_u32_e64 s[28:29], 31, v72
	v_mov_b32_dpp v5, v4 row_shr:4 row_mask:0xf bank_mask:0xf
	v_cndmask_b32_e64 v5, 0, v5, s[22:23]
	v_add_u32_e32 v4, v4, v5
	v_cmp_eq_u32_e64 s[26:27], 0, v75
	s_nop 0
	v_mov_b32_dpp v5, v4 row_shr:8 row_mask:0xf bank_mask:0xf
	v_cndmask_b32_e64 v5, 0, v5, s[24:25]
	v_add_u32_e32 v4, v4, v5
	s_nop 1
	v_mov_b32_dpp v5, v4 row_bcast:15 row_mask:0xf bank_mask:0xf
	v_and_b32_e32 v5, v74, v5
	v_add_u32_e32 v4, v4, v5
	s_nop 1
	v_mov_b32_dpp v5, v4 row_bcast:31 row_mask:0xf bank_mask:0xf
	v_cndmask_b32_e64 v5, 0, v5, s[28:29]
	v_add_u32_e32 v4, v4, v5
	s_and_saveexec_b64 s[30:31], s[8:9]
; %bb.549:                              ;   in Loop: Header=BB502_12 Depth=1
	ds_write_b32 v45, v4
; %bb.550:                              ;   in Loop: Header=BB502_12 Depth=1
	s_or_b64 exec, exec, s[30:31]
	s_waitcnt lgkmcnt(0)
	s_barrier
	s_and_saveexec_b64 s[30:31], s[10:11]
	s_cbranch_execz .LBB502_552
; %bb.551:                              ;   in Loop: Header=BB502_12 Depth=1
	ds_read_b32 v5, v46
	v_cmp_ne_u32_e32 vcc, 0, v76
	s_waitcnt lgkmcnt(0)
	v_mov_b32_dpp v6, v5 row_shr:1 row_mask:0xf bank_mask:0xf
	v_cndmask_b32_e32 v6, 0, v6, vcc
	v_add_u32_e32 v5, v6, v5
	v_cmp_lt_u32_e32 vcc, 1, v76
	s_nop 0
	v_mov_b32_dpp v6, v5 row_shr:2 row_mask:0xf bank_mask:0xf
	v_cndmask_b32_e32 v6, 0, v6, vcc
	v_add_u32_e32 v5, v5, v6
	ds_write_b32 v46, v5
.LBB502_552:                            ;   in Loop: Header=BB502_12 Depth=1
	s_or_b64 exec, exec, s[30:31]
	v_mov_b32_e32 v5, 0
	s_waitcnt lgkmcnt(0)
	s_barrier
	s_and_saveexec_b64 s[30:31], s[12:13]
; %bb.553:                              ;   in Loop: Header=BB502_12 Depth=1
	ds_read_b32 v5, v47
; %bb.554:                              ;   in Loop: Header=BB502_12 Depth=1
	s_or_b64 exec, exec, s[30:31]
	v_subrev_co_u32_e64 v6, s[30:31], 1, v72
	v_cmp_lt_i32_e32 vcc, v6, v77
	v_cndmask_b32_e32 v6, v6, v72, vcc
	s_waitcnt lgkmcnt(0)
	v_add_u32_e32 v4, v5, v4
	v_lshlrev_b32_e32 v84, 2, v6
	ds_bpermute_b32 v4, v84, v4
	s_waitcnt lgkmcnt(0)
	s_barrier
	s_and_saveexec_b64 s[34:35], s[4:5]
; %bb.555:                              ;   in Loop: Header=BB502_12 Depth=1
	v_cndmask_b32_e64 v4, v4, v5, s[30:31]
	v_add_u32_e32 v4, s63, v4
	ds_write_b32 v32, v4
; %bb.556:                              ;   in Loop: Header=BB502_12 Depth=1
	s_or_b64 exec, exec, s[34:35]
	s_load_dwordx2 s[34:35], s[56:57], 0x0
	v_add_co_u32_e32 v85, vcc, v62, v79
	v_addc_co_u32_e32 v86, vcc, 0, v63, vcc
	s_waitcnt lgkmcnt(0)
	s_cmp_lt_u32 s33, s35
	s_cselect_b32 s35, 14, 20
	s_add_u32 s36, s56, s35
	s_addc_u32 s37, s57, 0
	s_cmp_lt_u32 s6, s34
	s_cselect_b32 s34, 12, 18
	s_add_u32 s34, s56, s34
	global_load_ushort v4, v3, s[36:37]
	s_addc_u32 s35, s57, 0
	global_load_ushort v12, v3, s[34:35]
	v_lshlrev_b32_e32 v14, 2, v78
	v_add_co_u32_e32 v98, vcc, v64, v14
	v_cmp_eq_u32_e64 s[34:35], 0, v76
	v_cmp_lt_u32_e64 s[36:37], 1, v76
	v_or_b32_e32 v87, 0x100, v80
	v_or_b32_e32 v88, 0x140, v80
	;; [unrolled: 1-line block ×4, first 2 shown]
	s_mov_b32 s70, s79
	v_addc_co_u32_e32 v100, vcc, 0, v65, vcc
	s_mov_b32 s58, s63
                                        ; implicit-def: $vgpr5_vgpr6
                                        ; implicit-def: $vgpr7_vgpr8
                                        ; implicit-def: $vgpr9_vgpr10
                                        ; implicit-def: $vgpr20_vgpr21
                                        ; implicit-def: $vgpr22_vgpr23
                                        ; implicit-def: $vgpr24_vgpr25
                                        ; implicit-def: $vgpr26_vgpr27
                                        ; implicit-def: $vgpr28_vgpr29
                                        ; implicit-def: $vgpr91
                                        ; implicit-def: $vgpr92
                                        ; implicit-def: $vgpr93
                                        ; implicit-def: $vgpr94
                                        ; implicit-def: $vgpr95
                                        ; implicit-def: $vgpr96
                                        ; implicit-def: $vgpr97
                                        ; implicit-def: $vgpr99
	s_waitcnt vmcnt(1)
	v_mad_u32_u24 v4, v2, v4, v1
	s_waitcnt vmcnt(0)
	v_mad_u64_u32 v[12:13], s[38:39], v4, v12, v[0:1]
	v_lshrrev_b32_e32 v4, 4, v12
	v_and_b32_e32 v101, 0xffffffc, v4
	s_branch .LBB502_558
.LBB502_557:                            ;   in Loop: Header=BB502_558 Depth=2
	s_or_b64 exec, exec, s[38:39]
	s_addk_i32 s70, 0xf800
	s_cmp_lt_u32 s71, s80
	s_mov_b32 s58, s71
	s_cbranch_scc0 .LBB502_10
.LBB502_558:                            ;   Parent Loop BB502_12 Depth=1
                                        ; =>  This Inner Loop Header: Depth=2
	s_add_i32 s71, s58, 0x800
	s_cmp_gt_u32 s71, s80
	s_cbranch_scc1 .LBB502_560
; %bb.559:                              ;   in Loop: Header=BB502_558 Depth=2
	s_lshl_b64 s[38:39], s[58:59], 2
	v_mov_b32_e32 v4, s39
	v_add_co_u32_e32 v18, vcc, s38, v98
	v_addc_co_u32_e32 v19, vcc, v100, v4, vcc
	global_load_dword v12, v[18:19], off
	global_load_dword v13, v[18:19], off offset:256
	global_load_dword v14, v[18:19], off offset:512
	;; [unrolled: 1-line block ×5, first 2 shown]
	s_nop 0
	global_load_dword v18, v[18:19], off offset:1536
	s_mov_b64 s[38:39], -1
	s_movk_i32 s42, 0x800
	s_cbranch_execz .LBB502_561
	s_branch .LBB502_570
.LBB502_560:                            ;   in Loop: Header=BB502_558 Depth=2
	s_mov_b64 s[38:39], 0
                                        ; implicit-def: $vgpr12_vgpr13_vgpr14_vgpr15_vgpr16_vgpr17_vgpr18_vgpr19
	s_movk_i32 s42, 0x800
.LBB502_561:                            ;   in Loop: Header=BB502_558 Depth=2
	s_lshl_b64 s[38:39], s[58:59], 2
	v_mov_b32_e32 v4, s39
	v_add_co_u32_e32 v30, vcc, s38, v98
	s_waitcnt vmcnt(6)
	v_mov_b32_e32 v12, v11
	s_waitcnt vmcnt(5)
	v_mov_b32_e32 v13, v11
	;; [unrolled: 2-line block ×7, first 2 shown]
	v_addc_co_u32_e32 v31, vcc, v100, v4, vcc
	v_mov_b32_e32 v19, v18
	v_cmp_gt_u32_e32 vcc, s70, v80
	v_mov_b32_e32 v18, v17
	v_mov_b32_e32 v17, v16
	;; [unrolled: 1-line block ×7, first 2 shown]
	s_and_saveexec_b64 s[38:39], vcc
	s_cbranch_execnz .LBB502_664
; %bb.562:                              ;   in Loop: Header=BB502_558 Depth=2
	s_or_b64 exec, exec, s[38:39]
	v_cmp_gt_u32_e32 vcc, s70, v81
	s_and_saveexec_b64 s[38:39], vcc
	s_cbranch_execnz .LBB502_665
.LBB502_563:                            ;   in Loop: Header=BB502_558 Depth=2
	s_or_b64 exec, exec, s[38:39]
	v_cmp_gt_u32_e32 vcc, s70, v82
	s_and_saveexec_b64 s[38:39], vcc
	s_cbranch_execnz .LBB502_666
.LBB502_564:                            ;   in Loop: Header=BB502_558 Depth=2
	s_or_b64 exec, exec, s[38:39]
	v_cmp_gt_u32_e32 vcc, s70, v83
	s_and_saveexec_b64 s[38:39], vcc
	s_cbranch_execnz .LBB502_667
.LBB502_565:                            ;   in Loop: Header=BB502_558 Depth=2
	s_or_b64 exec, exec, s[38:39]
	v_cmp_gt_u32_e32 vcc, s70, v87
	s_and_saveexec_b64 s[38:39], vcc
	s_cbranch_execnz .LBB502_668
.LBB502_566:                            ;   in Loop: Header=BB502_558 Depth=2
	s_or_b64 exec, exec, s[38:39]
	v_cmp_gt_u32_e32 vcc, s70, v88
	s_and_saveexec_b64 s[38:39], vcc
	s_cbranch_execnz .LBB502_669
.LBB502_567:                            ;   in Loop: Header=BB502_558 Depth=2
	s_or_b64 exec, exec, s[38:39]
	v_cmp_gt_u32_e32 vcc, s70, v89
	s_and_saveexec_b64 s[38:39], vcc
	s_cbranch_execz .LBB502_569
.LBB502_568:                            ;   in Loop: Header=BB502_558 Depth=2
	global_load_dword v18, v[30:31], off offset:1536
.LBB502_569:                            ;   in Loop: Header=BB502_558 Depth=2
	s_or_b64 exec, exec, s[38:39]
	s_sub_i32 s42, s80, s58
	v_cmp_gt_u32_e64 s[38:39], s70, v90
.LBB502_570:                            ;   in Loop: Header=BB502_558 Depth=2
	v_mov_b32_e32 v102, s70
	s_and_saveexec_b64 s[40:41], s[38:39]
	s_cbranch_execz .LBB502_572
; %bb.571:                              ;   in Loop: Header=BB502_558 Depth=2
	s_lshl_b64 s[38:39], s[58:59], 2
	v_mov_b32_e32 v4, s39
	v_add_co_u32_e32 v30, vcc, s38, v98
	v_addc_co_u32_e32 v31, vcc, v100, v4, vcc
	global_load_dword v19, v[30:31], off offset:1792
	v_mov_b32_e32 v102, s42
.LBB502_572:                            ;   in Loop: Header=BB502_558 Depth=2
	s_or_b64 exec, exec, s[40:41]
	s_waitcnt vmcnt(0)
	v_xor_b32_e32 v103, 0x7fffffff, v12
	v_lshrrev_b32_e32 v4, s77, v103
	v_and_b32_e32 v12, s62, v4
	v_and_b32_e32 v4, 1, v12
	v_add_co_u32_e32 v30, vcc, -1, v4
	v_addc_co_u32_e64 v31, s[38:39], 0, -1, vcc
	v_cmp_ne_u32_e32 vcc, 0, v4
	v_xor_b32_e32 v4, vcc_hi, v31
	v_and_b32_e32 v31, exec_hi, v4
	v_lshlrev_b32_e32 v4, 30, v12
	v_xor_b32_e32 v30, vcc_lo, v30
	v_cmp_gt_i64_e32 vcc, 0, v[3:4]
	v_not_b32_e32 v4, v4
	v_ashrrev_i32_e32 v4, 31, v4
	v_and_b32_e32 v30, exec_lo, v30
	v_xor_b32_e32 v106, vcc_hi, v4
	v_xor_b32_e32 v4, vcc_lo, v4
	v_and_b32_e32 v30, v30, v4
	v_lshlrev_b32_e32 v4, 29, v12
	v_cmp_gt_i64_e32 vcc, 0, v[3:4]
	v_not_b32_e32 v4, v4
	v_ashrrev_i32_e32 v4, 31, v4
	v_and_b32_e32 v31, v31, v106
	v_xor_b32_e32 v106, vcc_hi, v4
	v_xor_b32_e32 v4, vcc_lo, v4
	v_and_b32_e32 v30, v30, v4
	v_lshlrev_b32_e32 v4, 28, v12
	v_cmp_gt_i64_e32 vcc, 0, v[3:4]
	v_not_b32_e32 v4, v4
	v_ashrrev_i32_e32 v4, 31, v4
	v_and_b32_e32 v31, v31, v106
	;; [unrolled: 8-line block ×5, first 2 shown]
	v_xor_b32_e32 v106, vcc_hi, v4
	v_xor_b32_e32 v4, vcc_lo, v4
	v_and_b32_e32 v30, v30, v4
	v_lshlrev_b32_e32 v4, 24, v12
	v_cmp_gt_i64_e32 vcc, 0, v[3:4]
	v_not_b32_e32 v4, v4
	v_ashrrev_i32_e32 v4, 31, v4
	v_mul_u32_u24_e32 v107, 20, v12
	v_xor_b32_e32 v12, vcc_hi, v4
	v_xor_b32_e32 v4, vcc_lo, v4
	v_and_b32_e32 v31, v31, v106
	v_and_b32_e32 v30, v30, v4
	;; [unrolled: 1-line block ×3, first 2 shown]
	v_mbcnt_lo_u32_b32 v4, v30, 0
	v_mbcnt_hi_u32_b32 v106, v31, v4
	v_cmp_ne_u64_e32 vcc, 0, v[30:31]
	v_cmp_eq_u32_e64 s[38:39], 0, v106
	v_add_u32_e32 v105, 0x410, v48
	v_add_u32_e32 v104, 0x418, v48
	s_and_b64 s[40:41], vcc, s[38:39]
	v_add_u32_e32 v107, v101, v107
	ds_write2_b32 v105, v3, v3 offset1:1
	ds_write2_b32 v104, v3, v3 offset1:1
	ds_write_b32 v48, v3 offset:1056
	s_waitcnt lgkmcnt(0)
	s_barrier
	; wave barrier
	s_and_saveexec_b64 s[38:39], s[40:41]
; %bb.573:                              ;   in Loop: Header=BB502_558 Depth=2
	v_bcnt_u32_b32 v4, v30, 0
	v_bcnt_u32_b32 v4, v31, v4
	ds_write_b32 v107, v4 offset:1040
; %bb.574:                              ;   in Loop: Header=BB502_558 Depth=2
	s_or_b64 exec, exec, s[38:39]
	v_xor_b32_e32 v30, 0x7fffffff, v13
	v_lshrrev_b32_e32 v4, s77, v30
	v_and_b32_e32 v12, s62, v4
	v_mad_u32_u24 v4, v12, 20, v101
	; wave barrier
	ds_read_b32 v31, v4 offset:1040
	v_and_b32_e32 v4, 1, v12
	v_add_co_u32_e32 v13, vcc, -1, v4
	v_addc_co_u32_e64 v108, s[38:39], 0, -1, vcc
	v_cmp_ne_u32_e32 vcc, 0, v4
	v_xor_b32_e32 v4, vcc_hi, v108
	v_and_b32_e32 v108, exec_hi, v4
	v_lshlrev_b32_e32 v4, 30, v12
	v_xor_b32_e32 v13, vcc_lo, v13
	v_cmp_gt_i64_e32 vcc, 0, v[3:4]
	v_not_b32_e32 v4, v4
	v_ashrrev_i32_e32 v4, 31, v4
	v_and_b32_e32 v13, exec_lo, v13
	v_xor_b32_e32 v110, vcc_hi, v4
	v_xor_b32_e32 v4, vcc_lo, v4
	v_and_b32_e32 v13, v13, v4
	v_lshlrev_b32_e32 v4, 29, v12
	v_cmp_gt_i64_e32 vcc, 0, v[3:4]
	v_not_b32_e32 v4, v4
	v_ashrrev_i32_e32 v4, 31, v4
	v_and_b32_e32 v108, v108, v110
	v_xor_b32_e32 v110, vcc_hi, v4
	v_xor_b32_e32 v4, vcc_lo, v4
	v_and_b32_e32 v13, v13, v4
	v_lshlrev_b32_e32 v4, 28, v12
	v_cmp_gt_i64_e32 vcc, 0, v[3:4]
	v_not_b32_e32 v4, v4
	v_ashrrev_i32_e32 v4, 31, v4
	v_and_b32_e32 v108, v108, v110
	;; [unrolled: 8-line block ×5, first 2 shown]
	v_xor_b32_e32 v110, vcc_hi, v4
	v_xor_b32_e32 v4, vcc_lo, v4
	v_and_b32_e32 v108, v108, v110
	v_and_b32_e32 v110, v13, v4
	v_lshlrev_b32_e32 v4, 24, v12
	v_cmp_gt_i64_e32 vcc, 0, v[3:4]
	v_not_b32_e32 v4, v4
	v_ashrrev_i32_e32 v4, 31, v4
	v_mul_u32_u24_e32 v109, 20, v12
	v_xor_b32_e32 v12, vcc_hi, v4
	v_xor_b32_e32 v4, vcc_lo, v4
	v_and_b32_e32 v13, v108, v12
	v_and_b32_e32 v12, v110, v4
	v_mbcnt_lo_u32_b32 v4, v12, 0
	v_mbcnt_hi_u32_b32 v108, v13, v4
	v_cmp_ne_u64_e32 vcc, 0, v[12:13]
	v_cmp_eq_u32_e64 s[38:39], 0, v108
	s_and_b64 s[40:41], vcc, s[38:39]
	v_add_u32_e32 v111, v101, v109
	; wave barrier
	s_and_saveexec_b64 s[38:39], s[40:41]
	s_cbranch_execz .LBB502_576
; %bb.575:                              ;   in Loop: Header=BB502_558 Depth=2
	v_bcnt_u32_b32 v4, v12, 0
	v_bcnt_u32_b32 v4, v13, v4
	s_waitcnt lgkmcnt(0)
	v_add_u32_e32 v4, v31, v4
	ds_write_b32 v111, v4 offset:1040
.LBB502_576:                            ;   in Loop: Header=BB502_558 Depth=2
	s_or_b64 exec, exec, s[38:39]
	v_xor_b32_e32 v109, 0x7fffffff, v14
	v_lshrrev_b32_e32 v4, s77, v109
	v_and_b32_e32 v12, s62, v4
	v_mad_u32_u24 v4, v12, 20, v101
	; wave barrier
	ds_read_b32 v110, v4 offset:1040
	v_and_b32_e32 v4, 1, v12
	v_add_co_u32_e32 v13, vcc, -1, v4
	v_addc_co_u32_e64 v112, s[38:39], 0, -1, vcc
	v_cmp_ne_u32_e32 vcc, 0, v4
	v_xor_b32_e32 v4, vcc_hi, v112
	v_and_b32_e32 v112, exec_hi, v4
	v_lshlrev_b32_e32 v4, 30, v12
	v_xor_b32_e32 v13, vcc_lo, v13
	v_cmp_gt_i64_e32 vcc, 0, v[3:4]
	v_not_b32_e32 v4, v4
	v_ashrrev_i32_e32 v4, 31, v4
	v_and_b32_e32 v13, exec_lo, v13
	v_xor_b32_e32 v113, vcc_hi, v4
	v_xor_b32_e32 v4, vcc_lo, v4
	v_and_b32_e32 v13, v13, v4
	v_lshlrev_b32_e32 v4, 29, v12
	v_cmp_gt_i64_e32 vcc, 0, v[3:4]
	v_not_b32_e32 v4, v4
	v_ashrrev_i32_e32 v4, 31, v4
	v_and_b32_e32 v112, v112, v113
	v_xor_b32_e32 v113, vcc_hi, v4
	v_xor_b32_e32 v4, vcc_lo, v4
	v_and_b32_e32 v13, v13, v4
	v_lshlrev_b32_e32 v4, 28, v12
	v_cmp_gt_i64_e32 vcc, 0, v[3:4]
	v_not_b32_e32 v4, v4
	v_ashrrev_i32_e32 v4, 31, v4
	v_and_b32_e32 v112, v112, v113
	;; [unrolled: 8-line block ×5, first 2 shown]
	v_xor_b32_e32 v113, vcc_hi, v4
	v_xor_b32_e32 v4, vcc_lo, v4
	v_and_b32_e32 v112, v112, v113
	v_and_b32_e32 v113, v13, v4
	v_lshlrev_b32_e32 v4, 24, v12
	v_cmp_gt_i64_e32 vcc, 0, v[3:4]
	v_not_b32_e32 v4, v4
	v_ashrrev_i32_e32 v4, 31, v4
	v_mul_u32_u24_e32 v14, 20, v12
	v_xor_b32_e32 v12, vcc_hi, v4
	v_xor_b32_e32 v4, vcc_lo, v4
	v_and_b32_e32 v13, v112, v12
	v_and_b32_e32 v12, v113, v4
	v_mbcnt_lo_u32_b32 v4, v12, 0
	v_mbcnt_hi_u32_b32 v112, v13, v4
	v_cmp_ne_u64_e32 vcc, 0, v[12:13]
	v_cmp_eq_u32_e64 s[38:39], 0, v112
	s_and_b64 s[40:41], vcc, s[38:39]
	v_add_u32_e32 v115, v101, v14
	; wave barrier
	s_and_saveexec_b64 s[38:39], s[40:41]
	s_cbranch_execz .LBB502_578
; %bb.577:                              ;   in Loop: Header=BB502_558 Depth=2
	v_bcnt_u32_b32 v4, v12, 0
	v_bcnt_u32_b32 v4, v13, v4
	s_waitcnt lgkmcnt(0)
	v_add_u32_e32 v4, v110, v4
	ds_write_b32 v115, v4 offset:1040
.LBB502_578:                            ;   in Loop: Header=BB502_558 Depth=2
	s_or_b64 exec, exec, s[38:39]
	v_xor_b32_e32 v113, 0x7fffffff, v15
	v_lshrrev_b32_e32 v4, s77, v113
	v_and_b32_e32 v12, s62, v4
	v_mad_u32_u24 v4, v12, 20, v101
	; wave barrier
	ds_read_b32 v114, v4 offset:1040
	v_and_b32_e32 v4, 1, v12
	v_add_co_u32_e32 v13, vcc, -1, v4
	v_addc_co_u32_e64 v15, s[38:39], 0, -1, vcc
	v_cmp_ne_u32_e32 vcc, 0, v4
	v_xor_b32_e32 v4, vcc_hi, v15
	v_and_b32_e32 v15, exec_hi, v4
	v_lshlrev_b32_e32 v4, 30, v12
	v_xor_b32_e32 v13, vcc_lo, v13
	v_cmp_gt_i64_e32 vcc, 0, v[3:4]
	v_not_b32_e32 v4, v4
	v_ashrrev_i32_e32 v4, 31, v4
	v_and_b32_e32 v13, exec_lo, v13
	v_xor_b32_e32 v116, vcc_hi, v4
	v_xor_b32_e32 v4, vcc_lo, v4
	v_and_b32_e32 v13, v13, v4
	v_lshlrev_b32_e32 v4, 29, v12
	v_cmp_gt_i64_e32 vcc, 0, v[3:4]
	v_not_b32_e32 v4, v4
	v_ashrrev_i32_e32 v4, 31, v4
	v_and_b32_e32 v15, v15, v116
	v_xor_b32_e32 v116, vcc_hi, v4
	v_xor_b32_e32 v4, vcc_lo, v4
	v_and_b32_e32 v13, v13, v4
	v_lshlrev_b32_e32 v4, 28, v12
	v_cmp_gt_i64_e32 vcc, 0, v[3:4]
	v_not_b32_e32 v4, v4
	v_ashrrev_i32_e32 v4, 31, v4
	v_and_b32_e32 v15, v15, v116
	;; [unrolled: 8-line block ×5, first 2 shown]
	v_xor_b32_e32 v116, vcc_hi, v4
	v_xor_b32_e32 v4, vcc_lo, v4
	v_and_b32_e32 v15, v15, v116
	v_and_b32_e32 v116, v13, v4
	v_lshlrev_b32_e32 v4, 24, v12
	v_cmp_gt_i64_e32 vcc, 0, v[3:4]
	v_not_b32_e32 v4, v4
	v_ashrrev_i32_e32 v4, 31, v4
	v_mul_u32_u24_e32 v14, 20, v12
	v_xor_b32_e32 v12, vcc_hi, v4
	v_xor_b32_e32 v4, vcc_lo, v4
	v_and_b32_e32 v13, v15, v12
	v_and_b32_e32 v12, v116, v4
	v_mbcnt_lo_u32_b32 v4, v12, 0
	v_mbcnt_hi_u32_b32 v116, v13, v4
	v_cmp_ne_u64_e32 vcc, 0, v[12:13]
	v_cmp_eq_u32_e64 s[38:39], 0, v116
	s_and_b64 s[40:41], vcc, s[38:39]
	v_add_u32_e32 v118, v101, v14
	; wave barrier
	s_and_saveexec_b64 s[38:39], s[40:41]
	s_cbranch_execz .LBB502_580
; %bb.579:                              ;   in Loop: Header=BB502_558 Depth=2
	v_bcnt_u32_b32 v4, v12, 0
	v_bcnt_u32_b32 v4, v13, v4
	s_waitcnt lgkmcnt(0)
	v_add_u32_e32 v4, v114, v4
	ds_write_b32 v118, v4 offset:1040
.LBB502_580:                            ;   in Loop: Header=BB502_558 Depth=2
	s_or_b64 exec, exec, s[38:39]
	v_xor_b32_e32 v16, 0x7fffffff, v16
	v_lshrrev_b32_e32 v4, s77, v16
	v_and_b32_e32 v12, s62, v4
	v_mad_u32_u24 v4, v12, 20, v101
	; wave barrier
	ds_read_b32 v117, v4 offset:1040
	v_and_b32_e32 v4, 1, v12
	v_add_co_u32_e32 v13, vcc, -1, v4
	v_addc_co_u32_e64 v15, s[38:39], 0, -1, vcc
	v_cmp_ne_u32_e32 vcc, 0, v4
	v_xor_b32_e32 v4, vcc_hi, v15
	v_and_b32_e32 v15, exec_hi, v4
	v_lshlrev_b32_e32 v4, 30, v12
	v_xor_b32_e32 v13, vcc_lo, v13
	v_cmp_gt_i64_e32 vcc, 0, v[3:4]
	v_not_b32_e32 v4, v4
	v_ashrrev_i32_e32 v4, 31, v4
	v_and_b32_e32 v13, exec_lo, v13
	v_xor_b32_e32 v119, vcc_hi, v4
	v_xor_b32_e32 v4, vcc_lo, v4
	v_and_b32_e32 v13, v13, v4
	v_lshlrev_b32_e32 v4, 29, v12
	v_cmp_gt_i64_e32 vcc, 0, v[3:4]
	v_not_b32_e32 v4, v4
	v_ashrrev_i32_e32 v4, 31, v4
	v_and_b32_e32 v15, v15, v119
	v_xor_b32_e32 v119, vcc_hi, v4
	v_xor_b32_e32 v4, vcc_lo, v4
	v_and_b32_e32 v13, v13, v4
	v_lshlrev_b32_e32 v4, 28, v12
	v_cmp_gt_i64_e32 vcc, 0, v[3:4]
	v_not_b32_e32 v4, v4
	v_ashrrev_i32_e32 v4, 31, v4
	v_and_b32_e32 v15, v15, v119
	;; [unrolled: 8-line block ×5, first 2 shown]
	v_xor_b32_e32 v119, vcc_hi, v4
	v_xor_b32_e32 v4, vcc_lo, v4
	v_and_b32_e32 v15, v15, v119
	v_and_b32_e32 v119, v13, v4
	v_lshlrev_b32_e32 v4, 24, v12
	v_cmp_gt_i64_e32 vcc, 0, v[3:4]
	v_not_b32_e32 v4, v4
	v_ashrrev_i32_e32 v4, 31, v4
	v_mul_u32_u24_e32 v14, 20, v12
	v_xor_b32_e32 v12, vcc_hi, v4
	v_xor_b32_e32 v4, vcc_lo, v4
	v_and_b32_e32 v13, v15, v12
	v_and_b32_e32 v12, v119, v4
	v_mbcnt_lo_u32_b32 v4, v12, 0
	v_mbcnt_hi_u32_b32 v119, v13, v4
	v_cmp_ne_u64_e32 vcc, 0, v[12:13]
	v_cmp_eq_u32_e64 s[38:39], 0, v119
	s_and_b64 s[40:41], vcc, s[38:39]
	v_add_u32_e32 v121, v101, v14
	; wave barrier
	s_and_saveexec_b64 s[38:39], s[40:41]
	s_cbranch_execz .LBB502_582
; %bb.581:                              ;   in Loop: Header=BB502_558 Depth=2
	v_bcnt_u32_b32 v4, v12, 0
	v_bcnt_u32_b32 v4, v13, v4
	s_waitcnt lgkmcnt(0)
	v_add_u32_e32 v4, v117, v4
	ds_write_b32 v121, v4 offset:1040
.LBB502_582:                            ;   in Loop: Header=BB502_558 Depth=2
	s_or_b64 exec, exec, s[38:39]
	v_xor_b32_e32 v120, 0x7fffffff, v17
	v_lshrrev_b32_e32 v4, s77, v120
	v_and_b32_e32 v12, s62, v4
	v_mad_u32_u24 v4, v12, 20, v101
	; wave barrier
	ds_read_b32 v17, v4 offset:1040
	v_and_b32_e32 v4, 1, v12
	v_add_co_u32_e32 v13, vcc, -1, v4
	v_addc_co_u32_e64 v15, s[38:39], 0, -1, vcc
	v_cmp_ne_u32_e32 vcc, 0, v4
	v_xor_b32_e32 v4, vcc_hi, v15
	v_and_b32_e32 v15, exec_hi, v4
	v_lshlrev_b32_e32 v4, 30, v12
	v_xor_b32_e32 v13, vcc_lo, v13
	v_cmp_gt_i64_e32 vcc, 0, v[3:4]
	v_not_b32_e32 v4, v4
	v_ashrrev_i32_e32 v4, 31, v4
	v_and_b32_e32 v13, exec_lo, v13
	v_xor_b32_e32 v122, vcc_hi, v4
	v_xor_b32_e32 v4, vcc_lo, v4
	v_and_b32_e32 v13, v13, v4
	v_lshlrev_b32_e32 v4, 29, v12
	v_cmp_gt_i64_e32 vcc, 0, v[3:4]
	v_not_b32_e32 v4, v4
	v_ashrrev_i32_e32 v4, 31, v4
	v_and_b32_e32 v15, v15, v122
	v_xor_b32_e32 v122, vcc_hi, v4
	v_xor_b32_e32 v4, vcc_lo, v4
	v_and_b32_e32 v13, v13, v4
	v_lshlrev_b32_e32 v4, 28, v12
	v_cmp_gt_i64_e32 vcc, 0, v[3:4]
	v_not_b32_e32 v4, v4
	v_ashrrev_i32_e32 v4, 31, v4
	v_and_b32_e32 v15, v15, v122
	;; [unrolled: 8-line block ×5, first 2 shown]
	v_xor_b32_e32 v122, vcc_hi, v4
	v_xor_b32_e32 v4, vcc_lo, v4
	v_and_b32_e32 v15, v15, v122
	v_and_b32_e32 v122, v13, v4
	v_lshlrev_b32_e32 v4, 24, v12
	v_cmp_gt_i64_e32 vcc, 0, v[3:4]
	v_not_b32_e32 v4, v4
	v_ashrrev_i32_e32 v4, 31, v4
	v_mul_u32_u24_e32 v14, 20, v12
	v_xor_b32_e32 v12, vcc_hi, v4
	v_xor_b32_e32 v4, vcc_lo, v4
	v_and_b32_e32 v13, v15, v12
	v_and_b32_e32 v12, v122, v4
	v_mbcnt_lo_u32_b32 v4, v12, 0
	v_mbcnt_hi_u32_b32 v122, v13, v4
	v_cmp_ne_u64_e32 vcc, 0, v[12:13]
	v_cmp_eq_u32_e64 s[38:39], 0, v122
	s_and_b64 s[40:41], vcc, s[38:39]
	v_add_u32_e32 v125, v101, v14
	; wave barrier
	s_and_saveexec_b64 s[38:39], s[40:41]
	s_cbranch_execz .LBB502_584
; %bb.583:                              ;   in Loop: Header=BB502_558 Depth=2
	v_bcnt_u32_b32 v4, v12, 0
	v_bcnt_u32_b32 v4, v13, v4
	s_waitcnt lgkmcnt(0)
	v_add_u32_e32 v4, v17, v4
	ds_write_b32 v125, v4 offset:1040
.LBB502_584:                            ;   in Loop: Header=BB502_558 Depth=2
	s_or_b64 exec, exec, s[38:39]
	v_xor_b32_e32 v123, 0x7fffffff, v18
	v_lshrrev_b32_e32 v4, s77, v123
	v_and_b32_e32 v12, s62, v4
	v_mad_u32_u24 v4, v12, 20, v101
	; wave barrier
	ds_read_b32 v124, v4 offset:1040
	v_and_b32_e32 v4, 1, v12
	v_add_co_u32_e32 v13, vcc, -1, v4
	v_addc_co_u32_e64 v15, s[38:39], 0, -1, vcc
	v_cmp_ne_u32_e32 vcc, 0, v4
	v_xor_b32_e32 v4, vcc_hi, v15
	v_and_b32_e32 v15, exec_hi, v4
	v_lshlrev_b32_e32 v4, 30, v12
	v_xor_b32_e32 v13, vcc_lo, v13
	v_cmp_gt_i64_e32 vcc, 0, v[3:4]
	v_not_b32_e32 v4, v4
	v_ashrrev_i32_e32 v4, 31, v4
	v_and_b32_e32 v13, exec_lo, v13
	v_xor_b32_e32 v18, vcc_hi, v4
	v_xor_b32_e32 v4, vcc_lo, v4
	v_and_b32_e32 v13, v13, v4
	v_lshlrev_b32_e32 v4, 29, v12
	v_cmp_gt_i64_e32 vcc, 0, v[3:4]
	v_not_b32_e32 v4, v4
	v_ashrrev_i32_e32 v4, 31, v4
	v_and_b32_e32 v15, v15, v18
	v_xor_b32_e32 v18, vcc_hi, v4
	v_xor_b32_e32 v4, vcc_lo, v4
	v_and_b32_e32 v13, v13, v4
	v_lshlrev_b32_e32 v4, 28, v12
	v_cmp_gt_i64_e32 vcc, 0, v[3:4]
	v_not_b32_e32 v4, v4
	v_ashrrev_i32_e32 v4, 31, v4
	v_and_b32_e32 v15, v15, v18
	;; [unrolled: 8-line block ×5, first 2 shown]
	v_xor_b32_e32 v18, vcc_hi, v4
	v_xor_b32_e32 v4, vcc_lo, v4
	v_and_b32_e32 v15, v15, v18
	v_and_b32_e32 v18, v13, v4
	v_lshlrev_b32_e32 v4, 24, v12
	v_cmp_gt_i64_e32 vcc, 0, v[3:4]
	v_not_b32_e32 v4, v4
	v_ashrrev_i32_e32 v4, 31, v4
	v_mul_u32_u24_e32 v14, 20, v12
	v_xor_b32_e32 v12, vcc_hi, v4
	v_xor_b32_e32 v4, vcc_lo, v4
	v_and_b32_e32 v13, v15, v12
	v_and_b32_e32 v12, v18, v4
	v_mbcnt_lo_u32_b32 v4, v12, 0
	v_mbcnt_hi_u32_b32 v126, v13, v4
	v_cmp_ne_u64_e32 vcc, 0, v[12:13]
	v_cmp_eq_u32_e64 s[38:39], 0, v126
	s_and_b64 s[40:41], vcc, s[38:39]
	v_add_u32_e32 v18, v101, v14
	; wave barrier
	s_and_saveexec_b64 s[38:39], s[40:41]
	s_cbranch_execz .LBB502_586
; %bb.585:                              ;   in Loop: Header=BB502_558 Depth=2
	v_bcnt_u32_b32 v4, v12, 0
	v_bcnt_u32_b32 v4, v13, v4
	s_waitcnt lgkmcnt(0)
	v_add_u32_e32 v4, v124, v4
	ds_write_b32 v18, v4 offset:1040
.LBB502_586:                            ;   in Loop: Header=BB502_558 Depth=2
	s_or_b64 exec, exec, s[38:39]
	v_xor_b32_e32 v127, 0x7fffffff, v19
	v_lshrrev_b32_e32 v4, s77, v127
	v_and_b32_e32 v12, s62, v4
	v_mad_u32_u24 v4, v12, 20, v101
	; wave barrier
	ds_read_b32 v128, v4 offset:1040
	v_and_b32_e32 v4, 1, v12
	v_add_co_u32_e32 v13, vcc, -1, v4
	v_addc_co_u32_e64 v15, s[38:39], 0, -1, vcc
	v_cmp_ne_u32_e32 vcc, 0, v4
	v_xor_b32_e32 v4, vcc_hi, v15
	v_and_b32_e32 v15, exec_hi, v4
	v_lshlrev_b32_e32 v4, 30, v12
	v_xor_b32_e32 v13, vcc_lo, v13
	v_cmp_gt_i64_e32 vcc, 0, v[3:4]
	v_not_b32_e32 v4, v4
	v_ashrrev_i32_e32 v4, 31, v4
	v_and_b32_e32 v13, exec_lo, v13
	v_xor_b32_e32 v19, vcc_hi, v4
	v_xor_b32_e32 v4, vcc_lo, v4
	v_and_b32_e32 v13, v13, v4
	v_lshlrev_b32_e32 v4, 29, v12
	v_cmp_gt_i64_e32 vcc, 0, v[3:4]
	v_not_b32_e32 v4, v4
	v_ashrrev_i32_e32 v4, 31, v4
	v_and_b32_e32 v15, v15, v19
	v_xor_b32_e32 v19, vcc_hi, v4
	v_xor_b32_e32 v4, vcc_lo, v4
	v_and_b32_e32 v13, v13, v4
	v_lshlrev_b32_e32 v4, 28, v12
	v_cmp_gt_i64_e32 vcc, 0, v[3:4]
	v_not_b32_e32 v4, v4
	v_ashrrev_i32_e32 v4, 31, v4
	v_and_b32_e32 v15, v15, v19
	;; [unrolled: 8-line block ×5, first 2 shown]
	v_xor_b32_e32 v19, vcc_hi, v4
	v_xor_b32_e32 v4, vcc_lo, v4
	v_and_b32_e32 v15, v15, v19
	v_and_b32_e32 v19, v13, v4
	v_lshlrev_b32_e32 v4, 24, v12
	v_cmp_gt_i64_e32 vcc, 0, v[3:4]
	v_not_b32_e32 v4, v4
	v_ashrrev_i32_e32 v4, 31, v4
	v_mul_u32_u24_e32 v14, 20, v12
	v_xor_b32_e32 v12, vcc_hi, v4
	v_xor_b32_e32 v4, vcc_lo, v4
	v_and_b32_e32 v13, v15, v12
	v_and_b32_e32 v12, v19, v4
	v_mbcnt_lo_u32_b32 v4, v12, 0
	v_mbcnt_hi_u32_b32 v129, v13, v4
	v_cmp_ne_u64_e32 vcc, 0, v[12:13]
	v_cmp_eq_u32_e64 s[38:39], 0, v129
	s_and_b64 s[40:41], vcc, s[38:39]
	v_add_u32_e32 v4, v101, v14
	; wave barrier
	s_and_saveexec_b64 s[38:39], s[40:41]
	s_cbranch_execz .LBB502_588
; %bb.587:                              ;   in Loop: Header=BB502_558 Depth=2
	v_bcnt_u32_b32 v12, v12, 0
	v_bcnt_u32_b32 v12, v13, v12
	s_waitcnt lgkmcnt(0)
	v_add_u32_e32 v12, v128, v12
	ds_write_b32 v4, v12 offset:1040
.LBB502_588:                            ;   in Loop: Header=BB502_558 Depth=2
	s_or_b64 exec, exec, s[38:39]
	; wave barrier
	s_waitcnt lgkmcnt(0)
	s_barrier
	ds_read2_b32 v[14:15], v105 offset1:1
	ds_read2_b32 v[12:13], v104 offset1:1
	ds_read_b32 v19, v48 offset:1056
	s_waitcnt lgkmcnt(1)
	v_add3_u32 v130, v15, v14, v12
	s_waitcnt lgkmcnt(0)
	v_add3_u32 v19, v130, v13, v19
	s_nop 1
	v_mov_b32_dpp v130, v19 row_shr:1 row_mask:0xf bank_mask:0xf
	v_cndmask_b32_e64 v130, v130, 0, s[18:19]
	v_add_u32_e32 v19, v130, v19
	s_nop 1
	v_mov_b32_dpp v130, v19 row_shr:2 row_mask:0xf bank_mask:0xf
	v_cndmask_b32_e64 v130, 0, v130, s[20:21]
	v_add_u32_e32 v19, v19, v130
	;; [unrolled: 4-line block ×4, first 2 shown]
	s_nop 1
	v_mov_b32_dpp v130, v19 row_bcast:15 row_mask:0xf bank_mask:0xf
	v_cndmask_b32_e64 v130, v130, 0, s[26:27]
	v_add_u32_e32 v19, v19, v130
	s_nop 1
	v_mov_b32_dpp v130, v19 row_bcast:31 row_mask:0xf bank_mask:0xf
	v_cndmask_b32_e64 v130, 0, v130, s[28:29]
	v_add_u32_e32 v19, v19, v130
	s_and_saveexec_b64 s[38:39], s[8:9]
; %bb.589:                              ;   in Loop: Header=BB502_558 Depth=2
	ds_write_b32 v44, v19 offset:1024
; %bb.590:                              ;   in Loop: Header=BB502_558 Depth=2
	s_or_b64 exec, exec, s[38:39]
	s_waitcnt lgkmcnt(0)
	s_barrier
	s_and_saveexec_b64 s[38:39], s[10:11]
	s_cbranch_execz .LBB502_592
; %bb.591:                              ;   in Loop: Header=BB502_558 Depth=2
	ds_read_b32 v130, v49 offset:1024
	s_waitcnt lgkmcnt(0)
	s_nop 0
	v_mov_b32_dpp v131, v130 row_shr:1 row_mask:0xf bank_mask:0xf
	v_cndmask_b32_e64 v131, v131, 0, s[34:35]
	v_add_u32_e32 v130, v131, v130
	s_nop 1
	v_mov_b32_dpp v131, v130 row_shr:2 row_mask:0xf bank_mask:0xf
	v_cndmask_b32_e64 v131, 0, v131, s[36:37]
	v_add_u32_e32 v130, v130, v131
	ds_write_b32 v49, v130 offset:1024
.LBB502_592:                            ;   in Loop: Header=BB502_558 Depth=2
	s_or_b64 exec, exec, s[38:39]
	v_mov_b32_e32 v130, 0
	s_waitcnt lgkmcnt(0)
	s_barrier
	s_and_saveexec_b64 s[38:39], s[12:13]
; %bb.593:                              ;   in Loop: Header=BB502_558 Depth=2
	ds_read_b32 v130, v44 offset:1020
; %bb.594:                              ;   in Loop: Header=BB502_558 Depth=2
	s_or_b64 exec, exec, s[38:39]
	s_waitcnt lgkmcnt(0)
	v_add_u32_e32 v19, v130, v19
	ds_bpermute_b32 v19, v84, v19
	s_waitcnt lgkmcnt(0)
	v_cndmask_b32_e64 v19, v19, v130, s[30:31]
	v_cndmask_b32_e64 v19, v19, 0, s[14:15]
	v_add_u32_e32 v14, v19, v14
	v_add_u32_e32 v15, v14, v15
	;; [unrolled: 1-line block ×4, first 2 shown]
	ds_write2_b32 v105, v19, v14 offset1:1
	ds_write2_b32 v104, v15, v12 offset1:1
	ds_write_b32 v48, v13 offset:1056
	s_waitcnt lgkmcnt(0)
	s_barrier
	ds_read_b32 v12, v107 offset:1040
	ds_read_b32 v13, v111 offset:1040
	;; [unrolled: 1-line block ×9, first 2 shown]
	v_mov_b32_e32 v4, 0x800
	s_and_saveexec_b64 s[38:39], s[16:17]
; %bb.595:                              ;   in Loop: Header=BB502_558 Depth=2
	ds_read_b32 v4, v48 offset:1060
; %bb.596:                              ;   in Loop: Header=BB502_558 Depth=2
	s_or_b64 exec, exec, s[38:39]
	s_waitcnt lgkmcnt(0)
	s_barrier
	s_and_saveexec_b64 s[38:39], s[4:5]
	s_cbranch_execz .LBB502_598
; %bb.597:                              ;   in Loop: Header=BB502_558 Depth=2
	ds_read_b32 v19, v32
	s_waitcnt lgkmcnt(0)
	v_sub_u32_e32 v18, v19, v18
	ds_write_b32 v32, v18
.LBB502_598:                            ;   in Loop: Header=BB502_558 Depth=2
	s_or_b64 exec, exec, s[38:39]
	v_add_u32_e32 v105, v12, v106
	v_add3_u32 v104, v108, v31, v13
	v_lshlrev_b32_e32 v12, 2, v105
	v_add3_u32 v31, v112, v110, v14
	ds_write_b32 v12, v103 offset:1024
	v_lshlrev_b32_e32 v12, 2, v104
	v_add3_u32 v19, v116, v114, v15
	ds_write_b32 v12, v30 offset:1024
	;; [unrolled: 3-line block ×6, first 2 shown]
	v_lshlrev_b32_e32 v12, 2, v15
	ds_write_b32 v12, v123 offset:1024
	v_lshlrev_b32_e32 v12, 2, v14
	v_cmp_lt_u32_e32 vcc, v0, v102
	ds_write_b32 v12, v127 offset:1024
	s_waitcnt lgkmcnt(0)
	s_barrier
	s_and_saveexec_b64 s[40:41], vcc
	s_cbranch_execnz .LBB502_635
; %bb.599:                              ;   in Loop: Header=BB502_558 Depth=2
	s_or_b64 exec, exec, s[40:41]
	v_cmp_lt_u32_e64 s[38:39], v33, v102
	s_and_saveexec_b64 s[42:43], s[38:39]
	s_cbranch_execnz .LBB502_636
.LBB502_600:                            ;   in Loop: Header=BB502_558 Depth=2
	s_or_b64 exec, exec, s[42:43]
	v_cmp_lt_u32_e64 s[40:41], v34, v102
	s_and_saveexec_b64 s[44:45], s[40:41]
	s_cbranch_execnz .LBB502_637
.LBB502_601:                            ;   in Loop: Header=BB502_558 Depth=2
	s_or_b64 exec, exec, s[44:45]
	v_cmp_lt_u32_e64 s[42:43], v35, v102
	s_and_saveexec_b64 s[46:47], s[42:43]
	s_cbranch_execnz .LBB502_638
.LBB502_602:                            ;   in Loop: Header=BB502_558 Depth=2
	s_or_b64 exec, exec, s[46:47]
	v_cmp_lt_u32_e64 s[44:45], v38, v102
	s_and_saveexec_b64 s[48:49], s[44:45]
	s_cbranch_execnz .LBB502_639
.LBB502_603:                            ;   in Loop: Header=BB502_558 Depth=2
	s_or_b64 exec, exec, s[48:49]
	v_cmp_lt_u32_e64 s[46:47], v39, v102
	s_and_saveexec_b64 s[50:51], s[46:47]
	s_cbranch_execnz .LBB502_640
.LBB502_604:                            ;   in Loop: Header=BB502_558 Depth=2
	s_or_b64 exec, exec, s[50:51]
	v_cmp_lt_u32_e64 s[48:49], v40, v102
	s_and_saveexec_b64 s[52:53], s[48:49]
	s_cbranch_execnz .LBB502_641
.LBB502_605:                            ;   in Loop: Header=BB502_558 Depth=2
	s_or_b64 exec, exec, s[52:53]
	v_cmp_lt_u32_e64 s[50:51], v41, v102
	s_and_saveexec_b64 s[60:61], s[50:51]
	s_cbranch_execz .LBB502_607
.LBB502_606:                            ;   in Loop: Header=BB502_558 Depth=2
	ds_read_b32 v12, v49 offset:8192
	v_mov_b32_e32 v30, s69
	s_waitcnt lgkmcnt(0)
	v_lshrrev_b32_e32 v13, s77, v12
	v_and_b32_e32 v13, s62, v13
	v_lshlrev_b32_e32 v13, 2, v13
	ds_read_b32 v16, v13
	v_mov_b32_e32 v13, v3
	v_xor_b32_e32 v103, 0x7fffffff, v12
	s_waitcnt lgkmcnt(0)
	v_add_u32_e32 v12, v16, v41
	v_lshlrev_b64 v[12:13], 2, v[12:13]
	v_add_co_u32_e64 v12, s[52:53], s68, v12
	v_addc_co_u32_e64 v13, s[52:53], v30, v13, s[52:53]
	global_store_dword v[12:13], v103, off
.LBB502_607:                            ;   in Loop: Header=BB502_558 Depth=2
	s_or_b64 exec, exec, s[60:61]
	s_lshl_b64 s[52:53], s[58:59], 3
	v_mov_b32_e32 v13, s53
	v_add_co_u32_e64 v12, s[52:53], s52, v85
	v_addc_co_u32_e64 v13, s[52:53], v86, v13, s[52:53]
	v_cmp_lt_u32_e64 s[52:53], v80, v102
	s_and_saveexec_b64 s[60:61], s[52:53]
	s_xor_b64 s[52:53], exec, s[60:61]
	s_cbranch_execnz .LBB502_642
; %bb.608:                              ;   in Loop: Header=BB502_558 Depth=2
	s_or_b64 exec, exec, s[52:53]
	v_cmp_lt_u32_e64 s[52:53], v81, v102
	s_and_saveexec_b64 s[60:61], s[52:53]
	s_cbranch_execnz .LBB502_643
.LBB502_609:                            ;   in Loop: Header=BB502_558 Depth=2
	s_or_b64 exec, exec, s[60:61]
	v_cmp_lt_u32_e64 s[52:53], v82, v102
	s_and_saveexec_b64 s[60:61], s[52:53]
	s_cbranch_execnz .LBB502_644
.LBB502_610:                            ;   in Loop: Header=BB502_558 Depth=2
	s_or_b64 exec, exec, s[60:61]
	v_cmp_lt_u32_e64 s[52:53], v83, v102
	s_and_saveexec_b64 s[60:61], s[52:53]
	s_cbranch_execnz .LBB502_645
.LBB502_611:                            ;   in Loop: Header=BB502_558 Depth=2
	s_or_b64 exec, exec, s[60:61]
	v_cmp_lt_u32_e64 s[52:53], v87, v102
	s_and_saveexec_b64 s[60:61], s[52:53]
	s_cbranch_execnz .LBB502_646
.LBB502_612:                            ;   in Loop: Header=BB502_558 Depth=2
	s_or_b64 exec, exec, s[60:61]
	v_cmp_lt_u32_e64 s[52:53], v88, v102
	s_and_saveexec_b64 s[60:61], s[52:53]
	s_cbranch_execnz .LBB502_647
.LBB502_613:                            ;   in Loop: Header=BB502_558 Depth=2
	s_or_b64 exec, exec, s[60:61]
	v_cmp_lt_u32_e64 s[52:53], v89, v102
	s_and_saveexec_b64 s[60:61], s[52:53]
	s_cbranch_execnz .LBB502_648
.LBB502_614:                            ;   in Loop: Header=BB502_558 Depth=2
	s_or_b64 exec, exec, s[60:61]
	v_cmp_lt_u32_e64 s[52:53], v90, v102
	s_and_saveexec_b64 s[60:61], s[52:53]
	s_cbranch_execnz .LBB502_649
.LBB502_615:                            ;   in Loop: Header=BB502_558 Depth=2
	s_or_b64 exec, exec, s[60:61]
	s_and_saveexec_b64 s[52:53], vcc
	s_cbranch_execnz .LBB502_650
.LBB502_616:                            ;   in Loop: Header=BB502_558 Depth=2
	s_or_b64 exec, exec, s[52:53]
	s_and_saveexec_b64 s[52:53], s[38:39]
	s_cbranch_execnz .LBB502_651
.LBB502_617:                            ;   in Loop: Header=BB502_558 Depth=2
	s_or_b64 exec, exec, s[52:53]
	s_and_saveexec_b64 s[52:53], s[40:41]
	s_cbranch_execnz .LBB502_652
.LBB502_618:                            ;   in Loop: Header=BB502_558 Depth=2
	s_or_b64 exec, exec, s[52:53]
	s_and_saveexec_b64 s[52:53], s[42:43]
	s_cbranch_execnz .LBB502_653
.LBB502_619:                            ;   in Loop: Header=BB502_558 Depth=2
	s_or_b64 exec, exec, s[52:53]
	s_and_saveexec_b64 s[52:53], s[44:45]
	s_cbranch_execnz .LBB502_654
.LBB502_620:                            ;   in Loop: Header=BB502_558 Depth=2
	s_or_b64 exec, exec, s[52:53]
	s_and_saveexec_b64 s[52:53], s[46:47]
	s_cbranch_execnz .LBB502_655
.LBB502_621:                            ;   in Loop: Header=BB502_558 Depth=2
	s_or_b64 exec, exec, s[52:53]
	s_and_saveexec_b64 s[52:53], s[48:49]
	s_cbranch_execnz .LBB502_656
.LBB502_622:                            ;   in Loop: Header=BB502_558 Depth=2
	s_or_b64 exec, exec, s[52:53]
	s_and_saveexec_b64 s[52:53], s[50:51]
	s_cbranch_execz .LBB502_624
.LBB502_623:                            ;   in Loop: Header=BB502_558 Depth=2
	ds_read_b32 v12, v49 offset:8192
	s_waitcnt lgkmcnt(0)
	v_lshrrev_b32_e32 v12, s77, v12
	v_and_b32_e32 v91, s62, v12
.LBB502_624:                            ;   in Loop: Header=BB502_558 Depth=2
	s_or_b64 exec, exec, s[52:53]
	v_lshlrev_b32_e32 v12, 3, v105
	s_waitcnt vmcnt(0)
	s_barrier
	ds_write_b64 v12, v[28:29] offset:1024
	v_lshlrev_b32_e32 v12, 3, v104
	ds_write_b64 v12, v[26:27] offset:1024
	v_lshlrev_b32_e32 v12, 3, v31
	;; [unrolled: 2-line block ×7, first 2 shown]
	ds_write_b64 v12, v[5:6] offset:1024
	v_add_u32_e32 v12, v49, v32
	s_waitcnt lgkmcnt(0)
	s_barrier
	s_and_saveexec_b64 s[52:53], vcc
	s_cbranch_execnz .LBB502_657
; %bb.625:                              ;   in Loop: Header=BB502_558 Depth=2
	s_or_b64 exec, exec, s[52:53]
	s_and_saveexec_b64 s[52:53], s[38:39]
	s_cbranch_execnz .LBB502_658
.LBB502_626:                            ;   in Loop: Header=BB502_558 Depth=2
	s_or_b64 exec, exec, s[52:53]
	s_and_saveexec_b64 s[38:39], s[40:41]
	s_cbranch_execnz .LBB502_659
.LBB502_627:                            ;   in Loop: Header=BB502_558 Depth=2
	s_or_b64 exec, exec, s[38:39]
	s_and_saveexec_b64 s[38:39], s[42:43]
	s_cbranch_execnz .LBB502_660
.LBB502_628:                            ;   in Loop: Header=BB502_558 Depth=2
	s_or_b64 exec, exec, s[38:39]
	s_and_saveexec_b64 s[38:39], s[44:45]
	s_cbranch_execnz .LBB502_661
.LBB502_629:                            ;   in Loop: Header=BB502_558 Depth=2
	s_or_b64 exec, exec, s[38:39]
	s_and_saveexec_b64 s[38:39], s[46:47]
	s_cbranch_execnz .LBB502_662
.LBB502_630:                            ;   in Loop: Header=BB502_558 Depth=2
	s_or_b64 exec, exec, s[38:39]
	s_and_saveexec_b64 s[38:39], s[48:49]
	s_cbranch_execnz .LBB502_663
.LBB502_631:                            ;   in Loop: Header=BB502_558 Depth=2
	s_or_b64 exec, exec, s[38:39]
	s_and_saveexec_b64 s[38:39], s[50:51]
	s_cbranch_execz .LBB502_633
.LBB502_632:                            ;   in Loop: Header=BB502_558 Depth=2
	v_lshlrev_b32_e32 v13, 2, v91
	ds_read_b32 v14, v13
	ds_read_b64 v[12:13], v12 offset:15360
	v_mov_b32_e32 v15, v3
	v_mov_b32_e32 v16, s75
	s_waitcnt lgkmcnt(1)
	v_add_u32_e32 v14, v14, v41
	v_lshlrev_b64 v[14:15], 3, v[14:15]
	v_add_co_u32_e32 v14, vcc, s74, v14
	v_addc_co_u32_e32 v15, vcc, v16, v15, vcc
	s_waitcnt lgkmcnt(0)
	global_store_dwordx2 v[14:15], v[12:13], off
.LBB502_633:                            ;   in Loop: Header=BB502_558 Depth=2
	s_or_b64 exec, exec, s[38:39]
	s_waitcnt vmcnt(0)
	s_barrier
	s_and_saveexec_b64 s[38:39], s[4:5]
	s_cbranch_execz .LBB502_557
; %bb.634:                              ;   in Loop: Header=BB502_558 Depth=2
	ds_read_b32 v12, v32
	s_waitcnt lgkmcnt(0)
	v_add_u32_e32 v4, v12, v4
	ds_write_b32 v32, v4
	s_branch .LBB502_557
.LBB502_635:                            ;   in Loop: Header=BB502_558 Depth=2
	ds_read_b32 v12, v49 offset:1024
	v_mov_b32_e32 v30, s69
	s_waitcnt lgkmcnt(0)
	v_lshrrev_b32_e32 v13, s77, v12
	v_and_b32_e32 v13, s62, v13
	v_lshlrev_b32_e32 v13, 2, v13
	ds_read_b32 v16, v13
	v_mov_b32_e32 v13, v3
	v_xor_b32_e32 v103, 0x7fffffff, v12
	s_waitcnt lgkmcnt(0)
	v_add_u32_e32 v12, v16, v0
	v_lshlrev_b64 v[12:13], 2, v[12:13]
	v_add_co_u32_e64 v12, s[38:39], s68, v12
	v_addc_co_u32_e64 v13, s[38:39], v30, v13, s[38:39]
	global_store_dword v[12:13], v103, off
	s_or_b64 exec, exec, s[40:41]
	v_cmp_lt_u32_e64 s[38:39], v33, v102
	s_and_saveexec_b64 s[42:43], s[38:39]
	s_cbranch_execz .LBB502_600
.LBB502_636:                            ;   in Loop: Header=BB502_558 Depth=2
	ds_read_b32 v12, v49 offset:2048
	v_mov_b32_e32 v30, s69
	s_waitcnt lgkmcnt(0)
	v_lshrrev_b32_e32 v13, s77, v12
	v_and_b32_e32 v13, s62, v13
	v_lshlrev_b32_e32 v13, 2, v13
	ds_read_b32 v16, v13
	v_mov_b32_e32 v13, v3
	v_xor_b32_e32 v103, 0x7fffffff, v12
	s_waitcnt lgkmcnt(0)
	v_add_u32_e32 v12, v16, v33
	v_lshlrev_b64 v[12:13], 2, v[12:13]
	v_add_co_u32_e64 v12, s[40:41], s68, v12
	v_addc_co_u32_e64 v13, s[40:41], v30, v13, s[40:41]
	global_store_dword v[12:13], v103, off
	s_or_b64 exec, exec, s[42:43]
	v_cmp_lt_u32_e64 s[40:41], v34, v102
	s_and_saveexec_b64 s[44:45], s[40:41]
	s_cbranch_execz .LBB502_601
.LBB502_637:                            ;   in Loop: Header=BB502_558 Depth=2
	ds_read_b32 v12, v49 offset:3072
	v_mov_b32_e32 v30, s69
	s_waitcnt lgkmcnt(0)
	v_lshrrev_b32_e32 v13, s77, v12
	v_and_b32_e32 v13, s62, v13
	v_lshlrev_b32_e32 v13, 2, v13
	ds_read_b32 v16, v13
	v_mov_b32_e32 v13, v3
	v_xor_b32_e32 v103, 0x7fffffff, v12
	s_waitcnt lgkmcnt(0)
	v_add_u32_e32 v12, v16, v34
	v_lshlrev_b64 v[12:13], 2, v[12:13]
	v_add_co_u32_e64 v12, s[42:43], s68, v12
	v_addc_co_u32_e64 v13, s[42:43], v30, v13, s[42:43]
	global_store_dword v[12:13], v103, off
	s_or_b64 exec, exec, s[44:45]
	v_cmp_lt_u32_e64 s[42:43], v35, v102
	s_and_saveexec_b64 s[46:47], s[42:43]
	s_cbranch_execz .LBB502_602
.LBB502_638:                            ;   in Loop: Header=BB502_558 Depth=2
	ds_read_b32 v12, v49 offset:4096
	v_mov_b32_e32 v30, s69
	s_waitcnt lgkmcnt(0)
	v_lshrrev_b32_e32 v13, s77, v12
	v_and_b32_e32 v13, s62, v13
	v_lshlrev_b32_e32 v13, 2, v13
	ds_read_b32 v16, v13
	v_mov_b32_e32 v13, v3
	v_xor_b32_e32 v103, 0x7fffffff, v12
	s_waitcnt lgkmcnt(0)
	v_add_u32_e32 v12, v16, v35
	v_lshlrev_b64 v[12:13], 2, v[12:13]
	v_add_co_u32_e64 v12, s[44:45], s68, v12
	v_addc_co_u32_e64 v13, s[44:45], v30, v13, s[44:45]
	global_store_dword v[12:13], v103, off
	s_or_b64 exec, exec, s[46:47]
	v_cmp_lt_u32_e64 s[44:45], v38, v102
	s_and_saveexec_b64 s[48:49], s[44:45]
	s_cbranch_execz .LBB502_603
.LBB502_639:                            ;   in Loop: Header=BB502_558 Depth=2
	ds_read_b32 v12, v49 offset:5120
	v_mov_b32_e32 v30, s69
	s_waitcnt lgkmcnt(0)
	v_lshrrev_b32_e32 v13, s77, v12
	v_and_b32_e32 v13, s62, v13
	v_lshlrev_b32_e32 v13, 2, v13
	ds_read_b32 v16, v13
	v_mov_b32_e32 v13, v3
	v_xor_b32_e32 v103, 0x7fffffff, v12
	s_waitcnt lgkmcnt(0)
	v_add_u32_e32 v12, v16, v38
	v_lshlrev_b64 v[12:13], 2, v[12:13]
	v_add_co_u32_e64 v12, s[46:47], s68, v12
	v_addc_co_u32_e64 v13, s[46:47], v30, v13, s[46:47]
	global_store_dword v[12:13], v103, off
	s_or_b64 exec, exec, s[48:49]
	v_cmp_lt_u32_e64 s[46:47], v39, v102
	s_and_saveexec_b64 s[50:51], s[46:47]
	s_cbranch_execz .LBB502_604
.LBB502_640:                            ;   in Loop: Header=BB502_558 Depth=2
	ds_read_b32 v12, v49 offset:6144
	v_mov_b32_e32 v30, s69
	s_waitcnt lgkmcnt(0)
	v_lshrrev_b32_e32 v13, s77, v12
	v_and_b32_e32 v13, s62, v13
	v_lshlrev_b32_e32 v13, 2, v13
	ds_read_b32 v16, v13
	v_mov_b32_e32 v13, v3
	v_xor_b32_e32 v103, 0x7fffffff, v12
	s_waitcnt lgkmcnt(0)
	v_add_u32_e32 v12, v16, v39
	v_lshlrev_b64 v[12:13], 2, v[12:13]
	v_add_co_u32_e64 v12, s[48:49], s68, v12
	v_addc_co_u32_e64 v13, s[48:49], v30, v13, s[48:49]
	global_store_dword v[12:13], v103, off
	s_or_b64 exec, exec, s[50:51]
	v_cmp_lt_u32_e64 s[48:49], v40, v102
	s_and_saveexec_b64 s[52:53], s[48:49]
	s_cbranch_execz .LBB502_605
.LBB502_641:                            ;   in Loop: Header=BB502_558 Depth=2
	ds_read_b32 v12, v49 offset:7168
	v_mov_b32_e32 v30, s69
	s_waitcnt lgkmcnt(0)
	v_lshrrev_b32_e32 v13, s77, v12
	v_and_b32_e32 v13, s62, v13
	v_lshlrev_b32_e32 v13, 2, v13
	ds_read_b32 v16, v13
	v_mov_b32_e32 v13, v3
	v_xor_b32_e32 v103, 0x7fffffff, v12
	s_waitcnt lgkmcnt(0)
	v_add_u32_e32 v12, v16, v40
	v_lshlrev_b64 v[12:13], 2, v[12:13]
	v_add_co_u32_e64 v12, s[50:51], s68, v12
	v_addc_co_u32_e64 v13, s[50:51], v30, v13, s[50:51]
	global_store_dword v[12:13], v103, off
	s_or_b64 exec, exec, s[52:53]
	v_cmp_lt_u32_e64 s[50:51], v41, v102
	s_and_saveexec_b64 s[60:61], s[50:51]
	s_cbranch_execnz .LBB502_606
	s_branch .LBB502_607
.LBB502_642:                            ;   in Loop: Header=BB502_558 Depth=2
	global_load_dwordx2 v[28:29], v[12:13], off
	s_or_b64 exec, exec, s[52:53]
	v_cmp_lt_u32_e64 s[52:53], v81, v102
	s_and_saveexec_b64 s[60:61], s[52:53]
	s_cbranch_execz .LBB502_609
.LBB502_643:                            ;   in Loop: Header=BB502_558 Depth=2
	global_load_dwordx2 v[26:27], v[12:13], off offset:512
	s_or_b64 exec, exec, s[60:61]
	v_cmp_lt_u32_e64 s[52:53], v82, v102
	s_and_saveexec_b64 s[60:61], s[52:53]
	s_cbranch_execz .LBB502_610
.LBB502_644:                            ;   in Loop: Header=BB502_558 Depth=2
	global_load_dwordx2 v[24:25], v[12:13], off offset:1024
	s_or_b64 exec, exec, s[60:61]
	v_cmp_lt_u32_e64 s[52:53], v83, v102
	s_and_saveexec_b64 s[60:61], s[52:53]
	s_cbranch_execz .LBB502_611
.LBB502_645:                            ;   in Loop: Header=BB502_558 Depth=2
	global_load_dwordx2 v[22:23], v[12:13], off offset:1536
	s_or_b64 exec, exec, s[60:61]
	v_cmp_lt_u32_e64 s[52:53], v87, v102
	s_and_saveexec_b64 s[60:61], s[52:53]
	s_cbranch_execz .LBB502_612
.LBB502_646:                            ;   in Loop: Header=BB502_558 Depth=2
	global_load_dwordx2 v[20:21], v[12:13], off offset:2048
	s_or_b64 exec, exec, s[60:61]
	v_cmp_lt_u32_e64 s[52:53], v88, v102
	s_and_saveexec_b64 s[60:61], s[52:53]
	s_cbranch_execz .LBB502_613
.LBB502_647:                            ;   in Loop: Header=BB502_558 Depth=2
	global_load_dwordx2 v[9:10], v[12:13], off offset:2560
	s_or_b64 exec, exec, s[60:61]
	v_cmp_lt_u32_e64 s[52:53], v89, v102
	s_and_saveexec_b64 s[60:61], s[52:53]
	s_cbranch_execz .LBB502_614
.LBB502_648:                            ;   in Loop: Header=BB502_558 Depth=2
	global_load_dwordx2 v[7:8], v[12:13], off offset:3072
	s_or_b64 exec, exec, s[60:61]
	v_cmp_lt_u32_e64 s[52:53], v90, v102
	s_and_saveexec_b64 s[60:61], s[52:53]
	s_cbranch_execz .LBB502_615
.LBB502_649:                            ;   in Loop: Header=BB502_558 Depth=2
	global_load_dwordx2 v[5:6], v[12:13], off offset:3584
	s_or_b64 exec, exec, s[60:61]
	s_and_saveexec_b64 s[52:53], vcc
	s_cbranch_execz .LBB502_616
.LBB502_650:                            ;   in Loop: Header=BB502_558 Depth=2
	ds_read_b32 v12, v49 offset:1024
	s_waitcnt lgkmcnt(0)
	v_lshrrev_b32_e32 v12, s77, v12
	v_and_b32_e32 v99, s62, v12
	s_or_b64 exec, exec, s[52:53]
	s_and_saveexec_b64 s[52:53], s[38:39]
	s_cbranch_execz .LBB502_617
.LBB502_651:                            ;   in Loop: Header=BB502_558 Depth=2
	ds_read_b32 v12, v49 offset:2048
	s_waitcnt lgkmcnt(0)
	v_lshrrev_b32_e32 v12, s77, v12
	v_and_b32_e32 v97, s62, v12
	s_or_b64 exec, exec, s[52:53]
	s_and_saveexec_b64 s[52:53], s[40:41]
	s_cbranch_execz .LBB502_618
.LBB502_652:                            ;   in Loop: Header=BB502_558 Depth=2
	ds_read_b32 v12, v49 offset:3072
	s_waitcnt lgkmcnt(0)
	v_lshrrev_b32_e32 v12, s77, v12
	v_and_b32_e32 v96, s62, v12
	s_or_b64 exec, exec, s[52:53]
	s_and_saveexec_b64 s[52:53], s[42:43]
	s_cbranch_execz .LBB502_619
.LBB502_653:                            ;   in Loop: Header=BB502_558 Depth=2
	ds_read_b32 v12, v49 offset:4096
	s_waitcnt lgkmcnt(0)
	v_lshrrev_b32_e32 v12, s77, v12
	v_and_b32_e32 v95, s62, v12
	s_or_b64 exec, exec, s[52:53]
	s_and_saveexec_b64 s[52:53], s[44:45]
	s_cbranch_execz .LBB502_620
.LBB502_654:                            ;   in Loop: Header=BB502_558 Depth=2
	ds_read_b32 v12, v49 offset:5120
	s_waitcnt lgkmcnt(0)
	v_lshrrev_b32_e32 v12, s77, v12
	v_and_b32_e32 v94, s62, v12
	s_or_b64 exec, exec, s[52:53]
	s_and_saveexec_b64 s[52:53], s[46:47]
	s_cbranch_execz .LBB502_621
.LBB502_655:                            ;   in Loop: Header=BB502_558 Depth=2
	ds_read_b32 v12, v49 offset:6144
	s_waitcnt lgkmcnt(0)
	v_lshrrev_b32_e32 v12, s77, v12
	v_and_b32_e32 v93, s62, v12
	s_or_b64 exec, exec, s[52:53]
	s_and_saveexec_b64 s[52:53], s[48:49]
	s_cbranch_execz .LBB502_622
.LBB502_656:                            ;   in Loop: Header=BB502_558 Depth=2
	ds_read_b32 v12, v49 offset:7168
	s_waitcnt lgkmcnt(0)
	v_lshrrev_b32_e32 v12, s77, v12
	v_and_b32_e32 v92, s62, v12
	s_or_b64 exec, exec, s[52:53]
	s_and_saveexec_b64 s[52:53], s[50:51]
	s_cbranch_execnz .LBB502_623
	s_branch .LBB502_624
.LBB502_657:                            ;   in Loop: Header=BB502_558 Depth=2
	v_lshlrev_b32_e32 v13, 2, v99
	ds_read_b32 v15, v13
	ds_read_b64 v[13:14], v12 offset:1024
	v_mov_b32_e32 v16, v3
	v_mov_b32_e32 v17, s75
	s_waitcnt lgkmcnt(1)
	v_add_u32_e32 v15, v15, v0
	v_lshlrev_b64 v[15:16], 3, v[15:16]
	v_add_co_u32_e32 v15, vcc, s74, v15
	v_addc_co_u32_e32 v16, vcc, v17, v16, vcc
	s_waitcnt lgkmcnt(0)
	global_store_dwordx2 v[15:16], v[13:14], off
	s_or_b64 exec, exec, s[52:53]
	s_and_saveexec_b64 s[52:53], s[38:39]
	s_cbranch_execz .LBB502_626
.LBB502_658:                            ;   in Loop: Header=BB502_558 Depth=2
	v_lshlrev_b32_e32 v13, 2, v97
	ds_read_b32 v15, v13
	ds_read_b64 v[13:14], v12 offset:3072
	v_mov_b32_e32 v16, v3
	v_mov_b32_e32 v17, s75
	s_waitcnt lgkmcnt(1)
	v_add_u32_e32 v15, v15, v33
	v_lshlrev_b64 v[15:16], 3, v[15:16]
	v_add_co_u32_e32 v15, vcc, s74, v15
	v_addc_co_u32_e32 v16, vcc, v17, v16, vcc
	s_waitcnt lgkmcnt(0)
	global_store_dwordx2 v[15:16], v[13:14], off
	s_or_b64 exec, exec, s[52:53]
	s_and_saveexec_b64 s[38:39], s[40:41]
	s_cbranch_execz .LBB502_627
.LBB502_659:                            ;   in Loop: Header=BB502_558 Depth=2
	v_lshlrev_b32_e32 v13, 2, v96
	ds_read_b32 v15, v13
	ds_read_b64 v[13:14], v12 offset:5120
	v_mov_b32_e32 v16, v3
	v_mov_b32_e32 v17, s75
	s_waitcnt lgkmcnt(1)
	v_add_u32_e32 v15, v15, v34
	v_lshlrev_b64 v[15:16], 3, v[15:16]
	v_add_co_u32_e32 v15, vcc, s74, v15
	v_addc_co_u32_e32 v16, vcc, v17, v16, vcc
	s_waitcnt lgkmcnt(0)
	global_store_dwordx2 v[15:16], v[13:14], off
	s_or_b64 exec, exec, s[38:39]
	s_and_saveexec_b64 s[38:39], s[42:43]
	s_cbranch_execz .LBB502_628
.LBB502_660:                            ;   in Loop: Header=BB502_558 Depth=2
	v_lshlrev_b32_e32 v13, 2, v95
	ds_read_b32 v15, v13
	ds_read_b64 v[13:14], v12 offset:7168
	v_mov_b32_e32 v16, v3
	v_mov_b32_e32 v17, s75
	s_waitcnt lgkmcnt(1)
	v_add_u32_e32 v15, v15, v35
	v_lshlrev_b64 v[15:16], 3, v[15:16]
	v_add_co_u32_e32 v15, vcc, s74, v15
	v_addc_co_u32_e32 v16, vcc, v17, v16, vcc
	s_waitcnt lgkmcnt(0)
	global_store_dwordx2 v[15:16], v[13:14], off
	s_or_b64 exec, exec, s[38:39]
	s_and_saveexec_b64 s[38:39], s[44:45]
	s_cbranch_execz .LBB502_629
.LBB502_661:                            ;   in Loop: Header=BB502_558 Depth=2
	v_lshlrev_b32_e32 v13, 2, v94
	ds_read_b32 v15, v13
	ds_read_b64 v[13:14], v12 offset:9216
	v_mov_b32_e32 v16, v3
	v_mov_b32_e32 v17, s75
	s_waitcnt lgkmcnt(1)
	v_add_u32_e32 v15, v15, v38
	v_lshlrev_b64 v[15:16], 3, v[15:16]
	v_add_co_u32_e32 v15, vcc, s74, v15
	v_addc_co_u32_e32 v16, vcc, v17, v16, vcc
	s_waitcnt lgkmcnt(0)
	global_store_dwordx2 v[15:16], v[13:14], off
	s_or_b64 exec, exec, s[38:39]
	s_and_saveexec_b64 s[38:39], s[46:47]
	s_cbranch_execz .LBB502_630
.LBB502_662:                            ;   in Loop: Header=BB502_558 Depth=2
	v_lshlrev_b32_e32 v13, 2, v93
	ds_read_b32 v15, v13
	ds_read_b64 v[13:14], v12 offset:11264
	v_mov_b32_e32 v16, v3
	v_mov_b32_e32 v17, s75
	s_waitcnt lgkmcnt(1)
	v_add_u32_e32 v15, v15, v39
	v_lshlrev_b64 v[15:16], 3, v[15:16]
	v_add_co_u32_e32 v15, vcc, s74, v15
	v_addc_co_u32_e32 v16, vcc, v17, v16, vcc
	s_waitcnt lgkmcnt(0)
	global_store_dwordx2 v[15:16], v[13:14], off
	s_or_b64 exec, exec, s[38:39]
	s_and_saveexec_b64 s[38:39], s[48:49]
	s_cbranch_execz .LBB502_631
.LBB502_663:                            ;   in Loop: Header=BB502_558 Depth=2
	v_lshlrev_b32_e32 v13, 2, v92
	ds_read_b32 v15, v13
	ds_read_b64 v[13:14], v12 offset:13312
	v_mov_b32_e32 v16, v3
	v_mov_b32_e32 v17, s75
	s_waitcnt lgkmcnt(1)
	v_add_u32_e32 v15, v15, v40
	v_lshlrev_b64 v[15:16], 3, v[15:16]
	v_add_co_u32_e32 v15, vcc, s74, v15
	v_addc_co_u32_e32 v16, vcc, v17, v16, vcc
	s_waitcnt lgkmcnt(0)
	global_store_dwordx2 v[15:16], v[13:14], off
	s_or_b64 exec, exec, s[38:39]
	s_and_saveexec_b64 s[38:39], s[50:51]
	s_cbranch_execnz .LBB502_632
	s_branch .LBB502_633
.LBB502_664:                            ;   in Loop: Header=BB502_558 Depth=2
	global_load_dword v12, v[30:31], off
	v_mov_b32_e32 v13, v11
	v_mov_b32_e32 v14, v11
	;; [unrolled: 1-line block ×7, first 2 shown]
	s_or_b64 exec, exec, s[38:39]
	v_cmp_gt_u32_e32 vcc, s70, v81
	s_and_saveexec_b64 s[38:39], vcc
	s_cbranch_execz .LBB502_563
.LBB502_665:                            ;   in Loop: Header=BB502_558 Depth=2
	global_load_dword v13, v[30:31], off offset:256
	s_or_b64 exec, exec, s[38:39]
	v_cmp_gt_u32_e32 vcc, s70, v82
	s_and_saveexec_b64 s[38:39], vcc
	s_cbranch_execz .LBB502_564
.LBB502_666:                            ;   in Loop: Header=BB502_558 Depth=2
	global_load_dword v14, v[30:31], off offset:512
	s_or_b64 exec, exec, s[38:39]
	v_cmp_gt_u32_e32 vcc, s70, v83
	s_and_saveexec_b64 s[38:39], vcc
	s_cbranch_execz .LBB502_565
.LBB502_667:                            ;   in Loop: Header=BB502_558 Depth=2
	global_load_dword v15, v[30:31], off offset:768
	s_or_b64 exec, exec, s[38:39]
	v_cmp_gt_u32_e32 vcc, s70, v87
	s_and_saveexec_b64 s[38:39], vcc
	s_cbranch_execz .LBB502_566
.LBB502_668:                            ;   in Loop: Header=BB502_558 Depth=2
	global_load_dword v16, v[30:31], off offset:1024
	s_or_b64 exec, exec, s[38:39]
	v_cmp_gt_u32_e32 vcc, s70, v88
	s_and_saveexec_b64 s[38:39], vcc
	s_cbranch_execz .LBB502_567
.LBB502_669:                            ;   in Loop: Header=BB502_558 Depth=2
	global_load_dword v17, v[30:31], off offset:1280
	s_or_b64 exec, exec, s[38:39]
	v_cmp_gt_u32_e32 vcc, s70, v89
	s_and_saveexec_b64 s[38:39], vcc
	s_cbranch_execnz .LBB502_568
	s_branch .LBB502_569
.LBB502_670:
	s_endpgm
	.section	.rodata,"a",@progbits
	.p2align	6, 0x0
	.amdhsa_kernel _ZN7rocprim17ROCPRIM_400000_NS6detail17trampoline_kernelINS0_14default_configENS1_36segmented_radix_sort_config_selectorIilEEZNS1_25segmented_radix_sort_implIS3_Lb1EPKiPiPKlPlN2at6native12_GLOBAL__N_18offset_tEEE10hipError_tPvRmT1_PNSt15iterator_traitsISK_E10value_typeET2_T3_PNSL_ISQ_E10value_typeET4_jRbjT5_SW_jjP12ihipStream_tbEUlT_E_NS1_11comp_targetILNS1_3genE2ELNS1_11target_archE906ELNS1_3gpuE6ELNS1_3repE0EEENS1_30default_config_static_selectorELNS0_4arch9wavefront6targetE1EEEvSK_
		.amdhsa_group_segment_fixed_size 17424
		.amdhsa_private_segment_fixed_size 0
		.amdhsa_kernarg_size 352
		.amdhsa_user_sgpr_count 6
		.amdhsa_user_sgpr_private_segment_buffer 1
		.amdhsa_user_sgpr_dispatch_ptr 0
		.amdhsa_user_sgpr_queue_ptr 0
		.amdhsa_user_sgpr_kernarg_segment_ptr 1
		.amdhsa_user_sgpr_dispatch_id 0
		.amdhsa_user_sgpr_flat_scratch_init 0
		.amdhsa_user_sgpr_private_segment_size 0
		.amdhsa_uses_dynamic_stack 0
		.amdhsa_system_sgpr_private_segment_wavefront_offset 0
		.amdhsa_system_sgpr_workgroup_id_x 1
		.amdhsa_system_sgpr_workgroup_id_y 1
		.amdhsa_system_sgpr_workgroup_id_z 0
		.amdhsa_system_sgpr_workgroup_info 0
		.amdhsa_system_vgpr_workitem_id 2
		.amdhsa_next_free_vgpr 177
		.amdhsa_next_free_sgpr 98
		.amdhsa_reserve_vcc 1
		.amdhsa_reserve_flat_scratch 0
		.amdhsa_float_round_mode_32 0
		.amdhsa_float_round_mode_16_64 0
		.amdhsa_float_denorm_mode_32 3
		.amdhsa_float_denorm_mode_16_64 3
		.amdhsa_dx10_clamp 1
		.amdhsa_ieee_mode 1
		.amdhsa_fp16_overflow 0
		.amdhsa_exception_fp_ieee_invalid_op 0
		.amdhsa_exception_fp_denorm_src 0
		.amdhsa_exception_fp_ieee_div_zero 0
		.amdhsa_exception_fp_ieee_overflow 0
		.amdhsa_exception_fp_ieee_underflow 0
		.amdhsa_exception_fp_ieee_inexact 0
		.amdhsa_exception_int_div_zero 0
	.end_amdhsa_kernel
	.section	.text._ZN7rocprim17ROCPRIM_400000_NS6detail17trampoline_kernelINS0_14default_configENS1_36segmented_radix_sort_config_selectorIilEEZNS1_25segmented_radix_sort_implIS3_Lb1EPKiPiPKlPlN2at6native12_GLOBAL__N_18offset_tEEE10hipError_tPvRmT1_PNSt15iterator_traitsISK_E10value_typeET2_T3_PNSL_ISQ_E10value_typeET4_jRbjT5_SW_jjP12ihipStream_tbEUlT_E_NS1_11comp_targetILNS1_3genE2ELNS1_11target_archE906ELNS1_3gpuE6ELNS1_3repE0EEENS1_30default_config_static_selectorELNS0_4arch9wavefront6targetE1EEEvSK_,"axG",@progbits,_ZN7rocprim17ROCPRIM_400000_NS6detail17trampoline_kernelINS0_14default_configENS1_36segmented_radix_sort_config_selectorIilEEZNS1_25segmented_radix_sort_implIS3_Lb1EPKiPiPKlPlN2at6native12_GLOBAL__N_18offset_tEEE10hipError_tPvRmT1_PNSt15iterator_traitsISK_E10value_typeET2_T3_PNSL_ISQ_E10value_typeET4_jRbjT5_SW_jjP12ihipStream_tbEUlT_E_NS1_11comp_targetILNS1_3genE2ELNS1_11target_archE906ELNS1_3gpuE6ELNS1_3repE0EEENS1_30default_config_static_selectorELNS0_4arch9wavefront6targetE1EEEvSK_,comdat
.Lfunc_end502:
	.size	_ZN7rocprim17ROCPRIM_400000_NS6detail17trampoline_kernelINS0_14default_configENS1_36segmented_radix_sort_config_selectorIilEEZNS1_25segmented_radix_sort_implIS3_Lb1EPKiPiPKlPlN2at6native12_GLOBAL__N_18offset_tEEE10hipError_tPvRmT1_PNSt15iterator_traitsISK_E10value_typeET2_T3_PNSL_ISQ_E10value_typeET4_jRbjT5_SW_jjP12ihipStream_tbEUlT_E_NS1_11comp_targetILNS1_3genE2ELNS1_11target_archE906ELNS1_3gpuE6ELNS1_3repE0EEENS1_30default_config_static_selectorELNS0_4arch9wavefront6targetE1EEEvSK_, .Lfunc_end502-_ZN7rocprim17ROCPRIM_400000_NS6detail17trampoline_kernelINS0_14default_configENS1_36segmented_radix_sort_config_selectorIilEEZNS1_25segmented_radix_sort_implIS3_Lb1EPKiPiPKlPlN2at6native12_GLOBAL__N_18offset_tEEE10hipError_tPvRmT1_PNSt15iterator_traitsISK_E10value_typeET2_T3_PNSL_ISQ_E10value_typeET4_jRbjT5_SW_jjP12ihipStream_tbEUlT_E_NS1_11comp_targetILNS1_3genE2ELNS1_11target_archE906ELNS1_3gpuE6ELNS1_3repE0EEENS1_30default_config_static_selectorELNS0_4arch9wavefront6targetE1EEEvSK_
                                        ; -- End function
	.set _ZN7rocprim17ROCPRIM_400000_NS6detail17trampoline_kernelINS0_14default_configENS1_36segmented_radix_sort_config_selectorIilEEZNS1_25segmented_radix_sort_implIS3_Lb1EPKiPiPKlPlN2at6native12_GLOBAL__N_18offset_tEEE10hipError_tPvRmT1_PNSt15iterator_traitsISK_E10value_typeET2_T3_PNSL_ISQ_E10value_typeET4_jRbjT5_SW_jjP12ihipStream_tbEUlT_E_NS1_11comp_targetILNS1_3genE2ELNS1_11target_archE906ELNS1_3gpuE6ELNS1_3repE0EEENS1_30default_config_static_selectorELNS0_4arch9wavefront6targetE1EEEvSK_.num_vgpr, max(132, .L_ZN7rocprim17ROCPRIM_400000_NS6detail40segmented_radix_sort_single_block_helperIilLj256ELj8ELb1EE4sortIPKiPiPKlPlEEbT_T0_T1_T2_jjjjRNS3_12storage_typeE.num_vgpr)
	.set _ZN7rocprim17ROCPRIM_400000_NS6detail17trampoline_kernelINS0_14default_configENS1_36segmented_radix_sort_config_selectorIilEEZNS1_25segmented_radix_sort_implIS3_Lb1EPKiPiPKlPlN2at6native12_GLOBAL__N_18offset_tEEE10hipError_tPvRmT1_PNSt15iterator_traitsISK_E10value_typeET2_T3_PNSL_ISQ_E10value_typeET4_jRbjT5_SW_jjP12ihipStream_tbEUlT_E_NS1_11comp_targetILNS1_3genE2ELNS1_11target_archE906ELNS1_3gpuE6ELNS1_3repE0EEENS1_30default_config_static_selectorELNS0_4arch9wavefront6targetE1EEEvSK_.num_agpr, max(0, .L_ZN7rocprim17ROCPRIM_400000_NS6detail40segmented_radix_sort_single_block_helperIilLj256ELj8ELb1EE4sortIPKiPiPKlPlEEbT_T0_T1_T2_jjjjRNS3_12storage_typeE.num_agpr)
	.set _ZN7rocprim17ROCPRIM_400000_NS6detail17trampoline_kernelINS0_14default_configENS1_36segmented_radix_sort_config_selectorIilEEZNS1_25segmented_radix_sort_implIS3_Lb1EPKiPiPKlPlN2at6native12_GLOBAL__N_18offset_tEEE10hipError_tPvRmT1_PNSt15iterator_traitsISK_E10value_typeET2_T3_PNSL_ISQ_E10value_typeET4_jRbjT5_SW_jjP12ihipStream_tbEUlT_E_NS1_11comp_targetILNS1_3genE2ELNS1_11target_archE906ELNS1_3gpuE6ELNS1_3repE0EEENS1_30default_config_static_selectorELNS0_4arch9wavefront6targetE1EEEvSK_.numbered_sgpr, max(81, .L_ZN7rocprim17ROCPRIM_400000_NS6detail40segmented_radix_sort_single_block_helperIilLj256ELj8ELb1EE4sortIPKiPiPKlPlEEbT_T0_T1_T2_jjjjRNS3_12storage_typeE.numbered_sgpr)
	.set _ZN7rocprim17ROCPRIM_400000_NS6detail17trampoline_kernelINS0_14default_configENS1_36segmented_radix_sort_config_selectorIilEEZNS1_25segmented_radix_sort_implIS3_Lb1EPKiPiPKlPlN2at6native12_GLOBAL__N_18offset_tEEE10hipError_tPvRmT1_PNSt15iterator_traitsISK_E10value_typeET2_T3_PNSL_ISQ_E10value_typeET4_jRbjT5_SW_jjP12ihipStream_tbEUlT_E_NS1_11comp_targetILNS1_3genE2ELNS1_11target_archE906ELNS1_3gpuE6ELNS1_3repE0EEENS1_30default_config_static_selectorELNS0_4arch9wavefront6targetE1EEEvSK_.num_named_barrier, max(0, .L_ZN7rocprim17ROCPRIM_400000_NS6detail40segmented_radix_sort_single_block_helperIilLj256ELj8ELb1EE4sortIPKiPiPKlPlEEbT_T0_T1_T2_jjjjRNS3_12storage_typeE.num_named_barrier)
	.set _ZN7rocprim17ROCPRIM_400000_NS6detail17trampoline_kernelINS0_14default_configENS1_36segmented_radix_sort_config_selectorIilEEZNS1_25segmented_radix_sort_implIS3_Lb1EPKiPiPKlPlN2at6native12_GLOBAL__N_18offset_tEEE10hipError_tPvRmT1_PNSt15iterator_traitsISK_E10value_typeET2_T3_PNSL_ISQ_E10value_typeET4_jRbjT5_SW_jjP12ihipStream_tbEUlT_E_NS1_11comp_targetILNS1_3genE2ELNS1_11target_archE906ELNS1_3gpuE6ELNS1_3repE0EEENS1_30default_config_static_selectorELNS0_4arch9wavefront6targetE1EEEvSK_.private_seg_size, 0+max(.L_ZN7rocprim17ROCPRIM_400000_NS6detail40segmented_radix_sort_single_block_helperIilLj256ELj8ELb1EE4sortIPKiPiPKlPlEEbT_T0_T1_T2_jjjjRNS3_12storage_typeE.private_seg_size)
	.set _ZN7rocprim17ROCPRIM_400000_NS6detail17trampoline_kernelINS0_14default_configENS1_36segmented_radix_sort_config_selectorIilEEZNS1_25segmented_radix_sort_implIS3_Lb1EPKiPiPKlPlN2at6native12_GLOBAL__N_18offset_tEEE10hipError_tPvRmT1_PNSt15iterator_traitsISK_E10value_typeET2_T3_PNSL_ISQ_E10value_typeET4_jRbjT5_SW_jjP12ihipStream_tbEUlT_E_NS1_11comp_targetILNS1_3genE2ELNS1_11target_archE906ELNS1_3gpuE6ELNS1_3repE0EEENS1_30default_config_static_selectorELNS0_4arch9wavefront6targetE1EEEvSK_.uses_vcc, or(1, .L_ZN7rocprim17ROCPRIM_400000_NS6detail40segmented_radix_sort_single_block_helperIilLj256ELj8ELb1EE4sortIPKiPiPKlPlEEbT_T0_T1_T2_jjjjRNS3_12storage_typeE.uses_vcc)
	.set _ZN7rocprim17ROCPRIM_400000_NS6detail17trampoline_kernelINS0_14default_configENS1_36segmented_radix_sort_config_selectorIilEEZNS1_25segmented_radix_sort_implIS3_Lb1EPKiPiPKlPlN2at6native12_GLOBAL__N_18offset_tEEE10hipError_tPvRmT1_PNSt15iterator_traitsISK_E10value_typeET2_T3_PNSL_ISQ_E10value_typeET4_jRbjT5_SW_jjP12ihipStream_tbEUlT_E_NS1_11comp_targetILNS1_3genE2ELNS1_11target_archE906ELNS1_3gpuE6ELNS1_3repE0EEENS1_30default_config_static_selectorELNS0_4arch9wavefront6targetE1EEEvSK_.uses_flat_scratch, or(0, .L_ZN7rocprim17ROCPRIM_400000_NS6detail40segmented_radix_sort_single_block_helperIilLj256ELj8ELb1EE4sortIPKiPiPKlPlEEbT_T0_T1_T2_jjjjRNS3_12storage_typeE.uses_flat_scratch)
	.set _ZN7rocprim17ROCPRIM_400000_NS6detail17trampoline_kernelINS0_14default_configENS1_36segmented_radix_sort_config_selectorIilEEZNS1_25segmented_radix_sort_implIS3_Lb1EPKiPiPKlPlN2at6native12_GLOBAL__N_18offset_tEEE10hipError_tPvRmT1_PNSt15iterator_traitsISK_E10value_typeET2_T3_PNSL_ISQ_E10value_typeET4_jRbjT5_SW_jjP12ihipStream_tbEUlT_E_NS1_11comp_targetILNS1_3genE2ELNS1_11target_archE906ELNS1_3gpuE6ELNS1_3repE0EEENS1_30default_config_static_selectorELNS0_4arch9wavefront6targetE1EEEvSK_.has_dyn_sized_stack, or(0, .L_ZN7rocprim17ROCPRIM_400000_NS6detail40segmented_radix_sort_single_block_helperIilLj256ELj8ELb1EE4sortIPKiPiPKlPlEEbT_T0_T1_T2_jjjjRNS3_12storage_typeE.has_dyn_sized_stack)
	.set _ZN7rocprim17ROCPRIM_400000_NS6detail17trampoline_kernelINS0_14default_configENS1_36segmented_radix_sort_config_selectorIilEEZNS1_25segmented_radix_sort_implIS3_Lb1EPKiPiPKlPlN2at6native12_GLOBAL__N_18offset_tEEE10hipError_tPvRmT1_PNSt15iterator_traitsISK_E10value_typeET2_T3_PNSL_ISQ_E10value_typeET4_jRbjT5_SW_jjP12ihipStream_tbEUlT_E_NS1_11comp_targetILNS1_3genE2ELNS1_11target_archE906ELNS1_3gpuE6ELNS1_3repE0EEENS1_30default_config_static_selectorELNS0_4arch9wavefront6targetE1EEEvSK_.has_recursion, or(0, .L_ZN7rocprim17ROCPRIM_400000_NS6detail40segmented_radix_sort_single_block_helperIilLj256ELj8ELb1EE4sortIPKiPiPKlPlEEbT_T0_T1_T2_jjjjRNS3_12storage_typeE.has_recursion)
	.set _ZN7rocprim17ROCPRIM_400000_NS6detail17trampoline_kernelINS0_14default_configENS1_36segmented_radix_sort_config_selectorIilEEZNS1_25segmented_radix_sort_implIS3_Lb1EPKiPiPKlPlN2at6native12_GLOBAL__N_18offset_tEEE10hipError_tPvRmT1_PNSt15iterator_traitsISK_E10value_typeET2_T3_PNSL_ISQ_E10value_typeET4_jRbjT5_SW_jjP12ihipStream_tbEUlT_E_NS1_11comp_targetILNS1_3genE2ELNS1_11target_archE906ELNS1_3gpuE6ELNS1_3repE0EEENS1_30default_config_static_selectorELNS0_4arch9wavefront6targetE1EEEvSK_.has_indirect_call, or(0, .L_ZN7rocprim17ROCPRIM_400000_NS6detail40segmented_radix_sort_single_block_helperIilLj256ELj8ELb1EE4sortIPKiPiPKlPlEEbT_T0_T1_T2_jjjjRNS3_12storage_typeE.has_indirect_call)
	.section	.AMDGPU.csdata,"",@progbits
; Kernel info:
; codeLenInByte = 35876
; TotalNumSgprs: 85
; NumVgprs: 177
; ScratchSize: 0
; MemoryBound: 0
; FloatMode: 240
; IeeeMode: 1
; LDSByteSize: 17424 bytes/workgroup (compile time only)
; SGPRBlocks: 12
; VGPRBlocks: 44
; NumSGPRsForWavesPerEU: 102
; NumVGPRsForWavesPerEU: 177
; Occupancy: 1
; WaveLimiterHint : 1
; COMPUTE_PGM_RSRC2:SCRATCH_EN: 0
; COMPUTE_PGM_RSRC2:USER_SGPR: 6
; COMPUTE_PGM_RSRC2:TRAP_HANDLER: 0
; COMPUTE_PGM_RSRC2:TGID_X_EN: 1
; COMPUTE_PGM_RSRC2:TGID_Y_EN: 1
; COMPUTE_PGM_RSRC2:TGID_Z_EN: 0
; COMPUTE_PGM_RSRC2:TIDIG_COMP_CNT: 2
	.section	.text._ZN7rocprim17ROCPRIM_400000_NS6detail17trampoline_kernelINS0_14default_configENS1_36segmented_radix_sort_config_selectorIilEEZNS1_25segmented_radix_sort_implIS3_Lb1EPKiPiPKlPlN2at6native12_GLOBAL__N_18offset_tEEE10hipError_tPvRmT1_PNSt15iterator_traitsISK_E10value_typeET2_T3_PNSL_ISQ_E10value_typeET4_jRbjT5_SW_jjP12ihipStream_tbEUlT_E_NS1_11comp_targetILNS1_3genE10ELNS1_11target_archE1201ELNS1_3gpuE5ELNS1_3repE0EEENS1_30default_config_static_selectorELNS0_4arch9wavefront6targetE1EEEvSK_,"axG",@progbits,_ZN7rocprim17ROCPRIM_400000_NS6detail17trampoline_kernelINS0_14default_configENS1_36segmented_radix_sort_config_selectorIilEEZNS1_25segmented_radix_sort_implIS3_Lb1EPKiPiPKlPlN2at6native12_GLOBAL__N_18offset_tEEE10hipError_tPvRmT1_PNSt15iterator_traitsISK_E10value_typeET2_T3_PNSL_ISQ_E10value_typeET4_jRbjT5_SW_jjP12ihipStream_tbEUlT_E_NS1_11comp_targetILNS1_3genE10ELNS1_11target_archE1201ELNS1_3gpuE5ELNS1_3repE0EEENS1_30default_config_static_selectorELNS0_4arch9wavefront6targetE1EEEvSK_,comdat
	.globl	_ZN7rocprim17ROCPRIM_400000_NS6detail17trampoline_kernelINS0_14default_configENS1_36segmented_radix_sort_config_selectorIilEEZNS1_25segmented_radix_sort_implIS3_Lb1EPKiPiPKlPlN2at6native12_GLOBAL__N_18offset_tEEE10hipError_tPvRmT1_PNSt15iterator_traitsISK_E10value_typeET2_T3_PNSL_ISQ_E10value_typeET4_jRbjT5_SW_jjP12ihipStream_tbEUlT_E_NS1_11comp_targetILNS1_3genE10ELNS1_11target_archE1201ELNS1_3gpuE5ELNS1_3repE0EEENS1_30default_config_static_selectorELNS0_4arch9wavefront6targetE1EEEvSK_ ; -- Begin function _ZN7rocprim17ROCPRIM_400000_NS6detail17trampoline_kernelINS0_14default_configENS1_36segmented_radix_sort_config_selectorIilEEZNS1_25segmented_radix_sort_implIS3_Lb1EPKiPiPKlPlN2at6native12_GLOBAL__N_18offset_tEEE10hipError_tPvRmT1_PNSt15iterator_traitsISK_E10value_typeET2_T3_PNSL_ISQ_E10value_typeET4_jRbjT5_SW_jjP12ihipStream_tbEUlT_E_NS1_11comp_targetILNS1_3genE10ELNS1_11target_archE1201ELNS1_3gpuE5ELNS1_3repE0EEENS1_30default_config_static_selectorELNS0_4arch9wavefront6targetE1EEEvSK_
	.p2align	8
	.type	_ZN7rocprim17ROCPRIM_400000_NS6detail17trampoline_kernelINS0_14default_configENS1_36segmented_radix_sort_config_selectorIilEEZNS1_25segmented_radix_sort_implIS3_Lb1EPKiPiPKlPlN2at6native12_GLOBAL__N_18offset_tEEE10hipError_tPvRmT1_PNSt15iterator_traitsISK_E10value_typeET2_T3_PNSL_ISQ_E10value_typeET4_jRbjT5_SW_jjP12ihipStream_tbEUlT_E_NS1_11comp_targetILNS1_3genE10ELNS1_11target_archE1201ELNS1_3gpuE5ELNS1_3repE0EEENS1_30default_config_static_selectorELNS0_4arch9wavefront6targetE1EEEvSK_,@function
_ZN7rocprim17ROCPRIM_400000_NS6detail17trampoline_kernelINS0_14default_configENS1_36segmented_radix_sort_config_selectorIilEEZNS1_25segmented_radix_sort_implIS3_Lb1EPKiPiPKlPlN2at6native12_GLOBAL__N_18offset_tEEE10hipError_tPvRmT1_PNSt15iterator_traitsISK_E10value_typeET2_T3_PNSL_ISQ_E10value_typeET4_jRbjT5_SW_jjP12ihipStream_tbEUlT_E_NS1_11comp_targetILNS1_3genE10ELNS1_11target_archE1201ELNS1_3gpuE5ELNS1_3repE0EEENS1_30default_config_static_selectorELNS0_4arch9wavefront6targetE1EEEvSK_: ; @_ZN7rocprim17ROCPRIM_400000_NS6detail17trampoline_kernelINS0_14default_configENS1_36segmented_radix_sort_config_selectorIilEEZNS1_25segmented_radix_sort_implIS3_Lb1EPKiPiPKlPlN2at6native12_GLOBAL__N_18offset_tEEE10hipError_tPvRmT1_PNSt15iterator_traitsISK_E10value_typeET2_T3_PNSL_ISQ_E10value_typeET4_jRbjT5_SW_jjP12ihipStream_tbEUlT_E_NS1_11comp_targetILNS1_3genE10ELNS1_11target_archE1201ELNS1_3gpuE5ELNS1_3repE0EEENS1_30default_config_static_selectorELNS0_4arch9wavefront6targetE1EEEvSK_
; %bb.0:
	.section	.rodata,"a",@progbits
	.p2align	6, 0x0
	.amdhsa_kernel _ZN7rocprim17ROCPRIM_400000_NS6detail17trampoline_kernelINS0_14default_configENS1_36segmented_radix_sort_config_selectorIilEEZNS1_25segmented_radix_sort_implIS3_Lb1EPKiPiPKlPlN2at6native12_GLOBAL__N_18offset_tEEE10hipError_tPvRmT1_PNSt15iterator_traitsISK_E10value_typeET2_T3_PNSL_ISQ_E10value_typeET4_jRbjT5_SW_jjP12ihipStream_tbEUlT_E_NS1_11comp_targetILNS1_3genE10ELNS1_11target_archE1201ELNS1_3gpuE5ELNS1_3repE0EEENS1_30default_config_static_selectorELNS0_4arch9wavefront6targetE1EEEvSK_
		.amdhsa_group_segment_fixed_size 0
		.amdhsa_private_segment_fixed_size 0
		.amdhsa_kernarg_size 96
		.amdhsa_user_sgpr_count 6
		.amdhsa_user_sgpr_private_segment_buffer 1
		.amdhsa_user_sgpr_dispatch_ptr 0
		.amdhsa_user_sgpr_queue_ptr 0
		.amdhsa_user_sgpr_kernarg_segment_ptr 1
		.amdhsa_user_sgpr_dispatch_id 0
		.amdhsa_user_sgpr_flat_scratch_init 0
		.amdhsa_user_sgpr_private_segment_size 0
		.amdhsa_uses_dynamic_stack 0
		.amdhsa_system_sgpr_private_segment_wavefront_offset 0
		.amdhsa_system_sgpr_workgroup_id_x 1
		.amdhsa_system_sgpr_workgroup_id_y 0
		.amdhsa_system_sgpr_workgroup_id_z 0
		.amdhsa_system_sgpr_workgroup_info 0
		.amdhsa_system_vgpr_workitem_id 0
		.amdhsa_next_free_vgpr 1
		.amdhsa_next_free_sgpr 0
		.amdhsa_reserve_vcc 0
		.amdhsa_reserve_flat_scratch 0
		.amdhsa_float_round_mode_32 0
		.amdhsa_float_round_mode_16_64 0
		.amdhsa_float_denorm_mode_32 3
		.amdhsa_float_denorm_mode_16_64 3
		.amdhsa_dx10_clamp 1
		.amdhsa_ieee_mode 1
		.amdhsa_fp16_overflow 0
		.amdhsa_exception_fp_ieee_invalid_op 0
		.amdhsa_exception_fp_denorm_src 0
		.amdhsa_exception_fp_ieee_div_zero 0
		.amdhsa_exception_fp_ieee_overflow 0
		.amdhsa_exception_fp_ieee_underflow 0
		.amdhsa_exception_fp_ieee_inexact 0
		.amdhsa_exception_int_div_zero 0
	.end_amdhsa_kernel
	.section	.text._ZN7rocprim17ROCPRIM_400000_NS6detail17trampoline_kernelINS0_14default_configENS1_36segmented_radix_sort_config_selectorIilEEZNS1_25segmented_radix_sort_implIS3_Lb1EPKiPiPKlPlN2at6native12_GLOBAL__N_18offset_tEEE10hipError_tPvRmT1_PNSt15iterator_traitsISK_E10value_typeET2_T3_PNSL_ISQ_E10value_typeET4_jRbjT5_SW_jjP12ihipStream_tbEUlT_E_NS1_11comp_targetILNS1_3genE10ELNS1_11target_archE1201ELNS1_3gpuE5ELNS1_3repE0EEENS1_30default_config_static_selectorELNS0_4arch9wavefront6targetE1EEEvSK_,"axG",@progbits,_ZN7rocprim17ROCPRIM_400000_NS6detail17trampoline_kernelINS0_14default_configENS1_36segmented_radix_sort_config_selectorIilEEZNS1_25segmented_radix_sort_implIS3_Lb1EPKiPiPKlPlN2at6native12_GLOBAL__N_18offset_tEEE10hipError_tPvRmT1_PNSt15iterator_traitsISK_E10value_typeET2_T3_PNSL_ISQ_E10value_typeET4_jRbjT5_SW_jjP12ihipStream_tbEUlT_E_NS1_11comp_targetILNS1_3genE10ELNS1_11target_archE1201ELNS1_3gpuE5ELNS1_3repE0EEENS1_30default_config_static_selectorELNS0_4arch9wavefront6targetE1EEEvSK_,comdat
.Lfunc_end503:
	.size	_ZN7rocprim17ROCPRIM_400000_NS6detail17trampoline_kernelINS0_14default_configENS1_36segmented_radix_sort_config_selectorIilEEZNS1_25segmented_radix_sort_implIS3_Lb1EPKiPiPKlPlN2at6native12_GLOBAL__N_18offset_tEEE10hipError_tPvRmT1_PNSt15iterator_traitsISK_E10value_typeET2_T3_PNSL_ISQ_E10value_typeET4_jRbjT5_SW_jjP12ihipStream_tbEUlT_E_NS1_11comp_targetILNS1_3genE10ELNS1_11target_archE1201ELNS1_3gpuE5ELNS1_3repE0EEENS1_30default_config_static_selectorELNS0_4arch9wavefront6targetE1EEEvSK_, .Lfunc_end503-_ZN7rocprim17ROCPRIM_400000_NS6detail17trampoline_kernelINS0_14default_configENS1_36segmented_radix_sort_config_selectorIilEEZNS1_25segmented_radix_sort_implIS3_Lb1EPKiPiPKlPlN2at6native12_GLOBAL__N_18offset_tEEE10hipError_tPvRmT1_PNSt15iterator_traitsISK_E10value_typeET2_T3_PNSL_ISQ_E10value_typeET4_jRbjT5_SW_jjP12ihipStream_tbEUlT_E_NS1_11comp_targetILNS1_3genE10ELNS1_11target_archE1201ELNS1_3gpuE5ELNS1_3repE0EEENS1_30default_config_static_selectorELNS0_4arch9wavefront6targetE1EEEvSK_
                                        ; -- End function
	.set _ZN7rocprim17ROCPRIM_400000_NS6detail17trampoline_kernelINS0_14default_configENS1_36segmented_radix_sort_config_selectorIilEEZNS1_25segmented_radix_sort_implIS3_Lb1EPKiPiPKlPlN2at6native12_GLOBAL__N_18offset_tEEE10hipError_tPvRmT1_PNSt15iterator_traitsISK_E10value_typeET2_T3_PNSL_ISQ_E10value_typeET4_jRbjT5_SW_jjP12ihipStream_tbEUlT_E_NS1_11comp_targetILNS1_3genE10ELNS1_11target_archE1201ELNS1_3gpuE5ELNS1_3repE0EEENS1_30default_config_static_selectorELNS0_4arch9wavefront6targetE1EEEvSK_.num_vgpr, 0
	.set _ZN7rocprim17ROCPRIM_400000_NS6detail17trampoline_kernelINS0_14default_configENS1_36segmented_radix_sort_config_selectorIilEEZNS1_25segmented_radix_sort_implIS3_Lb1EPKiPiPKlPlN2at6native12_GLOBAL__N_18offset_tEEE10hipError_tPvRmT1_PNSt15iterator_traitsISK_E10value_typeET2_T3_PNSL_ISQ_E10value_typeET4_jRbjT5_SW_jjP12ihipStream_tbEUlT_E_NS1_11comp_targetILNS1_3genE10ELNS1_11target_archE1201ELNS1_3gpuE5ELNS1_3repE0EEENS1_30default_config_static_selectorELNS0_4arch9wavefront6targetE1EEEvSK_.num_agpr, 0
	.set _ZN7rocprim17ROCPRIM_400000_NS6detail17trampoline_kernelINS0_14default_configENS1_36segmented_radix_sort_config_selectorIilEEZNS1_25segmented_radix_sort_implIS3_Lb1EPKiPiPKlPlN2at6native12_GLOBAL__N_18offset_tEEE10hipError_tPvRmT1_PNSt15iterator_traitsISK_E10value_typeET2_T3_PNSL_ISQ_E10value_typeET4_jRbjT5_SW_jjP12ihipStream_tbEUlT_E_NS1_11comp_targetILNS1_3genE10ELNS1_11target_archE1201ELNS1_3gpuE5ELNS1_3repE0EEENS1_30default_config_static_selectorELNS0_4arch9wavefront6targetE1EEEvSK_.numbered_sgpr, 0
	.set _ZN7rocprim17ROCPRIM_400000_NS6detail17trampoline_kernelINS0_14default_configENS1_36segmented_radix_sort_config_selectorIilEEZNS1_25segmented_radix_sort_implIS3_Lb1EPKiPiPKlPlN2at6native12_GLOBAL__N_18offset_tEEE10hipError_tPvRmT1_PNSt15iterator_traitsISK_E10value_typeET2_T3_PNSL_ISQ_E10value_typeET4_jRbjT5_SW_jjP12ihipStream_tbEUlT_E_NS1_11comp_targetILNS1_3genE10ELNS1_11target_archE1201ELNS1_3gpuE5ELNS1_3repE0EEENS1_30default_config_static_selectorELNS0_4arch9wavefront6targetE1EEEvSK_.num_named_barrier, 0
	.set _ZN7rocprim17ROCPRIM_400000_NS6detail17trampoline_kernelINS0_14default_configENS1_36segmented_radix_sort_config_selectorIilEEZNS1_25segmented_radix_sort_implIS3_Lb1EPKiPiPKlPlN2at6native12_GLOBAL__N_18offset_tEEE10hipError_tPvRmT1_PNSt15iterator_traitsISK_E10value_typeET2_T3_PNSL_ISQ_E10value_typeET4_jRbjT5_SW_jjP12ihipStream_tbEUlT_E_NS1_11comp_targetILNS1_3genE10ELNS1_11target_archE1201ELNS1_3gpuE5ELNS1_3repE0EEENS1_30default_config_static_selectorELNS0_4arch9wavefront6targetE1EEEvSK_.private_seg_size, 0
	.set _ZN7rocprim17ROCPRIM_400000_NS6detail17trampoline_kernelINS0_14default_configENS1_36segmented_radix_sort_config_selectorIilEEZNS1_25segmented_radix_sort_implIS3_Lb1EPKiPiPKlPlN2at6native12_GLOBAL__N_18offset_tEEE10hipError_tPvRmT1_PNSt15iterator_traitsISK_E10value_typeET2_T3_PNSL_ISQ_E10value_typeET4_jRbjT5_SW_jjP12ihipStream_tbEUlT_E_NS1_11comp_targetILNS1_3genE10ELNS1_11target_archE1201ELNS1_3gpuE5ELNS1_3repE0EEENS1_30default_config_static_selectorELNS0_4arch9wavefront6targetE1EEEvSK_.uses_vcc, 0
	.set _ZN7rocprim17ROCPRIM_400000_NS6detail17trampoline_kernelINS0_14default_configENS1_36segmented_radix_sort_config_selectorIilEEZNS1_25segmented_radix_sort_implIS3_Lb1EPKiPiPKlPlN2at6native12_GLOBAL__N_18offset_tEEE10hipError_tPvRmT1_PNSt15iterator_traitsISK_E10value_typeET2_T3_PNSL_ISQ_E10value_typeET4_jRbjT5_SW_jjP12ihipStream_tbEUlT_E_NS1_11comp_targetILNS1_3genE10ELNS1_11target_archE1201ELNS1_3gpuE5ELNS1_3repE0EEENS1_30default_config_static_selectorELNS0_4arch9wavefront6targetE1EEEvSK_.uses_flat_scratch, 0
	.set _ZN7rocprim17ROCPRIM_400000_NS6detail17trampoline_kernelINS0_14default_configENS1_36segmented_radix_sort_config_selectorIilEEZNS1_25segmented_radix_sort_implIS3_Lb1EPKiPiPKlPlN2at6native12_GLOBAL__N_18offset_tEEE10hipError_tPvRmT1_PNSt15iterator_traitsISK_E10value_typeET2_T3_PNSL_ISQ_E10value_typeET4_jRbjT5_SW_jjP12ihipStream_tbEUlT_E_NS1_11comp_targetILNS1_3genE10ELNS1_11target_archE1201ELNS1_3gpuE5ELNS1_3repE0EEENS1_30default_config_static_selectorELNS0_4arch9wavefront6targetE1EEEvSK_.has_dyn_sized_stack, 0
	.set _ZN7rocprim17ROCPRIM_400000_NS6detail17trampoline_kernelINS0_14default_configENS1_36segmented_radix_sort_config_selectorIilEEZNS1_25segmented_radix_sort_implIS3_Lb1EPKiPiPKlPlN2at6native12_GLOBAL__N_18offset_tEEE10hipError_tPvRmT1_PNSt15iterator_traitsISK_E10value_typeET2_T3_PNSL_ISQ_E10value_typeET4_jRbjT5_SW_jjP12ihipStream_tbEUlT_E_NS1_11comp_targetILNS1_3genE10ELNS1_11target_archE1201ELNS1_3gpuE5ELNS1_3repE0EEENS1_30default_config_static_selectorELNS0_4arch9wavefront6targetE1EEEvSK_.has_recursion, 0
	.set _ZN7rocprim17ROCPRIM_400000_NS6detail17trampoline_kernelINS0_14default_configENS1_36segmented_radix_sort_config_selectorIilEEZNS1_25segmented_radix_sort_implIS3_Lb1EPKiPiPKlPlN2at6native12_GLOBAL__N_18offset_tEEE10hipError_tPvRmT1_PNSt15iterator_traitsISK_E10value_typeET2_T3_PNSL_ISQ_E10value_typeET4_jRbjT5_SW_jjP12ihipStream_tbEUlT_E_NS1_11comp_targetILNS1_3genE10ELNS1_11target_archE1201ELNS1_3gpuE5ELNS1_3repE0EEENS1_30default_config_static_selectorELNS0_4arch9wavefront6targetE1EEEvSK_.has_indirect_call, 0
	.section	.AMDGPU.csdata,"",@progbits
; Kernel info:
; codeLenInByte = 0
; TotalNumSgprs: 4
; NumVgprs: 0
; ScratchSize: 0
; MemoryBound: 0
; FloatMode: 240
; IeeeMode: 1
; LDSByteSize: 0 bytes/workgroup (compile time only)
; SGPRBlocks: 0
; VGPRBlocks: 0
; NumSGPRsForWavesPerEU: 4
; NumVGPRsForWavesPerEU: 1
; Occupancy: 10
; WaveLimiterHint : 0
; COMPUTE_PGM_RSRC2:SCRATCH_EN: 0
; COMPUTE_PGM_RSRC2:USER_SGPR: 6
; COMPUTE_PGM_RSRC2:TRAP_HANDLER: 0
; COMPUTE_PGM_RSRC2:TGID_X_EN: 1
; COMPUTE_PGM_RSRC2:TGID_Y_EN: 0
; COMPUTE_PGM_RSRC2:TGID_Z_EN: 0
; COMPUTE_PGM_RSRC2:TIDIG_COMP_CNT: 0
	.section	.text._ZN7rocprim17ROCPRIM_400000_NS6detail17trampoline_kernelINS0_14default_configENS1_36segmented_radix_sort_config_selectorIilEEZNS1_25segmented_radix_sort_implIS3_Lb1EPKiPiPKlPlN2at6native12_GLOBAL__N_18offset_tEEE10hipError_tPvRmT1_PNSt15iterator_traitsISK_E10value_typeET2_T3_PNSL_ISQ_E10value_typeET4_jRbjT5_SW_jjP12ihipStream_tbEUlT_E_NS1_11comp_targetILNS1_3genE10ELNS1_11target_archE1200ELNS1_3gpuE4ELNS1_3repE0EEENS1_30default_config_static_selectorELNS0_4arch9wavefront6targetE1EEEvSK_,"axG",@progbits,_ZN7rocprim17ROCPRIM_400000_NS6detail17trampoline_kernelINS0_14default_configENS1_36segmented_radix_sort_config_selectorIilEEZNS1_25segmented_radix_sort_implIS3_Lb1EPKiPiPKlPlN2at6native12_GLOBAL__N_18offset_tEEE10hipError_tPvRmT1_PNSt15iterator_traitsISK_E10value_typeET2_T3_PNSL_ISQ_E10value_typeET4_jRbjT5_SW_jjP12ihipStream_tbEUlT_E_NS1_11comp_targetILNS1_3genE10ELNS1_11target_archE1200ELNS1_3gpuE4ELNS1_3repE0EEENS1_30default_config_static_selectorELNS0_4arch9wavefront6targetE1EEEvSK_,comdat
	.globl	_ZN7rocprim17ROCPRIM_400000_NS6detail17trampoline_kernelINS0_14default_configENS1_36segmented_radix_sort_config_selectorIilEEZNS1_25segmented_radix_sort_implIS3_Lb1EPKiPiPKlPlN2at6native12_GLOBAL__N_18offset_tEEE10hipError_tPvRmT1_PNSt15iterator_traitsISK_E10value_typeET2_T3_PNSL_ISQ_E10value_typeET4_jRbjT5_SW_jjP12ihipStream_tbEUlT_E_NS1_11comp_targetILNS1_3genE10ELNS1_11target_archE1200ELNS1_3gpuE4ELNS1_3repE0EEENS1_30default_config_static_selectorELNS0_4arch9wavefront6targetE1EEEvSK_ ; -- Begin function _ZN7rocprim17ROCPRIM_400000_NS6detail17trampoline_kernelINS0_14default_configENS1_36segmented_radix_sort_config_selectorIilEEZNS1_25segmented_radix_sort_implIS3_Lb1EPKiPiPKlPlN2at6native12_GLOBAL__N_18offset_tEEE10hipError_tPvRmT1_PNSt15iterator_traitsISK_E10value_typeET2_T3_PNSL_ISQ_E10value_typeET4_jRbjT5_SW_jjP12ihipStream_tbEUlT_E_NS1_11comp_targetILNS1_3genE10ELNS1_11target_archE1200ELNS1_3gpuE4ELNS1_3repE0EEENS1_30default_config_static_selectorELNS0_4arch9wavefront6targetE1EEEvSK_
	.p2align	8
	.type	_ZN7rocprim17ROCPRIM_400000_NS6detail17trampoline_kernelINS0_14default_configENS1_36segmented_radix_sort_config_selectorIilEEZNS1_25segmented_radix_sort_implIS3_Lb1EPKiPiPKlPlN2at6native12_GLOBAL__N_18offset_tEEE10hipError_tPvRmT1_PNSt15iterator_traitsISK_E10value_typeET2_T3_PNSL_ISQ_E10value_typeET4_jRbjT5_SW_jjP12ihipStream_tbEUlT_E_NS1_11comp_targetILNS1_3genE10ELNS1_11target_archE1200ELNS1_3gpuE4ELNS1_3repE0EEENS1_30default_config_static_selectorELNS0_4arch9wavefront6targetE1EEEvSK_,@function
_ZN7rocprim17ROCPRIM_400000_NS6detail17trampoline_kernelINS0_14default_configENS1_36segmented_radix_sort_config_selectorIilEEZNS1_25segmented_radix_sort_implIS3_Lb1EPKiPiPKlPlN2at6native12_GLOBAL__N_18offset_tEEE10hipError_tPvRmT1_PNSt15iterator_traitsISK_E10value_typeET2_T3_PNSL_ISQ_E10value_typeET4_jRbjT5_SW_jjP12ihipStream_tbEUlT_E_NS1_11comp_targetILNS1_3genE10ELNS1_11target_archE1200ELNS1_3gpuE4ELNS1_3repE0EEENS1_30default_config_static_selectorELNS0_4arch9wavefront6targetE1EEEvSK_: ; @_ZN7rocprim17ROCPRIM_400000_NS6detail17trampoline_kernelINS0_14default_configENS1_36segmented_radix_sort_config_selectorIilEEZNS1_25segmented_radix_sort_implIS3_Lb1EPKiPiPKlPlN2at6native12_GLOBAL__N_18offset_tEEE10hipError_tPvRmT1_PNSt15iterator_traitsISK_E10value_typeET2_T3_PNSL_ISQ_E10value_typeET4_jRbjT5_SW_jjP12ihipStream_tbEUlT_E_NS1_11comp_targetILNS1_3genE10ELNS1_11target_archE1200ELNS1_3gpuE4ELNS1_3repE0EEENS1_30default_config_static_selectorELNS0_4arch9wavefront6targetE1EEEvSK_
; %bb.0:
	.section	.rodata,"a",@progbits
	.p2align	6, 0x0
	.amdhsa_kernel _ZN7rocprim17ROCPRIM_400000_NS6detail17trampoline_kernelINS0_14default_configENS1_36segmented_radix_sort_config_selectorIilEEZNS1_25segmented_radix_sort_implIS3_Lb1EPKiPiPKlPlN2at6native12_GLOBAL__N_18offset_tEEE10hipError_tPvRmT1_PNSt15iterator_traitsISK_E10value_typeET2_T3_PNSL_ISQ_E10value_typeET4_jRbjT5_SW_jjP12ihipStream_tbEUlT_E_NS1_11comp_targetILNS1_3genE10ELNS1_11target_archE1200ELNS1_3gpuE4ELNS1_3repE0EEENS1_30default_config_static_selectorELNS0_4arch9wavefront6targetE1EEEvSK_
		.amdhsa_group_segment_fixed_size 0
		.amdhsa_private_segment_fixed_size 0
		.amdhsa_kernarg_size 96
		.amdhsa_user_sgpr_count 6
		.amdhsa_user_sgpr_private_segment_buffer 1
		.amdhsa_user_sgpr_dispatch_ptr 0
		.amdhsa_user_sgpr_queue_ptr 0
		.amdhsa_user_sgpr_kernarg_segment_ptr 1
		.amdhsa_user_sgpr_dispatch_id 0
		.amdhsa_user_sgpr_flat_scratch_init 0
		.amdhsa_user_sgpr_private_segment_size 0
		.amdhsa_uses_dynamic_stack 0
		.amdhsa_system_sgpr_private_segment_wavefront_offset 0
		.amdhsa_system_sgpr_workgroup_id_x 1
		.amdhsa_system_sgpr_workgroup_id_y 0
		.amdhsa_system_sgpr_workgroup_id_z 0
		.amdhsa_system_sgpr_workgroup_info 0
		.amdhsa_system_vgpr_workitem_id 0
		.amdhsa_next_free_vgpr 1
		.amdhsa_next_free_sgpr 0
		.amdhsa_reserve_vcc 0
		.amdhsa_reserve_flat_scratch 0
		.amdhsa_float_round_mode_32 0
		.amdhsa_float_round_mode_16_64 0
		.amdhsa_float_denorm_mode_32 3
		.amdhsa_float_denorm_mode_16_64 3
		.amdhsa_dx10_clamp 1
		.amdhsa_ieee_mode 1
		.amdhsa_fp16_overflow 0
		.amdhsa_exception_fp_ieee_invalid_op 0
		.amdhsa_exception_fp_denorm_src 0
		.amdhsa_exception_fp_ieee_div_zero 0
		.amdhsa_exception_fp_ieee_overflow 0
		.amdhsa_exception_fp_ieee_underflow 0
		.amdhsa_exception_fp_ieee_inexact 0
		.amdhsa_exception_int_div_zero 0
	.end_amdhsa_kernel
	.section	.text._ZN7rocprim17ROCPRIM_400000_NS6detail17trampoline_kernelINS0_14default_configENS1_36segmented_radix_sort_config_selectorIilEEZNS1_25segmented_radix_sort_implIS3_Lb1EPKiPiPKlPlN2at6native12_GLOBAL__N_18offset_tEEE10hipError_tPvRmT1_PNSt15iterator_traitsISK_E10value_typeET2_T3_PNSL_ISQ_E10value_typeET4_jRbjT5_SW_jjP12ihipStream_tbEUlT_E_NS1_11comp_targetILNS1_3genE10ELNS1_11target_archE1200ELNS1_3gpuE4ELNS1_3repE0EEENS1_30default_config_static_selectorELNS0_4arch9wavefront6targetE1EEEvSK_,"axG",@progbits,_ZN7rocprim17ROCPRIM_400000_NS6detail17trampoline_kernelINS0_14default_configENS1_36segmented_radix_sort_config_selectorIilEEZNS1_25segmented_radix_sort_implIS3_Lb1EPKiPiPKlPlN2at6native12_GLOBAL__N_18offset_tEEE10hipError_tPvRmT1_PNSt15iterator_traitsISK_E10value_typeET2_T3_PNSL_ISQ_E10value_typeET4_jRbjT5_SW_jjP12ihipStream_tbEUlT_E_NS1_11comp_targetILNS1_3genE10ELNS1_11target_archE1200ELNS1_3gpuE4ELNS1_3repE0EEENS1_30default_config_static_selectorELNS0_4arch9wavefront6targetE1EEEvSK_,comdat
.Lfunc_end504:
	.size	_ZN7rocprim17ROCPRIM_400000_NS6detail17trampoline_kernelINS0_14default_configENS1_36segmented_radix_sort_config_selectorIilEEZNS1_25segmented_radix_sort_implIS3_Lb1EPKiPiPKlPlN2at6native12_GLOBAL__N_18offset_tEEE10hipError_tPvRmT1_PNSt15iterator_traitsISK_E10value_typeET2_T3_PNSL_ISQ_E10value_typeET4_jRbjT5_SW_jjP12ihipStream_tbEUlT_E_NS1_11comp_targetILNS1_3genE10ELNS1_11target_archE1200ELNS1_3gpuE4ELNS1_3repE0EEENS1_30default_config_static_selectorELNS0_4arch9wavefront6targetE1EEEvSK_, .Lfunc_end504-_ZN7rocprim17ROCPRIM_400000_NS6detail17trampoline_kernelINS0_14default_configENS1_36segmented_radix_sort_config_selectorIilEEZNS1_25segmented_radix_sort_implIS3_Lb1EPKiPiPKlPlN2at6native12_GLOBAL__N_18offset_tEEE10hipError_tPvRmT1_PNSt15iterator_traitsISK_E10value_typeET2_T3_PNSL_ISQ_E10value_typeET4_jRbjT5_SW_jjP12ihipStream_tbEUlT_E_NS1_11comp_targetILNS1_3genE10ELNS1_11target_archE1200ELNS1_3gpuE4ELNS1_3repE0EEENS1_30default_config_static_selectorELNS0_4arch9wavefront6targetE1EEEvSK_
                                        ; -- End function
	.set _ZN7rocprim17ROCPRIM_400000_NS6detail17trampoline_kernelINS0_14default_configENS1_36segmented_radix_sort_config_selectorIilEEZNS1_25segmented_radix_sort_implIS3_Lb1EPKiPiPKlPlN2at6native12_GLOBAL__N_18offset_tEEE10hipError_tPvRmT1_PNSt15iterator_traitsISK_E10value_typeET2_T3_PNSL_ISQ_E10value_typeET4_jRbjT5_SW_jjP12ihipStream_tbEUlT_E_NS1_11comp_targetILNS1_3genE10ELNS1_11target_archE1200ELNS1_3gpuE4ELNS1_3repE0EEENS1_30default_config_static_selectorELNS0_4arch9wavefront6targetE1EEEvSK_.num_vgpr, 0
	.set _ZN7rocprim17ROCPRIM_400000_NS6detail17trampoline_kernelINS0_14default_configENS1_36segmented_radix_sort_config_selectorIilEEZNS1_25segmented_radix_sort_implIS3_Lb1EPKiPiPKlPlN2at6native12_GLOBAL__N_18offset_tEEE10hipError_tPvRmT1_PNSt15iterator_traitsISK_E10value_typeET2_T3_PNSL_ISQ_E10value_typeET4_jRbjT5_SW_jjP12ihipStream_tbEUlT_E_NS1_11comp_targetILNS1_3genE10ELNS1_11target_archE1200ELNS1_3gpuE4ELNS1_3repE0EEENS1_30default_config_static_selectorELNS0_4arch9wavefront6targetE1EEEvSK_.num_agpr, 0
	.set _ZN7rocprim17ROCPRIM_400000_NS6detail17trampoline_kernelINS0_14default_configENS1_36segmented_radix_sort_config_selectorIilEEZNS1_25segmented_radix_sort_implIS3_Lb1EPKiPiPKlPlN2at6native12_GLOBAL__N_18offset_tEEE10hipError_tPvRmT1_PNSt15iterator_traitsISK_E10value_typeET2_T3_PNSL_ISQ_E10value_typeET4_jRbjT5_SW_jjP12ihipStream_tbEUlT_E_NS1_11comp_targetILNS1_3genE10ELNS1_11target_archE1200ELNS1_3gpuE4ELNS1_3repE0EEENS1_30default_config_static_selectorELNS0_4arch9wavefront6targetE1EEEvSK_.numbered_sgpr, 0
	.set _ZN7rocprim17ROCPRIM_400000_NS6detail17trampoline_kernelINS0_14default_configENS1_36segmented_radix_sort_config_selectorIilEEZNS1_25segmented_radix_sort_implIS3_Lb1EPKiPiPKlPlN2at6native12_GLOBAL__N_18offset_tEEE10hipError_tPvRmT1_PNSt15iterator_traitsISK_E10value_typeET2_T3_PNSL_ISQ_E10value_typeET4_jRbjT5_SW_jjP12ihipStream_tbEUlT_E_NS1_11comp_targetILNS1_3genE10ELNS1_11target_archE1200ELNS1_3gpuE4ELNS1_3repE0EEENS1_30default_config_static_selectorELNS0_4arch9wavefront6targetE1EEEvSK_.num_named_barrier, 0
	.set _ZN7rocprim17ROCPRIM_400000_NS6detail17trampoline_kernelINS0_14default_configENS1_36segmented_radix_sort_config_selectorIilEEZNS1_25segmented_radix_sort_implIS3_Lb1EPKiPiPKlPlN2at6native12_GLOBAL__N_18offset_tEEE10hipError_tPvRmT1_PNSt15iterator_traitsISK_E10value_typeET2_T3_PNSL_ISQ_E10value_typeET4_jRbjT5_SW_jjP12ihipStream_tbEUlT_E_NS1_11comp_targetILNS1_3genE10ELNS1_11target_archE1200ELNS1_3gpuE4ELNS1_3repE0EEENS1_30default_config_static_selectorELNS0_4arch9wavefront6targetE1EEEvSK_.private_seg_size, 0
	.set _ZN7rocprim17ROCPRIM_400000_NS6detail17trampoline_kernelINS0_14default_configENS1_36segmented_radix_sort_config_selectorIilEEZNS1_25segmented_radix_sort_implIS3_Lb1EPKiPiPKlPlN2at6native12_GLOBAL__N_18offset_tEEE10hipError_tPvRmT1_PNSt15iterator_traitsISK_E10value_typeET2_T3_PNSL_ISQ_E10value_typeET4_jRbjT5_SW_jjP12ihipStream_tbEUlT_E_NS1_11comp_targetILNS1_3genE10ELNS1_11target_archE1200ELNS1_3gpuE4ELNS1_3repE0EEENS1_30default_config_static_selectorELNS0_4arch9wavefront6targetE1EEEvSK_.uses_vcc, 0
	.set _ZN7rocprim17ROCPRIM_400000_NS6detail17trampoline_kernelINS0_14default_configENS1_36segmented_radix_sort_config_selectorIilEEZNS1_25segmented_radix_sort_implIS3_Lb1EPKiPiPKlPlN2at6native12_GLOBAL__N_18offset_tEEE10hipError_tPvRmT1_PNSt15iterator_traitsISK_E10value_typeET2_T3_PNSL_ISQ_E10value_typeET4_jRbjT5_SW_jjP12ihipStream_tbEUlT_E_NS1_11comp_targetILNS1_3genE10ELNS1_11target_archE1200ELNS1_3gpuE4ELNS1_3repE0EEENS1_30default_config_static_selectorELNS0_4arch9wavefront6targetE1EEEvSK_.uses_flat_scratch, 0
	.set _ZN7rocprim17ROCPRIM_400000_NS6detail17trampoline_kernelINS0_14default_configENS1_36segmented_radix_sort_config_selectorIilEEZNS1_25segmented_radix_sort_implIS3_Lb1EPKiPiPKlPlN2at6native12_GLOBAL__N_18offset_tEEE10hipError_tPvRmT1_PNSt15iterator_traitsISK_E10value_typeET2_T3_PNSL_ISQ_E10value_typeET4_jRbjT5_SW_jjP12ihipStream_tbEUlT_E_NS1_11comp_targetILNS1_3genE10ELNS1_11target_archE1200ELNS1_3gpuE4ELNS1_3repE0EEENS1_30default_config_static_selectorELNS0_4arch9wavefront6targetE1EEEvSK_.has_dyn_sized_stack, 0
	.set _ZN7rocprim17ROCPRIM_400000_NS6detail17trampoline_kernelINS0_14default_configENS1_36segmented_radix_sort_config_selectorIilEEZNS1_25segmented_radix_sort_implIS3_Lb1EPKiPiPKlPlN2at6native12_GLOBAL__N_18offset_tEEE10hipError_tPvRmT1_PNSt15iterator_traitsISK_E10value_typeET2_T3_PNSL_ISQ_E10value_typeET4_jRbjT5_SW_jjP12ihipStream_tbEUlT_E_NS1_11comp_targetILNS1_3genE10ELNS1_11target_archE1200ELNS1_3gpuE4ELNS1_3repE0EEENS1_30default_config_static_selectorELNS0_4arch9wavefront6targetE1EEEvSK_.has_recursion, 0
	.set _ZN7rocprim17ROCPRIM_400000_NS6detail17trampoline_kernelINS0_14default_configENS1_36segmented_radix_sort_config_selectorIilEEZNS1_25segmented_radix_sort_implIS3_Lb1EPKiPiPKlPlN2at6native12_GLOBAL__N_18offset_tEEE10hipError_tPvRmT1_PNSt15iterator_traitsISK_E10value_typeET2_T3_PNSL_ISQ_E10value_typeET4_jRbjT5_SW_jjP12ihipStream_tbEUlT_E_NS1_11comp_targetILNS1_3genE10ELNS1_11target_archE1200ELNS1_3gpuE4ELNS1_3repE0EEENS1_30default_config_static_selectorELNS0_4arch9wavefront6targetE1EEEvSK_.has_indirect_call, 0
	.section	.AMDGPU.csdata,"",@progbits
; Kernel info:
; codeLenInByte = 0
; TotalNumSgprs: 4
; NumVgprs: 0
; ScratchSize: 0
; MemoryBound: 0
; FloatMode: 240
; IeeeMode: 1
; LDSByteSize: 0 bytes/workgroup (compile time only)
; SGPRBlocks: 0
; VGPRBlocks: 0
; NumSGPRsForWavesPerEU: 4
; NumVGPRsForWavesPerEU: 1
; Occupancy: 10
; WaveLimiterHint : 0
; COMPUTE_PGM_RSRC2:SCRATCH_EN: 0
; COMPUTE_PGM_RSRC2:USER_SGPR: 6
; COMPUTE_PGM_RSRC2:TRAP_HANDLER: 0
; COMPUTE_PGM_RSRC2:TGID_X_EN: 1
; COMPUTE_PGM_RSRC2:TGID_Y_EN: 0
; COMPUTE_PGM_RSRC2:TGID_Z_EN: 0
; COMPUTE_PGM_RSRC2:TIDIG_COMP_CNT: 0
	.section	.text._ZN7rocprim17ROCPRIM_400000_NS6detail17trampoline_kernelINS0_14default_configENS1_36segmented_radix_sort_config_selectorIilEEZNS1_25segmented_radix_sort_implIS3_Lb1EPKiPiPKlPlN2at6native12_GLOBAL__N_18offset_tEEE10hipError_tPvRmT1_PNSt15iterator_traitsISK_E10value_typeET2_T3_PNSL_ISQ_E10value_typeET4_jRbjT5_SW_jjP12ihipStream_tbEUlT_E_NS1_11comp_targetILNS1_3genE9ELNS1_11target_archE1100ELNS1_3gpuE3ELNS1_3repE0EEENS1_30default_config_static_selectorELNS0_4arch9wavefront6targetE1EEEvSK_,"axG",@progbits,_ZN7rocprim17ROCPRIM_400000_NS6detail17trampoline_kernelINS0_14default_configENS1_36segmented_radix_sort_config_selectorIilEEZNS1_25segmented_radix_sort_implIS3_Lb1EPKiPiPKlPlN2at6native12_GLOBAL__N_18offset_tEEE10hipError_tPvRmT1_PNSt15iterator_traitsISK_E10value_typeET2_T3_PNSL_ISQ_E10value_typeET4_jRbjT5_SW_jjP12ihipStream_tbEUlT_E_NS1_11comp_targetILNS1_3genE9ELNS1_11target_archE1100ELNS1_3gpuE3ELNS1_3repE0EEENS1_30default_config_static_selectorELNS0_4arch9wavefront6targetE1EEEvSK_,comdat
	.globl	_ZN7rocprim17ROCPRIM_400000_NS6detail17trampoline_kernelINS0_14default_configENS1_36segmented_radix_sort_config_selectorIilEEZNS1_25segmented_radix_sort_implIS3_Lb1EPKiPiPKlPlN2at6native12_GLOBAL__N_18offset_tEEE10hipError_tPvRmT1_PNSt15iterator_traitsISK_E10value_typeET2_T3_PNSL_ISQ_E10value_typeET4_jRbjT5_SW_jjP12ihipStream_tbEUlT_E_NS1_11comp_targetILNS1_3genE9ELNS1_11target_archE1100ELNS1_3gpuE3ELNS1_3repE0EEENS1_30default_config_static_selectorELNS0_4arch9wavefront6targetE1EEEvSK_ ; -- Begin function _ZN7rocprim17ROCPRIM_400000_NS6detail17trampoline_kernelINS0_14default_configENS1_36segmented_radix_sort_config_selectorIilEEZNS1_25segmented_radix_sort_implIS3_Lb1EPKiPiPKlPlN2at6native12_GLOBAL__N_18offset_tEEE10hipError_tPvRmT1_PNSt15iterator_traitsISK_E10value_typeET2_T3_PNSL_ISQ_E10value_typeET4_jRbjT5_SW_jjP12ihipStream_tbEUlT_E_NS1_11comp_targetILNS1_3genE9ELNS1_11target_archE1100ELNS1_3gpuE3ELNS1_3repE0EEENS1_30default_config_static_selectorELNS0_4arch9wavefront6targetE1EEEvSK_
	.p2align	8
	.type	_ZN7rocprim17ROCPRIM_400000_NS6detail17trampoline_kernelINS0_14default_configENS1_36segmented_radix_sort_config_selectorIilEEZNS1_25segmented_radix_sort_implIS3_Lb1EPKiPiPKlPlN2at6native12_GLOBAL__N_18offset_tEEE10hipError_tPvRmT1_PNSt15iterator_traitsISK_E10value_typeET2_T3_PNSL_ISQ_E10value_typeET4_jRbjT5_SW_jjP12ihipStream_tbEUlT_E_NS1_11comp_targetILNS1_3genE9ELNS1_11target_archE1100ELNS1_3gpuE3ELNS1_3repE0EEENS1_30default_config_static_selectorELNS0_4arch9wavefront6targetE1EEEvSK_,@function
_ZN7rocprim17ROCPRIM_400000_NS6detail17trampoline_kernelINS0_14default_configENS1_36segmented_radix_sort_config_selectorIilEEZNS1_25segmented_radix_sort_implIS3_Lb1EPKiPiPKlPlN2at6native12_GLOBAL__N_18offset_tEEE10hipError_tPvRmT1_PNSt15iterator_traitsISK_E10value_typeET2_T3_PNSL_ISQ_E10value_typeET4_jRbjT5_SW_jjP12ihipStream_tbEUlT_E_NS1_11comp_targetILNS1_3genE9ELNS1_11target_archE1100ELNS1_3gpuE3ELNS1_3repE0EEENS1_30default_config_static_selectorELNS0_4arch9wavefront6targetE1EEEvSK_: ; @_ZN7rocprim17ROCPRIM_400000_NS6detail17trampoline_kernelINS0_14default_configENS1_36segmented_radix_sort_config_selectorIilEEZNS1_25segmented_radix_sort_implIS3_Lb1EPKiPiPKlPlN2at6native12_GLOBAL__N_18offset_tEEE10hipError_tPvRmT1_PNSt15iterator_traitsISK_E10value_typeET2_T3_PNSL_ISQ_E10value_typeET4_jRbjT5_SW_jjP12ihipStream_tbEUlT_E_NS1_11comp_targetILNS1_3genE9ELNS1_11target_archE1100ELNS1_3gpuE3ELNS1_3repE0EEENS1_30default_config_static_selectorELNS0_4arch9wavefront6targetE1EEEvSK_
; %bb.0:
	.section	.rodata,"a",@progbits
	.p2align	6, 0x0
	.amdhsa_kernel _ZN7rocprim17ROCPRIM_400000_NS6detail17trampoline_kernelINS0_14default_configENS1_36segmented_radix_sort_config_selectorIilEEZNS1_25segmented_radix_sort_implIS3_Lb1EPKiPiPKlPlN2at6native12_GLOBAL__N_18offset_tEEE10hipError_tPvRmT1_PNSt15iterator_traitsISK_E10value_typeET2_T3_PNSL_ISQ_E10value_typeET4_jRbjT5_SW_jjP12ihipStream_tbEUlT_E_NS1_11comp_targetILNS1_3genE9ELNS1_11target_archE1100ELNS1_3gpuE3ELNS1_3repE0EEENS1_30default_config_static_selectorELNS0_4arch9wavefront6targetE1EEEvSK_
		.amdhsa_group_segment_fixed_size 0
		.amdhsa_private_segment_fixed_size 0
		.amdhsa_kernarg_size 96
		.amdhsa_user_sgpr_count 6
		.amdhsa_user_sgpr_private_segment_buffer 1
		.amdhsa_user_sgpr_dispatch_ptr 0
		.amdhsa_user_sgpr_queue_ptr 0
		.amdhsa_user_sgpr_kernarg_segment_ptr 1
		.amdhsa_user_sgpr_dispatch_id 0
		.amdhsa_user_sgpr_flat_scratch_init 0
		.amdhsa_user_sgpr_private_segment_size 0
		.amdhsa_uses_dynamic_stack 0
		.amdhsa_system_sgpr_private_segment_wavefront_offset 0
		.amdhsa_system_sgpr_workgroup_id_x 1
		.amdhsa_system_sgpr_workgroup_id_y 0
		.amdhsa_system_sgpr_workgroup_id_z 0
		.amdhsa_system_sgpr_workgroup_info 0
		.amdhsa_system_vgpr_workitem_id 0
		.amdhsa_next_free_vgpr 1
		.amdhsa_next_free_sgpr 0
		.amdhsa_reserve_vcc 0
		.amdhsa_reserve_flat_scratch 0
		.amdhsa_float_round_mode_32 0
		.amdhsa_float_round_mode_16_64 0
		.amdhsa_float_denorm_mode_32 3
		.amdhsa_float_denorm_mode_16_64 3
		.amdhsa_dx10_clamp 1
		.amdhsa_ieee_mode 1
		.amdhsa_fp16_overflow 0
		.amdhsa_exception_fp_ieee_invalid_op 0
		.amdhsa_exception_fp_denorm_src 0
		.amdhsa_exception_fp_ieee_div_zero 0
		.amdhsa_exception_fp_ieee_overflow 0
		.amdhsa_exception_fp_ieee_underflow 0
		.amdhsa_exception_fp_ieee_inexact 0
		.amdhsa_exception_int_div_zero 0
	.end_amdhsa_kernel
	.section	.text._ZN7rocprim17ROCPRIM_400000_NS6detail17trampoline_kernelINS0_14default_configENS1_36segmented_radix_sort_config_selectorIilEEZNS1_25segmented_radix_sort_implIS3_Lb1EPKiPiPKlPlN2at6native12_GLOBAL__N_18offset_tEEE10hipError_tPvRmT1_PNSt15iterator_traitsISK_E10value_typeET2_T3_PNSL_ISQ_E10value_typeET4_jRbjT5_SW_jjP12ihipStream_tbEUlT_E_NS1_11comp_targetILNS1_3genE9ELNS1_11target_archE1100ELNS1_3gpuE3ELNS1_3repE0EEENS1_30default_config_static_selectorELNS0_4arch9wavefront6targetE1EEEvSK_,"axG",@progbits,_ZN7rocprim17ROCPRIM_400000_NS6detail17trampoline_kernelINS0_14default_configENS1_36segmented_radix_sort_config_selectorIilEEZNS1_25segmented_radix_sort_implIS3_Lb1EPKiPiPKlPlN2at6native12_GLOBAL__N_18offset_tEEE10hipError_tPvRmT1_PNSt15iterator_traitsISK_E10value_typeET2_T3_PNSL_ISQ_E10value_typeET4_jRbjT5_SW_jjP12ihipStream_tbEUlT_E_NS1_11comp_targetILNS1_3genE9ELNS1_11target_archE1100ELNS1_3gpuE3ELNS1_3repE0EEENS1_30default_config_static_selectorELNS0_4arch9wavefront6targetE1EEEvSK_,comdat
.Lfunc_end505:
	.size	_ZN7rocprim17ROCPRIM_400000_NS6detail17trampoline_kernelINS0_14default_configENS1_36segmented_radix_sort_config_selectorIilEEZNS1_25segmented_radix_sort_implIS3_Lb1EPKiPiPKlPlN2at6native12_GLOBAL__N_18offset_tEEE10hipError_tPvRmT1_PNSt15iterator_traitsISK_E10value_typeET2_T3_PNSL_ISQ_E10value_typeET4_jRbjT5_SW_jjP12ihipStream_tbEUlT_E_NS1_11comp_targetILNS1_3genE9ELNS1_11target_archE1100ELNS1_3gpuE3ELNS1_3repE0EEENS1_30default_config_static_selectorELNS0_4arch9wavefront6targetE1EEEvSK_, .Lfunc_end505-_ZN7rocprim17ROCPRIM_400000_NS6detail17trampoline_kernelINS0_14default_configENS1_36segmented_radix_sort_config_selectorIilEEZNS1_25segmented_radix_sort_implIS3_Lb1EPKiPiPKlPlN2at6native12_GLOBAL__N_18offset_tEEE10hipError_tPvRmT1_PNSt15iterator_traitsISK_E10value_typeET2_T3_PNSL_ISQ_E10value_typeET4_jRbjT5_SW_jjP12ihipStream_tbEUlT_E_NS1_11comp_targetILNS1_3genE9ELNS1_11target_archE1100ELNS1_3gpuE3ELNS1_3repE0EEENS1_30default_config_static_selectorELNS0_4arch9wavefront6targetE1EEEvSK_
                                        ; -- End function
	.set _ZN7rocprim17ROCPRIM_400000_NS6detail17trampoline_kernelINS0_14default_configENS1_36segmented_radix_sort_config_selectorIilEEZNS1_25segmented_radix_sort_implIS3_Lb1EPKiPiPKlPlN2at6native12_GLOBAL__N_18offset_tEEE10hipError_tPvRmT1_PNSt15iterator_traitsISK_E10value_typeET2_T3_PNSL_ISQ_E10value_typeET4_jRbjT5_SW_jjP12ihipStream_tbEUlT_E_NS1_11comp_targetILNS1_3genE9ELNS1_11target_archE1100ELNS1_3gpuE3ELNS1_3repE0EEENS1_30default_config_static_selectorELNS0_4arch9wavefront6targetE1EEEvSK_.num_vgpr, 0
	.set _ZN7rocprim17ROCPRIM_400000_NS6detail17trampoline_kernelINS0_14default_configENS1_36segmented_radix_sort_config_selectorIilEEZNS1_25segmented_radix_sort_implIS3_Lb1EPKiPiPKlPlN2at6native12_GLOBAL__N_18offset_tEEE10hipError_tPvRmT1_PNSt15iterator_traitsISK_E10value_typeET2_T3_PNSL_ISQ_E10value_typeET4_jRbjT5_SW_jjP12ihipStream_tbEUlT_E_NS1_11comp_targetILNS1_3genE9ELNS1_11target_archE1100ELNS1_3gpuE3ELNS1_3repE0EEENS1_30default_config_static_selectorELNS0_4arch9wavefront6targetE1EEEvSK_.num_agpr, 0
	.set _ZN7rocprim17ROCPRIM_400000_NS6detail17trampoline_kernelINS0_14default_configENS1_36segmented_radix_sort_config_selectorIilEEZNS1_25segmented_radix_sort_implIS3_Lb1EPKiPiPKlPlN2at6native12_GLOBAL__N_18offset_tEEE10hipError_tPvRmT1_PNSt15iterator_traitsISK_E10value_typeET2_T3_PNSL_ISQ_E10value_typeET4_jRbjT5_SW_jjP12ihipStream_tbEUlT_E_NS1_11comp_targetILNS1_3genE9ELNS1_11target_archE1100ELNS1_3gpuE3ELNS1_3repE0EEENS1_30default_config_static_selectorELNS0_4arch9wavefront6targetE1EEEvSK_.numbered_sgpr, 0
	.set _ZN7rocprim17ROCPRIM_400000_NS6detail17trampoline_kernelINS0_14default_configENS1_36segmented_radix_sort_config_selectorIilEEZNS1_25segmented_radix_sort_implIS3_Lb1EPKiPiPKlPlN2at6native12_GLOBAL__N_18offset_tEEE10hipError_tPvRmT1_PNSt15iterator_traitsISK_E10value_typeET2_T3_PNSL_ISQ_E10value_typeET4_jRbjT5_SW_jjP12ihipStream_tbEUlT_E_NS1_11comp_targetILNS1_3genE9ELNS1_11target_archE1100ELNS1_3gpuE3ELNS1_3repE0EEENS1_30default_config_static_selectorELNS0_4arch9wavefront6targetE1EEEvSK_.num_named_barrier, 0
	.set _ZN7rocprim17ROCPRIM_400000_NS6detail17trampoline_kernelINS0_14default_configENS1_36segmented_radix_sort_config_selectorIilEEZNS1_25segmented_radix_sort_implIS3_Lb1EPKiPiPKlPlN2at6native12_GLOBAL__N_18offset_tEEE10hipError_tPvRmT1_PNSt15iterator_traitsISK_E10value_typeET2_T3_PNSL_ISQ_E10value_typeET4_jRbjT5_SW_jjP12ihipStream_tbEUlT_E_NS1_11comp_targetILNS1_3genE9ELNS1_11target_archE1100ELNS1_3gpuE3ELNS1_3repE0EEENS1_30default_config_static_selectorELNS0_4arch9wavefront6targetE1EEEvSK_.private_seg_size, 0
	.set _ZN7rocprim17ROCPRIM_400000_NS6detail17trampoline_kernelINS0_14default_configENS1_36segmented_radix_sort_config_selectorIilEEZNS1_25segmented_radix_sort_implIS3_Lb1EPKiPiPKlPlN2at6native12_GLOBAL__N_18offset_tEEE10hipError_tPvRmT1_PNSt15iterator_traitsISK_E10value_typeET2_T3_PNSL_ISQ_E10value_typeET4_jRbjT5_SW_jjP12ihipStream_tbEUlT_E_NS1_11comp_targetILNS1_3genE9ELNS1_11target_archE1100ELNS1_3gpuE3ELNS1_3repE0EEENS1_30default_config_static_selectorELNS0_4arch9wavefront6targetE1EEEvSK_.uses_vcc, 0
	.set _ZN7rocprim17ROCPRIM_400000_NS6detail17trampoline_kernelINS0_14default_configENS1_36segmented_radix_sort_config_selectorIilEEZNS1_25segmented_radix_sort_implIS3_Lb1EPKiPiPKlPlN2at6native12_GLOBAL__N_18offset_tEEE10hipError_tPvRmT1_PNSt15iterator_traitsISK_E10value_typeET2_T3_PNSL_ISQ_E10value_typeET4_jRbjT5_SW_jjP12ihipStream_tbEUlT_E_NS1_11comp_targetILNS1_3genE9ELNS1_11target_archE1100ELNS1_3gpuE3ELNS1_3repE0EEENS1_30default_config_static_selectorELNS0_4arch9wavefront6targetE1EEEvSK_.uses_flat_scratch, 0
	.set _ZN7rocprim17ROCPRIM_400000_NS6detail17trampoline_kernelINS0_14default_configENS1_36segmented_radix_sort_config_selectorIilEEZNS1_25segmented_radix_sort_implIS3_Lb1EPKiPiPKlPlN2at6native12_GLOBAL__N_18offset_tEEE10hipError_tPvRmT1_PNSt15iterator_traitsISK_E10value_typeET2_T3_PNSL_ISQ_E10value_typeET4_jRbjT5_SW_jjP12ihipStream_tbEUlT_E_NS1_11comp_targetILNS1_3genE9ELNS1_11target_archE1100ELNS1_3gpuE3ELNS1_3repE0EEENS1_30default_config_static_selectorELNS0_4arch9wavefront6targetE1EEEvSK_.has_dyn_sized_stack, 0
	.set _ZN7rocprim17ROCPRIM_400000_NS6detail17trampoline_kernelINS0_14default_configENS1_36segmented_radix_sort_config_selectorIilEEZNS1_25segmented_radix_sort_implIS3_Lb1EPKiPiPKlPlN2at6native12_GLOBAL__N_18offset_tEEE10hipError_tPvRmT1_PNSt15iterator_traitsISK_E10value_typeET2_T3_PNSL_ISQ_E10value_typeET4_jRbjT5_SW_jjP12ihipStream_tbEUlT_E_NS1_11comp_targetILNS1_3genE9ELNS1_11target_archE1100ELNS1_3gpuE3ELNS1_3repE0EEENS1_30default_config_static_selectorELNS0_4arch9wavefront6targetE1EEEvSK_.has_recursion, 0
	.set _ZN7rocprim17ROCPRIM_400000_NS6detail17trampoline_kernelINS0_14default_configENS1_36segmented_radix_sort_config_selectorIilEEZNS1_25segmented_radix_sort_implIS3_Lb1EPKiPiPKlPlN2at6native12_GLOBAL__N_18offset_tEEE10hipError_tPvRmT1_PNSt15iterator_traitsISK_E10value_typeET2_T3_PNSL_ISQ_E10value_typeET4_jRbjT5_SW_jjP12ihipStream_tbEUlT_E_NS1_11comp_targetILNS1_3genE9ELNS1_11target_archE1100ELNS1_3gpuE3ELNS1_3repE0EEENS1_30default_config_static_selectorELNS0_4arch9wavefront6targetE1EEEvSK_.has_indirect_call, 0
	.section	.AMDGPU.csdata,"",@progbits
; Kernel info:
; codeLenInByte = 0
; TotalNumSgprs: 4
; NumVgprs: 0
; ScratchSize: 0
; MemoryBound: 0
; FloatMode: 240
; IeeeMode: 1
; LDSByteSize: 0 bytes/workgroup (compile time only)
; SGPRBlocks: 0
; VGPRBlocks: 0
; NumSGPRsForWavesPerEU: 4
; NumVGPRsForWavesPerEU: 1
; Occupancy: 10
; WaveLimiterHint : 0
; COMPUTE_PGM_RSRC2:SCRATCH_EN: 0
; COMPUTE_PGM_RSRC2:USER_SGPR: 6
; COMPUTE_PGM_RSRC2:TRAP_HANDLER: 0
; COMPUTE_PGM_RSRC2:TGID_X_EN: 1
; COMPUTE_PGM_RSRC2:TGID_Y_EN: 0
; COMPUTE_PGM_RSRC2:TGID_Z_EN: 0
; COMPUTE_PGM_RSRC2:TIDIG_COMP_CNT: 0
	.section	.text._ZN7rocprim17ROCPRIM_400000_NS6detail17trampoline_kernelINS0_14default_configENS1_36segmented_radix_sort_config_selectorIilEEZNS1_25segmented_radix_sort_implIS3_Lb1EPKiPiPKlPlN2at6native12_GLOBAL__N_18offset_tEEE10hipError_tPvRmT1_PNSt15iterator_traitsISK_E10value_typeET2_T3_PNSL_ISQ_E10value_typeET4_jRbjT5_SW_jjP12ihipStream_tbEUlT_E_NS1_11comp_targetILNS1_3genE8ELNS1_11target_archE1030ELNS1_3gpuE2ELNS1_3repE0EEENS1_30default_config_static_selectorELNS0_4arch9wavefront6targetE1EEEvSK_,"axG",@progbits,_ZN7rocprim17ROCPRIM_400000_NS6detail17trampoline_kernelINS0_14default_configENS1_36segmented_radix_sort_config_selectorIilEEZNS1_25segmented_radix_sort_implIS3_Lb1EPKiPiPKlPlN2at6native12_GLOBAL__N_18offset_tEEE10hipError_tPvRmT1_PNSt15iterator_traitsISK_E10value_typeET2_T3_PNSL_ISQ_E10value_typeET4_jRbjT5_SW_jjP12ihipStream_tbEUlT_E_NS1_11comp_targetILNS1_3genE8ELNS1_11target_archE1030ELNS1_3gpuE2ELNS1_3repE0EEENS1_30default_config_static_selectorELNS0_4arch9wavefront6targetE1EEEvSK_,comdat
	.globl	_ZN7rocprim17ROCPRIM_400000_NS6detail17trampoline_kernelINS0_14default_configENS1_36segmented_radix_sort_config_selectorIilEEZNS1_25segmented_radix_sort_implIS3_Lb1EPKiPiPKlPlN2at6native12_GLOBAL__N_18offset_tEEE10hipError_tPvRmT1_PNSt15iterator_traitsISK_E10value_typeET2_T3_PNSL_ISQ_E10value_typeET4_jRbjT5_SW_jjP12ihipStream_tbEUlT_E_NS1_11comp_targetILNS1_3genE8ELNS1_11target_archE1030ELNS1_3gpuE2ELNS1_3repE0EEENS1_30default_config_static_selectorELNS0_4arch9wavefront6targetE1EEEvSK_ ; -- Begin function _ZN7rocprim17ROCPRIM_400000_NS6detail17trampoline_kernelINS0_14default_configENS1_36segmented_radix_sort_config_selectorIilEEZNS1_25segmented_radix_sort_implIS3_Lb1EPKiPiPKlPlN2at6native12_GLOBAL__N_18offset_tEEE10hipError_tPvRmT1_PNSt15iterator_traitsISK_E10value_typeET2_T3_PNSL_ISQ_E10value_typeET4_jRbjT5_SW_jjP12ihipStream_tbEUlT_E_NS1_11comp_targetILNS1_3genE8ELNS1_11target_archE1030ELNS1_3gpuE2ELNS1_3repE0EEENS1_30default_config_static_selectorELNS0_4arch9wavefront6targetE1EEEvSK_
	.p2align	8
	.type	_ZN7rocprim17ROCPRIM_400000_NS6detail17trampoline_kernelINS0_14default_configENS1_36segmented_radix_sort_config_selectorIilEEZNS1_25segmented_radix_sort_implIS3_Lb1EPKiPiPKlPlN2at6native12_GLOBAL__N_18offset_tEEE10hipError_tPvRmT1_PNSt15iterator_traitsISK_E10value_typeET2_T3_PNSL_ISQ_E10value_typeET4_jRbjT5_SW_jjP12ihipStream_tbEUlT_E_NS1_11comp_targetILNS1_3genE8ELNS1_11target_archE1030ELNS1_3gpuE2ELNS1_3repE0EEENS1_30default_config_static_selectorELNS0_4arch9wavefront6targetE1EEEvSK_,@function
_ZN7rocprim17ROCPRIM_400000_NS6detail17trampoline_kernelINS0_14default_configENS1_36segmented_radix_sort_config_selectorIilEEZNS1_25segmented_radix_sort_implIS3_Lb1EPKiPiPKlPlN2at6native12_GLOBAL__N_18offset_tEEE10hipError_tPvRmT1_PNSt15iterator_traitsISK_E10value_typeET2_T3_PNSL_ISQ_E10value_typeET4_jRbjT5_SW_jjP12ihipStream_tbEUlT_E_NS1_11comp_targetILNS1_3genE8ELNS1_11target_archE1030ELNS1_3gpuE2ELNS1_3repE0EEENS1_30default_config_static_selectorELNS0_4arch9wavefront6targetE1EEEvSK_: ; @_ZN7rocprim17ROCPRIM_400000_NS6detail17trampoline_kernelINS0_14default_configENS1_36segmented_radix_sort_config_selectorIilEEZNS1_25segmented_radix_sort_implIS3_Lb1EPKiPiPKlPlN2at6native12_GLOBAL__N_18offset_tEEE10hipError_tPvRmT1_PNSt15iterator_traitsISK_E10value_typeET2_T3_PNSL_ISQ_E10value_typeET4_jRbjT5_SW_jjP12ihipStream_tbEUlT_E_NS1_11comp_targetILNS1_3genE8ELNS1_11target_archE1030ELNS1_3gpuE2ELNS1_3repE0EEENS1_30default_config_static_selectorELNS0_4arch9wavefront6targetE1EEEvSK_
; %bb.0:
	.section	.rodata,"a",@progbits
	.p2align	6, 0x0
	.amdhsa_kernel _ZN7rocprim17ROCPRIM_400000_NS6detail17trampoline_kernelINS0_14default_configENS1_36segmented_radix_sort_config_selectorIilEEZNS1_25segmented_radix_sort_implIS3_Lb1EPKiPiPKlPlN2at6native12_GLOBAL__N_18offset_tEEE10hipError_tPvRmT1_PNSt15iterator_traitsISK_E10value_typeET2_T3_PNSL_ISQ_E10value_typeET4_jRbjT5_SW_jjP12ihipStream_tbEUlT_E_NS1_11comp_targetILNS1_3genE8ELNS1_11target_archE1030ELNS1_3gpuE2ELNS1_3repE0EEENS1_30default_config_static_selectorELNS0_4arch9wavefront6targetE1EEEvSK_
		.amdhsa_group_segment_fixed_size 0
		.amdhsa_private_segment_fixed_size 0
		.amdhsa_kernarg_size 96
		.amdhsa_user_sgpr_count 6
		.amdhsa_user_sgpr_private_segment_buffer 1
		.amdhsa_user_sgpr_dispatch_ptr 0
		.amdhsa_user_sgpr_queue_ptr 0
		.amdhsa_user_sgpr_kernarg_segment_ptr 1
		.amdhsa_user_sgpr_dispatch_id 0
		.amdhsa_user_sgpr_flat_scratch_init 0
		.amdhsa_user_sgpr_private_segment_size 0
		.amdhsa_uses_dynamic_stack 0
		.amdhsa_system_sgpr_private_segment_wavefront_offset 0
		.amdhsa_system_sgpr_workgroup_id_x 1
		.amdhsa_system_sgpr_workgroup_id_y 0
		.amdhsa_system_sgpr_workgroup_id_z 0
		.amdhsa_system_sgpr_workgroup_info 0
		.amdhsa_system_vgpr_workitem_id 0
		.amdhsa_next_free_vgpr 1
		.amdhsa_next_free_sgpr 0
		.amdhsa_reserve_vcc 0
		.amdhsa_reserve_flat_scratch 0
		.amdhsa_float_round_mode_32 0
		.amdhsa_float_round_mode_16_64 0
		.amdhsa_float_denorm_mode_32 3
		.amdhsa_float_denorm_mode_16_64 3
		.amdhsa_dx10_clamp 1
		.amdhsa_ieee_mode 1
		.amdhsa_fp16_overflow 0
		.amdhsa_exception_fp_ieee_invalid_op 0
		.amdhsa_exception_fp_denorm_src 0
		.amdhsa_exception_fp_ieee_div_zero 0
		.amdhsa_exception_fp_ieee_overflow 0
		.amdhsa_exception_fp_ieee_underflow 0
		.amdhsa_exception_fp_ieee_inexact 0
		.amdhsa_exception_int_div_zero 0
	.end_amdhsa_kernel
	.section	.text._ZN7rocprim17ROCPRIM_400000_NS6detail17trampoline_kernelINS0_14default_configENS1_36segmented_radix_sort_config_selectorIilEEZNS1_25segmented_radix_sort_implIS3_Lb1EPKiPiPKlPlN2at6native12_GLOBAL__N_18offset_tEEE10hipError_tPvRmT1_PNSt15iterator_traitsISK_E10value_typeET2_T3_PNSL_ISQ_E10value_typeET4_jRbjT5_SW_jjP12ihipStream_tbEUlT_E_NS1_11comp_targetILNS1_3genE8ELNS1_11target_archE1030ELNS1_3gpuE2ELNS1_3repE0EEENS1_30default_config_static_selectorELNS0_4arch9wavefront6targetE1EEEvSK_,"axG",@progbits,_ZN7rocprim17ROCPRIM_400000_NS6detail17trampoline_kernelINS0_14default_configENS1_36segmented_radix_sort_config_selectorIilEEZNS1_25segmented_radix_sort_implIS3_Lb1EPKiPiPKlPlN2at6native12_GLOBAL__N_18offset_tEEE10hipError_tPvRmT1_PNSt15iterator_traitsISK_E10value_typeET2_T3_PNSL_ISQ_E10value_typeET4_jRbjT5_SW_jjP12ihipStream_tbEUlT_E_NS1_11comp_targetILNS1_3genE8ELNS1_11target_archE1030ELNS1_3gpuE2ELNS1_3repE0EEENS1_30default_config_static_selectorELNS0_4arch9wavefront6targetE1EEEvSK_,comdat
.Lfunc_end506:
	.size	_ZN7rocprim17ROCPRIM_400000_NS6detail17trampoline_kernelINS0_14default_configENS1_36segmented_radix_sort_config_selectorIilEEZNS1_25segmented_radix_sort_implIS3_Lb1EPKiPiPKlPlN2at6native12_GLOBAL__N_18offset_tEEE10hipError_tPvRmT1_PNSt15iterator_traitsISK_E10value_typeET2_T3_PNSL_ISQ_E10value_typeET4_jRbjT5_SW_jjP12ihipStream_tbEUlT_E_NS1_11comp_targetILNS1_3genE8ELNS1_11target_archE1030ELNS1_3gpuE2ELNS1_3repE0EEENS1_30default_config_static_selectorELNS0_4arch9wavefront6targetE1EEEvSK_, .Lfunc_end506-_ZN7rocprim17ROCPRIM_400000_NS6detail17trampoline_kernelINS0_14default_configENS1_36segmented_radix_sort_config_selectorIilEEZNS1_25segmented_radix_sort_implIS3_Lb1EPKiPiPKlPlN2at6native12_GLOBAL__N_18offset_tEEE10hipError_tPvRmT1_PNSt15iterator_traitsISK_E10value_typeET2_T3_PNSL_ISQ_E10value_typeET4_jRbjT5_SW_jjP12ihipStream_tbEUlT_E_NS1_11comp_targetILNS1_3genE8ELNS1_11target_archE1030ELNS1_3gpuE2ELNS1_3repE0EEENS1_30default_config_static_selectorELNS0_4arch9wavefront6targetE1EEEvSK_
                                        ; -- End function
	.set _ZN7rocprim17ROCPRIM_400000_NS6detail17trampoline_kernelINS0_14default_configENS1_36segmented_radix_sort_config_selectorIilEEZNS1_25segmented_radix_sort_implIS3_Lb1EPKiPiPKlPlN2at6native12_GLOBAL__N_18offset_tEEE10hipError_tPvRmT1_PNSt15iterator_traitsISK_E10value_typeET2_T3_PNSL_ISQ_E10value_typeET4_jRbjT5_SW_jjP12ihipStream_tbEUlT_E_NS1_11comp_targetILNS1_3genE8ELNS1_11target_archE1030ELNS1_3gpuE2ELNS1_3repE0EEENS1_30default_config_static_selectorELNS0_4arch9wavefront6targetE1EEEvSK_.num_vgpr, 0
	.set _ZN7rocprim17ROCPRIM_400000_NS6detail17trampoline_kernelINS0_14default_configENS1_36segmented_radix_sort_config_selectorIilEEZNS1_25segmented_radix_sort_implIS3_Lb1EPKiPiPKlPlN2at6native12_GLOBAL__N_18offset_tEEE10hipError_tPvRmT1_PNSt15iterator_traitsISK_E10value_typeET2_T3_PNSL_ISQ_E10value_typeET4_jRbjT5_SW_jjP12ihipStream_tbEUlT_E_NS1_11comp_targetILNS1_3genE8ELNS1_11target_archE1030ELNS1_3gpuE2ELNS1_3repE0EEENS1_30default_config_static_selectorELNS0_4arch9wavefront6targetE1EEEvSK_.num_agpr, 0
	.set _ZN7rocprim17ROCPRIM_400000_NS6detail17trampoline_kernelINS0_14default_configENS1_36segmented_radix_sort_config_selectorIilEEZNS1_25segmented_radix_sort_implIS3_Lb1EPKiPiPKlPlN2at6native12_GLOBAL__N_18offset_tEEE10hipError_tPvRmT1_PNSt15iterator_traitsISK_E10value_typeET2_T3_PNSL_ISQ_E10value_typeET4_jRbjT5_SW_jjP12ihipStream_tbEUlT_E_NS1_11comp_targetILNS1_3genE8ELNS1_11target_archE1030ELNS1_3gpuE2ELNS1_3repE0EEENS1_30default_config_static_selectorELNS0_4arch9wavefront6targetE1EEEvSK_.numbered_sgpr, 0
	.set _ZN7rocprim17ROCPRIM_400000_NS6detail17trampoline_kernelINS0_14default_configENS1_36segmented_radix_sort_config_selectorIilEEZNS1_25segmented_radix_sort_implIS3_Lb1EPKiPiPKlPlN2at6native12_GLOBAL__N_18offset_tEEE10hipError_tPvRmT1_PNSt15iterator_traitsISK_E10value_typeET2_T3_PNSL_ISQ_E10value_typeET4_jRbjT5_SW_jjP12ihipStream_tbEUlT_E_NS1_11comp_targetILNS1_3genE8ELNS1_11target_archE1030ELNS1_3gpuE2ELNS1_3repE0EEENS1_30default_config_static_selectorELNS0_4arch9wavefront6targetE1EEEvSK_.num_named_barrier, 0
	.set _ZN7rocprim17ROCPRIM_400000_NS6detail17trampoline_kernelINS0_14default_configENS1_36segmented_radix_sort_config_selectorIilEEZNS1_25segmented_radix_sort_implIS3_Lb1EPKiPiPKlPlN2at6native12_GLOBAL__N_18offset_tEEE10hipError_tPvRmT1_PNSt15iterator_traitsISK_E10value_typeET2_T3_PNSL_ISQ_E10value_typeET4_jRbjT5_SW_jjP12ihipStream_tbEUlT_E_NS1_11comp_targetILNS1_3genE8ELNS1_11target_archE1030ELNS1_3gpuE2ELNS1_3repE0EEENS1_30default_config_static_selectorELNS0_4arch9wavefront6targetE1EEEvSK_.private_seg_size, 0
	.set _ZN7rocprim17ROCPRIM_400000_NS6detail17trampoline_kernelINS0_14default_configENS1_36segmented_radix_sort_config_selectorIilEEZNS1_25segmented_radix_sort_implIS3_Lb1EPKiPiPKlPlN2at6native12_GLOBAL__N_18offset_tEEE10hipError_tPvRmT1_PNSt15iterator_traitsISK_E10value_typeET2_T3_PNSL_ISQ_E10value_typeET4_jRbjT5_SW_jjP12ihipStream_tbEUlT_E_NS1_11comp_targetILNS1_3genE8ELNS1_11target_archE1030ELNS1_3gpuE2ELNS1_3repE0EEENS1_30default_config_static_selectorELNS0_4arch9wavefront6targetE1EEEvSK_.uses_vcc, 0
	.set _ZN7rocprim17ROCPRIM_400000_NS6detail17trampoline_kernelINS0_14default_configENS1_36segmented_radix_sort_config_selectorIilEEZNS1_25segmented_radix_sort_implIS3_Lb1EPKiPiPKlPlN2at6native12_GLOBAL__N_18offset_tEEE10hipError_tPvRmT1_PNSt15iterator_traitsISK_E10value_typeET2_T3_PNSL_ISQ_E10value_typeET4_jRbjT5_SW_jjP12ihipStream_tbEUlT_E_NS1_11comp_targetILNS1_3genE8ELNS1_11target_archE1030ELNS1_3gpuE2ELNS1_3repE0EEENS1_30default_config_static_selectorELNS0_4arch9wavefront6targetE1EEEvSK_.uses_flat_scratch, 0
	.set _ZN7rocprim17ROCPRIM_400000_NS6detail17trampoline_kernelINS0_14default_configENS1_36segmented_radix_sort_config_selectorIilEEZNS1_25segmented_radix_sort_implIS3_Lb1EPKiPiPKlPlN2at6native12_GLOBAL__N_18offset_tEEE10hipError_tPvRmT1_PNSt15iterator_traitsISK_E10value_typeET2_T3_PNSL_ISQ_E10value_typeET4_jRbjT5_SW_jjP12ihipStream_tbEUlT_E_NS1_11comp_targetILNS1_3genE8ELNS1_11target_archE1030ELNS1_3gpuE2ELNS1_3repE0EEENS1_30default_config_static_selectorELNS0_4arch9wavefront6targetE1EEEvSK_.has_dyn_sized_stack, 0
	.set _ZN7rocprim17ROCPRIM_400000_NS6detail17trampoline_kernelINS0_14default_configENS1_36segmented_radix_sort_config_selectorIilEEZNS1_25segmented_radix_sort_implIS3_Lb1EPKiPiPKlPlN2at6native12_GLOBAL__N_18offset_tEEE10hipError_tPvRmT1_PNSt15iterator_traitsISK_E10value_typeET2_T3_PNSL_ISQ_E10value_typeET4_jRbjT5_SW_jjP12ihipStream_tbEUlT_E_NS1_11comp_targetILNS1_3genE8ELNS1_11target_archE1030ELNS1_3gpuE2ELNS1_3repE0EEENS1_30default_config_static_selectorELNS0_4arch9wavefront6targetE1EEEvSK_.has_recursion, 0
	.set _ZN7rocprim17ROCPRIM_400000_NS6detail17trampoline_kernelINS0_14default_configENS1_36segmented_radix_sort_config_selectorIilEEZNS1_25segmented_radix_sort_implIS3_Lb1EPKiPiPKlPlN2at6native12_GLOBAL__N_18offset_tEEE10hipError_tPvRmT1_PNSt15iterator_traitsISK_E10value_typeET2_T3_PNSL_ISQ_E10value_typeET4_jRbjT5_SW_jjP12ihipStream_tbEUlT_E_NS1_11comp_targetILNS1_3genE8ELNS1_11target_archE1030ELNS1_3gpuE2ELNS1_3repE0EEENS1_30default_config_static_selectorELNS0_4arch9wavefront6targetE1EEEvSK_.has_indirect_call, 0
	.section	.AMDGPU.csdata,"",@progbits
; Kernel info:
; codeLenInByte = 0
; TotalNumSgprs: 4
; NumVgprs: 0
; ScratchSize: 0
; MemoryBound: 0
; FloatMode: 240
; IeeeMode: 1
; LDSByteSize: 0 bytes/workgroup (compile time only)
; SGPRBlocks: 0
; VGPRBlocks: 0
; NumSGPRsForWavesPerEU: 4
; NumVGPRsForWavesPerEU: 1
; Occupancy: 10
; WaveLimiterHint : 0
; COMPUTE_PGM_RSRC2:SCRATCH_EN: 0
; COMPUTE_PGM_RSRC2:USER_SGPR: 6
; COMPUTE_PGM_RSRC2:TRAP_HANDLER: 0
; COMPUTE_PGM_RSRC2:TGID_X_EN: 1
; COMPUTE_PGM_RSRC2:TGID_Y_EN: 0
; COMPUTE_PGM_RSRC2:TGID_Z_EN: 0
; COMPUTE_PGM_RSRC2:TIDIG_COMP_CNT: 0
	.section	.text._ZN7rocprim17ROCPRIM_400000_NS6detail17trampoline_kernelINS0_14default_configENS1_36segmented_radix_sort_config_selectorIilEEZNS1_25segmented_radix_sort_implIS3_Lb1EPKiPiPKlPlN2at6native12_GLOBAL__N_18offset_tEEE10hipError_tPvRmT1_PNSt15iterator_traitsISK_E10value_typeET2_T3_PNSL_ISQ_E10value_typeET4_jRbjT5_SW_jjP12ihipStream_tbEUlT_E0_NS1_11comp_targetILNS1_3genE0ELNS1_11target_archE4294967295ELNS1_3gpuE0ELNS1_3repE0EEENS1_60segmented_radix_sort_warp_sort_medium_config_static_selectorELNS0_4arch9wavefront6targetE1EEEvSK_,"axG",@progbits,_ZN7rocprim17ROCPRIM_400000_NS6detail17trampoline_kernelINS0_14default_configENS1_36segmented_radix_sort_config_selectorIilEEZNS1_25segmented_radix_sort_implIS3_Lb1EPKiPiPKlPlN2at6native12_GLOBAL__N_18offset_tEEE10hipError_tPvRmT1_PNSt15iterator_traitsISK_E10value_typeET2_T3_PNSL_ISQ_E10value_typeET4_jRbjT5_SW_jjP12ihipStream_tbEUlT_E0_NS1_11comp_targetILNS1_3genE0ELNS1_11target_archE4294967295ELNS1_3gpuE0ELNS1_3repE0EEENS1_60segmented_radix_sort_warp_sort_medium_config_static_selectorELNS0_4arch9wavefront6targetE1EEEvSK_,comdat
	.globl	_ZN7rocprim17ROCPRIM_400000_NS6detail17trampoline_kernelINS0_14default_configENS1_36segmented_radix_sort_config_selectorIilEEZNS1_25segmented_radix_sort_implIS3_Lb1EPKiPiPKlPlN2at6native12_GLOBAL__N_18offset_tEEE10hipError_tPvRmT1_PNSt15iterator_traitsISK_E10value_typeET2_T3_PNSL_ISQ_E10value_typeET4_jRbjT5_SW_jjP12ihipStream_tbEUlT_E0_NS1_11comp_targetILNS1_3genE0ELNS1_11target_archE4294967295ELNS1_3gpuE0ELNS1_3repE0EEENS1_60segmented_radix_sort_warp_sort_medium_config_static_selectorELNS0_4arch9wavefront6targetE1EEEvSK_ ; -- Begin function _ZN7rocprim17ROCPRIM_400000_NS6detail17trampoline_kernelINS0_14default_configENS1_36segmented_radix_sort_config_selectorIilEEZNS1_25segmented_radix_sort_implIS3_Lb1EPKiPiPKlPlN2at6native12_GLOBAL__N_18offset_tEEE10hipError_tPvRmT1_PNSt15iterator_traitsISK_E10value_typeET2_T3_PNSL_ISQ_E10value_typeET4_jRbjT5_SW_jjP12ihipStream_tbEUlT_E0_NS1_11comp_targetILNS1_3genE0ELNS1_11target_archE4294967295ELNS1_3gpuE0ELNS1_3repE0EEENS1_60segmented_radix_sort_warp_sort_medium_config_static_selectorELNS0_4arch9wavefront6targetE1EEEvSK_
	.p2align	8
	.type	_ZN7rocprim17ROCPRIM_400000_NS6detail17trampoline_kernelINS0_14default_configENS1_36segmented_radix_sort_config_selectorIilEEZNS1_25segmented_radix_sort_implIS3_Lb1EPKiPiPKlPlN2at6native12_GLOBAL__N_18offset_tEEE10hipError_tPvRmT1_PNSt15iterator_traitsISK_E10value_typeET2_T3_PNSL_ISQ_E10value_typeET4_jRbjT5_SW_jjP12ihipStream_tbEUlT_E0_NS1_11comp_targetILNS1_3genE0ELNS1_11target_archE4294967295ELNS1_3gpuE0ELNS1_3repE0EEENS1_60segmented_radix_sort_warp_sort_medium_config_static_selectorELNS0_4arch9wavefront6targetE1EEEvSK_,@function
_ZN7rocprim17ROCPRIM_400000_NS6detail17trampoline_kernelINS0_14default_configENS1_36segmented_radix_sort_config_selectorIilEEZNS1_25segmented_radix_sort_implIS3_Lb1EPKiPiPKlPlN2at6native12_GLOBAL__N_18offset_tEEE10hipError_tPvRmT1_PNSt15iterator_traitsISK_E10value_typeET2_T3_PNSL_ISQ_E10value_typeET4_jRbjT5_SW_jjP12ihipStream_tbEUlT_E0_NS1_11comp_targetILNS1_3genE0ELNS1_11target_archE4294967295ELNS1_3gpuE0ELNS1_3repE0EEENS1_60segmented_radix_sort_warp_sort_medium_config_static_selectorELNS0_4arch9wavefront6targetE1EEEvSK_: ; @_ZN7rocprim17ROCPRIM_400000_NS6detail17trampoline_kernelINS0_14default_configENS1_36segmented_radix_sort_config_selectorIilEEZNS1_25segmented_radix_sort_implIS3_Lb1EPKiPiPKlPlN2at6native12_GLOBAL__N_18offset_tEEE10hipError_tPvRmT1_PNSt15iterator_traitsISK_E10value_typeET2_T3_PNSL_ISQ_E10value_typeET4_jRbjT5_SW_jjP12ihipStream_tbEUlT_E0_NS1_11comp_targetILNS1_3genE0ELNS1_11target_archE4294967295ELNS1_3gpuE0ELNS1_3repE0EEENS1_60segmented_radix_sort_warp_sort_medium_config_static_selectorELNS0_4arch9wavefront6targetE1EEEvSK_
; %bb.0:
	.section	.rodata,"a",@progbits
	.p2align	6, 0x0
	.amdhsa_kernel _ZN7rocprim17ROCPRIM_400000_NS6detail17trampoline_kernelINS0_14default_configENS1_36segmented_radix_sort_config_selectorIilEEZNS1_25segmented_radix_sort_implIS3_Lb1EPKiPiPKlPlN2at6native12_GLOBAL__N_18offset_tEEE10hipError_tPvRmT1_PNSt15iterator_traitsISK_E10value_typeET2_T3_PNSL_ISQ_E10value_typeET4_jRbjT5_SW_jjP12ihipStream_tbEUlT_E0_NS1_11comp_targetILNS1_3genE0ELNS1_11target_archE4294967295ELNS1_3gpuE0ELNS1_3repE0EEENS1_60segmented_radix_sort_warp_sort_medium_config_static_selectorELNS0_4arch9wavefront6targetE1EEEvSK_
		.amdhsa_group_segment_fixed_size 0
		.amdhsa_private_segment_fixed_size 0
		.amdhsa_kernarg_size 88
		.amdhsa_user_sgpr_count 6
		.amdhsa_user_sgpr_private_segment_buffer 1
		.amdhsa_user_sgpr_dispatch_ptr 0
		.amdhsa_user_sgpr_queue_ptr 0
		.amdhsa_user_sgpr_kernarg_segment_ptr 1
		.amdhsa_user_sgpr_dispatch_id 0
		.amdhsa_user_sgpr_flat_scratch_init 0
		.amdhsa_user_sgpr_private_segment_size 0
		.amdhsa_uses_dynamic_stack 0
		.amdhsa_system_sgpr_private_segment_wavefront_offset 0
		.amdhsa_system_sgpr_workgroup_id_x 1
		.amdhsa_system_sgpr_workgroup_id_y 0
		.amdhsa_system_sgpr_workgroup_id_z 0
		.amdhsa_system_sgpr_workgroup_info 0
		.amdhsa_system_vgpr_workitem_id 0
		.amdhsa_next_free_vgpr 1
		.amdhsa_next_free_sgpr 0
		.amdhsa_reserve_vcc 0
		.amdhsa_reserve_flat_scratch 0
		.amdhsa_float_round_mode_32 0
		.amdhsa_float_round_mode_16_64 0
		.amdhsa_float_denorm_mode_32 3
		.amdhsa_float_denorm_mode_16_64 3
		.amdhsa_dx10_clamp 1
		.amdhsa_ieee_mode 1
		.amdhsa_fp16_overflow 0
		.amdhsa_exception_fp_ieee_invalid_op 0
		.amdhsa_exception_fp_denorm_src 0
		.amdhsa_exception_fp_ieee_div_zero 0
		.amdhsa_exception_fp_ieee_overflow 0
		.amdhsa_exception_fp_ieee_underflow 0
		.amdhsa_exception_fp_ieee_inexact 0
		.amdhsa_exception_int_div_zero 0
	.end_amdhsa_kernel
	.section	.text._ZN7rocprim17ROCPRIM_400000_NS6detail17trampoline_kernelINS0_14default_configENS1_36segmented_radix_sort_config_selectorIilEEZNS1_25segmented_radix_sort_implIS3_Lb1EPKiPiPKlPlN2at6native12_GLOBAL__N_18offset_tEEE10hipError_tPvRmT1_PNSt15iterator_traitsISK_E10value_typeET2_T3_PNSL_ISQ_E10value_typeET4_jRbjT5_SW_jjP12ihipStream_tbEUlT_E0_NS1_11comp_targetILNS1_3genE0ELNS1_11target_archE4294967295ELNS1_3gpuE0ELNS1_3repE0EEENS1_60segmented_radix_sort_warp_sort_medium_config_static_selectorELNS0_4arch9wavefront6targetE1EEEvSK_,"axG",@progbits,_ZN7rocprim17ROCPRIM_400000_NS6detail17trampoline_kernelINS0_14default_configENS1_36segmented_radix_sort_config_selectorIilEEZNS1_25segmented_radix_sort_implIS3_Lb1EPKiPiPKlPlN2at6native12_GLOBAL__N_18offset_tEEE10hipError_tPvRmT1_PNSt15iterator_traitsISK_E10value_typeET2_T3_PNSL_ISQ_E10value_typeET4_jRbjT5_SW_jjP12ihipStream_tbEUlT_E0_NS1_11comp_targetILNS1_3genE0ELNS1_11target_archE4294967295ELNS1_3gpuE0ELNS1_3repE0EEENS1_60segmented_radix_sort_warp_sort_medium_config_static_selectorELNS0_4arch9wavefront6targetE1EEEvSK_,comdat
.Lfunc_end507:
	.size	_ZN7rocprim17ROCPRIM_400000_NS6detail17trampoline_kernelINS0_14default_configENS1_36segmented_radix_sort_config_selectorIilEEZNS1_25segmented_radix_sort_implIS3_Lb1EPKiPiPKlPlN2at6native12_GLOBAL__N_18offset_tEEE10hipError_tPvRmT1_PNSt15iterator_traitsISK_E10value_typeET2_T3_PNSL_ISQ_E10value_typeET4_jRbjT5_SW_jjP12ihipStream_tbEUlT_E0_NS1_11comp_targetILNS1_3genE0ELNS1_11target_archE4294967295ELNS1_3gpuE0ELNS1_3repE0EEENS1_60segmented_radix_sort_warp_sort_medium_config_static_selectorELNS0_4arch9wavefront6targetE1EEEvSK_, .Lfunc_end507-_ZN7rocprim17ROCPRIM_400000_NS6detail17trampoline_kernelINS0_14default_configENS1_36segmented_radix_sort_config_selectorIilEEZNS1_25segmented_radix_sort_implIS3_Lb1EPKiPiPKlPlN2at6native12_GLOBAL__N_18offset_tEEE10hipError_tPvRmT1_PNSt15iterator_traitsISK_E10value_typeET2_T3_PNSL_ISQ_E10value_typeET4_jRbjT5_SW_jjP12ihipStream_tbEUlT_E0_NS1_11comp_targetILNS1_3genE0ELNS1_11target_archE4294967295ELNS1_3gpuE0ELNS1_3repE0EEENS1_60segmented_radix_sort_warp_sort_medium_config_static_selectorELNS0_4arch9wavefront6targetE1EEEvSK_
                                        ; -- End function
	.set _ZN7rocprim17ROCPRIM_400000_NS6detail17trampoline_kernelINS0_14default_configENS1_36segmented_radix_sort_config_selectorIilEEZNS1_25segmented_radix_sort_implIS3_Lb1EPKiPiPKlPlN2at6native12_GLOBAL__N_18offset_tEEE10hipError_tPvRmT1_PNSt15iterator_traitsISK_E10value_typeET2_T3_PNSL_ISQ_E10value_typeET4_jRbjT5_SW_jjP12ihipStream_tbEUlT_E0_NS1_11comp_targetILNS1_3genE0ELNS1_11target_archE4294967295ELNS1_3gpuE0ELNS1_3repE0EEENS1_60segmented_radix_sort_warp_sort_medium_config_static_selectorELNS0_4arch9wavefront6targetE1EEEvSK_.num_vgpr, 0
	.set _ZN7rocprim17ROCPRIM_400000_NS6detail17trampoline_kernelINS0_14default_configENS1_36segmented_radix_sort_config_selectorIilEEZNS1_25segmented_radix_sort_implIS3_Lb1EPKiPiPKlPlN2at6native12_GLOBAL__N_18offset_tEEE10hipError_tPvRmT1_PNSt15iterator_traitsISK_E10value_typeET2_T3_PNSL_ISQ_E10value_typeET4_jRbjT5_SW_jjP12ihipStream_tbEUlT_E0_NS1_11comp_targetILNS1_3genE0ELNS1_11target_archE4294967295ELNS1_3gpuE0ELNS1_3repE0EEENS1_60segmented_radix_sort_warp_sort_medium_config_static_selectorELNS0_4arch9wavefront6targetE1EEEvSK_.num_agpr, 0
	.set _ZN7rocprim17ROCPRIM_400000_NS6detail17trampoline_kernelINS0_14default_configENS1_36segmented_radix_sort_config_selectorIilEEZNS1_25segmented_radix_sort_implIS3_Lb1EPKiPiPKlPlN2at6native12_GLOBAL__N_18offset_tEEE10hipError_tPvRmT1_PNSt15iterator_traitsISK_E10value_typeET2_T3_PNSL_ISQ_E10value_typeET4_jRbjT5_SW_jjP12ihipStream_tbEUlT_E0_NS1_11comp_targetILNS1_3genE0ELNS1_11target_archE4294967295ELNS1_3gpuE0ELNS1_3repE0EEENS1_60segmented_radix_sort_warp_sort_medium_config_static_selectorELNS0_4arch9wavefront6targetE1EEEvSK_.numbered_sgpr, 0
	.set _ZN7rocprim17ROCPRIM_400000_NS6detail17trampoline_kernelINS0_14default_configENS1_36segmented_radix_sort_config_selectorIilEEZNS1_25segmented_radix_sort_implIS3_Lb1EPKiPiPKlPlN2at6native12_GLOBAL__N_18offset_tEEE10hipError_tPvRmT1_PNSt15iterator_traitsISK_E10value_typeET2_T3_PNSL_ISQ_E10value_typeET4_jRbjT5_SW_jjP12ihipStream_tbEUlT_E0_NS1_11comp_targetILNS1_3genE0ELNS1_11target_archE4294967295ELNS1_3gpuE0ELNS1_3repE0EEENS1_60segmented_radix_sort_warp_sort_medium_config_static_selectorELNS0_4arch9wavefront6targetE1EEEvSK_.num_named_barrier, 0
	.set _ZN7rocprim17ROCPRIM_400000_NS6detail17trampoline_kernelINS0_14default_configENS1_36segmented_radix_sort_config_selectorIilEEZNS1_25segmented_radix_sort_implIS3_Lb1EPKiPiPKlPlN2at6native12_GLOBAL__N_18offset_tEEE10hipError_tPvRmT1_PNSt15iterator_traitsISK_E10value_typeET2_T3_PNSL_ISQ_E10value_typeET4_jRbjT5_SW_jjP12ihipStream_tbEUlT_E0_NS1_11comp_targetILNS1_3genE0ELNS1_11target_archE4294967295ELNS1_3gpuE0ELNS1_3repE0EEENS1_60segmented_radix_sort_warp_sort_medium_config_static_selectorELNS0_4arch9wavefront6targetE1EEEvSK_.private_seg_size, 0
	.set _ZN7rocprim17ROCPRIM_400000_NS6detail17trampoline_kernelINS0_14default_configENS1_36segmented_radix_sort_config_selectorIilEEZNS1_25segmented_radix_sort_implIS3_Lb1EPKiPiPKlPlN2at6native12_GLOBAL__N_18offset_tEEE10hipError_tPvRmT1_PNSt15iterator_traitsISK_E10value_typeET2_T3_PNSL_ISQ_E10value_typeET4_jRbjT5_SW_jjP12ihipStream_tbEUlT_E0_NS1_11comp_targetILNS1_3genE0ELNS1_11target_archE4294967295ELNS1_3gpuE0ELNS1_3repE0EEENS1_60segmented_radix_sort_warp_sort_medium_config_static_selectorELNS0_4arch9wavefront6targetE1EEEvSK_.uses_vcc, 0
	.set _ZN7rocprim17ROCPRIM_400000_NS6detail17trampoline_kernelINS0_14default_configENS1_36segmented_radix_sort_config_selectorIilEEZNS1_25segmented_radix_sort_implIS3_Lb1EPKiPiPKlPlN2at6native12_GLOBAL__N_18offset_tEEE10hipError_tPvRmT1_PNSt15iterator_traitsISK_E10value_typeET2_T3_PNSL_ISQ_E10value_typeET4_jRbjT5_SW_jjP12ihipStream_tbEUlT_E0_NS1_11comp_targetILNS1_3genE0ELNS1_11target_archE4294967295ELNS1_3gpuE0ELNS1_3repE0EEENS1_60segmented_radix_sort_warp_sort_medium_config_static_selectorELNS0_4arch9wavefront6targetE1EEEvSK_.uses_flat_scratch, 0
	.set _ZN7rocprim17ROCPRIM_400000_NS6detail17trampoline_kernelINS0_14default_configENS1_36segmented_radix_sort_config_selectorIilEEZNS1_25segmented_radix_sort_implIS3_Lb1EPKiPiPKlPlN2at6native12_GLOBAL__N_18offset_tEEE10hipError_tPvRmT1_PNSt15iterator_traitsISK_E10value_typeET2_T3_PNSL_ISQ_E10value_typeET4_jRbjT5_SW_jjP12ihipStream_tbEUlT_E0_NS1_11comp_targetILNS1_3genE0ELNS1_11target_archE4294967295ELNS1_3gpuE0ELNS1_3repE0EEENS1_60segmented_radix_sort_warp_sort_medium_config_static_selectorELNS0_4arch9wavefront6targetE1EEEvSK_.has_dyn_sized_stack, 0
	.set _ZN7rocprim17ROCPRIM_400000_NS6detail17trampoline_kernelINS0_14default_configENS1_36segmented_radix_sort_config_selectorIilEEZNS1_25segmented_radix_sort_implIS3_Lb1EPKiPiPKlPlN2at6native12_GLOBAL__N_18offset_tEEE10hipError_tPvRmT1_PNSt15iterator_traitsISK_E10value_typeET2_T3_PNSL_ISQ_E10value_typeET4_jRbjT5_SW_jjP12ihipStream_tbEUlT_E0_NS1_11comp_targetILNS1_3genE0ELNS1_11target_archE4294967295ELNS1_3gpuE0ELNS1_3repE0EEENS1_60segmented_radix_sort_warp_sort_medium_config_static_selectorELNS0_4arch9wavefront6targetE1EEEvSK_.has_recursion, 0
	.set _ZN7rocprim17ROCPRIM_400000_NS6detail17trampoline_kernelINS0_14default_configENS1_36segmented_radix_sort_config_selectorIilEEZNS1_25segmented_radix_sort_implIS3_Lb1EPKiPiPKlPlN2at6native12_GLOBAL__N_18offset_tEEE10hipError_tPvRmT1_PNSt15iterator_traitsISK_E10value_typeET2_T3_PNSL_ISQ_E10value_typeET4_jRbjT5_SW_jjP12ihipStream_tbEUlT_E0_NS1_11comp_targetILNS1_3genE0ELNS1_11target_archE4294967295ELNS1_3gpuE0ELNS1_3repE0EEENS1_60segmented_radix_sort_warp_sort_medium_config_static_selectorELNS0_4arch9wavefront6targetE1EEEvSK_.has_indirect_call, 0
	.section	.AMDGPU.csdata,"",@progbits
; Kernel info:
; codeLenInByte = 0
; TotalNumSgprs: 4
; NumVgprs: 0
; ScratchSize: 0
; MemoryBound: 0
; FloatMode: 240
; IeeeMode: 1
; LDSByteSize: 0 bytes/workgroup (compile time only)
; SGPRBlocks: 0
; VGPRBlocks: 0
; NumSGPRsForWavesPerEU: 4
; NumVGPRsForWavesPerEU: 1
; Occupancy: 10
; WaveLimiterHint : 0
; COMPUTE_PGM_RSRC2:SCRATCH_EN: 0
; COMPUTE_PGM_RSRC2:USER_SGPR: 6
; COMPUTE_PGM_RSRC2:TRAP_HANDLER: 0
; COMPUTE_PGM_RSRC2:TGID_X_EN: 1
; COMPUTE_PGM_RSRC2:TGID_Y_EN: 0
; COMPUTE_PGM_RSRC2:TGID_Z_EN: 0
; COMPUTE_PGM_RSRC2:TIDIG_COMP_CNT: 0
	.section	.text._ZN7rocprim17ROCPRIM_400000_NS6detail17trampoline_kernelINS0_14default_configENS1_36segmented_radix_sort_config_selectorIilEEZNS1_25segmented_radix_sort_implIS3_Lb1EPKiPiPKlPlN2at6native12_GLOBAL__N_18offset_tEEE10hipError_tPvRmT1_PNSt15iterator_traitsISK_E10value_typeET2_T3_PNSL_ISQ_E10value_typeET4_jRbjT5_SW_jjP12ihipStream_tbEUlT_E0_NS1_11comp_targetILNS1_3genE5ELNS1_11target_archE942ELNS1_3gpuE9ELNS1_3repE0EEENS1_60segmented_radix_sort_warp_sort_medium_config_static_selectorELNS0_4arch9wavefront6targetE1EEEvSK_,"axG",@progbits,_ZN7rocprim17ROCPRIM_400000_NS6detail17trampoline_kernelINS0_14default_configENS1_36segmented_radix_sort_config_selectorIilEEZNS1_25segmented_radix_sort_implIS3_Lb1EPKiPiPKlPlN2at6native12_GLOBAL__N_18offset_tEEE10hipError_tPvRmT1_PNSt15iterator_traitsISK_E10value_typeET2_T3_PNSL_ISQ_E10value_typeET4_jRbjT5_SW_jjP12ihipStream_tbEUlT_E0_NS1_11comp_targetILNS1_3genE5ELNS1_11target_archE942ELNS1_3gpuE9ELNS1_3repE0EEENS1_60segmented_radix_sort_warp_sort_medium_config_static_selectorELNS0_4arch9wavefront6targetE1EEEvSK_,comdat
	.globl	_ZN7rocprim17ROCPRIM_400000_NS6detail17trampoline_kernelINS0_14default_configENS1_36segmented_radix_sort_config_selectorIilEEZNS1_25segmented_radix_sort_implIS3_Lb1EPKiPiPKlPlN2at6native12_GLOBAL__N_18offset_tEEE10hipError_tPvRmT1_PNSt15iterator_traitsISK_E10value_typeET2_T3_PNSL_ISQ_E10value_typeET4_jRbjT5_SW_jjP12ihipStream_tbEUlT_E0_NS1_11comp_targetILNS1_3genE5ELNS1_11target_archE942ELNS1_3gpuE9ELNS1_3repE0EEENS1_60segmented_radix_sort_warp_sort_medium_config_static_selectorELNS0_4arch9wavefront6targetE1EEEvSK_ ; -- Begin function _ZN7rocprim17ROCPRIM_400000_NS6detail17trampoline_kernelINS0_14default_configENS1_36segmented_radix_sort_config_selectorIilEEZNS1_25segmented_radix_sort_implIS3_Lb1EPKiPiPKlPlN2at6native12_GLOBAL__N_18offset_tEEE10hipError_tPvRmT1_PNSt15iterator_traitsISK_E10value_typeET2_T3_PNSL_ISQ_E10value_typeET4_jRbjT5_SW_jjP12ihipStream_tbEUlT_E0_NS1_11comp_targetILNS1_3genE5ELNS1_11target_archE942ELNS1_3gpuE9ELNS1_3repE0EEENS1_60segmented_radix_sort_warp_sort_medium_config_static_selectorELNS0_4arch9wavefront6targetE1EEEvSK_
	.p2align	8
	.type	_ZN7rocprim17ROCPRIM_400000_NS6detail17trampoline_kernelINS0_14default_configENS1_36segmented_radix_sort_config_selectorIilEEZNS1_25segmented_radix_sort_implIS3_Lb1EPKiPiPKlPlN2at6native12_GLOBAL__N_18offset_tEEE10hipError_tPvRmT1_PNSt15iterator_traitsISK_E10value_typeET2_T3_PNSL_ISQ_E10value_typeET4_jRbjT5_SW_jjP12ihipStream_tbEUlT_E0_NS1_11comp_targetILNS1_3genE5ELNS1_11target_archE942ELNS1_3gpuE9ELNS1_3repE0EEENS1_60segmented_radix_sort_warp_sort_medium_config_static_selectorELNS0_4arch9wavefront6targetE1EEEvSK_,@function
_ZN7rocprim17ROCPRIM_400000_NS6detail17trampoline_kernelINS0_14default_configENS1_36segmented_radix_sort_config_selectorIilEEZNS1_25segmented_radix_sort_implIS3_Lb1EPKiPiPKlPlN2at6native12_GLOBAL__N_18offset_tEEE10hipError_tPvRmT1_PNSt15iterator_traitsISK_E10value_typeET2_T3_PNSL_ISQ_E10value_typeET4_jRbjT5_SW_jjP12ihipStream_tbEUlT_E0_NS1_11comp_targetILNS1_3genE5ELNS1_11target_archE942ELNS1_3gpuE9ELNS1_3repE0EEENS1_60segmented_radix_sort_warp_sort_medium_config_static_selectorELNS0_4arch9wavefront6targetE1EEEvSK_: ; @_ZN7rocprim17ROCPRIM_400000_NS6detail17trampoline_kernelINS0_14default_configENS1_36segmented_radix_sort_config_selectorIilEEZNS1_25segmented_radix_sort_implIS3_Lb1EPKiPiPKlPlN2at6native12_GLOBAL__N_18offset_tEEE10hipError_tPvRmT1_PNSt15iterator_traitsISK_E10value_typeET2_T3_PNSL_ISQ_E10value_typeET4_jRbjT5_SW_jjP12ihipStream_tbEUlT_E0_NS1_11comp_targetILNS1_3genE5ELNS1_11target_archE942ELNS1_3gpuE9ELNS1_3repE0EEENS1_60segmented_radix_sort_warp_sort_medium_config_static_selectorELNS0_4arch9wavefront6targetE1EEEvSK_
; %bb.0:
	.section	.rodata,"a",@progbits
	.p2align	6, 0x0
	.amdhsa_kernel _ZN7rocprim17ROCPRIM_400000_NS6detail17trampoline_kernelINS0_14default_configENS1_36segmented_radix_sort_config_selectorIilEEZNS1_25segmented_radix_sort_implIS3_Lb1EPKiPiPKlPlN2at6native12_GLOBAL__N_18offset_tEEE10hipError_tPvRmT1_PNSt15iterator_traitsISK_E10value_typeET2_T3_PNSL_ISQ_E10value_typeET4_jRbjT5_SW_jjP12ihipStream_tbEUlT_E0_NS1_11comp_targetILNS1_3genE5ELNS1_11target_archE942ELNS1_3gpuE9ELNS1_3repE0EEENS1_60segmented_radix_sort_warp_sort_medium_config_static_selectorELNS0_4arch9wavefront6targetE1EEEvSK_
		.amdhsa_group_segment_fixed_size 0
		.amdhsa_private_segment_fixed_size 0
		.amdhsa_kernarg_size 88
		.amdhsa_user_sgpr_count 6
		.amdhsa_user_sgpr_private_segment_buffer 1
		.amdhsa_user_sgpr_dispatch_ptr 0
		.amdhsa_user_sgpr_queue_ptr 0
		.amdhsa_user_sgpr_kernarg_segment_ptr 1
		.amdhsa_user_sgpr_dispatch_id 0
		.amdhsa_user_sgpr_flat_scratch_init 0
		.amdhsa_user_sgpr_private_segment_size 0
		.amdhsa_uses_dynamic_stack 0
		.amdhsa_system_sgpr_private_segment_wavefront_offset 0
		.amdhsa_system_sgpr_workgroup_id_x 1
		.amdhsa_system_sgpr_workgroup_id_y 0
		.amdhsa_system_sgpr_workgroup_id_z 0
		.amdhsa_system_sgpr_workgroup_info 0
		.amdhsa_system_vgpr_workitem_id 0
		.amdhsa_next_free_vgpr 1
		.amdhsa_next_free_sgpr 0
		.amdhsa_reserve_vcc 0
		.amdhsa_reserve_flat_scratch 0
		.amdhsa_float_round_mode_32 0
		.amdhsa_float_round_mode_16_64 0
		.amdhsa_float_denorm_mode_32 3
		.amdhsa_float_denorm_mode_16_64 3
		.amdhsa_dx10_clamp 1
		.amdhsa_ieee_mode 1
		.amdhsa_fp16_overflow 0
		.amdhsa_exception_fp_ieee_invalid_op 0
		.amdhsa_exception_fp_denorm_src 0
		.amdhsa_exception_fp_ieee_div_zero 0
		.amdhsa_exception_fp_ieee_overflow 0
		.amdhsa_exception_fp_ieee_underflow 0
		.amdhsa_exception_fp_ieee_inexact 0
		.amdhsa_exception_int_div_zero 0
	.end_amdhsa_kernel
	.section	.text._ZN7rocprim17ROCPRIM_400000_NS6detail17trampoline_kernelINS0_14default_configENS1_36segmented_radix_sort_config_selectorIilEEZNS1_25segmented_radix_sort_implIS3_Lb1EPKiPiPKlPlN2at6native12_GLOBAL__N_18offset_tEEE10hipError_tPvRmT1_PNSt15iterator_traitsISK_E10value_typeET2_T3_PNSL_ISQ_E10value_typeET4_jRbjT5_SW_jjP12ihipStream_tbEUlT_E0_NS1_11comp_targetILNS1_3genE5ELNS1_11target_archE942ELNS1_3gpuE9ELNS1_3repE0EEENS1_60segmented_radix_sort_warp_sort_medium_config_static_selectorELNS0_4arch9wavefront6targetE1EEEvSK_,"axG",@progbits,_ZN7rocprim17ROCPRIM_400000_NS6detail17trampoline_kernelINS0_14default_configENS1_36segmented_radix_sort_config_selectorIilEEZNS1_25segmented_radix_sort_implIS3_Lb1EPKiPiPKlPlN2at6native12_GLOBAL__N_18offset_tEEE10hipError_tPvRmT1_PNSt15iterator_traitsISK_E10value_typeET2_T3_PNSL_ISQ_E10value_typeET4_jRbjT5_SW_jjP12ihipStream_tbEUlT_E0_NS1_11comp_targetILNS1_3genE5ELNS1_11target_archE942ELNS1_3gpuE9ELNS1_3repE0EEENS1_60segmented_radix_sort_warp_sort_medium_config_static_selectorELNS0_4arch9wavefront6targetE1EEEvSK_,comdat
.Lfunc_end508:
	.size	_ZN7rocprim17ROCPRIM_400000_NS6detail17trampoline_kernelINS0_14default_configENS1_36segmented_radix_sort_config_selectorIilEEZNS1_25segmented_radix_sort_implIS3_Lb1EPKiPiPKlPlN2at6native12_GLOBAL__N_18offset_tEEE10hipError_tPvRmT1_PNSt15iterator_traitsISK_E10value_typeET2_T3_PNSL_ISQ_E10value_typeET4_jRbjT5_SW_jjP12ihipStream_tbEUlT_E0_NS1_11comp_targetILNS1_3genE5ELNS1_11target_archE942ELNS1_3gpuE9ELNS1_3repE0EEENS1_60segmented_radix_sort_warp_sort_medium_config_static_selectorELNS0_4arch9wavefront6targetE1EEEvSK_, .Lfunc_end508-_ZN7rocprim17ROCPRIM_400000_NS6detail17trampoline_kernelINS0_14default_configENS1_36segmented_radix_sort_config_selectorIilEEZNS1_25segmented_radix_sort_implIS3_Lb1EPKiPiPKlPlN2at6native12_GLOBAL__N_18offset_tEEE10hipError_tPvRmT1_PNSt15iterator_traitsISK_E10value_typeET2_T3_PNSL_ISQ_E10value_typeET4_jRbjT5_SW_jjP12ihipStream_tbEUlT_E0_NS1_11comp_targetILNS1_3genE5ELNS1_11target_archE942ELNS1_3gpuE9ELNS1_3repE0EEENS1_60segmented_radix_sort_warp_sort_medium_config_static_selectorELNS0_4arch9wavefront6targetE1EEEvSK_
                                        ; -- End function
	.set _ZN7rocprim17ROCPRIM_400000_NS6detail17trampoline_kernelINS0_14default_configENS1_36segmented_radix_sort_config_selectorIilEEZNS1_25segmented_radix_sort_implIS3_Lb1EPKiPiPKlPlN2at6native12_GLOBAL__N_18offset_tEEE10hipError_tPvRmT1_PNSt15iterator_traitsISK_E10value_typeET2_T3_PNSL_ISQ_E10value_typeET4_jRbjT5_SW_jjP12ihipStream_tbEUlT_E0_NS1_11comp_targetILNS1_3genE5ELNS1_11target_archE942ELNS1_3gpuE9ELNS1_3repE0EEENS1_60segmented_radix_sort_warp_sort_medium_config_static_selectorELNS0_4arch9wavefront6targetE1EEEvSK_.num_vgpr, 0
	.set _ZN7rocprim17ROCPRIM_400000_NS6detail17trampoline_kernelINS0_14default_configENS1_36segmented_radix_sort_config_selectorIilEEZNS1_25segmented_radix_sort_implIS3_Lb1EPKiPiPKlPlN2at6native12_GLOBAL__N_18offset_tEEE10hipError_tPvRmT1_PNSt15iterator_traitsISK_E10value_typeET2_T3_PNSL_ISQ_E10value_typeET4_jRbjT5_SW_jjP12ihipStream_tbEUlT_E0_NS1_11comp_targetILNS1_3genE5ELNS1_11target_archE942ELNS1_3gpuE9ELNS1_3repE0EEENS1_60segmented_radix_sort_warp_sort_medium_config_static_selectorELNS0_4arch9wavefront6targetE1EEEvSK_.num_agpr, 0
	.set _ZN7rocprim17ROCPRIM_400000_NS6detail17trampoline_kernelINS0_14default_configENS1_36segmented_radix_sort_config_selectorIilEEZNS1_25segmented_radix_sort_implIS3_Lb1EPKiPiPKlPlN2at6native12_GLOBAL__N_18offset_tEEE10hipError_tPvRmT1_PNSt15iterator_traitsISK_E10value_typeET2_T3_PNSL_ISQ_E10value_typeET4_jRbjT5_SW_jjP12ihipStream_tbEUlT_E0_NS1_11comp_targetILNS1_3genE5ELNS1_11target_archE942ELNS1_3gpuE9ELNS1_3repE0EEENS1_60segmented_radix_sort_warp_sort_medium_config_static_selectorELNS0_4arch9wavefront6targetE1EEEvSK_.numbered_sgpr, 0
	.set _ZN7rocprim17ROCPRIM_400000_NS6detail17trampoline_kernelINS0_14default_configENS1_36segmented_radix_sort_config_selectorIilEEZNS1_25segmented_radix_sort_implIS3_Lb1EPKiPiPKlPlN2at6native12_GLOBAL__N_18offset_tEEE10hipError_tPvRmT1_PNSt15iterator_traitsISK_E10value_typeET2_T3_PNSL_ISQ_E10value_typeET4_jRbjT5_SW_jjP12ihipStream_tbEUlT_E0_NS1_11comp_targetILNS1_3genE5ELNS1_11target_archE942ELNS1_3gpuE9ELNS1_3repE0EEENS1_60segmented_radix_sort_warp_sort_medium_config_static_selectorELNS0_4arch9wavefront6targetE1EEEvSK_.num_named_barrier, 0
	.set _ZN7rocprim17ROCPRIM_400000_NS6detail17trampoline_kernelINS0_14default_configENS1_36segmented_radix_sort_config_selectorIilEEZNS1_25segmented_radix_sort_implIS3_Lb1EPKiPiPKlPlN2at6native12_GLOBAL__N_18offset_tEEE10hipError_tPvRmT1_PNSt15iterator_traitsISK_E10value_typeET2_T3_PNSL_ISQ_E10value_typeET4_jRbjT5_SW_jjP12ihipStream_tbEUlT_E0_NS1_11comp_targetILNS1_3genE5ELNS1_11target_archE942ELNS1_3gpuE9ELNS1_3repE0EEENS1_60segmented_radix_sort_warp_sort_medium_config_static_selectorELNS0_4arch9wavefront6targetE1EEEvSK_.private_seg_size, 0
	.set _ZN7rocprim17ROCPRIM_400000_NS6detail17trampoline_kernelINS0_14default_configENS1_36segmented_radix_sort_config_selectorIilEEZNS1_25segmented_radix_sort_implIS3_Lb1EPKiPiPKlPlN2at6native12_GLOBAL__N_18offset_tEEE10hipError_tPvRmT1_PNSt15iterator_traitsISK_E10value_typeET2_T3_PNSL_ISQ_E10value_typeET4_jRbjT5_SW_jjP12ihipStream_tbEUlT_E0_NS1_11comp_targetILNS1_3genE5ELNS1_11target_archE942ELNS1_3gpuE9ELNS1_3repE0EEENS1_60segmented_radix_sort_warp_sort_medium_config_static_selectorELNS0_4arch9wavefront6targetE1EEEvSK_.uses_vcc, 0
	.set _ZN7rocprim17ROCPRIM_400000_NS6detail17trampoline_kernelINS0_14default_configENS1_36segmented_radix_sort_config_selectorIilEEZNS1_25segmented_radix_sort_implIS3_Lb1EPKiPiPKlPlN2at6native12_GLOBAL__N_18offset_tEEE10hipError_tPvRmT1_PNSt15iterator_traitsISK_E10value_typeET2_T3_PNSL_ISQ_E10value_typeET4_jRbjT5_SW_jjP12ihipStream_tbEUlT_E0_NS1_11comp_targetILNS1_3genE5ELNS1_11target_archE942ELNS1_3gpuE9ELNS1_3repE0EEENS1_60segmented_radix_sort_warp_sort_medium_config_static_selectorELNS0_4arch9wavefront6targetE1EEEvSK_.uses_flat_scratch, 0
	.set _ZN7rocprim17ROCPRIM_400000_NS6detail17trampoline_kernelINS0_14default_configENS1_36segmented_radix_sort_config_selectorIilEEZNS1_25segmented_radix_sort_implIS3_Lb1EPKiPiPKlPlN2at6native12_GLOBAL__N_18offset_tEEE10hipError_tPvRmT1_PNSt15iterator_traitsISK_E10value_typeET2_T3_PNSL_ISQ_E10value_typeET4_jRbjT5_SW_jjP12ihipStream_tbEUlT_E0_NS1_11comp_targetILNS1_3genE5ELNS1_11target_archE942ELNS1_3gpuE9ELNS1_3repE0EEENS1_60segmented_radix_sort_warp_sort_medium_config_static_selectorELNS0_4arch9wavefront6targetE1EEEvSK_.has_dyn_sized_stack, 0
	.set _ZN7rocprim17ROCPRIM_400000_NS6detail17trampoline_kernelINS0_14default_configENS1_36segmented_radix_sort_config_selectorIilEEZNS1_25segmented_radix_sort_implIS3_Lb1EPKiPiPKlPlN2at6native12_GLOBAL__N_18offset_tEEE10hipError_tPvRmT1_PNSt15iterator_traitsISK_E10value_typeET2_T3_PNSL_ISQ_E10value_typeET4_jRbjT5_SW_jjP12ihipStream_tbEUlT_E0_NS1_11comp_targetILNS1_3genE5ELNS1_11target_archE942ELNS1_3gpuE9ELNS1_3repE0EEENS1_60segmented_radix_sort_warp_sort_medium_config_static_selectorELNS0_4arch9wavefront6targetE1EEEvSK_.has_recursion, 0
	.set _ZN7rocprim17ROCPRIM_400000_NS6detail17trampoline_kernelINS0_14default_configENS1_36segmented_radix_sort_config_selectorIilEEZNS1_25segmented_radix_sort_implIS3_Lb1EPKiPiPKlPlN2at6native12_GLOBAL__N_18offset_tEEE10hipError_tPvRmT1_PNSt15iterator_traitsISK_E10value_typeET2_T3_PNSL_ISQ_E10value_typeET4_jRbjT5_SW_jjP12ihipStream_tbEUlT_E0_NS1_11comp_targetILNS1_3genE5ELNS1_11target_archE942ELNS1_3gpuE9ELNS1_3repE0EEENS1_60segmented_radix_sort_warp_sort_medium_config_static_selectorELNS0_4arch9wavefront6targetE1EEEvSK_.has_indirect_call, 0
	.section	.AMDGPU.csdata,"",@progbits
; Kernel info:
; codeLenInByte = 0
; TotalNumSgprs: 4
; NumVgprs: 0
; ScratchSize: 0
; MemoryBound: 0
; FloatMode: 240
; IeeeMode: 1
; LDSByteSize: 0 bytes/workgroup (compile time only)
; SGPRBlocks: 0
; VGPRBlocks: 0
; NumSGPRsForWavesPerEU: 4
; NumVGPRsForWavesPerEU: 1
; Occupancy: 10
; WaveLimiterHint : 0
; COMPUTE_PGM_RSRC2:SCRATCH_EN: 0
; COMPUTE_PGM_RSRC2:USER_SGPR: 6
; COMPUTE_PGM_RSRC2:TRAP_HANDLER: 0
; COMPUTE_PGM_RSRC2:TGID_X_EN: 1
; COMPUTE_PGM_RSRC2:TGID_Y_EN: 0
; COMPUTE_PGM_RSRC2:TGID_Z_EN: 0
; COMPUTE_PGM_RSRC2:TIDIG_COMP_CNT: 0
	.section	.text._ZN7rocprim17ROCPRIM_400000_NS6detail17trampoline_kernelINS0_14default_configENS1_36segmented_radix_sort_config_selectorIilEEZNS1_25segmented_radix_sort_implIS3_Lb1EPKiPiPKlPlN2at6native12_GLOBAL__N_18offset_tEEE10hipError_tPvRmT1_PNSt15iterator_traitsISK_E10value_typeET2_T3_PNSL_ISQ_E10value_typeET4_jRbjT5_SW_jjP12ihipStream_tbEUlT_E0_NS1_11comp_targetILNS1_3genE4ELNS1_11target_archE910ELNS1_3gpuE8ELNS1_3repE0EEENS1_60segmented_radix_sort_warp_sort_medium_config_static_selectorELNS0_4arch9wavefront6targetE1EEEvSK_,"axG",@progbits,_ZN7rocprim17ROCPRIM_400000_NS6detail17trampoline_kernelINS0_14default_configENS1_36segmented_radix_sort_config_selectorIilEEZNS1_25segmented_radix_sort_implIS3_Lb1EPKiPiPKlPlN2at6native12_GLOBAL__N_18offset_tEEE10hipError_tPvRmT1_PNSt15iterator_traitsISK_E10value_typeET2_T3_PNSL_ISQ_E10value_typeET4_jRbjT5_SW_jjP12ihipStream_tbEUlT_E0_NS1_11comp_targetILNS1_3genE4ELNS1_11target_archE910ELNS1_3gpuE8ELNS1_3repE0EEENS1_60segmented_radix_sort_warp_sort_medium_config_static_selectorELNS0_4arch9wavefront6targetE1EEEvSK_,comdat
	.globl	_ZN7rocprim17ROCPRIM_400000_NS6detail17trampoline_kernelINS0_14default_configENS1_36segmented_radix_sort_config_selectorIilEEZNS1_25segmented_radix_sort_implIS3_Lb1EPKiPiPKlPlN2at6native12_GLOBAL__N_18offset_tEEE10hipError_tPvRmT1_PNSt15iterator_traitsISK_E10value_typeET2_T3_PNSL_ISQ_E10value_typeET4_jRbjT5_SW_jjP12ihipStream_tbEUlT_E0_NS1_11comp_targetILNS1_3genE4ELNS1_11target_archE910ELNS1_3gpuE8ELNS1_3repE0EEENS1_60segmented_radix_sort_warp_sort_medium_config_static_selectorELNS0_4arch9wavefront6targetE1EEEvSK_ ; -- Begin function _ZN7rocprim17ROCPRIM_400000_NS6detail17trampoline_kernelINS0_14default_configENS1_36segmented_radix_sort_config_selectorIilEEZNS1_25segmented_radix_sort_implIS3_Lb1EPKiPiPKlPlN2at6native12_GLOBAL__N_18offset_tEEE10hipError_tPvRmT1_PNSt15iterator_traitsISK_E10value_typeET2_T3_PNSL_ISQ_E10value_typeET4_jRbjT5_SW_jjP12ihipStream_tbEUlT_E0_NS1_11comp_targetILNS1_3genE4ELNS1_11target_archE910ELNS1_3gpuE8ELNS1_3repE0EEENS1_60segmented_radix_sort_warp_sort_medium_config_static_selectorELNS0_4arch9wavefront6targetE1EEEvSK_
	.p2align	8
	.type	_ZN7rocprim17ROCPRIM_400000_NS6detail17trampoline_kernelINS0_14default_configENS1_36segmented_radix_sort_config_selectorIilEEZNS1_25segmented_radix_sort_implIS3_Lb1EPKiPiPKlPlN2at6native12_GLOBAL__N_18offset_tEEE10hipError_tPvRmT1_PNSt15iterator_traitsISK_E10value_typeET2_T3_PNSL_ISQ_E10value_typeET4_jRbjT5_SW_jjP12ihipStream_tbEUlT_E0_NS1_11comp_targetILNS1_3genE4ELNS1_11target_archE910ELNS1_3gpuE8ELNS1_3repE0EEENS1_60segmented_radix_sort_warp_sort_medium_config_static_selectorELNS0_4arch9wavefront6targetE1EEEvSK_,@function
_ZN7rocprim17ROCPRIM_400000_NS6detail17trampoline_kernelINS0_14default_configENS1_36segmented_radix_sort_config_selectorIilEEZNS1_25segmented_radix_sort_implIS3_Lb1EPKiPiPKlPlN2at6native12_GLOBAL__N_18offset_tEEE10hipError_tPvRmT1_PNSt15iterator_traitsISK_E10value_typeET2_T3_PNSL_ISQ_E10value_typeET4_jRbjT5_SW_jjP12ihipStream_tbEUlT_E0_NS1_11comp_targetILNS1_3genE4ELNS1_11target_archE910ELNS1_3gpuE8ELNS1_3repE0EEENS1_60segmented_radix_sort_warp_sort_medium_config_static_selectorELNS0_4arch9wavefront6targetE1EEEvSK_: ; @_ZN7rocprim17ROCPRIM_400000_NS6detail17trampoline_kernelINS0_14default_configENS1_36segmented_radix_sort_config_selectorIilEEZNS1_25segmented_radix_sort_implIS3_Lb1EPKiPiPKlPlN2at6native12_GLOBAL__N_18offset_tEEE10hipError_tPvRmT1_PNSt15iterator_traitsISK_E10value_typeET2_T3_PNSL_ISQ_E10value_typeET4_jRbjT5_SW_jjP12ihipStream_tbEUlT_E0_NS1_11comp_targetILNS1_3genE4ELNS1_11target_archE910ELNS1_3gpuE8ELNS1_3repE0EEENS1_60segmented_radix_sort_warp_sort_medium_config_static_selectorELNS0_4arch9wavefront6targetE1EEEvSK_
; %bb.0:
	.section	.rodata,"a",@progbits
	.p2align	6, 0x0
	.amdhsa_kernel _ZN7rocprim17ROCPRIM_400000_NS6detail17trampoline_kernelINS0_14default_configENS1_36segmented_radix_sort_config_selectorIilEEZNS1_25segmented_radix_sort_implIS3_Lb1EPKiPiPKlPlN2at6native12_GLOBAL__N_18offset_tEEE10hipError_tPvRmT1_PNSt15iterator_traitsISK_E10value_typeET2_T3_PNSL_ISQ_E10value_typeET4_jRbjT5_SW_jjP12ihipStream_tbEUlT_E0_NS1_11comp_targetILNS1_3genE4ELNS1_11target_archE910ELNS1_3gpuE8ELNS1_3repE0EEENS1_60segmented_radix_sort_warp_sort_medium_config_static_selectorELNS0_4arch9wavefront6targetE1EEEvSK_
		.amdhsa_group_segment_fixed_size 0
		.amdhsa_private_segment_fixed_size 0
		.amdhsa_kernarg_size 88
		.amdhsa_user_sgpr_count 6
		.amdhsa_user_sgpr_private_segment_buffer 1
		.amdhsa_user_sgpr_dispatch_ptr 0
		.amdhsa_user_sgpr_queue_ptr 0
		.amdhsa_user_sgpr_kernarg_segment_ptr 1
		.amdhsa_user_sgpr_dispatch_id 0
		.amdhsa_user_sgpr_flat_scratch_init 0
		.amdhsa_user_sgpr_private_segment_size 0
		.amdhsa_uses_dynamic_stack 0
		.amdhsa_system_sgpr_private_segment_wavefront_offset 0
		.amdhsa_system_sgpr_workgroup_id_x 1
		.amdhsa_system_sgpr_workgroup_id_y 0
		.amdhsa_system_sgpr_workgroup_id_z 0
		.amdhsa_system_sgpr_workgroup_info 0
		.amdhsa_system_vgpr_workitem_id 0
		.amdhsa_next_free_vgpr 1
		.amdhsa_next_free_sgpr 0
		.amdhsa_reserve_vcc 0
		.amdhsa_reserve_flat_scratch 0
		.amdhsa_float_round_mode_32 0
		.amdhsa_float_round_mode_16_64 0
		.amdhsa_float_denorm_mode_32 3
		.amdhsa_float_denorm_mode_16_64 3
		.amdhsa_dx10_clamp 1
		.amdhsa_ieee_mode 1
		.amdhsa_fp16_overflow 0
		.amdhsa_exception_fp_ieee_invalid_op 0
		.amdhsa_exception_fp_denorm_src 0
		.amdhsa_exception_fp_ieee_div_zero 0
		.amdhsa_exception_fp_ieee_overflow 0
		.amdhsa_exception_fp_ieee_underflow 0
		.amdhsa_exception_fp_ieee_inexact 0
		.amdhsa_exception_int_div_zero 0
	.end_amdhsa_kernel
	.section	.text._ZN7rocprim17ROCPRIM_400000_NS6detail17trampoline_kernelINS0_14default_configENS1_36segmented_radix_sort_config_selectorIilEEZNS1_25segmented_radix_sort_implIS3_Lb1EPKiPiPKlPlN2at6native12_GLOBAL__N_18offset_tEEE10hipError_tPvRmT1_PNSt15iterator_traitsISK_E10value_typeET2_T3_PNSL_ISQ_E10value_typeET4_jRbjT5_SW_jjP12ihipStream_tbEUlT_E0_NS1_11comp_targetILNS1_3genE4ELNS1_11target_archE910ELNS1_3gpuE8ELNS1_3repE0EEENS1_60segmented_radix_sort_warp_sort_medium_config_static_selectorELNS0_4arch9wavefront6targetE1EEEvSK_,"axG",@progbits,_ZN7rocprim17ROCPRIM_400000_NS6detail17trampoline_kernelINS0_14default_configENS1_36segmented_radix_sort_config_selectorIilEEZNS1_25segmented_radix_sort_implIS3_Lb1EPKiPiPKlPlN2at6native12_GLOBAL__N_18offset_tEEE10hipError_tPvRmT1_PNSt15iterator_traitsISK_E10value_typeET2_T3_PNSL_ISQ_E10value_typeET4_jRbjT5_SW_jjP12ihipStream_tbEUlT_E0_NS1_11comp_targetILNS1_3genE4ELNS1_11target_archE910ELNS1_3gpuE8ELNS1_3repE0EEENS1_60segmented_radix_sort_warp_sort_medium_config_static_selectorELNS0_4arch9wavefront6targetE1EEEvSK_,comdat
.Lfunc_end509:
	.size	_ZN7rocprim17ROCPRIM_400000_NS6detail17trampoline_kernelINS0_14default_configENS1_36segmented_radix_sort_config_selectorIilEEZNS1_25segmented_radix_sort_implIS3_Lb1EPKiPiPKlPlN2at6native12_GLOBAL__N_18offset_tEEE10hipError_tPvRmT1_PNSt15iterator_traitsISK_E10value_typeET2_T3_PNSL_ISQ_E10value_typeET4_jRbjT5_SW_jjP12ihipStream_tbEUlT_E0_NS1_11comp_targetILNS1_3genE4ELNS1_11target_archE910ELNS1_3gpuE8ELNS1_3repE0EEENS1_60segmented_radix_sort_warp_sort_medium_config_static_selectorELNS0_4arch9wavefront6targetE1EEEvSK_, .Lfunc_end509-_ZN7rocprim17ROCPRIM_400000_NS6detail17trampoline_kernelINS0_14default_configENS1_36segmented_radix_sort_config_selectorIilEEZNS1_25segmented_radix_sort_implIS3_Lb1EPKiPiPKlPlN2at6native12_GLOBAL__N_18offset_tEEE10hipError_tPvRmT1_PNSt15iterator_traitsISK_E10value_typeET2_T3_PNSL_ISQ_E10value_typeET4_jRbjT5_SW_jjP12ihipStream_tbEUlT_E0_NS1_11comp_targetILNS1_3genE4ELNS1_11target_archE910ELNS1_3gpuE8ELNS1_3repE0EEENS1_60segmented_radix_sort_warp_sort_medium_config_static_selectorELNS0_4arch9wavefront6targetE1EEEvSK_
                                        ; -- End function
	.set _ZN7rocprim17ROCPRIM_400000_NS6detail17trampoline_kernelINS0_14default_configENS1_36segmented_radix_sort_config_selectorIilEEZNS1_25segmented_radix_sort_implIS3_Lb1EPKiPiPKlPlN2at6native12_GLOBAL__N_18offset_tEEE10hipError_tPvRmT1_PNSt15iterator_traitsISK_E10value_typeET2_T3_PNSL_ISQ_E10value_typeET4_jRbjT5_SW_jjP12ihipStream_tbEUlT_E0_NS1_11comp_targetILNS1_3genE4ELNS1_11target_archE910ELNS1_3gpuE8ELNS1_3repE0EEENS1_60segmented_radix_sort_warp_sort_medium_config_static_selectorELNS0_4arch9wavefront6targetE1EEEvSK_.num_vgpr, 0
	.set _ZN7rocprim17ROCPRIM_400000_NS6detail17trampoline_kernelINS0_14default_configENS1_36segmented_radix_sort_config_selectorIilEEZNS1_25segmented_radix_sort_implIS3_Lb1EPKiPiPKlPlN2at6native12_GLOBAL__N_18offset_tEEE10hipError_tPvRmT1_PNSt15iterator_traitsISK_E10value_typeET2_T3_PNSL_ISQ_E10value_typeET4_jRbjT5_SW_jjP12ihipStream_tbEUlT_E0_NS1_11comp_targetILNS1_3genE4ELNS1_11target_archE910ELNS1_3gpuE8ELNS1_3repE0EEENS1_60segmented_radix_sort_warp_sort_medium_config_static_selectorELNS0_4arch9wavefront6targetE1EEEvSK_.num_agpr, 0
	.set _ZN7rocprim17ROCPRIM_400000_NS6detail17trampoline_kernelINS0_14default_configENS1_36segmented_radix_sort_config_selectorIilEEZNS1_25segmented_radix_sort_implIS3_Lb1EPKiPiPKlPlN2at6native12_GLOBAL__N_18offset_tEEE10hipError_tPvRmT1_PNSt15iterator_traitsISK_E10value_typeET2_T3_PNSL_ISQ_E10value_typeET4_jRbjT5_SW_jjP12ihipStream_tbEUlT_E0_NS1_11comp_targetILNS1_3genE4ELNS1_11target_archE910ELNS1_3gpuE8ELNS1_3repE0EEENS1_60segmented_radix_sort_warp_sort_medium_config_static_selectorELNS0_4arch9wavefront6targetE1EEEvSK_.numbered_sgpr, 0
	.set _ZN7rocprim17ROCPRIM_400000_NS6detail17trampoline_kernelINS0_14default_configENS1_36segmented_radix_sort_config_selectorIilEEZNS1_25segmented_radix_sort_implIS3_Lb1EPKiPiPKlPlN2at6native12_GLOBAL__N_18offset_tEEE10hipError_tPvRmT1_PNSt15iterator_traitsISK_E10value_typeET2_T3_PNSL_ISQ_E10value_typeET4_jRbjT5_SW_jjP12ihipStream_tbEUlT_E0_NS1_11comp_targetILNS1_3genE4ELNS1_11target_archE910ELNS1_3gpuE8ELNS1_3repE0EEENS1_60segmented_radix_sort_warp_sort_medium_config_static_selectorELNS0_4arch9wavefront6targetE1EEEvSK_.num_named_barrier, 0
	.set _ZN7rocprim17ROCPRIM_400000_NS6detail17trampoline_kernelINS0_14default_configENS1_36segmented_radix_sort_config_selectorIilEEZNS1_25segmented_radix_sort_implIS3_Lb1EPKiPiPKlPlN2at6native12_GLOBAL__N_18offset_tEEE10hipError_tPvRmT1_PNSt15iterator_traitsISK_E10value_typeET2_T3_PNSL_ISQ_E10value_typeET4_jRbjT5_SW_jjP12ihipStream_tbEUlT_E0_NS1_11comp_targetILNS1_3genE4ELNS1_11target_archE910ELNS1_3gpuE8ELNS1_3repE0EEENS1_60segmented_radix_sort_warp_sort_medium_config_static_selectorELNS0_4arch9wavefront6targetE1EEEvSK_.private_seg_size, 0
	.set _ZN7rocprim17ROCPRIM_400000_NS6detail17trampoline_kernelINS0_14default_configENS1_36segmented_radix_sort_config_selectorIilEEZNS1_25segmented_radix_sort_implIS3_Lb1EPKiPiPKlPlN2at6native12_GLOBAL__N_18offset_tEEE10hipError_tPvRmT1_PNSt15iterator_traitsISK_E10value_typeET2_T3_PNSL_ISQ_E10value_typeET4_jRbjT5_SW_jjP12ihipStream_tbEUlT_E0_NS1_11comp_targetILNS1_3genE4ELNS1_11target_archE910ELNS1_3gpuE8ELNS1_3repE0EEENS1_60segmented_radix_sort_warp_sort_medium_config_static_selectorELNS0_4arch9wavefront6targetE1EEEvSK_.uses_vcc, 0
	.set _ZN7rocprim17ROCPRIM_400000_NS6detail17trampoline_kernelINS0_14default_configENS1_36segmented_radix_sort_config_selectorIilEEZNS1_25segmented_radix_sort_implIS3_Lb1EPKiPiPKlPlN2at6native12_GLOBAL__N_18offset_tEEE10hipError_tPvRmT1_PNSt15iterator_traitsISK_E10value_typeET2_T3_PNSL_ISQ_E10value_typeET4_jRbjT5_SW_jjP12ihipStream_tbEUlT_E0_NS1_11comp_targetILNS1_3genE4ELNS1_11target_archE910ELNS1_3gpuE8ELNS1_3repE0EEENS1_60segmented_radix_sort_warp_sort_medium_config_static_selectorELNS0_4arch9wavefront6targetE1EEEvSK_.uses_flat_scratch, 0
	.set _ZN7rocprim17ROCPRIM_400000_NS6detail17trampoline_kernelINS0_14default_configENS1_36segmented_radix_sort_config_selectorIilEEZNS1_25segmented_radix_sort_implIS3_Lb1EPKiPiPKlPlN2at6native12_GLOBAL__N_18offset_tEEE10hipError_tPvRmT1_PNSt15iterator_traitsISK_E10value_typeET2_T3_PNSL_ISQ_E10value_typeET4_jRbjT5_SW_jjP12ihipStream_tbEUlT_E0_NS1_11comp_targetILNS1_3genE4ELNS1_11target_archE910ELNS1_3gpuE8ELNS1_3repE0EEENS1_60segmented_radix_sort_warp_sort_medium_config_static_selectorELNS0_4arch9wavefront6targetE1EEEvSK_.has_dyn_sized_stack, 0
	.set _ZN7rocprim17ROCPRIM_400000_NS6detail17trampoline_kernelINS0_14default_configENS1_36segmented_radix_sort_config_selectorIilEEZNS1_25segmented_radix_sort_implIS3_Lb1EPKiPiPKlPlN2at6native12_GLOBAL__N_18offset_tEEE10hipError_tPvRmT1_PNSt15iterator_traitsISK_E10value_typeET2_T3_PNSL_ISQ_E10value_typeET4_jRbjT5_SW_jjP12ihipStream_tbEUlT_E0_NS1_11comp_targetILNS1_3genE4ELNS1_11target_archE910ELNS1_3gpuE8ELNS1_3repE0EEENS1_60segmented_radix_sort_warp_sort_medium_config_static_selectorELNS0_4arch9wavefront6targetE1EEEvSK_.has_recursion, 0
	.set _ZN7rocprim17ROCPRIM_400000_NS6detail17trampoline_kernelINS0_14default_configENS1_36segmented_radix_sort_config_selectorIilEEZNS1_25segmented_radix_sort_implIS3_Lb1EPKiPiPKlPlN2at6native12_GLOBAL__N_18offset_tEEE10hipError_tPvRmT1_PNSt15iterator_traitsISK_E10value_typeET2_T3_PNSL_ISQ_E10value_typeET4_jRbjT5_SW_jjP12ihipStream_tbEUlT_E0_NS1_11comp_targetILNS1_3genE4ELNS1_11target_archE910ELNS1_3gpuE8ELNS1_3repE0EEENS1_60segmented_radix_sort_warp_sort_medium_config_static_selectorELNS0_4arch9wavefront6targetE1EEEvSK_.has_indirect_call, 0
	.section	.AMDGPU.csdata,"",@progbits
; Kernel info:
; codeLenInByte = 0
; TotalNumSgprs: 4
; NumVgprs: 0
; ScratchSize: 0
; MemoryBound: 0
; FloatMode: 240
; IeeeMode: 1
; LDSByteSize: 0 bytes/workgroup (compile time only)
; SGPRBlocks: 0
; VGPRBlocks: 0
; NumSGPRsForWavesPerEU: 4
; NumVGPRsForWavesPerEU: 1
; Occupancy: 10
; WaveLimiterHint : 0
; COMPUTE_PGM_RSRC2:SCRATCH_EN: 0
; COMPUTE_PGM_RSRC2:USER_SGPR: 6
; COMPUTE_PGM_RSRC2:TRAP_HANDLER: 0
; COMPUTE_PGM_RSRC2:TGID_X_EN: 1
; COMPUTE_PGM_RSRC2:TGID_Y_EN: 0
; COMPUTE_PGM_RSRC2:TGID_Z_EN: 0
; COMPUTE_PGM_RSRC2:TIDIG_COMP_CNT: 0
	.section	.text._ZN7rocprim17ROCPRIM_400000_NS6detail17trampoline_kernelINS0_14default_configENS1_36segmented_radix_sort_config_selectorIilEEZNS1_25segmented_radix_sort_implIS3_Lb1EPKiPiPKlPlN2at6native12_GLOBAL__N_18offset_tEEE10hipError_tPvRmT1_PNSt15iterator_traitsISK_E10value_typeET2_T3_PNSL_ISQ_E10value_typeET4_jRbjT5_SW_jjP12ihipStream_tbEUlT_E0_NS1_11comp_targetILNS1_3genE3ELNS1_11target_archE908ELNS1_3gpuE7ELNS1_3repE0EEENS1_60segmented_radix_sort_warp_sort_medium_config_static_selectorELNS0_4arch9wavefront6targetE1EEEvSK_,"axG",@progbits,_ZN7rocprim17ROCPRIM_400000_NS6detail17trampoline_kernelINS0_14default_configENS1_36segmented_radix_sort_config_selectorIilEEZNS1_25segmented_radix_sort_implIS3_Lb1EPKiPiPKlPlN2at6native12_GLOBAL__N_18offset_tEEE10hipError_tPvRmT1_PNSt15iterator_traitsISK_E10value_typeET2_T3_PNSL_ISQ_E10value_typeET4_jRbjT5_SW_jjP12ihipStream_tbEUlT_E0_NS1_11comp_targetILNS1_3genE3ELNS1_11target_archE908ELNS1_3gpuE7ELNS1_3repE0EEENS1_60segmented_radix_sort_warp_sort_medium_config_static_selectorELNS0_4arch9wavefront6targetE1EEEvSK_,comdat
	.globl	_ZN7rocprim17ROCPRIM_400000_NS6detail17trampoline_kernelINS0_14default_configENS1_36segmented_radix_sort_config_selectorIilEEZNS1_25segmented_radix_sort_implIS3_Lb1EPKiPiPKlPlN2at6native12_GLOBAL__N_18offset_tEEE10hipError_tPvRmT1_PNSt15iterator_traitsISK_E10value_typeET2_T3_PNSL_ISQ_E10value_typeET4_jRbjT5_SW_jjP12ihipStream_tbEUlT_E0_NS1_11comp_targetILNS1_3genE3ELNS1_11target_archE908ELNS1_3gpuE7ELNS1_3repE0EEENS1_60segmented_radix_sort_warp_sort_medium_config_static_selectorELNS0_4arch9wavefront6targetE1EEEvSK_ ; -- Begin function _ZN7rocprim17ROCPRIM_400000_NS6detail17trampoline_kernelINS0_14default_configENS1_36segmented_radix_sort_config_selectorIilEEZNS1_25segmented_radix_sort_implIS3_Lb1EPKiPiPKlPlN2at6native12_GLOBAL__N_18offset_tEEE10hipError_tPvRmT1_PNSt15iterator_traitsISK_E10value_typeET2_T3_PNSL_ISQ_E10value_typeET4_jRbjT5_SW_jjP12ihipStream_tbEUlT_E0_NS1_11comp_targetILNS1_3genE3ELNS1_11target_archE908ELNS1_3gpuE7ELNS1_3repE0EEENS1_60segmented_radix_sort_warp_sort_medium_config_static_selectorELNS0_4arch9wavefront6targetE1EEEvSK_
	.p2align	8
	.type	_ZN7rocprim17ROCPRIM_400000_NS6detail17trampoline_kernelINS0_14default_configENS1_36segmented_radix_sort_config_selectorIilEEZNS1_25segmented_radix_sort_implIS3_Lb1EPKiPiPKlPlN2at6native12_GLOBAL__N_18offset_tEEE10hipError_tPvRmT1_PNSt15iterator_traitsISK_E10value_typeET2_T3_PNSL_ISQ_E10value_typeET4_jRbjT5_SW_jjP12ihipStream_tbEUlT_E0_NS1_11comp_targetILNS1_3genE3ELNS1_11target_archE908ELNS1_3gpuE7ELNS1_3repE0EEENS1_60segmented_radix_sort_warp_sort_medium_config_static_selectorELNS0_4arch9wavefront6targetE1EEEvSK_,@function
_ZN7rocprim17ROCPRIM_400000_NS6detail17trampoline_kernelINS0_14default_configENS1_36segmented_radix_sort_config_selectorIilEEZNS1_25segmented_radix_sort_implIS3_Lb1EPKiPiPKlPlN2at6native12_GLOBAL__N_18offset_tEEE10hipError_tPvRmT1_PNSt15iterator_traitsISK_E10value_typeET2_T3_PNSL_ISQ_E10value_typeET4_jRbjT5_SW_jjP12ihipStream_tbEUlT_E0_NS1_11comp_targetILNS1_3genE3ELNS1_11target_archE908ELNS1_3gpuE7ELNS1_3repE0EEENS1_60segmented_radix_sort_warp_sort_medium_config_static_selectorELNS0_4arch9wavefront6targetE1EEEvSK_: ; @_ZN7rocprim17ROCPRIM_400000_NS6detail17trampoline_kernelINS0_14default_configENS1_36segmented_radix_sort_config_selectorIilEEZNS1_25segmented_radix_sort_implIS3_Lb1EPKiPiPKlPlN2at6native12_GLOBAL__N_18offset_tEEE10hipError_tPvRmT1_PNSt15iterator_traitsISK_E10value_typeET2_T3_PNSL_ISQ_E10value_typeET4_jRbjT5_SW_jjP12ihipStream_tbEUlT_E0_NS1_11comp_targetILNS1_3genE3ELNS1_11target_archE908ELNS1_3gpuE7ELNS1_3repE0EEENS1_60segmented_radix_sort_warp_sort_medium_config_static_selectorELNS0_4arch9wavefront6targetE1EEEvSK_
; %bb.0:
	.section	.rodata,"a",@progbits
	.p2align	6, 0x0
	.amdhsa_kernel _ZN7rocprim17ROCPRIM_400000_NS6detail17trampoline_kernelINS0_14default_configENS1_36segmented_radix_sort_config_selectorIilEEZNS1_25segmented_radix_sort_implIS3_Lb1EPKiPiPKlPlN2at6native12_GLOBAL__N_18offset_tEEE10hipError_tPvRmT1_PNSt15iterator_traitsISK_E10value_typeET2_T3_PNSL_ISQ_E10value_typeET4_jRbjT5_SW_jjP12ihipStream_tbEUlT_E0_NS1_11comp_targetILNS1_3genE3ELNS1_11target_archE908ELNS1_3gpuE7ELNS1_3repE0EEENS1_60segmented_radix_sort_warp_sort_medium_config_static_selectorELNS0_4arch9wavefront6targetE1EEEvSK_
		.amdhsa_group_segment_fixed_size 0
		.amdhsa_private_segment_fixed_size 0
		.amdhsa_kernarg_size 88
		.amdhsa_user_sgpr_count 6
		.amdhsa_user_sgpr_private_segment_buffer 1
		.amdhsa_user_sgpr_dispatch_ptr 0
		.amdhsa_user_sgpr_queue_ptr 0
		.amdhsa_user_sgpr_kernarg_segment_ptr 1
		.amdhsa_user_sgpr_dispatch_id 0
		.amdhsa_user_sgpr_flat_scratch_init 0
		.amdhsa_user_sgpr_private_segment_size 0
		.amdhsa_uses_dynamic_stack 0
		.amdhsa_system_sgpr_private_segment_wavefront_offset 0
		.amdhsa_system_sgpr_workgroup_id_x 1
		.amdhsa_system_sgpr_workgroup_id_y 0
		.amdhsa_system_sgpr_workgroup_id_z 0
		.amdhsa_system_sgpr_workgroup_info 0
		.amdhsa_system_vgpr_workitem_id 0
		.amdhsa_next_free_vgpr 1
		.amdhsa_next_free_sgpr 0
		.amdhsa_reserve_vcc 0
		.amdhsa_reserve_flat_scratch 0
		.amdhsa_float_round_mode_32 0
		.amdhsa_float_round_mode_16_64 0
		.amdhsa_float_denorm_mode_32 3
		.amdhsa_float_denorm_mode_16_64 3
		.amdhsa_dx10_clamp 1
		.amdhsa_ieee_mode 1
		.amdhsa_fp16_overflow 0
		.amdhsa_exception_fp_ieee_invalid_op 0
		.amdhsa_exception_fp_denorm_src 0
		.amdhsa_exception_fp_ieee_div_zero 0
		.amdhsa_exception_fp_ieee_overflow 0
		.amdhsa_exception_fp_ieee_underflow 0
		.amdhsa_exception_fp_ieee_inexact 0
		.amdhsa_exception_int_div_zero 0
	.end_amdhsa_kernel
	.section	.text._ZN7rocprim17ROCPRIM_400000_NS6detail17trampoline_kernelINS0_14default_configENS1_36segmented_radix_sort_config_selectorIilEEZNS1_25segmented_radix_sort_implIS3_Lb1EPKiPiPKlPlN2at6native12_GLOBAL__N_18offset_tEEE10hipError_tPvRmT1_PNSt15iterator_traitsISK_E10value_typeET2_T3_PNSL_ISQ_E10value_typeET4_jRbjT5_SW_jjP12ihipStream_tbEUlT_E0_NS1_11comp_targetILNS1_3genE3ELNS1_11target_archE908ELNS1_3gpuE7ELNS1_3repE0EEENS1_60segmented_radix_sort_warp_sort_medium_config_static_selectorELNS0_4arch9wavefront6targetE1EEEvSK_,"axG",@progbits,_ZN7rocprim17ROCPRIM_400000_NS6detail17trampoline_kernelINS0_14default_configENS1_36segmented_radix_sort_config_selectorIilEEZNS1_25segmented_radix_sort_implIS3_Lb1EPKiPiPKlPlN2at6native12_GLOBAL__N_18offset_tEEE10hipError_tPvRmT1_PNSt15iterator_traitsISK_E10value_typeET2_T3_PNSL_ISQ_E10value_typeET4_jRbjT5_SW_jjP12ihipStream_tbEUlT_E0_NS1_11comp_targetILNS1_3genE3ELNS1_11target_archE908ELNS1_3gpuE7ELNS1_3repE0EEENS1_60segmented_radix_sort_warp_sort_medium_config_static_selectorELNS0_4arch9wavefront6targetE1EEEvSK_,comdat
.Lfunc_end510:
	.size	_ZN7rocprim17ROCPRIM_400000_NS6detail17trampoline_kernelINS0_14default_configENS1_36segmented_radix_sort_config_selectorIilEEZNS1_25segmented_radix_sort_implIS3_Lb1EPKiPiPKlPlN2at6native12_GLOBAL__N_18offset_tEEE10hipError_tPvRmT1_PNSt15iterator_traitsISK_E10value_typeET2_T3_PNSL_ISQ_E10value_typeET4_jRbjT5_SW_jjP12ihipStream_tbEUlT_E0_NS1_11comp_targetILNS1_3genE3ELNS1_11target_archE908ELNS1_3gpuE7ELNS1_3repE0EEENS1_60segmented_radix_sort_warp_sort_medium_config_static_selectorELNS0_4arch9wavefront6targetE1EEEvSK_, .Lfunc_end510-_ZN7rocprim17ROCPRIM_400000_NS6detail17trampoline_kernelINS0_14default_configENS1_36segmented_radix_sort_config_selectorIilEEZNS1_25segmented_radix_sort_implIS3_Lb1EPKiPiPKlPlN2at6native12_GLOBAL__N_18offset_tEEE10hipError_tPvRmT1_PNSt15iterator_traitsISK_E10value_typeET2_T3_PNSL_ISQ_E10value_typeET4_jRbjT5_SW_jjP12ihipStream_tbEUlT_E0_NS1_11comp_targetILNS1_3genE3ELNS1_11target_archE908ELNS1_3gpuE7ELNS1_3repE0EEENS1_60segmented_radix_sort_warp_sort_medium_config_static_selectorELNS0_4arch9wavefront6targetE1EEEvSK_
                                        ; -- End function
	.set _ZN7rocprim17ROCPRIM_400000_NS6detail17trampoline_kernelINS0_14default_configENS1_36segmented_radix_sort_config_selectorIilEEZNS1_25segmented_radix_sort_implIS3_Lb1EPKiPiPKlPlN2at6native12_GLOBAL__N_18offset_tEEE10hipError_tPvRmT1_PNSt15iterator_traitsISK_E10value_typeET2_T3_PNSL_ISQ_E10value_typeET4_jRbjT5_SW_jjP12ihipStream_tbEUlT_E0_NS1_11comp_targetILNS1_3genE3ELNS1_11target_archE908ELNS1_3gpuE7ELNS1_3repE0EEENS1_60segmented_radix_sort_warp_sort_medium_config_static_selectorELNS0_4arch9wavefront6targetE1EEEvSK_.num_vgpr, 0
	.set _ZN7rocprim17ROCPRIM_400000_NS6detail17trampoline_kernelINS0_14default_configENS1_36segmented_radix_sort_config_selectorIilEEZNS1_25segmented_radix_sort_implIS3_Lb1EPKiPiPKlPlN2at6native12_GLOBAL__N_18offset_tEEE10hipError_tPvRmT1_PNSt15iterator_traitsISK_E10value_typeET2_T3_PNSL_ISQ_E10value_typeET4_jRbjT5_SW_jjP12ihipStream_tbEUlT_E0_NS1_11comp_targetILNS1_3genE3ELNS1_11target_archE908ELNS1_3gpuE7ELNS1_3repE0EEENS1_60segmented_radix_sort_warp_sort_medium_config_static_selectorELNS0_4arch9wavefront6targetE1EEEvSK_.num_agpr, 0
	.set _ZN7rocprim17ROCPRIM_400000_NS6detail17trampoline_kernelINS0_14default_configENS1_36segmented_radix_sort_config_selectorIilEEZNS1_25segmented_radix_sort_implIS3_Lb1EPKiPiPKlPlN2at6native12_GLOBAL__N_18offset_tEEE10hipError_tPvRmT1_PNSt15iterator_traitsISK_E10value_typeET2_T3_PNSL_ISQ_E10value_typeET4_jRbjT5_SW_jjP12ihipStream_tbEUlT_E0_NS1_11comp_targetILNS1_3genE3ELNS1_11target_archE908ELNS1_3gpuE7ELNS1_3repE0EEENS1_60segmented_radix_sort_warp_sort_medium_config_static_selectorELNS0_4arch9wavefront6targetE1EEEvSK_.numbered_sgpr, 0
	.set _ZN7rocprim17ROCPRIM_400000_NS6detail17trampoline_kernelINS0_14default_configENS1_36segmented_radix_sort_config_selectorIilEEZNS1_25segmented_radix_sort_implIS3_Lb1EPKiPiPKlPlN2at6native12_GLOBAL__N_18offset_tEEE10hipError_tPvRmT1_PNSt15iterator_traitsISK_E10value_typeET2_T3_PNSL_ISQ_E10value_typeET4_jRbjT5_SW_jjP12ihipStream_tbEUlT_E0_NS1_11comp_targetILNS1_3genE3ELNS1_11target_archE908ELNS1_3gpuE7ELNS1_3repE0EEENS1_60segmented_radix_sort_warp_sort_medium_config_static_selectorELNS0_4arch9wavefront6targetE1EEEvSK_.num_named_barrier, 0
	.set _ZN7rocprim17ROCPRIM_400000_NS6detail17trampoline_kernelINS0_14default_configENS1_36segmented_radix_sort_config_selectorIilEEZNS1_25segmented_radix_sort_implIS3_Lb1EPKiPiPKlPlN2at6native12_GLOBAL__N_18offset_tEEE10hipError_tPvRmT1_PNSt15iterator_traitsISK_E10value_typeET2_T3_PNSL_ISQ_E10value_typeET4_jRbjT5_SW_jjP12ihipStream_tbEUlT_E0_NS1_11comp_targetILNS1_3genE3ELNS1_11target_archE908ELNS1_3gpuE7ELNS1_3repE0EEENS1_60segmented_radix_sort_warp_sort_medium_config_static_selectorELNS0_4arch9wavefront6targetE1EEEvSK_.private_seg_size, 0
	.set _ZN7rocprim17ROCPRIM_400000_NS6detail17trampoline_kernelINS0_14default_configENS1_36segmented_radix_sort_config_selectorIilEEZNS1_25segmented_radix_sort_implIS3_Lb1EPKiPiPKlPlN2at6native12_GLOBAL__N_18offset_tEEE10hipError_tPvRmT1_PNSt15iterator_traitsISK_E10value_typeET2_T3_PNSL_ISQ_E10value_typeET4_jRbjT5_SW_jjP12ihipStream_tbEUlT_E0_NS1_11comp_targetILNS1_3genE3ELNS1_11target_archE908ELNS1_3gpuE7ELNS1_3repE0EEENS1_60segmented_radix_sort_warp_sort_medium_config_static_selectorELNS0_4arch9wavefront6targetE1EEEvSK_.uses_vcc, 0
	.set _ZN7rocprim17ROCPRIM_400000_NS6detail17trampoline_kernelINS0_14default_configENS1_36segmented_radix_sort_config_selectorIilEEZNS1_25segmented_radix_sort_implIS3_Lb1EPKiPiPKlPlN2at6native12_GLOBAL__N_18offset_tEEE10hipError_tPvRmT1_PNSt15iterator_traitsISK_E10value_typeET2_T3_PNSL_ISQ_E10value_typeET4_jRbjT5_SW_jjP12ihipStream_tbEUlT_E0_NS1_11comp_targetILNS1_3genE3ELNS1_11target_archE908ELNS1_3gpuE7ELNS1_3repE0EEENS1_60segmented_radix_sort_warp_sort_medium_config_static_selectorELNS0_4arch9wavefront6targetE1EEEvSK_.uses_flat_scratch, 0
	.set _ZN7rocprim17ROCPRIM_400000_NS6detail17trampoline_kernelINS0_14default_configENS1_36segmented_radix_sort_config_selectorIilEEZNS1_25segmented_radix_sort_implIS3_Lb1EPKiPiPKlPlN2at6native12_GLOBAL__N_18offset_tEEE10hipError_tPvRmT1_PNSt15iterator_traitsISK_E10value_typeET2_T3_PNSL_ISQ_E10value_typeET4_jRbjT5_SW_jjP12ihipStream_tbEUlT_E0_NS1_11comp_targetILNS1_3genE3ELNS1_11target_archE908ELNS1_3gpuE7ELNS1_3repE0EEENS1_60segmented_radix_sort_warp_sort_medium_config_static_selectorELNS0_4arch9wavefront6targetE1EEEvSK_.has_dyn_sized_stack, 0
	.set _ZN7rocprim17ROCPRIM_400000_NS6detail17trampoline_kernelINS0_14default_configENS1_36segmented_radix_sort_config_selectorIilEEZNS1_25segmented_radix_sort_implIS3_Lb1EPKiPiPKlPlN2at6native12_GLOBAL__N_18offset_tEEE10hipError_tPvRmT1_PNSt15iterator_traitsISK_E10value_typeET2_T3_PNSL_ISQ_E10value_typeET4_jRbjT5_SW_jjP12ihipStream_tbEUlT_E0_NS1_11comp_targetILNS1_3genE3ELNS1_11target_archE908ELNS1_3gpuE7ELNS1_3repE0EEENS1_60segmented_radix_sort_warp_sort_medium_config_static_selectorELNS0_4arch9wavefront6targetE1EEEvSK_.has_recursion, 0
	.set _ZN7rocprim17ROCPRIM_400000_NS6detail17trampoline_kernelINS0_14default_configENS1_36segmented_radix_sort_config_selectorIilEEZNS1_25segmented_radix_sort_implIS3_Lb1EPKiPiPKlPlN2at6native12_GLOBAL__N_18offset_tEEE10hipError_tPvRmT1_PNSt15iterator_traitsISK_E10value_typeET2_T3_PNSL_ISQ_E10value_typeET4_jRbjT5_SW_jjP12ihipStream_tbEUlT_E0_NS1_11comp_targetILNS1_3genE3ELNS1_11target_archE908ELNS1_3gpuE7ELNS1_3repE0EEENS1_60segmented_radix_sort_warp_sort_medium_config_static_selectorELNS0_4arch9wavefront6targetE1EEEvSK_.has_indirect_call, 0
	.section	.AMDGPU.csdata,"",@progbits
; Kernel info:
; codeLenInByte = 0
; TotalNumSgprs: 4
; NumVgprs: 0
; ScratchSize: 0
; MemoryBound: 0
; FloatMode: 240
; IeeeMode: 1
; LDSByteSize: 0 bytes/workgroup (compile time only)
; SGPRBlocks: 0
; VGPRBlocks: 0
; NumSGPRsForWavesPerEU: 4
; NumVGPRsForWavesPerEU: 1
; Occupancy: 10
; WaveLimiterHint : 0
; COMPUTE_PGM_RSRC2:SCRATCH_EN: 0
; COMPUTE_PGM_RSRC2:USER_SGPR: 6
; COMPUTE_PGM_RSRC2:TRAP_HANDLER: 0
; COMPUTE_PGM_RSRC2:TGID_X_EN: 1
; COMPUTE_PGM_RSRC2:TGID_Y_EN: 0
; COMPUTE_PGM_RSRC2:TGID_Z_EN: 0
; COMPUTE_PGM_RSRC2:TIDIG_COMP_CNT: 0
	.text
	.p2align	2                               ; -- Begin function _ZN7rocprim17ROCPRIM_400000_NS6detail26segmented_warp_sort_helperINS1_20WarpSortHelperConfigILj16ELj8ELj256EEEilLi256ELb1EvE4sortIPKiPiPKlPlEEvT_T0_T1_T2_jjjjRNS5_12storage_typeE
	.type	_ZN7rocprim17ROCPRIM_400000_NS6detail26segmented_warp_sort_helperINS1_20WarpSortHelperConfigILj16ELj8ELj256EEEilLi256ELb1EvE4sortIPKiPiPKlPlEEvT_T0_T1_T2_jjjjRNS5_12storage_typeE,@function
_ZN7rocprim17ROCPRIM_400000_NS6detail26segmented_warp_sort_helperINS1_20WarpSortHelperConfigILj16ELj8ELj256EEEilLi256ELb1EvE4sortIPKiPiPKlPlEEvT_T0_T1_T2_jjjjRNS5_12storage_typeE: ; @_ZN7rocprim17ROCPRIM_400000_NS6detail26segmented_warp_sort_helperINS1_20WarpSortHelperConfigILj16ELj8ELj256EEEilLi256ELb1EvE4sortIPKiPiPKlPlEEvT_T0_T1_T2_jjjjRNS5_12storage_typeE
; %bb.0:
	s_waitcnt vmcnt(0) expcnt(0) lgkmcnt(0)
	v_sub_u32_e32 v18, v9, v8
	v_mov_b32_e32 v9, 0
	v_mbcnt_lo_u32_b32 v14, -1, 0
	v_lshlrev_b64 v[12:13], 2, v[8:9]
	v_mbcnt_hi_u32_b32 v14, -1, v14
	v_lshlrev_b32_e32 v48, 3, v14
	v_add_co_u32_e32 v0, vcc, v0, v12
	v_and_b32_e32 v49, 0x78, v48
	v_addc_co_u32_e32 v1, vcc, v1, v13, vcc
	v_lshlrev_b32_e32 v38, 2, v49
	v_add_co_u32_e32 v0, vcc, v0, v38
	v_addc_co_u32_e32 v1, vcc, 0, v1, vcc
	v_cmp_lt_u32_e32 vcc, v49, v18
	v_bfrev_b32_e32 v15, 1
	v_bfrev_b32_e32 v14, 1
	s_and_saveexec_b64 s[4:5], vcc
	s_cbranch_execz .LBB511_2
; %bb.1:
	flat_load_dword v14, v[0:1]
.LBB511_2:
	s_or_b64 exec, exec, s[4:5]
	v_or_b32_e32 v16, 1, v49
	v_cmp_lt_u32_e64 s[4:5], v16, v18
	s_and_saveexec_b64 s[6:7], s[4:5]
	s_cbranch_execz .LBB511_4
; %bb.3:
	flat_load_dword v15, v[0:1] offset:4
.LBB511_4:
	s_or_b64 exec, exec, s[6:7]
	v_or_b32_e32 v16, 2, v49
	v_cmp_lt_u32_e64 s[6:7], v16, v18
	v_bfrev_b32_e32 v29, 1
	v_bfrev_b32_e32 v28, 1
	s_and_saveexec_b64 s[10:11], s[6:7]
	s_cbranch_execz .LBB511_6
; %bb.5:
	flat_load_dword v28, v[0:1] offset:8
.LBB511_6:
	s_or_b64 exec, exec, s[10:11]
	v_or_b32_e32 v16, 3, v49
	v_cmp_lt_u32_e64 s[18:19], v16, v18
	s_and_saveexec_b64 s[10:11], s[18:19]
	s_cbranch_execz .LBB511_8
; %bb.7:
	flat_load_dword v29, v[0:1] offset:12
.LBB511_8:
	s_or_b64 exec, exec, s[10:11]
	v_or_b32_e32 v16, 4, v49
	v_cmp_lt_u32_e64 s[10:11], v16, v18
	v_bfrev_b32_e32 v25, 1
	v_bfrev_b32_e32 v24, 1
	s_and_saveexec_b64 s[14:15], s[10:11]
	s_cbranch_execz .LBB511_10
; %bb.9:
	flat_load_dword v24, v[0:1] offset:16
.LBB511_10:
	;; [unrolled: 18-line block ×3, first 2 shown]
	s_or_b64 exec, exec, s[16:17]
	v_or_b32_e32 v19, 7, v49
	v_cmp_lt_u32_e64 s[16:17], v19, v18
	s_and_saveexec_b64 s[20:21], s[16:17]
	s_cbranch_execz .LBB511_16
; %bb.15:
	flat_load_dword v17, v[0:1] offset:28
.LBB511_16:
	s_or_b64 exec, exec, s[20:21]
	v_lshlrev_b64 v[0:1], 3, v[8:9]
	v_lshlrev_b32_e32 v39, 3, v49
	v_add_co_u32_e64 v4, s[20:21], v4, v0
	v_addc_co_u32_e64 v5, s[20:21], v5, v1, s[20:21]
	v_add_co_u32_e64 v36, s[20:21], v4, v39
	v_addc_co_u32_e64 v37, s[20:21], 0, v5, s[20:21]
	; wave barrier
                                        ; implicit-def: $vgpr4_vgpr5
	s_and_saveexec_b64 s[20:21], vcc
	s_cbranch_execnz .LBB511_243
; %bb.17:
	s_or_b64 exec, exec, s[20:21]
	s_and_saveexec_b64 s[20:21], s[4:5]
                                        ; implicit-def: $vgpr8_vgpr9
	s_cbranch_execnz .LBB511_244
.LBB511_18:
	s_or_b64 exec, exec, s[20:21]
                                        ; implicit-def: $vgpr18_vgpr19
	s_and_saveexec_b64 s[20:21], s[6:7]
	s_cbranch_execnz .LBB511_245
.LBB511_19:
	s_or_b64 exec, exec, s[20:21]
	s_and_saveexec_b64 s[20:21], s[18:19]
                                        ; implicit-def: $vgpr20_vgpr21
	s_cbranch_execnz .LBB511_246
.LBB511_20:
	s_or_b64 exec, exec, s[20:21]
                                        ; implicit-def: $vgpr26_vgpr27
	s_and_saveexec_b64 s[20:21], s[10:11]
	s_cbranch_execnz .LBB511_247
.LBB511_21:
	s_or_b64 exec, exec, s[20:21]
	s_and_saveexec_b64 s[20:21], s[26:27]
                                        ; implicit-def: $vgpr32_vgpr33
	s_cbranch_execnz .LBB511_248
.LBB511_22:
	s_or_b64 exec, exec, s[20:21]
                                        ; implicit-def: $vgpr22_vgpr23
	s_and_saveexec_b64 s[20:21], s[14:15]
	s_cbranch_execnz .LBB511_249
.LBB511_23:
	s_or_b64 exec, exec, s[20:21]
	s_and_saveexec_b64 s[20:21], s[16:17]
                                        ; implicit-def: $vgpr34_vgpr35
	s_cbranch_execz .LBB511_25
.LBB511_24:
	flat_load_dwordx2 v[34:35], v[36:37] offset:56
.LBB511_25:
	s_or_b64 exec, exec, s[20:21]
	v_cmp_ne_u32_e64 s[20:21], 0, v10
	v_cmp_ne_u32_e64 s[22:23], 32, v11
	s_or_b64 s[20:21], s[20:21], s[22:23]
	v_bfe_u32 v30, v31, 10, 10
	v_bfe_u32 v36, v31, 20, 10
	; wave barrier
	s_and_saveexec_b64 s[22:23], s[20:21]
	s_xor_b64 s[58:59], exec, s[22:23]
	s_cbranch_execz .LBB511_125
; %bb.26:
	s_load_dwordx2 s[20:21], s[8:9], 0x0
	v_mov_b32_e32 v37, 0
	v_and_b32_e32 v31, 0x3ff, v31
	v_lshlrev_b32_e64 v11, v11, -1
	v_lshlrev_b32_e64 v10, v10, -1
	s_waitcnt lgkmcnt(0)
	s_cmp_lt_u32 s13, s21
	s_cselect_b32 s21, 14, 20
	s_add_u32 s22, s8, s21
	s_addc_u32 s23, s9, 0
	s_cmp_lt_u32 s12, s20
	s_cselect_b32 s20, 12, 18
	s_add_u32 s20, s8, s20
	s_addc_u32 s21, s9, 0
	global_load_ushort v50, v37, s[22:23]
	global_load_ushort v51, v37, s[20:21]
	s_movk_i32 s20, 0x800
	s_waitcnt vmcnt(0)
	v_mad_u32_u24 v30, v36, v50, v30
	v_mul_lo_u32 v30, v30, v51
	v_xor_b32_e32 v50, v11, v10
	v_add_lshl_u32 v51, v30, v31, 3
	v_cmp_gt_u32_e64 s[20:21], s20, v51
	s_and_saveexec_b64 s[22:23], s[20:21]
	s_cbranch_execz .LBB511_84
; %bb.27:
	v_and_b32_e32 v10, v15, v50
	v_and_b32_e32 v11, v14, v50
	v_mov_b32_e32 v31, v9
	v_cmp_gt_u32_e64 s[20:21], v10, v11
	v_mov_b32_e32 v52, v15
	v_mov_b32_e32 v30, v8
	s_and_saveexec_b64 s[24:25], s[20:21]
; %bb.28:
	v_mov_b32_e32 v31, v5
	v_mov_b32_e32 v30, v4
	v_mov_b32_e32 v4, v8
	v_mov_b32_e32 v52, v14
	v_mov_b32_e32 v14, v15
	v_mov_b32_e32 v5, v9
; %bb.29:
	s_or_b64 exec, exec, s[24:25]
	v_and_b32_e32 v8, v29, v50
	v_and_b32_e32 v9, v28, v50
	v_mov_b32_e32 v37, v21
	v_cmp_gt_u32_e64 s[20:21], v8, v9
	v_mov_b32_e32 v15, v29
	v_mov_b32_e32 v36, v20
	s_and_saveexec_b64 s[24:25], s[20:21]
; %bb.30:
	v_mov_b32_e32 v37, v19
	v_mov_b32_e32 v36, v18
	v_mov_b32_e32 v18, v20
	v_mov_b32_e32 v15, v28
	v_mov_b32_e32 v28, v29
	v_mov_b32_e32 v19, v21
; %bb.31:
	s_or_b64 exec, exec, s[24:25]
	;; [unrolled: 16-line block ×3, first 2 shown]
	v_and_b32_e32 v8, v17, v50
	v_and_b32_e32 v9, v16, v50
	v_cmp_gt_u32_e64 s[20:21], v8, v9
	v_mov_b32_e32 v8, v34
	v_mov_b32_e32 v9, v35
	;; [unrolled: 1-line block ×3, first 2 shown]
	s_and_saveexec_b64 s[24:25], s[20:21]
; %bb.34:
	v_mov_b32_e32 v8, v22
	v_mov_b32_e32 v9, v23
	;; [unrolled: 1-line block ×6, first 2 shown]
; %bb.35:
	s_or_b64 exec, exec, s[24:25]
	v_and_b32_e32 v16, v28, v50
	v_and_b32_e32 v20, v52, v50
	v_cmp_gt_u32_e64 s[20:21], v16, v20
	v_mov_b32_e32 v21, v19
	v_mov_b32_e32 v32, v28
	;; [unrolled: 1-line block ×3, first 2 shown]
	s_and_saveexec_b64 s[24:25], s[20:21]
	s_xor_b64 s[20:21], exec, s[24:25]
; %bb.36:
	v_mov_b32_e32 v20, v30
	v_mov_b32_e32 v21, v31
	;; [unrolled: 1-line block ×6, first 2 shown]
; %bb.37:
	s_or_b64 exec, exec, s[20:21]
	v_and_b32_e32 v16, v53, v50
	v_and_b32_e32 v18, v15, v50
	v_mov_b32_e32 v29, v27
	v_cmp_gt_u32_e64 s[20:21], v16, v18
	v_mov_b32_e32 v18, v15
	v_mov_b32_e32 v28, v26
	s_and_saveexec_b64 s[24:25], s[20:21]
; %bb.38:
	v_mov_b32_e32 v28, v36
	v_mov_b32_e32 v29, v37
	v_mov_b32_e32 v37, v27
	v_mov_b32_e32 v18, v53
	v_mov_b32_e32 v36, v26
	v_mov_b32_e32 v53, v15
; %bb.39:
	s_or_b64 exec, exec, s[24:25]
	v_and_b32_e32 v15, v33, v50
	v_and_b32_e32 v16, v25, v50
	v_cmp_gt_u32_e64 s[20:21], v15, v16
	v_mov_b32_e32 v15, v22
	v_mov_b32_e32 v16, v23
	v_mov_b32_e32 v27, v25
	s_and_saveexec_b64 s[24:25], s[20:21]
; %bb.40:
	v_mov_b32_e32 v16, v11
	v_mov_b32_e32 v15, v10
	v_mov_b32_e32 v10, v22
	v_mov_b32_e32 v11, v23
	v_mov_b32_e32 v27, v33
	v_mov_b32_e32 v33, v25
; %bb.41:
	s_or_b64 exec, exec, s[24:25]
	v_and_b32_e32 v19, v52, v50
	v_and_b32_e32 v22, v14, v50
	v_cmp_gt_u32_e64 s[20:21], v19, v22
	v_mov_b32_e32 v22, v30
	;; [unrolled: 16-line block ×5, first 2 shown]
	v_mov_b32_e32 v10, v8
	v_mov_b32_e32 v35, v33
	s_and_saveexec_b64 s[24:25], s[20:21]
; %bb.48:
	v_mov_b32_e32 v10, v15
	v_mov_b32_e32 v11, v16
	v_mov_b32_e32 v16, v9
	v_mov_b32_e32 v15, v8
	v_mov_b32_e32 v35, v17
	v_mov_b32_e32 v17, v33
; %bb.49:
	s_or_b64 exec, exec, s[24:25]
	v_and_b32_e32 v8, v32, v50
	v_and_b32_e32 v9, v26, v50
	v_mov_b32_e32 v31, v21
	v_cmp_gt_u32_e64 s[20:21], v8, v9
	v_mov_b32_e32 v34, v32
	v_mov_b32_e32 v30, v20
	s_and_saveexec_b64 s[24:25], s[20:21]
; %bb.50:
	v_mov_b32_e32 v31, v23
	v_mov_b32_e32 v30, v22
	;; [unrolled: 1-line block ×6, first 2 shown]
; %bb.51:
	s_or_b64 exec, exec, s[24:25]
	v_and_b32_e32 v8, v36, v50
	v_and_b32_e32 v9, v52, v50
	v_mov_b32_e32 v20, v28
	v_cmp_gt_u32_e64 s[20:21], v8, v9
	v_mov_b32_e32 v37, v52
	v_mov_b32_e32 v21, v29
	s_and_saveexec_b64 s[24:25], s[20:21]
; %bb.52:
	v_mov_b32_e32 v20, v24
	v_mov_b32_e32 v21, v25
	;; [unrolled: 1-line block ×6, first 2 shown]
; %bb.53:
	s_or_b64 exec, exec, s[24:25]
	v_and_b32_e32 v8, v35, v50
	v_and_b32_e32 v9, v27, v50
	v_cmp_gt_u32_e64 s[20:21], v8, v9
	v_mov_b32_e32 v8, v15
	v_mov_b32_e32 v9, v16
	;; [unrolled: 1-line block ×3, first 2 shown]
	s_and_saveexec_b64 s[24:25], s[20:21]
; %bb.54:
	v_mov_b32_e32 v8, v18
	v_mov_b32_e32 v9, v19
	v_mov_b32_e32 v19, v16
	v_mov_b32_e32 v18, v15
	v_mov_b32_e32 v53, v35
	v_mov_b32_e32 v35, v27
; %bb.55:
	s_or_b64 exec, exec, s[24:25]
	v_and_b32_e32 v15, v26, v50
	v_and_b32_e32 v16, v14, v50
	v_mov_b32_e32 v29, v23
	v_cmp_gt_u32_e64 s[20:21], v15, v16
	v_mov_b32_e32 v16, v26
	v_mov_b32_e32 v28, v22
	s_and_saveexec_b64 s[24:25], s[20:21]
; %bb.56:
	v_mov_b32_e32 v29, v5
	v_mov_b32_e32 v28, v4
	v_mov_b32_e32 v4, v22
	v_mov_b32_e32 v16, v14
	v_mov_b32_e32 v14, v26
	v_mov_b32_e32 v5, v23
; %bb.57:
	s_or_b64 exec, exec, s[24:25]
	v_and_b32_e32 v15, v37, v50
	v_and_b32_e32 v22, v34, v50
	v_mov_b32_e32 v33, v25
	v_cmp_gt_u32_e64 s[20:21], v15, v22
	v_mov_b32_e32 v15, v37
	v_mov_b32_e32 v32, v24
	;; [unrolled: 16-line block ×3, first 2 shown]
	s_and_saveexec_b64 s[24:25], s[20:21]
; %bb.60:
	v_mov_b32_e32 v27, v21
	v_mov_b32_e32 v26, v20
	;; [unrolled: 1-line block ×6, first 2 shown]
; %bb.61:
	s_or_b64 exec, exec, s[24:25]
	v_and_b32_e32 v18, v17, v50
	v_and_b32_e32 v19, v35, v50
	v_cmp_gt_u32_e64 s[20:21], v18, v19
	v_mov_b32_e32 v19, v11
	v_mov_b32_e32 v18, v10
	v_mov_b32_e32 v54, v35
	s_and_saveexec_b64 s[24:25], s[20:21]
; %bb.62:
	v_mov_b32_e32 v19, v9
	v_mov_b32_e32 v18, v8
	;; [unrolled: 1-line block ×6, first 2 shown]
; %bb.63:
	s_or_b64 exec, exec, s[24:25]
	v_and_b32_e32 v10, v34, v50
	v_and_b32_e32 v11, v16, v50
	v_mov_b32_e32 v37, v31
	v_cmp_gt_u32_e64 s[20:21], v10, v11
	v_mov_b32_e32 v52, v34
	v_mov_b32_e32 v36, v30
	s_and_saveexec_b64 s[24:25], s[20:21]
; %bb.64:
	v_mov_b32_e32 v37, v29
	v_mov_b32_e32 v36, v28
	;; [unrolled: 1-line block ×6, first 2 shown]
; %bb.65:
	s_or_b64 exec, exec, s[24:25]
	v_and_b32_e32 v10, v55, v50
	v_and_b32_e32 v11, v15, v50
	v_cmp_gt_u32_e64 s[20:21], v10, v11
	v_mov_b32_e32 v10, v20
	v_mov_b32_e32 v24, v15
	;; [unrolled: 1-line block ×3, first 2 shown]
	s_and_saveexec_b64 s[24:25], s[20:21]
; %bb.66:
	v_mov_b32_e32 v10, v32
	v_mov_b32_e32 v11, v33
	;; [unrolled: 1-line block ×6, first 2 shown]
; %bb.67:
	s_or_b64 exec, exec, s[24:25]
	v_and_b32_e32 v15, v54, v50
	v_and_b32_e32 v20, v53, v50
	v_mov_b32_e32 v23, v9
	v_cmp_gt_u32_e64 s[20:21], v15, v20
	v_mov_b32_e32 v22, v8
	v_mov_b32_e32 v25, v53
	s_and_saveexec_b64 s[24:25], s[20:21]
; %bb.68:
	v_mov_b32_e32 v22, v26
	v_mov_b32_e32 v23, v27
	;; [unrolled: 1-line block ×6, first 2 shown]
; %bb.69:
	s_or_b64 exec, exec, s[24:25]
	v_and_b32_e32 v8, v16, v50
	v_and_b32_e32 v9, v14, v50
	v_cmp_gt_u32_e64 s[20:21], v8, v9
	v_mov_b32_e32 v8, v28
	v_mov_b32_e32 v15, v16
	;; [unrolled: 1-line block ×3, first 2 shown]
	s_and_saveexec_b64 s[24:25], s[20:21]
; %bb.70:
	v_mov_b32_e32 v9, v5
	v_mov_b32_e32 v8, v4
	;; [unrolled: 1-line block ×6, first 2 shown]
; %bb.71:
	s_or_b64 exec, exec, s[24:25]
	v_and_b32_e32 v16, v24, v50
	v_and_b32_e32 v20, v52, v50
	v_cmp_gt_u32_e64 s[20:21], v16, v20
	v_mov_b32_e32 v20, v32
	v_mov_b32_e32 v16, v24
	;; [unrolled: 1-line block ×3, first 2 shown]
	s_and_saveexec_b64 s[24:25], s[20:21]
; %bb.72:
	v_mov_b32_e32 v20, v36
	v_mov_b32_e32 v21, v37
	;; [unrolled: 1-line block ×6, first 2 shown]
; %bb.73:
	s_or_b64 exec, exec, s[24:25]
	v_and_b32_e32 v24, v25, v50
	v_and_b32_e32 v28, v55, v50
	v_mov_b32_e32 v31, v27
	v_cmp_gt_u32_e64 s[20:21], v24, v28
	v_mov_b32_e32 v30, v26
	v_mov_b32_e32 v24, v55
	s_and_saveexec_b64 s[24:25], s[20:21]
; %bb.74:
	v_mov_b32_e32 v31, v11
	v_mov_b32_e32 v30, v10
	;; [unrolled: 1-line block ×6, first 2 shown]
; %bb.75:
	s_or_b64 exec, exec, s[24:25]
	v_and_b32_e32 v26, v17, v50
	v_and_b32_e32 v27, v54, v50
	v_mov_b32_e32 v35, v19
	v_cmp_gt_u32_e64 s[20:21], v26, v27
	v_mov_b32_e32 v34, v18
	v_mov_b32_e32 v53, v54
	s_and_saveexec_b64 s[24:25], s[20:21]
; %bb.76:
	v_mov_b32_e32 v35, v23
	v_mov_b32_e32 v34, v22
	;; [unrolled: 1-line block ×6, first 2 shown]
; %bb.77:
	s_or_b64 exec, exec, s[24:25]
	v_and_b32_e32 v18, v52, v50
	v_and_b32_e32 v19, v15, v50
	v_cmp_gt_u32_e64 s[20:21], v18, v19
	v_mov_b32_e32 v18, v36
	v_mov_b32_e32 v28, v52
	;; [unrolled: 1-line block ×3, first 2 shown]
	s_and_saveexec_b64 s[24:25], s[20:21]
; %bb.78:
	v_mov_b32_e32 v19, v9
	v_mov_b32_e32 v18, v8
	;; [unrolled: 1-line block ×6, first 2 shown]
; %bb.79:
	s_or_b64 exec, exec, s[24:25]
	v_and_b32_e32 v26, v24, v50
	v_and_b32_e32 v27, v16, v50
	v_cmp_gt_u32_e64 s[20:21], v26, v27
	v_mov_b32_e32 v27, v11
	v_mov_b32_e32 v29, v16
	;; [unrolled: 1-line block ×3, first 2 shown]
	s_and_saveexec_b64 s[24:25], s[20:21]
; %bb.80:
	v_mov_b32_e32 v27, v21
	v_mov_b32_e32 v26, v20
	;; [unrolled: 1-line block ×6, first 2 shown]
; %bb.81:
	s_or_b64 exec, exec, s[24:25]
	v_and_b32_e32 v10, v53, v50
	v_and_b32_e32 v11, v25, v50
	v_mov_b32_e32 v33, v31
	v_cmp_gt_u32_e64 s[20:21], v10, v11
	v_mov_b32_e32 v16, v53
	v_mov_b32_e32 v32, v30
	s_and_saveexec_b64 s[24:25], s[20:21]
; %bb.82:
	v_mov_b32_e32 v33, v23
	v_mov_b32_e32 v32, v22
	;; [unrolled: 1-line block ×6, first 2 shown]
; %bb.83:
	s_or_b64 exec, exec, s[24:25]
.LBB511_84:
	s_or_b64 exec, exec, s[22:23]
	v_and_b32_e32 v10, 0xfffffe00, v51
	s_movk_i32 s20, 0x800
	v_lshlrev_b32_e32 v11, 2, v10
	v_sub_u32_e64 v30, s20, v10 clamp
	v_add_u32_e32 v10, v11, v11
	v_lshl_add_u32 v36, v48, 3, v10
	v_add_u32_e32 v37, 0x2000, v36
	v_lshl_add_u32 v31, v48, 2, v11
	ds_write2_b64 v37, v[4:5], v[8:9] offset1:1
	v_add_u32_e32 v37, 0x2010, v36
	ds_write2_b64 v31, v[14:15], v[28:29] offset1:1
	ds_write2_b64 v37, v[18:19], v[20:21] offset1:1
	v_add_u32_e32 v37, 0x2020, v36
	ds_write2_b64 v37, v[26:27], v[32:33] offset1:1
	v_add_u32_e32 v37, 0x2030, v36
	ds_write2_b64 v31, v[24:25], v[16:17] offset0:2 offset1:3
	ds_write2_b64 v37, v[22:23], v[34:35] offset1:1
	v_or_b32_e32 v37, 8, v48
	v_min_u32_e32 v37, v30, v37
	v_add_u32_e32 v51, 8, v37
	v_and_b32_e32 v54, 0x3f0, v48
	v_min_u32_e32 v51, v30, v51
	v_and_b32_e32 v52, 8, v48
	v_min_u32_e32 v55, v30, v52
	v_sub_u32_e32 v64, v37, v54
	v_sub_u32_e32 v53, v51, v37
	v_sub_u32_e64 v53, v55, v53 clamp
	v_min_u32_e32 v64, v55, v64
	v_lshl_add_u32 v52, v54, 2, v11
	v_cmp_lt_u32_e64 s[20:21], v53, v64
	; wave barrier
	s_and_saveexec_b64 s[22:23], s[20:21]
	s_cbranch_execz .LBB511_88
; %bb.85:
	v_lshlrev_b32_e32 v65, 2, v37
	v_lshlrev_b32_e32 v66, 2, v55
	v_add3_u32 v65, v11, v65, v66
	s_mov_b64 s[24:25], 0
.LBB511_86:                             ; =>This Inner Loop Header: Depth=1
	v_add_u32_e32 v66, v64, v53
	v_lshrrev_b32_e32 v66, 1, v66
	v_not_b32_e32 v67, v66
	v_lshl_add_u32 v68, v66, 2, v52
	v_lshl_add_u32 v67, v67, 2, v65
	ds_read_b32 v68, v68
	ds_read_b32 v67, v67
	v_add_u32_e32 v69, 1, v66
	s_waitcnt lgkmcnt(1)
	v_and_b32_e32 v68, v68, v50
	s_waitcnt lgkmcnt(0)
	v_and_b32_e32 v67, v67, v50
	v_cmp_gt_u32_e64 s[20:21], v67, v68
	v_cndmask_b32_e64 v64, v64, v66, s[20:21]
	v_cndmask_b32_e64 v53, v69, v53, s[20:21]
	v_cmp_ge_u32_e64 s[20:21], v53, v64
	s_or_b64 s[24:25], s[20:21], s[24:25]
	s_andn2_b64 exec, exec, s[24:25]
	s_cbranch_execnz .LBB511_86
; %bb.87:
	s_or_b64 exec, exec, s[24:25]
.LBB511_88:
	s_or_b64 exec, exec, s[22:23]
	v_add_u32_e32 v55, v37, v55
	v_add_u32_e32 v54, v53, v54
	v_sub_u32_e32 v55, v55, v53
	v_cmp_le_u32_e64 s[20:21], v54, v37
	v_cmp_le_u32_e64 s[22:23], v55, v51
	s_or_b64 s[20:21], s[20:21], s[22:23]
	s_and_saveexec_b64 s[60:61], s[20:21]
	s_cbranch_execz .LBB511_94
; %bb.89:
	v_cmp_lt_u32_e64 s[20:21], v54, v37
                                        ; implicit-def: $vgpr14
	s_and_saveexec_b64 s[22:23], s[20:21]
; %bb.90:
	v_lshl_add_u32 v4, v53, 2, v52
	ds_read_b32 v14, v4
; %bb.91:
	s_or_b64 exec, exec, s[22:23]
	v_cmp_ge_u32_e64 s[22:23], v55, v51
	v_cmp_lt_u32_e64 s[24:25], v55, v51
                                        ; implicit-def: $vgpr15
	s_and_saveexec_b64 s[28:29], s[24:25]
; %bb.92:
	v_lshl_add_u32 v4, v55, 2, v11
	ds_read_b32 v15, v4
; %bb.93:
	s_or_b64 exec, exec, s[28:29]
	s_waitcnt lgkmcnt(0)
	v_and_b32_e32 v4, v15, v50
	v_and_b32_e32 v5, v14, v50
	v_cmp_le_u32_e64 s[24:25], v4, v5
	s_and_b64 s[20:21], s[20:21], s[24:25]
	s_or_b64 s[20:21], s[22:23], s[20:21]
	v_cndmask_b32_e64 v4, v55, v54, s[20:21]
	v_cndmask_b32_e64 v5, v51, v37, s[20:21]
	v_add_u32_e32 v8, 1, v4
	v_add_u32_e32 v5, -1, v5
	v_min_u32_e32 v5, v8, v5
	v_lshl_add_u32 v5, v5, 2, v11
	ds_read_b32 v5, v5
	v_lshl_add_u32 v4, v4, 3, v10
	s_waitcnt lgkmcnt(0)
	v_cndmask_b32_e64 v16, v5, v15, s[20:21]
	v_cndmask_b32_e64 v17, v14, v5, s[20:21]
	;; [unrolled: 1-line block ×4, first 2 shown]
	v_and_b32_e32 v9, v16, v50
	v_and_b32_e32 v18, v17, v50
	v_cmp_lt_u32_e64 s[24:25], v8, v37
	v_cmp_le_u32_e64 s[28:29], v9, v18
	v_cmp_ge_u32_e64 s[22:23], v5, v51
	s_and_b64 s[24:25], s[24:25], s[28:29]
	s_or_b64 s[22:23], s[22:23], s[24:25]
	v_cndmask_b32_e64 v9, v5, v8, s[22:23]
	v_cndmask_b32_e64 v18, v51, v37, s[22:23]
	v_add_u32_e32 v19, 1, v9
	v_add_u32_e32 v18, -1, v18
	v_min_u32_e32 v18, v19, v18
	v_lshl_add_u32 v18, v18, 2, v11
	ds_read_b32 v18, v18
	v_cndmask_b32_e64 v5, v19, v5, s[22:23]
	v_cndmask_b32_e64 v8, v8, v19, s[22:23]
	v_cmp_lt_u32_e64 s[28:29], v8, v37
	v_cmp_ge_u32_e64 s[24:25], v5, v51
	s_waitcnt lgkmcnt(0)
	v_cndmask_b32_e64 v24, v18, v16, s[22:23]
	v_cndmask_b32_e64 v25, v17, v18, s[22:23]
	v_and_b32_e32 v18, v24, v50
	v_and_b32_e32 v19, v25, v50
	v_cmp_le_u32_e64 s[40:41], v18, v19
	s_and_b64 s[28:29], s[28:29], s[40:41]
	s_or_b64 s[24:25], s[24:25], s[28:29]
	v_cndmask_b32_e64 v18, v5, v8, s[24:25]
	v_cndmask_b32_e64 v19, v51, v37, s[24:25]
	v_add_u32_e32 v20, 1, v18
	v_add_u32_e32 v19, -1, v19
	v_min_u32_e32 v19, v20, v19
	v_lshl_add_u32 v19, v19, 2, v11
	ds_read_b32 v19, v19
	v_lshl_add_u32 v18, v18, 3, v10
	v_cndmask_b32_e64 v14, v15, v14, s[20:21]
	v_cndmask_b32_e64 v15, v16, v17, s[22:23]
	s_waitcnt lgkmcnt(0)
	v_cndmask_b32_e64 v29, v19, v24, s[24:25]
	v_cndmask_b32_e64 v34, v25, v19, s[24:25]
	;; [unrolled: 1-line block ×4, first 2 shown]
	v_and_b32_e32 v5, v29, v50
	v_and_b32_e32 v8, v34, v50
	v_cmp_lt_u32_e64 s[40:41], v20, v37
	v_cmp_le_u32_e64 s[42:43], v5, v8
	v_cmp_ge_u32_e64 s[28:29], v19, v51
	s_and_b64 s[40:41], s[40:41], s[42:43]
	s_or_b64 s[28:29], s[28:29], s[40:41]
	v_cndmask_b32_e64 v21, v19, v20, s[28:29]
	v_cndmask_b32_e64 v5, v51, v37, s[28:29]
	v_add_u32_e32 v22, 1, v21
	v_add_u32_e32 v5, -1, v5
	v_min_u32_e32 v5, v22, v5
	v_lshl_add_u32 v5, v5, 2, v11
	ds_read_b32 v23, v5
	v_lshl_add_u32 v8, v9, 3, v10
	ds_read_b64 v[4:5], v4 offset:8192
	ds_read_b64 v[8:9], v8 offset:8192
	s_waitcnt lgkmcnt(2)
	v_cndmask_b32_e64 v52, v23, v29, s[28:29]
	v_cndmask_b32_e64 v53, v34, v23, s[28:29]
	;; [unrolled: 1-line block ×4, first 2 shown]
	v_and_b32_e32 v19, v52, v50
	v_and_b32_e32 v20, v53, v50
	v_cmp_lt_u32_e64 s[42:43], v22, v37
	v_cmp_le_u32_e64 s[44:45], v19, v20
	v_cmp_ge_u32_e64 s[40:41], v23, v51
	s_and_b64 s[42:43], s[42:43], s[44:45]
	s_or_b64 s[40:41], s[40:41], s[42:43]
	v_cndmask_b32_e64 v26, v23, v22, s[40:41]
	v_cndmask_b32_e64 v19, v51, v37, s[40:41]
	v_add_u32_e32 v27, 1, v26
	v_add_u32_e32 v19, -1, v19
	v_min_u32_e32 v19, v27, v19
	v_lshl_add_u32 v19, v19, 2, v11
	ds_read_b32 v28, v19
	v_cndmask_b32_e64 v23, v27, v23, s[40:41]
	v_cndmask_b32_e64 v22, v22, v27, s[40:41]
	v_cmp_lt_u32_e64 s[44:45], v22, v37
	v_cmp_ge_u32_e64 s[42:43], v23, v51
	s_waitcnt lgkmcnt(0)
	v_cndmask_b32_e64 v54, v28, v52, s[40:41]
	v_cndmask_b32_e64 v55, v53, v28, s[40:41]
	v_and_b32_e32 v27, v54, v50
	v_and_b32_e32 v28, v55, v50
	v_cmp_le_u32_e64 s[46:47], v27, v28
	s_and_b64 s[44:45], s[44:45], s[46:47]
	s_or_b64 s[42:43], s[42:43], s[44:45]
	v_cndmask_b32_e64 v28, v23, v22, s[42:43]
	v_cndmask_b32_e64 v27, v51, v37, s[42:43]
	v_add_u32_e32 v35, 1, v28
	v_add_u32_e32 v27, -1, v27
	v_min_u32_e32 v27, v35, v27
	v_lshl_add_u32 v27, v27, 2, v11
	ds_read_b32 v64, v27
	v_cndmask_b32_e64 v66, v35, v23, s[42:43]
	v_cndmask_b32_e64 v35, v22, v35, s[42:43]
	v_cmp_lt_u32_e64 s[46:47], v35, v37
	v_cmp_ge_u32_e64 s[44:45], v66, v51
	s_waitcnt lgkmcnt(0)
	v_cndmask_b32_e64 v65, v64, v54, s[42:43]
	v_cndmask_b32_e64 v64, v55, v64, s[42:43]
	v_and_b32_e32 v22, v65, v50
	v_and_b32_e32 v23, v64, v50
	v_cmp_le_u32_e64 s[56:57], v22, v23
	s_and_b64 s[46:47], s[46:47], s[56:57]
	s_or_b64 s[44:45], s[44:45], s[46:47]
	v_lshl_add_u32 v26, v26, 3, v10
	v_lshl_add_u32 v28, v28, 3, v10
	v_cndmask_b32_e64 v22, v66, v35, s[44:45]
	v_cndmask_b32_e64 v23, v51, v37, s[44:45]
	ds_read_b64 v[26:27], v26 offset:8192
	ds_read_b64 v[32:33], v28 offset:8192
	v_lshl_add_u32 v28, v22, 3, v10
	v_add_u32_e32 v67, 1, v22
	v_add_u32_e32 v22, -1, v23
	v_min_u32_e32 v22, v67, v22
	v_lshl_add_u32 v20, v21, 3, v10
	v_lshl_add_u32 v68, v22, 2, v11
	ds_read_b64 v[18:19], v18 offset:8192
	ds_read_b64 v[20:21], v20 offset:8192
	;; [unrolled: 1-line block ×3, first 2 shown]
	ds_read_b32 v68, v68
	v_cndmask_b32_e64 v28, v24, v25, s[24:25]
	v_cndmask_b32_e64 v29, v29, v34, s[28:29]
	v_cndmask_b32_e64 v24, v35, v67, s[44:45]
	v_cndmask_b32_e64 v16, v67, v66, s[44:45]
	s_waitcnt lgkmcnt(0)
	v_cndmask_b32_e64 v17, v68, v65, s[44:45]
	v_cndmask_b32_e64 v68, v64, v68, s[44:45]
	v_and_b32_e32 v25, v17, v50
	v_and_b32_e32 v34, v68, v50
	v_cmp_lt_u32_e64 s[22:23], v24, v37
	v_cmp_le_u32_e64 s[24:25], v25, v34
	v_cmp_ge_u32_e64 s[20:21], v16, v51
	s_and_b64 s[22:23], s[22:23], s[24:25]
	s_or_b64 s[20:21], s[20:21], s[22:23]
	v_cndmask_b32_e64 v16, v16, v24, s[20:21]
	v_lshl_add_u32 v16, v16, 3, v10
	ds_read_b64 v[34:35], v16 offset:8192
	v_cndmask_b32_e64 v24, v52, v53, s[40:41]
	v_cndmask_b32_e64 v25, v54, v55, s[42:43]
	;; [unrolled: 1-line block ×4, first 2 shown]
.LBB511_94:
	s_or_b64 exec, exec, s[60:61]
	v_add_u32_e32 v37, 0x2000, v36
	; wave barrier
	ds_write2_b64 v37, v[4:5], v[8:9] offset1:1
	v_add_u32_e32 v37, 0x2010, v36
	ds_write2_b64 v31, v[14:15], v[28:29] offset1:1
	ds_write2_b64 v37, v[18:19], v[20:21] offset1:1
	v_add_u32_e32 v37, 0x2020, v36
	ds_write2_b64 v37, v[26:27], v[32:33] offset1:1
	v_add_u32_e32 v37, 0x2030, v36
	v_and_b32_e32 v54, 0x3e0, v48
	ds_write2_b64 v31, v[24:25], v[16:17] offset0:2 offset1:3
	s_waitcnt lgkmcnt(5)
	ds_write2_b64 v37, v[22:23], v[34:35] offset1:1
	v_or_b32_e32 v37, 16, v54
	v_min_u32_e32 v37, v30, v37
	v_add_u32_e32 v51, 16, v37
	v_min_u32_e32 v51, v30, v51
	v_and_b32_e32 v52, 24, v48
	v_min_u32_e32 v55, v30, v52
	v_sub_u32_e32 v64, v37, v54
	v_sub_u32_e32 v53, v51, v37
	v_sub_u32_e64 v53, v55, v53 clamp
	v_min_u32_e32 v64, v55, v64
	v_lshl_add_u32 v52, v54, 2, v11
	v_cmp_lt_u32_e64 s[20:21], v53, v64
	; wave barrier
	s_and_saveexec_b64 s[22:23], s[20:21]
	s_cbranch_execz .LBB511_98
; %bb.95:
	v_lshlrev_b32_e32 v65, 2, v37
	v_lshlrev_b32_e32 v66, 2, v55
	v_add3_u32 v65, v11, v65, v66
	s_mov_b64 s[24:25], 0
.LBB511_96:                             ; =>This Inner Loop Header: Depth=1
	v_add_u32_e32 v66, v64, v53
	v_lshrrev_b32_e32 v66, 1, v66
	v_not_b32_e32 v67, v66
	v_lshl_add_u32 v68, v66, 2, v52
	v_lshl_add_u32 v67, v67, 2, v65
	ds_read_b32 v68, v68
	ds_read_b32 v67, v67
	v_add_u32_e32 v69, 1, v66
	s_waitcnt lgkmcnt(1)
	v_and_b32_e32 v68, v68, v50
	s_waitcnt lgkmcnt(0)
	v_and_b32_e32 v67, v67, v50
	v_cmp_gt_u32_e64 s[20:21], v67, v68
	v_cndmask_b32_e64 v64, v64, v66, s[20:21]
	v_cndmask_b32_e64 v53, v69, v53, s[20:21]
	v_cmp_ge_u32_e64 s[20:21], v53, v64
	s_or_b64 s[24:25], s[20:21], s[24:25]
	s_andn2_b64 exec, exec, s[24:25]
	s_cbranch_execnz .LBB511_96
; %bb.97:
	s_or_b64 exec, exec, s[24:25]
.LBB511_98:
	s_or_b64 exec, exec, s[22:23]
	v_add_u32_e32 v55, v37, v55
	v_add_u32_e32 v54, v53, v54
	v_sub_u32_e32 v55, v55, v53
	v_cmp_le_u32_e64 s[20:21], v54, v37
	v_cmp_le_u32_e64 s[22:23], v55, v51
	s_or_b64 s[20:21], s[20:21], s[22:23]
	s_and_saveexec_b64 s[60:61], s[20:21]
	s_cbranch_execz .LBB511_104
; %bb.99:
	v_cmp_lt_u32_e64 s[20:21], v54, v37
                                        ; implicit-def: $vgpr14
	s_and_saveexec_b64 s[22:23], s[20:21]
; %bb.100:
	v_lshl_add_u32 v4, v53, 2, v52
	ds_read_b32 v14, v4
; %bb.101:
	s_or_b64 exec, exec, s[22:23]
	v_cmp_ge_u32_e64 s[22:23], v55, v51
	v_cmp_lt_u32_e64 s[24:25], v55, v51
                                        ; implicit-def: $vgpr15
	s_and_saveexec_b64 s[28:29], s[24:25]
; %bb.102:
	v_lshl_add_u32 v4, v55, 2, v11
	ds_read_b32 v15, v4
; %bb.103:
	s_or_b64 exec, exec, s[28:29]
	s_waitcnt lgkmcnt(0)
	v_and_b32_e32 v4, v15, v50
	v_and_b32_e32 v5, v14, v50
	v_cmp_le_u32_e64 s[24:25], v4, v5
	s_and_b64 s[20:21], s[20:21], s[24:25]
	s_or_b64 s[20:21], s[22:23], s[20:21]
	v_cndmask_b32_e64 v4, v55, v54, s[20:21]
	v_cndmask_b32_e64 v5, v51, v37, s[20:21]
	v_add_u32_e32 v8, 1, v4
	v_add_u32_e32 v5, -1, v5
	v_min_u32_e32 v5, v8, v5
	v_lshl_add_u32 v5, v5, 2, v11
	ds_read_b32 v5, v5
	v_lshl_add_u32 v4, v4, 3, v10
	s_waitcnt lgkmcnt(0)
	v_cndmask_b32_e64 v16, v5, v15, s[20:21]
	v_cndmask_b32_e64 v17, v14, v5, s[20:21]
	;; [unrolled: 1-line block ×4, first 2 shown]
	v_and_b32_e32 v9, v16, v50
	v_and_b32_e32 v18, v17, v50
	v_cmp_lt_u32_e64 s[24:25], v8, v37
	v_cmp_le_u32_e64 s[28:29], v9, v18
	v_cmp_ge_u32_e64 s[22:23], v5, v51
	s_and_b64 s[24:25], s[24:25], s[28:29]
	s_or_b64 s[22:23], s[22:23], s[24:25]
	v_cndmask_b32_e64 v9, v5, v8, s[22:23]
	v_cndmask_b32_e64 v18, v51, v37, s[22:23]
	v_add_u32_e32 v19, 1, v9
	v_add_u32_e32 v18, -1, v18
	v_min_u32_e32 v18, v19, v18
	v_lshl_add_u32 v18, v18, 2, v11
	ds_read_b32 v18, v18
	v_cndmask_b32_e64 v5, v19, v5, s[22:23]
	v_cndmask_b32_e64 v8, v8, v19, s[22:23]
	v_cmp_lt_u32_e64 s[28:29], v8, v37
	v_cmp_ge_u32_e64 s[24:25], v5, v51
	s_waitcnt lgkmcnt(0)
	v_cndmask_b32_e64 v24, v18, v16, s[22:23]
	v_cndmask_b32_e64 v25, v17, v18, s[22:23]
	v_and_b32_e32 v18, v24, v50
	v_and_b32_e32 v19, v25, v50
	v_cmp_le_u32_e64 s[40:41], v18, v19
	s_and_b64 s[28:29], s[28:29], s[40:41]
	s_or_b64 s[24:25], s[24:25], s[28:29]
	v_cndmask_b32_e64 v18, v5, v8, s[24:25]
	v_cndmask_b32_e64 v19, v51, v37, s[24:25]
	v_add_u32_e32 v20, 1, v18
	v_add_u32_e32 v19, -1, v19
	v_min_u32_e32 v19, v20, v19
	v_lshl_add_u32 v19, v19, 2, v11
	ds_read_b32 v19, v19
	v_lshl_add_u32 v18, v18, 3, v10
	v_cndmask_b32_e64 v14, v15, v14, s[20:21]
	v_cndmask_b32_e64 v15, v16, v17, s[22:23]
	s_waitcnt lgkmcnt(0)
	v_cndmask_b32_e64 v29, v19, v24, s[24:25]
	v_cndmask_b32_e64 v34, v25, v19, s[24:25]
	;; [unrolled: 1-line block ×4, first 2 shown]
	v_and_b32_e32 v5, v29, v50
	v_and_b32_e32 v8, v34, v50
	v_cmp_lt_u32_e64 s[40:41], v20, v37
	v_cmp_le_u32_e64 s[42:43], v5, v8
	v_cmp_ge_u32_e64 s[28:29], v19, v51
	s_and_b64 s[40:41], s[40:41], s[42:43]
	s_or_b64 s[28:29], s[28:29], s[40:41]
	v_cndmask_b32_e64 v21, v19, v20, s[28:29]
	v_cndmask_b32_e64 v5, v51, v37, s[28:29]
	v_add_u32_e32 v22, 1, v21
	v_add_u32_e32 v5, -1, v5
	v_min_u32_e32 v5, v22, v5
	v_lshl_add_u32 v5, v5, 2, v11
	ds_read_b32 v23, v5
	v_lshl_add_u32 v8, v9, 3, v10
	ds_read_b64 v[4:5], v4 offset:8192
	ds_read_b64 v[8:9], v8 offset:8192
	s_waitcnt lgkmcnt(2)
	v_cndmask_b32_e64 v52, v23, v29, s[28:29]
	v_cndmask_b32_e64 v53, v34, v23, s[28:29]
	;; [unrolled: 1-line block ×4, first 2 shown]
	v_and_b32_e32 v19, v52, v50
	v_and_b32_e32 v20, v53, v50
	v_cmp_lt_u32_e64 s[42:43], v22, v37
	v_cmp_le_u32_e64 s[44:45], v19, v20
	v_cmp_ge_u32_e64 s[40:41], v23, v51
	s_and_b64 s[42:43], s[42:43], s[44:45]
	s_or_b64 s[40:41], s[40:41], s[42:43]
	v_cndmask_b32_e64 v26, v23, v22, s[40:41]
	v_cndmask_b32_e64 v19, v51, v37, s[40:41]
	v_add_u32_e32 v27, 1, v26
	v_add_u32_e32 v19, -1, v19
	v_min_u32_e32 v19, v27, v19
	v_lshl_add_u32 v19, v19, 2, v11
	ds_read_b32 v28, v19
	v_cndmask_b32_e64 v23, v27, v23, s[40:41]
	v_cndmask_b32_e64 v22, v22, v27, s[40:41]
	v_cmp_lt_u32_e64 s[44:45], v22, v37
	v_cmp_ge_u32_e64 s[42:43], v23, v51
	s_waitcnt lgkmcnt(0)
	v_cndmask_b32_e64 v54, v28, v52, s[40:41]
	v_cndmask_b32_e64 v55, v53, v28, s[40:41]
	v_and_b32_e32 v27, v54, v50
	v_and_b32_e32 v28, v55, v50
	v_cmp_le_u32_e64 s[46:47], v27, v28
	s_and_b64 s[44:45], s[44:45], s[46:47]
	s_or_b64 s[42:43], s[42:43], s[44:45]
	v_cndmask_b32_e64 v28, v23, v22, s[42:43]
	v_cndmask_b32_e64 v27, v51, v37, s[42:43]
	v_add_u32_e32 v35, 1, v28
	v_add_u32_e32 v27, -1, v27
	v_min_u32_e32 v27, v35, v27
	v_lshl_add_u32 v27, v27, 2, v11
	ds_read_b32 v64, v27
	v_cndmask_b32_e64 v66, v35, v23, s[42:43]
	v_cndmask_b32_e64 v35, v22, v35, s[42:43]
	v_cmp_lt_u32_e64 s[46:47], v35, v37
	v_cmp_ge_u32_e64 s[44:45], v66, v51
	s_waitcnt lgkmcnt(0)
	v_cndmask_b32_e64 v65, v64, v54, s[42:43]
	v_cndmask_b32_e64 v64, v55, v64, s[42:43]
	v_and_b32_e32 v22, v65, v50
	v_and_b32_e32 v23, v64, v50
	v_cmp_le_u32_e64 s[56:57], v22, v23
	s_and_b64 s[46:47], s[46:47], s[56:57]
	s_or_b64 s[44:45], s[44:45], s[46:47]
	v_lshl_add_u32 v26, v26, 3, v10
	v_lshl_add_u32 v28, v28, 3, v10
	v_cndmask_b32_e64 v22, v66, v35, s[44:45]
	v_cndmask_b32_e64 v23, v51, v37, s[44:45]
	ds_read_b64 v[26:27], v26 offset:8192
	ds_read_b64 v[32:33], v28 offset:8192
	v_lshl_add_u32 v28, v22, 3, v10
	v_add_u32_e32 v67, 1, v22
	v_add_u32_e32 v22, -1, v23
	v_min_u32_e32 v22, v67, v22
	v_lshl_add_u32 v20, v21, 3, v10
	v_lshl_add_u32 v68, v22, 2, v11
	ds_read_b64 v[18:19], v18 offset:8192
	ds_read_b64 v[20:21], v20 offset:8192
	;; [unrolled: 1-line block ×3, first 2 shown]
	ds_read_b32 v68, v68
	v_cndmask_b32_e64 v28, v24, v25, s[24:25]
	v_cndmask_b32_e64 v29, v29, v34, s[28:29]
	;; [unrolled: 1-line block ×4, first 2 shown]
	s_waitcnt lgkmcnt(0)
	v_cndmask_b32_e64 v17, v68, v65, s[44:45]
	v_cndmask_b32_e64 v68, v64, v68, s[44:45]
	v_and_b32_e32 v25, v17, v50
	v_and_b32_e32 v34, v68, v50
	v_cmp_lt_u32_e64 s[22:23], v24, v37
	v_cmp_le_u32_e64 s[24:25], v25, v34
	v_cmp_ge_u32_e64 s[20:21], v16, v51
	s_and_b64 s[22:23], s[22:23], s[24:25]
	s_or_b64 s[20:21], s[20:21], s[22:23]
	v_cndmask_b32_e64 v16, v16, v24, s[20:21]
	v_lshl_add_u32 v16, v16, 3, v10
	ds_read_b64 v[34:35], v16 offset:8192
	v_cndmask_b32_e64 v24, v52, v53, s[40:41]
	v_cndmask_b32_e64 v25, v54, v55, s[42:43]
	;; [unrolled: 1-line block ×4, first 2 shown]
.LBB511_104:
	s_or_b64 exec, exec, s[60:61]
	v_add_u32_e32 v37, 0x2000, v36
	; wave barrier
	ds_write2_b64 v37, v[4:5], v[8:9] offset1:1
	v_add_u32_e32 v37, 0x2010, v36
	ds_write2_b64 v31, v[14:15], v[28:29] offset1:1
	ds_write2_b64 v37, v[18:19], v[20:21] offset1:1
	v_add_u32_e32 v37, 0x2020, v36
	ds_write2_b64 v37, v[26:27], v[32:33] offset1:1
	v_add_u32_e32 v37, 0x2030, v36
	v_and_b32_e32 v54, 0x3c0, v48
	ds_write2_b64 v31, v[24:25], v[16:17] offset0:2 offset1:3
	s_waitcnt lgkmcnt(5)
	ds_write2_b64 v37, v[22:23], v[34:35] offset1:1
	v_or_b32_e32 v37, 32, v54
	v_min_u32_e32 v37, v30, v37
	v_add_u32_e32 v51, 32, v37
	v_min_u32_e32 v51, v30, v51
	v_and_b32_e32 v52, 56, v48
	v_min_u32_e32 v55, v30, v52
	v_sub_u32_e32 v64, v37, v54
	v_sub_u32_e32 v53, v51, v37
	v_sub_u32_e64 v53, v55, v53 clamp
	v_min_u32_e32 v64, v55, v64
	v_lshl_add_u32 v52, v54, 2, v11
	v_cmp_lt_u32_e64 s[20:21], v53, v64
	; wave barrier
	s_and_saveexec_b64 s[22:23], s[20:21]
	s_cbranch_execz .LBB511_108
; %bb.105:
	v_lshlrev_b32_e32 v65, 2, v37
	v_lshlrev_b32_e32 v66, 2, v55
	v_add3_u32 v65, v11, v65, v66
	s_mov_b64 s[24:25], 0
.LBB511_106:                            ; =>This Inner Loop Header: Depth=1
	v_add_u32_e32 v66, v64, v53
	v_lshrrev_b32_e32 v66, 1, v66
	v_not_b32_e32 v67, v66
	v_lshl_add_u32 v68, v66, 2, v52
	v_lshl_add_u32 v67, v67, 2, v65
	ds_read_b32 v68, v68
	ds_read_b32 v67, v67
	v_add_u32_e32 v69, 1, v66
	s_waitcnt lgkmcnt(1)
	v_and_b32_e32 v68, v68, v50
	s_waitcnt lgkmcnt(0)
	v_and_b32_e32 v67, v67, v50
	v_cmp_gt_u32_e64 s[20:21], v67, v68
	v_cndmask_b32_e64 v64, v64, v66, s[20:21]
	v_cndmask_b32_e64 v53, v69, v53, s[20:21]
	v_cmp_ge_u32_e64 s[20:21], v53, v64
	s_or_b64 s[24:25], s[20:21], s[24:25]
	s_andn2_b64 exec, exec, s[24:25]
	s_cbranch_execnz .LBB511_106
; %bb.107:
	s_or_b64 exec, exec, s[24:25]
.LBB511_108:
	s_or_b64 exec, exec, s[22:23]
	v_add_u32_e32 v55, v37, v55
	v_add_u32_e32 v54, v53, v54
	v_sub_u32_e32 v55, v55, v53
	v_cmp_le_u32_e64 s[20:21], v54, v37
	v_cmp_le_u32_e64 s[22:23], v55, v51
	s_or_b64 s[20:21], s[20:21], s[22:23]
	s_and_saveexec_b64 s[60:61], s[20:21]
	s_cbranch_execz .LBB511_114
; %bb.109:
	v_cmp_lt_u32_e64 s[20:21], v54, v37
                                        ; implicit-def: $vgpr14
	s_and_saveexec_b64 s[22:23], s[20:21]
; %bb.110:
	v_lshl_add_u32 v4, v53, 2, v52
	ds_read_b32 v14, v4
; %bb.111:
	s_or_b64 exec, exec, s[22:23]
	v_cmp_ge_u32_e64 s[22:23], v55, v51
	v_cmp_lt_u32_e64 s[24:25], v55, v51
                                        ; implicit-def: $vgpr15
	s_and_saveexec_b64 s[28:29], s[24:25]
; %bb.112:
	v_lshl_add_u32 v4, v55, 2, v11
	ds_read_b32 v15, v4
; %bb.113:
	s_or_b64 exec, exec, s[28:29]
	s_waitcnt lgkmcnt(0)
	v_and_b32_e32 v4, v15, v50
	v_and_b32_e32 v5, v14, v50
	v_cmp_le_u32_e64 s[24:25], v4, v5
	s_and_b64 s[20:21], s[20:21], s[24:25]
	s_or_b64 s[20:21], s[22:23], s[20:21]
	v_cndmask_b32_e64 v4, v55, v54, s[20:21]
	v_cndmask_b32_e64 v5, v51, v37, s[20:21]
	v_add_u32_e32 v8, 1, v4
	v_add_u32_e32 v5, -1, v5
	v_min_u32_e32 v5, v8, v5
	v_lshl_add_u32 v5, v5, 2, v11
	ds_read_b32 v5, v5
	v_lshl_add_u32 v4, v4, 3, v10
	s_waitcnt lgkmcnt(0)
	v_cndmask_b32_e64 v16, v5, v15, s[20:21]
	v_cndmask_b32_e64 v17, v14, v5, s[20:21]
	;; [unrolled: 1-line block ×4, first 2 shown]
	v_and_b32_e32 v9, v16, v50
	v_and_b32_e32 v18, v17, v50
	v_cmp_lt_u32_e64 s[24:25], v8, v37
	v_cmp_le_u32_e64 s[28:29], v9, v18
	v_cmp_ge_u32_e64 s[22:23], v5, v51
	s_and_b64 s[24:25], s[24:25], s[28:29]
	s_or_b64 s[22:23], s[22:23], s[24:25]
	v_cndmask_b32_e64 v9, v5, v8, s[22:23]
	v_cndmask_b32_e64 v18, v51, v37, s[22:23]
	v_add_u32_e32 v19, 1, v9
	v_add_u32_e32 v18, -1, v18
	v_min_u32_e32 v18, v19, v18
	v_lshl_add_u32 v18, v18, 2, v11
	ds_read_b32 v18, v18
	v_cndmask_b32_e64 v5, v19, v5, s[22:23]
	v_cndmask_b32_e64 v8, v8, v19, s[22:23]
	v_cmp_lt_u32_e64 s[28:29], v8, v37
	v_cmp_ge_u32_e64 s[24:25], v5, v51
	s_waitcnt lgkmcnt(0)
	v_cndmask_b32_e64 v24, v18, v16, s[22:23]
	v_cndmask_b32_e64 v25, v17, v18, s[22:23]
	v_and_b32_e32 v18, v24, v50
	v_and_b32_e32 v19, v25, v50
	v_cmp_le_u32_e64 s[40:41], v18, v19
	s_and_b64 s[28:29], s[28:29], s[40:41]
	s_or_b64 s[24:25], s[24:25], s[28:29]
	v_cndmask_b32_e64 v18, v5, v8, s[24:25]
	v_cndmask_b32_e64 v19, v51, v37, s[24:25]
	v_add_u32_e32 v20, 1, v18
	v_add_u32_e32 v19, -1, v19
	v_min_u32_e32 v19, v20, v19
	v_lshl_add_u32 v19, v19, 2, v11
	ds_read_b32 v19, v19
	v_lshl_add_u32 v18, v18, 3, v10
	v_cndmask_b32_e64 v14, v15, v14, s[20:21]
	v_cndmask_b32_e64 v15, v16, v17, s[22:23]
	s_waitcnt lgkmcnt(0)
	v_cndmask_b32_e64 v29, v19, v24, s[24:25]
	v_cndmask_b32_e64 v34, v25, v19, s[24:25]
	;; [unrolled: 1-line block ×4, first 2 shown]
	v_and_b32_e32 v5, v29, v50
	v_and_b32_e32 v8, v34, v50
	v_cmp_lt_u32_e64 s[40:41], v20, v37
	v_cmp_le_u32_e64 s[42:43], v5, v8
	v_cmp_ge_u32_e64 s[28:29], v19, v51
	s_and_b64 s[40:41], s[40:41], s[42:43]
	s_or_b64 s[28:29], s[28:29], s[40:41]
	v_cndmask_b32_e64 v21, v19, v20, s[28:29]
	v_cndmask_b32_e64 v5, v51, v37, s[28:29]
	v_add_u32_e32 v22, 1, v21
	v_add_u32_e32 v5, -1, v5
	v_min_u32_e32 v5, v22, v5
	v_lshl_add_u32 v5, v5, 2, v11
	ds_read_b32 v23, v5
	v_lshl_add_u32 v8, v9, 3, v10
	ds_read_b64 v[4:5], v4 offset:8192
	ds_read_b64 v[8:9], v8 offset:8192
	s_waitcnt lgkmcnt(2)
	v_cndmask_b32_e64 v52, v23, v29, s[28:29]
	v_cndmask_b32_e64 v53, v34, v23, s[28:29]
	;; [unrolled: 1-line block ×4, first 2 shown]
	v_and_b32_e32 v19, v52, v50
	v_and_b32_e32 v20, v53, v50
	v_cmp_lt_u32_e64 s[42:43], v22, v37
	v_cmp_le_u32_e64 s[44:45], v19, v20
	v_cmp_ge_u32_e64 s[40:41], v23, v51
	s_and_b64 s[42:43], s[42:43], s[44:45]
	s_or_b64 s[40:41], s[40:41], s[42:43]
	v_cndmask_b32_e64 v26, v23, v22, s[40:41]
	v_cndmask_b32_e64 v19, v51, v37, s[40:41]
	v_add_u32_e32 v27, 1, v26
	v_add_u32_e32 v19, -1, v19
	v_min_u32_e32 v19, v27, v19
	v_lshl_add_u32 v19, v19, 2, v11
	ds_read_b32 v28, v19
	v_cndmask_b32_e64 v23, v27, v23, s[40:41]
	v_cndmask_b32_e64 v22, v22, v27, s[40:41]
	v_cmp_lt_u32_e64 s[44:45], v22, v37
	v_cmp_ge_u32_e64 s[42:43], v23, v51
	s_waitcnt lgkmcnt(0)
	v_cndmask_b32_e64 v54, v28, v52, s[40:41]
	v_cndmask_b32_e64 v55, v53, v28, s[40:41]
	v_and_b32_e32 v27, v54, v50
	v_and_b32_e32 v28, v55, v50
	v_cmp_le_u32_e64 s[46:47], v27, v28
	s_and_b64 s[44:45], s[44:45], s[46:47]
	s_or_b64 s[42:43], s[42:43], s[44:45]
	v_cndmask_b32_e64 v28, v23, v22, s[42:43]
	v_cndmask_b32_e64 v27, v51, v37, s[42:43]
	v_add_u32_e32 v35, 1, v28
	v_add_u32_e32 v27, -1, v27
	v_min_u32_e32 v27, v35, v27
	v_lshl_add_u32 v27, v27, 2, v11
	ds_read_b32 v64, v27
	v_cndmask_b32_e64 v66, v35, v23, s[42:43]
	v_cndmask_b32_e64 v35, v22, v35, s[42:43]
	v_cmp_lt_u32_e64 s[46:47], v35, v37
	v_cmp_ge_u32_e64 s[44:45], v66, v51
	s_waitcnt lgkmcnt(0)
	v_cndmask_b32_e64 v65, v64, v54, s[42:43]
	v_cndmask_b32_e64 v64, v55, v64, s[42:43]
	v_and_b32_e32 v22, v65, v50
	v_and_b32_e32 v23, v64, v50
	v_cmp_le_u32_e64 s[56:57], v22, v23
	s_and_b64 s[46:47], s[46:47], s[56:57]
	s_or_b64 s[44:45], s[44:45], s[46:47]
	v_lshl_add_u32 v26, v26, 3, v10
	v_lshl_add_u32 v28, v28, 3, v10
	v_cndmask_b32_e64 v22, v66, v35, s[44:45]
	v_cndmask_b32_e64 v23, v51, v37, s[44:45]
	ds_read_b64 v[26:27], v26 offset:8192
	ds_read_b64 v[32:33], v28 offset:8192
	v_lshl_add_u32 v28, v22, 3, v10
	v_add_u32_e32 v67, 1, v22
	v_add_u32_e32 v22, -1, v23
	v_min_u32_e32 v22, v67, v22
	v_lshl_add_u32 v20, v21, 3, v10
	v_lshl_add_u32 v68, v22, 2, v11
	ds_read_b64 v[18:19], v18 offset:8192
	ds_read_b64 v[20:21], v20 offset:8192
	;; [unrolled: 1-line block ×3, first 2 shown]
	ds_read_b32 v68, v68
	v_cndmask_b32_e64 v28, v24, v25, s[24:25]
	v_cndmask_b32_e64 v29, v29, v34, s[28:29]
	v_cndmask_b32_e64 v24, v35, v67, s[44:45]
	v_cndmask_b32_e64 v16, v67, v66, s[44:45]
	s_waitcnt lgkmcnt(0)
	v_cndmask_b32_e64 v17, v68, v65, s[44:45]
	v_cndmask_b32_e64 v68, v64, v68, s[44:45]
	v_and_b32_e32 v25, v17, v50
	v_and_b32_e32 v34, v68, v50
	v_cmp_lt_u32_e64 s[22:23], v24, v37
	v_cmp_le_u32_e64 s[24:25], v25, v34
	v_cmp_ge_u32_e64 s[20:21], v16, v51
	s_and_b64 s[22:23], s[22:23], s[24:25]
	s_or_b64 s[20:21], s[20:21], s[22:23]
	v_cndmask_b32_e64 v16, v16, v24, s[20:21]
	v_lshl_add_u32 v16, v16, 3, v10
	ds_read_b64 v[34:35], v16 offset:8192
	v_cndmask_b32_e64 v24, v52, v53, s[40:41]
	v_cndmask_b32_e64 v25, v54, v55, s[42:43]
	;; [unrolled: 1-line block ×4, first 2 shown]
.LBB511_114:
	s_or_b64 exec, exec, s[60:61]
	v_add_u32_e32 v37, 0x2000, v36
	; wave barrier
	ds_write2_b64 v37, v[4:5], v[8:9] offset1:1
	v_add_u32_e32 v37, 0x2010, v36
	ds_write2_b64 v31, v[14:15], v[28:29] offset1:1
	ds_write2_b64 v37, v[18:19], v[20:21] offset1:1
	v_add_u32_e32 v37, 0x2020, v36
	v_and_b32_e32 v48, 0x380, v48
	ds_write2_b64 v37, v[26:27], v[32:33] offset1:1
	v_add_u32_e32 v36, 0x2030, v36
	ds_write2_b64 v31, v[24:25], v[16:17] offset0:2 offset1:3
	s_waitcnt lgkmcnt(5)
	ds_write2_b64 v36, v[22:23], v[34:35] offset1:1
	v_or_b32_e32 v31, 64, v48
	v_min_u32_e32 v31, v30, v31
	v_add_u32_e32 v36, 64, v31
	v_min_u32_e32 v36, v30, v36
	v_min_u32_e32 v49, v30, v49
	v_sub_u32_e32 v51, v31, v48
	v_sub_u32_e32 v37, v36, v31
	v_sub_u32_e64 v37, v49, v37 clamp
	v_min_u32_e32 v51, v49, v51
	v_lshl_add_u32 v30, v48, 2, v11
	v_cmp_lt_u32_e64 s[20:21], v37, v51
	; wave barrier
	s_and_saveexec_b64 s[22:23], s[20:21]
	s_cbranch_execz .LBB511_118
; %bb.115:
	v_lshlrev_b32_e32 v52, 2, v31
	v_lshlrev_b32_e32 v53, 2, v49
	v_add3_u32 v52, v11, v52, v53
	s_mov_b64 s[24:25], 0
.LBB511_116:                            ; =>This Inner Loop Header: Depth=1
	v_add_u32_e32 v53, v51, v37
	v_lshrrev_b32_e32 v53, 1, v53
	v_not_b32_e32 v54, v53
	v_lshl_add_u32 v55, v53, 2, v30
	v_lshl_add_u32 v54, v54, 2, v52
	ds_read_b32 v55, v55
	ds_read_b32 v54, v54
	v_add_u32_e32 v64, 1, v53
	s_waitcnt lgkmcnt(1)
	v_and_b32_e32 v55, v55, v50
	s_waitcnt lgkmcnt(0)
	v_and_b32_e32 v54, v54, v50
	v_cmp_gt_u32_e64 s[20:21], v54, v55
	v_cndmask_b32_e64 v51, v51, v53, s[20:21]
	v_cndmask_b32_e64 v37, v64, v37, s[20:21]
	v_cmp_ge_u32_e64 s[20:21], v37, v51
	s_or_b64 s[24:25], s[20:21], s[24:25]
	s_andn2_b64 exec, exec, s[24:25]
	s_cbranch_execnz .LBB511_116
; %bb.117:
	s_or_b64 exec, exec, s[24:25]
.LBB511_118:
	s_or_b64 exec, exec, s[22:23]
	v_add_u32_e32 v49, v31, v49
	v_add_u32_e32 v48, v37, v48
	v_sub_u32_e32 v49, v49, v37
	v_cmp_le_u32_e64 s[20:21], v48, v31
	v_cmp_le_u32_e64 s[22:23], v49, v36
	s_or_b64 s[20:21], s[20:21], s[22:23]
	s_and_saveexec_b64 s[60:61], s[20:21]
	s_cbranch_execz .LBB511_124
; %bb.119:
	v_cmp_lt_u32_e64 s[20:21], v48, v31
                                        ; implicit-def: $vgpr14
	s_and_saveexec_b64 s[22:23], s[20:21]
; %bb.120:
	v_lshl_add_u32 v4, v37, 2, v30
	ds_read_b32 v14, v4
; %bb.121:
	s_or_b64 exec, exec, s[22:23]
	v_cmp_ge_u32_e64 s[22:23], v49, v36
	v_cmp_lt_u32_e64 s[24:25], v49, v36
                                        ; implicit-def: $vgpr15
	s_and_saveexec_b64 s[28:29], s[24:25]
; %bb.122:
	v_lshl_add_u32 v4, v49, 2, v11
	ds_read_b32 v15, v4
; %bb.123:
	s_or_b64 exec, exec, s[28:29]
	s_waitcnt lgkmcnt(0)
	v_and_b32_e32 v4, v15, v50
	v_and_b32_e32 v5, v14, v50
	v_cmp_le_u32_e64 s[24:25], v4, v5
	s_and_b64 s[20:21], s[20:21], s[24:25]
	s_or_b64 s[20:21], s[22:23], s[20:21]
	v_cndmask_b32_e64 v4, v49, v48, s[20:21]
	v_cndmask_b32_e64 v5, v36, v31, s[20:21]
	v_add_u32_e32 v8, 1, v4
	v_add_u32_e32 v5, -1, v5
	v_min_u32_e32 v5, v8, v5
	v_lshl_add_u32 v5, v5, 2, v11
	ds_read_b32 v5, v5
	v_lshl_add_u32 v4, v4, 3, v10
	s_waitcnt lgkmcnt(0)
	v_cndmask_b32_e64 v16, v5, v15, s[20:21]
	v_cndmask_b32_e64 v17, v14, v5, s[20:21]
	;; [unrolled: 1-line block ×4, first 2 shown]
	v_and_b32_e32 v9, v16, v50
	v_and_b32_e32 v18, v17, v50
	v_cmp_lt_u32_e64 s[24:25], v8, v31
	v_cmp_le_u32_e64 s[28:29], v9, v18
	v_cmp_ge_u32_e64 s[22:23], v5, v36
	s_and_b64 s[24:25], s[24:25], s[28:29]
	s_or_b64 s[22:23], s[22:23], s[24:25]
	v_cndmask_b32_e64 v9, v5, v8, s[22:23]
	v_cndmask_b32_e64 v18, v36, v31, s[22:23]
	v_add_u32_e32 v19, 1, v9
	v_add_u32_e32 v18, -1, v18
	v_min_u32_e32 v18, v19, v18
	v_lshl_add_u32 v18, v18, 2, v11
	ds_read_b32 v18, v18
	v_cndmask_b32_e64 v5, v19, v5, s[22:23]
	v_cndmask_b32_e64 v8, v8, v19, s[22:23]
	v_cmp_lt_u32_e64 s[28:29], v8, v31
	v_cmp_ge_u32_e64 s[24:25], v5, v36
	s_waitcnt lgkmcnt(0)
	v_cndmask_b32_e64 v24, v18, v16, s[22:23]
	v_cndmask_b32_e64 v25, v17, v18, s[22:23]
	v_and_b32_e32 v18, v24, v50
	v_and_b32_e32 v19, v25, v50
	v_cmp_le_u32_e64 s[40:41], v18, v19
	s_and_b64 s[28:29], s[28:29], s[40:41]
	s_or_b64 s[24:25], s[24:25], s[28:29]
	v_cndmask_b32_e64 v18, v5, v8, s[24:25]
	v_cndmask_b32_e64 v19, v36, v31, s[24:25]
	v_add_u32_e32 v20, 1, v18
	v_add_u32_e32 v19, -1, v19
	v_min_u32_e32 v19, v20, v19
	v_lshl_add_u32 v19, v19, 2, v11
	ds_read_b32 v19, v19
	v_lshl_add_u32 v18, v18, 3, v10
	v_cndmask_b32_e64 v14, v15, v14, s[20:21]
	v_cndmask_b32_e64 v15, v16, v17, s[22:23]
	s_waitcnt lgkmcnt(0)
	v_cndmask_b32_e64 v29, v19, v24, s[24:25]
	v_cndmask_b32_e64 v30, v25, v19, s[24:25]
	;; [unrolled: 1-line block ×4, first 2 shown]
	v_and_b32_e32 v5, v29, v50
	v_and_b32_e32 v8, v30, v50
	v_cmp_lt_u32_e64 s[40:41], v20, v31
	v_cmp_le_u32_e64 s[42:43], v5, v8
	v_cmp_ge_u32_e64 s[28:29], v19, v36
	s_and_b64 s[40:41], s[40:41], s[42:43]
	s_or_b64 s[28:29], s[28:29], s[40:41]
	v_cndmask_b32_e64 v21, v19, v20, s[28:29]
	v_cndmask_b32_e64 v5, v36, v31, s[28:29]
	v_add_u32_e32 v22, 1, v21
	v_add_u32_e32 v5, -1, v5
	v_min_u32_e32 v5, v22, v5
	v_lshl_add_u32 v5, v5, 2, v11
	ds_read_b32 v23, v5
	v_lshl_add_u32 v8, v9, 3, v10
	ds_read_b64 v[4:5], v4 offset:8192
	ds_read_b64 v[8:9], v8 offset:8192
	s_waitcnt lgkmcnt(2)
	v_cndmask_b32_e64 v37, v23, v29, s[28:29]
	v_cndmask_b32_e64 v48, v30, v23, s[28:29]
	;; [unrolled: 1-line block ×4, first 2 shown]
	v_and_b32_e32 v19, v37, v50
	v_and_b32_e32 v20, v48, v50
	v_cmp_lt_u32_e64 s[42:43], v22, v31
	v_cmp_le_u32_e64 s[44:45], v19, v20
	v_cmp_ge_u32_e64 s[40:41], v23, v36
	s_and_b64 s[42:43], s[42:43], s[44:45]
	s_or_b64 s[40:41], s[40:41], s[42:43]
	v_cndmask_b32_e64 v26, v23, v22, s[40:41]
	v_cndmask_b32_e64 v19, v36, v31, s[40:41]
	v_add_u32_e32 v27, 1, v26
	v_add_u32_e32 v19, -1, v19
	v_min_u32_e32 v19, v27, v19
	v_lshl_add_u32 v19, v19, 2, v11
	ds_read_b32 v28, v19
	v_cndmask_b32_e64 v23, v27, v23, s[40:41]
	v_cndmask_b32_e64 v22, v22, v27, s[40:41]
	v_cmp_lt_u32_e64 s[44:45], v22, v31
	v_cmp_ge_u32_e64 s[42:43], v23, v36
	s_waitcnt lgkmcnt(0)
	v_cndmask_b32_e64 v49, v28, v37, s[40:41]
	v_cndmask_b32_e64 v51, v48, v28, s[40:41]
	v_and_b32_e32 v27, v49, v50
	v_and_b32_e32 v28, v51, v50
	v_cmp_le_u32_e64 s[46:47], v27, v28
	s_and_b64 s[44:45], s[44:45], s[46:47]
	s_or_b64 s[42:43], s[42:43], s[44:45]
	v_cndmask_b32_e64 v28, v23, v22, s[42:43]
	v_cndmask_b32_e64 v27, v36, v31, s[42:43]
	v_add_u32_e32 v34, 1, v28
	v_add_u32_e32 v27, -1, v27
	v_min_u32_e32 v27, v34, v27
	v_lshl_add_u32 v27, v27, 2, v11
	ds_read_b32 v35, v27
	v_lshl_add_u32 v26, v26, 3, v10
	v_lshl_add_u32 v28, v28, 3, v10
	ds_read_b64 v[26:27], v26 offset:8192
	ds_read_b64 v[32:33], v28 offset:8192
	s_waitcnt lgkmcnt(2)
	v_cndmask_b32_e64 v52, v35, v49, s[42:43]
	v_cndmask_b32_e64 v53, v51, v35, s[42:43]
	v_cndmask_b32_e64 v35, v34, v23, s[42:43]
	v_cndmask_b32_e64 v34, v22, v34, s[42:43]
	v_and_b32_e32 v22, v52, v50
	v_and_b32_e32 v23, v53, v50
	v_cmp_lt_u32_e64 s[46:47], v34, v31
	v_cmp_le_u32_e64 s[56:57], v22, v23
	v_cmp_ge_u32_e64 s[44:45], v35, v36
	s_and_b64 s[46:47], s[46:47], s[56:57]
	s_or_b64 s[44:45], s[44:45], s[46:47]
	v_cndmask_b32_e64 v22, v35, v34, s[44:45]
	v_cndmask_b32_e64 v23, v36, v31, s[44:45]
	v_lshl_add_u32 v28, v22, 3, v10
	v_add_u32_e32 v54, 1, v22
	v_add_u32_e32 v22, -1, v23
	v_min_u32_e32 v22, v54, v22
	v_lshl_add_u32 v20, v21, 3, v10
	v_lshl_add_u32 v11, v22, 2, v11
	ds_read_b64 v[18:19], v18 offset:8192
	ds_read_b64 v[20:21], v20 offset:8192
	;; [unrolled: 1-line block ×3, first 2 shown]
	ds_read_b32 v11, v11
	v_cndmask_b32_e64 v28, v24, v25, s[24:25]
	v_cndmask_b32_e64 v29, v29, v30, s[28:29]
	;; [unrolled: 1-line block ×4, first 2 shown]
	s_waitcnt lgkmcnt(0)
	v_cndmask_b32_e64 v17, v11, v52, s[44:45]
	v_cndmask_b32_e64 v11, v53, v11, s[44:45]
	v_and_b32_e32 v25, v17, v50
	v_and_b32_e32 v30, v11, v50
	v_cmp_lt_u32_e64 s[22:23], v24, v31
	v_cmp_le_u32_e64 s[24:25], v25, v30
	v_cmp_ge_u32_e64 s[20:21], v16, v36
	s_and_b64 s[22:23], s[22:23], s[24:25]
	s_or_b64 s[20:21], s[20:21], s[22:23]
	v_cndmask_b32_e64 v16, v16, v24, s[20:21]
	v_lshl_add_u32 v10, v16, 3, v10
	ds_read_b64 v[34:35], v10 offset:8192
	v_cndmask_b32_e64 v24, v37, v48, s[40:41]
	v_cndmask_b32_e64 v25, v49, v51, s[42:43]
	;; [unrolled: 1-line block ×4, first 2 shown]
.LBB511_124:
	s_or_b64 exec, exec, s[60:61]
	; wave barrier
	s_waitcnt lgkmcnt(0)
	s_barrier
                                        ; implicit-def: $vgpr48
                                        ; implicit-def: $vgpr49
                                        ; implicit-def: $vgpr31
                                        ; implicit-def: $vgpr30
                                        ; implicit-def: $vgpr36
.LBB511_125:
	s_andn2_saveexec_b64 s[46:47], s[58:59]
	s_cbranch_execz .LBB511_225
; %bb.126:
	s_load_dwordx2 s[20:21], s[8:9], 0x0
	v_mov_b32_e32 v10, 0
	s_waitcnt lgkmcnt(0)
	s_cmp_lt_u32 s13, s21
	s_cselect_b32 s13, 14, 20
	s_add_u32 s22, s8, s13
	s_addc_u32 s23, s9, 0
	s_cmp_lt_u32 s12, s20
	s_cselect_b32 s12, 12, 18
	s_add_u32 s8, s8, s12
	s_addc_u32 s9, s9, 0
	global_load_ushort v11, v10, s[22:23]
	global_load_ushort v37, v10, s[8:9]
	s_movk_i32 s8, 0x800
	s_waitcnt vmcnt(0)
	v_mad_u32_u24 v10, v36, v11, v30
	v_mul_lo_u32 v10, v10, v37
	v_and_b32_e32 v11, 0x3ff, v31
	v_add_lshl_u32 v50, v10, v11, 3
	v_cmp_gt_u32_e64 s[8:9], s8, v50
	s_and_saveexec_b64 s[12:13], s[8:9]
	s_cbranch_execz .LBB511_184
; %bb.127:
	v_mov_b32_e32 v31, v9
	v_cmp_gt_i32_e64 s[8:9], v15, v14
	v_mov_b32_e32 v51, v15
	v_mov_b32_e32 v30, v8
	s_and_saveexec_b64 s[20:21], s[8:9]
; %bb.128:
	v_mov_b32_e32 v31, v5
	v_mov_b32_e32 v30, v4
	v_mov_b32_e32 v4, v8
	v_mov_b32_e32 v51, v14
	v_mov_b32_e32 v14, v15
	v_mov_b32_e32 v5, v9
; %bb.129:
	s_or_b64 exec, exec, s[20:21]
	v_mov_b32_e32 v37, v21
	v_cmp_gt_i32_e64 s[8:9], v29, v28
	v_mov_b32_e32 v15, v29
	v_mov_b32_e32 v36, v20
	s_and_saveexec_b64 s[20:21], s[8:9]
; %bb.130:
	v_mov_b32_e32 v37, v19
	v_mov_b32_e32 v36, v18
	v_mov_b32_e32 v18, v20
	v_mov_b32_e32 v15, v28
	v_mov_b32_e32 v28, v29
	v_mov_b32_e32 v19, v21
; %bb.131:
	s_or_b64 exec, exec, s[20:21]
	;; [unrolled: 14-line block ×4, first 2 shown]
	v_mov_b32_e32 v21, v19
	v_cmp_gt_i32_e64 s[8:9], v28, v51
	v_mov_b32_e32 v32, v28
	v_mov_b32_e32 v20, v18
	s_and_saveexec_b64 s[20:21], s[8:9]
	s_xor_b64 s[8:9], exec, s[20:21]
; %bb.136:
	v_mov_b32_e32 v20, v30
	v_mov_b32_e32 v21, v31
	v_mov_b32_e32 v31, v19
	v_mov_b32_e32 v32, v51
	v_mov_b32_e32 v51, v28
	v_mov_b32_e32 v30, v18
; %bb.137:
	s_or_b64 exec, exec, s[8:9]
	v_mov_b32_e32 v29, v27
	v_cmp_gt_i32_e64 s[8:9], v52, v15
	v_mov_b32_e32 v18, v15
	v_mov_b32_e32 v28, v26
	s_and_saveexec_b64 s[20:21], s[8:9]
; %bb.138:
	v_mov_b32_e32 v28, v36
	v_mov_b32_e32 v29, v37
	v_mov_b32_e32 v37, v27
	v_mov_b32_e32 v18, v52
	v_mov_b32_e32 v36, v26
	v_mov_b32_e32 v52, v15
; %bb.139:
	s_or_b64 exec, exec, s[20:21]
	v_mov_b32_e32 v15, v22
	v_cmp_gt_i32_e64 s[8:9], v33, v25
	v_mov_b32_e32 v16, v23
	v_mov_b32_e32 v27, v25
	s_and_saveexec_b64 s[20:21], s[8:9]
; %bb.140:
	v_mov_b32_e32 v16, v11
	v_mov_b32_e32 v15, v10
	v_mov_b32_e32 v10, v22
	v_mov_b32_e32 v11, v23
	v_mov_b32_e32 v27, v33
	v_mov_b32_e32 v33, v25
; %bb.141:
	s_or_b64 exec, exec, s[20:21]
	v_mov_b32_e32 v22, v30
	v_cmp_gt_i32_e64 s[8:9], v51, v14
	v_mov_b32_e32 v26, v51
	v_mov_b32_e32 v23, v31
	s_and_saveexec_b64 s[20:21], s[8:9]
; %bb.142:
	v_mov_b32_e32 v23, v5
	v_mov_b32_e32 v22, v4
	v_mov_b32_e32 v4, v30
	v_mov_b32_e32 v26, v14
	v_mov_b32_e32 v14, v51
	v_mov_b32_e32 v5, v31
; %bb.143:
	s_or_b64 exec, exec, s[20:21]
	v_mov_b32_e32 v24, v36
	v_cmp_gt_i32_e64 s[8:9], v18, v32
	v_mov_b32_e32 v51, v18
	v_mov_b32_e32 v25, v37
	s_and_saveexec_b64 s[20:21], s[8:9]
; %bb.144:
	v_mov_b32_e32 v25, v21
	v_mov_b32_e32 v24, v20
	v_mov_b32_e32 v20, v36
	v_mov_b32_e32 v51, v32
	v_mov_b32_e32 v32, v18
	v_mov_b32_e32 v21, v37
; %bb.145:
	s_or_b64 exec, exec, s[20:21]
	v_mov_b32_e32 v19, v11
	v_cmp_gt_i32_e64 s[8:9], v27, v52
	v_mov_b32_e32 v18, v10
	v_mov_b32_e32 v36, v52
	s_and_saveexec_b64 s[20:21], s[8:9]
; %bb.146:
	v_mov_b32_e32 v18, v28
	v_mov_b32_e32 v19, v29
	v_mov_b32_e32 v29, v11
	v_mov_b32_e32 v28, v10
	v_mov_b32_e32 v36, v27
	v_mov_b32_e32 v27, v52
; %bb.147:
	s_or_b64 exec, exec, s[20:21]
	v_mov_b32_e32 v11, v9
	v_cmp_gt_i32_e64 s[8:9], v17, v33
	v_mov_b32_e32 v10, v8
	v_mov_b32_e32 v35, v33
	s_and_saveexec_b64 s[20:21], s[8:9]
; %bb.148:
	v_mov_b32_e32 v10, v15
	v_mov_b32_e32 v11, v16
	v_mov_b32_e32 v16, v9
	v_mov_b32_e32 v15, v8
	v_mov_b32_e32 v35, v17
	v_mov_b32_e32 v17, v33
; %bb.149:
	s_or_b64 exec, exec, s[20:21]
	v_mov_b32_e32 v31, v21
	v_cmp_gt_i32_e64 s[8:9], v32, v26
	v_mov_b32_e32 v34, v32
	v_mov_b32_e32 v30, v20
	s_and_saveexec_b64 s[20:21], s[8:9]
; %bb.150:
	v_mov_b32_e32 v31, v23
	v_mov_b32_e32 v30, v22
	v_mov_b32_e32 v23, v21
	v_mov_b32_e32 v34, v26
	v_mov_b32_e32 v26, v32
	v_mov_b32_e32 v22, v20
; %bb.151:
	s_or_b64 exec, exec, s[20:21]
	v_mov_b32_e32 v20, v28
	v_cmp_gt_i32_e64 s[8:9], v36, v51
	v_mov_b32_e32 v37, v51
	v_mov_b32_e32 v21, v29
	s_and_saveexec_b64 s[20:21], s[8:9]
; %bb.152:
	v_mov_b32_e32 v20, v24
	v_mov_b32_e32 v21, v25
	v_mov_b32_e32 v24, v28
	v_mov_b32_e32 v37, v36
	v_mov_b32_e32 v25, v29
	v_mov_b32_e32 v36, v51
; %bb.153:
	s_or_b64 exec, exec, s[20:21]
	v_mov_b32_e32 v8, v15
	v_cmp_gt_i32_e64 s[8:9], v35, v27
	v_mov_b32_e32 v9, v16
	v_mov_b32_e32 v52, v27
	s_and_saveexec_b64 s[20:21], s[8:9]
; %bb.154:
	v_mov_b32_e32 v8, v18
	v_mov_b32_e32 v9, v19
	v_mov_b32_e32 v19, v16
	v_mov_b32_e32 v18, v15
	v_mov_b32_e32 v52, v35
	v_mov_b32_e32 v35, v27
; %bb.155:
	s_or_b64 exec, exec, s[20:21]
	v_mov_b32_e32 v29, v23
	v_cmp_gt_i32_e64 s[8:9], v26, v14
	v_mov_b32_e32 v16, v26
	v_mov_b32_e32 v28, v22
	s_and_saveexec_b64 s[20:21], s[8:9]
; %bb.156:
	v_mov_b32_e32 v29, v5
	v_mov_b32_e32 v28, v4
	v_mov_b32_e32 v4, v22
	v_mov_b32_e32 v16, v14
	v_mov_b32_e32 v14, v26
	v_mov_b32_e32 v5, v23
; %bb.157:
	s_or_b64 exec, exec, s[20:21]
	v_mov_b32_e32 v33, v25
	v_cmp_gt_i32_e64 s[8:9], v37, v34
	v_mov_b32_e32 v15, v37
	v_mov_b32_e32 v32, v24
	s_and_saveexec_b64 s[20:21], s[8:9]
; %bb.158:
	v_mov_b32_e32 v33, v31
	v_mov_b32_e32 v32, v30
	v_mov_b32_e32 v31, v25
	v_mov_b32_e32 v15, v34
	v_mov_b32_e32 v34, v37
	v_mov_b32_e32 v30, v24
; %bb.159:
	s_or_b64 exec, exec, s[20:21]
	v_mov_b32_e32 v27, v19
	v_cmp_gt_i32_e64 s[8:9], v52, v36
	v_mov_b32_e32 v26, v18
	v_mov_b32_e32 v54, v36
	s_and_saveexec_b64 s[20:21], s[8:9]
; %bb.160:
	v_mov_b32_e32 v27, v21
	v_mov_b32_e32 v26, v20
	v_mov_b32_e32 v21, v19
	v_mov_b32_e32 v20, v18
	v_mov_b32_e32 v54, v52
	v_mov_b32_e32 v52, v36
; %bb.161:
	s_or_b64 exec, exec, s[20:21]
	v_mov_b32_e32 v19, v11
	v_cmp_gt_i32_e64 s[8:9], v17, v35
	v_mov_b32_e32 v18, v10
	v_mov_b32_e32 v53, v35
	s_and_saveexec_b64 s[20:21], s[8:9]
; %bb.162:
	v_mov_b32_e32 v19, v9
	v_mov_b32_e32 v18, v8
	v_mov_b32_e32 v8, v10
	v_mov_b32_e32 v9, v11
	v_mov_b32_e32 v53, v17
	v_mov_b32_e32 v17, v35
; %bb.163:
	s_or_b64 exec, exec, s[20:21]
	v_mov_b32_e32 v37, v31
	v_cmp_gt_i32_e64 s[8:9], v34, v16
	v_mov_b32_e32 v51, v34
	v_mov_b32_e32 v36, v30
	s_and_saveexec_b64 s[20:21], s[8:9]
; %bb.164:
	v_mov_b32_e32 v37, v29
	v_mov_b32_e32 v36, v28
	v_mov_b32_e32 v28, v30
	v_mov_b32_e32 v51, v16
	v_mov_b32_e32 v16, v34
	v_mov_b32_e32 v29, v31
; %bb.165:
	s_or_b64 exec, exec, s[20:21]
	v_mov_b32_e32 v10, v20
	v_cmp_gt_i32_e64 s[8:9], v54, v15
	v_mov_b32_e32 v24, v15
	v_mov_b32_e32 v11, v21
	s_and_saveexec_b64 s[20:21], s[8:9]
; %bb.166:
	v_mov_b32_e32 v10, v32
	v_mov_b32_e32 v11, v33
	v_mov_b32_e32 v33, v21
	v_mov_b32_e32 v24, v54
	v_mov_b32_e32 v32, v20
	v_mov_b32_e32 v54, v15
; %bb.167:
	s_or_b64 exec, exec, s[20:21]
	v_mov_b32_e32 v23, v9
	v_cmp_gt_i32_e64 s[8:9], v53, v52
	v_mov_b32_e32 v22, v8
	v_mov_b32_e32 v25, v52
	s_and_saveexec_b64 s[20:21], s[8:9]
; %bb.168:
	v_mov_b32_e32 v22, v26
	v_mov_b32_e32 v23, v27
	v_mov_b32_e32 v27, v9
	v_mov_b32_e32 v26, v8
	v_mov_b32_e32 v25, v53
	v_mov_b32_e32 v53, v52
; %bb.169:
	s_or_b64 exec, exec, s[20:21]
	v_mov_b32_e32 v8, v28
	v_cmp_gt_i32_e64 s[8:9], v16, v14
	v_mov_b32_e32 v15, v16
	v_mov_b32_e32 v9, v29
	s_and_saveexec_b64 s[20:21], s[8:9]
; %bb.170:
	v_mov_b32_e32 v9, v5
	v_mov_b32_e32 v8, v4
	v_mov_b32_e32 v4, v28
	v_mov_b32_e32 v15, v14
	v_mov_b32_e32 v14, v16
	v_mov_b32_e32 v5, v29
; %bb.171:
	s_or_b64 exec, exec, s[20:21]
	v_mov_b32_e32 v20, v32
	v_cmp_gt_i32_e64 s[8:9], v24, v51
	v_mov_b32_e32 v16, v24
	v_mov_b32_e32 v21, v33
	s_and_saveexec_b64 s[20:21], s[8:9]
; %bb.172:
	v_mov_b32_e32 v20, v36
	v_mov_b32_e32 v21, v37
	v_mov_b32_e32 v37, v33
	v_mov_b32_e32 v16, v51
	v_mov_b32_e32 v51, v24
	v_mov_b32_e32 v36, v32
; %bb.173:
	s_or_b64 exec, exec, s[20:21]
	v_mov_b32_e32 v31, v27
	v_cmp_gt_i32_e64 s[8:9], v25, v54
	v_mov_b32_e32 v30, v26
	v_mov_b32_e32 v24, v54
	s_and_saveexec_b64 s[20:21], s[8:9]
; %bb.174:
	v_mov_b32_e32 v31, v11
	v_mov_b32_e32 v30, v10
	v_mov_b32_e32 v10, v26
	v_mov_b32_e32 v11, v27
	v_mov_b32_e32 v24, v25
	v_mov_b32_e32 v25, v54
; %bb.175:
	s_or_b64 exec, exec, s[20:21]
	v_mov_b32_e32 v35, v19
	v_cmp_gt_i32_e64 s[8:9], v17, v53
	v_mov_b32_e32 v34, v18
	v_mov_b32_e32 v52, v53
	s_and_saveexec_b64 s[20:21], s[8:9]
; %bb.176:
	v_mov_b32_e32 v35, v23
	v_mov_b32_e32 v34, v22
	v_mov_b32_e32 v23, v19
	v_mov_b32_e32 v22, v18
	v_mov_b32_e32 v52, v17
	v_mov_b32_e32 v17, v53
; %bb.177:
	s_or_b64 exec, exec, s[20:21]
	v_mov_b32_e32 v18, v36
	v_cmp_gt_i32_e64 s[8:9], v51, v15
	v_mov_b32_e32 v28, v51
	v_mov_b32_e32 v19, v37
	s_and_saveexec_b64 s[20:21], s[8:9]
; %bb.178:
	v_mov_b32_e32 v19, v9
	v_mov_b32_e32 v18, v8
	v_mov_b32_e32 v8, v36
	v_mov_b32_e32 v28, v15
	v_mov_b32_e32 v15, v51
	v_mov_b32_e32 v9, v37
; %bb.179:
	s_or_b64 exec, exec, s[20:21]
	v_mov_b32_e32 v27, v11
	v_cmp_gt_i32_e64 s[8:9], v24, v16
	v_mov_b32_e32 v29, v16
	v_mov_b32_e32 v26, v10
	s_and_saveexec_b64 s[20:21], s[8:9]
; %bb.180:
	v_mov_b32_e32 v27, v21
	v_mov_b32_e32 v26, v20
	v_mov_b32_e32 v21, v11
	v_mov_b32_e32 v29, v24
	v_mov_b32_e32 v20, v10
	v_mov_b32_e32 v24, v16
; %bb.181:
	s_or_b64 exec, exec, s[20:21]
	v_mov_b32_e32 v33, v31
	v_cmp_gt_i32_e64 s[8:9], v52, v25
	v_mov_b32_e32 v16, v52
	v_mov_b32_e32 v32, v30
	s_and_saveexec_b64 s[20:21], s[8:9]
; %bb.182:
	v_mov_b32_e32 v33, v23
	v_mov_b32_e32 v32, v22
	;; [unrolled: 1-line block ×6, first 2 shown]
; %bb.183:
	s_or_b64 exec, exec, s[20:21]
.LBB511_184:
	s_or_b64 exec, exec, s[12:13]
	v_and_b32_e32 v10, 0xfffffe00, v50
	s_movk_i32 s8, 0x800
	v_lshlrev_b32_e32 v11, 2, v10
	v_sub_u32_e64 v30, s8, v10 clamp
	v_add_u32_e32 v10, v11, v11
	v_lshl_add_u32 v36, v48, 3, v10
	v_add_u32_e32 v37, 0x2000, v36
	v_lshl_add_u32 v31, v48, 2, v11
	ds_write2_b64 v37, v[4:5], v[8:9] offset1:1
	v_add_u32_e32 v37, 0x2010, v36
	ds_write2_b64 v31, v[14:15], v[28:29] offset1:1
	ds_write2_b64 v37, v[18:19], v[20:21] offset1:1
	v_add_u32_e32 v37, 0x2020, v36
	ds_write2_b64 v37, v[26:27], v[32:33] offset1:1
	v_add_u32_e32 v37, 0x2030, v36
	ds_write2_b64 v31, v[24:25], v[16:17] offset0:2 offset1:3
	ds_write2_b64 v37, v[22:23], v[34:35] offset1:1
	v_or_b32_e32 v37, 8, v48
	v_min_u32_e32 v37, v30, v37
	v_add_u32_e32 v50, 8, v37
	v_and_b32_e32 v53, 0x3f0, v48
	v_min_u32_e32 v50, v30, v50
	v_and_b32_e32 v51, 8, v48
	v_min_u32_e32 v54, v30, v51
	v_sub_u32_e32 v55, v37, v53
	v_sub_u32_e32 v52, v50, v37
	v_sub_u32_e64 v52, v54, v52 clamp
	v_min_u32_e32 v55, v54, v55
	v_lshl_add_u32 v51, v53, 2, v11
	v_cmp_lt_u32_e64 s[8:9], v52, v55
	; wave barrier
	s_and_saveexec_b64 s[12:13], s[8:9]
	s_cbranch_execz .LBB511_188
; %bb.185:
	v_lshlrev_b32_e32 v64, 2, v37
	v_lshlrev_b32_e32 v65, 2, v54
	v_add3_u32 v64, v11, v64, v65
	s_mov_b64 s[20:21], 0
.LBB511_186:                            ; =>This Inner Loop Header: Depth=1
	v_add_u32_e32 v65, v55, v52
	v_lshrrev_b32_e32 v65, 1, v65
	v_not_b32_e32 v66, v65
	v_lshl_add_u32 v67, v65, 2, v51
	v_lshl_add_u32 v66, v66, 2, v64
	ds_read_b32 v67, v67
	ds_read_b32 v66, v66
	v_add_u32_e32 v68, 1, v65
	s_waitcnt lgkmcnt(0)
	v_cmp_gt_i32_e64 s[8:9], v66, v67
	v_cndmask_b32_e64 v55, v55, v65, s[8:9]
	v_cndmask_b32_e64 v52, v68, v52, s[8:9]
	v_cmp_ge_u32_e64 s[8:9], v52, v55
	s_or_b64 s[20:21], s[8:9], s[20:21]
	s_andn2_b64 exec, exec, s[20:21]
	s_cbranch_execnz .LBB511_186
; %bb.187:
	s_or_b64 exec, exec, s[20:21]
.LBB511_188:
	s_or_b64 exec, exec, s[12:13]
	v_add_u32_e32 v54, v37, v54
	v_add_u32_e32 v53, v52, v53
	v_sub_u32_e32 v54, v54, v52
	v_cmp_le_u32_e64 s[8:9], v53, v37
	v_cmp_le_u32_e64 s[12:13], v54, v50
	s_or_b64 s[8:9], s[8:9], s[12:13]
	s_and_saveexec_b64 s[56:57], s[8:9]
	s_cbranch_execz .LBB511_194
; %bb.189:
	v_cmp_lt_u32_e64 s[8:9], v53, v37
                                        ; implicit-def: $vgpr14
	s_and_saveexec_b64 s[12:13], s[8:9]
; %bb.190:
	v_lshl_add_u32 v4, v52, 2, v51
	ds_read_b32 v14, v4
; %bb.191:
	s_or_b64 exec, exec, s[12:13]
	v_cmp_ge_u32_e64 s[20:21], v54, v50
	v_cmp_lt_u32_e64 s[12:13], v54, v50
                                        ; implicit-def: $vgpr15
	s_and_saveexec_b64 s[22:23], s[12:13]
; %bb.192:
	v_lshl_add_u32 v4, v54, 2, v11
	ds_read_b32 v15, v4
; %bb.193:
	s_or_b64 exec, exec, s[22:23]
	s_waitcnt lgkmcnt(0)
	v_cmp_le_i32_e64 s[12:13], v15, v14
	s_and_b64 s[8:9], s[8:9], s[12:13]
	s_or_b64 s[8:9], s[20:21], s[8:9]
	v_cndmask_b32_e64 v4, v54, v53, s[8:9]
	v_cndmask_b32_e64 v5, v50, v37, s[8:9]
	v_add_u32_e32 v8, 1, v4
	v_add_u32_e32 v5, -1, v5
	v_min_u32_e32 v5, v8, v5
	v_lshl_add_u32 v5, v5, 2, v11
	ds_read_b32 v5, v5
	v_cndmask_b32_e64 v9, v8, v54, s[8:9]
	v_cmp_ge_u32_e64 s[12:13], v9, v50
	v_lshl_add_u32 v4, v4, 3, v10
	s_waitcnt lgkmcnt(0)
	v_cndmask_b32_e64 v16, v5, v15, s[8:9]
	v_cndmask_b32_e64 v17, v14, v5, s[8:9]
	;; [unrolled: 1-line block ×3, first 2 shown]
	v_cmp_lt_u32_e64 s[20:21], v5, v37
	v_cmp_le_i32_e64 s[22:23], v16, v17
	s_and_b64 s[20:21], s[20:21], s[22:23]
	s_or_b64 s[20:21], s[12:13], s[20:21]
	v_cndmask_b32_e64 v8, v9, v5, s[20:21]
	v_cndmask_b32_e64 v18, v50, v37, s[20:21]
	v_add_u32_e32 v19, 1, v8
	v_add_u32_e32 v18, -1, v18
	v_min_u32_e32 v18, v19, v18
	v_lshl_add_u32 v18, v18, 2, v11
	ds_read_b32 v18, v18
	v_cndmask_b32_e64 v5, v5, v19, s[20:21]
	v_cndmask_b32_e64 v9, v19, v9, s[20:21]
	v_cmp_lt_u32_e64 s[22:23], v5, v37
	v_cmp_ge_u32_e64 s[12:13], v9, v50
	s_waitcnt lgkmcnt(0)
	v_cndmask_b32_e64 v24, v18, v16, s[20:21]
	v_cndmask_b32_e64 v25, v17, v18, s[20:21]
	v_cmp_le_i32_e64 s[24:25], v24, v25
	s_and_b64 s[22:23], s[22:23], s[24:25]
	s_or_b64 s[22:23], s[12:13], s[22:23]
	v_cndmask_b32_e64 v18, v9, v5, s[22:23]
	v_cndmask_b32_e64 v19, v50, v37, s[22:23]
	v_add_u32_e32 v20, 1, v18
	v_add_u32_e32 v19, -1, v19
	v_min_u32_e32 v19, v20, v19
	v_lshl_add_u32 v19, v19, 2, v11
	ds_read_b32 v19, v19
	v_lshl_add_u32 v8, v8, 3, v10
	v_lshl_add_u32 v18, v18, 3, v10
	v_cndmask_b32_e64 v14, v15, v14, s[8:9]
	v_cndmask_b32_e64 v15, v16, v17, s[20:21]
	s_waitcnt lgkmcnt(0)
	v_cndmask_b32_e64 v29, v19, v24, s[22:23]
	v_cndmask_b32_e64 v34, v25, v19, s[22:23]
	;; [unrolled: 1-line block ×4, first 2 shown]
	v_cmp_lt_u32_e64 s[24:25], v20, v37
	v_cmp_le_i32_e64 s[28:29], v29, v34
	v_cmp_ge_u32_e64 s[12:13], v19, v50
	s_and_b64 s[24:25], s[24:25], s[28:29]
	s_or_b64 s[12:13], s[12:13], s[24:25]
	v_cndmask_b32_e64 v21, v19, v20, s[12:13]
	v_cndmask_b32_e64 v5, v50, v37, s[12:13]
	v_add_u32_e32 v22, 1, v21
	v_add_u32_e32 v5, -1, v5
	v_min_u32_e32 v5, v22, v5
	v_lshl_add_u32 v5, v5, 2, v11
	ds_read_b32 v23, v5
	ds_read_b64 v[4:5], v4 offset:8192
	ds_read_b64 v[8:9], v8 offset:8192
	s_waitcnt lgkmcnt(2)
	v_cndmask_b32_e64 v51, v23, v29, s[12:13]
	v_cndmask_b32_e64 v52, v34, v23, s[12:13]
	;; [unrolled: 1-line block ×4, first 2 shown]
	v_cmp_lt_u32_e64 s[28:29], v22, v37
	v_cmp_le_i32_e64 s[40:41], v51, v52
	v_cmp_ge_u32_e64 s[24:25], v23, v50
	s_and_b64 s[28:29], s[28:29], s[40:41]
	s_or_b64 s[24:25], s[24:25], s[28:29]
	v_cndmask_b32_e64 v26, v23, v22, s[24:25]
	v_cndmask_b32_e64 v19, v50, v37, s[24:25]
	v_add_u32_e32 v27, 1, v26
	v_add_u32_e32 v19, -1, v19
	v_min_u32_e32 v19, v27, v19
	v_lshl_add_u32 v19, v19, 2, v11
	ds_read_b32 v28, v19
	v_cndmask_b32_e64 v22, v22, v27, s[24:25]
	v_cndmask_b32_e64 v23, v27, v23, s[24:25]
	v_cmp_lt_u32_e64 s[40:41], v22, v37
	v_cmp_ge_u32_e64 s[28:29], v23, v50
	s_waitcnt lgkmcnt(0)
	v_cndmask_b32_e64 v53, v28, v51, s[24:25]
	v_cndmask_b32_e64 v54, v52, v28, s[24:25]
	v_cmp_le_i32_e64 s[42:43], v53, v54
	s_and_b64 s[40:41], s[40:41], s[42:43]
	s_or_b64 s[28:29], s[28:29], s[40:41]
	v_cndmask_b32_e64 v28, v23, v22, s[28:29]
	v_cndmask_b32_e64 v27, v50, v37, s[28:29]
	v_add_u32_e32 v35, 1, v28
	v_add_u32_e32 v27, -1, v27
	v_min_u32_e32 v27, v35, v27
	v_lshl_add_u32 v27, v27, 2, v11
	ds_read_b32 v55, v27
	v_cndmask_b32_e64 v65, v35, v23, s[28:29]
	v_cndmask_b32_e64 v35, v22, v35, s[28:29]
	v_cmp_lt_u32_e64 s[42:43], v35, v37
	v_cmp_ge_u32_e64 s[40:41], v65, v50
	s_waitcnt lgkmcnt(0)
	v_cndmask_b32_e64 v64, v55, v53, s[28:29]
	v_cndmask_b32_e64 v55, v54, v55, s[28:29]
	v_cmp_le_i32_e64 s[44:45], v64, v55
	s_and_b64 s[42:43], s[42:43], s[44:45]
	s_or_b64 s[40:41], s[40:41], s[42:43]
	v_lshl_add_u32 v26, v26, 3, v10
	v_lshl_add_u32 v28, v28, 3, v10
	v_cndmask_b32_e64 v22, v65, v35, s[40:41]
	v_cndmask_b32_e64 v23, v50, v37, s[40:41]
	ds_read_b64 v[26:27], v26 offset:8192
	ds_read_b64 v[32:33], v28 offset:8192
	v_lshl_add_u32 v28, v22, 3, v10
	v_add_u32_e32 v66, 1, v22
	v_add_u32_e32 v22, -1, v23
	v_min_u32_e32 v22, v66, v22
	v_lshl_add_u32 v20, v21, 3, v10
	v_lshl_add_u32 v67, v22, 2, v11
	ds_read_b64 v[18:19], v18 offset:8192
	ds_read_b64 v[20:21], v20 offset:8192
	;; [unrolled: 1-line block ×3, first 2 shown]
	ds_read_b32 v67, v67
	v_cndmask_b32_e64 v28, v24, v25, s[22:23]
	v_cndmask_b32_e64 v24, v35, v66, s[40:41]
	;; [unrolled: 1-line block ×4, first 2 shown]
	s_waitcnt lgkmcnt(0)
	v_cndmask_b32_e64 v17, v67, v64, s[40:41]
	v_cndmask_b32_e64 v67, v55, v67, s[40:41]
	v_cmp_lt_u32_e64 s[12:13], v24, v37
	v_cmp_le_i32_e64 s[20:21], v17, v67
	v_cmp_ge_u32_e64 s[8:9], v16, v50
	s_and_b64 s[12:13], s[12:13], s[20:21]
	s_or_b64 s[8:9], s[8:9], s[12:13]
	v_cndmask_b32_e64 v16, v16, v24, s[8:9]
	v_lshl_add_u32 v16, v16, 3, v10
	ds_read_b64 v[34:35], v16 offset:8192
	v_cndmask_b32_e64 v24, v51, v52, s[24:25]
	v_cndmask_b32_e64 v25, v53, v54, s[28:29]
	;; [unrolled: 1-line block ×4, first 2 shown]
.LBB511_194:
	s_or_b64 exec, exec, s[56:57]
	v_add_u32_e32 v37, 0x2000, v36
	; wave barrier
	ds_write2_b64 v37, v[4:5], v[8:9] offset1:1
	v_add_u32_e32 v37, 0x2010, v36
	ds_write2_b64 v31, v[14:15], v[28:29] offset1:1
	ds_write2_b64 v37, v[18:19], v[20:21] offset1:1
	v_add_u32_e32 v37, 0x2020, v36
	ds_write2_b64 v37, v[26:27], v[32:33] offset1:1
	v_add_u32_e32 v37, 0x2030, v36
	v_and_b32_e32 v53, 0x3e0, v48
	ds_write2_b64 v31, v[24:25], v[16:17] offset0:2 offset1:3
	s_waitcnt lgkmcnt(5)
	ds_write2_b64 v37, v[22:23], v[34:35] offset1:1
	v_or_b32_e32 v37, 16, v53
	v_min_u32_e32 v37, v30, v37
	v_add_u32_e32 v50, 16, v37
	v_min_u32_e32 v50, v30, v50
	v_and_b32_e32 v51, 24, v48
	v_min_u32_e32 v54, v30, v51
	v_sub_u32_e32 v55, v37, v53
	v_sub_u32_e32 v52, v50, v37
	v_sub_u32_e64 v52, v54, v52 clamp
	v_min_u32_e32 v55, v54, v55
	v_lshl_add_u32 v51, v53, 2, v11
	v_cmp_lt_u32_e64 s[8:9], v52, v55
	; wave barrier
	s_and_saveexec_b64 s[12:13], s[8:9]
	s_cbranch_execz .LBB511_198
; %bb.195:
	v_lshlrev_b32_e32 v64, 2, v37
	v_lshlrev_b32_e32 v65, 2, v54
	v_add3_u32 v64, v11, v64, v65
	s_mov_b64 s[20:21], 0
.LBB511_196:                            ; =>This Inner Loop Header: Depth=1
	v_add_u32_e32 v65, v55, v52
	v_lshrrev_b32_e32 v65, 1, v65
	v_not_b32_e32 v66, v65
	v_lshl_add_u32 v67, v65, 2, v51
	v_lshl_add_u32 v66, v66, 2, v64
	ds_read_b32 v67, v67
	ds_read_b32 v66, v66
	v_add_u32_e32 v68, 1, v65
	s_waitcnt lgkmcnt(0)
	v_cmp_gt_i32_e64 s[8:9], v66, v67
	v_cndmask_b32_e64 v55, v55, v65, s[8:9]
	v_cndmask_b32_e64 v52, v68, v52, s[8:9]
	v_cmp_ge_u32_e64 s[8:9], v52, v55
	s_or_b64 s[20:21], s[8:9], s[20:21]
	s_andn2_b64 exec, exec, s[20:21]
	s_cbranch_execnz .LBB511_196
; %bb.197:
	s_or_b64 exec, exec, s[20:21]
.LBB511_198:
	s_or_b64 exec, exec, s[12:13]
	v_add_u32_e32 v54, v37, v54
	v_add_u32_e32 v53, v52, v53
	v_sub_u32_e32 v54, v54, v52
	v_cmp_le_u32_e64 s[8:9], v53, v37
	v_cmp_le_u32_e64 s[12:13], v54, v50
	s_or_b64 s[8:9], s[8:9], s[12:13]
	s_and_saveexec_b64 s[56:57], s[8:9]
	s_cbranch_execz .LBB511_204
; %bb.199:
	v_cmp_lt_u32_e64 s[8:9], v53, v37
                                        ; implicit-def: $vgpr14
	s_and_saveexec_b64 s[12:13], s[8:9]
; %bb.200:
	v_lshl_add_u32 v4, v52, 2, v51
	ds_read_b32 v14, v4
; %bb.201:
	s_or_b64 exec, exec, s[12:13]
	v_cmp_ge_u32_e64 s[20:21], v54, v50
	v_cmp_lt_u32_e64 s[12:13], v54, v50
                                        ; implicit-def: $vgpr15
	s_and_saveexec_b64 s[22:23], s[12:13]
; %bb.202:
	v_lshl_add_u32 v4, v54, 2, v11
	ds_read_b32 v15, v4
; %bb.203:
	s_or_b64 exec, exec, s[22:23]
	s_waitcnt lgkmcnt(0)
	v_cmp_le_i32_e64 s[12:13], v15, v14
	s_and_b64 s[8:9], s[8:9], s[12:13]
	s_or_b64 s[8:9], s[20:21], s[8:9]
	v_cndmask_b32_e64 v4, v54, v53, s[8:9]
	v_cndmask_b32_e64 v5, v50, v37, s[8:9]
	v_add_u32_e32 v8, 1, v4
	v_add_u32_e32 v5, -1, v5
	v_min_u32_e32 v5, v8, v5
	v_lshl_add_u32 v5, v5, 2, v11
	ds_read_b32 v5, v5
	v_cndmask_b32_e64 v9, v8, v54, s[8:9]
	v_cmp_ge_u32_e64 s[12:13], v9, v50
	v_lshl_add_u32 v4, v4, 3, v10
	s_waitcnt lgkmcnt(0)
	v_cndmask_b32_e64 v16, v5, v15, s[8:9]
	v_cndmask_b32_e64 v17, v14, v5, s[8:9]
	;; [unrolled: 1-line block ×3, first 2 shown]
	v_cmp_lt_u32_e64 s[20:21], v5, v37
	v_cmp_le_i32_e64 s[22:23], v16, v17
	s_and_b64 s[20:21], s[20:21], s[22:23]
	s_or_b64 s[20:21], s[12:13], s[20:21]
	v_cndmask_b32_e64 v8, v9, v5, s[20:21]
	v_cndmask_b32_e64 v18, v50, v37, s[20:21]
	v_add_u32_e32 v19, 1, v8
	v_add_u32_e32 v18, -1, v18
	v_min_u32_e32 v18, v19, v18
	v_lshl_add_u32 v18, v18, 2, v11
	ds_read_b32 v18, v18
	v_cndmask_b32_e64 v5, v5, v19, s[20:21]
	v_cndmask_b32_e64 v9, v19, v9, s[20:21]
	v_cmp_lt_u32_e64 s[22:23], v5, v37
	v_cmp_ge_u32_e64 s[12:13], v9, v50
	s_waitcnt lgkmcnt(0)
	v_cndmask_b32_e64 v24, v18, v16, s[20:21]
	v_cndmask_b32_e64 v25, v17, v18, s[20:21]
	v_cmp_le_i32_e64 s[24:25], v24, v25
	s_and_b64 s[22:23], s[22:23], s[24:25]
	s_or_b64 s[22:23], s[12:13], s[22:23]
	v_cndmask_b32_e64 v18, v9, v5, s[22:23]
	v_cndmask_b32_e64 v19, v50, v37, s[22:23]
	v_add_u32_e32 v20, 1, v18
	v_add_u32_e32 v19, -1, v19
	v_min_u32_e32 v19, v20, v19
	v_lshl_add_u32 v19, v19, 2, v11
	ds_read_b32 v19, v19
	v_lshl_add_u32 v8, v8, 3, v10
	v_lshl_add_u32 v18, v18, 3, v10
	v_cndmask_b32_e64 v14, v15, v14, s[8:9]
	v_cndmask_b32_e64 v15, v16, v17, s[20:21]
	s_waitcnt lgkmcnt(0)
	v_cndmask_b32_e64 v29, v19, v24, s[22:23]
	v_cndmask_b32_e64 v34, v25, v19, s[22:23]
	;; [unrolled: 1-line block ×4, first 2 shown]
	v_cmp_lt_u32_e64 s[24:25], v20, v37
	v_cmp_le_i32_e64 s[28:29], v29, v34
	v_cmp_ge_u32_e64 s[12:13], v19, v50
	s_and_b64 s[24:25], s[24:25], s[28:29]
	s_or_b64 s[12:13], s[12:13], s[24:25]
	v_cndmask_b32_e64 v21, v19, v20, s[12:13]
	v_cndmask_b32_e64 v5, v50, v37, s[12:13]
	v_add_u32_e32 v22, 1, v21
	v_add_u32_e32 v5, -1, v5
	v_min_u32_e32 v5, v22, v5
	v_lshl_add_u32 v5, v5, 2, v11
	ds_read_b32 v23, v5
	ds_read_b64 v[4:5], v4 offset:8192
	ds_read_b64 v[8:9], v8 offset:8192
	s_waitcnt lgkmcnt(2)
	v_cndmask_b32_e64 v51, v23, v29, s[12:13]
	v_cndmask_b32_e64 v52, v34, v23, s[12:13]
	;; [unrolled: 1-line block ×4, first 2 shown]
	v_cmp_lt_u32_e64 s[28:29], v22, v37
	v_cmp_le_i32_e64 s[40:41], v51, v52
	v_cmp_ge_u32_e64 s[24:25], v23, v50
	s_and_b64 s[28:29], s[28:29], s[40:41]
	s_or_b64 s[24:25], s[24:25], s[28:29]
	v_cndmask_b32_e64 v26, v23, v22, s[24:25]
	v_cndmask_b32_e64 v19, v50, v37, s[24:25]
	v_add_u32_e32 v27, 1, v26
	v_add_u32_e32 v19, -1, v19
	v_min_u32_e32 v19, v27, v19
	v_lshl_add_u32 v19, v19, 2, v11
	ds_read_b32 v28, v19
	v_cndmask_b32_e64 v22, v22, v27, s[24:25]
	v_cndmask_b32_e64 v23, v27, v23, s[24:25]
	v_cmp_lt_u32_e64 s[40:41], v22, v37
	v_cmp_ge_u32_e64 s[28:29], v23, v50
	s_waitcnt lgkmcnt(0)
	v_cndmask_b32_e64 v53, v28, v51, s[24:25]
	v_cndmask_b32_e64 v54, v52, v28, s[24:25]
	v_cmp_le_i32_e64 s[42:43], v53, v54
	s_and_b64 s[40:41], s[40:41], s[42:43]
	s_or_b64 s[28:29], s[28:29], s[40:41]
	v_cndmask_b32_e64 v28, v23, v22, s[28:29]
	v_cndmask_b32_e64 v27, v50, v37, s[28:29]
	v_add_u32_e32 v35, 1, v28
	v_add_u32_e32 v27, -1, v27
	v_min_u32_e32 v27, v35, v27
	v_lshl_add_u32 v27, v27, 2, v11
	ds_read_b32 v55, v27
	v_cndmask_b32_e64 v65, v35, v23, s[28:29]
	v_cndmask_b32_e64 v35, v22, v35, s[28:29]
	v_cmp_lt_u32_e64 s[42:43], v35, v37
	v_cmp_ge_u32_e64 s[40:41], v65, v50
	s_waitcnt lgkmcnt(0)
	v_cndmask_b32_e64 v64, v55, v53, s[28:29]
	v_cndmask_b32_e64 v55, v54, v55, s[28:29]
	v_cmp_le_i32_e64 s[44:45], v64, v55
	s_and_b64 s[42:43], s[42:43], s[44:45]
	s_or_b64 s[40:41], s[40:41], s[42:43]
	v_lshl_add_u32 v26, v26, 3, v10
	v_lshl_add_u32 v28, v28, 3, v10
	v_cndmask_b32_e64 v22, v65, v35, s[40:41]
	v_cndmask_b32_e64 v23, v50, v37, s[40:41]
	ds_read_b64 v[26:27], v26 offset:8192
	ds_read_b64 v[32:33], v28 offset:8192
	v_lshl_add_u32 v28, v22, 3, v10
	v_add_u32_e32 v66, 1, v22
	v_add_u32_e32 v22, -1, v23
	v_min_u32_e32 v22, v66, v22
	v_lshl_add_u32 v20, v21, 3, v10
	v_lshl_add_u32 v67, v22, 2, v11
	ds_read_b64 v[18:19], v18 offset:8192
	ds_read_b64 v[20:21], v20 offset:8192
	;; [unrolled: 1-line block ×3, first 2 shown]
	ds_read_b32 v67, v67
	v_cndmask_b32_e64 v28, v24, v25, s[22:23]
	v_cndmask_b32_e64 v24, v35, v66, s[40:41]
	;; [unrolled: 1-line block ×4, first 2 shown]
	s_waitcnt lgkmcnt(0)
	v_cndmask_b32_e64 v17, v67, v64, s[40:41]
	v_cndmask_b32_e64 v67, v55, v67, s[40:41]
	v_cmp_lt_u32_e64 s[12:13], v24, v37
	v_cmp_le_i32_e64 s[20:21], v17, v67
	v_cmp_ge_u32_e64 s[8:9], v16, v50
	s_and_b64 s[12:13], s[12:13], s[20:21]
	s_or_b64 s[8:9], s[8:9], s[12:13]
	v_cndmask_b32_e64 v16, v16, v24, s[8:9]
	v_lshl_add_u32 v16, v16, 3, v10
	ds_read_b64 v[34:35], v16 offset:8192
	v_cndmask_b32_e64 v24, v51, v52, s[24:25]
	v_cndmask_b32_e64 v25, v53, v54, s[28:29]
	;; [unrolled: 1-line block ×4, first 2 shown]
.LBB511_204:
	s_or_b64 exec, exec, s[56:57]
	v_add_u32_e32 v37, 0x2000, v36
	; wave barrier
	ds_write2_b64 v37, v[4:5], v[8:9] offset1:1
	v_add_u32_e32 v37, 0x2010, v36
	ds_write2_b64 v31, v[14:15], v[28:29] offset1:1
	ds_write2_b64 v37, v[18:19], v[20:21] offset1:1
	v_add_u32_e32 v37, 0x2020, v36
	ds_write2_b64 v37, v[26:27], v[32:33] offset1:1
	v_add_u32_e32 v37, 0x2030, v36
	v_and_b32_e32 v53, 0x3c0, v48
	ds_write2_b64 v31, v[24:25], v[16:17] offset0:2 offset1:3
	s_waitcnt lgkmcnt(5)
	ds_write2_b64 v37, v[22:23], v[34:35] offset1:1
	v_or_b32_e32 v37, 32, v53
	v_min_u32_e32 v37, v30, v37
	v_add_u32_e32 v50, 32, v37
	v_min_u32_e32 v50, v30, v50
	v_and_b32_e32 v51, 56, v48
	v_min_u32_e32 v54, v30, v51
	v_sub_u32_e32 v55, v37, v53
	v_sub_u32_e32 v52, v50, v37
	v_sub_u32_e64 v52, v54, v52 clamp
	v_min_u32_e32 v55, v54, v55
	v_lshl_add_u32 v51, v53, 2, v11
	v_cmp_lt_u32_e64 s[8:9], v52, v55
	; wave barrier
	s_and_saveexec_b64 s[12:13], s[8:9]
	s_cbranch_execz .LBB511_208
; %bb.205:
	v_lshlrev_b32_e32 v64, 2, v37
	v_lshlrev_b32_e32 v65, 2, v54
	v_add3_u32 v64, v11, v64, v65
	s_mov_b64 s[20:21], 0
.LBB511_206:                            ; =>This Inner Loop Header: Depth=1
	v_add_u32_e32 v65, v55, v52
	v_lshrrev_b32_e32 v65, 1, v65
	v_not_b32_e32 v66, v65
	v_lshl_add_u32 v67, v65, 2, v51
	v_lshl_add_u32 v66, v66, 2, v64
	ds_read_b32 v67, v67
	ds_read_b32 v66, v66
	v_add_u32_e32 v68, 1, v65
	s_waitcnt lgkmcnt(0)
	v_cmp_gt_i32_e64 s[8:9], v66, v67
	v_cndmask_b32_e64 v55, v55, v65, s[8:9]
	v_cndmask_b32_e64 v52, v68, v52, s[8:9]
	v_cmp_ge_u32_e64 s[8:9], v52, v55
	s_or_b64 s[20:21], s[8:9], s[20:21]
	s_andn2_b64 exec, exec, s[20:21]
	s_cbranch_execnz .LBB511_206
; %bb.207:
	s_or_b64 exec, exec, s[20:21]
.LBB511_208:
	s_or_b64 exec, exec, s[12:13]
	v_add_u32_e32 v54, v37, v54
	v_add_u32_e32 v53, v52, v53
	v_sub_u32_e32 v54, v54, v52
	v_cmp_le_u32_e64 s[8:9], v53, v37
	v_cmp_le_u32_e64 s[12:13], v54, v50
	s_or_b64 s[8:9], s[8:9], s[12:13]
	s_and_saveexec_b64 s[56:57], s[8:9]
	s_cbranch_execz .LBB511_214
; %bb.209:
	v_cmp_lt_u32_e64 s[8:9], v53, v37
                                        ; implicit-def: $vgpr14
	s_and_saveexec_b64 s[12:13], s[8:9]
; %bb.210:
	v_lshl_add_u32 v4, v52, 2, v51
	ds_read_b32 v14, v4
; %bb.211:
	s_or_b64 exec, exec, s[12:13]
	v_cmp_ge_u32_e64 s[20:21], v54, v50
	v_cmp_lt_u32_e64 s[12:13], v54, v50
                                        ; implicit-def: $vgpr15
	s_and_saveexec_b64 s[22:23], s[12:13]
; %bb.212:
	v_lshl_add_u32 v4, v54, 2, v11
	ds_read_b32 v15, v4
; %bb.213:
	s_or_b64 exec, exec, s[22:23]
	s_waitcnt lgkmcnt(0)
	v_cmp_le_i32_e64 s[12:13], v15, v14
	s_and_b64 s[8:9], s[8:9], s[12:13]
	s_or_b64 s[8:9], s[20:21], s[8:9]
	v_cndmask_b32_e64 v4, v54, v53, s[8:9]
	v_cndmask_b32_e64 v5, v50, v37, s[8:9]
	v_add_u32_e32 v8, 1, v4
	v_add_u32_e32 v5, -1, v5
	v_min_u32_e32 v5, v8, v5
	v_lshl_add_u32 v5, v5, 2, v11
	ds_read_b32 v5, v5
	v_cndmask_b32_e64 v9, v8, v54, s[8:9]
	v_cmp_ge_u32_e64 s[12:13], v9, v50
	v_lshl_add_u32 v4, v4, 3, v10
	s_waitcnt lgkmcnt(0)
	v_cndmask_b32_e64 v16, v5, v15, s[8:9]
	v_cndmask_b32_e64 v17, v14, v5, s[8:9]
	;; [unrolled: 1-line block ×3, first 2 shown]
	v_cmp_lt_u32_e64 s[20:21], v5, v37
	v_cmp_le_i32_e64 s[22:23], v16, v17
	s_and_b64 s[20:21], s[20:21], s[22:23]
	s_or_b64 s[20:21], s[12:13], s[20:21]
	v_cndmask_b32_e64 v8, v9, v5, s[20:21]
	v_cndmask_b32_e64 v18, v50, v37, s[20:21]
	v_add_u32_e32 v19, 1, v8
	v_add_u32_e32 v18, -1, v18
	v_min_u32_e32 v18, v19, v18
	v_lshl_add_u32 v18, v18, 2, v11
	ds_read_b32 v18, v18
	v_cndmask_b32_e64 v5, v5, v19, s[20:21]
	v_cndmask_b32_e64 v9, v19, v9, s[20:21]
	v_cmp_lt_u32_e64 s[22:23], v5, v37
	v_cmp_ge_u32_e64 s[12:13], v9, v50
	s_waitcnt lgkmcnt(0)
	v_cndmask_b32_e64 v24, v18, v16, s[20:21]
	v_cndmask_b32_e64 v25, v17, v18, s[20:21]
	v_cmp_le_i32_e64 s[24:25], v24, v25
	s_and_b64 s[22:23], s[22:23], s[24:25]
	s_or_b64 s[22:23], s[12:13], s[22:23]
	v_cndmask_b32_e64 v18, v9, v5, s[22:23]
	v_cndmask_b32_e64 v19, v50, v37, s[22:23]
	v_add_u32_e32 v20, 1, v18
	v_add_u32_e32 v19, -1, v19
	v_min_u32_e32 v19, v20, v19
	v_lshl_add_u32 v19, v19, 2, v11
	ds_read_b32 v19, v19
	v_lshl_add_u32 v8, v8, 3, v10
	v_lshl_add_u32 v18, v18, 3, v10
	v_cndmask_b32_e64 v14, v15, v14, s[8:9]
	v_cndmask_b32_e64 v15, v16, v17, s[20:21]
	s_waitcnt lgkmcnt(0)
	v_cndmask_b32_e64 v29, v19, v24, s[22:23]
	v_cndmask_b32_e64 v34, v25, v19, s[22:23]
	;; [unrolled: 1-line block ×4, first 2 shown]
	v_cmp_lt_u32_e64 s[24:25], v20, v37
	v_cmp_le_i32_e64 s[28:29], v29, v34
	v_cmp_ge_u32_e64 s[12:13], v19, v50
	s_and_b64 s[24:25], s[24:25], s[28:29]
	s_or_b64 s[12:13], s[12:13], s[24:25]
	v_cndmask_b32_e64 v21, v19, v20, s[12:13]
	v_cndmask_b32_e64 v5, v50, v37, s[12:13]
	v_add_u32_e32 v22, 1, v21
	v_add_u32_e32 v5, -1, v5
	v_min_u32_e32 v5, v22, v5
	v_lshl_add_u32 v5, v5, 2, v11
	ds_read_b32 v23, v5
	ds_read_b64 v[4:5], v4 offset:8192
	ds_read_b64 v[8:9], v8 offset:8192
	s_waitcnt lgkmcnt(2)
	v_cndmask_b32_e64 v51, v23, v29, s[12:13]
	v_cndmask_b32_e64 v52, v34, v23, s[12:13]
	;; [unrolled: 1-line block ×4, first 2 shown]
	v_cmp_lt_u32_e64 s[28:29], v22, v37
	v_cmp_le_i32_e64 s[40:41], v51, v52
	v_cmp_ge_u32_e64 s[24:25], v23, v50
	s_and_b64 s[28:29], s[28:29], s[40:41]
	s_or_b64 s[24:25], s[24:25], s[28:29]
	v_cndmask_b32_e64 v26, v23, v22, s[24:25]
	v_cndmask_b32_e64 v19, v50, v37, s[24:25]
	v_add_u32_e32 v27, 1, v26
	v_add_u32_e32 v19, -1, v19
	v_min_u32_e32 v19, v27, v19
	v_lshl_add_u32 v19, v19, 2, v11
	ds_read_b32 v28, v19
	v_cndmask_b32_e64 v22, v22, v27, s[24:25]
	v_cndmask_b32_e64 v23, v27, v23, s[24:25]
	v_cmp_lt_u32_e64 s[40:41], v22, v37
	v_cmp_ge_u32_e64 s[28:29], v23, v50
	s_waitcnt lgkmcnt(0)
	v_cndmask_b32_e64 v53, v28, v51, s[24:25]
	v_cndmask_b32_e64 v54, v52, v28, s[24:25]
	v_cmp_le_i32_e64 s[42:43], v53, v54
	s_and_b64 s[40:41], s[40:41], s[42:43]
	s_or_b64 s[28:29], s[28:29], s[40:41]
	v_cndmask_b32_e64 v28, v23, v22, s[28:29]
	v_cndmask_b32_e64 v27, v50, v37, s[28:29]
	v_add_u32_e32 v35, 1, v28
	v_add_u32_e32 v27, -1, v27
	v_min_u32_e32 v27, v35, v27
	v_lshl_add_u32 v27, v27, 2, v11
	ds_read_b32 v55, v27
	v_cndmask_b32_e64 v65, v35, v23, s[28:29]
	v_cndmask_b32_e64 v35, v22, v35, s[28:29]
	v_cmp_lt_u32_e64 s[42:43], v35, v37
	v_cmp_ge_u32_e64 s[40:41], v65, v50
	s_waitcnt lgkmcnt(0)
	v_cndmask_b32_e64 v64, v55, v53, s[28:29]
	v_cndmask_b32_e64 v55, v54, v55, s[28:29]
	v_cmp_le_i32_e64 s[44:45], v64, v55
	s_and_b64 s[42:43], s[42:43], s[44:45]
	s_or_b64 s[40:41], s[40:41], s[42:43]
	v_lshl_add_u32 v26, v26, 3, v10
	v_lshl_add_u32 v28, v28, 3, v10
	v_cndmask_b32_e64 v22, v65, v35, s[40:41]
	v_cndmask_b32_e64 v23, v50, v37, s[40:41]
	ds_read_b64 v[26:27], v26 offset:8192
	ds_read_b64 v[32:33], v28 offset:8192
	v_lshl_add_u32 v28, v22, 3, v10
	v_add_u32_e32 v66, 1, v22
	v_add_u32_e32 v22, -1, v23
	v_min_u32_e32 v22, v66, v22
	v_lshl_add_u32 v20, v21, 3, v10
	v_lshl_add_u32 v67, v22, 2, v11
	ds_read_b64 v[18:19], v18 offset:8192
	ds_read_b64 v[20:21], v20 offset:8192
	;; [unrolled: 1-line block ×3, first 2 shown]
	ds_read_b32 v67, v67
	v_cndmask_b32_e64 v28, v24, v25, s[22:23]
	v_cndmask_b32_e64 v24, v35, v66, s[40:41]
	;; [unrolled: 1-line block ×4, first 2 shown]
	s_waitcnt lgkmcnt(0)
	v_cndmask_b32_e64 v17, v67, v64, s[40:41]
	v_cndmask_b32_e64 v67, v55, v67, s[40:41]
	v_cmp_lt_u32_e64 s[12:13], v24, v37
	v_cmp_le_i32_e64 s[20:21], v17, v67
	v_cmp_ge_u32_e64 s[8:9], v16, v50
	s_and_b64 s[12:13], s[12:13], s[20:21]
	s_or_b64 s[8:9], s[8:9], s[12:13]
	v_cndmask_b32_e64 v16, v16, v24, s[8:9]
	v_lshl_add_u32 v16, v16, 3, v10
	ds_read_b64 v[34:35], v16 offset:8192
	v_cndmask_b32_e64 v24, v51, v52, s[24:25]
	v_cndmask_b32_e64 v25, v53, v54, s[28:29]
	;; [unrolled: 1-line block ×4, first 2 shown]
.LBB511_214:
	s_or_b64 exec, exec, s[56:57]
	v_add_u32_e32 v37, 0x2000, v36
	; wave barrier
	ds_write2_b64 v37, v[4:5], v[8:9] offset1:1
	v_add_u32_e32 v37, 0x2010, v36
	ds_write2_b64 v31, v[14:15], v[28:29] offset1:1
	ds_write2_b64 v37, v[18:19], v[20:21] offset1:1
	v_add_u32_e32 v37, 0x2020, v36
	v_and_b32_e32 v48, 0x380, v48
	ds_write2_b64 v37, v[26:27], v[32:33] offset1:1
	v_add_u32_e32 v36, 0x2030, v36
	ds_write2_b64 v31, v[24:25], v[16:17] offset0:2 offset1:3
	s_waitcnt lgkmcnt(5)
	ds_write2_b64 v36, v[22:23], v[34:35] offset1:1
	v_or_b32_e32 v31, 64, v48
	v_min_u32_e32 v31, v30, v31
	v_add_u32_e32 v36, 64, v31
	v_min_u32_e32 v36, v30, v36
	v_min_u32_e32 v49, v30, v49
	v_sub_u32_e32 v50, v31, v48
	v_sub_u32_e32 v37, v36, v31
	v_sub_u32_e64 v37, v49, v37 clamp
	v_min_u32_e32 v50, v49, v50
	v_lshl_add_u32 v30, v48, 2, v11
	v_cmp_lt_u32_e64 s[8:9], v37, v50
	; wave barrier
	s_and_saveexec_b64 s[12:13], s[8:9]
	s_cbranch_execz .LBB511_218
; %bb.215:
	v_lshlrev_b32_e32 v51, 2, v31
	v_lshlrev_b32_e32 v52, 2, v49
	v_add3_u32 v51, v11, v51, v52
	s_mov_b64 s[20:21], 0
.LBB511_216:                            ; =>This Inner Loop Header: Depth=1
	v_add_u32_e32 v52, v50, v37
	v_lshrrev_b32_e32 v52, 1, v52
	v_not_b32_e32 v53, v52
	v_lshl_add_u32 v54, v52, 2, v30
	v_lshl_add_u32 v53, v53, 2, v51
	ds_read_b32 v54, v54
	ds_read_b32 v53, v53
	v_add_u32_e32 v55, 1, v52
	s_waitcnt lgkmcnt(0)
	v_cmp_gt_i32_e64 s[8:9], v53, v54
	v_cndmask_b32_e64 v50, v50, v52, s[8:9]
	v_cndmask_b32_e64 v37, v55, v37, s[8:9]
	v_cmp_ge_u32_e64 s[8:9], v37, v50
	s_or_b64 s[20:21], s[8:9], s[20:21]
	s_andn2_b64 exec, exec, s[20:21]
	s_cbranch_execnz .LBB511_216
; %bb.217:
	s_or_b64 exec, exec, s[20:21]
.LBB511_218:
	s_or_b64 exec, exec, s[12:13]
	v_add_u32_e32 v49, v31, v49
	v_add_u32_e32 v48, v37, v48
	v_sub_u32_e32 v49, v49, v37
	v_cmp_le_u32_e64 s[8:9], v48, v31
	v_cmp_le_u32_e64 s[12:13], v49, v36
	s_or_b64 s[8:9], s[8:9], s[12:13]
	s_and_saveexec_b64 s[56:57], s[8:9]
	s_cbranch_execz .LBB511_224
; %bb.219:
	v_cmp_lt_u32_e64 s[8:9], v48, v31
                                        ; implicit-def: $vgpr14
	s_and_saveexec_b64 s[12:13], s[8:9]
; %bb.220:
	v_lshl_add_u32 v4, v37, 2, v30
	ds_read_b32 v14, v4
; %bb.221:
	s_or_b64 exec, exec, s[12:13]
	v_cmp_ge_u32_e64 s[20:21], v49, v36
	v_cmp_lt_u32_e64 s[12:13], v49, v36
                                        ; implicit-def: $vgpr15
	s_and_saveexec_b64 s[22:23], s[12:13]
; %bb.222:
	v_lshl_add_u32 v4, v49, 2, v11
	ds_read_b32 v15, v4
; %bb.223:
	s_or_b64 exec, exec, s[22:23]
	s_waitcnt lgkmcnt(0)
	v_cmp_le_i32_e64 s[12:13], v15, v14
	s_and_b64 s[8:9], s[8:9], s[12:13]
	s_or_b64 s[8:9], s[20:21], s[8:9]
	v_cndmask_b32_e64 v4, v49, v48, s[8:9]
	v_cndmask_b32_e64 v5, v36, v31, s[8:9]
	v_add_u32_e32 v8, 1, v4
	v_add_u32_e32 v5, -1, v5
	v_min_u32_e32 v5, v8, v5
	v_lshl_add_u32 v5, v5, 2, v11
	ds_read_b32 v5, v5
	v_cndmask_b32_e64 v9, v8, v49, s[8:9]
	v_cmp_ge_u32_e64 s[12:13], v9, v36
	v_lshl_add_u32 v4, v4, 3, v10
	s_waitcnt lgkmcnt(0)
	v_cndmask_b32_e64 v16, v5, v15, s[8:9]
	v_cndmask_b32_e64 v17, v14, v5, s[8:9]
	v_cndmask_b32_e64 v5, v48, v8, s[8:9]
	v_cmp_lt_u32_e64 s[20:21], v5, v31
	v_cmp_le_i32_e64 s[22:23], v16, v17
	s_and_b64 s[20:21], s[20:21], s[22:23]
	s_or_b64 s[20:21], s[12:13], s[20:21]
	v_cndmask_b32_e64 v8, v9, v5, s[20:21]
	v_cndmask_b32_e64 v18, v36, v31, s[20:21]
	v_add_u32_e32 v19, 1, v8
	v_add_u32_e32 v18, -1, v18
	v_min_u32_e32 v18, v19, v18
	v_lshl_add_u32 v18, v18, 2, v11
	ds_read_b32 v18, v18
	v_cndmask_b32_e64 v5, v5, v19, s[20:21]
	v_cndmask_b32_e64 v9, v19, v9, s[20:21]
	v_cmp_lt_u32_e64 s[22:23], v5, v31
	v_cmp_ge_u32_e64 s[12:13], v9, v36
	s_waitcnt lgkmcnt(0)
	v_cndmask_b32_e64 v24, v18, v16, s[20:21]
	v_cndmask_b32_e64 v25, v17, v18, s[20:21]
	v_cmp_le_i32_e64 s[24:25], v24, v25
	s_and_b64 s[22:23], s[22:23], s[24:25]
	s_or_b64 s[22:23], s[12:13], s[22:23]
	v_cndmask_b32_e64 v18, v9, v5, s[22:23]
	v_cndmask_b32_e64 v19, v36, v31, s[22:23]
	v_add_u32_e32 v20, 1, v18
	v_add_u32_e32 v19, -1, v19
	v_min_u32_e32 v19, v20, v19
	v_lshl_add_u32 v19, v19, 2, v11
	ds_read_b32 v19, v19
	v_lshl_add_u32 v8, v8, 3, v10
	v_lshl_add_u32 v18, v18, 3, v10
	v_cndmask_b32_e64 v14, v15, v14, s[8:9]
	v_cndmask_b32_e64 v15, v16, v17, s[20:21]
	s_waitcnt lgkmcnt(0)
	v_cndmask_b32_e64 v29, v19, v24, s[22:23]
	v_cndmask_b32_e64 v30, v25, v19, s[22:23]
	;; [unrolled: 1-line block ×4, first 2 shown]
	v_cmp_lt_u32_e64 s[24:25], v20, v31
	v_cmp_le_i32_e64 s[28:29], v29, v30
	v_cmp_ge_u32_e64 s[12:13], v19, v36
	s_and_b64 s[24:25], s[24:25], s[28:29]
	s_or_b64 s[12:13], s[12:13], s[24:25]
	v_cndmask_b32_e64 v21, v19, v20, s[12:13]
	v_cndmask_b32_e64 v5, v36, v31, s[12:13]
	v_add_u32_e32 v22, 1, v21
	v_add_u32_e32 v5, -1, v5
	v_min_u32_e32 v5, v22, v5
	v_lshl_add_u32 v5, v5, 2, v11
	ds_read_b32 v23, v5
	ds_read_b64 v[4:5], v4 offset:8192
	ds_read_b64 v[8:9], v8 offset:8192
	s_waitcnt lgkmcnt(2)
	v_cndmask_b32_e64 v37, v23, v29, s[12:13]
	v_cndmask_b32_e64 v48, v30, v23, s[12:13]
	v_cndmask_b32_e64 v23, v22, v19, s[12:13]
	v_cndmask_b32_e64 v22, v20, v22, s[12:13]
	v_cmp_lt_u32_e64 s[28:29], v22, v31
	v_cmp_le_i32_e64 s[40:41], v37, v48
	v_cmp_ge_u32_e64 s[24:25], v23, v36
	s_and_b64 s[28:29], s[28:29], s[40:41]
	s_or_b64 s[24:25], s[24:25], s[28:29]
	v_cndmask_b32_e64 v26, v23, v22, s[24:25]
	v_cndmask_b32_e64 v19, v36, v31, s[24:25]
	v_add_u32_e32 v27, 1, v26
	v_add_u32_e32 v19, -1, v19
	v_min_u32_e32 v19, v27, v19
	v_lshl_add_u32 v19, v19, 2, v11
	ds_read_b32 v28, v19
	v_cndmask_b32_e64 v22, v22, v27, s[24:25]
	v_cndmask_b32_e64 v23, v27, v23, s[24:25]
	v_cmp_lt_u32_e64 s[40:41], v22, v31
	v_cmp_ge_u32_e64 s[28:29], v23, v36
	s_waitcnt lgkmcnt(0)
	v_cndmask_b32_e64 v49, v28, v37, s[24:25]
	v_cndmask_b32_e64 v50, v48, v28, s[24:25]
	v_cmp_le_i32_e64 s[42:43], v49, v50
	s_and_b64 s[40:41], s[40:41], s[42:43]
	s_or_b64 s[28:29], s[28:29], s[40:41]
	v_cndmask_b32_e64 v28, v23, v22, s[28:29]
	v_cndmask_b32_e64 v27, v36, v31, s[28:29]
	v_add_u32_e32 v34, 1, v28
	v_add_u32_e32 v27, -1, v27
	v_min_u32_e32 v27, v34, v27
	v_lshl_add_u32 v27, v27, 2, v11
	ds_read_b32 v35, v27
	v_lshl_add_u32 v26, v26, 3, v10
	v_lshl_add_u32 v28, v28, 3, v10
	ds_read_b64 v[26:27], v26 offset:8192
	ds_read_b64 v[32:33], v28 offset:8192
	s_waitcnt lgkmcnt(2)
	v_cndmask_b32_e64 v51, v35, v49, s[28:29]
	v_cndmask_b32_e64 v52, v50, v35, s[28:29]
	;; [unrolled: 1-line block ×4, first 2 shown]
	v_cmp_lt_u32_e64 s[42:43], v34, v31
	v_cmp_le_i32_e64 s[44:45], v51, v52
	v_cmp_ge_u32_e64 s[40:41], v35, v36
	s_and_b64 s[42:43], s[42:43], s[44:45]
	s_or_b64 s[40:41], s[40:41], s[42:43]
	v_cndmask_b32_e64 v22, v35, v34, s[40:41]
	v_cndmask_b32_e64 v23, v36, v31, s[40:41]
	v_lshl_add_u32 v28, v22, 3, v10
	v_add_u32_e32 v53, 1, v22
	v_add_u32_e32 v22, -1, v23
	v_min_u32_e32 v22, v53, v22
	v_lshl_add_u32 v20, v21, 3, v10
	v_lshl_add_u32 v11, v22, 2, v11
	ds_read_b64 v[18:19], v18 offset:8192
	ds_read_b64 v[20:21], v20 offset:8192
	;; [unrolled: 1-line block ×3, first 2 shown]
	ds_read_b32 v11, v11
	v_cndmask_b32_e64 v28, v24, v25, s[22:23]
	v_cndmask_b32_e64 v24, v34, v53, s[40:41]
	;; [unrolled: 1-line block ×4, first 2 shown]
	s_waitcnt lgkmcnt(0)
	v_cndmask_b32_e64 v17, v11, v51, s[40:41]
	v_cndmask_b32_e64 v11, v52, v11, s[40:41]
	v_cmp_lt_u32_e64 s[12:13], v24, v31
	v_cmp_le_i32_e64 s[20:21], v17, v11
	v_cmp_ge_u32_e64 s[8:9], v16, v36
	s_and_b64 s[12:13], s[12:13], s[20:21]
	s_or_b64 s[8:9], s[8:9], s[12:13]
	v_cndmask_b32_e64 v16, v16, v24, s[8:9]
	v_lshl_add_u32 v10, v16, 3, v10
	ds_read_b64 v[34:35], v10 offset:8192
	v_cndmask_b32_e64 v24, v37, v48, s[24:25]
	v_cndmask_b32_e64 v25, v49, v50, s[28:29]
	;; [unrolled: 1-line block ×4, first 2 shown]
.LBB511_224:
	s_or_b64 exec, exec, s[56:57]
	; wave barrier
	s_waitcnt lgkmcnt(0)
	s_barrier
.LBB511_225:
	s_or_b64 exec, exec, s[46:47]
	v_add_co_u32_e64 v2, s[8:9], v2, v12
	v_addc_co_u32_e64 v3, s[8:9], v3, v13, s[8:9]
	v_add_co_u32_e64 v2, s[8:9], v2, v38
	v_addc_co_u32_e64 v3, s[8:9], 0, v3, s[8:9]
	s_waitcnt lgkmcnt(0)
	; wave barrier
	s_and_saveexec_b64 s[8:9], vcc
	s_cbranch_execnz .LBB511_250
; %bb.226:
	s_or_b64 exec, exec, s[8:9]
	s_and_saveexec_b64 s[8:9], s[4:5]
	s_cbranch_execnz .LBB511_251
.LBB511_227:
	s_or_b64 exec, exec, s[8:9]
	s_and_saveexec_b64 s[8:9], s[6:7]
	s_cbranch_execnz .LBB511_252
.LBB511_228:
	s_or_b64 exec, exec, s[8:9]
	s_and_saveexec_b64 s[8:9], s[18:19]
	s_cbranch_execnz .LBB511_253
.LBB511_229:
	s_or_b64 exec, exec, s[8:9]
	s_and_saveexec_b64 s[8:9], s[10:11]
	s_cbranch_execnz .LBB511_254
.LBB511_230:
	s_or_b64 exec, exec, s[8:9]
	s_and_saveexec_b64 s[8:9], s[26:27]
	s_cbranch_execnz .LBB511_255
.LBB511_231:
	s_or_b64 exec, exec, s[8:9]
	s_and_saveexec_b64 s[8:9], s[14:15]
	s_cbranch_execnz .LBB511_256
.LBB511_232:
	s_or_b64 exec, exec, s[8:9]
	s_and_saveexec_b64 s[8:9], s[16:17]
	s_cbranch_execz .LBB511_234
.LBB511_233:
	s_waitcnt vmcnt(0)
	flat_store_dword v[2:3], v17 offset:28
.LBB511_234:
	s_or_b64 exec, exec, s[8:9]
	v_add_co_u32_e64 v0, s[8:9], v6, v0
	v_addc_co_u32_e64 v1, s[8:9], v7, v1, s[8:9]
	v_add_co_u32_e64 v0, s[8:9], v0, v39
	v_addc_co_u32_e64 v1, s[8:9], 0, v1, s[8:9]
	; wave barrier
	s_and_saveexec_b64 s[8:9], vcc
	s_cbranch_execnz .LBB511_257
; %bb.235:
	s_or_b64 exec, exec, s[8:9]
	s_and_saveexec_b64 s[8:9], s[4:5]
	s_cbranch_execnz .LBB511_258
.LBB511_236:
	s_or_b64 exec, exec, s[8:9]
	s_and_saveexec_b64 s[4:5], s[6:7]
	s_cbranch_execnz .LBB511_259
.LBB511_237:
	s_or_b64 exec, exec, s[4:5]
	s_and_saveexec_b64 s[4:5], s[18:19]
	s_cbranch_execnz .LBB511_260
.LBB511_238:
	s_or_b64 exec, exec, s[4:5]
	s_and_saveexec_b64 s[4:5], s[10:11]
	s_cbranch_execnz .LBB511_261
.LBB511_239:
	s_or_b64 exec, exec, s[4:5]
	s_and_saveexec_b64 s[4:5], s[26:27]
	s_cbranch_execnz .LBB511_262
.LBB511_240:
	s_or_b64 exec, exec, s[4:5]
	s_and_saveexec_b64 s[4:5], s[14:15]
	s_cbranch_execnz .LBB511_263
.LBB511_241:
	s_or_b64 exec, exec, s[4:5]
	s_and_saveexec_b64 s[4:5], s[16:17]
	s_cbranch_execnz .LBB511_264
.LBB511_242:
	s_or_b64 exec, exec, s[4:5]
	s_waitcnt vmcnt(0) lgkmcnt(0)
	s_setpc_b64 s[30:31]
.LBB511_243:
	flat_load_dwordx2 v[4:5], v[36:37]
	s_or_b64 exec, exec, s[20:21]
	s_and_saveexec_b64 s[20:21], s[4:5]
                                        ; implicit-def: $vgpr8_vgpr9
	s_cbranch_execz .LBB511_18
.LBB511_244:
	flat_load_dwordx2 v[8:9], v[36:37] offset:8
	s_or_b64 exec, exec, s[20:21]
                                        ; implicit-def: $vgpr18_vgpr19
	s_and_saveexec_b64 s[20:21], s[6:7]
	s_cbranch_execz .LBB511_19
.LBB511_245:
	flat_load_dwordx2 v[18:19], v[36:37] offset:16
	s_or_b64 exec, exec, s[20:21]
	s_and_saveexec_b64 s[20:21], s[18:19]
                                        ; implicit-def: $vgpr20_vgpr21
	s_cbranch_execz .LBB511_20
.LBB511_246:
	flat_load_dwordx2 v[20:21], v[36:37] offset:24
	s_or_b64 exec, exec, s[20:21]
                                        ; implicit-def: $vgpr26_vgpr27
	s_and_saveexec_b64 s[20:21], s[10:11]
	s_cbranch_execz .LBB511_21
.LBB511_247:
	flat_load_dwordx2 v[26:27], v[36:37] offset:32
	s_or_b64 exec, exec, s[20:21]
	s_and_saveexec_b64 s[20:21], s[26:27]
                                        ; implicit-def: $vgpr32_vgpr33
	s_cbranch_execz .LBB511_22
.LBB511_248:
	flat_load_dwordx2 v[32:33], v[36:37] offset:40
	s_or_b64 exec, exec, s[20:21]
                                        ; implicit-def: $vgpr22_vgpr23
	s_and_saveexec_b64 s[20:21], s[14:15]
	s_cbranch_execz .LBB511_23
.LBB511_249:
	flat_load_dwordx2 v[22:23], v[36:37] offset:48
	s_or_b64 exec, exec, s[20:21]
	s_and_saveexec_b64 s[20:21], s[16:17]
                                        ; implicit-def: $vgpr34_vgpr35
	s_cbranch_execnz .LBB511_24
	s_branch .LBB511_25
.LBB511_250:
	s_waitcnt vmcnt(0)
	flat_store_dword v[2:3], v14
	s_or_b64 exec, exec, s[8:9]
	s_and_saveexec_b64 s[8:9], s[4:5]
	s_cbranch_execz .LBB511_227
.LBB511_251:
	s_waitcnt vmcnt(0)
	flat_store_dword v[2:3], v15 offset:4
	s_or_b64 exec, exec, s[8:9]
	s_and_saveexec_b64 s[8:9], s[6:7]
	s_cbranch_execz .LBB511_228
.LBB511_252:
	s_waitcnt vmcnt(0)
	flat_store_dword v[2:3], v28 offset:8
	s_or_b64 exec, exec, s[8:9]
	s_and_saveexec_b64 s[8:9], s[18:19]
	s_cbranch_execz .LBB511_229
.LBB511_253:
	s_waitcnt vmcnt(0)
	flat_store_dword v[2:3], v29 offset:12
	s_or_b64 exec, exec, s[8:9]
	s_and_saveexec_b64 s[8:9], s[10:11]
	s_cbranch_execz .LBB511_230
.LBB511_254:
	s_waitcnt vmcnt(0)
	flat_store_dword v[2:3], v24 offset:16
	s_or_b64 exec, exec, s[8:9]
	s_and_saveexec_b64 s[8:9], s[26:27]
	s_cbranch_execz .LBB511_231
.LBB511_255:
	s_waitcnt vmcnt(0)
	flat_store_dword v[2:3], v25 offset:20
	s_or_b64 exec, exec, s[8:9]
	s_and_saveexec_b64 s[8:9], s[14:15]
	s_cbranch_execz .LBB511_232
.LBB511_256:
	s_waitcnt vmcnt(0)
	flat_store_dword v[2:3], v16 offset:24
	s_or_b64 exec, exec, s[8:9]
	s_and_saveexec_b64 s[8:9], s[16:17]
	s_cbranch_execnz .LBB511_233
	s_branch .LBB511_234
.LBB511_257:
	s_waitcnt vmcnt(0)
	flat_store_dwordx2 v[0:1], v[4:5]
	s_or_b64 exec, exec, s[8:9]
	s_and_saveexec_b64 s[8:9], s[4:5]
	s_cbranch_execz .LBB511_236
.LBB511_258:
	s_waitcnt vmcnt(0)
	flat_store_dwordx2 v[0:1], v[8:9] offset:8
	s_or_b64 exec, exec, s[8:9]
	s_and_saveexec_b64 s[4:5], s[6:7]
	s_cbranch_execz .LBB511_237
.LBB511_259:
	s_waitcnt vmcnt(0)
	flat_store_dwordx2 v[0:1], v[18:19] offset:16
	s_or_b64 exec, exec, s[4:5]
	s_and_saveexec_b64 s[4:5], s[18:19]
	s_cbranch_execz .LBB511_238
.LBB511_260:
	s_waitcnt vmcnt(0)
	flat_store_dwordx2 v[0:1], v[20:21] offset:24
	s_or_b64 exec, exec, s[4:5]
	s_and_saveexec_b64 s[4:5], s[10:11]
	s_cbranch_execz .LBB511_239
.LBB511_261:
	s_waitcnt vmcnt(0)
	flat_store_dwordx2 v[0:1], v[26:27] offset:32
	s_or_b64 exec, exec, s[4:5]
	s_and_saveexec_b64 s[4:5], s[26:27]
	s_cbranch_execz .LBB511_240
.LBB511_262:
	s_waitcnt vmcnt(0)
	flat_store_dwordx2 v[0:1], v[32:33] offset:40
	s_or_b64 exec, exec, s[4:5]
	s_and_saveexec_b64 s[4:5], s[14:15]
	s_cbranch_execz .LBB511_241
.LBB511_263:
	s_waitcnt vmcnt(0)
	flat_store_dwordx2 v[0:1], v[22:23] offset:48
	s_or_b64 exec, exec, s[4:5]
	s_and_saveexec_b64 s[4:5], s[16:17]
	s_cbranch_execz .LBB511_242
.LBB511_264:
	s_waitcnt vmcnt(0)
	flat_store_dwordx2 v[0:1], v[34:35] offset:56
	s_or_b64 exec, exec, s[4:5]
	s_waitcnt vmcnt(0) lgkmcnt(0)
	s_setpc_b64 s[30:31]
.Lfunc_end511:
	.size	_ZN7rocprim17ROCPRIM_400000_NS6detail26segmented_warp_sort_helperINS1_20WarpSortHelperConfigILj16ELj8ELj256EEEilLi256ELb1EvE4sortIPKiPiPKlPlEEvT_T0_T1_T2_jjjjRNS5_12storage_typeE, .Lfunc_end511-_ZN7rocprim17ROCPRIM_400000_NS6detail26segmented_warp_sort_helperINS1_20WarpSortHelperConfigILj16ELj8ELj256EEEilLi256ELb1EvE4sortIPKiPiPKlPlEEvT_T0_T1_T2_jjjjRNS5_12storage_typeE
                                        ; -- End function
	.set .L_ZN7rocprim17ROCPRIM_400000_NS6detail26segmented_warp_sort_helperINS1_20WarpSortHelperConfigILj16ELj8ELj256EEEilLi256ELb1EvE4sortIPKiPiPKlPlEEvT_T0_T1_T2_jjjjRNS5_12storage_typeE.num_vgpr, 70
	.set .L_ZN7rocprim17ROCPRIM_400000_NS6detail26segmented_warp_sort_helperINS1_20WarpSortHelperConfigILj16ELj8ELj256EEEilLi256ELb1EvE4sortIPKiPiPKlPlEEvT_T0_T1_T2_jjjjRNS5_12storage_typeE.num_agpr, 0
	.set .L_ZN7rocprim17ROCPRIM_400000_NS6detail26segmented_warp_sort_helperINS1_20WarpSortHelperConfigILj16ELj8ELj256EEEilLi256ELb1EvE4sortIPKiPiPKlPlEEvT_T0_T1_T2_jjjjRNS5_12storage_typeE.numbered_sgpr, 62
	.set .L_ZN7rocprim17ROCPRIM_400000_NS6detail26segmented_warp_sort_helperINS1_20WarpSortHelperConfigILj16ELj8ELj256EEEilLi256ELb1EvE4sortIPKiPiPKlPlEEvT_T0_T1_T2_jjjjRNS5_12storage_typeE.num_named_barrier, 0
	.set .L_ZN7rocprim17ROCPRIM_400000_NS6detail26segmented_warp_sort_helperINS1_20WarpSortHelperConfigILj16ELj8ELj256EEEilLi256ELb1EvE4sortIPKiPiPKlPlEEvT_T0_T1_T2_jjjjRNS5_12storage_typeE.private_seg_size, 0
	.set .L_ZN7rocprim17ROCPRIM_400000_NS6detail26segmented_warp_sort_helperINS1_20WarpSortHelperConfigILj16ELj8ELj256EEEilLi256ELb1EvE4sortIPKiPiPKlPlEEvT_T0_T1_T2_jjjjRNS5_12storage_typeE.uses_vcc, 1
	.set .L_ZN7rocprim17ROCPRIM_400000_NS6detail26segmented_warp_sort_helperINS1_20WarpSortHelperConfigILj16ELj8ELj256EEEilLi256ELb1EvE4sortIPKiPiPKlPlEEvT_T0_T1_T2_jjjjRNS5_12storage_typeE.uses_flat_scratch, 0
	.set .L_ZN7rocprim17ROCPRIM_400000_NS6detail26segmented_warp_sort_helperINS1_20WarpSortHelperConfigILj16ELj8ELj256EEEilLi256ELb1EvE4sortIPKiPiPKlPlEEvT_T0_T1_T2_jjjjRNS5_12storage_typeE.has_dyn_sized_stack, 0
	.set .L_ZN7rocprim17ROCPRIM_400000_NS6detail26segmented_warp_sort_helperINS1_20WarpSortHelperConfigILj16ELj8ELj256EEEilLi256ELb1EvE4sortIPKiPiPKlPlEEvT_T0_T1_T2_jjjjRNS5_12storage_typeE.has_recursion, 0
	.set .L_ZN7rocprim17ROCPRIM_400000_NS6detail26segmented_warp_sort_helperINS1_20WarpSortHelperConfigILj16ELj8ELj256EEEilLi256ELb1EvE4sortIPKiPiPKlPlEEvT_T0_T1_T2_jjjjRNS5_12storage_typeE.has_indirect_call, 0
	.section	.AMDGPU.csdata,"",@progbits
; Function info:
; codeLenInByte = 16380
; TotalNumSgprs: 66
; NumVgprs: 70
; ScratchSize: 0
; MemoryBound: 0
	.section	.text._ZN7rocprim17ROCPRIM_400000_NS6detail17trampoline_kernelINS0_14default_configENS1_36segmented_radix_sort_config_selectorIilEEZNS1_25segmented_radix_sort_implIS3_Lb1EPKiPiPKlPlN2at6native12_GLOBAL__N_18offset_tEEE10hipError_tPvRmT1_PNSt15iterator_traitsISK_E10value_typeET2_T3_PNSL_ISQ_E10value_typeET4_jRbjT5_SW_jjP12ihipStream_tbEUlT_E0_NS1_11comp_targetILNS1_3genE2ELNS1_11target_archE906ELNS1_3gpuE6ELNS1_3repE0EEENS1_60segmented_radix_sort_warp_sort_medium_config_static_selectorELNS0_4arch9wavefront6targetE1EEEvSK_,"axG",@progbits,_ZN7rocprim17ROCPRIM_400000_NS6detail17trampoline_kernelINS0_14default_configENS1_36segmented_radix_sort_config_selectorIilEEZNS1_25segmented_radix_sort_implIS3_Lb1EPKiPiPKlPlN2at6native12_GLOBAL__N_18offset_tEEE10hipError_tPvRmT1_PNSt15iterator_traitsISK_E10value_typeET2_T3_PNSL_ISQ_E10value_typeET4_jRbjT5_SW_jjP12ihipStream_tbEUlT_E0_NS1_11comp_targetILNS1_3genE2ELNS1_11target_archE906ELNS1_3gpuE6ELNS1_3repE0EEENS1_60segmented_radix_sort_warp_sort_medium_config_static_selectorELNS0_4arch9wavefront6targetE1EEEvSK_,comdat
	.globl	_ZN7rocprim17ROCPRIM_400000_NS6detail17trampoline_kernelINS0_14default_configENS1_36segmented_radix_sort_config_selectorIilEEZNS1_25segmented_radix_sort_implIS3_Lb1EPKiPiPKlPlN2at6native12_GLOBAL__N_18offset_tEEE10hipError_tPvRmT1_PNSt15iterator_traitsISK_E10value_typeET2_T3_PNSL_ISQ_E10value_typeET4_jRbjT5_SW_jjP12ihipStream_tbEUlT_E0_NS1_11comp_targetILNS1_3genE2ELNS1_11target_archE906ELNS1_3gpuE6ELNS1_3repE0EEENS1_60segmented_radix_sort_warp_sort_medium_config_static_selectorELNS0_4arch9wavefront6targetE1EEEvSK_ ; -- Begin function _ZN7rocprim17ROCPRIM_400000_NS6detail17trampoline_kernelINS0_14default_configENS1_36segmented_radix_sort_config_selectorIilEEZNS1_25segmented_radix_sort_implIS3_Lb1EPKiPiPKlPlN2at6native12_GLOBAL__N_18offset_tEEE10hipError_tPvRmT1_PNSt15iterator_traitsISK_E10value_typeET2_T3_PNSL_ISQ_E10value_typeET4_jRbjT5_SW_jjP12ihipStream_tbEUlT_E0_NS1_11comp_targetILNS1_3genE2ELNS1_11target_archE906ELNS1_3gpuE6ELNS1_3repE0EEENS1_60segmented_radix_sort_warp_sort_medium_config_static_selectorELNS0_4arch9wavefront6targetE1EEEvSK_
	.p2align	8
	.type	_ZN7rocprim17ROCPRIM_400000_NS6detail17trampoline_kernelINS0_14default_configENS1_36segmented_radix_sort_config_selectorIilEEZNS1_25segmented_radix_sort_implIS3_Lb1EPKiPiPKlPlN2at6native12_GLOBAL__N_18offset_tEEE10hipError_tPvRmT1_PNSt15iterator_traitsISK_E10value_typeET2_T3_PNSL_ISQ_E10value_typeET4_jRbjT5_SW_jjP12ihipStream_tbEUlT_E0_NS1_11comp_targetILNS1_3genE2ELNS1_11target_archE906ELNS1_3gpuE6ELNS1_3repE0EEENS1_60segmented_radix_sort_warp_sort_medium_config_static_selectorELNS0_4arch9wavefront6targetE1EEEvSK_,@function
_ZN7rocprim17ROCPRIM_400000_NS6detail17trampoline_kernelINS0_14default_configENS1_36segmented_radix_sort_config_selectorIilEEZNS1_25segmented_radix_sort_implIS3_Lb1EPKiPiPKlPlN2at6native12_GLOBAL__N_18offset_tEEE10hipError_tPvRmT1_PNSt15iterator_traitsISK_E10value_typeET2_T3_PNSL_ISQ_E10value_typeET4_jRbjT5_SW_jjP12ihipStream_tbEUlT_E0_NS1_11comp_targetILNS1_3genE2ELNS1_11target_archE906ELNS1_3gpuE6ELNS1_3repE0EEENS1_60segmented_radix_sort_warp_sort_medium_config_static_selectorELNS0_4arch9wavefront6targetE1EEEvSK_: ; @_ZN7rocprim17ROCPRIM_400000_NS6detail17trampoline_kernelINS0_14default_configENS1_36segmented_radix_sort_config_selectorIilEEZNS1_25segmented_radix_sort_implIS3_Lb1EPKiPiPKlPlN2at6native12_GLOBAL__N_18offset_tEEE10hipError_tPvRmT1_PNSt15iterator_traitsISK_E10value_typeET2_T3_PNSL_ISQ_E10value_typeET4_jRbjT5_SW_jjP12ihipStream_tbEUlT_E0_NS1_11comp_targetILNS1_3genE2ELNS1_11target_archE906ELNS1_3gpuE6ELNS1_3repE0EEENS1_60segmented_radix_sort_warp_sort_medium_config_static_selectorELNS0_4arch9wavefront6targetE1EEEvSK_
; %bb.0:
	s_add_u32 s0, s0, s8
	s_load_dword s8, s[4:5], 0x64
	s_addc_u32 s1, s1, 0
	s_mov_b32 s32, 0
	s_waitcnt lgkmcnt(0)
	s_lshr_b32 s9, s8, 16
	s_and_b32 s8, s8, 0xffff
	v_mad_u32_u24 v3, v2, s9, v1
	v_mad_u64_u32 v[3:4], s[8:9], v3, s8, v[0:1]
	s_load_dword s8, s[4:5], 0x34
	v_lshrrev_b32_e32 v3, 4, v3
	v_lshl_add_u32 v3, s6, 4, v3
	s_waitcnt lgkmcnt(0)
	v_cmp_gt_u32_e32 vcc, s8, v3
	s_and_saveexec_b64 s[8:9], vcc
	s_cbranch_execz .LBB512_6
; %bb.1:
	s_load_dwordx2 s[12:13], s[4:5], 0x38
	s_load_dwordx4 s[8:11], s[4:5], 0x40
	v_mov_b32_e32 v4, 0
	v_lshlrev_b64 v[3:4], 2, v[3:4]
	s_waitcnt lgkmcnt(0)
	v_mov_b32_e32 v5, s13
	v_add_co_u32_e32 v3, vcc, s12, v3
	v_addc_co_u32_e32 v4, vcc, v5, v4, vcc
	global_load_dword v3, v[3:4], off
	s_waitcnt vmcnt(0)
	v_add_u32_e32 v4, s9, v3
	v_add_u32_e32 v3, s11, v3
	v_mul_lo_u32 v40, v4, s8
	v_mul_lo_u32 v41, v3, s10
	v_cmp_gt_u32_e32 vcc, v41, v40
	s_and_b64 exec, exec, vcc
	s_cbranch_execz .LBB512_6
; %bb.2:
	s_load_dword s10, s[4:5], 0x30
	s_load_dwordx4 s[36:39], s[4:5], 0x20
	s_load_dwordx8 s[48:55], s[4:5], 0x0
	s_load_dwordx2 s[34:35], s[4:5], 0x50
	s_mov_b64 s[8:9], -1
	s_waitcnt lgkmcnt(0)
	s_bitcmp0_b32 s10, 0
	v_lshlrev_b32_e32 v43, 20, v2
	v_lshlrev_b32_e32 v44, 10, v1
	s_cbranch_scc0 .LBB512_4
; %bb.3:
	s_add_u32 s8, s4, 0x58
	s_addc_u32 s9, s5, 0
	s_getpc_b64 s[10:11]
	s_add_u32 s10, s10, _ZN7rocprim17ROCPRIM_400000_NS6detail26segmented_warp_sort_helperINS1_20WarpSortHelperConfigILj16ELj8ELj256EEEilLi256ELb1EvE4sortIPKiPiPKlPlEEvT_T0_T1_T2_jjjjRNS5_12storage_typeE@rel32@lo+4
	s_addc_u32 s11, s11, _ZN7rocprim17ROCPRIM_400000_NS6detail26segmented_warp_sort_helperINS1_20WarpSortHelperConfigILj16ELj8ELj256EEEilLi256ELb1EvE4sortIPKiPiPKlPlEEvT_T0_T1_T2_jjjjRNS5_12storage_typeE@rel32@hi+12
	v_or3_b32 v31, v0, v44, v43
	s_mov_b32 s12, s6
	s_mov_b32 s13, s7
	v_mov_b32_e32 v42, v0
	v_mov_b32_e32 v0, s48
	;; [unrolled: 1-line block ×13, first 2 shown]
	s_mov_b64 s[36:37], s[4:5]
	s_mov_b32 s50, s7
	s_mov_b32 s33, s6
	s_swappc_b64 s[30:31], s[10:11]
	v_mov_b32_e32 v0, v42
	s_mov_b32 s6, s33
	s_mov_b32 s7, s50
	s_mov_b64 s[4:5], s[36:37]
	s_mov_b64 s[8:9], 0
.LBB512_4:
	s_andn2_b64 vcc, exec, s[8:9]
	s_cbranch_vccnz .LBB512_6
; %bb.5:
	s_add_u32 s8, s4, 0x58
	s_addc_u32 s9, s5, 0
	s_getpc_b64 s[4:5]
	s_add_u32 s4, s4, _ZN7rocprim17ROCPRIM_400000_NS6detail26segmented_warp_sort_helperINS1_20WarpSortHelperConfigILj16ELj8ELj256EEEilLi256ELb1EvE4sortIPKiPiPKlPlEEvT_T0_T1_T2_jjjjRNS5_12storage_typeE@rel32@lo+4
	s_addc_u32 s5, s5, _ZN7rocprim17ROCPRIM_400000_NS6detail26segmented_warp_sort_helperINS1_20WarpSortHelperConfigILj16ELj8ELj256EEEilLi256ELb1EvE4sortIPKiPiPKlPlEEvT_T0_T1_T2_jjjjRNS5_12storage_typeE@rel32@hi+12
	v_or3_b32 v31, v0, v44, v43
	s_mov_b32 s12, s6
	s_mov_b32 s13, s7
	v_mov_b32_e32 v0, s48
	v_mov_b32_e32 v1, s49
	;; [unrolled: 1-line block ×12, first 2 shown]
	s_swappc_b64 s[30:31], s[4:5]
.LBB512_6:
	s_endpgm
	.section	.rodata,"a",@progbits
	.p2align	6, 0x0
	.amdhsa_kernel _ZN7rocprim17ROCPRIM_400000_NS6detail17trampoline_kernelINS0_14default_configENS1_36segmented_radix_sort_config_selectorIilEEZNS1_25segmented_radix_sort_implIS3_Lb1EPKiPiPKlPlN2at6native12_GLOBAL__N_18offset_tEEE10hipError_tPvRmT1_PNSt15iterator_traitsISK_E10value_typeET2_T3_PNSL_ISQ_E10value_typeET4_jRbjT5_SW_jjP12ihipStream_tbEUlT_E0_NS1_11comp_targetILNS1_3genE2ELNS1_11target_archE906ELNS1_3gpuE6ELNS1_3repE0EEENS1_60segmented_radix_sort_warp_sort_medium_config_static_selectorELNS0_4arch9wavefront6targetE1EEEvSK_
		.amdhsa_group_segment_fixed_size 24576
		.amdhsa_private_segment_fixed_size 0
		.amdhsa_kernarg_size 344
		.amdhsa_user_sgpr_count 6
		.amdhsa_user_sgpr_private_segment_buffer 1
		.amdhsa_user_sgpr_dispatch_ptr 0
		.amdhsa_user_sgpr_queue_ptr 0
		.amdhsa_user_sgpr_kernarg_segment_ptr 1
		.amdhsa_user_sgpr_dispatch_id 0
		.amdhsa_user_sgpr_flat_scratch_init 0
		.amdhsa_user_sgpr_private_segment_size 0
		.amdhsa_uses_dynamic_stack 0
		.amdhsa_system_sgpr_private_segment_wavefront_offset 0
		.amdhsa_system_sgpr_workgroup_id_x 1
		.amdhsa_system_sgpr_workgroup_id_y 1
		.amdhsa_system_sgpr_workgroup_id_z 0
		.amdhsa_system_sgpr_workgroup_info 0
		.amdhsa_system_vgpr_workitem_id 2
		.amdhsa_next_free_vgpr 85
		.amdhsa_next_free_sgpr 98
		.amdhsa_reserve_vcc 1
		.amdhsa_reserve_flat_scratch 0
		.amdhsa_float_round_mode_32 0
		.amdhsa_float_round_mode_16_64 0
		.amdhsa_float_denorm_mode_32 3
		.amdhsa_float_denorm_mode_16_64 3
		.amdhsa_dx10_clamp 1
		.amdhsa_ieee_mode 1
		.amdhsa_fp16_overflow 0
		.amdhsa_exception_fp_ieee_invalid_op 0
		.amdhsa_exception_fp_denorm_src 0
		.amdhsa_exception_fp_ieee_div_zero 0
		.amdhsa_exception_fp_ieee_overflow 0
		.amdhsa_exception_fp_ieee_underflow 0
		.amdhsa_exception_fp_ieee_inexact 0
		.amdhsa_exception_int_div_zero 0
	.end_amdhsa_kernel
	.section	.text._ZN7rocprim17ROCPRIM_400000_NS6detail17trampoline_kernelINS0_14default_configENS1_36segmented_radix_sort_config_selectorIilEEZNS1_25segmented_radix_sort_implIS3_Lb1EPKiPiPKlPlN2at6native12_GLOBAL__N_18offset_tEEE10hipError_tPvRmT1_PNSt15iterator_traitsISK_E10value_typeET2_T3_PNSL_ISQ_E10value_typeET4_jRbjT5_SW_jjP12ihipStream_tbEUlT_E0_NS1_11comp_targetILNS1_3genE2ELNS1_11target_archE906ELNS1_3gpuE6ELNS1_3repE0EEENS1_60segmented_radix_sort_warp_sort_medium_config_static_selectorELNS0_4arch9wavefront6targetE1EEEvSK_,"axG",@progbits,_ZN7rocprim17ROCPRIM_400000_NS6detail17trampoline_kernelINS0_14default_configENS1_36segmented_radix_sort_config_selectorIilEEZNS1_25segmented_radix_sort_implIS3_Lb1EPKiPiPKlPlN2at6native12_GLOBAL__N_18offset_tEEE10hipError_tPvRmT1_PNSt15iterator_traitsISK_E10value_typeET2_T3_PNSL_ISQ_E10value_typeET4_jRbjT5_SW_jjP12ihipStream_tbEUlT_E0_NS1_11comp_targetILNS1_3genE2ELNS1_11target_archE906ELNS1_3gpuE6ELNS1_3repE0EEENS1_60segmented_radix_sort_warp_sort_medium_config_static_selectorELNS0_4arch9wavefront6targetE1EEEvSK_,comdat
.Lfunc_end512:
	.size	_ZN7rocprim17ROCPRIM_400000_NS6detail17trampoline_kernelINS0_14default_configENS1_36segmented_radix_sort_config_selectorIilEEZNS1_25segmented_radix_sort_implIS3_Lb1EPKiPiPKlPlN2at6native12_GLOBAL__N_18offset_tEEE10hipError_tPvRmT1_PNSt15iterator_traitsISK_E10value_typeET2_T3_PNSL_ISQ_E10value_typeET4_jRbjT5_SW_jjP12ihipStream_tbEUlT_E0_NS1_11comp_targetILNS1_3genE2ELNS1_11target_archE906ELNS1_3gpuE6ELNS1_3repE0EEENS1_60segmented_radix_sort_warp_sort_medium_config_static_selectorELNS0_4arch9wavefront6targetE1EEEvSK_, .Lfunc_end512-_ZN7rocprim17ROCPRIM_400000_NS6detail17trampoline_kernelINS0_14default_configENS1_36segmented_radix_sort_config_selectorIilEEZNS1_25segmented_radix_sort_implIS3_Lb1EPKiPiPKlPlN2at6native12_GLOBAL__N_18offset_tEEE10hipError_tPvRmT1_PNSt15iterator_traitsISK_E10value_typeET2_T3_PNSL_ISQ_E10value_typeET4_jRbjT5_SW_jjP12ihipStream_tbEUlT_E0_NS1_11comp_targetILNS1_3genE2ELNS1_11target_archE906ELNS1_3gpuE6ELNS1_3repE0EEENS1_60segmented_radix_sort_warp_sort_medium_config_static_selectorELNS0_4arch9wavefront6targetE1EEEvSK_
                                        ; -- End function
	.set _ZN7rocprim17ROCPRIM_400000_NS6detail17trampoline_kernelINS0_14default_configENS1_36segmented_radix_sort_config_selectorIilEEZNS1_25segmented_radix_sort_implIS3_Lb1EPKiPiPKlPlN2at6native12_GLOBAL__N_18offset_tEEE10hipError_tPvRmT1_PNSt15iterator_traitsISK_E10value_typeET2_T3_PNSL_ISQ_E10value_typeET4_jRbjT5_SW_jjP12ihipStream_tbEUlT_E0_NS1_11comp_targetILNS1_3genE2ELNS1_11target_archE906ELNS1_3gpuE6ELNS1_3repE0EEENS1_60segmented_radix_sort_warp_sort_medium_config_static_selectorELNS0_4arch9wavefront6targetE1EEEvSK_.num_vgpr, max(45, .L_ZN7rocprim17ROCPRIM_400000_NS6detail26segmented_warp_sort_helperINS1_20WarpSortHelperConfigILj16ELj8ELj256EEEilLi256ELb1EvE4sortIPKiPiPKlPlEEvT_T0_T1_T2_jjjjRNS5_12storage_typeE.num_vgpr)
	.set _ZN7rocprim17ROCPRIM_400000_NS6detail17trampoline_kernelINS0_14default_configENS1_36segmented_radix_sort_config_selectorIilEEZNS1_25segmented_radix_sort_implIS3_Lb1EPKiPiPKlPlN2at6native12_GLOBAL__N_18offset_tEEE10hipError_tPvRmT1_PNSt15iterator_traitsISK_E10value_typeET2_T3_PNSL_ISQ_E10value_typeET4_jRbjT5_SW_jjP12ihipStream_tbEUlT_E0_NS1_11comp_targetILNS1_3genE2ELNS1_11target_archE906ELNS1_3gpuE6ELNS1_3repE0EEENS1_60segmented_radix_sort_warp_sort_medium_config_static_selectorELNS0_4arch9wavefront6targetE1EEEvSK_.num_agpr, max(0, .L_ZN7rocprim17ROCPRIM_400000_NS6detail26segmented_warp_sort_helperINS1_20WarpSortHelperConfigILj16ELj8ELj256EEEilLi256ELb1EvE4sortIPKiPiPKlPlEEvT_T0_T1_T2_jjjjRNS5_12storage_typeE.num_agpr)
	.set _ZN7rocprim17ROCPRIM_400000_NS6detail17trampoline_kernelINS0_14default_configENS1_36segmented_radix_sort_config_selectorIilEEZNS1_25segmented_radix_sort_implIS3_Lb1EPKiPiPKlPlN2at6native12_GLOBAL__N_18offset_tEEE10hipError_tPvRmT1_PNSt15iterator_traitsISK_E10value_typeET2_T3_PNSL_ISQ_E10value_typeET4_jRbjT5_SW_jjP12ihipStream_tbEUlT_E0_NS1_11comp_targetILNS1_3genE2ELNS1_11target_archE906ELNS1_3gpuE6ELNS1_3repE0EEENS1_60segmented_radix_sort_warp_sort_medium_config_static_selectorELNS0_4arch9wavefront6targetE1EEEvSK_.numbered_sgpr, max(56, .L_ZN7rocprim17ROCPRIM_400000_NS6detail26segmented_warp_sort_helperINS1_20WarpSortHelperConfigILj16ELj8ELj256EEEilLi256ELb1EvE4sortIPKiPiPKlPlEEvT_T0_T1_T2_jjjjRNS5_12storage_typeE.numbered_sgpr)
	.set _ZN7rocprim17ROCPRIM_400000_NS6detail17trampoline_kernelINS0_14default_configENS1_36segmented_radix_sort_config_selectorIilEEZNS1_25segmented_radix_sort_implIS3_Lb1EPKiPiPKlPlN2at6native12_GLOBAL__N_18offset_tEEE10hipError_tPvRmT1_PNSt15iterator_traitsISK_E10value_typeET2_T3_PNSL_ISQ_E10value_typeET4_jRbjT5_SW_jjP12ihipStream_tbEUlT_E0_NS1_11comp_targetILNS1_3genE2ELNS1_11target_archE906ELNS1_3gpuE6ELNS1_3repE0EEENS1_60segmented_radix_sort_warp_sort_medium_config_static_selectorELNS0_4arch9wavefront6targetE1EEEvSK_.num_named_barrier, max(0, .L_ZN7rocprim17ROCPRIM_400000_NS6detail26segmented_warp_sort_helperINS1_20WarpSortHelperConfigILj16ELj8ELj256EEEilLi256ELb1EvE4sortIPKiPiPKlPlEEvT_T0_T1_T2_jjjjRNS5_12storage_typeE.num_named_barrier)
	.set _ZN7rocprim17ROCPRIM_400000_NS6detail17trampoline_kernelINS0_14default_configENS1_36segmented_radix_sort_config_selectorIilEEZNS1_25segmented_radix_sort_implIS3_Lb1EPKiPiPKlPlN2at6native12_GLOBAL__N_18offset_tEEE10hipError_tPvRmT1_PNSt15iterator_traitsISK_E10value_typeET2_T3_PNSL_ISQ_E10value_typeET4_jRbjT5_SW_jjP12ihipStream_tbEUlT_E0_NS1_11comp_targetILNS1_3genE2ELNS1_11target_archE906ELNS1_3gpuE6ELNS1_3repE0EEENS1_60segmented_radix_sort_warp_sort_medium_config_static_selectorELNS0_4arch9wavefront6targetE1EEEvSK_.private_seg_size, 0+max(.L_ZN7rocprim17ROCPRIM_400000_NS6detail26segmented_warp_sort_helperINS1_20WarpSortHelperConfigILj16ELj8ELj256EEEilLi256ELb1EvE4sortIPKiPiPKlPlEEvT_T0_T1_T2_jjjjRNS5_12storage_typeE.private_seg_size)
	.set _ZN7rocprim17ROCPRIM_400000_NS6detail17trampoline_kernelINS0_14default_configENS1_36segmented_radix_sort_config_selectorIilEEZNS1_25segmented_radix_sort_implIS3_Lb1EPKiPiPKlPlN2at6native12_GLOBAL__N_18offset_tEEE10hipError_tPvRmT1_PNSt15iterator_traitsISK_E10value_typeET2_T3_PNSL_ISQ_E10value_typeET4_jRbjT5_SW_jjP12ihipStream_tbEUlT_E0_NS1_11comp_targetILNS1_3genE2ELNS1_11target_archE906ELNS1_3gpuE6ELNS1_3repE0EEENS1_60segmented_radix_sort_warp_sort_medium_config_static_selectorELNS0_4arch9wavefront6targetE1EEEvSK_.uses_vcc, or(1, .L_ZN7rocprim17ROCPRIM_400000_NS6detail26segmented_warp_sort_helperINS1_20WarpSortHelperConfigILj16ELj8ELj256EEEilLi256ELb1EvE4sortIPKiPiPKlPlEEvT_T0_T1_T2_jjjjRNS5_12storage_typeE.uses_vcc)
	.set _ZN7rocprim17ROCPRIM_400000_NS6detail17trampoline_kernelINS0_14default_configENS1_36segmented_radix_sort_config_selectorIilEEZNS1_25segmented_radix_sort_implIS3_Lb1EPKiPiPKlPlN2at6native12_GLOBAL__N_18offset_tEEE10hipError_tPvRmT1_PNSt15iterator_traitsISK_E10value_typeET2_T3_PNSL_ISQ_E10value_typeET4_jRbjT5_SW_jjP12ihipStream_tbEUlT_E0_NS1_11comp_targetILNS1_3genE2ELNS1_11target_archE906ELNS1_3gpuE6ELNS1_3repE0EEENS1_60segmented_radix_sort_warp_sort_medium_config_static_selectorELNS0_4arch9wavefront6targetE1EEEvSK_.uses_flat_scratch, or(0, .L_ZN7rocprim17ROCPRIM_400000_NS6detail26segmented_warp_sort_helperINS1_20WarpSortHelperConfigILj16ELj8ELj256EEEilLi256ELb1EvE4sortIPKiPiPKlPlEEvT_T0_T1_T2_jjjjRNS5_12storage_typeE.uses_flat_scratch)
	.set _ZN7rocprim17ROCPRIM_400000_NS6detail17trampoline_kernelINS0_14default_configENS1_36segmented_radix_sort_config_selectorIilEEZNS1_25segmented_radix_sort_implIS3_Lb1EPKiPiPKlPlN2at6native12_GLOBAL__N_18offset_tEEE10hipError_tPvRmT1_PNSt15iterator_traitsISK_E10value_typeET2_T3_PNSL_ISQ_E10value_typeET4_jRbjT5_SW_jjP12ihipStream_tbEUlT_E0_NS1_11comp_targetILNS1_3genE2ELNS1_11target_archE906ELNS1_3gpuE6ELNS1_3repE0EEENS1_60segmented_radix_sort_warp_sort_medium_config_static_selectorELNS0_4arch9wavefront6targetE1EEEvSK_.has_dyn_sized_stack, or(0, .L_ZN7rocprim17ROCPRIM_400000_NS6detail26segmented_warp_sort_helperINS1_20WarpSortHelperConfigILj16ELj8ELj256EEEilLi256ELb1EvE4sortIPKiPiPKlPlEEvT_T0_T1_T2_jjjjRNS5_12storage_typeE.has_dyn_sized_stack)
	.set _ZN7rocprim17ROCPRIM_400000_NS6detail17trampoline_kernelINS0_14default_configENS1_36segmented_radix_sort_config_selectorIilEEZNS1_25segmented_radix_sort_implIS3_Lb1EPKiPiPKlPlN2at6native12_GLOBAL__N_18offset_tEEE10hipError_tPvRmT1_PNSt15iterator_traitsISK_E10value_typeET2_T3_PNSL_ISQ_E10value_typeET4_jRbjT5_SW_jjP12ihipStream_tbEUlT_E0_NS1_11comp_targetILNS1_3genE2ELNS1_11target_archE906ELNS1_3gpuE6ELNS1_3repE0EEENS1_60segmented_radix_sort_warp_sort_medium_config_static_selectorELNS0_4arch9wavefront6targetE1EEEvSK_.has_recursion, or(0, .L_ZN7rocprim17ROCPRIM_400000_NS6detail26segmented_warp_sort_helperINS1_20WarpSortHelperConfigILj16ELj8ELj256EEEilLi256ELb1EvE4sortIPKiPiPKlPlEEvT_T0_T1_T2_jjjjRNS5_12storage_typeE.has_recursion)
	.set _ZN7rocprim17ROCPRIM_400000_NS6detail17trampoline_kernelINS0_14default_configENS1_36segmented_radix_sort_config_selectorIilEEZNS1_25segmented_radix_sort_implIS3_Lb1EPKiPiPKlPlN2at6native12_GLOBAL__N_18offset_tEEE10hipError_tPvRmT1_PNSt15iterator_traitsISK_E10value_typeET2_T3_PNSL_ISQ_E10value_typeET4_jRbjT5_SW_jjP12ihipStream_tbEUlT_E0_NS1_11comp_targetILNS1_3genE2ELNS1_11target_archE906ELNS1_3gpuE6ELNS1_3repE0EEENS1_60segmented_radix_sort_warp_sort_medium_config_static_selectorELNS0_4arch9wavefront6targetE1EEEvSK_.has_indirect_call, or(0, .L_ZN7rocprim17ROCPRIM_400000_NS6detail26segmented_warp_sort_helperINS1_20WarpSortHelperConfigILj16ELj8ELj256EEEilLi256ELb1EvE4sortIPKiPiPKlPlEEvT_T0_T1_T2_jjjjRNS5_12storage_typeE.has_indirect_call)
	.section	.AMDGPU.csdata,"",@progbits
; Kernel info:
; codeLenInByte = 484
; TotalNumSgprs: 66
; NumVgprs: 70
; ScratchSize: 0
; MemoryBound: 0
; FloatMode: 240
; IeeeMode: 1
; LDSByteSize: 24576 bytes/workgroup (compile time only)
; SGPRBlocks: 12
; VGPRBlocks: 21
; NumSGPRsForWavesPerEU: 102
; NumVGPRsForWavesPerEU: 85
; Occupancy: 2
; WaveLimiterHint : 0
; COMPUTE_PGM_RSRC2:SCRATCH_EN: 0
; COMPUTE_PGM_RSRC2:USER_SGPR: 6
; COMPUTE_PGM_RSRC2:TRAP_HANDLER: 0
; COMPUTE_PGM_RSRC2:TGID_X_EN: 1
; COMPUTE_PGM_RSRC2:TGID_Y_EN: 1
; COMPUTE_PGM_RSRC2:TGID_Z_EN: 0
; COMPUTE_PGM_RSRC2:TIDIG_COMP_CNT: 2
	.section	.text._ZN7rocprim17ROCPRIM_400000_NS6detail17trampoline_kernelINS0_14default_configENS1_36segmented_radix_sort_config_selectorIilEEZNS1_25segmented_radix_sort_implIS3_Lb1EPKiPiPKlPlN2at6native12_GLOBAL__N_18offset_tEEE10hipError_tPvRmT1_PNSt15iterator_traitsISK_E10value_typeET2_T3_PNSL_ISQ_E10value_typeET4_jRbjT5_SW_jjP12ihipStream_tbEUlT_E0_NS1_11comp_targetILNS1_3genE10ELNS1_11target_archE1201ELNS1_3gpuE5ELNS1_3repE0EEENS1_60segmented_radix_sort_warp_sort_medium_config_static_selectorELNS0_4arch9wavefront6targetE1EEEvSK_,"axG",@progbits,_ZN7rocprim17ROCPRIM_400000_NS6detail17trampoline_kernelINS0_14default_configENS1_36segmented_radix_sort_config_selectorIilEEZNS1_25segmented_radix_sort_implIS3_Lb1EPKiPiPKlPlN2at6native12_GLOBAL__N_18offset_tEEE10hipError_tPvRmT1_PNSt15iterator_traitsISK_E10value_typeET2_T3_PNSL_ISQ_E10value_typeET4_jRbjT5_SW_jjP12ihipStream_tbEUlT_E0_NS1_11comp_targetILNS1_3genE10ELNS1_11target_archE1201ELNS1_3gpuE5ELNS1_3repE0EEENS1_60segmented_radix_sort_warp_sort_medium_config_static_selectorELNS0_4arch9wavefront6targetE1EEEvSK_,comdat
	.globl	_ZN7rocprim17ROCPRIM_400000_NS6detail17trampoline_kernelINS0_14default_configENS1_36segmented_radix_sort_config_selectorIilEEZNS1_25segmented_radix_sort_implIS3_Lb1EPKiPiPKlPlN2at6native12_GLOBAL__N_18offset_tEEE10hipError_tPvRmT1_PNSt15iterator_traitsISK_E10value_typeET2_T3_PNSL_ISQ_E10value_typeET4_jRbjT5_SW_jjP12ihipStream_tbEUlT_E0_NS1_11comp_targetILNS1_3genE10ELNS1_11target_archE1201ELNS1_3gpuE5ELNS1_3repE0EEENS1_60segmented_radix_sort_warp_sort_medium_config_static_selectorELNS0_4arch9wavefront6targetE1EEEvSK_ ; -- Begin function _ZN7rocprim17ROCPRIM_400000_NS6detail17trampoline_kernelINS0_14default_configENS1_36segmented_radix_sort_config_selectorIilEEZNS1_25segmented_radix_sort_implIS3_Lb1EPKiPiPKlPlN2at6native12_GLOBAL__N_18offset_tEEE10hipError_tPvRmT1_PNSt15iterator_traitsISK_E10value_typeET2_T3_PNSL_ISQ_E10value_typeET4_jRbjT5_SW_jjP12ihipStream_tbEUlT_E0_NS1_11comp_targetILNS1_3genE10ELNS1_11target_archE1201ELNS1_3gpuE5ELNS1_3repE0EEENS1_60segmented_radix_sort_warp_sort_medium_config_static_selectorELNS0_4arch9wavefront6targetE1EEEvSK_
	.p2align	8
	.type	_ZN7rocprim17ROCPRIM_400000_NS6detail17trampoline_kernelINS0_14default_configENS1_36segmented_radix_sort_config_selectorIilEEZNS1_25segmented_radix_sort_implIS3_Lb1EPKiPiPKlPlN2at6native12_GLOBAL__N_18offset_tEEE10hipError_tPvRmT1_PNSt15iterator_traitsISK_E10value_typeET2_T3_PNSL_ISQ_E10value_typeET4_jRbjT5_SW_jjP12ihipStream_tbEUlT_E0_NS1_11comp_targetILNS1_3genE10ELNS1_11target_archE1201ELNS1_3gpuE5ELNS1_3repE0EEENS1_60segmented_radix_sort_warp_sort_medium_config_static_selectorELNS0_4arch9wavefront6targetE1EEEvSK_,@function
_ZN7rocprim17ROCPRIM_400000_NS6detail17trampoline_kernelINS0_14default_configENS1_36segmented_radix_sort_config_selectorIilEEZNS1_25segmented_radix_sort_implIS3_Lb1EPKiPiPKlPlN2at6native12_GLOBAL__N_18offset_tEEE10hipError_tPvRmT1_PNSt15iterator_traitsISK_E10value_typeET2_T3_PNSL_ISQ_E10value_typeET4_jRbjT5_SW_jjP12ihipStream_tbEUlT_E0_NS1_11comp_targetILNS1_3genE10ELNS1_11target_archE1201ELNS1_3gpuE5ELNS1_3repE0EEENS1_60segmented_radix_sort_warp_sort_medium_config_static_selectorELNS0_4arch9wavefront6targetE1EEEvSK_: ; @_ZN7rocprim17ROCPRIM_400000_NS6detail17trampoline_kernelINS0_14default_configENS1_36segmented_radix_sort_config_selectorIilEEZNS1_25segmented_radix_sort_implIS3_Lb1EPKiPiPKlPlN2at6native12_GLOBAL__N_18offset_tEEE10hipError_tPvRmT1_PNSt15iterator_traitsISK_E10value_typeET2_T3_PNSL_ISQ_E10value_typeET4_jRbjT5_SW_jjP12ihipStream_tbEUlT_E0_NS1_11comp_targetILNS1_3genE10ELNS1_11target_archE1201ELNS1_3gpuE5ELNS1_3repE0EEENS1_60segmented_radix_sort_warp_sort_medium_config_static_selectorELNS0_4arch9wavefront6targetE1EEEvSK_
; %bb.0:
	.section	.rodata,"a",@progbits
	.p2align	6, 0x0
	.amdhsa_kernel _ZN7rocprim17ROCPRIM_400000_NS6detail17trampoline_kernelINS0_14default_configENS1_36segmented_radix_sort_config_selectorIilEEZNS1_25segmented_radix_sort_implIS3_Lb1EPKiPiPKlPlN2at6native12_GLOBAL__N_18offset_tEEE10hipError_tPvRmT1_PNSt15iterator_traitsISK_E10value_typeET2_T3_PNSL_ISQ_E10value_typeET4_jRbjT5_SW_jjP12ihipStream_tbEUlT_E0_NS1_11comp_targetILNS1_3genE10ELNS1_11target_archE1201ELNS1_3gpuE5ELNS1_3repE0EEENS1_60segmented_radix_sort_warp_sort_medium_config_static_selectorELNS0_4arch9wavefront6targetE1EEEvSK_
		.amdhsa_group_segment_fixed_size 0
		.amdhsa_private_segment_fixed_size 0
		.amdhsa_kernarg_size 88
		.amdhsa_user_sgpr_count 6
		.amdhsa_user_sgpr_private_segment_buffer 1
		.amdhsa_user_sgpr_dispatch_ptr 0
		.amdhsa_user_sgpr_queue_ptr 0
		.amdhsa_user_sgpr_kernarg_segment_ptr 1
		.amdhsa_user_sgpr_dispatch_id 0
		.amdhsa_user_sgpr_flat_scratch_init 0
		.amdhsa_user_sgpr_private_segment_size 0
		.amdhsa_uses_dynamic_stack 0
		.amdhsa_system_sgpr_private_segment_wavefront_offset 0
		.amdhsa_system_sgpr_workgroup_id_x 1
		.amdhsa_system_sgpr_workgroup_id_y 0
		.amdhsa_system_sgpr_workgroup_id_z 0
		.amdhsa_system_sgpr_workgroup_info 0
		.amdhsa_system_vgpr_workitem_id 0
		.amdhsa_next_free_vgpr 1
		.amdhsa_next_free_sgpr 0
		.amdhsa_reserve_vcc 0
		.amdhsa_reserve_flat_scratch 0
		.amdhsa_float_round_mode_32 0
		.amdhsa_float_round_mode_16_64 0
		.amdhsa_float_denorm_mode_32 3
		.amdhsa_float_denorm_mode_16_64 3
		.amdhsa_dx10_clamp 1
		.amdhsa_ieee_mode 1
		.amdhsa_fp16_overflow 0
		.amdhsa_exception_fp_ieee_invalid_op 0
		.amdhsa_exception_fp_denorm_src 0
		.amdhsa_exception_fp_ieee_div_zero 0
		.amdhsa_exception_fp_ieee_overflow 0
		.amdhsa_exception_fp_ieee_underflow 0
		.amdhsa_exception_fp_ieee_inexact 0
		.amdhsa_exception_int_div_zero 0
	.end_amdhsa_kernel
	.section	.text._ZN7rocprim17ROCPRIM_400000_NS6detail17trampoline_kernelINS0_14default_configENS1_36segmented_radix_sort_config_selectorIilEEZNS1_25segmented_radix_sort_implIS3_Lb1EPKiPiPKlPlN2at6native12_GLOBAL__N_18offset_tEEE10hipError_tPvRmT1_PNSt15iterator_traitsISK_E10value_typeET2_T3_PNSL_ISQ_E10value_typeET4_jRbjT5_SW_jjP12ihipStream_tbEUlT_E0_NS1_11comp_targetILNS1_3genE10ELNS1_11target_archE1201ELNS1_3gpuE5ELNS1_3repE0EEENS1_60segmented_radix_sort_warp_sort_medium_config_static_selectorELNS0_4arch9wavefront6targetE1EEEvSK_,"axG",@progbits,_ZN7rocprim17ROCPRIM_400000_NS6detail17trampoline_kernelINS0_14default_configENS1_36segmented_radix_sort_config_selectorIilEEZNS1_25segmented_radix_sort_implIS3_Lb1EPKiPiPKlPlN2at6native12_GLOBAL__N_18offset_tEEE10hipError_tPvRmT1_PNSt15iterator_traitsISK_E10value_typeET2_T3_PNSL_ISQ_E10value_typeET4_jRbjT5_SW_jjP12ihipStream_tbEUlT_E0_NS1_11comp_targetILNS1_3genE10ELNS1_11target_archE1201ELNS1_3gpuE5ELNS1_3repE0EEENS1_60segmented_radix_sort_warp_sort_medium_config_static_selectorELNS0_4arch9wavefront6targetE1EEEvSK_,comdat
.Lfunc_end513:
	.size	_ZN7rocprim17ROCPRIM_400000_NS6detail17trampoline_kernelINS0_14default_configENS1_36segmented_radix_sort_config_selectorIilEEZNS1_25segmented_radix_sort_implIS3_Lb1EPKiPiPKlPlN2at6native12_GLOBAL__N_18offset_tEEE10hipError_tPvRmT1_PNSt15iterator_traitsISK_E10value_typeET2_T3_PNSL_ISQ_E10value_typeET4_jRbjT5_SW_jjP12ihipStream_tbEUlT_E0_NS1_11comp_targetILNS1_3genE10ELNS1_11target_archE1201ELNS1_3gpuE5ELNS1_3repE0EEENS1_60segmented_radix_sort_warp_sort_medium_config_static_selectorELNS0_4arch9wavefront6targetE1EEEvSK_, .Lfunc_end513-_ZN7rocprim17ROCPRIM_400000_NS6detail17trampoline_kernelINS0_14default_configENS1_36segmented_radix_sort_config_selectorIilEEZNS1_25segmented_radix_sort_implIS3_Lb1EPKiPiPKlPlN2at6native12_GLOBAL__N_18offset_tEEE10hipError_tPvRmT1_PNSt15iterator_traitsISK_E10value_typeET2_T3_PNSL_ISQ_E10value_typeET4_jRbjT5_SW_jjP12ihipStream_tbEUlT_E0_NS1_11comp_targetILNS1_3genE10ELNS1_11target_archE1201ELNS1_3gpuE5ELNS1_3repE0EEENS1_60segmented_radix_sort_warp_sort_medium_config_static_selectorELNS0_4arch9wavefront6targetE1EEEvSK_
                                        ; -- End function
	.set _ZN7rocprim17ROCPRIM_400000_NS6detail17trampoline_kernelINS0_14default_configENS1_36segmented_radix_sort_config_selectorIilEEZNS1_25segmented_radix_sort_implIS3_Lb1EPKiPiPKlPlN2at6native12_GLOBAL__N_18offset_tEEE10hipError_tPvRmT1_PNSt15iterator_traitsISK_E10value_typeET2_T3_PNSL_ISQ_E10value_typeET4_jRbjT5_SW_jjP12ihipStream_tbEUlT_E0_NS1_11comp_targetILNS1_3genE10ELNS1_11target_archE1201ELNS1_3gpuE5ELNS1_3repE0EEENS1_60segmented_radix_sort_warp_sort_medium_config_static_selectorELNS0_4arch9wavefront6targetE1EEEvSK_.num_vgpr, 0
	.set _ZN7rocprim17ROCPRIM_400000_NS6detail17trampoline_kernelINS0_14default_configENS1_36segmented_radix_sort_config_selectorIilEEZNS1_25segmented_radix_sort_implIS3_Lb1EPKiPiPKlPlN2at6native12_GLOBAL__N_18offset_tEEE10hipError_tPvRmT1_PNSt15iterator_traitsISK_E10value_typeET2_T3_PNSL_ISQ_E10value_typeET4_jRbjT5_SW_jjP12ihipStream_tbEUlT_E0_NS1_11comp_targetILNS1_3genE10ELNS1_11target_archE1201ELNS1_3gpuE5ELNS1_3repE0EEENS1_60segmented_radix_sort_warp_sort_medium_config_static_selectorELNS0_4arch9wavefront6targetE1EEEvSK_.num_agpr, 0
	.set _ZN7rocprim17ROCPRIM_400000_NS6detail17trampoline_kernelINS0_14default_configENS1_36segmented_radix_sort_config_selectorIilEEZNS1_25segmented_radix_sort_implIS3_Lb1EPKiPiPKlPlN2at6native12_GLOBAL__N_18offset_tEEE10hipError_tPvRmT1_PNSt15iterator_traitsISK_E10value_typeET2_T3_PNSL_ISQ_E10value_typeET4_jRbjT5_SW_jjP12ihipStream_tbEUlT_E0_NS1_11comp_targetILNS1_3genE10ELNS1_11target_archE1201ELNS1_3gpuE5ELNS1_3repE0EEENS1_60segmented_radix_sort_warp_sort_medium_config_static_selectorELNS0_4arch9wavefront6targetE1EEEvSK_.numbered_sgpr, 0
	.set _ZN7rocprim17ROCPRIM_400000_NS6detail17trampoline_kernelINS0_14default_configENS1_36segmented_radix_sort_config_selectorIilEEZNS1_25segmented_radix_sort_implIS3_Lb1EPKiPiPKlPlN2at6native12_GLOBAL__N_18offset_tEEE10hipError_tPvRmT1_PNSt15iterator_traitsISK_E10value_typeET2_T3_PNSL_ISQ_E10value_typeET4_jRbjT5_SW_jjP12ihipStream_tbEUlT_E0_NS1_11comp_targetILNS1_3genE10ELNS1_11target_archE1201ELNS1_3gpuE5ELNS1_3repE0EEENS1_60segmented_radix_sort_warp_sort_medium_config_static_selectorELNS0_4arch9wavefront6targetE1EEEvSK_.num_named_barrier, 0
	.set _ZN7rocprim17ROCPRIM_400000_NS6detail17trampoline_kernelINS0_14default_configENS1_36segmented_radix_sort_config_selectorIilEEZNS1_25segmented_radix_sort_implIS3_Lb1EPKiPiPKlPlN2at6native12_GLOBAL__N_18offset_tEEE10hipError_tPvRmT1_PNSt15iterator_traitsISK_E10value_typeET2_T3_PNSL_ISQ_E10value_typeET4_jRbjT5_SW_jjP12ihipStream_tbEUlT_E0_NS1_11comp_targetILNS1_3genE10ELNS1_11target_archE1201ELNS1_3gpuE5ELNS1_3repE0EEENS1_60segmented_radix_sort_warp_sort_medium_config_static_selectorELNS0_4arch9wavefront6targetE1EEEvSK_.private_seg_size, 0
	.set _ZN7rocprim17ROCPRIM_400000_NS6detail17trampoline_kernelINS0_14default_configENS1_36segmented_radix_sort_config_selectorIilEEZNS1_25segmented_radix_sort_implIS3_Lb1EPKiPiPKlPlN2at6native12_GLOBAL__N_18offset_tEEE10hipError_tPvRmT1_PNSt15iterator_traitsISK_E10value_typeET2_T3_PNSL_ISQ_E10value_typeET4_jRbjT5_SW_jjP12ihipStream_tbEUlT_E0_NS1_11comp_targetILNS1_3genE10ELNS1_11target_archE1201ELNS1_3gpuE5ELNS1_3repE0EEENS1_60segmented_radix_sort_warp_sort_medium_config_static_selectorELNS0_4arch9wavefront6targetE1EEEvSK_.uses_vcc, 0
	.set _ZN7rocprim17ROCPRIM_400000_NS6detail17trampoline_kernelINS0_14default_configENS1_36segmented_radix_sort_config_selectorIilEEZNS1_25segmented_radix_sort_implIS3_Lb1EPKiPiPKlPlN2at6native12_GLOBAL__N_18offset_tEEE10hipError_tPvRmT1_PNSt15iterator_traitsISK_E10value_typeET2_T3_PNSL_ISQ_E10value_typeET4_jRbjT5_SW_jjP12ihipStream_tbEUlT_E0_NS1_11comp_targetILNS1_3genE10ELNS1_11target_archE1201ELNS1_3gpuE5ELNS1_3repE0EEENS1_60segmented_radix_sort_warp_sort_medium_config_static_selectorELNS0_4arch9wavefront6targetE1EEEvSK_.uses_flat_scratch, 0
	.set _ZN7rocprim17ROCPRIM_400000_NS6detail17trampoline_kernelINS0_14default_configENS1_36segmented_radix_sort_config_selectorIilEEZNS1_25segmented_radix_sort_implIS3_Lb1EPKiPiPKlPlN2at6native12_GLOBAL__N_18offset_tEEE10hipError_tPvRmT1_PNSt15iterator_traitsISK_E10value_typeET2_T3_PNSL_ISQ_E10value_typeET4_jRbjT5_SW_jjP12ihipStream_tbEUlT_E0_NS1_11comp_targetILNS1_3genE10ELNS1_11target_archE1201ELNS1_3gpuE5ELNS1_3repE0EEENS1_60segmented_radix_sort_warp_sort_medium_config_static_selectorELNS0_4arch9wavefront6targetE1EEEvSK_.has_dyn_sized_stack, 0
	.set _ZN7rocprim17ROCPRIM_400000_NS6detail17trampoline_kernelINS0_14default_configENS1_36segmented_radix_sort_config_selectorIilEEZNS1_25segmented_radix_sort_implIS3_Lb1EPKiPiPKlPlN2at6native12_GLOBAL__N_18offset_tEEE10hipError_tPvRmT1_PNSt15iterator_traitsISK_E10value_typeET2_T3_PNSL_ISQ_E10value_typeET4_jRbjT5_SW_jjP12ihipStream_tbEUlT_E0_NS1_11comp_targetILNS1_3genE10ELNS1_11target_archE1201ELNS1_3gpuE5ELNS1_3repE0EEENS1_60segmented_radix_sort_warp_sort_medium_config_static_selectorELNS0_4arch9wavefront6targetE1EEEvSK_.has_recursion, 0
	.set _ZN7rocprim17ROCPRIM_400000_NS6detail17trampoline_kernelINS0_14default_configENS1_36segmented_radix_sort_config_selectorIilEEZNS1_25segmented_radix_sort_implIS3_Lb1EPKiPiPKlPlN2at6native12_GLOBAL__N_18offset_tEEE10hipError_tPvRmT1_PNSt15iterator_traitsISK_E10value_typeET2_T3_PNSL_ISQ_E10value_typeET4_jRbjT5_SW_jjP12ihipStream_tbEUlT_E0_NS1_11comp_targetILNS1_3genE10ELNS1_11target_archE1201ELNS1_3gpuE5ELNS1_3repE0EEENS1_60segmented_radix_sort_warp_sort_medium_config_static_selectorELNS0_4arch9wavefront6targetE1EEEvSK_.has_indirect_call, 0
	.section	.AMDGPU.csdata,"",@progbits
; Kernel info:
; codeLenInByte = 0
; TotalNumSgprs: 4
; NumVgprs: 0
; ScratchSize: 0
; MemoryBound: 0
; FloatMode: 240
; IeeeMode: 1
; LDSByteSize: 0 bytes/workgroup (compile time only)
; SGPRBlocks: 0
; VGPRBlocks: 0
; NumSGPRsForWavesPerEU: 4
; NumVGPRsForWavesPerEU: 1
; Occupancy: 10
; WaveLimiterHint : 0
; COMPUTE_PGM_RSRC2:SCRATCH_EN: 0
; COMPUTE_PGM_RSRC2:USER_SGPR: 6
; COMPUTE_PGM_RSRC2:TRAP_HANDLER: 0
; COMPUTE_PGM_RSRC2:TGID_X_EN: 1
; COMPUTE_PGM_RSRC2:TGID_Y_EN: 0
; COMPUTE_PGM_RSRC2:TGID_Z_EN: 0
; COMPUTE_PGM_RSRC2:TIDIG_COMP_CNT: 0
	.section	.text._ZN7rocprim17ROCPRIM_400000_NS6detail17trampoline_kernelINS0_14default_configENS1_36segmented_radix_sort_config_selectorIilEEZNS1_25segmented_radix_sort_implIS3_Lb1EPKiPiPKlPlN2at6native12_GLOBAL__N_18offset_tEEE10hipError_tPvRmT1_PNSt15iterator_traitsISK_E10value_typeET2_T3_PNSL_ISQ_E10value_typeET4_jRbjT5_SW_jjP12ihipStream_tbEUlT_E0_NS1_11comp_targetILNS1_3genE10ELNS1_11target_archE1200ELNS1_3gpuE4ELNS1_3repE0EEENS1_60segmented_radix_sort_warp_sort_medium_config_static_selectorELNS0_4arch9wavefront6targetE1EEEvSK_,"axG",@progbits,_ZN7rocprim17ROCPRIM_400000_NS6detail17trampoline_kernelINS0_14default_configENS1_36segmented_radix_sort_config_selectorIilEEZNS1_25segmented_radix_sort_implIS3_Lb1EPKiPiPKlPlN2at6native12_GLOBAL__N_18offset_tEEE10hipError_tPvRmT1_PNSt15iterator_traitsISK_E10value_typeET2_T3_PNSL_ISQ_E10value_typeET4_jRbjT5_SW_jjP12ihipStream_tbEUlT_E0_NS1_11comp_targetILNS1_3genE10ELNS1_11target_archE1200ELNS1_3gpuE4ELNS1_3repE0EEENS1_60segmented_radix_sort_warp_sort_medium_config_static_selectorELNS0_4arch9wavefront6targetE1EEEvSK_,comdat
	.globl	_ZN7rocprim17ROCPRIM_400000_NS6detail17trampoline_kernelINS0_14default_configENS1_36segmented_radix_sort_config_selectorIilEEZNS1_25segmented_radix_sort_implIS3_Lb1EPKiPiPKlPlN2at6native12_GLOBAL__N_18offset_tEEE10hipError_tPvRmT1_PNSt15iterator_traitsISK_E10value_typeET2_T3_PNSL_ISQ_E10value_typeET4_jRbjT5_SW_jjP12ihipStream_tbEUlT_E0_NS1_11comp_targetILNS1_3genE10ELNS1_11target_archE1200ELNS1_3gpuE4ELNS1_3repE0EEENS1_60segmented_radix_sort_warp_sort_medium_config_static_selectorELNS0_4arch9wavefront6targetE1EEEvSK_ ; -- Begin function _ZN7rocprim17ROCPRIM_400000_NS6detail17trampoline_kernelINS0_14default_configENS1_36segmented_radix_sort_config_selectorIilEEZNS1_25segmented_radix_sort_implIS3_Lb1EPKiPiPKlPlN2at6native12_GLOBAL__N_18offset_tEEE10hipError_tPvRmT1_PNSt15iterator_traitsISK_E10value_typeET2_T3_PNSL_ISQ_E10value_typeET4_jRbjT5_SW_jjP12ihipStream_tbEUlT_E0_NS1_11comp_targetILNS1_3genE10ELNS1_11target_archE1200ELNS1_3gpuE4ELNS1_3repE0EEENS1_60segmented_radix_sort_warp_sort_medium_config_static_selectorELNS0_4arch9wavefront6targetE1EEEvSK_
	.p2align	8
	.type	_ZN7rocprim17ROCPRIM_400000_NS6detail17trampoline_kernelINS0_14default_configENS1_36segmented_radix_sort_config_selectorIilEEZNS1_25segmented_radix_sort_implIS3_Lb1EPKiPiPKlPlN2at6native12_GLOBAL__N_18offset_tEEE10hipError_tPvRmT1_PNSt15iterator_traitsISK_E10value_typeET2_T3_PNSL_ISQ_E10value_typeET4_jRbjT5_SW_jjP12ihipStream_tbEUlT_E0_NS1_11comp_targetILNS1_3genE10ELNS1_11target_archE1200ELNS1_3gpuE4ELNS1_3repE0EEENS1_60segmented_radix_sort_warp_sort_medium_config_static_selectorELNS0_4arch9wavefront6targetE1EEEvSK_,@function
_ZN7rocprim17ROCPRIM_400000_NS6detail17trampoline_kernelINS0_14default_configENS1_36segmented_radix_sort_config_selectorIilEEZNS1_25segmented_radix_sort_implIS3_Lb1EPKiPiPKlPlN2at6native12_GLOBAL__N_18offset_tEEE10hipError_tPvRmT1_PNSt15iterator_traitsISK_E10value_typeET2_T3_PNSL_ISQ_E10value_typeET4_jRbjT5_SW_jjP12ihipStream_tbEUlT_E0_NS1_11comp_targetILNS1_3genE10ELNS1_11target_archE1200ELNS1_3gpuE4ELNS1_3repE0EEENS1_60segmented_radix_sort_warp_sort_medium_config_static_selectorELNS0_4arch9wavefront6targetE1EEEvSK_: ; @_ZN7rocprim17ROCPRIM_400000_NS6detail17trampoline_kernelINS0_14default_configENS1_36segmented_radix_sort_config_selectorIilEEZNS1_25segmented_radix_sort_implIS3_Lb1EPKiPiPKlPlN2at6native12_GLOBAL__N_18offset_tEEE10hipError_tPvRmT1_PNSt15iterator_traitsISK_E10value_typeET2_T3_PNSL_ISQ_E10value_typeET4_jRbjT5_SW_jjP12ihipStream_tbEUlT_E0_NS1_11comp_targetILNS1_3genE10ELNS1_11target_archE1200ELNS1_3gpuE4ELNS1_3repE0EEENS1_60segmented_radix_sort_warp_sort_medium_config_static_selectorELNS0_4arch9wavefront6targetE1EEEvSK_
; %bb.0:
	.section	.rodata,"a",@progbits
	.p2align	6, 0x0
	.amdhsa_kernel _ZN7rocprim17ROCPRIM_400000_NS6detail17trampoline_kernelINS0_14default_configENS1_36segmented_radix_sort_config_selectorIilEEZNS1_25segmented_radix_sort_implIS3_Lb1EPKiPiPKlPlN2at6native12_GLOBAL__N_18offset_tEEE10hipError_tPvRmT1_PNSt15iterator_traitsISK_E10value_typeET2_T3_PNSL_ISQ_E10value_typeET4_jRbjT5_SW_jjP12ihipStream_tbEUlT_E0_NS1_11comp_targetILNS1_3genE10ELNS1_11target_archE1200ELNS1_3gpuE4ELNS1_3repE0EEENS1_60segmented_radix_sort_warp_sort_medium_config_static_selectorELNS0_4arch9wavefront6targetE1EEEvSK_
		.amdhsa_group_segment_fixed_size 0
		.amdhsa_private_segment_fixed_size 0
		.amdhsa_kernarg_size 88
		.amdhsa_user_sgpr_count 6
		.amdhsa_user_sgpr_private_segment_buffer 1
		.amdhsa_user_sgpr_dispatch_ptr 0
		.amdhsa_user_sgpr_queue_ptr 0
		.amdhsa_user_sgpr_kernarg_segment_ptr 1
		.amdhsa_user_sgpr_dispatch_id 0
		.amdhsa_user_sgpr_flat_scratch_init 0
		.amdhsa_user_sgpr_private_segment_size 0
		.amdhsa_uses_dynamic_stack 0
		.amdhsa_system_sgpr_private_segment_wavefront_offset 0
		.amdhsa_system_sgpr_workgroup_id_x 1
		.amdhsa_system_sgpr_workgroup_id_y 0
		.amdhsa_system_sgpr_workgroup_id_z 0
		.amdhsa_system_sgpr_workgroup_info 0
		.amdhsa_system_vgpr_workitem_id 0
		.amdhsa_next_free_vgpr 1
		.amdhsa_next_free_sgpr 0
		.amdhsa_reserve_vcc 0
		.amdhsa_reserve_flat_scratch 0
		.amdhsa_float_round_mode_32 0
		.amdhsa_float_round_mode_16_64 0
		.amdhsa_float_denorm_mode_32 3
		.amdhsa_float_denorm_mode_16_64 3
		.amdhsa_dx10_clamp 1
		.amdhsa_ieee_mode 1
		.amdhsa_fp16_overflow 0
		.amdhsa_exception_fp_ieee_invalid_op 0
		.amdhsa_exception_fp_denorm_src 0
		.amdhsa_exception_fp_ieee_div_zero 0
		.amdhsa_exception_fp_ieee_overflow 0
		.amdhsa_exception_fp_ieee_underflow 0
		.amdhsa_exception_fp_ieee_inexact 0
		.amdhsa_exception_int_div_zero 0
	.end_amdhsa_kernel
	.section	.text._ZN7rocprim17ROCPRIM_400000_NS6detail17trampoline_kernelINS0_14default_configENS1_36segmented_radix_sort_config_selectorIilEEZNS1_25segmented_radix_sort_implIS3_Lb1EPKiPiPKlPlN2at6native12_GLOBAL__N_18offset_tEEE10hipError_tPvRmT1_PNSt15iterator_traitsISK_E10value_typeET2_T3_PNSL_ISQ_E10value_typeET4_jRbjT5_SW_jjP12ihipStream_tbEUlT_E0_NS1_11comp_targetILNS1_3genE10ELNS1_11target_archE1200ELNS1_3gpuE4ELNS1_3repE0EEENS1_60segmented_radix_sort_warp_sort_medium_config_static_selectorELNS0_4arch9wavefront6targetE1EEEvSK_,"axG",@progbits,_ZN7rocprim17ROCPRIM_400000_NS6detail17trampoline_kernelINS0_14default_configENS1_36segmented_radix_sort_config_selectorIilEEZNS1_25segmented_radix_sort_implIS3_Lb1EPKiPiPKlPlN2at6native12_GLOBAL__N_18offset_tEEE10hipError_tPvRmT1_PNSt15iterator_traitsISK_E10value_typeET2_T3_PNSL_ISQ_E10value_typeET4_jRbjT5_SW_jjP12ihipStream_tbEUlT_E0_NS1_11comp_targetILNS1_3genE10ELNS1_11target_archE1200ELNS1_3gpuE4ELNS1_3repE0EEENS1_60segmented_radix_sort_warp_sort_medium_config_static_selectorELNS0_4arch9wavefront6targetE1EEEvSK_,comdat
.Lfunc_end514:
	.size	_ZN7rocprim17ROCPRIM_400000_NS6detail17trampoline_kernelINS0_14default_configENS1_36segmented_radix_sort_config_selectorIilEEZNS1_25segmented_radix_sort_implIS3_Lb1EPKiPiPKlPlN2at6native12_GLOBAL__N_18offset_tEEE10hipError_tPvRmT1_PNSt15iterator_traitsISK_E10value_typeET2_T3_PNSL_ISQ_E10value_typeET4_jRbjT5_SW_jjP12ihipStream_tbEUlT_E0_NS1_11comp_targetILNS1_3genE10ELNS1_11target_archE1200ELNS1_3gpuE4ELNS1_3repE0EEENS1_60segmented_radix_sort_warp_sort_medium_config_static_selectorELNS0_4arch9wavefront6targetE1EEEvSK_, .Lfunc_end514-_ZN7rocprim17ROCPRIM_400000_NS6detail17trampoline_kernelINS0_14default_configENS1_36segmented_radix_sort_config_selectorIilEEZNS1_25segmented_radix_sort_implIS3_Lb1EPKiPiPKlPlN2at6native12_GLOBAL__N_18offset_tEEE10hipError_tPvRmT1_PNSt15iterator_traitsISK_E10value_typeET2_T3_PNSL_ISQ_E10value_typeET4_jRbjT5_SW_jjP12ihipStream_tbEUlT_E0_NS1_11comp_targetILNS1_3genE10ELNS1_11target_archE1200ELNS1_3gpuE4ELNS1_3repE0EEENS1_60segmented_radix_sort_warp_sort_medium_config_static_selectorELNS0_4arch9wavefront6targetE1EEEvSK_
                                        ; -- End function
	.set _ZN7rocprim17ROCPRIM_400000_NS6detail17trampoline_kernelINS0_14default_configENS1_36segmented_radix_sort_config_selectorIilEEZNS1_25segmented_radix_sort_implIS3_Lb1EPKiPiPKlPlN2at6native12_GLOBAL__N_18offset_tEEE10hipError_tPvRmT1_PNSt15iterator_traitsISK_E10value_typeET2_T3_PNSL_ISQ_E10value_typeET4_jRbjT5_SW_jjP12ihipStream_tbEUlT_E0_NS1_11comp_targetILNS1_3genE10ELNS1_11target_archE1200ELNS1_3gpuE4ELNS1_3repE0EEENS1_60segmented_radix_sort_warp_sort_medium_config_static_selectorELNS0_4arch9wavefront6targetE1EEEvSK_.num_vgpr, 0
	.set _ZN7rocprim17ROCPRIM_400000_NS6detail17trampoline_kernelINS0_14default_configENS1_36segmented_radix_sort_config_selectorIilEEZNS1_25segmented_radix_sort_implIS3_Lb1EPKiPiPKlPlN2at6native12_GLOBAL__N_18offset_tEEE10hipError_tPvRmT1_PNSt15iterator_traitsISK_E10value_typeET2_T3_PNSL_ISQ_E10value_typeET4_jRbjT5_SW_jjP12ihipStream_tbEUlT_E0_NS1_11comp_targetILNS1_3genE10ELNS1_11target_archE1200ELNS1_3gpuE4ELNS1_3repE0EEENS1_60segmented_radix_sort_warp_sort_medium_config_static_selectorELNS0_4arch9wavefront6targetE1EEEvSK_.num_agpr, 0
	.set _ZN7rocprim17ROCPRIM_400000_NS6detail17trampoline_kernelINS0_14default_configENS1_36segmented_radix_sort_config_selectorIilEEZNS1_25segmented_radix_sort_implIS3_Lb1EPKiPiPKlPlN2at6native12_GLOBAL__N_18offset_tEEE10hipError_tPvRmT1_PNSt15iterator_traitsISK_E10value_typeET2_T3_PNSL_ISQ_E10value_typeET4_jRbjT5_SW_jjP12ihipStream_tbEUlT_E0_NS1_11comp_targetILNS1_3genE10ELNS1_11target_archE1200ELNS1_3gpuE4ELNS1_3repE0EEENS1_60segmented_radix_sort_warp_sort_medium_config_static_selectorELNS0_4arch9wavefront6targetE1EEEvSK_.numbered_sgpr, 0
	.set _ZN7rocprim17ROCPRIM_400000_NS6detail17trampoline_kernelINS0_14default_configENS1_36segmented_radix_sort_config_selectorIilEEZNS1_25segmented_radix_sort_implIS3_Lb1EPKiPiPKlPlN2at6native12_GLOBAL__N_18offset_tEEE10hipError_tPvRmT1_PNSt15iterator_traitsISK_E10value_typeET2_T3_PNSL_ISQ_E10value_typeET4_jRbjT5_SW_jjP12ihipStream_tbEUlT_E0_NS1_11comp_targetILNS1_3genE10ELNS1_11target_archE1200ELNS1_3gpuE4ELNS1_3repE0EEENS1_60segmented_radix_sort_warp_sort_medium_config_static_selectorELNS0_4arch9wavefront6targetE1EEEvSK_.num_named_barrier, 0
	.set _ZN7rocprim17ROCPRIM_400000_NS6detail17trampoline_kernelINS0_14default_configENS1_36segmented_radix_sort_config_selectorIilEEZNS1_25segmented_radix_sort_implIS3_Lb1EPKiPiPKlPlN2at6native12_GLOBAL__N_18offset_tEEE10hipError_tPvRmT1_PNSt15iterator_traitsISK_E10value_typeET2_T3_PNSL_ISQ_E10value_typeET4_jRbjT5_SW_jjP12ihipStream_tbEUlT_E0_NS1_11comp_targetILNS1_3genE10ELNS1_11target_archE1200ELNS1_3gpuE4ELNS1_3repE0EEENS1_60segmented_radix_sort_warp_sort_medium_config_static_selectorELNS0_4arch9wavefront6targetE1EEEvSK_.private_seg_size, 0
	.set _ZN7rocprim17ROCPRIM_400000_NS6detail17trampoline_kernelINS0_14default_configENS1_36segmented_radix_sort_config_selectorIilEEZNS1_25segmented_radix_sort_implIS3_Lb1EPKiPiPKlPlN2at6native12_GLOBAL__N_18offset_tEEE10hipError_tPvRmT1_PNSt15iterator_traitsISK_E10value_typeET2_T3_PNSL_ISQ_E10value_typeET4_jRbjT5_SW_jjP12ihipStream_tbEUlT_E0_NS1_11comp_targetILNS1_3genE10ELNS1_11target_archE1200ELNS1_3gpuE4ELNS1_3repE0EEENS1_60segmented_radix_sort_warp_sort_medium_config_static_selectorELNS0_4arch9wavefront6targetE1EEEvSK_.uses_vcc, 0
	.set _ZN7rocprim17ROCPRIM_400000_NS6detail17trampoline_kernelINS0_14default_configENS1_36segmented_radix_sort_config_selectorIilEEZNS1_25segmented_radix_sort_implIS3_Lb1EPKiPiPKlPlN2at6native12_GLOBAL__N_18offset_tEEE10hipError_tPvRmT1_PNSt15iterator_traitsISK_E10value_typeET2_T3_PNSL_ISQ_E10value_typeET4_jRbjT5_SW_jjP12ihipStream_tbEUlT_E0_NS1_11comp_targetILNS1_3genE10ELNS1_11target_archE1200ELNS1_3gpuE4ELNS1_3repE0EEENS1_60segmented_radix_sort_warp_sort_medium_config_static_selectorELNS0_4arch9wavefront6targetE1EEEvSK_.uses_flat_scratch, 0
	.set _ZN7rocprim17ROCPRIM_400000_NS6detail17trampoline_kernelINS0_14default_configENS1_36segmented_radix_sort_config_selectorIilEEZNS1_25segmented_radix_sort_implIS3_Lb1EPKiPiPKlPlN2at6native12_GLOBAL__N_18offset_tEEE10hipError_tPvRmT1_PNSt15iterator_traitsISK_E10value_typeET2_T3_PNSL_ISQ_E10value_typeET4_jRbjT5_SW_jjP12ihipStream_tbEUlT_E0_NS1_11comp_targetILNS1_3genE10ELNS1_11target_archE1200ELNS1_3gpuE4ELNS1_3repE0EEENS1_60segmented_radix_sort_warp_sort_medium_config_static_selectorELNS0_4arch9wavefront6targetE1EEEvSK_.has_dyn_sized_stack, 0
	.set _ZN7rocprim17ROCPRIM_400000_NS6detail17trampoline_kernelINS0_14default_configENS1_36segmented_radix_sort_config_selectorIilEEZNS1_25segmented_radix_sort_implIS3_Lb1EPKiPiPKlPlN2at6native12_GLOBAL__N_18offset_tEEE10hipError_tPvRmT1_PNSt15iterator_traitsISK_E10value_typeET2_T3_PNSL_ISQ_E10value_typeET4_jRbjT5_SW_jjP12ihipStream_tbEUlT_E0_NS1_11comp_targetILNS1_3genE10ELNS1_11target_archE1200ELNS1_3gpuE4ELNS1_3repE0EEENS1_60segmented_radix_sort_warp_sort_medium_config_static_selectorELNS0_4arch9wavefront6targetE1EEEvSK_.has_recursion, 0
	.set _ZN7rocprim17ROCPRIM_400000_NS6detail17trampoline_kernelINS0_14default_configENS1_36segmented_radix_sort_config_selectorIilEEZNS1_25segmented_radix_sort_implIS3_Lb1EPKiPiPKlPlN2at6native12_GLOBAL__N_18offset_tEEE10hipError_tPvRmT1_PNSt15iterator_traitsISK_E10value_typeET2_T3_PNSL_ISQ_E10value_typeET4_jRbjT5_SW_jjP12ihipStream_tbEUlT_E0_NS1_11comp_targetILNS1_3genE10ELNS1_11target_archE1200ELNS1_3gpuE4ELNS1_3repE0EEENS1_60segmented_radix_sort_warp_sort_medium_config_static_selectorELNS0_4arch9wavefront6targetE1EEEvSK_.has_indirect_call, 0
	.section	.AMDGPU.csdata,"",@progbits
; Kernel info:
; codeLenInByte = 0
; TotalNumSgprs: 4
; NumVgprs: 0
; ScratchSize: 0
; MemoryBound: 0
; FloatMode: 240
; IeeeMode: 1
; LDSByteSize: 0 bytes/workgroup (compile time only)
; SGPRBlocks: 0
; VGPRBlocks: 0
; NumSGPRsForWavesPerEU: 4
; NumVGPRsForWavesPerEU: 1
; Occupancy: 10
; WaveLimiterHint : 0
; COMPUTE_PGM_RSRC2:SCRATCH_EN: 0
; COMPUTE_PGM_RSRC2:USER_SGPR: 6
; COMPUTE_PGM_RSRC2:TRAP_HANDLER: 0
; COMPUTE_PGM_RSRC2:TGID_X_EN: 1
; COMPUTE_PGM_RSRC2:TGID_Y_EN: 0
; COMPUTE_PGM_RSRC2:TGID_Z_EN: 0
; COMPUTE_PGM_RSRC2:TIDIG_COMP_CNT: 0
	.section	.text._ZN7rocprim17ROCPRIM_400000_NS6detail17trampoline_kernelINS0_14default_configENS1_36segmented_radix_sort_config_selectorIilEEZNS1_25segmented_radix_sort_implIS3_Lb1EPKiPiPKlPlN2at6native12_GLOBAL__N_18offset_tEEE10hipError_tPvRmT1_PNSt15iterator_traitsISK_E10value_typeET2_T3_PNSL_ISQ_E10value_typeET4_jRbjT5_SW_jjP12ihipStream_tbEUlT_E0_NS1_11comp_targetILNS1_3genE9ELNS1_11target_archE1100ELNS1_3gpuE3ELNS1_3repE0EEENS1_60segmented_radix_sort_warp_sort_medium_config_static_selectorELNS0_4arch9wavefront6targetE1EEEvSK_,"axG",@progbits,_ZN7rocprim17ROCPRIM_400000_NS6detail17trampoline_kernelINS0_14default_configENS1_36segmented_radix_sort_config_selectorIilEEZNS1_25segmented_radix_sort_implIS3_Lb1EPKiPiPKlPlN2at6native12_GLOBAL__N_18offset_tEEE10hipError_tPvRmT1_PNSt15iterator_traitsISK_E10value_typeET2_T3_PNSL_ISQ_E10value_typeET4_jRbjT5_SW_jjP12ihipStream_tbEUlT_E0_NS1_11comp_targetILNS1_3genE9ELNS1_11target_archE1100ELNS1_3gpuE3ELNS1_3repE0EEENS1_60segmented_radix_sort_warp_sort_medium_config_static_selectorELNS0_4arch9wavefront6targetE1EEEvSK_,comdat
	.globl	_ZN7rocprim17ROCPRIM_400000_NS6detail17trampoline_kernelINS0_14default_configENS1_36segmented_radix_sort_config_selectorIilEEZNS1_25segmented_radix_sort_implIS3_Lb1EPKiPiPKlPlN2at6native12_GLOBAL__N_18offset_tEEE10hipError_tPvRmT1_PNSt15iterator_traitsISK_E10value_typeET2_T3_PNSL_ISQ_E10value_typeET4_jRbjT5_SW_jjP12ihipStream_tbEUlT_E0_NS1_11comp_targetILNS1_3genE9ELNS1_11target_archE1100ELNS1_3gpuE3ELNS1_3repE0EEENS1_60segmented_radix_sort_warp_sort_medium_config_static_selectorELNS0_4arch9wavefront6targetE1EEEvSK_ ; -- Begin function _ZN7rocprim17ROCPRIM_400000_NS6detail17trampoline_kernelINS0_14default_configENS1_36segmented_radix_sort_config_selectorIilEEZNS1_25segmented_radix_sort_implIS3_Lb1EPKiPiPKlPlN2at6native12_GLOBAL__N_18offset_tEEE10hipError_tPvRmT1_PNSt15iterator_traitsISK_E10value_typeET2_T3_PNSL_ISQ_E10value_typeET4_jRbjT5_SW_jjP12ihipStream_tbEUlT_E0_NS1_11comp_targetILNS1_3genE9ELNS1_11target_archE1100ELNS1_3gpuE3ELNS1_3repE0EEENS1_60segmented_radix_sort_warp_sort_medium_config_static_selectorELNS0_4arch9wavefront6targetE1EEEvSK_
	.p2align	8
	.type	_ZN7rocprim17ROCPRIM_400000_NS6detail17trampoline_kernelINS0_14default_configENS1_36segmented_radix_sort_config_selectorIilEEZNS1_25segmented_radix_sort_implIS3_Lb1EPKiPiPKlPlN2at6native12_GLOBAL__N_18offset_tEEE10hipError_tPvRmT1_PNSt15iterator_traitsISK_E10value_typeET2_T3_PNSL_ISQ_E10value_typeET4_jRbjT5_SW_jjP12ihipStream_tbEUlT_E0_NS1_11comp_targetILNS1_3genE9ELNS1_11target_archE1100ELNS1_3gpuE3ELNS1_3repE0EEENS1_60segmented_radix_sort_warp_sort_medium_config_static_selectorELNS0_4arch9wavefront6targetE1EEEvSK_,@function
_ZN7rocprim17ROCPRIM_400000_NS6detail17trampoline_kernelINS0_14default_configENS1_36segmented_radix_sort_config_selectorIilEEZNS1_25segmented_radix_sort_implIS3_Lb1EPKiPiPKlPlN2at6native12_GLOBAL__N_18offset_tEEE10hipError_tPvRmT1_PNSt15iterator_traitsISK_E10value_typeET2_T3_PNSL_ISQ_E10value_typeET4_jRbjT5_SW_jjP12ihipStream_tbEUlT_E0_NS1_11comp_targetILNS1_3genE9ELNS1_11target_archE1100ELNS1_3gpuE3ELNS1_3repE0EEENS1_60segmented_radix_sort_warp_sort_medium_config_static_selectorELNS0_4arch9wavefront6targetE1EEEvSK_: ; @_ZN7rocprim17ROCPRIM_400000_NS6detail17trampoline_kernelINS0_14default_configENS1_36segmented_radix_sort_config_selectorIilEEZNS1_25segmented_radix_sort_implIS3_Lb1EPKiPiPKlPlN2at6native12_GLOBAL__N_18offset_tEEE10hipError_tPvRmT1_PNSt15iterator_traitsISK_E10value_typeET2_T3_PNSL_ISQ_E10value_typeET4_jRbjT5_SW_jjP12ihipStream_tbEUlT_E0_NS1_11comp_targetILNS1_3genE9ELNS1_11target_archE1100ELNS1_3gpuE3ELNS1_3repE0EEENS1_60segmented_radix_sort_warp_sort_medium_config_static_selectorELNS0_4arch9wavefront6targetE1EEEvSK_
; %bb.0:
	.section	.rodata,"a",@progbits
	.p2align	6, 0x0
	.amdhsa_kernel _ZN7rocprim17ROCPRIM_400000_NS6detail17trampoline_kernelINS0_14default_configENS1_36segmented_radix_sort_config_selectorIilEEZNS1_25segmented_radix_sort_implIS3_Lb1EPKiPiPKlPlN2at6native12_GLOBAL__N_18offset_tEEE10hipError_tPvRmT1_PNSt15iterator_traitsISK_E10value_typeET2_T3_PNSL_ISQ_E10value_typeET4_jRbjT5_SW_jjP12ihipStream_tbEUlT_E0_NS1_11comp_targetILNS1_3genE9ELNS1_11target_archE1100ELNS1_3gpuE3ELNS1_3repE0EEENS1_60segmented_radix_sort_warp_sort_medium_config_static_selectorELNS0_4arch9wavefront6targetE1EEEvSK_
		.amdhsa_group_segment_fixed_size 0
		.amdhsa_private_segment_fixed_size 0
		.amdhsa_kernarg_size 88
		.amdhsa_user_sgpr_count 6
		.amdhsa_user_sgpr_private_segment_buffer 1
		.amdhsa_user_sgpr_dispatch_ptr 0
		.amdhsa_user_sgpr_queue_ptr 0
		.amdhsa_user_sgpr_kernarg_segment_ptr 1
		.amdhsa_user_sgpr_dispatch_id 0
		.amdhsa_user_sgpr_flat_scratch_init 0
		.amdhsa_user_sgpr_private_segment_size 0
		.amdhsa_uses_dynamic_stack 0
		.amdhsa_system_sgpr_private_segment_wavefront_offset 0
		.amdhsa_system_sgpr_workgroup_id_x 1
		.amdhsa_system_sgpr_workgroup_id_y 0
		.amdhsa_system_sgpr_workgroup_id_z 0
		.amdhsa_system_sgpr_workgroup_info 0
		.amdhsa_system_vgpr_workitem_id 0
		.amdhsa_next_free_vgpr 1
		.amdhsa_next_free_sgpr 0
		.amdhsa_reserve_vcc 0
		.amdhsa_reserve_flat_scratch 0
		.amdhsa_float_round_mode_32 0
		.amdhsa_float_round_mode_16_64 0
		.amdhsa_float_denorm_mode_32 3
		.amdhsa_float_denorm_mode_16_64 3
		.amdhsa_dx10_clamp 1
		.amdhsa_ieee_mode 1
		.amdhsa_fp16_overflow 0
		.amdhsa_exception_fp_ieee_invalid_op 0
		.amdhsa_exception_fp_denorm_src 0
		.amdhsa_exception_fp_ieee_div_zero 0
		.amdhsa_exception_fp_ieee_overflow 0
		.amdhsa_exception_fp_ieee_underflow 0
		.amdhsa_exception_fp_ieee_inexact 0
		.amdhsa_exception_int_div_zero 0
	.end_amdhsa_kernel
	.section	.text._ZN7rocprim17ROCPRIM_400000_NS6detail17trampoline_kernelINS0_14default_configENS1_36segmented_radix_sort_config_selectorIilEEZNS1_25segmented_radix_sort_implIS3_Lb1EPKiPiPKlPlN2at6native12_GLOBAL__N_18offset_tEEE10hipError_tPvRmT1_PNSt15iterator_traitsISK_E10value_typeET2_T3_PNSL_ISQ_E10value_typeET4_jRbjT5_SW_jjP12ihipStream_tbEUlT_E0_NS1_11comp_targetILNS1_3genE9ELNS1_11target_archE1100ELNS1_3gpuE3ELNS1_3repE0EEENS1_60segmented_radix_sort_warp_sort_medium_config_static_selectorELNS0_4arch9wavefront6targetE1EEEvSK_,"axG",@progbits,_ZN7rocprim17ROCPRIM_400000_NS6detail17trampoline_kernelINS0_14default_configENS1_36segmented_radix_sort_config_selectorIilEEZNS1_25segmented_radix_sort_implIS3_Lb1EPKiPiPKlPlN2at6native12_GLOBAL__N_18offset_tEEE10hipError_tPvRmT1_PNSt15iterator_traitsISK_E10value_typeET2_T3_PNSL_ISQ_E10value_typeET4_jRbjT5_SW_jjP12ihipStream_tbEUlT_E0_NS1_11comp_targetILNS1_3genE9ELNS1_11target_archE1100ELNS1_3gpuE3ELNS1_3repE0EEENS1_60segmented_radix_sort_warp_sort_medium_config_static_selectorELNS0_4arch9wavefront6targetE1EEEvSK_,comdat
.Lfunc_end515:
	.size	_ZN7rocprim17ROCPRIM_400000_NS6detail17trampoline_kernelINS0_14default_configENS1_36segmented_radix_sort_config_selectorIilEEZNS1_25segmented_radix_sort_implIS3_Lb1EPKiPiPKlPlN2at6native12_GLOBAL__N_18offset_tEEE10hipError_tPvRmT1_PNSt15iterator_traitsISK_E10value_typeET2_T3_PNSL_ISQ_E10value_typeET4_jRbjT5_SW_jjP12ihipStream_tbEUlT_E0_NS1_11comp_targetILNS1_3genE9ELNS1_11target_archE1100ELNS1_3gpuE3ELNS1_3repE0EEENS1_60segmented_radix_sort_warp_sort_medium_config_static_selectorELNS0_4arch9wavefront6targetE1EEEvSK_, .Lfunc_end515-_ZN7rocprim17ROCPRIM_400000_NS6detail17trampoline_kernelINS0_14default_configENS1_36segmented_radix_sort_config_selectorIilEEZNS1_25segmented_radix_sort_implIS3_Lb1EPKiPiPKlPlN2at6native12_GLOBAL__N_18offset_tEEE10hipError_tPvRmT1_PNSt15iterator_traitsISK_E10value_typeET2_T3_PNSL_ISQ_E10value_typeET4_jRbjT5_SW_jjP12ihipStream_tbEUlT_E0_NS1_11comp_targetILNS1_3genE9ELNS1_11target_archE1100ELNS1_3gpuE3ELNS1_3repE0EEENS1_60segmented_radix_sort_warp_sort_medium_config_static_selectorELNS0_4arch9wavefront6targetE1EEEvSK_
                                        ; -- End function
	.set _ZN7rocprim17ROCPRIM_400000_NS6detail17trampoline_kernelINS0_14default_configENS1_36segmented_radix_sort_config_selectorIilEEZNS1_25segmented_radix_sort_implIS3_Lb1EPKiPiPKlPlN2at6native12_GLOBAL__N_18offset_tEEE10hipError_tPvRmT1_PNSt15iterator_traitsISK_E10value_typeET2_T3_PNSL_ISQ_E10value_typeET4_jRbjT5_SW_jjP12ihipStream_tbEUlT_E0_NS1_11comp_targetILNS1_3genE9ELNS1_11target_archE1100ELNS1_3gpuE3ELNS1_3repE0EEENS1_60segmented_radix_sort_warp_sort_medium_config_static_selectorELNS0_4arch9wavefront6targetE1EEEvSK_.num_vgpr, 0
	.set _ZN7rocprim17ROCPRIM_400000_NS6detail17trampoline_kernelINS0_14default_configENS1_36segmented_radix_sort_config_selectorIilEEZNS1_25segmented_radix_sort_implIS3_Lb1EPKiPiPKlPlN2at6native12_GLOBAL__N_18offset_tEEE10hipError_tPvRmT1_PNSt15iterator_traitsISK_E10value_typeET2_T3_PNSL_ISQ_E10value_typeET4_jRbjT5_SW_jjP12ihipStream_tbEUlT_E0_NS1_11comp_targetILNS1_3genE9ELNS1_11target_archE1100ELNS1_3gpuE3ELNS1_3repE0EEENS1_60segmented_radix_sort_warp_sort_medium_config_static_selectorELNS0_4arch9wavefront6targetE1EEEvSK_.num_agpr, 0
	.set _ZN7rocprim17ROCPRIM_400000_NS6detail17trampoline_kernelINS0_14default_configENS1_36segmented_radix_sort_config_selectorIilEEZNS1_25segmented_radix_sort_implIS3_Lb1EPKiPiPKlPlN2at6native12_GLOBAL__N_18offset_tEEE10hipError_tPvRmT1_PNSt15iterator_traitsISK_E10value_typeET2_T3_PNSL_ISQ_E10value_typeET4_jRbjT5_SW_jjP12ihipStream_tbEUlT_E0_NS1_11comp_targetILNS1_3genE9ELNS1_11target_archE1100ELNS1_3gpuE3ELNS1_3repE0EEENS1_60segmented_radix_sort_warp_sort_medium_config_static_selectorELNS0_4arch9wavefront6targetE1EEEvSK_.numbered_sgpr, 0
	.set _ZN7rocprim17ROCPRIM_400000_NS6detail17trampoline_kernelINS0_14default_configENS1_36segmented_radix_sort_config_selectorIilEEZNS1_25segmented_radix_sort_implIS3_Lb1EPKiPiPKlPlN2at6native12_GLOBAL__N_18offset_tEEE10hipError_tPvRmT1_PNSt15iterator_traitsISK_E10value_typeET2_T3_PNSL_ISQ_E10value_typeET4_jRbjT5_SW_jjP12ihipStream_tbEUlT_E0_NS1_11comp_targetILNS1_3genE9ELNS1_11target_archE1100ELNS1_3gpuE3ELNS1_3repE0EEENS1_60segmented_radix_sort_warp_sort_medium_config_static_selectorELNS0_4arch9wavefront6targetE1EEEvSK_.num_named_barrier, 0
	.set _ZN7rocprim17ROCPRIM_400000_NS6detail17trampoline_kernelINS0_14default_configENS1_36segmented_radix_sort_config_selectorIilEEZNS1_25segmented_radix_sort_implIS3_Lb1EPKiPiPKlPlN2at6native12_GLOBAL__N_18offset_tEEE10hipError_tPvRmT1_PNSt15iterator_traitsISK_E10value_typeET2_T3_PNSL_ISQ_E10value_typeET4_jRbjT5_SW_jjP12ihipStream_tbEUlT_E0_NS1_11comp_targetILNS1_3genE9ELNS1_11target_archE1100ELNS1_3gpuE3ELNS1_3repE0EEENS1_60segmented_radix_sort_warp_sort_medium_config_static_selectorELNS0_4arch9wavefront6targetE1EEEvSK_.private_seg_size, 0
	.set _ZN7rocprim17ROCPRIM_400000_NS6detail17trampoline_kernelINS0_14default_configENS1_36segmented_radix_sort_config_selectorIilEEZNS1_25segmented_radix_sort_implIS3_Lb1EPKiPiPKlPlN2at6native12_GLOBAL__N_18offset_tEEE10hipError_tPvRmT1_PNSt15iterator_traitsISK_E10value_typeET2_T3_PNSL_ISQ_E10value_typeET4_jRbjT5_SW_jjP12ihipStream_tbEUlT_E0_NS1_11comp_targetILNS1_3genE9ELNS1_11target_archE1100ELNS1_3gpuE3ELNS1_3repE0EEENS1_60segmented_radix_sort_warp_sort_medium_config_static_selectorELNS0_4arch9wavefront6targetE1EEEvSK_.uses_vcc, 0
	.set _ZN7rocprim17ROCPRIM_400000_NS6detail17trampoline_kernelINS0_14default_configENS1_36segmented_radix_sort_config_selectorIilEEZNS1_25segmented_radix_sort_implIS3_Lb1EPKiPiPKlPlN2at6native12_GLOBAL__N_18offset_tEEE10hipError_tPvRmT1_PNSt15iterator_traitsISK_E10value_typeET2_T3_PNSL_ISQ_E10value_typeET4_jRbjT5_SW_jjP12ihipStream_tbEUlT_E0_NS1_11comp_targetILNS1_3genE9ELNS1_11target_archE1100ELNS1_3gpuE3ELNS1_3repE0EEENS1_60segmented_radix_sort_warp_sort_medium_config_static_selectorELNS0_4arch9wavefront6targetE1EEEvSK_.uses_flat_scratch, 0
	.set _ZN7rocprim17ROCPRIM_400000_NS6detail17trampoline_kernelINS0_14default_configENS1_36segmented_radix_sort_config_selectorIilEEZNS1_25segmented_radix_sort_implIS3_Lb1EPKiPiPKlPlN2at6native12_GLOBAL__N_18offset_tEEE10hipError_tPvRmT1_PNSt15iterator_traitsISK_E10value_typeET2_T3_PNSL_ISQ_E10value_typeET4_jRbjT5_SW_jjP12ihipStream_tbEUlT_E0_NS1_11comp_targetILNS1_3genE9ELNS1_11target_archE1100ELNS1_3gpuE3ELNS1_3repE0EEENS1_60segmented_radix_sort_warp_sort_medium_config_static_selectorELNS0_4arch9wavefront6targetE1EEEvSK_.has_dyn_sized_stack, 0
	.set _ZN7rocprim17ROCPRIM_400000_NS6detail17trampoline_kernelINS0_14default_configENS1_36segmented_radix_sort_config_selectorIilEEZNS1_25segmented_radix_sort_implIS3_Lb1EPKiPiPKlPlN2at6native12_GLOBAL__N_18offset_tEEE10hipError_tPvRmT1_PNSt15iterator_traitsISK_E10value_typeET2_T3_PNSL_ISQ_E10value_typeET4_jRbjT5_SW_jjP12ihipStream_tbEUlT_E0_NS1_11comp_targetILNS1_3genE9ELNS1_11target_archE1100ELNS1_3gpuE3ELNS1_3repE0EEENS1_60segmented_radix_sort_warp_sort_medium_config_static_selectorELNS0_4arch9wavefront6targetE1EEEvSK_.has_recursion, 0
	.set _ZN7rocprim17ROCPRIM_400000_NS6detail17trampoline_kernelINS0_14default_configENS1_36segmented_radix_sort_config_selectorIilEEZNS1_25segmented_radix_sort_implIS3_Lb1EPKiPiPKlPlN2at6native12_GLOBAL__N_18offset_tEEE10hipError_tPvRmT1_PNSt15iterator_traitsISK_E10value_typeET2_T3_PNSL_ISQ_E10value_typeET4_jRbjT5_SW_jjP12ihipStream_tbEUlT_E0_NS1_11comp_targetILNS1_3genE9ELNS1_11target_archE1100ELNS1_3gpuE3ELNS1_3repE0EEENS1_60segmented_radix_sort_warp_sort_medium_config_static_selectorELNS0_4arch9wavefront6targetE1EEEvSK_.has_indirect_call, 0
	.section	.AMDGPU.csdata,"",@progbits
; Kernel info:
; codeLenInByte = 0
; TotalNumSgprs: 4
; NumVgprs: 0
; ScratchSize: 0
; MemoryBound: 0
; FloatMode: 240
; IeeeMode: 1
; LDSByteSize: 0 bytes/workgroup (compile time only)
; SGPRBlocks: 0
; VGPRBlocks: 0
; NumSGPRsForWavesPerEU: 4
; NumVGPRsForWavesPerEU: 1
; Occupancy: 10
; WaveLimiterHint : 0
; COMPUTE_PGM_RSRC2:SCRATCH_EN: 0
; COMPUTE_PGM_RSRC2:USER_SGPR: 6
; COMPUTE_PGM_RSRC2:TRAP_HANDLER: 0
; COMPUTE_PGM_RSRC2:TGID_X_EN: 1
; COMPUTE_PGM_RSRC2:TGID_Y_EN: 0
; COMPUTE_PGM_RSRC2:TGID_Z_EN: 0
; COMPUTE_PGM_RSRC2:TIDIG_COMP_CNT: 0
	.section	.text._ZN7rocprim17ROCPRIM_400000_NS6detail17trampoline_kernelINS0_14default_configENS1_36segmented_radix_sort_config_selectorIilEEZNS1_25segmented_radix_sort_implIS3_Lb1EPKiPiPKlPlN2at6native12_GLOBAL__N_18offset_tEEE10hipError_tPvRmT1_PNSt15iterator_traitsISK_E10value_typeET2_T3_PNSL_ISQ_E10value_typeET4_jRbjT5_SW_jjP12ihipStream_tbEUlT_E0_NS1_11comp_targetILNS1_3genE8ELNS1_11target_archE1030ELNS1_3gpuE2ELNS1_3repE0EEENS1_60segmented_radix_sort_warp_sort_medium_config_static_selectorELNS0_4arch9wavefront6targetE1EEEvSK_,"axG",@progbits,_ZN7rocprim17ROCPRIM_400000_NS6detail17trampoline_kernelINS0_14default_configENS1_36segmented_radix_sort_config_selectorIilEEZNS1_25segmented_radix_sort_implIS3_Lb1EPKiPiPKlPlN2at6native12_GLOBAL__N_18offset_tEEE10hipError_tPvRmT1_PNSt15iterator_traitsISK_E10value_typeET2_T3_PNSL_ISQ_E10value_typeET4_jRbjT5_SW_jjP12ihipStream_tbEUlT_E0_NS1_11comp_targetILNS1_3genE8ELNS1_11target_archE1030ELNS1_3gpuE2ELNS1_3repE0EEENS1_60segmented_radix_sort_warp_sort_medium_config_static_selectorELNS0_4arch9wavefront6targetE1EEEvSK_,comdat
	.globl	_ZN7rocprim17ROCPRIM_400000_NS6detail17trampoline_kernelINS0_14default_configENS1_36segmented_radix_sort_config_selectorIilEEZNS1_25segmented_radix_sort_implIS3_Lb1EPKiPiPKlPlN2at6native12_GLOBAL__N_18offset_tEEE10hipError_tPvRmT1_PNSt15iterator_traitsISK_E10value_typeET2_T3_PNSL_ISQ_E10value_typeET4_jRbjT5_SW_jjP12ihipStream_tbEUlT_E0_NS1_11comp_targetILNS1_3genE8ELNS1_11target_archE1030ELNS1_3gpuE2ELNS1_3repE0EEENS1_60segmented_radix_sort_warp_sort_medium_config_static_selectorELNS0_4arch9wavefront6targetE1EEEvSK_ ; -- Begin function _ZN7rocprim17ROCPRIM_400000_NS6detail17trampoline_kernelINS0_14default_configENS1_36segmented_radix_sort_config_selectorIilEEZNS1_25segmented_radix_sort_implIS3_Lb1EPKiPiPKlPlN2at6native12_GLOBAL__N_18offset_tEEE10hipError_tPvRmT1_PNSt15iterator_traitsISK_E10value_typeET2_T3_PNSL_ISQ_E10value_typeET4_jRbjT5_SW_jjP12ihipStream_tbEUlT_E0_NS1_11comp_targetILNS1_3genE8ELNS1_11target_archE1030ELNS1_3gpuE2ELNS1_3repE0EEENS1_60segmented_radix_sort_warp_sort_medium_config_static_selectorELNS0_4arch9wavefront6targetE1EEEvSK_
	.p2align	8
	.type	_ZN7rocprim17ROCPRIM_400000_NS6detail17trampoline_kernelINS0_14default_configENS1_36segmented_radix_sort_config_selectorIilEEZNS1_25segmented_radix_sort_implIS3_Lb1EPKiPiPKlPlN2at6native12_GLOBAL__N_18offset_tEEE10hipError_tPvRmT1_PNSt15iterator_traitsISK_E10value_typeET2_T3_PNSL_ISQ_E10value_typeET4_jRbjT5_SW_jjP12ihipStream_tbEUlT_E0_NS1_11comp_targetILNS1_3genE8ELNS1_11target_archE1030ELNS1_3gpuE2ELNS1_3repE0EEENS1_60segmented_radix_sort_warp_sort_medium_config_static_selectorELNS0_4arch9wavefront6targetE1EEEvSK_,@function
_ZN7rocprim17ROCPRIM_400000_NS6detail17trampoline_kernelINS0_14default_configENS1_36segmented_radix_sort_config_selectorIilEEZNS1_25segmented_radix_sort_implIS3_Lb1EPKiPiPKlPlN2at6native12_GLOBAL__N_18offset_tEEE10hipError_tPvRmT1_PNSt15iterator_traitsISK_E10value_typeET2_T3_PNSL_ISQ_E10value_typeET4_jRbjT5_SW_jjP12ihipStream_tbEUlT_E0_NS1_11comp_targetILNS1_3genE8ELNS1_11target_archE1030ELNS1_3gpuE2ELNS1_3repE0EEENS1_60segmented_radix_sort_warp_sort_medium_config_static_selectorELNS0_4arch9wavefront6targetE1EEEvSK_: ; @_ZN7rocprim17ROCPRIM_400000_NS6detail17trampoline_kernelINS0_14default_configENS1_36segmented_radix_sort_config_selectorIilEEZNS1_25segmented_radix_sort_implIS3_Lb1EPKiPiPKlPlN2at6native12_GLOBAL__N_18offset_tEEE10hipError_tPvRmT1_PNSt15iterator_traitsISK_E10value_typeET2_T3_PNSL_ISQ_E10value_typeET4_jRbjT5_SW_jjP12ihipStream_tbEUlT_E0_NS1_11comp_targetILNS1_3genE8ELNS1_11target_archE1030ELNS1_3gpuE2ELNS1_3repE0EEENS1_60segmented_radix_sort_warp_sort_medium_config_static_selectorELNS0_4arch9wavefront6targetE1EEEvSK_
; %bb.0:
	.section	.rodata,"a",@progbits
	.p2align	6, 0x0
	.amdhsa_kernel _ZN7rocprim17ROCPRIM_400000_NS6detail17trampoline_kernelINS0_14default_configENS1_36segmented_radix_sort_config_selectorIilEEZNS1_25segmented_radix_sort_implIS3_Lb1EPKiPiPKlPlN2at6native12_GLOBAL__N_18offset_tEEE10hipError_tPvRmT1_PNSt15iterator_traitsISK_E10value_typeET2_T3_PNSL_ISQ_E10value_typeET4_jRbjT5_SW_jjP12ihipStream_tbEUlT_E0_NS1_11comp_targetILNS1_3genE8ELNS1_11target_archE1030ELNS1_3gpuE2ELNS1_3repE0EEENS1_60segmented_radix_sort_warp_sort_medium_config_static_selectorELNS0_4arch9wavefront6targetE1EEEvSK_
		.amdhsa_group_segment_fixed_size 0
		.amdhsa_private_segment_fixed_size 0
		.amdhsa_kernarg_size 88
		.amdhsa_user_sgpr_count 6
		.amdhsa_user_sgpr_private_segment_buffer 1
		.amdhsa_user_sgpr_dispatch_ptr 0
		.amdhsa_user_sgpr_queue_ptr 0
		.amdhsa_user_sgpr_kernarg_segment_ptr 1
		.amdhsa_user_sgpr_dispatch_id 0
		.amdhsa_user_sgpr_flat_scratch_init 0
		.amdhsa_user_sgpr_private_segment_size 0
		.amdhsa_uses_dynamic_stack 0
		.amdhsa_system_sgpr_private_segment_wavefront_offset 0
		.amdhsa_system_sgpr_workgroup_id_x 1
		.amdhsa_system_sgpr_workgroup_id_y 0
		.amdhsa_system_sgpr_workgroup_id_z 0
		.amdhsa_system_sgpr_workgroup_info 0
		.amdhsa_system_vgpr_workitem_id 0
		.amdhsa_next_free_vgpr 1
		.amdhsa_next_free_sgpr 0
		.amdhsa_reserve_vcc 0
		.amdhsa_reserve_flat_scratch 0
		.amdhsa_float_round_mode_32 0
		.amdhsa_float_round_mode_16_64 0
		.amdhsa_float_denorm_mode_32 3
		.amdhsa_float_denorm_mode_16_64 3
		.amdhsa_dx10_clamp 1
		.amdhsa_ieee_mode 1
		.amdhsa_fp16_overflow 0
		.amdhsa_exception_fp_ieee_invalid_op 0
		.amdhsa_exception_fp_denorm_src 0
		.amdhsa_exception_fp_ieee_div_zero 0
		.amdhsa_exception_fp_ieee_overflow 0
		.amdhsa_exception_fp_ieee_underflow 0
		.amdhsa_exception_fp_ieee_inexact 0
		.amdhsa_exception_int_div_zero 0
	.end_amdhsa_kernel
	.section	.text._ZN7rocprim17ROCPRIM_400000_NS6detail17trampoline_kernelINS0_14default_configENS1_36segmented_radix_sort_config_selectorIilEEZNS1_25segmented_radix_sort_implIS3_Lb1EPKiPiPKlPlN2at6native12_GLOBAL__N_18offset_tEEE10hipError_tPvRmT1_PNSt15iterator_traitsISK_E10value_typeET2_T3_PNSL_ISQ_E10value_typeET4_jRbjT5_SW_jjP12ihipStream_tbEUlT_E0_NS1_11comp_targetILNS1_3genE8ELNS1_11target_archE1030ELNS1_3gpuE2ELNS1_3repE0EEENS1_60segmented_radix_sort_warp_sort_medium_config_static_selectorELNS0_4arch9wavefront6targetE1EEEvSK_,"axG",@progbits,_ZN7rocprim17ROCPRIM_400000_NS6detail17trampoline_kernelINS0_14default_configENS1_36segmented_radix_sort_config_selectorIilEEZNS1_25segmented_radix_sort_implIS3_Lb1EPKiPiPKlPlN2at6native12_GLOBAL__N_18offset_tEEE10hipError_tPvRmT1_PNSt15iterator_traitsISK_E10value_typeET2_T3_PNSL_ISQ_E10value_typeET4_jRbjT5_SW_jjP12ihipStream_tbEUlT_E0_NS1_11comp_targetILNS1_3genE8ELNS1_11target_archE1030ELNS1_3gpuE2ELNS1_3repE0EEENS1_60segmented_radix_sort_warp_sort_medium_config_static_selectorELNS0_4arch9wavefront6targetE1EEEvSK_,comdat
.Lfunc_end516:
	.size	_ZN7rocprim17ROCPRIM_400000_NS6detail17trampoline_kernelINS0_14default_configENS1_36segmented_radix_sort_config_selectorIilEEZNS1_25segmented_radix_sort_implIS3_Lb1EPKiPiPKlPlN2at6native12_GLOBAL__N_18offset_tEEE10hipError_tPvRmT1_PNSt15iterator_traitsISK_E10value_typeET2_T3_PNSL_ISQ_E10value_typeET4_jRbjT5_SW_jjP12ihipStream_tbEUlT_E0_NS1_11comp_targetILNS1_3genE8ELNS1_11target_archE1030ELNS1_3gpuE2ELNS1_3repE0EEENS1_60segmented_radix_sort_warp_sort_medium_config_static_selectorELNS0_4arch9wavefront6targetE1EEEvSK_, .Lfunc_end516-_ZN7rocprim17ROCPRIM_400000_NS6detail17trampoline_kernelINS0_14default_configENS1_36segmented_radix_sort_config_selectorIilEEZNS1_25segmented_radix_sort_implIS3_Lb1EPKiPiPKlPlN2at6native12_GLOBAL__N_18offset_tEEE10hipError_tPvRmT1_PNSt15iterator_traitsISK_E10value_typeET2_T3_PNSL_ISQ_E10value_typeET4_jRbjT5_SW_jjP12ihipStream_tbEUlT_E0_NS1_11comp_targetILNS1_3genE8ELNS1_11target_archE1030ELNS1_3gpuE2ELNS1_3repE0EEENS1_60segmented_radix_sort_warp_sort_medium_config_static_selectorELNS0_4arch9wavefront6targetE1EEEvSK_
                                        ; -- End function
	.set _ZN7rocprim17ROCPRIM_400000_NS6detail17trampoline_kernelINS0_14default_configENS1_36segmented_radix_sort_config_selectorIilEEZNS1_25segmented_radix_sort_implIS3_Lb1EPKiPiPKlPlN2at6native12_GLOBAL__N_18offset_tEEE10hipError_tPvRmT1_PNSt15iterator_traitsISK_E10value_typeET2_T3_PNSL_ISQ_E10value_typeET4_jRbjT5_SW_jjP12ihipStream_tbEUlT_E0_NS1_11comp_targetILNS1_3genE8ELNS1_11target_archE1030ELNS1_3gpuE2ELNS1_3repE0EEENS1_60segmented_radix_sort_warp_sort_medium_config_static_selectorELNS0_4arch9wavefront6targetE1EEEvSK_.num_vgpr, 0
	.set _ZN7rocprim17ROCPRIM_400000_NS6detail17trampoline_kernelINS0_14default_configENS1_36segmented_radix_sort_config_selectorIilEEZNS1_25segmented_radix_sort_implIS3_Lb1EPKiPiPKlPlN2at6native12_GLOBAL__N_18offset_tEEE10hipError_tPvRmT1_PNSt15iterator_traitsISK_E10value_typeET2_T3_PNSL_ISQ_E10value_typeET4_jRbjT5_SW_jjP12ihipStream_tbEUlT_E0_NS1_11comp_targetILNS1_3genE8ELNS1_11target_archE1030ELNS1_3gpuE2ELNS1_3repE0EEENS1_60segmented_radix_sort_warp_sort_medium_config_static_selectorELNS0_4arch9wavefront6targetE1EEEvSK_.num_agpr, 0
	.set _ZN7rocprim17ROCPRIM_400000_NS6detail17trampoline_kernelINS0_14default_configENS1_36segmented_radix_sort_config_selectorIilEEZNS1_25segmented_radix_sort_implIS3_Lb1EPKiPiPKlPlN2at6native12_GLOBAL__N_18offset_tEEE10hipError_tPvRmT1_PNSt15iterator_traitsISK_E10value_typeET2_T3_PNSL_ISQ_E10value_typeET4_jRbjT5_SW_jjP12ihipStream_tbEUlT_E0_NS1_11comp_targetILNS1_3genE8ELNS1_11target_archE1030ELNS1_3gpuE2ELNS1_3repE0EEENS1_60segmented_radix_sort_warp_sort_medium_config_static_selectorELNS0_4arch9wavefront6targetE1EEEvSK_.numbered_sgpr, 0
	.set _ZN7rocprim17ROCPRIM_400000_NS6detail17trampoline_kernelINS0_14default_configENS1_36segmented_radix_sort_config_selectorIilEEZNS1_25segmented_radix_sort_implIS3_Lb1EPKiPiPKlPlN2at6native12_GLOBAL__N_18offset_tEEE10hipError_tPvRmT1_PNSt15iterator_traitsISK_E10value_typeET2_T3_PNSL_ISQ_E10value_typeET4_jRbjT5_SW_jjP12ihipStream_tbEUlT_E0_NS1_11comp_targetILNS1_3genE8ELNS1_11target_archE1030ELNS1_3gpuE2ELNS1_3repE0EEENS1_60segmented_radix_sort_warp_sort_medium_config_static_selectorELNS0_4arch9wavefront6targetE1EEEvSK_.num_named_barrier, 0
	.set _ZN7rocprim17ROCPRIM_400000_NS6detail17trampoline_kernelINS0_14default_configENS1_36segmented_radix_sort_config_selectorIilEEZNS1_25segmented_radix_sort_implIS3_Lb1EPKiPiPKlPlN2at6native12_GLOBAL__N_18offset_tEEE10hipError_tPvRmT1_PNSt15iterator_traitsISK_E10value_typeET2_T3_PNSL_ISQ_E10value_typeET4_jRbjT5_SW_jjP12ihipStream_tbEUlT_E0_NS1_11comp_targetILNS1_3genE8ELNS1_11target_archE1030ELNS1_3gpuE2ELNS1_3repE0EEENS1_60segmented_radix_sort_warp_sort_medium_config_static_selectorELNS0_4arch9wavefront6targetE1EEEvSK_.private_seg_size, 0
	.set _ZN7rocprim17ROCPRIM_400000_NS6detail17trampoline_kernelINS0_14default_configENS1_36segmented_radix_sort_config_selectorIilEEZNS1_25segmented_radix_sort_implIS3_Lb1EPKiPiPKlPlN2at6native12_GLOBAL__N_18offset_tEEE10hipError_tPvRmT1_PNSt15iterator_traitsISK_E10value_typeET2_T3_PNSL_ISQ_E10value_typeET4_jRbjT5_SW_jjP12ihipStream_tbEUlT_E0_NS1_11comp_targetILNS1_3genE8ELNS1_11target_archE1030ELNS1_3gpuE2ELNS1_3repE0EEENS1_60segmented_radix_sort_warp_sort_medium_config_static_selectorELNS0_4arch9wavefront6targetE1EEEvSK_.uses_vcc, 0
	.set _ZN7rocprim17ROCPRIM_400000_NS6detail17trampoline_kernelINS0_14default_configENS1_36segmented_radix_sort_config_selectorIilEEZNS1_25segmented_radix_sort_implIS3_Lb1EPKiPiPKlPlN2at6native12_GLOBAL__N_18offset_tEEE10hipError_tPvRmT1_PNSt15iterator_traitsISK_E10value_typeET2_T3_PNSL_ISQ_E10value_typeET4_jRbjT5_SW_jjP12ihipStream_tbEUlT_E0_NS1_11comp_targetILNS1_3genE8ELNS1_11target_archE1030ELNS1_3gpuE2ELNS1_3repE0EEENS1_60segmented_radix_sort_warp_sort_medium_config_static_selectorELNS0_4arch9wavefront6targetE1EEEvSK_.uses_flat_scratch, 0
	.set _ZN7rocprim17ROCPRIM_400000_NS6detail17trampoline_kernelINS0_14default_configENS1_36segmented_radix_sort_config_selectorIilEEZNS1_25segmented_radix_sort_implIS3_Lb1EPKiPiPKlPlN2at6native12_GLOBAL__N_18offset_tEEE10hipError_tPvRmT1_PNSt15iterator_traitsISK_E10value_typeET2_T3_PNSL_ISQ_E10value_typeET4_jRbjT5_SW_jjP12ihipStream_tbEUlT_E0_NS1_11comp_targetILNS1_3genE8ELNS1_11target_archE1030ELNS1_3gpuE2ELNS1_3repE0EEENS1_60segmented_radix_sort_warp_sort_medium_config_static_selectorELNS0_4arch9wavefront6targetE1EEEvSK_.has_dyn_sized_stack, 0
	.set _ZN7rocprim17ROCPRIM_400000_NS6detail17trampoline_kernelINS0_14default_configENS1_36segmented_radix_sort_config_selectorIilEEZNS1_25segmented_radix_sort_implIS3_Lb1EPKiPiPKlPlN2at6native12_GLOBAL__N_18offset_tEEE10hipError_tPvRmT1_PNSt15iterator_traitsISK_E10value_typeET2_T3_PNSL_ISQ_E10value_typeET4_jRbjT5_SW_jjP12ihipStream_tbEUlT_E0_NS1_11comp_targetILNS1_3genE8ELNS1_11target_archE1030ELNS1_3gpuE2ELNS1_3repE0EEENS1_60segmented_radix_sort_warp_sort_medium_config_static_selectorELNS0_4arch9wavefront6targetE1EEEvSK_.has_recursion, 0
	.set _ZN7rocprim17ROCPRIM_400000_NS6detail17trampoline_kernelINS0_14default_configENS1_36segmented_radix_sort_config_selectorIilEEZNS1_25segmented_radix_sort_implIS3_Lb1EPKiPiPKlPlN2at6native12_GLOBAL__N_18offset_tEEE10hipError_tPvRmT1_PNSt15iterator_traitsISK_E10value_typeET2_T3_PNSL_ISQ_E10value_typeET4_jRbjT5_SW_jjP12ihipStream_tbEUlT_E0_NS1_11comp_targetILNS1_3genE8ELNS1_11target_archE1030ELNS1_3gpuE2ELNS1_3repE0EEENS1_60segmented_radix_sort_warp_sort_medium_config_static_selectorELNS0_4arch9wavefront6targetE1EEEvSK_.has_indirect_call, 0
	.section	.AMDGPU.csdata,"",@progbits
; Kernel info:
; codeLenInByte = 0
; TotalNumSgprs: 4
; NumVgprs: 0
; ScratchSize: 0
; MemoryBound: 0
; FloatMode: 240
; IeeeMode: 1
; LDSByteSize: 0 bytes/workgroup (compile time only)
; SGPRBlocks: 0
; VGPRBlocks: 0
; NumSGPRsForWavesPerEU: 4
; NumVGPRsForWavesPerEU: 1
; Occupancy: 10
; WaveLimiterHint : 0
; COMPUTE_PGM_RSRC2:SCRATCH_EN: 0
; COMPUTE_PGM_RSRC2:USER_SGPR: 6
; COMPUTE_PGM_RSRC2:TRAP_HANDLER: 0
; COMPUTE_PGM_RSRC2:TGID_X_EN: 1
; COMPUTE_PGM_RSRC2:TGID_Y_EN: 0
; COMPUTE_PGM_RSRC2:TGID_Z_EN: 0
; COMPUTE_PGM_RSRC2:TIDIG_COMP_CNT: 0
	.section	.text._ZN7rocprim17ROCPRIM_400000_NS6detail17trampoline_kernelINS0_14default_configENS1_36segmented_radix_sort_config_selectorIilEEZNS1_25segmented_radix_sort_implIS3_Lb1EPKiPiPKlPlN2at6native12_GLOBAL__N_18offset_tEEE10hipError_tPvRmT1_PNSt15iterator_traitsISK_E10value_typeET2_T3_PNSL_ISQ_E10value_typeET4_jRbjT5_SW_jjP12ihipStream_tbEUlT_E1_NS1_11comp_targetILNS1_3genE0ELNS1_11target_archE4294967295ELNS1_3gpuE0ELNS1_3repE0EEENS1_59segmented_radix_sort_warp_sort_small_config_static_selectorELNS0_4arch9wavefront6targetE1EEEvSK_,"axG",@progbits,_ZN7rocprim17ROCPRIM_400000_NS6detail17trampoline_kernelINS0_14default_configENS1_36segmented_radix_sort_config_selectorIilEEZNS1_25segmented_radix_sort_implIS3_Lb1EPKiPiPKlPlN2at6native12_GLOBAL__N_18offset_tEEE10hipError_tPvRmT1_PNSt15iterator_traitsISK_E10value_typeET2_T3_PNSL_ISQ_E10value_typeET4_jRbjT5_SW_jjP12ihipStream_tbEUlT_E1_NS1_11comp_targetILNS1_3genE0ELNS1_11target_archE4294967295ELNS1_3gpuE0ELNS1_3repE0EEENS1_59segmented_radix_sort_warp_sort_small_config_static_selectorELNS0_4arch9wavefront6targetE1EEEvSK_,comdat
	.globl	_ZN7rocprim17ROCPRIM_400000_NS6detail17trampoline_kernelINS0_14default_configENS1_36segmented_radix_sort_config_selectorIilEEZNS1_25segmented_radix_sort_implIS3_Lb1EPKiPiPKlPlN2at6native12_GLOBAL__N_18offset_tEEE10hipError_tPvRmT1_PNSt15iterator_traitsISK_E10value_typeET2_T3_PNSL_ISQ_E10value_typeET4_jRbjT5_SW_jjP12ihipStream_tbEUlT_E1_NS1_11comp_targetILNS1_3genE0ELNS1_11target_archE4294967295ELNS1_3gpuE0ELNS1_3repE0EEENS1_59segmented_radix_sort_warp_sort_small_config_static_selectorELNS0_4arch9wavefront6targetE1EEEvSK_ ; -- Begin function _ZN7rocprim17ROCPRIM_400000_NS6detail17trampoline_kernelINS0_14default_configENS1_36segmented_radix_sort_config_selectorIilEEZNS1_25segmented_radix_sort_implIS3_Lb1EPKiPiPKlPlN2at6native12_GLOBAL__N_18offset_tEEE10hipError_tPvRmT1_PNSt15iterator_traitsISK_E10value_typeET2_T3_PNSL_ISQ_E10value_typeET4_jRbjT5_SW_jjP12ihipStream_tbEUlT_E1_NS1_11comp_targetILNS1_3genE0ELNS1_11target_archE4294967295ELNS1_3gpuE0ELNS1_3repE0EEENS1_59segmented_radix_sort_warp_sort_small_config_static_selectorELNS0_4arch9wavefront6targetE1EEEvSK_
	.p2align	8
	.type	_ZN7rocprim17ROCPRIM_400000_NS6detail17trampoline_kernelINS0_14default_configENS1_36segmented_radix_sort_config_selectorIilEEZNS1_25segmented_radix_sort_implIS3_Lb1EPKiPiPKlPlN2at6native12_GLOBAL__N_18offset_tEEE10hipError_tPvRmT1_PNSt15iterator_traitsISK_E10value_typeET2_T3_PNSL_ISQ_E10value_typeET4_jRbjT5_SW_jjP12ihipStream_tbEUlT_E1_NS1_11comp_targetILNS1_3genE0ELNS1_11target_archE4294967295ELNS1_3gpuE0ELNS1_3repE0EEENS1_59segmented_radix_sort_warp_sort_small_config_static_selectorELNS0_4arch9wavefront6targetE1EEEvSK_,@function
_ZN7rocprim17ROCPRIM_400000_NS6detail17trampoline_kernelINS0_14default_configENS1_36segmented_radix_sort_config_selectorIilEEZNS1_25segmented_radix_sort_implIS3_Lb1EPKiPiPKlPlN2at6native12_GLOBAL__N_18offset_tEEE10hipError_tPvRmT1_PNSt15iterator_traitsISK_E10value_typeET2_T3_PNSL_ISQ_E10value_typeET4_jRbjT5_SW_jjP12ihipStream_tbEUlT_E1_NS1_11comp_targetILNS1_3genE0ELNS1_11target_archE4294967295ELNS1_3gpuE0ELNS1_3repE0EEENS1_59segmented_radix_sort_warp_sort_small_config_static_selectorELNS0_4arch9wavefront6targetE1EEEvSK_: ; @_ZN7rocprim17ROCPRIM_400000_NS6detail17trampoline_kernelINS0_14default_configENS1_36segmented_radix_sort_config_selectorIilEEZNS1_25segmented_radix_sort_implIS3_Lb1EPKiPiPKlPlN2at6native12_GLOBAL__N_18offset_tEEE10hipError_tPvRmT1_PNSt15iterator_traitsISK_E10value_typeET2_T3_PNSL_ISQ_E10value_typeET4_jRbjT5_SW_jjP12ihipStream_tbEUlT_E1_NS1_11comp_targetILNS1_3genE0ELNS1_11target_archE4294967295ELNS1_3gpuE0ELNS1_3repE0EEENS1_59segmented_radix_sort_warp_sort_small_config_static_selectorELNS0_4arch9wavefront6targetE1EEEvSK_
; %bb.0:
	.section	.rodata,"a",@progbits
	.p2align	6, 0x0
	.amdhsa_kernel _ZN7rocprim17ROCPRIM_400000_NS6detail17trampoline_kernelINS0_14default_configENS1_36segmented_radix_sort_config_selectorIilEEZNS1_25segmented_radix_sort_implIS3_Lb1EPKiPiPKlPlN2at6native12_GLOBAL__N_18offset_tEEE10hipError_tPvRmT1_PNSt15iterator_traitsISK_E10value_typeET2_T3_PNSL_ISQ_E10value_typeET4_jRbjT5_SW_jjP12ihipStream_tbEUlT_E1_NS1_11comp_targetILNS1_3genE0ELNS1_11target_archE4294967295ELNS1_3gpuE0ELNS1_3repE0EEENS1_59segmented_radix_sort_warp_sort_small_config_static_selectorELNS0_4arch9wavefront6targetE1EEEvSK_
		.amdhsa_group_segment_fixed_size 0
		.amdhsa_private_segment_fixed_size 0
		.amdhsa_kernarg_size 88
		.amdhsa_user_sgpr_count 6
		.amdhsa_user_sgpr_private_segment_buffer 1
		.amdhsa_user_sgpr_dispatch_ptr 0
		.amdhsa_user_sgpr_queue_ptr 0
		.amdhsa_user_sgpr_kernarg_segment_ptr 1
		.amdhsa_user_sgpr_dispatch_id 0
		.amdhsa_user_sgpr_flat_scratch_init 0
		.amdhsa_user_sgpr_private_segment_size 0
		.amdhsa_uses_dynamic_stack 0
		.amdhsa_system_sgpr_private_segment_wavefront_offset 0
		.amdhsa_system_sgpr_workgroup_id_x 1
		.amdhsa_system_sgpr_workgroup_id_y 0
		.amdhsa_system_sgpr_workgroup_id_z 0
		.amdhsa_system_sgpr_workgroup_info 0
		.amdhsa_system_vgpr_workitem_id 0
		.amdhsa_next_free_vgpr 1
		.amdhsa_next_free_sgpr 0
		.amdhsa_reserve_vcc 0
		.amdhsa_reserve_flat_scratch 0
		.amdhsa_float_round_mode_32 0
		.amdhsa_float_round_mode_16_64 0
		.amdhsa_float_denorm_mode_32 3
		.amdhsa_float_denorm_mode_16_64 3
		.amdhsa_dx10_clamp 1
		.amdhsa_ieee_mode 1
		.amdhsa_fp16_overflow 0
		.amdhsa_exception_fp_ieee_invalid_op 0
		.amdhsa_exception_fp_denorm_src 0
		.amdhsa_exception_fp_ieee_div_zero 0
		.amdhsa_exception_fp_ieee_overflow 0
		.amdhsa_exception_fp_ieee_underflow 0
		.amdhsa_exception_fp_ieee_inexact 0
		.amdhsa_exception_int_div_zero 0
	.end_amdhsa_kernel
	.section	.text._ZN7rocprim17ROCPRIM_400000_NS6detail17trampoline_kernelINS0_14default_configENS1_36segmented_radix_sort_config_selectorIilEEZNS1_25segmented_radix_sort_implIS3_Lb1EPKiPiPKlPlN2at6native12_GLOBAL__N_18offset_tEEE10hipError_tPvRmT1_PNSt15iterator_traitsISK_E10value_typeET2_T3_PNSL_ISQ_E10value_typeET4_jRbjT5_SW_jjP12ihipStream_tbEUlT_E1_NS1_11comp_targetILNS1_3genE0ELNS1_11target_archE4294967295ELNS1_3gpuE0ELNS1_3repE0EEENS1_59segmented_radix_sort_warp_sort_small_config_static_selectorELNS0_4arch9wavefront6targetE1EEEvSK_,"axG",@progbits,_ZN7rocprim17ROCPRIM_400000_NS6detail17trampoline_kernelINS0_14default_configENS1_36segmented_radix_sort_config_selectorIilEEZNS1_25segmented_radix_sort_implIS3_Lb1EPKiPiPKlPlN2at6native12_GLOBAL__N_18offset_tEEE10hipError_tPvRmT1_PNSt15iterator_traitsISK_E10value_typeET2_T3_PNSL_ISQ_E10value_typeET4_jRbjT5_SW_jjP12ihipStream_tbEUlT_E1_NS1_11comp_targetILNS1_3genE0ELNS1_11target_archE4294967295ELNS1_3gpuE0ELNS1_3repE0EEENS1_59segmented_radix_sort_warp_sort_small_config_static_selectorELNS0_4arch9wavefront6targetE1EEEvSK_,comdat
.Lfunc_end517:
	.size	_ZN7rocprim17ROCPRIM_400000_NS6detail17trampoline_kernelINS0_14default_configENS1_36segmented_radix_sort_config_selectorIilEEZNS1_25segmented_radix_sort_implIS3_Lb1EPKiPiPKlPlN2at6native12_GLOBAL__N_18offset_tEEE10hipError_tPvRmT1_PNSt15iterator_traitsISK_E10value_typeET2_T3_PNSL_ISQ_E10value_typeET4_jRbjT5_SW_jjP12ihipStream_tbEUlT_E1_NS1_11comp_targetILNS1_3genE0ELNS1_11target_archE4294967295ELNS1_3gpuE0ELNS1_3repE0EEENS1_59segmented_radix_sort_warp_sort_small_config_static_selectorELNS0_4arch9wavefront6targetE1EEEvSK_, .Lfunc_end517-_ZN7rocprim17ROCPRIM_400000_NS6detail17trampoline_kernelINS0_14default_configENS1_36segmented_radix_sort_config_selectorIilEEZNS1_25segmented_radix_sort_implIS3_Lb1EPKiPiPKlPlN2at6native12_GLOBAL__N_18offset_tEEE10hipError_tPvRmT1_PNSt15iterator_traitsISK_E10value_typeET2_T3_PNSL_ISQ_E10value_typeET4_jRbjT5_SW_jjP12ihipStream_tbEUlT_E1_NS1_11comp_targetILNS1_3genE0ELNS1_11target_archE4294967295ELNS1_3gpuE0ELNS1_3repE0EEENS1_59segmented_radix_sort_warp_sort_small_config_static_selectorELNS0_4arch9wavefront6targetE1EEEvSK_
                                        ; -- End function
	.set _ZN7rocprim17ROCPRIM_400000_NS6detail17trampoline_kernelINS0_14default_configENS1_36segmented_radix_sort_config_selectorIilEEZNS1_25segmented_radix_sort_implIS3_Lb1EPKiPiPKlPlN2at6native12_GLOBAL__N_18offset_tEEE10hipError_tPvRmT1_PNSt15iterator_traitsISK_E10value_typeET2_T3_PNSL_ISQ_E10value_typeET4_jRbjT5_SW_jjP12ihipStream_tbEUlT_E1_NS1_11comp_targetILNS1_3genE0ELNS1_11target_archE4294967295ELNS1_3gpuE0ELNS1_3repE0EEENS1_59segmented_radix_sort_warp_sort_small_config_static_selectorELNS0_4arch9wavefront6targetE1EEEvSK_.num_vgpr, 0
	.set _ZN7rocprim17ROCPRIM_400000_NS6detail17trampoline_kernelINS0_14default_configENS1_36segmented_radix_sort_config_selectorIilEEZNS1_25segmented_radix_sort_implIS3_Lb1EPKiPiPKlPlN2at6native12_GLOBAL__N_18offset_tEEE10hipError_tPvRmT1_PNSt15iterator_traitsISK_E10value_typeET2_T3_PNSL_ISQ_E10value_typeET4_jRbjT5_SW_jjP12ihipStream_tbEUlT_E1_NS1_11comp_targetILNS1_3genE0ELNS1_11target_archE4294967295ELNS1_3gpuE0ELNS1_3repE0EEENS1_59segmented_radix_sort_warp_sort_small_config_static_selectorELNS0_4arch9wavefront6targetE1EEEvSK_.num_agpr, 0
	.set _ZN7rocprim17ROCPRIM_400000_NS6detail17trampoline_kernelINS0_14default_configENS1_36segmented_radix_sort_config_selectorIilEEZNS1_25segmented_radix_sort_implIS3_Lb1EPKiPiPKlPlN2at6native12_GLOBAL__N_18offset_tEEE10hipError_tPvRmT1_PNSt15iterator_traitsISK_E10value_typeET2_T3_PNSL_ISQ_E10value_typeET4_jRbjT5_SW_jjP12ihipStream_tbEUlT_E1_NS1_11comp_targetILNS1_3genE0ELNS1_11target_archE4294967295ELNS1_3gpuE0ELNS1_3repE0EEENS1_59segmented_radix_sort_warp_sort_small_config_static_selectorELNS0_4arch9wavefront6targetE1EEEvSK_.numbered_sgpr, 0
	.set _ZN7rocprim17ROCPRIM_400000_NS6detail17trampoline_kernelINS0_14default_configENS1_36segmented_radix_sort_config_selectorIilEEZNS1_25segmented_radix_sort_implIS3_Lb1EPKiPiPKlPlN2at6native12_GLOBAL__N_18offset_tEEE10hipError_tPvRmT1_PNSt15iterator_traitsISK_E10value_typeET2_T3_PNSL_ISQ_E10value_typeET4_jRbjT5_SW_jjP12ihipStream_tbEUlT_E1_NS1_11comp_targetILNS1_3genE0ELNS1_11target_archE4294967295ELNS1_3gpuE0ELNS1_3repE0EEENS1_59segmented_radix_sort_warp_sort_small_config_static_selectorELNS0_4arch9wavefront6targetE1EEEvSK_.num_named_barrier, 0
	.set _ZN7rocprim17ROCPRIM_400000_NS6detail17trampoline_kernelINS0_14default_configENS1_36segmented_radix_sort_config_selectorIilEEZNS1_25segmented_radix_sort_implIS3_Lb1EPKiPiPKlPlN2at6native12_GLOBAL__N_18offset_tEEE10hipError_tPvRmT1_PNSt15iterator_traitsISK_E10value_typeET2_T3_PNSL_ISQ_E10value_typeET4_jRbjT5_SW_jjP12ihipStream_tbEUlT_E1_NS1_11comp_targetILNS1_3genE0ELNS1_11target_archE4294967295ELNS1_3gpuE0ELNS1_3repE0EEENS1_59segmented_radix_sort_warp_sort_small_config_static_selectorELNS0_4arch9wavefront6targetE1EEEvSK_.private_seg_size, 0
	.set _ZN7rocprim17ROCPRIM_400000_NS6detail17trampoline_kernelINS0_14default_configENS1_36segmented_radix_sort_config_selectorIilEEZNS1_25segmented_radix_sort_implIS3_Lb1EPKiPiPKlPlN2at6native12_GLOBAL__N_18offset_tEEE10hipError_tPvRmT1_PNSt15iterator_traitsISK_E10value_typeET2_T3_PNSL_ISQ_E10value_typeET4_jRbjT5_SW_jjP12ihipStream_tbEUlT_E1_NS1_11comp_targetILNS1_3genE0ELNS1_11target_archE4294967295ELNS1_3gpuE0ELNS1_3repE0EEENS1_59segmented_radix_sort_warp_sort_small_config_static_selectorELNS0_4arch9wavefront6targetE1EEEvSK_.uses_vcc, 0
	.set _ZN7rocprim17ROCPRIM_400000_NS6detail17trampoline_kernelINS0_14default_configENS1_36segmented_radix_sort_config_selectorIilEEZNS1_25segmented_radix_sort_implIS3_Lb1EPKiPiPKlPlN2at6native12_GLOBAL__N_18offset_tEEE10hipError_tPvRmT1_PNSt15iterator_traitsISK_E10value_typeET2_T3_PNSL_ISQ_E10value_typeET4_jRbjT5_SW_jjP12ihipStream_tbEUlT_E1_NS1_11comp_targetILNS1_3genE0ELNS1_11target_archE4294967295ELNS1_3gpuE0ELNS1_3repE0EEENS1_59segmented_radix_sort_warp_sort_small_config_static_selectorELNS0_4arch9wavefront6targetE1EEEvSK_.uses_flat_scratch, 0
	.set _ZN7rocprim17ROCPRIM_400000_NS6detail17trampoline_kernelINS0_14default_configENS1_36segmented_radix_sort_config_selectorIilEEZNS1_25segmented_radix_sort_implIS3_Lb1EPKiPiPKlPlN2at6native12_GLOBAL__N_18offset_tEEE10hipError_tPvRmT1_PNSt15iterator_traitsISK_E10value_typeET2_T3_PNSL_ISQ_E10value_typeET4_jRbjT5_SW_jjP12ihipStream_tbEUlT_E1_NS1_11comp_targetILNS1_3genE0ELNS1_11target_archE4294967295ELNS1_3gpuE0ELNS1_3repE0EEENS1_59segmented_radix_sort_warp_sort_small_config_static_selectorELNS0_4arch9wavefront6targetE1EEEvSK_.has_dyn_sized_stack, 0
	.set _ZN7rocprim17ROCPRIM_400000_NS6detail17trampoline_kernelINS0_14default_configENS1_36segmented_radix_sort_config_selectorIilEEZNS1_25segmented_radix_sort_implIS3_Lb1EPKiPiPKlPlN2at6native12_GLOBAL__N_18offset_tEEE10hipError_tPvRmT1_PNSt15iterator_traitsISK_E10value_typeET2_T3_PNSL_ISQ_E10value_typeET4_jRbjT5_SW_jjP12ihipStream_tbEUlT_E1_NS1_11comp_targetILNS1_3genE0ELNS1_11target_archE4294967295ELNS1_3gpuE0ELNS1_3repE0EEENS1_59segmented_radix_sort_warp_sort_small_config_static_selectorELNS0_4arch9wavefront6targetE1EEEvSK_.has_recursion, 0
	.set _ZN7rocprim17ROCPRIM_400000_NS6detail17trampoline_kernelINS0_14default_configENS1_36segmented_radix_sort_config_selectorIilEEZNS1_25segmented_radix_sort_implIS3_Lb1EPKiPiPKlPlN2at6native12_GLOBAL__N_18offset_tEEE10hipError_tPvRmT1_PNSt15iterator_traitsISK_E10value_typeET2_T3_PNSL_ISQ_E10value_typeET4_jRbjT5_SW_jjP12ihipStream_tbEUlT_E1_NS1_11comp_targetILNS1_3genE0ELNS1_11target_archE4294967295ELNS1_3gpuE0ELNS1_3repE0EEENS1_59segmented_radix_sort_warp_sort_small_config_static_selectorELNS0_4arch9wavefront6targetE1EEEvSK_.has_indirect_call, 0
	.section	.AMDGPU.csdata,"",@progbits
; Kernel info:
; codeLenInByte = 0
; TotalNumSgprs: 4
; NumVgprs: 0
; ScratchSize: 0
; MemoryBound: 0
; FloatMode: 240
; IeeeMode: 1
; LDSByteSize: 0 bytes/workgroup (compile time only)
; SGPRBlocks: 0
; VGPRBlocks: 0
; NumSGPRsForWavesPerEU: 4
; NumVGPRsForWavesPerEU: 1
; Occupancy: 10
; WaveLimiterHint : 0
; COMPUTE_PGM_RSRC2:SCRATCH_EN: 0
; COMPUTE_PGM_RSRC2:USER_SGPR: 6
; COMPUTE_PGM_RSRC2:TRAP_HANDLER: 0
; COMPUTE_PGM_RSRC2:TGID_X_EN: 1
; COMPUTE_PGM_RSRC2:TGID_Y_EN: 0
; COMPUTE_PGM_RSRC2:TGID_Z_EN: 0
; COMPUTE_PGM_RSRC2:TIDIG_COMP_CNT: 0
	.section	.text._ZN7rocprim17ROCPRIM_400000_NS6detail17trampoline_kernelINS0_14default_configENS1_36segmented_radix_sort_config_selectorIilEEZNS1_25segmented_radix_sort_implIS3_Lb1EPKiPiPKlPlN2at6native12_GLOBAL__N_18offset_tEEE10hipError_tPvRmT1_PNSt15iterator_traitsISK_E10value_typeET2_T3_PNSL_ISQ_E10value_typeET4_jRbjT5_SW_jjP12ihipStream_tbEUlT_E1_NS1_11comp_targetILNS1_3genE5ELNS1_11target_archE942ELNS1_3gpuE9ELNS1_3repE0EEENS1_59segmented_radix_sort_warp_sort_small_config_static_selectorELNS0_4arch9wavefront6targetE1EEEvSK_,"axG",@progbits,_ZN7rocprim17ROCPRIM_400000_NS6detail17trampoline_kernelINS0_14default_configENS1_36segmented_radix_sort_config_selectorIilEEZNS1_25segmented_radix_sort_implIS3_Lb1EPKiPiPKlPlN2at6native12_GLOBAL__N_18offset_tEEE10hipError_tPvRmT1_PNSt15iterator_traitsISK_E10value_typeET2_T3_PNSL_ISQ_E10value_typeET4_jRbjT5_SW_jjP12ihipStream_tbEUlT_E1_NS1_11comp_targetILNS1_3genE5ELNS1_11target_archE942ELNS1_3gpuE9ELNS1_3repE0EEENS1_59segmented_radix_sort_warp_sort_small_config_static_selectorELNS0_4arch9wavefront6targetE1EEEvSK_,comdat
	.globl	_ZN7rocprim17ROCPRIM_400000_NS6detail17trampoline_kernelINS0_14default_configENS1_36segmented_radix_sort_config_selectorIilEEZNS1_25segmented_radix_sort_implIS3_Lb1EPKiPiPKlPlN2at6native12_GLOBAL__N_18offset_tEEE10hipError_tPvRmT1_PNSt15iterator_traitsISK_E10value_typeET2_T3_PNSL_ISQ_E10value_typeET4_jRbjT5_SW_jjP12ihipStream_tbEUlT_E1_NS1_11comp_targetILNS1_3genE5ELNS1_11target_archE942ELNS1_3gpuE9ELNS1_3repE0EEENS1_59segmented_radix_sort_warp_sort_small_config_static_selectorELNS0_4arch9wavefront6targetE1EEEvSK_ ; -- Begin function _ZN7rocprim17ROCPRIM_400000_NS6detail17trampoline_kernelINS0_14default_configENS1_36segmented_radix_sort_config_selectorIilEEZNS1_25segmented_radix_sort_implIS3_Lb1EPKiPiPKlPlN2at6native12_GLOBAL__N_18offset_tEEE10hipError_tPvRmT1_PNSt15iterator_traitsISK_E10value_typeET2_T3_PNSL_ISQ_E10value_typeET4_jRbjT5_SW_jjP12ihipStream_tbEUlT_E1_NS1_11comp_targetILNS1_3genE5ELNS1_11target_archE942ELNS1_3gpuE9ELNS1_3repE0EEENS1_59segmented_radix_sort_warp_sort_small_config_static_selectorELNS0_4arch9wavefront6targetE1EEEvSK_
	.p2align	8
	.type	_ZN7rocprim17ROCPRIM_400000_NS6detail17trampoline_kernelINS0_14default_configENS1_36segmented_radix_sort_config_selectorIilEEZNS1_25segmented_radix_sort_implIS3_Lb1EPKiPiPKlPlN2at6native12_GLOBAL__N_18offset_tEEE10hipError_tPvRmT1_PNSt15iterator_traitsISK_E10value_typeET2_T3_PNSL_ISQ_E10value_typeET4_jRbjT5_SW_jjP12ihipStream_tbEUlT_E1_NS1_11comp_targetILNS1_3genE5ELNS1_11target_archE942ELNS1_3gpuE9ELNS1_3repE0EEENS1_59segmented_radix_sort_warp_sort_small_config_static_selectorELNS0_4arch9wavefront6targetE1EEEvSK_,@function
_ZN7rocprim17ROCPRIM_400000_NS6detail17trampoline_kernelINS0_14default_configENS1_36segmented_radix_sort_config_selectorIilEEZNS1_25segmented_radix_sort_implIS3_Lb1EPKiPiPKlPlN2at6native12_GLOBAL__N_18offset_tEEE10hipError_tPvRmT1_PNSt15iterator_traitsISK_E10value_typeET2_T3_PNSL_ISQ_E10value_typeET4_jRbjT5_SW_jjP12ihipStream_tbEUlT_E1_NS1_11comp_targetILNS1_3genE5ELNS1_11target_archE942ELNS1_3gpuE9ELNS1_3repE0EEENS1_59segmented_radix_sort_warp_sort_small_config_static_selectorELNS0_4arch9wavefront6targetE1EEEvSK_: ; @_ZN7rocprim17ROCPRIM_400000_NS6detail17trampoline_kernelINS0_14default_configENS1_36segmented_radix_sort_config_selectorIilEEZNS1_25segmented_radix_sort_implIS3_Lb1EPKiPiPKlPlN2at6native12_GLOBAL__N_18offset_tEEE10hipError_tPvRmT1_PNSt15iterator_traitsISK_E10value_typeET2_T3_PNSL_ISQ_E10value_typeET4_jRbjT5_SW_jjP12ihipStream_tbEUlT_E1_NS1_11comp_targetILNS1_3genE5ELNS1_11target_archE942ELNS1_3gpuE9ELNS1_3repE0EEENS1_59segmented_radix_sort_warp_sort_small_config_static_selectorELNS0_4arch9wavefront6targetE1EEEvSK_
; %bb.0:
	.section	.rodata,"a",@progbits
	.p2align	6, 0x0
	.amdhsa_kernel _ZN7rocprim17ROCPRIM_400000_NS6detail17trampoline_kernelINS0_14default_configENS1_36segmented_radix_sort_config_selectorIilEEZNS1_25segmented_radix_sort_implIS3_Lb1EPKiPiPKlPlN2at6native12_GLOBAL__N_18offset_tEEE10hipError_tPvRmT1_PNSt15iterator_traitsISK_E10value_typeET2_T3_PNSL_ISQ_E10value_typeET4_jRbjT5_SW_jjP12ihipStream_tbEUlT_E1_NS1_11comp_targetILNS1_3genE5ELNS1_11target_archE942ELNS1_3gpuE9ELNS1_3repE0EEENS1_59segmented_radix_sort_warp_sort_small_config_static_selectorELNS0_4arch9wavefront6targetE1EEEvSK_
		.amdhsa_group_segment_fixed_size 0
		.amdhsa_private_segment_fixed_size 0
		.amdhsa_kernarg_size 88
		.amdhsa_user_sgpr_count 6
		.amdhsa_user_sgpr_private_segment_buffer 1
		.amdhsa_user_sgpr_dispatch_ptr 0
		.amdhsa_user_sgpr_queue_ptr 0
		.amdhsa_user_sgpr_kernarg_segment_ptr 1
		.amdhsa_user_sgpr_dispatch_id 0
		.amdhsa_user_sgpr_flat_scratch_init 0
		.amdhsa_user_sgpr_private_segment_size 0
		.amdhsa_uses_dynamic_stack 0
		.amdhsa_system_sgpr_private_segment_wavefront_offset 0
		.amdhsa_system_sgpr_workgroup_id_x 1
		.amdhsa_system_sgpr_workgroup_id_y 0
		.amdhsa_system_sgpr_workgroup_id_z 0
		.amdhsa_system_sgpr_workgroup_info 0
		.amdhsa_system_vgpr_workitem_id 0
		.amdhsa_next_free_vgpr 1
		.amdhsa_next_free_sgpr 0
		.amdhsa_reserve_vcc 0
		.amdhsa_reserve_flat_scratch 0
		.amdhsa_float_round_mode_32 0
		.amdhsa_float_round_mode_16_64 0
		.amdhsa_float_denorm_mode_32 3
		.amdhsa_float_denorm_mode_16_64 3
		.amdhsa_dx10_clamp 1
		.amdhsa_ieee_mode 1
		.amdhsa_fp16_overflow 0
		.amdhsa_exception_fp_ieee_invalid_op 0
		.amdhsa_exception_fp_denorm_src 0
		.amdhsa_exception_fp_ieee_div_zero 0
		.amdhsa_exception_fp_ieee_overflow 0
		.amdhsa_exception_fp_ieee_underflow 0
		.amdhsa_exception_fp_ieee_inexact 0
		.amdhsa_exception_int_div_zero 0
	.end_amdhsa_kernel
	.section	.text._ZN7rocprim17ROCPRIM_400000_NS6detail17trampoline_kernelINS0_14default_configENS1_36segmented_radix_sort_config_selectorIilEEZNS1_25segmented_radix_sort_implIS3_Lb1EPKiPiPKlPlN2at6native12_GLOBAL__N_18offset_tEEE10hipError_tPvRmT1_PNSt15iterator_traitsISK_E10value_typeET2_T3_PNSL_ISQ_E10value_typeET4_jRbjT5_SW_jjP12ihipStream_tbEUlT_E1_NS1_11comp_targetILNS1_3genE5ELNS1_11target_archE942ELNS1_3gpuE9ELNS1_3repE0EEENS1_59segmented_radix_sort_warp_sort_small_config_static_selectorELNS0_4arch9wavefront6targetE1EEEvSK_,"axG",@progbits,_ZN7rocprim17ROCPRIM_400000_NS6detail17trampoline_kernelINS0_14default_configENS1_36segmented_radix_sort_config_selectorIilEEZNS1_25segmented_radix_sort_implIS3_Lb1EPKiPiPKlPlN2at6native12_GLOBAL__N_18offset_tEEE10hipError_tPvRmT1_PNSt15iterator_traitsISK_E10value_typeET2_T3_PNSL_ISQ_E10value_typeET4_jRbjT5_SW_jjP12ihipStream_tbEUlT_E1_NS1_11comp_targetILNS1_3genE5ELNS1_11target_archE942ELNS1_3gpuE9ELNS1_3repE0EEENS1_59segmented_radix_sort_warp_sort_small_config_static_selectorELNS0_4arch9wavefront6targetE1EEEvSK_,comdat
.Lfunc_end518:
	.size	_ZN7rocprim17ROCPRIM_400000_NS6detail17trampoline_kernelINS0_14default_configENS1_36segmented_radix_sort_config_selectorIilEEZNS1_25segmented_radix_sort_implIS3_Lb1EPKiPiPKlPlN2at6native12_GLOBAL__N_18offset_tEEE10hipError_tPvRmT1_PNSt15iterator_traitsISK_E10value_typeET2_T3_PNSL_ISQ_E10value_typeET4_jRbjT5_SW_jjP12ihipStream_tbEUlT_E1_NS1_11comp_targetILNS1_3genE5ELNS1_11target_archE942ELNS1_3gpuE9ELNS1_3repE0EEENS1_59segmented_radix_sort_warp_sort_small_config_static_selectorELNS0_4arch9wavefront6targetE1EEEvSK_, .Lfunc_end518-_ZN7rocprim17ROCPRIM_400000_NS6detail17trampoline_kernelINS0_14default_configENS1_36segmented_radix_sort_config_selectorIilEEZNS1_25segmented_radix_sort_implIS3_Lb1EPKiPiPKlPlN2at6native12_GLOBAL__N_18offset_tEEE10hipError_tPvRmT1_PNSt15iterator_traitsISK_E10value_typeET2_T3_PNSL_ISQ_E10value_typeET4_jRbjT5_SW_jjP12ihipStream_tbEUlT_E1_NS1_11comp_targetILNS1_3genE5ELNS1_11target_archE942ELNS1_3gpuE9ELNS1_3repE0EEENS1_59segmented_radix_sort_warp_sort_small_config_static_selectorELNS0_4arch9wavefront6targetE1EEEvSK_
                                        ; -- End function
	.set _ZN7rocprim17ROCPRIM_400000_NS6detail17trampoline_kernelINS0_14default_configENS1_36segmented_radix_sort_config_selectorIilEEZNS1_25segmented_radix_sort_implIS3_Lb1EPKiPiPKlPlN2at6native12_GLOBAL__N_18offset_tEEE10hipError_tPvRmT1_PNSt15iterator_traitsISK_E10value_typeET2_T3_PNSL_ISQ_E10value_typeET4_jRbjT5_SW_jjP12ihipStream_tbEUlT_E1_NS1_11comp_targetILNS1_3genE5ELNS1_11target_archE942ELNS1_3gpuE9ELNS1_3repE0EEENS1_59segmented_radix_sort_warp_sort_small_config_static_selectorELNS0_4arch9wavefront6targetE1EEEvSK_.num_vgpr, 0
	.set _ZN7rocprim17ROCPRIM_400000_NS6detail17trampoline_kernelINS0_14default_configENS1_36segmented_radix_sort_config_selectorIilEEZNS1_25segmented_radix_sort_implIS3_Lb1EPKiPiPKlPlN2at6native12_GLOBAL__N_18offset_tEEE10hipError_tPvRmT1_PNSt15iterator_traitsISK_E10value_typeET2_T3_PNSL_ISQ_E10value_typeET4_jRbjT5_SW_jjP12ihipStream_tbEUlT_E1_NS1_11comp_targetILNS1_3genE5ELNS1_11target_archE942ELNS1_3gpuE9ELNS1_3repE0EEENS1_59segmented_radix_sort_warp_sort_small_config_static_selectorELNS0_4arch9wavefront6targetE1EEEvSK_.num_agpr, 0
	.set _ZN7rocprim17ROCPRIM_400000_NS6detail17trampoline_kernelINS0_14default_configENS1_36segmented_radix_sort_config_selectorIilEEZNS1_25segmented_radix_sort_implIS3_Lb1EPKiPiPKlPlN2at6native12_GLOBAL__N_18offset_tEEE10hipError_tPvRmT1_PNSt15iterator_traitsISK_E10value_typeET2_T3_PNSL_ISQ_E10value_typeET4_jRbjT5_SW_jjP12ihipStream_tbEUlT_E1_NS1_11comp_targetILNS1_3genE5ELNS1_11target_archE942ELNS1_3gpuE9ELNS1_3repE0EEENS1_59segmented_radix_sort_warp_sort_small_config_static_selectorELNS0_4arch9wavefront6targetE1EEEvSK_.numbered_sgpr, 0
	.set _ZN7rocprim17ROCPRIM_400000_NS6detail17trampoline_kernelINS0_14default_configENS1_36segmented_radix_sort_config_selectorIilEEZNS1_25segmented_radix_sort_implIS3_Lb1EPKiPiPKlPlN2at6native12_GLOBAL__N_18offset_tEEE10hipError_tPvRmT1_PNSt15iterator_traitsISK_E10value_typeET2_T3_PNSL_ISQ_E10value_typeET4_jRbjT5_SW_jjP12ihipStream_tbEUlT_E1_NS1_11comp_targetILNS1_3genE5ELNS1_11target_archE942ELNS1_3gpuE9ELNS1_3repE0EEENS1_59segmented_radix_sort_warp_sort_small_config_static_selectorELNS0_4arch9wavefront6targetE1EEEvSK_.num_named_barrier, 0
	.set _ZN7rocprim17ROCPRIM_400000_NS6detail17trampoline_kernelINS0_14default_configENS1_36segmented_radix_sort_config_selectorIilEEZNS1_25segmented_radix_sort_implIS3_Lb1EPKiPiPKlPlN2at6native12_GLOBAL__N_18offset_tEEE10hipError_tPvRmT1_PNSt15iterator_traitsISK_E10value_typeET2_T3_PNSL_ISQ_E10value_typeET4_jRbjT5_SW_jjP12ihipStream_tbEUlT_E1_NS1_11comp_targetILNS1_3genE5ELNS1_11target_archE942ELNS1_3gpuE9ELNS1_3repE0EEENS1_59segmented_radix_sort_warp_sort_small_config_static_selectorELNS0_4arch9wavefront6targetE1EEEvSK_.private_seg_size, 0
	.set _ZN7rocprim17ROCPRIM_400000_NS6detail17trampoline_kernelINS0_14default_configENS1_36segmented_radix_sort_config_selectorIilEEZNS1_25segmented_radix_sort_implIS3_Lb1EPKiPiPKlPlN2at6native12_GLOBAL__N_18offset_tEEE10hipError_tPvRmT1_PNSt15iterator_traitsISK_E10value_typeET2_T3_PNSL_ISQ_E10value_typeET4_jRbjT5_SW_jjP12ihipStream_tbEUlT_E1_NS1_11comp_targetILNS1_3genE5ELNS1_11target_archE942ELNS1_3gpuE9ELNS1_3repE0EEENS1_59segmented_radix_sort_warp_sort_small_config_static_selectorELNS0_4arch9wavefront6targetE1EEEvSK_.uses_vcc, 0
	.set _ZN7rocprim17ROCPRIM_400000_NS6detail17trampoline_kernelINS0_14default_configENS1_36segmented_radix_sort_config_selectorIilEEZNS1_25segmented_radix_sort_implIS3_Lb1EPKiPiPKlPlN2at6native12_GLOBAL__N_18offset_tEEE10hipError_tPvRmT1_PNSt15iterator_traitsISK_E10value_typeET2_T3_PNSL_ISQ_E10value_typeET4_jRbjT5_SW_jjP12ihipStream_tbEUlT_E1_NS1_11comp_targetILNS1_3genE5ELNS1_11target_archE942ELNS1_3gpuE9ELNS1_3repE0EEENS1_59segmented_radix_sort_warp_sort_small_config_static_selectorELNS0_4arch9wavefront6targetE1EEEvSK_.uses_flat_scratch, 0
	.set _ZN7rocprim17ROCPRIM_400000_NS6detail17trampoline_kernelINS0_14default_configENS1_36segmented_radix_sort_config_selectorIilEEZNS1_25segmented_radix_sort_implIS3_Lb1EPKiPiPKlPlN2at6native12_GLOBAL__N_18offset_tEEE10hipError_tPvRmT1_PNSt15iterator_traitsISK_E10value_typeET2_T3_PNSL_ISQ_E10value_typeET4_jRbjT5_SW_jjP12ihipStream_tbEUlT_E1_NS1_11comp_targetILNS1_3genE5ELNS1_11target_archE942ELNS1_3gpuE9ELNS1_3repE0EEENS1_59segmented_radix_sort_warp_sort_small_config_static_selectorELNS0_4arch9wavefront6targetE1EEEvSK_.has_dyn_sized_stack, 0
	.set _ZN7rocprim17ROCPRIM_400000_NS6detail17trampoline_kernelINS0_14default_configENS1_36segmented_radix_sort_config_selectorIilEEZNS1_25segmented_radix_sort_implIS3_Lb1EPKiPiPKlPlN2at6native12_GLOBAL__N_18offset_tEEE10hipError_tPvRmT1_PNSt15iterator_traitsISK_E10value_typeET2_T3_PNSL_ISQ_E10value_typeET4_jRbjT5_SW_jjP12ihipStream_tbEUlT_E1_NS1_11comp_targetILNS1_3genE5ELNS1_11target_archE942ELNS1_3gpuE9ELNS1_3repE0EEENS1_59segmented_radix_sort_warp_sort_small_config_static_selectorELNS0_4arch9wavefront6targetE1EEEvSK_.has_recursion, 0
	.set _ZN7rocprim17ROCPRIM_400000_NS6detail17trampoline_kernelINS0_14default_configENS1_36segmented_radix_sort_config_selectorIilEEZNS1_25segmented_radix_sort_implIS3_Lb1EPKiPiPKlPlN2at6native12_GLOBAL__N_18offset_tEEE10hipError_tPvRmT1_PNSt15iterator_traitsISK_E10value_typeET2_T3_PNSL_ISQ_E10value_typeET4_jRbjT5_SW_jjP12ihipStream_tbEUlT_E1_NS1_11comp_targetILNS1_3genE5ELNS1_11target_archE942ELNS1_3gpuE9ELNS1_3repE0EEENS1_59segmented_radix_sort_warp_sort_small_config_static_selectorELNS0_4arch9wavefront6targetE1EEEvSK_.has_indirect_call, 0
	.section	.AMDGPU.csdata,"",@progbits
; Kernel info:
; codeLenInByte = 0
; TotalNumSgprs: 4
; NumVgprs: 0
; ScratchSize: 0
; MemoryBound: 0
; FloatMode: 240
; IeeeMode: 1
; LDSByteSize: 0 bytes/workgroup (compile time only)
; SGPRBlocks: 0
; VGPRBlocks: 0
; NumSGPRsForWavesPerEU: 4
; NumVGPRsForWavesPerEU: 1
; Occupancy: 10
; WaveLimiterHint : 0
; COMPUTE_PGM_RSRC2:SCRATCH_EN: 0
; COMPUTE_PGM_RSRC2:USER_SGPR: 6
; COMPUTE_PGM_RSRC2:TRAP_HANDLER: 0
; COMPUTE_PGM_RSRC2:TGID_X_EN: 1
; COMPUTE_PGM_RSRC2:TGID_Y_EN: 0
; COMPUTE_PGM_RSRC2:TGID_Z_EN: 0
; COMPUTE_PGM_RSRC2:TIDIG_COMP_CNT: 0
	.section	.text._ZN7rocprim17ROCPRIM_400000_NS6detail17trampoline_kernelINS0_14default_configENS1_36segmented_radix_sort_config_selectorIilEEZNS1_25segmented_radix_sort_implIS3_Lb1EPKiPiPKlPlN2at6native12_GLOBAL__N_18offset_tEEE10hipError_tPvRmT1_PNSt15iterator_traitsISK_E10value_typeET2_T3_PNSL_ISQ_E10value_typeET4_jRbjT5_SW_jjP12ihipStream_tbEUlT_E1_NS1_11comp_targetILNS1_3genE4ELNS1_11target_archE910ELNS1_3gpuE8ELNS1_3repE0EEENS1_59segmented_radix_sort_warp_sort_small_config_static_selectorELNS0_4arch9wavefront6targetE1EEEvSK_,"axG",@progbits,_ZN7rocprim17ROCPRIM_400000_NS6detail17trampoline_kernelINS0_14default_configENS1_36segmented_radix_sort_config_selectorIilEEZNS1_25segmented_radix_sort_implIS3_Lb1EPKiPiPKlPlN2at6native12_GLOBAL__N_18offset_tEEE10hipError_tPvRmT1_PNSt15iterator_traitsISK_E10value_typeET2_T3_PNSL_ISQ_E10value_typeET4_jRbjT5_SW_jjP12ihipStream_tbEUlT_E1_NS1_11comp_targetILNS1_3genE4ELNS1_11target_archE910ELNS1_3gpuE8ELNS1_3repE0EEENS1_59segmented_radix_sort_warp_sort_small_config_static_selectorELNS0_4arch9wavefront6targetE1EEEvSK_,comdat
	.globl	_ZN7rocprim17ROCPRIM_400000_NS6detail17trampoline_kernelINS0_14default_configENS1_36segmented_radix_sort_config_selectorIilEEZNS1_25segmented_radix_sort_implIS3_Lb1EPKiPiPKlPlN2at6native12_GLOBAL__N_18offset_tEEE10hipError_tPvRmT1_PNSt15iterator_traitsISK_E10value_typeET2_T3_PNSL_ISQ_E10value_typeET4_jRbjT5_SW_jjP12ihipStream_tbEUlT_E1_NS1_11comp_targetILNS1_3genE4ELNS1_11target_archE910ELNS1_3gpuE8ELNS1_3repE0EEENS1_59segmented_radix_sort_warp_sort_small_config_static_selectorELNS0_4arch9wavefront6targetE1EEEvSK_ ; -- Begin function _ZN7rocprim17ROCPRIM_400000_NS6detail17trampoline_kernelINS0_14default_configENS1_36segmented_radix_sort_config_selectorIilEEZNS1_25segmented_radix_sort_implIS3_Lb1EPKiPiPKlPlN2at6native12_GLOBAL__N_18offset_tEEE10hipError_tPvRmT1_PNSt15iterator_traitsISK_E10value_typeET2_T3_PNSL_ISQ_E10value_typeET4_jRbjT5_SW_jjP12ihipStream_tbEUlT_E1_NS1_11comp_targetILNS1_3genE4ELNS1_11target_archE910ELNS1_3gpuE8ELNS1_3repE0EEENS1_59segmented_radix_sort_warp_sort_small_config_static_selectorELNS0_4arch9wavefront6targetE1EEEvSK_
	.p2align	8
	.type	_ZN7rocprim17ROCPRIM_400000_NS6detail17trampoline_kernelINS0_14default_configENS1_36segmented_radix_sort_config_selectorIilEEZNS1_25segmented_radix_sort_implIS3_Lb1EPKiPiPKlPlN2at6native12_GLOBAL__N_18offset_tEEE10hipError_tPvRmT1_PNSt15iterator_traitsISK_E10value_typeET2_T3_PNSL_ISQ_E10value_typeET4_jRbjT5_SW_jjP12ihipStream_tbEUlT_E1_NS1_11comp_targetILNS1_3genE4ELNS1_11target_archE910ELNS1_3gpuE8ELNS1_3repE0EEENS1_59segmented_radix_sort_warp_sort_small_config_static_selectorELNS0_4arch9wavefront6targetE1EEEvSK_,@function
_ZN7rocprim17ROCPRIM_400000_NS6detail17trampoline_kernelINS0_14default_configENS1_36segmented_radix_sort_config_selectorIilEEZNS1_25segmented_radix_sort_implIS3_Lb1EPKiPiPKlPlN2at6native12_GLOBAL__N_18offset_tEEE10hipError_tPvRmT1_PNSt15iterator_traitsISK_E10value_typeET2_T3_PNSL_ISQ_E10value_typeET4_jRbjT5_SW_jjP12ihipStream_tbEUlT_E1_NS1_11comp_targetILNS1_3genE4ELNS1_11target_archE910ELNS1_3gpuE8ELNS1_3repE0EEENS1_59segmented_radix_sort_warp_sort_small_config_static_selectorELNS0_4arch9wavefront6targetE1EEEvSK_: ; @_ZN7rocprim17ROCPRIM_400000_NS6detail17trampoline_kernelINS0_14default_configENS1_36segmented_radix_sort_config_selectorIilEEZNS1_25segmented_radix_sort_implIS3_Lb1EPKiPiPKlPlN2at6native12_GLOBAL__N_18offset_tEEE10hipError_tPvRmT1_PNSt15iterator_traitsISK_E10value_typeET2_T3_PNSL_ISQ_E10value_typeET4_jRbjT5_SW_jjP12ihipStream_tbEUlT_E1_NS1_11comp_targetILNS1_3genE4ELNS1_11target_archE910ELNS1_3gpuE8ELNS1_3repE0EEENS1_59segmented_radix_sort_warp_sort_small_config_static_selectorELNS0_4arch9wavefront6targetE1EEEvSK_
; %bb.0:
	.section	.rodata,"a",@progbits
	.p2align	6, 0x0
	.amdhsa_kernel _ZN7rocprim17ROCPRIM_400000_NS6detail17trampoline_kernelINS0_14default_configENS1_36segmented_radix_sort_config_selectorIilEEZNS1_25segmented_radix_sort_implIS3_Lb1EPKiPiPKlPlN2at6native12_GLOBAL__N_18offset_tEEE10hipError_tPvRmT1_PNSt15iterator_traitsISK_E10value_typeET2_T3_PNSL_ISQ_E10value_typeET4_jRbjT5_SW_jjP12ihipStream_tbEUlT_E1_NS1_11comp_targetILNS1_3genE4ELNS1_11target_archE910ELNS1_3gpuE8ELNS1_3repE0EEENS1_59segmented_radix_sort_warp_sort_small_config_static_selectorELNS0_4arch9wavefront6targetE1EEEvSK_
		.amdhsa_group_segment_fixed_size 0
		.amdhsa_private_segment_fixed_size 0
		.amdhsa_kernarg_size 88
		.amdhsa_user_sgpr_count 6
		.amdhsa_user_sgpr_private_segment_buffer 1
		.amdhsa_user_sgpr_dispatch_ptr 0
		.amdhsa_user_sgpr_queue_ptr 0
		.amdhsa_user_sgpr_kernarg_segment_ptr 1
		.amdhsa_user_sgpr_dispatch_id 0
		.amdhsa_user_sgpr_flat_scratch_init 0
		.amdhsa_user_sgpr_private_segment_size 0
		.amdhsa_uses_dynamic_stack 0
		.amdhsa_system_sgpr_private_segment_wavefront_offset 0
		.amdhsa_system_sgpr_workgroup_id_x 1
		.amdhsa_system_sgpr_workgroup_id_y 0
		.amdhsa_system_sgpr_workgroup_id_z 0
		.amdhsa_system_sgpr_workgroup_info 0
		.amdhsa_system_vgpr_workitem_id 0
		.amdhsa_next_free_vgpr 1
		.amdhsa_next_free_sgpr 0
		.amdhsa_reserve_vcc 0
		.amdhsa_reserve_flat_scratch 0
		.amdhsa_float_round_mode_32 0
		.amdhsa_float_round_mode_16_64 0
		.amdhsa_float_denorm_mode_32 3
		.amdhsa_float_denorm_mode_16_64 3
		.amdhsa_dx10_clamp 1
		.amdhsa_ieee_mode 1
		.amdhsa_fp16_overflow 0
		.amdhsa_exception_fp_ieee_invalid_op 0
		.amdhsa_exception_fp_denorm_src 0
		.amdhsa_exception_fp_ieee_div_zero 0
		.amdhsa_exception_fp_ieee_overflow 0
		.amdhsa_exception_fp_ieee_underflow 0
		.amdhsa_exception_fp_ieee_inexact 0
		.amdhsa_exception_int_div_zero 0
	.end_amdhsa_kernel
	.section	.text._ZN7rocprim17ROCPRIM_400000_NS6detail17trampoline_kernelINS0_14default_configENS1_36segmented_radix_sort_config_selectorIilEEZNS1_25segmented_radix_sort_implIS3_Lb1EPKiPiPKlPlN2at6native12_GLOBAL__N_18offset_tEEE10hipError_tPvRmT1_PNSt15iterator_traitsISK_E10value_typeET2_T3_PNSL_ISQ_E10value_typeET4_jRbjT5_SW_jjP12ihipStream_tbEUlT_E1_NS1_11comp_targetILNS1_3genE4ELNS1_11target_archE910ELNS1_3gpuE8ELNS1_3repE0EEENS1_59segmented_radix_sort_warp_sort_small_config_static_selectorELNS0_4arch9wavefront6targetE1EEEvSK_,"axG",@progbits,_ZN7rocprim17ROCPRIM_400000_NS6detail17trampoline_kernelINS0_14default_configENS1_36segmented_radix_sort_config_selectorIilEEZNS1_25segmented_radix_sort_implIS3_Lb1EPKiPiPKlPlN2at6native12_GLOBAL__N_18offset_tEEE10hipError_tPvRmT1_PNSt15iterator_traitsISK_E10value_typeET2_T3_PNSL_ISQ_E10value_typeET4_jRbjT5_SW_jjP12ihipStream_tbEUlT_E1_NS1_11comp_targetILNS1_3genE4ELNS1_11target_archE910ELNS1_3gpuE8ELNS1_3repE0EEENS1_59segmented_radix_sort_warp_sort_small_config_static_selectorELNS0_4arch9wavefront6targetE1EEEvSK_,comdat
.Lfunc_end519:
	.size	_ZN7rocprim17ROCPRIM_400000_NS6detail17trampoline_kernelINS0_14default_configENS1_36segmented_radix_sort_config_selectorIilEEZNS1_25segmented_radix_sort_implIS3_Lb1EPKiPiPKlPlN2at6native12_GLOBAL__N_18offset_tEEE10hipError_tPvRmT1_PNSt15iterator_traitsISK_E10value_typeET2_T3_PNSL_ISQ_E10value_typeET4_jRbjT5_SW_jjP12ihipStream_tbEUlT_E1_NS1_11comp_targetILNS1_3genE4ELNS1_11target_archE910ELNS1_3gpuE8ELNS1_3repE0EEENS1_59segmented_radix_sort_warp_sort_small_config_static_selectorELNS0_4arch9wavefront6targetE1EEEvSK_, .Lfunc_end519-_ZN7rocprim17ROCPRIM_400000_NS6detail17trampoline_kernelINS0_14default_configENS1_36segmented_radix_sort_config_selectorIilEEZNS1_25segmented_radix_sort_implIS3_Lb1EPKiPiPKlPlN2at6native12_GLOBAL__N_18offset_tEEE10hipError_tPvRmT1_PNSt15iterator_traitsISK_E10value_typeET2_T3_PNSL_ISQ_E10value_typeET4_jRbjT5_SW_jjP12ihipStream_tbEUlT_E1_NS1_11comp_targetILNS1_3genE4ELNS1_11target_archE910ELNS1_3gpuE8ELNS1_3repE0EEENS1_59segmented_radix_sort_warp_sort_small_config_static_selectorELNS0_4arch9wavefront6targetE1EEEvSK_
                                        ; -- End function
	.set _ZN7rocprim17ROCPRIM_400000_NS6detail17trampoline_kernelINS0_14default_configENS1_36segmented_radix_sort_config_selectorIilEEZNS1_25segmented_radix_sort_implIS3_Lb1EPKiPiPKlPlN2at6native12_GLOBAL__N_18offset_tEEE10hipError_tPvRmT1_PNSt15iterator_traitsISK_E10value_typeET2_T3_PNSL_ISQ_E10value_typeET4_jRbjT5_SW_jjP12ihipStream_tbEUlT_E1_NS1_11comp_targetILNS1_3genE4ELNS1_11target_archE910ELNS1_3gpuE8ELNS1_3repE0EEENS1_59segmented_radix_sort_warp_sort_small_config_static_selectorELNS0_4arch9wavefront6targetE1EEEvSK_.num_vgpr, 0
	.set _ZN7rocprim17ROCPRIM_400000_NS6detail17trampoline_kernelINS0_14default_configENS1_36segmented_radix_sort_config_selectorIilEEZNS1_25segmented_radix_sort_implIS3_Lb1EPKiPiPKlPlN2at6native12_GLOBAL__N_18offset_tEEE10hipError_tPvRmT1_PNSt15iterator_traitsISK_E10value_typeET2_T3_PNSL_ISQ_E10value_typeET4_jRbjT5_SW_jjP12ihipStream_tbEUlT_E1_NS1_11comp_targetILNS1_3genE4ELNS1_11target_archE910ELNS1_3gpuE8ELNS1_3repE0EEENS1_59segmented_radix_sort_warp_sort_small_config_static_selectorELNS0_4arch9wavefront6targetE1EEEvSK_.num_agpr, 0
	.set _ZN7rocprim17ROCPRIM_400000_NS6detail17trampoline_kernelINS0_14default_configENS1_36segmented_radix_sort_config_selectorIilEEZNS1_25segmented_radix_sort_implIS3_Lb1EPKiPiPKlPlN2at6native12_GLOBAL__N_18offset_tEEE10hipError_tPvRmT1_PNSt15iterator_traitsISK_E10value_typeET2_T3_PNSL_ISQ_E10value_typeET4_jRbjT5_SW_jjP12ihipStream_tbEUlT_E1_NS1_11comp_targetILNS1_3genE4ELNS1_11target_archE910ELNS1_3gpuE8ELNS1_3repE0EEENS1_59segmented_radix_sort_warp_sort_small_config_static_selectorELNS0_4arch9wavefront6targetE1EEEvSK_.numbered_sgpr, 0
	.set _ZN7rocprim17ROCPRIM_400000_NS6detail17trampoline_kernelINS0_14default_configENS1_36segmented_radix_sort_config_selectorIilEEZNS1_25segmented_radix_sort_implIS3_Lb1EPKiPiPKlPlN2at6native12_GLOBAL__N_18offset_tEEE10hipError_tPvRmT1_PNSt15iterator_traitsISK_E10value_typeET2_T3_PNSL_ISQ_E10value_typeET4_jRbjT5_SW_jjP12ihipStream_tbEUlT_E1_NS1_11comp_targetILNS1_3genE4ELNS1_11target_archE910ELNS1_3gpuE8ELNS1_3repE0EEENS1_59segmented_radix_sort_warp_sort_small_config_static_selectorELNS0_4arch9wavefront6targetE1EEEvSK_.num_named_barrier, 0
	.set _ZN7rocprim17ROCPRIM_400000_NS6detail17trampoline_kernelINS0_14default_configENS1_36segmented_radix_sort_config_selectorIilEEZNS1_25segmented_radix_sort_implIS3_Lb1EPKiPiPKlPlN2at6native12_GLOBAL__N_18offset_tEEE10hipError_tPvRmT1_PNSt15iterator_traitsISK_E10value_typeET2_T3_PNSL_ISQ_E10value_typeET4_jRbjT5_SW_jjP12ihipStream_tbEUlT_E1_NS1_11comp_targetILNS1_3genE4ELNS1_11target_archE910ELNS1_3gpuE8ELNS1_3repE0EEENS1_59segmented_radix_sort_warp_sort_small_config_static_selectorELNS0_4arch9wavefront6targetE1EEEvSK_.private_seg_size, 0
	.set _ZN7rocprim17ROCPRIM_400000_NS6detail17trampoline_kernelINS0_14default_configENS1_36segmented_radix_sort_config_selectorIilEEZNS1_25segmented_radix_sort_implIS3_Lb1EPKiPiPKlPlN2at6native12_GLOBAL__N_18offset_tEEE10hipError_tPvRmT1_PNSt15iterator_traitsISK_E10value_typeET2_T3_PNSL_ISQ_E10value_typeET4_jRbjT5_SW_jjP12ihipStream_tbEUlT_E1_NS1_11comp_targetILNS1_3genE4ELNS1_11target_archE910ELNS1_3gpuE8ELNS1_3repE0EEENS1_59segmented_radix_sort_warp_sort_small_config_static_selectorELNS0_4arch9wavefront6targetE1EEEvSK_.uses_vcc, 0
	.set _ZN7rocprim17ROCPRIM_400000_NS6detail17trampoline_kernelINS0_14default_configENS1_36segmented_radix_sort_config_selectorIilEEZNS1_25segmented_radix_sort_implIS3_Lb1EPKiPiPKlPlN2at6native12_GLOBAL__N_18offset_tEEE10hipError_tPvRmT1_PNSt15iterator_traitsISK_E10value_typeET2_T3_PNSL_ISQ_E10value_typeET4_jRbjT5_SW_jjP12ihipStream_tbEUlT_E1_NS1_11comp_targetILNS1_3genE4ELNS1_11target_archE910ELNS1_3gpuE8ELNS1_3repE0EEENS1_59segmented_radix_sort_warp_sort_small_config_static_selectorELNS0_4arch9wavefront6targetE1EEEvSK_.uses_flat_scratch, 0
	.set _ZN7rocprim17ROCPRIM_400000_NS6detail17trampoline_kernelINS0_14default_configENS1_36segmented_radix_sort_config_selectorIilEEZNS1_25segmented_radix_sort_implIS3_Lb1EPKiPiPKlPlN2at6native12_GLOBAL__N_18offset_tEEE10hipError_tPvRmT1_PNSt15iterator_traitsISK_E10value_typeET2_T3_PNSL_ISQ_E10value_typeET4_jRbjT5_SW_jjP12ihipStream_tbEUlT_E1_NS1_11comp_targetILNS1_3genE4ELNS1_11target_archE910ELNS1_3gpuE8ELNS1_3repE0EEENS1_59segmented_radix_sort_warp_sort_small_config_static_selectorELNS0_4arch9wavefront6targetE1EEEvSK_.has_dyn_sized_stack, 0
	.set _ZN7rocprim17ROCPRIM_400000_NS6detail17trampoline_kernelINS0_14default_configENS1_36segmented_radix_sort_config_selectorIilEEZNS1_25segmented_radix_sort_implIS3_Lb1EPKiPiPKlPlN2at6native12_GLOBAL__N_18offset_tEEE10hipError_tPvRmT1_PNSt15iterator_traitsISK_E10value_typeET2_T3_PNSL_ISQ_E10value_typeET4_jRbjT5_SW_jjP12ihipStream_tbEUlT_E1_NS1_11comp_targetILNS1_3genE4ELNS1_11target_archE910ELNS1_3gpuE8ELNS1_3repE0EEENS1_59segmented_radix_sort_warp_sort_small_config_static_selectorELNS0_4arch9wavefront6targetE1EEEvSK_.has_recursion, 0
	.set _ZN7rocprim17ROCPRIM_400000_NS6detail17trampoline_kernelINS0_14default_configENS1_36segmented_radix_sort_config_selectorIilEEZNS1_25segmented_radix_sort_implIS3_Lb1EPKiPiPKlPlN2at6native12_GLOBAL__N_18offset_tEEE10hipError_tPvRmT1_PNSt15iterator_traitsISK_E10value_typeET2_T3_PNSL_ISQ_E10value_typeET4_jRbjT5_SW_jjP12ihipStream_tbEUlT_E1_NS1_11comp_targetILNS1_3genE4ELNS1_11target_archE910ELNS1_3gpuE8ELNS1_3repE0EEENS1_59segmented_radix_sort_warp_sort_small_config_static_selectorELNS0_4arch9wavefront6targetE1EEEvSK_.has_indirect_call, 0
	.section	.AMDGPU.csdata,"",@progbits
; Kernel info:
; codeLenInByte = 0
; TotalNumSgprs: 4
; NumVgprs: 0
; ScratchSize: 0
; MemoryBound: 0
; FloatMode: 240
; IeeeMode: 1
; LDSByteSize: 0 bytes/workgroup (compile time only)
; SGPRBlocks: 0
; VGPRBlocks: 0
; NumSGPRsForWavesPerEU: 4
; NumVGPRsForWavesPerEU: 1
; Occupancy: 10
; WaveLimiterHint : 0
; COMPUTE_PGM_RSRC2:SCRATCH_EN: 0
; COMPUTE_PGM_RSRC2:USER_SGPR: 6
; COMPUTE_PGM_RSRC2:TRAP_HANDLER: 0
; COMPUTE_PGM_RSRC2:TGID_X_EN: 1
; COMPUTE_PGM_RSRC2:TGID_Y_EN: 0
; COMPUTE_PGM_RSRC2:TGID_Z_EN: 0
; COMPUTE_PGM_RSRC2:TIDIG_COMP_CNT: 0
	.section	.text._ZN7rocprim17ROCPRIM_400000_NS6detail17trampoline_kernelINS0_14default_configENS1_36segmented_radix_sort_config_selectorIilEEZNS1_25segmented_radix_sort_implIS3_Lb1EPKiPiPKlPlN2at6native12_GLOBAL__N_18offset_tEEE10hipError_tPvRmT1_PNSt15iterator_traitsISK_E10value_typeET2_T3_PNSL_ISQ_E10value_typeET4_jRbjT5_SW_jjP12ihipStream_tbEUlT_E1_NS1_11comp_targetILNS1_3genE3ELNS1_11target_archE908ELNS1_3gpuE7ELNS1_3repE0EEENS1_59segmented_radix_sort_warp_sort_small_config_static_selectorELNS0_4arch9wavefront6targetE1EEEvSK_,"axG",@progbits,_ZN7rocprim17ROCPRIM_400000_NS6detail17trampoline_kernelINS0_14default_configENS1_36segmented_radix_sort_config_selectorIilEEZNS1_25segmented_radix_sort_implIS3_Lb1EPKiPiPKlPlN2at6native12_GLOBAL__N_18offset_tEEE10hipError_tPvRmT1_PNSt15iterator_traitsISK_E10value_typeET2_T3_PNSL_ISQ_E10value_typeET4_jRbjT5_SW_jjP12ihipStream_tbEUlT_E1_NS1_11comp_targetILNS1_3genE3ELNS1_11target_archE908ELNS1_3gpuE7ELNS1_3repE0EEENS1_59segmented_radix_sort_warp_sort_small_config_static_selectorELNS0_4arch9wavefront6targetE1EEEvSK_,comdat
	.globl	_ZN7rocprim17ROCPRIM_400000_NS6detail17trampoline_kernelINS0_14default_configENS1_36segmented_radix_sort_config_selectorIilEEZNS1_25segmented_radix_sort_implIS3_Lb1EPKiPiPKlPlN2at6native12_GLOBAL__N_18offset_tEEE10hipError_tPvRmT1_PNSt15iterator_traitsISK_E10value_typeET2_T3_PNSL_ISQ_E10value_typeET4_jRbjT5_SW_jjP12ihipStream_tbEUlT_E1_NS1_11comp_targetILNS1_3genE3ELNS1_11target_archE908ELNS1_3gpuE7ELNS1_3repE0EEENS1_59segmented_radix_sort_warp_sort_small_config_static_selectorELNS0_4arch9wavefront6targetE1EEEvSK_ ; -- Begin function _ZN7rocprim17ROCPRIM_400000_NS6detail17trampoline_kernelINS0_14default_configENS1_36segmented_radix_sort_config_selectorIilEEZNS1_25segmented_radix_sort_implIS3_Lb1EPKiPiPKlPlN2at6native12_GLOBAL__N_18offset_tEEE10hipError_tPvRmT1_PNSt15iterator_traitsISK_E10value_typeET2_T3_PNSL_ISQ_E10value_typeET4_jRbjT5_SW_jjP12ihipStream_tbEUlT_E1_NS1_11comp_targetILNS1_3genE3ELNS1_11target_archE908ELNS1_3gpuE7ELNS1_3repE0EEENS1_59segmented_radix_sort_warp_sort_small_config_static_selectorELNS0_4arch9wavefront6targetE1EEEvSK_
	.p2align	8
	.type	_ZN7rocprim17ROCPRIM_400000_NS6detail17trampoline_kernelINS0_14default_configENS1_36segmented_radix_sort_config_selectorIilEEZNS1_25segmented_radix_sort_implIS3_Lb1EPKiPiPKlPlN2at6native12_GLOBAL__N_18offset_tEEE10hipError_tPvRmT1_PNSt15iterator_traitsISK_E10value_typeET2_T3_PNSL_ISQ_E10value_typeET4_jRbjT5_SW_jjP12ihipStream_tbEUlT_E1_NS1_11comp_targetILNS1_3genE3ELNS1_11target_archE908ELNS1_3gpuE7ELNS1_3repE0EEENS1_59segmented_radix_sort_warp_sort_small_config_static_selectorELNS0_4arch9wavefront6targetE1EEEvSK_,@function
_ZN7rocprim17ROCPRIM_400000_NS6detail17trampoline_kernelINS0_14default_configENS1_36segmented_radix_sort_config_selectorIilEEZNS1_25segmented_radix_sort_implIS3_Lb1EPKiPiPKlPlN2at6native12_GLOBAL__N_18offset_tEEE10hipError_tPvRmT1_PNSt15iterator_traitsISK_E10value_typeET2_T3_PNSL_ISQ_E10value_typeET4_jRbjT5_SW_jjP12ihipStream_tbEUlT_E1_NS1_11comp_targetILNS1_3genE3ELNS1_11target_archE908ELNS1_3gpuE7ELNS1_3repE0EEENS1_59segmented_radix_sort_warp_sort_small_config_static_selectorELNS0_4arch9wavefront6targetE1EEEvSK_: ; @_ZN7rocprim17ROCPRIM_400000_NS6detail17trampoline_kernelINS0_14default_configENS1_36segmented_radix_sort_config_selectorIilEEZNS1_25segmented_radix_sort_implIS3_Lb1EPKiPiPKlPlN2at6native12_GLOBAL__N_18offset_tEEE10hipError_tPvRmT1_PNSt15iterator_traitsISK_E10value_typeET2_T3_PNSL_ISQ_E10value_typeET4_jRbjT5_SW_jjP12ihipStream_tbEUlT_E1_NS1_11comp_targetILNS1_3genE3ELNS1_11target_archE908ELNS1_3gpuE7ELNS1_3repE0EEENS1_59segmented_radix_sort_warp_sort_small_config_static_selectorELNS0_4arch9wavefront6targetE1EEEvSK_
; %bb.0:
	.section	.rodata,"a",@progbits
	.p2align	6, 0x0
	.amdhsa_kernel _ZN7rocprim17ROCPRIM_400000_NS6detail17trampoline_kernelINS0_14default_configENS1_36segmented_radix_sort_config_selectorIilEEZNS1_25segmented_radix_sort_implIS3_Lb1EPKiPiPKlPlN2at6native12_GLOBAL__N_18offset_tEEE10hipError_tPvRmT1_PNSt15iterator_traitsISK_E10value_typeET2_T3_PNSL_ISQ_E10value_typeET4_jRbjT5_SW_jjP12ihipStream_tbEUlT_E1_NS1_11comp_targetILNS1_3genE3ELNS1_11target_archE908ELNS1_3gpuE7ELNS1_3repE0EEENS1_59segmented_radix_sort_warp_sort_small_config_static_selectorELNS0_4arch9wavefront6targetE1EEEvSK_
		.amdhsa_group_segment_fixed_size 0
		.amdhsa_private_segment_fixed_size 0
		.amdhsa_kernarg_size 88
		.amdhsa_user_sgpr_count 6
		.amdhsa_user_sgpr_private_segment_buffer 1
		.amdhsa_user_sgpr_dispatch_ptr 0
		.amdhsa_user_sgpr_queue_ptr 0
		.amdhsa_user_sgpr_kernarg_segment_ptr 1
		.amdhsa_user_sgpr_dispatch_id 0
		.amdhsa_user_sgpr_flat_scratch_init 0
		.amdhsa_user_sgpr_private_segment_size 0
		.amdhsa_uses_dynamic_stack 0
		.amdhsa_system_sgpr_private_segment_wavefront_offset 0
		.amdhsa_system_sgpr_workgroup_id_x 1
		.amdhsa_system_sgpr_workgroup_id_y 0
		.amdhsa_system_sgpr_workgroup_id_z 0
		.amdhsa_system_sgpr_workgroup_info 0
		.amdhsa_system_vgpr_workitem_id 0
		.amdhsa_next_free_vgpr 1
		.amdhsa_next_free_sgpr 0
		.amdhsa_reserve_vcc 0
		.amdhsa_reserve_flat_scratch 0
		.amdhsa_float_round_mode_32 0
		.amdhsa_float_round_mode_16_64 0
		.amdhsa_float_denorm_mode_32 3
		.amdhsa_float_denorm_mode_16_64 3
		.amdhsa_dx10_clamp 1
		.amdhsa_ieee_mode 1
		.amdhsa_fp16_overflow 0
		.amdhsa_exception_fp_ieee_invalid_op 0
		.amdhsa_exception_fp_denorm_src 0
		.amdhsa_exception_fp_ieee_div_zero 0
		.amdhsa_exception_fp_ieee_overflow 0
		.amdhsa_exception_fp_ieee_underflow 0
		.amdhsa_exception_fp_ieee_inexact 0
		.amdhsa_exception_int_div_zero 0
	.end_amdhsa_kernel
	.section	.text._ZN7rocprim17ROCPRIM_400000_NS6detail17trampoline_kernelINS0_14default_configENS1_36segmented_radix_sort_config_selectorIilEEZNS1_25segmented_radix_sort_implIS3_Lb1EPKiPiPKlPlN2at6native12_GLOBAL__N_18offset_tEEE10hipError_tPvRmT1_PNSt15iterator_traitsISK_E10value_typeET2_T3_PNSL_ISQ_E10value_typeET4_jRbjT5_SW_jjP12ihipStream_tbEUlT_E1_NS1_11comp_targetILNS1_3genE3ELNS1_11target_archE908ELNS1_3gpuE7ELNS1_3repE0EEENS1_59segmented_radix_sort_warp_sort_small_config_static_selectorELNS0_4arch9wavefront6targetE1EEEvSK_,"axG",@progbits,_ZN7rocprim17ROCPRIM_400000_NS6detail17trampoline_kernelINS0_14default_configENS1_36segmented_radix_sort_config_selectorIilEEZNS1_25segmented_radix_sort_implIS3_Lb1EPKiPiPKlPlN2at6native12_GLOBAL__N_18offset_tEEE10hipError_tPvRmT1_PNSt15iterator_traitsISK_E10value_typeET2_T3_PNSL_ISQ_E10value_typeET4_jRbjT5_SW_jjP12ihipStream_tbEUlT_E1_NS1_11comp_targetILNS1_3genE3ELNS1_11target_archE908ELNS1_3gpuE7ELNS1_3repE0EEENS1_59segmented_radix_sort_warp_sort_small_config_static_selectorELNS0_4arch9wavefront6targetE1EEEvSK_,comdat
.Lfunc_end520:
	.size	_ZN7rocprim17ROCPRIM_400000_NS6detail17trampoline_kernelINS0_14default_configENS1_36segmented_radix_sort_config_selectorIilEEZNS1_25segmented_radix_sort_implIS3_Lb1EPKiPiPKlPlN2at6native12_GLOBAL__N_18offset_tEEE10hipError_tPvRmT1_PNSt15iterator_traitsISK_E10value_typeET2_T3_PNSL_ISQ_E10value_typeET4_jRbjT5_SW_jjP12ihipStream_tbEUlT_E1_NS1_11comp_targetILNS1_3genE3ELNS1_11target_archE908ELNS1_3gpuE7ELNS1_3repE0EEENS1_59segmented_radix_sort_warp_sort_small_config_static_selectorELNS0_4arch9wavefront6targetE1EEEvSK_, .Lfunc_end520-_ZN7rocprim17ROCPRIM_400000_NS6detail17trampoline_kernelINS0_14default_configENS1_36segmented_radix_sort_config_selectorIilEEZNS1_25segmented_radix_sort_implIS3_Lb1EPKiPiPKlPlN2at6native12_GLOBAL__N_18offset_tEEE10hipError_tPvRmT1_PNSt15iterator_traitsISK_E10value_typeET2_T3_PNSL_ISQ_E10value_typeET4_jRbjT5_SW_jjP12ihipStream_tbEUlT_E1_NS1_11comp_targetILNS1_3genE3ELNS1_11target_archE908ELNS1_3gpuE7ELNS1_3repE0EEENS1_59segmented_radix_sort_warp_sort_small_config_static_selectorELNS0_4arch9wavefront6targetE1EEEvSK_
                                        ; -- End function
	.set _ZN7rocprim17ROCPRIM_400000_NS6detail17trampoline_kernelINS0_14default_configENS1_36segmented_radix_sort_config_selectorIilEEZNS1_25segmented_radix_sort_implIS3_Lb1EPKiPiPKlPlN2at6native12_GLOBAL__N_18offset_tEEE10hipError_tPvRmT1_PNSt15iterator_traitsISK_E10value_typeET2_T3_PNSL_ISQ_E10value_typeET4_jRbjT5_SW_jjP12ihipStream_tbEUlT_E1_NS1_11comp_targetILNS1_3genE3ELNS1_11target_archE908ELNS1_3gpuE7ELNS1_3repE0EEENS1_59segmented_radix_sort_warp_sort_small_config_static_selectorELNS0_4arch9wavefront6targetE1EEEvSK_.num_vgpr, 0
	.set _ZN7rocprim17ROCPRIM_400000_NS6detail17trampoline_kernelINS0_14default_configENS1_36segmented_radix_sort_config_selectorIilEEZNS1_25segmented_radix_sort_implIS3_Lb1EPKiPiPKlPlN2at6native12_GLOBAL__N_18offset_tEEE10hipError_tPvRmT1_PNSt15iterator_traitsISK_E10value_typeET2_T3_PNSL_ISQ_E10value_typeET4_jRbjT5_SW_jjP12ihipStream_tbEUlT_E1_NS1_11comp_targetILNS1_3genE3ELNS1_11target_archE908ELNS1_3gpuE7ELNS1_3repE0EEENS1_59segmented_radix_sort_warp_sort_small_config_static_selectorELNS0_4arch9wavefront6targetE1EEEvSK_.num_agpr, 0
	.set _ZN7rocprim17ROCPRIM_400000_NS6detail17trampoline_kernelINS0_14default_configENS1_36segmented_radix_sort_config_selectorIilEEZNS1_25segmented_radix_sort_implIS3_Lb1EPKiPiPKlPlN2at6native12_GLOBAL__N_18offset_tEEE10hipError_tPvRmT1_PNSt15iterator_traitsISK_E10value_typeET2_T3_PNSL_ISQ_E10value_typeET4_jRbjT5_SW_jjP12ihipStream_tbEUlT_E1_NS1_11comp_targetILNS1_3genE3ELNS1_11target_archE908ELNS1_3gpuE7ELNS1_3repE0EEENS1_59segmented_radix_sort_warp_sort_small_config_static_selectorELNS0_4arch9wavefront6targetE1EEEvSK_.numbered_sgpr, 0
	.set _ZN7rocprim17ROCPRIM_400000_NS6detail17trampoline_kernelINS0_14default_configENS1_36segmented_radix_sort_config_selectorIilEEZNS1_25segmented_radix_sort_implIS3_Lb1EPKiPiPKlPlN2at6native12_GLOBAL__N_18offset_tEEE10hipError_tPvRmT1_PNSt15iterator_traitsISK_E10value_typeET2_T3_PNSL_ISQ_E10value_typeET4_jRbjT5_SW_jjP12ihipStream_tbEUlT_E1_NS1_11comp_targetILNS1_3genE3ELNS1_11target_archE908ELNS1_3gpuE7ELNS1_3repE0EEENS1_59segmented_radix_sort_warp_sort_small_config_static_selectorELNS0_4arch9wavefront6targetE1EEEvSK_.num_named_barrier, 0
	.set _ZN7rocprim17ROCPRIM_400000_NS6detail17trampoline_kernelINS0_14default_configENS1_36segmented_radix_sort_config_selectorIilEEZNS1_25segmented_radix_sort_implIS3_Lb1EPKiPiPKlPlN2at6native12_GLOBAL__N_18offset_tEEE10hipError_tPvRmT1_PNSt15iterator_traitsISK_E10value_typeET2_T3_PNSL_ISQ_E10value_typeET4_jRbjT5_SW_jjP12ihipStream_tbEUlT_E1_NS1_11comp_targetILNS1_3genE3ELNS1_11target_archE908ELNS1_3gpuE7ELNS1_3repE0EEENS1_59segmented_radix_sort_warp_sort_small_config_static_selectorELNS0_4arch9wavefront6targetE1EEEvSK_.private_seg_size, 0
	.set _ZN7rocprim17ROCPRIM_400000_NS6detail17trampoline_kernelINS0_14default_configENS1_36segmented_radix_sort_config_selectorIilEEZNS1_25segmented_radix_sort_implIS3_Lb1EPKiPiPKlPlN2at6native12_GLOBAL__N_18offset_tEEE10hipError_tPvRmT1_PNSt15iterator_traitsISK_E10value_typeET2_T3_PNSL_ISQ_E10value_typeET4_jRbjT5_SW_jjP12ihipStream_tbEUlT_E1_NS1_11comp_targetILNS1_3genE3ELNS1_11target_archE908ELNS1_3gpuE7ELNS1_3repE0EEENS1_59segmented_radix_sort_warp_sort_small_config_static_selectorELNS0_4arch9wavefront6targetE1EEEvSK_.uses_vcc, 0
	.set _ZN7rocprim17ROCPRIM_400000_NS6detail17trampoline_kernelINS0_14default_configENS1_36segmented_radix_sort_config_selectorIilEEZNS1_25segmented_radix_sort_implIS3_Lb1EPKiPiPKlPlN2at6native12_GLOBAL__N_18offset_tEEE10hipError_tPvRmT1_PNSt15iterator_traitsISK_E10value_typeET2_T3_PNSL_ISQ_E10value_typeET4_jRbjT5_SW_jjP12ihipStream_tbEUlT_E1_NS1_11comp_targetILNS1_3genE3ELNS1_11target_archE908ELNS1_3gpuE7ELNS1_3repE0EEENS1_59segmented_radix_sort_warp_sort_small_config_static_selectorELNS0_4arch9wavefront6targetE1EEEvSK_.uses_flat_scratch, 0
	.set _ZN7rocprim17ROCPRIM_400000_NS6detail17trampoline_kernelINS0_14default_configENS1_36segmented_radix_sort_config_selectorIilEEZNS1_25segmented_radix_sort_implIS3_Lb1EPKiPiPKlPlN2at6native12_GLOBAL__N_18offset_tEEE10hipError_tPvRmT1_PNSt15iterator_traitsISK_E10value_typeET2_T3_PNSL_ISQ_E10value_typeET4_jRbjT5_SW_jjP12ihipStream_tbEUlT_E1_NS1_11comp_targetILNS1_3genE3ELNS1_11target_archE908ELNS1_3gpuE7ELNS1_3repE0EEENS1_59segmented_radix_sort_warp_sort_small_config_static_selectorELNS0_4arch9wavefront6targetE1EEEvSK_.has_dyn_sized_stack, 0
	.set _ZN7rocprim17ROCPRIM_400000_NS6detail17trampoline_kernelINS0_14default_configENS1_36segmented_radix_sort_config_selectorIilEEZNS1_25segmented_radix_sort_implIS3_Lb1EPKiPiPKlPlN2at6native12_GLOBAL__N_18offset_tEEE10hipError_tPvRmT1_PNSt15iterator_traitsISK_E10value_typeET2_T3_PNSL_ISQ_E10value_typeET4_jRbjT5_SW_jjP12ihipStream_tbEUlT_E1_NS1_11comp_targetILNS1_3genE3ELNS1_11target_archE908ELNS1_3gpuE7ELNS1_3repE0EEENS1_59segmented_radix_sort_warp_sort_small_config_static_selectorELNS0_4arch9wavefront6targetE1EEEvSK_.has_recursion, 0
	.set _ZN7rocprim17ROCPRIM_400000_NS6detail17trampoline_kernelINS0_14default_configENS1_36segmented_radix_sort_config_selectorIilEEZNS1_25segmented_radix_sort_implIS3_Lb1EPKiPiPKlPlN2at6native12_GLOBAL__N_18offset_tEEE10hipError_tPvRmT1_PNSt15iterator_traitsISK_E10value_typeET2_T3_PNSL_ISQ_E10value_typeET4_jRbjT5_SW_jjP12ihipStream_tbEUlT_E1_NS1_11comp_targetILNS1_3genE3ELNS1_11target_archE908ELNS1_3gpuE7ELNS1_3repE0EEENS1_59segmented_radix_sort_warp_sort_small_config_static_selectorELNS0_4arch9wavefront6targetE1EEEvSK_.has_indirect_call, 0
	.section	.AMDGPU.csdata,"",@progbits
; Kernel info:
; codeLenInByte = 0
; TotalNumSgprs: 4
; NumVgprs: 0
; ScratchSize: 0
; MemoryBound: 0
; FloatMode: 240
; IeeeMode: 1
; LDSByteSize: 0 bytes/workgroup (compile time only)
; SGPRBlocks: 0
; VGPRBlocks: 0
; NumSGPRsForWavesPerEU: 4
; NumVGPRsForWavesPerEU: 1
; Occupancy: 10
; WaveLimiterHint : 0
; COMPUTE_PGM_RSRC2:SCRATCH_EN: 0
; COMPUTE_PGM_RSRC2:USER_SGPR: 6
; COMPUTE_PGM_RSRC2:TRAP_HANDLER: 0
; COMPUTE_PGM_RSRC2:TGID_X_EN: 1
; COMPUTE_PGM_RSRC2:TGID_Y_EN: 0
; COMPUTE_PGM_RSRC2:TGID_Z_EN: 0
; COMPUTE_PGM_RSRC2:TIDIG_COMP_CNT: 0
	.text
	.p2align	2                               ; -- Begin function _ZN7rocprim17ROCPRIM_400000_NS6detail26segmented_warp_sort_helperINS1_20WarpSortHelperConfigILj8ELj4ELj256EEEilLi256ELb1EvE4sortIPKiPiPKlPlEEvT_T0_T1_T2_jjjjRNS5_12storage_typeE
	.type	_ZN7rocprim17ROCPRIM_400000_NS6detail26segmented_warp_sort_helperINS1_20WarpSortHelperConfigILj8ELj4ELj256EEEilLi256ELb1EvE4sortIPKiPiPKlPlEEvT_T0_T1_T2_jjjjRNS5_12storage_typeE,@function
_ZN7rocprim17ROCPRIM_400000_NS6detail26segmented_warp_sort_helperINS1_20WarpSortHelperConfigILj8ELj4ELj256EEEilLi256ELb1EvE4sortIPKiPiPKlPlEEvT_T0_T1_T2_jjjjRNS5_12storage_typeE: ; @_ZN7rocprim17ROCPRIM_400000_NS6detail26segmented_warp_sort_helperINS1_20WarpSortHelperConfigILj8ELj4ELj256EEEilLi256ELb1EvE4sortIPKiPiPKlPlEEvT_T0_T1_T2_jjjjRNS5_12storage_typeE
; %bb.0:
	s_waitcnt vmcnt(0) expcnt(0) lgkmcnt(0)
	v_mov_b32_e32 v13, v9
	v_mov_b32_e32 v9, 0
	v_mbcnt_lo_u32_b32 v14, -1, 0
	v_lshlrev_b64 v[29:30], 2, v[8:9]
	v_mbcnt_hi_u32_b32 v14, -1, v14
	v_lshlrev_b32_e32 v36, 2, v14
	v_add_co_u32_e32 v0, vcc, v0, v29
	v_and_b32_e32 v37, 28, v36
	v_addc_co_u32_e32 v1, vcc, v1, v30, vcc
	v_lshlrev_b32_e32 v34, 2, v37
	v_add_co_u32_e32 v0, vcc, v0, v34
	v_sub_u32_e32 v13, v13, v8
	v_addc_co_u32_e32 v1, vcc, 0, v1, vcc
	v_cmp_lt_u32_e64 s[4:5], v37, v13
	v_bfrev_b32_e32 v38, 1
	v_bfrev_b32_e32 v48, 1
	s_and_saveexec_b64 s[6:7], s[4:5]
	s_cbranch_execz .LBB521_2
; %bb.1:
	flat_load_dword v48, v[0:1]
.LBB521_2:
	s_or_b64 exec, exec, s[6:7]
	v_or_b32_e32 v14, 1, v37
	v_cmp_lt_u32_e64 s[6:7], v14, v13
	s_and_saveexec_b64 s[10:11], s[6:7]
	s_cbranch_execz .LBB521_4
; %bb.3:
	flat_load_dword v38, v[0:1] offset:4
.LBB521_4:
	s_or_b64 exec, exec, s[10:11]
	v_or_b32_e32 v14, 2, v37
	v_cmp_lt_u32_e64 s[16:17], v14, v13
	v_bfrev_b32_e32 v39, 1
	v_bfrev_b32_e32 v23, 1
	s_and_saveexec_b64 s[10:11], s[16:17]
	s_cbranch_execz .LBB521_6
; %bb.5:
	flat_load_dword v23, v[0:1] offset:8
.LBB521_6:
	s_or_b64 exec, exec, s[10:11]
	v_or_b32_e32 v14, 3, v37
	v_cmp_lt_u32_e64 s[10:11], v14, v13
	s_and_saveexec_b64 s[14:15], s[10:11]
	s_cbranch_execz .LBB521_8
; %bb.7:
	flat_load_dword v39, v[0:1] offset:12
.LBB521_8:
	s_or_b64 exec, exec, s[14:15]
	v_lshlrev_b64 v[0:1], 3, v[8:9]
	v_lshlrev_b32_e32 v35, 3, v37
	v_add_co_u32_e32 v13, vcc, v4, v0
	v_addc_co_u32_e32 v14, vcc, v5, v1, vcc
	v_mov_b32_e32 v8, 0
	v_mov_b32_e32 v4, 0
	v_add_co_u32_e32 v15, vcc, v13, v35
	v_mov_b32_e32 v9, 0
	v_mov_b32_e32 v5, 0
	v_addc_co_u32_e32 v16, vcc, 0, v14, vcc
	; wave barrier
	s_and_saveexec_b64 s[14:15], s[4:5]
	s_cbranch_execz .LBB521_10
; %bb.9:
	flat_load_dwordx2 v[4:5], v[15:16]
.LBB521_10:
	s_or_b64 exec, exec, s[14:15]
	s_mov_b32 s18, 0
	v_mov_b32_e32 v17, s18
	v_mov_b32_e32 v18, s18
	;; [unrolled: 1-line block ×6, first 2 shown]
	s_and_saveexec_b64 s[14:15], s[6:7]
	s_cbranch_execz .LBB521_12
; %bb.11:
	flat_load_dwordx2 v[17:18], v[15:16] offset:8
	v_mov_b32_e32 v21, s18
	v_mov_b32_e32 v22, s18
	;; [unrolled: 1-line block ×4, first 2 shown]
	s_waitcnt vmcnt(0) lgkmcnt(0)
	v_mov_b32_e32 v8, v17
	v_mov_b32_e32 v9, v18
.LBB521_12:
	s_or_b64 exec, exec, s[14:15]
	v_mov_b32_e32 v19, 0
	v_mov_b32_e32 v13, 0
	;; [unrolled: 1-line block ×4, first 2 shown]
	s_and_saveexec_b64 s[14:15], s[16:17]
	s_cbranch_execz .LBB521_14
; %bb.13:
	flat_load_dwordx2 v[21:22], v[15:16] offset:16
	v_mov_b32_e32 v32, s18
	v_mov_b32_e32 v33, s18
	s_waitcnt vmcnt(0) lgkmcnt(0)
	v_mov_b32_e32 v13, v21
	v_mov_b32_e32 v14, v22
.LBB521_14:
	s_or_b64 exec, exec, s[14:15]
	s_and_saveexec_b64 s[14:15], s[10:11]
	s_cbranch_execz .LBB521_16
; %bb.15:
	flat_load_dwordx2 v[32:33], v[15:16] offset:24
	s_waitcnt vmcnt(0) lgkmcnt(0)
	v_mov_b32_e32 v19, v32
	v_mov_b32_e32 v20, v33
.LBB521_16:
	s_or_b64 exec, exec, s[14:15]
	v_cmp_ne_u32_e32 vcc, 0, v10
	v_cmp_ne_u32_e64 s[14:15], 32, v11
	s_or_b64 s[14:15], vcc, s[14:15]
	v_bfe_u32 v15, v31, 10, 10
	v_bfe_u32 v16, v31, 20, 10
	; wave barrier
	s_and_saveexec_b64 s[18:19], s[14:15]
	s_xor_b64 s[26:27], exec, s[18:19]
	s_cbranch_execz .LBB521_60
; %bb.17:
	s_load_dwordx2 s[14:15], s[8:9], 0x0
	v_mov_b32_e32 v24, 0
	v_lshlrev_b32_e64 v11, v11, -1
	v_lshlrev_b32_e64 v10, v10, -1
	v_xor_b32_e32 v10, v11, v10
	s_waitcnt lgkmcnt(0)
	s_cmp_lt_u32 s13, s15
	s_cselect_b32 s15, 14, 20
	s_add_u32 s18, s8, s15
	s_addc_u32 s19, s9, 0
	s_cmp_lt_u32 s12, s14
	s_cselect_b32 s14, 12, 18
	s_add_u32 s14, s8, s14
	s_addc_u32 s15, s9, 0
	global_load_ushort v25, v24, s[18:19]
	global_load_ushort v26, v24, s[14:15]
	s_movk_i32 s14, 0x400
	s_waitcnt vmcnt(0)
	v_mad_u32_u24 v15, v16, v25, v15
	v_mul_lo_u32 v15, v15, v26
	v_and_b32_e32 v16, 0x3ff, v31
	v_add_lshl_u32 v11, v15, v16, 2
	v_cmp_gt_u32_e32 vcc, s14, v11
	s_and_saveexec_b64 s[18:19], vcc
	s_cbranch_execz .LBB521_29
; %bb.18:
	v_and_b32_e32 v8, v38, v10
	v_and_b32_e32 v9, v48, v10
	v_cmp_gt_u32_e32 vcc, v8, v9
	v_cndmask_b32_e32 v16, v18, v5, vcc
	v_cndmask_b32_e32 v15, v17, v4, vcc
	;; [unrolled: 1-line block ×4, first 2 shown]
	v_and_b32_e32 v5, v39, v10
	v_and_b32_e32 v4, v23, v10
	v_mov_b32_e32 v17, v21
	v_cmp_gt_u32_e64 s[14:15], v5, v4
	v_mov_b32_e32 v31, v23
	v_mov_b32_e32 v18, v22
	s_and_saveexec_b64 s[20:21], s[14:15]
; %bb.19:
	v_mov_b32_e32 v17, v32
	v_mov_b32_e32 v18, v33
	;; [unrolled: 1-line block ×7, first 2 shown]
; %bb.20:
	s_or_b64 exec, exec, s[20:21]
	v_cndmask_b32_e32 v5, v38, v48, vcc
	v_mov_b32_e32 v19, v32
	v_and_b32_e32 v8, v5, v10
	v_mov_b32_e32 v28, v20
	v_cmp_le_u32_e64 s[14:15], v4, v8
	v_mov_b32_e32 v22, v14
	v_mov_b32_e32 v21, v13
                                        ; implicit-def: $vgpr49
	v_mov_b32_e32 v27, v19
	v_mov_b32_e32 v26, v18
	;; [unrolled: 1-line block ×5, first 2 shown]
	s_and_saveexec_b64 s[20:21], s[14:15]
	s_xor_b64 s[14:15], exec, s[20:21]
; %bb.21:
	v_and_b32_e32 v49, v31, v10
                                        ; implicit-def: $vgpr21_vgpr22_vgpr23_vgpr24_vgpr25_vgpr26_vgpr27_vgpr28
                                        ; implicit-def: $vgpr4
; %bb.22:
	s_or_saveexec_b64 s[14:15], s[14:15]
	v_mov_b32_e32 v20, v33
	v_mov_b32_e32 v24, v5
	s_xor_b64 exec, exec, s[14:15]
	s_cbranch_execz .LBB521_24
; %bb.23:
	v_mov_b32_e32 v23, v17
	v_mov_b32_e32 v24, v18
	;; [unrolled: 1-line block ×18, first 2 shown]
.LBB521_24:
	s_or_b64 exec, exec, s[14:15]
	v_cndmask_b32_e32 v21, v48, v38, vcc
	v_and_b32_e32 v4, v21, v10
	v_cmp_gt_u32_e32 vcc, v8, v4
	v_cndmask_b32_e32 v8, v15, v13, vcc
	v_cndmask_b32_e32 v4, v13, v15, vcc
	v_and_b32_e32 v13, v39, v10
	v_cndmask_b32_e32 v9, v16, v14, vcc
	v_cndmask_b32_e32 v5, v14, v16, vcc
	v_cmp_gt_u32_e64 s[14:15], v13, v49
	v_mov_b32_e32 v15, v31
	s_and_saveexec_b64 s[20:21], s[14:15]
; %bb.25:
	v_mov_b32_e32 v23, v18
	v_mov_b32_e32 v22, v17
	;; [unrolled: 1-line block ×9, first 2 shown]
; %bb.26:
	s_or_b64 exec, exec, s[20:21]
	v_cndmask_b32_e32 v38, v24, v21, vcc
	v_and_b32_e32 v13, v38, v10
	v_cmp_gt_u32_e64 s[14:15], v49, v13
	v_mov_b32_e32 v13, v17
	v_mov_b32_e32 v14, v18
	;; [unrolled: 1-line block ×3, first 2 shown]
	s_and_saveexec_b64 s[20:21], s[14:15]
; %bb.27:
	v_mov_b32_e32 v14, v9
	v_mov_b32_e32 v13, v8
	v_mov_b32_e32 v8, v17
	v_mov_b32_e32 v9, v18
	v_mov_b32_e32 v23, v38
	v_mov_b32_e32 v38, v15
; %bb.28:
	s_or_b64 exec, exec, s[20:21]
	v_cndmask_b32_e32 v48, v21, v24, vcc
.LBB521_29:
	s_or_b64 exec, exec, s[18:19]
	v_and_b32_e32 v17, 0xffffff00, v11
	s_movk_i32 s14, 0x400
	v_mov_b32_e32 v18, 0
	v_sub_u32_e64 v16, s14, v17 clamp
	v_lshlrev_b64 v[21:22], 2, v[17:18]
	v_lshlrev_b64 v[17:18], 3, v[17:18]
	v_or_b32_e32 v18, 4, v36
	v_min_u32_e32 v27, v16, v18
	v_add_u32_e32 v18, 4, v27
	v_and_b32_e32 v31, 0x1f8, v36
	v_min_u32_e32 v28, v16, v18
	v_and_b32_e32 v18, 4, v36
	v_add_co_u32_e32 v15, vcc, v12, v21
	v_add_co_u32_e32 v11, vcc, v12, v17
	v_min_u32_e32 v33, v16, v18
	v_sub_u32_e32 v18, v27, v31
	v_sub_u32_e32 v21, v28, v27
	v_add_co_u32_e32 v11, vcc, 0x1000, v11
	v_sub_u32_e64 v49, v33, v21 clamp
	v_min_u32_e32 v18, v33, v18
	v_lshl_add_u32 v12, v36, 2, v15
	v_lshl_add_u32 v17, v36, 3, v11
	v_cmp_lt_u32_e32 vcc, v49, v18
	ds_write2_b32 v12, v48, v38 offset1:1
	ds_write2_b64 v17, v[4:5], v[8:9] offset1:1
	ds_write2_b32 v12, v23, v39 offset0:2 offset1:3
	ds_write2_b64 v17, v[13:14], v[19:20] offset0:2 offset1:3
	; wave barrier
	s_and_saveexec_b64 s[14:15], vcc
	s_cbranch_execz .LBB521_33
; %bb.30:
	v_lshlrev_b32_e32 v21, 2, v31
	v_lshlrev_b32_e32 v22, 2, v27
	v_add_co_u32_e32 v21, vcc, v15, v21
	v_add_co_u32_e32 v22, vcc, v15, v22
	s_mov_b64 s[18:19], 0
.LBB521_31:                             ; =>This Inner Loop Header: Depth=1
	v_add_u32_e32 v24, v18, v49
	v_lshrrev_b32_e32 v24, 1, v24
	v_xad_u32 v25, v24, -1, v33
	v_lshl_add_u32 v26, v24, 2, v21
	v_lshl_add_u32 v25, v25, 2, v22
	ds_read_b32 v26, v26
	ds_read_b32 v25, v25
	v_add_u32_e32 v32, 1, v24
	s_waitcnt lgkmcnt(1)
	v_and_b32_e32 v26, v26, v10
	s_waitcnt lgkmcnt(0)
	v_and_b32_e32 v25, v25, v10
	v_cmp_gt_u32_e32 vcc, v25, v26
	v_cndmask_b32_e32 v18, v18, v24, vcc
	v_cndmask_b32_e32 v49, v32, v49, vcc
	v_cmp_ge_u32_e32 vcc, v49, v18
	s_or_b64 s[18:19], vcc, s[18:19]
	s_andn2_b64 exec, exec, s[18:19]
	s_cbranch_execnz .LBB521_31
; %bb.32:
	s_or_b64 exec, exec, s[18:19]
.LBB521_33:
	s_or_b64 exec, exec, s[14:15]
	v_add_u32_e32 v32, v49, v31
	v_add_u32_e32 v31, v27, v33
	v_sub_u32_e32 v33, v31, v49
	v_cmp_le_u32_e32 vcc, v32, v27
	v_cmp_le_u32_e64 s[14:15], v33, v28
	v_add_u32_e32 v18, 4, v12
	v_add_u32_e32 v21, 8, v17
	;; [unrolled: 1-line block ×6, first 2 shown]
	s_or_b64 s[14:15], vcc, s[14:15]
	s_and_saveexec_b64 s[28:29], s[14:15]
	s_cbranch_execz .LBB521_39
; %bb.34:
	v_cmp_lt_u32_e32 vcc, v32, v27
                                        ; implicit-def: $vgpr23
	s_and_saveexec_b64 s[14:15], vcc
; %bb.35:
	v_lshl_add_u32 v4, v32, 2, v15
	ds_read_b32 v23, v4
; %bb.36:
	s_or_b64 exec, exec, s[14:15]
	v_cmp_ge_u32_e64 s[14:15], v33, v28
	v_cmp_lt_u32_e64 s[18:19], v33, v28
                                        ; implicit-def: $vgpr31
	s_and_saveexec_b64 s[20:21], s[18:19]
; %bb.37:
	v_lshl_add_u32 v4, v33, 2, v15
	ds_read_b32 v31, v4
; %bb.38:
	s_or_b64 exec, exec, s[20:21]
	s_waitcnt lgkmcnt(0)
	v_and_b32_e32 v4, v31, v10
	v_and_b32_e32 v5, v23, v10
	v_cmp_le_u32_e64 s[18:19], v4, v5
	s_and_b64 s[18:19], vcc, s[18:19]
	s_or_b64 vcc, s[14:15], s[18:19]
	v_cndmask_b32_e32 v4, v33, v32, vcc
	v_cndmask_b32_e32 v5, v28, v27, vcc
	v_add_u32_e32 v8, 1, v4
	v_add_u32_e32 v5, -1, v5
	v_min_u32_e32 v5, v8, v5
	v_lshl_add_u32 v5, v5, 2, v15
	ds_read_b32 v5, v5
	v_cndmask_b32_e32 v9, v8, v33, vcc
	v_cndmask_b32_e32 v8, v32, v8, vcc
	v_cmp_lt_u32_e64 s[18:19], v8, v27
	v_cmp_ge_u32_e64 s[14:15], v9, v28
	s_waitcnt lgkmcnt(0)
	v_cndmask_b32_e32 v38, v5, v31, vcc
	v_cndmask_b32_e32 v39, v23, v5, vcc
	v_and_b32_e32 v5, v38, v10
	v_and_b32_e32 v13, v39, v10
	v_cmp_le_u32_e64 s[20:21], v5, v13
	s_and_b64 s[18:19], s[18:19], s[20:21]
	s_or_b64 s[14:15], s[14:15], s[18:19]
	v_cndmask_b32_e64 v13, v9, v8, s[14:15]
	v_cndmask_b32_e64 v5, v28, v27, s[14:15]
	v_add_u32_e32 v14, 1, v13
	v_add_u32_e32 v5, -1, v5
	v_min_u32_e32 v5, v14, v5
	v_lshl_add_u32 v5, v5, 2, v15
	ds_read_b32 v19, v5
	v_cndmask_b32_e64 v20, v8, v14, s[14:15]
	v_cmp_lt_u32_e64 s[20:21], v20, v27
	v_lshl_add_u32 v4, v4, 3, v11
	ds_read_b64 v[4:5], v4
	s_waitcnt lgkmcnt(1)
	v_cndmask_b32_e64 v32, v19, v38, s[14:15]
	v_cndmask_b32_e64 v33, v39, v19, s[14:15]
	;; [unrolled: 1-line block ×3, first 2 shown]
	v_and_b32_e32 v8, v32, v10
	v_and_b32_e32 v9, v33, v10
	v_cmp_le_u32_e64 s[22:23], v8, v9
	v_cmp_ge_u32_e64 s[18:19], v19, v28
	s_and_b64 s[20:21], s[20:21], s[22:23]
	s_or_b64 s[18:19], s[18:19], s[20:21]
	v_cndmask_b32_e64 v14, v19, v20, s[18:19]
	v_cndmask_b32_e64 v8, v28, v27, s[18:19]
	v_add_u32_e32 v48, 1, v14
	v_add_u32_e32 v8, -1, v8
	v_min_u32_e32 v8, v48, v8
	v_lshl_add_u32 v8, v8, 2, v15
	ds_read_b32 v49, v8
	v_cndmask_b32_e64 v19, v48, v19, s[18:19]
	v_cndmask_b32_e64 v20, v20, v48, s[18:19]
	v_cmp_ge_u32_e64 s[20:21], v19, v28
	v_cmp_lt_u32_e64 s[22:23], v20, v27
	s_waitcnt lgkmcnt(0)
	v_cndmask_b32_e64 v50, v49, v32, s[18:19]
	v_cndmask_b32_e64 v49, v33, v49, s[18:19]
	v_and_b32_e32 v27, v50, v10
	v_and_b32_e32 v28, v49, v10
	v_cmp_le_u32_e64 s[24:25], v27, v28
	s_and_b64 s[22:23], s[22:23], s[24:25]
	s_or_b64 s[20:21], s[20:21], s[22:23]
	v_cndmask_b32_e64 v19, v19, v20, s[20:21]
	v_lshl_add_u32 v8, v13, 3, v11
	v_lshl_add_u32 v13, v14, 3, v11
	;; [unrolled: 1-line block ×3, first 2 shown]
	ds_read_b64 v[8:9], v8
	ds_read_b64 v[13:14], v13
	ds_read_b64 v[19:20], v19
	v_cndmask_b32_e32 v48, v31, v23, vcc
	v_cndmask_b32_e64 v38, v38, v39, s[14:15]
	v_cndmask_b32_e64 v23, v32, v33, s[18:19]
	;; [unrolled: 1-line block ×3, first 2 shown]
.LBB521_39:
	s_or_b64 exec, exec, s[28:29]
	v_and_b32_e32 v31, 0x1f0, v36
	v_or_b32_e32 v27, 8, v31
	v_min_u32_e32 v27, v16, v27
	v_add_u32_e32 v28, 8, v27
	v_min_u32_e32 v28, v16, v28
	v_and_b32_e32 v32, 12, v36
	v_min_u32_e32 v33, v16, v32
	v_sub_u32_e32 v32, v27, v31
	v_sub_u32_e32 v49, v28, v27
	v_sub_u32_e64 v49, v33, v49 clamp
	v_min_u32_e32 v32, v33, v32
	v_cmp_lt_u32_e32 vcc, v49, v32
	; wave barrier
	ds_write_b32 v12, v48
	ds_write_b64 v17, v[4:5]
	ds_write_b32 v18, v38
	s_waitcnt lgkmcnt(5)
	ds_write_b64 v21, v[8:9]
	ds_write_b32 v22, v23
	s_waitcnt lgkmcnt(6)
	ds_write_b64 v24, v[13:14]
	ds_write_b32 v25, v39
	s_waitcnt lgkmcnt(7)
	ds_write_b64 v26, v[19:20]
	; wave barrier
	s_and_saveexec_b64 s[14:15], vcc
	s_cbranch_execz .LBB521_43
; %bb.40:
	v_lshlrev_b32_e32 v50, 2, v31
	v_lshlrev_b32_e32 v51, 2, v27
	v_add_co_u32_e32 v50, vcc, v15, v50
	v_add_co_u32_e32 v51, vcc, v15, v51
	s_mov_b64 s[18:19], 0
.LBB521_41:                             ; =>This Inner Loop Header: Depth=1
	v_add_u32_e32 v52, v32, v49
	v_lshrrev_b32_e32 v52, 1, v52
	v_xad_u32 v53, v52, -1, v33
	v_lshl_add_u32 v54, v52, 2, v50
	v_lshl_add_u32 v53, v53, 2, v51
	ds_read_b32 v54, v54
	ds_read_b32 v53, v53
	v_add_u32_e32 v55, 1, v52
	s_waitcnt lgkmcnt(1)
	v_and_b32_e32 v54, v54, v10
	s_waitcnt lgkmcnt(0)
	v_and_b32_e32 v53, v53, v10
	v_cmp_gt_u32_e32 vcc, v53, v54
	v_cndmask_b32_e32 v32, v32, v52, vcc
	v_cndmask_b32_e32 v49, v55, v49, vcc
	v_cmp_ge_u32_e32 vcc, v49, v32
	s_or_b64 s[18:19], vcc, s[18:19]
	s_andn2_b64 exec, exec, s[18:19]
	s_cbranch_execnz .LBB521_41
; %bb.42:
	s_or_b64 exec, exec, s[18:19]
.LBB521_43:
	s_or_b64 exec, exec, s[14:15]
	v_add_u32_e32 v32, v49, v31
	v_add_u32_e32 v31, v27, v33
	v_sub_u32_e32 v33, v31, v49
	v_cmp_le_u32_e32 vcc, v32, v27
	v_cmp_le_u32_e64 s[14:15], v33, v28
	s_or_b64 s[14:15], vcc, s[14:15]
	s_and_saveexec_b64 s[28:29], s[14:15]
	s_cbranch_execz .LBB521_49
; %bb.44:
	v_cmp_lt_u32_e32 vcc, v32, v27
                                        ; implicit-def: $vgpr23
	s_and_saveexec_b64 s[14:15], vcc
; %bb.45:
	v_lshl_add_u32 v4, v32, 2, v15
	ds_read_b32 v23, v4
; %bb.46:
	s_or_b64 exec, exec, s[14:15]
	v_cmp_ge_u32_e64 s[14:15], v33, v28
	v_cmp_lt_u32_e64 s[18:19], v33, v28
                                        ; implicit-def: $vgpr31
	s_and_saveexec_b64 s[20:21], s[18:19]
; %bb.47:
	v_lshl_add_u32 v4, v33, 2, v15
	ds_read_b32 v31, v4
; %bb.48:
	s_or_b64 exec, exec, s[20:21]
	s_waitcnt lgkmcnt(0)
	v_and_b32_e32 v4, v31, v10
	v_and_b32_e32 v5, v23, v10
	v_cmp_le_u32_e64 s[18:19], v4, v5
	s_and_b64 s[18:19], vcc, s[18:19]
	s_or_b64 vcc, s[14:15], s[18:19]
	v_cndmask_b32_e32 v4, v33, v32, vcc
	v_cndmask_b32_e32 v5, v28, v27, vcc
	v_add_u32_e32 v8, 1, v4
	v_add_u32_e32 v5, -1, v5
	v_min_u32_e32 v5, v8, v5
	v_lshl_add_u32 v5, v5, 2, v15
	ds_read_b32 v5, v5
	v_cndmask_b32_e32 v9, v8, v33, vcc
	v_cndmask_b32_e32 v8, v32, v8, vcc
	v_cmp_lt_u32_e64 s[18:19], v8, v27
	v_cmp_ge_u32_e64 s[14:15], v9, v28
	s_waitcnt lgkmcnt(0)
	v_cndmask_b32_e32 v38, v5, v31, vcc
	v_cndmask_b32_e32 v39, v23, v5, vcc
	v_and_b32_e32 v5, v38, v10
	v_and_b32_e32 v13, v39, v10
	v_cmp_le_u32_e64 s[20:21], v5, v13
	s_and_b64 s[18:19], s[18:19], s[20:21]
	s_or_b64 s[14:15], s[14:15], s[18:19]
	v_cndmask_b32_e64 v13, v9, v8, s[14:15]
	v_cndmask_b32_e64 v5, v28, v27, s[14:15]
	v_add_u32_e32 v14, 1, v13
	v_add_u32_e32 v5, -1, v5
	v_min_u32_e32 v5, v14, v5
	v_lshl_add_u32 v5, v5, 2, v15
	ds_read_b32 v19, v5
	v_cndmask_b32_e64 v20, v8, v14, s[14:15]
	v_cmp_lt_u32_e64 s[20:21], v20, v27
	v_lshl_add_u32 v4, v4, 3, v11
	ds_read_b64 v[4:5], v4
	s_waitcnt lgkmcnt(1)
	v_cndmask_b32_e64 v32, v19, v38, s[14:15]
	v_cndmask_b32_e64 v33, v39, v19, s[14:15]
	;; [unrolled: 1-line block ×3, first 2 shown]
	v_and_b32_e32 v8, v32, v10
	v_and_b32_e32 v9, v33, v10
	v_cmp_le_u32_e64 s[22:23], v8, v9
	v_cmp_ge_u32_e64 s[18:19], v19, v28
	s_and_b64 s[20:21], s[20:21], s[22:23]
	s_or_b64 s[18:19], s[18:19], s[20:21]
	v_cndmask_b32_e64 v14, v19, v20, s[18:19]
	v_cndmask_b32_e64 v8, v28, v27, s[18:19]
	v_add_u32_e32 v48, 1, v14
	v_add_u32_e32 v8, -1, v8
	v_min_u32_e32 v8, v48, v8
	v_lshl_add_u32 v8, v8, 2, v15
	ds_read_b32 v49, v8
	v_cndmask_b32_e64 v19, v48, v19, s[18:19]
	v_cndmask_b32_e64 v20, v20, v48, s[18:19]
	v_cmp_ge_u32_e64 s[20:21], v19, v28
	v_cmp_lt_u32_e64 s[22:23], v20, v27
	s_waitcnt lgkmcnt(0)
	v_cndmask_b32_e64 v50, v49, v32, s[18:19]
	v_cndmask_b32_e64 v49, v33, v49, s[18:19]
	v_and_b32_e32 v27, v50, v10
	v_and_b32_e32 v28, v49, v10
	v_cmp_le_u32_e64 s[24:25], v27, v28
	s_and_b64 s[22:23], s[22:23], s[24:25]
	s_or_b64 s[20:21], s[20:21], s[22:23]
	v_cndmask_b32_e64 v19, v19, v20, s[20:21]
	v_lshl_add_u32 v8, v13, 3, v11
	v_lshl_add_u32 v13, v14, 3, v11
	;; [unrolled: 1-line block ×3, first 2 shown]
	ds_read_b64 v[8:9], v8
	ds_read_b64 v[13:14], v13
	;; [unrolled: 1-line block ×3, first 2 shown]
	v_cndmask_b32_e32 v48, v31, v23, vcc
	v_cndmask_b32_e64 v38, v38, v39, s[14:15]
	v_cndmask_b32_e64 v23, v32, v33, s[18:19]
	;; [unrolled: 1-line block ×3, first 2 shown]
.LBB521_49:
	s_or_b64 exec, exec, s[28:29]
	; wave barrier
	ds_write_b32 v12, v48
	ds_write_b64 v17, v[4:5]
	ds_write_b32 v18, v38
	s_waitcnt lgkmcnt(5)
	ds_write_b64 v21, v[8:9]
	ds_write_b32 v22, v23
	s_waitcnt lgkmcnt(6)
	;; [unrolled: 3-line block ×3, first 2 shown]
	ds_write_b64 v26, v[19:20]
	v_and_b32_e32 v18, 0x1e0, v36
	v_or_b32_e32 v12, 16, v18
	v_min_u32_e32 v12, v16, v12
	v_add_u32_e32 v17, 16, v12
	v_min_u32_e32 v17, v16, v17
	v_min_u32_e32 v16, v16, v37
	v_sub_u32_e32 v21, v12, v18
	v_sub_u32_e32 v22, v17, v12
	v_sub_u32_e64 v22, v16, v22 clamp
	v_min_u32_e32 v21, v16, v21
	v_cmp_lt_u32_e32 vcc, v22, v21
	; wave barrier
	s_and_saveexec_b64 s[14:15], vcc
	s_cbranch_execz .LBB521_53
; %bb.50:
	v_lshlrev_b32_e32 v24, 2, v18
	v_lshlrev_b32_e32 v25, 2, v12
	v_add_co_u32_e32 v24, vcc, v15, v24
	v_add_co_u32_e32 v25, vcc, v15, v25
	s_mov_b64 s[18:19], 0
.LBB521_51:                             ; =>This Inner Loop Header: Depth=1
	v_add_u32_e32 v26, v21, v22
	v_lshrrev_b32_e32 v26, 1, v26
	v_xad_u32 v27, v26, -1, v16
	v_lshl_add_u32 v28, v26, 2, v24
	v_lshl_add_u32 v27, v27, 2, v25
	ds_read_b32 v28, v28
	ds_read_b32 v27, v27
	v_add_u32_e32 v31, 1, v26
	s_waitcnt lgkmcnt(1)
	v_and_b32_e32 v28, v28, v10
	s_waitcnt lgkmcnt(0)
	v_and_b32_e32 v27, v27, v10
	v_cmp_gt_u32_e32 vcc, v27, v28
	v_cndmask_b32_e32 v21, v21, v26, vcc
	v_cndmask_b32_e32 v22, v31, v22, vcc
	v_cmp_ge_u32_e32 vcc, v22, v21
	s_or_b64 s[18:19], vcc, s[18:19]
	s_andn2_b64 exec, exec, s[18:19]
	s_cbranch_execnz .LBB521_51
; %bb.52:
	s_or_b64 exec, exec, s[18:19]
.LBB521_53:
	s_or_b64 exec, exec, s[14:15]
	v_add_u32_e32 v16, v12, v16
	v_add_u32_e32 v21, v22, v18
	v_sub_u32_e32 v22, v16, v22
	v_cmp_le_u32_e32 vcc, v21, v12
	v_cmp_le_u32_e64 s[14:15], v22, v17
	s_or_b64 s[14:15], vcc, s[14:15]
	s_and_saveexec_b64 s[28:29], s[14:15]
	s_cbranch_execz .LBB521_59
; %bb.54:
	v_cmp_lt_u32_e32 vcc, v21, v12
                                        ; implicit-def: $vgpr16
	s_and_saveexec_b64 s[14:15], vcc
; %bb.55:
	v_lshl_add_u32 v4, v21, 2, v15
	ds_read_b32 v16, v4
; %bb.56:
	s_or_b64 exec, exec, s[14:15]
	v_cmp_ge_u32_e64 s[14:15], v22, v17
	v_cmp_lt_u32_e64 s[18:19], v22, v17
                                        ; implicit-def: $vgpr18
	s_and_saveexec_b64 s[20:21], s[18:19]
; %bb.57:
	v_lshl_add_u32 v4, v22, 2, v15
	ds_read_b32 v18, v4
; %bb.58:
	s_or_b64 exec, exec, s[20:21]
	s_waitcnt lgkmcnt(0)
	v_and_b32_e32 v4, v18, v10
	v_and_b32_e32 v5, v16, v10
	v_cmp_le_u32_e64 s[18:19], v4, v5
	s_and_b64 s[18:19], vcc, s[18:19]
	s_or_b64 vcc, s[14:15], s[18:19]
	v_cndmask_b32_e32 v4, v22, v21, vcc
	v_cndmask_b32_e32 v5, v17, v12, vcc
	v_add_u32_e32 v8, 1, v4
	v_add_u32_e32 v5, -1, v5
	v_min_u32_e32 v5, v8, v5
	v_lshl_add_u32 v5, v5, 2, v15
	ds_read_b32 v5, v5
	v_cndmask_b32_e32 v9, v8, v22, vcc
	v_cndmask_b32_e32 v8, v21, v8, vcc
	v_cmp_lt_u32_e64 s[18:19], v8, v12
	v_cmp_ge_u32_e64 s[14:15], v9, v17
	s_waitcnt lgkmcnt(0)
	v_cndmask_b32_e32 v23, v5, v18, vcc
	v_cndmask_b32_e32 v24, v16, v5, vcc
	v_and_b32_e32 v5, v23, v10
	v_and_b32_e32 v13, v24, v10
	v_cmp_le_u32_e64 s[20:21], v5, v13
	s_and_b64 s[18:19], s[18:19], s[20:21]
	s_or_b64 s[14:15], s[14:15], s[18:19]
	v_cndmask_b32_e64 v13, v9, v8, s[14:15]
	v_cndmask_b32_e64 v5, v17, v12, s[14:15]
	v_add_u32_e32 v14, 1, v13
	v_add_u32_e32 v5, -1, v5
	v_min_u32_e32 v5, v14, v5
	v_lshl_add_u32 v5, v5, 2, v15
	ds_read_b32 v19, v5
	v_cndmask_b32_e64 v20, v8, v14, s[14:15]
	v_cmp_lt_u32_e64 s[20:21], v20, v12
	v_lshl_add_u32 v4, v4, 3, v11
	ds_read_b64 v[4:5], v4
	s_waitcnt lgkmcnt(1)
	v_cndmask_b32_e64 v21, v19, v23, s[14:15]
	v_cndmask_b32_e64 v22, v24, v19, s[14:15]
	;; [unrolled: 1-line block ×3, first 2 shown]
	v_and_b32_e32 v8, v21, v10
	v_and_b32_e32 v9, v22, v10
	v_cmp_le_u32_e64 s[22:23], v8, v9
	v_cmp_ge_u32_e64 s[18:19], v19, v17
	s_and_b64 s[20:21], s[20:21], s[22:23]
	s_or_b64 s[18:19], s[18:19], s[20:21]
	v_cndmask_b32_e64 v14, v19, v20, s[18:19]
	v_cndmask_b32_e64 v8, v17, v12, s[18:19]
	v_add_u32_e32 v25, 1, v14
	v_add_u32_e32 v8, -1, v8
	v_min_u32_e32 v8, v25, v8
	v_lshl_add_u32 v8, v8, 2, v15
	ds_read_b32 v15, v8
	v_cndmask_b32_e64 v20, v20, v25, s[18:19]
	v_cmp_lt_u32_e64 s[22:23], v20, v12
	v_cndmask_b32_e64 v19, v25, v19, s[18:19]
	v_cmp_ge_u32_e64 s[20:21], v19, v17
	s_waitcnt lgkmcnt(0)
	v_cndmask_b32_e64 v26, v15, v21, s[18:19]
	v_cndmask_b32_e64 v15, v22, v15, s[18:19]
	v_and_b32_e32 v12, v26, v10
	v_and_b32_e32 v10, v15, v10
	v_cmp_le_u32_e64 s[24:25], v12, v10
	s_and_b64 s[22:23], s[22:23], s[24:25]
	s_or_b64 s[20:21], s[20:21], s[22:23]
	v_cndmask_b32_e64 v10, v19, v20, s[20:21]
	v_lshl_add_u32 v8, v13, 3, v11
	v_lshl_add_u32 v13, v14, 3, v11
	v_lshl_add_u32 v10, v10, 3, v11
	ds_read_b64 v[8:9], v8
	ds_read_b64 v[13:14], v13
	;; [unrolled: 1-line block ×3, first 2 shown]
	v_cndmask_b32_e32 v48, v18, v16, vcc
	v_cndmask_b32_e64 v38, v23, v24, s[14:15]
	v_cndmask_b32_e64 v23, v21, v22, s[18:19]
	;; [unrolled: 1-line block ×3, first 2 shown]
.LBB521_59:
	s_or_b64 exec, exec, s[28:29]
	; wave barrier
	s_waitcnt lgkmcnt(0)
	s_barrier
                                        ; implicit-def: $vgpr36
                                        ; implicit-def: $vgpr12
                                        ; implicit-def: $vgpr37
                                        ; implicit-def: $vgpr31
                                        ; implicit-def: $vgpr15
                                        ; implicit-def: $vgpr16
                                        ; implicit-def: $vgpr32_vgpr33
                                        ; implicit-def: $vgpr21_vgpr22
                                        ; implicit-def: $vgpr17_vgpr18
.LBB521_60:
	s_andn2_saveexec_b64 s[22:23], s[26:27]
	s_cbranch_execz .LBB521_96
; %bb.61:
	s_load_dwordx2 s[14:15], s[8:9], 0x0
	v_mov_b32_e32 v11, 0
	s_movk_i32 s20, 0x400
	s_waitcnt lgkmcnt(0)
	s_cmp_lt_u32 s13, s15
	s_cselect_b32 s13, 14, 20
	s_add_u32 s18, s8, s13
	s_addc_u32 s19, s9, 0
	s_cmp_lt_u32 s12, s14
	s_cselect_b32 s12, 12, 18
	s_add_u32 s8, s8, s12
	s_addc_u32 s9, s9, 0
	global_load_ushort v10, v11, s[18:19]
	global_load_ushort v24, v11, s[8:9]
	s_waitcnt vmcnt(0)
	v_mad_u32_u24 v10, v16, v10, v15
	v_mul_lo_u32 v10, v10, v24
	v_and_b32_e32 v15, 0x3ff, v31
	v_add_lshl_u32 v10, v10, v15, 2
	v_cmp_gt_u32_e32 vcc, s20, v10
	s_and_saveexec_b64 s[14:15], vcc
	s_cbranch_execz .LBB521_65
; %bb.62:
	v_cmp_gt_i32_e32 vcc, v38, v48
	v_min_i32_e32 v13, v38, v48
	v_cndmask_b32_e32 v8, v4, v17, vcc
	v_cndmask_b32_e32 v9, v5, v18, vcc
	v_cndmask_b32_e32 v5, v18, v5, vcc
	v_cndmask_b32_e32 v4, v17, v4, vcc
	v_max_i32_e32 v14, v39, v23
	v_cmp_gt_i32_e32 vcc, v39, v23
	v_max_i32_e32 v15, v38, v48
	v_min_i32_e32 v16, v39, v23
	v_cndmask_b32_e32 v23, v32, v21, vcc
	v_cndmask_b32_e32 v24, v33, v22, vcc
	v_cndmask_b32_e32 v19, v22, v33, vcc
	v_cndmask_b32_e32 v20, v21, v32, vcc
	v_cmp_gt_i32_e32 vcc, v14, v13
	v_max_i32_e32 v17, v14, v13
	v_min_i32_e32 v18, v14, v13
	v_cndmask_b32_e32 v22, v20, v4, vcc
	v_cndmask_b32_e32 v25, v19, v5, vcc
	;; [unrolled: 1-line block ×4, first 2 shown]
	v_cmp_gt_i32_e32 vcc, v14, v15
	v_cmp_lt_i32_e64 s[8:9], v13, v16
	v_cndmask_b32_e32 v38, v17, v15, vcc
	v_cndmask_b32_e64 v21, v18, v16, s[8:9]
	v_cndmask_b32_e32 v5, v9, v19, vcc
	v_cndmask_b32_e32 v4, v8, v20, vcc
	;; [unrolled: 1-line block ×4, first 2 shown]
	v_cndmask_b32_e64 v20, v24, v25, s[8:9]
	v_cndmask_b32_e64 v19, v23, v22, s[8:9]
	;; [unrolled: 1-line block ×4, first 2 shown]
	v_cmp_gt_i32_e64 s[12:13], v21, v38
	v_mov_b32_e32 v23, v21
	s_and_saveexec_b64 s[18:19], s[12:13]
; %bb.63:
	v_mov_b32_e32 v23, v14
	v_mov_b32_e32 v22, v13
	;; [unrolled: 1-line block ×8, first 2 shown]
; %bb.64:
	s_or_b64 exec, exec, s[18:19]
	v_cndmask_b32_e32 v48, v15, v17, vcc
	v_cndmask_b32_e64 v39, v16, v18, s[8:9]
.LBB521_65:
	s_or_b64 exec, exec, s[14:15]
	v_and_b32_e32 v10, 0xffffff00, v10
	v_lshlrev_b64 v[17:18], 2, v[10:11]
	v_sub_u32_e64 v16, s20, v10 clamp
	v_add_co_u32_e32 v15, vcc, v12, v17
	v_or_b32_e32 v17, 4, v36
	v_min_u32_e32 v26, v16, v17
	v_lshlrev_b64 v[10:11], 3, v[10:11]
	v_add_u32_e32 v17, 4, v26
	v_and_b32_e32 v28, 0x1f8, v36
	v_min_u32_e32 v27, v16, v17
	v_and_b32_e32 v17, 4, v36
	v_add_co_u32_e32 v10, vcc, v12, v10
	s_movk_i32 s8, 0x1000
	v_min_u32_e32 v32, v16, v17
	v_sub_u32_e32 v17, v26, v28
	v_sub_u32_e32 v18, v27, v26
	v_add_co_u32_e32 v10, vcc, s8, v10
	v_sub_u32_e64 v33, v32, v18 clamp
	v_min_u32_e32 v17, v32, v17
	v_lshl_add_u32 v11, v36, 2, v15
	v_lshl_add_u32 v12, v36, 3, v10
	v_cmp_lt_u32_e32 vcc, v33, v17
	ds_write2_b32 v11, v48, v38 offset1:1
	ds_write2_b64 v12, v[4:5], v[8:9] offset1:1
	ds_write2_b32 v11, v23, v39 offset0:2 offset1:3
	ds_write2_b64 v12, v[13:14], v[19:20] offset0:2 offset1:3
	; wave barrier
	s_and_saveexec_b64 s[8:9], vcc
	s_cbranch_execz .LBB521_69
; %bb.66:
	v_lshlrev_b32_e32 v18, 2, v28
	v_lshlrev_b32_e32 v21, 2, v26
	v_add_co_u32_e32 v18, vcc, v15, v18
	v_add_co_u32_e32 v21, vcc, v15, v21
	s_mov_b64 s[12:13], 0
.LBB521_67:                             ; =>This Inner Loop Header: Depth=1
	v_add_u32_e32 v22, v17, v33
	v_lshrrev_b32_e32 v22, 1, v22
	v_xad_u32 v24, v22, -1, v32
	v_lshl_add_u32 v25, v22, 2, v18
	v_lshl_add_u32 v24, v24, 2, v21
	ds_read_b32 v25, v25
	ds_read_b32 v24, v24
	v_add_u32_e32 v31, 1, v22
	s_waitcnt lgkmcnt(0)
	v_cmp_gt_i32_e32 vcc, v24, v25
	v_cndmask_b32_e32 v17, v17, v22, vcc
	v_cndmask_b32_e32 v33, v31, v33, vcc
	v_cmp_ge_u32_e32 vcc, v33, v17
	s_or_b64 s[12:13], vcc, s[12:13]
	s_andn2_b64 exec, exec, s[12:13]
	s_cbranch_execnz .LBB521_67
; %bb.68:
	s_or_b64 exec, exec, s[12:13]
.LBB521_69:
	s_or_b64 exec, exec, s[8:9]
	v_add_u32_e32 v31, v33, v28
	v_add_u32_e32 v28, v26, v32
	v_sub_u32_e32 v32, v28, v33
	v_cmp_le_u32_e32 vcc, v31, v26
	v_cmp_le_u32_e64 s[8:9], v32, v27
	v_add_u32_e32 v17, 4, v11
	v_add_u32_e32 v18, 8, v12
	;; [unrolled: 1-line block ×6, first 2 shown]
	s_or_b64 s[8:9], vcc, s[8:9]
	s_and_saveexec_b64 s[24:25], s[8:9]
	s_cbranch_execz .LBB521_75
; %bb.70:
	v_cmp_lt_u32_e32 vcc, v31, v26
                                        ; implicit-def: $vgpr23
	s_and_saveexec_b64 s[8:9], vcc
; %bb.71:
	v_lshl_add_u32 v4, v31, 2, v15
	ds_read_b32 v23, v4
; %bb.72:
	s_or_b64 exec, exec, s[8:9]
	v_cmp_ge_u32_e64 s[8:9], v32, v27
	v_cmp_lt_u32_e64 s[12:13], v32, v27
                                        ; implicit-def: $vgpr28
	s_and_saveexec_b64 s[14:15], s[12:13]
; %bb.73:
	v_lshl_add_u32 v4, v32, 2, v15
	ds_read_b32 v28, v4
; %bb.74:
	s_or_b64 exec, exec, s[14:15]
	s_waitcnt lgkmcnt(0)
	v_cmp_le_i32_e64 s[12:13], v28, v23
	s_and_b64 s[12:13], vcc, s[12:13]
	s_or_b64 vcc, s[8:9], s[12:13]
	v_cndmask_b32_e32 v4, v32, v31, vcc
	v_cndmask_b32_e32 v5, v27, v26, vcc
	v_add_u32_e32 v8, 1, v4
	v_add_u32_e32 v5, -1, v5
	v_min_u32_e32 v5, v8, v5
	v_lshl_add_u32 v5, v5, 2, v15
	ds_read_b32 v5, v5
	v_cndmask_b32_e32 v9, v8, v32, vcc
	v_cndmask_b32_e32 v8, v31, v8, vcc
	v_cmp_lt_u32_e64 s[12:13], v8, v26
	v_cmp_ge_u32_e64 s[8:9], v9, v27
	s_waitcnt lgkmcnt(0)
	v_cndmask_b32_e32 v32, v5, v28, vcc
	v_cndmask_b32_e32 v33, v23, v5, vcc
	v_cmp_le_i32_e64 s[14:15], v32, v33
	s_and_b64 s[12:13], s[12:13], s[14:15]
	s_or_b64 s[8:9], s[8:9], s[12:13]
	v_cndmask_b32_e64 v13, v9, v8, s[8:9]
	v_cndmask_b32_e64 v5, v27, v26, s[8:9]
	v_add_u32_e32 v14, 1, v13
	v_add_u32_e32 v5, -1, v5
	v_min_u32_e32 v5, v14, v5
	v_lshl_add_u32 v5, v5, 2, v15
	ds_read_b32 v19, v5
	v_cndmask_b32_e64 v20, v8, v14, s[8:9]
	v_cmp_lt_u32_e64 s[14:15], v20, v26
	v_lshl_add_u32 v4, v4, 3, v10
	ds_read_b64 v[4:5], v4
	s_waitcnt lgkmcnt(1)
	v_cndmask_b32_e64 v31, v19, v32, s[8:9]
	v_cndmask_b32_e64 v39, v33, v19, s[8:9]
	;; [unrolled: 1-line block ×3, first 2 shown]
	v_cmp_le_i32_e64 s[18:19], v31, v39
	v_cmp_ge_u32_e64 s[12:13], v19, v27
	s_and_b64 s[14:15], s[14:15], s[18:19]
	s_or_b64 s[12:13], s[12:13], s[14:15]
	v_cndmask_b32_e64 v14, v19, v20, s[12:13]
	v_cndmask_b32_e64 v8, v27, v26, s[12:13]
	v_add_u32_e32 v38, 1, v14
	v_add_u32_e32 v8, -1, v8
	v_min_u32_e32 v8, v38, v8
	v_lshl_add_u32 v8, v8, 2, v15
	ds_read_b32 v48, v8
	v_cndmask_b32_e64 v20, v20, v38, s[12:13]
	v_cndmask_b32_e64 v19, v38, v19, s[12:13]
	v_cmp_lt_u32_e64 s[18:19], v20, v26
	v_cmp_ge_u32_e64 s[14:15], v19, v27
	s_waitcnt lgkmcnt(0)
	v_cndmask_b32_e64 v49, v48, v31, s[12:13]
	v_cndmask_b32_e64 v50, v39, v48, s[12:13]
	v_cmp_le_i32_e64 s[20:21], v49, v50
	s_and_b64 s[18:19], s[18:19], s[20:21]
	s_or_b64 s[14:15], s[14:15], s[18:19]
	v_cndmask_b32_e64 v19, v19, v20, s[14:15]
	v_lshl_add_u32 v8, v13, 3, v10
	v_lshl_add_u32 v13, v14, 3, v10
	;; [unrolled: 1-line block ×3, first 2 shown]
	ds_read_b64 v[8:9], v8
	ds_read_b64 v[13:14], v13
	;; [unrolled: 1-line block ×3, first 2 shown]
	v_cndmask_b32_e32 v48, v28, v23, vcc
	v_cndmask_b32_e64 v38, v32, v33, s[8:9]
	v_cndmask_b32_e64 v23, v31, v39, s[12:13]
	;; [unrolled: 1-line block ×3, first 2 shown]
.LBB521_75:
	s_or_b64 exec, exec, s[24:25]
	v_and_b32_e32 v28, 0x1f0, v36
	v_or_b32_e32 v26, 8, v28
	v_min_u32_e32 v26, v16, v26
	v_add_u32_e32 v27, 8, v26
	v_min_u32_e32 v27, v16, v27
	v_and_b32_e32 v31, 12, v36
	v_min_u32_e32 v32, v16, v31
	v_sub_u32_e32 v31, v26, v28
	v_sub_u32_e32 v33, v27, v26
	v_sub_u32_e64 v33, v32, v33 clamp
	v_min_u32_e32 v31, v32, v31
	v_cmp_lt_u32_e32 vcc, v33, v31
	; wave barrier
	ds_write_b32 v11, v48
	ds_write_b64 v12, v[4:5]
	ds_write_b32 v17, v38
	s_waitcnt lgkmcnt(5)
	ds_write_b64 v18, v[8:9]
	ds_write_b32 v21, v23
	s_waitcnt lgkmcnt(6)
	;; [unrolled: 3-line block ×3, first 2 shown]
	ds_write_b64 v25, v[19:20]
	; wave barrier
	s_and_saveexec_b64 s[8:9], vcc
	s_cbranch_execz .LBB521_79
; %bb.76:
	v_lshlrev_b32_e32 v49, 2, v28
	v_lshlrev_b32_e32 v50, 2, v26
	v_add_co_u32_e32 v49, vcc, v15, v49
	v_add_co_u32_e32 v50, vcc, v15, v50
	s_mov_b64 s[12:13], 0
.LBB521_77:                             ; =>This Inner Loop Header: Depth=1
	v_add_u32_e32 v51, v31, v33
	v_lshrrev_b32_e32 v51, 1, v51
	v_xad_u32 v52, v51, -1, v32
	v_lshl_add_u32 v53, v51, 2, v49
	v_lshl_add_u32 v52, v52, 2, v50
	ds_read_b32 v53, v53
	ds_read_b32 v52, v52
	v_add_u32_e32 v54, 1, v51
	s_waitcnt lgkmcnt(0)
	v_cmp_gt_i32_e32 vcc, v52, v53
	v_cndmask_b32_e32 v31, v31, v51, vcc
	v_cndmask_b32_e32 v33, v54, v33, vcc
	v_cmp_ge_u32_e32 vcc, v33, v31
	s_or_b64 s[12:13], vcc, s[12:13]
	s_andn2_b64 exec, exec, s[12:13]
	s_cbranch_execnz .LBB521_77
; %bb.78:
	s_or_b64 exec, exec, s[12:13]
.LBB521_79:
	s_or_b64 exec, exec, s[8:9]
	v_add_u32_e32 v31, v33, v28
	v_add_u32_e32 v28, v26, v32
	v_sub_u32_e32 v32, v28, v33
	v_cmp_le_u32_e32 vcc, v31, v26
	v_cmp_le_u32_e64 s[8:9], v32, v27
	s_or_b64 s[8:9], vcc, s[8:9]
	s_and_saveexec_b64 s[24:25], s[8:9]
	s_cbranch_execz .LBB521_85
; %bb.80:
	v_cmp_lt_u32_e32 vcc, v31, v26
                                        ; implicit-def: $vgpr23
	s_and_saveexec_b64 s[8:9], vcc
; %bb.81:
	v_lshl_add_u32 v4, v31, 2, v15
	ds_read_b32 v23, v4
; %bb.82:
	s_or_b64 exec, exec, s[8:9]
	v_cmp_ge_u32_e64 s[8:9], v32, v27
	v_cmp_lt_u32_e64 s[12:13], v32, v27
                                        ; implicit-def: $vgpr28
	s_and_saveexec_b64 s[14:15], s[12:13]
; %bb.83:
	v_lshl_add_u32 v4, v32, 2, v15
	ds_read_b32 v28, v4
; %bb.84:
	s_or_b64 exec, exec, s[14:15]
	s_waitcnt lgkmcnt(0)
	v_cmp_le_i32_e64 s[12:13], v28, v23
	s_and_b64 s[12:13], vcc, s[12:13]
	s_or_b64 vcc, s[8:9], s[12:13]
	v_cndmask_b32_e32 v4, v32, v31, vcc
	v_cndmask_b32_e32 v5, v27, v26, vcc
	v_add_u32_e32 v8, 1, v4
	v_add_u32_e32 v5, -1, v5
	v_min_u32_e32 v5, v8, v5
	v_lshl_add_u32 v5, v5, 2, v15
	ds_read_b32 v5, v5
	v_cndmask_b32_e32 v9, v8, v32, vcc
	v_cndmask_b32_e32 v8, v31, v8, vcc
	v_cmp_lt_u32_e64 s[12:13], v8, v26
	v_cmp_ge_u32_e64 s[8:9], v9, v27
	s_waitcnt lgkmcnt(0)
	v_cndmask_b32_e32 v32, v5, v28, vcc
	v_cndmask_b32_e32 v33, v23, v5, vcc
	v_cmp_le_i32_e64 s[14:15], v32, v33
	s_and_b64 s[12:13], s[12:13], s[14:15]
	s_or_b64 s[8:9], s[8:9], s[12:13]
	v_cndmask_b32_e64 v13, v9, v8, s[8:9]
	v_cndmask_b32_e64 v5, v27, v26, s[8:9]
	v_add_u32_e32 v14, 1, v13
	v_add_u32_e32 v5, -1, v5
	v_min_u32_e32 v5, v14, v5
	v_lshl_add_u32 v5, v5, 2, v15
	ds_read_b32 v19, v5
	v_cndmask_b32_e64 v20, v8, v14, s[8:9]
	v_cmp_lt_u32_e64 s[14:15], v20, v26
	v_lshl_add_u32 v4, v4, 3, v10
	ds_read_b64 v[4:5], v4
	s_waitcnt lgkmcnt(1)
	v_cndmask_b32_e64 v31, v19, v32, s[8:9]
	v_cndmask_b32_e64 v39, v33, v19, s[8:9]
	;; [unrolled: 1-line block ×3, first 2 shown]
	v_cmp_le_i32_e64 s[18:19], v31, v39
	v_cmp_ge_u32_e64 s[12:13], v19, v27
	s_and_b64 s[14:15], s[14:15], s[18:19]
	s_or_b64 s[12:13], s[12:13], s[14:15]
	v_cndmask_b32_e64 v14, v19, v20, s[12:13]
	v_cndmask_b32_e64 v8, v27, v26, s[12:13]
	v_add_u32_e32 v38, 1, v14
	v_add_u32_e32 v8, -1, v8
	v_min_u32_e32 v8, v38, v8
	v_lshl_add_u32 v8, v8, 2, v15
	ds_read_b32 v48, v8
	v_cndmask_b32_e64 v20, v20, v38, s[12:13]
	v_cndmask_b32_e64 v19, v38, v19, s[12:13]
	v_cmp_lt_u32_e64 s[18:19], v20, v26
	v_cmp_ge_u32_e64 s[14:15], v19, v27
	s_waitcnt lgkmcnt(0)
	v_cndmask_b32_e64 v49, v48, v31, s[12:13]
	v_cndmask_b32_e64 v50, v39, v48, s[12:13]
	v_cmp_le_i32_e64 s[20:21], v49, v50
	s_and_b64 s[18:19], s[18:19], s[20:21]
	s_or_b64 s[14:15], s[14:15], s[18:19]
	v_cndmask_b32_e64 v19, v19, v20, s[14:15]
	v_lshl_add_u32 v8, v13, 3, v10
	v_lshl_add_u32 v13, v14, 3, v10
	;; [unrolled: 1-line block ×3, first 2 shown]
	ds_read_b64 v[8:9], v8
	ds_read_b64 v[13:14], v13
	;; [unrolled: 1-line block ×3, first 2 shown]
	v_cndmask_b32_e32 v48, v28, v23, vcc
	v_cndmask_b32_e64 v38, v32, v33, s[8:9]
	v_cndmask_b32_e64 v23, v31, v39, s[12:13]
	;; [unrolled: 1-line block ×3, first 2 shown]
.LBB521_85:
	s_or_b64 exec, exec, s[24:25]
	; wave barrier
	ds_write_b32 v11, v48
	ds_write_b64 v12, v[4:5]
	ds_write_b32 v17, v38
	s_waitcnt lgkmcnt(5)
	ds_write_b64 v18, v[8:9]
	ds_write_b32 v21, v23
	s_waitcnt lgkmcnt(6)
	;; [unrolled: 3-line block ×3, first 2 shown]
	ds_write_b64 v25, v[19:20]
	v_and_b32_e32 v17, 0x1e0, v36
	v_or_b32_e32 v11, 16, v17
	v_min_u32_e32 v11, v16, v11
	v_add_u32_e32 v12, 16, v11
	v_min_u32_e32 v12, v16, v12
	v_min_u32_e32 v16, v16, v37
	v_sub_u32_e32 v18, v11, v17
	v_sub_u32_e32 v21, v12, v11
	v_sub_u32_e64 v21, v16, v21 clamp
	v_min_u32_e32 v18, v16, v18
	v_cmp_lt_u32_e32 vcc, v21, v18
	; wave barrier
	s_and_saveexec_b64 s[8:9], vcc
	s_cbranch_execz .LBB521_89
; %bb.86:
	v_lshlrev_b32_e32 v22, 2, v17
	v_lshlrev_b32_e32 v24, 2, v11
	v_add_co_u32_e32 v22, vcc, v15, v22
	v_add_co_u32_e32 v24, vcc, v15, v24
	s_mov_b64 s[12:13], 0
.LBB521_87:                             ; =>This Inner Loop Header: Depth=1
	v_add_u32_e32 v25, v18, v21
	v_lshrrev_b32_e32 v25, 1, v25
	v_xad_u32 v26, v25, -1, v16
	v_lshl_add_u32 v27, v25, 2, v22
	v_lshl_add_u32 v26, v26, 2, v24
	ds_read_b32 v27, v27
	ds_read_b32 v26, v26
	v_add_u32_e32 v28, 1, v25
	s_waitcnt lgkmcnt(0)
	v_cmp_gt_i32_e32 vcc, v26, v27
	v_cndmask_b32_e32 v18, v18, v25, vcc
	v_cndmask_b32_e32 v21, v28, v21, vcc
	v_cmp_ge_u32_e32 vcc, v21, v18
	s_or_b64 s[12:13], vcc, s[12:13]
	s_andn2_b64 exec, exec, s[12:13]
	s_cbranch_execnz .LBB521_87
; %bb.88:
	s_or_b64 exec, exec, s[12:13]
.LBB521_89:
	s_or_b64 exec, exec, s[8:9]
	v_add_u32_e32 v16, v11, v16
	v_add_u32_e32 v18, v21, v17
	v_sub_u32_e32 v21, v16, v21
	v_cmp_le_u32_e32 vcc, v18, v11
	v_cmp_le_u32_e64 s[8:9], v21, v12
	s_or_b64 s[8:9], vcc, s[8:9]
	s_and_saveexec_b64 s[24:25], s[8:9]
	s_cbranch_execz .LBB521_95
; %bb.90:
	v_cmp_lt_u32_e32 vcc, v18, v11
                                        ; implicit-def: $vgpr16
	s_and_saveexec_b64 s[8:9], vcc
; %bb.91:
	v_lshl_add_u32 v4, v18, 2, v15
	ds_read_b32 v16, v4
; %bb.92:
	s_or_b64 exec, exec, s[8:9]
	v_cmp_ge_u32_e64 s[8:9], v21, v12
	v_cmp_lt_u32_e64 s[12:13], v21, v12
                                        ; implicit-def: $vgpr17
	s_and_saveexec_b64 s[14:15], s[12:13]
; %bb.93:
	v_lshl_add_u32 v4, v21, 2, v15
	ds_read_b32 v17, v4
; %bb.94:
	s_or_b64 exec, exec, s[14:15]
	s_waitcnt lgkmcnt(0)
	v_cmp_le_i32_e64 s[12:13], v17, v16
	s_and_b64 s[12:13], vcc, s[12:13]
	s_or_b64 vcc, s[8:9], s[12:13]
	v_cndmask_b32_e32 v4, v21, v18, vcc
	v_cndmask_b32_e32 v5, v12, v11, vcc
	v_add_u32_e32 v8, 1, v4
	v_add_u32_e32 v5, -1, v5
	v_min_u32_e32 v5, v8, v5
	v_lshl_add_u32 v5, v5, 2, v15
	ds_read_b32 v5, v5
	v_cndmask_b32_e32 v9, v8, v21, vcc
	v_cndmask_b32_e32 v8, v18, v8, vcc
	v_cmp_lt_u32_e64 s[12:13], v8, v11
	v_cmp_ge_u32_e64 s[8:9], v9, v12
	s_waitcnt lgkmcnt(0)
	v_cndmask_b32_e32 v21, v5, v17, vcc
	v_cndmask_b32_e32 v22, v16, v5, vcc
	v_cmp_le_i32_e64 s[14:15], v21, v22
	s_and_b64 s[12:13], s[12:13], s[14:15]
	s_or_b64 s[8:9], s[8:9], s[12:13]
	v_cndmask_b32_e64 v13, v9, v8, s[8:9]
	v_cndmask_b32_e64 v5, v12, v11, s[8:9]
	v_add_u32_e32 v14, 1, v13
	v_add_u32_e32 v5, -1, v5
	v_min_u32_e32 v5, v14, v5
	v_lshl_add_u32 v5, v5, 2, v15
	ds_read_b32 v18, v5
	v_cndmask_b32_e64 v20, v8, v14, s[8:9]
	v_cndmask_b32_e64 v19, v14, v9, s[8:9]
	v_cmp_lt_u32_e64 s[14:15], v20, v11
	v_cmp_ge_u32_e64 s[12:13], v19, v12
	s_waitcnt lgkmcnt(0)
	v_cndmask_b32_e64 v23, v18, v21, s[8:9]
	v_cndmask_b32_e64 v18, v22, v18, s[8:9]
	v_cmp_le_i32_e64 s[18:19], v23, v18
	s_and_b64 s[14:15], s[14:15], s[18:19]
	s_or_b64 s[12:13], s[12:13], s[14:15]
	v_cndmask_b32_e64 v14, v19, v20, s[12:13]
	v_cndmask_b32_e64 v8, v12, v11, s[12:13]
	v_add_u32_e32 v24, 1, v14
	v_add_u32_e32 v8, -1, v8
	v_min_u32_e32 v8, v24, v8
	v_lshl_add_u32 v8, v8, 2, v15
	ds_read_b32 v15, v8
	v_cndmask_b32_e64 v20, v20, v24, s[12:13]
	v_cndmask_b32_e64 v19, v24, v19, s[12:13]
	v_cmp_lt_u32_e64 s[18:19], v20, v11
	v_cmp_ge_u32_e64 s[14:15], v19, v12
	s_waitcnt lgkmcnt(0)
	v_cndmask_b32_e64 v25, v15, v23, s[12:13]
	v_cndmask_b32_e64 v15, v18, v15, s[12:13]
	v_cmp_le_i32_e64 s[20:21], v25, v15
	s_and_b64 s[18:19], s[18:19], s[20:21]
	s_or_b64 s[14:15], s[14:15], s[18:19]
	v_cndmask_b32_e64 v11, v19, v20, s[14:15]
	v_lshl_add_u32 v4, v4, 3, v10
	v_lshl_add_u32 v8, v13, 3, v10
	v_lshl_add_u32 v13, v14, 3, v10
	v_lshl_add_u32 v10, v11, 3, v10
	ds_read_b64 v[4:5], v4
	ds_read_b64 v[8:9], v8
	;; [unrolled: 1-line block ×4, first 2 shown]
	v_cndmask_b32_e32 v48, v17, v16, vcc
	v_cndmask_b32_e64 v38, v21, v22, s[8:9]
	v_cndmask_b32_e64 v23, v23, v18, s[12:13]
	;; [unrolled: 1-line block ×3, first 2 shown]
.LBB521_95:
	s_or_b64 exec, exec, s[24:25]
	; wave barrier
	s_waitcnt lgkmcnt(0)
	s_barrier
.LBB521_96:
	s_or_b64 exec, exec, s[22:23]
	v_add_co_u32_e32 v2, vcc, v2, v29
	v_addc_co_u32_e32 v3, vcc, v3, v30, vcc
	v_add_co_u32_e32 v2, vcc, v2, v34
	v_addc_co_u32_e32 v3, vcc, 0, v3, vcc
	s_waitcnt lgkmcnt(0)
	; wave barrier
	s_and_saveexec_b64 s[8:9], s[4:5]
	s_cbranch_execnz .LBB521_106
; %bb.97:
	s_or_b64 exec, exec, s[8:9]
	s_and_saveexec_b64 s[8:9], s[6:7]
	s_cbranch_execnz .LBB521_107
.LBB521_98:
	s_or_b64 exec, exec, s[8:9]
	s_and_saveexec_b64 s[8:9], s[16:17]
	s_cbranch_execnz .LBB521_108
.LBB521_99:
	s_or_b64 exec, exec, s[8:9]
	s_and_saveexec_b64 s[8:9], s[10:11]
	s_cbranch_execz .LBB521_101
.LBB521_100:
	s_waitcnt vmcnt(0)
	flat_store_dword v[2:3], v39 offset:12
.LBB521_101:
	s_or_b64 exec, exec, s[8:9]
	v_add_co_u32_e32 v0, vcc, v6, v0
	v_addc_co_u32_e32 v1, vcc, v7, v1, vcc
	v_add_co_u32_e32 v0, vcc, v0, v35
	v_addc_co_u32_e32 v1, vcc, 0, v1, vcc
	; wave barrier
	s_and_saveexec_b64 s[8:9], s[4:5]
	s_cbranch_execnz .LBB521_109
; %bb.102:
	s_or_b64 exec, exec, s[8:9]
	s_and_saveexec_b64 s[4:5], s[6:7]
	s_cbranch_execnz .LBB521_110
.LBB521_103:
	s_or_b64 exec, exec, s[4:5]
	s_and_saveexec_b64 s[4:5], s[16:17]
	s_cbranch_execnz .LBB521_111
.LBB521_104:
	s_or_b64 exec, exec, s[4:5]
	s_and_saveexec_b64 s[4:5], s[10:11]
	s_cbranch_execnz .LBB521_112
.LBB521_105:
	s_or_b64 exec, exec, s[4:5]
	s_waitcnt vmcnt(0) lgkmcnt(0)
	s_setpc_b64 s[30:31]
.LBB521_106:
	s_waitcnt vmcnt(0)
	flat_store_dword v[2:3], v48
	s_or_b64 exec, exec, s[8:9]
	s_and_saveexec_b64 s[8:9], s[6:7]
	s_cbranch_execz .LBB521_98
.LBB521_107:
	s_waitcnt vmcnt(0)
	flat_store_dword v[2:3], v38 offset:4
	s_or_b64 exec, exec, s[8:9]
	s_and_saveexec_b64 s[8:9], s[16:17]
	s_cbranch_execz .LBB521_99
.LBB521_108:
	s_waitcnt vmcnt(0)
	flat_store_dword v[2:3], v23 offset:8
	s_or_b64 exec, exec, s[8:9]
	s_and_saveexec_b64 s[8:9], s[10:11]
	s_cbranch_execnz .LBB521_100
	s_branch .LBB521_101
.LBB521_109:
	s_waitcnt vmcnt(0)
	flat_store_dwordx2 v[0:1], v[4:5]
	s_or_b64 exec, exec, s[8:9]
	s_and_saveexec_b64 s[4:5], s[6:7]
	s_cbranch_execz .LBB521_103
.LBB521_110:
	flat_store_dwordx2 v[0:1], v[8:9] offset:8
	s_or_b64 exec, exec, s[4:5]
	s_and_saveexec_b64 s[4:5], s[16:17]
	s_cbranch_execz .LBB521_104
.LBB521_111:
	flat_store_dwordx2 v[0:1], v[13:14] offset:16
	s_or_b64 exec, exec, s[4:5]
	s_and_saveexec_b64 s[4:5], s[10:11]
	s_cbranch_execz .LBB521_105
.LBB521_112:
	flat_store_dwordx2 v[0:1], v[19:20] offset:24
	s_or_b64 exec, exec, s[4:5]
	s_waitcnt vmcnt(0) lgkmcnt(0)
	s_setpc_b64 s[30:31]
.Lfunc_end521:
	.size	_ZN7rocprim17ROCPRIM_400000_NS6detail26segmented_warp_sort_helperINS1_20WarpSortHelperConfigILj8ELj4ELj256EEEilLi256ELb1EvE4sortIPKiPiPKlPlEEvT_T0_T1_T2_jjjjRNS5_12storage_typeE, .Lfunc_end521-_ZN7rocprim17ROCPRIM_400000_NS6detail26segmented_warp_sort_helperINS1_20WarpSortHelperConfigILj8ELj4ELj256EEEilLi256ELb1EvE4sortIPKiPiPKlPlEEvT_T0_T1_T2_jjjjRNS5_12storage_typeE
                                        ; -- End function
	.set .L_ZN7rocprim17ROCPRIM_400000_NS6detail26segmented_warp_sort_helperINS1_20WarpSortHelperConfigILj8ELj4ELj256EEEilLi256ELb1EvE4sortIPKiPiPKlPlEEvT_T0_T1_T2_jjjjRNS5_12storage_typeE.num_vgpr, 56
	.set .L_ZN7rocprim17ROCPRIM_400000_NS6detail26segmented_warp_sort_helperINS1_20WarpSortHelperConfigILj8ELj4ELj256EEEilLi256ELb1EvE4sortIPKiPiPKlPlEEvT_T0_T1_T2_jjjjRNS5_12storage_typeE.num_agpr, 0
	.set .L_ZN7rocprim17ROCPRIM_400000_NS6detail26segmented_warp_sort_helperINS1_20WarpSortHelperConfigILj8ELj4ELj256EEEilLi256ELb1EvE4sortIPKiPiPKlPlEEvT_T0_T1_T2_jjjjRNS5_12storage_typeE.numbered_sgpr, 32
	.set .L_ZN7rocprim17ROCPRIM_400000_NS6detail26segmented_warp_sort_helperINS1_20WarpSortHelperConfigILj8ELj4ELj256EEEilLi256ELb1EvE4sortIPKiPiPKlPlEEvT_T0_T1_T2_jjjjRNS5_12storage_typeE.num_named_barrier, 0
	.set .L_ZN7rocprim17ROCPRIM_400000_NS6detail26segmented_warp_sort_helperINS1_20WarpSortHelperConfigILj8ELj4ELj256EEEilLi256ELb1EvE4sortIPKiPiPKlPlEEvT_T0_T1_T2_jjjjRNS5_12storage_typeE.private_seg_size, 0
	.set .L_ZN7rocprim17ROCPRIM_400000_NS6detail26segmented_warp_sort_helperINS1_20WarpSortHelperConfigILj8ELj4ELj256EEEilLi256ELb1EvE4sortIPKiPiPKlPlEEvT_T0_T1_T2_jjjjRNS5_12storage_typeE.uses_vcc, 1
	.set .L_ZN7rocprim17ROCPRIM_400000_NS6detail26segmented_warp_sort_helperINS1_20WarpSortHelperConfigILj8ELj4ELj256EEEilLi256ELb1EvE4sortIPKiPiPKlPlEEvT_T0_T1_T2_jjjjRNS5_12storage_typeE.uses_flat_scratch, 0
	.set .L_ZN7rocprim17ROCPRIM_400000_NS6detail26segmented_warp_sort_helperINS1_20WarpSortHelperConfigILj8ELj4ELj256EEEilLi256ELb1EvE4sortIPKiPiPKlPlEEvT_T0_T1_T2_jjjjRNS5_12storage_typeE.has_dyn_sized_stack, 0
	.set .L_ZN7rocprim17ROCPRIM_400000_NS6detail26segmented_warp_sort_helperINS1_20WarpSortHelperConfigILj8ELj4ELj256EEEilLi256ELb1EvE4sortIPKiPiPKlPlEEvT_T0_T1_T2_jjjjRNS5_12storage_typeE.has_recursion, 0
	.set .L_ZN7rocprim17ROCPRIM_400000_NS6detail26segmented_warp_sort_helperINS1_20WarpSortHelperConfigILj8ELj4ELj256EEEilLi256ELb1EvE4sortIPKiPiPKlPlEEvT_T0_T1_T2_jjjjRNS5_12storage_typeE.has_indirect_call, 0
	.section	.AMDGPU.csdata,"",@progbits
; Function info:
; codeLenInByte = 6676
; TotalNumSgprs: 36
; NumVgprs: 56
; ScratchSize: 0
; MemoryBound: 1
	.section	.text._ZN7rocprim17ROCPRIM_400000_NS6detail17trampoline_kernelINS0_14default_configENS1_36segmented_radix_sort_config_selectorIilEEZNS1_25segmented_radix_sort_implIS3_Lb1EPKiPiPKlPlN2at6native12_GLOBAL__N_18offset_tEEE10hipError_tPvRmT1_PNSt15iterator_traitsISK_E10value_typeET2_T3_PNSL_ISQ_E10value_typeET4_jRbjT5_SW_jjP12ihipStream_tbEUlT_E1_NS1_11comp_targetILNS1_3genE2ELNS1_11target_archE906ELNS1_3gpuE6ELNS1_3repE0EEENS1_59segmented_radix_sort_warp_sort_small_config_static_selectorELNS0_4arch9wavefront6targetE1EEEvSK_,"axG",@progbits,_ZN7rocprim17ROCPRIM_400000_NS6detail17trampoline_kernelINS0_14default_configENS1_36segmented_radix_sort_config_selectorIilEEZNS1_25segmented_radix_sort_implIS3_Lb1EPKiPiPKlPlN2at6native12_GLOBAL__N_18offset_tEEE10hipError_tPvRmT1_PNSt15iterator_traitsISK_E10value_typeET2_T3_PNSL_ISQ_E10value_typeET4_jRbjT5_SW_jjP12ihipStream_tbEUlT_E1_NS1_11comp_targetILNS1_3genE2ELNS1_11target_archE906ELNS1_3gpuE6ELNS1_3repE0EEENS1_59segmented_radix_sort_warp_sort_small_config_static_selectorELNS0_4arch9wavefront6targetE1EEEvSK_,comdat
	.globl	_ZN7rocprim17ROCPRIM_400000_NS6detail17trampoline_kernelINS0_14default_configENS1_36segmented_radix_sort_config_selectorIilEEZNS1_25segmented_radix_sort_implIS3_Lb1EPKiPiPKlPlN2at6native12_GLOBAL__N_18offset_tEEE10hipError_tPvRmT1_PNSt15iterator_traitsISK_E10value_typeET2_T3_PNSL_ISQ_E10value_typeET4_jRbjT5_SW_jjP12ihipStream_tbEUlT_E1_NS1_11comp_targetILNS1_3genE2ELNS1_11target_archE906ELNS1_3gpuE6ELNS1_3repE0EEENS1_59segmented_radix_sort_warp_sort_small_config_static_selectorELNS0_4arch9wavefront6targetE1EEEvSK_ ; -- Begin function _ZN7rocprim17ROCPRIM_400000_NS6detail17trampoline_kernelINS0_14default_configENS1_36segmented_radix_sort_config_selectorIilEEZNS1_25segmented_radix_sort_implIS3_Lb1EPKiPiPKlPlN2at6native12_GLOBAL__N_18offset_tEEE10hipError_tPvRmT1_PNSt15iterator_traitsISK_E10value_typeET2_T3_PNSL_ISQ_E10value_typeET4_jRbjT5_SW_jjP12ihipStream_tbEUlT_E1_NS1_11comp_targetILNS1_3genE2ELNS1_11target_archE906ELNS1_3gpuE6ELNS1_3repE0EEENS1_59segmented_radix_sort_warp_sort_small_config_static_selectorELNS0_4arch9wavefront6targetE1EEEvSK_
	.p2align	8
	.type	_ZN7rocprim17ROCPRIM_400000_NS6detail17trampoline_kernelINS0_14default_configENS1_36segmented_radix_sort_config_selectorIilEEZNS1_25segmented_radix_sort_implIS3_Lb1EPKiPiPKlPlN2at6native12_GLOBAL__N_18offset_tEEE10hipError_tPvRmT1_PNSt15iterator_traitsISK_E10value_typeET2_T3_PNSL_ISQ_E10value_typeET4_jRbjT5_SW_jjP12ihipStream_tbEUlT_E1_NS1_11comp_targetILNS1_3genE2ELNS1_11target_archE906ELNS1_3gpuE6ELNS1_3repE0EEENS1_59segmented_radix_sort_warp_sort_small_config_static_selectorELNS0_4arch9wavefront6targetE1EEEvSK_,@function
_ZN7rocprim17ROCPRIM_400000_NS6detail17trampoline_kernelINS0_14default_configENS1_36segmented_radix_sort_config_selectorIilEEZNS1_25segmented_radix_sort_implIS3_Lb1EPKiPiPKlPlN2at6native12_GLOBAL__N_18offset_tEEE10hipError_tPvRmT1_PNSt15iterator_traitsISK_E10value_typeET2_T3_PNSL_ISQ_E10value_typeET4_jRbjT5_SW_jjP12ihipStream_tbEUlT_E1_NS1_11comp_targetILNS1_3genE2ELNS1_11target_archE906ELNS1_3gpuE6ELNS1_3repE0EEENS1_59segmented_radix_sort_warp_sort_small_config_static_selectorELNS0_4arch9wavefront6targetE1EEEvSK_: ; @_ZN7rocprim17ROCPRIM_400000_NS6detail17trampoline_kernelINS0_14default_configENS1_36segmented_radix_sort_config_selectorIilEEZNS1_25segmented_radix_sort_implIS3_Lb1EPKiPiPKlPlN2at6native12_GLOBAL__N_18offset_tEEE10hipError_tPvRmT1_PNSt15iterator_traitsISK_E10value_typeET2_T3_PNSL_ISQ_E10value_typeET4_jRbjT5_SW_jjP12ihipStream_tbEUlT_E1_NS1_11comp_targetILNS1_3genE2ELNS1_11target_archE906ELNS1_3gpuE6ELNS1_3repE0EEENS1_59segmented_radix_sort_warp_sort_small_config_static_selectorELNS0_4arch9wavefront6targetE1EEEvSK_
; %bb.0:
	s_add_u32 s0, s0, s8
	s_load_dword s8, s[4:5], 0x64
	s_addc_u32 s1, s1, 0
	s_mov_b32 s32, 0
	s_waitcnt lgkmcnt(0)
	s_lshr_b32 s9, s8, 16
	s_and_b32 s8, s8, 0xffff
	v_mad_u32_u24 v3, v2, s9, v1
	v_mad_u64_u32 v[3:4], s[8:9], v3, s8, v[0:1]
	s_load_dword s8, s[4:5], 0x34
	v_lshrrev_b32_e32 v3, 3, v3
	v_lshl_add_u32 v3, s6, 5, v3
	s_waitcnt lgkmcnt(0)
	v_cmp_gt_u32_e32 vcc, s8, v3
	s_and_saveexec_b64 s[8:9], vcc
	s_cbranch_execz .LBB522_6
; %bb.1:
	s_load_dwordx2 s[12:13], s[4:5], 0x38
	s_load_dwordx4 s[8:11], s[4:5], 0x40
	v_mov_b32_e32 v4, 0
	v_lshlrev_b64 v[3:4], 2, v[3:4]
	s_waitcnt lgkmcnt(0)
	v_mov_b32_e32 v5, s13
	v_sub_co_u32_e32 v3, vcc, s12, v3
	v_subb_co_u32_e32 v4, vcc, v5, v4, vcc
	global_load_dword v3, v[3:4], off offset:-4
	s_waitcnt vmcnt(0)
	v_add_u32_e32 v4, s9, v3
	v_add_u32_e32 v3, s11, v3
	v_mul_lo_u32 v40, v4, s8
	v_mul_lo_u32 v41, v3, s10
	v_cmp_gt_u32_e32 vcc, v41, v40
	s_and_b64 exec, exec, vcc
	s_cbranch_execz .LBB522_6
; %bb.2:
	s_load_dword s10, s[4:5], 0x30
	s_load_dwordx4 s[44:47], s[4:5], 0x20
	s_load_dwordx8 s[36:43], s[4:5], 0x0
	s_load_dwordx2 s[34:35], s[4:5], 0x50
	s_mov_b64 s[8:9], -1
	s_waitcnt lgkmcnt(0)
	s_bitcmp0_b32 s10, 0
	v_lshlrev_b32_e32 v43, 20, v2
	v_lshlrev_b32_e32 v44, 10, v1
	s_cbranch_scc0 .LBB522_4
; %bb.3:
	s_add_u32 s8, s4, 0x58
	s_mov_b64 s[10:11], src_shared_base
	s_addc_u32 s9, s5, 0
	s_getpc_b64 s[14:15]
	s_add_u32 s14, s14, _ZN7rocprim17ROCPRIM_400000_NS6detail26segmented_warp_sort_helperINS1_20WarpSortHelperConfigILj8ELj4ELj256EEEilLi256ELb1EvE4sortIPKiPiPKlPlEEvT_T0_T1_T2_jjjjRNS5_12storage_typeE@rel32@lo+4
	s_addc_u32 s15, s15, _ZN7rocprim17ROCPRIM_400000_NS6detail26segmented_warp_sort_helperINS1_20WarpSortHelperConfigILj8ELj4ELj256EEEilLi256ELb1EvE4sortIPKiPiPKlPlEEvT_T0_T1_T2_jjjjRNS5_12storage_typeE@rel32@hi+12
	v_or3_b32 v31, v0, v44, v43
	s_mov_b32 s12, s6
	s_mov_b32 s13, s7
	v_mov_b32_e32 v42, v0
	v_mov_b32_e32 v0, s36
	;; [unrolled: 1-line block ×15, first 2 shown]
	s_mov_b64 s[38:39], s[4:5]
	s_mov_b32 s44, s7
	s_mov_b32 s33, s6
	s_swappc_b64 s[30:31], s[14:15]
	v_mov_b32_e32 v0, v42
	s_mov_b32 s6, s33
	s_mov_b32 s7, s44
	s_mov_b64 s[4:5], s[38:39]
	s_mov_b64 s[8:9], 0
.LBB522_4:
	s_andn2_b64 vcc, exec, s[8:9]
	s_cbranch_vccnz .LBB522_6
; %bb.5:
	s_add_u32 s8, s4, 0x58
	s_mov_b64 s[10:11], src_shared_base
	s_addc_u32 s9, s5, 0
	s_getpc_b64 s[4:5]
	s_add_u32 s4, s4, _ZN7rocprim17ROCPRIM_400000_NS6detail26segmented_warp_sort_helperINS1_20WarpSortHelperConfigILj8ELj4ELj256EEEilLi256ELb1EvE4sortIPKiPiPKlPlEEvT_T0_T1_T2_jjjjRNS5_12storage_typeE@rel32@lo+4
	s_addc_u32 s5, s5, _ZN7rocprim17ROCPRIM_400000_NS6detail26segmented_warp_sort_helperINS1_20WarpSortHelperConfigILj8ELj4ELj256EEEilLi256ELb1EvE4sortIPKiPiPKlPlEEvT_T0_T1_T2_jjjjRNS5_12storage_typeE@rel32@hi+12
	v_or3_b32 v31, v0, v44, v43
	s_mov_b32 s12, s6
	s_mov_b32 s13, s7
	v_mov_b32_e32 v0, s36
	v_mov_b32_e32 v1, s37
	;; [unrolled: 1-line block ×14, first 2 shown]
	s_swappc_b64 s[30:31], s[4:5]
.LBB522_6:
	s_endpgm
	.section	.rodata,"a",@progbits
	.p2align	6, 0x0
	.amdhsa_kernel _ZN7rocprim17ROCPRIM_400000_NS6detail17trampoline_kernelINS0_14default_configENS1_36segmented_radix_sort_config_selectorIilEEZNS1_25segmented_radix_sort_implIS3_Lb1EPKiPiPKlPlN2at6native12_GLOBAL__N_18offset_tEEE10hipError_tPvRmT1_PNSt15iterator_traitsISK_E10value_typeET2_T3_PNSL_ISQ_E10value_typeET4_jRbjT5_SW_jjP12ihipStream_tbEUlT_E1_NS1_11comp_targetILNS1_3genE2ELNS1_11target_archE906ELNS1_3gpuE6ELNS1_3repE0EEENS1_59segmented_radix_sort_warp_sort_small_config_static_selectorELNS0_4arch9wavefront6targetE1EEEvSK_
		.amdhsa_group_segment_fixed_size 12288
		.amdhsa_private_segment_fixed_size 0
		.amdhsa_kernarg_size 344
		.amdhsa_user_sgpr_count 6
		.amdhsa_user_sgpr_private_segment_buffer 1
		.amdhsa_user_sgpr_dispatch_ptr 0
		.amdhsa_user_sgpr_queue_ptr 0
		.amdhsa_user_sgpr_kernarg_segment_ptr 1
		.amdhsa_user_sgpr_dispatch_id 0
		.amdhsa_user_sgpr_flat_scratch_init 0
		.amdhsa_user_sgpr_private_segment_size 0
		.amdhsa_uses_dynamic_stack 0
		.amdhsa_system_sgpr_private_segment_wavefront_offset 0
		.amdhsa_system_sgpr_workgroup_id_x 1
		.amdhsa_system_sgpr_workgroup_id_y 1
		.amdhsa_system_sgpr_workgroup_id_z 0
		.amdhsa_system_sgpr_workgroup_info 0
		.amdhsa_system_vgpr_workitem_id 2
		.amdhsa_next_free_vgpr 56
		.amdhsa_next_free_sgpr 98
		.amdhsa_reserve_vcc 1
		.amdhsa_reserve_flat_scratch 0
		.amdhsa_float_round_mode_32 0
		.amdhsa_float_round_mode_16_64 0
		.amdhsa_float_denorm_mode_32 3
		.amdhsa_float_denorm_mode_16_64 3
		.amdhsa_dx10_clamp 1
		.amdhsa_ieee_mode 1
		.amdhsa_fp16_overflow 0
		.amdhsa_exception_fp_ieee_invalid_op 0
		.amdhsa_exception_fp_denorm_src 0
		.amdhsa_exception_fp_ieee_div_zero 0
		.amdhsa_exception_fp_ieee_overflow 0
		.amdhsa_exception_fp_ieee_underflow 0
		.amdhsa_exception_fp_ieee_inexact 0
		.amdhsa_exception_int_div_zero 0
	.end_amdhsa_kernel
	.section	.text._ZN7rocprim17ROCPRIM_400000_NS6detail17trampoline_kernelINS0_14default_configENS1_36segmented_radix_sort_config_selectorIilEEZNS1_25segmented_radix_sort_implIS3_Lb1EPKiPiPKlPlN2at6native12_GLOBAL__N_18offset_tEEE10hipError_tPvRmT1_PNSt15iterator_traitsISK_E10value_typeET2_T3_PNSL_ISQ_E10value_typeET4_jRbjT5_SW_jjP12ihipStream_tbEUlT_E1_NS1_11comp_targetILNS1_3genE2ELNS1_11target_archE906ELNS1_3gpuE6ELNS1_3repE0EEENS1_59segmented_radix_sort_warp_sort_small_config_static_selectorELNS0_4arch9wavefront6targetE1EEEvSK_,"axG",@progbits,_ZN7rocprim17ROCPRIM_400000_NS6detail17trampoline_kernelINS0_14default_configENS1_36segmented_radix_sort_config_selectorIilEEZNS1_25segmented_radix_sort_implIS3_Lb1EPKiPiPKlPlN2at6native12_GLOBAL__N_18offset_tEEE10hipError_tPvRmT1_PNSt15iterator_traitsISK_E10value_typeET2_T3_PNSL_ISQ_E10value_typeET4_jRbjT5_SW_jjP12ihipStream_tbEUlT_E1_NS1_11comp_targetILNS1_3genE2ELNS1_11target_archE906ELNS1_3gpuE6ELNS1_3repE0EEENS1_59segmented_radix_sort_warp_sort_small_config_static_selectorELNS0_4arch9wavefront6targetE1EEEvSK_,comdat
.Lfunc_end522:
	.size	_ZN7rocprim17ROCPRIM_400000_NS6detail17trampoline_kernelINS0_14default_configENS1_36segmented_radix_sort_config_selectorIilEEZNS1_25segmented_radix_sort_implIS3_Lb1EPKiPiPKlPlN2at6native12_GLOBAL__N_18offset_tEEE10hipError_tPvRmT1_PNSt15iterator_traitsISK_E10value_typeET2_T3_PNSL_ISQ_E10value_typeET4_jRbjT5_SW_jjP12ihipStream_tbEUlT_E1_NS1_11comp_targetILNS1_3genE2ELNS1_11target_archE906ELNS1_3gpuE6ELNS1_3repE0EEENS1_59segmented_radix_sort_warp_sort_small_config_static_selectorELNS0_4arch9wavefront6targetE1EEEvSK_, .Lfunc_end522-_ZN7rocprim17ROCPRIM_400000_NS6detail17trampoline_kernelINS0_14default_configENS1_36segmented_radix_sort_config_selectorIilEEZNS1_25segmented_radix_sort_implIS3_Lb1EPKiPiPKlPlN2at6native12_GLOBAL__N_18offset_tEEE10hipError_tPvRmT1_PNSt15iterator_traitsISK_E10value_typeET2_T3_PNSL_ISQ_E10value_typeET4_jRbjT5_SW_jjP12ihipStream_tbEUlT_E1_NS1_11comp_targetILNS1_3genE2ELNS1_11target_archE906ELNS1_3gpuE6ELNS1_3repE0EEENS1_59segmented_radix_sort_warp_sort_small_config_static_selectorELNS0_4arch9wavefront6targetE1EEEvSK_
                                        ; -- End function
	.set _ZN7rocprim17ROCPRIM_400000_NS6detail17trampoline_kernelINS0_14default_configENS1_36segmented_radix_sort_config_selectorIilEEZNS1_25segmented_radix_sort_implIS3_Lb1EPKiPiPKlPlN2at6native12_GLOBAL__N_18offset_tEEE10hipError_tPvRmT1_PNSt15iterator_traitsISK_E10value_typeET2_T3_PNSL_ISQ_E10value_typeET4_jRbjT5_SW_jjP12ihipStream_tbEUlT_E1_NS1_11comp_targetILNS1_3genE2ELNS1_11target_archE906ELNS1_3gpuE6ELNS1_3repE0EEENS1_59segmented_radix_sort_warp_sort_small_config_static_selectorELNS0_4arch9wavefront6targetE1EEEvSK_.num_vgpr, max(45, .L_ZN7rocprim17ROCPRIM_400000_NS6detail26segmented_warp_sort_helperINS1_20WarpSortHelperConfigILj8ELj4ELj256EEEilLi256ELb1EvE4sortIPKiPiPKlPlEEvT_T0_T1_T2_jjjjRNS5_12storage_typeE.num_vgpr)
	.set _ZN7rocprim17ROCPRIM_400000_NS6detail17trampoline_kernelINS0_14default_configENS1_36segmented_radix_sort_config_selectorIilEEZNS1_25segmented_radix_sort_implIS3_Lb1EPKiPiPKlPlN2at6native12_GLOBAL__N_18offset_tEEE10hipError_tPvRmT1_PNSt15iterator_traitsISK_E10value_typeET2_T3_PNSL_ISQ_E10value_typeET4_jRbjT5_SW_jjP12ihipStream_tbEUlT_E1_NS1_11comp_targetILNS1_3genE2ELNS1_11target_archE906ELNS1_3gpuE6ELNS1_3repE0EEENS1_59segmented_radix_sort_warp_sort_small_config_static_selectorELNS0_4arch9wavefront6targetE1EEEvSK_.num_agpr, max(0, .L_ZN7rocprim17ROCPRIM_400000_NS6detail26segmented_warp_sort_helperINS1_20WarpSortHelperConfigILj8ELj4ELj256EEEilLi256ELb1EvE4sortIPKiPiPKlPlEEvT_T0_T1_T2_jjjjRNS5_12storage_typeE.num_agpr)
	.set _ZN7rocprim17ROCPRIM_400000_NS6detail17trampoline_kernelINS0_14default_configENS1_36segmented_radix_sort_config_selectorIilEEZNS1_25segmented_radix_sort_implIS3_Lb1EPKiPiPKlPlN2at6native12_GLOBAL__N_18offset_tEEE10hipError_tPvRmT1_PNSt15iterator_traitsISK_E10value_typeET2_T3_PNSL_ISQ_E10value_typeET4_jRbjT5_SW_jjP12ihipStream_tbEUlT_E1_NS1_11comp_targetILNS1_3genE2ELNS1_11target_archE906ELNS1_3gpuE6ELNS1_3repE0EEENS1_59segmented_radix_sort_warp_sort_small_config_static_selectorELNS0_4arch9wavefront6targetE1EEEvSK_.numbered_sgpr, max(48, .L_ZN7rocprim17ROCPRIM_400000_NS6detail26segmented_warp_sort_helperINS1_20WarpSortHelperConfigILj8ELj4ELj256EEEilLi256ELb1EvE4sortIPKiPiPKlPlEEvT_T0_T1_T2_jjjjRNS5_12storage_typeE.numbered_sgpr)
	.set _ZN7rocprim17ROCPRIM_400000_NS6detail17trampoline_kernelINS0_14default_configENS1_36segmented_radix_sort_config_selectorIilEEZNS1_25segmented_radix_sort_implIS3_Lb1EPKiPiPKlPlN2at6native12_GLOBAL__N_18offset_tEEE10hipError_tPvRmT1_PNSt15iterator_traitsISK_E10value_typeET2_T3_PNSL_ISQ_E10value_typeET4_jRbjT5_SW_jjP12ihipStream_tbEUlT_E1_NS1_11comp_targetILNS1_3genE2ELNS1_11target_archE906ELNS1_3gpuE6ELNS1_3repE0EEENS1_59segmented_radix_sort_warp_sort_small_config_static_selectorELNS0_4arch9wavefront6targetE1EEEvSK_.num_named_barrier, max(0, .L_ZN7rocprim17ROCPRIM_400000_NS6detail26segmented_warp_sort_helperINS1_20WarpSortHelperConfigILj8ELj4ELj256EEEilLi256ELb1EvE4sortIPKiPiPKlPlEEvT_T0_T1_T2_jjjjRNS5_12storage_typeE.num_named_barrier)
	.set _ZN7rocprim17ROCPRIM_400000_NS6detail17trampoline_kernelINS0_14default_configENS1_36segmented_radix_sort_config_selectorIilEEZNS1_25segmented_radix_sort_implIS3_Lb1EPKiPiPKlPlN2at6native12_GLOBAL__N_18offset_tEEE10hipError_tPvRmT1_PNSt15iterator_traitsISK_E10value_typeET2_T3_PNSL_ISQ_E10value_typeET4_jRbjT5_SW_jjP12ihipStream_tbEUlT_E1_NS1_11comp_targetILNS1_3genE2ELNS1_11target_archE906ELNS1_3gpuE6ELNS1_3repE0EEENS1_59segmented_radix_sort_warp_sort_small_config_static_selectorELNS0_4arch9wavefront6targetE1EEEvSK_.private_seg_size, 0+max(.L_ZN7rocprim17ROCPRIM_400000_NS6detail26segmented_warp_sort_helperINS1_20WarpSortHelperConfigILj8ELj4ELj256EEEilLi256ELb1EvE4sortIPKiPiPKlPlEEvT_T0_T1_T2_jjjjRNS5_12storage_typeE.private_seg_size)
	.set _ZN7rocprim17ROCPRIM_400000_NS6detail17trampoline_kernelINS0_14default_configENS1_36segmented_radix_sort_config_selectorIilEEZNS1_25segmented_radix_sort_implIS3_Lb1EPKiPiPKlPlN2at6native12_GLOBAL__N_18offset_tEEE10hipError_tPvRmT1_PNSt15iterator_traitsISK_E10value_typeET2_T3_PNSL_ISQ_E10value_typeET4_jRbjT5_SW_jjP12ihipStream_tbEUlT_E1_NS1_11comp_targetILNS1_3genE2ELNS1_11target_archE906ELNS1_3gpuE6ELNS1_3repE0EEENS1_59segmented_radix_sort_warp_sort_small_config_static_selectorELNS0_4arch9wavefront6targetE1EEEvSK_.uses_vcc, or(1, .L_ZN7rocprim17ROCPRIM_400000_NS6detail26segmented_warp_sort_helperINS1_20WarpSortHelperConfigILj8ELj4ELj256EEEilLi256ELb1EvE4sortIPKiPiPKlPlEEvT_T0_T1_T2_jjjjRNS5_12storage_typeE.uses_vcc)
	.set _ZN7rocprim17ROCPRIM_400000_NS6detail17trampoline_kernelINS0_14default_configENS1_36segmented_radix_sort_config_selectorIilEEZNS1_25segmented_radix_sort_implIS3_Lb1EPKiPiPKlPlN2at6native12_GLOBAL__N_18offset_tEEE10hipError_tPvRmT1_PNSt15iterator_traitsISK_E10value_typeET2_T3_PNSL_ISQ_E10value_typeET4_jRbjT5_SW_jjP12ihipStream_tbEUlT_E1_NS1_11comp_targetILNS1_3genE2ELNS1_11target_archE906ELNS1_3gpuE6ELNS1_3repE0EEENS1_59segmented_radix_sort_warp_sort_small_config_static_selectorELNS0_4arch9wavefront6targetE1EEEvSK_.uses_flat_scratch, or(0, .L_ZN7rocprim17ROCPRIM_400000_NS6detail26segmented_warp_sort_helperINS1_20WarpSortHelperConfigILj8ELj4ELj256EEEilLi256ELb1EvE4sortIPKiPiPKlPlEEvT_T0_T1_T2_jjjjRNS5_12storage_typeE.uses_flat_scratch)
	.set _ZN7rocprim17ROCPRIM_400000_NS6detail17trampoline_kernelINS0_14default_configENS1_36segmented_radix_sort_config_selectorIilEEZNS1_25segmented_radix_sort_implIS3_Lb1EPKiPiPKlPlN2at6native12_GLOBAL__N_18offset_tEEE10hipError_tPvRmT1_PNSt15iterator_traitsISK_E10value_typeET2_T3_PNSL_ISQ_E10value_typeET4_jRbjT5_SW_jjP12ihipStream_tbEUlT_E1_NS1_11comp_targetILNS1_3genE2ELNS1_11target_archE906ELNS1_3gpuE6ELNS1_3repE0EEENS1_59segmented_radix_sort_warp_sort_small_config_static_selectorELNS0_4arch9wavefront6targetE1EEEvSK_.has_dyn_sized_stack, or(0, .L_ZN7rocprim17ROCPRIM_400000_NS6detail26segmented_warp_sort_helperINS1_20WarpSortHelperConfigILj8ELj4ELj256EEEilLi256ELb1EvE4sortIPKiPiPKlPlEEvT_T0_T1_T2_jjjjRNS5_12storage_typeE.has_dyn_sized_stack)
	.set _ZN7rocprim17ROCPRIM_400000_NS6detail17trampoline_kernelINS0_14default_configENS1_36segmented_radix_sort_config_selectorIilEEZNS1_25segmented_radix_sort_implIS3_Lb1EPKiPiPKlPlN2at6native12_GLOBAL__N_18offset_tEEE10hipError_tPvRmT1_PNSt15iterator_traitsISK_E10value_typeET2_T3_PNSL_ISQ_E10value_typeET4_jRbjT5_SW_jjP12ihipStream_tbEUlT_E1_NS1_11comp_targetILNS1_3genE2ELNS1_11target_archE906ELNS1_3gpuE6ELNS1_3repE0EEENS1_59segmented_radix_sort_warp_sort_small_config_static_selectorELNS0_4arch9wavefront6targetE1EEEvSK_.has_recursion, or(0, .L_ZN7rocprim17ROCPRIM_400000_NS6detail26segmented_warp_sort_helperINS1_20WarpSortHelperConfigILj8ELj4ELj256EEEilLi256ELb1EvE4sortIPKiPiPKlPlEEvT_T0_T1_T2_jjjjRNS5_12storage_typeE.has_recursion)
	.set _ZN7rocprim17ROCPRIM_400000_NS6detail17trampoline_kernelINS0_14default_configENS1_36segmented_radix_sort_config_selectorIilEEZNS1_25segmented_radix_sort_implIS3_Lb1EPKiPiPKlPlN2at6native12_GLOBAL__N_18offset_tEEE10hipError_tPvRmT1_PNSt15iterator_traitsISK_E10value_typeET2_T3_PNSL_ISQ_E10value_typeET4_jRbjT5_SW_jjP12ihipStream_tbEUlT_E1_NS1_11comp_targetILNS1_3genE2ELNS1_11target_archE906ELNS1_3gpuE6ELNS1_3repE0EEENS1_59segmented_radix_sort_warp_sort_small_config_static_selectorELNS0_4arch9wavefront6targetE1EEEvSK_.has_indirect_call, or(0, .L_ZN7rocprim17ROCPRIM_400000_NS6detail26segmented_warp_sort_helperINS1_20WarpSortHelperConfigILj8ELj4ELj256EEEilLi256ELb1EvE4sortIPKiPiPKlPlEEvT_T0_T1_T2_jjjjRNS5_12storage_typeE.has_indirect_call)
	.section	.AMDGPU.csdata,"",@progbits
; Kernel info:
; codeLenInByte = 508
; TotalNumSgprs: 52
; NumVgprs: 56
; ScratchSize: 0
; MemoryBound: 0
; FloatMode: 240
; IeeeMode: 1
; LDSByteSize: 12288 bytes/workgroup (compile time only)
; SGPRBlocks: 12
; VGPRBlocks: 13
; NumSGPRsForWavesPerEU: 102
; NumVGPRsForWavesPerEU: 56
; Occupancy: 4
; WaveLimiterHint : 0
; COMPUTE_PGM_RSRC2:SCRATCH_EN: 0
; COMPUTE_PGM_RSRC2:USER_SGPR: 6
; COMPUTE_PGM_RSRC2:TRAP_HANDLER: 0
; COMPUTE_PGM_RSRC2:TGID_X_EN: 1
; COMPUTE_PGM_RSRC2:TGID_Y_EN: 1
; COMPUTE_PGM_RSRC2:TGID_Z_EN: 0
; COMPUTE_PGM_RSRC2:TIDIG_COMP_CNT: 2
	.section	.text._ZN7rocprim17ROCPRIM_400000_NS6detail17trampoline_kernelINS0_14default_configENS1_36segmented_radix_sort_config_selectorIilEEZNS1_25segmented_radix_sort_implIS3_Lb1EPKiPiPKlPlN2at6native12_GLOBAL__N_18offset_tEEE10hipError_tPvRmT1_PNSt15iterator_traitsISK_E10value_typeET2_T3_PNSL_ISQ_E10value_typeET4_jRbjT5_SW_jjP12ihipStream_tbEUlT_E1_NS1_11comp_targetILNS1_3genE10ELNS1_11target_archE1201ELNS1_3gpuE5ELNS1_3repE0EEENS1_59segmented_radix_sort_warp_sort_small_config_static_selectorELNS0_4arch9wavefront6targetE1EEEvSK_,"axG",@progbits,_ZN7rocprim17ROCPRIM_400000_NS6detail17trampoline_kernelINS0_14default_configENS1_36segmented_radix_sort_config_selectorIilEEZNS1_25segmented_radix_sort_implIS3_Lb1EPKiPiPKlPlN2at6native12_GLOBAL__N_18offset_tEEE10hipError_tPvRmT1_PNSt15iterator_traitsISK_E10value_typeET2_T3_PNSL_ISQ_E10value_typeET4_jRbjT5_SW_jjP12ihipStream_tbEUlT_E1_NS1_11comp_targetILNS1_3genE10ELNS1_11target_archE1201ELNS1_3gpuE5ELNS1_3repE0EEENS1_59segmented_radix_sort_warp_sort_small_config_static_selectorELNS0_4arch9wavefront6targetE1EEEvSK_,comdat
	.globl	_ZN7rocprim17ROCPRIM_400000_NS6detail17trampoline_kernelINS0_14default_configENS1_36segmented_radix_sort_config_selectorIilEEZNS1_25segmented_radix_sort_implIS3_Lb1EPKiPiPKlPlN2at6native12_GLOBAL__N_18offset_tEEE10hipError_tPvRmT1_PNSt15iterator_traitsISK_E10value_typeET2_T3_PNSL_ISQ_E10value_typeET4_jRbjT5_SW_jjP12ihipStream_tbEUlT_E1_NS1_11comp_targetILNS1_3genE10ELNS1_11target_archE1201ELNS1_3gpuE5ELNS1_3repE0EEENS1_59segmented_radix_sort_warp_sort_small_config_static_selectorELNS0_4arch9wavefront6targetE1EEEvSK_ ; -- Begin function _ZN7rocprim17ROCPRIM_400000_NS6detail17trampoline_kernelINS0_14default_configENS1_36segmented_radix_sort_config_selectorIilEEZNS1_25segmented_radix_sort_implIS3_Lb1EPKiPiPKlPlN2at6native12_GLOBAL__N_18offset_tEEE10hipError_tPvRmT1_PNSt15iterator_traitsISK_E10value_typeET2_T3_PNSL_ISQ_E10value_typeET4_jRbjT5_SW_jjP12ihipStream_tbEUlT_E1_NS1_11comp_targetILNS1_3genE10ELNS1_11target_archE1201ELNS1_3gpuE5ELNS1_3repE0EEENS1_59segmented_radix_sort_warp_sort_small_config_static_selectorELNS0_4arch9wavefront6targetE1EEEvSK_
	.p2align	8
	.type	_ZN7rocprim17ROCPRIM_400000_NS6detail17trampoline_kernelINS0_14default_configENS1_36segmented_radix_sort_config_selectorIilEEZNS1_25segmented_radix_sort_implIS3_Lb1EPKiPiPKlPlN2at6native12_GLOBAL__N_18offset_tEEE10hipError_tPvRmT1_PNSt15iterator_traitsISK_E10value_typeET2_T3_PNSL_ISQ_E10value_typeET4_jRbjT5_SW_jjP12ihipStream_tbEUlT_E1_NS1_11comp_targetILNS1_3genE10ELNS1_11target_archE1201ELNS1_3gpuE5ELNS1_3repE0EEENS1_59segmented_radix_sort_warp_sort_small_config_static_selectorELNS0_4arch9wavefront6targetE1EEEvSK_,@function
_ZN7rocprim17ROCPRIM_400000_NS6detail17trampoline_kernelINS0_14default_configENS1_36segmented_radix_sort_config_selectorIilEEZNS1_25segmented_radix_sort_implIS3_Lb1EPKiPiPKlPlN2at6native12_GLOBAL__N_18offset_tEEE10hipError_tPvRmT1_PNSt15iterator_traitsISK_E10value_typeET2_T3_PNSL_ISQ_E10value_typeET4_jRbjT5_SW_jjP12ihipStream_tbEUlT_E1_NS1_11comp_targetILNS1_3genE10ELNS1_11target_archE1201ELNS1_3gpuE5ELNS1_3repE0EEENS1_59segmented_radix_sort_warp_sort_small_config_static_selectorELNS0_4arch9wavefront6targetE1EEEvSK_: ; @_ZN7rocprim17ROCPRIM_400000_NS6detail17trampoline_kernelINS0_14default_configENS1_36segmented_radix_sort_config_selectorIilEEZNS1_25segmented_radix_sort_implIS3_Lb1EPKiPiPKlPlN2at6native12_GLOBAL__N_18offset_tEEE10hipError_tPvRmT1_PNSt15iterator_traitsISK_E10value_typeET2_T3_PNSL_ISQ_E10value_typeET4_jRbjT5_SW_jjP12ihipStream_tbEUlT_E1_NS1_11comp_targetILNS1_3genE10ELNS1_11target_archE1201ELNS1_3gpuE5ELNS1_3repE0EEENS1_59segmented_radix_sort_warp_sort_small_config_static_selectorELNS0_4arch9wavefront6targetE1EEEvSK_
; %bb.0:
	.section	.rodata,"a",@progbits
	.p2align	6, 0x0
	.amdhsa_kernel _ZN7rocprim17ROCPRIM_400000_NS6detail17trampoline_kernelINS0_14default_configENS1_36segmented_radix_sort_config_selectorIilEEZNS1_25segmented_radix_sort_implIS3_Lb1EPKiPiPKlPlN2at6native12_GLOBAL__N_18offset_tEEE10hipError_tPvRmT1_PNSt15iterator_traitsISK_E10value_typeET2_T3_PNSL_ISQ_E10value_typeET4_jRbjT5_SW_jjP12ihipStream_tbEUlT_E1_NS1_11comp_targetILNS1_3genE10ELNS1_11target_archE1201ELNS1_3gpuE5ELNS1_3repE0EEENS1_59segmented_radix_sort_warp_sort_small_config_static_selectorELNS0_4arch9wavefront6targetE1EEEvSK_
		.amdhsa_group_segment_fixed_size 0
		.amdhsa_private_segment_fixed_size 0
		.amdhsa_kernarg_size 88
		.amdhsa_user_sgpr_count 6
		.amdhsa_user_sgpr_private_segment_buffer 1
		.amdhsa_user_sgpr_dispatch_ptr 0
		.amdhsa_user_sgpr_queue_ptr 0
		.amdhsa_user_sgpr_kernarg_segment_ptr 1
		.amdhsa_user_sgpr_dispatch_id 0
		.amdhsa_user_sgpr_flat_scratch_init 0
		.amdhsa_user_sgpr_private_segment_size 0
		.amdhsa_uses_dynamic_stack 0
		.amdhsa_system_sgpr_private_segment_wavefront_offset 0
		.amdhsa_system_sgpr_workgroup_id_x 1
		.amdhsa_system_sgpr_workgroup_id_y 0
		.amdhsa_system_sgpr_workgroup_id_z 0
		.amdhsa_system_sgpr_workgroup_info 0
		.amdhsa_system_vgpr_workitem_id 0
		.amdhsa_next_free_vgpr 1
		.amdhsa_next_free_sgpr 0
		.amdhsa_reserve_vcc 0
		.amdhsa_reserve_flat_scratch 0
		.amdhsa_float_round_mode_32 0
		.amdhsa_float_round_mode_16_64 0
		.amdhsa_float_denorm_mode_32 3
		.amdhsa_float_denorm_mode_16_64 3
		.amdhsa_dx10_clamp 1
		.amdhsa_ieee_mode 1
		.amdhsa_fp16_overflow 0
		.amdhsa_exception_fp_ieee_invalid_op 0
		.amdhsa_exception_fp_denorm_src 0
		.amdhsa_exception_fp_ieee_div_zero 0
		.amdhsa_exception_fp_ieee_overflow 0
		.amdhsa_exception_fp_ieee_underflow 0
		.amdhsa_exception_fp_ieee_inexact 0
		.amdhsa_exception_int_div_zero 0
	.end_amdhsa_kernel
	.section	.text._ZN7rocprim17ROCPRIM_400000_NS6detail17trampoline_kernelINS0_14default_configENS1_36segmented_radix_sort_config_selectorIilEEZNS1_25segmented_radix_sort_implIS3_Lb1EPKiPiPKlPlN2at6native12_GLOBAL__N_18offset_tEEE10hipError_tPvRmT1_PNSt15iterator_traitsISK_E10value_typeET2_T3_PNSL_ISQ_E10value_typeET4_jRbjT5_SW_jjP12ihipStream_tbEUlT_E1_NS1_11comp_targetILNS1_3genE10ELNS1_11target_archE1201ELNS1_3gpuE5ELNS1_3repE0EEENS1_59segmented_radix_sort_warp_sort_small_config_static_selectorELNS0_4arch9wavefront6targetE1EEEvSK_,"axG",@progbits,_ZN7rocprim17ROCPRIM_400000_NS6detail17trampoline_kernelINS0_14default_configENS1_36segmented_radix_sort_config_selectorIilEEZNS1_25segmented_radix_sort_implIS3_Lb1EPKiPiPKlPlN2at6native12_GLOBAL__N_18offset_tEEE10hipError_tPvRmT1_PNSt15iterator_traitsISK_E10value_typeET2_T3_PNSL_ISQ_E10value_typeET4_jRbjT5_SW_jjP12ihipStream_tbEUlT_E1_NS1_11comp_targetILNS1_3genE10ELNS1_11target_archE1201ELNS1_3gpuE5ELNS1_3repE0EEENS1_59segmented_radix_sort_warp_sort_small_config_static_selectorELNS0_4arch9wavefront6targetE1EEEvSK_,comdat
.Lfunc_end523:
	.size	_ZN7rocprim17ROCPRIM_400000_NS6detail17trampoline_kernelINS0_14default_configENS1_36segmented_radix_sort_config_selectorIilEEZNS1_25segmented_radix_sort_implIS3_Lb1EPKiPiPKlPlN2at6native12_GLOBAL__N_18offset_tEEE10hipError_tPvRmT1_PNSt15iterator_traitsISK_E10value_typeET2_T3_PNSL_ISQ_E10value_typeET4_jRbjT5_SW_jjP12ihipStream_tbEUlT_E1_NS1_11comp_targetILNS1_3genE10ELNS1_11target_archE1201ELNS1_3gpuE5ELNS1_3repE0EEENS1_59segmented_radix_sort_warp_sort_small_config_static_selectorELNS0_4arch9wavefront6targetE1EEEvSK_, .Lfunc_end523-_ZN7rocprim17ROCPRIM_400000_NS6detail17trampoline_kernelINS0_14default_configENS1_36segmented_radix_sort_config_selectorIilEEZNS1_25segmented_radix_sort_implIS3_Lb1EPKiPiPKlPlN2at6native12_GLOBAL__N_18offset_tEEE10hipError_tPvRmT1_PNSt15iterator_traitsISK_E10value_typeET2_T3_PNSL_ISQ_E10value_typeET4_jRbjT5_SW_jjP12ihipStream_tbEUlT_E1_NS1_11comp_targetILNS1_3genE10ELNS1_11target_archE1201ELNS1_3gpuE5ELNS1_3repE0EEENS1_59segmented_radix_sort_warp_sort_small_config_static_selectorELNS0_4arch9wavefront6targetE1EEEvSK_
                                        ; -- End function
	.set _ZN7rocprim17ROCPRIM_400000_NS6detail17trampoline_kernelINS0_14default_configENS1_36segmented_radix_sort_config_selectorIilEEZNS1_25segmented_radix_sort_implIS3_Lb1EPKiPiPKlPlN2at6native12_GLOBAL__N_18offset_tEEE10hipError_tPvRmT1_PNSt15iterator_traitsISK_E10value_typeET2_T3_PNSL_ISQ_E10value_typeET4_jRbjT5_SW_jjP12ihipStream_tbEUlT_E1_NS1_11comp_targetILNS1_3genE10ELNS1_11target_archE1201ELNS1_3gpuE5ELNS1_3repE0EEENS1_59segmented_radix_sort_warp_sort_small_config_static_selectorELNS0_4arch9wavefront6targetE1EEEvSK_.num_vgpr, 0
	.set _ZN7rocprim17ROCPRIM_400000_NS6detail17trampoline_kernelINS0_14default_configENS1_36segmented_radix_sort_config_selectorIilEEZNS1_25segmented_radix_sort_implIS3_Lb1EPKiPiPKlPlN2at6native12_GLOBAL__N_18offset_tEEE10hipError_tPvRmT1_PNSt15iterator_traitsISK_E10value_typeET2_T3_PNSL_ISQ_E10value_typeET4_jRbjT5_SW_jjP12ihipStream_tbEUlT_E1_NS1_11comp_targetILNS1_3genE10ELNS1_11target_archE1201ELNS1_3gpuE5ELNS1_3repE0EEENS1_59segmented_radix_sort_warp_sort_small_config_static_selectorELNS0_4arch9wavefront6targetE1EEEvSK_.num_agpr, 0
	.set _ZN7rocprim17ROCPRIM_400000_NS6detail17trampoline_kernelINS0_14default_configENS1_36segmented_radix_sort_config_selectorIilEEZNS1_25segmented_radix_sort_implIS3_Lb1EPKiPiPKlPlN2at6native12_GLOBAL__N_18offset_tEEE10hipError_tPvRmT1_PNSt15iterator_traitsISK_E10value_typeET2_T3_PNSL_ISQ_E10value_typeET4_jRbjT5_SW_jjP12ihipStream_tbEUlT_E1_NS1_11comp_targetILNS1_3genE10ELNS1_11target_archE1201ELNS1_3gpuE5ELNS1_3repE0EEENS1_59segmented_radix_sort_warp_sort_small_config_static_selectorELNS0_4arch9wavefront6targetE1EEEvSK_.numbered_sgpr, 0
	.set _ZN7rocprim17ROCPRIM_400000_NS6detail17trampoline_kernelINS0_14default_configENS1_36segmented_radix_sort_config_selectorIilEEZNS1_25segmented_radix_sort_implIS3_Lb1EPKiPiPKlPlN2at6native12_GLOBAL__N_18offset_tEEE10hipError_tPvRmT1_PNSt15iterator_traitsISK_E10value_typeET2_T3_PNSL_ISQ_E10value_typeET4_jRbjT5_SW_jjP12ihipStream_tbEUlT_E1_NS1_11comp_targetILNS1_3genE10ELNS1_11target_archE1201ELNS1_3gpuE5ELNS1_3repE0EEENS1_59segmented_radix_sort_warp_sort_small_config_static_selectorELNS0_4arch9wavefront6targetE1EEEvSK_.num_named_barrier, 0
	.set _ZN7rocprim17ROCPRIM_400000_NS6detail17trampoline_kernelINS0_14default_configENS1_36segmented_radix_sort_config_selectorIilEEZNS1_25segmented_radix_sort_implIS3_Lb1EPKiPiPKlPlN2at6native12_GLOBAL__N_18offset_tEEE10hipError_tPvRmT1_PNSt15iterator_traitsISK_E10value_typeET2_T3_PNSL_ISQ_E10value_typeET4_jRbjT5_SW_jjP12ihipStream_tbEUlT_E1_NS1_11comp_targetILNS1_3genE10ELNS1_11target_archE1201ELNS1_3gpuE5ELNS1_3repE0EEENS1_59segmented_radix_sort_warp_sort_small_config_static_selectorELNS0_4arch9wavefront6targetE1EEEvSK_.private_seg_size, 0
	.set _ZN7rocprim17ROCPRIM_400000_NS6detail17trampoline_kernelINS0_14default_configENS1_36segmented_radix_sort_config_selectorIilEEZNS1_25segmented_radix_sort_implIS3_Lb1EPKiPiPKlPlN2at6native12_GLOBAL__N_18offset_tEEE10hipError_tPvRmT1_PNSt15iterator_traitsISK_E10value_typeET2_T3_PNSL_ISQ_E10value_typeET4_jRbjT5_SW_jjP12ihipStream_tbEUlT_E1_NS1_11comp_targetILNS1_3genE10ELNS1_11target_archE1201ELNS1_3gpuE5ELNS1_3repE0EEENS1_59segmented_radix_sort_warp_sort_small_config_static_selectorELNS0_4arch9wavefront6targetE1EEEvSK_.uses_vcc, 0
	.set _ZN7rocprim17ROCPRIM_400000_NS6detail17trampoline_kernelINS0_14default_configENS1_36segmented_radix_sort_config_selectorIilEEZNS1_25segmented_radix_sort_implIS3_Lb1EPKiPiPKlPlN2at6native12_GLOBAL__N_18offset_tEEE10hipError_tPvRmT1_PNSt15iterator_traitsISK_E10value_typeET2_T3_PNSL_ISQ_E10value_typeET4_jRbjT5_SW_jjP12ihipStream_tbEUlT_E1_NS1_11comp_targetILNS1_3genE10ELNS1_11target_archE1201ELNS1_3gpuE5ELNS1_3repE0EEENS1_59segmented_radix_sort_warp_sort_small_config_static_selectorELNS0_4arch9wavefront6targetE1EEEvSK_.uses_flat_scratch, 0
	.set _ZN7rocprim17ROCPRIM_400000_NS6detail17trampoline_kernelINS0_14default_configENS1_36segmented_radix_sort_config_selectorIilEEZNS1_25segmented_radix_sort_implIS3_Lb1EPKiPiPKlPlN2at6native12_GLOBAL__N_18offset_tEEE10hipError_tPvRmT1_PNSt15iterator_traitsISK_E10value_typeET2_T3_PNSL_ISQ_E10value_typeET4_jRbjT5_SW_jjP12ihipStream_tbEUlT_E1_NS1_11comp_targetILNS1_3genE10ELNS1_11target_archE1201ELNS1_3gpuE5ELNS1_3repE0EEENS1_59segmented_radix_sort_warp_sort_small_config_static_selectorELNS0_4arch9wavefront6targetE1EEEvSK_.has_dyn_sized_stack, 0
	.set _ZN7rocprim17ROCPRIM_400000_NS6detail17trampoline_kernelINS0_14default_configENS1_36segmented_radix_sort_config_selectorIilEEZNS1_25segmented_radix_sort_implIS3_Lb1EPKiPiPKlPlN2at6native12_GLOBAL__N_18offset_tEEE10hipError_tPvRmT1_PNSt15iterator_traitsISK_E10value_typeET2_T3_PNSL_ISQ_E10value_typeET4_jRbjT5_SW_jjP12ihipStream_tbEUlT_E1_NS1_11comp_targetILNS1_3genE10ELNS1_11target_archE1201ELNS1_3gpuE5ELNS1_3repE0EEENS1_59segmented_radix_sort_warp_sort_small_config_static_selectorELNS0_4arch9wavefront6targetE1EEEvSK_.has_recursion, 0
	.set _ZN7rocprim17ROCPRIM_400000_NS6detail17trampoline_kernelINS0_14default_configENS1_36segmented_radix_sort_config_selectorIilEEZNS1_25segmented_radix_sort_implIS3_Lb1EPKiPiPKlPlN2at6native12_GLOBAL__N_18offset_tEEE10hipError_tPvRmT1_PNSt15iterator_traitsISK_E10value_typeET2_T3_PNSL_ISQ_E10value_typeET4_jRbjT5_SW_jjP12ihipStream_tbEUlT_E1_NS1_11comp_targetILNS1_3genE10ELNS1_11target_archE1201ELNS1_3gpuE5ELNS1_3repE0EEENS1_59segmented_radix_sort_warp_sort_small_config_static_selectorELNS0_4arch9wavefront6targetE1EEEvSK_.has_indirect_call, 0
	.section	.AMDGPU.csdata,"",@progbits
; Kernel info:
; codeLenInByte = 0
; TotalNumSgprs: 4
; NumVgprs: 0
; ScratchSize: 0
; MemoryBound: 0
; FloatMode: 240
; IeeeMode: 1
; LDSByteSize: 0 bytes/workgroup (compile time only)
; SGPRBlocks: 0
; VGPRBlocks: 0
; NumSGPRsForWavesPerEU: 4
; NumVGPRsForWavesPerEU: 1
; Occupancy: 10
; WaveLimiterHint : 0
; COMPUTE_PGM_RSRC2:SCRATCH_EN: 0
; COMPUTE_PGM_RSRC2:USER_SGPR: 6
; COMPUTE_PGM_RSRC2:TRAP_HANDLER: 0
; COMPUTE_PGM_RSRC2:TGID_X_EN: 1
; COMPUTE_PGM_RSRC2:TGID_Y_EN: 0
; COMPUTE_PGM_RSRC2:TGID_Z_EN: 0
; COMPUTE_PGM_RSRC2:TIDIG_COMP_CNT: 0
	.section	.text._ZN7rocprim17ROCPRIM_400000_NS6detail17trampoline_kernelINS0_14default_configENS1_36segmented_radix_sort_config_selectorIilEEZNS1_25segmented_radix_sort_implIS3_Lb1EPKiPiPKlPlN2at6native12_GLOBAL__N_18offset_tEEE10hipError_tPvRmT1_PNSt15iterator_traitsISK_E10value_typeET2_T3_PNSL_ISQ_E10value_typeET4_jRbjT5_SW_jjP12ihipStream_tbEUlT_E1_NS1_11comp_targetILNS1_3genE10ELNS1_11target_archE1200ELNS1_3gpuE4ELNS1_3repE0EEENS1_59segmented_radix_sort_warp_sort_small_config_static_selectorELNS0_4arch9wavefront6targetE1EEEvSK_,"axG",@progbits,_ZN7rocprim17ROCPRIM_400000_NS6detail17trampoline_kernelINS0_14default_configENS1_36segmented_radix_sort_config_selectorIilEEZNS1_25segmented_radix_sort_implIS3_Lb1EPKiPiPKlPlN2at6native12_GLOBAL__N_18offset_tEEE10hipError_tPvRmT1_PNSt15iterator_traitsISK_E10value_typeET2_T3_PNSL_ISQ_E10value_typeET4_jRbjT5_SW_jjP12ihipStream_tbEUlT_E1_NS1_11comp_targetILNS1_3genE10ELNS1_11target_archE1200ELNS1_3gpuE4ELNS1_3repE0EEENS1_59segmented_radix_sort_warp_sort_small_config_static_selectorELNS0_4arch9wavefront6targetE1EEEvSK_,comdat
	.globl	_ZN7rocprim17ROCPRIM_400000_NS6detail17trampoline_kernelINS0_14default_configENS1_36segmented_radix_sort_config_selectorIilEEZNS1_25segmented_radix_sort_implIS3_Lb1EPKiPiPKlPlN2at6native12_GLOBAL__N_18offset_tEEE10hipError_tPvRmT1_PNSt15iterator_traitsISK_E10value_typeET2_T3_PNSL_ISQ_E10value_typeET4_jRbjT5_SW_jjP12ihipStream_tbEUlT_E1_NS1_11comp_targetILNS1_3genE10ELNS1_11target_archE1200ELNS1_3gpuE4ELNS1_3repE0EEENS1_59segmented_radix_sort_warp_sort_small_config_static_selectorELNS0_4arch9wavefront6targetE1EEEvSK_ ; -- Begin function _ZN7rocprim17ROCPRIM_400000_NS6detail17trampoline_kernelINS0_14default_configENS1_36segmented_radix_sort_config_selectorIilEEZNS1_25segmented_radix_sort_implIS3_Lb1EPKiPiPKlPlN2at6native12_GLOBAL__N_18offset_tEEE10hipError_tPvRmT1_PNSt15iterator_traitsISK_E10value_typeET2_T3_PNSL_ISQ_E10value_typeET4_jRbjT5_SW_jjP12ihipStream_tbEUlT_E1_NS1_11comp_targetILNS1_3genE10ELNS1_11target_archE1200ELNS1_3gpuE4ELNS1_3repE0EEENS1_59segmented_radix_sort_warp_sort_small_config_static_selectorELNS0_4arch9wavefront6targetE1EEEvSK_
	.p2align	8
	.type	_ZN7rocprim17ROCPRIM_400000_NS6detail17trampoline_kernelINS0_14default_configENS1_36segmented_radix_sort_config_selectorIilEEZNS1_25segmented_radix_sort_implIS3_Lb1EPKiPiPKlPlN2at6native12_GLOBAL__N_18offset_tEEE10hipError_tPvRmT1_PNSt15iterator_traitsISK_E10value_typeET2_T3_PNSL_ISQ_E10value_typeET4_jRbjT5_SW_jjP12ihipStream_tbEUlT_E1_NS1_11comp_targetILNS1_3genE10ELNS1_11target_archE1200ELNS1_3gpuE4ELNS1_3repE0EEENS1_59segmented_radix_sort_warp_sort_small_config_static_selectorELNS0_4arch9wavefront6targetE1EEEvSK_,@function
_ZN7rocprim17ROCPRIM_400000_NS6detail17trampoline_kernelINS0_14default_configENS1_36segmented_radix_sort_config_selectorIilEEZNS1_25segmented_radix_sort_implIS3_Lb1EPKiPiPKlPlN2at6native12_GLOBAL__N_18offset_tEEE10hipError_tPvRmT1_PNSt15iterator_traitsISK_E10value_typeET2_T3_PNSL_ISQ_E10value_typeET4_jRbjT5_SW_jjP12ihipStream_tbEUlT_E1_NS1_11comp_targetILNS1_3genE10ELNS1_11target_archE1200ELNS1_3gpuE4ELNS1_3repE0EEENS1_59segmented_radix_sort_warp_sort_small_config_static_selectorELNS0_4arch9wavefront6targetE1EEEvSK_: ; @_ZN7rocprim17ROCPRIM_400000_NS6detail17trampoline_kernelINS0_14default_configENS1_36segmented_radix_sort_config_selectorIilEEZNS1_25segmented_radix_sort_implIS3_Lb1EPKiPiPKlPlN2at6native12_GLOBAL__N_18offset_tEEE10hipError_tPvRmT1_PNSt15iterator_traitsISK_E10value_typeET2_T3_PNSL_ISQ_E10value_typeET4_jRbjT5_SW_jjP12ihipStream_tbEUlT_E1_NS1_11comp_targetILNS1_3genE10ELNS1_11target_archE1200ELNS1_3gpuE4ELNS1_3repE0EEENS1_59segmented_radix_sort_warp_sort_small_config_static_selectorELNS0_4arch9wavefront6targetE1EEEvSK_
; %bb.0:
	.section	.rodata,"a",@progbits
	.p2align	6, 0x0
	.amdhsa_kernel _ZN7rocprim17ROCPRIM_400000_NS6detail17trampoline_kernelINS0_14default_configENS1_36segmented_radix_sort_config_selectorIilEEZNS1_25segmented_radix_sort_implIS3_Lb1EPKiPiPKlPlN2at6native12_GLOBAL__N_18offset_tEEE10hipError_tPvRmT1_PNSt15iterator_traitsISK_E10value_typeET2_T3_PNSL_ISQ_E10value_typeET4_jRbjT5_SW_jjP12ihipStream_tbEUlT_E1_NS1_11comp_targetILNS1_3genE10ELNS1_11target_archE1200ELNS1_3gpuE4ELNS1_3repE0EEENS1_59segmented_radix_sort_warp_sort_small_config_static_selectorELNS0_4arch9wavefront6targetE1EEEvSK_
		.amdhsa_group_segment_fixed_size 0
		.amdhsa_private_segment_fixed_size 0
		.amdhsa_kernarg_size 88
		.amdhsa_user_sgpr_count 6
		.amdhsa_user_sgpr_private_segment_buffer 1
		.amdhsa_user_sgpr_dispatch_ptr 0
		.amdhsa_user_sgpr_queue_ptr 0
		.amdhsa_user_sgpr_kernarg_segment_ptr 1
		.amdhsa_user_sgpr_dispatch_id 0
		.amdhsa_user_sgpr_flat_scratch_init 0
		.amdhsa_user_sgpr_private_segment_size 0
		.amdhsa_uses_dynamic_stack 0
		.amdhsa_system_sgpr_private_segment_wavefront_offset 0
		.amdhsa_system_sgpr_workgroup_id_x 1
		.amdhsa_system_sgpr_workgroup_id_y 0
		.amdhsa_system_sgpr_workgroup_id_z 0
		.amdhsa_system_sgpr_workgroup_info 0
		.amdhsa_system_vgpr_workitem_id 0
		.amdhsa_next_free_vgpr 1
		.amdhsa_next_free_sgpr 0
		.amdhsa_reserve_vcc 0
		.amdhsa_reserve_flat_scratch 0
		.amdhsa_float_round_mode_32 0
		.amdhsa_float_round_mode_16_64 0
		.amdhsa_float_denorm_mode_32 3
		.amdhsa_float_denorm_mode_16_64 3
		.amdhsa_dx10_clamp 1
		.amdhsa_ieee_mode 1
		.amdhsa_fp16_overflow 0
		.amdhsa_exception_fp_ieee_invalid_op 0
		.amdhsa_exception_fp_denorm_src 0
		.amdhsa_exception_fp_ieee_div_zero 0
		.amdhsa_exception_fp_ieee_overflow 0
		.amdhsa_exception_fp_ieee_underflow 0
		.amdhsa_exception_fp_ieee_inexact 0
		.amdhsa_exception_int_div_zero 0
	.end_amdhsa_kernel
	.section	.text._ZN7rocprim17ROCPRIM_400000_NS6detail17trampoline_kernelINS0_14default_configENS1_36segmented_radix_sort_config_selectorIilEEZNS1_25segmented_radix_sort_implIS3_Lb1EPKiPiPKlPlN2at6native12_GLOBAL__N_18offset_tEEE10hipError_tPvRmT1_PNSt15iterator_traitsISK_E10value_typeET2_T3_PNSL_ISQ_E10value_typeET4_jRbjT5_SW_jjP12ihipStream_tbEUlT_E1_NS1_11comp_targetILNS1_3genE10ELNS1_11target_archE1200ELNS1_3gpuE4ELNS1_3repE0EEENS1_59segmented_radix_sort_warp_sort_small_config_static_selectorELNS0_4arch9wavefront6targetE1EEEvSK_,"axG",@progbits,_ZN7rocprim17ROCPRIM_400000_NS6detail17trampoline_kernelINS0_14default_configENS1_36segmented_radix_sort_config_selectorIilEEZNS1_25segmented_radix_sort_implIS3_Lb1EPKiPiPKlPlN2at6native12_GLOBAL__N_18offset_tEEE10hipError_tPvRmT1_PNSt15iterator_traitsISK_E10value_typeET2_T3_PNSL_ISQ_E10value_typeET4_jRbjT5_SW_jjP12ihipStream_tbEUlT_E1_NS1_11comp_targetILNS1_3genE10ELNS1_11target_archE1200ELNS1_3gpuE4ELNS1_3repE0EEENS1_59segmented_radix_sort_warp_sort_small_config_static_selectorELNS0_4arch9wavefront6targetE1EEEvSK_,comdat
.Lfunc_end524:
	.size	_ZN7rocprim17ROCPRIM_400000_NS6detail17trampoline_kernelINS0_14default_configENS1_36segmented_radix_sort_config_selectorIilEEZNS1_25segmented_radix_sort_implIS3_Lb1EPKiPiPKlPlN2at6native12_GLOBAL__N_18offset_tEEE10hipError_tPvRmT1_PNSt15iterator_traitsISK_E10value_typeET2_T3_PNSL_ISQ_E10value_typeET4_jRbjT5_SW_jjP12ihipStream_tbEUlT_E1_NS1_11comp_targetILNS1_3genE10ELNS1_11target_archE1200ELNS1_3gpuE4ELNS1_3repE0EEENS1_59segmented_radix_sort_warp_sort_small_config_static_selectorELNS0_4arch9wavefront6targetE1EEEvSK_, .Lfunc_end524-_ZN7rocprim17ROCPRIM_400000_NS6detail17trampoline_kernelINS0_14default_configENS1_36segmented_radix_sort_config_selectorIilEEZNS1_25segmented_radix_sort_implIS3_Lb1EPKiPiPKlPlN2at6native12_GLOBAL__N_18offset_tEEE10hipError_tPvRmT1_PNSt15iterator_traitsISK_E10value_typeET2_T3_PNSL_ISQ_E10value_typeET4_jRbjT5_SW_jjP12ihipStream_tbEUlT_E1_NS1_11comp_targetILNS1_3genE10ELNS1_11target_archE1200ELNS1_3gpuE4ELNS1_3repE0EEENS1_59segmented_radix_sort_warp_sort_small_config_static_selectorELNS0_4arch9wavefront6targetE1EEEvSK_
                                        ; -- End function
	.set _ZN7rocprim17ROCPRIM_400000_NS6detail17trampoline_kernelINS0_14default_configENS1_36segmented_radix_sort_config_selectorIilEEZNS1_25segmented_radix_sort_implIS3_Lb1EPKiPiPKlPlN2at6native12_GLOBAL__N_18offset_tEEE10hipError_tPvRmT1_PNSt15iterator_traitsISK_E10value_typeET2_T3_PNSL_ISQ_E10value_typeET4_jRbjT5_SW_jjP12ihipStream_tbEUlT_E1_NS1_11comp_targetILNS1_3genE10ELNS1_11target_archE1200ELNS1_3gpuE4ELNS1_3repE0EEENS1_59segmented_radix_sort_warp_sort_small_config_static_selectorELNS0_4arch9wavefront6targetE1EEEvSK_.num_vgpr, 0
	.set _ZN7rocprim17ROCPRIM_400000_NS6detail17trampoline_kernelINS0_14default_configENS1_36segmented_radix_sort_config_selectorIilEEZNS1_25segmented_radix_sort_implIS3_Lb1EPKiPiPKlPlN2at6native12_GLOBAL__N_18offset_tEEE10hipError_tPvRmT1_PNSt15iterator_traitsISK_E10value_typeET2_T3_PNSL_ISQ_E10value_typeET4_jRbjT5_SW_jjP12ihipStream_tbEUlT_E1_NS1_11comp_targetILNS1_3genE10ELNS1_11target_archE1200ELNS1_3gpuE4ELNS1_3repE0EEENS1_59segmented_radix_sort_warp_sort_small_config_static_selectorELNS0_4arch9wavefront6targetE1EEEvSK_.num_agpr, 0
	.set _ZN7rocprim17ROCPRIM_400000_NS6detail17trampoline_kernelINS0_14default_configENS1_36segmented_radix_sort_config_selectorIilEEZNS1_25segmented_radix_sort_implIS3_Lb1EPKiPiPKlPlN2at6native12_GLOBAL__N_18offset_tEEE10hipError_tPvRmT1_PNSt15iterator_traitsISK_E10value_typeET2_T3_PNSL_ISQ_E10value_typeET4_jRbjT5_SW_jjP12ihipStream_tbEUlT_E1_NS1_11comp_targetILNS1_3genE10ELNS1_11target_archE1200ELNS1_3gpuE4ELNS1_3repE0EEENS1_59segmented_radix_sort_warp_sort_small_config_static_selectorELNS0_4arch9wavefront6targetE1EEEvSK_.numbered_sgpr, 0
	.set _ZN7rocprim17ROCPRIM_400000_NS6detail17trampoline_kernelINS0_14default_configENS1_36segmented_radix_sort_config_selectorIilEEZNS1_25segmented_radix_sort_implIS3_Lb1EPKiPiPKlPlN2at6native12_GLOBAL__N_18offset_tEEE10hipError_tPvRmT1_PNSt15iterator_traitsISK_E10value_typeET2_T3_PNSL_ISQ_E10value_typeET4_jRbjT5_SW_jjP12ihipStream_tbEUlT_E1_NS1_11comp_targetILNS1_3genE10ELNS1_11target_archE1200ELNS1_3gpuE4ELNS1_3repE0EEENS1_59segmented_radix_sort_warp_sort_small_config_static_selectorELNS0_4arch9wavefront6targetE1EEEvSK_.num_named_barrier, 0
	.set _ZN7rocprim17ROCPRIM_400000_NS6detail17trampoline_kernelINS0_14default_configENS1_36segmented_radix_sort_config_selectorIilEEZNS1_25segmented_radix_sort_implIS3_Lb1EPKiPiPKlPlN2at6native12_GLOBAL__N_18offset_tEEE10hipError_tPvRmT1_PNSt15iterator_traitsISK_E10value_typeET2_T3_PNSL_ISQ_E10value_typeET4_jRbjT5_SW_jjP12ihipStream_tbEUlT_E1_NS1_11comp_targetILNS1_3genE10ELNS1_11target_archE1200ELNS1_3gpuE4ELNS1_3repE0EEENS1_59segmented_radix_sort_warp_sort_small_config_static_selectorELNS0_4arch9wavefront6targetE1EEEvSK_.private_seg_size, 0
	.set _ZN7rocprim17ROCPRIM_400000_NS6detail17trampoline_kernelINS0_14default_configENS1_36segmented_radix_sort_config_selectorIilEEZNS1_25segmented_radix_sort_implIS3_Lb1EPKiPiPKlPlN2at6native12_GLOBAL__N_18offset_tEEE10hipError_tPvRmT1_PNSt15iterator_traitsISK_E10value_typeET2_T3_PNSL_ISQ_E10value_typeET4_jRbjT5_SW_jjP12ihipStream_tbEUlT_E1_NS1_11comp_targetILNS1_3genE10ELNS1_11target_archE1200ELNS1_3gpuE4ELNS1_3repE0EEENS1_59segmented_radix_sort_warp_sort_small_config_static_selectorELNS0_4arch9wavefront6targetE1EEEvSK_.uses_vcc, 0
	.set _ZN7rocprim17ROCPRIM_400000_NS6detail17trampoline_kernelINS0_14default_configENS1_36segmented_radix_sort_config_selectorIilEEZNS1_25segmented_radix_sort_implIS3_Lb1EPKiPiPKlPlN2at6native12_GLOBAL__N_18offset_tEEE10hipError_tPvRmT1_PNSt15iterator_traitsISK_E10value_typeET2_T3_PNSL_ISQ_E10value_typeET4_jRbjT5_SW_jjP12ihipStream_tbEUlT_E1_NS1_11comp_targetILNS1_3genE10ELNS1_11target_archE1200ELNS1_3gpuE4ELNS1_3repE0EEENS1_59segmented_radix_sort_warp_sort_small_config_static_selectorELNS0_4arch9wavefront6targetE1EEEvSK_.uses_flat_scratch, 0
	.set _ZN7rocprim17ROCPRIM_400000_NS6detail17trampoline_kernelINS0_14default_configENS1_36segmented_radix_sort_config_selectorIilEEZNS1_25segmented_radix_sort_implIS3_Lb1EPKiPiPKlPlN2at6native12_GLOBAL__N_18offset_tEEE10hipError_tPvRmT1_PNSt15iterator_traitsISK_E10value_typeET2_T3_PNSL_ISQ_E10value_typeET4_jRbjT5_SW_jjP12ihipStream_tbEUlT_E1_NS1_11comp_targetILNS1_3genE10ELNS1_11target_archE1200ELNS1_3gpuE4ELNS1_3repE0EEENS1_59segmented_radix_sort_warp_sort_small_config_static_selectorELNS0_4arch9wavefront6targetE1EEEvSK_.has_dyn_sized_stack, 0
	.set _ZN7rocprim17ROCPRIM_400000_NS6detail17trampoline_kernelINS0_14default_configENS1_36segmented_radix_sort_config_selectorIilEEZNS1_25segmented_radix_sort_implIS3_Lb1EPKiPiPKlPlN2at6native12_GLOBAL__N_18offset_tEEE10hipError_tPvRmT1_PNSt15iterator_traitsISK_E10value_typeET2_T3_PNSL_ISQ_E10value_typeET4_jRbjT5_SW_jjP12ihipStream_tbEUlT_E1_NS1_11comp_targetILNS1_3genE10ELNS1_11target_archE1200ELNS1_3gpuE4ELNS1_3repE0EEENS1_59segmented_radix_sort_warp_sort_small_config_static_selectorELNS0_4arch9wavefront6targetE1EEEvSK_.has_recursion, 0
	.set _ZN7rocprim17ROCPRIM_400000_NS6detail17trampoline_kernelINS0_14default_configENS1_36segmented_radix_sort_config_selectorIilEEZNS1_25segmented_radix_sort_implIS3_Lb1EPKiPiPKlPlN2at6native12_GLOBAL__N_18offset_tEEE10hipError_tPvRmT1_PNSt15iterator_traitsISK_E10value_typeET2_T3_PNSL_ISQ_E10value_typeET4_jRbjT5_SW_jjP12ihipStream_tbEUlT_E1_NS1_11comp_targetILNS1_3genE10ELNS1_11target_archE1200ELNS1_3gpuE4ELNS1_3repE0EEENS1_59segmented_radix_sort_warp_sort_small_config_static_selectorELNS0_4arch9wavefront6targetE1EEEvSK_.has_indirect_call, 0
	.section	.AMDGPU.csdata,"",@progbits
; Kernel info:
; codeLenInByte = 0
; TotalNumSgprs: 4
; NumVgprs: 0
; ScratchSize: 0
; MemoryBound: 0
; FloatMode: 240
; IeeeMode: 1
; LDSByteSize: 0 bytes/workgroup (compile time only)
; SGPRBlocks: 0
; VGPRBlocks: 0
; NumSGPRsForWavesPerEU: 4
; NumVGPRsForWavesPerEU: 1
; Occupancy: 10
; WaveLimiterHint : 0
; COMPUTE_PGM_RSRC2:SCRATCH_EN: 0
; COMPUTE_PGM_RSRC2:USER_SGPR: 6
; COMPUTE_PGM_RSRC2:TRAP_HANDLER: 0
; COMPUTE_PGM_RSRC2:TGID_X_EN: 1
; COMPUTE_PGM_RSRC2:TGID_Y_EN: 0
; COMPUTE_PGM_RSRC2:TGID_Z_EN: 0
; COMPUTE_PGM_RSRC2:TIDIG_COMP_CNT: 0
	.section	.text._ZN7rocprim17ROCPRIM_400000_NS6detail17trampoline_kernelINS0_14default_configENS1_36segmented_radix_sort_config_selectorIilEEZNS1_25segmented_radix_sort_implIS3_Lb1EPKiPiPKlPlN2at6native12_GLOBAL__N_18offset_tEEE10hipError_tPvRmT1_PNSt15iterator_traitsISK_E10value_typeET2_T3_PNSL_ISQ_E10value_typeET4_jRbjT5_SW_jjP12ihipStream_tbEUlT_E1_NS1_11comp_targetILNS1_3genE9ELNS1_11target_archE1100ELNS1_3gpuE3ELNS1_3repE0EEENS1_59segmented_radix_sort_warp_sort_small_config_static_selectorELNS0_4arch9wavefront6targetE1EEEvSK_,"axG",@progbits,_ZN7rocprim17ROCPRIM_400000_NS6detail17trampoline_kernelINS0_14default_configENS1_36segmented_radix_sort_config_selectorIilEEZNS1_25segmented_radix_sort_implIS3_Lb1EPKiPiPKlPlN2at6native12_GLOBAL__N_18offset_tEEE10hipError_tPvRmT1_PNSt15iterator_traitsISK_E10value_typeET2_T3_PNSL_ISQ_E10value_typeET4_jRbjT5_SW_jjP12ihipStream_tbEUlT_E1_NS1_11comp_targetILNS1_3genE9ELNS1_11target_archE1100ELNS1_3gpuE3ELNS1_3repE0EEENS1_59segmented_radix_sort_warp_sort_small_config_static_selectorELNS0_4arch9wavefront6targetE1EEEvSK_,comdat
	.globl	_ZN7rocprim17ROCPRIM_400000_NS6detail17trampoline_kernelINS0_14default_configENS1_36segmented_radix_sort_config_selectorIilEEZNS1_25segmented_radix_sort_implIS3_Lb1EPKiPiPKlPlN2at6native12_GLOBAL__N_18offset_tEEE10hipError_tPvRmT1_PNSt15iterator_traitsISK_E10value_typeET2_T3_PNSL_ISQ_E10value_typeET4_jRbjT5_SW_jjP12ihipStream_tbEUlT_E1_NS1_11comp_targetILNS1_3genE9ELNS1_11target_archE1100ELNS1_3gpuE3ELNS1_3repE0EEENS1_59segmented_radix_sort_warp_sort_small_config_static_selectorELNS0_4arch9wavefront6targetE1EEEvSK_ ; -- Begin function _ZN7rocprim17ROCPRIM_400000_NS6detail17trampoline_kernelINS0_14default_configENS1_36segmented_radix_sort_config_selectorIilEEZNS1_25segmented_radix_sort_implIS3_Lb1EPKiPiPKlPlN2at6native12_GLOBAL__N_18offset_tEEE10hipError_tPvRmT1_PNSt15iterator_traitsISK_E10value_typeET2_T3_PNSL_ISQ_E10value_typeET4_jRbjT5_SW_jjP12ihipStream_tbEUlT_E1_NS1_11comp_targetILNS1_3genE9ELNS1_11target_archE1100ELNS1_3gpuE3ELNS1_3repE0EEENS1_59segmented_radix_sort_warp_sort_small_config_static_selectorELNS0_4arch9wavefront6targetE1EEEvSK_
	.p2align	8
	.type	_ZN7rocprim17ROCPRIM_400000_NS6detail17trampoline_kernelINS0_14default_configENS1_36segmented_radix_sort_config_selectorIilEEZNS1_25segmented_radix_sort_implIS3_Lb1EPKiPiPKlPlN2at6native12_GLOBAL__N_18offset_tEEE10hipError_tPvRmT1_PNSt15iterator_traitsISK_E10value_typeET2_T3_PNSL_ISQ_E10value_typeET4_jRbjT5_SW_jjP12ihipStream_tbEUlT_E1_NS1_11comp_targetILNS1_3genE9ELNS1_11target_archE1100ELNS1_3gpuE3ELNS1_3repE0EEENS1_59segmented_radix_sort_warp_sort_small_config_static_selectorELNS0_4arch9wavefront6targetE1EEEvSK_,@function
_ZN7rocprim17ROCPRIM_400000_NS6detail17trampoline_kernelINS0_14default_configENS1_36segmented_radix_sort_config_selectorIilEEZNS1_25segmented_radix_sort_implIS3_Lb1EPKiPiPKlPlN2at6native12_GLOBAL__N_18offset_tEEE10hipError_tPvRmT1_PNSt15iterator_traitsISK_E10value_typeET2_T3_PNSL_ISQ_E10value_typeET4_jRbjT5_SW_jjP12ihipStream_tbEUlT_E1_NS1_11comp_targetILNS1_3genE9ELNS1_11target_archE1100ELNS1_3gpuE3ELNS1_3repE0EEENS1_59segmented_radix_sort_warp_sort_small_config_static_selectorELNS0_4arch9wavefront6targetE1EEEvSK_: ; @_ZN7rocprim17ROCPRIM_400000_NS6detail17trampoline_kernelINS0_14default_configENS1_36segmented_radix_sort_config_selectorIilEEZNS1_25segmented_radix_sort_implIS3_Lb1EPKiPiPKlPlN2at6native12_GLOBAL__N_18offset_tEEE10hipError_tPvRmT1_PNSt15iterator_traitsISK_E10value_typeET2_T3_PNSL_ISQ_E10value_typeET4_jRbjT5_SW_jjP12ihipStream_tbEUlT_E1_NS1_11comp_targetILNS1_3genE9ELNS1_11target_archE1100ELNS1_3gpuE3ELNS1_3repE0EEENS1_59segmented_radix_sort_warp_sort_small_config_static_selectorELNS0_4arch9wavefront6targetE1EEEvSK_
; %bb.0:
	.section	.rodata,"a",@progbits
	.p2align	6, 0x0
	.amdhsa_kernel _ZN7rocprim17ROCPRIM_400000_NS6detail17trampoline_kernelINS0_14default_configENS1_36segmented_radix_sort_config_selectorIilEEZNS1_25segmented_radix_sort_implIS3_Lb1EPKiPiPKlPlN2at6native12_GLOBAL__N_18offset_tEEE10hipError_tPvRmT1_PNSt15iterator_traitsISK_E10value_typeET2_T3_PNSL_ISQ_E10value_typeET4_jRbjT5_SW_jjP12ihipStream_tbEUlT_E1_NS1_11comp_targetILNS1_3genE9ELNS1_11target_archE1100ELNS1_3gpuE3ELNS1_3repE0EEENS1_59segmented_radix_sort_warp_sort_small_config_static_selectorELNS0_4arch9wavefront6targetE1EEEvSK_
		.amdhsa_group_segment_fixed_size 0
		.amdhsa_private_segment_fixed_size 0
		.amdhsa_kernarg_size 88
		.amdhsa_user_sgpr_count 6
		.amdhsa_user_sgpr_private_segment_buffer 1
		.amdhsa_user_sgpr_dispatch_ptr 0
		.amdhsa_user_sgpr_queue_ptr 0
		.amdhsa_user_sgpr_kernarg_segment_ptr 1
		.amdhsa_user_sgpr_dispatch_id 0
		.amdhsa_user_sgpr_flat_scratch_init 0
		.amdhsa_user_sgpr_private_segment_size 0
		.amdhsa_uses_dynamic_stack 0
		.amdhsa_system_sgpr_private_segment_wavefront_offset 0
		.amdhsa_system_sgpr_workgroup_id_x 1
		.amdhsa_system_sgpr_workgroup_id_y 0
		.amdhsa_system_sgpr_workgroup_id_z 0
		.amdhsa_system_sgpr_workgroup_info 0
		.amdhsa_system_vgpr_workitem_id 0
		.amdhsa_next_free_vgpr 1
		.amdhsa_next_free_sgpr 0
		.amdhsa_reserve_vcc 0
		.amdhsa_reserve_flat_scratch 0
		.amdhsa_float_round_mode_32 0
		.amdhsa_float_round_mode_16_64 0
		.amdhsa_float_denorm_mode_32 3
		.amdhsa_float_denorm_mode_16_64 3
		.amdhsa_dx10_clamp 1
		.amdhsa_ieee_mode 1
		.amdhsa_fp16_overflow 0
		.amdhsa_exception_fp_ieee_invalid_op 0
		.amdhsa_exception_fp_denorm_src 0
		.amdhsa_exception_fp_ieee_div_zero 0
		.amdhsa_exception_fp_ieee_overflow 0
		.amdhsa_exception_fp_ieee_underflow 0
		.amdhsa_exception_fp_ieee_inexact 0
		.amdhsa_exception_int_div_zero 0
	.end_amdhsa_kernel
	.section	.text._ZN7rocprim17ROCPRIM_400000_NS6detail17trampoline_kernelINS0_14default_configENS1_36segmented_radix_sort_config_selectorIilEEZNS1_25segmented_radix_sort_implIS3_Lb1EPKiPiPKlPlN2at6native12_GLOBAL__N_18offset_tEEE10hipError_tPvRmT1_PNSt15iterator_traitsISK_E10value_typeET2_T3_PNSL_ISQ_E10value_typeET4_jRbjT5_SW_jjP12ihipStream_tbEUlT_E1_NS1_11comp_targetILNS1_3genE9ELNS1_11target_archE1100ELNS1_3gpuE3ELNS1_3repE0EEENS1_59segmented_radix_sort_warp_sort_small_config_static_selectorELNS0_4arch9wavefront6targetE1EEEvSK_,"axG",@progbits,_ZN7rocprim17ROCPRIM_400000_NS6detail17trampoline_kernelINS0_14default_configENS1_36segmented_radix_sort_config_selectorIilEEZNS1_25segmented_radix_sort_implIS3_Lb1EPKiPiPKlPlN2at6native12_GLOBAL__N_18offset_tEEE10hipError_tPvRmT1_PNSt15iterator_traitsISK_E10value_typeET2_T3_PNSL_ISQ_E10value_typeET4_jRbjT5_SW_jjP12ihipStream_tbEUlT_E1_NS1_11comp_targetILNS1_3genE9ELNS1_11target_archE1100ELNS1_3gpuE3ELNS1_3repE0EEENS1_59segmented_radix_sort_warp_sort_small_config_static_selectorELNS0_4arch9wavefront6targetE1EEEvSK_,comdat
.Lfunc_end525:
	.size	_ZN7rocprim17ROCPRIM_400000_NS6detail17trampoline_kernelINS0_14default_configENS1_36segmented_radix_sort_config_selectorIilEEZNS1_25segmented_radix_sort_implIS3_Lb1EPKiPiPKlPlN2at6native12_GLOBAL__N_18offset_tEEE10hipError_tPvRmT1_PNSt15iterator_traitsISK_E10value_typeET2_T3_PNSL_ISQ_E10value_typeET4_jRbjT5_SW_jjP12ihipStream_tbEUlT_E1_NS1_11comp_targetILNS1_3genE9ELNS1_11target_archE1100ELNS1_3gpuE3ELNS1_3repE0EEENS1_59segmented_radix_sort_warp_sort_small_config_static_selectorELNS0_4arch9wavefront6targetE1EEEvSK_, .Lfunc_end525-_ZN7rocprim17ROCPRIM_400000_NS6detail17trampoline_kernelINS0_14default_configENS1_36segmented_radix_sort_config_selectorIilEEZNS1_25segmented_radix_sort_implIS3_Lb1EPKiPiPKlPlN2at6native12_GLOBAL__N_18offset_tEEE10hipError_tPvRmT1_PNSt15iterator_traitsISK_E10value_typeET2_T3_PNSL_ISQ_E10value_typeET4_jRbjT5_SW_jjP12ihipStream_tbEUlT_E1_NS1_11comp_targetILNS1_3genE9ELNS1_11target_archE1100ELNS1_3gpuE3ELNS1_3repE0EEENS1_59segmented_radix_sort_warp_sort_small_config_static_selectorELNS0_4arch9wavefront6targetE1EEEvSK_
                                        ; -- End function
	.set _ZN7rocprim17ROCPRIM_400000_NS6detail17trampoline_kernelINS0_14default_configENS1_36segmented_radix_sort_config_selectorIilEEZNS1_25segmented_radix_sort_implIS3_Lb1EPKiPiPKlPlN2at6native12_GLOBAL__N_18offset_tEEE10hipError_tPvRmT1_PNSt15iterator_traitsISK_E10value_typeET2_T3_PNSL_ISQ_E10value_typeET4_jRbjT5_SW_jjP12ihipStream_tbEUlT_E1_NS1_11comp_targetILNS1_3genE9ELNS1_11target_archE1100ELNS1_3gpuE3ELNS1_3repE0EEENS1_59segmented_radix_sort_warp_sort_small_config_static_selectorELNS0_4arch9wavefront6targetE1EEEvSK_.num_vgpr, 0
	.set _ZN7rocprim17ROCPRIM_400000_NS6detail17trampoline_kernelINS0_14default_configENS1_36segmented_radix_sort_config_selectorIilEEZNS1_25segmented_radix_sort_implIS3_Lb1EPKiPiPKlPlN2at6native12_GLOBAL__N_18offset_tEEE10hipError_tPvRmT1_PNSt15iterator_traitsISK_E10value_typeET2_T3_PNSL_ISQ_E10value_typeET4_jRbjT5_SW_jjP12ihipStream_tbEUlT_E1_NS1_11comp_targetILNS1_3genE9ELNS1_11target_archE1100ELNS1_3gpuE3ELNS1_3repE0EEENS1_59segmented_radix_sort_warp_sort_small_config_static_selectorELNS0_4arch9wavefront6targetE1EEEvSK_.num_agpr, 0
	.set _ZN7rocprim17ROCPRIM_400000_NS6detail17trampoline_kernelINS0_14default_configENS1_36segmented_radix_sort_config_selectorIilEEZNS1_25segmented_radix_sort_implIS3_Lb1EPKiPiPKlPlN2at6native12_GLOBAL__N_18offset_tEEE10hipError_tPvRmT1_PNSt15iterator_traitsISK_E10value_typeET2_T3_PNSL_ISQ_E10value_typeET4_jRbjT5_SW_jjP12ihipStream_tbEUlT_E1_NS1_11comp_targetILNS1_3genE9ELNS1_11target_archE1100ELNS1_3gpuE3ELNS1_3repE0EEENS1_59segmented_radix_sort_warp_sort_small_config_static_selectorELNS0_4arch9wavefront6targetE1EEEvSK_.numbered_sgpr, 0
	.set _ZN7rocprim17ROCPRIM_400000_NS6detail17trampoline_kernelINS0_14default_configENS1_36segmented_radix_sort_config_selectorIilEEZNS1_25segmented_radix_sort_implIS3_Lb1EPKiPiPKlPlN2at6native12_GLOBAL__N_18offset_tEEE10hipError_tPvRmT1_PNSt15iterator_traitsISK_E10value_typeET2_T3_PNSL_ISQ_E10value_typeET4_jRbjT5_SW_jjP12ihipStream_tbEUlT_E1_NS1_11comp_targetILNS1_3genE9ELNS1_11target_archE1100ELNS1_3gpuE3ELNS1_3repE0EEENS1_59segmented_radix_sort_warp_sort_small_config_static_selectorELNS0_4arch9wavefront6targetE1EEEvSK_.num_named_barrier, 0
	.set _ZN7rocprim17ROCPRIM_400000_NS6detail17trampoline_kernelINS0_14default_configENS1_36segmented_radix_sort_config_selectorIilEEZNS1_25segmented_radix_sort_implIS3_Lb1EPKiPiPKlPlN2at6native12_GLOBAL__N_18offset_tEEE10hipError_tPvRmT1_PNSt15iterator_traitsISK_E10value_typeET2_T3_PNSL_ISQ_E10value_typeET4_jRbjT5_SW_jjP12ihipStream_tbEUlT_E1_NS1_11comp_targetILNS1_3genE9ELNS1_11target_archE1100ELNS1_3gpuE3ELNS1_3repE0EEENS1_59segmented_radix_sort_warp_sort_small_config_static_selectorELNS0_4arch9wavefront6targetE1EEEvSK_.private_seg_size, 0
	.set _ZN7rocprim17ROCPRIM_400000_NS6detail17trampoline_kernelINS0_14default_configENS1_36segmented_radix_sort_config_selectorIilEEZNS1_25segmented_radix_sort_implIS3_Lb1EPKiPiPKlPlN2at6native12_GLOBAL__N_18offset_tEEE10hipError_tPvRmT1_PNSt15iterator_traitsISK_E10value_typeET2_T3_PNSL_ISQ_E10value_typeET4_jRbjT5_SW_jjP12ihipStream_tbEUlT_E1_NS1_11comp_targetILNS1_3genE9ELNS1_11target_archE1100ELNS1_3gpuE3ELNS1_3repE0EEENS1_59segmented_radix_sort_warp_sort_small_config_static_selectorELNS0_4arch9wavefront6targetE1EEEvSK_.uses_vcc, 0
	.set _ZN7rocprim17ROCPRIM_400000_NS6detail17trampoline_kernelINS0_14default_configENS1_36segmented_radix_sort_config_selectorIilEEZNS1_25segmented_radix_sort_implIS3_Lb1EPKiPiPKlPlN2at6native12_GLOBAL__N_18offset_tEEE10hipError_tPvRmT1_PNSt15iterator_traitsISK_E10value_typeET2_T3_PNSL_ISQ_E10value_typeET4_jRbjT5_SW_jjP12ihipStream_tbEUlT_E1_NS1_11comp_targetILNS1_3genE9ELNS1_11target_archE1100ELNS1_3gpuE3ELNS1_3repE0EEENS1_59segmented_radix_sort_warp_sort_small_config_static_selectorELNS0_4arch9wavefront6targetE1EEEvSK_.uses_flat_scratch, 0
	.set _ZN7rocprim17ROCPRIM_400000_NS6detail17trampoline_kernelINS0_14default_configENS1_36segmented_radix_sort_config_selectorIilEEZNS1_25segmented_radix_sort_implIS3_Lb1EPKiPiPKlPlN2at6native12_GLOBAL__N_18offset_tEEE10hipError_tPvRmT1_PNSt15iterator_traitsISK_E10value_typeET2_T3_PNSL_ISQ_E10value_typeET4_jRbjT5_SW_jjP12ihipStream_tbEUlT_E1_NS1_11comp_targetILNS1_3genE9ELNS1_11target_archE1100ELNS1_3gpuE3ELNS1_3repE0EEENS1_59segmented_radix_sort_warp_sort_small_config_static_selectorELNS0_4arch9wavefront6targetE1EEEvSK_.has_dyn_sized_stack, 0
	.set _ZN7rocprim17ROCPRIM_400000_NS6detail17trampoline_kernelINS0_14default_configENS1_36segmented_radix_sort_config_selectorIilEEZNS1_25segmented_radix_sort_implIS3_Lb1EPKiPiPKlPlN2at6native12_GLOBAL__N_18offset_tEEE10hipError_tPvRmT1_PNSt15iterator_traitsISK_E10value_typeET2_T3_PNSL_ISQ_E10value_typeET4_jRbjT5_SW_jjP12ihipStream_tbEUlT_E1_NS1_11comp_targetILNS1_3genE9ELNS1_11target_archE1100ELNS1_3gpuE3ELNS1_3repE0EEENS1_59segmented_radix_sort_warp_sort_small_config_static_selectorELNS0_4arch9wavefront6targetE1EEEvSK_.has_recursion, 0
	.set _ZN7rocprim17ROCPRIM_400000_NS6detail17trampoline_kernelINS0_14default_configENS1_36segmented_radix_sort_config_selectorIilEEZNS1_25segmented_radix_sort_implIS3_Lb1EPKiPiPKlPlN2at6native12_GLOBAL__N_18offset_tEEE10hipError_tPvRmT1_PNSt15iterator_traitsISK_E10value_typeET2_T3_PNSL_ISQ_E10value_typeET4_jRbjT5_SW_jjP12ihipStream_tbEUlT_E1_NS1_11comp_targetILNS1_3genE9ELNS1_11target_archE1100ELNS1_3gpuE3ELNS1_3repE0EEENS1_59segmented_radix_sort_warp_sort_small_config_static_selectorELNS0_4arch9wavefront6targetE1EEEvSK_.has_indirect_call, 0
	.section	.AMDGPU.csdata,"",@progbits
; Kernel info:
; codeLenInByte = 0
; TotalNumSgprs: 4
; NumVgprs: 0
; ScratchSize: 0
; MemoryBound: 0
; FloatMode: 240
; IeeeMode: 1
; LDSByteSize: 0 bytes/workgroup (compile time only)
; SGPRBlocks: 0
; VGPRBlocks: 0
; NumSGPRsForWavesPerEU: 4
; NumVGPRsForWavesPerEU: 1
; Occupancy: 10
; WaveLimiterHint : 0
; COMPUTE_PGM_RSRC2:SCRATCH_EN: 0
; COMPUTE_PGM_RSRC2:USER_SGPR: 6
; COMPUTE_PGM_RSRC2:TRAP_HANDLER: 0
; COMPUTE_PGM_RSRC2:TGID_X_EN: 1
; COMPUTE_PGM_RSRC2:TGID_Y_EN: 0
; COMPUTE_PGM_RSRC2:TGID_Z_EN: 0
; COMPUTE_PGM_RSRC2:TIDIG_COMP_CNT: 0
	.section	.text._ZN7rocprim17ROCPRIM_400000_NS6detail17trampoline_kernelINS0_14default_configENS1_36segmented_radix_sort_config_selectorIilEEZNS1_25segmented_radix_sort_implIS3_Lb1EPKiPiPKlPlN2at6native12_GLOBAL__N_18offset_tEEE10hipError_tPvRmT1_PNSt15iterator_traitsISK_E10value_typeET2_T3_PNSL_ISQ_E10value_typeET4_jRbjT5_SW_jjP12ihipStream_tbEUlT_E1_NS1_11comp_targetILNS1_3genE8ELNS1_11target_archE1030ELNS1_3gpuE2ELNS1_3repE0EEENS1_59segmented_radix_sort_warp_sort_small_config_static_selectorELNS0_4arch9wavefront6targetE1EEEvSK_,"axG",@progbits,_ZN7rocprim17ROCPRIM_400000_NS6detail17trampoline_kernelINS0_14default_configENS1_36segmented_radix_sort_config_selectorIilEEZNS1_25segmented_radix_sort_implIS3_Lb1EPKiPiPKlPlN2at6native12_GLOBAL__N_18offset_tEEE10hipError_tPvRmT1_PNSt15iterator_traitsISK_E10value_typeET2_T3_PNSL_ISQ_E10value_typeET4_jRbjT5_SW_jjP12ihipStream_tbEUlT_E1_NS1_11comp_targetILNS1_3genE8ELNS1_11target_archE1030ELNS1_3gpuE2ELNS1_3repE0EEENS1_59segmented_radix_sort_warp_sort_small_config_static_selectorELNS0_4arch9wavefront6targetE1EEEvSK_,comdat
	.globl	_ZN7rocprim17ROCPRIM_400000_NS6detail17trampoline_kernelINS0_14default_configENS1_36segmented_radix_sort_config_selectorIilEEZNS1_25segmented_radix_sort_implIS3_Lb1EPKiPiPKlPlN2at6native12_GLOBAL__N_18offset_tEEE10hipError_tPvRmT1_PNSt15iterator_traitsISK_E10value_typeET2_T3_PNSL_ISQ_E10value_typeET4_jRbjT5_SW_jjP12ihipStream_tbEUlT_E1_NS1_11comp_targetILNS1_3genE8ELNS1_11target_archE1030ELNS1_3gpuE2ELNS1_3repE0EEENS1_59segmented_radix_sort_warp_sort_small_config_static_selectorELNS0_4arch9wavefront6targetE1EEEvSK_ ; -- Begin function _ZN7rocprim17ROCPRIM_400000_NS6detail17trampoline_kernelINS0_14default_configENS1_36segmented_radix_sort_config_selectorIilEEZNS1_25segmented_radix_sort_implIS3_Lb1EPKiPiPKlPlN2at6native12_GLOBAL__N_18offset_tEEE10hipError_tPvRmT1_PNSt15iterator_traitsISK_E10value_typeET2_T3_PNSL_ISQ_E10value_typeET4_jRbjT5_SW_jjP12ihipStream_tbEUlT_E1_NS1_11comp_targetILNS1_3genE8ELNS1_11target_archE1030ELNS1_3gpuE2ELNS1_3repE0EEENS1_59segmented_radix_sort_warp_sort_small_config_static_selectorELNS0_4arch9wavefront6targetE1EEEvSK_
	.p2align	8
	.type	_ZN7rocprim17ROCPRIM_400000_NS6detail17trampoline_kernelINS0_14default_configENS1_36segmented_radix_sort_config_selectorIilEEZNS1_25segmented_radix_sort_implIS3_Lb1EPKiPiPKlPlN2at6native12_GLOBAL__N_18offset_tEEE10hipError_tPvRmT1_PNSt15iterator_traitsISK_E10value_typeET2_T3_PNSL_ISQ_E10value_typeET4_jRbjT5_SW_jjP12ihipStream_tbEUlT_E1_NS1_11comp_targetILNS1_3genE8ELNS1_11target_archE1030ELNS1_3gpuE2ELNS1_3repE0EEENS1_59segmented_radix_sort_warp_sort_small_config_static_selectorELNS0_4arch9wavefront6targetE1EEEvSK_,@function
_ZN7rocprim17ROCPRIM_400000_NS6detail17trampoline_kernelINS0_14default_configENS1_36segmented_radix_sort_config_selectorIilEEZNS1_25segmented_radix_sort_implIS3_Lb1EPKiPiPKlPlN2at6native12_GLOBAL__N_18offset_tEEE10hipError_tPvRmT1_PNSt15iterator_traitsISK_E10value_typeET2_T3_PNSL_ISQ_E10value_typeET4_jRbjT5_SW_jjP12ihipStream_tbEUlT_E1_NS1_11comp_targetILNS1_3genE8ELNS1_11target_archE1030ELNS1_3gpuE2ELNS1_3repE0EEENS1_59segmented_radix_sort_warp_sort_small_config_static_selectorELNS0_4arch9wavefront6targetE1EEEvSK_: ; @_ZN7rocprim17ROCPRIM_400000_NS6detail17trampoline_kernelINS0_14default_configENS1_36segmented_radix_sort_config_selectorIilEEZNS1_25segmented_radix_sort_implIS3_Lb1EPKiPiPKlPlN2at6native12_GLOBAL__N_18offset_tEEE10hipError_tPvRmT1_PNSt15iterator_traitsISK_E10value_typeET2_T3_PNSL_ISQ_E10value_typeET4_jRbjT5_SW_jjP12ihipStream_tbEUlT_E1_NS1_11comp_targetILNS1_3genE8ELNS1_11target_archE1030ELNS1_3gpuE2ELNS1_3repE0EEENS1_59segmented_radix_sort_warp_sort_small_config_static_selectorELNS0_4arch9wavefront6targetE1EEEvSK_
; %bb.0:
	.section	.rodata,"a",@progbits
	.p2align	6, 0x0
	.amdhsa_kernel _ZN7rocprim17ROCPRIM_400000_NS6detail17trampoline_kernelINS0_14default_configENS1_36segmented_radix_sort_config_selectorIilEEZNS1_25segmented_radix_sort_implIS3_Lb1EPKiPiPKlPlN2at6native12_GLOBAL__N_18offset_tEEE10hipError_tPvRmT1_PNSt15iterator_traitsISK_E10value_typeET2_T3_PNSL_ISQ_E10value_typeET4_jRbjT5_SW_jjP12ihipStream_tbEUlT_E1_NS1_11comp_targetILNS1_3genE8ELNS1_11target_archE1030ELNS1_3gpuE2ELNS1_3repE0EEENS1_59segmented_radix_sort_warp_sort_small_config_static_selectorELNS0_4arch9wavefront6targetE1EEEvSK_
		.amdhsa_group_segment_fixed_size 0
		.amdhsa_private_segment_fixed_size 0
		.amdhsa_kernarg_size 88
		.amdhsa_user_sgpr_count 6
		.amdhsa_user_sgpr_private_segment_buffer 1
		.amdhsa_user_sgpr_dispatch_ptr 0
		.amdhsa_user_sgpr_queue_ptr 0
		.amdhsa_user_sgpr_kernarg_segment_ptr 1
		.amdhsa_user_sgpr_dispatch_id 0
		.amdhsa_user_sgpr_flat_scratch_init 0
		.amdhsa_user_sgpr_private_segment_size 0
		.amdhsa_uses_dynamic_stack 0
		.amdhsa_system_sgpr_private_segment_wavefront_offset 0
		.amdhsa_system_sgpr_workgroup_id_x 1
		.amdhsa_system_sgpr_workgroup_id_y 0
		.amdhsa_system_sgpr_workgroup_id_z 0
		.amdhsa_system_sgpr_workgroup_info 0
		.amdhsa_system_vgpr_workitem_id 0
		.amdhsa_next_free_vgpr 1
		.amdhsa_next_free_sgpr 0
		.amdhsa_reserve_vcc 0
		.amdhsa_reserve_flat_scratch 0
		.amdhsa_float_round_mode_32 0
		.amdhsa_float_round_mode_16_64 0
		.amdhsa_float_denorm_mode_32 3
		.amdhsa_float_denorm_mode_16_64 3
		.amdhsa_dx10_clamp 1
		.amdhsa_ieee_mode 1
		.amdhsa_fp16_overflow 0
		.amdhsa_exception_fp_ieee_invalid_op 0
		.amdhsa_exception_fp_denorm_src 0
		.amdhsa_exception_fp_ieee_div_zero 0
		.amdhsa_exception_fp_ieee_overflow 0
		.amdhsa_exception_fp_ieee_underflow 0
		.amdhsa_exception_fp_ieee_inexact 0
		.amdhsa_exception_int_div_zero 0
	.end_amdhsa_kernel
	.section	.text._ZN7rocprim17ROCPRIM_400000_NS6detail17trampoline_kernelINS0_14default_configENS1_36segmented_radix_sort_config_selectorIilEEZNS1_25segmented_radix_sort_implIS3_Lb1EPKiPiPKlPlN2at6native12_GLOBAL__N_18offset_tEEE10hipError_tPvRmT1_PNSt15iterator_traitsISK_E10value_typeET2_T3_PNSL_ISQ_E10value_typeET4_jRbjT5_SW_jjP12ihipStream_tbEUlT_E1_NS1_11comp_targetILNS1_3genE8ELNS1_11target_archE1030ELNS1_3gpuE2ELNS1_3repE0EEENS1_59segmented_radix_sort_warp_sort_small_config_static_selectorELNS0_4arch9wavefront6targetE1EEEvSK_,"axG",@progbits,_ZN7rocprim17ROCPRIM_400000_NS6detail17trampoline_kernelINS0_14default_configENS1_36segmented_radix_sort_config_selectorIilEEZNS1_25segmented_radix_sort_implIS3_Lb1EPKiPiPKlPlN2at6native12_GLOBAL__N_18offset_tEEE10hipError_tPvRmT1_PNSt15iterator_traitsISK_E10value_typeET2_T3_PNSL_ISQ_E10value_typeET4_jRbjT5_SW_jjP12ihipStream_tbEUlT_E1_NS1_11comp_targetILNS1_3genE8ELNS1_11target_archE1030ELNS1_3gpuE2ELNS1_3repE0EEENS1_59segmented_radix_sort_warp_sort_small_config_static_selectorELNS0_4arch9wavefront6targetE1EEEvSK_,comdat
.Lfunc_end526:
	.size	_ZN7rocprim17ROCPRIM_400000_NS6detail17trampoline_kernelINS0_14default_configENS1_36segmented_radix_sort_config_selectorIilEEZNS1_25segmented_radix_sort_implIS3_Lb1EPKiPiPKlPlN2at6native12_GLOBAL__N_18offset_tEEE10hipError_tPvRmT1_PNSt15iterator_traitsISK_E10value_typeET2_T3_PNSL_ISQ_E10value_typeET4_jRbjT5_SW_jjP12ihipStream_tbEUlT_E1_NS1_11comp_targetILNS1_3genE8ELNS1_11target_archE1030ELNS1_3gpuE2ELNS1_3repE0EEENS1_59segmented_radix_sort_warp_sort_small_config_static_selectorELNS0_4arch9wavefront6targetE1EEEvSK_, .Lfunc_end526-_ZN7rocprim17ROCPRIM_400000_NS6detail17trampoline_kernelINS0_14default_configENS1_36segmented_radix_sort_config_selectorIilEEZNS1_25segmented_radix_sort_implIS3_Lb1EPKiPiPKlPlN2at6native12_GLOBAL__N_18offset_tEEE10hipError_tPvRmT1_PNSt15iterator_traitsISK_E10value_typeET2_T3_PNSL_ISQ_E10value_typeET4_jRbjT5_SW_jjP12ihipStream_tbEUlT_E1_NS1_11comp_targetILNS1_3genE8ELNS1_11target_archE1030ELNS1_3gpuE2ELNS1_3repE0EEENS1_59segmented_radix_sort_warp_sort_small_config_static_selectorELNS0_4arch9wavefront6targetE1EEEvSK_
                                        ; -- End function
	.set _ZN7rocprim17ROCPRIM_400000_NS6detail17trampoline_kernelINS0_14default_configENS1_36segmented_radix_sort_config_selectorIilEEZNS1_25segmented_radix_sort_implIS3_Lb1EPKiPiPKlPlN2at6native12_GLOBAL__N_18offset_tEEE10hipError_tPvRmT1_PNSt15iterator_traitsISK_E10value_typeET2_T3_PNSL_ISQ_E10value_typeET4_jRbjT5_SW_jjP12ihipStream_tbEUlT_E1_NS1_11comp_targetILNS1_3genE8ELNS1_11target_archE1030ELNS1_3gpuE2ELNS1_3repE0EEENS1_59segmented_radix_sort_warp_sort_small_config_static_selectorELNS0_4arch9wavefront6targetE1EEEvSK_.num_vgpr, 0
	.set _ZN7rocprim17ROCPRIM_400000_NS6detail17trampoline_kernelINS0_14default_configENS1_36segmented_radix_sort_config_selectorIilEEZNS1_25segmented_radix_sort_implIS3_Lb1EPKiPiPKlPlN2at6native12_GLOBAL__N_18offset_tEEE10hipError_tPvRmT1_PNSt15iterator_traitsISK_E10value_typeET2_T3_PNSL_ISQ_E10value_typeET4_jRbjT5_SW_jjP12ihipStream_tbEUlT_E1_NS1_11comp_targetILNS1_3genE8ELNS1_11target_archE1030ELNS1_3gpuE2ELNS1_3repE0EEENS1_59segmented_radix_sort_warp_sort_small_config_static_selectorELNS0_4arch9wavefront6targetE1EEEvSK_.num_agpr, 0
	.set _ZN7rocprim17ROCPRIM_400000_NS6detail17trampoline_kernelINS0_14default_configENS1_36segmented_radix_sort_config_selectorIilEEZNS1_25segmented_radix_sort_implIS3_Lb1EPKiPiPKlPlN2at6native12_GLOBAL__N_18offset_tEEE10hipError_tPvRmT1_PNSt15iterator_traitsISK_E10value_typeET2_T3_PNSL_ISQ_E10value_typeET4_jRbjT5_SW_jjP12ihipStream_tbEUlT_E1_NS1_11comp_targetILNS1_3genE8ELNS1_11target_archE1030ELNS1_3gpuE2ELNS1_3repE0EEENS1_59segmented_radix_sort_warp_sort_small_config_static_selectorELNS0_4arch9wavefront6targetE1EEEvSK_.numbered_sgpr, 0
	.set _ZN7rocprim17ROCPRIM_400000_NS6detail17trampoline_kernelINS0_14default_configENS1_36segmented_radix_sort_config_selectorIilEEZNS1_25segmented_radix_sort_implIS3_Lb1EPKiPiPKlPlN2at6native12_GLOBAL__N_18offset_tEEE10hipError_tPvRmT1_PNSt15iterator_traitsISK_E10value_typeET2_T3_PNSL_ISQ_E10value_typeET4_jRbjT5_SW_jjP12ihipStream_tbEUlT_E1_NS1_11comp_targetILNS1_3genE8ELNS1_11target_archE1030ELNS1_3gpuE2ELNS1_3repE0EEENS1_59segmented_radix_sort_warp_sort_small_config_static_selectorELNS0_4arch9wavefront6targetE1EEEvSK_.num_named_barrier, 0
	.set _ZN7rocprim17ROCPRIM_400000_NS6detail17trampoline_kernelINS0_14default_configENS1_36segmented_radix_sort_config_selectorIilEEZNS1_25segmented_radix_sort_implIS3_Lb1EPKiPiPKlPlN2at6native12_GLOBAL__N_18offset_tEEE10hipError_tPvRmT1_PNSt15iterator_traitsISK_E10value_typeET2_T3_PNSL_ISQ_E10value_typeET4_jRbjT5_SW_jjP12ihipStream_tbEUlT_E1_NS1_11comp_targetILNS1_3genE8ELNS1_11target_archE1030ELNS1_3gpuE2ELNS1_3repE0EEENS1_59segmented_radix_sort_warp_sort_small_config_static_selectorELNS0_4arch9wavefront6targetE1EEEvSK_.private_seg_size, 0
	.set _ZN7rocprim17ROCPRIM_400000_NS6detail17trampoline_kernelINS0_14default_configENS1_36segmented_radix_sort_config_selectorIilEEZNS1_25segmented_radix_sort_implIS3_Lb1EPKiPiPKlPlN2at6native12_GLOBAL__N_18offset_tEEE10hipError_tPvRmT1_PNSt15iterator_traitsISK_E10value_typeET2_T3_PNSL_ISQ_E10value_typeET4_jRbjT5_SW_jjP12ihipStream_tbEUlT_E1_NS1_11comp_targetILNS1_3genE8ELNS1_11target_archE1030ELNS1_3gpuE2ELNS1_3repE0EEENS1_59segmented_radix_sort_warp_sort_small_config_static_selectorELNS0_4arch9wavefront6targetE1EEEvSK_.uses_vcc, 0
	.set _ZN7rocprim17ROCPRIM_400000_NS6detail17trampoline_kernelINS0_14default_configENS1_36segmented_radix_sort_config_selectorIilEEZNS1_25segmented_radix_sort_implIS3_Lb1EPKiPiPKlPlN2at6native12_GLOBAL__N_18offset_tEEE10hipError_tPvRmT1_PNSt15iterator_traitsISK_E10value_typeET2_T3_PNSL_ISQ_E10value_typeET4_jRbjT5_SW_jjP12ihipStream_tbEUlT_E1_NS1_11comp_targetILNS1_3genE8ELNS1_11target_archE1030ELNS1_3gpuE2ELNS1_3repE0EEENS1_59segmented_radix_sort_warp_sort_small_config_static_selectorELNS0_4arch9wavefront6targetE1EEEvSK_.uses_flat_scratch, 0
	.set _ZN7rocprim17ROCPRIM_400000_NS6detail17trampoline_kernelINS0_14default_configENS1_36segmented_radix_sort_config_selectorIilEEZNS1_25segmented_radix_sort_implIS3_Lb1EPKiPiPKlPlN2at6native12_GLOBAL__N_18offset_tEEE10hipError_tPvRmT1_PNSt15iterator_traitsISK_E10value_typeET2_T3_PNSL_ISQ_E10value_typeET4_jRbjT5_SW_jjP12ihipStream_tbEUlT_E1_NS1_11comp_targetILNS1_3genE8ELNS1_11target_archE1030ELNS1_3gpuE2ELNS1_3repE0EEENS1_59segmented_radix_sort_warp_sort_small_config_static_selectorELNS0_4arch9wavefront6targetE1EEEvSK_.has_dyn_sized_stack, 0
	.set _ZN7rocprim17ROCPRIM_400000_NS6detail17trampoline_kernelINS0_14default_configENS1_36segmented_radix_sort_config_selectorIilEEZNS1_25segmented_radix_sort_implIS3_Lb1EPKiPiPKlPlN2at6native12_GLOBAL__N_18offset_tEEE10hipError_tPvRmT1_PNSt15iterator_traitsISK_E10value_typeET2_T3_PNSL_ISQ_E10value_typeET4_jRbjT5_SW_jjP12ihipStream_tbEUlT_E1_NS1_11comp_targetILNS1_3genE8ELNS1_11target_archE1030ELNS1_3gpuE2ELNS1_3repE0EEENS1_59segmented_radix_sort_warp_sort_small_config_static_selectorELNS0_4arch9wavefront6targetE1EEEvSK_.has_recursion, 0
	.set _ZN7rocprim17ROCPRIM_400000_NS6detail17trampoline_kernelINS0_14default_configENS1_36segmented_radix_sort_config_selectorIilEEZNS1_25segmented_radix_sort_implIS3_Lb1EPKiPiPKlPlN2at6native12_GLOBAL__N_18offset_tEEE10hipError_tPvRmT1_PNSt15iterator_traitsISK_E10value_typeET2_T3_PNSL_ISQ_E10value_typeET4_jRbjT5_SW_jjP12ihipStream_tbEUlT_E1_NS1_11comp_targetILNS1_3genE8ELNS1_11target_archE1030ELNS1_3gpuE2ELNS1_3repE0EEENS1_59segmented_radix_sort_warp_sort_small_config_static_selectorELNS0_4arch9wavefront6targetE1EEEvSK_.has_indirect_call, 0
	.section	.AMDGPU.csdata,"",@progbits
; Kernel info:
; codeLenInByte = 0
; TotalNumSgprs: 4
; NumVgprs: 0
; ScratchSize: 0
; MemoryBound: 0
; FloatMode: 240
; IeeeMode: 1
; LDSByteSize: 0 bytes/workgroup (compile time only)
; SGPRBlocks: 0
; VGPRBlocks: 0
; NumSGPRsForWavesPerEU: 4
; NumVGPRsForWavesPerEU: 1
; Occupancy: 10
; WaveLimiterHint : 0
; COMPUTE_PGM_RSRC2:SCRATCH_EN: 0
; COMPUTE_PGM_RSRC2:USER_SGPR: 6
; COMPUTE_PGM_RSRC2:TRAP_HANDLER: 0
; COMPUTE_PGM_RSRC2:TGID_X_EN: 1
; COMPUTE_PGM_RSRC2:TGID_Y_EN: 0
; COMPUTE_PGM_RSRC2:TGID_Z_EN: 0
; COMPUTE_PGM_RSRC2:TIDIG_COMP_CNT: 0
	.section	.text._ZN7rocprim17ROCPRIM_400000_NS6detail17trampoline_kernelINS0_14default_configENS1_36segmented_radix_sort_config_selectorIilEEZNS1_25segmented_radix_sort_implIS3_Lb1EPKiPiPKlPlN2at6native12_GLOBAL__N_18offset_tEEE10hipError_tPvRmT1_PNSt15iterator_traitsISK_E10value_typeET2_T3_PNSL_ISQ_E10value_typeET4_jRbjT5_SW_jjP12ihipStream_tbEUlT_E2_NS1_11comp_targetILNS1_3genE0ELNS1_11target_archE4294967295ELNS1_3gpuE0ELNS1_3repE0EEENS1_30default_config_static_selectorELNS0_4arch9wavefront6targetE1EEEvSK_,"axG",@progbits,_ZN7rocprim17ROCPRIM_400000_NS6detail17trampoline_kernelINS0_14default_configENS1_36segmented_radix_sort_config_selectorIilEEZNS1_25segmented_radix_sort_implIS3_Lb1EPKiPiPKlPlN2at6native12_GLOBAL__N_18offset_tEEE10hipError_tPvRmT1_PNSt15iterator_traitsISK_E10value_typeET2_T3_PNSL_ISQ_E10value_typeET4_jRbjT5_SW_jjP12ihipStream_tbEUlT_E2_NS1_11comp_targetILNS1_3genE0ELNS1_11target_archE4294967295ELNS1_3gpuE0ELNS1_3repE0EEENS1_30default_config_static_selectorELNS0_4arch9wavefront6targetE1EEEvSK_,comdat
	.globl	_ZN7rocprim17ROCPRIM_400000_NS6detail17trampoline_kernelINS0_14default_configENS1_36segmented_radix_sort_config_selectorIilEEZNS1_25segmented_radix_sort_implIS3_Lb1EPKiPiPKlPlN2at6native12_GLOBAL__N_18offset_tEEE10hipError_tPvRmT1_PNSt15iterator_traitsISK_E10value_typeET2_T3_PNSL_ISQ_E10value_typeET4_jRbjT5_SW_jjP12ihipStream_tbEUlT_E2_NS1_11comp_targetILNS1_3genE0ELNS1_11target_archE4294967295ELNS1_3gpuE0ELNS1_3repE0EEENS1_30default_config_static_selectorELNS0_4arch9wavefront6targetE1EEEvSK_ ; -- Begin function _ZN7rocprim17ROCPRIM_400000_NS6detail17trampoline_kernelINS0_14default_configENS1_36segmented_radix_sort_config_selectorIilEEZNS1_25segmented_radix_sort_implIS3_Lb1EPKiPiPKlPlN2at6native12_GLOBAL__N_18offset_tEEE10hipError_tPvRmT1_PNSt15iterator_traitsISK_E10value_typeET2_T3_PNSL_ISQ_E10value_typeET4_jRbjT5_SW_jjP12ihipStream_tbEUlT_E2_NS1_11comp_targetILNS1_3genE0ELNS1_11target_archE4294967295ELNS1_3gpuE0ELNS1_3repE0EEENS1_30default_config_static_selectorELNS0_4arch9wavefront6targetE1EEEvSK_
	.p2align	8
	.type	_ZN7rocprim17ROCPRIM_400000_NS6detail17trampoline_kernelINS0_14default_configENS1_36segmented_radix_sort_config_selectorIilEEZNS1_25segmented_radix_sort_implIS3_Lb1EPKiPiPKlPlN2at6native12_GLOBAL__N_18offset_tEEE10hipError_tPvRmT1_PNSt15iterator_traitsISK_E10value_typeET2_T3_PNSL_ISQ_E10value_typeET4_jRbjT5_SW_jjP12ihipStream_tbEUlT_E2_NS1_11comp_targetILNS1_3genE0ELNS1_11target_archE4294967295ELNS1_3gpuE0ELNS1_3repE0EEENS1_30default_config_static_selectorELNS0_4arch9wavefront6targetE1EEEvSK_,@function
_ZN7rocprim17ROCPRIM_400000_NS6detail17trampoline_kernelINS0_14default_configENS1_36segmented_radix_sort_config_selectorIilEEZNS1_25segmented_radix_sort_implIS3_Lb1EPKiPiPKlPlN2at6native12_GLOBAL__N_18offset_tEEE10hipError_tPvRmT1_PNSt15iterator_traitsISK_E10value_typeET2_T3_PNSL_ISQ_E10value_typeET4_jRbjT5_SW_jjP12ihipStream_tbEUlT_E2_NS1_11comp_targetILNS1_3genE0ELNS1_11target_archE4294967295ELNS1_3gpuE0ELNS1_3repE0EEENS1_30default_config_static_selectorELNS0_4arch9wavefront6targetE1EEEvSK_: ; @_ZN7rocprim17ROCPRIM_400000_NS6detail17trampoline_kernelINS0_14default_configENS1_36segmented_radix_sort_config_selectorIilEEZNS1_25segmented_radix_sort_implIS3_Lb1EPKiPiPKlPlN2at6native12_GLOBAL__N_18offset_tEEE10hipError_tPvRmT1_PNSt15iterator_traitsISK_E10value_typeET2_T3_PNSL_ISQ_E10value_typeET4_jRbjT5_SW_jjP12ihipStream_tbEUlT_E2_NS1_11comp_targetILNS1_3genE0ELNS1_11target_archE4294967295ELNS1_3gpuE0ELNS1_3repE0EEENS1_30default_config_static_selectorELNS0_4arch9wavefront6targetE1EEEvSK_
; %bb.0:
	.section	.rodata,"a",@progbits
	.p2align	6, 0x0
	.amdhsa_kernel _ZN7rocprim17ROCPRIM_400000_NS6detail17trampoline_kernelINS0_14default_configENS1_36segmented_radix_sort_config_selectorIilEEZNS1_25segmented_radix_sort_implIS3_Lb1EPKiPiPKlPlN2at6native12_GLOBAL__N_18offset_tEEE10hipError_tPvRmT1_PNSt15iterator_traitsISK_E10value_typeET2_T3_PNSL_ISQ_E10value_typeET4_jRbjT5_SW_jjP12ihipStream_tbEUlT_E2_NS1_11comp_targetILNS1_3genE0ELNS1_11target_archE4294967295ELNS1_3gpuE0ELNS1_3repE0EEENS1_30default_config_static_selectorELNS0_4arch9wavefront6targetE1EEEvSK_
		.amdhsa_group_segment_fixed_size 0
		.amdhsa_private_segment_fixed_size 0
		.amdhsa_kernarg_size 80
		.amdhsa_user_sgpr_count 6
		.amdhsa_user_sgpr_private_segment_buffer 1
		.amdhsa_user_sgpr_dispatch_ptr 0
		.amdhsa_user_sgpr_queue_ptr 0
		.amdhsa_user_sgpr_kernarg_segment_ptr 1
		.amdhsa_user_sgpr_dispatch_id 0
		.amdhsa_user_sgpr_flat_scratch_init 0
		.amdhsa_user_sgpr_private_segment_size 0
		.amdhsa_uses_dynamic_stack 0
		.amdhsa_system_sgpr_private_segment_wavefront_offset 0
		.amdhsa_system_sgpr_workgroup_id_x 1
		.amdhsa_system_sgpr_workgroup_id_y 0
		.amdhsa_system_sgpr_workgroup_id_z 0
		.amdhsa_system_sgpr_workgroup_info 0
		.amdhsa_system_vgpr_workitem_id 0
		.amdhsa_next_free_vgpr 1
		.amdhsa_next_free_sgpr 0
		.amdhsa_reserve_vcc 0
		.amdhsa_reserve_flat_scratch 0
		.amdhsa_float_round_mode_32 0
		.amdhsa_float_round_mode_16_64 0
		.amdhsa_float_denorm_mode_32 3
		.amdhsa_float_denorm_mode_16_64 3
		.amdhsa_dx10_clamp 1
		.amdhsa_ieee_mode 1
		.amdhsa_fp16_overflow 0
		.amdhsa_exception_fp_ieee_invalid_op 0
		.amdhsa_exception_fp_denorm_src 0
		.amdhsa_exception_fp_ieee_div_zero 0
		.amdhsa_exception_fp_ieee_overflow 0
		.amdhsa_exception_fp_ieee_underflow 0
		.amdhsa_exception_fp_ieee_inexact 0
		.amdhsa_exception_int_div_zero 0
	.end_amdhsa_kernel
	.section	.text._ZN7rocprim17ROCPRIM_400000_NS6detail17trampoline_kernelINS0_14default_configENS1_36segmented_radix_sort_config_selectorIilEEZNS1_25segmented_radix_sort_implIS3_Lb1EPKiPiPKlPlN2at6native12_GLOBAL__N_18offset_tEEE10hipError_tPvRmT1_PNSt15iterator_traitsISK_E10value_typeET2_T3_PNSL_ISQ_E10value_typeET4_jRbjT5_SW_jjP12ihipStream_tbEUlT_E2_NS1_11comp_targetILNS1_3genE0ELNS1_11target_archE4294967295ELNS1_3gpuE0ELNS1_3repE0EEENS1_30default_config_static_selectorELNS0_4arch9wavefront6targetE1EEEvSK_,"axG",@progbits,_ZN7rocprim17ROCPRIM_400000_NS6detail17trampoline_kernelINS0_14default_configENS1_36segmented_radix_sort_config_selectorIilEEZNS1_25segmented_radix_sort_implIS3_Lb1EPKiPiPKlPlN2at6native12_GLOBAL__N_18offset_tEEE10hipError_tPvRmT1_PNSt15iterator_traitsISK_E10value_typeET2_T3_PNSL_ISQ_E10value_typeET4_jRbjT5_SW_jjP12ihipStream_tbEUlT_E2_NS1_11comp_targetILNS1_3genE0ELNS1_11target_archE4294967295ELNS1_3gpuE0ELNS1_3repE0EEENS1_30default_config_static_selectorELNS0_4arch9wavefront6targetE1EEEvSK_,comdat
.Lfunc_end527:
	.size	_ZN7rocprim17ROCPRIM_400000_NS6detail17trampoline_kernelINS0_14default_configENS1_36segmented_radix_sort_config_selectorIilEEZNS1_25segmented_radix_sort_implIS3_Lb1EPKiPiPKlPlN2at6native12_GLOBAL__N_18offset_tEEE10hipError_tPvRmT1_PNSt15iterator_traitsISK_E10value_typeET2_T3_PNSL_ISQ_E10value_typeET4_jRbjT5_SW_jjP12ihipStream_tbEUlT_E2_NS1_11comp_targetILNS1_3genE0ELNS1_11target_archE4294967295ELNS1_3gpuE0ELNS1_3repE0EEENS1_30default_config_static_selectorELNS0_4arch9wavefront6targetE1EEEvSK_, .Lfunc_end527-_ZN7rocprim17ROCPRIM_400000_NS6detail17trampoline_kernelINS0_14default_configENS1_36segmented_radix_sort_config_selectorIilEEZNS1_25segmented_radix_sort_implIS3_Lb1EPKiPiPKlPlN2at6native12_GLOBAL__N_18offset_tEEE10hipError_tPvRmT1_PNSt15iterator_traitsISK_E10value_typeET2_T3_PNSL_ISQ_E10value_typeET4_jRbjT5_SW_jjP12ihipStream_tbEUlT_E2_NS1_11comp_targetILNS1_3genE0ELNS1_11target_archE4294967295ELNS1_3gpuE0ELNS1_3repE0EEENS1_30default_config_static_selectorELNS0_4arch9wavefront6targetE1EEEvSK_
                                        ; -- End function
	.set _ZN7rocprim17ROCPRIM_400000_NS6detail17trampoline_kernelINS0_14default_configENS1_36segmented_radix_sort_config_selectorIilEEZNS1_25segmented_radix_sort_implIS3_Lb1EPKiPiPKlPlN2at6native12_GLOBAL__N_18offset_tEEE10hipError_tPvRmT1_PNSt15iterator_traitsISK_E10value_typeET2_T3_PNSL_ISQ_E10value_typeET4_jRbjT5_SW_jjP12ihipStream_tbEUlT_E2_NS1_11comp_targetILNS1_3genE0ELNS1_11target_archE4294967295ELNS1_3gpuE0ELNS1_3repE0EEENS1_30default_config_static_selectorELNS0_4arch9wavefront6targetE1EEEvSK_.num_vgpr, 0
	.set _ZN7rocprim17ROCPRIM_400000_NS6detail17trampoline_kernelINS0_14default_configENS1_36segmented_radix_sort_config_selectorIilEEZNS1_25segmented_radix_sort_implIS3_Lb1EPKiPiPKlPlN2at6native12_GLOBAL__N_18offset_tEEE10hipError_tPvRmT1_PNSt15iterator_traitsISK_E10value_typeET2_T3_PNSL_ISQ_E10value_typeET4_jRbjT5_SW_jjP12ihipStream_tbEUlT_E2_NS1_11comp_targetILNS1_3genE0ELNS1_11target_archE4294967295ELNS1_3gpuE0ELNS1_3repE0EEENS1_30default_config_static_selectorELNS0_4arch9wavefront6targetE1EEEvSK_.num_agpr, 0
	.set _ZN7rocprim17ROCPRIM_400000_NS6detail17trampoline_kernelINS0_14default_configENS1_36segmented_radix_sort_config_selectorIilEEZNS1_25segmented_radix_sort_implIS3_Lb1EPKiPiPKlPlN2at6native12_GLOBAL__N_18offset_tEEE10hipError_tPvRmT1_PNSt15iterator_traitsISK_E10value_typeET2_T3_PNSL_ISQ_E10value_typeET4_jRbjT5_SW_jjP12ihipStream_tbEUlT_E2_NS1_11comp_targetILNS1_3genE0ELNS1_11target_archE4294967295ELNS1_3gpuE0ELNS1_3repE0EEENS1_30default_config_static_selectorELNS0_4arch9wavefront6targetE1EEEvSK_.numbered_sgpr, 0
	.set _ZN7rocprim17ROCPRIM_400000_NS6detail17trampoline_kernelINS0_14default_configENS1_36segmented_radix_sort_config_selectorIilEEZNS1_25segmented_radix_sort_implIS3_Lb1EPKiPiPKlPlN2at6native12_GLOBAL__N_18offset_tEEE10hipError_tPvRmT1_PNSt15iterator_traitsISK_E10value_typeET2_T3_PNSL_ISQ_E10value_typeET4_jRbjT5_SW_jjP12ihipStream_tbEUlT_E2_NS1_11comp_targetILNS1_3genE0ELNS1_11target_archE4294967295ELNS1_3gpuE0ELNS1_3repE0EEENS1_30default_config_static_selectorELNS0_4arch9wavefront6targetE1EEEvSK_.num_named_barrier, 0
	.set _ZN7rocprim17ROCPRIM_400000_NS6detail17trampoline_kernelINS0_14default_configENS1_36segmented_radix_sort_config_selectorIilEEZNS1_25segmented_radix_sort_implIS3_Lb1EPKiPiPKlPlN2at6native12_GLOBAL__N_18offset_tEEE10hipError_tPvRmT1_PNSt15iterator_traitsISK_E10value_typeET2_T3_PNSL_ISQ_E10value_typeET4_jRbjT5_SW_jjP12ihipStream_tbEUlT_E2_NS1_11comp_targetILNS1_3genE0ELNS1_11target_archE4294967295ELNS1_3gpuE0ELNS1_3repE0EEENS1_30default_config_static_selectorELNS0_4arch9wavefront6targetE1EEEvSK_.private_seg_size, 0
	.set _ZN7rocprim17ROCPRIM_400000_NS6detail17trampoline_kernelINS0_14default_configENS1_36segmented_radix_sort_config_selectorIilEEZNS1_25segmented_radix_sort_implIS3_Lb1EPKiPiPKlPlN2at6native12_GLOBAL__N_18offset_tEEE10hipError_tPvRmT1_PNSt15iterator_traitsISK_E10value_typeET2_T3_PNSL_ISQ_E10value_typeET4_jRbjT5_SW_jjP12ihipStream_tbEUlT_E2_NS1_11comp_targetILNS1_3genE0ELNS1_11target_archE4294967295ELNS1_3gpuE0ELNS1_3repE0EEENS1_30default_config_static_selectorELNS0_4arch9wavefront6targetE1EEEvSK_.uses_vcc, 0
	.set _ZN7rocprim17ROCPRIM_400000_NS6detail17trampoline_kernelINS0_14default_configENS1_36segmented_radix_sort_config_selectorIilEEZNS1_25segmented_radix_sort_implIS3_Lb1EPKiPiPKlPlN2at6native12_GLOBAL__N_18offset_tEEE10hipError_tPvRmT1_PNSt15iterator_traitsISK_E10value_typeET2_T3_PNSL_ISQ_E10value_typeET4_jRbjT5_SW_jjP12ihipStream_tbEUlT_E2_NS1_11comp_targetILNS1_3genE0ELNS1_11target_archE4294967295ELNS1_3gpuE0ELNS1_3repE0EEENS1_30default_config_static_selectorELNS0_4arch9wavefront6targetE1EEEvSK_.uses_flat_scratch, 0
	.set _ZN7rocprim17ROCPRIM_400000_NS6detail17trampoline_kernelINS0_14default_configENS1_36segmented_radix_sort_config_selectorIilEEZNS1_25segmented_radix_sort_implIS3_Lb1EPKiPiPKlPlN2at6native12_GLOBAL__N_18offset_tEEE10hipError_tPvRmT1_PNSt15iterator_traitsISK_E10value_typeET2_T3_PNSL_ISQ_E10value_typeET4_jRbjT5_SW_jjP12ihipStream_tbEUlT_E2_NS1_11comp_targetILNS1_3genE0ELNS1_11target_archE4294967295ELNS1_3gpuE0ELNS1_3repE0EEENS1_30default_config_static_selectorELNS0_4arch9wavefront6targetE1EEEvSK_.has_dyn_sized_stack, 0
	.set _ZN7rocprim17ROCPRIM_400000_NS6detail17trampoline_kernelINS0_14default_configENS1_36segmented_radix_sort_config_selectorIilEEZNS1_25segmented_radix_sort_implIS3_Lb1EPKiPiPKlPlN2at6native12_GLOBAL__N_18offset_tEEE10hipError_tPvRmT1_PNSt15iterator_traitsISK_E10value_typeET2_T3_PNSL_ISQ_E10value_typeET4_jRbjT5_SW_jjP12ihipStream_tbEUlT_E2_NS1_11comp_targetILNS1_3genE0ELNS1_11target_archE4294967295ELNS1_3gpuE0ELNS1_3repE0EEENS1_30default_config_static_selectorELNS0_4arch9wavefront6targetE1EEEvSK_.has_recursion, 0
	.set _ZN7rocprim17ROCPRIM_400000_NS6detail17trampoline_kernelINS0_14default_configENS1_36segmented_radix_sort_config_selectorIilEEZNS1_25segmented_radix_sort_implIS3_Lb1EPKiPiPKlPlN2at6native12_GLOBAL__N_18offset_tEEE10hipError_tPvRmT1_PNSt15iterator_traitsISK_E10value_typeET2_T3_PNSL_ISQ_E10value_typeET4_jRbjT5_SW_jjP12ihipStream_tbEUlT_E2_NS1_11comp_targetILNS1_3genE0ELNS1_11target_archE4294967295ELNS1_3gpuE0ELNS1_3repE0EEENS1_30default_config_static_selectorELNS0_4arch9wavefront6targetE1EEEvSK_.has_indirect_call, 0
	.section	.AMDGPU.csdata,"",@progbits
; Kernel info:
; codeLenInByte = 0
; TotalNumSgprs: 4
; NumVgprs: 0
; ScratchSize: 0
; MemoryBound: 0
; FloatMode: 240
; IeeeMode: 1
; LDSByteSize: 0 bytes/workgroup (compile time only)
; SGPRBlocks: 0
; VGPRBlocks: 0
; NumSGPRsForWavesPerEU: 4
; NumVGPRsForWavesPerEU: 1
; Occupancy: 10
; WaveLimiterHint : 0
; COMPUTE_PGM_RSRC2:SCRATCH_EN: 0
; COMPUTE_PGM_RSRC2:USER_SGPR: 6
; COMPUTE_PGM_RSRC2:TRAP_HANDLER: 0
; COMPUTE_PGM_RSRC2:TGID_X_EN: 1
; COMPUTE_PGM_RSRC2:TGID_Y_EN: 0
; COMPUTE_PGM_RSRC2:TGID_Z_EN: 0
; COMPUTE_PGM_RSRC2:TIDIG_COMP_CNT: 0
	.section	.text._ZN7rocprim17ROCPRIM_400000_NS6detail17trampoline_kernelINS0_14default_configENS1_36segmented_radix_sort_config_selectorIilEEZNS1_25segmented_radix_sort_implIS3_Lb1EPKiPiPKlPlN2at6native12_GLOBAL__N_18offset_tEEE10hipError_tPvRmT1_PNSt15iterator_traitsISK_E10value_typeET2_T3_PNSL_ISQ_E10value_typeET4_jRbjT5_SW_jjP12ihipStream_tbEUlT_E2_NS1_11comp_targetILNS1_3genE5ELNS1_11target_archE942ELNS1_3gpuE9ELNS1_3repE0EEENS1_30default_config_static_selectorELNS0_4arch9wavefront6targetE1EEEvSK_,"axG",@progbits,_ZN7rocprim17ROCPRIM_400000_NS6detail17trampoline_kernelINS0_14default_configENS1_36segmented_radix_sort_config_selectorIilEEZNS1_25segmented_radix_sort_implIS3_Lb1EPKiPiPKlPlN2at6native12_GLOBAL__N_18offset_tEEE10hipError_tPvRmT1_PNSt15iterator_traitsISK_E10value_typeET2_T3_PNSL_ISQ_E10value_typeET4_jRbjT5_SW_jjP12ihipStream_tbEUlT_E2_NS1_11comp_targetILNS1_3genE5ELNS1_11target_archE942ELNS1_3gpuE9ELNS1_3repE0EEENS1_30default_config_static_selectorELNS0_4arch9wavefront6targetE1EEEvSK_,comdat
	.globl	_ZN7rocprim17ROCPRIM_400000_NS6detail17trampoline_kernelINS0_14default_configENS1_36segmented_radix_sort_config_selectorIilEEZNS1_25segmented_radix_sort_implIS3_Lb1EPKiPiPKlPlN2at6native12_GLOBAL__N_18offset_tEEE10hipError_tPvRmT1_PNSt15iterator_traitsISK_E10value_typeET2_T3_PNSL_ISQ_E10value_typeET4_jRbjT5_SW_jjP12ihipStream_tbEUlT_E2_NS1_11comp_targetILNS1_3genE5ELNS1_11target_archE942ELNS1_3gpuE9ELNS1_3repE0EEENS1_30default_config_static_selectorELNS0_4arch9wavefront6targetE1EEEvSK_ ; -- Begin function _ZN7rocprim17ROCPRIM_400000_NS6detail17trampoline_kernelINS0_14default_configENS1_36segmented_radix_sort_config_selectorIilEEZNS1_25segmented_radix_sort_implIS3_Lb1EPKiPiPKlPlN2at6native12_GLOBAL__N_18offset_tEEE10hipError_tPvRmT1_PNSt15iterator_traitsISK_E10value_typeET2_T3_PNSL_ISQ_E10value_typeET4_jRbjT5_SW_jjP12ihipStream_tbEUlT_E2_NS1_11comp_targetILNS1_3genE5ELNS1_11target_archE942ELNS1_3gpuE9ELNS1_3repE0EEENS1_30default_config_static_selectorELNS0_4arch9wavefront6targetE1EEEvSK_
	.p2align	8
	.type	_ZN7rocprim17ROCPRIM_400000_NS6detail17trampoline_kernelINS0_14default_configENS1_36segmented_radix_sort_config_selectorIilEEZNS1_25segmented_radix_sort_implIS3_Lb1EPKiPiPKlPlN2at6native12_GLOBAL__N_18offset_tEEE10hipError_tPvRmT1_PNSt15iterator_traitsISK_E10value_typeET2_T3_PNSL_ISQ_E10value_typeET4_jRbjT5_SW_jjP12ihipStream_tbEUlT_E2_NS1_11comp_targetILNS1_3genE5ELNS1_11target_archE942ELNS1_3gpuE9ELNS1_3repE0EEENS1_30default_config_static_selectorELNS0_4arch9wavefront6targetE1EEEvSK_,@function
_ZN7rocprim17ROCPRIM_400000_NS6detail17trampoline_kernelINS0_14default_configENS1_36segmented_radix_sort_config_selectorIilEEZNS1_25segmented_radix_sort_implIS3_Lb1EPKiPiPKlPlN2at6native12_GLOBAL__N_18offset_tEEE10hipError_tPvRmT1_PNSt15iterator_traitsISK_E10value_typeET2_T3_PNSL_ISQ_E10value_typeET4_jRbjT5_SW_jjP12ihipStream_tbEUlT_E2_NS1_11comp_targetILNS1_3genE5ELNS1_11target_archE942ELNS1_3gpuE9ELNS1_3repE0EEENS1_30default_config_static_selectorELNS0_4arch9wavefront6targetE1EEEvSK_: ; @_ZN7rocprim17ROCPRIM_400000_NS6detail17trampoline_kernelINS0_14default_configENS1_36segmented_radix_sort_config_selectorIilEEZNS1_25segmented_radix_sort_implIS3_Lb1EPKiPiPKlPlN2at6native12_GLOBAL__N_18offset_tEEE10hipError_tPvRmT1_PNSt15iterator_traitsISK_E10value_typeET2_T3_PNSL_ISQ_E10value_typeET4_jRbjT5_SW_jjP12ihipStream_tbEUlT_E2_NS1_11comp_targetILNS1_3genE5ELNS1_11target_archE942ELNS1_3gpuE9ELNS1_3repE0EEENS1_30default_config_static_selectorELNS0_4arch9wavefront6targetE1EEEvSK_
; %bb.0:
	.section	.rodata,"a",@progbits
	.p2align	6, 0x0
	.amdhsa_kernel _ZN7rocprim17ROCPRIM_400000_NS6detail17trampoline_kernelINS0_14default_configENS1_36segmented_radix_sort_config_selectorIilEEZNS1_25segmented_radix_sort_implIS3_Lb1EPKiPiPKlPlN2at6native12_GLOBAL__N_18offset_tEEE10hipError_tPvRmT1_PNSt15iterator_traitsISK_E10value_typeET2_T3_PNSL_ISQ_E10value_typeET4_jRbjT5_SW_jjP12ihipStream_tbEUlT_E2_NS1_11comp_targetILNS1_3genE5ELNS1_11target_archE942ELNS1_3gpuE9ELNS1_3repE0EEENS1_30default_config_static_selectorELNS0_4arch9wavefront6targetE1EEEvSK_
		.amdhsa_group_segment_fixed_size 0
		.amdhsa_private_segment_fixed_size 0
		.amdhsa_kernarg_size 80
		.amdhsa_user_sgpr_count 6
		.amdhsa_user_sgpr_private_segment_buffer 1
		.amdhsa_user_sgpr_dispatch_ptr 0
		.amdhsa_user_sgpr_queue_ptr 0
		.amdhsa_user_sgpr_kernarg_segment_ptr 1
		.amdhsa_user_sgpr_dispatch_id 0
		.amdhsa_user_sgpr_flat_scratch_init 0
		.amdhsa_user_sgpr_private_segment_size 0
		.amdhsa_uses_dynamic_stack 0
		.amdhsa_system_sgpr_private_segment_wavefront_offset 0
		.amdhsa_system_sgpr_workgroup_id_x 1
		.amdhsa_system_sgpr_workgroup_id_y 0
		.amdhsa_system_sgpr_workgroup_id_z 0
		.amdhsa_system_sgpr_workgroup_info 0
		.amdhsa_system_vgpr_workitem_id 0
		.amdhsa_next_free_vgpr 1
		.amdhsa_next_free_sgpr 0
		.amdhsa_reserve_vcc 0
		.amdhsa_reserve_flat_scratch 0
		.amdhsa_float_round_mode_32 0
		.amdhsa_float_round_mode_16_64 0
		.amdhsa_float_denorm_mode_32 3
		.amdhsa_float_denorm_mode_16_64 3
		.amdhsa_dx10_clamp 1
		.amdhsa_ieee_mode 1
		.amdhsa_fp16_overflow 0
		.amdhsa_exception_fp_ieee_invalid_op 0
		.amdhsa_exception_fp_denorm_src 0
		.amdhsa_exception_fp_ieee_div_zero 0
		.amdhsa_exception_fp_ieee_overflow 0
		.amdhsa_exception_fp_ieee_underflow 0
		.amdhsa_exception_fp_ieee_inexact 0
		.amdhsa_exception_int_div_zero 0
	.end_amdhsa_kernel
	.section	.text._ZN7rocprim17ROCPRIM_400000_NS6detail17trampoline_kernelINS0_14default_configENS1_36segmented_radix_sort_config_selectorIilEEZNS1_25segmented_radix_sort_implIS3_Lb1EPKiPiPKlPlN2at6native12_GLOBAL__N_18offset_tEEE10hipError_tPvRmT1_PNSt15iterator_traitsISK_E10value_typeET2_T3_PNSL_ISQ_E10value_typeET4_jRbjT5_SW_jjP12ihipStream_tbEUlT_E2_NS1_11comp_targetILNS1_3genE5ELNS1_11target_archE942ELNS1_3gpuE9ELNS1_3repE0EEENS1_30default_config_static_selectorELNS0_4arch9wavefront6targetE1EEEvSK_,"axG",@progbits,_ZN7rocprim17ROCPRIM_400000_NS6detail17trampoline_kernelINS0_14default_configENS1_36segmented_radix_sort_config_selectorIilEEZNS1_25segmented_radix_sort_implIS3_Lb1EPKiPiPKlPlN2at6native12_GLOBAL__N_18offset_tEEE10hipError_tPvRmT1_PNSt15iterator_traitsISK_E10value_typeET2_T3_PNSL_ISQ_E10value_typeET4_jRbjT5_SW_jjP12ihipStream_tbEUlT_E2_NS1_11comp_targetILNS1_3genE5ELNS1_11target_archE942ELNS1_3gpuE9ELNS1_3repE0EEENS1_30default_config_static_selectorELNS0_4arch9wavefront6targetE1EEEvSK_,comdat
.Lfunc_end528:
	.size	_ZN7rocprim17ROCPRIM_400000_NS6detail17trampoline_kernelINS0_14default_configENS1_36segmented_radix_sort_config_selectorIilEEZNS1_25segmented_radix_sort_implIS3_Lb1EPKiPiPKlPlN2at6native12_GLOBAL__N_18offset_tEEE10hipError_tPvRmT1_PNSt15iterator_traitsISK_E10value_typeET2_T3_PNSL_ISQ_E10value_typeET4_jRbjT5_SW_jjP12ihipStream_tbEUlT_E2_NS1_11comp_targetILNS1_3genE5ELNS1_11target_archE942ELNS1_3gpuE9ELNS1_3repE0EEENS1_30default_config_static_selectorELNS0_4arch9wavefront6targetE1EEEvSK_, .Lfunc_end528-_ZN7rocprim17ROCPRIM_400000_NS6detail17trampoline_kernelINS0_14default_configENS1_36segmented_radix_sort_config_selectorIilEEZNS1_25segmented_radix_sort_implIS3_Lb1EPKiPiPKlPlN2at6native12_GLOBAL__N_18offset_tEEE10hipError_tPvRmT1_PNSt15iterator_traitsISK_E10value_typeET2_T3_PNSL_ISQ_E10value_typeET4_jRbjT5_SW_jjP12ihipStream_tbEUlT_E2_NS1_11comp_targetILNS1_3genE5ELNS1_11target_archE942ELNS1_3gpuE9ELNS1_3repE0EEENS1_30default_config_static_selectorELNS0_4arch9wavefront6targetE1EEEvSK_
                                        ; -- End function
	.set _ZN7rocprim17ROCPRIM_400000_NS6detail17trampoline_kernelINS0_14default_configENS1_36segmented_radix_sort_config_selectorIilEEZNS1_25segmented_radix_sort_implIS3_Lb1EPKiPiPKlPlN2at6native12_GLOBAL__N_18offset_tEEE10hipError_tPvRmT1_PNSt15iterator_traitsISK_E10value_typeET2_T3_PNSL_ISQ_E10value_typeET4_jRbjT5_SW_jjP12ihipStream_tbEUlT_E2_NS1_11comp_targetILNS1_3genE5ELNS1_11target_archE942ELNS1_3gpuE9ELNS1_3repE0EEENS1_30default_config_static_selectorELNS0_4arch9wavefront6targetE1EEEvSK_.num_vgpr, 0
	.set _ZN7rocprim17ROCPRIM_400000_NS6detail17trampoline_kernelINS0_14default_configENS1_36segmented_radix_sort_config_selectorIilEEZNS1_25segmented_radix_sort_implIS3_Lb1EPKiPiPKlPlN2at6native12_GLOBAL__N_18offset_tEEE10hipError_tPvRmT1_PNSt15iterator_traitsISK_E10value_typeET2_T3_PNSL_ISQ_E10value_typeET4_jRbjT5_SW_jjP12ihipStream_tbEUlT_E2_NS1_11comp_targetILNS1_3genE5ELNS1_11target_archE942ELNS1_3gpuE9ELNS1_3repE0EEENS1_30default_config_static_selectorELNS0_4arch9wavefront6targetE1EEEvSK_.num_agpr, 0
	.set _ZN7rocprim17ROCPRIM_400000_NS6detail17trampoline_kernelINS0_14default_configENS1_36segmented_radix_sort_config_selectorIilEEZNS1_25segmented_radix_sort_implIS3_Lb1EPKiPiPKlPlN2at6native12_GLOBAL__N_18offset_tEEE10hipError_tPvRmT1_PNSt15iterator_traitsISK_E10value_typeET2_T3_PNSL_ISQ_E10value_typeET4_jRbjT5_SW_jjP12ihipStream_tbEUlT_E2_NS1_11comp_targetILNS1_3genE5ELNS1_11target_archE942ELNS1_3gpuE9ELNS1_3repE0EEENS1_30default_config_static_selectorELNS0_4arch9wavefront6targetE1EEEvSK_.numbered_sgpr, 0
	.set _ZN7rocprim17ROCPRIM_400000_NS6detail17trampoline_kernelINS0_14default_configENS1_36segmented_radix_sort_config_selectorIilEEZNS1_25segmented_radix_sort_implIS3_Lb1EPKiPiPKlPlN2at6native12_GLOBAL__N_18offset_tEEE10hipError_tPvRmT1_PNSt15iterator_traitsISK_E10value_typeET2_T3_PNSL_ISQ_E10value_typeET4_jRbjT5_SW_jjP12ihipStream_tbEUlT_E2_NS1_11comp_targetILNS1_3genE5ELNS1_11target_archE942ELNS1_3gpuE9ELNS1_3repE0EEENS1_30default_config_static_selectorELNS0_4arch9wavefront6targetE1EEEvSK_.num_named_barrier, 0
	.set _ZN7rocprim17ROCPRIM_400000_NS6detail17trampoline_kernelINS0_14default_configENS1_36segmented_radix_sort_config_selectorIilEEZNS1_25segmented_radix_sort_implIS3_Lb1EPKiPiPKlPlN2at6native12_GLOBAL__N_18offset_tEEE10hipError_tPvRmT1_PNSt15iterator_traitsISK_E10value_typeET2_T3_PNSL_ISQ_E10value_typeET4_jRbjT5_SW_jjP12ihipStream_tbEUlT_E2_NS1_11comp_targetILNS1_3genE5ELNS1_11target_archE942ELNS1_3gpuE9ELNS1_3repE0EEENS1_30default_config_static_selectorELNS0_4arch9wavefront6targetE1EEEvSK_.private_seg_size, 0
	.set _ZN7rocprim17ROCPRIM_400000_NS6detail17trampoline_kernelINS0_14default_configENS1_36segmented_radix_sort_config_selectorIilEEZNS1_25segmented_radix_sort_implIS3_Lb1EPKiPiPKlPlN2at6native12_GLOBAL__N_18offset_tEEE10hipError_tPvRmT1_PNSt15iterator_traitsISK_E10value_typeET2_T3_PNSL_ISQ_E10value_typeET4_jRbjT5_SW_jjP12ihipStream_tbEUlT_E2_NS1_11comp_targetILNS1_3genE5ELNS1_11target_archE942ELNS1_3gpuE9ELNS1_3repE0EEENS1_30default_config_static_selectorELNS0_4arch9wavefront6targetE1EEEvSK_.uses_vcc, 0
	.set _ZN7rocprim17ROCPRIM_400000_NS6detail17trampoline_kernelINS0_14default_configENS1_36segmented_radix_sort_config_selectorIilEEZNS1_25segmented_radix_sort_implIS3_Lb1EPKiPiPKlPlN2at6native12_GLOBAL__N_18offset_tEEE10hipError_tPvRmT1_PNSt15iterator_traitsISK_E10value_typeET2_T3_PNSL_ISQ_E10value_typeET4_jRbjT5_SW_jjP12ihipStream_tbEUlT_E2_NS1_11comp_targetILNS1_3genE5ELNS1_11target_archE942ELNS1_3gpuE9ELNS1_3repE0EEENS1_30default_config_static_selectorELNS0_4arch9wavefront6targetE1EEEvSK_.uses_flat_scratch, 0
	.set _ZN7rocprim17ROCPRIM_400000_NS6detail17trampoline_kernelINS0_14default_configENS1_36segmented_radix_sort_config_selectorIilEEZNS1_25segmented_radix_sort_implIS3_Lb1EPKiPiPKlPlN2at6native12_GLOBAL__N_18offset_tEEE10hipError_tPvRmT1_PNSt15iterator_traitsISK_E10value_typeET2_T3_PNSL_ISQ_E10value_typeET4_jRbjT5_SW_jjP12ihipStream_tbEUlT_E2_NS1_11comp_targetILNS1_3genE5ELNS1_11target_archE942ELNS1_3gpuE9ELNS1_3repE0EEENS1_30default_config_static_selectorELNS0_4arch9wavefront6targetE1EEEvSK_.has_dyn_sized_stack, 0
	.set _ZN7rocprim17ROCPRIM_400000_NS6detail17trampoline_kernelINS0_14default_configENS1_36segmented_radix_sort_config_selectorIilEEZNS1_25segmented_radix_sort_implIS3_Lb1EPKiPiPKlPlN2at6native12_GLOBAL__N_18offset_tEEE10hipError_tPvRmT1_PNSt15iterator_traitsISK_E10value_typeET2_T3_PNSL_ISQ_E10value_typeET4_jRbjT5_SW_jjP12ihipStream_tbEUlT_E2_NS1_11comp_targetILNS1_3genE5ELNS1_11target_archE942ELNS1_3gpuE9ELNS1_3repE0EEENS1_30default_config_static_selectorELNS0_4arch9wavefront6targetE1EEEvSK_.has_recursion, 0
	.set _ZN7rocprim17ROCPRIM_400000_NS6detail17trampoline_kernelINS0_14default_configENS1_36segmented_radix_sort_config_selectorIilEEZNS1_25segmented_radix_sort_implIS3_Lb1EPKiPiPKlPlN2at6native12_GLOBAL__N_18offset_tEEE10hipError_tPvRmT1_PNSt15iterator_traitsISK_E10value_typeET2_T3_PNSL_ISQ_E10value_typeET4_jRbjT5_SW_jjP12ihipStream_tbEUlT_E2_NS1_11comp_targetILNS1_3genE5ELNS1_11target_archE942ELNS1_3gpuE9ELNS1_3repE0EEENS1_30default_config_static_selectorELNS0_4arch9wavefront6targetE1EEEvSK_.has_indirect_call, 0
	.section	.AMDGPU.csdata,"",@progbits
; Kernel info:
; codeLenInByte = 0
; TotalNumSgprs: 4
; NumVgprs: 0
; ScratchSize: 0
; MemoryBound: 0
; FloatMode: 240
; IeeeMode: 1
; LDSByteSize: 0 bytes/workgroup (compile time only)
; SGPRBlocks: 0
; VGPRBlocks: 0
; NumSGPRsForWavesPerEU: 4
; NumVGPRsForWavesPerEU: 1
; Occupancy: 10
; WaveLimiterHint : 0
; COMPUTE_PGM_RSRC2:SCRATCH_EN: 0
; COMPUTE_PGM_RSRC2:USER_SGPR: 6
; COMPUTE_PGM_RSRC2:TRAP_HANDLER: 0
; COMPUTE_PGM_RSRC2:TGID_X_EN: 1
; COMPUTE_PGM_RSRC2:TGID_Y_EN: 0
; COMPUTE_PGM_RSRC2:TGID_Z_EN: 0
; COMPUTE_PGM_RSRC2:TIDIG_COMP_CNT: 0
	.section	.text._ZN7rocprim17ROCPRIM_400000_NS6detail17trampoline_kernelINS0_14default_configENS1_36segmented_radix_sort_config_selectorIilEEZNS1_25segmented_radix_sort_implIS3_Lb1EPKiPiPKlPlN2at6native12_GLOBAL__N_18offset_tEEE10hipError_tPvRmT1_PNSt15iterator_traitsISK_E10value_typeET2_T3_PNSL_ISQ_E10value_typeET4_jRbjT5_SW_jjP12ihipStream_tbEUlT_E2_NS1_11comp_targetILNS1_3genE4ELNS1_11target_archE910ELNS1_3gpuE8ELNS1_3repE0EEENS1_30default_config_static_selectorELNS0_4arch9wavefront6targetE1EEEvSK_,"axG",@progbits,_ZN7rocprim17ROCPRIM_400000_NS6detail17trampoline_kernelINS0_14default_configENS1_36segmented_radix_sort_config_selectorIilEEZNS1_25segmented_radix_sort_implIS3_Lb1EPKiPiPKlPlN2at6native12_GLOBAL__N_18offset_tEEE10hipError_tPvRmT1_PNSt15iterator_traitsISK_E10value_typeET2_T3_PNSL_ISQ_E10value_typeET4_jRbjT5_SW_jjP12ihipStream_tbEUlT_E2_NS1_11comp_targetILNS1_3genE4ELNS1_11target_archE910ELNS1_3gpuE8ELNS1_3repE0EEENS1_30default_config_static_selectorELNS0_4arch9wavefront6targetE1EEEvSK_,comdat
	.globl	_ZN7rocprim17ROCPRIM_400000_NS6detail17trampoline_kernelINS0_14default_configENS1_36segmented_radix_sort_config_selectorIilEEZNS1_25segmented_radix_sort_implIS3_Lb1EPKiPiPKlPlN2at6native12_GLOBAL__N_18offset_tEEE10hipError_tPvRmT1_PNSt15iterator_traitsISK_E10value_typeET2_T3_PNSL_ISQ_E10value_typeET4_jRbjT5_SW_jjP12ihipStream_tbEUlT_E2_NS1_11comp_targetILNS1_3genE4ELNS1_11target_archE910ELNS1_3gpuE8ELNS1_3repE0EEENS1_30default_config_static_selectorELNS0_4arch9wavefront6targetE1EEEvSK_ ; -- Begin function _ZN7rocprim17ROCPRIM_400000_NS6detail17trampoline_kernelINS0_14default_configENS1_36segmented_radix_sort_config_selectorIilEEZNS1_25segmented_radix_sort_implIS3_Lb1EPKiPiPKlPlN2at6native12_GLOBAL__N_18offset_tEEE10hipError_tPvRmT1_PNSt15iterator_traitsISK_E10value_typeET2_T3_PNSL_ISQ_E10value_typeET4_jRbjT5_SW_jjP12ihipStream_tbEUlT_E2_NS1_11comp_targetILNS1_3genE4ELNS1_11target_archE910ELNS1_3gpuE8ELNS1_3repE0EEENS1_30default_config_static_selectorELNS0_4arch9wavefront6targetE1EEEvSK_
	.p2align	8
	.type	_ZN7rocprim17ROCPRIM_400000_NS6detail17trampoline_kernelINS0_14default_configENS1_36segmented_radix_sort_config_selectorIilEEZNS1_25segmented_radix_sort_implIS3_Lb1EPKiPiPKlPlN2at6native12_GLOBAL__N_18offset_tEEE10hipError_tPvRmT1_PNSt15iterator_traitsISK_E10value_typeET2_T3_PNSL_ISQ_E10value_typeET4_jRbjT5_SW_jjP12ihipStream_tbEUlT_E2_NS1_11comp_targetILNS1_3genE4ELNS1_11target_archE910ELNS1_3gpuE8ELNS1_3repE0EEENS1_30default_config_static_selectorELNS0_4arch9wavefront6targetE1EEEvSK_,@function
_ZN7rocprim17ROCPRIM_400000_NS6detail17trampoline_kernelINS0_14default_configENS1_36segmented_radix_sort_config_selectorIilEEZNS1_25segmented_radix_sort_implIS3_Lb1EPKiPiPKlPlN2at6native12_GLOBAL__N_18offset_tEEE10hipError_tPvRmT1_PNSt15iterator_traitsISK_E10value_typeET2_T3_PNSL_ISQ_E10value_typeET4_jRbjT5_SW_jjP12ihipStream_tbEUlT_E2_NS1_11comp_targetILNS1_3genE4ELNS1_11target_archE910ELNS1_3gpuE8ELNS1_3repE0EEENS1_30default_config_static_selectorELNS0_4arch9wavefront6targetE1EEEvSK_: ; @_ZN7rocprim17ROCPRIM_400000_NS6detail17trampoline_kernelINS0_14default_configENS1_36segmented_radix_sort_config_selectorIilEEZNS1_25segmented_radix_sort_implIS3_Lb1EPKiPiPKlPlN2at6native12_GLOBAL__N_18offset_tEEE10hipError_tPvRmT1_PNSt15iterator_traitsISK_E10value_typeET2_T3_PNSL_ISQ_E10value_typeET4_jRbjT5_SW_jjP12ihipStream_tbEUlT_E2_NS1_11comp_targetILNS1_3genE4ELNS1_11target_archE910ELNS1_3gpuE8ELNS1_3repE0EEENS1_30default_config_static_selectorELNS0_4arch9wavefront6targetE1EEEvSK_
; %bb.0:
	.section	.rodata,"a",@progbits
	.p2align	6, 0x0
	.amdhsa_kernel _ZN7rocprim17ROCPRIM_400000_NS6detail17trampoline_kernelINS0_14default_configENS1_36segmented_radix_sort_config_selectorIilEEZNS1_25segmented_radix_sort_implIS3_Lb1EPKiPiPKlPlN2at6native12_GLOBAL__N_18offset_tEEE10hipError_tPvRmT1_PNSt15iterator_traitsISK_E10value_typeET2_T3_PNSL_ISQ_E10value_typeET4_jRbjT5_SW_jjP12ihipStream_tbEUlT_E2_NS1_11comp_targetILNS1_3genE4ELNS1_11target_archE910ELNS1_3gpuE8ELNS1_3repE0EEENS1_30default_config_static_selectorELNS0_4arch9wavefront6targetE1EEEvSK_
		.amdhsa_group_segment_fixed_size 0
		.amdhsa_private_segment_fixed_size 0
		.amdhsa_kernarg_size 80
		.amdhsa_user_sgpr_count 6
		.amdhsa_user_sgpr_private_segment_buffer 1
		.amdhsa_user_sgpr_dispatch_ptr 0
		.amdhsa_user_sgpr_queue_ptr 0
		.amdhsa_user_sgpr_kernarg_segment_ptr 1
		.amdhsa_user_sgpr_dispatch_id 0
		.amdhsa_user_sgpr_flat_scratch_init 0
		.amdhsa_user_sgpr_private_segment_size 0
		.amdhsa_uses_dynamic_stack 0
		.amdhsa_system_sgpr_private_segment_wavefront_offset 0
		.amdhsa_system_sgpr_workgroup_id_x 1
		.amdhsa_system_sgpr_workgroup_id_y 0
		.amdhsa_system_sgpr_workgroup_id_z 0
		.amdhsa_system_sgpr_workgroup_info 0
		.amdhsa_system_vgpr_workitem_id 0
		.amdhsa_next_free_vgpr 1
		.amdhsa_next_free_sgpr 0
		.amdhsa_reserve_vcc 0
		.amdhsa_reserve_flat_scratch 0
		.amdhsa_float_round_mode_32 0
		.amdhsa_float_round_mode_16_64 0
		.amdhsa_float_denorm_mode_32 3
		.amdhsa_float_denorm_mode_16_64 3
		.amdhsa_dx10_clamp 1
		.amdhsa_ieee_mode 1
		.amdhsa_fp16_overflow 0
		.amdhsa_exception_fp_ieee_invalid_op 0
		.amdhsa_exception_fp_denorm_src 0
		.amdhsa_exception_fp_ieee_div_zero 0
		.amdhsa_exception_fp_ieee_overflow 0
		.amdhsa_exception_fp_ieee_underflow 0
		.amdhsa_exception_fp_ieee_inexact 0
		.amdhsa_exception_int_div_zero 0
	.end_amdhsa_kernel
	.section	.text._ZN7rocprim17ROCPRIM_400000_NS6detail17trampoline_kernelINS0_14default_configENS1_36segmented_radix_sort_config_selectorIilEEZNS1_25segmented_radix_sort_implIS3_Lb1EPKiPiPKlPlN2at6native12_GLOBAL__N_18offset_tEEE10hipError_tPvRmT1_PNSt15iterator_traitsISK_E10value_typeET2_T3_PNSL_ISQ_E10value_typeET4_jRbjT5_SW_jjP12ihipStream_tbEUlT_E2_NS1_11comp_targetILNS1_3genE4ELNS1_11target_archE910ELNS1_3gpuE8ELNS1_3repE0EEENS1_30default_config_static_selectorELNS0_4arch9wavefront6targetE1EEEvSK_,"axG",@progbits,_ZN7rocprim17ROCPRIM_400000_NS6detail17trampoline_kernelINS0_14default_configENS1_36segmented_radix_sort_config_selectorIilEEZNS1_25segmented_radix_sort_implIS3_Lb1EPKiPiPKlPlN2at6native12_GLOBAL__N_18offset_tEEE10hipError_tPvRmT1_PNSt15iterator_traitsISK_E10value_typeET2_T3_PNSL_ISQ_E10value_typeET4_jRbjT5_SW_jjP12ihipStream_tbEUlT_E2_NS1_11comp_targetILNS1_3genE4ELNS1_11target_archE910ELNS1_3gpuE8ELNS1_3repE0EEENS1_30default_config_static_selectorELNS0_4arch9wavefront6targetE1EEEvSK_,comdat
.Lfunc_end529:
	.size	_ZN7rocprim17ROCPRIM_400000_NS6detail17trampoline_kernelINS0_14default_configENS1_36segmented_radix_sort_config_selectorIilEEZNS1_25segmented_radix_sort_implIS3_Lb1EPKiPiPKlPlN2at6native12_GLOBAL__N_18offset_tEEE10hipError_tPvRmT1_PNSt15iterator_traitsISK_E10value_typeET2_T3_PNSL_ISQ_E10value_typeET4_jRbjT5_SW_jjP12ihipStream_tbEUlT_E2_NS1_11comp_targetILNS1_3genE4ELNS1_11target_archE910ELNS1_3gpuE8ELNS1_3repE0EEENS1_30default_config_static_selectorELNS0_4arch9wavefront6targetE1EEEvSK_, .Lfunc_end529-_ZN7rocprim17ROCPRIM_400000_NS6detail17trampoline_kernelINS0_14default_configENS1_36segmented_radix_sort_config_selectorIilEEZNS1_25segmented_radix_sort_implIS3_Lb1EPKiPiPKlPlN2at6native12_GLOBAL__N_18offset_tEEE10hipError_tPvRmT1_PNSt15iterator_traitsISK_E10value_typeET2_T3_PNSL_ISQ_E10value_typeET4_jRbjT5_SW_jjP12ihipStream_tbEUlT_E2_NS1_11comp_targetILNS1_3genE4ELNS1_11target_archE910ELNS1_3gpuE8ELNS1_3repE0EEENS1_30default_config_static_selectorELNS0_4arch9wavefront6targetE1EEEvSK_
                                        ; -- End function
	.set _ZN7rocprim17ROCPRIM_400000_NS6detail17trampoline_kernelINS0_14default_configENS1_36segmented_radix_sort_config_selectorIilEEZNS1_25segmented_radix_sort_implIS3_Lb1EPKiPiPKlPlN2at6native12_GLOBAL__N_18offset_tEEE10hipError_tPvRmT1_PNSt15iterator_traitsISK_E10value_typeET2_T3_PNSL_ISQ_E10value_typeET4_jRbjT5_SW_jjP12ihipStream_tbEUlT_E2_NS1_11comp_targetILNS1_3genE4ELNS1_11target_archE910ELNS1_3gpuE8ELNS1_3repE0EEENS1_30default_config_static_selectorELNS0_4arch9wavefront6targetE1EEEvSK_.num_vgpr, 0
	.set _ZN7rocprim17ROCPRIM_400000_NS6detail17trampoline_kernelINS0_14default_configENS1_36segmented_radix_sort_config_selectorIilEEZNS1_25segmented_radix_sort_implIS3_Lb1EPKiPiPKlPlN2at6native12_GLOBAL__N_18offset_tEEE10hipError_tPvRmT1_PNSt15iterator_traitsISK_E10value_typeET2_T3_PNSL_ISQ_E10value_typeET4_jRbjT5_SW_jjP12ihipStream_tbEUlT_E2_NS1_11comp_targetILNS1_3genE4ELNS1_11target_archE910ELNS1_3gpuE8ELNS1_3repE0EEENS1_30default_config_static_selectorELNS0_4arch9wavefront6targetE1EEEvSK_.num_agpr, 0
	.set _ZN7rocprim17ROCPRIM_400000_NS6detail17trampoline_kernelINS0_14default_configENS1_36segmented_radix_sort_config_selectorIilEEZNS1_25segmented_radix_sort_implIS3_Lb1EPKiPiPKlPlN2at6native12_GLOBAL__N_18offset_tEEE10hipError_tPvRmT1_PNSt15iterator_traitsISK_E10value_typeET2_T3_PNSL_ISQ_E10value_typeET4_jRbjT5_SW_jjP12ihipStream_tbEUlT_E2_NS1_11comp_targetILNS1_3genE4ELNS1_11target_archE910ELNS1_3gpuE8ELNS1_3repE0EEENS1_30default_config_static_selectorELNS0_4arch9wavefront6targetE1EEEvSK_.numbered_sgpr, 0
	.set _ZN7rocprim17ROCPRIM_400000_NS6detail17trampoline_kernelINS0_14default_configENS1_36segmented_radix_sort_config_selectorIilEEZNS1_25segmented_radix_sort_implIS3_Lb1EPKiPiPKlPlN2at6native12_GLOBAL__N_18offset_tEEE10hipError_tPvRmT1_PNSt15iterator_traitsISK_E10value_typeET2_T3_PNSL_ISQ_E10value_typeET4_jRbjT5_SW_jjP12ihipStream_tbEUlT_E2_NS1_11comp_targetILNS1_3genE4ELNS1_11target_archE910ELNS1_3gpuE8ELNS1_3repE0EEENS1_30default_config_static_selectorELNS0_4arch9wavefront6targetE1EEEvSK_.num_named_barrier, 0
	.set _ZN7rocprim17ROCPRIM_400000_NS6detail17trampoline_kernelINS0_14default_configENS1_36segmented_radix_sort_config_selectorIilEEZNS1_25segmented_radix_sort_implIS3_Lb1EPKiPiPKlPlN2at6native12_GLOBAL__N_18offset_tEEE10hipError_tPvRmT1_PNSt15iterator_traitsISK_E10value_typeET2_T3_PNSL_ISQ_E10value_typeET4_jRbjT5_SW_jjP12ihipStream_tbEUlT_E2_NS1_11comp_targetILNS1_3genE4ELNS1_11target_archE910ELNS1_3gpuE8ELNS1_3repE0EEENS1_30default_config_static_selectorELNS0_4arch9wavefront6targetE1EEEvSK_.private_seg_size, 0
	.set _ZN7rocprim17ROCPRIM_400000_NS6detail17trampoline_kernelINS0_14default_configENS1_36segmented_radix_sort_config_selectorIilEEZNS1_25segmented_radix_sort_implIS3_Lb1EPKiPiPKlPlN2at6native12_GLOBAL__N_18offset_tEEE10hipError_tPvRmT1_PNSt15iterator_traitsISK_E10value_typeET2_T3_PNSL_ISQ_E10value_typeET4_jRbjT5_SW_jjP12ihipStream_tbEUlT_E2_NS1_11comp_targetILNS1_3genE4ELNS1_11target_archE910ELNS1_3gpuE8ELNS1_3repE0EEENS1_30default_config_static_selectorELNS0_4arch9wavefront6targetE1EEEvSK_.uses_vcc, 0
	.set _ZN7rocprim17ROCPRIM_400000_NS6detail17trampoline_kernelINS0_14default_configENS1_36segmented_radix_sort_config_selectorIilEEZNS1_25segmented_radix_sort_implIS3_Lb1EPKiPiPKlPlN2at6native12_GLOBAL__N_18offset_tEEE10hipError_tPvRmT1_PNSt15iterator_traitsISK_E10value_typeET2_T3_PNSL_ISQ_E10value_typeET4_jRbjT5_SW_jjP12ihipStream_tbEUlT_E2_NS1_11comp_targetILNS1_3genE4ELNS1_11target_archE910ELNS1_3gpuE8ELNS1_3repE0EEENS1_30default_config_static_selectorELNS0_4arch9wavefront6targetE1EEEvSK_.uses_flat_scratch, 0
	.set _ZN7rocprim17ROCPRIM_400000_NS6detail17trampoline_kernelINS0_14default_configENS1_36segmented_radix_sort_config_selectorIilEEZNS1_25segmented_radix_sort_implIS3_Lb1EPKiPiPKlPlN2at6native12_GLOBAL__N_18offset_tEEE10hipError_tPvRmT1_PNSt15iterator_traitsISK_E10value_typeET2_T3_PNSL_ISQ_E10value_typeET4_jRbjT5_SW_jjP12ihipStream_tbEUlT_E2_NS1_11comp_targetILNS1_3genE4ELNS1_11target_archE910ELNS1_3gpuE8ELNS1_3repE0EEENS1_30default_config_static_selectorELNS0_4arch9wavefront6targetE1EEEvSK_.has_dyn_sized_stack, 0
	.set _ZN7rocprim17ROCPRIM_400000_NS6detail17trampoline_kernelINS0_14default_configENS1_36segmented_radix_sort_config_selectorIilEEZNS1_25segmented_radix_sort_implIS3_Lb1EPKiPiPKlPlN2at6native12_GLOBAL__N_18offset_tEEE10hipError_tPvRmT1_PNSt15iterator_traitsISK_E10value_typeET2_T3_PNSL_ISQ_E10value_typeET4_jRbjT5_SW_jjP12ihipStream_tbEUlT_E2_NS1_11comp_targetILNS1_3genE4ELNS1_11target_archE910ELNS1_3gpuE8ELNS1_3repE0EEENS1_30default_config_static_selectorELNS0_4arch9wavefront6targetE1EEEvSK_.has_recursion, 0
	.set _ZN7rocprim17ROCPRIM_400000_NS6detail17trampoline_kernelINS0_14default_configENS1_36segmented_radix_sort_config_selectorIilEEZNS1_25segmented_radix_sort_implIS3_Lb1EPKiPiPKlPlN2at6native12_GLOBAL__N_18offset_tEEE10hipError_tPvRmT1_PNSt15iterator_traitsISK_E10value_typeET2_T3_PNSL_ISQ_E10value_typeET4_jRbjT5_SW_jjP12ihipStream_tbEUlT_E2_NS1_11comp_targetILNS1_3genE4ELNS1_11target_archE910ELNS1_3gpuE8ELNS1_3repE0EEENS1_30default_config_static_selectorELNS0_4arch9wavefront6targetE1EEEvSK_.has_indirect_call, 0
	.section	.AMDGPU.csdata,"",@progbits
; Kernel info:
; codeLenInByte = 0
; TotalNumSgprs: 4
; NumVgprs: 0
; ScratchSize: 0
; MemoryBound: 0
; FloatMode: 240
; IeeeMode: 1
; LDSByteSize: 0 bytes/workgroup (compile time only)
; SGPRBlocks: 0
; VGPRBlocks: 0
; NumSGPRsForWavesPerEU: 4
; NumVGPRsForWavesPerEU: 1
; Occupancy: 10
; WaveLimiterHint : 0
; COMPUTE_PGM_RSRC2:SCRATCH_EN: 0
; COMPUTE_PGM_RSRC2:USER_SGPR: 6
; COMPUTE_PGM_RSRC2:TRAP_HANDLER: 0
; COMPUTE_PGM_RSRC2:TGID_X_EN: 1
; COMPUTE_PGM_RSRC2:TGID_Y_EN: 0
; COMPUTE_PGM_RSRC2:TGID_Z_EN: 0
; COMPUTE_PGM_RSRC2:TIDIG_COMP_CNT: 0
	.section	.text._ZN7rocprim17ROCPRIM_400000_NS6detail17trampoline_kernelINS0_14default_configENS1_36segmented_radix_sort_config_selectorIilEEZNS1_25segmented_radix_sort_implIS3_Lb1EPKiPiPKlPlN2at6native12_GLOBAL__N_18offset_tEEE10hipError_tPvRmT1_PNSt15iterator_traitsISK_E10value_typeET2_T3_PNSL_ISQ_E10value_typeET4_jRbjT5_SW_jjP12ihipStream_tbEUlT_E2_NS1_11comp_targetILNS1_3genE3ELNS1_11target_archE908ELNS1_3gpuE7ELNS1_3repE0EEENS1_30default_config_static_selectorELNS0_4arch9wavefront6targetE1EEEvSK_,"axG",@progbits,_ZN7rocprim17ROCPRIM_400000_NS6detail17trampoline_kernelINS0_14default_configENS1_36segmented_radix_sort_config_selectorIilEEZNS1_25segmented_radix_sort_implIS3_Lb1EPKiPiPKlPlN2at6native12_GLOBAL__N_18offset_tEEE10hipError_tPvRmT1_PNSt15iterator_traitsISK_E10value_typeET2_T3_PNSL_ISQ_E10value_typeET4_jRbjT5_SW_jjP12ihipStream_tbEUlT_E2_NS1_11comp_targetILNS1_3genE3ELNS1_11target_archE908ELNS1_3gpuE7ELNS1_3repE0EEENS1_30default_config_static_selectorELNS0_4arch9wavefront6targetE1EEEvSK_,comdat
	.globl	_ZN7rocprim17ROCPRIM_400000_NS6detail17trampoline_kernelINS0_14default_configENS1_36segmented_radix_sort_config_selectorIilEEZNS1_25segmented_radix_sort_implIS3_Lb1EPKiPiPKlPlN2at6native12_GLOBAL__N_18offset_tEEE10hipError_tPvRmT1_PNSt15iterator_traitsISK_E10value_typeET2_T3_PNSL_ISQ_E10value_typeET4_jRbjT5_SW_jjP12ihipStream_tbEUlT_E2_NS1_11comp_targetILNS1_3genE3ELNS1_11target_archE908ELNS1_3gpuE7ELNS1_3repE0EEENS1_30default_config_static_selectorELNS0_4arch9wavefront6targetE1EEEvSK_ ; -- Begin function _ZN7rocprim17ROCPRIM_400000_NS6detail17trampoline_kernelINS0_14default_configENS1_36segmented_radix_sort_config_selectorIilEEZNS1_25segmented_radix_sort_implIS3_Lb1EPKiPiPKlPlN2at6native12_GLOBAL__N_18offset_tEEE10hipError_tPvRmT1_PNSt15iterator_traitsISK_E10value_typeET2_T3_PNSL_ISQ_E10value_typeET4_jRbjT5_SW_jjP12ihipStream_tbEUlT_E2_NS1_11comp_targetILNS1_3genE3ELNS1_11target_archE908ELNS1_3gpuE7ELNS1_3repE0EEENS1_30default_config_static_selectorELNS0_4arch9wavefront6targetE1EEEvSK_
	.p2align	8
	.type	_ZN7rocprim17ROCPRIM_400000_NS6detail17trampoline_kernelINS0_14default_configENS1_36segmented_radix_sort_config_selectorIilEEZNS1_25segmented_radix_sort_implIS3_Lb1EPKiPiPKlPlN2at6native12_GLOBAL__N_18offset_tEEE10hipError_tPvRmT1_PNSt15iterator_traitsISK_E10value_typeET2_T3_PNSL_ISQ_E10value_typeET4_jRbjT5_SW_jjP12ihipStream_tbEUlT_E2_NS1_11comp_targetILNS1_3genE3ELNS1_11target_archE908ELNS1_3gpuE7ELNS1_3repE0EEENS1_30default_config_static_selectorELNS0_4arch9wavefront6targetE1EEEvSK_,@function
_ZN7rocprim17ROCPRIM_400000_NS6detail17trampoline_kernelINS0_14default_configENS1_36segmented_radix_sort_config_selectorIilEEZNS1_25segmented_radix_sort_implIS3_Lb1EPKiPiPKlPlN2at6native12_GLOBAL__N_18offset_tEEE10hipError_tPvRmT1_PNSt15iterator_traitsISK_E10value_typeET2_T3_PNSL_ISQ_E10value_typeET4_jRbjT5_SW_jjP12ihipStream_tbEUlT_E2_NS1_11comp_targetILNS1_3genE3ELNS1_11target_archE908ELNS1_3gpuE7ELNS1_3repE0EEENS1_30default_config_static_selectorELNS0_4arch9wavefront6targetE1EEEvSK_: ; @_ZN7rocprim17ROCPRIM_400000_NS6detail17trampoline_kernelINS0_14default_configENS1_36segmented_radix_sort_config_selectorIilEEZNS1_25segmented_radix_sort_implIS3_Lb1EPKiPiPKlPlN2at6native12_GLOBAL__N_18offset_tEEE10hipError_tPvRmT1_PNSt15iterator_traitsISK_E10value_typeET2_T3_PNSL_ISQ_E10value_typeET4_jRbjT5_SW_jjP12ihipStream_tbEUlT_E2_NS1_11comp_targetILNS1_3genE3ELNS1_11target_archE908ELNS1_3gpuE7ELNS1_3repE0EEENS1_30default_config_static_selectorELNS0_4arch9wavefront6targetE1EEEvSK_
; %bb.0:
	.section	.rodata,"a",@progbits
	.p2align	6, 0x0
	.amdhsa_kernel _ZN7rocprim17ROCPRIM_400000_NS6detail17trampoline_kernelINS0_14default_configENS1_36segmented_radix_sort_config_selectorIilEEZNS1_25segmented_radix_sort_implIS3_Lb1EPKiPiPKlPlN2at6native12_GLOBAL__N_18offset_tEEE10hipError_tPvRmT1_PNSt15iterator_traitsISK_E10value_typeET2_T3_PNSL_ISQ_E10value_typeET4_jRbjT5_SW_jjP12ihipStream_tbEUlT_E2_NS1_11comp_targetILNS1_3genE3ELNS1_11target_archE908ELNS1_3gpuE7ELNS1_3repE0EEENS1_30default_config_static_selectorELNS0_4arch9wavefront6targetE1EEEvSK_
		.amdhsa_group_segment_fixed_size 0
		.amdhsa_private_segment_fixed_size 0
		.amdhsa_kernarg_size 80
		.amdhsa_user_sgpr_count 6
		.amdhsa_user_sgpr_private_segment_buffer 1
		.amdhsa_user_sgpr_dispatch_ptr 0
		.amdhsa_user_sgpr_queue_ptr 0
		.amdhsa_user_sgpr_kernarg_segment_ptr 1
		.amdhsa_user_sgpr_dispatch_id 0
		.amdhsa_user_sgpr_flat_scratch_init 0
		.amdhsa_user_sgpr_private_segment_size 0
		.amdhsa_uses_dynamic_stack 0
		.amdhsa_system_sgpr_private_segment_wavefront_offset 0
		.amdhsa_system_sgpr_workgroup_id_x 1
		.amdhsa_system_sgpr_workgroup_id_y 0
		.amdhsa_system_sgpr_workgroup_id_z 0
		.amdhsa_system_sgpr_workgroup_info 0
		.amdhsa_system_vgpr_workitem_id 0
		.amdhsa_next_free_vgpr 1
		.amdhsa_next_free_sgpr 0
		.amdhsa_reserve_vcc 0
		.amdhsa_reserve_flat_scratch 0
		.amdhsa_float_round_mode_32 0
		.amdhsa_float_round_mode_16_64 0
		.amdhsa_float_denorm_mode_32 3
		.amdhsa_float_denorm_mode_16_64 3
		.amdhsa_dx10_clamp 1
		.amdhsa_ieee_mode 1
		.amdhsa_fp16_overflow 0
		.amdhsa_exception_fp_ieee_invalid_op 0
		.amdhsa_exception_fp_denorm_src 0
		.amdhsa_exception_fp_ieee_div_zero 0
		.amdhsa_exception_fp_ieee_overflow 0
		.amdhsa_exception_fp_ieee_underflow 0
		.amdhsa_exception_fp_ieee_inexact 0
		.amdhsa_exception_int_div_zero 0
	.end_amdhsa_kernel
	.section	.text._ZN7rocprim17ROCPRIM_400000_NS6detail17trampoline_kernelINS0_14default_configENS1_36segmented_radix_sort_config_selectorIilEEZNS1_25segmented_radix_sort_implIS3_Lb1EPKiPiPKlPlN2at6native12_GLOBAL__N_18offset_tEEE10hipError_tPvRmT1_PNSt15iterator_traitsISK_E10value_typeET2_T3_PNSL_ISQ_E10value_typeET4_jRbjT5_SW_jjP12ihipStream_tbEUlT_E2_NS1_11comp_targetILNS1_3genE3ELNS1_11target_archE908ELNS1_3gpuE7ELNS1_3repE0EEENS1_30default_config_static_selectorELNS0_4arch9wavefront6targetE1EEEvSK_,"axG",@progbits,_ZN7rocprim17ROCPRIM_400000_NS6detail17trampoline_kernelINS0_14default_configENS1_36segmented_radix_sort_config_selectorIilEEZNS1_25segmented_radix_sort_implIS3_Lb1EPKiPiPKlPlN2at6native12_GLOBAL__N_18offset_tEEE10hipError_tPvRmT1_PNSt15iterator_traitsISK_E10value_typeET2_T3_PNSL_ISQ_E10value_typeET4_jRbjT5_SW_jjP12ihipStream_tbEUlT_E2_NS1_11comp_targetILNS1_3genE3ELNS1_11target_archE908ELNS1_3gpuE7ELNS1_3repE0EEENS1_30default_config_static_selectorELNS0_4arch9wavefront6targetE1EEEvSK_,comdat
.Lfunc_end530:
	.size	_ZN7rocprim17ROCPRIM_400000_NS6detail17trampoline_kernelINS0_14default_configENS1_36segmented_radix_sort_config_selectorIilEEZNS1_25segmented_radix_sort_implIS3_Lb1EPKiPiPKlPlN2at6native12_GLOBAL__N_18offset_tEEE10hipError_tPvRmT1_PNSt15iterator_traitsISK_E10value_typeET2_T3_PNSL_ISQ_E10value_typeET4_jRbjT5_SW_jjP12ihipStream_tbEUlT_E2_NS1_11comp_targetILNS1_3genE3ELNS1_11target_archE908ELNS1_3gpuE7ELNS1_3repE0EEENS1_30default_config_static_selectorELNS0_4arch9wavefront6targetE1EEEvSK_, .Lfunc_end530-_ZN7rocprim17ROCPRIM_400000_NS6detail17trampoline_kernelINS0_14default_configENS1_36segmented_radix_sort_config_selectorIilEEZNS1_25segmented_radix_sort_implIS3_Lb1EPKiPiPKlPlN2at6native12_GLOBAL__N_18offset_tEEE10hipError_tPvRmT1_PNSt15iterator_traitsISK_E10value_typeET2_T3_PNSL_ISQ_E10value_typeET4_jRbjT5_SW_jjP12ihipStream_tbEUlT_E2_NS1_11comp_targetILNS1_3genE3ELNS1_11target_archE908ELNS1_3gpuE7ELNS1_3repE0EEENS1_30default_config_static_selectorELNS0_4arch9wavefront6targetE1EEEvSK_
                                        ; -- End function
	.set _ZN7rocprim17ROCPRIM_400000_NS6detail17trampoline_kernelINS0_14default_configENS1_36segmented_radix_sort_config_selectorIilEEZNS1_25segmented_radix_sort_implIS3_Lb1EPKiPiPKlPlN2at6native12_GLOBAL__N_18offset_tEEE10hipError_tPvRmT1_PNSt15iterator_traitsISK_E10value_typeET2_T3_PNSL_ISQ_E10value_typeET4_jRbjT5_SW_jjP12ihipStream_tbEUlT_E2_NS1_11comp_targetILNS1_3genE3ELNS1_11target_archE908ELNS1_3gpuE7ELNS1_3repE0EEENS1_30default_config_static_selectorELNS0_4arch9wavefront6targetE1EEEvSK_.num_vgpr, 0
	.set _ZN7rocprim17ROCPRIM_400000_NS6detail17trampoline_kernelINS0_14default_configENS1_36segmented_radix_sort_config_selectorIilEEZNS1_25segmented_radix_sort_implIS3_Lb1EPKiPiPKlPlN2at6native12_GLOBAL__N_18offset_tEEE10hipError_tPvRmT1_PNSt15iterator_traitsISK_E10value_typeET2_T3_PNSL_ISQ_E10value_typeET4_jRbjT5_SW_jjP12ihipStream_tbEUlT_E2_NS1_11comp_targetILNS1_3genE3ELNS1_11target_archE908ELNS1_3gpuE7ELNS1_3repE0EEENS1_30default_config_static_selectorELNS0_4arch9wavefront6targetE1EEEvSK_.num_agpr, 0
	.set _ZN7rocprim17ROCPRIM_400000_NS6detail17trampoline_kernelINS0_14default_configENS1_36segmented_radix_sort_config_selectorIilEEZNS1_25segmented_radix_sort_implIS3_Lb1EPKiPiPKlPlN2at6native12_GLOBAL__N_18offset_tEEE10hipError_tPvRmT1_PNSt15iterator_traitsISK_E10value_typeET2_T3_PNSL_ISQ_E10value_typeET4_jRbjT5_SW_jjP12ihipStream_tbEUlT_E2_NS1_11comp_targetILNS1_3genE3ELNS1_11target_archE908ELNS1_3gpuE7ELNS1_3repE0EEENS1_30default_config_static_selectorELNS0_4arch9wavefront6targetE1EEEvSK_.numbered_sgpr, 0
	.set _ZN7rocprim17ROCPRIM_400000_NS6detail17trampoline_kernelINS0_14default_configENS1_36segmented_radix_sort_config_selectorIilEEZNS1_25segmented_radix_sort_implIS3_Lb1EPKiPiPKlPlN2at6native12_GLOBAL__N_18offset_tEEE10hipError_tPvRmT1_PNSt15iterator_traitsISK_E10value_typeET2_T3_PNSL_ISQ_E10value_typeET4_jRbjT5_SW_jjP12ihipStream_tbEUlT_E2_NS1_11comp_targetILNS1_3genE3ELNS1_11target_archE908ELNS1_3gpuE7ELNS1_3repE0EEENS1_30default_config_static_selectorELNS0_4arch9wavefront6targetE1EEEvSK_.num_named_barrier, 0
	.set _ZN7rocprim17ROCPRIM_400000_NS6detail17trampoline_kernelINS0_14default_configENS1_36segmented_radix_sort_config_selectorIilEEZNS1_25segmented_radix_sort_implIS3_Lb1EPKiPiPKlPlN2at6native12_GLOBAL__N_18offset_tEEE10hipError_tPvRmT1_PNSt15iterator_traitsISK_E10value_typeET2_T3_PNSL_ISQ_E10value_typeET4_jRbjT5_SW_jjP12ihipStream_tbEUlT_E2_NS1_11comp_targetILNS1_3genE3ELNS1_11target_archE908ELNS1_3gpuE7ELNS1_3repE0EEENS1_30default_config_static_selectorELNS0_4arch9wavefront6targetE1EEEvSK_.private_seg_size, 0
	.set _ZN7rocprim17ROCPRIM_400000_NS6detail17trampoline_kernelINS0_14default_configENS1_36segmented_radix_sort_config_selectorIilEEZNS1_25segmented_radix_sort_implIS3_Lb1EPKiPiPKlPlN2at6native12_GLOBAL__N_18offset_tEEE10hipError_tPvRmT1_PNSt15iterator_traitsISK_E10value_typeET2_T3_PNSL_ISQ_E10value_typeET4_jRbjT5_SW_jjP12ihipStream_tbEUlT_E2_NS1_11comp_targetILNS1_3genE3ELNS1_11target_archE908ELNS1_3gpuE7ELNS1_3repE0EEENS1_30default_config_static_selectorELNS0_4arch9wavefront6targetE1EEEvSK_.uses_vcc, 0
	.set _ZN7rocprim17ROCPRIM_400000_NS6detail17trampoline_kernelINS0_14default_configENS1_36segmented_radix_sort_config_selectorIilEEZNS1_25segmented_radix_sort_implIS3_Lb1EPKiPiPKlPlN2at6native12_GLOBAL__N_18offset_tEEE10hipError_tPvRmT1_PNSt15iterator_traitsISK_E10value_typeET2_T3_PNSL_ISQ_E10value_typeET4_jRbjT5_SW_jjP12ihipStream_tbEUlT_E2_NS1_11comp_targetILNS1_3genE3ELNS1_11target_archE908ELNS1_3gpuE7ELNS1_3repE0EEENS1_30default_config_static_selectorELNS0_4arch9wavefront6targetE1EEEvSK_.uses_flat_scratch, 0
	.set _ZN7rocprim17ROCPRIM_400000_NS6detail17trampoline_kernelINS0_14default_configENS1_36segmented_radix_sort_config_selectorIilEEZNS1_25segmented_radix_sort_implIS3_Lb1EPKiPiPKlPlN2at6native12_GLOBAL__N_18offset_tEEE10hipError_tPvRmT1_PNSt15iterator_traitsISK_E10value_typeET2_T3_PNSL_ISQ_E10value_typeET4_jRbjT5_SW_jjP12ihipStream_tbEUlT_E2_NS1_11comp_targetILNS1_3genE3ELNS1_11target_archE908ELNS1_3gpuE7ELNS1_3repE0EEENS1_30default_config_static_selectorELNS0_4arch9wavefront6targetE1EEEvSK_.has_dyn_sized_stack, 0
	.set _ZN7rocprim17ROCPRIM_400000_NS6detail17trampoline_kernelINS0_14default_configENS1_36segmented_radix_sort_config_selectorIilEEZNS1_25segmented_radix_sort_implIS3_Lb1EPKiPiPKlPlN2at6native12_GLOBAL__N_18offset_tEEE10hipError_tPvRmT1_PNSt15iterator_traitsISK_E10value_typeET2_T3_PNSL_ISQ_E10value_typeET4_jRbjT5_SW_jjP12ihipStream_tbEUlT_E2_NS1_11comp_targetILNS1_3genE3ELNS1_11target_archE908ELNS1_3gpuE7ELNS1_3repE0EEENS1_30default_config_static_selectorELNS0_4arch9wavefront6targetE1EEEvSK_.has_recursion, 0
	.set _ZN7rocprim17ROCPRIM_400000_NS6detail17trampoline_kernelINS0_14default_configENS1_36segmented_radix_sort_config_selectorIilEEZNS1_25segmented_radix_sort_implIS3_Lb1EPKiPiPKlPlN2at6native12_GLOBAL__N_18offset_tEEE10hipError_tPvRmT1_PNSt15iterator_traitsISK_E10value_typeET2_T3_PNSL_ISQ_E10value_typeET4_jRbjT5_SW_jjP12ihipStream_tbEUlT_E2_NS1_11comp_targetILNS1_3genE3ELNS1_11target_archE908ELNS1_3gpuE7ELNS1_3repE0EEENS1_30default_config_static_selectorELNS0_4arch9wavefront6targetE1EEEvSK_.has_indirect_call, 0
	.section	.AMDGPU.csdata,"",@progbits
; Kernel info:
; codeLenInByte = 0
; TotalNumSgprs: 4
; NumVgprs: 0
; ScratchSize: 0
; MemoryBound: 0
; FloatMode: 240
; IeeeMode: 1
; LDSByteSize: 0 bytes/workgroup (compile time only)
; SGPRBlocks: 0
; VGPRBlocks: 0
; NumSGPRsForWavesPerEU: 4
; NumVGPRsForWavesPerEU: 1
; Occupancy: 10
; WaveLimiterHint : 0
; COMPUTE_PGM_RSRC2:SCRATCH_EN: 0
; COMPUTE_PGM_RSRC2:USER_SGPR: 6
; COMPUTE_PGM_RSRC2:TRAP_HANDLER: 0
; COMPUTE_PGM_RSRC2:TGID_X_EN: 1
; COMPUTE_PGM_RSRC2:TGID_Y_EN: 0
; COMPUTE_PGM_RSRC2:TGID_Z_EN: 0
; COMPUTE_PGM_RSRC2:TIDIG_COMP_CNT: 0
	.section	.text._ZN7rocprim17ROCPRIM_400000_NS6detail17trampoline_kernelINS0_14default_configENS1_36segmented_radix_sort_config_selectorIilEEZNS1_25segmented_radix_sort_implIS3_Lb1EPKiPiPKlPlN2at6native12_GLOBAL__N_18offset_tEEE10hipError_tPvRmT1_PNSt15iterator_traitsISK_E10value_typeET2_T3_PNSL_ISQ_E10value_typeET4_jRbjT5_SW_jjP12ihipStream_tbEUlT_E2_NS1_11comp_targetILNS1_3genE2ELNS1_11target_archE906ELNS1_3gpuE6ELNS1_3repE0EEENS1_30default_config_static_selectorELNS0_4arch9wavefront6targetE1EEEvSK_,"axG",@progbits,_ZN7rocprim17ROCPRIM_400000_NS6detail17trampoline_kernelINS0_14default_configENS1_36segmented_radix_sort_config_selectorIilEEZNS1_25segmented_radix_sort_implIS3_Lb1EPKiPiPKlPlN2at6native12_GLOBAL__N_18offset_tEEE10hipError_tPvRmT1_PNSt15iterator_traitsISK_E10value_typeET2_T3_PNSL_ISQ_E10value_typeET4_jRbjT5_SW_jjP12ihipStream_tbEUlT_E2_NS1_11comp_targetILNS1_3genE2ELNS1_11target_archE906ELNS1_3gpuE6ELNS1_3repE0EEENS1_30default_config_static_selectorELNS0_4arch9wavefront6targetE1EEEvSK_,comdat
	.globl	_ZN7rocprim17ROCPRIM_400000_NS6detail17trampoline_kernelINS0_14default_configENS1_36segmented_radix_sort_config_selectorIilEEZNS1_25segmented_radix_sort_implIS3_Lb1EPKiPiPKlPlN2at6native12_GLOBAL__N_18offset_tEEE10hipError_tPvRmT1_PNSt15iterator_traitsISK_E10value_typeET2_T3_PNSL_ISQ_E10value_typeET4_jRbjT5_SW_jjP12ihipStream_tbEUlT_E2_NS1_11comp_targetILNS1_3genE2ELNS1_11target_archE906ELNS1_3gpuE6ELNS1_3repE0EEENS1_30default_config_static_selectorELNS0_4arch9wavefront6targetE1EEEvSK_ ; -- Begin function _ZN7rocprim17ROCPRIM_400000_NS6detail17trampoline_kernelINS0_14default_configENS1_36segmented_radix_sort_config_selectorIilEEZNS1_25segmented_radix_sort_implIS3_Lb1EPKiPiPKlPlN2at6native12_GLOBAL__N_18offset_tEEE10hipError_tPvRmT1_PNSt15iterator_traitsISK_E10value_typeET2_T3_PNSL_ISQ_E10value_typeET4_jRbjT5_SW_jjP12ihipStream_tbEUlT_E2_NS1_11comp_targetILNS1_3genE2ELNS1_11target_archE906ELNS1_3gpuE6ELNS1_3repE0EEENS1_30default_config_static_selectorELNS0_4arch9wavefront6targetE1EEEvSK_
	.p2align	8
	.type	_ZN7rocprim17ROCPRIM_400000_NS6detail17trampoline_kernelINS0_14default_configENS1_36segmented_radix_sort_config_selectorIilEEZNS1_25segmented_radix_sort_implIS3_Lb1EPKiPiPKlPlN2at6native12_GLOBAL__N_18offset_tEEE10hipError_tPvRmT1_PNSt15iterator_traitsISK_E10value_typeET2_T3_PNSL_ISQ_E10value_typeET4_jRbjT5_SW_jjP12ihipStream_tbEUlT_E2_NS1_11comp_targetILNS1_3genE2ELNS1_11target_archE906ELNS1_3gpuE6ELNS1_3repE0EEENS1_30default_config_static_selectorELNS0_4arch9wavefront6targetE1EEEvSK_,@function
_ZN7rocprim17ROCPRIM_400000_NS6detail17trampoline_kernelINS0_14default_configENS1_36segmented_radix_sort_config_selectorIilEEZNS1_25segmented_radix_sort_implIS3_Lb1EPKiPiPKlPlN2at6native12_GLOBAL__N_18offset_tEEE10hipError_tPvRmT1_PNSt15iterator_traitsISK_E10value_typeET2_T3_PNSL_ISQ_E10value_typeET4_jRbjT5_SW_jjP12ihipStream_tbEUlT_E2_NS1_11comp_targetILNS1_3genE2ELNS1_11target_archE906ELNS1_3gpuE6ELNS1_3repE0EEENS1_30default_config_static_selectorELNS0_4arch9wavefront6targetE1EEEvSK_: ; @_ZN7rocprim17ROCPRIM_400000_NS6detail17trampoline_kernelINS0_14default_configENS1_36segmented_radix_sort_config_selectorIilEEZNS1_25segmented_radix_sort_implIS3_Lb1EPKiPiPKlPlN2at6native12_GLOBAL__N_18offset_tEEE10hipError_tPvRmT1_PNSt15iterator_traitsISK_E10value_typeET2_T3_PNSL_ISQ_E10value_typeET4_jRbjT5_SW_jjP12ihipStream_tbEUlT_E2_NS1_11comp_targetILNS1_3genE2ELNS1_11target_archE906ELNS1_3gpuE6ELNS1_3repE0EEENS1_30default_config_static_selectorELNS0_4arch9wavefront6targetE1EEEvSK_
; %bb.0:
	s_add_u32 s0, s0, s8
	s_load_dwordx4 s[8:11], s[4:5], 0x34
	s_addc_u32 s1, s1, 0
	s_mov_b32 s32, 0
	s_waitcnt lgkmcnt(0)
	s_add_i32 s51, s9, s6
	s_add_i32 s63, s11, s6
	s_mul_i32 s51, s51, s8
	s_mul_i32 s63, s63, s10
	s_cmp_le_u32 s63, s51
	s_cbranch_scc1 .LBB531_678
; %bb.1:
	s_mov_b32 s50, s6
	s_load_dword s6, s[4:5], 0x30
	s_load_dwordx4 s[72:75], s[4:5], 0x20
	s_load_dwordx4 s[76:79], s[4:5], 0x44
	s_load_dwordx8 s[64:71], s[4:5], 0x0
	s_mov_b32 s33, s7
	s_waitcnt lgkmcnt(0)
	s_bitcmp1_b32 s6, 0
	s_cselect_b64 s[54:55], -1, 0
	s_sub_i32 s79, s63, s51
	s_cmpk_lt_u32 s79, 0x801
	s_mov_b64 s[6:7], -1
	s_cbranch_scc0 .LBB531_15
; %bb.2:
	s_cmp_lt_u32 s79, 33
	s_cbranch_scc0 .LBB531_9
; %bb.3:
	s_load_dword s6, s[4:5], 0x5c
	s_waitcnt lgkmcnt(0)
	s_lshr_b32 s7, s6, 16
	s_and_b32 s6, s6, 0xffff
	v_mad_u32_u24 v3, v2, s7, v1
	v_mad_u64_u32 v[3:4], s[6:7], v3, s6, v[0:1]
	v_cmp_gt_u32_e32 vcc, 8, v3
	s_and_saveexec_b64 s[34:35], vcc
	s_cbranch_execz .LBB531_8
; %bb.4:
	s_and_b32 s6, s76, 1
	v_cndmask_b32_e64 v3, 0, 1, s[54:55]
	v_cmp_ne_u32_e32 vcc, s6, v3
	s_mov_b64 s[6:7], -1
	s_cbranch_vccnz .LBB531_6
; %bb.5:
	s_add_u32 s8, s4, 0x50
	s_mov_b64 s[6:7], src_shared_base
	s_addc_u32 s9, s5, 0
	v_lshlrev_b32_e32 v3, 20, v2
	v_lshlrev_b32_e32 v4, 10, v1
	s_getpc_b64 s[10:11]
	s_add_u32 s10, s10, _ZN7rocprim17ROCPRIM_400000_NS6detail26segmented_warp_sort_helperINS1_20WarpSortHelperConfigILj8ELj4ELj256EEEilLi256ELb1EvE4sortIPKiPiPKlPlEEvT_T0_T1_T2_jjjjRNS5_12storage_typeE@rel32@lo+4
	s_addc_u32 s11, s11, _ZN7rocprim17ROCPRIM_400000_NS6detail26segmented_warp_sort_helperINS1_20WarpSortHelperConfigILj8ELj4ELj256EEEilLi256ELb1EvE4sortIPKiPiPKlPlEEvT_T0_T1_T2_jjjjRNS5_12storage_typeE@rel32@hi+12
	v_or3_b32 v31, v0, v4, v3
	s_mov_b32 s12, s50
	s_mov_b32 s13, s33
	v_mov_b32_e32 v40, v0
	v_mov_b32_e32 v0, s64
	;; [unrolled: 1-line block ×17, first 2 shown]
	s_mov_b64 s[36:37], s[4:5]
	s_swappc_b64 s[30:31], s[10:11]
	v_mov_b32_e32 v1, v41
	v_mov_b32_e32 v2, v42
	;; [unrolled: 1-line block ×3, first 2 shown]
	s_mov_b64 s[4:5], s[36:37]
	s_mov_b64 s[6:7], 0
.LBB531_6:
	s_andn2_b64 vcc, exec, s[6:7]
	s_cbranch_vccnz .LBB531_8
; %bb.7:
	s_add_u32 s8, s4, 0x50
	s_mov_b64 s[6:7], src_shared_base
	s_addc_u32 s9, s5, 0
	v_lshlrev_b32_e32 v3, 20, v2
	v_lshlrev_b32_e32 v4, 10, v1
	s_getpc_b64 s[10:11]
	s_add_u32 s10, s10, _ZN7rocprim17ROCPRIM_400000_NS6detail26segmented_warp_sort_helperINS1_20WarpSortHelperConfigILj8ELj4ELj256EEEilLi256ELb1EvE4sortIPKiPiPKlPlEEvT_T0_T1_T2_jjjjRNS5_12storage_typeE@rel32@lo+4
	s_addc_u32 s11, s11, _ZN7rocprim17ROCPRIM_400000_NS6detail26segmented_warp_sort_helperINS1_20WarpSortHelperConfigILj8ELj4ELj256EEEilLi256ELb1EvE4sortIPKiPiPKlPlEEvT_T0_T1_T2_jjjjRNS5_12storage_typeE@rel32@hi+12
	v_or3_b32 v31, v0, v4, v3
	s_mov_b32 s12, s50
	s_mov_b32 s13, s33
	v_mov_b32_e32 v40, v0
	v_mov_b32_e32 v0, s64
	;; [unrolled: 1-line block ×17, first 2 shown]
	s_mov_b64 s[36:37], s[4:5]
	s_swappc_b64 s[30:31], s[10:11]
	v_mov_b32_e32 v1, v41
	v_mov_b32_e32 v2, v42
	;; [unrolled: 1-line block ×3, first 2 shown]
	s_mov_b64 s[4:5], s[36:37]
.LBB531_8:
	s_or_b64 exec, exec, s[34:35]
	s_mov_b64 s[6:7], 0
.LBB531_9:
	s_andn2_b64 vcc, exec, s[6:7]
	s_cbranch_vccnz .LBB531_14
; %bb.10:
	s_and_b32 s6, s76, 1
	v_cndmask_b32_e64 v3, 0, 1, s[54:55]
	v_cmp_ne_u32_e32 vcc, s6, v3
	s_mov_b64 s[6:7], -1
	v_lshlrev_b32_e32 v41, 20, v2
	v_lshlrev_b32_e32 v42, 10, v1
	s_cbranch_vccnz .LBB531_12
; %bb.11:
	s_add_u32 s8, s4, 0x50
	s_mov_b64 s[6:7], src_shared_base
	s_addc_u32 s9, s5, 0
	s_getpc_b64 s[10:11]
	s_add_u32 s10, s10, _ZN7rocprim17ROCPRIM_400000_NS6detail40segmented_radix_sort_single_block_helperIilLj256ELj8ELb1EE4sortIPKiPiPKlPlEEbT_T0_T1_T2_jjjjRNS3_12storage_typeE@rel32@lo+4
	s_addc_u32 s11, s11, _ZN7rocprim17ROCPRIM_400000_NS6detail40segmented_radix_sort_single_block_helperIilLj256ELj8ELb1EE4sortIPKiPiPKlPlEEbT_T0_T1_T2_jjjjRNS3_12storage_typeE@rel32@hi+12
	v_or3_b32 v31, v0, v42, v41
	s_mov_b32 s12, s50
	s_mov_b32 s13, s33
	v_mov_b32_e32 v40, v0
	v_mov_b32_e32 v0, s64
	;; [unrolled: 1-line block ×17, first 2 shown]
	s_mov_b64 s[34:35], s[4:5]
	s_swappc_b64 s[30:31], s[10:11]
	v_mov_b32_e32 v1, v43
	v_mov_b32_e32 v2, v44
	;; [unrolled: 1-line block ×3, first 2 shown]
	s_mov_b64 s[4:5], s[34:35]
	s_mov_b64 s[6:7], 0
.LBB531_12:
	s_andn2_b64 vcc, exec, s[6:7]
	s_cbranch_vccnz .LBB531_14
; %bb.13:
	s_add_u32 s8, s4, 0x50
	s_mov_b64 s[6:7], src_shared_base
	s_addc_u32 s9, s5, 0
	s_getpc_b64 s[10:11]
	s_add_u32 s10, s10, _ZN7rocprim17ROCPRIM_400000_NS6detail40segmented_radix_sort_single_block_helperIilLj256ELj8ELb1EE4sortIPKiPiPKlPlEEbT_T0_T1_T2_jjjjRNS3_12storage_typeE@rel32@lo+4
	s_addc_u32 s11, s11, _ZN7rocprim17ROCPRIM_400000_NS6detail40segmented_radix_sort_single_block_helperIilLj256ELj8ELb1EE4sortIPKiPiPKlPlEEbT_T0_T1_T2_jjjjRNS3_12storage_typeE@rel32@hi+12
	v_or3_b32 v31, v0, v42, v41
	s_mov_b32 s12, s50
	s_mov_b32 s13, s33
	v_mov_b32_e32 v40, v0
	v_mov_b32_e32 v0, s64
	;; [unrolled: 1-line block ×17, first 2 shown]
	s_mov_b64 s[34:35], s[4:5]
	s_swappc_b64 s[30:31], s[10:11]
	v_mov_b32_e32 v1, v41
	v_mov_b32_e32 v2, v42
	;; [unrolled: 1-line block ×3, first 2 shown]
	s_mov_b64 s[4:5], s[34:35]
.LBB531_14:
	s_mov_b64 s[6:7], 0
.LBB531_15:
	s_andn2_b64 vcc, exec, s[6:7]
	s_cbranch_vccnz .LBB531_678
; %bb.16:
	s_cmp_ge_u32 s77, s78
	s_cbranch_scc1 .LBB531_678
; %bb.17:
	v_and_b32_e32 v4, 3, v0
	s_movk_i32 s6, 0x100
	v_lshlrev_b32_e32 v42, 2, v4
	v_or_b32_e32 v4, 63, v0
	v_lshlrev_b32_e32 v32, 2, v0
	s_mov_b64 s[12:13], s[4:5]
	v_cmp_gt_u32_e64 s[4:5], s6, v0
	v_cmp_eq_u32_e64 s[6:7], v0, v4
	v_lshrrev_b32_e32 v4, 4, v0
	v_mov_b32_e32 v5, s69
	v_add_co_u32_e32 v36, vcc, s68, v32
	v_mad_u32_u24 v43, v0, 12, v32
	v_and_b32_e32 v44, 12, v4
	v_lshlrev_b32_e32 v4, 3, v0
	v_addc_co_u32_e32 v37, vcc, 0, v5, vcc
	v_and_b32_e32 v4, 0x600, v4
	v_add_u32_e32 v48, v43, v32
	v_lshlrev_b32_e32 v5, 4, v0
	v_sub_u32_e32 v49, v48, v5
	v_lshlrev_b32_e32 v5, 3, v4
	v_mov_b32_e32 v6, s75
	v_add_co_u32_e32 v50, vcc, s74, v5
	v_addc_co_u32_e32 v51, vcc, 0, v6, vcc
	v_lshlrev_b32_e32 v6, 2, v4
	v_mov_b32_e32 v7, s69
	v_add_co_u32_e32 v52, vcc, s68, v6
	v_addc_co_u32_e32 v53, vcc, 0, v7, vcc
	v_mov_b32_e32 v7, s67
	v_add_co_u32_e32 v54, vcc, s66, v32
	v_addc_co_u32_e32 v55, vcc, 0, v7, vcc
	;; [unrolled: 3-line block ×7, first 2 shown]
	v_mbcnt_lo_u32_b32 v5, -1, 0
	v_mbcnt_hi_u32_b32 v72, -1, v5
	v_and_b32_e32 v78, 63, v72
	v_or_b32_e32 v38, 0x400, v0
	v_or_b32_e32 v39, 0x500, v0
	;; [unrolled: 1-line block ×4, first 2 shown]
	s_add_u32 s56, s12, 0x50
	s_movk_i32 s14, 0xff
	v_or_b32_e32 v80, v78, v4
	v_mov_b32_e32 v3, 0
	v_or_b32_e32 v33, 0x100, v0
	v_or_b32_e32 v34, 0x200, v0
	;; [unrolled: 1-line block ×4, first 2 shown]
	v_cmp_gt_u32_e64 s[8:9], 4, v0
	v_or_b32_e32 v46, 0x4400, v32
	v_cmp_lt_u32_e64 s[10:11], 63, v0
	v_add_u32_e32 v47, 0x43fc, v44
	s_addc_u32 s57, s13, 0
	s_mov_b32 s59, 0
	v_cmp_eq_u32_e64 s[12:13], 0, v0
	v_cmp_ne_u32_e64 s[14:15], s14, v0
	v_mov_b32_e32 v66, 1
	v_lshlrev_b32_e32 v67, 2, v0
	v_lshlrev_b32_e32 v68, 2, v38
	;; [unrolled: 1-line block ×5, first 2 shown]
	v_and_b32_e32 v73, 15, v72
	v_bfe_i32 v74, v72, 4, 1
	v_and_b32_e32 v75, 16, v72
	v_and_b32_e32 v76, 3, v72
	;; [unrolled: 1-line block ×3, first 2 shown]
	v_lshlrev_b32_e32 v79, 3, v78
	v_or_b32_e32 v81, 64, v80
	v_or_b32_e32 v82, 0x80, v80
	;; [unrolled: 1-line block ×3, first 2 shown]
	v_bfrev_b32_e32 v11, 1
	s_mov_b32 s62, s77
	s_branch .LBB531_20
.LBB531_18:                             ;   in Loop: Header=BB531_20 Depth=1
	s_waitcnt lgkmcnt(0)
	s_barrier
.LBB531_19:                             ;   in Loop: Header=BB531_20 Depth=1
	s_add_i32 s62, s62, 8
	s_cmp_ge_u32 s62, s78
	s_cbranch_scc1 .LBB531_678
.LBB531_20:                             ; =>This Loop Header: Depth=1
                                        ;     Child Loop BB531_24 Depth 2
                                        ;     Child Loop BB531_72 Depth 2
	;; [unrolled: 1-line block ×8, first 2 shown]
	s_sub_i32 s16, s78, s62
	s_min_u32 s16, s16, 8
	s_lshl_b32 s16, -1, s16
	s_xor_b64 s[54:55], s[54:55], -1
	s_not_b32 s70, s16
	s_cmp_lg_u32 s62, s77
	s_mov_b64 s[16:17], -1
	ds_write2st64_b32 v32, v3, v3 offset1:4
	ds_write2st64_b32 v32, v3, v3 offset0:8 offset1:12
	s_waitcnt lgkmcnt(0)
	s_cbranch_scc0 .LBB531_350
; %bb.21:                               ;   in Loop: Header=BB531_20 Depth=1
	s_and_b64 vcc, exec, s[54:55]
	s_cbranch_vccz .LBB531_185
; %bb.22:                               ;   in Loop: Header=BB531_20 Depth=1
	v_mov_b32_e32 v10, v3
	v_mov_b32_e32 v4, v3
	;; [unrolled: 1-line block ×8, first 2 shown]
	s_mov_b32 s20, s79
	s_mov_b32 s58, s51
	v_mov_b32_e32 v18, v9
	v_mov_b32_e32 v17, v8
	;; [unrolled: 1-line block ×7, first 2 shown]
	s_barrier
	s_branch .LBB531_24
.LBB531_23:                             ;   in Loop: Header=BB531_24 Depth=2
	s_or_b64 exec, exec, s[16:17]
	s_addk_i32 s20, 0xf800
	s_cmp_ge_u32 s21, s63
	s_mov_b32 s58, s21
	s_cbranch_scc1 .LBB531_60
.LBB531_24:                             ;   Parent Loop BB531_20 Depth=1
                                        ; =>  This Inner Loop Header: Depth=2
	s_add_i32 s21, s58, 0x800
	s_cmp_gt_u32 s21, s63
	s_mov_b64 s[16:17], -1
                                        ; implicit-def: $vgpr20_vgpr21_vgpr22_vgpr23_vgpr24_vgpr25_vgpr26_vgpr27
	s_cbranch_scc1 .LBB531_26
; %bb.25:                               ;   in Loop: Header=BB531_24 Depth=2
	s_lshl_b64 s[16:17], s[58:59], 2
	v_mov_b32_e32 v5, s17
	v_add_co_u32_e32 v4, vcc, s16, v36
	v_addc_co_u32_e32 v5, vcc, v37, v5, vcc
	v_add_co_u32_e32 v6, vcc, 0x1000, v4
	v_addc_co_u32_e32 v7, vcc, 0, v5, vcc
	global_load_dword v20, v[4:5], off
	global_load_dword v21, v[4:5], off offset:1024
	global_load_dword v22, v[4:5], off offset:2048
	global_load_dword v23, v[4:5], off offset:3072
	global_load_dword v24, v[6:7], off
	global_load_dword v25, v[6:7], off offset:1024
	global_load_dword v26, v[6:7], off offset:2048
	;; [unrolled: 1-line block ×3, first 2 shown]
	s_mov_b64 s[16:17], 0
.LBB531_26:                             ;   in Loop: Header=BB531_24 Depth=2
	s_andn2_b64 vcc, exec, s[16:17]
	s_movk_i32 s18, 0x800
	s_cbranch_vccnz .LBB531_37
; %bb.27:                               ;   in Loop: Header=BB531_24 Depth=2
	s_lshl_b64 s[16:17], s[58:59], 2
	s_add_u32 s16, s68, s16
	s_addc_u32 s17, s69, s17
	v_cmp_gt_u32_e32 vcc, s20, v0
	s_and_saveexec_b64 s[18:19], vcc
	s_cbranch_execnz .LBB531_53
; %bb.28:                               ;   in Loop: Header=BB531_24 Depth=2
	s_or_b64 exec, exec, s[18:19]
	v_cmp_gt_u32_e32 vcc, s20, v33
	s_and_saveexec_b64 s[18:19], vcc
	s_cbranch_execnz .LBB531_54
.LBB531_29:                             ;   in Loop: Header=BB531_24 Depth=2
	s_or_b64 exec, exec, s[18:19]
	v_cmp_gt_u32_e32 vcc, s20, v34
	s_and_saveexec_b64 s[18:19], vcc
	s_cbranch_execnz .LBB531_55
.LBB531_30:                             ;   in Loop: Header=BB531_24 Depth=2
	s_or_b64 exec, exec, s[18:19]
	v_cmp_gt_u32_e32 vcc, s20, v35
	s_and_saveexec_b64 s[18:19], vcc
	s_cbranch_execnz .LBB531_56
.LBB531_31:                             ;   in Loop: Header=BB531_24 Depth=2
	s_or_b64 exec, exec, s[18:19]
	v_cmp_gt_u32_e32 vcc, s20, v38
	s_and_saveexec_b64 s[18:19], vcc
	s_cbranch_execnz .LBB531_57
.LBB531_32:                             ;   in Loop: Header=BB531_24 Depth=2
	s_or_b64 exec, exec, s[18:19]
	v_cmp_gt_u32_e32 vcc, s20, v39
	s_and_saveexec_b64 s[18:19], vcc
	s_cbranch_execnz .LBB531_58
.LBB531_33:                             ;   in Loop: Header=BB531_24 Depth=2
	s_or_b64 exec, exec, s[18:19]
	v_cmp_gt_u32_e32 vcc, s20, v40
	s_and_saveexec_b64 s[18:19], vcc
	s_cbranch_execnz .LBB531_59
.LBB531_34:                             ;   in Loop: Header=BB531_24 Depth=2
	s_or_b64 exec, exec, s[18:19]
	v_cmp_gt_u32_e32 vcc, s20, v41
	s_and_saveexec_b64 s[18:19], vcc
	s_cbranch_execz .LBB531_36
.LBB531_35:                             ;   in Loop: Header=BB531_24 Depth=2
	global_load_dword v19, v71, s[16:17]
.LBB531_36:                             ;   in Loop: Header=BB531_24 Depth=2
	s_or_b64 exec, exec, s[18:19]
	s_waitcnt vmcnt(0)
	v_mov_b32_e32 v27, v19
	s_mov_b32 s18, s20
	v_mov_b32_e32 v26, v18
	v_mov_b32_e32 v25, v17
	;; [unrolled: 1-line block ×7, first 2 shown]
.LBB531_37:                             ;   in Loop: Header=BB531_24 Depth=2
	s_waitcnt vmcnt(0)
	v_mov_b32_e32 v12, v20
	v_mov_b32_e32 v13, v21
	;; [unrolled: 1-line block ×8, first 2 shown]
	v_cmp_gt_u32_e32 vcc, s18, v0
	s_and_saveexec_b64 s[16:17], vcc
	s_cbranch_execnz .LBB531_45
; %bb.38:                               ;   in Loop: Header=BB531_24 Depth=2
	s_or_b64 exec, exec, s[16:17]
	v_cmp_gt_u32_e32 vcc, s18, v33
	s_and_saveexec_b64 s[16:17], vcc
	s_cbranch_execnz .LBB531_46
.LBB531_39:                             ;   in Loop: Header=BB531_24 Depth=2
	s_or_b64 exec, exec, s[16:17]
	v_cmp_gt_u32_e32 vcc, s18, v34
	s_and_saveexec_b64 s[16:17], vcc
	s_cbranch_execnz .LBB531_47
.LBB531_40:                             ;   in Loop: Header=BB531_24 Depth=2
	s_or_b64 exec, exec, s[16:17]
	v_cmp_gt_u32_e32 vcc, s18, v35
	s_and_saveexec_b64 s[16:17], vcc
	s_cbranch_execnz .LBB531_48
.LBB531_41:                             ;   in Loop: Header=BB531_24 Depth=2
	s_or_b64 exec, exec, s[16:17]
	v_cmp_gt_u32_e32 vcc, s18, v38
	s_and_saveexec_b64 s[16:17], vcc
	s_cbranch_execnz .LBB531_49
.LBB531_42:                             ;   in Loop: Header=BB531_24 Depth=2
	s_or_b64 exec, exec, s[16:17]
	v_cmp_gt_u32_e32 vcc, s18, v39
	s_and_saveexec_b64 s[16:17], vcc
	s_cbranch_execnz .LBB531_50
.LBB531_43:                             ;   in Loop: Header=BB531_24 Depth=2
	s_or_b64 exec, exec, s[16:17]
	v_cmp_gt_u32_e32 vcc, s18, v40
	s_and_saveexec_b64 s[16:17], vcc
	s_cbranch_execnz .LBB531_51
.LBB531_44:                             ;   in Loop: Header=BB531_24 Depth=2
	s_or_b64 exec, exec, s[16:17]
	v_cmp_gt_u32_e32 vcc, s18, v41
	s_and_saveexec_b64 s[16:17], vcc
	s_cbranch_execz .LBB531_23
	s_branch .LBB531_52
.LBB531_45:                             ;   in Loop: Header=BB531_24 Depth=2
	v_xor_b32_e32 v4, 0x7fffffff, v12
	v_lshrrev_b32_e32 v4, s62, v4
	v_and_b32_e32 v4, s70, v4
	v_lshl_or_b32 v4, v4, 4, v42
	ds_add_u32 v4, v66
	s_or_b64 exec, exec, s[16:17]
	v_cmp_gt_u32_e32 vcc, s18, v33
	s_and_saveexec_b64 s[16:17], vcc
	s_cbranch_execz .LBB531_39
.LBB531_46:                             ;   in Loop: Header=BB531_24 Depth=2
	v_xor_b32_e32 v4, 0x7fffffff, v13
	v_lshrrev_b32_e32 v4, s62, v4
	v_and_b32_e32 v4, s70, v4
	v_lshl_or_b32 v4, v4, 4, v42
	ds_add_u32 v4, v66
	s_or_b64 exec, exec, s[16:17]
	v_cmp_gt_u32_e32 vcc, s18, v34
	s_and_saveexec_b64 s[16:17], vcc
	s_cbranch_execz .LBB531_40
.LBB531_47:                             ;   in Loop: Header=BB531_24 Depth=2
	v_xor_b32_e32 v4, 0x7fffffff, v14
	v_lshrrev_b32_e32 v4, s62, v4
	v_and_b32_e32 v4, s70, v4
	v_lshl_or_b32 v4, v4, 4, v42
	ds_add_u32 v4, v66
	s_or_b64 exec, exec, s[16:17]
	v_cmp_gt_u32_e32 vcc, s18, v35
	s_and_saveexec_b64 s[16:17], vcc
	s_cbranch_execz .LBB531_41
.LBB531_48:                             ;   in Loop: Header=BB531_24 Depth=2
	v_xor_b32_e32 v4, 0x7fffffff, v15
	v_lshrrev_b32_e32 v4, s62, v4
	v_and_b32_e32 v4, s70, v4
	v_lshl_or_b32 v4, v4, 4, v42
	ds_add_u32 v4, v66
	s_or_b64 exec, exec, s[16:17]
	v_cmp_gt_u32_e32 vcc, s18, v38
	s_and_saveexec_b64 s[16:17], vcc
	s_cbranch_execz .LBB531_42
.LBB531_49:                             ;   in Loop: Header=BB531_24 Depth=2
	v_xor_b32_e32 v4, 0x7fffffff, v16
	v_lshrrev_b32_e32 v4, s62, v4
	v_and_b32_e32 v4, s70, v4
	v_lshl_or_b32 v4, v4, 4, v42
	ds_add_u32 v4, v66
	s_or_b64 exec, exec, s[16:17]
	v_cmp_gt_u32_e32 vcc, s18, v39
	s_and_saveexec_b64 s[16:17], vcc
	s_cbranch_execz .LBB531_43
.LBB531_50:                             ;   in Loop: Header=BB531_24 Depth=2
	v_xor_b32_e32 v4, 0x7fffffff, v17
	v_lshrrev_b32_e32 v4, s62, v4
	v_and_b32_e32 v4, s70, v4
	v_lshl_or_b32 v4, v4, 4, v42
	ds_add_u32 v4, v66
	s_or_b64 exec, exec, s[16:17]
	v_cmp_gt_u32_e32 vcc, s18, v40
	s_and_saveexec_b64 s[16:17], vcc
	s_cbranch_execz .LBB531_44
.LBB531_51:                             ;   in Loop: Header=BB531_24 Depth=2
	v_xor_b32_e32 v4, 0x7fffffff, v18
	v_lshrrev_b32_e32 v4, s62, v4
	v_and_b32_e32 v4, s70, v4
	v_lshl_or_b32 v4, v4, 4, v42
	ds_add_u32 v4, v66
	s_or_b64 exec, exec, s[16:17]
	v_cmp_gt_u32_e32 vcc, s18, v41
	s_and_saveexec_b64 s[16:17], vcc
	s_cbranch_execz .LBB531_23
.LBB531_52:                             ;   in Loop: Header=BB531_24 Depth=2
	v_xor_b32_e32 v4, 0x7fffffff, v19
	v_lshrrev_b32_e32 v4, s62, v4
	v_and_b32_e32 v4, s70, v4
	v_lshl_or_b32 v4, v4, 4, v42
	ds_add_u32 v4, v66
	s_branch .LBB531_23
.LBB531_53:                             ;   in Loop: Header=BB531_24 Depth=2
	global_load_dword v12, v67, s[16:17]
	s_or_b64 exec, exec, s[18:19]
	v_cmp_gt_u32_e32 vcc, s20, v33
	s_and_saveexec_b64 s[18:19], vcc
	s_cbranch_execz .LBB531_29
.LBB531_54:                             ;   in Loop: Header=BB531_24 Depth=2
	global_load_dword v13, v67, s[16:17] offset:1024
	s_or_b64 exec, exec, s[18:19]
	v_cmp_gt_u32_e32 vcc, s20, v34
	s_and_saveexec_b64 s[18:19], vcc
	s_cbranch_execz .LBB531_30
.LBB531_55:                             ;   in Loop: Header=BB531_24 Depth=2
	global_load_dword v14, v67, s[16:17] offset:2048
	s_or_b64 exec, exec, s[18:19]
	v_cmp_gt_u32_e32 vcc, s20, v35
	s_and_saveexec_b64 s[18:19], vcc
	s_cbranch_execz .LBB531_31
.LBB531_56:                             ;   in Loop: Header=BB531_24 Depth=2
	global_load_dword v15, v67, s[16:17] offset:3072
	s_or_b64 exec, exec, s[18:19]
	v_cmp_gt_u32_e32 vcc, s20, v38
	s_and_saveexec_b64 s[18:19], vcc
	s_cbranch_execz .LBB531_32
.LBB531_57:                             ;   in Loop: Header=BB531_24 Depth=2
	global_load_dword v16, v68, s[16:17]
	s_or_b64 exec, exec, s[18:19]
	v_cmp_gt_u32_e32 vcc, s20, v39
	s_and_saveexec_b64 s[18:19], vcc
	s_cbranch_execz .LBB531_33
.LBB531_58:                             ;   in Loop: Header=BB531_24 Depth=2
	global_load_dword v17, v69, s[16:17]
	s_or_b64 exec, exec, s[18:19]
	v_cmp_gt_u32_e32 vcc, s20, v40
	s_and_saveexec_b64 s[18:19], vcc
	s_cbranch_execz .LBB531_34
.LBB531_59:                             ;   in Loop: Header=BB531_24 Depth=2
	global_load_dword v18, v70, s[16:17]
	s_or_b64 exec, exec, s[18:19]
	v_cmp_gt_u32_e32 vcc, s20, v41
	s_and_saveexec_b64 s[18:19], vcc
	s_cbranch_execnz .LBB531_35
	s_branch .LBB531_36
.LBB531_60:                             ;   in Loop: Header=BB531_20 Depth=1
	v_mov_b32_e32 v4, 0
	s_waitcnt lgkmcnt(0)
	s_barrier
	s_and_saveexec_b64 s[16:17], s[4:5]
	s_cbranch_execz .LBB531_62
; %bb.61:                               ;   in Loop: Header=BB531_20 Depth=1
	ds_read2_b64 v[4:7], v43 offset1:1
	s_waitcnt lgkmcnt(0)
	v_add_u32_e32 v4, v5, v4
	v_add3_u32 v4, v4, v6, v7
.LBB531_62:                             ;   in Loop: Header=BB531_20 Depth=1
	s_or_b64 exec, exec, s[16:17]
	s_nop 0
	v_mov_b32_dpp v5, v4 row_shr:1 row_mask:0xf bank_mask:0xf
	v_cmp_eq_u32_e64 s[16:17], 0, v73
	v_cndmask_b32_e64 v5, v5, 0, s[16:17]
	v_add_u32_e32 v4, v5, v4
	v_cmp_lt_u32_e64 s[18:19], 1, v73
	v_cmp_lt_u32_e64 s[20:21], 3, v73
	v_mov_b32_dpp v5, v4 row_shr:2 row_mask:0xf bank_mask:0xf
	v_cndmask_b32_e64 v5, 0, v5, s[18:19]
	v_add_u32_e32 v4, v4, v5
	v_cmp_lt_u32_e64 s[22:23], 7, v73
	v_cmp_lt_u32_e64 s[26:27], 31, v72
	v_mov_b32_dpp v5, v4 row_shr:4 row_mask:0xf bank_mask:0xf
	v_cndmask_b32_e64 v5, 0, v5, s[20:21]
	v_add_u32_e32 v4, v4, v5
	v_cmp_eq_u32_e64 s[24:25], 0, v75
	s_nop 0
	v_mov_b32_dpp v5, v4 row_shr:8 row_mask:0xf bank_mask:0xf
	v_cndmask_b32_e64 v5, 0, v5, s[22:23]
	v_add_u32_e32 v4, v4, v5
	s_nop 1
	v_mov_b32_dpp v5, v4 row_bcast:15 row_mask:0xf bank_mask:0xf
	v_and_b32_e32 v5, v74, v5
	v_add_u32_e32 v4, v4, v5
	s_nop 1
	v_mov_b32_dpp v5, v4 row_bcast:31 row_mask:0xf bank_mask:0xf
	v_cndmask_b32_e64 v5, 0, v5, s[26:27]
	v_add_u32_e32 v4, v4, v5
	s_and_saveexec_b64 s[28:29], s[6:7]
; %bb.63:                               ;   in Loop: Header=BB531_20 Depth=1
	ds_write_b32 v45, v4
; %bb.64:                               ;   in Loop: Header=BB531_20 Depth=1
	s_or_b64 exec, exec, s[28:29]
	s_waitcnt lgkmcnt(0)
	s_barrier
	s_and_saveexec_b64 s[28:29], s[8:9]
	s_cbranch_execz .LBB531_66
; %bb.65:                               ;   in Loop: Header=BB531_20 Depth=1
	ds_read_b32 v5, v46
	v_cmp_ne_u32_e32 vcc, 0, v76
	s_waitcnt lgkmcnt(0)
	v_mov_b32_dpp v6, v5 row_shr:1 row_mask:0xf bank_mask:0xf
	v_cndmask_b32_e32 v6, 0, v6, vcc
	v_add_u32_e32 v5, v6, v5
	v_cmp_lt_u32_e32 vcc, 1, v76
	s_nop 0
	v_mov_b32_dpp v6, v5 row_shr:2 row_mask:0xf bank_mask:0xf
	v_cndmask_b32_e32 v6, 0, v6, vcc
	v_add_u32_e32 v5, v5, v6
	ds_write_b32 v46, v5
.LBB531_66:                             ;   in Loop: Header=BB531_20 Depth=1
	s_or_b64 exec, exec, s[28:29]
	v_mov_b32_e32 v5, 0
	s_waitcnt lgkmcnt(0)
	s_barrier
	s_and_saveexec_b64 s[28:29], s[10:11]
; %bb.67:                               ;   in Loop: Header=BB531_20 Depth=1
	ds_read_b32 v5, v47
; %bb.68:                               ;   in Loop: Header=BB531_20 Depth=1
	s_or_b64 exec, exec, s[28:29]
	v_subrev_co_u32_e64 v6, s[28:29], 1, v72
	v_cmp_lt_i32_e32 vcc, v6, v77
	v_cndmask_b32_e32 v6, v6, v72, vcc
	s_waitcnt lgkmcnt(0)
	v_add_u32_e32 v4, v5, v4
	v_lshlrev_b32_e32 v84, 2, v6
	ds_bpermute_b32 v4, v84, v4
	s_waitcnt lgkmcnt(0)
	s_barrier
	s_and_saveexec_b64 s[30:31], s[4:5]
; %bb.69:                               ;   in Loop: Header=BB531_20 Depth=1
	v_cndmask_b32_e64 v4, v4, v5, s[28:29]
	v_add_u32_e32 v4, s51, v4
	ds_write_b32 v32, v4
; %bb.70:                               ;   in Loop: Header=BB531_20 Depth=1
	s_or_b64 exec, exec, s[30:31]
	s_load_dword s30, s[56:57], 0x4
	s_load_dword s36, s[56:57], 0xc
	v_add_co_u32_e32 v85, vcc, v50, v79
	v_addc_co_u32_e32 v86, vcc, 0, v51, vcc
	s_waitcnt lgkmcnt(0)
	s_cmp_lt_u32 s33, s30
	s_cselect_b32 s30, 14, 20
	s_add_u32 s30, s56, s30
	s_addc_u32 s31, s57, 0
	global_load_ushort v4, v3, s[30:31]
	s_and_b32 s36, s36, 0xffff
	v_lshlrev_b32_e32 v14, 2, v78
	v_add_co_u32_e32 v99, vcc, v52, v14
	v_cmp_eq_u32_e64 s[30:31], 0, v76
	v_cmp_lt_u32_e64 s[34:35], 1, v76
	v_or_b32_e32 v87, 0x100, v80
	v_or_b32_e32 v88, 0x140, v80
	v_or_b32_e32 v89, 0x180, v80
	v_or_b32_e32 v90, 0x1c0, v80
	s_mov_b32 s71, s79
	v_addc_co_u32_e32 v100, vcc, 0, v53, vcc
	s_mov_b32 s58, s51
                                        ; implicit-def: $vgpr5_vgpr6
                                        ; implicit-def: $vgpr7_vgpr8
                                        ; implicit-def: $vgpr9_vgpr10
                                        ; implicit-def: $vgpr20_vgpr21
                                        ; implicit-def: $vgpr22_vgpr23
                                        ; implicit-def: $vgpr24_vgpr25
                                        ; implicit-def: $vgpr26_vgpr27
                                        ; implicit-def: $vgpr28_vgpr29
                                        ; implicit-def: $vgpr91
                                        ; implicit-def: $vgpr92
                                        ; implicit-def: $vgpr93
                                        ; implicit-def: $vgpr94
                                        ; implicit-def: $vgpr95
                                        ; implicit-def: $vgpr96
                                        ; implicit-def: $vgpr97
                                        ; implicit-def: $vgpr98
	s_waitcnt vmcnt(0)
	v_mad_u32_u24 v4, v2, v4, v1
	v_mad_u64_u32 v[12:13], s[36:37], v4, s36, v[0:1]
	v_lshrrev_b32_e32 v4, 4, v12
	v_and_b32_e32 v101, 0xffffffc, v4
	s_branch .LBB531_72
.LBB531_71:                             ;   in Loop: Header=BB531_72 Depth=2
	s_or_b64 exec, exec, s[36:37]
	s_addk_i32 s71, 0xf800
	s_cmp_lt_u32 s76, s63
	s_mov_b32 s58, s76
	s_cbranch_scc0 .LBB531_184
.LBB531_72:                             ;   Parent Loop BB531_20 Depth=1
                                        ; =>  This Inner Loop Header: Depth=2
	s_add_i32 s76, s58, 0x800
	s_cmp_gt_u32 s76, s63
	s_cbranch_scc1 .LBB531_74
; %bb.73:                               ;   in Loop: Header=BB531_72 Depth=2
	s_lshl_b64 s[36:37], s[58:59], 2
	v_mov_b32_e32 v4, s37
	v_add_co_u32_e32 v18, vcc, s36, v99
	v_addc_co_u32_e32 v19, vcc, v100, v4, vcc
	global_load_dword v12, v[18:19], off
	global_load_dword v13, v[18:19], off offset:256
	global_load_dword v14, v[18:19], off offset:512
	;; [unrolled: 1-line block ×5, first 2 shown]
	s_nop 0
	global_load_dword v18, v[18:19], off offset:1536
	s_mov_b64 s[36:37], -1
	s_movk_i32 s40, 0x800
	s_cbranch_execz .LBB531_75
	s_branch .LBB531_84
.LBB531_74:                             ;   in Loop: Header=BB531_72 Depth=2
	s_mov_b64 s[36:37], 0
                                        ; implicit-def: $vgpr12_vgpr13_vgpr14_vgpr15_vgpr16_vgpr17_vgpr18_vgpr19
	s_movk_i32 s40, 0x800
.LBB531_75:                             ;   in Loop: Header=BB531_72 Depth=2
	s_lshl_b64 s[36:37], s[58:59], 2
	v_mov_b32_e32 v4, s37
	v_add_co_u32_e32 v30, vcc, s36, v99
	s_waitcnt vmcnt(6)
	v_mov_b32_e32 v12, v11
	s_waitcnt vmcnt(5)
	v_mov_b32_e32 v13, v11
	s_waitcnt vmcnt(4)
	v_mov_b32_e32 v14, v11
	s_waitcnt vmcnt(3)
	v_mov_b32_e32 v15, v11
	s_waitcnt vmcnt(2)
	v_mov_b32_e32 v16, v11
	s_waitcnt vmcnt(1)
	v_mov_b32_e32 v17, v11
	s_waitcnt vmcnt(0)
	v_mov_b32_e32 v18, v11
	v_addc_co_u32_e32 v31, vcc, v100, v4, vcc
	v_mov_b32_e32 v19, v18
	v_cmp_gt_u32_e32 vcc, s71, v80
	v_mov_b32_e32 v18, v17
	v_mov_b32_e32 v17, v16
	;; [unrolled: 1-line block ×7, first 2 shown]
	s_and_saveexec_b64 s[36:37], vcc
	s_cbranch_execnz .LBB531_178
; %bb.76:                               ;   in Loop: Header=BB531_72 Depth=2
	s_or_b64 exec, exec, s[36:37]
	v_cmp_gt_u32_e32 vcc, s71, v81
	s_and_saveexec_b64 s[36:37], vcc
	s_cbranch_execnz .LBB531_179
.LBB531_77:                             ;   in Loop: Header=BB531_72 Depth=2
	s_or_b64 exec, exec, s[36:37]
	v_cmp_gt_u32_e32 vcc, s71, v82
	s_and_saveexec_b64 s[36:37], vcc
	s_cbranch_execnz .LBB531_180
.LBB531_78:                             ;   in Loop: Header=BB531_72 Depth=2
	s_or_b64 exec, exec, s[36:37]
	v_cmp_gt_u32_e32 vcc, s71, v83
	s_and_saveexec_b64 s[36:37], vcc
	s_cbranch_execnz .LBB531_181
.LBB531_79:                             ;   in Loop: Header=BB531_72 Depth=2
	s_or_b64 exec, exec, s[36:37]
	v_cmp_gt_u32_e32 vcc, s71, v87
	s_and_saveexec_b64 s[36:37], vcc
	s_cbranch_execnz .LBB531_182
.LBB531_80:                             ;   in Loop: Header=BB531_72 Depth=2
	s_or_b64 exec, exec, s[36:37]
	v_cmp_gt_u32_e32 vcc, s71, v88
	s_and_saveexec_b64 s[36:37], vcc
	s_cbranch_execnz .LBB531_183
.LBB531_81:                             ;   in Loop: Header=BB531_72 Depth=2
	s_or_b64 exec, exec, s[36:37]
	v_cmp_gt_u32_e32 vcc, s71, v89
	s_and_saveexec_b64 s[36:37], vcc
	s_cbranch_execz .LBB531_83
.LBB531_82:                             ;   in Loop: Header=BB531_72 Depth=2
	global_load_dword v18, v[30:31], off offset:1536
.LBB531_83:                             ;   in Loop: Header=BB531_72 Depth=2
	s_or_b64 exec, exec, s[36:37]
	s_sub_i32 s40, s63, s58
	v_cmp_gt_u32_e64 s[36:37], s71, v90
.LBB531_84:                             ;   in Loop: Header=BB531_72 Depth=2
	v_mov_b32_e32 v102, s71
	s_and_saveexec_b64 s[38:39], s[36:37]
	s_cbranch_execz .LBB531_86
; %bb.85:                               ;   in Loop: Header=BB531_72 Depth=2
	s_lshl_b64 s[36:37], s[58:59], 2
	v_mov_b32_e32 v4, s37
	v_add_co_u32_e32 v30, vcc, s36, v99
	v_addc_co_u32_e32 v31, vcc, v100, v4, vcc
	global_load_dword v19, v[30:31], off offset:1792
	v_mov_b32_e32 v102, s40
.LBB531_86:                             ;   in Loop: Header=BB531_72 Depth=2
	s_or_b64 exec, exec, s[38:39]
	s_waitcnt vmcnt(0)
	v_xor_b32_e32 v103, 0x7fffffff, v12
	v_lshrrev_b32_e32 v4, s62, v103
	v_and_b32_e32 v12, s70, v4
	v_and_b32_e32 v4, 1, v12
	v_add_co_u32_e32 v30, vcc, -1, v4
	v_addc_co_u32_e64 v31, s[36:37], 0, -1, vcc
	v_cmp_ne_u32_e32 vcc, 0, v4
	v_xor_b32_e32 v4, vcc_hi, v31
	v_and_b32_e32 v31, exec_hi, v4
	v_lshlrev_b32_e32 v4, 30, v12
	v_xor_b32_e32 v30, vcc_lo, v30
	v_cmp_gt_i64_e32 vcc, 0, v[3:4]
	v_not_b32_e32 v4, v4
	v_ashrrev_i32_e32 v4, 31, v4
	v_and_b32_e32 v30, exec_lo, v30
	v_xor_b32_e32 v106, vcc_hi, v4
	v_xor_b32_e32 v4, vcc_lo, v4
	v_and_b32_e32 v30, v30, v4
	v_lshlrev_b32_e32 v4, 29, v12
	v_cmp_gt_i64_e32 vcc, 0, v[3:4]
	v_not_b32_e32 v4, v4
	v_ashrrev_i32_e32 v4, 31, v4
	v_and_b32_e32 v31, v31, v106
	v_xor_b32_e32 v106, vcc_hi, v4
	v_xor_b32_e32 v4, vcc_lo, v4
	v_and_b32_e32 v30, v30, v4
	v_lshlrev_b32_e32 v4, 28, v12
	v_cmp_gt_i64_e32 vcc, 0, v[3:4]
	v_not_b32_e32 v4, v4
	v_ashrrev_i32_e32 v4, 31, v4
	v_and_b32_e32 v31, v31, v106
	;; [unrolled: 8-line block ×5, first 2 shown]
	v_xor_b32_e32 v106, vcc_hi, v4
	v_xor_b32_e32 v4, vcc_lo, v4
	v_and_b32_e32 v30, v30, v4
	v_lshlrev_b32_e32 v4, 24, v12
	v_cmp_gt_i64_e32 vcc, 0, v[3:4]
	v_not_b32_e32 v4, v4
	v_ashrrev_i32_e32 v4, 31, v4
	v_mul_u32_u24_e32 v107, 20, v12
	v_xor_b32_e32 v12, vcc_hi, v4
	v_xor_b32_e32 v4, vcc_lo, v4
	v_and_b32_e32 v31, v31, v106
	v_and_b32_e32 v30, v30, v4
	;; [unrolled: 1-line block ×3, first 2 shown]
	v_mbcnt_lo_u32_b32 v4, v30, 0
	v_mbcnt_hi_u32_b32 v106, v31, v4
	v_cmp_ne_u64_e32 vcc, 0, v[30:31]
	v_cmp_eq_u32_e64 s[36:37], 0, v106
	v_add_u32_e32 v105, 0x410, v48
	v_add_u32_e32 v104, 0x418, v48
	s_and_b64 s[38:39], vcc, s[36:37]
	v_add_u32_e32 v107, v101, v107
	ds_write2_b32 v105, v3, v3 offset1:1
	ds_write2_b32 v104, v3, v3 offset1:1
	ds_write_b32 v48, v3 offset:1056
	s_waitcnt lgkmcnt(0)
	s_barrier
	; wave barrier
	s_and_saveexec_b64 s[36:37], s[38:39]
; %bb.87:                               ;   in Loop: Header=BB531_72 Depth=2
	v_bcnt_u32_b32 v4, v30, 0
	v_bcnt_u32_b32 v4, v31, v4
	ds_write_b32 v107, v4 offset:1040
; %bb.88:                               ;   in Loop: Header=BB531_72 Depth=2
	s_or_b64 exec, exec, s[36:37]
	v_xor_b32_e32 v30, 0x7fffffff, v13
	v_lshrrev_b32_e32 v4, s62, v30
	v_and_b32_e32 v12, s70, v4
	v_mad_u32_u24 v4, v12, 20, v101
	; wave barrier
	ds_read_b32 v31, v4 offset:1040
	v_and_b32_e32 v4, 1, v12
	v_add_co_u32_e32 v13, vcc, -1, v4
	v_addc_co_u32_e64 v108, s[36:37], 0, -1, vcc
	v_cmp_ne_u32_e32 vcc, 0, v4
	v_xor_b32_e32 v4, vcc_hi, v108
	v_and_b32_e32 v108, exec_hi, v4
	v_lshlrev_b32_e32 v4, 30, v12
	v_xor_b32_e32 v13, vcc_lo, v13
	v_cmp_gt_i64_e32 vcc, 0, v[3:4]
	v_not_b32_e32 v4, v4
	v_ashrrev_i32_e32 v4, 31, v4
	v_and_b32_e32 v13, exec_lo, v13
	v_xor_b32_e32 v110, vcc_hi, v4
	v_xor_b32_e32 v4, vcc_lo, v4
	v_and_b32_e32 v13, v13, v4
	v_lshlrev_b32_e32 v4, 29, v12
	v_cmp_gt_i64_e32 vcc, 0, v[3:4]
	v_not_b32_e32 v4, v4
	v_ashrrev_i32_e32 v4, 31, v4
	v_and_b32_e32 v108, v108, v110
	v_xor_b32_e32 v110, vcc_hi, v4
	v_xor_b32_e32 v4, vcc_lo, v4
	v_and_b32_e32 v13, v13, v4
	v_lshlrev_b32_e32 v4, 28, v12
	v_cmp_gt_i64_e32 vcc, 0, v[3:4]
	v_not_b32_e32 v4, v4
	v_ashrrev_i32_e32 v4, 31, v4
	v_and_b32_e32 v108, v108, v110
	;; [unrolled: 8-line block ×5, first 2 shown]
	v_xor_b32_e32 v110, vcc_hi, v4
	v_xor_b32_e32 v4, vcc_lo, v4
	v_and_b32_e32 v108, v108, v110
	v_and_b32_e32 v110, v13, v4
	v_lshlrev_b32_e32 v4, 24, v12
	v_cmp_gt_i64_e32 vcc, 0, v[3:4]
	v_not_b32_e32 v4, v4
	v_ashrrev_i32_e32 v4, 31, v4
	v_mul_u32_u24_e32 v109, 20, v12
	v_xor_b32_e32 v12, vcc_hi, v4
	v_xor_b32_e32 v4, vcc_lo, v4
	v_and_b32_e32 v13, v108, v12
	v_and_b32_e32 v12, v110, v4
	v_mbcnt_lo_u32_b32 v4, v12, 0
	v_mbcnt_hi_u32_b32 v108, v13, v4
	v_cmp_ne_u64_e32 vcc, 0, v[12:13]
	v_cmp_eq_u32_e64 s[36:37], 0, v108
	s_and_b64 s[38:39], vcc, s[36:37]
	v_add_u32_e32 v111, v101, v109
	; wave barrier
	s_and_saveexec_b64 s[36:37], s[38:39]
	s_cbranch_execz .LBB531_90
; %bb.89:                               ;   in Loop: Header=BB531_72 Depth=2
	v_bcnt_u32_b32 v4, v12, 0
	v_bcnt_u32_b32 v4, v13, v4
	s_waitcnt lgkmcnt(0)
	v_add_u32_e32 v4, v31, v4
	ds_write_b32 v111, v4 offset:1040
.LBB531_90:                             ;   in Loop: Header=BB531_72 Depth=2
	s_or_b64 exec, exec, s[36:37]
	v_xor_b32_e32 v109, 0x7fffffff, v14
	v_lshrrev_b32_e32 v4, s62, v109
	v_and_b32_e32 v12, s70, v4
	v_mad_u32_u24 v4, v12, 20, v101
	; wave barrier
	ds_read_b32 v110, v4 offset:1040
	v_and_b32_e32 v4, 1, v12
	v_add_co_u32_e32 v13, vcc, -1, v4
	v_addc_co_u32_e64 v112, s[36:37], 0, -1, vcc
	v_cmp_ne_u32_e32 vcc, 0, v4
	v_xor_b32_e32 v4, vcc_hi, v112
	v_and_b32_e32 v112, exec_hi, v4
	v_lshlrev_b32_e32 v4, 30, v12
	v_xor_b32_e32 v13, vcc_lo, v13
	v_cmp_gt_i64_e32 vcc, 0, v[3:4]
	v_not_b32_e32 v4, v4
	v_ashrrev_i32_e32 v4, 31, v4
	v_and_b32_e32 v13, exec_lo, v13
	v_xor_b32_e32 v113, vcc_hi, v4
	v_xor_b32_e32 v4, vcc_lo, v4
	v_and_b32_e32 v13, v13, v4
	v_lshlrev_b32_e32 v4, 29, v12
	v_cmp_gt_i64_e32 vcc, 0, v[3:4]
	v_not_b32_e32 v4, v4
	v_ashrrev_i32_e32 v4, 31, v4
	v_and_b32_e32 v112, v112, v113
	v_xor_b32_e32 v113, vcc_hi, v4
	v_xor_b32_e32 v4, vcc_lo, v4
	v_and_b32_e32 v13, v13, v4
	v_lshlrev_b32_e32 v4, 28, v12
	v_cmp_gt_i64_e32 vcc, 0, v[3:4]
	v_not_b32_e32 v4, v4
	v_ashrrev_i32_e32 v4, 31, v4
	v_and_b32_e32 v112, v112, v113
	;; [unrolled: 8-line block ×5, first 2 shown]
	v_xor_b32_e32 v113, vcc_hi, v4
	v_xor_b32_e32 v4, vcc_lo, v4
	v_and_b32_e32 v112, v112, v113
	v_and_b32_e32 v113, v13, v4
	v_lshlrev_b32_e32 v4, 24, v12
	v_cmp_gt_i64_e32 vcc, 0, v[3:4]
	v_not_b32_e32 v4, v4
	v_ashrrev_i32_e32 v4, 31, v4
	v_mul_u32_u24_e32 v14, 20, v12
	v_xor_b32_e32 v12, vcc_hi, v4
	v_xor_b32_e32 v4, vcc_lo, v4
	v_and_b32_e32 v13, v112, v12
	v_and_b32_e32 v12, v113, v4
	v_mbcnt_lo_u32_b32 v4, v12, 0
	v_mbcnt_hi_u32_b32 v112, v13, v4
	v_cmp_ne_u64_e32 vcc, 0, v[12:13]
	v_cmp_eq_u32_e64 s[36:37], 0, v112
	s_and_b64 s[38:39], vcc, s[36:37]
	v_add_u32_e32 v115, v101, v14
	; wave barrier
	s_and_saveexec_b64 s[36:37], s[38:39]
	s_cbranch_execz .LBB531_92
; %bb.91:                               ;   in Loop: Header=BB531_72 Depth=2
	v_bcnt_u32_b32 v4, v12, 0
	v_bcnt_u32_b32 v4, v13, v4
	s_waitcnt lgkmcnt(0)
	v_add_u32_e32 v4, v110, v4
	ds_write_b32 v115, v4 offset:1040
.LBB531_92:                             ;   in Loop: Header=BB531_72 Depth=2
	s_or_b64 exec, exec, s[36:37]
	v_xor_b32_e32 v113, 0x7fffffff, v15
	v_lshrrev_b32_e32 v4, s62, v113
	v_and_b32_e32 v12, s70, v4
	v_mad_u32_u24 v4, v12, 20, v101
	; wave barrier
	ds_read_b32 v114, v4 offset:1040
	v_and_b32_e32 v4, 1, v12
	v_add_co_u32_e32 v13, vcc, -1, v4
	v_addc_co_u32_e64 v15, s[36:37], 0, -1, vcc
	v_cmp_ne_u32_e32 vcc, 0, v4
	v_xor_b32_e32 v4, vcc_hi, v15
	v_and_b32_e32 v15, exec_hi, v4
	v_lshlrev_b32_e32 v4, 30, v12
	v_xor_b32_e32 v13, vcc_lo, v13
	v_cmp_gt_i64_e32 vcc, 0, v[3:4]
	v_not_b32_e32 v4, v4
	v_ashrrev_i32_e32 v4, 31, v4
	v_and_b32_e32 v13, exec_lo, v13
	v_xor_b32_e32 v116, vcc_hi, v4
	v_xor_b32_e32 v4, vcc_lo, v4
	v_and_b32_e32 v13, v13, v4
	v_lshlrev_b32_e32 v4, 29, v12
	v_cmp_gt_i64_e32 vcc, 0, v[3:4]
	v_not_b32_e32 v4, v4
	v_ashrrev_i32_e32 v4, 31, v4
	v_and_b32_e32 v15, v15, v116
	v_xor_b32_e32 v116, vcc_hi, v4
	v_xor_b32_e32 v4, vcc_lo, v4
	v_and_b32_e32 v13, v13, v4
	v_lshlrev_b32_e32 v4, 28, v12
	v_cmp_gt_i64_e32 vcc, 0, v[3:4]
	v_not_b32_e32 v4, v4
	v_ashrrev_i32_e32 v4, 31, v4
	v_and_b32_e32 v15, v15, v116
	;; [unrolled: 8-line block ×5, first 2 shown]
	v_xor_b32_e32 v116, vcc_hi, v4
	v_xor_b32_e32 v4, vcc_lo, v4
	v_and_b32_e32 v15, v15, v116
	v_and_b32_e32 v116, v13, v4
	v_lshlrev_b32_e32 v4, 24, v12
	v_cmp_gt_i64_e32 vcc, 0, v[3:4]
	v_not_b32_e32 v4, v4
	v_ashrrev_i32_e32 v4, 31, v4
	v_mul_u32_u24_e32 v14, 20, v12
	v_xor_b32_e32 v12, vcc_hi, v4
	v_xor_b32_e32 v4, vcc_lo, v4
	v_and_b32_e32 v13, v15, v12
	v_and_b32_e32 v12, v116, v4
	v_mbcnt_lo_u32_b32 v4, v12, 0
	v_mbcnt_hi_u32_b32 v116, v13, v4
	v_cmp_ne_u64_e32 vcc, 0, v[12:13]
	v_cmp_eq_u32_e64 s[36:37], 0, v116
	s_and_b64 s[38:39], vcc, s[36:37]
	v_add_u32_e32 v118, v101, v14
	; wave barrier
	s_and_saveexec_b64 s[36:37], s[38:39]
	s_cbranch_execz .LBB531_94
; %bb.93:                               ;   in Loop: Header=BB531_72 Depth=2
	v_bcnt_u32_b32 v4, v12, 0
	v_bcnt_u32_b32 v4, v13, v4
	s_waitcnt lgkmcnt(0)
	v_add_u32_e32 v4, v114, v4
	ds_write_b32 v118, v4 offset:1040
.LBB531_94:                             ;   in Loop: Header=BB531_72 Depth=2
	s_or_b64 exec, exec, s[36:37]
	v_xor_b32_e32 v16, 0x7fffffff, v16
	v_lshrrev_b32_e32 v4, s62, v16
	v_and_b32_e32 v12, s70, v4
	v_mad_u32_u24 v4, v12, 20, v101
	; wave barrier
	ds_read_b32 v117, v4 offset:1040
	v_and_b32_e32 v4, 1, v12
	v_add_co_u32_e32 v13, vcc, -1, v4
	v_addc_co_u32_e64 v15, s[36:37], 0, -1, vcc
	v_cmp_ne_u32_e32 vcc, 0, v4
	v_xor_b32_e32 v4, vcc_hi, v15
	v_and_b32_e32 v15, exec_hi, v4
	v_lshlrev_b32_e32 v4, 30, v12
	v_xor_b32_e32 v13, vcc_lo, v13
	v_cmp_gt_i64_e32 vcc, 0, v[3:4]
	v_not_b32_e32 v4, v4
	v_ashrrev_i32_e32 v4, 31, v4
	v_and_b32_e32 v13, exec_lo, v13
	v_xor_b32_e32 v119, vcc_hi, v4
	v_xor_b32_e32 v4, vcc_lo, v4
	v_and_b32_e32 v13, v13, v4
	v_lshlrev_b32_e32 v4, 29, v12
	v_cmp_gt_i64_e32 vcc, 0, v[3:4]
	v_not_b32_e32 v4, v4
	v_ashrrev_i32_e32 v4, 31, v4
	v_and_b32_e32 v15, v15, v119
	v_xor_b32_e32 v119, vcc_hi, v4
	v_xor_b32_e32 v4, vcc_lo, v4
	v_and_b32_e32 v13, v13, v4
	v_lshlrev_b32_e32 v4, 28, v12
	v_cmp_gt_i64_e32 vcc, 0, v[3:4]
	v_not_b32_e32 v4, v4
	v_ashrrev_i32_e32 v4, 31, v4
	v_and_b32_e32 v15, v15, v119
	;; [unrolled: 8-line block ×5, first 2 shown]
	v_xor_b32_e32 v119, vcc_hi, v4
	v_xor_b32_e32 v4, vcc_lo, v4
	v_and_b32_e32 v15, v15, v119
	v_and_b32_e32 v119, v13, v4
	v_lshlrev_b32_e32 v4, 24, v12
	v_cmp_gt_i64_e32 vcc, 0, v[3:4]
	v_not_b32_e32 v4, v4
	v_ashrrev_i32_e32 v4, 31, v4
	v_mul_u32_u24_e32 v14, 20, v12
	v_xor_b32_e32 v12, vcc_hi, v4
	v_xor_b32_e32 v4, vcc_lo, v4
	v_and_b32_e32 v13, v15, v12
	v_and_b32_e32 v12, v119, v4
	v_mbcnt_lo_u32_b32 v4, v12, 0
	v_mbcnt_hi_u32_b32 v119, v13, v4
	v_cmp_ne_u64_e32 vcc, 0, v[12:13]
	v_cmp_eq_u32_e64 s[36:37], 0, v119
	s_and_b64 s[38:39], vcc, s[36:37]
	v_add_u32_e32 v121, v101, v14
	; wave barrier
	s_and_saveexec_b64 s[36:37], s[38:39]
	s_cbranch_execz .LBB531_96
; %bb.95:                               ;   in Loop: Header=BB531_72 Depth=2
	v_bcnt_u32_b32 v4, v12, 0
	v_bcnt_u32_b32 v4, v13, v4
	s_waitcnt lgkmcnt(0)
	v_add_u32_e32 v4, v117, v4
	ds_write_b32 v121, v4 offset:1040
.LBB531_96:                             ;   in Loop: Header=BB531_72 Depth=2
	s_or_b64 exec, exec, s[36:37]
	v_xor_b32_e32 v120, 0x7fffffff, v17
	v_lshrrev_b32_e32 v4, s62, v120
	v_and_b32_e32 v12, s70, v4
	v_mad_u32_u24 v4, v12, 20, v101
	; wave barrier
	ds_read_b32 v17, v4 offset:1040
	v_and_b32_e32 v4, 1, v12
	v_add_co_u32_e32 v13, vcc, -1, v4
	v_addc_co_u32_e64 v15, s[36:37], 0, -1, vcc
	v_cmp_ne_u32_e32 vcc, 0, v4
	v_xor_b32_e32 v4, vcc_hi, v15
	v_and_b32_e32 v15, exec_hi, v4
	v_lshlrev_b32_e32 v4, 30, v12
	v_xor_b32_e32 v13, vcc_lo, v13
	v_cmp_gt_i64_e32 vcc, 0, v[3:4]
	v_not_b32_e32 v4, v4
	v_ashrrev_i32_e32 v4, 31, v4
	v_and_b32_e32 v13, exec_lo, v13
	v_xor_b32_e32 v122, vcc_hi, v4
	v_xor_b32_e32 v4, vcc_lo, v4
	v_and_b32_e32 v13, v13, v4
	v_lshlrev_b32_e32 v4, 29, v12
	v_cmp_gt_i64_e32 vcc, 0, v[3:4]
	v_not_b32_e32 v4, v4
	v_ashrrev_i32_e32 v4, 31, v4
	v_and_b32_e32 v15, v15, v122
	v_xor_b32_e32 v122, vcc_hi, v4
	v_xor_b32_e32 v4, vcc_lo, v4
	v_and_b32_e32 v13, v13, v4
	v_lshlrev_b32_e32 v4, 28, v12
	v_cmp_gt_i64_e32 vcc, 0, v[3:4]
	v_not_b32_e32 v4, v4
	v_ashrrev_i32_e32 v4, 31, v4
	v_and_b32_e32 v15, v15, v122
	;; [unrolled: 8-line block ×5, first 2 shown]
	v_xor_b32_e32 v122, vcc_hi, v4
	v_xor_b32_e32 v4, vcc_lo, v4
	v_and_b32_e32 v15, v15, v122
	v_and_b32_e32 v122, v13, v4
	v_lshlrev_b32_e32 v4, 24, v12
	v_cmp_gt_i64_e32 vcc, 0, v[3:4]
	v_not_b32_e32 v4, v4
	v_ashrrev_i32_e32 v4, 31, v4
	v_mul_u32_u24_e32 v14, 20, v12
	v_xor_b32_e32 v12, vcc_hi, v4
	v_xor_b32_e32 v4, vcc_lo, v4
	v_and_b32_e32 v13, v15, v12
	v_and_b32_e32 v12, v122, v4
	v_mbcnt_lo_u32_b32 v4, v12, 0
	v_mbcnt_hi_u32_b32 v122, v13, v4
	v_cmp_ne_u64_e32 vcc, 0, v[12:13]
	v_cmp_eq_u32_e64 s[36:37], 0, v122
	s_and_b64 s[38:39], vcc, s[36:37]
	v_add_u32_e32 v125, v101, v14
	; wave barrier
	s_and_saveexec_b64 s[36:37], s[38:39]
	s_cbranch_execz .LBB531_98
; %bb.97:                               ;   in Loop: Header=BB531_72 Depth=2
	v_bcnt_u32_b32 v4, v12, 0
	v_bcnt_u32_b32 v4, v13, v4
	s_waitcnt lgkmcnt(0)
	v_add_u32_e32 v4, v17, v4
	ds_write_b32 v125, v4 offset:1040
.LBB531_98:                             ;   in Loop: Header=BB531_72 Depth=2
	s_or_b64 exec, exec, s[36:37]
	v_xor_b32_e32 v123, 0x7fffffff, v18
	v_lshrrev_b32_e32 v4, s62, v123
	v_and_b32_e32 v12, s70, v4
	v_mad_u32_u24 v4, v12, 20, v101
	; wave barrier
	ds_read_b32 v124, v4 offset:1040
	v_and_b32_e32 v4, 1, v12
	v_add_co_u32_e32 v13, vcc, -1, v4
	v_addc_co_u32_e64 v15, s[36:37], 0, -1, vcc
	v_cmp_ne_u32_e32 vcc, 0, v4
	v_xor_b32_e32 v4, vcc_hi, v15
	v_and_b32_e32 v15, exec_hi, v4
	v_lshlrev_b32_e32 v4, 30, v12
	v_xor_b32_e32 v13, vcc_lo, v13
	v_cmp_gt_i64_e32 vcc, 0, v[3:4]
	v_not_b32_e32 v4, v4
	v_ashrrev_i32_e32 v4, 31, v4
	v_and_b32_e32 v13, exec_lo, v13
	v_xor_b32_e32 v18, vcc_hi, v4
	v_xor_b32_e32 v4, vcc_lo, v4
	v_and_b32_e32 v13, v13, v4
	v_lshlrev_b32_e32 v4, 29, v12
	v_cmp_gt_i64_e32 vcc, 0, v[3:4]
	v_not_b32_e32 v4, v4
	v_ashrrev_i32_e32 v4, 31, v4
	v_and_b32_e32 v15, v15, v18
	v_xor_b32_e32 v18, vcc_hi, v4
	v_xor_b32_e32 v4, vcc_lo, v4
	v_and_b32_e32 v13, v13, v4
	v_lshlrev_b32_e32 v4, 28, v12
	v_cmp_gt_i64_e32 vcc, 0, v[3:4]
	v_not_b32_e32 v4, v4
	v_ashrrev_i32_e32 v4, 31, v4
	v_and_b32_e32 v15, v15, v18
	;; [unrolled: 8-line block ×5, first 2 shown]
	v_xor_b32_e32 v18, vcc_hi, v4
	v_xor_b32_e32 v4, vcc_lo, v4
	v_and_b32_e32 v15, v15, v18
	v_and_b32_e32 v18, v13, v4
	v_lshlrev_b32_e32 v4, 24, v12
	v_cmp_gt_i64_e32 vcc, 0, v[3:4]
	v_not_b32_e32 v4, v4
	v_ashrrev_i32_e32 v4, 31, v4
	v_mul_u32_u24_e32 v14, 20, v12
	v_xor_b32_e32 v12, vcc_hi, v4
	v_xor_b32_e32 v4, vcc_lo, v4
	v_and_b32_e32 v13, v15, v12
	v_and_b32_e32 v12, v18, v4
	v_mbcnt_lo_u32_b32 v4, v12, 0
	v_mbcnt_hi_u32_b32 v126, v13, v4
	v_cmp_ne_u64_e32 vcc, 0, v[12:13]
	v_cmp_eq_u32_e64 s[36:37], 0, v126
	s_and_b64 s[38:39], vcc, s[36:37]
	v_add_u32_e32 v18, v101, v14
	; wave barrier
	s_and_saveexec_b64 s[36:37], s[38:39]
	s_cbranch_execz .LBB531_100
; %bb.99:                               ;   in Loop: Header=BB531_72 Depth=2
	v_bcnt_u32_b32 v4, v12, 0
	v_bcnt_u32_b32 v4, v13, v4
	s_waitcnt lgkmcnt(0)
	v_add_u32_e32 v4, v124, v4
	ds_write_b32 v18, v4 offset:1040
.LBB531_100:                            ;   in Loop: Header=BB531_72 Depth=2
	s_or_b64 exec, exec, s[36:37]
	v_xor_b32_e32 v127, 0x7fffffff, v19
	v_lshrrev_b32_e32 v4, s62, v127
	v_and_b32_e32 v12, s70, v4
	v_mad_u32_u24 v4, v12, 20, v101
	; wave barrier
	ds_read_b32 v128, v4 offset:1040
	v_and_b32_e32 v4, 1, v12
	v_add_co_u32_e32 v13, vcc, -1, v4
	v_addc_co_u32_e64 v15, s[36:37], 0, -1, vcc
	v_cmp_ne_u32_e32 vcc, 0, v4
	v_xor_b32_e32 v4, vcc_hi, v15
	v_and_b32_e32 v15, exec_hi, v4
	v_lshlrev_b32_e32 v4, 30, v12
	v_xor_b32_e32 v13, vcc_lo, v13
	v_cmp_gt_i64_e32 vcc, 0, v[3:4]
	v_not_b32_e32 v4, v4
	v_ashrrev_i32_e32 v4, 31, v4
	v_and_b32_e32 v13, exec_lo, v13
	v_xor_b32_e32 v19, vcc_hi, v4
	v_xor_b32_e32 v4, vcc_lo, v4
	v_and_b32_e32 v13, v13, v4
	v_lshlrev_b32_e32 v4, 29, v12
	v_cmp_gt_i64_e32 vcc, 0, v[3:4]
	v_not_b32_e32 v4, v4
	v_ashrrev_i32_e32 v4, 31, v4
	v_and_b32_e32 v15, v15, v19
	v_xor_b32_e32 v19, vcc_hi, v4
	v_xor_b32_e32 v4, vcc_lo, v4
	v_and_b32_e32 v13, v13, v4
	v_lshlrev_b32_e32 v4, 28, v12
	v_cmp_gt_i64_e32 vcc, 0, v[3:4]
	v_not_b32_e32 v4, v4
	v_ashrrev_i32_e32 v4, 31, v4
	v_and_b32_e32 v15, v15, v19
	;; [unrolled: 8-line block ×5, first 2 shown]
	v_xor_b32_e32 v19, vcc_hi, v4
	v_xor_b32_e32 v4, vcc_lo, v4
	v_and_b32_e32 v15, v15, v19
	v_and_b32_e32 v19, v13, v4
	v_lshlrev_b32_e32 v4, 24, v12
	v_cmp_gt_i64_e32 vcc, 0, v[3:4]
	v_not_b32_e32 v4, v4
	v_ashrrev_i32_e32 v4, 31, v4
	v_mul_u32_u24_e32 v14, 20, v12
	v_xor_b32_e32 v12, vcc_hi, v4
	v_xor_b32_e32 v4, vcc_lo, v4
	v_and_b32_e32 v13, v15, v12
	v_and_b32_e32 v12, v19, v4
	v_mbcnt_lo_u32_b32 v4, v12, 0
	v_mbcnt_hi_u32_b32 v129, v13, v4
	v_cmp_ne_u64_e32 vcc, 0, v[12:13]
	v_cmp_eq_u32_e64 s[36:37], 0, v129
	s_and_b64 s[38:39], vcc, s[36:37]
	v_add_u32_e32 v4, v101, v14
	; wave barrier
	s_and_saveexec_b64 s[36:37], s[38:39]
	s_cbranch_execz .LBB531_102
; %bb.101:                              ;   in Loop: Header=BB531_72 Depth=2
	v_bcnt_u32_b32 v12, v12, 0
	v_bcnt_u32_b32 v12, v13, v12
	s_waitcnt lgkmcnt(0)
	v_add_u32_e32 v12, v128, v12
	ds_write_b32 v4, v12 offset:1040
.LBB531_102:                            ;   in Loop: Header=BB531_72 Depth=2
	s_or_b64 exec, exec, s[36:37]
	; wave barrier
	s_waitcnt lgkmcnt(0)
	s_barrier
	ds_read2_b32 v[14:15], v105 offset1:1
	ds_read2_b32 v[12:13], v104 offset1:1
	ds_read_b32 v19, v48 offset:1056
	s_waitcnt lgkmcnt(1)
	v_add3_u32 v130, v15, v14, v12
	s_waitcnt lgkmcnt(0)
	v_add3_u32 v19, v130, v13, v19
	s_nop 1
	v_mov_b32_dpp v130, v19 row_shr:1 row_mask:0xf bank_mask:0xf
	v_cndmask_b32_e64 v130, v130, 0, s[16:17]
	v_add_u32_e32 v19, v130, v19
	s_nop 1
	v_mov_b32_dpp v130, v19 row_shr:2 row_mask:0xf bank_mask:0xf
	v_cndmask_b32_e64 v130, 0, v130, s[18:19]
	v_add_u32_e32 v19, v19, v130
	;; [unrolled: 4-line block ×4, first 2 shown]
	s_nop 1
	v_mov_b32_dpp v130, v19 row_bcast:15 row_mask:0xf bank_mask:0xf
	v_cndmask_b32_e64 v130, v130, 0, s[24:25]
	v_add_u32_e32 v19, v19, v130
	s_nop 1
	v_mov_b32_dpp v130, v19 row_bcast:31 row_mask:0xf bank_mask:0xf
	v_cndmask_b32_e64 v130, 0, v130, s[26:27]
	v_add_u32_e32 v19, v19, v130
	s_and_saveexec_b64 s[36:37], s[6:7]
; %bb.103:                              ;   in Loop: Header=BB531_72 Depth=2
	ds_write_b32 v44, v19 offset:1024
; %bb.104:                              ;   in Loop: Header=BB531_72 Depth=2
	s_or_b64 exec, exec, s[36:37]
	s_waitcnt lgkmcnt(0)
	s_barrier
	s_and_saveexec_b64 s[36:37], s[8:9]
	s_cbranch_execz .LBB531_106
; %bb.105:                              ;   in Loop: Header=BB531_72 Depth=2
	ds_read_b32 v130, v49 offset:1024
	s_waitcnt lgkmcnt(0)
	s_nop 0
	v_mov_b32_dpp v131, v130 row_shr:1 row_mask:0xf bank_mask:0xf
	v_cndmask_b32_e64 v131, v131, 0, s[30:31]
	v_add_u32_e32 v130, v131, v130
	s_nop 1
	v_mov_b32_dpp v131, v130 row_shr:2 row_mask:0xf bank_mask:0xf
	v_cndmask_b32_e64 v131, 0, v131, s[34:35]
	v_add_u32_e32 v130, v130, v131
	ds_write_b32 v49, v130 offset:1024
.LBB531_106:                            ;   in Loop: Header=BB531_72 Depth=2
	s_or_b64 exec, exec, s[36:37]
	v_mov_b32_e32 v130, 0
	s_waitcnt lgkmcnt(0)
	s_barrier
	s_and_saveexec_b64 s[36:37], s[10:11]
; %bb.107:                              ;   in Loop: Header=BB531_72 Depth=2
	ds_read_b32 v130, v44 offset:1020
; %bb.108:                              ;   in Loop: Header=BB531_72 Depth=2
	s_or_b64 exec, exec, s[36:37]
	s_waitcnt lgkmcnt(0)
	v_add_u32_e32 v19, v130, v19
	ds_bpermute_b32 v19, v84, v19
	s_waitcnt lgkmcnt(0)
	v_cndmask_b32_e64 v19, v19, v130, s[28:29]
	v_cndmask_b32_e64 v19, v19, 0, s[12:13]
	v_add_u32_e32 v14, v19, v14
	v_add_u32_e32 v15, v14, v15
	;; [unrolled: 1-line block ×4, first 2 shown]
	ds_write2_b32 v105, v19, v14 offset1:1
	ds_write2_b32 v104, v15, v12 offset1:1
	ds_write_b32 v48, v13 offset:1056
	s_waitcnt lgkmcnt(0)
	s_barrier
	ds_read_b32 v12, v107 offset:1040
	ds_read_b32 v13, v111 offset:1040
	;; [unrolled: 1-line block ×9, first 2 shown]
	v_mov_b32_e32 v4, 0x800
	s_and_saveexec_b64 s[36:37], s[14:15]
; %bb.109:                              ;   in Loop: Header=BB531_72 Depth=2
	ds_read_b32 v4, v48 offset:1060
; %bb.110:                              ;   in Loop: Header=BB531_72 Depth=2
	s_or_b64 exec, exec, s[36:37]
	s_waitcnt lgkmcnt(0)
	s_barrier
	s_and_saveexec_b64 s[36:37], s[4:5]
	s_cbranch_execz .LBB531_112
; %bb.111:                              ;   in Loop: Header=BB531_72 Depth=2
	ds_read_b32 v19, v32
	s_waitcnt lgkmcnt(0)
	v_sub_u32_e32 v18, v19, v18
	ds_write_b32 v32, v18
.LBB531_112:                            ;   in Loop: Header=BB531_72 Depth=2
	s_or_b64 exec, exec, s[36:37]
	v_add_u32_e32 v105, v12, v106
	v_add3_u32 v104, v108, v31, v13
	v_lshlrev_b32_e32 v12, 2, v105
	v_add3_u32 v31, v112, v110, v14
	ds_write_b32 v12, v103 offset:1024
	v_lshlrev_b32_e32 v12, 2, v104
	v_add3_u32 v19, v116, v114, v15
	ds_write_b32 v12, v30 offset:1024
	;; [unrolled: 3-line block ×6, first 2 shown]
	v_lshlrev_b32_e32 v12, 2, v15
	ds_write_b32 v12, v123 offset:1024
	v_lshlrev_b32_e32 v12, 2, v14
	v_cmp_lt_u32_e32 vcc, v0, v102
	ds_write_b32 v12, v127 offset:1024
	s_waitcnt lgkmcnt(0)
	s_barrier
	s_and_saveexec_b64 s[38:39], vcc
	s_cbranch_execnz .LBB531_149
; %bb.113:                              ;   in Loop: Header=BB531_72 Depth=2
	s_or_b64 exec, exec, s[38:39]
	v_cmp_lt_u32_e64 s[36:37], v33, v102
	s_and_saveexec_b64 s[40:41], s[36:37]
	s_cbranch_execnz .LBB531_150
.LBB531_114:                            ;   in Loop: Header=BB531_72 Depth=2
	s_or_b64 exec, exec, s[40:41]
	v_cmp_lt_u32_e64 s[38:39], v34, v102
	s_and_saveexec_b64 s[42:43], s[38:39]
	s_cbranch_execnz .LBB531_151
.LBB531_115:                            ;   in Loop: Header=BB531_72 Depth=2
	s_or_b64 exec, exec, s[42:43]
	v_cmp_lt_u32_e64 s[40:41], v35, v102
	s_and_saveexec_b64 s[44:45], s[40:41]
	s_cbranch_execnz .LBB531_152
.LBB531_116:                            ;   in Loop: Header=BB531_72 Depth=2
	s_or_b64 exec, exec, s[44:45]
	v_cmp_lt_u32_e64 s[42:43], v38, v102
	s_and_saveexec_b64 s[46:47], s[42:43]
	s_cbranch_execnz .LBB531_153
.LBB531_117:                            ;   in Loop: Header=BB531_72 Depth=2
	s_or_b64 exec, exec, s[46:47]
	v_cmp_lt_u32_e64 s[44:45], v39, v102
	s_and_saveexec_b64 s[48:49], s[44:45]
	s_cbranch_execnz .LBB531_154
.LBB531_118:                            ;   in Loop: Header=BB531_72 Depth=2
	s_or_b64 exec, exec, s[48:49]
	v_cmp_lt_u32_e64 s[46:47], v40, v102
	s_and_saveexec_b64 s[52:53], s[46:47]
	s_cbranch_execnz .LBB531_155
.LBB531_119:                            ;   in Loop: Header=BB531_72 Depth=2
	s_or_b64 exec, exec, s[52:53]
	v_cmp_lt_u32_e64 s[48:49], v41, v102
	s_and_saveexec_b64 s[60:61], s[48:49]
	s_cbranch_execz .LBB531_121
.LBB531_120:                            ;   in Loop: Header=BB531_72 Depth=2
	ds_read_b32 v12, v49 offset:8192
	v_mov_b32_e32 v30, s67
	s_waitcnt lgkmcnt(0)
	v_lshrrev_b32_e32 v13, s62, v12
	v_and_b32_e32 v13, s70, v13
	v_lshlrev_b32_e32 v13, 2, v13
	ds_read_b32 v16, v13
	v_mov_b32_e32 v13, v3
	v_xor_b32_e32 v103, 0x7fffffff, v12
	s_waitcnt lgkmcnt(0)
	v_add_u32_e32 v12, v16, v41
	v_lshlrev_b64 v[12:13], 2, v[12:13]
	v_add_co_u32_e64 v12, s[52:53], s66, v12
	v_addc_co_u32_e64 v13, s[52:53], v30, v13, s[52:53]
	global_store_dword v[12:13], v103, off
.LBB531_121:                            ;   in Loop: Header=BB531_72 Depth=2
	s_or_b64 exec, exec, s[60:61]
	s_lshl_b64 s[52:53], s[58:59], 3
	v_mov_b32_e32 v13, s53
	v_add_co_u32_e64 v12, s[52:53], s52, v85
	v_addc_co_u32_e64 v13, s[52:53], v86, v13, s[52:53]
	v_cmp_lt_u32_e64 s[52:53], v80, v102
	s_and_saveexec_b64 s[60:61], s[52:53]
	s_xor_b64 s[52:53], exec, s[60:61]
	s_cbranch_execnz .LBB531_156
; %bb.122:                              ;   in Loop: Header=BB531_72 Depth=2
	s_or_b64 exec, exec, s[52:53]
	v_cmp_lt_u32_e64 s[52:53], v81, v102
	s_and_saveexec_b64 s[60:61], s[52:53]
	s_cbranch_execnz .LBB531_157
.LBB531_123:                            ;   in Loop: Header=BB531_72 Depth=2
	s_or_b64 exec, exec, s[60:61]
	v_cmp_lt_u32_e64 s[52:53], v82, v102
	s_and_saveexec_b64 s[60:61], s[52:53]
	s_cbranch_execnz .LBB531_158
.LBB531_124:                            ;   in Loop: Header=BB531_72 Depth=2
	s_or_b64 exec, exec, s[60:61]
	v_cmp_lt_u32_e64 s[52:53], v83, v102
	s_and_saveexec_b64 s[60:61], s[52:53]
	s_cbranch_execnz .LBB531_159
.LBB531_125:                            ;   in Loop: Header=BB531_72 Depth=2
	s_or_b64 exec, exec, s[60:61]
	v_cmp_lt_u32_e64 s[52:53], v87, v102
	s_and_saveexec_b64 s[60:61], s[52:53]
	s_cbranch_execnz .LBB531_160
.LBB531_126:                            ;   in Loop: Header=BB531_72 Depth=2
	s_or_b64 exec, exec, s[60:61]
	v_cmp_lt_u32_e64 s[52:53], v88, v102
	s_and_saveexec_b64 s[60:61], s[52:53]
	s_cbranch_execnz .LBB531_161
.LBB531_127:                            ;   in Loop: Header=BB531_72 Depth=2
	s_or_b64 exec, exec, s[60:61]
	v_cmp_lt_u32_e64 s[52:53], v89, v102
	s_and_saveexec_b64 s[60:61], s[52:53]
	s_cbranch_execnz .LBB531_162
.LBB531_128:                            ;   in Loop: Header=BB531_72 Depth=2
	s_or_b64 exec, exec, s[60:61]
	v_cmp_lt_u32_e64 s[52:53], v90, v102
	s_and_saveexec_b64 s[60:61], s[52:53]
	s_cbranch_execnz .LBB531_163
.LBB531_129:                            ;   in Loop: Header=BB531_72 Depth=2
	s_or_b64 exec, exec, s[60:61]
	s_and_saveexec_b64 s[52:53], vcc
	s_cbranch_execnz .LBB531_164
.LBB531_130:                            ;   in Loop: Header=BB531_72 Depth=2
	s_or_b64 exec, exec, s[52:53]
	s_and_saveexec_b64 s[52:53], s[36:37]
	s_cbranch_execnz .LBB531_165
.LBB531_131:                            ;   in Loop: Header=BB531_72 Depth=2
	s_or_b64 exec, exec, s[52:53]
	s_and_saveexec_b64 s[52:53], s[38:39]
	s_cbranch_execnz .LBB531_166
.LBB531_132:                            ;   in Loop: Header=BB531_72 Depth=2
	s_or_b64 exec, exec, s[52:53]
	s_and_saveexec_b64 s[52:53], s[40:41]
	s_cbranch_execnz .LBB531_167
.LBB531_133:                            ;   in Loop: Header=BB531_72 Depth=2
	s_or_b64 exec, exec, s[52:53]
	s_and_saveexec_b64 s[52:53], s[42:43]
	s_cbranch_execnz .LBB531_168
.LBB531_134:                            ;   in Loop: Header=BB531_72 Depth=2
	s_or_b64 exec, exec, s[52:53]
	s_and_saveexec_b64 s[52:53], s[44:45]
	s_cbranch_execnz .LBB531_169
.LBB531_135:                            ;   in Loop: Header=BB531_72 Depth=2
	s_or_b64 exec, exec, s[52:53]
	s_and_saveexec_b64 s[52:53], s[46:47]
	s_cbranch_execnz .LBB531_170
.LBB531_136:                            ;   in Loop: Header=BB531_72 Depth=2
	s_or_b64 exec, exec, s[52:53]
	s_and_saveexec_b64 s[52:53], s[48:49]
	s_cbranch_execz .LBB531_138
.LBB531_137:                            ;   in Loop: Header=BB531_72 Depth=2
	ds_read_b32 v12, v49 offset:8192
	s_waitcnt lgkmcnt(0)
	v_lshrrev_b32_e32 v12, s62, v12
	v_and_b32_e32 v91, s70, v12
.LBB531_138:                            ;   in Loop: Header=BB531_72 Depth=2
	s_or_b64 exec, exec, s[52:53]
	v_lshlrev_b32_e32 v12, 3, v105
	s_waitcnt vmcnt(0)
	s_barrier
	ds_write_b64 v12, v[28:29] offset:1024
	v_lshlrev_b32_e32 v12, 3, v104
	ds_write_b64 v12, v[26:27] offset:1024
	v_lshlrev_b32_e32 v12, 3, v31
	;; [unrolled: 2-line block ×7, first 2 shown]
	ds_write_b64 v12, v[5:6] offset:1024
	s_waitcnt lgkmcnt(0)
	s_barrier
	s_and_saveexec_b64 s[52:53], vcc
	s_cbranch_execnz .LBB531_171
; %bb.139:                              ;   in Loop: Header=BB531_72 Depth=2
	s_or_b64 exec, exec, s[52:53]
	s_and_saveexec_b64 s[52:53], s[36:37]
	s_cbranch_execnz .LBB531_172
.LBB531_140:                            ;   in Loop: Header=BB531_72 Depth=2
	s_or_b64 exec, exec, s[52:53]
	s_and_saveexec_b64 s[36:37], s[38:39]
	s_cbranch_execnz .LBB531_173
.LBB531_141:                            ;   in Loop: Header=BB531_72 Depth=2
	s_or_b64 exec, exec, s[36:37]
	s_and_saveexec_b64 s[36:37], s[40:41]
	s_cbranch_execnz .LBB531_174
.LBB531_142:                            ;   in Loop: Header=BB531_72 Depth=2
	s_or_b64 exec, exec, s[36:37]
	s_and_saveexec_b64 s[36:37], s[42:43]
	s_cbranch_execnz .LBB531_175
.LBB531_143:                            ;   in Loop: Header=BB531_72 Depth=2
	s_or_b64 exec, exec, s[36:37]
	s_and_saveexec_b64 s[36:37], s[44:45]
	s_cbranch_execnz .LBB531_176
.LBB531_144:                            ;   in Loop: Header=BB531_72 Depth=2
	s_or_b64 exec, exec, s[36:37]
	s_and_saveexec_b64 s[36:37], s[46:47]
	s_cbranch_execnz .LBB531_177
.LBB531_145:                            ;   in Loop: Header=BB531_72 Depth=2
	s_or_b64 exec, exec, s[36:37]
	s_and_saveexec_b64 s[36:37], s[48:49]
	s_cbranch_execz .LBB531_147
.LBB531_146:                            ;   in Loop: Header=BB531_72 Depth=2
	v_lshlrev_b32_e32 v12, 2, v91
	ds_read_b32 v14, v12
	v_add_u32_e32 v12, v49, v32
	ds_read_b64 v[12:13], v12 offset:15360
	v_mov_b32_e32 v15, v3
	v_mov_b32_e32 v16, s73
	s_waitcnt lgkmcnt(1)
	v_add_u32_e32 v14, v14, v41
	v_lshlrev_b64 v[14:15], 3, v[14:15]
	v_add_co_u32_e32 v14, vcc, s72, v14
	v_addc_co_u32_e32 v15, vcc, v16, v15, vcc
	s_waitcnt lgkmcnt(0)
	global_store_dwordx2 v[14:15], v[12:13], off
.LBB531_147:                            ;   in Loop: Header=BB531_72 Depth=2
	s_or_b64 exec, exec, s[36:37]
	s_waitcnt vmcnt(0)
	s_barrier
	s_and_saveexec_b64 s[36:37], s[4:5]
	s_cbranch_execz .LBB531_71
; %bb.148:                              ;   in Loop: Header=BB531_72 Depth=2
	ds_read_b32 v12, v32
	s_waitcnt lgkmcnt(0)
	v_add_u32_e32 v4, v12, v4
	ds_write_b32 v32, v4
	s_branch .LBB531_71
.LBB531_149:                            ;   in Loop: Header=BB531_72 Depth=2
	ds_read_b32 v12, v49 offset:1024
	v_mov_b32_e32 v30, s67
	s_waitcnt lgkmcnt(0)
	v_lshrrev_b32_e32 v13, s62, v12
	v_and_b32_e32 v13, s70, v13
	v_lshlrev_b32_e32 v13, 2, v13
	ds_read_b32 v16, v13
	v_mov_b32_e32 v13, v3
	v_xor_b32_e32 v103, 0x7fffffff, v12
	s_waitcnt lgkmcnt(0)
	v_add_u32_e32 v12, v16, v0
	v_lshlrev_b64 v[12:13], 2, v[12:13]
	v_add_co_u32_e64 v12, s[36:37], s66, v12
	v_addc_co_u32_e64 v13, s[36:37], v30, v13, s[36:37]
	global_store_dword v[12:13], v103, off
	s_or_b64 exec, exec, s[38:39]
	v_cmp_lt_u32_e64 s[36:37], v33, v102
	s_and_saveexec_b64 s[40:41], s[36:37]
	s_cbranch_execz .LBB531_114
.LBB531_150:                            ;   in Loop: Header=BB531_72 Depth=2
	ds_read_b32 v12, v49 offset:2048
	v_mov_b32_e32 v30, s67
	s_waitcnt lgkmcnt(0)
	v_lshrrev_b32_e32 v13, s62, v12
	v_and_b32_e32 v13, s70, v13
	v_lshlrev_b32_e32 v13, 2, v13
	ds_read_b32 v16, v13
	v_mov_b32_e32 v13, v3
	v_xor_b32_e32 v103, 0x7fffffff, v12
	s_waitcnt lgkmcnt(0)
	v_add_u32_e32 v12, v16, v33
	v_lshlrev_b64 v[12:13], 2, v[12:13]
	v_add_co_u32_e64 v12, s[38:39], s66, v12
	v_addc_co_u32_e64 v13, s[38:39], v30, v13, s[38:39]
	global_store_dword v[12:13], v103, off
	s_or_b64 exec, exec, s[40:41]
	v_cmp_lt_u32_e64 s[38:39], v34, v102
	s_and_saveexec_b64 s[42:43], s[38:39]
	s_cbranch_execz .LBB531_115
.LBB531_151:                            ;   in Loop: Header=BB531_72 Depth=2
	ds_read_b32 v12, v49 offset:3072
	v_mov_b32_e32 v30, s67
	s_waitcnt lgkmcnt(0)
	v_lshrrev_b32_e32 v13, s62, v12
	v_and_b32_e32 v13, s70, v13
	v_lshlrev_b32_e32 v13, 2, v13
	ds_read_b32 v16, v13
	v_mov_b32_e32 v13, v3
	v_xor_b32_e32 v103, 0x7fffffff, v12
	s_waitcnt lgkmcnt(0)
	v_add_u32_e32 v12, v16, v34
	v_lshlrev_b64 v[12:13], 2, v[12:13]
	v_add_co_u32_e64 v12, s[40:41], s66, v12
	v_addc_co_u32_e64 v13, s[40:41], v30, v13, s[40:41]
	global_store_dword v[12:13], v103, off
	s_or_b64 exec, exec, s[42:43]
	v_cmp_lt_u32_e64 s[40:41], v35, v102
	s_and_saveexec_b64 s[44:45], s[40:41]
	s_cbranch_execz .LBB531_116
.LBB531_152:                            ;   in Loop: Header=BB531_72 Depth=2
	ds_read_b32 v12, v49 offset:4096
	v_mov_b32_e32 v30, s67
	s_waitcnt lgkmcnt(0)
	v_lshrrev_b32_e32 v13, s62, v12
	v_and_b32_e32 v13, s70, v13
	v_lshlrev_b32_e32 v13, 2, v13
	ds_read_b32 v16, v13
	v_mov_b32_e32 v13, v3
	v_xor_b32_e32 v103, 0x7fffffff, v12
	s_waitcnt lgkmcnt(0)
	v_add_u32_e32 v12, v16, v35
	v_lshlrev_b64 v[12:13], 2, v[12:13]
	v_add_co_u32_e64 v12, s[42:43], s66, v12
	v_addc_co_u32_e64 v13, s[42:43], v30, v13, s[42:43]
	global_store_dword v[12:13], v103, off
	s_or_b64 exec, exec, s[44:45]
	v_cmp_lt_u32_e64 s[42:43], v38, v102
	s_and_saveexec_b64 s[46:47], s[42:43]
	s_cbranch_execz .LBB531_117
.LBB531_153:                            ;   in Loop: Header=BB531_72 Depth=2
	ds_read_b32 v12, v49 offset:5120
	v_mov_b32_e32 v30, s67
	s_waitcnt lgkmcnt(0)
	v_lshrrev_b32_e32 v13, s62, v12
	v_and_b32_e32 v13, s70, v13
	v_lshlrev_b32_e32 v13, 2, v13
	ds_read_b32 v16, v13
	v_mov_b32_e32 v13, v3
	v_xor_b32_e32 v103, 0x7fffffff, v12
	s_waitcnt lgkmcnt(0)
	v_add_u32_e32 v12, v16, v38
	v_lshlrev_b64 v[12:13], 2, v[12:13]
	v_add_co_u32_e64 v12, s[44:45], s66, v12
	v_addc_co_u32_e64 v13, s[44:45], v30, v13, s[44:45]
	global_store_dword v[12:13], v103, off
	s_or_b64 exec, exec, s[46:47]
	v_cmp_lt_u32_e64 s[44:45], v39, v102
	s_and_saveexec_b64 s[48:49], s[44:45]
	s_cbranch_execz .LBB531_118
.LBB531_154:                            ;   in Loop: Header=BB531_72 Depth=2
	ds_read_b32 v12, v49 offset:6144
	v_mov_b32_e32 v30, s67
	s_waitcnt lgkmcnt(0)
	v_lshrrev_b32_e32 v13, s62, v12
	v_and_b32_e32 v13, s70, v13
	v_lshlrev_b32_e32 v13, 2, v13
	ds_read_b32 v16, v13
	v_mov_b32_e32 v13, v3
	v_xor_b32_e32 v103, 0x7fffffff, v12
	s_waitcnt lgkmcnt(0)
	v_add_u32_e32 v12, v16, v39
	v_lshlrev_b64 v[12:13], 2, v[12:13]
	v_add_co_u32_e64 v12, s[46:47], s66, v12
	v_addc_co_u32_e64 v13, s[46:47], v30, v13, s[46:47]
	global_store_dword v[12:13], v103, off
	s_or_b64 exec, exec, s[48:49]
	v_cmp_lt_u32_e64 s[46:47], v40, v102
	s_and_saveexec_b64 s[52:53], s[46:47]
	s_cbranch_execz .LBB531_119
.LBB531_155:                            ;   in Loop: Header=BB531_72 Depth=2
	ds_read_b32 v12, v49 offset:7168
	v_mov_b32_e32 v30, s67
	s_waitcnt lgkmcnt(0)
	v_lshrrev_b32_e32 v13, s62, v12
	v_and_b32_e32 v13, s70, v13
	v_lshlrev_b32_e32 v13, 2, v13
	ds_read_b32 v16, v13
	v_mov_b32_e32 v13, v3
	v_xor_b32_e32 v103, 0x7fffffff, v12
	s_waitcnt lgkmcnt(0)
	v_add_u32_e32 v12, v16, v40
	v_lshlrev_b64 v[12:13], 2, v[12:13]
	v_add_co_u32_e64 v12, s[48:49], s66, v12
	v_addc_co_u32_e64 v13, s[48:49], v30, v13, s[48:49]
	global_store_dword v[12:13], v103, off
	s_or_b64 exec, exec, s[52:53]
	v_cmp_lt_u32_e64 s[48:49], v41, v102
	s_and_saveexec_b64 s[60:61], s[48:49]
	s_cbranch_execnz .LBB531_120
	s_branch .LBB531_121
.LBB531_156:                            ;   in Loop: Header=BB531_72 Depth=2
	global_load_dwordx2 v[28:29], v[12:13], off
	s_or_b64 exec, exec, s[52:53]
	v_cmp_lt_u32_e64 s[52:53], v81, v102
	s_and_saveexec_b64 s[60:61], s[52:53]
	s_cbranch_execz .LBB531_123
.LBB531_157:                            ;   in Loop: Header=BB531_72 Depth=2
	global_load_dwordx2 v[26:27], v[12:13], off offset:512
	s_or_b64 exec, exec, s[60:61]
	v_cmp_lt_u32_e64 s[52:53], v82, v102
	s_and_saveexec_b64 s[60:61], s[52:53]
	s_cbranch_execz .LBB531_124
.LBB531_158:                            ;   in Loop: Header=BB531_72 Depth=2
	global_load_dwordx2 v[24:25], v[12:13], off offset:1024
	s_or_b64 exec, exec, s[60:61]
	v_cmp_lt_u32_e64 s[52:53], v83, v102
	s_and_saveexec_b64 s[60:61], s[52:53]
	s_cbranch_execz .LBB531_125
.LBB531_159:                            ;   in Loop: Header=BB531_72 Depth=2
	global_load_dwordx2 v[22:23], v[12:13], off offset:1536
	s_or_b64 exec, exec, s[60:61]
	v_cmp_lt_u32_e64 s[52:53], v87, v102
	s_and_saveexec_b64 s[60:61], s[52:53]
	s_cbranch_execz .LBB531_126
.LBB531_160:                            ;   in Loop: Header=BB531_72 Depth=2
	global_load_dwordx2 v[20:21], v[12:13], off offset:2048
	s_or_b64 exec, exec, s[60:61]
	v_cmp_lt_u32_e64 s[52:53], v88, v102
	s_and_saveexec_b64 s[60:61], s[52:53]
	s_cbranch_execz .LBB531_127
.LBB531_161:                            ;   in Loop: Header=BB531_72 Depth=2
	global_load_dwordx2 v[9:10], v[12:13], off offset:2560
	s_or_b64 exec, exec, s[60:61]
	v_cmp_lt_u32_e64 s[52:53], v89, v102
	s_and_saveexec_b64 s[60:61], s[52:53]
	s_cbranch_execz .LBB531_128
.LBB531_162:                            ;   in Loop: Header=BB531_72 Depth=2
	global_load_dwordx2 v[7:8], v[12:13], off offset:3072
	s_or_b64 exec, exec, s[60:61]
	v_cmp_lt_u32_e64 s[52:53], v90, v102
	s_and_saveexec_b64 s[60:61], s[52:53]
	s_cbranch_execz .LBB531_129
.LBB531_163:                            ;   in Loop: Header=BB531_72 Depth=2
	global_load_dwordx2 v[5:6], v[12:13], off offset:3584
	s_or_b64 exec, exec, s[60:61]
	s_and_saveexec_b64 s[52:53], vcc
	s_cbranch_execz .LBB531_130
.LBB531_164:                            ;   in Loop: Header=BB531_72 Depth=2
	ds_read_b32 v12, v49 offset:1024
	s_waitcnt lgkmcnt(0)
	v_lshrrev_b32_e32 v12, s62, v12
	v_and_b32_e32 v98, s70, v12
	s_or_b64 exec, exec, s[52:53]
	s_and_saveexec_b64 s[52:53], s[36:37]
	s_cbranch_execz .LBB531_131
.LBB531_165:                            ;   in Loop: Header=BB531_72 Depth=2
	ds_read_b32 v12, v49 offset:2048
	s_waitcnt lgkmcnt(0)
	v_lshrrev_b32_e32 v12, s62, v12
	v_and_b32_e32 v97, s70, v12
	s_or_b64 exec, exec, s[52:53]
	s_and_saveexec_b64 s[52:53], s[38:39]
	s_cbranch_execz .LBB531_132
.LBB531_166:                            ;   in Loop: Header=BB531_72 Depth=2
	ds_read_b32 v12, v49 offset:3072
	s_waitcnt lgkmcnt(0)
	v_lshrrev_b32_e32 v12, s62, v12
	v_and_b32_e32 v96, s70, v12
	s_or_b64 exec, exec, s[52:53]
	s_and_saveexec_b64 s[52:53], s[40:41]
	s_cbranch_execz .LBB531_133
.LBB531_167:                            ;   in Loop: Header=BB531_72 Depth=2
	ds_read_b32 v12, v49 offset:4096
	s_waitcnt lgkmcnt(0)
	v_lshrrev_b32_e32 v12, s62, v12
	v_and_b32_e32 v95, s70, v12
	s_or_b64 exec, exec, s[52:53]
	s_and_saveexec_b64 s[52:53], s[42:43]
	s_cbranch_execz .LBB531_134
.LBB531_168:                            ;   in Loop: Header=BB531_72 Depth=2
	ds_read_b32 v12, v49 offset:5120
	s_waitcnt lgkmcnt(0)
	v_lshrrev_b32_e32 v12, s62, v12
	v_and_b32_e32 v94, s70, v12
	s_or_b64 exec, exec, s[52:53]
	s_and_saveexec_b64 s[52:53], s[44:45]
	s_cbranch_execz .LBB531_135
.LBB531_169:                            ;   in Loop: Header=BB531_72 Depth=2
	ds_read_b32 v12, v49 offset:6144
	s_waitcnt lgkmcnt(0)
	v_lshrrev_b32_e32 v12, s62, v12
	v_and_b32_e32 v93, s70, v12
	s_or_b64 exec, exec, s[52:53]
	s_and_saveexec_b64 s[52:53], s[46:47]
	s_cbranch_execz .LBB531_136
.LBB531_170:                            ;   in Loop: Header=BB531_72 Depth=2
	ds_read_b32 v12, v49 offset:7168
	s_waitcnt lgkmcnt(0)
	v_lshrrev_b32_e32 v12, s62, v12
	v_and_b32_e32 v92, s70, v12
	s_or_b64 exec, exec, s[52:53]
	s_and_saveexec_b64 s[52:53], s[48:49]
	s_cbranch_execnz .LBB531_137
	s_branch .LBB531_138
.LBB531_171:                            ;   in Loop: Header=BB531_72 Depth=2
	v_lshlrev_b32_e32 v12, 2, v98
	ds_read_b32 v14, v12
	v_add_u32_e32 v12, v49, v32
	ds_read_b64 v[12:13], v12 offset:1024
	v_mov_b32_e32 v15, v3
	v_mov_b32_e32 v16, s73
	s_waitcnt lgkmcnt(1)
	v_add_u32_e32 v14, v14, v0
	v_lshlrev_b64 v[14:15], 3, v[14:15]
	v_add_co_u32_e32 v14, vcc, s72, v14
	v_addc_co_u32_e32 v15, vcc, v16, v15, vcc
	s_waitcnt lgkmcnt(0)
	global_store_dwordx2 v[14:15], v[12:13], off
	s_or_b64 exec, exec, s[52:53]
	s_and_saveexec_b64 s[52:53], s[36:37]
	s_cbranch_execz .LBB531_140
.LBB531_172:                            ;   in Loop: Header=BB531_72 Depth=2
	v_lshlrev_b32_e32 v12, 2, v97
	ds_read_b32 v14, v12
	v_add_u32_e32 v12, v49, v32
	ds_read_b64 v[12:13], v12 offset:3072
	v_mov_b32_e32 v15, v3
	v_mov_b32_e32 v16, s73
	s_waitcnt lgkmcnt(1)
	v_add_u32_e32 v14, v14, v33
	v_lshlrev_b64 v[14:15], 3, v[14:15]
	v_add_co_u32_e32 v14, vcc, s72, v14
	v_addc_co_u32_e32 v15, vcc, v16, v15, vcc
	s_waitcnt lgkmcnt(0)
	global_store_dwordx2 v[14:15], v[12:13], off
	s_or_b64 exec, exec, s[52:53]
	s_and_saveexec_b64 s[36:37], s[38:39]
	s_cbranch_execz .LBB531_141
.LBB531_173:                            ;   in Loop: Header=BB531_72 Depth=2
	v_lshlrev_b32_e32 v12, 2, v96
	ds_read_b32 v14, v12
	v_add_u32_e32 v12, v49, v32
	ds_read_b64 v[12:13], v12 offset:5120
	v_mov_b32_e32 v15, v3
	v_mov_b32_e32 v16, s73
	s_waitcnt lgkmcnt(1)
	v_add_u32_e32 v14, v14, v34
	v_lshlrev_b64 v[14:15], 3, v[14:15]
	v_add_co_u32_e32 v14, vcc, s72, v14
	v_addc_co_u32_e32 v15, vcc, v16, v15, vcc
	s_waitcnt lgkmcnt(0)
	global_store_dwordx2 v[14:15], v[12:13], off
	s_or_b64 exec, exec, s[36:37]
	s_and_saveexec_b64 s[36:37], s[40:41]
	s_cbranch_execz .LBB531_142
.LBB531_174:                            ;   in Loop: Header=BB531_72 Depth=2
	v_lshlrev_b32_e32 v12, 2, v95
	ds_read_b32 v14, v12
	v_add_u32_e32 v12, v49, v32
	ds_read_b64 v[12:13], v12 offset:7168
	v_mov_b32_e32 v15, v3
	v_mov_b32_e32 v16, s73
	s_waitcnt lgkmcnt(1)
	v_add_u32_e32 v14, v14, v35
	v_lshlrev_b64 v[14:15], 3, v[14:15]
	v_add_co_u32_e32 v14, vcc, s72, v14
	v_addc_co_u32_e32 v15, vcc, v16, v15, vcc
	s_waitcnt lgkmcnt(0)
	global_store_dwordx2 v[14:15], v[12:13], off
	s_or_b64 exec, exec, s[36:37]
	s_and_saveexec_b64 s[36:37], s[42:43]
	s_cbranch_execz .LBB531_143
.LBB531_175:                            ;   in Loop: Header=BB531_72 Depth=2
	v_lshlrev_b32_e32 v12, 2, v94
	ds_read_b32 v14, v12
	v_add_u32_e32 v12, v49, v32
	ds_read_b64 v[12:13], v12 offset:9216
	v_mov_b32_e32 v15, v3
	v_mov_b32_e32 v16, s73
	s_waitcnt lgkmcnt(1)
	v_add_u32_e32 v14, v14, v38
	v_lshlrev_b64 v[14:15], 3, v[14:15]
	v_add_co_u32_e32 v14, vcc, s72, v14
	v_addc_co_u32_e32 v15, vcc, v16, v15, vcc
	s_waitcnt lgkmcnt(0)
	global_store_dwordx2 v[14:15], v[12:13], off
	s_or_b64 exec, exec, s[36:37]
	s_and_saveexec_b64 s[36:37], s[44:45]
	s_cbranch_execz .LBB531_144
.LBB531_176:                            ;   in Loop: Header=BB531_72 Depth=2
	v_lshlrev_b32_e32 v12, 2, v93
	ds_read_b32 v14, v12
	v_add_u32_e32 v12, v49, v32
	ds_read_b64 v[12:13], v12 offset:11264
	v_mov_b32_e32 v15, v3
	v_mov_b32_e32 v16, s73
	s_waitcnt lgkmcnt(1)
	v_add_u32_e32 v14, v14, v39
	v_lshlrev_b64 v[14:15], 3, v[14:15]
	v_add_co_u32_e32 v14, vcc, s72, v14
	v_addc_co_u32_e32 v15, vcc, v16, v15, vcc
	s_waitcnt lgkmcnt(0)
	global_store_dwordx2 v[14:15], v[12:13], off
	s_or_b64 exec, exec, s[36:37]
	s_and_saveexec_b64 s[36:37], s[46:47]
	s_cbranch_execz .LBB531_145
.LBB531_177:                            ;   in Loop: Header=BB531_72 Depth=2
	v_lshlrev_b32_e32 v12, 2, v92
	ds_read_b32 v14, v12
	v_add_u32_e32 v12, v49, v32
	ds_read_b64 v[12:13], v12 offset:13312
	v_mov_b32_e32 v15, v3
	v_mov_b32_e32 v16, s73
	s_waitcnt lgkmcnt(1)
	v_add_u32_e32 v14, v14, v40
	v_lshlrev_b64 v[14:15], 3, v[14:15]
	v_add_co_u32_e32 v14, vcc, s72, v14
	v_addc_co_u32_e32 v15, vcc, v16, v15, vcc
	s_waitcnt lgkmcnt(0)
	global_store_dwordx2 v[14:15], v[12:13], off
	s_or_b64 exec, exec, s[36:37]
	s_and_saveexec_b64 s[36:37], s[48:49]
	s_cbranch_execnz .LBB531_146
	s_branch .LBB531_147
.LBB531_178:                            ;   in Loop: Header=BB531_72 Depth=2
	global_load_dword v12, v[30:31], off
	v_mov_b32_e32 v13, v11
	v_mov_b32_e32 v14, v11
	;; [unrolled: 1-line block ×7, first 2 shown]
	s_or_b64 exec, exec, s[36:37]
	v_cmp_gt_u32_e32 vcc, s71, v81
	s_and_saveexec_b64 s[36:37], vcc
	s_cbranch_execz .LBB531_77
.LBB531_179:                            ;   in Loop: Header=BB531_72 Depth=2
	global_load_dword v13, v[30:31], off offset:256
	s_or_b64 exec, exec, s[36:37]
	v_cmp_gt_u32_e32 vcc, s71, v82
	s_and_saveexec_b64 s[36:37], vcc
	s_cbranch_execz .LBB531_78
.LBB531_180:                            ;   in Loop: Header=BB531_72 Depth=2
	global_load_dword v14, v[30:31], off offset:512
	s_or_b64 exec, exec, s[36:37]
	v_cmp_gt_u32_e32 vcc, s71, v83
	s_and_saveexec_b64 s[36:37], vcc
	s_cbranch_execz .LBB531_79
.LBB531_181:                            ;   in Loop: Header=BB531_72 Depth=2
	global_load_dword v15, v[30:31], off offset:768
	s_or_b64 exec, exec, s[36:37]
	v_cmp_gt_u32_e32 vcc, s71, v87
	s_and_saveexec_b64 s[36:37], vcc
	s_cbranch_execz .LBB531_80
.LBB531_182:                            ;   in Loop: Header=BB531_72 Depth=2
	global_load_dword v16, v[30:31], off offset:1024
	s_or_b64 exec, exec, s[36:37]
	v_cmp_gt_u32_e32 vcc, s71, v88
	s_and_saveexec_b64 s[36:37], vcc
	s_cbranch_execz .LBB531_81
.LBB531_183:                            ;   in Loop: Header=BB531_72 Depth=2
	global_load_dword v17, v[30:31], off offset:1280
	s_or_b64 exec, exec, s[36:37]
	v_cmp_gt_u32_e32 vcc, s71, v89
	s_and_saveexec_b64 s[36:37], vcc
	s_cbranch_execnz .LBB531_82
	s_branch .LBB531_83
.LBB531_184:                            ;   in Loop: Header=BB531_20 Depth=1
	s_waitcnt lgkmcnt(0)
	s_barrier
	s_mov_b64 s[16:17], 0
.LBB531_185:                            ;   in Loop: Header=BB531_20 Depth=1
	s_and_b64 vcc, exec, s[16:17]
	s_cbranch_vccz .LBB531_349
; %bb.186:                              ;   in Loop: Header=BB531_20 Depth=1
	v_mov_b32_e32 v10, v3
	v_mov_b32_e32 v4, v3
	;; [unrolled: 1-line block ×8, first 2 shown]
	s_mov_b32 s20, s79
	s_mov_b32 s58, s51
	v_mov_b32_e32 v18, v9
	v_mov_b32_e32 v17, v8
	;; [unrolled: 1-line block ×7, first 2 shown]
	s_barrier
	s_branch .LBB531_188
.LBB531_187:                            ;   in Loop: Header=BB531_188 Depth=2
	s_or_b64 exec, exec, s[16:17]
	s_addk_i32 s20, 0xf800
	s_cmp_ge_u32 s21, s63
	s_mov_b32 s58, s21
	s_cbranch_scc1 .LBB531_224
.LBB531_188:                            ;   Parent Loop BB531_20 Depth=1
                                        ; =>  This Inner Loop Header: Depth=2
	s_add_i32 s21, s58, 0x800
	s_cmp_gt_u32 s21, s63
	s_mov_b64 s[16:17], -1
                                        ; implicit-def: $vgpr20_vgpr21_vgpr22_vgpr23_vgpr24_vgpr25_vgpr26_vgpr27
	s_cbranch_scc1 .LBB531_190
; %bb.189:                              ;   in Loop: Header=BB531_188 Depth=2
	s_lshl_b64 s[16:17], s[58:59], 2
	v_mov_b32_e32 v5, s17
	v_add_co_u32_e32 v4, vcc, s16, v54
	v_addc_co_u32_e32 v5, vcc, v55, v5, vcc
	v_add_co_u32_e32 v6, vcc, 0x1000, v4
	v_addc_co_u32_e32 v7, vcc, 0, v5, vcc
	global_load_dword v20, v[4:5], off
	global_load_dword v21, v[4:5], off offset:1024
	global_load_dword v22, v[4:5], off offset:2048
	;; [unrolled: 1-line block ×3, first 2 shown]
	global_load_dword v24, v[6:7], off
	global_load_dword v25, v[6:7], off offset:1024
	global_load_dword v26, v[6:7], off offset:2048
	;; [unrolled: 1-line block ×3, first 2 shown]
	s_mov_b64 s[16:17], 0
.LBB531_190:                            ;   in Loop: Header=BB531_188 Depth=2
	s_andn2_b64 vcc, exec, s[16:17]
	s_movk_i32 s18, 0x800
	s_cbranch_vccnz .LBB531_201
; %bb.191:                              ;   in Loop: Header=BB531_188 Depth=2
	s_lshl_b64 s[16:17], s[58:59], 2
	s_add_u32 s16, s66, s16
	s_addc_u32 s17, s67, s17
	v_cmp_gt_u32_e32 vcc, s20, v0
	s_and_saveexec_b64 s[18:19], vcc
	s_cbranch_execnz .LBB531_217
; %bb.192:                              ;   in Loop: Header=BB531_188 Depth=2
	s_or_b64 exec, exec, s[18:19]
	v_cmp_gt_u32_e32 vcc, s20, v33
	s_and_saveexec_b64 s[18:19], vcc
	s_cbranch_execnz .LBB531_218
.LBB531_193:                            ;   in Loop: Header=BB531_188 Depth=2
	s_or_b64 exec, exec, s[18:19]
	v_cmp_gt_u32_e32 vcc, s20, v34
	s_and_saveexec_b64 s[18:19], vcc
	s_cbranch_execnz .LBB531_219
.LBB531_194:                            ;   in Loop: Header=BB531_188 Depth=2
	s_or_b64 exec, exec, s[18:19]
	v_cmp_gt_u32_e32 vcc, s20, v35
	s_and_saveexec_b64 s[18:19], vcc
	s_cbranch_execnz .LBB531_220
.LBB531_195:                            ;   in Loop: Header=BB531_188 Depth=2
	s_or_b64 exec, exec, s[18:19]
	v_cmp_gt_u32_e32 vcc, s20, v38
	s_and_saveexec_b64 s[18:19], vcc
	s_cbranch_execnz .LBB531_221
.LBB531_196:                            ;   in Loop: Header=BB531_188 Depth=2
	s_or_b64 exec, exec, s[18:19]
	v_cmp_gt_u32_e32 vcc, s20, v39
	s_and_saveexec_b64 s[18:19], vcc
	s_cbranch_execnz .LBB531_222
.LBB531_197:                            ;   in Loop: Header=BB531_188 Depth=2
	s_or_b64 exec, exec, s[18:19]
	v_cmp_gt_u32_e32 vcc, s20, v40
	s_and_saveexec_b64 s[18:19], vcc
	s_cbranch_execnz .LBB531_223
.LBB531_198:                            ;   in Loop: Header=BB531_188 Depth=2
	s_or_b64 exec, exec, s[18:19]
	v_cmp_gt_u32_e32 vcc, s20, v41
	s_and_saveexec_b64 s[18:19], vcc
	s_cbranch_execz .LBB531_200
.LBB531_199:                            ;   in Loop: Header=BB531_188 Depth=2
	global_load_dword v19, v71, s[16:17]
.LBB531_200:                            ;   in Loop: Header=BB531_188 Depth=2
	s_or_b64 exec, exec, s[18:19]
	s_waitcnt vmcnt(0)
	v_mov_b32_e32 v27, v19
	s_mov_b32 s18, s20
	v_mov_b32_e32 v26, v18
	v_mov_b32_e32 v25, v17
	;; [unrolled: 1-line block ×7, first 2 shown]
.LBB531_201:                            ;   in Loop: Header=BB531_188 Depth=2
	s_waitcnt vmcnt(0)
	v_mov_b32_e32 v12, v20
	v_mov_b32_e32 v13, v21
	;; [unrolled: 1-line block ×8, first 2 shown]
	v_cmp_gt_u32_e32 vcc, s18, v0
	s_and_saveexec_b64 s[16:17], vcc
	s_cbranch_execnz .LBB531_209
; %bb.202:                              ;   in Loop: Header=BB531_188 Depth=2
	s_or_b64 exec, exec, s[16:17]
	v_cmp_gt_u32_e32 vcc, s18, v33
	s_and_saveexec_b64 s[16:17], vcc
	s_cbranch_execnz .LBB531_210
.LBB531_203:                            ;   in Loop: Header=BB531_188 Depth=2
	s_or_b64 exec, exec, s[16:17]
	v_cmp_gt_u32_e32 vcc, s18, v34
	s_and_saveexec_b64 s[16:17], vcc
	s_cbranch_execnz .LBB531_211
.LBB531_204:                            ;   in Loop: Header=BB531_188 Depth=2
	s_or_b64 exec, exec, s[16:17]
	v_cmp_gt_u32_e32 vcc, s18, v35
	s_and_saveexec_b64 s[16:17], vcc
	s_cbranch_execnz .LBB531_212
.LBB531_205:                            ;   in Loop: Header=BB531_188 Depth=2
	s_or_b64 exec, exec, s[16:17]
	v_cmp_gt_u32_e32 vcc, s18, v38
	s_and_saveexec_b64 s[16:17], vcc
	s_cbranch_execnz .LBB531_213
.LBB531_206:                            ;   in Loop: Header=BB531_188 Depth=2
	s_or_b64 exec, exec, s[16:17]
	v_cmp_gt_u32_e32 vcc, s18, v39
	s_and_saveexec_b64 s[16:17], vcc
	s_cbranch_execnz .LBB531_214
.LBB531_207:                            ;   in Loop: Header=BB531_188 Depth=2
	s_or_b64 exec, exec, s[16:17]
	v_cmp_gt_u32_e32 vcc, s18, v40
	s_and_saveexec_b64 s[16:17], vcc
	s_cbranch_execnz .LBB531_215
.LBB531_208:                            ;   in Loop: Header=BB531_188 Depth=2
	s_or_b64 exec, exec, s[16:17]
	v_cmp_gt_u32_e32 vcc, s18, v41
	s_and_saveexec_b64 s[16:17], vcc
	s_cbranch_execz .LBB531_187
	s_branch .LBB531_216
.LBB531_209:                            ;   in Loop: Header=BB531_188 Depth=2
	v_xor_b32_e32 v4, 0x7fffffff, v12
	v_lshrrev_b32_e32 v4, s62, v4
	v_and_b32_e32 v4, s70, v4
	v_lshl_or_b32 v4, v4, 4, v42
	ds_add_u32 v4, v66
	s_or_b64 exec, exec, s[16:17]
	v_cmp_gt_u32_e32 vcc, s18, v33
	s_and_saveexec_b64 s[16:17], vcc
	s_cbranch_execz .LBB531_203
.LBB531_210:                            ;   in Loop: Header=BB531_188 Depth=2
	v_xor_b32_e32 v4, 0x7fffffff, v13
	v_lshrrev_b32_e32 v4, s62, v4
	v_and_b32_e32 v4, s70, v4
	v_lshl_or_b32 v4, v4, 4, v42
	ds_add_u32 v4, v66
	s_or_b64 exec, exec, s[16:17]
	v_cmp_gt_u32_e32 vcc, s18, v34
	s_and_saveexec_b64 s[16:17], vcc
	s_cbranch_execz .LBB531_204
.LBB531_211:                            ;   in Loop: Header=BB531_188 Depth=2
	v_xor_b32_e32 v4, 0x7fffffff, v14
	v_lshrrev_b32_e32 v4, s62, v4
	v_and_b32_e32 v4, s70, v4
	v_lshl_or_b32 v4, v4, 4, v42
	ds_add_u32 v4, v66
	s_or_b64 exec, exec, s[16:17]
	v_cmp_gt_u32_e32 vcc, s18, v35
	s_and_saveexec_b64 s[16:17], vcc
	s_cbranch_execz .LBB531_205
.LBB531_212:                            ;   in Loop: Header=BB531_188 Depth=2
	v_xor_b32_e32 v4, 0x7fffffff, v15
	v_lshrrev_b32_e32 v4, s62, v4
	v_and_b32_e32 v4, s70, v4
	v_lshl_or_b32 v4, v4, 4, v42
	ds_add_u32 v4, v66
	s_or_b64 exec, exec, s[16:17]
	v_cmp_gt_u32_e32 vcc, s18, v38
	s_and_saveexec_b64 s[16:17], vcc
	s_cbranch_execz .LBB531_206
.LBB531_213:                            ;   in Loop: Header=BB531_188 Depth=2
	v_xor_b32_e32 v4, 0x7fffffff, v16
	v_lshrrev_b32_e32 v4, s62, v4
	v_and_b32_e32 v4, s70, v4
	v_lshl_or_b32 v4, v4, 4, v42
	ds_add_u32 v4, v66
	s_or_b64 exec, exec, s[16:17]
	v_cmp_gt_u32_e32 vcc, s18, v39
	s_and_saveexec_b64 s[16:17], vcc
	s_cbranch_execz .LBB531_207
.LBB531_214:                            ;   in Loop: Header=BB531_188 Depth=2
	v_xor_b32_e32 v4, 0x7fffffff, v17
	v_lshrrev_b32_e32 v4, s62, v4
	v_and_b32_e32 v4, s70, v4
	v_lshl_or_b32 v4, v4, 4, v42
	ds_add_u32 v4, v66
	s_or_b64 exec, exec, s[16:17]
	v_cmp_gt_u32_e32 vcc, s18, v40
	s_and_saveexec_b64 s[16:17], vcc
	s_cbranch_execz .LBB531_208
.LBB531_215:                            ;   in Loop: Header=BB531_188 Depth=2
	v_xor_b32_e32 v4, 0x7fffffff, v18
	v_lshrrev_b32_e32 v4, s62, v4
	v_and_b32_e32 v4, s70, v4
	v_lshl_or_b32 v4, v4, 4, v42
	ds_add_u32 v4, v66
	s_or_b64 exec, exec, s[16:17]
	v_cmp_gt_u32_e32 vcc, s18, v41
	s_and_saveexec_b64 s[16:17], vcc
	s_cbranch_execz .LBB531_187
.LBB531_216:                            ;   in Loop: Header=BB531_188 Depth=2
	v_xor_b32_e32 v4, 0x7fffffff, v19
	v_lshrrev_b32_e32 v4, s62, v4
	v_and_b32_e32 v4, s70, v4
	v_lshl_or_b32 v4, v4, 4, v42
	ds_add_u32 v4, v66
	s_branch .LBB531_187
.LBB531_217:                            ;   in Loop: Header=BB531_188 Depth=2
	global_load_dword v12, v67, s[16:17]
	s_or_b64 exec, exec, s[18:19]
	v_cmp_gt_u32_e32 vcc, s20, v33
	s_and_saveexec_b64 s[18:19], vcc
	s_cbranch_execz .LBB531_193
.LBB531_218:                            ;   in Loop: Header=BB531_188 Depth=2
	global_load_dword v13, v67, s[16:17] offset:1024
	s_or_b64 exec, exec, s[18:19]
	v_cmp_gt_u32_e32 vcc, s20, v34
	s_and_saveexec_b64 s[18:19], vcc
	s_cbranch_execz .LBB531_194
.LBB531_219:                            ;   in Loop: Header=BB531_188 Depth=2
	global_load_dword v14, v67, s[16:17] offset:2048
	s_or_b64 exec, exec, s[18:19]
	v_cmp_gt_u32_e32 vcc, s20, v35
	s_and_saveexec_b64 s[18:19], vcc
	s_cbranch_execz .LBB531_195
.LBB531_220:                            ;   in Loop: Header=BB531_188 Depth=2
	global_load_dword v15, v67, s[16:17] offset:3072
	s_or_b64 exec, exec, s[18:19]
	v_cmp_gt_u32_e32 vcc, s20, v38
	s_and_saveexec_b64 s[18:19], vcc
	s_cbranch_execz .LBB531_196
.LBB531_221:                            ;   in Loop: Header=BB531_188 Depth=2
	global_load_dword v16, v68, s[16:17]
	s_or_b64 exec, exec, s[18:19]
	v_cmp_gt_u32_e32 vcc, s20, v39
	s_and_saveexec_b64 s[18:19], vcc
	s_cbranch_execz .LBB531_197
.LBB531_222:                            ;   in Loop: Header=BB531_188 Depth=2
	global_load_dword v17, v69, s[16:17]
	s_or_b64 exec, exec, s[18:19]
	v_cmp_gt_u32_e32 vcc, s20, v40
	s_and_saveexec_b64 s[18:19], vcc
	s_cbranch_execz .LBB531_198
.LBB531_223:                            ;   in Loop: Header=BB531_188 Depth=2
	global_load_dword v18, v70, s[16:17]
	s_or_b64 exec, exec, s[18:19]
	v_cmp_gt_u32_e32 vcc, s20, v41
	s_and_saveexec_b64 s[18:19], vcc
	s_cbranch_execnz .LBB531_199
	s_branch .LBB531_200
.LBB531_224:                            ;   in Loop: Header=BB531_20 Depth=1
	v_mov_b32_e32 v4, 0
	s_waitcnt lgkmcnt(0)
	s_barrier
	s_and_saveexec_b64 s[16:17], s[4:5]
	s_cbranch_execz .LBB531_226
; %bb.225:                              ;   in Loop: Header=BB531_20 Depth=1
	ds_read2_b64 v[4:7], v43 offset1:1
	s_waitcnt lgkmcnt(0)
	v_add_u32_e32 v4, v5, v4
	v_add3_u32 v4, v4, v6, v7
.LBB531_226:                            ;   in Loop: Header=BB531_20 Depth=1
	s_or_b64 exec, exec, s[16:17]
	s_nop 0
	v_mov_b32_dpp v5, v4 row_shr:1 row_mask:0xf bank_mask:0xf
	v_cmp_eq_u32_e64 s[16:17], 0, v73
	v_cndmask_b32_e64 v5, v5, 0, s[16:17]
	v_add_u32_e32 v4, v5, v4
	v_cmp_lt_u32_e64 s[18:19], 1, v73
	v_cmp_lt_u32_e64 s[20:21], 3, v73
	v_mov_b32_dpp v5, v4 row_shr:2 row_mask:0xf bank_mask:0xf
	v_cndmask_b32_e64 v5, 0, v5, s[18:19]
	v_add_u32_e32 v4, v4, v5
	v_cmp_lt_u32_e64 s[22:23], 7, v73
	v_cmp_lt_u32_e64 s[26:27], 31, v72
	v_mov_b32_dpp v5, v4 row_shr:4 row_mask:0xf bank_mask:0xf
	v_cndmask_b32_e64 v5, 0, v5, s[20:21]
	v_add_u32_e32 v4, v4, v5
	v_cmp_eq_u32_e64 s[24:25], 0, v75
	s_nop 0
	v_mov_b32_dpp v5, v4 row_shr:8 row_mask:0xf bank_mask:0xf
	v_cndmask_b32_e64 v5, 0, v5, s[22:23]
	v_add_u32_e32 v4, v4, v5
	s_nop 1
	v_mov_b32_dpp v5, v4 row_bcast:15 row_mask:0xf bank_mask:0xf
	v_and_b32_e32 v5, v74, v5
	v_add_u32_e32 v4, v4, v5
	s_nop 1
	v_mov_b32_dpp v5, v4 row_bcast:31 row_mask:0xf bank_mask:0xf
	v_cndmask_b32_e64 v5, 0, v5, s[26:27]
	v_add_u32_e32 v4, v4, v5
	s_and_saveexec_b64 s[28:29], s[6:7]
; %bb.227:                              ;   in Loop: Header=BB531_20 Depth=1
	ds_write_b32 v45, v4
; %bb.228:                              ;   in Loop: Header=BB531_20 Depth=1
	s_or_b64 exec, exec, s[28:29]
	s_waitcnt lgkmcnt(0)
	s_barrier
	s_and_saveexec_b64 s[28:29], s[8:9]
	s_cbranch_execz .LBB531_230
; %bb.229:                              ;   in Loop: Header=BB531_20 Depth=1
	ds_read_b32 v5, v46
	v_cmp_ne_u32_e32 vcc, 0, v76
	s_waitcnt lgkmcnt(0)
	v_mov_b32_dpp v6, v5 row_shr:1 row_mask:0xf bank_mask:0xf
	v_cndmask_b32_e32 v6, 0, v6, vcc
	v_add_u32_e32 v5, v6, v5
	v_cmp_lt_u32_e32 vcc, 1, v76
	s_nop 0
	v_mov_b32_dpp v6, v5 row_shr:2 row_mask:0xf bank_mask:0xf
	v_cndmask_b32_e32 v6, 0, v6, vcc
	v_add_u32_e32 v5, v5, v6
	ds_write_b32 v46, v5
.LBB531_230:                            ;   in Loop: Header=BB531_20 Depth=1
	s_or_b64 exec, exec, s[28:29]
	v_mov_b32_e32 v5, 0
	s_waitcnt lgkmcnt(0)
	s_barrier
	s_and_saveexec_b64 s[28:29], s[10:11]
; %bb.231:                              ;   in Loop: Header=BB531_20 Depth=1
	ds_read_b32 v5, v47
; %bb.232:                              ;   in Loop: Header=BB531_20 Depth=1
	s_or_b64 exec, exec, s[28:29]
	v_subrev_co_u32_e64 v6, s[28:29], 1, v72
	v_cmp_lt_i32_e32 vcc, v6, v77
	v_cndmask_b32_e32 v6, v6, v72, vcc
	s_waitcnt lgkmcnt(0)
	v_add_u32_e32 v4, v5, v4
	v_lshlrev_b32_e32 v84, 2, v6
	ds_bpermute_b32 v4, v84, v4
	s_waitcnt lgkmcnt(0)
	s_barrier
	s_and_saveexec_b64 s[30:31], s[4:5]
; %bb.233:                              ;   in Loop: Header=BB531_20 Depth=1
	v_cndmask_b32_e64 v4, v4, v5, s[28:29]
	v_add_u32_e32 v4, s51, v4
	ds_write_b32 v32, v4
; %bb.234:                              ;   in Loop: Header=BB531_20 Depth=1
	s_or_b64 exec, exec, s[30:31]
	s_load_dwordx2 s[30:31], s[56:57], 0x0
	v_add_co_u32_e32 v85, vcc, v56, v79
	v_addc_co_u32_e32 v86, vcc, 0, v57, vcc
	s_waitcnt lgkmcnt(0)
	s_cmp_lt_u32 s33, s31
	s_cselect_b32 s31, 14, 20
	s_add_u32 s34, s56, s31
	s_addc_u32 s35, s57, 0
	s_cmp_lt_u32 s50, s30
	s_cselect_b32 s30, 12, 18
	s_add_u32 s30, s56, s30
	global_load_ushort v4, v3, s[34:35]
	s_addc_u32 s31, s57, 0
	global_load_ushort v12, v3, s[30:31]
	v_lshlrev_b32_e32 v14, 2, v78
	v_add_co_u32_e32 v98, vcc, v58, v14
	v_cmp_eq_u32_e64 s[30:31], 0, v76
	v_cmp_lt_u32_e64 s[34:35], 1, v76
	v_or_b32_e32 v87, 0x100, v80
	v_or_b32_e32 v88, 0x140, v80
	;; [unrolled: 1-line block ×4, first 2 shown]
	s_mov_b32 s71, s79
	v_addc_co_u32_e32 v100, vcc, 0, v59, vcc
	s_mov_b32 s58, s51
                                        ; implicit-def: $vgpr5_vgpr6
                                        ; implicit-def: $vgpr7_vgpr8
                                        ; implicit-def: $vgpr9_vgpr10
                                        ; implicit-def: $vgpr20_vgpr21
                                        ; implicit-def: $vgpr22_vgpr23
                                        ; implicit-def: $vgpr24_vgpr25
                                        ; implicit-def: $vgpr26_vgpr27
                                        ; implicit-def: $vgpr28_vgpr29
                                        ; implicit-def: $vgpr91
                                        ; implicit-def: $vgpr92
                                        ; implicit-def: $vgpr93
                                        ; implicit-def: $vgpr94
                                        ; implicit-def: $vgpr95
                                        ; implicit-def: $vgpr96
                                        ; implicit-def: $vgpr97
                                        ; implicit-def: $vgpr99
	s_waitcnt vmcnt(1)
	v_mad_u32_u24 v4, v2, v4, v1
	s_waitcnt vmcnt(0)
	v_mad_u64_u32 v[12:13], s[36:37], v4, v12, v[0:1]
	v_lshrrev_b32_e32 v4, 4, v12
	v_and_b32_e32 v101, 0xffffffc, v4
	s_branch .LBB531_236
.LBB531_235:                            ;   in Loop: Header=BB531_236 Depth=2
	s_or_b64 exec, exec, s[36:37]
	s_addk_i32 s71, 0xf800
	s_cmp_lt_u32 s76, s63
	s_mov_b32 s58, s76
	s_cbranch_scc0 .LBB531_348
.LBB531_236:                            ;   Parent Loop BB531_20 Depth=1
                                        ; =>  This Inner Loop Header: Depth=2
	s_add_i32 s76, s58, 0x800
	s_cmp_gt_u32 s76, s63
	s_cbranch_scc1 .LBB531_238
; %bb.237:                              ;   in Loop: Header=BB531_236 Depth=2
	s_lshl_b64 s[36:37], s[58:59], 2
	v_mov_b32_e32 v4, s37
	v_add_co_u32_e32 v18, vcc, s36, v98
	v_addc_co_u32_e32 v19, vcc, v100, v4, vcc
	global_load_dword v12, v[18:19], off
	global_load_dword v13, v[18:19], off offset:256
	global_load_dword v14, v[18:19], off offset:512
	;; [unrolled: 1-line block ×5, first 2 shown]
	s_nop 0
	global_load_dword v18, v[18:19], off offset:1536
	s_mov_b64 s[36:37], -1
	s_movk_i32 s40, 0x800
	s_cbranch_execz .LBB531_239
	s_branch .LBB531_248
.LBB531_238:                            ;   in Loop: Header=BB531_236 Depth=2
	s_mov_b64 s[36:37], 0
                                        ; implicit-def: $vgpr12_vgpr13_vgpr14_vgpr15_vgpr16_vgpr17_vgpr18_vgpr19
	s_movk_i32 s40, 0x800
.LBB531_239:                            ;   in Loop: Header=BB531_236 Depth=2
	s_lshl_b64 s[36:37], s[58:59], 2
	v_mov_b32_e32 v4, s37
	v_add_co_u32_e32 v30, vcc, s36, v98
	s_waitcnt vmcnt(6)
	v_mov_b32_e32 v12, v11
	s_waitcnt vmcnt(5)
	v_mov_b32_e32 v13, v11
	;; [unrolled: 2-line block ×7, first 2 shown]
	v_addc_co_u32_e32 v31, vcc, v100, v4, vcc
	v_mov_b32_e32 v19, v18
	v_cmp_gt_u32_e32 vcc, s71, v80
	v_mov_b32_e32 v18, v17
	v_mov_b32_e32 v17, v16
	;; [unrolled: 1-line block ×7, first 2 shown]
	s_and_saveexec_b64 s[36:37], vcc
	s_cbranch_execnz .LBB531_342
; %bb.240:                              ;   in Loop: Header=BB531_236 Depth=2
	s_or_b64 exec, exec, s[36:37]
	v_cmp_gt_u32_e32 vcc, s71, v81
	s_and_saveexec_b64 s[36:37], vcc
	s_cbranch_execnz .LBB531_343
.LBB531_241:                            ;   in Loop: Header=BB531_236 Depth=2
	s_or_b64 exec, exec, s[36:37]
	v_cmp_gt_u32_e32 vcc, s71, v82
	s_and_saveexec_b64 s[36:37], vcc
	s_cbranch_execnz .LBB531_344
.LBB531_242:                            ;   in Loop: Header=BB531_236 Depth=2
	s_or_b64 exec, exec, s[36:37]
	v_cmp_gt_u32_e32 vcc, s71, v83
	s_and_saveexec_b64 s[36:37], vcc
	s_cbranch_execnz .LBB531_345
.LBB531_243:                            ;   in Loop: Header=BB531_236 Depth=2
	s_or_b64 exec, exec, s[36:37]
	v_cmp_gt_u32_e32 vcc, s71, v87
	s_and_saveexec_b64 s[36:37], vcc
	s_cbranch_execnz .LBB531_346
.LBB531_244:                            ;   in Loop: Header=BB531_236 Depth=2
	s_or_b64 exec, exec, s[36:37]
	v_cmp_gt_u32_e32 vcc, s71, v88
	s_and_saveexec_b64 s[36:37], vcc
	s_cbranch_execnz .LBB531_347
.LBB531_245:                            ;   in Loop: Header=BB531_236 Depth=2
	s_or_b64 exec, exec, s[36:37]
	v_cmp_gt_u32_e32 vcc, s71, v89
	s_and_saveexec_b64 s[36:37], vcc
	s_cbranch_execz .LBB531_247
.LBB531_246:                            ;   in Loop: Header=BB531_236 Depth=2
	global_load_dword v18, v[30:31], off offset:1536
.LBB531_247:                            ;   in Loop: Header=BB531_236 Depth=2
	s_or_b64 exec, exec, s[36:37]
	s_sub_i32 s40, s63, s58
	v_cmp_gt_u32_e64 s[36:37], s71, v90
.LBB531_248:                            ;   in Loop: Header=BB531_236 Depth=2
	v_mov_b32_e32 v102, s71
	s_and_saveexec_b64 s[38:39], s[36:37]
	s_cbranch_execz .LBB531_250
; %bb.249:                              ;   in Loop: Header=BB531_236 Depth=2
	s_lshl_b64 s[36:37], s[58:59], 2
	v_mov_b32_e32 v4, s37
	v_add_co_u32_e32 v30, vcc, s36, v98
	v_addc_co_u32_e32 v31, vcc, v100, v4, vcc
	global_load_dword v19, v[30:31], off offset:1792
	v_mov_b32_e32 v102, s40
.LBB531_250:                            ;   in Loop: Header=BB531_236 Depth=2
	s_or_b64 exec, exec, s[38:39]
	s_waitcnt vmcnt(0)
	v_xor_b32_e32 v103, 0x7fffffff, v12
	v_lshrrev_b32_e32 v4, s62, v103
	v_and_b32_e32 v12, s70, v4
	v_and_b32_e32 v4, 1, v12
	v_add_co_u32_e32 v30, vcc, -1, v4
	v_addc_co_u32_e64 v31, s[36:37], 0, -1, vcc
	v_cmp_ne_u32_e32 vcc, 0, v4
	v_xor_b32_e32 v4, vcc_hi, v31
	v_and_b32_e32 v31, exec_hi, v4
	v_lshlrev_b32_e32 v4, 30, v12
	v_xor_b32_e32 v30, vcc_lo, v30
	v_cmp_gt_i64_e32 vcc, 0, v[3:4]
	v_not_b32_e32 v4, v4
	v_ashrrev_i32_e32 v4, 31, v4
	v_and_b32_e32 v30, exec_lo, v30
	v_xor_b32_e32 v106, vcc_hi, v4
	v_xor_b32_e32 v4, vcc_lo, v4
	v_and_b32_e32 v30, v30, v4
	v_lshlrev_b32_e32 v4, 29, v12
	v_cmp_gt_i64_e32 vcc, 0, v[3:4]
	v_not_b32_e32 v4, v4
	v_ashrrev_i32_e32 v4, 31, v4
	v_and_b32_e32 v31, v31, v106
	v_xor_b32_e32 v106, vcc_hi, v4
	v_xor_b32_e32 v4, vcc_lo, v4
	v_and_b32_e32 v30, v30, v4
	v_lshlrev_b32_e32 v4, 28, v12
	v_cmp_gt_i64_e32 vcc, 0, v[3:4]
	v_not_b32_e32 v4, v4
	v_ashrrev_i32_e32 v4, 31, v4
	v_and_b32_e32 v31, v31, v106
	;; [unrolled: 8-line block ×5, first 2 shown]
	v_xor_b32_e32 v106, vcc_hi, v4
	v_xor_b32_e32 v4, vcc_lo, v4
	v_and_b32_e32 v30, v30, v4
	v_lshlrev_b32_e32 v4, 24, v12
	v_cmp_gt_i64_e32 vcc, 0, v[3:4]
	v_not_b32_e32 v4, v4
	v_ashrrev_i32_e32 v4, 31, v4
	v_mul_u32_u24_e32 v107, 20, v12
	v_xor_b32_e32 v12, vcc_hi, v4
	v_xor_b32_e32 v4, vcc_lo, v4
	v_and_b32_e32 v31, v31, v106
	v_and_b32_e32 v30, v30, v4
	;; [unrolled: 1-line block ×3, first 2 shown]
	v_mbcnt_lo_u32_b32 v4, v30, 0
	v_mbcnt_hi_u32_b32 v106, v31, v4
	v_cmp_ne_u64_e32 vcc, 0, v[30:31]
	v_cmp_eq_u32_e64 s[36:37], 0, v106
	v_add_u32_e32 v105, 0x410, v48
	v_add_u32_e32 v104, 0x418, v48
	s_and_b64 s[38:39], vcc, s[36:37]
	v_add_u32_e32 v107, v101, v107
	ds_write2_b32 v105, v3, v3 offset1:1
	ds_write2_b32 v104, v3, v3 offset1:1
	ds_write_b32 v48, v3 offset:1056
	s_waitcnt lgkmcnt(0)
	s_barrier
	; wave barrier
	s_and_saveexec_b64 s[36:37], s[38:39]
; %bb.251:                              ;   in Loop: Header=BB531_236 Depth=2
	v_bcnt_u32_b32 v4, v30, 0
	v_bcnt_u32_b32 v4, v31, v4
	ds_write_b32 v107, v4 offset:1040
; %bb.252:                              ;   in Loop: Header=BB531_236 Depth=2
	s_or_b64 exec, exec, s[36:37]
	v_xor_b32_e32 v30, 0x7fffffff, v13
	v_lshrrev_b32_e32 v4, s62, v30
	v_and_b32_e32 v12, s70, v4
	v_mad_u32_u24 v4, v12, 20, v101
	; wave barrier
	ds_read_b32 v31, v4 offset:1040
	v_and_b32_e32 v4, 1, v12
	v_add_co_u32_e32 v13, vcc, -1, v4
	v_addc_co_u32_e64 v108, s[36:37], 0, -1, vcc
	v_cmp_ne_u32_e32 vcc, 0, v4
	v_xor_b32_e32 v4, vcc_hi, v108
	v_and_b32_e32 v108, exec_hi, v4
	v_lshlrev_b32_e32 v4, 30, v12
	v_xor_b32_e32 v13, vcc_lo, v13
	v_cmp_gt_i64_e32 vcc, 0, v[3:4]
	v_not_b32_e32 v4, v4
	v_ashrrev_i32_e32 v4, 31, v4
	v_and_b32_e32 v13, exec_lo, v13
	v_xor_b32_e32 v110, vcc_hi, v4
	v_xor_b32_e32 v4, vcc_lo, v4
	v_and_b32_e32 v13, v13, v4
	v_lshlrev_b32_e32 v4, 29, v12
	v_cmp_gt_i64_e32 vcc, 0, v[3:4]
	v_not_b32_e32 v4, v4
	v_ashrrev_i32_e32 v4, 31, v4
	v_and_b32_e32 v108, v108, v110
	v_xor_b32_e32 v110, vcc_hi, v4
	v_xor_b32_e32 v4, vcc_lo, v4
	v_and_b32_e32 v13, v13, v4
	v_lshlrev_b32_e32 v4, 28, v12
	v_cmp_gt_i64_e32 vcc, 0, v[3:4]
	v_not_b32_e32 v4, v4
	v_ashrrev_i32_e32 v4, 31, v4
	v_and_b32_e32 v108, v108, v110
	;; [unrolled: 8-line block ×5, first 2 shown]
	v_xor_b32_e32 v110, vcc_hi, v4
	v_xor_b32_e32 v4, vcc_lo, v4
	v_and_b32_e32 v108, v108, v110
	v_and_b32_e32 v110, v13, v4
	v_lshlrev_b32_e32 v4, 24, v12
	v_cmp_gt_i64_e32 vcc, 0, v[3:4]
	v_not_b32_e32 v4, v4
	v_ashrrev_i32_e32 v4, 31, v4
	v_mul_u32_u24_e32 v109, 20, v12
	v_xor_b32_e32 v12, vcc_hi, v4
	v_xor_b32_e32 v4, vcc_lo, v4
	v_and_b32_e32 v13, v108, v12
	v_and_b32_e32 v12, v110, v4
	v_mbcnt_lo_u32_b32 v4, v12, 0
	v_mbcnt_hi_u32_b32 v108, v13, v4
	v_cmp_ne_u64_e32 vcc, 0, v[12:13]
	v_cmp_eq_u32_e64 s[36:37], 0, v108
	s_and_b64 s[38:39], vcc, s[36:37]
	v_add_u32_e32 v111, v101, v109
	; wave barrier
	s_and_saveexec_b64 s[36:37], s[38:39]
	s_cbranch_execz .LBB531_254
; %bb.253:                              ;   in Loop: Header=BB531_236 Depth=2
	v_bcnt_u32_b32 v4, v12, 0
	v_bcnt_u32_b32 v4, v13, v4
	s_waitcnt lgkmcnt(0)
	v_add_u32_e32 v4, v31, v4
	ds_write_b32 v111, v4 offset:1040
.LBB531_254:                            ;   in Loop: Header=BB531_236 Depth=2
	s_or_b64 exec, exec, s[36:37]
	v_xor_b32_e32 v109, 0x7fffffff, v14
	v_lshrrev_b32_e32 v4, s62, v109
	v_and_b32_e32 v12, s70, v4
	v_mad_u32_u24 v4, v12, 20, v101
	; wave barrier
	ds_read_b32 v110, v4 offset:1040
	v_and_b32_e32 v4, 1, v12
	v_add_co_u32_e32 v13, vcc, -1, v4
	v_addc_co_u32_e64 v112, s[36:37], 0, -1, vcc
	v_cmp_ne_u32_e32 vcc, 0, v4
	v_xor_b32_e32 v4, vcc_hi, v112
	v_and_b32_e32 v112, exec_hi, v4
	v_lshlrev_b32_e32 v4, 30, v12
	v_xor_b32_e32 v13, vcc_lo, v13
	v_cmp_gt_i64_e32 vcc, 0, v[3:4]
	v_not_b32_e32 v4, v4
	v_ashrrev_i32_e32 v4, 31, v4
	v_and_b32_e32 v13, exec_lo, v13
	v_xor_b32_e32 v113, vcc_hi, v4
	v_xor_b32_e32 v4, vcc_lo, v4
	v_and_b32_e32 v13, v13, v4
	v_lshlrev_b32_e32 v4, 29, v12
	v_cmp_gt_i64_e32 vcc, 0, v[3:4]
	v_not_b32_e32 v4, v4
	v_ashrrev_i32_e32 v4, 31, v4
	v_and_b32_e32 v112, v112, v113
	v_xor_b32_e32 v113, vcc_hi, v4
	v_xor_b32_e32 v4, vcc_lo, v4
	v_and_b32_e32 v13, v13, v4
	v_lshlrev_b32_e32 v4, 28, v12
	v_cmp_gt_i64_e32 vcc, 0, v[3:4]
	v_not_b32_e32 v4, v4
	v_ashrrev_i32_e32 v4, 31, v4
	v_and_b32_e32 v112, v112, v113
	;; [unrolled: 8-line block ×5, first 2 shown]
	v_xor_b32_e32 v113, vcc_hi, v4
	v_xor_b32_e32 v4, vcc_lo, v4
	v_and_b32_e32 v112, v112, v113
	v_and_b32_e32 v113, v13, v4
	v_lshlrev_b32_e32 v4, 24, v12
	v_cmp_gt_i64_e32 vcc, 0, v[3:4]
	v_not_b32_e32 v4, v4
	v_ashrrev_i32_e32 v4, 31, v4
	v_mul_u32_u24_e32 v14, 20, v12
	v_xor_b32_e32 v12, vcc_hi, v4
	v_xor_b32_e32 v4, vcc_lo, v4
	v_and_b32_e32 v13, v112, v12
	v_and_b32_e32 v12, v113, v4
	v_mbcnt_lo_u32_b32 v4, v12, 0
	v_mbcnt_hi_u32_b32 v112, v13, v4
	v_cmp_ne_u64_e32 vcc, 0, v[12:13]
	v_cmp_eq_u32_e64 s[36:37], 0, v112
	s_and_b64 s[38:39], vcc, s[36:37]
	v_add_u32_e32 v115, v101, v14
	; wave barrier
	s_and_saveexec_b64 s[36:37], s[38:39]
	s_cbranch_execz .LBB531_256
; %bb.255:                              ;   in Loop: Header=BB531_236 Depth=2
	v_bcnt_u32_b32 v4, v12, 0
	v_bcnt_u32_b32 v4, v13, v4
	s_waitcnt lgkmcnt(0)
	v_add_u32_e32 v4, v110, v4
	ds_write_b32 v115, v4 offset:1040
.LBB531_256:                            ;   in Loop: Header=BB531_236 Depth=2
	s_or_b64 exec, exec, s[36:37]
	v_xor_b32_e32 v113, 0x7fffffff, v15
	v_lshrrev_b32_e32 v4, s62, v113
	v_and_b32_e32 v12, s70, v4
	v_mad_u32_u24 v4, v12, 20, v101
	; wave barrier
	ds_read_b32 v114, v4 offset:1040
	v_and_b32_e32 v4, 1, v12
	v_add_co_u32_e32 v13, vcc, -1, v4
	v_addc_co_u32_e64 v15, s[36:37], 0, -1, vcc
	v_cmp_ne_u32_e32 vcc, 0, v4
	v_xor_b32_e32 v4, vcc_hi, v15
	v_and_b32_e32 v15, exec_hi, v4
	v_lshlrev_b32_e32 v4, 30, v12
	v_xor_b32_e32 v13, vcc_lo, v13
	v_cmp_gt_i64_e32 vcc, 0, v[3:4]
	v_not_b32_e32 v4, v4
	v_ashrrev_i32_e32 v4, 31, v4
	v_and_b32_e32 v13, exec_lo, v13
	v_xor_b32_e32 v116, vcc_hi, v4
	v_xor_b32_e32 v4, vcc_lo, v4
	v_and_b32_e32 v13, v13, v4
	v_lshlrev_b32_e32 v4, 29, v12
	v_cmp_gt_i64_e32 vcc, 0, v[3:4]
	v_not_b32_e32 v4, v4
	v_ashrrev_i32_e32 v4, 31, v4
	v_and_b32_e32 v15, v15, v116
	v_xor_b32_e32 v116, vcc_hi, v4
	v_xor_b32_e32 v4, vcc_lo, v4
	v_and_b32_e32 v13, v13, v4
	v_lshlrev_b32_e32 v4, 28, v12
	v_cmp_gt_i64_e32 vcc, 0, v[3:4]
	v_not_b32_e32 v4, v4
	v_ashrrev_i32_e32 v4, 31, v4
	v_and_b32_e32 v15, v15, v116
	;; [unrolled: 8-line block ×5, first 2 shown]
	v_xor_b32_e32 v116, vcc_hi, v4
	v_xor_b32_e32 v4, vcc_lo, v4
	v_and_b32_e32 v15, v15, v116
	v_and_b32_e32 v116, v13, v4
	v_lshlrev_b32_e32 v4, 24, v12
	v_cmp_gt_i64_e32 vcc, 0, v[3:4]
	v_not_b32_e32 v4, v4
	v_ashrrev_i32_e32 v4, 31, v4
	v_mul_u32_u24_e32 v14, 20, v12
	v_xor_b32_e32 v12, vcc_hi, v4
	v_xor_b32_e32 v4, vcc_lo, v4
	v_and_b32_e32 v13, v15, v12
	v_and_b32_e32 v12, v116, v4
	v_mbcnt_lo_u32_b32 v4, v12, 0
	v_mbcnt_hi_u32_b32 v116, v13, v4
	v_cmp_ne_u64_e32 vcc, 0, v[12:13]
	v_cmp_eq_u32_e64 s[36:37], 0, v116
	s_and_b64 s[38:39], vcc, s[36:37]
	v_add_u32_e32 v118, v101, v14
	; wave barrier
	s_and_saveexec_b64 s[36:37], s[38:39]
	s_cbranch_execz .LBB531_258
; %bb.257:                              ;   in Loop: Header=BB531_236 Depth=2
	v_bcnt_u32_b32 v4, v12, 0
	v_bcnt_u32_b32 v4, v13, v4
	s_waitcnt lgkmcnt(0)
	v_add_u32_e32 v4, v114, v4
	ds_write_b32 v118, v4 offset:1040
.LBB531_258:                            ;   in Loop: Header=BB531_236 Depth=2
	s_or_b64 exec, exec, s[36:37]
	v_xor_b32_e32 v16, 0x7fffffff, v16
	v_lshrrev_b32_e32 v4, s62, v16
	v_and_b32_e32 v12, s70, v4
	v_mad_u32_u24 v4, v12, 20, v101
	; wave barrier
	ds_read_b32 v117, v4 offset:1040
	v_and_b32_e32 v4, 1, v12
	v_add_co_u32_e32 v13, vcc, -1, v4
	v_addc_co_u32_e64 v15, s[36:37], 0, -1, vcc
	v_cmp_ne_u32_e32 vcc, 0, v4
	v_xor_b32_e32 v4, vcc_hi, v15
	v_and_b32_e32 v15, exec_hi, v4
	v_lshlrev_b32_e32 v4, 30, v12
	v_xor_b32_e32 v13, vcc_lo, v13
	v_cmp_gt_i64_e32 vcc, 0, v[3:4]
	v_not_b32_e32 v4, v4
	v_ashrrev_i32_e32 v4, 31, v4
	v_and_b32_e32 v13, exec_lo, v13
	v_xor_b32_e32 v119, vcc_hi, v4
	v_xor_b32_e32 v4, vcc_lo, v4
	v_and_b32_e32 v13, v13, v4
	v_lshlrev_b32_e32 v4, 29, v12
	v_cmp_gt_i64_e32 vcc, 0, v[3:4]
	v_not_b32_e32 v4, v4
	v_ashrrev_i32_e32 v4, 31, v4
	v_and_b32_e32 v15, v15, v119
	v_xor_b32_e32 v119, vcc_hi, v4
	v_xor_b32_e32 v4, vcc_lo, v4
	v_and_b32_e32 v13, v13, v4
	v_lshlrev_b32_e32 v4, 28, v12
	v_cmp_gt_i64_e32 vcc, 0, v[3:4]
	v_not_b32_e32 v4, v4
	v_ashrrev_i32_e32 v4, 31, v4
	v_and_b32_e32 v15, v15, v119
	;; [unrolled: 8-line block ×5, first 2 shown]
	v_xor_b32_e32 v119, vcc_hi, v4
	v_xor_b32_e32 v4, vcc_lo, v4
	v_and_b32_e32 v15, v15, v119
	v_and_b32_e32 v119, v13, v4
	v_lshlrev_b32_e32 v4, 24, v12
	v_cmp_gt_i64_e32 vcc, 0, v[3:4]
	v_not_b32_e32 v4, v4
	v_ashrrev_i32_e32 v4, 31, v4
	v_mul_u32_u24_e32 v14, 20, v12
	v_xor_b32_e32 v12, vcc_hi, v4
	v_xor_b32_e32 v4, vcc_lo, v4
	v_and_b32_e32 v13, v15, v12
	v_and_b32_e32 v12, v119, v4
	v_mbcnt_lo_u32_b32 v4, v12, 0
	v_mbcnt_hi_u32_b32 v119, v13, v4
	v_cmp_ne_u64_e32 vcc, 0, v[12:13]
	v_cmp_eq_u32_e64 s[36:37], 0, v119
	s_and_b64 s[38:39], vcc, s[36:37]
	v_add_u32_e32 v121, v101, v14
	; wave barrier
	s_and_saveexec_b64 s[36:37], s[38:39]
	s_cbranch_execz .LBB531_260
; %bb.259:                              ;   in Loop: Header=BB531_236 Depth=2
	v_bcnt_u32_b32 v4, v12, 0
	v_bcnt_u32_b32 v4, v13, v4
	s_waitcnt lgkmcnt(0)
	v_add_u32_e32 v4, v117, v4
	ds_write_b32 v121, v4 offset:1040
.LBB531_260:                            ;   in Loop: Header=BB531_236 Depth=2
	s_or_b64 exec, exec, s[36:37]
	v_xor_b32_e32 v120, 0x7fffffff, v17
	v_lshrrev_b32_e32 v4, s62, v120
	v_and_b32_e32 v12, s70, v4
	v_mad_u32_u24 v4, v12, 20, v101
	; wave barrier
	ds_read_b32 v17, v4 offset:1040
	v_and_b32_e32 v4, 1, v12
	v_add_co_u32_e32 v13, vcc, -1, v4
	v_addc_co_u32_e64 v15, s[36:37], 0, -1, vcc
	v_cmp_ne_u32_e32 vcc, 0, v4
	v_xor_b32_e32 v4, vcc_hi, v15
	v_and_b32_e32 v15, exec_hi, v4
	v_lshlrev_b32_e32 v4, 30, v12
	v_xor_b32_e32 v13, vcc_lo, v13
	v_cmp_gt_i64_e32 vcc, 0, v[3:4]
	v_not_b32_e32 v4, v4
	v_ashrrev_i32_e32 v4, 31, v4
	v_and_b32_e32 v13, exec_lo, v13
	v_xor_b32_e32 v122, vcc_hi, v4
	v_xor_b32_e32 v4, vcc_lo, v4
	v_and_b32_e32 v13, v13, v4
	v_lshlrev_b32_e32 v4, 29, v12
	v_cmp_gt_i64_e32 vcc, 0, v[3:4]
	v_not_b32_e32 v4, v4
	v_ashrrev_i32_e32 v4, 31, v4
	v_and_b32_e32 v15, v15, v122
	v_xor_b32_e32 v122, vcc_hi, v4
	v_xor_b32_e32 v4, vcc_lo, v4
	v_and_b32_e32 v13, v13, v4
	v_lshlrev_b32_e32 v4, 28, v12
	v_cmp_gt_i64_e32 vcc, 0, v[3:4]
	v_not_b32_e32 v4, v4
	v_ashrrev_i32_e32 v4, 31, v4
	v_and_b32_e32 v15, v15, v122
	;; [unrolled: 8-line block ×5, first 2 shown]
	v_xor_b32_e32 v122, vcc_hi, v4
	v_xor_b32_e32 v4, vcc_lo, v4
	v_and_b32_e32 v15, v15, v122
	v_and_b32_e32 v122, v13, v4
	v_lshlrev_b32_e32 v4, 24, v12
	v_cmp_gt_i64_e32 vcc, 0, v[3:4]
	v_not_b32_e32 v4, v4
	v_ashrrev_i32_e32 v4, 31, v4
	v_mul_u32_u24_e32 v14, 20, v12
	v_xor_b32_e32 v12, vcc_hi, v4
	v_xor_b32_e32 v4, vcc_lo, v4
	v_and_b32_e32 v13, v15, v12
	v_and_b32_e32 v12, v122, v4
	v_mbcnt_lo_u32_b32 v4, v12, 0
	v_mbcnt_hi_u32_b32 v122, v13, v4
	v_cmp_ne_u64_e32 vcc, 0, v[12:13]
	v_cmp_eq_u32_e64 s[36:37], 0, v122
	s_and_b64 s[38:39], vcc, s[36:37]
	v_add_u32_e32 v125, v101, v14
	; wave barrier
	s_and_saveexec_b64 s[36:37], s[38:39]
	s_cbranch_execz .LBB531_262
; %bb.261:                              ;   in Loop: Header=BB531_236 Depth=2
	v_bcnt_u32_b32 v4, v12, 0
	v_bcnt_u32_b32 v4, v13, v4
	s_waitcnt lgkmcnt(0)
	v_add_u32_e32 v4, v17, v4
	ds_write_b32 v125, v4 offset:1040
.LBB531_262:                            ;   in Loop: Header=BB531_236 Depth=2
	s_or_b64 exec, exec, s[36:37]
	v_xor_b32_e32 v123, 0x7fffffff, v18
	v_lshrrev_b32_e32 v4, s62, v123
	v_and_b32_e32 v12, s70, v4
	v_mad_u32_u24 v4, v12, 20, v101
	; wave barrier
	ds_read_b32 v124, v4 offset:1040
	v_and_b32_e32 v4, 1, v12
	v_add_co_u32_e32 v13, vcc, -1, v4
	v_addc_co_u32_e64 v15, s[36:37], 0, -1, vcc
	v_cmp_ne_u32_e32 vcc, 0, v4
	v_xor_b32_e32 v4, vcc_hi, v15
	v_and_b32_e32 v15, exec_hi, v4
	v_lshlrev_b32_e32 v4, 30, v12
	v_xor_b32_e32 v13, vcc_lo, v13
	v_cmp_gt_i64_e32 vcc, 0, v[3:4]
	v_not_b32_e32 v4, v4
	v_ashrrev_i32_e32 v4, 31, v4
	v_and_b32_e32 v13, exec_lo, v13
	v_xor_b32_e32 v18, vcc_hi, v4
	v_xor_b32_e32 v4, vcc_lo, v4
	v_and_b32_e32 v13, v13, v4
	v_lshlrev_b32_e32 v4, 29, v12
	v_cmp_gt_i64_e32 vcc, 0, v[3:4]
	v_not_b32_e32 v4, v4
	v_ashrrev_i32_e32 v4, 31, v4
	v_and_b32_e32 v15, v15, v18
	v_xor_b32_e32 v18, vcc_hi, v4
	v_xor_b32_e32 v4, vcc_lo, v4
	v_and_b32_e32 v13, v13, v4
	v_lshlrev_b32_e32 v4, 28, v12
	v_cmp_gt_i64_e32 vcc, 0, v[3:4]
	v_not_b32_e32 v4, v4
	v_ashrrev_i32_e32 v4, 31, v4
	v_and_b32_e32 v15, v15, v18
	;; [unrolled: 8-line block ×5, first 2 shown]
	v_xor_b32_e32 v18, vcc_hi, v4
	v_xor_b32_e32 v4, vcc_lo, v4
	v_and_b32_e32 v15, v15, v18
	v_and_b32_e32 v18, v13, v4
	v_lshlrev_b32_e32 v4, 24, v12
	v_cmp_gt_i64_e32 vcc, 0, v[3:4]
	v_not_b32_e32 v4, v4
	v_ashrrev_i32_e32 v4, 31, v4
	v_mul_u32_u24_e32 v14, 20, v12
	v_xor_b32_e32 v12, vcc_hi, v4
	v_xor_b32_e32 v4, vcc_lo, v4
	v_and_b32_e32 v13, v15, v12
	v_and_b32_e32 v12, v18, v4
	v_mbcnt_lo_u32_b32 v4, v12, 0
	v_mbcnt_hi_u32_b32 v126, v13, v4
	v_cmp_ne_u64_e32 vcc, 0, v[12:13]
	v_cmp_eq_u32_e64 s[36:37], 0, v126
	s_and_b64 s[38:39], vcc, s[36:37]
	v_add_u32_e32 v18, v101, v14
	; wave barrier
	s_and_saveexec_b64 s[36:37], s[38:39]
	s_cbranch_execz .LBB531_264
; %bb.263:                              ;   in Loop: Header=BB531_236 Depth=2
	v_bcnt_u32_b32 v4, v12, 0
	v_bcnt_u32_b32 v4, v13, v4
	s_waitcnt lgkmcnt(0)
	v_add_u32_e32 v4, v124, v4
	ds_write_b32 v18, v4 offset:1040
.LBB531_264:                            ;   in Loop: Header=BB531_236 Depth=2
	s_or_b64 exec, exec, s[36:37]
	v_xor_b32_e32 v127, 0x7fffffff, v19
	v_lshrrev_b32_e32 v4, s62, v127
	v_and_b32_e32 v12, s70, v4
	v_mad_u32_u24 v4, v12, 20, v101
	; wave barrier
	ds_read_b32 v128, v4 offset:1040
	v_and_b32_e32 v4, 1, v12
	v_add_co_u32_e32 v13, vcc, -1, v4
	v_addc_co_u32_e64 v15, s[36:37], 0, -1, vcc
	v_cmp_ne_u32_e32 vcc, 0, v4
	v_xor_b32_e32 v4, vcc_hi, v15
	v_and_b32_e32 v15, exec_hi, v4
	v_lshlrev_b32_e32 v4, 30, v12
	v_xor_b32_e32 v13, vcc_lo, v13
	v_cmp_gt_i64_e32 vcc, 0, v[3:4]
	v_not_b32_e32 v4, v4
	v_ashrrev_i32_e32 v4, 31, v4
	v_and_b32_e32 v13, exec_lo, v13
	v_xor_b32_e32 v19, vcc_hi, v4
	v_xor_b32_e32 v4, vcc_lo, v4
	v_and_b32_e32 v13, v13, v4
	v_lshlrev_b32_e32 v4, 29, v12
	v_cmp_gt_i64_e32 vcc, 0, v[3:4]
	v_not_b32_e32 v4, v4
	v_ashrrev_i32_e32 v4, 31, v4
	v_and_b32_e32 v15, v15, v19
	v_xor_b32_e32 v19, vcc_hi, v4
	v_xor_b32_e32 v4, vcc_lo, v4
	v_and_b32_e32 v13, v13, v4
	v_lshlrev_b32_e32 v4, 28, v12
	v_cmp_gt_i64_e32 vcc, 0, v[3:4]
	v_not_b32_e32 v4, v4
	v_ashrrev_i32_e32 v4, 31, v4
	v_and_b32_e32 v15, v15, v19
	;; [unrolled: 8-line block ×5, first 2 shown]
	v_xor_b32_e32 v19, vcc_hi, v4
	v_xor_b32_e32 v4, vcc_lo, v4
	v_and_b32_e32 v15, v15, v19
	v_and_b32_e32 v19, v13, v4
	v_lshlrev_b32_e32 v4, 24, v12
	v_cmp_gt_i64_e32 vcc, 0, v[3:4]
	v_not_b32_e32 v4, v4
	v_ashrrev_i32_e32 v4, 31, v4
	v_mul_u32_u24_e32 v14, 20, v12
	v_xor_b32_e32 v12, vcc_hi, v4
	v_xor_b32_e32 v4, vcc_lo, v4
	v_and_b32_e32 v13, v15, v12
	v_and_b32_e32 v12, v19, v4
	v_mbcnt_lo_u32_b32 v4, v12, 0
	v_mbcnt_hi_u32_b32 v129, v13, v4
	v_cmp_ne_u64_e32 vcc, 0, v[12:13]
	v_cmp_eq_u32_e64 s[36:37], 0, v129
	s_and_b64 s[38:39], vcc, s[36:37]
	v_add_u32_e32 v4, v101, v14
	; wave barrier
	s_and_saveexec_b64 s[36:37], s[38:39]
	s_cbranch_execz .LBB531_266
; %bb.265:                              ;   in Loop: Header=BB531_236 Depth=2
	v_bcnt_u32_b32 v12, v12, 0
	v_bcnt_u32_b32 v12, v13, v12
	s_waitcnt lgkmcnt(0)
	v_add_u32_e32 v12, v128, v12
	ds_write_b32 v4, v12 offset:1040
.LBB531_266:                            ;   in Loop: Header=BB531_236 Depth=2
	s_or_b64 exec, exec, s[36:37]
	; wave barrier
	s_waitcnt lgkmcnt(0)
	s_barrier
	ds_read2_b32 v[14:15], v105 offset1:1
	ds_read2_b32 v[12:13], v104 offset1:1
	ds_read_b32 v19, v48 offset:1056
	s_waitcnt lgkmcnt(1)
	v_add3_u32 v130, v15, v14, v12
	s_waitcnt lgkmcnt(0)
	v_add3_u32 v19, v130, v13, v19
	s_nop 1
	v_mov_b32_dpp v130, v19 row_shr:1 row_mask:0xf bank_mask:0xf
	v_cndmask_b32_e64 v130, v130, 0, s[16:17]
	v_add_u32_e32 v19, v130, v19
	s_nop 1
	v_mov_b32_dpp v130, v19 row_shr:2 row_mask:0xf bank_mask:0xf
	v_cndmask_b32_e64 v130, 0, v130, s[18:19]
	v_add_u32_e32 v19, v19, v130
	;; [unrolled: 4-line block ×4, first 2 shown]
	s_nop 1
	v_mov_b32_dpp v130, v19 row_bcast:15 row_mask:0xf bank_mask:0xf
	v_cndmask_b32_e64 v130, v130, 0, s[24:25]
	v_add_u32_e32 v19, v19, v130
	s_nop 1
	v_mov_b32_dpp v130, v19 row_bcast:31 row_mask:0xf bank_mask:0xf
	v_cndmask_b32_e64 v130, 0, v130, s[26:27]
	v_add_u32_e32 v19, v19, v130
	s_and_saveexec_b64 s[36:37], s[6:7]
; %bb.267:                              ;   in Loop: Header=BB531_236 Depth=2
	ds_write_b32 v44, v19 offset:1024
; %bb.268:                              ;   in Loop: Header=BB531_236 Depth=2
	s_or_b64 exec, exec, s[36:37]
	s_waitcnt lgkmcnt(0)
	s_barrier
	s_and_saveexec_b64 s[36:37], s[8:9]
	s_cbranch_execz .LBB531_270
; %bb.269:                              ;   in Loop: Header=BB531_236 Depth=2
	ds_read_b32 v130, v49 offset:1024
	s_waitcnt lgkmcnt(0)
	s_nop 0
	v_mov_b32_dpp v131, v130 row_shr:1 row_mask:0xf bank_mask:0xf
	v_cndmask_b32_e64 v131, v131, 0, s[30:31]
	v_add_u32_e32 v130, v131, v130
	s_nop 1
	v_mov_b32_dpp v131, v130 row_shr:2 row_mask:0xf bank_mask:0xf
	v_cndmask_b32_e64 v131, 0, v131, s[34:35]
	v_add_u32_e32 v130, v130, v131
	ds_write_b32 v49, v130 offset:1024
.LBB531_270:                            ;   in Loop: Header=BB531_236 Depth=2
	s_or_b64 exec, exec, s[36:37]
	v_mov_b32_e32 v130, 0
	s_waitcnt lgkmcnt(0)
	s_barrier
	s_and_saveexec_b64 s[36:37], s[10:11]
; %bb.271:                              ;   in Loop: Header=BB531_236 Depth=2
	ds_read_b32 v130, v44 offset:1020
; %bb.272:                              ;   in Loop: Header=BB531_236 Depth=2
	s_or_b64 exec, exec, s[36:37]
	s_waitcnt lgkmcnt(0)
	v_add_u32_e32 v19, v130, v19
	ds_bpermute_b32 v19, v84, v19
	s_waitcnt lgkmcnt(0)
	v_cndmask_b32_e64 v19, v19, v130, s[28:29]
	v_cndmask_b32_e64 v19, v19, 0, s[12:13]
	v_add_u32_e32 v14, v19, v14
	v_add_u32_e32 v15, v14, v15
	;; [unrolled: 1-line block ×4, first 2 shown]
	ds_write2_b32 v105, v19, v14 offset1:1
	ds_write2_b32 v104, v15, v12 offset1:1
	ds_write_b32 v48, v13 offset:1056
	s_waitcnt lgkmcnt(0)
	s_barrier
	ds_read_b32 v12, v107 offset:1040
	ds_read_b32 v13, v111 offset:1040
	;; [unrolled: 1-line block ×9, first 2 shown]
	v_mov_b32_e32 v4, 0x800
	s_and_saveexec_b64 s[36:37], s[14:15]
; %bb.273:                              ;   in Loop: Header=BB531_236 Depth=2
	ds_read_b32 v4, v48 offset:1060
; %bb.274:                              ;   in Loop: Header=BB531_236 Depth=2
	s_or_b64 exec, exec, s[36:37]
	s_waitcnt lgkmcnt(0)
	s_barrier
	s_and_saveexec_b64 s[36:37], s[4:5]
	s_cbranch_execz .LBB531_276
; %bb.275:                              ;   in Loop: Header=BB531_236 Depth=2
	ds_read_b32 v19, v32
	s_waitcnt lgkmcnt(0)
	v_sub_u32_e32 v18, v19, v18
	ds_write_b32 v32, v18
.LBB531_276:                            ;   in Loop: Header=BB531_236 Depth=2
	s_or_b64 exec, exec, s[36:37]
	v_add_u32_e32 v105, v12, v106
	v_add3_u32 v104, v108, v31, v13
	v_lshlrev_b32_e32 v12, 2, v105
	v_add3_u32 v31, v112, v110, v14
	ds_write_b32 v12, v103 offset:1024
	v_lshlrev_b32_e32 v12, 2, v104
	v_add3_u32 v19, v116, v114, v15
	ds_write_b32 v12, v30 offset:1024
	;; [unrolled: 3-line block ×6, first 2 shown]
	v_lshlrev_b32_e32 v12, 2, v15
	ds_write_b32 v12, v123 offset:1024
	v_lshlrev_b32_e32 v12, 2, v14
	v_cmp_lt_u32_e32 vcc, v0, v102
	ds_write_b32 v12, v127 offset:1024
	s_waitcnt lgkmcnt(0)
	s_barrier
	s_and_saveexec_b64 s[38:39], vcc
	s_cbranch_execnz .LBB531_313
; %bb.277:                              ;   in Loop: Header=BB531_236 Depth=2
	s_or_b64 exec, exec, s[38:39]
	v_cmp_lt_u32_e64 s[36:37], v33, v102
	s_and_saveexec_b64 s[40:41], s[36:37]
	s_cbranch_execnz .LBB531_314
.LBB531_278:                            ;   in Loop: Header=BB531_236 Depth=2
	s_or_b64 exec, exec, s[40:41]
	v_cmp_lt_u32_e64 s[38:39], v34, v102
	s_and_saveexec_b64 s[42:43], s[38:39]
	s_cbranch_execnz .LBB531_315
.LBB531_279:                            ;   in Loop: Header=BB531_236 Depth=2
	s_or_b64 exec, exec, s[42:43]
	v_cmp_lt_u32_e64 s[40:41], v35, v102
	s_and_saveexec_b64 s[44:45], s[40:41]
	s_cbranch_execnz .LBB531_316
.LBB531_280:                            ;   in Loop: Header=BB531_236 Depth=2
	s_or_b64 exec, exec, s[44:45]
	v_cmp_lt_u32_e64 s[42:43], v38, v102
	s_and_saveexec_b64 s[46:47], s[42:43]
	s_cbranch_execnz .LBB531_317
.LBB531_281:                            ;   in Loop: Header=BB531_236 Depth=2
	s_or_b64 exec, exec, s[46:47]
	v_cmp_lt_u32_e64 s[44:45], v39, v102
	s_and_saveexec_b64 s[48:49], s[44:45]
	s_cbranch_execnz .LBB531_318
.LBB531_282:                            ;   in Loop: Header=BB531_236 Depth=2
	s_or_b64 exec, exec, s[48:49]
	v_cmp_lt_u32_e64 s[46:47], v40, v102
	s_and_saveexec_b64 s[52:53], s[46:47]
	s_cbranch_execnz .LBB531_319
.LBB531_283:                            ;   in Loop: Header=BB531_236 Depth=2
	s_or_b64 exec, exec, s[52:53]
	v_cmp_lt_u32_e64 s[48:49], v41, v102
	s_and_saveexec_b64 s[60:61], s[48:49]
	s_cbranch_execz .LBB531_285
.LBB531_284:                            ;   in Loop: Header=BB531_236 Depth=2
	ds_read_b32 v12, v49 offset:8192
	v_mov_b32_e32 v30, s69
	s_waitcnt lgkmcnt(0)
	v_lshrrev_b32_e32 v13, s62, v12
	v_and_b32_e32 v13, s70, v13
	v_lshlrev_b32_e32 v13, 2, v13
	ds_read_b32 v16, v13
	v_mov_b32_e32 v13, v3
	v_xor_b32_e32 v103, 0x7fffffff, v12
	s_waitcnt lgkmcnt(0)
	v_add_u32_e32 v12, v16, v41
	v_lshlrev_b64 v[12:13], 2, v[12:13]
	v_add_co_u32_e64 v12, s[52:53], s68, v12
	v_addc_co_u32_e64 v13, s[52:53], v30, v13, s[52:53]
	global_store_dword v[12:13], v103, off
.LBB531_285:                            ;   in Loop: Header=BB531_236 Depth=2
	s_or_b64 exec, exec, s[60:61]
	s_lshl_b64 s[52:53], s[58:59], 3
	v_mov_b32_e32 v13, s53
	v_add_co_u32_e64 v12, s[52:53], s52, v85
	v_addc_co_u32_e64 v13, s[52:53], v86, v13, s[52:53]
	v_cmp_lt_u32_e64 s[52:53], v80, v102
	s_and_saveexec_b64 s[60:61], s[52:53]
	s_xor_b64 s[52:53], exec, s[60:61]
	s_cbranch_execnz .LBB531_320
; %bb.286:                              ;   in Loop: Header=BB531_236 Depth=2
	s_or_b64 exec, exec, s[52:53]
	v_cmp_lt_u32_e64 s[52:53], v81, v102
	s_and_saveexec_b64 s[60:61], s[52:53]
	s_cbranch_execnz .LBB531_321
.LBB531_287:                            ;   in Loop: Header=BB531_236 Depth=2
	s_or_b64 exec, exec, s[60:61]
	v_cmp_lt_u32_e64 s[52:53], v82, v102
	s_and_saveexec_b64 s[60:61], s[52:53]
	s_cbranch_execnz .LBB531_322
.LBB531_288:                            ;   in Loop: Header=BB531_236 Depth=2
	s_or_b64 exec, exec, s[60:61]
	v_cmp_lt_u32_e64 s[52:53], v83, v102
	s_and_saveexec_b64 s[60:61], s[52:53]
	s_cbranch_execnz .LBB531_323
.LBB531_289:                            ;   in Loop: Header=BB531_236 Depth=2
	s_or_b64 exec, exec, s[60:61]
	v_cmp_lt_u32_e64 s[52:53], v87, v102
	s_and_saveexec_b64 s[60:61], s[52:53]
	s_cbranch_execnz .LBB531_324
.LBB531_290:                            ;   in Loop: Header=BB531_236 Depth=2
	s_or_b64 exec, exec, s[60:61]
	v_cmp_lt_u32_e64 s[52:53], v88, v102
	s_and_saveexec_b64 s[60:61], s[52:53]
	s_cbranch_execnz .LBB531_325
.LBB531_291:                            ;   in Loop: Header=BB531_236 Depth=2
	s_or_b64 exec, exec, s[60:61]
	v_cmp_lt_u32_e64 s[52:53], v89, v102
	s_and_saveexec_b64 s[60:61], s[52:53]
	s_cbranch_execnz .LBB531_326
.LBB531_292:                            ;   in Loop: Header=BB531_236 Depth=2
	s_or_b64 exec, exec, s[60:61]
	v_cmp_lt_u32_e64 s[52:53], v90, v102
	s_and_saveexec_b64 s[60:61], s[52:53]
	s_cbranch_execnz .LBB531_327
.LBB531_293:                            ;   in Loop: Header=BB531_236 Depth=2
	s_or_b64 exec, exec, s[60:61]
	s_and_saveexec_b64 s[52:53], vcc
	s_cbranch_execnz .LBB531_328
.LBB531_294:                            ;   in Loop: Header=BB531_236 Depth=2
	s_or_b64 exec, exec, s[52:53]
	s_and_saveexec_b64 s[52:53], s[36:37]
	s_cbranch_execnz .LBB531_329
.LBB531_295:                            ;   in Loop: Header=BB531_236 Depth=2
	s_or_b64 exec, exec, s[52:53]
	s_and_saveexec_b64 s[52:53], s[38:39]
	s_cbranch_execnz .LBB531_330
.LBB531_296:                            ;   in Loop: Header=BB531_236 Depth=2
	s_or_b64 exec, exec, s[52:53]
	s_and_saveexec_b64 s[52:53], s[40:41]
	s_cbranch_execnz .LBB531_331
.LBB531_297:                            ;   in Loop: Header=BB531_236 Depth=2
	s_or_b64 exec, exec, s[52:53]
	s_and_saveexec_b64 s[52:53], s[42:43]
	s_cbranch_execnz .LBB531_332
.LBB531_298:                            ;   in Loop: Header=BB531_236 Depth=2
	s_or_b64 exec, exec, s[52:53]
	s_and_saveexec_b64 s[52:53], s[44:45]
	s_cbranch_execnz .LBB531_333
.LBB531_299:                            ;   in Loop: Header=BB531_236 Depth=2
	s_or_b64 exec, exec, s[52:53]
	s_and_saveexec_b64 s[52:53], s[46:47]
	s_cbranch_execnz .LBB531_334
.LBB531_300:                            ;   in Loop: Header=BB531_236 Depth=2
	s_or_b64 exec, exec, s[52:53]
	s_and_saveexec_b64 s[52:53], s[48:49]
	s_cbranch_execz .LBB531_302
.LBB531_301:                            ;   in Loop: Header=BB531_236 Depth=2
	ds_read_b32 v12, v49 offset:8192
	s_waitcnt lgkmcnt(0)
	v_lshrrev_b32_e32 v12, s62, v12
	v_and_b32_e32 v91, s70, v12
.LBB531_302:                            ;   in Loop: Header=BB531_236 Depth=2
	s_or_b64 exec, exec, s[52:53]
	v_lshlrev_b32_e32 v12, 3, v105
	s_waitcnt vmcnt(0)
	s_barrier
	ds_write_b64 v12, v[28:29] offset:1024
	v_lshlrev_b32_e32 v12, 3, v104
	ds_write_b64 v12, v[26:27] offset:1024
	v_lshlrev_b32_e32 v12, 3, v31
	;; [unrolled: 2-line block ×7, first 2 shown]
	ds_write_b64 v12, v[5:6] offset:1024
	s_waitcnt lgkmcnt(0)
	s_barrier
	s_and_saveexec_b64 s[52:53], vcc
	s_cbranch_execnz .LBB531_335
; %bb.303:                              ;   in Loop: Header=BB531_236 Depth=2
	s_or_b64 exec, exec, s[52:53]
	s_and_saveexec_b64 s[52:53], s[36:37]
	s_cbranch_execnz .LBB531_336
.LBB531_304:                            ;   in Loop: Header=BB531_236 Depth=2
	s_or_b64 exec, exec, s[52:53]
	s_and_saveexec_b64 s[36:37], s[38:39]
	s_cbranch_execnz .LBB531_337
.LBB531_305:                            ;   in Loop: Header=BB531_236 Depth=2
	s_or_b64 exec, exec, s[36:37]
	s_and_saveexec_b64 s[36:37], s[40:41]
	s_cbranch_execnz .LBB531_338
.LBB531_306:                            ;   in Loop: Header=BB531_236 Depth=2
	s_or_b64 exec, exec, s[36:37]
	s_and_saveexec_b64 s[36:37], s[42:43]
	s_cbranch_execnz .LBB531_339
.LBB531_307:                            ;   in Loop: Header=BB531_236 Depth=2
	s_or_b64 exec, exec, s[36:37]
	s_and_saveexec_b64 s[36:37], s[44:45]
	s_cbranch_execnz .LBB531_340
.LBB531_308:                            ;   in Loop: Header=BB531_236 Depth=2
	s_or_b64 exec, exec, s[36:37]
	s_and_saveexec_b64 s[36:37], s[46:47]
	s_cbranch_execnz .LBB531_341
.LBB531_309:                            ;   in Loop: Header=BB531_236 Depth=2
	s_or_b64 exec, exec, s[36:37]
	s_and_saveexec_b64 s[36:37], s[48:49]
	s_cbranch_execz .LBB531_311
.LBB531_310:                            ;   in Loop: Header=BB531_236 Depth=2
	v_lshlrev_b32_e32 v12, 2, v91
	ds_read_b32 v14, v12
	v_add_u32_e32 v12, v49, v32
	ds_read_b64 v[12:13], v12 offset:15360
	v_mov_b32_e32 v15, v3
	v_mov_b32_e32 v16, s75
	s_waitcnt lgkmcnt(1)
	v_add_u32_e32 v14, v14, v41
	v_lshlrev_b64 v[14:15], 3, v[14:15]
	v_add_co_u32_e32 v14, vcc, s74, v14
	v_addc_co_u32_e32 v15, vcc, v16, v15, vcc
	s_waitcnt lgkmcnt(0)
	global_store_dwordx2 v[14:15], v[12:13], off
.LBB531_311:                            ;   in Loop: Header=BB531_236 Depth=2
	s_or_b64 exec, exec, s[36:37]
	s_waitcnt vmcnt(0)
	s_barrier
	s_and_saveexec_b64 s[36:37], s[4:5]
	s_cbranch_execz .LBB531_235
; %bb.312:                              ;   in Loop: Header=BB531_236 Depth=2
	ds_read_b32 v12, v32
	s_waitcnt lgkmcnt(0)
	v_add_u32_e32 v4, v12, v4
	ds_write_b32 v32, v4
	s_branch .LBB531_235
.LBB531_313:                            ;   in Loop: Header=BB531_236 Depth=2
	ds_read_b32 v12, v49 offset:1024
	v_mov_b32_e32 v30, s69
	s_waitcnt lgkmcnt(0)
	v_lshrrev_b32_e32 v13, s62, v12
	v_and_b32_e32 v13, s70, v13
	v_lshlrev_b32_e32 v13, 2, v13
	ds_read_b32 v16, v13
	v_mov_b32_e32 v13, v3
	v_xor_b32_e32 v103, 0x7fffffff, v12
	s_waitcnt lgkmcnt(0)
	v_add_u32_e32 v12, v16, v0
	v_lshlrev_b64 v[12:13], 2, v[12:13]
	v_add_co_u32_e64 v12, s[36:37], s68, v12
	v_addc_co_u32_e64 v13, s[36:37], v30, v13, s[36:37]
	global_store_dword v[12:13], v103, off
	s_or_b64 exec, exec, s[38:39]
	v_cmp_lt_u32_e64 s[36:37], v33, v102
	s_and_saveexec_b64 s[40:41], s[36:37]
	s_cbranch_execz .LBB531_278
.LBB531_314:                            ;   in Loop: Header=BB531_236 Depth=2
	ds_read_b32 v12, v49 offset:2048
	v_mov_b32_e32 v30, s69
	s_waitcnt lgkmcnt(0)
	v_lshrrev_b32_e32 v13, s62, v12
	v_and_b32_e32 v13, s70, v13
	v_lshlrev_b32_e32 v13, 2, v13
	ds_read_b32 v16, v13
	v_mov_b32_e32 v13, v3
	v_xor_b32_e32 v103, 0x7fffffff, v12
	s_waitcnt lgkmcnt(0)
	v_add_u32_e32 v12, v16, v33
	v_lshlrev_b64 v[12:13], 2, v[12:13]
	v_add_co_u32_e64 v12, s[38:39], s68, v12
	v_addc_co_u32_e64 v13, s[38:39], v30, v13, s[38:39]
	global_store_dword v[12:13], v103, off
	s_or_b64 exec, exec, s[40:41]
	v_cmp_lt_u32_e64 s[38:39], v34, v102
	s_and_saveexec_b64 s[42:43], s[38:39]
	s_cbranch_execz .LBB531_279
.LBB531_315:                            ;   in Loop: Header=BB531_236 Depth=2
	ds_read_b32 v12, v49 offset:3072
	v_mov_b32_e32 v30, s69
	s_waitcnt lgkmcnt(0)
	v_lshrrev_b32_e32 v13, s62, v12
	v_and_b32_e32 v13, s70, v13
	v_lshlrev_b32_e32 v13, 2, v13
	ds_read_b32 v16, v13
	v_mov_b32_e32 v13, v3
	v_xor_b32_e32 v103, 0x7fffffff, v12
	s_waitcnt lgkmcnt(0)
	v_add_u32_e32 v12, v16, v34
	v_lshlrev_b64 v[12:13], 2, v[12:13]
	v_add_co_u32_e64 v12, s[40:41], s68, v12
	v_addc_co_u32_e64 v13, s[40:41], v30, v13, s[40:41]
	global_store_dword v[12:13], v103, off
	s_or_b64 exec, exec, s[42:43]
	v_cmp_lt_u32_e64 s[40:41], v35, v102
	s_and_saveexec_b64 s[44:45], s[40:41]
	s_cbranch_execz .LBB531_280
.LBB531_316:                            ;   in Loop: Header=BB531_236 Depth=2
	ds_read_b32 v12, v49 offset:4096
	v_mov_b32_e32 v30, s69
	s_waitcnt lgkmcnt(0)
	v_lshrrev_b32_e32 v13, s62, v12
	v_and_b32_e32 v13, s70, v13
	v_lshlrev_b32_e32 v13, 2, v13
	ds_read_b32 v16, v13
	v_mov_b32_e32 v13, v3
	v_xor_b32_e32 v103, 0x7fffffff, v12
	s_waitcnt lgkmcnt(0)
	v_add_u32_e32 v12, v16, v35
	v_lshlrev_b64 v[12:13], 2, v[12:13]
	v_add_co_u32_e64 v12, s[42:43], s68, v12
	v_addc_co_u32_e64 v13, s[42:43], v30, v13, s[42:43]
	global_store_dword v[12:13], v103, off
	s_or_b64 exec, exec, s[44:45]
	v_cmp_lt_u32_e64 s[42:43], v38, v102
	s_and_saveexec_b64 s[46:47], s[42:43]
	s_cbranch_execz .LBB531_281
.LBB531_317:                            ;   in Loop: Header=BB531_236 Depth=2
	ds_read_b32 v12, v49 offset:5120
	v_mov_b32_e32 v30, s69
	s_waitcnt lgkmcnt(0)
	v_lshrrev_b32_e32 v13, s62, v12
	v_and_b32_e32 v13, s70, v13
	v_lshlrev_b32_e32 v13, 2, v13
	ds_read_b32 v16, v13
	v_mov_b32_e32 v13, v3
	v_xor_b32_e32 v103, 0x7fffffff, v12
	s_waitcnt lgkmcnt(0)
	v_add_u32_e32 v12, v16, v38
	v_lshlrev_b64 v[12:13], 2, v[12:13]
	v_add_co_u32_e64 v12, s[44:45], s68, v12
	v_addc_co_u32_e64 v13, s[44:45], v30, v13, s[44:45]
	global_store_dword v[12:13], v103, off
	s_or_b64 exec, exec, s[46:47]
	v_cmp_lt_u32_e64 s[44:45], v39, v102
	s_and_saveexec_b64 s[48:49], s[44:45]
	s_cbranch_execz .LBB531_282
.LBB531_318:                            ;   in Loop: Header=BB531_236 Depth=2
	ds_read_b32 v12, v49 offset:6144
	v_mov_b32_e32 v30, s69
	s_waitcnt lgkmcnt(0)
	v_lshrrev_b32_e32 v13, s62, v12
	v_and_b32_e32 v13, s70, v13
	v_lshlrev_b32_e32 v13, 2, v13
	ds_read_b32 v16, v13
	v_mov_b32_e32 v13, v3
	v_xor_b32_e32 v103, 0x7fffffff, v12
	s_waitcnt lgkmcnt(0)
	v_add_u32_e32 v12, v16, v39
	v_lshlrev_b64 v[12:13], 2, v[12:13]
	v_add_co_u32_e64 v12, s[46:47], s68, v12
	v_addc_co_u32_e64 v13, s[46:47], v30, v13, s[46:47]
	global_store_dword v[12:13], v103, off
	s_or_b64 exec, exec, s[48:49]
	v_cmp_lt_u32_e64 s[46:47], v40, v102
	s_and_saveexec_b64 s[52:53], s[46:47]
	s_cbranch_execz .LBB531_283
.LBB531_319:                            ;   in Loop: Header=BB531_236 Depth=2
	ds_read_b32 v12, v49 offset:7168
	v_mov_b32_e32 v30, s69
	s_waitcnt lgkmcnt(0)
	v_lshrrev_b32_e32 v13, s62, v12
	v_and_b32_e32 v13, s70, v13
	v_lshlrev_b32_e32 v13, 2, v13
	ds_read_b32 v16, v13
	v_mov_b32_e32 v13, v3
	v_xor_b32_e32 v103, 0x7fffffff, v12
	s_waitcnt lgkmcnt(0)
	v_add_u32_e32 v12, v16, v40
	v_lshlrev_b64 v[12:13], 2, v[12:13]
	v_add_co_u32_e64 v12, s[48:49], s68, v12
	v_addc_co_u32_e64 v13, s[48:49], v30, v13, s[48:49]
	global_store_dword v[12:13], v103, off
	s_or_b64 exec, exec, s[52:53]
	v_cmp_lt_u32_e64 s[48:49], v41, v102
	s_and_saveexec_b64 s[60:61], s[48:49]
	s_cbranch_execnz .LBB531_284
	s_branch .LBB531_285
.LBB531_320:                            ;   in Loop: Header=BB531_236 Depth=2
	global_load_dwordx2 v[28:29], v[12:13], off
	s_or_b64 exec, exec, s[52:53]
	v_cmp_lt_u32_e64 s[52:53], v81, v102
	s_and_saveexec_b64 s[60:61], s[52:53]
	s_cbranch_execz .LBB531_287
.LBB531_321:                            ;   in Loop: Header=BB531_236 Depth=2
	global_load_dwordx2 v[26:27], v[12:13], off offset:512
	s_or_b64 exec, exec, s[60:61]
	v_cmp_lt_u32_e64 s[52:53], v82, v102
	s_and_saveexec_b64 s[60:61], s[52:53]
	s_cbranch_execz .LBB531_288
.LBB531_322:                            ;   in Loop: Header=BB531_236 Depth=2
	global_load_dwordx2 v[24:25], v[12:13], off offset:1024
	s_or_b64 exec, exec, s[60:61]
	v_cmp_lt_u32_e64 s[52:53], v83, v102
	s_and_saveexec_b64 s[60:61], s[52:53]
	s_cbranch_execz .LBB531_289
.LBB531_323:                            ;   in Loop: Header=BB531_236 Depth=2
	global_load_dwordx2 v[22:23], v[12:13], off offset:1536
	s_or_b64 exec, exec, s[60:61]
	v_cmp_lt_u32_e64 s[52:53], v87, v102
	s_and_saveexec_b64 s[60:61], s[52:53]
	s_cbranch_execz .LBB531_290
.LBB531_324:                            ;   in Loop: Header=BB531_236 Depth=2
	global_load_dwordx2 v[20:21], v[12:13], off offset:2048
	s_or_b64 exec, exec, s[60:61]
	v_cmp_lt_u32_e64 s[52:53], v88, v102
	s_and_saveexec_b64 s[60:61], s[52:53]
	s_cbranch_execz .LBB531_291
.LBB531_325:                            ;   in Loop: Header=BB531_236 Depth=2
	global_load_dwordx2 v[9:10], v[12:13], off offset:2560
	s_or_b64 exec, exec, s[60:61]
	v_cmp_lt_u32_e64 s[52:53], v89, v102
	s_and_saveexec_b64 s[60:61], s[52:53]
	s_cbranch_execz .LBB531_292
.LBB531_326:                            ;   in Loop: Header=BB531_236 Depth=2
	global_load_dwordx2 v[7:8], v[12:13], off offset:3072
	s_or_b64 exec, exec, s[60:61]
	v_cmp_lt_u32_e64 s[52:53], v90, v102
	s_and_saveexec_b64 s[60:61], s[52:53]
	s_cbranch_execz .LBB531_293
.LBB531_327:                            ;   in Loop: Header=BB531_236 Depth=2
	global_load_dwordx2 v[5:6], v[12:13], off offset:3584
	s_or_b64 exec, exec, s[60:61]
	s_and_saveexec_b64 s[52:53], vcc
	s_cbranch_execz .LBB531_294
.LBB531_328:                            ;   in Loop: Header=BB531_236 Depth=2
	ds_read_b32 v12, v49 offset:1024
	s_waitcnt lgkmcnt(0)
	v_lshrrev_b32_e32 v12, s62, v12
	v_and_b32_e32 v99, s70, v12
	s_or_b64 exec, exec, s[52:53]
	s_and_saveexec_b64 s[52:53], s[36:37]
	s_cbranch_execz .LBB531_295
.LBB531_329:                            ;   in Loop: Header=BB531_236 Depth=2
	ds_read_b32 v12, v49 offset:2048
	s_waitcnt lgkmcnt(0)
	v_lshrrev_b32_e32 v12, s62, v12
	v_and_b32_e32 v97, s70, v12
	s_or_b64 exec, exec, s[52:53]
	s_and_saveexec_b64 s[52:53], s[38:39]
	s_cbranch_execz .LBB531_296
.LBB531_330:                            ;   in Loop: Header=BB531_236 Depth=2
	ds_read_b32 v12, v49 offset:3072
	s_waitcnt lgkmcnt(0)
	v_lshrrev_b32_e32 v12, s62, v12
	v_and_b32_e32 v96, s70, v12
	s_or_b64 exec, exec, s[52:53]
	s_and_saveexec_b64 s[52:53], s[40:41]
	s_cbranch_execz .LBB531_297
.LBB531_331:                            ;   in Loop: Header=BB531_236 Depth=2
	ds_read_b32 v12, v49 offset:4096
	s_waitcnt lgkmcnt(0)
	v_lshrrev_b32_e32 v12, s62, v12
	v_and_b32_e32 v95, s70, v12
	s_or_b64 exec, exec, s[52:53]
	s_and_saveexec_b64 s[52:53], s[42:43]
	s_cbranch_execz .LBB531_298
.LBB531_332:                            ;   in Loop: Header=BB531_236 Depth=2
	ds_read_b32 v12, v49 offset:5120
	s_waitcnt lgkmcnt(0)
	v_lshrrev_b32_e32 v12, s62, v12
	v_and_b32_e32 v94, s70, v12
	s_or_b64 exec, exec, s[52:53]
	s_and_saveexec_b64 s[52:53], s[44:45]
	s_cbranch_execz .LBB531_299
.LBB531_333:                            ;   in Loop: Header=BB531_236 Depth=2
	ds_read_b32 v12, v49 offset:6144
	s_waitcnt lgkmcnt(0)
	v_lshrrev_b32_e32 v12, s62, v12
	v_and_b32_e32 v93, s70, v12
	s_or_b64 exec, exec, s[52:53]
	s_and_saveexec_b64 s[52:53], s[46:47]
	s_cbranch_execz .LBB531_300
.LBB531_334:                            ;   in Loop: Header=BB531_236 Depth=2
	ds_read_b32 v12, v49 offset:7168
	s_waitcnt lgkmcnt(0)
	v_lshrrev_b32_e32 v12, s62, v12
	v_and_b32_e32 v92, s70, v12
	s_or_b64 exec, exec, s[52:53]
	s_and_saveexec_b64 s[52:53], s[48:49]
	s_cbranch_execnz .LBB531_301
	s_branch .LBB531_302
.LBB531_335:                            ;   in Loop: Header=BB531_236 Depth=2
	v_lshlrev_b32_e32 v12, 2, v99
	ds_read_b32 v14, v12
	v_add_u32_e32 v12, v49, v32
	ds_read_b64 v[12:13], v12 offset:1024
	v_mov_b32_e32 v15, v3
	v_mov_b32_e32 v16, s75
	s_waitcnt lgkmcnt(1)
	v_add_u32_e32 v14, v14, v0
	v_lshlrev_b64 v[14:15], 3, v[14:15]
	v_add_co_u32_e32 v14, vcc, s74, v14
	v_addc_co_u32_e32 v15, vcc, v16, v15, vcc
	s_waitcnt lgkmcnt(0)
	global_store_dwordx2 v[14:15], v[12:13], off
	s_or_b64 exec, exec, s[52:53]
	s_and_saveexec_b64 s[52:53], s[36:37]
	s_cbranch_execz .LBB531_304
.LBB531_336:                            ;   in Loop: Header=BB531_236 Depth=2
	v_lshlrev_b32_e32 v12, 2, v97
	ds_read_b32 v14, v12
	v_add_u32_e32 v12, v49, v32
	ds_read_b64 v[12:13], v12 offset:3072
	v_mov_b32_e32 v15, v3
	v_mov_b32_e32 v16, s75
	s_waitcnt lgkmcnt(1)
	v_add_u32_e32 v14, v14, v33
	v_lshlrev_b64 v[14:15], 3, v[14:15]
	v_add_co_u32_e32 v14, vcc, s74, v14
	v_addc_co_u32_e32 v15, vcc, v16, v15, vcc
	s_waitcnt lgkmcnt(0)
	global_store_dwordx2 v[14:15], v[12:13], off
	s_or_b64 exec, exec, s[52:53]
	s_and_saveexec_b64 s[36:37], s[38:39]
	s_cbranch_execz .LBB531_305
.LBB531_337:                            ;   in Loop: Header=BB531_236 Depth=2
	v_lshlrev_b32_e32 v12, 2, v96
	ds_read_b32 v14, v12
	v_add_u32_e32 v12, v49, v32
	ds_read_b64 v[12:13], v12 offset:5120
	v_mov_b32_e32 v15, v3
	v_mov_b32_e32 v16, s75
	s_waitcnt lgkmcnt(1)
	v_add_u32_e32 v14, v14, v34
	v_lshlrev_b64 v[14:15], 3, v[14:15]
	v_add_co_u32_e32 v14, vcc, s74, v14
	v_addc_co_u32_e32 v15, vcc, v16, v15, vcc
	s_waitcnt lgkmcnt(0)
	global_store_dwordx2 v[14:15], v[12:13], off
	s_or_b64 exec, exec, s[36:37]
	s_and_saveexec_b64 s[36:37], s[40:41]
	s_cbranch_execz .LBB531_306
.LBB531_338:                            ;   in Loop: Header=BB531_236 Depth=2
	v_lshlrev_b32_e32 v12, 2, v95
	ds_read_b32 v14, v12
	v_add_u32_e32 v12, v49, v32
	ds_read_b64 v[12:13], v12 offset:7168
	v_mov_b32_e32 v15, v3
	v_mov_b32_e32 v16, s75
	s_waitcnt lgkmcnt(1)
	v_add_u32_e32 v14, v14, v35
	v_lshlrev_b64 v[14:15], 3, v[14:15]
	v_add_co_u32_e32 v14, vcc, s74, v14
	v_addc_co_u32_e32 v15, vcc, v16, v15, vcc
	s_waitcnt lgkmcnt(0)
	global_store_dwordx2 v[14:15], v[12:13], off
	s_or_b64 exec, exec, s[36:37]
	s_and_saveexec_b64 s[36:37], s[42:43]
	s_cbranch_execz .LBB531_307
.LBB531_339:                            ;   in Loop: Header=BB531_236 Depth=2
	v_lshlrev_b32_e32 v12, 2, v94
	ds_read_b32 v14, v12
	v_add_u32_e32 v12, v49, v32
	ds_read_b64 v[12:13], v12 offset:9216
	v_mov_b32_e32 v15, v3
	v_mov_b32_e32 v16, s75
	s_waitcnt lgkmcnt(1)
	v_add_u32_e32 v14, v14, v38
	v_lshlrev_b64 v[14:15], 3, v[14:15]
	v_add_co_u32_e32 v14, vcc, s74, v14
	v_addc_co_u32_e32 v15, vcc, v16, v15, vcc
	s_waitcnt lgkmcnt(0)
	global_store_dwordx2 v[14:15], v[12:13], off
	s_or_b64 exec, exec, s[36:37]
	s_and_saveexec_b64 s[36:37], s[44:45]
	s_cbranch_execz .LBB531_308
.LBB531_340:                            ;   in Loop: Header=BB531_236 Depth=2
	v_lshlrev_b32_e32 v12, 2, v93
	ds_read_b32 v14, v12
	v_add_u32_e32 v12, v49, v32
	ds_read_b64 v[12:13], v12 offset:11264
	v_mov_b32_e32 v15, v3
	v_mov_b32_e32 v16, s75
	s_waitcnt lgkmcnt(1)
	v_add_u32_e32 v14, v14, v39
	v_lshlrev_b64 v[14:15], 3, v[14:15]
	v_add_co_u32_e32 v14, vcc, s74, v14
	v_addc_co_u32_e32 v15, vcc, v16, v15, vcc
	s_waitcnt lgkmcnt(0)
	global_store_dwordx2 v[14:15], v[12:13], off
	s_or_b64 exec, exec, s[36:37]
	s_and_saveexec_b64 s[36:37], s[46:47]
	s_cbranch_execz .LBB531_309
.LBB531_341:                            ;   in Loop: Header=BB531_236 Depth=2
	v_lshlrev_b32_e32 v12, 2, v92
	ds_read_b32 v14, v12
	v_add_u32_e32 v12, v49, v32
	ds_read_b64 v[12:13], v12 offset:13312
	v_mov_b32_e32 v15, v3
	v_mov_b32_e32 v16, s75
	s_waitcnt lgkmcnt(1)
	v_add_u32_e32 v14, v14, v40
	v_lshlrev_b64 v[14:15], 3, v[14:15]
	v_add_co_u32_e32 v14, vcc, s74, v14
	v_addc_co_u32_e32 v15, vcc, v16, v15, vcc
	s_waitcnt lgkmcnt(0)
	global_store_dwordx2 v[14:15], v[12:13], off
	s_or_b64 exec, exec, s[36:37]
	s_and_saveexec_b64 s[36:37], s[48:49]
	s_cbranch_execnz .LBB531_310
	s_branch .LBB531_311
.LBB531_342:                            ;   in Loop: Header=BB531_236 Depth=2
	global_load_dword v12, v[30:31], off
	v_mov_b32_e32 v13, v11
	v_mov_b32_e32 v14, v11
	;; [unrolled: 1-line block ×7, first 2 shown]
	s_or_b64 exec, exec, s[36:37]
	v_cmp_gt_u32_e32 vcc, s71, v81
	s_and_saveexec_b64 s[36:37], vcc
	s_cbranch_execz .LBB531_241
.LBB531_343:                            ;   in Loop: Header=BB531_236 Depth=2
	global_load_dword v13, v[30:31], off offset:256
	s_or_b64 exec, exec, s[36:37]
	v_cmp_gt_u32_e32 vcc, s71, v82
	s_and_saveexec_b64 s[36:37], vcc
	s_cbranch_execz .LBB531_242
.LBB531_344:                            ;   in Loop: Header=BB531_236 Depth=2
	global_load_dword v14, v[30:31], off offset:512
	s_or_b64 exec, exec, s[36:37]
	v_cmp_gt_u32_e32 vcc, s71, v83
	s_and_saveexec_b64 s[36:37], vcc
	s_cbranch_execz .LBB531_243
.LBB531_345:                            ;   in Loop: Header=BB531_236 Depth=2
	global_load_dword v15, v[30:31], off offset:768
	s_or_b64 exec, exec, s[36:37]
	v_cmp_gt_u32_e32 vcc, s71, v87
	s_and_saveexec_b64 s[36:37], vcc
	s_cbranch_execz .LBB531_244
.LBB531_346:                            ;   in Loop: Header=BB531_236 Depth=2
	global_load_dword v16, v[30:31], off offset:1024
	s_or_b64 exec, exec, s[36:37]
	v_cmp_gt_u32_e32 vcc, s71, v88
	s_and_saveexec_b64 s[36:37], vcc
	s_cbranch_execz .LBB531_245
.LBB531_347:                            ;   in Loop: Header=BB531_236 Depth=2
	global_load_dword v17, v[30:31], off offset:1280
	s_or_b64 exec, exec, s[36:37]
	v_cmp_gt_u32_e32 vcc, s71, v89
	s_and_saveexec_b64 s[36:37], vcc
	s_cbranch_execnz .LBB531_246
	s_branch .LBB531_247
.LBB531_348:                            ;   in Loop: Header=BB531_20 Depth=1
	s_waitcnt lgkmcnt(0)
	s_barrier
.LBB531_349:                            ;   in Loop: Header=BB531_20 Depth=1
	s_mov_b64 s[16:17], 0
.LBB531_350:                            ;   in Loop: Header=BB531_20 Depth=1
	s_andn2_b64 vcc, exec, s[16:17]
	s_cbranch_vccnz .LBB531_19
; %bb.351:                              ;   in Loop: Header=BB531_20 Depth=1
	s_mov_b64 s[16:17], -1
	s_and_b64 vcc, exec, s[54:55]
	s_cbranch_vccz .LBB531_515
; %bb.352:                              ;   in Loop: Header=BB531_20 Depth=1
	v_mov_b32_e32 v10, v3
	v_mov_b32_e32 v4, v3
	;; [unrolled: 1-line block ×8, first 2 shown]
	s_mov_b32 s20, s79
	s_mov_b32 s58, s51
	v_mov_b32_e32 v18, v9
	v_mov_b32_e32 v17, v8
	;; [unrolled: 1-line block ×7, first 2 shown]
	s_barrier
	s_branch .LBB531_354
.LBB531_353:                            ;   in Loop: Header=BB531_354 Depth=2
	s_or_b64 exec, exec, s[16:17]
	s_addk_i32 s20, 0xf800
	s_cmp_ge_u32 s21, s63
	s_mov_b32 s58, s21
	s_cbranch_scc1 .LBB531_390
.LBB531_354:                            ;   Parent Loop BB531_20 Depth=1
                                        ; =>  This Inner Loop Header: Depth=2
	s_add_i32 s21, s58, 0x800
	s_cmp_gt_u32 s21, s63
	s_mov_b64 s[16:17], -1
                                        ; implicit-def: $vgpr20_vgpr21_vgpr22_vgpr23_vgpr24_vgpr25_vgpr26_vgpr27
	s_cbranch_scc1 .LBB531_356
; %bb.355:                              ;   in Loop: Header=BB531_354 Depth=2
	s_lshl_b64 s[16:17], s[58:59], 2
	v_mov_b32_e32 v5, s17
	v_add_co_u32_e32 v4, vcc, s16, v60
	v_addc_co_u32_e32 v5, vcc, v61, v5, vcc
	v_add_co_u32_e32 v6, vcc, 0x1000, v4
	v_addc_co_u32_e32 v7, vcc, 0, v5, vcc
	global_load_dword v20, v[4:5], off
	global_load_dword v21, v[4:5], off offset:1024
	global_load_dword v22, v[4:5], off offset:2048
	;; [unrolled: 1-line block ×3, first 2 shown]
	global_load_dword v24, v[6:7], off
	global_load_dword v25, v[6:7], off offset:1024
	global_load_dword v26, v[6:7], off offset:2048
	;; [unrolled: 1-line block ×3, first 2 shown]
	s_mov_b64 s[16:17], 0
.LBB531_356:                            ;   in Loop: Header=BB531_354 Depth=2
	s_andn2_b64 vcc, exec, s[16:17]
	s_movk_i32 s18, 0x800
	s_cbranch_vccnz .LBB531_367
; %bb.357:                              ;   in Loop: Header=BB531_354 Depth=2
	s_lshl_b64 s[16:17], s[58:59], 2
	s_add_u32 s16, s64, s16
	s_addc_u32 s17, s65, s17
	v_cmp_gt_u32_e32 vcc, s20, v0
	s_and_saveexec_b64 s[18:19], vcc
	s_cbranch_execnz .LBB531_383
; %bb.358:                              ;   in Loop: Header=BB531_354 Depth=2
	s_or_b64 exec, exec, s[18:19]
	v_cmp_gt_u32_e32 vcc, s20, v33
	s_and_saveexec_b64 s[18:19], vcc
	s_cbranch_execnz .LBB531_384
.LBB531_359:                            ;   in Loop: Header=BB531_354 Depth=2
	s_or_b64 exec, exec, s[18:19]
	v_cmp_gt_u32_e32 vcc, s20, v34
	s_and_saveexec_b64 s[18:19], vcc
	s_cbranch_execnz .LBB531_385
.LBB531_360:                            ;   in Loop: Header=BB531_354 Depth=2
	s_or_b64 exec, exec, s[18:19]
	v_cmp_gt_u32_e32 vcc, s20, v35
	s_and_saveexec_b64 s[18:19], vcc
	s_cbranch_execnz .LBB531_386
.LBB531_361:                            ;   in Loop: Header=BB531_354 Depth=2
	s_or_b64 exec, exec, s[18:19]
	v_cmp_gt_u32_e32 vcc, s20, v38
	s_and_saveexec_b64 s[18:19], vcc
	s_cbranch_execnz .LBB531_387
.LBB531_362:                            ;   in Loop: Header=BB531_354 Depth=2
	s_or_b64 exec, exec, s[18:19]
	v_cmp_gt_u32_e32 vcc, s20, v39
	s_and_saveexec_b64 s[18:19], vcc
	s_cbranch_execnz .LBB531_388
.LBB531_363:                            ;   in Loop: Header=BB531_354 Depth=2
	s_or_b64 exec, exec, s[18:19]
	v_cmp_gt_u32_e32 vcc, s20, v40
	s_and_saveexec_b64 s[18:19], vcc
	s_cbranch_execnz .LBB531_389
.LBB531_364:                            ;   in Loop: Header=BB531_354 Depth=2
	s_or_b64 exec, exec, s[18:19]
	v_cmp_gt_u32_e32 vcc, s20, v41
	s_and_saveexec_b64 s[18:19], vcc
	s_cbranch_execz .LBB531_366
.LBB531_365:                            ;   in Loop: Header=BB531_354 Depth=2
	global_load_dword v19, v71, s[16:17]
.LBB531_366:                            ;   in Loop: Header=BB531_354 Depth=2
	s_or_b64 exec, exec, s[18:19]
	s_waitcnt vmcnt(0)
	v_mov_b32_e32 v27, v19
	s_mov_b32 s18, s20
	v_mov_b32_e32 v26, v18
	v_mov_b32_e32 v25, v17
	v_mov_b32_e32 v24, v16
	v_mov_b32_e32 v23, v15
	v_mov_b32_e32 v22, v14
	v_mov_b32_e32 v21, v13
	v_mov_b32_e32 v20, v12
.LBB531_367:                            ;   in Loop: Header=BB531_354 Depth=2
	s_waitcnt vmcnt(0)
	v_mov_b32_e32 v12, v20
	v_mov_b32_e32 v13, v21
	;; [unrolled: 1-line block ×8, first 2 shown]
	v_cmp_gt_u32_e32 vcc, s18, v0
	s_and_saveexec_b64 s[16:17], vcc
	s_cbranch_execnz .LBB531_375
; %bb.368:                              ;   in Loop: Header=BB531_354 Depth=2
	s_or_b64 exec, exec, s[16:17]
	v_cmp_gt_u32_e32 vcc, s18, v33
	s_and_saveexec_b64 s[16:17], vcc
	s_cbranch_execnz .LBB531_376
.LBB531_369:                            ;   in Loop: Header=BB531_354 Depth=2
	s_or_b64 exec, exec, s[16:17]
	v_cmp_gt_u32_e32 vcc, s18, v34
	s_and_saveexec_b64 s[16:17], vcc
	s_cbranch_execnz .LBB531_377
.LBB531_370:                            ;   in Loop: Header=BB531_354 Depth=2
	s_or_b64 exec, exec, s[16:17]
	v_cmp_gt_u32_e32 vcc, s18, v35
	s_and_saveexec_b64 s[16:17], vcc
	s_cbranch_execnz .LBB531_378
.LBB531_371:                            ;   in Loop: Header=BB531_354 Depth=2
	s_or_b64 exec, exec, s[16:17]
	v_cmp_gt_u32_e32 vcc, s18, v38
	s_and_saveexec_b64 s[16:17], vcc
	s_cbranch_execnz .LBB531_379
.LBB531_372:                            ;   in Loop: Header=BB531_354 Depth=2
	s_or_b64 exec, exec, s[16:17]
	v_cmp_gt_u32_e32 vcc, s18, v39
	s_and_saveexec_b64 s[16:17], vcc
	s_cbranch_execnz .LBB531_380
.LBB531_373:                            ;   in Loop: Header=BB531_354 Depth=2
	s_or_b64 exec, exec, s[16:17]
	v_cmp_gt_u32_e32 vcc, s18, v40
	s_and_saveexec_b64 s[16:17], vcc
	s_cbranch_execnz .LBB531_381
.LBB531_374:                            ;   in Loop: Header=BB531_354 Depth=2
	s_or_b64 exec, exec, s[16:17]
	v_cmp_gt_u32_e32 vcc, s18, v41
	s_and_saveexec_b64 s[16:17], vcc
	s_cbranch_execz .LBB531_353
	s_branch .LBB531_382
.LBB531_375:                            ;   in Loop: Header=BB531_354 Depth=2
	v_xor_b32_e32 v4, 0x7fffffff, v12
	v_lshrrev_b32_e32 v4, s77, v4
	v_and_b32_e32 v4, s70, v4
	v_lshl_or_b32 v4, v4, 4, v42
	ds_add_u32 v4, v66
	s_or_b64 exec, exec, s[16:17]
	v_cmp_gt_u32_e32 vcc, s18, v33
	s_and_saveexec_b64 s[16:17], vcc
	s_cbranch_execz .LBB531_369
.LBB531_376:                            ;   in Loop: Header=BB531_354 Depth=2
	v_xor_b32_e32 v4, 0x7fffffff, v13
	v_lshrrev_b32_e32 v4, s77, v4
	v_and_b32_e32 v4, s70, v4
	v_lshl_or_b32 v4, v4, 4, v42
	ds_add_u32 v4, v66
	s_or_b64 exec, exec, s[16:17]
	v_cmp_gt_u32_e32 vcc, s18, v34
	s_and_saveexec_b64 s[16:17], vcc
	s_cbranch_execz .LBB531_370
.LBB531_377:                            ;   in Loop: Header=BB531_354 Depth=2
	v_xor_b32_e32 v4, 0x7fffffff, v14
	v_lshrrev_b32_e32 v4, s77, v4
	v_and_b32_e32 v4, s70, v4
	v_lshl_or_b32 v4, v4, 4, v42
	ds_add_u32 v4, v66
	s_or_b64 exec, exec, s[16:17]
	v_cmp_gt_u32_e32 vcc, s18, v35
	s_and_saveexec_b64 s[16:17], vcc
	s_cbranch_execz .LBB531_371
.LBB531_378:                            ;   in Loop: Header=BB531_354 Depth=2
	v_xor_b32_e32 v4, 0x7fffffff, v15
	v_lshrrev_b32_e32 v4, s77, v4
	v_and_b32_e32 v4, s70, v4
	v_lshl_or_b32 v4, v4, 4, v42
	ds_add_u32 v4, v66
	s_or_b64 exec, exec, s[16:17]
	v_cmp_gt_u32_e32 vcc, s18, v38
	s_and_saveexec_b64 s[16:17], vcc
	s_cbranch_execz .LBB531_372
.LBB531_379:                            ;   in Loop: Header=BB531_354 Depth=2
	v_xor_b32_e32 v4, 0x7fffffff, v16
	v_lshrrev_b32_e32 v4, s77, v4
	v_and_b32_e32 v4, s70, v4
	v_lshl_or_b32 v4, v4, 4, v42
	ds_add_u32 v4, v66
	s_or_b64 exec, exec, s[16:17]
	v_cmp_gt_u32_e32 vcc, s18, v39
	s_and_saveexec_b64 s[16:17], vcc
	s_cbranch_execz .LBB531_373
.LBB531_380:                            ;   in Loop: Header=BB531_354 Depth=2
	v_xor_b32_e32 v4, 0x7fffffff, v17
	v_lshrrev_b32_e32 v4, s77, v4
	v_and_b32_e32 v4, s70, v4
	v_lshl_or_b32 v4, v4, 4, v42
	ds_add_u32 v4, v66
	s_or_b64 exec, exec, s[16:17]
	v_cmp_gt_u32_e32 vcc, s18, v40
	s_and_saveexec_b64 s[16:17], vcc
	s_cbranch_execz .LBB531_374
.LBB531_381:                            ;   in Loop: Header=BB531_354 Depth=2
	v_xor_b32_e32 v4, 0x7fffffff, v18
	v_lshrrev_b32_e32 v4, s77, v4
	v_and_b32_e32 v4, s70, v4
	v_lshl_or_b32 v4, v4, 4, v42
	ds_add_u32 v4, v66
	s_or_b64 exec, exec, s[16:17]
	v_cmp_gt_u32_e32 vcc, s18, v41
	s_and_saveexec_b64 s[16:17], vcc
	s_cbranch_execz .LBB531_353
.LBB531_382:                            ;   in Loop: Header=BB531_354 Depth=2
	v_xor_b32_e32 v4, 0x7fffffff, v19
	v_lshrrev_b32_e32 v4, s77, v4
	v_and_b32_e32 v4, s70, v4
	v_lshl_or_b32 v4, v4, 4, v42
	ds_add_u32 v4, v66
	s_branch .LBB531_353
.LBB531_383:                            ;   in Loop: Header=BB531_354 Depth=2
	global_load_dword v12, v67, s[16:17]
	s_or_b64 exec, exec, s[18:19]
	v_cmp_gt_u32_e32 vcc, s20, v33
	s_and_saveexec_b64 s[18:19], vcc
	s_cbranch_execz .LBB531_359
.LBB531_384:                            ;   in Loop: Header=BB531_354 Depth=2
	global_load_dword v13, v67, s[16:17] offset:1024
	s_or_b64 exec, exec, s[18:19]
	v_cmp_gt_u32_e32 vcc, s20, v34
	s_and_saveexec_b64 s[18:19], vcc
	s_cbranch_execz .LBB531_360
.LBB531_385:                            ;   in Loop: Header=BB531_354 Depth=2
	global_load_dword v14, v67, s[16:17] offset:2048
	s_or_b64 exec, exec, s[18:19]
	v_cmp_gt_u32_e32 vcc, s20, v35
	s_and_saveexec_b64 s[18:19], vcc
	s_cbranch_execz .LBB531_361
.LBB531_386:                            ;   in Loop: Header=BB531_354 Depth=2
	global_load_dword v15, v67, s[16:17] offset:3072
	s_or_b64 exec, exec, s[18:19]
	v_cmp_gt_u32_e32 vcc, s20, v38
	s_and_saveexec_b64 s[18:19], vcc
	s_cbranch_execz .LBB531_362
.LBB531_387:                            ;   in Loop: Header=BB531_354 Depth=2
	global_load_dword v16, v68, s[16:17]
	s_or_b64 exec, exec, s[18:19]
	v_cmp_gt_u32_e32 vcc, s20, v39
	s_and_saveexec_b64 s[18:19], vcc
	s_cbranch_execz .LBB531_363
.LBB531_388:                            ;   in Loop: Header=BB531_354 Depth=2
	global_load_dword v17, v69, s[16:17]
	s_or_b64 exec, exec, s[18:19]
	v_cmp_gt_u32_e32 vcc, s20, v40
	s_and_saveexec_b64 s[18:19], vcc
	s_cbranch_execz .LBB531_364
.LBB531_389:                            ;   in Loop: Header=BB531_354 Depth=2
	global_load_dword v18, v70, s[16:17]
	s_or_b64 exec, exec, s[18:19]
	v_cmp_gt_u32_e32 vcc, s20, v41
	s_and_saveexec_b64 s[18:19], vcc
	s_cbranch_execnz .LBB531_365
	s_branch .LBB531_366
.LBB531_390:                            ;   in Loop: Header=BB531_20 Depth=1
	v_mov_b32_e32 v4, 0
	s_waitcnt lgkmcnt(0)
	s_barrier
	s_and_saveexec_b64 s[16:17], s[4:5]
	s_cbranch_execz .LBB531_392
; %bb.391:                              ;   in Loop: Header=BB531_20 Depth=1
	ds_read2_b64 v[4:7], v43 offset1:1
	s_waitcnt lgkmcnt(0)
	v_add_u32_e32 v4, v5, v4
	v_add3_u32 v4, v4, v6, v7
.LBB531_392:                            ;   in Loop: Header=BB531_20 Depth=1
	s_or_b64 exec, exec, s[16:17]
	s_nop 0
	v_mov_b32_dpp v5, v4 row_shr:1 row_mask:0xf bank_mask:0xf
	v_cmp_eq_u32_e64 s[16:17], 0, v73
	v_cndmask_b32_e64 v5, v5, 0, s[16:17]
	v_add_u32_e32 v4, v5, v4
	v_cmp_lt_u32_e64 s[18:19], 1, v73
	v_cmp_lt_u32_e64 s[20:21], 3, v73
	v_mov_b32_dpp v5, v4 row_shr:2 row_mask:0xf bank_mask:0xf
	v_cndmask_b32_e64 v5, 0, v5, s[18:19]
	v_add_u32_e32 v4, v4, v5
	v_cmp_lt_u32_e64 s[22:23], 7, v73
	v_cmp_lt_u32_e64 s[26:27], 31, v72
	v_mov_b32_dpp v5, v4 row_shr:4 row_mask:0xf bank_mask:0xf
	v_cndmask_b32_e64 v5, 0, v5, s[20:21]
	v_add_u32_e32 v4, v4, v5
	v_cmp_eq_u32_e64 s[24:25], 0, v75
	s_nop 0
	v_mov_b32_dpp v5, v4 row_shr:8 row_mask:0xf bank_mask:0xf
	v_cndmask_b32_e64 v5, 0, v5, s[22:23]
	v_add_u32_e32 v4, v4, v5
	s_nop 1
	v_mov_b32_dpp v5, v4 row_bcast:15 row_mask:0xf bank_mask:0xf
	v_and_b32_e32 v5, v74, v5
	v_add_u32_e32 v4, v4, v5
	s_nop 1
	v_mov_b32_dpp v5, v4 row_bcast:31 row_mask:0xf bank_mask:0xf
	v_cndmask_b32_e64 v5, 0, v5, s[26:27]
	v_add_u32_e32 v4, v4, v5
	s_and_saveexec_b64 s[28:29], s[6:7]
; %bb.393:                              ;   in Loop: Header=BB531_20 Depth=1
	ds_write_b32 v45, v4
; %bb.394:                              ;   in Loop: Header=BB531_20 Depth=1
	s_or_b64 exec, exec, s[28:29]
	s_waitcnt lgkmcnt(0)
	s_barrier
	s_and_saveexec_b64 s[28:29], s[8:9]
	s_cbranch_execz .LBB531_396
; %bb.395:                              ;   in Loop: Header=BB531_20 Depth=1
	ds_read_b32 v5, v46
	v_cmp_ne_u32_e32 vcc, 0, v76
	s_waitcnt lgkmcnt(0)
	v_mov_b32_dpp v6, v5 row_shr:1 row_mask:0xf bank_mask:0xf
	v_cndmask_b32_e32 v6, 0, v6, vcc
	v_add_u32_e32 v5, v6, v5
	v_cmp_lt_u32_e32 vcc, 1, v76
	s_nop 0
	v_mov_b32_dpp v6, v5 row_shr:2 row_mask:0xf bank_mask:0xf
	v_cndmask_b32_e32 v6, 0, v6, vcc
	v_add_u32_e32 v5, v5, v6
	ds_write_b32 v46, v5
.LBB531_396:                            ;   in Loop: Header=BB531_20 Depth=1
	s_or_b64 exec, exec, s[28:29]
	v_mov_b32_e32 v5, 0
	s_waitcnt lgkmcnt(0)
	s_barrier
	s_and_saveexec_b64 s[28:29], s[10:11]
; %bb.397:                              ;   in Loop: Header=BB531_20 Depth=1
	ds_read_b32 v5, v47
; %bb.398:                              ;   in Loop: Header=BB531_20 Depth=1
	s_or_b64 exec, exec, s[28:29]
	v_subrev_co_u32_e64 v6, s[28:29], 1, v72
	v_cmp_lt_i32_e32 vcc, v6, v77
	v_cndmask_b32_e32 v6, v6, v72, vcc
	s_waitcnt lgkmcnt(0)
	v_add_u32_e32 v4, v5, v4
	v_lshlrev_b32_e32 v84, 2, v6
	ds_bpermute_b32 v4, v84, v4
	s_waitcnt lgkmcnt(0)
	s_barrier
	s_and_saveexec_b64 s[30:31], s[4:5]
; %bb.399:                              ;   in Loop: Header=BB531_20 Depth=1
	v_cndmask_b32_e64 v4, v4, v5, s[28:29]
	v_add_u32_e32 v4, s51, v4
	ds_write_b32 v32, v4
; %bb.400:                              ;   in Loop: Header=BB531_20 Depth=1
	s_or_b64 exec, exec, s[30:31]
	s_load_dwordx2 s[30:31], s[56:57], 0x0
	v_add_co_u32_e32 v85, vcc, v62, v79
	v_addc_co_u32_e32 v86, vcc, 0, v63, vcc
	s_waitcnt lgkmcnt(0)
	s_cmp_lt_u32 s33, s31
	s_cselect_b32 s31, 14, 20
	s_add_u32 s34, s56, s31
	s_addc_u32 s35, s57, 0
	s_cmp_lt_u32 s50, s30
	s_cselect_b32 s30, 12, 18
	s_add_u32 s30, s56, s30
	global_load_ushort v4, v3, s[34:35]
	s_addc_u32 s31, s57, 0
	global_load_ushort v12, v3, s[30:31]
	v_lshlrev_b32_e32 v14, 2, v78
	v_add_co_u32_e32 v98, vcc, v64, v14
	v_cmp_eq_u32_e64 s[30:31], 0, v76
	v_cmp_lt_u32_e64 s[34:35], 1, v76
	v_or_b32_e32 v87, 0x100, v80
	v_or_b32_e32 v88, 0x140, v80
	;; [unrolled: 1-line block ×4, first 2 shown]
	s_mov_b32 s71, s79
	v_addc_co_u32_e32 v100, vcc, 0, v65, vcc
	s_mov_b32 s58, s51
                                        ; implicit-def: $vgpr5_vgpr6
                                        ; implicit-def: $vgpr7_vgpr8
                                        ; implicit-def: $vgpr9_vgpr10
                                        ; implicit-def: $vgpr20_vgpr21
                                        ; implicit-def: $vgpr22_vgpr23
                                        ; implicit-def: $vgpr24_vgpr25
                                        ; implicit-def: $vgpr26_vgpr27
                                        ; implicit-def: $vgpr28_vgpr29
                                        ; implicit-def: $vgpr91
                                        ; implicit-def: $vgpr92
                                        ; implicit-def: $vgpr93
                                        ; implicit-def: $vgpr94
                                        ; implicit-def: $vgpr95
                                        ; implicit-def: $vgpr96
                                        ; implicit-def: $vgpr97
                                        ; implicit-def: $vgpr99
	s_waitcnt vmcnt(1)
	v_mad_u32_u24 v4, v2, v4, v1
	s_waitcnt vmcnt(0)
	v_mad_u64_u32 v[12:13], s[36:37], v4, v12, v[0:1]
	v_lshrrev_b32_e32 v4, 4, v12
	v_and_b32_e32 v101, 0xffffffc, v4
	s_branch .LBB531_402
.LBB531_401:                            ;   in Loop: Header=BB531_402 Depth=2
	s_or_b64 exec, exec, s[36:37]
	s_addk_i32 s71, 0xf800
	s_cmp_lt_u32 s76, s63
	s_mov_b32 s58, s76
	s_cbranch_scc0 .LBB531_514
.LBB531_402:                            ;   Parent Loop BB531_20 Depth=1
                                        ; =>  This Inner Loop Header: Depth=2
	s_add_i32 s76, s58, 0x800
	s_cmp_gt_u32 s76, s63
	s_cbranch_scc1 .LBB531_404
; %bb.403:                              ;   in Loop: Header=BB531_402 Depth=2
	s_lshl_b64 s[36:37], s[58:59], 2
	v_mov_b32_e32 v4, s37
	v_add_co_u32_e32 v18, vcc, s36, v98
	v_addc_co_u32_e32 v19, vcc, v100, v4, vcc
	global_load_dword v12, v[18:19], off
	global_load_dword v13, v[18:19], off offset:256
	global_load_dword v14, v[18:19], off offset:512
	;; [unrolled: 1-line block ×5, first 2 shown]
	s_nop 0
	global_load_dword v18, v[18:19], off offset:1536
	s_mov_b64 s[36:37], -1
	s_movk_i32 s40, 0x800
	s_cbranch_execz .LBB531_405
	s_branch .LBB531_414
.LBB531_404:                            ;   in Loop: Header=BB531_402 Depth=2
	s_mov_b64 s[36:37], 0
                                        ; implicit-def: $vgpr12_vgpr13_vgpr14_vgpr15_vgpr16_vgpr17_vgpr18_vgpr19
	s_movk_i32 s40, 0x800
.LBB531_405:                            ;   in Loop: Header=BB531_402 Depth=2
	s_lshl_b64 s[36:37], s[58:59], 2
	v_mov_b32_e32 v4, s37
	v_add_co_u32_e32 v30, vcc, s36, v98
	s_waitcnt vmcnt(6)
	v_mov_b32_e32 v12, v11
	s_waitcnt vmcnt(5)
	v_mov_b32_e32 v13, v11
	;; [unrolled: 2-line block ×7, first 2 shown]
	v_addc_co_u32_e32 v31, vcc, v100, v4, vcc
	v_mov_b32_e32 v19, v18
	v_cmp_gt_u32_e32 vcc, s71, v80
	v_mov_b32_e32 v18, v17
	v_mov_b32_e32 v17, v16
	v_mov_b32_e32 v16, v15
	v_mov_b32_e32 v15, v14
	v_mov_b32_e32 v14, v13
	v_mov_b32_e32 v13, v12
	v_mov_b32_e32 v12, v11
	s_and_saveexec_b64 s[36:37], vcc
	s_cbranch_execnz .LBB531_508
; %bb.406:                              ;   in Loop: Header=BB531_402 Depth=2
	s_or_b64 exec, exec, s[36:37]
	v_cmp_gt_u32_e32 vcc, s71, v81
	s_and_saveexec_b64 s[36:37], vcc
	s_cbranch_execnz .LBB531_509
.LBB531_407:                            ;   in Loop: Header=BB531_402 Depth=2
	s_or_b64 exec, exec, s[36:37]
	v_cmp_gt_u32_e32 vcc, s71, v82
	s_and_saveexec_b64 s[36:37], vcc
	s_cbranch_execnz .LBB531_510
.LBB531_408:                            ;   in Loop: Header=BB531_402 Depth=2
	s_or_b64 exec, exec, s[36:37]
	v_cmp_gt_u32_e32 vcc, s71, v83
	s_and_saveexec_b64 s[36:37], vcc
	s_cbranch_execnz .LBB531_511
.LBB531_409:                            ;   in Loop: Header=BB531_402 Depth=2
	s_or_b64 exec, exec, s[36:37]
	v_cmp_gt_u32_e32 vcc, s71, v87
	s_and_saveexec_b64 s[36:37], vcc
	s_cbranch_execnz .LBB531_512
.LBB531_410:                            ;   in Loop: Header=BB531_402 Depth=2
	s_or_b64 exec, exec, s[36:37]
	v_cmp_gt_u32_e32 vcc, s71, v88
	s_and_saveexec_b64 s[36:37], vcc
	s_cbranch_execnz .LBB531_513
.LBB531_411:                            ;   in Loop: Header=BB531_402 Depth=2
	s_or_b64 exec, exec, s[36:37]
	v_cmp_gt_u32_e32 vcc, s71, v89
	s_and_saveexec_b64 s[36:37], vcc
	s_cbranch_execz .LBB531_413
.LBB531_412:                            ;   in Loop: Header=BB531_402 Depth=2
	global_load_dword v18, v[30:31], off offset:1536
.LBB531_413:                            ;   in Loop: Header=BB531_402 Depth=2
	s_or_b64 exec, exec, s[36:37]
	s_sub_i32 s40, s63, s58
	v_cmp_gt_u32_e64 s[36:37], s71, v90
.LBB531_414:                            ;   in Loop: Header=BB531_402 Depth=2
	v_mov_b32_e32 v102, s71
	s_and_saveexec_b64 s[38:39], s[36:37]
	s_cbranch_execz .LBB531_416
; %bb.415:                              ;   in Loop: Header=BB531_402 Depth=2
	s_lshl_b64 s[36:37], s[58:59], 2
	v_mov_b32_e32 v4, s37
	v_add_co_u32_e32 v30, vcc, s36, v98
	v_addc_co_u32_e32 v31, vcc, v100, v4, vcc
	global_load_dword v19, v[30:31], off offset:1792
	v_mov_b32_e32 v102, s40
.LBB531_416:                            ;   in Loop: Header=BB531_402 Depth=2
	s_or_b64 exec, exec, s[38:39]
	s_waitcnt vmcnt(0)
	v_xor_b32_e32 v103, 0x7fffffff, v12
	v_lshrrev_b32_e32 v4, s77, v103
	v_and_b32_e32 v12, s70, v4
	v_and_b32_e32 v4, 1, v12
	v_add_co_u32_e32 v30, vcc, -1, v4
	v_addc_co_u32_e64 v31, s[36:37], 0, -1, vcc
	v_cmp_ne_u32_e32 vcc, 0, v4
	v_xor_b32_e32 v4, vcc_hi, v31
	v_and_b32_e32 v31, exec_hi, v4
	v_lshlrev_b32_e32 v4, 30, v12
	v_xor_b32_e32 v30, vcc_lo, v30
	v_cmp_gt_i64_e32 vcc, 0, v[3:4]
	v_not_b32_e32 v4, v4
	v_ashrrev_i32_e32 v4, 31, v4
	v_and_b32_e32 v30, exec_lo, v30
	v_xor_b32_e32 v106, vcc_hi, v4
	v_xor_b32_e32 v4, vcc_lo, v4
	v_and_b32_e32 v30, v30, v4
	v_lshlrev_b32_e32 v4, 29, v12
	v_cmp_gt_i64_e32 vcc, 0, v[3:4]
	v_not_b32_e32 v4, v4
	v_ashrrev_i32_e32 v4, 31, v4
	v_and_b32_e32 v31, v31, v106
	v_xor_b32_e32 v106, vcc_hi, v4
	v_xor_b32_e32 v4, vcc_lo, v4
	v_and_b32_e32 v30, v30, v4
	v_lshlrev_b32_e32 v4, 28, v12
	v_cmp_gt_i64_e32 vcc, 0, v[3:4]
	v_not_b32_e32 v4, v4
	v_ashrrev_i32_e32 v4, 31, v4
	v_and_b32_e32 v31, v31, v106
	;; [unrolled: 8-line block ×5, first 2 shown]
	v_xor_b32_e32 v106, vcc_hi, v4
	v_xor_b32_e32 v4, vcc_lo, v4
	v_and_b32_e32 v30, v30, v4
	v_lshlrev_b32_e32 v4, 24, v12
	v_cmp_gt_i64_e32 vcc, 0, v[3:4]
	v_not_b32_e32 v4, v4
	v_ashrrev_i32_e32 v4, 31, v4
	v_mul_u32_u24_e32 v107, 20, v12
	v_xor_b32_e32 v12, vcc_hi, v4
	v_xor_b32_e32 v4, vcc_lo, v4
	v_and_b32_e32 v31, v31, v106
	v_and_b32_e32 v30, v30, v4
	;; [unrolled: 1-line block ×3, first 2 shown]
	v_mbcnt_lo_u32_b32 v4, v30, 0
	v_mbcnt_hi_u32_b32 v106, v31, v4
	v_cmp_ne_u64_e32 vcc, 0, v[30:31]
	v_cmp_eq_u32_e64 s[36:37], 0, v106
	v_add_u32_e32 v105, 0x410, v48
	v_add_u32_e32 v104, 0x418, v48
	s_and_b64 s[38:39], vcc, s[36:37]
	v_add_u32_e32 v107, v101, v107
	ds_write2_b32 v105, v3, v3 offset1:1
	ds_write2_b32 v104, v3, v3 offset1:1
	ds_write_b32 v48, v3 offset:1056
	s_waitcnt lgkmcnt(0)
	s_barrier
	; wave barrier
	s_and_saveexec_b64 s[36:37], s[38:39]
; %bb.417:                              ;   in Loop: Header=BB531_402 Depth=2
	v_bcnt_u32_b32 v4, v30, 0
	v_bcnt_u32_b32 v4, v31, v4
	ds_write_b32 v107, v4 offset:1040
; %bb.418:                              ;   in Loop: Header=BB531_402 Depth=2
	s_or_b64 exec, exec, s[36:37]
	v_xor_b32_e32 v30, 0x7fffffff, v13
	v_lshrrev_b32_e32 v4, s77, v30
	v_and_b32_e32 v12, s70, v4
	v_mad_u32_u24 v4, v12, 20, v101
	; wave barrier
	ds_read_b32 v31, v4 offset:1040
	v_and_b32_e32 v4, 1, v12
	v_add_co_u32_e32 v13, vcc, -1, v4
	v_addc_co_u32_e64 v108, s[36:37], 0, -1, vcc
	v_cmp_ne_u32_e32 vcc, 0, v4
	v_xor_b32_e32 v4, vcc_hi, v108
	v_and_b32_e32 v108, exec_hi, v4
	v_lshlrev_b32_e32 v4, 30, v12
	v_xor_b32_e32 v13, vcc_lo, v13
	v_cmp_gt_i64_e32 vcc, 0, v[3:4]
	v_not_b32_e32 v4, v4
	v_ashrrev_i32_e32 v4, 31, v4
	v_and_b32_e32 v13, exec_lo, v13
	v_xor_b32_e32 v110, vcc_hi, v4
	v_xor_b32_e32 v4, vcc_lo, v4
	v_and_b32_e32 v13, v13, v4
	v_lshlrev_b32_e32 v4, 29, v12
	v_cmp_gt_i64_e32 vcc, 0, v[3:4]
	v_not_b32_e32 v4, v4
	v_ashrrev_i32_e32 v4, 31, v4
	v_and_b32_e32 v108, v108, v110
	v_xor_b32_e32 v110, vcc_hi, v4
	v_xor_b32_e32 v4, vcc_lo, v4
	v_and_b32_e32 v13, v13, v4
	v_lshlrev_b32_e32 v4, 28, v12
	v_cmp_gt_i64_e32 vcc, 0, v[3:4]
	v_not_b32_e32 v4, v4
	v_ashrrev_i32_e32 v4, 31, v4
	v_and_b32_e32 v108, v108, v110
	;; [unrolled: 8-line block ×5, first 2 shown]
	v_xor_b32_e32 v110, vcc_hi, v4
	v_xor_b32_e32 v4, vcc_lo, v4
	v_and_b32_e32 v108, v108, v110
	v_and_b32_e32 v110, v13, v4
	v_lshlrev_b32_e32 v4, 24, v12
	v_cmp_gt_i64_e32 vcc, 0, v[3:4]
	v_not_b32_e32 v4, v4
	v_ashrrev_i32_e32 v4, 31, v4
	v_mul_u32_u24_e32 v109, 20, v12
	v_xor_b32_e32 v12, vcc_hi, v4
	v_xor_b32_e32 v4, vcc_lo, v4
	v_and_b32_e32 v13, v108, v12
	v_and_b32_e32 v12, v110, v4
	v_mbcnt_lo_u32_b32 v4, v12, 0
	v_mbcnt_hi_u32_b32 v108, v13, v4
	v_cmp_ne_u64_e32 vcc, 0, v[12:13]
	v_cmp_eq_u32_e64 s[36:37], 0, v108
	s_and_b64 s[38:39], vcc, s[36:37]
	v_add_u32_e32 v111, v101, v109
	; wave barrier
	s_and_saveexec_b64 s[36:37], s[38:39]
	s_cbranch_execz .LBB531_420
; %bb.419:                              ;   in Loop: Header=BB531_402 Depth=2
	v_bcnt_u32_b32 v4, v12, 0
	v_bcnt_u32_b32 v4, v13, v4
	s_waitcnt lgkmcnt(0)
	v_add_u32_e32 v4, v31, v4
	ds_write_b32 v111, v4 offset:1040
.LBB531_420:                            ;   in Loop: Header=BB531_402 Depth=2
	s_or_b64 exec, exec, s[36:37]
	v_xor_b32_e32 v109, 0x7fffffff, v14
	v_lshrrev_b32_e32 v4, s77, v109
	v_and_b32_e32 v12, s70, v4
	v_mad_u32_u24 v4, v12, 20, v101
	; wave barrier
	ds_read_b32 v110, v4 offset:1040
	v_and_b32_e32 v4, 1, v12
	v_add_co_u32_e32 v13, vcc, -1, v4
	v_addc_co_u32_e64 v112, s[36:37], 0, -1, vcc
	v_cmp_ne_u32_e32 vcc, 0, v4
	v_xor_b32_e32 v4, vcc_hi, v112
	v_and_b32_e32 v112, exec_hi, v4
	v_lshlrev_b32_e32 v4, 30, v12
	v_xor_b32_e32 v13, vcc_lo, v13
	v_cmp_gt_i64_e32 vcc, 0, v[3:4]
	v_not_b32_e32 v4, v4
	v_ashrrev_i32_e32 v4, 31, v4
	v_and_b32_e32 v13, exec_lo, v13
	v_xor_b32_e32 v113, vcc_hi, v4
	v_xor_b32_e32 v4, vcc_lo, v4
	v_and_b32_e32 v13, v13, v4
	v_lshlrev_b32_e32 v4, 29, v12
	v_cmp_gt_i64_e32 vcc, 0, v[3:4]
	v_not_b32_e32 v4, v4
	v_ashrrev_i32_e32 v4, 31, v4
	v_and_b32_e32 v112, v112, v113
	v_xor_b32_e32 v113, vcc_hi, v4
	v_xor_b32_e32 v4, vcc_lo, v4
	v_and_b32_e32 v13, v13, v4
	v_lshlrev_b32_e32 v4, 28, v12
	v_cmp_gt_i64_e32 vcc, 0, v[3:4]
	v_not_b32_e32 v4, v4
	v_ashrrev_i32_e32 v4, 31, v4
	v_and_b32_e32 v112, v112, v113
	;; [unrolled: 8-line block ×5, first 2 shown]
	v_xor_b32_e32 v113, vcc_hi, v4
	v_xor_b32_e32 v4, vcc_lo, v4
	v_and_b32_e32 v112, v112, v113
	v_and_b32_e32 v113, v13, v4
	v_lshlrev_b32_e32 v4, 24, v12
	v_cmp_gt_i64_e32 vcc, 0, v[3:4]
	v_not_b32_e32 v4, v4
	v_ashrrev_i32_e32 v4, 31, v4
	v_mul_u32_u24_e32 v14, 20, v12
	v_xor_b32_e32 v12, vcc_hi, v4
	v_xor_b32_e32 v4, vcc_lo, v4
	v_and_b32_e32 v13, v112, v12
	v_and_b32_e32 v12, v113, v4
	v_mbcnt_lo_u32_b32 v4, v12, 0
	v_mbcnt_hi_u32_b32 v112, v13, v4
	v_cmp_ne_u64_e32 vcc, 0, v[12:13]
	v_cmp_eq_u32_e64 s[36:37], 0, v112
	s_and_b64 s[38:39], vcc, s[36:37]
	v_add_u32_e32 v115, v101, v14
	; wave barrier
	s_and_saveexec_b64 s[36:37], s[38:39]
	s_cbranch_execz .LBB531_422
; %bb.421:                              ;   in Loop: Header=BB531_402 Depth=2
	v_bcnt_u32_b32 v4, v12, 0
	v_bcnt_u32_b32 v4, v13, v4
	s_waitcnt lgkmcnt(0)
	v_add_u32_e32 v4, v110, v4
	ds_write_b32 v115, v4 offset:1040
.LBB531_422:                            ;   in Loop: Header=BB531_402 Depth=2
	s_or_b64 exec, exec, s[36:37]
	v_xor_b32_e32 v113, 0x7fffffff, v15
	v_lshrrev_b32_e32 v4, s77, v113
	v_and_b32_e32 v12, s70, v4
	v_mad_u32_u24 v4, v12, 20, v101
	; wave barrier
	ds_read_b32 v114, v4 offset:1040
	v_and_b32_e32 v4, 1, v12
	v_add_co_u32_e32 v13, vcc, -1, v4
	v_addc_co_u32_e64 v15, s[36:37], 0, -1, vcc
	v_cmp_ne_u32_e32 vcc, 0, v4
	v_xor_b32_e32 v4, vcc_hi, v15
	v_and_b32_e32 v15, exec_hi, v4
	v_lshlrev_b32_e32 v4, 30, v12
	v_xor_b32_e32 v13, vcc_lo, v13
	v_cmp_gt_i64_e32 vcc, 0, v[3:4]
	v_not_b32_e32 v4, v4
	v_ashrrev_i32_e32 v4, 31, v4
	v_and_b32_e32 v13, exec_lo, v13
	v_xor_b32_e32 v116, vcc_hi, v4
	v_xor_b32_e32 v4, vcc_lo, v4
	v_and_b32_e32 v13, v13, v4
	v_lshlrev_b32_e32 v4, 29, v12
	v_cmp_gt_i64_e32 vcc, 0, v[3:4]
	v_not_b32_e32 v4, v4
	v_ashrrev_i32_e32 v4, 31, v4
	v_and_b32_e32 v15, v15, v116
	v_xor_b32_e32 v116, vcc_hi, v4
	v_xor_b32_e32 v4, vcc_lo, v4
	v_and_b32_e32 v13, v13, v4
	v_lshlrev_b32_e32 v4, 28, v12
	v_cmp_gt_i64_e32 vcc, 0, v[3:4]
	v_not_b32_e32 v4, v4
	v_ashrrev_i32_e32 v4, 31, v4
	v_and_b32_e32 v15, v15, v116
	;; [unrolled: 8-line block ×5, first 2 shown]
	v_xor_b32_e32 v116, vcc_hi, v4
	v_xor_b32_e32 v4, vcc_lo, v4
	v_and_b32_e32 v15, v15, v116
	v_and_b32_e32 v116, v13, v4
	v_lshlrev_b32_e32 v4, 24, v12
	v_cmp_gt_i64_e32 vcc, 0, v[3:4]
	v_not_b32_e32 v4, v4
	v_ashrrev_i32_e32 v4, 31, v4
	v_mul_u32_u24_e32 v14, 20, v12
	v_xor_b32_e32 v12, vcc_hi, v4
	v_xor_b32_e32 v4, vcc_lo, v4
	v_and_b32_e32 v13, v15, v12
	v_and_b32_e32 v12, v116, v4
	v_mbcnt_lo_u32_b32 v4, v12, 0
	v_mbcnt_hi_u32_b32 v116, v13, v4
	v_cmp_ne_u64_e32 vcc, 0, v[12:13]
	v_cmp_eq_u32_e64 s[36:37], 0, v116
	s_and_b64 s[38:39], vcc, s[36:37]
	v_add_u32_e32 v118, v101, v14
	; wave barrier
	s_and_saveexec_b64 s[36:37], s[38:39]
	s_cbranch_execz .LBB531_424
; %bb.423:                              ;   in Loop: Header=BB531_402 Depth=2
	v_bcnt_u32_b32 v4, v12, 0
	v_bcnt_u32_b32 v4, v13, v4
	s_waitcnt lgkmcnt(0)
	v_add_u32_e32 v4, v114, v4
	ds_write_b32 v118, v4 offset:1040
.LBB531_424:                            ;   in Loop: Header=BB531_402 Depth=2
	s_or_b64 exec, exec, s[36:37]
	v_xor_b32_e32 v16, 0x7fffffff, v16
	v_lshrrev_b32_e32 v4, s77, v16
	v_and_b32_e32 v12, s70, v4
	v_mad_u32_u24 v4, v12, 20, v101
	; wave barrier
	ds_read_b32 v117, v4 offset:1040
	v_and_b32_e32 v4, 1, v12
	v_add_co_u32_e32 v13, vcc, -1, v4
	v_addc_co_u32_e64 v15, s[36:37], 0, -1, vcc
	v_cmp_ne_u32_e32 vcc, 0, v4
	v_xor_b32_e32 v4, vcc_hi, v15
	v_and_b32_e32 v15, exec_hi, v4
	v_lshlrev_b32_e32 v4, 30, v12
	v_xor_b32_e32 v13, vcc_lo, v13
	v_cmp_gt_i64_e32 vcc, 0, v[3:4]
	v_not_b32_e32 v4, v4
	v_ashrrev_i32_e32 v4, 31, v4
	v_and_b32_e32 v13, exec_lo, v13
	v_xor_b32_e32 v119, vcc_hi, v4
	v_xor_b32_e32 v4, vcc_lo, v4
	v_and_b32_e32 v13, v13, v4
	v_lshlrev_b32_e32 v4, 29, v12
	v_cmp_gt_i64_e32 vcc, 0, v[3:4]
	v_not_b32_e32 v4, v4
	v_ashrrev_i32_e32 v4, 31, v4
	v_and_b32_e32 v15, v15, v119
	v_xor_b32_e32 v119, vcc_hi, v4
	v_xor_b32_e32 v4, vcc_lo, v4
	v_and_b32_e32 v13, v13, v4
	v_lshlrev_b32_e32 v4, 28, v12
	v_cmp_gt_i64_e32 vcc, 0, v[3:4]
	v_not_b32_e32 v4, v4
	v_ashrrev_i32_e32 v4, 31, v4
	v_and_b32_e32 v15, v15, v119
	;; [unrolled: 8-line block ×5, first 2 shown]
	v_xor_b32_e32 v119, vcc_hi, v4
	v_xor_b32_e32 v4, vcc_lo, v4
	v_and_b32_e32 v15, v15, v119
	v_and_b32_e32 v119, v13, v4
	v_lshlrev_b32_e32 v4, 24, v12
	v_cmp_gt_i64_e32 vcc, 0, v[3:4]
	v_not_b32_e32 v4, v4
	v_ashrrev_i32_e32 v4, 31, v4
	v_mul_u32_u24_e32 v14, 20, v12
	v_xor_b32_e32 v12, vcc_hi, v4
	v_xor_b32_e32 v4, vcc_lo, v4
	v_and_b32_e32 v13, v15, v12
	v_and_b32_e32 v12, v119, v4
	v_mbcnt_lo_u32_b32 v4, v12, 0
	v_mbcnt_hi_u32_b32 v119, v13, v4
	v_cmp_ne_u64_e32 vcc, 0, v[12:13]
	v_cmp_eq_u32_e64 s[36:37], 0, v119
	s_and_b64 s[38:39], vcc, s[36:37]
	v_add_u32_e32 v121, v101, v14
	; wave barrier
	s_and_saveexec_b64 s[36:37], s[38:39]
	s_cbranch_execz .LBB531_426
; %bb.425:                              ;   in Loop: Header=BB531_402 Depth=2
	v_bcnt_u32_b32 v4, v12, 0
	v_bcnt_u32_b32 v4, v13, v4
	s_waitcnt lgkmcnt(0)
	v_add_u32_e32 v4, v117, v4
	ds_write_b32 v121, v4 offset:1040
.LBB531_426:                            ;   in Loop: Header=BB531_402 Depth=2
	s_or_b64 exec, exec, s[36:37]
	v_xor_b32_e32 v120, 0x7fffffff, v17
	v_lshrrev_b32_e32 v4, s77, v120
	v_and_b32_e32 v12, s70, v4
	v_mad_u32_u24 v4, v12, 20, v101
	; wave barrier
	ds_read_b32 v17, v4 offset:1040
	v_and_b32_e32 v4, 1, v12
	v_add_co_u32_e32 v13, vcc, -1, v4
	v_addc_co_u32_e64 v15, s[36:37], 0, -1, vcc
	v_cmp_ne_u32_e32 vcc, 0, v4
	v_xor_b32_e32 v4, vcc_hi, v15
	v_and_b32_e32 v15, exec_hi, v4
	v_lshlrev_b32_e32 v4, 30, v12
	v_xor_b32_e32 v13, vcc_lo, v13
	v_cmp_gt_i64_e32 vcc, 0, v[3:4]
	v_not_b32_e32 v4, v4
	v_ashrrev_i32_e32 v4, 31, v4
	v_and_b32_e32 v13, exec_lo, v13
	v_xor_b32_e32 v122, vcc_hi, v4
	v_xor_b32_e32 v4, vcc_lo, v4
	v_and_b32_e32 v13, v13, v4
	v_lshlrev_b32_e32 v4, 29, v12
	v_cmp_gt_i64_e32 vcc, 0, v[3:4]
	v_not_b32_e32 v4, v4
	v_ashrrev_i32_e32 v4, 31, v4
	v_and_b32_e32 v15, v15, v122
	v_xor_b32_e32 v122, vcc_hi, v4
	v_xor_b32_e32 v4, vcc_lo, v4
	v_and_b32_e32 v13, v13, v4
	v_lshlrev_b32_e32 v4, 28, v12
	v_cmp_gt_i64_e32 vcc, 0, v[3:4]
	v_not_b32_e32 v4, v4
	v_ashrrev_i32_e32 v4, 31, v4
	v_and_b32_e32 v15, v15, v122
	;; [unrolled: 8-line block ×5, first 2 shown]
	v_xor_b32_e32 v122, vcc_hi, v4
	v_xor_b32_e32 v4, vcc_lo, v4
	v_and_b32_e32 v15, v15, v122
	v_and_b32_e32 v122, v13, v4
	v_lshlrev_b32_e32 v4, 24, v12
	v_cmp_gt_i64_e32 vcc, 0, v[3:4]
	v_not_b32_e32 v4, v4
	v_ashrrev_i32_e32 v4, 31, v4
	v_mul_u32_u24_e32 v14, 20, v12
	v_xor_b32_e32 v12, vcc_hi, v4
	v_xor_b32_e32 v4, vcc_lo, v4
	v_and_b32_e32 v13, v15, v12
	v_and_b32_e32 v12, v122, v4
	v_mbcnt_lo_u32_b32 v4, v12, 0
	v_mbcnt_hi_u32_b32 v122, v13, v4
	v_cmp_ne_u64_e32 vcc, 0, v[12:13]
	v_cmp_eq_u32_e64 s[36:37], 0, v122
	s_and_b64 s[38:39], vcc, s[36:37]
	v_add_u32_e32 v125, v101, v14
	; wave barrier
	s_and_saveexec_b64 s[36:37], s[38:39]
	s_cbranch_execz .LBB531_428
; %bb.427:                              ;   in Loop: Header=BB531_402 Depth=2
	v_bcnt_u32_b32 v4, v12, 0
	v_bcnt_u32_b32 v4, v13, v4
	s_waitcnt lgkmcnt(0)
	v_add_u32_e32 v4, v17, v4
	ds_write_b32 v125, v4 offset:1040
.LBB531_428:                            ;   in Loop: Header=BB531_402 Depth=2
	s_or_b64 exec, exec, s[36:37]
	v_xor_b32_e32 v123, 0x7fffffff, v18
	v_lshrrev_b32_e32 v4, s77, v123
	v_and_b32_e32 v12, s70, v4
	v_mad_u32_u24 v4, v12, 20, v101
	; wave barrier
	ds_read_b32 v124, v4 offset:1040
	v_and_b32_e32 v4, 1, v12
	v_add_co_u32_e32 v13, vcc, -1, v4
	v_addc_co_u32_e64 v15, s[36:37], 0, -1, vcc
	v_cmp_ne_u32_e32 vcc, 0, v4
	v_xor_b32_e32 v4, vcc_hi, v15
	v_and_b32_e32 v15, exec_hi, v4
	v_lshlrev_b32_e32 v4, 30, v12
	v_xor_b32_e32 v13, vcc_lo, v13
	v_cmp_gt_i64_e32 vcc, 0, v[3:4]
	v_not_b32_e32 v4, v4
	v_ashrrev_i32_e32 v4, 31, v4
	v_and_b32_e32 v13, exec_lo, v13
	v_xor_b32_e32 v18, vcc_hi, v4
	v_xor_b32_e32 v4, vcc_lo, v4
	v_and_b32_e32 v13, v13, v4
	v_lshlrev_b32_e32 v4, 29, v12
	v_cmp_gt_i64_e32 vcc, 0, v[3:4]
	v_not_b32_e32 v4, v4
	v_ashrrev_i32_e32 v4, 31, v4
	v_and_b32_e32 v15, v15, v18
	v_xor_b32_e32 v18, vcc_hi, v4
	v_xor_b32_e32 v4, vcc_lo, v4
	v_and_b32_e32 v13, v13, v4
	v_lshlrev_b32_e32 v4, 28, v12
	v_cmp_gt_i64_e32 vcc, 0, v[3:4]
	v_not_b32_e32 v4, v4
	v_ashrrev_i32_e32 v4, 31, v4
	v_and_b32_e32 v15, v15, v18
	;; [unrolled: 8-line block ×5, first 2 shown]
	v_xor_b32_e32 v18, vcc_hi, v4
	v_xor_b32_e32 v4, vcc_lo, v4
	v_and_b32_e32 v15, v15, v18
	v_and_b32_e32 v18, v13, v4
	v_lshlrev_b32_e32 v4, 24, v12
	v_cmp_gt_i64_e32 vcc, 0, v[3:4]
	v_not_b32_e32 v4, v4
	v_ashrrev_i32_e32 v4, 31, v4
	v_mul_u32_u24_e32 v14, 20, v12
	v_xor_b32_e32 v12, vcc_hi, v4
	v_xor_b32_e32 v4, vcc_lo, v4
	v_and_b32_e32 v13, v15, v12
	v_and_b32_e32 v12, v18, v4
	v_mbcnt_lo_u32_b32 v4, v12, 0
	v_mbcnt_hi_u32_b32 v126, v13, v4
	v_cmp_ne_u64_e32 vcc, 0, v[12:13]
	v_cmp_eq_u32_e64 s[36:37], 0, v126
	s_and_b64 s[38:39], vcc, s[36:37]
	v_add_u32_e32 v18, v101, v14
	; wave barrier
	s_and_saveexec_b64 s[36:37], s[38:39]
	s_cbranch_execz .LBB531_430
; %bb.429:                              ;   in Loop: Header=BB531_402 Depth=2
	v_bcnt_u32_b32 v4, v12, 0
	v_bcnt_u32_b32 v4, v13, v4
	s_waitcnt lgkmcnt(0)
	v_add_u32_e32 v4, v124, v4
	ds_write_b32 v18, v4 offset:1040
.LBB531_430:                            ;   in Loop: Header=BB531_402 Depth=2
	s_or_b64 exec, exec, s[36:37]
	v_xor_b32_e32 v127, 0x7fffffff, v19
	v_lshrrev_b32_e32 v4, s77, v127
	v_and_b32_e32 v12, s70, v4
	v_mad_u32_u24 v4, v12, 20, v101
	; wave barrier
	ds_read_b32 v128, v4 offset:1040
	v_and_b32_e32 v4, 1, v12
	v_add_co_u32_e32 v13, vcc, -1, v4
	v_addc_co_u32_e64 v15, s[36:37], 0, -1, vcc
	v_cmp_ne_u32_e32 vcc, 0, v4
	v_xor_b32_e32 v4, vcc_hi, v15
	v_and_b32_e32 v15, exec_hi, v4
	v_lshlrev_b32_e32 v4, 30, v12
	v_xor_b32_e32 v13, vcc_lo, v13
	v_cmp_gt_i64_e32 vcc, 0, v[3:4]
	v_not_b32_e32 v4, v4
	v_ashrrev_i32_e32 v4, 31, v4
	v_and_b32_e32 v13, exec_lo, v13
	v_xor_b32_e32 v19, vcc_hi, v4
	v_xor_b32_e32 v4, vcc_lo, v4
	v_and_b32_e32 v13, v13, v4
	v_lshlrev_b32_e32 v4, 29, v12
	v_cmp_gt_i64_e32 vcc, 0, v[3:4]
	v_not_b32_e32 v4, v4
	v_ashrrev_i32_e32 v4, 31, v4
	v_and_b32_e32 v15, v15, v19
	v_xor_b32_e32 v19, vcc_hi, v4
	v_xor_b32_e32 v4, vcc_lo, v4
	v_and_b32_e32 v13, v13, v4
	v_lshlrev_b32_e32 v4, 28, v12
	v_cmp_gt_i64_e32 vcc, 0, v[3:4]
	v_not_b32_e32 v4, v4
	v_ashrrev_i32_e32 v4, 31, v4
	v_and_b32_e32 v15, v15, v19
	;; [unrolled: 8-line block ×5, first 2 shown]
	v_xor_b32_e32 v19, vcc_hi, v4
	v_xor_b32_e32 v4, vcc_lo, v4
	v_and_b32_e32 v15, v15, v19
	v_and_b32_e32 v19, v13, v4
	v_lshlrev_b32_e32 v4, 24, v12
	v_cmp_gt_i64_e32 vcc, 0, v[3:4]
	v_not_b32_e32 v4, v4
	v_ashrrev_i32_e32 v4, 31, v4
	v_mul_u32_u24_e32 v14, 20, v12
	v_xor_b32_e32 v12, vcc_hi, v4
	v_xor_b32_e32 v4, vcc_lo, v4
	v_and_b32_e32 v13, v15, v12
	v_and_b32_e32 v12, v19, v4
	v_mbcnt_lo_u32_b32 v4, v12, 0
	v_mbcnt_hi_u32_b32 v129, v13, v4
	v_cmp_ne_u64_e32 vcc, 0, v[12:13]
	v_cmp_eq_u32_e64 s[36:37], 0, v129
	s_and_b64 s[38:39], vcc, s[36:37]
	v_add_u32_e32 v4, v101, v14
	; wave barrier
	s_and_saveexec_b64 s[36:37], s[38:39]
	s_cbranch_execz .LBB531_432
; %bb.431:                              ;   in Loop: Header=BB531_402 Depth=2
	v_bcnt_u32_b32 v12, v12, 0
	v_bcnt_u32_b32 v12, v13, v12
	s_waitcnt lgkmcnt(0)
	v_add_u32_e32 v12, v128, v12
	ds_write_b32 v4, v12 offset:1040
.LBB531_432:                            ;   in Loop: Header=BB531_402 Depth=2
	s_or_b64 exec, exec, s[36:37]
	; wave barrier
	s_waitcnt lgkmcnt(0)
	s_barrier
	ds_read2_b32 v[14:15], v105 offset1:1
	ds_read2_b32 v[12:13], v104 offset1:1
	ds_read_b32 v19, v48 offset:1056
	s_waitcnt lgkmcnt(1)
	v_add3_u32 v130, v15, v14, v12
	s_waitcnt lgkmcnt(0)
	v_add3_u32 v19, v130, v13, v19
	s_nop 1
	v_mov_b32_dpp v130, v19 row_shr:1 row_mask:0xf bank_mask:0xf
	v_cndmask_b32_e64 v130, v130, 0, s[16:17]
	v_add_u32_e32 v19, v130, v19
	s_nop 1
	v_mov_b32_dpp v130, v19 row_shr:2 row_mask:0xf bank_mask:0xf
	v_cndmask_b32_e64 v130, 0, v130, s[18:19]
	v_add_u32_e32 v19, v19, v130
	;; [unrolled: 4-line block ×4, first 2 shown]
	s_nop 1
	v_mov_b32_dpp v130, v19 row_bcast:15 row_mask:0xf bank_mask:0xf
	v_cndmask_b32_e64 v130, v130, 0, s[24:25]
	v_add_u32_e32 v19, v19, v130
	s_nop 1
	v_mov_b32_dpp v130, v19 row_bcast:31 row_mask:0xf bank_mask:0xf
	v_cndmask_b32_e64 v130, 0, v130, s[26:27]
	v_add_u32_e32 v19, v19, v130
	s_and_saveexec_b64 s[36:37], s[6:7]
; %bb.433:                              ;   in Loop: Header=BB531_402 Depth=2
	ds_write_b32 v44, v19 offset:1024
; %bb.434:                              ;   in Loop: Header=BB531_402 Depth=2
	s_or_b64 exec, exec, s[36:37]
	s_waitcnt lgkmcnt(0)
	s_barrier
	s_and_saveexec_b64 s[36:37], s[8:9]
	s_cbranch_execz .LBB531_436
; %bb.435:                              ;   in Loop: Header=BB531_402 Depth=2
	ds_read_b32 v130, v49 offset:1024
	s_waitcnt lgkmcnt(0)
	s_nop 0
	v_mov_b32_dpp v131, v130 row_shr:1 row_mask:0xf bank_mask:0xf
	v_cndmask_b32_e64 v131, v131, 0, s[30:31]
	v_add_u32_e32 v130, v131, v130
	s_nop 1
	v_mov_b32_dpp v131, v130 row_shr:2 row_mask:0xf bank_mask:0xf
	v_cndmask_b32_e64 v131, 0, v131, s[34:35]
	v_add_u32_e32 v130, v130, v131
	ds_write_b32 v49, v130 offset:1024
.LBB531_436:                            ;   in Loop: Header=BB531_402 Depth=2
	s_or_b64 exec, exec, s[36:37]
	v_mov_b32_e32 v130, 0
	s_waitcnt lgkmcnt(0)
	s_barrier
	s_and_saveexec_b64 s[36:37], s[10:11]
; %bb.437:                              ;   in Loop: Header=BB531_402 Depth=2
	ds_read_b32 v130, v44 offset:1020
; %bb.438:                              ;   in Loop: Header=BB531_402 Depth=2
	s_or_b64 exec, exec, s[36:37]
	s_waitcnt lgkmcnt(0)
	v_add_u32_e32 v19, v130, v19
	ds_bpermute_b32 v19, v84, v19
	s_waitcnt lgkmcnt(0)
	v_cndmask_b32_e64 v19, v19, v130, s[28:29]
	v_cndmask_b32_e64 v19, v19, 0, s[12:13]
	v_add_u32_e32 v14, v19, v14
	v_add_u32_e32 v15, v14, v15
	;; [unrolled: 1-line block ×4, first 2 shown]
	ds_write2_b32 v105, v19, v14 offset1:1
	ds_write2_b32 v104, v15, v12 offset1:1
	ds_write_b32 v48, v13 offset:1056
	s_waitcnt lgkmcnt(0)
	s_barrier
	ds_read_b32 v12, v107 offset:1040
	ds_read_b32 v13, v111 offset:1040
	;; [unrolled: 1-line block ×9, first 2 shown]
	v_mov_b32_e32 v4, 0x800
	s_and_saveexec_b64 s[36:37], s[14:15]
; %bb.439:                              ;   in Loop: Header=BB531_402 Depth=2
	ds_read_b32 v4, v48 offset:1060
; %bb.440:                              ;   in Loop: Header=BB531_402 Depth=2
	s_or_b64 exec, exec, s[36:37]
	s_waitcnt lgkmcnt(0)
	s_barrier
	s_and_saveexec_b64 s[36:37], s[4:5]
	s_cbranch_execz .LBB531_442
; %bb.441:                              ;   in Loop: Header=BB531_402 Depth=2
	ds_read_b32 v19, v32
	s_waitcnt lgkmcnt(0)
	v_sub_u32_e32 v18, v19, v18
	ds_write_b32 v32, v18
.LBB531_442:                            ;   in Loop: Header=BB531_402 Depth=2
	s_or_b64 exec, exec, s[36:37]
	v_add_u32_e32 v105, v12, v106
	v_add3_u32 v104, v108, v31, v13
	v_lshlrev_b32_e32 v12, 2, v105
	v_add3_u32 v31, v112, v110, v14
	ds_write_b32 v12, v103 offset:1024
	v_lshlrev_b32_e32 v12, 2, v104
	v_add3_u32 v19, v116, v114, v15
	ds_write_b32 v12, v30 offset:1024
	v_lshlrev_b32_e32 v12, 2, v31
	v_add3_u32 v18, v119, v117, v107
	ds_write_b32 v12, v109 offset:1024
	v_lshlrev_b32_e32 v12, 2, v19
	v_add3_u32 v17, v122, v17, v111
	ds_write_b32 v12, v113 offset:1024
	v_lshlrev_b32_e32 v12, 2, v18
	v_add3_u32 v15, v126, v124, v115
	ds_write_b32 v12, v16 offset:1024
	v_lshlrev_b32_e32 v12, 2, v17
	v_add3_u32 v14, v129, v128, v118
	ds_write_b32 v12, v120 offset:1024
	v_lshlrev_b32_e32 v12, 2, v15
	ds_write_b32 v12, v123 offset:1024
	v_lshlrev_b32_e32 v12, 2, v14
	v_cmp_lt_u32_e32 vcc, v0, v102
	ds_write_b32 v12, v127 offset:1024
	s_waitcnt lgkmcnt(0)
	s_barrier
	s_and_saveexec_b64 s[38:39], vcc
	s_cbranch_execnz .LBB531_479
; %bb.443:                              ;   in Loop: Header=BB531_402 Depth=2
	s_or_b64 exec, exec, s[38:39]
	v_cmp_lt_u32_e64 s[36:37], v33, v102
	s_and_saveexec_b64 s[40:41], s[36:37]
	s_cbranch_execnz .LBB531_480
.LBB531_444:                            ;   in Loop: Header=BB531_402 Depth=2
	s_or_b64 exec, exec, s[40:41]
	v_cmp_lt_u32_e64 s[38:39], v34, v102
	s_and_saveexec_b64 s[42:43], s[38:39]
	s_cbranch_execnz .LBB531_481
.LBB531_445:                            ;   in Loop: Header=BB531_402 Depth=2
	s_or_b64 exec, exec, s[42:43]
	v_cmp_lt_u32_e64 s[40:41], v35, v102
	s_and_saveexec_b64 s[44:45], s[40:41]
	s_cbranch_execnz .LBB531_482
.LBB531_446:                            ;   in Loop: Header=BB531_402 Depth=2
	s_or_b64 exec, exec, s[44:45]
	v_cmp_lt_u32_e64 s[42:43], v38, v102
	s_and_saveexec_b64 s[46:47], s[42:43]
	s_cbranch_execnz .LBB531_483
.LBB531_447:                            ;   in Loop: Header=BB531_402 Depth=2
	s_or_b64 exec, exec, s[46:47]
	v_cmp_lt_u32_e64 s[44:45], v39, v102
	s_and_saveexec_b64 s[48:49], s[44:45]
	s_cbranch_execnz .LBB531_484
.LBB531_448:                            ;   in Loop: Header=BB531_402 Depth=2
	s_or_b64 exec, exec, s[48:49]
	v_cmp_lt_u32_e64 s[46:47], v40, v102
	s_and_saveexec_b64 s[52:53], s[46:47]
	s_cbranch_execnz .LBB531_485
.LBB531_449:                            ;   in Loop: Header=BB531_402 Depth=2
	s_or_b64 exec, exec, s[52:53]
	v_cmp_lt_u32_e64 s[48:49], v41, v102
	s_and_saveexec_b64 s[60:61], s[48:49]
	s_cbranch_execz .LBB531_451
.LBB531_450:                            ;   in Loop: Header=BB531_402 Depth=2
	ds_read_b32 v12, v49 offset:8192
	v_mov_b32_e32 v30, s67
	s_waitcnt lgkmcnt(0)
	v_lshrrev_b32_e32 v13, s77, v12
	v_and_b32_e32 v13, s70, v13
	v_lshlrev_b32_e32 v13, 2, v13
	ds_read_b32 v16, v13
	v_mov_b32_e32 v13, v3
	v_xor_b32_e32 v103, 0x7fffffff, v12
	s_waitcnt lgkmcnt(0)
	v_add_u32_e32 v12, v16, v41
	v_lshlrev_b64 v[12:13], 2, v[12:13]
	v_add_co_u32_e64 v12, s[52:53], s66, v12
	v_addc_co_u32_e64 v13, s[52:53], v30, v13, s[52:53]
	global_store_dword v[12:13], v103, off
.LBB531_451:                            ;   in Loop: Header=BB531_402 Depth=2
	s_or_b64 exec, exec, s[60:61]
	s_lshl_b64 s[52:53], s[58:59], 3
	v_mov_b32_e32 v13, s53
	v_add_co_u32_e64 v12, s[52:53], s52, v85
	v_addc_co_u32_e64 v13, s[52:53], v86, v13, s[52:53]
	v_cmp_lt_u32_e64 s[52:53], v80, v102
	s_and_saveexec_b64 s[60:61], s[52:53]
	s_xor_b64 s[52:53], exec, s[60:61]
	s_cbranch_execnz .LBB531_486
; %bb.452:                              ;   in Loop: Header=BB531_402 Depth=2
	s_or_b64 exec, exec, s[52:53]
	v_cmp_lt_u32_e64 s[52:53], v81, v102
	s_and_saveexec_b64 s[60:61], s[52:53]
	s_cbranch_execnz .LBB531_487
.LBB531_453:                            ;   in Loop: Header=BB531_402 Depth=2
	s_or_b64 exec, exec, s[60:61]
	v_cmp_lt_u32_e64 s[52:53], v82, v102
	s_and_saveexec_b64 s[60:61], s[52:53]
	s_cbranch_execnz .LBB531_488
.LBB531_454:                            ;   in Loop: Header=BB531_402 Depth=2
	s_or_b64 exec, exec, s[60:61]
	v_cmp_lt_u32_e64 s[52:53], v83, v102
	s_and_saveexec_b64 s[60:61], s[52:53]
	s_cbranch_execnz .LBB531_489
.LBB531_455:                            ;   in Loop: Header=BB531_402 Depth=2
	s_or_b64 exec, exec, s[60:61]
	v_cmp_lt_u32_e64 s[52:53], v87, v102
	s_and_saveexec_b64 s[60:61], s[52:53]
	s_cbranch_execnz .LBB531_490
.LBB531_456:                            ;   in Loop: Header=BB531_402 Depth=2
	s_or_b64 exec, exec, s[60:61]
	v_cmp_lt_u32_e64 s[52:53], v88, v102
	s_and_saveexec_b64 s[60:61], s[52:53]
	s_cbranch_execnz .LBB531_491
.LBB531_457:                            ;   in Loop: Header=BB531_402 Depth=2
	s_or_b64 exec, exec, s[60:61]
	v_cmp_lt_u32_e64 s[52:53], v89, v102
	s_and_saveexec_b64 s[60:61], s[52:53]
	s_cbranch_execnz .LBB531_492
.LBB531_458:                            ;   in Loop: Header=BB531_402 Depth=2
	s_or_b64 exec, exec, s[60:61]
	v_cmp_lt_u32_e64 s[52:53], v90, v102
	s_and_saveexec_b64 s[60:61], s[52:53]
	s_cbranch_execnz .LBB531_493
.LBB531_459:                            ;   in Loop: Header=BB531_402 Depth=2
	s_or_b64 exec, exec, s[60:61]
	s_and_saveexec_b64 s[52:53], vcc
	s_cbranch_execnz .LBB531_494
.LBB531_460:                            ;   in Loop: Header=BB531_402 Depth=2
	s_or_b64 exec, exec, s[52:53]
	s_and_saveexec_b64 s[52:53], s[36:37]
	s_cbranch_execnz .LBB531_495
.LBB531_461:                            ;   in Loop: Header=BB531_402 Depth=2
	s_or_b64 exec, exec, s[52:53]
	s_and_saveexec_b64 s[52:53], s[38:39]
	s_cbranch_execnz .LBB531_496
.LBB531_462:                            ;   in Loop: Header=BB531_402 Depth=2
	s_or_b64 exec, exec, s[52:53]
	s_and_saveexec_b64 s[52:53], s[40:41]
	s_cbranch_execnz .LBB531_497
.LBB531_463:                            ;   in Loop: Header=BB531_402 Depth=2
	s_or_b64 exec, exec, s[52:53]
	s_and_saveexec_b64 s[52:53], s[42:43]
	s_cbranch_execnz .LBB531_498
.LBB531_464:                            ;   in Loop: Header=BB531_402 Depth=2
	s_or_b64 exec, exec, s[52:53]
	s_and_saveexec_b64 s[52:53], s[44:45]
	s_cbranch_execnz .LBB531_499
.LBB531_465:                            ;   in Loop: Header=BB531_402 Depth=2
	s_or_b64 exec, exec, s[52:53]
	s_and_saveexec_b64 s[52:53], s[46:47]
	s_cbranch_execnz .LBB531_500
.LBB531_466:                            ;   in Loop: Header=BB531_402 Depth=2
	s_or_b64 exec, exec, s[52:53]
	s_and_saveexec_b64 s[52:53], s[48:49]
	s_cbranch_execz .LBB531_468
.LBB531_467:                            ;   in Loop: Header=BB531_402 Depth=2
	ds_read_b32 v12, v49 offset:8192
	s_waitcnt lgkmcnt(0)
	v_lshrrev_b32_e32 v12, s77, v12
	v_and_b32_e32 v91, s70, v12
.LBB531_468:                            ;   in Loop: Header=BB531_402 Depth=2
	s_or_b64 exec, exec, s[52:53]
	v_lshlrev_b32_e32 v12, 3, v105
	s_waitcnt vmcnt(0)
	s_barrier
	ds_write_b64 v12, v[28:29] offset:1024
	v_lshlrev_b32_e32 v12, 3, v104
	ds_write_b64 v12, v[26:27] offset:1024
	v_lshlrev_b32_e32 v12, 3, v31
	;; [unrolled: 2-line block ×7, first 2 shown]
	ds_write_b64 v12, v[5:6] offset:1024
	s_waitcnt lgkmcnt(0)
	s_barrier
	s_and_saveexec_b64 s[52:53], vcc
	s_cbranch_execnz .LBB531_501
; %bb.469:                              ;   in Loop: Header=BB531_402 Depth=2
	s_or_b64 exec, exec, s[52:53]
	s_and_saveexec_b64 s[52:53], s[36:37]
	s_cbranch_execnz .LBB531_502
.LBB531_470:                            ;   in Loop: Header=BB531_402 Depth=2
	s_or_b64 exec, exec, s[52:53]
	s_and_saveexec_b64 s[36:37], s[38:39]
	s_cbranch_execnz .LBB531_503
.LBB531_471:                            ;   in Loop: Header=BB531_402 Depth=2
	s_or_b64 exec, exec, s[36:37]
	s_and_saveexec_b64 s[36:37], s[40:41]
	s_cbranch_execnz .LBB531_504
.LBB531_472:                            ;   in Loop: Header=BB531_402 Depth=2
	s_or_b64 exec, exec, s[36:37]
	s_and_saveexec_b64 s[36:37], s[42:43]
	s_cbranch_execnz .LBB531_505
.LBB531_473:                            ;   in Loop: Header=BB531_402 Depth=2
	s_or_b64 exec, exec, s[36:37]
	s_and_saveexec_b64 s[36:37], s[44:45]
	s_cbranch_execnz .LBB531_506
.LBB531_474:                            ;   in Loop: Header=BB531_402 Depth=2
	s_or_b64 exec, exec, s[36:37]
	s_and_saveexec_b64 s[36:37], s[46:47]
	s_cbranch_execnz .LBB531_507
.LBB531_475:                            ;   in Loop: Header=BB531_402 Depth=2
	s_or_b64 exec, exec, s[36:37]
	s_and_saveexec_b64 s[36:37], s[48:49]
	s_cbranch_execz .LBB531_477
.LBB531_476:                            ;   in Loop: Header=BB531_402 Depth=2
	v_lshlrev_b32_e32 v12, 2, v91
	ds_read_b32 v14, v12
	v_add_u32_e32 v12, v49, v32
	ds_read_b64 v[12:13], v12 offset:15360
	v_mov_b32_e32 v15, v3
	v_mov_b32_e32 v16, s73
	s_waitcnt lgkmcnt(1)
	v_add_u32_e32 v14, v14, v41
	v_lshlrev_b64 v[14:15], 3, v[14:15]
	v_add_co_u32_e32 v14, vcc, s72, v14
	v_addc_co_u32_e32 v15, vcc, v16, v15, vcc
	s_waitcnt lgkmcnt(0)
	global_store_dwordx2 v[14:15], v[12:13], off
.LBB531_477:                            ;   in Loop: Header=BB531_402 Depth=2
	s_or_b64 exec, exec, s[36:37]
	s_waitcnt vmcnt(0)
	s_barrier
	s_and_saveexec_b64 s[36:37], s[4:5]
	s_cbranch_execz .LBB531_401
; %bb.478:                              ;   in Loop: Header=BB531_402 Depth=2
	ds_read_b32 v12, v32
	s_waitcnt lgkmcnt(0)
	v_add_u32_e32 v4, v12, v4
	ds_write_b32 v32, v4
	s_branch .LBB531_401
.LBB531_479:                            ;   in Loop: Header=BB531_402 Depth=2
	ds_read_b32 v12, v49 offset:1024
	v_mov_b32_e32 v30, s67
	s_waitcnt lgkmcnt(0)
	v_lshrrev_b32_e32 v13, s77, v12
	v_and_b32_e32 v13, s70, v13
	v_lshlrev_b32_e32 v13, 2, v13
	ds_read_b32 v16, v13
	v_mov_b32_e32 v13, v3
	v_xor_b32_e32 v103, 0x7fffffff, v12
	s_waitcnt lgkmcnt(0)
	v_add_u32_e32 v12, v16, v0
	v_lshlrev_b64 v[12:13], 2, v[12:13]
	v_add_co_u32_e64 v12, s[36:37], s66, v12
	v_addc_co_u32_e64 v13, s[36:37], v30, v13, s[36:37]
	global_store_dword v[12:13], v103, off
	s_or_b64 exec, exec, s[38:39]
	v_cmp_lt_u32_e64 s[36:37], v33, v102
	s_and_saveexec_b64 s[40:41], s[36:37]
	s_cbranch_execz .LBB531_444
.LBB531_480:                            ;   in Loop: Header=BB531_402 Depth=2
	ds_read_b32 v12, v49 offset:2048
	v_mov_b32_e32 v30, s67
	s_waitcnt lgkmcnt(0)
	v_lshrrev_b32_e32 v13, s77, v12
	v_and_b32_e32 v13, s70, v13
	v_lshlrev_b32_e32 v13, 2, v13
	ds_read_b32 v16, v13
	v_mov_b32_e32 v13, v3
	v_xor_b32_e32 v103, 0x7fffffff, v12
	s_waitcnt lgkmcnt(0)
	v_add_u32_e32 v12, v16, v33
	v_lshlrev_b64 v[12:13], 2, v[12:13]
	v_add_co_u32_e64 v12, s[38:39], s66, v12
	v_addc_co_u32_e64 v13, s[38:39], v30, v13, s[38:39]
	global_store_dword v[12:13], v103, off
	s_or_b64 exec, exec, s[40:41]
	v_cmp_lt_u32_e64 s[38:39], v34, v102
	s_and_saveexec_b64 s[42:43], s[38:39]
	s_cbranch_execz .LBB531_445
.LBB531_481:                            ;   in Loop: Header=BB531_402 Depth=2
	ds_read_b32 v12, v49 offset:3072
	v_mov_b32_e32 v30, s67
	s_waitcnt lgkmcnt(0)
	v_lshrrev_b32_e32 v13, s77, v12
	v_and_b32_e32 v13, s70, v13
	v_lshlrev_b32_e32 v13, 2, v13
	ds_read_b32 v16, v13
	v_mov_b32_e32 v13, v3
	v_xor_b32_e32 v103, 0x7fffffff, v12
	s_waitcnt lgkmcnt(0)
	v_add_u32_e32 v12, v16, v34
	v_lshlrev_b64 v[12:13], 2, v[12:13]
	v_add_co_u32_e64 v12, s[40:41], s66, v12
	v_addc_co_u32_e64 v13, s[40:41], v30, v13, s[40:41]
	global_store_dword v[12:13], v103, off
	s_or_b64 exec, exec, s[42:43]
	v_cmp_lt_u32_e64 s[40:41], v35, v102
	s_and_saveexec_b64 s[44:45], s[40:41]
	s_cbranch_execz .LBB531_446
.LBB531_482:                            ;   in Loop: Header=BB531_402 Depth=2
	ds_read_b32 v12, v49 offset:4096
	v_mov_b32_e32 v30, s67
	s_waitcnt lgkmcnt(0)
	v_lshrrev_b32_e32 v13, s77, v12
	v_and_b32_e32 v13, s70, v13
	v_lshlrev_b32_e32 v13, 2, v13
	ds_read_b32 v16, v13
	v_mov_b32_e32 v13, v3
	v_xor_b32_e32 v103, 0x7fffffff, v12
	s_waitcnt lgkmcnt(0)
	v_add_u32_e32 v12, v16, v35
	v_lshlrev_b64 v[12:13], 2, v[12:13]
	v_add_co_u32_e64 v12, s[42:43], s66, v12
	v_addc_co_u32_e64 v13, s[42:43], v30, v13, s[42:43]
	global_store_dword v[12:13], v103, off
	s_or_b64 exec, exec, s[44:45]
	v_cmp_lt_u32_e64 s[42:43], v38, v102
	s_and_saveexec_b64 s[46:47], s[42:43]
	s_cbranch_execz .LBB531_447
.LBB531_483:                            ;   in Loop: Header=BB531_402 Depth=2
	ds_read_b32 v12, v49 offset:5120
	v_mov_b32_e32 v30, s67
	s_waitcnt lgkmcnt(0)
	v_lshrrev_b32_e32 v13, s77, v12
	v_and_b32_e32 v13, s70, v13
	v_lshlrev_b32_e32 v13, 2, v13
	ds_read_b32 v16, v13
	v_mov_b32_e32 v13, v3
	v_xor_b32_e32 v103, 0x7fffffff, v12
	s_waitcnt lgkmcnt(0)
	v_add_u32_e32 v12, v16, v38
	v_lshlrev_b64 v[12:13], 2, v[12:13]
	v_add_co_u32_e64 v12, s[44:45], s66, v12
	v_addc_co_u32_e64 v13, s[44:45], v30, v13, s[44:45]
	global_store_dword v[12:13], v103, off
	s_or_b64 exec, exec, s[46:47]
	v_cmp_lt_u32_e64 s[44:45], v39, v102
	s_and_saveexec_b64 s[48:49], s[44:45]
	s_cbranch_execz .LBB531_448
.LBB531_484:                            ;   in Loop: Header=BB531_402 Depth=2
	ds_read_b32 v12, v49 offset:6144
	v_mov_b32_e32 v30, s67
	s_waitcnt lgkmcnt(0)
	v_lshrrev_b32_e32 v13, s77, v12
	v_and_b32_e32 v13, s70, v13
	v_lshlrev_b32_e32 v13, 2, v13
	ds_read_b32 v16, v13
	v_mov_b32_e32 v13, v3
	v_xor_b32_e32 v103, 0x7fffffff, v12
	s_waitcnt lgkmcnt(0)
	v_add_u32_e32 v12, v16, v39
	v_lshlrev_b64 v[12:13], 2, v[12:13]
	v_add_co_u32_e64 v12, s[46:47], s66, v12
	v_addc_co_u32_e64 v13, s[46:47], v30, v13, s[46:47]
	global_store_dword v[12:13], v103, off
	s_or_b64 exec, exec, s[48:49]
	v_cmp_lt_u32_e64 s[46:47], v40, v102
	s_and_saveexec_b64 s[52:53], s[46:47]
	s_cbranch_execz .LBB531_449
.LBB531_485:                            ;   in Loop: Header=BB531_402 Depth=2
	ds_read_b32 v12, v49 offset:7168
	v_mov_b32_e32 v30, s67
	s_waitcnt lgkmcnt(0)
	v_lshrrev_b32_e32 v13, s77, v12
	v_and_b32_e32 v13, s70, v13
	v_lshlrev_b32_e32 v13, 2, v13
	ds_read_b32 v16, v13
	v_mov_b32_e32 v13, v3
	v_xor_b32_e32 v103, 0x7fffffff, v12
	s_waitcnt lgkmcnt(0)
	v_add_u32_e32 v12, v16, v40
	v_lshlrev_b64 v[12:13], 2, v[12:13]
	v_add_co_u32_e64 v12, s[48:49], s66, v12
	v_addc_co_u32_e64 v13, s[48:49], v30, v13, s[48:49]
	global_store_dword v[12:13], v103, off
	s_or_b64 exec, exec, s[52:53]
	v_cmp_lt_u32_e64 s[48:49], v41, v102
	s_and_saveexec_b64 s[60:61], s[48:49]
	s_cbranch_execnz .LBB531_450
	s_branch .LBB531_451
.LBB531_486:                            ;   in Loop: Header=BB531_402 Depth=2
	global_load_dwordx2 v[28:29], v[12:13], off
	s_or_b64 exec, exec, s[52:53]
	v_cmp_lt_u32_e64 s[52:53], v81, v102
	s_and_saveexec_b64 s[60:61], s[52:53]
	s_cbranch_execz .LBB531_453
.LBB531_487:                            ;   in Loop: Header=BB531_402 Depth=2
	global_load_dwordx2 v[26:27], v[12:13], off offset:512
	s_or_b64 exec, exec, s[60:61]
	v_cmp_lt_u32_e64 s[52:53], v82, v102
	s_and_saveexec_b64 s[60:61], s[52:53]
	s_cbranch_execz .LBB531_454
.LBB531_488:                            ;   in Loop: Header=BB531_402 Depth=2
	global_load_dwordx2 v[24:25], v[12:13], off offset:1024
	s_or_b64 exec, exec, s[60:61]
	v_cmp_lt_u32_e64 s[52:53], v83, v102
	s_and_saveexec_b64 s[60:61], s[52:53]
	s_cbranch_execz .LBB531_455
.LBB531_489:                            ;   in Loop: Header=BB531_402 Depth=2
	global_load_dwordx2 v[22:23], v[12:13], off offset:1536
	s_or_b64 exec, exec, s[60:61]
	v_cmp_lt_u32_e64 s[52:53], v87, v102
	s_and_saveexec_b64 s[60:61], s[52:53]
	s_cbranch_execz .LBB531_456
.LBB531_490:                            ;   in Loop: Header=BB531_402 Depth=2
	global_load_dwordx2 v[20:21], v[12:13], off offset:2048
	s_or_b64 exec, exec, s[60:61]
	v_cmp_lt_u32_e64 s[52:53], v88, v102
	s_and_saveexec_b64 s[60:61], s[52:53]
	s_cbranch_execz .LBB531_457
.LBB531_491:                            ;   in Loop: Header=BB531_402 Depth=2
	global_load_dwordx2 v[9:10], v[12:13], off offset:2560
	s_or_b64 exec, exec, s[60:61]
	v_cmp_lt_u32_e64 s[52:53], v89, v102
	s_and_saveexec_b64 s[60:61], s[52:53]
	s_cbranch_execz .LBB531_458
.LBB531_492:                            ;   in Loop: Header=BB531_402 Depth=2
	global_load_dwordx2 v[7:8], v[12:13], off offset:3072
	s_or_b64 exec, exec, s[60:61]
	v_cmp_lt_u32_e64 s[52:53], v90, v102
	s_and_saveexec_b64 s[60:61], s[52:53]
	s_cbranch_execz .LBB531_459
.LBB531_493:                            ;   in Loop: Header=BB531_402 Depth=2
	global_load_dwordx2 v[5:6], v[12:13], off offset:3584
	s_or_b64 exec, exec, s[60:61]
	s_and_saveexec_b64 s[52:53], vcc
	s_cbranch_execz .LBB531_460
.LBB531_494:                            ;   in Loop: Header=BB531_402 Depth=2
	ds_read_b32 v12, v49 offset:1024
	s_waitcnt lgkmcnt(0)
	v_lshrrev_b32_e32 v12, s77, v12
	v_and_b32_e32 v99, s70, v12
	s_or_b64 exec, exec, s[52:53]
	s_and_saveexec_b64 s[52:53], s[36:37]
	s_cbranch_execz .LBB531_461
.LBB531_495:                            ;   in Loop: Header=BB531_402 Depth=2
	ds_read_b32 v12, v49 offset:2048
	s_waitcnt lgkmcnt(0)
	v_lshrrev_b32_e32 v12, s77, v12
	v_and_b32_e32 v97, s70, v12
	s_or_b64 exec, exec, s[52:53]
	s_and_saveexec_b64 s[52:53], s[38:39]
	s_cbranch_execz .LBB531_462
.LBB531_496:                            ;   in Loop: Header=BB531_402 Depth=2
	ds_read_b32 v12, v49 offset:3072
	s_waitcnt lgkmcnt(0)
	v_lshrrev_b32_e32 v12, s77, v12
	v_and_b32_e32 v96, s70, v12
	s_or_b64 exec, exec, s[52:53]
	s_and_saveexec_b64 s[52:53], s[40:41]
	s_cbranch_execz .LBB531_463
.LBB531_497:                            ;   in Loop: Header=BB531_402 Depth=2
	ds_read_b32 v12, v49 offset:4096
	s_waitcnt lgkmcnt(0)
	v_lshrrev_b32_e32 v12, s77, v12
	v_and_b32_e32 v95, s70, v12
	s_or_b64 exec, exec, s[52:53]
	s_and_saveexec_b64 s[52:53], s[42:43]
	s_cbranch_execz .LBB531_464
.LBB531_498:                            ;   in Loop: Header=BB531_402 Depth=2
	ds_read_b32 v12, v49 offset:5120
	s_waitcnt lgkmcnt(0)
	v_lshrrev_b32_e32 v12, s77, v12
	v_and_b32_e32 v94, s70, v12
	s_or_b64 exec, exec, s[52:53]
	s_and_saveexec_b64 s[52:53], s[44:45]
	s_cbranch_execz .LBB531_465
.LBB531_499:                            ;   in Loop: Header=BB531_402 Depth=2
	ds_read_b32 v12, v49 offset:6144
	s_waitcnt lgkmcnt(0)
	v_lshrrev_b32_e32 v12, s77, v12
	v_and_b32_e32 v93, s70, v12
	s_or_b64 exec, exec, s[52:53]
	s_and_saveexec_b64 s[52:53], s[46:47]
	s_cbranch_execz .LBB531_466
.LBB531_500:                            ;   in Loop: Header=BB531_402 Depth=2
	ds_read_b32 v12, v49 offset:7168
	s_waitcnt lgkmcnt(0)
	v_lshrrev_b32_e32 v12, s77, v12
	v_and_b32_e32 v92, s70, v12
	s_or_b64 exec, exec, s[52:53]
	s_and_saveexec_b64 s[52:53], s[48:49]
	s_cbranch_execnz .LBB531_467
	s_branch .LBB531_468
.LBB531_501:                            ;   in Loop: Header=BB531_402 Depth=2
	v_lshlrev_b32_e32 v12, 2, v99
	ds_read_b32 v14, v12
	v_add_u32_e32 v12, v49, v32
	ds_read_b64 v[12:13], v12 offset:1024
	v_mov_b32_e32 v15, v3
	v_mov_b32_e32 v16, s73
	s_waitcnt lgkmcnt(1)
	v_add_u32_e32 v14, v14, v0
	v_lshlrev_b64 v[14:15], 3, v[14:15]
	v_add_co_u32_e32 v14, vcc, s72, v14
	v_addc_co_u32_e32 v15, vcc, v16, v15, vcc
	s_waitcnt lgkmcnt(0)
	global_store_dwordx2 v[14:15], v[12:13], off
	s_or_b64 exec, exec, s[52:53]
	s_and_saveexec_b64 s[52:53], s[36:37]
	s_cbranch_execz .LBB531_470
.LBB531_502:                            ;   in Loop: Header=BB531_402 Depth=2
	v_lshlrev_b32_e32 v12, 2, v97
	ds_read_b32 v14, v12
	v_add_u32_e32 v12, v49, v32
	ds_read_b64 v[12:13], v12 offset:3072
	v_mov_b32_e32 v15, v3
	v_mov_b32_e32 v16, s73
	s_waitcnt lgkmcnt(1)
	v_add_u32_e32 v14, v14, v33
	v_lshlrev_b64 v[14:15], 3, v[14:15]
	v_add_co_u32_e32 v14, vcc, s72, v14
	v_addc_co_u32_e32 v15, vcc, v16, v15, vcc
	s_waitcnt lgkmcnt(0)
	global_store_dwordx2 v[14:15], v[12:13], off
	s_or_b64 exec, exec, s[52:53]
	s_and_saveexec_b64 s[36:37], s[38:39]
	s_cbranch_execz .LBB531_471
.LBB531_503:                            ;   in Loop: Header=BB531_402 Depth=2
	v_lshlrev_b32_e32 v12, 2, v96
	ds_read_b32 v14, v12
	v_add_u32_e32 v12, v49, v32
	ds_read_b64 v[12:13], v12 offset:5120
	v_mov_b32_e32 v15, v3
	v_mov_b32_e32 v16, s73
	s_waitcnt lgkmcnt(1)
	v_add_u32_e32 v14, v14, v34
	v_lshlrev_b64 v[14:15], 3, v[14:15]
	v_add_co_u32_e32 v14, vcc, s72, v14
	v_addc_co_u32_e32 v15, vcc, v16, v15, vcc
	s_waitcnt lgkmcnt(0)
	global_store_dwordx2 v[14:15], v[12:13], off
	s_or_b64 exec, exec, s[36:37]
	s_and_saveexec_b64 s[36:37], s[40:41]
	s_cbranch_execz .LBB531_472
.LBB531_504:                            ;   in Loop: Header=BB531_402 Depth=2
	v_lshlrev_b32_e32 v12, 2, v95
	ds_read_b32 v14, v12
	v_add_u32_e32 v12, v49, v32
	ds_read_b64 v[12:13], v12 offset:7168
	v_mov_b32_e32 v15, v3
	v_mov_b32_e32 v16, s73
	s_waitcnt lgkmcnt(1)
	v_add_u32_e32 v14, v14, v35
	v_lshlrev_b64 v[14:15], 3, v[14:15]
	v_add_co_u32_e32 v14, vcc, s72, v14
	v_addc_co_u32_e32 v15, vcc, v16, v15, vcc
	s_waitcnt lgkmcnt(0)
	global_store_dwordx2 v[14:15], v[12:13], off
	s_or_b64 exec, exec, s[36:37]
	s_and_saveexec_b64 s[36:37], s[42:43]
	s_cbranch_execz .LBB531_473
.LBB531_505:                            ;   in Loop: Header=BB531_402 Depth=2
	v_lshlrev_b32_e32 v12, 2, v94
	ds_read_b32 v14, v12
	v_add_u32_e32 v12, v49, v32
	ds_read_b64 v[12:13], v12 offset:9216
	v_mov_b32_e32 v15, v3
	v_mov_b32_e32 v16, s73
	s_waitcnt lgkmcnt(1)
	v_add_u32_e32 v14, v14, v38
	v_lshlrev_b64 v[14:15], 3, v[14:15]
	v_add_co_u32_e32 v14, vcc, s72, v14
	v_addc_co_u32_e32 v15, vcc, v16, v15, vcc
	s_waitcnt lgkmcnt(0)
	global_store_dwordx2 v[14:15], v[12:13], off
	s_or_b64 exec, exec, s[36:37]
	s_and_saveexec_b64 s[36:37], s[44:45]
	s_cbranch_execz .LBB531_474
.LBB531_506:                            ;   in Loop: Header=BB531_402 Depth=2
	v_lshlrev_b32_e32 v12, 2, v93
	ds_read_b32 v14, v12
	v_add_u32_e32 v12, v49, v32
	ds_read_b64 v[12:13], v12 offset:11264
	v_mov_b32_e32 v15, v3
	v_mov_b32_e32 v16, s73
	s_waitcnt lgkmcnt(1)
	v_add_u32_e32 v14, v14, v39
	v_lshlrev_b64 v[14:15], 3, v[14:15]
	v_add_co_u32_e32 v14, vcc, s72, v14
	v_addc_co_u32_e32 v15, vcc, v16, v15, vcc
	s_waitcnt lgkmcnt(0)
	global_store_dwordx2 v[14:15], v[12:13], off
	s_or_b64 exec, exec, s[36:37]
	s_and_saveexec_b64 s[36:37], s[46:47]
	s_cbranch_execz .LBB531_475
.LBB531_507:                            ;   in Loop: Header=BB531_402 Depth=2
	v_lshlrev_b32_e32 v12, 2, v92
	ds_read_b32 v14, v12
	v_add_u32_e32 v12, v49, v32
	ds_read_b64 v[12:13], v12 offset:13312
	v_mov_b32_e32 v15, v3
	v_mov_b32_e32 v16, s73
	s_waitcnt lgkmcnt(1)
	v_add_u32_e32 v14, v14, v40
	v_lshlrev_b64 v[14:15], 3, v[14:15]
	v_add_co_u32_e32 v14, vcc, s72, v14
	v_addc_co_u32_e32 v15, vcc, v16, v15, vcc
	s_waitcnt lgkmcnt(0)
	global_store_dwordx2 v[14:15], v[12:13], off
	s_or_b64 exec, exec, s[36:37]
	s_and_saveexec_b64 s[36:37], s[48:49]
	s_cbranch_execnz .LBB531_476
	s_branch .LBB531_477
.LBB531_508:                            ;   in Loop: Header=BB531_402 Depth=2
	global_load_dword v12, v[30:31], off
	v_mov_b32_e32 v13, v11
	v_mov_b32_e32 v14, v11
	;; [unrolled: 1-line block ×7, first 2 shown]
	s_or_b64 exec, exec, s[36:37]
	v_cmp_gt_u32_e32 vcc, s71, v81
	s_and_saveexec_b64 s[36:37], vcc
	s_cbranch_execz .LBB531_407
.LBB531_509:                            ;   in Loop: Header=BB531_402 Depth=2
	global_load_dword v13, v[30:31], off offset:256
	s_or_b64 exec, exec, s[36:37]
	v_cmp_gt_u32_e32 vcc, s71, v82
	s_and_saveexec_b64 s[36:37], vcc
	s_cbranch_execz .LBB531_408
.LBB531_510:                            ;   in Loop: Header=BB531_402 Depth=2
	global_load_dword v14, v[30:31], off offset:512
	s_or_b64 exec, exec, s[36:37]
	v_cmp_gt_u32_e32 vcc, s71, v83
	s_and_saveexec_b64 s[36:37], vcc
	s_cbranch_execz .LBB531_409
.LBB531_511:                            ;   in Loop: Header=BB531_402 Depth=2
	global_load_dword v15, v[30:31], off offset:768
	s_or_b64 exec, exec, s[36:37]
	v_cmp_gt_u32_e32 vcc, s71, v87
	s_and_saveexec_b64 s[36:37], vcc
	s_cbranch_execz .LBB531_410
.LBB531_512:                            ;   in Loop: Header=BB531_402 Depth=2
	global_load_dword v16, v[30:31], off offset:1024
	s_or_b64 exec, exec, s[36:37]
	v_cmp_gt_u32_e32 vcc, s71, v88
	s_and_saveexec_b64 s[36:37], vcc
	s_cbranch_execz .LBB531_411
.LBB531_513:                            ;   in Loop: Header=BB531_402 Depth=2
	global_load_dword v17, v[30:31], off offset:1280
	s_or_b64 exec, exec, s[36:37]
	v_cmp_gt_u32_e32 vcc, s71, v89
	s_and_saveexec_b64 s[36:37], vcc
	s_cbranch_execnz .LBB531_412
	s_branch .LBB531_413
.LBB531_514:                            ;   in Loop: Header=BB531_20 Depth=1
	s_waitcnt lgkmcnt(0)
	s_barrier
	s_mov_b64 s[16:17], 0
.LBB531_515:                            ;   in Loop: Header=BB531_20 Depth=1
	s_and_b64 vcc, exec, s[16:17]
	s_cbranch_vccz .LBB531_19
; %bb.516:                              ;   in Loop: Header=BB531_20 Depth=1
	v_mov_b32_e32 v10, v3
	v_mov_b32_e32 v4, v3
	;; [unrolled: 1-line block ×8, first 2 shown]
	s_mov_b32 s20, s79
	s_mov_b32 s58, s51
	v_mov_b32_e32 v18, v9
	v_mov_b32_e32 v17, v8
	;; [unrolled: 1-line block ×7, first 2 shown]
	s_barrier
	s_branch .LBB531_518
.LBB531_517:                            ;   in Loop: Header=BB531_518 Depth=2
	s_or_b64 exec, exec, s[16:17]
	s_addk_i32 s20, 0xf800
	s_cmp_ge_u32 s21, s63
	s_mov_b32 s58, s21
	s_cbranch_scc1 .LBB531_554
.LBB531_518:                            ;   Parent Loop BB531_20 Depth=1
                                        ; =>  This Inner Loop Header: Depth=2
	s_add_i32 s21, s58, 0x800
	s_cmp_gt_u32 s21, s63
	s_mov_b64 s[16:17], -1
                                        ; implicit-def: $vgpr20_vgpr21_vgpr22_vgpr23_vgpr24_vgpr25_vgpr26_vgpr27
	s_cbranch_scc1 .LBB531_520
; %bb.519:                              ;   in Loop: Header=BB531_518 Depth=2
	s_lshl_b64 s[16:17], s[58:59], 2
	v_mov_b32_e32 v5, s17
	v_add_co_u32_e32 v4, vcc, s16, v60
	v_addc_co_u32_e32 v5, vcc, v61, v5, vcc
	v_add_co_u32_e32 v6, vcc, 0x1000, v4
	v_addc_co_u32_e32 v7, vcc, 0, v5, vcc
	global_load_dword v20, v[4:5], off
	global_load_dword v21, v[4:5], off offset:1024
	global_load_dword v22, v[4:5], off offset:2048
	;; [unrolled: 1-line block ×3, first 2 shown]
	global_load_dword v24, v[6:7], off
	global_load_dword v25, v[6:7], off offset:1024
	global_load_dword v26, v[6:7], off offset:2048
	;; [unrolled: 1-line block ×3, first 2 shown]
	s_mov_b64 s[16:17], 0
.LBB531_520:                            ;   in Loop: Header=BB531_518 Depth=2
	s_andn2_b64 vcc, exec, s[16:17]
	s_movk_i32 s18, 0x800
	s_cbranch_vccnz .LBB531_531
; %bb.521:                              ;   in Loop: Header=BB531_518 Depth=2
	s_lshl_b64 s[16:17], s[58:59], 2
	s_add_u32 s16, s64, s16
	s_addc_u32 s17, s65, s17
	v_cmp_gt_u32_e32 vcc, s20, v0
	s_and_saveexec_b64 s[18:19], vcc
	s_cbranch_execnz .LBB531_547
; %bb.522:                              ;   in Loop: Header=BB531_518 Depth=2
	s_or_b64 exec, exec, s[18:19]
	v_cmp_gt_u32_e32 vcc, s20, v33
	s_and_saveexec_b64 s[18:19], vcc
	s_cbranch_execnz .LBB531_548
.LBB531_523:                            ;   in Loop: Header=BB531_518 Depth=2
	s_or_b64 exec, exec, s[18:19]
	v_cmp_gt_u32_e32 vcc, s20, v34
	s_and_saveexec_b64 s[18:19], vcc
	s_cbranch_execnz .LBB531_549
.LBB531_524:                            ;   in Loop: Header=BB531_518 Depth=2
	s_or_b64 exec, exec, s[18:19]
	v_cmp_gt_u32_e32 vcc, s20, v35
	s_and_saveexec_b64 s[18:19], vcc
	s_cbranch_execnz .LBB531_550
.LBB531_525:                            ;   in Loop: Header=BB531_518 Depth=2
	s_or_b64 exec, exec, s[18:19]
	v_cmp_gt_u32_e32 vcc, s20, v38
	s_and_saveexec_b64 s[18:19], vcc
	s_cbranch_execnz .LBB531_551
.LBB531_526:                            ;   in Loop: Header=BB531_518 Depth=2
	s_or_b64 exec, exec, s[18:19]
	v_cmp_gt_u32_e32 vcc, s20, v39
	s_and_saveexec_b64 s[18:19], vcc
	s_cbranch_execnz .LBB531_552
.LBB531_527:                            ;   in Loop: Header=BB531_518 Depth=2
	s_or_b64 exec, exec, s[18:19]
	v_cmp_gt_u32_e32 vcc, s20, v40
	s_and_saveexec_b64 s[18:19], vcc
	s_cbranch_execnz .LBB531_553
.LBB531_528:                            ;   in Loop: Header=BB531_518 Depth=2
	s_or_b64 exec, exec, s[18:19]
	v_cmp_gt_u32_e32 vcc, s20, v41
	s_and_saveexec_b64 s[18:19], vcc
	s_cbranch_execz .LBB531_530
.LBB531_529:                            ;   in Loop: Header=BB531_518 Depth=2
	global_load_dword v19, v71, s[16:17]
.LBB531_530:                            ;   in Loop: Header=BB531_518 Depth=2
	s_or_b64 exec, exec, s[18:19]
	s_waitcnt vmcnt(0)
	v_mov_b32_e32 v27, v19
	s_mov_b32 s18, s20
	v_mov_b32_e32 v26, v18
	v_mov_b32_e32 v25, v17
	v_mov_b32_e32 v24, v16
	v_mov_b32_e32 v23, v15
	v_mov_b32_e32 v22, v14
	v_mov_b32_e32 v21, v13
	v_mov_b32_e32 v20, v12
.LBB531_531:                            ;   in Loop: Header=BB531_518 Depth=2
	s_waitcnt vmcnt(0)
	v_mov_b32_e32 v12, v20
	v_mov_b32_e32 v13, v21
	;; [unrolled: 1-line block ×8, first 2 shown]
	v_cmp_gt_u32_e32 vcc, s18, v0
	s_and_saveexec_b64 s[16:17], vcc
	s_cbranch_execnz .LBB531_539
; %bb.532:                              ;   in Loop: Header=BB531_518 Depth=2
	s_or_b64 exec, exec, s[16:17]
	v_cmp_gt_u32_e32 vcc, s18, v33
	s_and_saveexec_b64 s[16:17], vcc
	s_cbranch_execnz .LBB531_540
.LBB531_533:                            ;   in Loop: Header=BB531_518 Depth=2
	s_or_b64 exec, exec, s[16:17]
	v_cmp_gt_u32_e32 vcc, s18, v34
	s_and_saveexec_b64 s[16:17], vcc
	s_cbranch_execnz .LBB531_541
.LBB531_534:                            ;   in Loop: Header=BB531_518 Depth=2
	s_or_b64 exec, exec, s[16:17]
	v_cmp_gt_u32_e32 vcc, s18, v35
	s_and_saveexec_b64 s[16:17], vcc
	s_cbranch_execnz .LBB531_542
.LBB531_535:                            ;   in Loop: Header=BB531_518 Depth=2
	s_or_b64 exec, exec, s[16:17]
	v_cmp_gt_u32_e32 vcc, s18, v38
	s_and_saveexec_b64 s[16:17], vcc
	s_cbranch_execnz .LBB531_543
.LBB531_536:                            ;   in Loop: Header=BB531_518 Depth=2
	s_or_b64 exec, exec, s[16:17]
	v_cmp_gt_u32_e32 vcc, s18, v39
	s_and_saveexec_b64 s[16:17], vcc
	s_cbranch_execnz .LBB531_544
.LBB531_537:                            ;   in Loop: Header=BB531_518 Depth=2
	s_or_b64 exec, exec, s[16:17]
	v_cmp_gt_u32_e32 vcc, s18, v40
	s_and_saveexec_b64 s[16:17], vcc
	s_cbranch_execnz .LBB531_545
.LBB531_538:                            ;   in Loop: Header=BB531_518 Depth=2
	s_or_b64 exec, exec, s[16:17]
	v_cmp_gt_u32_e32 vcc, s18, v41
	s_and_saveexec_b64 s[16:17], vcc
	s_cbranch_execz .LBB531_517
	s_branch .LBB531_546
.LBB531_539:                            ;   in Loop: Header=BB531_518 Depth=2
	v_xor_b32_e32 v4, 0x7fffffff, v12
	v_lshrrev_b32_e32 v4, s77, v4
	v_and_b32_e32 v4, s70, v4
	v_lshl_or_b32 v4, v4, 4, v42
	ds_add_u32 v4, v66
	s_or_b64 exec, exec, s[16:17]
	v_cmp_gt_u32_e32 vcc, s18, v33
	s_and_saveexec_b64 s[16:17], vcc
	s_cbranch_execz .LBB531_533
.LBB531_540:                            ;   in Loop: Header=BB531_518 Depth=2
	v_xor_b32_e32 v4, 0x7fffffff, v13
	v_lshrrev_b32_e32 v4, s77, v4
	v_and_b32_e32 v4, s70, v4
	v_lshl_or_b32 v4, v4, 4, v42
	ds_add_u32 v4, v66
	s_or_b64 exec, exec, s[16:17]
	v_cmp_gt_u32_e32 vcc, s18, v34
	s_and_saveexec_b64 s[16:17], vcc
	s_cbranch_execz .LBB531_534
.LBB531_541:                            ;   in Loop: Header=BB531_518 Depth=2
	v_xor_b32_e32 v4, 0x7fffffff, v14
	v_lshrrev_b32_e32 v4, s77, v4
	v_and_b32_e32 v4, s70, v4
	v_lshl_or_b32 v4, v4, 4, v42
	ds_add_u32 v4, v66
	s_or_b64 exec, exec, s[16:17]
	v_cmp_gt_u32_e32 vcc, s18, v35
	s_and_saveexec_b64 s[16:17], vcc
	s_cbranch_execz .LBB531_535
.LBB531_542:                            ;   in Loop: Header=BB531_518 Depth=2
	v_xor_b32_e32 v4, 0x7fffffff, v15
	v_lshrrev_b32_e32 v4, s77, v4
	v_and_b32_e32 v4, s70, v4
	v_lshl_or_b32 v4, v4, 4, v42
	ds_add_u32 v4, v66
	s_or_b64 exec, exec, s[16:17]
	v_cmp_gt_u32_e32 vcc, s18, v38
	s_and_saveexec_b64 s[16:17], vcc
	s_cbranch_execz .LBB531_536
.LBB531_543:                            ;   in Loop: Header=BB531_518 Depth=2
	v_xor_b32_e32 v4, 0x7fffffff, v16
	v_lshrrev_b32_e32 v4, s77, v4
	v_and_b32_e32 v4, s70, v4
	v_lshl_or_b32 v4, v4, 4, v42
	ds_add_u32 v4, v66
	s_or_b64 exec, exec, s[16:17]
	v_cmp_gt_u32_e32 vcc, s18, v39
	s_and_saveexec_b64 s[16:17], vcc
	s_cbranch_execz .LBB531_537
.LBB531_544:                            ;   in Loop: Header=BB531_518 Depth=2
	v_xor_b32_e32 v4, 0x7fffffff, v17
	v_lshrrev_b32_e32 v4, s77, v4
	v_and_b32_e32 v4, s70, v4
	v_lshl_or_b32 v4, v4, 4, v42
	ds_add_u32 v4, v66
	s_or_b64 exec, exec, s[16:17]
	v_cmp_gt_u32_e32 vcc, s18, v40
	s_and_saveexec_b64 s[16:17], vcc
	s_cbranch_execz .LBB531_538
.LBB531_545:                            ;   in Loop: Header=BB531_518 Depth=2
	v_xor_b32_e32 v4, 0x7fffffff, v18
	v_lshrrev_b32_e32 v4, s77, v4
	v_and_b32_e32 v4, s70, v4
	v_lshl_or_b32 v4, v4, 4, v42
	ds_add_u32 v4, v66
	s_or_b64 exec, exec, s[16:17]
	v_cmp_gt_u32_e32 vcc, s18, v41
	s_and_saveexec_b64 s[16:17], vcc
	s_cbranch_execz .LBB531_517
.LBB531_546:                            ;   in Loop: Header=BB531_518 Depth=2
	v_xor_b32_e32 v4, 0x7fffffff, v19
	v_lshrrev_b32_e32 v4, s77, v4
	v_and_b32_e32 v4, s70, v4
	v_lshl_or_b32 v4, v4, 4, v42
	ds_add_u32 v4, v66
	s_branch .LBB531_517
.LBB531_547:                            ;   in Loop: Header=BB531_518 Depth=2
	global_load_dword v12, v67, s[16:17]
	s_or_b64 exec, exec, s[18:19]
	v_cmp_gt_u32_e32 vcc, s20, v33
	s_and_saveexec_b64 s[18:19], vcc
	s_cbranch_execz .LBB531_523
.LBB531_548:                            ;   in Loop: Header=BB531_518 Depth=2
	global_load_dword v13, v67, s[16:17] offset:1024
	s_or_b64 exec, exec, s[18:19]
	v_cmp_gt_u32_e32 vcc, s20, v34
	s_and_saveexec_b64 s[18:19], vcc
	s_cbranch_execz .LBB531_524
.LBB531_549:                            ;   in Loop: Header=BB531_518 Depth=2
	global_load_dword v14, v67, s[16:17] offset:2048
	s_or_b64 exec, exec, s[18:19]
	v_cmp_gt_u32_e32 vcc, s20, v35
	s_and_saveexec_b64 s[18:19], vcc
	s_cbranch_execz .LBB531_525
.LBB531_550:                            ;   in Loop: Header=BB531_518 Depth=2
	global_load_dword v15, v67, s[16:17] offset:3072
	s_or_b64 exec, exec, s[18:19]
	v_cmp_gt_u32_e32 vcc, s20, v38
	s_and_saveexec_b64 s[18:19], vcc
	s_cbranch_execz .LBB531_526
.LBB531_551:                            ;   in Loop: Header=BB531_518 Depth=2
	global_load_dword v16, v68, s[16:17]
	s_or_b64 exec, exec, s[18:19]
	v_cmp_gt_u32_e32 vcc, s20, v39
	s_and_saveexec_b64 s[18:19], vcc
	s_cbranch_execz .LBB531_527
.LBB531_552:                            ;   in Loop: Header=BB531_518 Depth=2
	global_load_dword v17, v69, s[16:17]
	s_or_b64 exec, exec, s[18:19]
	v_cmp_gt_u32_e32 vcc, s20, v40
	s_and_saveexec_b64 s[18:19], vcc
	s_cbranch_execz .LBB531_528
.LBB531_553:                            ;   in Loop: Header=BB531_518 Depth=2
	global_load_dword v18, v70, s[16:17]
	s_or_b64 exec, exec, s[18:19]
	v_cmp_gt_u32_e32 vcc, s20, v41
	s_and_saveexec_b64 s[18:19], vcc
	s_cbranch_execnz .LBB531_529
	s_branch .LBB531_530
.LBB531_554:                            ;   in Loop: Header=BB531_20 Depth=1
	v_mov_b32_e32 v4, 0
	s_waitcnt lgkmcnt(0)
	s_barrier
	s_and_saveexec_b64 s[16:17], s[4:5]
	s_cbranch_execz .LBB531_556
; %bb.555:                              ;   in Loop: Header=BB531_20 Depth=1
	ds_read2_b64 v[4:7], v43 offset1:1
	s_waitcnt lgkmcnt(0)
	v_add_u32_e32 v4, v5, v4
	v_add3_u32 v4, v4, v6, v7
.LBB531_556:                            ;   in Loop: Header=BB531_20 Depth=1
	s_or_b64 exec, exec, s[16:17]
	s_nop 0
	v_mov_b32_dpp v5, v4 row_shr:1 row_mask:0xf bank_mask:0xf
	v_cmp_eq_u32_e64 s[16:17], 0, v73
	v_cndmask_b32_e64 v5, v5, 0, s[16:17]
	v_add_u32_e32 v4, v5, v4
	v_cmp_lt_u32_e64 s[18:19], 1, v73
	v_cmp_lt_u32_e64 s[20:21], 3, v73
	v_mov_b32_dpp v5, v4 row_shr:2 row_mask:0xf bank_mask:0xf
	v_cndmask_b32_e64 v5, 0, v5, s[18:19]
	v_add_u32_e32 v4, v4, v5
	v_cmp_lt_u32_e64 s[22:23], 7, v73
	v_cmp_lt_u32_e64 s[26:27], 31, v72
	v_mov_b32_dpp v5, v4 row_shr:4 row_mask:0xf bank_mask:0xf
	v_cndmask_b32_e64 v5, 0, v5, s[20:21]
	v_add_u32_e32 v4, v4, v5
	v_cmp_eq_u32_e64 s[24:25], 0, v75
	s_nop 0
	v_mov_b32_dpp v5, v4 row_shr:8 row_mask:0xf bank_mask:0xf
	v_cndmask_b32_e64 v5, 0, v5, s[22:23]
	v_add_u32_e32 v4, v4, v5
	s_nop 1
	v_mov_b32_dpp v5, v4 row_bcast:15 row_mask:0xf bank_mask:0xf
	v_and_b32_e32 v5, v74, v5
	v_add_u32_e32 v4, v4, v5
	s_nop 1
	v_mov_b32_dpp v5, v4 row_bcast:31 row_mask:0xf bank_mask:0xf
	v_cndmask_b32_e64 v5, 0, v5, s[26:27]
	v_add_u32_e32 v4, v4, v5
	s_and_saveexec_b64 s[28:29], s[6:7]
; %bb.557:                              ;   in Loop: Header=BB531_20 Depth=1
	ds_write_b32 v45, v4
; %bb.558:                              ;   in Loop: Header=BB531_20 Depth=1
	s_or_b64 exec, exec, s[28:29]
	s_waitcnt lgkmcnt(0)
	s_barrier
	s_and_saveexec_b64 s[28:29], s[8:9]
	s_cbranch_execz .LBB531_560
; %bb.559:                              ;   in Loop: Header=BB531_20 Depth=1
	ds_read_b32 v5, v46
	v_cmp_ne_u32_e32 vcc, 0, v76
	s_waitcnt lgkmcnt(0)
	v_mov_b32_dpp v6, v5 row_shr:1 row_mask:0xf bank_mask:0xf
	v_cndmask_b32_e32 v6, 0, v6, vcc
	v_add_u32_e32 v5, v6, v5
	v_cmp_lt_u32_e32 vcc, 1, v76
	s_nop 0
	v_mov_b32_dpp v6, v5 row_shr:2 row_mask:0xf bank_mask:0xf
	v_cndmask_b32_e32 v6, 0, v6, vcc
	v_add_u32_e32 v5, v5, v6
	ds_write_b32 v46, v5
.LBB531_560:                            ;   in Loop: Header=BB531_20 Depth=1
	s_or_b64 exec, exec, s[28:29]
	v_mov_b32_e32 v5, 0
	s_waitcnt lgkmcnt(0)
	s_barrier
	s_and_saveexec_b64 s[28:29], s[10:11]
; %bb.561:                              ;   in Loop: Header=BB531_20 Depth=1
	ds_read_b32 v5, v47
; %bb.562:                              ;   in Loop: Header=BB531_20 Depth=1
	s_or_b64 exec, exec, s[28:29]
	v_subrev_co_u32_e64 v6, s[28:29], 1, v72
	v_cmp_lt_i32_e32 vcc, v6, v77
	v_cndmask_b32_e32 v6, v6, v72, vcc
	s_waitcnt lgkmcnt(0)
	v_add_u32_e32 v4, v5, v4
	v_lshlrev_b32_e32 v84, 2, v6
	ds_bpermute_b32 v4, v84, v4
	s_waitcnt lgkmcnt(0)
	s_barrier
	s_and_saveexec_b64 s[30:31], s[4:5]
; %bb.563:                              ;   in Loop: Header=BB531_20 Depth=1
	v_cndmask_b32_e64 v4, v4, v5, s[28:29]
	v_add_u32_e32 v4, s51, v4
	ds_write_b32 v32, v4
; %bb.564:                              ;   in Loop: Header=BB531_20 Depth=1
	s_or_b64 exec, exec, s[30:31]
	s_load_dwordx2 s[30:31], s[56:57], 0x0
	v_add_co_u32_e32 v85, vcc, v62, v79
	v_addc_co_u32_e32 v86, vcc, 0, v63, vcc
	s_waitcnt lgkmcnt(0)
	s_cmp_lt_u32 s33, s31
	s_cselect_b32 s31, 14, 20
	s_add_u32 s34, s56, s31
	s_addc_u32 s35, s57, 0
	s_cmp_lt_u32 s50, s30
	s_cselect_b32 s30, 12, 18
	s_add_u32 s30, s56, s30
	global_load_ushort v4, v3, s[34:35]
	s_addc_u32 s31, s57, 0
	global_load_ushort v12, v3, s[30:31]
	v_lshlrev_b32_e32 v14, 2, v78
	v_add_co_u32_e32 v98, vcc, v64, v14
	v_cmp_eq_u32_e64 s[30:31], 0, v76
	v_cmp_lt_u32_e64 s[34:35], 1, v76
	v_or_b32_e32 v87, 0x100, v80
	v_or_b32_e32 v88, 0x140, v80
	;; [unrolled: 1-line block ×4, first 2 shown]
	s_mov_b32 s71, s79
	v_addc_co_u32_e32 v100, vcc, 0, v65, vcc
	s_mov_b32 s58, s51
                                        ; implicit-def: $vgpr5_vgpr6
                                        ; implicit-def: $vgpr7_vgpr8
                                        ; implicit-def: $vgpr9_vgpr10
                                        ; implicit-def: $vgpr20_vgpr21
                                        ; implicit-def: $vgpr22_vgpr23
                                        ; implicit-def: $vgpr24_vgpr25
                                        ; implicit-def: $vgpr26_vgpr27
                                        ; implicit-def: $vgpr28_vgpr29
                                        ; implicit-def: $vgpr91
                                        ; implicit-def: $vgpr92
                                        ; implicit-def: $vgpr93
                                        ; implicit-def: $vgpr94
                                        ; implicit-def: $vgpr95
                                        ; implicit-def: $vgpr96
                                        ; implicit-def: $vgpr97
                                        ; implicit-def: $vgpr99
	s_waitcnt vmcnt(1)
	v_mad_u32_u24 v4, v2, v4, v1
	s_waitcnt vmcnt(0)
	v_mad_u64_u32 v[12:13], s[36:37], v4, v12, v[0:1]
	v_lshrrev_b32_e32 v4, 4, v12
	v_and_b32_e32 v101, 0xffffffc, v4
	s_branch .LBB531_566
.LBB531_565:                            ;   in Loop: Header=BB531_566 Depth=2
	s_or_b64 exec, exec, s[36:37]
	s_addk_i32 s71, 0xf800
	s_cmp_lt_u32 s76, s63
	s_mov_b32 s58, s76
	s_cbranch_scc0 .LBB531_18
.LBB531_566:                            ;   Parent Loop BB531_20 Depth=1
                                        ; =>  This Inner Loop Header: Depth=2
	s_add_i32 s76, s58, 0x800
	s_cmp_gt_u32 s76, s63
	s_cbranch_scc1 .LBB531_568
; %bb.567:                              ;   in Loop: Header=BB531_566 Depth=2
	s_lshl_b64 s[36:37], s[58:59], 2
	v_mov_b32_e32 v4, s37
	v_add_co_u32_e32 v18, vcc, s36, v98
	v_addc_co_u32_e32 v19, vcc, v100, v4, vcc
	global_load_dword v12, v[18:19], off
	global_load_dword v13, v[18:19], off offset:256
	global_load_dword v14, v[18:19], off offset:512
	global_load_dword v15, v[18:19], off offset:768
	global_load_dword v16, v[18:19], off offset:1024
	global_load_dword v17, v[18:19], off offset:1280
	s_nop 0
	global_load_dword v18, v[18:19], off offset:1536
	s_mov_b64 s[36:37], -1
	s_movk_i32 s40, 0x800
	s_cbranch_execz .LBB531_569
	s_branch .LBB531_578
.LBB531_568:                            ;   in Loop: Header=BB531_566 Depth=2
	s_mov_b64 s[36:37], 0
                                        ; implicit-def: $vgpr12_vgpr13_vgpr14_vgpr15_vgpr16_vgpr17_vgpr18_vgpr19
	s_movk_i32 s40, 0x800
.LBB531_569:                            ;   in Loop: Header=BB531_566 Depth=2
	s_lshl_b64 s[36:37], s[58:59], 2
	v_mov_b32_e32 v4, s37
	v_add_co_u32_e32 v30, vcc, s36, v98
	s_waitcnt vmcnt(6)
	v_mov_b32_e32 v12, v11
	s_waitcnt vmcnt(5)
	v_mov_b32_e32 v13, v11
	;; [unrolled: 2-line block ×7, first 2 shown]
	v_addc_co_u32_e32 v31, vcc, v100, v4, vcc
	v_mov_b32_e32 v19, v18
	v_cmp_gt_u32_e32 vcc, s71, v80
	v_mov_b32_e32 v18, v17
	v_mov_b32_e32 v17, v16
	v_mov_b32_e32 v16, v15
	v_mov_b32_e32 v15, v14
	v_mov_b32_e32 v14, v13
	v_mov_b32_e32 v13, v12
	v_mov_b32_e32 v12, v11
	s_and_saveexec_b64 s[36:37], vcc
	s_cbranch_execnz .LBB531_672
; %bb.570:                              ;   in Loop: Header=BB531_566 Depth=2
	s_or_b64 exec, exec, s[36:37]
	v_cmp_gt_u32_e32 vcc, s71, v81
	s_and_saveexec_b64 s[36:37], vcc
	s_cbranch_execnz .LBB531_673
.LBB531_571:                            ;   in Loop: Header=BB531_566 Depth=2
	s_or_b64 exec, exec, s[36:37]
	v_cmp_gt_u32_e32 vcc, s71, v82
	s_and_saveexec_b64 s[36:37], vcc
	s_cbranch_execnz .LBB531_674
.LBB531_572:                            ;   in Loop: Header=BB531_566 Depth=2
	s_or_b64 exec, exec, s[36:37]
	v_cmp_gt_u32_e32 vcc, s71, v83
	s_and_saveexec_b64 s[36:37], vcc
	s_cbranch_execnz .LBB531_675
.LBB531_573:                            ;   in Loop: Header=BB531_566 Depth=2
	s_or_b64 exec, exec, s[36:37]
	v_cmp_gt_u32_e32 vcc, s71, v87
	s_and_saveexec_b64 s[36:37], vcc
	s_cbranch_execnz .LBB531_676
.LBB531_574:                            ;   in Loop: Header=BB531_566 Depth=2
	s_or_b64 exec, exec, s[36:37]
	v_cmp_gt_u32_e32 vcc, s71, v88
	s_and_saveexec_b64 s[36:37], vcc
	s_cbranch_execnz .LBB531_677
.LBB531_575:                            ;   in Loop: Header=BB531_566 Depth=2
	s_or_b64 exec, exec, s[36:37]
	v_cmp_gt_u32_e32 vcc, s71, v89
	s_and_saveexec_b64 s[36:37], vcc
	s_cbranch_execz .LBB531_577
.LBB531_576:                            ;   in Loop: Header=BB531_566 Depth=2
	global_load_dword v18, v[30:31], off offset:1536
.LBB531_577:                            ;   in Loop: Header=BB531_566 Depth=2
	s_or_b64 exec, exec, s[36:37]
	s_sub_i32 s40, s63, s58
	v_cmp_gt_u32_e64 s[36:37], s71, v90
.LBB531_578:                            ;   in Loop: Header=BB531_566 Depth=2
	v_mov_b32_e32 v102, s71
	s_and_saveexec_b64 s[38:39], s[36:37]
	s_cbranch_execz .LBB531_580
; %bb.579:                              ;   in Loop: Header=BB531_566 Depth=2
	s_lshl_b64 s[36:37], s[58:59], 2
	v_mov_b32_e32 v4, s37
	v_add_co_u32_e32 v30, vcc, s36, v98
	v_addc_co_u32_e32 v31, vcc, v100, v4, vcc
	global_load_dword v19, v[30:31], off offset:1792
	v_mov_b32_e32 v102, s40
.LBB531_580:                            ;   in Loop: Header=BB531_566 Depth=2
	s_or_b64 exec, exec, s[38:39]
	s_waitcnt vmcnt(0)
	v_xor_b32_e32 v103, 0x7fffffff, v12
	v_lshrrev_b32_e32 v4, s77, v103
	v_and_b32_e32 v12, s70, v4
	v_and_b32_e32 v4, 1, v12
	v_add_co_u32_e32 v30, vcc, -1, v4
	v_addc_co_u32_e64 v31, s[36:37], 0, -1, vcc
	v_cmp_ne_u32_e32 vcc, 0, v4
	v_xor_b32_e32 v4, vcc_hi, v31
	v_and_b32_e32 v31, exec_hi, v4
	v_lshlrev_b32_e32 v4, 30, v12
	v_xor_b32_e32 v30, vcc_lo, v30
	v_cmp_gt_i64_e32 vcc, 0, v[3:4]
	v_not_b32_e32 v4, v4
	v_ashrrev_i32_e32 v4, 31, v4
	v_and_b32_e32 v30, exec_lo, v30
	v_xor_b32_e32 v106, vcc_hi, v4
	v_xor_b32_e32 v4, vcc_lo, v4
	v_and_b32_e32 v30, v30, v4
	v_lshlrev_b32_e32 v4, 29, v12
	v_cmp_gt_i64_e32 vcc, 0, v[3:4]
	v_not_b32_e32 v4, v4
	v_ashrrev_i32_e32 v4, 31, v4
	v_and_b32_e32 v31, v31, v106
	v_xor_b32_e32 v106, vcc_hi, v4
	v_xor_b32_e32 v4, vcc_lo, v4
	v_and_b32_e32 v30, v30, v4
	v_lshlrev_b32_e32 v4, 28, v12
	v_cmp_gt_i64_e32 vcc, 0, v[3:4]
	v_not_b32_e32 v4, v4
	v_ashrrev_i32_e32 v4, 31, v4
	v_and_b32_e32 v31, v31, v106
	;; [unrolled: 8-line block ×5, first 2 shown]
	v_xor_b32_e32 v106, vcc_hi, v4
	v_xor_b32_e32 v4, vcc_lo, v4
	v_and_b32_e32 v30, v30, v4
	v_lshlrev_b32_e32 v4, 24, v12
	v_cmp_gt_i64_e32 vcc, 0, v[3:4]
	v_not_b32_e32 v4, v4
	v_ashrrev_i32_e32 v4, 31, v4
	v_mul_u32_u24_e32 v107, 20, v12
	v_xor_b32_e32 v12, vcc_hi, v4
	v_xor_b32_e32 v4, vcc_lo, v4
	v_and_b32_e32 v31, v31, v106
	v_and_b32_e32 v30, v30, v4
	;; [unrolled: 1-line block ×3, first 2 shown]
	v_mbcnt_lo_u32_b32 v4, v30, 0
	v_mbcnt_hi_u32_b32 v106, v31, v4
	v_cmp_ne_u64_e32 vcc, 0, v[30:31]
	v_cmp_eq_u32_e64 s[36:37], 0, v106
	v_add_u32_e32 v105, 0x410, v48
	v_add_u32_e32 v104, 0x418, v48
	s_and_b64 s[38:39], vcc, s[36:37]
	v_add_u32_e32 v107, v101, v107
	ds_write2_b32 v105, v3, v3 offset1:1
	ds_write2_b32 v104, v3, v3 offset1:1
	ds_write_b32 v48, v3 offset:1056
	s_waitcnt lgkmcnt(0)
	s_barrier
	; wave barrier
	s_and_saveexec_b64 s[36:37], s[38:39]
; %bb.581:                              ;   in Loop: Header=BB531_566 Depth=2
	v_bcnt_u32_b32 v4, v30, 0
	v_bcnt_u32_b32 v4, v31, v4
	ds_write_b32 v107, v4 offset:1040
; %bb.582:                              ;   in Loop: Header=BB531_566 Depth=2
	s_or_b64 exec, exec, s[36:37]
	v_xor_b32_e32 v30, 0x7fffffff, v13
	v_lshrrev_b32_e32 v4, s77, v30
	v_and_b32_e32 v12, s70, v4
	v_mad_u32_u24 v4, v12, 20, v101
	; wave barrier
	ds_read_b32 v31, v4 offset:1040
	v_and_b32_e32 v4, 1, v12
	v_add_co_u32_e32 v13, vcc, -1, v4
	v_addc_co_u32_e64 v108, s[36:37], 0, -1, vcc
	v_cmp_ne_u32_e32 vcc, 0, v4
	v_xor_b32_e32 v4, vcc_hi, v108
	v_and_b32_e32 v108, exec_hi, v4
	v_lshlrev_b32_e32 v4, 30, v12
	v_xor_b32_e32 v13, vcc_lo, v13
	v_cmp_gt_i64_e32 vcc, 0, v[3:4]
	v_not_b32_e32 v4, v4
	v_ashrrev_i32_e32 v4, 31, v4
	v_and_b32_e32 v13, exec_lo, v13
	v_xor_b32_e32 v110, vcc_hi, v4
	v_xor_b32_e32 v4, vcc_lo, v4
	v_and_b32_e32 v13, v13, v4
	v_lshlrev_b32_e32 v4, 29, v12
	v_cmp_gt_i64_e32 vcc, 0, v[3:4]
	v_not_b32_e32 v4, v4
	v_ashrrev_i32_e32 v4, 31, v4
	v_and_b32_e32 v108, v108, v110
	v_xor_b32_e32 v110, vcc_hi, v4
	v_xor_b32_e32 v4, vcc_lo, v4
	v_and_b32_e32 v13, v13, v4
	v_lshlrev_b32_e32 v4, 28, v12
	v_cmp_gt_i64_e32 vcc, 0, v[3:4]
	v_not_b32_e32 v4, v4
	v_ashrrev_i32_e32 v4, 31, v4
	v_and_b32_e32 v108, v108, v110
	v_xor_b32_e32 v110, vcc_hi, v4
	v_xor_b32_e32 v4, vcc_lo, v4
	v_and_b32_e32 v13, v13, v4
	v_lshlrev_b32_e32 v4, 27, v12
	v_cmp_gt_i64_e32 vcc, 0, v[3:4]
	v_not_b32_e32 v4, v4
	v_ashrrev_i32_e32 v4, 31, v4
	v_and_b32_e32 v108, v108, v110
	v_xor_b32_e32 v110, vcc_hi, v4
	v_xor_b32_e32 v4, vcc_lo, v4
	v_and_b32_e32 v13, v13, v4
	v_lshlrev_b32_e32 v4, 26, v12
	v_cmp_gt_i64_e32 vcc, 0, v[3:4]
	v_not_b32_e32 v4, v4
	v_ashrrev_i32_e32 v4, 31, v4
	v_and_b32_e32 v108, v108, v110
	v_xor_b32_e32 v110, vcc_hi, v4
	v_xor_b32_e32 v4, vcc_lo, v4
	v_and_b32_e32 v13, v13, v4
	v_lshlrev_b32_e32 v4, 25, v12
	v_cmp_gt_i64_e32 vcc, 0, v[3:4]
	v_not_b32_e32 v4, v4
	v_ashrrev_i32_e32 v4, 31, v4
	v_and_b32_e32 v108, v108, v110
	v_xor_b32_e32 v110, vcc_hi, v4
	v_xor_b32_e32 v4, vcc_lo, v4
	v_and_b32_e32 v108, v108, v110
	v_and_b32_e32 v110, v13, v4
	v_lshlrev_b32_e32 v4, 24, v12
	v_cmp_gt_i64_e32 vcc, 0, v[3:4]
	v_not_b32_e32 v4, v4
	v_ashrrev_i32_e32 v4, 31, v4
	v_mul_u32_u24_e32 v109, 20, v12
	v_xor_b32_e32 v12, vcc_hi, v4
	v_xor_b32_e32 v4, vcc_lo, v4
	v_and_b32_e32 v13, v108, v12
	v_and_b32_e32 v12, v110, v4
	v_mbcnt_lo_u32_b32 v4, v12, 0
	v_mbcnt_hi_u32_b32 v108, v13, v4
	v_cmp_ne_u64_e32 vcc, 0, v[12:13]
	v_cmp_eq_u32_e64 s[36:37], 0, v108
	s_and_b64 s[38:39], vcc, s[36:37]
	v_add_u32_e32 v111, v101, v109
	; wave barrier
	s_and_saveexec_b64 s[36:37], s[38:39]
	s_cbranch_execz .LBB531_584
; %bb.583:                              ;   in Loop: Header=BB531_566 Depth=2
	v_bcnt_u32_b32 v4, v12, 0
	v_bcnt_u32_b32 v4, v13, v4
	s_waitcnt lgkmcnt(0)
	v_add_u32_e32 v4, v31, v4
	ds_write_b32 v111, v4 offset:1040
.LBB531_584:                            ;   in Loop: Header=BB531_566 Depth=2
	s_or_b64 exec, exec, s[36:37]
	v_xor_b32_e32 v109, 0x7fffffff, v14
	v_lshrrev_b32_e32 v4, s77, v109
	v_and_b32_e32 v12, s70, v4
	v_mad_u32_u24 v4, v12, 20, v101
	; wave barrier
	ds_read_b32 v110, v4 offset:1040
	v_and_b32_e32 v4, 1, v12
	v_add_co_u32_e32 v13, vcc, -1, v4
	v_addc_co_u32_e64 v112, s[36:37], 0, -1, vcc
	v_cmp_ne_u32_e32 vcc, 0, v4
	v_xor_b32_e32 v4, vcc_hi, v112
	v_and_b32_e32 v112, exec_hi, v4
	v_lshlrev_b32_e32 v4, 30, v12
	v_xor_b32_e32 v13, vcc_lo, v13
	v_cmp_gt_i64_e32 vcc, 0, v[3:4]
	v_not_b32_e32 v4, v4
	v_ashrrev_i32_e32 v4, 31, v4
	v_and_b32_e32 v13, exec_lo, v13
	v_xor_b32_e32 v113, vcc_hi, v4
	v_xor_b32_e32 v4, vcc_lo, v4
	v_and_b32_e32 v13, v13, v4
	v_lshlrev_b32_e32 v4, 29, v12
	v_cmp_gt_i64_e32 vcc, 0, v[3:4]
	v_not_b32_e32 v4, v4
	v_ashrrev_i32_e32 v4, 31, v4
	v_and_b32_e32 v112, v112, v113
	v_xor_b32_e32 v113, vcc_hi, v4
	v_xor_b32_e32 v4, vcc_lo, v4
	v_and_b32_e32 v13, v13, v4
	v_lshlrev_b32_e32 v4, 28, v12
	v_cmp_gt_i64_e32 vcc, 0, v[3:4]
	v_not_b32_e32 v4, v4
	v_ashrrev_i32_e32 v4, 31, v4
	v_and_b32_e32 v112, v112, v113
	;; [unrolled: 8-line block ×5, first 2 shown]
	v_xor_b32_e32 v113, vcc_hi, v4
	v_xor_b32_e32 v4, vcc_lo, v4
	v_and_b32_e32 v112, v112, v113
	v_and_b32_e32 v113, v13, v4
	v_lshlrev_b32_e32 v4, 24, v12
	v_cmp_gt_i64_e32 vcc, 0, v[3:4]
	v_not_b32_e32 v4, v4
	v_ashrrev_i32_e32 v4, 31, v4
	v_mul_u32_u24_e32 v14, 20, v12
	v_xor_b32_e32 v12, vcc_hi, v4
	v_xor_b32_e32 v4, vcc_lo, v4
	v_and_b32_e32 v13, v112, v12
	v_and_b32_e32 v12, v113, v4
	v_mbcnt_lo_u32_b32 v4, v12, 0
	v_mbcnt_hi_u32_b32 v112, v13, v4
	v_cmp_ne_u64_e32 vcc, 0, v[12:13]
	v_cmp_eq_u32_e64 s[36:37], 0, v112
	s_and_b64 s[38:39], vcc, s[36:37]
	v_add_u32_e32 v115, v101, v14
	; wave barrier
	s_and_saveexec_b64 s[36:37], s[38:39]
	s_cbranch_execz .LBB531_586
; %bb.585:                              ;   in Loop: Header=BB531_566 Depth=2
	v_bcnt_u32_b32 v4, v12, 0
	v_bcnt_u32_b32 v4, v13, v4
	s_waitcnt lgkmcnt(0)
	v_add_u32_e32 v4, v110, v4
	ds_write_b32 v115, v4 offset:1040
.LBB531_586:                            ;   in Loop: Header=BB531_566 Depth=2
	s_or_b64 exec, exec, s[36:37]
	v_xor_b32_e32 v113, 0x7fffffff, v15
	v_lshrrev_b32_e32 v4, s77, v113
	v_and_b32_e32 v12, s70, v4
	v_mad_u32_u24 v4, v12, 20, v101
	; wave barrier
	ds_read_b32 v114, v4 offset:1040
	v_and_b32_e32 v4, 1, v12
	v_add_co_u32_e32 v13, vcc, -1, v4
	v_addc_co_u32_e64 v15, s[36:37], 0, -1, vcc
	v_cmp_ne_u32_e32 vcc, 0, v4
	v_xor_b32_e32 v4, vcc_hi, v15
	v_and_b32_e32 v15, exec_hi, v4
	v_lshlrev_b32_e32 v4, 30, v12
	v_xor_b32_e32 v13, vcc_lo, v13
	v_cmp_gt_i64_e32 vcc, 0, v[3:4]
	v_not_b32_e32 v4, v4
	v_ashrrev_i32_e32 v4, 31, v4
	v_and_b32_e32 v13, exec_lo, v13
	v_xor_b32_e32 v116, vcc_hi, v4
	v_xor_b32_e32 v4, vcc_lo, v4
	v_and_b32_e32 v13, v13, v4
	v_lshlrev_b32_e32 v4, 29, v12
	v_cmp_gt_i64_e32 vcc, 0, v[3:4]
	v_not_b32_e32 v4, v4
	v_ashrrev_i32_e32 v4, 31, v4
	v_and_b32_e32 v15, v15, v116
	v_xor_b32_e32 v116, vcc_hi, v4
	v_xor_b32_e32 v4, vcc_lo, v4
	v_and_b32_e32 v13, v13, v4
	v_lshlrev_b32_e32 v4, 28, v12
	v_cmp_gt_i64_e32 vcc, 0, v[3:4]
	v_not_b32_e32 v4, v4
	v_ashrrev_i32_e32 v4, 31, v4
	v_and_b32_e32 v15, v15, v116
	;; [unrolled: 8-line block ×5, first 2 shown]
	v_xor_b32_e32 v116, vcc_hi, v4
	v_xor_b32_e32 v4, vcc_lo, v4
	v_and_b32_e32 v15, v15, v116
	v_and_b32_e32 v116, v13, v4
	v_lshlrev_b32_e32 v4, 24, v12
	v_cmp_gt_i64_e32 vcc, 0, v[3:4]
	v_not_b32_e32 v4, v4
	v_ashrrev_i32_e32 v4, 31, v4
	v_mul_u32_u24_e32 v14, 20, v12
	v_xor_b32_e32 v12, vcc_hi, v4
	v_xor_b32_e32 v4, vcc_lo, v4
	v_and_b32_e32 v13, v15, v12
	v_and_b32_e32 v12, v116, v4
	v_mbcnt_lo_u32_b32 v4, v12, 0
	v_mbcnt_hi_u32_b32 v116, v13, v4
	v_cmp_ne_u64_e32 vcc, 0, v[12:13]
	v_cmp_eq_u32_e64 s[36:37], 0, v116
	s_and_b64 s[38:39], vcc, s[36:37]
	v_add_u32_e32 v118, v101, v14
	; wave barrier
	s_and_saveexec_b64 s[36:37], s[38:39]
	s_cbranch_execz .LBB531_588
; %bb.587:                              ;   in Loop: Header=BB531_566 Depth=2
	v_bcnt_u32_b32 v4, v12, 0
	v_bcnt_u32_b32 v4, v13, v4
	s_waitcnt lgkmcnt(0)
	v_add_u32_e32 v4, v114, v4
	ds_write_b32 v118, v4 offset:1040
.LBB531_588:                            ;   in Loop: Header=BB531_566 Depth=2
	s_or_b64 exec, exec, s[36:37]
	v_xor_b32_e32 v16, 0x7fffffff, v16
	v_lshrrev_b32_e32 v4, s77, v16
	v_and_b32_e32 v12, s70, v4
	v_mad_u32_u24 v4, v12, 20, v101
	; wave barrier
	ds_read_b32 v117, v4 offset:1040
	v_and_b32_e32 v4, 1, v12
	v_add_co_u32_e32 v13, vcc, -1, v4
	v_addc_co_u32_e64 v15, s[36:37], 0, -1, vcc
	v_cmp_ne_u32_e32 vcc, 0, v4
	v_xor_b32_e32 v4, vcc_hi, v15
	v_and_b32_e32 v15, exec_hi, v4
	v_lshlrev_b32_e32 v4, 30, v12
	v_xor_b32_e32 v13, vcc_lo, v13
	v_cmp_gt_i64_e32 vcc, 0, v[3:4]
	v_not_b32_e32 v4, v4
	v_ashrrev_i32_e32 v4, 31, v4
	v_and_b32_e32 v13, exec_lo, v13
	v_xor_b32_e32 v119, vcc_hi, v4
	v_xor_b32_e32 v4, vcc_lo, v4
	v_and_b32_e32 v13, v13, v4
	v_lshlrev_b32_e32 v4, 29, v12
	v_cmp_gt_i64_e32 vcc, 0, v[3:4]
	v_not_b32_e32 v4, v4
	v_ashrrev_i32_e32 v4, 31, v4
	v_and_b32_e32 v15, v15, v119
	v_xor_b32_e32 v119, vcc_hi, v4
	v_xor_b32_e32 v4, vcc_lo, v4
	v_and_b32_e32 v13, v13, v4
	v_lshlrev_b32_e32 v4, 28, v12
	v_cmp_gt_i64_e32 vcc, 0, v[3:4]
	v_not_b32_e32 v4, v4
	v_ashrrev_i32_e32 v4, 31, v4
	v_and_b32_e32 v15, v15, v119
	;; [unrolled: 8-line block ×5, first 2 shown]
	v_xor_b32_e32 v119, vcc_hi, v4
	v_xor_b32_e32 v4, vcc_lo, v4
	v_and_b32_e32 v15, v15, v119
	v_and_b32_e32 v119, v13, v4
	v_lshlrev_b32_e32 v4, 24, v12
	v_cmp_gt_i64_e32 vcc, 0, v[3:4]
	v_not_b32_e32 v4, v4
	v_ashrrev_i32_e32 v4, 31, v4
	v_mul_u32_u24_e32 v14, 20, v12
	v_xor_b32_e32 v12, vcc_hi, v4
	v_xor_b32_e32 v4, vcc_lo, v4
	v_and_b32_e32 v13, v15, v12
	v_and_b32_e32 v12, v119, v4
	v_mbcnt_lo_u32_b32 v4, v12, 0
	v_mbcnt_hi_u32_b32 v119, v13, v4
	v_cmp_ne_u64_e32 vcc, 0, v[12:13]
	v_cmp_eq_u32_e64 s[36:37], 0, v119
	s_and_b64 s[38:39], vcc, s[36:37]
	v_add_u32_e32 v121, v101, v14
	; wave barrier
	s_and_saveexec_b64 s[36:37], s[38:39]
	s_cbranch_execz .LBB531_590
; %bb.589:                              ;   in Loop: Header=BB531_566 Depth=2
	v_bcnt_u32_b32 v4, v12, 0
	v_bcnt_u32_b32 v4, v13, v4
	s_waitcnt lgkmcnt(0)
	v_add_u32_e32 v4, v117, v4
	ds_write_b32 v121, v4 offset:1040
.LBB531_590:                            ;   in Loop: Header=BB531_566 Depth=2
	s_or_b64 exec, exec, s[36:37]
	v_xor_b32_e32 v120, 0x7fffffff, v17
	v_lshrrev_b32_e32 v4, s77, v120
	v_and_b32_e32 v12, s70, v4
	v_mad_u32_u24 v4, v12, 20, v101
	; wave barrier
	ds_read_b32 v17, v4 offset:1040
	v_and_b32_e32 v4, 1, v12
	v_add_co_u32_e32 v13, vcc, -1, v4
	v_addc_co_u32_e64 v15, s[36:37], 0, -1, vcc
	v_cmp_ne_u32_e32 vcc, 0, v4
	v_xor_b32_e32 v4, vcc_hi, v15
	v_and_b32_e32 v15, exec_hi, v4
	v_lshlrev_b32_e32 v4, 30, v12
	v_xor_b32_e32 v13, vcc_lo, v13
	v_cmp_gt_i64_e32 vcc, 0, v[3:4]
	v_not_b32_e32 v4, v4
	v_ashrrev_i32_e32 v4, 31, v4
	v_and_b32_e32 v13, exec_lo, v13
	v_xor_b32_e32 v122, vcc_hi, v4
	v_xor_b32_e32 v4, vcc_lo, v4
	v_and_b32_e32 v13, v13, v4
	v_lshlrev_b32_e32 v4, 29, v12
	v_cmp_gt_i64_e32 vcc, 0, v[3:4]
	v_not_b32_e32 v4, v4
	v_ashrrev_i32_e32 v4, 31, v4
	v_and_b32_e32 v15, v15, v122
	v_xor_b32_e32 v122, vcc_hi, v4
	v_xor_b32_e32 v4, vcc_lo, v4
	v_and_b32_e32 v13, v13, v4
	v_lshlrev_b32_e32 v4, 28, v12
	v_cmp_gt_i64_e32 vcc, 0, v[3:4]
	v_not_b32_e32 v4, v4
	v_ashrrev_i32_e32 v4, 31, v4
	v_and_b32_e32 v15, v15, v122
	v_xor_b32_e32 v122, vcc_hi, v4
	v_xor_b32_e32 v4, vcc_lo, v4
	v_and_b32_e32 v13, v13, v4
	v_lshlrev_b32_e32 v4, 27, v12
	v_cmp_gt_i64_e32 vcc, 0, v[3:4]
	v_not_b32_e32 v4, v4
	v_ashrrev_i32_e32 v4, 31, v4
	v_and_b32_e32 v15, v15, v122
	v_xor_b32_e32 v122, vcc_hi, v4
	v_xor_b32_e32 v4, vcc_lo, v4
	v_and_b32_e32 v13, v13, v4
	v_lshlrev_b32_e32 v4, 26, v12
	v_cmp_gt_i64_e32 vcc, 0, v[3:4]
	v_not_b32_e32 v4, v4
	v_ashrrev_i32_e32 v4, 31, v4
	v_and_b32_e32 v15, v15, v122
	v_xor_b32_e32 v122, vcc_hi, v4
	v_xor_b32_e32 v4, vcc_lo, v4
	v_and_b32_e32 v13, v13, v4
	v_lshlrev_b32_e32 v4, 25, v12
	v_cmp_gt_i64_e32 vcc, 0, v[3:4]
	v_not_b32_e32 v4, v4
	v_ashrrev_i32_e32 v4, 31, v4
	v_and_b32_e32 v15, v15, v122
	v_xor_b32_e32 v122, vcc_hi, v4
	v_xor_b32_e32 v4, vcc_lo, v4
	v_and_b32_e32 v15, v15, v122
	v_and_b32_e32 v122, v13, v4
	v_lshlrev_b32_e32 v4, 24, v12
	v_cmp_gt_i64_e32 vcc, 0, v[3:4]
	v_not_b32_e32 v4, v4
	v_ashrrev_i32_e32 v4, 31, v4
	v_mul_u32_u24_e32 v14, 20, v12
	v_xor_b32_e32 v12, vcc_hi, v4
	v_xor_b32_e32 v4, vcc_lo, v4
	v_and_b32_e32 v13, v15, v12
	v_and_b32_e32 v12, v122, v4
	v_mbcnt_lo_u32_b32 v4, v12, 0
	v_mbcnt_hi_u32_b32 v122, v13, v4
	v_cmp_ne_u64_e32 vcc, 0, v[12:13]
	v_cmp_eq_u32_e64 s[36:37], 0, v122
	s_and_b64 s[38:39], vcc, s[36:37]
	v_add_u32_e32 v125, v101, v14
	; wave barrier
	s_and_saveexec_b64 s[36:37], s[38:39]
	s_cbranch_execz .LBB531_592
; %bb.591:                              ;   in Loop: Header=BB531_566 Depth=2
	v_bcnt_u32_b32 v4, v12, 0
	v_bcnt_u32_b32 v4, v13, v4
	s_waitcnt lgkmcnt(0)
	v_add_u32_e32 v4, v17, v4
	ds_write_b32 v125, v4 offset:1040
.LBB531_592:                            ;   in Loop: Header=BB531_566 Depth=2
	s_or_b64 exec, exec, s[36:37]
	v_xor_b32_e32 v123, 0x7fffffff, v18
	v_lshrrev_b32_e32 v4, s77, v123
	v_and_b32_e32 v12, s70, v4
	v_mad_u32_u24 v4, v12, 20, v101
	; wave barrier
	ds_read_b32 v124, v4 offset:1040
	v_and_b32_e32 v4, 1, v12
	v_add_co_u32_e32 v13, vcc, -1, v4
	v_addc_co_u32_e64 v15, s[36:37], 0, -1, vcc
	v_cmp_ne_u32_e32 vcc, 0, v4
	v_xor_b32_e32 v4, vcc_hi, v15
	v_and_b32_e32 v15, exec_hi, v4
	v_lshlrev_b32_e32 v4, 30, v12
	v_xor_b32_e32 v13, vcc_lo, v13
	v_cmp_gt_i64_e32 vcc, 0, v[3:4]
	v_not_b32_e32 v4, v4
	v_ashrrev_i32_e32 v4, 31, v4
	v_and_b32_e32 v13, exec_lo, v13
	v_xor_b32_e32 v18, vcc_hi, v4
	v_xor_b32_e32 v4, vcc_lo, v4
	v_and_b32_e32 v13, v13, v4
	v_lshlrev_b32_e32 v4, 29, v12
	v_cmp_gt_i64_e32 vcc, 0, v[3:4]
	v_not_b32_e32 v4, v4
	v_ashrrev_i32_e32 v4, 31, v4
	v_and_b32_e32 v15, v15, v18
	v_xor_b32_e32 v18, vcc_hi, v4
	v_xor_b32_e32 v4, vcc_lo, v4
	v_and_b32_e32 v13, v13, v4
	v_lshlrev_b32_e32 v4, 28, v12
	v_cmp_gt_i64_e32 vcc, 0, v[3:4]
	v_not_b32_e32 v4, v4
	v_ashrrev_i32_e32 v4, 31, v4
	v_and_b32_e32 v15, v15, v18
	;; [unrolled: 8-line block ×5, first 2 shown]
	v_xor_b32_e32 v18, vcc_hi, v4
	v_xor_b32_e32 v4, vcc_lo, v4
	v_and_b32_e32 v15, v15, v18
	v_and_b32_e32 v18, v13, v4
	v_lshlrev_b32_e32 v4, 24, v12
	v_cmp_gt_i64_e32 vcc, 0, v[3:4]
	v_not_b32_e32 v4, v4
	v_ashrrev_i32_e32 v4, 31, v4
	v_mul_u32_u24_e32 v14, 20, v12
	v_xor_b32_e32 v12, vcc_hi, v4
	v_xor_b32_e32 v4, vcc_lo, v4
	v_and_b32_e32 v13, v15, v12
	v_and_b32_e32 v12, v18, v4
	v_mbcnt_lo_u32_b32 v4, v12, 0
	v_mbcnt_hi_u32_b32 v126, v13, v4
	v_cmp_ne_u64_e32 vcc, 0, v[12:13]
	v_cmp_eq_u32_e64 s[36:37], 0, v126
	s_and_b64 s[38:39], vcc, s[36:37]
	v_add_u32_e32 v18, v101, v14
	; wave barrier
	s_and_saveexec_b64 s[36:37], s[38:39]
	s_cbranch_execz .LBB531_594
; %bb.593:                              ;   in Loop: Header=BB531_566 Depth=2
	v_bcnt_u32_b32 v4, v12, 0
	v_bcnt_u32_b32 v4, v13, v4
	s_waitcnt lgkmcnt(0)
	v_add_u32_e32 v4, v124, v4
	ds_write_b32 v18, v4 offset:1040
.LBB531_594:                            ;   in Loop: Header=BB531_566 Depth=2
	s_or_b64 exec, exec, s[36:37]
	v_xor_b32_e32 v127, 0x7fffffff, v19
	v_lshrrev_b32_e32 v4, s77, v127
	v_and_b32_e32 v12, s70, v4
	v_mad_u32_u24 v4, v12, 20, v101
	; wave barrier
	ds_read_b32 v128, v4 offset:1040
	v_and_b32_e32 v4, 1, v12
	v_add_co_u32_e32 v13, vcc, -1, v4
	v_addc_co_u32_e64 v15, s[36:37], 0, -1, vcc
	v_cmp_ne_u32_e32 vcc, 0, v4
	v_xor_b32_e32 v4, vcc_hi, v15
	v_and_b32_e32 v15, exec_hi, v4
	v_lshlrev_b32_e32 v4, 30, v12
	v_xor_b32_e32 v13, vcc_lo, v13
	v_cmp_gt_i64_e32 vcc, 0, v[3:4]
	v_not_b32_e32 v4, v4
	v_ashrrev_i32_e32 v4, 31, v4
	v_and_b32_e32 v13, exec_lo, v13
	v_xor_b32_e32 v19, vcc_hi, v4
	v_xor_b32_e32 v4, vcc_lo, v4
	v_and_b32_e32 v13, v13, v4
	v_lshlrev_b32_e32 v4, 29, v12
	v_cmp_gt_i64_e32 vcc, 0, v[3:4]
	v_not_b32_e32 v4, v4
	v_ashrrev_i32_e32 v4, 31, v4
	v_and_b32_e32 v15, v15, v19
	v_xor_b32_e32 v19, vcc_hi, v4
	v_xor_b32_e32 v4, vcc_lo, v4
	v_and_b32_e32 v13, v13, v4
	v_lshlrev_b32_e32 v4, 28, v12
	v_cmp_gt_i64_e32 vcc, 0, v[3:4]
	v_not_b32_e32 v4, v4
	v_ashrrev_i32_e32 v4, 31, v4
	v_and_b32_e32 v15, v15, v19
	;; [unrolled: 8-line block ×5, first 2 shown]
	v_xor_b32_e32 v19, vcc_hi, v4
	v_xor_b32_e32 v4, vcc_lo, v4
	v_and_b32_e32 v15, v15, v19
	v_and_b32_e32 v19, v13, v4
	v_lshlrev_b32_e32 v4, 24, v12
	v_cmp_gt_i64_e32 vcc, 0, v[3:4]
	v_not_b32_e32 v4, v4
	v_ashrrev_i32_e32 v4, 31, v4
	v_mul_u32_u24_e32 v14, 20, v12
	v_xor_b32_e32 v12, vcc_hi, v4
	v_xor_b32_e32 v4, vcc_lo, v4
	v_and_b32_e32 v13, v15, v12
	v_and_b32_e32 v12, v19, v4
	v_mbcnt_lo_u32_b32 v4, v12, 0
	v_mbcnt_hi_u32_b32 v129, v13, v4
	v_cmp_ne_u64_e32 vcc, 0, v[12:13]
	v_cmp_eq_u32_e64 s[36:37], 0, v129
	s_and_b64 s[38:39], vcc, s[36:37]
	v_add_u32_e32 v4, v101, v14
	; wave barrier
	s_and_saveexec_b64 s[36:37], s[38:39]
	s_cbranch_execz .LBB531_596
; %bb.595:                              ;   in Loop: Header=BB531_566 Depth=2
	v_bcnt_u32_b32 v12, v12, 0
	v_bcnt_u32_b32 v12, v13, v12
	s_waitcnt lgkmcnt(0)
	v_add_u32_e32 v12, v128, v12
	ds_write_b32 v4, v12 offset:1040
.LBB531_596:                            ;   in Loop: Header=BB531_566 Depth=2
	s_or_b64 exec, exec, s[36:37]
	; wave barrier
	s_waitcnt lgkmcnt(0)
	s_barrier
	ds_read2_b32 v[14:15], v105 offset1:1
	ds_read2_b32 v[12:13], v104 offset1:1
	ds_read_b32 v19, v48 offset:1056
	s_waitcnt lgkmcnt(1)
	v_add3_u32 v130, v15, v14, v12
	s_waitcnt lgkmcnt(0)
	v_add3_u32 v19, v130, v13, v19
	s_nop 1
	v_mov_b32_dpp v130, v19 row_shr:1 row_mask:0xf bank_mask:0xf
	v_cndmask_b32_e64 v130, v130, 0, s[16:17]
	v_add_u32_e32 v19, v130, v19
	s_nop 1
	v_mov_b32_dpp v130, v19 row_shr:2 row_mask:0xf bank_mask:0xf
	v_cndmask_b32_e64 v130, 0, v130, s[18:19]
	v_add_u32_e32 v19, v19, v130
	;; [unrolled: 4-line block ×4, first 2 shown]
	s_nop 1
	v_mov_b32_dpp v130, v19 row_bcast:15 row_mask:0xf bank_mask:0xf
	v_cndmask_b32_e64 v130, v130, 0, s[24:25]
	v_add_u32_e32 v19, v19, v130
	s_nop 1
	v_mov_b32_dpp v130, v19 row_bcast:31 row_mask:0xf bank_mask:0xf
	v_cndmask_b32_e64 v130, 0, v130, s[26:27]
	v_add_u32_e32 v19, v19, v130
	s_and_saveexec_b64 s[36:37], s[6:7]
; %bb.597:                              ;   in Loop: Header=BB531_566 Depth=2
	ds_write_b32 v44, v19 offset:1024
; %bb.598:                              ;   in Loop: Header=BB531_566 Depth=2
	s_or_b64 exec, exec, s[36:37]
	s_waitcnt lgkmcnt(0)
	s_barrier
	s_and_saveexec_b64 s[36:37], s[8:9]
	s_cbranch_execz .LBB531_600
; %bb.599:                              ;   in Loop: Header=BB531_566 Depth=2
	ds_read_b32 v130, v49 offset:1024
	s_waitcnt lgkmcnt(0)
	s_nop 0
	v_mov_b32_dpp v131, v130 row_shr:1 row_mask:0xf bank_mask:0xf
	v_cndmask_b32_e64 v131, v131, 0, s[30:31]
	v_add_u32_e32 v130, v131, v130
	s_nop 1
	v_mov_b32_dpp v131, v130 row_shr:2 row_mask:0xf bank_mask:0xf
	v_cndmask_b32_e64 v131, 0, v131, s[34:35]
	v_add_u32_e32 v130, v130, v131
	ds_write_b32 v49, v130 offset:1024
.LBB531_600:                            ;   in Loop: Header=BB531_566 Depth=2
	s_or_b64 exec, exec, s[36:37]
	v_mov_b32_e32 v130, 0
	s_waitcnt lgkmcnt(0)
	s_barrier
	s_and_saveexec_b64 s[36:37], s[10:11]
; %bb.601:                              ;   in Loop: Header=BB531_566 Depth=2
	ds_read_b32 v130, v44 offset:1020
; %bb.602:                              ;   in Loop: Header=BB531_566 Depth=2
	s_or_b64 exec, exec, s[36:37]
	s_waitcnt lgkmcnt(0)
	v_add_u32_e32 v19, v130, v19
	ds_bpermute_b32 v19, v84, v19
	s_waitcnt lgkmcnt(0)
	v_cndmask_b32_e64 v19, v19, v130, s[28:29]
	v_cndmask_b32_e64 v19, v19, 0, s[12:13]
	v_add_u32_e32 v14, v19, v14
	v_add_u32_e32 v15, v14, v15
	;; [unrolled: 1-line block ×4, first 2 shown]
	ds_write2_b32 v105, v19, v14 offset1:1
	ds_write2_b32 v104, v15, v12 offset1:1
	ds_write_b32 v48, v13 offset:1056
	s_waitcnt lgkmcnt(0)
	s_barrier
	ds_read_b32 v12, v107 offset:1040
	ds_read_b32 v13, v111 offset:1040
	;; [unrolled: 1-line block ×9, first 2 shown]
	v_mov_b32_e32 v4, 0x800
	s_and_saveexec_b64 s[36:37], s[14:15]
; %bb.603:                              ;   in Loop: Header=BB531_566 Depth=2
	ds_read_b32 v4, v48 offset:1060
; %bb.604:                              ;   in Loop: Header=BB531_566 Depth=2
	s_or_b64 exec, exec, s[36:37]
	s_waitcnt lgkmcnt(0)
	s_barrier
	s_and_saveexec_b64 s[36:37], s[4:5]
	s_cbranch_execz .LBB531_606
; %bb.605:                              ;   in Loop: Header=BB531_566 Depth=2
	ds_read_b32 v19, v32
	s_waitcnt lgkmcnt(0)
	v_sub_u32_e32 v18, v19, v18
	ds_write_b32 v32, v18
.LBB531_606:                            ;   in Loop: Header=BB531_566 Depth=2
	s_or_b64 exec, exec, s[36:37]
	v_add_u32_e32 v105, v12, v106
	v_add3_u32 v104, v108, v31, v13
	v_lshlrev_b32_e32 v12, 2, v105
	v_add3_u32 v31, v112, v110, v14
	ds_write_b32 v12, v103 offset:1024
	v_lshlrev_b32_e32 v12, 2, v104
	v_add3_u32 v19, v116, v114, v15
	ds_write_b32 v12, v30 offset:1024
	;; [unrolled: 3-line block ×6, first 2 shown]
	v_lshlrev_b32_e32 v12, 2, v15
	ds_write_b32 v12, v123 offset:1024
	v_lshlrev_b32_e32 v12, 2, v14
	v_cmp_lt_u32_e32 vcc, v0, v102
	ds_write_b32 v12, v127 offset:1024
	s_waitcnt lgkmcnt(0)
	s_barrier
	s_and_saveexec_b64 s[38:39], vcc
	s_cbranch_execnz .LBB531_643
; %bb.607:                              ;   in Loop: Header=BB531_566 Depth=2
	s_or_b64 exec, exec, s[38:39]
	v_cmp_lt_u32_e64 s[36:37], v33, v102
	s_and_saveexec_b64 s[40:41], s[36:37]
	s_cbranch_execnz .LBB531_644
.LBB531_608:                            ;   in Loop: Header=BB531_566 Depth=2
	s_or_b64 exec, exec, s[40:41]
	v_cmp_lt_u32_e64 s[38:39], v34, v102
	s_and_saveexec_b64 s[42:43], s[38:39]
	s_cbranch_execnz .LBB531_645
.LBB531_609:                            ;   in Loop: Header=BB531_566 Depth=2
	s_or_b64 exec, exec, s[42:43]
	v_cmp_lt_u32_e64 s[40:41], v35, v102
	s_and_saveexec_b64 s[44:45], s[40:41]
	s_cbranch_execnz .LBB531_646
.LBB531_610:                            ;   in Loop: Header=BB531_566 Depth=2
	s_or_b64 exec, exec, s[44:45]
	v_cmp_lt_u32_e64 s[42:43], v38, v102
	s_and_saveexec_b64 s[46:47], s[42:43]
	s_cbranch_execnz .LBB531_647
.LBB531_611:                            ;   in Loop: Header=BB531_566 Depth=2
	s_or_b64 exec, exec, s[46:47]
	v_cmp_lt_u32_e64 s[44:45], v39, v102
	s_and_saveexec_b64 s[48:49], s[44:45]
	s_cbranch_execnz .LBB531_648
.LBB531_612:                            ;   in Loop: Header=BB531_566 Depth=2
	s_or_b64 exec, exec, s[48:49]
	v_cmp_lt_u32_e64 s[46:47], v40, v102
	s_and_saveexec_b64 s[52:53], s[46:47]
	s_cbranch_execnz .LBB531_649
.LBB531_613:                            ;   in Loop: Header=BB531_566 Depth=2
	s_or_b64 exec, exec, s[52:53]
	v_cmp_lt_u32_e64 s[48:49], v41, v102
	s_and_saveexec_b64 s[60:61], s[48:49]
	s_cbranch_execz .LBB531_615
.LBB531_614:                            ;   in Loop: Header=BB531_566 Depth=2
	ds_read_b32 v12, v49 offset:8192
	v_mov_b32_e32 v30, s69
	s_waitcnt lgkmcnt(0)
	v_lshrrev_b32_e32 v13, s77, v12
	v_and_b32_e32 v13, s70, v13
	v_lshlrev_b32_e32 v13, 2, v13
	ds_read_b32 v16, v13
	v_mov_b32_e32 v13, v3
	v_xor_b32_e32 v103, 0x7fffffff, v12
	s_waitcnt lgkmcnt(0)
	v_add_u32_e32 v12, v16, v41
	v_lshlrev_b64 v[12:13], 2, v[12:13]
	v_add_co_u32_e64 v12, s[52:53], s68, v12
	v_addc_co_u32_e64 v13, s[52:53], v30, v13, s[52:53]
	global_store_dword v[12:13], v103, off
.LBB531_615:                            ;   in Loop: Header=BB531_566 Depth=2
	s_or_b64 exec, exec, s[60:61]
	s_lshl_b64 s[52:53], s[58:59], 3
	v_mov_b32_e32 v13, s53
	v_add_co_u32_e64 v12, s[52:53], s52, v85
	v_addc_co_u32_e64 v13, s[52:53], v86, v13, s[52:53]
	v_cmp_lt_u32_e64 s[52:53], v80, v102
	s_and_saveexec_b64 s[60:61], s[52:53]
	s_xor_b64 s[52:53], exec, s[60:61]
	s_cbranch_execnz .LBB531_650
; %bb.616:                              ;   in Loop: Header=BB531_566 Depth=2
	s_or_b64 exec, exec, s[52:53]
	v_cmp_lt_u32_e64 s[52:53], v81, v102
	s_and_saveexec_b64 s[60:61], s[52:53]
	s_cbranch_execnz .LBB531_651
.LBB531_617:                            ;   in Loop: Header=BB531_566 Depth=2
	s_or_b64 exec, exec, s[60:61]
	v_cmp_lt_u32_e64 s[52:53], v82, v102
	s_and_saveexec_b64 s[60:61], s[52:53]
	s_cbranch_execnz .LBB531_652
.LBB531_618:                            ;   in Loop: Header=BB531_566 Depth=2
	s_or_b64 exec, exec, s[60:61]
	v_cmp_lt_u32_e64 s[52:53], v83, v102
	s_and_saveexec_b64 s[60:61], s[52:53]
	s_cbranch_execnz .LBB531_653
.LBB531_619:                            ;   in Loop: Header=BB531_566 Depth=2
	s_or_b64 exec, exec, s[60:61]
	v_cmp_lt_u32_e64 s[52:53], v87, v102
	s_and_saveexec_b64 s[60:61], s[52:53]
	s_cbranch_execnz .LBB531_654
.LBB531_620:                            ;   in Loop: Header=BB531_566 Depth=2
	s_or_b64 exec, exec, s[60:61]
	v_cmp_lt_u32_e64 s[52:53], v88, v102
	s_and_saveexec_b64 s[60:61], s[52:53]
	s_cbranch_execnz .LBB531_655
.LBB531_621:                            ;   in Loop: Header=BB531_566 Depth=2
	s_or_b64 exec, exec, s[60:61]
	v_cmp_lt_u32_e64 s[52:53], v89, v102
	s_and_saveexec_b64 s[60:61], s[52:53]
	s_cbranch_execnz .LBB531_656
.LBB531_622:                            ;   in Loop: Header=BB531_566 Depth=2
	s_or_b64 exec, exec, s[60:61]
	v_cmp_lt_u32_e64 s[52:53], v90, v102
	s_and_saveexec_b64 s[60:61], s[52:53]
	s_cbranch_execnz .LBB531_657
.LBB531_623:                            ;   in Loop: Header=BB531_566 Depth=2
	s_or_b64 exec, exec, s[60:61]
	s_and_saveexec_b64 s[52:53], vcc
	s_cbranch_execnz .LBB531_658
.LBB531_624:                            ;   in Loop: Header=BB531_566 Depth=2
	s_or_b64 exec, exec, s[52:53]
	s_and_saveexec_b64 s[52:53], s[36:37]
	s_cbranch_execnz .LBB531_659
.LBB531_625:                            ;   in Loop: Header=BB531_566 Depth=2
	s_or_b64 exec, exec, s[52:53]
	s_and_saveexec_b64 s[52:53], s[38:39]
	s_cbranch_execnz .LBB531_660
.LBB531_626:                            ;   in Loop: Header=BB531_566 Depth=2
	s_or_b64 exec, exec, s[52:53]
	s_and_saveexec_b64 s[52:53], s[40:41]
	s_cbranch_execnz .LBB531_661
.LBB531_627:                            ;   in Loop: Header=BB531_566 Depth=2
	s_or_b64 exec, exec, s[52:53]
	s_and_saveexec_b64 s[52:53], s[42:43]
	s_cbranch_execnz .LBB531_662
.LBB531_628:                            ;   in Loop: Header=BB531_566 Depth=2
	s_or_b64 exec, exec, s[52:53]
	s_and_saveexec_b64 s[52:53], s[44:45]
	s_cbranch_execnz .LBB531_663
.LBB531_629:                            ;   in Loop: Header=BB531_566 Depth=2
	s_or_b64 exec, exec, s[52:53]
	s_and_saveexec_b64 s[52:53], s[46:47]
	s_cbranch_execnz .LBB531_664
.LBB531_630:                            ;   in Loop: Header=BB531_566 Depth=2
	s_or_b64 exec, exec, s[52:53]
	s_and_saveexec_b64 s[52:53], s[48:49]
	s_cbranch_execz .LBB531_632
.LBB531_631:                            ;   in Loop: Header=BB531_566 Depth=2
	ds_read_b32 v12, v49 offset:8192
	s_waitcnt lgkmcnt(0)
	v_lshrrev_b32_e32 v12, s77, v12
	v_and_b32_e32 v91, s70, v12
.LBB531_632:                            ;   in Loop: Header=BB531_566 Depth=2
	s_or_b64 exec, exec, s[52:53]
	v_lshlrev_b32_e32 v12, 3, v105
	s_waitcnt vmcnt(0)
	s_barrier
	ds_write_b64 v12, v[28:29] offset:1024
	v_lshlrev_b32_e32 v12, 3, v104
	ds_write_b64 v12, v[26:27] offset:1024
	v_lshlrev_b32_e32 v12, 3, v31
	;; [unrolled: 2-line block ×7, first 2 shown]
	ds_write_b64 v12, v[5:6] offset:1024
	v_add_u32_e32 v12, v49, v32
	s_waitcnt lgkmcnt(0)
	s_barrier
	s_and_saveexec_b64 s[52:53], vcc
	s_cbranch_execnz .LBB531_665
; %bb.633:                              ;   in Loop: Header=BB531_566 Depth=2
	s_or_b64 exec, exec, s[52:53]
	s_and_saveexec_b64 s[52:53], s[36:37]
	s_cbranch_execnz .LBB531_666
.LBB531_634:                            ;   in Loop: Header=BB531_566 Depth=2
	s_or_b64 exec, exec, s[52:53]
	s_and_saveexec_b64 s[36:37], s[38:39]
	s_cbranch_execnz .LBB531_667
.LBB531_635:                            ;   in Loop: Header=BB531_566 Depth=2
	s_or_b64 exec, exec, s[36:37]
	s_and_saveexec_b64 s[36:37], s[40:41]
	s_cbranch_execnz .LBB531_668
.LBB531_636:                            ;   in Loop: Header=BB531_566 Depth=2
	s_or_b64 exec, exec, s[36:37]
	s_and_saveexec_b64 s[36:37], s[42:43]
	s_cbranch_execnz .LBB531_669
.LBB531_637:                            ;   in Loop: Header=BB531_566 Depth=2
	s_or_b64 exec, exec, s[36:37]
	s_and_saveexec_b64 s[36:37], s[44:45]
	s_cbranch_execnz .LBB531_670
.LBB531_638:                            ;   in Loop: Header=BB531_566 Depth=2
	s_or_b64 exec, exec, s[36:37]
	s_and_saveexec_b64 s[36:37], s[46:47]
	s_cbranch_execnz .LBB531_671
.LBB531_639:                            ;   in Loop: Header=BB531_566 Depth=2
	s_or_b64 exec, exec, s[36:37]
	s_and_saveexec_b64 s[36:37], s[48:49]
	s_cbranch_execz .LBB531_641
.LBB531_640:                            ;   in Loop: Header=BB531_566 Depth=2
	v_lshlrev_b32_e32 v13, 2, v91
	ds_read_b32 v14, v13
	ds_read_b64 v[12:13], v12 offset:15360
	v_mov_b32_e32 v15, v3
	v_mov_b32_e32 v16, s75
	s_waitcnt lgkmcnt(1)
	v_add_u32_e32 v14, v14, v41
	v_lshlrev_b64 v[14:15], 3, v[14:15]
	v_add_co_u32_e32 v14, vcc, s74, v14
	v_addc_co_u32_e32 v15, vcc, v16, v15, vcc
	s_waitcnt lgkmcnt(0)
	global_store_dwordx2 v[14:15], v[12:13], off
.LBB531_641:                            ;   in Loop: Header=BB531_566 Depth=2
	s_or_b64 exec, exec, s[36:37]
	s_waitcnt vmcnt(0)
	s_barrier
	s_and_saveexec_b64 s[36:37], s[4:5]
	s_cbranch_execz .LBB531_565
; %bb.642:                              ;   in Loop: Header=BB531_566 Depth=2
	ds_read_b32 v12, v32
	s_waitcnt lgkmcnt(0)
	v_add_u32_e32 v4, v12, v4
	ds_write_b32 v32, v4
	s_branch .LBB531_565
.LBB531_643:                            ;   in Loop: Header=BB531_566 Depth=2
	ds_read_b32 v12, v49 offset:1024
	v_mov_b32_e32 v30, s69
	s_waitcnt lgkmcnt(0)
	v_lshrrev_b32_e32 v13, s77, v12
	v_and_b32_e32 v13, s70, v13
	v_lshlrev_b32_e32 v13, 2, v13
	ds_read_b32 v16, v13
	v_mov_b32_e32 v13, v3
	v_xor_b32_e32 v103, 0x7fffffff, v12
	s_waitcnt lgkmcnt(0)
	v_add_u32_e32 v12, v16, v0
	v_lshlrev_b64 v[12:13], 2, v[12:13]
	v_add_co_u32_e64 v12, s[36:37], s68, v12
	v_addc_co_u32_e64 v13, s[36:37], v30, v13, s[36:37]
	global_store_dword v[12:13], v103, off
	s_or_b64 exec, exec, s[38:39]
	v_cmp_lt_u32_e64 s[36:37], v33, v102
	s_and_saveexec_b64 s[40:41], s[36:37]
	s_cbranch_execz .LBB531_608
.LBB531_644:                            ;   in Loop: Header=BB531_566 Depth=2
	ds_read_b32 v12, v49 offset:2048
	v_mov_b32_e32 v30, s69
	s_waitcnt lgkmcnt(0)
	v_lshrrev_b32_e32 v13, s77, v12
	v_and_b32_e32 v13, s70, v13
	v_lshlrev_b32_e32 v13, 2, v13
	ds_read_b32 v16, v13
	v_mov_b32_e32 v13, v3
	v_xor_b32_e32 v103, 0x7fffffff, v12
	s_waitcnt lgkmcnt(0)
	v_add_u32_e32 v12, v16, v33
	v_lshlrev_b64 v[12:13], 2, v[12:13]
	v_add_co_u32_e64 v12, s[38:39], s68, v12
	v_addc_co_u32_e64 v13, s[38:39], v30, v13, s[38:39]
	global_store_dword v[12:13], v103, off
	s_or_b64 exec, exec, s[40:41]
	v_cmp_lt_u32_e64 s[38:39], v34, v102
	s_and_saveexec_b64 s[42:43], s[38:39]
	s_cbranch_execz .LBB531_609
.LBB531_645:                            ;   in Loop: Header=BB531_566 Depth=2
	ds_read_b32 v12, v49 offset:3072
	v_mov_b32_e32 v30, s69
	s_waitcnt lgkmcnt(0)
	v_lshrrev_b32_e32 v13, s77, v12
	v_and_b32_e32 v13, s70, v13
	v_lshlrev_b32_e32 v13, 2, v13
	ds_read_b32 v16, v13
	v_mov_b32_e32 v13, v3
	v_xor_b32_e32 v103, 0x7fffffff, v12
	s_waitcnt lgkmcnt(0)
	v_add_u32_e32 v12, v16, v34
	v_lshlrev_b64 v[12:13], 2, v[12:13]
	v_add_co_u32_e64 v12, s[40:41], s68, v12
	v_addc_co_u32_e64 v13, s[40:41], v30, v13, s[40:41]
	global_store_dword v[12:13], v103, off
	s_or_b64 exec, exec, s[42:43]
	v_cmp_lt_u32_e64 s[40:41], v35, v102
	s_and_saveexec_b64 s[44:45], s[40:41]
	s_cbranch_execz .LBB531_610
.LBB531_646:                            ;   in Loop: Header=BB531_566 Depth=2
	ds_read_b32 v12, v49 offset:4096
	v_mov_b32_e32 v30, s69
	s_waitcnt lgkmcnt(0)
	v_lshrrev_b32_e32 v13, s77, v12
	v_and_b32_e32 v13, s70, v13
	v_lshlrev_b32_e32 v13, 2, v13
	ds_read_b32 v16, v13
	v_mov_b32_e32 v13, v3
	v_xor_b32_e32 v103, 0x7fffffff, v12
	s_waitcnt lgkmcnt(0)
	v_add_u32_e32 v12, v16, v35
	v_lshlrev_b64 v[12:13], 2, v[12:13]
	v_add_co_u32_e64 v12, s[42:43], s68, v12
	v_addc_co_u32_e64 v13, s[42:43], v30, v13, s[42:43]
	global_store_dword v[12:13], v103, off
	s_or_b64 exec, exec, s[44:45]
	v_cmp_lt_u32_e64 s[42:43], v38, v102
	s_and_saveexec_b64 s[46:47], s[42:43]
	s_cbranch_execz .LBB531_611
.LBB531_647:                            ;   in Loop: Header=BB531_566 Depth=2
	ds_read_b32 v12, v49 offset:5120
	v_mov_b32_e32 v30, s69
	s_waitcnt lgkmcnt(0)
	v_lshrrev_b32_e32 v13, s77, v12
	v_and_b32_e32 v13, s70, v13
	v_lshlrev_b32_e32 v13, 2, v13
	ds_read_b32 v16, v13
	v_mov_b32_e32 v13, v3
	v_xor_b32_e32 v103, 0x7fffffff, v12
	s_waitcnt lgkmcnt(0)
	v_add_u32_e32 v12, v16, v38
	v_lshlrev_b64 v[12:13], 2, v[12:13]
	v_add_co_u32_e64 v12, s[44:45], s68, v12
	v_addc_co_u32_e64 v13, s[44:45], v30, v13, s[44:45]
	global_store_dword v[12:13], v103, off
	s_or_b64 exec, exec, s[46:47]
	v_cmp_lt_u32_e64 s[44:45], v39, v102
	s_and_saveexec_b64 s[48:49], s[44:45]
	s_cbranch_execz .LBB531_612
.LBB531_648:                            ;   in Loop: Header=BB531_566 Depth=2
	ds_read_b32 v12, v49 offset:6144
	v_mov_b32_e32 v30, s69
	s_waitcnt lgkmcnt(0)
	v_lshrrev_b32_e32 v13, s77, v12
	v_and_b32_e32 v13, s70, v13
	v_lshlrev_b32_e32 v13, 2, v13
	ds_read_b32 v16, v13
	v_mov_b32_e32 v13, v3
	v_xor_b32_e32 v103, 0x7fffffff, v12
	s_waitcnt lgkmcnt(0)
	v_add_u32_e32 v12, v16, v39
	v_lshlrev_b64 v[12:13], 2, v[12:13]
	v_add_co_u32_e64 v12, s[46:47], s68, v12
	v_addc_co_u32_e64 v13, s[46:47], v30, v13, s[46:47]
	global_store_dword v[12:13], v103, off
	s_or_b64 exec, exec, s[48:49]
	v_cmp_lt_u32_e64 s[46:47], v40, v102
	s_and_saveexec_b64 s[52:53], s[46:47]
	s_cbranch_execz .LBB531_613
.LBB531_649:                            ;   in Loop: Header=BB531_566 Depth=2
	ds_read_b32 v12, v49 offset:7168
	v_mov_b32_e32 v30, s69
	s_waitcnt lgkmcnt(0)
	v_lshrrev_b32_e32 v13, s77, v12
	v_and_b32_e32 v13, s70, v13
	v_lshlrev_b32_e32 v13, 2, v13
	ds_read_b32 v16, v13
	v_mov_b32_e32 v13, v3
	v_xor_b32_e32 v103, 0x7fffffff, v12
	s_waitcnt lgkmcnt(0)
	v_add_u32_e32 v12, v16, v40
	v_lshlrev_b64 v[12:13], 2, v[12:13]
	v_add_co_u32_e64 v12, s[48:49], s68, v12
	v_addc_co_u32_e64 v13, s[48:49], v30, v13, s[48:49]
	global_store_dword v[12:13], v103, off
	s_or_b64 exec, exec, s[52:53]
	v_cmp_lt_u32_e64 s[48:49], v41, v102
	s_and_saveexec_b64 s[60:61], s[48:49]
	s_cbranch_execnz .LBB531_614
	s_branch .LBB531_615
.LBB531_650:                            ;   in Loop: Header=BB531_566 Depth=2
	global_load_dwordx2 v[28:29], v[12:13], off
	s_or_b64 exec, exec, s[52:53]
	v_cmp_lt_u32_e64 s[52:53], v81, v102
	s_and_saveexec_b64 s[60:61], s[52:53]
	s_cbranch_execz .LBB531_617
.LBB531_651:                            ;   in Loop: Header=BB531_566 Depth=2
	global_load_dwordx2 v[26:27], v[12:13], off offset:512
	s_or_b64 exec, exec, s[60:61]
	v_cmp_lt_u32_e64 s[52:53], v82, v102
	s_and_saveexec_b64 s[60:61], s[52:53]
	s_cbranch_execz .LBB531_618
.LBB531_652:                            ;   in Loop: Header=BB531_566 Depth=2
	global_load_dwordx2 v[24:25], v[12:13], off offset:1024
	s_or_b64 exec, exec, s[60:61]
	v_cmp_lt_u32_e64 s[52:53], v83, v102
	s_and_saveexec_b64 s[60:61], s[52:53]
	s_cbranch_execz .LBB531_619
.LBB531_653:                            ;   in Loop: Header=BB531_566 Depth=2
	global_load_dwordx2 v[22:23], v[12:13], off offset:1536
	s_or_b64 exec, exec, s[60:61]
	v_cmp_lt_u32_e64 s[52:53], v87, v102
	s_and_saveexec_b64 s[60:61], s[52:53]
	s_cbranch_execz .LBB531_620
.LBB531_654:                            ;   in Loop: Header=BB531_566 Depth=2
	global_load_dwordx2 v[20:21], v[12:13], off offset:2048
	s_or_b64 exec, exec, s[60:61]
	v_cmp_lt_u32_e64 s[52:53], v88, v102
	s_and_saveexec_b64 s[60:61], s[52:53]
	s_cbranch_execz .LBB531_621
.LBB531_655:                            ;   in Loop: Header=BB531_566 Depth=2
	global_load_dwordx2 v[9:10], v[12:13], off offset:2560
	s_or_b64 exec, exec, s[60:61]
	v_cmp_lt_u32_e64 s[52:53], v89, v102
	s_and_saveexec_b64 s[60:61], s[52:53]
	s_cbranch_execz .LBB531_622
.LBB531_656:                            ;   in Loop: Header=BB531_566 Depth=2
	global_load_dwordx2 v[7:8], v[12:13], off offset:3072
	s_or_b64 exec, exec, s[60:61]
	v_cmp_lt_u32_e64 s[52:53], v90, v102
	s_and_saveexec_b64 s[60:61], s[52:53]
	s_cbranch_execz .LBB531_623
.LBB531_657:                            ;   in Loop: Header=BB531_566 Depth=2
	global_load_dwordx2 v[5:6], v[12:13], off offset:3584
	s_or_b64 exec, exec, s[60:61]
	s_and_saveexec_b64 s[52:53], vcc
	s_cbranch_execz .LBB531_624
.LBB531_658:                            ;   in Loop: Header=BB531_566 Depth=2
	ds_read_b32 v12, v49 offset:1024
	s_waitcnt lgkmcnt(0)
	v_lshrrev_b32_e32 v12, s77, v12
	v_and_b32_e32 v99, s70, v12
	s_or_b64 exec, exec, s[52:53]
	s_and_saveexec_b64 s[52:53], s[36:37]
	s_cbranch_execz .LBB531_625
.LBB531_659:                            ;   in Loop: Header=BB531_566 Depth=2
	ds_read_b32 v12, v49 offset:2048
	s_waitcnt lgkmcnt(0)
	v_lshrrev_b32_e32 v12, s77, v12
	v_and_b32_e32 v97, s70, v12
	s_or_b64 exec, exec, s[52:53]
	s_and_saveexec_b64 s[52:53], s[38:39]
	s_cbranch_execz .LBB531_626
.LBB531_660:                            ;   in Loop: Header=BB531_566 Depth=2
	ds_read_b32 v12, v49 offset:3072
	s_waitcnt lgkmcnt(0)
	v_lshrrev_b32_e32 v12, s77, v12
	v_and_b32_e32 v96, s70, v12
	s_or_b64 exec, exec, s[52:53]
	s_and_saveexec_b64 s[52:53], s[40:41]
	s_cbranch_execz .LBB531_627
.LBB531_661:                            ;   in Loop: Header=BB531_566 Depth=2
	ds_read_b32 v12, v49 offset:4096
	s_waitcnt lgkmcnt(0)
	v_lshrrev_b32_e32 v12, s77, v12
	v_and_b32_e32 v95, s70, v12
	s_or_b64 exec, exec, s[52:53]
	s_and_saveexec_b64 s[52:53], s[42:43]
	s_cbranch_execz .LBB531_628
.LBB531_662:                            ;   in Loop: Header=BB531_566 Depth=2
	ds_read_b32 v12, v49 offset:5120
	s_waitcnt lgkmcnt(0)
	v_lshrrev_b32_e32 v12, s77, v12
	v_and_b32_e32 v94, s70, v12
	s_or_b64 exec, exec, s[52:53]
	s_and_saveexec_b64 s[52:53], s[44:45]
	s_cbranch_execz .LBB531_629
.LBB531_663:                            ;   in Loop: Header=BB531_566 Depth=2
	ds_read_b32 v12, v49 offset:6144
	s_waitcnt lgkmcnt(0)
	v_lshrrev_b32_e32 v12, s77, v12
	v_and_b32_e32 v93, s70, v12
	s_or_b64 exec, exec, s[52:53]
	s_and_saveexec_b64 s[52:53], s[46:47]
	s_cbranch_execz .LBB531_630
.LBB531_664:                            ;   in Loop: Header=BB531_566 Depth=2
	ds_read_b32 v12, v49 offset:7168
	s_waitcnt lgkmcnt(0)
	v_lshrrev_b32_e32 v12, s77, v12
	v_and_b32_e32 v92, s70, v12
	s_or_b64 exec, exec, s[52:53]
	s_and_saveexec_b64 s[52:53], s[48:49]
	s_cbranch_execnz .LBB531_631
	s_branch .LBB531_632
.LBB531_665:                            ;   in Loop: Header=BB531_566 Depth=2
	v_lshlrev_b32_e32 v13, 2, v99
	ds_read_b32 v15, v13
	ds_read_b64 v[13:14], v12 offset:1024
	v_mov_b32_e32 v16, v3
	v_mov_b32_e32 v17, s75
	s_waitcnt lgkmcnt(1)
	v_add_u32_e32 v15, v15, v0
	v_lshlrev_b64 v[15:16], 3, v[15:16]
	v_add_co_u32_e32 v15, vcc, s74, v15
	v_addc_co_u32_e32 v16, vcc, v17, v16, vcc
	s_waitcnt lgkmcnt(0)
	global_store_dwordx2 v[15:16], v[13:14], off
	s_or_b64 exec, exec, s[52:53]
	s_and_saveexec_b64 s[52:53], s[36:37]
	s_cbranch_execz .LBB531_634
.LBB531_666:                            ;   in Loop: Header=BB531_566 Depth=2
	v_lshlrev_b32_e32 v13, 2, v97
	ds_read_b32 v15, v13
	ds_read_b64 v[13:14], v12 offset:3072
	v_mov_b32_e32 v16, v3
	v_mov_b32_e32 v17, s75
	s_waitcnt lgkmcnt(1)
	v_add_u32_e32 v15, v15, v33
	v_lshlrev_b64 v[15:16], 3, v[15:16]
	v_add_co_u32_e32 v15, vcc, s74, v15
	v_addc_co_u32_e32 v16, vcc, v17, v16, vcc
	s_waitcnt lgkmcnt(0)
	global_store_dwordx2 v[15:16], v[13:14], off
	s_or_b64 exec, exec, s[52:53]
	s_and_saveexec_b64 s[36:37], s[38:39]
	s_cbranch_execz .LBB531_635
.LBB531_667:                            ;   in Loop: Header=BB531_566 Depth=2
	v_lshlrev_b32_e32 v13, 2, v96
	ds_read_b32 v15, v13
	ds_read_b64 v[13:14], v12 offset:5120
	v_mov_b32_e32 v16, v3
	v_mov_b32_e32 v17, s75
	s_waitcnt lgkmcnt(1)
	v_add_u32_e32 v15, v15, v34
	v_lshlrev_b64 v[15:16], 3, v[15:16]
	v_add_co_u32_e32 v15, vcc, s74, v15
	v_addc_co_u32_e32 v16, vcc, v17, v16, vcc
	s_waitcnt lgkmcnt(0)
	global_store_dwordx2 v[15:16], v[13:14], off
	s_or_b64 exec, exec, s[36:37]
	s_and_saveexec_b64 s[36:37], s[40:41]
	s_cbranch_execz .LBB531_636
.LBB531_668:                            ;   in Loop: Header=BB531_566 Depth=2
	v_lshlrev_b32_e32 v13, 2, v95
	ds_read_b32 v15, v13
	ds_read_b64 v[13:14], v12 offset:7168
	v_mov_b32_e32 v16, v3
	v_mov_b32_e32 v17, s75
	s_waitcnt lgkmcnt(1)
	v_add_u32_e32 v15, v15, v35
	v_lshlrev_b64 v[15:16], 3, v[15:16]
	v_add_co_u32_e32 v15, vcc, s74, v15
	v_addc_co_u32_e32 v16, vcc, v17, v16, vcc
	s_waitcnt lgkmcnt(0)
	global_store_dwordx2 v[15:16], v[13:14], off
	s_or_b64 exec, exec, s[36:37]
	s_and_saveexec_b64 s[36:37], s[42:43]
	s_cbranch_execz .LBB531_637
.LBB531_669:                            ;   in Loop: Header=BB531_566 Depth=2
	v_lshlrev_b32_e32 v13, 2, v94
	ds_read_b32 v15, v13
	ds_read_b64 v[13:14], v12 offset:9216
	v_mov_b32_e32 v16, v3
	v_mov_b32_e32 v17, s75
	s_waitcnt lgkmcnt(1)
	v_add_u32_e32 v15, v15, v38
	v_lshlrev_b64 v[15:16], 3, v[15:16]
	v_add_co_u32_e32 v15, vcc, s74, v15
	v_addc_co_u32_e32 v16, vcc, v17, v16, vcc
	s_waitcnt lgkmcnt(0)
	global_store_dwordx2 v[15:16], v[13:14], off
	s_or_b64 exec, exec, s[36:37]
	s_and_saveexec_b64 s[36:37], s[44:45]
	s_cbranch_execz .LBB531_638
.LBB531_670:                            ;   in Loop: Header=BB531_566 Depth=2
	v_lshlrev_b32_e32 v13, 2, v93
	ds_read_b32 v15, v13
	ds_read_b64 v[13:14], v12 offset:11264
	v_mov_b32_e32 v16, v3
	v_mov_b32_e32 v17, s75
	s_waitcnt lgkmcnt(1)
	v_add_u32_e32 v15, v15, v39
	v_lshlrev_b64 v[15:16], 3, v[15:16]
	v_add_co_u32_e32 v15, vcc, s74, v15
	v_addc_co_u32_e32 v16, vcc, v17, v16, vcc
	s_waitcnt lgkmcnt(0)
	global_store_dwordx2 v[15:16], v[13:14], off
	s_or_b64 exec, exec, s[36:37]
	s_and_saveexec_b64 s[36:37], s[46:47]
	s_cbranch_execz .LBB531_639
.LBB531_671:                            ;   in Loop: Header=BB531_566 Depth=2
	v_lshlrev_b32_e32 v13, 2, v92
	ds_read_b32 v15, v13
	ds_read_b64 v[13:14], v12 offset:13312
	v_mov_b32_e32 v16, v3
	v_mov_b32_e32 v17, s75
	s_waitcnt lgkmcnt(1)
	v_add_u32_e32 v15, v15, v40
	v_lshlrev_b64 v[15:16], 3, v[15:16]
	v_add_co_u32_e32 v15, vcc, s74, v15
	v_addc_co_u32_e32 v16, vcc, v17, v16, vcc
	s_waitcnt lgkmcnt(0)
	global_store_dwordx2 v[15:16], v[13:14], off
	s_or_b64 exec, exec, s[36:37]
	s_and_saveexec_b64 s[36:37], s[48:49]
	s_cbranch_execnz .LBB531_640
	s_branch .LBB531_641
.LBB531_672:                            ;   in Loop: Header=BB531_566 Depth=2
	global_load_dword v12, v[30:31], off
	v_mov_b32_e32 v13, v11
	v_mov_b32_e32 v14, v11
	;; [unrolled: 1-line block ×7, first 2 shown]
	s_or_b64 exec, exec, s[36:37]
	v_cmp_gt_u32_e32 vcc, s71, v81
	s_and_saveexec_b64 s[36:37], vcc
	s_cbranch_execz .LBB531_571
.LBB531_673:                            ;   in Loop: Header=BB531_566 Depth=2
	global_load_dword v13, v[30:31], off offset:256
	s_or_b64 exec, exec, s[36:37]
	v_cmp_gt_u32_e32 vcc, s71, v82
	s_and_saveexec_b64 s[36:37], vcc
	s_cbranch_execz .LBB531_572
.LBB531_674:                            ;   in Loop: Header=BB531_566 Depth=2
	global_load_dword v14, v[30:31], off offset:512
	s_or_b64 exec, exec, s[36:37]
	v_cmp_gt_u32_e32 vcc, s71, v83
	s_and_saveexec_b64 s[36:37], vcc
	s_cbranch_execz .LBB531_573
.LBB531_675:                            ;   in Loop: Header=BB531_566 Depth=2
	global_load_dword v15, v[30:31], off offset:768
	s_or_b64 exec, exec, s[36:37]
	v_cmp_gt_u32_e32 vcc, s71, v87
	s_and_saveexec_b64 s[36:37], vcc
	s_cbranch_execz .LBB531_574
.LBB531_676:                            ;   in Loop: Header=BB531_566 Depth=2
	global_load_dword v16, v[30:31], off offset:1024
	s_or_b64 exec, exec, s[36:37]
	v_cmp_gt_u32_e32 vcc, s71, v88
	s_and_saveexec_b64 s[36:37], vcc
	s_cbranch_execz .LBB531_575
.LBB531_677:                            ;   in Loop: Header=BB531_566 Depth=2
	global_load_dword v17, v[30:31], off offset:1280
	s_or_b64 exec, exec, s[36:37]
	v_cmp_gt_u32_e32 vcc, s71, v89
	s_and_saveexec_b64 s[36:37], vcc
	s_cbranch_execnz .LBB531_576
	s_branch .LBB531_577
.LBB531_678:
	s_endpgm
	.section	.rodata,"a",@progbits
	.p2align	6, 0x0
	.amdhsa_kernel _ZN7rocprim17ROCPRIM_400000_NS6detail17trampoline_kernelINS0_14default_configENS1_36segmented_radix_sort_config_selectorIilEEZNS1_25segmented_radix_sort_implIS3_Lb1EPKiPiPKlPlN2at6native12_GLOBAL__N_18offset_tEEE10hipError_tPvRmT1_PNSt15iterator_traitsISK_E10value_typeET2_T3_PNSL_ISQ_E10value_typeET4_jRbjT5_SW_jjP12ihipStream_tbEUlT_E2_NS1_11comp_targetILNS1_3genE2ELNS1_11target_archE906ELNS1_3gpuE6ELNS1_3repE0EEENS1_30default_config_static_selectorELNS0_4arch9wavefront6targetE1EEEvSK_
		.amdhsa_group_segment_fixed_size 17424
		.amdhsa_private_segment_fixed_size 0
		.amdhsa_kernarg_size 336
		.amdhsa_user_sgpr_count 6
		.amdhsa_user_sgpr_private_segment_buffer 1
		.amdhsa_user_sgpr_dispatch_ptr 0
		.amdhsa_user_sgpr_queue_ptr 0
		.amdhsa_user_sgpr_kernarg_segment_ptr 1
		.amdhsa_user_sgpr_dispatch_id 0
		.amdhsa_user_sgpr_flat_scratch_init 0
		.amdhsa_user_sgpr_private_segment_size 0
		.amdhsa_uses_dynamic_stack 0
		.amdhsa_system_sgpr_private_segment_wavefront_offset 0
		.amdhsa_system_sgpr_workgroup_id_x 1
		.amdhsa_system_sgpr_workgroup_id_y 1
		.amdhsa_system_sgpr_workgroup_id_z 0
		.amdhsa_system_sgpr_workgroup_info 0
		.amdhsa_system_vgpr_workitem_id 2
		.amdhsa_next_free_vgpr 177
		.amdhsa_next_free_sgpr 98
		.amdhsa_reserve_vcc 1
		.amdhsa_reserve_flat_scratch 0
		.amdhsa_float_round_mode_32 0
		.amdhsa_float_round_mode_16_64 0
		.amdhsa_float_denorm_mode_32 3
		.amdhsa_float_denorm_mode_16_64 3
		.amdhsa_dx10_clamp 1
		.amdhsa_ieee_mode 1
		.amdhsa_fp16_overflow 0
		.amdhsa_exception_fp_ieee_invalid_op 0
		.amdhsa_exception_fp_denorm_src 0
		.amdhsa_exception_fp_ieee_div_zero 0
		.amdhsa_exception_fp_ieee_overflow 0
		.amdhsa_exception_fp_ieee_underflow 0
		.amdhsa_exception_fp_ieee_inexact 0
		.amdhsa_exception_int_div_zero 0
	.end_amdhsa_kernel
	.section	.text._ZN7rocprim17ROCPRIM_400000_NS6detail17trampoline_kernelINS0_14default_configENS1_36segmented_radix_sort_config_selectorIilEEZNS1_25segmented_radix_sort_implIS3_Lb1EPKiPiPKlPlN2at6native12_GLOBAL__N_18offset_tEEE10hipError_tPvRmT1_PNSt15iterator_traitsISK_E10value_typeET2_T3_PNSL_ISQ_E10value_typeET4_jRbjT5_SW_jjP12ihipStream_tbEUlT_E2_NS1_11comp_targetILNS1_3genE2ELNS1_11target_archE906ELNS1_3gpuE6ELNS1_3repE0EEENS1_30default_config_static_selectorELNS0_4arch9wavefront6targetE1EEEvSK_,"axG",@progbits,_ZN7rocprim17ROCPRIM_400000_NS6detail17trampoline_kernelINS0_14default_configENS1_36segmented_radix_sort_config_selectorIilEEZNS1_25segmented_radix_sort_implIS3_Lb1EPKiPiPKlPlN2at6native12_GLOBAL__N_18offset_tEEE10hipError_tPvRmT1_PNSt15iterator_traitsISK_E10value_typeET2_T3_PNSL_ISQ_E10value_typeET4_jRbjT5_SW_jjP12ihipStream_tbEUlT_E2_NS1_11comp_targetILNS1_3genE2ELNS1_11target_archE906ELNS1_3gpuE6ELNS1_3repE0EEENS1_30default_config_static_selectorELNS0_4arch9wavefront6targetE1EEEvSK_,comdat
.Lfunc_end531:
	.size	_ZN7rocprim17ROCPRIM_400000_NS6detail17trampoline_kernelINS0_14default_configENS1_36segmented_radix_sort_config_selectorIilEEZNS1_25segmented_radix_sort_implIS3_Lb1EPKiPiPKlPlN2at6native12_GLOBAL__N_18offset_tEEE10hipError_tPvRmT1_PNSt15iterator_traitsISK_E10value_typeET2_T3_PNSL_ISQ_E10value_typeET4_jRbjT5_SW_jjP12ihipStream_tbEUlT_E2_NS1_11comp_targetILNS1_3genE2ELNS1_11target_archE906ELNS1_3gpuE6ELNS1_3repE0EEENS1_30default_config_static_selectorELNS0_4arch9wavefront6targetE1EEEvSK_, .Lfunc_end531-_ZN7rocprim17ROCPRIM_400000_NS6detail17trampoline_kernelINS0_14default_configENS1_36segmented_radix_sort_config_selectorIilEEZNS1_25segmented_radix_sort_implIS3_Lb1EPKiPiPKlPlN2at6native12_GLOBAL__N_18offset_tEEE10hipError_tPvRmT1_PNSt15iterator_traitsISK_E10value_typeET2_T3_PNSL_ISQ_E10value_typeET4_jRbjT5_SW_jjP12ihipStream_tbEUlT_E2_NS1_11comp_targetILNS1_3genE2ELNS1_11target_archE906ELNS1_3gpuE6ELNS1_3repE0EEENS1_30default_config_static_selectorELNS0_4arch9wavefront6targetE1EEEvSK_
                                        ; -- End function
	.set _ZN7rocprim17ROCPRIM_400000_NS6detail17trampoline_kernelINS0_14default_configENS1_36segmented_radix_sort_config_selectorIilEEZNS1_25segmented_radix_sort_implIS3_Lb1EPKiPiPKlPlN2at6native12_GLOBAL__N_18offset_tEEE10hipError_tPvRmT1_PNSt15iterator_traitsISK_E10value_typeET2_T3_PNSL_ISQ_E10value_typeET4_jRbjT5_SW_jjP12ihipStream_tbEUlT_E2_NS1_11comp_targetILNS1_3genE2ELNS1_11target_archE906ELNS1_3gpuE6ELNS1_3repE0EEENS1_30default_config_static_selectorELNS0_4arch9wavefront6targetE1EEEvSK_.num_vgpr, max(132, .L_ZN7rocprim17ROCPRIM_400000_NS6detail26segmented_warp_sort_helperINS1_20WarpSortHelperConfigILj8ELj4ELj256EEEilLi256ELb1EvE4sortIPKiPiPKlPlEEvT_T0_T1_T2_jjjjRNS5_12storage_typeE.num_vgpr, .L_ZN7rocprim17ROCPRIM_400000_NS6detail40segmented_radix_sort_single_block_helperIilLj256ELj8ELb1EE4sortIPKiPiPKlPlEEbT_T0_T1_T2_jjjjRNS3_12storage_typeE.num_vgpr)
	.set _ZN7rocprim17ROCPRIM_400000_NS6detail17trampoline_kernelINS0_14default_configENS1_36segmented_radix_sort_config_selectorIilEEZNS1_25segmented_radix_sort_implIS3_Lb1EPKiPiPKlPlN2at6native12_GLOBAL__N_18offset_tEEE10hipError_tPvRmT1_PNSt15iterator_traitsISK_E10value_typeET2_T3_PNSL_ISQ_E10value_typeET4_jRbjT5_SW_jjP12ihipStream_tbEUlT_E2_NS1_11comp_targetILNS1_3genE2ELNS1_11target_archE906ELNS1_3gpuE6ELNS1_3repE0EEENS1_30default_config_static_selectorELNS0_4arch9wavefront6targetE1EEEvSK_.num_agpr, max(0, .L_ZN7rocprim17ROCPRIM_400000_NS6detail26segmented_warp_sort_helperINS1_20WarpSortHelperConfigILj8ELj4ELj256EEEilLi256ELb1EvE4sortIPKiPiPKlPlEEvT_T0_T1_T2_jjjjRNS5_12storage_typeE.num_agpr, .L_ZN7rocprim17ROCPRIM_400000_NS6detail40segmented_radix_sort_single_block_helperIilLj256ELj8ELb1EE4sortIPKiPiPKlPlEEbT_T0_T1_T2_jjjjRNS3_12storage_typeE.num_agpr)
	.set _ZN7rocprim17ROCPRIM_400000_NS6detail17trampoline_kernelINS0_14default_configENS1_36segmented_radix_sort_config_selectorIilEEZNS1_25segmented_radix_sort_implIS3_Lb1EPKiPiPKlPlN2at6native12_GLOBAL__N_18offset_tEEE10hipError_tPvRmT1_PNSt15iterator_traitsISK_E10value_typeET2_T3_PNSL_ISQ_E10value_typeET4_jRbjT5_SW_jjP12ihipStream_tbEUlT_E2_NS1_11comp_targetILNS1_3genE2ELNS1_11target_archE906ELNS1_3gpuE6ELNS1_3repE0EEENS1_30default_config_static_selectorELNS0_4arch9wavefront6targetE1EEEvSK_.numbered_sgpr, max(80, .L_ZN7rocprim17ROCPRIM_400000_NS6detail26segmented_warp_sort_helperINS1_20WarpSortHelperConfigILj8ELj4ELj256EEEilLi256ELb1EvE4sortIPKiPiPKlPlEEvT_T0_T1_T2_jjjjRNS5_12storage_typeE.numbered_sgpr, .L_ZN7rocprim17ROCPRIM_400000_NS6detail40segmented_radix_sort_single_block_helperIilLj256ELj8ELb1EE4sortIPKiPiPKlPlEEbT_T0_T1_T2_jjjjRNS3_12storage_typeE.numbered_sgpr)
	.set _ZN7rocprim17ROCPRIM_400000_NS6detail17trampoline_kernelINS0_14default_configENS1_36segmented_radix_sort_config_selectorIilEEZNS1_25segmented_radix_sort_implIS3_Lb1EPKiPiPKlPlN2at6native12_GLOBAL__N_18offset_tEEE10hipError_tPvRmT1_PNSt15iterator_traitsISK_E10value_typeET2_T3_PNSL_ISQ_E10value_typeET4_jRbjT5_SW_jjP12ihipStream_tbEUlT_E2_NS1_11comp_targetILNS1_3genE2ELNS1_11target_archE906ELNS1_3gpuE6ELNS1_3repE0EEENS1_30default_config_static_selectorELNS0_4arch9wavefront6targetE1EEEvSK_.num_named_barrier, max(0, .L_ZN7rocprim17ROCPRIM_400000_NS6detail26segmented_warp_sort_helperINS1_20WarpSortHelperConfigILj8ELj4ELj256EEEilLi256ELb1EvE4sortIPKiPiPKlPlEEvT_T0_T1_T2_jjjjRNS5_12storage_typeE.num_named_barrier, .L_ZN7rocprim17ROCPRIM_400000_NS6detail40segmented_radix_sort_single_block_helperIilLj256ELj8ELb1EE4sortIPKiPiPKlPlEEbT_T0_T1_T2_jjjjRNS3_12storage_typeE.num_named_barrier)
	.set _ZN7rocprim17ROCPRIM_400000_NS6detail17trampoline_kernelINS0_14default_configENS1_36segmented_radix_sort_config_selectorIilEEZNS1_25segmented_radix_sort_implIS3_Lb1EPKiPiPKlPlN2at6native12_GLOBAL__N_18offset_tEEE10hipError_tPvRmT1_PNSt15iterator_traitsISK_E10value_typeET2_T3_PNSL_ISQ_E10value_typeET4_jRbjT5_SW_jjP12ihipStream_tbEUlT_E2_NS1_11comp_targetILNS1_3genE2ELNS1_11target_archE906ELNS1_3gpuE6ELNS1_3repE0EEENS1_30default_config_static_selectorELNS0_4arch9wavefront6targetE1EEEvSK_.private_seg_size, 0+max(.L_ZN7rocprim17ROCPRIM_400000_NS6detail26segmented_warp_sort_helperINS1_20WarpSortHelperConfigILj8ELj4ELj256EEEilLi256ELb1EvE4sortIPKiPiPKlPlEEvT_T0_T1_T2_jjjjRNS5_12storage_typeE.private_seg_size, .L_ZN7rocprim17ROCPRIM_400000_NS6detail40segmented_radix_sort_single_block_helperIilLj256ELj8ELb1EE4sortIPKiPiPKlPlEEbT_T0_T1_T2_jjjjRNS3_12storage_typeE.private_seg_size)
	.set _ZN7rocprim17ROCPRIM_400000_NS6detail17trampoline_kernelINS0_14default_configENS1_36segmented_radix_sort_config_selectorIilEEZNS1_25segmented_radix_sort_implIS3_Lb1EPKiPiPKlPlN2at6native12_GLOBAL__N_18offset_tEEE10hipError_tPvRmT1_PNSt15iterator_traitsISK_E10value_typeET2_T3_PNSL_ISQ_E10value_typeET4_jRbjT5_SW_jjP12ihipStream_tbEUlT_E2_NS1_11comp_targetILNS1_3genE2ELNS1_11target_archE906ELNS1_3gpuE6ELNS1_3repE0EEENS1_30default_config_static_selectorELNS0_4arch9wavefront6targetE1EEEvSK_.uses_vcc, or(1, .L_ZN7rocprim17ROCPRIM_400000_NS6detail26segmented_warp_sort_helperINS1_20WarpSortHelperConfigILj8ELj4ELj256EEEilLi256ELb1EvE4sortIPKiPiPKlPlEEvT_T0_T1_T2_jjjjRNS5_12storage_typeE.uses_vcc, .L_ZN7rocprim17ROCPRIM_400000_NS6detail40segmented_radix_sort_single_block_helperIilLj256ELj8ELb1EE4sortIPKiPiPKlPlEEbT_T0_T1_T2_jjjjRNS3_12storage_typeE.uses_vcc)
	.set _ZN7rocprim17ROCPRIM_400000_NS6detail17trampoline_kernelINS0_14default_configENS1_36segmented_radix_sort_config_selectorIilEEZNS1_25segmented_radix_sort_implIS3_Lb1EPKiPiPKlPlN2at6native12_GLOBAL__N_18offset_tEEE10hipError_tPvRmT1_PNSt15iterator_traitsISK_E10value_typeET2_T3_PNSL_ISQ_E10value_typeET4_jRbjT5_SW_jjP12ihipStream_tbEUlT_E2_NS1_11comp_targetILNS1_3genE2ELNS1_11target_archE906ELNS1_3gpuE6ELNS1_3repE0EEENS1_30default_config_static_selectorELNS0_4arch9wavefront6targetE1EEEvSK_.uses_flat_scratch, or(0, .L_ZN7rocprim17ROCPRIM_400000_NS6detail26segmented_warp_sort_helperINS1_20WarpSortHelperConfigILj8ELj4ELj256EEEilLi256ELb1EvE4sortIPKiPiPKlPlEEvT_T0_T1_T2_jjjjRNS5_12storage_typeE.uses_flat_scratch, .L_ZN7rocprim17ROCPRIM_400000_NS6detail40segmented_radix_sort_single_block_helperIilLj256ELj8ELb1EE4sortIPKiPiPKlPlEEbT_T0_T1_T2_jjjjRNS3_12storage_typeE.uses_flat_scratch)
	.set _ZN7rocprim17ROCPRIM_400000_NS6detail17trampoline_kernelINS0_14default_configENS1_36segmented_radix_sort_config_selectorIilEEZNS1_25segmented_radix_sort_implIS3_Lb1EPKiPiPKlPlN2at6native12_GLOBAL__N_18offset_tEEE10hipError_tPvRmT1_PNSt15iterator_traitsISK_E10value_typeET2_T3_PNSL_ISQ_E10value_typeET4_jRbjT5_SW_jjP12ihipStream_tbEUlT_E2_NS1_11comp_targetILNS1_3genE2ELNS1_11target_archE906ELNS1_3gpuE6ELNS1_3repE0EEENS1_30default_config_static_selectorELNS0_4arch9wavefront6targetE1EEEvSK_.has_dyn_sized_stack, or(0, .L_ZN7rocprim17ROCPRIM_400000_NS6detail26segmented_warp_sort_helperINS1_20WarpSortHelperConfigILj8ELj4ELj256EEEilLi256ELb1EvE4sortIPKiPiPKlPlEEvT_T0_T1_T2_jjjjRNS5_12storage_typeE.has_dyn_sized_stack, .L_ZN7rocprim17ROCPRIM_400000_NS6detail40segmented_radix_sort_single_block_helperIilLj256ELj8ELb1EE4sortIPKiPiPKlPlEEbT_T0_T1_T2_jjjjRNS3_12storage_typeE.has_dyn_sized_stack)
	.set _ZN7rocprim17ROCPRIM_400000_NS6detail17trampoline_kernelINS0_14default_configENS1_36segmented_radix_sort_config_selectorIilEEZNS1_25segmented_radix_sort_implIS3_Lb1EPKiPiPKlPlN2at6native12_GLOBAL__N_18offset_tEEE10hipError_tPvRmT1_PNSt15iterator_traitsISK_E10value_typeET2_T3_PNSL_ISQ_E10value_typeET4_jRbjT5_SW_jjP12ihipStream_tbEUlT_E2_NS1_11comp_targetILNS1_3genE2ELNS1_11target_archE906ELNS1_3gpuE6ELNS1_3repE0EEENS1_30default_config_static_selectorELNS0_4arch9wavefront6targetE1EEEvSK_.has_recursion, or(0, .L_ZN7rocprim17ROCPRIM_400000_NS6detail26segmented_warp_sort_helperINS1_20WarpSortHelperConfigILj8ELj4ELj256EEEilLi256ELb1EvE4sortIPKiPiPKlPlEEvT_T0_T1_T2_jjjjRNS5_12storage_typeE.has_recursion, .L_ZN7rocprim17ROCPRIM_400000_NS6detail40segmented_radix_sort_single_block_helperIilLj256ELj8ELb1EE4sortIPKiPiPKlPlEEbT_T0_T1_T2_jjjjRNS3_12storage_typeE.has_recursion)
	.set _ZN7rocprim17ROCPRIM_400000_NS6detail17trampoline_kernelINS0_14default_configENS1_36segmented_radix_sort_config_selectorIilEEZNS1_25segmented_radix_sort_implIS3_Lb1EPKiPiPKlPlN2at6native12_GLOBAL__N_18offset_tEEE10hipError_tPvRmT1_PNSt15iterator_traitsISK_E10value_typeET2_T3_PNSL_ISQ_E10value_typeET4_jRbjT5_SW_jjP12ihipStream_tbEUlT_E2_NS1_11comp_targetILNS1_3genE2ELNS1_11target_archE906ELNS1_3gpuE6ELNS1_3repE0EEENS1_30default_config_static_selectorELNS0_4arch9wavefront6targetE1EEEvSK_.has_indirect_call, or(0, .L_ZN7rocprim17ROCPRIM_400000_NS6detail26segmented_warp_sort_helperINS1_20WarpSortHelperConfigILj8ELj4ELj256EEEilLi256ELb1EvE4sortIPKiPiPKlPlEEvT_T0_T1_T2_jjjjRNS5_12storage_typeE.has_indirect_call, .L_ZN7rocprim17ROCPRIM_400000_NS6detail40segmented_radix_sort_single_block_helperIilLj256ELj8ELb1EE4sortIPKiPiPKlPlEEbT_T0_T1_T2_jjjjRNS3_12storage_typeE.has_indirect_call)
	.section	.AMDGPU.csdata,"",@progbits
; Kernel info:
; codeLenInByte = 36256
; TotalNumSgprs: 84
; NumVgprs: 177
; ScratchSize: 0
; MemoryBound: 0
; FloatMode: 240
; IeeeMode: 1
; LDSByteSize: 17424 bytes/workgroup (compile time only)
; SGPRBlocks: 12
; VGPRBlocks: 44
; NumSGPRsForWavesPerEU: 102
; NumVGPRsForWavesPerEU: 177
; Occupancy: 1
; WaveLimiterHint : 1
; COMPUTE_PGM_RSRC2:SCRATCH_EN: 0
; COMPUTE_PGM_RSRC2:USER_SGPR: 6
; COMPUTE_PGM_RSRC2:TRAP_HANDLER: 0
; COMPUTE_PGM_RSRC2:TGID_X_EN: 1
; COMPUTE_PGM_RSRC2:TGID_Y_EN: 1
; COMPUTE_PGM_RSRC2:TGID_Z_EN: 0
; COMPUTE_PGM_RSRC2:TIDIG_COMP_CNT: 2
	.section	.text._ZN7rocprim17ROCPRIM_400000_NS6detail17trampoline_kernelINS0_14default_configENS1_36segmented_radix_sort_config_selectorIilEEZNS1_25segmented_radix_sort_implIS3_Lb1EPKiPiPKlPlN2at6native12_GLOBAL__N_18offset_tEEE10hipError_tPvRmT1_PNSt15iterator_traitsISK_E10value_typeET2_T3_PNSL_ISQ_E10value_typeET4_jRbjT5_SW_jjP12ihipStream_tbEUlT_E2_NS1_11comp_targetILNS1_3genE10ELNS1_11target_archE1201ELNS1_3gpuE5ELNS1_3repE0EEENS1_30default_config_static_selectorELNS0_4arch9wavefront6targetE1EEEvSK_,"axG",@progbits,_ZN7rocprim17ROCPRIM_400000_NS6detail17trampoline_kernelINS0_14default_configENS1_36segmented_radix_sort_config_selectorIilEEZNS1_25segmented_radix_sort_implIS3_Lb1EPKiPiPKlPlN2at6native12_GLOBAL__N_18offset_tEEE10hipError_tPvRmT1_PNSt15iterator_traitsISK_E10value_typeET2_T3_PNSL_ISQ_E10value_typeET4_jRbjT5_SW_jjP12ihipStream_tbEUlT_E2_NS1_11comp_targetILNS1_3genE10ELNS1_11target_archE1201ELNS1_3gpuE5ELNS1_3repE0EEENS1_30default_config_static_selectorELNS0_4arch9wavefront6targetE1EEEvSK_,comdat
	.globl	_ZN7rocprim17ROCPRIM_400000_NS6detail17trampoline_kernelINS0_14default_configENS1_36segmented_radix_sort_config_selectorIilEEZNS1_25segmented_radix_sort_implIS3_Lb1EPKiPiPKlPlN2at6native12_GLOBAL__N_18offset_tEEE10hipError_tPvRmT1_PNSt15iterator_traitsISK_E10value_typeET2_T3_PNSL_ISQ_E10value_typeET4_jRbjT5_SW_jjP12ihipStream_tbEUlT_E2_NS1_11comp_targetILNS1_3genE10ELNS1_11target_archE1201ELNS1_3gpuE5ELNS1_3repE0EEENS1_30default_config_static_selectorELNS0_4arch9wavefront6targetE1EEEvSK_ ; -- Begin function _ZN7rocprim17ROCPRIM_400000_NS6detail17trampoline_kernelINS0_14default_configENS1_36segmented_radix_sort_config_selectorIilEEZNS1_25segmented_radix_sort_implIS3_Lb1EPKiPiPKlPlN2at6native12_GLOBAL__N_18offset_tEEE10hipError_tPvRmT1_PNSt15iterator_traitsISK_E10value_typeET2_T3_PNSL_ISQ_E10value_typeET4_jRbjT5_SW_jjP12ihipStream_tbEUlT_E2_NS1_11comp_targetILNS1_3genE10ELNS1_11target_archE1201ELNS1_3gpuE5ELNS1_3repE0EEENS1_30default_config_static_selectorELNS0_4arch9wavefront6targetE1EEEvSK_
	.p2align	8
	.type	_ZN7rocprim17ROCPRIM_400000_NS6detail17trampoline_kernelINS0_14default_configENS1_36segmented_radix_sort_config_selectorIilEEZNS1_25segmented_radix_sort_implIS3_Lb1EPKiPiPKlPlN2at6native12_GLOBAL__N_18offset_tEEE10hipError_tPvRmT1_PNSt15iterator_traitsISK_E10value_typeET2_T3_PNSL_ISQ_E10value_typeET4_jRbjT5_SW_jjP12ihipStream_tbEUlT_E2_NS1_11comp_targetILNS1_3genE10ELNS1_11target_archE1201ELNS1_3gpuE5ELNS1_3repE0EEENS1_30default_config_static_selectorELNS0_4arch9wavefront6targetE1EEEvSK_,@function
_ZN7rocprim17ROCPRIM_400000_NS6detail17trampoline_kernelINS0_14default_configENS1_36segmented_radix_sort_config_selectorIilEEZNS1_25segmented_radix_sort_implIS3_Lb1EPKiPiPKlPlN2at6native12_GLOBAL__N_18offset_tEEE10hipError_tPvRmT1_PNSt15iterator_traitsISK_E10value_typeET2_T3_PNSL_ISQ_E10value_typeET4_jRbjT5_SW_jjP12ihipStream_tbEUlT_E2_NS1_11comp_targetILNS1_3genE10ELNS1_11target_archE1201ELNS1_3gpuE5ELNS1_3repE0EEENS1_30default_config_static_selectorELNS0_4arch9wavefront6targetE1EEEvSK_: ; @_ZN7rocprim17ROCPRIM_400000_NS6detail17trampoline_kernelINS0_14default_configENS1_36segmented_radix_sort_config_selectorIilEEZNS1_25segmented_radix_sort_implIS3_Lb1EPKiPiPKlPlN2at6native12_GLOBAL__N_18offset_tEEE10hipError_tPvRmT1_PNSt15iterator_traitsISK_E10value_typeET2_T3_PNSL_ISQ_E10value_typeET4_jRbjT5_SW_jjP12ihipStream_tbEUlT_E2_NS1_11comp_targetILNS1_3genE10ELNS1_11target_archE1201ELNS1_3gpuE5ELNS1_3repE0EEENS1_30default_config_static_selectorELNS0_4arch9wavefront6targetE1EEEvSK_
; %bb.0:
	.section	.rodata,"a",@progbits
	.p2align	6, 0x0
	.amdhsa_kernel _ZN7rocprim17ROCPRIM_400000_NS6detail17trampoline_kernelINS0_14default_configENS1_36segmented_radix_sort_config_selectorIilEEZNS1_25segmented_radix_sort_implIS3_Lb1EPKiPiPKlPlN2at6native12_GLOBAL__N_18offset_tEEE10hipError_tPvRmT1_PNSt15iterator_traitsISK_E10value_typeET2_T3_PNSL_ISQ_E10value_typeET4_jRbjT5_SW_jjP12ihipStream_tbEUlT_E2_NS1_11comp_targetILNS1_3genE10ELNS1_11target_archE1201ELNS1_3gpuE5ELNS1_3repE0EEENS1_30default_config_static_selectorELNS0_4arch9wavefront6targetE1EEEvSK_
		.amdhsa_group_segment_fixed_size 0
		.amdhsa_private_segment_fixed_size 0
		.amdhsa_kernarg_size 80
		.amdhsa_user_sgpr_count 6
		.amdhsa_user_sgpr_private_segment_buffer 1
		.amdhsa_user_sgpr_dispatch_ptr 0
		.amdhsa_user_sgpr_queue_ptr 0
		.amdhsa_user_sgpr_kernarg_segment_ptr 1
		.amdhsa_user_sgpr_dispatch_id 0
		.amdhsa_user_sgpr_flat_scratch_init 0
		.amdhsa_user_sgpr_private_segment_size 0
		.amdhsa_uses_dynamic_stack 0
		.amdhsa_system_sgpr_private_segment_wavefront_offset 0
		.amdhsa_system_sgpr_workgroup_id_x 1
		.amdhsa_system_sgpr_workgroup_id_y 0
		.amdhsa_system_sgpr_workgroup_id_z 0
		.amdhsa_system_sgpr_workgroup_info 0
		.amdhsa_system_vgpr_workitem_id 0
		.amdhsa_next_free_vgpr 1
		.amdhsa_next_free_sgpr 0
		.amdhsa_reserve_vcc 0
		.amdhsa_reserve_flat_scratch 0
		.amdhsa_float_round_mode_32 0
		.amdhsa_float_round_mode_16_64 0
		.amdhsa_float_denorm_mode_32 3
		.amdhsa_float_denorm_mode_16_64 3
		.amdhsa_dx10_clamp 1
		.amdhsa_ieee_mode 1
		.amdhsa_fp16_overflow 0
		.amdhsa_exception_fp_ieee_invalid_op 0
		.amdhsa_exception_fp_denorm_src 0
		.amdhsa_exception_fp_ieee_div_zero 0
		.amdhsa_exception_fp_ieee_overflow 0
		.amdhsa_exception_fp_ieee_underflow 0
		.amdhsa_exception_fp_ieee_inexact 0
		.amdhsa_exception_int_div_zero 0
	.end_amdhsa_kernel
	.section	.text._ZN7rocprim17ROCPRIM_400000_NS6detail17trampoline_kernelINS0_14default_configENS1_36segmented_radix_sort_config_selectorIilEEZNS1_25segmented_radix_sort_implIS3_Lb1EPKiPiPKlPlN2at6native12_GLOBAL__N_18offset_tEEE10hipError_tPvRmT1_PNSt15iterator_traitsISK_E10value_typeET2_T3_PNSL_ISQ_E10value_typeET4_jRbjT5_SW_jjP12ihipStream_tbEUlT_E2_NS1_11comp_targetILNS1_3genE10ELNS1_11target_archE1201ELNS1_3gpuE5ELNS1_3repE0EEENS1_30default_config_static_selectorELNS0_4arch9wavefront6targetE1EEEvSK_,"axG",@progbits,_ZN7rocprim17ROCPRIM_400000_NS6detail17trampoline_kernelINS0_14default_configENS1_36segmented_radix_sort_config_selectorIilEEZNS1_25segmented_radix_sort_implIS3_Lb1EPKiPiPKlPlN2at6native12_GLOBAL__N_18offset_tEEE10hipError_tPvRmT1_PNSt15iterator_traitsISK_E10value_typeET2_T3_PNSL_ISQ_E10value_typeET4_jRbjT5_SW_jjP12ihipStream_tbEUlT_E2_NS1_11comp_targetILNS1_3genE10ELNS1_11target_archE1201ELNS1_3gpuE5ELNS1_3repE0EEENS1_30default_config_static_selectorELNS0_4arch9wavefront6targetE1EEEvSK_,comdat
.Lfunc_end532:
	.size	_ZN7rocprim17ROCPRIM_400000_NS6detail17trampoline_kernelINS0_14default_configENS1_36segmented_radix_sort_config_selectorIilEEZNS1_25segmented_radix_sort_implIS3_Lb1EPKiPiPKlPlN2at6native12_GLOBAL__N_18offset_tEEE10hipError_tPvRmT1_PNSt15iterator_traitsISK_E10value_typeET2_T3_PNSL_ISQ_E10value_typeET4_jRbjT5_SW_jjP12ihipStream_tbEUlT_E2_NS1_11comp_targetILNS1_3genE10ELNS1_11target_archE1201ELNS1_3gpuE5ELNS1_3repE0EEENS1_30default_config_static_selectorELNS0_4arch9wavefront6targetE1EEEvSK_, .Lfunc_end532-_ZN7rocprim17ROCPRIM_400000_NS6detail17trampoline_kernelINS0_14default_configENS1_36segmented_radix_sort_config_selectorIilEEZNS1_25segmented_radix_sort_implIS3_Lb1EPKiPiPKlPlN2at6native12_GLOBAL__N_18offset_tEEE10hipError_tPvRmT1_PNSt15iterator_traitsISK_E10value_typeET2_T3_PNSL_ISQ_E10value_typeET4_jRbjT5_SW_jjP12ihipStream_tbEUlT_E2_NS1_11comp_targetILNS1_3genE10ELNS1_11target_archE1201ELNS1_3gpuE5ELNS1_3repE0EEENS1_30default_config_static_selectorELNS0_4arch9wavefront6targetE1EEEvSK_
                                        ; -- End function
	.set _ZN7rocprim17ROCPRIM_400000_NS6detail17trampoline_kernelINS0_14default_configENS1_36segmented_radix_sort_config_selectorIilEEZNS1_25segmented_radix_sort_implIS3_Lb1EPKiPiPKlPlN2at6native12_GLOBAL__N_18offset_tEEE10hipError_tPvRmT1_PNSt15iterator_traitsISK_E10value_typeET2_T3_PNSL_ISQ_E10value_typeET4_jRbjT5_SW_jjP12ihipStream_tbEUlT_E2_NS1_11comp_targetILNS1_3genE10ELNS1_11target_archE1201ELNS1_3gpuE5ELNS1_3repE0EEENS1_30default_config_static_selectorELNS0_4arch9wavefront6targetE1EEEvSK_.num_vgpr, 0
	.set _ZN7rocprim17ROCPRIM_400000_NS6detail17trampoline_kernelINS0_14default_configENS1_36segmented_radix_sort_config_selectorIilEEZNS1_25segmented_radix_sort_implIS3_Lb1EPKiPiPKlPlN2at6native12_GLOBAL__N_18offset_tEEE10hipError_tPvRmT1_PNSt15iterator_traitsISK_E10value_typeET2_T3_PNSL_ISQ_E10value_typeET4_jRbjT5_SW_jjP12ihipStream_tbEUlT_E2_NS1_11comp_targetILNS1_3genE10ELNS1_11target_archE1201ELNS1_3gpuE5ELNS1_3repE0EEENS1_30default_config_static_selectorELNS0_4arch9wavefront6targetE1EEEvSK_.num_agpr, 0
	.set _ZN7rocprim17ROCPRIM_400000_NS6detail17trampoline_kernelINS0_14default_configENS1_36segmented_radix_sort_config_selectorIilEEZNS1_25segmented_radix_sort_implIS3_Lb1EPKiPiPKlPlN2at6native12_GLOBAL__N_18offset_tEEE10hipError_tPvRmT1_PNSt15iterator_traitsISK_E10value_typeET2_T3_PNSL_ISQ_E10value_typeET4_jRbjT5_SW_jjP12ihipStream_tbEUlT_E2_NS1_11comp_targetILNS1_3genE10ELNS1_11target_archE1201ELNS1_3gpuE5ELNS1_3repE0EEENS1_30default_config_static_selectorELNS0_4arch9wavefront6targetE1EEEvSK_.numbered_sgpr, 0
	.set _ZN7rocprim17ROCPRIM_400000_NS6detail17trampoline_kernelINS0_14default_configENS1_36segmented_radix_sort_config_selectorIilEEZNS1_25segmented_radix_sort_implIS3_Lb1EPKiPiPKlPlN2at6native12_GLOBAL__N_18offset_tEEE10hipError_tPvRmT1_PNSt15iterator_traitsISK_E10value_typeET2_T3_PNSL_ISQ_E10value_typeET4_jRbjT5_SW_jjP12ihipStream_tbEUlT_E2_NS1_11comp_targetILNS1_3genE10ELNS1_11target_archE1201ELNS1_3gpuE5ELNS1_3repE0EEENS1_30default_config_static_selectorELNS0_4arch9wavefront6targetE1EEEvSK_.num_named_barrier, 0
	.set _ZN7rocprim17ROCPRIM_400000_NS6detail17trampoline_kernelINS0_14default_configENS1_36segmented_radix_sort_config_selectorIilEEZNS1_25segmented_radix_sort_implIS3_Lb1EPKiPiPKlPlN2at6native12_GLOBAL__N_18offset_tEEE10hipError_tPvRmT1_PNSt15iterator_traitsISK_E10value_typeET2_T3_PNSL_ISQ_E10value_typeET4_jRbjT5_SW_jjP12ihipStream_tbEUlT_E2_NS1_11comp_targetILNS1_3genE10ELNS1_11target_archE1201ELNS1_3gpuE5ELNS1_3repE0EEENS1_30default_config_static_selectorELNS0_4arch9wavefront6targetE1EEEvSK_.private_seg_size, 0
	.set _ZN7rocprim17ROCPRIM_400000_NS6detail17trampoline_kernelINS0_14default_configENS1_36segmented_radix_sort_config_selectorIilEEZNS1_25segmented_radix_sort_implIS3_Lb1EPKiPiPKlPlN2at6native12_GLOBAL__N_18offset_tEEE10hipError_tPvRmT1_PNSt15iterator_traitsISK_E10value_typeET2_T3_PNSL_ISQ_E10value_typeET4_jRbjT5_SW_jjP12ihipStream_tbEUlT_E2_NS1_11comp_targetILNS1_3genE10ELNS1_11target_archE1201ELNS1_3gpuE5ELNS1_3repE0EEENS1_30default_config_static_selectorELNS0_4arch9wavefront6targetE1EEEvSK_.uses_vcc, 0
	.set _ZN7rocprim17ROCPRIM_400000_NS6detail17trampoline_kernelINS0_14default_configENS1_36segmented_radix_sort_config_selectorIilEEZNS1_25segmented_radix_sort_implIS3_Lb1EPKiPiPKlPlN2at6native12_GLOBAL__N_18offset_tEEE10hipError_tPvRmT1_PNSt15iterator_traitsISK_E10value_typeET2_T3_PNSL_ISQ_E10value_typeET4_jRbjT5_SW_jjP12ihipStream_tbEUlT_E2_NS1_11comp_targetILNS1_3genE10ELNS1_11target_archE1201ELNS1_3gpuE5ELNS1_3repE0EEENS1_30default_config_static_selectorELNS0_4arch9wavefront6targetE1EEEvSK_.uses_flat_scratch, 0
	.set _ZN7rocprim17ROCPRIM_400000_NS6detail17trampoline_kernelINS0_14default_configENS1_36segmented_radix_sort_config_selectorIilEEZNS1_25segmented_radix_sort_implIS3_Lb1EPKiPiPKlPlN2at6native12_GLOBAL__N_18offset_tEEE10hipError_tPvRmT1_PNSt15iterator_traitsISK_E10value_typeET2_T3_PNSL_ISQ_E10value_typeET4_jRbjT5_SW_jjP12ihipStream_tbEUlT_E2_NS1_11comp_targetILNS1_3genE10ELNS1_11target_archE1201ELNS1_3gpuE5ELNS1_3repE0EEENS1_30default_config_static_selectorELNS0_4arch9wavefront6targetE1EEEvSK_.has_dyn_sized_stack, 0
	.set _ZN7rocprim17ROCPRIM_400000_NS6detail17trampoline_kernelINS0_14default_configENS1_36segmented_radix_sort_config_selectorIilEEZNS1_25segmented_radix_sort_implIS3_Lb1EPKiPiPKlPlN2at6native12_GLOBAL__N_18offset_tEEE10hipError_tPvRmT1_PNSt15iterator_traitsISK_E10value_typeET2_T3_PNSL_ISQ_E10value_typeET4_jRbjT5_SW_jjP12ihipStream_tbEUlT_E2_NS1_11comp_targetILNS1_3genE10ELNS1_11target_archE1201ELNS1_3gpuE5ELNS1_3repE0EEENS1_30default_config_static_selectorELNS0_4arch9wavefront6targetE1EEEvSK_.has_recursion, 0
	.set _ZN7rocprim17ROCPRIM_400000_NS6detail17trampoline_kernelINS0_14default_configENS1_36segmented_radix_sort_config_selectorIilEEZNS1_25segmented_radix_sort_implIS3_Lb1EPKiPiPKlPlN2at6native12_GLOBAL__N_18offset_tEEE10hipError_tPvRmT1_PNSt15iterator_traitsISK_E10value_typeET2_T3_PNSL_ISQ_E10value_typeET4_jRbjT5_SW_jjP12ihipStream_tbEUlT_E2_NS1_11comp_targetILNS1_3genE10ELNS1_11target_archE1201ELNS1_3gpuE5ELNS1_3repE0EEENS1_30default_config_static_selectorELNS0_4arch9wavefront6targetE1EEEvSK_.has_indirect_call, 0
	.section	.AMDGPU.csdata,"",@progbits
; Kernel info:
; codeLenInByte = 0
; TotalNumSgprs: 4
; NumVgprs: 0
; ScratchSize: 0
; MemoryBound: 0
; FloatMode: 240
; IeeeMode: 1
; LDSByteSize: 0 bytes/workgroup (compile time only)
; SGPRBlocks: 0
; VGPRBlocks: 0
; NumSGPRsForWavesPerEU: 4
; NumVGPRsForWavesPerEU: 1
; Occupancy: 10
; WaveLimiterHint : 0
; COMPUTE_PGM_RSRC2:SCRATCH_EN: 0
; COMPUTE_PGM_RSRC2:USER_SGPR: 6
; COMPUTE_PGM_RSRC2:TRAP_HANDLER: 0
; COMPUTE_PGM_RSRC2:TGID_X_EN: 1
; COMPUTE_PGM_RSRC2:TGID_Y_EN: 0
; COMPUTE_PGM_RSRC2:TGID_Z_EN: 0
; COMPUTE_PGM_RSRC2:TIDIG_COMP_CNT: 0
	.section	.text._ZN7rocprim17ROCPRIM_400000_NS6detail17trampoline_kernelINS0_14default_configENS1_36segmented_radix_sort_config_selectorIilEEZNS1_25segmented_radix_sort_implIS3_Lb1EPKiPiPKlPlN2at6native12_GLOBAL__N_18offset_tEEE10hipError_tPvRmT1_PNSt15iterator_traitsISK_E10value_typeET2_T3_PNSL_ISQ_E10value_typeET4_jRbjT5_SW_jjP12ihipStream_tbEUlT_E2_NS1_11comp_targetILNS1_3genE10ELNS1_11target_archE1200ELNS1_3gpuE4ELNS1_3repE0EEENS1_30default_config_static_selectorELNS0_4arch9wavefront6targetE1EEEvSK_,"axG",@progbits,_ZN7rocprim17ROCPRIM_400000_NS6detail17trampoline_kernelINS0_14default_configENS1_36segmented_radix_sort_config_selectorIilEEZNS1_25segmented_radix_sort_implIS3_Lb1EPKiPiPKlPlN2at6native12_GLOBAL__N_18offset_tEEE10hipError_tPvRmT1_PNSt15iterator_traitsISK_E10value_typeET2_T3_PNSL_ISQ_E10value_typeET4_jRbjT5_SW_jjP12ihipStream_tbEUlT_E2_NS1_11comp_targetILNS1_3genE10ELNS1_11target_archE1200ELNS1_3gpuE4ELNS1_3repE0EEENS1_30default_config_static_selectorELNS0_4arch9wavefront6targetE1EEEvSK_,comdat
	.globl	_ZN7rocprim17ROCPRIM_400000_NS6detail17trampoline_kernelINS0_14default_configENS1_36segmented_radix_sort_config_selectorIilEEZNS1_25segmented_radix_sort_implIS3_Lb1EPKiPiPKlPlN2at6native12_GLOBAL__N_18offset_tEEE10hipError_tPvRmT1_PNSt15iterator_traitsISK_E10value_typeET2_T3_PNSL_ISQ_E10value_typeET4_jRbjT5_SW_jjP12ihipStream_tbEUlT_E2_NS1_11comp_targetILNS1_3genE10ELNS1_11target_archE1200ELNS1_3gpuE4ELNS1_3repE0EEENS1_30default_config_static_selectorELNS0_4arch9wavefront6targetE1EEEvSK_ ; -- Begin function _ZN7rocprim17ROCPRIM_400000_NS6detail17trampoline_kernelINS0_14default_configENS1_36segmented_radix_sort_config_selectorIilEEZNS1_25segmented_radix_sort_implIS3_Lb1EPKiPiPKlPlN2at6native12_GLOBAL__N_18offset_tEEE10hipError_tPvRmT1_PNSt15iterator_traitsISK_E10value_typeET2_T3_PNSL_ISQ_E10value_typeET4_jRbjT5_SW_jjP12ihipStream_tbEUlT_E2_NS1_11comp_targetILNS1_3genE10ELNS1_11target_archE1200ELNS1_3gpuE4ELNS1_3repE0EEENS1_30default_config_static_selectorELNS0_4arch9wavefront6targetE1EEEvSK_
	.p2align	8
	.type	_ZN7rocprim17ROCPRIM_400000_NS6detail17trampoline_kernelINS0_14default_configENS1_36segmented_radix_sort_config_selectorIilEEZNS1_25segmented_radix_sort_implIS3_Lb1EPKiPiPKlPlN2at6native12_GLOBAL__N_18offset_tEEE10hipError_tPvRmT1_PNSt15iterator_traitsISK_E10value_typeET2_T3_PNSL_ISQ_E10value_typeET4_jRbjT5_SW_jjP12ihipStream_tbEUlT_E2_NS1_11comp_targetILNS1_3genE10ELNS1_11target_archE1200ELNS1_3gpuE4ELNS1_3repE0EEENS1_30default_config_static_selectorELNS0_4arch9wavefront6targetE1EEEvSK_,@function
_ZN7rocprim17ROCPRIM_400000_NS6detail17trampoline_kernelINS0_14default_configENS1_36segmented_radix_sort_config_selectorIilEEZNS1_25segmented_radix_sort_implIS3_Lb1EPKiPiPKlPlN2at6native12_GLOBAL__N_18offset_tEEE10hipError_tPvRmT1_PNSt15iterator_traitsISK_E10value_typeET2_T3_PNSL_ISQ_E10value_typeET4_jRbjT5_SW_jjP12ihipStream_tbEUlT_E2_NS1_11comp_targetILNS1_3genE10ELNS1_11target_archE1200ELNS1_3gpuE4ELNS1_3repE0EEENS1_30default_config_static_selectorELNS0_4arch9wavefront6targetE1EEEvSK_: ; @_ZN7rocprim17ROCPRIM_400000_NS6detail17trampoline_kernelINS0_14default_configENS1_36segmented_radix_sort_config_selectorIilEEZNS1_25segmented_radix_sort_implIS3_Lb1EPKiPiPKlPlN2at6native12_GLOBAL__N_18offset_tEEE10hipError_tPvRmT1_PNSt15iterator_traitsISK_E10value_typeET2_T3_PNSL_ISQ_E10value_typeET4_jRbjT5_SW_jjP12ihipStream_tbEUlT_E2_NS1_11comp_targetILNS1_3genE10ELNS1_11target_archE1200ELNS1_3gpuE4ELNS1_3repE0EEENS1_30default_config_static_selectorELNS0_4arch9wavefront6targetE1EEEvSK_
; %bb.0:
	.section	.rodata,"a",@progbits
	.p2align	6, 0x0
	.amdhsa_kernel _ZN7rocprim17ROCPRIM_400000_NS6detail17trampoline_kernelINS0_14default_configENS1_36segmented_radix_sort_config_selectorIilEEZNS1_25segmented_radix_sort_implIS3_Lb1EPKiPiPKlPlN2at6native12_GLOBAL__N_18offset_tEEE10hipError_tPvRmT1_PNSt15iterator_traitsISK_E10value_typeET2_T3_PNSL_ISQ_E10value_typeET4_jRbjT5_SW_jjP12ihipStream_tbEUlT_E2_NS1_11comp_targetILNS1_3genE10ELNS1_11target_archE1200ELNS1_3gpuE4ELNS1_3repE0EEENS1_30default_config_static_selectorELNS0_4arch9wavefront6targetE1EEEvSK_
		.amdhsa_group_segment_fixed_size 0
		.amdhsa_private_segment_fixed_size 0
		.amdhsa_kernarg_size 80
		.amdhsa_user_sgpr_count 6
		.amdhsa_user_sgpr_private_segment_buffer 1
		.amdhsa_user_sgpr_dispatch_ptr 0
		.amdhsa_user_sgpr_queue_ptr 0
		.amdhsa_user_sgpr_kernarg_segment_ptr 1
		.amdhsa_user_sgpr_dispatch_id 0
		.amdhsa_user_sgpr_flat_scratch_init 0
		.amdhsa_user_sgpr_private_segment_size 0
		.amdhsa_uses_dynamic_stack 0
		.amdhsa_system_sgpr_private_segment_wavefront_offset 0
		.amdhsa_system_sgpr_workgroup_id_x 1
		.amdhsa_system_sgpr_workgroup_id_y 0
		.amdhsa_system_sgpr_workgroup_id_z 0
		.amdhsa_system_sgpr_workgroup_info 0
		.amdhsa_system_vgpr_workitem_id 0
		.amdhsa_next_free_vgpr 1
		.amdhsa_next_free_sgpr 0
		.amdhsa_reserve_vcc 0
		.amdhsa_reserve_flat_scratch 0
		.amdhsa_float_round_mode_32 0
		.amdhsa_float_round_mode_16_64 0
		.amdhsa_float_denorm_mode_32 3
		.amdhsa_float_denorm_mode_16_64 3
		.amdhsa_dx10_clamp 1
		.amdhsa_ieee_mode 1
		.amdhsa_fp16_overflow 0
		.amdhsa_exception_fp_ieee_invalid_op 0
		.amdhsa_exception_fp_denorm_src 0
		.amdhsa_exception_fp_ieee_div_zero 0
		.amdhsa_exception_fp_ieee_overflow 0
		.amdhsa_exception_fp_ieee_underflow 0
		.amdhsa_exception_fp_ieee_inexact 0
		.amdhsa_exception_int_div_zero 0
	.end_amdhsa_kernel
	.section	.text._ZN7rocprim17ROCPRIM_400000_NS6detail17trampoline_kernelINS0_14default_configENS1_36segmented_radix_sort_config_selectorIilEEZNS1_25segmented_radix_sort_implIS3_Lb1EPKiPiPKlPlN2at6native12_GLOBAL__N_18offset_tEEE10hipError_tPvRmT1_PNSt15iterator_traitsISK_E10value_typeET2_T3_PNSL_ISQ_E10value_typeET4_jRbjT5_SW_jjP12ihipStream_tbEUlT_E2_NS1_11comp_targetILNS1_3genE10ELNS1_11target_archE1200ELNS1_3gpuE4ELNS1_3repE0EEENS1_30default_config_static_selectorELNS0_4arch9wavefront6targetE1EEEvSK_,"axG",@progbits,_ZN7rocprim17ROCPRIM_400000_NS6detail17trampoline_kernelINS0_14default_configENS1_36segmented_radix_sort_config_selectorIilEEZNS1_25segmented_radix_sort_implIS3_Lb1EPKiPiPKlPlN2at6native12_GLOBAL__N_18offset_tEEE10hipError_tPvRmT1_PNSt15iterator_traitsISK_E10value_typeET2_T3_PNSL_ISQ_E10value_typeET4_jRbjT5_SW_jjP12ihipStream_tbEUlT_E2_NS1_11comp_targetILNS1_3genE10ELNS1_11target_archE1200ELNS1_3gpuE4ELNS1_3repE0EEENS1_30default_config_static_selectorELNS0_4arch9wavefront6targetE1EEEvSK_,comdat
.Lfunc_end533:
	.size	_ZN7rocprim17ROCPRIM_400000_NS6detail17trampoline_kernelINS0_14default_configENS1_36segmented_radix_sort_config_selectorIilEEZNS1_25segmented_radix_sort_implIS3_Lb1EPKiPiPKlPlN2at6native12_GLOBAL__N_18offset_tEEE10hipError_tPvRmT1_PNSt15iterator_traitsISK_E10value_typeET2_T3_PNSL_ISQ_E10value_typeET4_jRbjT5_SW_jjP12ihipStream_tbEUlT_E2_NS1_11comp_targetILNS1_3genE10ELNS1_11target_archE1200ELNS1_3gpuE4ELNS1_3repE0EEENS1_30default_config_static_selectorELNS0_4arch9wavefront6targetE1EEEvSK_, .Lfunc_end533-_ZN7rocprim17ROCPRIM_400000_NS6detail17trampoline_kernelINS0_14default_configENS1_36segmented_radix_sort_config_selectorIilEEZNS1_25segmented_radix_sort_implIS3_Lb1EPKiPiPKlPlN2at6native12_GLOBAL__N_18offset_tEEE10hipError_tPvRmT1_PNSt15iterator_traitsISK_E10value_typeET2_T3_PNSL_ISQ_E10value_typeET4_jRbjT5_SW_jjP12ihipStream_tbEUlT_E2_NS1_11comp_targetILNS1_3genE10ELNS1_11target_archE1200ELNS1_3gpuE4ELNS1_3repE0EEENS1_30default_config_static_selectorELNS0_4arch9wavefront6targetE1EEEvSK_
                                        ; -- End function
	.set _ZN7rocprim17ROCPRIM_400000_NS6detail17trampoline_kernelINS0_14default_configENS1_36segmented_radix_sort_config_selectorIilEEZNS1_25segmented_radix_sort_implIS3_Lb1EPKiPiPKlPlN2at6native12_GLOBAL__N_18offset_tEEE10hipError_tPvRmT1_PNSt15iterator_traitsISK_E10value_typeET2_T3_PNSL_ISQ_E10value_typeET4_jRbjT5_SW_jjP12ihipStream_tbEUlT_E2_NS1_11comp_targetILNS1_3genE10ELNS1_11target_archE1200ELNS1_3gpuE4ELNS1_3repE0EEENS1_30default_config_static_selectorELNS0_4arch9wavefront6targetE1EEEvSK_.num_vgpr, 0
	.set _ZN7rocprim17ROCPRIM_400000_NS6detail17trampoline_kernelINS0_14default_configENS1_36segmented_radix_sort_config_selectorIilEEZNS1_25segmented_radix_sort_implIS3_Lb1EPKiPiPKlPlN2at6native12_GLOBAL__N_18offset_tEEE10hipError_tPvRmT1_PNSt15iterator_traitsISK_E10value_typeET2_T3_PNSL_ISQ_E10value_typeET4_jRbjT5_SW_jjP12ihipStream_tbEUlT_E2_NS1_11comp_targetILNS1_3genE10ELNS1_11target_archE1200ELNS1_3gpuE4ELNS1_3repE0EEENS1_30default_config_static_selectorELNS0_4arch9wavefront6targetE1EEEvSK_.num_agpr, 0
	.set _ZN7rocprim17ROCPRIM_400000_NS6detail17trampoline_kernelINS0_14default_configENS1_36segmented_radix_sort_config_selectorIilEEZNS1_25segmented_radix_sort_implIS3_Lb1EPKiPiPKlPlN2at6native12_GLOBAL__N_18offset_tEEE10hipError_tPvRmT1_PNSt15iterator_traitsISK_E10value_typeET2_T3_PNSL_ISQ_E10value_typeET4_jRbjT5_SW_jjP12ihipStream_tbEUlT_E2_NS1_11comp_targetILNS1_3genE10ELNS1_11target_archE1200ELNS1_3gpuE4ELNS1_3repE0EEENS1_30default_config_static_selectorELNS0_4arch9wavefront6targetE1EEEvSK_.numbered_sgpr, 0
	.set _ZN7rocprim17ROCPRIM_400000_NS6detail17trampoline_kernelINS0_14default_configENS1_36segmented_radix_sort_config_selectorIilEEZNS1_25segmented_radix_sort_implIS3_Lb1EPKiPiPKlPlN2at6native12_GLOBAL__N_18offset_tEEE10hipError_tPvRmT1_PNSt15iterator_traitsISK_E10value_typeET2_T3_PNSL_ISQ_E10value_typeET4_jRbjT5_SW_jjP12ihipStream_tbEUlT_E2_NS1_11comp_targetILNS1_3genE10ELNS1_11target_archE1200ELNS1_3gpuE4ELNS1_3repE0EEENS1_30default_config_static_selectorELNS0_4arch9wavefront6targetE1EEEvSK_.num_named_barrier, 0
	.set _ZN7rocprim17ROCPRIM_400000_NS6detail17trampoline_kernelINS0_14default_configENS1_36segmented_radix_sort_config_selectorIilEEZNS1_25segmented_radix_sort_implIS3_Lb1EPKiPiPKlPlN2at6native12_GLOBAL__N_18offset_tEEE10hipError_tPvRmT1_PNSt15iterator_traitsISK_E10value_typeET2_T3_PNSL_ISQ_E10value_typeET4_jRbjT5_SW_jjP12ihipStream_tbEUlT_E2_NS1_11comp_targetILNS1_3genE10ELNS1_11target_archE1200ELNS1_3gpuE4ELNS1_3repE0EEENS1_30default_config_static_selectorELNS0_4arch9wavefront6targetE1EEEvSK_.private_seg_size, 0
	.set _ZN7rocprim17ROCPRIM_400000_NS6detail17trampoline_kernelINS0_14default_configENS1_36segmented_radix_sort_config_selectorIilEEZNS1_25segmented_radix_sort_implIS3_Lb1EPKiPiPKlPlN2at6native12_GLOBAL__N_18offset_tEEE10hipError_tPvRmT1_PNSt15iterator_traitsISK_E10value_typeET2_T3_PNSL_ISQ_E10value_typeET4_jRbjT5_SW_jjP12ihipStream_tbEUlT_E2_NS1_11comp_targetILNS1_3genE10ELNS1_11target_archE1200ELNS1_3gpuE4ELNS1_3repE0EEENS1_30default_config_static_selectorELNS0_4arch9wavefront6targetE1EEEvSK_.uses_vcc, 0
	.set _ZN7rocprim17ROCPRIM_400000_NS6detail17trampoline_kernelINS0_14default_configENS1_36segmented_radix_sort_config_selectorIilEEZNS1_25segmented_radix_sort_implIS3_Lb1EPKiPiPKlPlN2at6native12_GLOBAL__N_18offset_tEEE10hipError_tPvRmT1_PNSt15iterator_traitsISK_E10value_typeET2_T3_PNSL_ISQ_E10value_typeET4_jRbjT5_SW_jjP12ihipStream_tbEUlT_E2_NS1_11comp_targetILNS1_3genE10ELNS1_11target_archE1200ELNS1_3gpuE4ELNS1_3repE0EEENS1_30default_config_static_selectorELNS0_4arch9wavefront6targetE1EEEvSK_.uses_flat_scratch, 0
	.set _ZN7rocprim17ROCPRIM_400000_NS6detail17trampoline_kernelINS0_14default_configENS1_36segmented_radix_sort_config_selectorIilEEZNS1_25segmented_radix_sort_implIS3_Lb1EPKiPiPKlPlN2at6native12_GLOBAL__N_18offset_tEEE10hipError_tPvRmT1_PNSt15iterator_traitsISK_E10value_typeET2_T3_PNSL_ISQ_E10value_typeET4_jRbjT5_SW_jjP12ihipStream_tbEUlT_E2_NS1_11comp_targetILNS1_3genE10ELNS1_11target_archE1200ELNS1_3gpuE4ELNS1_3repE0EEENS1_30default_config_static_selectorELNS0_4arch9wavefront6targetE1EEEvSK_.has_dyn_sized_stack, 0
	.set _ZN7rocprim17ROCPRIM_400000_NS6detail17trampoline_kernelINS0_14default_configENS1_36segmented_radix_sort_config_selectorIilEEZNS1_25segmented_radix_sort_implIS3_Lb1EPKiPiPKlPlN2at6native12_GLOBAL__N_18offset_tEEE10hipError_tPvRmT1_PNSt15iterator_traitsISK_E10value_typeET2_T3_PNSL_ISQ_E10value_typeET4_jRbjT5_SW_jjP12ihipStream_tbEUlT_E2_NS1_11comp_targetILNS1_3genE10ELNS1_11target_archE1200ELNS1_3gpuE4ELNS1_3repE0EEENS1_30default_config_static_selectorELNS0_4arch9wavefront6targetE1EEEvSK_.has_recursion, 0
	.set _ZN7rocprim17ROCPRIM_400000_NS6detail17trampoline_kernelINS0_14default_configENS1_36segmented_radix_sort_config_selectorIilEEZNS1_25segmented_radix_sort_implIS3_Lb1EPKiPiPKlPlN2at6native12_GLOBAL__N_18offset_tEEE10hipError_tPvRmT1_PNSt15iterator_traitsISK_E10value_typeET2_T3_PNSL_ISQ_E10value_typeET4_jRbjT5_SW_jjP12ihipStream_tbEUlT_E2_NS1_11comp_targetILNS1_3genE10ELNS1_11target_archE1200ELNS1_3gpuE4ELNS1_3repE0EEENS1_30default_config_static_selectorELNS0_4arch9wavefront6targetE1EEEvSK_.has_indirect_call, 0
	.section	.AMDGPU.csdata,"",@progbits
; Kernel info:
; codeLenInByte = 0
; TotalNumSgprs: 4
; NumVgprs: 0
; ScratchSize: 0
; MemoryBound: 0
; FloatMode: 240
; IeeeMode: 1
; LDSByteSize: 0 bytes/workgroup (compile time only)
; SGPRBlocks: 0
; VGPRBlocks: 0
; NumSGPRsForWavesPerEU: 4
; NumVGPRsForWavesPerEU: 1
; Occupancy: 10
; WaveLimiterHint : 0
; COMPUTE_PGM_RSRC2:SCRATCH_EN: 0
; COMPUTE_PGM_RSRC2:USER_SGPR: 6
; COMPUTE_PGM_RSRC2:TRAP_HANDLER: 0
; COMPUTE_PGM_RSRC2:TGID_X_EN: 1
; COMPUTE_PGM_RSRC2:TGID_Y_EN: 0
; COMPUTE_PGM_RSRC2:TGID_Z_EN: 0
; COMPUTE_PGM_RSRC2:TIDIG_COMP_CNT: 0
	.section	.text._ZN7rocprim17ROCPRIM_400000_NS6detail17trampoline_kernelINS0_14default_configENS1_36segmented_radix_sort_config_selectorIilEEZNS1_25segmented_radix_sort_implIS3_Lb1EPKiPiPKlPlN2at6native12_GLOBAL__N_18offset_tEEE10hipError_tPvRmT1_PNSt15iterator_traitsISK_E10value_typeET2_T3_PNSL_ISQ_E10value_typeET4_jRbjT5_SW_jjP12ihipStream_tbEUlT_E2_NS1_11comp_targetILNS1_3genE9ELNS1_11target_archE1100ELNS1_3gpuE3ELNS1_3repE0EEENS1_30default_config_static_selectorELNS0_4arch9wavefront6targetE1EEEvSK_,"axG",@progbits,_ZN7rocprim17ROCPRIM_400000_NS6detail17trampoline_kernelINS0_14default_configENS1_36segmented_radix_sort_config_selectorIilEEZNS1_25segmented_radix_sort_implIS3_Lb1EPKiPiPKlPlN2at6native12_GLOBAL__N_18offset_tEEE10hipError_tPvRmT1_PNSt15iterator_traitsISK_E10value_typeET2_T3_PNSL_ISQ_E10value_typeET4_jRbjT5_SW_jjP12ihipStream_tbEUlT_E2_NS1_11comp_targetILNS1_3genE9ELNS1_11target_archE1100ELNS1_3gpuE3ELNS1_3repE0EEENS1_30default_config_static_selectorELNS0_4arch9wavefront6targetE1EEEvSK_,comdat
	.globl	_ZN7rocprim17ROCPRIM_400000_NS6detail17trampoline_kernelINS0_14default_configENS1_36segmented_radix_sort_config_selectorIilEEZNS1_25segmented_radix_sort_implIS3_Lb1EPKiPiPKlPlN2at6native12_GLOBAL__N_18offset_tEEE10hipError_tPvRmT1_PNSt15iterator_traitsISK_E10value_typeET2_T3_PNSL_ISQ_E10value_typeET4_jRbjT5_SW_jjP12ihipStream_tbEUlT_E2_NS1_11comp_targetILNS1_3genE9ELNS1_11target_archE1100ELNS1_3gpuE3ELNS1_3repE0EEENS1_30default_config_static_selectorELNS0_4arch9wavefront6targetE1EEEvSK_ ; -- Begin function _ZN7rocprim17ROCPRIM_400000_NS6detail17trampoline_kernelINS0_14default_configENS1_36segmented_radix_sort_config_selectorIilEEZNS1_25segmented_radix_sort_implIS3_Lb1EPKiPiPKlPlN2at6native12_GLOBAL__N_18offset_tEEE10hipError_tPvRmT1_PNSt15iterator_traitsISK_E10value_typeET2_T3_PNSL_ISQ_E10value_typeET4_jRbjT5_SW_jjP12ihipStream_tbEUlT_E2_NS1_11comp_targetILNS1_3genE9ELNS1_11target_archE1100ELNS1_3gpuE3ELNS1_3repE0EEENS1_30default_config_static_selectorELNS0_4arch9wavefront6targetE1EEEvSK_
	.p2align	8
	.type	_ZN7rocprim17ROCPRIM_400000_NS6detail17trampoline_kernelINS0_14default_configENS1_36segmented_radix_sort_config_selectorIilEEZNS1_25segmented_radix_sort_implIS3_Lb1EPKiPiPKlPlN2at6native12_GLOBAL__N_18offset_tEEE10hipError_tPvRmT1_PNSt15iterator_traitsISK_E10value_typeET2_T3_PNSL_ISQ_E10value_typeET4_jRbjT5_SW_jjP12ihipStream_tbEUlT_E2_NS1_11comp_targetILNS1_3genE9ELNS1_11target_archE1100ELNS1_3gpuE3ELNS1_3repE0EEENS1_30default_config_static_selectorELNS0_4arch9wavefront6targetE1EEEvSK_,@function
_ZN7rocprim17ROCPRIM_400000_NS6detail17trampoline_kernelINS0_14default_configENS1_36segmented_radix_sort_config_selectorIilEEZNS1_25segmented_radix_sort_implIS3_Lb1EPKiPiPKlPlN2at6native12_GLOBAL__N_18offset_tEEE10hipError_tPvRmT1_PNSt15iterator_traitsISK_E10value_typeET2_T3_PNSL_ISQ_E10value_typeET4_jRbjT5_SW_jjP12ihipStream_tbEUlT_E2_NS1_11comp_targetILNS1_3genE9ELNS1_11target_archE1100ELNS1_3gpuE3ELNS1_3repE0EEENS1_30default_config_static_selectorELNS0_4arch9wavefront6targetE1EEEvSK_: ; @_ZN7rocprim17ROCPRIM_400000_NS6detail17trampoline_kernelINS0_14default_configENS1_36segmented_radix_sort_config_selectorIilEEZNS1_25segmented_radix_sort_implIS3_Lb1EPKiPiPKlPlN2at6native12_GLOBAL__N_18offset_tEEE10hipError_tPvRmT1_PNSt15iterator_traitsISK_E10value_typeET2_T3_PNSL_ISQ_E10value_typeET4_jRbjT5_SW_jjP12ihipStream_tbEUlT_E2_NS1_11comp_targetILNS1_3genE9ELNS1_11target_archE1100ELNS1_3gpuE3ELNS1_3repE0EEENS1_30default_config_static_selectorELNS0_4arch9wavefront6targetE1EEEvSK_
; %bb.0:
	.section	.rodata,"a",@progbits
	.p2align	6, 0x0
	.amdhsa_kernel _ZN7rocprim17ROCPRIM_400000_NS6detail17trampoline_kernelINS0_14default_configENS1_36segmented_radix_sort_config_selectorIilEEZNS1_25segmented_radix_sort_implIS3_Lb1EPKiPiPKlPlN2at6native12_GLOBAL__N_18offset_tEEE10hipError_tPvRmT1_PNSt15iterator_traitsISK_E10value_typeET2_T3_PNSL_ISQ_E10value_typeET4_jRbjT5_SW_jjP12ihipStream_tbEUlT_E2_NS1_11comp_targetILNS1_3genE9ELNS1_11target_archE1100ELNS1_3gpuE3ELNS1_3repE0EEENS1_30default_config_static_selectorELNS0_4arch9wavefront6targetE1EEEvSK_
		.amdhsa_group_segment_fixed_size 0
		.amdhsa_private_segment_fixed_size 0
		.amdhsa_kernarg_size 80
		.amdhsa_user_sgpr_count 6
		.amdhsa_user_sgpr_private_segment_buffer 1
		.amdhsa_user_sgpr_dispatch_ptr 0
		.amdhsa_user_sgpr_queue_ptr 0
		.amdhsa_user_sgpr_kernarg_segment_ptr 1
		.amdhsa_user_sgpr_dispatch_id 0
		.amdhsa_user_sgpr_flat_scratch_init 0
		.amdhsa_user_sgpr_private_segment_size 0
		.amdhsa_uses_dynamic_stack 0
		.amdhsa_system_sgpr_private_segment_wavefront_offset 0
		.amdhsa_system_sgpr_workgroup_id_x 1
		.amdhsa_system_sgpr_workgroup_id_y 0
		.amdhsa_system_sgpr_workgroup_id_z 0
		.amdhsa_system_sgpr_workgroup_info 0
		.amdhsa_system_vgpr_workitem_id 0
		.amdhsa_next_free_vgpr 1
		.amdhsa_next_free_sgpr 0
		.amdhsa_reserve_vcc 0
		.amdhsa_reserve_flat_scratch 0
		.amdhsa_float_round_mode_32 0
		.amdhsa_float_round_mode_16_64 0
		.amdhsa_float_denorm_mode_32 3
		.amdhsa_float_denorm_mode_16_64 3
		.amdhsa_dx10_clamp 1
		.amdhsa_ieee_mode 1
		.amdhsa_fp16_overflow 0
		.amdhsa_exception_fp_ieee_invalid_op 0
		.amdhsa_exception_fp_denorm_src 0
		.amdhsa_exception_fp_ieee_div_zero 0
		.amdhsa_exception_fp_ieee_overflow 0
		.amdhsa_exception_fp_ieee_underflow 0
		.amdhsa_exception_fp_ieee_inexact 0
		.amdhsa_exception_int_div_zero 0
	.end_amdhsa_kernel
	.section	.text._ZN7rocprim17ROCPRIM_400000_NS6detail17trampoline_kernelINS0_14default_configENS1_36segmented_radix_sort_config_selectorIilEEZNS1_25segmented_radix_sort_implIS3_Lb1EPKiPiPKlPlN2at6native12_GLOBAL__N_18offset_tEEE10hipError_tPvRmT1_PNSt15iterator_traitsISK_E10value_typeET2_T3_PNSL_ISQ_E10value_typeET4_jRbjT5_SW_jjP12ihipStream_tbEUlT_E2_NS1_11comp_targetILNS1_3genE9ELNS1_11target_archE1100ELNS1_3gpuE3ELNS1_3repE0EEENS1_30default_config_static_selectorELNS0_4arch9wavefront6targetE1EEEvSK_,"axG",@progbits,_ZN7rocprim17ROCPRIM_400000_NS6detail17trampoline_kernelINS0_14default_configENS1_36segmented_radix_sort_config_selectorIilEEZNS1_25segmented_radix_sort_implIS3_Lb1EPKiPiPKlPlN2at6native12_GLOBAL__N_18offset_tEEE10hipError_tPvRmT1_PNSt15iterator_traitsISK_E10value_typeET2_T3_PNSL_ISQ_E10value_typeET4_jRbjT5_SW_jjP12ihipStream_tbEUlT_E2_NS1_11comp_targetILNS1_3genE9ELNS1_11target_archE1100ELNS1_3gpuE3ELNS1_3repE0EEENS1_30default_config_static_selectorELNS0_4arch9wavefront6targetE1EEEvSK_,comdat
.Lfunc_end534:
	.size	_ZN7rocprim17ROCPRIM_400000_NS6detail17trampoline_kernelINS0_14default_configENS1_36segmented_radix_sort_config_selectorIilEEZNS1_25segmented_radix_sort_implIS3_Lb1EPKiPiPKlPlN2at6native12_GLOBAL__N_18offset_tEEE10hipError_tPvRmT1_PNSt15iterator_traitsISK_E10value_typeET2_T3_PNSL_ISQ_E10value_typeET4_jRbjT5_SW_jjP12ihipStream_tbEUlT_E2_NS1_11comp_targetILNS1_3genE9ELNS1_11target_archE1100ELNS1_3gpuE3ELNS1_3repE0EEENS1_30default_config_static_selectorELNS0_4arch9wavefront6targetE1EEEvSK_, .Lfunc_end534-_ZN7rocprim17ROCPRIM_400000_NS6detail17trampoline_kernelINS0_14default_configENS1_36segmented_radix_sort_config_selectorIilEEZNS1_25segmented_radix_sort_implIS3_Lb1EPKiPiPKlPlN2at6native12_GLOBAL__N_18offset_tEEE10hipError_tPvRmT1_PNSt15iterator_traitsISK_E10value_typeET2_T3_PNSL_ISQ_E10value_typeET4_jRbjT5_SW_jjP12ihipStream_tbEUlT_E2_NS1_11comp_targetILNS1_3genE9ELNS1_11target_archE1100ELNS1_3gpuE3ELNS1_3repE0EEENS1_30default_config_static_selectorELNS0_4arch9wavefront6targetE1EEEvSK_
                                        ; -- End function
	.set _ZN7rocprim17ROCPRIM_400000_NS6detail17trampoline_kernelINS0_14default_configENS1_36segmented_radix_sort_config_selectorIilEEZNS1_25segmented_radix_sort_implIS3_Lb1EPKiPiPKlPlN2at6native12_GLOBAL__N_18offset_tEEE10hipError_tPvRmT1_PNSt15iterator_traitsISK_E10value_typeET2_T3_PNSL_ISQ_E10value_typeET4_jRbjT5_SW_jjP12ihipStream_tbEUlT_E2_NS1_11comp_targetILNS1_3genE9ELNS1_11target_archE1100ELNS1_3gpuE3ELNS1_3repE0EEENS1_30default_config_static_selectorELNS0_4arch9wavefront6targetE1EEEvSK_.num_vgpr, 0
	.set _ZN7rocprim17ROCPRIM_400000_NS6detail17trampoline_kernelINS0_14default_configENS1_36segmented_radix_sort_config_selectorIilEEZNS1_25segmented_radix_sort_implIS3_Lb1EPKiPiPKlPlN2at6native12_GLOBAL__N_18offset_tEEE10hipError_tPvRmT1_PNSt15iterator_traitsISK_E10value_typeET2_T3_PNSL_ISQ_E10value_typeET4_jRbjT5_SW_jjP12ihipStream_tbEUlT_E2_NS1_11comp_targetILNS1_3genE9ELNS1_11target_archE1100ELNS1_3gpuE3ELNS1_3repE0EEENS1_30default_config_static_selectorELNS0_4arch9wavefront6targetE1EEEvSK_.num_agpr, 0
	.set _ZN7rocprim17ROCPRIM_400000_NS6detail17trampoline_kernelINS0_14default_configENS1_36segmented_radix_sort_config_selectorIilEEZNS1_25segmented_radix_sort_implIS3_Lb1EPKiPiPKlPlN2at6native12_GLOBAL__N_18offset_tEEE10hipError_tPvRmT1_PNSt15iterator_traitsISK_E10value_typeET2_T3_PNSL_ISQ_E10value_typeET4_jRbjT5_SW_jjP12ihipStream_tbEUlT_E2_NS1_11comp_targetILNS1_3genE9ELNS1_11target_archE1100ELNS1_3gpuE3ELNS1_3repE0EEENS1_30default_config_static_selectorELNS0_4arch9wavefront6targetE1EEEvSK_.numbered_sgpr, 0
	.set _ZN7rocprim17ROCPRIM_400000_NS6detail17trampoline_kernelINS0_14default_configENS1_36segmented_radix_sort_config_selectorIilEEZNS1_25segmented_radix_sort_implIS3_Lb1EPKiPiPKlPlN2at6native12_GLOBAL__N_18offset_tEEE10hipError_tPvRmT1_PNSt15iterator_traitsISK_E10value_typeET2_T3_PNSL_ISQ_E10value_typeET4_jRbjT5_SW_jjP12ihipStream_tbEUlT_E2_NS1_11comp_targetILNS1_3genE9ELNS1_11target_archE1100ELNS1_3gpuE3ELNS1_3repE0EEENS1_30default_config_static_selectorELNS0_4arch9wavefront6targetE1EEEvSK_.num_named_barrier, 0
	.set _ZN7rocprim17ROCPRIM_400000_NS6detail17trampoline_kernelINS0_14default_configENS1_36segmented_radix_sort_config_selectorIilEEZNS1_25segmented_radix_sort_implIS3_Lb1EPKiPiPKlPlN2at6native12_GLOBAL__N_18offset_tEEE10hipError_tPvRmT1_PNSt15iterator_traitsISK_E10value_typeET2_T3_PNSL_ISQ_E10value_typeET4_jRbjT5_SW_jjP12ihipStream_tbEUlT_E2_NS1_11comp_targetILNS1_3genE9ELNS1_11target_archE1100ELNS1_3gpuE3ELNS1_3repE0EEENS1_30default_config_static_selectorELNS0_4arch9wavefront6targetE1EEEvSK_.private_seg_size, 0
	.set _ZN7rocprim17ROCPRIM_400000_NS6detail17trampoline_kernelINS0_14default_configENS1_36segmented_radix_sort_config_selectorIilEEZNS1_25segmented_radix_sort_implIS3_Lb1EPKiPiPKlPlN2at6native12_GLOBAL__N_18offset_tEEE10hipError_tPvRmT1_PNSt15iterator_traitsISK_E10value_typeET2_T3_PNSL_ISQ_E10value_typeET4_jRbjT5_SW_jjP12ihipStream_tbEUlT_E2_NS1_11comp_targetILNS1_3genE9ELNS1_11target_archE1100ELNS1_3gpuE3ELNS1_3repE0EEENS1_30default_config_static_selectorELNS0_4arch9wavefront6targetE1EEEvSK_.uses_vcc, 0
	.set _ZN7rocprim17ROCPRIM_400000_NS6detail17trampoline_kernelINS0_14default_configENS1_36segmented_radix_sort_config_selectorIilEEZNS1_25segmented_radix_sort_implIS3_Lb1EPKiPiPKlPlN2at6native12_GLOBAL__N_18offset_tEEE10hipError_tPvRmT1_PNSt15iterator_traitsISK_E10value_typeET2_T3_PNSL_ISQ_E10value_typeET4_jRbjT5_SW_jjP12ihipStream_tbEUlT_E2_NS1_11comp_targetILNS1_3genE9ELNS1_11target_archE1100ELNS1_3gpuE3ELNS1_3repE0EEENS1_30default_config_static_selectorELNS0_4arch9wavefront6targetE1EEEvSK_.uses_flat_scratch, 0
	.set _ZN7rocprim17ROCPRIM_400000_NS6detail17trampoline_kernelINS0_14default_configENS1_36segmented_radix_sort_config_selectorIilEEZNS1_25segmented_radix_sort_implIS3_Lb1EPKiPiPKlPlN2at6native12_GLOBAL__N_18offset_tEEE10hipError_tPvRmT1_PNSt15iterator_traitsISK_E10value_typeET2_T3_PNSL_ISQ_E10value_typeET4_jRbjT5_SW_jjP12ihipStream_tbEUlT_E2_NS1_11comp_targetILNS1_3genE9ELNS1_11target_archE1100ELNS1_3gpuE3ELNS1_3repE0EEENS1_30default_config_static_selectorELNS0_4arch9wavefront6targetE1EEEvSK_.has_dyn_sized_stack, 0
	.set _ZN7rocprim17ROCPRIM_400000_NS6detail17trampoline_kernelINS0_14default_configENS1_36segmented_radix_sort_config_selectorIilEEZNS1_25segmented_radix_sort_implIS3_Lb1EPKiPiPKlPlN2at6native12_GLOBAL__N_18offset_tEEE10hipError_tPvRmT1_PNSt15iterator_traitsISK_E10value_typeET2_T3_PNSL_ISQ_E10value_typeET4_jRbjT5_SW_jjP12ihipStream_tbEUlT_E2_NS1_11comp_targetILNS1_3genE9ELNS1_11target_archE1100ELNS1_3gpuE3ELNS1_3repE0EEENS1_30default_config_static_selectorELNS0_4arch9wavefront6targetE1EEEvSK_.has_recursion, 0
	.set _ZN7rocprim17ROCPRIM_400000_NS6detail17trampoline_kernelINS0_14default_configENS1_36segmented_radix_sort_config_selectorIilEEZNS1_25segmented_radix_sort_implIS3_Lb1EPKiPiPKlPlN2at6native12_GLOBAL__N_18offset_tEEE10hipError_tPvRmT1_PNSt15iterator_traitsISK_E10value_typeET2_T3_PNSL_ISQ_E10value_typeET4_jRbjT5_SW_jjP12ihipStream_tbEUlT_E2_NS1_11comp_targetILNS1_3genE9ELNS1_11target_archE1100ELNS1_3gpuE3ELNS1_3repE0EEENS1_30default_config_static_selectorELNS0_4arch9wavefront6targetE1EEEvSK_.has_indirect_call, 0
	.section	.AMDGPU.csdata,"",@progbits
; Kernel info:
; codeLenInByte = 0
; TotalNumSgprs: 4
; NumVgprs: 0
; ScratchSize: 0
; MemoryBound: 0
; FloatMode: 240
; IeeeMode: 1
; LDSByteSize: 0 bytes/workgroup (compile time only)
; SGPRBlocks: 0
; VGPRBlocks: 0
; NumSGPRsForWavesPerEU: 4
; NumVGPRsForWavesPerEU: 1
; Occupancy: 10
; WaveLimiterHint : 0
; COMPUTE_PGM_RSRC2:SCRATCH_EN: 0
; COMPUTE_PGM_RSRC2:USER_SGPR: 6
; COMPUTE_PGM_RSRC2:TRAP_HANDLER: 0
; COMPUTE_PGM_RSRC2:TGID_X_EN: 1
; COMPUTE_PGM_RSRC2:TGID_Y_EN: 0
; COMPUTE_PGM_RSRC2:TGID_Z_EN: 0
; COMPUTE_PGM_RSRC2:TIDIG_COMP_CNT: 0
	.section	.text._ZN7rocprim17ROCPRIM_400000_NS6detail17trampoline_kernelINS0_14default_configENS1_36segmented_radix_sort_config_selectorIilEEZNS1_25segmented_radix_sort_implIS3_Lb1EPKiPiPKlPlN2at6native12_GLOBAL__N_18offset_tEEE10hipError_tPvRmT1_PNSt15iterator_traitsISK_E10value_typeET2_T3_PNSL_ISQ_E10value_typeET4_jRbjT5_SW_jjP12ihipStream_tbEUlT_E2_NS1_11comp_targetILNS1_3genE8ELNS1_11target_archE1030ELNS1_3gpuE2ELNS1_3repE0EEENS1_30default_config_static_selectorELNS0_4arch9wavefront6targetE1EEEvSK_,"axG",@progbits,_ZN7rocprim17ROCPRIM_400000_NS6detail17trampoline_kernelINS0_14default_configENS1_36segmented_radix_sort_config_selectorIilEEZNS1_25segmented_radix_sort_implIS3_Lb1EPKiPiPKlPlN2at6native12_GLOBAL__N_18offset_tEEE10hipError_tPvRmT1_PNSt15iterator_traitsISK_E10value_typeET2_T3_PNSL_ISQ_E10value_typeET4_jRbjT5_SW_jjP12ihipStream_tbEUlT_E2_NS1_11comp_targetILNS1_3genE8ELNS1_11target_archE1030ELNS1_3gpuE2ELNS1_3repE0EEENS1_30default_config_static_selectorELNS0_4arch9wavefront6targetE1EEEvSK_,comdat
	.globl	_ZN7rocprim17ROCPRIM_400000_NS6detail17trampoline_kernelINS0_14default_configENS1_36segmented_radix_sort_config_selectorIilEEZNS1_25segmented_radix_sort_implIS3_Lb1EPKiPiPKlPlN2at6native12_GLOBAL__N_18offset_tEEE10hipError_tPvRmT1_PNSt15iterator_traitsISK_E10value_typeET2_T3_PNSL_ISQ_E10value_typeET4_jRbjT5_SW_jjP12ihipStream_tbEUlT_E2_NS1_11comp_targetILNS1_3genE8ELNS1_11target_archE1030ELNS1_3gpuE2ELNS1_3repE0EEENS1_30default_config_static_selectorELNS0_4arch9wavefront6targetE1EEEvSK_ ; -- Begin function _ZN7rocprim17ROCPRIM_400000_NS6detail17trampoline_kernelINS0_14default_configENS1_36segmented_radix_sort_config_selectorIilEEZNS1_25segmented_radix_sort_implIS3_Lb1EPKiPiPKlPlN2at6native12_GLOBAL__N_18offset_tEEE10hipError_tPvRmT1_PNSt15iterator_traitsISK_E10value_typeET2_T3_PNSL_ISQ_E10value_typeET4_jRbjT5_SW_jjP12ihipStream_tbEUlT_E2_NS1_11comp_targetILNS1_3genE8ELNS1_11target_archE1030ELNS1_3gpuE2ELNS1_3repE0EEENS1_30default_config_static_selectorELNS0_4arch9wavefront6targetE1EEEvSK_
	.p2align	8
	.type	_ZN7rocprim17ROCPRIM_400000_NS6detail17trampoline_kernelINS0_14default_configENS1_36segmented_radix_sort_config_selectorIilEEZNS1_25segmented_radix_sort_implIS3_Lb1EPKiPiPKlPlN2at6native12_GLOBAL__N_18offset_tEEE10hipError_tPvRmT1_PNSt15iterator_traitsISK_E10value_typeET2_T3_PNSL_ISQ_E10value_typeET4_jRbjT5_SW_jjP12ihipStream_tbEUlT_E2_NS1_11comp_targetILNS1_3genE8ELNS1_11target_archE1030ELNS1_3gpuE2ELNS1_3repE0EEENS1_30default_config_static_selectorELNS0_4arch9wavefront6targetE1EEEvSK_,@function
_ZN7rocprim17ROCPRIM_400000_NS6detail17trampoline_kernelINS0_14default_configENS1_36segmented_radix_sort_config_selectorIilEEZNS1_25segmented_radix_sort_implIS3_Lb1EPKiPiPKlPlN2at6native12_GLOBAL__N_18offset_tEEE10hipError_tPvRmT1_PNSt15iterator_traitsISK_E10value_typeET2_T3_PNSL_ISQ_E10value_typeET4_jRbjT5_SW_jjP12ihipStream_tbEUlT_E2_NS1_11comp_targetILNS1_3genE8ELNS1_11target_archE1030ELNS1_3gpuE2ELNS1_3repE0EEENS1_30default_config_static_selectorELNS0_4arch9wavefront6targetE1EEEvSK_: ; @_ZN7rocprim17ROCPRIM_400000_NS6detail17trampoline_kernelINS0_14default_configENS1_36segmented_radix_sort_config_selectorIilEEZNS1_25segmented_radix_sort_implIS3_Lb1EPKiPiPKlPlN2at6native12_GLOBAL__N_18offset_tEEE10hipError_tPvRmT1_PNSt15iterator_traitsISK_E10value_typeET2_T3_PNSL_ISQ_E10value_typeET4_jRbjT5_SW_jjP12ihipStream_tbEUlT_E2_NS1_11comp_targetILNS1_3genE8ELNS1_11target_archE1030ELNS1_3gpuE2ELNS1_3repE0EEENS1_30default_config_static_selectorELNS0_4arch9wavefront6targetE1EEEvSK_
; %bb.0:
	.section	.rodata,"a",@progbits
	.p2align	6, 0x0
	.amdhsa_kernel _ZN7rocprim17ROCPRIM_400000_NS6detail17trampoline_kernelINS0_14default_configENS1_36segmented_radix_sort_config_selectorIilEEZNS1_25segmented_radix_sort_implIS3_Lb1EPKiPiPKlPlN2at6native12_GLOBAL__N_18offset_tEEE10hipError_tPvRmT1_PNSt15iterator_traitsISK_E10value_typeET2_T3_PNSL_ISQ_E10value_typeET4_jRbjT5_SW_jjP12ihipStream_tbEUlT_E2_NS1_11comp_targetILNS1_3genE8ELNS1_11target_archE1030ELNS1_3gpuE2ELNS1_3repE0EEENS1_30default_config_static_selectorELNS0_4arch9wavefront6targetE1EEEvSK_
		.amdhsa_group_segment_fixed_size 0
		.amdhsa_private_segment_fixed_size 0
		.amdhsa_kernarg_size 80
		.amdhsa_user_sgpr_count 6
		.amdhsa_user_sgpr_private_segment_buffer 1
		.amdhsa_user_sgpr_dispatch_ptr 0
		.amdhsa_user_sgpr_queue_ptr 0
		.amdhsa_user_sgpr_kernarg_segment_ptr 1
		.amdhsa_user_sgpr_dispatch_id 0
		.amdhsa_user_sgpr_flat_scratch_init 0
		.amdhsa_user_sgpr_private_segment_size 0
		.amdhsa_uses_dynamic_stack 0
		.amdhsa_system_sgpr_private_segment_wavefront_offset 0
		.amdhsa_system_sgpr_workgroup_id_x 1
		.amdhsa_system_sgpr_workgroup_id_y 0
		.amdhsa_system_sgpr_workgroup_id_z 0
		.amdhsa_system_sgpr_workgroup_info 0
		.amdhsa_system_vgpr_workitem_id 0
		.amdhsa_next_free_vgpr 1
		.amdhsa_next_free_sgpr 0
		.amdhsa_reserve_vcc 0
		.amdhsa_reserve_flat_scratch 0
		.amdhsa_float_round_mode_32 0
		.amdhsa_float_round_mode_16_64 0
		.amdhsa_float_denorm_mode_32 3
		.amdhsa_float_denorm_mode_16_64 3
		.amdhsa_dx10_clamp 1
		.amdhsa_ieee_mode 1
		.amdhsa_fp16_overflow 0
		.amdhsa_exception_fp_ieee_invalid_op 0
		.amdhsa_exception_fp_denorm_src 0
		.amdhsa_exception_fp_ieee_div_zero 0
		.amdhsa_exception_fp_ieee_overflow 0
		.amdhsa_exception_fp_ieee_underflow 0
		.amdhsa_exception_fp_ieee_inexact 0
		.amdhsa_exception_int_div_zero 0
	.end_amdhsa_kernel
	.section	.text._ZN7rocprim17ROCPRIM_400000_NS6detail17trampoline_kernelINS0_14default_configENS1_36segmented_radix_sort_config_selectorIilEEZNS1_25segmented_radix_sort_implIS3_Lb1EPKiPiPKlPlN2at6native12_GLOBAL__N_18offset_tEEE10hipError_tPvRmT1_PNSt15iterator_traitsISK_E10value_typeET2_T3_PNSL_ISQ_E10value_typeET4_jRbjT5_SW_jjP12ihipStream_tbEUlT_E2_NS1_11comp_targetILNS1_3genE8ELNS1_11target_archE1030ELNS1_3gpuE2ELNS1_3repE0EEENS1_30default_config_static_selectorELNS0_4arch9wavefront6targetE1EEEvSK_,"axG",@progbits,_ZN7rocprim17ROCPRIM_400000_NS6detail17trampoline_kernelINS0_14default_configENS1_36segmented_radix_sort_config_selectorIilEEZNS1_25segmented_radix_sort_implIS3_Lb1EPKiPiPKlPlN2at6native12_GLOBAL__N_18offset_tEEE10hipError_tPvRmT1_PNSt15iterator_traitsISK_E10value_typeET2_T3_PNSL_ISQ_E10value_typeET4_jRbjT5_SW_jjP12ihipStream_tbEUlT_E2_NS1_11comp_targetILNS1_3genE8ELNS1_11target_archE1030ELNS1_3gpuE2ELNS1_3repE0EEENS1_30default_config_static_selectorELNS0_4arch9wavefront6targetE1EEEvSK_,comdat
.Lfunc_end535:
	.size	_ZN7rocprim17ROCPRIM_400000_NS6detail17trampoline_kernelINS0_14default_configENS1_36segmented_radix_sort_config_selectorIilEEZNS1_25segmented_radix_sort_implIS3_Lb1EPKiPiPKlPlN2at6native12_GLOBAL__N_18offset_tEEE10hipError_tPvRmT1_PNSt15iterator_traitsISK_E10value_typeET2_T3_PNSL_ISQ_E10value_typeET4_jRbjT5_SW_jjP12ihipStream_tbEUlT_E2_NS1_11comp_targetILNS1_3genE8ELNS1_11target_archE1030ELNS1_3gpuE2ELNS1_3repE0EEENS1_30default_config_static_selectorELNS0_4arch9wavefront6targetE1EEEvSK_, .Lfunc_end535-_ZN7rocprim17ROCPRIM_400000_NS6detail17trampoline_kernelINS0_14default_configENS1_36segmented_radix_sort_config_selectorIilEEZNS1_25segmented_radix_sort_implIS3_Lb1EPKiPiPKlPlN2at6native12_GLOBAL__N_18offset_tEEE10hipError_tPvRmT1_PNSt15iterator_traitsISK_E10value_typeET2_T3_PNSL_ISQ_E10value_typeET4_jRbjT5_SW_jjP12ihipStream_tbEUlT_E2_NS1_11comp_targetILNS1_3genE8ELNS1_11target_archE1030ELNS1_3gpuE2ELNS1_3repE0EEENS1_30default_config_static_selectorELNS0_4arch9wavefront6targetE1EEEvSK_
                                        ; -- End function
	.set _ZN7rocprim17ROCPRIM_400000_NS6detail17trampoline_kernelINS0_14default_configENS1_36segmented_radix_sort_config_selectorIilEEZNS1_25segmented_radix_sort_implIS3_Lb1EPKiPiPKlPlN2at6native12_GLOBAL__N_18offset_tEEE10hipError_tPvRmT1_PNSt15iterator_traitsISK_E10value_typeET2_T3_PNSL_ISQ_E10value_typeET4_jRbjT5_SW_jjP12ihipStream_tbEUlT_E2_NS1_11comp_targetILNS1_3genE8ELNS1_11target_archE1030ELNS1_3gpuE2ELNS1_3repE0EEENS1_30default_config_static_selectorELNS0_4arch9wavefront6targetE1EEEvSK_.num_vgpr, 0
	.set _ZN7rocprim17ROCPRIM_400000_NS6detail17trampoline_kernelINS0_14default_configENS1_36segmented_radix_sort_config_selectorIilEEZNS1_25segmented_radix_sort_implIS3_Lb1EPKiPiPKlPlN2at6native12_GLOBAL__N_18offset_tEEE10hipError_tPvRmT1_PNSt15iterator_traitsISK_E10value_typeET2_T3_PNSL_ISQ_E10value_typeET4_jRbjT5_SW_jjP12ihipStream_tbEUlT_E2_NS1_11comp_targetILNS1_3genE8ELNS1_11target_archE1030ELNS1_3gpuE2ELNS1_3repE0EEENS1_30default_config_static_selectorELNS0_4arch9wavefront6targetE1EEEvSK_.num_agpr, 0
	.set _ZN7rocprim17ROCPRIM_400000_NS6detail17trampoline_kernelINS0_14default_configENS1_36segmented_radix_sort_config_selectorIilEEZNS1_25segmented_radix_sort_implIS3_Lb1EPKiPiPKlPlN2at6native12_GLOBAL__N_18offset_tEEE10hipError_tPvRmT1_PNSt15iterator_traitsISK_E10value_typeET2_T3_PNSL_ISQ_E10value_typeET4_jRbjT5_SW_jjP12ihipStream_tbEUlT_E2_NS1_11comp_targetILNS1_3genE8ELNS1_11target_archE1030ELNS1_3gpuE2ELNS1_3repE0EEENS1_30default_config_static_selectorELNS0_4arch9wavefront6targetE1EEEvSK_.numbered_sgpr, 0
	.set _ZN7rocprim17ROCPRIM_400000_NS6detail17trampoline_kernelINS0_14default_configENS1_36segmented_radix_sort_config_selectorIilEEZNS1_25segmented_radix_sort_implIS3_Lb1EPKiPiPKlPlN2at6native12_GLOBAL__N_18offset_tEEE10hipError_tPvRmT1_PNSt15iterator_traitsISK_E10value_typeET2_T3_PNSL_ISQ_E10value_typeET4_jRbjT5_SW_jjP12ihipStream_tbEUlT_E2_NS1_11comp_targetILNS1_3genE8ELNS1_11target_archE1030ELNS1_3gpuE2ELNS1_3repE0EEENS1_30default_config_static_selectorELNS0_4arch9wavefront6targetE1EEEvSK_.num_named_barrier, 0
	.set _ZN7rocprim17ROCPRIM_400000_NS6detail17trampoline_kernelINS0_14default_configENS1_36segmented_radix_sort_config_selectorIilEEZNS1_25segmented_radix_sort_implIS3_Lb1EPKiPiPKlPlN2at6native12_GLOBAL__N_18offset_tEEE10hipError_tPvRmT1_PNSt15iterator_traitsISK_E10value_typeET2_T3_PNSL_ISQ_E10value_typeET4_jRbjT5_SW_jjP12ihipStream_tbEUlT_E2_NS1_11comp_targetILNS1_3genE8ELNS1_11target_archE1030ELNS1_3gpuE2ELNS1_3repE0EEENS1_30default_config_static_selectorELNS0_4arch9wavefront6targetE1EEEvSK_.private_seg_size, 0
	.set _ZN7rocprim17ROCPRIM_400000_NS6detail17trampoline_kernelINS0_14default_configENS1_36segmented_radix_sort_config_selectorIilEEZNS1_25segmented_radix_sort_implIS3_Lb1EPKiPiPKlPlN2at6native12_GLOBAL__N_18offset_tEEE10hipError_tPvRmT1_PNSt15iterator_traitsISK_E10value_typeET2_T3_PNSL_ISQ_E10value_typeET4_jRbjT5_SW_jjP12ihipStream_tbEUlT_E2_NS1_11comp_targetILNS1_3genE8ELNS1_11target_archE1030ELNS1_3gpuE2ELNS1_3repE0EEENS1_30default_config_static_selectorELNS0_4arch9wavefront6targetE1EEEvSK_.uses_vcc, 0
	.set _ZN7rocprim17ROCPRIM_400000_NS6detail17trampoline_kernelINS0_14default_configENS1_36segmented_radix_sort_config_selectorIilEEZNS1_25segmented_radix_sort_implIS3_Lb1EPKiPiPKlPlN2at6native12_GLOBAL__N_18offset_tEEE10hipError_tPvRmT1_PNSt15iterator_traitsISK_E10value_typeET2_T3_PNSL_ISQ_E10value_typeET4_jRbjT5_SW_jjP12ihipStream_tbEUlT_E2_NS1_11comp_targetILNS1_3genE8ELNS1_11target_archE1030ELNS1_3gpuE2ELNS1_3repE0EEENS1_30default_config_static_selectorELNS0_4arch9wavefront6targetE1EEEvSK_.uses_flat_scratch, 0
	.set _ZN7rocprim17ROCPRIM_400000_NS6detail17trampoline_kernelINS0_14default_configENS1_36segmented_radix_sort_config_selectorIilEEZNS1_25segmented_radix_sort_implIS3_Lb1EPKiPiPKlPlN2at6native12_GLOBAL__N_18offset_tEEE10hipError_tPvRmT1_PNSt15iterator_traitsISK_E10value_typeET2_T3_PNSL_ISQ_E10value_typeET4_jRbjT5_SW_jjP12ihipStream_tbEUlT_E2_NS1_11comp_targetILNS1_3genE8ELNS1_11target_archE1030ELNS1_3gpuE2ELNS1_3repE0EEENS1_30default_config_static_selectorELNS0_4arch9wavefront6targetE1EEEvSK_.has_dyn_sized_stack, 0
	.set _ZN7rocprim17ROCPRIM_400000_NS6detail17trampoline_kernelINS0_14default_configENS1_36segmented_radix_sort_config_selectorIilEEZNS1_25segmented_radix_sort_implIS3_Lb1EPKiPiPKlPlN2at6native12_GLOBAL__N_18offset_tEEE10hipError_tPvRmT1_PNSt15iterator_traitsISK_E10value_typeET2_T3_PNSL_ISQ_E10value_typeET4_jRbjT5_SW_jjP12ihipStream_tbEUlT_E2_NS1_11comp_targetILNS1_3genE8ELNS1_11target_archE1030ELNS1_3gpuE2ELNS1_3repE0EEENS1_30default_config_static_selectorELNS0_4arch9wavefront6targetE1EEEvSK_.has_recursion, 0
	.set _ZN7rocprim17ROCPRIM_400000_NS6detail17trampoline_kernelINS0_14default_configENS1_36segmented_radix_sort_config_selectorIilEEZNS1_25segmented_radix_sort_implIS3_Lb1EPKiPiPKlPlN2at6native12_GLOBAL__N_18offset_tEEE10hipError_tPvRmT1_PNSt15iterator_traitsISK_E10value_typeET2_T3_PNSL_ISQ_E10value_typeET4_jRbjT5_SW_jjP12ihipStream_tbEUlT_E2_NS1_11comp_targetILNS1_3genE8ELNS1_11target_archE1030ELNS1_3gpuE2ELNS1_3repE0EEENS1_30default_config_static_selectorELNS0_4arch9wavefront6targetE1EEEvSK_.has_indirect_call, 0
	.section	.AMDGPU.csdata,"",@progbits
; Kernel info:
; codeLenInByte = 0
; TotalNumSgprs: 4
; NumVgprs: 0
; ScratchSize: 0
; MemoryBound: 0
; FloatMode: 240
; IeeeMode: 1
; LDSByteSize: 0 bytes/workgroup (compile time only)
; SGPRBlocks: 0
; VGPRBlocks: 0
; NumSGPRsForWavesPerEU: 4
; NumVGPRsForWavesPerEU: 1
; Occupancy: 10
; WaveLimiterHint : 0
; COMPUTE_PGM_RSRC2:SCRATCH_EN: 0
; COMPUTE_PGM_RSRC2:USER_SGPR: 6
; COMPUTE_PGM_RSRC2:TRAP_HANDLER: 0
; COMPUTE_PGM_RSRC2:TGID_X_EN: 1
; COMPUTE_PGM_RSRC2:TGID_Y_EN: 0
; COMPUTE_PGM_RSRC2:TGID_Z_EN: 0
; COMPUTE_PGM_RSRC2:TIDIG_COMP_CNT: 0
	.section	.text._ZN7rocprim17ROCPRIM_400000_NS6detail17trampoline_kernelINS0_13select_configILj256ELj13ELNS0_17block_load_methodE3ELS4_3ELS4_3ELNS0_20block_scan_algorithmE0ELj4294967295EEENS1_25partition_config_selectorILNS1_17partition_subalgoE4EjNS0_10empty_typeEbEEZZNS1_14partition_implILS8_4ELb0ES6_15HIP_vector_typeIjLj2EENS0_17counting_iteratorIjlEEPS9_SG_NS0_5tupleIJPjSI_NS0_16reverse_iteratorISI_EEEEENSH_IJSG_SG_SG_EEES9_SI_JZNS1_25segmented_radix_sort_implINS0_14default_configELb0EPKiPiPKlPlN2at6native12_GLOBAL__N_18offset_tEEE10hipError_tPvRmT1_PNSt15iterator_traitsIS12_E10value_typeET2_T3_PNS13_IS18_E10value_typeET4_jRbjT5_S1E_jjP12ihipStream_tbEUljE_ZNSN_ISO_Lb0ESQ_SR_ST_SU_SY_EESZ_S10_S11_S12_S16_S17_S18_S1B_S1C_jS1D_jS1E_S1E_jjS1G_bEUljE0_EEESZ_S10_S11_S18_S1C_S1E_T6_T7_T9_mT8_S1G_bDpT10_ENKUlT_T0_E_clISt17integral_constantIbLb0EES1U_EEDaS1P_S1Q_EUlS1P_E_NS1_11comp_targetILNS1_3genE0ELNS1_11target_archE4294967295ELNS1_3gpuE0ELNS1_3repE0EEENS1_30default_config_static_selectorELNS0_4arch9wavefront6targetE1EEEvS12_,"axG",@progbits,_ZN7rocprim17ROCPRIM_400000_NS6detail17trampoline_kernelINS0_13select_configILj256ELj13ELNS0_17block_load_methodE3ELS4_3ELS4_3ELNS0_20block_scan_algorithmE0ELj4294967295EEENS1_25partition_config_selectorILNS1_17partition_subalgoE4EjNS0_10empty_typeEbEEZZNS1_14partition_implILS8_4ELb0ES6_15HIP_vector_typeIjLj2EENS0_17counting_iteratorIjlEEPS9_SG_NS0_5tupleIJPjSI_NS0_16reverse_iteratorISI_EEEEENSH_IJSG_SG_SG_EEES9_SI_JZNS1_25segmented_radix_sort_implINS0_14default_configELb0EPKiPiPKlPlN2at6native12_GLOBAL__N_18offset_tEEE10hipError_tPvRmT1_PNSt15iterator_traitsIS12_E10value_typeET2_T3_PNS13_IS18_E10value_typeET4_jRbjT5_S1E_jjP12ihipStream_tbEUljE_ZNSN_ISO_Lb0ESQ_SR_ST_SU_SY_EESZ_S10_S11_S12_S16_S17_S18_S1B_S1C_jS1D_jS1E_S1E_jjS1G_bEUljE0_EEESZ_S10_S11_S18_S1C_S1E_T6_T7_T9_mT8_S1G_bDpT10_ENKUlT_T0_E_clISt17integral_constantIbLb0EES1U_EEDaS1P_S1Q_EUlS1P_E_NS1_11comp_targetILNS1_3genE0ELNS1_11target_archE4294967295ELNS1_3gpuE0ELNS1_3repE0EEENS1_30default_config_static_selectorELNS0_4arch9wavefront6targetE1EEEvS12_,comdat
	.globl	_ZN7rocprim17ROCPRIM_400000_NS6detail17trampoline_kernelINS0_13select_configILj256ELj13ELNS0_17block_load_methodE3ELS4_3ELS4_3ELNS0_20block_scan_algorithmE0ELj4294967295EEENS1_25partition_config_selectorILNS1_17partition_subalgoE4EjNS0_10empty_typeEbEEZZNS1_14partition_implILS8_4ELb0ES6_15HIP_vector_typeIjLj2EENS0_17counting_iteratorIjlEEPS9_SG_NS0_5tupleIJPjSI_NS0_16reverse_iteratorISI_EEEEENSH_IJSG_SG_SG_EEES9_SI_JZNS1_25segmented_radix_sort_implINS0_14default_configELb0EPKiPiPKlPlN2at6native12_GLOBAL__N_18offset_tEEE10hipError_tPvRmT1_PNSt15iterator_traitsIS12_E10value_typeET2_T3_PNS13_IS18_E10value_typeET4_jRbjT5_S1E_jjP12ihipStream_tbEUljE_ZNSN_ISO_Lb0ESQ_SR_ST_SU_SY_EESZ_S10_S11_S12_S16_S17_S18_S1B_S1C_jS1D_jS1E_S1E_jjS1G_bEUljE0_EEESZ_S10_S11_S18_S1C_S1E_T6_T7_T9_mT8_S1G_bDpT10_ENKUlT_T0_E_clISt17integral_constantIbLb0EES1U_EEDaS1P_S1Q_EUlS1P_E_NS1_11comp_targetILNS1_3genE0ELNS1_11target_archE4294967295ELNS1_3gpuE0ELNS1_3repE0EEENS1_30default_config_static_selectorELNS0_4arch9wavefront6targetE1EEEvS12_ ; -- Begin function _ZN7rocprim17ROCPRIM_400000_NS6detail17trampoline_kernelINS0_13select_configILj256ELj13ELNS0_17block_load_methodE3ELS4_3ELS4_3ELNS0_20block_scan_algorithmE0ELj4294967295EEENS1_25partition_config_selectorILNS1_17partition_subalgoE4EjNS0_10empty_typeEbEEZZNS1_14partition_implILS8_4ELb0ES6_15HIP_vector_typeIjLj2EENS0_17counting_iteratorIjlEEPS9_SG_NS0_5tupleIJPjSI_NS0_16reverse_iteratorISI_EEEEENSH_IJSG_SG_SG_EEES9_SI_JZNS1_25segmented_radix_sort_implINS0_14default_configELb0EPKiPiPKlPlN2at6native12_GLOBAL__N_18offset_tEEE10hipError_tPvRmT1_PNSt15iterator_traitsIS12_E10value_typeET2_T3_PNS13_IS18_E10value_typeET4_jRbjT5_S1E_jjP12ihipStream_tbEUljE_ZNSN_ISO_Lb0ESQ_SR_ST_SU_SY_EESZ_S10_S11_S12_S16_S17_S18_S1B_S1C_jS1D_jS1E_S1E_jjS1G_bEUljE0_EEESZ_S10_S11_S18_S1C_S1E_T6_T7_T9_mT8_S1G_bDpT10_ENKUlT_T0_E_clISt17integral_constantIbLb0EES1U_EEDaS1P_S1Q_EUlS1P_E_NS1_11comp_targetILNS1_3genE0ELNS1_11target_archE4294967295ELNS1_3gpuE0ELNS1_3repE0EEENS1_30default_config_static_selectorELNS0_4arch9wavefront6targetE1EEEvS12_
	.p2align	8
	.type	_ZN7rocprim17ROCPRIM_400000_NS6detail17trampoline_kernelINS0_13select_configILj256ELj13ELNS0_17block_load_methodE3ELS4_3ELS4_3ELNS0_20block_scan_algorithmE0ELj4294967295EEENS1_25partition_config_selectorILNS1_17partition_subalgoE4EjNS0_10empty_typeEbEEZZNS1_14partition_implILS8_4ELb0ES6_15HIP_vector_typeIjLj2EENS0_17counting_iteratorIjlEEPS9_SG_NS0_5tupleIJPjSI_NS0_16reverse_iteratorISI_EEEEENSH_IJSG_SG_SG_EEES9_SI_JZNS1_25segmented_radix_sort_implINS0_14default_configELb0EPKiPiPKlPlN2at6native12_GLOBAL__N_18offset_tEEE10hipError_tPvRmT1_PNSt15iterator_traitsIS12_E10value_typeET2_T3_PNS13_IS18_E10value_typeET4_jRbjT5_S1E_jjP12ihipStream_tbEUljE_ZNSN_ISO_Lb0ESQ_SR_ST_SU_SY_EESZ_S10_S11_S12_S16_S17_S18_S1B_S1C_jS1D_jS1E_S1E_jjS1G_bEUljE0_EEESZ_S10_S11_S18_S1C_S1E_T6_T7_T9_mT8_S1G_bDpT10_ENKUlT_T0_E_clISt17integral_constantIbLb0EES1U_EEDaS1P_S1Q_EUlS1P_E_NS1_11comp_targetILNS1_3genE0ELNS1_11target_archE4294967295ELNS1_3gpuE0ELNS1_3repE0EEENS1_30default_config_static_selectorELNS0_4arch9wavefront6targetE1EEEvS12_,@function
_ZN7rocprim17ROCPRIM_400000_NS6detail17trampoline_kernelINS0_13select_configILj256ELj13ELNS0_17block_load_methodE3ELS4_3ELS4_3ELNS0_20block_scan_algorithmE0ELj4294967295EEENS1_25partition_config_selectorILNS1_17partition_subalgoE4EjNS0_10empty_typeEbEEZZNS1_14partition_implILS8_4ELb0ES6_15HIP_vector_typeIjLj2EENS0_17counting_iteratorIjlEEPS9_SG_NS0_5tupleIJPjSI_NS0_16reverse_iteratorISI_EEEEENSH_IJSG_SG_SG_EEES9_SI_JZNS1_25segmented_radix_sort_implINS0_14default_configELb0EPKiPiPKlPlN2at6native12_GLOBAL__N_18offset_tEEE10hipError_tPvRmT1_PNSt15iterator_traitsIS12_E10value_typeET2_T3_PNS13_IS18_E10value_typeET4_jRbjT5_S1E_jjP12ihipStream_tbEUljE_ZNSN_ISO_Lb0ESQ_SR_ST_SU_SY_EESZ_S10_S11_S12_S16_S17_S18_S1B_S1C_jS1D_jS1E_S1E_jjS1G_bEUljE0_EEESZ_S10_S11_S18_S1C_S1E_T6_T7_T9_mT8_S1G_bDpT10_ENKUlT_T0_E_clISt17integral_constantIbLb0EES1U_EEDaS1P_S1Q_EUlS1P_E_NS1_11comp_targetILNS1_3genE0ELNS1_11target_archE4294967295ELNS1_3gpuE0ELNS1_3repE0EEENS1_30default_config_static_selectorELNS0_4arch9wavefront6targetE1EEEvS12_: ; @_ZN7rocprim17ROCPRIM_400000_NS6detail17trampoline_kernelINS0_13select_configILj256ELj13ELNS0_17block_load_methodE3ELS4_3ELS4_3ELNS0_20block_scan_algorithmE0ELj4294967295EEENS1_25partition_config_selectorILNS1_17partition_subalgoE4EjNS0_10empty_typeEbEEZZNS1_14partition_implILS8_4ELb0ES6_15HIP_vector_typeIjLj2EENS0_17counting_iteratorIjlEEPS9_SG_NS0_5tupleIJPjSI_NS0_16reverse_iteratorISI_EEEEENSH_IJSG_SG_SG_EEES9_SI_JZNS1_25segmented_radix_sort_implINS0_14default_configELb0EPKiPiPKlPlN2at6native12_GLOBAL__N_18offset_tEEE10hipError_tPvRmT1_PNSt15iterator_traitsIS12_E10value_typeET2_T3_PNS13_IS18_E10value_typeET4_jRbjT5_S1E_jjP12ihipStream_tbEUljE_ZNSN_ISO_Lb0ESQ_SR_ST_SU_SY_EESZ_S10_S11_S12_S16_S17_S18_S1B_S1C_jS1D_jS1E_S1E_jjS1G_bEUljE0_EEESZ_S10_S11_S18_S1C_S1E_T6_T7_T9_mT8_S1G_bDpT10_ENKUlT_T0_E_clISt17integral_constantIbLb0EES1U_EEDaS1P_S1Q_EUlS1P_E_NS1_11comp_targetILNS1_3genE0ELNS1_11target_archE4294967295ELNS1_3gpuE0ELNS1_3repE0EEENS1_30default_config_static_selectorELNS0_4arch9wavefront6targetE1EEEvS12_
; %bb.0:
	.section	.rodata,"a",@progbits
	.p2align	6, 0x0
	.amdhsa_kernel _ZN7rocprim17ROCPRIM_400000_NS6detail17trampoline_kernelINS0_13select_configILj256ELj13ELNS0_17block_load_methodE3ELS4_3ELS4_3ELNS0_20block_scan_algorithmE0ELj4294967295EEENS1_25partition_config_selectorILNS1_17partition_subalgoE4EjNS0_10empty_typeEbEEZZNS1_14partition_implILS8_4ELb0ES6_15HIP_vector_typeIjLj2EENS0_17counting_iteratorIjlEEPS9_SG_NS0_5tupleIJPjSI_NS0_16reverse_iteratorISI_EEEEENSH_IJSG_SG_SG_EEES9_SI_JZNS1_25segmented_radix_sort_implINS0_14default_configELb0EPKiPiPKlPlN2at6native12_GLOBAL__N_18offset_tEEE10hipError_tPvRmT1_PNSt15iterator_traitsIS12_E10value_typeET2_T3_PNS13_IS18_E10value_typeET4_jRbjT5_S1E_jjP12ihipStream_tbEUljE_ZNSN_ISO_Lb0ESQ_SR_ST_SU_SY_EESZ_S10_S11_S12_S16_S17_S18_S1B_S1C_jS1D_jS1E_S1E_jjS1G_bEUljE0_EEESZ_S10_S11_S18_S1C_S1E_T6_T7_T9_mT8_S1G_bDpT10_ENKUlT_T0_E_clISt17integral_constantIbLb0EES1U_EEDaS1P_S1Q_EUlS1P_E_NS1_11comp_targetILNS1_3genE0ELNS1_11target_archE4294967295ELNS1_3gpuE0ELNS1_3repE0EEENS1_30default_config_static_selectorELNS0_4arch9wavefront6targetE1EEEvS12_
		.amdhsa_group_segment_fixed_size 0
		.amdhsa_private_segment_fixed_size 0
		.amdhsa_kernarg_size 176
		.amdhsa_user_sgpr_count 6
		.amdhsa_user_sgpr_private_segment_buffer 1
		.amdhsa_user_sgpr_dispatch_ptr 0
		.amdhsa_user_sgpr_queue_ptr 0
		.amdhsa_user_sgpr_kernarg_segment_ptr 1
		.amdhsa_user_sgpr_dispatch_id 0
		.amdhsa_user_sgpr_flat_scratch_init 0
		.amdhsa_user_sgpr_private_segment_size 0
		.amdhsa_uses_dynamic_stack 0
		.amdhsa_system_sgpr_private_segment_wavefront_offset 0
		.amdhsa_system_sgpr_workgroup_id_x 1
		.amdhsa_system_sgpr_workgroup_id_y 0
		.amdhsa_system_sgpr_workgroup_id_z 0
		.amdhsa_system_sgpr_workgroup_info 0
		.amdhsa_system_vgpr_workitem_id 0
		.amdhsa_next_free_vgpr 1
		.amdhsa_next_free_sgpr 0
		.amdhsa_reserve_vcc 0
		.amdhsa_reserve_flat_scratch 0
		.amdhsa_float_round_mode_32 0
		.amdhsa_float_round_mode_16_64 0
		.amdhsa_float_denorm_mode_32 3
		.amdhsa_float_denorm_mode_16_64 3
		.amdhsa_dx10_clamp 1
		.amdhsa_ieee_mode 1
		.amdhsa_fp16_overflow 0
		.amdhsa_exception_fp_ieee_invalid_op 0
		.amdhsa_exception_fp_denorm_src 0
		.amdhsa_exception_fp_ieee_div_zero 0
		.amdhsa_exception_fp_ieee_overflow 0
		.amdhsa_exception_fp_ieee_underflow 0
		.amdhsa_exception_fp_ieee_inexact 0
		.amdhsa_exception_int_div_zero 0
	.end_amdhsa_kernel
	.section	.text._ZN7rocprim17ROCPRIM_400000_NS6detail17trampoline_kernelINS0_13select_configILj256ELj13ELNS0_17block_load_methodE3ELS4_3ELS4_3ELNS0_20block_scan_algorithmE0ELj4294967295EEENS1_25partition_config_selectorILNS1_17partition_subalgoE4EjNS0_10empty_typeEbEEZZNS1_14partition_implILS8_4ELb0ES6_15HIP_vector_typeIjLj2EENS0_17counting_iteratorIjlEEPS9_SG_NS0_5tupleIJPjSI_NS0_16reverse_iteratorISI_EEEEENSH_IJSG_SG_SG_EEES9_SI_JZNS1_25segmented_radix_sort_implINS0_14default_configELb0EPKiPiPKlPlN2at6native12_GLOBAL__N_18offset_tEEE10hipError_tPvRmT1_PNSt15iterator_traitsIS12_E10value_typeET2_T3_PNS13_IS18_E10value_typeET4_jRbjT5_S1E_jjP12ihipStream_tbEUljE_ZNSN_ISO_Lb0ESQ_SR_ST_SU_SY_EESZ_S10_S11_S12_S16_S17_S18_S1B_S1C_jS1D_jS1E_S1E_jjS1G_bEUljE0_EEESZ_S10_S11_S18_S1C_S1E_T6_T7_T9_mT8_S1G_bDpT10_ENKUlT_T0_E_clISt17integral_constantIbLb0EES1U_EEDaS1P_S1Q_EUlS1P_E_NS1_11comp_targetILNS1_3genE0ELNS1_11target_archE4294967295ELNS1_3gpuE0ELNS1_3repE0EEENS1_30default_config_static_selectorELNS0_4arch9wavefront6targetE1EEEvS12_,"axG",@progbits,_ZN7rocprim17ROCPRIM_400000_NS6detail17trampoline_kernelINS0_13select_configILj256ELj13ELNS0_17block_load_methodE3ELS4_3ELS4_3ELNS0_20block_scan_algorithmE0ELj4294967295EEENS1_25partition_config_selectorILNS1_17partition_subalgoE4EjNS0_10empty_typeEbEEZZNS1_14partition_implILS8_4ELb0ES6_15HIP_vector_typeIjLj2EENS0_17counting_iteratorIjlEEPS9_SG_NS0_5tupleIJPjSI_NS0_16reverse_iteratorISI_EEEEENSH_IJSG_SG_SG_EEES9_SI_JZNS1_25segmented_radix_sort_implINS0_14default_configELb0EPKiPiPKlPlN2at6native12_GLOBAL__N_18offset_tEEE10hipError_tPvRmT1_PNSt15iterator_traitsIS12_E10value_typeET2_T3_PNS13_IS18_E10value_typeET4_jRbjT5_S1E_jjP12ihipStream_tbEUljE_ZNSN_ISO_Lb0ESQ_SR_ST_SU_SY_EESZ_S10_S11_S12_S16_S17_S18_S1B_S1C_jS1D_jS1E_S1E_jjS1G_bEUljE0_EEESZ_S10_S11_S18_S1C_S1E_T6_T7_T9_mT8_S1G_bDpT10_ENKUlT_T0_E_clISt17integral_constantIbLb0EES1U_EEDaS1P_S1Q_EUlS1P_E_NS1_11comp_targetILNS1_3genE0ELNS1_11target_archE4294967295ELNS1_3gpuE0ELNS1_3repE0EEENS1_30default_config_static_selectorELNS0_4arch9wavefront6targetE1EEEvS12_,comdat
.Lfunc_end536:
	.size	_ZN7rocprim17ROCPRIM_400000_NS6detail17trampoline_kernelINS0_13select_configILj256ELj13ELNS0_17block_load_methodE3ELS4_3ELS4_3ELNS0_20block_scan_algorithmE0ELj4294967295EEENS1_25partition_config_selectorILNS1_17partition_subalgoE4EjNS0_10empty_typeEbEEZZNS1_14partition_implILS8_4ELb0ES6_15HIP_vector_typeIjLj2EENS0_17counting_iteratorIjlEEPS9_SG_NS0_5tupleIJPjSI_NS0_16reverse_iteratorISI_EEEEENSH_IJSG_SG_SG_EEES9_SI_JZNS1_25segmented_radix_sort_implINS0_14default_configELb0EPKiPiPKlPlN2at6native12_GLOBAL__N_18offset_tEEE10hipError_tPvRmT1_PNSt15iterator_traitsIS12_E10value_typeET2_T3_PNS13_IS18_E10value_typeET4_jRbjT5_S1E_jjP12ihipStream_tbEUljE_ZNSN_ISO_Lb0ESQ_SR_ST_SU_SY_EESZ_S10_S11_S12_S16_S17_S18_S1B_S1C_jS1D_jS1E_S1E_jjS1G_bEUljE0_EEESZ_S10_S11_S18_S1C_S1E_T6_T7_T9_mT8_S1G_bDpT10_ENKUlT_T0_E_clISt17integral_constantIbLb0EES1U_EEDaS1P_S1Q_EUlS1P_E_NS1_11comp_targetILNS1_3genE0ELNS1_11target_archE4294967295ELNS1_3gpuE0ELNS1_3repE0EEENS1_30default_config_static_selectorELNS0_4arch9wavefront6targetE1EEEvS12_, .Lfunc_end536-_ZN7rocprim17ROCPRIM_400000_NS6detail17trampoline_kernelINS0_13select_configILj256ELj13ELNS0_17block_load_methodE3ELS4_3ELS4_3ELNS0_20block_scan_algorithmE0ELj4294967295EEENS1_25partition_config_selectorILNS1_17partition_subalgoE4EjNS0_10empty_typeEbEEZZNS1_14partition_implILS8_4ELb0ES6_15HIP_vector_typeIjLj2EENS0_17counting_iteratorIjlEEPS9_SG_NS0_5tupleIJPjSI_NS0_16reverse_iteratorISI_EEEEENSH_IJSG_SG_SG_EEES9_SI_JZNS1_25segmented_radix_sort_implINS0_14default_configELb0EPKiPiPKlPlN2at6native12_GLOBAL__N_18offset_tEEE10hipError_tPvRmT1_PNSt15iterator_traitsIS12_E10value_typeET2_T3_PNS13_IS18_E10value_typeET4_jRbjT5_S1E_jjP12ihipStream_tbEUljE_ZNSN_ISO_Lb0ESQ_SR_ST_SU_SY_EESZ_S10_S11_S12_S16_S17_S18_S1B_S1C_jS1D_jS1E_S1E_jjS1G_bEUljE0_EEESZ_S10_S11_S18_S1C_S1E_T6_T7_T9_mT8_S1G_bDpT10_ENKUlT_T0_E_clISt17integral_constantIbLb0EES1U_EEDaS1P_S1Q_EUlS1P_E_NS1_11comp_targetILNS1_3genE0ELNS1_11target_archE4294967295ELNS1_3gpuE0ELNS1_3repE0EEENS1_30default_config_static_selectorELNS0_4arch9wavefront6targetE1EEEvS12_
                                        ; -- End function
	.set _ZN7rocprim17ROCPRIM_400000_NS6detail17trampoline_kernelINS0_13select_configILj256ELj13ELNS0_17block_load_methodE3ELS4_3ELS4_3ELNS0_20block_scan_algorithmE0ELj4294967295EEENS1_25partition_config_selectorILNS1_17partition_subalgoE4EjNS0_10empty_typeEbEEZZNS1_14partition_implILS8_4ELb0ES6_15HIP_vector_typeIjLj2EENS0_17counting_iteratorIjlEEPS9_SG_NS0_5tupleIJPjSI_NS0_16reverse_iteratorISI_EEEEENSH_IJSG_SG_SG_EEES9_SI_JZNS1_25segmented_radix_sort_implINS0_14default_configELb0EPKiPiPKlPlN2at6native12_GLOBAL__N_18offset_tEEE10hipError_tPvRmT1_PNSt15iterator_traitsIS12_E10value_typeET2_T3_PNS13_IS18_E10value_typeET4_jRbjT5_S1E_jjP12ihipStream_tbEUljE_ZNSN_ISO_Lb0ESQ_SR_ST_SU_SY_EESZ_S10_S11_S12_S16_S17_S18_S1B_S1C_jS1D_jS1E_S1E_jjS1G_bEUljE0_EEESZ_S10_S11_S18_S1C_S1E_T6_T7_T9_mT8_S1G_bDpT10_ENKUlT_T0_E_clISt17integral_constantIbLb0EES1U_EEDaS1P_S1Q_EUlS1P_E_NS1_11comp_targetILNS1_3genE0ELNS1_11target_archE4294967295ELNS1_3gpuE0ELNS1_3repE0EEENS1_30default_config_static_selectorELNS0_4arch9wavefront6targetE1EEEvS12_.num_vgpr, 0
	.set _ZN7rocprim17ROCPRIM_400000_NS6detail17trampoline_kernelINS0_13select_configILj256ELj13ELNS0_17block_load_methodE3ELS4_3ELS4_3ELNS0_20block_scan_algorithmE0ELj4294967295EEENS1_25partition_config_selectorILNS1_17partition_subalgoE4EjNS0_10empty_typeEbEEZZNS1_14partition_implILS8_4ELb0ES6_15HIP_vector_typeIjLj2EENS0_17counting_iteratorIjlEEPS9_SG_NS0_5tupleIJPjSI_NS0_16reverse_iteratorISI_EEEEENSH_IJSG_SG_SG_EEES9_SI_JZNS1_25segmented_radix_sort_implINS0_14default_configELb0EPKiPiPKlPlN2at6native12_GLOBAL__N_18offset_tEEE10hipError_tPvRmT1_PNSt15iterator_traitsIS12_E10value_typeET2_T3_PNS13_IS18_E10value_typeET4_jRbjT5_S1E_jjP12ihipStream_tbEUljE_ZNSN_ISO_Lb0ESQ_SR_ST_SU_SY_EESZ_S10_S11_S12_S16_S17_S18_S1B_S1C_jS1D_jS1E_S1E_jjS1G_bEUljE0_EEESZ_S10_S11_S18_S1C_S1E_T6_T7_T9_mT8_S1G_bDpT10_ENKUlT_T0_E_clISt17integral_constantIbLb0EES1U_EEDaS1P_S1Q_EUlS1P_E_NS1_11comp_targetILNS1_3genE0ELNS1_11target_archE4294967295ELNS1_3gpuE0ELNS1_3repE0EEENS1_30default_config_static_selectorELNS0_4arch9wavefront6targetE1EEEvS12_.num_agpr, 0
	.set _ZN7rocprim17ROCPRIM_400000_NS6detail17trampoline_kernelINS0_13select_configILj256ELj13ELNS0_17block_load_methodE3ELS4_3ELS4_3ELNS0_20block_scan_algorithmE0ELj4294967295EEENS1_25partition_config_selectorILNS1_17partition_subalgoE4EjNS0_10empty_typeEbEEZZNS1_14partition_implILS8_4ELb0ES6_15HIP_vector_typeIjLj2EENS0_17counting_iteratorIjlEEPS9_SG_NS0_5tupleIJPjSI_NS0_16reverse_iteratorISI_EEEEENSH_IJSG_SG_SG_EEES9_SI_JZNS1_25segmented_radix_sort_implINS0_14default_configELb0EPKiPiPKlPlN2at6native12_GLOBAL__N_18offset_tEEE10hipError_tPvRmT1_PNSt15iterator_traitsIS12_E10value_typeET2_T3_PNS13_IS18_E10value_typeET4_jRbjT5_S1E_jjP12ihipStream_tbEUljE_ZNSN_ISO_Lb0ESQ_SR_ST_SU_SY_EESZ_S10_S11_S12_S16_S17_S18_S1B_S1C_jS1D_jS1E_S1E_jjS1G_bEUljE0_EEESZ_S10_S11_S18_S1C_S1E_T6_T7_T9_mT8_S1G_bDpT10_ENKUlT_T0_E_clISt17integral_constantIbLb0EES1U_EEDaS1P_S1Q_EUlS1P_E_NS1_11comp_targetILNS1_3genE0ELNS1_11target_archE4294967295ELNS1_3gpuE0ELNS1_3repE0EEENS1_30default_config_static_selectorELNS0_4arch9wavefront6targetE1EEEvS12_.numbered_sgpr, 0
	.set _ZN7rocprim17ROCPRIM_400000_NS6detail17trampoline_kernelINS0_13select_configILj256ELj13ELNS0_17block_load_methodE3ELS4_3ELS4_3ELNS0_20block_scan_algorithmE0ELj4294967295EEENS1_25partition_config_selectorILNS1_17partition_subalgoE4EjNS0_10empty_typeEbEEZZNS1_14partition_implILS8_4ELb0ES6_15HIP_vector_typeIjLj2EENS0_17counting_iteratorIjlEEPS9_SG_NS0_5tupleIJPjSI_NS0_16reverse_iteratorISI_EEEEENSH_IJSG_SG_SG_EEES9_SI_JZNS1_25segmented_radix_sort_implINS0_14default_configELb0EPKiPiPKlPlN2at6native12_GLOBAL__N_18offset_tEEE10hipError_tPvRmT1_PNSt15iterator_traitsIS12_E10value_typeET2_T3_PNS13_IS18_E10value_typeET4_jRbjT5_S1E_jjP12ihipStream_tbEUljE_ZNSN_ISO_Lb0ESQ_SR_ST_SU_SY_EESZ_S10_S11_S12_S16_S17_S18_S1B_S1C_jS1D_jS1E_S1E_jjS1G_bEUljE0_EEESZ_S10_S11_S18_S1C_S1E_T6_T7_T9_mT8_S1G_bDpT10_ENKUlT_T0_E_clISt17integral_constantIbLb0EES1U_EEDaS1P_S1Q_EUlS1P_E_NS1_11comp_targetILNS1_3genE0ELNS1_11target_archE4294967295ELNS1_3gpuE0ELNS1_3repE0EEENS1_30default_config_static_selectorELNS0_4arch9wavefront6targetE1EEEvS12_.num_named_barrier, 0
	.set _ZN7rocprim17ROCPRIM_400000_NS6detail17trampoline_kernelINS0_13select_configILj256ELj13ELNS0_17block_load_methodE3ELS4_3ELS4_3ELNS0_20block_scan_algorithmE0ELj4294967295EEENS1_25partition_config_selectorILNS1_17partition_subalgoE4EjNS0_10empty_typeEbEEZZNS1_14partition_implILS8_4ELb0ES6_15HIP_vector_typeIjLj2EENS0_17counting_iteratorIjlEEPS9_SG_NS0_5tupleIJPjSI_NS0_16reverse_iteratorISI_EEEEENSH_IJSG_SG_SG_EEES9_SI_JZNS1_25segmented_radix_sort_implINS0_14default_configELb0EPKiPiPKlPlN2at6native12_GLOBAL__N_18offset_tEEE10hipError_tPvRmT1_PNSt15iterator_traitsIS12_E10value_typeET2_T3_PNS13_IS18_E10value_typeET4_jRbjT5_S1E_jjP12ihipStream_tbEUljE_ZNSN_ISO_Lb0ESQ_SR_ST_SU_SY_EESZ_S10_S11_S12_S16_S17_S18_S1B_S1C_jS1D_jS1E_S1E_jjS1G_bEUljE0_EEESZ_S10_S11_S18_S1C_S1E_T6_T7_T9_mT8_S1G_bDpT10_ENKUlT_T0_E_clISt17integral_constantIbLb0EES1U_EEDaS1P_S1Q_EUlS1P_E_NS1_11comp_targetILNS1_3genE0ELNS1_11target_archE4294967295ELNS1_3gpuE0ELNS1_3repE0EEENS1_30default_config_static_selectorELNS0_4arch9wavefront6targetE1EEEvS12_.private_seg_size, 0
	.set _ZN7rocprim17ROCPRIM_400000_NS6detail17trampoline_kernelINS0_13select_configILj256ELj13ELNS0_17block_load_methodE3ELS4_3ELS4_3ELNS0_20block_scan_algorithmE0ELj4294967295EEENS1_25partition_config_selectorILNS1_17partition_subalgoE4EjNS0_10empty_typeEbEEZZNS1_14partition_implILS8_4ELb0ES6_15HIP_vector_typeIjLj2EENS0_17counting_iteratorIjlEEPS9_SG_NS0_5tupleIJPjSI_NS0_16reverse_iteratorISI_EEEEENSH_IJSG_SG_SG_EEES9_SI_JZNS1_25segmented_radix_sort_implINS0_14default_configELb0EPKiPiPKlPlN2at6native12_GLOBAL__N_18offset_tEEE10hipError_tPvRmT1_PNSt15iterator_traitsIS12_E10value_typeET2_T3_PNS13_IS18_E10value_typeET4_jRbjT5_S1E_jjP12ihipStream_tbEUljE_ZNSN_ISO_Lb0ESQ_SR_ST_SU_SY_EESZ_S10_S11_S12_S16_S17_S18_S1B_S1C_jS1D_jS1E_S1E_jjS1G_bEUljE0_EEESZ_S10_S11_S18_S1C_S1E_T6_T7_T9_mT8_S1G_bDpT10_ENKUlT_T0_E_clISt17integral_constantIbLb0EES1U_EEDaS1P_S1Q_EUlS1P_E_NS1_11comp_targetILNS1_3genE0ELNS1_11target_archE4294967295ELNS1_3gpuE0ELNS1_3repE0EEENS1_30default_config_static_selectorELNS0_4arch9wavefront6targetE1EEEvS12_.uses_vcc, 0
	.set _ZN7rocprim17ROCPRIM_400000_NS6detail17trampoline_kernelINS0_13select_configILj256ELj13ELNS0_17block_load_methodE3ELS4_3ELS4_3ELNS0_20block_scan_algorithmE0ELj4294967295EEENS1_25partition_config_selectorILNS1_17partition_subalgoE4EjNS0_10empty_typeEbEEZZNS1_14partition_implILS8_4ELb0ES6_15HIP_vector_typeIjLj2EENS0_17counting_iteratorIjlEEPS9_SG_NS0_5tupleIJPjSI_NS0_16reverse_iteratorISI_EEEEENSH_IJSG_SG_SG_EEES9_SI_JZNS1_25segmented_radix_sort_implINS0_14default_configELb0EPKiPiPKlPlN2at6native12_GLOBAL__N_18offset_tEEE10hipError_tPvRmT1_PNSt15iterator_traitsIS12_E10value_typeET2_T3_PNS13_IS18_E10value_typeET4_jRbjT5_S1E_jjP12ihipStream_tbEUljE_ZNSN_ISO_Lb0ESQ_SR_ST_SU_SY_EESZ_S10_S11_S12_S16_S17_S18_S1B_S1C_jS1D_jS1E_S1E_jjS1G_bEUljE0_EEESZ_S10_S11_S18_S1C_S1E_T6_T7_T9_mT8_S1G_bDpT10_ENKUlT_T0_E_clISt17integral_constantIbLb0EES1U_EEDaS1P_S1Q_EUlS1P_E_NS1_11comp_targetILNS1_3genE0ELNS1_11target_archE4294967295ELNS1_3gpuE0ELNS1_3repE0EEENS1_30default_config_static_selectorELNS0_4arch9wavefront6targetE1EEEvS12_.uses_flat_scratch, 0
	.set _ZN7rocprim17ROCPRIM_400000_NS6detail17trampoline_kernelINS0_13select_configILj256ELj13ELNS0_17block_load_methodE3ELS4_3ELS4_3ELNS0_20block_scan_algorithmE0ELj4294967295EEENS1_25partition_config_selectorILNS1_17partition_subalgoE4EjNS0_10empty_typeEbEEZZNS1_14partition_implILS8_4ELb0ES6_15HIP_vector_typeIjLj2EENS0_17counting_iteratorIjlEEPS9_SG_NS0_5tupleIJPjSI_NS0_16reverse_iteratorISI_EEEEENSH_IJSG_SG_SG_EEES9_SI_JZNS1_25segmented_radix_sort_implINS0_14default_configELb0EPKiPiPKlPlN2at6native12_GLOBAL__N_18offset_tEEE10hipError_tPvRmT1_PNSt15iterator_traitsIS12_E10value_typeET2_T3_PNS13_IS18_E10value_typeET4_jRbjT5_S1E_jjP12ihipStream_tbEUljE_ZNSN_ISO_Lb0ESQ_SR_ST_SU_SY_EESZ_S10_S11_S12_S16_S17_S18_S1B_S1C_jS1D_jS1E_S1E_jjS1G_bEUljE0_EEESZ_S10_S11_S18_S1C_S1E_T6_T7_T9_mT8_S1G_bDpT10_ENKUlT_T0_E_clISt17integral_constantIbLb0EES1U_EEDaS1P_S1Q_EUlS1P_E_NS1_11comp_targetILNS1_3genE0ELNS1_11target_archE4294967295ELNS1_3gpuE0ELNS1_3repE0EEENS1_30default_config_static_selectorELNS0_4arch9wavefront6targetE1EEEvS12_.has_dyn_sized_stack, 0
	.set _ZN7rocprim17ROCPRIM_400000_NS6detail17trampoline_kernelINS0_13select_configILj256ELj13ELNS0_17block_load_methodE3ELS4_3ELS4_3ELNS0_20block_scan_algorithmE0ELj4294967295EEENS1_25partition_config_selectorILNS1_17partition_subalgoE4EjNS0_10empty_typeEbEEZZNS1_14partition_implILS8_4ELb0ES6_15HIP_vector_typeIjLj2EENS0_17counting_iteratorIjlEEPS9_SG_NS0_5tupleIJPjSI_NS0_16reverse_iteratorISI_EEEEENSH_IJSG_SG_SG_EEES9_SI_JZNS1_25segmented_radix_sort_implINS0_14default_configELb0EPKiPiPKlPlN2at6native12_GLOBAL__N_18offset_tEEE10hipError_tPvRmT1_PNSt15iterator_traitsIS12_E10value_typeET2_T3_PNS13_IS18_E10value_typeET4_jRbjT5_S1E_jjP12ihipStream_tbEUljE_ZNSN_ISO_Lb0ESQ_SR_ST_SU_SY_EESZ_S10_S11_S12_S16_S17_S18_S1B_S1C_jS1D_jS1E_S1E_jjS1G_bEUljE0_EEESZ_S10_S11_S18_S1C_S1E_T6_T7_T9_mT8_S1G_bDpT10_ENKUlT_T0_E_clISt17integral_constantIbLb0EES1U_EEDaS1P_S1Q_EUlS1P_E_NS1_11comp_targetILNS1_3genE0ELNS1_11target_archE4294967295ELNS1_3gpuE0ELNS1_3repE0EEENS1_30default_config_static_selectorELNS0_4arch9wavefront6targetE1EEEvS12_.has_recursion, 0
	.set _ZN7rocprim17ROCPRIM_400000_NS6detail17trampoline_kernelINS0_13select_configILj256ELj13ELNS0_17block_load_methodE3ELS4_3ELS4_3ELNS0_20block_scan_algorithmE0ELj4294967295EEENS1_25partition_config_selectorILNS1_17partition_subalgoE4EjNS0_10empty_typeEbEEZZNS1_14partition_implILS8_4ELb0ES6_15HIP_vector_typeIjLj2EENS0_17counting_iteratorIjlEEPS9_SG_NS0_5tupleIJPjSI_NS0_16reverse_iteratorISI_EEEEENSH_IJSG_SG_SG_EEES9_SI_JZNS1_25segmented_radix_sort_implINS0_14default_configELb0EPKiPiPKlPlN2at6native12_GLOBAL__N_18offset_tEEE10hipError_tPvRmT1_PNSt15iterator_traitsIS12_E10value_typeET2_T3_PNS13_IS18_E10value_typeET4_jRbjT5_S1E_jjP12ihipStream_tbEUljE_ZNSN_ISO_Lb0ESQ_SR_ST_SU_SY_EESZ_S10_S11_S12_S16_S17_S18_S1B_S1C_jS1D_jS1E_S1E_jjS1G_bEUljE0_EEESZ_S10_S11_S18_S1C_S1E_T6_T7_T9_mT8_S1G_bDpT10_ENKUlT_T0_E_clISt17integral_constantIbLb0EES1U_EEDaS1P_S1Q_EUlS1P_E_NS1_11comp_targetILNS1_3genE0ELNS1_11target_archE4294967295ELNS1_3gpuE0ELNS1_3repE0EEENS1_30default_config_static_selectorELNS0_4arch9wavefront6targetE1EEEvS12_.has_indirect_call, 0
	.section	.AMDGPU.csdata,"",@progbits
; Kernel info:
; codeLenInByte = 0
; TotalNumSgprs: 4
; NumVgprs: 0
; ScratchSize: 0
; MemoryBound: 0
; FloatMode: 240
; IeeeMode: 1
; LDSByteSize: 0 bytes/workgroup (compile time only)
; SGPRBlocks: 0
; VGPRBlocks: 0
; NumSGPRsForWavesPerEU: 4
; NumVGPRsForWavesPerEU: 1
; Occupancy: 10
; WaveLimiterHint : 0
; COMPUTE_PGM_RSRC2:SCRATCH_EN: 0
; COMPUTE_PGM_RSRC2:USER_SGPR: 6
; COMPUTE_PGM_RSRC2:TRAP_HANDLER: 0
; COMPUTE_PGM_RSRC2:TGID_X_EN: 1
; COMPUTE_PGM_RSRC2:TGID_Y_EN: 0
; COMPUTE_PGM_RSRC2:TGID_Z_EN: 0
; COMPUTE_PGM_RSRC2:TIDIG_COMP_CNT: 0
	.section	.text._ZN7rocprim17ROCPRIM_400000_NS6detail17trampoline_kernelINS0_13select_configILj256ELj13ELNS0_17block_load_methodE3ELS4_3ELS4_3ELNS0_20block_scan_algorithmE0ELj4294967295EEENS1_25partition_config_selectorILNS1_17partition_subalgoE4EjNS0_10empty_typeEbEEZZNS1_14partition_implILS8_4ELb0ES6_15HIP_vector_typeIjLj2EENS0_17counting_iteratorIjlEEPS9_SG_NS0_5tupleIJPjSI_NS0_16reverse_iteratorISI_EEEEENSH_IJSG_SG_SG_EEES9_SI_JZNS1_25segmented_radix_sort_implINS0_14default_configELb0EPKiPiPKlPlN2at6native12_GLOBAL__N_18offset_tEEE10hipError_tPvRmT1_PNSt15iterator_traitsIS12_E10value_typeET2_T3_PNS13_IS18_E10value_typeET4_jRbjT5_S1E_jjP12ihipStream_tbEUljE_ZNSN_ISO_Lb0ESQ_SR_ST_SU_SY_EESZ_S10_S11_S12_S16_S17_S18_S1B_S1C_jS1D_jS1E_S1E_jjS1G_bEUljE0_EEESZ_S10_S11_S18_S1C_S1E_T6_T7_T9_mT8_S1G_bDpT10_ENKUlT_T0_E_clISt17integral_constantIbLb0EES1U_EEDaS1P_S1Q_EUlS1P_E_NS1_11comp_targetILNS1_3genE5ELNS1_11target_archE942ELNS1_3gpuE9ELNS1_3repE0EEENS1_30default_config_static_selectorELNS0_4arch9wavefront6targetE1EEEvS12_,"axG",@progbits,_ZN7rocprim17ROCPRIM_400000_NS6detail17trampoline_kernelINS0_13select_configILj256ELj13ELNS0_17block_load_methodE3ELS4_3ELS4_3ELNS0_20block_scan_algorithmE0ELj4294967295EEENS1_25partition_config_selectorILNS1_17partition_subalgoE4EjNS0_10empty_typeEbEEZZNS1_14partition_implILS8_4ELb0ES6_15HIP_vector_typeIjLj2EENS0_17counting_iteratorIjlEEPS9_SG_NS0_5tupleIJPjSI_NS0_16reverse_iteratorISI_EEEEENSH_IJSG_SG_SG_EEES9_SI_JZNS1_25segmented_radix_sort_implINS0_14default_configELb0EPKiPiPKlPlN2at6native12_GLOBAL__N_18offset_tEEE10hipError_tPvRmT1_PNSt15iterator_traitsIS12_E10value_typeET2_T3_PNS13_IS18_E10value_typeET4_jRbjT5_S1E_jjP12ihipStream_tbEUljE_ZNSN_ISO_Lb0ESQ_SR_ST_SU_SY_EESZ_S10_S11_S12_S16_S17_S18_S1B_S1C_jS1D_jS1E_S1E_jjS1G_bEUljE0_EEESZ_S10_S11_S18_S1C_S1E_T6_T7_T9_mT8_S1G_bDpT10_ENKUlT_T0_E_clISt17integral_constantIbLb0EES1U_EEDaS1P_S1Q_EUlS1P_E_NS1_11comp_targetILNS1_3genE5ELNS1_11target_archE942ELNS1_3gpuE9ELNS1_3repE0EEENS1_30default_config_static_selectorELNS0_4arch9wavefront6targetE1EEEvS12_,comdat
	.globl	_ZN7rocprim17ROCPRIM_400000_NS6detail17trampoline_kernelINS0_13select_configILj256ELj13ELNS0_17block_load_methodE3ELS4_3ELS4_3ELNS0_20block_scan_algorithmE0ELj4294967295EEENS1_25partition_config_selectorILNS1_17partition_subalgoE4EjNS0_10empty_typeEbEEZZNS1_14partition_implILS8_4ELb0ES6_15HIP_vector_typeIjLj2EENS0_17counting_iteratorIjlEEPS9_SG_NS0_5tupleIJPjSI_NS0_16reverse_iteratorISI_EEEEENSH_IJSG_SG_SG_EEES9_SI_JZNS1_25segmented_radix_sort_implINS0_14default_configELb0EPKiPiPKlPlN2at6native12_GLOBAL__N_18offset_tEEE10hipError_tPvRmT1_PNSt15iterator_traitsIS12_E10value_typeET2_T3_PNS13_IS18_E10value_typeET4_jRbjT5_S1E_jjP12ihipStream_tbEUljE_ZNSN_ISO_Lb0ESQ_SR_ST_SU_SY_EESZ_S10_S11_S12_S16_S17_S18_S1B_S1C_jS1D_jS1E_S1E_jjS1G_bEUljE0_EEESZ_S10_S11_S18_S1C_S1E_T6_T7_T9_mT8_S1G_bDpT10_ENKUlT_T0_E_clISt17integral_constantIbLb0EES1U_EEDaS1P_S1Q_EUlS1P_E_NS1_11comp_targetILNS1_3genE5ELNS1_11target_archE942ELNS1_3gpuE9ELNS1_3repE0EEENS1_30default_config_static_selectorELNS0_4arch9wavefront6targetE1EEEvS12_ ; -- Begin function _ZN7rocprim17ROCPRIM_400000_NS6detail17trampoline_kernelINS0_13select_configILj256ELj13ELNS0_17block_load_methodE3ELS4_3ELS4_3ELNS0_20block_scan_algorithmE0ELj4294967295EEENS1_25partition_config_selectorILNS1_17partition_subalgoE4EjNS0_10empty_typeEbEEZZNS1_14partition_implILS8_4ELb0ES6_15HIP_vector_typeIjLj2EENS0_17counting_iteratorIjlEEPS9_SG_NS0_5tupleIJPjSI_NS0_16reverse_iteratorISI_EEEEENSH_IJSG_SG_SG_EEES9_SI_JZNS1_25segmented_radix_sort_implINS0_14default_configELb0EPKiPiPKlPlN2at6native12_GLOBAL__N_18offset_tEEE10hipError_tPvRmT1_PNSt15iterator_traitsIS12_E10value_typeET2_T3_PNS13_IS18_E10value_typeET4_jRbjT5_S1E_jjP12ihipStream_tbEUljE_ZNSN_ISO_Lb0ESQ_SR_ST_SU_SY_EESZ_S10_S11_S12_S16_S17_S18_S1B_S1C_jS1D_jS1E_S1E_jjS1G_bEUljE0_EEESZ_S10_S11_S18_S1C_S1E_T6_T7_T9_mT8_S1G_bDpT10_ENKUlT_T0_E_clISt17integral_constantIbLb0EES1U_EEDaS1P_S1Q_EUlS1P_E_NS1_11comp_targetILNS1_3genE5ELNS1_11target_archE942ELNS1_3gpuE9ELNS1_3repE0EEENS1_30default_config_static_selectorELNS0_4arch9wavefront6targetE1EEEvS12_
	.p2align	8
	.type	_ZN7rocprim17ROCPRIM_400000_NS6detail17trampoline_kernelINS0_13select_configILj256ELj13ELNS0_17block_load_methodE3ELS4_3ELS4_3ELNS0_20block_scan_algorithmE0ELj4294967295EEENS1_25partition_config_selectorILNS1_17partition_subalgoE4EjNS0_10empty_typeEbEEZZNS1_14partition_implILS8_4ELb0ES6_15HIP_vector_typeIjLj2EENS0_17counting_iteratorIjlEEPS9_SG_NS0_5tupleIJPjSI_NS0_16reverse_iteratorISI_EEEEENSH_IJSG_SG_SG_EEES9_SI_JZNS1_25segmented_radix_sort_implINS0_14default_configELb0EPKiPiPKlPlN2at6native12_GLOBAL__N_18offset_tEEE10hipError_tPvRmT1_PNSt15iterator_traitsIS12_E10value_typeET2_T3_PNS13_IS18_E10value_typeET4_jRbjT5_S1E_jjP12ihipStream_tbEUljE_ZNSN_ISO_Lb0ESQ_SR_ST_SU_SY_EESZ_S10_S11_S12_S16_S17_S18_S1B_S1C_jS1D_jS1E_S1E_jjS1G_bEUljE0_EEESZ_S10_S11_S18_S1C_S1E_T6_T7_T9_mT8_S1G_bDpT10_ENKUlT_T0_E_clISt17integral_constantIbLb0EES1U_EEDaS1P_S1Q_EUlS1P_E_NS1_11comp_targetILNS1_3genE5ELNS1_11target_archE942ELNS1_3gpuE9ELNS1_3repE0EEENS1_30default_config_static_selectorELNS0_4arch9wavefront6targetE1EEEvS12_,@function
_ZN7rocprim17ROCPRIM_400000_NS6detail17trampoline_kernelINS0_13select_configILj256ELj13ELNS0_17block_load_methodE3ELS4_3ELS4_3ELNS0_20block_scan_algorithmE0ELj4294967295EEENS1_25partition_config_selectorILNS1_17partition_subalgoE4EjNS0_10empty_typeEbEEZZNS1_14partition_implILS8_4ELb0ES6_15HIP_vector_typeIjLj2EENS0_17counting_iteratorIjlEEPS9_SG_NS0_5tupleIJPjSI_NS0_16reverse_iteratorISI_EEEEENSH_IJSG_SG_SG_EEES9_SI_JZNS1_25segmented_radix_sort_implINS0_14default_configELb0EPKiPiPKlPlN2at6native12_GLOBAL__N_18offset_tEEE10hipError_tPvRmT1_PNSt15iterator_traitsIS12_E10value_typeET2_T3_PNS13_IS18_E10value_typeET4_jRbjT5_S1E_jjP12ihipStream_tbEUljE_ZNSN_ISO_Lb0ESQ_SR_ST_SU_SY_EESZ_S10_S11_S12_S16_S17_S18_S1B_S1C_jS1D_jS1E_S1E_jjS1G_bEUljE0_EEESZ_S10_S11_S18_S1C_S1E_T6_T7_T9_mT8_S1G_bDpT10_ENKUlT_T0_E_clISt17integral_constantIbLb0EES1U_EEDaS1P_S1Q_EUlS1P_E_NS1_11comp_targetILNS1_3genE5ELNS1_11target_archE942ELNS1_3gpuE9ELNS1_3repE0EEENS1_30default_config_static_selectorELNS0_4arch9wavefront6targetE1EEEvS12_: ; @_ZN7rocprim17ROCPRIM_400000_NS6detail17trampoline_kernelINS0_13select_configILj256ELj13ELNS0_17block_load_methodE3ELS4_3ELS4_3ELNS0_20block_scan_algorithmE0ELj4294967295EEENS1_25partition_config_selectorILNS1_17partition_subalgoE4EjNS0_10empty_typeEbEEZZNS1_14partition_implILS8_4ELb0ES6_15HIP_vector_typeIjLj2EENS0_17counting_iteratorIjlEEPS9_SG_NS0_5tupleIJPjSI_NS0_16reverse_iteratorISI_EEEEENSH_IJSG_SG_SG_EEES9_SI_JZNS1_25segmented_radix_sort_implINS0_14default_configELb0EPKiPiPKlPlN2at6native12_GLOBAL__N_18offset_tEEE10hipError_tPvRmT1_PNSt15iterator_traitsIS12_E10value_typeET2_T3_PNS13_IS18_E10value_typeET4_jRbjT5_S1E_jjP12ihipStream_tbEUljE_ZNSN_ISO_Lb0ESQ_SR_ST_SU_SY_EESZ_S10_S11_S12_S16_S17_S18_S1B_S1C_jS1D_jS1E_S1E_jjS1G_bEUljE0_EEESZ_S10_S11_S18_S1C_S1E_T6_T7_T9_mT8_S1G_bDpT10_ENKUlT_T0_E_clISt17integral_constantIbLb0EES1U_EEDaS1P_S1Q_EUlS1P_E_NS1_11comp_targetILNS1_3genE5ELNS1_11target_archE942ELNS1_3gpuE9ELNS1_3repE0EEENS1_30default_config_static_selectorELNS0_4arch9wavefront6targetE1EEEvS12_
; %bb.0:
	.section	.rodata,"a",@progbits
	.p2align	6, 0x0
	.amdhsa_kernel _ZN7rocprim17ROCPRIM_400000_NS6detail17trampoline_kernelINS0_13select_configILj256ELj13ELNS0_17block_load_methodE3ELS4_3ELS4_3ELNS0_20block_scan_algorithmE0ELj4294967295EEENS1_25partition_config_selectorILNS1_17partition_subalgoE4EjNS0_10empty_typeEbEEZZNS1_14partition_implILS8_4ELb0ES6_15HIP_vector_typeIjLj2EENS0_17counting_iteratorIjlEEPS9_SG_NS0_5tupleIJPjSI_NS0_16reverse_iteratorISI_EEEEENSH_IJSG_SG_SG_EEES9_SI_JZNS1_25segmented_radix_sort_implINS0_14default_configELb0EPKiPiPKlPlN2at6native12_GLOBAL__N_18offset_tEEE10hipError_tPvRmT1_PNSt15iterator_traitsIS12_E10value_typeET2_T3_PNS13_IS18_E10value_typeET4_jRbjT5_S1E_jjP12ihipStream_tbEUljE_ZNSN_ISO_Lb0ESQ_SR_ST_SU_SY_EESZ_S10_S11_S12_S16_S17_S18_S1B_S1C_jS1D_jS1E_S1E_jjS1G_bEUljE0_EEESZ_S10_S11_S18_S1C_S1E_T6_T7_T9_mT8_S1G_bDpT10_ENKUlT_T0_E_clISt17integral_constantIbLb0EES1U_EEDaS1P_S1Q_EUlS1P_E_NS1_11comp_targetILNS1_3genE5ELNS1_11target_archE942ELNS1_3gpuE9ELNS1_3repE0EEENS1_30default_config_static_selectorELNS0_4arch9wavefront6targetE1EEEvS12_
		.amdhsa_group_segment_fixed_size 0
		.amdhsa_private_segment_fixed_size 0
		.amdhsa_kernarg_size 176
		.amdhsa_user_sgpr_count 6
		.amdhsa_user_sgpr_private_segment_buffer 1
		.amdhsa_user_sgpr_dispatch_ptr 0
		.amdhsa_user_sgpr_queue_ptr 0
		.amdhsa_user_sgpr_kernarg_segment_ptr 1
		.amdhsa_user_sgpr_dispatch_id 0
		.amdhsa_user_sgpr_flat_scratch_init 0
		.amdhsa_user_sgpr_private_segment_size 0
		.amdhsa_uses_dynamic_stack 0
		.amdhsa_system_sgpr_private_segment_wavefront_offset 0
		.amdhsa_system_sgpr_workgroup_id_x 1
		.amdhsa_system_sgpr_workgroup_id_y 0
		.amdhsa_system_sgpr_workgroup_id_z 0
		.amdhsa_system_sgpr_workgroup_info 0
		.amdhsa_system_vgpr_workitem_id 0
		.amdhsa_next_free_vgpr 1
		.amdhsa_next_free_sgpr 0
		.amdhsa_reserve_vcc 0
		.amdhsa_reserve_flat_scratch 0
		.amdhsa_float_round_mode_32 0
		.amdhsa_float_round_mode_16_64 0
		.amdhsa_float_denorm_mode_32 3
		.amdhsa_float_denorm_mode_16_64 3
		.amdhsa_dx10_clamp 1
		.amdhsa_ieee_mode 1
		.amdhsa_fp16_overflow 0
		.amdhsa_exception_fp_ieee_invalid_op 0
		.amdhsa_exception_fp_denorm_src 0
		.amdhsa_exception_fp_ieee_div_zero 0
		.amdhsa_exception_fp_ieee_overflow 0
		.amdhsa_exception_fp_ieee_underflow 0
		.amdhsa_exception_fp_ieee_inexact 0
		.amdhsa_exception_int_div_zero 0
	.end_amdhsa_kernel
	.section	.text._ZN7rocprim17ROCPRIM_400000_NS6detail17trampoline_kernelINS0_13select_configILj256ELj13ELNS0_17block_load_methodE3ELS4_3ELS4_3ELNS0_20block_scan_algorithmE0ELj4294967295EEENS1_25partition_config_selectorILNS1_17partition_subalgoE4EjNS0_10empty_typeEbEEZZNS1_14partition_implILS8_4ELb0ES6_15HIP_vector_typeIjLj2EENS0_17counting_iteratorIjlEEPS9_SG_NS0_5tupleIJPjSI_NS0_16reverse_iteratorISI_EEEEENSH_IJSG_SG_SG_EEES9_SI_JZNS1_25segmented_radix_sort_implINS0_14default_configELb0EPKiPiPKlPlN2at6native12_GLOBAL__N_18offset_tEEE10hipError_tPvRmT1_PNSt15iterator_traitsIS12_E10value_typeET2_T3_PNS13_IS18_E10value_typeET4_jRbjT5_S1E_jjP12ihipStream_tbEUljE_ZNSN_ISO_Lb0ESQ_SR_ST_SU_SY_EESZ_S10_S11_S12_S16_S17_S18_S1B_S1C_jS1D_jS1E_S1E_jjS1G_bEUljE0_EEESZ_S10_S11_S18_S1C_S1E_T6_T7_T9_mT8_S1G_bDpT10_ENKUlT_T0_E_clISt17integral_constantIbLb0EES1U_EEDaS1P_S1Q_EUlS1P_E_NS1_11comp_targetILNS1_3genE5ELNS1_11target_archE942ELNS1_3gpuE9ELNS1_3repE0EEENS1_30default_config_static_selectorELNS0_4arch9wavefront6targetE1EEEvS12_,"axG",@progbits,_ZN7rocprim17ROCPRIM_400000_NS6detail17trampoline_kernelINS0_13select_configILj256ELj13ELNS0_17block_load_methodE3ELS4_3ELS4_3ELNS0_20block_scan_algorithmE0ELj4294967295EEENS1_25partition_config_selectorILNS1_17partition_subalgoE4EjNS0_10empty_typeEbEEZZNS1_14partition_implILS8_4ELb0ES6_15HIP_vector_typeIjLj2EENS0_17counting_iteratorIjlEEPS9_SG_NS0_5tupleIJPjSI_NS0_16reverse_iteratorISI_EEEEENSH_IJSG_SG_SG_EEES9_SI_JZNS1_25segmented_radix_sort_implINS0_14default_configELb0EPKiPiPKlPlN2at6native12_GLOBAL__N_18offset_tEEE10hipError_tPvRmT1_PNSt15iterator_traitsIS12_E10value_typeET2_T3_PNS13_IS18_E10value_typeET4_jRbjT5_S1E_jjP12ihipStream_tbEUljE_ZNSN_ISO_Lb0ESQ_SR_ST_SU_SY_EESZ_S10_S11_S12_S16_S17_S18_S1B_S1C_jS1D_jS1E_S1E_jjS1G_bEUljE0_EEESZ_S10_S11_S18_S1C_S1E_T6_T7_T9_mT8_S1G_bDpT10_ENKUlT_T0_E_clISt17integral_constantIbLb0EES1U_EEDaS1P_S1Q_EUlS1P_E_NS1_11comp_targetILNS1_3genE5ELNS1_11target_archE942ELNS1_3gpuE9ELNS1_3repE0EEENS1_30default_config_static_selectorELNS0_4arch9wavefront6targetE1EEEvS12_,comdat
.Lfunc_end537:
	.size	_ZN7rocprim17ROCPRIM_400000_NS6detail17trampoline_kernelINS0_13select_configILj256ELj13ELNS0_17block_load_methodE3ELS4_3ELS4_3ELNS0_20block_scan_algorithmE0ELj4294967295EEENS1_25partition_config_selectorILNS1_17partition_subalgoE4EjNS0_10empty_typeEbEEZZNS1_14partition_implILS8_4ELb0ES6_15HIP_vector_typeIjLj2EENS0_17counting_iteratorIjlEEPS9_SG_NS0_5tupleIJPjSI_NS0_16reverse_iteratorISI_EEEEENSH_IJSG_SG_SG_EEES9_SI_JZNS1_25segmented_radix_sort_implINS0_14default_configELb0EPKiPiPKlPlN2at6native12_GLOBAL__N_18offset_tEEE10hipError_tPvRmT1_PNSt15iterator_traitsIS12_E10value_typeET2_T3_PNS13_IS18_E10value_typeET4_jRbjT5_S1E_jjP12ihipStream_tbEUljE_ZNSN_ISO_Lb0ESQ_SR_ST_SU_SY_EESZ_S10_S11_S12_S16_S17_S18_S1B_S1C_jS1D_jS1E_S1E_jjS1G_bEUljE0_EEESZ_S10_S11_S18_S1C_S1E_T6_T7_T9_mT8_S1G_bDpT10_ENKUlT_T0_E_clISt17integral_constantIbLb0EES1U_EEDaS1P_S1Q_EUlS1P_E_NS1_11comp_targetILNS1_3genE5ELNS1_11target_archE942ELNS1_3gpuE9ELNS1_3repE0EEENS1_30default_config_static_selectorELNS0_4arch9wavefront6targetE1EEEvS12_, .Lfunc_end537-_ZN7rocprim17ROCPRIM_400000_NS6detail17trampoline_kernelINS0_13select_configILj256ELj13ELNS0_17block_load_methodE3ELS4_3ELS4_3ELNS0_20block_scan_algorithmE0ELj4294967295EEENS1_25partition_config_selectorILNS1_17partition_subalgoE4EjNS0_10empty_typeEbEEZZNS1_14partition_implILS8_4ELb0ES6_15HIP_vector_typeIjLj2EENS0_17counting_iteratorIjlEEPS9_SG_NS0_5tupleIJPjSI_NS0_16reverse_iteratorISI_EEEEENSH_IJSG_SG_SG_EEES9_SI_JZNS1_25segmented_radix_sort_implINS0_14default_configELb0EPKiPiPKlPlN2at6native12_GLOBAL__N_18offset_tEEE10hipError_tPvRmT1_PNSt15iterator_traitsIS12_E10value_typeET2_T3_PNS13_IS18_E10value_typeET4_jRbjT5_S1E_jjP12ihipStream_tbEUljE_ZNSN_ISO_Lb0ESQ_SR_ST_SU_SY_EESZ_S10_S11_S12_S16_S17_S18_S1B_S1C_jS1D_jS1E_S1E_jjS1G_bEUljE0_EEESZ_S10_S11_S18_S1C_S1E_T6_T7_T9_mT8_S1G_bDpT10_ENKUlT_T0_E_clISt17integral_constantIbLb0EES1U_EEDaS1P_S1Q_EUlS1P_E_NS1_11comp_targetILNS1_3genE5ELNS1_11target_archE942ELNS1_3gpuE9ELNS1_3repE0EEENS1_30default_config_static_selectorELNS0_4arch9wavefront6targetE1EEEvS12_
                                        ; -- End function
	.set _ZN7rocprim17ROCPRIM_400000_NS6detail17trampoline_kernelINS0_13select_configILj256ELj13ELNS0_17block_load_methodE3ELS4_3ELS4_3ELNS0_20block_scan_algorithmE0ELj4294967295EEENS1_25partition_config_selectorILNS1_17partition_subalgoE4EjNS0_10empty_typeEbEEZZNS1_14partition_implILS8_4ELb0ES6_15HIP_vector_typeIjLj2EENS0_17counting_iteratorIjlEEPS9_SG_NS0_5tupleIJPjSI_NS0_16reverse_iteratorISI_EEEEENSH_IJSG_SG_SG_EEES9_SI_JZNS1_25segmented_radix_sort_implINS0_14default_configELb0EPKiPiPKlPlN2at6native12_GLOBAL__N_18offset_tEEE10hipError_tPvRmT1_PNSt15iterator_traitsIS12_E10value_typeET2_T3_PNS13_IS18_E10value_typeET4_jRbjT5_S1E_jjP12ihipStream_tbEUljE_ZNSN_ISO_Lb0ESQ_SR_ST_SU_SY_EESZ_S10_S11_S12_S16_S17_S18_S1B_S1C_jS1D_jS1E_S1E_jjS1G_bEUljE0_EEESZ_S10_S11_S18_S1C_S1E_T6_T7_T9_mT8_S1G_bDpT10_ENKUlT_T0_E_clISt17integral_constantIbLb0EES1U_EEDaS1P_S1Q_EUlS1P_E_NS1_11comp_targetILNS1_3genE5ELNS1_11target_archE942ELNS1_3gpuE9ELNS1_3repE0EEENS1_30default_config_static_selectorELNS0_4arch9wavefront6targetE1EEEvS12_.num_vgpr, 0
	.set _ZN7rocprim17ROCPRIM_400000_NS6detail17trampoline_kernelINS0_13select_configILj256ELj13ELNS0_17block_load_methodE3ELS4_3ELS4_3ELNS0_20block_scan_algorithmE0ELj4294967295EEENS1_25partition_config_selectorILNS1_17partition_subalgoE4EjNS0_10empty_typeEbEEZZNS1_14partition_implILS8_4ELb0ES6_15HIP_vector_typeIjLj2EENS0_17counting_iteratorIjlEEPS9_SG_NS0_5tupleIJPjSI_NS0_16reverse_iteratorISI_EEEEENSH_IJSG_SG_SG_EEES9_SI_JZNS1_25segmented_radix_sort_implINS0_14default_configELb0EPKiPiPKlPlN2at6native12_GLOBAL__N_18offset_tEEE10hipError_tPvRmT1_PNSt15iterator_traitsIS12_E10value_typeET2_T3_PNS13_IS18_E10value_typeET4_jRbjT5_S1E_jjP12ihipStream_tbEUljE_ZNSN_ISO_Lb0ESQ_SR_ST_SU_SY_EESZ_S10_S11_S12_S16_S17_S18_S1B_S1C_jS1D_jS1E_S1E_jjS1G_bEUljE0_EEESZ_S10_S11_S18_S1C_S1E_T6_T7_T9_mT8_S1G_bDpT10_ENKUlT_T0_E_clISt17integral_constantIbLb0EES1U_EEDaS1P_S1Q_EUlS1P_E_NS1_11comp_targetILNS1_3genE5ELNS1_11target_archE942ELNS1_3gpuE9ELNS1_3repE0EEENS1_30default_config_static_selectorELNS0_4arch9wavefront6targetE1EEEvS12_.num_agpr, 0
	.set _ZN7rocprim17ROCPRIM_400000_NS6detail17trampoline_kernelINS0_13select_configILj256ELj13ELNS0_17block_load_methodE3ELS4_3ELS4_3ELNS0_20block_scan_algorithmE0ELj4294967295EEENS1_25partition_config_selectorILNS1_17partition_subalgoE4EjNS0_10empty_typeEbEEZZNS1_14partition_implILS8_4ELb0ES6_15HIP_vector_typeIjLj2EENS0_17counting_iteratorIjlEEPS9_SG_NS0_5tupleIJPjSI_NS0_16reverse_iteratorISI_EEEEENSH_IJSG_SG_SG_EEES9_SI_JZNS1_25segmented_radix_sort_implINS0_14default_configELb0EPKiPiPKlPlN2at6native12_GLOBAL__N_18offset_tEEE10hipError_tPvRmT1_PNSt15iterator_traitsIS12_E10value_typeET2_T3_PNS13_IS18_E10value_typeET4_jRbjT5_S1E_jjP12ihipStream_tbEUljE_ZNSN_ISO_Lb0ESQ_SR_ST_SU_SY_EESZ_S10_S11_S12_S16_S17_S18_S1B_S1C_jS1D_jS1E_S1E_jjS1G_bEUljE0_EEESZ_S10_S11_S18_S1C_S1E_T6_T7_T9_mT8_S1G_bDpT10_ENKUlT_T0_E_clISt17integral_constantIbLb0EES1U_EEDaS1P_S1Q_EUlS1P_E_NS1_11comp_targetILNS1_3genE5ELNS1_11target_archE942ELNS1_3gpuE9ELNS1_3repE0EEENS1_30default_config_static_selectorELNS0_4arch9wavefront6targetE1EEEvS12_.numbered_sgpr, 0
	.set _ZN7rocprim17ROCPRIM_400000_NS6detail17trampoline_kernelINS0_13select_configILj256ELj13ELNS0_17block_load_methodE3ELS4_3ELS4_3ELNS0_20block_scan_algorithmE0ELj4294967295EEENS1_25partition_config_selectorILNS1_17partition_subalgoE4EjNS0_10empty_typeEbEEZZNS1_14partition_implILS8_4ELb0ES6_15HIP_vector_typeIjLj2EENS0_17counting_iteratorIjlEEPS9_SG_NS0_5tupleIJPjSI_NS0_16reverse_iteratorISI_EEEEENSH_IJSG_SG_SG_EEES9_SI_JZNS1_25segmented_radix_sort_implINS0_14default_configELb0EPKiPiPKlPlN2at6native12_GLOBAL__N_18offset_tEEE10hipError_tPvRmT1_PNSt15iterator_traitsIS12_E10value_typeET2_T3_PNS13_IS18_E10value_typeET4_jRbjT5_S1E_jjP12ihipStream_tbEUljE_ZNSN_ISO_Lb0ESQ_SR_ST_SU_SY_EESZ_S10_S11_S12_S16_S17_S18_S1B_S1C_jS1D_jS1E_S1E_jjS1G_bEUljE0_EEESZ_S10_S11_S18_S1C_S1E_T6_T7_T9_mT8_S1G_bDpT10_ENKUlT_T0_E_clISt17integral_constantIbLb0EES1U_EEDaS1P_S1Q_EUlS1P_E_NS1_11comp_targetILNS1_3genE5ELNS1_11target_archE942ELNS1_3gpuE9ELNS1_3repE0EEENS1_30default_config_static_selectorELNS0_4arch9wavefront6targetE1EEEvS12_.num_named_barrier, 0
	.set _ZN7rocprim17ROCPRIM_400000_NS6detail17trampoline_kernelINS0_13select_configILj256ELj13ELNS0_17block_load_methodE3ELS4_3ELS4_3ELNS0_20block_scan_algorithmE0ELj4294967295EEENS1_25partition_config_selectorILNS1_17partition_subalgoE4EjNS0_10empty_typeEbEEZZNS1_14partition_implILS8_4ELb0ES6_15HIP_vector_typeIjLj2EENS0_17counting_iteratorIjlEEPS9_SG_NS0_5tupleIJPjSI_NS0_16reverse_iteratorISI_EEEEENSH_IJSG_SG_SG_EEES9_SI_JZNS1_25segmented_radix_sort_implINS0_14default_configELb0EPKiPiPKlPlN2at6native12_GLOBAL__N_18offset_tEEE10hipError_tPvRmT1_PNSt15iterator_traitsIS12_E10value_typeET2_T3_PNS13_IS18_E10value_typeET4_jRbjT5_S1E_jjP12ihipStream_tbEUljE_ZNSN_ISO_Lb0ESQ_SR_ST_SU_SY_EESZ_S10_S11_S12_S16_S17_S18_S1B_S1C_jS1D_jS1E_S1E_jjS1G_bEUljE0_EEESZ_S10_S11_S18_S1C_S1E_T6_T7_T9_mT8_S1G_bDpT10_ENKUlT_T0_E_clISt17integral_constantIbLb0EES1U_EEDaS1P_S1Q_EUlS1P_E_NS1_11comp_targetILNS1_3genE5ELNS1_11target_archE942ELNS1_3gpuE9ELNS1_3repE0EEENS1_30default_config_static_selectorELNS0_4arch9wavefront6targetE1EEEvS12_.private_seg_size, 0
	.set _ZN7rocprim17ROCPRIM_400000_NS6detail17trampoline_kernelINS0_13select_configILj256ELj13ELNS0_17block_load_methodE3ELS4_3ELS4_3ELNS0_20block_scan_algorithmE0ELj4294967295EEENS1_25partition_config_selectorILNS1_17partition_subalgoE4EjNS0_10empty_typeEbEEZZNS1_14partition_implILS8_4ELb0ES6_15HIP_vector_typeIjLj2EENS0_17counting_iteratorIjlEEPS9_SG_NS0_5tupleIJPjSI_NS0_16reverse_iteratorISI_EEEEENSH_IJSG_SG_SG_EEES9_SI_JZNS1_25segmented_radix_sort_implINS0_14default_configELb0EPKiPiPKlPlN2at6native12_GLOBAL__N_18offset_tEEE10hipError_tPvRmT1_PNSt15iterator_traitsIS12_E10value_typeET2_T3_PNS13_IS18_E10value_typeET4_jRbjT5_S1E_jjP12ihipStream_tbEUljE_ZNSN_ISO_Lb0ESQ_SR_ST_SU_SY_EESZ_S10_S11_S12_S16_S17_S18_S1B_S1C_jS1D_jS1E_S1E_jjS1G_bEUljE0_EEESZ_S10_S11_S18_S1C_S1E_T6_T7_T9_mT8_S1G_bDpT10_ENKUlT_T0_E_clISt17integral_constantIbLb0EES1U_EEDaS1P_S1Q_EUlS1P_E_NS1_11comp_targetILNS1_3genE5ELNS1_11target_archE942ELNS1_3gpuE9ELNS1_3repE0EEENS1_30default_config_static_selectorELNS0_4arch9wavefront6targetE1EEEvS12_.uses_vcc, 0
	.set _ZN7rocprim17ROCPRIM_400000_NS6detail17trampoline_kernelINS0_13select_configILj256ELj13ELNS0_17block_load_methodE3ELS4_3ELS4_3ELNS0_20block_scan_algorithmE0ELj4294967295EEENS1_25partition_config_selectorILNS1_17partition_subalgoE4EjNS0_10empty_typeEbEEZZNS1_14partition_implILS8_4ELb0ES6_15HIP_vector_typeIjLj2EENS0_17counting_iteratorIjlEEPS9_SG_NS0_5tupleIJPjSI_NS0_16reverse_iteratorISI_EEEEENSH_IJSG_SG_SG_EEES9_SI_JZNS1_25segmented_radix_sort_implINS0_14default_configELb0EPKiPiPKlPlN2at6native12_GLOBAL__N_18offset_tEEE10hipError_tPvRmT1_PNSt15iterator_traitsIS12_E10value_typeET2_T3_PNS13_IS18_E10value_typeET4_jRbjT5_S1E_jjP12ihipStream_tbEUljE_ZNSN_ISO_Lb0ESQ_SR_ST_SU_SY_EESZ_S10_S11_S12_S16_S17_S18_S1B_S1C_jS1D_jS1E_S1E_jjS1G_bEUljE0_EEESZ_S10_S11_S18_S1C_S1E_T6_T7_T9_mT8_S1G_bDpT10_ENKUlT_T0_E_clISt17integral_constantIbLb0EES1U_EEDaS1P_S1Q_EUlS1P_E_NS1_11comp_targetILNS1_3genE5ELNS1_11target_archE942ELNS1_3gpuE9ELNS1_3repE0EEENS1_30default_config_static_selectorELNS0_4arch9wavefront6targetE1EEEvS12_.uses_flat_scratch, 0
	.set _ZN7rocprim17ROCPRIM_400000_NS6detail17trampoline_kernelINS0_13select_configILj256ELj13ELNS0_17block_load_methodE3ELS4_3ELS4_3ELNS0_20block_scan_algorithmE0ELj4294967295EEENS1_25partition_config_selectorILNS1_17partition_subalgoE4EjNS0_10empty_typeEbEEZZNS1_14partition_implILS8_4ELb0ES6_15HIP_vector_typeIjLj2EENS0_17counting_iteratorIjlEEPS9_SG_NS0_5tupleIJPjSI_NS0_16reverse_iteratorISI_EEEEENSH_IJSG_SG_SG_EEES9_SI_JZNS1_25segmented_radix_sort_implINS0_14default_configELb0EPKiPiPKlPlN2at6native12_GLOBAL__N_18offset_tEEE10hipError_tPvRmT1_PNSt15iterator_traitsIS12_E10value_typeET2_T3_PNS13_IS18_E10value_typeET4_jRbjT5_S1E_jjP12ihipStream_tbEUljE_ZNSN_ISO_Lb0ESQ_SR_ST_SU_SY_EESZ_S10_S11_S12_S16_S17_S18_S1B_S1C_jS1D_jS1E_S1E_jjS1G_bEUljE0_EEESZ_S10_S11_S18_S1C_S1E_T6_T7_T9_mT8_S1G_bDpT10_ENKUlT_T0_E_clISt17integral_constantIbLb0EES1U_EEDaS1P_S1Q_EUlS1P_E_NS1_11comp_targetILNS1_3genE5ELNS1_11target_archE942ELNS1_3gpuE9ELNS1_3repE0EEENS1_30default_config_static_selectorELNS0_4arch9wavefront6targetE1EEEvS12_.has_dyn_sized_stack, 0
	.set _ZN7rocprim17ROCPRIM_400000_NS6detail17trampoline_kernelINS0_13select_configILj256ELj13ELNS0_17block_load_methodE3ELS4_3ELS4_3ELNS0_20block_scan_algorithmE0ELj4294967295EEENS1_25partition_config_selectorILNS1_17partition_subalgoE4EjNS0_10empty_typeEbEEZZNS1_14partition_implILS8_4ELb0ES6_15HIP_vector_typeIjLj2EENS0_17counting_iteratorIjlEEPS9_SG_NS0_5tupleIJPjSI_NS0_16reverse_iteratorISI_EEEEENSH_IJSG_SG_SG_EEES9_SI_JZNS1_25segmented_radix_sort_implINS0_14default_configELb0EPKiPiPKlPlN2at6native12_GLOBAL__N_18offset_tEEE10hipError_tPvRmT1_PNSt15iterator_traitsIS12_E10value_typeET2_T3_PNS13_IS18_E10value_typeET4_jRbjT5_S1E_jjP12ihipStream_tbEUljE_ZNSN_ISO_Lb0ESQ_SR_ST_SU_SY_EESZ_S10_S11_S12_S16_S17_S18_S1B_S1C_jS1D_jS1E_S1E_jjS1G_bEUljE0_EEESZ_S10_S11_S18_S1C_S1E_T6_T7_T9_mT8_S1G_bDpT10_ENKUlT_T0_E_clISt17integral_constantIbLb0EES1U_EEDaS1P_S1Q_EUlS1P_E_NS1_11comp_targetILNS1_3genE5ELNS1_11target_archE942ELNS1_3gpuE9ELNS1_3repE0EEENS1_30default_config_static_selectorELNS0_4arch9wavefront6targetE1EEEvS12_.has_recursion, 0
	.set _ZN7rocprim17ROCPRIM_400000_NS6detail17trampoline_kernelINS0_13select_configILj256ELj13ELNS0_17block_load_methodE3ELS4_3ELS4_3ELNS0_20block_scan_algorithmE0ELj4294967295EEENS1_25partition_config_selectorILNS1_17partition_subalgoE4EjNS0_10empty_typeEbEEZZNS1_14partition_implILS8_4ELb0ES6_15HIP_vector_typeIjLj2EENS0_17counting_iteratorIjlEEPS9_SG_NS0_5tupleIJPjSI_NS0_16reverse_iteratorISI_EEEEENSH_IJSG_SG_SG_EEES9_SI_JZNS1_25segmented_radix_sort_implINS0_14default_configELb0EPKiPiPKlPlN2at6native12_GLOBAL__N_18offset_tEEE10hipError_tPvRmT1_PNSt15iterator_traitsIS12_E10value_typeET2_T3_PNS13_IS18_E10value_typeET4_jRbjT5_S1E_jjP12ihipStream_tbEUljE_ZNSN_ISO_Lb0ESQ_SR_ST_SU_SY_EESZ_S10_S11_S12_S16_S17_S18_S1B_S1C_jS1D_jS1E_S1E_jjS1G_bEUljE0_EEESZ_S10_S11_S18_S1C_S1E_T6_T7_T9_mT8_S1G_bDpT10_ENKUlT_T0_E_clISt17integral_constantIbLb0EES1U_EEDaS1P_S1Q_EUlS1P_E_NS1_11comp_targetILNS1_3genE5ELNS1_11target_archE942ELNS1_3gpuE9ELNS1_3repE0EEENS1_30default_config_static_selectorELNS0_4arch9wavefront6targetE1EEEvS12_.has_indirect_call, 0
	.section	.AMDGPU.csdata,"",@progbits
; Kernel info:
; codeLenInByte = 0
; TotalNumSgprs: 4
; NumVgprs: 0
; ScratchSize: 0
; MemoryBound: 0
; FloatMode: 240
; IeeeMode: 1
; LDSByteSize: 0 bytes/workgroup (compile time only)
; SGPRBlocks: 0
; VGPRBlocks: 0
; NumSGPRsForWavesPerEU: 4
; NumVGPRsForWavesPerEU: 1
; Occupancy: 10
; WaveLimiterHint : 0
; COMPUTE_PGM_RSRC2:SCRATCH_EN: 0
; COMPUTE_PGM_RSRC2:USER_SGPR: 6
; COMPUTE_PGM_RSRC2:TRAP_HANDLER: 0
; COMPUTE_PGM_RSRC2:TGID_X_EN: 1
; COMPUTE_PGM_RSRC2:TGID_Y_EN: 0
; COMPUTE_PGM_RSRC2:TGID_Z_EN: 0
; COMPUTE_PGM_RSRC2:TIDIG_COMP_CNT: 0
	.section	.text._ZN7rocprim17ROCPRIM_400000_NS6detail17trampoline_kernelINS0_13select_configILj256ELj13ELNS0_17block_load_methodE3ELS4_3ELS4_3ELNS0_20block_scan_algorithmE0ELj4294967295EEENS1_25partition_config_selectorILNS1_17partition_subalgoE4EjNS0_10empty_typeEbEEZZNS1_14partition_implILS8_4ELb0ES6_15HIP_vector_typeIjLj2EENS0_17counting_iteratorIjlEEPS9_SG_NS0_5tupleIJPjSI_NS0_16reverse_iteratorISI_EEEEENSH_IJSG_SG_SG_EEES9_SI_JZNS1_25segmented_radix_sort_implINS0_14default_configELb0EPKiPiPKlPlN2at6native12_GLOBAL__N_18offset_tEEE10hipError_tPvRmT1_PNSt15iterator_traitsIS12_E10value_typeET2_T3_PNS13_IS18_E10value_typeET4_jRbjT5_S1E_jjP12ihipStream_tbEUljE_ZNSN_ISO_Lb0ESQ_SR_ST_SU_SY_EESZ_S10_S11_S12_S16_S17_S18_S1B_S1C_jS1D_jS1E_S1E_jjS1G_bEUljE0_EEESZ_S10_S11_S18_S1C_S1E_T6_T7_T9_mT8_S1G_bDpT10_ENKUlT_T0_E_clISt17integral_constantIbLb0EES1U_EEDaS1P_S1Q_EUlS1P_E_NS1_11comp_targetILNS1_3genE4ELNS1_11target_archE910ELNS1_3gpuE8ELNS1_3repE0EEENS1_30default_config_static_selectorELNS0_4arch9wavefront6targetE1EEEvS12_,"axG",@progbits,_ZN7rocprim17ROCPRIM_400000_NS6detail17trampoline_kernelINS0_13select_configILj256ELj13ELNS0_17block_load_methodE3ELS4_3ELS4_3ELNS0_20block_scan_algorithmE0ELj4294967295EEENS1_25partition_config_selectorILNS1_17partition_subalgoE4EjNS0_10empty_typeEbEEZZNS1_14partition_implILS8_4ELb0ES6_15HIP_vector_typeIjLj2EENS0_17counting_iteratorIjlEEPS9_SG_NS0_5tupleIJPjSI_NS0_16reverse_iteratorISI_EEEEENSH_IJSG_SG_SG_EEES9_SI_JZNS1_25segmented_radix_sort_implINS0_14default_configELb0EPKiPiPKlPlN2at6native12_GLOBAL__N_18offset_tEEE10hipError_tPvRmT1_PNSt15iterator_traitsIS12_E10value_typeET2_T3_PNS13_IS18_E10value_typeET4_jRbjT5_S1E_jjP12ihipStream_tbEUljE_ZNSN_ISO_Lb0ESQ_SR_ST_SU_SY_EESZ_S10_S11_S12_S16_S17_S18_S1B_S1C_jS1D_jS1E_S1E_jjS1G_bEUljE0_EEESZ_S10_S11_S18_S1C_S1E_T6_T7_T9_mT8_S1G_bDpT10_ENKUlT_T0_E_clISt17integral_constantIbLb0EES1U_EEDaS1P_S1Q_EUlS1P_E_NS1_11comp_targetILNS1_3genE4ELNS1_11target_archE910ELNS1_3gpuE8ELNS1_3repE0EEENS1_30default_config_static_selectorELNS0_4arch9wavefront6targetE1EEEvS12_,comdat
	.globl	_ZN7rocprim17ROCPRIM_400000_NS6detail17trampoline_kernelINS0_13select_configILj256ELj13ELNS0_17block_load_methodE3ELS4_3ELS4_3ELNS0_20block_scan_algorithmE0ELj4294967295EEENS1_25partition_config_selectorILNS1_17partition_subalgoE4EjNS0_10empty_typeEbEEZZNS1_14partition_implILS8_4ELb0ES6_15HIP_vector_typeIjLj2EENS0_17counting_iteratorIjlEEPS9_SG_NS0_5tupleIJPjSI_NS0_16reverse_iteratorISI_EEEEENSH_IJSG_SG_SG_EEES9_SI_JZNS1_25segmented_radix_sort_implINS0_14default_configELb0EPKiPiPKlPlN2at6native12_GLOBAL__N_18offset_tEEE10hipError_tPvRmT1_PNSt15iterator_traitsIS12_E10value_typeET2_T3_PNS13_IS18_E10value_typeET4_jRbjT5_S1E_jjP12ihipStream_tbEUljE_ZNSN_ISO_Lb0ESQ_SR_ST_SU_SY_EESZ_S10_S11_S12_S16_S17_S18_S1B_S1C_jS1D_jS1E_S1E_jjS1G_bEUljE0_EEESZ_S10_S11_S18_S1C_S1E_T6_T7_T9_mT8_S1G_bDpT10_ENKUlT_T0_E_clISt17integral_constantIbLb0EES1U_EEDaS1P_S1Q_EUlS1P_E_NS1_11comp_targetILNS1_3genE4ELNS1_11target_archE910ELNS1_3gpuE8ELNS1_3repE0EEENS1_30default_config_static_selectorELNS0_4arch9wavefront6targetE1EEEvS12_ ; -- Begin function _ZN7rocprim17ROCPRIM_400000_NS6detail17trampoline_kernelINS0_13select_configILj256ELj13ELNS0_17block_load_methodE3ELS4_3ELS4_3ELNS0_20block_scan_algorithmE0ELj4294967295EEENS1_25partition_config_selectorILNS1_17partition_subalgoE4EjNS0_10empty_typeEbEEZZNS1_14partition_implILS8_4ELb0ES6_15HIP_vector_typeIjLj2EENS0_17counting_iteratorIjlEEPS9_SG_NS0_5tupleIJPjSI_NS0_16reverse_iteratorISI_EEEEENSH_IJSG_SG_SG_EEES9_SI_JZNS1_25segmented_radix_sort_implINS0_14default_configELb0EPKiPiPKlPlN2at6native12_GLOBAL__N_18offset_tEEE10hipError_tPvRmT1_PNSt15iterator_traitsIS12_E10value_typeET2_T3_PNS13_IS18_E10value_typeET4_jRbjT5_S1E_jjP12ihipStream_tbEUljE_ZNSN_ISO_Lb0ESQ_SR_ST_SU_SY_EESZ_S10_S11_S12_S16_S17_S18_S1B_S1C_jS1D_jS1E_S1E_jjS1G_bEUljE0_EEESZ_S10_S11_S18_S1C_S1E_T6_T7_T9_mT8_S1G_bDpT10_ENKUlT_T0_E_clISt17integral_constantIbLb0EES1U_EEDaS1P_S1Q_EUlS1P_E_NS1_11comp_targetILNS1_3genE4ELNS1_11target_archE910ELNS1_3gpuE8ELNS1_3repE0EEENS1_30default_config_static_selectorELNS0_4arch9wavefront6targetE1EEEvS12_
	.p2align	8
	.type	_ZN7rocprim17ROCPRIM_400000_NS6detail17trampoline_kernelINS0_13select_configILj256ELj13ELNS0_17block_load_methodE3ELS4_3ELS4_3ELNS0_20block_scan_algorithmE0ELj4294967295EEENS1_25partition_config_selectorILNS1_17partition_subalgoE4EjNS0_10empty_typeEbEEZZNS1_14partition_implILS8_4ELb0ES6_15HIP_vector_typeIjLj2EENS0_17counting_iteratorIjlEEPS9_SG_NS0_5tupleIJPjSI_NS0_16reverse_iteratorISI_EEEEENSH_IJSG_SG_SG_EEES9_SI_JZNS1_25segmented_radix_sort_implINS0_14default_configELb0EPKiPiPKlPlN2at6native12_GLOBAL__N_18offset_tEEE10hipError_tPvRmT1_PNSt15iterator_traitsIS12_E10value_typeET2_T3_PNS13_IS18_E10value_typeET4_jRbjT5_S1E_jjP12ihipStream_tbEUljE_ZNSN_ISO_Lb0ESQ_SR_ST_SU_SY_EESZ_S10_S11_S12_S16_S17_S18_S1B_S1C_jS1D_jS1E_S1E_jjS1G_bEUljE0_EEESZ_S10_S11_S18_S1C_S1E_T6_T7_T9_mT8_S1G_bDpT10_ENKUlT_T0_E_clISt17integral_constantIbLb0EES1U_EEDaS1P_S1Q_EUlS1P_E_NS1_11comp_targetILNS1_3genE4ELNS1_11target_archE910ELNS1_3gpuE8ELNS1_3repE0EEENS1_30default_config_static_selectorELNS0_4arch9wavefront6targetE1EEEvS12_,@function
_ZN7rocprim17ROCPRIM_400000_NS6detail17trampoline_kernelINS0_13select_configILj256ELj13ELNS0_17block_load_methodE3ELS4_3ELS4_3ELNS0_20block_scan_algorithmE0ELj4294967295EEENS1_25partition_config_selectorILNS1_17partition_subalgoE4EjNS0_10empty_typeEbEEZZNS1_14partition_implILS8_4ELb0ES6_15HIP_vector_typeIjLj2EENS0_17counting_iteratorIjlEEPS9_SG_NS0_5tupleIJPjSI_NS0_16reverse_iteratorISI_EEEEENSH_IJSG_SG_SG_EEES9_SI_JZNS1_25segmented_radix_sort_implINS0_14default_configELb0EPKiPiPKlPlN2at6native12_GLOBAL__N_18offset_tEEE10hipError_tPvRmT1_PNSt15iterator_traitsIS12_E10value_typeET2_T3_PNS13_IS18_E10value_typeET4_jRbjT5_S1E_jjP12ihipStream_tbEUljE_ZNSN_ISO_Lb0ESQ_SR_ST_SU_SY_EESZ_S10_S11_S12_S16_S17_S18_S1B_S1C_jS1D_jS1E_S1E_jjS1G_bEUljE0_EEESZ_S10_S11_S18_S1C_S1E_T6_T7_T9_mT8_S1G_bDpT10_ENKUlT_T0_E_clISt17integral_constantIbLb0EES1U_EEDaS1P_S1Q_EUlS1P_E_NS1_11comp_targetILNS1_3genE4ELNS1_11target_archE910ELNS1_3gpuE8ELNS1_3repE0EEENS1_30default_config_static_selectorELNS0_4arch9wavefront6targetE1EEEvS12_: ; @_ZN7rocprim17ROCPRIM_400000_NS6detail17trampoline_kernelINS0_13select_configILj256ELj13ELNS0_17block_load_methodE3ELS4_3ELS4_3ELNS0_20block_scan_algorithmE0ELj4294967295EEENS1_25partition_config_selectorILNS1_17partition_subalgoE4EjNS0_10empty_typeEbEEZZNS1_14partition_implILS8_4ELb0ES6_15HIP_vector_typeIjLj2EENS0_17counting_iteratorIjlEEPS9_SG_NS0_5tupleIJPjSI_NS0_16reverse_iteratorISI_EEEEENSH_IJSG_SG_SG_EEES9_SI_JZNS1_25segmented_radix_sort_implINS0_14default_configELb0EPKiPiPKlPlN2at6native12_GLOBAL__N_18offset_tEEE10hipError_tPvRmT1_PNSt15iterator_traitsIS12_E10value_typeET2_T3_PNS13_IS18_E10value_typeET4_jRbjT5_S1E_jjP12ihipStream_tbEUljE_ZNSN_ISO_Lb0ESQ_SR_ST_SU_SY_EESZ_S10_S11_S12_S16_S17_S18_S1B_S1C_jS1D_jS1E_S1E_jjS1G_bEUljE0_EEESZ_S10_S11_S18_S1C_S1E_T6_T7_T9_mT8_S1G_bDpT10_ENKUlT_T0_E_clISt17integral_constantIbLb0EES1U_EEDaS1P_S1Q_EUlS1P_E_NS1_11comp_targetILNS1_3genE4ELNS1_11target_archE910ELNS1_3gpuE8ELNS1_3repE0EEENS1_30default_config_static_selectorELNS0_4arch9wavefront6targetE1EEEvS12_
; %bb.0:
	.section	.rodata,"a",@progbits
	.p2align	6, 0x0
	.amdhsa_kernel _ZN7rocprim17ROCPRIM_400000_NS6detail17trampoline_kernelINS0_13select_configILj256ELj13ELNS0_17block_load_methodE3ELS4_3ELS4_3ELNS0_20block_scan_algorithmE0ELj4294967295EEENS1_25partition_config_selectorILNS1_17partition_subalgoE4EjNS0_10empty_typeEbEEZZNS1_14partition_implILS8_4ELb0ES6_15HIP_vector_typeIjLj2EENS0_17counting_iteratorIjlEEPS9_SG_NS0_5tupleIJPjSI_NS0_16reverse_iteratorISI_EEEEENSH_IJSG_SG_SG_EEES9_SI_JZNS1_25segmented_radix_sort_implINS0_14default_configELb0EPKiPiPKlPlN2at6native12_GLOBAL__N_18offset_tEEE10hipError_tPvRmT1_PNSt15iterator_traitsIS12_E10value_typeET2_T3_PNS13_IS18_E10value_typeET4_jRbjT5_S1E_jjP12ihipStream_tbEUljE_ZNSN_ISO_Lb0ESQ_SR_ST_SU_SY_EESZ_S10_S11_S12_S16_S17_S18_S1B_S1C_jS1D_jS1E_S1E_jjS1G_bEUljE0_EEESZ_S10_S11_S18_S1C_S1E_T6_T7_T9_mT8_S1G_bDpT10_ENKUlT_T0_E_clISt17integral_constantIbLb0EES1U_EEDaS1P_S1Q_EUlS1P_E_NS1_11comp_targetILNS1_3genE4ELNS1_11target_archE910ELNS1_3gpuE8ELNS1_3repE0EEENS1_30default_config_static_selectorELNS0_4arch9wavefront6targetE1EEEvS12_
		.amdhsa_group_segment_fixed_size 0
		.amdhsa_private_segment_fixed_size 0
		.amdhsa_kernarg_size 176
		.amdhsa_user_sgpr_count 6
		.amdhsa_user_sgpr_private_segment_buffer 1
		.amdhsa_user_sgpr_dispatch_ptr 0
		.amdhsa_user_sgpr_queue_ptr 0
		.amdhsa_user_sgpr_kernarg_segment_ptr 1
		.amdhsa_user_sgpr_dispatch_id 0
		.amdhsa_user_sgpr_flat_scratch_init 0
		.amdhsa_user_sgpr_private_segment_size 0
		.amdhsa_uses_dynamic_stack 0
		.amdhsa_system_sgpr_private_segment_wavefront_offset 0
		.amdhsa_system_sgpr_workgroup_id_x 1
		.amdhsa_system_sgpr_workgroup_id_y 0
		.amdhsa_system_sgpr_workgroup_id_z 0
		.amdhsa_system_sgpr_workgroup_info 0
		.amdhsa_system_vgpr_workitem_id 0
		.amdhsa_next_free_vgpr 1
		.amdhsa_next_free_sgpr 0
		.amdhsa_reserve_vcc 0
		.amdhsa_reserve_flat_scratch 0
		.amdhsa_float_round_mode_32 0
		.amdhsa_float_round_mode_16_64 0
		.amdhsa_float_denorm_mode_32 3
		.amdhsa_float_denorm_mode_16_64 3
		.amdhsa_dx10_clamp 1
		.amdhsa_ieee_mode 1
		.amdhsa_fp16_overflow 0
		.amdhsa_exception_fp_ieee_invalid_op 0
		.amdhsa_exception_fp_denorm_src 0
		.amdhsa_exception_fp_ieee_div_zero 0
		.amdhsa_exception_fp_ieee_overflow 0
		.amdhsa_exception_fp_ieee_underflow 0
		.amdhsa_exception_fp_ieee_inexact 0
		.amdhsa_exception_int_div_zero 0
	.end_amdhsa_kernel
	.section	.text._ZN7rocprim17ROCPRIM_400000_NS6detail17trampoline_kernelINS0_13select_configILj256ELj13ELNS0_17block_load_methodE3ELS4_3ELS4_3ELNS0_20block_scan_algorithmE0ELj4294967295EEENS1_25partition_config_selectorILNS1_17partition_subalgoE4EjNS0_10empty_typeEbEEZZNS1_14partition_implILS8_4ELb0ES6_15HIP_vector_typeIjLj2EENS0_17counting_iteratorIjlEEPS9_SG_NS0_5tupleIJPjSI_NS0_16reverse_iteratorISI_EEEEENSH_IJSG_SG_SG_EEES9_SI_JZNS1_25segmented_radix_sort_implINS0_14default_configELb0EPKiPiPKlPlN2at6native12_GLOBAL__N_18offset_tEEE10hipError_tPvRmT1_PNSt15iterator_traitsIS12_E10value_typeET2_T3_PNS13_IS18_E10value_typeET4_jRbjT5_S1E_jjP12ihipStream_tbEUljE_ZNSN_ISO_Lb0ESQ_SR_ST_SU_SY_EESZ_S10_S11_S12_S16_S17_S18_S1B_S1C_jS1D_jS1E_S1E_jjS1G_bEUljE0_EEESZ_S10_S11_S18_S1C_S1E_T6_T7_T9_mT8_S1G_bDpT10_ENKUlT_T0_E_clISt17integral_constantIbLb0EES1U_EEDaS1P_S1Q_EUlS1P_E_NS1_11comp_targetILNS1_3genE4ELNS1_11target_archE910ELNS1_3gpuE8ELNS1_3repE0EEENS1_30default_config_static_selectorELNS0_4arch9wavefront6targetE1EEEvS12_,"axG",@progbits,_ZN7rocprim17ROCPRIM_400000_NS6detail17trampoline_kernelINS0_13select_configILj256ELj13ELNS0_17block_load_methodE3ELS4_3ELS4_3ELNS0_20block_scan_algorithmE0ELj4294967295EEENS1_25partition_config_selectorILNS1_17partition_subalgoE4EjNS0_10empty_typeEbEEZZNS1_14partition_implILS8_4ELb0ES6_15HIP_vector_typeIjLj2EENS0_17counting_iteratorIjlEEPS9_SG_NS0_5tupleIJPjSI_NS0_16reverse_iteratorISI_EEEEENSH_IJSG_SG_SG_EEES9_SI_JZNS1_25segmented_radix_sort_implINS0_14default_configELb0EPKiPiPKlPlN2at6native12_GLOBAL__N_18offset_tEEE10hipError_tPvRmT1_PNSt15iterator_traitsIS12_E10value_typeET2_T3_PNS13_IS18_E10value_typeET4_jRbjT5_S1E_jjP12ihipStream_tbEUljE_ZNSN_ISO_Lb0ESQ_SR_ST_SU_SY_EESZ_S10_S11_S12_S16_S17_S18_S1B_S1C_jS1D_jS1E_S1E_jjS1G_bEUljE0_EEESZ_S10_S11_S18_S1C_S1E_T6_T7_T9_mT8_S1G_bDpT10_ENKUlT_T0_E_clISt17integral_constantIbLb0EES1U_EEDaS1P_S1Q_EUlS1P_E_NS1_11comp_targetILNS1_3genE4ELNS1_11target_archE910ELNS1_3gpuE8ELNS1_3repE0EEENS1_30default_config_static_selectorELNS0_4arch9wavefront6targetE1EEEvS12_,comdat
.Lfunc_end538:
	.size	_ZN7rocprim17ROCPRIM_400000_NS6detail17trampoline_kernelINS0_13select_configILj256ELj13ELNS0_17block_load_methodE3ELS4_3ELS4_3ELNS0_20block_scan_algorithmE0ELj4294967295EEENS1_25partition_config_selectorILNS1_17partition_subalgoE4EjNS0_10empty_typeEbEEZZNS1_14partition_implILS8_4ELb0ES6_15HIP_vector_typeIjLj2EENS0_17counting_iteratorIjlEEPS9_SG_NS0_5tupleIJPjSI_NS0_16reverse_iteratorISI_EEEEENSH_IJSG_SG_SG_EEES9_SI_JZNS1_25segmented_radix_sort_implINS0_14default_configELb0EPKiPiPKlPlN2at6native12_GLOBAL__N_18offset_tEEE10hipError_tPvRmT1_PNSt15iterator_traitsIS12_E10value_typeET2_T3_PNS13_IS18_E10value_typeET4_jRbjT5_S1E_jjP12ihipStream_tbEUljE_ZNSN_ISO_Lb0ESQ_SR_ST_SU_SY_EESZ_S10_S11_S12_S16_S17_S18_S1B_S1C_jS1D_jS1E_S1E_jjS1G_bEUljE0_EEESZ_S10_S11_S18_S1C_S1E_T6_T7_T9_mT8_S1G_bDpT10_ENKUlT_T0_E_clISt17integral_constantIbLb0EES1U_EEDaS1P_S1Q_EUlS1P_E_NS1_11comp_targetILNS1_3genE4ELNS1_11target_archE910ELNS1_3gpuE8ELNS1_3repE0EEENS1_30default_config_static_selectorELNS0_4arch9wavefront6targetE1EEEvS12_, .Lfunc_end538-_ZN7rocprim17ROCPRIM_400000_NS6detail17trampoline_kernelINS0_13select_configILj256ELj13ELNS0_17block_load_methodE3ELS4_3ELS4_3ELNS0_20block_scan_algorithmE0ELj4294967295EEENS1_25partition_config_selectorILNS1_17partition_subalgoE4EjNS0_10empty_typeEbEEZZNS1_14partition_implILS8_4ELb0ES6_15HIP_vector_typeIjLj2EENS0_17counting_iteratorIjlEEPS9_SG_NS0_5tupleIJPjSI_NS0_16reverse_iteratorISI_EEEEENSH_IJSG_SG_SG_EEES9_SI_JZNS1_25segmented_radix_sort_implINS0_14default_configELb0EPKiPiPKlPlN2at6native12_GLOBAL__N_18offset_tEEE10hipError_tPvRmT1_PNSt15iterator_traitsIS12_E10value_typeET2_T3_PNS13_IS18_E10value_typeET4_jRbjT5_S1E_jjP12ihipStream_tbEUljE_ZNSN_ISO_Lb0ESQ_SR_ST_SU_SY_EESZ_S10_S11_S12_S16_S17_S18_S1B_S1C_jS1D_jS1E_S1E_jjS1G_bEUljE0_EEESZ_S10_S11_S18_S1C_S1E_T6_T7_T9_mT8_S1G_bDpT10_ENKUlT_T0_E_clISt17integral_constantIbLb0EES1U_EEDaS1P_S1Q_EUlS1P_E_NS1_11comp_targetILNS1_3genE4ELNS1_11target_archE910ELNS1_3gpuE8ELNS1_3repE0EEENS1_30default_config_static_selectorELNS0_4arch9wavefront6targetE1EEEvS12_
                                        ; -- End function
	.set _ZN7rocprim17ROCPRIM_400000_NS6detail17trampoline_kernelINS0_13select_configILj256ELj13ELNS0_17block_load_methodE3ELS4_3ELS4_3ELNS0_20block_scan_algorithmE0ELj4294967295EEENS1_25partition_config_selectorILNS1_17partition_subalgoE4EjNS0_10empty_typeEbEEZZNS1_14partition_implILS8_4ELb0ES6_15HIP_vector_typeIjLj2EENS0_17counting_iteratorIjlEEPS9_SG_NS0_5tupleIJPjSI_NS0_16reverse_iteratorISI_EEEEENSH_IJSG_SG_SG_EEES9_SI_JZNS1_25segmented_radix_sort_implINS0_14default_configELb0EPKiPiPKlPlN2at6native12_GLOBAL__N_18offset_tEEE10hipError_tPvRmT1_PNSt15iterator_traitsIS12_E10value_typeET2_T3_PNS13_IS18_E10value_typeET4_jRbjT5_S1E_jjP12ihipStream_tbEUljE_ZNSN_ISO_Lb0ESQ_SR_ST_SU_SY_EESZ_S10_S11_S12_S16_S17_S18_S1B_S1C_jS1D_jS1E_S1E_jjS1G_bEUljE0_EEESZ_S10_S11_S18_S1C_S1E_T6_T7_T9_mT8_S1G_bDpT10_ENKUlT_T0_E_clISt17integral_constantIbLb0EES1U_EEDaS1P_S1Q_EUlS1P_E_NS1_11comp_targetILNS1_3genE4ELNS1_11target_archE910ELNS1_3gpuE8ELNS1_3repE0EEENS1_30default_config_static_selectorELNS0_4arch9wavefront6targetE1EEEvS12_.num_vgpr, 0
	.set _ZN7rocprim17ROCPRIM_400000_NS6detail17trampoline_kernelINS0_13select_configILj256ELj13ELNS0_17block_load_methodE3ELS4_3ELS4_3ELNS0_20block_scan_algorithmE0ELj4294967295EEENS1_25partition_config_selectorILNS1_17partition_subalgoE4EjNS0_10empty_typeEbEEZZNS1_14partition_implILS8_4ELb0ES6_15HIP_vector_typeIjLj2EENS0_17counting_iteratorIjlEEPS9_SG_NS0_5tupleIJPjSI_NS0_16reverse_iteratorISI_EEEEENSH_IJSG_SG_SG_EEES9_SI_JZNS1_25segmented_radix_sort_implINS0_14default_configELb0EPKiPiPKlPlN2at6native12_GLOBAL__N_18offset_tEEE10hipError_tPvRmT1_PNSt15iterator_traitsIS12_E10value_typeET2_T3_PNS13_IS18_E10value_typeET4_jRbjT5_S1E_jjP12ihipStream_tbEUljE_ZNSN_ISO_Lb0ESQ_SR_ST_SU_SY_EESZ_S10_S11_S12_S16_S17_S18_S1B_S1C_jS1D_jS1E_S1E_jjS1G_bEUljE0_EEESZ_S10_S11_S18_S1C_S1E_T6_T7_T9_mT8_S1G_bDpT10_ENKUlT_T0_E_clISt17integral_constantIbLb0EES1U_EEDaS1P_S1Q_EUlS1P_E_NS1_11comp_targetILNS1_3genE4ELNS1_11target_archE910ELNS1_3gpuE8ELNS1_3repE0EEENS1_30default_config_static_selectorELNS0_4arch9wavefront6targetE1EEEvS12_.num_agpr, 0
	.set _ZN7rocprim17ROCPRIM_400000_NS6detail17trampoline_kernelINS0_13select_configILj256ELj13ELNS0_17block_load_methodE3ELS4_3ELS4_3ELNS0_20block_scan_algorithmE0ELj4294967295EEENS1_25partition_config_selectorILNS1_17partition_subalgoE4EjNS0_10empty_typeEbEEZZNS1_14partition_implILS8_4ELb0ES6_15HIP_vector_typeIjLj2EENS0_17counting_iteratorIjlEEPS9_SG_NS0_5tupleIJPjSI_NS0_16reverse_iteratorISI_EEEEENSH_IJSG_SG_SG_EEES9_SI_JZNS1_25segmented_radix_sort_implINS0_14default_configELb0EPKiPiPKlPlN2at6native12_GLOBAL__N_18offset_tEEE10hipError_tPvRmT1_PNSt15iterator_traitsIS12_E10value_typeET2_T3_PNS13_IS18_E10value_typeET4_jRbjT5_S1E_jjP12ihipStream_tbEUljE_ZNSN_ISO_Lb0ESQ_SR_ST_SU_SY_EESZ_S10_S11_S12_S16_S17_S18_S1B_S1C_jS1D_jS1E_S1E_jjS1G_bEUljE0_EEESZ_S10_S11_S18_S1C_S1E_T6_T7_T9_mT8_S1G_bDpT10_ENKUlT_T0_E_clISt17integral_constantIbLb0EES1U_EEDaS1P_S1Q_EUlS1P_E_NS1_11comp_targetILNS1_3genE4ELNS1_11target_archE910ELNS1_3gpuE8ELNS1_3repE0EEENS1_30default_config_static_selectorELNS0_4arch9wavefront6targetE1EEEvS12_.numbered_sgpr, 0
	.set _ZN7rocprim17ROCPRIM_400000_NS6detail17trampoline_kernelINS0_13select_configILj256ELj13ELNS0_17block_load_methodE3ELS4_3ELS4_3ELNS0_20block_scan_algorithmE0ELj4294967295EEENS1_25partition_config_selectorILNS1_17partition_subalgoE4EjNS0_10empty_typeEbEEZZNS1_14partition_implILS8_4ELb0ES6_15HIP_vector_typeIjLj2EENS0_17counting_iteratorIjlEEPS9_SG_NS0_5tupleIJPjSI_NS0_16reverse_iteratorISI_EEEEENSH_IJSG_SG_SG_EEES9_SI_JZNS1_25segmented_radix_sort_implINS0_14default_configELb0EPKiPiPKlPlN2at6native12_GLOBAL__N_18offset_tEEE10hipError_tPvRmT1_PNSt15iterator_traitsIS12_E10value_typeET2_T3_PNS13_IS18_E10value_typeET4_jRbjT5_S1E_jjP12ihipStream_tbEUljE_ZNSN_ISO_Lb0ESQ_SR_ST_SU_SY_EESZ_S10_S11_S12_S16_S17_S18_S1B_S1C_jS1D_jS1E_S1E_jjS1G_bEUljE0_EEESZ_S10_S11_S18_S1C_S1E_T6_T7_T9_mT8_S1G_bDpT10_ENKUlT_T0_E_clISt17integral_constantIbLb0EES1U_EEDaS1P_S1Q_EUlS1P_E_NS1_11comp_targetILNS1_3genE4ELNS1_11target_archE910ELNS1_3gpuE8ELNS1_3repE0EEENS1_30default_config_static_selectorELNS0_4arch9wavefront6targetE1EEEvS12_.num_named_barrier, 0
	.set _ZN7rocprim17ROCPRIM_400000_NS6detail17trampoline_kernelINS0_13select_configILj256ELj13ELNS0_17block_load_methodE3ELS4_3ELS4_3ELNS0_20block_scan_algorithmE0ELj4294967295EEENS1_25partition_config_selectorILNS1_17partition_subalgoE4EjNS0_10empty_typeEbEEZZNS1_14partition_implILS8_4ELb0ES6_15HIP_vector_typeIjLj2EENS0_17counting_iteratorIjlEEPS9_SG_NS0_5tupleIJPjSI_NS0_16reverse_iteratorISI_EEEEENSH_IJSG_SG_SG_EEES9_SI_JZNS1_25segmented_radix_sort_implINS0_14default_configELb0EPKiPiPKlPlN2at6native12_GLOBAL__N_18offset_tEEE10hipError_tPvRmT1_PNSt15iterator_traitsIS12_E10value_typeET2_T3_PNS13_IS18_E10value_typeET4_jRbjT5_S1E_jjP12ihipStream_tbEUljE_ZNSN_ISO_Lb0ESQ_SR_ST_SU_SY_EESZ_S10_S11_S12_S16_S17_S18_S1B_S1C_jS1D_jS1E_S1E_jjS1G_bEUljE0_EEESZ_S10_S11_S18_S1C_S1E_T6_T7_T9_mT8_S1G_bDpT10_ENKUlT_T0_E_clISt17integral_constantIbLb0EES1U_EEDaS1P_S1Q_EUlS1P_E_NS1_11comp_targetILNS1_3genE4ELNS1_11target_archE910ELNS1_3gpuE8ELNS1_3repE0EEENS1_30default_config_static_selectorELNS0_4arch9wavefront6targetE1EEEvS12_.private_seg_size, 0
	.set _ZN7rocprim17ROCPRIM_400000_NS6detail17trampoline_kernelINS0_13select_configILj256ELj13ELNS0_17block_load_methodE3ELS4_3ELS4_3ELNS0_20block_scan_algorithmE0ELj4294967295EEENS1_25partition_config_selectorILNS1_17partition_subalgoE4EjNS0_10empty_typeEbEEZZNS1_14partition_implILS8_4ELb0ES6_15HIP_vector_typeIjLj2EENS0_17counting_iteratorIjlEEPS9_SG_NS0_5tupleIJPjSI_NS0_16reverse_iteratorISI_EEEEENSH_IJSG_SG_SG_EEES9_SI_JZNS1_25segmented_radix_sort_implINS0_14default_configELb0EPKiPiPKlPlN2at6native12_GLOBAL__N_18offset_tEEE10hipError_tPvRmT1_PNSt15iterator_traitsIS12_E10value_typeET2_T3_PNS13_IS18_E10value_typeET4_jRbjT5_S1E_jjP12ihipStream_tbEUljE_ZNSN_ISO_Lb0ESQ_SR_ST_SU_SY_EESZ_S10_S11_S12_S16_S17_S18_S1B_S1C_jS1D_jS1E_S1E_jjS1G_bEUljE0_EEESZ_S10_S11_S18_S1C_S1E_T6_T7_T9_mT8_S1G_bDpT10_ENKUlT_T0_E_clISt17integral_constantIbLb0EES1U_EEDaS1P_S1Q_EUlS1P_E_NS1_11comp_targetILNS1_3genE4ELNS1_11target_archE910ELNS1_3gpuE8ELNS1_3repE0EEENS1_30default_config_static_selectorELNS0_4arch9wavefront6targetE1EEEvS12_.uses_vcc, 0
	.set _ZN7rocprim17ROCPRIM_400000_NS6detail17trampoline_kernelINS0_13select_configILj256ELj13ELNS0_17block_load_methodE3ELS4_3ELS4_3ELNS0_20block_scan_algorithmE0ELj4294967295EEENS1_25partition_config_selectorILNS1_17partition_subalgoE4EjNS0_10empty_typeEbEEZZNS1_14partition_implILS8_4ELb0ES6_15HIP_vector_typeIjLj2EENS0_17counting_iteratorIjlEEPS9_SG_NS0_5tupleIJPjSI_NS0_16reverse_iteratorISI_EEEEENSH_IJSG_SG_SG_EEES9_SI_JZNS1_25segmented_radix_sort_implINS0_14default_configELb0EPKiPiPKlPlN2at6native12_GLOBAL__N_18offset_tEEE10hipError_tPvRmT1_PNSt15iterator_traitsIS12_E10value_typeET2_T3_PNS13_IS18_E10value_typeET4_jRbjT5_S1E_jjP12ihipStream_tbEUljE_ZNSN_ISO_Lb0ESQ_SR_ST_SU_SY_EESZ_S10_S11_S12_S16_S17_S18_S1B_S1C_jS1D_jS1E_S1E_jjS1G_bEUljE0_EEESZ_S10_S11_S18_S1C_S1E_T6_T7_T9_mT8_S1G_bDpT10_ENKUlT_T0_E_clISt17integral_constantIbLb0EES1U_EEDaS1P_S1Q_EUlS1P_E_NS1_11comp_targetILNS1_3genE4ELNS1_11target_archE910ELNS1_3gpuE8ELNS1_3repE0EEENS1_30default_config_static_selectorELNS0_4arch9wavefront6targetE1EEEvS12_.uses_flat_scratch, 0
	.set _ZN7rocprim17ROCPRIM_400000_NS6detail17trampoline_kernelINS0_13select_configILj256ELj13ELNS0_17block_load_methodE3ELS4_3ELS4_3ELNS0_20block_scan_algorithmE0ELj4294967295EEENS1_25partition_config_selectorILNS1_17partition_subalgoE4EjNS0_10empty_typeEbEEZZNS1_14partition_implILS8_4ELb0ES6_15HIP_vector_typeIjLj2EENS0_17counting_iteratorIjlEEPS9_SG_NS0_5tupleIJPjSI_NS0_16reverse_iteratorISI_EEEEENSH_IJSG_SG_SG_EEES9_SI_JZNS1_25segmented_radix_sort_implINS0_14default_configELb0EPKiPiPKlPlN2at6native12_GLOBAL__N_18offset_tEEE10hipError_tPvRmT1_PNSt15iterator_traitsIS12_E10value_typeET2_T3_PNS13_IS18_E10value_typeET4_jRbjT5_S1E_jjP12ihipStream_tbEUljE_ZNSN_ISO_Lb0ESQ_SR_ST_SU_SY_EESZ_S10_S11_S12_S16_S17_S18_S1B_S1C_jS1D_jS1E_S1E_jjS1G_bEUljE0_EEESZ_S10_S11_S18_S1C_S1E_T6_T7_T9_mT8_S1G_bDpT10_ENKUlT_T0_E_clISt17integral_constantIbLb0EES1U_EEDaS1P_S1Q_EUlS1P_E_NS1_11comp_targetILNS1_3genE4ELNS1_11target_archE910ELNS1_3gpuE8ELNS1_3repE0EEENS1_30default_config_static_selectorELNS0_4arch9wavefront6targetE1EEEvS12_.has_dyn_sized_stack, 0
	.set _ZN7rocprim17ROCPRIM_400000_NS6detail17trampoline_kernelINS0_13select_configILj256ELj13ELNS0_17block_load_methodE3ELS4_3ELS4_3ELNS0_20block_scan_algorithmE0ELj4294967295EEENS1_25partition_config_selectorILNS1_17partition_subalgoE4EjNS0_10empty_typeEbEEZZNS1_14partition_implILS8_4ELb0ES6_15HIP_vector_typeIjLj2EENS0_17counting_iteratorIjlEEPS9_SG_NS0_5tupleIJPjSI_NS0_16reverse_iteratorISI_EEEEENSH_IJSG_SG_SG_EEES9_SI_JZNS1_25segmented_radix_sort_implINS0_14default_configELb0EPKiPiPKlPlN2at6native12_GLOBAL__N_18offset_tEEE10hipError_tPvRmT1_PNSt15iterator_traitsIS12_E10value_typeET2_T3_PNS13_IS18_E10value_typeET4_jRbjT5_S1E_jjP12ihipStream_tbEUljE_ZNSN_ISO_Lb0ESQ_SR_ST_SU_SY_EESZ_S10_S11_S12_S16_S17_S18_S1B_S1C_jS1D_jS1E_S1E_jjS1G_bEUljE0_EEESZ_S10_S11_S18_S1C_S1E_T6_T7_T9_mT8_S1G_bDpT10_ENKUlT_T0_E_clISt17integral_constantIbLb0EES1U_EEDaS1P_S1Q_EUlS1P_E_NS1_11comp_targetILNS1_3genE4ELNS1_11target_archE910ELNS1_3gpuE8ELNS1_3repE0EEENS1_30default_config_static_selectorELNS0_4arch9wavefront6targetE1EEEvS12_.has_recursion, 0
	.set _ZN7rocprim17ROCPRIM_400000_NS6detail17trampoline_kernelINS0_13select_configILj256ELj13ELNS0_17block_load_methodE3ELS4_3ELS4_3ELNS0_20block_scan_algorithmE0ELj4294967295EEENS1_25partition_config_selectorILNS1_17partition_subalgoE4EjNS0_10empty_typeEbEEZZNS1_14partition_implILS8_4ELb0ES6_15HIP_vector_typeIjLj2EENS0_17counting_iteratorIjlEEPS9_SG_NS0_5tupleIJPjSI_NS0_16reverse_iteratorISI_EEEEENSH_IJSG_SG_SG_EEES9_SI_JZNS1_25segmented_radix_sort_implINS0_14default_configELb0EPKiPiPKlPlN2at6native12_GLOBAL__N_18offset_tEEE10hipError_tPvRmT1_PNSt15iterator_traitsIS12_E10value_typeET2_T3_PNS13_IS18_E10value_typeET4_jRbjT5_S1E_jjP12ihipStream_tbEUljE_ZNSN_ISO_Lb0ESQ_SR_ST_SU_SY_EESZ_S10_S11_S12_S16_S17_S18_S1B_S1C_jS1D_jS1E_S1E_jjS1G_bEUljE0_EEESZ_S10_S11_S18_S1C_S1E_T6_T7_T9_mT8_S1G_bDpT10_ENKUlT_T0_E_clISt17integral_constantIbLb0EES1U_EEDaS1P_S1Q_EUlS1P_E_NS1_11comp_targetILNS1_3genE4ELNS1_11target_archE910ELNS1_3gpuE8ELNS1_3repE0EEENS1_30default_config_static_selectorELNS0_4arch9wavefront6targetE1EEEvS12_.has_indirect_call, 0
	.section	.AMDGPU.csdata,"",@progbits
; Kernel info:
; codeLenInByte = 0
; TotalNumSgprs: 4
; NumVgprs: 0
; ScratchSize: 0
; MemoryBound: 0
; FloatMode: 240
; IeeeMode: 1
; LDSByteSize: 0 bytes/workgroup (compile time only)
; SGPRBlocks: 0
; VGPRBlocks: 0
; NumSGPRsForWavesPerEU: 4
; NumVGPRsForWavesPerEU: 1
; Occupancy: 10
; WaveLimiterHint : 0
; COMPUTE_PGM_RSRC2:SCRATCH_EN: 0
; COMPUTE_PGM_RSRC2:USER_SGPR: 6
; COMPUTE_PGM_RSRC2:TRAP_HANDLER: 0
; COMPUTE_PGM_RSRC2:TGID_X_EN: 1
; COMPUTE_PGM_RSRC2:TGID_Y_EN: 0
; COMPUTE_PGM_RSRC2:TGID_Z_EN: 0
; COMPUTE_PGM_RSRC2:TIDIG_COMP_CNT: 0
	.section	.text._ZN7rocprim17ROCPRIM_400000_NS6detail17trampoline_kernelINS0_13select_configILj256ELj13ELNS0_17block_load_methodE3ELS4_3ELS4_3ELNS0_20block_scan_algorithmE0ELj4294967295EEENS1_25partition_config_selectorILNS1_17partition_subalgoE4EjNS0_10empty_typeEbEEZZNS1_14partition_implILS8_4ELb0ES6_15HIP_vector_typeIjLj2EENS0_17counting_iteratorIjlEEPS9_SG_NS0_5tupleIJPjSI_NS0_16reverse_iteratorISI_EEEEENSH_IJSG_SG_SG_EEES9_SI_JZNS1_25segmented_radix_sort_implINS0_14default_configELb0EPKiPiPKlPlN2at6native12_GLOBAL__N_18offset_tEEE10hipError_tPvRmT1_PNSt15iterator_traitsIS12_E10value_typeET2_T3_PNS13_IS18_E10value_typeET4_jRbjT5_S1E_jjP12ihipStream_tbEUljE_ZNSN_ISO_Lb0ESQ_SR_ST_SU_SY_EESZ_S10_S11_S12_S16_S17_S18_S1B_S1C_jS1D_jS1E_S1E_jjS1G_bEUljE0_EEESZ_S10_S11_S18_S1C_S1E_T6_T7_T9_mT8_S1G_bDpT10_ENKUlT_T0_E_clISt17integral_constantIbLb0EES1U_EEDaS1P_S1Q_EUlS1P_E_NS1_11comp_targetILNS1_3genE3ELNS1_11target_archE908ELNS1_3gpuE7ELNS1_3repE0EEENS1_30default_config_static_selectorELNS0_4arch9wavefront6targetE1EEEvS12_,"axG",@progbits,_ZN7rocprim17ROCPRIM_400000_NS6detail17trampoline_kernelINS0_13select_configILj256ELj13ELNS0_17block_load_methodE3ELS4_3ELS4_3ELNS0_20block_scan_algorithmE0ELj4294967295EEENS1_25partition_config_selectorILNS1_17partition_subalgoE4EjNS0_10empty_typeEbEEZZNS1_14partition_implILS8_4ELb0ES6_15HIP_vector_typeIjLj2EENS0_17counting_iteratorIjlEEPS9_SG_NS0_5tupleIJPjSI_NS0_16reverse_iteratorISI_EEEEENSH_IJSG_SG_SG_EEES9_SI_JZNS1_25segmented_radix_sort_implINS0_14default_configELb0EPKiPiPKlPlN2at6native12_GLOBAL__N_18offset_tEEE10hipError_tPvRmT1_PNSt15iterator_traitsIS12_E10value_typeET2_T3_PNS13_IS18_E10value_typeET4_jRbjT5_S1E_jjP12ihipStream_tbEUljE_ZNSN_ISO_Lb0ESQ_SR_ST_SU_SY_EESZ_S10_S11_S12_S16_S17_S18_S1B_S1C_jS1D_jS1E_S1E_jjS1G_bEUljE0_EEESZ_S10_S11_S18_S1C_S1E_T6_T7_T9_mT8_S1G_bDpT10_ENKUlT_T0_E_clISt17integral_constantIbLb0EES1U_EEDaS1P_S1Q_EUlS1P_E_NS1_11comp_targetILNS1_3genE3ELNS1_11target_archE908ELNS1_3gpuE7ELNS1_3repE0EEENS1_30default_config_static_selectorELNS0_4arch9wavefront6targetE1EEEvS12_,comdat
	.globl	_ZN7rocprim17ROCPRIM_400000_NS6detail17trampoline_kernelINS0_13select_configILj256ELj13ELNS0_17block_load_methodE3ELS4_3ELS4_3ELNS0_20block_scan_algorithmE0ELj4294967295EEENS1_25partition_config_selectorILNS1_17partition_subalgoE4EjNS0_10empty_typeEbEEZZNS1_14partition_implILS8_4ELb0ES6_15HIP_vector_typeIjLj2EENS0_17counting_iteratorIjlEEPS9_SG_NS0_5tupleIJPjSI_NS0_16reverse_iteratorISI_EEEEENSH_IJSG_SG_SG_EEES9_SI_JZNS1_25segmented_radix_sort_implINS0_14default_configELb0EPKiPiPKlPlN2at6native12_GLOBAL__N_18offset_tEEE10hipError_tPvRmT1_PNSt15iterator_traitsIS12_E10value_typeET2_T3_PNS13_IS18_E10value_typeET4_jRbjT5_S1E_jjP12ihipStream_tbEUljE_ZNSN_ISO_Lb0ESQ_SR_ST_SU_SY_EESZ_S10_S11_S12_S16_S17_S18_S1B_S1C_jS1D_jS1E_S1E_jjS1G_bEUljE0_EEESZ_S10_S11_S18_S1C_S1E_T6_T7_T9_mT8_S1G_bDpT10_ENKUlT_T0_E_clISt17integral_constantIbLb0EES1U_EEDaS1P_S1Q_EUlS1P_E_NS1_11comp_targetILNS1_3genE3ELNS1_11target_archE908ELNS1_3gpuE7ELNS1_3repE0EEENS1_30default_config_static_selectorELNS0_4arch9wavefront6targetE1EEEvS12_ ; -- Begin function _ZN7rocprim17ROCPRIM_400000_NS6detail17trampoline_kernelINS0_13select_configILj256ELj13ELNS0_17block_load_methodE3ELS4_3ELS4_3ELNS0_20block_scan_algorithmE0ELj4294967295EEENS1_25partition_config_selectorILNS1_17partition_subalgoE4EjNS0_10empty_typeEbEEZZNS1_14partition_implILS8_4ELb0ES6_15HIP_vector_typeIjLj2EENS0_17counting_iteratorIjlEEPS9_SG_NS0_5tupleIJPjSI_NS0_16reverse_iteratorISI_EEEEENSH_IJSG_SG_SG_EEES9_SI_JZNS1_25segmented_radix_sort_implINS0_14default_configELb0EPKiPiPKlPlN2at6native12_GLOBAL__N_18offset_tEEE10hipError_tPvRmT1_PNSt15iterator_traitsIS12_E10value_typeET2_T3_PNS13_IS18_E10value_typeET4_jRbjT5_S1E_jjP12ihipStream_tbEUljE_ZNSN_ISO_Lb0ESQ_SR_ST_SU_SY_EESZ_S10_S11_S12_S16_S17_S18_S1B_S1C_jS1D_jS1E_S1E_jjS1G_bEUljE0_EEESZ_S10_S11_S18_S1C_S1E_T6_T7_T9_mT8_S1G_bDpT10_ENKUlT_T0_E_clISt17integral_constantIbLb0EES1U_EEDaS1P_S1Q_EUlS1P_E_NS1_11comp_targetILNS1_3genE3ELNS1_11target_archE908ELNS1_3gpuE7ELNS1_3repE0EEENS1_30default_config_static_selectorELNS0_4arch9wavefront6targetE1EEEvS12_
	.p2align	8
	.type	_ZN7rocprim17ROCPRIM_400000_NS6detail17trampoline_kernelINS0_13select_configILj256ELj13ELNS0_17block_load_methodE3ELS4_3ELS4_3ELNS0_20block_scan_algorithmE0ELj4294967295EEENS1_25partition_config_selectorILNS1_17partition_subalgoE4EjNS0_10empty_typeEbEEZZNS1_14partition_implILS8_4ELb0ES6_15HIP_vector_typeIjLj2EENS0_17counting_iteratorIjlEEPS9_SG_NS0_5tupleIJPjSI_NS0_16reverse_iteratorISI_EEEEENSH_IJSG_SG_SG_EEES9_SI_JZNS1_25segmented_radix_sort_implINS0_14default_configELb0EPKiPiPKlPlN2at6native12_GLOBAL__N_18offset_tEEE10hipError_tPvRmT1_PNSt15iterator_traitsIS12_E10value_typeET2_T3_PNS13_IS18_E10value_typeET4_jRbjT5_S1E_jjP12ihipStream_tbEUljE_ZNSN_ISO_Lb0ESQ_SR_ST_SU_SY_EESZ_S10_S11_S12_S16_S17_S18_S1B_S1C_jS1D_jS1E_S1E_jjS1G_bEUljE0_EEESZ_S10_S11_S18_S1C_S1E_T6_T7_T9_mT8_S1G_bDpT10_ENKUlT_T0_E_clISt17integral_constantIbLb0EES1U_EEDaS1P_S1Q_EUlS1P_E_NS1_11comp_targetILNS1_3genE3ELNS1_11target_archE908ELNS1_3gpuE7ELNS1_3repE0EEENS1_30default_config_static_selectorELNS0_4arch9wavefront6targetE1EEEvS12_,@function
_ZN7rocprim17ROCPRIM_400000_NS6detail17trampoline_kernelINS0_13select_configILj256ELj13ELNS0_17block_load_methodE3ELS4_3ELS4_3ELNS0_20block_scan_algorithmE0ELj4294967295EEENS1_25partition_config_selectorILNS1_17partition_subalgoE4EjNS0_10empty_typeEbEEZZNS1_14partition_implILS8_4ELb0ES6_15HIP_vector_typeIjLj2EENS0_17counting_iteratorIjlEEPS9_SG_NS0_5tupleIJPjSI_NS0_16reverse_iteratorISI_EEEEENSH_IJSG_SG_SG_EEES9_SI_JZNS1_25segmented_radix_sort_implINS0_14default_configELb0EPKiPiPKlPlN2at6native12_GLOBAL__N_18offset_tEEE10hipError_tPvRmT1_PNSt15iterator_traitsIS12_E10value_typeET2_T3_PNS13_IS18_E10value_typeET4_jRbjT5_S1E_jjP12ihipStream_tbEUljE_ZNSN_ISO_Lb0ESQ_SR_ST_SU_SY_EESZ_S10_S11_S12_S16_S17_S18_S1B_S1C_jS1D_jS1E_S1E_jjS1G_bEUljE0_EEESZ_S10_S11_S18_S1C_S1E_T6_T7_T9_mT8_S1G_bDpT10_ENKUlT_T0_E_clISt17integral_constantIbLb0EES1U_EEDaS1P_S1Q_EUlS1P_E_NS1_11comp_targetILNS1_3genE3ELNS1_11target_archE908ELNS1_3gpuE7ELNS1_3repE0EEENS1_30default_config_static_selectorELNS0_4arch9wavefront6targetE1EEEvS12_: ; @_ZN7rocprim17ROCPRIM_400000_NS6detail17trampoline_kernelINS0_13select_configILj256ELj13ELNS0_17block_load_methodE3ELS4_3ELS4_3ELNS0_20block_scan_algorithmE0ELj4294967295EEENS1_25partition_config_selectorILNS1_17partition_subalgoE4EjNS0_10empty_typeEbEEZZNS1_14partition_implILS8_4ELb0ES6_15HIP_vector_typeIjLj2EENS0_17counting_iteratorIjlEEPS9_SG_NS0_5tupleIJPjSI_NS0_16reverse_iteratorISI_EEEEENSH_IJSG_SG_SG_EEES9_SI_JZNS1_25segmented_radix_sort_implINS0_14default_configELb0EPKiPiPKlPlN2at6native12_GLOBAL__N_18offset_tEEE10hipError_tPvRmT1_PNSt15iterator_traitsIS12_E10value_typeET2_T3_PNS13_IS18_E10value_typeET4_jRbjT5_S1E_jjP12ihipStream_tbEUljE_ZNSN_ISO_Lb0ESQ_SR_ST_SU_SY_EESZ_S10_S11_S12_S16_S17_S18_S1B_S1C_jS1D_jS1E_S1E_jjS1G_bEUljE0_EEESZ_S10_S11_S18_S1C_S1E_T6_T7_T9_mT8_S1G_bDpT10_ENKUlT_T0_E_clISt17integral_constantIbLb0EES1U_EEDaS1P_S1Q_EUlS1P_E_NS1_11comp_targetILNS1_3genE3ELNS1_11target_archE908ELNS1_3gpuE7ELNS1_3repE0EEENS1_30default_config_static_selectorELNS0_4arch9wavefront6targetE1EEEvS12_
; %bb.0:
	.section	.rodata,"a",@progbits
	.p2align	6, 0x0
	.amdhsa_kernel _ZN7rocprim17ROCPRIM_400000_NS6detail17trampoline_kernelINS0_13select_configILj256ELj13ELNS0_17block_load_methodE3ELS4_3ELS4_3ELNS0_20block_scan_algorithmE0ELj4294967295EEENS1_25partition_config_selectorILNS1_17partition_subalgoE4EjNS0_10empty_typeEbEEZZNS1_14partition_implILS8_4ELb0ES6_15HIP_vector_typeIjLj2EENS0_17counting_iteratorIjlEEPS9_SG_NS0_5tupleIJPjSI_NS0_16reverse_iteratorISI_EEEEENSH_IJSG_SG_SG_EEES9_SI_JZNS1_25segmented_radix_sort_implINS0_14default_configELb0EPKiPiPKlPlN2at6native12_GLOBAL__N_18offset_tEEE10hipError_tPvRmT1_PNSt15iterator_traitsIS12_E10value_typeET2_T3_PNS13_IS18_E10value_typeET4_jRbjT5_S1E_jjP12ihipStream_tbEUljE_ZNSN_ISO_Lb0ESQ_SR_ST_SU_SY_EESZ_S10_S11_S12_S16_S17_S18_S1B_S1C_jS1D_jS1E_S1E_jjS1G_bEUljE0_EEESZ_S10_S11_S18_S1C_S1E_T6_T7_T9_mT8_S1G_bDpT10_ENKUlT_T0_E_clISt17integral_constantIbLb0EES1U_EEDaS1P_S1Q_EUlS1P_E_NS1_11comp_targetILNS1_3genE3ELNS1_11target_archE908ELNS1_3gpuE7ELNS1_3repE0EEENS1_30default_config_static_selectorELNS0_4arch9wavefront6targetE1EEEvS12_
		.amdhsa_group_segment_fixed_size 0
		.amdhsa_private_segment_fixed_size 0
		.amdhsa_kernarg_size 176
		.amdhsa_user_sgpr_count 6
		.amdhsa_user_sgpr_private_segment_buffer 1
		.amdhsa_user_sgpr_dispatch_ptr 0
		.amdhsa_user_sgpr_queue_ptr 0
		.amdhsa_user_sgpr_kernarg_segment_ptr 1
		.amdhsa_user_sgpr_dispatch_id 0
		.amdhsa_user_sgpr_flat_scratch_init 0
		.amdhsa_user_sgpr_private_segment_size 0
		.amdhsa_uses_dynamic_stack 0
		.amdhsa_system_sgpr_private_segment_wavefront_offset 0
		.amdhsa_system_sgpr_workgroup_id_x 1
		.amdhsa_system_sgpr_workgroup_id_y 0
		.amdhsa_system_sgpr_workgroup_id_z 0
		.amdhsa_system_sgpr_workgroup_info 0
		.amdhsa_system_vgpr_workitem_id 0
		.amdhsa_next_free_vgpr 1
		.amdhsa_next_free_sgpr 0
		.amdhsa_reserve_vcc 0
		.amdhsa_reserve_flat_scratch 0
		.amdhsa_float_round_mode_32 0
		.amdhsa_float_round_mode_16_64 0
		.amdhsa_float_denorm_mode_32 3
		.amdhsa_float_denorm_mode_16_64 3
		.amdhsa_dx10_clamp 1
		.amdhsa_ieee_mode 1
		.amdhsa_fp16_overflow 0
		.amdhsa_exception_fp_ieee_invalid_op 0
		.amdhsa_exception_fp_denorm_src 0
		.amdhsa_exception_fp_ieee_div_zero 0
		.amdhsa_exception_fp_ieee_overflow 0
		.amdhsa_exception_fp_ieee_underflow 0
		.amdhsa_exception_fp_ieee_inexact 0
		.amdhsa_exception_int_div_zero 0
	.end_amdhsa_kernel
	.section	.text._ZN7rocprim17ROCPRIM_400000_NS6detail17trampoline_kernelINS0_13select_configILj256ELj13ELNS0_17block_load_methodE3ELS4_3ELS4_3ELNS0_20block_scan_algorithmE0ELj4294967295EEENS1_25partition_config_selectorILNS1_17partition_subalgoE4EjNS0_10empty_typeEbEEZZNS1_14partition_implILS8_4ELb0ES6_15HIP_vector_typeIjLj2EENS0_17counting_iteratorIjlEEPS9_SG_NS0_5tupleIJPjSI_NS0_16reverse_iteratorISI_EEEEENSH_IJSG_SG_SG_EEES9_SI_JZNS1_25segmented_radix_sort_implINS0_14default_configELb0EPKiPiPKlPlN2at6native12_GLOBAL__N_18offset_tEEE10hipError_tPvRmT1_PNSt15iterator_traitsIS12_E10value_typeET2_T3_PNS13_IS18_E10value_typeET4_jRbjT5_S1E_jjP12ihipStream_tbEUljE_ZNSN_ISO_Lb0ESQ_SR_ST_SU_SY_EESZ_S10_S11_S12_S16_S17_S18_S1B_S1C_jS1D_jS1E_S1E_jjS1G_bEUljE0_EEESZ_S10_S11_S18_S1C_S1E_T6_T7_T9_mT8_S1G_bDpT10_ENKUlT_T0_E_clISt17integral_constantIbLb0EES1U_EEDaS1P_S1Q_EUlS1P_E_NS1_11comp_targetILNS1_3genE3ELNS1_11target_archE908ELNS1_3gpuE7ELNS1_3repE0EEENS1_30default_config_static_selectorELNS0_4arch9wavefront6targetE1EEEvS12_,"axG",@progbits,_ZN7rocprim17ROCPRIM_400000_NS6detail17trampoline_kernelINS0_13select_configILj256ELj13ELNS0_17block_load_methodE3ELS4_3ELS4_3ELNS0_20block_scan_algorithmE0ELj4294967295EEENS1_25partition_config_selectorILNS1_17partition_subalgoE4EjNS0_10empty_typeEbEEZZNS1_14partition_implILS8_4ELb0ES6_15HIP_vector_typeIjLj2EENS0_17counting_iteratorIjlEEPS9_SG_NS0_5tupleIJPjSI_NS0_16reverse_iteratorISI_EEEEENSH_IJSG_SG_SG_EEES9_SI_JZNS1_25segmented_radix_sort_implINS0_14default_configELb0EPKiPiPKlPlN2at6native12_GLOBAL__N_18offset_tEEE10hipError_tPvRmT1_PNSt15iterator_traitsIS12_E10value_typeET2_T3_PNS13_IS18_E10value_typeET4_jRbjT5_S1E_jjP12ihipStream_tbEUljE_ZNSN_ISO_Lb0ESQ_SR_ST_SU_SY_EESZ_S10_S11_S12_S16_S17_S18_S1B_S1C_jS1D_jS1E_S1E_jjS1G_bEUljE0_EEESZ_S10_S11_S18_S1C_S1E_T6_T7_T9_mT8_S1G_bDpT10_ENKUlT_T0_E_clISt17integral_constantIbLb0EES1U_EEDaS1P_S1Q_EUlS1P_E_NS1_11comp_targetILNS1_3genE3ELNS1_11target_archE908ELNS1_3gpuE7ELNS1_3repE0EEENS1_30default_config_static_selectorELNS0_4arch9wavefront6targetE1EEEvS12_,comdat
.Lfunc_end539:
	.size	_ZN7rocprim17ROCPRIM_400000_NS6detail17trampoline_kernelINS0_13select_configILj256ELj13ELNS0_17block_load_methodE3ELS4_3ELS4_3ELNS0_20block_scan_algorithmE0ELj4294967295EEENS1_25partition_config_selectorILNS1_17partition_subalgoE4EjNS0_10empty_typeEbEEZZNS1_14partition_implILS8_4ELb0ES6_15HIP_vector_typeIjLj2EENS0_17counting_iteratorIjlEEPS9_SG_NS0_5tupleIJPjSI_NS0_16reverse_iteratorISI_EEEEENSH_IJSG_SG_SG_EEES9_SI_JZNS1_25segmented_radix_sort_implINS0_14default_configELb0EPKiPiPKlPlN2at6native12_GLOBAL__N_18offset_tEEE10hipError_tPvRmT1_PNSt15iterator_traitsIS12_E10value_typeET2_T3_PNS13_IS18_E10value_typeET4_jRbjT5_S1E_jjP12ihipStream_tbEUljE_ZNSN_ISO_Lb0ESQ_SR_ST_SU_SY_EESZ_S10_S11_S12_S16_S17_S18_S1B_S1C_jS1D_jS1E_S1E_jjS1G_bEUljE0_EEESZ_S10_S11_S18_S1C_S1E_T6_T7_T9_mT8_S1G_bDpT10_ENKUlT_T0_E_clISt17integral_constantIbLb0EES1U_EEDaS1P_S1Q_EUlS1P_E_NS1_11comp_targetILNS1_3genE3ELNS1_11target_archE908ELNS1_3gpuE7ELNS1_3repE0EEENS1_30default_config_static_selectorELNS0_4arch9wavefront6targetE1EEEvS12_, .Lfunc_end539-_ZN7rocprim17ROCPRIM_400000_NS6detail17trampoline_kernelINS0_13select_configILj256ELj13ELNS0_17block_load_methodE3ELS4_3ELS4_3ELNS0_20block_scan_algorithmE0ELj4294967295EEENS1_25partition_config_selectorILNS1_17partition_subalgoE4EjNS0_10empty_typeEbEEZZNS1_14partition_implILS8_4ELb0ES6_15HIP_vector_typeIjLj2EENS0_17counting_iteratorIjlEEPS9_SG_NS0_5tupleIJPjSI_NS0_16reverse_iteratorISI_EEEEENSH_IJSG_SG_SG_EEES9_SI_JZNS1_25segmented_radix_sort_implINS0_14default_configELb0EPKiPiPKlPlN2at6native12_GLOBAL__N_18offset_tEEE10hipError_tPvRmT1_PNSt15iterator_traitsIS12_E10value_typeET2_T3_PNS13_IS18_E10value_typeET4_jRbjT5_S1E_jjP12ihipStream_tbEUljE_ZNSN_ISO_Lb0ESQ_SR_ST_SU_SY_EESZ_S10_S11_S12_S16_S17_S18_S1B_S1C_jS1D_jS1E_S1E_jjS1G_bEUljE0_EEESZ_S10_S11_S18_S1C_S1E_T6_T7_T9_mT8_S1G_bDpT10_ENKUlT_T0_E_clISt17integral_constantIbLb0EES1U_EEDaS1P_S1Q_EUlS1P_E_NS1_11comp_targetILNS1_3genE3ELNS1_11target_archE908ELNS1_3gpuE7ELNS1_3repE0EEENS1_30default_config_static_selectorELNS0_4arch9wavefront6targetE1EEEvS12_
                                        ; -- End function
	.set _ZN7rocprim17ROCPRIM_400000_NS6detail17trampoline_kernelINS0_13select_configILj256ELj13ELNS0_17block_load_methodE3ELS4_3ELS4_3ELNS0_20block_scan_algorithmE0ELj4294967295EEENS1_25partition_config_selectorILNS1_17partition_subalgoE4EjNS0_10empty_typeEbEEZZNS1_14partition_implILS8_4ELb0ES6_15HIP_vector_typeIjLj2EENS0_17counting_iteratorIjlEEPS9_SG_NS0_5tupleIJPjSI_NS0_16reverse_iteratorISI_EEEEENSH_IJSG_SG_SG_EEES9_SI_JZNS1_25segmented_radix_sort_implINS0_14default_configELb0EPKiPiPKlPlN2at6native12_GLOBAL__N_18offset_tEEE10hipError_tPvRmT1_PNSt15iterator_traitsIS12_E10value_typeET2_T3_PNS13_IS18_E10value_typeET4_jRbjT5_S1E_jjP12ihipStream_tbEUljE_ZNSN_ISO_Lb0ESQ_SR_ST_SU_SY_EESZ_S10_S11_S12_S16_S17_S18_S1B_S1C_jS1D_jS1E_S1E_jjS1G_bEUljE0_EEESZ_S10_S11_S18_S1C_S1E_T6_T7_T9_mT8_S1G_bDpT10_ENKUlT_T0_E_clISt17integral_constantIbLb0EES1U_EEDaS1P_S1Q_EUlS1P_E_NS1_11comp_targetILNS1_3genE3ELNS1_11target_archE908ELNS1_3gpuE7ELNS1_3repE0EEENS1_30default_config_static_selectorELNS0_4arch9wavefront6targetE1EEEvS12_.num_vgpr, 0
	.set _ZN7rocprim17ROCPRIM_400000_NS6detail17trampoline_kernelINS0_13select_configILj256ELj13ELNS0_17block_load_methodE3ELS4_3ELS4_3ELNS0_20block_scan_algorithmE0ELj4294967295EEENS1_25partition_config_selectorILNS1_17partition_subalgoE4EjNS0_10empty_typeEbEEZZNS1_14partition_implILS8_4ELb0ES6_15HIP_vector_typeIjLj2EENS0_17counting_iteratorIjlEEPS9_SG_NS0_5tupleIJPjSI_NS0_16reverse_iteratorISI_EEEEENSH_IJSG_SG_SG_EEES9_SI_JZNS1_25segmented_radix_sort_implINS0_14default_configELb0EPKiPiPKlPlN2at6native12_GLOBAL__N_18offset_tEEE10hipError_tPvRmT1_PNSt15iterator_traitsIS12_E10value_typeET2_T3_PNS13_IS18_E10value_typeET4_jRbjT5_S1E_jjP12ihipStream_tbEUljE_ZNSN_ISO_Lb0ESQ_SR_ST_SU_SY_EESZ_S10_S11_S12_S16_S17_S18_S1B_S1C_jS1D_jS1E_S1E_jjS1G_bEUljE0_EEESZ_S10_S11_S18_S1C_S1E_T6_T7_T9_mT8_S1G_bDpT10_ENKUlT_T0_E_clISt17integral_constantIbLb0EES1U_EEDaS1P_S1Q_EUlS1P_E_NS1_11comp_targetILNS1_3genE3ELNS1_11target_archE908ELNS1_3gpuE7ELNS1_3repE0EEENS1_30default_config_static_selectorELNS0_4arch9wavefront6targetE1EEEvS12_.num_agpr, 0
	.set _ZN7rocprim17ROCPRIM_400000_NS6detail17trampoline_kernelINS0_13select_configILj256ELj13ELNS0_17block_load_methodE3ELS4_3ELS4_3ELNS0_20block_scan_algorithmE0ELj4294967295EEENS1_25partition_config_selectorILNS1_17partition_subalgoE4EjNS0_10empty_typeEbEEZZNS1_14partition_implILS8_4ELb0ES6_15HIP_vector_typeIjLj2EENS0_17counting_iteratorIjlEEPS9_SG_NS0_5tupleIJPjSI_NS0_16reverse_iteratorISI_EEEEENSH_IJSG_SG_SG_EEES9_SI_JZNS1_25segmented_radix_sort_implINS0_14default_configELb0EPKiPiPKlPlN2at6native12_GLOBAL__N_18offset_tEEE10hipError_tPvRmT1_PNSt15iterator_traitsIS12_E10value_typeET2_T3_PNS13_IS18_E10value_typeET4_jRbjT5_S1E_jjP12ihipStream_tbEUljE_ZNSN_ISO_Lb0ESQ_SR_ST_SU_SY_EESZ_S10_S11_S12_S16_S17_S18_S1B_S1C_jS1D_jS1E_S1E_jjS1G_bEUljE0_EEESZ_S10_S11_S18_S1C_S1E_T6_T7_T9_mT8_S1G_bDpT10_ENKUlT_T0_E_clISt17integral_constantIbLb0EES1U_EEDaS1P_S1Q_EUlS1P_E_NS1_11comp_targetILNS1_3genE3ELNS1_11target_archE908ELNS1_3gpuE7ELNS1_3repE0EEENS1_30default_config_static_selectorELNS0_4arch9wavefront6targetE1EEEvS12_.numbered_sgpr, 0
	.set _ZN7rocprim17ROCPRIM_400000_NS6detail17trampoline_kernelINS0_13select_configILj256ELj13ELNS0_17block_load_methodE3ELS4_3ELS4_3ELNS0_20block_scan_algorithmE0ELj4294967295EEENS1_25partition_config_selectorILNS1_17partition_subalgoE4EjNS0_10empty_typeEbEEZZNS1_14partition_implILS8_4ELb0ES6_15HIP_vector_typeIjLj2EENS0_17counting_iteratorIjlEEPS9_SG_NS0_5tupleIJPjSI_NS0_16reverse_iteratorISI_EEEEENSH_IJSG_SG_SG_EEES9_SI_JZNS1_25segmented_radix_sort_implINS0_14default_configELb0EPKiPiPKlPlN2at6native12_GLOBAL__N_18offset_tEEE10hipError_tPvRmT1_PNSt15iterator_traitsIS12_E10value_typeET2_T3_PNS13_IS18_E10value_typeET4_jRbjT5_S1E_jjP12ihipStream_tbEUljE_ZNSN_ISO_Lb0ESQ_SR_ST_SU_SY_EESZ_S10_S11_S12_S16_S17_S18_S1B_S1C_jS1D_jS1E_S1E_jjS1G_bEUljE0_EEESZ_S10_S11_S18_S1C_S1E_T6_T7_T9_mT8_S1G_bDpT10_ENKUlT_T0_E_clISt17integral_constantIbLb0EES1U_EEDaS1P_S1Q_EUlS1P_E_NS1_11comp_targetILNS1_3genE3ELNS1_11target_archE908ELNS1_3gpuE7ELNS1_3repE0EEENS1_30default_config_static_selectorELNS0_4arch9wavefront6targetE1EEEvS12_.num_named_barrier, 0
	.set _ZN7rocprim17ROCPRIM_400000_NS6detail17trampoline_kernelINS0_13select_configILj256ELj13ELNS0_17block_load_methodE3ELS4_3ELS4_3ELNS0_20block_scan_algorithmE0ELj4294967295EEENS1_25partition_config_selectorILNS1_17partition_subalgoE4EjNS0_10empty_typeEbEEZZNS1_14partition_implILS8_4ELb0ES6_15HIP_vector_typeIjLj2EENS0_17counting_iteratorIjlEEPS9_SG_NS0_5tupleIJPjSI_NS0_16reverse_iteratorISI_EEEEENSH_IJSG_SG_SG_EEES9_SI_JZNS1_25segmented_radix_sort_implINS0_14default_configELb0EPKiPiPKlPlN2at6native12_GLOBAL__N_18offset_tEEE10hipError_tPvRmT1_PNSt15iterator_traitsIS12_E10value_typeET2_T3_PNS13_IS18_E10value_typeET4_jRbjT5_S1E_jjP12ihipStream_tbEUljE_ZNSN_ISO_Lb0ESQ_SR_ST_SU_SY_EESZ_S10_S11_S12_S16_S17_S18_S1B_S1C_jS1D_jS1E_S1E_jjS1G_bEUljE0_EEESZ_S10_S11_S18_S1C_S1E_T6_T7_T9_mT8_S1G_bDpT10_ENKUlT_T0_E_clISt17integral_constantIbLb0EES1U_EEDaS1P_S1Q_EUlS1P_E_NS1_11comp_targetILNS1_3genE3ELNS1_11target_archE908ELNS1_3gpuE7ELNS1_3repE0EEENS1_30default_config_static_selectorELNS0_4arch9wavefront6targetE1EEEvS12_.private_seg_size, 0
	.set _ZN7rocprim17ROCPRIM_400000_NS6detail17trampoline_kernelINS0_13select_configILj256ELj13ELNS0_17block_load_methodE3ELS4_3ELS4_3ELNS0_20block_scan_algorithmE0ELj4294967295EEENS1_25partition_config_selectorILNS1_17partition_subalgoE4EjNS0_10empty_typeEbEEZZNS1_14partition_implILS8_4ELb0ES6_15HIP_vector_typeIjLj2EENS0_17counting_iteratorIjlEEPS9_SG_NS0_5tupleIJPjSI_NS0_16reverse_iteratorISI_EEEEENSH_IJSG_SG_SG_EEES9_SI_JZNS1_25segmented_radix_sort_implINS0_14default_configELb0EPKiPiPKlPlN2at6native12_GLOBAL__N_18offset_tEEE10hipError_tPvRmT1_PNSt15iterator_traitsIS12_E10value_typeET2_T3_PNS13_IS18_E10value_typeET4_jRbjT5_S1E_jjP12ihipStream_tbEUljE_ZNSN_ISO_Lb0ESQ_SR_ST_SU_SY_EESZ_S10_S11_S12_S16_S17_S18_S1B_S1C_jS1D_jS1E_S1E_jjS1G_bEUljE0_EEESZ_S10_S11_S18_S1C_S1E_T6_T7_T9_mT8_S1G_bDpT10_ENKUlT_T0_E_clISt17integral_constantIbLb0EES1U_EEDaS1P_S1Q_EUlS1P_E_NS1_11comp_targetILNS1_3genE3ELNS1_11target_archE908ELNS1_3gpuE7ELNS1_3repE0EEENS1_30default_config_static_selectorELNS0_4arch9wavefront6targetE1EEEvS12_.uses_vcc, 0
	.set _ZN7rocprim17ROCPRIM_400000_NS6detail17trampoline_kernelINS0_13select_configILj256ELj13ELNS0_17block_load_methodE3ELS4_3ELS4_3ELNS0_20block_scan_algorithmE0ELj4294967295EEENS1_25partition_config_selectorILNS1_17partition_subalgoE4EjNS0_10empty_typeEbEEZZNS1_14partition_implILS8_4ELb0ES6_15HIP_vector_typeIjLj2EENS0_17counting_iteratorIjlEEPS9_SG_NS0_5tupleIJPjSI_NS0_16reverse_iteratorISI_EEEEENSH_IJSG_SG_SG_EEES9_SI_JZNS1_25segmented_radix_sort_implINS0_14default_configELb0EPKiPiPKlPlN2at6native12_GLOBAL__N_18offset_tEEE10hipError_tPvRmT1_PNSt15iterator_traitsIS12_E10value_typeET2_T3_PNS13_IS18_E10value_typeET4_jRbjT5_S1E_jjP12ihipStream_tbEUljE_ZNSN_ISO_Lb0ESQ_SR_ST_SU_SY_EESZ_S10_S11_S12_S16_S17_S18_S1B_S1C_jS1D_jS1E_S1E_jjS1G_bEUljE0_EEESZ_S10_S11_S18_S1C_S1E_T6_T7_T9_mT8_S1G_bDpT10_ENKUlT_T0_E_clISt17integral_constantIbLb0EES1U_EEDaS1P_S1Q_EUlS1P_E_NS1_11comp_targetILNS1_3genE3ELNS1_11target_archE908ELNS1_3gpuE7ELNS1_3repE0EEENS1_30default_config_static_selectorELNS0_4arch9wavefront6targetE1EEEvS12_.uses_flat_scratch, 0
	.set _ZN7rocprim17ROCPRIM_400000_NS6detail17trampoline_kernelINS0_13select_configILj256ELj13ELNS0_17block_load_methodE3ELS4_3ELS4_3ELNS0_20block_scan_algorithmE0ELj4294967295EEENS1_25partition_config_selectorILNS1_17partition_subalgoE4EjNS0_10empty_typeEbEEZZNS1_14partition_implILS8_4ELb0ES6_15HIP_vector_typeIjLj2EENS0_17counting_iteratorIjlEEPS9_SG_NS0_5tupleIJPjSI_NS0_16reverse_iteratorISI_EEEEENSH_IJSG_SG_SG_EEES9_SI_JZNS1_25segmented_radix_sort_implINS0_14default_configELb0EPKiPiPKlPlN2at6native12_GLOBAL__N_18offset_tEEE10hipError_tPvRmT1_PNSt15iterator_traitsIS12_E10value_typeET2_T3_PNS13_IS18_E10value_typeET4_jRbjT5_S1E_jjP12ihipStream_tbEUljE_ZNSN_ISO_Lb0ESQ_SR_ST_SU_SY_EESZ_S10_S11_S12_S16_S17_S18_S1B_S1C_jS1D_jS1E_S1E_jjS1G_bEUljE0_EEESZ_S10_S11_S18_S1C_S1E_T6_T7_T9_mT8_S1G_bDpT10_ENKUlT_T0_E_clISt17integral_constantIbLb0EES1U_EEDaS1P_S1Q_EUlS1P_E_NS1_11comp_targetILNS1_3genE3ELNS1_11target_archE908ELNS1_3gpuE7ELNS1_3repE0EEENS1_30default_config_static_selectorELNS0_4arch9wavefront6targetE1EEEvS12_.has_dyn_sized_stack, 0
	.set _ZN7rocprim17ROCPRIM_400000_NS6detail17trampoline_kernelINS0_13select_configILj256ELj13ELNS0_17block_load_methodE3ELS4_3ELS4_3ELNS0_20block_scan_algorithmE0ELj4294967295EEENS1_25partition_config_selectorILNS1_17partition_subalgoE4EjNS0_10empty_typeEbEEZZNS1_14partition_implILS8_4ELb0ES6_15HIP_vector_typeIjLj2EENS0_17counting_iteratorIjlEEPS9_SG_NS0_5tupleIJPjSI_NS0_16reverse_iteratorISI_EEEEENSH_IJSG_SG_SG_EEES9_SI_JZNS1_25segmented_radix_sort_implINS0_14default_configELb0EPKiPiPKlPlN2at6native12_GLOBAL__N_18offset_tEEE10hipError_tPvRmT1_PNSt15iterator_traitsIS12_E10value_typeET2_T3_PNS13_IS18_E10value_typeET4_jRbjT5_S1E_jjP12ihipStream_tbEUljE_ZNSN_ISO_Lb0ESQ_SR_ST_SU_SY_EESZ_S10_S11_S12_S16_S17_S18_S1B_S1C_jS1D_jS1E_S1E_jjS1G_bEUljE0_EEESZ_S10_S11_S18_S1C_S1E_T6_T7_T9_mT8_S1G_bDpT10_ENKUlT_T0_E_clISt17integral_constantIbLb0EES1U_EEDaS1P_S1Q_EUlS1P_E_NS1_11comp_targetILNS1_3genE3ELNS1_11target_archE908ELNS1_3gpuE7ELNS1_3repE0EEENS1_30default_config_static_selectorELNS0_4arch9wavefront6targetE1EEEvS12_.has_recursion, 0
	.set _ZN7rocprim17ROCPRIM_400000_NS6detail17trampoline_kernelINS0_13select_configILj256ELj13ELNS0_17block_load_methodE3ELS4_3ELS4_3ELNS0_20block_scan_algorithmE0ELj4294967295EEENS1_25partition_config_selectorILNS1_17partition_subalgoE4EjNS0_10empty_typeEbEEZZNS1_14partition_implILS8_4ELb0ES6_15HIP_vector_typeIjLj2EENS0_17counting_iteratorIjlEEPS9_SG_NS0_5tupleIJPjSI_NS0_16reverse_iteratorISI_EEEEENSH_IJSG_SG_SG_EEES9_SI_JZNS1_25segmented_radix_sort_implINS0_14default_configELb0EPKiPiPKlPlN2at6native12_GLOBAL__N_18offset_tEEE10hipError_tPvRmT1_PNSt15iterator_traitsIS12_E10value_typeET2_T3_PNS13_IS18_E10value_typeET4_jRbjT5_S1E_jjP12ihipStream_tbEUljE_ZNSN_ISO_Lb0ESQ_SR_ST_SU_SY_EESZ_S10_S11_S12_S16_S17_S18_S1B_S1C_jS1D_jS1E_S1E_jjS1G_bEUljE0_EEESZ_S10_S11_S18_S1C_S1E_T6_T7_T9_mT8_S1G_bDpT10_ENKUlT_T0_E_clISt17integral_constantIbLb0EES1U_EEDaS1P_S1Q_EUlS1P_E_NS1_11comp_targetILNS1_3genE3ELNS1_11target_archE908ELNS1_3gpuE7ELNS1_3repE0EEENS1_30default_config_static_selectorELNS0_4arch9wavefront6targetE1EEEvS12_.has_indirect_call, 0
	.section	.AMDGPU.csdata,"",@progbits
; Kernel info:
; codeLenInByte = 0
; TotalNumSgprs: 4
; NumVgprs: 0
; ScratchSize: 0
; MemoryBound: 0
; FloatMode: 240
; IeeeMode: 1
; LDSByteSize: 0 bytes/workgroup (compile time only)
; SGPRBlocks: 0
; VGPRBlocks: 0
; NumSGPRsForWavesPerEU: 4
; NumVGPRsForWavesPerEU: 1
; Occupancy: 10
; WaveLimiterHint : 0
; COMPUTE_PGM_RSRC2:SCRATCH_EN: 0
; COMPUTE_PGM_RSRC2:USER_SGPR: 6
; COMPUTE_PGM_RSRC2:TRAP_HANDLER: 0
; COMPUTE_PGM_RSRC2:TGID_X_EN: 1
; COMPUTE_PGM_RSRC2:TGID_Y_EN: 0
; COMPUTE_PGM_RSRC2:TGID_Z_EN: 0
; COMPUTE_PGM_RSRC2:TIDIG_COMP_CNT: 0
	.section	.text._ZN7rocprim17ROCPRIM_400000_NS6detail17trampoline_kernelINS0_13select_configILj256ELj13ELNS0_17block_load_methodE3ELS4_3ELS4_3ELNS0_20block_scan_algorithmE0ELj4294967295EEENS1_25partition_config_selectorILNS1_17partition_subalgoE4EjNS0_10empty_typeEbEEZZNS1_14partition_implILS8_4ELb0ES6_15HIP_vector_typeIjLj2EENS0_17counting_iteratorIjlEEPS9_SG_NS0_5tupleIJPjSI_NS0_16reverse_iteratorISI_EEEEENSH_IJSG_SG_SG_EEES9_SI_JZNS1_25segmented_radix_sort_implINS0_14default_configELb0EPKiPiPKlPlN2at6native12_GLOBAL__N_18offset_tEEE10hipError_tPvRmT1_PNSt15iterator_traitsIS12_E10value_typeET2_T3_PNS13_IS18_E10value_typeET4_jRbjT5_S1E_jjP12ihipStream_tbEUljE_ZNSN_ISO_Lb0ESQ_SR_ST_SU_SY_EESZ_S10_S11_S12_S16_S17_S18_S1B_S1C_jS1D_jS1E_S1E_jjS1G_bEUljE0_EEESZ_S10_S11_S18_S1C_S1E_T6_T7_T9_mT8_S1G_bDpT10_ENKUlT_T0_E_clISt17integral_constantIbLb0EES1U_EEDaS1P_S1Q_EUlS1P_E_NS1_11comp_targetILNS1_3genE2ELNS1_11target_archE906ELNS1_3gpuE6ELNS1_3repE0EEENS1_30default_config_static_selectorELNS0_4arch9wavefront6targetE1EEEvS12_,"axG",@progbits,_ZN7rocprim17ROCPRIM_400000_NS6detail17trampoline_kernelINS0_13select_configILj256ELj13ELNS0_17block_load_methodE3ELS4_3ELS4_3ELNS0_20block_scan_algorithmE0ELj4294967295EEENS1_25partition_config_selectorILNS1_17partition_subalgoE4EjNS0_10empty_typeEbEEZZNS1_14partition_implILS8_4ELb0ES6_15HIP_vector_typeIjLj2EENS0_17counting_iteratorIjlEEPS9_SG_NS0_5tupleIJPjSI_NS0_16reverse_iteratorISI_EEEEENSH_IJSG_SG_SG_EEES9_SI_JZNS1_25segmented_radix_sort_implINS0_14default_configELb0EPKiPiPKlPlN2at6native12_GLOBAL__N_18offset_tEEE10hipError_tPvRmT1_PNSt15iterator_traitsIS12_E10value_typeET2_T3_PNS13_IS18_E10value_typeET4_jRbjT5_S1E_jjP12ihipStream_tbEUljE_ZNSN_ISO_Lb0ESQ_SR_ST_SU_SY_EESZ_S10_S11_S12_S16_S17_S18_S1B_S1C_jS1D_jS1E_S1E_jjS1G_bEUljE0_EEESZ_S10_S11_S18_S1C_S1E_T6_T7_T9_mT8_S1G_bDpT10_ENKUlT_T0_E_clISt17integral_constantIbLb0EES1U_EEDaS1P_S1Q_EUlS1P_E_NS1_11comp_targetILNS1_3genE2ELNS1_11target_archE906ELNS1_3gpuE6ELNS1_3repE0EEENS1_30default_config_static_selectorELNS0_4arch9wavefront6targetE1EEEvS12_,comdat
	.globl	_ZN7rocprim17ROCPRIM_400000_NS6detail17trampoline_kernelINS0_13select_configILj256ELj13ELNS0_17block_load_methodE3ELS4_3ELS4_3ELNS0_20block_scan_algorithmE0ELj4294967295EEENS1_25partition_config_selectorILNS1_17partition_subalgoE4EjNS0_10empty_typeEbEEZZNS1_14partition_implILS8_4ELb0ES6_15HIP_vector_typeIjLj2EENS0_17counting_iteratorIjlEEPS9_SG_NS0_5tupleIJPjSI_NS0_16reverse_iteratorISI_EEEEENSH_IJSG_SG_SG_EEES9_SI_JZNS1_25segmented_radix_sort_implINS0_14default_configELb0EPKiPiPKlPlN2at6native12_GLOBAL__N_18offset_tEEE10hipError_tPvRmT1_PNSt15iterator_traitsIS12_E10value_typeET2_T3_PNS13_IS18_E10value_typeET4_jRbjT5_S1E_jjP12ihipStream_tbEUljE_ZNSN_ISO_Lb0ESQ_SR_ST_SU_SY_EESZ_S10_S11_S12_S16_S17_S18_S1B_S1C_jS1D_jS1E_S1E_jjS1G_bEUljE0_EEESZ_S10_S11_S18_S1C_S1E_T6_T7_T9_mT8_S1G_bDpT10_ENKUlT_T0_E_clISt17integral_constantIbLb0EES1U_EEDaS1P_S1Q_EUlS1P_E_NS1_11comp_targetILNS1_3genE2ELNS1_11target_archE906ELNS1_3gpuE6ELNS1_3repE0EEENS1_30default_config_static_selectorELNS0_4arch9wavefront6targetE1EEEvS12_ ; -- Begin function _ZN7rocprim17ROCPRIM_400000_NS6detail17trampoline_kernelINS0_13select_configILj256ELj13ELNS0_17block_load_methodE3ELS4_3ELS4_3ELNS0_20block_scan_algorithmE0ELj4294967295EEENS1_25partition_config_selectorILNS1_17partition_subalgoE4EjNS0_10empty_typeEbEEZZNS1_14partition_implILS8_4ELb0ES6_15HIP_vector_typeIjLj2EENS0_17counting_iteratorIjlEEPS9_SG_NS0_5tupleIJPjSI_NS0_16reverse_iteratorISI_EEEEENSH_IJSG_SG_SG_EEES9_SI_JZNS1_25segmented_radix_sort_implINS0_14default_configELb0EPKiPiPKlPlN2at6native12_GLOBAL__N_18offset_tEEE10hipError_tPvRmT1_PNSt15iterator_traitsIS12_E10value_typeET2_T3_PNS13_IS18_E10value_typeET4_jRbjT5_S1E_jjP12ihipStream_tbEUljE_ZNSN_ISO_Lb0ESQ_SR_ST_SU_SY_EESZ_S10_S11_S12_S16_S17_S18_S1B_S1C_jS1D_jS1E_S1E_jjS1G_bEUljE0_EEESZ_S10_S11_S18_S1C_S1E_T6_T7_T9_mT8_S1G_bDpT10_ENKUlT_T0_E_clISt17integral_constantIbLb0EES1U_EEDaS1P_S1Q_EUlS1P_E_NS1_11comp_targetILNS1_3genE2ELNS1_11target_archE906ELNS1_3gpuE6ELNS1_3repE0EEENS1_30default_config_static_selectorELNS0_4arch9wavefront6targetE1EEEvS12_
	.p2align	8
	.type	_ZN7rocprim17ROCPRIM_400000_NS6detail17trampoline_kernelINS0_13select_configILj256ELj13ELNS0_17block_load_methodE3ELS4_3ELS4_3ELNS0_20block_scan_algorithmE0ELj4294967295EEENS1_25partition_config_selectorILNS1_17partition_subalgoE4EjNS0_10empty_typeEbEEZZNS1_14partition_implILS8_4ELb0ES6_15HIP_vector_typeIjLj2EENS0_17counting_iteratorIjlEEPS9_SG_NS0_5tupleIJPjSI_NS0_16reverse_iteratorISI_EEEEENSH_IJSG_SG_SG_EEES9_SI_JZNS1_25segmented_radix_sort_implINS0_14default_configELb0EPKiPiPKlPlN2at6native12_GLOBAL__N_18offset_tEEE10hipError_tPvRmT1_PNSt15iterator_traitsIS12_E10value_typeET2_T3_PNS13_IS18_E10value_typeET4_jRbjT5_S1E_jjP12ihipStream_tbEUljE_ZNSN_ISO_Lb0ESQ_SR_ST_SU_SY_EESZ_S10_S11_S12_S16_S17_S18_S1B_S1C_jS1D_jS1E_S1E_jjS1G_bEUljE0_EEESZ_S10_S11_S18_S1C_S1E_T6_T7_T9_mT8_S1G_bDpT10_ENKUlT_T0_E_clISt17integral_constantIbLb0EES1U_EEDaS1P_S1Q_EUlS1P_E_NS1_11comp_targetILNS1_3genE2ELNS1_11target_archE906ELNS1_3gpuE6ELNS1_3repE0EEENS1_30default_config_static_selectorELNS0_4arch9wavefront6targetE1EEEvS12_,@function
_ZN7rocprim17ROCPRIM_400000_NS6detail17trampoline_kernelINS0_13select_configILj256ELj13ELNS0_17block_load_methodE3ELS4_3ELS4_3ELNS0_20block_scan_algorithmE0ELj4294967295EEENS1_25partition_config_selectorILNS1_17partition_subalgoE4EjNS0_10empty_typeEbEEZZNS1_14partition_implILS8_4ELb0ES6_15HIP_vector_typeIjLj2EENS0_17counting_iteratorIjlEEPS9_SG_NS0_5tupleIJPjSI_NS0_16reverse_iteratorISI_EEEEENSH_IJSG_SG_SG_EEES9_SI_JZNS1_25segmented_radix_sort_implINS0_14default_configELb0EPKiPiPKlPlN2at6native12_GLOBAL__N_18offset_tEEE10hipError_tPvRmT1_PNSt15iterator_traitsIS12_E10value_typeET2_T3_PNS13_IS18_E10value_typeET4_jRbjT5_S1E_jjP12ihipStream_tbEUljE_ZNSN_ISO_Lb0ESQ_SR_ST_SU_SY_EESZ_S10_S11_S12_S16_S17_S18_S1B_S1C_jS1D_jS1E_S1E_jjS1G_bEUljE0_EEESZ_S10_S11_S18_S1C_S1E_T6_T7_T9_mT8_S1G_bDpT10_ENKUlT_T0_E_clISt17integral_constantIbLb0EES1U_EEDaS1P_S1Q_EUlS1P_E_NS1_11comp_targetILNS1_3genE2ELNS1_11target_archE906ELNS1_3gpuE6ELNS1_3repE0EEENS1_30default_config_static_selectorELNS0_4arch9wavefront6targetE1EEEvS12_: ; @_ZN7rocprim17ROCPRIM_400000_NS6detail17trampoline_kernelINS0_13select_configILj256ELj13ELNS0_17block_load_methodE3ELS4_3ELS4_3ELNS0_20block_scan_algorithmE0ELj4294967295EEENS1_25partition_config_selectorILNS1_17partition_subalgoE4EjNS0_10empty_typeEbEEZZNS1_14partition_implILS8_4ELb0ES6_15HIP_vector_typeIjLj2EENS0_17counting_iteratorIjlEEPS9_SG_NS0_5tupleIJPjSI_NS0_16reverse_iteratorISI_EEEEENSH_IJSG_SG_SG_EEES9_SI_JZNS1_25segmented_radix_sort_implINS0_14default_configELb0EPKiPiPKlPlN2at6native12_GLOBAL__N_18offset_tEEE10hipError_tPvRmT1_PNSt15iterator_traitsIS12_E10value_typeET2_T3_PNS13_IS18_E10value_typeET4_jRbjT5_S1E_jjP12ihipStream_tbEUljE_ZNSN_ISO_Lb0ESQ_SR_ST_SU_SY_EESZ_S10_S11_S12_S16_S17_S18_S1B_S1C_jS1D_jS1E_S1E_jjS1G_bEUljE0_EEESZ_S10_S11_S18_S1C_S1E_T6_T7_T9_mT8_S1G_bDpT10_ENKUlT_T0_E_clISt17integral_constantIbLb0EES1U_EEDaS1P_S1Q_EUlS1P_E_NS1_11comp_targetILNS1_3genE2ELNS1_11target_archE906ELNS1_3gpuE6ELNS1_3repE0EEENS1_30default_config_static_selectorELNS0_4arch9wavefront6targetE1EEEvS12_
; %bb.0:
	s_load_dwordx2 s[0:1], s[4:5], 0x68
	s_load_dwordx4 s[44:47], s[4:5], 0x58
	s_load_dword s8, s[4:5], 0x8
	s_load_dwordx2 s[56:57], s[4:5], 0x10
	s_load_dword s7, s[4:5], 0x80
	s_load_dwordx2 s[58:59], s[4:5], 0xa8
	s_load_dwordx8 s[36:43], s[4:5], 0x88
	s_waitcnt lgkmcnt(0)
	s_load_dwordx4 s[48:51], s[46:47], 0x0
	s_mul_i32 s33, s6, 0xd00
	s_add_i32 s9, s7, -1
	s_mulk_i32 s7, 0xd00
	s_add_u32 s2, s56, s7
	s_addc_u32 s3, s57, 0
	v_mov_b32_e32 v1, s2
	v_mov_b32_e32 v2, s3
	s_cmp_eq_u32 s6, s9
	v_cmp_gt_u64_e32 vcc, s[0:1], v[1:2]
	s_cselect_b64 s[34:35], -1, 0
	s_cmp_lg_u32 s6, s9
	s_cselect_b64 s[2:3], -1, 0
	s_add_i32 s1, s8, s33
	s_or_b64 s[2:3], s[2:3], vcc
	s_add_i32 s1, s1, s56
	s_mov_b64 s[8:9], -1
	s_and_b64 vcc, exec, s[2:3]
	v_add_u32_e32 v1, s1, v0
	s_cbranch_vccz .LBB540_2
; %bb.1:
	v_add_u32_e32 v2, 0x100, v1
	v_lshlrev_b32_e32 v14, 2, v0
	v_add_u32_e32 v3, 0x200, v1
	v_add_u32_e32 v4, 0x300, v1
	;; [unrolled: 1-line block ×11, first 2 shown]
	ds_write2st64_b32 v14, v1, v2 offset1:4
	ds_write2st64_b32 v14, v3, v4 offset0:8 offset1:12
	ds_write2st64_b32 v14, v5, v6 offset0:16 offset1:20
	;; [unrolled: 1-line block ×5, first 2 shown]
	ds_write_b32 v14, v13 offset:12288
	s_waitcnt lgkmcnt(0)
	s_barrier
	s_mov_b64 s[8:9], 0
.LBB540_2:
	s_andn2_b64 vcc, exec, s[8:9]
	s_add_i32 s7, s7, s56
	s_cbranch_vccnz .LBB540_4
; %bb.3:
	v_add_u32_e32 v2, 0x100, v1
	v_lshlrev_b32_e32 v14, 2, v0
	v_add_u32_e32 v3, 0x200, v1
	v_add_u32_e32 v4, 0x300, v1
	;; [unrolled: 1-line block ×11, first 2 shown]
	ds_write2st64_b32 v14, v1, v2 offset1:4
	ds_write2st64_b32 v14, v3, v4 offset0:8 offset1:12
	ds_write2st64_b32 v14, v5, v6 offset0:16 offset1:20
	;; [unrolled: 1-line block ×5, first 2 shown]
	ds_write_b32 v14, v13 offset:12288
	s_waitcnt lgkmcnt(0)
	s_barrier
.LBB540_4:
	v_mul_u32_u24_e32 v30, 13, v0
	v_lshlrev_b32_e32 v1, 2, v30
	s_load_dwordx4 s[52:55], s[4:5], 0x28
	s_load_dwordx2 s[46:47], s[4:5], 0x38
	s_waitcnt lgkmcnt(0)
	ds_read_b32 v29, v1 offset:48
	ds_read2_b32 v[9:10], v1 offset0:10 offset1:11
	ds_read2_b32 v[11:12], v1 offset0:8 offset1:9
	;; [unrolled: 1-line block ×4, first 2 shown]
	ds_read2_b32 v[19:20], v1 offset1:1
	ds_read2_b32 v[17:18], v1 offset0:2 offset1:3
	v_cndmask_b32_e64 v1, 0, 1, s[2:3]
	s_sub_i32 s7, s0, s7
	v_cmp_ne_u32_e64 s[0:1], 1, v1
	s_andn2_b64 vcc, exec, s[2:3]
	s_waitcnt lgkmcnt(0)
	s_barrier
	s_cbranch_vccnz .LBB540_32
; %bb.5:
	v_add_u32_e32 v1, s37, v19
	v_add_u32_e32 v2, s39, v19
	v_mul_lo_u32 v1, v1, s36
	v_mul_lo_u32 v2, v2, s38
	s_mov_b64 s[62:63], 0
	s_mov_b64 s[60:61], 0
	v_sub_u32_e32 v1, v1, v2
	v_cmp_lt_u32_e32 vcc, s40, v1
	v_cmp_ge_u32_e64 s[2:3], s40, v1
	s_and_saveexec_b64 s[8:9], s[2:3]
	s_cbranch_execz .LBB540_7
; %bb.6:
	v_add_u32_e32 v1, s42, v19
	v_add_u32_e32 v2, s58, v19
	v_mul_lo_u32 v1, v1, s41
	v_mul_lo_u32 v2, v2, s43
	v_sub_u32_e32 v1, v1, v2
	v_cmp_lt_u32_e64 s[2:3], s59, v1
	s_and_b64 s[60:61], s[2:3], exec
.LBB540_7:
	s_or_b64 exec, exec, s[8:9]
	v_add_u32_e32 v1, s37, v20
	v_add_u32_e32 v2, s39, v20
	v_mul_lo_u32 v1, v1, s36
	v_mul_lo_u32 v2, v2, s38
	v_sub_u32_e32 v1, v1, v2
	v_cmp_lt_u32_e64 s[2:3], s40, v1
	v_cmp_ge_u32_e64 s[8:9], s40, v1
	s_and_saveexec_b64 s[10:11], s[8:9]
	s_cbranch_execz .LBB540_9
; %bb.8:
	v_add_u32_e32 v1, s42, v20
	v_add_u32_e32 v2, s58, v20
	v_mul_lo_u32 v1, v1, s41
	v_mul_lo_u32 v2, v2, s43
	v_sub_u32_e32 v1, v1, v2
	v_cmp_lt_u32_e64 s[8:9], s59, v1
	s_and_b64 s[62:63], s[8:9], exec
.LBB540_9:
	s_or_b64 exec, exec, s[10:11]
	v_add_u32_e32 v1, s37, v17
	v_add_u32_e32 v2, s39, v17
	v_mul_lo_u32 v1, v1, s36
	v_mul_lo_u32 v2, v2, s38
	s_mov_b64 s[66:67], 0
	s_mov_b64 s[64:65], 0
	v_sub_u32_e32 v1, v1, v2
	v_cmp_lt_u32_e64 s[28:29], s40, v1
	v_cmp_ge_u32_e64 s[8:9], s40, v1
	s_and_saveexec_b64 s[10:11], s[8:9]
	s_cbranch_execz .LBB540_11
; %bb.10:
	v_add_u32_e32 v1, s42, v17
	v_add_u32_e32 v2, s58, v17
	v_mul_lo_u32 v1, v1, s41
	v_mul_lo_u32 v2, v2, s43
	v_sub_u32_e32 v1, v1, v2
	v_cmp_lt_u32_e64 s[8:9], s59, v1
	s_and_b64 s[64:65], s[8:9], exec
.LBB540_11:
	s_or_b64 exec, exec, s[10:11]
	v_add_u32_e32 v1, s37, v18
	v_add_u32_e32 v2, s39, v18
	v_mul_lo_u32 v1, v1, s36
	v_mul_lo_u32 v2, v2, s38
	v_sub_u32_e32 v1, v1, v2
	v_cmp_lt_u32_e64 s[8:9], s40, v1
	v_cmp_ge_u32_e64 s[10:11], s40, v1
	s_and_saveexec_b64 s[12:13], s[10:11]
	s_cbranch_execz .LBB540_13
; %bb.12:
	v_add_u32_e32 v1, s42, v18
	v_add_u32_e32 v2, s58, v18
	v_mul_lo_u32 v1, v1, s41
	v_mul_lo_u32 v2, v2, s43
	v_sub_u32_e32 v1, v1, v2
	v_cmp_lt_u32_e64 s[10:11], s59, v1
	s_and_b64 s[66:67], s[10:11], exec
.LBB540_13:
	s_or_b64 exec, exec, s[12:13]
	v_add_u32_e32 v1, s37, v15
	v_add_u32_e32 v2, s39, v15
	v_mul_lo_u32 v1, v1, s36
	v_mul_lo_u32 v2, v2, s38
	s_mov_b64 s[70:71], 0
	s_mov_b64 s[68:69], 0
	v_sub_u32_e32 v1, v1, v2
	v_cmp_lt_u32_e64 s[10:11], s40, v1
	;; [unrolled: 40-line block ×6, first 2 shown]
	v_cmp_ge_u32_e64 s[30:31], s40, v1
	s_and_saveexec_b64 s[88:89], s[30:31]
	s_cbranch_execz .LBB540_31
; %bb.30:
	v_add_u32_e32 v1, s42, v29
	v_add_u32_e32 v2, s58, v29
	v_mul_lo_u32 v1, v1, s41
	v_mul_lo_u32 v2, v2, s43
	v_sub_u32_e32 v1, v1, v2
	v_cmp_lt_u32_e64 s[30:31], s59, v1
	s_and_b64 s[86:87], s[30:31], exec
.LBB540_31:
	s_or_b64 exec, exec, s[88:89]
	v_cndmask_b32_e64 v2, 0, 1, s[2:3]
	v_cndmask_b32_e64 v1, 0, 1, vcc
	v_cndmask_b32_e64 v4, 0, 1, s[8:9]
	v_lshlrev_b16_e32 v2, 8, v2
	v_cndmask_b32_e64 v3, 0, 1, s[28:29]
	v_or_b32_e32 v1, v1, v2
	v_lshlrev_b16_e32 v2, 8, v4
	v_cndmask_b32_e64 v6, 0, 1, s[12:13]
	v_cndmask_b32_e64 v8, 0, 1, s[16:17]
	v_or_b32_sdwa v2, v3, v2 dst_sel:WORD_1 dst_unused:UNUSED_PAD src0_sel:DWORD src1_sel:DWORD
	v_cndmask_b32_e64 v5, 0, 1, s[10:11]
	v_cndmask_b32_e64 v7, 0, 1, s[14:15]
	v_or_b32_sdwa v31, v1, v2 dst_sel:DWORD dst_unused:UNUSED_PAD src0_sel:WORD_0 src1_sel:DWORD
	v_lshlrev_b16_e32 v1, 8, v6
	v_lshlrev_b16_e32 v2, 8, v8
	v_cndmask_b32_e64 v22, 0, 1, s[20:21]
	v_cndmask_b32_e64 v25, 0, 1, s[24:25]
	v_or_b32_e32 v1, v5, v1
	v_or_b32_sdwa v2, v7, v2 dst_sel:WORD_1 dst_unused:UNUSED_PAD src0_sel:DWORD src1_sel:DWORD
	v_cndmask_b32_e64 v21, 0, 1, s[18:19]
	v_cndmask_b32_e64 v23, 0, 1, s[22:23]
	v_or_b32_sdwa v33, v1, v2 dst_sel:DWORD dst_unused:UNUSED_PAD src0_sel:WORD_0 src1_sel:DWORD
	v_lshlrev_b16_e32 v1, 8, v22
	v_lshlrev_b16_e32 v2, 8, v25
	v_cndmask_b32_e64 v37, 0, 1, s[64:65]
	v_cndmask_b32_e64 v42, 0, 1, s[60:61]
	v_or_b32_e32 v1, v21, v1
	;; [unrolled: 9-line block ×4, first 2 shown]
	v_or_b32_sdwa v2, v34, v2 dst_sel:WORD_1 dst_unused:UNUSED_PAD src0_sel:DWORD src1_sel:DWORD
	v_cndmask_b32_e64 v26, 0, 1, s[78:79]
	v_cndmask_b32_e64 v28, 0, 1, s[74:75]
	v_or_b32_sdwa v32, v1, v2 dst_sel:DWORD dst_unused:UNUSED_PAD src0_sel:WORD_0 src1_sel:DWORD
	v_lshlrev_b16_e32 v1, 8, v27
	v_lshlrev_b16_e32 v2, 8, v24
	v_or_b32_e32 v1, v28, v1
	v_or_b32_sdwa v2, v26, v2 dst_sel:WORD_1 dst_unused:UNUSED_PAD src0_sel:DWORD src1_sel:DWORD
	v_cndmask_b32_e64 v35, 0, 1, s[82:83]
	v_cndmask_b32_e64 v38, 0, 1, s[86:87]
	v_or_b32_sdwa v34, v1, v2 dst_sel:DWORD dst_unused:UNUSED_PAD src0_sel:WORD_0 src1_sel:DWORD
	s_load_dwordx2 s[12:13], s[4:5], 0x78
	s_add_i32 s18, s7, 0xd00
	s_and_b64 vcc, exec, s[80:81]
	s_cbranch_vccnz .LBB540_33
	s_branch .LBB540_110
.LBB540_32:
                                        ; implicit-def: $vgpr38
                                        ; implicit-def: $vgpr35
                                        ; implicit-def: $vgpr34
                                        ; implicit-def: $vgpr32
                                        ; implicit-def: $vgpr37
                                        ; implicit-def: $vgpr36
                                        ; implicit-def: $vgpr33
                                        ; implicit-def: $vgpr31
	s_load_dwordx2 s[12:13], s[4:5], 0x78
	s_add_i32 s18, s7, 0xd00
	s_cbranch_execz .LBB540_110
.LBB540_33:
	v_cmp_gt_u32_e32 vcc, s18, v30
	v_mov_b32_e32 v2, 0
	v_mov_b32_e32 v1, 0
	s_and_saveexec_b64 s[4:5], vcc
	s_cbranch_execz .LBB540_37
; %bb.34:
	v_add_u32_e32 v1, s37, v19
	v_add_u32_e32 v2, s39, v19
	v_mul_lo_u32 v1, v1, s36
	v_mul_lo_u32 v2, v2, s38
	s_mov_b64 s[10:11], 0
	v_sub_u32_e32 v1, v1, v2
	v_cmp_lt_u32_e32 vcc, s40, v1
	v_cmp_ge_u32_e64 s[2:3], s40, v1
	s_and_saveexec_b64 s[8:9], s[2:3]
	s_cbranch_execz .LBB540_36
; %bb.35:
	v_add_u32_e32 v1, s42, v19
	v_add_u32_e32 v2, s58, v19
	v_mul_lo_u32 v1, v1, s41
	v_mul_lo_u32 v2, v2, s43
	v_sub_u32_e32 v1, v1, v2
	v_cmp_lt_u32_e64 s[2:3], s59, v1
	s_and_b64 s[10:11], s[2:3], exec
.LBB540_36:
	s_or_b64 exec, exec, s[8:9]
	v_cndmask_b32_e64 v2, 0, 1, s[10:11]
	v_cndmask_b32_e64 v1, 0, 1, vcc
.LBB540_37:
	s_or_b64 exec, exec, s[4:5]
	v_lshlrev_b16_e32 v7, 8, v2
	v_add_u32_e32 v2, 1, v30
	v_cmp_le_u32_e32 vcc, s18, v2
	v_lshlrev_b16_e64 v4, 8, 0
                                        ; implicit-def: $vgpr3
                                        ; implicit-def: $vgpr5
                                        ; implicit-def: $vgpr6
                                        ; implicit-def: $vgpr2
                                        ; implicit-def: $vgpr8
	s_and_saveexec_b64 s[2:3], vcc
	s_xor_b64 s[2:3], exec, s[2:3]
; %bb.38:
	v_mov_b32_e32 v2, 8
	v_lshrrev_b32_sdwa v3, v2, v7 dst_sel:BYTE_1 dst_unused:UNUSED_PAD src0_sel:DWORD src1_sel:DWORD
	v_and_b32_e32 v8, 0xff, v1
	v_or_b32_sdwa v1, v7, v3 dst_sel:DWORD dst_unused:UNUSED_PAD src0_sel:BYTE_0 src1_sel:DWORD
	v_mov_b32_e32 v5, 0
	v_lshlrev_b16_e64 v4, 8, 0
	v_lshlrev_b16_e64 v2, 8, 0
	v_and_b32_e32 v6, 0xffff, v1
	v_lshlrev_b16_e64 v3, 8, 0
                                        ; implicit-def: $vgpr1
                                        ; implicit-def: $vgpr7
; %bb.39:
	s_andn2_saveexec_b64 s[4:5], s[2:3]
	s_cbranch_execz .LBB540_43
; %bb.40:
	v_add_u32_e32 v2, s37, v20
	v_add_u32_e32 v3, s39, v20
	v_mul_lo_u32 v2, v2, s36
	v_mul_lo_u32 v3, v3, s38
	s_mov_b64 s[8:9], 0
	v_sub_u32_e32 v2, v2, v3
	v_cmp_lt_u32_e32 vcc, s40, v2
	v_cmp_ge_u32_e64 s[2:3], s40, v2
	s_and_saveexec_b64 s[10:11], s[2:3]
	s_cbranch_execz .LBB540_42
; %bb.41:
	v_add_u32_e32 v2, s42, v20
	v_add_u32_e32 v3, s58, v20
	v_mul_lo_u32 v2, v2, s41
	v_mul_lo_u32 v3, v3, s43
	v_sub_u32_e32 v2, v2, v3
	v_cmp_lt_u32_e64 s[2:3], s59, v2
	s_and_b64 s[8:9], s[2:3], exec
.LBB540_42:
	s_or_b64 exec, exec, s[10:11]
	v_cndmask_b32_e64 v3, 0, 1, vcc
	v_lshlrev_b16_e32 v3, 8, v3
	v_or_b32_sdwa v1, v1, v3 dst_sel:DWORD dst_unused:UNUSED_PAD src0_sel:BYTE_0 src1_sel:DWORD
	v_and_b32_e32 v8, 0xffff, v1
	v_mov_b32_e32 v1, 8
	v_lshrrev_b32_sdwa v1, v1, v7 dst_sel:BYTE_1 dst_unused:UNUSED_PAD src0_sel:DWORD src1_sel:DWORD
	v_or_b32_sdwa v1, v7, v1 dst_sel:DWORD dst_unused:UNUSED_PAD src0_sel:BYTE_0 src1_sel:DWORD
	v_and_b32_e32 v1, 0xffff, v1
	v_cndmask_b32_e64 v3, 0, 1, s[8:9]
	v_mov_b32_e32 v2, 0
	v_mov_b32_e32 v5, 0
	v_lshl_or_b32 v6, v3, 16, v1
	v_lshlrev_b16_e64 v3, 8, 0
.LBB540_43:
	s_or_b64 exec, exec, s[4:5]
	v_add_u32_e32 v1, 2, v30
	v_cmp_le_u32_e32 vcc, s18, v1
	v_lshrrev_b32_e32 v21, 24, v8
                                        ; implicit-def: $vgpr1
                                        ; implicit-def: $vgpr7
	s_and_saveexec_b64 s[2:3], vcc
	s_xor_b64 s[2:3], exec, s[2:3]
	s_cbranch_execz .LBB540_45
; %bb.44:
	s_mov_b32 s4, 0x40c0100
	v_perm_b32 v7, v21, v8, s4
	v_mov_b32_e32 v8, 8
	v_lshrrev_b32_sdwa v8, v8, v7 dst_sel:BYTE_1 dst_unused:UNUSED_PAD src0_sel:DWORD src1_sel:DWORD
	v_or_b32_sdwa v8, v7, v8 dst_sel:DWORD dst_unused:UNUSED_PAD src0_sel:BYTE_0 src1_sel:DWORD
	v_and_b32_e32 v8, 0xffff, v8
	s_mov_b32 s4, 0xff000000
	v_and_or_b32 v7, v7, s4, v8
	s_mov_b32 s4, 0x3060504
	v_and_b32_e32 v1, 0xff0000, v6
	v_perm_b32 v4, v4, v4, s4
	s_mov_b32 s4, 0x3020504
	v_perm_b32 v1, v6, v1, s4
                                        ; implicit-def: $vgpr8
                                        ; implicit-def: $vgpr21
                                        ; implicit-def: $vgpr6
.LBB540_45:
	s_andn2_saveexec_b64 s[4:5], s[2:3]
	s_cbranch_execz .LBB540_49
; %bb.46:
	v_add_u32_e32 v1, s37, v17
	v_add_u32_e32 v7, s39, v17
	v_mul_lo_u32 v1, v1, s36
	v_mul_lo_u32 v7, v7, s38
	s_mov_b64 s[8:9], 0
	v_sub_u32_e32 v1, v1, v7
	v_cmp_lt_u32_e32 vcc, s40, v1
	v_cmp_ge_u32_e64 s[2:3], s40, v1
	s_and_saveexec_b64 s[10:11], s[2:3]
	s_cbranch_execz .LBB540_48
; %bb.47:
	v_add_u32_e32 v1, s42, v17
	v_add_u32_e32 v7, s58, v17
	v_mul_lo_u32 v1, v1, s41
	v_mul_lo_u32 v7, v7, s43
	v_sub_u32_e32 v1, v1, v7
	v_cmp_lt_u32_e64 s[2:3], s59, v1
	s_and_b64 s[8:9], s[2:3], exec
.LBB540_48:
	s_or_b64 exec, exec, s[10:11]
	v_mov_b32_e32 v23, 8
	v_lshrrev_b32_sdwa v7, v23, v8 dst_sel:BYTE_1 dst_unused:UNUSED_PAD src0_sel:DWORD src1_sel:DWORD
	v_cndmask_b32_e64 v1, 0, 1, vcc
	v_or_b32_sdwa v7, v8, v7 dst_sel:DWORD dst_unused:UNUSED_PAD src0_sel:BYTE_0 src1_sel:DWORD
	v_lshlrev_b16_e32 v8, 8, v21
	v_or_b32_sdwa v1, v1, v8 dst_sel:WORD_1 dst_unused:UNUSED_PAD src0_sel:DWORD src1_sel:DWORD
	v_cndmask_b32_e64 v22, 0, 1, s[8:9]
	s_movk_i32 s2, 0xff
	v_or_b32_sdwa v7, v7, v1 dst_sel:DWORD dst_unused:UNUSED_PAD src0_sel:WORD_0 src1_sel:DWORD
	v_lshrrev_b32_sdwa v1, v23, v6 dst_sel:BYTE_1 dst_unused:UNUSED_PAD src0_sel:DWORD src1_sel:DWORD
	v_or_b32_sdwa v1, v6, v1 dst_sel:DWORD dst_unused:UNUSED_PAD src0_sel:BYTE_0 src1_sel:DWORD
	v_lshlrev_b16_e32 v8, 8, v22
	v_and_b32_sdwa v6, v6, s2 dst_sel:DWORD dst_unused:UNUSED_PAD src0_sel:WORD_1 src1_sel:DWORD
	v_or_b32_sdwa v6, v6, v8 dst_sel:WORD_1 dst_unused:UNUSED_PAD src0_sel:DWORD src1_sel:DWORD
	v_or_b32_sdwa v1, v1, v6 dst_sel:DWORD dst_unused:UNUSED_PAD src0_sel:WORD_0 src1_sel:DWORD
.LBB540_49:
	s_or_b64 exec, exec, s[4:5]
	v_add_u32_e32 v6, 3, v30
	v_cmp_le_u32_e32 vcc, s18, v6
	v_lshrrev_b32_e32 v8, 24, v5
                                        ; implicit-def: $vgpr6
                                        ; implicit-def: $vgpr31
	s_and_saveexec_b64 s[2:3], vcc
	s_xor_b64 s[2:3], exec, s[2:3]
	s_cbranch_execz .LBB540_51
; %bb.50:
	v_and_b32_e32 v6, 0xff0000, v7
	s_mov_b32 s4, 0x3020504
	s_movk_i32 s5, 0xff
	v_perm_b32 v31, v7, v6, s4
	v_lshlrev_b16_e32 v6, 8, v8
	v_and_b32_sdwa v7, v5, s5 dst_sel:DWORD dst_unused:UNUSED_PAD src0_sel:WORD_1 src1_sel:DWORD
	s_mov_b32 s4, 0x3060504
	v_or_b32_sdwa v6, v7, v6 dst_sel:WORD_1 dst_unused:UNUSED_PAD src0_sel:DWORD src1_sel:DWORD
	v_mov_b32_e32 v7, 8
	v_perm_b32 v4, v4, v4, s4
	v_lshrrev_b32_sdwa v6, v7, v5 dst_sel:BYTE_1 dst_unused:UNUSED_PRESERVE src0_sel:DWORD src1_sel:DWORD
	v_perm_b32 v3, v3, v3, s4
                                        ; implicit-def: $vgpr7
                                        ; implicit-def: $vgpr8
                                        ; implicit-def: $vgpr5
.LBB540_51:
	s_andn2_saveexec_b64 s[4:5], s[2:3]
	s_cbranch_execz .LBB540_55
; %bb.52:
	v_add_u32_e32 v6, s37, v18
	v_add_u32_e32 v21, s39, v18
	v_mul_lo_u32 v6, v6, s36
	v_mul_lo_u32 v21, v21, s38
	s_mov_b64 s[8:9], 0
	v_sub_u32_e32 v6, v6, v21
	v_cmp_lt_u32_e32 vcc, s40, v6
	v_cmp_ge_u32_e64 s[2:3], s40, v6
	s_and_saveexec_b64 s[10:11], s[2:3]
	s_cbranch_execz .LBB540_54
; %bb.53:
	v_add_u32_e32 v6, s42, v18
	v_add_u32_e32 v21, s58, v18
	v_mul_lo_u32 v6, v6, s41
	v_mul_lo_u32 v21, v21, s43
	v_sub_u32_e32 v6, v6, v21
	v_cmp_lt_u32_e64 s[2:3], s59, v6
	s_and_b64 s[8:9], s[2:3], exec
.LBB540_54:
	s_or_b64 exec, exec, s[10:11]
	v_mov_b32_e32 v22, 8
	v_cndmask_b32_e64 v6, 0, 1, vcc
	s_movk_i32 s2, 0xff
	v_lshrrev_b32_sdwa v23, v22, v7 dst_sel:BYTE_1 dst_unused:UNUSED_PAD src0_sel:DWORD src1_sel:DWORD
	v_or_b32_sdwa v23, v7, v23 dst_sel:DWORD dst_unused:UNUSED_PAD src0_sel:BYTE_0 src1_sel:DWORD
	v_lshlrev_b16_e32 v6, 8, v6
	v_and_b32_sdwa v7, v7, s2 dst_sel:DWORD dst_unused:UNUSED_PAD src0_sel:WORD_1 src1_sel:DWORD
	v_or_b32_sdwa v6, v7, v6 dst_sel:WORD_1 dst_unused:UNUSED_PAD src0_sel:DWORD src1_sel:DWORD
	v_cndmask_b32_e64 v21, 0, 1, s[8:9]
	v_or_b32_sdwa v31, v23, v6 dst_sel:DWORD dst_unused:UNUSED_PAD src0_sel:WORD_0 src1_sel:DWORD
	v_lshlrev_b16_e32 v6, 8, v8
	v_and_b32_sdwa v7, v5, s2 dst_sel:DWORD dst_unused:UNUSED_PAD src0_sel:WORD_1 src1_sel:DWORD
	v_lshrrev_b32_sdwa v5, v22, v5 dst_sel:BYTE_1 dst_unused:UNUSED_PAD src0_sel:DWORD src1_sel:DWORD
	v_or_b32_sdwa v6, v7, v6 dst_sel:WORD_1 dst_unused:UNUSED_PAD src0_sel:DWORD src1_sel:DWORD
	v_or_b32_e32 v5, v21, v5
	v_or_b32_sdwa v6, v5, v6 dst_sel:DWORD dst_unused:UNUSED_PAD src0_sel:WORD_0 src1_sel:DWORD
.LBB540_55:
	s_or_b64 exec, exec, s[4:5]
	v_add_u32_e32 v5, 4, v30
	v_cmp_le_u32_e32 vcc, s18, v5
	v_lshrrev_b32_e32 v21, 24, v4
	v_lshrrev_b32_e32 v8, 24, v6
                                        ; implicit-def: $vgpr7
                                        ; implicit-def: $vgpr5
	s_and_saveexec_b64 s[2:3], vcc
	s_xor_b64 s[2:3], exec, s[2:3]
	s_cbranch_execz .LBB540_57
; %bb.56:
	s_movk_i32 s4, 0xff
	v_lshlrev_b16_e32 v5, 8, v21
	v_and_b32_sdwa v21, v4, s4 dst_sel:DWORD dst_unused:UNUSED_PAD src0_sel:WORD_1 src1_sel:DWORD
	v_mov_b32_e32 v7, 8
	v_or_b32_sdwa v5, v21, v5 dst_sel:WORD_1 dst_unused:UNUSED_PAD src0_sel:DWORD src1_sel:DWORD
	v_lshrrev_b32_sdwa v5, v7, v4 dst_sel:BYTE_1 dst_unused:UNUSED_PRESERVE src0_sel:DWORD src1_sel:DWORD
	v_lshlrev_b16_e32 v4, 8, v8
	v_and_b32_sdwa v7, v6, s4 dst_sel:DWORD dst_unused:UNUSED_PAD src0_sel:WORD_1 src1_sel:DWORD
	v_or_b32_e32 v4, v7, v4
	s_mov_b32 s4, 0x5040c00
	v_perm_b32 v7, v4, v6, s4
	s_mov_b32 s4, 0x3060504
	v_perm_b32 v3, v3, v3, s4
                                        ; implicit-def: $vgpr21
                                        ; implicit-def: $vgpr4
                                        ; implicit-def: $vgpr6
                                        ; implicit-def: $vgpr8
.LBB540_57:
	s_andn2_saveexec_b64 s[4:5], s[2:3]
	s_cbranch_execz .LBB540_61
; %bb.58:
	v_add_u32_e32 v5, s37, v15
	v_add_u32_e32 v7, s39, v15
	v_mul_lo_u32 v5, v5, s36
	v_mul_lo_u32 v7, v7, s38
	s_mov_b64 s[8:9], 0
	v_sub_u32_e32 v5, v5, v7
	v_cmp_lt_u32_e32 vcc, s40, v5
	v_cmp_ge_u32_e64 s[2:3], s40, v5
	s_and_saveexec_b64 s[10:11], s[2:3]
	s_cbranch_execz .LBB540_60
; %bb.59:
	v_add_u32_e32 v5, s42, v15
	v_add_u32_e32 v7, s58, v15
	v_mul_lo_u32 v5, v5, s41
	v_mul_lo_u32 v7, v7, s43
	v_sub_u32_e32 v5, v5, v7
	v_cmp_lt_u32_e64 s[2:3], s59, v5
	s_and_b64 s[8:9], s[2:3], exec
.LBB540_60:
	s_or_b64 exec, exec, s[10:11]
	s_movk_i32 s2, 0xff
	v_lshlrev_b16_e32 v21, 8, v21
	v_and_b32_sdwa v22, v4, s2 dst_sel:DWORD dst_unused:UNUSED_PAD src0_sel:WORD_1 src1_sel:DWORD
	v_or_b32_sdwa v21, v22, v21 dst_sel:WORD_1 dst_unused:UNUSED_PAD src0_sel:DWORD src1_sel:DWORD
	v_mov_b32_e32 v22, 8
	v_cndmask_b32_e64 v5, 0, 1, vcc
	v_lshrrev_b32_sdwa v4, v22, v4 dst_sel:BYTE_1 dst_unused:UNUSED_PAD src0_sel:DWORD src1_sel:DWORD
	v_cndmask_b32_e64 v7, 0, 1, s[8:9]
	v_or_b32_e32 v4, v5, v4
	v_or_b32_sdwa v5, v4, v21 dst_sel:DWORD dst_unused:UNUSED_PAD src0_sel:WORD_0 src1_sel:DWORD
	v_lshlrev_b16_e32 v4, 8, v7
	v_or_b32_sdwa v4, v6, v4 dst_sel:DWORD dst_unused:UNUSED_PAD src0_sel:BYTE_0 src1_sel:DWORD
	v_lshlrev_b16_e32 v7, 8, v8
	v_and_b32_sdwa v6, v6, s2 dst_sel:DWORD dst_unused:UNUSED_PAD src0_sel:WORD_1 src1_sel:DWORD
	v_or_b32_sdwa v6, v6, v7 dst_sel:WORD_1 dst_unused:UNUSED_PAD src0_sel:DWORD src1_sel:DWORD
	v_or_b32_sdwa v7, v4, v6 dst_sel:DWORD dst_unused:UNUSED_PAD src0_sel:WORD_0 src1_sel:DWORD
.LBB540_61:
	s_or_b64 exec, exec, s[4:5]
	v_add_u32_e32 v4, 5, v30
	v_cmp_le_u32_e32 vcc, s18, v4
	v_lshrrev_b32_e32 v8, 24, v7
	v_lshrrev_b32_e32 v21, 24, v5
                                        ; implicit-def: $vgpr4
                                        ; implicit-def: $vgpr6
	s_and_saveexec_b64 s[2:3], vcc
	s_xor_b64 s[2:3], exec, s[2:3]
	s_cbranch_execz .LBB540_63
; %bb.62:
	s_mov_b32 s4, 0x40c0100
	v_perm_b32 v4, v8, v7, s4
	s_movk_i32 s4, 0xff
	v_lshlrev_b16_e32 v6, 8, v21
	v_and_b32_sdwa v7, v5, s4 dst_sel:DWORD dst_unused:UNUSED_PAD src0_sel:WORD_1 src1_sel:DWORD
	v_or_b32_e32 v6, v7, v6
	s_mov_b32 s4, 0x5040c00
	v_perm_b32 v6, v6, v5, s4
	v_mov_b32_e32 v5, 8
	v_lshrrev_b32_sdwa v5, v5, v4 dst_sel:BYTE_1 dst_unused:UNUSED_PAD src0_sel:DWORD src1_sel:DWORD
	v_or_b32_sdwa v5, v4, v5 dst_sel:DWORD dst_unused:UNUSED_PAD src0_sel:BYTE_0 src1_sel:DWORD
	v_and_b32_e32 v5, 0xffff, v5
	s_mov_b32 s4, 0xff000000
	v_and_or_b32 v4, v4, s4, v5
	s_mov_b32 s4, 0x3060504
	v_perm_b32 v3, v3, v3, s4
                                        ; implicit-def: $vgpr5
                                        ; implicit-def: $vgpr21
                                        ; implicit-def: $vgpr7
                                        ; implicit-def: $vgpr8
.LBB540_63:
	s_andn2_saveexec_b64 s[4:5], s[2:3]
	s_cbranch_execz .LBB540_67
; %bb.64:
	v_add_u32_e32 v4, s37, v16
	v_add_u32_e32 v6, s39, v16
	v_mul_lo_u32 v4, v4, s36
	v_mul_lo_u32 v6, v6, s38
	s_mov_b64 s[8:9], 0
	v_sub_u32_e32 v4, v4, v6
	v_cmp_lt_u32_e32 vcc, s40, v4
	v_cmp_ge_u32_e64 s[2:3], s40, v4
	s_and_saveexec_b64 s[10:11], s[2:3]
	s_cbranch_execz .LBB540_66
; %bb.65:
	v_add_u32_e32 v4, s42, v16
	v_add_u32_e32 v6, s58, v16
	v_mul_lo_u32 v4, v4, s41
	v_mul_lo_u32 v6, v6, s43
	v_sub_u32_e32 v4, v4, v6
	v_cmp_lt_u32_e64 s[2:3], s59, v4
	s_and_b64 s[8:9], s[2:3], exec
.LBB540_66:
	s_or_b64 exec, exec, s[10:11]
	v_cndmask_b32_e64 v4, 0, 1, vcc
	v_lshlrev_b16_e32 v4, 8, v4
	s_movk_i32 s2, 0xff
	v_or_b32_sdwa v4, v5, v4 dst_sel:DWORD dst_unused:UNUSED_PAD src0_sel:BYTE_0 src1_sel:DWORD
	v_lshlrev_b16_e32 v6, 8, v21
	v_and_b32_sdwa v5, v5, s2 dst_sel:DWORD dst_unused:UNUSED_PAD src0_sel:WORD_1 src1_sel:DWORD
	v_or_b32_sdwa v5, v5, v6 dst_sel:WORD_1 dst_unused:UNUSED_PAD src0_sel:DWORD src1_sel:DWORD
	v_or_b32_sdwa v6, v4, v5 dst_sel:DWORD dst_unused:UNUSED_PAD src0_sel:WORD_0 src1_sel:DWORD
	v_mov_b32_e32 v4, 8
	v_cndmask_b32_e64 v22, 0, 1, s[8:9]
	v_lshrrev_b32_sdwa v4, v4, v7 dst_sel:BYTE_1 dst_unused:UNUSED_PAD src0_sel:DWORD src1_sel:DWORD
	v_lshlrev_b16_e32 v5, 8, v8
	v_or_b32_sdwa v4, v7, v4 dst_sel:DWORD dst_unused:UNUSED_PAD src0_sel:BYTE_0 src1_sel:DWORD
	v_or_b32_sdwa v5, v22, v5 dst_sel:WORD_1 dst_unused:UNUSED_PAD src0_sel:DWORD src1_sel:DWORD
	v_or_b32_sdwa v4, v4, v5 dst_sel:DWORD dst_unused:UNUSED_PAD src0_sel:WORD_0 src1_sel:DWORD
.LBB540_67:
	s_or_b64 exec, exec, s[4:5]
	v_add_u32_e32 v5, 6, v30
	v_cmp_le_u32_e32 vcc, s18, v5
	v_lshrrev_b32_e32 v7, 24, v6
                                        ; implicit-def: $vgpr32
                                        ; implicit-def: $vgpr5
	s_and_saveexec_b64 s[2:3], vcc
	s_xor_b64 s[2:3], exec, s[2:3]
	s_cbranch_execz .LBB540_69
; %bb.68:
	s_mov_b32 s4, 0x40c0100
	v_perm_b32 v5, v7, v6, s4
	v_mov_b32_e32 v6, 8
	v_lshrrev_b32_sdwa v6, v6, v5 dst_sel:BYTE_1 dst_unused:UNUSED_PAD src0_sel:DWORD src1_sel:DWORD
	v_or_b32_sdwa v6, v5, v6 dst_sel:DWORD dst_unused:UNUSED_PAD src0_sel:BYTE_0 src1_sel:DWORD
	v_and_b32_e32 v6, 0xffff, v6
	s_mov_b32 s4, 0xff000000
	v_and_b32_e32 v8, 0xff0000, v4
	v_and_or_b32 v5, v5, s4, v6
	s_mov_b32 s4, 0x3020504
	v_perm_b32 v32, v4, v8, s4
	s_mov_b32 s4, 0x3060504
	v_perm_b32 v3, v3, v3, s4
                                        ; implicit-def: $vgpr6
                                        ; implicit-def: $vgpr7
                                        ; implicit-def: $vgpr4
.LBB540_69:
	s_andn2_saveexec_b64 s[4:5], s[2:3]
	s_cbranch_execz .LBB540_73
; %bb.70:
	v_add_u32_e32 v5, s37, v13
	v_add_u32_e32 v8, s39, v13
	v_mul_lo_u32 v5, v5, s36
	v_mul_lo_u32 v8, v8, s38
	s_mov_b64 s[8:9], 0
	v_sub_u32_e32 v5, v5, v8
	v_cmp_lt_u32_e32 vcc, s40, v5
	v_cmp_ge_u32_e64 s[2:3], s40, v5
	s_and_saveexec_b64 s[10:11], s[2:3]
	s_cbranch_execz .LBB540_72
; %bb.71:
	v_add_u32_e32 v5, s42, v13
	v_add_u32_e32 v8, s58, v13
	v_mul_lo_u32 v5, v5, s41
	v_mul_lo_u32 v8, v8, s43
	v_sub_u32_e32 v5, v5, v8
	v_cmp_lt_u32_e64 s[2:3], s59, v5
	s_and_b64 s[8:9], s[2:3], exec
.LBB540_72:
	s_or_b64 exec, exec, s[10:11]
	v_mov_b32_e32 v21, 8
	v_cndmask_b32_e64 v5, 0, 1, vcc
	v_lshrrev_b32_sdwa v22, v21, v6 dst_sel:BYTE_1 dst_unused:UNUSED_PAD src0_sel:DWORD src1_sel:DWORD
	v_lshlrev_b16_e32 v7, 8, v7
	v_or_b32_sdwa v6, v6, v22 dst_sel:DWORD dst_unused:UNUSED_PAD src0_sel:BYTE_0 src1_sel:DWORD
	v_or_b32_sdwa v5, v5, v7 dst_sel:WORD_1 dst_unused:UNUSED_PAD src0_sel:DWORD src1_sel:DWORD
	v_cndmask_b32_e64 v8, 0, 1, s[8:9]
	s_movk_i32 s2, 0xff
	v_or_b32_sdwa v5, v6, v5 dst_sel:DWORD dst_unused:UNUSED_PAD src0_sel:WORD_0 src1_sel:DWORD
	v_lshrrev_b32_sdwa v6, v21, v4 dst_sel:BYTE_1 dst_unused:UNUSED_PAD src0_sel:DWORD src1_sel:DWORD
	v_or_b32_sdwa v6, v4, v6 dst_sel:DWORD dst_unused:UNUSED_PAD src0_sel:BYTE_0 src1_sel:DWORD
	v_lshlrev_b16_e32 v7, 8, v8
	v_and_b32_sdwa v4, v4, s2 dst_sel:DWORD dst_unused:UNUSED_PAD src0_sel:WORD_1 src1_sel:DWORD
	v_or_b32_sdwa v4, v4, v7 dst_sel:WORD_1 dst_unused:UNUSED_PAD src0_sel:DWORD src1_sel:DWORD
	v_or_b32_sdwa v32, v6, v4 dst_sel:DWORD dst_unused:UNUSED_PAD src0_sel:WORD_0 src1_sel:DWORD
.LBB540_73:
	s_or_b64 exec, exec, s[4:5]
	v_add_u32_e32 v4, 7, v30
	v_cmp_le_u32_e32 vcc, s18, v4
	v_lshrrev_b32_e32 v6, 24, v3
                                        ; implicit-def: $vgpr4
                                        ; implicit-def: $vgpr33
	s_and_saveexec_b64 s[2:3], vcc
	s_xor_b64 s[2:3], exec, s[2:3]
; %bb.74:
	v_and_b32_e32 v4, 0xff0000, v5
	s_mov_b32 s4, 0x3020504
	v_perm_b32 v33, v5, v4, s4
	s_movk_i32 s4, 0xff
	v_lshlrev_b16_e32 v4, 8, v6
	v_and_b32_sdwa v5, v3, s4 dst_sel:DWORD dst_unused:UNUSED_PAD src0_sel:WORD_1 src1_sel:DWORD
	v_mov_b32_e32 v7, 8
	v_or_b32_sdwa v4, v5, v4 dst_sel:WORD_1 dst_unused:UNUSED_PAD src0_sel:DWORD src1_sel:DWORD
	v_lshrrev_b32_sdwa v4, v7, v3 dst_sel:BYTE_1 dst_unused:UNUSED_PRESERVE src0_sel:DWORD src1_sel:DWORD
                                        ; implicit-def: $vgpr5
                                        ; implicit-def: $vgpr6
                                        ; implicit-def: $vgpr3
; %bb.75:
	s_andn2_saveexec_b64 s[4:5], s[2:3]
	s_cbranch_execz .LBB540_79
; %bb.76:
	v_add_u32_e32 v4, s37, v14
	v_add_u32_e32 v7, s39, v14
	v_mul_lo_u32 v4, v4, s36
	v_mul_lo_u32 v7, v7, s38
	s_mov_b64 s[8:9], 0
	v_sub_u32_e32 v4, v4, v7
	v_cmp_lt_u32_e32 vcc, s40, v4
	v_cmp_ge_u32_e64 s[2:3], s40, v4
	s_and_saveexec_b64 s[10:11], s[2:3]
	s_cbranch_execz .LBB540_78
; %bb.77:
	v_add_u32_e32 v4, s42, v14
	v_add_u32_e32 v7, s58, v14
	v_mul_lo_u32 v4, v4, s41
	v_mul_lo_u32 v7, v7, s43
	v_sub_u32_e32 v4, v4, v7
	v_cmp_lt_u32_e64 s[2:3], s59, v4
	s_and_b64 s[8:9], s[2:3], exec
.LBB540_78:
	s_or_b64 exec, exec, s[10:11]
	v_mov_b32_e32 v8, 8
	v_cndmask_b32_e64 v4, 0, 1, vcc
	s_movk_i32 s2, 0xff
	v_lshrrev_b32_sdwa v21, v8, v5 dst_sel:BYTE_1 dst_unused:UNUSED_PAD src0_sel:DWORD src1_sel:DWORD
	v_or_b32_sdwa v21, v5, v21 dst_sel:DWORD dst_unused:UNUSED_PAD src0_sel:BYTE_0 src1_sel:DWORD
	v_lshlrev_b16_e32 v4, 8, v4
	v_and_b32_sdwa v5, v5, s2 dst_sel:DWORD dst_unused:UNUSED_PAD src0_sel:WORD_1 src1_sel:DWORD
	v_or_b32_sdwa v4, v5, v4 dst_sel:WORD_1 dst_unused:UNUSED_PAD src0_sel:DWORD src1_sel:DWORD
	v_cndmask_b32_e64 v7, 0, 1, s[8:9]
	v_or_b32_sdwa v33, v21, v4 dst_sel:DWORD dst_unused:UNUSED_PAD src0_sel:WORD_0 src1_sel:DWORD
	v_lshlrev_b16_e32 v4, 8, v6
	v_and_b32_sdwa v5, v3, s2 dst_sel:DWORD dst_unused:UNUSED_PAD src0_sel:WORD_1 src1_sel:DWORD
	v_lshrrev_b32_sdwa v3, v8, v3 dst_sel:BYTE_1 dst_unused:UNUSED_PAD src0_sel:DWORD src1_sel:DWORD
	v_or_b32_sdwa v4, v5, v4 dst_sel:WORD_1 dst_unused:UNUSED_PAD src0_sel:DWORD src1_sel:DWORD
	v_or_b32_e32 v3, v7, v3
	v_or_b32_sdwa v4, v3, v4 dst_sel:DWORD dst_unused:UNUSED_PAD src0_sel:WORD_0 src1_sel:DWORD
.LBB540_79:
	s_or_b64 exec, exec, s[4:5]
	v_add_u32_e32 v3, 8, v30
	v_cmp_le_u32_e32 vcc, s18, v3
	v_lshrrev_b32_e32 v6, 24, v4
	v_lshrrev_b32_e32 v7, 24, v2
                                        ; implicit-def: $vgpr5
                                        ; implicit-def: $vgpr3
	s_and_saveexec_b64 s[2:3], vcc
	s_xor_b64 s[2:3], exec, s[2:3]
	s_cbranch_execz .LBB540_81
; %bb.80:
	s_movk_i32 s4, 0xff
	v_lshlrev_b16_e32 v3, 8, v7
	v_and_b32_sdwa v5, v2, s4 dst_sel:DWORD dst_unused:UNUSED_PAD src0_sel:WORD_1 src1_sel:DWORD
	v_or_b32_sdwa v3, v5, v3 dst_sel:WORD_1 dst_unused:UNUSED_PAD src0_sel:DWORD src1_sel:DWORD
	v_mov_b32_e32 v5, 8
	v_lshrrev_b32_sdwa v3, v5, v2 dst_sel:BYTE_1 dst_unused:UNUSED_PRESERVE src0_sel:DWORD src1_sel:DWORD
	v_lshlrev_b16_e32 v2, 8, v6
	v_and_b32_sdwa v5, v4, s4 dst_sel:DWORD dst_unused:UNUSED_PAD src0_sel:WORD_1 src1_sel:DWORD
	s_mov_b32 s5, 0x3060504
	v_or_b32_e32 v2, v5, v2
	s_mov_b32 s4, 0x5040c00
	v_perm_b32 v1, v1, v1, s5
	v_perm_b32 v5, v2, v4, s4
                                        ; implicit-def: $vgpr7
                                        ; implicit-def: $vgpr2
                                        ; implicit-def: $vgpr4
                                        ; implicit-def: $vgpr6
.LBB540_81:
	s_andn2_saveexec_b64 s[4:5], s[2:3]
	s_cbranch_execz .LBB540_85
; %bb.82:
	v_add_u32_e32 v3, s37, v11
	v_add_u32_e32 v5, s39, v11
	v_mul_lo_u32 v3, v3, s36
	v_mul_lo_u32 v5, v5, s38
	s_mov_b64 s[8:9], 0
	v_sub_u32_e32 v3, v3, v5
	v_cmp_lt_u32_e32 vcc, s40, v3
	v_cmp_ge_u32_e64 s[2:3], s40, v3
	s_and_saveexec_b64 s[10:11], s[2:3]
	s_cbranch_execz .LBB540_84
; %bb.83:
	v_add_u32_e32 v3, s42, v11
	v_add_u32_e32 v5, s58, v11
	v_mul_lo_u32 v3, v3, s41
	v_mul_lo_u32 v5, v5, s43
	v_sub_u32_e32 v3, v3, v5
	v_cmp_lt_u32_e64 s[2:3], s59, v3
	s_and_b64 s[8:9], s[2:3], exec
.LBB540_84:
	s_or_b64 exec, exec, s[10:11]
	s_movk_i32 s2, 0xff
	v_lshlrev_b16_e32 v7, 8, v7
	v_and_b32_sdwa v8, v2, s2 dst_sel:DWORD dst_unused:UNUSED_PAD src0_sel:WORD_1 src1_sel:DWORD
	v_or_b32_sdwa v7, v8, v7 dst_sel:WORD_1 dst_unused:UNUSED_PAD src0_sel:DWORD src1_sel:DWORD
	v_mov_b32_e32 v8, 8
	v_cndmask_b32_e64 v3, 0, 1, vcc
	v_lshrrev_b32_sdwa v2, v8, v2 dst_sel:BYTE_1 dst_unused:UNUSED_PAD src0_sel:DWORD src1_sel:DWORD
	v_cndmask_b32_e64 v5, 0, 1, s[8:9]
	v_or_b32_e32 v2, v3, v2
	v_or_b32_sdwa v3, v2, v7 dst_sel:DWORD dst_unused:UNUSED_PAD src0_sel:WORD_0 src1_sel:DWORD
	v_lshlrev_b16_e32 v2, 8, v5
	v_or_b32_sdwa v2, v4, v2 dst_sel:DWORD dst_unused:UNUSED_PAD src0_sel:BYTE_0 src1_sel:DWORD
	v_lshlrev_b16_e32 v5, 8, v6
	v_and_b32_sdwa v4, v4, s2 dst_sel:DWORD dst_unused:UNUSED_PAD src0_sel:WORD_1 src1_sel:DWORD
	v_or_b32_sdwa v4, v4, v5 dst_sel:WORD_1 dst_unused:UNUSED_PAD src0_sel:DWORD src1_sel:DWORD
	v_or_b32_sdwa v5, v2, v4 dst_sel:DWORD dst_unused:UNUSED_PAD src0_sel:WORD_0 src1_sel:DWORD
.LBB540_85:
	s_or_b64 exec, exec, s[4:5]
	v_add_u32_e32 v2, 9, v30
	v_cmp_le_u32_e32 vcc, s18, v2
	v_lshrrev_b32_e32 v6, 24, v5
	v_lshrrev_b32_e32 v7, 24, v3
                                        ; implicit-def: $vgpr2
                                        ; implicit-def: $vgpr4
	s_and_saveexec_b64 s[2:3], vcc
	s_xor_b64 s[2:3], exec, s[2:3]
	s_cbranch_execz .LBB540_87
; %bb.86:
	s_mov_b32 s4, 0x40c0100
	v_perm_b32 v2, v6, v5, s4
	v_mov_b32_e32 v4, 8
	s_movk_i32 s4, 0xff
	v_lshrrev_b32_sdwa v5, v4, v2 dst_sel:BYTE_1 dst_unused:UNUSED_PAD src0_sel:DWORD src1_sel:DWORD
	v_lshlrev_b16_e32 v4, 8, v7
	v_and_b32_sdwa v6, v3, s4 dst_sel:DWORD dst_unused:UNUSED_PAD src0_sel:WORD_1 src1_sel:DWORD
	v_or_b32_e32 v4, v6, v4
	s_mov_b32 s4, 0x5040c00
	v_perm_b32 v4, v4, v3, s4
	s_mov_b32 s4, 0x3060504
	v_or_b32_sdwa v3, v2, v5 dst_sel:DWORD dst_unused:UNUSED_PAD src0_sel:BYTE_0 src1_sel:DWORD
	v_perm_b32 v1, v1, v1, s4
	v_and_b32_e32 v3, 0xffff, v3
	s_mov_b32 s4, 0xff000000
	v_and_or_b32 v2, v2, s4, v3
                                        ; implicit-def: $vgpr3
                                        ; implicit-def: $vgpr7
                                        ; implicit-def: $vgpr5
                                        ; implicit-def: $vgpr6
.LBB540_87:
	s_andn2_saveexec_b64 s[4:5], s[2:3]
	s_cbranch_execz .LBB540_91
; %bb.88:
	v_add_u32_e32 v2, s37, v12
	v_add_u32_e32 v4, s39, v12
	v_mul_lo_u32 v2, v2, s36
	v_mul_lo_u32 v4, v4, s38
	s_mov_b64 s[8:9], 0
	v_sub_u32_e32 v2, v2, v4
	v_cmp_lt_u32_e32 vcc, s40, v2
	v_cmp_ge_u32_e64 s[2:3], s40, v2
	s_and_saveexec_b64 s[10:11], s[2:3]
	s_cbranch_execz .LBB540_90
; %bb.89:
	v_add_u32_e32 v2, s42, v12
	v_add_u32_e32 v4, s58, v12
	v_mul_lo_u32 v2, v2, s41
	v_mul_lo_u32 v4, v4, s43
	v_sub_u32_e32 v2, v2, v4
	v_cmp_lt_u32_e64 s[2:3], s59, v2
	s_and_b64 s[8:9], s[2:3], exec
.LBB540_90:
	s_or_b64 exec, exec, s[10:11]
	v_cndmask_b32_e64 v2, 0, 1, vcc
	v_lshlrev_b16_e32 v2, 8, v2
	s_movk_i32 s2, 0xff
	v_or_b32_sdwa v2, v3, v2 dst_sel:DWORD dst_unused:UNUSED_PAD src0_sel:BYTE_0 src1_sel:DWORD
	v_lshlrev_b16_e32 v4, 8, v7
	v_and_b32_sdwa v3, v3, s2 dst_sel:DWORD dst_unused:UNUSED_PAD src0_sel:WORD_1 src1_sel:DWORD
	v_or_b32_sdwa v3, v3, v4 dst_sel:WORD_1 dst_unused:UNUSED_PAD src0_sel:DWORD src1_sel:DWORD
	v_or_b32_sdwa v4, v2, v3 dst_sel:DWORD dst_unused:UNUSED_PAD src0_sel:WORD_0 src1_sel:DWORD
	v_mov_b32_e32 v2, 8
	v_cndmask_b32_e64 v8, 0, 1, s[8:9]
	v_lshrrev_b32_sdwa v2, v2, v5 dst_sel:BYTE_1 dst_unused:UNUSED_PAD src0_sel:DWORD src1_sel:DWORD
	v_lshlrev_b16_e32 v3, 8, v6
	v_or_b32_sdwa v2, v5, v2 dst_sel:DWORD dst_unused:UNUSED_PAD src0_sel:BYTE_0 src1_sel:DWORD
	v_or_b32_sdwa v3, v8, v3 dst_sel:WORD_1 dst_unused:UNUSED_PAD src0_sel:DWORD src1_sel:DWORD
	v_or_b32_sdwa v2, v2, v3 dst_sel:DWORD dst_unused:UNUSED_PAD src0_sel:WORD_0 src1_sel:DWORD
.LBB540_91:
	s_or_b64 exec, exec, s[4:5]
	v_add_u32_e32 v3, 10, v30
	v_cmp_le_u32_e32 vcc, s18, v3
	v_lshrrev_b32_e32 v5, 24, v4
                                        ; implicit-def: $vgpr34
                                        ; implicit-def: $vgpr3
	s_and_saveexec_b64 s[2:3], vcc
	s_xor_b64 s[2:3], exec, s[2:3]
	s_cbranch_execz .LBB540_93
; %bb.92:
	s_mov_b32 s4, 0x40c0100
	v_perm_b32 v3, v5, v4, s4
	v_mov_b32_e32 v4, 8
	v_lshrrev_b32_sdwa v4, v4, v3 dst_sel:BYTE_1 dst_unused:UNUSED_PAD src0_sel:DWORD src1_sel:DWORD
	v_or_b32_sdwa v4, v3, v4 dst_sel:DWORD dst_unused:UNUSED_PAD src0_sel:BYTE_0 src1_sel:DWORD
	v_and_b32_e32 v4, 0xffff, v4
	s_mov_b32 s4, 0xff000000
	v_and_or_b32 v3, v3, s4, v4
	s_mov_b32 s4, 0x3060504
	v_and_b32_e32 v6, 0xff0000, v2
	v_perm_b32 v1, v1, v1, s4
	s_mov_b32 s4, 0x3020504
	v_perm_b32 v34, v2, v6, s4
                                        ; implicit-def: $vgpr4
                                        ; implicit-def: $vgpr5
                                        ; implicit-def: $vgpr2
.LBB540_93:
	s_andn2_saveexec_b64 s[4:5], s[2:3]
	s_cbranch_execz .LBB540_97
; %bb.94:
	v_add_u32_e32 v3, s37, v9
	v_add_u32_e32 v6, s39, v9
	v_mul_lo_u32 v3, v3, s36
	v_mul_lo_u32 v6, v6, s38
	s_mov_b64 s[8:9], 0
	v_sub_u32_e32 v3, v3, v6
	v_cmp_lt_u32_e32 vcc, s40, v3
	v_cmp_ge_u32_e64 s[2:3], s40, v3
	s_and_saveexec_b64 s[10:11], s[2:3]
	s_cbranch_execz .LBB540_96
; %bb.95:
	v_add_u32_e32 v3, s42, v9
	v_add_u32_e32 v6, s58, v9
	v_mul_lo_u32 v3, v3, s41
	v_mul_lo_u32 v6, v6, s43
	v_sub_u32_e32 v3, v3, v6
	v_cmp_lt_u32_e64 s[2:3], s59, v3
	s_and_b64 s[8:9], s[2:3], exec
.LBB540_96:
	s_or_b64 exec, exec, s[10:11]
	v_mov_b32_e32 v7, 8
	v_cndmask_b32_e64 v3, 0, 1, vcc
	v_lshrrev_b32_sdwa v8, v7, v4 dst_sel:BYTE_1 dst_unused:UNUSED_PAD src0_sel:DWORD src1_sel:DWORD
	v_lshlrev_b16_e32 v5, 8, v5
	v_or_b32_sdwa v4, v4, v8 dst_sel:DWORD dst_unused:UNUSED_PAD src0_sel:BYTE_0 src1_sel:DWORD
	v_or_b32_sdwa v3, v3, v5 dst_sel:WORD_1 dst_unused:UNUSED_PAD src0_sel:DWORD src1_sel:DWORD
	v_cndmask_b32_e64 v6, 0, 1, s[8:9]
	s_movk_i32 s2, 0xff
	v_or_b32_sdwa v3, v4, v3 dst_sel:DWORD dst_unused:UNUSED_PAD src0_sel:WORD_0 src1_sel:DWORD
	v_lshrrev_b32_sdwa v4, v7, v2 dst_sel:BYTE_1 dst_unused:UNUSED_PAD src0_sel:DWORD src1_sel:DWORD
	v_or_b32_sdwa v4, v2, v4 dst_sel:DWORD dst_unused:UNUSED_PAD src0_sel:BYTE_0 src1_sel:DWORD
	v_lshlrev_b16_e32 v5, 8, v6
	v_and_b32_sdwa v2, v2, s2 dst_sel:DWORD dst_unused:UNUSED_PAD src0_sel:WORD_1 src1_sel:DWORD
	v_or_b32_sdwa v2, v2, v5 dst_sel:WORD_1 dst_unused:UNUSED_PAD src0_sel:DWORD src1_sel:DWORD
	v_or_b32_sdwa v34, v4, v2 dst_sel:DWORD dst_unused:UNUSED_PAD src0_sel:WORD_0 src1_sel:DWORD
.LBB540_97:
	s_or_b64 exec, exec, s[4:5]
	v_add_u32_e32 v2, 11, v30
	v_mov_b32_e32 v35, 0
	v_cmp_le_u32_e32 vcc, s18, v2
                                        ; implicit-def: $vgpr36
	s_and_saveexec_b64 s[2:3], vcc
	s_xor_b64 s[2:3], exec, s[2:3]
; %bb.98:
	v_and_b32_e32 v2, 0xff0000, v3
	s_mov_b32 s4, 0x3020504
	v_perm_b32 v36, v3, v2, s4
	s_mov_b32 s4, 0x3060504
	v_perm_b32 v1, v1, v1, s4
                                        ; implicit-def: $vgpr3
; %bb.99:
	s_andn2_saveexec_b64 s[4:5], s[2:3]
	s_cbranch_execz .LBB540_103
; %bb.100:
	v_add_u32_e32 v2, s37, v10
	v_add_u32_e32 v4, s39, v10
	v_mul_lo_u32 v2, v2, s36
	v_mul_lo_u32 v4, v4, s38
	s_mov_b64 s[8:9], 0
	v_sub_u32_e32 v2, v2, v4
	v_cmp_lt_u32_e32 vcc, s40, v2
	v_cmp_ge_u32_e64 s[2:3], s40, v2
	s_and_saveexec_b64 s[10:11], s[2:3]
	s_cbranch_execz .LBB540_102
; %bb.101:
	v_add_u32_e32 v2, s42, v10
	v_add_u32_e32 v4, s58, v10
	v_mul_lo_u32 v2, v2, s41
	v_mul_lo_u32 v4, v4, s43
	v_sub_u32_e32 v2, v2, v4
	v_cmp_lt_u32_e64 s[2:3], s59, v2
	s_and_b64 s[8:9], s[2:3], exec
.LBB540_102:
	s_or_b64 exec, exec, s[10:11]
	v_mov_b32_e32 v4, 8
	v_cndmask_b32_e64 v2, 0, 1, vcc
	s_movk_i32 s2, 0xff
	v_lshrrev_b32_sdwa v4, v4, v3 dst_sel:BYTE_1 dst_unused:UNUSED_PAD src0_sel:DWORD src1_sel:DWORD
	v_or_b32_sdwa v4, v3, v4 dst_sel:DWORD dst_unused:UNUSED_PAD src0_sel:BYTE_0 src1_sel:DWORD
	v_lshlrev_b16_e32 v2, 8, v2
	v_and_b32_sdwa v3, v3, s2 dst_sel:DWORD dst_unused:UNUSED_PAD src0_sel:WORD_1 src1_sel:DWORD
	v_or_b32_sdwa v2, v3, v2 dst_sel:WORD_1 dst_unused:UNUSED_PAD src0_sel:DWORD src1_sel:DWORD
	v_cndmask_b32_e64 v35, 0, 1, s[8:9]
	v_or_b32_sdwa v36, v4, v2 dst_sel:DWORD dst_unused:UNUSED_PAD src0_sel:WORD_0 src1_sel:DWORD
.LBB540_103:
	s_or_b64 exec, exec, s[4:5]
	v_add_u32_e32 v2, 12, v30
	v_cmp_le_u32_e32 vcc, s18, v2
	v_lshrrev_b32_e32 v2, 24, v1
                                        ; implicit-def: $vgpr37
	s_and_saveexec_b64 s[2:3], vcc
	s_xor_b64 s[2:3], exec, s[2:3]
; %bb.104:
	s_movk_i32 s4, 0xff
	v_lshlrev_b16_e32 v2, 8, v2
	v_and_b32_sdwa v4, v1, s4 dst_sel:DWORD dst_unused:UNUSED_PAD src0_sel:WORD_1 src1_sel:DWORD
	v_mov_b32_e32 v3, 8
	v_or_b32_sdwa v37, v4, v2 dst_sel:WORD_1 dst_unused:UNUSED_PAD src0_sel:DWORD src1_sel:DWORD
	v_lshrrev_b32_sdwa v37, v3, v1 dst_sel:BYTE_1 dst_unused:UNUSED_PRESERVE src0_sel:DWORD src1_sel:DWORD
                                        ; implicit-def: $vgpr2
                                        ; implicit-def: $vgpr1
; %bb.105:
	s_or_saveexec_b64 s[4:5], s[2:3]
	v_mov_b32_e32 v38, 0
	s_xor_b64 exec, exec, s[4:5]
	s_cbranch_execz .LBB540_109
; %bb.106:
	v_add_u32_e32 v3, s37, v29
	v_add_u32_e32 v4, s39, v29
	v_mul_lo_u32 v3, v3, s36
	v_mul_lo_u32 v4, v4, s38
	s_mov_b64 s[8:9], 0
	v_sub_u32_e32 v3, v3, v4
	v_cmp_lt_u32_e32 vcc, s40, v3
	v_cmp_ge_u32_e64 s[2:3], s40, v3
	s_and_saveexec_b64 s[10:11], s[2:3]
	s_cbranch_execz .LBB540_108
; %bb.107:
	v_add_u32_e32 v3, s42, v29
	v_add_u32_e32 v4, s58, v29
	v_mul_lo_u32 v3, v3, s41
	v_mul_lo_u32 v4, v4, s43
	v_sub_u32_e32 v3, v3, v4
	v_cmp_lt_u32_e64 s[2:3], s59, v3
	s_and_b64 s[8:9], s[2:3], exec
.LBB540_108:
	s_or_b64 exec, exec, s[10:11]
	s_movk_i32 s2, 0xff
	v_lshlrev_b16_e32 v2, 8, v2
	v_and_b32_sdwa v4, v1, s2 dst_sel:DWORD dst_unused:UNUSED_PAD src0_sel:WORD_1 src1_sel:DWORD
	v_or_b32_sdwa v2, v4, v2 dst_sel:WORD_1 dst_unused:UNUSED_PAD src0_sel:DWORD src1_sel:DWORD
	v_mov_b32_e32 v4, 8
	v_cndmask_b32_e64 v3, 0, 1, vcc
	v_lshrrev_b32_sdwa v1, v4, v1 dst_sel:BYTE_1 dst_unused:UNUSED_PAD src0_sel:DWORD src1_sel:DWORD
	v_or_b32_e32 v1, v3, v1
	v_cndmask_b32_e64 v38, 0, 1, s[8:9]
	v_or_b32_sdwa v37, v1, v2 dst_sel:DWORD dst_unused:UNUSED_PAD src0_sel:WORD_0 src1_sel:DWORD
.LBB540_109:
	s_or_b64 exec, exec, s[4:5]
.LBB540_110:
	v_and_b32_e32 v48, 0xff, v31
	v_bfe_u32 v45, v31, 8, 8
	v_bfe_u32 v50, v31, 16, 8
	v_lshrrev_b32_e32 v43, 24, v31
	v_and_b32_e32 v51, 0xff, v33
	v_add3_u32 v4, v45, v48, v50
	v_bfe_u32 v46, v33, 8, 8
	v_bfe_u32 v53, v33, 16, 8
	v_add3_u32 v4, v4, v43, v51
	v_bfe_u32 v49, v37, 8, 8
	v_bfe_u32 v57, v37, 16, 8
	v_lshrrev_b32_e32 v44, 24, v37
	v_lshrrev_b32_e32 v41, 24, v33
	v_and_b32_e32 v54, 0xff, v36
	v_add3_u32 v4, v4, v46, v53
	v_and_b32_e32 v58, 0xff, v32
	v_bfe_u32 v52, v32, 8, 8
	v_bfe_u32 v47, v36, 8, 8
	;; [unrolled: 1-line block ×3, first 2 shown]
	v_add3_u32 v3, v57, v49, v44
	v_add3_u32 v4, v4, v41, v54
	v_bfe_u32 v59, v32, 16, 8
	v_lshrrev_b32_e32 v42, 24, v32
	v_lshrrev_b32_e32 v39, 24, v36
	v_and_b32_e32 v1, 0xff, v37
	v_add3_u32 v3, v3, v58, v52
	v_add3_u32 v4, v4, v47, v56
	v_and_b32_e32 v60, 0xff, v34
	v_bfe_u32 v55, v34, 8, 8
	v_add3_u32 v3, v3, v59, v42
	v_add3_u32 v68, v4, v39, v1
	v_mbcnt_lo_u32_b32 v1, -1, 0
	v_bfe_u32 v61, v34, 16, 8
	v_lshrrev_b32_e32 v40, 24, v34
	v_add3_u32 v3, v3, v60, v55
	v_mbcnt_hi_u32_b32 v63, -1, v1
	v_and_b32_e32 v62, 0xff, v35
	v_and_b32_e32 v2, 0xff, v38
	v_add3_u32 v3, v3, v61, v40
	v_and_b32_e32 v67, 15, v63
	s_cmp_lg_u32 s6, 0
	v_add3_u32 v69, v3, v62, v2
	v_cmp_eq_u32_e64 s[4:5], 0, v67
	v_cmp_lt_u32_e64 s[2:3], 1, v67
	v_cmp_lt_u32_e64 s[8:9], 3, v67
	;; [unrolled: 1-line block ×3, first 2 shown]
	v_and_b32_e32 v66, 16, v63
	v_cmp_lt_u32_e32 vcc, 31, v63
	v_lshrrev_b32_e32 v64, 6, v0
	v_or_b32_e32 v65, 63, v0
	s_cbranch_scc0 .LBB540_132
; %bb.111:
	v_mov_b32_dpp v1, v68 row_shr:1 row_mask:0xf bank_mask:0xf
	v_mov_b32_dpp v2, v69 row_shr:1 row_mask:0xf bank_mask:0xf
	v_add_u32_e32 v1, v1, v68
	v_add_u32_e32 v2, v2, v69
	v_cndmask_b32_e64 v2, v2, v69, s[4:5]
	v_cndmask_b32_e64 v1, v1, v68, s[4:5]
	s_nop 0
	v_mov_b32_dpp v4, v2 row_shr:2 row_mask:0xf bank_mask:0xf
	v_mov_b32_dpp v3, v1 row_shr:2 row_mask:0xf bank_mask:0xf
	v_add_u32_e32 v3, v1, v3
	v_add_u32_e32 v4, v2, v4
	v_cndmask_b32_e64 v2, v2, v4, s[2:3]
	v_cndmask_b32_e64 v1, v1, v3, s[2:3]
	s_nop 0
	v_mov_b32_dpp v4, v2 row_shr:4 row_mask:0xf bank_mask:0xf
	v_mov_b32_dpp v3, v1 row_shr:4 row_mask:0xf bank_mask:0xf
	v_add_u32_e32 v3, v1, v3
	v_add_u32_e32 v4, v2, v4
	v_cndmask_b32_e64 v2, v2, v4, s[8:9]
	v_cndmask_b32_e64 v1, v1, v3, s[8:9]
	v_cmp_eq_u32_e64 s[8:9], 0, v66
	v_mov_b32_dpp v4, v2 row_shr:8 row_mask:0xf bank_mask:0xf
	v_mov_b32_dpp v3, v1 row_shr:8 row_mask:0xf bank_mask:0xf
	v_add_u32_e32 v3, v1, v3
	v_add_u32_e32 v4, v2, v4
	v_cndmask_b32_e64 v2, v2, v4, s[10:11]
	v_cndmask_b32_e64 v3, v1, v3, s[10:11]
	s_nop 0
	v_mov_b32_dpp v4, v2 row_bcast:15 row_mask:0xf bank_mask:0xf
	v_mov_b32_dpp v1, v3 row_bcast:15 row_mask:0xf bank_mask:0xf
	v_add_u32_e32 v5, v3, v1
	v_add_u32_e32 v1, v2, v4
	v_cndmask_b32_e64 v1, v1, v2, s[8:9]
	v_cndmask_b32_e64 v2, v5, v3, s[8:9]
	v_cmp_eq_u32_e64 s[8:9], v0, v65
	v_mov_b32_dpp v3, v1 row_bcast:31 row_mask:0xf bank_mask:0xf
	v_mov_b32_dpp v4, v2 row_bcast:31 row_mask:0xf bank_mask:0xf
	v_add_u32_e32 v3, v1, v3
	v_add_u32_e32 v4, v2, v4
	s_and_saveexec_b64 s[10:11], s[8:9]
; %bb.112:
	v_lshlrev_b32_e32 v7, 3, v64
	v_cndmask_b32_e32 v6, v1, v3, vcc
	v_cndmask_b32_e32 v5, v2, v4, vcc
	ds_write_b64 v7, v[5:6]
; %bb.113:
	s_or_b64 exec, exec, s[10:11]
	v_cmp_gt_u32_e64 s[8:9], 4, v0
	s_waitcnt lgkmcnt(0)
	s_barrier
	s_and_saveexec_b64 s[10:11], s[8:9]
	s_cbranch_execz .LBB540_115
; %bb.114:
	v_lshlrev_b32_e32 v7, 3, v0
	ds_read_b64 v[5:6], v7
	v_and_b32_e32 v8, 3, v63
	v_cmp_eq_u32_e64 s[8:9], 0, v8
	s_waitcnt lgkmcnt(0)
	v_mov_b32_dpp v21, v5 row_shr:1 row_mask:0xf bank_mask:0xf
	v_mov_b32_dpp v22, v6 row_shr:1 row_mask:0xf bank_mask:0xf
	v_add_u32_e32 v21, v21, v5
	v_add_u32_e32 v22, v22, v6
	v_cndmask_b32_e64 v6, v22, v6, s[8:9]
	v_cndmask_b32_e64 v5, v21, v5, s[8:9]
	v_cmp_lt_u32_e64 s[8:9], 1, v8
	v_mov_b32_dpp v22, v6 row_shr:2 row_mask:0xf bank_mask:0xf
	v_mov_b32_dpp v21, v5 row_shr:2 row_mask:0xf bank_mask:0xf
	v_cndmask_b32_e64 v8, 0, v21, s[8:9]
	v_cndmask_b32_e64 v21, 0, v22, s[8:9]
	v_add_u32_e32 v6, v21, v6
	v_add_u32_e32 v5, v8, v5
	ds_write_b64 v7, v[5:6]
.LBB540_115:
	s_or_b64 exec, exec, s[10:11]
	v_cndmask_b32_e32 v1, v1, v3, vcc
	v_cndmask_b32_e32 v2, v2, v4, vcc
	v_cmp_gt_u32_e32 vcc, 64, v0
	v_cmp_lt_u32_e64 s[8:9], 63, v0
	s_waitcnt lgkmcnt(0)
	s_barrier
                                        ; implicit-def: $vgpr21
	s_and_saveexec_b64 s[10:11], s[8:9]
	s_cbranch_execz .LBB540_117
; %bb.116:
	v_lshl_add_u32 v3, v64, 3, -8
	ds_read_b64 v[21:22], v3
	s_waitcnt lgkmcnt(0)
	v_add_u32_e32 v1, v22, v1
	v_add_u32_e32 v2, v21, v2
.LBB540_117:
	s_or_b64 exec, exec, s[10:11]
	v_subrev_co_u32_e64 v3, s[8:9], 1, v63
	v_and_b32_e32 v4, 64, v63
	v_cmp_lt_i32_e64 s[10:11], v3, v4
	v_cndmask_b32_e64 v3, v3, v63, s[10:11]
	v_lshlrev_b32_e32 v3, 2, v3
	ds_bpermute_b32 v70, v3, v2
	ds_bpermute_b32 v71, v3, v1
	s_and_saveexec_b64 s[10:11], vcc
	s_cbranch_execz .LBB540_137
; %bb.118:
	v_mov_b32_e32 v4, 0
	ds_read_b64 v[1:2], v4 offset:24
	s_and_saveexec_b64 s[14:15], s[8:9]
	s_cbranch_execz .LBB540_120
; %bb.119:
	s_add_i32 s16, s6, 64
	s_mov_b32 s17, 0
	s_lshl_b64 s[16:17], s[16:17], 4
	s_add_u32 s16, s12, s16
	s_addc_u32 s17, s13, s17
	v_mov_b32_e32 v5, s16
	v_mov_b32_e32 v3, 1
	;; [unrolled: 1-line block ×3, first 2 shown]
	s_waitcnt lgkmcnt(0)
	;;#ASMSTART
	global_store_dwordx4 v[5:6], v[1:4] off	
s_waitcnt vmcnt(0)
	;;#ASMEND
.LBB540_120:
	s_or_b64 exec, exec, s[14:15]
	v_xad_u32 v23, v63, -1, s6
	v_add_u32_e32 v3, 64, v23
	v_lshlrev_b64 v[5:6], 4, v[3:4]
	v_mov_b32_e32 v3, s13
	v_add_co_u32_e32 v24, vcc, s12, v5
	v_addc_co_u32_e32 v25, vcc, v3, v6, vcc
	;;#ASMSTART
	global_load_dwordx4 v[5:8], v[24:25] off glc	
s_waitcnt vmcnt(0)
	;;#ASMEND
	v_cmp_eq_u16_sdwa s[16:17], v7, v4 src0_sel:BYTE_0 src1_sel:DWORD
	s_and_saveexec_b64 s[14:15], s[16:17]
	s_cbranch_execz .LBB540_124
; %bb.121:
	s_mov_b64 s[16:17], 0
	v_mov_b32_e32 v3, 0
.LBB540_122:                            ; =>This Inner Loop Header: Depth=1
	;;#ASMSTART
	global_load_dwordx4 v[5:8], v[24:25] off glc	
s_waitcnt vmcnt(0)
	;;#ASMEND
	v_cmp_ne_u16_sdwa s[20:21], v7, v3 src0_sel:BYTE_0 src1_sel:DWORD
	s_or_b64 s[16:17], s[20:21], s[16:17]
	s_andn2_b64 exec, exec, s[16:17]
	s_cbranch_execnz .LBB540_122
; %bb.123:
	s_or_b64 exec, exec, s[16:17]
.LBB540_124:
	s_or_b64 exec, exec, s[14:15]
	v_and_b32_e32 v73, 63, v63
	v_cmp_ne_u32_e32 vcc, 63, v73
	v_mov_b32_e32 v72, 2
	v_lshlrev_b64 v[25:26], v63, -1
	v_addc_co_u32_e32 v8, vcc, 0, v63, vcc
	v_cmp_eq_u16_sdwa s[14:15], v7, v72 src0_sel:BYTE_0 src1_sel:DWORD
	v_lshlrev_b32_e32 v74, 2, v8
	v_and_b32_e32 v3, s15, v26
	ds_bpermute_b32 v8, v74, v5
	ds_bpermute_b32 v24, v74, v6
	v_or_b32_e32 v3, 0x80000000, v3
	v_and_b32_e32 v4, s14, v25
	v_ffbl_b32_e32 v3, v3
	v_add_u32_e32 v3, 32, v3
	v_ffbl_b32_e32 v4, v4
	v_min_u32_e32 v3, v4, v3
	s_waitcnt lgkmcnt(1)
	v_add_u32_e32 v4, v8, v5
	s_waitcnt lgkmcnt(0)
	v_add_u32_e32 v8, v24, v6
	v_cmp_lt_u32_e32 vcc, v73, v3
	v_cndmask_b32_e32 v6, v6, v8, vcc
	v_cndmask_b32_e32 v4, v5, v4, vcc
	v_cmp_gt_u32_e32 vcc, 62, v73
	v_cndmask_b32_e64 v5, 0, 2, vcc
	v_add_lshl_u32 v75, v5, v63, 2
	ds_bpermute_b32 v5, v75, v4
	ds_bpermute_b32 v8, v75, v6
	v_add_u32_e32 v76, 2, v73
	v_cmp_gt_u32_e32 vcc, v76, v3
	v_add_u32_e32 v78, 4, v73
	s_waitcnt lgkmcnt(1)
	v_add_u32_e32 v5, v4, v5
	s_waitcnt lgkmcnt(0)
	v_add_u32_e32 v8, v6, v8
	v_cndmask_b32_e32 v6, v8, v6, vcc
	v_cndmask_b32_e32 v4, v5, v4, vcc
	v_cmp_gt_u32_e32 vcc, 60, v73
	v_cndmask_b32_e64 v5, 0, 4, vcc
	v_add_lshl_u32 v77, v5, v63, 2
	ds_bpermute_b32 v5, v77, v4
	ds_bpermute_b32 v8, v77, v6
	v_cmp_gt_u32_e32 vcc, v78, v3
	v_add_u32_e32 v80, 8, v73
	v_add_u32_e32 v82, 16, v73
	s_waitcnt lgkmcnt(1)
	v_add_u32_e32 v5, v4, v5
	s_waitcnt lgkmcnt(0)
	v_add_u32_e32 v8, v6, v8
	v_cndmask_b32_e32 v6, v8, v6, vcc
	v_cndmask_b32_e32 v4, v5, v4, vcc
	v_cmp_gt_u32_e32 vcc, 56, v73
	v_cndmask_b32_e64 v5, 0, 8, vcc
	v_add_lshl_u32 v79, v5, v63, 2
	ds_bpermute_b32 v5, v79, v4
	ds_bpermute_b32 v8, v79, v6
	v_cmp_gt_u32_e32 vcc, v80, v3
	v_add_u32_e32 v84, 32, v73
	v_mov_b32_e32 v24, 0
	s_waitcnt lgkmcnt(1)
	v_add_u32_e32 v5, v4, v5
	s_waitcnt lgkmcnt(0)
	v_add_u32_e32 v8, v6, v8
	v_cndmask_b32_e32 v6, v8, v6, vcc
	v_cndmask_b32_e32 v4, v5, v4, vcc
	v_cmp_gt_u32_e32 vcc, 48, v73
	v_cndmask_b32_e64 v5, 0, 16, vcc
	v_add_lshl_u32 v81, v5, v63, 2
	ds_bpermute_b32 v5, v81, v4
	ds_bpermute_b32 v8, v81, v6
	v_cmp_gt_u32_e32 vcc, v82, v3
	s_waitcnt lgkmcnt(1)
	v_add_u32_e32 v5, v4, v5
	s_waitcnt lgkmcnt(0)
	v_add_u32_e32 v8, v6, v8
	v_cndmask_b32_e32 v4, v5, v4, vcc
	v_mov_b32_e32 v5, 0x80
	v_cndmask_b32_e32 v6, v8, v6, vcc
	v_lshl_or_b32 v83, v63, 2, v5
	ds_bpermute_b32 v5, v83, v4
	ds_bpermute_b32 v8, v83, v6
	v_cmp_le_u32_e32 vcc, v84, v3
	s_waitcnt lgkmcnt(1)
	v_cndmask_b32_e32 v3, 0, v5, vcc
	s_waitcnt lgkmcnt(0)
	v_cndmask_b32_e32 v5, 0, v8, vcc
	v_add_u32_e32 v6, v6, v5
	v_add_u32_e32 v5, v4, v3
	s_branch .LBB540_128
.LBB540_125:                            ;   in Loop: Header=BB540_128 Depth=1
	s_or_b64 exec, exec, s[16:17]
.LBB540_126:                            ;   in Loop: Header=BB540_128 Depth=1
	s_or_b64 exec, exec, s[14:15]
	v_cmp_eq_u16_sdwa s[14:15], v7, v72 src0_sel:BYTE_0 src1_sel:DWORD
	v_and_b32_e32 v8, s15, v26
	ds_bpermute_b32 v28, v74, v5
	ds_bpermute_b32 v85, v74, v6
	v_or_b32_e32 v8, 0x80000000, v8
	v_and_b32_e32 v27, s14, v25
	v_ffbl_b32_e32 v8, v8
	v_add_u32_e32 v8, 32, v8
	v_ffbl_b32_e32 v27, v27
	v_min_u32_e32 v8, v27, v8
	s_waitcnt lgkmcnt(1)
	v_add_u32_e32 v27, v28, v5
	s_waitcnt lgkmcnt(0)
	v_add_u32_e32 v28, v85, v6
	v_cmp_lt_u32_e32 vcc, v73, v8
	v_cndmask_b32_e32 v6, v6, v28, vcc
	v_cndmask_b32_e32 v5, v5, v27, vcc
	ds_bpermute_b32 v27, v75, v5
	ds_bpermute_b32 v28, v75, v6
	v_cmp_gt_u32_e32 vcc, v76, v8
	v_subrev_u32_e32 v23, 64, v23
	s_mov_b64 s[14:15], 0
	s_waitcnt lgkmcnt(1)
	v_add_u32_e32 v27, v5, v27
	s_waitcnt lgkmcnt(0)
	v_add_u32_e32 v28, v6, v28
	v_cndmask_b32_e32 v6, v28, v6, vcc
	v_cndmask_b32_e32 v5, v27, v5, vcc
	ds_bpermute_b32 v27, v77, v5
	ds_bpermute_b32 v28, v77, v6
	v_cmp_gt_u32_e32 vcc, v78, v8
	s_waitcnt lgkmcnt(1)
	v_add_u32_e32 v27, v5, v27
	s_waitcnt lgkmcnt(0)
	v_add_u32_e32 v28, v6, v28
	v_cndmask_b32_e32 v6, v28, v6, vcc
	v_cndmask_b32_e32 v5, v27, v5, vcc
	ds_bpermute_b32 v27, v79, v5
	ds_bpermute_b32 v28, v79, v6
	v_cmp_gt_u32_e32 vcc, v80, v8
	;; [unrolled: 9-line block ×3, first 2 shown]
	s_waitcnt lgkmcnt(1)
	v_add_u32_e32 v27, v5, v27
	s_waitcnt lgkmcnt(0)
	v_add_u32_e32 v28, v6, v28
	v_cndmask_b32_e32 v6, v28, v6, vcc
	v_cndmask_b32_e32 v5, v27, v5, vcc
	ds_bpermute_b32 v27, v83, v5
	ds_bpermute_b32 v28, v83, v6
	v_cmp_le_u32_e32 vcc, v84, v8
	s_waitcnt lgkmcnt(1)
	v_cndmask_b32_e32 v8, 0, v27, vcc
	s_waitcnt lgkmcnt(0)
	v_cndmask_b32_e32 v27, 0, v28, vcc
	v_add3_u32 v6, v27, v4, v6
	v_add3_u32 v5, v8, v3, v5
.LBB540_127:                            ;   in Loop: Header=BB540_128 Depth=1
	s_and_b64 vcc, exec, s[14:15]
	s_cbranch_vccnz .LBB540_133
.LBB540_128:                            ; =>This Loop Header: Depth=1
                                        ;     Child Loop BB540_131 Depth 2
	v_mov_b32_e32 v3, v5
	v_cmp_ne_u16_sdwa s[14:15], v7, v72 src0_sel:BYTE_0 src1_sel:DWORD
	v_mov_b32_e32 v4, v6
	s_cmp_lg_u64 s[14:15], exec
	s_mov_b64 s[14:15], -1
                                        ; implicit-def: $vgpr7
                                        ; implicit-def: $vgpr5_vgpr6
	s_cbranch_scc1 .LBB540_127
; %bb.129:                              ;   in Loop: Header=BB540_128 Depth=1
	v_lshlrev_b64 v[5:6], 4, v[23:24]
	v_mov_b32_e32 v7, s13
	v_add_co_u32_e32 v27, vcc, s12, v5
	v_addc_co_u32_e32 v28, vcc, v7, v6, vcc
	;;#ASMSTART
	global_load_dwordx4 v[5:8], v[27:28] off glc	
s_waitcnt vmcnt(0)
	;;#ASMEND
	v_cmp_eq_u16_sdwa s[16:17], v7, v24 src0_sel:BYTE_0 src1_sel:DWORD
	s_and_saveexec_b64 s[14:15], s[16:17]
	s_cbranch_execz .LBB540_126
; %bb.130:                              ;   in Loop: Header=BB540_128 Depth=1
	s_mov_b64 s[16:17], 0
.LBB540_131:                            ;   Parent Loop BB540_128 Depth=1
                                        ; =>  This Inner Loop Header: Depth=2
	;;#ASMSTART
	global_load_dwordx4 v[5:8], v[27:28] off glc	
s_waitcnt vmcnt(0)
	;;#ASMEND
	v_cmp_ne_u16_sdwa s[20:21], v7, v24 src0_sel:BYTE_0 src1_sel:DWORD
	s_or_b64 s[16:17], s[20:21], s[16:17]
	s_andn2_b64 exec, exec, s[16:17]
	s_cbranch_execnz .LBB540_131
	s_branch .LBB540_125
.LBB540_132:
                                        ; implicit-def: $vgpr22
                                        ; implicit-def: $vgpr3
                                        ; implicit-def: $vgpr23
	s_cbranch_execnz .LBB540_138
	s_branch .LBB540_147
.LBB540_133:
	s_and_saveexec_b64 s[14:15], s[8:9]
	s_cbranch_execnz .LBB540_375
; %bb.134:
	s_or_b64 exec, exec, s[14:15]
	s_and_saveexec_b64 s[6:7], s[8:9]
	s_cbranch_execnz .LBB540_376
.LBB540_135:
	s_or_b64 exec, exec, s[6:7]
	v_cmp_eq_u32_e32 vcc, 0, v0
	s_and_b64 exec, exec, vcc
.LBB540_136:
	v_mov_b32_e32 v1, 0
	ds_write_b64 v1, v[3:4] offset:24
.LBB540_137:
	s_or_b64 exec, exec, s[10:11]
	v_mov_b32_e32 v1, 0
	s_waitcnt lgkmcnt(0)
	s_barrier
	ds_read_b64 v[5:6], v1 offset:24
	v_cndmask_b32_e64 v2, v71, v22, s[8:9]
	v_cndmask_b32_e64 v3, v70, v21, s[8:9]
	s_waitcnt lgkmcnt(0)
	s_barrier
	v_add_u32_e32 v7, v5, v3
	v_add_u32_e32 v8, v6, v2
	ds_read_b128 v[1:4], v1 offset:13312
	v_cmp_eq_u32_e32 vcc, 0, v0
	v_cndmask_b32_e32 v22, v8, v6, vcc
	v_cndmask_b32_e32 v23, v7, v5, vcc
	s_branch .LBB540_147
.LBB540_138:
	s_waitcnt lgkmcnt(0)
	v_mov_b32_dpp v1, v68 row_shr:1 row_mask:0xf bank_mask:0xf
	v_mov_b32_dpp v2, v69 row_shr:1 row_mask:0xf bank_mask:0xf
	v_add_u32_e32 v1, v1, v68
	v_add_u32_e32 v2, v2, v69
	v_cndmask_b32_e64 v2, v2, v69, s[4:5]
	v_cndmask_b32_e64 v1, v1, v68, s[4:5]
	v_cmp_lt_u32_e32 vcc, 3, v67
	v_mov_b32_dpp v4, v2 row_shr:2 row_mask:0xf bank_mask:0xf
	v_mov_b32_dpp v3, v1 row_shr:2 row_mask:0xf bank_mask:0xf
	v_add_u32_e32 v3, v1, v3
	v_add_u32_e32 v4, v2, v4
	v_cndmask_b32_e64 v2, v2, v4, s[2:3]
	v_cndmask_b32_e64 v1, v1, v3, s[2:3]
	v_cmp_eq_u32_e64 s[2:3], v0, v65
	v_mov_b32_dpp v4, v2 row_shr:4 row_mask:0xf bank_mask:0xf
	v_mov_b32_dpp v3, v1 row_shr:4 row_mask:0xf bank_mask:0xf
	v_add_u32_e32 v3, v1, v3
	v_add_u32_e32 v4, v2, v4
	v_cndmask_b32_e32 v2, v2, v4, vcc
	v_cndmask_b32_e32 v1, v1, v3, vcc
	v_cmp_lt_u32_e32 vcc, 7, v67
	v_mov_b32_dpp v4, v2 row_shr:8 row_mask:0xf bank_mask:0xf
	v_mov_b32_dpp v3, v1 row_shr:8 row_mask:0xf bank_mask:0xf
	v_add_u32_e32 v3, v1, v3
	v_add_u32_e32 v4, v2, v4
	v_cndmask_b32_e32 v2, v2, v4, vcc
	v_cndmask_b32_e32 v3, v1, v3, vcc
	v_cmp_eq_u32_e32 vcc, 0, v66
	v_mov_b32_dpp v4, v2 row_bcast:15 row_mask:0xf bank_mask:0xf
	v_mov_b32_dpp v1, v3 row_bcast:15 row_mask:0xf bank_mask:0xf
	v_add_u32_e32 v5, v3, v1
	v_add_u32_e32 v1, v2, v4
	v_cndmask_b32_e32 v1, v1, v2, vcc
	v_cndmask_b32_e32 v2, v5, v3, vcc
	v_cmp_lt_u32_e32 vcc, 31, v63
	v_mov_b32_dpp v3, v1 row_bcast:31 row_mask:0xf bank_mask:0xf
	v_mov_b32_dpp v4, v2 row_bcast:31 row_mask:0xf bank_mask:0xf
	v_add_u32_e32 v3, v1, v3
	v_add_u32_e32 v4, v2, v4
	s_and_saveexec_b64 s[4:5], s[2:3]
; %bb.139:
	v_cndmask_b32_e32 v5, v2, v4, vcc
	v_cndmask_b32_e32 v6, v1, v3, vcc
	v_lshlrev_b32_e32 v7, 3, v64
	ds_write_b64 v7, v[5:6]
; %bb.140:
	s_or_b64 exec, exec, s[4:5]
	v_cmp_gt_u32_e64 s[2:3], 4, v0
	s_waitcnt lgkmcnt(0)
	s_barrier
	s_and_saveexec_b64 s[4:5], s[2:3]
	s_cbranch_execz .LBB540_142
; %bb.141:
	v_lshlrev_b32_e32 v7, 3, v0
	ds_read_b64 v[5:6], v7
	v_and_b32_e32 v8, 3, v63
	v_cmp_eq_u32_e64 s[2:3], 0, v8
	s_waitcnt lgkmcnt(0)
	v_mov_b32_dpp v21, v5 row_shr:1 row_mask:0xf bank_mask:0xf
	v_mov_b32_dpp v22, v6 row_shr:1 row_mask:0xf bank_mask:0xf
	v_add_u32_e32 v21, v21, v5
	v_add_u32_e32 v22, v22, v6
	v_cndmask_b32_e64 v6, v22, v6, s[2:3]
	v_cndmask_b32_e64 v5, v21, v5, s[2:3]
	v_cmp_lt_u32_e64 s[2:3], 1, v8
	v_mov_b32_dpp v22, v6 row_shr:2 row_mask:0xf bank_mask:0xf
	v_mov_b32_dpp v21, v5 row_shr:2 row_mask:0xf bank_mask:0xf
	v_cndmask_b32_e64 v8, 0, v21, s[2:3]
	v_cndmask_b32_e64 v21, 0, v22, s[2:3]
	v_add_u32_e32 v6, v21, v6
	v_add_u32_e32 v5, v8, v5
	ds_write_b64 v7, v[5:6]
.LBB540_142:
	s_or_b64 exec, exec, s[4:5]
	v_cmp_lt_u32_e64 s[2:3], 63, v0
	v_mov_b32_e32 v7, 0
	v_mov_b32_e32 v5, 0
	v_mov_b32_e32 v6, 0
	s_waitcnt lgkmcnt(0)
	s_barrier
	s_and_saveexec_b64 s[4:5], s[2:3]
; %bb.143:
	v_lshl_add_u32 v5, v64, 3, -8
	ds_read_b64 v[5:6], v5
; %bb.144:
	s_or_b64 exec, exec, s[4:5]
	v_cndmask_b32_e32 v2, v2, v4, vcc
	v_cndmask_b32_e32 v1, v1, v3, vcc
	v_subrev_co_u32_e32 v3, vcc, 1, v63
	v_and_b32_e32 v4, 64, v63
	v_cmp_lt_i32_e64 s[2:3], v3, v4
	v_cndmask_b32_e64 v3, v3, v63, s[2:3]
	s_waitcnt lgkmcnt(0)
	v_add_u32_e32 v1, v6, v1
	v_add_u32_e32 v2, v5, v2
	v_lshlrev_b32_e32 v3, 2, v3
	ds_bpermute_b32 v8, v3, v2
	ds_bpermute_b32 v21, v3, v1
	ds_read_b64 v[1:2], v7 offset:24
	v_cmp_eq_u32_e64 s[2:3], 0, v0
	s_and_saveexec_b64 s[4:5], s[2:3]
	s_cbranch_execz .LBB540_146
; %bb.145:
	s_add_u32 s6, s12, 0x400
	s_addc_u32 s7, s13, 0
	v_mov_b32_e32 v23, s7
	v_mov_b32_e32 v3, 2
	;; [unrolled: 1-line block ×4, first 2 shown]
	s_waitcnt lgkmcnt(0)
	;;#ASMSTART
	global_store_dwordx4 v[22:23], v[1:4] off	
s_waitcnt vmcnt(0)
	;;#ASMEND
.LBB540_146:
	s_or_b64 exec, exec, s[4:5]
	s_waitcnt lgkmcnt(2)
	v_cndmask_b32_e32 v3, v8, v5, vcc
	s_waitcnt lgkmcnt(1)
	v_cndmask_b32_e32 v4, v21, v6, vcc
	v_cndmask_b32_e64 v22, v4, 0, s[2:3]
	v_cndmask_b32_e64 v23, v3, 0, s[2:3]
	v_mov_b32_e32 v4, 0
	v_mov_b32_e32 v3, 0
	s_waitcnt lgkmcnt(0)
	s_barrier
.LBB540_147:
	v_mov_b32_e32 v6, s49
	s_waitcnt lgkmcnt(0)
	v_add_co_u32_e32 v5, vcc, s48, v3
	v_addc_co_u32_e32 v6, vcc, 0, v6, vcc
	v_mov_b32_e32 v27, s51
	v_sub_co_u32_e32 v28, vcc, s50, v1
	v_subbrev_co_u32_e32 v69, vcc, 0, v27, vcc
	v_add_co_u32_e32 v27, vcc, v28, v4
	v_add_u32_e32 v49, v22, v49
	v_addc_co_u32_e32 v28, vcc, 0, v69, vcc
	v_lshlrev_b32_e32 v69, 1, v1
	v_sub_u32_e32 v22, v22, v4
	v_lshrrev_b32_e32 v26, 8, v37
	v_add_u32_e32 v48, v23, v48
	v_add_u32_e32 v70, v69, v2
	v_sub_u32_e32 v23, v23, v3
	v_add_u32_e32 v22, v22, v1
	v_add_u32_e32 v30, v70, v30
	v_and_b32_e32 v26, 1, v26
	v_add_u32_e32 v71, v23, v22
	v_and_b32_e32 v70, 1, v31
	v_sub_u32_e32 v71, v30, v71
	v_cmp_eq_u32_e32 vcc, 1, v26
	v_cndmask_b32_e32 v22, v71, v22, vcc
	v_cmp_eq_u32_e32 vcc, 1, v70
	v_cndmask_b32_e32 v22, v22, v23, vcc
	v_lshlrev_b32_e32 v22, 2, v22
	v_sub_u32_e32 v23, v49, v4
	v_lshrrev_b32_e32 v25, 8, v31
	ds_write_b32 v22, v19
	v_sub_u32_e32 v19, v48, v3
	v_add_u32_e32 v23, v23, v1
	v_add_u32_e32 v45, v48, v45
	v_and_b32_e32 v22, 1, v25
	v_mov_b32_e32 v25, 1
	v_add_u32_e32 v48, v23, v19
	v_and_b32_sdwa v26, v25, v37 dst_sel:DWORD dst_unused:UNUSED_PAD src0_sel:DWORD src1_sel:WORD_1
	v_sub_u32_e32 v48, v30, v48
	v_add_u32_e32 v48, 1, v48
	v_cmp_eq_u32_e32 vcc, 1, v26
	v_cndmask_b32_e32 v23, v48, v23, vcc
	v_cmp_eq_u32_e32 vcc, 1, v22
	v_add_u32_e32 v57, v49, v57
	v_cndmask_b32_e32 v19, v23, v19, vcc
	v_lshlrev_b32_e32 v19, 2, v19
	v_sub_u32_e32 v22, v57, v4
	ds_write_b32 v19, v20
	v_sub_u32_e32 v19, v45, v3
	v_add_u32_e32 v22, v22, v1
	v_add_u32_e32 v26, v22, v19
	v_and_b32_e32 v23, 1, v44
	v_sub_u32_e32 v26, v30, v26
	v_and_b32_sdwa v20, v25, v31 dst_sel:DWORD dst_unused:UNUSED_PAD src0_sel:DWORD src1_sel:WORD_1
	v_add_u32_e32 v26, 2, v26
	v_cmp_eq_u32_e32 vcc, 1, v23
	v_cndmask_b32_e32 v22, v26, v22, vcc
	v_cmp_eq_u32_e32 vcc, 1, v20
	v_add_u32_e32 v63, v57, v44
	v_cndmask_b32_e32 v19, v22, v19, vcc
	v_add_u32_e32 v50, v45, v50
	v_lshlrev_b32_e32 v19, 2, v19
	v_sub_u32_e32 v20, v63, v4
	ds_write_b32 v19, v17
	v_sub_u32_e32 v17, v50, v3
	v_add_u32_e32 v20, v20, v1
	v_add_u32_e32 v23, v17, v20
	v_and_b32_e32 v22, 1, v32
	v_sub_u32_e32 v23, v30, v23
	v_and_b32_e32 v19, 1, v43
	v_add_u32_e32 v23, 3, v23
	v_cmp_eq_u32_e32 vcc, 1, v22
	v_cndmask_b32_e32 v20, v23, v20, vcc
	v_cmp_eq_u32_e32 vcc, 1, v19
	v_add_u32_e32 v58, v63, v58
	v_cndmask_b32_e32 v17, v20, v17, vcc
	v_add_u32_e32 v64, v50, v43
	v_lshlrev_b32_e32 v17, 2, v17
	v_sub_u32_e32 v19, v58, v4
	ds_write_b32 v17, v18
	v_sub_u32_e32 v17, v64, v3
	v_add_u32_e32 v19, v19, v1
	v_lshrrev_b32_e32 v24, 8, v32
	v_add_u32_e32 v22, v17, v19
	v_and_b32_e32 v20, 1, v24
	v_sub_u32_e32 v22, v30, v22
	v_and_b32_e32 v18, 1, v33
	v_add_u32_e32 v22, 4, v22
	v_cmp_eq_u32_e32 vcc, 1, v20
	v_cndmask_b32_e32 v19, v22, v19, vcc
	v_cmp_eq_u32_e32 vcc, 1, v18
	v_add_u32_e32 v52, v58, v52
	v_cndmask_b32_e32 v17, v19, v17, vcc
	v_add_u32_e32 v51, v64, v51
	v_lshlrev_b32_e32 v17, 2, v17
	v_sub_u32_e32 v18, v52, v4
	ds_write_b32 v17, v15
	v_sub_u32_e32 v15, v51, v3
	v_add_u32_e32 v18, v18, v1
	v_add_u32_e32 v20, v15, v18
	v_lshrrev_b32_e32 v21, 8, v33
	v_and_b32_sdwa v19, v25, v32 dst_sel:DWORD dst_unused:UNUSED_PAD src0_sel:DWORD src1_sel:WORD_1
	v_sub_u32_e32 v20, v30, v20
	v_and_b32_e32 v17, 1, v21
	v_add_u32_e32 v20, 5, v20
	v_cmp_eq_u32_e32 vcc, 1, v19
	v_cndmask_b32_e32 v18, v20, v18, vcc
	v_cmp_eq_u32_e32 vcc, 1, v17
	v_add_u32_e32 v59, v52, v59
	v_cndmask_b32_e32 v15, v18, v15, vcc
	v_add_u32_e32 v46, v51, v46
	v_lshlrev_b32_e32 v15, 2, v15
	v_sub_u32_e32 v17, v59, v4
	ds_write_b32 v15, v16
	v_sub_u32_e32 v15, v46, v3
	v_add_u32_e32 v17, v17, v1
	v_add_u32_e32 v19, v15, v17
	v_and_b32_e32 v18, 1, v42
	v_sub_u32_e32 v19, v30, v19
	v_and_b32_sdwa v16, v25, v33 dst_sel:DWORD dst_unused:UNUSED_PAD src0_sel:DWORD src1_sel:WORD_1
	v_add_u32_e32 v19, 6, v19
	v_cmp_eq_u32_e32 vcc, 1, v18
	v_cndmask_b32_e32 v17, v19, v17, vcc
	v_cmp_eq_u32_e32 vcc, 1, v16
	v_add_u32_e32 v65, v59, v42
	v_cndmask_b32_e32 v15, v17, v15, vcc
	v_add_u32_e32 v53, v46, v53
	v_lshlrev_b32_e32 v15, 2, v15
	v_sub_u32_e32 v16, v65, v4
	ds_write_b32 v15, v13
	v_sub_u32_e32 v13, v53, v3
	v_add_u32_e32 v16, v16, v1
	v_add_u32_e32 v18, v13, v16
	v_and_b32_e32 v17, 1, v34
	v_sub_u32_e32 v18, v30, v18
	v_and_b32_e32 v15, 1, v41
	v_add_u32_e32 v18, 7, v18
	v_cmp_eq_u32_e32 vcc, 1, v17
	v_cndmask_b32_e32 v16, v18, v16, vcc
	v_cmp_eq_u32_e32 vcc, 1, v15
	v_add_u32_e32 v60, v65, v60
	v_cndmask_b32_e32 v13, v16, v13, vcc
	v_add_u32_e32 v66, v53, v41
	v_lshlrev_b32_e32 v13, 2, v13
	v_sub_u32_e32 v15, v60, v4
	ds_write_b32 v13, v14
	v_sub_u32_e32 v13, v66, v3
	v_add_u32_e32 v15, v15, v1
	v_lshrrev_b32_e32 v8, 8, v34
	v_add_u32_e32 v16, v13, v15
	v_and_b32_e32 v8, 1, v8
	v_sub_u32_e32 v16, v30, v16
	v_and_b32_e32 v14, 1, v36
	v_add_u32_e32 v16, 8, v16
	v_cmp_eq_u32_e32 vcc, 1, v8
	v_cndmask_b32_e32 v8, v16, v15, vcc
	v_cmp_eq_u32_e32 vcc, 1, v14
	v_cndmask_b32_e32 v8, v8, v13, vcc
	v_add_u32_e32 v55, v60, v55
	v_lshlrev_b32_e32 v8, 2, v8
	v_add_u32_e32 v54, v66, v54
	ds_write_b32 v8, v11
	v_sub_u32_e32 v11, v55, v4
	v_sub_u32_e32 v8, v54, v3
	v_add_u32_e32 v11, v11, v1
	v_add_u32_e32 v14, v8, v11
	v_lshrrev_b32_e32 v7, 8, v36
	v_and_b32_sdwa v13, v25, v34 dst_sel:DWORD dst_unused:UNUSED_PAD src0_sel:DWORD src1_sel:WORD_1
	v_sub_u32_e32 v14, v30, v14
	v_and_b32_e32 v7, 1, v7
	v_add_u32_e32 v14, 9, v14
	v_cmp_eq_u32_e32 vcc, 1, v13
	v_cndmask_b32_e32 v11, v14, v11, vcc
	v_cmp_eq_u32_e32 vcc, 1, v7
	v_add_u32_e32 v61, v55, v61
	v_cndmask_b32_e32 v7, v11, v8, vcc
	v_add_u32_e32 v47, v54, v47
	v_lshlrev_b32_e32 v7, 2, v7
	v_sub_u32_e32 v11, v61, v4
	ds_write_b32 v7, v12
	v_sub_u32_e32 v7, v47, v3
	v_add_u32_e32 v11, v11, v1
	v_add_u32_e32 v13, v7, v11
	v_and_b32_e32 v12, 1, v40
	v_sub_u32_e32 v13, v30, v13
	v_and_b32_sdwa v8, v25, v36 dst_sel:DWORD dst_unused:UNUSED_PAD src0_sel:DWORD src1_sel:WORD_1
	v_add_u32_e32 v13, 10, v13
	v_cmp_eq_u32_e32 vcc, 1, v12
	v_cndmask_b32_e32 v11, v13, v11, vcc
	v_cmp_eq_u32_e32 vcc, 1, v8
	v_cndmask_b32_e32 v7, v11, v7, vcc
	v_add_u32_e32 v67, v61, v40
	v_lshlrev_b32_e32 v7, 2, v7
	v_add_u32_e32 v56, v47, v56
	ds_write_b32 v7, v9
	v_sub_u32_e32 v9, v67, v4
	v_sub_u32_e32 v7, v56, v3
	v_add_u32_e32 v9, v9, v1
	v_add_u32_e32 v12, v7, v9
	v_and_b32_e32 v11, 1, v35
	v_sub_u32_e32 v12, v30, v12
	v_and_b32_e32 v8, 1, v39
	v_add_u32_e32 v12, 11, v12
	v_cmp_eq_u32_e32 vcc, 1, v11
	v_add_u32_e32 v62, v67, v62
	v_cndmask_b32_e32 v9, v12, v9, vcc
	v_cmp_eq_u32_e32 vcc, 1, v8
	v_add_u32_e32 v68, v56, v39
	v_cndmask_b32_e32 v7, v9, v7, vcc
	v_sub_u32_e32 v8, v62, v4
	v_lshlrev_b32_e32 v7, 2, v7
	v_sub_u32_e32 v3, v68, v3
	v_add_u32_e32 v8, v8, v1
	ds_write_b32 v7, v10
	v_add_u32_e32 v10, v3, v8
	v_and_b32_e32 v9, 1, v38
	v_sub_u32_e32 v10, v30, v10
	v_and_b32_e32 v7, 1, v37
	v_add_u32_e32 v10, 12, v10
	v_cmp_eq_u32_e32 vcc, 1, v9
	v_cndmask_b32_e32 v8, v10, v8, vcc
	v_cmp_eq_u32_e32 vcc, 1, v7
	v_cndmask_b32_e32 v3, v8, v3, vcc
	v_lshlrev_b32_e32 v3, 2, v3
	ds_write_b32 v3, v29
	v_add_co_u32_e32 v3, vcc, v2, v69
	v_addc_co_u32_e64 v7, s[2:3], 0, 0, vcc
	v_add_co_u32_e32 v3, vcc, v3, v27
	v_addc_co_u32_e32 v7, vcc, v7, v28, vcc
	s_add_u32 s4, s56, s33
	v_add_co_u32_e32 v3, vcc, v3, v5
	s_addc_u32 s5, s57, 0
	v_addc_co_u32_e32 v7, vcc, v7, v6, vcc
	v_mov_b32_e32 v8, s5
	v_sub_co_u32_e32 v3, vcc, s4, v3
	v_subb_co_u32_e32 v11, vcc, v8, v7, vcc
	v_lshlrev_b64 v[7:8], 2, v[27:28]
	v_mov_b32_e32 v9, s55
	v_add_co_u32_e32 v7, vcc, s54, v7
	v_addc_co_u32_e32 v8, vcc, v9, v8, vcc
	v_lshlrev_b64 v[9:10], 2, v[5:6]
	v_mov_b32_e32 v13, s53
	v_add_co_u32_e32 v9, vcc, s52, v9
	v_addc_co_u32_e32 v10, vcc, v13, v10, vcc
	v_add_u32_e32 v12, v1, v2
	s_and_b64 vcc, exec, s[0:1]
	s_mov_b64 s[0:1], -1
	s_waitcnt lgkmcnt(0)
	s_barrier
	s_cbranch_vccz .LBB540_151
; %bb.148:
	s_and_b64 vcc, exec, s[0:1]
	s_cbranch_vccnz .LBB540_256
.LBB540_149:
	v_cmp_eq_u32_e32 vcc, 0, v0
	s_and_b64 s[0:1], vcc, s[34:35]
	s_and_saveexec_b64 s[2:3], s[0:1]
	s_cbranch_execnz .LBB540_374
.LBB540_150:
	s_endpgm
.LBB540_151:
	v_cmp_ge_u32_e32 vcc, v0, v1
	s_and_saveexec_b64 s[0:1], vcc
	s_xor_b64 s[0:1], exec, s[0:1]
	s_cbranch_execz .LBB540_157
; %bb.152:
	v_cmp_ge_u32_e32 vcc, v0, v12
	s_and_saveexec_b64 s[2:3], vcc
	s_xor_b64 s[2:3], exec, s[2:3]
	s_cbranch_execz .LBB540_154
; %bb.153:
	v_add_co_u32_e32 v13, vcc, v3, v0
	v_lshlrev_b32_e32 v15, 2, v0
	v_addc_co_u32_e32 v14, vcc, 0, v11, vcc
	ds_read_b32 v15, v15
	v_lshlrev_b64 v[13:14], 2, v[13:14]
	v_mov_b32_e32 v16, s47
	v_sub_co_u32_e32 v13, vcc, s46, v13
	v_subb_co_u32_e32 v14, vcc, v16, v14, vcc
	s_waitcnt lgkmcnt(0)
	global_store_dword v[13:14], v15, off offset:-4
.LBB540_154:
	s_andn2_saveexec_b64 s[2:3], s[2:3]
	s_cbranch_execz .LBB540_156
; %bb.155:
	v_lshlrev_b32_e32 v13, 2, v0
	ds_read_b32 v14, v13
	v_readfirstlane_b32 s4, v7
	v_readfirstlane_b32 s5, v8
	s_waitcnt lgkmcnt(0)
	s_nop 3
	global_store_dword v13, v14, s[4:5]
.LBB540_156:
	s_or_b64 exec, exec, s[2:3]
.LBB540_157:
	s_andn2_saveexec_b64 s[0:1], s[0:1]
	s_cbranch_execz .LBB540_159
; %bb.158:
	v_lshlrev_b32_e32 v13, 2, v0
	ds_read_b32 v14, v13
	v_readfirstlane_b32 s2, v9
	v_readfirstlane_b32 s3, v10
	s_waitcnt lgkmcnt(0)
	s_nop 3
	global_store_dword v13, v14, s[2:3]
.LBB540_159:
	s_or_b64 exec, exec, s[0:1]
	v_or_b32_e32 v13, 0x100, v0
	v_cmp_ge_u32_e32 vcc, v13, v1
	s_and_saveexec_b64 s[0:1], vcc
	s_xor_b64 s[0:1], exec, s[0:1]
	s_cbranch_execz .LBB540_165
; %bb.160:
	v_cmp_ge_u32_e32 vcc, v13, v12
	s_and_saveexec_b64 s[2:3], vcc
	s_xor_b64 s[2:3], exec, s[2:3]
	s_cbranch_execz .LBB540_162
; %bb.161:
	v_lshlrev_b32_e32 v13, 2, v0
	ds_read_b32 v15, v13 offset:1024
	v_add_co_u32_e32 v13, vcc, v3, v0
	v_addc_co_u32_e32 v14, vcc, 0, v11, vcc
	v_lshlrev_b64 v[13:14], 2, v[13:14]
	v_mov_b32_e32 v16, s47
	v_sub_co_u32_e32 v13, vcc, s46, v13
	v_subb_co_u32_e32 v14, vcc, v16, v14, vcc
	s_waitcnt lgkmcnt(0)
	global_store_dword v[13:14], v15, off offset:-1028
.LBB540_162:
	s_andn2_saveexec_b64 s[2:3], s[2:3]
	s_cbranch_execz .LBB540_164
; %bb.163:
	v_lshlrev_b32_e32 v13, 2, v0
	ds_read_b32 v14, v13 offset:1024
	v_readfirstlane_b32 s4, v7
	v_readfirstlane_b32 s5, v8
	s_waitcnt lgkmcnt(0)
	s_nop 3
	global_store_dword v13, v14, s[4:5] offset:1024
.LBB540_164:
	s_or_b64 exec, exec, s[2:3]
.LBB540_165:
	s_andn2_saveexec_b64 s[0:1], s[0:1]
	s_cbranch_execz .LBB540_167
; %bb.166:
	v_lshlrev_b32_e32 v13, 2, v0
	ds_read_b32 v14, v13 offset:1024
	v_readfirstlane_b32 s2, v9
	v_readfirstlane_b32 s3, v10
	s_waitcnt lgkmcnt(0)
	s_nop 3
	global_store_dword v13, v14, s[2:3] offset:1024
.LBB540_167:
	s_or_b64 exec, exec, s[0:1]
	v_or_b32_e32 v13, 0x200, v0
	v_cmp_ge_u32_e32 vcc, v13, v1
	s_and_saveexec_b64 s[0:1], vcc
	s_xor_b64 s[0:1], exec, s[0:1]
	s_cbranch_execz .LBB540_173
; %bb.168:
	v_cmp_ge_u32_e32 vcc, v13, v12
	s_and_saveexec_b64 s[2:3], vcc
	s_xor_b64 s[2:3], exec, s[2:3]
	s_cbranch_execz .LBB540_170
; %bb.169:
	v_lshlrev_b32_e32 v13, 2, v0
	ds_read_b32 v15, v13 offset:2048
	v_add_co_u32_e32 v13, vcc, v3, v0
	v_addc_co_u32_e32 v14, vcc, 0, v11, vcc
	v_lshlrev_b64 v[13:14], 2, v[13:14]
	v_mov_b32_e32 v16, s47
	v_sub_co_u32_e32 v13, vcc, s46, v13
	v_subb_co_u32_e32 v14, vcc, v16, v14, vcc
	s_waitcnt lgkmcnt(0)
	global_store_dword v[13:14], v15, off offset:-2052
.LBB540_170:
	s_andn2_saveexec_b64 s[2:3], s[2:3]
	s_cbranch_execz .LBB540_172
; %bb.171:
	v_lshlrev_b32_e32 v13, 2, v0
	ds_read_b32 v14, v13 offset:2048
	v_readfirstlane_b32 s4, v7
	v_readfirstlane_b32 s5, v8
	s_waitcnt lgkmcnt(0)
	s_nop 3
	global_store_dword v13, v14, s[4:5] offset:2048
.LBB540_172:
	s_or_b64 exec, exec, s[2:3]
.LBB540_173:
	s_andn2_saveexec_b64 s[0:1], s[0:1]
	s_cbranch_execz .LBB540_175
; %bb.174:
	v_lshlrev_b32_e32 v13, 2, v0
	ds_read_b32 v14, v13 offset:2048
	v_readfirstlane_b32 s2, v9
	v_readfirstlane_b32 s3, v10
	s_waitcnt lgkmcnt(0)
	s_nop 3
	global_store_dword v13, v14, s[2:3] offset:2048
.LBB540_175:
	;; [unrolled: 47-line block ×3, first 2 shown]
	s_or_b64 exec, exec, s[0:1]
	v_or_b32_e32 v13, 0x400, v0
	v_cmp_ge_u32_e32 vcc, v13, v1
	s_and_saveexec_b64 s[0:1], vcc
	s_xor_b64 s[0:1], exec, s[0:1]
	s_cbranch_execz .LBB540_189
; %bb.184:
	v_cmp_ge_u32_e32 vcc, v13, v12
	s_and_saveexec_b64 s[2:3], vcc
	s_xor_b64 s[2:3], exec, s[2:3]
	s_cbranch_execz .LBB540_186
; %bb.185:
	v_lshlrev_b32_e32 v13, 2, v0
	ds_read_b32 v15, v13 offset:4096
	v_add_co_u32_e32 v13, vcc, v3, v0
	v_addc_co_u32_e32 v14, vcc, 0, v11, vcc
	v_lshlrev_b64 v[13:14], 2, v[13:14]
	v_mov_b32_e32 v16, s47
	v_sub_co_u32_e32 v13, vcc, s46, v13
	v_subb_co_u32_e32 v14, vcc, v16, v14, vcc
	v_add_co_u32_e32 v13, vcc, 0xfffff000, v13
	v_addc_co_u32_e32 v14, vcc, -1, v14, vcc
	s_waitcnt lgkmcnt(0)
	global_store_dword v[13:14], v15, off offset:-4
                                        ; implicit-def: $vgpr13
.LBB540_186:
	s_andn2_saveexec_b64 s[2:3], s[2:3]
	s_cbranch_execz .LBB540_188
; %bb.187:
	v_lshlrev_b32_e32 v14, 2, v0
	ds_read_b32 v14, v14 offset:4096
	v_lshlrev_b32_e32 v13, 2, v13
	v_readfirstlane_b32 s4, v7
	v_readfirstlane_b32 s5, v8
	s_waitcnt lgkmcnt(0)
	s_nop 3
	global_store_dword v13, v14, s[4:5]
.LBB540_188:
	s_or_b64 exec, exec, s[2:3]
                                        ; implicit-def: $vgpr13
.LBB540_189:
	s_andn2_saveexec_b64 s[0:1], s[0:1]
	s_cbranch_execz .LBB540_191
; %bb.190:
	v_lshlrev_b32_e32 v14, 2, v0
	ds_read_b32 v14, v14 offset:4096
	v_lshlrev_b32_e32 v13, 2, v13
	v_readfirstlane_b32 s2, v9
	v_readfirstlane_b32 s3, v10
	s_waitcnt lgkmcnt(0)
	s_nop 3
	global_store_dword v13, v14, s[2:3]
.LBB540_191:
	s_or_b64 exec, exec, s[0:1]
	v_or_b32_e32 v13, 0x500, v0
	v_cmp_ge_u32_e32 vcc, v13, v1
	s_and_saveexec_b64 s[0:1], vcc
	s_xor_b64 s[0:1], exec, s[0:1]
	s_cbranch_execz .LBB540_197
; %bb.192:
	v_cmp_ge_u32_e32 vcc, v13, v12
	s_and_saveexec_b64 s[2:3], vcc
	s_xor_b64 s[2:3], exec, s[2:3]
	s_cbranch_execz .LBB540_194
; %bb.193:
	v_add_co_u32_e32 v13, vcc, v3, v13
	v_lshlrev_b32_e32 v15, 2, v0
	v_addc_co_u32_e32 v14, vcc, 0, v11, vcc
	ds_read_b32 v15, v15 offset:5120
	v_lshlrev_b64 v[13:14], 2, v[13:14]
	v_mov_b32_e32 v16, s47
	v_sub_co_u32_e32 v13, vcc, s46, v13
	v_subb_co_u32_e32 v14, vcc, v16, v14, vcc
	s_waitcnt lgkmcnt(0)
	global_store_dword v[13:14], v15, off offset:-4
                                        ; implicit-def: $vgpr13
.LBB540_194:
	s_andn2_saveexec_b64 s[2:3], s[2:3]
	s_cbranch_execz .LBB540_196
; %bb.195:
	v_lshlrev_b32_e32 v14, 2, v0
	ds_read_b32 v14, v14 offset:5120
	v_lshlrev_b32_e32 v13, 2, v13
	v_readfirstlane_b32 s4, v7
	v_readfirstlane_b32 s5, v8
	s_waitcnt lgkmcnt(0)
	s_nop 3
	global_store_dword v13, v14, s[4:5]
.LBB540_196:
	s_or_b64 exec, exec, s[2:3]
                                        ; implicit-def: $vgpr13
.LBB540_197:
	s_andn2_saveexec_b64 s[0:1], s[0:1]
	s_cbranch_execz .LBB540_199
; %bb.198:
	v_lshlrev_b32_e32 v14, 2, v0
	ds_read_b32 v14, v14 offset:5120
	v_lshlrev_b32_e32 v13, 2, v13
	v_readfirstlane_b32 s2, v9
	v_readfirstlane_b32 s3, v10
	s_waitcnt lgkmcnt(0)
	s_nop 3
	global_store_dword v13, v14, s[2:3]
.LBB540_199:
	s_or_b64 exec, exec, s[0:1]
	v_or_b32_e32 v13, 0x600, v0
	v_cmp_ge_u32_e32 vcc, v13, v1
	s_and_saveexec_b64 s[0:1], vcc
	s_xor_b64 s[0:1], exec, s[0:1]
	s_cbranch_execz .LBB540_205
; %bb.200:
	v_cmp_ge_u32_e32 vcc, v13, v12
	s_and_saveexec_b64 s[2:3], vcc
	s_xor_b64 s[2:3], exec, s[2:3]
	s_cbranch_execz .LBB540_202
; %bb.201:
	v_add_co_u32_e32 v13, vcc, v3, v13
	v_lshlrev_b32_e32 v15, 2, v0
	v_addc_co_u32_e32 v14, vcc, 0, v11, vcc
	ds_read_b32 v15, v15 offset:6144
	v_lshlrev_b64 v[13:14], 2, v[13:14]
	v_mov_b32_e32 v16, s47
	v_sub_co_u32_e32 v13, vcc, s46, v13
	v_subb_co_u32_e32 v14, vcc, v16, v14, vcc
	s_waitcnt lgkmcnt(0)
	global_store_dword v[13:14], v15, off offset:-4
                                        ; implicit-def: $vgpr13
.LBB540_202:
	s_andn2_saveexec_b64 s[2:3], s[2:3]
	s_cbranch_execz .LBB540_204
; %bb.203:
	v_lshlrev_b32_e32 v14, 2, v0
	ds_read_b32 v14, v14 offset:6144
	v_lshlrev_b32_e32 v13, 2, v13
	v_readfirstlane_b32 s4, v7
	v_readfirstlane_b32 s5, v8
	s_waitcnt lgkmcnt(0)
	s_nop 3
	global_store_dword v13, v14, s[4:5]
.LBB540_204:
	s_or_b64 exec, exec, s[2:3]
                                        ; implicit-def: $vgpr13
.LBB540_205:
	;; [unrolled: 51-line block ×8, first 2 shown]
	s_andn2_saveexec_b64 s[0:1], s[0:1]
	s_cbranch_execz .LBB540_255
; %bb.254:
	v_lshlrev_b32_e32 v14, 2, v0
	ds_read_b32 v14, v14 offset:12288
	v_lshlrev_b32_e32 v13, 2, v13
	v_readfirstlane_b32 s2, v9
	v_readfirstlane_b32 s3, v10
	s_waitcnt lgkmcnt(0)
	s_nop 3
	global_store_dword v13, v14, s[2:3]
.LBB540_255:
	s_or_b64 exec, exec, s[0:1]
	s_branch .LBB540_149
.LBB540_256:
	v_cmp_gt_u32_e32 vcc, s18, v0
	s_and_saveexec_b64 s[0:1], vcc
	s_cbranch_execz .LBB540_265
; %bb.257:
	v_cmp_ge_u32_e32 vcc, v0, v1
	s_and_saveexec_b64 s[2:3], vcc
	s_xor_b64 s[2:3], exec, s[2:3]
	s_cbranch_execz .LBB540_263
; %bb.258:
	v_cmp_ge_u32_e32 vcc, v0, v12
	s_and_saveexec_b64 s[4:5], vcc
	s_xor_b64 s[4:5], exec, s[4:5]
	s_cbranch_execz .LBB540_260
; %bb.259:
	v_add_co_u32_e32 v13, vcc, v3, v0
	v_lshlrev_b32_e32 v15, 2, v0
	v_addc_co_u32_e32 v14, vcc, 0, v11, vcc
	ds_read_b32 v15, v15
	v_lshlrev_b64 v[13:14], 2, v[13:14]
	v_mov_b32_e32 v16, s47
	v_sub_co_u32_e32 v13, vcc, s46, v13
	v_subb_co_u32_e32 v14, vcc, v16, v14, vcc
	s_waitcnt lgkmcnt(0)
	global_store_dword v[13:14], v15, off offset:-4
.LBB540_260:
	s_andn2_saveexec_b64 s[4:5], s[4:5]
	s_cbranch_execz .LBB540_262
; %bb.261:
	v_lshlrev_b32_e32 v13, 2, v0
	ds_read_b32 v14, v13
	v_readfirstlane_b32 s6, v7
	v_readfirstlane_b32 s7, v8
	s_waitcnt lgkmcnt(0)
	s_nop 3
	global_store_dword v13, v14, s[6:7]
.LBB540_262:
	s_or_b64 exec, exec, s[4:5]
.LBB540_263:
	s_andn2_saveexec_b64 s[2:3], s[2:3]
	s_cbranch_execz .LBB540_265
; %bb.264:
	v_lshlrev_b32_e32 v13, 2, v0
	ds_read_b32 v14, v13
	v_readfirstlane_b32 s2, v9
	v_readfirstlane_b32 s3, v10
	s_waitcnt lgkmcnt(0)
	s_nop 3
	global_store_dword v13, v14, s[2:3]
.LBB540_265:
	s_or_b64 exec, exec, s[0:1]
	v_or_b32_e32 v13, 0x100, v0
	v_cmp_gt_u32_e32 vcc, s18, v13
	s_and_saveexec_b64 s[0:1], vcc
	s_cbranch_execz .LBB540_274
; %bb.266:
	v_cmp_ge_u32_e32 vcc, v13, v1
	s_and_saveexec_b64 s[2:3], vcc
	s_xor_b64 s[2:3], exec, s[2:3]
	s_cbranch_execz .LBB540_272
; %bb.267:
	v_cmp_ge_u32_e32 vcc, v13, v12
	s_and_saveexec_b64 s[4:5], vcc
	s_xor_b64 s[4:5], exec, s[4:5]
	s_cbranch_execz .LBB540_269
; %bb.268:
	v_lshlrev_b32_e32 v13, 2, v0
	ds_read_b32 v15, v13 offset:1024
	v_add_co_u32_e32 v13, vcc, v3, v0
	v_addc_co_u32_e32 v14, vcc, 0, v11, vcc
	v_lshlrev_b64 v[13:14], 2, v[13:14]
	v_mov_b32_e32 v16, s47
	v_sub_co_u32_e32 v13, vcc, s46, v13
	v_subb_co_u32_e32 v14, vcc, v16, v14, vcc
	s_waitcnt lgkmcnt(0)
	global_store_dword v[13:14], v15, off offset:-1028
.LBB540_269:
	s_andn2_saveexec_b64 s[4:5], s[4:5]
	s_cbranch_execz .LBB540_271
; %bb.270:
	v_lshlrev_b32_e32 v13, 2, v0
	ds_read_b32 v14, v13 offset:1024
	v_readfirstlane_b32 s6, v7
	v_readfirstlane_b32 s7, v8
	s_waitcnt lgkmcnt(0)
	s_nop 3
	global_store_dword v13, v14, s[6:7] offset:1024
.LBB540_271:
	s_or_b64 exec, exec, s[4:5]
.LBB540_272:
	s_andn2_saveexec_b64 s[2:3], s[2:3]
	s_cbranch_execz .LBB540_274
; %bb.273:
	v_lshlrev_b32_e32 v13, 2, v0
	ds_read_b32 v14, v13 offset:1024
	v_readfirstlane_b32 s2, v9
	v_readfirstlane_b32 s3, v10
	s_waitcnt lgkmcnt(0)
	s_nop 3
	global_store_dword v13, v14, s[2:3] offset:1024
.LBB540_274:
	s_or_b64 exec, exec, s[0:1]
	v_or_b32_e32 v13, 0x200, v0
	v_cmp_gt_u32_e32 vcc, s18, v13
	s_and_saveexec_b64 s[0:1], vcc
	s_cbranch_execz .LBB540_283
; %bb.275:
	v_cmp_ge_u32_e32 vcc, v13, v1
	s_and_saveexec_b64 s[2:3], vcc
	s_xor_b64 s[2:3], exec, s[2:3]
	s_cbranch_execz .LBB540_281
; %bb.276:
	v_cmp_ge_u32_e32 vcc, v13, v12
	s_and_saveexec_b64 s[4:5], vcc
	s_xor_b64 s[4:5], exec, s[4:5]
	s_cbranch_execz .LBB540_278
; %bb.277:
	v_lshlrev_b32_e32 v13, 2, v0
	ds_read_b32 v15, v13 offset:2048
	v_add_co_u32_e32 v13, vcc, v3, v0
	v_addc_co_u32_e32 v14, vcc, 0, v11, vcc
	v_lshlrev_b64 v[13:14], 2, v[13:14]
	v_mov_b32_e32 v16, s47
	v_sub_co_u32_e32 v13, vcc, s46, v13
	v_subb_co_u32_e32 v14, vcc, v16, v14, vcc
	s_waitcnt lgkmcnt(0)
	global_store_dword v[13:14], v15, off offset:-2052
.LBB540_278:
	s_andn2_saveexec_b64 s[4:5], s[4:5]
	s_cbranch_execz .LBB540_280
; %bb.279:
	v_lshlrev_b32_e32 v13, 2, v0
	ds_read_b32 v14, v13 offset:2048
	v_readfirstlane_b32 s6, v7
	v_readfirstlane_b32 s7, v8
	s_waitcnt lgkmcnt(0)
	s_nop 3
	global_store_dword v13, v14, s[6:7] offset:2048
.LBB540_280:
	s_or_b64 exec, exec, s[4:5]
.LBB540_281:
	s_andn2_saveexec_b64 s[2:3], s[2:3]
	s_cbranch_execz .LBB540_283
; %bb.282:
	v_lshlrev_b32_e32 v13, 2, v0
	ds_read_b32 v14, v13 offset:2048
	v_readfirstlane_b32 s2, v9
	v_readfirstlane_b32 s3, v10
	s_waitcnt lgkmcnt(0)
	s_nop 3
	global_store_dword v13, v14, s[2:3] offset:2048
.LBB540_283:
	;; [unrolled: 51-line block ×3, first 2 shown]
	s_or_b64 exec, exec, s[0:1]
	v_or_b32_e32 v13, 0x400, v0
	v_cmp_gt_u32_e32 vcc, s18, v13
	s_and_saveexec_b64 s[0:1], vcc
	s_cbranch_execz .LBB540_301
; %bb.293:
	v_cmp_ge_u32_e32 vcc, v13, v1
	s_and_saveexec_b64 s[2:3], vcc
	s_xor_b64 s[2:3], exec, s[2:3]
	s_cbranch_execz .LBB540_299
; %bb.294:
	v_cmp_ge_u32_e32 vcc, v13, v12
	s_and_saveexec_b64 s[4:5], vcc
	s_xor_b64 s[4:5], exec, s[4:5]
	s_cbranch_execz .LBB540_296
; %bb.295:
	v_lshlrev_b32_e32 v13, 2, v0
	ds_read_b32 v15, v13 offset:4096
	v_add_co_u32_e32 v13, vcc, v3, v0
	v_addc_co_u32_e32 v14, vcc, 0, v11, vcc
	v_lshlrev_b64 v[13:14], 2, v[13:14]
	v_mov_b32_e32 v16, s47
	v_sub_co_u32_e32 v13, vcc, s46, v13
	v_subb_co_u32_e32 v14, vcc, v16, v14, vcc
	v_add_co_u32_e32 v13, vcc, 0xfffff000, v13
	v_addc_co_u32_e32 v14, vcc, -1, v14, vcc
	s_waitcnt lgkmcnt(0)
	global_store_dword v[13:14], v15, off offset:-4
                                        ; implicit-def: $vgpr13
.LBB540_296:
	s_andn2_saveexec_b64 s[4:5], s[4:5]
	s_cbranch_execz .LBB540_298
; %bb.297:
	v_lshlrev_b32_e32 v14, 2, v0
	ds_read_b32 v14, v14 offset:4096
	v_lshlrev_b32_e32 v13, 2, v13
	v_readfirstlane_b32 s6, v7
	v_readfirstlane_b32 s7, v8
	s_waitcnt lgkmcnt(0)
	s_nop 3
	global_store_dword v13, v14, s[6:7]
.LBB540_298:
	s_or_b64 exec, exec, s[4:5]
                                        ; implicit-def: $vgpr13
.LBB540_299:
	s_andn2_saveexec_b64 s[2:3], s[2:3]
	s_cbranch_execz .LBB540_301
; %bb.300:
	v_lshlrev_b32_e32 v14, 2, v0
	ds_read_b32 v14, v14 offset:4096
	v_lshlrev_b32_e32 v13, 2, v13
	v_readfirstlane_b32 s2, v9
	v_readfirstlane_b32 s3, v10
	s_waitcnt lgkmcnt(0)
	s_nop 3
	global_store_dword v13, v14, s[2:3]
.LBB540_301:
	s_or_b64 exec, exec, s[0:1]
	v_or_b32_e32 v13, 0x500, v0
	v_cmp_gt_u32_e32 vcc, s18, v13
	s_and_saveexec_b64 s[0:1], vcc
	s_cbranch_execz .LBB540_310
; %bb.302:
	v_cmp_ge_u32_e32 vcc, v13, v1
	s_and_saveexec_b64 s[2:3], vcc
	s_xor_b64 s[2:3], exec, s[2:3]
	s_cbranch_execz .LBB540_308
; %bb.303:
	v_cmp_ge_u32_e32 vcc, v13, v12
	s_and_saveexec_b64 s[4:5], vcc
	s_xor_b64 s[4:5], exec, s[4:5]
	s_cbranch_execz .LBB540_305
; %bb.304:
	v_add_co_u32_e32 v13, vcc, v3, v13
	v_lshlrev_b32_e32 v15, 2, v0
	v_addc_co_u32_e32 v14, vcc, 0, v11, vcc
	ds_read_b32 v15, v15 offset:5120
	v_lshlrev_b64 v[13:14], 2, v[13:14]
	v_mov_b32_e32 v16, s47
	v_sub_co_u32_e32 v13, vcc, s46, v13
	v_subb_co_u32_e32 v14, vcc, v16, v14, vcc
	s_waitcnt lgkmcnt(0)
	global_store_dword v[13:14], v15, off offset:-4
                                        ; implicit-def: $vgpr13
.LBB540_305:
	s_andn2_saveexec_b64 s[4:5], s[4:5]
	s_cbranch_execz .LBB540_307
; %bb.306:
	v_lshlrev_b32_e32 v14, 2, v0
	ds_read_b32 v14, v14 offset:5120
	v_lshlrev_b32_e32 v13, 2, v13
	v_readfirstlane_b32 s6, v7
	v_readfirstlane_b32 s7, v8
	s_waitcnt lgkmcnt(0)
	s_nop 3
	global_store_dword v13, v14, s[6:7]
.LBB540_307:
	s_or_b64 exec, exec, s[4:5]
                                        ; implicit-def: $vgpr13
.LBB540_308:
	s_andn2_saveexec_b64 s[2:3], s[2:3]
	s_cbranch_execz .LBB540_310
; %bb.309:
	v_lshlrev_b32_e32 v14, 2, v0
	ds_read_b32 v14, v14 offset:5120
	v_lshlrev_b32_e32 v13, 2, v13
	v_readfirstlane_b32 s2, v9
	v_readfirstlane_b32 s3, v10
	s_waitcnt lgkmcnt(0)
	s_nop 3
	global_store_dword v13, v14, s[2:3]
.LBB540_310:
	s_or_b64 exec, exec, s[0:1]
	v_or_b32_e32 v13, 0x600, v0
	v_cmp_gt_u32_e32 vcc, s18, v13
	s_and_saveexec_b64 s[0:1], vcc
	s_cbranch_execz .LBB540_319
; %bb.311:
	v_cmp_ge_u32_e32 vcc, v13, v1
	s_and_saveexec_b64 s[2:3], vcc
	s_xor_b64 s[2:3], exec, s[2:3]
	s_cbranch_execz .LBB540_317
; %bb.312:
	v_cmp_ge_u32_e32 vcc, v13, v12
	s_and_saveexec_b64 s[4:5], vcc
	s_xor_b64 s[4:5], exec, s[4:5]
	s_cbranch_execz .LBB540_314
; %bb.313:
	v_add_co_u32_e32 v13, vcc, v3, v13
	v_lshlrev_b32_e32 v15, 2, v0
	v_addc_co_u32_e32 v14, vcc, 0, v11, vcc
	ds_read_b32 v15, v15 offset:6144
	v_lshlrev_b64 v[13:14], 2, v[13:14]
	v_mov_b32_e32 v16, s47
	v_sub_co_u32_e32 v13, vcc, s46, v13
	v_subb_co_u32_e32 v14, vcc, v16, v14, vcc
	s_waitcnt lgkmcnt(0)
	global_store_dword v[13:14], v15, off offset:-4
                                        ; implicit-def: $vgpr13
.LBB540_314:
	s_andn2_saveexec_b64 s[4:5], s[4:5]
	s_cbranch_execz .LBB540_316
; %bb.315:
	v_lshlrev_b32_e32 v14, 2, v0
	ds_read_b32 v14, v14 offset:6144
	v_lshlrev_b32_e32 v13, 2, v13
	v_readfirstlane_b32 s6, v7
	v_readfirstlane_b32 s7, v8
	s_waitcnt lgkmcnt(0)
	s_nop 3
	global_store_dword v13, v14, s[6:7]
.LBB540_316:
	s_or_b64 exec, exec, s[4:5]
                                        ; implicit-def: $vgpr13
.LBB540_317:
	s_andn2_saveexec_b64 s[2:3], s[2:3]
	s_cbranch_execz .LBB540_319
; %bb.318:
	v_lshlrev_b32_e32 v14, 2, v0
	ds_read_b32 v14, v14 offset:6144
	v_lshlrev_b32_e32 v13, 2, v13
	v_readfirstlane_b32 s2, v9
	v_readfirstlane_b32 s3, v10
	s_waitcnt lgkmcnt(0)
	s_nop 3
	global_store_dword v13, v14, s[2:3]
.LBB540_319:
	;; [unrolled: 55-line block ×7, first 2 shown]
	s_or_b64 exec, exec, s[0:1]
	v_or_b32_e32 v13, 0xc00, v0
	v_cmp_gt_u32_e32 vcc, s18, v13
	s_and_saveexec_b64 s[0:1], vcc
	s_cbranch_execz .LBB540_373
; %bb.365:
	v_cmp_ge_u32_e32 vcc, v13, v1
	s_and_saveexec_b64 s[2:3], vcc
	s_xor_b64 s[2:3], exec, s[2:3]
	s_cbranch_execz .LBB540_371
; %bb.366:
	v_cmp_ge_u32_e32 vcc, v13, v12
	s_and_saveexec_b64 s[4:5], vcc
	s_xor_b64 s[4:5], exec, s[4:5]
	s_cbranch_execz .LBB540_368
; %bb.367:
	v_add_co_u32_e32 v7, vcc, v3, v13
	v_lshlrev_b32_e32 v3, 2, v0
	v_addc_co_u32_e32 v8, vcc, 0, v11, vcc
	ds_read_b32 v3, v3 offset:12288
	v_lshlrev_b64 v[7:8], 2, v[7:8]
	v_mov_b32_e32 v9, s47
	v_sub_co_u32_e32 v7, vcc, s46, v7
	v_subb_co_u32_e32 v8, vcc, v9, v8, vcc
	s_waitcnt lgkmcnt(0)
	global_store_dword v[7:8], v3, off offset:-4
                                        ; implicit-def: $vgpr13
                                        ; implicit-def: $vgpr7_vgpr8
.LBB540_368:
	s_andn2_saveexec_b64 s[4:5], s[4:5]
	s_cbranch_execz .LBB540_370
; %bb.369:
	v_lshlrev_b32_e32 v3, 2, v0
	ds_read_b32 v3, v3 offset:12288
	v_lshlrev_b32_e32 v9, 2, v13
	v_readfirstlane_b32 s6, v7
	v_readfirstlane_b32 s7, v8
	s_waitcnt lgkmcnt(0)
	s_nop 3
	global_store_dword v9, v3, s[6:7]
.LBB540_370:
	s_or_b64 exec, exec, s[4:5]
                                        ; implicit-def: $vgpr13
                                        ; implicit-def: $vgpr9_vgpr10
.LBB540_371:
	s_andn2_saveexec_b64 s[2:3], s[2:3]
	s_cbranch_execz .LBB540_373
; %bb.372:
	v_lshlrev_b32_e32 v3, 2, v0
	ds_read_b32 v3, v3 offset:12288
	v_lshlrev_b32_e32 v7, 2, v13
	v_readfirstlane_b32 s2, v9
	v_readfirstlane_b32 s3, v10
	s_waitcnt lgkmcnt(0)
	s_nop 3
	global_store_dword v7, v3, s[2:3]
.LBB540_373:
	s_or_b64 exec, exec, s[0:1]
	v_cmp_eq_u32_e32 vcc, 0, v0
	s_and_b64 s[0:1], vcc, s[34:35]
	s_and_saveexec_b64 s[2:3], s[0:1]
	s_cbranch_execz .LBB540_150
.LBB540_374:
	v_mov_b32_e32 v0, s51
	v_add_co_u32_e32 v2, vcc, s50, v2
	v_addc_co_u32_e32 v0, vcc, 0, v0, vcc
	v_add_co_u32_e32 v2, vcc, v2, v4
	v_addc_co_u32_e32 v3, vcc, 0, v0, vcc
	v_add_co_u32_e32 v0, vcc, v5, v1
	v_mov_b32_e32 v7, 0
	v_addc_co_u32_e32 v1, vcc, 0, v6, vcc
	global_store_dwordx4 v7, v[0:3], s[44:45]
	s_endpgm
.LBB540_375:
	s_add_i32 s6, s6, 64
	s_mov_b32 s7, 0
	s_lshl_b64 s[6:7], s[6:7], 4
	s_add_u32 s6, s12, s6
	s_addc_u32 s7, s13, s7
	v_mov_b32_e32 v24, s7
	v_add_u32_e32 v6, v4, v2
	v_add_u32_e32 v5, v3, v1
	v_mov_b32_e32 v7, 2
	v_mov_b32_e32 v8, 0
	;; [unrolled: 1-line block ×3, first 2 shown]
	;;#ASMSTART
	global_store_dwordx4 v[23:24], v[5:8] off	
s_waitcnt vmcnt(0)
	;;#ASMEND
	s_or_b64 exec, exec, s[14:15]
	s_and_saveexec_b64 s[6:7], s[8:9]
	s_cbranch_execz .LBB540_135
.LBB540_376:
	v_mov_b32_e32 v5, 0
	ds_write_b128 v5, v[1:4] offset:13312
	s_or_b64 exec, exec, s[6:7]
	v_cmp_eq_u32_e32 vcc, 0, v0
	s_and_b64 exec, exec, vcc
	s_cbranch_execnz .LBB540_136
	s_branch .LBB540_137
	.section	.rodata,"a",@progbits
	.p2align	6, 0x0
	.amdhsa_kernel _ZN7rocprim17ROCPRIM_400000_NS6detail17trampoline_kernelINS0_13select_configILj256ELj13ELNS0_17block_load_methodE3ELS4_3ELS4_3ELNS0_20block_scan_algorithmE0ELj4294967295EEENS1_25partition_config_selectorILNS1_17partition_subalgoE4EjNS0_10empty_typeEbEEZZNS1_14partition_implILS8_4ELb0ES6_15HIP_vector_typeIjLj2EENS0_17counting_iteratorIjlEEPS9_SG_NS0_5tupleIJPjSI_NS0_16reverse_iteratorISI_EEEEENSH_IJSG_SG_SG_EEES9_SI_JZNS1_25segmented_radix_sort_implINS0_14default_configELb0EPKiPiPKlPlN2at6native12_GLOBAL__N_18offset_tEEE10hipError_tPvRmT1_PNSt15iterator_traitsIS12_E10value_typeET2_T3_PNS13_IS18_E10value_typeET4_jRbjT5_S1E_jjP12ihipStream_tbEUljE_ZNSN_ISO_Lb0ESQ_SR_ST_SU_SY_EESZ_S10_S11_S12_S16_S17_S18_S1B_S1C_jS1D_jS1E_S1E_jjS1G_bEUljE0_EEESZ_S10_S11_S18_S1C_S1E_T6_T7_T9_mT8_S1G_bDpT10_ENKUlT_T0_E_clISt17integral_constantIbLb0EES1U_EEDaS1P_S1Q_EUlS1P_E_NS1_11comp_targetILNS1_3genE2ELNS1_11target_archE906ELNS1_3gpuE6ELNS1_3repE0EEENS1_30default_config_static_selectorELNS0_4arch9wavefront6targetE1EEEvS12_
		.amdhsa_group_segment_fixed_size 13328
		.amdhsa_private_segment_fixed_size 0
		.amdhsa_kernarg_size 176
		.amdhsa_user_sgpr_count 6
		.amdhsa_user_sgpr_private_segment_buffer 1
		.amdhsa_user_sgpr_dispatch_ptr 0
		.amdhsa_user_sgpr_queue_ptr 0
		.amdhsa_user_sgpr_kernarg_segment_ptr 1
		.amdhsa_user_sgpr_dispatch_id 0
		.amdhsa_user_sgpr_flat_scratch_init 0
		.amdhsa_user_sgpr_private_segment_size 0
		.amdhsa_uses_dynamic_stack 0
		.amdhsa_system_sgpr_private_segment_wavefront_offset 0
		.amdhsa_system_sgpr_workgroup_id_x 1
		.amdhsa_system_sgpr_workgroup_id_y 0
		.amdhsa_system_sgpr_workgroup_id_z 0
		.amdhsa_system_sgpr_workgroup_info 0
		.amdhsa_system_vgpr_workitem_id 0
		.amdhsa_next_free_vgpr 86
		.amdhsa_next_free_sgpr 98
		.amdhsa_reserve_vcc 1
		.amdhsa_reserve_flat_scratch 0
		.amdhsa_float_round_mode_32 0
		.amdhsa_float_round_mode_16_64 0
		.amdhsa_float_denorm_mode_32 3
		.amdhsa_float_denorm_mode_16_64 3
		.amdhsa_dx10_clamp 1
		.amdhsa_ieee_mode 1
		.amdhsa_fp16_overflow 0
		.amdhsa_exception_fp_ieee_invalid_op 0
		.amdhsa_exception_fp_denorm_src 0
		.amdhsa_exception_fp_ieee_div_zero 0
		.amdhsa_exception_fp_ieee_overflow 0
		.amdhsa_exception_fp_ieee_underflow 0
		.amdhsa_exception_fp_ieee_inexact 0
		.amdhsa_exception_int_div_zero 0
	.end_amdhsa_kernel
	.section	.text._ZN7rocprim17ROCPRIM_400000_NS6detail17trampoline_kernelINS0_13select_configILj256ELj13ELNS0_17block_load_methodE3ELS4_3ELS4_3ELNS0_20block_scan_algorithmE0ELj4294967295EEENS1_25partition_config_selectorILNS1_17partition_subalgoE4EjNS0_10empty_typeEbEEZZNS1_14partition_implILS8_4ELb0ES6_15HIP_vector_typeIjLj2EENS0_17counting_iteratorIjlEEPS9_SG_NS0_5tupleIJPjSI_NS0_16reverse_iteratorISI_EEEEENSH_IJSG_SG_SG_EEES9_SI_JZNS1_25segmented_radix_sort_implINS0_14default_configELb0EPKiPiPKlPlN2at6native12_GLOBAL__N_18offset_tEEE10hipError_tPvRmT1_PNSt15iterator_traitsIS12_E10value_typeET2_T3_PNS13_IS18_E10value_typeET4_jRbjT5_S1E_jjP12ihipStream_tbEUljE_ZNSN_ISO_Lb0ESQ_SR_ST_SU_SY_EESZ_S10_S11_S12_S16_S17_S18_S1B_S1C_jS1D_jS1E_S1E_jjS1G_bEUljE0_EEESZ_S10_S11_S18_S1C_S1E_T6_T7_T9_mT8_S1G_bDpT10_ENKUlT_T0_E_clISt17integral_constantIbLb0EES1U_EEDaS1P_S1Q_EUlS1P_E_NS1_11comp_targetILNS1_3genE2ELNS1_11target_archE906ELNS1_3gpuE6ELNS1_3repE0EEENS1_30default_config_static_selectorELNS0_4arch9wavefront6targetE1EEEvS12_,"axG",@progbits,_ZN7rocprim17ROCPRIM_400000_NS6detail17trampoline_kernelINS0_13select_configILj256ELj13ELNS0_17block_load_methodE3ELS4_3ELS4_3ELNS0_20block_scan_algorithmE0ELj4294967295EEENS1_25partition_config_selectorILNS1_17partition_subalgoE4EjNS0_10empty_typeEbEEZZNS1_14partition_implILS8_4ELb0ES6_15HIP_vector_typeIjLj2EENS0_17counting_iteratorIjlEEPS9_SG_NS0_5tupleIJPjSI_NS0_16reverse_iteratorISI_EEEEENSH_IJSG_SG_SG_EEES9_SI_JZNS1_25segmented_radix_sort_implINS0_14default_configELb0EPKiPiPKlPlN2at6native12_GLOBAL__N_18offset_tEEE10hipError_tPvRmT1_PNSt15iterator_traitsIS12_E10value_typeET2_T3_PNS13_IS18_E10value_typeET4_jRbjT5_S1E_jjP12ihipStream_tbEUljE_ZNSN_ISO_Lb0ESQ_SR_ST_SU_SY_EESZ_S10_S11_S12_S16_S17_S18_S1B_S1C_jS1D_jS1E_S1E_jjS1G_bEUljE0_EEESZ_S10_S11_S18_S1C_S1E_T6_T7_T9_mT8_S1G_bDpT10_ENKUlT_T0_E_clISt17integral_constantIbLb0EES1U_EEDaS1P_S1Q_EUlS1P_E_NS1_11comp_targetILNS1_3genE2ELNS1_11target_archE906ELNS1_3gpuE6ELNS1_3repE0EEENS1_30default_config_static_selectorELNS0_4arch9wavefront6targetE1EEEvS12_,comdat
.Lfunc_end540:
	.size	_ZN7rocprim17ROCPRIM_400000_NS6detail17trampoline_kernelINS0_13select_configILj256ELj13ELNS0_17block_load_methodE3ELS4_3ELS4_3ELNS0_20block_scan_algorithmE0ELj4294967295EEENS1_25partition_config_selectorILNS1_17partition_subalgoE4EjNS0_10empty_typeEbEEZZNS1_14partition_implILS8_4ELb0ES6_15HIP_vector_typeIjLj2EENS0_17counting_iteratorIjlEEPS9_SG_NS0_5tupleIJPjSI_NS0_16reverse_iteratorISI_EEEEENSH_IJSG_SG_SG_EEES9_SI_JZNS1_25segmented_radix_sort_implINS0_14default_configELb0EPKiPiPKlPlN2at6native12_GLOBAL__N_18offset_tEEE10hipError_tPvRmT1_PNSt15iterator_traitsIS12_E10value_typeET2_T3_PNS13_IS18_E10value_typeET4_jRbjT5_S1E_jjP12ihipStream_tbEUljE_ZNSN_ISO_Lb0ESQ_SR_ST_SU_SY_EESZ_S10_S11_S12_S16_S17_S18_S1B_S1C_jS1D_jS1E_S1E_jjS1G_bEUljE0_EEESZ_S10_S11_S18_S1C_S1E_T6_T7_T9_mT8_S1G_bDpT10_ENKUlT_T0_E_clISt17integral_constantIbLb0EES1U_EEDaS1P_S1Q_EUlS1P_E_NS1_11comp_targetILNS1_3genE2ELNS1_11target_archE906ELNS1_3gpuE6ELNS1_3repE0EEENS1_30default_config_static_selectorELNS0_4arch9wavefront6targetE1EEEvS12_, .Lfunc_end540-_ZN7rocprim17ROCPRIM_400000_NS6detail17trampoline_kernelINS0_13select_configILj256ELj13ELNS0_17block_load_methodE3ELS4_3ELS4_3ELNS0_20block_scan_algorithmE0ELj4294967295EEENS1_25partition_config_selectorILNS1_17partition_subalgoE4EjNS0_10empty_typeEbEEZZNS1_14partition_implILS8_4ELb0ES6_15HIP_vector_typeIjLj2EENS0_17counting_iteratorIjlEEPS9_SG_NS0_5tupleIJPjSI_NS0_16reverse_iteratorISI_EEEEENSH_IJSG_SG_SG_EEES9_SI_JZNS1_25segmented_radix_sort_implINS0_14default_configELb0EPKiPiPKlPlN2at6native12_GLOBAL__N_18offset_tEEE10hipError_tPvRmT1_PNSt15iterator_traitsIS12_E10value_typeET2_T3_PNS13_IS18_E10value_typeET4_jRbjT5_S1E_jjP12ihipStream_tbEUljE_ZNSN_ISO_Lb0ESQ_SR_ST_SU_SY_EESZ_S10_S11_S12_S16_S17_S18_S1B_S1C_jS1D_jS1E_S1E_jjS1G_bEUljE0_EEESZ_S10_S11_S18_S1C_S1E_T6_T7_T9_mT8_S1G_bDpT10_ENKUlT_T0_E_clISt17integral_constantIbLb0EES1U_EEDaS1P_S1Q_EUlS1P_E_NS1_11comp_targetILNS1_3genE2ELNS1_11target_archE906ELNS1_3gpuE6ELNS1_3repE0EEENS1_30default_config_static_selectorELNS0_4arch9wavefront6targetE1EEEvS12_
                                        ; -- End function
	.set _ZN7rocprim17ROCPRIM_400000_NS6detail17trampoline_kernelINS0_13select_configILj256ELj13ELNS0_17block_load_methodE3ELS4_3ELS4_3ELNS0_20block_scan_algorithmE0ELj4294967295EEENS1_25partition_config_selectorILNS1_17partition_subalgoE4EjNS0_10empty_typeEbEEZZNS1_14partition_implILS8_4ELb0ES6_15HIP_vector_typeIjLj2EENS0_17counting_iteratorIjlEEPS9_SG_NS0_5tupleIJPjSI_NS0_16reverse_iteratorISI_EEEEENSH_IJSG_SG_SG_EEES9_SI_JZNS1_25segmented_radix_sort_implINS0_14default_configELb0EPKiPiPKlPlN2at6native12_GLOBAL__N_18offset_tEEE10hipError_tPvRmT1_PNSt15iterator_traitsIS12_E10value_typeET2_T3_PNS13_IS18_E10value_typeET4_jRbjT5_S1E_jjP12ihipStream_tbEUljE_ZNSN_ISO_Lb0ESQ_SR_ST_SU_SY_EESZ_S10_S11_S12_S16_S17_S18_S1B_S1C_jS1D_jS1E_S1E_jjS1G_bEUljE0_EEESZ_S10_S11_S18_S1C_S1E_T6_T7_T9_mT8_S1G_bDpT10_ENKUlT_T0_E_clISt17integral_constantIbLb0EES1U_EEDaS1P_S1Q_EUlS1P_E_NS1_11comp_targetILNS1_3genE2ELNS1_11target_archE906ELNS1_3gpuE6ELNS1_3repE0EEENS1_30default_config_static_selectorELNS0_4arch9wavefront6targetE1EEEvS12_.num_vgpr, 86
	.set _ZN7rocprim17ROCPRIM_400000_NS6detail17trampoline_kernelINS0_13select_configILj256ELj13ELNS0_17block_load_methodE3ELS4_3ELS4_3ELNS0_20block_scan_algorithmE0ELj4294967295EEENS1_25partition_config_selectorILNS1_17partition_subalgoE4EjNS0_10empty_typeEbEEZZNS1_14partition_implILS8_4ELb0ES6_15HIP_vector_typeIjLj2EENS0_17counting_iteratorIjlEEPS9_SG_NS0_5tupleIJPjSI_NS0_16reverse_iteratorISI_EEEEENSH_IJSG_SG_SG_EEES9_SI_JZNS1_25segmented_radix_sort_implINS0_14default_configELb0EPKiPiPKlPlN2at6native12_GLOBAL__N_18offset_tEEE10hipError_tPvRmT1_PNSt15iterator_traitsIS12_E10value_typeET2_T3_PNS13_IS18_E10value_typeET4_jRbjT5_S1E_jjP12ihipStream_tbEUljE_ZNSN_ISO_Lb0ESQ_SR_ST_SU_SY_EESZ_S10_S11_S12_S16_S17_S18_S1B_S1C_jS1D_jS1E_S1E_jjS1G_bEUljE0_EEESZ_S10_S11_S18_S1C_S1E_T6_T7_T9_mT8_S1G_bDpT10_ENKUlT_T0_E_clISt17integral_constantIbLb0EES1U_EEDaS1P_S1Q_EUlS1P_E_NS1_11comp_targetILNS1_3genE2ELNS1_11target_archE906ELNS1_3gpuE6ELNS1_3repE0EEENS1_30default_config_static_selectorELNS0_4arch9wavefront6targetE1EEEvS12_.num_agpr, 0
	.set _ZN7rocprim17ROCPRIM_400000_NS6detail17trampoline_kernelINS0_13select_configILj256ELj13ELNS0_17block_load_methodE3ELS4_3ELS4_3ELNS0_20block_scan_algorithmE0ELj4294967295EEENS1_25partition_config_selectorILNS1_17partition_subalgoE4EjNS0_10empty_typeEbEEZZNS1_14partition_implILS8_4ELb0ES6_15HIP_vector_typeIjLj2EENS0_17counting_iteratorIjlEEPS9_SG_NS0_5tupleIJPjSI_NS0_16reverse_iteratorISI_EEEEENSH_IJSG_SG_SG_EEES9_SI_JZNS1_25segmented_radix_sort_implINS0_14default_configELb0EPKiPiPKlPlN2at6native12_GLOBAL__N_18offset_tEEE10hipError_tPvRmT1_PNSt15iterator_traitsIS12_E10value_typeET2_T3_PNS13_IS18_E10value_typeET4_jRbjT5_S1E_jjP12ihipStream_tbEUljE_ZNSN_ISO_Lb0ESQ_SR_ST_SU_SY_EESZ_S10_S11_S12_S16_S17_S18_S1B_S1C_jS1D_jS1E_S1E_jjS1G_bEUljE0_EEESZ_S10_S11_S18_S1C_S1E_T6_T7_T9_mT8_S1G_bDpT10_ENKUlT_T0_E_clISt17integral_constantIbLb0EES1U_EEDaS1P_S1Q_EUlS1P_E_NS1_11comp_targetILNS1_3genE2ELNS1_11target_archE906ELNS1_3gpuE6ELNS1_3repE0EEENS1_30default_config_static_selectorELNS0_4arch9wavefront6targetE1EEEvS12_.numbered_sgpr, 90
	.set _ZN7rocprim17ROCPRIM_400000_NS6detail17trampoline_kernelINS0_13select_configILj256ELj13ELNS0_17block_load_methodE3ELS4_3ELS4_3ELNS0_20block_scan_algorithmE0ELj4294967295EEENS1_25partition_config_selectorILNS1_17partition_subalgoE4EjNS0_10empty_typeEbEEZZNS1_14partition_implILS8_4ELb0ES6_15HIP_vector_typeIjLj2EENS0_17counting_iteratorIjlEEPS9_SG_NS0_5tupleIJPjSI_NS0_16reverse_iteratorISI_EEEEENSH_IJSG_SG_SG_EEES9_SI_JZNS1_25segmented_radix_sort_implINS0_14default_configELb0EPKiPiPKlPlN2at6native12_GLOBAL__N_18offset_tEEE10hipError_tPvRmT1_PNSt15iterator_traitsIS12_E10value_typeET2_T3_PNS13_IS18_E10value_typeET4_jRbjT5_S1E_jjP12ihipStream_tbEUljE_ZNSN_ISO_Lb0ESQ_SR_ST_SU_SY_EESZ_S10_S11_S12_S16_S17_S18_S1B_S1C_jS1D_jS1E_S1E_jjS1G_bEUljE0_EEESZ_S10_S11_S18_S1C_S1E_T6_T7_T9_mT8_S1G_bDpT10_ENKUlT_T0_E_clISt17integral_constantIbLb0EES1U_EEDaS1P_S1Q_EUlS1P_E_NS1_11comp_targetILNS1_3genE2ELNS1_11target_archE906ELNS1_3gpuE6ELNS1_3repE0EEENS1_30default_config_static_selectorELNS0_4arch9wavefront6targetE1EEEvS12_.num_named_barrier, 0
	.set _ZN7rocprim17ROCPRIM_400000_NS6detail17trampoline_kernelINS0_13select_configILj256ELj13ELNS0_17block_load_methodE3ELS4_3ELS4_3ELNS0_20block_scan_algorithmE0ELj4294967295EEENS1_25partition_config_selectorILNS1_17partition_subalgoE4EjNS0_10empty_typeEbEEZZNS1_14partition_implILS8_4ELb0ES6_15HIP_vector_typeIjLj2EENS0_17counting_iteratorIjlEEPS9_SG_NS0_5tupleIJPjSI_NS0_16reverse_iteratorISI_EEEEENSH_IJSG_SG_SG_EEES9_SI_JZNS1_25segmented_radix_sort_implINS0_14default_configELb0EPKiPiPKlPlN2at6native12_GLOBAL__N_18offset_tEEE10hipError_tPvRmT1_PNSt15iterator_traitsIS12_E10value_typeET2_T3_PNS13_IS18_E10value_typeET4_jRbjT5_S1E_jjP12ihipStream_tbEUljE_ZNSN_ISO_Lb0ESQ_SR_ST_SU_SY_EESZ_S10_S11_S12_S16_S17_S18_S1B_S1C_jS1D_jS1E_S1E_jjS1G_bEUljE0_EEESZ_S10_S11_S18_S1C_S1E_T6_T7_T9_mT8_S1G_bDpT10_ENKUlT_T0_E_clISt17integral_constantIbLb0EES1U_EEDaS1P_S1Q_EUlS1P_E_NS1_11comp_targetILNS1_3genE2ELNS1_11target_archE906ELNS1_3gpuE6ELNS1_3repE0EEENS1_30default_config_static_selectorELNS0_4arch9wavefront6targetE1EEEvS12_.private_seg_size, 0
	.set _ZN7rocprim17ROCPRIM_400000_NS6detail17trampoline_kernelINS0_13select_configILj256ELj13ELNS0_17block_load_methodE3ELS4_3ELS4_3ELNS0_20block_scan_algorithmE0ELj4294967295EEENS1_25partition_config_selectorILNS1_17partition_subalgoE4EjNS0_10empty_typeEbEEZZNS1_14partition_implILS8_4ELb0ES6_15HIP_vector_typeIjLj2EENS0_17counting_iteratorIjlEEPS9_SG_NS0_5tupleIJPjSI_NS0_16reverse_iteratorISI_EEEEENSH_IJSG_SG_SG_EEES9_SI_JZNS1_25segmented_radix_sort_implINS0_14default_configELb0EPKiPiPKlPlN2at6native12_GLOBAL__N_18offset_tEEE10hipError_tPvRmT1_PNSt15iterator_traitsIS12_E10value_typeET2_T3_PNS13_IS18_E10value_typeET4_jRbjT5_S1E_jjP12ihipStream_tbEUljE_ZNSN_ISO_Lb0ESQ_SR_ST_SU_SY_EESZ_S10_S11_S12_S16_S17_S18_S1B_S1C_jS1D_jS1E_S1E_jjS1G_bEUljE0_EEESZ_S10_S11_S18_S1C_S1E_T6_T7_T9_mT8_S1G_bDpT10_ENKUlT_T0_E_clISt17integral_constantIbLb0EES1U_EEDaS1P_S1Q_EUlS1P_E_NS1_11comp_targetILNS1_3genE2ELNS1_11target_archE906ELNS1_3gpuE6ELNS1_3repE0EEENS1_30default_config_static_selectorELNS0_4arch9wavefront6targetE1EEEvS12_.uses_vcc, 1
	.set _ZN7rocprim17ROCPRIM_400000_NS6detail17trampoline_kernelINS0_13select_configILj256ELj13ELNS0_17block_load_methodE3ELS4_3ELS4_3ELNS0_20block_scan_algorithmE0ELj4294967295EEENS1_25partition_config_selectorILNS1_17partition_subalgoE4EjNS0_10empty_typeEbEEZZNS1_14partition_implILS8_4ELb0ES6_15HIP_vector_typeIjLj2EENS0_17counting_iteratorIjlEEPS9_SG_NS0_5tupleIJPjSI_NS0_16reverse_iteratorISI_EEEEENSH_IJSG_SG_SG_EEES9_SI_JZNS1_25segmented_radix_sort_implINS0_14default_configELb0EPKiPiPKlPlN2at6native12_GLOBAL__N_18offset_tEEE10hipError_tPvRmT1_PNSt15iterator_traitsIS12_E10value_typeET2_T3_PNS13_IS18_E10value_typeET4_jRbjT5_S1E_jjP12ihipStream_tbEUljE_ZNSN_ISO_Lb0ESQ_SR_ST_SU_SY_EESZ_S10_S11_S12_S16_S17_S18_S1B_S1C_jS1D_jS1E_S1E_jjS1G_bEUljE0_EEESZ_S10_S11_S18_S1C_S1E_T6_T7_T9_mT8_S1G_bDpT10_ENKUlT_T0_E_clISt17integral_constantIbLb0EES1U_EEDaS1P_S1Q_EUlS1P_E_NS1_11comp_targetILNS1_3genE2ELNS1_11target_archE906ELNS1_3gpuE6ELNS1_3repE0EEENS1_30default_config_static_selectorELNS0_4arch9wavefront6targetE1EEEvS12_.uses_flat_scratch, 0
	.set _ZN7rocprim17ROCPRIM_400000_NS6detail17trampoline_kernelINS0_13select_configILj256ELj13ELNS0_17block_load_methodE3ELS4_3ELS4_3ELNS0_20block_scan_algorithmE0ELj4294967295EEENS1_25partition_config_selectorILNS1_17partition_subalgoE4EjNS0_10empty_typeEbEEZZNS1_14partition_implILS8_4ELb0ES6_15HIP_vector_typeIjLj2EENS0_17counting_iteratorIjlEEPS9_SG_NS0_5tupleIJPjSI_NS0_16reverse_iteratorISI_EEEEENSH_IJSG_SG_SG_EEES9_SI_JZNS1_25segmented_radix_sort_implINS0_14default_configELb0EPKiPiPKlPlN2at6native12_GLOBAL__N_18offset_tEEE10hipError_tPvRmT1_PNSt15iterator_traitsIS12_E10value_typeET2_T3_PNS13_IS18_E10value_typeET4_jRbjT5_S1E_jjP12ihipStream_tbEUljE_ZNSN_ISO_Lb0ESQ_SR_ST_SU_SY_EESZ_S10_S11_S12_S16_S17_S18_S1B_S1C_jS1D_jS1E_S1E_jjS1G_bEUljE0_EEESZ_S10_S11_S18_S1C_S1E_T6_T7_T9_mT8_S1G_bDpT10_ENKUlT_T0_E_clISt17integral_constantIbLb0EES1U_EEDaS1P_S1Q_EUlS1P_E_NS1_11comp_targetILNS1_3genE2ELNS1_11target_archE906ELNS1_3gpuE6ELNS1_3repE0EEENS1_30default_config_static_selectorELNS0_4arch9wavefront6targetE1EEEvS12_.has_dyn_sized_stack, 0
	.set _ZN7rocprim17ROCPRIM_400000_NS6detail17trampoline_kernelINS0_13select_configILj256ELj13ELNS0_17block_load_methodE3ELS4_3ELS4_3ELNS0_20block_scan_algorithmE0ELj4294967295EEENS1_25partition_config_selectorILNS1_17partition_subalgoE4EjNS0_10empty_typeEbEEZZNS1_14partition_implILS8_4ELb0ES6_15HIP_vector_typeIjLj2EENS0_17counting_iteratorIjlEEPS9_SG_NS0_5tupleIJPjSI_NS0_16reverse_iteratorISI_EEEEENSH_IJSG_SG_SG_EEES9_SI_JZNS1_25segmented_radix_sort_implINS0_14default_configELb0EPKiPiPKlPlN2at6native12_GLOBAL__N_18offset_tEEE10hipError_tPvRmT1_PNSt15iterator_traitsIS12_E10value_typeET2_T3_PNS13_IS18_E10value_typeET4_jRbjT5_S1E_jjP12ihipStream_tbEUljE_ZNSN_ISO_Lb0ESQ_SR_ST_SU_SY_EESZ_S10_S11_S12_S16_S17_S18_S1B_S1C_jS1D_jS1E_S1E_jjS1G_bEUljE0_EEESZ_S10_S11_S18_S1C_S1E_T6_T7_T9_mT8_S1G_bDpT10_ENKUlT_T0_E_clISt17integral_constantIbLb0EES1U_EEDaS1P_S1Q_EUlS1P_E_NS1_11comp_targetILNS1_3genE2ELNS1_11target_archE906ELNS1_3gpuE6ELNS1_3repE0EEENS1_30default_config_static_selectorELNS0_4arch9wavefront6targetE1EEEvS12_.has_recursion, 0
	.set _ZN7rocprim17ROCPRIM_400000_NS6detail17trampoline_kernelINS0_13select_configILj256ELj13ELNS0_17block_load_methodE3ELS4_3ELS4_3ELNS0_20block_scan_algorithmE0ELj4294967295EEENS1_25partition_config_selectorILNS1_17partition_subalgoE4EjNS0_10empty_typeEbEEZZNS1_14partition_implILS8_4ELb0ES6_15HIP_vector_typeIjLj2EENS0_17counting_iteratorIjlEEPS9_SG_NS0_5tupleIJPjSI_NS0_16reverse_iteratorISI_EEEEENSH_IJSG_SG_SG_EEES9_SI_JZNS1_25segmented_radix_sort_implINS0_14default_configELb0EPKiPiPKlPlN2at6native12_GLOBAL__N_18offset_tEEE10hipError_tPvRmT1_PNSt15iterator_traitsIS12_E10value_typeET2_T3_PNS13_IS18_E10value_typeET4_jRbjT5_S1E_jjP12ihipStream_tbEUljE_ZNSN_ISO_Lb0ESQ_SR_ST_SU_SY_EESZ_S10_S11_S12_S16_S17_S18_S1B_S1C_jS1D_jS1E_S1E_jjS1G_bEUljE0_EEESZ_S10_S11_S18_S1C_S1E_T6_T7_T9_mT8_S1G_bDpT10_ENKUlT_T0_E_clISt17integral_constantIbLb0EES1U_EEDaS1P_S1Q_EUlS1P_E_NS1_11comp_targetILNS1_3genE2ELNS1_11target_archE906ELNS1_3gpuE6ELNS1_3repE0EEENS1_30default_config_static_selectorELNS0_4arch9wavefront6targetE1EEEvS12_.has_indirect_call, 0
	.section	.AMDGPU.csdata,"",@progbits
; Kernel info:
; codeLenInByte = 15480
; TotalNumSgprs: 94
; NumVgprs: 86
; ScratchSize: 0
; MemoryBound: 0
; FloatMode: 240
; IeeeMode: 1
; LDSByteSize: 13328 bytes/workgroup (compile time only)
; SGPRBlocks: 12
; VGPRBlocks: 21
; NumSGPRsForWavesPerEU: 102
; NumVGPRsForWavesPerEU: 86
; Occupancy: 2
; WaveLimiterHint : 1
; COMPUTE_PGM_RSRC2:SCRATCH_EN: 0
; COMPUTE_PGM_RSRC2:USER_SGPR: 6
; COMPUTE_PGM_RSRC2:TRAP_HANDLER: 0
; COMPUTE_PGM_RSRC2:TGID_X_EN: 1
; COMPUTE_PGM_RSRC2:TGID_Y_EN: 0
; COMPUTE_PGM_RSRC2:TGID_Z_EN: 0
; COMPUTE_PGM_RSRC2:TIDIG_COMP_CNT: 0
	.section	.text._ZN7rocprim17ROCPRIM_400000_NS6detail17trampoline_kernelINS0_13select_configILj256ELj13ELNS0_17block_load_methodE3ELS4_3ELS4_3ELNS0_20block_scan_algorithmE0ELj4294967295EEENS1_25partition_config_selectorILNS1_17partition_subalgoE4EjNS0_10empty_typeEbEEZZNS1_14partition_implILS8_4ELb0ES6_15HIP_vector_typeIjLj2EENS0_17counting_iteratorIjlEEPS9_SG_NS0_5tupleIJPjSI_NS0_16reverse_iteratorISI_EEEEENSH_IJSG_SG_SG_EEES9_SI_JZNS1_25segmented_radix_sort_implINS0_14default_configELb0EPKiPiPKlPlN2at6native12_GLOBAL__N_18offset_tEEE10hipError_tPvRmT1_PNSt15iterator_traitsIS12_E10value_typeET2_T3_PNS13_IS18_E10value_typeET4_jRbjT5_S1E_jjP12ihipStream_tbEUljE_ZNSN_ISO_Lb0ESQ_SR_ST_SU_SY_EESZ_S10_S11_S12_S16_S17_S18_S1B_S1C_jS1D_jS1E_S1E_jjS1G_bEUljE0_EEESZ_S10_S11_S18_S1C_S1E_T6_T7_T9_mT8_S1G_bDpT10_ENKUlT_T0_E_clISt17integral_constantIbLb0EES1U_EEDaS1P_S1Q_EUlS1P_E_NS1_11comp_targetILNS1_3genE10ELNS1_11target_archE1200ELNS1_3gpuE4ELNS1_3repE0EEENS1_30default_config_static_selectorELNS0_4arch9wavefront6targetE1EEEvS12_,"axG",@progbits,_ZN7rocprim17ROCPRIM_400000_NS6detail17trampoline_kernelINS0_13select_configILj256ELj13ELNS0_17block_load_methodE3ELS4_3ELS4_3ELNS0_20block_scan_algorithmE0ELj4294967295EEENS1_25partition_config_selectorILNS1_17partition_subalgoE4EjNS0_10empty_typeEbEEZZNS1_14partition_implILS8_4ELb0ES6_15HIP_vector_typeIjLj2EENS0_17counting_iteratorIjlEEPS9_SG_NS0_5tupleIJPjSI_NS0_16reverse_iteratorISI_EEEEENSH_IJSG_SG_SG_EEES9_SI_JZNS1_25segmented_radix_sort_implINS0_14default_configELb0EPKiPiPKlPlN2at6native12_GLOBAL__N_18offset_tEEE10hipError_tPvRmT1_PNSt15iterator_traitsIS12_E10value_typeET2_T3_PNS13_IS18_E10value_typeET4_jRbjT5_S1E_jjP12ihipStream_tbEUljE_ZNSN_ISO_Lb0ESQ_SR_ST_SU_SY_EESZ_S10_S11_S12_S16_S17_S18_S1B_S1C_jS1D_jS1E_S1E_jjS1G_bEUljE0_EEESZ_S10_S11_S18_S1C_S1E_T6_T7_T9_mT8_S1G_bDpT10_ENKUlT_T0_E_clISt17integral_constantIbLb0EES1U_EEDaS1P_S1Q_EUlS1P_E_NS1_11comp_targetILNS1_3genE10ELNS1_11target_archE1200ELNS1_3gpuE4ELNS1_3repE0EEENS1_30default_config_static_selectorELNS0_4arch9wavefront6targetE1EEEvS12_,comdat
	.globl	_ZN7rocprim17ROCPRIM_400000_NS6detail17trampoline_kernelINS0_13select_configILj256ELj13ELNS0_17block_load_methodE3ELS4_3ELS4_3ELNS0_20block_scan_algorithmE0ELj4294967295EEENS1_25partition_config_selectorILNS1_17partition_subalgoE4EjNS0_10empty_typeEbEEZZNS1_14partition_implILS8_4ELb0ES6_15HIP_vector_typeIjLj2EENS0_17counting_iteratorIjlEEPS9_SG_NS0_5tupleIJPjSI_NS0_16reverse_iteratorISI_EEEEENSH_IJSG_SG_SG_EEES9_SI_JZNS1_25segmented_radix_sort_implINS0_14default_configELb0EPKiPiPKlPlN2at6native12_GLOBAL__N_18offset_tEEE10hipError_tPvRmT1_PNSt15iterator_traitsIS12_E10value_typeET2_T3_PNS13_IS18_E10value_typeET4_jRbjT5_S1E_jjP12ihipStream_tbEUljE_ZNSN_ISO_Lb0ESQ_SR_ST_SU_SY_EESZ_S10_S11_S12_S16_S17_S18_S1B_S1C_jS1D_jS1E_S1E_jjS1G_bEUljE0_EEESZ_S10_S11_S18_S1C_S1E_T6_T7_T9_mT8_S1G_bDpT10_ENKUlT_T0_E_clISt17integral_constantIbLb0EES1U_EEDaS1P_S1Q_EUlS1P_E_NS1_11comp_targetILNS1_3genE10ELNS1_11target_archE1200ELNS1_3gpuE4ELNS1_3repE0EEENS1_30default_config_static_selectorELNS0_4arch9wavefront6targetE1EEEvS12_ ; -- Begin function _ZN7rocprim17ROCPRIM_400000_NS6detail17trampoline_kernelINS0_13select_configILj256ELj13ELNS0_17block_load_methodE3ELS4_3ELS4_3ELNS0_20block_scan_algorithmE0ELj4294967295EEENS1_25partition_config_selectorILNS1_17partition_subalgoE4EjNS0_10empty_typeEbEEZZNS1_14partition_implILS8_4ELb0ES6_15HIP_vector_typeIjLj2EENS0_17counting_iteratorIjlEEPS9_SG_NS0_5tupleIJPjSI_NS0_16reverse_iteratorISI_EEEEENSH_IJSG_SG_SG_EEES9_SI_JZNS1_25segmented_radix_sort_implINS0_14default_configELb0EPKiPiPKlPlN2at6native12_GLOBAL__N_18offset_tEEE10hipError_tPvRmT1_PNSt15iterator_traitsIS12_E10value_typeET2_T3_PNS13_IS18_E10value_typeET4_jRbjT5_S1E_jjP12ihipStream_tbEUljE_ZNSN_ISO_Lb0ESQ_SR_ST_SU_SY_EESZ_S10_S11_S12_S16_S17_S18_S1B_S1C_jS1D_jS1E_S1E_jjS1G_bEUljE0_EEESZ_S10_S11_S18_S1C_S1E_T6_T7_T9_mT8_S1G_bDpT10_ENKUlT_T0_E_clISt17integral_constantIbLb0EES1U_EEDaS1P_S1Q_EUlS1P_E_NS1_11comp_targetILNS1_3genE10ELNS1_11target_archE1200ELNS1_3gpuE4ELNS1_3repE0EEENS1_30default_config_static_selectorELNS0_4arch9wavefront6targetE1EEEvS12_
	.p2align	8
	.type	_ZN7rocprim17ROCPRIM_400000_NS6detail17trampoline_kernelINS0_13select_configILj256ELj13ELNS0_17block_load_methodE3ELS4_3ELS4_3ELNS0_20block_scan_algorithmE0ELj4294967295EEENS1_25partition_config_selectorILNS1_17partition_subalgoE4EjNS0_10empty_typeEbEEZZNS1_14partition_implILS8_4ELb0ES6_15HIP_vector_typeIjLj2EENS0_17counting_iteratorIjlEEPS9_SG_NS0_5tupleIJPjSI_NS0_16reverse_iteratorISI_EEEEENSH_IJSG_SG_SG_EEES9_SI_JZNS1_25segmented_radix_sort_implINS0_14default_configELb0EPKiPiPKlPlN2at6native12_GLOBAL__N_18offset_tEEE10hipError_tPvRmT1_PNSt15iterator_traitsIS12_E10value_typeET2_T3_PNS13_IS18_E10value_typeET4_jRbjT5_S1E_jjP12ihipStream_tbEUljE_ZNSN_ISO_Lb0ESQ_SR_ST_SU_SY_EESZ_S10_S11_S12_S16_S17_S18_S1B_S1C_jS1D_jS1E_S1E_jjS1G_bEUljE0_EEESZ_S10_S11_S18_S1C_S1E_T6_T7_T9_mT8_S1G_bDpT10_ENKUlT_T0_E_clISt17integral_constantIbLb0EES1U_EEDaS1P_S1Q_EUlS1P_E_NS1_11comp_targetILNS1_3genE10ELNS1_11target_archE1200ELNS1_3gpuE4ELNS1_3repE0EEENS1_30default_config_static_selectorELNS0_4arch9wavefront6targetE1EEEvS12_,@function
_ZN7rocprim17ROCPRIM_400000_NS6detail17trampoline_kernelINS0_13select_configILj256ELj13ELNS0_17block_load_methodE3ELS4_3ELS4_3ELNS0_20block_scan_algorithmE0ELj4294967295EEENS1_25partition_config_selectorILNS1_17partition_subalgoE4EjNS0_10empty_typeEbEEZZNS1_14partition_implILS8_4ELb0ES6_15HIP_vector_typeIjLj2EENS0_17counting_iteratorIjlEEPS9_SG_NS0_5tupleIJPjSI_NS0_16reverse_iteratorISI_EEEEENSH_IJSG_SG_SG_EEES9_SI_JZNS1_25segmented_radix_sort_implINS0_14default_configELb0EPKiPiPKlPlN2at6native12_GLOBAL__N_18offset_tEEE10hipError_tPvRmT1_PNSt15iterator_traitsIS12_E10value_typeET2_T3_PNS13_IS18_E10value_typeET4_jRbjT5_S1E_jjP12ihipStream_tbEUljE_ZNSN_ISO_Lb0ESQ_SR_ST_SU_SY_EESZ_S10_S11_S12_S16_S17_S18_S1B_S1C_jS1D_jS1E_S1E_jjS1G_bEUljE0_EEESZ_S10_S11_S18_S1C_S1E_T6_T7_T9_mT8_S1G_bDpT10_ENKUlT_T0_E_clISt17integral_constantIbLb0EES1U_EEDaS1P_S1Q_EUlS1P_E_NS1_11comp_targetILNS1_3genE10ELNS1_11target_archE1200ELNS1_3gpuE4ELNS1_3repE0EEENS1_30default_config_static_selectorELNS0_4arch9wavefront6targetE1EEEvS12_: ; @_ZN7rocprim17ROCPRIM_400000_NS6detail17trampoline_kernelINS0_13select_configILj256ELj13ELNS0_17block_load_methodE3ELS4_3ELS4_3ELNS0_20block_scan_algorithmE0ELj4294967295EEENS1_25partition_config_selectorILNS1_17partition_subalgoE4EjNS0_10empty_typeEbEEZZNS1_14partition_implILS8_4ELb0ES6_15HIP_vector_typeIjLj2EENS0_17counting_iteratorIjlEEPS9_SG_NS0_5tupleIJPjSI_NS0_16reverse_iteratorISI_EEEEENSH_IJSG_SG_SG_EEES9_SI_JZNS1_25segmented_radix_sort_implINS0_14default_configELb0EPKiPiPKlPlN2at6native12_GLOBAL__N_18offset_tEEE10hipError_tPvRmT1_PNSt15iterator_traitsIS12_E10value_typeET2_T3_PNS13_IS18_E10value_typeET4_jRbjT5_S1E_jjP12ihipStream_tbEUljE_ZNSN_ISO_Lb0ESQ_SR_ST_SU_SY_EESZ_S10_S11_S12_S16_S17_S18_S1B_S1C_jS1D_jS1E_S1E_jjS1G_bEUljE0_EEESZ_S10_S11_S18_S1C_S1E_T6_T7_T9_mT8_S1G_bDpT10_ENKUlT_T0_E_clISt17integral_constantIbLb0EES1U_EEDaS1P_S1Q_EUlS1P_E_NS1_11comp_targetILNS1_3genE10ELNS1_11target_archE1200ELNS1_3gpuE4ELNS1_3repE0EEENS1_30default_config_static_selectorELNS0_4arch9wavefront6targetE1EEEvS12_
; %bb.0:
	.section	.rodata,"a",@progbits
	.p2align	6, 0x0
	.amdhsa_kernel _ZN7rocprim17ROCPRIM_400000_NS6detail17trampoline_kernelINS0_13select_configILj256ELj13ELNS0_17block_load_methodE3ELS4_3ELS4_3ELNS0_20block_scan_algorithmE0ELj4294967295EEENS1_25partition_config_selectorILNS1_17partition_subalgoE4EjNS0_10empty_typeEbEEZZNS1_14partition_implILS8_4ELb0ES6_15HIP_vector_typeIjLj2EENS0_17counting_iteratorIjlEEPS9_SG_NS0_5tupleIJPjSI_NS0_16reverse_iteratorISI_EEEEENSH_IJSG_SG_SG_EEES9_SI_JZNS1_25segmented_radix_sort_implINS0_14default_configELb0EPKiPiPKlPlN2at6native12_GLOBAL__N_18offset_tEEE10hipError_tPvRmT1_PNSt15iterator_traitsIS12_E10value_typeET2_T3_PNS13_IS18_E10value_typeET4_jRbjT5_S1E_jjP12ihipStream_tbEUljE_ZNSN_ISO_Lb0ESQ_SR_ST_SU_SY_EESZ_S10_S11_S12_S16_S17_S18_S1B_S1C_jS1D_jS1E_S1E_jjS1G_bEUljE0_EEESZ_S10_S11_S18_S1C_S1E_T6_T7_T9_mT8_S1G_bDpT10_ENKUlT_T0_E_clISt17integral_constantIbLb0EES1U_EEDaS1P_S1Q_EUlS1P_E_NS1_11comp_targetILNS1_3genE10ELNS1_11target_archE1200ELNS1_3gpuE4ELNS1_3repE0EEENS1_30default_config_static_selectorELNS0_4arch9wavefront6targetE1EEEvS12_
		.amdhsa_group_segment_fixed_size 0
		.amdhsa_private_segment_fixed_size 0
		.amdhsa_kernarg_size 176
		.amdhsa_user_sgpr_count 6
		.amdhsa_user_sgpr_private_segment_buffer 1
		.amdhsa_user_sgpr_dispatch_ptr 0
		.amdhsa_user_sgpr_queue_ptr 0
		.amdhsa_user_sgpr_kernarg_segment_ptr 1
		.amdhsa_user_sgpr_dispatch_id 0
		.amdhsa_user_sgpr_flat_scratch_init 0
		.amdhsa_user_sgpr_private_segment_size 0
		.amdhsa_uses_dynamic_stack 0
		.amdhsa_system_sgpr_private_segment_wavefront_offset 0
		.amdhsa_system_sgpr_workgroup_id_x 1
		.amdhsa_system_sgpr_workgroup_id_y 0
		.amdhsa_system_sgpr_workgroup_id_z 0
		.amdhsa_system_sgpr_workgroup_info 0
		.amdhsa_system_vgpr_workitem_id 0
		.amdhsa_next_free_vgpr 1
		.amdhsa_next_free_sgpr 0
		.amdhsa_reserve_vcc 0
		.amdhsa_reserve_flat_scratch 0
		.amdhsa_float_round_mode_32 0
		.amdhsa_float_round_mode_16_64 0
		.amdhsa_float_denorm_mode_32 3
		.amdhsa_float_denorm_mode_16_64 3
		.amdhsa_dx10_clamp 1
		.amdhsa_ieee_mode 1
		.amdhsa_fp16_overflow 0
		.amdhsa_exception_fp_ieee_invalid_op 0
		.amdhsa_exception_fp_denorm_src 0
		.amdhsa_exception_fp_ieee_div_zero 0
		.amdhsa_exception_fp_ieee_overflow 0
		.amdhsa_exception_fp_ieee_underflow 0
		.amdhsa_exception_fp_ieee_inexact 0
		.amdhsa_exception_int_div_zero 0
	.end_amdhsa_kernel
	.section	.text._ZN7rocprim17ROCPRIM_400000_NS6detail17trampoline_kernelINS0_13select_configILj256ELj13ELNS0_17block_load_methodE3ELS4_3ELS4_3ELNS0_20block_scan_algorithmE0ELj4294967295EEENS1_25partition_config_selectorILNS1_17partition_subalgoE4EjNS0_10empty_typeEbEEZZNS1_14partition_implILS8_4ELb0ES6_15HIP_vector_typeIjLj2EENS0_17counting_iteratorIjlEEPS9_SG_NS0_5tupleIJPjSI_NS0_16reverse_iteratorISI_EEEEENSH_IJSG_SG_SG_EEES9_SI_JZNS1_25segmented_radix_sort_implINS0_14default_configELb0EPKiPiPKlPlN2at6native12_GLOBAL__N_18offset_tEEE10hipError_tPvRmT1_PNSt15iterator_traitsIS12_E10value_typeET2_T3_PNS13_IS18_E10value_typeET4_jRbjT5_S1E_jjP12ihipStream_tbEUljE_ZNSN_ISO_Lb0ESQ_SR_ST_SU_SY_EESZ_S10_S11_S12_S16_S17_S18_S1B_S1C_jS1D_jS1E_S1E_jjS1G_bEUljE0_EEESZ_S10_S11_S18_S1C_S1E_T6_T7_T9_mT8_S1G_bDpT10_ENKUlT_T0_E_clISt17integral_constantIbLb0EES1U_EEDaS1P_S1Q_EUlS1P_E_NS1_11comp_targetILNS1_3genE10ELNS1_11target_archE1200ELNS1_3gpuE4ELNS1_3repE0EEENS1_30default_config_static_selectorELNS0_4arch9wavefront6targetE1EEEvS12_,"axG",@progbits,_ZN7rocprim17ROCPRIM_400000_NS6detail17trampoline_kernelINS0_13select_configILj256ELj13ELNS0_17block_load_methodE3ELS4_3ELS4_3ELNS0_20block_scan_algorithmE0ELj4294967295EEENS1_25partition_config_selectorILNS1_17partition_subalgoE4EjNS0_10empty_typeEbEEZZNS1_14partition_implILS8_4ELb0ES6_15HIP_vector_typeIjLj2EENS0_17counting_iteratorIjlEEPS9_SG_NS0_5tupleIJPjSI_NS0_16reverse_iteratorISI_EEEEENSH_IJSG_SG_SG_EEES9_SI_JZNS1_25segmented_radix_sort_implINS0_14default_configELb0EPKiPiPKlPlN2at6native12_GLOBAL__N_18offset_tEEE10hipError_tPvRmT1_PNSt15iterator_traitsIS12_E10value_typeET2_T3_PNS13_IS18_E10value_typeET4_jRbjT5_S1E_jjP12ihipStream_tbEUljE_ZNSN_ISO_Lb0ESQ_SR_ST_SU_SY_EESZ_S10_S11_S12_S16_S17_S18_S1B_S1C_jS1D_jS1E_S1E_jjS1G_bEUljE0_EEESZ_S10_S11_S18_S1C_S1E_T6_T7_T9_mT8_S1G_bDpT10_ENKUlT_T0_E_clISt17integral_constantIbLb0EES1U_EEDaS1P_S1Q_EUlS1P_E_NS1_11comp_targetILNS1_3genE10ELNS1_11target_archE1200ELNS1_3gpuE4ELNS1_3repE0EEENS1_30default_config_static_selectorELNS0_4arch9wavefront6targetE1EEEvS12_,comdat
.Lfunc_end541:
	.size	_ZN7rocprim17ROCPRIM_400000_NS6detail17trampoline_kernelINS0_13select_configILj256ELj13ELNS0_17block_load_methodE3ELS4_3ELS4_3ELNS0_20block_scan_algorithmE0ELj4294967295EEENS1_25partition_config_selectorILNS1_17partition_subalgoE4EjNS0_10empty_typeEbEEZZNS1_14partition_implILS8_4ELb0ES6_15HIP_vector_typeIjLj2EENS0_17counting_iteratorIjlEEPS9_SG_NS0_5tupleIJPjSI_NS0_16reverse_iteratorISI_EEEEENSH_IJSG_SG_SG_EEES9_SI_JZNS1_25segmented_radix_sort_implINS0_14default_configELb0EPKiPiPKlPlN2at6native12_GLOBAL__N_18offset_tEEE10hipError_tPvRmT1_PNSt15iterator_traitsIS12_E10value_typeET2_T3_PNS13_IS18_E10value_typeET4_jRbjT5_S1E_jjP12ihipStream_tbEUljE_ZNSN_ISO_Lb0ESQ_SR_ST_SU_SY_EESZ_S10_S11_S12_S16_S17_S18_S1B_S1C_jS1D_jS1E_S1E_jjS1G_bEUljE0_EEESZ_S10_S11_S18_S1C_S1E_T6_T7_T9_mT8_S1G_bDpT10_ENKUlT_T0_E_clISt17integral_constantIbLb0EES1U_EEDaS1P_S1Q_EUlS1P_E_NS1_11comp_targetILNS1_3genE10ELNS1_11target_archE1200ELNS1_3gpuE4ELNS1_3repE0EEENS1_30default_config_static_selectorELNS0_4arch9wavefront6targetE1EEEvS12_, .Lfunc_end541-_ZN7rocprim17ROCPRIM_400000_NS6detail17trampoline_kernelINS0_13select_configILj256ELj13ELNS0_17block_load_methodE3ELS4_3ELS4_3ELNS0_20block_scan_algorithmE0ELj4294967295EEENS1_25partition_config_selectorILNS1_17partition_subalgoE4EjNS0_10empty_typeEbEEZZNS1_14partition_implILS8_4ELb0ES6_15HIP_vector_typeIjLj2EENS0_17counting_iteratorIjlEEPS9_SG_NS0_5tupleIJPjSI_NS0_16reverse_iteratorISI_EEEEENSH_IJSG_SG_SG_EEES9_SI_JZNS1_25segmented_radix_sort_implINS0_14default_configELb0EPKiPiPKlPlN2at6native12_GLOBAL__N_18offset_tEEE10hipError_tPvRmT1_PNSt15iterator_traitsIS12_E10value_typeET2_T3_PNS13_IS18_E10value_typeET4_jRbjT5_S1E_jjP12ihipStream_tbEUljE_ZNSN_ISO_Lb0ESQ_SR_ST_SU_SY_EESZ_S10_S11_S12_S16_S17_S18_S1B_S1C_jS1D_jS1E_S1E_jjS1G_bEUljE0_EEESZ_S10_S11_S18_S1C_S1E_T6_T7_T9_mT8_S1G_bDpT10_ENKUlT_T0_E_clISt17integral_constantIbLb0EES1U_EEDaS1P_S1Q_EUlS1P_E_NS1_11comp_targetILNS1_3genE10ELNS1_11target_archE1200ELNS1_3gpuE4ELNS1_3repE0EEENS1_30default_config_static_selectorELNS0_4arch9wavefront6targetE1EEEvS12_
                                        ; -- End function
	.set _ZN7rocprim17ROCPRIM_400000_NS6detail17trampoline_kernelINS0_13select_configILj256ELj13ELNS0_17block_load_methodE3ELS4_3ELS4_3ELNS0_20block_scan_algorithmE0ELj4294967295EEENS1_25partition_config_selectorILNS1_17partition_subalgoE4EjNS0_10empty_typeEbEEZZNS1_14partition_implILS8_4ELb0ES6_15HIP_vector_typeIjLj2EENS0_17counting_iteratorIjlEEPS9_SG_NS0_5tupleIJPjSI_NS0_16reverse_iteratorISI_EEEEENSH_IJSG_SG_SG_EEES9_SI_JZNS1_25segmented_radix_sort_implINS0_14default_configELb0EPKiPiPKlPlN2at6native12_GLOBAL__N_18offset_tEEE10hipError_tPvRmT1_PNSt15iterator_traitsIS12_E10value_typeET2_T3_PNS13_IS18_E10value_typeET4_jRbjT5_S1E_jjP12ihipStream_tbEUljE_ZNSN_ISO_Lb0ESQ_SR_ST_SU_SY_EESZ_S10_S11_S12_S16_S17_S18_S1B_S1C_jS1D_jS1E_S1E_jjS1G_bEUljE0_EEESZ_S10_S11_S18_S1C_S1E_T6_T7_T9_mT8_S1G_bDpT10_ENKUlT_T0_E_clISt17integral_constantIbLb0EES1U_EEDaS1P_S1Q_EUlS1P_E_NS1_11comp_targetILNS1_3genE10ELNS1_11target_archE1200ELNS1_3gpuE4ELNS1_3repE0EEENS1_30default_config_static_selectorELNS0_4arch9wavefront6targetE1EEEvS12_.num_vgpr, 0
	.set _ZN7rocprim17ROCPRIM_400000_NS6detail17trampoline_kernelINS0_13select_configILj256ELj13ELNS0_17block_load_methodE3ELS4_3ELS4_3ELNS0_20block_scan_algorithmE0ELj4294967295EEENS1_25partition_config_selectorILNS1_17partition_subalgoE4EjNS0_10empty_typeEbEEZZNS1_14partition_implILS8_4ELb0ES6_15HIP_vector_typeIjLj2EENS0_17counting_iteratorIjlEEPS9_SG_NS0_5tupleIJPjSI_NS0_16reverse_iteratorISI_EEEEENSH_IJSG_SG_SG_EEES9_SI_JZNS1_25segmented_radix_sort_implINS0_14default_configELb0EPKiPiPKlPlN2at6native12_GLOBAL__N_18offset_tEEE10hipError_tPvRmT1_PNSt15iterator_traitsIS12_E10value_typeET2_T3_PNS13_IS18_E10value_typeET4_jRbjT5_S1E_jjP12ihipStream_tbEUljE_ZNSN_ISO_Lb0ESQ_SR_ST_SU_SY_EESZ_S10_S11_S12_S16_S17_S18_S1B_S1C_jS1D_jS1E_S1E_jjS1G_bEUljE0_EEESZ_S10_S11_S18_S1C_S1E_T6_T7_T9_mT8_S1G_bDpT10_ENKUlT_T0_E_clISt17integral_constantIbLb0EES1U_EEDaS1P_S1Q_EUlS1P_E_NS1_11comp_targetILNS1_3genE10ELNS1_11target_archE1200ELNS1_3gpuE4ELNS1_3repE0EEENS1_30default_config_static_selectorELNS0_4arch9wavefront6targetE1EEEvS12_.num_agpr, 0
	.set _ZN7rocprim17ROCPRIM_400000_NS6detail17trampoline_kernelINS0_13select_configILj256ELj13ELNS0_17block_load_methodE3ELS4_3ELS4_3ELNS0_20block_scan_algorithmE0ELj4294967295EEENS1_25partition_config_selectorILNS1_17partition_subalgoE4EjNS0_10empty_typeEbEEZZNS1_14partition_implILS8_4ELb0ES6_15HIP_vector_typeIjLj2EENS0_17counting_iteratorIjlEEPS9_SG_NS0_5tupleIJPjSI_NS0_16reverse_iteratorISI_EEEEENSH_IJSG_SG_SG_EEES9_SI_JZNS1_25segmented_radix_sort_implINS0_14default_configELb0EPKiPiPKlPlN2at6native12_GLOBAL__N_18offset_tEEE10hipError_tPvRmT1_PNSt15iterator_traitsIS12_E10value_typeET2_T3_PNS13_IS18_E10value_typeET4_jRbjT5_S1E_jjP12ihipStream_tbEUljE_ZNSN_ISO_Lb0ESQ_SR_ST_SU_SY_EESZ_S10_S11_S12_S16_S17_S18_S1B_S1C_jS1D_jS1E_S1E_jjS1G_bEUljE0_EEESZ_S10_S11_S18_S1C_S1E_T6_T7_T9_mT8_S1G_bDpT10_ENKUlT_T0_E_clISt17integral_constantIbLb0EES1U_EEDaS1P_S1Q_EUlS1P_E_NS1_11comp_targetILNS1_3genE10ELNS1_11target_archE1200ELNS1_3gpuE4ELNS1_3repE0EEENS1_30default_config_static_selectorELNS0_4arch9wavefront6targetE1EEEvS12_.numbered_sgpr, 0
	.set _ZN7rocprim17ROCPRIM_400000_NS6detail17trampoline_kernelINS0_13select_configILj256ELj13ELNS0_17block_load_methodE3ELS4_3ELS4_3ELNS0_20block_scan_algorithmE0ELj4294967295EEENS1_25partition_config_selectorILNS1_17partition_subalgoE4EjNS0_10empty_typeEbEEZZNS1_14partition_implILS8_4ELb0ES6_15HIP_vector_typeIjLj2EENS0_17counting_iteratorIjlEEPS9_SG_NS0_5tupleIJPjSI_NS0_16reverse_iteratorISI_EEEEENSH_IJSG_SG_SG_EEES9_SI_JZNS1_25segmented_radix_sort_implINS0_14default_configELb0EPKiPiPKlPlN2at6native12_GLOBAL__N_18offset_tEEE10hipError_tPvRmT1_PNSt15iterator_traitsIS12_E10value_typeET2_T3_PNS13_IS18_E10value_typeET4_jRbjT5_S1E_jjP12ihipStream_tbEUljE_ZNSN_ISO_Lb0ESQ_SR_ST_SU_SY_EESZ_S10_S11_S12_S16_S17_S18_S1B_S1C_jS1D_jS1E_S1E_jjS1G_bEUljE0_EEESZ_S10_S11_S18_S1C_S1E_T6_T7_T9_mT8_S1G_bDpT10_ENKUlT_T0_E_clISt17integral_constantIbLb0EES1U_EEDaS1P_S1Q_EUlS1P_E_NS1_11comp_targetILNS1_3genE10ELNS1_11target_archE1200ELNS1_3gpuE4ELNS1_3repE0EEENS1_30default_config_static_selectorELNS0_4arch9wavefront6targetE1EEEvS12_.num_named_barrier, 0
	.set _ZN7rocprim17ROCPRIM_400000_NS6detail17trampoline_kernelINS0_13select_configILj256ELj13ELNS0_17block_load_methodE3ELS4_3ELS4_3ELNS0_20block_scan_algorithmE0ELj4294967295EEENS1_25partition_config_selectorILNS1_17partition_subalgoE4EjNS0_10empty_typeEbEEZZNS1_14partition_implILS8_4ELb0ES6_15HIP_vector_typeIjLj2EENS0_17counting_iteratorIjlEEPS9_SG_NS0_5tupleIJPjSI_NS0_16reverse_iteratorISI_EEEEENSH_IJSG_SG_SG_EEES9_SI_JZNS1_25segmented_radix_sort_implINS0_14default_configELb0EPKiPiPKlPlN2at6native12_GLOBAL__N_18offset_tEEE10hipError_tPvRmT1_PNSt15iterator_traitsIS12_E10value_typeET2_T3_PNS13_IS18_E10value_typeET4_jRbjT5_S1E_jjP12ihipStream_tbEUljE_ZNSN_ISO_Lb0ESQ_SR_ST_SU_SY_EESZ_S10_S11_S12_S16_S17_S18_S1B_S1C_jS1D_jS1E_S1E_jjS1G_bEUljE0_EEESZ_S10_S11_S18_S1C_S1E_T6_T7_T9_mT8_S1G_bDpT10_ENKUlT_T0_E_clISt17integral_constantIbLb0EES1U_EEDaS1P_S1Q_EUlS1P_E_NS1_11comp_targetILNS1_3genE10ELNS1_11target_archE1200ELNS1_3gpuE4ELNS1_3repE0EEENS1_30default_config_static_selectorELNS0_4arch9wavefront6targetE1EEEvS12_.private_seg_size, 0
	.set _ZN7rocprim17ROCPRIM_400000_NS6detail17trampoline_kernelINS0_13select_configILj256ELj13ELNS0_17block_load_methodE3ELS4_3ELS4_3ELNS0_20block_scan_algorithmE0ELj4294967295EEENS1_25partition_config_selectorILNS1_17partition_subalgoE4EjNS0_10empty_typeEbEEZZNS1_14partition_implILS8_4ELb0ES6_15HIP_vector_typeIjLj2EENS0_17counting_iteratorIjlEEPS9_SG_NS0_5tupleIJPjSI_NS0_16reverse_iteratorISI_EEEEENSH_IJSG_SG_SG_EEES9_SI_JZNS1_25segmented_radix_sort_implINS0_14default_configELb0EPKiPiPKlPlN2at6native12_GLOBAL__N_18offset_tEEE10hipError_tPvRmT1_PNSt15iterator_traitsIS12_E10value_typeET2_T3_PNS13_IS18_E10value_typeET4_jRbjT5_S1E_jjP12ihipStream_tbEUljE_ZNSN_ISO_Lb0ESQ_SR_ST_SU_SY_EESZ_S10_S11_S12_S16_S17_S18_S1B_S1C_jS1D_jS1E_S1E_jjS1G_bEUljE0_EEESZ_S10_S11_S18_S1C_S1E_T6_T7_T9_mT8_S1G_bDpT10_ENKUlT_T0_E_clISt17integral_constantIbLb0EES1U_EEDaS1P_S1Q_EUlS1P_E_NS1_11comp_targetILNS1_3genE10ELNS1_11target_archE1200ELNS1_3gpuE4ELNS1_3repE0EEENS1_30default_config_static_selectorELNS0_4arch9wavefront6targetE1EEEvS12_.uses_vcc, 0
	.set _ZN7rocprim17ROCPRIM_400000_NS6detail17trampoline_kernelINS0_13select_configILj256ELj13ELNS0_17block_load_methodE3ELS4_3ELS4_3ELNS0_20block_scan_algorithmE0ELj4294967295EEENS1_25partition_config_selectorILNS1_17partition_subalgoE4EjNS0_10empty_typeEbEEZZNS1_14partition_implILS8_4ELb0ES6_15HIP_vector_typeIjLj2EENS0_17counting_iteratorIjlEEPS9_SG_NS0_5tupleIJPjSI_NS0_16reverse_iteratorISI_EEEEENSH_IJSG_SG_SG_EEES9_SI_JZNS1_25segmented_radix_sort_implINS0_14default_configELb0EPKiPiPKlPlN2at6native12_GLOBAL__N_18offset_tEEE10hipError_tPvRmT1_PNSt15iterator_traitsIS12_E10value_typeET2_T3_PNS13_IS18_E10value_typeET4_jRbjT5_S1E_jjP12ihipStream_tbEUljE_ZNSN_ISO_Lb0ESQ_SR_ST_SU_SY_EESZ_S10_S11_S12_S16_S17_S18_S1B_S1C_jS1D_jS1E_S1E_jjS1G_bEUljE0_EEESZ_S10_S11_S18_S1C_S1E_T6_T7_T9_mT8_S1G_bDpT10_ENKUlT_T0_E_clISt17integral_constantIbLb0EES1U_EEDaS1P_S1Q_EUlS1P_E_NS1_11comp_targetILNS1_3genE10ELNS1_11target_archE1200ELNS1_3gpuE4ELNS1_3repE0EEENS1_30default_config_static_selectorELNS0_4arch9wavefront6targetE1EEEvS12_.uses_flat_scratch, 0
	.set _ZN7rocprim17ROCPRIM_400000_NS6detail17trampoline_kernelINS0_13select_configILj256ELj13ELNS0_17block_load_methodE3ELS4_3ELS4_3ELNS0_20block_scan_algorithmE0ELj4294967295EEENS1_25partition_config_selectorILNS1_17partition_subalgoE4EjNS0_10empty_typeEbEEZZNS1_14partition_implILS8_4ELb0ES6_15HIP_vector_typeIjLj2EENS0_17counting_iteratorIjlEEPS9_SG_NS0_5tupleIJPjSI_NS0_16reverse_iteratorISI_EEEEENSH_IJSG_SG_SG_EEES9_SI_JZNS1_25segmented_radix_sort_implINS0_14default_configELb0EPKiPiPKlPlN2at6native12_GLOBAL__N_18offset_tEEE10hipError_tPvRmT1_PNSt15iterator_traitsIS12_E10value_typeET2_T3_PNS13_IS18_E10value_typeET4_jRbjT5_S1E_jjP12ihipStream_tbEUljE_ZNSN_ISO_Lb0ESQ_SR_ST_SU_SY_EESZ_S10_S11_S12_S16_S17_S18_S1B_S1C_jS1D_jS1E_S1E_jjS1G_bEUljE0_EEESZ_S10_S11_S18_S1C_S1E_T6_T7_T9_mT8_S1G_bDpT10_ENKUlT_T0_E_clISt17integral_constantIbLb0EES1U_EEDaS1P_S1Q_EUlS1P_E_NS1_11comp_targetILNS1_3genE10ELNS1_11target_archE1200ELNS1_3gpuE4ELNS1_3repE0EEENS1_30default_config_static_selectorELNS0_4arch9wavefront6targetE1EEEvS12_.has_dyn_sized_stack, 0
	.set _ZN7rocprim17ROCPRIM_400000_NS6detail17trampoline_kernelINS0_13select_configILj256ELj13ELNS0_17block_load_methodE3ELS4_3ELS4_3ELNS0_20block_scan_algorithmE0ELj4294967295EEENS1_25partition_config_selectorILNS1_17partition_subalgoE4EjNS0_10empty_typeEbEEZZNS1_14partition_implILS8_4ELb0ES6_15HIP_vector_typeIjLj2EENS0_17counting_iteratorIjlEEPS9_SG_NS0_5tupleIJPjSI_NS0_16reverse_iteratorISI_EEEEENSH_IJSG_SG_SG_EEES9_SI_JZNS1_25segmented_radix_sort_implINS0_14default_configELb0EPKiPiPKlPlN2at6native12_GLOBAL__N_18offset_tEEE10hipError_tPvRmT1_PNSt15iterator_traitsIS12_E10value_typeET2_T3_PNS13_IS18_E10value_typeET4_jRbjT5_S1E_jjP12ihipStream_tbEUljE_ZNSN_ISO_Lb0ESQ_SR_ST_SU_SY_EESZ_S10_S11_S12_S16_S17_S18_S1B_S1C_jS1D_jS1E_S1E_jjS1G_bEUljE0_EEESZ_S10_S11_S18_S1C_S1E_T6_T7_T9_mT8_S1G_bDpT10_ENKUlT_T0_E_clISt17integral_constantIbLb0EES1U_EEDaS1P_S1Q_EUlS1P_E_NS1_11comp_targetILNS1_3genE10ELNS1_11target_archE1200ELNS1_3gpuE4ELNS1_3repE0EEENS1_30default_config_static_selectorELNS0_4arch9wavefront6targetE1EEEvS12_.has_recursion, 0
	.set _ZN7rocprim17ROCPRIM_400000_NS6detail17trampoline_kernelINS0_13select_configILj256ELj13ELNS0_17block_load_methodE3ELS4_3ELS4_3ELNS0_20block_scan_algorithmE0ELj4294967295EEENS1_25partition_config_selectorILNS1_17partition_subalgoE4EjNS0_10empty_typeEbEEZZNS1_14partition_implILS8_4ELb0ES6_15HIP_vector_typeIjLj2EENS0_17counting_iteratorIjlEEPS9_SG_NS0_5tupleIJPjSI_NS0_16reverse_iteratorISI_EEEEENSH_IJSG_SG_SG_EEES9_SI_JZNS1_25segmented_radix_sort_implINS0_14default_configELb0EPKiPiPKlPlN2at6native12_GLOBAL__N_18offset_tEEE10hipError_tPvRmT1_PNSt15iterator_traitsIS12_E10value_typeET2_T3_PNS13_IS18_E10value_typeET4_jRbjT5_S1E_jjP12ihipStream_tbEUljE_ZNSN_ISO_Lb0ESQ_SR_ST_SU_SY_EESZ_S10_S11_S12_S16_S17_S18_S1B_S1C_jS1D_jS1E_S1E_jjS1G_bEUljE0_EEESZ_S10_S11_S18_S1C_S1E_T6_T7_T9_mT8_S1G_bDpT10_ENKUlT_T0_E_clISt17integral_constantIbLb0EES1U_EEDaS1P_S1Q_EUlS1P_E_NS1_11comp_targetILNS1_3genE10ELNS1_11target_archE1200ELNS1_3gpuE4ELNS1_3repE0EEENS1_30default_config_static_selectorELNS0_4arch9wavefront6targetE1EEEvS12_.has_indirect_call, 0
	.section	.AMDGPU.csdata,"",@progbits
; Kernel info:
; codeLenInByte = 0
; TotalNumSgprs: 4
; NumVgprs: 0
; ScratchSize: 0
; MemoryBound: 0
; FloatMode: 240
; IeeeMode: 1
; LDSByteSize: 0 bytes/workgroup (compile time only)
; SGPRBlocks: 0
; VGPRBlocks: 0
; NumSGPRsForWavesPerEU: 4
; NumVGPRsForWavesPerEU: 1
; Occupancy: 10
; WaveLimiterHint : 0
; COMPUTE_PGM_RSRC2:SCRATCH_EN: 0
; COMPUTE_PGM_RSRC2:USER_SGPR: 6
; COMPUTE_PGM_RSRC2:TRAP_HANDLER: 0
; COMPUTE_PGM_RSRC2:TGID_X_EN: 1
; COMPUTE_PGM_RSRC2:TGID_Y_EN: 0
; COMPUTE_PGM_RSRC2:TGID_Z_EN: 0
; COMPUTE_PGM_RSRC2:TIDIG_COMP_CNT: 0
	.section	.text._ZN7rocprim17ROCPRIM_400000_NS6detail17trampoline_kernelINS0_13select_configILj256ELj13ELNS0_17block_load_methodE3ELS4_3ELS4_3ELNS0_20block_scan_algorithmE0ELj4294967295EEENS1_25partition_config_selectorILNS1_17partition_subalgoE4EjNS0_10empty_typeEbEEZZNS1_14partition_implILS8_4ELb0ES6_15HIP_vector_typeIjLj2EENS0_17counting_iteratorIjlEEPS9_SG_NS0_5tupleIJPjSI_NS0_16reverse_iteratorISI_EEEEENSH_IJSG_SG_SG_EEES9_SI_JZNS1_25segmented_radix_sort_implINS0_14default_configELb0EPKiPiPKlPlN2at6native12_GLOBAL__N_18offset_tEEE10hipError_tPvRmT1_PNSt15iterator_traitsIS12_E10value_typeET2_T3_PNS13_IS18_E10value_typeET4_jRbjT5_S1E_jjP12ihipStream_tbEUljE_ZNSN_ISO_Lb0ESQ_SR_ST_SU_SY_EESZ_S10_S11_S12_S16_S17_S18_S1B_S1C_jS1D_jS1E_S1E_jjS1G_bEUljE0_EEESZ_S10_S11_S18_S1C_S1E_T6_T7_T9_mT8_S1G_bDpT10_ENKUlT_T0_E_clISt17integral_constantIbLb0EES1U_EEDaS1P_S1Q_EUlS1P_E_NS1_11comp_targetILNS1_3genE9ELNS1_11target_archE1100ELNS1_3gpuE3ELNS1_3repE0EEENS1_30default_config_static_selectorELNS0_4arch9wavefront6targetE1EEEvS12_,"axG",@progbits,_ZN7rocprim17ROCPRIM_400000_NS6detail17trampoline_kernelINS0_13select_configILj256ELj13ELNS0_17block_load_methodE3ELS4_3ELS4_3ELNS0_20block_scan_algorithmE0ELj4294967295EEENS1_25partition_config_selectorILNS1_17partition_subalgoE4EjNS0_10empty_typeEbEEZZNS1_14partition_implILS8_4ELb0ES6_15HIP_vector_typeIjLj2EENS0_17counting_iteratorIjlEEPS9_SG_NS0_5tupleIJPjSI_NS0_16reverse_iteratorISI_EEEEENSH_IJSG_SG_SG_EEES9_SI_JZNS1_25segmented_radix_sort_implINS0_14default_configELb0EPKiPiPKlPlN2at6native12_GLOBAL__N_18offset_tEEE10hipError_tPvRmT1_PNSt15iterator_traitsIS12_E10value_typeET2_T3_PNS13_IS18_E10value_typeET4_jRbjT5_S1E_jjP12ihipStream_tbEUljE_ZNSN_ISO_Lb0ESQ_SR_ST_SU_SY_EESZ_S10_S11_S12_S16_S17_S18_S1B_S1C_jS1D_jS1E_S1E_jjS1G_bEUljE0_EEESZ_S10_S11_S18_S1C_S1E_T6_T7_T9_mT8_S1G_bDpT10_ENKUlT_T0_E_clISt17integral_constantIbLb0EES1U_EEDaS1P_S1Q_EUlS1P_E_NS1_11comp_targetILNS1_3genE9ELNS1_11target_archE1100ELNS1_3gpuE3ELNS1_3repE0EEENS1_30default_config_static_selectorELNS0_4arch9wavefront6targetE1EEEvS12_,comdat
	.globl	_ZN7rocprim17ROCPRIM_400000_NS6detail17trampoline_kernelINS0_13select_configILj256ELj13ELNS0_17block_load_methodE3ELS4_3ELS4_3ELNS0_20block_scan_algorithmE0ELj4294967295EEENS1_25partition_config_selectorILNS1_17partition_subalgoE4EjNS0_10empty_typeEbEEZZNS1_14partition_implILS8_4ELb0ES6_15HIP_vector_typeIjLj2EENS0_17counting_iteratorIjlEEPS9_SG_NS0_5tupleIJPjSI_NS0_16reverse_iteratorISI_EEEEENSH_IJSG_SG_SG_EEES9_SI_JZNS1_25segmented_radix_sort_implINS0_14default_configELb0EPKiPiPKlPlN2at6native12_GLOBAL__N_18offset_tEEE10hipError_tPvRmT1_PNSt15iterator_traitsIS12_E10value_typeET2_T3_PNS13_IS18_E10value_typeET4_jRbjT5_S1E_jjP12ihipStream_tbEUljE_ZNSN_ISO_Lb0ESQ_SR_ST_SU_SY_EESZ_S10_S11_S12_S16_S17_S18_S1B_S1C_jS1D_jS1E_S1E_jjS1G_bEUljE0_EEESZ_S10_S11_S18_S1C_S1E_T6_T7_T9_mT8_S1G_bDpT10_ENKUlT_T0_E_clISt17integral_constantIbLb0EES1U_EEDaS1P_S1Q_EUlS1P_E_NS1_11comp_targetILNS1_3genE9ELNS1_11target_archE1100ELNS1_3gpuE3ELNS1_3repE0EEENS1_30default_config_static_selectorELNS0_4arch9wavefront6targetE1EEEvS12_ ; -- Begin function _ZN7rocprim17ROCPRIM_400000_NS6detail17trampoline_kernelINS0_13select_configILj256ELj13ELNS0_17block_load_methodE3ELS4_3ELS4_3ELNS0_20block_scan_algorithmE0ELj4294967295EEENS1_25partition_config_selectorILNS1_17partition_subalgoE4EjNS0_10empty_typeEbEEZZNS1_14partition_implILS8_4ELb0ES6_15HIP_vector_typeIjLj2EENS0_17counting_iteratorIjlEEPS9_SG_NS0_5tupleIJPjSI_NS0_16reverse_iteratorISI_EEEEENSH_IJSG_SG_SG_EEES9_SI_JZNS1_25segmented_radix_sort_implINS0_14default_configELb0EPKiPiPKlPlN2at6native12_GLOBAL__N_18offset_tEEE10hipError_tPvRmT1_PNSt15iterator_traitsIS12_E10value_typeET2_T3_PNS13_IS18_E10value_typeET4_jRbjT5_S1E_jjP12ihipStream_tbEUljE_ZNSN_ISO_Lb0ESQ_SR_ST_SU_SY_EESZ_S10_S11_S12_S16_S17_S18_S1B_S1C_jS1D_jS1E_S1E_jjS1G_bEUljE0_EEESZ_S10_S11_S18_S1C_S1E_T6_T7_T9_mT8_S1G_bDpT10_ENKUlT_T0_E_clISt17integral_constantIbLb0EES1U_EEDaS1P_S1Q_EUlS1P_E_NS1_11comp_targetILNS1_3genE9ELNS1_11target_archE1100ELNS1_3gpuE3ELNS1_3repE0EEENS1_30default_config_static_selectorELNS0_4arch9wavefront6targetE1EEEvS12_
	.p2align	8
	.type	_ZN7rocprim17ROCPRIM_400000_NS6detail17trampoline_kernelINS0_13select_configILj256ELj13ELNS0_17block_load_methodE3ELS4_3ELS4_3ELNS0_20block_scan_algorithmE0ELj4294967295EEENS1_25partition_config_selectorILNS1_17partition_subalgoE4EjNS0_10empty_typeEbEEZZNS1_14partition_implILS8_4ELb0ES6_15HIP_vector_typeIjLj2EENS0_17counting_iteratorIjlEEPS9_SG_NS0_5tupleIJPjSI_NS0_16reverse_iteratorISI_EEEEENSH_IJSG_SG_SG_EEES9_SI_JZNS1_25segmented_radix_sort_implINS0_14default_configELb0EPKiPiPKlPlN2at6native12_GLOBAL__N_18offset_tEEE10hipError_tPvRmT1_PNSt15iterator_traitsIS12_E10value_typeET2_T3_PNS13_IS18_E10value_typeET4_jRbjT5_S1E_jjP12ihipStream_tbEUljE_ZNSN_ISO_Lb0ESQ_SR_ST_SU_SY_EESZ_S10_S11_S12_S16_S17_S18_S1B_S1C_jS1D_jS1E_S1E_jjS1G_bEUljE0_EEESZ_S10_S11_S18_S1C_S1E_T6_T7_T9_mT8_S1G_bDpT10_ENKUlT_T0_E_clISt17integral_constantIbLb0EES1U_EEDaS1P_S1Q_EUlS1P_E_NS1_11comp_targetILNS1_3genE9ELNS1_11target_archE1100ELNS1_3gpuE3ELNS1_3repE0EEENS1_30default_config_static_selectorELNS0_4arch9wavefront6targetE1EEEvS12_,@function
_ZN7rocprim17ROCPRIM_400000_NS6detail17trampoline_kernelINS0_13select_configILj256ELj13ELNS0_17block_load_methodE3ELS4_3ELS4_3ELNS0_20block_scan_algorithmE0ELj4294967295EEENS1_25partition_config_selectorILNS1_17partition_subalgoE4EjNS0_10empty_typeEbEEZZNS1_14partition_implILS8_4ELb0ES6_15HIP_vector_typeIjLj2EENS0_17counting_iteratorIjlEEPS9_SG_NS0_5tupleIJPjSI_NS0_16reverse_iteratorISI_EEEEENSH_IJSG_SG_SG_EEES9_SI_JZNS1_25segmented_radix_sort_implINS0_14default_configELb0EPKiPiPKlPlN2at6native12_GLOBAL__N_18offset_tEEE10hipError_tPvRmT1_PNSt15iterator_traitsIS12_E10value_typeET2_T3_PNS13_IS18_E10value_typeET4_jRbjT5_S1E_jjP12ihipStream_tbEUljE_ZNSN_ISO_Lb0ESQ_SR_ST_SU_SY_EESZ_S10_S11_S12_S16_S17_S18_S1B_S1C_jS1D_jS1E_S1E_jjS1G_bEUljE0_EEESZ_S10_S11_S18_S1C_S1E_T6_T7_T9_mT8_S1G_bDpT10_ENKUlT_T0_E_clISt17integral_constantIbLb0EES1U_EEDaS1P_S1Q_EUlS1P_E_NS1_11comp_targetILNS1_3genE9ELNS1_11target_archE1100ELNS1_3gpuE3ELNS1_3repE0EEENS1_30default_config_static_selectorELNS0_4arch9wavefront6targetE1EEEvS12_: ; @_ZN7rocprim17ROCPRIM_400000_NS6detail17trampoline_kernelINS0_13select_configILj256ELj13ELNS0_17block_load_methodE3ELS4_3ELS4_3ELNS0_20block_scan_algorithmE0ELj4294967295EEENS1_25partition_config_selectorILNS1_17partition_subalgoE4EjNS0_10empty_typeEbEEZZNS1_14partition_implILS8_4ELb0ES6_15HIP_vector_typeIjLj2EENS0_17counting_iteratorIjlEEPS9_SG_NS0_5tupleIJPjSI_NS0_16reverse_iteratorISI_EEEEENSH_IJSG_SG_SG_EEES9_SI_JZNS1_25segmented_radix_sort_implINS0_14default_configELb0EPKiPiPKlPlN2at6native12_GLOBAL__N_18offset_tEEE10hipError_tPvRmT1_PNSt15iterator_traitsIS12_E10value_typeET2_T3_PNS13_IS18_E10value_typeET4_jRbjT5_S1E_jjP12ihipStream_tbEUljE_ZNSN_ISO_Lb0ESQ_SR_ST_SU_SY_EESZ_S10_S11_S12_S16_S17_S18_S1B_S1C_jS1D_jS1E_S1E_jjS1G_bEUljE0_EEESZ_S10_S11_S18_S1C_S1E_T6_T7_T9_mT8_S1G_bDpT10_ENKUlT_T0_E_clISt17integral_constantIbLb0EES1U_EEDaS1P_S1Q_EUlS1P_E_NS1_11comp_targetILNS1_3genE9ELNS1_11target_archE1100ELNS1_3gpuE3ELNS1_3repE0EEENS1_30default_config_static_selectorELNS0_4arch9wavefront6targetE1EEEvS12_
; %bb.0:
	.section	.rodata,"a",@progbits
	.p2align	6, 0x0
	.amdhsa_kernel _ZN7rocprim17ROCPRIM_400000_NS6detail17trampoline_kernelINS0_13select_configILj256ELj13ELNS0_17block_load_methodE3ELS4_3ELS4_3ELNS0_20block_scan_algorithmE0ELj4294967295EEENS1_25partition_config_selectorILNS1_17partition_subalgoE4EjNS0_10empty_typeEbEEZZNS1_14partition_implILS8_4ELb0ES6_15HIP_vector_typeIjLj2EENS0_17counting_iteratorIjlEEPS9_SG_NS0_5tupleIJPjSI_NS0_16reverse_iteratorISI_EEEEENSH_IJSG_SG_SG_EEES9_SI_JZNS1_25segmented_radix_sort_implINS0_14default_configELb0EPKiPiPKlPlN2at6native12_GLOBAL__N_18offset_tEEE10hipError_tPvRmT1_PNSt15iterator_traitsIS12_E10value_typeET2_T3_PNS13_IS18_E10value_typeET4_jRbjT5_S1E_jjP12ihipStream_tbEUljE_ZNSN_ISO_Lb0ESQ_SR_ST_SU_SY_EESZ_S10_S11_S12_S16_S17_S18_S1B_S1C_jS1D_jS1E_S1E_jjS1G_bEUljE0_EEESZ_S10_S11_S18_S1C_S1E_T6_T7_T9_mT8_S1G_bDpT10_ENKUlT_T0_E_clISt17integral_constantIbLb0EES1U_EEDaS1P_S1Q_EUlS1P_E_NS1_11comp_targetILNS1_3genE9ELNS1_11target_archE1100ELNS1_3gpuE3ELNS1_3repE0EEENS1_30default_config_static_selectorELNS0_4arch9wavefront6targetE1EEEvS12_
		.amdhsa_group_segment_fixed_size 0
		.amdhsa_private_segment_fixed_size 0
		.amdhsa_kernarg_size 176
		.amdhsa_user_sgpr_count 6
		.amdhsa_user_sgpr_private_segment_buffer 1
		.amdhsa_user_sgpr_dispatch_ptr 0
		.amdhsa_user_sgpr_queue_ptr 0
		.amdhsa_user_sgpr_kernarg_segment_ptr 1
		.amdhsa_user_sgpr_dispatch_id 0
		.amdhsa_user_sgpr_flat_scratch_init 0
		.amdhsa_user_sgpr_private_segment_size 0
		.amdhsa_uses_dynamic_stack 0
		.amdhsa_system_sgpr_private_segment_wavefront_offset 0
		.amdhsa_system_sgpr_workgroup_id_x 1
		.amdhsa_system_sgpr_workgroup_id_y 0
		.amdhsa_system_sgpr_workgroup_id_z 0
		.amdhsa_system_sgpr_workgroup_info 0
		.amdhsa_system_vgpr_workitem_id 0
		.amdhsa_next_free_vgpr 1
		.amdhsa_next_free_sgpr 0
		.amdhsa_reserve_vcc 0
		.amdhsa_reserve_flat_scratch 0
		.amdhsa_float_round_mode_32 0
		.amdhsa_float_round_mode_16_64 0
		.amdhsa_float_denorm_mode_32 3
		.amdhsa_float_denorm_mode_16_64 3
		.amdhsa_dx10_clamp 1
		.amdhsa_ieee_mode 1
		.amdhsa_fp16_overflow 0
		.amdhsa_exception_fp_ieee_invalid_op 0
		.amdhsa_exception_fp_denorm_src 0
		.amdhsa_exception_fp_ieee_div_zero 0
		.amdhsa_exception_fp_ieee_overflow 0
		.amdhsa_exception_fp_ieee_underflow 0
		.amdhsa_exception_fp_ieee_inexact 0
		.amdhsa_exception_int_div_zero 0
	.end_amdhsa_kernel
	.section	.text._ZN7rocprim17ROCPRIM_400000_NS6detail17trampoline_kernelINS0_13select_configILj256ELj13ELNS0_17block_load_methodE3ELS4_3ELS4_3ELNS0_20block_scan_algorithmE0ELj4294967295EEENS1_25partition_config_selectorILNS1_17partition_subalgoE4EjNS0_10empty_typeEbEEZZNS1_14partition_implILS8_4ELb0ES6_15HIP_vector_typeIjLj2EENS0_17counting_iteratorIjlEEPS9_SG_NS0_5tupleIJPjSI_NS0_16reverse_iteratorISI_EEEEENSH_IJSG_SG_SG_EEES9_SI_JZNS1_25segmented_radix_sort_implINS0_14default_configELb0EPKiPiPKlPlN2at6native12_GLOBAL__N_18offset_tEEE10hipError_tPvRmT1_PNSt15iterator_traitsIS12_E10value_typeET2_T3_PNS13_IS18_E10value_typeET4_jRbjT5_S1E_jjP12ihipStream_tbEUljE_ZNSN_ISO_Lb0ESQ_SR_ST_SU_SY_EESZ_S10_S11_S12_S16_S17_S18_S1B_S1C_jS1D_jS1E_S1E_jjS1G_bEUljE0_EEESZ_S10_S11_S18_S1C_S1E_T6_T7_T9_mT8_S1G_bDpT10_ENKUlT_T0_E_clISt17integral_constantIbLb0EES1U_EEDaS1P_S1Q_EUlS1P_E_NS1_11comp_targetILNS1_3genE9ELNS1_11target_archE1100ELNS1_3gpuE3ELNS1_3repE0EEENS1_30default_config_static_selectorELNS0_4arch9wavefront6targetE1EEEvS12_,"axG",@progbits,_ZN7rocprim17ROCPRIM_400000_NS6detail17trampoline_kernelINS0_13select_configILj256ELj13ELNS0_17block_load_methodE3ELS4_3ELS4_3ELNS0_20block_scan_algorithmE0ELj4294967295EEENS1_25partition_config_selectorILNS1_17partition_subalgoE4EjNS0_10empty_typeEbEEZZNS1_14partition_implILS8_4ELb0ES6_15HIP_vector_typeIjLj2EENS0_17counting_iteratorIjlEEPS9_SG_NS0_5tupleIJPjSI_NS0_16reverse_iteratorISI_EEEEENSH_IJSG_SG_SG_EEES9_SI_JZNS1_25segmented_radix_sort_implINS0_14default_configELb0EPKiPiPKlPlN2at6native12_GLOBAL__N_18offset_tEEE10hipError_tPvRmT1_PNSt15iterator_traitsIS12_E10value_typeET2_T3_PNS13_IS18_E10value_typeET4_jRbjT5_S1E_jjP12ihipStream_tbEUljE_ZNSN_ISO_Lb0ESQ_SR_ST_SU_SY_EESZ_S10_S11_S12_S16_S17_S18_S1B_S1C_jS1D_jS1E_S1E_jjS1G_bEUljE0_EEESZ_S10_S11_S18_S1C_S1E_T6_T7_T9_mT8_S1G_bDpT10_ENKUlT_T0_E_clISt17integral_constantIbLb0EES1U_EEDaS1P_S1Q_EUlS1P_E_NS1_11comp_targetILNS1_3genE9ELNS1_11target_archE1100ELNS1_3gpuE3ELNS1_3repE0EEENS1_30default_config_static_selectorELNS0_4arch9wavefront6targetE1EEEvS12_,comdat
.Lfunc_end542:
	.size	_ZN7rocprim17ROCPRIM_400000_NS6detail17trampoline_kernelINS0_13select_configILj256ELj13ELNS0_17block_load_methodE3ELS4_3ELS4_3ELNS0_20block_scan_algorithmE0ELj4294967295EEENS1_25partition_config_selectorILNS1_17partition_subalgoE4EjNS0_10empty_typeEbEEZZNS1_14partition_implILS8_4ELb0ES6_15HIP_vector_typeIjLj2EENS0_17counting_iteratorIjlEEPS9_SG_NS0_5tupleIJPjSI_NS0_16reverse_iteratorISI_EEEEENSH_IJSG_SG_SG_EEES9_SI_JZNS1_25segmented_radix_sort_implINS0_14default_configELb0EPKiPiPKlPlN2at6native12_GLOBAL__N_18offset_tEEE10hipError_tPvRmT1_PNSt15iterator_traitsIS12_E10value_typeET2_T3_PNS13_IS18_E10value_typeET4_jRbjT5_S1E_jjP12ihipStream_tbEUljE_ZNSN_ISO_Lb0ESQ_SR_ST_SU_SY_EESZ_S10_S11_S12_S16_S17_S18_S1B_S1C_jS1D_jS1E_S1E_jjS1G_bEUljE0_EEESZ_S10_S11_S18_S1C_S1E_T6_T7_T9_mT8_S1G_bDpT10_ENKUlT_T0_E_clISt17integral_constantIbLb0EES1U_EEDaS1P_S1Q_EUlS1P_E_NS1_11comp_targetILNS1_3genE9ELNS1_11target_archE1100ELNS1_3gpuE3ELNS1_3repE0EEENS1_30default_config_static_selectorELNS0_4arch9wavefront6targetE1EEEvS12_, .Lfunc_end542-_ZN7rocprim17ROCPRIM_400000_NS6detail17trampoline_kernelINS0_13select_configILj256ELj13ELNS0_17block_load_methodE3ELS4_3ELS4_3ELNS0_20block_scan_algorithmE0ELj4294967295EEENS1_25partition_config_selectorILNS1_17partition_subalgoE4EjNS0_10empty_typeEbEEZZNS1_14partition_implILS8_4ELb0ES6_15HIP_vector_typeIjLj2EENS0_17counting_iteratorIjlEEPS9_SG_NS0_5tupleIJPjSI_NS0_16reverse_iteratorISI_EEEEENSH_IJSG_SG_SG_EEES9_SI_JZNS1_25segmented_radix_sort_implINS0_14default_configELb0EPKiPiPKlPlN2at6native12_GLOBAL__N_18offset_tEEE10hipError_tPvRmT1_PNSt15iterator_traitsIS12_E10value_typeET2_T3_PNS13_IS18_E10value_typeET4_jRbjT5_S1E_jjP12ihipStream_tbEUljE_ZNSN_ISO_Lb0ESQ_SR_ST_SU_SY_EESZ_S10_S11_S12_S16_S17_S18_S1B_S1C_jS1D_jS1E_S1E_jjS1G_bEUljE0_EEESZ_S10_S11_S18_S1C_S1E_T6_T7_T9_mT8_S1G_bDpT10_ENKUlT_T0_E_clISt17integral_constantIbLb0EES1U_EEDaS1P_S1Q_EUlS1P_E_NS1_11comp_targetILNS1_3genE9ELNS1_11target_archE1100ELNS1_3gpuE3ELNS1_3repE0EEENS1_30default_config_static_selectorELNS0_4arch9wavefront6targetE1EEEvS12_
                                        ; -- End function
	.set _ZN7rocprim17ROCPRIM_400000_NS6detail17trampoline_kernelINS0_13select_configILj256ELj13ELNS0_17block_load_methodE3ELS4_3ELS4_3ELNS0_20block_scan_algorithmE0ELj4294967295EEENS1_25partition_config_selectorILNS1_17partition_subalgoE4EjNS0_10empty_typeEbEEZZNS1_14partition_implILS8_4ELb0ES6_15HIP_vector_typeIjLj2EENS0_17counting_iteratorIjlEEPS9_SG_NS0_5tupleIJPjSI_NS0_16reverse_iteratorISI_EEEEENSH_IJSG_SG_SG_EEES9_SI_JZNS1_25segmented_radix_sort_implINS0_14default_configELb0EPKiPiPKlPlN2at6native12_GLOBAL__N_18offset_tEEE10hipError_tPvRmT1_PNSt15iterator_traitsIS12_E10value_typeET2_T3_PNS13_IS18_E10value_typeET4_jRbjT5_S1E_jjP12ihipStream_tbEUljE_ZNSN_ISO_Lb0ESQ_SR_ST_SU_SY_EESZ_S10_S11_S12_S16_S17_S18_S1B_S1C_jS1D_jS1E_S1E_jjS1G_bEUljE0_EEESZ_S10_S11_S18_S1C_S1E_T6_T7_T9_mT8_S1G_bDpT10_ENKUlT_T0_E_clISt17integral_constantIbLb0EES1U_EEDaS1P_S1Q_EUlS1P_E_NS1_11comp_targetILNS1_3genE9ELNS1_11target_archE1100ELNS1_3gpuE3ELNS1_3repE0EEENS1_30default_config_static_selectorELNS0_4arch9wavefront6targetE1EEEvS12_.num_vgpr, 0
	.set _ZN7rocprim17ROCPRIM_400000_NS6detail17trampoline_kernelINS0_13select_configILj256ELj13ELNS0_17block_load_methodE3ELS4_3ELS4_3ELNS0_20block_scan_algorithmE0ELj4294967295EEENS1_25partition_config_selectorILNS1_17partition_subalgoE4EjNS0_10empty_typeEbEEZZNS1_14partition_implILS8_4ELb0ES6_15HIP_vector_typeIjLj2EENS0_17counting_iteratorIjlEEPS9_SG_NS0_5tupleIJPjSI_NS0_16reverse_iteratorISI_EEEEENSH_IJSG_SG_SG_EEES9_SI_JZNS1_25segmented_radix_sort_implINS0_14default_configELb0EPKiPiPKlPlN2at6native12_GLOBAL__N_18offset_tEEE10hipError_tPvRmT1_PNSt15iterator_traitsIS12_E10value_typeET2_T3_PNS13_IS18_E10value_typeET4_jRbjT5_S1E_jjP12ihipStream_tbEUljE_ZNSN_ISO_Lb0ESQ_SR_ST_SU_SY_EESZ_S10_S11_S12_S16_S17_S18_S1B_S1C_jS1D_jS1E_S1E_jjS1G_bEUljE0_EEESZ_S10_S11_S18_S1C_S1E_T6_T7_T9_mT8_S1G_bDpT10_ENKUlT_T0_E_clISt17integral_constantIbLb0EES1U_EEDaS1P_S1Q_EUlS1P_E_NS1_11comp_targetILNS1_3genE9ELNS1_11target_archE1100ELNS1_3gpuE3ELNS1_3repE0EEENS1_30default_config_static_selectorELNS0_4arch9wavefront6targetE1EEEvS12_.num_agpr, 0
	.set _ZN7rocprim17ROCPRIM_400000_NS6detail17trampoline_kernelINS0_13select_configILj256ELj13ELNS0_17block_load_methodE3ELS4_3ELS4_3ELNS0_20block_scan_algorithmE0ELj4294967295EEENS1_25partition_config_selectorILNS1_17partition_subalgoE4EjNS0_10empty_typeEbEEZZNS1_14partition_implILS8_4ELb0ES6_15HIP_vector_typeIjLj2EENS0_17counting_iteratorIjlEEPS9_SG_NS0_5tupleIJPjSI_NS0_16reverse_iteratorISI_EEEEENSH_IJSG_SG_SG_EEES9_SI_JZNS1_25segmented_radix_sort_implINS0_14default_configELb0EPKiPiPKlPlN2at6native12_GLOBAL__N_18offset_tEEE10hipError_tPvRmT1_PNSt15iterator_traitsIS12_E10value_typeET2_T3_PNS13_IS18_E10value_typeET4_jRbjT5_S1E_jjP12ihipStream_tbEUljE_ZNSN_ISO_Lb0ESQ_SR_ST_SU_SY_EESZ_S10_S11_S12_S16_S17_S18_S1B_S1C_jS1D_jS1E_S1E_jjS1G_bEUljE0_EEESZ_S10_S11_S18_S1C_S1E_T6_T7_T9_mT8_S1G_bDpT10_ENKUlT_T0_E_clISt17integral_constantIbLb0EES1U_EEDaS1P_S1Q_EUlS1P_E_NS1_11comp_targetILNS1_3genE9ELNS1_11target_archE1100ELNS1_3gpuE3ELNS1_3repE0EEENS1_30default_config_static_selectorELNS0_4arch9wavefront6targetE1EEEvS12_.numbered_sgpr, 0
	.set _ZN7rocprim17ROCPRIM_400000_NS6detail17trampoline_kernelINS0_13select_configILj256ELj13ELNS0_17block_load_methodE3ELS4_3ELS4_3ELNS0_20block_scan_algorithmE0ELj4294967295EEENS1_25partition_config_selectorILNS1_17partition_subalgoE4EjNS0_10empty_typeEbEEZZNS1_14partition_implILS8_4ELb0ES6_15HIP_vector_typeIjLj2EENS0_17counting_iteratorIjlEEPS9_SG_NS0_5tupleIJPjSI_NS0_16reverse_iteratorISI_EEEEENSH_IJSG_SG_SG_EEES9_SI_JZNS1_25segmented_radix_sort_implINS0_14default_configELb0EPKiPiPKlPlN2at6native12_GLOBAL__N_18offset_tEEE10hipError_tPvRmT1_PNSt15iterator_traitsIS12_E10value_typeET2_T3_PNS13_IS18_E10value_typeET4_jRbjT5_S1E_jjP12ihipStream_tbEUljE_ZNSN_ISO_Lb0ESQ_SR_ST_SU_SY_EESZ_S10_S11_S12_S16_S17_S18_S1B_S1C_jS1D_jS1E_S1E_jjS1G_bEUljE0_EEESZ_S10_S11_S18_S1C_S1E_T6_T7_T9_mT8_S1G_bDpT10_ENKUlT_T0_E_clISt17integral_constantIbLb0EES1U_EEDaS1P_S1Q_EUlS1P_E_NS1_11comp_targetILNS1_3genE9ELNS1_11target_archE1100ELNS1_3gpuE3ELNS1_3repE0EEENS1_30default_config_static_selectorELNS0_4arch9wavefront6targetE1EEEvS12_.num_named_barrier, 0
	.set _ZN7rocprim17ROCPRIM_400000_NS6detail17trampoline_kernelINS0_13select_configILj256ELj13ELNS0_17block_load_methodE3ELS4_3ELS4_3ELNS0_20block_scan_algorithmE0ELj4294967295EEENS1_25partition_config_selectorILNS1_17partition_subalgoE4EjNS0_10empty_typeEbEEZZNS1_14partition_implILS8_4ELb0ES6_15HIP_vector_typeIjLj2EENS0_17counting_iteratorIjlEEPS9_SG_NS0_5tupleIJPjSI_NS0_16reverse_iteratorISI_EEEEENSH_IJSG_SG_SG_EEES9_SI_JZNS1_25segmented_radix_sort_implINS0_14default_configELb0EPKiPiPKlPlN2at6native12_GLOBAL__N_18offset_tEEE10hipError_tPvRmT1_PNSt15iterator_traitsIS12_E10value_typeET2_T3_PNS13_IS18_E10value_typeET4_jRbjT5_S1E_jjP12ihipStream_tbEUljE_ZNSN_ISO_Lb0ESQ_SR_ST_SU_SY_EESZ_S10_S11_S12_S16_S17_S18_S1B_S1C_jS1D_jS1E_S1E_jjS1G_bEUljE0_EEESZ_S10_S11_S18_S1C_S1E_T6_T7_T9_mT8_S1G_bDpT10_ENKUlT_T0_E_clISt17integral_constantIbLb0EES1U_EEDaS1P_S1Q_EUlS1P_E_NS1_11comp_targetILNS1_3genE9ELNS1_11target_archE1100ELNS1_3gpuE3ELNS1_3repE0EEENS1_30default_config_static_selectorELNS0_4arch9wavefront6targetE1EEEvS12_.private_seg_size, 0
	.set _ZN7rocprim17ROCPRIM_400000_NS6detail17trampoline_kernelINS0_13select_configILj256ELj13ELNS0_17block_load_methodE3ELS4_3ELS4_3ELNS0_20block_scan_algorithmE0ELj4294967295EEENS1_25partition_config_selectorILNS1_17partition_subalgoE4EjNS0_10empty_typeEbEEZZNS1_14partition_implILS8_4ELb0ES6_15HIP_vector_typeIjLj2EENS0_17counting_iteratorIjlEEPS9_SG_NS0_5tupleIJPjSI_NS0_16reverse_iteratorISI_EEEEENSH_IJSG_SG_SG_EEES9_SI_JZNS1_25segmented_radix_sort_implINS0_14default_configELb0EPKiPiPKlPlN2at6native12_GLOBAL__N_18offset_tEEE10hipError_tPvRmT1_PNSt15iterator_traitsIS12_E10value_typeET2_T3_PNS13_IS18_E10value_typeET4_jRbjT5_S1E_jjP12ihipStream_tbEUljE_ZNSN_ISO_Lb0ESQ_SR_ST_SU_SY_EESZ_S10_S11_S12_S16_S17_S18_S1B_S1C_jS1D_jS1E_S1E_jjS1G_bEUljE0_EEESZ_S10_S11_S18_S1C_S1E_T6_T7_T9_mT8_S1G_bDpT10_ENKUlT_T0_E_clISt17integral_constantIbLb0EES1U_EEDaS1P_S1Q_EUlS1P_E_NS1_11comp_targetILNS1_3genE9ELNS1_11target_archE1100ELNS1_3gpuE3ELNS1_3repE0EEENS1_30default_config_static_selectorELNS0_4arch9wavefront6targetE1EEEvS12_.uses_vcc, 0
	.set _ZN7rocprim17ROCPRIM_400000_NS6detail17trampoline_kernelINS0_13select_configILj256ELj13ELNS0_17block_load_methodE3ELS4_3ELS4_3ELNS0_20block_scan_algorithmE0ELj4294967295EEENS1_25partition_config_selectorILNS1_17partition_subalgoE4EjNS0_10empty_typeEbEEZZNS1_14partition_implILS8_4ELb0ES6_15HIP_vector_typeIjLj2EENS0_17counting_iteratorIjlEEPS9_SG_NS0_5tupleIJPjSI_NS0_16reverse_iteratorISI_EEEEENSH_IJSG_SG_SG_EEES9_SI_JZNS1_25segmented_radix_sort_implINS0_14default_configELb0EPKiPiPKlPlN2at6native12_GLOBAL__N_18offset_tEEE10hipError_tPvRmT1_PNSt15iterator_traitsIS12_E10value_typeET2_T3_PNS13_IS18_E10value_typeET4_jRbjT5_S1E_jjP12ihipStream_tbEUljE_ZNSN_ISO_Lb0ESQ_SR_ST_SU_SY_EESZ_S10_S11_S12_S16_S17_S18_S1B_S1C_jS1D_jS1E_S1E_jjS1G_bEUljE0_EEESZ_S10_S11_S18_S1C_S1E_T6_T7_T9_mT8_S1G_bDpT10_ENKUlT_T0_E_clISt17integral_constantIbLb0EES1U_EEDaS1P_S1Q_EUlS1P_E_NS1_11comp_targetILNS1_3genE9ELNS1_11target_archE1100ELNS1_3gpuE3ELNS1_3repE0EEENS1_30default_config_static_selectorELNS0_4arch9wavefront6targetE1EEEvS12_.uses_flat_scratch, 0
	.set _ZN7rocprim17ROCPRIM_400000_NS6detail17trampoline_kernelINS0_13select_configILj256ELj13ELNS0_17block_load_methodE3ELS4_3ELS4_3ELNS0_20block_scan_algorithmE0ELj4294967295EEENS1_25partition_config_selectorILNS1_17partition_subalgoE4EjNS0_10empty_typeEbEEZZNS1_14partition_implILS8_4ELb0ES6_15HIP_vector_typeIjLj2EENS0_17counting_iteratorIjlEEPS9_SG_NS0_5tupleIJPjSI_NS0_16reverse_iteratorISI_EEEEENSH_IJSG_SG_SG_EEES9_SI_JZNS1_25segmented_radix_sort_implINS0_14default_configELb0EPKiPiPKlPlN2at6native12_GLOBAL__N_18offset_tEEE10hipError_tPvRmT1_PNSt15iterator_traitsIS12_E10value_typeET2_T3_PNS13_IS18_E10value_typeET4_jRbjT5_S1E_jjP12ihipStream_tbEUljE_ZNSN_ISO_Lb0ESQ_SR_ST_SU_SY_EESZ_S10_S11_S12_S16_S17_S18_S1B_S1C_jS1D_jS1E_S1E_jjS1G_bEUljE0_EEESZ_S10_S11_S18_S1C_S1E_T6_T7_T9_mT8_S1G_bDpT10_ENKUlT_T0_E_clISt17integral_constantIbLb0EES1U_EEDaS1P_S1Q_EUlS1P_E_NS1_11comp_targetILNS1_3genE9ELNS1_11target_archE1100ELNS1_3gpuE3ELNS1_3repE0EEENS1_30default_config_static_selectorELNS0_4arch9wavefront6targetE1EEEvS12_.has_dyn_sized_stack, 0
	.set _ZN7rocprim17ROCPRIM_400000_NS6detail17trampoline_kernelINS0_13select_configILj256ELj13ELNS0_17block_load_methodE3ELS4_3ELS4_3ELNS0_20block_scan_algorithmE0ELj4294967295EEENS1_25partition_config_selectorILNS1_17partition_subalgoE4EjNS0_10empty_typeEbEEZZNS1_14partition_implILS8_4ELb0ES6_15HIP_vector_typeIjLj2EENS0_17counting_iteratorIjlEEPS9_SG_NS0_5tupleIJPjSI_NS0_16reverse_iteratorISI_EEEEENSH_IJSG_SG_SG_EEES9_SI_JZNS1_25segmented_radix_sort_implINS0_14default_configELb0EPKiPiPKlPlN2at6native12_GLOBAL__N_18offset_tEEE10hipError_tPvRmT1_PNSt15iterator_traitsIS12_E10value_typeET2_T3_PNS13_IS18_E10value_typeET4_jRbjT5_S1E_jjP12ihipStream_tbEUljE_ZNSN_ISO_Lb0ESQ_SR_ST_SU_SY_EESZ_S10_S11_S12_S16_S17_S18_S1B_S1C_jS1D_jS1E_S1E_jjS1G_bEUljE0_EEESZ_S10_S11_S18_S1C_S1E_T6_T7_T9_mT8_S1G_bDpT10_ENKUlT_T0_E_clISt17integral_constantIbLb0EES1U_EEDaS1P_S1Q_EUlS1P_E_NS1_11comp_targetILNS1_3genE9ELNS1_11target_archE1100ELNS1_3gpuE3ELNS1_3repE0EEENS1_30default_config_static_selectorELNS0_4arch9wavefront6targetE1EEEvS12_.has_recursion, 0
	.set _ZN7rocprim17ROCPRIM_400000_NS6detail17trampoline_kernelINS0_13select_configILj256ELj13ELNS0_17block_load_methodE3ELS4_3ELS4_3ELNS0_20block_scan_algorithmE0ELj4294967295EEENS1_25partition_config_selectorILNS1_17partition_subalgoE4EjNS0_10empty_typeEbEEZZNS1_14partition_implILS8_4ELb0ES6_15HIP_vector_typeIjLj2EENS0_17counting_iteratorIjlEEPS9_SG_NS0_5tupleIJPjSI_NS0_16reverse_iteratorISI_EEEEENSH_IJSG_SG_SG_EEES9_SI_JZNS1_25segmented_radix_sort_implINS0_14default_configELb0EPKiPiPKlPlN2at6native12_GLOBAL__N_18offset_tEEE10hipError_tPvRmT1_PNSt15iterator_traitsIS12_E10value_typeET2_T3_PNS13_IS18_E10value_typeET4_jRbjT5_S1E_jjP12ihipStream_tbEUljE_ZNSN_ISO_Lb0ESQ_SR_ST_SU_SY_EESZ_S10_S11_S12_S16_S17_S18_S1B_S1C_jS1D_jS1E_S1E_jjS1G_bEUljE0_EEESZ_S10_S11_S18_S1C_S1E_T6_T7_T9_mT8_S1G_bDpT10_ENKUlT_T0_E_clISt17integral_constantIbLb0EES1U_EEDaS1P_S1Q_EUlS1P_E_NS1_11comp_targetILNS1_3genE9ELNS1_11target_archE1100ELNS1_3gpuE3ELNS1_3repE0EEENS1_30default_config_static_selectorELNS0_4arch9wavefront6targetE1EEEvS12_.has_indirect_call, 0
	.section	.AMDGPU.csdata,"",@progbits
; Kernel info:
; codeLenInByte = 0
; TotalNumSgprs: 4
; NumVgprs: 0
; ScratchSize: 0
; MemoryBound: 0
; FloatMode: 240
; IeeeMode: 1
; LDSByteSize: 0 bytes/workgroup (compile time only)
; SGPRBlocks: 0
; VGPRBlocks: 0
; NumSGPRsForWavesPerEU: 4
; NumVGPRsForWavesPerEU: 1
; Occupancy: 10
; WaveLimiterHint : 0
; COMPUTE_PGM_RSRC2:SCRATCH_EN: 0
; COMPUTE_PGM_RSRC2:USER_SGPR: 6
; COMPUTE_PGM_RSRC2:TRAP_HANDLER: 0
; COMPUTE_PGM_RSRC2:TGID_X_EN: 1
; COMPUTE_PGM_RSRC2:TGID_Y_EN: 0
; COMPUTE_PGM_RSRC2:TGID_Z_EN: 0
; COMPUTE_PGM_RSRC2:TIDIG_COMP_CNT: 0
	.section	.text._ZN7rocprim17ROCPRIM_400000_NS6detail17trampoline_kernelINS0_13select_configILj256ELj13ELNS0_17block_load_methodE3ELS4_3ELS4_3ELNS0_20block_scan_algorithmE0ELj4294967295EEENS1_25partition_config_selectorILNS1_17partition_subalgoE4EjNS0_10empty_typeEbEEZZNS1_14partition_implILS8_4ELb0ES6_15HIP_vector_typeIjLj2EENS0_17counting_iteratorIjlEEPS9_SG_NS0_5tupleIJPjSI_NS0_16reverse_iteratorISI_EEEEENSH_IJSG_SG_SG_EEES9_SI_JZNS1_25segmented_radix_sort_implINS0_14default_configELb0EPKiPiPKlPlN2at6native12_GLOBAL__N_18offset_tEEE10hipError_tPvRmT1_PNSt15iterator_traitsIS12_E10value_typeET2_T3_PNS13_IS18_E10value_typeET4_jRbjT5_S1E_jjP12ihipStream_tbEUljE_ZNSN_ISO_Lb0ESQ_SR_ST_SU_SY_EESZ_S10_S11_S12_S16_S17_S18_S1B_S1C_jS1D_jS1E_S1E_jjS1G_bEUljE0_EEESZ_S10_S11_S18_S1C_S1E_T6_T7_T9_mT8_S1G_bDpT10_ENKUlT_T0_E_clISt17integral_constantIbLb0EES1U_EEDaS1P_S1Q_EUlS1P_E_NS1_11comp_targetILNS1_3genE8ELNS1_11target_archE1030ELNS1_3gpuE2ELNS1_3repE0EEENS1_30default_config_static_selectorELNS0_4arch9wavefront6targetE1EEEvS12_,"axG",@progbits,_ZN7rocprim17ROCPRIM_400000_NS6detail17trampoline_kernelINS0_13select_configILj256ELj13ELNS0_17block_load_methodE3ELS4_3ELS4_3ELNS0_20block_scan_algorithmE0ELj4294967295EEENS1_25partition_config_selectorILNS1_17partition_subalgoE4EjNS0_10empty_typeEbEEZZNS1_14partition_implILS8_4ELb0ES6_15HIP_vector_typeIjLj2EENS0_17counting_iteratorIjlEEPS9_SG_NS0_5tupleIJPjSI_NS0_16reverse_iteratorISI_EEEEENSH_IJSG_SG_SG_EEES9_SI_JZNS1_25segmented_radix_sort_implINS0_14default_configELb0EPKiPiPKlPlN2at6native12_GLOBAL__N_18offset_tEEE10hipError_tPvRmT1_PNSt15iterator_traitsIS12_E10value_typeET2_T3_PNS13_IS18_E10value_typeET4_jRbjT5_S1E_jjP12ihipStream_tbEUljE_ZNSN_ISO_Lb0ESQ_SR_ST_SU_SY_EESZ_S10_S11_S12_S16_S17_S18_S1B_S1C_jS1D_jS1E_S1E_jjS1G_bEUljE0_EEESZ_S10_S11_S18_S1C_S1E_T6_T7_T9_mT8_S1G_bDpT10_ENKUlT_T0_E_clISt17integral_constantIbLb0EES1U_EEDaS1P_S1Q_EUlS1P_E_NS1_11comp_targetILNS1_3genE8ELNS1_11target_archE1030ELNS1_3gpuE2ELNS1_3repE0EEENS1_30default_config_static_selectorELNS0_4arch9wavefront6targetE1EEEvS12_,comdat
	.globl	_ZN7rocprim17ROCPRIM_400000_NS6detail17trampoline_kernelINS0_13select_configILj256ELj13ELNS0_17block_load_methodE3ELS4_3ELS4_3ELNS0_20block_scan_algorithmE0ELj4294967295EEENS1_25partition_config_selectorILNS1_17partition_subalgoE4EjNS0_10empty_typeEbEEZZNS1_14partition_implILS8_4ELb0ES6_15HIP_vector_typeIjLj2EENS0_17counting_iteratorIjlEEPS9_SG_NS0_5tupleIJPjSI_NS0_16reverse_iteratorISI_EEEEENSH_IJSG_SG_SG_EEES9_SI_JZNS1_25segmented_radix_sort_implINS0_14default_configELb0EPKiPiPKlPlN2at6native12_GLOBAL__N_18offset_tEEE10hipError_tPvRmT1_PNSt15iterator_traitsIS12_E10value_typeET2_T3_PNS13_IS18_E10value_typeET4_jRbjT5_S1E_jjP12ihipStream_tbEUljE_ZNSN_ISO_Lb0ESQ_SR_ST_SU_SY_EESZ_S10_S11_S12_S16_S17_S18_S1B_S1C_jS1D_jS1E_S1E_jjS1G_bEUljE0_EEESZ_S10_S11_S18_S1C_S1E_T6_T7_T9_mT8_S1G_bDpT10_ENKUlT_T0_E_clISt17integral_constantIbLb0EES1U_EEDaS1P_S1Q_EUlS1P_E_NS1_11comp_targetILNS1_3genE8ELNS1_11target_archE1030ELNS1_3gpuE2ELNS1_3repE0EEENS1_30default_config_static_selectorELNS0_4arch9wavefront6targetE1EEEvS12_ ; -- Begin function _ZN7rocprim17ROCPRIM_400000_NS6detail17trampoline_kernelINS0_13select_configILj256ELj13ELNS0_17block_load_methodE3ELS4_3ELS4_3ELNS0_20block_scan_algorithmE0ELj4294967295EEENS1_25partition_config_selectorILNS1_17partition_subalgoE4EjNS0_10empty_typeEbEEZZNS1_14partition_implILS8_4ELb0ES6_15HIP_vector_typeIjLj2EENS0_17counting_iteratorIjlEEPS9_SG_NS0_5tupleIJPjSI_NS0_16reverse_iteratorISI_EEEEENSH_IJSG_SG_SG_EEES9_SI_JZNS1_25segmented_radix_sort_implINS0_14default_configELb0EPKiPiPKlPlN2at6native12_GLOBAL__N_18offset_tEEE10hipError_tPvRmT1_PNSt15iterator_traitsIS12_E10value_typeET2_T3_PNS13_IS18_E10value_typeET4_jRbjT5_S1E_jjP12ihipStream_tbEUljE_ZNSN_ISO_Lb0ESQ_SR_ST_SU_SY_EESZ_S10_S11_S12_S16_S17_S18_S1B_S1C_jS1D_jS1E_S1E_jjS1G_bEUljE0_EEESZ_S10_S11_S18_S1C_S1E_T6_T7_T9_mT8_S1G_bDpT10_ENKUlT_T0_E_clISt17integral_constantIbLb0EES1U_EEDaS1P_S1Q_EUlS1P_E_NS1_11comp_targetILNS1_3genE8ELNS1_11target_archE1030ELNS1_3gpuE2ELNS1_3repE0EEENS1_30default_config_static_selectorELNS0_4arch9wavefront6targetE1EEEvS12_
	.p2align	8
	.type	_ZN7rocprim17ROCPRIM_400000_NS6detail17trampoline_kernelINS0_13select_configILj256ELj13ELNS0_17block_load_methodE3ELS4_3ELS4_3ELNS0_20block_scan_algorithmE0ELj4294967295EEENS1_25partition_config_selectorILNS1_17partition_subalgoE4EjNS0_10empty_typeEbEEZZNS1_14partition_implILS8_4ELb0ES6_15HIP_vector_typeIjLj2EENS0_17counting_iteratorIjlEEPS9_SG_NS0_5tupleIJPjSI_NS0_16reverse_iteratorISI_EEEEENSH_IJSG_SG_SG_EEES9_SI_JZNS1_25segmented_radix_sort_implINS0_14default_configELb0EPKiPiPKlPlN2at6native12_GLOBAL__N_18offset_tEEE10hipError_tPvRmT1_PNSt15iterator_traitsIS12_E10value_typeET2_T3_PNS13_IS18_E10value_typeET4_jRbjT5_S1E_jjP12ihipStream_tbEUljE_ZNSN_ISO_Lb0ESQ_SR_ST_SU_SY_EESZ_S10_S11_S12_S16_S17_S18_S1B_S1C_jS1D_jS1E_S1E_jjS1G_bEUljE0_EEESZ_S10_S11_S18_S1C_S1E_T6_T7_T9_mT8_S1G_bDpT10_ENKUlT_T0_E_clISt17integral_constantIbLb0EES1U_EEDaS1P_S1Q_EUlS1P_E_NS1_11comp_targetILNS1_3genE8ELNS1_11target_archE1030ELNS1_3gpuE2ELNS1_3repE0EEENS1_30default_config_static_selectorELNS0_4arch9wavefront6targetE1EEEvS12_,@function
_ZN7rocprim17ROCPRIM_400000_NS6detail17trampoline_kernelINS0_13select_configILj256ELj13ELNS0_17block_load_methodE3ELS4_3ELS4_3ELNS0_20block_scan_algorithmE0ELj4294967295EEENS1_25partition_config_selectorILNS1_17partition_subalgoE4EjNS0_10empty_typeEbEEZZNS1_14partition_implILS8_4ELb0ES6_15HIP_vector_typeIjLj2EENS0_17counting_iteratorIjlEEPS9_SG_NS0_5tupleIJPjSI_NS0_16reverse_iteratorISI_EEEEENSH_IJSG_SG_SG_EEES9_SI_JZNS1_25segmented_radix_sort_implINS0_14default_configELb0EPKiPiPKlPlN2at6native12_GLOBAL__N_18offset_tEEE10hipError_tPvRmT1_PNSt15iterator_traitsIS12_E10value_typeET2_T3_PNS13_IS18_E10value_typeET4_jRbjT5_S1E_jjP12ihipStream_tbEUljE_ZNSN_ISO_Lb0ESQ_SR_ST_SU_SY_EESZ_S10_S11_S12_S16_S17_S18_S1B_S1C_jS1D_jS1E_S1E_jjS1G_bEUljE0_EEESZ_S10_S11_S18_S1C_S1E_T6_T7_T9_mT8_S1G_bDpT10_ENKUlT_T0_E_clISt17integral_constantIbLb0EES1U_EEDaS1P_S1Q_EUlS1P_E_NS1_11comp_targetILNS1_3genE8ELNS1_11target_archE1030ELNS1_3gpuE2ELNS1_3repE0EEENS1_30default_config_static_selectorELNS0_4arch9wavefront6targetE1EEEvS12_: ; @_ZN7rocprim17ROCPRIM_400000_NS6detail17trampoline_kernelINS0_13select_configILj256ELj13ELNS0_17block_load_methodE3ELS4_3ELS4_3ELNS0_20block_scan_algorithmE0ELj4294967295EEENS1_25partition_config_selectorILNS1_17partition_subalgoE4EjNS0_10empty_typeEbEEZZNS1_14partition_implILS8_4ELb0ES6_15HIP_vector_typeIjLj2EENS0_17counting_iteratorIjlEEPS9_SG_NS0_5tupleIJPjSI_NS0_16reverse_iteratorISI_EEEEENSH_IJSG_SG_SG_EEES9_SI_JZNS1_25segmented_radix_sort_implINS0_14default_configELb0EPKiPiPKlPlN2at6native12_GLOBAL__N_18offset_tEEE10hipError_tPvRmT1_PNSt15iterator_traitsIS12_E10value_typeET2_T3_PNS13_IS18_E10value_typeET4_jRbjT5_S1E_jjP12ihipStream_tbEUljE_ZNSN_ISO_Lb0ESQ_SR_ST_SU_SY_EESZ_S10_S11_S12_S16_S17_S18_S1B_S1C_jS1D_jS1E_S1E_jjS1G_bEUljE0_EEESZ_S10_S11_S18_S1C_S1E_T6_T7_T9_mT8_S1G_bDpT10_ENKUlT_T0_E_clISt17integral_constantIbLb0EES1U_EEDaS1P_S1Q_EUlS1P_E_NS1_11comp_targetILNS1_3genE8ELNS1_11target_archE1030ELNS1_3gpuE2ELNS1_3repE0EEENS1_30default_config_static_selectorELNS0_4arch9wavefront6targetE1EEEvS12_
; %bb.0:
	.section	.rodata,"a",@progbits
	.p2align	6, 0x0
	.amdhsa_kernel _ZN7rocprim17ROCPRIM_400000_NS6detail17trampoline_kernelINS0_13select_configILj256ELj13ELNS0_17block_load_methodE3ELS4_3ELS4_3ELNS0_20block_scan_algorithmE0ELj4294967295EEENS1_25partition_config_selectorILNS1_17partition_subalgoE4EjNS0_10empty_typeEbEEZZNS1_14partition_implILS8_4ELb0ES6_15HIP_vector_typeIjLj2EENS0_17counting_iteratorIjlEEPS9_SG_NS0_5tupleIJPjSI_NS0_16reverse_iteratorISI_EEEEENSH_IJSG_SG_SG_EEES9_SI_JZNS1_25segmented_radix_sort_implINS0_14default_configELb0EPKiPiPKlPlN2at6native12_GLOBAL__N_18offset_tEEE10hipError_tPvRmT1_PNSt15iterator_traitsIS12_E10value_typeET2_T3_PNS13_IS18_E10value_typeET4_jRbjT5_S1E_jjP12ihipStream_tbEUljE_ZNSN_ISO_Lb0ESQ_SR_ST_SU_SY_EESZ_S10_S11_S12_S16_S17_S18_S1B_S1C_jS1D_jS1E_S1E_jjS1G_bEUljE0_EEESZ_S10_S11_S18_S1C_S1E_T6_T7_T9_mT8_S1G_bDpT10_ENKUlT_T0_E_clISt17integral_constantIbLb0EES1U_EEDaS1P_S1Q_EUlS1P_E_NS1_11comp_targetILNS1_3genE8ELNS1_11target_archE1030ELNS1_3gpuE2ELNS1_3repE0EEENS1_30default_config_static_selectorELNS0_4arch9wavefront6targetE1EEEvS12_
		.amdhsa_group_segment_fixed_size 0
		.amdhsa_private_segment_fixed_size 0
		.amdhsa_kernarg_size 176
		.amdhsa_user_sgpr_count 6
		.amdhsa_user_sgpr_private_segment_buffer 1
		.amdhsa_user_sgpr_dispatch_ptr 0
		.amdhsa_user_sgpr_queue_ptr 0
		.amdhsa_user_sgpr_kernarg_segment_ptr 1
		.amdhsa_user_sgpr_dispatch_id 0
		.amdhsa_user_sgpr_flat_scratch_init 0
		.amdhsa_user_sgpr_private_segment_size 0
		.amdhsa_uses_dynamic_stack 0
		.amdhsa_system_sgpr_private_segment_wavefront_offset 0
		.amdhsa_system_sgpr_workgroup_id_x 1
		.amdhsa_system_sgpr_workgroup_id_y 0
		.amdhsa_system_sgpr_workgroup_id_z 0
		.amdhsa_system_sgpr_workgroup_info 0
		.amdhsa_system_vgpr_workitem_id 0
		.amdhsa_next_free_vgpr 1
		.amdhsa_next_free_sgpr 0
		.amdhsa_reserve_vcc 0
		.amdhsa_reserve_flat_scratch 0
		.amdhsa_float_round_mode_32 0
		.amdhsa_float_round_mode_16_64 0
		.amdhsa_float_denorm_mode_32 3
		.amdhsa_float_denorm_mode_16_64 3
		.amdhsa_dx10_clamp 1
		.amdhsa_ieee_mode 1
		.amdhsa_fp16_overflow 0
		.amdhsa_exception_fp_ieee_invalid_op 0
		.amdhsa_exception_fp_denorm_src 0
		.amdhsa_exception_fp_ieee_div_zero 0
		.amdhsa_exception_fp_ieee_overflow 0
		.amdhsa_exception_fp_ieee_underflow 0
		.amdhsa_exception_fp_ieee_inexact 0
		.amdhsa_exception_int_div_zero 0
	.end_amdhsa_kernel
	.section	.text._ZN7rocprim17ROCPRIM_400000_NS6detail17trampoline_kernelINS0_13select_configILj256ELj13ELNS0_17block_load_methodE3ELS4_3ELS4_3ELNS0_20block_scan_algorithmE0ELj4294967295EEENS1_25partition_config_selectorILNS1_17partition_subalgoE4EjNS0_10empty_typeEbEEZZNS1_14partition_implILS8_4ELb0ES6_15HIP_vector_typeIjLj2EENS0_17counting_iteratorIjlEEPS9_SG_NS0_5tupleIJPjSI_NS0_16reverse_iteratorISI_EEEEENSH_IJSG_SG_SG_EEES9_SI_JZNS1_25segmented_radix_sort_implINS0_14default_configELb0EPKiPiPKlPlN2at6native12_GLOBAL__N_18offset_tEEE10hipError_tPvRmT1_PNSt15iterator_traitsIS12_E10value_typeET2_T3_PNS13_IS18_E10value_typeET4_jRbjT5_S1E_jjP12ihipStream_tbEUljE_ZNSN_ISO_Lb0ESQ_SR_ST_SU_SY_EESZ_S10_S11_S12_S16_S17_S18_S1B_S1C_jS1D_jS1E_S1E_jjS1G_bEUljE0_EEESZ_S10_S11_S18_S1C_S1E_T6_T7_T9_mT8_S1G_bDpT10_ENKUlT_T0_E_clISt17integral_constantIbLb0EES1U_EEDaS1P_S1Q_EUlS1P_E_NS1_11comp_targetILNS1_3genE8ELNS1_11target_archE1030ELNS1_3gpuE2ELNS1_3repE0EEENS1_30default_config_static_selectorELNS0_4arch9wavefront6targetE1EEEvS12_,"axG",@progbits,_ZN7rocprim17ROCPRIM_400000_NS6detail17trampoline_kernelINS0_13select_configILj256ELj13ELNS0_17block_load_methodE3ELS4_3ELS4_3ELNS0_20block_scan_algorithmE0ELj4294967295EEENS1_25partition_config_selectorILNS1_17partition_subalgoE4EjNS0_10empty_typeEbEEZZNS1_14partition_implILS8_4ELb0ES6_15HIP_vector_typeIjLj2EENS0_17counting_iteratorIjlEEPS9_SG_NS0_5tupleIJPjSI_NS0_16reverse_iteratorISI_EEEEENSH_IJSG_SG_SG_EEES9_SI_JZNS1_25segmented_radix_sort_implINS0_14default_configELb0EPKiPiPKlPlN2at6native12_GLOBAL__N_18offset_tEEE10hipError_tPvRmT1_PNSt15iterator_traitsIS12_E10value_typeET2_T3_PNS13_IS18_E10value_typeET4_jRbjT5_S1E_jjP12ihipStream_tbEUljE_ZNSN_ISO_Lb0ESQ_SR_ST_SU_SY_EESZ_S10_S11_S12_S16_S17_S18_S1B_S1C_jS1D_jS1E_S1E_jjS1G_bEUljE0_EEESZ_S10_S11_S18_S1C_S1E_T6_T7_T9_mT8_S1G_bDpT10_ENKUlT_T0_E_clISt17integral_constantIbLb0EES1U_EEDaS1P_S1Q_EUlS1P_E_NS1_11comp_targetILNS1_3genE8ELNS1_11target_archE1030ELNS1_3gpuE2ELNS1_3repE0EEENS1_30default_config_static_selectorELNS0_4arch9wavefront6targetE1EEEvS12_,comdat
.Lfunc_end543:
	.size	_ZN7rocprim17ROCPRIM_400000_NS6detail17trampoline_kernelINS0_13select_configILj256ELj13ELNS0_17block_load_methodE3ELS4_3ELS4_3ELNS0_20block_scan_algorithmE0ELj4294967295EEENS1_25partition_config_selectorILNS1_17partition_subalgoE4EjNS0_10empty_typeEbEEZZNS1_14partition_implILS8_4ELb0ES6_15HIP_vector_typeIjLj2EENS0_17counting_iteratorIjlEEPS9_SG_NS0_5tupleIJPjSI_NS0_16reverse_iteratorISI_EEEEENSH_IJSG_SG_SG_EEES9_SI_JZNS1_25segmented_radix_sort_implINS0_14default_configELb0EPKiPiPKlPlN2at6native12_GLOBAL__N_18offset_tEEE10hipError_tPvRmT1_PNSt15iterator_traitsIS12_E10value_typeET2_T3_PNS13_IS18_E10value_typeET4_jRbjT5_S1E_jjP12ihipStream_tbEUljE_ZNSN_ISO_Lb0ESQ_SR_ST_SU_SY_EESZ_S10_S11_S12_S16_S17_S18_S1B_S1C_jS1D_jS1E_S1E_jjS1G_bEUljE0_EEESZ_S10_S11_S18_S1C_S1E_T6_T7_T9_mT8_S1G_bDpT10_ENKUlT_T0_E_clISt17integral_constantIbLb0EES1U_EEDaS1P_S1Q_EUlS1P_E_NS1_11comp_targetILNS1_3genE8ELNS1_11target_archE1030ELNS1_3gpuE2ELNS1_3repE0EEENS1_30default_config_static_selectorELNS0_4arch9wavefront6targetE1EEEvS12_, .Lfunc_end543-_ZN7rocprim17ROCPRIM_400000_NS6detail17trampoline_kernelINS0_13select_configILj256ELj13ELNS0_17block_load_methodE3ELS4_3ELS4_3ELNS0_20block_scan_algorithmE0ELj4294967295EEENS1_25partition_config_selectorILNS1_17partition_subalgoE4EjNS0_10empty_typeEbEEZZNS1_14partition_implILS8_4ELb0ES6_15HIP_vector_typeIjLj2EENS0_17counting_iteratorIjlEEPS9_SG_NS0_5tupleIJPjSI_NS0_16reverse_iteratorISI_EEEEENSH_IJSG_SG_SG_EEES9_SI_JZNS1_25segmented_radix_sort_implINS0_14default_configELb0EPKiPiPKlPlN2at6native12_GLOBAL__N_18offset_tEEE10hipError_tPvRmT1_PNSt15iterator_traitsIS12_E10value_typeET2_T3_PNS13_IS18_E10value_typeET4_jRbjT5_S1E_jjP12ihipStream_tbEUljE_ZNSN_ISO_Lb0ESQ_SR_ST_SU_SY_EESZ_S10_S11_S12_S16_S17_S18_S1B_S1C_jS1D_jS1E_S1E_jjS1G_bEUljE0_EEESZ_S10_S11_S18_S1C_S1E_T6_T7_T9_mT8_S1G_bDpT10_ENKUlT_T0_E_clISt17integral_constantIbLb0EES1U_EEDaS1P_S1Q_EUlS1P_E_NS1_11comp_targetILNS1_3genE8ELNS1_11target_archE1030ELNS1_3gpuE2ELNS1_3repE0EEENS1_30default_config_static_selectorELNS0_4arch9wavefront6targetE1EEEvS12_
                                        ; -- End function
	.set _ZN7rocprim17ROCPRIM_400000_NS6detail17trampoline_kernelINS0_13select_configILj256ELj13ELNS0_17block_load_methodE3ELS4_3ELS4_3ELNS0_20block_scan_algorithmE0ELj4294967295EEENS1_25partition_config_selectorILNS1_17partition_subalgoE4EjNS0_10empty_typeEbEEZZNS1_14partition_implILS8_4ELb0ES6_15HIP_vector_typeIjLj2EENS0_17counting_iteratorIjlEEPS9_SG_NS0_5tupleIJPjSI_NS0_16reverse_iteratorISI_EEEEENSH_IJSG_SG_SG_EEES9_SI_JZNS1_25segmented_radix_sort_implINS0_14default_configELb0EPKiPiPKlPlN2at6native12_GLOBAL__N_18offset_tEEE10hipError_tPvRmT1_PNSt15iterator_traitsIS12_E10value_typeET2_T3_PNS13_IS18_E10value_typeET4_jRbjT5_S1E_jjP12ihipStream_tbEUljE_ZNSN_ISO_Lb0ESQ_SR_ST_SU_SY_EESZ_S10_S11_S12_S16_S17_S18_S1B_S1C_jS1D_jS1E_S1E_jjS1G_bEUljE0_EEESZ_S10_S11_S18_S1C_S1E_T6_T7_T9_mT8_S1G_bDpT10_ENKUlT_T0_E_clISt17integral_constantIbLb0EES1U_EEDaS1P_S1Q_EUlS1P_E_NS1_11comp_targetILNS1_3genE8ELNS1_11target_archE1030ELNS1_3gpuE2ELNS1_3repE0EEENS1_30default_config_static_selectorELNS0_4arch9wavefront6targetE1EEEvS12_.num_vgpr, 0
	.set _ZN7rocprim17ROCPRIM_400000_NS6detail17trampoline_kernelINS0_13select_configILj256ELj13ELNS0_17block_load_methodE3ELS4_3ELS4_3ELNS0_20block_scan_algorithmE0ELj4294967295EEENS1_25partition_config_selectorILNS1_17partition_subalgoE4EjNS0_10empty_typeEbEEZZNS1_14partition_implILS8_4ELb0ES6_15HIP_vector_typeIjLj2EENS0_17counting_iteratorIjlEEPS9_SG_NS0_5tupleIJPjSI_NS0_16reverse_iteratorISI_EEEEENSH_IJSG_SG_SG_EEES9_SI_JZNS1_25segmented_radix_sort_implINS0_14default_configELb0EPKiPiPKlPlN2at6native12_GLOBAL__N_18offset_tEEE10hipError_tPvRmT1_PNSt15iterator_traitsIS12_E10value_typeET2_T3_PNS13_IS18_E10value_typeET4_jRbjT5_S1E_jjP12ihipStream_tbEUljE_ZNSN_ISO_Lb0ESQ_SR_ST_SU_SY_EESZ_S10_S11_S12_S16_S17_S18_S1B_S1C_jS1D_jS1E_S1E_jjS1G_bEUljE0_EEESZ_S10_S11_S18_S1C_S1E_T6_T7_T9_mT8_S1G_bDpT10_ENKUlT_T0_E_clISt17integral_constantIbLb0EES1U_EEDaS1P_S1Q_EUlS1P_E_NS1_11comp_targetILNS1_3genE8ELNS1_11target_archE1030ELNS1_3gpuE2ELNS1_3repE0EEENS1_30default_config_static_selectorELNS0_4arch9wavefront6targetE1EEEvS12_.num_agpr, 0
	.set _ZN7rocprim17ROCPRIM_400000_NS6detail17trampoline_kernelINS0_13select_configILj256ELj13ELNS0_17block_load_methodE3ELS4_3ELS4_3ELNS0_20block_scan_algorithmE0ELj4294967295EEENS1_25partition_config_selectorILNS1_17partition_subalgoE4EjNS0_10empty_typeEbEEZZNS1_14partition_implILS8_4ELb0ES6_15HIP_vector_typeIjLj2EENS0_17counting_iteratorIjlEEPS9_SG_NS0_5tupleIJPjSI_NS0_16reverse_iteratorISI_EEEEENSH_IJSG_SG_SG_EEES9_SI_JZNS1_25segmented_radix_sort_implINS0_14default_configELb0EPKiPiPKlPlN2at6native12_GLOBAL__N_18offset_tEEE10hipError_tPvRmT1_PNSt15iterator_traitsIS12_E10value_typeET2_T3_PNS13_IS18_E10value_typeET4_jRbjT5_S1E_jjP12ihipStream_tbEUljE_ZNSN_ISO_Lb0ESQ_SR_ST_SU_SY_EESZ_S10_S11_S12_S16_S17_S18_S1B_S1C_jS1D_jS1E_S1E_jjS1G_bEUljE0_EEESZ_S10_S11_S18_S1C_S1E_T6_T7_T9_mT8_S1G_bDpT10_ENKUlT_T0_E_clISt17integral_constantIbLb0EES1U_EEDaS1P_S1Q_EUlS1P_E_NS1_11comp_targetILNS1_3genE8ELNS1_11target_archE1030ELNS1_3gpuE2ELNS1_3repE0EEENS1_30default_config_static_selectorELNS0_4arch9wavefront6targetE1EEEvS12_.numbered_sgpr, 0
	.set _ZN7rocprim17ROCPRIM_400000_NS6detail17trampoline_kernelINS0_13select_configILj256ELj13ELNS0_17block_load_methodE3ELS4_3ELS4_3ELNS0_20block_scan_algorithmE0ELj4294967295EEENS1_25partition_config_selectorILNS1_17partition_subalgoE4EjNS0_10empty_typeEbEEZZNS1_14partition_implILS8_4ELb0ES6_15HIP_vector_typeIjLj2EENS0_17counting_iteratorIjlEEPS9_SG_NS0_5tupleIJPjSI_NS0_16reverse_iteratorISI_EEEEENSH_IJSG_SG_SG_EEES9_SI_JZNS1_25segmented_radix_sort_implINS0_14default_configELb0EPKiPiPKlPlN2at6native12_GLOBAL__N_18offset_tEEE10hipError_tPvRmT1_PNSt15iterator_traitsIS12_E10value_typeET2_T3_PNS13_IS18_E10value_typeET4_jRbjT5_S1E_jjP12ihipStream_tbEUljE_ZNSN_ISO_Lb0ESQ_SR_ST_SU_SY_EESZ_S10_S11_S12_S16_S17_S18_S1B_S1C_jS1D_jS1E_S1E_jjS1G_bEUljE0_EEESZ_S10_S11_S18_S1C_S1E_T6_T7_T9_mT8_S1G_bDpT10_ENKUlT_T0_E_clISt17integral_constantIbLb0EES1U_EEDaS1P_S1Q_EUlS1P_E_NS1_11comp_targetILNS1_3genE8ELNS1_11target_archE1030ELNS1_3gpuE2ELNS1_3repE0EEENS1_30default_config_static_selectorELNS0_4arch9wavefront6targetE1EEEvS12_.num_named_barrier, 0
	.set _ZN7rocprim17ROCPRIM_400000_NS6detail17trampoline_kernelINS0_13select_configILj256ELj13ELNS0_17block_load_methodE3ELS4_3ELS4_3ELNS0_20block_scan_algorithmE0ELj4294967295EEENS1_25partition_config_selectorILNS1_17partition_subalgoE4EjNS0_10empty_typeEbEEZZNS1_14partition_implILS8_4ELb0ES6_15HIP_vector_typeIjLj2EENS0_17counting_iteratorIjlEEPS9_SG_NS0_5tupleIJPjSI_NS0_16reverse_iteratorISI_EEEEENSH_IJSG_SG_SG_EEES9_SI_JZNS1_25segmented_radix_sort_implINS0_14default_configELb0EPKiPiPKlPlN2at6native12_GLOBAL__N_18offset_tEEE10hipError_tPvRmT1_PNSt15iterator_traitsIS12_E10value_typeET2_T3_PNS13_IS18_E10value_typeET4_jRbjT5_S1E_jjP12ihipStream_tbEUljE_ZNSN_ISO_Lb0ESQ_SR_ST_SU_SY_EESZ_S10_S11_S12_S16_S17_S18_S1B_S1C_jS1D_jS1E_S1E_jjS1G_bEUljE0_EEESZ_S10_S11_S18_S1C_S1E_T6_T7_T9_mT8_S1G_bDpT10_ENKUlT_T0_E_clISt17integral_constantIbLb0EES1U_EEDaS1P_S1Q_EUlS1P_E_NS1_11comp_targetILNS1_3genE8ELNS1_11target_archE1030ELNS1_3gpuE2ELNS1_3repE0EEENS1_30default_config_static_selectorELNS0_4arch9wavefront6targetE1EEEvS12_.private_seg_size, 0
	.set _ZN7rocprim17ROCPRIM_400000_NS6detail17trampoline_kernelINS0_13select_configILj256ELj13ELNS0_17block_load_methodE3ELS4_3ELS4_3ELNS0_20block_scan_algorithmE0ELj4294967295EEENS1_25partition_config_selectorILNS1_17partition_subalgoE4EjNS0_10empty_typeEbEEZZNS1_14partition_implILS8_4ELb0ES6_15HIP_vector_typeIjLj2EENS0_17counting_iteratorIjlEEPS9_SG_NS0_5tupleIJPjSI_NS0_16reverse_iteratorISI_EEEEENSH_IJSG_SG_SG_EEES9_SI_JZNS1_25segmented_radix_sort_implINS0_14default_configELb0EPKiPiPKlPlN2at6native12_GLOBAL__N_18offset_tEEE10hipError_tPvRmT1_PNSt15iterator_traitsIS12_E10value_typeET2_T3_PNS13_IS18_E10value_typeET4_jRbjT5_S1E_jjP12ihipStream_tbEUljE_ZNSN_ISO_Lb0ESQ_SR_ST_SU_SY_EESZ_S10_S11_S12_S16_S17_S18_S1B_S1C_jS1D_jS1E_S1E_jjS1G_bEUljE0_EEESZ_S10_S11_S18_S1C_S1E_T6_T7_T9_mT8_S1G_bDpT10_ENKUlT_T0_E_clISt17integral_constantIbLb0EES1U_EEDaS1P_S1Q_EUlS1P_E_NS1_11comp_targetILNS1_3genE8ELNS1_11target_archE1030ELNS1_3gpuE2ELNS1_3repE0EEENS1_30default_config_static_selectorELNS0_4arch9wavefront6targetE1EEEvS12_.uses_vcc, 0
	.set _ZN7rocprim17ROCPRIM_400000_NS6detail17trampoline_kernelINS0_13select_configILj256ELj13ELNS0_17block_load_methodE3ELS4_3ELS4_3ELNS0_20block_scan_algorithmE0ELj4294967295EEENS1_25partition_config_selectorILNS1_17partition_subalgoE4EjNS0_10empty_typeEbEEZZNS1_14partition_implILS8_4ELb0ES6_15HIP_vector_typeIjLj2EENS0_17counting_iteratorIjlEEPS9_SG_NS0_5tupleIJPjSI_NS0_16reverse_iteratorISI_EEEEENSH_IJSG_SG_SG_EEES9_SI_JZNS1_25segmented_radix_sort_implINS0_14default_configELb0EPKiPiPKlPlN2at6native12_GLOBAL__N_18offset_tEEE10hipError_tPvRmT1_PNSt15iterator_traitsIS12_E10value_typeET2_T3_PNS13_IS18_E10value_typeET4_jRbjT5_S1E_jjP12ihipStream_tbEUljE_ZNSN_ISO_Lb0ESQ_SR_ST_SU_SY_EESZ_S10_S11_S12_S16_S17_S18_S1B_S1C_jS1D_jS1E_S1E_jjS1G_bEUljE0_EEESZ_S10_S11_S18_S1C_S1E_T6_T7_T9_mT8_S1G_bDpT10_ENKUlT_T0_E_clISt17integral_constantIbLb0EES1U_EEDaS1P_S1Q_EUlS1P_E_NS1_11comp_targetILNS1_3genE8ELNS1_11target_archE1030ELNS1_3gpuE2ELNS1_3repE0EEENS1_30default_config_static_selectorELNS0_4arch9wavefront6targetE1EEEvS12_.uses_flat_scratch, 0
	.set _ZN7rocprim17ROCPRIM_400000_NS6detail17trampoline_kernelINS0_13select_configILj256ELj13ELNS0_17block_load_methodE3ELS4_3ELS4_3ELNS0_20block_scan_algorithmE0ELj4294967295EEENS1_25partition_config_selectorILNS1_17partition_subalgoE4EjNS0_10empty_typeEbEEZZNS1_14partition_implILS8_4ELb0ES6_15HIP_vector_typeIjLj2EENS0_17counting_iteratorIjlEEPS9_SG_NS0_5tupleIJPjSI_NS0_16reverse_iteratorISI_EEEEENSH_IJSG_SG_SG_EEES9_SI_JZNS1_25segmented_radix_sort_implINS0_14default_configELb0EPKiPiPKlPlN2at6native12_GLOBAL__N_18offset_tEEE10hipError_tPvRmT1_PNSt15iterator_traitsIS12_E10value_typeET2_T3_PNS13_IS18_E10value_typeET4_jRbjT5_S1E_jjP12ihipStream_tbEUljE_ZNSN_ISO_Lb0ESQ_SR_ST_SU_SY_EESZ_S10_S11_S12_S16_S17_S18_S1B_S1C_jS1D_jS1E_S1E_jjS1G_bEUljE0_EEESZ_S10_S11_S18_S1C_S1E_T6_T7_T9_mT8_S1G_bDpT10_ENKUlT_T0_E_clISt17integral_constantIbLb0EES1U_EEDaS1P_S1Q_EUlS1P_E_NS1_11comp_targetILNS1_3genE8ELNS1_11target_archE1030ELNS1_3gpuE2ELNS1_3repE0EEENS1_30default_config_static_selectorELNS0_4arch9wavefront6targetE1EEEvS12_.has_dyn_sized_stack, 0
	.set _ZN7rocprim17ROCPRIM_400000_NS6detail17trampoline_kernelINS0_13select_configILj256ELj13ELNS0_17block_load_methodE3ELS4_3ELS4_3ELNS0_20block_scan_algorithmE0ELj4294967295EEENS1_25partition_config_selectorILNS1_17partition_subalgoE4EjNS0_10empty_typeEbEEZZNS1_14partition_implILS8_4ELb0ES6_15HIP_vector_typeIjLj2EENS0_17counting_iteratorIjlEEPS9_SG_NS0_5tupleIJPjSI_NS0_16reverse_iteratorISI_EEEEENSH_IJSG_SG_SG_EEES9_SI_JZNS1_25segmented_radix_sort_implINS0_14default_configELb0EPKiPiPKlPlN2at6native12_GLOBAL__N_18offset_tEEE10hipError_tPvRmT1_PNSt15iterator_traitsIS12_E10value_typeET2_T3_PNS13_IS18_E10value_typeET4_jRbjT5_S1E_jjP12ihipStream_tbEUljE_ZNSN_ISO_Lb0ESQ_SR_ST_SU_SY_EESZ_S10_S11_S12_S16_S17_S18_S1B_S1C_jS1D_jS1E_S1E_jjS1G_bEUljE0_EEESZ_S10_S11_S18_S1C_S1E_T6_T7_T9_mT8_S1G_bDpT10_ENKUlT_T0_E_clISt17integral_constantIbLb0EES1U_EEDaS1P_S1Q_EUlS1P_E_NS1_11comp_targetILNS1_3genE8ELNS1_11target_archE1030ELNS1_3gpuE2ELNS1_3repE0EEENS1_30default_config_static_selectorELNS0_4arch9wavefront6targetE1EEEvS12_.has_recursion, 0
	.set _ZN7rocprim17ROCPRIM_400000_NS6detail17trampoline_kernelINS0_13select_configILj256ELj13ELNS0_17block_load_methodE3ELS4_3ELS4_3ELNS0_20block_scan_algorithmE0ELj4294967295EEENS1_25partition_config_selectorILNS1_17partition_subalgoE4EjNS0_10empty_typeEbEEZZNS1_14partition_implILS8_4ELb0ES6_15HIP_vector_typeIjLj2EENS0_17counting_iteratorIjlEEPS9_SG_NS0_5tupleIJPjSI_NS0_16reverse_iteratorISI_EEEEENSH_IJSG_SG_SG_EEES9_SI_JZNS1_25segmented_radix_sort_implINS0_14default_configELb0EPKiPiPKlPlN2at6native12_GLOBAL__N_18offset_tEEE10hipError_tPvRmT1_PNSt15iterator_traitsIS12_E10value_typeET2_T3_PNS13_IS18_E10value_typeET4_jRbjT5_S1E_jjP12ihipStream_tbEUljE_ZNSN_ISO_Lb0ESQ_SR_ST_SU_SY_EESZ_S10_S11_S12_S16_S17_S18_S1B_S1C_jS1D_jS1E_S1E_jjS1G_bEUljE0_EEESZ_S10_S11_S18_S1C_S1E_T6_T7_T9_mT8_S1G_bDpT10_ENKUlT_T0_E_clISt17integral_constantIbLb0EES1U_EEDaS1P_S1Q_EUlS1P_E_NS1_11comp_targetILNS1_3genE8ELNS1_11target_archE1030ELNS1_3gpuE2ELNS1_3repE0EEENS1_30default_config_static_selectorELNS0_4arch9wavefront6targetE1EEEvS12_.has_indirect_call, 0
	.section	.AMDGPU.csdata,"",@progbits
; Kernel info:
; codeLenInByte = 0
; TotalNumSgprs: 4
; NumVgprs: 0
; ScratchSize: 0
; MemoryBound: 0
; FloatMode: 240
; IeeeMode: 1
; LDSByteSize: 0 bytes/workgroup (compile time only)
; SGPRBlocks: 0
; VGPRBlocks: 0
; NumSGPRsForWavesPerEU: 4
; NumVGPRsForWavesPerEU: 1
; Occupancy: 10
; WaveLimiterHint : 0
; COMPUTE_PGM_RSRC2:SCRATCH_EN: 0
; COMPUTE_PGM_RSRC2:USER_SGPR: 6
; COMPUTE_PGM_RSRC2:TRAP_HANDLER: 0
; COMPUTE_PGM_RSRC2:TGID_X_EN: 1
; COMPUTE_PGM_RSRC2:TGID_Y_EN: 0
; COMPUTE_PGM_RSRC2:TGID_Z_EN: 0
; COMPUTE_PGM_RSRC2:TIDIG_COMP_CNT: 0
	.section	.text._ZN7rocprim17ROCPRIM_400000_NS6detail17trampoline_kernelINS0_13select_configILj256ELj13ELNS0_17block_load_methodE3ELS4_3ELS4_3ELNS0_20block_scan_algorithmE0ELj4294967295EEENS1_25partition_config_selectorILNS1_17partition_subalgoE4EjNS0_10empty_typeEbEEZZNS1_14partition_implILS8_4ELb0ES6_15HIP_vector_typeIjLj2EENS0_17counting_iteratorIjlEEPS9_SG_NS0_5tupleIJPjSI_NS0_16reverse_iteratorISI_EEEEENSH_IJSG_SG_SG_EEES9_SI_JZNS1_25segmented_radix_sort_implINS0_14default_configELb0EPKiPiPKlPlN2at6native12_GLOBAL__N_18offset_tEEE10hipError_tPvRmT1_PNSt15iterator_traitsIS12_E10value_typeET2_T3_PNS13_IS18_E10value_typeET4_jRbjT5_S1E_jjP12ihipStream_tbEUljE_ZNSN_ISO_Lb0ESQ_SR_ST_SU_SY_EESZ_S10_S11_S12_S16_S17_S18_S1B_S1C_jS1D_jS1E_S1E_jjS1G_bEUljE0_EEESZ_S10_S11_S18_S1C_S1E_T6_T7_T9_mT8_S1G_bDpT10_ENKUlT_T0_E_clISt17integral_constantIbLb1EES1U_EEDaS1P_S1Q_EUlS1P_E_NS1_11comp_targetILNS1_3genE0ELNS1_11target_archE4294967295ELNS1_3gpuE0ELNS1_3repE0EEENS1_30default_config_static_selectorELNS0_4arch9wavefront6targetE1EEEvS12_,"axG",@progbits,_ZN7rocprim17ROCPRIM_400000_NS6detail17trampoline_kernelINS0_13select_configILj256ELj13ELNS0_17block_load_methodE3ELS4_3ELS4_3ELNS0_20block_scan_algorithmE0ELj4294967295EEENS1_25partition_config_selectorILNS1_17partition_subalgoE4EjNS0_10empty_typeEbEEZZNS1_14partition_implILS8_4ELb0ES6_15HIP_vector_typeIjLj2EENS0_17counting_iteratorIjlEEPS9_SG_NS0_5tupleIJPjSI_NS0_16reverse_iteratorISI_EEEEENSH_IJSG_SG_SG_EEES9_SI_JZNS1_25segmented_radix_sort_implINS0_14default_configELb0EPKiPiPKlPlN2at6native12_GLOBAL__N_18offset_tEEE10hipError_tPvRmT1_PNSt15iterator_traitsIS12_E10value_typeET2_T3_PNS13_IS18_E10value_typeET4_jRbjT5_S1E_jjP12ihipStream_tbEUljE_ZNSN_ISO_Lb0ESQ_SR_ST_SU_SY_EESZ_S10_S11_S12_S16_S17_S18_S1B_S1C_jS1D_jS1E_S1E_jjS1G_bEUljE0_EEESZ_S10_S11_S18_S1C_S1E_T6_T7_T9_mT8_S1G_bDpT10_ENKUlT_T0_E_clISt17integral_constantIbLb1EES1U_EEDaS1P_S1Q_EUlS1P_E_NS1_11comp_targetILNS1_3genE0ELNS1_11target_archE4294967295ELNS1_3gpuE0ELNS1_3repE0EEENS1_30default_config_static_selectorELNS0_4arch9wavefront6targetE1EEEvS12_,comdat
	.globl	_ZN7rocprim17ROCPRIM_400000_NS6detail17trampoline_kernelINS0_13select_configILj256ELj13ELNS0_17block_load_methodE3ELS4_3ELS4_3ELNS0_20block_scan_algorithmE0ELj4294967295EEENS1_25partition_config_selectorILNS1_17partition_subalgoE4EjNS0_10empty_typeEbEEZZNS1_14partition_implILS8_4ELb0ES6_15HIP_vector_typeIjLj2EENS0_17counting_iteratorIjlEEPS9_SG_NS0_5tupleIJPjSI_NS0_16reverse_iteratorISI_EEEEENSH_IJSG_SG_SG_EEES9_SI_JZNS1_25segmented_radix_sort_implINS0_14default_configELb0EPKiPiPKlPlN2at6native12_GLOBAL__N_18offset_tEEE10hipError_tPvRmT1_PNSt15iterator_traitsIS12_E10value_typeET2_T3_PNS13_IS18_E10value_typeET4_jRbjT5_S1E_jjP12ihipStream_tbEUljE_ZNSN_ISO_Lb0ESQ_SR_ST_SU_SY_EESZ_S10_S11_S12_S16_S17_S18_S1B_S1C_jS1D_jS1E_S1E_jjS1G_bEUljE0_EEESZ_S10_S11_S18_S1C_S1E_T6_T7_T9_mT8_S1G_bDpT10_ENKUlT_T0_E_clISt17integral_constantIbLb1EES1U_EEDaS1P_S1Q_EUlS1P_E_NS1_11comp_targetILNS1_3genE0ELNS1_11target_archE4294967295ELNS1_3gpuE0ELNS1_3repE0EEENS1_30default_config_static_selectorELNS0_4arch9wavefront6targetE1EEEvS12_ ; -- Begin function _ZN7rocprim17ROCPRIM_400000_NS6detail17trampoline_kernelINS0_13select_configILj256ELj13ELNS0_17block_load_methodE3ELS4_3ELS4_3ELNS0_20block_scan_algorithmE0ELj4294967295EEENS1_25partition_config_selectorILNS1_17partition_subalgoE4EjNS0_10empty_typeEbEEZZNS1_14partition_implILS8_4ELb0ES6_15HIP_vector_typeIjLj2EENS0_17counting_iteratorIjlEEPS9_SG_NS0_5tupleIJPjSI_NS0_16reverse_iteratorISI_EEEEENSH_IJSG_SG_SG_EEES9_SI_JZNS1_25segmented_radix_sort_implINS0_14default_configELb0EPKiPiPKlPlN2at6native12_GLOBAL__N_18offset_tEEE10hipError_tPvRmT1_PNSt15iterator_traitsIS12_E10value_typeET2_T3_PNS13_IS18_E10value_typeET4_jRbjT5_S1E_jjP12ihipStream_tbEUljE_ZNSN_ISO_Lb0ESQ_SR_ST_SU_SY_EESZ_S10_S11_S12_S16_S17_S18_S1B_S1C_jS1D_jS1E_S1E_jjS1G_bEUljE0_EEESZ_S10_S11_S18_S1C_S1E_T6_T7_T9_mT8_S1G_bDpT10_ENKUlT_T0_E_clISt17integral_constantIbLb1EES1U_EEDaS1P_S1Q_EUlS1P_E_NS1_11comp_targetILNS1_3genE0ELNS1_11target_archE4294967295ELNS1_3gpuE0ELNS1_3repE0EEENS1_30default_config_static_selectorELNS0_4arch9wavefront6targetE1EEEvS12_
	.p2align	8
	.type	_ZN7rocprim17ROCPRIM_400000_NS6detail17trampoline_kernelINS0_13select_configILj256ELj13ELNS0_17block_load_methodE3ELS4_3ELS4_3ELNS0_20block_scan_algorithmE0ELj4294967295EEENS1_25partition_config_selectorILNS1_17partition_subalgoE4EjNS0_10empty_typeEbEEZZNS1_14partition_implILS8_4ELb0ES6_15HIP_vector_typeIjLj2EENS0_17counting_iteratorIjlEEPS9_SG_NS0_5tupleIJPjSI_NS0_16reverse_iteratorISI_EEEEENSH_IJSG_SG_SG_EEES9_SI_JZNS1_25segmented_radix_sort_implINS0_14default_configELb0EPKiPiPKlPlN2at6native12_GLOBAL__N_18offset_tEEE10hipError_tPvRmT1_PNSt15iterator_traitsIS12_E10value_typeET2_T3_PNS13_IS18_E10value_typeET4_jRbjT5_S1E_jjP12ihipStream_tbEUljE_ZNSN_ISO_Lb0ESQ_SR_ST_SU_SY_EESZ_S10_S11_S12_S16_S17_S18_S1B_S1C_jS1D_jS1E_S1E_jjS1G_bEUljE0_EEESZ_S10_S11_S18_S1C_S1E_T6_T7_T9_mT8_S1G_bDpT10_ENKUlT_T0_E_clISt17integral_constantIbLb1EES1U_EEDaS1P_S1Q_EUlS1P_E_NS1_11comp_targetILNS1_3genE0ELNS1_11target_archE4294967295ELNS1_3gpuE0ELNS1_3repE0EEENS1_30default_config_static_selectorELNS0_4arch9wavefront6targetE1EEEvS12_,@function
_ZN7rocprim17ROCPRIM_400000_NS6detail17trampoline_kernelINS0_13select_configILj256ELj13ELNS0_17block_load_methodE3ELS4_3ELS4_3ELNS0_20block_scan_algorithmE0ELj4294967295EEENS1_25partition_config_selectorILNS1_17partition_subalgoE4EjNS0_10empty_typeEbEEZZNS1_14partition_implILS8_4ELb0ES6_15HIP_vector_typeIjLj2EENS0_17counting_iteratorIjlEEPS9_SG_NS0_5tupleIJPjSI_NS0_16reverse_iteratorISI_EEEEENSH_IJSG_SG_SG_EEES9_SI_JZNS1_25segmented_radix_sort_implINS0_14default_configELb0EPKiPiPKlPlN2at6native12_GLOBAL__N_18offset_tEEE10hipError_tPvRmT1_PNSt15iterator_traitsIS12_E10value_typeET2_T3_PNS13_IS18_E10value_typeET4_jRbjT5_S1E_jjP12ihipStream_tbEUljE_ZNSN_ISO_Lb0ESQ_SR_ST_SU_SY_EESZ_S10_S11_S12_S16_S17_S18_S1B_S1C_jS1D_jS1E_S1E_jjS1G_bEUljE0_EEESZ_S10_S11_S18_S1C_S1E_T6_T7_T9_mT8_S1G_bDpT10_ENKUlT_T0_E_clISt17integral_constantIbLb1EES1U_EEDaS1P_S1Q_EUlS1P_E_NS1_11comp_targetILNS1_3genE0ELNS1_11target_archE4294967295ELNS1_3gpuE0ELNS1_3repE0EEENS1_30default_config_static_selectorELNS0_4arch9wavefront6targetE1EEEvS12_: ; @_ZN7rocprim17ROCPRIM_400000_NS6detail17trampoline_kernelINS0_13select_configILj256ELj13ELNS0_17block_load_methodE3ELS4_3ELS4_3ELNS0_20block_scan_algorithmE0ELj4294967295EEENS1_25partition_config_selectorILNS1_17partition_subalgoE4EjNS0_10empty_typeEbEEZZNS1_14partition_implILS8_4ELb0ES6_15HIP_vector_typeIjLj2EENS0_17counting_iteratorIjlEEPS9_SG_NS0_5tupleIJPjSI_NS0_16reverse_iteratorISI_EEEEENSH_IJSG_SG_SG_EEES9_SI_JZNS1_25segmented_radix_sort_implINS0_14default_configELb0EPKiPiPKlPlN2at6native12_GLOBAL__N_18offset_tEEE10hipError_tPvRmT1_PNSt15iterator_traitsIS12_E10value_typeET2_T3_PNS13_IS18_E10value_typeET4_jRbjT5_S1E_jjP12ihipStream_tbEUljE_ZNSN_ISO_Lb0ESQ_SR_ST_SU_SY_EESZ_S10_S11_S12_S16_S17_S18_S1B_S1C_jS1D_jS1E_S1E_jjS1G_bEUljE0_EEESZ_S10_S11_S18_S1C_S1E_T6_T7_T9_mT8_S1G_bDpT10_ENKUlT_T0_E_clISt17integral_constantIbLb1EES1U_EEDaS1P_S1Q_EUlS1P_E_NS1_11comp_targetILNS1_3genE0ELNS1_11target_archE4294967295ELNS1_3gpuE0ELNS1_3repE0EEENS1_30default_config_static_selectorELNS0_4arch9wavefront6targetE1EEEvS12_
; %bb.0:
	.section	.rodata,"a",@progbits
	.p2align	6, 0x0
	.amdhsa_kernel _ZN7rocprim17ROCPRIM_400000_NS6detail17trampoline_kernelINS0_13select_configILj256ELj13ELNS0_17block_load_methodE3ELS4_3ELS4_3ELNS0_20block_scan_algorithmE0ELj4294967295EEENS1_25partition_config_selectorILNS1_17partition_subalgoE4EjNS0_10empty_typeEbEEZZNS1_14partition_implILS8_4ELb0ES6_15HIP_vector_typeIjLj2EENS0_17counting_iteratorIjlEEPS9_SG_NS0_5tupleIJPjSI_NS0_16reverse_iteratorISI_EEEEENSH_IJSG_SG_SG_EEES9_SI_JZNS1_25segmented_radix_sort_implINS0_14default_configELb0EPKiPiPKlPlN2at6native12_GLOBAL__N_18offset_tEEE10hipError_tPvRmT1_PNSt15iterator_traitsIS12_E10value_typeET2_T3_PNS13_IS18_E10value_typeET4_jRbjT5_S1E_jjP12ihipStream_tbEUljE_ZNSN_ISO_Lb0ESQ_SR_ST_SU_SY_EESZ_S10_S11_S12_S16_S17_S18_S1B_S1C_jS1D_jS1E_S1E_jjS1G_bEUljE0_EEESZ_S10_S11_S18_S1C_S1E_T6_T7_T9_mT8_S1G_bDpT10_ENKUlT_T0_E_clISt17integral_constantIbLb1EES1U_EEDaS1P_S1Q_EUlS1P_E_NS1_11comp_targetILNS1_3genE0ELNS1_11target_archE4294967295ELNS1_3gpuE0ELNS1_3repE0EEENS1_30default_config_static_selectorELNS0_4arch9wavefront6targetE1EEEvS12_
		.amdhsa_group_segment_fixed_size 0
		.amdhsa_private_segment_fixed_size 0
		.amdhsa_kernarg_size 184
		.amdhsa_user_sgpr_count 6
		.amdhsa_user_sgpr_private_segment_buffer 1
		.amdhsa_user_sgpr_dispatch_ptr 0
		.amdhsa_user_sgpr_queue_ptr 0
		.amdhsa_user_sgpr_kernarg_segment_ptr 1
		.amdhsa_user_sgpr_dispatch_id 0
		.amdhsa_user_sgpr_flat_scratch_init 0
		.amdhsa_user_sgpr_private_segment_size 0
		.amdhsa_uses_dynamic_stack 0
		.amdhsa_system_sgpr_private_segment_wavefront_offset 0
		.amdhsa_system_sgpr_workgroup_id_x 1
		.amdhsa_system_sgpr_workgroup_id_y 0
		.amdhsa_system_sgpr_workgroup_id_z 0
		.amdhsa_system_sgpr_workgroup_info 0
		.amdhsa_system_vgpr_workitem_id 0
		.amdhsa_next_free_vgpr 1
		.amdhsa_next_free_sgpr 0
		.amdhsa_reserve_vcc 0
		.amdhsa_reserve_flat_scratch 0
		.amdhsa_float_round_mode_32 0
		.amdhsa_float_round_mode_16_64 0
		.amdhsa_float_denorm_mode_32 3
		.amdhsa_float_denorm_mode_16_64 3
		.amdhsa_dx10_clamp 1
		.amdhsa_ieee_mode 1
		.amdhsa_fp16_overflow 0
		.amdhsa_exception_fp_ieee_invalid_op 0
		.amdhsa_exception_fp_denorm_src 0
		.amdhsa_exception_fp_ieee_div_zero 0
		.amdhsa_exception_fp_ieee_overflow 0
		.amdhsa_exception_fp_ieee_underflow 0
		.amdhsa_exception_fp_ieee_inexact 0
		.amdhsa_exception_int_div_zero 0
	.end_amdhsa_kernel
	.section	.text._ZN7rocprim17ROCPRIM_400000_NS6detail17trampoline_kernelINS0_13select_configILj256ELj13ELNS0_17block_load_methodE3ELS4_3ELS4_3ELNS0_20block_scan_algorithmE0ELj4294967295EEENS1_25partition_config_selectorILNS1_17partition_subalgoE4EjNS0_10empty_typeEbEEZZNS1_14partition_implILS8_4ELb0ES6_15HIP_vector_typeIjLj2EENS0_17counting_iteratorIjlEEPS9_SG_NS0_5tupleIJPjSI_NS0_16reverse_iteratorISI_EEEEENSH_IJSG_SG_SG_EEES9_SI_JZNS1_25segmented_radix_sort_implINS0_14default_configELb0EPKiPiPKlPlN2at6native12_GLOBAL__N_18offset_tEEE10hipError_tPvRmT1_PNSt15iterator_traitsIS12_E10value_typeET2_T3_PNS13_IS18_E10value_typeET4_jRbjT5_S1E_jjP12ihipStream_tbEUljE_ZNSN_ISO_Lb0ESQ_SR_ST_SU_SY_EESZ_S10_S11_S12_S16_S17_S18_S1B_S1C_jS1D_jS1E_S1E_jjS1G_bEUljE0_EEESZ_S10_S11_S18_S1C_S1E_T6_T7_T9_mT8_S1G_bDpT10_ENKUlT_T0_E_clISt17integral_constantIbLb1EES1U_EEDaS1P_S1Q_EUlS1P_E_NS1_11comp_targetILNS1_3genE0ELNS1_11target_archE4294967295ELNS1_3gpuE0ELNS1_3repE0EEENS1_30default_config_static_selectorELNS0_4arch9wavefront6targetE1EEEvS12_,"axG",@progbits,_ZN7rocprim17ROCPRIM_400000_NS6detail17trampoline_kernelINS0_13select_configILj256ELj13ELNS0_17block_load_methodE3ELS4_3ELS4_3ELNS0_20block_scan_algorithmE0ELj4294967295EEENS1_25partition_config_selectorILNS1_17partition_subalgoE4EjNS0_10empty_typeEbEEZZNS1_14partition_implILS8_4ELb0ES6_15HIP_vector_typeIjLj2EENS0_17counting_iteratorIjlEEPS9_SG_NS0_5tupleIJPjSI_NS0_16reverse_iteratorISI_EEEEENSH_IJSG_SG_SG_EEES9_SI_JZNS1_25segmented_radix_sort_implINS0_14default_configELb0EPKiPiPKlPlN2at6native12_GLOBAL__N_18offset_tEEE10hipError_tPvRmT1_PNSt15iterator_traitsIS12_E10value_typeET2_T3_PNS13_IS18_E10value_typeET4_jRbjT5_S1E_jjP12ihipStream_tbEUljE_ZNSN_ISO_Lb0ESQ_SR_ST_SU_SY_EESZ_S10_S11_S12_S16_S17_S18_S1B_S1C_jS1D_jS1E_S1E_jjS1G_bEUljE0_EEESZ_S10_S11_S18_S1C_S1E_T6_T7_T9_mT8_S1G_bDpT10_ENKUlT_T0_E_clISt17integral_constantIbLb1EES1U_EEDaS1P_S1Q_EUlS1P_E_NS1_11comp_targetILNS1_3genE0ELNS1_11target_archE4294967295ELNS1_3gpuE0ELNS1_3repE0EEENS1_30default_config_static_selectorELNS0_4arch9wavefront6targetE1EEEvS12_,comdat
.Lfunc_end544:
	.size	_ZN7rocprim17ROCPRIM_400000_NS6detail17trampoline_kernelINS0_13select_configILj256ELj13ELNS0_17block_load_methodE3ELS4_3ELS4_3ELNS0_20block_scan_algorithmE0ELj4294967295EEENS1_25partition_config_selectorILNS1_17partition_subalgoE4EjNS0_10empty_typeEbEEZZNS1_14partition_implILS8_4ELb0ES6_15HIP_vector_typeIjLj2EENS0_17counting_iteratorIjlEEPS9_SG_NS0_5tupleIJPjSI_NS0_16reverse_iteratorISI_EEEEENSH_IJSG_SG_SG_EEES9_SI_JZNS1_25segmented_radix_sort_implINS0_14default_configELb0EPKiPiPKlPlN2at6native12_GLOBAL__N_18offset_tEEE10hipError_tPvRmT1_PNSt15iterator_traitsIS12_E10value_typeET2_T3_PNS13_IS18_E10value_typeET4_jRbjT5_S1E_jjP12ihipStream_tbEUljE_ZNSN_ISO_Lb0ESQ_SR_ST_SU_SY_EESZ_S10_S11_S12_S16_S17_S18_S1B_S1C_jS1D_jS1E_S1E_jjS1G_bEUljE0_EEESZ_S10_S11_S18_S1C_S1E_T6_T7_T9_mT8_S1G_bDpT10_ENKUlT_T0_E_clISt17integral_constantIbLb1EES1U_EEDaS1P_S1Q_EUlS1P_E_NS1_11comp_targetILNS1_3genE0ELNS1_11target_archE4294967295ELNS1_3gpuE0ELNS1_3repE0EEENS1_30default_config_static_selectorELNS0_4arch9wavefront6targetE1EEEvS12_, .Lfunc_end544-_ZN7rocprim17ROCPRIM_400000_NS6detail17trampoline_kernelINS0_13select_configILj256ELj13ELNS0_17block_load_methodE3ELS4_3ELS4_3ELNS0_20block_scan_algorithmE0ELj4294967295EEENS1_25partition_config_selectorILNS1_17partition_subalgoE4EjNS0_10empty_typeEbEEZZNS1_14partition_implILS8_4ELb0ES6_15HIP_vector_typeIjLj2EENS0_17counting_iteratorIjlEEPS9_SG_NS0_5tupleIJPjSI_NS0_16reverse_iteratorISI_EEEEENSH_IJSG_SG_SG_EEES9_SI_JZNS1_25segmented_radix_sort_implINS0_14default_configELb0EPKiPiPKlPlN2at6native12_GLOBAL__N_18offset_tEEE10hipError_tPvRmT1_PNSt15iterator_traitsIS12_E10value_typeET2_T3_PNS13_IS18_E10value_typeET4_jRbjT5_S1E_jjP12ihipStream_tbEUljE_ZNSN_ISO_Lb0ESQ_SR_ST_SU_SY_EESZ_S10_S11_S12_S16_S17_S18_S1B_S1C_jS1D_jS1E_S1E_jjS1G_bEUljE0_EEESZ_S10_S11_S18_S1C_S1E_T6_T7_T9_mT8_S1G_bDpT10_ENKUlT_T0_E_clISt17integral_constantIbLb1EES1U_EEDaS1P_S1Q_EUlS1P_E_NS1_11comp_targetILNS1_3genE0ELNS1_11target_archE4294967295ELNS1_3gpuE0ELNS1_3repE0EEENS1_30default_config_static_selectorELNS0_4arch9wavefront6targetE1EEEvS12_
                                        ; -- End function
	.set _ZN7rocprim17ROCPRIM_400000_NS6detail17trampoline_kernelINS0_13select_configILj256ELj13ELNS0_17block_load_methodE3ELS4_3ELS4_3ELNS0_20block_scan_algorithmE0ELj4294967295EEENS1_25partition_config_selectorILNS1_17partition_subalgoE4EjNS0_10empty_typeEbEEZZNS1_14partition_implILS8_4ELb0ES6_15HIP_vector_typeIjLj2EENS0_17counting_iteratorIjlEEPS9_SG_NS0_5tupleIJPjSI_NS0_16reverse_iteratorISI_EEEEENSH_IJSG_SG_SG_EEES9_SI_JZNS1_25segmented_radix_sort_implINS0_14default_configELb0EPKiPiPKlPlN2at6native12_GLOBAL__N_18offset_tEEE10hipError_tPvRmT1_PNSt15iterator_traitsIS12_E10value_typeET2_T3_PNS13_IS18_E10value_typeET4_jRbjT5_S1E_jjP12ihipStream_tbEUljE_ZNSN_ISO_Lb0ESQ_SR_ST_SU_SY_EESZ_S10_S11_S12_S16_S17_S18_S1B_S1C_jS1D_jS1E_S1E_jjS1G_bEUljE0_EEESZ_S10_S11_S18_S1C_S1E_T6_T7_T9_mT8_S1G_bDpT10_ENKUlT_T0_E_clISt17integral_constantIbLb1EES1U_EEDaS1P_S1Q_EUlS1P_E_NS1_11comp_targetILNS1_3genE0ELNS1_11target_archE4294967295ELNS1_3gpuE0ELNS1_3repE0EEENS1_30default_config_static_selectorELNS0_4arch9wavefront6targetE1EEEvS12_.num_vgpr, 0
	.set _ZN7rocprim17ROCPRIM_400000_NS6detail17trampoline_kernelINS0_13select_configILj256ELj13ELNS0_17block_load_methodE3ELS4_3ELS4_3ELNS0_20block_scan_algorithmE0ELj4294967295EEENS1_25partition_config_selectorILNS1_17partition_subalgoE4EjNS0_10empty_typeEbEEZZNS1_14partition_implILS8_4ELb0ES6_15HIP_vector_typeIjLj2EENS0_17counting_iteratorIjlEEPS9_SG_NS0_5tupleIJPjSI_NS0_16reverse_iteratorISI_EEEEENSH_IJSG_SG_SG_EEES9_SI_JZNS1_25segmented_radix_sort_implINS0_14default_configELb0EPKiPiPKlPlN2at6native12_GLOBAL__N_18offset_tEEE10hipError_tPvRmT1_PNSt15iterator_traitsIS12_E10value_typeET2_T3_PNS13_IS18_E10value_typeET4_jRbjT5_S1E_jjP12ihipStream_tbEUljE_ZNSN_ISO_Lb0ESQ_SR_ST_SU_SY_EESZ_S10_S11_S12_S16_S17_S18_S1B_S1C_jS1D_jS1E_S1E_jjS1G_bEUljE0_EEESZ_S10_S11_S18_S1C_S1E_T6_T7_T9_mT8_S1G_bDpT10_ENKUlT_T0_E_clISt17integral_constantIbLb1EES1U_EEDaS1P_S1Q_EUlS1P_E_NS1_11comp_targetILNS1_3genE0ELNS1_11target_archE4294967295ELNS1_3gpuE0ELNS1_3repE0EEENS1_30default_config_static_selectorELNS0_4arch9wavefront6targetE1EEEvS12_.num_agpr, 0
	.set _ZN7rocprim17ROCPRIM_400000_NS6detail17trampoline_kernelINS0_13select_configILj256ELj13ELNS0_17block_load_methodE3ELS4_3ELS4_3ELNS0_20block_scan_algorithmE0ELj4294967295EEENS1_25partition_config_selectorILNS1_17partition_subalgoE4EjNS0_10empty_typeEbEEZZNS1_14partition_implILS8_4ELb0ES6_15HIP_vector_typeIjLj2EENS0_17counting_iteratorIjlEEPS9_SG_NS0_5tupleIJPjSI_NS0_16reverse_iteratorISI_EEEEENSH_IJSG_SG_SG_EEES9_SI_JZNS1_25segmented_radix_sort_implINS0_14default_configELb0EPKiPiPKlPlN2at6native12_GLOBAL__N_18offset_tEEE10hipError_tPvRmT1_PNSt15iterator_traitsIS12_E10value_typeET2_T3_PNS13_IS18_E10value_typeET4_jRbjT5_S1E_jjP12ihipStream_tbEUljE_ZNSN_ISO_Lb0ESQ_SR_ST_SU_SY_EESZ_S10_S11_S12_S16_S17_S18_S1B_S1C_jS1D_jS1E_S1E_jjS1G_bEUljE0_EEESZ_S10_S11_S18_S1C_S1E_T6_T7_T9_mT8_S1G_bDpT10_ENKUlT_T0_E_clISt17integral_constantIbLb1EES1U_EEDaS1P_S1Q_EUlS1P_E_NS1_11comp_targetILNS1_3genE0ELNS1_11target_archE4294967295ELNS1_3gpuE0ELNS1_3repE0EEENS1_30default_config_static_selectorELNS0_4arch9wavefront6targetE1EEEvS12_.numbered_sgpr, 0
	.set _ZN7rocprim17ROCPRIM_400000_NS6detail17trampoline_kernelINS0_13select_configILj256ELj13ELNS0_17block_load_methodE3ELS4_3ELS4_3ELNS0_20block_scan_algorithmE0ELj4294967295EEENS1_25partition_config_selectorILNS1_17partition_subalgoE4EjNS0_10empty_typeEbEEZZNS1_14partition_implILS8_4ELb0ES6_15HIP_vector_typeIjLj2EENS0_17counting_iteratorIjlEEPS9_SG_NS0_5tupleIJPjSI_NS0_16reverse_iteratorISI_EEEEENSH_IJSG_SG_SG_EEES9_SI_JZNS1_25segmented_radix_sort_implINS0_14default_configELb0EPKiPiPKlPlN2at6native12_GLOBAL__N_18offset_tEEE10hipError_tPvRmT1_PNSt15iterator_traitsIS12_E10value_typeET2_T3_PNS13_IS18_E10value_typeET4_jRbjT5_S1E_jjP12ihipStream_tbEUljE_ZNSN_ISO_Lb0ESQ_SR_ST_SU_SY_EESZ_S10_S11_S12_S16_S17_S18_S1B_S1C_jS1D_jS1E_S1E_jjS1G_bEUljE0_EEESZ_S10_S11_S18_S1C_S1E_T6_T7_T9_mT8_S1G_bDpT10_ENKUlT_T0_E_clISt17integral_constantIbLb1EES1U_EEDaS1P_S1Q_EUlS1P_E_NS1_11comp_targetILNS1_3genE0ELNS1_11target_archE4294967295ELNS1_3gpuE0ELNS1_3repE0EEENS1_30default_config_static_selectorELNS0_4arch9wavefront6targetE1EEEvS12_.num_named_barrier, 0
	.set _ZN7rocprim17ROCPRIM_400000_NS6detail17trampoline_kernelINS0_13select_configILj256ELj13ELNS0_17block_load_methodE3ELS4_3ELS4_3ELNS0_20block_scan_algorithmE0ELj4294967295EEENS1_25partition_config_selectorILNS1_17partition_subalgoE4EjNS0_10empty_typeEbEEZZNS1_14partition_implILS8_4ELb0ES6_15HIP_vector_typeIjLj2EENS0_17counting_iteratorIjlEEPS9_SG_NS0_5tupleIJPjSI_NS0_16reverse_iteratorISI_EEEEENSH_IJSG_SG_SG_EEES9_SI_JZNS1_25segmented_radix_sort_implINS0_14default_configELb0EPKiPiPKlPlN2at6native12_GLOBAL__N_18offset_tEEE10hipError_tPvRmT1_PNSt15iterator_traitsIS12_E10value_typeET2_T3_PNS13_IS18_E10value_typeET4_jRbjT5_S1E_jjP12ihipStream_tbEUljE_ZNSN_ISO_Lb0ESQ_SR_ST_SU_SY_EESZ_S10_S11_S12_S16_S17_S18_S1B_S1C_jS1D_jS1E_S1E_jjS1G_bEUljE0_EEESZ_S10_S11_S18_S1C_S1E_T6_T7_T9_mT8_S1G_bDpT10_ENKUlT_T0_E_clISt17integral_constantIbLb1EES1U_EEDaS1P_S1Q_EUlS1P_E_NS1_11comp_targetILNS1_3genE0ELNS1_11target_archE4294967295ELNS1_3gpuE0ELNS1_3repE0EEENS1_30default_config_static_selectorELNS0_4arch9wavefront6targetE1EEEvS12_.private_seg_size, 0
	.set _ZN7rocprim17ROCPRIM_400000_NS6detail17trampoline_kernelINS0_13select_configILj256ELj13ELNS0_17block_load_methodE3ELS4_3ELS4_3ELNS0_20block_scan_algorithmE0ELj4294967295EEENS1_25partition_config_selectorILNS1_17partition_subalgoE4EjNS0_10empty_typeEbEEZZNS1_14partition_implILS8_4ELb0ES6_15HIP_vector_typeIjLj2EENS0_17counting_iteratorIjlEEPS9_SG_NS0_5tupleIJPjSI_NS0_16reverse_iteratorISI_EEEEENSH_IJSG_SG_SG_EEES9_SI_JZNS1_25segmented_radix_sort_implINS0_14default_configELb0EPKiPiPKlPlN2at6native12_GLOBAL__N_18offset_tEEE10hipError_tPvRmT1_PNSt15iterator_traitsIS12_E10value_typeET2_T3_PNS13_IS18_E10value_typeET4_jRbjT5_S1E_jjP12ihipStream_tbEUljE_ZNSN_ISO_Lb0ESQ_SR_ST_SU_SY_EESZ_S10_S11_S12_S16_S17_S18_S1B_S1C_jS1D_jS1E_S1E_jjS1G_bEUljE0_EEESZ_S10_S11_S18_S1C_S1E_T6_T7_T9_mT8_S1G_bDpT10_ENKUlT_T0_E_clISt17integral_constantIbLb1EES1U_EEDaS1P_S1Q_EUlS1P_E_NS1_11comp_targetILNS1_3genE0ELNS1_11target_archE4294967295ELNS1_3gpuE0ELNS1_3repE0EEENS1_30default_config_static_selectorELNS0_4arch9wavefront6targetE1EEEvS12_.uses_vcc, 0
	.set _ZN7rocprim17ROCPRIM_400000_NS6detail17trampoline_kernelINS0_13select_configILj256ELj13ELNS0_17block_load_methodE3ELS4_3ELS4_3ELNS0_20block_scan_algorithmE0ELj4294967295EEENS1_25partition_config_selectorILNS1_17partition_subalgoE4EjNS0_10empty_typeEbEEZZNS1_14partition_implILS8_4ELb0ES6_15HIP_vector_typeIjLj2EENS0_17counting_iteratorIjlEEPS9_SG_NS0_5tupleIJPjSI_NS0_16reverse_iteratorISI_EEEEENSH_IJSG_SG_SG_EEES9_SI_JZNS1_25segmented_radix_sort_implINS0_14default_configELb0EPKiPiPKlPlN2at6native12_GLOBAL__N_18offset_tEEE10hipError_tPvRmT1_PNSt15iterator_traitsIS12_E10value_typeET2_T3_PNS13_IS18_E10value_typeET4_jRbjT5_S1E_jjP12ihipStream_tbEUljE_ZNSN_ISO_Lb0ESQ_SR_ST_SU_SY_EESZ_S10_S11_S12_S16_S17_S18_S1B_S1C_jS1D_jS1E_S1E_jjS1G_bEUljE0_EEESZ_S10_S11_S18_S1C_S1E_T6_T7_T9_mT8_S1G_bDpT10_ENKUlT_T0_E_clISt17integral_constantIbLb1EES1U_EEDaS1P_S1Q_EUlS1P_E_NS1_11comp_targetILNS1_3genE0ELNS1_11target_archE4294967295ELNS1_3gpuE0ELNS1_3repE0EEENS1_30default_config_static_selectorELNS0_4arch9wavefront6targetE1EEEvS12_.uses_flat_scratch, 0
	.set _ZN7rocprim17ROCPRIM_400000_NS6detail17trampoline_kernelINS0_13select_configILj256ELj13ELNS0_17block_load_methodE3ELS4_3ELS4_3ELNS0_20block_scan_algorithmE0ELj4294967295EEENS1_25partition_config_selectorILNS1_17partition_subalgoE4EjNS0_10empty_typeEbEEZZNS1_14partition_implILS8_4ELb0ES6_15HIP_vector_typeIjLj2EENS0_17counting_iteratorIjlEEPS9_SG_NS0_5tupleIJPjSI_NS0_16reverse_iteratorISI_EEEEENSH_IJSG_SG_SG_EEES9_SI_JZNS1_25segmented_radix_sort_implINS0_14default_configELb0EPKiPiPKlPlN2at6native12_GLOBAL__N_18offset_tEEE10hipError_tPvRmT1_PNSt15iterator_traitsIS12_E10value_typeET2_T3_PNS13_IS18_E10value_typeET4_jRbjT5_S1E_jjP12ihipStream_tbEUljE_ZNSN_ISO_Lb0ESQ_SR_ST_SU_SY_EESZ_S10_S11_S12_S16_S17_S18_S1B_S1C_jS1D_jS1E_S1E_jjS1G_bEUljE0_EEESZ_S10_S11_S18_S1C_S1E_T6_T7_T9_mT8_S1G_bDpT10_ENKUlT_T0_E_clISt17integral_constantIbLb1EES1U_EEDaS1P_S1Q_EUlS1P_E_NS1_11comp_targetILNS1_3genE0ELNS1_11target_archE4294967295ELNS1_3gpuE0ELNS1_3repE0EEENS1_30default_config_static_selectorELNS0_4arch9wavefront6targetE1EEEvS12_.has_dyn_sized_stack, 0
	.set _ZN7rocprim17ROCPRIM_400000_NS6detail17trampoline_kernelINS0_13select_configILj256ELj13ELNS0_17block_load_methodE3ELS4_3ELS4_3ELNS0_20block_scan_algorithmE0ELj4294967295EEENS1_25partition_config_selectorILNS1_17partition_subalgoE4EjNS0_10empty_typeEbEEZZNS1_14partition_implILS8_4ELb0ES6_15HIP_vector_typeIjLj2EENS0_17counting_iteratorIjlEEPS9_SG_NS0_5tupleIJPjSI_NS0_16reverse_iteratorISI_EEEEENSH_IJSG_SG_SG_EEES9_SI_JZNS1_25segmented_radix_sort_implINS0_14default_configELb0EPKiPiPKlPlN2at6native12_GLOBAL__N_18offset_tEEE10hipError_tPvRmT1_PNSt15iterator_traitsIS12_E10value_typeET2_T3_PNS13_IS18_E10value_typeET4_jRbjT5_S1E_jjP12ihipStream_tbEUljE_ZNSN_ISO_Lb0ESQ_SR_ST_SU_SY_EESZ_S10_S11_S12_S16_S17_S18_S1B_S1C_jS1D_jS1E_S1E_jjS1G_bEUljE0_EEESZ_S10_S11_S18_S1C_S1E_T6_T7_T9_mT8_S1G_bDpT10_ENKUlT_T0_E_clISt17integral_constantIbLb1EES1U_EEDaS1P_S1Q_EUlS1P_E_NS1_11comp_targetILNS1_3genE0ELNS1_11target_archE4294967295ELNS1_3gpuE0ELNS1_3repE0EEENS1_30default_config_static_selectorELNS0_4arch9wavefront6targetE1EEEvS12_.has_recursion, 0
	.set _ZN7rocprim17ROCPRIM_400000_NS6detail17trampoline_kernelINS0_13select_configILj256ELj13ELNS0_17block_load_methodE3ELS4_3ELS4_3ELNS0_20block_scan_algorithmE0ELj4294967295EEENS1_25partition_config_selectorILNS1_17partition_subalgoE4EjNS0_10empty_typeEbEEZZNS1_14partition_implILS8_4ELb0ES6_15HIP_vector_typeIjLj2EENS0_17counting_iteratorIjlEEPS9_SG_NS0_5tupleIJPjSI_NS0_16reverse_iteratorISI_EEEEENSH_IJSG_SG_SG_EEES9_SI_JZNS1_25segmented_radix_sort_implINS0_14default_configELb0EPKiPiPKlPlN2at6native12_GLOBAL__N_18offset_tEEE10hipError_tPvRmT1_PNSt15iterator_traitsIS12_E10value_typeET2_T3_PNS13_IS18_E10value_typeET4_jRbjT5_S1E_jjP12ihipStream_tbEUljE_ZNSN_ISO_Lb0ESQ_SR_ST_SU_SY_EESZ_S10_S11_S12_S16_S17_S18_S1B_S1C_jS1D_jS1E_S1E_jjS1G_bEUljE0_EEESZ_S10_S11_S18_S1C_S1E_T6_T7_T9_mT8_S1G_bDpT10_ENKUlT_T0_E_clISt17integral_constantIbLb1EES1U_EEDaS1P_S1Q_EUlS1P_E_NS1_11comp_targetILNS1_3genE0ELNS1_11target_archE4294967295ELNS1_3gpuE0ELNS1_3repE0EEENS1_30default_config_static_selectorELNS0_4arch9wavefront6targetE1EEEvS12_.has_indirect_call, 0
	.section	.AMDGPU.csdata,"",@progbits
; Kernel info:
; codeLenInByte = 0
; TotalNumSgprs: 4
; NumVgprs: 0
; ScratchSize: 0
; MemoryBound: 0
; FloatMode: 240
; IeeeMode: 1
; LDSByteSize: 0 bytes/workgroup (compile time only)
; SGPRBlocks: 0
; VGPRBlocks: 0
; NumSGPRsForWavesPerEU: 4
; NumVGPRsForWavesPerEU: 1
; Occupancy: 10
; WaveLimiterHint : 0
; COMPUTE_PGM_RSRC2:SCRATCH_EN: 0
; COMPUTE_PGM_RSRC2:USER_SGPR: 6
; COMPUTE_PGM_RSRC2:TRAP_HANDLER: 0
; COMPUTE_PGM_RSRC2:TGID_X_EN: 1
; COMPUTE_PGM_RSRC2:TGID_Y_EN: 0
; COMPUTE_PGM_RSRC2:TGID_Z_EN: 0
; COMPUTE_PGM_RSRC2:TIDIG_COMP_CNT: 0
	.section	.text._ZN7rocprim17ROCPRIM_400000_NS6detail17trampoline_kernelINS0_13select_configILj256ELj13ELNS0_17block_load_methodE3ELS4_3ELS4_3ELNS0_20block_scan_algorithmE0ELj4294967295EEENS1_25partition_config_selectorILNS1_17partition_subalgoE4EjNS0_10empty_typeEbEEZZNS1_14partition_implILS8_4ELb0ES6_15HIP_vector_typeIjLj2EENS0_17counting_iteratorIjlEEPS9_SG_NS0_5tupleIJPjSI_NS0_16reverse_iteratorISI_EEEEENSH_IJSG_SG_SG_EEES9_SI_JZNS1_25segmented_radix_sort_implINS0_14default_configELb0EPKiPiPKlPlN2at6native12_GLOBAL__N_18offset_tEEE10hipError_tPvRmT1_PNSt15iterator_traitsIS12_E10value_typeET2_T3_PNS13_IS18_E10value_typeET4_jRbjT5_S1E_jjP12ihipStream_tbEUljE_ZNSN_ISO_Lb0ESQ_SR_ST_SU_SY_EESZ_S10_S11_S12_S16_S17_S18_S1B_S1C_jS1D_jS1E_S1E_jjS1G_bEUljE0_EEESZ_S10_S11_S18_S1C_S1E_T6_T7_T9_mT8_S1G_bDpT10_ENKUlT_T0_E_clISt17integral_constantIbLb1EES1U_EEDaS1P_S1Q_EUlS1P_E_NS1_11comp_targetILNS1_3genE5ELNS1_11target_archE942ELNS1_3gpuE9ELNS1_3repE0EEENS1_30default_config_static_selectorELNS0_4arch9wavefront6targetE1EEEvS12_,"axG",@progbits,_ZN7rocprim17ROCPRIM_400000_NS6detail17trampoline_kernelINS0_13select_configILj256ELj13ELNS0_17block_load_methodE3ELS4_3ELS4_3ELNS0_20block_scan_algorithmE0ELj4294967295EEENS1_25partition_config_selectorILNS1_17partition_subalgoE4EjNS0_10empty_typeEbEEZZNS1_14partition_implILS8_4ELb0ES6_15HIP_vector_typeIjLj2EENS0_17counting_iteratorIjlEEPS9_SG_NS0_5tupleIJPjSI_NS0_16reverse_iteratorISI_EEEEENSH_IJSG_SG_SG_EEES9_SI_JZNS1_25segmented_radix_sort_implINS0_14default_configELb0EPKiPiPKlPlN2at6native12_GLOBAL__N_18offset_tEEE10hipError_tPvRmT1_PNSt15iterator_traitsIS12_E10value_typeET2_T3_PNS13_IS18_E10value_typeET4_jRbjT5_S1E_jjP12ihipStream_tbEUljE_ZNSN_ISO_Lb0ESQ_SR_ST_SU_SY_EESZ_S10_S11_S12_S16_S17_S18_S1B_S1C_jS1D_jS1E_S1E_jjS1G_bEUljE0_EEESZ_S10_S11_S18_S1C_S1E_T6_T7_T9_mT8_S1G_bDpT10_ENKUlT_T0_E_clISt17integral_constantIbLb1EES1U_EEDaS1P_S1Q_EUlS1P_E_NS1_11comp_targetILNS1_3genE5ELNS1_11target_archE942ELNS1_3gpuE9ELNS1_3repE0EEENS1_30default_config_static_selectorELNS0_4arch9wavefront6targetE1EEEvS12_,comdat
	.globl	_ZN7rocprim17ROCPRIM_400000_NS6detail17trampoline_kernelINS0_13select_configILj256ELj13ELNS0_17block_load_methodE3ELS4_3ELS4_3ELNS0_20block_scan_algorithmE0ELj4294967295EEENS1_25partition_config_selectorILNS1_17partition_subalgoE4EjNS0_10empty_typeEbEEZZNS1_14partition_implILS8_4ELb0ES6_15HIP_vector_typeIjLj2EENS0_17counting_iteratorIjlEEPS9_SG_NS0_5tupleIJPjSI_NS0_16reverse_iteratorISI_EEEEENSH_IJSG_SG_SG_EEES9_SI_JZNS1_25segmented_radix_sort_implINS0_14default_configELb0EPKiPiPKlPlN2at6native12_GLOBAL__N_18offset_tEEE10hipError_tPvRmT1_PNSt15iterator_traitsIS12_E10value_typeET2_T3_PNS13_IS18_E10value_typeET4_jRbjT5_S1E_jjP12ihipStream_tbEUljE_ZNSN_ISO_Lb0ESQ_SR_ST_SU_SY_EESZ_S10_S11_S12_S16_S17_S18_S1B_S1C_jS1D_jS1E_S1E_jjS1G_bEUljE0_EEESZ_S10_S11_S18_S1C_S1E_T6_T7_T9_mT8_S1G_bDpT10_ENKUlT_T0_E_clISt17integral_constantIbLb1EES1U_EEDaS1P_S1Q_EUlS1P_E_NS1_11comp_targetILNS1_3genE5ELNS1_11target_archE942ELNS1_3gpuE9ELNS1_3repE0EEENS1_30default_config_static_selectorELNS0_4arch9wavefront6targetE1EEEvS12_ ; -- Begin function _ZN7rocprim17ROCPRIM_400000_NS6detail17trampoline_kernelINS0_13select_configILj256ELj13ELNS0_17block_load_methodE3ELS4_3ELS4_3ELNS0_20block_scan_algorithmE0ELj4294967295EEENS1_25partition_config_selectorILNS1_17partition_subalgoE4EjNS0_10empty_typeEbEEZZNS1_14partition_implILS8_4ELb0ES6_15HIP_vector_typeIjLj2EENS0_17counting_iteratorIjlEEPS9_SG_NS0_5tupleIJPjSI_NS0_16reverse_iteratorISI_EEEEENSH_IJSG_SG_SG_EEES9_SI_JZNS1_25segmented_radix_sort_implINS0_14default_configELb0EPKiPiPKlPlN2at6native12_GLOBAL__N_18offset_tEEE10hipError_tPvRmT1_PNSt15iterator_traitsIS12_E10value_typeET2_T3_PNS13_IS18_E10value_typeET4_jRbjT5_S1E_jjP12ihipStream_tbEUljE_ZNSN_ISO_Lb0ESQ_SR_ST_SU_SY_EESZ_S10_S11_S12_S16_S17_S18_S1B_S1C_jS1D_jS1E_S1E_jjS1G_bEUljE0_EEESZ_S10_S11_S18_S1C_S1E_T6_T7_T9_mT8_S1G_bDpT10_ENKUlT_T0_E_clISt17integral_constantIbLb1EES1U_EEDaS1P_S1Q_EUlS1P_E_NS1_11comp_targetILNS1_3genE5ELNS1_11target_archE942ELNS1_3gpuE9ELNS1_3repE0EEENS1_30default_config_static_selectorELNS0_4arch9wavefront6targetE1EEEvS12_
	.p2align	8
	.type	_ZN7rocprim17ROCPRIM_400000_NS6detail17trampoline_kernelINS0_13select_configILj256ELj13ELNS0_17block_load_methodE3ELS4_3ELS4_3ELNS0_20block_scan_algorithmE0ELj4294967295EEENS1_25partition_config_selectorILNS1_17partition_subalgoE4EjNS0_10empty_typeEbEEZZNS1_14partition_implILS8_4ELb0ES6_15HIP_vector_typeIjLj2EENS0_17counting_iteratorIjlEEPS9_SG_NS0_5tupleIJPjSI_NS0_16reverse_iteratorISI_EEEEENSH_IJSG_SG_SG_EEES9_SI_JZNS1_25segmented_radix_sort_implINS0_14default_configELb0EPKiPiPKlPlN2at6native12_GLOBAL__N_18offset_tEEE10hipError_tPvRmT1_PNSt15iterator_traitsIS12_E10value_typeET2_T3_PNS13_IS18_E10value_typeET4_jRbjT5_S1E_jjP12ihipStream_tbEUljE_ZNSN_ISO_Lb0ESQ_SR_ST_SU_SY_EESZ_S10_S11_S12_S16_S17_S18_S1B_S1C_jS1D_jS1E_S1E_jjS1G_bEUljE0_EEESZ_S10_S11_S18_S1C_S1E_T6_T7_T9_mT8_S1G_bDpT10_ENKUlT_T0_E_clISt17integral_constantIbLb1EES1U_EEDaS1P_S1Q_EUlS1P_E_NS1_11comp_targetILNS1_3genE5ELNS1_11target_archE942ELNS1_3gpuE9ELNS1_3repE0EEENS1_30default_config_static_selectorELNS0_4arch9wavefront6targetE1EEEvS12_,@function
_ZN7rocprim17ROCPRIM_400000_NS6detail17trampoline_kernelINS0_13select_configILj256ELj13ELNS0_17block_load_methodE3ELS4_3ELS4_3ELNS0_20block_scan_algorithmE0ELj4294967295EEENS1_25partition_config_selectorILNS1_17partition_subalgoE4EjNS0_10empty_typeEbEEZZNS1_14partition_implILS8_4ELb0ES6_15HIP_vector_typeIjLj2EENS0_17counting_iteratorIjlEEPS9_SG_NS0_5tupleIJPjSI_NS0_16reverse_iteratorISI_EEEEENSH_IJSG_SG_SG_EEES9_SI_JZNS1_25segmented_radix_sort_implINS0_14default_configELb0EPKiPiPKlPlN2at6native12_GLOBAL__N_18offset_tEEE10hipError_tPvRmT1_PNSt15iterator_traitsIS12_E10value_typeET2_T3_PNS13_IS18_E10value_typeET4_jRbjT5_S1E_jjP12ihipStream_tbEUljE_ZNSN_ISO_Lb0ESQ_SR_ST_SU_SY_EESZ_S10_S11_S12_S16_S17_S18_S1B_S1C_jS1D_jS1E_S1E_jjS1G_bEUljE0_EEESZ_S10_S11_S18_S1C_S1E_T6_T7_T9_mT8_S1G_bDpT10_ENKUlT_T0_E_clISt17integral_constantIbLb1EES1U_EEDaS1P_S1Q_EUlS1P_E_NS1_11comp_targetILNS1_3genE5ELNS1_11target_archE942ELNS1_3gpuE9ELNS1_3repE0EEENS1_30default_config_static_selectorELNS0_4arch9wavefront6targetE1EEEvS12_: ; @_ZN7rocprim17ROCPRIM_400000_NS6detail17trampoline_kernelINS0_13select_configILj256ELj13ELNS0_17block_load_methodE3ELS4_3ELS4_3ELNS0_20block_scan_algorithmE0ELj4294967295EEENS1_25partition_config_selectorILNS1_17partition_subalgoE4EjNS0_10empty_typeEbEEZZNS1_14partition_implILS8_4ELb0ES6_15HIP_vector_typeIjLj2EENS0_17counting_iteratorIjlEEPS9_SG_NS0_5tupleIJPjSI_NS0_16reverse_iteratorISI_EEEEENSH_IJSG_SG_SG_EEES9_SI_JZNS1_25segmented_radix_sort_implINS0_14default_configELb0EPKiPiPKlPlN2at6native12_GLOBAL__N_18offset_tEEE10hipError_tPvRmT1_PNSt15iterator_traitsIS12_E10value_typeET2_T3_PNS13_IS18_E10value_typeET4_jRbjT5_S1E_jjP12ihipStream_tbEUljE_ZNSN_ISO_Lb0ESQ_SR_ST_SU_SY_EESZ_S10_S11_S12_S16_S17_S18_S1B_S1C_jS1D_jS1E_S1E_jjS1G_bEUljE0_EEESZ_S10_S11_S18_S1C_S1E_T6_T7_T9_mT8_S1G_bDpT10_ENKUlT_T0_E_clISt17integral_constantIbLb1EES1U_EEDaS1P_S1Q_EUlS1P_E_NS1_11comp_targetILNS1_3genE5ELNS1_11target_archE942ELNS1_3gpuE9ELNS1_3repE0EEENS1_30default_config_static_selectorELNS0_4arch9wavefront6targetE1EEEvS12_
; %bb.0:
	.section	.rodata,"a",@progbits
	.p2align	6, 0x0
	.amdhsa_kernel _ZN7rocprim17ROCPRIM_400000_NS6detail17trampoline_kernelINS0_13select_configILj256ELj13ELNS0_17block_load_methodE3ELS4_3ELS4_3ELNS0_20block_scan_algorithmE0ELj4294967295EEENS1_25partition_config_selectorILNS1_17partition_subalgoE4EjNS0_10empty_typeEbEEZZNS1_14partition_implILS8_4ELb0ES6_15HIP_vector_typeIjLj2EENS0_17counting_iteratorIjlEEPS9_SG_NS0_5tupleIJPjSI_NS0_16reverse_iteratorISI_EEEEENSH_IJSG_SG_SG_EEES9_SI_JZNS1_25segmented_radix_sort_implINS0_14default_configELb0EPKiPiPKlPlN2at6native12_GLOBAL__N_18offset_tEEE10hipError_tPvRmT1_PNSt15iterator_traitsIS12_E10value_typeET2_T3_PNS13_IS18_E10value_typeET4_jRbjT5_S1E_jjP12ihipStream_tbEUljE_ZNSN_ISO_Lb0ESQ_SR_ST_SU_SY_EESZ_S10_S11_S12_S16_S17_S18_S1B_S1C_jS1D_jS1E_S1E_jjS1G_bEUljE0_EEESZ_S10_S11_S18_S1C_S1E_T6_T7_T9_mT8_S1G_bDpT10_ENKUlT_T0_E_clISt17integral_constantIbLb1EES1U_EEDaS1P_S1Q_EUlS1P_E_NS1_11comp_targetILNS1_3genE5ELNS1_11target_archE942ELNS1_3gpuE9ELNS1_3repE0EEENS1_30default_config_static_selectorELNS0_4arch9wavefront6targetE1EEEvS12_
		.amdhsa_group_segment_fixed_size 0
		.amdhsa_private_segment_fixed_size 0
		.amdhsa_kernarg_size 184
		.amdhsa_user_sgpr_count 6
		.amdhsa_user_sgpr_private_segment_buffer 1
		.amdhsa_user_sgpr_dispatch_ptr 0
		.amdhsa_user_sgpr_queue_ptr 0
		.amdhsa_user_sgpr_kernarg_segment_ptr 1
		.amdhsa_user_sgpr_dispatch_id 0
		.amdhsa_user_sgpr_flat_scratch_init 0
		.amdhsa_user_sgpr_private_segment_size 0
		.amdhsa_uses_dynamic_stack 0
		.amdhsa_system_sgpr_private_segment_wavefront_offset 0
		.amdhsa_system_sgpr_workgroup_id_x 1
		.amdhsa_system_sgpr_workgroup_id_y 0
		.amdhsa_system_sgpr_workgroup_id_z 0
		.amdhsa_system_sgpr_workgroup_info 0
		.amdhsa_system_vgpr_workitem_id 0
		.amdhsa_next_free_vgpr 1
		.amdhsa_next_free_sgpr 0
		.amdhsa_reserve_vcc 0
		.amdhsa_reserve_flat_scratch 0
		.amdhsa_float_round_mode_32 0
		.amdhsa_float_round_mode_16_64 0
		.amdhsa_float_denorm_mode_32 3
		.amdhsa_float_denorm_mode_16_64 3
		.amdhsa_dx10_clamp 1
		.amdhsa_ieee_mode 1
		.amdhsa_fp16_overflow 0
		.amdhsa_exception_fp_ieee_invalid_op 0
		.amdhsa_exception_fp_denorm_src 0
		.amdhsa_exception_fp_ieee_div_zero 0
		.amdhsa_exception_fp_ieee_overflow 0
		.amdhsa_exception_fp_ieee_underflow 0
		.amdhsa_exception_fp_ieee_inexact 0
		.amdhsa_exception_int_div_zero 0
	.end_amdhsa_kernel
	.section	.text._ZN7rocprim17ROCPRIM_400000_NS6detail17trampoline_kernelINS0_13select_configILj256ELj13ELNS0_17block_load_methodE3ELS4_3ELS4_3ELNS0_20block_scan_algorithmE0ELj4294967295EEENS1_25partition_config_selectorILNS1_17partition_subalgoE4EjNS0_10empty_typeEbEEZZNS1_14partition_implILS8_4ELb0ES6_15HIP_vector_typeIjLj2EENS0_17counting_iteratorIjlEEPS9_SG_NS0_5tupleIJPjSI_NS0_16reverse_iteratorISI_EEEEENSH_IJSG_SG_SG_EEES9_SI_JZNS1_25segmented_radix_sort_implINS0_14default_configELb0EPKiPiPKlPlN2at6native12_GLOBAL__N_18offset_tEEE10hipError_tPvRmT1_PNSt15iterator_traitsIS12_E10value_typeET2_T3_PNS13_IS18_E10value_typeET4_jRbjT5_S1E_jjP12ihipStream_tbEUljE_ZNSN_ISO_Lb0ESQ_SR_ST_SU_SY_EESZ_S10_S11_S12_S16_S17_S18_S1B_S1C_jS1D_jS1E_S1E_jjS1G_bEUljE0_EEESZ_S10_S11_S18_S1C_S1E_T6_T7_T9_mT8_S1G_bDpT10_ENKUlT_T0_E_clISt17integral_constantIbLb1EES1U_EEDaS1P_S1Q_EUlS1P_E_NS1_11comp_targetILNS1_3genE5ELNS1_11target_archE942ELNS1_3gpuE9ELNS1_3repE0EEENS1_30default_config_static_selectorELNS0_4arch9wavefront6targetE1EEEvS12_,"axG",@progbits,_ZN7rocprim17ROCPRIM_400000_NS6detail17trampoline_kernelINS0_13select_configILj256ELj13ELNS0_17block_load_methodE3ELS4_3ELS4_3ELNS0_20block_scan_algorithmE0ELj4294967295EEENS1_25partition_config_selectorILNS1_17partition_subalgoE4EjNS0_10empty_typeEbEEZZNS1_14partition_implILS8_4ELb0ES6_15HIP_vector_typeIjLj2EENS0_17counting_iteratorIjlEEPS9_SG_NS0_5tupleIJPjSI_NS0_16reverse_iteratorISI_EEEEENSH_IJSG_SG_SG_EEES9_SI_JZNS1_25segmented_radix_sort_implINS0_14default_configELb0EPKiPiPKlPlN2at6native12_GLOBAL__N_18offset_tEEE10hipError_tPvRmT1_PNSt15iterator_traitsIS12_E10value_typeET2_T3_PNS13_IS18_E10value_typeET4_jRbjT5_S1E_jjP12ihipStream_tbEUljE_ZNSN_ISO_Lb0ESQ_SR_ST_SU_SY_EESZ_S10_S11_S12_S16_S17_S18_S1B_S1C_jS1D_jS1E_S1E_jjS1G_bEUljE0_EEESZ_S10_S11_S18_S1C_S1E_T6_T7_T9_mT8_S1G_bDpT10_ENKUlT_T0_E_clISt17integral_constantIbLb1EES1U_EEDaS1P_S1Q_EUlS1P_E_NS1_11comp_targetILNS1_3genE5ELNS1_11target_archE942ELNS1_3gpuE9ELNS1_3repE0EEENS1_30default_config_static_selectorELNS0_4arch9wavefront6targetE1EEEvS12_,comdat
.Lfunc_end545:
	.size	_ZN7rocprim17ROCPRIM_400000_NS6detail17trampoline_kernelINS0_13select_configILj256ELj13ELNS0_17block_load_methodE3ELS4_3ELS4_3ELNS0_20block_scan_algorithmE0ELj4294967295EEENS1_25partition_config_selectorILNS1_17partition_subalgoE4EjNS0_10empty_typeEbEEZZNS1_14partition_implILS8_4ELb0ES6_15HIP_vector_typeIjLj2EENS0_17counting_iteratorIjlEEPS9_SG_NS0_5tupleIJPjSI_NS0_16reverse_iteratorISI_EEEEENSH_IJSG_SG_SG_EEES9_SI_JZNS1_25segmented_radix_sort_implINS0_14default_configELb0EPKiPiPKlPlN2at6native12_GLOBAL__N_18offset_tEEE10hipError_tPvRmT1_PNSt15iterator_traitsIS12_E10value_typeET2_T3_PNS13_IS18_E10value_typeET4_jRbjT5_S1E_jjP12ihipStream_tbEUljE_ZNSN_ISO_Lb0ESQ_SR_ST_SU_SY_EESZ_S10_S11_S12_S16_S17_S18_S1B_S1C_jS1D_jS1E_S1E_jjS1G_bEUljE0_EEESZ_S10_S11_S18_S1C_S1E_T6_T7_T9_mT8_S1G_bDpT10_ENKUlT_T0_E_clISt17integral_constantIbLb1EES1U_EEDaS1P_S1Q_EUlS1P_E_NS1_11comp_targetILNS1_3genE5ELNS1_11target_archE942ELNS1_3gpuE9ELNS1_3repE0EEENS1_30default_config_static_selectorELNS0_4arch9wavefront6targetE1EEEvS12_, .Lfunc_end545-_ZN7rocprim17ROCPRIM_400000_NS6detail17trampoline_kernelINS0_13select_configILj256ELj13ELNS0_17block_load_methodE3ELS4_3ELS4_3ELNS0_20block_scan_algorithmE0ELj4294967295EEENS1_25partition_config_selectorILNS1_17partition_subalgoE4EjNS0_10empty_typeEbEEZZNS1_14partition_implILS8_4ELb0ES6_15HIP_vector_typeIjLj2EENS0_17counting_iteratorIjlEEPS9_SG_NS0_5tupleIJPjSI_NS0_16reverse_iteratorISI_EEEEENSH_IJSG_SG_SG_EEES9_SI_JZNS1_25segmented_radix_sort_implINS0_14default_configELb0EPKiPiPKlPlN2at6native12_GLOBAL__N_18offset_tEEE10hipError_tPvRmT1_PNSt15iterator_traitsIS12_E10value_typeET2_T3_PNS13_IS18_E10value_typeET4_jRbjT5_S1E_jjP12ihipStream_tbEUljE_ZNSN_ISO_Lb0ESQ_SR_ST_SU_SY_EESZ_S10_S11_S12_S16_S17_S18_S1B_S1C_jS1D_jS1E_S1E_jjS1G_bEUljE0_EEESZ_S10_S11_S18_S1C_S1E_T6_T7_T9_mT8_S1G_bDpT10_ENKUlT_T0_E_clISt17integral_constantIbLb1EES1U_EEDaS1P_S1Q_EUlS1P_E_NS1_11comp_targetILNS1_3genE5ELNS1_11target_archE942ELNS1_3gpuE9ELNS1_3repE0EEENS1_30default_config_static_selectorELNS0_4arch9wavefront6targetE1EEEvS12_
                                        ; -- End function
	.set _ZN7rocprim17ROCPRIM_400000_NS6detail17trampoline_kernelINS0_13select_configILj256ELj13ELNS0_17block_load_methodE3ELS4_3ELS4_3ELNS0_20block_scan_algorithmE0ELj4294967295EEENS1_25partition_config_selectorILNS1_17partition_subalgoE4EjNS0_10empty_typeEbEEZZNS1_14partition_implILS8_4ELb0ES6_15HIP_vector_typeIjLj2EENS0_17counting_iteratorIjlEEPS9_SG_NS0_5tupleIJPjSI_NS0_16reverse_iteratorISI_EEEEENSH_IJSG_SG_SG_EEES9_SI_JZNS1_25segmented_radix_sort_implINS0_14default_configELb0EPKiPiPKlPlN2at6native12_GLOBAL__N_18offset_tEEE10hipError_tPvRmT1_PNSt15iterator_traitsIS12_E10value_typeET2_T3_PNS13_IS18_E10value_typeET4_jRbjT5_S1E_jjP12ihipStream_tbEUljE_ZNSN_ISO_Lb0ESQ_SR_ST_SU_SY_EESZ_S10_S11_S12_S16_S17_S18_S1B_S1C_jS1D_jS1E_S1E_jjS1G_bEUljE0_EEESZ_S10_S11_S18_S1C_S1E_T6_T7_T9_mT8_S1G_bDpT10_ENKUlT_T0_E_clISt17integral_constantIbLb1EES1U_EEDaS1P_S1Q_EUlS1P_E_NS1_11comp_targetILNS1_3genE5ELNS1_11target_archE942ELNS1_3gpuE9ELNS1_3repE0EEENS1_30default_config_static_selectorELNS0_4arch9wavefront6targetE1EEEvS12_.num_vgpr, 0
	.set _ZN7rocprim17ROCPRIM_400000_NS6detail17trampoline_kernelINS0_13select_configILj256ELj13ELNS0_17block_load_methodE3ELS4_3ELS4_3ELNS0_20block_scan_algorithmE0ELj4294967295EEENS1_25partition_config_selectorILNS1_17partition_subalgoE4EjNS0_10empty_typeEbEEZZNS1_14partition_implILS8_4ELb0ES6_15HIP_vector_typeIjLj2EENS0_17counting_iteratorIjlEEPS9_SG_NS0_5tupleIJPjSI_NS0_16reverse_iteratorISI_EEEEENSH_IJSG_SG_SG_EEES9_SI_JZNS1_25segmented_radix_sort_implINS0_14default_configELb0EPKiPiPKlPlN2at6native12_GLOBAL__N_18offset_tEEE10hipError_tPvRmT1_PNSt15iterator_traitsIS12_E10value_typeET2_T3_PNS13_IS18_E10value_typeET4_jRbjT5_S1E_jjP12ihipStream_tbEUljE_ZNSN_ISO_Lb0ESQ_SR_ST_SU_SY_EESZ_S10_S11_S12_S16_S17_S18_S1B_S1C_jS1D_jS1E_S1E_jjS1G_bEUljE0_EEESZ_S10_S11_S18_S1C_S1E_T6_T7_T9_mT8_S1G_bDpT10_ENKUlT_T0_E_clISt17integral_constantIbLb1EES1U_EEDaS1P_S1Q_EUlS1P_E_NS1_11comp_targetILNS1_3genE5ELNS1_11target_archE942ELNS1_3gpuE9ELNS1_3repE0EEENS1_30default_config_static_selectorELNS0_4arch9wavefront6targetE1EEEvS12_.num_agpr, 0
	.set _ZN7rocprim17ROCPRIM_400000_NS6detail17trampoline_kernelINS0_13select_configILj256ELj13ELNS0_17block_load_methodE3ELS4_3ELS4_3ELNS0_20block_scan_algorithmE0ELj4294967295EEENS1_25partition_config_selectorILNS1_17partition_subalgoE4EjNS0_10empty_typeEbEEZZNS1_14partition_implILS8_4ELb0ES6_15HIP_vector_typeIjLj2EENS0_17counting_iteratorIjlEEPS9_SG_NS0_5tupleIJPjSI_NS0_16reverse_iteratorISI_EEEEENSH_IJSG_SG_SG_EEES9_SI_JZNS1_25segmented_radix_sort_implINS0_14default_configELb0EPKiPiPKlPlN2at6native12_GLOBAL__N_18offset_tEEE10hipError_tPvRmT1_PNSt15iterator_traitsIS12_E10value_typeET2_T3_PNS13_IS18_E10value_typeET4_jRbjT5_S1E_jjP12ihipStream_tbEUljE_ZNSN_ISO_Lb0ESQ_SR_ST_SU_SY_EESZ_S10_S11_S12_S16_S17_S18_S1B_S1C_jS1D_jS1E_S1E_jjS1G_bEUljE0_EEESZ_S10_S11_S18_S1C_S1E_T6_T7_T9_mT8_S1G_bDpT10_ENKUlT_T0_E_clISt17integral_constantIbLb1EES1U_EEDaS1P_S1Q_EUlS1P_E_NS1_11comp_targetILNS1_3genE5ELNS1_11target_archE942ELNS1_3gpuE9ELNS1_3repE0EEENS1_30default_config_static_selectorELNS0_4arch9wavefront6targetE1EEEvS12_.numbered_sgpr, 0
	.set _ZN7rocprim17ROCPRIM_400000_NS6detail17trampoline_kernelINS0_13select_configILj256ELj13ELNS0_17block_load_methodE3ELS4_3ELS4_3ELNS0_20block_scan_algorithmE0ELj4294967295EEENS1_25partition_config_selectorILNS1_17partition_subalgoE4EjNS0_10empty_typeEbEEZZNS1_14partition_implILS8_4ELb0ES6_15HIP_vector_typeIjLj2EENS0_17counting_iteratorIjlEEPS9_SG_NS0_5tupleIJPjSI_NS0_16reverse_iteratorISI_EEEEENSH_IJSG_SG_SG_EEES9_SI_JZNS1_25segmented_radix_sort_implINS0_14default_configELb0EPKiPiPKlPlN2at6native12_GLOBAL__N_18offset_tEEE10hipError_tPvRmT1_PNSt15iterator_traitsIS12_E10value_typeET2_T3_PNS13_IS18_E10value_typeET4_jRbjT5_S1E_jjP12ihipStream_tbEUljE_ZNSN_ISO_Lb0ESQ_SR_ST_SU_SY_EESZ_S10_S11_S12_S16_S17_S18_S1B_S1C_jS1D_jS1E_S1E_jjS1G_bEUljE0_EEESZ_S10_S11_S18_S1C_S1E_T6_T7_T9_mT8_S1G_bDpT10_ENKUlT_T0_E_clISt17integral_constantIbLb1EES1U_EEDaS1P_S1Q_EUlS1P_E_NS1_11comp_targetILNS1_3genE5ELNS1_11target_archE942ELNS1_3gpuE9ELNS1_3repE0EEENS1_30default_config_static_selectorELNS0_4arch9wavefront6targetE1EEEvS12_.num_named_barrier, 0
	.set _ZN7rocprim17ROCPRIM_400000_NS6detail17trampoline_kernelINS0_13select_configILj256ELj13ELNS0_17block_load_methodE3ELS4_3ELS4_3ELNS0_20block_scan_algorithmE0ELj4294967295EEENS1_25partition_config_selectorILNS1_17partition_subalgoE4EjNS0_10empty_typeEbEEZZNS1_14partition_implILS8_4ELb0ES6_15HIP_vector_typeIjLj2EENS0_17counting_iteratorIjlEEPS9_SG_NS0_5tupleIJPjSI_NS0_16reverse_iteratorISI_EEEEENSH_IJSG_SG_SG_EEES9_SI_JZNS1_25segmented_radix_sort_implINS0_14default_configELb0EPKiPiPKlPlN2at6native12_GLOBAL__N_18offset_tEEE10hipError_tPvRmT1_PNSt15iterator_traitsIS12_E10value_typeET2_T3_PNS13_IS18_E10value_typeET4_jRbjT5_S1E_jjP12ihipStream_tbEUljE_ZNSN_ISO_Lb0ESQ_SR_ST_SU_SY_EESZ_S10_S11_S12_S16_S17_S18_S1B_S1C_jS1D_jS1E_S1E_jjS1G_bEUljE0_EEESZ_S10_S11_S18_S1C_S1E_T6_T7_T9_mT8_S1G_bDpT10_ENKUlT_T0_E_clISt17integral_constantIbLb1EES1U_EEDaS1P_S1Q_EUlS1P_E_NS1_11comp_targetILNS1_3genE5ELNS1_11target_archE942ELNS1_3gpuE9ELNS1_3repE0EEENS1_30default_config_static_selectorELNS0_4arch9wavefront6targetE1EEEvS12_.private_seg_size, 0
	.set _ZN7rocprim17ROCPRIM_400000_NS6detail17trampoline_kernelINS0_13select_configILj256ELj13ELNS0_17block_load_methodE3ELS4_3ELS4_3ELNS0_20block_scan_algorithmE0ELj4294967295EEENS1_25partition_config_selectorILNS1_17partition_subalgoE4EjNS0_10empty_typeEbEEZZNS1_14partition_implILS8_4ELb0ES6_15HIP_vector_typeIjLj2EENS0_17counting_iteratorIjlEEPS9_SG_NS0_5tupleIJPjSI_NS0_16reverse_iteratorISI_EEEEENSH_IJSG_SG_SG_EEES9_SI_JZNS1_25segmented_radix_sort_implINS0_14default_configELb0EPKiPiPKlPlN2at6native12_GLOBAL__N_18offset_tEEE10hipError_tPvRmT1_PNSt15iterator_traitsIS12_E10value_typeET2_T3_PNS13_IS18_E10value_typeET4_jRbjT5_S1E_jjP12ihipStream_tbEUljE_ZNSN_ISO_Lb0ESQ_SR_ST_SU_SY_EESZ_S10_S11_S12_S16_S17_S18_S1B_S1C_jS1D_jS1E_S1E_jjS1G_bEUljE0_EEESZ_S10_S11_S18_S1C_S1E_T6_T7_T9_mT8_S1G_bDpT10_ENKUlT_T0_E_clISt17integral_constantIbLb1EES1U_EEDaS1P_S1Q_EUlS1P_E_NS1_11comp_targetILNS1_3genE5ELNS1_11target_archE942ELNS1_3gpuE9ELNS1_3repE0EEENS1_30default_config_static_selectorELNS0_4arch9wavefront6targetE1EEEvS12_.uses_vcc, 0
	.set _ZN7rocprim17ROCPRIM_400000_NS6detail17trampoline_kernelINS0_13select_configILj256ELj13ELNS0_17block_load_methodE3ELS4_3ELS4_3ELNS0_20block_scan_algorithmE0ELj4294967295EEENS1_25partition_config_selectorILNS1_17partition_subalgoE4EjNS0_10empty_typeEbEEZZNS1_14partition_implILS8_4ELb0ES6_15HIP_vector_typeIjLj2EENS0_17counting_iteratorIjlEEPS9_SG_NS0_5tupleIJPjSI_NS0_16reverse_iteratorISI_EEEEENSH_IJSG_SG_SG_EEES9_SI_JZNS1_25segmented_radix_sort_implINS0_14default_configELb0EPKiPiPKlPlN2at6native12_GLOBAL__N_18offset_tEEE10hipError_tPvRmT1_PNSt15iterator_traitsIS12_E10value_typeET2_T3_PNS13_IS18_E10value_typeET4_jRbjT5_S1E_jjP12ihipStream_tbEUljE_ZNSN_ISO_Lb0ESQ_SR_ST_SU_SY_EESZ_S10_S11_S12_S16_S17_S18_S1B_S1C_jS1D_jS1E_S1E_jjS1G_bEUljE0_EEESZ_S10_S11_S18_S1C_S1E_T6_T7_T9_mT8_S1G_bDpT10_ENKUlT_T0_E_clISt17integral_constantIbLb1EES1U_EEDaS1P_S1Q_EUlS1P_E_NS1_11comp_targetILNS1_3genE5ELNS1_11target_archE942ELNS1_3gpuE9ELNS1_3repE0EEENS1_30default_config_static_selectorELNS0_4arch9wavefront6targetE1EEEvS12_.uses_flat_scratch, 0
	.set _ZN7rocprim17ROCPRIM_400000_NS6detail17trampoline_kernelINS0_13select_configILj256ELj13ELNS0_17block_load_methodE3ELS4_3ELS4_3ELNS0_20block_scan_algorithmE0ELj4294967295EEENS1_25partition_config_selectorILNS1_17partition_subalgoE4EjNS0_10empty_typeEbEEZZNS1_14partition_implILS8_4ELb0ES6_15HIP_vector_typeIjLj2EENS0_17counting_iteratorIjlEEPS9_SG_NS0_5tupleIJPjSI_NS0_16reverse_iteratorISI_EEEEENSH_IJSG_SG_SG_EEES9_SI_JZNS1_25segmented_radix_sort_implINS0_14default_configELb0EPKiPiPKlPlN2at6native12_GLOBAL__N_18offset_tEEE10hipError_tPvRmT1_PNSt15iterator_traitsIS12_E10value_typeET2_T3_PNS13_IS18_E10value_typeET4_jRbjT5_S1E_jjP12ihipStream_tbEUljE_ZNSN_ISO_Lb0ESQ_SR_ST_SU_SY_EESZ_S10_S11_S12_S16_S17_S18_S1B_S1C_jS1D_jS1E_S1E_jjS1G_bEUljE0_EEESZ_S10_S11_S18_S1C_S1E_T6_T7_T9_mT8_S1G_bDpT10_ENKUlT_T0_E_clISt17integral_constantIbLb1EES1U_EEDaS1P_S1Q_EUlS1P_E_NS1_11comp_targetILNS1_3genE5ELNS1_11target_archE942ELNS1_3gpuE9ELNS1_3repE0EEENS1_30default_config_static_selectorELNS0_4arch9wavefront6targetE1EEEvS12_.has_dyn_sized_stack, 0
	.set _ZN7rocprim17ROCPRIM_400000_NS6detail17trampoline_kernelINS0_13select_configILj256ELj13ELNS0_17block_load_methodE3ELS4_3ELS4_3ELNS0_20block_scan_algorithmE0ELj4294967295EEENS1_25partition_config_selectorILNS1_17partition_subalgoE4EjNS0_10empty_typeEbEEZZNS1_14partition_implILS8_4ELb0ES6_15HIP_vector_typeIjLj2EENS0_17counting_iteratorIjlEEPS9_SG_NS0_5tupleIJPjSI_NS0_16reverse_iteratorISI_EEEEENSH_IJSG_SG_SG_EEES9_SI_JZNS1_25segmented_radix_sort_implINS0_14default_configELb0EPKiPiPKlPlN2at6native12_GLOBAL__N_18offset_tEEE10hipError_tPvRmT1_PNSt15iterator_traitsIS12_E10value_typeET2_T3_PNS13_IS18_E10value_typeET4_jRbjT5_S1E_jjP12ihipStream_tbEUljE_ZNSN_ISO_Lb0ESQ_SR_ST_SU_SY_EESZ_S10_S11_S12_S16_S17_S18_S1B_S1C_jS1D_jS1E_S1E_jjS1G_bEUljE0_EEESZ_S10_S11_S18_S1C_S1E_T6_T7_T9_mT8_S1G_bDpT10_ENKUlT_T0_E_clISt17integral_constantIbLb1EES1U_EEDaS1P_S1Q_EUlS1P_E_NS1_11comp_targetILNS1_3genE5ELNS1_11target_archE942ELNS1_3gpuE9ELNS1_3repE0EEENS1_30default_config_static_selectorELNS0_4arch9wavefront6targetE1EEEvS12_.has_recursion, 0
	.set _ZN7rocprim17ROCPRIM_400000_NS6detail17trampoline_kernelINS0_13select_configILj256ELj13ELNS0_17block_load_methodE3ELS4_3ELS4_3ELNS0_20block_scan_algorithmE0ELj4294967295EEENS1_25partition_config_selectorILNS1_17partition_subalgoE4EjNS0_10empty_typeEbEEZZNS1_14partition_implILS8_4ELb0ES6_15HIP_vector_typeIjLj2EENS0_17counting_iteratorIjlEEPS9_SG_NS0_5tupleIJPjSI_NS0_16reverse_iteratorISI_EEEEENSH_IJSG_SG_SG_EEES9_SI_JZNS1_25segmented_radix_sort_implINS0_14default_configELb0EPKiPiPKlPlN2at6native12_GLOBAL__N_18offset_tEEE10hipError_tPvRmT1_PNSt15iterator_traitsIS12_E10value_typeET2_T3_PNS13_IS18_E10value_typeET4_jRbjT5_S1E_jjP12ihipStream_tbEUljE_ZNSN_ISO_Lb0ESQ_SR_ST_SU_SY_EESZ_S10_S11_S12_S16_S17_S18_S1B_S1C_jS1D_jS1E_S1E_jjS1G_bEUljE0_EEESZ_S10_S11_S18_S1C_S1E_T6_T7_T9_mT8_S1G_bDpT10_ENKUlT_T0_E_clISt17integral_constantIbLb1EES1U_EEDaS1P_S1Q_EUlS1P_E_NS1_11comp_targetILNS1_3genE5ELNS1_11target_archE942ELNS1_3gpuE9ELNS1_3repE0EEENS1_30default_config_static_selectorELNS0_4arch9wavefront6targetE1EEEvS12_.has_indirect_call, 0
	.section	.AMDGPU.csdata,"",@progbits
; Kernel info:
; codeLenInByte = 0
; TotalNumSgprs: 4
; NumVgprs: 0
; ScratchSize: 0
; MemoryBound: 0
; FloatMode: 240
; IeeeMode: 1
; LDSByteSize: 0 bytes/workgroup (compile time only)
; SGPRBlocks: 0
; VGPRBlocks: 0
; NumSGPRsForWavesPerEU: 4
; NumVGPRsForWavesPerEU: 1
; Occupancy: 10
; WaveLimiterHint : 0
; COMPUTE_PGM_RSRC2:SCRATCH_EN: 0
; COMPUTE_PGM_RSRC2:USER_SGPR: 6
; COMPUTE_PGM_RSRC2:TRAP_HANDLER: 0
; COMPUTE_PGM_RSRC2:TGID_X_EN: 1
; COMPUTE_PGM_RSRC2:TGID_Y_EN: 0
; COMPUTE_PGM_RSRC2:TGID_Z_EN: 0
; COMPUTE_PGM_RSRC2:TIDIG_COMP_CNT: 0
	.section	.text._ZN7rocprim17ROCPRIM_400000_NS6detail17trampoline_kernelINS0_13select_configILj256ELj13ELNS0_17block_load_methodE3ELS4_3ELS4_3ELNS0_20block_scan_algorithmE0ELj4294967295EEENS1_25partition_config_selectorILNS1_17partition_subalgoE4EjNS0_10empty_typeEbEEZZNS1_14partition_implILS8_4ELb0ES6_15HIP_vector_typeIjLj2EENS0_17counting_iteratorIjlEEPS9_SG_NS0_5tupleIJPjSI_NS0_16reverse_iteratorISI_EEEEENSH_IJSG_SG_SG_EEES9_SI_JZNS1_25segmented_radix_sort_implINS0_14default_configELb0EPKiPiPKlPlN2at6native12_GLOBAL__N_18offset_tEEE10hipError_tPvRmT1_PNSt15iterator_traitsIS12_E10value_typeET2_T3_PNS13_IS18_E10value_typeET4_jRbjT5_S1E_jjP12ihipStream_tbEUljE_ZNSN_ISO_Lb0ESQ_SR_ST_SU_SY_EESZ_S10_S11_S12_S16_S17_S18_S1B_S1C_jS1D_jS1E_S1E_jjS1G_bEUljE0_EEESZ_S10_S11_S18_S1C_S1E_T6_T7_T9_mT8_S1G_bDpT10_ENKUlT_T0_E_clISt17integral_constantIbLb1EES1U_EEDaS1P_S1Q_EUlS1P_E_NS1_11comp_targetILNS1_3genE4ELNS1_11target_archE910ELNS1_3gpuE8ELNS1_3repE0EEENS1_30default_config_static_selectorELNS0_4arch9wavefront6targetE1EEEvS12_,"axG",@progbits,_ZN7rocprim17ROCPRIM_400000_NS6detail17trampoline_kernelINS0_13select_configILj256ELj13ELNS0_17block_load_methodE3ELS4_3ELS4_3ELNS0_20block_scan_algorithmE0ELj4294967295EEENS1_25partition_config_selectorILNS1_17partition_subalgoE4EjNS0_10empty_typeEbEEZZNS1_14partition_implILS8_4ELb0ES6_15HIP_vector_typeIjLj2EENS0_17counting_iteratorIjlEEPS9_SG_NS0_5tupleIJPjSI_NS0_16reverse_iteratorISI_EEEEENSH_IJSG_SG_SG_EEES9_SI_JZNS1_25segmented_radix_sort_implINS0_14default_configELb0EPKiPiPKlPlN2at6native12_GLOBAL__N_18offset_tEEE10hipError_tPvRmT1_PNSt15iterator_traitsIS12_E10value_typeET2_T3_PNS13_IS18_E10value_typeET4_jRbjT5_S1E_jjP12ihipStream_tbEUljE_ZNSN_ISO_Lb0ESQ_SR_ST_SU_SY_EESZ_S10_S11_S12_S16_S17_S18_S1B_S1C_jS1D_jS1E_S1E_jjS1G_bEUljE0_EEESZ_S10_S11_S18_S1C_S1E_T6_T7_T9_mT8_S1G_bDpT10_ENKUlT_T0_E_clISt17integral_constantIbLb1EES1U_EEDaS1P_S1Q_EUlS1P_E_NS1_11comp_targetILNS1_3genE4ELNS1_11target_archE910ELNS1_3gpuE8ELNS1_3repE0EEENS1_30default_config_static_selectorELNS0_4arch9wavefront6targetE1EEEvS12_,comdat
	.globl	_ZN7rocprim17ROCPRIM_400000_NS6detail17trampoline_kernelINS0_13select_configILj256ELj13ELNS0_17block_load_methodE3ELS4_3ELS4_3ELNS0_20block_scan_algorithmE0ELj4294967295EEENS1_25partition_config_selectorILNS1_17partition_subalgoE4EjNS0_10empty_typeEbEEZZNS1_14partition_implILS8_4ELb0ES6_15HIP_vector_typeIjLj2EENS0_17counting_iteratorIjlEEPS9_SG_NS0_5tupleIJPjSI_NS0_16reverse_iteratorISI_EEEEENSH_IJSG_SG_SG_EEES9_SI_JZNS1_25segmented_radix_sort_implINS0_14default_configELb0EPKiPiPKlPlN2at6native12_GLOBAL__N_18offset_tEEE10hipError_tPvRmT1_PNSt15iterator_traitsIS12_E10value_typeET2_T3_PNS13_IS18_E10value_typeET4_jRbjT5_S1E_jjP12ihipStream_tbEUljE_ZNSN_ISO_Lb0ESQ_SR_ST_SU_SY_EESZ_S10_S11_S12_S16_S17_S18_S1B_S1C_jS1D_jS1E_S1E_jjS1G_bEUljE0_EEESZ_S10_S11_S18_S1C_S1E_T6_T7_T9_mT8_S1G_bDpT10_ENKUlT_T0_E_clISt17integral_constantIbLb1EES1U_EEDaS1P_S1Q_EUlS1P_E_NS1_11comp_targetILNS1_3genE4ELNS1_11target_archE910ELNS1_3gpuE8ELNS1_3repE0EEENS1_30default_config_static_selectorELNS0_4arch9wavefront6targetE1EEEvS12_ ; -- Begin function _ZN7rocprim17ROCPRIM_400000_NS6detail17trampoline_kernelINS0_13select_configILj256ELj13ELNS0_17block_load_methodE3ELS4_3ELS4_3ELNS0_20block_scan_algorithmE0ELj4294967295EEENS1_25partition_config_selectorILNS1_17partition_subalgoE4EjNS0_10empty_typeEbEEZZNS1_14partition_implILS8_4ELb0ES6_15HIP_vector_typeIjLj2EENS0_17counting_iteratorIjlEEPS9_SG_NS0_5tupleIJPjSI_NS0_16reverse_iteratorISI_EEEEENSH_IJSG_SG_SG_EEES9_SI_JZNS1_25segmented_radix_sort_implINS0_14default_configELb0EPKiPiPKlPlN2at6native12_GLOBAL__N_18offset_tEEE10hipError_tPvRmT1_PNSt15iterator_traitsIS12_E10value_typeET2_T3_PNS13_IS18_E10value_typeET4_jRbjT5_S1E_jjP12ihipStream_tbEUljE_ZNSN_ISO_Lb0ESQ_SR_ST_SU_SY_EESZ_S10_S11_S12_S16_S17_S18_S1B_S1C_jS1D_jS1E_S1E_jjS1G_bEUljE0_EEESZ_S10_S11_S18_S1C_S1E_T6_T7_T9_mT8_S1G_bDpT10_ENKUlT_T0_E_clISt17integral_constantIbLb1EES1U_EEDaS1P_S1Q_EUlS1P_E_NS1_11comp_targetILNS1_3genE4ELNS1_11target_archE910ELNS1_3gpuE8ELNS1_3repE0EEENS1_30default_config_static_selectorELNS0_4arch9wavefront6targetE1EEEvS12_
	.p2align	8
	.type	_ZN7rocprim17ROCPRIM_400000_NS6detail17trampoline_kernelINS0_13select_configILj256ELj13ELNS0_17block_load_methodE3ELS4_3ELS4_3ELNS0_20block_scan_algorithmE0ELj4294967295EEENS1_25partition_config_selectorILNS1_17partition_subalgoE4EjNS0_10empty_typeEbEEZZNS1_14partition_implILS8_4ELb0ES6_15HIP_vector_typeIjLj2EENS0_17counting_iteratorIjlEEPS9_SG_NS0_5tupleIJPjSI_NS0_16reverse_iteratorISI_EEEEENSH_IJSG_SG_SG_EEES9_SI_JZNS1_25segmented_radix_sort_implINS0_14default_configELb0EPKiPiPKlPlN2at6native12_GLOBAL__N_18offset_tEEE10hipError_tPvRmT1_PNSt15iterator_traitsIS12_E10value_typeET2_T3_PNS13_IS18_E10value_typeET4_jRbjT5_S1E_jjP12ihipStream_tbEUljE_ZNSN_ISO_Lb0ESQ_SR_ST_SU_SY_EESZ_S10_S11_S12_S16_S17_S18_S1B_S1C_jS1D_jS1E_S1E_jjS1G_bEUljE0_EEESZ_S10_S11_S18_S1C_S1E_T6_T7_T9_mT8_S1G_bDpT10_ENKUlT_T0_E_clISt17integral_constantIbLb1EES1U_EEDaS1P_S1Q_EUlS1P_E_NS1_11comp_targetILNS1_3genE4ELNS1_11target_archE910ELNS1_3gpuE8ELNS1_3repE0EEENS1_30default_config_static_selectorELNS0_4arch9wavefront6targetE1EEEvS12_,@function
_ZN7rocprim17ROCPRIM_400000_NS6detail17trampoline_kernelINS0_13select_configILj256ELj13ELNS0_17block_load_methodE3ELS4_3ELS4_3ELNS0_20block_scan_algorithmE0ELj4294967295EEENS1_25partition_config_selectorILNS1_17partition_subalgoE4EjNS0_10empty_typeEbEEZZNS1_14partition_implILS8_4ELb0ES6_15HIP_vector_typeIjLj2EENS0_17counting_iteratorIjlEEPS9_SG_NS0_5tupleIJPjSI_NS0_16reverse_iteratorISI_EEEEENSH_IJSG_SG_SG_EEES9_SI_JZNS1_25segmented_radix_sort_implINS0_14default_configELb0EPKiPiPKlPlN2at6native12_GLOBAL__N_18offset_tEEE10hipError_tPvRmT1_PNSt15iterator_traitsIS12_E10value_typeET2_T3_PNS13_IS18_E10value_typeET4_jRbjT5_S1E_jjP12ihipStream_tbEUljE_ZNSN_ISO_Lb0ESQ_SR_ST_SU_SY_EESZ_S10_S11_S12_S16_S17_S18_S1B_S1C_jS1D_jS1E_S1E_jjS1G_bEUljE0_EEESZ_S10_S11_S18_S1C_S1E_T6_T7_T9_mT8_S1G_bDpT10_ENKUlT_T0_E_clISt17integral_constantIbLb1EES1U_EEDaS1P_S1Q_EUlS1P_E_NS1_11comp_targetILNS1_3genE4ELNS1_11target_archE910ELNS1_3gpuE8ELNS1_3repE0EEENS1_30default_config_static_selectorELNS0_4arch9wavefront6targetE1EEEvS12_: ; @_ZN7rocprim17ROCPRIM_400000_NS6detail17trampoline_kernelINS0_13select_configILj256ELj13ELNS0_17block_load_methodE3ELS4_3ELS4_3ELNS0_20block_scan_algorithmE0ELj4294967295EEENS1_25partition_config_selectorILNS1_17partition_subalgoE4EjNS0_10empty_typeEbEEZZNS1_14partition_implILS8_4ELb0ES6_15HIP_vector_typeIjLj2EENS0_17counting_iteratorIjlEEPS9_SG_NS0_5tupleIJPjSI_NS0_16reverse_iteratorISI_EEEEENSH_IJSG_SG_SG_EEES9_SI_JZNS1_25segmented_radix_sort_implINS0_14default_configELb0EPKiPiPKlPlN2at6native12_GLOBAL__N_18offset_tEEE10hipError_tPvRmT1_PNSt15iterator_traitsIS12_E10value_typeET2_T3_PNS13_IS18_E10value_typeET4_jRbjT5_S1E_jjP12ihipStream_tbEUljE_ZNSN_ISO_Lb0ESQ_SR_ST_SU_SY_EESZ_S10_S11_S12_S16_S17_S18_S1B_S1C_jS1D_jS1E_S1E_jjS1G_bEUljE0_EEESZ_S10_S11_S18_S1C_S1E_T6_T7_T9_mT8_S1G_bDpT10_ENKUlT_T0_E_clISt17integral_constantIbLb1EES1U_EEDaS1P_S1Q_EUlS1P_E_NS1_11comp_targetILNS1_3genE4ELNS1_11target_archE910ELNS1_3gpuE8ELNS1_3repE0EEENS1_30default_config_static_selectorELNS0_4arch9wavefront6targetE1EEEvS12_
; %bb.0:
	.section	.rodata,"a",@progbits
	.p2align	6, 0x0
	.amdhsa_kernel _ZN7rocprim17ROCPRIM_400000_NS6detail17trampoline_kernelINS0_13select_configILj256ELj13ELNS0_17block_load_methodE3ELS4_3ELS4_3ELNS0_20block_scan_algorithmE0ELj4294967295EEENS1_25partition_config_selectorILNS1_17partition_subalgoE4EjNS0_10empty_typeEbEEZZNS1_14partition_implILS8_4ELb0ES6_15HIP_vector_typeIjLj2EENS0_17counting_iteratorIjlEEPS9_SG_NS0_5tupleIJPjSI_NS0_16reverse_iteratorISI_EEEEENSH_IJSG_SG_SG_EEES9_SI_JZNS1_25segmented_radix_sort_implINS0_14default_configELb0EPKiPiPKlPlN2at6native12_GLOBAL__N_18offset_tEEE10hipError_tPvRmT1_PNSt15iterator_traitsIS12_E10value_typeET2_T3_PNS13_IS18_E10value_typeET4_jRbjT5_S1E_jjP12ihipStream_tbEUljE_ZNSN_ISO_Lb0ESQ_SR_ST_SU_SY_EESZ_S10_S11_S12_S16_S17_S18_S1B_S1C_jS1D_jS1E_S1E_jjS1G_bEUljE0_EEESZ_S10_S11_S18_S1C_S1E_T6_T7_T9_mT8_S1G_bDpT10_ENKUlT_T0_E_clISt17integral_constantIbLb1EES1U_EEDaS1P_S1Q_EUlS1P_E_NS1_11comp_targetILNS1_3genE4ELNS1_11target_archE910ELNS1_3gpuE8ELNS1_3repE0EEENS1_30default_config_static_selectorELNS0_4arch9wavefront6targetE1EEEvS12_
		.amdhsa_group_segment_fixed_size 0
		.amdhsa_private_segment_fixed_size 0
		.amdhsa_kernarg_size 184
		.amdhsa_user_sgpr_count 6
		.amdhsa_user_sgpr_private_segment_buffer 1
		.amdhsa_user_sgpr_dispatch_ptr 0
		.amdhsa_user_sgpr_queue_ptr 0
		.amdhsa_user_sgpr_kernarg_segment_ptr 1
		.amdhsa_user_sgpr_dispatch_id 0
		.amdhsa_user_sgpr_flat_scratch_init 0
		.amdhsa_user_sgpr_private_segment_size 0
		.amdhsa_uses_dynamic_stack 0
		.amdhsa_system_sgpr_private_segment_wavefront_offset 0
		.amdhsa_system_sgpr_workgroup_id_x 1
		.amdhsa_system_sgpr_workgroup_id_y 0
		.amdhsa_system_sgpr_workgroup_id_z 0
		.amdhsa_system_sgpr_workgroup_info 0
		.amdhsa_system_vgpr_workitem_id 0
		.amdhsa_next_free_vgpr 1
		.amdhsa_next_free_sgpr 0
		.amdhsa_reserve_vcc 0
		.amdhsa_reserve_flat_scratch 0
		.amdhsa_float_round_mode_32 0
		.amdhsa_float_round_mode_16_64 0
		.amdhsa_float_denorm_mode_32 3
		.amdhsa_float_denorm_mode_16_64 3
		.amdhsa_dx10_clamp 1
		.amdhsa_ieee_mode 1
		.amdhsa_fp16_overflow 0
		.amdhsa_exception_fp_ieee_invalid_op 0
		.amdhsa_exception_fp_denorm_src 0
		.amdhsa_exception_fp_ieee_div_zero 0
		.amdhsa_exception_fp_ieee_overflow 0
		.amdhsa_exception_fp_ieee_underflow 0
		.amdhsa_exception_fp_ieee_inexact 0
		.amdhsa_exception_int_div_zero 0
	.end_amdhsa_kernel
	.section	.text._ZN7rocprim17ROCPRIM_400000_NS6detail17trampoline_kernelINS0_13select_configILj256ELj13ELNS0_17block_load_methodE3ELS4_3ELS4_3ELNS0_20block_scan_algorithmE0ELj4294967295EEENS1_25partition_config_selectorILNS1_17partition_subalgoE4EjNS0_10empty_typeEbEEZZNS1_14partition_implILS8_4ELb0ES6_15HIP_vector_typeIjLj2EENS0_17counting_iteratorIjlEEPS9_SG_NS0_5tupleIJPjSI_NS0_16reverse_iteratorISI_EEEEENSH_IJSG_SG_SG_EEES9_SI_JZNS1_25segmented_radix_sort_implINS0_14default_configELb0EPKiPiPKlPlN2at6native12_GLOBAL__N_18offset_tEEE10hipError_tPvRmT1_PNSt15iterator_traitsIS12_E10value_typeET2_T3_PNS13_IS18_E10value_typeET4_jRbjT5_S1E_jjP12ihipStream_tbEUljE_ZNSN_ISO_Lb0ESQ_SR_ST_SU_SY_EESZ_S10_S11_S12_S16_S17_S18_S1B_S1C_jS1D_jS1E_S1E_jjS1G_bEUljE0_EEESZ_S10_S11_S18_S1C_S1E_T6_T7_T9_mT8_S1G_bDpT10_ENKUlT_T0_E_clISt17integral_constantIbLb1EES1U_EEDaS1P_S1Q_EUlS1P_E_NS1_11comp_targetILNS1_3genE4ELNS1_11target_archE910ELNS1_3gpuE8ELNS1_3repE0EEENS1_30default_config_static_selectorELNS0_4arch9wavefront6targetE1EEEvS12_,"axG",@progbits,_ZN7rocprim17ROCPRIM_400000_NS6detail17trampoline_kernelINS0_13select_configILj256ELj13ELNS0_17block_load_methodE3ELS4_3ELS4_3ELNS0_20block_scan_algorithmE0ELj4294967295EEENS1_25partition_config_selectorILNS1_17partition_subalgoE4EjNS0_10empty_typeEbEEZZNS1_14partition_implILS8_4ELb0ES6_15HIP_vector_typeIjLj2EENS0_17counting_iteratorIjlEEPS9_SG_NS0_5tupleIJPjSI_NS0_16reverse_iteratorISI_EEEEENSH_IJSG_SG_SG_EEES9_SI_JZNS1_25segmented_radix_sort_implINS0_14default_configELb0EPKiPiPKlPlN2at6native12_GLOBAL__N_18offset_tEEE10hipError_tPvRmT1_PNSt15iterator_traitsIS12_E10value_typeET2_T3_PNS13_IS18_E10value_typeET4_jRbjT5_S1E_jjP12ihipStream_tbEUljE_ZNSN_ISO_Lb0ESQ_SR_ST_SU_SY_EESZ_S10_S11_S12_S16_S17_S18_S1B_S1C_jS1D_jS1E_S1E_jjS1G_bEUljE0_EEESZ_S10_S11_S18_S1C_S1E_T6_T7_T9_mT8_S1G_bDpT10_ENKUlT_T0_E_clISt17integral_constantIbLb1EES1U_EEDaS1P_S1Q_EUlS1P_E_NS1_11comp_targetILNS1_3genE4ELNS1_11target_archE910ELNS1_3gpuE8ELNS1_3repE0EEENS1_30default_config_static_selectorELNS0_4arch9wavefront6targetE1EEEvS12_,comdat
.Lfunc_end546:
	.size	_ZN7rocprim17ROCPRIM_400000_NS6detail17trampoline_kernelINS0_13select_configILj256ELj13ELNS0_17block_load_methodE3ELS4_3ELS4_3ELNS0_20block_scan_algorithmE0ELj4294967295EEENS1_25partition_config_selectorILNS1_17partition_subalgoE4EjNS0_10empty_typeEbEEZZNS1_14partition_implILS8_4ELb0ES6_15HIP_vector_typeIjLj2EENS0_17counting_iteratorIjlEEPS9_SG_NS0_5tupleIJPjSI_NS0_16reverse_iteratorISI_EEEEENSH_IJSG_SG_SG_EEES9_SI_JZNS1_25segmented_radix_sort_implINS0_14default_configELb0EPKiPiPKlPlN2at6native12_GLOBAL__N_18offset_tEEE10hipError_tPvRmT1_PNSt15iterator_traitsIS12_E10value_typeET2_T3_PNS13_IS18_E10value_typeET4_jRbjT5_S1E_jjP12ihipStream_tbEUljE_ZNSN_ISO_Lb0ESQ_SR_ST_SU_SY_EESZ_S10_S11_S12_S16_S17_S18_S1B_S1C_jS1D_jS1E_S1E_jjS1G_bEUljE0_EEESZ_S10_S11_S18_S1C_S1E_T6_T7_T9_mT8_S1G_bDpT10_ENKUlT_T0_E_clISt17integral_constantIbLb1EES1U_EEDaS1P_S1Q_EUlS1P_E_NS1_11comp_targetILNS1_3genE4ELNS1_11target_archE910ELNS1_3gpuE8ELNS1_3repE0EEENS1_30default_config_static_selectorELNS0_4arch9wavefront6targetE1EEEvS12_, .Lfunc_end546-_ZN7rocprim17ROCPRIM_400000_NS6detail17trampoline_kernelINS0_13select_configILj256ELj13ELNS0_17block_load_methodE3ELS4_3ELS4_3ELNS0_20block_scan_algorithmE0ELj4294967295EEENS1_25partition_config_selectorILNS1_17partition_subalgoE4EjNS0_10empty_typeEbEEZZNS1_14partition_implILS8_4ELb0ES6_15HIP_vector_typeIjLj2EENS0_17counting_iteratorIjlEEPS9_SG_NS0_5tupleIJPjSI_NS0_16reverse_iteratorISI_EEEEENSH_IJSG_SG_SG_EEES9_SI_JZNS1_25segmented_radix_sort_implINS0_14default_configELb0EPKiPiPKlPlN2at6native12_GLOBAL__N_18offset_tEEE10hipError_tPvRmT1_PNSt15iterator_traitsIS12_E10value_typeET2_T3_PNS13_IS18_E10value_typeET4_jRbjT5_S1E_jjP12ihipStream_tbEUljE_ZNSN_ISO_Lb0ESQ_SR_ST_SU_SY_EESZ_S10_S11_S12_S16_S17_S18_S1B_S1C_jS1D_jS1E_S1E_jjS1G_bEUljE0_EEESZ_S10_S11_S18_S1C_S1E_T6_T7_T9_mT8_S1G_bDpT10_ENKUlT_T0_E_clISt17integral_constantIbLb1EES1U_EEDaS1P_S1Q_EUlS1P_E_NS1_11comp_targetILNS1_3genE4ELNS1_11target_archE910ELNS1_3gpuE8ELNS1_3repE0EEENS1_30default_config_static_selectorELNS0_4arch9wavefront6targetE1EEEvS12_
                                        ; -- End function
	.set _ZN7rocprim17ROCPRIM_400000_NS6detail17trampoline_kernelINS0_13select_configILj256ELj13ELNS0_17block_load_methodE3ELS4_3ELS4_3ELNS0_20block_scan_algorithmE0ELj4294967295EEENS1_25partition_config_selectorILNS1_17partition_subalgoE4EjNS0_10empty_typeEbEEZZNS1_14partition_implILS8_4ELb0ES6_15HIP_vector_typeIjLj2EENS0_17counting_iteratorIjlEEPS9_SG_NS0_5tupleIJPjSI_NS0_16reverse_iteratorISI_EEEEENSH_IJSG_SG_SG_EEES9_SI_JZNS1_25segmented_radix_sort_implINS0_14default_configELb0EPKiPiPKlPlN2at6native12_GLOBAL__N_18offset_tEEE10hipError_tPvRmT1_PNSt15iterator_traitsIS12_E10value_typeET2_T3_PNS13_IS18_E10value_typeET4_jRbjT5_S1E_jjP12ihipStream_tbEUljE_ZNSN_ISO_Lb0ESQ_SR_ST_SU_SY_EESZ_S10_S11_S12_S16_S17_S18_S1B_S1C_jS1D_jS1E_S1E_jjS1G_bEUljE0_EEESZ_S10_S11_S18_S1C_S1E_T6_T7_T9_mT8_S1G_bDpT10_ENKUlT_T0_E_clISt17integral_constantIbLb1EES1U_EEDaS1P_S1Q_EUlS1P_E_NS1_11comp_targetILNS1_3genE4ELNS1_11target_archE910ELNS1_3gpuE8ELNS1_3repE0EEENS1_30default_config_static_selectorELNS0_4arch9wavefront6targetE1EEEvS12_.num_vgpr, 0
	.set _ZN7rocprim17ROCPRIM_400000_NS6detail17trampoline_kernelINS0_13select_configILj256ELj13ELNS0_17block_load_methodE3ELS4_3ELS4_3ELNS0_20block_scan_algorithmE0ELj4294967295EEENS1_25partition_config_selectorILNS1_17partition_subalgoE4EjNS0_10empty_typeEbEEZZNS1_14partition_implILS8_4ELb0ES6_15HIP_vector_typeIjLj2EENS0_17counting_iteratorIjlEEPS9_SG_NS0_5tupleIJPjSI_NS0_16reverse_iteratorISI_EEEEENSH_IJSG_SG_SG_EEES9_SI_JZNS1_25segmented_radix_sort_implINS0_14default_configELb0EPKiPiPKlPlN2at6native12_GLOBAL__N_18offset_tEEE10hipError_tPvRmT1_PNSt15iterator_traitsIS12_E10value_typeET2_T3_PNS13_IS18_E10value_typeET4_jRbjT5_S1E_jjP12ihipStream_tbEUljE_ZNSN_ISO_Lb0ESQ_SR_ST_SU_SY_EESZ_S10_S11_S12_S16_S17_S18_S1B_S1C_jS1D_jS1E_S1E_jjS1G_bEUljE0_EEESZ_S10_S11_S18_S1C_S1E_T6_T7_T9_mT8_S1G_bDpT10_ENKUlT_T0_E_clISt17integral_constantIbLb1EES1U_EEDaS1P_S1Q_EUlS1P_E_NS1_11comp_targetILNS1_3genE4ELNS1_11target_archE910ELNS1_3gpuE8ELNS1_3repE0EEENS1_30default_config_static_selectorELNS0_4arch9wavefront6targetE1EEEvS12_.num_agpr, 0
	.set _ZN7rocprim17ROCPRIM_400000_NS6detail17trampoline_kernelINS0_13select_configILj256ELj13ELNS0_17block_load_methodE3ELS4_3ELS4_3ELNS0_20block_scan_algorithmE0ELj4294967295EEENS1_25partition_config_selectorILNS1_17partition_subalgoE4EjNS0_10empty_typeEbEEZZNS1_14partition_implILS8_4ELb0ES6_15HIP_vector_typeIjLj2EENS0_17counting_iteratorIjlEEPS9_SG_NS0_5tupleIJPjSI_NS0_16reverse_iteratorISI_EEEEENSH_IJSG_SG_SG_EEES9_SI_JZNS1_25segmented_radix_sort_implINS0_14default_configELb0EPKiPiPKlPlN2at6native12_GLOBAL__N_18offset_tEEE10hipError_tPvRmT1_PNSt15iterator_traitsIS12_E10value_typeET2_T3_PNS13_IS18_E10value_typeET4_jRbjT5_S1E_jjP12ihipStream_tbEUljE_ZNSN_ISO_Lb0ESQ_SR_ST_SU_SY_EESZ_S10_S11_S12_S16_S17_S18_S1B_S1C_jS1D_jS1E_S1E_jjS1G_bEUljE0_EEESZ_S10_S11_S18_S1C_S1E_T6_T7_T9_mT8_S1G_bDpT10_ENKUlT_T0_E_clISt17integral_constantIbLb1EES1U_EEDaS1P_S1Q_EUlS1P_E_NS1_11comp_targetILNS1_3genE4ELNS1_11target_archE910ELNS1_3gpuE8ELNS1_3repE0EEENS1_30default_config_static_selectorELNS0_4arch9wavefront6targetE1EEEvS12_.numbered_sgpr, 0
	.set _ZN7rocprim17ROCPRIM_400000_NS6detail17trampoline_kernelINS0_13select_configILj256ELj13ELNS0_17block_load_methodE3ELS4_3ELS4_3ELNS0_20block_scan_algorithmE0ELj4294967295EEENS1_25partition_config_selectorILNS1_17partition_subalgoE4EjNS0_10empty_typeEbEEZZNS1_14partition_implILS8_4ELb0ES6_15HIP_vector_typeIjLj2EENS0_17counting_iteratorIjlEEPS9_SG_NS0_5tupleIJPjSI_NS0_16reverse_iteratorISI_EEEEENSH_IJSG_SG_SG_EEES9_SI_JZNS1_25segmented_radix_sort_implINS0_14default_configELb0EPKiPiPKlPlN2at6native12_GLOBAL__N_18offset_tEEE10hipError_tPvRmT1_PNSt15iterator_traitsIS12_E10value_typeET2_T3_PNS13_IS18_E10value_typeET4_jRbjT5_S1E_jjP12ihipStream_tbEUljE_ZNSN_ISO_Lb0ESQ_SR_ST_SU_SY_EESZ_S10_S11_S12_S16_S17_S18_S1B_S1C_jS1D_jS1E_S1E_jjS1G_bEUljE0_EEESZ_S10_S11_S18_S1C_S1E_T6_T7_T9_mT8_S1G_bDpT10_ENKUlT_T0_E_clISt17integral_constantIbLb1EES1U_EEDaS1P_S1Q_EUlS1P_E_NS1_11comp_targetILNS1_3genE4ELNS1_11target_archE910ELNS1_3gpuE8ELNS1_3repE0EEENS1_30default_config_static_selectorELNS0_4arch9wavefront6targetE1EEEvS12_.num_named_barrier, 0
	.set _ZN7rocprim17ROCPRIM_400000_NS6detail17trampoline_kernelINS0_13select_configILj256ELj13ELNS0_17block_load_methodE3ELS4_3ELS4_3ELNS0_20block_scan_algorithmE0ELj4294967295EEENS1_25partition_config_selectorILNS1_17partition_subalgoE4EjNS0_10empty_typeEbEEZZNS1_14partition_implILS8_4ELb0ES6_15HIP_vector_typeIjLj2EENS0_17counting_iteratorIjlEEPS9_SG_NS0_5tupleIJPjSI_NS0_16reverse_iteratorISI_EEEEENSH_IJSG_SG_SG_EEES9_SI_JZNS1_25segmented_radix_sort_implINS0_14default_configELb0EPKiPiPKlPlN2at6native12_GLOBAL__N_18offset_tEEE10hipError_tPvRmT1_PNSt15iterator_traitsIS12_E10value_typeET2_T3_PNS13_IS18_E10value_typeET4_jRbjT5_S1E_jjP12ihipStream_tbEUljE_ZNSN_ISO_Lb0ESQ_SR_ST_SU_SY_EESZ_S10_S11_S12_S16_S17_S18_S1B_S1C_jS1D_jS1E_S1E_jjS1G_bEUljE0_EEESZ_S10_S11_S18_S1C_S1E_T6_T7_T9_mT8_S1G_bDpT10_ENKUlT_T0_E_clISt17integral_constantIbLb1EES1U_EEDaS1P_S1Q_EUlS1P_E_NS1_11comp_targetILNS1_3genE4ELNS1_11target_archE910ELNS1_3gpuE8ELNS1_3repE0EEENS1_30default_config_static_selectorELNS0_4arch9wavefront6targetE1EEEvS12_.private_seg_size, 0
	.set _ZN7rocprim17ROCPRIM_400000_NS6detail17trampoline_kernelINS0_13select_configILj256ELj13ELNS0_17block_load_methodE3ELS4_3ELS4_3ELNS0_20block_scan_algorithmE0ELj4294967295EEENS1_25partition_config_selectorILNS1_17partition_subalgoE4EjNS0_10empty_typeEbEEZZNS1_14partition_implILS8_4ELb0ES6_15HIP_vector_typeIjLj2EENS0_17counting_iteratorIjlEEPS9_SG_NS0_5tupleIJPjSI_NS0_16reverse_iteratorISI_EEEEENSH_IJSG_SG_SG_EEES9_SI_JZNS1_25segmented_radix_sort_implINS0_14default_configELb0EPKiPiPKlPlN2at6native12_GLOBAL__N_18offset_tEEE10hipError_tPvRmT1_PNSt15iterator_traitsIS12_E10value_typeET2_T3_PNS13_IS18_E10value_typeET4_jRbjT5_S1E_jjP12ihipStream_tbEUljE_ZNSN_ISO_Lb0ESQ_SR_ST_SU_SY_EESZ_S10_S11_S12_S16_S17_S18_S1B_S1C_jS1D_jS1E_S1E_jjS1G_bEUljE0_EEESZ_S10_S11_S18_S1C_S1E_T6_T7_T9_mT8_S1G_bDpT10_ENKUlT_T0_E_clISt17integral_constantIbLb1EES1U_EEDaS1P_S1Q_EUlS1P_E_NS1_11comp_targetILNS1_3genE4ELNS1_11target_archE910ELNS1_3gpuE8ELNS1_3repE0EEENS1_30default_config_static_selectorELNS0_4arch9wavefront6targetE1EEEvS12_.uses_vcc, 0
	.set _ZN7rocprim17ROCPRIM_400000_NS6detail17trampoline_kernelINS0_13select_configILj256ELj13ELNS0_17block_load_methodE3ELS4_3ELS4_3ELNS0_20block_scan_algorithmE0ELj4294967295EEENS1_25partition_config_selectorILNS1_17partition_subalgoE4EjNS0_10empty_typeEbEEZZNS1_14partition_implILS8_4ELb0ES6_15HIP_vector_typeIjLj2EENS0_17counting_iteratorIjlEEPS9_SG_NS0_5tupleIJPjSI_NS0_16reverse_iteratorISI_EEEEENSH_IJSG_SG_SG_EEES9_SI_JZNS1_25segmented_radix_sort_implINS0_14default_configELb0EPKiPiPKlPlN2at6native12_GLOBAL__N_18offset_tEEE10hipError_tPvRmT1_PNSt15iterator_traitsIS12_E10value_typeET2_T3_PNS13_IS18_E10value_typeET4_jRbjT5_S1E_jjP12ihipStream_tbEUljE_ZNSN_ISO_Lb0ESQ_SR_ST_SU_SY_EESZ_S10_S11_S12_S16_S17_S18_S1B_S1C_jS1D_jS1E_S1E_jjS1G_bEUljE0_EEESZ_S10_S11_S18_S1C_S1E_T6_T7_T9_mT8_S1G_bDpT10_ENKUlT_T0_E_clISt17integral_constantIbLb1EES1U_EEDaS1P_S1Q_EUlS1P_E_NS1_11comp_targetILNS1_3genE4ELNS1_11target_archE910ELNS1_3gpuE8ELNS1_3repE0EEENS1_30default_config_static_selectorELNS0_4arch9wavefront6targetE1EEEvS12_.uses_flat_scratch, 0
	.set _ZN7rocprim17ROCPRIM_400000_NS6detail17trampoline_kernelINS0_13select_configILj256ELj13ELNS0_17block_load_methodE3ELS4_3ELS4_3ELNS0_20block_scan_algorithmE0ELj4294967295EEENS1_25partition_config_selectorILNS1_17partition_subalgoE4EjNS0_10empty_typeEbEEZZNS1_14partition_implILS8_4ELb0ES6_15HIP_vector_typeIjLj2EENS0_17counting_iteratorIjlEEPS9_SG_NS0_5tupleIJPjSI_NS0_16reverse_iteratorISI_EEEEENSH_IJSG_SG_SG_EEES9_SI_JZNS1_25segmented_radix_sort_implINS0_14default_configELb0EPKiPiPKlPlN2at6native12_GLOBAL__N_18offset_tEEE10hipError_tPvRmT1_PNSt15iterator_traitsIS12_E10value_typeET2_T3_PNS13_IS18_E10value_typeET4_jRbjT5_S1E_jjP12ihipStream_tbEUljE_ZNSN_ISO_Lb0ESQ_SR_ST_SU_SY_EESZ_S10_S11_S12_S16_S17_S18_S1B_S1C_jS1D_jS1E_S1E_jjS1G_bEUljE0_EEESZ_S10_S11_S18_S1C_S1E_T6_T7_T9_mT8_S1G_bDpT10_ENKUlT_T0_E_clISt17integral_constantIbLb1EES1U_EEDaS1P_S1Q_EUlS1P_E_NS1_11comp_targetILNS1_3genE4ELNS1_11target_archE910ELNS1_3gpuE8ELNS1_3repE0EEENS1_30default_config_static_selectorELNS0_4arch9wavefront6targetE1EEEvS12_.has_dyn_sized_stack, 0
	.set _ZN7rocprim17ROCPRIM_400000_NS6detail17trampoline_kernelINS0_13select_configILj256ELj13ELNS0_17block_load_methodE3ELS4_3ELS4_3ELNS0_20block_scan_algorithmE0ELj4294967295EEENS1_25partition_config_selectorILNS1_17partition_subalgoE4EjNS0_10empty_typeEbEEZZNS1_14partition_implILS8_4ELb0ES6_15HIP_vector_typeIjLj2EENS0_17counting_iteratorIjlEEPS9_SG_NS0_5tupleIJPjSI_NS0_16reverse_iteratorISI_EEEEENSH_IJSG_SG_SG_EEES9_SI_JZNS1_25segmented_radix_sort_implINS0_14default_configELb0EPKiPiPKlPlN2at6native12_GLOBAL__N_18offset_tEEE10hipError_tPvRmT1_PNSt15iterator_traitsIS12_E10value_typeET2_T3_PNS13_IS18_E10value_typeET4_jRbjT5_S1E_jjP12ihipStream_tbEUljE_ZNSN_ISO_Lb0ESQ_SR_ST_SU_SY_EESZ_S10_S11_S12_S16_S17_S18_S1B_S1C_jS1D_jS1E_S1E_jjS1G_bEUljE0_EEESZ_S10_S11_S18_S1C_S1E_T6_T7_T9_mT8_S1G_bDpT10_ENKUlT_T0_E_clISt17integral_constantIbLb1EES1U_EEDaS1P_S1Q_EUlS1P_E_NS1_11comp_targetILNS1_3genE4ELNS1_11target_archE910ELNS1_3gpuE8ELNS1_3repE0EEENS1_30default_config_static_selectorELNS0_4arch9wavefront6targetE1EEEvS12_.has_recursion, 0
	.set _ZN7rocprim17ROCPRIM_400000_NS6detail17trampoline_kernelINS0_13select_configILj256ELj13ELNS0_17block_load_methodE3ELS4_3ELS4_3ELNS0_20block_scan_algorithmE0ELj4294967295EEENS1_25partition_config_selectorILNS1_17partition_subalgoE4EjNS0_10empty_typeEbEEZZNS1_14partition_implILS8_4ELb0ES6_15HIP_vector_typeIjLj2EENS0_17counting_iteratorIjlEEPS9_SG_NS0_5tupleIJPjSI_NS0_16reverse_iteratorISI_EEEEENSH_IJSG_SG_SG_EEES9_SI_JZNS1_25segmented_radix_sort_implINS0_14default_configELb0EPKiPiPKlPlN2at6native12_GLOBAL__N_18offset_tEEE10hipError_tPvRmT1_PNSt15iterator_traitsIS12_E10value_typeET2_T3_PNS13_IS18_E10value_typeET4_jRbjT5_S1E_jjP12ihipStream_tbEUljE_ZNSN_ISO_Lb0ESQ_SR_ST_SU_SY_EESZ_S10_S11_S12_S16_S17_S18_S1B_S1C_jS1D_jS1E_S1E_jjS1G_bEUljE0_EEESZ_S10_S11_S18_S1C_S1E_T6_T7_T9_mT8_S1G_bDpT10_ENKUlT_T0_E_clISt17integral_constantIbLb1EES1U_EEDaS1P_S1Q_EUlS1P_E_NS1_11comp_targetILNS1_3genE4ELNS1_11target_archE910ELNS1_3gpuE8ELNS1_3repE0EEENS1_30default_config_static_selectorELNS0_4arch9wavefront6targetE1EEEvS12_.has_indirect_call, 0
	.section	.AMDGPU.csdata,"",@progbits
; Kernel info:
; codeLenInByte = 0
; TotalNumSgprs: 4
; NumVgprs: 0
; ScratchSize: 0
; MemoryBound: 0
; FloatMode: 240
; IeeeMode: 1
; LDSByteSize: 0 bytes/workgroup (compile time only)
; SGPRBlocks: 0
; VGPRBlocks: 0
; NumSGPRsForWavesPerEU: 4
; NumVGPRsForWavesPerEU: 1
; Occupancy: 10
; WaveLimiterHint : 0
; COMPUTE_PGM_RSRC2:SCRATCH_EN: 0
; COMPUTE_PGM_RSRC2:USER_SGPR: 6
; COMPUTE_PGM_RSRC2:TRAP_HANDLER: 0
; COMPUTE_PGM_RSRC2:TGID_X_EN: 1
; COMPUTE_PGM_RSRC2:TGID_Y_EN: 0
; COMPUTE_PGM_RSRC2:TGID_Z_EN: 0
; COMPUTE_PGM_RSRC2:TIDIG_COMP_CNT: 0
	.section	.text._ZN7rocprim17ROCPRIM_400000_NS6detail17trampoline_kernelINS0_13select_configILj256ELj13ELNS0_17block_load_methodE3ELS4_3ELS4_3ELNS0_20block_scan_algorithmE0ELj4294967295EEENS1_25partition_config_selectorILNS1_17partition_subalgoE4EjNS0_10empty_typeEbEEZZNS1_14partition_implILS8_4ELb0ES6_15HIP_vector_typeIjLj2EENS0_17counting_iteratorIjlEEPS9_SG_NS0_5tupleIJPjSI_NS0_16reverse_iteratorISI_EEEEENSH_IJSG_SG_SG_EEES9_SI_JZNS1_25segmented_radix_sort_implINS0_14default_configELb0EPKiPiPKlPlN2at6native12_GLOBAL__N_18offset_tEEE10hipError_tPvRmT1_PNSt15iterator_traitsIS12_E10value_typeET2_T3_PNS13_IS18_E10value_typeET4_jRbjT5_S1E_jjP12ihipStream_tbEUljE_ZNSN_ISO_Lb0ESQ_SR_ST_SU_SY_EESZ_S10_S11_S12_S16_S17_S18_S1B_S1C_jS1D_jS1E_S1E_jjS1G_bEUljE0_EEESZ_S10_S11_S18_S1C_S1E_T6_T7_T9_mT8_S1G_bDpT10_ENKUlT_T0_E_clISt17integral_constantIbLb1EES1U_EEDaS1P_S1Q_EUlS1P_E_NS1_11comp_targetILNS1_3genE3ELNS1_11target_archE908ELNS1_3gpuE7ELNS1_3repE0EEENS1_30default_config_static_selectorELNS0_4arch9wavefront6targetE1EEEvS12_,"axG",@progbits,_ZN7rocprim17ROCPRIM_400000_NS6detail17trampoline_kernelINS0_13select_configILj256ELj13ELNS0_17block_load_methodE3ELS4_3ELS4_3ELNS0_20block_scan_algorithmE0ELj4294967295EEENS1_25partition_config_selectorILNS1_17partition_subalgoE4EjNS0_10empty_typeEbEEZZNS1_14partition_implILS8_4ELb0ES6_15HIP_vector_typeIjLj2EENS0_17counting_iteratorIjlEEPS9_SG_NS0_5tupleIJPjSI_NS0_16reverse_iteratorISI_EEEEENSH_IJSG_SG_SG_EEES9_SI_JZNS1_25segmented_radix_sort_implINS0_14default_configELb0EPKiPiPKlPlN2at6native12_GLOBAL__N_18offset_tEEE10hipError_tPvRmT1_PNSt15iterator_traitsIS12_E10value_typeET2_T3_PNS13_IS18_E10value_typeET4_jRbjT5_S1E_jjP12ihipStream_tbEUljE_ZNSN_ISO_Lb0ESQ_SR_ST_SU_SY_EESZ_S10_S11_S12_S16_S17_S18_S1B_S1C_jS1D_jS1E_S1E_jjS1G_bEUljE0_EEESZ_S10_S11_S18_S1C_S1E_T6_T7_T9_mT8_S1G_bDpT10_ENKUlT_T0_E_clISt17integral_constantIbLb1EES1U_EEDaS1P_S1Q_EUlS1P_E_NS1_11comp_targetILNS1_3genE3ELNS1_11target_archE908ELNS1_3gpuE7ELNS1_3repE0EEENS1_30default_config_static_selectorELNS0_4arch9wavefront6targetE1EEEvS12_,comdat
	.globl	_ZN7rocprim17ROCPRIM_400000_NS6detail17trampoline_kernelINS0_13select_configILj256ELj13ELNS0_17block_load_methodE3ELS4_3ELS4_3ELNS0_20block_scan_algorithmE0ELj4294967295EEENS1_25partition_config_selectorILNS1_17partition_subalgoE4EjNS0_10empty_typeEbEEZZNS1_14partition_implILS8_4ELb0ES6_15HIP_vector_typeIjLj2EENS0_17counting_iteratorIjlEEPS9_SG_NS0_5tupleIJPjSI_NS0_16reverse_iteratorISI_EEEEENSH_IJSG_SG_SG_EEES9_SI_JZNS1_25segmented_radix_sort_implINS0_14default_configELb0EPKiPiPKlPlN2at6native12_GLOBAL__N_18offset_tEEE10hipError_tPvRmT1_PNSt15iterator_traitsIS12_E10value_typeET2_T3_PNS13_IS18_E10value_typeET4_jRbjT5_S1E_jjP12ihipStream_tbEUljE_ZNSN_ISO_Lb0ESQ_SR_ST_SU_SY_EESZ_S10_S11_S12_S16_S17_S18_S1B_S1C_jS1D_jS1E_S1E_jjS1G_bEUljE0_EEESZ_S10_S11_S18_S1C_S1E_T6_T7_T9_mT8_S1G_bDpT10_ENKUlT_T0_E_clISt17integral_constantIbLb1EES1U_EEDaS1P_S1Q_EUlS1P_E_NS1_11comp_targetILNS1_3genE3ELNS1_11target_archE908ELNS1_3gpuE7ELNS1_3repE0EEENS1_30default_config_static_selectorELNS0_4arch9wavefront6targetE1EEEvS12_ ; -- Begin function _ZN7rocprim17ROCPRIM_400000_NS6detail17trampoline_kernelINS0_13select_configILj256ELj13ELNS0_17block_load_methodE3ELS4_3ELS4_3ELNS0_20block_scan_algorithmE0ELj4294967295EEENS1_25partition_config_selectorILNS1_17partition_subalgoE4EjNS0_10empty_typeEbEEZZNS1_14partition_implILS8_4ELb0ES6_15HIP_vector_typeIjLj2EENS0_17counting_iteratorIjlEEPS9_SG_NS0_5tupleIJPjSI_NS0_16reverse_iteratorISI_EEEEENSH_IJSG_SG_SG_EEES9_SI_JZNS1_25segmented_radix_sort_implINS0_14default_configELb0EPKiPiPKlPlN2at6native12_GLOBAL__N_18offset_tEEE10hipError_tPvRmT1_PNSt15iterator_traitsIS12_E10value_typeET2_T3_PNS13_IS18_E10value_typeET4_jRbjT5_S1E_jjP12ihipStream_tbEUljE_ZNSN_ISO_Lb0ESQ_SR_ST_SU_SY_EESZ_S10_S11_S12_S16_S17_S18_S1B_S1C_jS1D_jS1E_S1E_jjS1G_bEUljE0_EEESZ_S10_S11_S18_S1C_S1E_T6_T7_T9_mT8_S1G_bDpT10_ENKUlT_T0_E_clISt17integral_constantIbLb1EES1U_EEDaS1P_S1Q_EUlS1P_E_NS1_11comp_targetILNS1_3genE3ELNS1_11target_archE908ELNS1_3gpuE7ELNS1_3repE0EEENS1_30default_config_static_selectorELNS0_4arch9wavefront6targetE1EEEvS12_
	.p2align	8
	.type	_ZN7rocprim17ROCPRIM_400000_NS6detail17trampoline_kernelINS0_13select_configILj256ELj13ELNS0_17block_load_methodE3ELS4_3ELS4_3ELNS0_20block_scan_algorithmE0ELj4294967295EEENS1_25partition_config_selectorILNS1_17partition_subalgoE4EjNS0_10empty_typeEbEEZZNS1_14partition_implILS8_4ELb0ES6_15HIP_vector_typeIjLj2EENS0_17counting_iteratorIjlEEPS9_SG_NS0_5tupleIJPjSI_NS0_16reverse_iteratorISI_EEEEENSH_IJSG_SG_SG_EEES9_SI_JZNS1_25segmented_radix_sort_implINS0_14default_configELb0EPKiPiPKlPlN2at6native12_GLOBAL__N_18offset_tEEE10hipError_tPvRmT1_PNSt15iterator_traitsIS12_E10value_typeET2_T3_PNS13_IS18_E10value_typeET4_jRbjT5_S1E_jjP12ihipStream_tbEUljE_ZNSN_ISO_Lb0ESQ_SR_ST_SU_SY_EESZ_S10_S11_S12_S16_S17_S18_S1B_S1C_jS1D_jS1E_S1E_jjS1G_bEUljE0_EEESZ_S10_S11_S18_S1C_S1E_T6_T7_T9_mT8_S1G_bDpT10_ENKUlT_T0_E_clISt17integral_constantIbLb1EES1U_EEDaS1P_S1Q_EUlS1P_E_NS1_11comp_targetILNS1_3genE3ELNS1_11target_archE908ELNS1_3gpuE7ELNS1_3repE0EEENS1_30default_config_static_selectorELNS0_4arch9wavefront6targetE1EEEvS12_,@function
_ZN7rocprim17ROCPRIM_400000_NS6detail17trampoline_kernelINS0_13select_configILj256ELj13ELNS0_17block_load_methodE3ELS4_3ELS4_3ELNS0_20block_scan_algorithmE0ELj4294967295EEENS1_25partition_config_selectorILNS1_17partition_subalgoE4EjNS0_10empty_typeEbEEZZNS1_14partition_implILS8_4ELb0ES6_15HIP_vector_typeIjLj2EENS0_17counting_iteratorIjlEEPS9_SG_NS0_5tupleIJPjSI_NS0_16reverse_iteratorISI_EEEEENSH_IJSG_SG_SG_EEES9_SI_JZNS1_25segmented_radix_sort_implINS0_14default_configELb0EPKiPiPKlPlN2at6native12_GLOBAL__N_18offset_tEEE10hipError_tPvRmT1_PNSt15iterator_traitsIS12_E10value_typeET2_T3_PNS13_IS18_E10value_typeET4_jRbjT5_S1E_jjP12ihipStream_tbEUljE_ZNSN_ISO_Lb0ESQ_SR_ST_SU_SY_EESZ_S10_S11_S12_S16_S17_S18_S1B_S1C_jS1D_jS1E_S1E_jjS1G_bEUljE0_EEESZ_S10_S11_S18_S1C_S1E_T6_T7_T9_mT8_S1G_bDpT10_ENKUlT_T0_E_clISt17integral_constantIbLb1EES1U_EEDaS1P_S1Q_EUlS1P_E_NS1_11comp_targetILNS1_3genE3ELNS1_11target_archE908ELNS1_3gpuE7ELNS1_3repE0EEENS1_30default_config_static_selectorELNS0_4arch9wavefront6targetE1EEEvS12_: ; @_ZN7rocprim17ROCPRIM_400000_NS6detail17trampoline_kernelINS0_13select_configILj256ELj13ELNS0_17block_load_methodE3ELS4_3ELS4_3ELNS0_20block_scan_algorithmE0ELj4294967295EEENS1_25partition_config_selectorILNS1_17partition_subalgoE4EjNS0_10empty_typeEbEEZZNS1_14partition_implILS8_4ELb0ES6_15HIP_vector_typeIjLj2EENS0_17counting_iteratorIjlEEPS9_SG_NS0_5tupleIJPjSI_NS0_16reverse_iteratorISI_EEEEENSH_IJSG_SG_SG_EEES9_SI_JZNS1_25segmented_radix_sort_implINS0_14default_configELb0EPKiPiPKlPlN2at6native12_GLOBAL__N_18offset_tEEE10hipError_tPvRmT1_PNSt15iterator_traitsIS12_E10value_typeET2_T3_PNS13_IS18_E10value_typeET4_jRbjT5_S1E_jjP12ihipStream_tbEUljE_ZNSN_ISO_Lb0ESQ_SR_ST_SU_SY_EESZ_S10_S11_S12_S16_S17_S18_S1B_S1C_jS1D_jS1E_S1E_jjS1G_bEUljE0_EEESZ_S10_S11_S18_S1C_S1E_T6_T7_T9_mT8_S1G_bDpT10_ENKUlT_T0_E_clISt17integral_constantIbLb1EES1U_EEDaS1P_S1Q_EUlS1P_E_NS1_11comp_targetILNS1_3genE3ELNS1_11target_archE908ELNS1_3gpuE7ELNS1_3repE0EEENS1_30default_config_static_selectorELNS0_4arch9wavefront6targetE1EEEvS12_
; %bb.0:
	.section	.rodata,"a",@progbits
	.p2align	6, 0x0
	.amdhsa_kernel _ZN7rocprim17ROCPRIM_400000_NS6detail17trampoline_kernelINS0_13select_configILj256ELj13ELNS0_17block_load_methodE3ELS4_3ELS4_3ELNS0_20block_scan_algorithmE0ELj4294967295EEENS1_25partition_config_selectorILNS1_17partition_subalgoE4EjNS0_10empty_typeEbEEZZNS1_14partition_implILS8_4ELb0ES6_15HIP_vector_typeIjLj2EENS0_17counting_iteratorIjlEEPS9_SG_NS0_5tupleIJPjSI_NS0_16reverse_iteratorISI_EEEEENSH_IJSG_SG_SG_EEES9_SI_JZNS1_25segmented_radix_sort_implINS0_14default_configELb0EPKiPiPKlPlN2at6native12_GLOBAL__N_18offset_tEEE10hipError_tPvRmT1_PNSt15iterator_traitsIS12_E10value_typeET2_T3_PNS13_IS18_E10value_typeET4_jRbjT5_S1E_jjP12ihipStream_tbEUljE_ZNSN_ISO_Lb0ESQ_SR_ST_SU_SY_EESZ_S10_S11_S12_S16_S17_S18_S1B_S1C_jS1D_jS1E_S1E_jjS1G_bEUljE0_EEESZ_S10_S11_S18_S1C_S1E_T6_T7_T9_mT8_S1G_bDpT10_ENKUlT_T0_E_clISt17integral_constantIbLb1EES1U_EEDaS1P_S1Q_EUlS1P_E_NS1_11comp_targetILNS1_3genE3ELNS1_11target_archE908ELNS1_3gpuE7ELNS1_3repE0EEENS1_30default_config_static_selectorELNS0_4arch9wavefront6targetE1EEEvS12_
		.amdhsa_group_segment_fixed_size 0
		.amdhsa_private_segment_fixed_size 0
		.amdhsa_kernarg_size 184
		.amdhsa_user_sgpr_count 6
		.amdhsa_user_sgpr_private_segment_buffer 1
		.amdhsa_user_sgpr_dispatch_ptr 0
		.amdhsa_user_sgpr_queue_ptr 0
		.amdhsa_user_sgpr_kernarg_segment_ptr 1
		.amdhsa_user_sgpr_dispatch_id 0
		.amdhsa_user_sgpr_flat_scratch_init 0
		.amdhsa_user_sgpr_private_segment_size 0
		.amdhsa_uses_dynamic_stack 0
		.amdhsa_system_sgpr_private_segment_wavefront_offset 0
		.amdhsa_system_sgpr_workgroup_id_x 1
		.amdhsa_system_sgpr_workgroup_id_y 0
		.amdhsa_system_sgpr_workgroup_id_z 0
		.amdhsa_system_sgpr_workgroup_info 0
		.amdhsa_system_vgpr_workitem_id 0
		.amdhsa_next_free_vgpr 1
		.amdhsa_next_free_sgpr 0
		.amdhsa_reserve_vcc 0
		.amdhsa_reserve_flat_scratch 0
		.amdhsa_float_round_mode_32 0
		.amdhsa_float_round_mode_16_64 0
		.amdhsa_float_denorm_mode_32 3
		.amdhsa_float_denorm_mode_16_64 3
		.amdhsa_dx10_clamp 1
		.amdhsa_ieee_mode 1
		.amdhsa_fp16_overflow 0
		.amdhsa_exception_fp_ieee_invalid_op 0
		.amdhsa_exception_fp_denorm_src 0
		.amdhsa_exception_fp_ieee_div_zero 0
		.amdhsa_exception_fp_ieee_overflow 0
		.amdhsa_exception_fp_ieee_underflow 0
		.amdhsa_exception_fp_ieee_inexact 0
		.amdhsa_exception_int_div_zero 0
	.end_amdhsa_kernel
	.section	.text._ZN7rocprim17ROCPRIM_400000_NS6detail17trampoline_kernelINS0_13select_configILj256ELj13ELNS0_17block_load_methodE3ELS4_3ELS4_3ELNS0_20block_scan_algorithmE0ELj4294967295EEENS1_25partition_config_selectorILNS1_17partition_subalgoE4EjNS0_10empty_typeEbEEZZNS1_14partition_implILS8_4ELb0ES6_15HIP_vector_typeIjLj2EENS0_17counting_iteratorIjlEEPS9_SG_NS0_5tupleIJPjSI_NS0_16reverse_iteratorISI_EEEEENSH_IJSG_SG_SG_EEES9_SI_JZNS1_25segmented_radix_sort_implINS0_14default_configELb0EPKiPiPKlPlN2at6native12_GLOBAL__N_18offset_tEEE10hipError_tPvRmT1_PNSt15iterator_traitsIS12_E10value_typeET2_T3_PNS13_IS18_E10value_typeET4_jRbjT5_S1E_jjP12ihipStream_tbEUljE_ZNSN_ISO_Lb0ESQ_SR_ST_SU_SY_EESZ_S10_S11_S12_S16_S17_S18_S1B_S1C_jS1D_jS1E_S1E_jjS1G_bEUljE0_EEESZ_S10_S11_S18_S1C_S1E_T6_T7_T9_mT8_S1G_bDpT10_ENKUlT_T0_E_clISt17integral_constantIbLb1EES1U_EEDaS1P_S1Q_EUlS1P_E_NS1_11comp_targetILNS1_3genE3ELNS1_11target_archE908ELNS1_3gpuE7ELNS1_3repE0EEENS1_30default_config_static_selectorELNS0_4arch9wavefront6targetE1EEEvS12_,"axG",@progbits,_ZN7rocprim17ROCPRIM_400000_NS6detail17trampoline_kernelINS0_13select_configILj256ELj13ELNS0_17block_load_methodE3ELS4_3ELS4_3ELNS0_20block_scan_algorithmE0ELj4294967295EEENS1_25partition_config_selectorILNS1_17partition_subalgoE4EjNS0_10empty_typeEbEEZZNS1_14partition_implILS8_4ELb0ES6_15HIP_vector_typeIjLj2EENS0_17counting_iteratorIjlEEPS9_SG_NS0_5tupleIJPjSI_NS0_16reverse_iteratorISI_EEEEENSH_IJSG_SG_SG_EEES9_SI_JZNS1_25segmented_radix_sort_implINS0_14default_configELb0EPKiPiPKlPlN2at6native12_GLOBAL__N_18offset_tEEE10hipError_tPvRmT1_PNSt15iterator_traitsIS12_E10value_typeET2_T3_PNS13_IS18_E10value_typeET4_jRbjT5_S1E_jjP12ihipStream_tbEUljE_ZNSN_ISO_Lb0ESQ_SR_ST_SU_SY_EESZ_S10_S11_S12_S16_S17_S18_S1B_S1C_jS1D_jS1E_S1E_jjS1G_bEUljE0_EEESZ_S10_S11_S18_S1C_S1E_T6_T7_T9_mT8_S1G_bDpT10_ENKUlT_T0_E_clISt17integral_constantIbLb1EES1U_EEDaS1P_S1Q_EUlS1P_E_NS1_11comp_targetILNS1_3genE3ELNS1_11target_archE908ELNS1_3gpuE7ELNS1_3repE0EEENS1_30default_config_static_selectorELNS0_4arch9wavefront6targetE1EEEvS12_,comdat
.Lfunc_end547:
	.size	_ZN7rocprim17ROCPRIM_400000_NS6detail17trampoline_kernelINS0_13select_configILj256ELj13ELNS0_17block_load_methodE3ELS4_3ELS4_3ELNS0_20block_scan_algorithmE0ELj4294967295EEENS1_25partition_config_selectorILNS1_17partition_subalgoE4EjNS0_10empty_typeEbEEZZNS1_14partition_implILS8_4ELb0ES6_15HIP_vector_typeIjLj2EENS0_17counting_iteratorIjlEEPS9_SG_NS0_5tupleIJPjSI_NS0_16reverse_iteratorISI_EEEEENSH_IJSG_SG_SG_EEES9_SI_JZNS1_25segmented_radix_sort_implINS0_14default_configELb0EPKiPiPKlPlN2at6native12_GLOBAL__N_18offset_tEEE10hipError_tPvRmT1_PNSt15iterator_traitsIS12_E10value_typeET2_T3_PNS13_IS18_E10value_typeET4_jRbjT5_S1E_jjP12ihipStream_tbEUljE_ZNSN_ISO_Lb0ESQ_SR_ST_SU_SY_EESZ_S10_S11_S12_S16_S17_S18_S1B_S1C_jS1D_jS1E_S1E_jjS1G_bEUljE0_EEESZ_S10_S11_S18_S1C_S1E_T6_T7_T9_mT8_S1G_bDpT10_ENKUlT_T0_E_clISt17integral_constantIbLb1EES1U_EEDaS1P_S1Q_EUlS1P_E_NS1_11comp_targetILNS1_3genE3ELNS1_11target_archE908ELNS1_3gpuE7ELNS1_3repE0EEENS1_30default_config_static_selectorELNS0_4arch9wavefront6targetE1EEEvS12_, .Lfunc_end547-_ZN7rocprim17ROCPRIM_400000_NS6detail17trampoline_kernelINS0_13select_configILj256ELj13ELNS0_17block_load_methodE3ELS4_3ELS4_3ELNS0_20block_scan_algorithmE0ELj4294967295EEENS1_25partition_config_selectorILNS1_17partition_subalgoE4EjNS0_10empty_typeEbEEZZNS1_14partition_implILS8_4ELb0ES6_15HIP_vector_typeIjLj2EENS0_17counting_iteratorIjlEEPS9_SG_NS0_5tupleIJPjSI_NS0_16reverse_iteratorISI_EEEEENSH_IJSG_SG_SG_EEES9_SI_JZNS1_25segmented_radix_sort_implINS0_14default_configELb0EPKiPiPKlPlN2at6native12_GLOBAL__N_18offset_tEEE10hipError_tPvRmT1_PNSt15iterator_traitsIS12_E10value_typeET2_T3_PNS13_IS18_E10value_typeET4_jRbjT5_S1E_jjP12ihipStream_tbEUljE_ZNSN_ISO_Lb0ESQ_SR_ST_SU_SY_EESZ_S10_S11_S12_S16_S17_S18_S1B_S1C_jS1D_jS1E_S1E_jjS1G_bEUljE0_EEESZ_S10_S11_S18_S1C_S1E_T6_T7_T9_mT8_S1G_bDpT10_ENKUlT_T0_E_clISt17integral_constantIbLb1EES1U_EEDaS1P_S1Q_EUlS1P_E_NS1_11comp_targetILNS1_3genE3ELNS1_11target_archE908ELNS1_3gpuE7ELNS1_3repE0EEENS1_30default_config_static_selectorELNS0_4arch9wavefront6targetE1EEEvS12_
                                        ; -- End function
	.set _ZN7rocprim17ROCPRIM_400000_NS6detail17trampoline_kernelINS0_13select_configILj256ELj13ELNS0_17block_load_methodE3ELS4_3ELS4_3ELNS0_20block_scan_algorithmE0ELj4294967295EEENS1_25partition_config_selectorILNS1_17partition_subalgoE4EjNS0_10empty_typeEbEEZZNS1_14partition_implILS8_4ELb0ES6_15HIP_vector_typeIjLj2EENS0_17counting_iteratorIjlEEPS9_SG_NS0_5tupleIJPjSI_NS0_16reverse_iteratorISI_EEEEENSH_IJSG_SG_SG_EEES9_SI_JZNS1_25segmented_radix_sort_implINS0_14default_configELb0EPKiPiPKlPlN2at6native12_GLOBAL__N_18offset_tEEE10hipError_tPvRmT1_PNSt15iterator_traitsIS12_E10value_typeET2_T3_PNS13_IS18_E10value_typeET4_jRbjT5_S1E_jjP12ihipStream_tbEUljE_ZNSN_ISO_Lb0ESQ_SR_ST_SU_SY_EESZ_S10_S11_S12_S16_S17_S18_S1B_S1C_jS1D_jS1E_S1E_jjS1G_bEUljE0_EEESZ_S10_S11_S18_S1C_S1E_T6_T7_T9_mT8_S1G_bDpT10_ENKUlT_T0_E_clISt17integral_constantIbLb1EES1U_EEDaS1P_S1Q_EUlS1P_E_NS1_11comp_targetILNS1_3genE3ELNS1_11target_archE908ELNS1_3gpuE7ELNS1_3repE0EEENS1_30default_config_static_selectorELNS0_4arch9wavefront6targetE1EEEvS12_.num_vgpr, 0
	.set _ZN7rocprim17ROCPRIM_400000_NS6detail17trampoline_kernelINS0_13select_configILj256ELj13ELNS0_17block_load_methodE3ELS4_3ELS4_3ELNS0_20block_scan_algorithmE0ELj4294967295EEENS1_25partition_config_selectorILNS1_17partition_subalgoE4EjNS0_10empty_typeEbEEZZNS1_14partition_implILS8_4ELb0ES6_15HIP_vector_typeIjLj2EENS0_17counting_iteratorIjlEEPS9_SG_NS0_5tupleIJPjSI_NS0_16reverse_iteratorISI_EEEEENSH_IJSG_SG_SG_EEES9_SI_JZNS1_25segmented_radix_sort_implINS0_14default_configELb0EPKiPiPKlPlN2at6native12_GLOBAL__N_18offset_tEEE10hipError_tPvRmT1_PNSt15iterator_traitsIS12_E10value_typeET2_T3_PNS13_IS18_E10value_typeET4_jRbjT5_S1E_jjP12ihipStream_tbEUljE_ZNSN_ISO_Lb0ESQ_SR_ST_SU_SY_EESZ_S10_S11_S12_S16_S17_S18_S1B_S1C_jS1D_jS1E_S1E_jjS1G_bEUljE0_EEESZ_S10_S11_S18_S1C_S1E_T6_T7_T9_mT8_S1G_bDpT10_ENKUlT_T0_E_clISt17integral_constantIbLb1EES1U_EEDaS1P_S1Q_EUlS1P_E_NS1_11comp_targetILNS1_3genE3ELNS1_11target_archE908ELNS1_3gpuE7ELNS1_3repE0EEENS1_30default_config_static_selectorELNS0_4arch9wavefront6targetE1EEEvS12_.num_agpr, 0
	.set _ZN7rocprim17ROCPRIM_400000_NS6detail17trampoline_kernelINS0_13select_configILj256ELj13ELNS0_17block_load_methodE3ELS4_3ELS4_3ELNS0_20block_scan_algorithmE0ELj4294967295EEENS1_25partition_config_selectorILNS1_17partition_subalgoE4EjNS0_10empty_typeEbEEZZNS1_14partition_implILS8_4ELb0ES6_15HIP_vector_typeIjLj2EENS0_17counting_iteratorIjlEEPS9_SG_NS0_5tupleIJPjSI_NS0_16reverse_iteratorISI_EEEEENSH_IJSG_SG_SG_EEES9_SI_JZNS1_25segmented_radix_sort_implINS0_14default_configELb0EPKiPiPKlPlN2at6native12_GLOBAL__N_18offset_tEEE10hipError_tPvRmT1_PNSt15iterator_traitsIS12_E10value_typeET2_T3_PNS13_IS18_E10value_typeET4_jRbjT5_S1E_jjP12ihipStream_tbEUljE_ZNSN_ISO_Lb0ESQ_SR_ST_SU_SY_EESZ_S10_S11_S12_S16_S17_S18_S1B_S1C_jS1D_jS1E_S1E_jjS1G_bEUljE0_EEESZ_S10_S11_S18_S1C_S1E_T6_T7_T9_mT8_S1G_bDpT10_ENKUlT_T0_E_clISt17integral_constantIbLb1EES1U_EEDaS1P_S1Q_EUlS1P_E_NS1_11comp_targetILNS1_3genE3ELNS1_11target_archE908ELNS1_3gpuE7ELNS1_3repE0EEENS1_30default_config_static_selectorELNS0_4arch9wavefront6targetE1EEEvS12_.numbered_sgpr, 0
	.set _ZN7rocprim17ROCPRIM_400000_NS6detail17trampoline_kernelINS0_13select_configILj256ELj13ELNS0_17block_load_methodE3ELS4_3ELS4_3ELNS0_20block_scan_algorithmE0ELj4294967295EEENS1_25partition_config_selectorILNS1_17partition_subalgoE4EjNS0_10empty_typeEbEEZZNS1_14partition_implILS8_4ELb0ES6_15HIP_vector_typeIjLj2EENS0_17counting_iteratorIjlEEPS9_SG_NS0_5tupleIJPjSI_NS0_16reverse_iteratorISI_EEEEENSH_IJSG_SG_SG_EEES9_SI_JZNS1_25segmented_radix_sort_implINS0_14default_configELb0EPKiPiPKlPlN2at6native12_GLOBAL__N_18offset_tEEE10hipError_tPvRmT1_PNSt15iterator_traitsIS12_E10value_typeET2_T3_PNS13_IS18_E10value_typeET4_jRbjT5_S1E_jjP12ihipStream_tbEUljE_ZNSN_ISO_Lb0ESQ_SR_ST_SU_SY_EESZ_S10_S11_S12_S16_S17_S18_S1B_S1C_jS1D_jS1E_S1E_jjS1G_bEUljE0_EEESZ_S10_S11_S18_S1C_S1E_T6_T7_T9_mT8_S1G_bDpT10_ENKUlT_T0_E_clISt17integral_constantIbLb1EES1U_EEDaS1P_S1Q_EUlS1P_E_NS1_11comp_targetILNS1_3genE3ELNS1_11target_archE908ELNS1_3gpuE7ELNS1_3repE0EEENS1_30default_config_static_selectorELNS0_4arch9wavefront6targetE1EEEvS12_.num_named_barrier, 0
	.set _ZN7rocprim17ROCPRIM_400000_NS6detail17trampoline_kernelINS0_13select_configILj256ELj13ELNS0_17block_load_methodE3ELS4_3ELS4_3ELNS0_20block_scan_algorithmE0ELj4294967295EEENS1_25partition_config_selectorILNS1_17partition_subalgoE4EjNS0_10empty_typeEbEEZZNS1_14partition_implILS8_4ELb0ES6_15HIP_vector_typeIjLj2EENS0_17counting_iteratorIjlEEPS9_SG_NS0_5tupleIJPjSI_NS0_16reverse_iteratorISI_EEEEENSH_IJSG_SG_SG_EEES9_SI_JZNS1_25segmented_radix_sort_implINS0_14default_configELb0EPKiPiPKlPlN2at6native12_GLOBAL__N_18offset_tEEE10hipError_tPvRmT1_PNSt15iterator_traitsIS12_E10value_typeET2_T3_PNS13_IS18_E10value_typeET4_jRbjT5_S1E_jjP12ihipStream_tbEUljE_ZNSN_ISO_Lb0ESQ_SR_ST_SU_SY_EESZ_S10_S11_S12_S16_S17_S18_S1B_S1C_jS1D_jS1E_S1E_jjS1G_bEUljE0_EEESZ_S10_S11_S18_S1C_S1E_T6_T7_T9_mT8_S1G_bDpT10_ENKUlT_T0_E_clISt17integral_constantIbLb1EES1U_EEDaS1P_S1Q_EUlS1P_E_NS1_11comp_targetILNS1_3genE3ELNS1_11target_archE908ELNS1_3gpuE7ELNS1_3repE0EEENS1_30default_config_static_selectorELNS0_4arch9wavefront6targetE1EEEvS12_.private_seg_size, 0
	.set _ZN7rocprim17ROCPRIM_400000_NS6detail17trampoline_kernelINS0_13select_configILj256ELj13ELNS0_17block_load_methodE3ELS4_3ELS4_3ELNS0_20block_scan_algorithmE0ELj4294967295EEENS1_25partition_config_selectorILNS1_17partition_subalgoE4EjNS0_10empty_typeEbEEZZNS1_14partition_implILS8_4ELb0ES6_15HIP_vector_typeIjLj2EENS0_17counting_iteratorIjlEEPS9_SG_NS0_5tupleIJPjSI_NS0_16reverse_iteratorISI_EEEEENSH_IJSG_SG_SG_EEES9_SI_JZNS1_25segmented_radix_sort_implINS0_14default_configELb0EPKiPiPKlPlN2at6native12_GLOBAL__N_18offset_tEEE10hipError_tPvRmT1_PNSt15iterator_traitsIS12_E10value_typeET2_T3_PNS13_IS18_E10value_typeET4_jRbjT5_S1E_jjP12ihipStream_tbEUljE_ZNSN_ISO_Lb0ESQ_SR_ST_SU_SY_EESZ_S10_S11_S12_S16_S17_S18_S1B_S1C_jS1D_jS1E_S1E_jjS1G_bEUljE0_EEESZ_S10_S11_S18_S1C_S1E_T6_T7_T9_mT8_S1G_bDpT10_ENKUlT_T0_E_clISt17integral_constantIbLb1EES1U_EEDaS1P_S1Q_EUlS1P_E_NS1_11comp_targetILNS1_3genE3ELNS1_11target_archE908ELNS1_3gpuE7ELNS1_3repE0EEENS1_30default_config_static_selectorELNS0_4arch9wavefront6targetE1EEEvS12_.uses_vcc, 0
	.set _ZN7rocprim17ROCPRIM_400000_NS6detail17trampoline_kernelINS0_13select_configILj256ELj13ELNS0_17block_load_methodE3ELS4_3ELS4_3ELNS0_20block_scan_algorithmE0ELj4294967295EEENS1_25partition_config_selectorILNS1_17partition_subalgoE4EjNS0_10empty_typeEbEEZZNS1_14partition_implILS8_4ELb0ES6_15HIP_vector_typeIjLj2EENS0_17counting_iteratorIjlEEPS9_SG_NS0_5tupleIJPjSI_NS0_16reverse_iteratorISI_EEEEENSH_IJSG_SG_SG_EEES9_SI_JZNS1_25segmented_radix_sort_implINS0_14default_configELb0EPKiPiPKlPlN2at6native12_GLOBAL__N_18offset_tEEE10hipError_tPvRmT1_PNSt15iterator_traitsIS12_E10value_typeET2_T3_PNS13_IS18_E10value_typeET4_jRbjT5_S1E_jjP12ihipStream_tbEUljE_ZNSN_ISO_Lb0ESQ_SR_ST_SU_SY_EESZ_S10_S11_S12_S16_S17_S18_S1B_S1C_jS1D_jS1E_S1E_jjS1G_bEUljE0_EEESZ_S10_S11_S18_S1C_S1E_T6_T7_T9_mT8_S1G_bDpT10_ENKUlT_T0_E_clISt17integral_constantIbLb1EES1U_EEDaS1P_S1Q_EUlS1P_E_NS1_11comp_targetILNS1_3genE3ELNS1_11target_archE908ELNS1_3gpuE7ELNS1_3repE0EEENS1_30default_config_static_selectorELNS0_4arch9wavefront6targetE1EEEvS12_.uses_flat_scratch, 0
	.set _ZN7rocprim17ROCPRIM_400000_NS6detail17trampoline_kernelINS0_13select_configILj256ELj13ELNS0_17block_load_methodE3ELS4_3ELS4_3ELNS0_20block_scan_algorithmE0ELj4294967295EEENS1_25partition_config_selectorILNS1_17partition_subalgoE4EjNS0_10empty_typeEbEEZZNS1_14partition_implILS8_4ELb0ES6_15HIP_vector_typeIjLj2EENS0_17counting_iteratorIjlEEPS9_SG_NS0_5tupleIJPjSI_NS0_16reverse_iteratorISI_EEEEENSH_IJSG_SG_SG_EEES9_SI_JZNS1_25segmented_radix_sort_implINS0_14default_configELb0EPKiPiPKlPlN2at6native12_GLOBAL__N_18offset_tEEE10hipError_tPvRmT1_PNSt15iterator_traitsIS12_E10value_typeET2_T3_PNS13_IS18_E10value_typeET4_jRbjT5_S1E_jjP12ihipStream_tbEUljE_ZNSN_ISO_Lb0ESQ_SR_ST_SU_SY_EESZ_S10_S11_S12_S16_S17_S18_S1B_S1C_jS1D_jS1E_S1E_jjS1G_bEUljE0_EEESZ_S10_S11_S18_S1C_S1E_T6_T7_T9_mT8_S1G_bDpT10_ENKUlT_T0_E_clISt17integral_constantIbLb1EES1U_EEDaS1P_S1Q_EUlS1P_E_NS1_11comp_targetILNS1_3genE3ELNS1_11target_archE908ELNS1_3gpuE7ELNS1_3repE0EEENS1_30default_config_static_selectorELNS0_4arch9wavefront6targetE1EEEvS12_.has_dyn_sized_stack, 0
	.set _ZN7rocprim17ROCPRIM_400000_NS6detail17trampoline_kernelINS0_13select_configILj256ELj13ELNS0_17block_load_methodE3ELS4_3ELS4_3ELNS0_20block_scan_algorithmE0ELj4294967295EEENS1_25partition_config_selectorILNS1_17partition_subalgoE4EjNS0_10empty_typeEbEEZZNS1_14partition_implILS8_4ELb0ES6_15HIP_vector_typeIjLj2EENS0_17counting_iteratorIjlEEPS9_SG_NS0_5tupleIJPjSI_NS0_16reverse_iteratorISI_EEEEENSH_IJSG_SG_SG_EEES9_SI_JZNS1_25segmented_radix_sort_implINS0_14default_configELb0EPKiPiPKlPlN2at6native12_GLOBAL__N_18offset_tEEE10hipError_tPvRmT1_PNSt15iterator_traitsIS12_E10value_typeET2_T3_PNS13_IS18_E10value_typeET4_jRbjT5_S1E_jjP12ihipStream_tbEUljE_ZNSN_ISO_Lb0ESQ_SR_ST_SU_SY_EESZ_S10_S11_S12_S16_S17_S18_S1B_S1C_jS1D_jS1E_S1E_jjS1G_bEUljE0_EEESZ_S10_S11_S18_S1C_S1E_T6_T7_T9_mT8_S1G_bDpT10_ENKUlT_T0_E_clISt17integral_constantIbLb1EES1U_EEDaS1P_S1Q_EUlS1P_E_NS1_11comp_targetILNS1_3genE3ELNS1_11target_archE908ELNS1_3gpuE7ELNS1_3repE0EEENS1_30default_config_static_selectorELNS0_4arch9wavefront6targetE1EEEvS12_.has_recursion, 0
	.set _ZN7rocprim17ROCPRIM_400000_NS6detail17trampoline_kernelINS0_13select_configILj256ELj13ELNS0_17block_load_methodE3ELS4_3ELS4_3ELNS0_20block_scan_algorithmE0ELj4294967295EEENS1_25partition_config_selectorILNS1_17partition_subalgoE4EjNS0_10empty_typeEbEEZZNS1_14partition_implILS8_4ELb0ES6_15HIP_vector_typeIjLj2EENS0_17counting_iteratorIjlEEPS9_SG_NS0_5tupleIJPjSI_NS0_16reverse_iteratorISI_EEEEENSH_IJSG_SG_SG_EEES9_SI_JZNS1_25segmented_radix_sort_implINS0_14default_configELb0EPKiPiPKlPlN2at6native12_GLOBAL__N_18offset_tEEE10hipError_tPvRmT1_PNSt15iterator_traitsIS12_E10value_typeET2_T3_PNS13_IS18_E10value_typeET4_jRbjT5_S1E_jjP12ihipStream_tbEUljE_ZNSN_ISO_Lb0ESQ_SR_ST_SU_SY_EESZ_S10_S11_S12_S16_S17_S18_S1B_S1C_jS1D_jS1E_S1E_jjS1G_bEUljE0_EEESZ_S10_S11_S18_S1C_S1E_T6_T7_T9_mT8_S1G_bDpT10_ENKUlT_T0_E_clISt17integral_constantIbLb1EES1U_EEDaS1P_S1Q_EUlS1P_E_NS1_11comp_targetILNS1_3genE3ELNS1_11target_archE908ELNS1_3gpuE7ELNS1_3repE0EEENS1_30default_config_static_selectorELNS0_4arch9wavefront6targetE1EEEvS12_.has_indirect_call, 0
	.section	.AMDGPU.csdata,"",@progbits
; Kernel info:
; codeLenInByte = 0
; TotalNumSgprs: 4
; NumVgprs: 0
; ScratchSize: 0
; MemoryBound: 0
; FloatMode: 240
; IeeeMode: 1
; LDSByteSize: 0 bytes/workgroup (compile time only)
; SGPRBlocks: 0
; VGPRBlocks: 0
; NumSGPRsForWavesPerEU: 4
; NumVGPRsForWavesPerEU: 1
; Occupancy: 10
; WaveLimiterHint : 0
; COMPUTE_PGM_RSRC2:SCRATCH_EN: 0
; COMPUTE_PGM_RSRC2:USER_SGPR: 6
; COMPUTE_PGM_RSRC2:TRAP_HANDLER: 0
; COMPUTE_PGM_RSRC2:TGID_X_EN: 1
; COMPUTE_PGM_RSRC2:TGID_Y_EN: 0
; COMPUTE_PGM_RSRC2:TGID_Z_EN: 0
; COMPUTE_PGM_RSRC2:TIDIG_COMP_CNT: 0
	.section	.text._ZN7rocprim17ROCPRIM_400000_NS6detail17trampoline_kernelINS0_13select_configILj256ELj13ELNS0_17block_load_methodE3ELS4_3ELS4_3ELNS0_20block_scan_algorithmE0ELj4294967295EEENS1_25partition_config_selectorILNS1_17partition_subalgoE4EjNS0_10empty_typeEbEEZZNS1_14partition_implILS8_4ELb0ES6_15HIP_vector_typeIjLj2EENS0_17counting_iteratorIjlEEPS9_SG_NS0_5tupleIJPjSI_NS0_16reverse_iteratorISI_EEEEENSH_IJSG_SG_SG_EEES9_SI_JZNS1_25segmented_radix_sort_implINS0_14default_configELb0EPKiPiPKlPlN2at6native12_GLOBAL__N_18offset_tEEE10hipError_tPvRmT1_PNSt15iterator_traitsIS12_E10value_typeET2_T3_PNS13_IS18_E10value_typeET4_jRbjT5_S1E_jjP12ihipStream_tbEUljE_ZNSN_ISO_Lb0ESQ_SR_ST_SU_SY_EESZ_S10_S11_S12_S16_S17_S18_S1B_S1C_jS1D_jS1E_S1E_jjS1G_bEUljE0_EEESZ_S10_S11_S18_S1C_S1E_T6_T7_T9_mT8_S1G_bDpT10_ENKUlT_T0_E_clISt17integral_constantIbLb1EES1U_EEDaS1P_S1Q_EUlS1P_E_NS1_11comp_targetILNS1_3genE2ELNS1_11target_archE906ELNS1_3gpuE6ELNS1_3repE0EEENS1_30default_config_static_selectorELNS0_4arch9wavefront6targetE1EEEvS12_,"axG",@progbits,_ZN7rocprim17ROCPRIM_400000_NS6detail17trampoline_kernelINS0_13select_configILj256ELj13ELNS0_17block_load_methodE3ELS4_3ELS4_3ELNS0_20block_scan_algorithmE0ELj4294967295EEENS1_25partition_config_selectorILNS1_17partition_subalgoE4EjNS0_10empty_typeEbEEZZNS1_14partition_implILS8_4ELb0ES6_15HIP_vector_typeIjLj2EENS0_17counting_iteratorIjlEEPS9_SG_NS0_5tupleIJPjSI_NS0_16reverse_iteratorISI_EEEEENSH_IJSG_SG_SG_EEES9_SI_JZNS1_25segmented_radix_sort_implINS0_14default_configELb0EPKiPiPKlPlN2at6native12_GLOBAL__N_18offset_tEEE10hipError_tPvRmT1_PNSt15iterator_traitsIS12_E10value_typeET2_T3_PNS13_IS18_E10value_typeET4_jRbjT5_S1E_jjP12ihipStream_tbEUljE_ZNSN_ISO_Lb0ESQ_SR_ST_SU_SY_EESZ_S10_S11_S12_S16_S17_S18_S1B_S1C_jS1D_jS1E_S1E_jjS1G_bEUljE0_EEESZ_S10_S11_S18_S1C_S1E_T6_T7_T9_mT8_S1G_bDpT10_ENKUlT_T0_E_clISt17integral_constantIbLb1EES1U_EEDaS1P_S1Q_EUlS1P_E_NS1_11comp_targetILNS1_3genE2ELNS1_11target_archE906ELNS1_3gpuE6ELNS1_3repE0EEENS1_30default_config_static_selectorELNS0_4arch9wavefront6targetE1EEEvS12_,comdat
	.globl	_ZN7rocprim17ROCPRIM_400000_NS6detail17trampoline_kernelINS0_13select_configILj256ELj13ELNS0_17block_load_methodE3ELS4_3ELS4_3ELNS0_20block_scan_algorithmE0ELj4294967295EEENS1_25partition_config_selectorILNS1_17partition_subalgoE4EjNS0_10empty_typeEbEEZZNS1_14partition_implILS8_4ELb0ES6_15HIP_vector_typeIjLj2EENS0_17counting_iteratorIjlEEPS9_SG_NS0_5tupleIJPjSI_NS0_16reverse_iteratorISI_EEEEENSH_IJSG_SG_SG_EEES9_SI_JZNS1_25segmented_radix_sort_implINS0_14default_configELb0EPKiPiPKlPlN2at6native12_GLOBAL__N_18offset_tEEE10hipError_tPvRmT1_PNSt15iterator_traitsIS12_E10value_typeET2_T3_PNS13_IS18_E10value_typeET4_jRbjT5_S1E_jjP12ihipStream_tbEUljE_ZNSN_ISO_Lb0ESQ_SR_ST_SU_SY_EESZ_S10_S11_S12_S16_S17_S18_S1B_S1C_jS1D_jS1E_S1E_jjS1G_bEUljE0_EEESZ_S10_S11_S18_S1C_S1E_T6_T7_T9_mT8_S1G_bDpT10_ENKUlT_T0_E_clISt17integral_constantIbLb1EES1U_EEDaS1P_S1Q_EUlS1P_E_NS1_11comp_targetILNS1_3genE2ELNS1_11target_archE906ELNS1_3gpuE6ELNS1_3repE0EEENS1_30default_config_static_selectorELNS0_4arch9wavefront6targetE1EEEvS12_ ; -- Begin function _ZN7rocprim17ROCPRIM_400000_NS6detail17trampoline_kernelINS0_13select_configILj256ELj13ELNS0_17block_load_methodE3ELS4_3ELS4_3ELNS0_20block_scan_algorithmE0ELj4294967295EEENS1_25partition_config_selectorILNS1_17partition_subalgoE4EjNS0_10empty_typeEbEEZZNS1_14partition_implILS8_4ELb0ES6_15HIP_vector_typeIjLj2EENS0_17counting_iteratorIjlEEPS9_SG_NS0_5tupleIJPjSI_NS0_16reverse_iteratorISI_EEEEENSH_IJSG_SG_SG_EEES9_SI_JZNS1_25segmented_radix_sort_implINS0_14default_configELb0EPKiPiPKlPlN2at6native12_GLOBAL__N_18offset_tEEE10hipError_tPvRmT1_PNSt15iterator_traitsIS12_E10value_typeET2_T3_PNS13_IS18_E10value_typeET4_jRbjT5_S1E_jjP12ihipStream_tbEUljE_ZNSN_ISO_Lb0ESQ_SR_ST_SU_SY_EESZ_S10_S11_S12_S16_S17_S18_S1B_S1C_jS1D_jS1E_S1E_jjS1G_bEUljE0_EEESZ_S10_S11_S18_S1C_S1E_T6_T7_T9_mT8_S1G_bDpT10_ENKUlT_T0_E_clISt17integral_constantIbLb1EES1U_EEDaS1P_S1Q_EUlS1P_E_NS1_11comp_targetILNS1_3genE2ELNS1_11target_archE906ELNS1_3gpuE6ELNS1_3repE0EEENS1_30default_config_static_selectorELNS0_4arch9wavefront6targetE1EEEvS12_
	.p2align	8
	.type	_ZN7rocprim17ROCPRIM_400000_NS6detail17trampoline_kernelINS0_13select_configILj256ELj13ELNS0_17block_load_methodE3ELS4_3ELS4_3ELNS0_20block_scan_algorithmE0ELj4294967295EEENS1_25partition_config_selectorILNS1_17partition_subalgoE4EjNS0_10empty_typeEbEEZZNS1_14partition_implILS8_4ELb0ES6_15HIP_vector_typeIjLj2EENS0_17counting_iteratorIjlEEPS9_SG_NS0_5tupleIJPjSI_NS0_16reverse_iteratorISI_EEEEENSH_IJSG_SG_SG_EEES9_SI_JZNS1_25segmented_radix_sort_implINS0_14default_configELb0EPKiPiPKlPlN2at6native12_GLOBAL__N_18offset_tEEE10hipError_tPvRmT1_PNSt15iterator_traitsIS12_E10value_typeET2_T3_PNS13_IS18_E10value_typeET4_jRbjT5_S1E_jjP12ihipStream_tbEUljE_ZNSN_ISO_Lb0ESQ_SR_ST_SU_SY_EESZ_S10_S11_S12_S16_S17_S18_S1B_S1C_jS1D_jS1E_S1E_jjS1G_bEUljE0_EEESZ_S10_S11_S18_S1C_S1E_T6_T7_T9_mT8_S1G_bDpT10_ENKUlT_T0_E_clISt17integral_constantIbLb1EES1U_EEDaS1P_S1Q_EUlS1P_E_NS1_11comp_targetILNS1_3genE2ELNS1_11target_archE906ELNS1_3gpuE6ELNS1_3repE0EEENS1_30default_config_static_selectorELNS0_4arch9wavefront6targetE1EEEvS12_,@function
_ZN7rocprim17ROCPRIM_400000_NS6detail17trampoline_kernelINS0_13select_configILj256ELj13ELNS0_17block_load_methodE3ELS4_3ELS4_3ELNS0_20block_scan_algorithmE0ELj4294967295EEENS1_25partition_config_selectorILNS1_17partition_subalgoE4EjNS0_10empty_typeEbEEZZNS1_14partition_implILS8_4ELb0ES6_15HIP_vector_typeIjLj2EENS0_17counting_iteratorIjlEEPS9_SG_NS0_5tupleIJPjSI_NS0_16reverse_iteratorISI_EEEEENSH_IJSG_SG_SG_EEES9_SI_JZNS1_25segmented_radix_sort_implINS0_14default_configELb0EPKiPiPKlPlN2at6native12_GLOBAL__N_18offset_tEEE10hipError_tPvRmT1_PNSt15iterator_traitsIS12_E10value_typeET2_T3_PNS13_IS18_E10value_typeET4_jRbjT5_S1E_jjP12ihipStream_tbEUljE_ZNSN_ISO_Lb0ESQ_SR_ST_SU_SY_EESZ_S10_S11_S12_S16_S17_S18_S1B_S1C_jS1D_jS1E_S1E_jjS1G_bEUljE0_EEESZ_S10_S11_S18_S1C_S1E_T6_T7_T9_mT8_S1G_bDpT10_ENKUlT_T0_E_clISt17integral_constantIbLb1EES1U_EEDaS1P_S1Q_EUlS1P_E_NS1_11comp_targetILNS1_3genE2ELNS1_11target_archE906ELNS1_3gpuE6ELNS1_3repE0EEENS1_30default_config_static_selectorELNS0_4arch9wavefront6targetE1EEEvS12_: ; @_ZN7rocprim17ROCPRIM_400000_NS6detail17trampoline_kernelINS0_13select_configILj256ELj13ELNS0_17block_load_methodE3ELS4_3ELS4_3ELNS0_20block_scan_algorithmE0ELj4294967295EEENS1_25partition_config_selectorILNS1_17partition_subalgoE4EjNS0_10empty_typeEbEEZZNS1_14partition_implILS8_4ELb0ES6_15HIP_vector_typeIjLj2EENS0_17counting_iteratorIjlEEPS9_SG_NS0_5tupleIJPjSI_NS0_16reverse_iteratorISI_EEEEENSH_IJSG_SG_SG_EEES9_SI_JZNS1_25segmented_radix_sort_implINS0_14default_configELb0EPKiPiPKlPlN2at6native12_GLOBAL__N_18offset_tEEE10hipError_tPvRmT1_PNSt15iterator_traitsIS12_E10value_typeET2_T3_PNS13_IS18_E10value_typeET4_jRbjT5_S1E_jjP12ihipStream_tbEUljE_ZNSN_ISO_Lb0ESQ_SR_ST_SU_SY_EESZ_S10_S11_S12_S16_S17_S18_S1B_S1C_jS1D_jS1E_S1E_jjS1G_bEUljE0_EEESZ_S10_S11_S18_S1C_S1E_T6_T7_T9_mT8_S1G_bDpT10_ENKUlT_T0_E_clISt17integral_constantIbLb1EES1U_EEDaS1P_S1Q_EUlS1P_E_NS1_11comp_targetILNS1_3genE2ELNS1_11target_archE906ELNS1_3gpuE6ELNS1_3repE0EEENS1_30default_config_static_selectorELNS0_4arch9wavefront6targetE1EEEvS12_
; %bb.0:
	s_endpgm
	.section	.rodata,"a",@progbits
	.p2align	6, 0x0
	.amdhsa_kernel _ZN7rocprim17ROCPRIM_400000_NS6detail17trampoline_kernelINS0_13select_configILj256ELj13ELNS0_17block_load_methodE3ELS4_3ELS4_3ELNS0_20block_scan_algorithmE0ELj4294967295EEENS1_25partition_config_selectorILNS1_17partition_subalgoE4EjNS0_10empty_typeEbEEZZNS1_14partition_implILS8_4ELb0ES6_15HIP_vector_typeIjLj2EENS0_17counting_iteratorIjlEEPS9_SG_NS0_5tupleIJPjSI_NS0_16reverse_iteratorISI_EEEEENSH_IJSG_SG_SG_EEES9_SI_JZNS1_25segmented_radix_sort_implINS0_14default_configELb0EPKiPiPKlPlN2at6native12_GLOBAL__N_18offset_tEEE10hipError_tPvRmT1_PNSt15iterator_traitsIS12_E10value_typeET2_T3_PNS13_IS18_E10value_typeET4_jRbjT5_S1E_jjP12ihipStream_tbEUljE_ZNSN_ISO_Lb0ESQ_SR_ST_SU_SY_EESZ_S10_S11_S12_S16_S17_S18_S1B_S1C_jS1D_jS1E_S1E_jjS1G_bEUljE0_EEESZ_S10_S11_S18_S1C_S1E_T6_T7_T9_mT8_S1G_bDpT10_ENKUlT_T0_E_clISt17integral_constantIbLb1EES1U_EEDaS1P_S1Q_EUlS1P_E_NS1_11comp_targetILNS1_3genE2ELNS1_11target_archE906ELNS1_3gpuE6ELNS1_3repE0EEENS1_30default_config_static_selectorELNS0_4arch9wavefront6targetE1EEEvS12_
		.amdhsa_group_segment_fixed_size 0
		.amdhsa_private_segment_fixed_size 0
		.amdhsa_kernarg_size 184
		.amdhsa_user_sgpr_count 6
		.amdhsa_user_sgpr_private_segment_buffer 1
		.amdhsa_user_sgpr_dispatch_ptr 0
		.amdhsa_user_sgpr_queue_ptr 0
		.amdhsa_user_sgpr_kernarg_segment_ptr 1
		.amdhsa_user_sgpr_dispatch_id 0
		.amdhsa_user_sgpr_flat_scratch_init 0
		.amdhsa_user_sgpr_private_segment_size 0
		.amdhsa_uses_dynamic_stack 0
		.amdhsa_system_sgpr_private_segment_wavefront_offset 0
		.amdhsa_system_sgpr_workgroup_id_x 1
		.amdhsa_system_sgpr_workgroup_id_y 0
		.amdhsa_system_sgpr_workgroup_id_z 0
		.amdhsa_system_sgpr_workgroup_info 0
		.amdhsa_system_vgpr_workitem_id 0
		.amdhsa_next_free_vgpr 1
		.amdhsa_next_free_sgpr 0
		.amdhsa_reserve_vcc 0
		.amdhsa_reserve_flat_scratch 0
		.amdhsa_float_round_mode_32 0
		.amdhsa_float_round_mode_16_64 0
		.amdhsa_float_denorm_mode_32 3
		.amdhsa_float_denorm_mode_16_64 3
		.amdhsa_dx10_clamp 1
		.amdhsa_ieee_mode 1
		.amdhsa_fp16_overflow 0
		.amdhsa_exception_fp_ieee_invalid_op 0
		.amdhsa_exception_fp_denorm_src 0
		.amdhsa_exception_fp_ieee_div_zero 0
		.amdhsa_exception_fp_ieee_overflow 0
		.amdhsa_exception_fp_ieee_underflow 0
		.amdhsa_exception_fp_ieee_inexact 0
		.amdhsa_exception_int_div_zero 0
	.end_amdhsa_kernel
	.section	.text._ZN7rocprim17ROCPRIM_400000_NS6detail17trampoline_kernelINS0_13select_configILj256ELj13ELNS0_17block_load_methodE3ELS4_3ELS4_3ELNS0_20block_scan_algorithmE0ELj4294967295EEENS1_25partition_config_selectorILNS1_17partition_subalgoE4EjNS0_10empty_typeEbEEZZNS1_14partition_implILS8_4ELb0ES6_15HIP_vector_typeIjLj2EENS0_17counting_iteratorIjlEEPS9_SG_NS0_5tupleIJPjSI_NS0_16reverse_iteratorISI_EEEEENSH_IJSG_SG_SG_EEES9_SI_JZNS1_25segmented_radix_sort_implINS0_14default_configELb0EPKiPiPKlPlN2at6native12_GLOBAL__N_18offset_tEEE10hipError_tPvRmT1_PNSt15iterator_traitsIS12_E10value_typeET2_T3_PNS13_IS18_E10value_typeET4_jRbjT5_S1E_jjP12ihipStream_tbEUljE_ZNSN_ISO_Lb0ESQ_SR_ST_SU_SY_EESZ_S10_S11_S12_S16_S17_S18_S1B_S1C_jS1D_jS1E_S1E_jjS1G_bEUljE0_EEESZ_S10_S11_S18_S1C_S1E_T6_T7_T9_mT8_S1G_bDpT10_ENKUlT_T0_E_clISt17integral_constantIbLb1EES1U_EEDaS1P_S1Q_EUlS1P_E_NS1_11comp_targetILNS1_3genE2ELNS1_11target_archE906ELNS1_3gpuE6ELNS1_3repE0EEENS1_30default_config_static_selectorELNS0_4arch9wavefront6targetE1EEEvS12_,"axG",@progbits,_ZN7rocprim17ROCPRIM_400000_NS6detail17trampoline_kernelINS0_13select_configILj256ELj13ELNS0_17block_load_methodE3ELS4_3ELS4_3ELNS0_20block_scan_algorithmE0ELj4294967295EEENS1_25partition_config_selectorILNS1_17partition_subalgoE4EjNS0_10empty_typeEbEEZZNS1_14partition_implILS8_4ELb0ES6_15HIP_vector_typeIjLj2EENS0_17counting_iteratorIjlEEPS9_SG_NS0_5tupleIJPjSI_NS0_16reverse_iteratorISI_EEEEENSH_IJSG_SG_SG_EEES9_SI_JZNS1_25segmented_radix_sort_implINS0_14default_configELb0EPKiPiPKlPlN2at6native12_GLOBAL__N_18offset_tEEE10hipError_tPvRmT1_PNSt15iterator_traitsIS12_E10value_typeET2_T3_PNS13_IS18_E10value_typeET4_jRbjT5_S1E_jjP12ihipStream_tbEUljE_ZNSN_ISO_Lb0ESQ_SR_ST_SU_SY_EESZ_S10_S11_S12_S16_S17_S18_S1B_S1C_jS1D_jS1E_S1E_jjS1G_bEUljE0_EEESZ_S10_S11_S18_S1C_S1E_T6_T7_T9_mT8_S1G_bDpT10_ENKUlT_T0_E_clISt17integral_constantIbLb1EES1U_EEDaS1P_S1Q_EUlS1P_E_NS1_11comp_targetILNS1_3genE2ELNS1_11target_archE906ELNS1_3gpuE6ELNS1_3repE0EEENS1_30default_config_static_selectorELNS0_4arch9wavefront6targetE1EEEvS12_,comdat
.Lfunc_end548:
	.size	_ZN7rocprim17ROCPRIM_400000_NS6detail17trampoline_kernelINS0_13select_configILj256ELj13ELNS0_17block_load_methodE3ELS4_3ELS4_3ELNS0_20block_scan_algorithmE0ELj4294967295EEENS1_25partition_config_selectorILNS1_17partition_subalgoE4EjNS0_10empty_typeEbEEZZNS1_14partition_implILS8_4ELb0ES6_15HIP_vector_typeIjLj2EENS0_17counting_iteratorIjlEEPS9_SG_NS0_5tupleIJPjSI_NS0_16reverse_iteratorISI_EEEEENSH_IJSG_SG_SG_EEES9_SI_JZNS1_25segmented_radix_sort_implINS0_14default_configELb0EPKiPiPKlPlN2at6native12_GLOBAL__N_18offset_tEEE10hipError_tPvRmT1_PNSt15iterator_traitsIS12_E10value_typeET2_T3_PNS13_IS18_E10value_typeET4_jRbjT5_S1E_jjP12ihipStream_tbEUljE_ZNSN_ISO_Lb0ESQ_SR_ST_SU_SY_EESZ_S10_S11_S12_S16_S17_S18_S1B_S1C_jS1D_jS1E_S1E_jjS1G_bEUljE0_EEESZ_S10_S11_S18_S1C_S1E_T6_T7_T9_mT8_S1G_bDpT10_ENKUlT_T0_E_clISt17integral_constantIbLb1EES1U_EEDaS1P_S1Q_EUlS1P_E_NS1_11comp_targetILNS1_3genE2ELNS1_11target_archE906ELNS1_3gpuE6ELNS1_3repE0EEENS1_30default_config_static_selectorELNS0_4arch9wavefront6targetE1EEEvS12_, .Lfunc_end548-_ZN7rocprim17ROCPRIM_400000_NS6detail17trampoline_kernelINS0_13select_configILj256ELj13ELNS0_17block_load_methodE3ELS4_3ELS4_3ELNS0_20block_scan_algorithmE0ELj4294967295EEENS1_25partition_config_selectorILNS1_17partition_subalgoE4EjNS0_10empty_typeEbEEZZNS1_14partition_implILS8_4ELb0ES6_15HIP_vector_typeIjLj2EENS0_17counting_iteratorIjlEEPS9_SG_NS0_5tupleIJPjSI_NS0_16reverse_iteratorISI_EEEEENSH_IJSG_SG_SG_EEES9_SI_JZNS1_25segmented_radix_sort_implINS0_14default_configELb0EPKiPiPKlPlN2at6native12_GLOBAL__N_18offset_tEEE10hipError_tPvRmT1_PNSt15iterator_traitsIS12_E10value_typeET2_T3_PNS13_IS18_E10value_typeET4_jRbjT5_S1E_jjP12ihipStream_tbEUljE_ZNSN_ISO_Lb0ESQ_SR_ST_SU_SY_EESZ_S10_S11_S12_S16_S17_S18_S1B_S1C_jS1D_jS1E_S1E_jjS1G_bEUljE0_EEESZ_S10_S11_S18_S1C_S1E_T6_T7_T9_mT8_S1G_bDpT10_ENKUlT_T0_E_clISt17integral_constantIbLb1EES1U_EEDaS1P_S1Q_EUlS1P_E_NS1_11comp_targetILNS1_3genE2ELNS1_11target_archE906ELNS1_3gpuE6ELNS1_3repE0EEENS1_30default_config_static_selectorELNS0_4arch9wavefront6targetE1EEEvS12_
                                        ; -- End function
	.set _ZN7rocprim17ROCPRIM_400000_NS6detail17trampoline_kernelINS0_13select_configILj256ELj13ELNS0_17block_load_methodE3ELS4_3ELS4_3ELNS0_20block_scan_algorithmE0ELj4294967295EEENS1_25partition_config_selectorILNS1_17partition_subalgoE4EjNS0_10empty_typeEbEEZZNS1_14partition_implILS8_4ELb0ES6_15HIP_vector_typeIjLj2EENS0_17counting_iteratorIjlEEPS9_SG_NS0_5tupleIJPjSI_NS0_16reverse_iteratorISI_EEEEENSH_IJSG_SG_SG_EEES9_SI_JZNS1_25segmented_radix_sort_implINS0_14default_configELb0EPKiPiPKlPlN2at6native12_GLOBAL__N_18offset_tEEE10hipError_tPvRmT1_PNSt15iterator_traitsIS12_E10value_typeET2_T3_PNS13_IS18_E10value_typeET4_jRbjT5_S1E_jjP12ihipStream_tbEUljE_ZNSN_ISO_Lb0ESQ_SR_ST_SU_SY_EESZ_S10_S11_S12_S16_S17_S18_S1B_S1C_jS1D_jS1E_S1E_jjS1G_bEUljE0_EEESZ_S10_S11_S18_S1C_S1E_T6_T7_T9_mT8_S1G_bDpT10_ENKUlT_T0_E_clISt17integral_constantIbLb1EES1U_EEDaS1P_S1Q_EUlS1P_E_NS1_11comp_targetILNS1_3genE2ELNS1_11target_archE906ELNS1_3gpuE6ELNS1_3repE0EEENS1_30default_config_static_selectorELNS0_4arch9wavefront6targetE1EEEvS12_.num_vgpr, 0
	.set _ZN7rocprim17ROCPRIM_400000_NS6detail17trampoline_kernelINS0_13select_configILj256ELj13ELNS0_17block_load_methodE3ELS4_3ELS4_3ELNS0_20block_scan_algorithmE0ELj4294967295EEENS1_25partition_config_selectorILNS1_17partition_subalgoE4EjNS0_10empty_typeEbEEZZNS1_14partition_implILS8_4ELb0ES6_15HIP_vector_typeIjLj2EENS0_17counting_iteratorIjlEEPS9_SG_NS0_5tupleIJPjSI_NS0_16reverse_iteratorISI_EEEEENSH_IJSG_SG_SG_EEES9_SI_JZNS1_25segmented_radix_sort_implINS0_14default_configELb0EPKiPiPKlPlN2at6native12_GLOBAL__N_18offset_tEEE10hipError_tPvRmT1_PNSt15iterator_traitsIS12_E10value_typeET2_T3_PNS13_IS18_E10value_typeET4_jRbjT5_S1E_jjP12ihipStream_tbEUljE_ZNSN_ISO_Lb0ESQ_SR_ST_SU_SY_EESZ_S10_S11_S12_S16_S17_S18_S1B_S1C_jS1D_jS1E_S1E_jjS1G_bEUljE0_EEESZ_S10_S11_S18_S1C_S1E_T6_T7_T9_mT8_S1G_bDpT10_ENKUlT_T0_E_clISt17integral_constantIbLb1EES1U_EEDaS1P_S1Q_EUlS1P_E_NS1_11comp_targetILNS1_3genE2ELNS1_11target_archE906ELNS1_3gpuE6ELNS1_3repE0EEENS1_30default_config_static_selectorELNS0_4arch9wavefront6targetE1EEEvS12_.num_agpr, 0
	.set _ZN7rocprim17ROCPRIM_400000_NS6detail17trampoline_kernelINS0_13select_configILj256ELj13ELNS0_17block_load_methodE3ELS4_3ELS4_3ELNS0_20block_scan_algorithmE0ELj4294967295EEENS1_25partition_config_selectorILNS1_17partition_subalgoE4EjNS0_10empty_typeEbEEZZNS1_14partition_implILS8_4ELb0ES6_15HIP_vector_typeIjLj2EENS0_17counting_iteratorIjlEEPS9_SG_NS0_5tupleIJPjSI_NS0_16reverse_iteratorISI_EEEEENSH_IJSG_SG_SG_EEES9_SI_JZNS1_25segmented_radix_sort_implINS0_14default_configELb0EPKiPiPKlPlN2at6native12_GLOBAL__N_18offset_tEEE10hipError_tPvRmT1_PNSt15iterator_traitsIS12_E10value_typeET2_T3_PNS13_IS18_E10value_typeET4_jRbjT5_S1E_jjP12ihipStream_tbEUljE_ZNSN_ISO_Lb0ESQ_SR_ST_SU_SY_EESZ_S10_S11_S12_S16_S17_S18_S1B_S1C_jS1D_jS1E_S1E_jjS1G_bEUljE0_EEESZ_S10_S11_S18_S1C_S1E_T6_T7_T9_mT8_S1G_bDpT10_ENKUlT_T0_E_clISt17integral_constantIbLb1EES1U_EEDaS1P_S1Q_EUlS1P_E_NS1_11comp_targetILNS1_3genE2ELNS1_11target_archE906ELNS1_3gpuE6ELNS1_3repE0EEENS1_30default_config_static_selectorELNS0_4arch9wavefront6targetE1EEEvS12_.numbered_sgpr, 0
	.set _ZN7rocprim17ROCPRIM_400000_NS6detail17trampoline_kernelINS0_13select_configILj256ELj13ELNS0_17block_load_methodE3ELS4_3ELS4_3ELNS0_20block_scan_algorithmE0ELj4294967295EEENS1_25partition_config_selectorILNS1_17partition_subalgoE4EjNS0_10empty_typeEbEEZZNS1_14partition_implILS8_4ELb0ES6_15HIP_vector_typeIjLj2EENS0_17counting_iteratorIjlEEPS9_SG_NS0_5tupleIJPjSI_NS0_16reverse_iteratorISI_EEEEENSH_IJSG_SG_SG_EEES9_SI_JZNS1_25segmented_radix_sort_implINS0_14default_configELb0EPKiPiPKlPlN2at6native12_GLOBAL__N_18offset_tEEE10hipError_tPvRmT1_PNSt15iterator_traitsIS12_E10value_typeET2_T3_PNS13_IS18_E10value_typeET4_jRbjT5_S1E_jjP12ihipStream_tbEUljE_ZNSN_ISO_Lb0ESQ_SR_ST_SU_SY_EESZ_S10_S11_S12_S16_S17_S18_S1B_S1C_jS1D_jS1E_S1E_jjS1G_bEUljE0_EEESZ_S10_S11_S18_S1C_S1E_T6_T7_T9_mT8_S1G_bDpT10_ENKUlT_T0_E_clISt17integral_constantIbLb1EES1U_EEDaS1P_S1Q_EUlS1P_E_NS1_11comp_targetILNS1_3genE2ELNS1_11target_archE906ELNS1_3gpuE6ELNS1_3repE0EEENS1_30default_config_static_selectorELNS0_4arch9wavefront6targetE1EEEvS12_.num_named_barrier, 0
	.set _ZN7rocprim17ROCPRIM_400000_NS6detail17trampoline_kernelINS0_13select_configILj256ELj13ELNS0_17block_load_methodE3ELS4_3ELS4_3ELNS0_20block_scan_algorithmE0ELj4294967295EEENS1_25partition_config_selectorILNS1_17partition_subalgoE4EjNS0_10empty_typeEbEEZZNS1_14partition_implILS8_4ELb0ES6_15HIP_vector_typeIjLj2EENS0_17counting_iteratorIjlEEPS9_SG_NS0_5tupleIJPjSI_NS0_16reverse_iteratorISI_EEEEENSH_IJSG_SG_SG_EEES9_SI_JZNS1_25segmented_radix_sort_implINS0_14default_configELb0EPKiPiPKlPlN2at6native12_GLOBAL__N_18offset_tEEE10hipError_tPvRmT1_PNSt15iterator_traitsIS12_E10value_typeET2_T3_PNS13_IS18_E10value_typeET4_jRbjT5_S1E_jjP12ihipStream_tbEUljE_ZNSN_ISO_Lb0ESQ_SR_ST_SU_SY_EESZ_S10_S11_S12_S16_S17_S18_S1B_S1C_jS1D_jS1E_S1E_jjS1G_bEUljE0_EEESZ_S10_S11_S18_S1C_S1E_T6_T7_T9_mT8_S1G_bDpT10_ENKUlT_T0_E_clISt17integral_constantIbLb1EES1U_EEDaS1P_S1Q_EUlS1P_E_NS1_11comp_targetILNS1_3genE2ELNS1_11target_archE906ELNS1_3gpuE6ELNS1_3repE0EEENS1_30default_config_static_selectorELNS0_4arch9wavefront6targetE1EEEvS12_.private_seg_size, 0
	.set _ZN7rocprim17ROCPRIM_400000_NS6detail17trampoline_kernelINS0_13select_configILj256ELj13ELNS0_17block_load_methodE3ELS4_3ELS4_3ELNS0_20block_scan_algorithmE0ELj4294967295EEENS1_25partition_config_selectorILNS1_17partition_subalgoE4EjNS0_10empty_typeEbEEZZNS1_14partition_implILS8_4ELb0ES6_15HIP_vector_typeIjLj2EENS0_17counting_iteratorIjlEEPS9_SG_NS0_5tupleIJPjSI_NS0_16reverse_iteratorISI_EEEEENSH_IJSG_SG_SG_EEES9_SI_JZNS1_25segmented_radix_sort_implINS0_14default_configELb0EPKiPiPKlPlN2at6native12_GLOBAL__N_18offset_tEEE10hipError_tPvRmT1_PNSt15iterator_traitsIS12_E10value_typeET2_T3_PNS13_IS18_E10value_typeET4_jRbjT5_S1E_jjP12ihipStream_tbEUljE_ZNSN_ISO_Lb0ESQ_SR_ST_SU_SY_EESZ_S10_S11_S12_S16_S17_S18_S1B_S1C_jS1D_jS1E_S1E_jjS1G_bEUljE0_EEESZ_S10_S11_S18_S1C_S1E_T6_T7_T9_mT8_S1G_bDpT10_ENKUlT_T0_E_clISt17integral_constantIbLb1EES1U_EEDaS1P_S1Q_EUlS1P_E_NS1_11comp_targetILNS1_3genE2ELNS1_11target_archE906ELNS1_3gpuE6ELNS1_3repE0EEENS1_30default_config_static_selectorELNS0_4arch9wavefront6targetE1EEEvS12_.uses_vcc, 0
	.set _ZN7rocprim17ROCPRIM_400000_NS6detail17trampoline_kernelINS0_13select_configILj256ELj13ELNS0_17block_load_methodE3ELS4_3ELS4_3ELNS0_20block_scan_algorithmE0ELj4294967295EEENS1_25partition_config_selectorILNS1_17partition_subalgoE4EjNS0_10empty_typeEbEEZZNS1_14partition_implILS8_4ELb0ES6_15HIP_vector_typeIjLj2EENS0_17counting_iteratorIjlEEPS9_SG_NS0_5tupleIJPjSI_NS0_16reverse_iteratorISI_EEEEENSH_IJSG_SG_SG_EEES9_SI_JZNS1_25segmented_radix_sort_implINS0_14default_configELb0EPKiPiPKlPlN2at6native12_GLOBAL__N_18offset_tEEE10hipError_tPvRmT1_PNSt15iterator_traitsIS12_E10value_typeET2_T3_PNS13_IS18_E10value_typeET4_jRbjT5_S1E_jjP12ihipStream_tbEUljE_ZNSN_ISO_Lb0ESQ_SR_ST_SU_SY_EESZ_S10_S11_S12_S16_S17_S18_S1B_S1C_jS1D_jS1E_S1E_jjS1G_bEUljE0_EEESZ_S10_S11_S18_S1C_S1E_T6_T7_T9_mT8_S1G_bDpT10_ENKUlT_T0_E_clISt17integral_constantIbLb1EES1U_EEDaS1P_S1Q_EUlS1P_E_NS1_11comp_targetILNS1_3genE2ELNS1_11target_archE906ELNS1_3gpuE6ELNS1_3repE0EEENS1_30default_config_static_selectorELNS0_4arch9wavefront6targetE1EEEvS12_.uses_flat_scratch, 0
	.set _ZN7rocprim17ROCPRIM_400000_NS6detail17trampoline_kernelINS0_13select_configILj256ELj13ELNS0_17block_load_methodE3ELS4_3ELS4_3ELNS0_20block_scan_algorithmE0ELj4294967295EEENS1_25partition_config_selectorILNS1_17partition_subalgoE4EjNS0_10empty_typeEbEEZZNS1_14partition_implILS8_4ELb0ES6_15HIP_vector_typeIjLj2EENS0_17counting_iteratorIjlEEPS9_SG_NS0_5tupleIJPjSI_NS0_16reverse_iteratorISI_EEEEENSH_IJSG_SG_SG_EEES9_SI_JZNS1_25segmented_radix_sort_implINS0_14default_configELb0EPKiPiPKlPlN2at6native12_GLOBAL__N_18offset_tEEE10hipError_tPvRmT1_PNSt15iterator_traitsIS12_E10value_typeET2_T3_PNS13_IS18_E10value_typeET4_jRbjT5_S1E_jjP12ihipStream_tbEUljE_ZNSN_ISO_Lb0ESQ_SR_ST_SU_SY_EESZ_S10_S11_S12_S16_S17_S18_S1B_S1C_jS1D_jS1E_S1E_jjS1G_bEUljE0_EEESZ_S10_S11_S18_S1C_S1E_T6_T7_T9_mT8_S1G_bDpT10_ENKUlT_T0_E_clISt17integral_constantIbLb1EES1U_EEDaS1P_S1Q_EUlS1P_E_NS1_11comp_targetILNS1_3genE2ELNS1_11target_archE906ELNS1_3gpuE6ELNS1_3repE0EEENS1_30default_config_static_selectorELNS0_4arch9wavefront6targetE1EEEvS12_.has_dyn_sized_stack, 0
	.set _ZN7rocprim17ROCPRIM_400000_NS6detail17trampoline_kernelINS0_13select_configILj256ELj13ELNS0_17block_load_methodE3ELS4_3ELS4_3ELNS0_20block_scan_algorithmE0ELj4294967295EEENS1_25partition_config_selectorILNS1_17partition_subalgoE4EjNS0_10empty_typeEbEEZZNS1_14partition_implILS8_4ELb0ES6_15HIP_vector_typeIjLj2EENS0_17counting_iteratorIjlEEPS9_SG_NS0_5tupleIJPjSI_NS0_16reverse_iteratorISI_EEEEENSH_IJSG_SG_SG_EEES9_SI_JZNS1_25segmented_radix_sort_implINS0_14default_configELb0EPKiPiPKlPlN2at6native12_GLOBAL__N_18offset_tEEE10hipError_tPvRmT1_PNSt15iterator_traitsIS12_E10value_typeET2_T3_PNS13_IS18_E10value_typeET4_jRbjT5_S1E_jjP12ihipStream_tbEUljE_ZNSN_ISO_Lb0ESQ_SR_ST_SU_SY_EESZ_S10_S11_S12_S16_S17_S18_S1B_S1C_jS1D_jS1E_S1E_jjS1G_bEUljE0_EEESZ_S10_S11_S18_S1C_S1E_T6_T7_T9_mT8_S1G_bDpT10_ENKUlT_T0_E_clISt17integral_constantIbLb1EES1U_EEDaS1P_S1Q_EUlS1P_E_NS1_11comp_targetILNS1_3genE2ELNS1_11target_archE906ELNS1_3gpuE6ELNS1_3repE0EEENS1_30default_config_static_selectorELNS0_4arch9wavefront6targetE1EEEvS12_.has_recursion, 0
	.set _ZN7rocprim17ROCPRIM_400000_NS6detail17trampoline_kernelINS0_13select_configILj256ELj13ELNS0_17block_load_methodE3ELS4_3ELS4_3ELNS0_20block_scan_algorithmE0ELj4294967295EEENS1_25partition_config_selectorILNS1_17partition_subalgoE4EjNS0_10empty_typeEbEEZZNS1_14partition_implILS8_4ELb0ES6_15HIP_vector_typeIjLj2EENS0_17counting_iteratorIjlEEPS9_SG_NS0_5tupleIJPjSI_NS0_16reverse_iteratorISI_EEEEENSH_IJSG_SG_SG_EEES9_SI_JZNS1_25segmented_radix_sort_implINS0_14default_configELb0EPKiPiPKlPlN2at6native12_GLOBAL__N_18offset_tEEE10hipError_tPvRmT1_PNSt15iterator_traitsIS12_E10value_typeET2_T3_PNS13_IS18_E10value_typeET4_jRbjT5_S1E_jjP12ihipStream_tbEUljE_ZNSN_ISO_Lb0ESQ_SR_ST_SU_SY_EESZ_S10_S11_S12_S16_S17_S18_S1B_S1C_jS1D_jS1E_S1E_jjS1G_bEUljE0_EEESZ_S10_S11_S18_S1C_S1E_T6_T7_T9_mT8_S1G_bDpT10_ENKUlT_T0_E_clISt17integral_constantIbLb1EES1U_EEDaS1P_S1Q_EUlS1P_E_NS1_11comp_targetILNS1_3genE2ELNS1_11target_archE906ELNS1_3gpuE6ELNS1_3repE0EEENS1_30default_config_static_selectorELNS0_4arch9wavefront6targetE1EEEvS12_.has_indirect_call, 0
	.section	.AMDGPU.csdata,"",@progbits
; Kernel info:
; codeLenInByte = 4
; TotalNumSgprs: 4
; NumVgprs: 0
; ScratchSize: 0
; MemoryBound: 0
; FloatMode: 240
; IeeeMode: 1
; LDSByteSize: 0 bytes/workgroup (compile time only)
; SGPRBlocks: 0
; VGPRBlocks: 0
; NumSGPRsForWavesPerEU: 4
; NumVGPRsForWavesPerEU: 1
; Occupancy: 10
; WaveLimiterHint : 0
; COMPUTE_PGM_RSRC2:SCRATCH_EN: 0
; COMPUTE_PGM_RSRC2:USER_SGPR: 6
; COMPUTE_PGM_RSRC2:TRAP_HANDLER: 0
; COMPUTE_PGM_RSRC2:TGID_X_EN: 1
; COMPUTE_PGM_RSRC2:TGID_Y_EN: 0
; COMPUTE_PGM_RSRC2:TGID_Z_EN: 0
; COMPUTE_PGM_RSRC2:TIDIG_COMP_CNT: 0
	.section	.text._ZN7rocprim17ROCPRIM_400000_NS6detail17trampoline_kernelINS0_13select_configILj256ELj13ELNS0_17block_load_methodE3ELS4_3ELS4_3ELNS0_20block_scan_algorithmE0ELj4294967295EEENS1_25partition_config_selectorILNS1_17partition_subalgoE4EjNS0_10empty_typeEbEEZZNS1_14partition_implILS8_4ELb0ES6_15HIP_vector_typeIjLj2EENS0_17counting_iteratorIjlEEPS9_SG_NS0_5tupleIJPjSI_NS0_16reverse_iteratorISI_EEEEENSH_IJSG_SG_SG_EEES9_SI_JZNS1_25segmented_radix_sort_implINS0_14default_configELb0EPKiPiPKlPlN2at6native12_GLOBAL__N_18offset_tEEE10hipError_tPvRmT1_PNSt15iterator_traitsIS12_E10value_typeET2_T3_PNS13_IS18_E10value_typeET4_jRbjT5_S1E_jjP12ihipStream_tbEUljE_ZNSN_ISO_Lb0ESQ_SR_ST_SU_SY_EESZ_S10_S11_S12_S16_S17_S18_S1B_S1C_jS1D_jS1E_S1E_jjS1G_bEUljE0_EEESZ_S10_S11_S18_S1C_S1E_T6_T7_T9_mT8_S1G_bDpT10_ENKUlT_T0_E_clISt17integral_constantIbLb1EES1U_EEDaS1P_S1Q_EUlS1P_E_NS1_11comp_targetILNS1_3genE10ELNS1_11target_archE1200ELNS1_3gpuE4ELNS1_3repE0EEENS1_30default_config_static_selectorELNS0_4arch9wavefront6targetE1EEEvS12_,"axG",@progbits,_ZN7rocprim17ROCPRIM_400000_NS6detail17trampoline_kernelINS0_13select_configILj256ELj13ELNS0_17block_load_methodE3ELS4_3ELS4_3ELNS0_20block_scan_algorithmE0ELj4294967295EEENS1_25partition_config_selectorILNS1_17partition_subalgoE4EjNS0_10empty_typeEbEEZZNS1_14partition_implILS8_4ELb0ES6_15HIP_vector_typeIjLj2EENS0_17counting_iteratorIjlEEPS9_SG_NS0_5tupleIJPjSI_NS0_16reverse_iteratorISI_EEEEENSH_IJSG_SG_SG_EEES9_SI_JZNS1_25segmented_radix_sort_implINS0_14default_configELb0EPKiPiPKlPlN2at6native12_GLOBAL__N_18offset_tEEE10hipError_tPvRmT1_PNSt15iterator_traitsIS12_E10value_typeET2_T3_PNS13_IS18_E10value_typeET4_jRbjT5_S1E_jjP12ihipStream_tbEUljE_ZNSN_ISO_Lb0ESQ_SR_ST_SU_SY_EESZ_S10_S11_S12_S16_S17_S18_S1B_S1C_jS1D_jS1E_S1E_jjS1G_bEUljE0_EEESZ_S10_S11_S18_S1C_S1E_T6_T7_T9_mT8_S1G_bDpT10_ENKUlT_T0_E_clISt17integral_constantIbLb1EES1U_EEDaS1P_S1Q_EUlS1P_E_NS1_11comp_targetILNS1_3genE10ELNS1_11target_archE1200ELNS1_3gpuE4ELNS1_3repE0EEENS1_30default_config_static_selectorELNS0_4arch9wavefront6targetE1EEEvS12_,comdat
	.globl	_ZN7rocprim17ROCPRIM_400000_NS6detail17trampoline_kernelINS0_13select_configILj256ELj13ELNS0_17block_load_methodE3ELS4_3ELS4_3ELNS0_20block_scan_algorithmE0ELj4294967295EEENS1_25partition_config_selectorILNS1_17partition_subalgoE4EjNS0_10empty_typeEbEEZZNS1_14partition_implILS8_4ELb0ES6_15HIP_vector_typeIjLj2EENS0_17counting_iteratorIjlEEPS9_SG_NS0_5tupleIJPjSI_NS0_16reverse_iteratorISI_EEEEENSH_IJSG_SG_SG_EEES9_SI_JZNS1_25segmented_radix_sort_implINS0_14default_configELb0EPKiPiPKlPlN2at6native12_GLOBAL__N_18offset_tEEE10hipError_tPvRmT1_PNSt15iterator_traitsIS12_E10value_typeET2_T3_PNS13_IS18_E10value_typeET4_jRbjT5_S1E_jjP12ihipStream_tbEUljE_ZNSN_ISO_Lb0ESQ_SR_ST_SU_SY_EESZ_S10_S11_S12_S16_S17_S18_S1B_S1C_jS1D_jS1E_S1E_jjS1G_bEUljE0_EEESZ_S10_S11_S18_S1C_S1E_T6_T7_T9_mT8_S1G_bDpT10_ENKUlT_T0_E_clISt17integral_constantIbLb1EES1U_EEDaS1P_S1Q_EUlS1P_E_NS1_11comp_targetILNS1_3genE10ELNS1_11target_archE1200ELNS1_3gpuE4ELNS1_3repE0EEENS1_30default_config_static_selectorELNS0_4arch9wavefront6targetE1EEEvS12_ ; -- Begin function _ZN7rocprim17ROCPRIM_400000_NS6detail17trampoline_kernelINS0_13select_configILj256ELj13ELNS0_17block_load_methodE3ELS4_3ELS4_3ELNS0_20block_scan_algorithmE0ELj4294967295EEENS1_25partition_config_selectorILNS1_17partition_subalgoE4EjNS0_10empty_typeEbEEZZNS1_14partition_implILS8_4ELb0ES6_15HIP_vector_typeIjLj2EENS0_17counting_iteratorIjlEEPS9_SG_NS0_5tupleIJPjSI_NS0_16reverse_iteratorISI_EEEEENSH_IJSG_SG_SG_EEES9_SI_JZNS1_25segmented_radix_sort_implINS0_14default_configELb0EPKiPiPKlPlN2at6native12_GLOBAL__N_18offset_tEEE10hipError_tPvRmT1_PNSt15iterator_traitsIS12_E10value_typeET2_T3_PNS13_IS18_E10value_typeET4_jRbjT5_S1E_jjP12ihipStream_tbEUljE_ZNSN_ISO_Lb0ESQ_SR_ST_SU_SY_EESZ_S10_S11_S12_S16_S17_S18_S1B_S1C_jS1D_jS1E_S1E_jjS1G_bEUljE0_EEESZ_S10_S11_S18_S1C_S1E_T6_T7_T9_mT8_S1G_bDpT10_ENKUlT_T0_E_clISt17integral_constantIbLb1EES1U_EEDaS1P_S1Q_EUlS1P_E_NS1_11comp_targetILNS1_3genE10ELNS1_11target_archE1200ELNS1_3gpuE4ELNS1_3repE0EEENS1_30default_config_static_selectorELNS0_4arch9wavefront6targetE1EEEvS12_
	.p2align	8
	.type	_ZN7rocprim17ROCPRIM_400000_NS6detail17trampoline_kernelINS0_13select_configILj256ELj13ELNS0_17block_load_methodE3ELS4_3ELS4_3ELNS0_20block_scan_algorithmE0ELj4294967295EEENS1_25partition_config_selectorILNS1_17partition_subalgoE4EjNS0_10empty_typeEbEEZZNS1_14partition_implILS8_4ELb0ES6_15HIP_vector_typeIjLj2EENS0_17counting_iteratorIjlEEPS9_SG_NS0_5tupleIJPjSI_NS0_16reverse_iteratorISI_EEEEENSH_IJSG_SG_SG_EEES9_SI_JZNS1_25segmented_radix_sort_implINS0_14default_configELb0EPKiPiPKlPlN2at6native12_GLOBAL__N_18offset_tEEE10hipError_tPvRmT1_PNSt15iterator_traitsIS12_E10value_typeET2_T3_PNS13_IS18_E10value_typeET4_jRbjT5_S1E_jjP12ihipStream_tbEUljE_ZNSN_ISO_Lb0ESQ_SR_ST_SU_SY_EESZ_S10_S11_S12_S16_S17_S18_S1B_S1C_jS1D_jS1E_S1E_jjS1G_bEUljE0_EEESZ_S10_S11_S18_S1C_S1E_T6_T7_T9_mT8_S1G_bDpT10_ENKUlT_T0_E_clISt17integral_constantIbLb1EES1U_EEDaS1P_S1Q_EUlS1P_E_NS1_11comp_targetILNS1_3genE10ELNS1_11target_archE1200ELNS1_3gpuE4ELNS1_3repE0EEENS1_30default_config_static_selectorELNS0_4arch9wavefront6targetE1EEEvS12_,@function
_ZN7rocprim17ROCPRIM_400000_NS6detail17trampoline_kernelINS0_13select_configILj256ELj13ELNS0_17block_load_methodE3ELS4_3ELS4_3ELNS0_20block_scan_algorithmE0ELj4294967295EEENS1_25partition_config_selectorILNS1_17partition_subalgoE4EjNS0_10empty_typeEbEEZZNS1_14partition_implILS8_4ELb0ES6_15HIP_vector_typeIjLj2EENS0_17counting_iteratorIjlEEPS9_SG_NS0_5tupleIJPjSI_NS0_16reverse_iteratorISI_EEEEENSH_IJSG_SG_SG_EEES9_SI_JZNS1_25segmented_radix_sort_implINS0_14default_configELb0EPKiPiPKlPlN2at6native12_GLOBAL__N_18offset_tEEE10hipError_tPvRmT1_PNSt15iterator_traitsIS12_E10value_typeET2_T3_PNS13_IS18_E10value_typeET4_jRbjT5_S1E_jjP12ihipStream_tbEUljE_ZNSN_ISO_Lb0ESQ_SR_ST_SU_SY_EESZ_S10_S11_S12_S16_S17_S18_S1B_S1C_jS1D_jS1E_S1E_jjS1G_bEUljE0_EEESZ_S10_S11_S18_S1C_S1E_T6_T7_T9_mT8_S1G_bDpT10_ENKUlT_T0_E_clISt17integral_constantIbLb1EES1U_EEDaS1P_S1Q_EUlS1P_E_NS1_11comp_targetILNS1_3genE10ELNS1_11target_archE1200ELNS1_3gpuE4ELNS1_3repE0EEENS1_30default_config_static_selectorELNS0_4arch9wavefront6targetE1EEEvS12_: ; @_ZN7rocprim17ROCPRIM_400000_NS6detail17trampoline_kernelINS0_13select_configILj256ELj13ELNS0_17block_load_methodE3ELS4_3ELS4_3ELNS0_20block_scan_algorithmE0ELj4294967295EEENS1_25partition_config_selectorILNS1_17partition_subalgoE4EjNS0_10empty_typeEbEEZZNS1_14partition_implILS8_4ELb0ES6_15HIP_vector_typeIjLj2EENS0_17counting_iteratorIjlEEPS9_SG_NS0_5tupleIJPjSI_NS0_16reverse_iteratorISI_EEEEENSH_IJSG_SG_SG_EEES9_SI_JZNS1_25segmented_radix_sort_implINS0_14default_configELb0EPKiPiPKlPlN2at6native12_GLOBAL__N_18offset_tEEE10hipError_tPvRmT1_PNSt15iterator_traitsIS12_E10value_typeET2_T3_PNS13_IS18_E10value_typeET4_jRbjT5_S1E_jjP12ihipStream_tbEUljE_ZNSN_ISO_Lb0ESQ_SR_ST_SU_SY_EESZ_S10_S11_S12_S16_S17_S18_S1B_S1C_jS1D_jS1E_S1E_jjS1G_bEUljE0_EEESZ_S10_S11_S18_S1C_S1E_T6_T7_T9_mT8_S1G_bDpT10_ENKUlT_T0_E_clISt17integral_constantIbLb1EES1U_EEDaS1P_S1Q_EUlS1P_E_NS1_11comp_targetILNS1_3genE10ELNS1_11target_archE1200ELNS1_3gpuE4ELNS1_3repE0EEENS1_30default_config_static_selectorELNS0_4arch9wavefront6targetE1EEEvS12_
; %bb.0:
	.section	.rodata,"a",@progbits
	.p2align	6, 0x0
	.amdhsa_kernel _ZN7rocprim17ROCPRIM_400000_NS6detail17trampoline_kernelINS0_13select_configILj256ELj13ELNS0_17block_load_methodE3ELS4_3ELS4_3ELNS0_20block_scan_algorithmE0ELj4294967295EEENS1_25partition_config_selectorILNS1_17partition_subalgoE4EjNS0_10empty_typeEbEEZZNS1_14partition_implILS8_4ELb0ES6_15HIP_vector_typeIjLj2EENS0_17counting_iteratorIjlEEPS9_SG_NS0_5tupleIJPjSI_NS0_16reverse_iteratorISI_EEEEENSH_IJSG_SG_SG_EEES9_SI_JZNS1_25segmented_radix_sort_implINS0_14default_configELb0EPKiPiPKlPlN2at6native12_GLOBAL__N_18offset_tEEE10hipError_tPvRmT1_PNSt15iterator_traitsIS12_E10value_typeET2_T3_PNS13_IS18_E10value_typeET4_jRbjT5_S1E_jjP12ihipStream_tbEUljE_ZNSN_ISO_Lb0ESQ_SR_ST_SU_SY_EESZ_S10_S11_S12_S16_S17_S18_S1B_S1C_jS1D_jS1E_S1E_jjS1G_bEUljE0_EEESZ_S10_S11_S18_S1C_S1E_T6_T7_T9_mT8_S1G_bDpT10_ENKUlT_T0_E_clISt17integral_constantIbLb1EES1U_EEDaS1P_S1Q_EUlS1P_E_NS1_11comp_targetILNS1_3genE10ELNS1_11target_archE1200ELNS1_3gpuE4ELNS1_3repE0EEENS1_30default_config_static_selectorELNS0_4arch9wavefront6targetE1EEEvS12_
		.amdhsa_group_segment_fixed_size 0
		.amdhsa_private_segment_fixed_size 0
		.amdhsa_kernarg_size 184
		.amdhsa_user_sgpr_count 6
		.amdhsa_user_sgpr_private_segment_buffer 1
		.amdhsa_user_sgpr_dispatch_ptr 0
		.amdhsa_user_sgpr_queue_ptr 0
		.amdhsa_user_sgpr_kernarg_segment_ptr 1
		.amdhsa_user_sgpr_dispatch_id 0
		.amdhsa_user_sgpr_flat_scratch_init 0
		.amdhsa_user_sgpr_private_segment_size 0
		.amdhsa_uses_dynamic_stack 0
		.amdhsa_system_sgpr_private_segment_wavefront_offset 0
		.amdhsa_system_sgpr_workgroup_id_x 1
		.amdhsa_system_sgpr_workgroup_id_y 0
		.amdhsa_system_sgpr_workgroup_id_z 0
		.amdhsa_system_sgpr_workgroup_info 0
		.amdhsa_system_vgpr_workitem_id 0
		.amdhsa_next_free_vgpr 1
		.amdhsa_next_free_sgpr 0
		.amdhsa_reserve_vcc 0
		.amdhsa_reserve_flat_scratch 0
		.amdhsa_float_round_mode_32 0
		.amdhsa_float_round_mode_16_64 0
		.amdhsa_float_denorm_mode_32 3
		.amdhsa_float_denorm_mode_16_64 3
		.amdhsa_dx10_clamp 1
		.amdhsa_ieee_mode 1
		.amdhsa_fp16_overflow 0
		.amdhsa_exception_fp_ieee_invalid_op 0
		.amdhsa_exception_fp_denorm_src 0
		.amdhsa_exception_fp_ieee_div_zero 0
		.amdhsa_exception_fp_ieee_overflow 0
		.amdhsa_exception_fp_ieee_underflow 0
		.amdhsa_exception_fp_ieee_inexact 0
		.amdhsa_exception_int_div_zero 0
	.end_amdhsa_kernel
	.section	.text._ZN7rocprim17ROCPRIM_400000_NS6detail17trampoline_kernelINS0_13select_configILj256ELj13ELNS0_17block_load_methodE3ELS4_3ELS4_3ELNS0_20block_scan_algorithmE0ELj4294967295EEENS1_25partition_config_selectorILNS1_17partition_subalgoE4EjNS0_10empty_typeEbEEZZNS1_14partition_implILS8_4ELb0ES6_15HIP_vector_typeIjLj2EENS0_17counting_iteratorIjlEEPS9_SG_NS0_5tupleIJPjSI_NS0_16reverse_iteratorISI_EEEEENSH_IJSG_SG_SG_EEES9_SI_JZNS1_25segmented_radix_sort_implINS0_14default_configELb0EPKiPiPKlPlN2at6native12_GLOBAL__N_18offset_tEEE10hipError_tPvRmT1_PNSt15iterator_traitsIS12_E10value_typeET2_T3_PNS13_IS18_E10value_typeET4_jRbjT5_S1E_jjP12ihipStream_tbEUljE_ZNSN_ISO_Lb0ESQ_SR_ST_SU_SY_EESZ_S10_S11_S12_S16_S17_S18_S1B_S1C_jS1D_jS1E_S1E_jjS1G_bEUljE0_EEESZ_S10_S11_S18_S1C_S1E_T6_T7_T9_mT8_S1G_bDpT10_ENKUlT_T0_E_clISt17integral_constantIbLb1EES1U_EEDaS1P_S1Q_EUlS1P_E_NS1_11comp_targetILNS1_3genE10ELNS1_11target_archE1200ELNS1_3gpuE4ELNS1_3repE0EEENS1_30default_config_static_selectorELNS0_4arch9wavefront6targetE1EEEvS12_,"axG",@progbits,_ZN7rocprim17ROCPRIM_400000_NS6detail17trampoline_kernelINS0_13select_configILj256ELj13ELNS0_17block_load_methodE3ELS4_3ELS4_3ELNS0_20block_scan_algorithmE0ELj4294967295EEENS1_25partition_config_selectorILNS1_17partition_subalgoE4EjNS0_10empty_typeEbEEZZNS1_14partition_implILS8_4ELb0ES6_15HIP_vector_typeIjLj2EENS0_17counting_iteratorIjlEEPS9_SG_NS0_5tupleIJPjSI_NS0_16reverse_iteratorISI_EEEEENSH_IJSG_SG_SG_EEES9_SI_JZNS1_25segmented_radix_sort_implINS0_14default_configELb0EPKiPiPKlPlN2at6native12_GLOBAL__N_18offset_tEEE10hipError_tPvRmT1_PNSt15iterator_traitsIS12_E10value_typeET2_T3_PNS13_IS18_E10value_typeET4_jRbjT5_S1E_jjP12ihipStream_tbEUljE_ZNSN_ISO_Lb0ESQ_SR_ST_SU_SY_EESZ_S10_S11_S12_S16_S17_S18_S1B_S1C_jS1D_jS1E_S1E_jjS1G_bEUljE0_EEESZ_S10_S11_S18_S1C_S1E_T6_T7_T9_mT8_S1G_bDpT10_ENKUlT_T0_E_clISt17integral_constantIbLb1EES1U_EEDaS1P_S1Q_EUlS1P_E_NS1_11comp_targetILNS1_3genE10ELNS1_11target_archE1200ELNS1_3gpuE4ELNS1_3repE0EEENS1_30default_config_static_selectorELNS0_4arch9wavefront6targetE1EEEvS12_,comdat
.Lfunc_end549:
	.size	_ZN7rocprim17ROCPRIM_400000_NS6detail17trampoline_kernelINS0_13select_configILj256ELj13ELNS0_17block_load_methodE3ELS4_3ELS4_3ELNS0_20block_scan_algorithmE0ELj4294967295EEENS1_25partition_config_selectorILNS1_17partition_subalgoE4EjNS0_10empty_typeEbEEZZNS1_14partition_implILS8_4ELb0ES6_15HIP_vector_typeIjLj2EENS0_17counting_iteratorIjlEEPS9_SG_NS0_5tupleIJPjSI_NS0_16reverse_iteratorISI_EEEEENSH_IJSG_SG_SG_EEES9_SI_JZNS1_25segmented_radix_sort_implINS0_14default_configELb0EPKiPiPKlPlN2at6native12_GLOBAL__N_18offset_tEEE10hipError_tPvRmT1_PNSt15iterator_traitsIS12_E10value_typeET2_T3_PNS13_IS18_E10value_typeET4_jRbjT5_S1E_jjP12ihipStream_tbEUljE_ZNSN_ISO_Lb0ESQ_SR_ST_SU_SY_EESZ_S10_S11_S12_S16_S17_S18_S1B_S1C_jS1D_jS1E_S1E_jjS1G_bEUljE0_EEESZ_S10_S11_S18_S1C_S1E_T6_T7_T9_mT8_S1G_bDpT10_ENKUlT_T0_E_clISt17integral_constantIbLb1EES1U_EEDaS1P_S1Q_EUlS1P_E_NS1_11comp_targetILNS1_3genE10ELNS1_11target_archE1200ELNS1_3gpuE4ELNS1_3repE0EEENS1_30default_config_static_selectorELNS0_4arch9wavefront6targetE1EEEvS12_, .Lfunc_end549-_ZN7rocprim17ROCPRIM_400000_NS6detail17trampoline_kernelINS0_13select_configILj256ELj13ELNS0_17block_load_methodE3ELS4_3ELS4_3ELNS0_20block_scan_algorithmE0ELj4294967295EEENS1_25partition_config_selectorILNS1_17partition_subalgoE4EjNS0_10empty_typeEbEEZZNS1_14partition_implILS8_4ELb0ES6_15HIP_vector_typeIjLj2EENS0_17counting_iteratorIjlEEPS9_SG_NS0_5tupleIJPjSI_NS0_16reverse_iteratorISI_EEEEENSH_IJSG_SG_SG_EEES9_SI_JZNS1_25segmented_radix_sort_implINS0_14default_configELb0EPKiPiPKlPlN2at6native12_GLOBAL__N_18offset_tEEE10hipError_tPvRmT1_PNSt15iterator_traitsIS12_E10value_typeET2_T3_PNS13_IS18_E10value_typeET4_jRbjT5_S1E_jjP12ihipStream_tbEUljE_ZNSN_ISO_Lb0ESQ_SR_ST_SU_SY_EESZ_S10_S11_S12_S16_S17_S18_S1B_S1C_jS1D_jS1E_S1E_jjS1G_bEUljE0_EEESZ_S10_S11_S18_S1C_S1E_T6_T7_T9_mT8_S1G_bDpT10_ENKUlT_T0_E_clISt17integral_constantIbLb1EES1U_EEDaS1P_S1Q_EUlS1P_E_NS1_11comp_targetILNS1_3genE10ELNS1_11target_archE1200ELNS1_3gpuE4ELNS1_3repE0EEENS1_30default_config_static_selectorELNS0_4arch9wavefront6targetE1EEEvS12_
                                        ; -- End function
	.set _ZN7rocprim17ROCPRIM_400000_NS6detail17trampoline_kernelINS0_13select_configILj256ELj13ELNS0_17block_load_methodE3ELS4_3ELS4_3ELNS0_20block_scan_algorithmE0ELj4294967295EEENS1_25partition_config_selectorILNS1_17partition_subalgoE4EjNS0_10empty_typeEbEEZZNS1_14partition_implILS8_4ELb0ES6_15HIP_vector_typeIjLj2EENS0_17counting_iteratorIjlEEPS9_SG_NS0_5tupleIJPjSI_NS0_16reverse_iteratorISI_EEEEENSH_IJSG_SG_SG_EEES9_SI_JZNS1_25segmented_radix_sort_implINS0_14default_configELb0EPKiPiPKlPlN2at6native12_GLOBAL__N_18offset_tEEE10hipError_tPvRmT1_PNSt15iterator_traitsIS12_E10value_typeET2_T3_PNS13_IS18_E10value_typeET4_jRbjT5_S1E_jjP12ihipStream_tbEUljE_ZNSN_ISO_Lb0ESQ_SR_ST_SU_SY_EESZ_S10_S11_S12_S16_S17_S18_S1B_S1C_jS1D_jS1E_S1E_jjS1G_bEUljE0_EEESZ_S10_S11_S18_S1C_S1E_T6_T7_T9_mT8_S1G_bDpT10_ENKUlT_T0_E_clISt17integral_constantIbLb1EES1U_EEDaS1P_S1Q_EUlS1P_E_NS1_11comp_targetILNS1_3genE10ELNS1_11target_archE1200ELNS1_3gpuE4ELNS1_3repE0EEENS1_30default_config_static_selectorELNS0_4arch9wavefront6targetE1EEEvS12_.num_vgpr, 0
	.set _ZN7rocprim17ROCPRIM_400000_NS6detail17trampoline_kernelINS0_13select_configILj256ELj13ELNS0_17block_load_methodE3ELS4_3ELS4_3ELNS0_20block_scan_algorithmE0ELj4294967295EEENS1_25partition_config_selectorILNS1_17partition_subalgoE4EjNS0_10empty_typeEbEEZZNS1_14partition_implILS8_4ELb0ES6_15HIP_vector_typeIjLj2EENS0_17counting_iteratorIjlEEPS9_SG_NS0_5tupleIJPjSI_NS0_16reverse_iteratorISI_EEEEENSH_IJSG_SG_SG_EEES9_SI_JZNS1_25segmented_radix_sort_implINS0_14default_configELb0EPKiPiPKlPlN2at6native12_GLOBAL__N_18offset_tEEE10hipError_tPvRmT1_PNSt15iterator_traitsIS12_E10value_typeET2_T3_PNS13_IS18_E10value_typeET4_jRbjT5_S1E_jjP12ihipStream_tbEUljE_ZNSN_ISO_Lb0ESQ_SR_ST_SU_SY_EESZ_S10_S11_S12_S16_S17_S18_S1B_S1C_jS1D_jS1E_S1E_jjS1G_bEUljE0_EEESZ_S10_S11_S18_S1C_S1E_T6_T7_T9_mT8_S1G_bDpT10_ENKUlT_T0_E_clISt17integral_constantIbLb1EES1U_EEDaS1P_S1Q_EUlS1P_E_NS1_11comp_targetILNS1_3genE10ELNS1_11target_archE1200ELNS1_3gpuE4ELNS1_3repE0EEENS1_30default_config_static_selectorELNS0_4arch9wavefront6targetE1EEEvS12_.num_agpr, 0
	.set _ZN7rocprim17ROCPRIM_400000_NS6detail17trampoline_kernelINS0_13select_configILj256ELj13ELNS0_17block_load_methodE3ELS4_3ELS4_3ELNS0_20block_scan_algorithmE0ELj4294967295EEENS1_25partition_config_selectorILNS1_17partition_subalgoE4EjNS0_10empty_typeEbEEZZNS1_14partition_implILS8_4ELb0ES6_15HIP_vector_typeIjLj2EENS0_17counting_iteratorIjlEEPS9_SG_NS0_5tupleIJPjSI_NS0_16reverse_iteratorISI_EEEEENSH_IJSG_SG_SG_EEES9_SI_JZNS1_25segmented_radix_sort_implINS0_14default_configELb0EPKiPiPKlPlN2at6native12_GLOBAL__N_18offset_tEEE10hipError_tPvRmT1_PNSt15iterator_traitsIS12_E10value_typeET2_T3_PNS13_IS18_E10value_typeET4_jRbjT5_S1E_jjP12ihipStream_tbEUljE_ZNSN_ISO_Lb0ESQ_SR_ST_SU_SY_EESZ_S10_S11_S12_S16_S17_S18_S1B_S1C_jS1D_jS1E_S1E_jjS1G_bEUljE0_EEESZ_S10_S11_S18_S1C_S1E_T6_T7_T9_mT8_S1G_bDpT10_ENKUlT_T0_E_clISt17integral_constantIbLb1EES1U_EEDaS1P_S1Q_EUlS1P_E_NS1_11comp_targetILNS1_3genE10ELNS1_11target_archE1200ELNS1_3gpuE4ELNS1_3repE0EEENS1_30default_config_static_selectorELNS0_4arch9wavefront6targetE1EEEvS12_.numbered_sgpr, 0
	.set _ZN7rocprim17ROCPRIM_400000_NS6detail17trampoline_kernelINS0_13select_configILj256ELj13ELNS0_17block_load_methodE3ELS4_3ELS4_3ELNS0_20block_scan_algorithmE0ELj4294967295EEENS1_25partition_config_selectorILNS1_17partition_subalgoE4EjNS0_10empty_typeEbEEZZNS1_14partition_implILS8_4ELb0ES6_15HIP_vector_typeIjLj2EENS0_17counting_iteratorIjlEEPS9_SG_NS0_5tupleIJPjSI_NS0_16reverse_iteratorISI_EEEEENSH_IJSG_SG_SG_EEES9_SI_JZNS1_25segmented_radix_sort_implINS0_14default_configELb0EPKiPiPKlPlN2at6native12_GLOBAL__N_18offset_tEEE10hipError_tPvRmT1_PNSt15iterator_traitsIS12_E10value_typeET2_T3_PNS13_IS18_E10value_typeET4_jRbjT5_S1E_jjP12ihipStream_tbEUljE_ZNSN_ISO_Lb0ESQ_SR_ST_SU_SY_EESZ_S10_S11_S12_S16_S17_S18_S1B_S1C_jS1D_jS1E_S1E_jjS1G_bEUljE0_EEESZ_S10_S11_S18_S1C_S1E_T6_T7_T9_mT8_S1G_bDpT10_ENKUlT_T0_E_clISt17integral_constantIbLb1EES1U_EEDaS1P_S1Q_EUlS1P_E_NS1_11comp_targetILNS1_3genE10ELNS1_11target_archE1200ELNS1_3gpuE4ELNS1_3repE0EEENS1_30default_config_static_selectorELNS0_4arch9wavefront6targetE1EEEvS12_.num_named_barrier, 0
	.set _ZN7rocprim17ROCPRIM_400000_NS6detail17trampoline_kernelINS0_13select_configILj256ELj13ELNS0_17block_load_methodE3ELS4_3ELS4_3ELNS0_20block_scan_algorithmE0ELj4294967295EEENS1_25partition_config_selectorILNS1_17partition_subalgoE4EjNS0_10empty_typeEbEEZZNS1_14partition_implILS8_4ELb0ES6_15HIP_vector_typeIjLj2EENS0_17counting_iteratorIjlEEPS9_SG_NS0_5tupleIJPjSI_NS0_16reverse_iteratorISI_EEEEENSH_IJSG_SG_SG_EEES9_SI_JZNS1_25segmented_radix_sort_implINS0_14default_configELb0EPKiPiPKlPlN2at6native12_GLOBAL__N_18offset_tEEE10hipError_tPvRmT1_PNSt15iterator_traitsIS12_E10value_typeET2_T3_PNS13_IS18_E10value_typeET4_jRbjT5_S1E_jjP12ihipStream_tbEUljE_ZNSN_ISO_Lb0ESQ_SR_ST_SU_SY_EESZ_S10_S11_S12_S16_S17_S18_S1B_S1C_jS1D_jS1E_S1E_jjS1G_bEUljE0_EEESZ_S10_S11_S18_S1C_S1E_T6_T7_T9_mT8_S1G_bDpT10_ENKUlT_T0_E_clISt17integral_constantIbLb1EES1U_EEDaS1P_S1Q_EUlS1P_E_NS1_11comp_targetILNS1_3genE10ELNS1_11target_archE1200ELNS1_3gpuE4ELNS1_3repE0EEENS1_30default_config_static_selectorELNS0_4arch9wavefront6targetE1EEEvS12_.private_seg_size, 0
	.set _ZN7rocprim17ROCPRIM_400000_NS6detail17trampoline_kernelINS0_13select_configILj256ELj13ELNS0_17block_load_methodE3ELS4_3ELS4_3ELNS0_20block_scan_algorithmE0ELj4294967295EEENS1_25partition_config_selectorILNS1_17partition_subalgoE4EjNS0_10empty_typeEbEEZZNS1_14partition_implILS8_4ELb0ES6_15HIP_vector_typeIjLj2EENS0_17counting_iteratorIjlEEPS9_SG_NS0_5tupleIJPjSI_NS0_16reverse_iteratorISI_EEEEENSH_IJSG_SG_SG_EEES9_SI_JZNS1_25segmented_radix_sort_implINS0_14default_configELb0EPKiPiPKlPlN2at6native12_GLOBAL__N_18offset_tEEE10hipError_tPvRmT1_PNSt15iterator_traitsIS12_E10value_typeET2_T3_PNS13_IS18_E10value_typeET4_jRbjT5_S1E_jjP12ihipStream_tbEUljE_ZNSN_ISO_Lb0ESQ_SR_ST_SU_SY_EESZ_S10_S11_S12_S16_S17_S18_S1B_S1C_jS1D_jS1E_S1E_jjS1G_bEUljE0_EEESZ_S10_S11_S18_S1C_S1E_T6_T7_T9_mT8_S1G_bDpT10_ENKUlT_T0_E_clISt17integral_constantIbLb1EES1U_EEDaS1P_S1Q_EUlS1P_E_NS1_11comp_targetILNS1_3genE10ELNS1_11target_archE1200ELNS1_3gpuE4ELNS1_3repE0EEENS1_30default_config_static_selectorELNS0_4arch9wavefront6targetE1EEEvS12_.uses_vcc, 0
	.set _ZN7rocprim17ROCPRIM_400000_NS6detail17trampoline_kernelINS0_13select_configILj256ELj13ELNS0_17block_load_methodE3ELS4_3ELS4_3ELNS0_20block_scan_algorithmE0ELj4294967295EEENS1_25partition_config_selectorILNS1_17partition_subalgoE4EjNS0_10empty_typeEbEEZZNS1_14partition_implILS8_4ELb0ES6_15HIP_vector_typeIjLj2EENS0_17counting_iteratorIjlEEPS9_SG_NS0_5tupleIJPjSI_NS0_16reverse_iteratorISI_EEEEENSH_IJSG_SG_SG_EEES9_SI_JZNS1_25segmented_radix_sort_implINS0_14default_configELb0EPKiPiPKlPlN2at6native12_GLOBAL__N_18offset_tEEE10hipError_tPvRmT1_PNSt15iterator_traitsIS12_E10value_typeET2_T3_PNS13_IS18_E10value_typeET4_jRbjT5_S1E_jjP12ihipStream_tbEUljE_ZNSN_ISO_Lb0ESQ_SR_ST_SU_SY_EESZ_S10_S11_S12_S16_S17_S18_S1B_S1C_jS1D_jS1E_S1E_jjS1G_bEUljE0_EEESZ_S10_S11_S18_S1C_S1E_T6_T7_T9_mT8_S1G_bDpT10_ENKUlT_T0_E_clISt17integral_constantIbLb1EES1U_EEDaS1P_S1Q_EUlS1P_E_NS1_11comp_targetILNS1_3genE10ELNS1_11target_archE1200ELNS1_3gpuE4ELNS1_3repE0EEENS1_30default_config_static_selectorELNS0_4arch9wavefront6targetE1EEEvS12_.uses_flat_scratch, 0
	.set _ZN7rocprim17ROCPRIM_400000_NS6detail17trampoline_kernelINS0_13select_configILj256ELj13ELNS0_17block_load_methodE3ELS4_3ELS4_3ELNS0_20block_scan_algorithmE0ELj4294967295EEENS1_25partition_config_selectorILNS1_17partition_subalgoE4EjNS0_10empty_typeEbEEZZNS1_14partition_implILS8_4ELb0ES6_15HIP_vector_typeIjLj2EENS0_17counting_iteratorIjlEEPS9_SG_NS0_5tupleIJPjSI_NS0_16reverse_iteratorISI_EEEEENSH_IJSG_SG_SG_EEES9_SI_JZNS1_25segmented_radix_sort_implINS0_14default_configELb0EPKiPiPKlPlN2at6native12_GLOBAL__N_18offset_tEEE10hipError_tPvRmT1_PNSt15iterator_traitsIS12_E10value_typeET2_T3_PNS13_IS18_E10value_typeET4_jRbjT5_S1E_jjP12ihipStream_tbEUljE_ZNSN_ISO_Lb0ESQ_SR_ST_SU_SY_EESZ_S10_S11_S12_S16_S17_S18_S1B_S1C_jS1D_jS1E_S1E_jjS1G_bEUljE0_EEESZ_S10_S11_S18_S1C_S1E_T6_T7_T9_mT8_S1G_bDpT10_ENKUlT_T0_E_clISt17integral_constantIbLb1EES1U_EEDaS1P_S1Q_EUlS1P_E_NS1_11comp_targetILNS1_3genE10ELNS1_11target_archE1200ELNS1_3gpuE4ELNS1_3repE0EEENS1_30default_config_static_selectorELNS0_4arch9wavefront6targetE1EEEvS12_.has_dyn_sized_stack, 0
	.set _ZN7rocprim17ROCPRIM_400000_NS6detail17trampoline_kernelINS0_13select_configILj256ELj13ELNS0_17block_load_methodE3ELS4_3ELS4_3ELNS0_20block_scan_algorithmE0ELj4294967295EEENS1_25partition_config_selectorILNS1_17partition_subalgoE4EjNS0_10empty_typeEbEEZZNS1_14partition_implILS8_4ELb0ES6_15HIP_vector_typeIjLj2EENS0_17counting_iteratorIjlEEPS9_SG_NS0_5tupleIJPjSI_NS0_16reverse_iteratorISI_EEEEENSH_IJSG_SG_SG_EEES9_SI_JZNS1_25segmented_radix_sort_implINS0_14default_configELb0EPKiPiPKlPlN2at6native12_GLOBAL__N_18offset_tEEE10hipError_tPvRmT1_PNSt15iterator_traitsIS12_E10value_typeET2_T3_PNS13_IS18_E10value_typeET4_jRbjT5_S1E_jjP12ihipStream_tbEUljE_ZNSN_ISO_Lb0ESQ_SR_ST_SU_SY_EESZ_S10_S11_S12_S16_S17_S18_S1B_S1C_jS1D_jS1E_S1E_jjS1G_bEUljE0_EEESZ_S10_S11_S18_S1C_S1E_T6_T7_T9_mT8_S1G_bDpT10_ENKUlT_T0_E_clISt17integral_constantIbLb1EES1U_EEDaS1P_S1Q_EUlS1P_E_NS1_11comp_targetILNS1_3genE10ELNS1_11target_archE1200ELNS1_3gpuE4ELNS1_3repE0EEENS1_30default_config_static_selectorELNS0_4arch9wavefront6targetE1EEEvS12_.has_recursion, 0
	.set _ZN7rocprim17ROCPRIM_400000_NS6detail17trampoline_kernelINS0_13select_configILj256ELj13ELNS0_17block_load_methodE3ELS4_3ELS4_3ELNS0_20block_scan_algorithmE0ELj4294967295EEENS1_25partition_config_selectorILNS1_17partition_subalgoE4EjNS0_10empty_typeEbEEZZNS1_14partition_implILS8_4ELb0ES6_15HIP_vector_typeIjLj2EENS0_17counting_iteratorIjlEEPS9_SG_NS0_5tupleIJPjSI_NS0_16reverse_iteratorISI_EEEEENSH_IJSG_SG_SG_EEES9_SI_JZNS1_25segmented_radix_sort_implINS0_14default_configELb0EPKiPiPKlPlN2at6native12_GLOBAL__N_18offset_tEEE10hipError_tPvRmT1_PNSt15iterator_traitsIS12_E10value_typeET2_T3_PNS13_IS18_E10value_typeET4_jRbjT5_S1E_jjP12ihipStream_tbEUljE_ZNSN_ISO_Lb0ESQ_SR_ST_SU_SY_EESZ_S10_S11_S12_S16_S17_S18_S1B_S1C_jS1D_jS1E_S1E_jjS1G_bEUljE0_EEESZ_S10_S11_S18_S1C_S1E_T6_T7_T9_mT8_S1G_bDpT10_ENKUlT_T0_E_clISt17integral_constantIbLb1EES1U_EEDaS1P_S1Q_EUlS1P_E_NS1_11comp_targetILNS1_3genE10ELNS1_11target_archE1200ELNS1_3gpuE4ELNS1_3repE0EEENS1_30default_config_static_selectorELNS0_4arch9wavefront6targetE1EEEvS12_.has_indirect_call, 0
	.section	.AMDGPU.csdata,"",@progbits
; Kernel info:
; codeLenInByte = 0
; TotalNumSgprs: 4
; NumVgprs: 0
; ScratchSize: 0
; MemoryBound: 0
; FloatMode: 240
; IeeeMode: 1
; LDSByteSize: 0 bytes/workgroup (compile time only)
; SGPRBlocks: 0
; VGPRBlocks: 0
; NumSGPRsForWavesPerEU: 4
; NumVGPRsForWavesPerEU: 1
; Occupancy: 10
; WaveLimiterHint : 0
; COMPUTE_PGM_RSRC2:SCRATCH_EN: 0
; COMPUTE_PGM_RSRC2:USER_SGPR: 6
; COMPUTE_PGM_RSRC2:TRAP_HANDLER: 0
; COMPUTE_PGM_RSRC2:TGID_X_EN: 1
; COMPUTE_PGM_RSRC2:TGID_Y_EN: 0
; COMPUTE_PGM_RSRC2:TGID_Z_EN: 0
; COMPUTE_PGM_RSRC2:TIDIG_COMP_CNT: 0
	.section	.text._ZN7rocprim17ROCPRIM_400000_NS6detail17trampoline_kernelINS0_13select_configILj256ELj13ELNS0_17block_load_methodE3ELS4_3ELS4_3ELNS0_20block_scan_algorithmE0ELj4294967295EEENS1_25partition_config_selectorILNS1_17partition_subalgoE4EjNS0_10empty_typeEbEEZZNS1_14partition_implILS8_4ELb0ES6_15HIP_vector_typeIjLj2EENS0_17counting_iteratorIjlEEPS9_SG_NS0_5tupleIJPjSI_NS0_16reverse_iteratorISI_EEEEENSH_IJSG_SG_SG_EEES9_SI_JZNS1_25segmented_radix_sort_implINS0_14default_configELb0EPKiPiPKlPlN2at6native12_GLOBAL__N_18offset_tEEE10hipError_tPvRmT1_PNSt15iterator_traitsIS12_E10value_typeET2_T3_PNS13_IS18_E10value_typeET4_jRbjT5_S1E_jjP12ihipStream_tbEUljE_ZNSN_ISO_Lb0ESQ_SR_ST_SU_SY_EESZ_S10_S11_S12_S16_S17_S18_S1B_S1C_jS1D_jS1E_S1E_jjS1G_bEUljE0_EEESZ_S10_S11_S18_S1C_S1E_T6_T7_T9_mT8_S1G_bDpT10_ENKUlT_T0_E_clISt17integral_constantIbLb1EES1U_EEDaS1P_S1Q_EUlS1P_E_NS1_11comp_targetILNS1_3genE9ELNS1_11target_archE1100ELNS1_3gpuE3ELNS1_3repE0EEENS1_30default_config_static_selectorELNS0_4arch9wavefront6targetE1EEEvS12_,"axG",@progbits,_ZN7rocprim17ROCPRIM_400000_NS6detail17trampoline_kernelINS0_13select_configILj256ELj13ELNS0_17block_load_methodE3ELS4_3ELS4_3ELNS0_20block_scan_algorithmE0ELj4294967295EEENS1_25partition_config_selectorILNS1_17partition_subalgoE4EjNS0_10empty_typeEbEEZZNS1_14partition_implILS8_4ELb0ES6_15HIP_vector_typeIjLj2EENS0_17counting_iteratorIjlEEPS9_SG_NS0_5tupleIJPjSI_NS0_16reverse_iteratorISI_EEEEENSH_IJSG_SG_SG_EEES9_SI_JZNS1_25segmented_radix_sort_implINS0_14default_configELb0EPKiPiPKlPlN2at6native12_GLOBAL__N_18offset_tEEE10hipError_tPvRmT1_PNSt15iterator_traitsIS12_E10value_typeET2_T3_PNS13_IS18_E10value_typeET4_jRbjT5_S1E_jjP12ihipStream_tbEUljE_ZNSN_ISO_Lb0ESQ_SR_ST_SU_SY_EESZ_S10_S11_S12_S16_S17_S18_S1B_S1C_jS1D_jS1E_S1E_jjS1G_bEUljE0_EEESZ_S10_S11_S18_S1C_S1E_T6_T7_T9_mT8_S1G_bDpT10_ENKUlT_T0_E_clISt17integral_constantIbLb1EES1U_EEDaS1P_S1Q_EUlS1P_E_NS1_11comp_targetILNS1_3genE9ELNS1_11target_archE1100ELNS1_3gpuE3ELNS1_3repE0EEENS1_30default_config_static_selectorELNS0_4arch9wavefront6targetE1EEEvS12_,comdat
	.globl	_ZN7rocprim17ROCPRIM_400000_NS6detail17trampoline_kernelINS0_13select_configILj256ELj13ELNS0_17block_load_methodE3ELS4_3ELS4_3ELNS0_20block_scan_algorithmE0ELj4294967295EEENS1_25partition_config_selectorILNS1_17partition_subalgoE4EjNS0_10empty_typeEbEEZZNS1_14partition_implILS8_4ELb0ES6_15HIP_vector_typeIjLj2EENS0_17counting_iteratorIjlEEPS9_SG_NS0_5tupleIJPjSI_NS0_16reverse_iteratorISI_EEEEENSH_IJSG_SG_SG_EEES9_SI_JZNS1_25segmented_radix_sort_implINS0_14default_configELb0EPKiPiPKlPlN2at6native12_GLOBAL__N_18offset_tEEE10hipError_tPvRmT1_PNSt15iterator_traitsIS12_E10value_typeET2_T3_PNS13_IS18_E10value_typeET4_jRbjT5_S1E_jjP12ihipStream_tbEUljE_ZNSN_ISO_Lb0ESQ_SR_ST_SU_SY_EESZ_S10_S11_S12_S16_S17_S18_S1B_S1C_jS1D_jS1E_S1E_jjS1G_bEUljE0_EEESZ_S10_S11_S18_S1C_S1E_T6_T7_T9_mT8_S1G_bDpT10_ENKUlT_T0_E_clISt17integral_constantIbLb1EES1U_EEDaS1P_S1Q_EUlS1P_E_NS1_11comp_targetILNS1_3genE9ELNS1_11target_archE1100ELNS1_3gpuE3ELNS1_3repE0EEENS1_30default_config_static_selectorELNS0_4arch9wavefront6targetE1EEEvS12_ ; -- Begin function _ZN7rocprim17ROCPRIM_400000_NS6detail17trampoline_kernelINS0_13select_configILj256ELj13ELNS0_17block_load_methodE3ELS4_3ELS4_3ELNS0_20block_scan_algorithmE0ELj4294967295EEENS1_25partition_config_selectorILNS1_17partition_subalgoE4EjNS0_10empty_typeEbEEZZNS1_14partition_implILS8_4ELb0ES6_15HIP_vector_typeIjLj2EENS0_17counting_iteratorIjlEEPS9_SG_NS0_5tupleIJPjSI_NS0_16reverse_iteratorISI_EEEEENSH_IJSG_SG_SG_EEES9_SI_JZNS1_25segmented_radix_sort_implINS0_14default_configELb0EPKiPiPKlPlN2at6native12_GLOBAL__N_18offset_tEEE10hipError_tPvRmT1_PNSt15iterator_traitsIS12_E10value_typeET2_T3_PNS13_IS18_E10value_typeET4_jRbjT5_S1E_jjP12ihipStream_tbEUljE_ZNSN_ISO_Lb0ESQ_SR_ST_SU_SY_EESZ_S10_S11_S12_S16_S17_S18_S1B_S1C_jS1D_jS1E_S1E_jjS1G_bEUljE0_EEESZ_S10_S11_S18_S1C_S1E_T6_T7_T9_mT8_S1G_bDpT10_ENKUlT_T0_E_clISt17integral_constantIbLb1EES1U_EEDaS1P_S1Q_EUlS1P_E_NS1_11comp_targetILNS1_3genE9ELNS1_11target_archE1100ELNS1_3gpuE3ELNS1_3repE0EEENS1_30default_config_static_selectorELNS0_4arch9wavefront6targetE1EEEvS12_
	.p2align	8
	.type	_ZN7rocprim17ROCPRIM_400000_NS6detail17trampoline_kernelINS0_13select_configILj256ELj13ELNS0_17block_load_methodE3ELS4_3ELS4_3ELNS0_20block_scan_algorithmE0ELj4294967295EEENS1_25partition_config_selectorILNS1_17partition_subalgoE4EjNS0_10empty_typeEbEEZZNS1_14partition_implILS8_4ELb0ES6_15HIP_vector_typeIjLj2EENS0_17counting_iteratorIjlEEPS9_SG_NS0_5tupleIJPjSI_NS0_16reverse_iteratorISI_EEEEENSH_IJSG_SG_SG_EEES9_SI_JZNS1_25segmented_radix_sort_implINS0_14default_configELb0EPKiPiPKlPlN2at6native12_GLOBAL__N_18offset_tEEE10hipError_tPvRmT1_PNSt15iterator_traitsIS12_E10value_typeET2_T3_PNS13_IS18_E10value_typeET4_jRbjT5_S1E_jjP12ihipStream_tbEUljE_ZNSN_ISO_Lb0ESQ_SR_ST_SU_SY_EESZ_S10_S11_S12_S16_S17_S18_S1B_S1C_jS1D_jS1E_S1E_jjS1G_bEUljE0_EEESZ_S10_S11_S18_S1C_S1E_T6_T7_T9_mT8_S1G_bDpT10_ENKUlT_T0_E_clISt17integral_constantIbLb1EES1U_EEDaS1P_S1Q_EUlS1P_E_NS1_11comp_targetILNS1_3genE9ELNS1_11target_archE1100ELNS1_3gpuE3ELNS1_3repE0EEENS1_30default_config_static_selectorELNS0_4arch9wavefront6targetE1EEEvS12_,@function
_ZN7rocprim17ROCPRIM_400000_NS6detail17trampoline_kernelINS0_13select_configILj256ELj13ELNS0_17block_load_methodE3ELS4_3ELS4_3ELNS0_20block_scan_algorithmE0ELj4294967295EEENS1_25partition_config_selectorILNS1_17partition_subalgoE4EjNS0_10empty_typeEbEEZZNS1_14partition_implILS8_4ELb0ES6_15HIP_vector_typeIjLj2EENS0_17counting_iteratorIjlEEPS9_SG_NS0_5tupleIJPjSI_NS0_16reverse_iteratorISI_EEEEENSH_IJSG_SG_SG_EEES9_SI_JZNS1_25segmented_radix_sort_implINS0_14default_configELb0EPKiPiPKlPlN2at6native12_GLOBAL__N_18offset_tEEE10hipError_tPvRmT1_PNSt15iterator_traitsIS12_E10value_typeET2_T3_PNS13_IS18_E10value_typeET4_jRbjT5_S1E_jjP12ihipStream_tbEUljE_ZNSN_ISO_Lb0ESQ_SR_ST_SU_SY_EESZ_S10_S11_S12_S16_S17_S18_S1B_S1C_jS1D_jS1E_S1E_jjS1G_bEUljE0_EEESZ_S10_S11_S18_S1C_S1E_T6_T7_T9_mT8_S1G_bDpT10_ENKUlT_T0_E_clISt17integral_constantIbLb1EES1U_EEDaS1P_S1Q_EUlS1P_E_NS1_11comp_targetILNS1_3genE9ELNS1_11target_archE1100ELNS1_3gpuE3ELNS1_3repE0EEENS1_30default_config_static_selectorELNS0_4arch9wavefront6targetE1EEEvS12_: ; @_ZN7rocprim17ROCPRIM_400000_NS6detail17trampoline_kernelINS0_13select_configILj256ELj13ELNS0_17block_load_methodE3ELS4_3ELS4_3ELNS0_20block_scan_algorithmE0ELj4294967295EEENS1_25partition_config_selectorILNS1_17partition_subalgoE4EjNS0_10empty_typeEbEEZZNS1_14partition_implILS8_4ELb0ES6_15HIP_vector_typeIjLj2EENS0_17counting_iteratorIjlEEPS9_SG_NS0_5tupleIJPjSI_NS0_16reverse_iteratorISI_EEEEENSH_IJSG_SG_SG_EEES9_SI_JZNS1_25segmented_radix_sort_implINS0_14default_configELb0EPKiPiPKlPlN2at6native12_GLOBAL__N_18offset_tEEE10hipError_tPvRmT1_PNSt15iterator_traitsIS12_E10value_typeET2_T3_PNS13_IS18_E10value_typeET4_jRbjT5_S1E_jjP12ihipStream_tbEUljE_ZNSN_ISO_Lb0ESQ_SR_ST_SU_SY_EESZ_S10_S11_S12_S16_S17_S18_S1B_S1C_jS1D_jS1E_S1E_jjS1G_bEUljE0_EEESZ_S10_S11_S18_S1C_S1E_T6_T7_T9_mT8_S1G_bDpT10_ENKUlT_T0_E_clISt17integral_constantIbLb1EES1U_EEDaS1P_S1Q_EUlS1P_E_NS1_11comp_targetILNS1_3genE9ELNS1_11target_archE1100ELNS1_3gpuE3ELNS1_3repE0EEENS1_30default_config_static_selectorELNS0_4arch9wavefront6targetE1EEEvS12_
; %bb.0:
	.section	.rodata,"a",@progbits
	.p2align	6, 0x0
	.amdhsa_kernel _ZN7rocprim17ROCPRIM_400000_NS6detail17trampoline_kernelINS0_13select_configILj256ELj13ELNS0_17block_load_methodE3ELS4_3ELS4_3ELNS0_20block_scan_algorithmE0ELj4294967295EEENS1_25partition_config_selectorILNS1_17partition_subalgoE4EjNS0_10empty_typeEbEEZZNS1_14partition_implILS8_4ELb0ES6_15HIP_vector_typeIjLj2EENS0_17counting_iteratorIjlEEPS9_SG_NS0_5tupleIJPjSI_NS0_16reverse_iteratorISI_EEEEENSH_IJSG_SG_SG_EEES9_SI_JZNS1_25segmented_radix_sort_implINS0_14default_configELb0EPKiPiPKlPlN2at6native12_GLOBAL__N_18offset_tEEE10hipError_tPvRmT1_PNSt15iterator_traitsIS12_E10value_typeET2_T3_PNS13_IS18_E10value_typeET4_jRbjT5_S1E_jjP12ihipStream_tbEUljE_ZNSN_ISO_Lb0ESQ_SR_ST_SU_SY_EESZ_S10_S11_S12_S16_S17_S18_S1B_S1C_jS1D_jS1E_S1E_jjS1G_bEUljE0_EEESZ_S10_S11_S18_S1C_S1E_T6_T7_T9_mT8_S1G_bDpT10_ENKUlT_T0_E_clISt17integral_constantIbLb1EES1U_EEDaS1P_S1Q_EUlS1P_E_NS1_11comp_targetILNS1_3genE9ELNS1_11target_archE1100ELNS1_3gpuE3ELNS1_3repE0EEENS1_30default_config_static_selectorELNS0_4arch9wavefront6targetE1EEEvS12_
		.amdhsa_group_segment_fixed_size 0
		.amdhsa_private_segment_fixed_size 0
		.amdhsa_kernarg_size 184
		.amdhsa_user_sgpr_count 6
		.amdhsa_user_sgpr_private_segment_buffer 1
		.amdhsa_user_sgpr_dispatch_ptr 0
		.amdhsa_user_sgpr_queue_ptr 0
		.amdhsa_user_sgpr_kernarg_segment_ptr 1
		.amdhsa_user_sgpr_dispatch_id 0
		.amdhsa_user_sgpr_flat_scratch_init 0
		.amdhsa_user_sgpr_private_segment_size 0
		.amdhsa_uses_dynamic_stack 0
		.amdhsa_system_sgpr_private_segment_wavefront_offset 0
		.amdhsa_system_sgpr_workgroup_id_x 1
		.amdhsa_system_sgpr_workgroup_id_y 0
		.amdhsa_system_sgpr_workgroup_id_z 0
		.amdhsa_system_sgpr_workgroup_info 0
		.amdhsa_system_vgpr_workitem_id 0
		.amdhsa_next_free_vgpr 1
		.amdhsa_next_free_sgpr 0
		.amdhsa_reserve_vcc 0
		.amdhsa_reserve_flat_scratch 0
		.amdhsa_float_round_mode_32 0
		.amdhsa_float_round_mode_16_64 0
		.amdhsa_float_denorm_mode_32 3
		.amdhsa_float_denorm_mode_16_64 3
		.amdhsa_dx10_clamp 1
		.amdhsa_ieee_mode 1
		.amdhsa_fp16_overflow 0
		.amdhsa_exception_fp_ieee_invalid_op 0
		.amdhsa_exception_fp_denorm_src 0
		.amdhsa_exception_fp_ieee_div_zero 0
		.amdhsa_exception_fp_ieee_overflow 0
		.amdhsa_exception_fp_ieee_underflow 0
		.amdhsa_exception_fp_ieee_inexact 0
		.amdhsa_exception_int_div_zero 0
	.end_amdhsa_kernel
	.section	.text._ZN7rocprim17ROCPRIM_400000_NS6detail17trampoline_kernelINS0_13select_configILj256ELj13ELNS0_17block_load_methodE3ELS4_3ELS4_3ELNS0_20block_scan_algorithmE0ELj4294967295EEENS1_25partition_config_selectorILNS1_17partition_subalgoE4EjNS0_10empty_typeEbEEZZNS1_14partition_implILS8_4ELb0ES6_15HIP_vector_typeIjLj2EENS0_17counting_iteratorIjlEEPS9_SG_NS0_5tupleIJPjSI_NS0_16reverse_iteratorISI_EEEEENSH_IJSG_SG_SG_EEES9_SI_JZNS1_25segmented_radix_sort_implINS0_14default_configELb0EPKiPiPKlPlN2at6native12_GLOBAL__N_18offset_tEEE10hipError_tPvRmT1_PNSt15iterator_traitsIS12_E10value_typeET2_T3_PNS13_IS18_E10value_typeET4_jRbjT5_S1E_jjP12ihipStream_tbEUljE_ZNSN_ISO_Lb0ESQ_SR_ST_SU_SY_EESZ_S10_S11_S12_S16_S17_S18_S1B_S1C_jS1D_jS1E_S1E_jjS1G_bEUljE0_EEESZ_S10_S11_S18_S1C_S1E_T6_T7_T9_mT8_S1G_bDpT10_ENKUlT_T0_E_clISt17integral_constantIbLb1EES1U_EEDaS1P_S1Q_EUlS1P_E_NS1_11comp_targetILNS1_3genE9ELNS1_11target_archE1100ELNS1_3gpuE3ELNS1_3repE0EEENS1_30default_config_static_selectorELNS0_4arch9wavefront6targetE1EEEvS12_,"axG",@progbits,_ZN7rocprim17ROCPRIM_400000_NS6detail17trampoline_kernelINS0_13select_configILj256ELj13ELNS0_17block_load_methodE3ELS4_3ELS4_3ELNS0_20block_scan_algorithmE0ELj4294967295EEENS1_25partition_config_selectorILNS1_17partition_subalgoE4EjNS0_10empty_typeEbEEZZNS1_14partition_implILS8_4ELb0ES6_15HIP_vector_typeIjLj2EENS0_17counting_iteratorIjlEEPS9_SG_NS0_5tupleIJPjSI_NS0_16reverse_iteratorISI_EEEEENSH_IJSG_SG_SG_EEES9_SI_JZNS1_25segmented_radix_sort_implINS0_14default_configELb0EPKiPiPKlPlN2at6native12_GLOBAL__N_18offset_tEEE10hipError_tPvRmT1_PNSt15iterator_traitsIS12_E10value_typeET2_T3_PNS13_IS18_E10value_typeET4_jRbjT5_S1E_jjP12ihipStream_tbEUljE_ZNSN_ISO_Lb0ESQ_SR_ST_SU_SY_EESZ_S10_S11_S12_S16_S17_S18_S1B_S1C_jS1D_jS1E_S1E_jjS1G_bEUljE0_EEESZ_S10_S11_S18_S1C_S1E_T6_T7_T9_mT8_S1G_bDpT10_ENKUlT_T0_E_clISt17integral_constantIbLb1EES1U_EEDaS1P_S1Q_EUlS1P_E_NS1_11comp_targetILNS1_3genE9ELNS1_11target_archE1100ELNS1_3gpuE3ELNS1_3repE0EEENS1_30default_config_static_selectorELNS0_4arch9wavefront6targetE1EEEvS12_,comdat
.Lfunc_end550:
	.size	_ZN7rocprim17ROCPRIM_400000_NS6detail17trampoline_kernelINS0_13select_configILj256ELj13ELNS0_17block_load_methodE3ELS4_3ELS4_3ELNS0_20block_scan_algorithmE0ELj4294967295EEENS1_25partition_config_selectorILNS1_17partition_subalgoE4EjNS0_10empty_typeEbEEZZNS1_14partition_implILS8_4ELb0ES6_15HIP_vector_typeIjLj2EENS0_17counting_iteratorIjlEEPS9_SG_NS0_5tupleIJPjSI_NS0_16reverse_iteratorISI_EEEEENSH_IJSG_SG_SG_EEES9_SI_JZNS1_25segmented_radix_sort_implINS0_14default_configELb0EPKiPiPKlPlN2at6native12_GLOBAL__N_18offset_tEEE10hipError_tPvRmT1_PNSt15iterator_traitsIS12_E10value_typeET2_T3_PNS13_IS18_E10value_typeET4_jRbjT5_S1E_jjP12ihipStream_tbEUljE_ZNSN_ISO_Lb0ESQ_SR_ST_SU_SY_EESZ_S10_S11_S12_S16_S17_S18_S1B_S1C_jS1D_jS1E_S1E_jjS1G_bEUljE0_EEESZ_S10_S11_S18_S1C_S1E_T6_T7_T9_mT8_S1G_bDpT10_ENKUlT_T0_E_clISt17integral_constantIbLb1EES1U_EEDaS1P_S1Q_EUlS1P_E_NS1_11comp_targetILNS1_3genE9ELNS1_11target_archE1100ELNS1_3gpuE3ELNS1_3repE0EEENS1_30default_config_static_selectorELNS0_4arch9wavefront6targetE1EEEvS12_, .Lfunc_end550-_ZN7rocprim17ROCPRIM_400000_NS6detail17trampoline_kernelINS0_13select_configILj256ELj13ELNS0_17block_load_methodE3ELS4_3ELS4_3ELNS0_20block_scan_algorithmE0ELj4294967295EEENS1_25partition_config_selectorILNS1_17partition_subalgoE4EjNS0_10empty_typeEbEEZZNS1_14partition_implILS8_4ELb0ES6_15HIP_vector_typeIjLj2EENS0_17counting_iteratorIjlEEPS9_SG_NS0_5tupleIJPjSI_NS0_16reverse_iteratorISI_EEEEENSH_IJSG_SG_SG_EEES9_SI_JZNS1_25segmented_radix_sort_implINS0_14default_configELb0EPKiPiPKlPlN2at6native12_GLOBAL__N_18offset_tEEE10hipError_tPvRmT1_PNSt15iterator_traitsIS12_E10value_typeET2_T3_PNS13_IS18_E10value_typeET4_jRbjT5_S1E_jjP12ihipStream_tbEUljE_ZNSN_ISO_Lb0ESQ_SR_ST_SU_SY_EESZ_S10_S11_S12_S16_S17_S18_S1B_S1C_jS1D_jS1E_S1E_jjS1G_bEUljE0_EEESZ_S10_S11_S18_S1C_S1E_T6_T7_T9_mT8_S1G_bDpT10_ENKUlT_T0_E_clISt17integral_constantIbLb1EES1U_EEDaS1P_S1Q_EUlS1P_E_NS1_11comp_targetILNS1_3genE9ELNS1_11target_archE1100ELNS1_3gpuE3ELNS1_3repE0EEENS1_30default_config_static_selectorELNS0_4arch9wavefront6targetE1EEEvS12_
                                        ; -- End function
	.set _ZN7rocprim17ROCPRIM_400000_NS6detail17trampoline_kernelINS0_13select_configILj256ELj13ELNS0_17block_load_methodE3ELS4_3ELS4_3ELNS0_20block_scan_algorithmE0ELj4294967295EEENS1_25partition_config_selectorILNS1_17partition_subalgoE4EjNS0_10empty_typeEbEEZZNS1_14partition_implILS8_4ELb0ES6_15HIP_vector_typeIjLj2EENS0_17counting_iteratorIjlEEPS9_SG_NS0_5tupleIJPjSI_NS0_16reverse_iteratorISI_EEEEENSH_IJSG_SG_SG_EEES9_SI_JZNS1_25segmented_radix_sort_implINS0_14default_configELb0EPKiPiPKlPlN2at6native12_GLOBAL__N_18offset_tEEE10hipError_tPvRmT1_PNSt15iterator_traitsIS12_E10value_typeET2_T3_PNS13_IS18_E10value_typeET4_jRbjT5_S1E_jjP12ihipStream_tbEUljE_ZNSN_ISO_Lb0ESQ_SR_ST_SU_SY_EESZ_S10_S11_S12_S16_S17_S18_S1B_S1C_jS1D_jS1E_S1E_jjS1G_bEUljE0_EEESZ_S10_S11_S18_S1C_S1E_T6_T7_T9_mT8_S1G_bDpT10_ENKUlT_T0_E_clISt17integral_constantIbLb1EES1U_EEDaS1P_S1Q_EUlS1P_E_NS1_11comp_targetILNS1_3genE9ELNS1_11target_archE1100ELNS1_3gpuE3ELNS1_3repE0EEENS1_30default_config_static_selectorELNS0_4arch9wavefront6targetE1EEEvS12_.num_vgpr, 0
	.set _ZN7rocprim17ROCPRIM_400000_NS6detail17trampoline_kernelINS0_13select_configILj256ELj13ELNS0_17block_load_methodE3ELS4_3ELS4_3ELNS0_20block_scan_algorithmE0ELj4294967295EEENS1_25partition_config_selectorILNS1_17partition_subalgoE4EjNS0_10empty_typeEbEEZZNS1_14partition_implILS8_4ELb0ES6_15HIP_vector_typeIjLj2EENS0_17counting_iteratorIjlEEPS9_SG_NS0_5tupleIJPjSI_NS0_16reverse_iteratorISI_EEEEENSH_IJSG_SG_SG_EEES9_SI_JZNS1_25segmented_radix_sort_implINS0_14default_configELb0EPKiPiPKlPlN2at6native12_GLOBAL__N_18offset_tEEE10hipError_tPvRmT1_PNSt15iterator_traitsIS12_E10value_typeET2_T3_PNS13_IS18_E10value_typeET4_jRbjT5_S1E_jjP12ihipStream_tbEUljE_ZNSN_ISO_Lb0ESQ_SR_ST_SU_SY_EESZ_S10_S11_S12_S16_S17_S18_S1B_S1C_jS1D_jS1E_S1E_jjS1G_bEUljE0_EEESZ_S10_S11_S18_S1C_S1E_T6_T7_T9_mT8_S1G_bDpT10_ENKUlT_T0_E_clISt17integral_constantIbLb1EES1U_EEDaS1P_S1Q_EUlS1P_E_NS1_11comp_targetILNS1_3genE9ELNS1_11target_archE1100ELNS1_3gpuE3ELNS1_3repE0EEENS1_30default_config_static_selectorELNS0_4arch9wavefront6targetE1EEEvS12_.num_agpr, 0
	.set _ZN7rocprim17ROCPRIM_400000_NS6detail17trampoline_kernelINS0_13select_configILj256ELj13ELNS0_17block_load_methodE3ELS4_3ELS4_3ELNS0_20block_scan_algorithmE0ELj4294967295EEENS1_25partition_config_selectorILNS1_17partition_subalgoE4EjNS0_10empty_typeEbEEZZNS1_14partition_implILS8_4ELb0ES6_15HIP_vector_typeIjLj2EENS0_17counting_iteratorIjlEEPS9_SG_NS0_5tupleIJPjSI_NS0_16reverse_iteratorISI_EEEEENSH_IJSG_SG_SG_EEES9_SI_JZNS1_25segmented_radix_sort_implINS0_14default_configELb0EPKiPiPKlPlN2at6native12_GLOBAL__N_18offset_tEEE10hipError_tPvRmT1_PNSt15iterator_traitsIS12_E10value_typeET2_T3_PNS13_IS18_E10value_typeET4_jRbjT5_S1E_jjP12ihipStream_tbEUljE_ZNSN_ISO_Lb0ESQ_SR_ST_SU_SY_EESZ_S10_S11_S12_S16_S17_S18_S1B_S1C_jS1D_jS1E_S1E_jjS1G_bEUljE0_EEESZ_S10_S11_S18_S1C_S1E_T6_T7_T9_mT8_S1G_bDpT10_ENKUlT_T0_E_clISt17integral_constantIbLb1EES1U_EEDaS1P_S1Q_EUlS1P_E_NS1_11comp_targetILNS1_3genE9ELNS1_11target_archE1100ELNS1_3gpuE3ELNS1_3repE0EEENS1_30default_config_static_selectorELNS0_4arch9wavefront6targetE1EEEvS12_.numbered_sgpr, 0
	.set _ZN7rocprim17ROCPRIM_400000_NS6detail17trampoline_kernelINS0_13select_configILj256ELj13ELNS0_17block_load_methodE3ELS4_3ELS4_3ELNS0_20block_scan_algorithmE0ELj4294967295EEENS1_25partition_config_selectorILNS1_17partition_subalgoE4EjNS0_10empty_typeEbEEZZNS1_14partition_implILS8_4ELb0ES6_15HIP_vector_typeIjLj2EENS0_17counting_iteratorIjlEEPS9_SG_NS0_5tupleIJPjSI_NS0_16reverse_iteratorISI_EEEEENSH_IJSG_SG_SG_EEES9_SI_JZNS1_25segmented_radix_sort_implINS0_14default_configELb0EPKiPiPKlPlN2at6native12_GLOBAL__N_18offset_tEEE10hipError_tPvRmT1_PNSt15iterator_traitsIS12_E10value_typeET2_T3_PNS13_IS18_E10value_typeET4_jRbjT5_S1E_jjP12ihipStream_tbEUljE_ZNSN_ISO_Lb0ESQ_SR_ST_SU_SY_EESZ_S10_S11_S12_S16_S17_S18_S1B_S1C_jS1D_jS1E_S1E_jjS1G_bEUljE0_EEESZ_S10_S11_S18_S1C_S1E_T6_T7_T9_mT8_S1G_bDpT10_ENKUlT_T0_E_clISt17integral_constantIbLb1EES1U_EEDaS1P_S1Q_EUlS1P_E_NS1_11comp_targetILNS1_3genE9ELNS1_11target_archE1100ELNS1_3gpuE3ELNS1_3repE0EEENS1_30default_config_static_selectorELNS0_4arch9wavefront6targetE1EEEvS12_.num_named_barrier, 0
	.set _ZN7rocprim17ROCPRIM_400000_NS6detail17trampoline_kernelINS0_13select_configILj256ELj13ELNS0_17block_load_methodE3ELS4_3ELS4_3ELNS0_20block_scan_algorithmE0ELj4294967295EEENS1_25partition_config_selectorILNS1_17partition_subalgoE4EjNS0_10empty_typeEbEEZZNS1_14partition_implILS8_4ELb0ES6_15HIP_vector_typeIjLj2EENS0_17counting_iteratorIjlEEPS9_SG_NS0_5tupleIJPjSI_NS0_16reverse_iteratorISI_EEEEENSH_IJSG_SG_SG_EEES9_SI_JZNS1_25segmented_radix_sort_implINS0_14default_configELb0EPKiPiPKlPlN2at6native12_GLOBAL__N_18offset_tEEE10hipError_tPvRmT1_PNSt15iterator_traitsIS12_E10value_typeET2_T3_PNS13_IS18_E10value_typeET4_jRbjT5_S1E_jjP12ihipStream_tbEUljE_ZNSN_ISO_Lb0ESQ_SR_ST_SU_SY_EESZ_S10_S11_S12_S16_S17_S18_S1B_S1C_jS1D_jS1E_S1E_jjS1G_bEUljE0_EEESZ_S10_S11_S18_S1C_S1E_T6_T7_T9_mT8_S1G_bDpT10_ENKUlT_T0_E_clISt17integral_constantIbLb1EES1U_EEDaS1P_S1Q_EUlS1P_E_NS1_11comp_targetILNS1_3genE9ELNS1_11target_archE1100ELNS1_3gpuE3ELNS1_3repE0EEENS1_30default_config_static_selectorELNS0_4arch9wavefront6targetE1EEEvS12_.private_seg_size, 0
	.set _ZN7rocprim17ROCPRIM_400000_NS6detail17trampoline_kernelINS0_13select_configILj256ELj13ELNS0_17block_load_methodE3ELS4_3ELS4_3ELNS0_20block_scan_algorithmE0ELj4294967295EEENS1_25partition_config_selectorILNS1_17partition_subalgoE4EjNS0_10empty_typeEbEEZZNS1_14partition_implILS8_4ELb0ES6_15HIP_vector_typeIjLj2EENS0_17counting_iteratorIjlEEPS9_SG_NS0_5tupleIJPjSI_NS0_16reverse_iteratorISI_EEEEENSH_IJSG_SG_SG_EEES9_SI_JZNS1_25segmented_radix_sort_implINS0_14default_configELb0EPKiPiPKlPlN2at6native12_GLOBAL__N_18offset_tEEE10hipError_tPvRmT1_PNSt15iterator_traitsIS12_E10value_typeET2_T3_PNS13_IS18_E10value_typeET4_jRbjT5_S1E_jjP12ihipStream_tbEUljE_ZNSN_ISO_Lb0ESQ_SR_ST_SU_SY_EESZ_S10_S11_S12_S16_S17_S18_S1B_S1C_jS1D_jS1E_S1E_jjS1G_bEUljE0_EEESZ_S10_S11_S18_S1C_S1E_T6_T7_T9_mT8_S1G_bDpT10_ENKUlT_T0_E_clISt17integral_constantIbLb1EES1U_EEDaS1P_S1Q_EUlS1P_E_NS1_11comp_targetILNS1_3genE9ELNS1_11target_archE1100ELNS1_3gpuE3ELNS1_3repE0EEENS1_30default_config_static_selectorELNS0_4arch9wavefront6targetE1EEEvS12_.uses_vcc, 0
	.set _ZN7rocprim17ROCPRIM_400000_NS6detail17trampoline_kernelINS0_13select_configILj256ELj13ELNS0_17block_load_methodE3ELS4_3ELS4_3ELNS0_20block_scan_algorithmE0ELj4294967295EEENS1_25partition_config_selectorILNS1_17partition_subalgoE4EjNS0_10empty_typeEbEEZZNS1_14partition_implILS8_4ELb0ES6_15HIP_vector_typeIjLj2EENS0_17counting_iteratorIjlEEPS9_SG_NS0_5tupleIJPjSI_NS0_16reverse_iteratorISI_EEEEENSH_IJSG_SG_SG_EEES9_SI_JZNS1_25segmented_radix_sort_implINS0_14default_configELb0EPKiPiPKlPlN2at6native12_GLOBAL__N_18offset_tEEE10hipError_tPvRmT1_PNSt15iterator_traitsIS12_E10value_typeET2_T3_PNS13_IS18_E10value_typeET4_jRbjT5_S1E_jjP12ihipStream_tbEUljE_ZNSN_ISO_Lb0ESQ_SR_ST_SU_SY_EESZ_S10_S11_S12_S16_S17_S18_S1B_S1C_jS1D_jS1E_S1E_jjS1G_bEUljE0_EEESZ_S10_S11_S18_S1C_S1E_T6_T7_T9_mT8_S1G_bDpT10_ENKUlT_T0_E_clISt17integral_constantIbLb1EES1U_EEDaS1P_S1Q_EUlS1P_E_NS1_11comp_targetILNS1_3genE9ELNS1_11target_archE1100ELNS1_3gpuE3ELNS1_3repE0EEENS1_30default_config_static_selectorELNS0_4arch9wavefront6targetE1EEEvS12_.uses_flat_scratch, 0
	.set _ZN7rocprim17ROCPRIM_400000_NS6detail17trampoline_kernelINS0_13select_configILj256ELj13ELNS0_17block_load_methodE3ELS4_3ELS4_3ELNS0_20block_scan_algorithmE0ELj4294967295EEENS1_25partition_config_selectorILNS1_17partition_subalgoE4EjNS0_10empty_typeEbEEZZNS1_14partition_implILS8_4ELb0ES6_15HIP_vector_typeIjLj2EENS0_17counting_iteratorIjlEEPS9_SG_NS0_5tupleIJPjSI_NS0_16reverse_iteratorISI_EEEEENSH_IJSG_SG_SG_EEES9_SI_JZNS1_25segmented_radix_sort_implINS0_14default_configELb0EPKiPiPKlPlN2at6native12_GLOBAL__N_18offset_tEEE10hipError_tPvRmT1_PNSt15iterator_traitsIS12_E10value_typeET2_T3_PNS13_IS18_E10value_typeET4_jRbjT5_S1E_jjP12ihipStream_tbEUljE_ZNSN_ISO_Lb0ESQ_SR_ST_SU_SY_EESZ_S10_S11_S12_S16_S17_S18_S1B_S1C_jS1D_jS1E_S1E_jjS1G_bEUljE0_EEESZ_S10_S11_S18_S1C_S1E_T6_T7_T9_mT8_S1G_bDpT10_ENKUlT_T0_E_clISt17integral_constantIbLb1EES1U_EEDaS1P_S1Q_EUlS1P_E_NS1_11comp_targetILNS1_3genE9ELNS1_11target_archE1100ELNS1_3gpuE3ELNS1_3repE0EEENS1_30default_config_static_selectorELNS0_4arch9wavefront6targetE1EEEvS12_.has_dyn_sized_stack, 0
	.set _ZN7rocprim17ROCPRIM_400000_NS6detail17trampoline_kernelINS0_13select_configILj256ELj13ELNS0_17block_load_methodE3ELS4_3ELS4_3ELNS0_20block_scan_algorithmE0ELj4294967295EEENS1_25partition_config_selectorILNS1_17partition_subalgoE4EjNS0_10empty_typeEbEEZZNS1_14partition_implILS8_4ELb0ES6_15HIP_vector_typeIjLj2EENS0_17counting_iteratorIjlEEPS9_SG_NS0_5tupleIJPjSI_NS0_16reverse_iteratorISI_EEEEENSH_IJSG_SG_SG_EEES9_SI_JZNS1_25segmented_radix_sort_implINS0_14default_configELb0EPKiPiPKlPlN2at6native12_GLOBAL__N_18offset_tEEE10hipError_tPvRmT1_PNSt15iterator_traitsIS12_E10value_typeET2_T3_PNS13_IS18_E10value_typeET4_jRbjT5_S1E_jjP12ihipStream_tbEUljE_ZNSN_ISO_Lb0ESQ_SR_ST_SU_SY_EESZ_S10_S11_S12_S16_S17_S18_S1B_S1C_jS1D_jS1E_S1E_jjS1G_bEUljE0_EEESZ_S10_S11_S18_S1C_S1E_T6_T7_T9_mT8_S1G_bDpT10_ENKUlT_T0_E_clISt17integral_constantIbLb1EES1U_EEDaS1P_S1Q_EUlS1P_E_NS1_11comp_targetILNS1_3genE9ELNS1_11target_archE1100ELNS1_3gpuE3ELNS1_3repE0EEENS1_30default_config_static_selectorELNS0_4arch9wavefront6targetE1EEEvS12_.has_recursion, 0
	.set _ZN7rocprim17ROCPRIM_400000_NS6detail17trampoline_kernelINS0_13select_configILj256ELj13ELNS0_17block_load_methodE3ELS4_3ELS4_3ELNS0_20block_scan_algorithmE0ELj4294967295EEENS1_25partition_config_selectorILNS1_17partition_subalgoE4EjNS0_10empty_typeEbEEZZNS1_14partition_implILS8_4ELb0ES6_15HIP_vector_typeIjLj2EENS0_17counting_iteratorIjlEEPS9_SG_NS0_5tupleIJPjSI_NS0_16reverse_iteratorISI_EEEEENSH_IJSG_SG_SG_EEES9_SI_JZNS1_25segmented_radix_sort_implINS0_14default_configELb0EPKiPiPKlPlN2at6native12_GLOBAL__N_18offset_tEEE10hipError_tPvRmT1_PNSt15iterator_traitsIS12_E10value_typeET2_T3_PNS13_IS18_E10value_typeET4_jRbjT5_S1E_jjP12ihipStream_tbEUljE_ZNSN_ISO_Lb0ESQ_SR_ST_SU_SY_EESZ_S10_S11_S12_S16_S17_S18_S1B_S1C_jS1D_jS1E_S1E_jjS1G_bEUljE0_EEESZ_S10_S11_S18_S1C_S1E_T6_T7_T9_mT8_S1G_bDpT10_ENKUlT_T0_E_clISt17integral_constantIbLb1EES1U_EEDaS1P_S1Q_EUlS1P_E_NS1_11comp_targetILNS1_3genE9ELNS1_11target_archE1100ELNS1_3gpuE3ELNS1_3repE0EEENS1_30default_config_static_selectorELNS0_4arch9wavefront6targetE1EEEvS12_.has_indirect_call, 0
	.section	.AMDGPU.csdata,"",@progbits
; Kernel info:
; codeLenInByte = 0
; TotalNumSgprs: 4
; NumVgprs: 0
; ScratchSize: 0
; MemoryBound: 0
; FloatMode: 240
; IeeeMode: 1
; LDSByteSize: 0 bytes/workgroup (compile time only)
; SGPRBlocks: 0
; VGPRBlocks: 0
; NumSGPRsForWavesPerEU: 4
; NumVGPRsForWavesPerEU: 1
; Occupancy: 10
; WaveLimiterHint : 0
; COMPUTE_PGM_RSRC2:SCRATCH_EN: 0
; COMPUTE_PGM_RSRC2:USER_SGPR: 6
; COMPUTE_PGM_RSRC2:TRAP_HANDLER: 0
; COMPUTE_PGM_RSRC2:TGID_X_EN: 1
; COMPUTE_PGM_RSRC2:TGID_Y_EN: 0
; COMPUTE_PGM_RSRC2:TGID_Z_EN: 0
; COMPUTE_PGM_RSRC2:TIDIG_COMP_CNT: 0
	.section	.text._ZN7rocprim17ROCPRIM_400000_NS6detail17trampoline_kernelINS0_13select_configILj256ELj13ELNS0_17block_load_methodE3ELS4_3ELS4_3ELNS0_20block_scan_algorithmE0ELj4294967295EEENS1_25partition_config_selectorILNS1_17partition_subalgoE4EjNS0_10empty_typeEbEEZZNS1_14partition_implILS8_4ELb0ES6_15HIP_vector_typeIjLj2EENS0_17counting_iteratorIjlEEPS9_SG_NS0_5tupleIJPjSI_NS0_16reverse_iteratorISI_EEEEENSH_IJSG_SG_SG_EEES9_SI_JZNS1_25segmented_radix_sort_implINS0_14default_configELb0EPKiPiPKlPlN2at6native12_GLOBAL__N_18offset_tEEE10hipError_tPvRmT1_PNSt15iterator_traitsIS12_E10value_typeET2_T3_PNS13_IS18_E10value_typeET4_jRbjT5_S1E_jjP12ihipStream_tbEUljE_ZNSN_ISO_Lb0ESQ_SR_ST_SU_SY_EESZ_S10_S11_S12_S16_S17_S18_S1B_S1C_jS1D_jS1E_S1E_jjS1G_bEUljE0_EEESZ_S10_S11_S18_S1C_S1E_T6_T7_T9_mT8_S1G_bDpT10_ENKUlT_T0_E_clISt17integral_constantIbLb1EES1U_EEDaS1P_S1Q_EUlS1P_E_NS1_11comp_targetILNS1_3genE8ELNS1_11target_archE1030ELNS1_3gpuE2ELNS1_3repE0EEENS1_30default_config_static_selectorELNS0_4arch9wavefront6targetE1EEEvS12_,"axG",@progbits,_ZN7rocprim17ROCPRIM_400000_NS6detail17trampoline_kernelINS0_13select_configILj256ELj13ELNS0_17block_load_methodE3ELS4_3ELS4_3ELNS0_20block_scan_algorithmE0ELj4294967295EEENS1_25partition_config_selectorILNS1_17partition_subalgoE4EjNS0_10empty_typeEbEEZZNS1_14partition_implILS8_4ELb0ES6_15HIP_vector_typeIjLj2EENS0_17counting_iteratorIjlEEPS9_SG_NS0_5tupleIJPjSI_NS0_16reverse_iteratorISI_EEEEENSH_IJSG_SG_SG_EEES9_SI_JZNS1_25segmented_radix_sort_implINS0_14default_configELb0EPKiPiPKlPlN2at6native12_GLOBAL__N_18offset_tEEE10hipError_tPvRmT1_PNSt15iterator_traitsIS12_E10value_typeET2_T3_PNS13_IS18_E10value_typeET4_jRbjT5_S1E_jjP12ihipStream_tbEUljE_ZNSN_ISO_Lb0ESQ_SR_ST_SU_SY_EESZ_S10_S11_S12_S16_S17_S18_S1B_S1C_jS1D_jS1E_S1E_jjS1G_bEUljE0_EEESZ_S10_S11_S18_S1C_S1E_T6_T7_T9_mT8_S1G_bDpT10_ENKUlT_T0_E_clISt17integral_constantIbLb1EES1U_EEDaS1P_S1Q_EUlS1P_E_NS1_11comp_targetILNS1_3genE8ELNS1_11target_archE1030ELNS1_3gpuE2ELNS1_3repE0EEENS1_30default_config_static_selectorELNS0_4arch9wavefront6targetE1EEEvS12_,comdat
	.globl	_ZN7rocprim17ROCPRIM_400000_NS6detail17trampoline_kernelINS0_13select_configILj256ELj13ELNS0_17block_load_methodE3ELS4_3ELS4_3ELNS0_20block_scan_algorithmE0ELj4294967295EEENS1_25partition_config_selectorILNS1_17partition_subalgoE4EjNS0_10empty_typeEbEEZZNS1_14partition_implILS8_4ELb0ES6_15HIP_vector_typeIjLj2EENS0_17counting_iteratorIjlEEPS9_SG_NS0_5tupleIJPjSI_NS0_16reverse_iteratorISI_EEEEENSH_IJSG_SG_SG_EEES9_SI_JZNS1_25segmented_radix_sort_implINS0_14default_configELb0EPKiPiPKlPlN2at6native12_GLOBAL__N_18offset_tEEE10hipError_tPvRmT1_PNSt15iterator_traitsIS12_E10value_typeET2_T3_PNS13_IS18_E10value_typeET4_jRbjT5_S1E_jjP12ihipStream_tbEUljE_ZNSN_ISO_Lb0ESQ_SR_ST_SU_SY_EESZ_S10_S11_S12_S16_S17_S18_S1B_S1C_jS1D_jS1E_S1E_jjS1G_bEUljE0_EEESZ_S10_S11_S18_S1C_S1E_T6_T7_T9_mT8_S1G_bDpT10_ENKUlT_T0_E_clISt17integral_constantIbLb1EES1U_EEDaS1P_S1Q_EUlS1P_E_NS1_11comp_targetILNS1_3genE8ELNS1_11target_archE1030ELNS1_3gpuE2ELNS1_3repE0EEENS1_30default_config_static_selectorELNS0_4arch9wavefront6targetE1EEEvS12_ ; -- Begin function _ZN7rocprim17ROCPRIM_400000_NS6detail17trampoline_kernelINS0_13select_configILj256ELj13ELNS0_17block_load_methodE3ELS4_3ELS4_3ELNS0_20block_scan_algorithmE0ELj4294967295EEENS1_25partition_config_selectorILNS1_17partition_subalgoE4EjNS0_10empty_typeEbEEZZNS1_14partition_implILS8_4ELb0ES6_15HIP_vector_typeIjLj2EENS0_17counting_iteratorIjlEEPS9_SG_NS0_5tupleIJPjSI_NS0_16reverse_iteratorISI_EEEEENSH_IJSG_SG_SG_EEES9_SI_JZNS1_25segmented_radix_sort_implINS0_14default_configELb0EPKiPiPKlPlN2at6native12_GLOBAL__N_18offset_tEEE10hipError_tPvRmT1_PNSt15iterator_traitsIS12_E10value_typeET2_T3_PNS13_IS18_E10value_typeET4_jRbjT5_S1E_jjP12ihipStream_tbEUljE_ZNSN_ISO_Lb0ESQ_SR_ST_SU_SY_EESZ_S10_S11_S12_S16_S17_S18_S1B_S1C_jS1D_jS1E_S1E_jjS1G_bEUljE0_EEESZ_S10_S11_S18_S1C_S1E_T6_T7_T9_mT8_S1G_bDpT10_ENKUlT_T0_E_clISt17integral_constantIbLb1EES1U_EEDaS1P_S1Q_EUlS1P_E_NS1_11comp_targetILNS1_3genE8ELNS1_11target_archE1030ELNS1_3gpuE2ELNS1_3repE0EEENS1_30default_config_static_selectorELNS0_4arch9wavefront6targetE1EEEvS12_
	.p2align	8
	.type	_ZN7rocprim17ROCPRIM_400000_NS6detail17trampoline_kernelINS0_13select_configILj256ELj13ELNS0_17block_load_methodE3ELS4_3ELS4_3ELNS0_20block_scan_algorithmE0ELj4294967295EEENS1_25partition_config_selectorILNS1_17partition_subalgoE4EjNS0_10empty_typeEbEEZZNS1_14partition_implILS8_4ELb0ES6_15HIP_vector_typeIjLj2EENS0_17counting_iteratorIjlEEPS9_SG_NS0_5tupleIJPjSI_NS0_16reverse_iteratorISI_EEEEENSH_IJSG_SG_SG_EEES9_SI_JZNS1_25segmented_radix_sort_implINS0_14default_configELb0EPKiPiPKlPlN2at6native12_GLOBAL__N_18offset_tEEE10hipError_tPvRmT1_PNSt15iterator_traitsIS12_E10value_typeET2_T3_PNS13_IS18_E10value_typeET4_jRbjT5_S1E_jjP12ihipStream_tbEUljE_ZNSN_ISO_Lb0ESQ_SR_ST_SU_SY_EESZ_S10_S11_S12_S16_S17_S18_S1B_S1C_jS1D_jS1E_S1E_jjS1G_bEUljE0_EEESZ_S10_S11_S18_S1C_S1E_T6_T7_T9_mT8_S1G_bDpT10_ENKUlT_T0_E_clISt17integral_constantIbLb1EES1U_EEDaS1P_S1Q_EUlS1P_E_NS1_11comp_targetILNS1_3genE8ELNS1_11target_archE1030ELNS1_3gpuE2ELNS1_3repE0EEENS1_30default_config_static_selectorELNS0_4arch9wavefront6targetE1EEEvS12_,@function
_ZN7rocprim17ROCPRIM_400000_NS6detail17trampoline_kernelINS0_13select_configILj256ELj13ELNS0_17block_load_methodE3ELS4_3ELS4_3ELNS0_20block_scan_algorithmE0ELj4294967295EEENS1_25partition_config_selectorILNS1_17partition_subalgoE4EjNS0_10empty_typeEbEEZZNS1_14partition_implILS8_4ELb0ES6_15HIP_vector_typeIjLj2EENS0_17counting_iteratorIjlEEPS9_SG_NS0_5tupleIJPjSI_NS0_16reverse_iteratorISI_EEEEENSH_IJSG_SG_SG_EEES9_SI_JZNS1_25segmented_radix_sort_implINS0_14default_configELb0EPKiPiPKlPlN2at6native12_GLOBAL__N_18offset_tEEE10hipError_tPvRmT1_PNSt15iterator_traitsIS12_E10value_typeET2_T3_PNS13_IS18_E10value_typeET4_jRbjT5_S1E_jjP12ihipStream_tbEUljE_ZNSN_ISO_Lb0ESQ_SR_ST_SU_SY_EESZ_S10_S11_S12_S16_S17_S18_S1B_S1C_jS1D_jS1E_S1E_jjS1G_bEUljE0_EEESZ_S10_S11_S18_S1C_S1E_T6_T7_T9_mT8_S1G_bDpT10_ENKUlT_T0_E_clISt17integral_constantIbLb1EES1U_EEDaS1P_S1Q_EUlS1P_E_NS1_11comp_targetILNS1_3genE8ELNS1_11target_archE1030ELNS1_3gpuE2ELNS1_3repE0EEENS1_30default_config_static_selectorELNS0_4arch9wavefront6targetE1EEEvS12_: ; @_ZN7rocprim17ROCPRIM_400000_NS6detail17trampoline_kernelINS0_13select_configILj256ELj13ELNS0_17block_load_methodE3ELS4_3ELS4_3ELNS0_20block_scan_algorithmE0ELj4294967295EEENS1_25partition_config_selectorILNS1_17partition_subalgoE4EjNS0_10empty_typeEbEEZZNS1_14partition_implILS8_4ELb0ES6_15HIP_vector_typeIjLj2EENS0_17counting_iteratorIjlEEPS9_SG_NS0_5tupleIJPjSI_NS0_16reverse_iteratorISI_EEEEENSH_IJSG_SG_SG_EEES9_SI_JZNS1_25segmented_radix_sort_implINS0_14default_configELb0EPKiPiPKlPlN2at6native12_GLOBAL__N_18offset_tEEE10hipError_tPvRmT1_PNSt15iterator_traitsIS12_E10value_typeET2_T3_PNS13_IS18_E10value_typeET4_jRbjT5_S1E_jjP12ihipStream_tbEUljE_ZNSN_ISO_Lb0ESQ_SR_ST_SU_SY_EESZ_S10_S11_S12_S16_S17_S18_S1B_S1C_jS1D_jS1E_S1E_jjS1G_bEUljE0_EEESZ_S10_S11_S18_S1C_S1E_T6_T7_T9_mT8_S1G_bDpT10_ENKUlT_T0_E_clISt17integral_constantIbLb1EES1U_EEDaS1P_S1Q_EUlS1P_E_NS1_11comp_targetILNS1_3genE8ELNS1_11target_archE1030ELNS1_3gpuE2ELNS1_3repE0EEENS1_30default_config_static_selectorELNS0_4arch9wavefront6targetE1EEEvS12_
; %bb.0:
	.section	.rodata,"a",@progbits
	.p2align	6, 0x0
	.amdhsa_kernel _ZN7rocprim17ROCPRIM_400000_NS6detail17trampoline_kernelINS0_13select_configILj256ELj13ELNS0_17block_load_methodE3ELS4_3ELS4_3ELNS0_20block_scan_algorithmE0ELj4294967295EEENS1_25partition_config_selectorILNS1_17partition_subalgoE4EjNS0_10empty_typeEbEEZZNS1_14partition_implILS8_4ELb0ES6_15HIP_vector_typeIjLj2EENS0_17counting_iteratorIjlEEPS9_SG_NS0_5tupleIJPjSI_NS0_16reverse_iteratorISI_EEEEENSH_IJSG_SG_SG_EEES9_SI_JZNS1_25segmented_radix_sort_implINS0_14default_configELb0EPKiPiPKlPlN2at6native12_GLOBAL__N_18offset_tEEE10hipError_tPvRmT1_PNSt15iterator_traitsIS12_E10value_typeET2_T3_PNS13_IS18_E10value_typeET4_jRbjT5_S1E_jjP12ihipStream_tbEUljE_ZNSN_ISO_Lb0ESQ_SR_ST_SU_SY_EESZ_S10_S11_S12_S16_S17_S18_S1B_S1C_jS1D_jS1E_S1E_jjS1G_bEUljE0_EEESZ_S10_S11_S18_S1C_S1E_T6_T7_T9_mT8_S1G_bDpT10_ENKUlT_T0_E_clISt17integral_constantIbLb1EES1U_EEDaS1P_S1Q_EUlS1P_E_NS1_11comp_targetILNS1_3genE8ELNS1_11target_archE1030ELNS1_3gpuE2ELNS1_3repE0EEENS1_30default_config_static_selectorELNS0_4arch9wavefront6targetE1EEEvS12_
		.amdhsa_group_segment_fixed_size 0
		.amdhsa_private_segment_fixed_size 0
		.amdhsa_kernarg_size 184
		.amdhsa_user_sgpr_count 6
		.amdhsa_user_sgpr_private_segment_buffer 1
		.amdhsa_user_sgpr_dispatch_ptr 0
		.amdhsa_user_sgpr_queue_ptr 0
		.amdhsa_user_sgpr_kernarg_segment_ptr 1
		.amdhsa_user_sgpr_dispatch_id 0
		.amdhsa_user_sgpr_flat_scratch_init 0
		.amdhsa_user_sgpr_private_segment_size 0
		.amdhsa_uses_dynamic_stack 0
		.amdhsa_system_sgpr_private_segment_wavefront_offset 0
		.amdhsa_system_sgpr_workgroup_id_x 1
		.amdhsa_system_sgpr_workgroup_id_y 0
		.amdhsa_system_sgpr_workgroup_id_z 0
		.amdhsa_system_sgpr_workgroup_info 0
		.amdhsa_system_vgpr_workitem_id 0
		.amdhsa_next_free_vgpr 1
		.amdhsa_next_free_sgpr 0
		.amdhsa_reserve_vcc 0
		.amdhsa_reserve_flat_scratch 0
		.amdhsa_float_round_mode_32 0
		.amdhsa_float_round_mode_16_64 0
		.amdhsa_float_denorm_mode_32 3
		.amdhsa_float_denorm_mode_16_64 3
		.amdhsa_dx10_clamp 1
		.amdhsa_ieee_mode 1
		.amdhsa_fp16_overflow 0
		.amdhsa_exception_fp_ieee_invalid_op 0
		.amdhsa_exception_fp_denorm_src 0
		.amdhsa_exception_fp_ieee_div_zero 0
		.amdhsa_exception_fp_ieee_overflow 0
		.amdhsa_exception_fp_ieee_underflow 0
		.amdhsa_exception_fp_ieee_inexact 0
		.amdhsa_exception_int_div_zero 0
	.end_amdhsa_kernel
	.section	.text._ZN7rocprim17ROCPRIM_400000_NS6detail17trampoline_kernelINS0_13select_configILj256ELj13ELNS0_17block_load_methodE3ELS4_3ELS4_3ELNS0_20block_scan_algorithmE0ELj4294967295EEENS1_25partition_config_selectorILNS1_17partition_subalgoE4EjNS0_10empty_typeEbEEZZNS1_14partition_implILS8_4ELb0ES6_15HIP_vector_typeIjLj2EENS0_17counting_iteratorIjlEEPS9_SG_NS0_5tupleIJPjSI_NS0_16reverse_iteratorISI_EEEEENSH_IJSG_SG_SG_EEES9_SI_JZNS1_25segmented_radix_sort_implINS0_14default_configELb0EPKiPiPKlPlN2at6native12_GLOBAL__N_18offset_tEEE10hipError_tPvRmT1_PNSt15iterator_traitsIS12_E10value_typeET2_T3_PNS13_IS18_E10value_typeET4_jRbjT5_S1E_jjP12ihipStream_tbEUljE_ZNSN_ISO_Lb0ESQ_SR_ST_SU_SY_EESZ_S10_S11_S12_S16_S17_S18_S1B_S1C_jS1D_jS1E_S1E_jjS1G_bEUljE0_EEESZ_S10_S11_S18_S1C_S1E_T6_T7_T9_mT8_S1G_bDpT10_ENKUlT_T0_E_clISt17integral_constantIbLb1EES1U_EEDaS1P_S1Q_EUlS1P_E_NS1_11comp_targetILNS1_3genE8ELNS1_11target_archE1030ELNS1_3gpuE2ELNS1_3repE0EEENS1_30default_config_static_selectorELNS0_4arch9wavefront6targetE1EEEvS12_,"axG",@progbits,_ZN7rocprim17ROCPRIM_400000_NS6detail17trampoline_kernelINS0_13select_configILj256ELj13ELNS0_17block_load_methodE3ELS4_3ELS4_3ELNS0_20block_scan_algorithmE0ELj4294967295EEENS1_25partition_config_selectorILNS1_17partition_subalgoE4EjNS0_10empty_typeEbEEZZNS1_14partition_implILS8_4ELb0ES6_15HIP_vector_typeIjLj2EENS0_17counting_iteratorIjlEEPS9_SG_NS0_5tupleIJPjSI_NS0_16reverse_iteratorISI_EEEEENSH_IJSG_SG_SG_EEES9_SI_JZNS1_25segmented_radix_sort_implINS0_14default_configELb0EPKiPiPKlPlN2at6native12_GLOBAL__N_18offset_tEEE10hipError_tPvRmT1_PNSt15iterator_traitsIS12_E10value_typeET2_T3_PNS13_IS18_E10value_typeET4_jRbjT5_S1E_jjP12ihipStream_tbEUljE_ZNSN_ISO_Lb0ESQ_SR_ST_SU_SY_EESZ_S10_S11_S12_S16_S17_S18_S1B_S1C_jS1D_jS1E_S1E_jjS1G_bEUljE0_EEESZ_S10_S11_S18_S1C_S1E_T6_T7_T9_mT8_S1G_bDpT10_ENKUlT_T0_E_clISt17integral_constantIbLb1EES1U_EEDaS1P_S1Q_EUlS1P_E_NS1_11comp_targetILNS1_3genE8ELNS1_11target_archE1030ELNS1_3gpuE2ELNS1_3repE0EEENS1_30default_config_static_selectorELNS0_4arch9wavefront6targetE1EEEvS12_,comdat
.Lfunc_end551:
	.size	_ZN7rocprim17ROCPRIM_400000_NS6detail17trampoline_kernelINS0_13select_configILj256ELj13ELNS0_17block_load_methodE3ELS4_3ELS4_3ELNS0_20block_scan_algorithmE0ELj4294967295EEENS1_25partition_config_selectorILNS1_17partition_subalgoE4EjNS0_10empty_typeEbEEZZNS1_14partition_implILS8_4ELb0ES6_15HIP_vector_typeIjLj2EENS0_17counting_iteratorIjlEEPS9_SG_NS0_5tupleIJPjSI_NS0_16reverse_iteratorISI_EEEEENSH_IJSG_SG_SG_EEES9_SI_JZNS1_25segmented_radix_sort_implINS0_14default_configELb0EPKiPiPKlPlN2at6native12_GLOBAL__N_18offset_tEEE10hipError_tPvRmT1_PNSt15iterator_traitsIS12_E10value_typeET2_T3_PNS13_IS18_E10value_typeET4_jRbjT5_S1E_jjP12ihipStream_tbEUljE_ZNSN_ISO_Lb0ESQ_SR_ST_SU_SY_EESZ_S10_S11_S12_S16_S17_S18_S1B_S1C_jS1D_jS1E_S1E_jjS1G_bEUljE0_EEESZ_S10_S11_S18_S1C_S1E_T6_T7_T9_mT8_S1G_bDpT10_ENKUlT_T0_E_clISt17integral_constantIbLb1EES1U_EEDaS1P_S1Q_EUlS1P_E_NS1_11comp_targetILNS1_3genE8ELNS1_11target_archE1030ELNS1_3gpuE2ELNS1_3repE0EEENS1_30default_config_static_selectorELNS0_4arch9wavefront6targetE1EEEvS12_, .Lfunc_end551-_ZN7rocprim17ROCPRIM_400000_NS6detail17trampoline_kernelINS0_13select_configILj256ELj13ELNS0_17block_load_methodE3ELS4_3ELS4_3ELNS0_20block_scan_algorithmE0ELj4294967295EEENS1_25partition_config_selectorILNS1_17partition_subalgoE4EjNS0_10empty_typeEbEEZZNS1_14partition_implILS8_4ELb0ES6_15HIP_vector_typeIjLj2EENS0_17counting_iteratorIjlEEPS9_SG_NS0_5tupleIJPjSI_NS0_16reverse_iteratorISI_EEEEENSH_IJSG_SG_SG_EEES9_SI_JZNS1_25segmented_radix_sort_implINS0_14default_configELb0EPKiPiPKlPlN2at6native12_GLOBAL__N_18offset_tEEE10hipError_tPvRmT1_PNSt15iterator_traitsIS12_E10value_typeET2_T3_PNS13_IS18_E10value_typeET4_jRbjT5_S1E_jjP12ihipStream_tbEUljE_ZNSN_ISO_Lb0ESQ_SR_ST_SU_SY_EESZ_S10_S11_S12_S16_S17_S18_S1B_S1C_jS1D_jS1E_S1E_jjS1G_bEUljE0_EEESZ_S10_S11_S18_S1C_S1E_T6_T7_T9_mT8_S1G_bDpT10_ENKUlT_T0_E_clISt17integral_constantIbLb1EES1U_EEDaS1P_S1Q_EUlS1P_E_NS1_11comp_targetILNS1_3genE8ELNS1_11target_archE1030ELNS1_3gpuE2ELNS1_3repE0EEENS1_30default_config_static_selectorELNS0_4arch9wavefront6targetE1EEEvS12_
                                        ; -- End function
	.set _ZN7rocprim17ROCPRIM_400000_NS6detail17trampoline_kernelINS0_13select_configILj256ELj13ELNS0_17block_load_methodE3ELS4_3ELS4_3ELNS0_20block_scan_algorithmE0ELj4294967295EEENS1_25partition_config_selectorILNS1_17partition_subalgoE4EjNS0_10empty_typeEbEEZZNS1_14partition_implILS8_4ELb0ES6_15HIP_vector_typeIjLj2EENS0_17counting_iteratorIjlEEPS9_SG_NS0_5tupleIJPjSI_NS0_16reverse_iteratorISI_EEEEENSH_IJSG_SG_SG_EEES9_SI_JZNS1_25segmented_radix_sort_implINS0_14default_configELb0EPKiPiPKlPlN2at6native12_GLOBAL__N_18offset_tEEE10hipError_tPvRmT1_PNSt15iterator_traitsIS12_E10value_typeET2_T3_PNS13_IS18_E10value_typeET4_jRbjT5_S1E_jjP12ihipStream_tbEUljE_ZNSN_ISO_Lb0ESQ_SR_ST_SU_SY_EESZ_S10_S11_S12_S16_S17_S18_S1B_S1C_jS1D_jS1E_S1E_jjS1G_bEUljE0_EEESZ_S10_S11_S18_S1C_S1E_T6_T7_T9_mT8_S1G_bDpT10_ENKUlT_T0_E_clISt17integral_constantIbLb1EES1U_EEDaS1P_S1Q_EUlS1P_E_NS1_11comp_targetILNS1_3genE8ELNS1_11target_archE1030ELNS1_3gpuE2ELNS1_3repE0EEENS1_30default_config_static_selectorELNS0_4arch9wavefront6targetE1EEEvS12_.num_vgpr, 0
	.set _ZN7rocprim17ROCPRIM_400000_NS6detail17trampoline_kernelINS0_13select_configILj256ELj13ELNS0_17block_load_methodE3ELS4_3ELS4_3ELNS0_20block_scan_algorithmE0ELj4294967295EEENS1_25partition_config_selectorILNS1_17partition_subalgoE4EjNS0_10empty_typeEbEEZZNS1_14partition_implILS8_4ELb0ES6_15HIP_vector_typeIjLj2EENS0_17counting_iteratorIjlEEPS9_SG_NS0_5tupleIJPjSI_NS0_16reverse_iteratorISI_EEEEENSH_IJSG_SG_SG_EEES9_SI_JZNS1_25segmented_radix_sort_implINS0_14default_configELb0EPKiPiPKlPlN2at6native12_GLOBAL__N_18offset_tEEE10hipError_tPvRmT1_PNSt15iterator_traitsIS12_E10value_typeET2_T3_PNS13_IS18_E10value_typeET4_jRbjT5_S1E_jjP12ihipStream_tbEUljE_ZNSN_ISO_Lb0ESQ_SR_ST_SU_SY_EESZ_S10_S11_S12_S16_S17_S18_S1B_S1C_jS1D_jS1E_S1E_jjS1G_bEUljE0_EEESZ_S10_S11_S18_S1C_S1E_T6_T7_T9_mT8_S1G_bDpT10_ENKUlT_T0_E_clISt17integral_constantIbLb1EES1U_EEDaS1P_S1Q_EUlS1P_E_NS1_11comp_targetILNS1_3genE8ELNS1_11target_archE1030ELNS1_3gpuE2ELNS1_3repE0EEENS1_30default_config_static_selectorELNS0_4arch9wavefront6targetE1EEEvS12_.num_agpr, 0
	.set _ZN7rocprim17ROCPRIM_400000_NS6detail17trampoline_kernelINS0_13select_configILj256ELj13ELNS0_17block_load_methodE3ELS4_3ELS4_3ELNS0_20block_scan_algorithmE0ELj4294967295EEENS1_25partition_config_selectorILNS1_17partition_subalgoE4EjNS0_10empty_typeEbEEZZNS1_14partition_implILS8_4ELb0ES6_15HIP_vector_typeIjLj2EENS0_17counting_iteratorIjlEEPS9_SG_NS0_5tupleIJPjSI_NS0_16reverse_iteratorISI_EEEEENSH_IJSG_SG_SG_EEES9_SI_JZNS1_25segmented_radix_sort_implINS0_14default_configELb0EPKiPiPKlPlN2at6native12_GLOBAL__N_18offset_tEEE10hipError_tPvRmT1_PNSt15iterator_traitsIS12_E10value_typeET2_T3_PNS13_IS18_E10value_typeET4_jRbjT5_S1E_jjP12ihipStream_tbEUljE_ZNSN_ISO_Lb0ESQ_SR_ST_SU_SY_EESZ_S10_S11_S12_S16_S17_S18_S1B_S1C_jS1D_jS1E_S1E_jjS1G_bEUljE0_EEESZ_S10_S11_S18_S1C_S1E_T6_T7_T9_mT8_S1G_bDpT10_ENKUlT_T0_E_clISt17integral_constantIbLb1EES1U_EEDaS1P_S1Q_EUlS1P_E_NS1_11comp_targetILNS1_3genE8ELNS1_11target_archE1030ELNS1_3gpuE2ELNS1_3repE0EEENS1_30default_config_static_selectorELNS0_4arch9wavefront6targetE1EEEvS12_.numbered_sgpr, 0
	.set _ZN7rocprim17ROCPRIM_400000_NS6detail17trampoline_kernelINS0_13select_configILj256ELj13ELNS0_17block_load_methodE3ELS4_3ELS4_3ELNS0_20block_scan_algorithmE0ELj4294967295EEENS1_25partition_config_selectorILNS1_17partition_subalgoE4EjNS0_10empty_typeEbEEZZNS1_14partition_implILS8_4ELb0ES6_15HIP_vector_typeIjLj2EENS0_17counting_iteratorIjlEEPS9_SG_NS0_5tupleIJPjSI_NS0_16reverse_iteratorISI_EEEEENSH_IJSG_SG_SG_EEES9_SI_JZNS1_25segmented_radix_sort_implINS0_14default_configELb0EPKiPiPKlPlN2at6native12_GLOBAL__N_18offset_tEEE10hipError_tPvRmT1_PNSt15iterator_traitsIS12_E10value_typeET2_T3_PNS13_IS18_E10value_typeET4_jRbjT5_S1E_jjP12ihipStream_tbEUljE_ZNSN_ISO_Lb0ESQ_SR_ST_SU_SY_EESZ_S10_S11_S12_S16_S17_S18_S1B_S1C_jS1D_jS1E_S1E_jjS1G_bEUljE0_EEESZ_S10_S11_S18_S1C_S1E_T6_T7_T9_mT8_S1G_bDpT10_ENKUlT_T0_E_clISt17integral_constantIbLb1EES1U_EEDaS1P_S1Q_EUlS1P_E_NS1_11comp_targetILNS1_3genE8ELNS1_11target_archE1030ELNS1_3gpuE2ELNS1_3repE0EEENS1_30default_config_static_selectorELNS0_4arch9wavefront6targetE1EEEvS12_.num_named_barrier, 0
	.set _ZN7rocprim17ROCPRIM_400000_NS6detail17trampoline_kernelINS0_13select_configILj256ELj13ELNS0_17block_load_methodE3ELS4_3ELS4_3ELNS0_20block_scan_algorithmE0ELj4294967295EEENS1_25partition_config_selectorILNS1_17partition_subalgoE4EjNS0_10empty_typeEbEEZZNS1_14partition_implILS8_4ELb0ES6_15HIP_vector_typeIjLj2EENS0_17counting_iteratorIjlEEPS9_SG_NS0_5tupleIJPjSI_NS0_16reverse_iteratorISI_EEEEENSH_IJSG_SG_SG_EEES9_SI_JZNS1_25segmented_radix_sort_implINS0_14default_configELb0EPKiPiPKlPlN2at6native12_GLOBAL__N_18offset_tEEE10hipError_tPvRmT1_PNSt15iterator_traitsIS12_E10value_typeET2_T3_PNS13_IS18_E10value_typeET4_jRbjT5_S1E_jjP12ihipStream_tbEUljE_ZNSN_ISO_Lb0ESQ_SR_ST_SU_SY_EESZ_S10_S11_S12_S16_S17_S18_S1B_S1C_jS1D_jS1E_S1E_jjS1G_bEUljE0_EEESZ_S10_S11_S18_S1C_S1E_T6_T7_T9_mT8_S1G_bDpT10_ENKUlT_T0_E_clISt17integral_constantIbLb1EES1U_EEDaS1P_S1Q_EUlS1P_E_NS1_11comp_targetILNS1_3genE8ELNS1_11target_archE1030ELNS1_3gpuE2ELNS1_3repE0EEENS1_30default_config_static_selectorELNS0_4arch9wavefront6targetE1EEEvS12_.private_seg_size, 0
	.set _ZN7rocprim17ROCPRIM_400000_NS6detail17trampoline_kernelINS0_13select_configILj256ELj13ELNS0_17block_load_methodE3ELS4_3ELS4_3ELNS0_20block_scan_algorithmE0ELj4294967295EEENS1_25partition_config_selectorILNS1_17partition_subalgoE4EjNS0_10empty_typeEbEEZZNS1_14partition_implILS8_4ELb0ES6_15HIP_vector_typeIjLj2EENS0_17counting_iteratorIjlEEPS9_SG_NS0_5tupleIJPjSI_NS0_16reverse_iteratorISI_EEEEENSH_IJSG_SG_SG_EEES9_SI_JZNS1_25segmented_radix_sort_implINS0_14default_configELb0EPKiPiPKlPlN2at6native12_GLOBAL__N_18offset_tEEE10hipError_tPvRmT1_PNSt15iterator_traitsIS12_E10value_typeET2_T3_PNS13_IS18_E10value_typeET4_jRbjT5_S1E_jjP12ihipStream_tbEUljE_ZNSN_ISO_Lb0ESQ_SR_ST_SU_SY_EESZ_S10_S11_S12_S16_S17_S18_S1B_S1C_jS1D_jS1E_S1E_jjS1G_bEUljE0_EEESZ_S10_S11_S18_S1C_S1E_T6_T7_T9_mT8_S1G_bDpT10_ENKUlT_T0_E_clISt17integral_constantIbLb1EES1U_EEDaS1P_S1Q_EUlS1P_E_NS1_11comp_targetILNS1_3genE8ELNS1_11target_archE1030ELNS1_3gpuE2ELNS1_3repE0EEENS1_30default_config_static_selectorELNS0_4arch9wavefront6targetE1EEEvS12_.uses_vcc, 0
	.set _ZN7rocprim17ROCPRIM_400000_NS6detail17trampoline_kernelINS0_13select_configILj256ELj13ELNS0_17block_load_methodE3ELS4_3ELS4_3ELNS0_20block_scan_algorithmE0ELj4294967295EEENS1_25partition_config_selectorILNS1_17partition_subalgoE4EjNS0_10empty_typeEbEEZZNS1_14partition_implILS8_4ELb0ES6_15HIP_vector_typeIjLj2EENS0_17counting_iteratorIjlEEPS9_SG_NS0_5tupleIJPjSI_NS0_16reverse_iteratorISI_EEEEENSH_IJSG_SG_SG_EEES9_SI_JZNS1_25segmented_radix_sort_implINS0_14default_configELb0EPKiPiPKlPlN2at6native12_GLOBAL__N_18offset_tEEE10hipError_tPvRmT1_PNSt15iterator_traitsIS12_E10value_typeET2_T3_PNS13_IS18_E10value_typeET4_jRbjT5_S1E_jjP12ihipStream_tbEUljE_ZNSN_ISO_Lb0ESQ_SR_ST_SU_SY_EESZ_S10_S11_S12_S16_S17_S18_S1B_S1C_jS1D_jS1E_S1E_jjS1G_bEUljE0_EEESZ_S10_S11_S18_S1C_S1E_T6_T7_T9_mT8_S1G_bDpT10_ENKUlT_T0_E_clISt17integral_constantIbLb1EES1U_EEDaS1P_S1Q_EUlS1P_E_NS1_11comp_targetILNS1_3genE8ELNS1_11target_archE1030ELNS1_3gpuE2ELNS1_3repE0EEENS1_30default_config_static_selectorELNS0_4arch9wavefront6targetE1EEEvS12_.uses_flat_scratch, 0
	.set _ZN7rocprim17ROCPRIM_400000_NS6detail17trampoline_kernelINS0_13select_configILj256ELj13ELNS0_17block_load_methodE3ELS4_3ELS4_3ELNS0_20block_scan_algorithmE0ELj4294967295EEENS1_25partition_config_selectorILNS1_17partition_subalgoE4EjNS0_10empty_typeEbEEZZNS1_14partition_implILS8_4ELb0ES6_15HIP_vector_typeIjLj2EENS0_17counting_iteratorIjlEEPS9_SG_NS0_5tupleIJPjSI_NS0_16reverse_iteratorISI_EEEEENSH_IJSG_SG_SG_EEES9_SI_JZNS1_25segmented_radix_sort_implINS0_14default_configELb0EPKiPiPKlPlN2at6native12_GLOBAL__N_18offset_tEEE10hipError_tPvRmT1_PNSt15iterator_traitsIS12_E10value_typeET2_T3_PNS13_IS18_E10value_typeET4_jRbjT5_S1E_jjP12ihipStream_tbEUljE_ZNSN_ISO_Lb0ESQ_SR_ST_SU_SY_EESZ_S10_S11_S12_S16_S17_S18_S1B_S1C_jS1D_jS1E_S1E_jjS1G_bEUljE0_EEESZ_S10_S11_S18_S1C_S1E_T6_T7_T9_mT8_S1G_bDpT10_ENKUlT_T0_E_clISt17integral_constantIbLb1EES1U_EEDaS1P_S1Q_EUlS1P_E_NS1_11comp_targetILNS1_3genE8ELNS1_11target_archE1030ELNS1_3gpuE2ELNS1_3repE0EEENS1_30default_config_static_selectorELNS0_4arch9wavefront6targetE1EEEvS12_.has_dyn_sized_stack, 0
	.set _ZN7rocprim17ROCPRIM_400000_NS6detail17trampoline_kernelINS0_13select_configILj256ELj13ELNS0_17block_load_methodE3ELS4_3ELS4_3ELNS0_20block_scan_algorithmE0ELj4294967295EEENS1_25partition_config_selectorILNS1_17partition_subalgoE4EjNS0_10empty_typeEbEEZZNS1_14partition_implILS8_4ELb0ES6_15HIP_vector_typeIjLj2EENS0_17counting_iteratorIjlEEPS9_SG_NS0_5tupleIJPjSI_NS0_16reverse_iteratorISI_EEEEENSH_IJSG_SG_SG_EEES9_SI_JZNS1_25segmented_radix_sort_implINS0_14default_configELb0EPKiPiPKlPlN2at6native12_GLOBAL__N_18offset_tEEE10hipError_tPvRmT1_PNSt15iterator_traitsIS12_E10value_typeET2_T3_PNS13_IS18_E10value_typeET4_jRbjT5_S1E_jjP12ihipStream_tbEUljE_ZNSN_ISO_Lb0ESQ_SR_ST_SU_SY_EESZ_S10_S11_S12_S16_S17_S18_S1B_S1C_jS1D_jS1E_S1E_jjS1G_bEUljE0_EEESZ_S10_S11_S18_S1C_S1E_T6_T7_T9_mT8_S1G_bDpT10_ENKUlT_T0_E_clISt17integral_constantIbLb1EES1U_EEDaS1P_S1Q_EUlS1P_E_NS1_11comp_targetILNS1_3genE8ELNS1_11target_archE1030ELNS1_3gpuE2ELNS1_3repE0EEENS1_30default_config_static_selectorELNS0_4arch9wavefront6targetE1EEEvS12_.has_recursion, 0
	.set _ZN7rocprim17ROCPRIM_400000_NS6detail17trampoline_kernelINS0_13select_configILj256ELj13ELNS0_17block_load_methodE3ELS4_3ELS4_3ELNS0_20block_scan_algorithmE0ELj4294967295EEENS1_25partition_config_selectorILNS1_17partition_subalgoE4EjNS0_10empty_typeEbEEZZNS1_14partition_implILS8_4ELb0ES6_15HIP_vector_typeIjLj2EENS0_17counting_iteratorIjlEEPS9_SG_NS0_5tupleIJPjSI_NS0_16reverse_iteratorISI_EEEEENSH_IJSG_SG_SG_EEES9_SI_JZNS1_25segmented_radix_sort_implINS0_14default_configELb0EPKiPiPKlPlN2at6native12_GLOBAL__N_18offset_tEEE10hipError_tPvRmT1_PNSt15iterator_traitsIS12_E10value_typeET2_T3_PNS13_IS18_E10value_typeET4_jRbjT5_S1E_jjP12ihipStream_tbEUljE_ZNSN_ISO_Lb0ESQ_SR_ST_SU_SY_EESZ_S10_S11_S12_S16_S17_S18_S1B_S1C_jS1D_jS1E_S1E_jjS1G_bEUljE0_EEESZ_S10_S11_S18_S1C_S1E_T6_T7_T9_mT8_S1G_bDpT10_ENKUlT_T0_E_clISt17integral_constantIbLb1EES1U_EEDaS1P_S1Q_EUlS1P_E_NS1_11comp_targetILNS1_3genE8ELNS1_11target_archE1030ELNS1_3gpuE2ELNS1_3repE0EEENS1_30default_config_static_selectorELNS0_4arch9wavefront6targetE1EEEvS12_.has_indirect_call, 0
	.section	.AMDGPU.csdata,"",@progbits
; Kernel info:
; codeLenInByte = 0
; TotalNumSgprs: 4
; NumVgprs: 0
; ScratchSize: 0
; MemoryBound: 0
; FloatMode: 240
; IeeeMode: 1
; LDSByteSize: 0 bytes/workgroup (compile time only)
; SGPRBlocks: 0
; VGPRBlocks: 0
; NumSGPRsForWavesPerEU: 4
; NumVGPRsForWavesPerEU: 1
; Occupancy: 10
; WaveLimiterHint : 0
; COMPUTE_PGM_RSRC2:SCRATCH_EN: 0
; COMPUTE_PGM_RSRC2:USER_SGPR: 6
; COMPUTE_PGM_RSRC2:TRAP_HANDLER: 0
; COMPUTE_PGM_RSRC2:TGID_X_EN: 1
; COMPUTE_PGM_RSRC2:TGID_Y_EN: 0
; COMPUTE_PGM_RSRC2:TGID_Z_EN: 0
; COMPUTE_PGM_RSRC2:TIDIG_COMP_CNT: 0
	.section	.text._ZN7rocprim17ROCPRIM_400000_NS6detail17trampoline_kernelINS0_13select_configILj256ELj13ELNS0_17block_load_methodE3ELS4_3ELS4_3ELNS0_20block_scan_algorithmE0ELj4294967295EEENS1_25partition_config_selectorILNS1_17partition_subalgoE4EjNS0_10empty_typeEbEEZZNS1_14partition_implILS8_4ELb0ES6_15HIP_vector_typeIjLj2EENS0_17counting_iteratorIjlEEPS9_SG_NS0_5tupleIJPjSI_NS0_16reverse_iteratorISI_EEEEENSH_IJSG_SG_SG_EEES9_SI_JZNS1_25segmented_radix_sort_implINS0_14default_configELb0EPKiPiPKlPlN2at6native12_GLOBAL__N_18offset_tEEE10hipError_tPvRmT1_PNSt15iterator_traitsIS12_E10value_typeET2_T3_PNS13_IS18_E10value_typeET4_jRbjT5_S1E_jjP12ihipStream_tbEUljE_ZNSN_ISO_Lb0ESQ_SR_ST_SU_SY_EESZ_S10_S11_S12_S16_S17_S18_S1B_S1C_jS1D_jS1E_S1E_jjS1G_bEUljE0_EEESZ_S10_S11_S18_S1C_S1E_T6_T7_T9_mT8_S1G_bDpT10_ENKUlT_T0_E_clISt17integral_constantIbLb1EES1T_IbLb0EEEEDaS1P_S1Q_EUlS1P_E_NS1_11comp_targetILNS1_3genE0ELNS1_11target_archE4294967295ELNS1_3gpuE0ELNS1_3repE0EEENS1_30default_config_static_selectorELNS0_4arch9wavefront6targetE1EEEvS12_,"axG",@progbits,_ZN7rocprim17ROCPRIM_400000_NS6detail17trampoline_kernelINS0_13select_configILj256ELj13ELNS0_17block_load_methodE3ELS4_3ELS4_3ELNS0_20block_scan_algorithmE0ELj4294967295EEENS1_25partition_config_selectorILNS1_17partition_subalgoE4EjNS0_10empty_typeEbEEZZNS1_14partition_implILS8_4ELb0ES6_15HIP_vector_typeIjLj2EENS0_17counting_iteratorIjlEEPS9_SG_NS0_5tupleIJPjSI_NS0_16reverse_iteratorISI_EEEEENSH_IJSG_SG_SG_EEES9_SI_JZNS1_25segmented_radix_sort_implINS0_14default_configELb0EPKiPiPKlPlN2at6native12_GLOBAL__N_18offset_tEEE10hipError_tPvRmT1_PNSt15iterator_traitsIS12_E10value_typeET2_T3_PNS13_IS18_E10value_typeET4_jRbjT5_S1E_jjP12ihipStream_tbEUljE_ZNSN_ISO_Lb0ESQ_SR_ST_SU_SY_EESZ_S10_S11_S12_S16_S17_S18_S1B_S1C_jS1D_jS1E_S1E_jjS1G_bEUljE0_EEESZ_S10_S11_S18_S1C_S1E_T6_T7_T9_mT8_S1G_bDpT10_ENKUlT_T0_E_clISt17integral_constantIbLb1EES1T_IbLb0EEEEDaS1P_S1Q_EUlS1P_E_NS1_11comp_targetILNS1_3genE0ELNS1_11target_archE4294967295ELNS1_3gpuE0ELNS1_3repE0EEENS1_30default_config_static_selectorELNS0_4arch9wavefront6targetE1EEEvS12_,comdat
	.globl	_ZN7rocprim17ROCPRIM_400000_NS6detail17trampoline_kernelINS0_13select_configILj256ELj13ELNS0_17block_load_methodE3ELS4_3ELS4_3ELNS0_20block_scan_algorithmE0ELj4294967295EEENS1_25partition_config_selectorILNS1_17partition_subalgoE4EjNS0_10empty_typeEbEEZZNS1_14partition_implILS8_4ELb0ES6_15HIP_vector_typeIjLj2EENS0_17counting_iteratorIjlEEPS9_SG_NS0_5tupleIJPjSI_NS0_16reverse_iteratorISI_EEEEENSH_IJSG_SG_SG_EEES9_SI_JZNS1_25segmented_radix_sort_implINS0_14default_configELb0EPKiPiPKlPlN2at6native12_GLOBAL__N_18offset_tEEE10hipError_tPvRmT1_PNSt15iterator_traitsIS12_E10value_typeET2_T3_PNS13_IS18_E10value_typeET4_jRbjT5_S1E_jjP12ihipStream_tbEUljE_ZNSN_ISO_Lb0ESQ_SR_ST_SU_SY_EESZ_S10_S11_S12_S16_S17_S18_S1B_S1C_jS1D_jS1E_S1E_jjS1G_bEUljE0_EEESZ_S10_S11_S18_S1C_S1E_T6_T7_T9_mT8_S1G_bDpT10_ENKUlT_T0_E_clISt17integral_constantIbLb1EES1T_IbLb0EEEEDaS1P_S1Q_EUlS1P_E_NS1_11comp_targetILNS1_3genE0ELNS1_11target_archE4294967295ELNS1_3gpuE0ELNS1_3repE0EEENS1_30default_config_static_selectorELNS0_4arch9wavefront6targetE1EEEvS12_ ; -- Begin function _ZN7rocprim17ROCPRIM_400000_NS6detail17trampoline_kernelINS0_13select_configILj256ELj13ELNS0_17block_load_methodE3ELS4_3ELS4_3ELNS0_20block_scan_algorithmE0ELj4294967295EEENS1_25partition_config_selectorILNS1_17partition_subalgoE4EjNS0_10empty_typeEbEEZZNS1_14partition_implILS8_4ELb0ES6_15HIP_vector_typeIjLj2EENS0_17counting_iteratorIjlEEPS9_SG_NS0_5tupleIJPjSI_NS0_16reverse_iteratorISI_EEEEENSH_IJSG_SG_SG_EEES9_SI_JZNS1_25segmented_radix_sort_implINS0_14default_configELb0EPKiPiPKlPlN2at6native12_GLOBAL__N_18offset_tEEE10hipError_tPvRmT1_PNSt15iterator_traitsIS12_E10value_typeET2_T3_PNS13_IS18_E10value_typeET4_jRbjT5_S1E_jjP12ihipStream_tbEUljE_ZNSN_ISO_Lb0ESQ_SR_ST_SU_SY_EESZ_S10_S11_S12_S16_S17_S18_S1B_S1C_jS1D_jS1E_S1E_jjS1G_bEUljE0_EEESZ_S10_S11_S18_S1C_S1E_T6_T7_T9_mT8_S1G_bDpT10_ENKUlT_T0_E_clISt17integral_constantIbLb1EES1T_IbLb0EEEEDaS1P_S1Q_EUlS1P_E_NS1_11comp_targetILNS1_3genE0ELNS1_11target_archE4294967295ELNS1_3gpuE0ELNS1_3repE0EEENS1_30default_config_static_selectorELNS0_4arch9wavefront6targetE1EEEvS12_
	.p2align	8
	.type	_ZN7rocprim17ROCPRIM_400000_NS6detail17trampoline_kernelINS0_13select_configILj256ELj13ELNS0_17block_load_methodE3ELS4_3ELS4_3ELNS0_20block_scan_algorithmE0ELj4294967295EEENS1_25partition_config_selectorILNS1_17partition_subalgoE4EjNS0_10empty_typeEbEEZZNS1_14partition_implILS8_4ELb0ES6_15HIP_vector_typeIjLj2EENS0_17counting_iteratorIjlEEPS9_SG_NS0_5tupleIJPjSI_NS0_16reverse_iteratorISI_EEEEENSH_IJSG_SG_SG_EEES9_SI_JZNS1_25segmented_radix_sort_implINS0_14default_configELb0EPKiPiPKlPlN2at6native12_GLOBAL__N_18offset_tEEE10hipError_tPvRmT1_PNSt15iterator_traitsIS12_E10value_typeET2_T3_PNS13_IS18_E10value_typeET4_jRbjT5_S1E_jjP12ihipStream_tbEUljE_ZNSN_ISO_Lb0ESQ_SR_ST_SU_SY_EESZ_S10_S11_S12_S16_S17_S18_S1B_S1C_jS1D_jS1E_S1E_jjS1G_bEUljE0_EEESZ_S10_S11_S18_S1C_S1E_T6_T7_T9_mT8_S1G_bDpT10_ENKUlT_T0_E_clISt17integral_constantIbLb1EES1T_IbLb0EEEEDaS1P_S1Q_EUlS1P_E_NS1_11comp_targetILNS1_3genE0ELNS1_11target_archE4294967295ELNS1_3gpuE0ELNS1_3repE0EEENS1_30default_config_static_selectorELNS0_4arch9wavefront6targetE1EEEvS12_,@function
_ZN7rocprim17ROCPRIM_400000_NS6detail17trampoline_kernelINS0_13select_configILj256ELj13ELNS0_17block_load_methodE3ELS4_3ELS4_3ELNS0_20block_scan_algorithmE0ELj4294967295EEENS1_25partition_config_selectorILNS1_17partition_subalgoE4EjNS0_10empty_typeEbEEZZNS1_14partition_implILS8_4ELb0ES6_15HIP_vector_typeIjLj2EENS0_17counting_iteratorIjlEEPS9_SG_NS0_5tupleIJPjSI_NS0_16reverse_iteratorISI_EEEEENSH_IJSG_SG_SG_EEES9_SI_JZNS1_25segmented_radix_sort_implINS0_14default_configELb0EPKiPiPKlPlN2at6native12_GLOBAL__N_18offset_tEEE10hipError_tPvRmT1_PNSt15iterator_traitsIS12_E10value_typeET2_T3_PNS13_IS18_E10value_typeET4_jRbjT5_S1E_jjP12ihipStream_tbEUljE_ZNSN_ISO_Lb0ESQ_SR_ST_SU_SY_EESZ_S10_S11_S12_S16_S17_S18_S1B_S1C_jS1D_jS1E_S1E_jjS1G_bEUljE0_EEESZ_S10_S11_S18_S1C_S1E_T6_T7_T9_mT8_S1G_bDpT10_ENKUlT_T0_E_clISt17integral_constantIbLb1EES1T_IbLb0EEEEDaS1P_S1Q_EUlS1P_E_NS1_11comp_targetILNS1_3genE0ELNS1_11target_archE4294967295ELNS1_3gpuE0ELNS1_3repE0EEENS1_30default_config_static_selectorELNS0_4arch9wavefront6targetE1EEEvS12_: ; @_ZN7rocprim17ROCPRIM_400000_NS6detail17trampoline_kernelINS0_13select_configILj256ELj13ELNS0_17block_load_methodE3ELS4_3ELS4_3ELNS0_20block_scan_algorithmE0ELj4294967295EEENS1_25partition_config_selectorILNS1_17partition_subalgoE4EjNS0_10empty_typeEbEEZZNS1_14partition_implILS8_4ELb0ES6_15HIP_vector_typeIjLj2EENS0_17counting_iteratorIjlEEPS9_SG_NS0_5tupleIJPjSI_NS0_16reverse_iteratorISI_EEEEENSH_IJSG_SG_SG_EEES9_SI_JZNS1_25segmented_radix_sort_implINS0_14default_configELb0EPKiPiPKlPlN2at6native12_GLOBAL__N_18offset_tEEE10hipError_tPvRmT1_PNSt15iterator_traitsIS12_E10value_typeET2_T3_PNS13_IS18_E10value_typeET4_jRbjT5_S1E_jjP12ihipStream_tbEUljE_ZNSN_ISO_Lb0ESQ_SR_ST_SU_SY_EESZ_S10_S11_S12_S16_S17_S18_S1B_S1C_jS1D_jS1E_S1E_jjS1G_bEUljE0_EEESZ_S10_S11_S18_S1C_S1E_T6_T7_T9_mT8_S1G_bDpT10_ENKUlT_T0_E_clISt17integral_constantIbLb1EES1T_IbLb0EEEEDaS1P_S1Q_EUlS1P_E_NS1_11comp_targetILNS1_3genE0ELNS1_11target_archE4294967295ELNS1_3gpuE0ELNS1_3repE0EEENS1_30default_config_static_selectorELNS0_4arch9wavefront6targetE1EEEvS12_
; %bb.0:
	.section	.rodata,"a",@progbits
	.p2align	6, 0x0
	.amdhsa_kernel _ZN7rocprim17ROCPRIM_400000_NS6detail17trampoline_kernelINS0_13select_configILj256ELj13ELNS0_17block_load_methodE3ELS4_3ELS4_3ELNS0_20block_scan_algorithmE0ELj4294967295EEENS1_25partition_config_selectorILNS1_17partition_subalgoE4EjNS0_10empty_typeEbEEZZNS1_14partition_implILS8_4ELb0ES6_15HIP_vector_typeIjLj2EENS0_17counting_iteratorIjlEEPS9_SG_NS0_5tupleIJPjSI_NS0_16reverse_iteratorISI_EEEEENSH_IJSG_SG_SG_EEES9_SI_JZNS1_25segmented_radix_sort_implINS0_14default_configELb0EPKiPiPKlPlN2at6native12_GLOBAL__N_18offset_tEEE10hipError_tPvRmT1_PNSt15iterator_traitsIS12_E10value_typeET2_T3_PNS13_IS18_E10value_typeET4_jRbjT5_S1E_jjP12ihipStream_tbEUljE_ZNSN_ISO_Lb0ESQ_SR_ST_SU_SY_EESZ_S10_S11_S12_S16_S17_S18_S1B_S1C_jS1D_jS1E_S1E_jjS1G_bEUljE0_EEESZ_S10_S11_S18_S1C_S1E_T6_T7_T9_mT8_S1G_bDpT10_ENKUlT_T0_E_clISt17integral_constantIbLb1EES1T_IbLb0EEEEDaS1P_S1Q_EUlS1P_E_NS1_11comp_targetILNS1_3genE0ELNS1_11target_archE4294967295ELNS1_3gpuE0ELNS1_3repE0EEENS1_30default_config_static_selectorELNS0_4arch9wavefront6targetE1EEEvS12_
		.amdhsa_group_segment_fixed_size 0
		.amdhsa_private_segment_fixed_size 0
		.amdhsa_kernarg_size 176
		.amdhsa_user_sgpr_count 6
		.amdhsa_user_sgpr_private_segment_buffer 1
		.amdhsa_user_sgpr_dispatch_ptr 0
		.amdhsa_user_sgpr_queue_ptr 0
		.amdhsa_user_sgpr_kernarg_segment_ptr 1
		.amdhsa_user_sgpr_dispatch_id 0
		.amdhsa_user_sgpr_flat_scratch_init 0
		.amdhsa_user_sgpr_private_segment_size 0
		.amdhsa_uses_dynamic_stack 0
		.amdhsa_system_sgpr_private_segment_wavefront_offset 0
		.amdhsa_system_sgpr_workgroup_id_x 1
		.amdhsa_system_sgpr_workgroup_id_y 0
		.amdhsa_system_sgpr_workgroup_id_z 0
		.amdhsa_system_sgpr_workgroup_info 0
		.amdhsa_system_vgpr_workitem_id 0
		.amdhsa_next_free_vgpr 1
		.amdhsa_next_free_sgpr 0
		.amdhsa_reserve_vcc 0
		.amdhsa_reserve_flat_scratch 0
		.amdhsa_float_round_mode_32 0
		.amdhsa_float_round_mode_16_64 0
		.amdhsa_float_denorm_mode_32 3
		.amdhsa_float_denorm_mode_16_64 3
		.amdhsa_dx10_clamp 1
		.amdhsa_ieee_mode 1
		.amdhsa_fp16_overflow 0
		.amdhsa_exception_fp_ieee_invalid_op 0
		.amdhsa_exception_fp_denorm_src 0
		.amdhsa_exception_fp_ieee_div_zero 0
		.amdhsa_exception_fp_ieee_overflow 0
		.amdhsa_exception_fp_ieee_underflow 0
		.amdhsa_exception_fp_ieee_inexact 0
		.amdhsa_exception_int_div_zero 0
	.end_amdhsa_kernel
	.section	.text._ZN7rocprim17ROCPRIM_400000_NS6detail17trampoline_kernelINS0_13select_configILj256ELj13ELNS0_17block_load_methodE3ELS4_3ELS4_3ELNS0_20block_scan_algorithmE0ELj4294967295EEENS1_25partition_config_selectorILNS1_17partition_subalgoE4EjNS0_10empty_typeEbEEZZNS1_14partition_implILS8_4ELb0ES6_15HIP_vector_typeIjLj2EENS0_17counting_iteratorIjlEEPS9_SG_NS0_5tupleIJPjSI_NS0_16reverse_iteratorISI_EEEEENSH_IJSG_SG_SG_EEES9_SI_JZNS1_25segmented_radix_sort_implINS0_14default_configELb0EPKiPiPKlPlN2at6native12_GLOBAL__N_18offset_tEEE10hipError_tPvRmT1_PNSt15iterator_traitsIS12_E10value_typeET2_T3_PNS13_IS18_E10value_typeET4_jRbjT5_S1E_jjP12ihipStream_tbEUljE_ZNSN_ISO_Lb0ESQ_SR_ST_SU_SY_EESZ_S10_S11_S12_S16_S17_S18_S1B_S1C_jS1D_jS1E_S1E_jjS1G_bEUljE0_EEESZ_S10_S11_S18_S1C_S1E_T6_T7_T9_mT8_S1G_bDpT10_ENKUlT_T0_E_clISt17integral_constantIbLb1EES1T_IbLb0EEEEDaS1P_S1Q_EUlS1P_E_NS1_11comp_targetILNS1_3genE0ELNS1_11target_archE4294967295ELNS1_3gpuE0ELNS1_3repE0EEENS1_30default_config_static_selectorELNS0_4arch9wavefront6targetE1EEEvS12_,"axG",@progbits,_ZN7rocprim17ROCPRIM_400000_NS6detail17trampoline_kernelINS0_13select_configILj256ELj13ELNS0_17block_load_methodE3ELS4_3ELS4_3ELNS0_20block_scan_algorithmE0ELj4294967295EEENS1_25partition_config_selectorILNS1_17partition_subalgoE4EjNS0_10empty_typeEbEEZZNS1_14partition_implILS8_4ELb0ES6_15HIP_vector_typeIjLj2EENS0_17counting_iteratorIjlEEPS9_SG_NS0_5tupleIJPjSI_NS0_16reverse_iteratorISI_EEEEENSH_IJSG_SG_SG_EEES9_SI_JZNS1_25segmented_radix_sort_implINS0_14default_configELb0EPKiPiPKlPlN2at6native12_GLOBAL__N_18offset_tEEE10hipError_tPvRmT1_PNSt15iterator_traitsIS12_E10value_typeET2_T3_PNS13_IS18_E10value_typeET4_jRbjT5_S1E_jjP12ihipStream_tbEUljE_ZNSN_ISO_Lb0ESQ_SR_ST_SU_SY_EESZ_S10_S11_S12_S16_S17_S18_S1B_S1C_jS1D_jS1E_S1E_jjS1G_bEUljE0_EEESZ_S10_S11_S18_S1C_S1E_T6_T7_T9_mT8_S1G_bDpT10_ENKUlT_T0_E_clISt17integral_constantIbLb1EES1T_IbLb0EEEEDaS1P_S1Q_EUlS1P_E_NS1_11comp_targetILNS1_3genE0ELNS1_11target_archE4294967295ELNS1_3gpuE0ELNS1_3repE0EEENS1_30default_config_static_selectorELNS0_4arch9wavefront6targetE1EEEvS12_,comdat
.Lfunc_end552:
	.size	_ZN7rocprim17ROCPRIM_400000_NS6detail17trampoline_kernelINS0_13select_configILj256ELj13ELNS0_17block_load_methodE3ELS4_3ELS4_3ELNS0_20block_scan_algorithmE0ELj4294967295EEENS1_25partition_config_selectorILNS1_17partition_subalgoE4EjNS0_10empty_typeEbEEZZNS1_14partition_implILS8_4ELb0ES6_15HIP_vector_typeIjLj2EENS0_17counting_iteratorIjlEEPS9_SG_NS0_5tupleIJPjSI_NS0_16reverse_iteratorISI_EEEEENSH_IJSG_SG_SG_EEES9_SI_JZNS1_25segmented_radix_sort_implINS0_14default_configELb0EPKiPiPKlPlN2at6native12_GLOBAL__N_18offset_tEEE10hipError_tPvRmT1_PNSt15iterator_traitsIS12_E10value_typeET2_T3_PNS13_IS18_E10value_typeET4_jRbjT5_S1E_jjP12ihipStream_tbEUljE_ZNSN_ISO_Lb0ESQ_SR_ST_SU_SY_EESZ_S10_S11_S12_S16_S17_S18_S1B_S1C_jS1D_jS1E_S1E_jjS1G_bEUljE0_EEESZ_S10_S11_S18_S1C_S1E_T6_T7_T9_mT8_S1G_bDpT10_ENKUlT_T0_E_clISt17integral_constantIbLb1EES1T_IbLb0EEEEDaS1P_S1Q_EUlS1P_E_NS1_11comp_targetILNS1_3genE0ELNS1_11target_archE4294967295ELNS1_3gpuE0ELNS1_3repE0EEENS1_30default_config_static_selectorELNS0_4arch9wavefront6targetE1EEEvS12_, .Lfunc_end552-_ZN7rocprim17ROCPRIM_400000_NS6detail17trampoline_kernelINS0_13select_configILj256ELj13ELNS0_17block_load_methodE3ELS4_3ELS4_3ELNS0_20block_scan_algorithmE0ELj4294967295EEENS1_25partition_config_selectorILNS1_17partition_subalgoE4EjNS0_10empty_typeEbEEZZNS1_14partition_implILS8_4ELb0ES6_15HIP_vector_typeIjLj2EENS0_17counting_iteratorIjlEEPS9_SG_NS0_5tupleIJPjSI_NS0_16reverse_iteratorISI_EEEEENSH_IJSG_SG_SG_EEES9_SI_JZNS1_25segmented_radix_sort_implINS0_14default_configELb0EPKiPiPKlPlN2at6native12_GLOBAL__N_18offset_tEEE10hipError_tPvRmT1_PNSt15iterator_traitsIS12_E10value_typeET2_T3_PNS13_IS18_E10value_typeET4_jRbjT5_S1E_jjP12ihipStream_tbEUljE_ZNSN_ISO_Lb0ESQ_SR_ST_SU_SY_EESZ_S10_S11_S12_S16_S17_S18_S1B_S1C_jS1D_jS1E_S1E_jjS1G_bEUljE0_EEESZ_S10_S11_S18_S1C_S1E_T6_T7_T9_mT8_S1G_bDpT10_ENKUlT_T0_E_clISt17integral_constantIbLb1EES1T_IbLb0EEEEDaS1P_S1Q_EUlS1P_E_NS1_11comp_targetILNS1_3genE0ELNS1_11target_archE4294967295ELNS1_3gpuE0ELNS1_3repE0EEENS1_30default_config_static_selectorELNS0_4arch9wavefront6targetE1EEEvS12_
                                        ; -- End function
	.set _ZN7rocprim17ROCPRIM_400000_NS6detail17trampoline_kernelINS0_13select_configILj256ELj13ELNS0_17block_load_methodE3ELS4_3ELS4_3ELNS0_20block_scan_algorithmE0ELj4294967295EEENS1_25partition_config_selectorILNS1_17partition_subalgoE4EjNS0_10empty_typeEbEEZZNS1_14partition_implILS8_4ELb0ES6_15HIP_vector_typeIjLj2EENS0_17counting_iteratorIjlEEPS9_SG_NS0_5tupleIJPjSI_NS0_16reverse_iteratorISI_EEEEENSH_IJSG_SG_SG_EEES9_SI_JZNS1_25segmented_radix_sort_implINS0_14default_configELb0EPKiPiPKlPlN2at6native12_GLOBAL__N_18offset_tEEE10hipError_tPvRmT1_PNSt15iterator_traitsIS12_E10value_typeET2_T3_PNS13_IS18_E10value_typeET4_jRbjT5_S1E_jjP12ihipStream_tbEUljE_ZNSN_ISO_Lb0ESQ_SR_ST_SU_SY_EESZ_S10_S11_S12_S16_S17_S18_S1B_S1C_jS1D_jS1E_S1E_jjS1G_bEUljE0_EEESZ_S10_S11_S18_S1C_S1E_T6_T7_T9_mT8_S1G_bDpT10_ENKUlT_T0_E_clISt17integral_constantIbLb1EES1T_IbLb0EEEEDaS1P_S1Q_EUlS1P_E_NS1_11comp_targetILNS1_3genE0ELNS1_11target_archE4294967295ELNS1_3gpuE0ELNS1_3repE0EEENS1_30default_config_static_selectorELNS0_4arch9wavefront6targetE1EEEvS12_.num_vgpr, 0
	.set _ZN7rocprim17ROCPRIM_400000_NS6detail17trampoline_kernelINS0_13select_configILj256ELj13ELNS0_17block_load_methodE3ELS4_3ELS4_3ELNS0_20block_scan_algorithmE0ELj4294967295EEENS1_25partition_config_selectorILNS1_17partition_subalgoE4EjNS0_10empty_typeEbEEZZNS1_14partition_implILS8_4ELb0ES6_15HIP_vector_typeIjLj2EENS0_17counting_iteratorIjlEEPS9_SG_NS0_5tupleIJPjSI_NS0_16reverse_iteratorISI_EEEEENSH_IJSG_SG_SG_EEES9_SI_JZNS1_25segmented_radix_sort_implINS0_14default_configELb0EPKiPiPKlPlN2at6native12_GLOBAL__N_18offset_tEEE10hipError_tPvRmT1_PNSt15iterator_traitsIS12_E10value_typeET2_T3_PNS13_IS18_E10value_typeET4_jRbjT5_S1E_jjP12ihipStream_tbEUljE_ZNSN_ISO_Lb0ESQ_SR_ST_SU_SY_EESZ_S10_S11_S12_S16_S17_S18_S1B_S1C_jS1D_jS1E_S1E_jjS1G_bEUljE0_EEESZ_S10_S11_S18_S1C_S1E_T6_T7_T9_mT8_S1G_bDpT10_ENKUlT_T0_E_clISt17integral_constantIbLb1EES1T_IbLb0EEEEDaS1P_S1Q_EUlS1P_E_NS1_11comp_targetILNS1_3genE0ELNS1_11target_archE4294967295ELNS1_3gpuE0ELNS1_3repE0EEENS1_30default_config_static_selectorELNS0_4arch9wavefront6targetE1EEEvS12_.num_agpr, 0
	.set _ZN7rocprim17ROCPRIM_400000_NS6detail17trampoline_kernelINS0_13select_configILj256ELj13ELNS0_17block_load_methodE3ELS4_3ELS4_3ELNS0_20block_scan_algorithmE0ELj4294967295EEENS1_25partition_config_selectorILNS1_17partition_subalgoE4EjNS0_10empty_typeEbEEZZNS1_14partition_implILS8_4ELb0ES6_15HIP_vector_typeIjLj2EENS0_17counting_iteratorIjlEEPS9_SG_NS0_5tupleIJPjSI_NS0_16reverse_iteratorISI_EEEEENSH_IJSG_SG_SG_EEES9_SI_JZNS1_25segmented_radix_sort_implINS0_14default_configELb0EPKiPiPKlPlN2at6native12_GLOBAL__N_18offset_tEEE10hipError_tPvRmT1_PNSt15iterator_traitsIS12_E10value_typeET2_T3_PNS13_IS18_E10value_typeET4_jRbjT5_S1E_jjP12ihipStream_tbEUljE_ZNSN_ISO_Lb0ESQ_SR_ST_SU_SY_EESZ_S10_S11_S12_S16_S17_S18_S1B_S1C_jS1D_jS1E_S1E_jjS1G_bEUljE0_EEESZ_S10_S11_S18_S1C_S1E_T6_T7_T9_mT8_S1G_bDpT10_ENKUlT_T0_E_clISt17integral_constantIbLb1EES1T_IbLb0EEEEDaS1P_S1Q_EUlS1P_E_NS1_11comp_targetILNS1_3genE0ELNS1_11target_archE4294967295ELNS1_3gpuE0ELNS1_3repE0EEENS1_30default_config_static_selectorELNS0_4arch9wavefront6targetE1EEEvS12_.numbered_sgpr, 0
	.set _ZN7rocprim17ROCPRIM_400000_NS6detail17trampoline_kernelINS0_13select_configILj256ELj13ELNS0_17block_load_methodE3ELS4_3ELS4_3ELNS0_20block_scan_algorithmE0ELj4294967295EEENS1_25partition_config_selectorILNS1_17partition_subalgoE4EjNS0_10empty_typeEbEEZZNS1_14partition_implILS8_4ELb0ES6_15HIP_vector_typeIjLj2EENS0_17counting_iteratorIjlEEPS9_SG_NS0_5tupleIJPjSI_NS0_16reverse_iteratorISI_EEEEENSH_IJSG_SG_SG_EEES9_SI_JZNS1_25segmented_radix_sort_implINS0_14default_configELb0EPKiPiPKlPlN2at6native12_GLOBAL__N_18offset_tEEE10hipError_tPvRmT1_PNSt15iterator_traitsIS12_E10value_typeET2_T3_PNS13_IS18_E10value_typeET4_jRbjT5_S1E_jjP12ihipStream_tbEUljE_ZNSN_ISO_Lb0ESQ_SR_ST_SU_SY_EESZ_S10_S11_S12_S16_S17_S18_S1B_S1C_jS1D_jS1E_S1E_jjS1G_bEUljE0_EEESZ_S10_S11_S18_S1C_S1E_T6_T7_T9_mT8_S1G_bDpT10_ENKUlT_T0_E_clISt17integral_constantIbLb1EES1T_IbLb0EEEEDaS1P_S1Q_EUlS1P_E_NS1_11comp_targetILNS1_3genE0ELNS1_11target_archE4294967295ELNS1_3gpuE0ELNS1_3repE0EEENS1_30default_config_static_selectorELNS0_4arch9wavefront6targetE1EEEvS12_.num_named_barrier, 0
	.set _ZN7rocprim17ROCPRIM_400000_NS6detail17trampoline_kernelINS0_13select_configILj256ELj13ELNS0_17block_load_methodE3ELS4_3ELS4_3ELNS0_20block_scan_algorithmE0ELj4294967295EEENS1_25partition_config_selectorILNS1_17partition_subalgoE4EjNS0_10empty_typeEbEEZZNS1_14partition_implILS8_4ELb0ES6_15HIP_vector_typeIjLj2EENS0_17counting_iteratorIjlEEPS9_SG_NS0_5tupleIJPjSI_NS0_16reverse_iteratorISI_EEEEENSH_IJSG_SG_SG_EEES9_SI_JZNS1_25segmented_radix_sort_implINS0_14default_configELb0EPKiPiPKlPlN2at6native12_GLOBAL__N_18offset_tEEE10hipError_tPvRmT1_PNSt15iterator_traitsIS12_E10value_typeET2_T3_PNS13_IS18_E10value_typeET4_jRbjT5_S1E_jjP12ihipStream_tbEUljE_ZNSN_ISO_Lb0ESQ_SR_ST_SU_SY_EESZ_S10_S11_S12_S16_S17_S18_S1B_S1C_jS1D_jS1E_S1E_jjS1G_bEUljE0_EEESZ_S10_S11_S18_S1C_S1E_T6_T7_T9_mT8_S1G_bDpT10_ENKUlT_T0_E_clISt17integral_constantIbLb1EES1T_IbLb0EEEEDaS1P_S1Q_EUlS1P_E_NS1_11comp_targetILNS1_3genE0ELNS1_11target_archE4294967295ELNS1_3gpuE0ELNS1_3repE0EEENS1_30default_config_static_selectorELNS0_4arch9wavefront6targetE1EEEvS12_.private_seg_size, 0
	.set _ZN7rocprim17ROCPRIM_400000_NS6detail17trampoline_kernelINS0_13select_configILj256ELj13ELNS0_17block_load_methodE3ELS4_3ELS4_3ELNS0_20block_scan_algorithmE0ELj4294967295EEENS1_25partition_config_selectorILNS1_17partition_subalgoE4EjNS0_10empty_typeEbEEZZNS1_14partition_implILS8_4ELb0ES6_15HIP_vector_typeIjLj2EENS0_17counting_iteratorIjlEEPS9_SG_NS0_5tupleIJPjSI_NS0_16reverse_iteratorISI_EEEEENSH_IJSG_SG_SG_EEES9_SI_JZNS1_25segmented_radix_sort_implINS0_14default_configELb0EPKiPiPKlPlN2at6native12_GLOBAL__N_18offset_tEEE10hipError_tPvRmT1_PNSt15iterator_traitsIS12_E10value_typeET2_T3_PNS13_IS18_E10value_typeET4_jRbjT5_S1E_jjP12ihipStream_tbEUljE_ZNSN_ISO_Lb0ESQ_SR_ST_SU_SY_EESZ_S10_S11_S12_S16_S17_S18_S1B_S1C_jS1D_jS1E_S1E_jjS1G_bEUljE0_EEESZ_S10_S11_S18_S1C_S1E_T6_T7_T9_mT8_S1G_bDpT10_ENKUlT_T0_E_clISt17integral_constantIbLb1EES1T_IbLb0EEEEDaS1P_S1Q_EUlS1P_E_NS1_11comp_targetILNS1_3genE0ELNS1_11target_archE4294967295ELNS1_3gpuE0ELNS1_3repE0EEENS1_30default_config_static_selectorELNS0_4arch9wavefront6targetE1EEEvS12_.uses_vcc, 0
	.set _ZN7rocprim17ROCPRIM_400000_NS6detail17trampoline_kernelINS0_13select_configILj256ELj13ELNS0_17block_load_methodE3ELS4_3ELS4_3ELNS0_20block_scan_algorithmE0ELj4294967295EEENS1_25partition_config_selectorILNS1_17partition_subalgoE4EjNS0_10empty_typeEbEEZZNS1_14partition_implILS8_4ELb0ES6_15HIP_vector_typeIjLj2EENS0_17counting_iteratorIjlEEPS9_SG_NS0_5tupleIJPjSI_NS0_16reverse_iteratorISI_EEEEENSH_IJSG_SG_SG_EEES9_SI_JZNS1_25segmented_radix_sort_implINS0_14default_configELb0EPKiPiPKlPlN2at6native12_GLOBAL__N_18offset_tEEE10hipError_tPvRmT1_PNSt15iterator_traitsIS12_E10value_typeET2_T3_PNS13_IS18_E10value_typeET4_jRbjT5_S1E_jjP12ihipStream_tbEUljE_ZNSN_ISO_Lb0ESQ_SR_ST_SU_SY_EESZ_S10_S11_S12_S16_S17_S18_S1B_S1C_jS1D_jS1E_S1E_jjS1G_bEUljE0_EEESZ_S10_S11_S18_S1C_S1E_T6_T7_T9_mT8_S1G_bDpT10_ENKUlT_T0_E_clISt17integral_constantIbLb1EES1T_IbLb0EEEEDaS1P_S1Q_EUlS1P_E_NS1_11comp_targetILNS1_3genE0ELNS1_11target_archE4294967295ELNS1_3gpuE0ELNS1_3repE0EEENS1_30default_config_static_selectorELNS0_4arch9wavefront6targetE1EEEvS12_.uses_flat_scratch, 0
	.set _ZN7rocprim17ROCPRIM_400000_NS6detail17trampoline_kernelINS0_13select_configILj256ELj13ELNS0_17block_load_methodE3ELS4_3ELS4_3ELNS0_20block_scan_algorithmE0ELj4294967295EEENS1_25partition_config_selectorILNS1_17partition_subalgoE4EjNS0_10empty_typeEbEEZZNS1_14partition_implILS8_4ELb0ES6_15HIP_vector_typeIjLj2EENS0_17counting_iteratorIjlEEPS9_SG_NS0_5tupleIJPjSI_NS0_16reverse_iteratorISI_EEEEENSH_IJSG_SG_SG_EEES9_SI_JZNS1_25segmented_radix_sort_implINS0_14default_configELb0EPKiPiPKlPlN2at6native12_GLOBAL__N_18offset_tEEE10hipError_tPvRmT1_PNSt15iterator_traitsIS12_E10value_typeET2_T3_PNS13_IS18_E10value_typeET4_jRbjT5_S1E_jjP12ihipStream_tbEUljE_ZNSN_ISO_Lb0ESQ_SR_ST_SU_SY_EESZ_S10_S11_S12_S16_S17_S18_S1B_S1C_jS1D_jS1E_S1E_jjS1G_bEUljE0_EEESZ_S10_S11_S18_S1C_S1E_T6_T7_T9_mT8_S1G_bDpT10_ENKUlT_T0_E_clISt17integral_constantIbLb1EES1T_IbLb0EEEEDaS1P_S1Q_EUlS1P_E_NS1_11comp_targetILNS1_3genE0ELNS1_11target_archE4294967295ELNS1_3gpuE0ELNS1_3repE0EEENS1_30default_config_static_selectorELNS0_4arch9wavefront6targetE1EEEvS12_.has_dyn_sized_stack, 0
	.set _ZN7rocprim17ROCPRIM_400000_NS6detail17trampoline_kernelINS0_13select_configILj256ELj13ELNS0_17block_load_methodE3ELS4_3ELS4_3ELNS0_20block_scan_algorithmE0ELj4294967295EEENS1_25partition_config_selectorILNS1_17partition_subalgoE4EjNS0_10empty_typeEbEEZZNS1_14partition_implILS8_4ELb0ES6_15HIP_vector_typeIjLj2EENS0_17counting_iteratorIjlEEPS9_SG_NS0_5tupleIJPjSI_NS0_16reverse_iteratorISI_EEEEENSH_IJSG_SG_SG_EEES9_SI_JZNS1_25segmented_radix_sort_implINS0_14default_configELb0EPKiPiPKlPlN2at6native12_GLOBAL__N_18offset_tEEE10hipError_tPvRmT1_PNSt15iterator_traitsIS12_E10value_typeET2_T3_PNS13_IS18_E10value_typeET4_jRbjT5_S1E_jjP12ihipStream_tbEUljE_ZNSN_ISO_Lb0ESQ_SR_ST_SU_SY_EESZ_S10_S11_S12_S16_S17_S18_S1B_S1C_jS1D_jS1E_S1E_jjS1G_bEUljE0_EEESZ_S10_S11_S18_S1C_S1E_T6_T7_T9_mT8_S1G_bDpT10_ENKUlT_T0_E_clISt17integral_constantIbLb1EES1T_IbLb0EEEEDaS1P_S1Q_EUlS1P_E_NS1_11comp_targetILNS1_3genE0ELNS1_11target_archE4294967295ELNS1_3gpuE0ELNS1_3repE0EEENS1_30default_config_static_selectorELNS0_4arch9wavefront6targetE1EEEvS12_.has_recursion, 0
	.set _ZN7rocprim17ROCPRIM_400000_NS6detail17trampoline_kernelINS0_13select_configILj256ELj13ELNS0_17block_load_methodE3ELS4_3ELS4_3ELNS0_20block_scan_algorithmE0ELj4294967295EEENS1_25partition_config_selectorILNS1_17partition_subalgoE4EjNS0_10empty_typeEbEEZZNS1_14partition_implILS8_4ELb0ES6_15HIP_vector_typeIjLj2EENS0_17counting_iteratorIjlEEPS9_SG_NS0_5tupleIJPjSI_NS0_16reverse_iteratorISI_EEEEENSH_IJSG_SG_SG_EEES9_SI_JZNS1_25segmented_radix_sort_implINS0_14default_configELb0EPKiPiPKlPlN2at6native12_GLOBAL__N_18offset_tEEE10hipError_tPvRmT1_PNSt15iterator_traitsIS12_E10value_typeET2_T3_PNS13_IS18_E10value_typeET4_jRbjT5_S1E_jjP12ihipStream_tbEUljE_ZNSN_ISO_Lb0ESQ_SR_ST_SU_SY_EESZ_S10_S11_S12_S16_S17_S18_S1B_S1C_jS1D_jS1E_S1E_jjS1G_bEUljE0_EEESZ_S10_S11_S18_S1C_S1E_T6_T7_T9_mT8_S1G_bDpT10_ENKUlT_T0_E_clISt17integral_constantIbLb1EES1T_IbLb0EEEEDaS1P_S1Q_EUlS1P_E_NS1_11comp_targetILNS1_3genE0ELNS1_11target_archE4294967295ELNS1_3gpuE0ELNS1_3repE0EEENS1_30default_config_static_selectorELNS0_4arch9wavefront6targetE1EEEvS12_.has_indirect_call, 0
	.section	.AMDGPU.csdata,"",@progbits
; Kernel info:
; codeLenInByte = 0
; TotalNumSgprs: 4
; NumVgprs: 0
; ScratchSize: 0
; MemoryBound: 0
; FloatMode: 240
; IeeeMode: 1
; LDSByteSize: 0 bytes/workgroup (compile time only)
; SGPRBlocks: 0
; VGPRBlocks: 0
; NumSGPRsForWavesPerEU: 4
; NumVGPRsForWavesPerEU: 1
; Occupancy: 10
; WaveLimiterHint : 0
; COMPUTE_PGM_RSRC2:SCRATCH_EN: 0
; COMPUTE_PGM_RSRC2:USER_SGPR: 6
; COMPUTE_PGM_RSRC2:TRAP_HANDLER: 0
; COMPUTE_PGM_RSRC2:TGID_X_EN: 1
; COMPUTE_PGM_RSRC2:TGID_Y_EN: 0
; COMPUTE_PGM_RSRC2:TGID_Z_EN: 0
; COMPUTE_PGM_RSRC2:TIDIG_COMP_CNT: 0
	.section	.text._ZN7rocprim17ROCPRIM_400000_NS6detail17trampoline_kernelINS0_13select_configILj256ELj13ELNS0_17block_load_methodE3ELS4_3ELS4_3ELNS0_20block_scan_algorithmE0ELj4294967295EEENS1_25partition_config_selectorILNS1_17partition_subalgoE4EjNS0_10empty_typeEbEEZZNS1_14partition_implILS8_4ELb0ES6_15HIP_vector_typeIjLj2EENS0_17counting_iteratorIjlEEPS9_SG_NS0_5tupleIJPjSI_NS0_16reverse_iteratorISI_EEEEENSH_IJSG_SG_SG_EEES9_SI_JZNS1_25segmented_radix_sort_implINS0_14default_configELb0EPKiPiPKlPlN2at6native12_GLOBAL__N_18offset_tEEE10hipError_tPvRmT1_PNSt15iterator_traitsIS12_E10value_typeET2_T3_PNS13_IS18_E10value_typeET4_jRbjT5_S1E_jjP12ihipStream_tbEUljE_ZNSN_ISO_Lb0ESQ_SR_ST_SU_SY_EESZ_S10_S11_S12_S16_S17_S18_S1B_S1C_jS1D_jS1E_S1E_jjS1G_bEUljE0_EEESZ_S10_S11_S18_S1C_S1E_T6_T7_T9_mT8_S1G_bDpT10_ENKUlT_T0_E_clISt17integral_constantIbLb1EES1T_IbLb0EEEEDaS1P_S1Q_EUlS1P_E_NS1_11comp_targetILNS1_3genE5ELNS1_11target_archE942ELNS1_3gpuE9ELNS1_3repE0EEENS1_30default_config_static_selectorELNS0_4arch9wavefront6targetE1EEEvS12_,"axG",@progbits,_ZN7rocprim17ROCPRIM_400000_NS6detail17trampoline_kernelINS0_13select_configILj256ELj13ELNS0_17block_load_methodE3ELS4_3ELS4_3ELNS0_20block_scan_algorithmE0ELj4294967295EEENS1_25partition_config_selectorILNS1_17partition_subalgoE4EjNS0_10empty_typeEbEEZZNS1_14partition_implILS8_4ELb0ES6_15HIP_vector_typeIjLj2EENS0_17counting_iteratorIjlEEPS9_SG_NS0_5tupleIJPjSI_NS0_16reverse_iteratorISI_EEEEENSH_IJSG_SG_SG_EEES9_SI_JZNS1_25segmented_radix_sort_implINS0_14default_configELb0EPKiPiPKlPlN2at6native12_GLOBAL__N_18offset_tEEE10hipError_tPvRmT1_PNSt15iterator_traitsIS12_E10value_typeET2_T3_PNS13_IS18_E10value_typeET4_jRbjT5_S1E_jjP12ihipStream_tbEUljE_ZNSN_ISO_Lb0ESQ_SR_ST_SU_SY_EESZ_S10_S11_S12_S16_S17_S18_S1B_S1C_jS1D_jS1E_S1E_jjS1G_bEUljE0_EEESZ_S10_S11_S18_S1C_S1E_T6_T7_T9_mT8_S1G_bDpT10_ENKUlT_T0_E_clISt17integral_constantIbLb1EES1T_IbLb0EEEEDaS1P_S1Q_EUlS1P_E_NS1_11comp_targetILNS1_3genE5ELNS1_11target_archE942ELNS1_3gpuE9ELNS1_3repE0EEENS1_30default_config_static_selectorELNS0_4arch9wavefront6targetE1EEEvS12_,comdat
	.globl	_ZN7rocprim17ROCPRIM_400000_NS6detail17trampoline_kernelINS0_13select_configILj256ELj13ELNS0_17block_load_methodE3ELS4_3ELS4_3ELNS0_20block_scan_algorithmE0ELj4294967295EEENS1_25partition_config_selectorILNS1_17partition_subalgoE4EjNS0_10empty_typeEbEEZZNS1_14partition_implILS8_4ELb0ES6_15HIP_vector_typeIjLj2EENS0_17counting_iteratorIjlEEPS9_SG_NS0_5tupleIJPjSI_NS0_16reverse_iteratorISI_EEEEENSH_IJSG_SG_SG_EEES9_SI_JZNS1_25segmented_radix_sort_implINS0_14default_configELb0EPKiPiPKlPlN2at6native12_GLOBAL__N_18offset_tEEE10hipError_tPvRmT1_PNSt15iterator_traitsIS12_E10value_typeET2_T3_PNS13_IS18_E10value_typeET4_jRbjT5_S1E_jjP12ihipStream_tbEUljE_ZNSN_ISO_Lb0ESQ_SR_ST_SU_SY_EESZ_S10_S11_S12_S16_S17_S18_S1B_S1C_jS1D_jS1E_S1E_jjS1G_bEUljE0_EEESZ_S10_S11_S18_S1C_S1E_T6_T7_T9_mT8_S1G_bDpT10_ENKUlT_T0_E_clISt17integral_constantIbLb1EES1T_IbLb0EEEEDaS1P_S1Q_EUlS1P_E_NS1_11comp_targetILNS1_3genE5ELNS1_11target_archE942ELNS1_3gpuE9ELNS1_3repE0EEENS1_30default_config_static_selectorELNS0_4arch9wavefront6targetE1EEEvS12_ ; -- Begin function _ZN7rocprim17ROCPRIM_400000_NS6detail17trampoline_kernelINS0_13select_configILj256ELj13ELNS0_17block_load_methodE3ELS4_3ELS4_3ELNS0_20block_scan_algorithmE0ELj4294967295EEENS1_25partition_config_selectorILNS1_17partition_subalgoE4EjNS0_10empty_typeEbEEZZNS1_14partition_implILS8_4ELb0ES6_15HIP_vector_typeIjLj2EENS0_17counting_iteratorIjlEEPS9_SG_NS0_5tupleIJPjSI_NS0_16reverse_iteratorISI_EEEEENSH_IJSG_SG_SG_EEES9_SI_JZNS1_25segmented_radix_sort_implINS0_14default_configELb0EPKiPiPKlPlN2at6native12_GLOBAL__N_18offset_tEEE10hipError_tPvRmT1_PNSt15iterator_traitsIS12_E10value_typeET2_T3_PNS13_IS18_E10value_typeET4_jRbjT5_S1E_jjP12ihipStream_tbEUljE_ZNSN_ISO_Lb0ESQ_SR_ST_SU_SY_EESZ_S10_S11_S12_S16_S17_S18_S1B_S1C_jS1D_jS1E_S1E_jjS1G_bEUljE0_EEESZ_S10_S11_S18_S1C_S1E_T6_T7_T9_mT8_S1G_bDpT10_ENKUlT_T0_E_clISt17integral_constantIbLb1EES1T_IbLb0EEEEDaS1P_S1Q_EUlS1P_E_NS1_11comp_targetILNS1_3genE5ELNS1_11target_archE942ELNS1_3gpuE9ELNS1_3repE0EEENS1_30default_config_static_selectorELNS0_4arch9wavefront6targetE1EEEvS12_
	.p2align	8
	.type	_ZN7rocprim17ROCPRIM_400000_NS6detail17trampoline_kernelINS0_13select_configILj256ELj13ELNS0_17block_load_methodE3ELS4_3ELS4_3ELNS0_20block_scan_algorithmE0ELj4294967295EEENS1_25partition_config_selectorILNS1_17partition_subalgoE4EjNS0_10empty_typeEbEEZZNS1_14partition_implILS8_4ELb0ES6_15HIP_vector_typeIjLj2EENS0_17counting_iteratorIjlEEPS9_SG_NS0_5tupleIJPjSI_NS0_16reverse_iteratorISI_EEEEENSH_IJSG_SG_SG_EEES9_SI_JZNS1_25segmented_radix_sort_implINS0_14default_configELb0EPKiPiPKlPlN2at6native12_GLOBAL__N_18offset_tEEE10hipError_tPvRmT1_PNSt15iterator_traitsIS12_E10value_typeET2_T3_PNS13_IS18_E10value_typeET4_jRbjT5_S1E_jjP12ihipStream_tbEUljE_ZNSN_ISO_Lb0ESQ_SR_ST_SU_SY_EESZ_S10_S11_S12_S16_S17_S18_S1B_S1C_jS1D_jS1E_S1E_jjS1G_bEUljE0_EEESZ_S10_S11_S18_S1C_S1E_T6_T7_T9_mT8_S1G_bDpT10_ENKUlT_T0_E_clISt17integral_constantIbLb1EES1T_IbLb0EEEEDaS1P_S1Q_EUlS1P_E_NS1_11comp_targetILNS1_3genE5ELNS1_11target_archE942ELNS1_3gpuE9ELNS1_3repE0EEENS1_30default_config_static_selectorELNS0_4arch9wavefront6targetE1EEEvS12_,@function
_ZN7rocprim17ROCPRIM_400000_NS6detail17trampoline_kernelINS0_13select_configILj256ELj13ELNS0_17block_load_methodE3ELS4_3ELS4_3ELNS0_20block_scan_algorithmE0ELj4294967295EEENS1_25partition_config_selectorILNS1_17partition_subalgoE4EjNS0_10empty_typeEbEEZZNS1_14partition_implILS8_4ELb0ES6_15HIP_vector_typeIjLj2EENS0_17counting_iteratorIjlEEPS9_SG_NS0_5tupleIJPjSI_NS0_16reverse_iteratorISI_EEEEENSH_IJSG_SG_SG_EEES9_SI_JZNS1_25segmented_radix_sort_implINS0_14default_configELb0EPKiPiPKlPlN2at6native12_GLOBAL__N_18offset_tEEE10hipError_tPvRmT1_PNSt15iterator_traitsIS12_E10value_typeET2_T3_PNS13_IS18_E10value_typeET4_jRbjT5_S1E_jjP12ihipStream_tbEUljE_ZNSN_ISO_Lb0ESQ_SR_ST_SU_SY_EESZ_S10_S11_S12_S16_S17_S18_S1B_S1C_jS1D_jS1E_S1E_jjS1G_bEUljE0_EEESZ_S10_S11_S18_S1C_S1E_T6_T7_T9_mT8_S1G_bDpT10_ENKUlT_T0_E_clISt17integral_constantIbLb1EES1T_IbLb0EEEEDaS1P_S1Q_EUlS1P_E_NS1_11comp_targetILNS1_3genE5ELNS1_11target_archE942ELNS1_3gpuE9ELNS1_3repE0EEENS1_30default_config_static_selectorELNS0_4arch9wavefront6targetE1EEEvS12_: ; @_ZN7rocprim17ROCPRIM_400000_NS6detail17trampoline_kernelINS0_13select_configILj256ELj13ELNS0_17block_load_methodE3ELS4_3ELS4_3ELNS0_20block_scan_algorithmE0ELj4294967295EEENS1_25partition_config_selectorILNS1_17partition_subalgoE4EjNS0_10empty_typeEbEEZZNS1_14partition_implILS8_4ELb0ES6_15HIP_vector_typeIjLj2EENS0_17counting_iteratorIjlEEPS9_SG_NS0_5tupleIJPjSI_NS0_16reverse_iteratorISI_EEEEENSH_IJSG_SG_SG_EEES9_SI_JZNS1_25segmented_radix_sort_implINS0_14default_configELb0EPKiPiPKlPlN2at6native12_GLOBAL__N_18offset_tEEE10hipError_tPvRmT1_PNSt15iterator_traitsIS12_E10value_typeET2_T3_PNS13_IS18_E10value_typeET4_jRbjT5_S1E_jjP12ihipStream_tbEUljE_ZNSN_ISO_Lb0ESQ_SR_ST_SU_SY_EESZ_S10_S11_S12_S16_S17_S18_S1B_S1C_jS1D_jS1E_S1E_jjS1G_bEUljE0_EEESZ_S10_S11_S18_S1C_S1E_T6_T7_T9_mT8_S1G_bDpT10_ENKUlT_T0_E_clISt17integral_constantIbLb1EES1T_IbLb0EEEEDaS1P_S1Q_EUlS1P_E_NS1_11comp_targetILNS1_3genE5ELNS1_11target_archE942ELNS1_3gpuE9ELNS1_3repE0EEENS1_30default_config_static_selectorELNS0_4arch9wavefront6targetE1EEEvS12_
; %bb.0:
	.section	.rodata,"a",@progbits
	.p2align	6, 0x0
	.amdhsa_kernel _ZN7rocprim17ROCPRIM_400000_NS6detail17trampoline_kernelINS0_13select_configILj256ELj13ELNS0_17block_load_methodE3ELS4_3ELS4_3ELNS0_20block_scan_algorithmE0ELj4294967295EEENS1_25partition_config_selectorILNS1_17partition_subalgoE4EjNS0_10empty_typeEbEEZZNS1_14partition_implILS8_4ELb0ES6_15HIP_vector_typeIjLj2EENS0_17counting_iteratorIjlEEPS9_SG_NS0_5tupleIJPjSI_NS0_16reverse_iteratorISI_EEEEENSH_IJSG_SG_SG_EEES9_SI_JZNS1_25segmented_radix_sort_implINS0_14default_configELb0EPKiPiPKlPlN2at6native12_GLOBAL__N_18offset_tEEE10hipError_tPvRmT1_PNSt15iterator_traitsIS12_E10value_typeET2_T3_PNS13_IS18_E10value_typeET4_jRbjT5_S1E_jjP12ihipStream_tbEUljE_ZNSN_ISO_Lb0ESQ_SR_ST_SU_SY_EESZ_S10_S11_S12_S16_S17_S18_S1B_S1C_jS1D_jS1E_S1E_jjS1G_bEUljE0_EEESZ_S10_S11_S18_S1C_S1E_T6_T7_T9_mT8_S1G_bDpT10_ENKUlT_T0_E_clISt17integral_constantIbLb1EES1T_IbLb0EEEEDaS1P_S1Q_EUlS1P_E_NS1_11comp_targetILNS1_3genE5ELNS1_11target_archE942ELNS1_3gpuE9ELNS1_3repE0EEENS1_30default_config_static_selectorELNS0_4arch9wavefront6targetE1EEEvS12_
		.amdhsa_group_segment_fixed_size 0
		.amdhsa_private_segment_fixed_size 0
		.amdhsa_kernarg_size 176
		.amdhsa_user_sgpr_count 6
		.amdhsa_user_sgpr_private_segment_buffer 1
		.amdhsa_user_sgpr_dispatch_ptr 0
		.amdhsa_user_sgpr_queue_ptr 0
		.amdhsa_user_sgpr_kernarg_segment_ptr 1
		.amdhsa_user_sgpr_dispatch_id 0
		.amdhsa_user_sgpr_flat_scratch_init 0
		.amdhsa_user_sgpr_private_segment_size 0
		.amdhsa_uses_dynamic_stack 0
		.amdhsa_system_sgpr_private_segment_wavefront_offset 0
		.amdhsa_system_sgpr_workgroup_id_x 1
		.amdhsa_system_sgpr_workgroup_id_y 0
		.amdhsa_system_sgpr_workgroup_id_z 0
		.amdhsa_system_sgpr_workgroup_info 0
		.amdhsa_system_vgpr_workitem_id 0
		.amdhsa_next_free_vgpr 1
		.amdhsa_next_free_sgpr 0
		.amdhsa_reserve_vcc 0
		.amdhsa_reserve_flat_scratch 0
		.amdhsa_float_round_mode_32 0
		.amdhsa_float_round_mode_16_64 0
		.amdhsa_float_denorm_mode_32 3
		.amdhsa_float_denorm_mode_16_64 3
		.amdhsa_dx10_clamp 1
		.amdhsa_ieee_mode 1
		.amdhsa_fp16_overflow 0
		.amdhsa_exception_fp_ieee_invalid_op 0
		.amdhsa_exception_fp_denorm_src 0
		.amdhsa_exception_fp_ieee_div_zero 0
		.amdhsa_exception_fp_ieee_overflow 0
		.amdhsa_exception_fp_ieee_underflow 0
		.amdhsa_exception_fp_ieee_inexact 0
		.amdhsa_exception_int_div_zero 0
	.end_amdhsa_kernel
	.section	.text._ZN7rocprim17ROCPRIM_400000_NS6detail17trampoline_kernelINS0_13select_configILj256ELj13ELNS0_17block_load_methodE3ELS4_3ELS4_3ELNS0_20block_scan_algorithmE0ELj4294967295EEENS1_25partition_config_selectorILNS1_17partition_subalgoE4EjNS0_10empty_typeEbEEZZNS1_14partition_implILS8_4ELb0ES6_15HIP_vector_typeIjLj2EENS0_17counting_iteratorIjlEEPS9_SG_NS0_5tupleIJPjSI_NS0_16reverse_iteratorISI_EEEEENSH_IJSG_SG_SG_EEES9_SI_JZNS1_25segmented_radix_sort_implINS0_14default_configELb0EPKiPiPKlPlN2at6native12_GLOBAL__N_18offset_tEEE10hipError_tPvRmT1_PNSt15iterator_traitsIS12_E10value_typeET2_T3_PNS13_IS18_E10value_typeET4_jRbjT5_S1E_jjP12ihipStream_tbEUljE_ZNSN_ISO_Lb0ESQ_SR_ST_SU_SY_EESZ_S10_S11_S12_S16_S17_S18_S1B_S1C_jS1D_jS1E_S1E_jjS1G_bEUljE0_EEESZ_S10_S11_S18_S1C_S1E_T6_T7_T9_mT8_S1G_bDpT10_ENKUlT_T0_E_clISt17integral_constantIbLb1EES1T_IbLb0EEEEDaS1P_S1Q_EUlS1P_E_NS1_11comp_targetILNS1_3genE5ELNS1_11target_archE942ELNS1_3gpuE9ELNS1_3repE0EEENS1_30default_config_static_selectorELNS0_4arch9wavefront6targetE1EEEvS12_,"axG",@progbits,_ZN7rocprim17ROCPRIM_400000_NS6detail17trampoline_kernelINS0_13select_configILj256ELj13ELNS0_17block_load_methodE3ELS4_3ELS4_3ELNS0_20block_scan_algorithmE0ELj4294967295EEENS1_25partition_config_selectorILNS1_17partition_subalgoE4EjNS0_10empty_typeEbEEZZNS1_14partition_implILS8_4ELb0ES6_15HIP_vector_typeIjLj2EENS0_17counting_iteratorIjlEEPS9_SG_NS0_5tupleIJPjSI_NS0_16reverse_iteratorISI_EEEEENSH_IJSG_SG_SG_EEES9_SI_JZNS1_25segmented_radix_sort_implINS0_14default_configELb0EPKiPiPKlPlN2at6native12_GLOBAL__N_18offset_tEEE10hipError_tPvRmT1_PNSt15iterator_traitsIS12_E10value_typeET2_T3_PNS13_IS18_E10value_typeET4_jRbjT5_S1E_jjP12ihipStream_tbEUljE_ZNSN_ISO_Lb0ESQ_SR_ST_SU_SY_EESZ_S10_S11_S12_S16_S17_S18_S1B_S1C_jS1D_jS1E_S1E_jjS1G_bEUljE0_EEESZ_S10_S11_S18_S1C_S1E_T6_T7_T9_mT8_S1G_bDpT10_ENKUlT_T0_E_clISt17integral_constantIbLb1EES1T_IbLb0EEEEDaS1P_S1Q_EUlS1P_E_NS1_11comp_targetILNS1_3genE5ELNS1_11target_archE942ELNS1_3gpuE9ELNS1_3repE0EEENS1_30default_config_static_selectorELNS0_4arch9wavefront6targetE1EEEvS12_,comdat
.Lfunc_end553:
	.size	_ZN7rocprim17ROCPRIM_400000_NS6detail17trampoline_kernelINS0_13select_configILj256ELj13ELNS0_17block_load_methodE3ELS4_3ELS4_3ELNS0_20block_scan_algorithmE0ELj4294967295EEENS1_25partition_config_selectorILNS1_17partition_subalgoE4EjNS0_10empty_typeEbEEZZNS1_14partition_implILS8_4ELb0ES6_15HIP_vector_typeIjLj2EENS0_17counting_iteratorIjlEEPS9_SG_NS0_5tupleIJPjSI_NS0_16reverse_iteratorISI_EEEEENSH_IJSG_SG_SG_EEES9_SI_JZNS1_25segmented_radix_sort_implINS0_14default_configELb0EPKiPiPKlPlN2at6native12_GLOBAL__N_18offset_tEEE10hipError_tPvRmT1_PNSt15iterator_traitsIS12_E10value_typeET2_T3_PNS13_IS18_E10value_typeET4_jRbjT5_S1E_jjP12ihipStream_tbEUljE_ZNSN_ISO_Lb0ESQ_SR_ST_SU_SY_EESZ_S10_S11_S12_S16_S17_S18_S1B_S1C_jS1D_jS1E_S1E_jjS1G_bEUljE0_EEESZ_S10_S11_S18_S1C_S1E_T6_T7_T9_mT8_S1G_bDpT10_ENKUlT_T0_E_clISt17integral_constantIbLb1EES1T_IbLb0EEEEDaS1P_S1Q_EUlS1P_E_NS1_11comp_targetILNS1_3genE5ELNS1_11target_archE942ELNS1_3gpuE9ELNS1_3repE0EEENS1_30default_config_static_selectorELNS0_4arch9wavefront6targetE1EEEvS12_, .Lfunc_end553-_ZN7rocprim17ROCPRIM_400000_NS6detail17trampoline_kernelINS0_13select_configILj256ELj13ELNS0_17block_load_methodE3ELS4_3ELS4_3ELNS0_20block_scan_algorithmE0ELj4294967295EEENS1_25partition_config_selectorILNS1_17partition_subalgoE4EjNS0_10empty_typeEbEEZZNS1_14partition_implILS8_4ELb0ES6_15HIP_vector_typeIjLj2EENS0_17counting_iteratorIjlEEPS9_SG_NS0_5tupleIJPjSI_NS0_16reverse_iteratorISI_EEEEENSH_IJSG_SG_SG_EEES9_SI_JZNS1_25segmented_radix_sort_implINS0_14default_configELb0EPKiPiPKlPlN2at6native12_GLOBAL__N_18offset_tEEE10hipError_tPvRmT1_PNSt15iterator_traitsIS12_E10value_typeET2_T3_PNS13_IS18_E10value_typeET4_jRbjT5_S1E_jjP12ihipStream_tbEUljE_ZNSN_ISO_Lb0ESQ_SR_ST_SU_SY_EESZ_S10_S11_S12_S16_S17_S18_S1B_S1C_jS1D_jS1E_S1E_jjS1G_bEUljE0_EEESZ_S10_S11_S18_S1C_S1E_T6_T7_T9_mT8_S1G_bDpT10_ENKUlT_T0_E_clISt17integral_constantIbLb1EES1T_IbLb0EEEEDaS1P_S1Q_EUlS1P_E_NS1_11comp_targetILNS1_3genE5ELNS1_11target_archE942ELNS1_3gpuE9ELNS1_3repE0EEENS1_30default_config_static_selectorELNS0_4arch9wavefront6targetE1EEEvS12_
                                        ; -- End function
	.set _ZN7rocprim17ROCPRIM_400000_NS6detail17trampoline_kernelINS0_13select_configILj256ELj13ELNS0_17block_load_methodE3ELS4_3ELS4_3ELNS0_20block_scan_algorithmE0ELj4294967295EEENS1_25partition_config_selectorILNS1_17partition_subalgoE4EjNS0_10empty_typeEbEEZZNS1_14partition_implILS8_4ELb0ES6_15HIP_vector_typeIjLj2EENS0_17counting_iteratorIjlEEPS9_SG_NS0_5tupleIJPjSI_NS0_16reverse_iteratorISI_EEEEENSH_IJSG_SG_SG_EEES9_SI_JZNS1_25segmented_radix_sort_implINS0_14default_configELb0EPKiPiPKlPlN2at6native12_GLOBAL__N_18offset_tEEE10hipError_tPvRmT1_PNSt15iterator_traitsIS12_E10value_typeET2_T3_PNS13_IS18_E10value_typeET4_jRbjT5_S1E_jjP12ihipStream_tbEUljE_ZNSN_ISO_Lb0ESQ_SR_ST_SU_SY_EESZ_S10_S11_S12_S16_S17_S18_S1B_S1C_jS1D_jS1E_S1E_jjS1G_bEUljE0_EEESZ_S10_S11_S18_S1C_S1E_T6_T7_T9_mT8_S1G_bDpT10_ENKUlT_T0_E_clISt17integral_constantIbLb1EES1T_IbLb0EEEEDaS1P_S1Q_EUlS1P_E_NS1_11comp_targetILNS1_3genE5ELNS1_11target_archE942ELNS1_3gpuE9ELNS1_3repE0EEENS1_30default_config_static_selectorELNS0_4arch9wavefront6targetE1EEEvS12_.num_vgpr, 0
	.set _ZN7rocprim17ROCPRIM_400000_NS6detail17trampoline_kernelINS0_13select_configILj256ELj13ELNS0_17block_load_methodE3ELS4_3ELS4_3ELNS0_20block_scan_algorithmE0ELj4294967295EEENS1_25partition_config_selectorILNS1_17partition_subalgoE4EjNS0_10empty_typeEbEEZZNS1_14partition_implILS8_4ELb0ES6_15HIP_vector_typeIjLj2EENS0_17counting_iteratorIjlEEPS9_SG_NS0_5tupleIJPjSI_NS0_16reverse_iteratorISI_EEEEENSH_IJSG_SG_SG_EEES9_SI_JZNS1_25segmented_radix_sort_implINS0_14default_configELb0EPKiPiPKlPlN2at6native12_GLOBAL__N_18offset_tEEE10hipError_tPvRmT1_PNSt15iterator_traitsIS12_E10value_typeET2_T3_PNS13_IS18_E10value_typeET4_jRbjT5_S1E_jjP12ihipStream_tbEUljE_ZNSN_ISO_Lb0ESQ_SR_ST_SU_SY_EESZ_S10_S11_S12_S16_S17_S18_S1B_S1C_jS1D_jS1E_S1E_jjS1G_bEUljE0_EEESZ_S10_S11_S18_S1C_S1E_T6_T7_T9_mT8_S1G_bDpT10_ENKUlT_T0_E_clISt17integral_constantIbLb1EES1T_IbLb0EEEEDaS1P_S1Q_EUlS1P_E_NS1_11comp_targetILNS1_3genE5ELNS1_11target_archE942ELNS1_3gpuE9ELNS1_3repE0EEENS1_30default_config_static_selectorELNS0_4arch9wavefront6targetE1EEEvS12_.num_agpr, 0
	.set _ZN7rocprim17ROCPRIM_400000_NS6detail17trampoline_kernelINS0_13select_configILj256ELj13ELNS0_17block_load_methodE3ELS4_3ELS4_3ELNS0_20block_scan_algorithmE0ELj4294967295EEENS1_25partition_config_selectorILNS1_17partition_subalgoE4EjNS0_10empty_typeEbEEZZNS1_14partition_implILS8_4ELb0ES6_15HIP_vector_typeIjLj2EENS0_17counting_iteratorIjlEEPS9_SG_NS0_5tupleIJPjSI_NS0_16reverse_iteratorISI_EEEEENSH_IJSG_SG_SG_EEES9_SI_JZNS1_25segmented_radix_sort_implINS0_14default_configELb0EPKiPiPKlPlN2at6native12_GLOBAL__N_18offset_tEEE10hipError_tPvRmT1_PNSt15iterator_traitsIS12_E10value_typeET2_T3_PNS13_IS18_E10value_typeET4_jRbjT5_S1E_jjP12ihipStream_tbEUljE_ZNSN_ISO_Lb0ESQ_SR_ST_SU_SY_EESZ_S10_S11_S12_S16_S17_S18_S1B_S1C_jS1D_jS1E_S1E_jjS1G_bEUljE0_EEESZ_S10_S11_S18_S1C_S1E_T6_T7_T9_mT8_S1G_bDpT10_ENKUlT_T0_E_clISt17integral_constantIbLb1EES1T_IbLb0EEEEDaS1P_S1Q_EUlS1P_E_NS1_11comp_targetILNS1_3genE5ELNS1_11target_archE942ELNS1_3gpuE9ELNS1_3repE0EEENS1_30default_config_static_selectorELNS0_4arch9wavefront6targetE1EEEvS12_.numbered_sgpr, 0
	.set _ZN7rocprim17ROCPRIM_400000_NS6detail17trampoline_kernelINS0_13select_configILj256ELj13ELNS0_17block_load_methodE3ELS4_3ELS4_3ELNS0_20block_scan_algorithmE0ELj4294967295EEENS1_25partition_config_selectorILNS1_17partition_subalgoE4EjNS0_10empty_typeEbEEZZNS1_14partition_implILS8_4ELb0ES6_15HIP_vector_typeIjLj2EENS0_17counting_iteratorIjlEEPS9_SG_NS0_5tupleIJPjSI_NS0_16reverse_iteratorISI_EEEEENSH_IJSG_SG_SG_EEES9_SI_JZNS1_25segmented_radix_sort_implINS0_14default_configELb0EPKiPiPKlPlN2at6native12_GLOBAL__N_18offset_tEEE10hipError_tPvRmT1_PNSt15iterator_traitsIS12_E10value_typeET2_T3_PNS13_IS18_E10value_typeET4_jRbjT5_S1E_jjP12ihipStream_tbEUljE_ZNSN_ISO_Lb0ESQ_SR_ST_SU_SY_EESZ_S10_S11_S12_S16_S17_S18_S1B_S1C_jS1D_jS1E_S1E_jjS1G_bEUljE0_EEESZ_S10_S11_S18_S1C_S1E_T6_T7_T9_mT8_S1G_bDpT10_ENKUlT_T0_E_clISt17integral_constantIbLb1EES1T_IbLb0EEEEDaS1P_S1Q_EUlS1P_E_NS1_11comp_targetILNS1_3genE5ELNS1_11target_archE942ELNS1_3gpuE9ELNS1_3repE0EEENS1_30default_config_static_selectorELNS0_4arch9wavefront6targetE1EEEvS12_.num_named_barrier, 0
	.set _ZN7rocprim17ROCPRIM_400000_NS6detail17trampoline_kernelINS0_13select_configILj256ELj13ELNS0_17block_load_methodE3ELS4_3ELS4_3ELNS0_20block_scan_algorithmE0ELj4294967295EEENS1_25partition_config_selectorILNS1_17partition_subalgoE4EjNS0_10empty_typeEbEEZZNS1_14partition_implILS8_4ELb0ES6_15HIP_vector_typeIjLj2EENS0_17counting_iteratorIjlEEPS9_SG_NS0_5tupleIJPjSI_NS0_16reverse_iteratorISI_EEEEENSH_IJSG_SG_SG_EEES9_SI_JZNS1_25segmented_radix_sort_implINS0_14default_configELb0EPKiPiPKlPlN2at6native12_GLOBAL__N_18offset_tEEE10hipError_tPvRmT1_PNSt15iterator_traitsIS12_E10value_typeET2_T3_PNS13_IS18_E10value_typeET4_jRbjT5_S1E_jjP12ihipStream_tbEUljE_ZNSN_ISO_Lb0ESQ_SR_ST_SU_SY_EESZ_S10_S11_S12_S16_S17_S18_S1B_S1C_jS1D_jS1E_S1E_jjS1G_bEUljE0_EEESZ_S10_S11_S18_S1C_S1E_T6_T7_T9_mT8_S1G_bDpT10_ENKUlT_T0_E_clISt17integral_constantIbLb1EES1T_IbLb0EEEEDaS1P_S1Q_EUlS1P_E_NS1_11comp_targetILNS1_3genE5ELNS1_11target_archE942ELNS1_3gpuE9ELNS1_3repE0EEENS1_30default_config_static_selectorELNS0_4arch9wavefront6targetE1EEEvS12_.private_seg_size, 0
	.set _ZN7rocprim17ROCPRIM_400000_NS6detail17trampoline_kernelINS0_13select_configILj256ELj13ELNS0_17block_load_methodE3ELS4_3ELS4_3ELNS0_20block_scan_algorithmE0ELj4294967295EEENS1_25partition_config_selectorILNS1_17partition_subalgoE4EjNS0_10empty_typeEbEEZZNS1_14partition_implILS8_4ELb0ES6_15HIP_vector_typeIjLj2EENS0_17counting_iteratorIjlEEPS9_SG_NS0_5tupleIJPjSI_NS0_16reverse_iteratorISI_EEEEENSH_IJSG_SG_SG_EEES9_SI_JZNS1_25segmented_radix_sort_implINS0_14default_configELb0EPKiPiPKlPlN2at6native12_GLOBAL__N_18offset_tEEE10hipError_tPvRmT1_PNSt15iterator_traitsIS12_E10value_typeET2_T3_PNS13_IS18_E10value_typeET4_jRbjT5_S1E_jjP12ihipStream_tbEUljE_ZNSN_ISO_Lb0ESQ_SR_ST_SU_SY_EESZ_S10_S11_S12_S16_S17_S18_S1B_S1C_jS1D_jS1E_S1E_jjS1G_bEUljE0_EEESZ_S10_S11_S18_S1C_S1E_T6_T7_T9_mT8_S1G_bDpT10_ENKUlT_T0_E_clISt17integral_constantIbLb1EES1T_IbLb0EEEEDaS1P_S1Q_EUlS1P_E_NS1_11comp_targetILNS1_3genE5ELNS1_11target_archE942ELNS1_3gpuE9ELNS1_3repE0EEENS1_30default_config_static_selectorELNS0_4arch9wavefront6targetE1EEEvS12_.uses_vcc, 0
	.set _ZN7rocprim17ROCPRIM_400000_NS6detail17trampoline_kernelINS0_13select_configILj256ELj13ELNS0_17block_load_methodE3ELS4_3ELS4_3ELNS0_20block_scan_algorithmE0ELj4294967295EEENS1_25partition_config_selectorILNS1_17partition_subalgoE4EjNS0_10empty_typeEbEEZZNS1_14partition_implILS8_4ELb0ES6_15HIP_vector_typeIjLj2EENS0_17counting_iteratorIjlEEPS9_SG_NS0_5tupleIJPjSI_NS0_16reverse_iteratorISI_EEEEENSH_IJSG_SG_SG_EEES9_SI_JZNS1_25segmented_radix_sort_implINS0_14default_configELb0EPKiPiPKlPlN2at6native12_GLOBAL__N_18offset_tEEE10hipError_tPvRmT1_PNSt15iterator_traitsIS12_E10value_typeET2_T3_PNS13_IS18_E10value_typeET4_jRbjT5_S1E_jjP12ihipStream_tbEUljE_ZNSN_ISO_Lb0ESQ_SR_ST_SU_SY_EESZ_S10_S11_S12_S16_S17_S18_S1B_S1C_jS1D_jS1E_S1E_jjS1G_bEUljE0_EEESZ_S10_S11_S18_S1C_S1E_T6_T7_T9_mT8_S1G_bDpT10_ENKUlT_T0_E_clISt17integral_constantIbLb1EES1T_IbLb0EEEEDaS1P_S1Q_EUlS1P_E_NS1_11comp_targetILNS1_3genE5ELNS1_11target_archE942ELNS1_3gpuE9ELNS1_3repE0EEENS1_30default_config_static_selectorELNS0_4arch9wavefront6targetE1EEEvS12_.uses_flat_scratch, 0
	.set _ZN7rocprim17ROCPRIM_400000_NS6detail17trampoline_kernelINS0_13select_configILj256ELj13ELNS0_17block_load_methodE3ELS4_3ELS4_3ELNS0_20block_scan_algorithmE0ELj4294967295EEENS1_25partition_config_selectorILNS1_17partition_subalgoE4EjNS0_10empty_typeEbEEZZNS1_14partition_implILS8_4ELb0ES6_15HIP_vector_typeIjLj2EENS0_17counting_iteratorIjlEEPS9_SG_NS0_5tupleIJPjSI_NS0_16reverse_iteratorISI_EEEEENSH_IJSG_SG_SG_EEES9_SI_JZNS1_25segmented_radix_sort_implINS0_14default_configELb0EPKiPiPKlPlN2at6native12_GLOBAL__N_18offset_tEEE10hipError_tPvRmT1_PNSt15iterator_traitsIS12_E10value_typeET2_T3_PNS13_IS18_E10value_typeET4_jRbjT5_S1E_jjP12ihipStream_tbEUljE_ZNSN_ISO_Lb0ESQ_SR_ST_SU_SY_EESZ_S10_S11_S12_S16_S17_S18_S1B_S1C_jS1D_jS1E_S1E_jjS1G_bEUljE0_EEESZ_S10_S11_S18_S1C_S1E_T6_T7_T9_mT8_S1G_bDpT10_ENKUlT_T0_E_clISt17integral_constantIbLb1EES1T_IbLb0EEEEDaS1P_S1Q_EUlS1P_E_NS1_11comp_targetILNS1_3genE5ELNS1_11target_archE942ELNS1_3gpuE9ELNS1_3repE0EEENS1_30default_config_static_selectorELNS0_4arch9wavefront6targetE1EEEvS12_.has_dyn_sized_stack, 0
	.set _ZN7rocprim17ROCPRIM_400000_NS6detail17trampoline_kernelINS0_13select_configILj256ELj13ELNS0_17block_load_methodE3ELS4_3ELS4_3ELNS0_20block_scan_algorithmE0ELj4294967295EEENS1_25partition_config_selectorILNS1_17partition_subalgoE4EjNS0_10empty_typeEbEEZZNS1_14partition_implILS8_4ELb0ES6_15HIP_vector_typeIjLj2EENS0_17counting_iteratorIjlEEPS9_SG_NS0_5tupleIJPjSI_NS0_16reverse_iteratorISI_EEEEENSH_IJSG_SG_SG_EEES9_SI_JZNS1_25segmented_radix_sort_implINS0_14default_configELb0EPKiPiPKlPlN2at6native12_GLOBAL__N_18offset_tEEE10hipError_tPvRmT1_PNSt15iterator_traitsIS12_E10value_typeET2_T3_PNS13_IS18_E10value_typeET4_jRbjT5_S1E_jjP12ihipStream_tbEUljE_ZNSN_ISO_Lb0ESQ_SR_ST_SU_SY_EESZ_S10_S11_S12_S16_S17_S18_S1B_S1C_jS1D_jS1E_S1E_jjS1G_bEUljE0_EEESZ_S10_S11_S18_S1C_S1E_T6_T7_T9_mT8_S1G_bDpT10_ENKUlT_T0_E_clISt17integral_constantIbLb1EES1T_IbLb0EEEEDaS1P_S1Q_EUlS1P_E_NS1_11comp_targetILNS1_3genE5ELNS1_11target_archE942ELNS1_3gpuE9ELNS1_3repE0EEENS1_30default_config_static_selectorELNS0_4arch9wavefront6targetE1EEEvS12_.has_recursion, 0
	.set _ZN7rocprim17ROCPRIM_400000_NS6detail17trampoline_kernelINS0_13select_configILj256ELj13ELNS0_17block_load_methodE3ELS4_3ELS4_3ELNS0_20block_scan_algorithmE0ELj4294967295EEENS1_25partition_config_selectorILNS1_17partition_subalgoE4EjNS0_10empty_typeEbEEZZNS1_14partition_implILS8_4ELb0ES6_15HIP_vector_typeIjLj2EENS0_17counting_iteratorIjlEEPS9_SG_NS0_5tupleIJPjSI_NS0_16reverse_iteratorISI_EEEEENSH_IJSG_SG_SG_EEES9_SI_JZNS1_25segmented_radix_sort_implINS0_14default_configELb0EPKiPiPKlPlN2at6native12_GLOBAL__N_18offset_tEEE10hipError_tPvRmT1_PNSt15iterator_traitsIS12_E10value_typeET2_T3_PNS13_IS18_E10value_typeET4_jRbjT5_S1E_jjP12ihipStream_tbEUljE_ZNSN_ISO_Lb0ESQ_SR_ST_SU_SY_EESZ_S10_S11_S12_S16_S17_S18_S1B_S1C_jS1D_jS1E_S1E_jjS1G_bEUljE0_EEESZ_S10_S11_S18_S1C_S1E_T6_T7_T9_mT8_S1G_bDpT10_ENKUlT_T0_E_clISt17integral_constantIbLb1EES1T_IbLb0EEEEDaS1P_S1Q_EUlS1P_E_NS1_11comp_targetILNS1_3genE5ELNS1_11target_archE942ELNS1_3gpuE9ELNS1_3repE0EEENS1_30default_config_static_selectorELNS0_4arch9wavefront6targetE1EEEvS12_.has_indirect_call, 0
	.section	.AMDGPU.csdata,"",@progbits
; Kernel info:
; codeLenInByte = 0
; TotalNumSgprs: 4
; NumVgprs: 0
; ScratchSize: 0
; MemoryBound: 0
; FloatMode: 240
; IeeeMode: 1
; LDSByteSize: 0 bytes/workgroup (compile time only)
; SGPRBlocks: 0
; VGPRBlocks: 0
; NumSGPRsForWavesPerEU: 4
; NumVGPRsForWavesPerEU: 1
; Occupancy: 10
; WaveLimiterHint : 0
; COMPUTE_PGM_RSRC2:SCRATCH_EN: 0
; COMPUTE_PGM_RSRC2:USER_SGPR: 6
; COMPUTE_PGM_RSRC2:TRAP_HANDLER: 0
; COMPUTE_PGM_RSRC2:TGID_X_EN: 1
; COMPUTE_PGM_RSRC2:TGID_Y_EN: 0
; COMPUTE_PGM_RSRC2:TGID_Z_EN: 0
; COMPUTE_PGM_RSRC2:TIDIG_COMP_CNT: 0
	.section	.text._ZN7rocprim17ROCPRIM_400000_NS6detail17trampoline_kernelINS0_13select_configILj256ELj13ELNS0_17block_load_methodE3ELS4_3ELS4_3ELNS0_20block_scan_algorithmE0ELj4294967295EEENS1_25partition_config_selectorILNS1_17partition_subalgoE4EjNS0_10empty_typeEbEEZZNS1_14partition_implILS8_4ELb0ES6_15HIP_vector_typeIjLj2EENS0_17counting_iteratorIjlEEPS9_SG_NS0_5tupleIJPjSI_NS0_16reverse_iteratorISI_EEEEENSH_IJSG_SG_SG_EEES9_SI_JZNS1_25segmented_radix_sort_implINS0_14default_configELb0EPKiPiPKlPlN2at6native12_GLOBAL__N_18offset_tEEE10hipError_tPvRmT1_PNSt15iterator_traitsIS12_E10value_typeET2_T3_PNS13_IS18_E10value_typeET4_jRbjT5_S1E_jjP12ihipStream_tbEUljE_ZNSN_ISO_Lb0ESQ_SR_ST_SU_SY_EESZ_S10_S11_S12_S16_S17_S18_S1B_S1C_jS1D_jS1E_S1E_jjS1G_bEUljE0_EEESZ_S10_S11_S18_S1C_S1E_T6_T7_T9_mT8_S1G_bDpT10_ENKUlT_T0_E_clISt17integral_constantIbLb1EES1T_IbLb0EEEEDaS1P_S1Q_EUlS1P_E_NS1_11comp_targetILNS1_3genE4ELNS1_11target_archE910ELNS1_3gpuE8ELNS1_3repE0EEENS1_30default_config_static_selectorELNS0_4arch9wavefront6targetE1EEEvS12_,"axG",@progbits,_ZN7rocprim17ROCPRIM_400000_NS6detail17trampoline_kernelINS0_13select_configILj256ELj13ELNS0_17block_load_methodE3ELS4_3ELS4_3ELNS0_20block_scan_algorithmE0ELj4294967295EEENS1_25partition_config_selectorILNS1_17partition_subalgoE4EjNS0_10empty_typeEbEEZZNS1_14partition_implILS8_4ELb0ES6_15HIP_vector_typeIjLj2EENS0_17counting_iteratorIjlEEPS9_SG_NS0_5tupleIJPjSI_NS0_16reverse_iteratorISI_EEEEENSH_IJSG_SG_SG_EEES9_SI_JZNS1_25segmented_radix_sort_implINS0_14default_configELb0EPKiPiPKlPlN2at6native12_GLOBAL__N_18offset_tEEE10hipError_tPvRmT1_PNSt15iterator_traitsIS12_E10value_typeET2_T3_PNS13_IS18_E10value_typeET4_jRbjT5_S1E_jjP12ihipStream_tbEUljE_ZNSN_ISO_Lb0ESQ_SR_ST_SU_SY_EESZ_S10_S11_S12_S16_S17_S18_S1B_S1C_jS1D_jS1E_S1E_jjS1G_bEUljE0_EEESZ_S10_S11_S18_S1C_S1E_T6_T7_T9_mT8_S1G_bDpT10_ENKUlT_T0_E_clISt17integral_constantIbLb1EES1T_IbLb0EEEEDaS1P_S1Q_EUlS1P_E_NS1_11comp_targetILNS1_3genE4ELNS1_11target_archE910ELNS1_3gpuE8ELNS1_3repE0EEENS1_30default_config_static_selectorELNS0_4arch9wavefront6targetE1EEEvS12_,comdat
	.globl	_ZN7rocprim17ROCPRIM_400000_NS6detail17trampoline_kernelINS0_13select_configILj256ELj13ELNS0_17block_load_methodE3ELS4_3ELS4_3ELNS0_20block_scan_algorithmE0ELj4294967295EEENS1_25partition_config_selectorILNS1_17partition_subalgoE4EjNS0_10empty_typeEbEEZZNS1_14partition_implILS8_4ELb0ES6_15HIP_vector_typeIjLj2EENS0_17counting_iteratorIjlEEPS9_SG_NS0_5tupleIJPjSI_NS0_16reverse_iteratorISI_EEEEENSH_IJSG_SG_SG_EEES9_SI_JZNS1_25segmented_radix_sort_implINS0_14default_configELb0EPKiPiPKlPlN2at6native12_GLOBAL__N_18offset_tEEE10hipError_tPvRmT1_PNSt15iterator_traitsIS12_E10value_typeET2_T3_PNS13_IS18_E10value_typeET4_jRbjT5_S1E_jjP12ihipStream_tbEUljE_ZNSN_ISO_Lb0ESQ_SR_ST_SU_SY_EESZ_S10_S11_S12_S16_S17_S18_S1B_S1C_jS1D_jS1E_S1E_jjS1G_bEUljE0_EEESZ_S10_S11_S18_S1C_S1E_T6_T7_T9_mT8_S1G_bDpT10_ENKUlT_T0_E_clISt17integral_constantIbLb1EES1T_IbLb0EEEEDaS1P_S1Q_EUlS1P_E_NS1_11comp_targetILNS1_3genE4ELNS1_11target_archE910ELNS1_3gpuE8ELNS1_3repE0EEENS1_30default_config_static_selectorELNS0_4arch9wavefront6targetE1EEEvS12_ ; -- Begin function _ZN7rocprim17ROCPRIM_400000_NS6detail17trampoline_kernelINS0_13select_configILj256ELj13ELNS0_17block_load_methodE3ELS4_3ELS4_3ELNS0_20block_scan_algorithmE0ELj4294967295EEENS1_25partition_config_selectorILNS1_17partition_subalgoE4EjNS0_10empty_typeEbEEZZNS1_14partition_implILS8_4ELb0ES6_15HIP_vector_typeIjLj2EENS0_17counting_iteratorIjlEEPS9_SG_NS0_5tupleIJPjSI_NS0_16reverse_iteratorISI_EEEEENSH_IJSG_SG_SG_EEES9_SI_JZNS1_25segmented_radix_sort_implINS0_14default_configELb0EPKiPiPKlPlN2at6native12_GLOBAL__N_18offset_tEEE10hipError_tPvRmT1_PNSt15iterator_traitsIS12_E10value_typeET2_T3_PNS13_IS18_E10value_typeET4_jRbjT5_S1E_jjP12ihipStream_tbEUljE_ZNSN_ISO_Lb0ESQ_SR_ST_SU_SY_EESZ_S10_S11_S12_S16_S17_S18_S1B_S1C_jS1D_jS1E_S1E_jjS1G_bEUljE0_EEESZ_S10_S11_S18_S1C_S1E_T6_T7_T9_mT8_S1G_bDpT10_ENKUlT_T0_E_clISt17integral_constantIbLb1EES1T_IbLb0EEEEDaS1P_S1Q_EUlS1P_E_NS1_11comp_targetILNS1_3genE4ELNS1_11target_archE910ELNS1_3gpuE8ELNS1_3repE0EEENS1_30default_config_static_selectorELNS0_4arch9wavefront6targetE1EEEvS12_
	.p2align	8
	.type	_ZN7rocprim17ROCPRIM_400000_NS6detail17trampoline_kernelINS0_13select_configILj256ELj13ELNS0_17block_load_methodE3ELS4_3ELS4_3ELNS0_20block_scan_algorithmE0ELj4294967295EEENS1_25partition_config_selectorILNS1_17partition_subalgoE4EjNS0_10empty_typeEbEEZZNS1_14partition_implILS8_4ELb0ES6_15HIP_vector_typeIjLj2EENS0_17counting_iteratorIjlEEPS9_SG_NS0_5tupleIJPjSI_NS0_16reverse_iteratorISI_EEEEENSH_IJSG_SG_SG_EEES9_SI_JZNS1_25segmented_radix_sort_implINS0_14default_configELb0EPKiPiPKlPlN2at6native12_GLOBAL__N_18offset_tEEE10hipError_tPvRmT1_PNSt15iterator_traitsIS12_E10value_typeET2_T3_PNS13_IS18_E10value_typeET4_jRbjT5_S1E_jjP12ihipStream_tbEUljE_ZNSN_ISO_Lb0ESQ_SR_ST_SU_SY_EESZ_S10_S11_S12_S16_S17_S18_S1B_S1C_jS1D_jS1E_S1E_jjS1G_bEUljE0_EEESZ_S10_S11_S18_S1C_S1E_T6_T7_T9_mT8_S1G_bDpT10_ENKUlT_T0_E_clISt17integral_constantIbLb1EES1T_IbLb0EEEEDaS1P_S1Q_EUlS1P_E_NS1_11comp_targetILNS1_3genE4ELNS1_11target_archE910ELNS1_3gpuE8ELNS1_3repE0EEENS1_30default_config_static_selectorELNS0_4arch9wavefront6targetE1EEEvS12_,@function
_ZN7rocprim17ROCPRIM_400000_NS6detail17trampoline_kernelINS0_13select_configILj256ELj13ELNS0_17block_load_methodE3ELS4_3ELS4_3ELNS0_20block_scan_algorithmE0ELj4294967295EEENS1_25partition_config_selectorILNS1_17partition_subalgoE4EjNS0_10empty_typeEbEEZZNS1_14partition_implILS8_4ELb0ES6_15HIP_vector_typeIjLj2EENS0_17counting_iteratorIjlEEPS9_SG_NS0_5tupleIJPjSI_NS0_16reverse_iteratorISI_EEEEENSH_IJSG_SG_SG_EEES9_SI_JZNS1_25segmented_radix_sort_implINS0_14default_configELb0EPKiPiPKlPlN2at6native12_GLOBAL__N_18offset_tEEE10hipError_tPvRmT1_PNSt15iterator_traitsIS12_E10value_typeET2_T3_PNS13_IS18_E10value_typeET4_jRbjT5_S1E_jjP12ihipStream_tbEUljE_ZNSN_ISO_Lb0ESQ_SR_ST_SU_SY_EESZ_S10_S11_S12_S16_S17_S18_S1B_S1C_jS1D_jS1E_S1E_jjS1G_bEUljE0_EEESZ_S10_S11_S18_S1C_S1E_T6_T7_T9_mT8_S1G_bDpT10_ENKUlT_T0_E_clISt17integral_constantIbLb1EES1T_IbLb0EEEEDaS1P_S1Q_EUlS1P_E_NS1_11comp_targetILNS1_3genE4ELNS1_11target_archE910ELNS1_3gpuE8ELNS1_3repE0EEENS1_30default_config_static_selectorELNS0_4arch9wavefront6targetE1EEEvS12_: ; @_ZN7rocprim17ROCPRIM_400000_NS6detail17trampoline_kernelINS0_13select_configILj256ELj13ELNS0_17block_load_methodE3ELS4_3ELS4_3ELNS0_20block_scan_algorithmE0ELj4294967295EEENS1_25partition_config_selectorILNS1_17partition_subalgoE4EjNS0_10empty_typeEbEEZZNS1_14partition_implILS8_4ELb0ES6_15HIP_vector_typeIjLj2EENS0_17counting_iteratorIjlEEPS9_SG_NS0_5tupleIJPjSI_NS0_16reverse_iteratorISI_EEEEENSH_IJSG_SG_SG_EEES9_SI_JZNS1_25segmented_radix_sort_implINS0_14default_configELb0EPKiPiPKlPlN2at6native12_GLOBAL__N_18offset_tEEE10hipError_tPvRmT1_PNSt15iterator_traitsIS12_E10value_typeET2_T3_PNS13_IS18_E10value_typeET4_jRbjT5_S1E_jjP12ihipStream_tbEUljE_ZNSN_ISO_Lb0ESQ_SR_ST_SU_SY_EESZ_S10_S11_S12_S16_S17_S18_S1B_S1C_jS1D_jS1E_S1E_jjS1G_bEUljE0_EEESZ_S10_S11_S18_S1C_S1E_T6_T7_T9_mT8_S1G_bDpT10_ENKUlT_T0_E_clISt17integral_constantIbLb1EES1T_IbLb0EEEEDaS1P_S1Q_EUlS1P_E_NS1_11comp_targetILNS1_3genE4ELNS1_11target_archE910ELNS1_3gpuE8ELNS1_3repE0EEENS1_30default_config_static_selectorELNS0_4arch9wavefront6targetE1EEEvS12_
; %bb.0:
	.section	.rodata,"a",@progbits
	.p2align	6, 0x0
	.amdhsa_kernel _ZN7rocprim17ROCPRIM_400000_NS6detail17trampoline_kernelINS0_13select_configILj256ELj13ELNS0_17block_load_methodE3ELS4_3ELS4_3ELNS0_20block_scan_algorithmE0ELj4294967295EEENS1_25partition_config_selectorILNS1_17partition_subalgoE4EjNS0_10empty_typeEbEEZZNS1_14partition_implILS8_4ELb0ES6_15HIP_vector_typeIjLj2EENS0_17counting_iteratorIjlEEPS9_SG_NS0_5tupleIJPjSI_NS0_16reverse_iteratorISI_EEEEENSH_IJSG_SG_SG_EEES9_SI_JZNS1_25segmented_radix_sort_implINS0_14default_configELb0EPKiPiPKlPlN2at6native12_GLOBAL__N_18offset_tEEE10hipError_tPvRmT1_PNSt15iterator_traitsIS12_E10value_typeET2_T3_PNS13_IS18_E10value_typeET4_jRbjT5_S1E_jjP12ihipStream_tbEUljE_ZNSN_ISO_Lb0ESQ_SR_ST_SU_SY_EESZ_S10_S11_S12_S16_S17_S18_S1B_S1C_jS1D_jS1E_S1E_jjS1G_bEUljE0_EEESZ_S10_S11_S18_S1C_S1E_T6_T7_T9_mT8_S1G_bDpT10_ENKUlT_T0_E_clISt17integral_constantIbLb1EES1T_IbLb0EEEEDaS1P_S1Q_EUlS1P_E_NS1_11comp_targetILNS1_3genE4ELNS1_11target_archE910ELNS1_3gpuE8ELNS1_3repE0EEENS1_30default_config_static_selectorELNS0_4arch9wavefront6targetE1EEEvS12_
		.amdhsa_group_segment_fixed_size 0
		.amdhsa_private_segment_fixed_size 0
		.amdhsa_kernarg_size 176
		.amdhsa_user_sgpr_count 6
		.amdhsa_user_sgpr_private_segment_buffer 1
		.amdhsa_user_sgpr_dispatch_ptr 0
		.amdhsa_user_sgpr_queue_ptr 0
		.amdhsa_user_sgpr_kernarg_segment_ptr 1
		.amdhsa_user_sgpr_dispatch_id 0
		.amdhsa_user_sgpr_flat_scratch_init 0
		.amdhsa_user_sgpr_private_segment_size 0
		.amdhsa_uses_dynamic_stack 0
		.amdhsa_system_sgpr_private_segment_wavefront_offset 0
		.amdhsa_system_sgpr_workgroup_id_x 1
		.amdhsa_system_sgpr_workgroup_id_y 0
		.amdhsa_system_sgpr_workgroup_id_z 0
		.amdhsa_system_sgpr_workgroup_info 0
		.amdhsa_system_vgpr_workitem_id 0
		.amdhsa_next_free_vgpr 1
		.amdhsa_next_free_sgpr 0
		.amdhsa_reserve_vcc 0
		.amdhsa_reserve_flat_scratch 0
		.amdhsa_float_round_mode_32 0
		.amdhsa_float_round_mode_16_64 0
		.amdhsa_float_denorm_mode_32 3
		.amdhsa_float_denorm_mode_16_64 3
		.amdhsa_dx10_clamp 1
		.amdhsa_ieee_mode 1
		.amdhsa_fp16_overflow 0
		.amdhsa_exception_fp_ieee_invalid_op 0
		.amdhsa_exception_fp_denorm_src 0
		.amdhsa_exception_fp_ieee_div_zero 0
		.amdhsa_exception_fp_ieee_overflow 0
		.amdhsa_exception_fp_ieee_underflow 0
		.amdhsa_exception_fp_ieee_inexact 0
		.amdhsa_exception_int_div_zero 0
	.end_amdhsa_kernel
	.section	.text._ZN7rocprim17ROCPRIM_400000_NS6detail17trampoline_kernelINS0_13select_configILj256ELj13ELNS0_17block_load_methodE3ELS4_3ELS4_3ELNS0_20block_scan_algorithmE0ELj4294967295EEENS1_25partition_config_selectorILNS1_17partition_subalgoE4EjNS0_10empty_typeEbEEZZNS1_14partition_implILS8_4ELb0ES6_15HIP_vector_typeIjLj2EENS0_17counting_iteratorIjlEEPS9_SG_NS0_5tupleIJPjSI_NS0_16reverse_iteratorISI_EEEEENSH_IJSG_SG_SG_EEES9_SI_JZNS1_25segmented_radix_sort_implINS0_14default_configELb0EPKiPiPKlPlN2at6native12_GLOBAL__N_18offset_tEEE10hipError_tPvRmT1_PNSt15iterator_traitsIS12_E10value_typeET2_T3_PNS13_IS18_E10value_typeET4_jRbjT5_S1E_jjP12ihipStream_tbEUljE_ZNSN_ISO_Lb0ESQ_SR_ST_SU_SY_EESZ_S10_S11_S12_S16_S17_S18_S1B_S1C_jS1D_jS1E_S1E_jjS1G_bEUljE0_EEESZ_S10_S11_S18_S1C_S1E_T6_T7_T9_mT8_S1G_bDpT10_ENKUlT_T0_E_clISt17integral_constantIbLb1EES1T_IbLb0EEEEDaS1P_S1Q_EUlS1P_E_NS1_11comp_targetILNS1_3genE4ELNS1_11target_archE910ELNS1_3gpuE8ELNS1_3repE0EEENS1_30default_config_static_selectorELNS0_4arch9wavefront6targetE1EEEvS12_,"axG",@progbits,_ZN7rocprim17ROCPRIM_400000_NS6detail17trampoline_kernelINS0_13select_configILj256ELj13ELNS0_17block_load_methodE3ELS4_3ELS4_3ELNS0_20block_scan_algorithmE0ELj4294967295EEENS1_25partition_config_selectorILNS1_17partition_subalgoE4EjNS0_10empty_typeEbEEZZNS1_14partition_implILS8_4ELb0ES6_15HIP_vector_typeIjLj2EENS0_17counting_iteratorIjlEEPS9_SG_NS0_5tupleIJPjSI_NS0_16reverse_iteratorISI_EEEEENSH_IJSG_SG_SG_EEES9_SI_JZNS1_25segmented_radix_sort_implINS0_14default_configELb0EPKiPiPKlPlN2at6native12_GLOBAL__N_18offset_tEEE10hipError_tPvRmT1_PNSt15iterator_traitsIS12_E10value_typeET2_T3_PNS13_IS18_E10value_typeET4_jRbjT5_S1E_jjP12ihipStream_tbEUljE_ZNSN_ISO_Lb0ESQ_SR_ST_SU_SY_EESZ_S10_S11_S12_S16_S17_S18_S1B_S1C_jS1D_jS1E_S1E_jjS1G_bEUljE0_EEESZ_S10_S11_S18_S1C_S1E_T6_T7_T9_mT8_S1G_bDpT10_ENKUlT_T0_E_clISt17integral_constantIbLb1EES1T_IbLb0EEEEDaS1P_S1Q_EUlS1P_E_NS1_11comp_targetILNS1_3genE4ELNS1_11target_archE910ELNS1_3gpuE8ELNS1_3repE0EEENS1_30default_config_static_selectorELNS0_4arch9wavefront6targetE1EEEvS12_,comdat
.Lfunc_end554:
	.size	_ZN7rocprim17ROCPRIM_400000_NS6detail17trampoline_kernelINS0_13select_configILj256ELj13ELNS0_17block_load_methodE3ELS4_3ELS4_3ELNS0_20block_scan_algorithmE0ELj4294967295EEENS1_25partition_config_selectorILNS1_17partition_subalgoE4EjNS0_10empty_typeEbEEZZNS1_14partition_implILS8_4ELb0ES6_15HIP_vector_typeIjLj2EENS0_17counting_iteratorIjlEEPS9_SG_NS0_5tupleIJPjSI_NS0_16reverse_iteratorISI_EEEEENSH_IJSG_SG_SG_EEES9_SI_JZNS1_25segmented_radix_sort_implINS0_14default_configELb0EPKiPiPKlPlN2at6native12_GLOBAL__N_18offset_tEEE10hipError_tPvRmT1_PNSt15iterator_traitsIS12_E10value_typeET2_T3_PNS13_IS18_E10value_typeET4_jRbjT5_S1E_jjP12ihipStream_tbEUljE_ZNSN_ISO_Lb0ESQ_SR_ST_SU_SY_EESZ_S10_S11_S12_S16_S17_S18_S1B_S1C_jS1D_jS1E_S1E_jjS1G_bEUljE0_EEESZ_S10_S11_S18_S1C_S1E_T6_T7_T9_mT8_S1G_bDpT10_ENKUlT_T0_E_clISt17integral_constantIbLb1EES1T_IbLb0EEEEDaS1P_S1Q_EUlS1P_E_NS1_11comp_targetILNS1_3genE4ELNS1_11target_archE910ELNS1_3gpuE8ELNS1_3repE0EEENS1_30default_config_static_selectorELNS0_4arch9wavefront6targetE1EEEvS12_, .Lfunc_end554-_ZN7rocprim17ROCPRIM_400000_NS6detail17trampoline_kernelINS0_13select_configILj256ELj13ELNS0_17block_load_methodE3ELS4_3ELS4_3ELNS0_20block_scan_algorithmE0ELj4294967295EEENS1_25partition_config_selectorILNS1_17partition_subalgoE4EjNS0_10empty_typeEbEEZZNS1_14partition_implILS8_4ELb0ES6_15HIP_vector_typeIjLj2EENS0_17counting_iteratorIjlEEPS9_SG_NS0_5tupleIJPjSI_NS0_16reverse_iteratorISI_EEEEENSH_IJSG_SG_SG_EEES9_SI_JZNS1_25segmented_radix_sort_implINS0_14default_configELb0EPKiPiPKlPlN2at6native12_GLOBAL__N_18offset_tEEE10hipError_tPvRmT1_PNSt15iterator_traitsIS12_E10value_typeET2_T3_PNS13_IS18_E10value_typeET4_jRbjT5_S1E_jjP12ihipStream_tbEUljE_ZNSN_ISO_Lb0ESQ_SR_ST_SU_SY_EESZ_S10_S11_S12_S16_S17_S18_S1B_S1C_jS1D_jS1E_S1E_jjS1G_bEUljE0_EEESZ_S10_S11_S18_S1C_S1E_T6_T7_T9_mT8_S1G_bDpT10_ENKUlT_T0_E_clISt17integral_constantIbLb1EES1T_IbLb0EEEEDaS1P_S1Q_EUlS1P_E_NS1_11comp_targetILNS1_3genE4ELNS1_11target_archE910ELNS1_3gpuE8ELNS1_3repE0EEENS1_30default_config_static_selectorELNS0_4arch9wavefront6targetE1EEEvS12_
                                        ; -- End function
	.set _ZN7rocprim17ROCPRIM_400000_NS6detail17trampoline_kernelINS0_13select_configILj256ELj13ELNS0_17block_load_methodE3ELS4_3ELS4_3ELNS0_20block_scan_algorithmE0ELj4294967295EEENS1_25partition_config_selectorILNS1_17partition_subalgoE4EjNS0_10empty_typeEbEEZZNS1_14partition_implILS8_4ELb0ES6_15HIP_vector_typeIjLj2EENS0_17counting_iteratorIjlEEPS9_SG_NS0_5tupleIJPjSI_NS0_16reverse_iteratorISI_EEEEENSH_IJSG_SG_SG_EEES9_SI_JZNS1_25segmented_radix_sort_implINS0_14default_configELb0EPKiPiPKlPlN2at6native12_GLOBAL__N_18offset_tEEE10hipError_tPvRmT1_PNSt15iterator_traitsIS12_E10value_typeET2_T3_PNS13_IS18_E10value_typeET4_jRbjT5_S1E_jjP12ihipStream_tbEUljE_ZNSN_ISO_Lb0ESQ_SR_ST_SU_SY_EESZ_S10_S11_S12_S16_S17_S18_S1B_S1C_jS1D_jS1E_S1E_jjS1G_bEUljE0_EEESZ_S10_S11_S18_S1C_S1E_T6_T7_T9_mT8_S1G_bDpT10_ENKUlT_T0_E_clISt17integral_constantIbLb1EES1T_IbLb0EEEEDaS1P_S1Q_EUlS1P_E_NS1_11comp_targetILNS1_3genE4ELNS1_11target_archE910ELNS1_3gpuE8ELNS1_3repE0EEENS1_30default_config_static_selectorELNS0_4arch9wavefront6targetE1EEEvS12_.num_vgpr, 0
	.set _ZN7rocprim17ROCPRIM_400000_NS6detail17trampoline_kernelINS0_13select_configILj256ELj13ELNS0_17block_load_methodE3ELS4_3ELS4_3ELNS0_20block_scan_algorithmE0ELj4294967295EEENS1_25partition_config_selectorILNS1_17partition_subalgoE4EjNS0_10empty_typeEbEEZZNS1_14partition_implILS8_4ELb0ES6_15HIP_vector_typeIjLj2EENS0_17counting_iteratorIjlEEPS9_SG_NS0_5tupleIJPjSI_NS0_16reverse_iteratorISI_EEEEENSH_IJSG_SG_SG_EEES9_SI_JZNS1_25segmented_radix_sort_implINS0_14default_configELb0EPKiPiPKlPlN2at6native12_GLOBAL__N_18offset_tEEE10hipError_tPvRmT1_PNSt15iterator_traitsIS12_E10value_typeET2_T3_PNS13_IS18_E10value_typeET4_jRbjT5_S1E_jjP12ihipStream_tbEUljE_ZNSN_ISO_Lb0ESQ_SR_ST_SU_SY_EESZ_S10_S11_S12_S16_S17_S18_S1B_S1C_jS1D_jS1E_S1E_jjS1G_bEUljE0_EEESZ_S10_S11_S18_S1C_S1E_T6_T7_T9_mT8_S1G_bDpT10_ENKUlT_T0_E_clISt17integral_constantIbLb1EES1T_IbLb0EEEEDaS1P_S1Q_EUlS1P_E_NS1_11comp_targetILNS1_3genE4ELNS1_11target_archE910ELNS1_3gpuE8ELNS1_3repE0EEENS1_30default_config_static_selectorELNS0_4arch9wavefront6targetE1EEEvS12_.num_agpr, 0
	.set _ZN7rocprim17ROCPRIM_400000_NS6detail17trampoline_kernelINS0_13select_configILj256ELj13ELNS0_17block_load_methodE3ELS4_3ELS4_3ELNS0_20block_scan_algorithmE0ELj4294967295EEENS1_25partition_config_selectorILNS1_17partition_subalgoE4EjNS0_10empty_typeEbEEZZNS1_14partition_implILS8_4ELb0ES6_15HIP_vector_typeIjLj2EENS0_17counting_iteratorIjlEEPS9_SG_NS0_5tupleIJPjSI_NS0_16reverse_iteratorISI_EEEEENSH_IJSG_SG_SG_EEES9_SI_JZNS1_25segmented_radix_sort_implINS0_14default_configELb0EPKiPiPKlPlN2at6native12_GLOBAL__N_18offset_tEEE10hipError_tPvRmT1_PNSt15iterator_traitsIS12_E10value_typeET2_T3_PNS13_IS18_E10value_typeET4_jRbjT5_S1E_jjP12ihipStream_tbEUljE_ZNSN_ISO_Lb0ESQ_SR_ST_SU_SY_EESZ_S10_S11_S12_S16_S17_S18_S1B_S1C_jS1D_jS1E_S1E_jjS1G_bEUljE0_EEESZ_S10_S11_S18_S1C_S1E_T6_T7_T9_mT8_S1G_bDpT10_ENKUlT_T0_E_clISt17integral_constantIbLb1EES1T_IbLb0EEEEDaS1P_S1Q_EUlS1P_E_NS1_11comp_targetILNS1_3genE4ELNS1_11target_archE910ELNS1_3gpuE8ELNS1_3repE0EEENS1_30default_config_static_selectorELNS0_4arch9wavefront6targetE1EEEvS12_.numbered_sgpr, 0
	.set _ZN7rocprim17ROCPRIM_400000_NS6detail17trampoline_kernelINS0_13select_configILj256ELj13ELNS0_17block_load_methodE3ELS4_3ELS4_3ELNS0_20block_scan_algorithmE0ELj4294967295EEENS1_25partition_config_selectorILNS1_17partition_subalgoE4EjNS0_10empty_typeEbEEZZNS1_14partition_implILS8_4ELb0ES6_15HIP_vector_typeIjLj2EENS0_17counting_iteratorIjlEEPS9_SG_NS0_5tupleIJPjSI_NS0_16reverse_iteratorISI_EEEEENSH_IJSG_SG_SG_EEES9_SI_JZNS1_25segmented_radix_sort_implINS0_14default_configELb0EPKiPiPKlPlN2at6native12_GLOBAL__N_18offset_tEEE10hipError_tPvRmT1_PNSt15iterator_traitsIS12_E10value_typeET2_T3_PNS13_IS18_E10value_typeET4_jRbjT5_S1E_jjP12ihipStream_tbEUljE_ZNSN_ISO_Lb0ESQ_SR_ST_SU_SY_EESZ_S10_S11_S12_S16_S17_S18_S1B_S1C_jS1D_jS1E_S1E_jjS1G_bEUljE0_EEESZ_S10_S11_S18_S1C_S1E_T6_T7_T9_mT8_S1G_bDpT10_ENKUlT_T0_E_clISt17integral_constantIbLb1EES1T_IbLb0EEEEDaS1P_S1Q_EUlS1P_E_NS1_11comp_targetILNS1_3genE4ELNS1_11target_archE910ELNS1_3gpuE8ELNS1_3repE0EEENS1_30default_config_static_selectorELNS0_4arch9wavefront6targetE1EEEvS12_.num_named_barrier, 0
	.set _ZN7rocprim17ROCPRIM_400000_NS6detail17trampoline_kernelINS0_13select_configILj256ELj13ELNS0_17block_load_methodE3ELS4_3ELS4_3ELNS0_20block_scan_algorithmE0ELj4294967295EEENS1_25partition_config_selectorILNS1_17partition_subalgoE4EjNS0_10empty_typeEbEEZZNS1_14partition_implILS8_4ELb0ES6_15HIP_vector_typeIjLj2EENS0_17counting_iteratorIjlEEPS9_SG_NS0_5tupleIJPjSI_NS0_16reverse_iteratorISI_EEEEENSH_IJSG_SG_SG_EEES9_SI_JZNS1_25segmented_radix_sort_implINS0_14default_configELb0EPKiPiPKlPlN2at6native12_GLOBAL__N_18offset_tEEE10hipError_tPvRmT1_PNSt15iterator_traitsIS12_E10value_typeET2_T3_PNS13_IS18_E10value_typeET4_jRbjT5_S1E_jjP12ihipStream_tbEUljE_ZNSN_ISO_Lb0ESQ_SR_ST_SU_SY_EESZ_S10_S11_S12_S16_S17_S18_S1B_S1C_jS1D_jS1E_S1E_jjS1G_bEUljE0_EEESZ_S10_S11_S18_S1C_S1E_T6_T7_T9_mT8_S1G_bDpT10_ENKUlT_T0_E_clISt17integral_constantIbLb1EES1T_IbLb0EEEEDaS1P_S1Q_EUlS1P_E_NS1_11comp_targetILNS1_3genE4ELNS1_11target_archE910ELNS1_3gpuE8ELNS1_3repE0EEENS1_30default_config_static_selectorELNS0_4arch9wavefront6targetE1EEEvS12_.private_seg_size, 0
	.set _ZN7rocprim17ROCPRIM_400000_NS6detail17trampoline_kernelINS0_13select_configILj256ELj13ELNS0_17block_load_methodE3ELS4_3ELS4_3ELNS0_20block_scan_algorithmE0ELj4294967295EEENS1_25partition_config_selectorILNS1_17partition_subalgoE4EjNS0_10empty_typeEbEEZZNS1_14partition_implILS8_4ELb0ES6_15HIP_vector_typeIjLj2EENS0_17counting_iteratorIjlEEPS9_SG_NS0_5tupleIJPjSI_NS0_16reverse_iteratorISI_EEEEENSH_IJSG_SG_SG_EEES9_SI_JZNS1_25segmented_radix_sort_implINS0_14default_configELb0EPKiPiPKlPlN2at6native12_GLOBAL__N_18offset_tEEE10hipError_tPvRmT1_PNSt15iterator_traitsIS12_E10value_typeET2_T3_PNS13_IS18_E10value_typeET4_jRbjT5_S1E_jjP12ihipStream_tbEUljE_ZNSN_ISO_Lb0ESQ_SR_ST_SU_SY_EESZ_S10_S11_S12_S16_S17_S18_S1B_S1C_jS1D_jS1E_S1E_jjS1G_bEUljE0_EEESZ_S10_S11_S18_S1C_S1E_T6_T7_T9_mT8_S1G_bDpT10_ENKUlT_T0_E_clISt17integral_constantIbLb1EES1T_IbLb0EEEEDaS1P_S1Q_EUlS1P_E_NS1_11comp_targetILNS1_3genE4ELNS1_11target_archE910ELNS1_3gpuE8ELNS1_3repE0EEENS1_30default_config_static_selectorELNS0_4arch9wavefront6targetE1EEEvS12_.uses_vcc, 0
	.set _ZN7rocprim17ROCPRIM_400000_NS6detail17trampoline_kernelINS0_13select_configILj256ELj13ELNS0_17block_load_methodE3ELS4_3ELS4_3ELNS0_20block_scan_algorithmE0ELj4294967295EEENS1_25partition_config_selectorILNS1_17partition_subalgoE4EjNS0_10empty_typeEbEEZZNS1_14partition_implILS8_4ELb0ES6_15HIP_vector_typeIjLj2EENS0_17counting_iteratorIjlEEPS9_SG_NS0_5tupleIJPjSI_NS0_16reverse_iteratorISI_EEEEENSH_IJSG_SG_SG_EEES9_SI_JZNS1_25segmented_radix_sort_implINS0_14default_configELb0EPKiPiPKlPlN2at6native12_GLOBAL__N_18offset_tEEE10hipError_tPvRmT1_PNSt15iterator_traitsIS12_E10value_typeET2_T3_PNS13_IS18_E10value_typeET4_jRbjT5_S1E_jjP12ihipStream_tbEUljE_ZNSN_ISO_Lb0ESQ_SR_ST_SU_SY_EESZ_S10_S11_S12_S16_S17_S18_S1B_S1C_jS1D_jS1E_S1E_jjS1G_bEUljE0_EEESZ_S10_S11_S18_S1C_S1E_T6_T7_T9_mT8_S1G_bDpT10_ENKUlT_T0_E_clISt17integral_constantIbLb1EES1T_IbLb0EEEEDaS1P_S1Q_EUlS1P_E_NS1_11comp_targetILNS1_3genE4ELNS1_11target_archE910ELNS1_3gpuE8ELNS1_3repE0EEENS1_30default_config_static_selectorELNS0_4arch9wavefront6targetE1EEEvS12_.uses_flat_scratch, 0
	.set _ZN7rocprim17ROCPRIM_400000_NS6detail17trampoline_kernelINS0_13select_configILj256ELj13ELNS0_17block_load_methodE3ELS4_3ELS4_3ELNS0_20block_scan_algorithmE0ELj4294967295EEENS1_25partition_config_selectorILNS1_17partition_subalgoE4EjNS0_10empty_typeEbEEZZNS1_14partition_implILS8_4ELb0ES6_15HIP_vector_typeIjLj2EENS0_17counting_iteratorIjlEEPS9_SG_NS0_5tupleIJPjSI_NS0_16reverse_iteratorISI_EEEEENSH_IJSG_SG_SG_EEES9_SI_JZNS1_25segmented_radix_sort_implINS0_14default_configELb0EPKiPiPKlPlN2at6native12_GLOBAL__N_18offset_tEEE10hipError_tPvRmT1_PNSt15iterator_traitsIS12_E10value_typeET2_T3_PNS13_IS18_E10value_typeET4_jRbjT5_S1E_jjP12ihipStream_tbEUljE_ZNSN_ISO_Lb0ESQ_SR_ST_SU_SY_EESZ_S10_S11_S12_S16_S17_S18_S1B_S1C_jS1D_jS1E_S1E_jjS1G_bEUljE0_EEESZ_S10_S11_S18_S1C_S1E_T6_T7_T9_mT8_S1G_bDpT10_ENKUlT_T0_E_clISt17integral_constantIbLb1EES1T_IbLb0EEEEDaS1P_S1Q_EUlS1P_E_NS1_11comp_targetILNS1_3genE4ELNS1_11target_archE910ELNS1_3gpuE8ELNS1_3repE0EEENS1_30default_config_static_selectorELNS0_4arch9wavefront6targetE1EEEvS12_.has_dyn_sized_stack, 0
	.set _ZN7rocprim17ROCPRIM_400000_NS6detail17trampoline_kernelINS0_13select_configILj256ELj13ELNS0_17block_load_methodE3ELS4_3ELS4_3ELNS0_20block_scan_algorithmE0ELj4294967295EEENS1_25partition_config_selectorILNS1_17partition_subalgoE4EjNS0_10empty_typeEbEEZZNS1_14partition_implILS8_4ELb0ES6_15HIP_vector_typeIjLj2EENS0_17counting_iteratorIjlEEPS9_SG_NS0_5tupleIJPjSI_NS0_16reverse_iteratorISI_EEEEENSH_IJSG_SG_SG_EEES9_SI_JZNS1_25segmented_radix_sort_implINS0_14default_configELb0EPKiPiPKlPlN2at6native12_GLOBAL__N_18offset_tEEE10hipError_tPvRmT1_PNSt15iterator_traitsIS12_E10value_typeET2_T3_PNS13_IS18_E10value_typeET4_jRbjT5_S1E_jjP12ihipStream_tbEUljE_ZNSN_ISO_Lb0ESQ_SR_ST_SU_SY_EESZ_S10_S11_S12_S16_S17_S18_S1B_S1C_jS1D_jS1E_S1E_jjS1G_bEUljE0_EEESZ_S10_S11_S18_S1C_S1E_T6_T7_T9_mT8_S1G_bDpT10_ENKUlT_T0_E_clISt17integral_constantIbLb1EES1T_IbLb0EEEEDaS1P_S1Q_EUlS1P_E_NS1_11comp_targetILNS1_3genE4ELNS1_11target_archE910ELNS1_3gpuE8ELNS1_3repE0EEENS1_30default_config_static_selectorELNS0_4arch9wavefront6targetE1EEEvS12_.has_recursion, 0
	.set _ZN7rocprim17ROCPRIM_400000_NS6detail17trampoline_kernelINS0_13select_configILj256ELj13ELNS0_17block_load_methodE3ELS4_3ELS4_3ELNS0_20block_scan_algorithmE0ELj4294967295EEENS1_25partition_config_selectorILNS1_17partition_subalgoE4EjNS0_10empty_typeEbEEZZNS1_14partition_implILS8_4ELb0ES6_15HIP_vector_typeIjLj2EENS0_17counting_iteratorIjlEEPS9_SG_NS0_5tupleIJPjSI_NS0_16reverse_iteratorISI_EEEEENSH_IJSG_SG_SG_EEES9_SI_JZNS1_25segmented_radix_sort_implINS0_14default_configELb0EPKiPiPKlPlN2at6native12_GLOBAL__N_18offset_tEEE10hipError_tPvRmT1_PNSt15iterator_traitsIS12_E10value_typeET2_T3_PNS13_IS18_E10value_typeET4_jRbjT5_S1E_jjP12ihipStream_tbEUljE_ZNSN_ISO_Lb0ESQ_SR_ST_SU_SY_EESZ_S10_S11_S12_S16_S17_S18_S1B_S1C_jS1D_jS1E_S1E_jjS1G_bEUljE0_EEESZ_S10_S11_S18_S1C_S1E_T6_T7_T9_mT8_S1G_bDpT10_ENKUlT_T0_E_clISt17integral_constantIbLb1EES1T_IbLb0EEEEDaS1P_S1Q_EUlS1P_E_NS1_11comp_targetILNS1_3genE4ELNS1_11target_archE910ELNS1_3gpuE8ELNS1_3repE0EEENS1_30default_config_static_selectorELNS0_4arch9wavefront6targetE1EEEvS12_.has_indirect_call, 0
	.section	.AMDGPU.csdata,"",@progbits
; Kernel info:
; codeLenInByte = 0
; TotalNumSgprs: 4
; NumVgprs: 0
; ScratchSize: 0
; MemoryBound: 0
; FloatMode: 240
; IeeeMode: 1
; LDSByteSize: 0 bytes/workgroup (compile time only)
; SGPRBlocks: 0
; VGPRBlocks: 0
; NumSGPRsForWavesPerEU: 4
; NumVGPRsForWavesPerEU: 1
; Occupancy: 10
; WaveLimiterHint : 0
; COMPUTE_PGM_RSRC2:SCRATCH_EN: 0
; COMPUTE_PGM_RSRC2:USER_SGPR: 6
; COMPUTE_PGM_RSRC2:TRAP_HANDLER: 0
; COMPUTE_PGM_RSRC2:TGID_X_EN: 1
; COMPUTE_PGM_RSRC2:TGID_Y_EN: 0
; COMPUTE_PGM_RSRC2:TGID_Z_EN: 0
; COMPUTE_PGM_RSRC2:TIDIG_COMP_CNT: 0
	.section	.text._ZN7rocprim17ROCPRIM_400000_NS6detail17trampoline_kernelINS0_13select_configILj256ELj13ELNS0_17block_load_methodE3ELS4_3ELS4_3ELNS0_20block_scan_algorithmE0ELj4294967295EEENS1_25partition_config_selectorILNS1_17partition_subalgoE4EjNS0_10empty_typeEbEEZZNS1_14partition_implILS8_4ELb0ES6_15HIP_vector_typeIjLj2EENS0_17counting_iteratorIjlEEPS9_SG_NS0_5tupleIJPjSI_NS0_16reverse_iteratorISI_EEEEENSH_IJSG_SG_SG_EEES9_SI_JZNS1_25segmented_radix_sort_implINS0_14default_configELb0EPKiPiPKlPlN2at6native12_GLOBAL__N_18offset_tEEE10hipError_tPvRmT1_PNSt15iterator_traitsIS12_E10value_typeET2_T3_PNS13_IS18_E10value_typeET4_jRbjT5_S1E_jjP12ihipStream_tbEUljE_ZNSN_ISO_Lb0ESQ_SR_ST_SU_SY_EESZ_S10_S11_S12_S16_S17_S18_S1B_S1C_jS1D_jS1E_S1E_jjS1G_bEUljE0_EEESZ_S10_S11_S18_S1C_S1E_T6_T7_T9_mT8_S1G_bDpT10_ENKUlT_T0_E_clISt17integral_constantIbLb1EES1T_IbLb0EEEEDaS1P_S1Q_EUlS1P_E_NS1_11comp_targetILNS1_3genE3ELNS1_11target_archE908ELNS1_3gpuE7ELNS1_3repE0EEENS1_30default_config_static_selectorELNS0_4arch9wavefront6targetE1EEEvS12_,"axG",@progbits,_ZN7rocprim17ROCPRIM_400000_NS6detail17trampoline_kernelINS0_13select_configILj256ELj13ELNS0_17block_load_methodE3ELS4_3ELS4_3ELNS0_20block_scan_algorithmE0ELj4294967295EEENS1_25partition_config_selectorILNS1_17partition_subalgoE4EjNS0_10empty_typeEbEEZZNS1_14partition_implILS8_4ELb0ES6_15HIP_vector_typeIjLj2EENS0_17counting_iteratorIjlEEPS9_SG_NS0_5tupleIJPjSI_NS0_16reverse_iteratorISI_EEEEENSH_IJSG_SG_SG_EEES9_SI_JZNS1_25segmented_radix_sort_implINS0_14default_configELb0EPKiPiPKlPlN2at6native12_GLOBAL__N_18offset_tEEE10hipError_tPvRmT1_PNSt15iterator_traitsIS12_E10value_typeET2_T3_PNS13_IS18_E10value_typeET4_jRbjT5_S1E_jjP12ihipStream_tbEUljE_ZNSN_ISO_Lb0ESQ_SR_ST_SU_SY_EESZ_S10_S11_S12_S16_S17_S18_S1B_S1C_jS1D_jS1E_S1E_jjS1G_bEUljE0_EEESZ_S10_S11_S18_S1C_S1E_T6_T7_T9_mT8_S1G_bDpT10_ENKUlT_T0_E_clISt17integral_constantIbLb1EES1T_IbLb0EEEEDaS1P_S1Q_EUlS1P_E_NS1_11comp_targetILNS1_3genE3ELNS1_11target_archE908ELNS1_3gpuE7ELNS1_3repE0EEENS1_30default_config_static_selectorELNS0_4arch9wavefront6targetE1EEEvS12_,comdat
	.globl	_ZN7rocprim17ROCPRIM_400000_NS6detail17trampoline_kernelINS0_13select_configILj256ELj13ELNS0_17block_load_methodE3ELS4_3ELS4_3ELNS0_20block_scan_algorithmE0ELj4294967295EEENS1_25partition_config_selectorILNS1_17partition_subalgoE4EjNS0_10empty_typeEbEEZZNS1_14partition_implILS8_4ELb0ES6_15HIP_vector_typeIjLj2EENS0_17counting_iteratorIjlEEPS9_SG_NS0_5tupleIJPjSI_NS0_16reverse_iteratorISI_EEEEENSH_IJSG_SG_SG_EEES9_SI_JZNS1_25segmented_radix_sort_implINS0_14default_configELb0EPKiPiPKlPlN2at6native12_GLOBAL__N_18offset_tEEE10hipError_tPvRmT1_PNSt15iterator_traitsIS12_E10value_typeET2_T3_PNS13_IS18_E10value_typeET4_jRbjT5_S1E_jjP12ihipStream_tbEUljE_ZNSN_ISO_Lb0ESQ_SR_ST_SU_SY_EESZ_S10_S11_S12_S16_S17_S18_S1B_S1C_jS1D_jS1E_S1E_jjS1G_bEUljE0_EEESZ_S10_S11_S18_S1C_S1E_T6_T7_T9_mT8_S1G_bDpT10_ENKUlT_T0_E_clISt17integral_constantIbLb1EES1T_IbLb0EEEEDaS1P_S1Q_EUlS1P_E_NS1_11comp_targetILNS1_3genE3ELNS1_11target_archE908ELNS1_3gpuE7ELNS1_3repE0EEENS1_30default_config_static_selectorELNS0_4arch9wavefront6targetE1EEEvS12_ ; -- Begin function _ZN7rocprim17ROCPRIM_400000_NS6detail17trampoline_kernelINS0_13select_configILj256ELj13ELNS0_17block_load_methodE3ELS4_3ELS4_3ELNS0_20block_scan_algorithmE0ELj4294967295EEENS1_25partition_config_selectorILNS1_17partition_subalgoE4EjNS0_10empty_typeEbEEZZNS1_14partition_implILS8_4ELb0ES6_15HIP_vector_typeIjLj2EENS0_17counting_iteratorIjlEEPS9_SG_NS0_5tupleIJPjSI_NS0_16reverse_iteratorISI_EEEEENSH_IJSG_SG_SG_EEES9_SI_JZNS1_25segmented_radix_sort_implINS0_14default_configELb0EPKiPiPKlPlN2at6native12_GLOBAL__N_18offset_tEEE10hipError_tPvRmT1_PNSt15iterator_traitsIS12_E10value_typeET2_T3_PNS13_IS18_E10value_typeET4_jRbjT5_S1E_jjP12ihipStream_tbEUljE_ZNSN_ISO_Lb0ESQ_SR_ST_SU_SY_EESZ_S10_S11_S12_S16_S17_S18_S1B_S1C_jS1D_jS1E_S1E_jjS1G_bEUljE0_EEESZ_S10_S11_S18_S1C_S1E_T6_T7_T9_mT8_S1G_bDpT10_ENKUlT_T0_E_clISt17integral_constantIbLb1EES1T_IbLb0EEEEDaS1P_S1Q_EUlS1P_E_NS1_11comp_targetILNS1_3genE3ELNS1_11target_archE908ELNS1_3gpuE7ELNS1_3repE0EEENS1_30default_config_static_selectorELNS0_4arch9wavefront6targetE1EEEvS12_
	.p2align	8
	.type	_ZN7rocprim17ROCPRIM_400000_NS6detail17trampoline_kernelINS0_13select_configILj256ELj13ELNS0_17block_load_methodE3ELS4_3ELS4_3ELNS0_20block_scan_algorithmE0ELj4294967295EEENS1_25partition_config_selectorILNS1_17partition_subalgoE4EjNS0_10empty_typeEbEEZZNS1_14partition_implILS8_4ELb0ES6_15HIP_vector_typeIjLj2EENS0_17counting_iteratorIjlEEPS9_SG_NS0_5tupleIJPjSI_NS0_16reverse_iteratorISI_EEEEENSH_IJSG_SG_SG_EEES9_SI_JZNS1_25segmented_radix_sort_implINS0_14default_configELb0EPKiPiPKlPlN2at6native12_GLOBAL__N_18offset_tEEE10hipError_tPvRmT1_PNSt15iterator_traitsIS12_E10value_typeET2_T3_PNS13_IS18_E10value_typeET4_jRbjT5_S1E_jjP12ihipStream_tbEUljE_ZNSN_ISO_Lb0ESQ_SR_ST_SU_SY_EESZ_S10_S11_S12_S16_S17_S18_S1B_S1C_jS1D_jS1E_S1E_jjS1G_bEUljE0_EEESZ_S10_S11_S18_S1C_S1E_T6_T7_T9_mT8_S1G_bDpT10_ENKUlT_T0_E_clISt17integral_constantIbLb1EES1T_IbLb0EEEEDaS1P_S1Q_EUlS1P_E_NS1_11comp_targetILNS1_3genE3ELNS1_11target_archE908ELNS1_3gpuE7ELNS1_3repE0EEENS1_30default_config_static_selectorELNS0_4arch9wavefront6targetE1EEEvS12_,@function
_ZN7rocprim17ROCPRIM_400000_NS6detail17trampoline_kernelINS0_13select_configILj256ELj13ELNS0_17block_load_methodE3ELS4_3ELS4_3ELNS0_20block_scan_algorithmE0ELj4294967295EEENS1_25partition_config_selectorILNS1_17partition_subalgoE4EjNS0_10empty_typeEbEEZZNS1_14partition_implILS8_4ELb0ES6_15HIP_vector_typeIjLj2EENS0_17counting_iteratorIjlEEPS9_SG_NS0_5tupleIJPjSI_NS0_16reverse_iteratorISI_EEEEENSH_IJSG_SG_SG_EEES9_SI_JZNS1_25segmented_radix_sort_implINS0_14default_configELb0EPKiPiPKlPlN2at6native12_GLOBAL__N_18offset_tEEE10hipError_tPvRmT1_PNSt15iterator_traitsIS12_E10value_typeET2_T3_PNS13_IS18_E10value_typeET4_jRbjT5_S1E_jjP12ihipStream_tbEUljE_ZNSN_ISO_Lb0ESQ_SR_ST_SU_SY_EESZ_S10_S11_S12_S16_S17_S18_S1B_S1C_jS1D_jS1E_S1E_jjS1G_bEUljE0_EEESZ_S10_S11_S18_S1C_S1E_T6_T7_T9_mT8_S1G_bDpT10_ENKUlT_T0_E_clISt17integral_constantIbLb1EES1T_IbLb0EEEEDaS1P_S1Q_EUlS1P_E_NS1_11comp_targetILNS1_3genE3ELNS1_11target_archE908ELNS1_3gpuE7ELNS1_3repE0EEENS1_30default_config_static_selectorELNS0_4arch9wavefront6targetE1EEEvS12_: ; @_ZN7rocprim17ROCPRIM_400000_NS6detail17trampoline_kernelINS0_13select_configILj256ELj13ELNS0_17block_load_methodE3ELS4_3ELS4_3ELNS0_20block_scan_algorithmE0ELj4294967295EEENS1_25partition_config_selectorILNS1_17partition_subalgoE4EjNS0_10empty_typeEbEEZZNS1_14partition_implILS8_4ELb0ES6_15HIP_vector_typeIjLj2EENS0_17counting_iteratorIjlEEPS9_SG_NS0_5tupleIJPjSI_NS0_16reverse_iteratorISI_EEEEENSH_IJSG_SG_SG_EEES9_SI_JZNS1_25segmented_radix_sort_implINS0_14default_configELb0EPKiPiPKlPlN2at6native12_GLOBAL__N_18offset_tEEE10hipError_tPvRmT1_PNSt15iterator_traitsIS12_E10value_typeET2_T3_PNS13_IS18_E10value_typeET4_jRbjT5_S1E_jjP12ihipStream_tbEUljE_ZNSN_ISO_Lb0ESQ_SR_ST_SU_SY_EESZ_S10_S11_S12_S16_S17_S18_S1B_S1C_jS1D_jS1E_S1E_jjS1G_bEUljE0_EEESZ_S10_S11_S18_S1C_S1E_T6_T7_T9_mT8_S1G_bDpT10_ENKUlT_T0_E_clISt17integral_constantIbLb1EES1T_IbLb0EEEEDaS1P_S1Q_EUlS1P_E_NS1_11comp_targetILNS1_3genE3ELNS1_11target_archE908ELNS1_3gpuE7ELNS1_3repE0EEENS1_30default_config_static_selectorELNS0_4arch9wavefront6targetE1EEEvS12_
; %bb.0:
	.section	.rodata,"a",@progbits
	.p2align	6, 0x0
	.amdhsa_kernel _ZN7rocprim17ROCPRIM_400000_NS6detail17trampoline_kernelINS0_13select_configILj256ELj13ELNS0_17block_load_methodE3ELS4_3ELS4_3ELNS0_20block_scan_algorithmE0ELj4294967295EEENS1_25partition_config_selectorILNS1_17partition_subalgoE4EjNS0_10empty_typeEbEEZZNS1_14partition_implILS8_4ELb0ES6_15HIP_vector_typeIjLj2EENS0_17counting_iteratorIjlEEPS9_SG_NS0_5tupleIJPjSI_NS0_16reverse_iteratorISI_EEEEENSH_IJSG_SG_SG_EEES9_SI_JZNS1_25segmented_radix_sort_implINS0_14default_configELb0EPKiPiPKlPlN2at6native12_GLOBAL__N_18offset_tEEE10hipError_tPvRmT1_PNSt15iterator_traitsIS12_E10value_typeET2_T3_PNS13_IS18_E10value_typeET4_jRbjT5_S1E_jjP12ihipStream_tbEUljE_ZNSN_ISO_Lb0ESQ_SR_ST_SU_SY_EESZ_S10_S11_S12_S16_S17_S18_S1B_S1C_jS1D_jS1E_S1E_jjS1G_bEUljE0_EEESZ_S10_S11_S18_S1C_S1E_T6_T7_T9_mT8_S1G_bDpT10_ENKUlT_T0_E_clISt17integral_constantIbLb1EES1T_IbLb0EEEEDaS1P_S1Q_EUlS1P_E_NS1_11comp_targetILNS1_3genE3ELNS1_11target_archE908ELNS1_3gpuE7ELNS1_3repE0EEENS1_30default_config_static_selectorELNS0_4arch9wavefront6targetE1EEEvS12_
		.amdhsa_group_segment_fixed_size 0
		.amdhsa_private_segment_fixed_size 0
		.amdhsa_kernarg_size 176
		.amdhsa_user_sgpr_count 6
		.amdhsa_user_sgpr_private_segment_buffer 1
		.amdhsa_user_sgpr_dispatch_ptr 0
		.amdhsa_user_sgpr_queue_ptr 0
		.amdhsa_user_sgpr_kernarg_segment_ptr 1
		.amdhsa_user_sgpr_dispatch_id 0
		.amdhsa_user_sgpr_flat_scratch_init 0
		.amdhsa_user_sgpr_private_segment_size 0
		.amdhsa_uses_dynamic_stack 0
		.amdhsa_system_sgpr_private_segment_wavefront_offset 0
		.amdhsa_system_sgpr_workgroup_id_x 1
		.amdhsa_system_sgpr_workgroup_id_y 0
		.amdhsa_system_sgpr_workgroup_id_z 0
		.amdhsa_system_sgpr_workgroup_info 0
		.amdhsa_system_vgpr_workitem_id 0
		.amdhsa_next_free_vgpr 1
		.amdhsa_next_free_sgpr 0
		.amdhsa_reserve_vcc 0
		.amdhsa_reserve_flat_scratch 0
		.amdhsa_float_round_mode_32 0
		.amdhsa_float_round_mode_16_64 0
		.amdhsa_float_denorm_mode_32 3
		.amdhsa_float_denorm_mode_16_64 3
		.amdhsa_dx10_clamp 1
		.amdhsa_ieee_mode 1
		.amdhsa_fp16_overflow 0
		.amdhsa_exception_fp_ieee_invalid_op 0
		.amdhsa_exception_fp_denorm_src 0
		.amdhsa_exception_fp_ieee_div_zero 0
		.amdhsa_exception_fp_ieee_overflow 0
		.amdhsa_exception_fp_ieee_underflow 0
		.amdhsa_exception_fp_ieee_inexact 0
		.amdhsa_exception_int_div_zero 0
	.end_amdhsa_kernel
	.section	.text._ZN7rocprim17ROCPRIM_400000_NS6detail17trampoline_kernelINS0_13select_configILj256ELj13ELNS0_17block_load_methodE3ELS4_3ELS4_3ELNS0_20block_scan_algorithmE0ELj4294967295EEENS1_25partition_config_selectorILNS1_17partition_subalgoE4EjNS0_10empty_typeEbEEZZNS1_14partition_implILS8_4ELb0ES6_15HIP_vector_typeIjLj2EENS0_17counting_iteratorIjlEEPS9_SG_NS0_5tupleIJPjSI_NS0_16reverse_iteratorISI_EEEEENSH_IJSG_SG_SG_EEES9_SI_JZNS1_25segmented_radix_sort_implINS0_14default_configELb0EPKiPiPKlPlN2at6native12_GLOBAL__N_18offset_tEEE10hipError_tPvRmT1_PNSt15iterator_traitsIS12_E10value_typeET2_T3_PNS13_IS18_E10value_typeET4_jRbjT5_S1E_jjP12ihipStream_tbEUljE_ZNSN_ISO_Lb0ESQ_SR_ST_SU_SY_EESZ_S10_S11_S12_S16_S17_S18_S1B_S1C_jS1D_jS1E_S1E_jjS1G_bEUljE0_EEESZ_S10_S11_S18_S1C_S1E_T6_T7_T9_mT8_S1G_bDpT10_ENKUlT_T0_E_clISt17integral_constantIbLb1EES1T_IbLb0EEEEDaS1P_S1Q_EUlS1P_E_NS1_11comp_targetILNS1_3genE3ELNS1_11target_archE908ELNS1_3gpuE7ELNS1_3repE0EEENS1_30default_config_static_selectorELNS0_4arch9wavefront6targetE1EEEvS12_,"axG",@progbits,_ZN7rocprim17ROCPRIM_400000_NS6detail17trampoline_kernelINS0_13select_configILj256ELj13ELNS0_17block_load_methodE3ELS4_3ELS4_3ELNS0_20block_scan_algorithmE0ELj4294967295EEENS1_25partition_config_selectorILNS1_17partition_subalgoE4EjNS0_10empty_typeEbEEZZNS1_14partition_implILS8_4ELb0ES6_15HIP_vector_typeIjLj2EENS0_17counting_iteratorIjlEEPS9_SG_NS0_5tupleIJPjSI_NS0_16reverse_iteratorISI_EEEEENSH_IJSG_SG_SG_EEES9_SI_JZNS1_25segmented_radix_sort_implINS0_14default_configELb0EPKiPiPKlPlN2at6native12_GLOBAL__N_18offset_tEEE10hipError_tPvRmT1_PNSt15iterator_traitsIS12_E10value_typeET2_T3_PNS13_IS18_E10value_typeET4_jRbjT5_S1E_jjP12ihipStream_tbEUljE_ZNSN_ISO_Lb0ESQ_SR_ST_SU_SY_EESZ_S10_S11_S12_S16_S17_S18_S1B_S1C_jS1D_jS1E_S1E_jjS1G_bEUljE0_EEESZ_S10_S11_S18_S1C_S1E_T6_T7_T9_mT8_S1G_bDpT10_ENKUlT_T0_E_clISt17integral_constantIbLb1EES1T_IbLb0EEEEDaS1P_S1Q_EUlS1P_E_NS1_11comp_targetILNS1_3genE3ELNS1_11target_archE908ELNS1_3gpuE7ELNS1_3repE0EEENS1_30default_config_static_selectorELNS0_4arch9wavefront6targetE1EEEvS12_,comdat
.Lfunc_end555:
	.size	_ZN7rocprim17ROCPRIM_400000_NS6detail17trampoline_kernelINS0_13select_configILj256ELj13ELNS0_17block_load_methodE3ELS4_3ELS4_3ELNS0_20block_scan_algorithmE0ELj4294967295EEENS1_25partition_config_selectorILNS1_17partition_subalgoE4EjNS0_10empty_typeEbEEZZNS1_14partition_implILS8_4ELb0ES6_15HIP_vector_typeIjLj2EENS0_17counting_iteratorIjlEEPS9_SG_NS0_5tupleIJPjSI_NS0_16reverse_iteratorISI_EEEEENSH_IJSG_SG_SG_EEES9_SI_JZNS1_25segmented_radix_sort_implINS0_14default_configELb0EPKiPiPKlPlN2at6native12_GLOBAL__N_18offset_tEEE10hipError_tPvRmT1_PNSt15iterator_traitsIS12_E10value_typeET2_T3_PNS13_IS18_E10value_typeET4_jRbjT5_S1E_jjP12ihipStream_tbEUljE_ZNSN_ISO_Lb0ESQ_SR_ST_SU_SY_EESZ_S10_S11_S12_S16_S17_S18_S1B_S1C_jS1D_jS1E_S1E_jjS1G_bEUljE0_EEESZ_S10_S11_S18_S1C_S1E_T6_T7_T9_mT8_S1G_bDpT10_ENKUlT_T0_E_clISt17integral_constantIbLb1EES1T_IbLb0EEEEDaS1P_S1Q_EUlS1P_E_NS1_11comp_targetILNS1_3genE3ELNS1_11target_archE908ELNS1_3gpuE7ELNS1_3repE0EEENS1_30default_config_static_selectorELNS0_4arch9wavefront6targetE1EEEvS12_, .Lfunc_end555-_ZN7rocprim17ROCPRIM_400000_NS6detail17trampoline_kernelINS0_13select_configILj256ELj13ELNS0_17block_load_methodE3ELS4_3ELS4_3ELNS0_20block_scan_algorithmE0ELj4294967295EEENS1_25partition_config_selectorILNS1_17partition_subalgoE4EjNS0_10empty_typeEbEEZZNS1_14partition_implILS8_4ELb0ES6_15HIP_vector_typeIjLj2EENS0_17counting_iteratorIjlEEPS9_SG_NS0_5tupleIJPjSI_NS0_16reverse_iteratorISI_EEEEENSH_IJSG_SG_SG_EEES9_SI_JZNS1_25segmented_radix_sort_implINS0_14default_configELb0EPKiPiPKlPlN2at6native12_GLOBAL__N_18offset_tEEE10hipError_tPvRmT1_PNSt15iterator_traitsIS12_E10value_typeET2_T3_PNS13_IS18_E10value_typeET4_jRbjT5_S1E_jjP12ihipStream_tbEUljE_ZNSN_ISO_Lb0ESQ_SR_ST_SU_SY_EESZ_S10_S11_S12_S16_S17_S18_S1B_S1C_jS1D_jS1E_S1E_jjS1G_bEUljE0_EEESZ_S10_S11_S18_S1C_S1E_T6_T7_T9_mT8_S1G_bDpT10_ENKUlT_T0_E_clISt17integral_constantIbLb1EES1T_IbLb0EEEEDaS1P_S1Q_EUlS1P_E_NS1_11comp_targetILNS1_3genE3ELNS1_11target_archE908ELNS1_3gpuE7ELNS1_3repE0EEENS1_30default_config_static_selectorELNS0_4arch9wavefront6targetE1EEEvS12_
                                        ; -- End function
	.set _ZN7rocprim17ROCPRIM_400000_NS6detail17trampoline_kernelINS0_13select_configILj256ELj13ELNS0_17block_load_methodE3ELS4_3ELS4_3ELNS0_20block_scan_algorithmE0ELj4294967295EEENS1_25partition_config_selectorILNS1_17partition_subalgoE4EjNS0_10empty_typeEbEEZZNS1_14partition_implILS8_4ELb0ES6_15HIP_vector_typeIjLj2EENS0_17counting_iteratorIjlEEPS9_SG_NS0_5tupleIJPjSI_NS0_16reverse_iteratorISI_EEEEENSH_IJSG_SG_SG_EEES9_SI_JZNS1_25segmented_radix_sort_implINS0_14default_configELb0EPKiPiPKlPlN2at6native12_GLOBAL__N_18offset_tEEE10hipError_tPvRmT1_PNSt15iterator_traitsIS12_E10value_typeET2_T3_PNS13_IS18_E10value_typeET4_jRbjT5_S1E_jjP12ihipStream_tbEUljE_ZNSN_ISO_Lb0ESQ_SR_ST_SU_SY_EESZ_S10_S11_S12_S16_S17_S18_S1B_S1C_jS1D_jS1E_S1E_jjS1G_bEUljE0_EEESZ_S10_S11_S18_S1C_S1E_T6_T7_T9_mT8_S1G_bDpT10_ENKUlT_T0_E_clISt17integral_constantIbLb1EES1T_IbLb0EEEEDaS1P_S1Q_EUlS1P_E_NS1_11comp_targetILNS1_3genE3ELNS1_11target_archE908ELNS1_3gpuE7ELNS1_3repE0EEENS1_30default_config_static_selectorELNS0_4arch9wavefront6targetE1EEEvS12_.num_vgpr, 0
	.set _ZN7rocprim17ROCPRIM_400000_NS6detail17trampoline_kernelINS0_13select_configILj256ELj13ELNS0_17block_load_methodE3ELS4_3ELS4_3ELNS0_20block_scan_algorithmE0ELj4294967295EEENS1_25partition_config_selectorILNS1_17partition_subalgoE4EjNS0_10empty_typeEbEEZZNS1_14partition_implILS8_4ELb0ES6_15HIP_vector_typeIjLj2EENS0_17counting_iteratorIjlEEPS9_SG_NS0_5tupleIJPjSI_NS0_16reverse_iteratorISI_EEEEENSH_IJSG_SG_SG_EEES9_SI_JZNS1_25segmented_radix_sort_implINS0_14default_configELb0EPKiPiPKlPlN2at6native12_GLOBAL__N_18offset_tEEE10hipError_tPvRmT1_PNSt15iterator_traitsIS12_E10value_typeET2_T3_PNS13_IS18_E10value_typeET4_jRbjT5_S1E_jjP12ihipStream_tbEUljE_ZNSN_ISO_Lb0ESQ_SR_ST_SU_SY_EESZ_S10_S11_S12_S16_S17_S18_S1B_S1C_jS1D_jS1E_S1E_jjS1G_bEUljE0_EEESZ_S10_S11_S18_S1C_S1E_T6_T7_T9_mT8_S1G_bDpT10_ENKUlT_T0_E_clISt17integral_constantIbLb1EES1T_IbLb0EEEEDaS1P_S1Q_EUlS1P_E_NS1_11comp_targetILNS1_3genE3ELNS1_11target_archE908ELNS1_3gpuE7ELNS1_3repE0EEENS1_30default_config_static_selectorELNS0_4arch9wavefront6targetE1EEEvS12_.num_agpr, 0
	.set _ZN7rocprim17ROCPRIM_400000_NS6detail17trampoline_kernelINS0_13select_configILj256ELj13ELNS0_17block_load_methodE3ELS4_3ELS4_3ELNS0_20block_scan_algorithmE0ELj4294967295EEENS1_25partition_config_selectorILNS1_17partition_subalgoE4EjNS0_10empty_typeEbEEZZNS1_14partition_implILS8_4ELb0ES6_15HIP_vector_typeIjLj2EENS0_17counting_iteratorIjlEEPS9_SG_NS0_5tupleIJPjSI_NS0_16reverse_iteratorISI_EEEEENSH_IJSG_SG_SG_EEES9_SI_JZNS1_25segmented_radix_sort_implINS0_14default_configELb0EPKiPiPKlPlN2at6native12_GLOBAL__N_18offset_tEEE10hipError_tPvRmT1_PNSt15iterator_traitsIS12_E10value_typeET2_T3_PNS13_IS18_E10value_typeET4_jRbjT5_S1E_jjP12ihipStream_tbEUljE_ZNSN_ISO_Lb0ESQ_SR_ST_SU_SY_EESZ_S10_S11_S12_S16_S17_S18_S1B_S1C_jS1D_jS1E_S1E_jjS1G_bEUljE0_EEESZ_S10_S11_S18_S1C_S1E_T6_T7_T9_mT8_S1G_bDpT10_ENKUlT_T0_E_clISt17integral_constantIbLb1EES1T_IbLb0EEEEDaS1P_S1Q_EUlS1P_E_NS1_11comp_targetILNS1_3genE3ELNS1_11target_archE908ELNS1_3gpuE7ELNS1_3repE0EEENS1_30default_config_static_selectorELNS0_4arch9wavefront6targetE1EEEvS12_.numbered_sgpr, 0
	.set _ZN7rocprim17ROCPRIM_400000_NS6detail17trampoline_kernelINS0_13select_configILj256ELj13ELNS0_17block_load_methodE3ELS4_3ELS4_3ELNS0_20block_scan_algorithmE0ELj4294967295EEENS1_25partition_config_selectorILNS1_17partition_subalgoE4EjNS0_10empty_typeEbEEZZNS1_14partition_implILS8_4ELb0ES6_15HIP_vector_typeIjLj2EENS0_17counting_iteratorIjlEEPS9_SG_NS0_5tupleIJPjSI_NS0_16reverse_iteratorISI_EEEEENSH_IJSG_SG_SG_EEES9_SI_JZNS1_25segmented_radix_sort_implINS0_14default_configELb0EPKiPiPKlPlN2at6native12_GLOBAL__N_18offset_tEEE10hipError_tPvRmT1_PNSt15iterator_traitsIS12_E10value_typeET2_T3_PNS13_IS18_E10value_typeET4_jRbjT5_S1E_jjP12ihipStream_tbEUljE_ZNSN_ISO_Lb0ESQ_SR_ST_SU_SY_EESZ_S10_S11_S12_S16_S17_S18_S1B_S1C_jS1D_jS1E_S1E_jjS1G_bEUljE0_EEESZ_S10_S11_S18_S1C_S1E_T6_T7_T9_mT8_S1G_bDpT10_ENKUlT_T0_E_clISt17integral_constantIbLb1EES1T_IbLb0EEEEDaS1P_S1Q_EUlS1P_E_NS1_11comp_targetILNS1_3genE3ELNS1_11target_archE908ELNS1_3gpuE7ELNS1_3repE0EEENS1_30default_config_static_selectorELNS0_4arch9wavefront6targetE1EEEvS12_.num_named_barrier, 0
	.set _ZN7rocprim17ROCPRIM_400000_NS6detail17trampoline_kernelINS0_13select_configILj256ELj13ELNS0_17block_load_methodE3ELS4_3ELS4_3ELNS0_20block_scan_algorithmE0ELj4294967295EEENS1_25partition_config_selectorILNS1_17partition_subalgoE4EjNS0_10empty_typeEbEEZZNS1_14partition_implILS8_4ELb0ES6_15HIP_vector_typeIjLj2EENS0_17counting_iteratorIjlEEPS9_SG_NS0_5tupleIJPjSI_NS0_16reverse_iteratorISI_EEEEENSH_IJSG_SG_SG_EEES9_SI_JZNS1_25segmented_radix_sort_implINS0_14default_configELb0EPKiPiPKlPlN2at6native12_GLOBAL__N_18offset_tEEE10hipError_tPvRmT1_PNSt15iterator_traitsIS12_E10value_typeET2_T3_PNS13_IS18_E10value_typeET4_jRbjT5_S1E_jjP12ihipStream_tbEUljE_ZNSN_ISO_Lb0ESQ_SR_ST_SU_SY_EESZ_S10_S11_S12_S16_S17_S18_S1B_S1C_jS1D_jS1E_S1E_jjS1G_bEUljE0_EEESZ_S10_S11_S18_S1C_S1E_T6_T7_T9_mT8_S1G_bDpT10_ENKUlT_T0_E_clISt17integral_constantIbLb1EES1T_IbLb0EEEEDaS1P_S1Q_EUlS1P_E_NS1_11comp_targetILNS1_3genE3ELNS1_11target_archE908ELNS1_3gpuE7ELNS1_3repE0EEENS1_30default_config_static_selectorELNS0_4arch9wavefront6targetE1EEEvS12_.private_seg_size, 0
	.set _ZN7rocprim17ROCPRIM_400000_NS6detail17trampoline_kernelINS0_13select_configILj256ELj13ELNS0_17block_load_methodE3ELS4_3ELS4_3ELNS0_20block_scan_algorithmE0ELj4294967295EEENS1_25partition_config_selectorILNS1_17partition_subalgoE4EjNS0_10empty_typeEbEEZZNS1_14partition_implILS8_4ELb0ES6_15HIP_vector_typeIjLj2EENS0_17counting_iteratorIjlEEPS9_SG_NS0_5tupleIJPjSI_NS0_16reverse_iteratorISI_EEEEENSH_IJSG_SG_SG_EEES9_SI_JZNS1_25segmented_radix_sort_implINS0_14default_configELb0EPKiPiPKlPlN2at6native12_GLOBAL__N_18offset_tEEE10hipError_tPvRmT1_PNSt15iterator_traitsIS12_E10value_typeET2_T3_PNS13_IS18_E10value_typeET4_jRbjT5_S1E_jjP12ihipStream_tbEUljE_ZNSN_ISO_Lb0ESQ_SR_ST_SU_SY_EESZ_S10_S11_S12_S16_S17_S18_S1B_S1C_jS1D_jS1E_S1E_jjS1G_bEUljE0_EEESZ_S10_S11_S18_S1C_S1E_T6_T7_T9_mT8_S1G_bDpT10_ENKUlT_T0_E_clISt17integral_constantIbLb1EES1T_IbLb0EEEEDaS1P_S1Q_EUlS1P_E_NS1_11comp_targetILNS1_3genE3ELNS1_11target_archE908ELNS1_3gpuE7ELNS1_3repE0EEENS1_30default_config_static_selectorELNS0_4arch9wavefront6targetE1EEEvS12_.uses_vcc, 0
	.set _ZN7rocprim17ROCPRIM_400000_NS6detail17trampoline_kernelINS0_13select_configILj256ELj13ELNS0_17block_load_methodE3ELS4_3ELS4_3ELNS0_20block_scan_algorithmE0ELj4294967295EEENS1_25partition_config_selectorILNS1_17partition_subalgoE4EjNS0_10empty_typeEbEEZZNS1_14partition_implILS8_4ELb0ES6_15HIP_vector_typeIjLj2EENS0_17counting_iteratorIjlEEPS9_SG_NS0_5tupleIJPjSI_NS0_16reverse_iteratorISI_EEEEENSH_IJSG_SG_SG_EEES9_SI_JZNS1_25segmented_radix_sort_implINS0_14default_configELb0EPKiPiPKlPlN2at6native12_GLOBAL__N_18offset_tEEE10hipError_tPvRmT1_PNSt15iterator_traitsIS12_E10value_typeET2_T3_PNS13_IS18_E10value_typeET4_jRbjT5_S1E_jjP12ihipStream_tbEUljE_ZNSN_ISO_Lb0ESQ_SR_ST_SU_SY_EESZ_S10_S11_S12_S16_S17_S18_S1B_S1C_jS1D_jS1E_S1E_jjS1G_bEUljE0_EEESZ_S10_S11_S18_S1C_S1E_T6_T7_T9_mT8_S1G_bDpT10_ENKUlT_T0_E_clISt17integral_constantIbLb1EES1T_IbLb0EEEEDaS1P_S1Q_EUlS1P_E_NS1_11comp_targetILNS1_3genE3ELNS1_11target_archE908ELNS1_3gpuE7ELNS1_3repE0EEENS1_30default_config_static_selectorELNS0_4arch9wavefront6targetE1EEEvS12_.uses_flat_scratch, 0
	.set _ZN7rocprim17ROCPRIM_400000_NS6detail17trampoline_kernelINS0_13select_configILj256ELj13ELNS0_17block_load_methodE3ELS4_3ELS4_3ELNS0_20block_scan_algorithmE0ELj4294967295EEENS1_25partition_config_selectorILNS1_17partition_subalgoE4EjNS0_10empty_typeEbEEZZNS1_14partition_implILS8_4ELb0ES6_15HIP_vector_typeIjLj2EENS0_17counting_iteratorIjlEEPS9_SG_NS0_5tupleIJPjSI_NS0_16reverse_iteratorISI_EEEEENSH_IJSG_SG_SG_EEES9_SI_JZNS1_25segmented_radix_sort_implINS0_14default_configELb0EPKiPiPKlPlN2at6native12_GLOBAL__N_18offset_tEEE10hipError_tPvRmT1_PNSt15iterator_traitsIS12_E10value_typeET2_T3_PNS13_IS18_E10value_typeET4_jRbjT5_S1E_jjP12ihipStream_tbEUljE_ZNSN_ISO_Lb0ESQ_SR_ST_SU_SY_EESZ_S10_S11_S12_S16_S17_S18_S1B_S1C_jS1D_jS1E_S1E_jjS1G_bEUljE0_EEESZ_S10_S11_S18_S1C_S1E_T6_T7_T9_mT8_S1G_bDpT10_ENKUlT_T0_E_clISt17integral_constantIbLb1EES1T_IbLb0EEEEDaS1P_S1Q_EUlS1P_E_NS1_11comp_targetILNS1_3genE3ELNS1_11target_archE908ELNS1_3gpuE7ELNS1_3repE0EEENS1_30default_config_static_selectorELNS0_4arch9wavefront6targetE1EEEvS12_.has_dyn_sized_stack, 0
	.set _ZN7rocprim17ROCPRIM_400000_NS6detail17trampoline_kernelINS0_13select_configILj256ELj13ELNS0_17block_load_methodE3ELS4_3ELS4_3ELNS0_20block_scan_algorithmE0ELj4294967295EEENS1_25partition_config_selectorILNS1_17partition_subalgoE4EjNS0_10empty_typeEbEEZZNS1_14partition_implILS8_4ELb0ES6_15HIP_vector_typeIjLj2EENS0_17counting_iteratorIjlEEPS9_SG_NS0_5tupleIJPjSI_NS0_16reverse_iteratorISI_EEEEENSH_IJSG_SG_SG_EEES9_SI_JZNS1_25segmented_radix_sort_implINS0_14default_configELb0EPKiPiPKlPlN2at6native12_GLOBAL__N_18offset_tEEE10hipError_tPvRmT1_PNSt15iterator_traitsIS12_E10value_typeET2_T3_PNS13_IS18_E10value_typeET4_jRbjT5_S1E_jjP12ihipStream_tbEUljE_ZNSN_ISO_Lb0ESQ_SR_ST_SU_SY_EESZ_S10_S11_S12_S16_S17_S18_S1B_S1C_jS1D_jS1E_S1E_jjS1G_bEUljE0_EEESZ_S10_S11_S18_S1C_S1E_T6_T7_T9_mT8_S1G_bDpT10_ENKUlT_T0_E_clISt17integral_constantIbLb1EES1T_IbLb0EEEEDaS1P_S1Q_EUlS1P_E_NS1_11comp_targetILNS1_3genE3ELNS1_11target_archE908ELNS1_3gpuE7ELNS1_3repE0EEENS1_30default_config_static_selectorELNS0_4arch9wavefront6targetE1EEEvS12_.has_recursion, 0
	.set _ZN7rocprim17ROCPRIM_400000_NS6detail17trampoline_kernelINS0_13select_configILj256ELj13ELNS0_17block_load_methodE3ELS4_3ELS4_3ELNS0_20block_scan_algorithmE0ELj4294967295EEENS1_25partition_config_selectorILNS1_17partition_subalgoE4EjNS0_10empty_typeEbEEZZNS1_14partition_implILS8_4ELb0ES6_15HIP_vector_typeIjLj2EENS0_17counting_iteratorIjlEEPS9_SG_NS0_5tupleIJPjSI_NS0_16reverse_iteratorISI_EEEEENSH_IJSG_SG_SG_EEES9_SI_JZNS1_25segmented_radix_sort_implINS0_14default_configELb0EPKiPiPKlPlN2at6native12_GLOBAL__N_18offset_tEEE10hipError_tPvRmT1_PNSt15iterator_traitsIS12_E10value_typeET2_T3_PNS13_IS18_E10value_typeET4_jRbjT5_S1E_jjP12ihipStream_tbEUljE_ZNSN_ISO_Lb0ESQ_SR_ST_SU_SY_EESZ_S10_S11_S12_S16_S17_S18_S1B_S1C_jS1D_jS1E_S1E_jjS1G_bEUljE0_EEESZ_S10_S11_S18_S1C_S1E_T6_T7_T9_mT8_S1G_bDpT10_ENKUlT_T0_E_clISt17integral_constantIbLb1EES1T_IbLb0EEEEDaS1P_S1Q_EUlS1P_E_NS1_11comp_targetILNS1_3genE3ELNS1_11target_archE908ELNS1_3gpuE7ELNS1_3repE0EEENS1_30default_config_static_selectorELNS0_4arch9wavefront6targetE1EEEvS12_.has_indirect_call, 0
	.section	.AMDGPU.csdata,"",@progbits
; Kernel info:
; codeLenInByte = 0
; TotalNumSgprs: 4
; NumVgprs: 0
; ScratchSize: 0
; MemoryBound: 0
; FloatMode: 240
; IeeeMode: 1
; LDSByteSize: 0 bytes/workgroup (compile time only)
; SGPRBlocks: 0
; VGPRBlocks: 0
; NumSGPRsForWavesPerEU: 4
; NumVGPRsForWavesPerEU: 1
; Occupancy: 10
; WaveLimiterHint : 0
; COMPUTE_PGM_RSRC2:SCRATCH_EN: 0
; COMPUTE_PGM_RSRC2:USER_SGPR: 6
; COMPUTE_PGM_RSRC2:TRAP_HANDLER: 0
; COMPUTE_PGM_RSRC2:TGID_X_EN: 1
; COMPUTE_PGM_RSRC2:TGID_Y_EN: 0
; COMPUTE_PGM_RSRC2:TGID_Z_EN: 0
; COMPUTE_PGM_RSRC2:TIDIG_COMP_CNT: 0
	.section	.text._ZN7rocprim17ROCPRIM_400000_NS6detail17trampoline_kernelINS0_13select_configILj256ELj13ELNS0_17block_load_methodE3ELS4_3ELS4_3ELNS0_20block_scan_algorithmE0ELj4294967295EEENS1_25partition_config_selectorILNS1_17partition_subalgoE4EjNS0_10empty_typeEbEEZZNS1_14partition_implILS8_4ELb0ES6_15HIP_vector_typeIjLj2EENS0_17counting_iteratorIjlEEPS9_SG_NS0_5tupleIJPjSI_NS0_16reverse_iteratorISI_EEEEENSH_IJSG_SG_SG_EEES9_SI_JZNS1_25segmented_radix_sort_implINS0_14default_configELb0EPKiPiPKlPlN2at6native12_GLOBAL__N_18offset_tEEE10hipError_tPvRmT1_PNSt15iterator_traitsIS12_E10value_typeET2_T3_PNS13_IS18_E10value_typeET4_jRbjT5_S1E_jjP12ihipStream_tbEUljE_ZNSN_ISO_Lb0ESQ_SR_ST_SU_SY_EESZ_S10_S11_S12_S16_S17_S18_S1B_S1C_jS1D_jS1E_S1E_jjS1G_bEUljE0_EEESZ_S10_S11_S18_S1C_S1E_T6_T7_T9_mT8_S1G_bDpT10_ENKUlT_T0_E_clISt17integral_constantIbLb1EES1T_IbLb0EEEEDaS1P_S1Q_EUlS1P_E_NS1_11comp_targetILNS1_3genE2ELNS1_11target_archE906ELNS1_3gpuE6ELNS1_3repE0EEENS1_30default_config_static_selectorELNS0_4arch9wavefront6targetE1EEEvS12_,"axG",@progbits,_ZN7rocprim17ROCPRIM_400000_NS6detail17trampoline_kernelINS0_13select_configILj256ELj13ELNS0_17block_load_methodE3ELS4_3ELS4_3ELNS0_20block_scan_algorithmE0ELj4294967295EEENS1_25partition_config_selectorILNS1_17partition_subalgoE4EjNS0_10empty_typeEbEEZZNS1_14partition_implILS8_4ELb0ES6_15HIP_vector_typeIjLj2EENS0_17counting_iteratorIjlEEPS9_SG_NS0_5tupleIJPjSI_NS0_16reverse_iteratorISI_EEEEENSH_IJSG_SG_SG_EEES9_SI_JZNS1_25segmented_radix_sort_implINS0_14default_configELb0EPKiPiPKlPlN2at6native12_GLOBAL__N_18offset_tEEE10hipError_tPvRmT1_PNSt15iterator_traitsIS12_E10value_typeET2_T3_PNS13_IS18_E10value_typeET4_jRbjT5_S1E_jjP12ihipStream_tbEUljE_ZNSN_ISO_Lb0ESQ_SR_ST_SU_SY_EESZ_S10_S11_S12_S16_S17_S18_S1B_S1C_jS1D_jS1E_S1E_jjS1G_bEUljE0_EEESZ_S10_S11_S18_S1C_S1E_T6_T7_T9_mT8_S1G_bDpT10_ENKUlT_T0_E_clISt17integral_constantIbLb1EES1T_IbLb0EEEEDaS1P_S1Q_EUlS1P_E_NS1_11comp_targetILNS1_3genE2ELNS1_11target_archE906ELNS1_3gpuE6ELNS1_3repE0EEENS1_30default_config_static_selectorELNS0_4arch9wavefront6targetE1EEEvS12_,comdat
	.globl	_ZN7rocprim17ROCPRIM_400000_NS6detail17trampoline_kernelINS0_13select_configILj256ELj13ELNS0_17block_load_methodE3ELS4_3ELS4_3ELNS0_20block_scan_algorithmE0ELj4294967295EEENS1_25partition_config_selectorILNS1_17partition_subalgoE4EjNS0_10empty_typeEbEEZZNS1_14partition_implILS8_4ELb0ES6_15HIP_vector_typeIjLj2EENS0_17counting_iteratorIjlEEPS9_SG_NS0_5tupleIJPjSI_NS0_16reverse_iteratorISI_EEEEENSH_IJSG_SG_SG_EEES9_SI_JZNS1_25segmented_radix_sort_implINS0_14default_configELb0EPKiPiPKlPlN2at6native12_GLOBAL__N_18offset_tEEE10hipError_tPvRmT1_PNSt15iterator_traitsIS12_E10value_typeET2_T3_PNS13_IS18_E10value_typeET4_jRbjT5_S1E_jjP12ihipStream_tbEUljE_ZNSN_ISO_Lb0ESQ_SR_ST_SU_SY_EESZ_S10_S11_S12_S16_S17_S18_S1B_S1C_jS1D_jS1E_S1E_jjS1G_bEUljE0_EEESZ_S10_S11_S18_S1C_S1E_T6_T7_T9_mT8_S1G_bDpT10_ENKUlT_T0_E_clISt17integral_constantIbLb1EES1T_IbLb0EEEEDaS1P_S1Q_EUlS1P_E_NS1_11comp_targetILNS1_3genE2ELNS1_11target_archE906ELNS1_3gpuE6ELNS1_3repE0EEENS1_30default_config_static_selectorELNS0_4arch9wavefront6targetE1EEEvS12_ ; -- Begin function _ZN7rocprim17ROCPRIM_400000_NS6detail17trampoline_kernelINS0_13select_configILj256ELj13ELNS0_17block_load_methodE3ELS4_3ELS4_3ELNS0_20block_scan_algorithmE0ELj4294967295EEENS1_25partition_config_selectorILNS1_17partition_subalgoE4EjNS0_10empty_typeEbEEZZNS1_14partition_implILS8_4ELb0ES6_15HIP_vector_typeIjLj2EENS0_17counting_iteratorIjlEEPS9_SG_NS0_5tupleIJPjSI_NS0_16reverse_iteratorISI_EEEEENSH_IJSG_SG_SG_EEES9_SI_JZNS1_25segmented_radix_sort_implINS0_14default_configELb0EPKiPiPKlPlN2at6native12_GLOBAL__N_18offset_tEEE10hipError_tPvRmT1_PNSt15iterator_traitsIS12_E10value_typeET2_T3_PNS13_IS18_E10value_typeET4_jRbjT5_S1E_jjP12ihipStream_tbEUljE_ZNSN_ISO_Lb0ESQ_SR_ST_SU_SY_EESZ_S10_S11_S12_S16_S17_S18_S1B_S1C_jS1D_jS1E_S1E_jjS1G_bEUljE0_EEESZ_S10_S11_S18_S1C_S1E_T6_T7_T9_mT8_S1G_bDpT10_ENKUlT_T0_E_clISt17integral_constantIbLb1EES1T_IbLb0EEEEDaS1P_S1Q_EUlS1P_E_NS1_11comp_targetILNS1_3genE2ELNS1_11target_archE906ELNS1_3gpuE6ELNS1_3repE0EEENS1_30default_config_static_selectorELNS0_4arch9wavefront6targetE1EEEvS12_
	.p2align	8
	.type	_ZN7rocprim17ROCPRIM_400000_NS6detail17trampoline_kernelINS0_13select_configILj256ELj13ELNS0_17block_load_methodE3ELS4_3ELS4_3ELNS0_20block_scan_algorithmE0ELj4294967295EEENS1_25partition_config_selectorILNS1_17partition_subalgoE4EjNS0_10empty_typeEbEEZZNS1_14partition_implILS8_4ELb0ES6_15HIP_vector_typeIjLj2EENS0_17counting_iteratorIjlEEPS9_SG_NS0_5tupleIJPjSI_NS0_16reverse_iteratorISI_EEEEENSH_IJSG_SG_SG_EEES9_SI_JZNS1_25segmented_radix_sort_implINS0_14default_configELb0EPKiPiPKlPlN2at6native12_GLOBAL__N_18offset_tEEE10hipError_tPvRmT1_PNSt15iterator_traitsIS12_E10value_typeET2_T3_PNS13_IS18_E10value_typeET4_jRbjT5_S1E_jjP12ihipStream_tbEUljE_ZNSN_ISO_Lb0ESQ_SR_ST_SU_SY_EESZ_S10_S11_S12_S16_S17_S18_S1B_S1C_jS1D_jS1E_S1E_jjS1G_bEUljE0_EEESZ_S10_S11_S18_S1C_S1E_T6_T7_T9_mT8_S1G_bDpT10_ENKUlT_T0_E_clISt17integral_constantIbLb1EES1T_IbLb0EEEEDaS1P_S1Q_EUlS1P_E_NS1_11comp_targetILNS1_3genE2ELNS1_11target_archE906ELNS1_3gpuE6ELNS1_3repE0EEENS1_30default_config_static_selectorELNS0_4arch9wavefront6targetE1EEEvS12_,@function
_ZN7rocprim17ROCPRIM_400000_NS6detail17trampoline_kernelINS0_13select_configILj256ELj13ELNS0_17block_load_methodE3ELS4_3ELS4_3ELNS0_20block_scan_algorithmE0ELj4294967295EEENS1_25partition_config_selectorILNS1_17partition_subalgoE4EjNS0_10empty_typeEbEEZZNS1_14partition_implILS8_4ELb0ES6_15HIP_vector_typeIjLj2EENS0_17counting_iteratorIjlEEPS9_SG_NS0_5tupleIJPjSI_NS0_16reverse_iteratorISI_EEEEENSH_IJSG_SG_SG_EEES9_SI_JZNS1_25segmented_radix_sort_implINS0_14default_configELb0EPKiPiPKlPlN2at6native12_GLOBAL__N_18offset_tEEE10hipError_tPvRmT1_PNSt15iterator_traitsIS12_E10value_typeET2_T3_PNS13_IS18_E10value_typeET4_jRbjT5_S1E_jjP12ihipStream_tbEUljE_ZNSN_ISO_Lb0ESQ_SR_ST_SU_SY_EESZ_S10_S11_S12_S16_S17_S18_S1B_S1C_jS1D_jS1E_S1E_jjS1G_bEUljE0_EEESZ_S10_S11_S18_S1C_S1E_T6_T7_T9_mT8_S1G_bDpT10_ENKUlT_T0_E_clISt17integral_constantIbLb1EES1T_IbLb0EEEEDaS1P_S1Q_EUlS1P_E_NS1_11comp_targetILNS1_3genE2ELNS1_11target_archE906ELNS1_3gpuE6ELNS1_3repE0EEENS1_30default_config_static_selectorELNS0_4arch9wavefront6targetE1EEEvS12_: ; @_ZN7rocprim17ROCPRIM_400000_NS6detail17trampoline_kernelINS0_13select_configILj256ELj13ELNS0_17block_load_methodE3ELS4_3ELS4_3ELNS0_20block_scan_algorithmE0ELj4294967295EEENS1_25partition_config_selectorILNS1_17partition_subalgoE4EjNS0_10empty_typeEbEEZZNS1_14partition_implILS8_4ELb0ES6_15HIP_vector_typeIjLj2EENS0_17counting_iteratorIjlEEPS9_SG_NS0_5tupleIJPjSI_NS0_16reverse_iteratorISI_EEEEENSH_IJSG_SG_SG_EEES9_SI_JZNS1_25segmented_radix_sort_implINS0_14default_configELb0EPKiPiPKlPlN2at6native12_GLOBAL__N_18offset_tEEE10hipError_tPvRmT1_PNSt15iterator_traitsIS12_E10value_typeET2_T3_PNS13_IS18_E10value_typeET4_jRbjT5_S1E_jjP12ihipStream_tbEUljE_ZNSN_ISO_Lb0ESQ_SR_ST_SU_SY_EESZ_S10_S11_S12_S16_S17_S18_S1B_S1C_jS1D_jS1E_S1E_jjS1G_bEUljE0_EEESZ_S10_S11_S18_S1C_S1E_T6_T7_T9_mT8_S1G_bDpT10_ENKUlT_T0_E_clISt17integral_constantIbLb1EES1T_IbLb0EEEEDaS1P_S1Q_EUlS1P_E_NS1_11comp_targetILNS1_3genE2ELNS1_11target_archE906ELNS1_3gpuE6ELNS1_3repE0EEENS1_30default_config_static_selectorELNS0_4arch9wavefront6targetE1EEEvS12_
; %bb.0:
	s_endpgm
	.section	.rodata,"a",@progbits
	.p2align	6, 0x0
	.amdhsa_kernel _ZN7rocprim17ROCPRIM_400000_NS6detail17trampoline_kernelINS0_13select_configILj256ELj13ELNS0_17block_load_methodE3ELS4_3ELS4_3ELNS0_20block_scan_algorithmE0ELj4294967295EEENS1_25partition_config_selectorILNS1_17partition_subalgoE4EjNS0_10empty_typeEbEEZZNS1_14partition_implILS8_4ELb0ES6_15HIP_vector_typeIjLj2EENS0_17counting_iteratorIjlEEPS9_SG_NS0_5tupleIJPjSI_NS0_16reverse_iteratorISI_EEEEENSH_IJSG_SG_SG_EEES9_SI_JZNS1_25segmented_radix_sort_implINS0_14default_configELb0EPKiPiPKlPlN2at6native12_GLOBAL__N_18offset_tEEE10hipError_tPvRmT1_PNSt15iterator_traitsIS12_E10value_typeET2_T3_PNS13_IS18_E10value_typeET4_jRbjT5_S1E_jjP12ihipStream_tbEUljE_ZNSN_ISO_Lb0ESQ_SR_ST_SU_SY_EESZ_S10_S11_S12_S16_S17_S18_S1B_S1C_jS1D_jS1E_S1E_jjS1G_bEUljE0_EEESZ_S10_S11_S18_S1C_S1E_T6_T7_T9_mT8_S1G_bDpT10_ENKUlT_T0_E_clISt17integral_constantIbLb1EES1T_IbLb0EEEEDaS1P_S1Q_EUlS1P_E_NS1_11comp_targetILNS1_3genE2ELNS1_11target_archE906ELNS1_3gpuE6ELNS1_3repE0EEENS1_30default_config_static_selectorELNS0_4arch9wavefront6targetE1EEEvS12_
		.amdhsa_group_segment_fixed_size 0
		.amdhsa_private_segment_fixed_size 0
		.amdhsa_kernarg_size 176
		.amdhsa_user_sgpr_count 6
		.amdhsa_user_sgpr_private_segment_buffer 1
		.amdhsa_user_sgpr_dispatch_ptr 0
		.amdhsa_user_sgpr_queue_ptr 0
		.amdhsa_user_sgpr_kernarg_segment_ptr 1
		.amdhsa_user_sgpr_dispatch_id 0
		.amdhsa_user_sgpr_flat_scratch_init 0
		.amdhsa_user_sgpr_private_segment_size 0
		.amdhsa_uses_dynamic_stack 0
		.amdhsa_system_sgpr_private_segment_wavefront_offset 0
		.amdhsa_system_sgpr_workgroup_id_x 1
		.amdhsa_system_sgpr_workgroup_id_y 0
		.amdhsa_system_sgpr_workgroup_id_z 0
		.amdhsa_system_sgpr_workgroup_info 0
		.amdhsa_system_vgpr_workitem_id 0
		.amdhsa_next_free_vgpr 1
		.amdhsa_next_free_sgpr 0
		.amdhsa_reserve_vcc 0
		.amdhsa_reserve_flat_scratch 0
		.amdhsa_float_round_mode_32 0
		.amdhsa_float_round_mode_16_64 0
		.amdhsa_float_denorm_mode_32 3
		.amdhsa_float_denorm_mode_16_64 3
		.amdhsa_dx10_clamp 1
		.amdhsa_ieee_mode 1
		.amdhsa_fp16_overflow 0
		.amdhsa_exception_fp_ieee_invalid_op 0
		.amdhsa_exception_fp_denorm_src 0
		.amdhsa_exception_fp_ieee_div_zero 0
		.amdhsa_exception_fp_ieee_overflow 0
		.amdhsa_exception_fp_ieee_underflow 0
		.amdhsa_exception_fp_ieee_inexact 0
		.amdhsa_exception_int_div_zero 0
	.end_amdhsa_kernel
	.section	.text._ZN7rocprim17ROCPRIM_400000_NS6detail17trampoline_kernelINS0_13select_configILj256ELj13ELNS0_17block_load_methodE3ELS4_3ELS4_3ELNS0_20block_scan_algorithmE0ELj4294967295EEENS1_25partition_config_selectorILNS1_17partition_subalgoE4EjNS0_10empty_typeEbEEZZNS1_14partition_implILS8_4ELb0ES6_15HIP_vector_typeIjLj2EENS0_17counting_iteratorIjlEEPS9_SG_NS0_5tupleIJPjSI_NS0_16reverse_iteratorISI_EEEEENSH_IJSG_SG_SG_EEES9_SI_JZNS1_25segmented_radix_sort_implINS0_14default_configELb0EPKiPiPKlPlN2at6native12_GLOBAL__N_18offset_tEEE10hipError_tPvRmT1_PNSt15iterator_traitsIS12_E10value_typeET2_T3_PNS13_IS18_E10value_typeET4_jRbjT5_S1E_jjP12ihipStream_tbEUljE_ZNSN_ISO_Lb0ESQ_SR_ST_SU_SY_EESZ_S10_S11_S12_S16_S17_S18_S1B_S1C_jS1D_jS1E_S1E_jjS1G_bEUljE0_EEESZ_S10_S11_S18_S1C_S1E_T6_T7_T9_mT8_S1G_bDpT10_ENKUlT_T0_E_clISt17integral_constantIbLb1EES1T_IbLb0EEEEDaS1P_S1Q_EUlS1P_E_NS1_11comp_targetILNS1_3genE2ELNS1_11target_archE906ELNS1_3gpuE6ELNS1_3repE0EEENS1_30default_config_static_selectorELNS0_4arch9wavefront6targetE1EEEvS12_,"axG",@progbits,_ZN7rocprim17ROCPRIM_400000_NS6detail17trampoline_kernelINS0_13select_configILj256ELj13ELNS0_17block_load_methodE3ELS4_3ELS4_3ELNS0_20block_scan_algorithmE0ELj4294967295EEENS1_25partition_config_selectorILNS1_17partition_subalgoE4EjNS0_10empty_typeEbEEZZNS1_14partition_implILS8_4ELb0ES6_15HIP_vector_typeIjLj2EENS0_17counting_iteratorIjlEEPS9_SG_NS0_5tupleIJPjSI_NS0_16reverse_iteratorISI_EEEEENSH_IJSG_SG_SG_EEES9_SI_JZNS1_25segmented_radix_sort_implINS0_14default_configELb0EPKiPiPKlPlN2at6native12_GLOBAL__N_18offset_tEEE10hipError_tPvRmT1_PNSt15iterator_traitsIS12_E10value_typeET2_T3_PNS13_IS18_E10value_typeET4_jRbjT5_S1E_jjP12ihipStream_tbEUljE_ZNSN_ISO_Lb0ESQ_SR_ST_SU_SY_EESZ_S10_S11_S12_S16_S17_S18_S1B_S1C_jS1D_jS1E_S1E_jjS1G_bEUljE0_EEESZ_S10_S11_S18_S1C_S1E_T6_T7_T9_mT8_S1G_bDpT10_ENKUlT_T0_E_clISt17integral_constantIbLb1EES1T_IbLb0EEEEDaS1P_S1Q_EUlS1P_E_NS1_11comp_targetILNS1_3genE2ELNS1_11target_archE906ELNS1_3gpuE6ELNS1_3repE0EEENS1_30default_config_static_selectorELNS0_4arch9wavefront6targetE1EEEvS12_,comdat
.Lfunc_end556:
	.size	_ZN7rocprim17ROCPRIM_400000_NS6detail17trampoline_kernelINS0_13select_configILj256ELj13ELNS0_17block_load_methodE3ELS4_3ELS4_3ELNS0_20block_scan_algorithmE0ELj4294967295EEENS1_25partition_config_selectorILNS1_17partition_subalgoE4EjNS0_10empty_typeEbEEZZNS1_14partition_implILS8_4ELb0ES6_15HIP_vector_typeIjLj2EENS0_17counting_iteratorIjlEEPS9_SG_NS0_5tupleIJPjSI_NS0_16reverse_iteratorISI_EEEEENSH_IJSG_SG_SG_EEES9_SI_JZNS1_25segmented_radix_sort_implINS0_14default_configELb0EPKiPiPKlPlN2at6native12_GLOBAL__N_18offset_tEEE10hipError_tPvRmT1_PNSt15iterator_traitsIS12_E10value_typeET2_T3_PNS13_IS18_E10value_typeET4_jRbjT5_S1E_jjP12ihipStream_tbEUljE_ZNSN_ISO_Lb0ESQ_SR_ST_SU_SY_EESZ_S10_S11_S12_S16_S17_S18_S1B_S1C_jS1D_jS1E_S1E_jjS1G_bEUljE0_EEESZ_S10_S11_S18_S1C_S1E_T6_T7_T9_mT8_S1G_bDpT10_ENKUlT_T0_E_clISt17integral_constantIbLb1EES1T_IbLb0EEEEDaS1P_S1Q_EUlS1P_E_NS1_11comp_targetILNS1_3genE2ELNS1_11target_archE906ELNS1_3gpuE6ELNS1_3repE0EEENS1_30default_config_static_selectorELNS0_4arch9wavefront6targetE1EEEvS12_, .Lfunc_end556-_ZN7rocprim17ROCPRIM_400000_NS6detail17trampoline_kernelINS0_13select_configILj256ELj13ELNS0_17block_load_methodE3ELS4_3ELS4_3ELNS0_20block_scan_algorithmE0ELj4294967295EEENS1_25partition_config_selectorILNS1_17partition_subalgoE4EjNS0_10empty_typeEbEEZZNS1_14partition_implILS8_4ELb0ES6_15HIP_vector_typeIjLj2EENS0_17counting_iteratorIjlEEPS9_SG_NS0_5tupleIJPjSI_NS0_16reverse_iteratorISI_EEEEENSH_IJSG_SG_SG_EEES9_SI_JZNS1_25segmented_radix_sort_implINS0_14default_configELb0EPKiPiPKlPlN2at6native12_GLOBAL__N_18offset_tEEE10hipError_tPvRmT1_PNSt15iterator_traitsIS12_E10value_typeET2_T3_PNS13_IS18_E10value_typeET4_jRbjT5_S1E_jjP12ihipStream_tbEUljE_ZNSN_ISO_Lb0ESQ_SR_ST_SU_SY_EESZ_S10_S11_S12_S16_S17_S18_S1B_S1C_jS1D_jS1E_S1E_jjS1G_bEUljE0_EEESZ_S10_S11_S18_S1C_S1E_T6_T7_T9_mT8_S1G_bDpT10_ENKUlT_T0_E_clISt17integral_constantIbLb1EES1T_IbLb0EEEEDaS1P_S1Q_EUlS1P_E_NS1_11comp_targetILNS1_3genE2ELNS1_11target_archE906ELNS1_3gpuE6ELNS1_3repE0EEENS1_30default_config_static_selectorELNS0_4arch9wavefront6targetE1EEEvS12_
                                        ; -- End function
	.set _ZN7rocprim17ROCPRIM_400000_NS6detail17trampoline_kernelINS0_13select_configILj256ELj13ELNS0_17block_load_methodE3ELS4_3ELS4_3ELNS0_20block_scan_algorithmE0ELj4294967295EEENS1_25partition_config_selectorILNS1_17partition_subalgoE4EjNS0_10empty_typeEbEEZZNS1_14partition_implILS8_4ELb0ES6_15HIP_vector_typeIjLj2EENS0_17counting_iteratorIjlEEPS9_SG_NS0_5tupleIJPjSI_NS0_16reverse_iteratorISI_EEEEENSH_IJSG_SG_SG_EEES9_SI_JZNS1_25segmented_radix_sort_implINS0_14default_configELb0EPKiPiPKlPlN2at6native12_GLOBAL__N_18offset_tEEE10hipError_tPvRmT1_PNSt15iterator_traitsIS12_E10value_typeET2_T3_PNS13_IS18_E10value_typeET4_jRbjT5_S1E_jjP12ihipStream_tbEUljE_ZNSN_ISO_Lb0ESQ_SR_ST_SU_SY_EESZ_S10_S11_S12_S16_S17_S18_S1B_S1C_jS1D_jS1E_S1E_jjS1G_bEUljE0_EEESZ_S10_S11_S18_S1C_S1E_T6_T7_T9_mT8_S1G_bDpT10_ENKUlT_T0_E_clISt17integral_constantIbLb1EES1T_IbLb0EEEEDaS1P_S1Q_EUlS1P_E_NS1_11comp_targetILNS1_3genE2ELNS1_11target_archE906ELNS1_3gpuE6ELNS1_3repE0EEENS1_30default_config_static_selectorELNS0_4arch9wavefront6targetE1EEEvS12_.num_vgpr, 0
	.set _ZN7rocprim17ROCPRIM_400000_NS6detail17trampoline_kernelINS0_13select_configILj256ELj13ELNS0_17block_load_methodE3ELS4_3ELS4_3ELNS0_20block_scan_algorithmE0ELj4294967295EEENS1_25partition_config_selectorILNS1_17partition_subalgoE4EjNS0_10empty_typeEbEEZZNS1_14partition_implILS8_4ELb0ES6_15HIP_vector_typeIjLj2EENS0_17counting_iteratorIjlEEPS9_SG_NS0_5tupleIJPjSI_NS0_16reverse_iteratorISI_EEEEENSH_IJSG_SG_SG_EEES9_SI_JZNS1_25segmented_radix_sort_implINS0_14default_configELb0EPKiPiPKlPlN2at6native12_GLOBAL__N_18offset_tEEE10hipError_tPvRmT1_PNSt15iterator_traitsIS12_E10value_typeET2_T3_PNS13_IS18_E10value_typeET4_jRbjT5_S1E_jjP12ihipStream_tbEUljE_ZNSN_ISO_Lb0ESQ_SR_ST_SU_SY_EESZ_S10_S11_S12_S16_S17_S18_S1B_S1C_jS1D_jS1E_S1E_jjS1G_bEUljE0_EEESZ_S10_S11_S18_S1C_S1E_T6_T7_T9_mT8_S1G_bDpT10_ENKUlT_T0_E_clISt17integral_constantIbLb1EES1T_IbLb0EEEEDaS1P_S1Q_EUlS1P_E_NS1_11comp_targetILNS1_3genE2ELNS1_11target_archE906ELNS1_3gpuE6ELNS1_3repE0EEENS1_30default_config_static_selectorELNS0_4arch9wavefront6targetE1EEEvS12_.num_agpr, 0
	.set _ZN7rocprim17ROCPRIM_400000_NS6detail17trampoline_kernelINS0_13select_configILj256ELj13ELNS0_17block_load_methodE3ELS4_3ELS4_3ELNS0_20block_scan_algorithmE0ELj4294967295EEENS1_25partition_config_selectorILNS1_17partition_subalgoE4EjNS0_10empty_typeEbEEZZNS1_14partition_implILS8_4ELb0ES6_15HIP_vector_typeIjLj2EENS0_17counting_iteratorIjlEEPS9_SG_NS0_5tupleIJPjSI_NS0_16reverse_iteratorISI_EEEEENSH_IJSG_SG_SG_EEES9_SI_JZNS1_25segmented_radix_sort_implINS0_14default_configELb0EPKiPiPKlPlN2at6native12_GLOBAL__N_18offset_tEEE10hipError_tPvRmT1_PNSt15iterator_traitsIS12_E10value_typeET2_T3_PNS13_IS18_E10value_typeET4_jRbjT5_S1E_jjP12ihipStream_tbEUljE_ZNSN_ISO_Lb0ESQ_SR_ST_SU_SY_EESZ_S10_S11_S12_S16_S17_S18_S1B_S1C_jS1D_jS1E_S1E_jjS1G_bEUljE0_EEESZ_S10_S11_S18_S1C_S1E_T6_T7_T9_mT8_S1G_bDpT10_ENKUlT_T0_E_clISt17integral_constantIbLb1EES1T_IbLb0EEEEDaS1P_S1Q_EUlS1P_E_NS1_11comp_targetILNS1_3genE2ELNS1_11target_archE906ELNS1_3gpuE6ELNS1_3repE0EEENS1_30default_config_static_selectorELNS0_4arch9wavefront6targetE1EEEvS12_.numbered_sgpr, 0
	.set _ZN7rocprim17ROCPRIM_400000_NS6detail17trampoline_kernelINS0_13select_configILj256ELj13ELNS0_17block_load_methodE3ELS4_3ELS4_3ELNS0_20block_scan_algorithmE0ELj4294967295EEENS1_25partition_config_selectorILNS1_17partition_subalgoE4EjNS0_10empty_typeEbEEZZNS1_14partition_implILS8_4ELb0ES6_15HIP_vector_typeIjLj2EENS0_17counting_iteratorIjlEEPS9_SG_NS0_5tupleIJPjSI_NS0_16reverse_iteratorISI_EEEEENSH_IJSG_SG_SG_EEES9_SI_JZNS1_25segmented_radix_sort_implINS0_14default_configELb0EPKiPiPKlPlN2at6native12_GLOBAL__N_18offset_tEEE10hipError_tPvRmT1_PNSt15iterator_traitsIS12_E10value_typeET2_T3_PNS13_IS18_E10value_typeET4_jRbjT5_S1E_jjP12ihipStream_tbEUljE_ZNSN_ISO_Lb0ESQ_SR_ST_SU_SY_EESZ_S10_S11_S12_S16_S17_S18_S1B_S1C_jS1D_jS1E_S1E_jjS1G_bEUljE0_EEESZ_S10_S11_S18_S1C_S1E_T6_T7_T9_mT8_S1G_bDpT10_ENKUlT_T0_E_clISt17integral_constantIbLb1EES1T_IbLb0EEEEDaS1P_S1Q_EUlS1P_E_NS1_11comp_targetILNS1_3genE2ELNS1_11target_archE906ELNS1_3gpuE6ELNS1_3repE0EEENS1_30default_config_static_selectorELNS0_4arch9wavefront6targetE1EEEvS12_.num_named_barrier, 0
	.set _ZN7rocprim17ROCPRIM_400000_NS6detail17trampoline_kernelINS0_13select_configILj256ELj13ELNS0_17block_load_methodE3ELS4_3ELS4_3ELNS0_20block_scan_algorithmE0ELj4294967295EEENS1_25partition_config_selectorILNS1_17partition_subalgoE4EjNS0_10empty_typeEbEEZZNS1_14partition_implILS8_4ELb0ES6_15HIP_vector_typeIjLj2EENS0_17counting_iteratorIjlEEPS9_SG_NS0_5tupleIJPjSI_NS0_16reverse_iteratorISI_EEEEENSH_IJSG_SG_SG_EEES9_SI_JZNS1_25segmented_radix_sort_implINS0_14default_configELb0EPKiPiPKlPlN2at6native12_GLOBAL__N_18offset_tEEE10hipError_tPvRmT1_PNSt15iterator_traitsIS12_E10value_typeET2_T3_PNS13_IS18_E10value_typeET4_jRbjT5_S1E_jjP12ihipStream_tbEUljE_ZNSN_ISO_Lb0ESQ_SR_ST_SU_SY_EESZ_S10_S11_S12_S16_S17_S18_S1B_S1C_jS1D_jS1E_S1E_jjS1G_bEUljE0_EEESZ_S10_S11_S18_S1C_S1E_T6_T7_T9_mT8_S1G_bDpT10_ENKUlT_T0_E_clISt17integral_constantIbLb1EES1T_IbLb0EEEEDaS1P_S1Q_EUlS1P_E_NS1_11comp_targetILNS1_3genE2ELNS1_11target_archE906ELNS1_3gpuE6ELNS1_3repE0EEENS1_30default_config_static_selectorELNS0_4arch9wavefront6targetE1EEEvS12_.private_seg_size, 0
	.set _ZN7rocprim17ROCPRIM_400000_NS6detail17trampoline_kernelINS0_13select_configILj256ELj13ELNS0_17block_load_methodE3ELS4_3ELS4_3ELNS0_20block_scan_algorithmE0ELj4294967295EEENS1_25partition_config_selectorILNS1_17partition_subalgoE4EjNS0_10empty_typeEbEEZZNS1_14partition_implILS8_4ELb0ES6_15HIP_vector_typeIjLj2EENS0_17counting_iteratorIjlEEPS9_SG_NS0_5tupleIJPjSI_NS0_16reverse_iteratorISI_EEEEENSH_IJSG_SG_SG_EEES9_SI_JZNS1_25segmented_radix_sort_implINS0_14default_configELb0EPKiPiPKlPlN2at6native12_GLOBAL__N_18offset_tEEE10hipError_tPvRmT1_PNSt15iterator_traitsIS12_E10value_typeET2_T3_PNS13_IS18_E10value_typeET4_jRbjT5_S1E_jjP12ihipStream_tbEUljE_ZNSN_ISO_Lb0ESQ_SR_ST_SU_SY_EESZ_S10_S11_S12_S16_S17_S18_S1B_S1C_jS1D_jS1E_S1E_jjS1G_bEUljE0_EEESZ_S10_S11_S18_S1C_S1E_T6_T7_T9_mT8_S1G_bDpT10_ENKUlT_T0_E_clISt17integral_constantIbLb1EES1T_IbLb0EEEEDaS1P_S1Q_EUlS1P_E_NS1_11comp_targetILNS1_3genE2ELNS1_11target_archE906ELNS1_3gpuE6ELNS1_3repE0EEENS1_30default_config_static_selectorELNS0_4arch9wavefront6targetE1EEEvS12_.uses_vcc, 0
	.set _ZN7rocprim17ROCPRIM_400000_NS6detail17trampoline_kernelINS0_13select_configILj256ELj13ELNS0_17block_load_methodE3ELS4_3ELS4_3ELNS0_20block_scan_algorithmE0ELj4294967295EEENS1_25partition_config_selectorILNS1_17partition_subalgoE4EjNS0_10empty_typeEbEEZZNS1_14partition_implILS8_4ELb0ES6_15HIP_vector_typeIjLj2EENS0_17counting_iteratorIjlEEPS9_SG_NS0_5tupleIJPjSI_NS0_16reverse_iteratorISI_EEEEENSH_IJSG_SG_SG_EEES9_SI_JZNS1_25segmented_radix_sort_implINS0_14default_configELb0EPKiPiPKlPlN2at6native12_GLOBAL__N_18offset_tEEE10hipError_tPvRmT1_PNSt15iterator_traitsIS12_E10value_typeET2_T3_PNS13_IS18_E10value_typeET4_jRbjT5_S1E_jjP12ihipStream_tbEUljE_ZNSN_ISO_Lb0ESQ_SR_ST_SU_SY_EESZ_S10_S11_S12_S16_S17_S18_S1B_S1C_jS1D_jS1E_S1E_jjS1G_bEUljE0_EEESZ_S10_S11_S18_S1C_S1E_T6_T7_T9_mT8_S1G_bDpT10_ENKUlT_T0_E_clISt17integral_constantIbLb1EES1T_IbLb0EEEEDaS1P_S1Q_EUlS1P_E_NS1_11comp_targetILNS1_3genE2ELNS1_11target_archE906ELNS1_3gpuE6ELNS1_3repE0EEENS1_30default_config_static_selectorELNS0_4arch9wavefront6targetE1EEEvS12_.uses_flat_scratch, 0
	.set _ZN7rocprim17ROCPRIM_400000_NS6detail17trampoline_kernelINS0_13select_configILj256ELj13ELNS0_17block_load_methodE3ELS4_3ELS4_3ELNS0_20block_scan_algorithmE0ELj4294967295EEENS1_25partition_config_selectorILNS1_17partition_subalgoE4EjNS0_10empty_typeEbEEZZNS1_14partition_implILS8_4ELb0ES6_15HIP_vector_typeIjLj2EENS0_17counting_iteratorIjlEEPS9_SG_NS0_5tupleIJPjSI_NS0_16reverse_iteratorISI_EEEEENSH_IJSG_SG_SG_EEES9_SI_JZNS1_25segmented_radix_sort_implINS0_14default_configELb0EPKiPiPKlPlN2at6native12_GLOBAL__N_18offset_tEEE10hipError_tPvRmT1_PNSt15iterator_traitsIS12_E10value_typeET2_T3_PNS13_IS18_E10value_typeET4_jRbjT5_S1E_jjP12ihipStream_tbEUljE_ZNSN_ISO_Lb0ESQ_SR_ST_SU_SY_EESZ_S10_S11_S12_S16_S17_S18_S1B_S1C_jS1D_jS1E_S1E_jjS1G_bEUljE0_EEESZ_S10_S11_S18_S1C_S1E_T6_T7_T9_mT8_S1G_bDpT10_ENKUlT_T0_E_clISt17integral_constantIbLb1EES1T_IbLb0EEEEDaS1P_S1Q_EUlS1P_E_NS1_11comp_targetILNS1_3genE2ELNS1_11target_archE906ELNS1_3gpuE6ELNS1_3repE0EEENS1_30default_config_static_selectorELNS0_4arch9wavefront6targetE1EEEvS12_.has_dyn_sized_stack, 0
	.set _ZN7rocprim17ROCPRIM_400000_NS6detail17trampoline_kernelINS0_13select_configILj256ELj13ELNS0_17block_load_methodE3ELS4_3ELS4_3ELNS0_20block_scan_algorithmE0ELj4294967295EEENS1_25partition_config_selectorILNS1_17partition_subalgoE4EjNS0_10empty_typeEbEEZZNS1_14partition_implILS8_4ELb0ES6_15HIP_vector_typeIjLj2EENS0_17counting_iteratorIjlEEPS9_SG_NS0_5tupleIJPjSI_NS0_16reverse_iteratorISI_EEEEENSH_IJSG_SG_SG_EEES9_SI_JZNS1_25segmented_radix_sort_implINS0_14default_configELb0EPKiPiPKlPlN2at6native12_GLOBAL__N_18offset_tEEE10hipError_tPvRmT1_PNSt15iterator_traitsIS12_E10value_typeET2_T3_PNS13_IS18_E10value_typeET4_jRbjT5_S1E_jjP12ihipStream_tbEUljE_ZNSN_ISO_Lb0ESQ_SR_ST_SU_SY_EESZ_S10_S11_S12_S16_S17_S18_S1B_S1C_jS1D_jS1E_S1E_jjS1G_bEUljE0_EEESZ_S10_S11_S18_S1C_S1E_T6_T7_T9_mT8_S1G_bDpT10_ENKUlT_T0_E_clISt17integral_constantIbLb1EES1T_IbLb0EEEEDaS1P_S1Q_EUlS1P_E_NS1_11comp_targetILNS1_3genE2ELNS1_11target_archE906ELNS1_3gpuE6ELNS1_3repE0EEENS1_30default_config_static_selectorELNS0_4arch9wavefront6targetE1EEEvS12_.has_recursion, 0
	.set _ZN7rocprim17ROCPRIM_400000_NS6detail17trampoline_kernelINS0_13select_configILj256ELj13ELNS0_17block_load_methodE3ELS4_3ELS4_3ELNS0_20block_scan_algorithmE0ELj4294967295EEENS1_25partition_config_selectorILNS1_17partition_subalgoE4EjNS0_10empty_typeEbEEZZNS1_14partition_implILS8_4ELb0ES6_15HIP_vector_typeIjLj2EENS0_17counting_iteratorIjlEEPS9_SG_NS0_5tupleIJPjSI_NS0_16reverse_iteratorISI_EEEEENSH_IJSG_SG_SG_EEES9_SI_JZNS1_25segmented_radix_sort_implINS0_14default_configELb0EPKiPiPKlPlN2at6native12_GLOBAL__N_18offset_tEEE10hipError_tPvRmT1_PNSt15iterator_traitsIS12_E10value_typeET2_T3_PNS13_IS18_E10value_typeET4_jRbjT5_S1E_jjP12ihipStream_tbEUljE_ZNSN_ISO_Lb0ESQ_SR_ST_SU_SY_EESZ_S10_S11_S12_S16_S17_S18_S1B_S1C_jS1D_jS1E_S1E_jjS1G_bEUljE0_EEESZ_S10_S11_S18_S1C_S1E_T6_T7_T9_mT8_S1G_bDpT10_ENKUlT_T0_E_clISt17integral_constantIbLb1EES1T_IbLb0EEEEDaS1P_S1Q_EUlS1P_E_NS1_11comp_targetILNS1_3genE2ELNS1_11target_archE906ELNS1_3gpuE6ELNS1_3repE0EEENS1_30default_config_static_selectorELNS0_4arch9wavefront6targetE1EEEvS12_.has_indirect_call, 0
	.section	.AMDGPU.csdata,"",@progbits
; Kernel info:
; codeLenInByte = 4
; TotalNumSgprs: 4
; NumVgprs: 0
; ScratchSize: 0
; MemoryBound: 0
; FloatMode: 240
; IeeeMode: 1
; LDSByteSize: 0 bytes/workgroup (compile time only)
; SGPRBlocks: 0
; VGPRBlocks: 0
; NumSGPRsForWavesPerEU: 4
; NumVGPRsForWavesPerEU: 1
; Occupancy: 10
; WaveLimiterHint : 0
; COMPUTE_PGM_RSRC2:SCRATCH_EN: 0
; COMPUTE_PGM_RSRC2:USER_SGPR: 6
; COMPUTE_PGM_RSRC2:TRAP_HANDLER: 0
; COMPUTE_PGM_RSRC2:TGID_X_EN: 1
; COMPUTE_PGM_RSRC2:TGID_Y_EN: 0
; COMPUTE_PGM_RSRC2:TGID_Z_EN: 0
; COMPUTE_PGM_RSRC2:TIDIG_COMP_CNT: 0
	.section	.text._ZN7rocprim17ROCPRIM_400000_NS6detail17trampoline_kernelINS0_13select_configILj256ELj13ELNS0_17block_load_methodE3ELS4_3ELS4_3ELNS0_20block_scan_algorithmE0ELj4294967295EEENS1_25partition_config_selectorILNS1_17partition_subalgoE4EjNS0_10empty_typeEbEEZZNS1_14partition_implILS8_4ELb0ES6_15HIP_vector_typeIjLj2EENS0_17counting_iteratorIjlEEPS9_SG_NS0_5tupleIJPjSI_NS0_16reverse_iteratorISI_EEEEENSH_IJSG_SG_SG_EEES9_SI_JZNS1_25segmented_radix_sort_implINS0_14default_configELb0EPKiPiPKlPlN2at6native12_GLOBAL__N_18offset_tEEE10hipError_tPvRmT1_PNSt15iterator_traitsIS12_E10value_typeET2_T3_PNS13_IS18_E10value_typeET4_jRbjT5_S1E_jjP12ihipStream_tbEUljE_ZNSN_ISO_Lb0ESQ_SR_ST_SU_SY_EESZ_S10_S11_S12_S16_S17_S18_S1B_S1C_jS1D_jS1E_S1E_jjS1G_bEUljE0_EEESZ_S10_S11_S18_S1C_S1E_T6_T7_T9_mT8_S1G_bDpT10_ENKUlT_T0_E_clISt17integral_constantIbLb1EES1T_IbLb0EEEEDaS1P_S1Q_EUlS1P_E_NS1_11comp_targetILNS1_3genE10ELNS1_11target_archE1200ELNS1_3gpuE4ELNS1_3repE0EEENS1_30default_config_static_selectorELNS0_4arch9wavefront6targetE1EEEvS12_,"axG",@progbits,_ZN7rocprim17ROCPRIM_400000_NS6detail17trampoline_kernelINS0_13select_configILj256ELj13ELNS0_17block_load_methodE3ELS4_3ELS4_3ELNS0_20block_scan_algorithmE0ELj4294967295EEENS1_25partition_config_selectorILNS1_17partition_subalgoE4EjNS0_10empty_typeEbEEZZNS1_14partition_implILS8_4ELb0ES6_15HIP_vector_typeIjLj2EENS0_17counting_iteratorIjlEEPS9_SG_NS0_5tupleIJPjSI_NS0_16reverse_iteratorISI_EEEEENSH_IJSG_SG_SG_EEES9_SI_JZNS1_25segmented_radix_sort_implINS0_14default_configELb0EPKiPiPKlPlN2at6native12_GLOBAL__N_18offset_tEEE10hipError_tPvRmT1_PNSt15iterator_traitsIS12_E10value_typeET2_T3_PNS13_IS18_E10value_typeET4_jRbjT5_S1E_jjP12ihipStream_tbEUljE_ZNSN_ISO_Lb0ESQ_SR_ST_SU_SY_EESZ_S10_S11_S12_S16_S17_S18_S1B_S1C_jS1D_jS1E_S1E_jjS1G_bEUljE0_EEESZ_S10_S11_S18_S1C_S1E_T6_T7_T9_mT8_S1G_bDpT10_ENKUlT_T0_E_clISt17integral_constantIbLb1EES1T_IbLb0EEEEDaS1P_S1Q_EUlS1P_E_NS1_11comp_targetILNS1_3genE10ELNS1_11target_archE1200ELNS1_3gpuE4ELNS1_3repE0EEENS1_30default_config_static_selectorELNS0_4arch9wavefront6targetE1EEEvS12_,comdat
	.globl	_ZN7rocprim17ROCPRIM_400000_NS6detail17trampoline_kernelINS0_13select_configILj256ELj13ELNS0_17block_load_methodE3ELS4_3ELS4_3ELNS0_20block_scan_algorithmE0ELj4294967295EEENS1_25partition_config_selectorILNS1_17partition_subalgoE4EjNS0_10empty_typeEbEEZZNS1_14partition_implILS8_4ELb0ES6_15HIP_vector_typeIjLj2EENS0_17counting_iteratorIjlEEPS9_SG_NS0_5tupleIJPjSI_NS0_16reverse_iteratorISI_EEEEENSH_IJSG_SG_SG_EEES9_SI_JZNS1_25segmented_radix_sort_implINS0_14default_configELb0EPKiPiPKlPlN2at6native12_GLOBAL__N_18offset_tEEE10hipError_tPvRmT1_PNSt15iterator_traitsIS12_E10value_typeET2_T3_PNS13_IS18_E10value_typeET4_jRbjT5_S1E_jjP12ihipStream_tbEUljE_ZNSN_ISO_Lb0ESQ_SR_ST_SU_SY_EESZ_S10_S11_S12_S16_S17_S18_S1B_S1C_jS1D_jS1E_S1E_jjS1G_bEUljE0_EEESZ_S10_S11_S18_S1C_S1E_T6_T7_T9_mT8_S1G_bDpT10_ENKUlT_T0_E_clISt17integral_constantIbLb1EES1T_IbLb0EEEEDaS1P_S1Q_EUlS1P_E_NS1_11comp_targetILNS1_3genE10ELNS1_11target_archE1200ELNS1_3gpuE4ELNS1_3repE0EEENS1_30default_config_static_selectorELNS0_4arch9wavefront6targetE1EEEvS12_ ; -- Begin function _ZN7rocprim17ROCPRIM_400000_NS6detail17trampoline_kernelINS0_13select_configILj256ELj13ELNS0_17block_load_methodE3ELS4_3ELS4_3ELNS0_20block_scan_algorithmE0ELj4294967295EEENS1_25partition_config_selectorILNS1_17partition_subalgoE4EjNS0_10empty_typeEbEEZZNS1_14partition_implILS8_4ELb0ES6_15HIP_vector_typeIjLj2EENS0_17counting_iteratorIjlEEPS9_SG_NS0_5tupleIJPjSI_NS0_16reverse_iteratorISI_EEEEENSH_IJSG_SG_SG_EEES9_SI_JZNS1_25segmented_radix_sort_implINS0_14default_configELb0EPKiPiPKlPlN2at6native12_GLOBAL__N_18offset_tEEE10hipError_tPvRmT1_PNSt15iterator_traitsIS12_E10value_typeET2_T3_PNS13_IS18_E10value_typeET4_jRbjT5_S1E_jjP12ihipStream_tbEUljE_ZNSN_ISO_Lb0ESQ_SR_ST_SU_SY_EESZ_S10_S11_S12_S16_S17_S18_S1B_S1C_jS1D_jS1E_S1E_jjS1G_bEUljE0_EEESZ_S10_S11_S18_S1C_S1E_T6_T7_T9_mT8_S1G_bDpT10_ENKUlT_T0_E_clISt17integral_constantIbLb1EES1T_IbLb0EEEEDaS1P_S1Q_EUlS1P_E_NS1_11comp_targetILNS1_3genE10ELNS1_11target_archE1200ELNS1_3gpuE4ELNS1_3repE0EEENS1_30default_config_static_selectorELNS0_4arch9wavefront6targetE1EEEvS12_
	.p2align	8
	.type	_ZN7rocprim17ROCPRIM_400000_NS6detail17trampoline_kernelINS0_13select_configILj256ELj13ELNS0_17block_load_methodE3ELS4_3ELS4_3ELNS0_20block_scan_algorithmE0ELj4294967295EEENS1_25partition_config_selectorILNS1_17partition_subalgoE4EjNS0_10empty_typeEbEEZZNS1_14partition_implILS8_4ELb0ES6_15HIP_vector_typeIjLj2EENS0_17counting_iteratorIjlEEPS9_SG_NS0_5tupleIJPjSI_NS0_16reverse_iteratorISI_EEEEENSH_IJSG_SG_SG_EEES9_SI_JZNS1_25segmented_radix_sort_implINS0_14default_configELb0EPKiPiPKlPlN2at6native12_GLOBAL__N_18offset_tEEE10hipError_tPvRmT1_PNSt15iterator_traitsIS12_E10value_typeET2_T3_PNS13_IS18_E10value_typeET4_jRbjT5_S1E_jjP12ihipStream_tbEUljE_ZNSN_ISO_Lb0ESQ_SR_ST_SU_SY_EESZ_S10_S11_S12_S16_S17_S18_S1B_S1C_jS1D_jS1E_S1E_jjS1G_bEUljE0_EEESZ_S10_S11_S18_S1C_S1E_T6_T7_T9_mT8_S1G_bDpT10_ENKUlT_T0_E_clISt17integral_constantIbLb1EES1T_IbLb0EEEEDaS1P_S1Q_EUlS1P_E_NS1_11comp_targetILNS1_3genE10ELNS1_11target_archE1200ELNS1_3gpuE4ELNS1_3repE0EEENS1_30default_config_static_selectorELNS0_4arch9wavefront6targetE1EEEvS12_,@function
_ZN7rocprim17ROCPRIM_400000_NS6detail17trampoline_kernelINS0_13select_configILj256ELj13ELNS0_17block_load_methodE3ELS4_3ELS4_3ELNS0_20block_scan_algorithmE0ELj4294967295EEENS1_25partition_config_selectorILNS1_17partition_subalgoE4EjNS0_10empty_typeEbEEZZNS1_14partition_implILS8_4ELb0ES6_15HIP_vector_typeIjLj2EENS0_17counting_iteratorIjlEEPS9_SG_NS0_5tupleIJPjSI_NS0_16reverse_iteratorISI_EEEEENSH_IJSG_SG_SG_EEES9_SI_JZNS1_25segmented_radix_sort_implINS0_14default_configELb0EPKiPiPKlPlN2at6native12_GLOBAL__N_18offset_tEEE10hipError_tPvRmT1_PNSt15iterator_traitsIS12_E10value_typeET2_T3_PNS13_IS18_E10value_typeET4_jRbjT5_S1E_jjP12ihipStream_tbEUljE_ZNSN_ISO_Lb0ESQ_SR_ST_SU_SY_EESZ_S10_S11_S12_S16_S17_S18_S1B_S1C_jS1D_jS1E_S1E_jjS1G_bEUljE0_EEESZ_S10_S11_S18_S1C_S1E_T6_T7_T9_mT8_S1G_bDpT10_ENKUlT_T0_E_clISt17integral_constantIbLb1EES1T_IbLb0EEEEDaS1P_S1Q_EUlS1P_E_NS1_11comp_targetILNS1_3genE10ELNS1_11target_archE1200ELNS1_3gpuE4ELNS1_3repE0EEENS1_30default_config_static_selectorELNS0_4arch9wavefront6targetE1EEEvS12_: ; @_ZN7rocprim17ROCPRIM_400000_NS6detail17trampoline_kernelINS0_13select_configILj256ELj13ELNS0_17block_load_methodE3ELS4_3ELS4_3ELNS0_20block_scan_algorithmE0ELj4294967295EEENS1_25partition_config_selectorILNS1_17partition_subalgoE4EjNS0_10empty_typeEbEEZZNS1_14partition_implILS8_4ELb0ES6_15HIP_vector_typeIjLj2EENS0_17counting_iteratorIjlEEPS9_SG_NS0_5tupleIJPjSI_NS0_16reverse_iteratorISI_EEEEENSH_IJSG_SG_SG_EEES9_SI_JZNS1_25segmented_radix_sort_implINS0_14default_configELb0EPKiPiPKlPlN2at6native12_GLOBAL__N_18offset_tEEE10hipError_tPvRmT1_PNSt15iterator_traitsIS12_E10value_typeET2_T3_PNS13_IS18_E10value_typeET4_jRbjT5_S1E_jjP12ihipStream_tbEUljE_ZNSN_ISO_Lb0ESQ_SR_ST_SU_SY_EESZ_S10_S11_S12_S16_S17_S18_S1B_S1C_jS1D_jS1E_S1E_jjS1G_bEUljE0_EEESZ_S10_S11_S18_S1C_S1E_T6_T7_T9_mT8_S1G_bDpT10_ENKUlT_T0_E_clISt17integral_constantIbLb1EES1T_IbLb0EEEEDaS1P_S1Q_EUlS1P_E_NS1_11comp_targetILNS1_3genE10ELNS1_11target_archE1200ELNS1_3gpuE4ELNS1_3repE0EEENS1_30default_config_static_selectorELNS0_4arch9wavefront6targetE1EEEvS12_
; %bb.0:
	.section	.rodata,"a",@progbits
	.p2align	6, 0x0
	.amdhsa_kernel _ZN7rocprim17ROCPRIM_400000_NS6detail17trampoline_kernelINS0_13select_configILj256ELj13ELNS0_17block_load_methodE3ELS4_3ELS4_3ELNS0_20block_scan_algorithmE0ELj4294967295EEENS1_25partition_config_selectorILNS1_17partition_subalgoE4EjNS0_10empty_typeEbEEZZNS1_14partition_implILS8_4ELb0ES6_15HIP_vector_typeIjLj2EENS0_17counting_iteratorIjlEEPS9_SG_NS0_5tupleIJPjSI_NS0_16reverse_iteratorISI_EEEEENSH_IJSG_SG_SG_EEES9_SI_JZNS1_25segmented_radix_sort_implINS0_14default_configELb0EPKiPiPKlPlN2at6native12_GLOBAL__N_18offset_tEEE10hipError_tPvRmT1_PNSt15iterator_traitsIS12_E10value_typeET2_T3_PNS13_IS18_E10value_typeET4_jRbjT5_S1E_jjP12ihipStream_tbEUljE_ZNSN_ISO_Lb0ESQ_SR_ST_SU_SY_EESZ_S10_S11_S12_S16_S17_S18_S1B_S1C_jS1D_jS1E_S1E_jjS1G_bEUljE0_EEESZ_S10_S11_S18_S1C_S1E_T6_T7_T9_mT8_S1G_bDpT10_ENKUlT_T0_E_clISt17integral_constantIbLb1EES1T_IbLb0EEEEDaS1P_S1Q_EUlS1P_E_NS1_11comp_targetILNS1_3genE10ELNS1_11target_archE1200ELNS1_3gpuE4ELNS1_3repE0EEENS1_30default_config_static_selectorELNS0_4arch9wavefront6targetE1EEEvS12_
		.amdhsa_group_segment_fixed_size 0
		.amdhsa_private_segment_fixed_size 0
		.amdhsa_kernarg_size 176
		.amdhsa_user_sgpr_count 6
		.amdhsa_user_sgpr_private_segment_buffer 1
		.amdhsa_user_sgpr_dispatch_ptr 0
		.amdhsa_user_sgpr_queue_ptr 0
		.amdhsa_user_sgpr_kernarg_segment_ptr 1
		.amdhsa_user_sgpr_dispatch_id 0
		.amdhsa_user_sgpr_flat_scratch_init 0
		.amdhsa_user_sgpr_private_segment_size 0
		.amdhsa_uses_dynamic_stack 0
		.amdhsa_system_sgpr_private_segment_wavefront_offset 0
		.amdhsa_system_sgpr_workgroup_id_x 1
		.amdhsa_system_sgpr_workgroup_id_y 0
		.amdhsa_system_sgpr_workgroup_id_z 0
		.amdhsa_system_sgpr_workgroup_info 0
		.amdhsa_system_vgpr_workitem_id 0
		.amdhsa_next_free_vgpr 1
		.amdhsa_next_free_sgpr 0
		.amdhsa_reserve_vcc 0
		.amdhsa_reserve_flat_scratch 0
		.amdhsa_float_round_mode_32 0
		.amdhsa_float_round_mode_16_64 0
		.amdhsa_float_denorm_mode_32 3
		.amdhsa_float_denorm_mode_16_64 3
		.amdhsa_dx10_clamp 1
		.amdhsa_ieee_mode 1
		.amdhsa_fp16_overflow 0
		.amdhsa_exception_fp_ieee_invalid_op 0
		.amdhsa_exception_fp_denorm_src 0
		.amdhsa_exception_fp_ieee_div_zero 0
		.amdhsa_exception_fp_ieee_overflow 0
		.amdhsa_exception_fp_ieee_underflow 0
		.amdhsa_exception_fp_ieee_inexact 0
		.amdhsa_exception_int_div_zero 0
	.end_amdhsa_kernel
	.section	.text._ZN7rocprim17ROCPRIM_400000_NS6detail17trampoline_kernelINS0_13select_configILj256ELj13ELNS0_17block_load_methodE3ELS4_3ELS4_3ELNS0_20block_scan_algorithmE0ELj4294967295EEENS1_25partition_config_selectorILNS1_17partition_subalgoE4EjNS0_10empty_typeEbEEZZNS1_14partition_implILS8_4ELb0ES6_15HIP_vector_typeIjLj2EENS0_17counting_iteratorIjlEEPS9_SG_NS0_5tupleIJPjSI_NS0_16reverse_iteratorISI_EEEEENSH_IJSG_SG_SG_EEES9_SI_JZNS1_25segmented_radix_sort_implINS0_14default_configELb0EPKiPiPKlPlN2at6native12_GLOBAL__N_18offset_tEEE10hipError_tPvRmT1_PNSt15iterator_traitsIS12_E10value_typeET2_T3_PNS13_IS18_E10value_typeET4_jRbjT5_S1E_jjP12ihipStream_tbEUljE_ZNSN_ISO_Lb0ESQ_SR_ST_SU_SY_EESZ_S10_S11_S12_S16_S17_S18_S1B_S1C_jS1D_jS1E_S1E_jjS1G_bEUljE0_EEESZ_S10_S11_S18_S1C_S1E_T6_T7_T9_mT8_S1G_bDpT10_ENKUlT_T0_E_clISt17integral_constantIbLb1EES1T_IbLb0EEEEDaS1P_S1Q_EUlS1P_E_NS1_11comp_targetILNS1_3genE10ELNS1_11target_archE1200ELNS1_3gpuE4ELNS1_3repE0EEENS1_30default_config_static_selectorELNS0_4arch9wavefront6targetE1EEEvS12_,"axG",@progbits,_ZN7rocprim17ROCPRIM_400000_NS6detail17trampoline_kernelINS0_13select_configILj256ELj13ELNS0_17block_load_methodE3ELS4_3ELS4_3ELNS0_20block_scan_algorithmE0ELj4294967295EEENS1_25partition_config_selectorILNS1_17partition_subalgoE4EjNS0_10empty_typeEbEEZZNS1_14partition_implILS8_4ELb0ES6_15HIP_vector_typeIjLj2EENS0_17counting_iteratorIjlEEPS9_SG_NS0_5tupleIJPjSI_NS0_16reverse_iteratorISI_EEEEENSH_IJSG_SG_SG_EEES9_SI_JZNS1_25segmented_radix_sort_implINS0_14default_configELb0EPKiPiPKlPlN2at6native12_GLOBAL__N_18offset_tEEE10hipError_tPvRmT1_PNSt15iterator_traitsIS12_E10value_typeET2_T3_PNS13_IS18_E10value_typeET4_jRbjT5_S1E_jjP12ihipStream_tbEUljE_ZNSN_ISO_Lb0ESQ_SR_ST_SU_SY_EESZ_S10_S11_S12_S16_S17_S18_S1B_S1C_jS1D_jS1E_S1E_jjS1G_bEUljE0_EEESZ_S10_S11_S18_S1C_S1E_T6_T7_T9_mT8_S1G_bDpT10_ENKUlT_T0_E_clISt17integral_constantIbLb1EES1T_IbLb0EEEEDaS1P_S1Q_EUlS1P_E_NS1_11comp_targetILNS1_3genE10ELNS1_11target_archE1200ELNS1_3gpuE4ELNS1_3repE0EEENS1_30default_config_static_selectorELNS0_4arch9wavefront6targetE1EEEvS12_,comdat
.Lfunc_end557:
	.size	_ZN7rocprim17ROCPRIM_400000_NS6detail17trampoline_kernelINS0_13select_configILj256ELj13ELNS0_17block_load_methodE3ELS4_3ELS4_3ELNS0_20block_scan_algorithmE0ELj4294967295EEENS1_25partition_config_selectorILNS1_17partition_subalgoE4EjNS0_10empty_typeEbEEZZNS1_14partition_implILS8_4ELb0ES6_15HIP_vector_typeIjLj2EENS0_17counting_iteratorIjlEEPS9_SG_NS0_5tupleIJPjSI_NS0_16reverse_iteratorISI_EEEEENSH_IJSG_SG_SG_EEES9_SI_JZNS1_25segmented_radix_sort_implINS0_14default_configELb0EPKiPiPKlPlN2at6native12_GLOBAL__N_18offset_tEEE10hipError_tPvRmT1_PNSt15iterator_traitsIS12_E10value_typeET2_T3_PNS13_IS18_E10value_typeET4_jRbjT5_S1E_jjP12ihipStream_tbEUljE_ZNSN_ISO_Lb0ESQ_SR_ST_SU_SY_EESZ_S10_S11_S12_S16_S17_S18_S1B_S1C_jS1D_jS1E_S1E_jjS1G_bEUljE0_EEESZ_S10_S11_S18_S1C_S1E_T6_T7_T9_mT8_S1G_bDpT10_ENKUlT_T0_E_clISt17integral_constantIbLb1EES1T_IbLb0EEEEDaS1P_S1Q_EUlS1P_E_NS1_11comp_targetILNS1_3genE10ELNS1_11target_archE1200ELNS1_3gpuE4ELNS1_3repE0EEENS1_30default_config_static_selectorELNS0_4arch9wavefront6targetE1EEEvS12_, .Lfunc_end557-_ZN7rocprim17ROCPRIM_400000_NS6detail17trampoline_kernelINS0_13select_configILj256ELj13ELNS0_17block_load_methodE3ELS4_3ELS4_3ELNS0_20block_scan_algorithmE0ELj4294967295EEENS1_25partition_config_selectorILNS1_17partition_subalgoE4EjNS0_10empty_typeEbEEZZNS1_14partition_implILS8_4ELb0ES6_15HIP_vector_typeIjLj2EENS0_17counting_iteratorIjlEEPS9_SG_NS0_5tupleIJPjSI_NS0_16reverse_iteratorISI_EEEEENSH_IJSG_SG_SG_EEES9_SI_JZNS1_25segmented_radix_sort_implINS0_14default_configELb0EPKiPiPKlPlN2at6native12_GLOBAL__N_18offset_tEEE10hipError_tPvRmT1_PNSt15iterator_traitsIS12_E10value_typeET2_T3_PNS13_IS18_E10value_typeET4_jRbjT5_S1E_jjP12ihipStream_tbEUljE_ZNSN_ISO_Lb0ESQ_SR_ST_SU_SY_EESZ_S10_S11_S12_S16_S17_S18_S1B_S1C_jS1D_jS1E_S1E_jjS1G_bEUljE0_EEESZ_S10_S11_S18_S1C_S1E_T6_T7_T9_mT8_S1G_bDpT10_ENKUlT_T0_E_clISt17integral_constantIbLb1EES1T_IbLb0EEEEDaS1P_S1Q_EUlS1P_E_NS1_11comp_targetILNS1_3genE10ELNS1_11target_archE1200ELNS1_3gpuE4ELNS1_3repE0EEENS1_30default_config_static_selectorELNS0_4arch9wavefront6targetE1EEEvS12_
                                        ; -- End function
	.set _ZN7rocprim17ROCPRIM_400000_NS6detail17trampoline_kernelINS0_13select_configILj256ELj13ELNS0_17block_load_methodE3ELS4_3ELS4_3ELNS0_20block_scan_algorithmE0ELj4294967295EEENS1_25partition_config_selectorILNS1_17partition_subalgoE4EjNS0_10empty_typeEbEEZZNS1_14partition_implILS8_4ELb0ES6_15HIP_vector_typeIjLj2EENS0_17counting_iteratorIjlEEPS9_SG_NS0_5tupleIJPjSI_NS0_16reverse_iteratorISI_EEEEENSH_IJSG_SG_SG_EEES9_SI_JZNS1_25segmented_radix_sort_implINS0_14default_configELb0EPKiPiPKlPlN2at6native12_GLOBAL__N_18offset_tEEE10hipError_tPvRmT1_PNSt15iterator_traitsIS12_E10value_typeET2_T3_PNS13_IS18_E10value_typeET4_jRbjT5_S1E_jjP12ihipStream_tbEUljE_ZNSN_ISO_Lb0ESQ_SR_ST_SU_SY_EESZ_S10_S11_S12_S16_S17_S18_S1B_S1C_jS1D_jS1E_S1E_jjS1G_bEUljE0_EEESZ_S10_S11_S18_S1C_S1E_T6_T7_T9_mT8_S1G_bDpT10_ENKUlT_T0_E_clISt17integral_constantIbLb1EES1T_IbLb0EEEEDaS1P_S1Q_EUlS1P_E_NS1_11comp_targetILNS1_3genE10ELNS1_11target_archE1200ELNS1_3gpuE4ELNS1_3repE0EEENS1_30default_config_static_selectorELNS0_4arch9wavefront6targetE1EEEvS12_.num_vgpr, 0
	.set _ZN7rocprim17ROCPRIM_400000_NS6detail17trampoline_kernelINS0_13select_configILj256ELj13ELNS0_17block_load_methodE3ELS4_3ELS4_3ELNS0_20block_scan_algorithmE0ELj4294967295EEENS1_25partition_config_selectorILNS1_17partition_subalgoE4EjNS0_10empty_typeEbEEZZNS1_14partition_implILS8_4ELb0ES6_15HIP_vector_typeIjLj2EENS0_17counting_iteratorIjlEEPS9_SG_NS0_5tupleIJPjSI_NS0_16reverse_iteratorISI_EEEEENSH_IJSG_SG_SG_EEES9_SI_JZNS1_25segmented_radix_sort_implINS0_14default_configELb0EPKiPiPKlPlN2at6native12_GLOBAL__N_18offset_tEEE10hipError_tPvRmT1_PNSt15iterator_traitsIS12_E10value_typeET2_T3_PNS13_IS18_E10value_typeET4_jRbjT5_S1E_jjP12ihipStream_tbEUljE_ZNSN_ISO_Lb0ESQ_SR_ST_SU_SY_EESZ_S10_S11_S12_S16_S17_S18_S1B_S1C_jS1D_jS1E_S1E_jjS1G_bEUljE0_EEESZ_S10_S11_S18_S1C_S1E_T6_T7_T9_mT8_S1G_bDpT10_ENKUlT_T0_E_clISt17integral_constantIbLb1EES1T_IbLb0EEEEDaS1P_S1Q_EUlS1P_E_NS1_11comp_targetILNS1_3genE10ELNS1_11target_archE1200ELNS1_3gpuE4ELNS1_3repE0EEENS1_30default_config_static_selectorELNS0_4arch9wavefront6targetE1EEEvS12_.num_agpr, 0
	.set _ZN7rocprim17ROCPRIM_400000_NS6detail17trampoline_kernelINS0_13select_configILj256ELj13ELNS0_17block_load_methodE3ELS4_3ELS4_3ELNS0_20block_scan_algorithmE0ELj4294967295EEENS1_25partition_config_selectorILNS1_17partition_subalgoE4EjNS0_10empty_typeEbEEZZNS1_14partition_implILS8_4ELb0ES6_15HIP_vector_typeIjLj2EENS0_17counting_iteratorIjlEEPS9_SG_NS0_5tupleIJPjSI_NS0_16reverse_iteratorISI_EEEEENSH_IJSG_SG_SG_EEES9_SI_JZNS1_25segmented_radix_sort_implINS0_14default_configELb0EPKiPiPKlPlN2at6native12_GLOBAL__N_18offset_tEEE10hipError_tPvRmT1_PNSt15iterator_traitsIS12_E10value_typeET2_T3_PNS13_IS18_E10value_typeET4_jRbjT5_S1E_jjP12ihipStream_tbEUljE_ZNSN_ISO_Lb0ESQ_SR_ST_SU_SY_EESZ_S10_S11_S12_S16_S17_S18_S1B_S1C_jS1D_jS1E_S1E_jjS1G_bEUljE0_EEESZ_S10_S11_S18_S1C_S1E_T6_T7_T9_mT8_S1G_bDpT10_ENKUlT_T0_E_clISt17integral_constantIbLb1EES1T_IbLb0EEEEDaS1P_S1Q_EUlS1P_E_NS1_11comp_targetILNS1_3genE10ELNS1_11target_archE1200ELNS1_3gpuE4ELNS1_3repE0EEENS1_30default_config_static_selectorELNS0_4arch9wavefront6targetE1EEEvS12_.numbered_sgpr, 0
	.set _ZN7rocprim17ROCPRIM_400000_NS6detail17trampoline_kernelINS0_13select_configILj256ELj13ELNS0_17block_load_methodE3ELS4_3ELS4_3ELNS0_20block_scan_algorithmE0ELj4294967295EEENS1_25partition_config_selectorILNS1_17partition_subalgoE4EjNS0_10empty_typeEbEEZZNS1_14partition_implILS8_4ELb0ES6_15HIP_vector_typeIjLj2EENS0_17counting_iteratorIjlEEPS9_SG_NS0_5tupleIJPjSI_NS0_16reverse_iteratorISI_EEEEENSH_IJSG_SG_SG_EEES9_SI_JZNS1_25segmented_radix_sort_implINS0_14default_configELb0EPKiPiPKlPlN2at6native12_GLOBAL__N_18offset_tEEE10hipError_tPvRmT1_PNSt15iterator_traitsIS12_E10value_typeET2_T3_PNS13_IS18_E10value_typeET4_jRbjT5_S1E_jjP12ihipStream_tbEUljE_ZNSN_ISO_Lb0ESQ_SR_ST_SU_SY_EESZ_S10_S11_S12_S16_S17_S18_S1B_S1C_jS1D_jS1E_S1E_jjS1G_bEUljE0_EEESZ_S10_S11_S18_S1C_S1E_T6_T7_T9_mT8_S1G_bDpT10_ENKUlT_T0_E_clISt17integral_constantIbLb1EES1T_IbLb0EEEEDaS1P_S1Q_EUlS1P_E_NS1_11comp_targetILNS1_3genE10ELNS1_11target_archE1200ELNS1_3gpuE4ELNS1_3repE0EEENS1_30default_config_static_selectorELNS0_4arch9wavefront6targetE1EEEvS12_.num_named_barrier, 0
	.set _ZN7rocprim17ROCPRIM_400000_NS6detail17trampoline_kernelINS0_13select_configILj256ELj13ELNS0_17block_load_methodE3ELS4_3ELS4_3ELNS0_20block_scan_algorithmE0ELj4294967295EEENS1_25partition_config_selectorILNS1_17partition_subalgoE4EjNS0_10empty_typeEbEEZZNS1_14partition_implILS8_4ELb0ES6_15HIP_vector_typeIjLj2EENS0_17counting_iteratorIjlEEPS9_SG_NS0_5tupleIJPjSI_NS0_16reverse_iteratorISI_EEEEENSH_IJSG_SG_SG_EEES9_SI_JZNS1_25segmented_radix_sort_implINS0_14default_configELb0EPKiPiPKlPlN2at6native12_GLOBAL__N_18offset_tEEE10hipError_tPvRmT1_PNSt15iterator_traitsIS12_E10value_typeET2_T3_PNS13_IS18_E10value_typeET4_jRbjT5_S1E_jjP12ihipStream_tbEUljE_ZNSN_ISO_Lb0ESQ_SR_ST_SU_SY_EESZ_S10_S11_S12_S16_S17_S18_S1B_S1C_jS1D_jS1E_S1E_jjS1G_bEUljE0_EEESZ_S10_S11_S18_S1C_S1E_T6_T7_T9_mT8_S1G_bDpT10_ENKUlT_T0_E_clISt17integral_constantIbLb1EES1T_IbLb0EEEEDaS1P_S1Q_EUlS1P_E_NS1_11comp_targetILNS1_3genE10ELNS1_11target_archE1200ELNS1_3gpuE4ELNS1_3repE0EEENS1_30default_config_static_selectorELNS0_4arch9wavefront6targetE1EEEvS12_.private_seg_size, 0
	.set _ZN7rocprim17ROCPRIM_400000_NS6detail17trampoline_kernelINS0_13select_configILj256ELj13ELNS0_17block_load_methodE3ELS4_3ELS4_3ELNS0_20block_scan_algorithmE0ELj4294967295EEENS1_25partition_config_selectorILNS1_17partition_subalgoE4EjNS0_10empty_typeEbEEZZNS1_14partition_implILS8_4ELb0ES6_15HIP_vector_typeIjLj2EENS0_17counting_iteratorIjlEEPS9_SG_NS0_5tupleIJPjSI_NS0_16reverse_iteratorISI_EEEEENSH_IJSG_SG_SG_EEES9_SI_JZNS1_25segmented_radix_sort_implINS0_14default_configELb0EPKiPiPKlPlN2at6native12_GLOBAL__N_18offset_tEEE10hipError_tPvRmT1_PNSt15iterator_traitsIS12_E10value_typeET2_T3_PNS13_IS18_E10value_typeET4_jRbjT5_S1E_jjP12ihipStream_tbEUljE_ZNSN_ISO_Lb0ESQ_SR_ST_SU_SY_EESZ_S10_S11_S12_S16_S17_S18_S1B_S1C_jS1D_jS1E_S1E_jjS1G_bEUljE0_EEESZ_S10_S11_S18_S1C_S1E_T6_T7_T9_mT8_S1G_bDpT10_ENKUlT_T0_E_clISt17integral_constantIbLb1EES1T_IbLb0EEEEDaS1P_S1Q_EUlS1P_E_NS1_11comp_targetILNS1_3genE10ELNS1_11target_archE1200ELNS1_3gpuE4ELNS1_3repE0EEENS1_30default_config_static_selectorELNS0_4arch9wavefront6targetE1EEEvS12_.uses_vcc, 0
	.set _ZN7rocprim17ROCPRIM_400000_NS6detail17trampoline_kernelINS0_13select_configILj256ELj13ELNS0_17block_load_methodE3ELS4_3ELS4_3ELNS0_20block_scan_algorithmE0ELj4294967295EEENS1_25partition_config_selectorILNS1_17partition_subalgoE4EjNS0_10empty_typeEbEEZZNS1_14partition_implILS8_4ELb0ES6_15HIP_vector_typeIjLj2EENS0_17counting_iteratorIjlEEPS9_SG_NS0_5tupleIJPjSI_NS0_16reverse_iteratorISI_EEEEENSH_IJSG_SG_SG_EEES9_SI_JZNS1_25segmented_radix_sort_implINS0_14default_configELb0EPKiPiPKlPlN2at6native12_GLOBAL__N_18offset_tEEE10hipError_tPvRmT1_PNSt15iterator_traitsIS12_E10value_typeET2_T3_PNS13_IS18_E10value_typeET4_jRbjT5_S1E_jjP12ihipStream_tbEUljE_ZNSN_ISO_Lb0ESQ_SR_ST_SU_SY_EESZ_S10_S11_S12_S16_S17_S18_S1B_S1C_jS1D_jS1E_S1E_jjS1G_bEUljE0_EEESZ_S10_S11_S18_S1C_S1E_T6_T7_T9_mT8_S1G_bDpT10_ENKUlT_T0_E_clISt17integral_constantIbLb1EES1T_IbLb0EEEEDaS1P_S1Q_EUlS1P_E_NS1_11comp_targetILNS1_3genE10ELNS1_11target_archE1200ELNS1_3gpuE4ELNS1_3repE0EEENS1_30default_config_static_selectorELNS0_4arch9wavefront6targetE1EEEvS12_.uses_flat_scratch, 0
	.set _ZN7rocprim17ROCPRIM_400000_NS6detail17trampoline_kernelINS0_13select_configILj256ELj13ELNS0_17block_load_methodE3ELS4_3ELS4_3ELNS0_20block_scan_algorithmE0ELj4294967295EEENS1_25partition_config_selectorILNS1_17partition_subalgoE4EjNS0_10empty_typeEbEEZZNS1_14partition_implILS8_4ELb0ES6_15HIP_vector_typeIjLj2EENS0_17counting_iteratorIjlEEPS9_SG_NS0_5tupleIJPjSI_NS0_16reverse_iteratorISI_EEEEENSH_IJSG_SG_SG_EEES9_SI_JZNS1_25segmented_radix_sort_implINS0_14default_configELb0EPKiPiPKlPlN2at6native12_GLOBAL__N_18offset_tEEE10hipError_tPvRmT1_PNSt15iterator_traitsIS12_E10value_typeET2_T3_PNS13_IS18_E10value_typeET4_jRbjT5_S1E_jjP12ihipStream_tbEUljE_ZNSN_ISO_Lb0ESQ_SR_ST_SU_SY_EESZ_S10_S11_S12_S16_S17_S18_S1B_S1C_jS1D_jS1E_S1E_jjS1G_bEUljE0_EEESZ_S10_S11_S18_S1C_S1E_T6_T7_T9_mT8_S1G_bDpT10_ENKUlT_T0_E_clISt17integral_constantIbLb1EES1T_IbLb0EEEEDaS1P_S1Q_EUlS1P_E_NS1_11comp_targetILNS1_3genE10ELNS1_11target_archE1200ELNS1_3gpuE4ELNS1_3repE0EEENS1_30default_config_static_selectorELNS0_4arch9wavefront6targetE1EEEvS12_.has_dyn_sized_stack, 0
	.set _ZN7rocprim17ROCPRIM_400000_NS6detail17trampoline_kernelINS0_13select_configILj256ELj13ELNS0_17block_load_methodE3ELS4_3ELS4_3ELNS0_20block_scan_algorithmE0ELj4294967295EEENS1_25partition_config_selectorILNS1_17partition_subalgoE4EjNS0_10empty_typeEbEEZZNS1_14partition_implILS8_4ELb0ES6_15HIP_vector_typeIjLj2EENS0_17counting_iteratorIjlEEPS9_SG_NS0_5tupleIJPjSI_NS0_16reverse_iteratorISI_EEEEENSH_IJSG_SG_SG_EEES9_SI_JZNS1_25segmented_radix_sort_implINS0_14default_configELb0EPKiPiPKlPlN2at6native12_GLOBAL__N_18offset_tEEE10hipError_tPvRmT1_PNSt15iterator_traitsIS12_E10value_typeET2_T3_PNS13_IS18_E10value_typeET4_jRbjT5_S1E_jjP12ihipStream_tbEUljE_ZNSN_ISO_Lb0ESQ_SR_ST_SU_SY_EESZ_S10_S11_S12_S16_S17_S18_S1B_S1C_jS1D_jS1E_S1E_jjS1G_bEUljE0_EEESZ_S10_S11_S18_S1C_S1E_T6_T7_T9_mT8_S1G_bDpT10_ENKUlT_T0_E_clISt17integral_constantIbLb1EES1T_IbLb0EEEEDaS1P_S1Q_EUlS1P_E_NS1_11comp_targetILNS1_3genE10ELNS1_11target_archE1200ELNS1_3gpuE4ELNS1_3repE0EEENS1_30default_config_static_selectorELNS0_4arch9wavefront6targetE1EEEvS12_.has_recursion, 0
	.set _ZN7rocprim17ROCPRIM_400000_NS6detail17trampoline_kernelINS0_13select_configILj256ELj13ELNS0_17block_load_methodE3ELS4_3ELS4_3ELNS0_20block_scan_algorithmE0ELj4294967295EEENS1_25partition_config_selectorILNS1_17partition_subalgoE4EjNS0_10empty_typeEbEEZZNS1_14partition_implILS8_4ELb0ES6_15HIP_vector_typeIjLj2EENS0_17counting_iteratorIjlEEPS9_SG_NS0_5tupleIJPjSI_NS0_16reverse_iteratorISI_EEEEENSH_IJSG_SG_SG_EEES9_SI_JZNS1_25segmented_radix_sort_implINS0_14default_configELb0EPKiPiPKlPlN2at6native12_GLOBAL__N_18offset_tEEE10hipError_tPvRmT1_PNSt15iterator_traitsIS12_E10value_typeET2_T3_PNS13_IS18_E10value_typeET4_jRbjT5_S1E_jjP12ihipStream_tbEUljE_ZNSN_ISO_Lb0ESQ_SR_ST_SU_SY_EESZ_S10_S11_S12_S16_S17_S18_S1B_S1C_jS1D_jS1E_S1E_jjS1G_bEUljE0_EEESZ_S10_S11_S18_S1C_S1E_T6_T7_T9_mT8_S1G_bDpT10_ENKUlT_T0_E_clISt17integral_constantIbLb1EES1T_IbLb0EEEEDaS1P_S1Q_EUlS1P_E_NS1_11comp_targetILNS1_3genE10ELNS1_11target_archE1200ELNS1_3gpuE4ELNS1_3repE0EEENS1_30default_config_static_selectorELNS0_4arch9wavefront6targetE1EEEvS12_.has_indirect_call, 0
	.section	.AMDGPU.csdata,"",@progbits
; Kernel info:
; codeLenInByte = 0
; TotalNumSgprs: 4
; NumVgprs: 0
; ScratchSize: 0
; MemoryBound: 0
; FloatMode: 240
; IeeeMode: 1
; LDSByteSize: 0 bytes/workgroup (compile time only)
; SGPRBlocks: 0
; VGPRBlocks: 0
; NumSGPRsForWavesPerEU: 4
; NumVGPRsForWavesPerEU: 1
; Occupancy: 10
; WaveLimiterHint : 0
; COMPUTE_PGM_RSRC2:SCRATCH_EN: 0
; COMPUTE_PGM_RSRC2:USER_SGPR: 6
; COMPUTE_PGM_RSRC2:TRAP_HANDLER: 0
; COMPUTE_PGM_RSRC2:TGID_X_EN: 1
; COMPUTE_PGM_RSRC2:TGID_Y_EN: 0
; COMPUTE_PGM_RSRC2:TGID_Z_EN: 0
; COMPUTE_PGM_RSRC2:TIDIG_COMP_CNT: 0
	.section	.text._ZN7rocprim17ROCPRIM_400000_NS6detail17trampoline_kernelINS0_13select_configILj256ELj13ELNS0_17block_load_methodE3ELS4_3ELS4_3ELNS0_20block_scan_algorithmE0ELj4294967295EEENS1_25partition_config_selectorILNS1_17partition_subalgoE4EjNS0_10empty_typeEbEEZZNS1_14partition_implILS8_4ELb0ES6_15HIP_vector_typeIjLj2EENS0_17counting_iteratorIjlEEPS9_SG_NS0_5tupleIJPjSI_NS0_16reverse_iteratorISI_EEEEENSH_IJSG_SG_SG_EEES9_SI_JZNS1_25segmented_radix_sort_implINS0_14default_configELb0EPKiPiPKlPlN2at6native12_GLOBAL__N_18offset_tEEE10hipError_tPvRmT1_PNSt15iterator_traitsIS12_E10value_typeET2_T3_PNS13_IS18_E10value_typeET4_jRbjT5_S1E_jjP12ihipStream_tbEUljE_ZNSN_ISO_Lb0ESQ_SR_ST_SU_SY_EESZ_S10_S11_S12_S16_S17_S18_S1B_S1C_jS1D_jS1E_S1E_jjS1G_bEUljE0_EEESZ_S10_S11_S18_S1C_S1E_T6_T7_T9_mT8_S1G_bDpT10_ENKUlT_T0_E_clISt17integral_constantIbLb1EES1T_IbLb0EEEEDaS1P_S1Q_EUlS1P_E_NS1_11comp_targetILNS1_3genE9ELNS1_11target_archE1100ELNS1_3gpuE3ELNS1_3repE0EEENS1_30default_config_static_selectorELNS0_4arch9wavefront6targetE1EEEvS12_,"axG",@progbits,_ZN7rocprim17ROCPRIM_400000_NS6detail17trampoline_kernelINS0_13select_configILj256ELj13ELNS0_17block_load_methodE3ELS4_3ELS4_3ELNS0_20block_scan_algorithmE0ELj4294967295EEENS1_25partition_config_selectorILNS1_17partition_subalgoE4EjNS0_10empty_typeEbEEZZNS1_14partition_implILS8_4ELb0ES6_15HIP_vector_typeIjLj2EENS0_17counting_iteratorIjlEEPS9_SG_NS0_5tupleIJPjSI_NS0_16reverse_iteratorISI_EEEEENSH_IJSG_SG_SG_EEES9_SI_JZNS1_25segmented_radix_sort_implINS0_14default_configELb0EPKiPiPKlPlN2at6native12_GLOBAL__N_18offset_tEEE10hipError_tPvRmT1_PNSt15iterator_traitsIS12_E10value_typeET2_T3_PNS13_IS18_E10value_typeET4_jRbjT5_S1E_jjP12ihipStream_tbEUljE_ZNSN_ISO_Lb0ESQ_SR_ST_SU_SY_EESZ_S10_S11_S12_S16_S17_S18_S1B_S1C_jS1D_jS1E_S1E_jjS1G_bEUljE0_EEESZ_S10_S11_S18_S1C_S1E_T6_T7_T9_mT8_S1G_bDpT10_ENKUlT_T0_E_clISt17integral_constantIbLb1EES1T_IbLb0EEEEDaS1P_S1Q_EUlS1P_E_NS1_11comp_targetILNS1_3genE9ELNS1_11target_archE1100ELNS1_3gpuE3ELNS1_3repE0EEENS1_30default_config_static_selectorELNS0_4arch9wavefront6targetE1EEEvS12_,comdat
	.globl	_ZN7rocprim17ROCPRIM_400000_NS6detail17trampoline_kernelINS0_13select_configILj256ELj13ELNS0_17block_load_methodE3ELS4_3ELS4_3ELNS0_20block_scan_algorithmE0ELj4294967295EEENS1_25partition_config_selectorILNS1_17partition_subalgoE4EjNS0_10empty_typeEbEEZZNS1_14partition_implILS8_4ELb0ES6_15HIP_vector_typeIjLj2EENS0_17counting_iteratorIjlEEPS9_SG_NS0_5tupleIJPjSI_NS0_16reverse_iteratorISI_EEEEENSH_IJSG_SG_SG_EEES9_SI_JZNS1_25segmented_radix_sort_implINS0_14default_configELb0EPKiPiPKlPlN2at6native12_GLOBAL__N_18offset_tEEE10hipError_tPvRmT1_PNSt15iterator_traitsIS12_E10value_typeET2_T3_PNS13_IS18_E10value_typeET4_jRbjT5_S1E_jjP12ihipStream_tbEUljE_ZNSN_ISO_Lb0ESQ_SR_ST_SU_SY_EESZ_S10_S11_S12_S16_S17_S18_S1B_S1C_jS1D_jS1E_S1E_jjS1G_bEUljE0_EEESZ_S10_S11_S18_S1C_S1E_T6_T7_T9_mT8_S1G_bDpT10_ENKUlT_T0_E_clISt17integral_constantIbLb1EES1T_IbLb0EEEEDaS1P_S1Q_EUlS1P_E_NS1_11comp_targetILNS1_3genE9ELNS1_11target_archE1100ELNS1_3gpuE3ELNS1_3repE0EEENS1_30default_config_static_selectorELNS0_4arch9wavefront6targetE1EEEvS12_ ; -- Begin function _ZN7rocprim17ROCPRIM_400000_NS6detail17trampoline_kernelINS0_13select_configILj256ELj13ELNS0_17block_load_methodE3ELS4_3ELS4_3ELNS0_20block_scan_algorithmE0ELj4294967295EEENS1_25partition_config_selectorILNS1_17partition_subalgoE4EjNS0_10empty_typeEbEEZZNS1_14partition_implILS8_4ELb0ES6_15HIP_vector_typeIjLj2EENS0_17counting_iteratorIjlEEPS9_SG_NS0_5tupleIJPjSI_NS0_16reverse_iteratorISI_EEEEENSH_IJSG_SG_SG_EEES9_SI_JZNS1_25segmented_radix_sort_implINS0_14default_configELb0EPKiPiPKlPlN2at6native12_GLOBAL__N_18offset_tEEE10hipError_tPvRmT1_PNSt15iterator_traitsIS12_E10value_typeET2_T3_PNS13_IS18_E10value_typeET4_jRbjT5_S1E_jjP12ihipStream_tbEUljE_ZNSN_ISO_Lb0ESQ_SR_ST_SU_SY_EESZ_S10_S11_S12_S16_S17_S18_S1B_S1C_jS1D_jS1E_S1E_jjS1G_bEUljE0_EEESZ_S10_S11_S18_S1C_S1E_T6_T7_T9_mT8_S1G_bDpT10_ENKUlT_T0_E_clISt17integral_constantIbLb1EES1T_IbLb0EEEEDaS1P_S1Q_EUlS1P_E_NS1_11comp_targetILNS1_3genE9ELNS1_11target_archE1100ELNS1_3gpuE3ELNS1_3repE0EEENS1_30default_config_static_selectorELNS0_4arch9wavefront6targetE1EEEvS12_
	.p2align	8
	.type	_ZN7rocprim17ROCPRIM_400000_NS6detail17trampoline_kernelINS0_13select_configILj256ELj13ELNS0_17block_load_methodE3ELS4_3ELS4_3ELNS0_20block_scan_algorithmE0ELj4294967295EEENS1_25partition_config_selectorILNS1_17partition_subalgoE4EjNS0_10empty_typeEbEEZZNS1_14partition_implILS8_4ELb0ES6_15HIP_vector_typeIjLj2EENS0_17counting_iteratorIjlEEPS9_SG_NS0_5tupleIJPjSI_NS0_16reverse_iteratorISI_EEEEENSH_IJSG_SG_SG_EEES9_SI_JZNS1_25segmented_radix_sort_implINS0_14default_configELb0EPKiPiPKlPlN2at6native12_GLOBAL__N_18offset_tEEE10hipError_tPvRmT1_PNSt15iterator_traitsIS12_E10value_typeET2_T3_PNS13_IS18_E10value_typeET4_jRbjT5_S1E_jjP12ihipStream_tbEUljE_ZNSN_ISO_Lb0ESQ_SR_ST_SU_SY_EESZ_S10_S11_S12_S16_S17_S18_S1B_S1C_jS1D_jS1E_S1E_jjS1G_bEUljE0_EEESZ_S10_S11_S18_S1C_S1E_T6_T7_T9_mT8_S1G_bDpT10_ENKUlT_T0_E_clISt17integral_constantIbLb1EES1T_IbLb0EEEEDaS1P_S1Q_EUlS1P_E_NS1_11comp_targetILNS1_3genE9ELNS1_11target_archE1100ELNS1_3gpuE3ELNS1_3repE0EEENS1_30default_config_static_selectorELNS0_4arch9wavefront6targetE1EEEvS12_,@function
_ZN7rocprim17ROCPRIM_400000_NS6detail17trampoline_kernelINS0_13select_configILj256ELj13ELNS0_17block_load_methodE3ELS4_3ELS4_3ELNS0_20block_scan_algorithmE0ELj4294967295EEENS1_25partition_config_selectorILNS1_17partition_subalgoE4EjNS0_10empty_typeEbEEZZNS1_14partition_implILS8_4ELb0ES6_15HIP_vector_typeIjLj2EENS0_17counting_iteratorIjlEEPS9_SG_NS0_5tupleIJPjSI_NS0_16reverse_iteratorISI_EEEEENSH_IJSG_SG_SG_EEES9_SI_JZNS1_25segmented_radix_sort_implINS0_14default_configELb0EPKiPiPKlPlN2at6native12_GLOBAL__N_18offset_tEEE10hipError_tPvRmT1_PNSt15iterator_traitsIS12_E10value_typeET2_T3_PNS13_IS18_E10value_typeET4_jRbjT5_S1E_jjP12ihipStream_tbEUljE_ZNSN_ISO_Lb0ESQ_SR_ST_SU_SY_EESZ_S10_S11_S12_S16_S17_S18_S1B_S1C_jS1D_jS1E_S1E_jjS1G_bEUljE0_EEESZ_S10_S11_S18_S1C_S1E_T6_T7_T9_mT8_S1G_bDpT10_ENKUlT_T0_E_clISt17integral_constantIbLb1EES1T_IbLb0EEEEDaS1P_S1Q_EUlS1P_E_NS1_11comp_targetILNS1_3genE9ELNS1_11target_archE1100ELNS1_3gpuE3ELNS1_3repE0EEENS1_30default_config_static_selectorELNS0_4arch9wavefront6targetE1EEEvS12_: ; @_ZN7rocprim17ROCPRIM_400000_NS6detail17trampoline_kernelINS0_13select_configILj256ELj13ELNS0_17block_load_methodE3ELS4_3ELS4_3ELNS0_20block_scan_algorithmE0ELj4294967295EEENS1_25partition_config_selectorILNS1_17partition_subalgoE4EjNS0_10empty_typeEbEEZZNS1_14partition_implILS8_4ELb0ES6_15HIP_vector_typeIjLj2EENS0_17counting_iteratorIjlEEPS9_SG_NS0_5tupleIJPjSI_NS0_16reverse_iteratorISI_EEEEENSH_IJSG_SG_SG_EEES9_SI_JZNS1_25segmented_radix_sort_implINS0_14default_configELb0EPKiPiPKlPlN2at6native12_GLOBAL__N_18offset_tEEE10hipError_tPvRmT1_PNSt15iterator_traitsIS12_E10value_typeET2_T3_PNS13_IS18_E10value_typeET4_jRbjT5_S1E_jjP12ihipStream_tbEUljE_ZNSN_ISO_Lb0ESQ_SR_ST_SU_SY_EESZ_S10_S11_S12_S16_S17_S18_S1B_S1C_jS1D_jS1E_S1E_jjS1G_bEUljE0_EEESZ_S10_S11_S18_S1C_S1E_T6_T7_T9_mT8_S1G_bDpT10_ENKUlT_T0_E_clISt17integral_constantIbLb1EES1T_IbLb0EEEEDaS1P_S1Q_EUlS1P_E_NS1_11comp_targetILNS1_3genE9ELNS1_11target_archE1100ELNS1_3gpuE3ELNS1_3repE0EEENS1_30default_config_static_selectorELNS0_4arch9wavefront6targetE1EEEvS12_
; %bb.0:
	.section	.rodata,"a",@progbits
	.p2align	6, 0x0
	.amdhsa_kernel _ZN7rocprim17ROCPRIM_400000_NS6detail17trampoline_kernelINS0_13select_configILj256ELj13ELNS0_17block_load_methodE3ELS4_3ELS4_3ELNS0_20block_scan_algorithmE0ELj4294967295EEENS1_25partition_config_selectorILNS1_17partition_subalgoE4EjNS0_10empty_typeEbEEZZNS1_14partition_implILS8_4ELb0ES6_15HIP_vector_typeIjLj2EENS0_17counting_iteratorIjlEEPS9_SG_NS0_5tupleIJPjSI_NS0_16reverse_iteratorISI_EEEEENSH_IJSG_SG_SG_EEES9_SI_JZNS1_25segmented_radix_sort_implINS0_14default_configELb0EPKiPiPKlPlN2at6native12_GLOBAL__N_18offset_tEEE10hipError_tPvRmT1_PNSt15iterator_traitsIS12_E10value_typeET2_T3_PNS13_IS18_E10value_typeET4_jRbjT5_S1E_jjP12ihipStream_tbEUljE_ZNSN_ISO_Lb0ESQ_SR_ST_SU_SY_EESZ_S10_S11_S12_S16_S17_S18_S1B_S1C_jS1D_jS1E_S1E_jjS1G_bEUljE0_EEESZ_S10_S11_S18_S1C_S1E_T6_T7_T9_mT8_S1G_bDpT10_ENKUlT_T0_E_clISt17integral_constantIbLb1EES1T_IbLb0EEEEDaS1P_S1Q_EUlS1P_E_NS1_11comp_targetILNS1_3genE9ELNS1_11target_archE1100ELNS1_3gpuE3ELNS1_3repE0EEENS1_30default_config_static_selectorELNS0_4arch9wavefront6targetE1EEEvS12_
		.amdhsa_group_segment_fixed_size 0
		.amdhsa_private_segment_fixed_size 0
		.amdhsa_kernarg_size 176
		.amdhsa_user_sgpr_count 6
		.amdhsa_user_sgpr_private_segment_buffer 1
		.amdhsa_user_sgpr_dispatch_ptr 0
		.amdhsa_user_sgpr_queue_ptr 0
		.amdhsa_user_sgpr_kernarg_segment_ptr 1
		.amdhsa_user_sgpr_dispatch_id 0
		.amdhsa_user_sgpr_flat_scratch_init 0
		.amdhsa_user_sgpr_private_segment_size 0
		.amdhsa_uses_dynamic_stack 0
		.amdhsa_system_sgpr_private_segment_wavefront_offset 0
		.amdhsa_system_sgpr_workgroup_id_x 1
		.amdhsa_system_sgpr_workgroup_id_y 0
		.amdhsa_system_sgpr_workgroup_id_z 0
		.amdhsa_system_sgpr_workgroup_info 0
		.amdhsa_system_vgpr_workitem_id 0
		.amdhsa_next_free_vgpr 1
		.amdhsa_next_free_sgpr 0
		.amdhsa_reserve_vcc 0
		.amdhsa_reserve_flat_scratch 0
		.amdhsa_float_round_mode_32 0
		.amdhsa_float_round_mode_16_64 0
		.amdhsa_float_denorm_mode_32 3
		.amdhsa_float_denorm_mode_16_64 3
		.amdhsa_dx10_clamp 1
		.amdhsa_ieee_mode 1
		.amdhsa_fp16_overflow 0
		.amdhsa_exception_fp_ieee_invalid_op 0
		.amdhsa_exception_fp_denorm_src 0
		.amdhsa_exception_fp_ieee_div_zero 0
		.amdhsa_exception_fp_ieee_overflow 0
		.amdhsa_exception_fp_ieee_underflow 0
		.amdhsa_exception_fp_ieee_inexact 0
		.amdhsa_exception_int_div_zero 0
	.end_amdhsa_kernel
	.section	.text._ZN7rocprim17ROCPRIM_400000_NS6detail17trampoline_kernelINS0_13select_configILj256ELj13ELNS0_17block_load_methodE3ELS4_3ELS4_3ELNS0_20block_scan_algorithmE0ELj4294967295EEENS1_25partition_config_selectorILNS1_17partition_subalgoE4EjNS0_10empty_typeEbEEZZNS1_14partition_implILS8_4ELb0ES6_15HIP_vector_typeIjLj2EENS0_17counting_iteratorIjlEEPS9_SG_NS0_5tupleIJPjSI_NS0_16reverse_iteratorISI_EEEEENSH_IJSG_SG_SG_EEES9_SI_JZNS1_25segmented_radix_sort_implINS0_14default_configELb0EPKiPiPKlPlN2at6native12_GLOBAL__N_18offset_tEEE10hipError_tPvRmT1_PNSt15iterator_traitsIS12_E10value_typeET2_T3_PNS13_IS18_E10value_typeET4_jRbjT5_S1E_jjP12ihipStream_tbEUljE_ZNSN_ISO_Lb0ESQ_SR_ST_SU_SY_EESZ_S10_S11_S12_S16_S17_S18_S1B_S1C_jS1D_jS1E_S1E_jjS1G_bEUljE0_EEESZ_S10_S11_S18_S1C_S1E_T6_T7_T9_mT8_S1G_bDpT10_ENKUlT_T0_E_clISt17integral_constantIbLb1EES1T_IbLb0EEEEDaS1P_S1Q_EUlS1P_E_NS1_11comp_targetILNS1_3genE9ELNS1_11target_archE1100ELNS1_3gpuE3ELNS1_3repE0EEENS1_30default_config_static_selectorELNS0_4arch9wavefront6targetE1EEEvS12_,"axG",@progbits,_ZN7rocprim17ROCPRIM_400000_NS6detail17trampoline_kernelINS0_13select_configILj256ELj13ELNS0_17block_load_methodE3ELS4_3ELS4_3ELNS0_20block_scan_algorithmE0ELj4294967295EEENS1_25partition_config_selectorILNS1_17partition_subalgoE4EjNS0_10empty_typeEbEEZZNS1_14partition_implILS8_4ELb0ES6_15HIP_vector_typeIjLj2EENS0_17counting_iteratorIjlEEPS9_SG_NS0_5tupleIJPjSI_NS0_16reverse_iteratorISI_EEEEENSH_IJSG_SG_SG_EEES9_SI_JZNS1_25segmented_radix_sort_implINS0_14default_configELb0EPKiPiPKlPlN2at6native12_GLOBAL__N_18offset_tEEE10hipError_tPvRmT1_PNSt15iterator_traitsIS12_E10value_typeET2_T3_PNS13_IS18_E10value_typeET4_jRbjT5_S1E_jjP12ihipStream_tbEUljE_ZNSN_ISO_Lb0ESQ_SR_ST_SU_SY_EESZ_S10_S11_S12_S16_S17_S18_S1B_S1C_jS1D_jS1E_S1E_jjS1G_bEUljE0_EEESZ_S10_S11_S18_S1C_S1E_T6_T7_T9_mT8_S1G_bDpT10_ENKUlT_T0_E_clISt17integral_constantIbLb1EES1T_IbLb0EEEEDaS1P_S1Q_EUlS1P_E_NS1_11comp_targetILNS1_3genE9ELNS1_11target_archE1100ELNS1_3gpuE3ELNS1_3repE0EEENS1_30default_config_static_selectorELNS0_4arch9wavefront6targetE1EEEvS12_,comdat
.Lfunc_end558:
	.size	_ZN7rocprim17ROCPRIM_400000_NS6detail17trampoline_kernelINS0_13select_configILj256ELj13ELNS0_17block_load_methodE3ELS4_3ELS4_3ELNS0_20block_scan_algorithmE0ELj4294967295EEENS1_25partition_config_selectorILNS1_17partition_subalgoE4EjNS0_10empty_typeEbEEZZNS1_14partition_implILS8_4ELb0ES6_15HIP_vector_typeIjLj2EENS0_17counting_iteratorIjlEEPS9_SG_NS0_5tupleIJPjSI_NS0_16reverse_iteratorISI_EEEEENSH_IJSG_SG_SG_EEES9_SI_JZNS1_25segmented_radix_sort_implINS0_14default_configELb0EPKiPiPKlPlN2at6native12_GLOBAL__N_18offset_tEEE10hipError_tPvRmT1_PNSt15iterator_traitsIS12_E10value_typeET2_T3_PNS13_IS18_E10value_typeET4_jRbjT5_S1E_jjP12ihipStream_tbEUljE_ZNSN_ISO_Lb0ESQ_SR_ST_SU_SY_EESZ_S10_S11_S12_S16_S17_S18_S1B_S1C_jS1D_jS1E_S1E_jjS1G_bEUljE0_EEESZ_S10_S11_S18_S1C_S1E_T6_T7_T9_mT8_S1G_bDpT10_ENKUlT_T0_E_clISt17integral_constantIbLb1EES1T_IbLb0EEEEDaS1P_S1Q_EUlS1P_E_NS1_11comp_targetILNS1_3genE9ELNS1_11target_archE1100ELNS1_3gpuE3ELNS1_3repE0EEENS1_30default_config_static_selectorELNS0_4arch9wavefront6targetE1EEEvS12_, .Lfunc_end558-_ZN7rocprim17ROCPRIM_400000_NS6detail17trampoline_kernelINS0_13select_configILj256ELj13ELNS0_17block_load_methodE3ELS4_3ELS4_3ELNS0_20block_scan_algorithmE0ELj4294967295EEENS1_25partition_config_selectorILNS1_17partition_subalgoE4EjNS0_10empty_typeEbEEZZNS1_14partition_implILS8_4ELb0ES6_15HIP_vector_typeIjLj2EENS0_17counting_iteratorIjlEEPS9_SG_NS0_5tupleIJPjSI_NS0_16reverse_iteratorISI_EEEEENSH_IJSG_SG_SG_EEES9_SI_JZNS1_25segmented_radix_sort_implINS0_14default_configELb0EPKiPiPKlPlN2at6native12_GLOBAL__N_18offset_tEEE10hipError_tPvRmT1_PNSt15iterator_traitsIS12_E10value_typeET2_T3_PNS13_IS18_E10value_typeET4_jRbjT5_S1E_jjP12ihipStream_tbEUljE_ZNSN_ISO_Lb0ESQ_SR_ST_SU_SY_EESZ_S10_S11_S12_S16_S17_S18_S1B_S1C_jS1D_jS1E_S1E_jjS1G_bEUljE0_EEESZ_S10_S11_S18_S1C_S1E_T6_T7_T9_mT8_S1G_bDpT10_ENKUlT_T0_E_clISt17integral_constantIbLb1EES1T_IbLb0EEEEDaS1P_S1Q_EUlS1P_E_NS1_11comp_targetILNS1_3genE9ELNS1_11target_archE1100ELNS1_3gpuE3ELNS1_3repE0EEENS1_30default_config_static_selectorELNS0_4arch9wavefront6targetE1EEEvS12_
                                        ; -- End function
	.set _ZN7rocprim17ROCPRIM_400000_NS6detail17trampoline_kernelINS0_13select_configILj256ELj13ELNS0_17block_load_methodE3ELS4_3ELS4_3ELNS0_20block_scan_algorithmE0ELj4294967295EEENS1_25partition_config_selectorILNS1_17partition_subalgoE4EjNS0_10empty_typeEbEEZZNS1_14partition_implILS8_4ELb0ES6_15HIP_vector_typeIjLj2EENS0_17counting_iteratorIjlEEPS9_SG_NS0_5tupleIJPjSI_NS0_16reverse_iteratorISI_EEEEENSH_IJSG_SG_SG_EEES9_SI_JZNS1_25segmented_radix_sort_implINS0_14default_configELb0EPKiPiPKlPlN2at6native12_GLOBAL__N_18offset_tEEE10hipError_tPvRmT1_PNSt15iterator_traitsIS12_E10value_typeET2_T3_PNS13_IS18_E10value_typeET4_jRbjT5_S1E_jjP12ihipStream_tbEUljE_ZNSN_ISO_Lb0ESQ_SR_ST_SU_SY_EESZ_S10_S11_S12_S16_S17_S18_S1B_S1C_jS1D_jS1E_S1E_jjS1G_bEUljE0_EEESZ_S10_S11_S18_S1C_S1E_T6_T7_T9_mT8_S1G_bDpT10_ENKUlT_T0_E_clISt17integral_constantIbLb1EES1T_IbLb0EEEEDaS1P_S1Q_EUlS1P_E_NS1_11comp_targetILNS1_3genE9ELNS1_11target_archE1100ELNS1_3gpuE3ELNS1_3repE0EEENS1_30default_config_static_selectorELNS0_4arch9wavefront6targetE1EEEvS12_.num_vgpr, 0
	.set _ZN7rocprim17ROCPRIM_400000_NS6detail17trampoline_kernelINS0_13select_configILj256ELj13ELNS0_17block_load_methodE3ELS4_3ELS4_3ELNS0_20block_scan_algorithmE0ELj4294967295EEENS1_25partition_config_selectorILNS1_17partition_subalgoE4EjNS0_10empty_typeEbEEZZNS1_14partition_implILS8_4ELb0ES6_15HIP_vector_typeIjLj2EENS0_17counting_iteratorIjlEEPS9_SG_NS0_5tupleIJPjSI_NS0_16reverse_iteratorISI_EEEEENSH_IJSG_SG_SG_EEES9_SI_JZNS1_25segmented_radix_sort_implINS0_14default_configELb0EPKiPiPKlPlN2at6native12_GLOBAL__N_18offset_tEEE10hipError_tPvRmT1_PNSt15iterator_traitsIS12_E10value_typeET2_T3_PNS13_IS18_E10value_typeET4_jRbjT5_S1E_jjP12ihipStream_tbEUljE_ZNSN_ISO_Lb0ESQ_SR_ST_SU_SY_EESZ_S10_S11_S12_S16_S17_S18_S1B_S1C_jS1D_jS1E_S1E_jjS1G_bEUljE0_EEESZ_S10_S11_S18_S1C_S1E_T6_T7_T9_mT8_S1G_bDpT10_ENKUlT_T0_E_clISt17integral_constantIbLb1EES1T_IbLb0EEEEDaS1P_S1Q_EUlS1P_E_NS1_11comp_targetILNS1_3genE9ELNS1_11target_archE1100ELNS1_3gpuE3ELNS1_3repE0EEENS1_30default_config_static_selectorELNS0_4arch9wavefront6targetE1EEEvS12_.num_agpr, 0
	.set _ZN7rocprim17ROCPRIM_400000_NS6detail17trampoline_kernelINS0_13select_configILj256ELj13ELNS0_17block_load_methodE3ELS4_3ELS4_3ELNS0_20block_scan_algorithmE0ELj4294967295EEENS1_25partition_config_selectorILNS1_17partition_subalgoE4EjNS0_10empty_typeEbEEZZNS1_14partition_implILS8_4ELb0ES6_15HIP_vector_typeIjLj2EENS0_17counting_iteratorIjlEEPS9_SG_NS0_5tupleIJPjSI_NS0_16reverse_iteratorISI_EEEEENSH_IJSG_SG_SG_EEES9_SI_JZNS1_25segmented_radix_sort_implINS0_14default_configELb0EPKiPiPKlPlN2at6native12_GLOBAL__N_18offset_tEEE10hipError_tPvRmT1_PNSt15iterator_traitsIS12_E10value_typeET2_T3_PNS13_IS18_E10value_typeET4_jRbjT5_S1E_jjP12ihipStream_tbEUljE_ZNSN_ISO_Lb0ESQ_SR_ST_SU_SY_EESZ_S10_S11_S12_S16_S17_S18_S1B_S1C_jS1D_jS1E_S1E_jjS1G_bEUljE0_EEESZ_S10_S11_S18_S1C_S1E_T6_T7_T9_mT8_S1G_bDpT10_ENKUlT_T0_E_clISt17integral_constantIbLb1EES1T_IbLb0EEEEDaS1P_S1Q_EUlS1P_E_NS1_11comp_targetILNS1_3genE9ELNS1_11target_archE1100ELNS1_3gpuE3ELNS1_3repE0EEENS1_30default_config_static_selectorELNS0_4arch9wavefront6targetE1EEEvS12_.numbered_sgpr, 0
	.set _ZN7rocprim17ROCPRIM_400000_NS6detail17trampoline_kernelINS0_13select_configILj256ELj13ELNS0_17block_load_methodE3ELS4_3ELS4_3ELNS0_20block_scan_algorithmE0ELj4294967295EEENS1_25partition_config_selectorILNS1_17partition_subalgoE4EjNS0_10empty_typeEbEEZZNS1_14partition_implILS8_4ELb0ES6_15HIP_vector_typeIjLj2EENS0_17counting_iteratorIjlEEPS9_SG_NS0_5tupleIJPjSI_NS0_16reverse_iteratorISI_EEEEENSH_IJSG_SG_SG_EEES9_SI_JZNS1_25segmented_radix_sort_implINS0_14default_configELb0EPKiPiPKlPlN2at6native12_GLOBAL__N_18offset_tEEE10hipError_tPvRmT1_PNSt15iterator_traitsIS12_E10value_typeET2_T3_PNS13_IS18_E10value_typeET4_jRbjT5_S1E_jjP12ihipStream_tbEUljE_ZNSN_ISO_Lb0ESQ_SR_ST_SU_SY_EESZ_S10_S11_S12_S16_S17_S18_S1B_S1C_jS1D_jS1E_S1E_jjS1G_bEUljE0_EEESZ_S10_S11_S18_S1C_S1E_T6_T7_T9_mT8_S1G_bDpT10_ENKUlT_T0_E_clISt17integral_constantIbLb1EES1T_IbLb0EEEEDaS1P_S1Q_EUlS1P_E_NS1_11comp_targetILNS1_3genE9ELNS1_11target_archE1100ELNS1_3gpuE3ELNS1_3repE0EEENS1_30default_config_static_selectorELNS0_4arch9wavefront6targetE1EEEvS12_.num_named_barrier, 0
	.set _ZN7rocprim17ROCPRIM_400000_NS6detail17trampoline_kernelINS0_13select_configILj256ELj13ELNS0_17block_load_methodE3ELS4_3ELS4_3ELNS0_20block_scan_algorithmE0ELj4294967295EEENS1_25partition_config_selectorILNS1_17partition_subalgoE4EjNS0_10empty_typeEbEEZZNS1_14partition_implILS8_4ELb0ES6_15HIP_vector_typeIjLj2EENS0_17counting_iteratorIjlEEPS9_SG_NS0_5tupleIJPjSI_NS0_16reverse_iteratorISI_EEEEENSH_IJSG_SG_SG_EEES9_SI_JZNS1_25segmented_radix_sort_implINS0_14default_configELb0EPKiPiPKlPlN2at6native12_GLOBAL__N_18offset_tEEE10hipError_tPvRmT1_PNSt15iterator_traitsIS12_E10value_typeET2_T3_PNS13_IS18_E10value_typeET4_jRbjT5_S1E_jjP12ihipStream_tbEUljE_ZNSN_ISO_Lb0ESQ_SR_ST_SU_SY_EESZ_S10_S11_S12_S16_S17_S18_S1B_S1C_jS1D_jS1E_S1E_jjS1G_bEUljE0_EEESZ_S10_S11_S18_S1C_S1E_T6_T7_T9_mT8_S1G_bDpT10_ENKUlT_T0_E_clISt17integral_constantIbLb1EES1T_IbLb0EEEEDaS1P_S1Q_EUlS1P_E_NS1_11comp_targetILNS1_3genE9ELNS1_11target_archE1100ELNS1_3gpuE3ELNS1_3repE0EEENS1_30default_config_static_selectorELNS0_4arch9wavefront6targetE1EEEvS12_.private_seg_size, 0
	.set _ZN7rocprim17ROCPRIM_400000_NS6detail17trampoline_kernelINS0_13select_configILj256ELj13ELNS0_17block_load_methodE3ELS4_3ELS4_3ELNS0_20block_scan_algorithmE0ELj4294967295EEENS1_25partition_config_selectorILNS1_17partition_subalgoE4EjNS0_10empty_typeEbEEZZNS1_14partition_implILS8_4ELb0ES6_15HIP_vector_typeIjLj2EENS0_17counting_iteratorIjlEEPS9_SG_NS0_5tupleIJPjSI_NS0_16reverse_iteratorISI_EEEEENSH_IJSG_SG_SG_EEES9_SI_JZNS1_25segmented_radix_sort_implINS0_14default_configELb0EPKiPiPKlPlN2at6native12_GLOBAL__N_18offset_tEEE10hipError_tPvRmT1_PNSt15iterator_traitsIS12_E10value_typeET2_T3_PNS13_IS18_E10value_typeET4_jRbjT5_S1E_jjP12ihipStream_tbEUljE_ZNSN_ISO_Lb0ESQ_SR_ST_SU_SY_EESZ_S10_S11_S12_S16_S17_S18_S1B_S1C_jS1D_jS1E_S1E_jjS1G_bEUljE0_EEESZ_S10_S11_S18_S1C_S1E_T6_T7_T9_mT8_S1G_bDpT10_ENKUlT_T0_E_clISt17integral_constantIbLb1EES1T_IbLb0EEEEDaS1P_S1Q_EUlS1P_E_NS1_11comp_targetILNS1_3genE9ELNS1_11target_archE1100ELNS1_3gpuE3ELNS1_3repE0EEENS1_30default_config_static_selectorELNS0_4arch9wavefront6targetE1EEEvS12_.uses_vcc, 0
	.set _ZN7rocprim17ROCPRIM_400000_NS6detail17trampoline_kernelINS0_13select_configILj256ELj13ELNS0_17block_load_methodE3ELS4_3ELS4_3ELNS0_20block_scan_algorithmE0ELj4294967295EEENS1_25partition_config_selectorILNS1_17partition_subalgoE4EjNS0_10empty_typeEbEEZZNS1_14partition_implILS8_4ELb0ES6_15HIP_vector_typeIjLj2EENS0_17counting_iteratorIjlEEPS9_SG_NS0_5tupleIJPjSI_NS0_16reverse_iteratorISI_EEEEENSH_IJSG_SG_SG_EEES9_SI_JZNS1_25segmented_radix_sort_implINS0_14default_configELb0EPKiPiPKlPlN2at6native12_GLOBAL__N_18offset_tEEE10hipError_tPvRmT1_PNSt15iterator_traitsIS12_E10value_typeET2_T3_PNS13_IS18_E10value_typeET4_jRbjT5_S1E_jjP12ihipStream_tbEUljE_ZNSN_ISO_Lb0ESQ_SR_ST_SU_SY_EESZ_S10_S11_S12_S16_S17_S18_S1B_S1C_jS1D_jS1E_S1E_jjS1G_bEUljE0_EEESZ_S10_S11_S18_S1C_S1E_T6_T7_T9_mT8_S1G_bDpT10_ENKUlT_T0_E_clISt17integral_constantIbLb1EES1T_IbLb0EEEEDaS1P_S1Q_EUlS1P_E_NS1_11comp_targetILNS1_3genE9ELNS1_11target_archE1100ELNS1_3gpuE3ELNS1_3repE0EEENS1_30default_config_static_selectorELNS0_4arch9wavefront6targetE1EEEvS12_.uses_flat_scratch, 0
	.set _ZN7rocprim17ROCPRIM_400000_NS6detail17trampoline_kernelINS0_13select_configILj256ELj13ELNS0_17block_load_methodE3ELS4_3ELS4_3ELNS0_20block_scan_algorithmE0ELj4294967295EEENS1_25partition_config_selectorILNS1_17partition_subalgoE4EjNS0_10empty_typeEbEEZZNS1_14partition_implILS8_4ELb0ES6_15HIP_vector_typeIjLj2EENS0_17counting_iteratorIjlEEPS9_SG_NS0_5tupleIJPjSI_NS0_16reverse_iteratorISI_EEEEENSH_IJSG_SG_SG_EEES9_SI_JZNS1_25segmented_radix_sort_implINS0_14default_configELb0EPKiPiPKlPlN2at6native12_GLOBAL__N_18offset_tEEE10hipError_tPvRmT1_PNSt15iterator_traitsIS12_E10value_typeET2_T3_PNS13_IS18_E10value_typeET4_jRbjT5_S1E_jjP12ihipStream_tbEUljE_ZNSN_ISO_Lb0ESQ_SR_ST_SU_SY_EESZ_S10_S11_S12_S16_S17_S18_S1B_S1C_jS1D_jS1E_S1E_jjS1G_bEUljE0_EEESZ_S10_S11_S18_S1C_S1E_T6_T7_T9_mT8_S1G_bDpT10_ENKUlT_T0_E_clISt17integral_constantIbLb1EES1T_IbLb0EEEEDaS1P_S1Q_EUlS1P_E_NS1_11comp_targetILNS1_3genE9ELNS1_11target_archE1100ELNS1_3gpuE3ELNS1_3repE0EEENS1_30default_config_static_selectorELNS0_4arch9wavefront6targetE1EEEvS12_.has_dyn_sized_stack, 0
	.set _ZN7rocprim17ROCPRIM_400000_NS6detail17trampoline_kernelINS0_13select_configILj256ELj13ELNS0_17block_load_methodE3ELS4_3ELS4_3ELNS0_20block_scan_algorithmE0ELj4294967295EEENS1_25partition_config_selectorILNS1_17partition_subalgoE4EjNS0_10empty_typeEbEEZZNS1_14partition_implILS8_4ELb0ES6_15HIP_vector_typeIjLj2EENS0_17counting_iteratorIjlEEPS9_SG_NS0_5tupleIJPjSI_NS0_16reverse_iteratorISI_EEEEENSH_IJSG_SG_SG_EEES9_SI_JZNS1_25segmented_radix_sort_implINS0_14default_configELb0EPKiPiPKlPlN2at6native12_GLOBAL__N_18offset_tEEE10hipError_tPvRmT1_PNSt15iterator_traitsIS12_E10value_typeET2_T3_PNS13_IS18_E10value_typeET4_jRbjT5_S1E_jjP12ihipStream_tbEUljE_ZNSN_ISO_Lb0ESQ_SR_ST_SU_SY_EESZ_S10_S11_S12_S16_S17_S18_S1B_S1C_jS1D_jS1E_S1E_jjS1G_bEUljE0_EEESZ_S10_S11_S18_S1C_S1E_T6_T7_T9_mT8_S1G_bDpT10_ENKUlT_T0_E_clISt17integral_constantIbLb1EES1T_IbLb0EEEEDaS1P_S1Q_EUlS1P_E_NS1_11comp_targetILNS1_3genE9ELNS1_11target_archE1100ELNS1_3gpuE3ELNS1_3repE0EEENS1_30default_config_static_selectorELNS0_4arch9wavefront6targetE1EEEvS12_.has_recursion, 0
	.set _ZN7rocprim17ROCPRIM_400000_NS6detail17trampoline_kernelINS0_13select_configILj256ELj13ELNS0_17block_load_methodE3ELS4_3ELS4_3ELNS0_20block_scan_algorithmE0ELj4294967295EEENS1_25partition_config_selectorILNS1_17partition_subalgoE4EjNS0_10empty_typeEbEEZZNS1_14partition_implILS8_4ELb0ES6_15HIP_vector_typeIjLj2EENS0_17counting_iteratorIjlEEPS9_SG_NS0_5tupleIJPjSI_NS0_16reverse_iteratorISI_EEEEENSH_IJSG_SG_SG_EEES9_SI_JZNS1_25segmented_radix_sort_implINS0_14default_configELb0EPKiPiPKlPlN2at6native12_GLOBAL__N_18offset_tEEE10hipError_tPvRmT1_PNSt15iterator_traitsIS12_E10value_typeET2_T3_PNS13_IS18_E10value_typeET4_jRbjT5_S1E_jjP12ihipStream_tbEUljE_ZNSN_ISO_Lb0ESQ_SR_ST_SU_SY_EESZ_S10_S11_S12_S16_S17_S18_S1B_S1C_jS1D_jS1E_S1E_jjS1G_bEUljE0_EEESZ_S10_S11_S18_S1C_S1E_T6_T7_T9_mT8_S1G_bDpT10_ENKUlT_T0_E_clISt17integral_constantIbLb1EES1T_IbLb0EEEEDaS1P_S1Q_EUlS1P_E_NS1_11comp_targetILNS1_3genE9ELNS1_11target_archE1100ELNS1_3gpuE3ELNS1_3repE0EEENS1_30default_config_static_selectorELNS0_4arch9wavefront6targetE1EEEvS12_.has_indirect_call, 0
	.section	.AMDGPU.csdata,"",@progbits
; Kernel info:
; codeLenInByte = 0
; TotalNumSgprs: 4
; NumVgprs: 0
; ScratchSize: 0
; MemoryBound: 0
; FloatMode: 240
; IeeeMode: 1
; LDSByteSize: 0 bytes/workgroup (compile time only)
; SGPRBlocks: 0
; VGPRBlocks: 0
; NumSGPRsForWavesPerEU: 4
; NumVGPRsForWavesPerEU: 1
; Occupancy: 10
; WaveLimiterHint : 0
; COMPUTE_PGM_RSRC2:SCRATCH_EN: 0
; COMPUTE_PGM_RSRC2:USER_SGPR: 6
; COMPUTE_PGM_RSRC2:TRAP_HANDLER: 0
; COMPUTE_PGM_RSRC2:TGID_X_EN: 1
; COMPUTE_PGM_RSRC2:TGID_Y_EN: 0
; COMPUTE_PGM_RSRC2:TGID_Z_EN: 0
; COMPUTE_PGM_RSRC2:TIDIG_COMP_CNT: 0
	.section	.text._ZN7rocprim17ROCPRIM_400000_NS6detail17trampoline_kernelINS0_13select_configILj256ELj13ELNS0_17block_load_methodE3ELS4_3ELS4_3ELNS0_20block_scan_algorithmE0ELj4294967295EEENS1_25partition_config_selectorILNS1_17partition_subalgoE4EjNS0_10empty_typeEbEEZZNS1_14partition_implILS8_4ELb0ES6_15HIP_vector_typeIjLj2EENS0_17counting_iteratorIjlEEPS9_SG_NS0_5tupleIJPjSI_NS0_16reverse_iteratorISI_EEEEENSH_IJSG_SG_SG_EEES9_SI_JZNS1_25segmented_radix_sort_implINS0_14default_configELb0EPKiPiPKlPlN2at6native12_GLOBAL__N_18offset_tEEE10hipError_tPvRmT1_PNSt15iterator_traitsIS12_E10value_typeET2_T3_PNS13_IS18_E10value_typeET4_jRbjT5_S1E_jjP12ihipStream_tbEUljE_ZNSN_ISO_Lb0ESQ_SR_ST_SU_SY_EESZ_S10_S11_S12_S16_S17_S18_S1B_S1C_jS1D_jS1E_S1E_jjS1G_bEUljE0_EEESZ_S10_S11_S18_S1C_S1E_T6_T7_T9_mT8_S1G_bDpT10_ENKUlT_T0_E_clISt17integral_constantIbLb1EES1T_IbLb0EEEEDaS1P_S1Q_EUlS1P_E_NS1_11comp_targetILNS1_3genE8ELNS1_11target_archE1030ELNS1_3gpuE2ELNS1_3repE0EEENS1_30default_config_static_selectorELNS0_4arch9wavefront6targetE1EEEvS12_,"axG",@progbits,_ZN7rocprim17ROCPRIM_400000_NS6detail17trampoline_kernelINS0_13select_configILj256ELj13ELNS0_17block_load_methodE3ELS4_3ELS4_3ELNS0_20block_scan_algorithmE0ELj4294967295EEENS1_25partition_config_selectorILNS1_17partition_subalgoE4EjNS0_10empty_typeEbEEZZNS1_14partition_implILS8_4ELb0ES6_15HIP_vector_typeIjLj2EENS0_17counting_iteratorIjlEEPS9_SG_NS0_5tupleIJPjSI_NS0_16reverse_iteratorISI_EEEEENSH_IJSG_SG_SG_EEES9_SI_JZNS1_25segmented_radix_sort_implINS0_14default_configELb0EPKiPiPKlPlN2at6native12_GLOBAL__N_18offset_tEEE10hipError_tPvRmT1_PNSt15iterator_traitsIS12_E10value_typeET2_T3_PNS13_IS18_E10value_typeET4_jRbjT5_S1E_jjP12ihipStream_tbEUljE_ZNSN_ISO_Lb0ESQ_SR_ST_SU_SY_EESZ_S10_S11_S12_S16_S17_S18_S1B_S1C_jS1D_jS1E_S1E_jjS1G_bEUljE0_EEESZ_S10_S11_S18_S1C_S1E_T6_T7_T9_mT8_S1G_bDpT10_ENKUlT_T0_E_clISt17integral_constantIbLb1EES1T_IbLb0EEEEDaS1P_S1Q_EUlS1P_E_NS1_11comp_targetILNS1_3genE8ELNS1_11target_archE1030ELNS1_3gpuE2ELNS1_3repE0EEENS1_30default_config_static_selectorELNS0_4arch9wavefront6targetE1EEEvS12_,comdat
	.globl	_ZN7rocprim17ROCPRIM_400000_NS6detail17trampoline_kernelINS0_13select_configILj256ELj13ELNS0_17block_load_methodE3ELS4_3ELS4_3ELNS0_20block_scan_algorithmE0ELj4294967295EEENS1_25partition_config_selectorILNS1_17partition_subalgoE4EjNS0_10empty_typeEbEEZZNS1_14partition_implILS8_4ELb0ES6_15HIP_vector_typeIjLj2EENS0_17counting_iteratorIjlEEPS9_SG_NS0_5tupleIJPjSI_NS0_16reverse_iteratorISI_EEEEENSH_IJSG_SG_SG_EEES9_SI_JZNS1_25segmented_radix_sort_implINS0_14default_configELb0EPKiPiPKlPlN2at6native12_GLOBAL__N_18offset_tEEE10hipError_tPvRmT1_PNSt15iterator_traitsIS12_E10value_typeET2_T3_PNS13_IS18_E10value_typeET4_jRbjT5_S1E_jjP12ihipStream_tbEUljE_ZNSN_ISO_Lb0ESQ_SR_ST_SU_SY_EESZ_S10_S11_S12_S16_S17_S18_S1B_S1C_jS1D_jS1E_S1E_jjS1G_bEUljE0_EEESZ_S10_S11_S18_S1C_S1E_T6_T7_T9_mT8_S1G_bDpT10_ENKUlT_T0_E_clISt17integral_constantIbLb1EES1T_IbLb0EEEEDaS1P_S1Q_EUlS1P_E_NS1_11comp_targetILNS1_3genE8ELNS1_11target_archE1030ELNS1_3gpuE2ELNS1_3repE0EEENS1_30default_config_static_selectorELNS0_4arch9wavefront6targetE1EEEvS12_ ; -- Begin function _ZN7rocprim17ROCPRIM_400000_NS6detail17trampoline_kernelINS0_13select_configILj256ELj13ELNS0_17block_load_methodE3ELS4_3ELS4_3ELNS0_20block_scan_algorithmE0ELj4294967295EEENS1_25partition_config_selectorILNS1_17partition_subalgoE4EjNS0_10empty_typeEbEEZZNS1_14partition_implILS8_4ELb0ES6_15HIP_vector_typeIjLj2EENS0_17counting_iteratorIjlEEPS9_SG_NS0_5tupleIJPjSI_NS0_16reverse_iteratorISI_EEEEENSH_IJSG_SG_SG_EEES9_SI_JZNS1_25segmented_radix_sort_implINS0_14default_configELb0EPKiPiPKlPlN2at6native12_GLOBAL__N_18offset_tEEE10hipError_tPvRmT1_PNSt15iterator_traitsIS12_E10value_typeET2_T3_PNS13_IS18_E10value_typeET4_jRbjT5_S1E_jjP12ihipStream_tbEUljE_ZNSN_ISO_Lb0ESQ_SR_ST_SU_SY_EESZ_S10_S11_S12_S16_S17_S18_S1B_S1C_jS1D_jS1E_S1E_jjS1G_bEUljE0_EEESZ_S10_S11_S18_S1C_S1E_T6_T7_T9_mT8_S1G_bDpT10_ENKUlT_T0_E_clISt17integral_constantIbLb1EES1T_IbLb0EEEEDaS1P_S1Q_EUlS1P_E_NS1_11comp_targetILNS1_3genE8ELNS1_11target_archE1030ELNS1_3gpuE2ELNS1_3repE0EEENS1_30default_config_static_selectorELNS0_4arch9wavefront6targetE1EEEvS12_
	.p2align	8
	.type	_ZN7rocprim17ROCPRIM_400000_NS6detail17trampoline_kernelINS0_13select_configILj256ELj13ELNS0_17block_load_methodE3ELS4_3ELS4_3ELNS0_20block_scan_algorithmE0ELj4294967295EEENS1_25partition_config_selectorILNS1_17partition_subalgoE4EjNS0_10empty_typeEbEEZZNS1_14partition_implILS8_4ELb0ES6_15HIP_vector_typeIjLj2EENS0_17counting_iteratorIjlEEPS9_SG_NS0_5tupleIJPjSI_NS0_16reverse_iteratorISI_EEEEENSH_IJSG_SG_SG_EEES9_SI_JZNS1_25segmented_radix_sort_implINS0_14default_configELb0EPKiPiPKlPlN2at6native12_GLOBAL__N_18offset_tEEE10hipError_tPvRmT1_PNSt15iterator_traitsIS12_E10value_typeET2_T3_PNS13_IS18_E10value_typeET4_jRbjT5_S1E_jjP12ihipStream_tbEUljE_ZNSN_ISO_Lb0ESQ_SR_ST_SU_SY_EESZ_S10_S11_S12_S16_S17_S18_S1B_S1C_jS1D_jS1E_S1E_jjS1G_bEUljE0_EEESZ_S10_S11_S18_S1C_S1E_T6_T7_T9_mT8_S1G_bDpT10_ENKUlT_T0_E_clISt17integral_constantIbLb1EES1T_IbLb0EEEEDaS1P_S1Q_EUlS1P_E_NS1_11comp_targetILNS1_3genE8ELNS1_11target_archE1030ELNS1_3gpuE2ELNS1_3repE0EEENS1_30default_config_static_selectorELNS0_4arch9wavefront6targetE1EEEvS12_,@function
_ZN7rocprim17ROCPRIM_400000_NS6detail17trampoline_kernelINS0_13select_configILj256ELj13ELNS0_17block_load_methodE3ELS4_3ELS4_3ELNS0_20block_scan_algorithmE0ELj4294967295EEENS1_25partition_config_selectorILNS1_17partition_subalgoE4EjNS0_10empty_typeEbEEZZNS1_14partition_implILS8_4ELb0ES6_15HIP_vector_typeIjLj2EENS0_17counting_iteratorIjlEEPS9_SG_NS0_5tupleIJPjSI_NS0_16reverse_iteratorISI_EEEEENSH_IJSG_SG_SG_EEES9_SI_JZNS1_25segmented_radix_sort_implINS0_14default_configELb0EPKiPiPKlPlN2at6native12_GLOBAL__N_18offset_tEEE10hipError_tPvRmT1_PNSt15iterator_traitsIS12_E10value_typeET2_T3_PNS13_IS18_E10value_typeET4_jRbjT5_S1E_jjP12ihipStream_tbEUljE_ZNSN_ISO_Lb0ESQ_SR_ST_SU_SY_EESZ_S10_S11_S12_S16_S17_S18_S1B_S1C_jS1D_jS1E_S1E_jjS1G_bEUljE0_EEESZ_S10_S11_S18_S1C_S1E_T6_T7_T9_mT8_S1G_bDpT10_ENKUlT_T0_E_clISt17integral_constantIbLb1EES1T_IbLb0EEEEDaS1P_S1Q_EUlS1P_E_NS1_11comp_targetILNS1_3genE8ELNS1_11target_archE1030ELNS1_3gpuE2ELNS1_3repE0EEENS1_30default_config_static_selectorELNS0_4arch9wavefront6targetE1EEEvS12_: ; @_ZN7rocprim17ROCPRIM_400000_NS6detail17trampoline_kernelINS0_13select_configILj256ELj13ELNS0_17block_load_methodE3ELS4_3ELS4_3ELNS0_20block_scan_algorithmE0ELj4294967295EEENS1_25partition_config_selectorILNS1_17partition_subalgoE4EjNS0_10empty_typeEbEEZZNS1_14partition_implILS8_4ELb0ES6_15HIP_vector_typeIjLj2EENS0_17counting_iteratorIjlEEPS9_SG_NS0_5tupleIJPjSI_NS0_16reverse_iteratorISI_EEEEENSH_IJSG_SG_SG_EEES9_SI_JZNS1_25segmented_radix_sort_implINS0_14default_configELb0EPKiPiPKlPlN2at6native12_GLOBAL__N_18offset_tEEE10hipError_tPvRmT1_PNSt15iterator_traitsIS12_E10value_typeET2_T3_PNS13_IS18_E10value_typeET4_jRbjT5_S1E_jjP12ihipStream_tbEUljE_ZNSN_ISO_Lb0ESQ_SR_ST_SU_SY_EESZ_S10_S11_S12_S16_S17_S18_S1B_S1C_jS1D_jS1E_S1E_jjS1G_bEUljE0_EEESZ_S10_S11_S18_S1C_S1E_T6_T7_T9_mT8_S1G_bDpT10_ENKUlT_T0_E_clISt17integral_constantIbLb1EES1T_IbLb0EEEEDaS1P_S1Q_EUlS1P_E_NS1_11comp_targetILNS1_3genE8ELNS1_11target_archE1030ELNS1_3gpuE2ELNS1_3repE0EEENS1_30default_config_static_selectorELNS0_4arch9wavefront6targetE1EEEvS12_
; %bb.0:
	.section	.rodata,"a",@progbits
	.p2align	6, 0x0
	.amdhsa_kernel _ZN7rocprim17ROCPRIM_400000_NS6detail17trampoline_kernelINS0_13select_configILj256ELj13ELNS0_17block_load_methodE3ELS4_3ELS4_3ELNS0_20block_scan_algorithmE0ELj4294967295EEENS1_25partition_config_selectorILNS1_17partition_subalgoE4EjNS0_10empty_typeEbEEZZNS1_14partition_implILS8_4ELb0ES6_15HIP_vector_typeIjLj2EENS0_17counting_iteratorIjlEEPS9_SG_NS0_5tupleIJPjSI_NS0_16reverse_iteratorISI_EEEEENSH_IJSG_SG_SG_EEES9_SI_JZNS1_25segmented_radix_sort_implINS0_14default_configELb0EPKiPiPKlPlN2at6native12_GLOBAL__N_18offset_tEEE10hipError_tPvRmT1_PNSt15iterator_traitsIS12_E10value_typeET2_T3_PNS13_IS18_E10value_typeET4_jRbjT5_S1E_jjP12ihipStream_tbEUljE_ZNSN_ISO_Lb0ESQ_SR_ST_SU_SY_EESZ_S10_S11_S12_S16_S17_S18_S1B_S1C_jS1D_jS1E_S1E_jjS1G_bEUljE0_EEESZ_S10_S11_S18_S1C_S1E_T6_T7_T9_mT8_S1G_bDpT10_ENKUlT_T0_E_clISt17integral_constantIbLb1EES1T_IbLb0EEEEDaS1P_S1Q_EUlS1P_E_NS1_11comp_targetILNS1_3genE8ELNS1_11target_archE1030ELNS1_3gpuE2ELNS1_3repE0EEENS1_30default_config_static_selectorELNS0_4arch9wavefront6targetE1EEEvS12_
		.amdhsa_group_segment_fixed_size 0
		.amdhsa_private_segment_fixed_size 0
		.amdhsa_kernarg_size 176
		.amdhsa_user_sgpr_count 6
		.amdhsa_user_sgpr_private_segment_buffer 1
		.amdhsa_user_sgpr_dispatch_ptr 0
		.amdhsa_user_sgpr_queue_ptr 0
		.amdhsa_user_sgpr_kernarg_segment_ptr 1
		.amdhsa_user_sgpr_dispatch_id 0
		.amdhsa_user_sgpr_flat_scratch_init 0
		.amdhsa_user_sgpr_private_segment_size 0
		.amdhsa_uses_dynamic_stack 0
		.amdhsa_system_sgpr_private_segment_wavefront_offset 0
		.amdhsa_system_sgpr_workgroup_id_x 1
		.amdhsa_system_sgpr_workgroup_id_y 0
		.amdhsa_system_sgpr_workgroup_id_z 0
		.amdhsa_system_sgpr_workgroup_info 0
		.amdhsa_system_vgpr_workitem_id 0
		.amdhsa_next_free_vgpr 1
		.amdhsa_next_free_sgpr 0
		.amdhsa_reserve_vcc 0
		.amdhsa_reserve_flat_scratch 0
		.amdhsa_float_round_mode_32 0
		.amdhsa_float_round_mode_16_64 0
		.amdhsa_float_denorm_mode_32 3
		.amdhsa_float_denorm_mode_16_64 3
		.amdhsa_dx10_clamp 1
		.amdhsa_ieee_mode 1
		.amdhsa_fp16_overflow 0
		.amdhsa_exception_fp_ieee_invalid_op 0
		.amdhsa_exception_fp_denorm_src 0
		.amdhsa_exception_fp_ieee_div_zero 0
		.amdhsa_exception_fp_ieee_overflow 0
		.amdhsa_exception_fp_ieee_underflow 0
		.amdhsa_exception_fp_ieee_inexact 0
		.amdhsa_exception_int_div_zero 0
	.end_amdhsa_kernel
	.section	.text._ZN7rocprim17ROCPRIM_400000_NS6detail17trampoline_kernelINS0_13select_configILj256ELj13ELNS0_17block_load_methodE3ELS4_3ELS4_3ELNS0_20block_scan_algorithmE0ELj4294967295EEENS1_25partition_config_selectorILNS1_17partition_subalgoE4EjNS0_10empty_typeEbEEZZNS1_14partition_implILS8_4ELb0ES6_15HIP_vector_typeIjLj2EENS0_17counting_iteratorIjlEEPS9_SG_NS0_5tupleIJPjSI_NS0_16reverse_iteratorISI_EEEEENSH_IJSG_SG_SG_EEES9_SI_JZNS1_25segmented_radix_sort_implINS0_14default_configELb0EPKiPiPKlPlN2at6native12_GLOBAL__N_18offset_tEEE10hipError_tPvRmT1_PNSt15iterator_traitsIS12_E10value_typeET2_T3_PNS13_IS18_E10value_typeET4_jRbjT5_S1E_jjP12ihipStream_tbEUljE_ZNSN_ISO_Lb0ESQ_SR_ST_SU_SY_EESZ_S10_S11_S12_S16_S17_S18_S1B_S1C_jS1D_jS1E_S1E_jjS1G_bEUljE0_EEESZ_S10_S11_S18_S1C_S1E_T6_T7_T9_mT8_S1G_bDpT10_ENKUlT_T0_E_clISt17integral_constantIbLb1EES1T_IbLb0EEEEDaS1P_S1Q_EUlS1P_E_NS1_11comp_targetILNS1_3genE8ELNS1_11target_archE1030ELNS1_3gpuE2ELNS1_3repE0EEENS1_30default_config_static_selectorELNS0_4arch9wavefront6targetE1EEEvS12_,"axG",@progbits,_ZN7rocprim17ROCPRIM_400000_NS6detail17trampoline_kernelINS0_13select_configILj256ELj13ELNS0_17block_load_methodE3ELS4_3ELS4_3ELNS0_20block_scan_algorithmE0ELj4294967295EEENS1_25partition_config_selectorILNS1_17partition_subalgoE4EjNS0_10empty_typeEbEEZZNS1_14partition_implILS8_4ELb0ES6_15HIP_vector_typeIjLj2EENS0_17counting_iteratorIjlEEPS9_SG_NS0_5tupleIJPjSI_NS0_16reverse_iteratorISI_EEEEENSH_IJSG_SG_SG_EEES9_SI_JZNS1_25segmented_radix_sort_implINS0_14default_configELb0EPKiPiPKlPlN2at6native12_GLOBAL__N_18offset_tEEE10hipError_tPvRmT1_PNSt15iterator_traitsIS12_E10value_typeET2_T3_PNS13_IS18_E10value_typeET4_jRbjT5_S1E_jjP12ihipStream_tbEUljE_ZNSN_ISO_Lb0ESQ_SR_ST_SU_SY_EESZ_S10_S11_S12_S16_S17_S18_S1B_S1C_jS1D_jS1E_S1E_jjS1G_bEUljE0_EEESZ_S10_S11_S18_S1C_S1E_T6_T7_T9_mT8_S1G_bDpT10_ENKUlT_T0_E_clISt17integral_constantIbLb1EES1T_IbLb0EEEEDaS1P_S1Q_EUlS1P_E_NS1_11comp_targetILNS1_3genE8ELNS1_11target_archE1030ELNS1_3gpuE2ELNS1_3repE0EEENS1_30default_config_static_selectorELNS0_4arch9wavefront6targetE1EEEvS12_,comdat
.Lfunc_end559:
	.size	_ZN7rocprim17ROCPRIM_400000_NS6detail17trampoline_kernelINS0_13select_configILj256ELj13ELNS0_17block_load_methodE3ELS4_3ELS4_3ELNS0_20block_scan_algorithmE0ELj4294967295EEENS1_25partition_config_selectorILNS1_17partition_subalgoE4EjNS0_10empty_typeEbEEZZNS1_14partition_implILS8_4ELb0ES6_15HIP_vector_typeIjLj2EENS0_17counting_iteratorIjlEEPS9_SG_NS0_5tupleIJPjSI_NS0_16reverse_iteratorISI_EEEEENSH_IJSG_SG_SG_EEES9_SI_JZNS1_25segmented_radix_sort_implINS0_14default_configELb0EPKiPiPKlPlN2at6native12_GLOBAL__N_18offset_tEEE10hipError_tPvRmT1_PNSt15iterator_traitsIS12_E10value_typeET2_T3_PNS13_IS18_E10value_typeET4_jRbjT5_S1E_jjP12ihipStream_tbEUljE_ZNSN_ISO_Lb0ESQ_SR_ST_SU_SY_EESZ_S10_S11_S12_S16_S17_S18_S1B_S1C_jS1D_jS1E_S1E_jjS1G_bEUljE0_EEESZ_S10_S11_S18_S1C_S1E_T6_T7_T9_mT8_S1G_bDpT10_ENKUlT_T0_E_clISt17integral_constantIbLb1EES1T_IbLb0EEEEDaS1P_S1Q_EUlS1P_E_NS1_11comp_targetILNS1_3genE8ELNS1_11target_archE1030ELNS1_3gpuE2ELNS1_3repE0EEENS1_30default_config_static_selectorELNS0_4arch9wavefront6targetE1EEEvS12_, .Lfunc_end559-_ZN7rocprim17ROCPRIM_400000_NS6detail17trampoline_kernelINS0_13select_configILj256ELj13ELNS0_17block_load_methodE3ELS4_3ELS4_3ELNS0_20block_scan_algorithmE0ELj4294967295EEENS1_25partition_config_selectorILNS1_17partition_subalgoE4EjNS0_10empty_typeEbEEZZNS1_14partition_implILS8_4ELb0ES6_15HIP_vector_typeIjLj2EENS0_17counting_iteratorIjlEEPS9_SG_NS0_5tupleIJPjSI_NS0_16reverse_iteratorISI_EEEEENSH_IJSG_SG_SG_EEES9_SI_JZNS1_25segmented_radix_sort_implINS0_14default_configELb0EPKiPiPKlPlN2at6native12_GLOBAL__N_18offset_tEEE10hipError_tPvRmT1_PNSt15iterator_traitsIS12_E10value_typeET2_T3_PNS13_IS18_E10value_typeET4_jRbjT5_S1E_jjP12ihipStream_tbEUljE_ZNSN_ISO_Lb0ESQ_SR_ST_SU_SY_EESZ_S10_S11_S12_S16_S17_S18_S1B_S1C_jS1D_jS1E_S1E_jjS1G_bEUljE0_EEESZ_S10_S11_S18_S1C_S1E_T6_T7_T9_mT8_S1G_bDpT10_ENKUlT_T0_E_clISt17integral_constantIbLb1EES1T_IbLb0EEEEDaS1P_S1Q_EUlS1P_E_NS1_11comp_targetILNS1_3genE8ELNS1_11target_archE1030ELNS1_3gpuE2ELNS1_3repE0EEENS1_30default_config_static_selectorELNS0_4arch9wavefront6targetE1EEEvS12_
                                        ; -- End function
	.set _ZN7rocprim17ROCPRIM_400000_NS6detail17trampoline_kernelINS0_13select_configILj256ELj13ELNS0_17block_load_methodE3ELS4_3ELS4_3ELNS0_20block_scan_algorithmE0ELj4294967295EEENS1_25partition_config_selectorILNS1_17partition_subalgoE4EjNS0_10empty_typeEbEEZZNS1_14partition_implILS8_4ELb0ES6_15HIP_vector_typeIjLj2EENS0_17counting_iteratorIjlEEPS9_SG_NS0_5tupleIJPjSI_NS0_16reverse_iteratorISI_EEEEENSH_IJSG_SG_SG_EEES9_SI_JZNS1_25segmented_radix_sort_implINS0_14default_configELb0EPKiPiPKlPlN2at6native12_GLOBAL__N_18offset_tEEE10hipError_tPvRmT1_PNSt15iterator_traitsIS12_E10value_typeET2_T3_PNS13_IS18_E10value_typeET4_jRbjT5_S1E_jjP12ihipStream_tbEUljE_ZNSN_ISO_Lb0ESQ_SR_ST_SU_SY_EESZ_S10_S11_S12_S16_S17_S18_S1B_S1C_jS1D_jS1E_S1E_jjS1G_bEUljE0_EEESZ_S10_S11_S18_S1C_S1E_T6_T7_T9_mT8_S1G_bDpT10_ENKUlT_T0_E_clISt17integral_constantIbLb1EES1T_IbLb0EEEEDaS1P_S1Q_EUlS1P_E_NS1_11comp_targetILNS1_3genE8ELNS1_11target_archE1030ELNS1_3gpuE2ELNS1_3repE0EEENS1_30default_config_static_selectorELNS0_4arch9wavefront6targetE1EEEvS12_.num_vgpr, 0
	.set _ZN7rocprim17ROCPRIM_400000_NS6detail17trampoline_kernelINS0_13select_configILj256ELj13ELNS0_17block_load_methodE3ELS4_3ELS4_3ELNS0_20block_scan_algorithmE0ELj4294967295EEENS1_25partition_config_selectorILNS1_17partition_subalgoE4EjNS0_10empty_typeEbEEZZNS1_14partition_implILS8_4ELb0ES6_15HIP_vector_typeIjLj2EENS0_17counting_iteratorIjlEEPS9_SG_NS0_5tupleIJPjSI_NS0_16reverse_iteratorISI_EEEEENSH_IJSG_SG_SG_EEES9_SI_JZNS1_25segmented_radix_sort_implINS0_14default_configELb0EPKiPiPKlPlN2at6native12_GLOBAL__N_18offset_tEEE10hipError_tPvRmT1_PNSt15iterator_traitsIS12_E10value_typeET2_T3_PNS13_IS18_E10value_typeET4_jRbjT5_S1E_jjP12ihipStream_tbEUljE_ZNSN_ISO_Lb0ESQ_SR_ST_SU_SY_EESZ_S10_S11_S12_S16_S17_S18_S1B_S1C_jS1D_jS1E_S1E_jjS1G_bEUljE0_EEESZ_S10_S11_S18_S1C_S1E_T6_T7_T9_mT8_S1G_bDpT10_ENKUlT_T0_E_clISt17integral_constantIbLb1EES1T_IbLb0EEEEDaS1P_S1Q_EUlS1P_E_NS1_11comp_targetILNS1_3genE8ELNS1_11target_archE1030ELNS1_3gpuE2ELNS1_3repE0EEENS1_30default_config_static_selectorELNS0_4arch9wavefront6targetE1EEEvS12_.num_agpr, 0
	.set _ZN7rocprim17ROCPRIM_400000_NS6detail17trampoline_kernelINS0_13select_configILj256ELj13ELNS0_17block_load_methodE3ELS4_3ELS4_3ELNS0_20block_scan_algorithmE0ELj4294967295EEENS1_25partition_config_selectorILNS1_17partition_subalgoE4EjNS0_10empty_typeEbEEZZNS1_14partition_implILS8_4ELb0ES6_15HIP_vector_typeIjLj2EENS0_17counting_iteratorIjlEEPS9_SG_NS0_5tupleIJPjSI_NS0_16reverse_iteratorISI_EEEEENSH_IJSG_SG_SG_EEES9_SI_JZNS1_25segmented_radix_sort_implINS0_14default_configELb0EPKiPiPKlPlN2at6native12_GLOBAL__N_18offset_tEEE10hipError_tPvRmT1_PNSt15iterator_traitsIS12_E10value_typeET2_T3_PNS13_IS18_E10value_typeET4_jRbjT5_S1E_jjP12ihipStream_tbEUljE_ZNSN_ISO_Lb0ESQ_SR_ST_SU_SY_EESZ_S10_S11_S12_S16_S17_S18_S1B_S1C_jS1D_jS1E_S1E_jjS1G_bEUljE0_EEESZ_S10_S11_S18_S1C_S1E_T6_T7_T9_mT8_S1G_bDpT10_ENKUlT_T0_E_clISt17integral_constantIbLb1EES1T_IbLb0EEEEDaS1P_S1Q_EUlS1P_E_NS1_11comp_targetILNS1_3genE8ELNS1_11target_archE1030ELNS1_3gpuE2ELNS1_3repE0EEENS1_30default_config_static_selectorELNS0_4arch9wavefront6targetE1EEEvS12_.numbered_sgpr, 0
	.set _ZN7rocprim17ROCPRIM_400000_NS6detail17trampoline_kernelINS0_13select_configILj256ELj13ELNS0_17block_load_methodE3ELS4_3ELS4_3ELNS0_20block_scan_algorithmE0ELj4294967295EEENS1_25partition_config_selectorILNS1_17partition_subalgoE4EjNS0_10empty_typeEbEEZZNS1_14partition_implILS8_4ELb0ES6_15HIP_vector_typeIjLj2EENS0_17counting_iteratorIjlEEPS9_SG_NS0_5tupleIJPjSI_NS0_16reverse_iteratorISI_EEEEENSH_IJSG_SG_SG_EEES9_SI_JZNS1_25segmented_radix_sort_implINS0_14default_configELb0EPKiPiPKlPlN2at6native12_GLOBAL__N_18offset_tEEE10hipError_tPvRmT1_PNSt15iterator_traitsIS12_E10value_typeET2_T3_PNS13_IS18_E10value_typeET4_jRbjT5_S1E_jjP12ihipStream_tbEUljE_ZNSN_ISO_Lb0ESQ_SR_ST_SU_SY_EESZ_S10_S11_S12_S16_S17_S18_S1B_S1C_jS1D_jS1E_S1E_jjS1G_bEUljE0_EEESZ_S10_S11_S18_S1C_S1E_T6_T7_T9_mT8_S1G_bDpT10_ENKUlT_T0_E_clISt17integral_constantIbLb1EES1T_IbLb0EEEEDaS1P_S1Q_EUlS1P_E_NS1_11comp_targetILNS1_3genE8ELNS1_11target_archE1030ELNS1_3gpuE2ELNS1_3repE0EEENS1_30default_config_static_selectorELNS0_4arch9wavefront6targetE1EEEvS12_.num_named_barrier, 0
	.set _ZN7rocprim17ROCPRIM_400000_NS6detail17trampoline_kernelINS0_13select_configILj256ELj13ELNS0_17block_load_methodE3ELS4_3ELS4_3ELNS0_20block_scan_algorithmE0ELj4294967295EEENS1_25partition_config_selectorILNS1_17partition_subalgoE4EjNS0_10empty_typeEbEEZZNS1_14partition_implILS8_4ELb0ES6_15HIP_vector_typeIjLj2EENS0_17counting_iteratorIjlEEPS9_SG_NS0_5tupleIJPjSI_NS0_16reverse_iteratorISI_EEEEENSH_IJSG_SG_SG_EEES9_SI_JZNS1_25segmented_radix_sort_implINS0_14default_configELb0EPKiPiPKlPlN2at6native12_GLOBAL__N_18offset_tEEE10hipError_tPvRmT1_PNSt15iterator_traitsIS12_E10value_typeET2_T3_PNS13_IS18_E10value_typeET4_jRbjT5_S1E_jjP12ihipStream_tbEUljE_ZNSN_ISO_Lb0ESQ_SR_ST_SU_SY_EESZ_S10_S11_S12_S16_S17_S18_S1B_S1C_jS1D_jS1E_S1E_jjS1G_bEUljE0_EEESZ_S10_S11_S18_S1C_S1E_T6_T7_T9_mT8_S1G_bDpT10_ENKUlT_T0_E_clISt17integral_constantIbLb1EES1T_IbLb0EEEEDaS1P_S1Q_EUlS1P_E_NS1_11comp_targetILNS1_3genE8ELNS1_11target_archE1030ELNS1_3gpuE2ELNS1_3repE0EEENS1_30default_config_static_selectorELNS0_4arch9wavefront6targetE1EEEvS12_.private_seg_size, 0
	.set _ZN7rocprim17ROCPRIM_400000_NS6detail17trampoline_kernelINS0_13select_configILj256ELj13ELNS0_17block_load_methodE3ELS4_3ELS4_3ELNS0_20block_scan_algorithmE0ELj4294967295EEENS1_25partition_config_selectorILNS1_17partition_subalgoE4EjNS0_10empty_typeEbEEZZNS1_14partition_implILS8_4ELb0ES6_15HIP_vector_typeIjLj2EENS0_17counting_iteratorIjlEEPS9_SG_NS0_5tupleIJPjSI_NS0_16reverse_iteratorISI_EEEEENSH_IJSG_SG_SG_EEES9_SI_JZNS1_25segmented_radix_sort_implINS0_14default_configELb0EPKiPiPKlPlN2at6native12_GLOBAL__N_18offset_tEEE10hipError_tPvRmT1_PNSt15iterator_traitsIS12_E10value_typeET2_T3_PNS13_IS18_E10value_typeET4_jRbjT5_S1E_jjP12ihipStream_tbEUljE_ZNSN_ISO_Lb0ESQ_SR_ST_SU_SY_EESZ_S10_S11_S12_S16_S17_S18_S1B_S1C_jS1D_jS1E_S1E_jjS1G_bEUljE0_EEESZ_S10_S11_S18_S1C_S1E_T6_T7_T9_mT8_S1G_bDpT10_ENKUlT_T0_E_clISt17integral_constantIbLb1EES1T_IbLb0EEEEDaS1P_S1Q_EUlS1P_E_NS1_11comp_targetILNS1_3genE8ELNS1_11target_archE1030ELNS1_3gpuE2ELNS1_3repE0EEENS1_30default_config_static_selectorELNS0_4arch9wavefront6targetE1EEEvS12_.uses_vcc, 0
	.set _ZN7rocprim17ROCPRIM_400000_NS6detail17trampoline_kernelINS0_13select_configILj256ELj13ELNS0_17block_load_methodE3ELS4_3ELS4_3ELNS0_20block_scan_algorithmE0ELj4294967295EEENS1_25partition_config_selectorILNS1_17partition_subalgoE4EjNS0_10empty_typeEbEEZZNS1_14partition_implILS8_4ELb0ES6_15HIP_vector_typeIjLj2EENS0_17counting_iteratorIjlEEPS9_SG_NS0_5tupleIJPjSI_NS0_16reverse_iteratorISI_EEEEENSH_IJSG_SG_SG_EEES9_SI_JZNS1_25segmented_radix_sort_implINS0_14default_configELb0EPKiPiPKlPlN2at6native12_GLOBAL__N_18offset_tEEE10hipError_tPvRmT1_PNSt15iterator_traitsIS12_E10value_typeET2_T3_PNS13_IS18_E10value_typeET4_jRbjT5_S1E_jjP12ihipStream_tbEUljE_ZNSN_ISO_Lb0ESQ_SR_ST_SU_SY_EESZ_S10_S11_S12_S16_S17_S18_S1B_S1C_jS1D_jS1E_S1E_jjS1G_bEUljE0_EEESZ_S10_S11_S18_S1C_S1E_T6_T7_T9_mT8_S1G_bDpT10_ENKUlT_T0_E_clISt17integral_constantIbLb1EES1T_IbLb0EEEEDaS1P_S1Q_EUlS1P_E_NS1_11comp_targetILNS1_3genE8ELNS1_11target_archE1030ELNS1_3gpuE2ELNS1_3repE0EEENS1_30default_config_static_selectorELNS0_4arch9wavefront6targetE1EEEvS12_.uses_flat_scratch, 0
	.set _ZN7rocprim17ROCPRIM_400000_NS6detail17trampoline_kernelINS0_13select_configILj256ELj13ELNS0_17block_load_methodE3ELS4_3ELS4_3ELNS0_20block_scan_algorithmE0ELj4294967295EEENS1_25partition_config_selectorILNS1_17partition_subalgoE4EjNS0_10empty_typeEbEEZZNS1_14partition_implILS8_4ELb0ES6_15HIP_vector_typeIjLj2EENS0_17counting_iteratorIjlEEPS9_SG_NS0_5tupleIJPjSI_NS0_16reverse_iteratorISI_EEEEENSH_IJSG_SG_SG_EEES9_SI_JZNS1_25segmented_radix_sort_implINS0_14default_configELb0EPKiPiPKlPlN2at6native12_GLOBAL__N_18offset_tEEE10hipError_tPvRmT1_PNSt15iterator_traitsIS12_E10value_typeET2_T3_PNS13_IS18_E10value_typeET4_jRbjT5_S1E_jjP12ihipStream_tbEUljE_ZNSN_ISO_Lb0ESQ_SR_ST_SU_SY_EESZ_S10_S11_S12_S16_S17_S18_S1B_S1C_jS1D_jS1E_S1E_jjS1G_bEUljE0_EEESZ_S10_S11_S18_S1C_S1E_T6_T7_T9_mT8_S1G_bDpT10_ENKUlT_T0_E_clISt17integral_constantIbLb1EES1T_IbLb0EEEEDaS1P_S1Q_EUlS1P_E_NS1_11comp_targetILNS1_3genE8ELNS1_11target_archE1030ELNS1_3gpuE2ELNS1_3repE0EEENS1_30default_config_static_selectorELNS0_4arch9wavefront6targetE1EEEvS12_.has_dyn_sized_stack, 0
	.set _ZN7rocprim17ROCPRIM_400000_NS6detail17trampoline_kernelINS0_13select_configILj256ELj13ELNS0_17block_load_methodE3ELS4_3ELS4_3ELNS0_20block_scan_algorithmE0ELj4294967295EEENS1_25partition_config_selectorILNS1_17partition_subalgoE4EjNS0_10empty_typeEbEEZZNS1_14partition_implILS8_4ELb0ES6_15HIP_vector_typeIjLj2EENS0_17counting_iteratorIjlEEPS9_SG_NS0_5tupleIJPjSI_NS0_16reverse_iteratorISI_EEEEENSH_IJSG_SG_SG_EEES9_SI_JZNS1_25segmented_radix_sort_implINS0_14default_configELb0EPKiPiPKlPlN2at6native12_GLOBAL__N_18offset_tEEE10hipError_tPvRmT1_PNSt15iterator_traitsIS12_E10value_typeET2_T3_PNS13_IS18_E10value_typeET4_jRbjT5_S1E_jjP12ihipStream_tbEUljE_ZNSN_ISO_Lb0ESQ_SR_ST_SU_SY_EESZ_S10_S11_S12_S16_S17_S18_S1B_S1C_jS1D_jS1E_S1E_jjS1G_bEUljE0_EEESZ_S10_S11_S18_S1C_S1E_T6_T7_T9_mT8_S1G_bDpT10_ENKUlT_T0_E_clISt17integral_constantIbLb1EES1T_IbLb0EEEEDaS1P_S1Q_EUlS1P_E_NS1_11comp_targetILNS1_3genE8ELNS1_11target_archE1030ELNS1_3gpuE2ELNS1_3repE0EEENS1_30default_config_static_selectorELNS0_4arch9wavefront6targetE1EEEvS12_.has_recursion, 0
	.set _ZN7rocprim17ROCPRIM_400000_NS6detail17trampoline_kernelINS0_13select_configILj256ELj13ELNS0_17block_load_methodE3ELS4_3ELS4_3ELNS0_20block_scan_algorithmE0ELj4294967295EEENS1_25partition_config_selectorILNS1_17partition_subalgoE4EjNS0_10empty_typeEbEEZZNS1_14partition_implILS8_4ELb0ES6_15HIP_vector_typeIjLj2EENS0_17counting_iteratorIjlEEPS9_SG_NS0_5tupleIJPjSI_NS0_16reverse_iteratorISI_EEEEENSH_IJSG_SG_SG_EEES9_SI_JZNS1_25segmented_radix_sort_implINS0_14default_configELb0EPKiPiPKlPlN2at6native12_GLOBAL__N_18offset_tEEE10hipError_tPvRmT1_PNSt15iterator_traitsIS12_E10value_typeET2_T3_PNS13_IS18_E10value_typeET4_jRbjT5_S1E_jjP12ihipStream_tbEUljE_ZNSN_ISO_Lb0ESQ_SR_ST_SU_SY_EESZ_S10_S11_S12_S16_S17_S18_S1B_S1C_jS1D_jS1E_S1E_jjS1G_bEUljE0_EEESZ_S10_S11_S18_S1C_S1E_T6_T7_T9_mT8_S1G_bDpT10_ENKUlT_T0_E_clISt17integral_constantIbLb1EES1T_IbLb0EEEEDaS1P_S1Q_EUlS1P_E_NS1_11comp_targetILNS1_3genE8ELNS1_11target_archE1030ELNS1_3gpuE2ELNS1_3repE0EEENS1_30default_config_static_selectorELNS0_4arch9wavefront6targetE1EEEvS12_.has_indirect_call, 0
	.section	.AMDGPU.csdata,"",@progbits
; Kernel info:
; codeLenInByte = 0
; TotalNumSgprs: 4
; NumVgprs: 0
; ScratchSize: 0
; MemoryBound: 0
; FloatMode: 240
; IeeeMode: 1
; LDSByteSize: 0 bytes/workgroup (compile time only)
; SGPRBlocks: 0
; VGPRBlocks: 0
; NumSGPRsForWavesPerEU: 4
; NumVGPRsForWavesPerEU: 1
; Occupancy: 10
; WaveLimiterHint : 0
; COMPUTE_PGM_RSRC2:SCRATCH_EN: 0
; COMPUTE_PGM_RSRC2:USER_SGPR: 6
; COMPUTE_PGM_RSRC2:TRAP_HANDLER: 0
; COMPUTE_PGM_RSRC2:TGID_X_EN: 1
; COMPUTE_PGM_RSRC2:TGID_Y_EN: 0
; COMPUTE_PGM_RSRC2:TGID_Z_EN: 0
; COMPUTE_PGM_RSRC2:TIDIG_COMP_CNT: 0
	.section	.text._ZN7rocprim17ROCPRIM_400000_NS6detail17trampoline_kernelINS0_13select_configILj256ELj13ELNS0_17block_load_methodE3ELS4_3ELS4_3ELNS0_20block_scan_algorithmE0ELj4294967295EEENS1_25partition_config_selectorILNS1_17partition_subalgoE4EjNS0_10empty_typeEbEEZZNS1_14partition_implILS8_4ELb0ES6_15HIP_vector_typeIjLj2EENS0_17counting_iteratorIjlEEPS9_SG_NS0_5tupleIJPjSI_NS0_16reverse_iteratorISI_EEEEENSH_IJSG_SG_SG_EEES9_SI_JZNS1_25segmented_radix_sort_implINS0_14default_configELb0EPKiPiPKlPlN2at6native12_GLOBAL__N_18offset_tEEE10hipError_tPvRmT1_PNSt15iterator_traitsIS12_E10value_typeET2_T3_PNS13_IS18_E10value_typeET4_jRbjT5_S1E_jjP12ihipStream_tbEUljE_ZNSN_ISO_Lb0ESQ_SR_ST_SU_SY_EESZ_S10_S11_S12_S16_S17_S18_S1B_S1C_jS1D_jS1E_S1E_jjS1G_bEUljE0_EEESZ_S10_S11_S18_S1C_S1E_T6_T7_T9_mT8_S1G_bDpT10_ENKUlT_T0_E_clISt17integral_constantIbLb0EES1T_IbLb1EEEEDaS1P_S1Q_EUlS1P_E_NS1_11comp_targetILNS1_3genE0ELNS1_11target_archE4294967295ELNS1_3gpuE0ELNS1_3repE0EEENS1_30default_config_static_selectorELNS0_4arch9wavefront6targetE1EEEvS12_,"axG",@progbits,_ZN7rocprim17ROCPRIM_400000_NS6detail17trampoline_kernelINS0_13select_configILj256ELj13ELNS0_17block_load_methodE3ELS4_3ELS4_3ELNS0_20block_scan_algorithmE0ELj4294967295EEENS1_25partition_config_selectorILNS1_17partition_subalgoE4EjNS0_10empty_typeEbEEZZNS1_14partition_implILS8_4ELb0ES6_15HIP_vector_typeIjLj2EENS0_17counting_iteratorIjlEEPS9_SG_NS0_5tupleIJPjSI_NS0_16reverse_iteratorISI_EEEEENSH_IJSG_SG_SG_EEES9_SI_JZNS1_25segmented_radix_sort_implINS0_14default_configELb0EPKiPiPKlPlN2at6native12_GLOBAL__N_18offset_tEEE10hipError_tPvRmT1_PNSt15iterator_traitsIS12_E10value_typeET2_T3_PNS13_IS18_E10value_typeET4_jRbjT5_S1E_jjP12ihipStream_tbEUljE_ZNSN_ISO_Lb0ESQ_SR_ST_SU_SY_EESZ_S10_S11_S12_S16_S17_S18_S1B_S1C_jS1D_jS1E_S1E_jjS1G_bEUljE0_EEESZ_S10_S11_S18_S1C_S1E_T6_T7_T9_mT8_S1G_bDpT10_ENKUlT_T0_E_clISt17integral_constantIbLb0EES1T_IbLb1EEEEDaS1P_S1Q_EUlS1P_E_NS1_11comp_targetILNS1_3genE0ELNS1_11target_archE4294967295ELNS1_3gpuE0ELNS1_3repE0EEENS1_30default_config_static_selectorELNS0_4arch9wavefront6targetE1EEEvS12_,comdat
	.globl	_ZN7rocprim17ROCPRIM_400000_NS6detail17trampoline_kernelINS0_13select_configILj256ELj13ELNS0_17block_load_methodE3ELS4_3ELS4_3ELNS0_20block_scan_algorithmE0ELj4294967295EEENS1_25partition_config_selectorILNS1_17partition_subalgoE4EjNS0_10empty_typeEbEEZZNS1_14partition_implILS8_4ELb0ES6_15HIP_vector_typeIjLj2EENS0_17counting_iteratorIjlEEPS9_SG_NS0_5tupleIJPjSI_NS0_16reverse_iteratorISI_EEEEENSH_IJSG_SG_SG_EEES9_SI_JZNS1_25segmented_radix_sort_implINS0_14default_configELb0EPKiPiPKlPlN2at6native12_GLOBAL__N_18offset_tEEE10hipError_tPvRmT1_PNSt15iterator_traitsIS12_E10value_typeET2_T3_PNS13_IS18_E10value_typeET4_jRbjT5_S1E_jjP12ihipStream_tbEUljE_ZNSN_ISO_Lb0ESQ_SR_ST_SU_SY_EESZ_S10_S11_S12_S16_S17_S18_S1B_S1C_jS1D_jS1E_S1E_jjS1G_bEUljE0_EEESZ_S10_S11_S18_S1C_S1E_T6_T7_T9_mT8_S1G_bDpT10_ENKUlT_T0_E_clISt17integral_constantIbLb0EES1T_IbLb1EEEEDaS1P_S1Q_EUlS1P_E_NS1_11comp_targetILNS1_3genE0ELNS1_11target_archE4294967295ELNS1_3gpuE0ELNS1_3repE0EEENS1_30default_config_static_selectorELNS0_4arch9wavefront6targetE1EEEvS12_ ; -- Begin function _ZN7rocprim17ROCPRIM_400000_NS6detail17trampoline_kernelINS0_13select_configILj256ELj13ELNS0_17block_load_methodE3ELS4_3ELS4_3ELNS0_20block_scan_algorithmE0ELj4294967295EEENS1_25partition_config_selectorILNS1_17partition_subalgoE4EjNS0_10empty_typeEbEEZZNS1_14partition_implILS8_4ELb0ES6_15HIP_vector_typeIjLj2EENS0_17counting_iteratorIjlEEPS9_SG_NS0_5tupleIJPjSI_NS0_16reverse_iteratorISI_EEEEENSH_IJSG_SG_SG_EEES9_SI_JZNS1_25segmented_radix_sort_implINS0_14default_configELb0EPKiPiPKlPlN2at6native12_GLOBAL__N_18offset_tEEE10hipError_tPvRmT1_PNSt15iterator_traitsIS12_E10value_typeET2_T3_PNS13_IS18_E10value_typeET4_jRbjT5_S1E_jjP12ihipStream_tbEUljE_ZNSN_ISO_Lb0ESQ_SR_ST_SU_SY_EESZ_S10_S11_S12_S16_S17_S18_S1B_S1C_jS1D_jS1E_S1E_jjS1G_bEUljE0_EEESZ_S10_S11_S18_S1C_S1E_T6_T7_T9_mT8_S1G_bDpT10_ENKUlT_T0_E_clISt17integral_constantIbLb0EES1T_IbLb1EEEEDaS1P_S1Q_EUlS1P_E_NS1_11comp_targetILNS1_3genE0ELNS1_11target_archE4294967295ELNS1_3gpuE0ELNS1_3repE0EEENS1_30default_config_static_selectorELNS0_4arch9wavefront6targetE1EEEvS12_
	.p2align	8
	.type	_ZN7rocprim17ROCPRIM_400000_NS6detail17trampoline_kernelINS0_13select_configILj256ELj13ELNS0_17block_load_methodE3ELS4_3ELS4_3ELNS0_20block_scan_algorithmE0ELj4294967295EEENS1_25partition_config_selectorILNS1_17partition_subalgoE4EjNS0_10empty_typeEbEEZZNS1_14partition_implILS8_4ELb0ES6_15HIP_vector_typeIjLj2EENS0_17counting_iteratorIjlEEPS9_SG_NS0_5tupleIJPjSI_NS0_16reverse_iteratorISI_EEEEENSH_IJSG_SG_SG_EEES9_SI_JZNS1_25segmented_radix_sort_implINS0_14default_configELb0EPKiPiPKlPlN2at6native12_GLOBAL__N_18offset_tEEE10hipError_tPvRmT1_PNSt15iterator_traitsIS12_E10value_typeET2_T3_PNS13_IS18_E10value_typeET4_jRbjT5_S1E_jjP12ihipStream_tbEUljE_ZNSN_ISO_Lb0ESQ_SR_ST_SU_SY_EESZ_S10_S11_S12_S16_S17_S18_S1B_S1C_jS1D_jS1E_S1E_jjS1G_bEUljE0_EEESZ_S10_S11_S18_S1C_S1E_T6_T7_T9_mT8_S1G_bDpT10_ENKUlT_T0_E_clISt17integral_constantIbLb0EES1T_IbLb1EEEEDaS1P_S1Q_EUlS1P_E_NS1_11comp_targetILNS1_3genE0ELNS1_11target_archE4294967295ELNS1_3gpuE0ELNS1_3repE0EEENS1_30default_config_static_selectorELNS0_4arch9wavefront6targetE1EEEvS12_,@function
_ZN7rocprim17ROCPRIM_400000_NS6detail17trampoline_kernelINS0_13select_configILj256ELj13ELNS0_17block_load_methodE3ELS4_3ELS4_3ELNS0_20block_scan_algorithmE0ELj4294967295EEENS1_25partition_config_selectorILNS1_17partition_subalgoE4EjNS0_10empty_typeEbEEZZNS1_14partition_implILS8_4ELb0ES6_15HIP_vector_typeIjLj2EENS0_17counting_iteratorIjlEEPS9_SG_NS0_5tupleIJPjSI_NS0_16reverse_iteratorISI_EEEEENSH_IJSG_SG_SG_EEES9_SI_JZNS1_25segmented_radix_sort_implINS0_14default_configELb0EPKiPiPKlPlN2at6native12_GLOBAL__N_18offset_tEEE10hipError_tPvRmT1_PNSt15iterator_traitsIS12_E10value_typeET2_T3_PNS13_IS18_E10value_typeET4_jRbjT5_S1E_jjP12ihipStream_tbEUljE_ZNSN_ISO_Lb0ESQ_SR_ST_SU_SY_EESZ_S10_S11_S12_S16_S17_S18_S1B_S1C_jS1D_jS1E_S1E_jjS1G_bEUljE0_EEESZ_S10_S11_S18_S1C_S1E_T6_T7_T9_mT8_S1G_bDpT10_ENKUlT_T0_E_clISt17integral_constantIbLb0EES1T_IbLb1EEEEDaS1P_S1Q_EUlS1P_E_NS1_11comp_targetILNS1_3genE0ELNS1_11target_archE4294967295ELNS1_3gpuE0ELNS1_3repE0EEENS1_30default_config_static_selectorELNS0_4arch9wavefront6targetE1EEEvS12_: ; @_ZN7rocprim17ROCPRIM_400000_NS6detail17trampoline_kernelINS0_13select_configILj256ELj13ELNS0_17block_load_methodE3ELS4_3ELS4_3ELNS0_20block_scan_algorithmE0ELj4294967295EEENS1_25partition_config_selectorILNS1_17partition_subalgoE4EjNS0_10empty_typeEbEEZZNS1_14partition_implILS8_4ELb0ES6_15HIP_vector_typeIjLj2EENS0_17counting_iteratorIjlEEPS9_SG_NS0_5tupleIJPjSI_NS0_16reverse_iteratorISI_EEEEENSH_IJSG_SG_SG_EEES9_SI_JZNS1_25segmented_radix_sort_implINS0_14default_configELb0EPKiPiPKlPlN2at6native12_GLOBAL__N_18offset_tEEE10hipError_tPvRmT1_PNSt15iterator_traitsIS12_E10value_typeET2_T3_PNS13_IS18_E10value_typeET4_jRbjT5_S1E_jjP12ihipStream_tbEUljE_ZNSN_ISO_Lb0ESQ_SR_ST_SU_SY_EESZ_S10_S11_S12_S16_S17_S18_S1B_S1C_jS1D_jS1E_S1E_jjS1G_bEUljE0_EEESZ_S10_S11_S18_S1C_S1E_T6_T7_T9_mT8_S1G_bDpT10_ENKUlT_T0_E_clISt17integral_constantIbLb0EES1T_IbLb1EEEEDaS1P_S1Q_EUlS1P_E_NS1_11comp_targetILNS1_3genE0ELNS1_11target_archE4294967295ELNS1_3gpuE0ELNS1_3repE0EEENS1_30default_config_static_selectorELNS0_4arch9wavefront6targetE1EEEvS12_
; %bb.0:
	.section	.rodata,"a",@progbits
	.p2align	6, 0x0
	.amdhsa_kernel _ZN7rocprim17ROCPRIM_400000_NS6detail17trampoline_kernelINS0_13select_configILj256ELj13ELNS0_17block_load_methodE3ELS4_3ELS4_3ELNS0_20block_scan_algorithmE0ELj4294967295EEENS1_25partition_config_selectorILNS1_17partition_subalgoE4EjNS0_10empty_typeEbEEZZNS1_14partition_implILS8_4ELb0ES6_15HIP_vector_typeIjLj2EENS0_17counting_iteratorIjlEEPS9_SG_NS0_5tupleIJPjSI_NS0_16reverse_iteratorISI_EEEEENSH_IJSG_SG_SG_EEES9_SI_JZNS1_25segmented_radix_sort_implINS0_14default_configELb0EPKiPiPKlPlN2at6native12_GLOBAL__N_18offset_tEEE10hipError_tPvRmT1_PNSt15iterator_traitsIS12_E10value_typeET2_T3_PNS13_IS18_E10value_typeET4_jRbjT5_S1E_jjP12ihipStream_tbEUljE_ZNSN_ISO_Lb0ESQ_SR_ST_SU_SY_EESZ_S10_S11_S12_S16_S17_S18_S1B_S1C_jS1D_jS1E_S1E_jjS1G_bEUljE0_EEESZ_S10_S11_S18_S1C_S1E_T6_T7_T9_mT8_S1G_bDpT10_ENKUlT_T0_E_clISt17integral_constantIbLb0EES1T_IbLb1EEEEDaS1P_S1Q_EUlS1P_E_NS1_11comp_targetILNS1_3genE0ELNS1_11target_archE4294967295ELNS1_3gpuE0ELNS1_3repE0EEENS1_30default_config_static_selectorELNS0_4arch9wavefront6targetE1EEEvS12_
		.amdhsa_group_segment_fixed_size 0
		.amdhsa_private_segment_fixed_size 0
		.amdhsa_kernarg_size 184
		.amdhsa_user_sgpr_count 6
		.amdhsa_user_sgpr_private_segment_buffer 1
		.amdhsa_user_sgpr_dispatch_ptr 0
		.amdhsa_user_sgpr_queue_ptr 0
		.amdhsa_user_sgpr_kernarg_segment_ptr 1
		.amdhsa_user_sgpr_dispatch_id 0
		.amdhsa_user_sgpr_flat_scratch_init 0
		.amdhsa_user_sgpr_private_segment_size 0
		.amdhsa_uses_dynamic_stack 0
		.amdhsa_system_sgpr_private_segment_wavefront_offset 0
		.amdhsa_system_sgpr_workgroup_id_x 1
		.amdhsa_system_sgpr_workgroup_id_y 0
		.amdhsa_system_sgpr_workgroup_id_z 0
		.amdhsa_system_sgpr_workgroup_info 0
		.amdhsa_system_vgpr_workitem_id 0
		.amdhsa_next_free_vgpr 1
		.amdhsa_next_free_sgpr 0
		.amdhsa_reserve_vcc 0
		.amdhsa_reserve_flat_scratch 0
		.amdhsa_float_round_mode_32 0
		.amdhsa_float_round_mode_16_64 0
		.amdhsa_float_denorm_mode_32 3
		.amdhsa_float_denorm_mode_16_64 3
		.amdhsa_dx10_clamp 1
		.amdhsa_ieee_mode 1
		.amdhsa_fp16_overflow 0
		.amdhsa_exception_fp_ieee_invalid_op 0
		.amdhsa_exception_fp_denorm_src 0
		.amdhsa_exception_fp_ieee_div_zero 0
		.amdhsa_exception_fp_ieee_overflow 0
		.amdhsa_exception_fp_ieee_underflow 0
		.amdhsa_exception_fp_ieee_inexact 0
		.amdhsa_exception_int_div_zero 0
	.end_amdhsa_kernel
	.section	.text._ZN7rocprim17ROCPRIM_400000_NS6detail17trampoline_kernelINS0_13select_configILj256ELj13ELNS0_17block_load_methodE3ELS4_3ELS4_3ELNS0_20block_scan_algorithmE0ELj4294967295EEENS1_25partition_config_selectorILNS1_17partition_subalgoE4EjNS0_10empty_typeEbEEZZNS1_14partition_implILS8_4ELb0ES6_15HIP_vector_typeIjLj2EENS0_17counting_iteratorIjlEEPS9_SG_NS0_5tupleIJPjSI_NS0_16reverse_iteratorISI_EEEEENSH_IJSG_SG_SG_EEES9_SI_JZNS1_25segmented_radix_sort_implINS0_14default_configELb0EPKiPiPKlPlN2at6native12_GLOBAL__N_18offset_tEEE10hipError_tPvRmT1_PNSt15iterator_traitsIS12_E10value_typeET2_T3_PNS13_IS18_E10value_typeET4_jRbjT5_S1E_jjP12ihipStream_tbEUljE_ZNSN_ISO_Lb0ESQ_SR_ST_SU_SY_EESZ_S10_S11_S12_S16_S17_S18_S1B_S1C_jS1D_jS1E_S1E_jjS1G_bEUljE0_EEESZ_S10_S11_S18_S1C_S1E_T6_T7_T9_mT8_S1G_bDpT10_ENKUlT_T0_E_clISt17integral_constantIbLb0EES1T_IbLb1EEEEDaS1P_S1Q_EUlS1P_E_NS1_11comp_targetILNS1_3genE0ELNS1_11target_archE4294967295ELNS1_3gpuE0ELNS1_3repE0EEENS1_30default_config_static_selectorELNS0_4arch9wavefront6targetE1EEEvS12_,"axG",@progbits,_ZN7rocprim17ROCPRIM_400000_NS6detail17trampoline_kernelINS0_13select_configILj256ELj13ELNS0_17block_load_methodE3ELS4_3ELS4_3ELNS0_20block_scan_algorithmE0ELj4294967295EEENS1_25partition_config_selectorILNS1_17partition_subalgoE4EjNS0_10empty_typeEbEEZZNS1_14partition_implILS8_4ELb0ES6_15HIP_vector_typeIjLj2EENS0_17counting_iteratorIjlEEPS9_SG_NS0_5tupleIJPjSI_NS0_16reverse_iteratorISI_EEEEENSH_IJSG_SG_SG_EEES9_SI_JZNS1_25segmented_radix_sort_implINS0_14default_configELb0EPKiPiPKlPlN2at6native12_GLOBAL__N_18offset_tEEE10hipError_tPvRmT1_PNSt15iterator_traitsIS12_E10value_typeET2_T3_PNS13_IS18_E10value_typeET4_jRbjT5_S1E_jjP12ihipStream_tbEUljE_ZNSN_ISO_Lb0ESQ_SR_ST_SU_SY_EESZ_S10_S11_S12_S16_S17_S18_S1B_S1C_jS1D_jS1E_S1E_jjS1G_bEUljE0_EEESZ_S10_S11_S18_S1C_S1E_T6_T7_T9_mT8_S1G_bDpT10_ENKUlT_T0_E_clISt17integral_constantIbLb0EES1T_IbLb1EEEEDaS1P_S1Q_EUlS1P_E_NS1_11comp_targetILNS1_3genE0ELNS1_11target_archE4294967295ELNS1_3gpuE0ELNS1_3repE0EEENS1_30default_config_static_selectorELNS0_4arch9wavefront6targetE1EEEvS12_,comdat
.Lfunc_end560:
	.size	_ZN7rocprim17ROCPRIM_400000_NS6detail17trampoline_kernelINS0_13select_configILj256ELj13ELNS0_17block_load_methodE3ELS4_3ELS4_3ELNS0_20block_scan_algorithmE0ELj4294967295EEENS1_25partition_config_selectorILNS1_17partition_subalgoE4EjNS0_10empty_typeEbEEZZNS1_14partition_implILS8_4ELb0ES6_15HIP_vector_typeIjLj2EENS0_17counting_iteratorIjlEEPS9_SG_NS0_5tupleIJPjSI_NS0_16reverse_iteratorISI_EEEEENSH_IJSG_SG_SG_EEES9_SI_JZNS1_25segmented_radix_sort_implINS0_14default_configELb0EPKiPiPKlPlN2at6native12_GLOBAL__N_18offset_tEEE10hipError_tPvRmT1_PNSt15iterator_traitsIS12_E10value_typeET2_T3_PNS13_IS18_E10value_typeET4_jRbjT5_S1E_jjP12ihipStream_tbEUljE_ZNSN_ISO_Lb0ESQ_SR_ST_SU_SY_EESZ_S10_S11_S12_S16_S17_S18_S1B_S1C_jS1D_jS1E_S1E_jjS1G_bEUljE0_EEESZ_S10_S11_S18_S1C_S1E_T6_T7_T9_mT8_S1G_bDpT10_ENKUlT_T0_E_clISt17integral_constantIbLb0EES1T_IbLb1EEEEDaS1P_S1Q_EUlS1P_E_NS1_11comp_targetILNS1_3genE0ELNS1_11target_archE4294967295ELNS1_3gpuE0ELNS1_3repE0EEENS1_30default_config_static_selectorELNS0_4arch9wavefront6targetE1EEEvS12_, .Lfunc_end560-_ZN7rocprim17ROCPRIM_400000_NS6detail17trampoline_kernelINS0_13select_configILj256ELj13ELNS0_17block_load_methodE3ELS4_3ELS4_3ELNS0_20block_scan_algorithmE0ELj4294967295EEENS1_25partition_config_selectorILNS1_17partition_subalgoE4EjNS0_10empty_typeEbEEZZNS1_14partition_implILS8_4ELb0ES6_15HIP_vector_typeIjLj2EENS0_17counting_iteratorIjlEEPS9_SG_NS0_5tupleIJPjSI_NS0_16reverse_iteratorISI_EEEEENSH_IJSG_SG_SG_EEES9_SI_JZNS1_25segmented_radix_sort_implINS0_14default_configELb0EPKiPiPKlPlN2at6native12_GLOBAL__N_18offset_tEEE10hipError_tPvRmT1_PNSt15iterator_traitsIS12_E10value_typeET2_T3_PNS13_IS18_E10value_typeET4_jRbjT5_S1E_jjP12ihipStream_tbEUljE_ZNSN_ISO_Lb0ESQ_SR_ST_SU_SY_EESZ_S10_S11_S12_S16_S17_S18_S1B_S1C_jS1D_jS1E_S1E_jjS1G_bEUljE0_EEESZ_S10_S11_S18_S1C_S1E_T6_T7_T9_mT8_S1G_bDpT10_ENKUlT_T0_E_clISt17integral_constantIbLb0EES1T_IbLb1EEEEDaS1P_S1Q_EUlS1P_E_NS1_11comp_targetILNS1_3genE0ELNS1_11target_archE4294967295ELNS1_3gpuE0ELNS1_3repE0EEENS1_30default_config_static_selectorELNS0_4arch9wavefront6targetE1EEEvS12_
                                        ; -- End function
	.set _ZN7rocprim17ROCPRIM_400000_NS6detail17trampoline_kernelINS0_13select_configILj256ELj13ELNS0_17block_load_methodE3ELS4_3ELS4_3ELNS0_20block_scan_algorithmE0ELj4294967295EEENS1_25partition_config_selectorILNS1_17partition_subalgoE4EjNS0_10empty_typeEbEEZZNS1_14partition_implILS8_4ELb0ES6_15HIP_vector_typeIjLj2EENS0_17counting_iteratorIjlEEPS9_SG_NS0_5tupleIJPjSI_NS0_16reverse_iteratorISI_EEEEENSH_IJSG_SG_SG_EEES9_SI_JZNS1_25segmented_radix_sort_implINS0_14default_configELb0EPKiPiPKlPlN2at6native12_GLOBAL__N_18offset_tEEE10hipError_tPvRmT1_PNSt15iterator_traitsIS12_E10value_typeET2_T3_PNS13_IS18_E10value_typeET4_jRbjT5_S1E_jjP12ihipStream_tbEUljE_ZNSN_ISO_Lb0ESQ_SR_ST_SU_SY_EESZ_S10_S11_S12_S16_S17_S18_S1B_S1C_jS1D_jS1E_S1E_jjS1G_bEUljE0_EEESZ_S10_S11_S18_S1C_S1E_T6_T7_T9_mT8_S1G_bDpT10_ENKUlT_T0_E_clISt17integral_constantIbLb0EES1T_IbLb1EEEEDaS1P_S1Q_EUlS1P_E_NS1_11comp_targetILNS1_3genE0ELNS1_11target_archE4294967295ELNS1_3gpuE0ELNS1_3repE0EEENS1_30default_config_static_selectorELNS0_4arch9wavefront6targetE1EEEvS12_.num_vgpr, 0
	.set _ZN7rocprim17ROCPRIM_400000_NS6detail17trampoline_kernelINS0_13select_configILj256ELj13ELNS0_17block_load_methodE3ELS4_3ELS4_3ELNS0_20block_scan_algorithmE0ELj4294967295EEENS1_25partition_config_selectorILNS1_17partition_subalgoE4EjNS0_10empty_typeEbEEZZNS1_14partition_implILS8_4ELb0ES6_15HIP_vector_typeIjLj2EENS0_17counting_iteratorIjlEEPS9_SG_NS0_5tupleIJPjSI_NS0_16reverse_iteratorISI_EEEEENSH_IJSG_SG_SG_EEES9_SI_JZNS1_25segmented_radix_sort_implINS0_14default_configELb0EPKiPiPKlPlN2at6native12_GLOBAL__N_18offset_tEEE10hipError_tPvRmT1_PNSt15iterator_traitsIS12_E10value_typeET2_T3_PNS13_IS18_E10value_typeET4_jRbjT5_S1E_jjP12ihipStream_tbEUljE_ZNSN_ISO_Lb0ESQ_SR_ST_SU_SY_EESZ_S10_S11_S12_S16_S17_S18_S1B_S1C_jS1D_jS1E_S1E_jjS1G_bEUljE0_EEESZ_S10_S11_S18_S1C_S1E_T6_T7_T9_mT8_S1G_bDpT10_ENKUlT_T0_E_clISt17integral_constantIbLb0EES1T_IbLb1EEEEDaS1P_S1Q_EUlS1P_E_NS1_11comp_targetILNS1_3genE0ELNS1_11target_archE4294967295ELNS1_3gpuE0ELNS1_3repE0EEENS1_30default_config_static_selectorELNS0_4arch9wavefront6targetE1EEEvS12_.num_agpr, 0
	.set _ZN7rocprim17ROCPRIM_400000_NS6detail17trampoline_kernelINS0_13select_configILj256ELj13ELNS0_17block_load_methodE3ELS4_3ELS4_3ELNS0_20block_scan_algorithmE0ELj4294967295EEENS1_25partition_config_selectorILNS1_17partition_subalgoE4EjNS0_10empty_typeEbEEZZNS1_14partition_implILS8_4ELb0ES6_15HIP_vector_typeIjLj2EENS0_17counting_iteratorIjlEEPS9_SG_NS0_5tupleIJPjSI_NS0_16reverse_iteratorISI_EEEEENSH_IJSG_SG_SG_EEES9_SI_JZNS1_25segmented_radix_sort_implINS0_14default_configELb0EPKiPiPKlPlN2at6native12_GLOBAL__N_18offset_tEEE10hipError_tPvRmT1_PNSt15iterator_traitsIS12_E10value_typeET2_T3_PNS13_IS18_E10value_typeET4_jRbjT5_S1E_jjP12ihipStream_tbEUljE_ZNSN_ISO_Lb0ESQ_SR_ST_SU_SY_EESZ_S10_S11_S12_S16_S17_S18_S1B_S1C_jS1D_jS1E_S1E_jjS1G_bEUljE0_EEESZ_S10_S11_S18_S1C_S1E_T6_T7_T9_mT8_S1G_bDpT10_ENKUlT_T0_E_clISt17integral_constantIbLb0EES1T_IbLb1EEEEDaS1P_S1Q_EUlS1P_E_NS1_11comp_targetILNS1_3genE0ELNS1_11target_archE4294967295ELNS1_3gpuE0ELNS1_3repE0EEENS1_30default_config_static_selectorELNS0_4arch9wavefront6targetE1EEEvS12_.numbered_sgpr, 0
	.set _ZN7rocprim17ROCPRIM_400000_NS6detail17trampoline_kernelINS0_13select_configILj256ELj13ELNS0_17block_load_methodE3ELS4_3ELS4_3ELNS0_20block_scan_algorithmE0ELj4294967295EEENS1_25partition_config_selectorILNS1_17partition_subalgoE4EjNS0_10empty_typeEbEEZZNS1_14partition_implILS8_4ELb0ES6_15HIP_vector_typeIjLj2EENS0_17counting_iteratorIjlEEPS9_SG_NS0_5tupleIJPjSI_NS0_16reverse_iteratorISI_EEEEENSH_IJSG_SG_SG_EEES9_SI_JZNS1_25segmented_radix_sort_implINS0_14default_configELb0EPKiPiPKlPlN2at6native12_GLOBAL__N_18offset_tEEE10hipError_tPvRmT1_PNSt15iterator_traitsIS12_E10value_typeET2_T3_PNS13_IS18_E10value_typeET4_jRbjT5_S1E_jjP12ihipStream_tbEUljE_ZNSN_ISO_Lb0ESQ_SR_ST_SU_SY_EESZ_S10_S11_S12_S16_S17_S18_S1B_S1C_jS1D_jS1E_S1E_jjS1G_bEUljE0_EEESZ_S10_S11_S18_S1C_S1E_T6_T7_T9_mT8_S1G_bDpT10_ENKUlT_T0_E_clISt17integral_constantIbLb0EES1T_IbLb1EEEEDaS1P_S1Q_EUlS1P_E_NS1_11comp_targetILNS1_3genE0ELNS1_11target_archE4294967295ELNS1_3gpuE0ELNS1_3repE0EEENS1_30default_config_static_selectorELNS0_4arch9wavefront6targetE1EEEvS12_.num_named_barrier, 0
	.set _ZN7rocprim17ROCPRIM_400000_NS6detail17trampoline_kernelINS0_13select_configILj256ELj13ELNS0_17block_load_methodE3ELS4_3ELS4_3ELNS0_20block_scan_algorithmE0ELj4294967295EEENS1_25partition_config_selectorILNS1_17partition_subalgoE4EjNS0_10empty_typeEbEEZZNS1_14partition_implILS8_4ELb0ES6_15HIP_vector_typeIjLj2EENS0_17counting_iteratorIjlEEPS9_SG_NS0_5tupleIJPjSI_NS0_16reverse_iteratorISI_EEEEENSH_IJSG_SG_SG_EEES9_SI_JZNS1_25segmented_radix_sort_implINS0_14default_configELb0EPKiPiPKlPlN2at6native12_GLOBAL__N_18offset_tEEE10hipError_tPvRmT1_PNSt15iterator_traitsIS12_E10value_typeET2_T3_PNS13_IS18_E10value_typeET4_jRbjT5_S1E_jjP12ihipStream_tbEUljE_ZNSN_ISO_Lb0ESQ_SR_ST_SU_SY_EESZ_S10_S11_S12_S16_S17_S18_S1B_S1C_jS1D_jS1E_S1E_jjS1G_bEUljE0_EEESZ_S10_S11_S18_S1C_S1E_T6_T7_T9_mT8_S1G_bDpT10_ENKUlT_T0_E_clISt17integral_constantIbLb0EES1T_IbLb1EEEEDaS1P_S1Q_EUlS1P_E_NS1_11comp_targetILNS1_3genE0ELNS1_11target_archE4294967295ELNS1_3gpuE0ELNS1_3repE0EEENS1_30default_config_static_selectorELNS0_4arch9wavefront6targetE1EEEvS12_.private_seg_size, 0
	.set _ZN7rocprim17ROCPRIM_400000_NS6detail17trampoline_kernelINS0_13select_configILj256ELj13ELNS0_17block_load_methodE3ELS4_3ELS4_3ELNS0_20block_scan_algorithmE0ELj4294967295EEENS1_25partition_config_selectorILNS1_17partition_subalgoE4EjNS0_10empty_typeEbEEZZNS1_14partition_implILS8_4ELb0ES6_15HIP_vector_typeIjLj2EENS0_17counting_iteratorIjlEEPS9_SG_NS0_5tupleIJPjSI_NS0_16reverse_iteratorISI_EEEEENSH_IJSG_SG_SG_EEES9_SI_JZNS1_25segmented_radix_sort_implINS0_14default_configELb0EPKiPiPKlPlN2at6native12_GLOBAL__N_18offset_tEEE10hipError_tPvRmT1_PNSt15iterator_traitsIS12_E10value_typeET2_T3_PNS13_IS18_E10value_typeET4_jRbjT5_S1E_jjP12ihipStream_tbEUljE_ZNSN_ISO_Lb0ESQ_SR_ST_SU_SY_EESZ_S10_S11_S12_S16_S17_S18_S1B_S1C_jS1D_jS1E_S1E_jjS1G_bEUljE0_EEESZ_S10_S11_S18_S1C_S1E_T6_T7_T9_mT8_S1G_bDpT10_ENKUlT_T0_E_clISt17integral_constantIbLb0EES1T_IbLb1EEEEDaS1P_S1Q_EUlS1P_E_NS1_11comp_targetILNS1_3genE0ELNS1_11target_archE4294967295ELNS1_3gpuE0ELNS1_3repE0EEENS1_30default_config_static_selectorELNS0_4arch9wavefront6targetE1EEEvS12_.uses_vcc, 0
	.set _ZN7rocprim17ROCPRIM_400000_NS6detail17trampoline_kernelINS0_13select_configILj256ELj13ELNS0_17block_load_methodE3ELS4_3ELS4_3ELNS0_20block_scan_algorithmE0ELj4294967295EEENS1_25partition_config_selectorILNS1_17partition_subalgoE4EjNS0_10empty_typeEbEEZZNS1_14partition_implILS8_4ELb0ES6_15HIP_vector_typeIjLj2EENS0_17counting_iteratorIjlEEPS9_SG_NS0_5tupleIJPjSI_NS0_16reverse_iteratorISI_EEEEENSH_IJSG_SG_SG_EEES9_SI_JZNS1_25segmented_radix_sort_implINS0_14default_configELb0EPKiPiPKlPlN2at6native12_GLOBAL__N_18offset_tEEE10hipError_tPvRmT1_PNSt15iterator_traitsIS12_E10value_typeET2_T3_PNS13_IS18_E10value_typeET4_jRbjT5_S1E_jjP12ihipStream_tbEUljE_ZNSN_ISO_Lb0ESQ_SR_ST_SU_SY_EESZ_S10_S11_S12_S16_S17_S18_S1B_S1C_jS1D_jS1E_S1E_jjS1G_bEUljE0_EEESZ_S10_S11_S18_S1C_S1E_T6_T7_T9_mT8_S1G_bDpT10_ENKUlT_T0_E_clISt17integral_constantIbLb0EES1T_IbLb1EEEEDaS1P_S1Q_EUlS1P_E_NS1_11comp_targetILNS1_3genE0ELNS1_11target_archE4294967295ELNS1_3gpuE0ELNS1_3repE0EEENS1_30default_config_static_selectorELNS0_4arch9wavefront6targetE1EEEvS12_.uses_flat_scratch, 0
	.set _ZN7rocprim17ROCPRIM_400000_NS6detail17trampoline_kernelINS0_13select_configILj256ELj13ELNS0_17block_load_methodE3ELS4_3ELS4_3ELNS0_20block_scan_algorithmE0ELj4294967295EEENS1_25partition_config_selectorILNS1_17partition_subalgoE4EjNS0_10empty_typeEbEEZZNS1_14partition_implILS8_4ELb0ES6_15HIP_vector_typeIjLj2EENS0_17counting_iteratorIjlEEPS9_SG_NS0_5tupleIJPjSI_NS0_16reverse_iteratorISI_EEEEENSH_IJSG_SG_SG_EEES9_SI_JZNS1_25segmented_radix_sort_implINS0_14default_configELb0EPKiPiPKlPlN2at6native12_GLOBAL__N_18offset_tEEE10hipError_tPvRmT1_PNSt15iterator_traitsIS12_E10value_typeET2_T3_PNS13_IS18_E10value_typeET4_jRbjT5_S1E_jjP12ihipStream_tbEUljE_ZNSN_ISO_Lb0ESQ_SR_ST_SU_SY_EESZ_S10_S11_S12_S16_S17_S18_S1B_S1C_jS1D_jS1E_S1E_jjS1G_bEUljE0_EEESZ_S10_S11_S18_S1C_S1E_T6_T7_T9_mT8_S1G_bDpT10_ENKUlT_T0_E_clISt17integral_constantIbLb0EES1T_IbLb1EEEEDaS1P_S1Q_EUlS1P_E_NS1_11comp_targetILNS1_3genE0ELNS1_11target_archE4294967295ELNS1_3gpuE0ELNS1_3repE0EEENS1_30default_config_static_selectorELNS0_4arch9wavefront6targetE1EEEvS12_.has_dyn_sized_stack, 0
	.set _ZN7rocprim17ROCPRIM_400000_NS6detail17trampoline_kernelINS0_13select_configILj256ELj13ELNS0_17block_load_methodE3ELS4_3ELS4_3ELNS0_20block_scan_algorithmE0ELj4294967295EEENS1_25partition_config_selectorILNS1_17partition_subalgoE4EjNS0_10empty_typeEbEEZZNS1_14partition_implILS8_4ELb0ES6_15HIP_vector_typeIjLj2EENS0_17counting_iteratorIjlEEPS9_SG_NS0_5tupleIJPjSI_NS0_16reverse_iteratorISI_EEEEENSH_IJSG_SG_SG_EEES9_SI_JZNS1_25segmented_radix_sort_implINS0_14default_configELb0EPKiPiPKlPlN2at6native12_GLOBAL__N_18offset_tEEE10hipError_tPvRmT1_PNSt15iterator_traitsIS12_E10value_typeET2_T3_PNS13_IS18_E10value_typeET4_jRbjT5_S1E_jjP12ihipStream_tbEUljE_ZNSN_ISO_Lb0ESQ_SR_ST_SU_SY_EESZ_S10_S11_S12_S16_S17_S18_S1B_S1C_jS1D_jS1E_S1E_jjS1G_bEUljE0_EEESZ_S10_S11_S18_S1C_S1E_T6_T7_T9_mT8_S1G_bDpT10_ENKUlT_T0_E_clISt17integral_constantIbLb0EES1T_IbLb1EEEEDaS1P_S1Q_EUlS1P_E_NS1_11comp_targetILNS1_3genE0ELNS1_11target_archE4294967295ELNS1_3gpuE0ELNS1_3repE0EEENS1_30default_config_static_selectorELNS0_4arch9wavefront6targetE1EEEvS12_.has_recursion, 0
	.set _ZN7rocprim17ROCPRIM_400000_NS6detail17trampoline_kernelINS0_13select_configILj256ELj13ELNS0_17block_load_methodE3ELS4_3ELS4_3ELNS0_20block_scan_algorithmE0ELj4294967295EEENS1_25partition_config_selectorILNS1_17partition_subalgoE4EjNS0_10empty_typeEbEEZZNS1_14partition_implILS8_4ELb0ES6_15HIP_vector_typeIjLj2EENS0_17counting_iteratorIjlEEPS9_SG_NS0_5tupleIJPjSI_NS0_16reverse_iteratorISI_EEEEENSH_IJSG_SG_SG_EEES9_SI_JZNS1_25segmented_radix_sort_implINS0_14default_configELb0EPKiPiPKlPlN2at6native12_GLOBAL__N_18offset_tEEE10hipError_tPvRmT1_PNSt15iterator_traitsIS12_E10value_typeET2_T3_PNS13_IS18_E10value_typeET4_jRbjT5_S1E_jjP12ihipStream_tbEUljE_ZNSN_ISO_Lb0ESQ_SR_ST_SU_SY_EESZ_S10_S11_S12_S16_S17_S18_S1B_S1C_jS1D_jS1E_S1E_jjS1G_bEUljE0_EEESZ_S10_S11_S18_S1C_S1E_T6_T7_T9_mT8_S1G_bDpT10_ENKUlT_T0_E_clISt17integral_constantIbLb0EES1T_IbLb1EEEEDaS1P_S1Q_EUlS1P_E_NS1_11comp_targetILNS1_3genE0ELNS1_11target_archE4294967295ELNS1_3gpuE0ELNS1_3repE0EEENS1_30default_config_static_selectorELNS0_4arch9wavefront6targetE1EEEvS12_.has_indirect_call, 0
	.section	.AMDGPU.csdata,"",@progbits
; Kernel info:
; codeLenInByte = 0
; TotalNumSgprs: 4
; NumVgprs: 0
; ScratchSize: 0
; MemoryBound: 0
; FloatMode: 240
; IeeeMode: 1
; LDSByteSize: 0 bytes/workgroup (compile time only)
; SGPRBlocks: 0
; VGPRBlocks: 0
; NumSGPRsForWavesPerEU: 4
; NumVGPRsForWavesPerEU: 1
; Occupancy: 10
; WaveLimiterHint : 0
; COMPUTE_PGM_RSRC2:SCRATCH_EN: 0
; COMPUTE_PGM_RSRC2:USER_SGPR: 6
; COMPUTE_PGM_RSRC2:TRAP_HANDLER: 0
; COMPUTE_PGM_RSRC2:TGID_X_EN: 1
; COMPUTE_PGM_RSRC2:TGID_Y_EN: 0
; COMPUTE_PGM_RSRC2:TGID_Z_EN: 0
; COMPUTE_PGM_RSRC2:TIDIG_COMP_CNT: 0
	.section	.text._ZN7rocprim17ROCPRIM_400000_NS6detail17trampoline_kernelINS0_13select_configILj256ELj13ELNS0_17block_load_methodE3ELS4_3ELS4_3ELNS0_20block_scan_algorithmE0ELj4294967295EEENS1_25partition_config_selectorILNS1_17partition_subalgoE4EjNS0_10empty_typeEbEEZZNS1_14partition_implILS8_4ELb0ES6_15HIP_vector_typeIjLj2EENS0_17counting_iteratorIjlEEPS9_SG_NS0_5tupleIJPjSI_NS0_16reverse_iteratorISI_EEEEENSH_IJSG_SG_SG_EEES9_SI_JZNS1_25segmented_radix_sort_implINS0_14default_configELb0EPKiPiPKlPlN2at6native12_GLOBAL__N_18offset_tEEE10hipError_tPvRmT1_PNSt15iterator_traitsIS12_E10value_typeET2_T3_PNS13_IS18_E10value_typeET4_jRbjT5_S1E_jjP12ihipStream_tbEUljE_ZNSN_ISO_Lb0ESQ_SR_ST_SU_SY_EESZ_S10_S11_S12_S16_S17_S18_S1B_S1C_jS1D_jS1E_S1E_jjS1G_bEUljE0_EEESZ_S10_S11_S18_S1C_S1E_T6_T7_T9_mT8_S1G_bDpT10_ENKUlT_T0_E_clISt17integral_constantIbLb0EES1T_IbLb1EEEEDaS1P_S1Q_EUlS1P_E_NS1_11comp_targetILNS1_3genE5ELNS1_11target_archE942ELNS1_3gpuE9ELNS1_3repE0EEENS1_30default_config_static_selectorELNS0_4arch9wavefront6targetE1EEEvS12_,"axG",@progbits,_ZN7rocprim17ROCPRIM_400000_NS6detail17trampoline_kernelINS0_13select_configILj256ELj13ELNS0_17block_load_methodE3ELS4_3ELS4_3ELNS0_20block_scan_algorithmE0ELj4294967295EEENS1_25partition_config_selectorILNS1_17partition_subalgoE4EjNS0_10empty_typeEbEEZZNS1_14partition_implILS8_4ELb0ES6_15HIP_vector_typeIjLj2EENS0_17counting_iteratorIjlEEPS9_SG_NS0_5tupleIJPjSI_NS0_16reverse_iteratorISI_EEEEENSH_IJSG_SG_SG_EEES9_SI_JZNS1_25segmented_radix_sort_implINS0_14default_configELb0EPKiPiPKlPlN2at6native12_GLOBAL__N_18offset_tEEE10hipError_tPvRmT1_PNSt15iterator_traitsIS12_E10value_typeET2_T3_PNS13_IS18_E10value_typeET4_jRbjT5_S1E_jjP12ihipStream_tbEUljE_ZNSN_ISO_Lb0ESQ_SR_ST_SU_SY_EESZ_S10_S11_S12_S16_S17_S18_S1B_S1C_jS1D_jS1E_S1E_jjS1G_bEUljE0_EEESZ_S10_S11_S18_S1C_S1E_T6_T7_T9_mT8_S1G_bDpT10_ENKUlT_T0_E_clISt17integral_constantIbLb0EES1T_IbLb1EEEEDaS1P_S1Q_EUlS1P_E_NS1_11comp_targetILNS1_3genE5ELNS1_11target_archE942ELNS1_3gpuE9ELNS1_3repE0EEENS1_30default_config_static_selectorELNS0_4arch9wavefront6targetE1EEEvS12_,comdat
	.globl	_ZN7rocprim17ROCPRIM_400000_NS6detail17trampoline_kernelINS0_13select_configILj256ELj13ELNS0_17block_load_methodE3ELS4_3ELS4_3ELNS0_20block_scan_algorithmE0ELj4294967295EEENS1_25partition_config_selectorILNS1_17partition_subalgoE4EjNS0_10empty_typeEbEEZZNS1_14partition_implILS8_4ELb0ES6_15HIP_vector_typeIjLj2EENS0_17counting_iteratorIjlEEPS9_SG_NS0_5tupleIJPjSI_NS0_16reverse_iteratorISI_EEEEENSH_IJSG_SG_SG_EEES9_SI_JZNS1_25segmented_radix_sort_implINS0_14default_configELb0EPKiPiPKlPlN2at6native12_GLOBAL__N_18offset_tEEE10hipError_tPvRmT1_PNSt15iterator_traitsIS12_E10value_typeET2_T3_PNS13_IS18_E10value_typeET4_jRbjT5_S1E_jjP12ihipStream_tbEUljE_ZNSN_ISO_Lb0ESQ_SR_ST_SU_SY_EESZ_S10_S11_S12_S16_S17_S18_S1B_S1C_jS1D_jS1E_S1E_jjS1G_bEUljE0_EEESZ_S10_S11_S18_S1C_S1E_T6_T7_T9_mT8_S1G_bDpT10_ENKUlT_T0_E_clISt17integral_constantIbLb0EES1T_IbLb1EEEEDaS1P_S1Q_EUlS1P_E_NS1_11comp_targetILNS1_3genE5ELNS1_11target_archE942ELNS1_3gpuE9ELNS1_3repE0EEENS1_30default_config_static_selectorELNS0_4arch9wavefront6targetE1EEEvS12_ ; -- Begin function _ZN7rocprim17ROCPRIM_400000_NS6detail17trampoline_kernelINS0_13select_configILj256ELj13ELNS0_17block_load_methodE3ELS4_3ELS4_3ELNS0_20block_scan_algorithmE0ELj4294967295EEENS1_25partition_config_selectorILNS1_17partition_subalgoE4EjNS0_10empty_typeEbEEZZNS1_14partition_implILS8_4ELb0ES6_15HIP_vector_typeIjLj2EENS0_17counting_iteratorIjlEEPS9_SG_NS0_5tupleIJPjSI_NS0_16reverse_iteratorISI_EEEEENSH_IJSG_SG_SG_EEES9_SI_JZNS1_25segmented_radix_sort_implINS0_14default_configELb0EPKiPiPKlPlN2at6native12_GLOBAL__N_18offset_tEEE10hipError_tPvRmT1_PNSt15iterator_traitsIS12_E10value_typeET2_T3_PNS13_IS18_E10value_typeET4_jRbjT5_S1E_jjP12ihipStream_tbEUljE_ZNSN_ISO_Lb0ESQ_SR_ST_SU_SY_EESZ_S10_S11_S12_S16_S17_S18_S1B_S1C_jS1D_jS1E_S1E_jjS1G_bEUljE0_EEESZ_S10_S11_S18_S1C_S1E_T6_T7_T9_mT8_S1G_bDpT10_ENKUlT_T0_E_clISt17integral_constantIbLb0EES1T_IbLb1EEEEDaS1P_S1Q_EUlS1P_E_NS1_11comp_targetILNS1_3genE5ELNS1_11target_archE942ELNS1_3gpuE9ELNS1_3repE0EEENS1_30default_config_static_selectorELNS0_4arch9wavefront6targetE1EEEvS12_
	.p2align	8
	.type	_ZN7rocprim17ROCPRIM_400000_NS6detail17trampoline_kernelINS0_13select_configILj256ELj13ELNS0_17block_load_methodE3ELS4_3ELS4_3ELNS0_20block_scan_algorithmE0ELj4294967295EEENS1_25partition_config_selectorILNS1_17partition_subalgoE4EjNS0_10empty_typeEbEEZZNS1_14partition_implILS8_4ELb0ES6_15HIP_vector_typeIjLj2EENS0_17counting_iteratorIjlEEPS9_SG_NS0_5tupleIJPjSI_NS0_16reverse_iteratorISI_EEEEENSH_IJSG_SG_SG_EEES9_SI_JZNS1_25segmented_radix_sort_implINS0_14default_configELb0EPKiPiPKlPlN2at6native12_GLOBAL__N_18offset_tEEE10hipError_tPvRmT1_PNSt15iterator_traitsIS12_E10value_typeET2_T3_PNS13_IS18_E10value_typeET4_jRbjT5_S1E_jjP12ihipStream_tbEUljE_ZNSN_ISO_Lb0ESQ_SR_ST_SU_SY_EESZ_S10_S11_S12_S16_S17_S18_S1B_S1C_jS1D_jS1E_S1E_jjS1G_bEUljE0_EEESZ_S10_S11_S18_S1C_S1E_T6_T7_T9_mT8_S1G_bDpT10_ENKUlT_T0_E_clISt17integral_constantIbLb0EES1T_IbLb1EEEEDaS1P_S1Q_EUlS1P_E_NS1_11comp_targetILNS1_3genE5ELNS1_11target_archE942ELNS1_3gpuE9ELNS1_3repE0EEENS1_30default_config_static_selectorELNS0_4arch9wavefront6targetE1EEEvS12_,@function
_ZN7rocprim17ROCPRIM_400000_NS6detail17trampoline_kernelINS0_13select_configILj256ELj13ELNS0_17block_load_methodE3ELS4_3ELS4_3ELNS0_20block_scan_algorithmE0ELj4294967295EEENS1_25partition_config_selectorILNS1_17partition_subalgoE4EjNS0_10empty_typeEbEEZZNS1_14partition_implILS8_4ELb0ES6_15HIP_vector_typeIjLj2EENS0_17counting_iteratorIjlEEPS9_SG_NS0_5tupleIJPjSI_NS0_16reverse_iteratorISI_EEEEENSH_IJSG_SG_SG_EEES9_SI_JZNS1_25segmented_radix_sort_implINS0_14default_configELb0EPKiPiPKlPlN2at6native12_GLOBAL__N_18offset_tEEE10hipError_tPvRmT1_PNSt15iterator_traitsIS12_E10value_typeET2_T3_PNS13_IS18_E10value_typeET4_jRbjT5_S1E_jjP12ihipStream_tbEUljE_ZNSN_ISO_Lb0ESQ_SR_ST_SU_SY_EESZ_S10_S11_S12_S16_S17_S18_S1B_S1C_jS1D_jS1E_S1E_jjS1G_bEUljE0_EEESZ_S10_S11_S18_S1C_S1E_T6_T7_T9_mT8_S1G_bDpT10_ENKUlT_T0_E_clISt17integral_constantIbLb0EES1T_IbLb1EEEEDaS1P_S1Q_EUlS1P_E_NS1_11comp_targetILNS1_3genE5ELNS1_11target_archE942ELNS1_3gpuE9ELNS1_3repE0EEENS1_30default_config_static_selectorELNS0_4arch9wavefront6targetE1EEEvS12_: ; @_ZN7rocprim17ROCPRIM_400000_NS6detail17trampoline_kernelINS0_13select_configILj256ELj13ELNS0_17block_load_methodE3ELS4_3ELS4_3ELNS0_20block_scan_algorithmE0ELj4294967295EEENS1_25partition_config_selectorILNS1_17partition_subalgoE4EjNS0_10empty_typeEbEEZZNS1_14partition_implILS8_4ELb0ES6_15HIP_vector_typeIjLj2EENS0_17counting_iteratorIjlEEPS9_SG_NS0_5tupleIJPjSI_NS0_16reverse_iteratorISI_EEEEENSH_IJSG_SG_SG_EEES9_SI_JZNS1_25segmented_radix_sort_implINS0_14default_configELb0EPKiPiPKlPlN2at6native12_GLOBAL__N_18offset_tEEE10hipError_tPvRmT1_PNSt15iterator_traitsIS12_E10value_typeET2_T3_PNS13_IS18_E10value_typeET4_jRbjT5_S1E_jjP12ihipStream_tbEUljE_ZNSN_ISO_Lb0ESQ_SR_ST_SU_SY_EESZ_S10_S11_S12_S16_S17_S18_S1B_S1C_jS1D_jS1E_S1E_jjS1G_bEUljE0_EEESZ_S10_S11_S18_S1C_S1E_T6_T7_T9_mT8_S1G_bDpT10_ENKUlT_T0_E_clISt17integral_constantIbLb0EES1T_IbLb1EEEEDaS1P_S1Q_EUlS1P_E_NS1_11comp_targetILNS1_3genE5ELNS1_11target_archE942ELNS1_3gpuE9ELNS1_3repE0EEENS1_30default_config_static_selectorELNS0_4arch9wavefront6targetE1EEEvS12_
; %bb.0:
	.section	.rodata,"a",@progbits
	.p2align	6, 0x0
	.amdhsa_kernel _ZN7rocprim17ROCPRIM_400000_NS6detail17trampoline_kernelINS0_13select_configILj256ELj13ELNS0_17block_load_methodE3ELS4_3ELS4_3ELNS0_20block_scan_algorithmE0ELj4294967295EEENS1_25partition_config_selectorILNS1_17partition_subalgoE4EjNS0_10empty_typeEbEEZZNS1_14partition_implILS8_4ELb0ES6_15HIP_vector_typeIjLj2EENS0_17counting_iteratorIjlEEPS9_SG_NS0_5tupleIJPjSI_NS0_16reverse_iteratorISI_EEEEENSH_IJSG_SG_SG_EEES9_SI_JZNS1_25segmented_radix_sort_implINS0_14default_configELb0EPKiPiPKlPlN2at6native12_GLOBAL__N_18offset_tEEE10hipError_tPvRmT1_PNSt15iterator_traitsIS12_E10value_typeET2_T3_PNS13_IS18_E10value_typeET4_jRbjT5_S1E_jjP12ihipStream_tbEUljE_ZNSN_ISO_Lb0ESQ_SR_ST_SU_SY_EESZ_S10_S11_S12_S16_S17_S18_S1B_S1C_jS1D_jS1E_S1E_jjS1G_bEUljE0_EEESZ_S10_S11_S18_S1C_S1E_T6_T7_T9_mT8_S1G_bDpT10_ENKUlT_T0_E_clISt17integral_constantIbLb0EES1T_IbLb1EEEEDaS1P_S1Q_EUlS1P_E_NS1_11comp_targetILNS1_3genE5ELNS1_11target_archE942ELNS1_3gpuE9ELNS1_3repE0EEENS1_30default_config_static_selectorELNS0_4arch9wavefront6targetE1EEEvS12_
		.amdhsa_group_segment_fixed_size 0
		.amdhsa_private_segment_fixed_size 0
		.amdhsa_kernarg_size 184
		.amdhsa_user_sgpr_count 6
		.amdhsa_user_sgpr_private_segment_buffer 1
		.amdhsa_user_sgpr_dispatch_ptr 0
		.amdhsa_user_sgpr_queue_ptr 0
		.amdhsa_user_sgpr_kernarg_segment_ptr 1
		.amdhsa_user_sgpr_dispatch_id 0
		.amdhsa_user_sgpr_flat_scratch_init 0
		.amdhsa_user_sgpr_private_segment_size 0
		.amdhsa_uses_dynamic_stack 0
		.amdhsa_system_sgpr_private_segment_wavefront_offset 0
		.amdhsa_system_sgpr_workgroup_id_x 1
		.amdhsa_system_sgpr_workgroup_id_y 0
		.amdhsa_system_sgpr_workgroup_id_z 0
		.amdhsa_system_sgpr_workgroup_info 0
		.amdhsa_system_vgpr_workitem_id 0
		.amdhsa_next_free_vgpr 1
		.amdhsa_next_free_sgpr 0
		.amdhsa_reserve_vcc 0
		.amdhsa_reserve_flat_scratch 0
		.amdhsa_float_round_mode_32 0
		.amdhsa_float_round_mode_16_64 0
		.amdhsa_float_denorm_mode_32 3
		.amdhsa_float_denorm_mode_16_64 3
		.amdhsa_dx10_clamp 1
		.amdhsa_ieee_mode 1
		.amdhsa_fp16_overflow 0
		.amdhsa_exception_fp_ieee_invalid_op 0
		.amdhsa_exception_fp_denorm_src 0
		.amdhsa_exception_fp_ieee_div_zero 0
		.amdhsa_exception_fp_ieee_overflow 0
		.amdhsa_exception_fp_ieee_underflow 0
		.amdhsa_exception_fp_ieee_inexact 0
		.amdhsa_exception_int_div_zero 0
	.end_amdhsa_kernel
	.section	.text._ZN7rocprim17ROCPRIM_400000_NS6detail17trampoline_kernelINS0_13select_configILj256ELj13ELNS0_17block_load_methodE3ELS4_3ELS4_3ELNS0_20block_scan_algorithmE0ELj4294967295EEENS1_25partition_config_selectorILNS1_17partition_subalgoE4EjNS0_10empty_typeEbEEZZNS1_14partition_implILS8_4ELb0ES6_15HIP_vector_typeIjLj2EENS0_17counting_iteratorIjlEEPS9_SG_NS0_5tupleIJPjSI_NS0_16reverse_iteratorISI_EEEEENSH_IJSG_SG_SG_EEES9_SI_JZNS1_25segmented_radix_sort_implINS0_14default_configELb0EPKiPiPKlPlN2at6native12_GLOBAL__N_18offset_tEEE10hipError_tPvRmT1_PNSt15iterator_traitsIS12_E10value_typeET2_T3_PNS13_IS18_E10value_typeET4_jRbjT5_S1E_jjP12ihipStream_tbEUljE_ZNSN_ISO_Lb0ESQ_SR_ST_SU_SY_EESZ_S10_S11_S12_S16_S17_S18_S1B_S1C_jS1D_jS1E_S1E_jjS1G_bEUljE0_EEESZ_S10_S11_S18_S1C_S1E_T6_T7_T9_mT8_S1G_bDpT10_ENKUlT_T0_E_clISt17integral_constantIbLb0EES1T_IbLb1EEEEDaS1P_S1Q_EUlS1P_E_NS1_11comp_targetILNS1_3genE5ELNS1_11target_archE942ELNS1_3gpuE9ELNS1_3repE0EEENS1_30default_config_static_selectorELNS0_4arch9wavefront6targetE1EEEvS12_,"axG",@progbits,_ZN7rocprim17ROCPRIM_400000_NS6detail17trampoline_kernelINS0_13select_configILj256ELj13ELNS0_17block_load_methodE3ELS4_3ELS4_3ELNS0_20block_scan_algorithmE0ELj4294967295EEENS1_25partition_config_selectorILNS1_17partition_subalgoE4EjNS0_10empty_typeEbEEZZNS1_14partition_implILS8_4ELb0ES6_15HIP_vector_typeIjLj2EENS0_17counting_iteratorIjlEEPS9_SG_NS0_5tupleIJPjSI_NS0_16reverse_iteratorISI_EEEEENSH_IJSG_SG_SG_EEES9_SI_JZNS1_25segmented_radix_sort_implINS0_14default_configELb0EPKiPiPKlPlN2at6native12_GLOBAL__N_18offset_tEEE10hipError_tPvRmT1_PNSt15iterator_traitsIS12_E10value_typeET2_T3_PNS13_IS18_E10value_typeET4_jRbjT5_S1E_jjP12ihipStream_tbEUljE_ZNSN_ISO_Lb0ESQ_SR_ST_SU_SY_EESZ_S10_S11_S12_S16_S17_S18_S1B_S1C_jS1D_jS1E_S1E_jjS1G_bEUljE0_EEESZ_S10_S11_S18_S1C_S1E_T6_T7_T9_mT8_S1G_bDpT10_ENKUlT_T0_E_clISt17integral_constantIbLb0EES1T_IbLb1EEEEDaS1P_S1Q_EUlS1P_E_NS1_11comp_targetILNS1_3genE5ELNS1_11target_archE942ELNS1_3gpuE9ELNS1_3repE0EEENS1_30default_config_static_selectorELNS0_4arch9wavefront6targetE1EEEvS12_,comdat
.Lfunc_end561:
	.size	_ZN7rocprim17ROCPRIM_400000_NS6detail17trampoline_kernelINS0_13select_configILj256ELj13ELNS0_17block_load_methodE3ELS4_3ELS4_3ELNS0_20block_scan_algorithmE0ELj4294967295EEENS1_25partition_config_selectorILNS1_17partition_subalgoE4EjNS0_10empty_typeEbEEZZNS1_14partition_implILS8_4ELb0ES6_15HIP_vector_typeIjLj2EENS0_17counting_iteratorIjlEEPS9_SG_NS0_5tupleIJPjSI_NS0_16reverse_iteratorISI_EEEEENSH_IJSG_SG_SG_EEES9_SI_JZNS1_25segmented_radix_sort_implINS0_14default_configELb0EPKiPiPKlPlN2at6native12_GLOBAL__N_18offset_tEEE10hipError_tPvRmT1_PNSt15iterator_traitsIS12_E10value_typeET2_T3_PNS13_IS18_E10value_typeET4_jRbjT5_S1E_jjP12ihipStream_tbEUljE_ZNSN_ISO_Lb0ESQ_SR_ST_SU_SY_EESZ_S10_S11_S12_S16_S17_S18_S1B_S1C_jS1D_jS1E_S1E_jjS1G_bEUljE0_EEESZ_S10_S11_S18_S1C_S1E_T6_T7_T9_mT8_S1G_bDpT10_ENKUlT_T0_E_clISt17integral_constantIbLb0EES1T_IbLb1EEEEDaS1P_S1Q_EUlS1P_E_NS1_11comp_targetILNS1_3genE5ELNS1_11target_archE942ELNS1_3gpuE9ELNS1_3repE0EEENS1_30default_config_static_selectorELNS0_4arch9wavefront6targetE1EEEvS12_, .Lfunc_end561-_ZN7rocprim17ROCPRIM_400000_NS6detail17trampoline_kernelINS0_13select_configILj256ELj13ELNS0_17block_load_methodE3ELS4_3ELS4_3ELNS0_20block_scan_algorithmE0ELj4294967295EEENS1_25partition_config_selectorILNS1_17partition_subalgoE4EjNS0_10empty_typeEbEEZZNS1_14partition_implILS8_4ELb0ES6_15HIP_vector_typeIjLj2EENS0_17counting_iteratorIjlEEPS9_SG_NS0_5tupleIJPjSI_NS0_16reverse_iteratorISI_EEEEENSH_IJSG_SG_SG_EEES9_SI_JZNS1_25segmented_radix_sort_implINS0_14default_configELb0EPKiPiPKlPlN2at6native12_GLOBAL__N_18offset_tEEE10hipError_tPvRmT1_PNSt15iterator_traitsIS12_E10value_typeET2_T3_PNS13_IS18_E10value_typeET4_jRbjT5_S1E_jjP12ihipStream_tbEUljE_ZNSN_ISO_Lb0ESQ_SR_ST_SU_SY_EESZ_S10_S11_S12_S16_S17_S18_S1B_S1C_jS1D_jS1E_S1E_jjS1G_bEUljE0_EEESZ_S10_S11_S18_S1C_S1E_T6_T7_T9_mT8_S1G_bDpT10_ENKUlT_T0_E_clISt17integral_constantIbLb0EES1T_IbLb1EEEEDaS1P_S1Q_EUlS1P_E_NS1_11comp_targetILNS1_3genE5ELNS1_11target_archE942ELNS1_3gpuE9ELNS1_3repE0EEENS1_30default_config_static_selectorELNS0_4arch9wavefront6targetE1EEEvS12_
                                        ; -- End function
	.set _ZN7rocprim17ROCPRIM_400000_NS6detail17trampoline_kernelINS0_13select_configILj256ELj13ELNS0_17block_load_methodE3ELS4_3ELS4_3ELNS0_20block_scan_algorithmE0ELj4294967295EEENS1_25partition_config_selectorILNS1_17partition_subalgoE4EjNS0_10empty_typeEbEEZZNS1_14partition_implILS8_4ELb0ES6_15HIP_vector_typeIjLj2EENS0_17counting_iteratorIjlEEPS9_SG_NS0_5tupleIJPjSI_NS0_16reverse_iteratorISI_EEEEENSH_IJSG_SG_SG_EEES9_SI_JZNS1_25segmented_radix_sort_implINS0_14default_configELb0EPKiPiPKlPlN2at6native12_GLOBAL__N_18offset_tEEE10hipError_tPvRmT1_PNSt15iterator_traitsIS12_E10value_typeET2_T3_PNS13_IS18_E10value_typeET4_jRbjT5_S1E_jjP12ihipStream_tbEUljE_ZNSN_ISO_Lb0ESQ_SR_ST_SU_SY_EESZ_S10_S11_S12_S16_S17_S18_S1B_S1C_jS1D_jS1E_S1E_jjS1G_bEUljE0_EEESZ_S10_S11_S18_S1C_S1E_T6_T7_T9_mT8_S1G_bDpT10_ENKUlT_T0_E_clISt17integral_constantIbLb0EES1T_IbLb1EEEEDaS1P_S1Q_EUlS1P_E_NS1_11comp_targetILNS1_3genE5ELNS1_11target_archE942ELNS1_3gpuE9ELNS1_3repE0EEENS1_30default_config_static_selectorELNS0_4arch9wavefront6targetE1EEEvS12_.num_vgpr, 0
	.set _ZN7rocprim17ROCPRIM_400000_NS6detail17trampoline_kernelINS0_13select_configILj256ELj13ELNS0_17block_load_methodE3ELS4_3ELS4_3ELNS0_20block_scan_algorithmE0ELj4294967295EEENS1_25partition_config_selectorILNS1_17partition_subalgoE4EjNS0_10empty_typeEbEEZZNS1_14partition_implILS8_4ELb0ES6_15HIP_vector_typeIjLj2EENS0_17counting_iteratorIjlEEPS9_SG_NS0_5tupleIJPjSI_NS0_16reverse_iteratorISI_EEEEENSH_IJSG_SG_SG_EEES9_SI_JZNS1_25segmented_radix_sort_implINS0_14default_configELb0EPKiPiPKlPlN2at6native12_GLOBAL__N_18offset_tEEE10hipError_tPvRmT1_PNSt15iterator_traitsIS12_E10value_typeET2_T3_PNS13_IS18_E10value_typeET4_jRbjT5_S1E_jjP12ihipStream_tbEUljE_ZNSN_ISO_Lb0ESQ_SR_ST_SU_SY_EESZ_S10_S11_S12_S16_S17_S18_S1B_S1C_jS1D_jS1E_S1E_jjS1G_bEUljE0_EEESZ_S10_S11_S18_S1C_S1E_T6_T7_T9_mT8_S1G_bDpT10_ENKUlT_T0_E_clISt17integral_constantIbLb0EES1T_IbLb1EEEEDaS1P_S1Q_EUlS1P_E_NS1_11comp_targetILNS1_3genE5ELNS1_11target_archE942ELNS1_3gpuE9ELNS1_3repE0EEENS1_30default_config_static_selectorELNS0_4arch9wavefront6targetE1EEEvS12_.num_agpr, 0
	.set _ZN7rocprim17ROCPRIM_400000_NS6detail17trampoline_kernelINS0_13select_configILj256ELj13ELNS0_17block_load_methodE3ELS4_3ELS4_3ELNS0_20block_scan_algorithmE0ELj4294967295EEENS1_25partition_config_selectorILNS1_17partition_subalgoE4EjNS0_10empty_typeEbEEZZNS1_14partition_implILS8_4ELb0ES6_15HIP_vector_typeIjLj2EENS0_17counting_iteratorIjlEEPS9_SG_NS0_5tupleIJPjSI_NS0_16reverse_iteratorISI_EEEEENSH_IJSG_SG_SG_EEES9_SI_JZNS1_25segmented_radix_sort_implINS0_14default_configELb0EPKiPiPKlPlN2at6native12_GLOBAL__N_18offset_tEEE10hipError_tPvRmT1_PNSt15iterator_traitsIS12_E10value_typeET2_T3_PNS13_IS18_E10value_typeET4_jRbjT5_S1E_jjP12ihipStream_tbEUljE_ZNSN_ISO_Lb0ESQ_SR_ST_SU_SY_EESZ_S10_S11_S12_S16_S17_S18_S1B_S1C_jS1D_jS1E_S1E_jjS1G_bEUljE0_EEESZ_S10_S11_S18_S1C_S1E_T6_T7_T9_mT8_S1G_bDpT10_ENKUlT_T0_E_clISt17integral_constantIbLb0EES1T_IbLb1EEEEDaS1P_S1Q_EUlS1P_E_NS1_11comp_targetILNS1_3genE5ELNS1_11target_archE942ELNS1_3gpuE9ELNS1_3repE0EEENS1_30default_config_static_selectorELNS0_4arch9wavefront6targetE1EEEvS12_.numbered_sgpr, 0
	.set _ZN7rocprim17ROCPRIM_400000_NS6detail17trampoline_kernelINS0_13select_configILj256ELj13ELNS0_17block_load_methodE3ELS4_3ELS4_3ELNS0_20block_scan_algorithmE0ELj4294967295EEENS1_25partition_config_selectorILNS1_17partition_subalgoE4EjNS0_10empty_typeEbEEZZNS1_14partition_implILS8_4ELb0ES6_15HIP_vector_typeIjLj2EENS0_17counting_iteratorIjlEEPS9_SG_NS0_5tupleIJPjSI_NS0_16reverse_iteratorISI_EEEEENSH_IJSG_SG_SG_EEES9_SI_JZNS1_25segmented_radix_sort_implINS0_14default_configELb0EPKiPiPKlPlN2at6native12_GLOBAL__N_18offset_tEEE10hipError_tPvRmT1_PNSt15iterator_traitsIS12_E10value_typeET2_T3_PNS13_IS18_E10value_typeET4_jRbjT5_S1E_jjP12ihipStream_tbEUljE_ZNSN_ISO_Lb0ESQ_SR_ST_SU_SY_EESZ_S10_S11_S12_S16_S17_S18_S1B_S1C_jS1D_jS1E_S1E_jjS1G_bEUljE0_EEESZ_S10_S11_S18_S1C_S1E_T6_T7_T9_mT8_S1G_bDpT10_ENKUlT_T0_E_clISt17integral_constantIbLb0EES1T_IbLb1EEEEDaS1P_S1Q_EUlS1P_E_NS1_11comp_targetILNS1_3genE5ELNS1_11target_archE942ELNS1_3gpuE9ELNS1_3repE0EEENS1_30default_config_static_selectorELNS0_4arch9wavefront6targetE1EEEvS12_.num_named_barrier, 0
	.set _ZN7rocprim17ROCPRIM_400000_NS6detail17trampoline_kernelINS0_13select_configILj256ELj13ELNS0_17block_load_methodE3ELS4_3ELS4_3ELNS0_20block_scan_algorithmE0ELj4294967295EEENS1_25partition_config_selectorILNS1_17partition_subalgoE4EjNS0_10empty_typeEbEEZZNS1_14partition_implILS8_4ELb0ES6_15HIP_vector_typeIjLj2EENS0_17counting_iteratorIjlEEPS9_SG_NS0_5tupleIJPjSI_NS0_16reverse_iteratorISI_EEEEENSH_IJSG_SG_SG_EEES9_SI_JZNS1_25segmented_radix_sort_implINS0_14default_configELb0EPKiPiPKlPlN2at6native12_GLOBAL__N_18offset_tEEE10hipError_tPvRmT1_PNSt15iterator_traitsIS12_E10value_typeET2_T3_PNS13_IS18_E10value_typeET4_jRbjT5_S1E_jjP12ihipStream_tbEUljE_ZNSN_ISO_Lb0ESQ_SR_ST_SU_SY_EESZ_S10_S11_S12_S16_S17_S18_S1B_S1C_jS1D_jS1E_S1E_jjS1G_bEUljE0_EEESZ_S10_S11_S18_S1C_S1E_T6_T7_T9_mT8_S1G_bDpT10_ENKUlT_T0_E_clISt17integral_constantIbLb0EES1T_IbLb1EEEEDaS1P_S1Q_EUlS1P_E_NS1_11comp_targetILNS1_3genE5ELNS1_11target_archE942ELNS1_3gpuE9ELNS1_3repE0EEENS1_30default_config_static_selectorELNS0_4arch9wavefront6targetE1EEEvS12_.private_seg_size, 0
	.set _ZN7rocprim17ROCPRIM_400000_NS6detail17trampoline_kernelINS0_13select_configILj256ELj13ELNS0_17block_load_methodE3ELS4_3ELS4_3ELNS0_20block_scan_algorithmE0ELj4294967295EEENS1_25partition_config_selectorILNS1_17partition_subalgoE4EjNS0_10empty_typeEbEEZZNS1_14partition_implILS8_4ELb0ES6_15HIP_vector_typeIjLj2EENS0_17counting_iteratorIjlEEPS9_SG_NS0_5tupleIJPjSI_NS0_16reverse_iteratorISI_EEEEENSH_IJSG_SG_SG_EEES9_SI_JZNS1_25segmented_radix_sort_implINS0_14default_configELb0EPKiPiPKlPlN2at6native12_GLOBAL__N_18offset_tEEE10hipError_tPvRmT1_PNSt15iterator_traitsIS12_E10value_typeET2_T3_PNS13_IS18_E10value_typeET4_jRbjT5_S1E_jjP12ihipStream_tbEUljE_ZNSN_ISO_Lb0ESQ_SR_ST_SU_SY_EESZ_S10_S11_S12_S16_S17_S18_S1B_S1C_jS1D_jS1E_S1E_jjS1G_bEUljE0_EEESZ_S10_S11_S18_S1C_S1E_T6_T7_T9_mT8_S1G_bDpT10_ENKUlT_T0_E_clISt17integral_constantIbLb0EES1T_IbLb1EEEEDaS1P_S1Q_EUlS1P_E_NS1_11comp_targetILNS1_3genE5ELNS1_11target_archE942ELNS1_3gpuE9ELNS1_3repE0EEENS1_30default_config_static_selectorELNS0_4arch9wavefront6targetE1EEEvS12_.uses_vcc, 0
	.set _ZN7rocprim17ROCPRIM_400000_NS6detail17trampoline_kernelINS0_13select_configILj256ELj13ELNS0_17block_load_methodE3ELS4_3ELS4_3ELNS0_20block_scan_algorithmE0ELj4294967295EEENS1_25partition_config_selectorILNS1_17partition_subalgoE4EjNS0_10empty_typeEbEEZZNS1_14partition_implILS8_4ELb0ES6_15HIP_vector_typeIjLj2EENS0_17counting_iteratorIjlEEPS9_SG_NS0_5tupleIJPjSI_NS0_16reverse_iteratorISI_EEEEENSH_IJSG_SG_SG_EEES9_SI_JZNS1_25segmented_radix_sort_implINS0_14default_configELb0EPKiPiPKlPlN2at6native12_GLOBAL__N_18offset_tEEE10hipError_tPvRmT1_PNSt15iterator_traitsIS12_E10value_typeET2_T3_PNS13_IS18_E10value_typeET4_jRbjT5_S1E_jjP12ihipStream_tbEUljE_ZNSN_ISO_Lb0ESQ_SR_ST_SU_SY_EESZ_S10_S11_S12_S16_S17_S18_S1B_S1C_jS1D_jS1E_S1E_jjS1G_bEUljE0_EEESZ_S10_S11_S18_S1C_S1E_T6_T7_T9_mT8_S1G_bDpT10_ENKUlT_T0_E_clISt17integral_constantIbLb0EES1T_IbLb1EEEEDaS1P_S1Q_EUlS1P_E_NS1_11comp_targetILNS1_3genE5ELNS1_11target_archE942ELNS1_3gpuE9ELNS1_3repE0EEENS1_30default_config_static_selectorELNS0_4arch9wavefront6targetE1EEEvS12_.uses_flat_scratch, 0
	.set _ZN7rocprim17ROCPRIM_400000_NS6detail17trampoline_kernelINS0_13select_configILj256ELj13ELNS0_17block_load_methodE3ELS4_3ELS4_3ELNS0_20block_scan_algorithmE0ELj4294967295EEENS1_25partition_config_selectorILNS1_17partition_subalgoE4EjNS0_10empty_typeEbEEZZNS1_14partition_implILS8_4ELb0ES6_15HIP_vector_typeIjLj2EENS0_17counting_iteratorIjlEEPS9_SG_NS0_5tupleIJPjSI_NS0_16reverse_iteratorISI_EEEEENSH_IJSG_SG_SG_EEES9_SI_JZNS1_25segmented_radix_sort_implINS0_14default_configELb0EPKiPiPKlPlN2at6native12_GLOBAL__N_18offset_tEEE10hipError_tPvRmT1_PNSt15iterator_traitsIS12_E10value_typeET2_T3_PNS13_IS18_E10value_typeET4_jRbjT5_S1E_jjP12ihipStream_tbEUljE_ZNSN_ISO_Lb0ESQ_SR_ST_SU_SY_EESZ_S10_S11_S12_S16_S17_S18_S1B_S1C_jS1D_jS1E_S1E_jjS1G_bEUljE0_EEESZ_S10_S11_S18_S1C_S1E_T6_T7_T9_mT8_S1G_bDpT10_ENKUlT_T0_E_clISt17integral_constantIbLb0EES1T_IbLb1EEEEDaS1P_S1Q_EUlS1P_E_NS1_11comp_targetILNS1_3genE5ELNS1_11target_archE942ELNS1_3gpuE9ELNS1_3repE0EEENS1_30default_config_static_selectorELNS0_4arch9wavefront6targetE1EEEvS12_.has_dyn_sized_stack, 0
	.set _ZN7rocprim17ROCPRIM_400000_NS6detail17trampoline_kernelINS0_13select_configILj256ELj13ELNS0_17block_load_methodE3ELS4_3ELS4_3ELNS0_20block_scan_algorithmE0ELj4294967295EEENS1_25partition_config_selectorILNS1_17partition_subalgoE4EjNS0_10empty_typeEbEEZZNS1_14partition_implILS8_4ELb0ES6_15HIP_vector_typeIjLj2EENS0_17counting_iteratorIjlEEPS9_SG_NS0_5tupleIJPjSI_NS0_16reverse_iteratorISI_EEEEENSH_IJSG_SG_SG_EEES9_SI_JZNS1_25segmented_radix_sort_implINS0_14default_configELb0EPKiPiPKlPlN2at6native12_GLOBAL__N_18offset_tEEE10hipError_tPvRmT1_PNSt15iterator_traitsIS12_E10value_typeET2_T3_PNS13_IS18_E10value_typeET4_jRbjT5_S1E_jjP12ihipStream_tbEUljE_ZNSN_ISO_Lb0ESQ_SR_ST_SU_SY_EESZ_S10_S11_S12_S16_S17_S18_S1B_S1C_jS1D_jS1E_S1E_jjS1G_bEUljE0_EEESZ_S10_S11_S18_S1C_S1E_T6_T7_T9_mT8_S1G_bDpT10_ENKUlT_T0_E_clISt17integral_constantIbLb0EES1T_IbLb1EEEEDaS1P_S1Q_EUlS1P_E_NS1_11comp_targetILNS1_3genE5ELNS1_11target_archE942ELNS1_3gpuE9ELNS1_3repE0EEENS1_30default_config_static_selectorELNS0_4arch9wavefront6targetE1EEEvS12_.has_recursion, 0
	.set _ZN7rocprim17ROCPRIM_400000_NS6detail17trampoline_kernelINS0_13select_configILj256ELj13ELNS0_17block_load_methodE3ELS4_3ELS4_3ELNS0_20block_scan_algorithmE0ELj4294967295EEENS1_25partition_config_selectorILNS1_17partition_subalgoE4EjNS0_10empty_typeEbEEZZNS1_14partition_implILS8_4ELb0ES6_15HIP_vector_typeIjLj2EENS0_17counting_iteratorIjlEEPS9_SG_NS0_5tupleIJPjSI_NS0_16reverse_iteratorISI_EEEEENSH_IJSG_SG_SG_EEES9_SI_JZNS1_25segmented_radix_sort_implINS0_14default_configELb0EPKiPiPKlPlN2at6native12_GLOBAL__N_18offset_tEEE10hipError_tPvRmT1_PNSt15iterator_traitsIS12_E10value_typeET2_T3_PNS13_IS18_E10value_typeET4_jRbjT5_S1E_jjP12ihipStream_tbEUljE_ZNSN_ISO_Lb0ESQ_SR_ST_SU_SY_EESZ_S10_S11_S12_S16_S17_S18_S1B_S1C_jS1D_jS1E_S1E_jjS1G_bEUljE0_EEESZ_S10_S11_S18_S1C_S1E_T6_T7_T9_mT8_S1G_bDpT10_ENKUlT_T0_E_clISt17integral_constantIbLb0EES1T_IbLb1EEEEDaS1P_S1Q_EUlS1P_E_NS1_11comp_targetILNS1_3genE5ELNS1_11target_archE942ELNS1_3gpuE9ELNS1_3repE0EEENS1_30default_config_static_selectorELNS0_4arch9wavefront6targetE1EEEvS12_.has_indirect_call, 0
	.section	.AMDGPU.csdata,"",@progbits
; Kernel info:
; codeLenInByte = 0
; TotalNumSgprs: 4
; NumVgprs: 0
; ScratchSize: 0
; MemoryBound: 0
; FloatMode: 240
; IeeeMode: 1
; LDSByteSize: 0 bytes/workgroup (compile time only)
; SGPRBlocks: 0
; VGPRBlocks: 0
; NumSGPRsForWavesPerEU: 4
; NumVGPRsForWavesPerEU: 1
; Occupancy: 10
; WaveLimiterHint : 0
; COMPUTE_PGM_RSRC2:SCRATCH_EN: 0
; COMPUTE_PGM_RSRC2:USER_SGPR: 6
; COMPUTE_PGM_RSRC2:TRAP_HANDLER: 0
; COMPUTE_PGM_RSRC2:TGID_X_EN: 1
; COMPUTE_PGM_RSRC2:TGID_Y_EN: 0
; COMPUTE_PGM_RSRC2:TGID_Z_EN: 0
; COMPUTE_PGM_RSRC2:TIDIG_COMP_CNT: 0
	.section	.text._ZN7rocprim17ROCPRIM_400000_NS6detail17trampoline_kernelINS0_13select_configILj256ELj13ELNS0_17block_load_methodE3ELS4_3ELS4_3ELNS0_20block_scan_algorithmE0ELj4294967295EEENS1_25partition_config_selectorILNS1_17partition_subalgoE4EjNS0_10empty_typeEbEEZZNS1_14partition_implILS8_4ELb0ES6_15HIP_vector_typeIjLj2EENS0_17counting_iteratorIjlEEPS9_SG_NS0_5tupleIJPjSI_NS0_16reverse_iteratorISI_EEEEENSH_IJSG_SG_SG_EEES9_SI_JZNS1_25segmented_radix_sort_implINS0_14default_configELb0EPKiPiPKlPlN2at6native12_GLOBAL__N_18offset_tEEE10hipError_tPvRmT1_PNSt15iterator_traitsIS12_E10value_typeET2_T3_PNS13_IS18_E10value_typeET4_jRbjT5_S1E_jjP12ihipStream_tbEUljE_ZNSN_ISO_Lb0ESQ_SR_ST_SU_SY_EESZ_S10_S11_S12_S16_S17_S18_S1B_S1C_jS1D_jS1E_S1E_jjS1G_bEUljE0_EEESZ_S10_S11_S18_S1C_S1E_T6_T7_T9_mT8_S1G_bDpT10_ENKUlT_T0_E_clISt17integral_constantIbLb0EES1T_IbLb1EEEEDaS1P_S1Q_EUlS1P_E_NS1_11comp_targetILNS1_3genE4ELNS1_11target_archE910ELNS1_3gpuE8ELNS1_3repE0EEENS1_30default_config_static_selectorELNS0_4arch9wavefront6targetE1EEEvS12_,"axG",@progbits,_ZN7rocprim17ROCPRIM_400000_NS6detail17trampoline_kernelINS0_13select_configILj256ELj13ELNS0_17block_load_methodE3ELS4_3ELS4_3ELNS0_20block_scan_algorithmE0ELj4294967295EEENS1_25partition_config_selectorILNS1_17partition_subalgoE4EjNS0_10empty_typeEbEEZZNS1_14partition_implILS8_4ELb0ES6_15HIP_vector_typeIjLj2EENS0_17counting_iteratorIjlEEPS9_SG_NS0_5tupleIJPjSI_NS0_16reverse_iteratorISI_EEEEENSH_IJSG_SG_SG_EEES9_SI_JZNS1_25segmented_radix_sort_implINS0_14default_configELb0EPKiPiPKlPlN2at6native12_GLOBAL__N_18offset_tEEE10hipError_tPvRmT1_PNSt15iterator_traitsIS12_E10value_typeET2_T3_PNS13_IS18_E10value_typeET4_jRbjT5_S1E_jjP12ihipStream_tbEUljE_ZNSN_ISO_Lb0ESQ_SR_ST_SU_SY_EESZ_S10_S11_S12_S16_S17_S18_S1B_S1C_jS1D_jS1E_S1E_jjS1G_bEUljE0_EEESZ_S10_S11_S18_S1C_S1E_T6_T7_T9_mT8_S1G_bDpT10_ENKUlT_T0_E_clISt17integral_constantIbLb0EES1T_IbLb1EEEEDaS1P_S1Q_EUlS1P_E_NS1_11comp_targetILNS1_3genE4ELNS1_11target_archE910ELNS1_3gpuE8ELNS1_3repE0EEENS1_30default_config_static_selectorELNS0_4arch9wavefront6targetE1EEEvS12_,comdat
	.globl	_ZN7rocprim17ROCPRIM_400000_NS6detail17trampoline_kernelINS0_13select_configILj256ELj13ELNS0_17block_load_methodE3ELS4_3ELS4_3ELNS0_20block_scan_algorithmE0ELj4294967295EEENS1_25partition_config_selectorILNS1_17partition_subalgoE4EjNS0_10empty_typeEbEEZZNS1_14partition_implILS8_4ELb0ES6_15HIP_vector_typeIjLj2EENS0_17counting_iteratorIjlEEPS9_SG_NS0_5tupleIJPjSI_NS0_16reverse_iteratorISI_EEEEENSH_IJSG_SG_SG_EEES9_SI_JZNS1_25segmented_radix_sort_implINS0_14default_configELb0EPKiPiPKlPlN2at6native12_GLOBAL__N_18offset_tEEE10hipError_tPvRmT1_PNSt15iterator_traitsIS12_E10value_typeET2_T3_PNS13_IS18_E10value_typeET4_jRbjT5_S1E_jjP12ihipStream_tbEUljE_ZNSN_ISO_Lb0ESQ_SR_ST_SU_SY_EESZ_S10_S11_S12_S16_S17_S18_S1B_S1C_jS1D_jS1E_S1E_jjS1G_bEUljE0_EEESZ_S10_S11_S18_S1C_S1E_T6_T7_T9_mT8_S1G_bDpT10_ENKUlT_T0_E_clISt17integral_constantIbLb0EES1T_IbLb1EEEEDaS1P_S1Q_EUlS1P_E_NS1_11comp_targetILNS1_3genE4ELNS1_11target_archE910ELNS1_3gpuE8ELNS1_3repE0EEENS1_30default_config_static_selectorELNS0_4arch9wavefront6targetE1EEEvS12_ ; -- Begin function _ZN7rocprim17ROCPRIM_400000_NS6detail17trampoline_kernelINS0_13select_configILj256ELj13ELNS0_17block_load_methodE3ELS4_3ELS4_3ELNS0_20block_scan_algorithmE0ELj4294967295EEENS1_25partition_config_selectorILNS1_17partition_subalgoE4EjNS0_10empty_typeEbEEZZNS1_14partition_implILS8_4ELb0ES6_15HIP_vector_typeIjLj2EENS0_17counting_iteratorIjlEEPS9_SG_NS0_5tupleIJPjSI_NS0_16reverse_iteratorISI_EEEEENSH_IJSG_SG_SG_EEES9_SI_JZNS1_25segmented_radix_sort_implINS0_14default_configELb0EPKiPiPKlPlN2at6native12_GLOBAL__N_18offset_tEEE10hipError_tPvRmT1_PNSt15iterator_traitsIS12_E10value_typeET2_T3_PNS13_IS18_E10value_typeET4_jRbjT5_S1E_jjP12ihipStream_tbEUljE_ZNSN_ISO_Lb0ESQ_SR_ST_SU_SY_EESZ_S10_S11_S12_S16_S17_S18_S1B_S1C_jS1D_jS1E_S1E_jjS1G_bEUljE0_EEESZ_S10_S11_S18_S1C_S1E_T6_T7_T9_mT8_S1G_bDpT10_ENKUlT_T0_E_clISt17integral_constantIbLb0EES1T_IbLb1EEEEDaS1P_S1Q_EUlS1P_E_NS1_11comp_targetILNS1_3genE4ELNS1_11target_archE910ELNS1_3gpuE8ELNS1_3repE0EEENS1_30default_config_static_selectorELNS0_4arch9wavefront6targetE1EEEvS12_
	.p2align	8
	.type	_ZN7rocprim17ROCPRIM_400000_NS6detail17trampoline_kernelINS0_13select_configILj256ELj13ELNS0_17block_load_methodE3ELS4_3ELS4_3ELNS0_20block_scan_algorithmE0ELj4294967295EEENS1_25partition_config_selectorILNS1_17partition_subalgoE4EjNS0_10empty_typeEbEEZZNS1_14partition_implILS8_4ELb0ES6_15HIP_vector_typeIjLj2EENS0_17counting_iteratorIjlEEPS9_SG_NS0_5tupleIJPjSI_NS0_16reverse_iteratorISI_EEEEENSH_IJSG_SG_SG_EEES9_SI_JZNS1_25segmented_radix_sort_implINS0_14default_configELb0EPKiPiPKlPlN2at6native12_GLOBAL__N_18offset_tEEE10hipError_tPvRmT1_PNSt15iterator_traitsIS12_E10value_typeET2_T3_PNS13_IS18_E10value_typeET4_jRbjT5_S1E_jjP12ihipStream_tbEUljE_ZNSN_ISO_Lb0ESQ_SR_ST_SU_SY_EESZ_S10_S11_S12_S16_S17_S18_S1B_S1C_jS1D_jS1E_S1E_jjS1G_bEUljE0_EEESZ_S10_S11_S18_S1C_S1E_T6_T7_T9_mT8_S1G_bDpT10_ENKUlT_T0_E_clISt17integral_constantIbLb0EES1T_IbLb1EEEEDaS1P_S1Q_EUlS1P_E_NS1_11comp_targetILNS1_3genE4ELNS1_11target_archE910ELNS1_3gpuE8ELNS1_3repE0EEENS1_30default_config_static_selectorELNS0_4arch9wavefront6targetE1EEEvS12_,@function
_ZN7rocprim17ROCPRIM_400000_NS6detail17trampoline_kernelINS0_13select_configILj256ELj13ELNS0_17block_load_methodE3ELS4_3ELS4_3ELNS0_20block_scan_algorithmE0ELj4294967295EEENS1_25partition_config_selectorILNS1_17partition_subalgoE4EjNS0_10empty_typeEbEEZZNS1_14partition_implILS8_4ELb0ES6_15HIP_vector_typeIjLj2EENS0_17counting_iteratorIjlEEPS9_SG_NS0_5tupleIJPjSI_NS0_16reverse_iteratorISI_EEEEENSH_IJSG_SG_SG_EEES9_SI_JZNS1_25segmented_radix_sort_implINS0_14default_configELb0EPKiPiPKlPlN2at6native12_GLOBAL__N_18offset_tEEE10hipError_tPvRmT1_PNSt15iterator_traitsIS12_E10value_typeET2_T3_PNS13_IS18_E10value_typeET4_jRbjT5_S1E_jjP12ihipStream_tbEUljE_ZNSN_ISO_Lb0ESQ_SR_ST_SU_SY_EESZ_S10_S11_S12_S16_S17_S18_S1B_S1C_jS1D_jS1E_S1E_jjS1G_bEUljE0_EEESZ_S10_S11_S18_S1C_S1E_T6_T7_T9_mT8_S1G_bDpT10_ENKUlT_T0_E_clISt17integral_constantIbLb0EES1T_IbLb1EEEEDaS1P_S1Q_EUlS1P_E_NS1_11comp_targetILNS1_3genE4ELNS1_11target_archE910ELNS1_3gpuE8ELNS1_3repE0EEENS1_30default_config_static_selectorELNS0_4arch9wavefront6targetE1EEEvS12_: ; @_ZN7rocprim17ROCPRIM_400000_NS6detail17trampoline_kernelINS0_13select_configILj256ELj13ELNS0_17block_load_methodE3ELS4_3ELS4_3ELNS0_20block_scan_algorithmE0ELj4294967295EEENS1_25partition_config_selectorILNS1_17partition_subalgoE4EjNS0_10empty_typeEbEEZZNS1_14partition_implILS8_4ELb0ES6_15HIP_vector_typeIjLj2EENS0_17counting_iteratorIjlEEPS9_SG_NS0_5tupleIJPjSI_NS0_16reverse_iteratorISI_EEEEENSH_IJSG_SG_SG_EEES9_SI_JZNS1_25segmented_radix_sort_implINS0_14default_configELb0EPKiPiPKlPlN2at6native12_GLOBAL__N_18offset_tEEE10hipError_tPvRmT1_PNSt15iterator_traitsIS12_E10value_typeET2_T3_PNS13_IS18_E10value_typeET4_jRbjT5_S1E_jjP12ihipStream_tbEUljE_ZNSN_ISO_Lb0ESQ_SR_ST_SU_SY_EESZ_S10_S11_S12_S16_S17_S18_S1B_S1C_jS1D_jS1E_S1E_jjS1G_bEUljE0_EEESZ_S10_S11_S18_S1C_S1E_T6_T7_T9_mT8_S1G_bDpT10_ENKUlT_T0_E_clISt17integral_constantIbLb0EES1T_IbLb1EEEEDaS1P_S1Q_EUlS1P_E_NS1_11comp_targetILNS1_3genE4ELNS1_11target_archE910ELNS1_3gpuE8ELNS1_3repE0EEENS1_30default_config_static_selectorELNS0_4arch9wavefront6targetE1EEEvS12_
; %bb.0:
	.section	.rodata,"a",@progbits
	.p2align	6, 0x0
	.amdhsa_kernel _ZN7rocprim17ROCPRIM_400000_NS6detail17trampoline_kernelINS0_13select_configILj256ELj13ELNS0_17block_load_methodE3ELS4_3ELS4_3ELNS0_20block_scan_algorithmE0ELj4294967295EEENS1_25partition_config_selectorILNS1_17partition_subalgoE4EjNS0_10empty_typeEbEEZZNS1_14partition_implILS8_4ELb0ES6_15HIP_vector_typeIjLj2EENS0_17counting_iteratorIjlEEPS9_SG_NS0_5tupleIJPjSI_NS0_16reverse_iteratorISI_EEEEENSH_IJSG_SG_SG_EEES9_SI_JZNS1_25segmented_radix_sort_implINS0_14default_configELb0EPKiPiPKlPlN2at6native12_GLOBAL__N_18offset_tEEE10hipError_tPvRmT1_PNSt15iterator_traitsIS12_E10value_typeET2_T3_PNS13_IS18_E10value_typeET4_jRbjT5_S1E_jjP12ihipStream_tbEUljE_ZNSN_ISO_Lb0ESQ_SR_ST_SU_SY_EESZ_S10_S11_S12_S16_S17_S18_S1B_S1C_jS1D_jS1E_S1E_jjS1G_bEUljE0_EEESZ_S10_S11_S18_S1C_S1E_T6_T7_T9_mT8_S1G_bDpT10_ENKUlT_T0_E_clISt17integral_constantIbLb0EES1T_IbLb1EEEEDaS1P_S1Q_EUlS1P_E_NS1_11comp_targetILNS1_3genE4ELNS1_11target_archE910ELNS1_3gpuE8ELNS1_3repE0EEENS1_30default_config_static_selectorELNS0_4arch9wavefront6targetE1EEEvS12_
		.amdhsa_group_segment_fixed_size 0
		.amdhsa_private_segment_fixed_size 0
		.amdhsa_kernarg_size 184
		.amdhsa_user_sgpr_count 6
		.amdhsa_user_sgpr_private_segment_buffer 1
		.amdhsa_user_sgpr_dispatch_ptr 0
		.amdhsa_user_sgpr_queue_ptr 0
		.amdhsa_user_sgpr_kernarg_segment_ptr 1
		.amdhsa_user_sgpr_dispatch_id 0
		.amdhsa_user_sgpr_flat_scratch_init 0
		.amdhsa_user_sgpr_private_segment_size 0
		.amdhsa_uses_dynamic_stack 0
		.amdhsa_system_sgpr_private_segment_wavefront_offset 0
		.amdhsa_system_sgpr_workgroup_id_x 1
		.amdhsa_system_sgpr_workgroup_id_y 0
		.amdhsa_system_sgpr_workgroup_id_z 0
		.amdhsa_system_sgpr_workgroup_info 0
		.amdhsa_system_vgpr_workitem_id 0
		.amdhsa_next_free_vgpr 1
		.amdhsa_next_free_sgpr 0
		.amdhsa_reserve_vcc 0
		.amdhsa_reserve_flat_scratch 0
		.amdhsa_float_round_mode_32 0
		.amdhsa_float_round_mode_16_64 0
		.amdhsa_float_denorm_mode_32 3
		.amdhsa_float_denorm_mode_16_64 3
		.amdhsa_dx10_clamp 1
		.amdhsa_ieee_mode 1
		.amdhsa_fp16_overflow 0
		.amdhsa_exception_fp_ieee_invalid_op 0
		.amdhsa_exception_fp_denorm_src 0
		.amdhsa_exception_fp_ieee_div_zero 0
		.amdhsa_exception_fp_ieee_overflow 0
		.amdhsa_exception_fp_ieee_underflow 0
		.amdhsa_exception_fp_ieee_inexact 0
		.amdhsa_exception_int_div_zero 0
	.end_amdhsa_kernel
	.section	.text._ZN7rocprim17ROCPRIM_400000_NS6detail17trampoline_kernelINS0_13select_configILj256ELj13ELNS0_17block_load_methodE3ELS4_3ELS4_3ELNS0_20block_scan_algorithmE0ELj4294967295EEENS1_25partition_config_selectorILNS1_17partition_subalgoE4EjNS0_10empty_typeEbEEZZNS1_14partition_implILS8_4ELb0ES6_15HIP_vector_typeIjLj2EENS0_17counting_iteratorIjlEEPS9_SG_NS0_5tupleIJPjSI_NS0_16reverse_iteratorISI_EEEEENSH_IJSG_SG_SG_EEES9_SI_JZNS1_25segmented_radix_sort_implINS0_14default_configELb0EPKiPiPKlPlN2at6native12_GLOBAL__N_18offset_tEEE10hipError_tPvRmT1_PNSt15iterator_traitsIS12_E10value_typeET2_T3_PNS13_IS18_E10value_typeET4_jRbjT5_S1E_jjP12ihipStream_tbEUljE_ZNSN_ISO_Lb0ESQ_SR_ST_SU_SY_EESZ_S10_S11_S12_S16_S17_S18_S1B_S1C_jS1D_jS1E_S1E_jjS1G_bEUljE0_EEESZ_S10_S11_S18_S1C_S1E_T6_T7_T9_mT8_S1G_bDpT10_ENKUlT_T0_E_clISt17integral_constantIbLb0EES1T_IbLb1EEEEDaS1P_S1Q_EUlS1P_E_NS1_11comp_targetILNS1_3genE4ELNS1_11target_archE910ELNS1_3gpuE8ELNS1_3repE0EEENS1_30default_config_static_selectorELNS0_4arch9wavefront6targetE1EEEvS12_,"axG",@progbits,_ZN7rocprim17ROCPRIM_400000_NS6detail17trampoline_kernelINS0_13select_configILj256ELj13ELNS0_17block_load_methodE3ELS4_3ELS4_3ELNS0_20block_scan_algorithmE0ELj4294967295EEENS1_25partition_config_selectorILNS1_17partition_subalgoE4EjNS0_10empty_typeEbEEZZNS1_14partition_implILS8_4ELb0ES6_15HIP_vector_typeIjLj2EENS0_17counting_iteratorIjlEEPS9_SG_NS0_5tupleIJPjSI_NS0_16reverse_iteratorISI_EEEEENSH_IJSG_SG_SG_EEES9_SI_JZNS1_25segmented_radix_sort_implINS0_14default_configELb0EPKiPiPKlPlN2at6native12_GLOBAL__N_18offset_tEEE10hipError_tPvRmT1_PNSt15iterator_traitsIS12_E10value_typeET2_T3_PNS13_IS18_E10value_typeET4_jRbjT5_S1E_jjP12ihipStream_tbEUljE_ZNSN_ISO_Lb0ESQ_SR_ST_SU_SY_EESZ_S10_S11_S12_S16_S17_S18_S1B_S1C_jS1D_jS1E_S1E_jjS1G_bEUljE0_EEESZ_S10_S11_S18_S1C_S1E_T6_T7_T9_mT8_S1G_bDpT10_ENKUlT_T0_E_clISt17integral_constantIbLb0EES1T_IbLb1EEEEDaS1P_S1Q_EUlS1P_E_NS1_11comp_targetILNS1_3genE4ELNS1_11target_archE910ELNS1_3gpuE8ELNS1_3repE0EEENS1_30default_config_static_selectorELNS0_4arch9wavefront6targetE1EEEvS12_,comdat
.Lfunc_end562:
	.size	_ZN7rocprim17ROCPRIM_400000_NS6detail17trampoline_kernelINS0_13select_configILj256ELj13ELNS0_17block_load_methodE3ELS4_3ELS4_3ELNS0_20block_scan_algorithmE0ELj4294967295EEENS1_25partition_config_selectorILNS1_17partition_subalgoE4EjNS0_10empty_typeEbEEZZNS1_14partition_implILS8_4ELb0ES6_15HIP_vector_typeIjLj2EENS0_17counting_iteratorIjlEEPS9_SG_NS0_5tupleIJPjSI_NS0_16reverse_iteratorISI_EEEEENSH_IJSG_SG_SG_EEES9_SI_JZNS1_25segmented_radix_sort_implINS0_14default_configELb0EPKiPiPKlPlN2at6native12_GLOBAL__N_18offset_tEEE10hipError_tPvRmT1_PNSt15iterator_traitsIS12_E10value_typeET2_T3_PNS13_IS18_E10value_typeET4_jRbjT5_S1E_jjP12ihipStream_tbEUljE_ZNSN_ISO_Lb0ESQ_SR_ST_SU_SY_EESZ_S10_S11_S12_S16_S17_S18_S1B_S1C_jS1D_jS1E_S1E_jjS1G_bEUljE0_EEESZ_S10_S11_S18_S1C_S1E_T6_T7_T9_mT8_S1G_bDpT10_ENKUlT_T0_E_clISt17integral_constantIbLb0EES1T_IbLb1EEEEDaS1P_S1Q_EUlS1P_E_NS1_11comp_targetILNS1_3genE4ELNS1_11target_archE910ELNS1_3gpuE8ELNS1_3repE0EEENS1_30default_config_static_selectorELNS0_4arch9wavefront6targetE1EEEvS12_, .Lfunc_end562-_ZN7rocprim17ROCPRIM_400000_NS6detail17trampoline_kernelINS0_13select_configILj256ELj13ELNS0_17block_load_methodE3ELS4_3ELS4_3ELNS0_20block_scan_algorithmE0ELj4294967295EEENS1_25partition_config_selectorILNS1_17partition_subalgoE4EjNS0_10empty_typeEbEEZZNS1_14partition_implILS8_4ELb0ES6_15HIP_vector_typeIjLj2EENS0_17counting_iteratorIjlEEPS9_SG_NS0_5tupleIJPjSI_NS0_16reverse_iteratorISI_EEEEENSH_IJSG_SG_SG_EEES9_SI_JZNS1_25segmented_radix_sort_implINS0_14default_configELb0EPKiPiPKlPlN2at6native12_GLOBAL__N_18offset_tEEE10hipError_tPvRmT1_PNSt15iterator_traitsIS12_E10value_typeET2_T3_PNS13_IS18_E10value_typeET4_jRbjT5_S1E_jjP12ihipStream_tbEUljE_ZNSN_ISO_Lb0ESQ_SR_ST_SU_SY_EESZ_S10_S11_S12_S16_S17_S18_S1B_S1C_jS1D_jS1E_S1E_jjS1G_bEUljE0_EEESZ_S10_S11_S18_S1C_S1E_T6_T7_T9_mT8_S1G_bDpT10_ENKUlT_T0_E_clISt17integral_constantIbLb0EES1T_IbLb1EEEEDaS1P_S1Q_EUlS1P_E_NS1_11comp_targetILNS1_3genE4ELNS1_11target_archE910ELNS1_3gpuE8ELNS1_3repE0EEENS1_30default_config_static_selectorELNS0_4arch9wavefront6targetE1EEEvS12_
                                        ; -- End function
	.set _ZN7rocprim17ROCPRIM_400000_NS6detail17trampoline_kernelINS0_13select_configILj256ELj13ELNS0_17block_load_methodE3ELS4_3ELS4_3ELNS0_20block_scan_algorithmE0ELj4294967295EEENS1_25partition_config_selectorILNS1_17partition_subalgoE4EjNS0_10empty_typeEbEEZZNS1_14partition_implILS8_4ELb0ES6_15HIP_vector_typeIjLj2EENS0_17counting_iteratorIjlEEPS9_SG_NS0_5tupleIJPjSI_NS0_16reverse_iteratorISI_EEEEENSH_IJSG_SG_SG_EEES9_SI_JZNS1_25segmented_radix_sort_implINS0_14default_configELb0EPKiPiPKlPlN2at6native12_GLOBAL__N_18offset_tEEE10hipError_tPvRmT1_PNSt15iterator_traitsIS12_E10value_typeET2_T3_PNS13_IS18_E10value_typeET4_jRbjT5_S1E_jjP12ihipStream_tbEUljE_ZNSN_ISO_Lb0ESQ_SR_ST_SU_SY_EESZ_S10_S11_S12_S16_S17_S18_S1B_S1C_jS1D_jS1E_S1E_jjS1G_bEUljE0_EEESZ_S10_S11_S18_S1C_S1E_T6_T7_T9_mT8_S1G_bDpT10_ENKUlT_T0_E_clISt17integral_constantIbLb0EES1T_IbLb1EEEEDaS1P_S1Q_EUlS1P_E_NS1_11comp_targetILNS1_3genE4ELNS1_11target_archE910ELNS1_3gpuE8ELNS1_3repE0EEENS1_30default_config_static_selectorELNS0_4arch9wavefront6targetE1EEEvS12_.num_vgpr, 0
	.set _ZN7rocprim17ROCPRIM_400000_NS6detail17trampoline_kernelINS0_13select_configILj256ELj13ELNS0_17block_load_methodE3ELS4_3ELS4_3ELNS0_20block_scan_algorithmE0ELj4294967295EEENS1_25partition_config_selectorILNS1_17partition_subalgoE4EjNS0_10empty_typeEbEEZZNS1_14partition_implILS8_4ELb0ES6_15HIP_vector_typeIjLj2EENS0_17counting_iteratorIjlEEPS9_SG_NS0_5tupleIJPjSI_NS0_16reverse_iteratorISI_EEEEENSH_IJSG_SG_SG_EEES9_SI_JZNS1_25segmented_radix_sort_implINS0_14default_configELb0EPKiPiPKlPlN2at6native12_GLOBAL__N_18offset_tEEE10hipError_tPvRmT1_PNSt15iterator_traitsIS12_E10value_typeET2_T3_PNS13_IS18_E10value_typeET4_jRbjT5_S1E_jjP12ihipStream_tbEUljE_ZNSN_ISO_Lb0ESQ_SR_ST_SU_SY_EESZ_S10_S11_S12_S16_S17_S18_S1B_S1C_jS1D_jS1E_S1E_jjS1G_bEUljE0_EEESZ_S10_S11_S18_S1C_S1E_T6_T7_T9_mT8_S1G_bDpT10_ENKUlT_T0_E_clISt17integral_constantIbLb0EES1T_IbLb1EEEEDaS1P_S1Q_EUlS1P_E_NS1_11comp_targetILNS1_3genE4ELNS1_11target_archE910ELNS1_3gpuE8ELNS1_3repE0EEENS1_30default_config_static_selectorELNS0_4arch9wavefront6targetE1EEEvS12_.num_agpr, 0
	.set _ZN7rocprim17ROCPRIM_400000_NS6detail17trampoline_kernelINS0_13select_configILj256ELj13ELNS0_17block_load_methodE3ELS4_3ELS4_3ELNS0_20block_scan_algorithmE0ELj4294967295EEENS1_25partition_config_selectorILNS1_17partition_subalgoE4EjNS0_10empty_typeEbEEZZNS1_14partition_implILS8_4ELb0ES6_15HIP_vector_typeIjLj2EENS0_17counting_iteratorIjlEEPS9_SG_NS0_5tupleIJPjSI_NS0_16reverse_iteratorISI_EEEEENSH_IJSG_SG_SG_EEES9_SI_JZNS1_25segmented_radix_sort_implINS0_14default_configELb0EPKiPiPKlPlN2at6native12_GLOBAL__N_18offset_tEEE10hipError_tPvRmT1_PNSt15iterator_traitsIS12_E10value_typeET2_T3_PNS13_IS18_E10value_typeET4_jRbjT5_S1E_jjP12ihipStream_tbEUljE_ZNSN_ISO_Lb0ESQ_SR_ST_SU_SY_EESZ_S10_S11_S12_S16_S17_S18_S1B_S1C_jS1D_jS1E_S1E_jjS1G_bEUljE0_EEESZ_S10_S11_S18_S1C_S1E_T6_T7_T9_mT8_S1G_bDpT10_ENKUlT_T0_E_clISt17integral_constantIbLb0EES1T_IbLb1EEEEDaS1P_S1Q_EUlS1P_E_NS1_11comp_targetILNS1_3genE4ELNS1_11target_archE910ELNS1_3gpuE8ELNS1_3repE0EEENS1_30default_config_static_selectorELNS0_4arch9wavefront6targetE1EEEvS12_.numbered_sgpr, 0
	.set _ZN7rocprim17ROCPRIM_400000_NS6detail17trampoline_kernelINS0_13select_configILj256ELj13ELNS0_17block_load_methodE3ELS4_3ELS4_3ELNS0_20block_scan_algorithmE0ELj4294967295EEENS1_25partition_config_selectorILNS1_17partition_subalgoE4EjNS0_10empty_typeEbEEZZNS1_14partition_implILS8_4ELb0ES6_15HIP_vector_typeIjLj2EENS0_17counting_iteratorIjlEEPS9_SG_NS0_5tupleIJPjSI_NS0_16reverse_iteratorISI_EEEEENSH_IJSG_SG_SG_EEES9_SI_JZNS1_25segmented_radix_sort_implINS0_14default_configELb0EPKiPiPKlPlN2at6native12_GLOBAL__N_18offset_tEEE10hipError_tPvRmT1_PNSt15iterator_traitsIS12_E10value_typeET2_T3_PNS13_IS18_E10value_typeET4_jRbjT5_S1E_jjP12ihipStream_tbEUljE_ZNSN_ISO_Lb0ESQ_SR_ST_SU_SY_EESZ_S10_S11_S12_S16_S17_S18_S1B_S1C_jS1D_jS1E_S1E_jjS1G_bEUljE0_EEESZ_S10_S11_S18_S1C_S1E_T6_T7_T9_mT8_S1G_bDpT10_ENKUlT_T0_E_clISt17integral_constantIbLb0EES1T_IbLb1EEEEDaS1P_S1Q_EUlS1P_E_NS1_11comp_targetILNS1_3genE4ELNS1_11target_archE910ELNS1_3gpuE8ELNS1_3repE0EEENS1_30default_config_static_selectorELNS0_4arch9wavefront6targetE1EEEvS12_.num_named_barrier, 0
	.set _ZN7rocprim17ROCPRIM_400000_NS6detail17trampoline_kernelINS0_13select_configILj256ELj13ELNS0_17block_load_methodE3ELS4_3ELS4_3ELNS0_20block_scan_algorithmE0ELj4294967295EEENS1_25partition_config_selectorILNS1_17partition_subalgoE4EjNS0_10empty_typeEbEEZZNS1_14partition_implILS8_4ELb0ES6_15HIP_vector_typeIjLj2EENS0_17counting_iteratorIjlEEPS9_SG_NS0_5tupleIJPjSI_NS0_16reverse_iteratorISI_EEEEENSH_IJSG_SG_SG_EEES9_SI_JZNS1_25segmented_radix_sort_implINS0_14default_configELb0EPKiPiPKlPlN2at6native12_GLOBAL__N_18offset_tEEE10hipError_tPvRmT1_PNSt15iterator_traitsIS12_E10value_typeET2_T3_PNS13_IS18_E10value_typeET4_jRbjT5_S1E_jjP12ihipStream_tbEUljE_ZNSN_ISO_Lb0ESQ_SR_ST_SU_SY_EESZ_S10_S11_S12_S16_S17_S18_S1B_S1C_jS1D_jS1E_S1E_jjS1G_bEUljE0_EEESZ_S10_S11_S18_S1C_S1E_T6_T7_T9_mT8_S1G_bDpT10_ENKUlT_T0_E_clISt17integral_constantIbLb0EES1T_IbLb1EEEEDaS1P_S1Q_EUlS1P_E_NS1_11comp_targetILNS1_3genE4ELNS1_11target_archE910ELNS1_3gpuE8ELNS1_3repE0EEENS1_30default_config_static_selectorELNS0_4arch9wavefront6targetE1EEEvS12_.private_seg_size, 0
	.set _ZN7rocprim17ROCPRIM_400000_NS6detail17trampoline_kernelINS0_13select_configILj256ELj13ELNS0_17block_load_methodE3ELS4_3ELS4_3ELNS0_20block_scan_algorithmE0ELj4294967295EEENS1_25partition_config_selectorILNS1_17partition_subalgoE4EjNS0_10empty_typeEbEEZZNS1_14partition_implILS8_4ELb0ES6_15HIP_vector_typeIjLj2EENS0_17counting_iteratorIjlEEPS9_SG_NS0_5tupleIJPjSI_NS0_16reverse_iteratorISI_EEEEENSH_IJSG_SG_SG_EEES9_SI_JZNS1_25segmented_radix_sort_implINS0_14default_configELb0EPKiPiPKlPlN2at6native12_GLOBAL__N_18offset_tEEE10hipError_tPvRmT1_PNSt15iterator_traitsIS12_E10value_typeET2_T3_PNS13_IS18_E10value_typeET4_jRbjT5_S1E_jjP12ihipStream_tbEUljE_ZNSN_ISO_Lb0ESQ_SR_ST_SU_SY_EESZ_S10_S11_S12_S16_S17_S18_S1B_S1C_jS1D_jS1E_S1E_jjS1G_bEUljE0_EEESZ_S10_S11_S18_S1C_S1E_T6_T7_T9_mT8_S1G_bDpT10_ENKUlT_T0_E_clISt17integral_constantIbLb0EES1T_IbLb1EEEEDaS1P_S1Q_EUlS1P_E_NS1_11comp_targetILNS1_3genE4ELNS1_11target_archE910ELNS1_3gpuE8ELNS1_3repE0EEENS1_30default_config_static_selectorELNS0_4arch9wavefront6targetE1EEEvS12_.uses_vcc, 0
	.set _ZN7rocprim17ROCPRIM_400000_NS6detail17trampoline_kernelINS0_13select_configILj256ELj13ELNS0_17block_load_methodE3ELS4_3ELS4_3ELNS0_20block_scan_algorithmE0ELj4294967295EEENS1_25partition_config_selectorILNS1_17partition_subalgoE4EjNS0_10empty_typeEbEEZZNS1_14partition_implILS8_4ELb0ES6_15HIP_vector_typeIjLj2EENS0_17counting_iteratorIjlEEPS9_SG_NS0_5tupleIJPjSI_NS0_16reverse_iteratorISI_EEEEENSH_IJSG_SG_SG_EEES9_SI_JZNS1_25segmented_radix_sort_implINS0_14default_configELb0EPKiPiPKlPlN2at6native12_GLOBAL__N_18offset_tEEE10hipError_tPvRmT1_PNSt15iterator_traitsIS12_E10value_typeET2_T3_PNS13_IS18_E10value_typeET4_jRbjT5_S1E_jjP12ihipStream_tbEUljE_ZNSN_ISO_Lb0ESQ_SR_ST_SU_SY_EESZ_S10_S11_S12_S16_S17_S18_S1B_S1C_jS1D_jS1E_S1E_jjS1G_bEUljE0_EEESZ_S10_S11_S18_S1C_S1E_T6_T7_T9_mT8_S1G_bDpT10_ENKUlT_T0_E_clISt17integral_constantIbLb0EES1T_IbLb1EEEEDaS1P_S1Q_EUlS1P_E_NS1_11comp_targetILNS1_3genE4ELNS1_11target_archE910ELNS1_3gpuE8ELNS1_3repE0EEENS1_30default_config_static_selectorELNS0_4arch9wavefront6targetE1EEEvS12_.uses_flat_scratch, 0
	.set _ZN7rocprim17ROCPRIM_400000_NS6detail17trampoline_kernelINS0_13select_configILj256ELj13ELNS0_17block_load_methodE3ELS4_3ELS4_3ELNS0_20block_scan_algorithmE0ELj4294967295EEENS1_25partition_config_selectorILNS1_17partition_subalgoE4EjNS0_10empty_typeEbEEZZNS1_14partition_implILS8_4ELb0ES6_15HIP_vector_typeIjLj2EENS0_17counting_iteratorIjlEEPS9_SG_NS0_5tupleIJPjSI_NS0_16reverse_iteratorISI_EEEEENSH_IJSG_SG_SG_EEES9_SI_JZNS1_25segmented_radix_sort_implINS0_14default_configELb0EPKiPiPKlPlN2at6native12_GLOBAL__N_18offset_tEEE10hipError_tPvRmT1_PNSt15iterator_traitsIS12_E10value_typeET2_T3_PNS13_IS18_E10value_typeET4_jRbjT5_S1E_jjP12ihipStream_tbEUljE_ZNSN_ISO_Lb0ESQ_SR_ST_SU_SY_EESZ_S10_S11_S12_S16_S17_S18_S1B_S1C_jS1D_jS1E_S1E_jjS1G_bEUljE0_EEESZ_S10_S11_S18_S1C_S1E_T6_T7_T9_mT8_S1G_bDpT10_ENKUlT_T0_E_clISt17integral_constantIbLb0EES1T_IbLb1EEEEDaS1P_S1Q_EUlS1P_E_NS1_11comp_targetILNS1_3genE4ELNS1_11target_archE910ELNS1_3gpuE8ELNS1_3repE0EEENS1_30default_config_static_selectorELNS0_4arch9wavefront6targetE1EEEvS12_.has_dyn_sized_stack, 0
	.set _ZN7rocprim17ROCPRIM_400000_NS6detail17trampoline_kernelINS0_13select_configILj256ELj13ELNS0_17block_load_methodE3ELS4_3ELS4_3ELNS0_20block_scan_algorithmE0ELj4294967295EEENS1_25partition_config_selectorILNS1_17partition_subalgoE4EjNS0_10empty_typeEbEEZZNS1_14partition_implILS8_4ELb0ES6_15HIP_vector_typeIjLj2EENS0_17counting_iteratorIjlEEPS9_SG_NS0_5tupleIJPjSI_NS0_16reverse_iteratorISI_EEEEENSH_IJSG_SG_SG_EEES9_SI_JZNS1_25segmented_radix_sort_implINS0_14default_configELb0EPKiPiPKlPlN2at6native12_GLOBAL__N_18offset_tEEE10hipError_tPvRmT1_PNSt15iterator_traitsIS12_E10value_typeET2_T3_PNS13_IS18_E10value_typeET4_jRbjT5_S1E_jjP12ihipStream_tbEUljE_ZNSN_ISO_Lb0ESQ_SR_ST_SU_SY_EESZ_S10_S11_S12_S16_S17_S18_S1B_S1C_jS1D_jS1E_S1E_jjS1G_bEUljE0_EEESZ_S10_S11_S18_S1C_S1E_T6_T7_T9_mT8_S1G_bDpT10_ENKUlT_T0_E_clISt17integral_constantIbLb0EES1T_IbLb1EEEEDaS1P_S1Q_EUlS1P_E_NS1_11comp_targetILNS1_3genE4ELNS1_11target_archE910ELNS1_3gpuE8ELNS1_3repE0EEENS1_30default_config_static_selectorELNS0_4arch9wavefront6targetE1EEEvS12_.has_recursion, 0
	.set _ZN7rocprim17ROCPRIM_400000_NS6detail17trampoline_kernelINS0_13select_configILj256ELj13ELNS0_17block_load_methodE3ELS4_3ELS4_3ELNS0_20block_scan_algorithmE0ELj4294967295EEENS1_25partition_config_selectorILNS1_17partition_subalgoE4EjNS0_10empty_typeEbEEZZNS1_14partition_implILS8_4ELb0ES6_15HIP_vector_typeIjLj2EENS0_17counting_iteratorIjlEEPS9_SG_NS0_5tupleIJPjSI_NS0_16reverse_iteratorISI_EEEEENSH_IJSG_SG_SG_EEES9_SI_JZNS1_25segmented_radix_sort_implINS0_14default_configELb0EPKiPiPKlPlN2at6native12_GLOBAL__N_18offset_tEEE10hipError_tPvRmT1_PNSt15iterator_traitsIS12_E10value_typeET2_T3_PNS13_IS18_E10value_typeET4_jRbjT5_S1E_jjP12ihipStream_tbEUljE_ZNSN_ISO_Lb0ESQ_SR_ST_SU_SY_EESZ_S10_S11_S12_S16_S17_S18_S1B_S1C_jS1D_jS1E_S1E_jjS1G_bEUljE0_EEESZ_S10_S11_S18_S1C_S1E_T6_T7_T9_mT8_S1G_bDpT10_ENKUlT_T0_E_clISt17integral_constantIbLb0EES1T_IbLb1EEEEDaS1P_S1Q_EUlS1P_E_NS1_11comp_targetILNS1_3genE4ELNS1_11target_archE910ELNS1_3gpuE8ELNS1_3repE0EEENS1_30default_config_static_selectorELNS0_4arch9wavefront6targetE1EEEvS12_.has_indirect_call, 0
	.section	.AMDGPU.csdata,"",@progbits
; Kernel info:
; codeLenInByte = 0
; TotalNumSgprs: 4
; NumVgprs: 0
; ScratchSize: 0
; MemoryBound: 0
; FloatMode: 240
; IeeeMode: 1
; LDSByteSize: 0 bytes/workgroup (compile time only)
; SGPRBlocks: 0
; VGPRBlocks: 0
; NumSGPRsForWavesPerEU: 4
; NumVGPRsForWavesPerEU: 1
; Occupancy: 10
; WaveLimiterHint : 0
; COMPUTE_PGM_RSRC2:SCRATCH_EN: 0
; COMPUTE_PGM_RSRC2:USER_SGPR: 6
; COMPUTE_PGM_RSRC2:TRAP_HANDLER: 0
; COMPUTE_PGM_RSRC2:TGID_X_EN: 1
; COMPUTE_PGM_RSRC2:TGID_Y_EN: 0
; COMPUTE_PGM_RSRC2:TGID_Z_EN: 0
; COMPUTE_PGM_RSRC2:TIDIG_COMP_CNT: 0
	.section	.text._ZN7rocprim17ROCPRIM_400000_NS6detail17trampoline_kernelINS0_13select_configILj256ELj13ELNS0_17block_load_methodE3ELS4_3ELS4_3ELNS0_20block_scan_algorithmE0ELj4294967295EEENS1_25partition_config_selectorILNS1_17partition_subalgoE4EjNS0_10empty_typeEbEEZZNS1_14partition_implILS8_4ELb0ES6_15HIP_vector_typeIjLj2EENS0_17counting_iteratorIjlEEPS9_SG_NS0_5tupleIJPjSI_NS0_16reverse_iteratorISI_EEEEENSH_IJSG_SG_SG_EEES9_SI_JZNS1_25segmented_radix_sort_implINS0_14default_configELb0EPKiPiPKlPlN2at6native12_GLOBAL__N_18offset_tEEE10hipError_tPvRmT1_PNSt15iterator_traitsIS12_E10value_typeET2_T3_PNS13_IS18_E10value_typeET4_jRbjT5_S1E_jjP12ihipStream_tbEUljE_ZNSN_ISO_Lb0ESQ_SR_ST_SU_SY_EESZ_S10_S11_S12_S16_S17_S18_S1B_S1C_jS1D_jS1E_S1E_jjS1G_bEUljE0_EEESZ_S10_S11_S18_S1C_S1E_T6_T7_T9_mT8_S1G_bDpT10_ENKUlT_T0_E_clISt17integral_constantIbLb0EES1T_IbLb1EEEEDaS1P_S1Q_EUlS1P_E_NS1_11comp_targetILNS1_3genE3ELNS1_11target_archE908ELNS1_3gpuE7ELNS1_3repE0EEENS1_30default_config_static_selectorELNS0_4arch9wavefront6targetE1EEEvS12_,"axG",@progbits,_ZN7rocprim17ROCPRIM_400000_NS6detail17trampoline_kernelINS0_13select_configILj256ELj13ELNS0_17block_load_methodE3ELS4_3ELS4_3ELNS0_20block_scan_algorithmE0ELj4294967295EEENS1_25partition_config_selectorILNS1_17partition_subalgoE4EjNS0_10empty_typeEbEEZZNS1_14partition_implILS8_4ELb0ES6_15HIP_vector_typeIjLj2EENS0_17counting_iteratorIjlEEPS9_SG_NS0_5tupleIJPjSI_NS0_16reverse_iteratorISI_EEEEENSH_IJSG_SG_SG_EEES9_SI_JZNS1_25segmented_radix_sort_implINS0_14default_configELb0EPKiPiPKlPlN2at6native12_GLOBAL__N_18offset_tEEE10hipError_tPvRmT1_PNSt15iterator_traitsIS12_E10value_typeET2_T3_PNS13_IS18_E10value_typeET4_jRbjT5_S1E_jjP12ihipStream_tbEUljE_ZNSN_ISO_Lb0ESQ_SR_ST_SU_SY_EESZ_S10_S11_S12_S16_S17_S18_S1B_S1C_jS1D_jS1E_S1E_jjS1G_bEUljE0_EEESZ_S10_S11_S18_S1C_S1E_T6_T7_T9_mT8_S1G_bDpT10_ENKUlT_T0_E_clISt17integral_constantIbLb0EES1T_IbLb1EEEEDaS1P_S1Q_EUlS1P_E_NS1_11comp_targetILNS1_3genE3ELNS1_11target_archE908ELNS1_3gpuE7ELNS1_3repE0EEENS1_30default_config_static_selectorELNS0_4arch9wavefront6targetE1EEEvS12_,comdat
	.globl	_ZN7rocprim17ROCPRIM_400000_NS6detail17trampoline_kernelINS0_13select_configILj256ELj13ELNS0_17block_load_methodE3ELS4_3ELS4_3ELNS0_20block_scan_algorithmE0ELj4294967295EEENS1_25partition_config_selectorILNS1_17partition_subalgoE4EjNS0_10empty_typeEbEEZZNS1_14partition_implILS8_4ELb0ES6_15HIP_vector_typeIjLj2EENS0_17counting_iteratorIjlEEPS9_SG_NS0_5tupleIJPjSI_NS0_16reverse_iteratorISI_EEEEENSH_IJSG_SG_SG_EEES9_SI_JZNS1_25segmented_radix_sort_implINS0_14default_configELb0EPKiPiPKlPlN2at6native12_GLOBAL__N_18offset_tEEE10hipError_tPvRmT1_PNSt15iterator_traitsIS12_E10value_typeET2_T3_PNS13_IS18_E10value_typeET4_jRbjT5_S1E_jjP12ihipStream_tbEUljE_ZNSN_ISO_Lb0ESQ_SR_ST_SU_SY_EESZ_S10_S11_S12_S16_S17_S18_S1B_S1C_jS1D_jS1E_S1E_jjS1G_bEUljE0_EEESZ_S10_S11_S18_S1C_S1E_T6_T7_T9_mT8_S1G_bDpT10_ENKUlT_T0_E_clISt17integral_constantIbLb0EES1T_IbLb1EEEEDaS1P_S1Q_EUlS1P_E_NS1_11comp_targetILNS1_3genE3ELNS1_11target_archE908ELNS1_3gpuE7ELNS1_3repE0EEENS1_30default_config_static_selectorELNS0_4arch9wavefront6targetE1EEEvS12_ ; -- Begin function _ZN7rocprim17ROCPRIM_400000_NS6detail17trampoline_kernelINS0_13select_configILj256ELj13ELNS0_17block_load_methodE3ELS4_3ELS4_3ELNS0_20block_scan_algorithmE0ELj4294967295EEENS1_25partition_config_selectorILNS1_17partition_subalgoE4EjNS0_10empty_typeEbEEZZNS1_14partition_implILS8_4ELb0ES6_15HIP_vector_typeIjLj2EENS0_17counting_iteratorIjlEEPS9_SG_NS0_5tupleIJPjSI_NS0_16reverse_iteratorISI_EEEEENSH_IJSG_SG_SG_EEES9_SI_JZNS1_25segmented_radix_sort_implINS0_14default_configELb0EPKiPiPKlPlN2at6native12_GLOBAL__N_18offset_tEEE10hipError_tPvRmT1_PNSt15iterator_traitsIS12_E10value_typeET2_T3_PNS13_IS18_E10value_typeET4_jRbjT5_S1E_jjP12ihipStream_tbEUljE_ZNSN_ISO_Lb0ESQ_SR_ST_SU_SY_EESZ_S10_S11_S12_S16_S17_S18_S1B_S1C_jS1D_jS1E_S1E_jjS1G_bEUljE0_EEESZ_S10_S11_S18_S1C_S1E_T6_T7_T9_mT8_S1G_bDpT10_ENKUlT_T0_E_clISt17integral_constantIbLb0EES1T_IbLb1EEEEDaS1P_S1Q_EUlS1P_E_NS1_11comp_targetILNS1_3genE3ELNS1_11target_archE908ELNS1_3gpuE7ELNS1_3repE0EEENS1_30default_config_static_selectorELNS0_4arch9wavefront6targetE1EEEvS12_
	.p2align	8
	.type	_ZN7rocprim17ROCPRIM_400000_NS6detail17trampoline_kernelINS0_13select_configILj256ELj13ELNS0_17block_load_methodE3ELS4_3ELS4_3ELNS0_20block_scan_algorithmE0ELj4294967295EEENS1_25partition_config_selectorILNS1_17partition_subalgoE4EjNS0_10empty_typeEbEEZZNS1_14partition_implILS8_4ELb0ES6_15HIP_vector_typeIjLj2EENS0_17counting_iteratorIjlEEPS9_SG_NS0_5tupleIJPjSI_NS0_16reverse_iteratorISI_EEEEENSH_IJSG_SG_SG_EEES9_SI_JZNS1_25segmented_radix_sort_implINS0_14default_configELb0EPKiPiPKlPlN2at6native12_GLOBAL__N_18offset_tEEE10hipError_tPvRmT1_PNSt15iterator_traitsIS12_E10value_typeET2_T3_PNS13_IS18_E10value_typeET4_jRbjT5_S1E_jjP12ihipStream_tbEUljE_ZNSN_ISO_Lb0ESQ_SR_ST_SU_SY_EESZ_S10_S11_S12_S16_S17_S18_S1B_S1C_jS1D_jS1E_S1E_jjS1G_bEUljE0_EEESZ_S10_S11_S18_S1C_S1E_T6_T7_T9_mT8_S1G_bDpT10_ENKUlT_T0_E_clISt17integral_constantIbLb0EES1T_IbLb1EEEEDaS1P_S1Q_EUlS1P_E_NS1_11comp_targetILNS1_3genE3ELNS1_11target_archE908ELNS1_3gpuE7ELNS1_3repE0EEENS1_30default_config_static_selectorELNS0_4arch9wavefront6targetE1EEEvS12_,@function
_ZN7rocprim17ROCPRIM_400000_NS6detail17trampoline_kernelINS0_13select_configILj256ELj13ELNS0_17block_load_methodE3ELS4_3ELS4_3ELNS0_20block_scan_algorithmE0ELj4294967295EEENS1_25partition_config_selectorILNS1_17partition_subalgoE4EjNS0_10empty_typeEbEEZZNS1_14partition_implILS8_4ELb0ES6_15HIP_vector_typeIjLj2EENS0_17counting_iteratorIjlEEPS9_SG_NS0_5tupleIJPjSI_NS0_16reverse_iteratorISI_EEEEENSH_IJSG_SG_SG_EEES9_SI_JZNS1_25segmented_radix_sort_implINS0_14default_configELb0EPKiPiPKlPlN2at6native12_GLOBAL__N_18offset_tEEE10hipError_tPvRmT1_PNSt15iterator_traitsIS12_E10value_typeET2_T3_PNS13_IS18_E10value_typeET4_jRbjT5_S1E_jjP12ihipStream_tbEUljE_ZNSN_ISO_Lb0ESQ_SR_ST_SU_SY_EESZ_S10_S11_S12_S16_S17_S18_S1B_S1C_jS1D_jS1E_S1E_jjS1G_bEUljE0_EEESZ_S10_S11_S18_S1C_S1E_T6_T7_T9_mT8_S1G_bDpT10_ENKUlT_T0_E_clISt17integral_constantIbLb0EES1T_IbLb1EEEEDaS1P_S1Q_EUlS1P_E_NS1_11comp_targetILNS1_3genE3ELNS1_11target_archE908ELNS1_3gpuE7ELNS1_3repE0EEENS1_30default_config_static_selectorELNS0_4arch9wavefront6targetE1EEEvS12_: ; @_ZN7rocprim17ROCPRIM_400000_NS6detail17trampoline_kernelINS0_13select_configILj256ELj13ELNS0_17block_load_methodE3ELS4_3ELS4_3ELNS0_20block_scan_algorithmE0ELj4294967295EEENS1_25partition_config_selectorILNS1_17partition_subalgoE4EjNS0_10empty_typeEbEEZZNS1_14partition_implILS8_4ELb0ES6_15HIP_vector_typeIjLj2EENS0_17counting_iteratorIjlEEPS9_SG_NS0_5tupleIJPjSI_NS0_16reverse_iteratorISI_EEEEENSH_IJSG_SG_SG_EEES9_SI_JZNS1_25segmented_radix_sort_implINS0_14default_configELb0EPKiPiPKlPlN2at6native12_GLOBAL__N_18offset_tEEE10hipError_tPvRmT1_PNSt15iterator_traitsIS12_E10value_typeET2_T3_PNS13_IS18_E10value_typeET4_jRbjT5_S1E_jjP12ihipStream_tbEUljE_ZNSN_ISO_Lb0ESQ_SR_ST_SU_SY_EESZ_S10_S11_S12_S16_S17_S18_S1B_S1C_jS1D_jS1E_S1E_jjS1G_bEUljE0_EEESZ_S10_S11_S18_S1C_S1E_T6_T7_T9_mT8_S1G_bDpT10_ENKUlT_T0_E_clISt17integral_constantIbLb0EES1T_IbLb1EEEEDaS1P_S1Q_EUlS1P_E_NS1_11comp_targetILNS1_3genE3ELNS1_11target_archE908ELNS1_3gpuE7ELNS1_3repE0EEENS1_30default_config_static_selectorELNS0_4arch9wavefront6targetE1EEEvS12_
; %bb.0:
	.section	.rodata,"a",@progbits
	.p2align	6, 0x0
	.amdhsa_kernel _ZN7rocprim17ROCPRIM_400000_NS6detail17trampoline_kernelINS0_13select_configILj256ELj13ELNS0_17block_load_methodE3ELS4_3ELS4_3ELNS0_20block_scan_algorithmE0ELj4294967295EEENS1_25partition_config_selectorILNS1_17partition_subalgoE4EjNS0_10empty_typeEbEEZZNS1_14partition_implILS8_4ELb0ES6_15HIP_vector_typeIjLj2EENS0_17counting_iteratorIjlEEPS9_SG_NS0_5tupleIJPjSI_NS0_16reverse_iteratorISI_EEEEENSH_IJSG_SG_SG_EEES9_SI_JZNS1_25segmented_radix_sort_implINS0_14default_configELb0EPKiPiPKlPlN2at6native12_GLOBAL__N_18offset_tEEE10hipError_tPvRmT1_PNSt15iterator_traitsIS12_E10value_typeET2_T3_PNS13_IS18_E10value_typeET4_jRbjT5_S1E_jjP12ihipStream_tbEUljE_ZNSN_ISO_Lb0ESQ_SR_ST_SU_SY_EESZ_S10_S11_S12_S16_S17_S18_S1B_S1C_jS1D_jS1E_S1E_jjS1G_bEUljE0_EEESZ_S10_S11_S18_S1C_S1E_T6_T7_T9_mT8_S1G_bDpT10_ENKUlT_T0_E_clISt17integral_constantIbLb0EES1T_IbLb1EEEEDaS1P_S1Q_EUlS1P_E_NS1_11comp_targetILNS1_3genE3ELNS1_11target_archE908ELNS1_3gpuE7ELNS1_3repE0EEENS1_30default_config_static_selectorELNS0_4arch9wavefront6targetE1EEEvS12_
		.amdhsa_group_segment_fixed_size 0
		.amdhsa_private_segment_fixed_size 0
		.amdhsa_kernarg_size 184
		.amdhsa_user_sgpr_count 6
		.amdhsa_user_sgpr_private_segment_buffer 1
		.amdhsa_user_sgpr_dispatch_ptr 0
		.amdhsa_user_sgpr_queue_ptr 0
		.amdhsa_user_sgpr_kernarg_segment_ptr 1
		.amdhsa_user_sgpr_dispatch_id 0
		.amdhsa_user_sgpr_flat_scratch_init 0
		.amdhsa_user_sgpr_private_segment_size 0
		.amdhsa_uses_dynamic_stack 0
		.amdhsa_system_sgpr_private_segment_wavefront_offset 0
		.amdhsa_system_sgpr_workgroup_id_x 1
		.amdhsa_system_sgpr_workgroup_id_y 0
		.amdhsa_system_sgpr_workgroup_id_z 0
		.amdhsa_system_sgpr_workgroup_info 0
		.amdhsa_system_vgpr_workitem_id 0
		.amdhsa_next_free_vgpr 1
		.amdhsa_next_free_sgpr 0
		.amdhsa_reserve_vcc 0
		.amdhsa_reserve_flat_scratch 0
		.amdhsa_float_round_mode_32 0
		.amdhsa_float_round_mode_16_64 0
		.amdhsa_float_denorm_mode_32 3
		.amdhsa_float_denorm_mode_16_64 3
		.amdhsa_dx10_clamp 1
		.amdhsa_ieee_mode 1
		.amdhsa_fp16_overflow 0
		.amdhsa_exception_fp_ieee_invalid_op 0
		.amdhsa_exception_fp_denorm_src 0
		.amdhsa_exception_fp_ieee_div_zero 0
		.amdhsa_exception_fp_ieee_overflow 0
		.amdhsa_exception_fp_ieee_underflow 0
		.amdhsa_exception_fp_ieee_inexact 0
		.amdhsa_exception_int_div_zero 0
	.end_amdhsa_kernel
	.section	.text._ZN7rocprim17ROCPRIM_400000_NS6detail17trampoline_kernelINS0_13select_configILj256ELj13ELNS0_17block_load_methodE3ELS4_3ELS4_3ELNS0_20block_scan_algorithmE0ELj4294967295EEENS1_25partition_config_selectorILNS1_17partition_subalgoE4EjNS0_10empty_typeEbEEZZNS1_14partition_implILS8_4ELb0ES6_15HIP_vector_typeIjLj2EENS0_17counting_iteratorIjlEEPS9_SG_NS0_5tupleIJPjSI_NS0_16reverse_iteratorISI_EEEEENSH_IJSG_SG_SG_EEES9_SI_JZNS1_25segmented_radix_sort_implINS0_14default_configELb0EPKiPiPKlPlN2at6native12_GLOBAL__N_18offset_tEEE10hipError_tPvRmT1_PNSt15iterator_traitsIS12_E10value_typeET2_T3_PNS13_IS18_E10value_typeET4_jRbjT5_S1E_jjP12ihipStream_tbEUljE_ZNSN_ISO_Lb0ESQ_SR_ST_SU_SY_EESZ_S10_S11_S12_S16_S17_S18_S1B_S1C_jS1D_jS1E_S1E_jjS1G_bEUljE0_EEESZ_S10_S11_S18_S1C_S1E_T6_T7_T9_mT8_S1G_bDpT10_ENKUlT_T0_E_clISt17integral_constantIbLb0EES1T_IbLb1EEEEDaS1P_S1Q_EUlS1P_E_NS1_11comp_targetILNS1_3genE3ELNS1_11target_archE908ELNS1_3gpuE7ELNS1_3repE0EEENS1_30default_config_static_selectorELNS0_4arch9wavefront6targetE1EEEvS12_,"axG",@progbits,_ZN7rocprim17ROCPRIM_400000_NS6detail17trampoline_kernelINS0_13select_configILj256ELj13ELNS0_17block_load_methodE3ELS4_3ELS4_3ELNS0_20block_scan_algorithmE0ELj4294967295EEENS1_25partition_config_selectorILNS1_17partition_subalgoE4EjNS0_10empty_typeEbEEZZNS1_14partition_implILS8_4ELb0ES6_15HIP_vector_typeIjLj2EENS0_17counting_iteratorIjlEEPS9_SG_NS0_5tupleIJPjSI_NS0_16reverse_iteratorISI_EEEEENSH_IJSG_SG_SG_EEES9_SI_JZNS1_25segmented_radix_sort_implINS0_14default_configELb0EPKiPiPKlPlN2at6native12_GLOBAL__N_18offset_tEEE10hipError_tPvRmT1_PNSt15iterator_traitsIS12_E10value_typeET2_T3_PNS13_IS18_E10value_typeET4_jRbjT5_S1E_jjP12ihipStream_tbEUljE_ZNSN_ISO_Lb0ESQ_SR_ST_SU_SY_EESZ_S10_S11_S12_S16_S17_S18_S1B_S1C_jS1D_jS1E_S1E_jjS1G_bEUljE0_EEESZ_S10_S11_S18_S1C_S1E_T6_T7_T9_mT8_S1G_bDpT10_ENKUlT_T0_E_clISt17integral_constantIbLb0EES1T_IbLb1EEEEDaS1P_S1Q_EUlS1P_E_NS1_11comp_targetILNS1_3genE3ELNS1_11target_archE908ELNS1_3gpuE7ELNS1_3repE0EEENS1_30default_config_static_selectorELNS0_4arch9wavefront6targetE1EEEvS12_,comdat
.Lfunc_end563:
	.size	_ZN7rocprim17ROCPRIM_400000_NS6detail17trampoline_kernelINS0_13select_configILj256ELj13ELNS0_17block_load_methodE3ELS4_3ELS4_3ELNS0_20block_scan_algorithmE0ELj4294967295EEENS1_25partition_config_selectorILNS1_17partition_subalgoE4EjNS0_10empty_typeEbEEZZNS1_14partition_implILS8_4ELb0ES6_15HIP_vector_typeIjLj2EENS0_17counting_iteratorIjlEEPS9_SG_NS0_5tupleIJPjSI_NS0_16reverse_iteratorISI_EEEEENSH_IJSG_SG_SG_EEES9_SI_JZNS1_25segmented_radix_sort_implINS0_14default_configELb0EPKiPiPKlPlN2at6native12_GLOBAL__N_18offset_tEEE10hipError_tPvRmT1_PNSt15iterator_traitsIS12_E10value_typeET2_T3_PNS13_IS18_E10value_typeET4_jRbjT5_S1E_jjP12ihipStream_tbEUljE_ZNSN_ISO_Lb0ESQ_SR_ST_SU_SY_EESZ_S10_S11_S12_S16_S17_S18_S1B_S1C_jS1D_jS1E_S1E_jjS1G_bEUljE0_EEESZ_S10_S11_S18_S1C_S1E_T6_T7_T9_mT8_S1G_bDpT10_ENKUlT_T0_E_clISt17integral_constantIbLb0EES1T_IbLb1EEEEDaS1P_S1Q_EUlS1P_E_NS1_11comp_targetILNS1_3genE3ELNS1_11target_archE908ELNS1_3gpuE7ELNS1_3repE0EEENS1_30default_config_static_selectorELNS0_4arch9wavefront6targetE1EEEvS12_, .Lfunc_end563-_ZN7rocprim17ROCPRIM_400000_NS6detail17trampoline_kernelINS0_13select_configILj256ELj13ELNS0_17block_load_methodE3ELS4_3ELS4_3ELNS0_20block_scan_algorithmE0ELj4294967295EEENS1_25partition_config_selectorILNS1_17partition_subalgoE4EjNS0_10empty_typeEbEEZZNS1_14partition_implILS8_4ELb0ES6_15HIP_vector_typeIjLj2EENS0_17counting_iteratorIjlEEPS9_SG_NS0_5tupleIJPjSI_NS0_16reverse_iteratorISI_EEEEENSH_IJSG_SG_SG_EEES9_SI_JZNS1_25segmented_radix_sort_implINS0_14default_configELb0EPKiPiPKlPlN2at6native12_GLOBAL__N_18offset_tEEE10hipError_tPvRmT1_PNSt15iterator_traitsIS12_E10value_typeET2_T3_PNS13_IS18_E10value_typeET4_jRbjT5_S1E_jjP12ihipStream_tbEUljE_ZNSN_ISO_Lb0ESQ_SR_ST_SU_SY_EESZ_S10_S11_S12_S16_S17_S18_S1B_S1C_jS1D_jS1E_S1E_jjS1G_bEUljE0_EEESZ_S10_S11_S18_S1C_S1E_T6_T7_T9_mT8_S1G_bDpT10_ENKUlT_T0_E_clISt17integral_constantIbLb0EES1T_IbLb1EEEEDaS1P_S1Q_EUlS1P_E_NS1_11comp_targetILNS1_3genE3ELNS1_11target_archE908ELNS1_3gpuE7ELNS1_3repE0EEENS1_30default_config_static_selectorELNS0_4arch9wavefront6targetE1EEEvS12_
                                        ; -- End function
	.set _ZN7rocprim17ROCPRIM_400000_NS6detail17trampoline_kernelINS0_13select_configILj256ELj13ELNS0_17block_load_methodE3ELS4_3ELS4_3ELNS0_20block_scan_algorithmE0ELj4294967295EEENS1_25partition_config_selectorILNS1_17partition_subalgoE4EjNS0_10empty_typeEbEEZZNS1_14partition_implILS8_4ELb0ES6_15HIP_vector_typeIjLj2EENS0_17counting_iteratorIjlEEPS9_SG_NS0_5tupleIJPjSI_NS0_16reverse_iteratorISI_EEEEENSH_IJSG_SG_SG_EEES9_SI_JZNS1_25segmented_radix_sort_implINS0_14default_configELb0EPKiPiPKlPlN2at6native12_GLOBAL__N_18offset_tEEE10hipError_tPvRmT1_PNSt15iterator_traitsIS12_E10value_typeET2_T3_PNS13_IS18_E10value_typeET4_jRbjT5_S1E_jjP12ihipStream_tbEUljE_ZNSN_ISO_Lb0ESQ_SR_ST_SU_SY_EESZ_S10_S11_S12_S16_S17_S18_S1B_S1C_jS1D_jS1E_S1E_jjS1G_bEUljE0_EEESZ_S10_S11_S18_S1C_S1E_T6_T7_T9_mT8_S1G_bDpT10_ENKUlT_T0_E_clISt17integral_constantIbLb0EES1T_IbLb1EEEEDaS1P_S1Q_EUlS1P_E_NS1_11comp_targetILNS1_3genE3ELNS1_11target_archE908ELNS1_3gpuE7ELNS1_3repE0EEENS1_30default_config_static_selectorELNS0_4arch9wavefront6targetE1EEEvS12_.num_vgpr, 0
	.set _ZN7rocprim17ROCPRIM_400000_NS6detail17trampoline_kernelINS0_13select_configILj256ELj13ELNS0_17block_load_methodE3ELS4_3ELS4_3ELNS0_20block_scan_algorithmE0ELj4294967295EEENS1_25partition_config_selectorILNS1_17partition_subalgoE4EjNS0_10empty_typeEbEEZZNS1_14partition_implILS8_4ELb0ES6_15HIP_vector_typeIjLj2EENS0_17counting_iteratorIjlEEPS9_SG_NS0_5tupleIJPjSI_NS0_16reverse_iteratorISI_EEEEENSH_IJSG_SG_SG_EEES9_SI_JZNS1_25segmented_radix_sort_implINS0_14default_configELb0EPKiPiPKlPlN2at6native12_GLOBAL__N_18offset_tEEE10hipError_tPvRmT1_PNSt15iterator_traitsIS12_E10value_typeET2_T3_PNS13_IS18_E10value_typeET4_jRbjT5_S1E_jjP12ihipStream_tbEUljE_ZNSN_ISO_Lb0ESQ_SR_ST_SU_SY_EESZ_S10_S11_S12_S16_S17_S18_S1B_S1C_jS1D_jS1E_S1E_jjS1G_bEUljE0_EEESZ_S10_S11_S18_S1C_S1E_T6_T7_T9_mT8_S1G_bDpT10_ENKUlT_T0_E_clISt17integral_constantIbLb0EES1T_IbLb1EEEEDaS1P_S1Q_EUlS1P_E_NS1_11comp_targetILNS1_3genE3ELNS1_11target_archE908ELNS1_3gpuE7ELNS1_3repE0EEENS1_30default_config_static_selectorELNS0_4arch9wavefront6targetE1EEEvS12_.num_agpr, 0
	.set _ZN7rocprim17ROCPRIM_400000_NS6detail17trampoline_kernelINS0_13select_configILj256ELj13ELNS0_17block_load_methodE3ELS4_3ELS4_3ELNS0_20block_scan_algorithmE0ELj4294967295EEENS1_25partition_config_selectorILNS1_17partition_subalgoE4EjNS0_10empty_typeEbEEZZNS1_14partition_implILS8_4ELb0ES6_15HIP_vector_typeIjLj2EENS0_17counting_iteratorIjlEEPS9_SG_NS0_5tupleIJPjSI_NS0_16reverse_iteratorISI_EEEEENSH_IJSG_SG_SG_EEES9_SI_JZNS1_25segmented_radix_sort_implINS0_14default_configELb0EPKiPiPKlPlN2at6native12_GLOBAL__N_18offset_tEEE10hipError_tPvRmT1_PNSt15iterator_traitsIS12_E10value_typeET2_T3_PNS13_IS18_E10value_typeET4_jRbjT5_S1E_jjP12ihipStream_tbEUljE_ZNSN_ISO_Lb0ESQ_SR_ST_SU_SY_EESZ_S10_S11_S12_S16_S17_S18_S1B_S1C_jS1D_jS1E_S1E_jjS1G_bEUljE0_EEESZ_S10_S11_S18_S1C_S1E_T6_T7_T9_mT8_S1G_bDpT10_ENKUlT_T0_E_clISt17integral_constantIbLb0EES1T_IbLb1EEEEDaS1P_S1Q_EUlS1P_E_NS1_11comp_targetILNS1_3genE3ELNS1_11target_archE908ELNS1_3gpuE7ELNS1_3repE0EEENS1_30default_config_static_selectorELNS0_4arch9wavefront6targetE1EEEvS12_.numbered_sgpr, 0
	.set _ZN7rocprim17ROCPRIM_400000_NS6detail17trampoline_kernelINS0_13select_configILj256ELj13ELNS0_17block_load_methodE3ELS4_3ELS4_3ELNS0_20block_scan_algorithmE0ELj4294967295EEENS1_25partition_config_selectorILNS1_17partition_subalgoE4EjNS0_10empty_typeEbEEZZNS1_14partition_implILS8_4ELb0ES6_15HIP_vector_typeIjLj2EENS0_17counting_iteratorIjlEEPS9_SG_NS0_5tupleIJPjSI_NS0_16reverse_iteratorISI_EEEEENSH_IJSG_SG_SG_EEES9_SI_JZNS1_25segmented_radix_sort_implINS0_14default_configELb0EPKiPiPKlPlN2at6native12_GLOBAL__N_18offset_tEEE10hipError_tPvRmT1_PNSt15iterator_traitsIS12_E10value_typeET2_T3_PNS13_IS18_E10value_typeET4_jRbjT5_S1E_jjP12ihipStream_tbEUljE_ZNSN_ISO_Lb0ESQ_SR_ST_SU_SY_EESZ_S10_S11_S12_S16_S17_S18_S1B_S1C_jS1D_jS1E_S1E_jjS1G_bEUljE0_EEESZ_S10_S11_S18_S1C_S1E_T6_T7_T9_mT8_S1G_bDpT10_ENKUlT_T0_E_clISt17integral_constantIbLb0EES1T_IbLb1EEEEDaS1P_S1Q_EUlS1P_E_NS1_11comp_targetILNS1_3genE3ELNS1_11target_archE908ELNS1_3gpuE7ELNS1_3repE0EEENS1_30default_config_static_selectorELNS0_4arch9wavefront6targetE1EEEvS12_.num_named_barrier, 0
	.set _ZN7rocprim17ROCPRIM_400000_NS6detail17trampoline_kernelINS0_13select_configILj256ELj13ELNS0_17block_load_methodE3ELS4_3ELS4_3ELNS0_20block_scan_algorithmE0ELj4294967295EEENS1_25partition_config_selectorILNS1_17partition_subalgoE4EjNS0_10empty_typeEbEEZZNS1_14partition_implILS8_4ELb0ES6_15HIP_vector_typeIjLj2EENS0_17counting_iteratorIjlEEPS9_SG_NS0_5tupleIJPjSI_NS0_16reverse_iteratorISI_EEEEENSH_IJSG_SG_SG_EEES9_SI_JZNS1_25segmented_radix_sort_implINS0_14default_configELb0EPKiPiPKlPlN2at6native12_GLOBAL__N_18offset_tEEE10hipError_tPvRmT1_PNSt15iterator_traitsIS12_E10value_typeET2_T3_PNS13_IS18_E10value_typeET4_jRbjT5_S1E_jjP12ihipStream_tbEUljE_ZNSN_ISO_Lb0ESQ_SR_ST_SU_SY_EESZ_S10_S11_S12_S16_S17_S18_S1B_S1C_jS1D_jS1E_S1E_jjS1G_bEUljE0_EEESZ_S10_S11_S18_S1C_S1E_T6_T7_T9_mT8_S1G_bDpT10_ENKUlT_T0_E_clISt17integral_constantIbLb0EES1T_IbLb1EEEEDaS1P_S1Q_EUlS1P_E_NS1_11comp_targetILNS1_3genE3ELNS1_11target_archE908ELNS1_3gpuE7ELNS1_3repE0EEENS1_30default_config_static_selectorELNS0_4arch9wavefront6targetE1EEEvS12_.private_seg_size, 0
	.set _ZN7rocprim17ROCPRIM_400000_NS6detail17trampoline_kernelINS0_13select_configILj256ELj13ELNS0_17block_load_methodE3ELS4_3ELS4_3ELNS0_20block_scan_algorithmE0ELj4294967295EEENS1_25partition_config_selectorILNS1_17partition_subalgoE4EjNS0_10empty_typeEbEEZZNS1_14partition_implILS8_4ELb0ES6_15HIP_vector_typeIjLj2EENS0_17counting_iteratorIjlEEPS9_SG_NS0_5tupleIJPjSI_NS0_16reverse_iteratorISI_EEEEENSH_IJSG_SG_SG_EEES9_SI_JZNS1_25segmented_radix_sort_implINS0_14default_configELb0EPKiPiPKlPlN2at6native12_GLOBAL__N_18offset_tEEE10hipError_tPvRmT1_PNSt15iterator_traitsIS12_E10value_typeET2_T3_PNS13_IS18_E10value_typeET4_jRbjT5_S1E_jjP12ihipStream_tbEUljE_ZNSN_ISO_Lb0ESQ_SR_ST_SU_SY_EESZ_S10_S11_S12_S16_S17_S18_S1B_S1C_jS1D_jS1E_S1E_jjS1G_bEUljE0_EEESZ_S10_S11_S18_S1C_S1E_T6_T7_T9_mT8_S1G_bDpT10_ENKUlT_T0_E_clISt17integral_constantIbLb0EES1T_IbLb1EEEEDaS1P_S1Q_EUlS1P_E_NS1_11comp_targetILNS1_3genE3ELNS1_11target_archE908ELNS1_3gpuE7ELNS1_3repE0EEENS1_30default_config_static_selectorELNS0_4arch9wavefront6targetE1EEEvS12_.uses_vcc, 0
	.set _ZN7rocprim17ROCPRIM_400000_NS6detail17trampoline_kernelINS0_13select_configILj256ELj13ELNS0_17block_load_methodE3ELS4_3ELS4_3ELNS0_20block_scan_algorithmE0ELj4294967295EEENS1_25partition_config_selectorILNS1_17partition_subalgoE4EjNS0_10empty_typeEbEEZZNS1_14partition_implILS8_4ELb0ES6_15HIP_vector_typeIjLj2EENS0_17counting_iteratorIjlEEPS9_SG_NS0_5tupleIJPjSI_NS0_16reverse_iteratorISI_EEEEENSH_IJSG_SG_SG_EEES9_SI_JZNS1_25segmented_radix_sort_implINS0_14default_configELb0EPKiPiPKlPlN2at6native12_GLOBAL__N_18offset_tEEE10hipError_tPvRmT1_PNSt15iterator_traitsIS12_E10value_typeET2_T3_PNS13_IS18_E10value_typeET4_jRbjT5_S1E_jjP12ihipStream_tbEUljE_ZNSN_ISO_Lb0ESQ_SR_ST_SU_SY_EESZ_S10_S11_S12_S16_S17_S18_S1B_S1C_jS1D_jS1E_S1E_jjS1G_bEUljE0_EEESZ_S10_S11_S18_S1C_S1E_T6_T7_T9_mT8_S1G_bDpT10_ENKUlT_T0_E_clISt17integral_constantIbLb0EES1T_IbLb1EEEEDaS1P_S1Q_EUlS1P_E_NS1_11comp_targetILNS1_3genE3ELNS1_11target_archE908ELNS1_3gpuE7ELNS1_3repE0EEENS1_30default_config_static_selectorELNS0_4arch9wavefront6targetE1EEEvS12_.uses_flat_scratch, 0
	.set _ZN7rocprim17ROCPRIM_400000_NS6detail17trampoline_kernelINS0_13select_configILj256ELj13ELNS0_17block_load_methodE3ELS4_3ELS4_3ELNS0_20block_scan_algorithmE0ELj4294967295EEENS1_25partition_config_selectorILNS1_17partition_subalgoE4EjNS0_10empty_typeEbEEZZNS1_14partition_implILS8_4ELb0ES6_15HIP_vector_typeIjLj2EENS0_17counting_iteratorIjlEEPS9_SG_NS0_5tupleIJPjSI_NS0_16reverse_iteratorISI_EEEEENSH_IJSG_SG_SG_EEES9_SI_JZNS1_25segmented_radix_sort_implINS0_14default_configELb0EPKiPiPKlPlN2at6native12_GLOBAL__N_18offset_tEEE10hipError_tPvRmT1_PNSt15iterator_traitsIS12_E10value_typeET2_T3_PNS13_IS18_E10value_typeET4_jRbjT5_S1E_jjP12ihipStream_tbEUljE_ZNSN_ISO_Lb0ESQ_SR_ST_SU_SY_EESZ_S10_S11_S12_S16_S17_S18_S1B_S1C_jS1D_jS1E_S1E_jjS1G_bEUljE0_EEESZ_S10_S11_S18_S1C_S1E_T6_T7_T9_mT8_S1G_bDpT10_ENKUlT_T0_E_clISt17integral_constantIbLb0EES1T_IbLb1EEEEDaS1P_S1Q_EUlS1P_E_NS1_11comp_targetILNS1_3genE3ELNS1_11target_archE908ELNS1_3gpuE7ELNS1_3repE0EEENS1_30default_config_static_selectorELNS0_4arch9wavefront6targetE1EEEvS12_.has_dyn_sized_stack, 0
	.set _ZN7rocprim17ROCPRIM_400000_NS6detail17trampoline_kernelINS0_13select_configILj256ELj13ELNS0_17block_load_methodE3ELS4_3ELS4_3ELNS0_20block_scan_algorithmE0ELj4294967295EEENS1_25partition_config_selectorILNS1_17partition_subalgoE4EjNS0_10empty_typeEbEEZZNS1_14partition_implILS8_4ELb0ES6_15HIP_vector_typeIjLj2EENS0_17counting_iteratorIjlEEPS9_SG_NS0_5tupleIJPjSI_NS0_16reverse_iteratorISI_EEEEENSH_IJSG_SG_SG_EEES9_SI_JZNS1_25segmented_radix_sort_implINS0_14default_configELb0EPKiPiPKlPlN2at6native12_GLOBAL__N_18offset_tEEE10hipError_tPvRmT1_PNSt15iterator_traitsIS12_E10value_typeET2_T3_PNS13_IS18_E10value_typeET4_jRbjT5_S1E_jjP12ihipStream_tbEUljE_ZNSN_ISO_Lb0ESQ_SR_ST_SU_SY_EESZ_S10_S11_S12_S16_S17_S18_S1B_S1C_jS1D_jS1E_S1E_jjS1G_bEUljE0_EEESZ_S10_S11_S18_S1C_S1E_T6_T7_T9_mT8_S1G_bDpT10_ENKUlT_T0_E_clISt17integral_constantIbLb0EES1T_IbLb1EEEEDaS1P_S1Q_EUlS1P_E_NS1_11comp_targetILNS1_3genE3ELNS1_11target_archE908ELNS1_3gpuE7ELNS1_3repE0EEENS1_30default_config_static_selectorELNS0_4arch9wavefront6targetE1EEEvS12_.has_recursion, 0
	.set _ZN7rocprim17ROCPRIM_400000_NS6detail17trampoline_kernelINS0_13select_configILj256ELj13ELNS0_17block_load_methodE3ELS4_3ELS4_3ELNS0_20block_scan_algorithmE0ELj4294967295EEENS1_25partition_config_selectorILNS1_17partition_subalgoE4EjNS0_10empty_typeEbEEZZNS1_14partition_implILS8_4ELb0ES6_15HIP_vector_typeIjLj2EENS0_17counting_iteratorIjlEEPS9_SG_NS0_5tupleIJPjSI_NS0_16reverse_iteratorISI_EEEEENSH_IJSG_SG_SG_EEES9_SI_JZNS1_25segmented_radix_sort_implINS0_14default_configELb0EPKiPiPKlPlN2at6native12_GLOBAL__N_18offset_tEEE10hipError_tPvRmT1_PNSt15iterator_traitsIS12_E10value_typeET2_T3_PNS13_IS18_E10value_typeET4_jRbjT5_S1E_jjP12ihipStream_tbEUljE_ZNSN_ISO_Lb0ESQ_SR_ST_SU_SY_EESZ_S10_S11_S12_S16_S17_S18_S1B_S1C_jS1D_jS1E_S1E_jjS1G_bEUljE0_EEESZ_S10_S11_S18_S1C_S1E_T6_T7_T9_mT8_S1G_bDpT10_ENKUlT_T0_E_clISt17integral_constantIbLb0EES1T_IbLb1EEEEDaS1P_S1Q_EUlS1P_E_NS1_11comp_targetILNS1_3genE3ELNS1_11target_archE908ELNS1_3gpuE7ELNS1_3repE0EEENS1_30default_config_static_selectorELNS0_4arch9wavefront6targetE1EEEvS12_.has_indirect_call, 0
	.section	.AMDGPU.csdata,"",@progbits
; Kernel info:
; codeLenInByte = 0
; TotalNumSgprs: 4
; NumVgprs: 0
; ScratchSize: 0
; MemoryBound: 0
; FloatMode: 240
; IeeeMode: 1
; LDSByteSize: 0 bytes/workgroup (compile time only)
; SGPRBlocks: 0
; VGPRBlocks: 0
; NumSGPRsForWavesPerEU: 4
; NumVGPRsForWavesPerEU: 1
; Occupancy: 10
; WaveLimiterHint : 0
; COMPUTE_PGM_RSRC2:SCRATCH_EN: 0
; COMPUTE_PGM_RSRC2:USER_SGPR: 6
; COMPUTE_PGM_RSRC2:TRAP_HANDLER: 0
; COMPUTE_PGM_RSRC2:TGID_X_EN: 1
; COMPUTE_PGM_RSRC2:TGID_Y_EN: 0
; COMPUTE_PGM_RSRC2:TGID_Z_EN: 0
; COMPUTE_PGM_RSRC2:TIDIG_COMP_CNT: 0
	.section	.text._ZN7rocprim17ROCPRIM_400000_NS6detail17trampoline_kernelINS0_13select_configILj256ELj13ELNS0_17block_load_methodE3ELS4_3ELS4_3ELNS0_20block_scan_algorithmE0ELj4294967295EEENS1_25partition_config_selectorILNS1_17partition_subalgoE4EjNS0_10empty_typeEbEEZZNS1_14partition_implILS8_4ELb0ES6_15HIP_vector_typeIjLj2EENS0_17counting_iteratorIjlEEPS9_SG_NS0_5tupleIJPjSI_NS0_16reverse_iteratorISI_EEEEENSH_IJSG_SG_SG_EEES9_SI_JZNS1_25segmented_radix_sort_implINS0_14default_configELb0EPKiPiPKlPlN2at6native12_GLOBAL__N_18offset_tEEE10hipError_tPvRmT1_PNSt15iterator_traitsIS12_E10value_typeET2_T3_PNS13_IS18_E10value_typeET4_jRbjT5_S1E_jjP12ihipStream_tbEUljE_ZNSN_ISO_Lb0ESQ_SR_ST_SU_SY_EESZ_S10_S11_S12_S16_S17_S18_S1B_S1C_jS1D_jS1E_S1E_jjS1G_bEUljE0_EEESZ_S10_S11_S18_S1C_S1E_T6_T7_T9_mT8_S1G_bDpT10_ENKUlT_T0_E_clISt17integral_constantIbLb0EES1T_IbLb1EEEEDaS1P_S1Q_EUlS1P_E_NS1_11comp_targetILNS1_3genE2ELNS1_11target_archE906ELNS1_3gpuE6ELNS1_3repE0EEENS1_30default_config_static_selectorELNS0_4arch9wavefront6targetE1EEEvS12_,"axG",@progbits,_ZN7rocprim17ROCPRIM_400000_NS6detail17trampoline_kernelINS0_13select_configILj256ELj13ELNS0_17block_load_methodE3ELS4_3ELS4_3ELNS0_20block_scan_algorithmE0ELj4294967295EEENS1_25partition_config_selectorILNS1_17partition_subalgoE4EjNS0_10empty_typeEbEEZZNS1_14partition_implILS8_4ELb0ES6_15HIP_vector_typeIjLj2EENS0_17counting_iteratorIjlEEPS9_SG_NS0_5tupleIJPjSI_NS0_16reverse_iteratorISI_EEEEENSH_IJSG_SG_SG_EEES9_SI_JZNS1_25segmented_radix_sort_implINS0_14default_configELb0EPKiPiPKlPlN2at6native12_GLOBAL__N_18offset_tEEE10hipError_tPvRmT1_PNSt15iterator_traitsIS12_E10value_typeET2_T3_PNS13_IS18_E10value_typeET4_jRbjT5_S1E_jjP12ihipStream_tbEUljE_ZNSN_ISO_Lb0ESQ_SR_ST_SU_SY_EESZ_S10_S11_S12_S16_S17_S18_S1B_S1C_jS1D_jS1E_S1E_jjS1G_bEUljE0_EEESZ_S10_S11_S18_S1C_S1E_T6_T7_T9_mT8_S1G_bDpT10_ENKUlT_T0_E_clISt17integral_constantIbLb0EES1T_IbLb1EEEEDaS1P_S1Q_EUlS1P_E_NS1_11comp_targetILNS1_3genE2ELNS1_11target_archE906ELNS1_3gpuE6ELNS1_3repE0EEENS1_30default_config_static_selectorELNS0_4arch9wavefront6targetE1EEEvS12_,comdat
	.globl	_ZN7rocprim17ROCPRIM_400000_NS6detail17trampoline_kernelINS0_13select_configILj256ELj13ELNS0_17block_load_methodE3ELS4_3ELS4_3ELNS0_20block_scan_algorithmE0ELj4294967295EEENS1_25partition_config_selectorILNS1_17partition_subalgoE4EjNS0_10empty_typeEbEEZZNS1_14partition_implILS8_4ELb0ES6_15HIP_vector_typeIjLj2EENS0_17counting_iteratorIjlEEPS9_SG_NS0_5tupleIJPjSI_NS0_16reverse_iteratorISI_EEEEENSH_IJSG_SG_SG_EEES9_SI_JZNS1_25segmented_radix_sort_implINS0_14default_configELb0EPKiPiPKlPlN2at6native12_GLOBAL__N_18offset_tEEE10hipError_tPvRmT1_PNSt15iterator_traitsIS12_E10value_typeET2_T3_PNS13_IS18_E10value_typeET4_jRbjT5_S1E_jjP12ihipStream_tbEUljE_ZNSN_ISO_Lb0ESQ_SR_ST_SU_SY_EESZ_S10_S11_S12_S16_S17_S18_S1B_S1C_jS1D_jS1E_S1E_jjS1G_bEUljE0_EEESZ_S10_S11_S18_S1C_S1E_T6_T7_T9_mT8_S1G_bDpT10_ENKUlT_T0_E_clISt17integral_constantIbLb0EES1T_IbLb1EEEEDaS1P_S1Q_EUlS1P_E_NS1_11comp_targetILNS1_3genE2ELNS1_11target_archE906ELNS1_3gpuE6ELNS1_3repE0EEENS1_30default_config_static_selectorELNS0_4arch9wavefront6targetE1EEEvS12_ ; -- Begin function _ZN7rocprim17ROCPRIM_400000_NS6detail17trampoline_kernelINS0_13select_configILj256ELj13ELNS0_17block_load_methodE3ELS4_3ELS4_3ELNS0_20block_scan_algorithmE0ELj4294967295EEENS1_25partition_config_selectorILNS1_17partition_subalgoE4EjNS0_10empty_typeEbEEZZNS1_14partition_implILS8_4ELb0ES6_15HIP_vector_typeIjLj2EENS0_17counting_iteratorIjlEEPS9_SG_NS0_5tupleIJPjSI_NS0_16reverse_iteratorISI_EEEEENSH_IJSG_SG_SG_EEES9_SI_JZNS1_25segmented_radix_sort_implINS0_14default_configELb0EPKiPiPKlPlN2at6native12_GLOBAL__N_18offset_tEEE10hipError_tPvRmT1_PNSt15iterator_traitsIS12_E10value_typeET2_T3_PNS13_IS18_E10value_typeET4_jRbjT5_S1E_jjP12ihipStream_tbEUljE_ZNSN_ISO_Lb0ESQ_SR_ST_SU_SY_EESZ_S10_S11_S12_S16_S17_S18_S1B_S1C_jS1D_jS1E_S1E_jjS1G_bEUljE0_EEESZ_S10_S11_S18_S1C_S1E_T6_T7_T9_mT8_S1G_bDpT10_ENKUlT_T0_E_clISt17integral_constantIbLb0EES1T_IbLb1EEEEDaS1P_S1Q_EUlS1P_E_NS1_11comp_targetILNS1_3genE2ELNS1_11target_archE906ELNS1_3gpuE6ELNS1_3repE0EEENS1_30default_config_static_selectorELNS0_4arch9wavefront6targetE1EEEvS12_
	.p2align	8
	.type	_ZN7rocprim17ROCPRIM_400000_NS6detail17trampoline_kernelINS0_13select_configILj256ELj13ELNS0_17block_load_methodE3ELS4_3ELS4_3ELNS0_20block_scan_algorithmE0ELj4294967295EEENS1_25partition_config_selectorILNS1_17partition_subalgoE4EjNS0_10empty_typeEbEEZZNS1_14partition_implILS8_4ELb0ES6_15HIP_vector_typeIjLj2EENS0_17counting_iteratorIjlEEPS9_SG_NS0_5tupleIJPjSI_NS0_16reverse_iteratorISI_EEEEENSH_IJSG_SG_SG_EEES9_SI_JZNS1_25segmented_radix_sort_implINS0_14default_configELb0EPKiPiPKlPlN2at6native12_GLOBAL__N_18offset_tEEE10hipError_tPvRmT1_PNSt15iterator_traitsIS12_E10value_typeET2_T3_PNS13_IS18_E10value_typeET4_jRbjT5_S1E_jjP12ihipStream_tbEUljE_ZNSN_ISO_Lb0ESQ_SR_ST_SU_SY_EESZ_S10_S11_S12_S16_S17_S18_S1B_S1C_jS1D_jS1E_S1E_jjS1G_bEUljE0_EEESZ_S10_S11_S18_S1C_S1E_T6_T7_T9_mT8_S1G_bDpT10_ENKUlT_T0_E_clISt17integral_constantIbLb0EES1T_IbLb1EEEEDaS1P_S1Q_EUlS1P_E_NS1_11comp_targetILNS1_3genE2ELNS1_11target_archE906ELNS1_3gpuE6ELNS1_3repE0EEENS1_30default_config_static_selectorELNS0_4arch9wavefront6targetE1EEEvS12_,@function
_ZN7rocprim17ROCPRIM_400000_NS6detail17trampoline_kernelINS0_13select_configILj256ELj13ELNS0_17block_load_methodE3ELS4_3ELS4_3ELNS0_20block_scan_algorithmE0ELj4294967295EEENS1_25partition_config_selectorILNS1_17partition_subalgoE4EjNS0_10empty_typeEbEEZZNS1_14partition_implILS8_4ELb0ES6_15HIP_vector_typeIjLj2EENS0_17counting_iteratorIjlEEPS9_SG_NS0_5tupleIJPjSI_NS0_16reverse_iteratorISI_EEEEENSH_IJSG_SG_SG_EEES9_SI_JZNS1_25segmented_radix_sort_implINS0_14default_configELb0EPKiPiPKlPlN2at6native12_GLOBAL__N_18offset_tEEE10hipError_tPvRmT1_PNSt15iterator_traitsIS12_E10value_typeET2_T3_PNS13_IS18_E10value_typeET4_jRbjT5_S1E_jjP12ihipStream_tbEUljE_ZNSN_ISO_Lb0ESQ_SR_ST_SU_SY_EESZ_S10_S11_S12_S16_S17_S18_S1B_S1C_jS1D_jS1E_S1E_jjS1G_bEUljE0_EEESZ_S10_S11_S18_S1C_S1E_T6_T7_T9_mT8_S1G_bDpT10_ENKUlT_T0_E_clISt17integral_constantIbLb0EES1T_IbLb1EEEEDaS1P_S1Q_EUlS1P_E_NS1_11comp_targetILNS1_3genE2ELNS1_11target_archE906ELNS1_3gpuE6ELNS1_3repE0EEENS1_30default_config_static_selectorELNS0_4arch9wavefront6targetE1EEEvS12_: ; @_ZN7rocprim17ROCPRIM_400000_NS6detail17trampoline_kernelINS0_13select_configILj256ELj13ELNS0_17block_load_methodE3ELS4_3ELS4_3ELNS0_20block_scan_algorithmE0ELj4294967295EEENS1_25partition_config_selectorILNS1_17partition_subalgoE4EjNS0_10empty_typeEbEEZZNS1_14partition_implILS8_4ELb0ES6_15HIP_vector_typeIjLj2EENS0_17counting_iteratorIjlEEPS9_SG_NS0_5tupleIJPjSI_NS0_16reverse_iteratorISI_EEEEENSH_IJSG_SG_SG_EEES9_SI_JZNS1_25segmented_radix_sort_implINS0_14default_configELb0EPKiPiPKlPlN2at6native12_GLOBAL__N_18offset_tEEE10hipError_tPvRmT1_PNSt15iterator_traitsIS12_E10value_typeET2_T3_PNS13_IS18_E10value_typeET4_jRbjT5_S1E_jjP12ihipStream_tbEUljE_ZNSN_ISO_Lb0ESQ_SR_ST_SU_SY_EESZ_S10_S11_S12_S16_S17_S18_S1B_S1C_jS1D_jS1E_S1E_jjS1G_bEUljE0_EEESZ_S10_S11_S18_S1C_S1E_T6_T7_T9_mT8_S1G_bDpT10_ENKUlT_T0_E_clISt17integral_constantIbLb0EES1T_IbLb1EEEEDaS1P_S1Q_EUlS1P_E_NS1_11comp_targetILNS1_3genE2ELNS1_11target_archE906ELNS1_3gpuE6ELNS1_3repE0EEENS1_30default_config_static_selectorELNS0_4arch9wavefront6targetE1EEEvS12_
; %bb.0:
	s_load_dwordx2 s[52:53], s[4:5], 0x10
	s_load_dwordx4 s[48:51], s[4:5], 0x28
	s_load_dwordx2 s[30:31], s[4:5], 0x38
	s_load_dwordx4 s[44:47], s[4:5], 0x58
	s_load_dwordx2 s[6:7], s[4:5], 0x68
	s_load_dwordx2 s[54:55], s[4:5], 0x78
	;; [unrolled: 1-line block ×3, first 2 shown]
	s_load_dwordx8 s[36:43], s[4:5], 0x90
	v_cmp_eq_u32_e64 s[0:1], 0, v0
	s_and_saveexec_b64 s[2:3], s[0:1]
	s_cbranch_execz .LBB564_4
; %bb.1:
	s_mov_b64 s[10:11], exec
	v_mbcnt_lo_u32_b32 v1, s10, 0
	v_mbcnt_hi_u32_b32 v1, s11, v1
	v_cmp_eq_u32_e32 vcc, 0, v1
                                        ; implicit-def: $vgpr2
	s_and_saveexec_b64 s[8:9], vcc
	s_cbranch_execz .LBB564_3
; %bb.2:
	s_load_dwordx2 s[12:13], s[4:5], 0x88
	s_bcnt1_i32_b64 s10, s[10:11]
	v_mov_b32_e32 v2, 0
	v_mov_b32_e32 v3, s10
	s_waitcnt lgkmcnt(0)
	global_atomic_add v2, v2, v3, s[12:13] glc
.LBB564_3:
	s_or_b64 exec, exec, s[8:9]
	s_waitcnt vmcnt(0)
	v_readfirstlane_b32 s8, v2
	v_add_u32_e32 v1, s8, v1
	v_mov_b32_e32 v2, 0
	ds_write_b32 v2, v1
.LBB564_4:
	s_or_b64 exec, exec, s[2:3]
	v_mov_b32_e32 v1, 0
	s_load_dword s2, s[4:5], 0x8
	s_load_dword s8, s[4:5], 0x80
	s_waitcnt lgkmcnt(0)
	s_barrier
	ds_read_b32 v7, v1
	s_waitcnt lgkmcnt(0)
	s_barrier
	global_load_dwordx4 v[1:4], v1, s[46:47]
	s_add_i32 s9, s2, s52
	s_movk_i32 s2, 0xd00
	s_add_i32 s4, s8, -1
	s_mulk_i32 s8, 0xd00
	v_mul_lo_u32 v33, v7, s2
	s_add_u32 s2, s52, s8
	s_addc_u32 s3, s53, 0
	v_mov_b32_e32 v6, s3
	v_mov_b32_e32 v5, s2
	v_readfirstlane_b32 s33, v7
	v_cmp_gt_u64_e32 vcc, s[6:7], v[5:6]
	s_cmp_eq_u32 s33, s4
	v_cmp_ne_u32_e64 s[2:3], s4, v7
	s_cselect_b64 s[34:35], -1, 0
	s_or_b64 s[4:5], vcc, s[2:3]
	v_add_u32_e32 v5, s9, v33
	s_mov_b64 s[2:3], -1
	s_and_b64 vcc, exec, s[4:5]
	v_add_u32_e32 v5, v5, v0
	s_cbranch_vccz .LBB564_6
; %bb.5:
	v_add_u32_e32 v6, 0x100, v5
	v_lshlrev_b32_e32 v18, 2, v0
	v_add_u32_e32 v7, 0x200, v5
	v_add_u32_e32 v8, 0x300, v5
	;; [unrolled: 1-line block ×11, first 2 shown]
	ds_write2st64_b32 v18, v5, v6 offset1:4
	ds_write2st64_b32 v18, v7, v8 offset0:8 offset1:12
	ds_write2st64_b32 v18, v9, v10 offset0:16 offset1:20
	;; [unrolled: 1-line block ×5, first 2 shown]
	ds_write_b32 v18, v17 offset:12288
	s_waitcnt vmcnt(0) lgkmcnt(0)
	s_barrier
	s_mov_b64 s[2:3], 0
.LBB564_6:
	s_andn2_b64 vcc, exec, s[2:3]
	s_add_i32 s8, s8, s52
	s_cbranch_vccnz .LBB564_8
; %bb.7:
	v_add_u32_e32 v6, 0x100, v5
	v_lshlrev_b32_e32 v18, 2, v0
	v_add_u32_e32 v7, 0x200, v5
	v_add_u32_e32 v8, 0x300, v5
	;; [unrolled: 1-line block ×11, first 2 shown]
	ds_write2st64_b32 v18, v5, v6 offset1:4
	ds_write2st64_b32 v18, v7, v8 offset0:8 offset1:12
	ds_write2st64_b32 v18, v9, v10 offset0:16 offset1:20
	ds_write2st64_b32 v18, v11, v12 offset0:24 offset1:28
	ds_write2st64_b32 v18, v13, v14 offset0:32 offset1:36
	ds_write2st64_b32 v18, v15, v16 offset0:40 offset1:44
	ds_write_b32 v18, v17 offset:12288
	s_waitcnt vmcnt(0) lgkmcnt(0)
	s_barrier
.LBB564_8:
	v_mul_u32_u24_e32 v35, 13, v0
	v_lshlrev_b32_e32 v5, 2, v35
	ds_read_b32 v34, v5 offset:48
	ds_read2_b32 v[13:14], v5 offset0:10 offset1:11
	ds_read2_b32 v[15:16], v5 offset0:8 offset1:9
	;; [unrolled: 1-line block ×4, first 2 shown]
	ds_read2_b32 v[23:24], v5 offset1:1
	ds_read2_b32 v[21:22], v5 offset0:2 offset1:3
	v_cndmask_b32_e64 v5, 0, 1, s[4:5]
	s_sub_i32 s86, s6, s8
	v_cmp_ne_u32_e64 s[2:3], 1, v5
	s_andn2_b64 vcc, exec, s[4:5]
	s_waitcnt vmcnt(0) lgkmcnt(0)
	s_barrier
	s_cbranch_vccnz .LBB564_36
; %bb.9:
	v_add_u32_e32 v5, s37, v23
	v_add_u32_e32 v6, s39, v23
	v_mul_lo_u32 v5, v5, s36
	v_mul_lo_u32 v6, v6, s38
	s_mov_b64 s[58:59], 0
	s_mov_b64 s[46:47], 0
	v_sub_u32_e32 v5, v5, v6
	v_cmp_lt_u32_e32 vcc, s40, v5
	v_cmp_ge_u32_e64 s[4:5], s40, v5
	s_and_saveexec_b64 s[6:7], s[4:5]
	s_cbranch_execz .LBB564_11
; %bb.10:
	v_add_u32_e32 v5, s42, v23
	v_add_u32_e32 v6, s56, v23
	v_mul_lo_u32 v5, v5, s41
	v_mul_lo_u32 v6, v6, s43
	v_sub_u32_e32 v5, v5, v6
	v_cmp_lt_u32_e64 s[4:5], s57, v5
	s_and_b64 s[46:47], s[4:5], exec
.LBB564_11:
	s_or_b64 exec, exec, s[6:7]
	v_add_u32_e32 v5, s37, v24
	v_add_u32_e32 v6, s39, v24
	v_mul_lo_u32 v5, v5, s36
	v_mul_lo_u32 v6, v6, s38
	v_sub_u32_e32 v5, v5, v6
	v_cmp_lt_u32_e64 s[4:5], s40, v5
	v_cmp_ge_u32_e64 s[6:7], s40, v5
	s_and_saveexec_b64 s[8:9], s[6:7]
	s_cbranch_execz .LBB564_13
; %bb.12:
	v_add_u32_e32 v5, s42, v24
	v_add_u32_e32 v6, s56, v24
	v_mul_lo_u32 v5, v5, s41
	v_mul_lo_u32 v6, v6, s43
	v_sub_u32_e32 v5, v5, v6
	v_cmp_lt_u32_e64 s[6:7], s57, v5
	s_and_b64 s[58:59], s[6:7], exec
.LBB564_13:
	s_or_b64 exec, exec, s[8:9]
	v_add_u32_e32 v5, s37, v21
	v_add_u32_e32 v6, s39, v21
	v_mul_lo_u32 v5, v5, s36
	v_mul_lo_u32 v6, v6, s38
	s_mov_b64 s[62:63], 0
	s_mov_b64 s[60:61], 0
	v_sub_u32_e32 v5, v5, v6
	v_cmp_lt_u32_e64 s[6:7], s40, v5
	v_cmp_ge_u32_e64 s[8:9], s40, v5
	s_and_saveexec_b64 s[10:11], s[8:9]
	s_cbranch_execz .LBB564_15
; %bb.14:
	v_add_u32_e32 v5, s42, v21
	v_add_u32_e32 v6, s56, v21
	v_mul_lo_u32 v5, v5, s41
	v_mul_lo_u32 v6, v6, s43
	v_sub_u32_e32 v5, v5, v6
	v_cmp_lt_u32_e64 s[8:9], s57, v5
	s_and_b64 s[60:61], s[8:9], exec
.LBB564_15:
	s_or_b64 exec, exec, s[10:11]
	v_add_u32_e32 v5, s37, v22
	v_add_u32_e32 v6, s39, v22
	v_mul_lo_u32 v5, v5, s36
	v_mul_lo_u32 v6, v6, s38
	v_sub_u32_e32 v5, v5, v6
	v_cmp_lt_u32_e64 s[8:9], s40, v5
	v_cmp_ge_u32_e64 s[10:11], s40, v5
	s_and_saveexec_b64 s[12:13], s[10:11]
	s_cbranch_execz .LBB564_17
; %bb.16:
	v_add_u32_e32 v5, s42, v22
	v_add_u32_e32 v6, s56, v22
	v_mul_lo_u32 v5, v5, s41
	v_mul_lo_u32 v6, v6, s43
	v_sub_u32_e32 v5, v5, v6
	v_cmp_lt_u32_e64 s[10:11], s57, v5
	s_and_b64 s[62:63], s[10:11], exec
.LBB564_17:
	s_or_b64 exec, exec, s[12:13]
	v_add_u32_e32 v5, s37, v19
	v_add_u32_e32 v6, s39, v19
	v_mul_lo_u32 v5, v5, s36
	v_mul_lo_u32 v6, v6, s38
	s_mov_b64 s[66:67], 0
	s_mov_b64 s[64:65], 0
	v_sub_u32_e32 v5, v5, v6
	v_cmp_lt_u32_e64 s[10:11], s40, v5
	v_cmp_ge_u32_e64 s[12:13], s40, v5
	s_and_saveexec_b64 s[14:15], s[12:13]
	s_cbranch_execz .LBB564_19
; %bb.18:
	v_add_u32_e32 v5, s42, v19
	v_add_u32_e32 v6, s56, v19
	v_mul_lo_u32 v5, v5, s41
	v_mul_lo_u32 v6, v6, s43
	v_sub_u32_e32 v5, v5, v6
	v_cmp_lt_u32_e64 s[12:13], s57, v5
	s_and_b64 s[64:65], s[12:13], exec
.LBB564_19:
	s_or_b64 exec, exec, s[14:15]
	v_add_u32_e32 v5, s37, v20
	v_add_u32_e32 v6, s39, v20
	v_mul_lo_u32 v5, v5, s36
	v_mul_lo_u32 v6, v6, s38
	v_sub_u32_e32 v5, v5, v6
	v_cmp_lt_u32_e64 s[12:13], s40, v5
	v_cmp_ge_u32_e64 s[14:15], s40, v5
	s_and_saveexec_b64 s[16:17], s[14:15]
	s_cbranch_execz .LBB564_21
; %bb.20:
	v_add_u32_e32 v5, s42, v20
	v_add_u32_e32 v6, s56, v20
	v_mul_lo_u32 v5, v5, s41
	v_mul_lo_u32 v6, v6, s43
	v_sub_u32_e32 v5, v5, v6
	v_cmp_lt_u32_e64 s[14:15], s57, v5
	s_and_b64 s[66:67], s[14:15], exec
.LBB564_21:
	s_or_b64 exec, exec, s[16:17]
	v_add_u32_e32 v5, s37, v17
	v_add_u32_e32 v6, s39, v17
	v_mul_lo_u32 v5, v5, s36
	v_mul_lo_u32 v6, v6, s38
	s_mov_b64 s[70:71], 0
	s_mov_b64 s[68:69], 0
	v_sub_u32_e32 v5, v5, v6
	v_cmp_lt_u32_e64 s[14:15], s40, v5
	v_cmp_ge_u32_e64 s[16:17], s40, v5
	s_and_saveexec_b64 s[18:19], s[16:17]
	s_cbranch_execz .LBB564_23
; %bb.22:
	v_add_u32_e32 v5, s42, v17
	v_add_u32_e32 v6, s56, v17
	v_mul_lo_u32 v5, v5, s41
	v_mul_lo_u32 v6, v6, s43
	v_sub_u32_e32 v5, v5, v6
	v_cmp_lt_u32_e64 s[16:17], s57, v5
	s_and_b64 s[68:69], s[16:17], exec
.LBB564_23:
	s_or_b64 exec, exec, s[18:19]
	v_add_u32_e32 v5, s37, v18
	v_add_u32_e32 v6, s39, v18
	v_mul_lo_u32 v5, v5, s36
	v_mul_lo_u32 v6, v6, s38
	v_sub_u32_e32 v5, v5, v6
	v_cmp_lt_u32_e64 s[16:17], s40, v5
	v_cmp_ge_u32_e64 s[18:19], s40, v5
	s_and_saveexec_b64 s[20:21], s[18:19]
	s_cbranch_execz .LBB564_25
; %bb.24:
	v_add_u32_e32 v5, s42, v18
	v_add_u32_e32 v6, s56, v18
	v_mul_lo_u32 v5, v5, s41
	v_mul_lo_u32 v6, v6, s43
	v_sub_u32_e32 v5, v5, v6
	v_cmp_lt_u32_e64 s[18:19], s57, v5
	s_and_b64 s[70:71], s[18:19], exec
.LBB564_25:
	s_or_b64 exec, exec, s[20:21]
	v_add_u32_e32 v5, s37, v15
	v_add_u32_e32 v6, s39, v15
	v_mul_lo_u32 v5, v5, s36
	v_mul_lo_u32 v6, v6, s38
	s_mov_b64 s[74:75], 0
	s_mov_b64 s[72:73], 0
	v_sub_u32_e32 v5, v5, v6
	v_cmp_lt_u32_e64 s[18:19], s40, v5
	v_cmp_ge_u32_e64 s[20:21], s40, v5
	s_and_saveexec_b64 s[22:23], s[20:21]
	s_cbranch_execz .LBB564_27
; %bb.26:
	v_add_u32_e32 v5, s42, v15
	v_add_u32_e32 v6, s56, v15
	v_mul_lo_u32 v5, v5, s41
	v_mul_lo_u32 v6, v6, s43
	v_sub_u32_e32 v5, v5, v6
	v_cmp_lt_u32_e64 s[20:21], s57, v5
	s_and_b64 s[72:73], s[20:21], exec
.LBB564_27:
	s_or_b64 exec, exec, s[22:23]
	v_add_u32_e32 v5, s37, v16
	v_add_u32_e32 v6, s39, v16
	v_mul_lo_u32 v5, v5, s36
	v_mul_lo_u32 v6, v6, s38
	v_sub_u32_e32 v5, v5, v6
	v_cmp_lt_u32_e64 s[20:21], s40, v5
	v_cmp_ge_u32_e64 s[22:23], s40, v5
	s_and_saveexec_b64 s[24:25], s[22:23]
	s_cbranch_execz .LBB564_29
; %bb.28:
	v_add_u32_e32 v5, s42, v16
	v_add_u32_e32 v6, s56, v16
	v_mul_lo_u32 v5, v5, s41
	v_mul_lo_u32 v6, v6, s43
	v_sub_u32_e32 v5, v5, v6
	v_cmp_lt_u32_e64 s[22:23], s57, v5
	s_and_b64 s[74:75], s[22:23], exec
.LBB564_29:
	s_or_b64 exec, exec, s[24:25]
	v_add_u32_e32 v5, s37, v13
	v_add_u32_e32 v6, s39, v13
	v_mul_lo_u32 v5, v5, s36
	v_mul_lo_u32 v6, v6, s38
	s_mov_b64 s[78:79], 0
	s_mov_b64 s[80:81], 0
	v_sub_u32_e32 v5, v5, v6
	v_cmp_lt_u32_e64 s[22:23], s40, v5
	v_cmp_ge_u32_e64 s[24:25], s40, v5
	s_and_saveexec_b64 s[26:27], s[24:25]
	s_cbranch_execz .LBB564_31
; %bb.30:
	v_add_u32_e32 v5, s42, v13
	v_add_u32_e32 v6, s56, v13
	v_mul_lo_u32 v5, v5, s41
	v_mul_lo_u32 v6, v6, s43
	v_sub_u32_e32 v5, v5, v6
	v_cmp_lt_u32_e64 s[24:25], s57, v5
	s_and_b64 s[80:81], s[24:25], exec
.LBB564_31:
	s_or_b64 exec, exec, s[26:27]
	v_add_u32_e32 v5, s37, v14
	v_add_u32_e32 v6, s39, v14
	v_mul_lo_u32 v5, v5, s36
	v_mul_lo_u32 v6, v6, s38
	v_sub_u32_e32 v5, v5, v6
	v_cmp_lt_u32_e64 s[24:25], s40, v5
	v_cmp_ge_u32_e64 s[26:27], s40, v5
	s_and_saveexec_b64 s[28:29], s[26:27]
	s_cbranch_execz .LBB564_33
; %bb.32:
	v_add_u32_e32 v5, s42, v14
	v_add_u32_e32 v6, s56, v14
	v_mul_lo_u32 v5, v5, s41
	v_mul_lo_u32 v6, v6, s43
	v_sub_u32_e32 v5, v5, v6
	v_cmp_lt_u32_e64 s[26:27], s57, v5
	s_and_b64 s[78:79], s[26:27], exec
.LBB564_33:
	s_or_b64 exec, exec, s[28:29]
	v_add_u32_e32 v5, s37, v34
	v_add_u32_e32 v6, s39, v34
	v_mul_lo_u32 v5, v5, s36
	v_mul_lo_u32 v6, v6, s38
	s_mov_b64 s[76:77], 0
	s_mov_b64 s[82:83], 0
	v_sub_u32_e32 v5, v5, v6
	v_cmp_lt_u32_e64 s[26:27], s40, v5
	v_cmp_ge_u32_e64 s[28:29], s40, v5
	s_and_saveexec_b64 s[84:85], s[28:29]
	s_cbranch_execz .LBB564_35
; %bb.34:
	v_add_u32_e32 v5, s42, v34
	v_add_u32_e32 v6, s56, v34
	v_mul_lo_u32 v5, v5, s41
	v_mul_lo_u32 v6, v6, s43
	v_sub_u32_e32 v5, v5, v6
	v_cmp_lt_u32_e64 s[28:29], s57, v5
	s_and_b64 s[82:83], s[28:29], exec
.LBB564_35:
	s_or_b64 exec, exec, s[84:85]
	v_cndmask_b32_e64 v6, 0, 1, s[4:5]
	v_cndmask_b32_e64 v5, 0, 1, vcc
	v_cndmask_b32_e64 v8, 0, 1, s[8:9]
	v_lshlrev_b16_e32 v6, 8, v6
	v_cndmask_b32_e64 v7, 0, 1, s[6:7]
	v_or_b32_e32 v5, v5, v6
	v_lshlrev_b16_e32 v6, 8, v8
	v_cndmask_b32_e64 v10, 0, 1, s[12:13]
	v_cndmask_b32_e64 v12, 0, 1, s[16:17]
	v_or_b32_sdwa v6, v7, v6 dst_sel:WORD_1 dst_unused:UNUSED_PAD src0_sel:DWORD src1_sel:DWORD
	v_cndmask_b32_e64 v9, 0, 1, s[10:11]
	v_cndmask_b32_e64 v11, 0, 1, s[14:15]
	v_or_b32_sdwa v36, v5, v6 dst_sel:DWORD dst_unused:UNUSED_PAD src0_sel:WORD_0 src1_sel:DWORD
	v_lshlrev_b16_e32 v5, 8, v10
	v_lshlrev_b16_e32 v6, 8, v12
	v_cndmask_b32_e64 v26, 0, 1, s[20:21]
	v_cndmask_b32_e64 v29, 0, 1, s[24:25]
	v_or_b32_e32 v5, v9, v5
	v_or_b32_sdwa v6, v11, v6 dst_sel:WORD_1 dst_unused:UNUSED_PAD src0_sel:DWORD src1_sel:DWORD
	v_cndmask_b32_e64 v25, 0, 1, s[18:19]
	v_cndmask_b32_e64 v27, 0, 1, s[22:23]
	v_or_b32_sdwa v38, v5, v6 dst_sel:DWORD dst_unused:UNUSED_PAD src0_sel:WORD_0 src1_sel:DWORD
	v_lshlrev_b16_e32 v5, 8, v26
	v_lshlrev_b16_e32 v6, 8, v29
	v_cndmask_b32_e64 v42, 0, 1, s[60:61]
	v_cndmask_b32_e64 v47, 0, 1, s[46:47]
	v_or_b32_e32 v5, v25, v5
	;; [unrolled: 9-line block ×4, first 2 shown]
	v_or_b32_sdwa v6, v39, v6 dst_sel:WORD_1 dst_unused:UNUSED_PAD src0_sel:DWORD src1_sel:DWORD
	v_cndmask_b32_e64 v30, 0, 1, s[74:75]
	v_cndmask_b32_e64 v32, 0, 1, s[70:71]
	v_or_b32_sdwa v37, v5, v6 dst_sel:DWORD dst_unused:UNUSED_PAD src0_sel:WORD_0 src1_sel:DWORD
	v_lshlrev_b16_e32 v5, 8, v31
	v_lshlrev_b16_e32 v6, 8, v28
	v_or_b32_e32 v5, v32, v5
	v_or_b32_sdwa v6, v30, v6 dst_sel:WORD_1 dst_unused:UNUSED_PAD src0_sel:DWORD src1_sel:DWORD
	v_cndmask_b32_e64 v40, 0, 1, s[78:79]
	v_cndmask_b32_e64 v43, 0, 1, s[82:83]
	v_or_b32_sdwa v39, v5, v6 dst_sel:DWORD dst_unused:UNUSED_PAD src0_sel:WORD_0 src1_sel:DWORD
	s_add_i32 s16, s86, 0xd00
	s_and_b64 vcc, exec, s[76:77]
	s_cbranch_vccnz .LBB564_37
	s_branch .LBB564_114
.LBB564_36:
                                        ; implicit-def: $vgpr43
                                        ; implicit-def: $vgpr40
                                        ; implicit-def: $vgpr39
                                        ; implicit-def: $vgpr37
                                        ; implicit-def: $vgpr42
                                        ; implicit-def: $vgpr41
                                        ; implicit-def: $vgpr38
                                        ; implicit-def: $vgpr36
	s_add_i32 s16, s86, 0xd00
	s_cbranch_execz .LBB564_114
.LBB564_37:
	v_cmp_gt_u32_e32 vcc, s16, v35
	v_mov_b32_e32 v6, 0
	v_mov_b32_e32 v5, 0
	s_and_saveexec_b64 s[6:7], vcc
	s_cbranch_execz .LBB564_41
; %bb.38:
	v_add_u32_e32 v5, s37, v23
	v_add_u32_e32 v6, s39, v23
	v_mul_lo_u32 v5, v5, s36
	v_mul_lo_u32 v6, v6, s38
	s_mov_b64 s[10:11], 0
	v_sub_u32_e32 v5, v5, v6
	v_cmp_lt_u32_e32 vcc, s40, v5
	v_cmp_ge_u32_e64 s[4:5], s40, v5
	s_and_saveexec_b64 s[8:9], s[4:5]
	s_cbranch_execz .LBB564_40
; %bb.39:
	v_add_u32_e32 v5, s42, v23
	v_add_u32_e32 v6, s56, v23
	v_mul_lo_u32 v5, v5, s41
	v_mul_lo_u32 v6, v6, s43
	v_sub_u32_e32 v5, v5, v6
	v_cmp_lt_u32_e64 s[4:5], s57, v5
	s_and_b64 s[10:11], s[4:5], exec
.LBB564_40:
	s_or_b64 exec, exec, s[8:9]
	v_cndmask_b32_e64 v6, 0, 1, s[10:11]
	v_cndmask_b32_e64 v5, 0, 1, vcc
.LBB564_41:
	s_or_b64 exec, exec, s[6:7]
	v_lshlrev_b16_e32 v11, 8, v6
	v_add_u32_e32 v6, 1, v35
	v_cmp_le_u32_e32 vcc, s16, v6
	v_lshlrev_b16_e64 v8, 8, 0
                                        ; implicit-def: $vgpr7
                                        ; implicit-def: $vgpr9
                                        ; implicit-def: $vgpr10
                                        ; implicit-def: $vgpr6
                                        ; implicit-def: $vgpr12
	s_and_saveexec_b64 s[4:5], vcc
	s_xor_b64 s[4:5], exec, s[4:5]
; %bb.42:
	v_mov_b32_e32 v6, 8
	v_lshrrev_b32_sdwa v7, v6, v11 dst_sel:BYTE_1 dst_unused:UNUSED_PAD src0_sel:DWORD src1_sel:DWORD
	v_and_b32_e32 v12, 0xff, v5
	v_or_b32_sdwa v5, v11, v7 dst_sel:DWORD dst_unused:UNUSED_PAD src0_sel:BYTE_0 src1_sel:DWORD
	v_mov_b32_e32 v9, 0
	v_lshlrev_b16_e64 v8, 8, 0
	v_lshlrev_b16_e64 v6, 8, 0
	v_and_b32_e32 v10, 0xffff, v5
	v_lshlrev_b16_e64 v7, 8, 0
                                        ; implicit-def: $vgpr5
                                        ; implicit-def: $vgpr11
; %bb.43:
	s_andn2_saveexec_b64 s[6:7], s[4:5]
	s_cbranch_execz .LBB564_47
; %bb.44:
	v_add_u32_e32 v6, s37, v24
	v_add_u32_e32 v7, s39, v24
	v_mul_lo_u32 v6, v6, s36
	v_mul_lo_u32 v7, v7, s38
	s_mov_b64 s[8:9], 0
	v_sub_u32_e32 v6, v6, v7
	v_cmp_lt_u32_e32 vcc, s40, v6
	v_cmp_ge_u32_e64 s[4:5], s40, v6
	s_and_saveexec_b64 s[10:11], s[4:5]
	s_cbranch_execz .LBB564_46
; %bb.45:
	v_add_u32_e32 v6, s42, v24
	v_add_u32_e32 v7, s56, v24
	v_mul_lo_u32 v6, v6, s41
	v_mul_lo_u32 v7, v7, s43
	v_sub_u32_e32 v6, v6, v7
	v_cmp_lt_u32_e64 s[4:5], s57, v6
	s_and_b64 s[8:9], s[4:5], exec
.LBB564_46:
	s_or_b64 exec, exec, s[10:11]
	v_cndmask_b32_e64 v7, 0, 1, vcc
	v_lshlrev_b16_e32 v7, 8, v7
	v_or_b32_sdwa v5, v5, v7 dst_sel:DWORD dst_unused:UNUSED_PAD src0_sel:BYTE_0 src1_sel:DWORD
	v_and_b32_e32 v12, 0xffff, v5
	v_mov_b32_e32 v5, 8
	v_lshrrev_b32_sdwa v5, v5, v11 dst_sel:BYTE_1 dst_unused:UNUSED_PAD src0_sel:DWORD src1_sel:DWORD
	v_or_b32_sdwa v5, v11, v5 dst_sel:DWORD dst_unused:UNUSED_PAD src0_sel:BYTE_0 src1_sel:DWORD
	v_and_b32_e32 v5, 0xffff, v5
	v_cndmask_b32_e64 v7, 0, 1, s[8:9]
	v_mov_b32_e32 v6, 0
	v_mov_b32_e32 v9, 0
	v_lshl_or_b32 v10, v7, 16, v5
	v_lshlrev_b16_e64 v7, 8, 0
.LBB564_47:
	s_or_b64 exec, exec, s[6:7]
	v_add_u32_e32 v5, 2, v35
	v_cmp_le_u32_e32 vcc, s16, v5
	v_lshrrev_b32_e32 v25, 24, v12
                                        ; implicit-def: $vgpr5
                                        ; implicit-def: $vgpr11
	s_and_saveexec_b64 s[4:5], vcc
	s_xor_b64 s[4:5], exec, s[4:5]
	s_cbranch_execz .LBB564_49
; %bb.48:
	s_mov_b32 s6, 0x40c0100
	v_perm_b32 v11, v25, v12, s6
	v_mov_b32_e32 v12, 8
	v_lshrrev_b32_sdwa v12, v12, v11 dst_sel:BYTE_1 dst_unused:UNUSED_PAD src0_sel:DWORD src1_sel:DWORD
	v_or_b32_sdwa v12, v11, v12 dst_sel:DWORD dst_unused:UNUSED_PAD src0_sel:BYTE_0 src1_sel:DWORD
	v_and_b32_e32 v12, 0xffff, v12
	s_mov_b32 s6, 0xff000000
	v_and_or_b32 v11, v11, s6, v12
	s_mov_b32 s6, 0x3060504
	v_and_b32_e32 v5, 0xff0000, v10
	v_perm_b32 v8, v8, v8, s6
	s_mov_b32 s6, 0x3020504
	v_perm_b32 v5, v10, v5, s6
                                        ; implicit-def: $vgpr12
                                        ; implicit-def: $vgpr25
                                        ; implicit-def: $vgpr10
.LBB564_49:
	s_andn2_saveexec_b64 s[6:7], s[4:5]
	s_cbranch_execz .LBB564_53
; %bb.50:
	v_add_u32_e32 v5, s37, v21
	v_add_u32_e32 v11, s39, v21
	v_mul_lo_u32 v5, v5, s36
	v_mul_lo_u32 v11, v11, s38
	s_mov_b64 s[8:9], 0
	v_sub_u32_e32 v5, v5, v11
	v_cmp_lt_u32_e32 vcc, s40, v5
	v_cmp_ge_u32_e64 s[4:5], s40, v5
	s_and_saveexec_b64 s[10:11], s[4:5]
	s_cbranch_execz .LBB564_52
; %bb.51:
	v_add_u32_e32 v5, s42, v21
	v_add_u32_e32 v11, s56, v21
	v_mul_lo_u32 v5, v5, s41
	v_mul_lo_u32 v11, v11, s43
	v_sub_u32_e32 v5, v5, v11
	v_cmp_lt_u32_e64 s[4:5], s57, v5
	s_and_b64 s[8:9], s[4:5], exec
.LBB564_52:
	s_or_b64 exec, exec, s[10:11]
	v_mov_b32_e32 v27, 8
	v_lshrrev_b32_sdwa v11, v27, v12 dst_sel:BYTE_1 dst_unused:UNUSED_PAD src0_sel:DWORD src1_sel:DWORD
	v_cndmask_b32_e64 v5, 0, 1, vcc
	v_or_b32_sdwa v11, v12, v11 dst_sel:DWORD dst_unused:UNUSED_PAD src0_sel:BYTE_0 src1_sel:DWORD
	v_lshlrev_b16_e32 v12, 8, v25
	v_or_b32_sdwa v5, v5, v12 dst_sel:WORD_1 dst_unused:UNUSED_PAD src0_sel:DWORD src1_sel:DWORD
	v_cndmask_b32_e64 v26, 0, 1, s[8:9]
	s_movk_i32 s4, 0xff
	v_or_b32_sdwa v11, v11, v5 dst_sel:DWORD dst_unused:UNUSED_PAD src0_sel:WORD_0 src1_sel:DWORD
	v_lshrrev_b32_sdwa v5, v27, v10 dst_sel:BYTE_1 dst_unused:UNUSED_PAD src0_sel:DWORD src1_sel:DWORD
	v_or_b32_sdwa v5, v10, v5 dst_sel:DWORD dst_unused:UNUSED_PAD src0_sel:BYTE_0 src1_sel:DWORD
	v_lshlrev_b16_e32 v12, 8, v26
	v_and_b32_sdwa v10, v10, s4 dst_sel:DWORD dst_unused:UNUSED_PAD src0_sel:WORD_1 src1_sel:DWORD
	v_or_b32_sdwa v10, v10, v12 dst_sel:WORD_1 dst_unused:UNUSED_PAD src0_sel:DWORD src1_sel:DWORD
	v_or_b32_sdwa v5, v5, v10 dst_sel:DWORD dst_unused:UNUSED_PAD src0_sel:WORD_0 src1_sel:DWORD
.LBB564_53:
	s_or_b64 exec, exec, s[6:7]
	v_add_u32_e32 v10, 3, v35
	v_cmp_le_u32_e32 vcc, s16, v10
	v_lshrrev_b32_e32 v12, 24, v9
                                        ; implicit-def: $vgpr10
                                        ; implicit-def: $vgpr36
	s_and_saveexec_b64 s[4:5], vcc
	s_xor_b64 s[4:5], exec, s[4:5]
	s_cbranch_execz .LBB564_55
; %bb.54:
	v_and_b32_e32 v10, 0xff0000, v11
	s_mov_b32 s6, 0x3020504
	s_movk_i32 s7, 0xff
	v_perm_b32 v36, v11, v10, s6
	v_lshlrev_b16_e32 v10, 8, v12
	v_and_b32_sdwa v11, v9, s7 dst_sel:DWORD dst_unused:UNUSED_PAD src0_sel:WORD_1 src1_sel:DWORD
	s_mov_b32 s6, 0x3060504
	v_or_b32_sdwa v10, v11, v10 dst_sel:WORD_1 dst_unused:UNUSED_PAD src0_sel:DWORD src1_sel:DWORD
	v_mov_b32_e32 v11, 8
	v_perm_b32 v8, v8, v8, s6
	v_lshrrev_b32_sdwa v10, v11, v9 dst_sel:BYTE_1 dst_unused:UNUSED_PRESERVE src0_sel:DWORD src1_sel:DWORD
	v_perm_b32 v7, v7, v7, s6
                                        ; implicit-def: $vgpr11
                                        ; implicit-def: $vgpr12
                                        ; implicit-def: $vgpr9
.LBB564_55:
	s_andn2_saveexec_b64 s[6:7], s[4:5]
	s_cbranch_execz .LBB564_59
; %bb.56:
	v_add_u32_e32 v10, s37, v22
	v_add_u32_e32 v25, s39, v22
	v_mul_lo_u32 v10, v10, s36
	v_mul_lo_u32 v25, v25, s38
	s_mov_b64 s[8:9], 0
	v_sub_u32_e32 v10, v10, v25
	v_cmp_lt_u32_e32 vcc, s40, v10
	v_cmp_ge_u32_e64 s[4:5], s40, v10
	s_and_saveexec_b64 s[10:11], s[4:5]
	s_cbranch_execz .LBB564_58
; %bb.57:
	v_add_u32_e32 v10, s42, v22
	v_add_u32_e32 v25, s56, v22
	v_mul_lo_u32 v10, v10, s41
	v_mul_lo_u32 v25, v25, s43
	v_sub_u32_e32 v10, v10, v25
	v_cmp_lt_u32_e64 s[4:5], s57, v10
	s_and_b64 s[8:9], s[4:5], exec
.LBB564_58:
	s_or_b64 exec, exec, s[10:11]
	v_mov_b32_e32 v26, 8
	v_cndmask_b32_e64 v10, 0, 1, vcc
	s_movk_i32 s4, 0xff
	v_lshrrev_b32_sdwa v27, v26, v11 dst_sel:BYTE_1 dst_unused:UNUSED_PAD src0_sel:DWORD src1_sel:DWORD
	v_or_b32_sdwa v27, v11, v27 dst_sel:DWORD dst_unused:UNUSED_PAD src0_sel:BYTE_0 src1_sel:DWORD
	v_lshlrev_b16_e32 v10, 8, v10
	v_and_b32_sdwa v11, v11, s4 dst_sel:DWORD dst_unused:UNUSED_PAD src0_sel:WORD_1 src1_sel:DWORD
	v_or_b32_sdwa v10, v11, v10 dst_sel:WORD_1 dst_unused:UNUSED_PAD src0_sel:DWORD src1_sel:DWORD
	v_cndmask_b32_e64 v25, 0, 1, s[8:9]
	v_or_b32_sdwa v36, v27, v10 dst_sel:DWORD dst_unused:UNUSED_PAD src0_sel:WORD_0 src1_sel:DWORD
	v_lshlrev_b16_e32 v10, 8, v12
	v_and_b32_sdwa v11, v9, s4 dst_sel:DWORD dst_unused:UNUSED_PAD src0_sel:WORD_1 src1_sel:DWORD
	v_lshrrev_b32_sdwa v9, v26, v9 dst_sel:BYTE_1 dst_unused:UNUSED_PAD src0_sel:DWORD src1_sel:DWORD
	v_or_b32_sdwa v10, v11, v10 dst_sel:WORD_1 dst_unused:UNUSED_PAD src0_sel:DWORD src1_sel:DWORD
	v_or_b32_e32 v9, v25, v9
	v_or_b32_sdwa v10, v9, v10 dst_sel:DWORD dst_unused:UNUSED_PAD src0_sel:WORD_0 src1_sel:DWORD
.LBB564_59:
	s_or_b64 exec, exec, s[6:7]
	v_add_u32_e32 v9, 4, v35
	v_cmp_le_u32_e32 vcc, s16, v9
	v_lshrrev_b32_e32 v25, 24, v8
	v_lshrrev_b32_e32 v12, 24, v10
                                        ; implicit-def: $vgpr11
                                        ; implicit-def: $vgpr9
	s_and_saveexec_b64 s[4:5], vcc
	s_xor_b64 s[4:5], exec, s[4:5]
	s_cbranch_execz .LBB564_61
; %bb.60:
	s_movk_i32 s6, 0xff
	v_lshlrev_b16_e32 v9, 8, v25
	v_and_b32_sdwa v25, v8, s6 dst_sel:DWORD dst_unused:UNUSED_PAD src0_sel:WORD_1 src1_sel:DWORD
	v_mov_b32_e32 v11, 8
	v_or_b32_sdwa v9, v25, v9 dst_sel:WORD_1 dst_unused:UNUSED_PAD src0_sel:DWORD src1_sel:DWORD
	v_lshrrev_b32_sdwa v9, v11, v8 dst_sel:BYTE_1 dst_unused:UNUSED_PRESERVE src0_sel:DWORD src1_sel:DWORD
	v_lshlrev_b16_e32 v8, 8, v12
	v_and_b32_sdwa v11, v10, s6 dst_sel:DWORD dst_unused:UNUSED_PAD src0_sel:WORD_1 src1_sel:DWORD
	v_or_b32_e32 v8, v11, v8
	s_mov_b32 s6, 0x5040c00
	v_perm_b32 v11, v8, v10, s6
	s_mov_b32 s6, 0x3060504
	v_perm_b32 v7, v7, v7, s6
                                        ; implicit-def: $vgpr25
                                        ; implicit-def: $vgpr8
                                        ; implicit-def: $vgpr10
                                        ; implicit-def: $vgpr12
.LBB564_61:
	s_andn2_saveexec_b64 s[6:7], s[4:5]
	s_cbranch_execz .LBB564_65
; %bb.62:
	v_add_u32_e32 v9, s37, v19
	v_add_u32_e32 v11, s39, v19
	v_mul_lo_u32 v9, v9, s36
	v_mul_lo_u32 v11, v11, s38
	s_mov_b64 s[8:9], 0
	v_sub_u32_e32 v9, v9, v11
	v_cmp_lt_u32_e32 vcc, s40, v9
	v_cmp_ge_u32_e64 s[4:5], s40, v9
	s_and_saveexec_b64 s[10:11], s[4:5]
	s_cbranch_execz .LBB564_64
; %bb.63:
	v_add_u32_e32 v9, s42, v19
	v_add_u32_e32 v11, s56, v19
	v_mul_lo_u32 v9, v9, s41
	v_mul_lo_u32 v11, v11, s43
	v_sub_u32_e32 v9, v9, v11
	v_cmp_lt_u32_e64 s[4:5], s57, v9
	s_and_b64 s[8:9], s[4:5], exec
.LBB564_64:
	s_or_b64 exec, exec, s[10:11]
	s_movk_i32 s4, 0xff
	v_lshlrev_b16_e32 v25, 8, v25
	v_and_b32_sdwa v26, v8, s4 dst_sel:DWORD dst_unused:UNUSED_PAD src0_sel:WORD_1 src1_sel:DWORD
	v_or_b32_sdwa v25, v26, v25 dst_sel:WORD_1 dst_unused:UNUSED_PAD src0_sel:DWORD src1_sel:DWORD
	v_mov_b32_e32 v26, 8
	v_cndmask_b32_e64 v9, 0, 1, vcc
	v_lshrrev_b32_sdwa v8, v26, v8 dst_sel:BYTE_1 dst_unused:UNUSED_PAD src0_sel:DWORD src1_sel:DWORD
	v_cndmask_b32_e64 v11, 0, 1, s[8:9]
	v_or_b32_e32 v8, v9, v8
	v_or_b32_sdwa v9, v8, v25 dst_sel:DWORD dst_unused:UNUSED_PAD src0_sel:WORD_0 src1_sel:DWORD
	v_lshlrev_b16_e32 v8, 8, v11
	v_or_b32_sdwa v8, v10, v8 dst_sel:DWORD dst_unused:UNUSED_PAD src0_sel:BYTE_0 src1_sel:DWORD
	v_lshlrev_b16_e32 v11, 8, v12
	v_and_b32_sdwa v10, v10, s4 dst_sel:DWORD dst_unused:UNUSED_PAD src0_sel:WORD_1 src1_sel:DWORD
	v_or_b32_sdwa v10, v10, v11 dst_sel:WORD_1 dst_unused:UNUSED_PAD src0_sel:DWORD src1_sel:DWORD
	v_or_b32_sdwa v11, v8, v10 dst_sel:DWORD dst_unused:UNUSED_PAD src0_sel:WORD_0 src1_sel:DWORD
.LBB564_65:
	s_or_b64 exec, exec, s[6:7]
	v_add_u32_e32 v8, 5, v35
	v_cmp_le_u32_e32 vcc, s16, v8
	v_lshrrev_b32_e32 v12, 24, v11
	v_lshrrev_b32_e32 v25, 24, v9
                                        ; implicit-def: $vgpr8
                                        ; implicit-def: $vgpr10
	s_and_saveexec_b64 s[4:5], vcc
	s_xor_b64 s[4:5], exec, s[4:5]
	s_cbranch_execz .LBB564_67
; %bb.66:
	s_mov_b32 s6, 0x40c0100
	v_perm_b32 v8, v12, v11, s6
	s_movk_i32 s6, 0xff
	v_lshlrev_b16_e32 v10, 8, v25
	v_and_b32_sdwa v11, v9, s6 dst_sel:DWORD dst_unused:UNUSED_PAD src0_sel:WORD_1 src1_sel:DWORD
	v_or_b32_e32 v10, v11, v10
	s_mov_b32 s6, 0x5040c00
	v_perm_b32 v10, v10, v9, s6
	v_mov_b32_e32 v9, 8
	v_lshrrev_b32_sdwa v9, v9, v8 dst_sel:BYTE_1 dst_unused:UNUSED_PAD src0_sel:DWORD src1_sel:DWORD
	v_or_b32_sdwa v9, v8, v9 dst_sel:DWORD dst_unused:UNUSED_PAD src0_sel:BYTE_0 src1_sel:DWORD
	v_and_b32_e32 v9, 0xffff, v9
	s_mov_b32 s6, 0xff000000
	v_and_or_b32 v8, v8, s6, v9
	s_mov_b32 s6, 0x3060504
	v_perm_b32 v7, v7, v7, s6
                                        ; implicit-def: $vgpr9
                                        ; implicit-def: $vgpr25
                                        ; implicit-def: $vgpr11
                                        ; implicit-def: $vgpr12
.LBB564_67:
	s_andn2_saveexec_b64 s[6:7], s[4:5]
	s_cbranch_execz .LBB564_71
; %bb.68:
	v_add_u32_e32 v8, s37, v20
	v_add_u32_e32 v10, s39, v20
	v_mul_lo_u32 v8, v8, s36
	v_mul_lo_u32 v10, v10, s38
	s_mov_b64 s[8:9], 0
	v_sub_u32_e32 v8, v8, v10
	v_cmp_lt_u32_e32 vcc, s40, v8
	v_cmp_ge_u32_e64 s[4:5], s40, v8
	s_and_saveexec_b64 s[10:11], s[4:5]
	s_cbranch_execz .LBB564_70
; %bb.69:
	v_add_u32_e32 v8, s42, v20
	v_add_u32_e32 v10, s56, v20
	v_mul_lo_u32 v8, v8, s41
	v_mul_lo_u32 v10, v10, s43
	v_sub_u32_e32 v8, v8, v10
	v_cmp_lt_u32_e64 s[4:5], s57, v8
	s_and_b64 s[8:9], s[4:5], exec
.LBB564_70:
	s_or_b64 exec, exec, s[10:11]
	v_cndmask_b32_e64 v8, 0, 1, vcc
	v_lshlrev_b16_e32 v8, 8, v8
	s_movk_i32 s4, 0xff
	v_or_b32_sdwa v8, v9, v8 dst_sel:DWORD dst_unused:UNUSED_PAD src0_sel:BYTE_0 src1_sel:DWORD
	v_lshlrev_b16_e32 v10, 8, v25
	v_and_b32_sdwa v9, v9, s4 dst_sel:DWORD dst_unused:UNUSED_PAD src0_sel:WORD_1 src1_sel:DWORD
	v_or_b32_sdwa v9, v9, v10 dst_sel:WORD_1 dst_unused:UNUSED_PAD src0_sel:DWORD src1_sel:DWORD
	v_or_b32_sdwa v10, v8, v9 dst_sel:DWORD dst_unused:UNUSED_PAD src0_sel:WORD_0 src1_sel:DWORD
	v_mov_b32_e32 v8, 8
	v_cndmask_b32_e64 v26, 0, 1, s[8:9]
	v_lshrrev_b32_sdwa v8, v8, v11 dst_sel:BYTE_1 dst_unused:UNUSED_PAD src0_sel:DWORD src1_sel:DWORD
	v_lshlrev_b16_e32 v9, 8, v12
	v_or_b32_sdwa v8, v11, v8 dst_sel:DWORD dst_unused:UNUSED_PAD src0_sel:BYTE_0 src1_sel:DWORD
	v_or_b32_sdwa v9, v26, v9 dst_sel:WORD_1 dst_unused:UNUSED_PAD src0_sel:DWORD src1_sel:DWORD
	v_or_b32_sdwa v8, v8, v9 dst_sel:DWORD dst_unused:UNUSED_PAD src0_sel:WORD_0 src1_sel:DWORD
.LBB564_71:
	s_or_b64 exec, exec, s[6:7]
	v_add_u32_e32 v9, 6, v35
	v_cmp_le_u32_e32 vcc, s16, v9
	v_lshrrev_b32_e32 v11, 24, v10
                                        ; implicit-def: $vgpr37
                                        ; implicit-def: $vgpr9
	s_and_saveexec_b64 s[4:5], vcc
	s_xor_b64 s[4:5], exec, s[4:5]
	s_cbranch_execz .LBB564_73
; %bb.72:
	s_mov_b32 s6, 0x40c0100
	v_perm_b32 v9, v11, v10, s6
	v_mov_b32_e32 v10, 8
	v_lshrrev_b32_sdwa v10, v10, v9 dst_sel:BYTE_1 dst_unused:UNUSED_PAD src0_sel:DWORD src1_sel:DWORD
	v_or_b32_sdwa v10, v9, v10 dst_sel:DWORD dst_unused:UNUSED_PAD src0_sel:BYTE_0 src1_sel:DWORD
	v_and_b32_e32 v10, 0xffff, v10
	s_mov_b32 s6, 0xff000000
	v_and_b32_e32 v12, 0xff0000, v8
	v_and_or_b32 v9, v9, s6, v10
	s_mov_b32 s6, 0x3020504
	v_perm_b32 v37, v8, v12, s6
	s_mov_b32 s6, 0x3060504
	v_perm_b32 v7, v7, v7, s6
                                        ; implicit-def: $vgpr10
                                        ; implicit-def: $vgpr11
                                        ; implicit-def: $vgpr8
.LBB564_73:
	s_andn2_saveexec_b64 s[6:7], s[4:5]
	s_cbranch_execz .LBB564_77
; %bb.74:
	v_add_u32_e32 v9, s37, v17
	v_add_u32_e32 v12, s39, v17
	v_mul_lo_u32 v9, v9, s36
	v_mul_lo_u32 v12, v12, s38
	s_mov_b64 s[8:9], 0
	v_sub_u32_e32 v9, v9, v12
	v_cmp_lt_u32_e32 vcc, s40, v9
	v_cmp_ge_u32_e64 s[4:5], s40, v9
	s_and_saveexec_b64 s[10:11], s[4:5]
	s_cbranch_execz .LBB564_76
; %bb.75:
	v_add_u32_e32 v9, s42, v17
	v_add_u32_e32 v12, s56, v17
	v_mul_lo_u32 v9, v9, s41
	v_mul_lo_u32 v12, v12, s43
	v_sub_u32_e32 v9, v9, v12
	v_cmp_lt_u32_e64 s[4:5], s57, v9
	s_and_b64 s[8:9], s[4:5], exec
.LBB564_76:
	s_or_b64 exec, exec, s[10:11]
	v_mov_b32_e32 v25, 8
	v_cndmask_b32_e64 v9, 0, 1, vcc
	v_lshrrev_b32_sdwa v26, v25, v10 dst_sel:BYTE_1 dst_unused:UNUSED_PAD src0_sel:DWORD src1_sel:DWORD
	v_lshlrev_b16_e32 v11, 8, v11
	v_or_b32_sdwa v10, v10, v26 dst_sel:DWORD dst_unused:UNUSED_PAD src0_sel:BYTE_0 src1_sel:DWORD
	v_or_b32_sdwa v9, v9, v11 dst_sel:WORD_1 dst_unused:UNUSED_PAD src0_sel:DWORD src1_sel:DWORD
	v_cndmask_b32_e64 v12, 0, 1, s[8:9]
	s_movk_i32 s4, 0xff
	v_or_b32_sdwa v9, v10, v9 dst_sel:DWORD dst_unused:UNUSED_PAD src0_sel:WORD_0 src1_sel:DWORD
	v_lshrrev_b32_sdwa v10, v25, v8 dst_sel:BYTE_1 dst_unused:UNUSED_PAD src0_sel:DWORD src1_sel:DWORD
	v_or_b32_sdwa v10, v8, v10 dst_sel:DWORD dst_unused:UNUSED_PAD src0_sel:BYTE_0 src1_sel:DWORD
	v_lshlrev_b16_e32 v11, 8, v12
	v_and_b32_sdwa v8, v8, s4 dst_sel:DWORD dst_unused:UNUSED_PAD src0_sel:WORD_1 src1_sel:DWORD
	v_or_b32_sdwa v8, v8, v11 dst_sel:WORD_1 dst_unused:UNUSED_PAD src0_sel:DWORD src1_sel:DWORD
	v_or_b32_sdwa v37, v10, v8 dst_sel:DWORD dst_unused:UNUSED_PAD src0_sel:WORD_0 src1_sel:DWORD
.LBB564_77:
	s_or_b64 exec, exec, s[6:7]
	v_add_u32_e32 v8, 7, v35
	v_cmp_le_u32_e32 vcc, s16, v8
	v_lshrrev_b32_e32 v10, 24, v7
                                        ; implicit-def: $vgpr8
                                        ; implicit-def: $vgpr38
	s_and_saveexec_b64 s[4:5], vcc
	s_xor_b64 s[4:5], exec, s[4:5]
; %bb.78:
	v_and_b32_e32 v8, 0xff0000, v9
	s_mov_b32 s6, 0x3020504
	v_perm_b32 v38, v9, v8, s6
	s_movk_i32 s6, 0xff
	v_lshlrev_b16_e32 v8, 8, v10
	v_and_b32_sdwa v9, v7, s6 dst_sel:DWORD dst_unused:UNUSED_PAD src0_sel:WORD_1 src1_sel:DWORD
	v_mov_b32_e32 v11, 8
	v_or_b32_sdwa v8, v9, v8 dst_sel:WORD_1 dst_unused:UNUSED_PAD src0_sel:DWORD src1_sel:DWORD
	v_lshrrev_b32_sdwa v8, v11, v7 dst_sel:BYTE_1 dst_unused:UNUSED_PRESERVE src0_sel:DWORD src1_sel:DWORD
                                        ; implicit-def: $vgpr9
                                        ; implicit-def: $vgpr10
                                        ; implicit-def: $vgpr7
; %bb.79:
	s_andn2_saveexec_b64 s[6:7], s[4:5]
	s_cbranch_execz .LBB564_83
; %bb.80:
	v_add_u32_e32 v8, s37, v18
	v_add_u32_e32 v11, s39, v18
	v_mul_lo_u32 v8, v8, s36
	v_mul_lo_u32 v11, v11, s38
	s_mov_b64 s[8:9], 0
	v_sub_u32_e32 v8, v8, v11
	v_cmp_lt_u32_e32 vcc, s40, v8
	v_cmp_ge_u32_e64 s[4:5], s40, v8
	s_and_saveexec_b64 s[10:11], s[4:5]
	s_cbranch_execz .LBB564_82
; %bb.81:
	v_add_u32_e32 v8, s42, v18
	v_add_u32_e32 v11, s56, v18
	v_mul_lo_u32 v8, v8, s41
	v_mul_lo_u32 v11, v11, s43
	v_sub_u32_e32 v8, v8, v11
	v_cmp_lt_u32_e64 s[4:5], s57, v8
	s_and_b64 s[8:9], s[4:5], exec
.LBB564_82:
	s_or_b64 exec, exec, s[10:11]
	v_mov_b32_e32 v12, 8
	v_cndmask_b32_e64 v8, 0, 1, vcc
	s_movk_i32 s4, 0xff
	v_lshrrev_b32_sdwa v25, v12, v9 dst_sel:BYTE_1 dst_unused:UNUSED_PAD src0_sel:DWORD src1_sel:DWORD
	v_or_b32_sdwa v25, v9, v25 dst_sel:DWORD dst_unused:UNUSED_PAD src0_sel:BYTE_0 src1_sel:DWORD
	v_lshlrev_b16_e32 v8, 8, v8
	v_and_b32_sdwa v9, v9, s4 dst_sel:DWORD dst_unused:UNUSED_PAD src0_sel:WORD_1 src1_sel:DWORD
	v_or_b32_sdwa v8, v9, v8 dst_sel:WORD_1 dst_unused:UNUSED_PAD src0_sel:DWORD src1_sel:DWORD
	v_cndmask_b32_e64 v11, 0, 1, s[8:9]
	v_or_b32_sdwa v38, v25, v8 dst_sel:DWORD dst_unused:UNUSED_PAD src0_sel:WORD_0 src1_sel:DWORD
	v_lshlrev_b16_e32 v8, 8, v10
	v_and_b32_sdwa v9, v7, s4 dst_sel:DWORD dst_unused:UNUSED_PAD src0_sel:WORD_1 src1_sel:DWORD
	v_lshrrev_b32_sdwa v7, v12, v7 dst_sel:BYTE_1 dst_unused:UNUSED_PAD src0_sel:DWORD src1_sel:DWORD
	v_or_b32_sdwa v8, v9, v8 dst_sel:WORD_1 dst_unused:UNUSED_PAD src0_sel:DWORD src1_sel:DWORD
	v_or_b32_e32 v7, v11, v7
	v_or_b32_sdwa v8, v7, v8 dst_sel:DWORD dst_unused:UNUSED_PAD src0_sel:WORD_0 src1_sel:DWORD
.LBB564_83:
	s_or_b64 exec, exec, s[6:7]
	v_add_u32_e32 v7, 8, v35
	v_cmp_le_u32_e32 vcc, s16, v7
	v_lshrrev_b32_e32 v10, 24, v8
	v_lshrrev_b32_e32 v11, 24, v6
                                        ; implicit-def: $vgpr9
                                        ; implicit-def: $vgpr7
	s_and_saveexec_b64 s[4:5], vcc
	s_xor_b64 s[4:5], exec, s[4:5]
	s_cbranch_execz .LBB564_85
; %bb.84:
	s_movk_i32 s6, 0xff
	v_lshlrev_b16_e32 v7, 8, v11
	v_and_b32_sdwa v9, v6, s6 dst_sel:DWORD dst_unused:UNUSED_PAD src0_sel:WORD_1 src1_sel:DWORD
	v_or_b32_sdwa v7, v9, v7 dst_sel:WORD_1 dst_unused:UNUSED_PAD src0_sel:DWORD src1_sel:DWORD
	v_mov_b32_e32 v9, 8
	v_lshrrev_b32_sdwa v7, v9, v6 dst_sel:BYTE_1 dst_unused:UNUSED_PRESERVE src0_sel:DWORD src1_sel:DWORD
	v_lshlrev_b16_e32 v6, 8, v10
	v_and_b32_sdwa v9, v8, s6 dst_sel:DWORD dst_unused:UNUSED_PAD src0_sel:WORD_1 src1_sel:DWORD
	s_mov_b32 s7, 0x3060504
	v_or_b32_e32 v6, v9, v6
	s_mov_b32 s6, 0x5040c00
	v_perm_b32 v5, v5, v5, s7
	v_perm_b32 v9, v6, v8, s6
                                        ; implicit-def: $vgpr11
                                        ; implicit-def: $vgpr6
                                        ; implicit-def: $vgpr8
                                        ; implicit-def: $vgpr10
.LBB564_85:
	s_andn2_saveexec_b64 s[6:7], s[4:5]
	s_cbranch_execz .LBB564_89
; %bb.86:
	v_add_u32_e32 v7, s37, v15
	v_add_u32_e32 v9, s39, v15
	v_mul_lo_u32 v7, v7, s36
	v_mul_lo_u32 v9, v9, s38
	s_mov_b64 s[8:9], 0
	v_sub_u32_e32 v7, v7, v9
	v_cmp_lt_u32_e32 vcc, s40, v7
	v_cmp_ge_u32_e64 s[4:5], s40, v7
	s_and_saveexec_b64 s[10:11], s[4:5]
	s_cbranch_execz .LBB564_88
; %bb.87:
	v_add_u32_e32 v7, s42, v15
	v_add_u32_e32 v9, s56, v15
	v_mul_lo_u32 v7, v7, s41
	v_mul_lo_u32 v9, v9, s43
	v_sub_u32_e32 v7, v7, v9
	v_cmp_lt_u32_e64 s[4:5], s57, v7
	s_and_b64 s[8:9], s[4:5], exec
.LBB564_88:
	s_or_b64 exec, exec, s[10:11]
	s_movk_i32 s4, 0xff
	v_lshlrev_b16_e32 v11, 8, v11
	v_and_b32_sdwa v12, v6, s4 dst_sel:DWORD dst_unused:UNUSED_PAD src0_sel:WORD_1 src1_sel:DWORD
	v_or_b32_sdwa v11, v12, v11 dst_sel:WORD_1 dst_unused:UNUSED_PAD src0_sel:DWORD src1_sel:DWORD
	v_mov_b32_e32 v12, 8
	v_cndmask_b32_e64 v7, 0, 1, vcc
	v_lshrrev_b32_sdwa v6, v12, v6 dst_sel:BYTE_1 dst_unused:UNUSED_PAD src0_sel:DWORD src1_sel:DWORD
	v_cndmask_b32_e64 v9, 0, 1, s[8:9]
	v_or_b32_e32 v6, v7, v6
	v_or_b32_sdwa v7, v6, v11 dst_sel:DWORD dst_unused:UNUSED_PAD src0_sel:WORD_0 src1_sel:DWORD
	v_lshlrev_b16_e32 v6, 8, v9
	v_or_b32_sdwa v6, v8, v6 dst_sel:DWORD dst_unused:UNUSED_PAD src0_sel:BYTE_0 src1_sel:DWORD
	v_lshlrev_b16_e32 v9, 8, v10
	v_and_b32_sdwa v8, v8, s4 dst_sel:DWORD dst_unused:UNUSED_PAD src0_sel:WORD_1 src1_sel:DWORD
	v_or_b32_sdwa v8, v8, v9 dst_sel:WORD_1 dst_unused:UNUSED_PAD src0_sel:DWORD src1_sel:DWORD
	v_or_b32_sdwa v9, v6, v8 dst_sel:DWORD dst_unused:UNUSED_PAD src0_sel:WORD_0 src1_sel:DWORD
.LBB564_89:
	s_or_b64 exec, exec, s[6:7]
	v_add_u32_e32 v6, 9, v35
	v_cmp_le_u32_e32 vcc, s16, v6
	v_lshrrev_b32_e32 v10, 24, v9
	v_lshrrev_b32_e32 v11, 24, v7
                                        ; implicit-def: $vgpr6
                                        ; implicit-def: $vgpr8
	s_and_saveexec_b64 s[4:5], vcc
	s_xor_b64 s[4:5], exec, s[4:5]
	s_cbranch_execz .LBB564_91
; %bb.90:
	s_mov_b32 s6, 0x40c0100
	v_perm_b32 v6, v10, v9, s6
	v_mov_b32_e32 v8, 8
	s_movk_i32 s6, 0xff
	v_lshrrev_b32_sdwa v9, v8, v6 dst_sel:BYTE_1 dst_unused:UNUSED_PAD src0_sel:DWORD src1_sel:DWORD
	v_lshlrev_b16_e32 v8, 8, v11
	v_and_b32_sdwa v10, v7, s6 dst_sel:DWORD dst_unused:UNUSED_PAD src0_sel:WORD_1 src1_sel:DWORD
	v_or_b32_e32 v8, v10, v8
	s_mov_b32 s6, 0x5040c00
	v_perm_b32 v8, v8, v7, s6
	s_mov_b32 s6, 0x3060504
	v_or_b32_sdwa v7, v6, v9 dst_sel:DWORD dst_unused:UNUSED_PAD src0_sel:BYTE_0 src1_sel:DWORD
	v_perm_b32 v5, v5, v5, s6
	v_and_b32_e32 v7, 0xffff, v7
	s_mov_b32 s6, 0xff000000
	v_and_or_b32 v6, v6, s6, v7
                                        ; implicit-def: $vgpr7
                                        ; implicit-def: $vgpr11
                                        ; implicit-def: $vgpr9
                                        ; implicit-def: $vgpr10
.LBB564_91:
	s_andn2_saveexec_b64 s[6:7], s[4:5]
	s_cbranch_execz .LBB564_95
; %bb.92:
	v_add_u32_e32 v6, s37, v16
	v_add_u32_e32 v8, s39, v16
	v_mul_lo_u32 v6, v6, s36
	v_mul_lo_u32 v8, v8, s38
	s_mov_b64 s[8:9], 0
	v_sub_u32_e32 v6, v6, v8
	v_cmp_lt_u32_e32 vcc, s40, v6
	v_cmp_ge_u32_e64 s[4:5], s40, v6
	s_and_saveexec_b64 s[10:11], s[4:5]
	s_cbranch_execz .LBB564_94
; %bb.93:
	v_add_u32_e32 v6, s42, v16
	v_add_u32_e32 v8, s56, v16
	v_mul_lo_u32 v6, v6, s41
	v_mul_lo_u32 v8, v8, s43
	v_sub_u32_e32 v6, v6, v8
	v_cmp_lt_u32_e64 s[4:5], s57, v6
	s_and_b64 s[8:9], s[4:5], exec
.LBB564_94:
	s_or_b64 exec, exec, s[10:11]
	v_cndmask_b32_e64 v6, 0, 1, vcc
	v_lshlrev_b16_e32 v6, 8, v6
	s_movk_i32 s4, 0xff
	v_or_b32_sdwa v6, v7, v6 dst_sel:DWORD dst_unused:UNUSED_PAD src0_sel:BYTE_0 src1_sel:DWORD
	v_lshlrev_b16_e32 v8, 8, v11
	v_and_b32_sdwa v7, v7, s4 dst_sel:DWORD dst_unused:UNUSED_PAD src0_sel:WORD_1 src1_sel:DWORD
	v_or_b32_sdwa v7, v7, v8 dst_sel:WORD_1 dst_unused:UNUSED_PAD src0_sel:DWORD src1_sel:DWORD
	v_or_b32_sdwa v8, v6, v7 dst_sel:DWORD dst_unused:UNUSED_PAD src0_sel:WORD_0 src1_sel:DWORD
	v_mov_b32_e32 v6, 8
	v_cndmask_b32_e64 v12, 0, 1, s[8:9]
	v_lshrrev_b32_sdwa v6, v6, v9 dst_sel:BYTE_1 dst_unused:UNUSED_PAD src0_sel:DWORD src1_sel:DWORD
	v_lshlrev_b16_e32 v7, 8, v10
	v_or_b32_sdwa v6, v9, v6 dst_sel:DWORD dst_unused:UNUSED_PAD src0_sel:BYTE_0 src1_sel:DWORD
	v_or_b32_sdwa v7, v12, v7 dst_sel:WORD_1 dst_unused:UNUSED_PAD src0_sel:DWORD src1_sel:DWORD
	v_or_b32_sdwa v6, v6, v7 dst_sel:DWORD dst_unused:UNUSED_PAD src0_sel:WORD_0 src1_sel:DWORD
.LBB564_95:
	s_or_b64 exec, exec, s[6:7]
	v_add_u32_e32 v7, 10, v35
	v_cmp_le_u32_e32 vcc, s16, v7
	v_lshrrev_b32_e32 v9, 24, v8
                                        ; implicit-def: $vgpr39
                                        ; implicit-def: $vgpr7
	s_and_saveexec_b64 s[4:5], vcc
	s_xor_b64 s[4:5], exec, s[4:5]
	s_cbranch_execz .LBB564_97
; %bb.96:
	s_mov_b32 s6, 0x40c0100
	v_perm_b32 v7, v9, v8, s6
	v_mov_b32_e32 v8, 8
	v_lshrrev_b32_sdwa v8, v8, v7 dst_sel:BYTE_1 dst_unused:UNUSED_PAD src0_sel:DWORD src1_sel:DWORD
	v_or_b32_sdwa v8, v7, v8 dst_sel:DWORD dst_unused:UNUSED_PAD src0_sel:BYTE_0 src1_sel:DWORD
	v_and_b32_e32 v8, 0xffff, v8
	s_mov_b32 s6, 0xff000000
	v_and_or_b32 v7, v7, s6, v8
	s_mov_b32 s6, 0x3060504
	v_and_b32_e32 v10, 0xff0000, v6
	v_perm_b32 v5, v5, v5, s6
	s_mov_b32 s6, 0x3020504
	v_perm_b32 v39, v6, v10, s6
                                        ; implicit-def: $vgpr8
                                        ; implicit-def: $vgpr9
                                        ; implicit-def: $vgpr6
.LBB564_97:
	s_andn2_saveexec_b64 s[6:7], s[4:5]
	s_cbranch_execz .LBB564_101
; %bb.98:
	v_add_u32_e32 v7, s37, v13
	v_add_u32_e32 v10, s39, v13
	v_mul_lo_u32 v7, v7, s36
	v_mul_lo_u32 v10, v10, s38
	s_mov_b64 s[8:9], 0
	v_sub_u32_e32 v7, v7, v10
	v_cmp_lt_u32_e32 vcc, s40, v7
	v_cmp_ge_u32_e64 s[4:5], s40, v7
	s_and_saveexec_b64 s[10:11], s[4:5]
	s_cbranch_execz .LBB564_100
; %bb.99:
	v_add_u32_e32 v7, s42, v13
	v_add_u32_e32 v10, s56, v13
	v_mul_lo_u32 v7, v7, s41
	v_mul_lo_u32 v10, v10, s43
	v_sub_u32_e32 v7, v7, v10
	v_cmp_lt_u32_e64 s[4:5], s57, v7
	s_and_b64 s[8:9], s[4:5], exec
.LBB564_100:
	s_or_b64 exec, exec, s[10:11]
	v_mov_b32_e32 v11, 8
	v_cndmask_b32_e64 v7, 0, 1, vcc
	v_lshrrev_b32_sdwa v12, v11, v8 dst_sel:BYTE_1 dst_unused:UNUSED_PAD src0_sel:DWORD src1_sel:DWORD
	v_lshlrev_b16_e32 v9, 8, v9
	v_or_b32_sdwa v8, v8, v12 dst_sel:DWORD dst_unused:UNUSED_PAD src0_sel:BYTE_0 src1_sel:DWORD
	v_or_b32_sdwa v7, v7, v9 dst_sel:WORD_1 dst_unused:UNUSED_PAD src0_sel:DWORD src1_sel:DWORD
	v_cndmask_b32_e64 v10, 0, 1, s[8:9]
	s_movk_i32 s4, 0xff
	v_or_b32_sdwa v7, v8, v7 dst_sel:DWORD dst_unused:UNUSED_PAD src0_sel:WORD_0 src1_sel:DWORD
	v_lshrrev_b32_sdwa v8, v11, v6 dst_sel:BYTE_1 dst_unused:UNUSED_PAD src0_sel:DWORD src1_sel:DWORD
	v_or_b32_sdwa v8, v6, v8 dst_sel:DWORD dst_unused:UNUSED_PAD src0_sel:BYTE_0 src1_sel:DWORD
	v_lshlrev_b16_e32 v9, 8, v10
	v_and_b32_sdwa v6, v6, s4 dst_sel:DWORD dst_unused:UNUSED_PAD src0_sel:WORD_1 src1_sel:DWORD
	v_or_b32_sdwa v6, v6, v9 dst_sel:WORD_1 dst_unused:UNUSED_PAD src0_sel:DWORD src1_sel:DWORD
	v_or_b32_sdwa v39, v8, v6 dst_sel:DWORD dst_unused:UNUSED_PAD src0_sel:WORD_0 src1_sel:DWORD
.LBB564_101:
	s_or_b64 exec, exec, s[6:7]
	v_add_u32_e32 v6, 11, v35
	v_mov_b32_e32 v40, 0
	v_cmp_le_u32_e32 vcc, s16, v6
                                        ; implicit-def: $vgpr41
	s_and_saveexec_b64 s[4:5], vcc
	s_xor_b64 s[4:5], exec, s[4:5]
; %bb.102:
	v_and_b32_e32 v6, 0xff0000, v7
	s_mov_b32 s6, 0x3020504
	v_perm_b32 v41, v7, v6, s6
	s_mov_b32 s6, 0x3060504
	v_perm_b32 v5, v5, v5, s6
                                        ; implicit-def: $vgpr7
; %bb.103:
	s_andn2_saveexec_b64 s[6:7], s[4:5]
	s_cbranch_execz .LBB564_107
; %bb.104:
	v_add_u32_e32 v6, s37, v14
	v_add_u32_e32 v8, s39, v14
	v_mul_lo_u32 v6, v6, s36
	v_mul_lo_u32 v8, v8, s38
	s_mov_b64 s[8:9], 0
	v_sub_u32_e32 v6, v6, v8
	v_cmp_lt_u32_e32 vcc, s40, v6
	v_cmp_ge_u32_e64 s[4:5], s40, v6
	s_and_saveexec_b64 s[10:11], s[4:5]
	s_cbranch_execz .LBB564_106
; %bb.105:
	v_add_u32_e32 v6, s42, v14
	v_add_u32_e32 v8, s56, v14
	v_mul_lo_u32 v6, v6, s41
	v_mul_lo_u32 v8, v8, s43
	v_sub_u32_e32 v6, v6, v8
	v_cmp_lt_u32_e64 s[4:5], s57, v6
	s_and_b64 s[8:9], s[4:5], exec
.LBB564_106:
	s_or_b64 exec, exec, s[10:11]
	v_mov_b32_e32 v8, 8
	v_cndmask_b32_e64 v6, 0, 1, vcc
	s_movk_i32 s4, 0xff
	v_lshrrev_b32_sdwa v8, v8, v7 dst_sel:BYTE_1 dst_unused:UNUSED_PAD src0_sel:DWORD src1_sel:DWORD
	v_or_b32_sdwa v8, v7, v8 dst_sel:DWORD dst_unused:UNUSED_PAD src0_sel:BYTE_0 src1_sel:DWORD
	v_lshlrev_b16_e32 v6, 8, v6
	v_and_b32_sdwa v7, v7, s4 dst_sel:DWORD dst_unused:UNUSED_PAD src0_sel:WORD_1 src1_sel:DWORD
	v_or_b32_sdwa v6, v7, v6 dst_sel:WORD_1 dst_unused:UNUSED_PAD src0_sel:DWORD src1_sel:DWORD
	v_cndmask_b32_e64 v40, 0, 1, s[8:9]
	v_or_b32_sdwa v41, v8, v6 dst_sel:DWORD dst_unused:UNUSED_PAD src0_sel:WORD_0 src1_sel:DWORD
.LBB564_107:
	s_or_b64 exec, exec, s[6:7]
	v_add_u32_e32 v6, 12, v35
	v_cmp_le_u32_e32 vcc, s16, v6
	v_lshrrev_b32_e32 v6, 24, v5
                                        ; implicit-def: $vgpr42
	s_and_saveexec_b64 s[4:5], vcc
	s_xor_b64 s[4:5], exec, s[4:5]
; %bb.108:
	s_movk_i32 s6, 0xff
	v_lshlrev_b16_e32 v6, 8, v6
	v_and_b32_sdwa v8, v5, s6 dst_sel:DWORD dst_unused:UNUSED_PAD src0_sel:WORD_1 src1_sel:DWORD
	v_mov_b32_e32 v7, 8
	v_or_b32_sdwa v42, v8, v6 dst_sel:WORD_1 dst_unused:UNUSED_PAD src0_sel:DWORD src1_sel:DWORD
	v_lshrrev_b32_sdwa v42, v7, v5 dst_sel:BYTE_1 dst_unused:UNUSED_PRESERVE src0_sel:DWORD src1_sel:DWORD
                                        ; implicit-def: $vgpr6
                                        ; implicit-def: $vgpr5
; %bb.109:
	s_or_saveexec_b64 s[6:7], s[4:5]
	v_mov_b32_e32 v43, 0
	s_xor_b64 exec, exec, s[6:7]
	s_cbranch_execz .LBB564_113
; %bb.110:
	v_add_u32_e32 v7, s37, v34
	v_add_u32_e32 v8, s39, v34
	v_mul_lo_u32 v7, v7, s36
	v_mul_lo_u32 v8, v8, s38
	s_mov_b64 s[8:9], 0
	v_sub_u32_e32 v7, v7, v8
	v_cmp_lt_u32_e32 vcc, s40, v7
	v_cmp_ge_u32_e64 s[4:5], s40, v7
	s_and_saveexec_b64 s[10:11], s[4:5]
	s_cbranch_execz .LBB564_112
; %bb.111:
	v_add_u32_e32 v7, s42, v34
	v_add_u32_e32 v8, s56, v34
	v_mul_lo_u32 v7, v7, s41
	v_mul_lo_u32 v8, v8, s43
	v_sub_u32_e32 v7, v7, v8
	v_cmp_lt_u32_e64 s[4:5], s57, v7
	s_and_b64 s[8:9], s[4:5], exec
.LBB564_112:
	s_or_b64 exec, exec, s[10:11]
	s_movk_i32 s4, 0xff
	v_lshlrev_b16_e32 v6, 8, v6
	v_and_b32_sdwa v8, v5, s4 dst_sel:DWORD dst_unused:UNUSED_PAD src0_sel:WORD_1 src1_sel:DWORD
	v_or_b32_sdwa v6, v8, v6 dst_sel:WORD_1 dst_unused:UNUSED_PAD src0_sel:DWORD src1_sel:DWORD
	v_mov_b32_e32 v8, 8
	v_cndmask_b32_e64 v7, 0, 1, vcc
	v_lshrrev_b32_sdwa v5, v8, v5 dst_sel:BYTE_1 dst_unused:UNUSED_PAD src0_sel:DWORD src1_sel:DWORD
	v_or_b32_e32 v5, v7, v5
	v_cndmask_b32_e64 v43, 0, 1, s[8:9]
	v_or_b32_sdwa v42, v5, v6 dst_sel:DWORD dst_unused:UNUSED_PAD src0_sel:WORD_0 src1_sel:DWORD
.LBB564_113:
	s_or_b64 exec, exec, s[6:7]
.LBB564_114:
	v_and_b32_e32 v53, 0xff, v36
	v_bfe_u32 v50, v36, 8, 8
	v_bfe_u32 v55, v36, 16, 8
	v_lshrrev_b32_e32 v48, 24, v36
	v_and_b32_e32 v56, 0xff, v38
	v_add3_u32 v8, v50, v53, v55
	v_bfe_u32 v51, v38, 8, 8
	v_bfe_u32 v58, v38, 16, 8
	v_add3_u32 v8, v8, v48, v56
	v_bfe_u32 v54, v42, 8, 8
	v_bfe_u32 v62, v42, 16, 8
	v_lshrrev_b32_e32 v49, 24, v42
	v_lshrrev_b32_e32 v46, 24, v38
	v_and_b32_e32 v59, 0xff, v41
	v_add3_u32 v8, v8, v51, v58
	v_and_b32_e32 v63, 0xff, v37
	v_bfe_u32 v57, v37, 8, 8
	v_bfe_u32 v52, v41, 8, 8
	;; [unrolled: 1-line block ×3, first 2 shown]
	v_add3_u32 v7, v62, v54, v49
	v_add3_u32 v8, v8, v46, v59
	v_bfe_u32 v64, v37, 16, 8
	v_lshrrev_b32_e32 v47, 24, v37
	v_lshrrev_b32_e32 v44, 24, v41
	v_and_b32_e32 v5, 0xff, v42
	v_add3_u32 v7, v7, v63, v57
	v_add3_u32 v8, v8, v52, v61
	v_and_b32_e32 v65, 0xff, v39
	v_bfe_u32 v60, v39, 8, 8
	v_add3_u32 v7, v7, v64, v47
	v_add3_u32 v73, v8, v44, v5
	v_mbcnt_lo_u32_b32 v5, -1, 0
	v_bfe_u32 v66, v39, 16, 8
	v_lshrrev_b32_e32 v45, 24, v39
	v_add3_u32 v7, v7, v65, v60
	v_mbcnt_hi_u32_b32 v68, -1, v5
	v_and_b32_e32 v67, 0xff, v40
	v_and_b32_e32 v6, 0xff, v43
	v_add3_u32 v7, v7, v66, v45
	v_and_b32_e32 v72, 15, v68
	s_cmp_lg_u32 s33, 0
	v_add3_u32 v74, v7, v67, v6
	v_cmp_eq_u32_e64 s[6:7], 0, v72
	v_cmp_lt_u32_e64 s[4:5], 1, v72
	v_cmp_lt_u32_e64 s[10:11], 3, v72
	;; [unrolled: 1-line block ×3, first 2 shown]
	v_and_b32_e32 v71, 16, v68
	v_cmp_lt_u32_e32 vcc, 31, v68
	v_lshrrev_b32_e32 v69, 6, v0
	v_or_b32_e32 v70, 63, v0
	s_cbranch_scc0 .LBB564_136
; %bb.115:
	v_mov_b32_dpp v5, v73 row_shr:1 row_mask:0xf bank_mask:0xf
	v_mov_b32_dpp v6, v74 row_shr:1 row_mask:0xf bank_mask:0xf
	v_add_u32_e32 v5, v5, v73
	v_add_u32_e32 v6, v6, v74
	v_cndmask_b32_e64 v6, v6, v74, s[6:7]
	v_cndmask_b32_e64 v5, v5, v73, s[6:7]
	s_nop 0
	v_mov_b32_dpp v8, v6 row_shr:2 row_mask:0xf bank_mask:0xf
	v_mov_b32_dpp v7, v5 row_shr:2 row_mask:0xf bank_mask:0xf
	v_add_u32_e32 v7, v5, v7
	v_add_u32_e32 v8, v6, v8
	v_cndmask_b32_e64 v6, v6, v8, s[4:5]
	v_cndmask_b32_e64 v5, v5, v7, s[4:5]
	s_nop 0
	;; [unrolled: 7-line block ×3, first 2 shown]
	v_mov_b32_dpp v8, v6 row_shr:8 row_mask:0xf bank_mask:0xf
	v_mov_b32_dpp v7, v5 row_shr:8 row_mask:0xf bank_mask:0xf
	v_add_u32_e32 v7, v5, v7
	v_add_u32_e32 v8, v6, v8
	v_cndmask_b32_e64 v6, v6, v8, s[8:9]
	v_cndmask_b32_e64 v7, v5, v7, s[8:9]
	v_cmp_eq_u32_e64 s[8:9], 0, v71
	v_mov_b32_dpp v8, v6 row_bcast:15 row_mask:0xf bank_mask:0xf
	v_mov_b32_dpp v5, v7 row_bcast:15 row_mask:0xf bank_mask:0xf
	v_add_u32_e32 v9, v7, v5
	v_add_u32_e32 v5, v6, v8
	v_cndmask_b32_e64 v5, v5, v6, s[8:9]
	v_cndmask_b32_e64 v6, v9, v7, s[8:9]
	v_cmp_eq_u32_e64 s[8:9], v0, v70
	v_mov_b32_dpp v7, v5 row_bcast:31 row_mask:0xf bank_mask:0xf
	v_mov_b32_dpp v8, v6 row_bcast:31 row_mask:0xf bank_mask:0xf
	v_add_u32_e32 v7, v5, v7
	v_add_u32_e32 v8, v6, v8
	s_and_saveexec_b64 s[10:11], s[8:9]
; %bb.116:
	v_lshlrev_b32_e32 v11, 3, v69
	v_cndmask_b32_e32 v10, v5, v7, vcc
	v_cndmask_b32_e32 v9, v6, v8, vcc
	ds_write_b64 v11, v[9:10]
; %bb.117:
	s_or_b64 exec, exec, s[10:11]
	v_cmp_gt_u32_e64 s[8:9], 4, v0
	s_waitcnt lgkmcnt(0)
	s_barrier
	s_and_saveexec_b64 s[10:11], s[8:9]
	s_cbranch_execz .LBB564_119
; %bb.118:
	v_lshlrev_b32_e32 v11, 3, v0
	ds_read_b64 v[9:10], v11
	v_and_b32_e32 v12, 3, v68
	v_cmp_eq_u32_e64 s[8:9], 0, v12
	s_waitcnt lgkmcnt(0)
	v_mov_b32_dpp v25, v9 row_shr:1 row_mask:0xf bank_mask:0xf
	v_mov_b32_dpp v26, v10 row_shr:1 row_mask:0xf bank_mask:0xf
	v_add_u32_e32 v25, v25, v9
	v_add_u32_e32 v26, v26, v10
	v_cndmask_b32_e64 v10, v26, v10, s[8:9]
	v_cndmask_b32_e64 v9, v25, v9, s[8:9]
	v_cmp_lt_u32_e64 s[8:9], 1, v12
	v_mov_b32_dpp v26, v10 row_shr:2 row_mask:0xf bank_mask:0xf
	v_mov_b32_dpp v25, v9 row_shr:2 row_mask:0xf bank_mask:0xf
	v_cndmask_b32_e64 v12, 0, v25, s[8:9]
	v_cndmask_b32_e64 v25, 0, v26, s[8:9]
	v_add_u32_e32 v10, v25, v10
	v_add_u32_e32 v9, v12, v9
	ds_write_b64 v11, v[9:10]
.LBB564_119:
	s_or_b64 exec, exec, s[10:11]
	v_cndmask_b32_e32 v5, v5, v7, vcc
	v_cndmask_b32_e32 v6, v6, v8, vcc
	v_cmp_gt_u32_e32 vcc, 64, v0
	v_cmp_lt_u32_e64 s[8:9], 63, v0
	s_waitcnt lgkmcnt(0)
	s_barrier
                                        ; implicit-def: $vgpr25
	s_and_saveexec_b64 s[10:11], s[8:9]
	s_cbranch_execz .LBB564_121
; %bb.120:
	v_lshl_add_u32 v7, v69, 3, -8
	ds_read_b64 v[25:26], v7
	s_waitcnt lgkmcnt(0)
	v_add_u32_e32 v5, v26, v5
	v_add_u32_e32 v6, v25, v6
.LBB564_121:
	s_or_b64 exec, exec, s[10:11]
	v_subrev_co_u32_e64 v7, s[8:9], 1, v68
	v_and_b32_e32 v8, 64, v68
	v_cmp_lt_i32_e64 s[10:11], v7, v8
	v_cndmask_b32_e64 v7, v7, v68, s[10:11]
	v_lshlrev_b32_e32 v7, 2, v7
	ds_bpermute_b32 v75, v7, v6
	ds_bpermute_b32 v76, v7, v5
	s_and_saveexec_b64 s[10:11], vcc
	s_cbranch_execz .LBB564_141
; %bb.122:
	v_mov_b32_e32 v8, 0
	ds_read_b64 v[5:6], v8 offset:24
	s_and_saveexec_b64 s[12:13], s[8:9]
	s_cbranch_execz .LBB564_124
; %bb.123:
	s_add_i32 s14, s33, 64
	s_mov_b32 s15, 0
	s_lshl_b64 s[14:15], s[14:15], 4
	s_add_u32 s14, s54, s14
	s_addc_u32 s15, s55, s15
	v_mov_b32_e32 v9, s14
	v_mov_b32_e32 v7, 1
	;; [unrolled: 1-line block ×3, first 2 shown]
	s_waitcnt lgkmcnt(0)
	;;#ASMSTART
	global_store_dwordx4 v[9:10], v[5:8] off	
s_waitcnt vmcnt(0)
	;;#ASMEND
.LBB564_124:
	s_or_b64 exec, exec, s[12:13]
	v_xad_u32 v27, v68, -1, s33
	v_add_u32_e32 v7, 64, v27
	v_lshlrev_b64 v[9:10], 4, v[7:8]
	v_mov_b32_e32 v7, s55
	v_add_co_u32_e32 v28, vcc, s54, v9
	v_addc_co_u32_e32 v29, vcc, v7, v10, vcc
	;;#ASMSTART
	global_load_dwordx4 v[9:12], v[28:29] off glc	
s_waitcnt vmcnt(0)
	;;#ASMEND
	v_cmp_eq_u16_sdwa s[14:15], v11, v8 src0_sel:BYTE_0 src1_sel:DWORD
	s_and_saveexec_b64 s[12:13], s[14:15]
	s_cbranch_execz .LBB564_128
; %bb.125:
	s_mov_b64 s[14:15], 0
	v_mov_b32_e32 v7, 0
.LBB564_126:                            ; =>This Inner Loop Header: Depth=1
	;;#ASMSTART
	global_load_dwordx4 v[9:12], v[28:29] off glc	
s_waitcnt vmcnt(0)
	;;#ASMEND
	v_cmp_ne_u16_sdwa s[18:19], v11, v7 src0_sel:BYTE_0 src1_sel:DWORD
	s_or_b64 s[14:15], s[18:19], s[14:15]
	s_andn2_b64 exec, exec, s[14:15]
	s_cbranch_execnz .LBB564_126
; %bb.127:
	s_or_b64 exec, exec, s[14:15]
.LBB564_128:
	s_or_b64 exec, exec, s[12:13]
	v_and_b32_e32 v78, 63, v68
	v_cmp_ne_u32_e32 vcc, 63, v78
	v_mov_b32_e32 v77, 2
	v_lshlrev_b64 v[29:30], v68, -1
	v_addc_co_u32_e32 v12, vcc, 0, v68, vcc
	v_cmp_eq_u16_sdwa s[12:13], v11, v77 src0_sel:BYTE_0 src1_sel:DWORD
	v_lshlrev_b32_e32 v79, 2, v12
	v_and_b32_e32 v7, s13, v30
	ds_bpermute_b32 v12, v79, v9
	ds_bpermute_b32 v28, v79, v10
	v_or_b32_e32 v7, 0x80000000, v7
	v_and_b32_e32 v8, s12, v29
	v_ffbl_b32_e32 v7, v7
	v_add_u32_e32 v7, 32, v7
	v_ffbl_b32_e32 v8, v8
	v_min_u32_e32 v7, v8, v7
	s_waitcnt lgkmcnt(1)
	v_add_u32_e32 v8, v12, v9
	s_waitcnt lgkmcnt(0)
	v_add_u32_e32 v12, v28, v10
	v_cmp_lt_u32_e32 vcc, v78, v7
	v_cndmask_b32_e32 v10, v10, v12, vcc
	v_cndmask_b32_e32 v8, v9, v8, vcc
	v_cmp_gt_u32_e32 vcc, 62, v78
	v_cndmask_b32_e64 v9, 0, 2, vcc
	v_add_lshl_u32 v80, v9, v68, 2
	ds_bpermute_b32 v9, v80, v8
	ds_bpermute_b32 v12, v80, v10
	v_add_u32_e32 v81, 2, v78
	v_cmp_gt_u32_e32 vcc, v81, v7
	v_add_u32_e32 v83, 4, v78
	s_waitcnt lgkmcnt(1)
	v_add_u32_e32 v9, v8, v9
	s_waitcnt lgkmcnt(0)
	v_add_u32_e32 v12, v10, v12
	v_cndmask_b32_e32 v10, v12, v10, vcc
	v_cndmask_b32_e32 v8, v9, v8, vcc
	v_cmp_gt_u32_e32 vcc, 60, v78
	v_cndmask_b32_e64 v9, 0, 4, vcc
	v_add_lshl_u32 v82, v9, v68, 2
	ds_bpermute_b32 v9, v82, v8
	ds_bpermute_b32 v12, v82, v10
	v_cmp_gt_u32_e32 vcc, v83, v7
	v_add_u32_e32 v85, 8, v78
	v_add_u32_e32 v87, 16, v78
	s_waitcnt lgkmcnt(1)
	v_add_u32_e32 v9, v8, v9
	s_waitcnt lgkmcnt(0)
	v_add_u32_e32 v12, v10, v12
	v_cndmask_b32_e32 v10, v12, v10, vcc
	v_cndmask_b32_e32 v8, v9, v8, vcc
	v_cmp_gt_u32_e32 vcc, 56, v78
	v_cndmask_b32_e64 v9, 0, 8, vcc
	v_add_lshl_u32 v84, v9, v68, 2
	ds_bpermute_b32 v9, v84, v8
	ds_bpermute_b32 v12, v84, v10
	v_cmp_gt_u32_e32 vcc, v85, v7
	v_add_u32_e32 v89, 32, v78
	v_mov_b32_e32 v28, 0
	s_waitcnt lgkmcnt(1)
	v_add_u32_e32 v9, v8, v9
	s_waitcnt lgkmcnt(0)
	v_add_u32_e32 v12, v10, v12
	v_cndmask_b32_e32 v10, v12, v10, vcc
	v_cndmask_b32_e32 v8, v9, v8, vcc
	v_cmp_gt_u32_e32 vcc, 48, v78
	v_cndmask_b32_e64 v9, 0, 16, vcc
	v_add_lshl_u32 v86, v9, v68, 2
	ds_bpermute_b32 v9, v86, v8
	ds_bpermute_b32 v12, v86, v10
	v_cmp_gt_u32_e32 vcc, v87, v7
	s_waitcnt lgkmcnt(1)
	v_add_u32_e32 v9, v8, v9
	s_waitcnt lgkmcnt(0)
	v_add_u32_e32 v12, v10, v12
	v_cndmask_b32_e32 v8, v9, v8, vcc
	v_mov_b32_e32 v9, 0x80
	v_cndmask_b32_e32 v10, v12, v10, vcc
	v_lshl_or_b32 v88, v68, 2, v9
	ds_bpermute_b32 v9, v88, v8
	ds_bpermute_b32 v12, v88, v10
	v_cmp_le_u32_e32 vcc, v89, v7
	s_waitcnt lgkmcnt(1)
	v_cndmask_b32_e32 v7, 0, v9, vcc
	s_waitcnt lgkmcnt(0)
	v_cndmask_b32_e32 v9, 0, v12, vcc
	v_add_u32_e32 v10, v10, v9
	v_add_u32_e32 v9, v8, v7
	s_branch .LBB564_132
.LBB564_129:                            ;   in Loop: Header=BB564_132 Depth=1
	s_or_b64 exec, exec, s[14:15]
.LBB564_130:                            ;   in Loop: Header=BB564_132 Depth=1
	s_or_b64 exec, exec, s[12:13]
	v_cmp_eq_u16_sdwa s[12:13], v11, v77 src0_sel:BYTE_0 src1_sel:DWORD
	v_and_b32_e32 v12, s13, v30
	ds_bpermute_b32 v32, v79, v9
	ds_bpermute_b32 v90, v79, v10
	v_or_b32_e32 v12, 0x80000000, v12
	v_and_b32_e32 v31, s12, v29
	v_ffbl_b32_e32 v12, v12
	v_add_u32_e32 v12, 32, v12
	v_ffbl_b32_e32 v31, v31
	v_min_u32_e32 v12, v31, v12
	s_waitcnt lgkmcnt(1)
	v_add_u32_e32 v31, v32, v9
	s_waitcnt lgkmcnt(0)
	v_add_u32_e32 v32, v90, v10
	v_cmp_lt_u32_e32 vcc, v78, v12
	v_cndmask_b32_e32 v10, v10, v32, vcc
	v_cndmask_b32_e32 v9, v9, v31, vcc
	ds_bpermute_b32 v31, v80, v9
	ds_bpermute_b32 v32, v80, v10
	v_cmp_gt_u32_e32 vcc, v81, v12
	v_subrev_u32_e32 v27, 64, v27
	s_mov_b64 s[12:13], 0
	s_waitcnt lgkmcnt(1)
	v_add_u32_e32 v31, v9, v31
	s_waitcnt lgkmcnt(0)
	v_add_u32_e32 v32, v10, v32
	v_cndmask_b32_e32 v10, v32, v10, vcc
	v_cndmask_b32_e32 v9, v31, v9, vcc
	ds_bpermute_b32 v31, v82, v9
	ds_bpermute_b32 v32, v82, v10
	v_cmp_gt_u32_e32 vcc, v83, v12
	s_waitcnt lgkmcnt(1)
	v_add_u32_e32 v31, v9, v31
	s_waitcnt lgkmcnt(0)
	v_add_u32_e32 v32, v10, v32
	v_cndmask_b32_e32 v10, v32, v10, vcc
	v_cndmask_b32_e32 v9, v31, v9, vcc
	ds_bpermute_b32 v31, v84, v9
	ds_bpermute_b32 v32, v84, v10
	v_cmp_gt_u32_e32 vcc, v85, v12
	;; [unrolled: 9-line block ×3, first 2 shown]
	s_waitcnt lgkmcnt(1)
	v_add_u32_e32 v31, v9, v31
	s_waitcnt lgkmcnt(0)
	v_add_u32_e32 v32, v10, v32
	v_cndmask_b32_e32 v10, v32, v10, vcc
	v_cndmask_b32_e32 v9, v31, v9, vcc
	ds_bpermute_b32 v31, v88, v9
	ds_bpermute_b32 v32, v88, v10
	v_cmp_le_u32_e32 vcc, v89, v12
	s_waitcnt lgkmcnt(1)
	v_cndmask_b32_e32 v12, 0, v31, vcc
	s_waitcnt lgkmcnt(0)
	v_cndmask_b32_e32 v31, 0, v32, vcc
	v_add3_u32 v10, v31, v8, v10
	v_add3_u32 v9, v12, v7, v9
.LBB564_131:                            ;   in Loop: Header=BB564_132 Depth=1
	s_and_b64 vcc, exec, s[12:13]
	s_cbranch_vccnz .LBB564_137
.LBB564_132:                            ; =>This Loop Header: Depth=1
                                        ;     Child Loop BB564_135 Depth 2
	v_mov_b32_e32 v7, v9
	v_cmp_ne_u16_sdwa s[12:13], v11, v77 src0_sel:BYTE_0 src1_sel:DWORD
	v_mov_b32_e32 v8, v10
	s_cmp_lg_u64 s[12:13], exec
	s_mov_b64 s[12:13], -1
                                        ; implicit-def: $vgpr11
                                        ; implicit-def: $vgpr9_vgpr10
	s_cbranch_scc1 .LBB564_131
; %bb.133:                              ;   in Loop: Header=BB564_132 Depth=1
	v_lshlrev_b64 v[9:10], 4, v[27:28]
	v_mov_b32_e32 v11, s55
	v_add_co_u32_e32 v31, vcc, s54, v9
	v_addc_co_u32_e32 v32, vcc, v11, v10, vcc
	;;#ASMSTART
	global_load_dwordx4 v[9:12], v[31:32] off glc	
s_waitcnt vmcnt(0)
	;;#ASMEND
	v_cmp_eq_u16_sdwa s[14:15], v11, v28 src0_sel:BYTE_0 src1_sel:DWORD
	s_and_saveexec_b64 s[12:13], s[14:15]
	s_cbranch_execz .LBB564_130
; %bb.134:                              ;   in Loop: Header=BB564_132 Depth=1
	s_mov_b64 s[14:15], 0
.LBB564_135:                            ;   Parent Loop BB564_132 Depth=1
                                        ; =>  This Inner Loop Header: Depth=2
	;;#ASMSTART
	global_load_dwordx4 v[9:12], v[31:32] off glc	
s_waitcnt vmcnt(0)
	;;#ASMEND
	v_cmp_ne_u16_sdwa s[18:19], v11, v28 src0_sel:BYTE_0 src1_sel:DWORD
	s_or_b64 s[14:15], s[18:19], s[14:15]
	s_andn2_b64 exec, exec, s[14:15]
	s_cbranch_execnz .LBB564_135
	s_branch .LBB564_129
.LBB564_136:
                                        ; implicit-def: $vgpr12
                                        ; implicit-def: $vgpr7
                                        ; implicit-def: $vgpr25
	s_cbranch_execnz .LBB564_142
	s_branch .LBB564_151
.LBB564_137:
	s_and_saveexec_b64 s[12:13], s[8:9]
	s_cbranch_execnz .LBB564_379
; %bb.138:
	s_or_b64 exec, exec, s[12:13]
	s_and_saveexec_b64 s[12:13], s[8:9]
	s_cbranch_execnz .LBB564_380
.LBB564_139:
	s_or_b64 exec, exec, s[12:13]
	s_and_b64 exec, exec, s[0:1]
.LBB564_140:
	v_mov_b32_e32 v5, 0
	ds_write_b64 v5, v[7:8] offset:24
.LBB564_141:
	s_or_b64 exec, exec, s[10:11]
	v_mov_b32_e32 v5, 0
	s_waitcnt lgkmcnt(0)
	s_barrier
	ds_read_b64 v[9:10], v5 offset:24
	v_cndmask_b32_e64 v6, v75, v25, s[8:9]
	s_waitcnt lgkmcnt(0)
	s_barrier
	v_add_u32_e32 v25, v9, v6
	ds_read_b128 v[5:8], v5 offset:13312
	v_cndmask_b32_e64 v11, v76, v26, s[8:9]
	v_add_u32_e32 v11, v10, v11
	v_cndmask_b32_e64 v12, v11, v10, s[0:1]
	v_cndmask_b32_e64 v25, v25, v9, s[0:1]
	s_branch .LBB564_151
.LBB564_142:
	s_waitcnt lgkmcnt(0)
	v_mov_b32_dpp v5, v73 row_shr:1 row_mask:0xf bank_mask:0xf
	v_mov_b32_dpp v6, v74 row_shr:1 row_mask:0xf bank_mask:0xf
	v_add_u32_e32 v5, v5, v73
	v_add_u32_e32 v6, v6, v74
	v_cndmask_b32_e64 v6, v6, v74, s[6:7]
	v_cndmask_b32_e64 v5, v5, v73, s[6:7]
	v_cmp_lt_u32_e32 vcc, 3, v72
	v_mov_b32_dpp v8, v6 row_shr:2 row_mask:0xf bank_mask:0xf
	v_mov_b32_dpp v7, v5 row_shr:2 row_mask:0xf bank_mask:0xf
	v_add_u32_e32 v7, v5, v7
	v_add_u32_e32 v8, v6, v8
	v_cndmask_b32_e64 v6, v6, v8, s[4:5]
	v_cndmask_b32_e64 v5, v5, v7, s[4:5]
	v_cmp_eq_u32_e64 s[4:5], v0, v70
	v_mov_b32_dpp v8, v6 row_shr:4 row_mask:0xf bank_mask:0xf
	v_mov_b32_dpp v7, v5 row_shr:4 row_mask:0xf bank_mask:0xf
	v_add_u32_e32 v7, v5, v7
	v_add_u32_e32 v8, v6, v8
	v_cndmask_b32_e32 v6, v6, v8, vcc
	v_cndmask_b32_e32 v5, v5, v7, vcc
	v_cmp_lt_u32_e32 vcc, 7, v72
	v_mov_b32_dpp v8, v6 row_shr:8 row_mask:0xf bank_mask:0xf
	v_mov_b32_dpp v7, v5 row_shr:8 row_mask:0xf bank_mask:0xf
	v_add_u32_e32 v7, v5, v7
	v_add_u32_e32 v8, v6, v8
	v_cndmask_b32_e32 v6, v6, v8, vcc
	v_cndmask_b32_e32 v7, v5, v7, vcc
	v_cmp_eq_u32_e32 vcc, 0, v71
	v_mov_b32_dpp v8, v6 row_bcast:15 row_mask:0xf bank_mask:0xf
	v_mov_b32_dpp v5, v7 row_bcast:15 row_mask:0xf bank_mask:0xf
	v_add_u32_e32 v9, v7, v5
	v_add_u32_e32 v5, v6, v8
	v_cndmask_b32_e32 v5, v5, v6, vcc
	v_cndmask_b32_e32 v6, v9, v7, vcc
	v_cmp_lt_u32_e32 vcc, 31, v68
	v_mov_b32_dpp v7, v5 row_bcast:31 row_mask:0xf bank_mask:0xf
	v_mov_b32_dpp v8, v6 row_bcast:31 row_mask:0xf bank_mask:0xf
	v_add_u32_e32 v7, v5, v7
	v_add_u32_e32 v8, v6, v8
	s_and_saveexec_b64 s[6:7], s[4:5]
; %bb.143:
	v_cndmask_b32_e32 v9, v6, v8, vcc
	v_cndmask_b32_e32 v10, v5, v7, vcc
	v_lshlrev_b32_e32 v11, 3, v69
	ds_write_b64 v11, v[9:10]
; %bb.144:
	s_or_b64 exec, exec, s[6:7]
	v_cmp_gt_u32_e64 s[4:5], 4, v0
	s_waitcnt lgkmcnt(0)
	s_barrier
	s_and_saveexec_b64 s[6:7], s[4:5]
	s_cbranch_execz .LBB564_146
; %bb.145:
	v_lshlrev_b32_e32 v11, 3, v0
	ds_read_b64 v[9:10], v11
	v_and_b32_e32 v12, 3, v68
	v_cmp_eq_u32_e64 s[4:5], 0, v12
	s_waitcnt lgkmcnt(0)
	v_mov_b32_dpp v25, v9 row_shr:1 row_mask:0xf bank_mask:0xf
	v_mov_b32_dpp v26, v10 row_shr:1 row_mask:0xf bank_mask:0xf
	v_add_u32_e32 v25, v25, v9
	v_add_u32_e32 v26, v26, v10
	v_cndmask_b32_e64 v10, v26, v10, s[4:5]
	v_cndmask_b32_e64 v9, v25, v9, s[4:5]
	v_cmp_lt_u32_e64 s[4:5], 1, v12
	v_mov_b32_dpp v26, v10 row_shr:2 row_mask:0xf bank_mask:0xf
	v_mov_b32_dpp v25, v9 row_shr:2 row_mask:0xf bank_mask:0xf
	v_cndmask_b32_e64 v12, 0, v25, s[4:5]
	v_cndmask_b32_e64 v25, 0, v26, s[4:5]
	v_add_u32_e32 v10, v25, v10
	v_add_u32_e32 v9, v12, v9
	ds_write_b64 v11, v[9:10]
.LBB564_146:
	s_or_b64 exec, exec, s[6:7]
	v_cmp_lt_u32_e64 s[4:5], 63, v0
	v_mov_b32_e32 v11, 0
	v_mov_b32_e32 v9, 0
	;; [unrolled: 1-line block ×3, first 2 shown]
	s_waitcnt lgkmcnt(0)
	s_barrier
	s_and_saveexec_b64 s[6:7], s[4:5]
; %bb.147:
	v_lshl_add_u32 v9, v69, 3, -8
	ds_read_b64 v[9:10], v9
; %bb.148:
	s_or_b64 exec, exec, s[6:7]
	v_cndmask_b32_e32 v6, v6, v8, vcc
	v_cndmask_b32_e32 v5, v5, v7, vcc
	v_subrev_co_u32_e32 v7, vcc, 1, v68
	v_and_b32_e32 v8, 64, v68
	v_cmp_lt_i32_e64 s[4:5], v7, v8
	v_cndmask_b32_e64 v7, v7, v68, s[4:5]
	s_waitcnt lgkmcnt(0)
	v_add_u32_e32 v5, v10, v5
	v_add_u32_e32 v6, v9, v6
	v_lshlrev_b32_e32 v7, 2, v7
	ds_bpermute_b32 v12, v7, v6
	ds_bpermute_b32 v25, v7, v5
	ds_read_b64 v[5:6], v11 offset:24
	s_and_saveexec_b64 s[4:5], s[0:1]
	s_cbranch_execz .LBB564_150
; %bb.149:
	s_add_u32 s6, s54, 0x400
	s_addc_u32 s7, s55, 0
	v_mov_b32_e32 v27, s7
	v_mov_b32_e32 v7, 2
	;; [unrolled: 1-line block ×4, first 2 shown]
	s_waitcnt lgkmcnt(0)
	;;#ASMSTART
	global_store_dwordx4 v[26:27], v[5:8] off	
s_waitcnt vmcnt(0)
	;;#ASMEND
.LBB564_150:
	s_or_b64 exec, exec, s[4:5]
	s_waitcnt lgkmcnt(2)
	v_cndmask_b32_e32 v7, v12, v9, vcc
	s_waitcnt lgkmcnt(1)
	v_cndmask_b32_e32 v8, v25, v10, vcc
	v_cndmask_b32_e64 v12, v8, 0, s[0:1]
	v_cndmask_b32_e64 v25, v7, 0, s[0:1]
	v_mov_b32_e32 v8, 0
	v_mov_b32_e32 v7, 0
	s_waitcnt lgkmcnt(0)
	s_barrier
.LBB564_151:
	s_waitcnt lgkmcnt(0)
	v_add_co_u32_e32 v1, vcc, v1, v7
	v_addc_co_u32_e32 v2, vcc, 0, v2, vcc
	v_sub_co_u32_e32 v29, vcc, v3, v5
	v_add_u32_e32 v32, v12, v54
	v_subbrev_co_u32_e32 v30, vcc, 0, v4, vcc
	v_lshlrev_b32_e32 v72, 1, v5
	v_sub_u32_e32 v12, v12, v8
	v_lshrrev_b32_e32 v28, 8, v42
	v_add_u32_e32 v31, v25, v53
	v_add_co_u32_e32 v29, vcc, v29, v8
	v_add_u32_e32 v73, v72, v6
	v_sub_u32_e32 v25, v25, v7
	v_add_u32_e32 v12, v12, v5
	v_addc_co_u32_e32 v30, vcc, 0, v30, vcc
	v_add_u32_e32 v35, v73, v35
	v_and_b32_e32 v28, 1, v28
	v_add_u32_e32 v74, v25, v12
	v_and_b32_e32 v73, 1, v36
	v_sub_u32_e32 v74, v35, v74
	v_cmp_eq_u32_e32 vcc, 1, v28
	v_cndmask_b32_e32 v12, v74, v12, vcc
	v_cmp_eq_u32_e32 vcc, 1, v73
	v_cndmask_b32_e32 v12, v12, v25, vcc
	v_lshlrev_b32_e32 v12, 2, v12
	v_sub_u32_e32 v25, v32, v8
	v_lshrrev_b32_e32 v27, 8, v36
	ds_write_b32 v12, v23
	v_sub_u32_e32 v12, v31, v7
	v_add_u32_e32 v25, v25, v5
	v_add_u32_e32 v50, v31, v50
	v_and_b32_e32 v23, 1, v27
	v_mov_b32_e32 v27, 1
	v_add_u32_e32 v31, v25, v12
	v_and_b32_sdwa v28, v27, v42 dst_sel:DWORD dst_unused:UNUSED_PAD src0_sel:DWORD src1_sel:WORD_1
	v_sub_u32_e32 v31, v35, v31
	v_add_u32_e32 v31, 1, v31
	v_cmp_eq_u32_e32 vcc, 1, v28
	v_cndmask_b32_e32 v25, v31, v25, vcc
	v_cmp_eq_u32_e32 vcc, 1, v23
	v_cndmask_b32_e32 v12, v25, v12, vcc
	v_add_u32_e32 v53, v32, v62
	v_lshlrev_b32_e32 v12, 2, v12
	ds_write_b32 v12, v24
	v_sub_u32_e32 v24, v53, v8
	v_sub_u32_e32 v12, v50, v7
	v_add_u32_e32 v24, v24, v5
	v_add_u32_e32 v28, v24, v12
	v_and_b32_e32 v25, 1, v49
	v_sub_u32_e32 v28, v35, v28
	v_and_b32_sdwa v23, v27, v36 dst_sel:DWORD dst_unused:UNUSED_PAD src0_sel:DWORD src1_sel:WORD_1
	v_add_u32_e32 v28, 2, v28
	v_cmp_eq_u32_e32 vcc, 1, v25
	v_cndmask_b32_e32 v24, v28, v24, vcc
	v_cmp_eq_u32_e32 vcc, 1, v23
	v_add_u32_e32 v54, v50, v55
	v_add_u32_e32 v55, v53, v49
	v_cndmask_b32_e32 v12, v24, v12, vcc
	v_lshlrev_b32_e32 v12, 2, v12
	v_sub_u32_e32 v23, v55, v8
	ds_write_b32 v12, v21
	v_sub_u32_e32 v12, v54, v7
	v_add_u32_e32 v23, v23, v5
	v_add_u32_e32 v25, v12, v23
	v_and_b32_e32 v24, 1, v37
	v_sub_u32_e32 v25, v35, v25
	v_and_b32_e32 v21, 1, v48
	v_add_u32_e32 v25, 3, v25
	v_cmp_eq_u32_e32 vcc, 1, v24
	v_cndmask_b32_e32 v23, v25, v23, vcc
	v_cmp_eq_u32_e32 vcc, 1, v21
	v_cndmask_b32_e32 v12, v23, v12, vcc
	v_add_u32_e32 v62, v55, v63
	v_lshlrev_b32_e32 v12, 2, v12
	v_add_u32_e32 v63, v54, v48
	ds_write_b32 v12, v22
	v_sub_u32_e32 v22, v62, v8
	v_sub_u32_e32 v12, v63, v7
	v_add_u32_e32 v22, v22, v5
	v_lshrrev_b32_e32 v26, 8, v37
	v_add_u32_e32 v24, v12, v22
	v_and_b32_e32 v23, 1, v26
	v_sub_u32_e32 v24, v35, v24
	v_and_b32_e32 v21, 1, v38
	v_add_u32_e32 v24, 4, v24
	v_cmp_eq_u32_e32 vcc, 1, v23
	v_cndmask_b32_e32 v22, v24, v22, vcc
	v_cmp_eq_u32_e32 vcc, 1, v21
	v_cndmask_b32_e32 v12, v22, v12, vcc
	v_add_u32_e32 v57, v62, v57
	v_lshlrev_b32_e32 v12, 2, v12
	v_add_u32_e32 v56, v63, v56
	ds_write_b32 v12, v19
	v_sub_u32_e32 v19, v57, v8
	v_sub_u32_e32 v12, v56, v7
	v_add_u32_e32 v19, v19, v5
	v_add_u32_e32 v22, v12, v19
	v_lshrrev_b32_e32 v11, 8, v38
	v_and_b32_sdwa v21, v27, v37 dst_sel:DWORD dst_unused:UNUSED_PAD src0_sel:DWORD src1_sel:WORD_1
	v_sub_u32_e32 v22, v35, v22
	v_and_b32_e32 v11, 1, v11
	v_add_u32_e32 v22, 5, v22
	v_cmp_eq_u32_e32 vcc, 1, v21
	v_cndmask_b32_e32 v19, v22, v19, vcc
	v_cmp_eq_u32_e32 vcc, 1, v11
	v_add_u32_e32 v64, v57, v64
	v_cndmask_b32_e32 v11, v19, v12, vcc
	v_add_u32_e32 v51, v56, v51
	v_lshlrev_b32_e32 v11, 2, v11
	v_sub_u32_e32 v19, v64, v8
	ds_write_b32 v11, v20
	v_sub_u32_e32 v11, v51, v7
	v_add_u32_e32 v19, v19, v5
	v_add_u32_e32 v21, v11, v19
	v_and_b32_e32 v20, 1, v47
	v_sub_u32_e32 v21, v35, v21
	v_and_b32_sdwa v12, v27, v38 dst_sel:DWORD dst_unused:UNUSED_PAD src0_sel:DWORD src1_sel:WORD_1
	v_add_u32_e32 v21, 6, v21
	v_cmp_eq_u32_e32 vcc, 1, v20
	v_cndmask_b32_e32 v19, v21, v19, vcc
	v_cmp_eq_u32_e32 vcc, 1, v12
	v_cndmask_b32_e32 v11, v19, v11, vcc
	v_add_u32_e32 v68, v64, v47
	v_lshlrev_b32_e32 v11, 2, v11
	v_add_u32_e32 v58, v51, v58
	ds_write_b32 v11, v17
	v_sub_u32_e32 v17, v68, v8
	v_sub_u32_e32 v11, v58, v7
	v_add_u32_e32 v17, v17, v5
	v_add_u32_e32 v20, v11, v17
	v_and_b32_e32 v19, 1, v39
	v_sub_u32_e32 v20, v35, v20
	v_and_b32_e32 v12, 1, v46
	v_add_u32_e32 v20, 7, v20
	v_cmp_eq_u32_e32 vcc, 1, v19
	v_cndmask_b32_e32 v17, v20, v17, vcc
	v_cmp_eq_u32_e32 vcc, 1, v12
	v_add_u32_e32 v65, v68, v65
	v_cndmask_b32_e32 v11, v17, v11, vcc
	v_add_u32_e32 v69, v58, v46
	v_lshlrev_b32_e32 v11, 2, v11
	v_sub_u32_e32 v17, v65, v8
	ds_write_b32 v11, v18
	v_sub_u32_e32 v11, v69, v7
	v_add_u32_e32 v17, v17, v5
	v_lshrrev_b32_e32 v10, 8, v39
	v_add_u32_e32 v18, v11, v17
	v_and_b32_e32 v10, 1, v10
	v_sub_u32_e32 v18, v35, v18
	v_and_b32_e32 v12, 1, v41
	v_add_u32_e32 v18, 8, v18
	v_cmp_eq_u32_e32 vcc, 1, v10
	v_cndmask_b32_e32 v10, v18, v17, vcc
	v_cmp_eq_u32_e32 vcc, 1, v12
	v_add_u32_e32 v60, v65, v60
	v_cndmask_b32_e32 v10, v10, v11, vcc
	v_add_u32_e32 v59, v69, v59
	v_lshlrev_b32_e32 v10, 2, v10
	v_sub_u32_e32 v11, v60, v8
	ds_write_b32 v10, v15
	v_sub_u32_e32 v10, v59, v7
	v_add_u32_e32 v11, v11, v5
	v_add_u32_e32 v15, v10, v11
	v_lshrrev_b32_e32 v9, 8, v41
	v_and_b32_sdwa v12, v27, v39 dst_sel:DWORD dst_unused:UNUSED_PAD src0_sel:DWORD src1_sel:WORD_1
	v_sub_u32_e32 v15, v35, v15
	v_and_b32_e32 v9, 1, v9
	v_add_u32_e32 v15, 9, v15
	v_cmp_eq_u32_e32 vcc, 1, v12
	v_cndmask_b32_e32 v11, v15, v11, vcc
	v_cmp_eq_u32_e32 vcc, 1, v9
	v_add_u32_e32 v66, v60, v66
	v_cndmask_b32_e32 v9, v11, v10, vcc
	v_add_u32_e32 v52, v59, v52
	v_lshlrev_b32_e32 v9, 2, v9
	v_sub_u32_e32 v11, v66, v8
	ds_write_b32 v9, v16
	v_sub_u32_e32 v9, v52, v7
	v_add_u32_e32 v11, v11, v5
	v_add_u32_e32 v15, v9, v11
	v_and_b32_e32 v12, 1, v45
	v_sub_u32_e32 v15, v35, v15
	v_and_b32_sdwa v10, v27, v41 dst_sel:DWORD dst_unused:UNUSED_PAD src0_sel:DWORD src1_sel:WORD_1
	v_add_u32_e32 v15, 10, v15
	v_cmp_eq_u32_e32 vcc, 1, v12
	v_cndmask_b32_e32 v11, v15, v11, vcc
	v_cmp_eq_u32_e32 vcc, 1, v10
	v_add_u32_e32 v70, v66, v45
	v_cndmask_b32_e32 v9, v11, v9, vcc
	v_add_u32_e32 v61, v52, v61
	v_lshlrev_b32_e32 v9, 2, v9
	v_sub_u32_e32 v11, v70, v8
	ds_write_b32 v9, v13
	v_sub_u32_e32 v9, v61, v7
	v_add_u32_e32 v11, v11, v5
	v_add_u32_e32 v13, v9, v11
	v_and_b32_e32 v12, 1, v40
	v_sub_u32_e32 v13, v35, v13
	v_add_u32_e32 v67, v70, v67
	v_and_b32_e32 v10, 1, v44
	v_add_u32_e32 v13, 11, v13
	v_cmp_eq_u32_e32 vcc, 1, v12
	v_add_u32_e32 v71, v61, v44
	v_cndmask_b32_e32 v11, v13, v11, vcc
	v_cmp_eq_u32_e32 vcc, 1, v10
	v_sub_u32_e32 v10, v67, v8
	v_sub_u32_e32 v7, v71, v7
	v_add_u32_e32 v10, v10, v5
	v_cndmask_b32_e32 v9, v11, v9, vcc
	v_add_u32_e32 v12, v7, v10
	v_lshlrev_b32_e32 v9, 2, v9
	v_and_b32_e32 v11, 1, v43
	v_sub_u32_e32 v12, v35, v12
	ds_write_b32 v9, v14
	v_and_b32_e32 v9, 1, v42
	v_add_u32_e32 v12, 12, v12
	v_cmp_eq_u32_e32 vcc, 1, v11
	v_cndmask_b32_e32 v10, v12, v10, vcc
	v_cmp_eq_u32_e32 vcc, 1, v9
	v_cndmask_b32_e32 v7, v10, v7, vcc
	v_lshlrev_b32_e32 v7, 2, v7
	ds_write_b32 v7, v34
	v_mov_b32_e32 v7, s53
	v_add_co_u32_e32 v9, vcc, s52, v33
	v_addc_co_u32_e32 v10, vcc, 0, v7, vcc
	v_add_co_u32_e32 v7, vcc, v6, v72
	v_addc_co_u32_e64 v11, s[4:5], 0, 0, vcc
	v_add_co_u32_e32 v7, vcc, v7, v29
	v_addc_co_u32_e32 v11, vcc, v11, v30, vcc
	v_add_co_u32_e32 v7, vcc, v7, v1
	v_addc_co_u32_e32 v11, vcc, v11, v2, vcc
	v_sub_co_u32_e32 v7, vcc, v9, v7
	v_subb_co_u32_e32 v13, vcc, v10, v11, vcc
	v_lshlrev_b64 v[9:10], 2, v[29:30]
	v_mov_b32_e32 v11, s51
	v_add_co_u32_e32 v9, vcc, s50, v9
	v_addc_co_u32_e32 v10, vcc, v11, v10, vcc
	v_lshlrev_b64 v[11:12], 2, v[1:2]
	v_mov_b32_e32 v15, s49
	v_add_co_u32_e32 v11, vcc, s48, v11
	v_addc_co_u32_e32 v12, vcc, v15, v12, vcc
	v_add_u32_e32 v14, v5, v6
	s_and_b64 vcc, exec, s[2:3]
	s_mov_b64 s[2:3], -1
	s_waitcnt lgkmcnt(0)
	s_barrier
	s_cbranch_vccz .LBB564_155
; %bb.152:
	s_and_b64 vcc, exec, s[2:3]
	s_cbranch_vccnz .LBB564_260
.LBB564_153:
	s_and_b64 s[0:1], s[0:1], s[34:35]
	s_and_saveexec_b64 s[2:3], s[0:1]
	s_cbranch_execnz .LBB564_378
.LBB564_154:
	s_endpgm
.LBB564_155:
	v_cmp_ge_u32_e32 vcc, v0, v5
	s_and_saveexec_b64 s[2:3], vcc
	s_xor_b64 s[2:3], exec, s[2:3]
	s_cbranch_execz .LBB564_161
; %bb.156:
	v_cmp_ge_u32_e32 vcc, v0, v14
	s_and_saveexec_b64 s[4:5], vcc
	s_xor_b64 s[4:5], exec, s[4:5]
	s_cbranch_execz .LBB564_158
; %bb.157:
	v_add_co_u32_e32 v15, vcc, v7, v0
	v_lshlrev_b32_e32 v17, 2, v0
	v_addc_co_u32_e32 v16, vcc, 0, v13, vcc
	ds_read_b32 v17, v17
	v_lshlrev_b64 v[15:16], 2, v[15:16]
	v_mov_b32_e32 v18, s31
	v_sub_co_u32_e32 v15, vcc, s30, v15
	v_subb_co_u32_e32 v16, vcc, v18, v16, vcc
	s_waitcnt lgkmcnt(0)
	global_store_dword v[15:16], v17, off offset:-4
.LBB564_158:
	s_andn2_saveexec_b64 s[4:5], s[4:5]
	s_cbranch_execz .LBB564_160
; %bb.159:
	v_lshlrev_b32_e32 v15, 2, v0
	ds_read_b32 v16, v15
	v_readfirstlane_b32 s6, v9
	v_readfirstlane_b32 s7, v10
	s_waitcnt lgkmcnt(0)
	s_nop 3
	global_store_dword v15, v16, s[6:7]
.LBB564_160:
	s_or_b64 exec, exec, s[4:5]
.LBB564_161:
	s_andn2_saveexec_b64 s[2:3], s[2:3]
	s_cbranch_execz .LBB564_163
; %bb.162:
	v_lshlrev_b32_e32 v15, 2, v0
	ds_read_b32 v16, v15
	v_readfirstlane_b32 s4, v11
	v_readfirstlane_b32 s5, v12
	s_waitcnt lgkmcnt(0)
	s_nop 3
	global_store_dword v15, v16, s[4:5]
.LBB564_163:
	s_or_b64 exec, exec, s[2:3]
	v_or_b32_e32 v15, 0x100, v0
	v_cmp_ge_u32_e32 vcc, v15, v5
	s_and_saveexec_b64 s[2:3], vcc
	s_xor_b64 s[2:3], exec, s[2:3]
	s_cbranch_execz .LBB564_169
; %bb.164:
	v_cmp_ge_u32_e32 vcc, v15, v14
	s_and_saveexec_b64 s[4:5], vcc
	s_xor_b64 s[4:5], exec, s[4:5]
	s_cbranch_execz .LBB564_166
; %bb.165:
	v_lshlrev_b32_e32 v15, 2, v0
	ds_read_b32 v17, v15 offset:1024
	v_add_co_u32_e32 v15, vcc, v7, v0
	v_addc_co_u32_e32 v16, vcc, 0, v13, vcc
	v_lshlrev_b64 v[15:16], 2, v[15:16]
	v_mov_b32_e32 v18, s31
	v_sub_co_u32_e32 v15, vcc, s30, v15
	v_subb_co_u32_e32 v16, vcc, v18, v16, vcc
	s_waitcnt lgkmcnt(0)
	global_store_dword v[15:16], v17, off offset:-1028
.LBB564_166:
	s_andn2_saveexec_b64 s[4:5], s[4:5]
	s_cbranch_execz .LBB564_168
; %bb.167:
	v_lshlrev_b32_e32 v15, 2, v0
	ds_read_b32 v16, v15 offset:1024
	v_readfirstlane_b32 s6, v9
	v_readfirstlane_b32 s7, v10
	s_waitcnt lgkmcnt(0)
	s_nop 3
	global_store_dword v15, v16, s[6:7] offset:1024
.LBB564_168:
	s_or_b64 exec, exec, s[4:5]
.LBB564_169:
	s_andn2_saveexec_b64 s[2:3], s[2:3]
	s_cbranch_execz .LBB564_171
; %bb.170:
	v_lshlrev_b32_e32 v15, 2, v0
	ds_read_b32 v16, v15 offset:1024
	v_readfirstlane_b32 s4, v11
	v_readfirstlane_b32 s5, v12
	s_waitcnt lgkmcnt(0)
	s_nop 3
	global_store_dword v15, v16, s[4:5] offset:1024
.LBB564_171:
	s_or_b64 exec, exec, s[2:3]
	v_or_b32_e32 v15, 0x200, v0
	v_cmp_ge_u32_e32 vcc, v15, v5
	s_and_saveexec_b64 s[2:3], vcc
	s_xor_b64 s[2:3], exec, s[2:3]
	s_cbranch_execz .LBB564_177
; %bb.172:
	v_cmp_ge_u32_e32 vcc, v15, v14
	s_and_saveexec_b64 s[4:5], vcc
	s_xor_b64 s[4:5], exec, s[4:5]
	s_cbranch_execz .LBB564_174
; %bb.173:
	v_lshlrev_b32_e32 v15, 2, v0
	ds_read_b32 v17, v15 offset:2048
	v_add_co_u32_e32 v15, vcc, v7, v0
	v_addc_co_u32_e32 v16, vcc, 0, v13, vcc
	v_lshlrev_b64 v[15:16], 2, v[15:16]
	v_mov_b32_e32 v18, s31
	v_sub_co_u32_e32 v15, vcc, s30, v15
	v_subb_co_u32_e32 v16, vcc, v18, v16, vcc
	s_waitcnt lgkmcnt(0)
	global_store_dword v[15:16], v17, off offset:-2052
.LBB564_174:
	s_andn2_saveexec_b64 s[4:5], s[4:5]
	s_cbranch_execz .LBB564_176
; %bb.175:
	v_lshlrev_b32_e32 v15, 2, v0
	ds_read_b32 v16, v15 offset:2048
	v_readfirstlane_b32 s6, v9
	v_readfirstlane_b32 s7, v10
	s_waitcnt lgkmcnt(0)
	s_nop 3
	global_store_dword v15, v16, s[6:7] offset:2048
.LBB564_176:
	s_or_b64 exec, exec, s[4:5]
.LBB564_177:
	s_andn2_saveexec_b64 s[2:3], s[2:3]
	s_cbranch_execz .LBB564_179
; %bb.178:
	v_lshlrev_b32_e32 v15, 2, v0
	ds_read_b32 v16, v15 offset:2048
	v_readfirstlane_b32 s4, v11
	v_readfirstlane_b32 s5, v12
	s_waitcnt lgkmcnt(0)
	s_nop 3
	global_store_dword v15, v16, s[4:5] offset:2048
.LBB564_179:
	;; [unrolled: 47-line block ×3, first 2 shown]
	s_or_b64 exec, exec, s[2:3]
	v_or_b32_e32 v15, 0x400, v0
	v_cmp_ge_u32_e32 vcc, v15, v5
	s_and_saveexec_b64 s[2:3], vcc
	s_xor_b64 s[2:3], exec, s[2:3]
	s_cbranch_execz .LBB564_193
; %bb.188:
	v_cmp_ge_u32_e32 vcc, v15, v14
	s_and_saveexec_b64 s[4:5], vcc
	s_xor_b64 s[4:5], exec, s[4:5]
	s_cbranch_execz .LBB564_190
; %bb.189:
	v_lshlrev_b32_e32 v15, 2, v0
	ds_read_b32 v17, v15 offset:4096
	v_add_co_u32_e32 v15, vcc, v7, v0
	v_addc_co_u32_e32 v16, vcc, 0, v13, vcc
	v_lshlrev_b64 v[15:16], 2, v[15:16]
	v_mov_b32_e32 v18, s31
	v_sub_co_u32_e32 v15, vcc, s30, v15
	v_subb_co_u32_e32 v16, vcc, v18, v16, vcc
	v_add_co_u32_e32 v15, vcc, 0xfffff000, v15
	v_addc_co_u32_e32 v16, vcc, -1, v16, vcc
	s_waitcnt lgkmcnt(0)
	global_store_dword v[15:16], v17, off offset:-4
                                        ; implicit-def: $vgpr15
.LBB564_190:
	s_andn2_saveexec_b64 s[4:5], s[4:5]
	s_cbranch_execz .LBB564_192
; %bb.191:
	v_lshlrev_b32_e32 v16, 2, v0
	ds_read_b32 v16, v16 offset:4096
	v_lshlrev_b32_e32 v15, 2, v15
	v_readfirstlane_b32 s6, v9
	v_readfirstlane_b32 s7, v10
	s_waitcnt lgkmcnt(0)
	s_nop 3
	global_store_dword v15, v16, s[6:7]
.LBB564_192:
	s_or_b64 exec, exec, s[4:5]
                                        ; implicit-def: $vgpr15
.LBB564_193:
	s_andn2_saveexec_b64 s[2:3], s[2:3]
	s_cbranch_execz .LBB564_195
; %bb.194:
	v_lshlrev_b32_e32 v16, 2, v0
	ds_read_b32 v16, v16 offset:4096
	v_lshlrev_b32_e32 v15, 2, v15
	v_readfirstlane_b32 s4, v11
	v_readfirstlane_b32 s5, v12
	s_waitcnt lgkmcnt(0)
	s_nop 3
	global_store_dword v15, v16, s[4:5]
.LBB564_195:
	s_or_b64 exec, exec, s[2:3]
	v_or_b32_e32 v15, 0x500, v0
	v_cmp_ge_u32_e32 vcc, v15, v5
	s_and_saveexec_b64 s[2:3], vcc
	s_xor_b64 s[2:3], exec, s[2:3]
	s_cbranch_execz .LBB564_201
; %bb.196:
	v_cmp_ge_u32_e32 vcc, v15, v14
	s_and_saveexec_b64 s[4:5], vcc
	s_xor_b64 s[4:5], exec, s[4:5]
	s_cbranch_execz .LBB564_198
; %bb.197:
	v_add_co_u32_e32 v15, vcc, v7, v15
	v_lshlrev_b32_e32 v17, 2, v0
	v_addc_co_u32_e32 v16, vcc, 0, v13, vcc
	ds_read_b32 v17, v17 offset:5120
	v_lshlrev_b64 v[15:16], 2, v[15:16]
	v_mov_b32_e32 v18, s31
	v_sub_co_u32_e32 v15, vcc, s30, v15
	v_subb_co_u32_e32 v16, vcc, v18, v16, vcc
	s_waitcnt lgkmcnt(0)
	global_store_dword v[15:16], v17, off offset:-4
                                        ; implicit-def: $vgpr15
.LBB564_198:
	s_andn2_saveexec_b64 s[4:5], s[4:5]
	s_cbranch_execz .LBB564_200
; %bb.199:
	v_lshlrev_b32_e32 v16, 2, v0
	ds_read_b32 v16, v16 offset:5120
	v_lshlrev_b32_e32 v15, 2, v15
	v_readfirstlane_b32 s6, v9
	v_readfirstlane_b32 s7, v10
	s_waitcnt lgkmcnt(0)
	s_nop 3
	global_store_dword v15, v16, s[6:7]
.LBB564_200:
	s_or_b64 exec, exec, s[4:5]
                                        ; implicit-def: $vgpr15
.LBB564_201:
	s_andn2_saveexec_b64 s[2:3], s[2:3]
	s_cbranch_execz .LBB564_203
; %bb.202:
	v_lshlrev_b32_e32 v16, 2, v0
	ds_read_b32 v16, v16 offset:5120
	v_lshlrev_b32_e32 v15, 2, v15
	v_readfirstlane_b32 s4, v11
	v_readfirstlane_b32 s5, v12
	s_waitcnt lgkmcnt(0)
	s_nop 3
	global_store_dword v15, v16, s[4:5]
.LBB564_203:
	s_or_b64 exec, exec, s[2:3]
	v_or_b32_e32 v15, 0x600, v0
	v_cmp_ge_u32_e32 vcc, v15, v5
	s_and_saveexec_b64 s[2:3], vcc
	s_xor_b64 s[2:3], exec, s[2:3]
	s_cbranch_execz .LBB564_209
; %bb.204:
	v_cmp_ge_u32_e32 vcc, v15, v14
	s_and_saveexec_b64 s[4:5], vcc
	s_xor_b64 s[4:5], exec, s[4:5]
	s_cbranch_execz .LBB564_206
; %bb.205:
	v_add_co_u32_e32 v15, vcc, v7, v15
	v_lshlrev_b32_e32 v17, 2, v0
	v_addc_co_u32_e32 v16, vcc, 0, v13, vcc
	ds_read_b32 v17, v17 offset:6144
	v_lshlrev_b64 v[15:16], 2, v[15:16]
	v_mov_b32_e32 v18, s31
	v_sub_co_u32_e32 v15, vcc, s30, v15
	v_subb_co_u32_e32 v16, vcc, v18, v16, vcc
	s_waitcnt lgkmcnt(0)
	global_store_dword v[15:16], v17, off offset:-4
                                        ; implicit-def: $vgpr15
.LBB564_206:
	s_andn2_saveexec_b64 s[4:5], s[4:5]
	s_cbranch_execz .LBB564_208
; %bb.207:
	v_lshlrev_b32_e32 v16, 2, v0
	ds_read_b32 v16, v16 offset:6144
	v_lshlrev_b32_e32 v15, 2, v15
	v_readfirstlane_b32 s6, v9
	v_readfirstlane_b32 s7, v10
	s_waitcnt lgkmcnt(0)
	s_nop 3
	global_store_dword v15, v16, s[6:7]
.LBB564_208:
	s_or_b64 exec, exec, s[4:5]
                                        ; implicit-def: $vgpr15
.LBB564_209:
	;; [unrolled: 51-line block ×8, first 2 shown]
	s_andn2_saveexec_b64 s[2:3], s[2:3]
	s_cbranch_execz .LBB564_259
; %bb.258:
	v_lshlrev_b32_e32 v16, 2, v0
	ds_read_b32 v16, v16 offset:12288
	v_lshlrev_b32_e32 v15, 2, v15
	v_readfirstlane_b32 s4, v11
	v_readfirstlane_b32 s5, v12
	s_waitcnt lgkmcnt(0)
	s_nop 3
	global_store_dword v15, v16, s[4:5]
.LBB564_259:
	s_or_b64 exec, exec, s[2:3]
	s_branch .LBB564_153
.LBB564_260:
	v_cmp_gt_u32_e32 vcc, s16, v0
	s_and_saveexec_b64 s[2:3], vcc
	s_cbranch_execz .LBB564_269
; %bb.261:
	v_cmp_ge_u32_e32 vcc, v0, v5
	s_and_saveexec_b64 s[4:5], vcc
	s_xor_b64 s[4:5], exec, s[4:5]
	s_cbranch_execz .LBB564_267
; %bb.262:
	v_cmp_ge_u32_e32 vcc, v0, v14
	s_and_saveexec_b64 s[6:7], vcc
	s_xor_b64 s[6:7], exec, s[6:7]
	s_cbranch_execz .LBB564_264
; %bb.263:
	v_add_co_u32_e32 v15, vcc, v7, v0
	v_lshlrev_b32_e32 v17, 2, v0
	v_addc_co_u32_e32 v16, vcc, 0, v13, vcc
	ds_read_b32 v17, v17
	v_lshlrev_b64 v[15:16], 2, v[15:16]
	v_mov_b32_e32 v18, s31
	v_sub_co_u32_e32 v15, vcc, s30, v15
	v_subb_co_u32_e32 v16, vcc, v18, v16, vcc
	s_waitcnt lgkmcnt(0)
	global_store_dword v[15:16], v17, off offset:-4
.LBB564_264:
	s_andn2_saveexec_b64 s[6:7], s[6:7]
	s_cbranch_execz .LBB564_266
; %bb.265:
	v_lshlrev_b32_e32 v15, 2, v0
	ds_read_b32 v16, v15
	v_readfirstlane_b32 s8, v9
	v_readfirstlane_b32 s9, v10
	s_waitcnt lgkmcnt(0)
	s_nop 3
	global_store_dword v15, v16, s[8:9]
.LBB564_266:
	s_or_b64 exec, exec, s[6:7]
.LBB564_267:
	s_andn2_saveexec_b64 s[4:5], s[4:5]
	s_cbranch_execz .LBB564_269
; %bb.268:
	v_lshlrev_b32_e32 v15, 2, v0
	ds_read_b32 v16, v15
	v_readfirstlane_b32 s4, v11
	v_readfirstlane_b32 s5, v12
	s_waitcnt lgkmcnt(0)
	s_nop 3
	global_store_dword v15, v16, s[4:5]
.LBB564_269:
	s_or_b64 exec, exec, s[2:3]
	v_or_b32_e32 v15, 0x100, v0
	v_cmp_gt_u32_e32 vcc, s16, v15
	s_and_saveexec_b64 s[2:3], vcc
	s_cbranch_execz .LBB564_278
; %bb.270:
	v_cmp_ge_u32_e32 vcc, v15, v5
	s_and_saveexec_b64 s[4:5], vcc
	s_xor_b64 s[4:5], exec, s[4:5]
	s_cbranch_execz .LBB564_276
; %bb.271:
	v_cmp_ge_u32_e32 vcc, v15, v14
	s_and_saveexec_b64 s[6:7], vcc
	s_xor_b64 s[6:7], exec, s[6:7]
	s_cbranch_execz .LBB564_273
; %bb.272:
	v_lshlrev_b32_e32 v15, 2, v0
	ds_read_b32 v17, v15 offset:1024
	v_add_co_u32_e32 v15, vcc, v7, v0
	v_addc_co_u32_e32 v16, vcc, 0, v13, vcc
	v_lshlrev_b64 v[15:16], 2, v[15:16]
	v_mov_b32_e32 v18, s31
	v_sub_co_u32_e32 v15, vcc, s30, v15
	v_subb_co_u32_e32 v16, vcc, v18, v16, vcc
	s_waitcnt lgkmcnt(0)
	global_store_dword v[15:16], v17, off offset:-1028
.LBB564_273:
	s_andn2_saveexec_b64 s[6:7], s[6:7]
	s_cbranch_execz .LBB564_275
; %bb.274:
	v_lshlrev_b32_e32 v15, 2, v0
	ds_read_b32 v16, v15 offset:1024
	v_readfirstlane_b32 s8, v9
	v_readfirstlane_b32 s9, v10
	s_waitcnt lgkmcnt(0)
	s_nop 3
	global_store_dword v15, v16, s[8:9] offset:1024
.LBB564_275:
	s_or_b64 exec, exec, s[6:7]
.LBB564_276:
	s_andn2_saveexec_b64 s[4:5], s[4:5]
	s_cbranch_execz .LBB564_278
; %bb.277:
	v_lshlrev_b32_e32 v15, 2, v0
	ds_read_b32 v16, v15 offset:1024
	v_readfirstlane_b32 s4, v11
	v_readfirstlane_b32 s5, v12
	s_waitcnt lgkmcnt(0)
	s_nop 3
	global_store_dword v15, v16, s[4:5] offset:1024
.LBB564_278:
	s_or_b64 exec, exec, s[2:3]
	v_or_b32_e32 v15, 0x200, v0
	v_cmp_gt_u32_e32 vcc, s16, v15
	s_and_saveexec_b64 s[2:3], vcc
	s_cbranch_execz .LBB564_287
; %bb.279:
	v_cmp_ge_u32_e32 vcc, v15, v5
	s_and_saveexec_b64 s[4:5], vcc
	s_xor_b64 s[4:5], exec, s[4:5]
	s_cbranch_execz .LBB564_285
; %bb.280:
	v_cmp_ge_u32_e32 vcc, v15, v14
	s_and_saveexec_b64 s[6:7], vcc
	s_xor_b64 s[6:7], exec, s[6:7]
	s_cbranch_execz .LBB564_282
; %bb.281:
	v_lshlrev_b32_e32 v15, 2, v0
	ds_read_b32 v17, v15 offset:2048
	v_add_co_u32_e32 v15, vcc, v7, v0
	v_addc_co_u32_e32 v16, vcc, 0, v13, vcc
	v_lshlrev_b64 v[15:16], 2, v[15:16]
	v_mov_b32_e32 v18, s31
	v_sub_co_u32_e32 v15, vcc, s30, v15
	v_subb_co_u32_e32 v16, vcc, v18, v16, vcc
	s_waitcnt lgkmcnt(0)
	global_store_dword v[15:16], v17, off offset:-2052
.LBB564_282:
	s_andn2_saveexec_b64 s[6:7], s[6:7]
	s_cbranch_execz .LBB564_284
; %bb.283:
	v_lshlrev_b32_e32 v15, 2, v0
	ds_read_b32 v16, v15 offset:2048
	v_readfirstlane_b32 s8, v9
	v_readfirstlane_b32 s9, v10
	s_waitcnt lgkmcnt(0)
	s_nop 3
	global_store_dword v15, v16, s[8:9] offset:2048
.LBB564_284:
	s_or_b64 exec, exec, s[6:7]
.LBB564_285:
	s_andn2_saveexec_b64 s[4:5], s[4:5]
	s_cbranch_execz .LBB564_287
; %bb.286:
	v_lshlrev_b32_e32 v15, 2, v0
	ds_read_b32 v16, v15 offset:2048
	v_readfirstlane_b32 s4, v11
	v_readfirstlane_b32 s5, v12
	s_waitcnt lgkmcnt(0)
	s_nop 3
	global_store_dword v15, v16, s[4:5] offset:2048
.LBB564_287:
	;; [unrolled: 51-line block ×3, first 2 shown]
	s_or_b64 exec, exec, s[2:3]
	v_or_b32_e32 v15, 0x400, v0
	v_cmp_gt_u32_e32 vcc, s16, v15
	s_and_saveexec_b64 s[2:3], vcc
	s_cbranch_execz .LBB564_305
; %bb.297:
	v_cmp_ge_u32_e32 vcc, v15, v5
	s_and_saveexec_b64 s[4:5], vcc
	s_xor_b64 s[4:5], exec, s[4:5]
	s_cbranch_execz .LBB564_303
; %bb.298:
	v_cmp_ge_u32_e32 vcc, v15, v14
	s_and_saveexec_b64 s[6:7], vcc
	s_xor_b64 s[6:7], exec, s[6:7]
	s_cbranch_execz .LBB564_300
; %bb.299:
	v_lshlrev_b32_e32 v15, 2, v0
	ds_read_b32 v17, v15 offset:4096
	v_add_co_u32_e32 v15, vcc, v7, v0
	v_addc_co_u32_e32 v16, vcc, 0, v13, vcc
	v_lshlrev_b64 v[15:16], 2, v[15:16]
	v_mov_b32_e32 v18, s31
	v_sub_co_u32_e32 v15, vcc, s30, v15
	v_subb_co_u32_e32 v16, vcc, v18, v16, vcc
	v_add_co_u32_e32 v15, vcc, 0xfffff000, v15
	v_addc_co_u32_e32 v16, vcc, -1, v16, vcc
	s_waitcnt lgkmcnt(0)
	global_store_dword v[15:16], v17, off offset:-4
                                        ; implicit-def: $vgpr15
.LBB564_300:
	s_andn2_saveexec_b64 s[6:7], s[6:7]
	s_cbranch_execz .LBB564_302
; %bb.301:
	v_lshlrev_b32_e32 v16, 2, v0
	ds_read_b32 v16, v16 offset:4096
	v_lshlrev_b32_e32 v15, 2, v15
	v_readfirstlane_b32 s8, v9
	v_readfirstlane_b32 s9, v10
	s_waitcnt lgkmcnt(0)
	s_nop 3
	global_store_dword v15, v16, s[8:9]
.LBB564_302:
	s_or_b64 exec, exec, s[6:7]
                                        ; implicit-def: $vgpr15
.LBB564_303:
	s_andn2_saveexec_b64 s[4:5], s[4:5]
	s_cbranch_execz .LBB564_305
; %bb.304:
	v_lshlrev_b32_e32 v16, 2, v0
	ds_read_b32 v16, v16 offset:4096
	v_lshlrev_b32_e32 v15, 2, v15
	v_readfirstlane_b32 s4, v11
	v_readfirstlane_b32 s5, v12
	s_waitcnt lgkmcnt(0)
	s_nop 3
	global_store_dword v15, v16, s[4:5]
.LBB564_305:
	s_or_b64 exec, exec, s[2:3]
	v_or_b32_e32 v15, 0x500, v0
	v_cmp_gt_u32_e32 vcc, s16, v15
	s_and_saveexec_b64 s[2:3], vcc
	s_cbranch_execz .LBB564_314
; %bb.306:
	v_cmp_ge_u32_e32 vcc, v15, v5
	s_and_saveexec_b64 s[4:5], vcc
	s_xor_b64 s[4:5], exec, s[4:5]
	s_cbranch_execz .LBB564_312
; %bb.307:
	v_cmp_ge_u32_e32 vcc, v15, v14
	s_and_saveexec_b64 s[6:7], vcc
	s_xor_b64 s[6:7], exec, s[6:7]
	s_cbranch_execz .LBB564_309
; %bb.308:
	v_add_co_u32_e32 v15, vcc, v7, v15
	v_lshlrev_b32_e32 v17, 2, v0
	v_addc_co_u32_e32 v16, vcc, 0, v13, vcc
	ds_read_b32 v17, v17 offset:5120
	v_lshlrev_b64 v[15:16], 2, v[15:16]
	v_mov_b32_e32 v18, s31
	v_sub_co_u32_e32 v15, vcc, s30, v15
	v_subb_co_u32_e32 v16, vcc, v18, v16, vcc
	s_waitcnt lgkmcnt(0)
	global_store_dword v[15:16], v17, off offset:-4
                                        ; implicit-def: $vgpr15
.LBB564_309:
	s_andn2_saveexec_b64 s[6:7], s[6:7]
	s_cbranch_execz .LBB564_311
; %bb.310:
	v_lshlrev_b32_e32 v16, 2, v0
	ds_read_b32 v16, v16 offset:5120
	v_lshlrev_b32_e32 v15, 2, v15
	v_readfirstlane_b32 s8, v9
	v_readfirstlane_b32 s9, v10
	s_waitcnt lgkmcnt(0)
	s_nop 3
	global_store_dword v15, v16, s[8:9]
.LBB564_311:
	s_or_b64 exec, exec, s[6:7]
                                        ; implicit-def: $vgpr15
.LBB564_312:
	s_andn2_saveexec_b64 s[4:5], s[4:5]
	s_cbranch_execz .LBB564_314
; %bb.313:
	v_lshlrev_b32_e32 v16, 2, v0
	ds_read_b32 v16, v16 offset:5120
	v_lshlrev_b32_e32 v15, 2, v15
	v_readfirstlane_b32 s4, v11
	v_readfirstlane_b32 s5, v12
	s_waitcnt lgkmcnt(0)
	s_nop 3
	global_store_dword v15, v16, s[4:5]
.LBB564_314:
	s_or_b64 exec, exec, s[2:3]
	v_or_b32_e32 v15, 0x600, v0
	v_cmp_gt_u32_e32 vcc, s16, v15
	s_and_saveexec_b64 s[2:3], vcc
	s_cbranch_execz .LBB564_323
; %bb.315:
	v_cmp_ge_u32_e32 vcc, v15, v5
	s_and_saveexec_b64 s[4:5], vcc
	s_xor_b64 s[4:5], exec, s[4:5]
	s_cbranch_execz .LBB564_321
; %bb.316:
	v_cmp_ge_u32_e32 vcc, v15, v14
	s_and_saveexec_b64 s[6:7], vcc
	s_xor_b64 s[6:7], exec, s[6:7]
	s_cbranch_execz .LBB564_318
; %bb.317:
	v_add_co_u32_e32 v15, vcc, v7, v15
	v_lshlrev_b32_e32 v17, 2, v0
	v_addc_co_u32_e32 v16, vcc, 0, v13, vcc
	ds_read_b32 v17, v17 offset:6144
	v_lshlrev_b64 v[15:16], 2, v[15:16]
	v_mov_b32_e32 v18, s31
	v_sub_co_u32_e32 v15, vcc, s30, v15
	v_subb_co_u32_e32 v16, vcc, v18, v16, vcc
	s_waitcnt lgkmcnt(0)
	global_store_dword v[15:16], v17, off offset:-4
                                        ; implicit-def: $vgpr15
.LBB564_318:
	s_andn2_saveexec_b64 s[6:7], s[6:7]
	s_cbranch_execz .LBB564_320
; %bb.319:
	v_lshlrev_b32_e32 v16, 2, v0
	ds_read_b32 v16, v16 offset:6144
	v_lshlrev_b32_e32 v15, 2, v15
	v_readfirstlane_b32 s8, v9
	v_readfirstlane_b32 s9, v10
	s_waitcnt lgkmcnt(0)
	s_nop 3
	global_store_dword v15, v16, s[8:9]
.LBB564_320:
	s_or_b64 exec, exec, s[6:7]
                                        ; implicit-def: $vgpr15
.LBB564_321:
	s_andn2_saveexec_b64 s[4:5], s[4:5]
	s_cbranch_execz .LBB564_323
; %bb.322:
	v_lshlrev_b32_e32 v16, 2, v0
	ds_read_b32 v16, v16 offset:6144
	v_lshlrev_b32_e32 v15, 2, v15
	v_readfirstlane_b32 s4, v11
	v_readfirstlane_b32 s5, v12
	s_waitcnt lgkmcnt(0)
	s_nop 3
	global_store_dword v15, v16, s[4:5]
.LBB564_323:
	;; [unrolled: 55-line block ×7, first 2 shown]
	s_or_b64 exec, exec, s[2:3]
	v_or_b32_e32 v15, 0xc00, v0
	v_cmp_gt_u32_e32 vcc, s16, v15
	s_and_saveexec_b64 s[2:3], vcc
	s_cbranch_execz .LBB564_377
; %bb.369:
	v_cmp_ge_u32_e32 vcc, v15, v5
	s_and_saveexec_b64 s[4:5], vcc
	s_xor_b64 s[4:5], exec, s[4:5]
	s_cbranch_execz .LBB564_375
; %bb.370:
	v_cmp_ge_u32_e32 vcc, v15, v14
	s_and_saveexec_b64 s[6:7], vcc
	s_xor_b64 s[6:7], exec, s[6:7]
	s_cbranch_execz .LBB564_372
; %bb.371:
	v_add_co_u32_e32 v9, vcc, v7, v15
	v_lshlrev_b32_e32 v0, 2, v0
	v_addc_co_u32_e32 v10, vcc, 0, v13, vcc
	ds_read_b32 v0, v0 offset:12288
	v_lshlrev_b64 v[9:10], 2, v[9:10]
	v_mov_b32_e32 v7, s31
	v_sub_co_u32_e32 v9, vcc, s30, v9
	v_subb_co_u32_e32 v10, vcc, v7, v10, vcc
	s_waitcnt lgkmcnt(0)
	global_store_dword v[9:10], v0, off offset:-4
                                        ; implicit-def: $vgpr0
                                        ; implicit-def: $vgpr15
                                        ; implicit-def: $vgpr9_vgpr10
.LBB564_372:
	s_andn2_saveexec_b64 s[6:7], s[6:7]
	s_cbranch_execz .LBB564_374
; %bb.373:
	v_lshlrev_b32_e32 v0, 2, v0
	ds_read_b32 v0, v0 offset:12288
	v_lshlrev_b32_e32 v7, 2, v15
	v_readfirstlane_b32 s8, v9
	v_readfirstlane_b32 s9, v10
	s_waitcnt lgkmcnt(0)
	s_nop 3
	global_store_dword v7, v0, s[8:9]
.LBB564_374:
	s_or_b64 exec, exec, s[6:7]
                                        ; implicit-def: $vgpr0
                                        ; implicit-def: $vgpr15
                                        ; implicit-def: $vgpr11_vgpr12
.LBB564_375:
	s_andn2_saveexec_b64 s[4:5], s[4:5]
	s_cbranch_execz .LBB564_377
; %bb.376:
	v_lshlrev_b32_e32 v0, 2, v0
	ds_read_b32 v0, v0 offset:12288
	v_lshlrev_b32_e32 v7, 2, v15
	v_readfirstlane_b32 s4, v11
	v_readfirstlane_b32 s5, v12
	s_waitcnt lgkmcnt(0)
	s_nop 3
	global_store_dword v7, v0, s[4:5]
.LBB564_377:
	s_or_b64 exec, exec, s[2:3]
	s_and_b64 s[0:1], s[0:1], s[34:35]
	s_and_saveexec_b64 s[2:3], s[0:1]
	s_cbranch_execz .LBB564_154
.LBB564_378:
	v_add_co_u32_e32 v3, vcc, v3, v6
	v_addc_co_u32_e32 v4, vcc, 0, v4, vcc
	v_add_co_u32_e32 v3, vcc, v3, v8
	v_addc_co_u32_e32 v4, vcc, 0, v4, vcc
	v_add_co_u32_e32 v1, vcc, v1, v5
	v_mov_b32_e32 v0, 0
	v_addc_co_u32_e32 v2, vcc, 0, v2, vcc
	global_store_dwordx4 v0, v[1:4], s[44:45]
	s_endpgm
.LBB564_379:
	s_add_i32 s14, s33, 64
	s_mov_b32 s15, 0
	s_lshl_b64 s[14:15], s[14:15], 4
	s_add_u32 s14, s54, s14
	s_addc_u32 s15, s55, s15
	v_mov_b32_e32 v28, s15
	v_add_u32_e32 v10, v8, v6
	v_add_u32_e32 v9, v7, v5
	v_mov_b32_e32 v11, 2
	v_mov_b32_e32 v12, 0
	;; [unrolled: 1-line block ×3, first 2 shown]
	;;#ASMSTART
	global_store_dwordx4 v[27:28], v[9:12] off	
s_waitcnt vmcnt(0)
	;;#ASMEND
	s_or_b64 exec, exec, s[12:13]
	s_and_saveexec_b64 s[12:13], s[8:9]
	s_cbranch_execz .LBB564_139
.LBB564_380:
	v_mov_b32_e32 v9, 0
	ds_write_b128 v9, v[5:8] offset:13312
	s_or_b64 exec, exec, s[12:13]
	s_and_b64 exec, exec, s[0:1]
	s_cbranch_execnz .LBB564_140
	s_branch .LBB564_141
	.section	.rodata,"a",@progbits
	.p2align	6, 0x0
	.amdhsa_kernel _ZN7rocprim17ROCPRIM_400000_NS6detail17trampoline_kernelINS0_13select_configILj256ELj13ELNS0_17block_load_methodE3ELS4_3ELS4_3ELNS0_20block_scan_algorithmE0ELj4294967295EEENS1_25partition_config_selectorILNS1_17partition_subalgoE4EjNS0_10empty_typeEbEEZZNS1_14partition_implILS8_4ELb0ES6_15HIP_vector_typeIjLj2EENS0_17counting_iteratorIjlEEPS9_SG_NS0_5tupleIJPjSI_NS0_16reverse_iteratorISI_EEEEENSH_IJSG_SG_SG_EEES9_SI_JZNS1_25segmented_radix_sort_implINS0_14default_configELb0EPKiPiPKlPlN2at6native12_GLOBAL__N_18offset_tEEE10hipError_tPvRmT1_PNSt15iterator_traitsIS12_E10value_typeET2_T3_PNS13_IS18_E10value_typeET4_jRbjT5_S1E_jjP12ihipStream_tbEUljE_ZNSN_ISO_Lb0ESQ_SR_ST_SU_SY_EESZ_S10_S11_S12_S16_S17_S18_S1B_S1C_jS1D_jS1E_S1E_jjS1G_bEUljE0_EEESZ_S10_S11_S18_S1C_S1E_T6_T7_T9_mT8_S1G_bDpT10_ENKUlT_T0_E_clISt17integral_constantIbLb0EES1T_IbLb1EEEEDaS1P_S1Q_EUlS1P_E_NS1_11comp_targetILNS1_3genE2ELNS1_11target_archE906ELNS1_3gpuE6ELNS1_3repE0EEENS1_30default_config_static_selectorELNS0_4arch9wavefront6targetE1EEEvS12_
		.amdhsa_group_segment_fixed_size 13328
		.amdhsa_private_segment_fixed_size 0
		.amdhsa_kernarg_size 184
		.amdhsa_user_sgpr_count 6
		.amdhsa_user_sgpr_private_segment_buffer 1
		.amdhsa_user_sgpr_dispatch_ptr 0
		.amdhsa_user_sgpr_queue_ptr 0
		.amdhsa_user_sgpr_kernarg_segment_ptr 1
		.amdhsa_user_sgpr_dispatch_id 0
		.amdhsa_user_sgpr_flat_scratch_init 0
		.amdhsa_user_sgpr_private_segment_size 0
		.amdhsa_uses_dynamic_stack 0
		.amdhsa_system_sgpr_private_segment_wavefront_offset 0
		.amdhsa_system_sgpr_workgroup_id_x 1
		.amdhsa_system_sgpr_workgroup_id_y 0
		.amdhsa_system_sgpr_workgroup_id_z 0
		.amdhsa_system_sgpr_workgroup_info 0
		.amdhsa_system_vgpr_workitem_id 0
		.amdhsa_next_free_vgpr 91
		.amdhsa_next_free_sgpr 98
		.amdhsa_reserve_vcc 1
		.amdhsa_reserve_flat_scratch 0
		.amdhsa_float_round_mode_32 0
		.amdhsa_float_round_mode_16_64 0
		.amdhsa_float_denorm_mode_32 3
		.amdhsa_float_denorm_mode_16_64 3
		.amdhsa_dx10_clamp 1
		.amdhsa_ieee_mode 1
		.amdhsa_fp16_overflow 0
		.amdhsa_exception_fp_ieee_invalid_op 0
		.amdhsa_exception_fp_denorm_src 0
		.amdhsa_exception_fp_ieee_div_zero 0
		.amdhsa_exception_fp_ieee_overflow 0
		.amdhsa_exception_fp_ieee_underflow 0
		.amdhsa_exception_fp_ieee_inexact 0
		.amdhsa_exception_int_div_zero 0
	.end_amdhsa_kernel
	.section	.text._ZN7rocprim17ROCPRIM_400000_NS6detail17trampoline_kernelINS0_13select_configILj256ELj13ELNS0_17block_load_methodE3ELS4_3ELS4_3ELNS0_20block_scan_algorithmE0ELj4294967295EEENS1_25partition_config_selectorILNS1_17partition_subalgoE4EjNS0_10empty_typeEbEEZZNS1_14partition_implILS8_4ELb0ES6_15HIP_vector_typeIjLj2EENS0_17counting_iteratorIjlEEPS9_SG_NS0_5tupleIJPjSI_NS0_16reverse_iteratorISI_EEEEENSH_IJSG_SG_SG_EEES9_SI_JZNS1_25segmented_radix_sort_implINS0_14default_configELb0EPKiPiPKlPlN2at6native12_GLOBAL__N_18offset_tEEE10hipError_tPvRmT1_PNSt15iterator_traitsIS12_E10value_typeET2_T3_PNS13_IS18_E10value_typeET4_jRbjT5_S1E_jjP12ihipStream_tbEUljE_ZNSN_ISO_Lb0ESQ_SR_ST_SU_SY_EESZ_S10_S11_S12_S16_S17_S18_S1B_S1C_jS1D_jS1E_S1E_jjS1G_bEUljE0_EEESZ_S10_S11_S18_S1C_S1E_T6_T7_T9_mT8_S1G_bDpT10_ENKUlT_T0_E_clISt17integral_constantIbLb0EES1T_IbLb1EEEEDaS1P_S1Q_EUlS1P_E_NS1_11comp_targetILNS1_3genE2ELNS1_11target_archE906ELNS1_3gpuE6ELNS1_3repE0EEENS1_30default_config_static_selectorELNS0_4arch9wavefront6targetE1EEEvS12_,"axG",@progbits,_ZN7rocprim17ROCPRIM_400000_NS6detail17trampoline_kernelINS0_13select_configILj256ELj13ELNS0_17block_load_methodE3ELS4_3ELS4_3ELNS0_20block_scan_algorithmE0ELj4294967295EEENS1_25partition_config_selectorILNS1_17partition_subalgoE4EjNS0_10empty_typeEbEEZZNS1_14partition_implILS8_4ELb0ES6_15HIP_vector_typeIjLj2EENS0_17counting_iteratorIjlEEPS9_SG_NS0_5tupleIJPjSI_NS0_16reverse_iteratorISI_EEEEENSH_IJSG_SG_SG_EEES9_SI_JZNS1_25segmented_radix_sort_implINS0_14default_configELb0EPKiPiPKlPlN2at6native12_GLOBAL__N_18offset_tEEE10hipError_tPvRmT1_PNSt15iterator_traitsIS12_E10value_typeET2_T3_PNS13_IS18_E10value_typeET4_jRbjT5_S1E_jjP12ihipStream_tbEUljE_ZNSN_ISO_Lb0ESQ_SR_ST_SU_SY_EESZ_S10_S11_S12_S16_S17_S18_S1B_S1C_jS1D_jS1E_S1E_jjS1G_bEUljE0_EEESZ_S10_S11_S18_S1C_S1E_T6_T7_T9_mT8_S1G_bDpT10_ENKUlT_T0_E_clISt17integral_constantIbLb0EES1T_IbLb1EEEEDaS1P_S1Q_EUlS1P_E_NS1_11comp_targetILNS1_3genE2ELNS1_11target_archE906ELNS1_3gpuE6ELNS1_3repE0EEENS1_30default_config_static_selectorELNS0_4arch9wavefront6targetE1EEEvS12_,comdat
.Lfunc_end564:
	.size	_ZN7rocprim17ROCPRIM_400000_NS6detail17trampoline_kernelINS0_13select_configILj256ELj13ELNS0_17block_load_methodE3ELS4_3ELS4_3ELNS0_20block_scan_algorithmE0ELj4294967295EEENS1_25partition_config_selectorILNS1_17partition_subalgoE4EjNS0_10empty_typeEbEEZZNS1_14partition_implILS8_4ELb0ES6_15HIP_vector_typeIjLj2EENS0_17counting_iteratorIjlEEPS9_SG_NS0_5tupleIJPjSI_NS0_16reverse_iteratorISI_EEEEENSH_IJSG_SG_SG_EEES9_SI_JZNS1_25segmented_radix_sort_implINS0_14default_configELb0EPKiPiPKlPlN2at6native12_GLOBAL__N_18offset_tEEE10hipError_tPvRmT1_PNSt15iterator_traitsIS12_E10value_typeET2_T3_PNS13_IS18_E10value_typeET4_jRbjT5_S1E_jjP12ihipStream_tbEUljE_ZNSN_ISO_Lb0ESQ_SR_ST_SU_SY_EESZ_S10_S11_S12_S16_S17_S18_S1B_S1C_jS1D_jS1E_S1E_jjS1G_bEUljE0_EEESZ_S10_S11_S18_S1C_S1E_T6_T7_T9_mT8_S1G_bDpT10_ENKUlT_T0_E_clISt17integral_constantIbLb0EES1T_IbLb1EEEEDaS1P_S1Q_EUlS1P_E_NS1_11comp_targetILNS1_3genE2ELNS1_11target_archE906ELNS1_3gpuE6ELNS1_3repE0EEENS1_30default_config_static_selectorELNS0_4arch9wavefront6targetE1EEEvS12_, .Lfunc_end564-_ZN7rocprim17ROCPRIM_400000_NS6detail17trampoline_kernelINS0_13select_configILj256ELj13ELNS0_17block_load_methodE3ELS4_3ELS4_3ELNS0_20block_scan_algorithmE0ELj4294967295EEENS1_25partition_config_selectorILNS1_17partition_subalgoE4EjNS0_10empty_typeEbEEZZNS1_14partition_implILS8_4ELb0ES6_15HIP_vector_typeIjLj2EENS0_17counting_iteratorIjlEEPS9_SG_NS0_5tupleIJPjSI_NS0_16reverse_iteratorISI_EEEEENSH_IJSG_SG_SG_EEES9_SI_JZNS1_25segmented_radix_sort_implINS0_14default_configELb0EPKiPiPKlPlN2at6native12_GLOBAL__N_18offset_tEEE10hipError_tPvRmT1_PNSt15iterator_traitsIS12_E10value_typeET2_T3_PNS13_IS18_E10value_typeET4_jRbjT5_S1E_jjP12ihipStream_tbEUljE_ZNSN_ISO_Lb0ESQ_SR_ST_SU_SY_EESZ_S10_S11_S12_S16_S17_S18_S1B_S1C_jS1D_jS1E_S1E_jjS1G_bEUljE0_EEESZ_S10_S11_S18_S1C_S1E_T6_T7_T9_mT8_S1G_bDpT10_ENKUlT_T0_E_clISt17integral_constantIbLb0EES1T_IbLb1EEEEDaS1P_S1Q_EUlS1P_E_NS1_11comp_targetILNS1_3genE2ELNS1_11target_archE906ELNS1_3gpuE6ELNS1_3repE0EEENS1_30default_config_static_selectorELNS0_4arch9wavefront6targetE1EEEvS12_
                                        ; -- End function
	.set _ZN7rocprim17ROCPRIM_400000_NS6detail17trampoline_kernelINS0_13select_configILj256ELj13ELNS0_17block_load_methodE3ELS4_3ELS4_3ELNS0_20block_scan_algorithmE0ELj4294967295EEENS1_25partition_config_selectorILNS1_17partition_subalgoE4EjNS0_10empty_typeEbEEZZNS1_14partition_implILS8_4ELb0ES6_15HIP_vector_typeIjLj2EENS0_17counting_iteratorIjlEEPS9_SG_NS0_5tupleIJPjSI_NS0_16reverse_iteratorISI_EEEEENSH_IJSG_SG_SG_EEES9_SI_JZNS1_25segmented_radix_sort_implINS0_14default_configELb0EPKiPiPKlPlN2at6native12_GLOBAL__N_18offset_tEEE10hipError_tPvRmT1_PNSt15iterator_traitsIS12_E10value_typeET2_T3_PNS13_IS18_E10value_typeET4_jRbjT5_S1E_jjP12ihipStream_tbEUljE_ZNSN_ISO_Lb0ESQ_SR_ST_SU_SY_EESZ_S10_S11_S12_S16_S17_S18_S1B_S1C_jS1D_jS1E_S1E_jjS1G_bEUljE0_EEESZ_S10_S11_S18_S1C_S1E_T6_T7_T9_mT8_S1G_bDpT10_ENKUlT_T0_E_clISt17integral_constantIbLb0EES1T_IbLb1EEEEDaS1P_S1Q_EUlS1P_E_NS1_11comp_targetILNS1_3genE2ELNS1_11target_archE906ELNS1_3gpuE6ELNS1_3repE0EEENS1_30default_config_static_selectorELNS0_4arch9wavefront6targetE1EEEvS12_.num_vgpr, 91
	.set _ZN7rocprim17ROCPRIM_400000_NS6detail17trampoline_kernelINS0_13select_configILj256ELj13ELNS0_17block_load_methodE3ELS4_3ELS4_3ELNS0_20block_scan_algorithmE0ELj4294967295EEENS1_25partition_config_selectorILNS1_17partition_subalgoE4EjNS0_10empty_typeEbEEZZNS1_14partition_implILS8_4ELb0ES6_15HIP_vector_typeIjLj2EENS0_17counting_iteratorIjlEEPS9_SG_NS0_5tupleIJPjSI_NS0_16reverse_iteratorISI_EEEEENSH_IJSG_SG_SG_EEES9_SI_JZNS1_25segmented_radix_sort_implINS0_14default_configELb0EPKiPiPKlPlN2at6native12_GLOBAL__N_18offset_tEEE10hipError_tPvRmT1_PNSt15iterator_traitsIS12_E10value_typeET2_T3_PNS13_IS18_E10value_typeET4_jRbjT5_S1E_jjP12ihipStream_tbEUljE_ZNSN_ISO_Lb0ESQ_SR_ST_SU_SY_EESZ_S10_S11_S12_S16_S17_S18_S1B_S1C_jS1D_jS1E_S1E_jjS1G_bEUljE0_EEESZ_S10_S11_S18_S1C_S1E_T6_T7_T9_mT8_S1G_bDpT10_ENKUlT_T0_E_clISt17integral_constantIbLb0EES1T_IbLb1EEEEDaS1P_S1Q_EUlS1P_E_NS1_11comp_targetILNS1_3genE2ELNS1_11target_archE906ELNS1_3gpuE6ELNS1_3repE0EEENS1_30default_config_static_selectorELNS0_4arch9wavefront6targetE1EEEvS12_.num_agpr, 0
	.set _ZN7rocprim17ROCPRIM_400000_NS6detail17trampoline_kernelINS0_13select_configILj256ELj13ELNS0_17block_load_methodE3ELS4_3ELS4_3ELNS0_20block_scan_algorithmE0ELj4294967295EEENS1_25partition_config_selectorILNS1_17partition_subalgoE4EjNS0_10empty_typeEbEEZZNS1_14partition_implILS8_4ELb0ES6_15HIP_vector_typeIjLj2EENS0_17counting_iteratorIjlEEPS9_SG_NS0_5tupleIJPjSI_NS0_16reverse_iteratorISI_EEEEENSH_IJSG_SG_SG_EEES9_SI_JZNS1_25segmented_radix_sort_implINS0_14default_configELb0EPKiPiPKlPlN2at6native12_GLOBAL__N_18offset_tEEE10hipError_tPvRmT1_PNSt15iterator_traitsIS12_E10value_typeET2_T3_PNS13_IS18_E10value_typeET4_jRbjT5_S1E_jjP12ihipStream_tbEUljE_ZNSN_ISO_Lb0ESQ_SR_ST_SU_SY_EESZ_S10_S11_S12_S16_S17_S18_S1B_S1C_jS1D_jS1E_S1E_jjS1G_bEUljE0_EEESZ_S10_S11_S18_S1C_S1E_T6_T7_T9_mT8_S1G_bDpT10_ENKUlT_T0_E_clISt17integral_constantIbLb0EES1T_IbLb1EEEEDaS1P_S1Q_EUlS1P_E_NS1_11comp_targetILNS1_3genE2ELNS1_11target_archE906ELNS1_3gpuE6ELNS1_3repE0EEENS1_30default_config_static_selectorELNS0_4arch9wavefront6targetE1EEEvS12_.numbered_sgpr, 87
	.set _ZN7rocprim17ROCPRIM_400000_NS6detail17trampoline_kernelINS0_13select_configILj256ELj13ELNS0_17block_load_methodE3ELS4_3ELS4_3ELNS0_20block_scan_algorithmE0ELj4294967295EEENS1_25partition_config_selectorILNS1_17partition_subalgoE4EjNS0_10empty_typeEbEEZZNS1_14partition_implILS8_4ELb0ES6_15HIP_vector_typeIjLj2EENS0_17counting_iteratorIjlEEPS9_SG_NS0_5tupleIJPjSI_NS0_16reverse_iteratorISI_EEEEENSH_IJSG_SG_SG_EEES9_SI_JZNS1_25segmented_radix_sort_implINS0_14default_configELb0EPKiPiPKlPlN2at6native12_GLOBAL__N_18offset_tEEE10hipError_tPvRmT1_PNSt15iterator_traitsIS12_E10value_typeET2_T3_PNS13_IS18_E10value_typeET4_jRbjT5_S1E_jjP12ihipStream_tbEUljE_ZNSN_ISO_Lb0ESQ_SR_ST_SU_SY_EESZ_S10_S11_S12_S16_S17_S18_S1B_S1C_jS1D_jS1E_S1E_jjS1G_bEUljE0_EEESZ_S10_S11_S18_S1C_S1E_T6_T7_T9_mT8_S1G_bDpT10_ENKUlT_T0_E_clISt17integral_constantIbLb0EES1T_IbLb1EEEEDaS1P_S1Q_EUlS1P_E_NS1_11comp_targetILNS1_3genE2ELNS1_11target_archE906ELNS1_3gpuE6ELNS1_3repE0EEENS1_30default_config_static_selectorELNS0_4arch9wavefront6targetE1EEEvS12_.num_named_barrier, 0
	.set _ZN7rocprim17ROCPRIM_400000_NS6detail17trampoline_kernelINS0_13select_configILj256ELj13ELNS0_17block_load_methodE3ELS4_3ELS4_3ELNS0_20block_scan_algorithmE0ELj4294967295EEENS1_25partition_config_selectorILNS1_17partition_subalgoE4EjNS0_10empty_typeEbEEZZNS1_14partition_implILS8_4ELb0ES6_15HIP_vector_typeIjLj2EENS0_17counting_iteratorIjlEEPS9_SG_NS0_5tupleIJPjSI_NS0_16reverse_iteratorISI_EEEEENSH_IJSG_SG_SG_EEES9_SI_JZNS1_25segmented_radix_sort_implINS0_14default_configELb0EPKiPiPKlPlN2at6native12_GLOBAL__N_18offset_tEEE10hipError_tPvRmT1_PNSt15iterator_traitsIS12_E10value_typeET2_T3_PNS13_IS18_E10value_typeET4_jRbjT5_S1E_jjP12ihipStream_tbEUljE_ZNSN_ISO_Lb0ESQ_SR_ST_SU_SY_EESZ_S10_S11_S12_S16_S17_S18_S1B_S1C_jS1D_jS1E_S1E_jjS1G_bEUljE0_EEESZ_S10_S11_S18_S1C_S1E_T6_T7_T9_mT8_S1G_bDpT10_ENKUlT_T0_E_clISt17integral_constantIbLb0EES1T_IbLb1EEEEDaS1P_S1Q_EUlS1P_E_NS1_11comp_targetILNS1_3genE2ELNS1_11target_archE906ELNS1_3gpuE6ELNS1_3repE0EEENS1_30default_config_static_selectorELNS0_4arch9wavefront6targetE1EEEvS12_.private_seg_size, 0
	.set _ZN7rocprim17ROCPRIM_400000_NS6detail17trampoline_kernelINS0_13select_configILj256ELj13ELNS0_17block_load_methodE3ELS4_3ELS4_3ELNS0_20block_scan_algorithmE0ELj4294967295EEENS1_25partition_config_selectorILNS1_17partition_subalgoE4EjNS0_10empty_typeEbEEZZNS1_14partition_implILS8_4ELb0ES6_15HIP_vector_typeIjLj2EENS0_17counting_iteratorIjlEEPS9_SG_NS0_5tupleIJPjSI_NS0_16reverse_iteratorISI_EEEEENSH_IJSG_SG_SG_EEES9_SI_JZNS1_25segmented_radix_sort_implINS0_14default_configELb0EPKiPiPKlPlN2at6native12_GLOBAL__N_18offset_tEEE10hipError_tPvRmT1_PNSt15iterator_traitsIS12_E10value_typeET2_T3_PNS13_IS18_E10value_typeET4_jRbjT5_S1E_jjP12ihipStream_tbEUljE_ZNSN_ISO_Lb0ESQ_SR_ST_SU_SY_EESZ_S10_S11_S12_S16_S17_S18_S1B_S1C_jS1D_jS1E_S1E_jjS1G_bEUljE0_EEESZ_S10_S11_S18_S1C_S1E_T6_T7_T9_mT8_S1G_bDpT10_ENKUlT_T0_E_clISt17integral_constantIbLb0EES1T_IbLb1EEEEDaS1P_S1Q_EUlS1P_E_NS1_11comp_targetILNS1_3genE2ELNS1_11target_archE906ELNS1_3gpuE6ELNS1_3repE0EEENS1_30default_config_static_selectorELNS0_4arch9wavefront6targetE1EEEvS12_.uses_vcc, 1
	.set _ZN7rocprim17ROCPRIM_400000_NS6detail17trampoline_kernelINS0_13select_configILj256ELj13ELNS0_17block_load_methodE3ELS4_3ELS4_3ELNS0_20block_scan_algorithmE0ELj4294967295EEENS1_25partition_config_selectorILNS1_17partition_subalgoE4EjNS0_10empty_typeEbEEZZNS1_14partition_implILS8_4ELb0ES6_15HIP_vector_typeIjLj2EENS0_17counting_iteratorIjlEEPS9_SG_NS0_5tupleIJPjSI_NS0_16reverse_iteratorISI_EEEEENSH_IJSG_SG_SG_EEES9_SI_JZNS1_25segmented_radix_sort_implINS0_14default_configELb0EPKiPiPKlPlN2at6native12_GLOBAL__N_18offset_tEEE10hipError_tPvRmT1_PNSt15iterator_traitsIS12_E10value_typeET2_T3_PNS13_IS18_E10value_typeET4_jRbjT5_S1E_jjP12ihipStream_tbEUljE_ZNSN_ISO_Lb0ESQ_SR_ST_SU_SY_EESZ_S10_S11_S12_S16_S17_S18_S1B_S1C_jS1D_jS1E_S1E_jjS1G_bEUljE0_EEESZ_S10_S11_S18_S1C_S1E_T6_T7_T9_mT8_S1G_bDpT10_ENKUlT_T0_E_clISt17integral_constantIbLb0EES1T_IbLb1EEEEDaS1P_S1Q_EUlS1P_E_NS1_11comp_targetILNS1_3genE2ELNS1_11target_archE906ELNS1_3gpuE6ELNS1_3repE0EEENS1_30default_config_static_selectorELNS0_4arch9wavefront6targetE1EEEvS12_.uses_flat_scratch, 0
	.set _ZN7rocprim17ROCPRIM_400000_NS6detail17trampoline_kernelINS0_13select_configILj256ELj13ELNS0_17block_load_methodE3ELS4_3ELS4_3ELNS0_20block_scan_algorithmE0ELj4294967295EEENS1_25partition_config_selectorILNS1_17partition_subalgoE4EjNS0_10empty_typeEbEEZZNS1_14partition_implILS8_4ELb0ES6_15HIP_vector_typeIjLj2EENS0_17counting_iteratorIjlEEPS9_SG_NS0_5tupleIJPjSI_NS0_16reverse_iteratorISI_EEEEENSH_IJSG_SG_SG_EEES9_SI_JZNS1_25segmented_radix_sort_implINS0_14default_configELb0EPKiPiPKlPlN2at6native12_GLOBAL__N_18offset_tEEE10hipError_tPvRmT1_PNSt15iterator_traitsIS12_E10value_typeET2_T3_PNS13_IS18_E10value_typeET4_jRbjT5_S1E_jjP12ihipStream_tbEUljE_ZNSN_ISO_Lb0ESQ_SR_ST_SU_SY_EESZ_S10_S11_S12_S16_S17_S18_S1B_S1C_jS1D_jS1E_S1E_jjS1G_bEUljE0_EEESZ_S10_S11_S18_S1C_S1E_T6_T7_T9_mT8_S1G_bDpT10_ENKUlT_T0_E_clISt17integral_constantIbLb0EES1T_IbLb1EEEEDaS1P_S1Q_EUlS1P_E_NS1_11comp_targetILNS1_3genE2ELNS1_11target_archE906ELNS1_3gpuE6ELNS1_3repE0EEENS1_30default_config_static_selectorELNS0_4arch9wavefront6targetE1EEEvS12_.has_dyn_sized_stack, 0
	.set _ZN7rocprim17ROCPRIM_400000_NS6detail17trampoline_kernelINS0_13select_configILj256ELj13ELNS0_17block_load_methodE3ELS4_3ELS4_3ELNS0_20block_scan_algorithmE0ELj4294967295EEENS1_25partition_config_selectorILNS1_17partition_subalgoE4EjNS0_10empty_typeEbEEZZNS1_14partition_implILS8_4ELb0ES6_15HIP_vector_typeIjLj2EENS0_17counting_iteratorIjlEEPS9_SG_NS0_5tupleIJPjSI_NS0_16reverse_iteratorISI_EEEEENSH_IJSG_SG_SG_EEES9_SI_JZNS1_25segmented_radix_sort_implINS0_14default_configELb0EPKiPiPKlPlN2at6native12_GLOBAL__N_18offset_tEEE10hipError_tPvRmT1_PNSt15iterator_traitsIS12_E10value_typeET2_T3_PNS13_IS18_E10value_typeET4_jRbjT5_S1E_jjP12ihipStream_tbEUljE_ZNSN_ISO_Lb0ESQ_SR_ST_SU_SY_EESZ_S10_S11_S12_S16_S17_S18_S1B_S1C_jS1D_jS1E_S1E_jjS1G_bEUljE0_EEESZ_S10_S11_S18_S1C_S1E_T6_T7_T9_mT8_S1G_bDpT10_ENKUlT_T0_E_clISt17integral_constantIbLb0EES1T_IbLb1EEEEDaS1P_S1Q_EUlS1P_E_NS1_11comp_targetILNS1_3genE2ELNS1_11target_archE906ELNS1_3gpuE6ELNS1_3repE0EEENS1_30default_config_static_selectorELNS0_4arch9wavefront6targetE1EEEvS12_.has_recursion, 0
	.set _ZN7rocprim17ROCPRIM_400000_NS6detail17trampoline_kernelINS0_13select_configILj256ELj13ELNS0_17block_load_methodE3ELS4_3ELS4_3ELNS0_20block_scan_algorithmE0ELj4294967295EEENS1_25partition_config_selectorILNS1_17partition_subalgoE4EjNS0_10empty_typeEbEEZZNS1_14partition_implILS8_4ELb0ES6_15HIP_vector_typeIjLj2EENS0_17counting_iteratorIjlEEPS9_SG_NS0_5tupleIJPjSI_NS0_16reverse_iteratorISI_EEEEENSH_IJSG_SG_SG_EEES9_SI_JZNS1_25segmented_radix_sort_implINS0_14default_configELb0EPKiPiPKlPlN2at6native12_GLOBAL__N_18offset_tEEE10hipError_tPvRmT1_PNSt15iterator_traitsIS12_E10value_typeET2_T3_PNS13_IS18_E10value_typeET4_jRbjT5_S1E_jjP12ihipStream_tbEUljE_ZNSN_ISO_Lb0ESQ_SR_ST_SU_SY_EESZ_S10_S11_S12_S16_S17_S18_S1B_S1C_jS1D_jS1E_S1E_jjS1G_bEUljE0_EEESZ_S10_S11_S18_S1C_S1E_T6_T7_T9_mT8_S1G_bDpT10_ENKUlT_T0_E_clISt17integral_constantIbLb0EES1T_IbLb1EEEEDaS1P_S1Q_EUlS1P_E_NS1_11comp_targetILNS1_3genE2ELNS1_11target_archE906ELNS1_3gpuE6ELNS1_3repE0EEENS1_30default_config_static_selectorELNS0_4arch9wavefront6targetE1EEEvS12_.has_indirect_call, 0
	.section	.AMDGPU.csdata,"",@progbits
; Kernel info:
; codeLenInByte = 15580
; TotalNumSgprs: 91
; NumVgprs: 91
; ScratchSize: 0
; MemoryBound: 0
; FloatMode: 240
; IeeeMode: 1
; LDSByteSize: 13328 bytes/workgroup (compile time only)
; SGPRBlocks: 12
; VGPRBlocks: 22
; NumSGPRsForWavesPerEU: 102
; NumVGPRsForWavesPerEU: 91
; Occupancy: 2
; WaveLimiterHint : 1
; COMPUTE_PGM_RSRC2:SCRATCH_EN: 0
; COMPUTE_PGM_RSRC2:USER_SGPR: 6
; COMPUTE_PGM_RSRC2:TRAP_HANDLER: 0
; COMPUTE_PGM_RSRC2:TGID_X_EN: 1
; COMPUTE_PGM_RSRC2:TGID_Y_EN: 0
; COMPUTE_PGM_RSRC2:TGID_Z_EN: 0
; COMPUTE_PGM_RSRC2:TIDIG_COMP_CNT: 0
	.section	.text._ZN7rocprim17ROCPRIM_400000_NS6detail17trampoline_kernelINS0_13select_configILj256ELj13ELNS0_17block_load_methodE3ELS4_3ELS4_3ELNS0_20block_scan_algorithmE0ELj4294967295EEENS1_25partition_config_selectorILNS1_17partition_subalgoE4EjNS0_10empty_typeEbEEZZNS1_14partition_implILS8_4ELb0ES6_15HIP_vector_typeIjLj2EENS0_17counting_iteratorIjlEEPS9_SG_NS0_5tupleIJPjSI_NS0_16reverse_iteratorISI_EEEEENSH_IJSG_SG_SG_EEES9_SI_JZNS1_25segmented_radix_sort_implINS0_14default_configELb0EPKiPiPKlPlN2at6native12_GLOBAL__N_18offset_tEEE10hipError_tPvRmT1_PNSt15iterator_traitsIS12_E10value_typeET2_T3_PNS13_IS18_E10value_typeET4_jRbjT5_S1E_jjP12ihipStream_tbEUljE_ZNSN_ISO_Lb0ESQ_SR_ST_SU_SY_EESZ_S10_S11_S12_S16_S17_S18_S1B_S1C_jS1D_jS1E_S1E_jjS1G_bEUljE0_EEESZ_S10_S11_S18_S1C_S1E_T6_T7_T9_mT8_S1G_bDpT10_ENKUlT_T0_E_clISt17integral_constantIbLb0EES1T_IbLb1EEEEDaS1P_S1Q_EUlS1P_E_NS1_11comp_targetILNS1_3genE10ELNS1_11target_archE1200ELNS1_3gpuE4ELNS1_3repE0EEENS1_30default_config_static_selectorELNS0_4arch9wavefront6targetE1EEEvS12_,"axG",@progbits,_ZN7rocprim17ROCPRIM_400000_NS6detail17trampoline_kernelINS0_13select_configILj256ELj13ELNS0_17block_load_methodE3ELS4_3ELS4_3ELNS0_20block_scan_algorithmE0ELj4294967295EEENS1_25partition_config_selectorILNS1_17partition_subalgoE4EjNS0_10empty_typeEbEEZZNS1_14partition_implILS8_4ELb0ES6_15HIP_vector_typeIjLj2EENS0_17counting_iteratorIjlEEPS9_SG_NS0_5tupleIJPjSI_NS0_16reverse_iteratorISI_EEEEENSH_IJSG_SG_SG_EEES9_SI_JZNS1_25segmented_radix_sort_implINS0_14default_configELb0EPKiPiPKlPlN2at6native12_GLOBAL__N_18offset_tEEE10hipError_tPvRmT1_PNSt15iterator_traitsIS12_E10value_typeET2_T3_PNS13_IS18_E10value_typeET4_jRbjT5_S1E_jjP12ihipStream_tbEUljE_ZNSN_ISO_Lb0ESQ_SR_ST_SU_SY_EESZ_S10_S11_S12_S16_S17_S18_S1B_S1C_jS1D_jS1E_S1E_jjS1G_bEUljE0_EEESZ_S10_S11_S18_S1C_S1E_T6_T7_T9_mT8_S1G_bDpT10_ENKUlT_T0_E_clISt17integral_constantIbLb0EES1T_IbLb1EEEEDaS1P_S1Q_EUlS1P_E_NS1_11comp_targetILNS1_3genE10ELNS1_11target_archE1200ELNS1_3gpuE4ELNS1_3repE0EEENS1_30default_config_static_selectorELNS0_4arch9wavefront6targetE1EEEvS12_,comdat
	.globl	_ZN7rocprim17ROCPRIM_400000_NS6detail17trampoline_kernelINS0_13select_configILj256ELj13ELNS0_17block_load_methodE3ELS4_3ELS4_3ELNS0_20block_scan_algorithmE0ELj4294967295EEENS1_25partition_config_selectorILNS1_17partition_subalgoE4EjNS0_10empty_typeEbEEZZNS1_14partition_implILS8_4ELb0ES6_15HIP_vector_typeIjLj2EENS0_17counting_iteratorIjlEEPS9_SG_NS0_5tupleIJPjSI_NS0_16reverse_iteratorISI_EEEEENSH_IJSG_SG_SG_EEES9_SI_JZNS1_25segmented_radix_sort_implINS0_14default_configELb0EPKiPiPKlPlN2at6native12_GLOBAL__N_18offset_tEEE10hipError_tPvRmT1_PNSt15iterator_traitsIS12_E10value_typeET2_T3_PNS13_IS18_E10value_typeET4_jRbjT5_S1E_jjP12ihipStream_tbEUljE_ZNSN_ISO_Lb0ESQ_SR_ST_SU_SY_EESZ_S10_S11_S12_S16_S17_S18_S1B_S1C_jS1D_jS1E_S1E_jjS1G_bEUljE0_EEESZ_S10_S11_S18_S1C_S1E_T6_T7_T9_mT8_S1G_bDpT10_ENKUlT_T0_E_clISt17integral_constantIbLb0EES1T_IbLb1EEEEDaS1P_S1Q_EUlS1P_E_NS1_11comp_targetILNS1_3genE10ELNS1_11target_archE1200ELNS1_3gpuE4ELNS1_3repE0EEENS1_30default_config_static_selectorELNS0_4arch9wavefront6targetE1EEEvS12_ ; -- Begin function _ZN7rocprim17ROCPRIM_400000_NS6detail17trampoline_kernelINS0_13select_configILj256ELj13ELNS0_17block_load_methodE3ELS4_3ELS4_3ELNS0_20block_scan_algorithmE0ELj4294967295EEENS1_25partition_config_selectorILNS1_17partition_subalgoE4EjNS0_10empty_typeEbEEZZNS1_14partition_implILS8_4ELb0ES6_15HIP_vector_typeIjLj2EENS0_17counting_iteratorIjlEEPS9_SG_NS0_5tupleIJPjSI_NS0_16reverse_iteratorISI_EEEEENSH_IJSG_SG_SG_EEES9_SI_JZNS1_25segmented_radix_sort_implINS0_14default_configELb0EPKiPiPKlPlN2at6native12_GLOBAL__N_18offset_tEEE10hipError_tPvRmT1_PNSt15iterator_traitsIS12_E10value_typeET2_T3_PNS13_IS18_E10value_typeET4_jRbjT5_S1E_jjP12ihipStream_tbEUljE_ZNSN_ISO_Lb0ESQ_SR_ST_SU_SY_EESZ_S10_S11_S12_S16_S17_S18_S1B_S1C_jS1D_jS1E_S1E_jjS1G_bEUljE0_EEESZ_S10_S11_S18_S1C_S1E_T6_T7_T9_mT8_S1G_bDpT10_ENKUlT_T0_E_clISt17integral_constantIbLb0EES1T_IbLb1EEEEDaS1P_S1Q_EUlS1P_E_NS1_11comp_targetILNS1_3genE10ELNS1_11target_archE1200ELNS1_3gpuE4ELNS1_3repE0EEENS1_30default_config_static_selectorELNS0_4arch9wavefront6targetE1EEEvS12_
	.p2align	8
	.type	_ZN7rocprim17ROCPRIM_400000_NS6detail17trampoline_kernelINS0_13select_configILj256ELj13ELNS0_17block_load_methodE3ELS4_3ELS4_3ELNS0_20block_scan_algorithmE0ELj4294967295EEENS1_25partition_config_selectorILNS1_17partition_subalgoE4EjNS0_10empty_typeEbEEZZNS1_14partition_implILS8_4ELb0ES6_15HIP_vector_typeIjLj2EENS0_17counting_iteratorIjlEEPS9_SG_NS0_5tupleIJPjSI_NS0_16reverse_iteratorISI_EEEEENSH_IJSG_SG_SG_EEES9_SI_JZNS1_25segmented_radix_sort_implINS0_14default_configELb0EPKiPiPKlPlN2at6native12_GLOBAL__N_18offset_tEEE10hipError_tPvRmT1_PNSt15iterator_traitsIS12_E10value_typeET2_T3_PNS13_IS18_E10value_typeET4_jRbjT5_S1E_jjP12ihipStream_tbEUljE_ZNSN_ISO_Lb0ESQ_SR_ST_SU_SY_EESZ_S10_S11_S12_S16_S17_S18_S1B_S1C_jS1D_jS1E_S1E_jjS1G_bEUljE0_EEESZ_S10_S11_S18_S1C_S1E_T6_T7_T9_mT8_S1G_bDpT10_ENKUlT_T0_E_clISt17integral_constantIbLb0EES1T_IbLb1EEEEDaS1P_S1Q_EUlS1P_E_NS1_11comp_targetILNS1_3genE10ELNS1_11target_archE1200ELNS1_3gpuE4ELNS1_3repE0EEENS1_30default_config_static_selectorELNS0_4arch9wavefront6targetE1EEEvS12_,@function
_ZN7rocprim17ROCPRIM_400000_NS6detail17trampoline_kernelINS0_13select_configILj256ELj13ELNS0_17block_load_methodE3ELS4_3ELS4_3ELNS0_20block_scan_algorithmE0ELj4294967295EEENS1_25partition_config_selectorILNS1_17partition_subalgoE4EjNS0_10empty_typeEbEEZZNS1_14partition_implILS8_4ELb0ES6_15HIP_vector_typeIjLj2EENS0_17counting_iteratorIjlEEPS9_SG_NS0_5tupleIJPjSI_NS0_16reverse_iteratorISI_EEEEENSH_IJSG_SG_SG_EEES9_SI_JZNS1_25segmented_radix_sort_implINS0_14default_configELb0EPKiPiPKlPlN2at6native12_GLOBAL__N_18offset_tEEE10hipError_tPvRmT1_PNSt15iterator_traitsIS12_E10value_typeET2_T3_PNS13_IS18_E10value_typeET4_jRbjT5_S1E_jjP12ihipStream_tbEUljE_ZNSN_ISO_Lb0ESQ_SR_ST_SU_SY_EESZ_S10_S11_S12_S16_S17_S18_S1B_S1C_jS1D_jS1E_S1E_jjS1G_bEUljE0_EEESZ_S10_S11_S18_S1C_S1E_T6_T7_T9_mT8_S1G_bDpT10_ENKUlT_T0_E_clISt17integral_constantIbLb0EES1T_IbLb1EEEEDaS1P_S1Q_EUlS1P_E_NS1_11comp_targetILNS1_3genE10ELNS1_11target_archE1200ELNS1_3gpuE4ELNS1_3repE0EEENS1_30default_config_static_selectorELNS0_4arch9wavefront6targetE1EEEvS12_: ; @_ZN7rocprim17ROCPRIM_400000_NS6detail17trampoline_kernelINS0_13select_configILj256ELj13ELNS0_17block_load_methodE3ELS4_3ELS4_3ELNS0_20block_scan_algorithmE0ELj4294967295EEENS1_25partition_config_selectorILNS1_17partition_subalgoE4EjNS0_10empty_typeEbEEZZNS1_14partition_implILS8_4ELb0ES6_15HIP_vector_typeIjLj2EENS0_17counting_iteratorIjlEEPS9_SG_NS0_5tupleIJPjSI_NS0_16reverse_iteratorISI_EEEEENSH_IJSG_SG_SG_EEES9_SI_JZNS1_25segmented_radix_sort_implINS0_14default_configELb0EPKiPiPKlPlN2at6native12_GLOBAL__N_18offset_tEEE10hipError_tPvRmT1_PNSt15iterator_traitsIS12_E10value_typeET2_T3_PNS13_IS18_E10value_typeET4_jRbjT5_S1E_jjP12ihipStream_tbEUljE_ZNSN_ISO_Lb0ESQ_SR_ST_SU_SY_EESZ_S10_S11_S12_S16_S17_S18_S1B_S1C_jS1D_jS1E_S1E_jjS1G_bEUljE0_EEESZ_S10_S11_S18_S1C_S1E_T6_T7_T9_mT8_S1G_bDpT10_ENKUlT_T0_E_clISt17integral_constantIbLb0EES1T_IbLb1EEEEDaS1P_S1Q_EUlS1P_E_NS1_11comp_targetILNS1_3genE10ELNS1_11target_archE1200ELNS1_3gpuE4ELNS1_3repE0EEENS1_30default_config_static_selectorELNS0_4arch9wavefront6targetE1EEEvS12_
; %bb.0:
	.section	.rodata,"a",@progbits
	.p2align	6, 0x0
	.amdhsa_kernel _ZN7rocprim17ROCPRIM_400000_NS6detail17trampoline_kernelINS0_13select_configILj256ELj13ELNS0_17block_load_methodE3ELS4_3ELS4_3ELNS0_20block_scan_algorithmE0ELj4294967295EEENS1_25partition_config_selectorILNS1_17partition_subalgoE4EjNS0_10empty_typeEbEEZZNS1_14partition_implILS8_4ELb0ES6_15HIP_vector_typeIjLj2EENS0_17counting_iteratorIjlEEPS9_SG_NS0_5tupleIJPjSI_NS0_16reverse_iteratorISI_EEEEENSH_IJSG_SG_SG_EEES9_SI_JZNS1_25segmented_radix_sort_implINS0_14default_configELb0EPKiPiPKlPlN2at6native12_GLOBAL__N_18offset_tEEE10hipError_tPvRmT1_PNSt15iterator_traitsIS12_E10value_typeET2_T3_PNS13_IS18_E10value_typeET4_jRbjT5_S1E_jjP12ihipStream_tbEUljE_ZNSN_ISO_Lb0ESQ_SR_ST_SU_SY_EESZ_S10_S11_S12_S16_S17_S18_S1B_S1C_jS1D_jS1E_S1E_jjS1G_bEUljE0_EEESZ_S10_S11_S18_S1C_S1E_T6_T7_T9_mT8_S1G_bDpT10_ENKUlT_T0_E_clISt17integral_constantIbLb0EES1T_IbLb1EEEEDaS1P_S1Q_EUlS1P_E_NS1_11comp_targetILNS1_3genE10ELNS1_11target_archE1200ELNS1_3gpuE4ELNS1_3repE0EEENS1_30default_config_static_selectorELNS0_4arch9wavefront6targetE1EEEvS12_
		.amdhsa_group_segment_fixed_size 0
		.amdhsa_private_segment_fixed_size 0
		.amdhsa_kernarg_size 184
		.amdhsa_user_sgpr_count 6
		.amdhsa_user_sgpr_private_segment_buffer 1
		.amdhsa_user_sgpr_dispatch_ptr 0
		.amdhsa_user_sgpr_queue_ptr 0
		.amdhsa_user_sgpr_kernarg_segment_ptr 1
		.amdhsa_user_sgpr_dispatch_id 0
		.amdhsa_user_sgpr_flat_scratch_init 0
		.amdhsa_user_sgpr_private_segment_size 0
		.amdhsa_uses_dynamic_stack 0
		.amdhsa_system_sgpr_private_segment_wavefront_offset 0
		.amdhsa_system_sgpr_workgroup_id_x 1
		.amdhsa_system_sgpr_workgroup_id_y 0
		.amdhsa_system_sgpr_workgroup_id_z 0
		.amdhsa_system_sgpr_workgroup_info 0
		.amdhsa_system_vgpr_workitem_id 0
		.amdhsa_next_free_vgpr 1
		.amdhsa_next_free_sgpr 0
		.amdhsa_reserve_vcc 0
		.amdhsa_reserve_flat_scratch 0
		.amdhsa_float_round_mode_32 0
		.amdhsa_float_round_mode_16_64 0
		.amdhsa_float_denorm_mode_32 3
		.amdhsa_float_denorm_mode_16_64 3
		.amdhsa_dx10_clamp 1
		.amdhsa_ieee_mode 1
		.amdhsa_fp16_overflow 0
		.amdhsa_exception_fp_ieee_invalid_op 0
		.amdhsa_exception_fp_denorm_src 0
		.amdhsa_exception_fp_ieee_div_zero 0
		.amdhsa_exception_fp_ieee_overflow 0
		.amdhsa_exception_fp_ieee_underflow 0
		.amdhsa_exception_fp_ieee_inexact 0
		.amdhsa_exception_int_div_zero 0
	.end_amdhsa_kernel
	.section	.text._ZN7rocprim17ROCPRIM_400000_NS6detail17trampoline_kernelINS0_13select_configILj256ELj13ELNS0_17block_load_methodE3ELS4_3ELS4_3ELNS0_20block_scan_algorithmE0ELj4294967295EEENS1_25partition_config_selectorILNS1_17partition_subalgoE4EjNS0_10empty_typeEbEEZZNS1_14partition_implILS8_4ELb0ES6_15HIP_vector_typeIjLj2EENS0_17counting_iteratorIjlEEPS9_SG_NS0_5tupleIJPjSI_NS0_16reverse_iteratorISI_EEEEENSH_IJSG_SG_SG_EEES9_SI_JZNS1_25segmented_radix_sort_implINS0_14default_configELb0EPKiPiPKlPlN2at6native12_GLOBAL__N_18offset_tEEE10hipError_tPvRmT1_PNSt15iterator_traitsIS12_E10value_typeET2_T3_PNS13_IS18_E10value_typeET4_jRbjT5_S1E_jjP12ihipStream_tbEUljE_ZNSN_ISO_Lb0ESQ_SR_ST_SU_SY_EESZ_S10_S11_S12_S16_S17_S18_S1B_S1C_jS1D_jS1E_S1E_jjS1G_bEUljE0_EEESZ_S10_S11_S18_S1C_S1E_T6_T7_T9_mT8_S1G_bDpT10_ENKUlT_T0_E_clISt17integral_constantIbLb0EES1T_IbLb1EEEEDaS1P_S1Q_EUlS1P_E_NS1_11comp_targetILNS1_3genE10ELNS1_11target_archE1200ELNS1_3gpuE4ELNS1_3repE0EEENS1_30default_config_static_selectorELNS0_4arch9wavefront6targetE1EEEvS12_,"axG",@progbits,_ZN7rocprim17ROCPRIM_400000_NS6detail17trampoline_kernelINS0_13select_configILj256ELj13ELNS0_17block_load_methodE3ELS4_3ELS4_3ELNS0_20block_scan_algorithmE0ELj4294967295EEENS1_25partition_config_selectorILNS1_17partition_subalgoE4EjNS0_10empty_typeEbEEZZNS1_14partition_implILS8_4ELb0ES6_15HIP_vector_typeIjLj2EENS0_17counting_iteratorIjlEEPS9_SG_NS0_5tupleIJPjSI_NS0_16reverse_iteratorISI_EEEEENSH_IJSG_SG_SG_EEES9_SI_JZNS1_25segmented_radix_sort_implINS0_14default_configELb0EPKiPiPKlPlN2at6native12_GLOBAL__N_18offset_tEEE10hipError_tPvRmT1_PNSt15iterator_traitsIS12_E10value_typeET2_T3_PNS13_IS18_E10value_typeET4_jRbjT5_S1E_jjP12ihipStream_tbEUljE_ZNSN_ISO_Lb0ESQ_SR_ST_SU_SY_EESZ_S10_S11_S12_S16_S17_S18_S1B_S1C_jS1D_jS1E_S1E_jjS1G_bEUljE0_EEESZ_S10_S11_S18_S1C_S1E_T6_T7_T9_mT8_S1G_bDpT10_ENKUlT_T0_E_clISt17integral_constantIbLb0EES1T_IbLb1EEEEDaS1P_S1Q_EUlS1P_E_NS1_11comp_targetILNS1_3genE10ELNS1_11target_archE1200ELNS1_3gpuE4ELNS1_3repE0EEENS1_30default_config_static_selectorELNS0_4arch9wavefront6targetE1EEEvS12_,comdat
.Lfunc_end565:
	.size	_ZN7rocprim17ROCPRIM_400000_NS6detail17trampoline_kernelINS0_13select_configILj256ELj13ELNS0_17block_load_methodE3ELS4_3ELS4_3ELNS0_20block_scan_algorithmE0ELj4294967295EEENS1_25partition_config_selectorILNS1_17partition_subalgoE4EjNS0_10empty_typeEbEEZZNS1_14partition_implILS8_4ELb0ES6_15HIP_vector_typeIjLj2EENS0_17counting_iteratorIjlEEPS9_SG_NS0_5tupleIJPjSI_NS0_16reverse_iteratorISI_EEEEENSH_IJSG_SG_SG_EEES9_SI_JZNS1_25segmented_radix_sort_implINS0_14default_configELb0EPKiPiPKlPlN2at6native12_GLOBAL__N_18offset_tEEE10hipError_tPvRmT1_PNSt15iterator_traitsIS12_E10value_typeET2_T3_PNS13_IS18_E10value_typeET4_jRbjT5_S1E_jjP12ihipStream_tbEUljE_ZNSN_ISO_Lb0ESQ_SR_ST_SU_SY_EESZ_S10_S11_S12_S16_S17_S18_S1B_S1C_jS1D_jS1E_S1E_jjS1G_bEUljE0_EEESZ_S10_S11_S18_S1C_S1E_T6_T7_T9_mT8_S1G_bDpT10_ENKUlT_T0_E_clISt17integral_constantIbLb0EES1T_IbLb1EEEEDaS1P_S1Q_EUlS1P_E_NS1_11comp_targetILNS1_3genE10ELNS1_11target_archE1200ELNS1_3gpuE4ELNS1_3repE0EEENS1_30default_config_static_selectorELNS0_4arch9wavefront6targetE1EEEvS12_, .Lfunc_end565-_ZN7rocprim17ROCPRIM_400000_NS6detail17trampoline_kernelINS0_13select_configILj256ELj13ELNS0_17block_load_methodE3ELS4_3ELS4_3ELNS0_20block_scan_algorithmE0ELj4294967295EEENS1_25partition_config_selectorILNS1_17partition_subalgoE4EjNS0_10empty_typeEbEEZZNS1_14partition_implILS8_4ELb0ES6_15HIP_vector_typeIjLj2EENS0_17counting_iteratorIjlEEPS9_SG_NS0_5tupleIJPjSI_NS0_16reverse_iteratorISI_EEEEENSH_IJSG_SG_SG_EEES9_SI_JZNS1_25segmented_radix_sort_implINS0_14default_configELb0EPKiPiPKlPlN2at6native12_GLOBAL__N_18offset_tEEE10hipError_tPvRmT1_PNSt15iterator_traitsIS12_E10value_typeET2_T3_PNS13_IS18_E10value_typeET4_jRbjT5_S1E_jjP12ihipStream_tbEUljE_ZNSN_ISO_Lb0ESQ_SR_ST_SU_SY_EESZ_S10_S11_S12_S16_S17_S18_S1B_S1C_jS1D_jS1E_S1E_jjS1G_bEUljE0_EEESZ_S10_S11_S18_S1C_S1E_T6_T7_T9_mT8_S1G_bDpT10_ENKUlT_T0_E_clISt17integral_constantIbLb0EES1T_IbLb1EEEEDaS1P_S1Q_EUlS1P_E_NS1_11comp_targetILNS1_3genE10ELNS1_11target_archE1200ELNS1_3gpuE4ELNS1_3repE0EEENS1_30default_config_static_selectorELNS0_4arch9wavefront6targetE1EEEvS12_
                                        ; -- End function
	.set _ZN7rocprim17ROCPRIM_400000_NS6detail17trampoline_kernelINS0_13select_configILj256ELj13ELNS0_17block_load_methodE3ELS4_3ELS4_3ELNS0_20block_scan_algorithmE0ELj4294967295EEENS1_25partition_config_selectorILNS1_17partition_subalgoE4EjNS0_10empty_typeEbEEZZNS1_14partition_implILS8_4ELb0ES6_15HIP_vector_typeIjLj2EENS0_17counting_iteratorIjlEEPS9_SG_NS0_5tupleIJPjSI_NS0_16reverse_iteratorISI_EEEEENSH_IJSG_SG_SG_EEES9_SI_JZNS1_25segmented_radix_sort_implINS0_14default_configELb0EPKiPiPKlPlN2at6native12_GLOBAL__N_18offset_tEEE10hipError_tPvRmT1_PNSt15iterator_traitsIS12_E10value_typeET2_T3_PNS13_IS18_E10value_typeET4_jRbjT5_S1E_jjP12ihipStream_tbEUljE_ZNSN_ISO_Lb0ESQ_SR_ST_SU_SY_EESZ_S10_S11_S12_S16_S17_S18_S1B_S1C_jS1D_jS1E_S1E_jjS1G_bEUljE0_EEESZ_S10_S11_S18_S1C_S1E_T6_T7_T9_mT8_S1G_bDpT10_ENKUlT_T0_E_clISt17integral_constantIbLb0EES1T_IbLb1EEEEDaS1P_S1Q_EUlS1P_E_NS1_11comp_targetILNS1_3genE10ELNS1_11target_archE1200ELNS1_3gpuE4ELNS1_3repE0EEENS1_30default_config_static_selectorELNS0_4arch9wavefront6targetE1EEEvS12_.num_vgpr, 0
	.set _ZN7rocprim17ROCPRIM_400000_NS6detail17trampoline_kernelINS0_13select_configILj256ELj13ELNS0_17block_load_methodE3ELS4_3ELS4_3ELNS0_20block_scan_algorithmE0ELj4294967295EEENS1_25partition_config_selectorILNS1_17partition_subalgoE4EjNS0_10empty_typeEbEEZZNS1_14partition_implILS8_4ELb0ES6_15HIP_vector_typeIjLj2EENS0_17counting_iteratorIjlEEPS9_SG_NS0_5tupleIJPjSI_NS0_16reverse_iteratorISI_EEEEENSH_IJSG_SG_SG_EEES9_SI_JZNS1_25segmented_radix_sort_implINS0_14default_configELb0EPKiPiPKlPlN2at6native12_GLOBAL__N_18offset_tEEE10hipError_tPvRmT1_PNSt15iterator_traitsIS12_E10value_typeET2_T3_PNS13_IS18_E10value_typeET4_jRbjT5_S1E_jjP12ihipStream_tbEUljE_ZNSN_ISO_Lb0ESQ_SR_ST_SU_SY_EESZ_S10_S11_S12_S16_S17_S18_S1B_S1C_jS1D_jS1E_S1E_jjS1G_bEUljE0_EEESZ_S10_S11_S18_S1C_S1E_T6_T7_T9_mT8_S1G_bDpT10_ENKUlT_T0_E_clISt17integral_constantIbLb0EES1T_IbLb1EEEEDaS1P_S1Q_EUlS1P_E_NS1_11comp_targetILNS1_3genE10ELNS1_11target_archE1200ELNS1_3gpuE4ELNS1_3repE0EEENS1_30default_config_static_selectorELNS0_4arch9wavefront6targetE1EEEvS12_.num_agpr, 0
	.set _ZN7rocprim17ROCPRIM_400000_NS6detail17trampoline_kernelINS0_13select_configILj256ELj13ELNS0_17block_load_methodE3ELS4_3ELS4_3ELNS0_20block_scan_algorithmE0ELj4294967295EEENS1_25partition_config_selectorILNS1_17partition_subalgoE4EjNS0_10empty_typeEbEEZZNS1_14partition_implILS8_4ELb0ES6_15HIP_vector_typeIjLj2EENS0_17counting_iteratorIjlEEPS9_SG_NS0_5tupleIJPjSI_NS0_16reverse_iteratorISI_EEEEENSH_IJSG_SG_SG_EEES9_SI_JZNS1_25segmented_radix_sort_implINS0_14default_configELb0EPKiPiPKlPlN2at6native12_GLOBAL__N_18offset_tEEE10hipError_tPvRmT1_PNSt15iterator_traitsIS12_E10value_typeET2_T3_PNS13_IS18_E10value_typeET4_jRbjT5_S1E_jjP12ihipStream_tbEUljE_ZNSN_ISO_Lb0ESQ_SR_ST_SU_SY_EESZ_S10_S11_S12_S16_S17_S18_S1B_S1C_jS1D_jS1E_S1E_jjS1G_bEUljE0_EEESZ_S10_S11_S18_S1C_S1E_T6_T7_T9_mT8_S1G_bDpT10_ENKUlT_T0_E_clISt17integral_constantIbLb0EES1T_IbLb1EEEEDaS1P_S1Q_EUlS1P_E_NS1_11comp_targetILNS1_3genE10ELNS1_11target_archE1200ELNS1_3gpuE4ELNS1_3repE0EEENS1_30default_config_static_selectorELNS0_4arch9wavefront6targetE1EEEvS12_.numbered_sgpr, 0
	.set _ZN7rocprim17ROCPRIM_400000_NS6detail17trampoline_kernelINS0_13select_configILj256ELj13ELNS0_17block_load_methodE3ELS4_3ELS4_3ELNS0_20block_scan_algorithmE0ELj4294967295EEENS1_25partition_config_selectorILNS1_17partition_subalgoE4EjNS0_10empty_typeEbEEZZNS1_14partition_implILS8_4ELb0ES6_15HIP_vector_typeIjLj2EENS0_17counting_iteratorIjlEEPS9_SG_NS0_5tupleIJPjSI_NS0_16reverse_iteratorISI_EEEEENSH_IJSG_SG_SG_EEES9_SI_JZNS1_25segmented_radix_sort_implINS0_14default_configELb0EPKiPiPKlPlN2at6native12_GLOBAL__N_18offset_tEEE10hipError_tPvRmT1_PNSt15iterator_traitsIS12_E10value_typeET2_T3_PNS13_IS18_E10value_typeET4_jRbjT5_S1E_jjP12ihipStream_tbEUljE_ZNSN_ISO_Lb0ESQ_SR_ST_SU_SY_EESZ_S10_S11_S12_S16_S17_S18_S1B_S1C_jS1D_jS1E_S1E_jjS1G_bEUljE0_EEESZ_S10_S11_S18_S1C_S1E_T6_T7_T9_mT8_S1G_bDpT10_ENKUlT_T0_E_clISt17integral_constantIbLb0EES1T_IbLb1EEEEDaS1P_S1Q_EUlS1P_E_NS1_11comp_targetILNS1_3genE10ELNS1_11target_archE1200ELNS1_3gpuE4ELNS1_3repE0EEENS1_30default_config_static_selectorELNS0_4arch9wavefront6targetE1EEEvS12_.num_named_barrier, 0
	.set _ZN7rocprim17ROCPRIM_400000_NS6detail17trampoline_kernelINS0_13select_configILj256ELj13ELNS0_17block_load_methodE3ELS4_3ELS4_3ELNS0_20block_scan_algorithmE0ELj4294967295EEENS1_25partition_config_selectorILNS1_17partition_subalgoE4EjNS0_10empty_typeEbEEZZNS1_14partition_implILS8_4ELb0ES6_15HIP_vector_typeIjLj2EENS0_17counting_iteratorIjlEEPS9_SG_NS0_5tupleIJPjSI_NS0_16reverse_iteratorISI_EEEEENSH_IJSG_SG_SG_EEES9_SI_JZNS1_25segmented_radix_sort_implINS0_14default_configELb0EPKiPiPKlPlN2at6native12_GLOBAL__N_18offset_tEEE10hipError_tPvRmT1_PNSt15iterator_traitsIS12_E10value_typeET2_T3_PNS13_IS18_E10value_typeET4_jRbjT5_S1E_jjP12ihipStream_tbEUljE_ZNSN_ISO_Lb0ESQ_SR_ST_SU_SY_EESZ_S10_S11_S12_S16_S17_S18_S1B_S1C_jS1D_jS1E_S1E_jjS1G_bEUljE0_EEESZ_S10_S11_S18_S1C_S1E_T6_T7_T9_mT8_S1G_bDpT10_ENKUlT_T0_E_clISt17integral_constantIbLb0EES1T_IbLb1EEEEDaS1P_S1Q_EUlS1P_E_NS1_11comp_targetILNS1_3genE10ELNS1_11target_archE1200ELNS1_3gpuE4ELNS1_3repE0EEENS1_30default_config_static_selectorELNS0_4arch9wavefront6targetE1EEEvS12_.private_seg_size, 0
	.set _ZN7rocprim17ROCPRIM_400000_NS6detail17trampoline_kernelINS0_13select_configILj256ELj13ELNS0_17block_load_methodE3ELS4_3ELS4_3ELNS0_20block_scan_algorithmE0ELj4294967295EEENS1_25partition_config_selectorILNS1_17partition_subalgoE4EjNS0_10empty_typeEbEEZZNS1_14partition_implILS8_4ELb0ES6_15HIP_vector_typeIjLj2EENS0_17counting_iteratorIjlEEPS9_SG_NS0_5tupleIJPjSI_NS0_16reverse_iteratorISI_EEEEENSH_IJSG_SG_SG_EEES9_SI_JZNS1_25segmented_radix_sort_implINS0_14default_configELb0EPKiPiPKlPlN2at6native12_GLOBAL__N_18offset_tEEE10hipError_tPvRmT1_PNSt15iterator_traitsIS12_E10value_typeET2_T3_PNS13_IS18_E10value_typeET4_jRbjT5_S1E_jjP12ihipStream_tbEUljE_ZNSN_ISO_Lb0ESQ_SR_ST_SU_SY_EESZ_S10_S11_S12_S16_S17_S18_S1B_S1C_jS1D_jS1E_S1E_jjS1G_bEUljE0_EEESZ_S10_S11_S18_S1C_S1E_T6_T7_T9_mT8_S1G_bDpT10_ENKUlT_T0_E_clISt17integral_constantIbLb0EES1T_IbLb1EEEEDaS1P_S1Q_EUlS1P_E_NS1_11comp_targetILNS1_3genE10ELNS1_11target_archE1200ELNS1_3gpuE4ELNS1_3repE0EEENS1_30default_config_static_selectorELNS0_4arch9wavefront6targetE1EEEvS12_.uses_vcc, 0
	.set _ZN7rocprim17ROCPRIM_400000_NS6detail17trampoline_kernelINS0_13select_configILj256ELj13ELNS0_17block_load_methodE3ELS4_3ELS4_3ELNS0_20block_scan_algorithmE0ELj4294967295EEENS1_25partition_config_selectorILNS1_17partition_subalgoE4EjNS0_10empty_typeEbEEZZNS1_14partition_implILS8_4ELb0ES6_15HIP_vector_typeIjLj2EENS0_17counting_iteratorIjlEEPS9_SG_NS0_5tupleIJPjSI_NS0_16reverse_iteratorISI_EEEEENSH_IJSG_SG_SG_EEES9_SI_JZNS1_25segmented_radix_sort_implINS0_14default_configELb0EPKiPiPKlPlN2at6native12_GLOBAL__N_18offset_tEEE10hipError_tPvRmT1_PNSt15iterator_traitsIS12_E10value_typeET2_T3_PNS13_IS18_E10value_typeET4_jRbjT5_S1E_jjP12ihipStream_tbEUljE_ZNSN_ISO_Lb0ESQ_SR_ST_SU_SY_EESZ_S10_S11_S12_S16_S17_S18_S1B_S1C_jS1D_jS1E_S1E_jjS1G_bEUljE0_EEESZ_S10_S11_S18_S1C_S1E_T6_T7_T9_mT8_S1G_bDpT10_ENKUlT_T0_E_clISt17integral_constantIbLb0EES1T_IbLb1EEEEDaS1P_S1Q_EUlS1P_E_NS1_11comp_targetILNS1_3genE10ELNS1_11target_archE1200ELNS1_3gpuE4ELNS1_3repE0EEENS1_30default_config_static_selectorELNS0_4arch9wavefront6targetE1EEEvS12_.uses_flat_scratch, 0
	.set _ZN7rocprim17ROCPRIM_400000_NS6detail17trampoline_kernelINS0_13select_configILj256ELj13ELNS0_17block_load_methodE3ELS4_3ELS4_3ELNS0_20block_scan_algorithmE0ELj4294967295EEENS1_25partition_config_selectorILNS1_17partition_subalgoE4EjNS0_10empty_typeEbEEZZNS1_14partition_implILS8_4ELb0ES6_15HIP_vector_typeIjLj2EENS0_17counting_iteratorIjlEEPS9_SG_NS0_5tupleIJPjSI_NS0_16reverse_iteratorISI_EEEEENSH_IJSG_SG_SG_EEES9_SI_JZNS1_25segmented_radix_sort_implINS0_14default_configELb0EPKiPiPKlPlN2at6native12_GLOBAL__N_18offset_tEEE10hipError_tPvRmT1_PNSt15iterator_traitsIS12_E10value_typeET2_T3_PNS13_IS18_E10value_typeET4_jRbjT5_S1E_jjP12ihipStream_tbEUljE_ZNSN_ISO_Lb0ESQ_SR_ST_SU_SY_EESZ_S10_S11_S12_S16_S17_S18_S1B_S1C_jS1D_jS1E_S1E_jjS1G_bEUljE0_EEESZ_S10_S11_S18_S1C_S1E_T6_T7_T9_mT8_S1G_bDpT10_ENKUlT_T0_E_clISt17integral_constantIbLb0EES1T_IbLb1EEEEDaS1P_S1Q_EUlS1P_E_NS1_11comp_targetILNS1_3genE10ELNS1_11target_archE1200ELNS1_3gpuE4ELNS1_3repE0EEENS1_30default_config_static_selectorELNS0_4arch9wavefront6targetE1EEEvS12_.has_dyn_sized_stack, 0
	.set _ZN7rocprim17ROCPRIM_400000_NS6detail17trampoline_kernelINS0_13select_configILj256ELj13ELNS0_17block_load_methodE3ELS4_3ELS4_3ELNS0_20block_scan_algorithmE0ELj4294967295EEENS1_25partition_config_selectorILNS1_17partition_subalgoE4EjNS0_10empty_typeEbEEZZNS1_14partition_implILS8_4ELb0ES6_15HIP_vector_typeIjLj2EENS0_17counting_iteratorIjlEEPS9_SG_NS0_5tupleIJPjSI_NS0_16reverse_iteratorISI_EEEEENSH_IJSG_SG_SG_EEES9_SI_JZNS1_25segmented_radix_sort_implINS0_14default_configELb0EPKiPiPKlPlN2at6native12_GLOBAL__N_18offset_tEEE10hipError_tPvRmT1_PNSt15iterator_traitsIS12_E10value_typeET2_T3_PNS13_IS18_E10value_typeET4_jRbjT5_S1E_jjP12ihipStream_tbEUljE_ZNSN_ISO_Lb0ESQ_SR_ST_SU_SY_EESZ_S10_S11_S12_S16_S17_S18_S1B_S1C_jS1D_jS1E_S1E_jjS1G_bEUljE0_EEESZ_S10_S11_S18_S1C_S1E_T6_T7_T9_mT8_S1G_bDpT10_ENKUlT_T0_E_clISt17integral_constantIbLb0EES1T_IbLb1EEEEDaS1P_S1Q_EUlS1P_E_NS1_11comp_targetILNS1_3genE10ELNS1_11target_archE1200ELNS1_3gpuE4ELNS1_3repE0EEENS1_30default_config_static_selectorELNS0_4arch9wavefront6targetE1EEEvS12_.has_recursion, 0
	.set _ZN7rocprim17ROCPRIM_400000_NS6detail17trampoline_kernelINS0_13select_configILj256ELj13ELNS0_17block_load_methodE3ELS4_3ELS4_3ELNS0_20block_scan_algorithmE0ELj4294967295EEENS1_25partition_config_selectorILNS1_17partition_subalgoE4EjNS0_10empty_typeEbEEZZNS1_14partition_implILS8_4ELb0ES6_15HIP_vector_typeIjLj2EENS0_17counting_iteratorIjlEEPS9_SG_NS0_5tupleIJPjSI_NS0_16reverse_iteratorISI_EEEEENSH_IJSG_SG_SG_EEES9_SI_JZNS1_25segmented_radix_sort_implINS0_14default_configELb0EPKiPiPKlPlN2at6native12_GLOBAL__N_18offset_tEEE10hipError_tPvRmT1_PNSt15iterator_traitsIS12_E10value_typeET2_T3_PNS13_IS18_E10value_typeET4_jRbjT5_S1E_jjP12ihipStream_tbEUljE_ZNSN_ISO_Lb0ESQ_SR_ST_SU_SY_EESZ_S10_S11_S12_S16_S17_S18_S1B_S1C_jS1D_jS1E_S1E_jjS1G_bEUljE0_EEESZ_S10_S11_S18_S1C_S1E_T6_T7_T9_mT8_S1G_bDpT10_ENKUlT_T0_E_clISt17integral_constantIbLb0EES1T_IbLb1EEEEDaS1P_S1Q_EUlS1P_E_NS1_11comp_targetILNS1_3genE10ELNS1_11target_archE1200ELNS1_3gpuE4ELNS1_3repE0EEENS1_30default_config_static_selectorELNS0_4arch9wavefront6targetE1EEEvS12_.has_indirect_call, 0
	.section	.AMDGPU.csdata,"",@progbits
; Kernel info:
; codeLenInByte = 0
; TotalNumSgprs: 4
; NumVgprs: 0
; ScratchSize: 0
; MemoryBound: 0
; FloatMode: 240
; IeeeMode: 1
; LDSByteSize: 0 bytes/workgroup (compile time only)
; SGPRBlocks: 0
; VGPRBlocks: 0
; NumSGPRsForWavesPerEU: 4
; NumVGPRsForWavesPerEU: 1
; Occupancy: 10
; WaveLimiterHint : 0
; COMPUTE_PGM_RSRC2:SCRATCH_EN: 0
; COMPUTE_PGM_RSRC2:USER_SGPR: 6
; COMPUTE_PGM_RSRC2:TRAP_HANDLER: 0
; COMPUTE_PGM_RSRC2:TGID_X_EN: 1
; COMPUTE_PGM_RSRC2:TGID_Y_EN: 0
; COMPUTE_PGM_RSRC2:TGID_Z_EN: 0
; COMPUTE_PGM_RSRC2:TIDIG_COMP_CNT: 0
	.section	.text._ZN7rocprim17ROCPRIM_400000_NS6detail17trampoline_kernelINS0_13select_configILj256ELj13ELNS0_17block_load_methodE3ELS4_3ELS4_3ELNS0_20block_scan_algorithmE0ELj4294967295EEENS1_25partition_config_selectorILNS1_17partition_subalgoE4EjNS0_10empty_typeEbEEZZNS1_14partition_implILS8_4ELb0ES6_15HIP_vector_typeIjLj2EENS0_17counting_iteratorIjlEEPS9_SG_NS0_5tupleIJPjSI_NS0_16reverse_iteratorISI_EEEEENSH_IJSG_SG_SG_EEES9_SI_JZNS1_25segmented_radix_sort_implINS0_14default_configELb0EPKiPiPKlPlN2at6native12_GLOBAL__N_18offset_tEEE10hipError_tPvRmT1_PNSt15iterator_traitsIS12_E10value_typeET2_T3_PNS13_IS18_E10value_typeET4_jRbjT5_S1E_jjP12ihipStream_tbEUljE_ZNSN_ISO_Lb0ESQ_SR_ST_SU_SY_EESZ_S10_S11_S12_S16_S17_S18_S1B_S1C_jS1D_jS1E_S1E_jjS1G_bEUljE0_EEESZ_S10_S11_S18_S1C_S1E_T6_T7_T9_mT8_S1G_bDpT10_ENKUlT_T0_E_clISt17integral_constantIbLb0EES1T_IbLb1EEEEDaS1P_S1Q_EUlS1P_E_NS1_11comp_targetILNS1_3genE9ELNS1_11target_archE1100ELNS1_3gpuE3ELNS1_3repE0EEENS1_30default_config_static_selectorELNS0_4arch9wavefront6targetE1EEEvS12_,"axG",@progbits,_ZN7rocprim17ROCPRIM_400000_NS6detail17trampoline_kernelINS0_13select_configILj256ELj13ELNS0_17block_load_methodE3ELS4_3ELS4_3ELNS0_20block_scan_algorithmE0ELj4294967295EEENS1_25partition_config_selectorILNS1_17partition_subalgoE4EjNS0_10empty_typeEbEEZZNS1_14partition_implILS8_4ELb0ES6_15HIP_vector_typeIjLj2EENS0_17counting_iteratorIjlEEPS9_SG_NS0_5tupleIJPjSI_NS0_16reverse_iteratorISI_EEEEENSH_IJSG_SG_SG_EEES9_SI_JZNS1_25segmented_radix_sort_implINS0_14default_configELb0EPKiPiPKlPlN2at6native12_GLOBAL__N_18offset_tEEE10hipError_tPvRmT1_PNSt15iterator_traitsIS12_E10value_typeET2_T3_PNS13_IS18_E10value_typeET4_jRbjT5_S1E_jjP12ihipStream_tbEUljE_ZNSN_ISO_Lb0ESQ_SR_ST_SU_SY_EESZ_S10_S11_S12_S16_S17_S18_S1B_S1C_jS1D_jS1E_S1E_jjS1G_bEUljE0_EEESZ_S10_S11_S18_S1C_S1E_T6_T7_T9_mT8_S1G_bDpT10_ENKUlT_T0_E_clISt17integral_constantIbLb0EES1T_IbLb1EEEEDaS1P_S1Q_EUlS1P_E_NS1_11comp_targetILNS1_3genE9ELNS1_11target_archE1100ELNS1_3gpuE3ELNS1_3repE0EEENS1_30default_config_static_selectorELNS0_4arch9wavefront6targetE1EEEvS12_,comdat
	.globl	_ZN7rocprim17ROCPRIM_400000_NS6detail17trampoline_kernelINS0_13select_configILj256ELj13ELNS0_17block_load_methodE3ELS4_3ELS4_3ELNS0_20block_scan_algorithmE0ELj4294967295EEENS1_25partition_config_selectorILNS1_17partition_subalgoE4EjNS0_10empty_typeEbEEZZNS1_14partition_implILS8_4ELb0ES6_15HIP_vector_typeIjLj2EENS0_17counting_iteratorIjlEEPS9_SG_NS0_5tupleIJPjSI_NS0_16reverse_iteratorISI_EEEEENSH_IJSG_SG_SG_EEES9_SI_JZNS1_25segmented_radix_sort_implINS0_14default_configELb0EPKiPiPKlPlN2at6native12_GLOBAL__N_18offset_tEEE10hipError_tPvRmT1_PNSt15iterator_traitsIS12_E10value_typeET2_T3_PNS13_IS18_E10value_typeET4_jRbjT5_S1E_jjP12ihipStream_tbEUljE_ZNSN_ISO_Lb0ESQ_SR_ST_SU_SY_EESZ_S10_S11_S12_S16_S17_S18_S1B_S1C_jS1D_jS1E_S1E_jjS1G_bEUljE0_EEESZ_S10_S11_S18_S1C_S1E_T6_T7_T9_mT8_S1G_bDpT10_ENKUlT_T0_E_clISt17integral_constantIbLb0EES1T_IbLb1EEEEDaS1P_S1Q_EUlS1P_E_NS1_11comp_targetILNS1_3genE9ELNS1_11target_archE1100ELNS1_3gpuE3ELNS1_3repE0EEENS1_30default_config_static_selectorELNS0_4arch9wavefront6targetE1EEEvS12_ ; -- Begin function _ZN7rocprim17ROCPRIM_400000_NS6detail17trampoline_kernelINS0_13select_configILj256ELj13ELNS0_17block_load_methodE3ELS4_3ELS4_3ELNS0_20block_scan_algorithmE0ELj4294967295EEENS1_25partition_config_selectorILNS1_17partition_subalgoE4EjNS0_10empty_typeEbEEZZNS1_14partition_implILS8_4ELb0ES6_15HIP_vector_typeIjLj2EENS0_17counting_iteratorIjlEEPS9_SG_NS0_5tupleIJPjSI_NS0_16reverse_iteratorISI_EEEEENSH_IJSG_SG_SG_EEES9_SI_JZNS1_25segmented_radix_sort_implINS0_14default_configELb0EPKiPiPKlPlN2at6native12_GLOBAL__N_18offset_tEEE10hipError_tPvRmT1_PNSt15iterator_traitsIS12_E10value_typeET2_T3_PNS13_IS18_E10value_typeET4_jRbjT5_S1E_jjP12ihipStream_tbEUljE_ZNSN_ISO_Lb0ESQ_SR_ST_SU_SY_EESZ_S10_S11_S12_S16_S17_S18_S1B_S1C_jS1D_jS1E_S1E_jjS1G_bEUljE0_EEESZ_S10_S11_S18_S1C_S1E_T6_T7_T9_mT8_S1G_bDpT10_ENKUlT_T0_E_clISt17integral_constantIbLb0EES1T_IbLb1EEEEDaS1P_S1Q_EUlS1P_E_NS1_11comp_targetILNS1_3genE9ELNS1_11target_archE1100ELNS1_3gpuE3ELNS1_3repE0EEENS1_30default_config_static_selectorELNS0_4arch9wavefront6targetE1EEEvS12_
	.p2align	8
	.type	_ZN7rocprim17ROCPRIM_400000_NS6detail17trampoline_kernelINS0_13select_configILj256ELj13ELNS0_17block_load_methodE3ELS4_3ELS4_3ELNS0_20block_scan_algorithmE0ELj4294967295EEENS1_25partition_config_selectorILNS1_17partition_subalgoE4EjNS0_10empty_typeEbEEZZNS1_14partition_implILS8_4ELb0ES6_15HIP_vector_typeIjLj2EENS0_17counting_iteratorIjlEEPS9_SG_NS0_5tupleIJPjSI_NS0_16reverse_iteratorISI_EEEEENSH_IJSG_SG_SG_EEES9_SI_JZNS1_25segmented_radix_sort_implINS0_14default_configELb0EPKiPiPKlPlN2at6native12_GLOBAL__N_18offset_tEEE10hipError_tPvRmT1_PNSt15iterator_traitsIS12_E10value_typeET2_T3_PNS13_IS18_E10value_typeET4_jRbjT5_S1E_jjP12ihipStream_tbEUljE_ZNSN_ISO_Lb0ESQ_SR_ST_SU_SY_EESZ_S10_S11_S12_S16_S17_S18_S1B_S1C_jS1D_jS1E_S1E_jjS1G_bEUljE0_EEESZ_S10_S11_S18_S1C_S1E_T6_T7_T9_mT8_S1G_bDpT10_ENKUlT_T0_E_clISt17integral_constantIbLb0EES1T_IbLb1EEEEDaS1P_S1Q_EUlS1P_E_NS1_11comp_targetILNS1_3genE9ELNS1_11target_archE1100ELNS1_3gpuE3ELNS1_3repE0EEENS1_30default_config_static_selectorELNS0_4arch9wavefront6targetE1EEEvS12_,@function
_ZN7rocprim17ROCPRIM_400000_NS6detail17trampoline_kernelINS0_13select_configILj256ELj13ELNS0_17block_load_methodE3ELS4_3ELS4_3ELNS0_20block_scan_algorithmE0ELj4294967295EEENS1_25partition_config_selectorILNS1_17partition_subalgoE4EjNS0_10empty_typeEbEEZZNS1_14partition_implILS8_4ELb0ES6_15HIP_vector_typeIjLj2EENS0_17counting_iteratorIjlEEPS9_SG_NS0_5tupleIJPjSI_NS0_16reverse_iteratorISI_EEEEENSH_IJSG_SG_SG_EEES9_SI_JZNS1_25segmented_radix_sort_implINS0_14default_configELb0EPKiPiPKlPlN2at6native12_GLOBAL__N_18offset_tEEE10hipError_tPvRmT1_PNSt15iterator_traitsIS12_E10value_typeET2_T3_PNS13_IS18_E10value_typeET4_jRbjT5_S1E_jjP12ihipStream_tbEUljE_ZNSN_ISO_Lb0ESQ_SR_ST_SU_SY_EESZ_S10_S11_S12_S16_S17_S18_S1B_S1C_jS1D_jS1E_S1E_jjS1G_bEUljE0_EEESZ_S10_S11_S18_S1C_S1E_T6_T7_T9_mT8_S1G_bDpT10_ENKUlT_T0_E_clISt17integral_constantIbLb0EES1T_IbLb1EEEEDaS1P_S1Q_EUlS1P_E_NS1_11comp_targetILNS1_3genE9ELNS1_11target_archE1100ELNS1_3gpuE3ELNS1_3repE0EEENS1_30default_config_static_selectorELNS0_4arch9wavefront6targetE1EEEvS12_: ; @_ZN7rocprim17ROCPRIM_400000_NS6detail17trampoline_kernelINS0_13select_configILj256ELj13ELNS0_17block_load_methodE3ELS4_3ELS4_3ELNS0_20block_scan_algorithmE0ELj4294967295EEENS1_25partition_config_selectorILNS1_17partition_subalgoE4EjNS0_10empty_typeEbEEZZNS1_14partition_implILS8_4ELb0ES6_15HIP_vector_typeIjLj2EENS0_17counting_iteratorIjlEEPS9_SG_NS0_5tupleIJPjSI_NS0_16reverse_iteratorISI_EEEEENSH_IJSG_SG_SG_EEES9_SI_JZNS1_25segmented_radix_sort_implINS0_14default_configELb0EPKiPiPKlPlN2at6native12_GLOBAL__N_18offset_tEEE10hipError_tPvRmT1_PNSt15iterator_traitsIS12_E10value_typeET2_T3_PNS13_IS18_E10value_typeET4_jRbjT5_S1E_jjP12ihipStream_tbEUljE_ZNSN_ISO_Lb0ESQ_SR_ST_SU_SY_EESZ_S10_S11_S12_S16_S17_S18_S1B_S1C_jS1D_jS1E_S1E_jjS1G_bEUljE0_EEESZ_S10_S11_S18_S1C_S1E_T6_T7_T9_mT8_S1G_bDpT10_ENKUlT_T0_E_clISt17integral_constantIbLb0EES1T_IbLb1EEEEDaS1P_S1Q_EUlS1P_E_NS1_11comp_targetILNS1_3genE9ELNS1_11target_archE1100ELNS1_3gpuE3ELNS1_3repE0EEENS1_30default_config_static_selectorELNS0_4arch9wavefront6targetE1EEEvS12_
; %bb.0:
	.section	.rodata,"a",@progbits
	.p2align	6, 0x0
	.amdhsa_kernel _ZN7rocprim17ROCPRIM_400000_NS6detail17trampoline_kernelINS0_13select_configILj256ELj13ELNS0_17block_load_methodE3ELS4_3ELS4_3ELNS0_20block_scan_algorithmE0ELj4294967295EEENS1_25partition_config_selectorILNS1_17partition_subalgoE4EjNS0_10empty_typeEbEEZZNS1_14partition_implILS8_4ELb0ES6_15HIP_vector_typeIjLj2EENS0_17counting_iteratorIjlEEPS9_SG_NS0_5tupleIJPjSI_NS0_16reverse_iteratorISI_EEEEENSH_IJSG_SG_SG_EEES9_SI_JZNS1_25segmented_radix_sort_implINS0_14default_configELb0EPKiPiPKlPlN2at6native12_GLOBAL__N_18offset_tEEE10hipError_tPvRmT1_PNSt15iterator_traitsIS12_E10value_typeET2_T3_PNS13_IS18_E10value_typeET4_jRbjT5_S1E_jjP12ihipStream_tbEUljE_ZNSN_ISO_Lb0ESQ_SR_ST_SU_SY_EESZ_S10_S11_S12_S16_S17_S18_S1B_S1C_jS1D_jS1E_S1E_jjS1G_bEUljE0_EEESZ_S10_S11_S18_S1C_S1E_T6_T7_T9_mT8_S1G_bDpT10_ENKUlT_T0_E_clISt17integral_constantIbLb0EES1T_IbLb1EEEEDaS1P_S1Q_EUlS1P_E_NS1_11comp_targetILNS1_3genE9ELNS1_11target_archE1100ELNS1_3gpuE3ELNS1_3repE0EEENS1_30default_config_static_selectorELNS0_4arch9wavefront6targetE1EEEvS12_
		.amdhsa_group_segment_fixed_size 0
		.amdhsa_private_segment_fixed_size 0
		.amdhsa_kernarg_size 184
		.amdhsa_user_sgpr_count 6
		.amdhsa_user_sgpr_private_segment_buffer 1
		.amdhsa_user_sgpr_dispatch_ptr 0
		.amdhsa_user_sgpr_queue_ptr 0
		.amdhsa_user_sgpr_kernarg_segment_ptr 1
		.amdhsa_user_sgpr_dispatch_id 0
		.amdhsa_user_sgpr_flat_scratch_init 0
		.amdhsa_user_sgpr_private_segment_size 0
		.amdhsa_uses_dynamic_stack 0
		.amdhsa_system_sgpr_private_segment_wavefront_offset 0
		.amdhsa_system_sgpr_workgroup_id_x 1
		.amdhsa_system_sgpr_workgroup_id_y 0
		.amdhsa_system_sgpr_workgroup_id_z 0
		.amdhsa_system_sgpr_workgroup_info 0
		.amdhsa_system_vgpr_workitem_id 0
		.amdhsa_next_free_vgpr 1
		.amdhsa_next_free_sgpr 0
		.amdhsa_reserve_vcc 0
		.amdhsa_reserve_flat_scratch 0
		.amdhsa_float_round_mode_32 0
		.amdhsa_float_round_mode_16_64 0
		.amdhsa_float_denorm_mode_32 3
		.amdhsa_float_denorm_mode_16_64 3
		.amdhsa_dx10_clamp 1
		.amdhsa_ieee_mode 1
		.amdhsa_fp16_overflow 0
		.amdhsa_exception_fp_ieee_invalid_op 0
		.amdhsa_exception_fp_denorm_src 0
		.amdhsa_exception_fp_ieee_div_zero 0
		.amdhsa_exception_fp_ieee_overflow 0
		.amdhsa_exception_fp_ieee_underflow 0
		.amdhsa_exception_fp_ieee_inexact 0
		.amdhsa_exception_int_div_zero 0
	.end_amdhsa_kernel
	.section	.text._ZN7rocprim17ROCPRIM_400000_NS6detail17trampoline_kernelINS0_13select_configILj256ELj13ELNS0_17block_load_methodE3ELS4_3ELS4_3ELNS0_20block_scan_algorithmE0ELj4294967295EEENS1_25partition_config_selectorILNS1_17partition_subalgoE4EjNS0_10empty_typeEbEEZZNS1_14partition_implILS8_4ELb0ES6_15HIP_vector_typeIjLj2EENS0_17counting_iteratorIjlEEPS9_SG_NS0_5tupleIJPjSI_NS0_16reverse_iteratorISI_EEEEENSH_IJSG_SG_SG_EEES9_SI_JZNS1_25segmented_radix_sort_implINS0_14default_configELb0EPKiPiPKlPlN2at6native12_GLOBAL__N_18offset_tEEE10hipError_tPvRmT1_PNSt15iterator_traitsIS12_E10value_typeET2_T3_PNS13_IS18_E10value_typeET4_jRbjT5_S1E_jjP12ihipStream_tbEUljE_ZNSN_ISO_Lb0ESQ_SR_ST_SU_SY_EESZ_S10_S11_S12_S16_S17_S18_S1B_S1C_jS1D_jS1E_S1E_jjS1G_bEUljE0_EEESZ_S10_S11_S18_S1C_S1E_T6_T7_T9_mT8_S1G_bDpT10_ENKUlT_T0_E_clISt17integral_constantIbLb0EES1T_IbLb1EEEEDaS1P_S1Q_EUlS1P_E_NS1_11comp_targetILNS1_3genE9ELNS1_11target_archE1100ELNS1_3gpuE3ELNS1_3repE0EEENS1_30default_config_static_selectorELNS0_4arch9wavefront6targetE1EEEvS12_,"axG",@progbits,_ZN7rocprim17ROCPRIM_400000_NS6detail17trampoline_kernelINS0_13select_configILj256ELj13ELNS0_17block_load_methodE3ELS4_3ELS4_3ELNS0_20block_scan_algorithmE0ELj4294967295EEENS1_25partition_config_selectorILNS1_17partition_subalgoE4EjNS0_10empty_typeEbEEZZNS1_14partition_implILS8_4ELb0ES6_15HIP_vector_typeIjLj2EENS0_17counting_iteratorIjlEEPS9_SG_NS0_5tupleIJPjSI_NS0_16reverse_iteratorISI_EEEEENSH_IJSG_SG_SG_EEES9_SI_JZNS1_25segmented_radix_sort_implINS0_14default_configELb0EPKiPiPKlPlN2at6native12_GLOBAL__N_18offset_tEEE10hipError_tPvRmT1_PNSt15iterator_traitsIS12_E10value_typeET2_T3_PNS13_IS18_E10value_typeET4_jRbjT5_S1E_jjP12ihipStream_tbEUljE_ZNSN_ISO_Lb0ESQ_SR_ST_SU_SY_EESZ_S10_S11_S12_S16_S17_S18_S1B_S1C_jS1D_jS1E_S1E_jjS1G_bEUljE0_EEESZ_S10_S11_S18_S1C_S1E_T6_T7_T9_mT8_S1G_bDpT10_ENKUlT_T0_E_clISt17integral_constantIbLb0EES1T_IbLb1EEEEDaS1P_S1Q_EUlS1P_E_NS1_11comp_targetILNS1_3genE9ELNS1_11target_archE1100ELNS1_3gpuE3ELNS1_3repE0EEENS1_30default_config_static_selectorELNS0_4arch9wavefront6targetE1EEEvS12_,comdat
.Lfunc_end566:
	.size	_ZN7rocprim17ROCPRIM_400000_NS6detail17trampoline_kernelINS0_13select_configILj256ELj13ELNS0_17block_load_methodE3ELS4_3ELS4_3ELNS0_20block_scan_algorithmE0ELj4294967295EEENS1_25partition_config_selectorILNS1_17partition_subalgoE4EjNS0_10empty_typeEbEEZZNS1_14partition_implILS8_4ELb0ES6_15HIP_vector_typeIjLj2EENS0_17counting_iteratorIjlEEPS9_SG_NS0_5tupleIJPjSI_NS0_16reverse_iteratorISI_EEEEENSH_IJSG_SG_SG_EEES9_SI_JZNS1_25segmented_radix_sort_implINS0_14default_configELb0EPKiPiPKlPlN2at6native12_GLOBAL__N_18offset_tEEE10hipError_tPvRmT1_PNSt15iterator_traitsIS12_E10value_typeET2_T3_PNS13_IS18_E10value_typeET4_jRbjT5_S1E_jjP12ihipStream_tbEUljE_ZNSN_ISO_Lb0ESQ_SR_ST_SU_SY_EESZ_S10_S11_S12_S16_S17_S18_S1B_S1C_jS1D_jS1E_S1E_jjS1G_bEUljE0_EEESZ_S10_S11_S18_S1C_S1E_T6_T7_T9_mT8_S1G_bDpT10_ENKUlT_T0_E_clISt17integral_constantIbLb0EES1T_IbLb1EEEEDaS1P_S1Q_EUlS1P_E_NS1_11comp_targetILNS1_3genE9ELNS1_11target_archE1100ELNS1_3gpuE3ELNS1_3repE0EEENS1_30default_config_static_selectorELNS0_4arch9wavefront6targetE1EEEvS12_, .Lfunc_end566-_ZN7rocprim17ROCPRIM_400000_NS6detail17trampoline_kernelINS0_13select_configILj256ELj13ELNS0_17block_load_methodE3ELS4_3ELS4_3ELNS0_20block_scan_algorithmE0ELj4294967295EEENS1_25partition_config_selectorILNS1_17partition_subalgoE4EjNS0_10empty_typeEbEEZZNS1_14partition_implILS8_4ELb0ES6_15HIP_vector_typeIjLj2EENS0_17counting_iteratorIjlEEPS9_SG_NS0_5tupleIJPjSI_NS0_16reverse_iteratorISI_EEEEENSH_IJSG_SG_SG_EEES9_SI_JZNS1_25segmented_radix_sort_implINS0_14default_configELb0EPKiPiPKlPlN2at6native12_GLOBAL__N_18offset_tEEE10hipError_tPvRmT1_PNSt15iterator_traitsIS12_E10value_typeET2_T3_PNS13_IS18_E10value_typeET4_jRbjT5_S1E_jjP12ihipStream_tbEUljE_ZNSN_ISO_Lb0ESQ_SR_ST_SU_SY_EESZ_S10_S11_S12_S16_S17_S18_S1B_S1C_jS1D_jS1E_S1E_jjS1G_bEUljE0_EEESZ_S10_S11_S18_S1C_S1E_T6_T7_T9_mT8_S1G_bDpT10_ENKUlT_T0_E_clISt17integral_constantIbLb0EES1T_IbLb1EEEEDaS1P_S1Q_EUlS1P_E_NS1_11comp_targetILNS1_3genE9ELNS1_11target_archE1100ELNS1_3gpuE3ELNS1_3repE0EEENS1_30default_config_static_selectorELNS0_4arch9wavefront6targetE1EEEvS12_
                                        ; -- End function
	.set _ZN7rocprim17ROCPRIM_400000_NS6detail17trampoline_kernelINS0_13select_configILj256ELj13ELNS0_17block_load_methodE3ELS4_3ELS4_3ELNS0_20block_scan_algorithmE0ELj4294967295EEENS1_25partition_config_selectorILNS1_17partition_subalgoE4EjNS0_10empty_typeEbEEZZNS1_14partition_implILS8_4ELb0ES6_15HIP_vector_typeIjLj2EENS0_17counting_iteratorIjlEEPS9_SG_NS0_5tupleIJPjSI_NS0_16reverse_iteratorISI_EEEEENSH_IJSG_SG_SG_EEES9_SI_JZNS1_25segmented_radix_sort_implINS0_14default_configELb0EPKiPiPKlPlN2at6native12_GLOBAL__N_18offset_tEEE10hipError_tPvRmT1_PNSt15iterator_traitsIS12_E10value_typeET2_T3_PNS13_IS18_E10value_typeET4_jRbjT5_S1E_jjP12ihipStream_tbEUljE_ZNSN_ISO_Lb0ESQ_SR_ST_SU_SY_EESZ_S10_S11_S12_S16_S17_S18_S1B_S1C_jS1D_jS1E_S1E_jjS1G_bEUljE0_EEESZ_S10_S11_S18_S1C_S1E_T6_T7_T9_mT8_S1G_bDpT10_ENKUlT_T0_E_clISt17integral_constantIbLb0EES1T_IbLb1EEEEDaS1P_S1Q_EUlS1P_E_NS1_11comp_targetILNS1_3genE9ELNS1_11target_archE1100ELNS1_3gpuE3ELNS1_3repE0EEENS1_30default_config_static_selectorELNS0_4arch9wavefront6targetE1EEEvS12_.num_vgpr, 0
	.set _ZN7rocprim17ROCPRIM_400000_NS6detail17trampoline_kernelINS0_13select_configILj256ELj13ELNS0_17block_load_methodE3ELS4_3ELS4_3ELNS0_20block_scan_algorithmE0ELj4294967295EEENS1_25partition_config_selectorILNS1_17partition_subalgoE4EjNS0_10empty_typeEbEEZZNS1_14partition_implILS8_4ELb0ES6_15HIP_vector_typeIjLj2EENS0_17counting_iteratorIjlEEPS9_SG_NS0_5tupleIJPjSI_NS0_16reverse_iteratorISI_EEEEENSH_IJSG_SG_SG_EEES9_SI_JZNS1_25segmented_radix_sort_implINS0_14default_configELb0EPKiPiPKlPlN2at6native12_GLOBAL__N_18offset_tEEE10hipError_tPvRmT1_PNSt15iterator_traitsIS12_E10value_typeET2_T3_PNS13_IS18_E10value_typeET4_jRbjT5_S1E_jjP12ihipStream_tbEUljE_ZNSN_ISO_Lb0ESQ_SR_ST_SU_SY_EESZ_S10_S11_S12_S16_S17_S18_S1B_S1C_jS1D_jS1E_S1E_jjS1G_bEUljE0_EEESZ_S10_S11_S18_S1C_S1E_T6_T7_T9_mT8_S1G_bDpT10_ENKUlT_T0_E_clISt17integral_constantIbLb0EES1T_IbLb1EEEEDaS1P_S1Q_EUlS1P_E_NS1_11comp_targetILNS1_3genE9ELNS1_11target_archE1100ELNS1_3gpuE3ELNS1_3repE0EEENS1_30default_config_static_selectorELNS0_4arch9wavefront6targetE1EEEvS12_.num_agpr, 0
	.set _ZN7rocprim17ROCPRIM_400000_NS6detail17trampoline_kernelINS0_13select_configILj256ELj13ELNS0_17block_load_methodE3ELS4_3ELS4_3ELNS0_20block_scan_algorithmE0ELj4294967295EEENS1_25partition_config_selectorILNS1_17partition_subalgoE4EjNS0_10empty_typeEbEEZZNS1_14partition_implILS8_4ELb0ES6_15HIP_vector_typeIjLj2EENS0_17counting_iteratorIjlEEPS9_SG_NS0_5tupleIJPjSI_NS0_16reverse_iteratorISI_EEEEENSH_IJSG_SG_SG_EEES9_SI_JZNS1_25segmented_radix_sort_implINS0_14default_configELb0EPKiPiPKlPlN2at6native12_GLOBAL__N_18offset_tEEE10hipError_tPvRmT1_PNSt15iterator_traitsIS12_E10value_typeET2_T3_PNS13_IS18_E10value_typeET4_jRbjT5_S1E_jjP12ihipStream_tbEUljE_ZNSN_ISO_Lb0ESQ_SR_ST_SU_SY_EESZ_S10_S11_S12_S16_S17_S18_S1B_S1C_jS1D_jS1E_S1E_jjS1G_bEUljE0_EEESZ_S10_S11_S18_S1C_S1E_T6_T7_T9_mT8_S1G_bDpT10_ENKUlT_T0_E_clISt17integral_constantIbLb0EES1T_IbLb1EEEEDaS1P_S1Q_EUlS1P_E_NS1_11comp_targetILNS1_3genE9ELNS1_11target_archE1100ELNS1_3gpuE3ELNS1_3repE0EEENS1_30default_config_static_selectorELNS0_4arch9wavefront6targetE1EEEvS12_.numbered_sgpr, 0
	.set _ZN7rocprim17ROCPRIM_400000_NS6detail17trampoline_kernelINS0_13select_configILj256ELj13ELNS0_17block_load_methodE3ELS4_3ELS4_3ELNS0_20block_scan_algorithmE0ELj4294967295EEENS1_25partition_config_selectorILNS1_17partition_subalgoE4EjNS0_10empty_typeEbEEZZNS1_14partition_implILS8_4ELb0ES6_15HIP_vector_typeIjLj2EENS0_17counting_iteratorIjlEEPS9_SG_NS0_5tupleIJPjSI_NS0_16reverse_iteratorISI_EEEEENSH_IJSG_SG_SG_EEES9_SI_JZNS1_25segmented_radix_sort_implINS0_14default_configELb0EPKiPiPKlPlN2at6native12_GLOBAL__N_18offset_tEEE10hipError_tPvRmT1_PNSt15iterator_traitsIS12_E10value_typeET2_T3_PNS13_IS18_E10value_typeET4_jRbjT5_S1E_jjP12ihipStream_tbEUljE_ZNSN_ISO_Lb0ESQ_SR_ST_SU_SY_EESZ_S10_S11_S12_S16_S17_S18_S1B_S1C_jS1D_jS1E_S1E_jjS1G_bEUljE0_EEESZ_S10_S11_S18_S1C_S1E_T6_T7_T9_mT8_S1G_bDpT10_ENKUlT_T0_E_clISt17integral_constantIbLb0EES1T_IbLb1EEEEDaS1P_S1Q_EUlS1P_E_NS1_11comp_targetILNS1_3genE9ELNS1_11target_archE1100ELNS1_3gpuE3ELNS1_3repE0EEENS1_30default_config_static_selectorELNS0_4arch9wavefront6targetE1EEEvS12_.num_named_barrier, 0
	.set _ZN7rocprim17ROCPRIM_400000_NS6detail17trampoline_kernelINS0_13select_configILj256ELj13ELNS0_17block_load_methodE3ELS4_3ELS4_3ELNS0_20block_scan_algorithmE0ELj4294967295EEENS1_25partition_config_selectorILNS1_17partition_subalgoE4EjNS0_10empty_typeEbEEZZNS1_14partition_implILS8_4ELb0ES6_15HIP_vector_typeIjLj2EENS0_17counting_iteratorIjlEEPS9_SG_NS0_5tupleIJPjSI_NS0_16reverse_iteratorISI_EEEEENSH_IJSG_SG_SG_EEES9_SI_JZNS1_25segmented_radix_sort_implINS0_14default_configELb0EPKiPiPKlPlN2at6native12_GLOBAL__N_18offset_tEEE10hipError_tPvRmT1_PNSt15iterator_traitsIS12_E10value_typeET2_T3_PNS13_IS18_E10value_typeET4_jRbjT5_S1E_jjP12ihipStream_tbEUljE_ZNSN_ISO_Lb0ESQ_SR_ST_SU_SY_EESZ_S10_S11_S12_S16_S17_S18_S1B_S1C_jS1D_jS1E_S1E_jjS1G_bEUljE0_EEESZ_S10_S11_S18_S1C_S1E_T6_T7_T9_mT8_S1G_bDpT10_ENKUlT_T0_E_clISt17integral_constantIbLb0EES1T_IbLb1EEEEDaS1P_S1Q_EUlS1P_E_NS1_11comp_targetILNS1_3genE9ELNS1_11target_archE1100ELNS1_3gpuE3ELNS1_3repE0EEENS1_30default_config_static_selectorELNS0_4arch9wavefront6targetE1EEEvS12_.private_seg_size, 0
	.set _ZN7rocprim17ROCPRIM_400000_NS6detail17trampoline_kernelINS0_13select_configILj256ELj13ELNS0_17block_load_methodE3ELS4_3ELS4_3ELNS0_20block_scan_algorithmE0ELj4294967295EEENS1_25partition_config_selectorILNS1_17partition_subalgoE4EjNS0_10empty_typeEbEEZZNS1_14partition_implILS8_4ELb0ES6_15HIP_vector_typeIjLj2EENS0_17counting_iteratorIjlEEPS9_SG_NS0_5tupleIJPjSI_NS0_16reverse_iteratorISI_EEEEENSH_IJSG_SG_SG_EEES9_SI_JZNS1_25segmented_radix_sort_implINS0_14default_configELb0EPKiPiPKlPlN2at6native12_GLOBAL__N_18offset_tEEE10hipError_tPvRmT1_PNSt15iterator_traitsIS12_E10value_typeET2_T3_PNS13_IS18_E10value_typeET4_jRbjT5_S1E_jjP12ihipStream_tbEUljE_ZNSN_ISO_Lb0ESQ_SR_ST_SU_SY_EESZ_S10_S11_S12_S16_S17_S18_S1B_S1C_jS1D_jS1E_S1E_jjS1G_bEUljE0_EEESZ_S10_S11_S18_S1C_S1E_T6_T7_T9_mT8_S1G_bDpT10_ENKUlT_T0_E_clISt17integral_constantIbLb0EES1T_IbLb1EEEEDaS1P_S1Q_EUlS1P_E_NS1_11comp_targetILNS1_3genE9ELNS1_11target_archE1100ELNS1_3gpuE3ELNS1_3repE0EEENS1_30default_config_static_selectorELNS0_4arch9wavefront6targetE1EEEvS12_.uses_vcc, 0
	.set _ZN7rocprim17ROCPRIM_400000_NS6detail17trampoline_kernelINS0_13select_configILj256ELj13ELNS0_17block_load_methodE3ELS4_3ELS4_3ELNS0_20block_scan_algorithmE0ELj4294967295EEENS1_25partition_config_selectorILNS1_17partition_subalgoE4EjNS0_10empty_typeEbEEZZNS1_14partition_implILS8_4ELb0ES6_15HIP_vector_typeIjLj2EENS0_17counting_iteratorIjlEEPS9_SG_NS0_5tupleIJPjSI_NS0_16reverse_iteratorISI_EEEEENSH_IJSG_SG_SG_EEES9_SI_JZNS1_25segmented_radix_sort_implINS0_14default_configELb0EPKiPiPKlPlN2at6native12_GLOBAL__N_18offset_tEEE10hipError_tPvRmT1_PNSt15iterator_traitsIS12_E10value_typeET2_T3_PNS13_IS18_E10value_typeET4_jRbjT5_S1E_jjP12ihipStream_tbEUljE_ZNSN_ISO_Lb0ESQ_SR_ST_SU_SY_EESZ_S10_S11_S12_S16_S17_S18_S1B_S1C_jS1D_jS1E_S1E_jjS1G_bEUljE0_EEESZ_S10_S11_S18_S1C_S1E_T6_T7_T9_mT8_S1G_bDpT10_ENKUlT_T0_E_clISt17integral_constantIbLb0EES1T_IbLb1EEEEDaS1P_S1Q_EUlS1P_E_NS1_11comp_targetILNS1_3genE9ELNS1_11target_archE1100ELNS1_3gpuE3ELNS1_3repE0EEENS1_30default_config_static_selectorELNS0_4arch9wavefront6targetE1EEEvS12_.uses_flat_scratch, 0
	.set _ZN7rocprim17ROCPRIM_400000_NS6detail17trampoline_kernelINS0_13select_configILj256ELj13ELNS0_17block_load_methodE3ELS4_3ELS4_3ELNS0_20block_scan_algorithmE0ELj4294967295EEENS1_25partition_config_selectorILNS1_17partition_subalgoE4EjNS0_10empty_typeEbEEZZNS1_14partition_implILS8_4ELb0ES6_15HIP_vector_typeIjLj2EENS0_17counting_iteratorIjlEEPS9_SG_NS0_5tupleIJPjSI_NS0_16reverse_iteratorISI_EEEEENSH_IJSG_SG_SG_EEES9_SI_JZNS1_25segmented_radix_sort_implINS0_14default_configELb0EPKiPiPKlPlN2at6native12_GLOBAL__N_18offset_tEEE10hipError_tPvRmT1_PNSt15iterator_traitsIS12_E10value_typeET2_T3_PNS13_IS18_E10value_typeET4_jRbjT5_S1E_jjP12ihipStream_tbEUljE_ZNSN_ISO_Lb0ESQ_SR_ST_SU_SY_EESZ_S10_S11_S12_S16_S17_S18_S1B_S1C_jS1D_jS1E_S1E_jjS1G_bEUljE0_EEESZ_S10_S11_S18_S1C_S1E_T6_T7_T9_mT8_S1G_bDpT10_ENKUlT_T0_E_clISt17integral_constantIbLb0EES1T_IbLb1EEEEDaS1P_S1Q_EUlS1P_E_NS1_11comp_targetILNS1_3genE9ELNS1_11target_archE1100ELNS1_3gpuE3ELNS1_3repE0EEENS1_30default_config_static_selectorELNS0_4arch9wavefront6targetE1EEEvS12_.has_dyn_sized_stack, 0
	.set _ZN7rocprim17ROCPRIM_400000_NS6detail17trampoline_kernelINS0_13select_configILj256ELj13ELNS0_17block_load_methodE3ELS4_3ELS4_3ELNS0_20block_scan_algorithmE0ELj4294967295EEENS1_25partition_config_selectorILNS1_17partition_subalgoE4EjNS0_10empty_typeEbEEZZNS1_14partition_implILS8_4ELb0ES6_15HIP_vector_typeIjLj2EENS0_17counting_iteratorIjlEEPS9_SG_NS0_5tupleIJPjSI_NS0_16reverse_iteratorISI_EEEEENSH_IJSG_SG_SG_EEES9_SI_JZNS1_25segmented_radix_sort_implINS0_14default_configELb0EPKiPiPKlPlN2at6native12_GLOBAL__N_18offset_tEEE10hipError_tPvRmT1_PNSt15iterator_traitsIS12_E10value_typeET2_T3_PNS13_IS18_E10value_typeET4_jRbjT5_S1E_jjP12ihipStream_tbEUljE_ZNSN_ISO_Lb0ESQ_SR_ST_SU_SY_EESZ_S10_S11_S12_S16_S17_S18_S1B_S1C_jS1D_jS1E_S1E_jjS1G_bEUljE0_EEESZ_S10_S11_S18_S1C_S1E_T6_T7_T9_mT8_S1G_bDpT10_ENKUlT_T0_E_clISt17integral_constantIbLb0EES1T_IbLb1EEEEDaS1P_S1Q_EUlS1P_E_NS1_11comp_targetILNS1_3genE9ELNS1_11target_archE1100ELNS1_3gpuE3ELNS1_3repE0EEENS1_30default_config_static_selectorELNS0_4arch9wavefront6targetE1EEEvS12_.has_recursion, 0
	.set _ZN7rocprim17ROCPRIM_400000_NS6detail17trampoline_kernelINS0_13select_configILj256ELj13ELNS0_17block_load_methodE3ELS4_3ELS4_3ELNS0_20block_scan_algorithmE0ELj4294967295EEENS1_25partition_config_selectorILNS1_17partition_subalgoE4EjNS0_10empty_typeEbEEZZNS1_14partition_implILS8_4ELb0ES6_15HIP_vector_typeIjLj2EENS0_17counting_iteratorIjlEEPS9_SG_NS0_5tupleIJPjSI_NS0_16reverse_iteratorISI_EEEEENSH_IJSG_SG_SG_EEES9_SI_JZNS1_25segmented_radix_sort_implINS0_14default_configELb0EPKiPiPKlPlN2at6native12_GLOBAL__N_18offset_tEEE10hipError_tPvRmT1_PNSt15iterator_traitsIS12_E10value_typeET2_T3_PNS13_IS18_E10value_typeET4_jRbjT5_S1E_jjP12ihipStream_tbEUljE_ZNSN_ISO_Lb0ESQ_SR_ST_SU_SY_EESZ_S10_S11_S12_S16_S17_S18_S1B_S1C_jS1D_jS1E_S1E_jjS1G_bEUljE0_EEESZ_S10_S11_S18_S1C_S1E_T6_T7_T9_mT8_S1G_bDpT10_ENKUlT_T0_E_clISt17integral_constantIbLb0EES1T_IbLb1EEEEDaS1P_S1Q_EUlS1P_E_NS1_11comp_targetILNS1_3genE9ELNS1_11target_archE1100ELNS1_3gpuE3ELNS1_3repE0EEENS1_30default_config_static_selectorELNS0_4arch9wavefront6targetE1EEEvS12_.has_indirect_call, 0
	.section	.AMDGPU.csdata,"",@progbits
; Kernel info:
; codeLenInByte = 0
; TotalNumSgprs: 4
; NumVgprs: 0
; ScratchSize: 0
; MemoryBound: 0
; FloatMode: 240
; IeeeMode: 1
; LDSByteSize: 0 bytes/workgroup (compile time only)
; SGPRBlocks: 0
; VGPRBlocks: 0
; NumSGPRsForWavesPerEU: 4
; NumVGPRsForWavesPerEU: 1
; Occupancy: 10
; WaveLimiterHint : 0
; COMPUTE_PGM_RSRC2:SCRATCH_EN: 0
; COMPUTE_PGM_RSRC2:USER_SGPR: 6
; COMPUTE_PGM_RSRC2:TRAP_HANDLER: 0
; COMPUTE_PGM_RSRC2:TGID_X_EN: 1
; COMPUTE_PGM_RSRC2:TGID_Y_EN: 0
; COMPUTE_PGM_RSRC2:TGID_Z_EN: 0
; COMPUTE_PGM_RSRC2:TIDIG_COMP_CNT: 0
	.section	.text._ZN7rocprim17ROCPRIM_400000_NS6detail17trampoline_kernelINS0_13select_configILj256ELj13ELNS0_17block_load_methodE3ELS4_3ELS4_3ELNS0_20block_scan_algorithmE0ELj4294967295EEENS1_25partition_config_selectorILNS1_17partition_subalgoE4EjNS0_10empty_typeEbEEZZNS1_14partition_implILS8_4ELb0ES6_15HIP_vector_typeIjLj2EENS0_17counting_iteratorIjlEEPS9_SG_NS0_5tupleIJPjSI_NS0_16reverse_iteratorISI_EEEEENSH_IJSG_SG_SG_EEES9_SI_JZNS1_25segmented_radix_sort_implINS0_14default_configELb0EPKiPiPKlPlN2at6native12_GLOBAL__N_18offset_tEEE10hipError_tPvRmT1_PNSt15iterator_traitsIS12_E10value_typeET2_T3_PNS13_IS18_E10value_typeET4_jRbjT5_S1E_jjP12ihipStream_tbEUljE_ZNSN_ISO_Lb0ESQ_SR_ST_SU_SY_EESZ_S10_S11_S12_S16_S17_S18_S1B_S1C_jS1D_jS1E_S1E_jjS1G_bEUljE0_EEESZ_S10_S11_S18_S1C_S1E_T6_T7_T9_mT8_S1G_bDpT10_ENKUlT_T0_E_clISt17integral_constantIbLb0EES1T_IbLb1EEEEDaS1P_S1Q_EUlS1P_E_NS1_11comp_targetILNS1_3genE8ELNS1_11target_archE1030ELNS1_3gpuE2ELNS1_3repE0EEENS1_30default_config_static_selectorELNS0_4arch9wavefront6targetE1EEEvS12_,"axG",@progbits,_ZN7rocprim17ROCPRIM_400000_NS6detail17trampoline_kernelINS0_13select_configILj256ELj13ELNS0_17block_load_methodE3ELS4_3ELS4_3ELNS0_20block_scan_algorithmE0ELj4294967295EEENS1_25partition_config_selectorILNS1_17partition_subalgoE4EjNS0_10empty_typeEbEEZZNS1_14partition_implILS8_4ELb0ES6_15HIP_vector_typeIjLj2EENS0_17counting_iteratorIjlEEPS9_SG_NS0_5tupleIJPjSI_NS0_16reverse_iteratorISI_EEEEENSH_IJSG_SG_SG_EEES9_SI_JZNS1_25segmented_radix_sort_implINS0_14default_configELb0EPKiPiPKlPlN2at6native12_GLOBAL__N_18offset_tEEE10hipError_tPvRmT1_PNSt15iterator_traitsIS12_E10value_typeET2_T3_PNS13_IS18_E10value_typeET4_jRbjT5_S1E_jjP12ihipStream_tbEUljE_ZNSN_ISO_Lb0ESQ_SR_ST_SU_SY_EESZ_S10_S11_S12_S16_S17_S18_S1B_S1C_jS1D_jS1E_S1E_jjS1G_bEUljE0_EEESZ_S10_S11_S18_S1C_S1E_T6_T7_T9_mT8_S1G_bDpT10_ENKUlT_T0_E_clISt17integral_constantIbLb0EES1T_IbLb1EEEEDaS1P_S1Q_EUlS1P_E_NS1_11comp_targetILNS1_3genE8ELNS1_11target_archE1030ELNS1_3gpuE2ELNS1_3repE0EEENS1_30default_config_static_selectorELNS0_4arch9wavefront6targetE1EEEvS12_,comdat
	.globl	_ZN7rocprim17ROCPRIM_400000_NS6detail17trampoline_kernelINS0_13select_configILj256ELj13ELNS0_17block_load_methodE3ELS4_3ELS4_3ELNS0_20block_scan_algorithmE0ELj4294967295EEENS1_25partition_config_selectorILNS1_17partition_subalgoE4EjNS0_10empty_typeEbEEZZNS1_14partition_implILS8_4ELb0ES6_15HIP_vector_typeIjLj2EENS0_17counting_iteratorIjlEEPS9_SG_NS0_5tupleIJPjSI_NS0_16reverse_iteratorISI_EEEEENSH_IJSG_SG_SG_EEES9_SI_JZNS1_25segmented_radix_sort_implINS0_14default_configELb0EPKiPiPKlPlN2at6native12_GLOBAL__N_18offset_tEEE10hipError_tPvRmT1_PNSt15iterator_traitsIS12_E10value_typeET2_T3_PNS13_IS18_E10value_typeET4_jRbjT5_S1E_jjP12ihipStream_tbEUljE_ZNSN_ISO_Lb0ESQ_SR_ST_SU_SY_EESZ_S10_S11_S12_S16_S17_S18_S1B_S1C_jS1D_jS1E_S1E_jjS1G_bEUljE0_EEESZ_S10_S11_S18_S1C_S1E_T6_T7_T9_mT8_S1G_bDpT10_ENKUlT_T0_E_clISt17integral_constantIbLb0EES1T_IbLb1EEEEDaS1P_S1Q_EUlS1P_E_NS1_11comp_targetILNS1_3genE8ELNS1_11target_archE1030ELNS1_3gpuE2ELNS1_3repE0EEENS1_30default_config_static_selectorELNS0_4arch9wavefront6targetE1EEEvS12_ ; -- Begin function _ZN7rocprim17ROCPRIM_400000_NS6detail17trampoline_kernelINS0_13select_configILj256ELj13ELNS0_17block_load_methodE3ELS4_3ELS4_3ELNS0_20block_scan_algorithmE0ELj4294967295EEENS1_25partition_config_selectorILNS1_17partition_subalgoE4EjNS0_10empty_typeEbEEZZNS1_14partition_implILS8_4ELb0ES6_15HIP_vector_typeIjLj2EENS0_17counting_iteratorIjlEEPS9_SG_NS0_5tupleIJPjSI_NS0_16reverse_iteratorISI_EEEEENSH_IJSG_SG_SG_EEES9_SI_JZNS1_25segmented_radix_sort_implINS0_14default_configELb0EPKiPiPKlPlN2at6native12_GLOBAL__N_18offset_tEEE10hipError_tPvRmT1_PNSt15iterator_traitsIS12_E10value_typeET2_T3_PNS13_IS18_E10value_typeET4_jRbjT5_S1E_jjP12ihipStream_tbEUljE_ZNSN_ISO_Lb0ESQ_SR_ST_SU_SY_EESZ_S10_S11_S12_S16_S17_S18_S1B_S1C_jS1D_jS1E_S1E_jjS1G_bEUljE0_EEESZ_S10_S11_S18_S1C_S1E_T6_T7_T9_mT8_S1G_bDpT10_ENKUlT_T0_E_clISt17integral_constantIbLb0EES1T_IbLb1EEEEDaS1P_S1Q_EUlS1P_E_NS1_11comp_targetILNS1_3genE8ELNS1_11target_archE1030ELNS1_3gpuE2ELNS1_3repE0EEENS1_30default_config_static_selectorELNS0_4arch9wavefront6targetE1EEEvS12_
	.p2align	8
	.type	_ZN7rocprim17ROCPRIM_400000_NS6detail17trampoline_kernelINS0_13select_configILj256ELj13ELNS0_17block_load_methodE3ELS4_3ELS4_3ELNS0_20block_scan_algorithmE0ELj4294967295EEENS1_25partition_config_selectorILNS1_17partition_subalgoE4EjNS0_10empty_typeEbEEZZNS1_14partition_implILS8_4ELb0ES6_15HIP_vector_typeIjLj2EENS0_17counting_iteratorIjlEEPS9_SG_NS0_5tupleIJPjSI_NS0_16reverse_iteratorISI_EEEEENSH_IJSG_SG_SG_EEES9_SI_JZNS1_25segmented_radix_sort_implINS0_14default_configELb0EPKiPiPKlPlN2at6native12_GLOBAL__N_18offset_tEEE10hipError_tPvRmT1_PNSt15iterator_traitsIS12_E10value_typeET2_T3_PNS13_IS18_E10value_typeET4_jRbjT5_S1E_jjP12ihipStream_tbEUljE_ZNSN_ISO_Lb0ESQ_SR_ST_SU_SY_EESZ_S10_S11_S12_S16_S17_S18_S1B_S1C_jS1D_jS1E_S1E_jjS1G_bEUljE0_EEESZ_S10_S11_S18_S1C_S1E_T6_T7_T9_mT8_S1G_bDpT10_ENKUlT_T0_E_clISt17integral_constantIbLb0EES1T_IbLb1EEEEDaS1P_S1Q_EUlS1P_E_NS1_11comp_targetILNS1_3genE8ELNS1_11target_archE1030ELNS1_3gpuE2ELNS1_3repE0EEENS1_30default_config_static_selectorELNS0_4arch9wavefront6targetE1EEEvS12_,@function
_ZN7rocprim17ROCPRIM_400000_NS6detail17trampoline_kernelINS0_13select_configILj256ELj13ELNS0_17block_load_methodE3ELS4_3ELS4_3ELNS0_20block_scan_algorithmE0ELj4294967295EEENS1_25partition_config_selectorILNS1_17partition_subalgoE4EjNS0_10empty_typeEbEEZZNS1_14partition_implILS8_4ELb0ES6_15HIP_vector_typeIjLj2EENS0_17counting_iteratorIjlEEPS9_SG_NS0_5tupleIJPjSI_NS0_16reverse_iteratorISI_EEEEENSH_IJSG_SG_SG_EEES9_SI_JZNS1_25segmented_radix_sort_implINS0_14default_configELb0EPKiPiPKlPlN2at6native12_GLOBAL__N_18offset_tEEE10hipError_tPvRmT1_PNSt15iterator_traitsIS12_E10value_typeET2_T3_PNS13_IS18_E10value_typeET4_jRbjT5_S1E_jjP12ihipStream_tbEUljE_ZNSN_ISO_Lb0ESQ_SR_ST_SU_SY_EESZ_S10_S11_S12_S16_S17_S18_S1B_S1C_jS1D_jS1E_S1E_jjS1G_bEUljE0_EEESZ_S10_S11_S18_S1C_S1E_T6_T7_T9_mT8_S1G_bDpT10_ENKUlT_T0_E_clISt17integral_constantIbLb0EES1T_IbLb1EEEEDaS1P_S1Q_EUlS1P_E_NS1_11comp_targetILNS1_3genE8ELNS1_11target_archE1030ELNS1_3gpuE2ELNS1_3repE0EEENS1_30default_config_static_selectorELNS0_4arch9wavefront6targetE1EEEvS12_: ; @_ZN7rocprim17ROCPRIM_400000_NS6detail17trampoline_kernelINS0_13select_configILj256ELj13ELNS0_17block_load_methodE3ELS4_3ELS4_3ELNS0_20block_scan_algorithmE0ELj4294967295EEENS1_25partition_config_selectorILNS1_17partition_subalgoE4EjNS0_10empty_typeEbEEZZNS1_14partition_implILS8_4ELb0ES6_15HIP_vector_typeIjLj2EENS0_17counting_iteratorIjlEEPS9_SG_NS0_5tupleIJPjSI_NS0_16reverse_iteratorISI_EEEEENSH_IJSG_SG_SG_EEES9_SI_JZNS1_25segmented_radix_sort_implINS0_14default_configELb0EPKiPiPKlPlN2at6native12_GLOBAL__N_18offset_tEEE10hipError_tPvRmT1_PNSt15iterator_traitsIS12_E10value_typeET2_T3_PNS13_IS18_E10value_typeET4_jRbjT5_S1E_jjP12ihipStream_tbEUljE_ZNSN_ISO_Lb0ESQ_SR_ST_SU_SY_EESZ_S10_S11_S12_S16_S17_S18_S1B_S1C_jS1D_jS1E_S1E_jjS1G_bEUljE0_EEESZ_S10_S11_S18_S1C_S1E_T6_T7_T9_mT8_S1G_bDpT10_ENKUlT_T0_E_clISt17integral_constantIbLb0EES1T_IbLb1EEEEDaS1P_S1Q_EUlS1P_E_NS1_11comp_targetILNS1_3genE8ELNS1_11target_archE1030ELNS1_3gpuE2ELNS1_3repE0EEENS1_30default_config_static_selectorELNS0_4arch9wavefront6targetE1EEEvS12_
; %bb.0:
	.section	.rodata,"a",@progbits
	.p2align	6, 0x0
	.amdhsa_kernel _ZN7rocprim17ROCPRIM_400000_NS6detail17trampoline_kernelINS0_13select_configILj256ELj13ELNS0_17block_load_methodE3ELS4_3ELS4_3ELNS0_20block_scan_algorithmE0ELj4294967295EEENS1_25partition_config_selectorILNS1_17partition_subalgoE4EjNS0_10empty_typeEbEEZZNS1_14partition_implILS8_4ELb0ES6_15HIP_vector_typeIjLj2EENS0_17counting_iteratorIjlEEPS9_SG_NS0_5tupleIJPjSI_NS0_16reverse_iteratorISI_EEEEENSH_IJSG_SG_SG_EEES9_SI_JZNS1_25segmented_radix_sort_implINS0_14default_configELb0EPKiPiPKlPlN2at6native12_GLOBAL__N_18offset_tEEE10hipError_tPvRmT1_PNSt15iterator_traitsIS12_E10value_typeET2_T3_PNS13_IS18_E10value_typeET4_jRbjT5_S1E_jjP12ihipStream_tbEUljE_ZNSN_ISO_Lb0ESQ_SR_ST_SU_SY_EESZ_S10_S11_S12_S16_S17_S18_S1B_S1C_jS1D_jS1E_S1E_jjS1G_bEUljE0_EEESZ_S10_S11_S18_S1C_S1E_T6_T7_T9_mT8_S1G_bDpT10_ENKUlT_T0_E_clISt17integral_constantIbLb0EES1T_IbLb1EEEEDaS1P_S1Q_EUlS1P_E_NS1_11comp_targetILNS1_3genE8ELNS1_11target_archE1030ELNS1_3gpuE2ELNS1_3repE0EEENS1_30default_config_static_selectorELNS0_4arch9wavefront6targetE1EEEvS12_
		.amdhsa_group_segment_fixed_size 0
		.amdhsa_private_segment_fixed_size 0
		.amdhsa_kernarg_size 184
		.amdhsa_user_sgpr_count 6
		.amdhsa_user_sgpr_private_segment_buffer 1
		.amdhsa_user_sgpr_dispatch_ptr 0
		.amdhsa_user_sgpr_queue_ptr 0
		.amdhsa_user_sgpr_kernarg_segment_ptr 1
		.amdhsa_user_sgpr_dispatch_id 0
		.amdhsa_user_sgpr_flat_scratch_init 0
		.amdhsa_user_sgpr_private_segment_size 0
		.amdhsa_uses_dynamic_stack 0
		.amdhsa_system_sgpr_private_segment_wavefront_offset 0
		.amdhsa_system_sgpr_workgroup_id_x 1
		.amdhsa_system_sgpr_workgroup_id_y 0
		.amdhsa_system_sgpr_workgroup_id_z 0
		.amdhsa_system_sgpr_workgroup_info 0
		.amdhsa_system_vgpr_workitem_id 0
		.amdhsa_next_free_vgpr 1
		.amdhsa_next_free_sgpr 0
		.amdhsa_reserve_vcc 0
		.amdhsa_reserve_flat_scratch 0
		.amdhsa_float_round_mode_32 0
		.amdhsa_float_round_mode_16_64 0
		.amdhsa_float_denorm_mode_32 3
		.amdhsa_float_denorm_mode_16_64 3
		.amdhsa_dx10_clamp 1
		.amdhsa_ieee_mode 1
		.amdhsa_fp16_overflow 0
		.amdhsa_exception_fp_ieee_invalid_op 0
		.amdhsa_exception_fp_denorm_src 0
		.amdhsa_exception_fp_ieee_div_zero 0
		.amdhsa_exception_fp_ieee_overflow 0
		.amdhsa_exception_fp_ieee_underflow 0
		.amdhsa_exception_fp_ieee_inexact 0
		.amdhsa_exception_int_div_zero 0
	.end_amdhsa_kernel
	.section	.text._ZN7rocprim17ROCPRIM_400000_NS6detail17trampoline_kernelINS0_13select_configILj256ELj13ELNS0_17block_load_methodE3ELS4_3ELS4_3ELNS0_20block_scan_algorithmE0ELj4294967295EEENS1_25partition_config_selectorILNS1_17partition_subalgoE4EjNS0_10empty_typeEbEEZZNS1_14partition_implILS8_4ELb0ES6_15HIP_vector_typeIjLj2EENS0_17counting_iteratorIjlEEPS9_SG_NS0_5tupleIJPjSI_NS0_16reverse_iteratorISI_EEEEENSH_IJSG_SG_SG_EEES9_SI_JZNS1_25segmented_radix_sort_implINS0_14default_configELb0EPKiPiPKlPlN2at6native12_GLOBAL__N_18offset_tEEE10hipError_tPvRmT1_PNSt15iterator_traitsIS12_E10value_typeET2_T3_PNS13_IS18_E10value_typeET4_jRbjT5_S1E_jjP12ihipStream_tbEUljE_ZNSN_ISO_Lb0ESQ_SR_ST_SU_SY_EESZ_S10_S11_S12_S16_S17_S18_S1B_S1C_jS1D_jS1E_S1E_jjS1G_bEUljE0_EEESZ_S10_S11_S18_S1C_S1E_T6_T7_T9_mT8_S1G_bDpT10_ENKUlT_T0_E_clISt17integral_constantIbLb0EES1T_IbLb1EEEEDaS1P_S1Q_EUlS1P_E_NS1_11comp_targetILNS1_3genE8ELNS1_11target_archE1030ELNS1_3gpuE2ELNS1_3repE0EEENS1_30default_config_static_selectorELNS0_4arch9wavefront6targetE1EEEvS12_,"axG",@progbits,_ZN7rocprim17ROCPRIM_400000_NS6detail17trampoline_kernelINS0_13select_configILj256ELj13ELNS0_17block_load_methodE3ELS4_3ELS4_3ELNS0_20block_scan_algorithmE0ELj4294967295EEENS1_25partition_config_selectorILNS1_17partition_subalgoE4EjNS0_10empty_typeEbEEZZNS1_14partition_implILS8_4ELb0ES6_15HIP_vector_typeIjLj2EENS0_17counting_iteratorIjlEEPS9_SG_NS0_5tupleIJPjSI_NS0_16reverse_iteratorISI_EEEEENSH_IJSG_SG_SG_EEES9_SI_JZNS1_25segmented_radix_sort_implINS0_14default_configELb0EPKiPiPKlPlN2at6native12_GLOBAL__N_18offset_tEEE10hipError_tPvRmT1_PNSt15iterator_traitsIS12_E10value_typeET2_T3_PNS13_IS18_E10value_typeET4_jRbjT5_S1E_jjP12ihipStream_tbEUljE_ZNSN_ISO_Lb0ESQ_SR_ST_SU_SY_EESZ_S10_S11_S12_S16_S17_S18_S1B_S1C_jS1D_jS1E_S1E_jjS1G_bEUljE0_EEESZ_S10_S11_S18_S1C_S1E_T6_T7_T9_mT8_S1G_bDpT10_ENKUlT_T0_E_clISt17integral_constantIbLb0EES1T_IbLb1EEEEDaS1P_S1Q_EUlS1P_E_NS1_11comp_targetILNS1_3genE8ELNS1_11target_archE1030ELNS1_3gpuE2ELNS1_3repE0EEENS1_30default_config_static_selectorELNS0_4arch9wavefront6targetE1EEEvS12_,comdat
.Lfunc_end567:
	.size	_ZN7rocprim17ROCPRIM_400000_NS6detail17trampoline_kernelINS0_13select_configILj256ELj13ELNS0_17block_load_methodE3ELS4_3ELS4_3ELNS0_20block_scan_algorithmE0ELj4294967295EEENS1_25partition_config_selectorILNS1_17partition_subalgoE4EjNS0_10empty_typeEbEEZZNS1_14partition_implILS8_4ELb0ES6_15HIP_vector_typeIjLj2EENS0_17counting_iteratorIjlEEPS9_SG_NS0_5tupleIJPjSI_NS0_16reverse_iteratorISI_EEEEENSH_IJSG_SG_SG_EEES9_SI_JZNS1_25segmented_radix_sort_implINS0_14default_configELb0EPKiPiPKlPlN2at6native12_GLOBAL__N_18offset_tEEE10hipError_tPvRmT1_PNSt15iterator_traitsIS12_E10value_typeET2_T3_PNS13_IS18_E10value_typeET4_jRbjT5_S1E_jjP12ihipStream_tbEUljE_ZNSN_ISO_Lb0ESQ_SR_ST_SU_SY_EESZ_S10_S11_S12_S16_S17_S18_S1B_S1C_jS1D_jS1E_S1E_jjS1G_bEUljE0_EEESZ_S10_S11_S18_S1C_S1E_T6_T7_T9_mT8_S1G_bDpT10_ENKUlT_T0_E_clISt17integral_constantIbLb0EES1T_IbLb1EEEEDaS1P_S1Q_EUlS1P_E_NS1_11comp_targetILNS1_3genE8ELNS1_11target_archE1030ELNS1_3gpuE2ELNS1_3repE0EEENS1_30default_config_static_selectorELNS0_4arch9wavefront6targetE1EEEvS12_, .Lfunc_end567-_ZN7rocprim17ROCPRIM_400000_NS6detail17trampoline_kernelINS0_13select_configILj256ELj13ELNS0_17block_load_methodE3ELS4_3ELS4_3ELNS0_20block_scan_algorithmE0ELj4294967295EEENS1_25partition_config_selectorILNS1_17partition_subalgoE4EjNS0_10empty_typeEbEEZZNS1_14partition_implILS8_4ELb0ES6_15HIP_vector_typeIjLj2EENS0_17counting_iteratorIjlEEPS9_SG_NS0_5tupleIJPjSI_NS0_16reverse_iteratorISI_EEEEENSH_IJSG_SG_SG_EEES9_SI_JZNS1_25segmented_radix_sort_implINS0_14default_configELb0EPKiPiPKlPlN2at6native12_GLOBAL__N_18offset_tEEE10hipError_tPvRmT1_PNSt15iterator_traitsIS12_E10value_typeET2_T3_PNS13_IS18_E10value_typeET4_jRbjT5_S1E_jjP12ihipStream_tbEUljE_ZNSN_ISO_Lb0ESQ_SR_ST_SU_SY_EESZ_S10_S11_S12_S16_S17_S18_S1B_S1C_jS1D_jS1E_S1E_jjS1G_bEUljE0_EEESZ_S10_S11_S18_S1C_S1E_T6_T7_T9_mT8_S1G_bDpT10_ENKUlT_T0_E_clISt17integral_constantIbLb0EES1T_IbLb1EEEEDaS1P_S1Q_EUlS1P_E_NS1_11comp_targetILNS1_3genE8ELNS1_11target_archE1030ELNS1_3gpuE2ELNS1_3repE0EEENS1_30default_config_static_selectorELNS0_4arch9wavefront6targetE1EEEvS12_
                                        ; -- End function
	.set _ZN7rocprim17ROCPRIM_400000_NS6detail17trampoline_kernelINS0_13select_configILj256ELj13ELNS0_17block_load_methodE3ELS4_3ELS4_3ELNS0_20block_scan_algorithmE0ELj4294967295EEENS1_25partition_config_selectorILNS1_17partition_subalgoE4EjNS0_10empty_typeEbEEZZNS1_14partition_implILS8_4ELb0ES6_15HIP_vector_typeIjLj2EENS0_17counting_iteratorIjlEEPS9_SG_NS0_5tupleIJPjSI_NS0_16reverse_iteratorISI_EEEEENSH_IJSG_SG_SG_EEES9_SI_JZNS1_25segmented_radix_sort_implINS0_14default_configELb0EPKiPiPKlPlN2at6native12_GLOBAL__N_18offset_tEEE10hipError_tPvRmT1_PNSt15iterator_traitsIS12_E10value_typeET2_T3_PNS13_IS18_E10value_typeET4_jRbjT5_S1E_jjP12ihipStream_tbEUljE_ZNSN_ISO_Lb0ESQ_SR_ST_SU_SY_EESZ_S10_S11_S12_S16_S17_S18_S1B_S1C_jS1D_jS1E_S1E_jjS1G_bEUljE0_EEESZ_S10_S11_S18_S1C_S1E_T6_T7_T9_mT8_S1G_bDpT10_ENKUlT_T0_E_clISt17integral_constantIbLb0EES1T_IbLb1EEEEDaS1P_S1Q_EUlS1P_E_NS1_11comp_targetILNS1_3genE8ELNS1_11target_archE1030ELNS1_3gpuE2ELNS1_3repE0EEENS1_30default_config_static_selectorELNS0_4arch9wavefront6targetE1EEEvS12_.num_vgpr, 0
	.set _ZN7rocprim17ROCPRIM_400000_NS6detail17trampoline_kernelINS0_13select_configILj256ELj13ELNS0_17block_load_methodE3ELS4_3ELS4_3ELNS0_20block_scan_algorithmE0ELj4294967295EEENS1_25partition_config_selectorILNS1_17partition_subalgoE4EjNS0_10empty_typeEbEEZZNS1_14partition_implILS8_4ELb0ES6_15HIP_vector_typeIjLj2EENS0_17counting_iteratorIjlEEPS9_SG_NS0_5tupleIJPjSI_NS0_16reverse_iteratorISI_EEEEENSH_IJSG_SG_SG_EEES9_SI_JZNS1_25segmented_radix_sort_implINS0_14default_configELb0EPKiPiPKlPlN2at6native12_GLOBAL__N_18offset_tEEE10hipError_tPvRmT1_PNSt15iterator_traitsIS12_E10value_typeET2_T3_PNS13_IS18_E10value_typeET4_jRbjT5_S1E_jjP12ihipStream_tbEUljE_ZNSN_ISO_Lb0ESQ_SR_ST_SU_SY_EESZ_S10_S11_S12_S16_S17_S18_S1B_S1C_jS1D_jS1E_S1E_jjS1G_bEUljE0_EEESZ_S10_S11_S18_S1C_S1E_T6_T7_T9_mT8_S1G_bDpT10_ENKUlT_T0_E_clISt17integral_constantIbLb0EES1T_IbLb1EEEEDaS1P_S1Q_EUlS1P_E_NS1_11comp_targetILNS1_3genE8ELNS1_11target_archE1030ELNS1_3gpuE2ELNS1_3repE0EEENS1_30default_config_static_selectorELNS0_4arch9wavefront6targetE1EEEvS12_.num_agpr, 0
	.set _ZN7rocprim17ROCPRIM_400000_NS6detail17trampoline_kernelINS0_13select_configILj256ELj13ELNS0_17block_load_methodE3ELS4_3ELS4_3ELNS0_20block_scan_algorithmE0ELj4294967295EEENS1_25partition_config_selectorILNS1_17partition_subalgoE4EjNS0_10empty_typeEbEEZZNS1_14partition_implILS8_4ELb0ES6_15HIP_vector_typeIjLj2EENS0_17counting_iteratorIjlEEPS9_SG_NS0_5tupleIJPjSI_NS0_16reverse_iteratorISI_EEEEENSH_IJSG_SG_SG_EEES9_SI_JZNS1_25segmented_radix_sort_implINS0_14default_configELb0EPKiPiPKlPlN2at6native12_GLOBAL__N_18offset_tEEE10hipError_tPvRmT1_PNSt15iterator_traitsIS12_E10value_typeET2_T3_PNS13_IS18_E10value_typeET4_jRbjT5_S1E_jjP12ihipStream_tbEUljE_ZNSN_ISO_Lb0ESQ_SR_ST_SU_SY_EESZ_S10_S11_S12_S16_S17_S18_S1B_S1C_jS1D_jS1E_S1E_jjS1G_bEUljE0_EEESZ_S10_S11_S18_S1C_S1E_T6_T7_T9_mT8_S1G_bDpT10_ENKUlT_T0_E_clISt17integral_constantIbLb0EES1T_IbLb1EEEEDaS1P_S1Q_EUlS1P_E_NS1_11comp_targetILNS1_3genE8ELNS1_11target_archE1030ELNS1_3gpuE2ELNS1_3repE0EEENS1_30default_config_static_selectorELNS0_4arch9wavefront6targetE1EEEvS12_.numbered_sgpr, 0
	.set _ZN7rocprim17ROCPRIM_400000_NS6detail17trampoline_kernelINS0_13select_configILj256ELj13ELNS0_17block_load_methodE3ELS4_3ELS4_3ELNS0_20block_scan_algorithmE0ELj4294967295EEENS1_25partition_config_selectorILNS1_17partition_subalgoE4EjNS0_10empty_typeEbEEZZNS1_14partition_implILS8_4ELb0ES6_15HIP_vector_typeIjLj2EENS0_17counting_iteratorIjlEEPS9_SG_NS0_5tupleIJPjSI_NS0_16reverse_iteratorISI_EEEEENSH_IJSG_SG_SG_EEES9_SI_JZNS1_25segmented_radix_sort_implINS0_14default_configELb0EPKiPiPKlPlN2at6native12_GLOBAL__N_18offset_tEEE10hipError_tPvRmT1_PNSt15iterator_traitsIS12_E10value_typeET2_T3_PNS13_IS18_E10value_typeET4_jRbjT5_S1E_jjP12ihipStream_tbEUljE_ZNSN_ISO_Lb0ESQ_SR_ST_SU_SY_EESZ_S10_S11_S12_S16_S17_S18_S1B_S1C_jS1D_jS1E_S1E_jjS1G_bEUljE0_EEESZ_S10_S11_S18_S1C_S1E_T6_T7_T9_mT8_S1G_bDpT10_ENKUlT_T0_E_clISt17integral_constantIbLb0EES1T_IbLb1EEEEDaS1P_S1Q_EUlS1P_E_NS1_11comp_targetILNS1_3genE8ELNS1_11target_archE1030ELNS1_3gpuE2ELNS1_3repE0EEENS1_30default_config_static_selectorELNS0_4arch9wavefront6targetE1EEEvS12_.num_named_barrier, 0
	.set _ZN7rocprim17ROCPRIM_400000_NS6detail17trampoline_kernelINS0_13select_configILj256ELj13ELNS0_17block_load_methodE3ELS4_3ELS4_3ELNS0_20block_scan_algorithmE0ELj4294967295EEENS1_25partition_config_selectorILNS1_17partition_subalgoE4EjNS0_10empty_typeEbEEZZNS1_14partition_implILS8_4ELb0ES6_15HIP_vector_typeIjLj2EENS0_17counting_iteratorIjlEEPS9_SG_NS0_5tupleIJPjSI_NS0_16reverse_iteratorISI_EEEEENSH_IJSG_SG_SG_EEES9_SI_JZNS1_25segmented_radix_sort_implINS0_14default_configELb0EPKiPiPKlPlN2at6native12_GLOBAL__N_18offset_tEEE10hipError_tPvRmT1_PNSt15iterator_traitsIS12_E10value_typeET2_T3_PNS13_IS18_E10value_typeET4_jRbjT5_S1E_jjP12ihipStream_tbEUljE_ZNSN_ISO_Lb0ESQ_SR_ST_SU_SY_EESZ_S10_S11_S12_S16_S17_S18_S1B_S1C_jS1D_jS1E_S1E_jjS1G_bEUljE0_EEESZ_S10_S11_S18_S1C_S1E_T6_T7_T9_mT8_S1G_bDpT10_ENKUlT_T0_E_clISt17integral_constantIbLb0EES1T_IbLb1EEEEDaS1P_S1Q_EUlS1P_E_NS1_11comp_targetILNS1_3genE8ELNS1_11target_archE1030ELNS1_3gpuE2ELNS1_3repE0EEENS1_30default_config_static_selectorELNS0_4arch9wavefront6targetE1EEEvS12_.private_seg_size, 0
	.set _ZN7rocprim17ROCPRIM_400000_NS6detail17trampoline_kernelINS0_13select_configILj256ELj13ELNS0_17block_load_methodE3ELS4_3ELS4_3ELNS0_20block_scan_algorithmE0ELj4294967295EEENS1_25partition_config_selectorILNS1_17partition_subalgoE4EjNS0_10empty_typeEbEEZZNS1_14partition_implILS8_4ELb0ES6_15HIP_vector_typeIjLj2EENS0_17counting_iteratorIjlEEPS9_SG_NS0_5tupleIJPjSI_NS0_16reverse_iteratorISI_EEEEENSH_IJSG_SG_SG_EEES9_SI_JZNS1_25segmented_radix_sort_implINS0_14default_configELb0EPKiPiPKlPlN2at6native12_GLOBAL__N_18offset_tEEE10hipError_tPvRmT1_PNSt15iterator_traitsIS12_E10value_typeET2_T3_PNS13_IS18_E10value_typeET4_jRbjT5_S1E_jjP12ihipStream_tbEUljE_ZNSN_ISO_Lb0ESQ_SR_ST_SU_SY_EESZ_S10_S11_S12_S16_S17_S18_S1B_S1C_jS1D_jS1E_S1E_jjS1G_bEUljE0_EEESZ_S10_S11_S18_S1C_S1E_T6_T7_T9_mT8_S1G_bDpT10_ENKUlT_T0_E_clISt17integral_constantIbLb0EES1T_IbLb1EEEEDaS1P_S1Q_EUlS1P_E_NS1_11comp_targetILNS1_3genE8ELNS1_11target_archE1030ELNS1_3gpuE2ELNS1_3repE0EEENS1_30default_config_static_selectorELNS0_4arch9wavefront6targetE1EEEvS12_.uses_vcc, 0
	.set _ZN7rocprim17ROCPRIM_400000_NS6detail17trampoline_kernelINS0_13select_configILj256ELj13ELNS0_17block_load_methodE3ELS4_3ELS4_3ELNS0_20block_scan_algorithmE0ELj4294967295EEENS1_25partition_config_selectorILNS1_17partition_subalgoE4EjNS0_10empty_typeEbEEZZNS1_14partition_implILS8_4ELb0ES6_15HIP_vector_typeIjLj2EENS0_17counting_iteratorIjlEEPS9_SG_NS0_5tupleIJPjSI_NS0_16reverse_iteratorISI_EEEEENSH_IJSG_SG_SG_EEES9_SI_JZNS1_25segmented_radix_sort_implINS0_14default_configELb0EPKiPiPKlPlN2at6native12_GLOBAL__N_18offset_tEEE10hipError_tPvRmT1_PNSt15iterator_traitsIS12_E10value_typeET2_T3_PNS13_IS18_E10value_typeET4_jRbjT5_S1E_jjP12ihipStream_tbEUljE_ZNSN_ISO_Lb0ESQ_SR_ST_SU_SY_EESZ_S10_S11_S12_S16_S17_S18_S1B_S1C_jS1D_jS1E_S1E_jjS1G_bEUljE0_EEESZ_S10_S11_S18_S1C_S1E_T6_T7_T9_mT8_S1G_bDpT10_ENKUlT_T0_E_clISt17integral_constantIbLb0EES1T_IbLb1EEEEDaS1P_S1Q_EUlS1P_E_NS1_11comp_targetILNS1_3genE8ELNS1_11target_archE1030ELNS1_3gpuE2ELNS1_3repE0EEENS1_30default_config_static_selectorELNS0_4arch9wavefront6targetE1EEEvS12_.uses_flat_scratch, 0
	.set _ZN7rocprim17ROCPRIM_400000_NS6detail17trampoline_kernelINS0_13select_configILj256ELj13ELNS0_17block_load_methodE3ELS4_3ELS4_3ELNS0_20block_scan_algorithmE0ELj4294967295EEENS1_25partition_config_selectorILNS1_17partition_subalgoE4EjNS0_10empty_typeEbEEZZNS1_14partition_implILS8_4ELb0ES6_15HIP_vector_typeIjLj2EENS0_17counting_iteratorIjlEEPS9_SG_NS0_5tupleIJPjSI_NS0_16reverse_iteratorISI_EEEEENSH_IJSG_SG_SG_EEES9_SI_JZNS1_25segmented_radix_sort_implINS0_14default_configELb0EPKiPiPKlPlN2at6native12_GLOBAL__N_18offset_tEEE10hipError_tPvRmT1_PNSt15iterator_traitsIS12_E10value_typeET2_T3_PNS13_IS18_E10value_typeET4_jRbjT5_S1E_jjP12ihipStream_tbEUljE_ZNSN_ISO_Lb0ESQ_SR_ST_SU_SY_EESZ_S10_S11_S12_S16_S17_S18_S1B_S1C_jS1D_jS1E_S1E_jjS1G_bEUljE0_EEESZ_S10_S11_S18_S1C_S1E_T6_T7_T9_mT8_S1G_bDpT10_ENKUlT_T0_E_clISt17integral_constantIbLb0EES1T_IbLb1EEEEDaS1P_S1Q_EUlS1P_E_NS1_11comp_targetILNS1_3genE8ELNS1_11target_archE1030ELNS1_3gpuE2ELNS1_3repE0EEENS1_30default_config_static_selectorELNS0_4arch9wavefront6targetE1EEEvS12_.has_dyn_sized_stack, 0
	.set _ZN7rocprim17ROCPRIM_400000_NS6detail17trampoline_kernelINS0_13select_configILj256ELj13ELNS0_17block_load_methodE3ELS4_3ELS4_3ELNS0_20block_scan_algorithmE0ELj4294967295EEENS1_25partition_config_selectorILNS1_17partition_subalgoE4EjNS0_10empty_typeEbEEZZNS1_14partition_implILS8_4ELb0ES6_15HIP_vector_typeIjLj2EENS0_17counting_iteratorIjlEEPS9_SG_NS0_5tupleIJPjSI_NS0_16reverse_iteratorISI_EEEEENSH_IJSG_SG_SG_EEES9_SI_JZNS1_25segmented_radix_sort_implINS0_14default_configELb0EPKiPiPKlPlN2at6native12_GLOBAL__N_18offset_tEEE10hipError_tPvRmT1_PNSt15iterator_traitsIS12_E10value_typeET2_T3_PNS13_IS18_E10value_typeET4_jRbjT5_S1E_jjP12ihipStream_tbEUljE_ZNSN_ISO_Lb0ESQ_SR_ST_SU_SY_EESZ_S10_S11_S12_S16_S17_S18_S1B_S1C_jS1D_jS1E_S1E_jjS1G_bEUljE0_EEESZ_S10_S11_S18_S1C_S1E_T6_T7_T9_mT8_S1G_bDpT10_ENKUlT_T0_E_clISt17integral_constantIbLb0EES1T_IbLb1EEEEDaS1P_S1Q_EUlS1P_E_NS1_11comp_targetILNS1_3genE8ELNS1_11target_archE1030ELNS1_3gpuE2ELNS1_3repE0EEENS1_30default_config_static_selectorELNS0_4arch9wavefront6targetE1EEEvS12_.has_recursion, 0
	.set _ZN7rocprim17ROCPRIM_400000_NS6detail17trampoline_kernelINS0_13select_configILj256ELj13ELNS0_17block_load_methodE3ELS4_3ELS4_3ELNS0_20block_scan_algorithmE0ELj4294967295EEENS1_25partition_config_selectorILNS1_17partition_subalgoE4EjNS0_10empty_typeEbEEZZNS1_14partition_implILS8_4ELb0ES6_15HIP_vector_typeIjLj2EENS0_17counting_iteratorIjlEEPS9_SG_NS0_5tupleIJPjSI_NS0_16reverse_iteratorISI_EEEEENSH_IJSG_SG_SG_EEES9_SI_JZNS1_25segmented_radix_sort_implINS0_14default_configELb0EPKiPiPKlPlN2at6native12_GLOBAL__N_18offset_tEEE10hipError_tPvRmT1_PNSt15iterator_traitsIS12_E10value_typeET2_T3_PNS13_IS18_E10value_typeET4_jRbjT5_S1E_jjP12ihipStream_tbEUljE_ZNSN_ISO_Lb0ESQ_SR_ST_SU_SY_EESZ_S10_S11_S12_S16_S17_S18_S1B_S1C_jS1D_jS1E_S1E_jjS1G_bEUljE0_EEESZ_S10_S11_S18_S1C_S1E_T6_T7_T9_mT8_S1G_bDpT10_ENKUlT_T0_E_clISt17integral_constantIbLb0EES1T_IbLb1EEEEDaS1P_S1Q_EUlS1P_E_NS1_11comp_targetILNS1_3genE8ELNS1_11target_archE1030ELNS1_3gpuE2ELNS1_3repE0EEENS1_30default_config_static_selectorELNS0_4arch9wavefront6targetE1EEEvS12_.has_indirect_call, 0
	.section	.AMDGPU.csdata,"",@progbits
; Kernel info:
; codeLenInByte = 0
; TotalNumSgprs: 4
; NumVgprs: 0
; ScratchSize: 0
; MemoryBound: 0
; FloatMode: 240
; IeeeMode: 1
; LDSByteSize: 0 bytes/workgroup (compile time only)
; SGPRBlocks: 0
; VGPRBlocks: 0
; NumSGPRsForWavesPerEU: 4
; NumVGPRsForWavesPerEU: 1
; Occupancy: 10
; WaveLimiterHint : 0
; COMPUTE_PGM_RSRC2:SCRATCH_EN: 0
; COMPUTE_PGM_RSRC2:USER_SGPR: 6
; COMPUTE_PGM_RSRC2:TRAP_HANDLER: 0
; COMPUTE_PGM_RSRC2:TGID_X_EN: 1
; COMPUTE_PGM_RSRC2:TGID_Y_EN: 0
; COMPUTE_PGM_RSRC2:TGID_Z_EN: 0
; COMPUTE_PGM_RSRC2:TIDIG_COMP_CNT: 0
	.section	.text._ZN7rocprim17ROCPRIM_400000_NS6detail17trampoline_kernelINS0_13select_configILj256ELj13ELNS0_17block_load_methodE3ELS4_3ELS4_3ELNS0_20block_scan_algorithmE0ELj4294967295EEENS1_25partition_config_selectorILNS1_17partition_subalgoE3EjNS0_10empty_typeEbEEZZNS1_14partition_implILS8_3ELb0ES6_jNS0_17counting_iteratorIjlEEPS9_SE_NS0_5tupleIJPjSE_EEENSF_IJSE_SE_EEES9_SG_JZNS1_25segmented_radix_sort_implINS0_14default_configELb0EPKiPiPKlPlN2at6native12_GLOBAL__N_18offset_tEEE10hipError_tPvRmT1_PNSt15iterator_traitsISY_E10value_typeET2_T3_PNSZ_IS14_E10value_typeET4_jRbjT5_S1A_jjP12ihipStream_tbEUljE_EEESV_SW_SX_S14_S18_S1A_T6_T7_T9_mT8_S1C_bDpT10_ENKUlT_T0_E_clISt17integral_constantIbLb0EES1P_EEDaS1K_S1L_EUlS1K_E_NS1_11comp_targetILNS1_3genE0ELNS1_11target_archE4294967295ELNS1_3gpuE0ELNS1_3repE0EEENS1_30default_config_static_selectorELNS0_4arch9wavefront6targetE1EEEvSY_,"axG",@progbits,_ZN7rocprim17ROCPRIM_400000_NS6detail17trampoline_kernelINS0_13select_configILj256ELj13ELNS0_17block_load_methodE3ELS4_3ELS4_3ELNS0_20block_scan_algorithmE0ELj4294967295EEENS1_25partition_config_selectorILNS1_17partition_subalgoE3EjNS0_10empty_typeEbEEZZNS1_14partition_implILS8_3ELb0ES6_jNS0_17counting_iteratorIjlEEPS9_SE_NS0_5tupleIJPjSE_EEENSF_IJSE_SE_EEES9_SG_JZNS1_25segmented_radix_sort_implINS0_14default_configELb0EPKiPiPKlPlN2at6native12_GLOBAL__N_18offset_tEEE10hipError_tPvRmT1_PNSt15iterator_traitsISY_E10value_typeET2_T3_PNSZ_IS14_E10value_typeET4_jRbjT5_S1A_jjP12ihipStream_tbEUljE_EEESV_SW_SX_S14_S18_S1A_T6_T7_T9_mT8_S1C_bDpT10_ENKUlT_T0_E_clISt17integral_constantIbLb0EES1P_EEDaS1K_S1L_EUlS1K_E_NS1_11comp_targetILNS1_3genE0ELNS1_11target_archE4294967295ELNS1_3gpuE0ELNS1_3repE0EEENS1_30default_config_static_selectorELNS0_4arch9wavefront6targetE1EEEvSY_,comdat
	.globl	_ZN7rocprim17ROCPRIM_400000_NS6detail17trampoline_kernelINS0_13select_configILj256ELj13ELNS0_17block_load_methodE3ELS4_3ELS4_3ELNS0_20block_scan_algorithmE0ELj4294967295EEENS1_25partition_config_selectorILNS1_17partition_subalgoE3EjNS0_10empty_typeEbEEZZNS1_14partition_implILS8_3ELb0ES6_jNS0_17counting_iteratorIjlEEPS9_SE_NS0_5tupleIJPjSE_EEENSF_IJSE_SE_EEES9_SG_JZNS1_25segmented_radix_sort_implINS0_14default_configELb0EPKiPiPKlPlN2at6native12_GLOBAL__N_18offset_tEEE10hipError_tPvRmT1_PNSt15iterator_traitsISY_E10value_typeET2_T3_PNSZ_IS14_E10value_typeET4_jRbjT5_S1A_jjP12ihipStream_tbEUljE_EEESV_SW_SX_S14_S18_S1A_T6_T7_T9_mT8_S1C_bDpT10_ENKUlT_T0_E_clISt17integral_constantIbLb0EES1P_EEDaS1K_S1L_EUlS1K_E_NS1_11comp_targetILNS1_3genE0ELNS1_11target_archE4294967295ELNS1_3gpuE0ELNS1_3repE0EEENS1_30default_config_static_selectorELNS0_4arch9wavefront6targetE1EEEvSY_ ; -- Begin function _ZN7rocprim17ROCPRIM_400000_NS6detail17trampoline_kernelINS0_13select_configILj256ELj13ELNS0_17block_load_methodE3ELS4_3ELS4_3ELNS0_20block_scan_algorithmE0ELj4294967295EEENS1_25partition_config_selectorILNS1_17partition_subalgoE3EjNS0_10empty_typeEbEEZZNS1_14partition_implILS8_3ELb0ES6_jNS0_17counting_iteratorIjlEEPS9_SE_NS0_5tupleIJPjSE_EEENSF_IJSE_SE_EEES9_SG_JZNS1_25segmented_radix_sort_implINS0_14default_configELb0EPKiPiPKlPlN2at6native12_GLOBAL__N_18offset_tEEE10hipError_tPvRmT1_PNSt15iterator_traitsISY_E10value_typeET2_T3_PNSZ_IS14_E10value_typeET4_jRbjT5_S1A_jjP12ihipStream_tbEUljE_EEESV_SW_SX_S14_S18_S1A_T6_T7_T9_mT8_S1C_bDpT10_ENKUlT_T0_E_clISt17integral_constantIbLb0EES1P_EEDaS1K_S1L_EUlS1K_E_NS1_11comp_targetILNS1_3genE0ELNS1_11target_archE4294967295ELNS1_3gpuE0ELNS1_3repE0EEENS1_30default_config_static_selectorELNS0_4arch9wavefront6targetE1EEEvSY_
	.p2align	8
	.type	_ZN7rocprim17ROCPRIM_400000_NS6detail17trampoline_kernelINS0_13select_configILj256ELj13ELNS0_17block_load_methodE3ELS4_3ELS4_3ELNS0_20block_scan_algorithmE0ELj4294967295EEENS1_25partition_config_selectorILNS1_17partition_subalgoE3EjNS0_10empty_typeEbEEZZNS1_14partition_implILS8_3ELb0ES6_jNS0_17counting_iteratorIjlEEPS9_SE_NS0_5tupleIJPjSE_EEENSF_IJSE_SE_EEES9_SG_JZNS1_25segmented_radix_sort_implINS0_14default_configELb0EPKiPiPKlPlN2at6native12_GLOBAL__N_18offset_tEEE10hipError_tPvRmT1_PNSt15iterator_traitsISY_E10value_typeET2_T3_PNSZ_IS14_E10value_typeET4_jRbjT5_S1A_jjP12ihipStream_tbEUljE_EEESV_SW_SX_S14_S18_S1A_T6_T7_T9_mT8_S1C_bDpT10_ENKUlT_T0_E_clISt17integral_constantIbLb0EES1P_EEDaS1K_S1L_EUlS1K_E_NS1_11comp_targetILNS1_3genE0ELNS1_11target_archE4294967295ELNS1_3gpuE0ELNS1_3repE0EEENS1_30default_config_static_selectorELNS0_4arch9wavefront6targetE1EEEvSY_,@function
_ZN7rocprim17ROCPRIM_400000_NS6detail17trampoline_kernelINS0_13select_configILj256ELj13ELNS0_17block_load_methodE3ELS4_3ELS4_3ELNS0_20block_scan_algorithmE0ELj4294967295EEENS1_25partition_config_selectorILNS1_17partition_subalgoE3EjNS0_10empty_typeEbEEZZNS1_14partition_implILS8_3ELb0ES6_jNS0_17counting_iteratorIjlEEPS9_SE_NS0_5tupleIJPjSE_EEENSF_IJSE_SE_EEES9_SG_JZNS1_25segmented_radix_sort_implINS0_14default_configELb0EPKiPiPKlPlN2at6native12_GLOBAL__N_18offset_tEEE10hipError_tPvRmT1_PNSt15iterator_traitsISY_E10value_typeET2_T3_PNSZ_IS14_E10value_typeET4_jRbjT5_S1A_jjP12ihipStream_tbEUljE_EEESV_SW_SX_S14_S18_S1A_T6_T7_T9_mT8_S1C_bDpT10_ENKUlT_T0_E_clISt17integral_constantIbLb0EES1P_EEDaS1K_S1L_EUlS1K_E_NS1_11comp_targetILNS1_3genE0ELNS1_11target_archE4294967295ELNS1_3gpuE0ELNS1_3repE0EEENS1_30default_config_static_selectorELNS0_4arch9wavefront6targetE1EEEvSY_: ; @_ZN7rocprim17ROCPRIM_400000_NS6detail17trampoline_kernelINS0_13select_configILj256ELj13ELNS0_17block_load_methodE3ELS4_3ELS4_3ELNS0_20block_scan_algorithmE0ELj4294967295EEENS1_25partition_config_selectorILNS1_17partition_subalgoE3EjNS0_10empty_typeEbEEZZNS1_14partition_implILS8_3ELb0ES6_jNS0_17counting_iteratorIjlEEPS9_SE_NS0_5tupleIJPjSE_EEENSF_IJSE_SE_EEES9_SG_JZNS1_25segmented_radix_sort_implINS0_14default_configELb0EPKiPiPKlPlN2at6native12_GLOBAL__N_18offset_tEEE10hipError_tPvRmT1_PNSt15iterator_traitsISY_E10value_typeET2_T3_PNSZ_IS14_E10value_typeET4_jRbjT5_S1A_jjP12ihipStream_tbEUljE_EEESV_SW_SX_S14_S18_S1A_T6_T7_T9_mT8_S1C_bDpT10_ENKUlT_T0_E_clISt17integral_constantIbLb0EES1P_EEDaS1K_S1L_EUlS1K_E_NS1_11comp_targetILNS1_3genE0ELNS1_11target_archE4294967295ELNS1_3gpuE0ELNS1_3repE0EEENS1_30default_config_static_selectorELNS0_4arch9wavefront6targetE1EEEvSY_
; %bb.0:
	.section	.rodata,"a",@progbits
	.p2align	6, 0x0
	.amdhsa_kernel _ZN7rocprim17ROCPRIM_400000_NS6detail17trampoline_kernelINS0_13select_configILj256ELj13ELNS0_17block_load_methodE3ELS4_3ELS4_3ELNS0_20block_scan_algorithmE0ELj4294967295EEENS1_25partition_config_selectorILNS1_17partition_subalgoE3EjNS0_10empty_typeEbEEZZNS1_14partition_implILS8_3ELb0ES6_jNS0_17counting_iteratorIjlEEPS9_SE_NS0_5tupleIJPjSE_EEENSF_IJSE_SE_EEES9_SG_JZNS1_25segmented_radix_sort_implINS0_14default_configELb0EPKiPiPKlPlN2at6native12_GLOBAL__N_18offset_tEEE10hipError_tPvRmT1_PNSt15iterator_traitsISY_E10value_typeET2_T3_PNSZ_IS14_E10value_typeET4_jRbjT5_S1A_jjP12ihipStream_tbEUljE_EEESV_SW_SX_S14_S18_S1A_T6_T7_T9_mT8_S1C_bDpT10_ENKUlT_T0_E_clISt17integral_constantIbLb0EES1P_EEDaS1K_S1L_EUlS1K_E_NS1_11comp_targetILNS1_3genE0ELNS1_11target_archE4294967295ELNS1_3gpuE0ELNS1_3repE0EEENS1_30default_config_static_selectorELNS0_4arch9wavefront6targetE1EEEvSY_
		.amdhsa_group_segment_fixed_size 0
		.amdhsa_private_segment_fixed_size 0
		.amdhsa_kernarg_size 144
		.amdhsa_user_sgpr_count 6
		.amdhsa_user_sgpr_private_segment_buffer 1
		.amdhsa_user_sgpr_dispatch_ptr 0
		.amdhsa_user_sgpr_queue_ptr 0
		.amdhsa_user_sgpr_kernarg_segment_ptr 1
		.amdhsa_user_sgpr_dispatch_id 0
		.amdhsa_user_sgpr_flat_scratch_init 0
		.amdhsa_user_sgpr_private_segment_size 0
		.amdhsa_uses_dynamic_stack 0
		.amdhsa_system_sgpr_private_segment_wavefront_offset 0
		.amdhsa_system_sgpr_workgroup_id_x 1
		.amdhsa_system_sgpr_workgroup_id_y 0
		.amdhsa_system_sgpr_workgroup_id_z 0
		.amdhsa_system_sgpr_workgroup_info 0
		.amdhsa_system_vgpr_workitem_id 0
		.amdhsa_next_free_vgpr 1
		.amdhsa_next_free_sgpr 0
		.amdhsa_reserve_vcc 0
		.amdhsa_reserve_flat_scratch 0
		.amdhsa_float_round_mode_32 0
		.amdhsa_float_round_mode_16_64 0
		.amdhsa_float_denorm_mode_32 3
		.amdhsa_float_denorm_mode_16_64 3
		.amdhsa_dx10_clamp 1
		.amdhsa_ieee_mode 1
		.amdhsa_fp16_overflow 0
		.amdhsa_exception_fp_ieee_invalid_op 0
		.amdhsa_exception_fp_denorm_src 0
		.amdhsa_exception_fp_ieee_div_zero 0
		.amdhsa_exception_fp_ieee_overflow 0
		.amdhsa_exception_fp_ieee_underflow 0
		.amdhsa_exception_fp_ieee_inexact 0
		.amdhsa_exception_int_div_zero 0
	.end_amdhsa_kernel
	.section	.text._ZN7rocprim17ROCPRIM_400000_NS6detail17trampoline_kernelINS0_13select_configILj256ELj13ELNS0_17block_load_methodE3ELS4_3ELS4_3ELNS0_20block_scan_algorithmE0ELj4294967295EEENS1_25partition_config_selectorILNS1_17partition_subalgoE3EjNS0_10empty_typeEbEEZZNS1_14partition_implILS8_3ELb0ES6_jNS0_17counting_iteratorIjlEEPS9_SE_NS0_5tupleIJPjSE_EEENSF_IJSE_SE_EEES9_SG_JZNS1_25segmented_radix_sort_implINS0_14default_configELb0EPKiPiPKlPlN2at6native12_GLOBAL__N_18offset_tEEE10hipError_tPvRmT1_PNSt15iterator_traitsISY_E10value_typeET2_T3_PNSZ_IS14_E10value_typeET4_jRbjT5_S1A_jjP12ihipStream_tbEUljE_EEESV_SW_SX_S14_S18_S1A_T6_T7_T9_mT8_S1C_bDpT10_ENKUlT_T0_E_clISt17integral_constantIbLb0EES1P_EEDaS1K_S1L_EUlS1K_E_NS1_11comp_targetILNS1_3genE0ELNS1_11target_archE4294967295ELNS1_3gpuE0ELNS1_3repE0EEENS1_30default_config_static_selectorELNS0_4arch9wavefront6targetE1EEEvSY_,"axG",@progbits,_ZN7rocprim17ROCPRIM_400000_NS6detail17trampoline_kernelINS0_13select_configILj256ELj13ELNS0_17block_load_methodE3ELS4_3ELS4_3ELNS0_20block_scan_algorithmE0ELj4294967295EEENS1_25partition_config_selectorILNS1_17partition_subalgoE3EjNS0_10empty_typeEbEEZZNS1_14partition_implILS8_3ELb0ES6_jNS0_17counting_iteratorIjlEEPS9_SE_NS0_5tupleIJPjSE_EEENSF_IJSE_SE_EEES9_SG_JZNS1_25segmented_radix_sort_implINS0_14default_configELb0EPKiPiPKlPlN2at6native12_GLOBAL__N_18offset_tEEE10hipError_tPvRmT1_PNSt15iterator_traitsISY_E10value_typeET2_T3_PNSZ_IS14_E10value_typeET4_jRbjT5_S1A_jjP12ihipStream_tbEUljE_EEESV_SW_SX_S14_S18_S1A_T6_T7_T9_mT8_S1C_bDpT10_ENKUlT_T0_E_clISt17integral_constantIbLb0EES1P_EEDaS1K_S1L_EUlS1K_E_NS1_11comp_targetILNS1_3genE0ELNS1_11target_archE4294967295ELNS1_3gpuE0ELNS1_3repE0EEENS1_30default_config_static_selectorELNS0_4arch9wavefront6targetE1EEEvSY_,comdat
.Lfunc_end568:
	.size	_ZN7rocprim17ROCPRIM_400000_NS6detail17trampoline_kernelINS0_13select_configILj256ELj13ELNS0_17block_load_methodE3ELS4_3ELS4_3ELNS0_20block_scan_algorithmE0ELj4294967295EEENS1_25partition_config_selectorILNS1_17partition_subalgoE3EjNS0_10empty_typeEbEEZZNS1_14partition_implILS8_3ELb0ES6_jNS0_17counting_iteratorIjlEEPS9_SE_NS0_5tupleIJPjSE_EEENSF_IJSE_SE_EEES9_SG_JZNS1_25segmented_radix_sort_implINS0_14default_configELb0EPKiPiPKlPlN2at6native12_GLOBAL__N_18offset_tEEE10hipError_tPvRmT1_PNSt15iterator_traitsISY_E10value_typeET2_T3_PNSZ_IS14_E10value_typeET4_jRbjT5_S1A_jjP12ihipStream_tbEUljE_EEESV_SW_SX_S14_S18_S1A_T6_T7_T9_mT8_S1C_bDpT10_ENKUlT_T0_E_clISt17integral_constantIbLb0EES1P_EEDaS1K_S1L_EUlS1K_E_NS1_11comp_targetILNS1_3genE0ELNS1_11target_archE4294967295ELNS1_3gpuE0ELNS1_3repE0EEENS1_30default_config_static_selectorELNS0_4arch9wavefront6targetE1EEEvSY_, .Lfunc_end568-_ZN7rocprim17ROCPRIM_400000_NS6detail17trampoline_kernelINS0_13select_configILj256ELj13ELNS0_17block_load_methodE3ELS4_3ELS4_3ELNS0_20block_scan_algorithmE0ELj4294967295EEENS1_25partition_config_selectorILNS1_17partition_subalgoE3EjNS0_10empty_typeEbEEZZNS1_14partition_implILS8_3ELb0ES6_jNS0_17counting_iteratorIjlEEPS9_SE_NS0_5tupleIJPjSE_EEENSF_IJSE_SE_EEES9_SG_JZNS1_25segmented_radix_sort_implINS0_14default_configELb0EPKiPiPKlPlN2at6native12_GLOBAL__N_18offset_tEEE10hipError_tPvRmT1_PNSt15iterator_traitsISY_E10value_typeET2_T3_PNSZ_IS14_E10value_typeET4_jRbjT5_S1A_jjP12ihipStream_tbEUljE_EEESV_SW_SX_S14_S18_S1A_T6_T7_T9_mT8_S1C_bDpT10_ENKUlT_T0_E_clISt17integral_constantIbLb0EES1P_EEDaS1K_S1L_EUlS1K_E_NS1_11comp_targetILNS1_3genE0ELNS1_11target_archE4294967295ELNS1_3gpuE0ELNS1_3repE0EEENS1_30default_config_static_selectorELNS0_4arch9wavefront6targetE1EEEvSY_
                                        ; -- End function
	.set _ZN7rocprim17ROCPRIM_400000_NS6detail17trampoline_kernelINS0_13select_configILj256ELj13ELNS0_17block_load_methodE3ELS4_3ELS4_3ELNS0_20block_scan_algorithmE0ELj4294967295EEENS1_25partition_config_selectorILNS1_17partition_subalgoE3EjNS0_10empty_typeEbEEZZNS1_14partition_implILS8_3ELb0ES6_jNS0_17counting_iteratorIjlEEPS9_SE_NS0_5tupleIJPjSE_EEENSF_IJSE_SE_EEES9_SG_JZNS1_25segmented_radix_sort_implINS0_14default_configELb0EPKiPiPKlPlN2at6native12_GLOBAL__N_18offset_tEEE10hipError_tPvRmT1_PNSt15iterator_traitsISY_E10value_typeET2_T3_PNSZ_IS14_E10value_typeET4_jRbjT5_S1A_jjP12ihipStream_tbEUljE_EEESV_SW_SX_S14_S18_S1A_T6_T7_T9_mT8_S1C_bDpT10_ENKUlT_T0_E_clISt17integral_constantIbLb0EES1P_EEDaS1K_S1L_EUlS1K_E_NS1_11comp_targetILNS1_3genE0ELNS1_11target_archE4294967295ELNS1_3gpuE0ELNS1_3repE0EEENS1_30default_config_static_selectorELNS0_4arch9wavefront6targetE1EEEvSY_.num_vgpr, 0
	.set _ZN7rocprim17ROCPRIM_400000_NS6detail17trampoline_kernelINS0_13select_configILj256ELj13ELNS0_17block_load_methodE3ELS4_3ELS4_3ELNS0_20block_scan_algorithmE0ELj4294967295EEENS1_25partition_config_selectorILNS1_17partition_subalgoE3EjNS0_10empty_typeEbEEZZNS1_14partition_implILS8_3ELb0ES6_jNS0_17counting_iteratorIjlEEPS9_SE_NS0_5tupleIJPjSE_EEENSF_IJSE_SE_EEES9_SG_JZNS1_25segmented_radix_sort_implINS0_14default_configELb0EPKiPiPKlPlN2at6native12_GLOBAL__N_18offset_tEEE10hipError_tPvRmT1_PNSt15iterator_traitsISY_E10value_typeET2_T3_PNSZ_IS14_E10value_typeET4_jRbjT5_S1A_jjP12ihipStream_tbEUljE_EEESV_SW_SX_S14_S18_S1A_T6_T7_T9_mT8_S1C_bDpT10_ENKUlT_T0_E_clISt17integral_constantIbLb0EES1P_EEDaS1K_S1L_EUlS1K_E_NS1_11comp_targetILNS1_3genE0ELNS1_11target_archE4294967295ELNS1_3gpuE0ELNS1_3repE0EEENS1_30default_config_static_selectorELNS0_4arch9wavefront6targetE1EEEvSY_.num_agpr, 0
	.set _ZN7rocprim17ROCPRIM_400000_NS6detail17trampoline_kernelINS0_13select_configILj256ELj13ELNS0_17block_load_methodE3ELS4_3ELS4_3ELNS0_20block_scan_algorithmE0ELj4294967295EEENS1_25partition_config_selectorILNS1_17partition_subalgoE3EjNS0_10empty_typeEbEEZZNS1_14partition_implILS8_3ELb0ES6_jNS0_17counting_iteratorIjlEEPS9_SE_NS0_5tupleIJPjSE_EEENSF_IJSE_SE_EEES9_SG_JZNS1_25segmented_radix_sort_implINS0_14default_configELb0EPKiPiPKlPlN2at6native12_GLOBAL__N_18offset_tEEE10hipError_tPvRmT1_PNSt15iterator_traitsISY_E10value_typeET2_T3_PNSZ_IS14_E10value_typeET4_jRbjT5_S1A_jjP12ihipStream_tbEUljE_EEESV_SW_SX_S14_S18_S1A_T6_T7_T9_mT8_S1C_bDpT10_ENKUlT_T0_E_clISt17integral_constantIbLb0EES1P_EEDaS1K_S1L_EUlS1K_E_NS1_11comp_targetILNS1_3genE0ELNS1_11target_archE4294967295ELNS1_3gpuE0ELNS1_3repE0EEENS1_30default_config_static_selectorELNS0_4arch9wavefront6targetE1EEEvSY_.numbered_sgpr, 0
	.set _ZN7rocprim17ROCPRIM_400000_NS6detail17trampoline_kernelINS0_13select_configILj256ELj13ELNS0_17block_load_methodE3ELS4_3ELS4_3ELNS0_20block_scan_algorithmE0ELj4294967295EEENS1_25partition_config_selectorILNS1_17partition_subalgoE3EjNS0_10empty_typeEbEEZZNS1_14partition_implILS8_3ELb0ES6_jNS0_17counting_iteratorIjlEEPS9_SE_NS0_5tupleIJPjSE_EEENSF_IJSE_SE_EEES9_SG_JZNS1_25segmented_radix_sort_implINS0_14default_configELb0EPKiPiPKlPlN2at6native12_GLOBAL__N_18offset_tEEE10hipError_tPvRmT1_PNSt15iterator_traitsISY_E10value_typeET2_T3_PNSZ_IS14_E10value_typeET4_jRbjT5_S1A_jjP12ihipStream_tbEUljE_EEESV_SW_SX_S14_S18_S1A_T6_T7_T9_mT8_S1C_bDpT10_ENKUlT_T0_E_clISt17integral_constantIbLb0EES1P_EEDaS1K_S1L_EUlS1K_E_NS1_11comp_targetILNS1_3genE0ELNS1_11target_archE4294967295ELNS1_3gpuE0ELNS1_3repE0EEENS1_30default_config_static_selectorELNS0_4arch9wavefront6targetE1EEEvSY_.num_named_barrier, 0
	.set _ZN7rocprim17ROCPRIM_400000_NS6detail17trampoline_kernelINS0_13select_configILj256ELj13ELNS0_17block_load_methodE3ELS4_3ELS4_3ELNS0_20block_scan_algorithmE0ELj4294967295EEENS1_25partition_config_selectorILNS1_17partition_subalgoE3EjNS0_10empty_typeEbEEZZNS1_14partition_implILS8_3ELb0ES6_jNS0_17counting_iteratorIjlEEPS9_SE_NS0_5tupleIJPjSE_EEENSF_IJSE_SE_EEES9_SG_JZNS1_25segmented_radix_sort_implINS0_14default_configELb0EPKiPiPKlPlN2at6native12_GLOBAL__N_18offset_tEEE10hipError_tPvRmT1_PNSt15iterator_traitsISY_E10value_typeET2_T3_PNSZ_IS14_E10value_typeET4_jRbjT5_S1A_jjP12ihipStream_tbEUljE_EEESV_SW_SX_S14_S18_S1A_T6_T7_T9_mT8_S1C_bDpT10_ENKUlT_T0_E_clISt17integral_constantIbLb0EES1P_EEDaS1K_S1L_EUlS1K_E_NS1_11comp_targetILNS1_3genE0ELNS1_11target_archE4294967295ELNS1_3gpuE0ELNS1_3repE0EEENS1_30default_config_static_selectorELNS0_4arch9wavefront6targetE1EEEvSY_.private_seg_size, 0
	.set _ZN7rocprim17ROCPRIM_400000_NS6detail17trampoline_kernelINS0_13select_configILj256ELj13ELNS0_17block_load_methodE3ELS4_3ELS4_3ELNS0_20block_scan_algorithmE0ELj4294967295EEENS1_25partition_config_selectorILNS1_17partition_subalgoE3EjNS0_10empty_typeEbEEZZNS1_14partition_implILS8_3ELb0ES6_jNS0_17counting_iteratorIjlEEPS9_SE_NS0_5tupleIJPjSE_EEENSF_IJSE_SE_EEES9_SG_JZNS1_25segmented_radix_sort_implINS0_14default_configELb0EPKiPiPKlPlN2at6native12_GLOBAL__N_18offset_tEEE10hipError_tPvRmT1_PNSt15iterator_traitsISY_E10value_typeET2_T3_PNSZ_IS14_E10value_typeET4_jRbjT5_S1A_jjP12ihipStream_tbEUljE_EEESV_SW_SX_S14_S18_S1A_T6_T7_T9_mT8_S1C_bDpT10_ENKUlT_T0_E_clISt17integral_constantIbLb0EES1P_EEDaS1K_S1L_EUlS1K_E_NS1_11comp_targetILNS1_3genE0ELNS1_11target_archE4294967295ELNS1_3gpuE0ELNS1_3repE0EEENS1_30default_config_static_selectorELNS0_4arch9wavefront6targetE1EEEvSY_.uses_vcc, 0
	.set _ZN7rocprim17ROCPRIM_400000_NS6detail17trampoline_kernelINS0_13select_configILj256ELj13ELNS0_17block_load_methodE3ELS4_3ELS4_3ELNS0_20block_scan_algorithmE0ELj4294967295EEENS1_25partition_config_selectorILNS1_17partition_subalgoE3EjNS0_10empty_typeEbEEZZNS1_14partition_implILS8_3ELb0ES6_jNS0_17counting_iteratorIjlEEPS9_SE_NS0_5tupleIJPjSE_EEENSF_IJSE_SE_EEES9_SG_JZNS1_25segmented_radix_sort_implINS0_14default_configELb0EPKiPiPKlPlN2at6native12_GLOBAL__N_18offset_tEEE10hipError_tPvRmT1_PNSt15iterator_traitsISY_E10value_typeET2_T3_PNSZ_IS14_E10value_typeET4_jRbjT5_S1A_jjP12ihipStream_tbEUljE_EEESV_SW_SX_S14_S18_S1A_T6_T7_T9_mT8_S1C_bDpT10_ENKUlT_T0_E_clISt17integral_constantIbLb0EES1P_EEDaS1K_S1L_EUlS1K_E_NS1_11comp_targetILNS1_3genE0ELNS1_11target_archE4294967295ELNS1_3gpuE0ELNS1_3repE0EEENS1_30default_config_static_selectorELNS0_4arch9wavefront6targetE1EEEvSY_.uses_flat_scratch, 0
	.set _ZN7rocprim17ROCPRIM_400000_NS6detail17trampoline_kernelINS0_13select_configILj256ELj13ELNS0_17block_load_methodE3ELS4_3ELS4_3ELNS0_20block_scan_algorithmE0ELj4294967295EEENS1_25partition_config_selectorILNS1_17partition_subalgoE3EjNS0_10empty_typeEbEEZZNS1_14partition_implILS8_3ELb0ES6_jNS0_17counting_iteratorIjlEEPS9_SE_NS0_5tupleIJPjSE_EEENSF_IJSE_SE_EEES9_SG_JZNS1_25segmented_radix_sort_implINS0_14default_configELb0EPKiPiPKlPlN2at6native12_GLOBAL__N_18offset_tEEE10hipError_tPvRmT1_PNSt15iterator_traitsISY_E10value_typeET2_T3_PNSZ_IS14_E10value_typeET4_jRbjT5_S1A_jjP12ihipStream_tbEUljE_EEESV_SW_SX_S14_S18_S1A_T6_T7_T9_mT8_S1C_bDpT10_ENKUlT_T0_E_clISt17integral_constantIbLb0EES1P_EEDaS1K_S1L_EUlS1K_E_NS1_11comp_targetILNS1_3genE0ELNS1_11target_archE4294967295ELNS1_3gpuE0ELNS1_3repE0EEENS1_30default_config_static_selectorELNS0_4arch9wavefront6targetE1EEEvSY_.has_dyn_sized_stack, 0
	.set _ZN7rocprim17ROCPRIM_400000_NS6detail17trampoline_kernelINS0_13select_configILj256ELj13ELNS0_17block_load_methodE3ELS4_3ELS4_3ELNS0_20block_scan_algorithmE0ELj4294967295EEENS1_25partition_config_selectorILNS1_17partition_subalgoE3EjNS0_10empty_typeEbEEZZNS1_14partition_implILS8_3ELb0ES6_jNS0_17counting_iteratorIjlEEPS9_SE_NS0_5tupleIJPjSE_EEENSF_IJSE_SE_EEES9_SG_JZNS1_25segmented_radix_sort_implINS0_14default_configELb0EPKiPiPKlPlN2at6native12_GLOBAL__N_18offset_tEEE10hipError_tPvRmT1_PNSt15iterator_traitsISY_E10value_typeET2_T3_PNSZ_IS14_E10value_typeET4_jRbjT5_S1A_jjP12ihipStream_tbEUljE_EEESV_SW_SX_S14_S18_S1A_T6_T7_T9_mT8_S1C_bDpT10_ENKUlT_T0_E_clISt17integral_constantIbLb0EES1P_EEDaS1K_S1L_EUlS1K_E_NS1_11comp_targetILNS1_3genE0ELNS1_11target_archE4294967295ELNS1_3gpuE0ELNS1_3repE0EEENS1_30default_config_static_selectorELNS0_4arch9wavefront6targetE1EEEvSY_.has_recursion, 0
	.set _ZN7rocprim17ROCPRIM_400000_NS6detail17trampoline_kernelINS0_13select_configILj256ELj13ELNS0_17block_load_methodE3ELS4_3ELS4_3ELNS0_20block_scan_algorithmE0ELj4294967295EEENS1_25partition_config_selectorILNS1_17partition_subalgoE3EjNS0_10empty_typeEbEEZZNS1_14partition_implILS8_3ELb0ES6_jNS0_17counting_iteratorIjlEEPS9_SE_NS0_5tupleIJPjSE_EEENSF_IJSE_SE_EEES9_SG_JZNS1_25segmented_radix_sort_implINS0_14default_configELb0EPKiPiPKlPlN2at6native12_GLOBAL__N_18offset_tEEE10hipError_tPvRmT1_PNSt15iterator_traitsISY_E10value_typeET2_T3_PNSZ_IS14_E10value_typeET4_jRbjT5_S1A_jjP12ihipStream_tbEUljE_EEESV_SW_SX_S14_S18_S1A_T6_T7_T9_mT8_S1C_bDpT10_ENKUlT_T0_E_clISt17integral_constantIbLb0EES1P_EEDaS1K_S1L_EUlS1K_E_NS1_11comp_targetILNS1_3genE0ELNS1_11target_archE4294967295ELNS1_3gpuE0ELNS1_3repE0EEENS1_30default_config_static_selectorELNS0_4arch9wavefront6targetE1EEEvSY_.has_indirect_call, 0
	.section	.AMDGPU.csdata,"",@progbits
; Kernel info:
; codeLenInByte = 0
; TotalNumSgprs: 4
; NumVgprs: 0
; ScratchSize: 0
; MemoryBound: 0
; FloatMode: 240
; IeeeMode: 1
; LDSByteSize: 0 bytes/workgroup (compile time only)
; SGPRBlocks: 0
; VGPRBlocks: 0
; NumSGPRsForWavesPerEU: 4
; NumVGPRsForWavesPerEU: 1
; Occupancy: 10
; WaveLimiterHint : 0
; COMPUTE_PGM_RSRC2:SCRATCH_EN: 0
; COMPUTE_PGM_RSRC2:USER_SGPR: 6
; COMPUTE_PGM_RSRC2:TRAP_HANDLER: 0
; COMPUTE_PGM_RSRC2:TGID_X_EN: 1
; COMPUTE_PGM_RSRC2:TGID_Y_EN: 0
; COMPUTE_PGM_RSRC2:TGID_Z_EN: 0
; COMPUTE_PGM_RSRC2:TIDIG_COMP_CNT: 0
	.section	.text._ZN7rocprim17ROCPRIM_400000_NS6detail17trampoline_kernelINS0_13select_configILj256ELj13ELNS0_17block_load_methodE3ELS4_3ELS4_3ELNS0_20block_scan_algorithmE0ELj4294967295EEENS1_25partition_config_selectorILNS1_17partition_subalgoE3EjNS0_10empty_typeEbEEZZNS1_14partition_implILS8_3ELb0ES6_jNS0_17counting_iteratorIjlEEPS9_SE_NS0_5tupleIJPjSE_EEENSF_IJSE_SE_EEES9_SG_JZNS1_25segmented_radix_sort_implINS0_14default_configELb0EPKiPiPKlPlN2at6native12_GLOBAL__N_18offset_tEEE10hipError_tPvRmT1_PNSt15iterator_traitsISY_E10value_typeET2_T3_PNSZ_IS14_E10value_typeET4_jRbjT5_S1A_jjP12ihipStream_tbEUljE_EEESV_SW_SX_S14_S18_S1A_T6_T7_T9_mT8_S1C_bDpT10_ENKUlT_T0_E_clISt17integral_constantIbLb0EES1P_EEDaS1K_S1L_EUlS1K_E_NS1_11comp_targetILNS1_3genE5ELNS1_11target_archE942ELNS1_3gpuE9ELNS1_3repE0EEENS1_30default_config_static_selectorELNS0_4arch9wavefront6targetE1EEEvSY_,"axG",@progbits,_ZN7rocprim17ROCPRIM_400000_NS6detail17trampoline_kernelINS0_13select_configILj256ELj13ELNS0_17block_load_methodE3ELS4_3ELS4_3ELNS0_20block_scan_algorithmE0ELj4294967295EEENS1_25partition_config_selectorILNS1_17partition_subalgoE3EjNS0_10empty_typeEbEEZZNS1_14partition_implILS8_3ELb0ES6_jNS0_17counting_iteratorIjlEEPS9_SE_NS0_5tupleIJPjSE_EEENSF_IJSE_SE_EEES9_SG_JZNS1_25segmented_radix_sort_implINS0_14default_configELb0EPKiPiPKlPlN2at6native12_GLOBAL__N_18offset_tEEE10hipError_tPvRmT1_PNSt15iterator_traitsISY_E10value_typeET2_T3_PNSZ_IS14_E10value_typeET4_jRbjT5_S1A_jjP12ihipStream_tbEUljE_EEESV_SW_SX_S14_S18_S1A_T6_T7_T9_mT8_S1C_bDpT10_ENKUlT_T0_E_clISt17integral_constantIbLb0EES1P_EEDaS1K_S1L_EUlS1K_E_NS1_11comp_targetILNS1_3genE5ELNS1_11target_archE942ELNS1_3gpuE9ELNS1_3repE0EEENS1_30default_config_static_selectorELNS0_4arch9wavefront6targetE1EEEvSY_,comdat
	.globl	_ZN7rocprim17ROCPRIM_400000_NS6detail17trampoline_kernelINS0_13select_configILj256ELj13ELNS0_17block_load_methodE3ELS4_3ELS4_3ELNS0_20block_scan_algorithmE0ELj4294967295EEENS1_25partition_config_selectorILNS1_17partition_subalgoE3EjNS0_10empty_typeEbEEZZNS1_14partition_implILS8_3ELb0ES6_jNS0_17counting_iteratorIjlEEPS9_SE_NS0_5tupleIJPjSE_EEENSF_IJSE_SE_EEES9_SG_JZNS1_25segmented_radix_sort_implINS0_14default_configELb0EPKiPiPKlPlN2at6native12_GLOBAL__N_18offset_tEEE10hipError_tPvRmT1_PNSt15iterator_traitsISY_E10value_typeET2_T3_PNSZ_IS14_E10value_typeET4_jRbjT5_S1A_jjP12ihipStream_tbEUljE_EEESV_SW_SX_S14_S18_S1A_T6_T7_T9_mT8_S1C_bDpT10_ENKUlT_T0_E_clISt17integral_constantIbLb0EES1P_EEDaS1K_S1L_EUlS1K_E_NS1_11comp_targetILNS1_3genE5ELNS1_11target_archE942ELNS1_3gpuE9ELNS1_3repE0EEENS1_30default_config_static_selectorELNS0_4arch9wavefront6targetE1EEEvSY_ ; -- Begin function _ZN7rocprim17ROCPRIM_400000_NS6detail17trampoline_kernelINS0_13select_configILj256ELj13ELNS0_17block_load_methodE3ELS4_3ELS4_3ELNS0_20block_scan_algorithmE0ELj4294967295EEENS1_25partition_config_selectorILNS1_17partition_subalgoE3EjNS0_10empty_typeEbEEZZNS1_14partition_implILS8_3ELb0ES6_jNS0_17counting_iteratorIjlEEPS9_SE_NS0_5tupleIJPjSE_EEENSF_IJSE_SE_EEES9_SG_JZNS1_25segmented_radix_sort_implINS0_14default_configELb0EPKiPiPKlPlN2at6native12_GLOBAL__N_18offset_tEEE10hipError_tPvRmT1_PNSt15iterator_traitsISY_E10value_typeET2_T3_PNSZ_IS14_E10value_typeET4_jRbjT5_S1A_jjP12ihipStream_tbEUljE_EEESV_SW_SX_S14_S18_S1A_T6_T7_T9_mT8_S1C_bDpT10_ENKUlT_T0_E_clISt17integral_constantIbLb0EES1P_EEDaS1K_S1L_EUlS1K_E_NS1_11comp_targetILNS1_3genE5ELNS1_11target_archE942ELNS1_3gpuE9ELNS1_3repE0EEENS1_30default_config_static_selectorELNS0_4arch9wavefront6targetE1EEEvSY_
	.p2align	8
	.type	_ZN7rocprim17ROCPRIM_400000_NS6detail17trampoline_kernelINS0_13select_configILj256ELj13ELNS0_17block_load_methodE3ELS4_3ELS4_3ELNS0_20block_scan_algorithmE0ELj4294967295EEENS1_25partition_config_selectorILNS1_17partition_subalgoE3EjNS0_10empty_typeEbEEZZNS1_14partition_implILS8_3ELb0ES6_jNS0_17counting_iteratorIjlEEPS9_SE_NS0_5tupleIJPjSE_EEENSF_IJSE_SE_EEES9_SG_JZNS1_25segmented_radix_sort_implINS0_14default_configELb0EPKiPiPKlPlN2at6native12_GLOBAL__N_18offset_tEEE10hipError_tPvRmT1_PNSt15iterator_traitsISY_E10value_typeET2_T3_PNSZ_IS14_E10value_typeET4_jRbjT5_S1A_jjP12ihipStream_tbEUljE_EEESV_SW_SX_S14_S18_S1A_T6_T7_T9_mT8_S1C_bDpT10_ENKUlT_T0_E_clISt17integral_constantIbLb0EES1P_EEDaS1K_S1L_EUlS1K_E_NS1_11comp_targetILNS1_3genE5ELNS1_11target_archE942ELNS1_3gpuE9ELNS1_3repE0EEENS1_30default_config_static_selectorELNS0_4arch9wavefront6targetE1EEEvSY_,@function
_ZN7rocprim17ROCPRIM_400000_NS6detail17trampoline_kernelINS0_13select_configILj256ELj13ELNS0_17block_load_methodE3ELS4_3ELS4_3ELNS0_20block_scan_algorithmE0ELj4294967295EEENS1_25partition_config_selectorILNS1_17partition_subalgoE3EjNS0_10empty_typeEbEEZZNS1_14partition_implILS8_3ELb0ES6_jNS0_17counting_iteratorIjlEEPS9_SE_NS0_5tupleIJPjSE_EEENSF_IJSE_SE_EEES9_SG_JZNS1_25segmented_radix_sort_implINS0_14default_configELb0EPKiPiPKlPlN2at6native12_GLOBAL__N_18offset_tEEE10hipError_tPvRmT1_PNSt15iterator_traitsISY_E10value_typeET2_T3_PNSZ_IS14_E10value_typeET4_jRbjT5_S1A_jjP12ihipStream_tbEUljE_EEESV_SW_SX_S14_S18_S1A_T6_T7_T9_mT8_S1C_bDpT10_ENKUlT_T0_E_clISt17integral_constantIbLb0EES1P_EEDaS1K_S1L_EUlS1K_E_NS1_11comp_targetILNS1_3genE5ELNS1_11target_archE942ELNS1_3gpuE9ELNS1_3repE0EEENS1_30default_config_static_selectorELNS0_4arch9wavefront6targetE1EEEvSY_: ; @_ZN7rocprim17ROCPRIM_400000_NS6detail17trampoline_kernelINS0_13select_configILj256ELj13ELNS0_17block_load_methodE3ELS4_3ELS4_3ELNS0_20block_scan_algorithmE0ELj4294967295EEENS1_25partition_config_selectorILNS1_17partition_subalgoE3EjNS0_10empty_typeEbEEZZNS1_14partition_implILS8_3ELb0ES6_jNS0_17counting_iteratorIjlEEPS9_SE_NS0_5tupleIJPjSE_EEENSF_IJSE_SE_EEES9_SG_JZNS1_25segmented_radix_sort_implINS0_14default_configELb0EPKiPiPKlPlN2at6native12_GLOBAL__N_18offset_tEEE10hipError_tPvRmT1_PNSt15iterator_traitsISY_E10value_typeET2_T3_PNSZ_IS14_E10value_typeET4_jRbjT5_S1A_jjP12ihipStream_tbEUljE_EEESV_SW_SX_S14_S18_S1A_T6_T7_T9_mT8_S1C_bDpT10_ENKUlT_T0_E_clISt17integral_constantIbLb0EES1P_EEDaS1K_S1L_EUlS1K_E_NS1_11comp_targetILNS1_3genE5ELNS1_11target_archE942ELNS1_3gpuE9ELNS1_3repE0EEENS1_30default_config_static_selectorELNS0_4arch9wavefront6targetE1EEEvSY_
; %bb.0:
	.section	.rodata,"a",@progbits
	.p2align	6, 0x0
	.amdhsa_kernel _ZN7rocprim17ROCPRIM_400000_NS6detail17trampoline_kernelINS0_13select_configILj256ELj13ELNS0_17block_load_methodE3ELS4_3ELS4_3ELNS0_20block_scan_algorithmE0ELj4294967295EEENS1_25partition_config_selectorILNS1_17partition_subalgoE3EjNS0_10empty_typeEbEEZZNS1_14partition_implILS8_3ELb0ES6_jNS0_17counting_iteratorIjlEEPS9_SE_NS0_5tupleIJPjSE_EEENSF_IJSE_SE_EEES9_SG_JZNS1_25segmented_radix_sort_implINS0_14default_configELb0EPKiPiPKlPlN2at6native12_GLOBAL__N_18offset_tEEE10hipError_tPvRmT1_PNSt15iterator_traitsISY_E10value_typeET2_T3_PNSZ_IS14_E10value_typeET4_jRbjT5_S1A_jjP12ihipStream_tbEUljE_EEESV_SW_SX_S14_S18_S1A_T6_T7_T9_mT8_S1C_bDpT10_ENKUlT_T0_E_clISt17integral_constantIbLb0EES1P_EEDaS1K_S1L_EUlS1K_E_NS1_11comp_targetILNS1_3genE5ELNS1_11target_archE942ELNS1_3gpuE9ELNS1_3repE0EEENS1_30default_config_static_selectorELNS0_4arch9wavefront6targetE1EEEvSY_
		.amdhsa_group_segment_fixed_size 0
		.amdhsa_private_segment_fixed_size 0
		.amdhsa_kernarg_size 144
		.amdhsa_user_sgpr_count 6
		.amdhsa_user_sgpr_private_segment_buffer 1
		.amdhsa_user_sgpr_dispatch_ptr 0
		.amdhsa_user_sgpr_queue_ptr 0
		.amdhsa_user_sgpr_kernarg_segment_ptr 1
		.amdhsa_user_sgpr_dispatch_id 0
		.amdhsa_user_sgpr_flat_scratch_init 0
		.amdhsa_user_sgpr_private_segment_size 0
		.amdhsa_uses_dynamic_stack 0
		.amdhsa_system_sgpr_private_segment_wavefront_offset 0
		.amdhsa_system_sgpr_workgroup_id_x 1
		.amdhsa_system_sgpr_workgroup_id_y 0
		.amdhsa_system_sgpr_workgroup_id_z 0
		.amdhsa_system_sgpr_workgroup_info 0
		.amdhsa_system_vgpr_workitem_id 0
		.amdhsa_next_free_vgpr 1
		.amdhsa_next_free_sgpr 0
		.amdhsa_reserve_vcc 0
		.amdhsa_reserve_flat_scratch 0
		.amdhsa_float_round_mode_32 0
		.amdhsa_float_round_mode_16_64 0
		.amdhsa_float_denorm_mode_32 3
		.amdhsa_float_denorm_mode_16_64 3
		.amdhsa_dx10_clamp 1
		.amdhsa_ieee_mode 1
		.amdhsa_fp16_overflow 0
		.amdhsa_exception_fp_ieee_invalid_op 0
		.amdhsa_exception_fp_denorm_src 0
		.amdhsa_exception_fp_ieee_div_zero 0
		.amdhsa_exception_fp_ieee_overflow 0
		.amdhsa_exception_fp_ieee_underflow 0
		.amdhsa_exception_fp_ieee_inexact 0
		.amdhsa_exception_int_div_zero 0
	.end_amdhsa_kernel
	.section	.text._ZN7rocprim17ROCPRIM_400000_NS6detail17trampoline_kernelINS0_13select_configILj256ELj13ELNS0_17block_load_methodE3ELS4_3ELS4_3ELNS0_20block_scan_algorithmE0ELj4294967295EEENS1_25partition_config_selectorILNS1_17partition_subalgoE3EjNS0_10empty_typeEbEEZZNS1_14partition_implILS8_3ELb0ES6_jNS0_17counting_iteratorIjlEEPS9_SE_NS0_5tupleIJPjSE_EEENSF_IJSE_SE_EEES9_SG_JZNS1_25segmented_radix_sort_implINS0_14default_configELb0EPKiPiPKlPlN2at6native12_GLOBAL__N_18offset_tEEE10hipError_tPvRmT1_PNSt15iterator_traitsISY_E10value_typeET2_T3_PNSZ_IS14_E10value_typeET4_jRbjT5_S1A_jjP12ihipStream_tbEUljE_EEESV_SW_SX_S14_S18_S1A_T6_T7_T9_mT8_S1C_bDpT10_ENKUlT_T0_E_clISt17integral_constantIbLb0EES1P_EEDaS1K_S1L_EUlS1K_E_NS1_11comp_targetILNS1_3genE5ELNS1_11target_archE942ELNS1_3gpuE9ELNS1_3repE0EEENS1_30default_config_static_selectorELNS0_4arch9wavefront6targetE1EEEvSY_,"axG",@progbits,_ZN7rocprim17ROCPRIM_400000_NS6detail17trampoline_kernelINS0_13select_configILj256ELj13ELNS0_17block_load_methodE3ELS4_3ELS4_3ELNS0_20block_scan_algorithmE0ELj4294967295EEENS1_25partition_config_selectorILNS1_17partition_subalgoE3EjNS0_10empty_typeEbEEZZNS1_14partition_implILS8_3ELb0ES6_jNS0_17counting_iteratorIjlEEPS9_SE_NS0_5tupleIJPjSE_EEENSF_IJSE_SE_EEES9_SG_JZNS1_25segmented_radix_sort_implINS0_14default_configELb0EPKiPiPKlPlN2at6native12_GLOBAL__N_18offset_tEEE10hipError_tPvRmT1_PNSt15iterator_traitsISY_E10value_typeET2_T3_PNSZ_IS14_E10value_typeET4_jRbjT5_S1A_jjP12ihipStream_tbEUljE_EEESV_SW_SX_S14_S18_S1A_T6_T7_T9_mT8_S1C_bDpT10_ENKUlT_T0_E_clISt17integral_constantIbLb0EES1P_EEDaS1K_S1L_EUlS1K_E_NS1_11comp_targetILNS1_3genE5ELNS1_11target_archE942ELNS1_3gpuE9ELNS1_3repE0EEENS1_30default_config_static_selectorELNS0_4arch9wavefront6targetE1EEEvSY_,comdat
.Lfunc_end569:
	.size	_ZN7rocprim17ROCPRIM_400000_NS6detail17trampoline_kernelINS0_13select_configILj256ELj13ELNS0_17block_load_methodE3ELS4_3ELS4_3ELNS0_20block_scan_algorithmE0ELj4294967295EEENS1_25partition_config_selectorILNS1_17partition_subalgoE3EjNS0_10empty_typeEbEEZZNS1_14partition_implILS8_3ELb0ES6_jNS0_17counting_iteratorIjlEEPS9_SE_NS0_5tupleIJPjSE_EEENSF_IJSE_SE_EEES9_SG_JZNS1_25segmented_radix_sort_implINS0_14default_configELb0EPKiPiPKlPlN2at6native12_GLOBAL__N_18offset_tEEE10hipError_tPvRmT1_PNSt15iterator_traitsISY_E10value_typeET2_T3_PNSZ_IS14_E10value_typeET4_jRbjT5_S1A_jjP12ihipStream_tbEUljE_EEESV_SW_SX_S14_S18_S1A_T6_T7_T9_mT8_S1C_bDpT10_ENKUlT_T0_E_clISt17integral_constantIbLb0EES1P_EEDaS1K_S1L_EUlS1K_E_NS1_11comp_targetILNS1_3genE5ELNS1_11target_archE942ELNS1_3gpuE9ELNS1_3repE0EEENS1_30default_config_static_selectorELNS0_4arch9wavefront6targetE1EEEvSY_, .Lfunc_end569-_ZN7rocprim17ROCPRIM_400000_NS6detail17trampoline_kernelINS0_13select_configILj256ELj13ELNS0_17block_load_methodE3ELS4_3ELS4_3ELNS0_20block_scan_algorithmE0ELj4294967295EEENS1_25partition_config_selectorILNS1_17partition_subalgoE3EjNS0_10empty_typeEbEEZZNS1_14partition_implILS8_3ELb0ES6_jNS0_17counting_iteratorIjlEEPS9_SE_NS0_5tupleIJPjSE_EEENSF_IJSE_SE_EEES9_SG_JZNS1_25segmented_radix_sort_implINS0_14default_configELb0EPKiPiPKlPlN2at6native12_GLOBAL__N_18offset_tEEE10hipError_tPvRmT1_PNSt15iterator_traitsISY_E10value_typeET2_T3_PNSZ_IS14_E10value_typeET4_jRbjT5_S1A_jjP12ihipStream_tbEUljE_EEESV_SW_SX_S14_S18_S1A_T6_T7_T9_mT8_S1C_bDpT10_ENKUlT_T0_E_clISt17integral_constantIbLb0EES1P_EEDaS1K_S1L_EUlS1K_E_NS1_11comp_targetILNS1_3genE5ELNS1_11target_archE942ELNS1_3gpuE9ELNS1_3repE0EEENS1_30default_config_static_selectorELNS0_4arch9wavefront6targetE1EEEvSY_
                                        ; -- End function
	.set _ZN7rocprim17ROCPRIM_400000_NS6detail17trampoline_kernelINS0_13select_configILj256ELj13ELNS0_17block_load_methodE3ELS4_3ELS4_3ELNS0_20block_scan_algorithmE0ELj4294967295EEENS1_25partition_config_selectorILNS1_17partition_subalgoE3EjNS0_10empty_typeEbEEZZNS1_14partition_implILS8_3ELb0ES6_jNS0_17counting_iteratorIjlEEPS9_SE_NS0_5tupleIJPjSE_EEENSF_IJSE_SE_EEES9_SG_JZNS1_25segmented_radix_sort_implINS0_14default_configELb0EPKiPiPKlPlN2at6native12_GLOBAL__N_18offset_tEEE10hipError_tPvRmT1_PNSt15iterator_traitsISY_E10value_typeET2_T3_PNSZ_IS14_E10value_typeET4_jRbjT5_S1A_jjP12ihipStream_tbEUljE_EEESV_SW_SX_S14_S18_S1A_T6_T7_T9_mT8_S1C_bDpT10_ENKUlT_T0_E_clISt17integral_constantIbLb0EES1P_EEDaS1K_S1L_EUlS1K_E_NS1_11comp_targetILNS1_3genE5ELNS1_11target_archE942ELNS1_3gpuE9ELNS1_3repE0EEENS1_30default_config_static_selectorELNS0_4arch9wavefront6targetE1EEEvSY_.num_vgpr, 0
	.set _ZN7rocprim17ROCPRIM_400000_NS6detail17trampoline_kernelINS0_13select_configILj256ELj13ELNS0_17block_load_methodE3ELS4_3ELS4_3ELNS0_20block_scan_algorithmE0ELj4294967295EEENS1_25partition_config_selectorILNS1_17partition_subalgoE3EjNS0_10empty_typeEbEEZZNS1_14partition_implILS8_3ELb0ES6_jNS0_17counting_iteratorIjlEEPS9_SE_NS0_5tupleIJPjSE_EEENSF_IJSE_SE_EEES9_SG_JZNS1_25segmented_radix_sort_implINS0_14default_configELb0EPKiPiPKlPlN2at6native12_GLOBAL__N_18offset_tEEE10hipError_tPvRmT1_PNSt15iterator_traitsISY_E10value_typeET2_T3_PNSZ_IS14_E10value_typeET4_jRbjT5_S1A_jjP12ihipStream_tbEUljE_EEESV_SW_SX_S14_S18_S1A_T6_T7_T9_mT8_S1C_bDpT10_ENKUlT_T0_E_clISt17integral_constantIbLb0EES1P_EEDaS1K_S1L_EUlS1K_E_NS1_11comp_targetILNS1_3genE5ELNS1_11target_archE942ELNS1_3gpuE9ELNS1_3repE0EEENS1_30default_config_static_selectorELNS0_4arch9wavefront6targetE1EEEvSY_.num_agpr, 0
	.set _ZN7rocprim17ROCPRIM_400000_NS6detail17trampoline_kernelINS0_13select_configILj256ELj13ELNS0_17block_load_methodE3ELS4_3ELS4_3ELNS0_20block_scan_algorithmE0ELj4294967295EEENS1_25partition_config_selectorILNS1_17partition_subalgoE3EjNS0_10empty_typeEbEEZZNS1_14partition_implILS8_3ELb0ES6_jNS0_17counting_iteratorIjlEEPS9_SE_NS0_5tupleIJPjSE_EEENSF_IJSE_SE_EEES9_SG_JZNS1_25segmented_radix_sort_implINS0_14default_configELb0EPKiPiPKlPlN2at6native12_GLOBAL__N_18offset_tEEE10hipError_tPvRmT1_PNSt15iterator_traitsISY_E10value_typeET2_T3_PNSZ_IS14_E10value_typeET4_jRbjT5_S1A_jjP12ihipStream_tbEUljE_EEESV_SW_SX_S14_S18_S1A_T6_T7_T9_mT8_S1C_bDpT10_ENKUlT_T0_E_clISt17integral_constantIbLb0EES1P_EEDaS1K_S1L_EUlS1K_E_NS1_11comp_targetILNS1_3genE5ELNS1_11target_archE942ELNS1_3gpuE9ELNS1_3repE0EEENS1_30default_config_static_selectorELNS0_4arch9wavefront6targetE1EEEvSY_.numbered_sgpr, 0
	.set _ZN7rocprim17ROCPRIM_400000_NS6detail17trampoline_kernelINS0_13select_configILj256ELj13ELNS0_17block_load_methodE3ELS4_3ELS4_3ELNS0_20block_scan_algorithmE0ELj4294967295EEENS1_25partition_config_selectorILNS1_17partition_subalgoE3EjNS0_10empty_typeEbEEZZNS1_14partition_implILS8_3ELb0ES6_jNS0_17counting_iteratorIjlEEPS9_SE_NS0_5tupleIJPjSE_EEENSF_IJSE_SE_EEES9_SG_JZNS1_25segmented_radix_sort_implINS0_14default_configELb0EPKiPiPKlPlN2at6native12_GLOBAL__N_18offset_tEEE10hipError_tPvRmT1_PNSt15iterator_traitsISY_E10value_typeET2_T3_PNSZ_IS14_E10value_typeET4_jRbjT5_S1A_jjP12ihipStream_tbEUljE_EEESV_SW_SX_S14_S18_S1A_T6_T7_T9_mT8_S1C_bDpT10_ENKUlT_T0_E_clISt17integral_constantIbLb0EES1P_EEDaS1K_S1L_EUlS1K_E_NS1_11comp_targetILNS1_3genE5ELNS1_11target_archE942ELNS1_3gpuE9ELNS1_3repE0EEENS1_30default_config_static_selectorELNS0_4arch9wavefront6targetE1EEEvSY_.num_named_barrier, 0
	.set _ZN7rocprim17ROCPRIM_400000_NS6detail17trampoline_kernelINS0_13select_configILj256ELj13ELNS0_17block_load_methodE3ELS4_3ELS4_3ELNS0_20block_scan_algorithmE0ELj4294967295EEENS1_25partition_config_selectorILNS1_17partition_subalgoE3EjNS0_10empty_typeEbEEZZNS1_14partition_implILS8_3ELb0ES6_jNS0_17counting_iteratorIjlEEPS9_SE_NS0_5tupleIJPjSE_EEENSF_IJSE_SE_EEES9_SG_JZNS1_25segmented_radix_sort_implINS0_14default_configELb0EPKiPiPKlPlN2at6native12_GLOBAL__N_18offset_tEEE10hipError_tPvRmT1_PNSt15iterator_traitsISY_E10value_typeET2_T3_PNSZ_IS14_E10value_typeET4_jRbjT5_S1A_jjP12ihipStream_tbEUljE_EEESV_SW_SX_S14_S18_S1A_T6_T7_T9_mT8_S1C_bDpT10_ENKUlT_T0_E_clISt17integral_constantIbLb0EES1P_EEDaS1K_S1L_EUlS1K_E_NS1_11comp_targetILNS1_3genE5ELNS1_11target_archE942ELNS1_3gpuE9ELNS1_3repE0EEENS1_30default_config_static_selectorELNS0_4arch9wavefront6targetE1EEEvSY_.private_seg_size, 0
	.set _ZN7rocprim17ROCPRIM_400000_NS6detail17trampoline_kernelINS0_13select_configILj256ELj13ELNS0_17block_load_methodE3ELS4_3ELS4_3ELNS0_20block_scan_algorithmE0ELj4294967295EEENS1_25partition_config_selectorILNS1_17partition_subalgoE3EjNS0_10empty_typeEbEEZZNS1_14partition_implILS8_3ELb0ES6_jNS0_17counting_iteratorIjlEEPS9_SE_NS0_5tupleIJPjSE_EEENSF_IJSE_SE_EEES9_SG_JZNS1_25segmented_radix_sort_implINS0_14default_configELb0EPKiPiPKlPlN2at6native12_GLOBAL__N_18offset_tEEE10hipError_tPvRmT1_PNSt15iterator_traitsISY_E10value_typeET2_T3_PNSZ_IS14_E10value_typeET4_jRbjT5_S1A_jjP12ihipStream_tbEUljE_EEESV_SW_SX_S14_S18_S1A_T6_T7_T9_mT8_S1C_bDpT10_ENKUlT_T0_E_clISt17integral_constantIbLb0EES1P_EEDaS1K_S1L_EUlS1K_E_NS1_11comp_targetILNS1_3genE5ELNS1_11target_archE942ELNS1_3gpuE9ELNS1_3repE0EEENS1_30default_config_static_selectorELNS0_4arch9wavefront6targetE1EEEvSY_.uses_vcc, 0
	.set _ZN7rocprim17ROCPRIM_400000_NS6detail17trampoline_kernelINS0_13select_configILj256ELj13ELNS0_17block_load_methodE3ELS4_3ELS4_3ELNS0_20block_scan_algorithmE0ELj4294967295EEENS1_25partition_config_selectorILNS1_17partition_subalgoE3EjNS0_10empty_typeEbEEZZNS1_14partition_implILS8_3ELb0ES6_jNS0_17counting_iteratorIjlEEPS9_SE_NS0_5tupleIJPjSE_EEENSF_IJSE_SE_EEES9_SG_JZNS1_25segmented_radix_sort_implINS0_14default_configELb0EPKiPiPKlPlN2at6native12_GLOBAL__N_18offset_tEEE10hipError_tPvRmT1_PNSt15iterator_traitsISY_E10value_typeET2_T3_PNSZ_IS14_E10value_typeET4_jRbjT5_S1A_jjP12ihipStream_tbEUljE_EEESV_SW_SX_S14_S18_S1A_T6_T7_T9_mT8_S1C_bDpT10_ENKUlT_T0_E_clISt17integral_constantIbLb0EES1P_EEDaS1K_S1L_EUlS1K_E_NS1_11comp_targetILNS1_3genE5ELNS1_11target_archE942ELNS1_3gpuE9ELNS1_3repE0EEENS1_30default_config_static_selectorELNS0_4arch9wavefront6targetE1EEEvSY_.uses_flat_scratch, 0
	.set _ZN7rocprim17ROCPRIM_400000_NS6detail17trampoline_kernelINS0_13select_configILj256ELj13ELNS0_17block_load_methodE3ELS4_3ELS4_3ELNS0_20block_scan_algorithmE0ELj4294967295EEENS1_25partition_config_selectorILNS1_17partition_subalgoE3EjNS0_10empty_typeEbEEZZNS1_14partition_implILS8_3ELb0ES6_jNS0_17counting_iteratorIjlEEPS9_SE_NS0_5tupleIJPjSE_EEENSF_IJSE_SE_EEES9_SG_JZNS1_25segmented_radix_sort_implINS0_14default_configELb0EPKiPiPKlPlN2at6native12_GLOBAL__N_18offset_tEEE10hipError_tPvRmT1_PNSt15iterator_traitsISY_E10value_typeET2_T3_PNSZ_IS14_E10value_typeET4_jRbjT5_S1A_jjP12ihipStream_tbEUljE_EEESV_SW_SX_S14_S18_S1A_T6_T7_T9_mT8_S1C_bDpT10_ENKUlT_T0_E_clISt17integral_constantIbLb0EES1P_EEDaS1K_S1L_EUlS1K_E_NS1_11comp_targetILNS1_3genE5ELNS1_11target_archE942ELNS1_3gpuE9ELNS1_3repE0EEENS1_30default_config_static_selectorELNS0_4arch9wavefront6targetE1EEEvSY_.has_dyn_sized_stack, 0
	.set _ZN7rocprim17ROCPRIM_400000_NS6detail17trampoline_kernelINS0_13select_configILj256ELj13ELNS0_17block_load_methodE3ELS4_3ELS4_3ELNS0_20block_scan_algorithmE0ELj4294967295EEENS1_25partition_config_selectorILNS1_17partition_subalgoE3EjNS0_10empty_typeEbEEZZNS1_14partition_implILS8_3ELb0ES6_jNS0_17counting_iteratorIjlEEPS9_SE_NS0_5tupleIJPjSE_EEENSF_IJSE_SE_EEES9_SG_JZNS1_25segmented_radix_sort_implINS0_14default_configELb0EPKiPiPKlPlN2at6native12_GLOBAL__N_18offset_tEEE10hipError_tPvRmT1_PNSt15iterator_traitsISY_E10value_typeET2_T3_PNSZ_IS14_E10value_typeET4_jRbjT5_S1A_jjP12ihipStream_tbEUljE_EEESV_SW_SX_S14_S18_S1A_T6_T7_T9_mT8_S1C_bDpT10_ENKUlT_T0_E_clISt17integral_constantIbLb0EES1P_EEDaS1K_S1L_EUlS1K_E_NS1_11comp_targetILNS1_3genE5ELNS1_11target_archE942ELNS1_3gpuE9ELNS1_3repE0EEENS1_30default_config_static_selectorELNS0_4arch9wavefront6targetE1EEEvSY_.has_recursion, 0
	.set _ZN7rocprim17ROCPRIM_400000_NS6detail17trampoline_kernelINS0_13select_configILj256ELj13ELNS0_17block_load_methodE3ELS4_3ELS4_3ELNS0_20block_scan_algorithmE0ELj4294967295EEENS1_25partition_config_selectorILNS1_17partition_subalgoE3EjNS0_10empty_typeEbEEZZNS1_14partition_implILS8_3ELb0ES6_jNS0_17counting_iteratorIjlEEPS9_SE_NS0_5tupleIJPjSE_EEENSF_IJSE_SE_EEES9_SG_JZNS1_25segmented_radix_sort_implINS0_14default_configELb0EPKiPiPKlPlN2at6native12_GLOBAL__N_18offset_tEEE10hipError_tPvRmT1_PNSt15iterator_traitsISY_E10value_typeET2_T3_PNSZ_IS14_E10value_typeET4_jRbjT5_S1A_jjP12ihipStream_tbEUljE_EEESV_SW_SX_S14_S18_S1A_T6_T7_T9_mT8_S1C_bDpT10_ENKUlT_T0_E_clISt17integral_constantIbLb0EES1P_EEDaS1K_S1L_EUlS1K_E_NS1_11comp_targetILNS1_3genE5ELNS1_11target_archE942ELNS1_3gpuE9ELNS1_3repE0EEENS1_30default_config_static_selectorELNS0_4arch9wavefront6targetE1EEEvSY_.has_indirect_call, 0
	.section	.AMDGPU.csdata,"",@progbits
; Kernel info:
; codeLenInByte = 0
; TotalNumSgprs: 4
; NumVgprs: 0
; ScratchSize: 0
; MemoryBound: 0
; FloatMode: 240
; IeeeMode: 1
; LDSByteSize: 0 bytes/workgroup (compile time only)
; SGPRBlocks: 0
; VGPRBlocks: 0
; NumSGPRsForWavesPerEU: 4
; NumVGPRsForWavesPerEU: 1
; Occupancy: 10
; WaveLimiterHint : 0
; COMPUTE_PGM_RSRC2:SCRATCH_EN: 0
; COMPUTE_PGM_RSRC2:USER_SGPR: 6
; COMPUTE_PGM_RSRC2:TRAP_HANDLER: 0
; COMPUTE_PGM_RSRC2:TGID_X_EN: 1
; COMPUTE_PGM_RSRC2:TGID_Y_EN: 0
; COMPUTE_PGM_RSRC2:TGID_Z_EN: 0
; COMPUTE_PGM_RSRC2:TIDIG_COMP_CNT: 0
	.section	.text._ZN7rocprim17ROCPRIM_400000_NS6detail17trampoline_kernelINS0_13select_configILj256ELj13ELNS0_17block_load_methodE3ELS4_3ELS4_3ELNS0_20block_scan_algorithmE0ELj4294967295EEENS1_25partition_config_selectorILNS1_17partition_subalgoE3EjNS0_10empty_typeEbEEZZNS1_14partition_implILS8_3ELb0ES6_jNS0_17counting_iteratorIjlEEPS9_SE_NS0_5tupleIJPjSE_EEENSF_IJSE_SE_EEES9_SG_JZNS1_25segmented_radix_sort_implINS0_14default_configELb0EPKiPiPKlPlN2at6native12_GLOBAL__N_18offset_tEEE10hipError_tPvRmT1_PNSt15iterator_traitsISY_E10value_typeET2_T3_PNSZ_IS14_E10value_typeET4_jRbjT5_S1A_jjP12ihipStream_tbEUljE_EEESV_SW_SX_S14_S18_S1A_T6_T7_T9_mT8_S1C_bDpT10_ENKUlT_T0_E_clISt17integral_constantIbLb0EES1P_EEDaS1K_S1L_EUlS1K_E_NS1_11comp_targetILNS1_3genE4ELNS1_11target_archE910ELNS1_3gpuE8ELNS1_3repE0EEENS1_30default_config_static_selectorELNS0_4arch9wavefront6targetE1EEEvSY_,"axG",@progbits,_ZN7rocprim17ROCPRIM_400000_NS6detail17trampoline_kernelINS0_13select_configILj256ELj13ELNS0_17block_load_methodE3ELS4_3ELS4_3ELNS0_20block_scan_algorithmE0ELj4294967295EEENS1_25partition_config_selectorILNS1_17partition_subalgoE3EjNS0_10empty_typeEbEEZZNS1_14partition_implILS8_3ELb0ES6_jNS0_17counting_iteratorIjlEEPS9_SE_NS0_5tupleIJPjSE_EEENSF_IJSE_SE_EEES9_SG_JZNS1_25segmented_radix_sort_implINS0_14default_configELb0EPKiPiPKlPlN2at6native12_GLOBAL__N_18offset_tEEE10hipError_tPvRmT1_PNSt15iterator_traitsISY_E10value_typeET2_T3_PNSZ_IS14_E10value_typeET4_jRbjT5_S1A_jjP12ihipStream_tbEUljE_EEESV_SW_SX_S14_S18_S1A_T6_T7_T9_mT8_S1C_bDpT10_ENKUlT_T0_E_clISt17integral_constantIbLb0EES1P_EEDaS1K_S1L_EUlS1K_E_NS1_11comp_targetILNS1_3genE4ELNS1_11target_archE910ELNS1_3gpuE8ELNS1_3repE0EEENS1_30default_config_static_selectorELNS0_4arch9wavefront6targetE1EEEvSY_,comdat
	.globl	_ZN7rocprim17ROCPRIM_400000_NS6detail17trampoline_kernelINS0_13select_configILj256ELj13ELNS0_17block_load_methodE3ELS4_3ELS4_3ELNS0_20block_scan_algorithmE0ELj4294967295EEENS1_25partition_config_selectorILNS1_17partition_subalgoE3EjNS0_10empty_typeEbEEZZNS1_14partition_implILS8_3ELb0ES6_jNS0_17counting_iteratorIjlEEPS9_SE_NS0_5tupleIJPjSE_EEENSF_IJSE_SE_EEES9_SG_JZNS1_25segmented_radix_sort_implINS0_14default_configELb0EPKiPiPKlPlN2at6native12_GLOBAL__N_18offset_tEEE10hipError_tPvRmT1_PNSt15iterator_traitsISY_E10value_typeET2_T3_PNSZ_IS14_E10value_typeET4_jRbjT5_S1A_jjP12ihipStream_tbEUljE_EEESV_SW_SX_S14_S18_S1A_T6_T7_T9_mT8_S1C_bDpT10_ENKUlT_T0_E_clISt17integral_constantIbLb0EES1P_EEDaS1K_S1L_EUlS1K_E_NS1_11comp_targetILNS1_3genE4ELNS1_11target_archE910ELNS1_3gpuE8ELNS1_3repE0EEENS1_30default_config_static_selectorELNS0_4arch9wavefront6targetE1EEEvSY_ ; -- Begin function _ZN7rocprim17ROCPRIM_400000_NS6detail17trampoline_kernelINS0_13select_configILj256ELj13ELNS0_17block_load_methodE3ELS4_3ELS4_3ELNS0_20block_scan_algorithmE0ELj4294967295EEENS1_25partition_config_selectorILNS1_17partition_subalgoE3EjNS0_10empty_typeEbEEZZNS1_14partition_implILS8_3ELb0ES6_jNS0_17counting_iteratorIjlEEPS9_SE_NS0_5tupleIJPjSE_EEENSF_IJSE_SE_EEES9_SG_JZNS1_25segmented_radix_sort_implINS0_14default_configELb0EPKiPiPKlPlN2at6native12_GLOBAL__N_18offset_tEEE10hipError_tPvRmT1_PNSt15iterator_traitsISY_E10value_typeET2_T3_PNSZ_IS14_E10value_typeET4_jRbjT5_S1A_jjP12ihipStream_tbEUljE_EEESV_SW_SX_S14_S18_S1A_T6_T7_T9_mT8_S1C_bDpT10_ENKUlT_T0_E_clISt17integral_constantIbLb0EES1P_EEDaS1K_S1L_EUlS1K_E_NS1_11comp_targetILNS1_3genE4ELNS1_11target_archE910ELNS1_3gpuE8ELNS1_3repE0EEENS1_30default_config_static_selectorELNS0_4arch9wavefront6targetE1EEEvSY_
	.p2align	8
	.type	_ZN7rocprim17ROCPRIM_400000_NS6detail17trampoline_kernelINS0_13select_configILj256ELj13ELNS0_17block_load_methodE3ELS4_3ELS4_3ELNS0_20block_scan_algorithmE0ELj4294967295EEENS1_25partition_config_selectorILNS1_17partition_subalgoE3EjNS0_10empty_typeEbEEZZNS1_14partition_implILS8_3ELb0ES6_jNS0_17counting_iteratorIjlEEPS9_SE_NS0_5tupleIJPjSE_EEENSF_IJSE_SE_EEES9_SG_JZNS1_25segmented_radix_sort_implINS0_14default_configELb0EPKiPiPKlPlN2at6native12_GLOBAL__N_18offset_tEEE10hipError_tPvRmT1_PNSt15iterator_traitsISY_E10value_typeET2_T3_PNSZ_IS14_E10value_typeET4_jRbjT5_S1A_jjP12ihipStream_tbEUljE_EEESV_SW_SX_S14_S18_S1A_T6_T7_T9_mT8_S1C_bDpT10_ENKUlT_T0_E_clISt17integral_constantIbLb0EES1P_EEDaS1K_S1L_EUlS1K_E_NS1_11comp_targetILNS1_3genE4ELNS1_11target_archE910ELNS1_3gpuE8ELNS1_3repE0EEENS1_30default_config_static_selectorELNS0_4arch9wavefront6targetE1EEEvSY_,@function
_ZN7rocprim17ROCPRIM_400000_NS6detail17trampoline_kernelINS0_13select_configILj256ELj13ELNS0_17block_load_methodE3ELS4_3ELS4_3ELNS0_20block_scan_algorithmE0ELj4294967295EEENS1_25partition_config_selectorILNS1_17partition_subalgoE3EjNS0_10empty_typeEbEEZZNS1_14partition_implILS8_3ELb0ES6_jNS0_17counting_iteratorIjlEEPS9_SE_NS0_5tupleIJPjSE_EEENSF_IJSE_SE_EEES9_SG_JZNS1_25segmented_radix_sort_implINS0_14default_configELb0EPKiPiPKlPlN2at6native12_GLOBAL__N_18offset_tEEE10hipError_tPvRmT1_PNSt15iterator_traitsISY_E10value_typeET2_T3_PNSZ_IS14_E10value_typeET4_jRbjT5_S1A_jjP12ihipStream_tbEUljE_EEESV_SW_SX_S14_S18_S1A_T6_T7_T9_mT8_S1C_bDpT10_ENKUlT_T0_E_clISt17integral_constantIbLb0EES1P_EEDaS1K_S1L_EUlS1K_E_NS1_11comp_targetILNS1_3genE4ELNS1_11target_archE910ELNS1_3gpuE8ELNS1_3repE0EEENS1_30default_config_static_selectorELNS0_4arch9wavefront6targetE1EEEvSY_: ; @_ZN7rocprim17ROCPRIM_400000_NS6detail17trampoline_kernelINS0_13select_configILj256ELj13ELNS0_17block_load_methodE3ELS4_3ELS4_3ELNS0_20block_scan_algorithmE0ELj4294967295EEENS1_25partition_config_selectorILNS1_17partition_subalgoE3EjNS0_10empty_typeEbEEZZNS1_14partition_implILS8_3ELb0ES6_jNS0_17counting_iteratorIjlEEPS9_SE_NS0_5tupleIJPjSE_EEENSF_IJSE_SE_EEES9_SG_JZNS1_25segmented_radix_sort_implINS0_14default_configELb0EPKiPiPKlPlN2at6native12_GLOBAL__N_18offset_tEEE10hipError_tPvRmT1_PNSt15iterator_traitsISY_E10value_typeET2_T3_PNSZ_IS14_E10value_typeET4_jRbjT5_S1A_jjP12ihipStream_tbEUljE_EEESV_SW_SX_S14_S18_S1A_T6_T7_T9_mT8_S1C_bDpT10_ENKUlT_T0_E_clISt17integral_constantIbLb0EES1P_EEDaS1K_S1L_EUlS1K_E_NS1_11comp_targetILNS1_3genE4ELNS1_11target_archE910ELNS1_3gpuE8ELNS1_3repE0EEENS1_30default_config_static_selectorELNS0_4arch9wavefront6targetE1EEEvSY_
; %bb.0:
	.section	.rodata,"a",@progbits
	.p2align	6, 0x0
	.amdhsa_kernel _ZN7rocprim17ROCPRIM_400000_NS6detail17trampoline_kernelINS0_13select_configILj256ELj13ELNS0_17block_load_methodE3ELS4_3ELS4_3ELNS0_20block_scan_algorithmE0ELj4294967295EEENS1_25partition_config_selectorILNS1_17partition_subalgoE3EjNS0_10empty_typeEbEEZZNS1_14partition_implILS8_3ELb0ES6_jNS0_17counting_iteratorIjlEEPS9_SE_NS0_5tupleIJPjSE_EEENSF_IJSE_SE_EEES9_SG_JZNS1_25segmented_radix_sort_implINS0_14default_configELb0EPKiPiPKlPlN2at6native12_GLOBAL__N_18offset_tEEE10hipError_tPvRmT1_PNSt15iterator_traitsISY_E10value_typeET2_T3_PNSZ_IS14_E10value_typeET4_jRbjT5_S1A_jjP12ihipStream_tbEUljE_EEESV_SW_SX_S14_S18_S1A_T6_T7_T9_mT8_S1C_bDpT10_ENKUlT_T0_E_clISt17integral_constantIbLb0EES1P_EEDaS1K_S1L_EUlS1K_E_NS1_11comp_targetILNS1_3genE4ELNS1_11target_archE910ELNS1_3gpuE8ELNS1_3repE0EEENS1_30default_config_static_selectorELNS0_4arch9wavefront6targetE1EEEvSY_
		.amdhsa_group_segment_fixed_size 0
		.amdhsa_private_segment_fixed_size 0
		.amdhsa_kernarg_size 144
		.amdhsa_user_sgpr_count 6
		.amdhsa_user_sgpr_private_segment_buffer 1
		.amdhsa_user_sgpr_dispatch_ptr 0
		.amdhsa_user_sgpr_queue_ptr 0
		.amdhsa_user_sgpr_kernarg_segment_ptr 1
		.amdhsa_user_sgpr_dispatch_id 0
		.amdhsa_user_sgpr_flat_scratch_init 0
		.amdhsa_user_sgpr_private_segment_size 0
		.amdhsa_uses_dynamic_stack 0
		.amdhsa_system_sgpr_private_segment_wavefront_offset 0
		.amdhsa_system_sgpr_workgroup_id_x 1
		.amdhsa_system_sgpr_workgroup_id_y 0
		.amdhsa_system_sgpr_workgroup_id_z 0
		.amdhsa_system_sgpr_workgroup_info 0
		.amdhsa_system_vgpr_workitem_id 0
		.amdhsa_next_free_vgpr 1
		.amdhsa_next_free_sgpr 0
		.amdhsa_reserve_vcc 0
		.amdhsa_reserve_flat_scratch 0
		.amdhsa_float_round_mode_32 0
		.amdhsa_float_round_mode_16_64 0
		.amdhsa_float_denorm_mode_32 3
		.amdhsa_float_denorm_mode_16_64 3
		.amdhsa_dx10_clamp 1
		.amdhsa_ieee_mode 1
		.amdhsa_fp16_overflow 0
		.amdhsa_exception_fp_ieee_invalid_op 0
		.amdhsa_exception_fp_denorm_src 0
		.amdhsa_exception_fp_ieee_div_zero 0
		.amdhsa_exception_fp_ieee_overflow 0
		.amdhsa_exception_fp_ieee_underflow 0
		.amdhsa_exception_fp_ieee_inexact 0
		.amdhsa_exception_int_div_zero 0
	.end_amdhsa_kernel
	.section	.text._ZN7rocprim17ROCPRIM_400000_NS6detail17trampoline_kernelINS0_13select_configILj256ELj13ELNS0_17block_load_methodE3ELS4_3ELS4_3ELNS0_20block_scan_algorithmE0ELj4294967295EEENS1_25partition_config_selectorILNS1_17partition_subalgoE3EjNS0_10empty_typeEbEEZZNS1_14partition_implILS8_3ELb0ES6_jNS0_17counting_iteratorIjlEEPS9_SE_NS0_5tupleIJPjSE_EEENSF_IJSE_SE_EEES9_SG_JZNS1_25segmented_radix_sort_implINS0_14default_configELb0EPKiPiPKlPlN2at6native12_GLOBAL__N_18offset_tEEE10hipError_tPvRmT1_PNSt15iterator_traitsISY_E10value_typeET2_T3_PNSZ_IS14_E10value_typeET4_jRbjT5_S1A_jjP12ihipStream_tbEUljE_EEESV_SW_SX_S14_S18_S1A_T6_T7_T9_mT8_S1C_bDpT10_ENKUlT_T0_E_clISt17integral_constantIbLb0EES1P_EEDaS1K_S1L_EUlS1K_E_NS1_11comp_targetILNS1_3genE4ELNS1_11target_archE910ELNS1_3gpuE8ELNS1_3repE0EEENS1_30default_config_static_selectorELNS0_4arch9wavefront6targetE1EEEvSY_,"axG",@progbits,_ZN7rocprim17ROCPRIM_400000_NS6detail17trampoline_kernelINS0_13select_configILj256ELj13ELNS0_17block_load_methodE3ELS4_3ELS4_3ELNS0_20block_scan_algorithmE0ELj4294967295EEENS1_25partition_config_selectorILNS1_17partition_subalgoE3EjNS0_10empty_typeEbEEZZNS1_14partition_implILS8_3ELb0ES6_jNS0_17counting_iteratorIjlEEPS9_SE_NS0_5tupleIJPjSE_EEENSF_IJSE_SE_EEES9_SG_JZNS1_25segmented_radix_sort_implINS0_14default_configELb0EPKiPiPKlPlN2at6native12_GLOBAL__N_18offset_tEEE10hipError_tPvRmT1_PNSt15iterator_traitsISY_E10value_typeET2_T3_PNSZ_IS14_E10value_typeET4_jRbjT5_S1A_jjP12ihipStream_tbEUljE_EEESV_SW_SX_S14_S18_S1A_T6_T7_T9_mT8_S1C_bDpT10_ENKUlT_T0_E_clISt17integral_constantIbLb0EES1P_EEDaS1K_S1L_EUlS1K_E_NS1_11comp_targetILNS1_3genE4ELNS1_11target_archE910ELNS1_3gpuE8ELNS1_3repE0EEENS1_30default_config_static_selectorELNS0_4arch9wavefront6targetE1EEEvSY_,comdat
.Lfunc_end570:
	.size	_ZN7rocprim17ROCPRIM_400000_NS6detail17trampoline_kernelINS0_13select_configILj256ELj13ELNS0_17block_load_methodE3ELS4_3ELS4_3ELNS0_20block_scan_algorithmE0ELj4294967295EEENS1_25partition_config_selectorILNS1_17partition_subalgoE3EjNS0_10empty_typeEbEEZZNS1_14partition_implILS8_3ELb0ES6_jNS0_17counting_iteratorIjlEEPS9_SE_NS0_5tupleIJPjSE_EEENSF_IJSE_SE_EEES9_SG_JZNS1_25segmented_radix_sort_implINS0_14default_configELb0EPKiPiPKlPlN2at6native12_GLOBAL__N_18offset_tEEE10hipError_tPvRmT1_PNSt15iterator_traitsISY_E10value_typeET2_T3_PNSZ_IS14_E10value_typeET4_jRbjT5_S1A_jjP12ihipStream_tbEUljE_EEESV_SW_SX_S14_S18_S1A_T6_T7_T9_mT8_S1C_bDpT10_ENKUlT_T0_E_clISt17integral_constantIbLb0EES1P_EEDaS1K_S1L_EUlS1K_E_NS1_11comp_targetILNS1_3genE4ELNS1_11target_archE910ELNS1_3gpuE8ELNS1_3repE0EEENS1_30default_config_static_selectorELNS0_4arch9wavefront6targetE1EEEvSY_, .Lfunc_end570-_ZN7rocprim17ROCPRIM_400000_NS6detail17trampoline_kernelINS0_13select_configILj256ELj13ELNS0_17block_load_methodE3ELS4_3ELS4_3ELNS0_20block_scan_algorithmE0ELj4294967295EEENS1_25partition_config_selectorILNS1_17partition_subalgoE3EjNS0_10empty_typeEbEEZZNS1_14partition_implILS8_3ELb0ES6_jNS0_17counting_iteratorIjlEEPS9_SE_NS0_5tupleIJPjSE_EEENSF_IJSE_SE_EEES9_SG_JZNS1_25segmented_radix_sort_implINS0_14default_configELb0EPKiPiPKlPlN2at6native12_GLOBAL__N_18offset_tEEE10hipError_tPvRmT1_PNSt15iterator_traitsISY_E10value_typeET2_T3_PNSZ_IS14_E10value_typeET4_jRbjT5_S1A_jjP12ihipStream_tbEUljE_EEESV_SW_SX_S14_S18_S1A_T6_T7_T9_mT8_S1C_bDpT10_ENKUlT_T0_E_clISt17integral_constantIbLb0EES1P_EEDaS1K_S1L_EUlS1K_E_NS1_11comp_targetILNS1_3genE4ELNS1_11target_archE910ELNS1_3gpuE8ELNS1_3repE0EEENS1_30default_config_static_selectorELNS0_4arch9wavefront6targetE1EEEvSY_
                                        ; -- End function
	.set _ZN7rocprim17ROCPRIM_400000_NS6detail17trampoline_kernelINS0_13select_configILj256ELj13ELNS0_17block_load_methodE3ELS4_3ELS4_3ELNS0_20block_scan_algorithmE0ELj4294967295EEENS1_25partition_config_selectorILNS1_17partition_subalgoE3EjNS0_10empty_typeEbEEZZNS1_14partition_implILS8_3ELb0ES6_jNS0_17counting_iteratorIjlEEPS9_SE_NS0_5tupleIJPjSE_EEENSF_IJSE_SE_EEES9_SG_JZNS1_25segmented_radix_sort_implINS0_14default_configELb0EPKiPiPKlPlN2at6native12_GLOBAL__N_18offset_tEEE10hipError_tPvRmT1_PNSt15iterator_traitsISY_E10value_typeET2_T3_PNSZ_IS14_E10value_typeET4_jRbjT5_S1A_jjP12ihipStream_tbEUljE_EEESV_SW_SX_S14_S18_S1A_T6_T7_T9_mT8_S1C_bDpT10_ENKUlT_T0_E_clISt17integral_constantIbLb0EES1P_EEDaS1K_S1L_EUlS1K_E_NS1_11comp_targetILNS1_3genE4ELNS1_11target_archE910ELNS1_3gpuE8ELNS1_3repE0EEENS1_30default_config_static_selectorELNS0_4arch9wavefront6targetE1EEEvSY_.num_vgpr, 0
	.set _ZN7rocprim17ROCPRIM_400000_NS6detail17trampoline_kernelINS0_13select_configILj256ELj13ELNS0_17block_load_methodE3ELS4_3ELS4_3ELNS0_20block_scan_algorithmE0ELj4294967295EEENS1_25partition_config_selectorILNS1_17partition_subalgoE3EjNS0_10empty_typeEbEEZZNS1_14partition_implILS8_3ELb0ES6_jNS0_17counting_iteratorIjlEEPS9_SE_NS0_5tupleIJPjSE_EEENSF_IJSE_SE_EEES9_SG_JZNS1_25segmented_radix_sort_implINS0_14default_configELb0EPKiPiPKlPlN2at6native12_GLOBAL__N_18offset_tEEE10hipError_tPvRmT1_PNSt15iterator_traitsISY_E10value_typeET2_T3_PNSZ_IS14_E10value_typeET4_jRbjT5_S1A_jjP12ihipStream_tbEUljE_EEESV_SW_SX_S14_S18_S1A_T6_T7_T9_mT8_S1C_bDpT10_ENKUlT_T0_E_clISt17integral_constantIbLb0EES1P_EEDaS1K_S1L_EUlS1K_E_NS1_11comp_targetILNS1_3genE4ELNS1_11target_archE910ELNS1_3gpuE8ELNS1_3repE0EEENS1_30default_config_static_selectorELNS0_4arch9wavefront6targetE1EEEvSY_.num_agpr, 0
	.set _ZN7rocprim17ROCPRIM_400000_NS6detail17trampoline_kernelINS0_13select_configILj256ELj13ELNS0_17block_load_methodE3ELS4_3ELS4_3ELNS0_20block_scan_algorithmE0ELj4294967295EEENS1_25partition_config_selectorILNS1_17partition_subalgoE3EjNS0_10empty_typeEbEEZZNS1_14partition_implILS8_3ELb0ES6_jNS0_17counting_iteratorIjlEEPS9_SE_NS0_5tupleIJPjSE_EEENSF_IJSE_SE_EEES9_SG_JZNS1_25segmented_radix_sort_implINS0_14default_configELb0EPKiPiPKlPlN2at6native12_GLOBAL__N_18offset_tEEE10hipError_tPvRmT1_PNSt15iterator_traitsISY_E10value_typeET2_T3_PNSZ_IS14_E10value_typeET4_jRbjT5_S1A_jjP12ihipStream_tbEUljE_EEESV_SW_SX_S14_S18_S1A_T6_T7_T9_mT8_S1C_bDpT10_ENKUlT_T0_E_clISt17integral_constantIbLb0EES1P_EEDaS1K_S1L_EUlS1K_E_NS1_11comp_targetILNS1_3genE4ELNS1_11target_archE910ELNS1_3gpuE8ELNS1_3repE0EEENS1_30default_config_static_selectorELNS0_4arch9wavefront6targetE1EEEvSY_.numbered_sgpr, 0
	.set _ZN7rocprim17ROCPRIM_400000_NS6detail17trampoline_kernelINS0_13select_configILj256ELj13ELNS0_17block_load_methodE3ELS4_3ELS4_3ELNS0_20block_scan_algorithmE0ELj4294967295EEENS1_25partition_config_selectorILNS1_17partition_subalgoE3EjNS0_10empty_typeEbEEZZNS1_14partition_implILS8_3ELb0ES6_jNS0_17counting_iteratorIjlEEPS9_SE_NS0_5tupleIJPjSE_EEENSF_IJSE_SE_EEES9_SG_JZNS1_25segmented_radix_sort_implINS0_14default_configELb0EPKiPiPKlPlN2at6native12_GLOBAL__N_18offset_tEEE10hipError_tPvRmT1_PNSt15iterator_traitsISY_E10value_typeET2_T3_PNSZ_IS14_E10value_typeET4_jRbjT5_S1A_jjP12ihipStream_tbEUljE_EEESV_SW_SX_S14_S18_S1A_T6_T7_T9_mT8_S1C_bDpT10_ENKUlT_T0_E_clISt17integral_constantIbLb0EES1P_EEDaS1K_S1L_EUlS1K_E_NS1_11comp_targetILNS1_3genE4ELNS1_11target_archE910ELNS1_3gpuE8ELNS1_3repE0EEENS1_30default_config_static_selectorELNS0_4arch9wavefront6targetE1EEEvSY_.num_named_barrier, 0
	.set _ZN7rocprim17ROCPRIM_400000_NS6detail17trampoline_kernelINS0_13select_configILj256ELj13ELNS0_17block_load_methodE3ELS4_3ELS4_3ELNS0_20block_scan_algorithmE0ELj4294967295EEENS1_25partition_config_selectorILNS1_17partition_subalgoE3EjNS0_10empty_typeEbEEZZNS1_14partition_implILS8_3ELb0ES6_jNS0_17counting_iteratorIjlEEPS9_SE_NS0_5tupleIJPjSE_EEENSF_IJSE_SE_EEES9_SG_JZNS1_25segmented_radix_sort_implINS0_14default_configELb0EPKiPiPKlPlN2at6native12_GLOBAL__N_18offset_tEEE10hipError_tPvRmT1_PNSt15iterator_traitsISY_E10value_typeET2_T3_PNSZ_IS14_E10value_typeET4_jRbjT5_S1A_jjP12ihipStream_tbEUljE_EEESV_SW_SX_S14_S18_S1A_T6_T7_T9_mT8_S1C_bDpT10_ENKUlT_T0_E_clISt17integral_constantIbLb0EES1P_EEDaS1K_S1L_EUlS1K_E_NS1_11comp_targetILNS1_3genE4ELNS1_11target_archE910ELNS1_3gpuE8ELNS1_3repE0EEENS1_30default_config_static_selectorELNS0_4arch9wavefront6targetE1EEEvSY_.private_seg_size, 0
	.set _ZN7rocprim17ROCPRIM_400000_NS6detail17trampoline_kernelINS0_13select_configILj256ELj13ELNS0_17block_load_methodE3ELS4_3ELS4_3ELNS0_20block_scan_algorithmE0ELj4294967295EEENS1_25partition_config_selectorILNS1_17partition_subalgoE3EjNS0_10empty_typeEbEEZZNS1_14partition_implILS8_3ELb0ES6_jNS0_17counting_iteratorIjlEEPS9_SE_NS0_5tupleIJPjSE_EEENSF_IJSE_SE_EEES9_SG_JZNS1_25segmented_radix_sort_implINS0_14default_configELb0EPKiPiPKlPlN2at6native12_GLOBAL__N_18offset_tEEE10hipError_tPvRmT1_PNSt15iterator_traitsISY_E10value_typeET2_T3_PNSZ_IS14_E10value_typeET4_jRbjT5_S1A_jjP12ihipStream_tbEUljE_EEESV_SW_SX_S14_S18_S1A_T6_T7_T9_mT8_S1C_bDpT10_ENKUlT_T0_E_clISt17integral_constantIbLb0EES1P_EEDaS1K_S1L_EUlS1K_E_NS1_11comp_targetILNS1_3genE4ELNS1_11target_archE910ELNS1_3gpuE8ELNS1_3repE0EEENS1_30default_config_static_selectorELNS0_4arch9wavefront6targetE1EEEvSY_.uses_vcc, 0
	.set _ZN7rocprim17ROCPRIM_400000_NS6detail17trampoline_kernelINS0_13select_configILj256ELj13ELNS0_17block_load_methodE3ELS4_3ELS4_3ELNS0_20block_scan_algorithmE0ELj4294967295EEENS1_25partition_config_selectorILNS1_17partition_subalgoE3EjNS0_10empty_typeEbEEZZNS1_14partition_implILS8_3ELb0ES6_jNS0_17counting_iteratorIjlEEPS9_SE_NS0_5tupleIJPjSE_EEENSF_IJSE_SE_EEES9_SG_JZNS1_25segmented_radix_sort_implINS0_14default_configELb0EPKiPiPKlPlN2at6native12_GLOBAL__N_18offset_tEEE10hipError_tPvRmT1_PNSt15iterator_traitsISY_E10value_typeET2_T3_PNSZ_IS14_E10value_typeET4_jRbjT5_S1A_jjP12ihipStream_tbEUljE_EEESV_SW_SX_S14_S18_S1A_T6_T7_T9_mT8_S1C_bDpT10_ENKUlT_T0_E_clISt17integral_constantIbLb0EES1P_EEDaS1K_S1L_EUlS1K_E_NS1_11comp_targetILNS1_3genE4ELNS1_11target_archE910ELNS1_3gpuE8ELNS1_3repE0EEENS1_30default_config_static_selectorELNS0_4arch9wavefront6targetE1EEEvSY_.uses_flat_scratch, 0
	.set _ZN7rocprim17ROCPRIM_400000_NS6detail17trampoline_kernelINS0_13select_configILj256ELj13ELNS0_17block_load_methodE3ELS4_3ELS4_3ELNS0_20block_scan_algorithmE0ELj4294967295EEENS1_25partition_config_selectorILNS1_17partition_subalgoE3EjNS0_10empty_typeEbEEZZNS1_14partition_implILS8_3ELb0ES6_jNS0_17counting_iteratorIjlEEPS9_SE_NS0_5tupleIJPjSE_EEENSF_IJSE_SE_EEES9_SG_JZNS1_25segmented_radix_sort_implINS0_14default_configELb0EPKiPiPKlPlN2at6native12_GLOBAL__N_18offset_tEEE10hipError_tPvRmT1_PNSt15iterator_traitsISY_E10value_typeET2_T3_PNSZ_IS14_E10value_typeET4_jRbjT5_S1A_jjP12ihipStream_tbEUljE_EEESV_SW_SX_S14_S18_S1A_T6_T7_T9_mT8_S1C_bDpT10_ENKUlT_T0_E_clISt17integral_constantIbLb0EES1P_EEDaS1K_S1L_EUlS1K_E_NS1_11comp_targetILNS1_3genE4ELNS1_11target_archE910ELNS1_3gpuE8ELNS1_3repE0EEENS1_30default_config_static_selectorELNS0_4arch9wavefront6targetE1EEEvSY_.has_dyn_sized_stack, 0
	.set _ZN7rocprim17ROCPRIM_400000_NS6detail17trampoline_kernelINS0_13select_configILj256ELj13ELNS0_17block_load_methodE3ELS4_3ELS4_3ELNS0_20block_scan_algorithmE0ELj4294967295EEENS1_25partition_config_selectorILNS1_17partition_subalgoE3EjNS0_10empty_typeEbEEZZNS1_14partition_implILS8_3ELb0ES6_jNS0_17counting_iteratorIjlEEPS9_SE_NS0_5tupleIJPjSE_EEENSF_IJSE_SE_EEES9_SG_JZNS1_25segmented_radix_sort_implINS0_14default_configELb0EPKiPiPKlPlN2at6native12_GLOBAL__N_18offset_tEEE10hipError_tPvRmT1_PNSt15iterator_traitsISY_E10value_typeET2_T3_PNSZ_IS14_E10value_typeET4_jRbjT5_S1A_jjP12ihipStream_tbEUljE_EEESV_SW_SX_S14_S18_S1A_T6_T7_T9_mT8_S1C_bDpT10_ENKUlT_T0_E_clISt17integral_constantIbLb0EES1P_EEDaS1K_S1L_EUlS1K_E_NS1_11comp_targetILNS1_3genE4ELNS1_11target_archE910ELNS1_3gpuE8ELNS1_3repE0EEENS1_30default_config_static_selectorELNS0_4arch9wavefront6targetE1EEEvSY_.has_recursion, 0
	.set _ZN7rocprim17ROCPRIM_400000_NS6detail17trampoline_kernelINS0_13select_configILj256ELj13ELNS0_17block_load_methodE3ELS4_3ELS4_3ELNS0_20block_scan_algorithmE0ELj4294967295EEENS1_25partition_config_selectorILNS1_17partition_subalgoE3EjNS0_10empty_typeEbEEZZNS1_14partition_implILS8_3ELb0ES6_jNS0_17counting_iteratorIjlEEPS9_SE_NS0_5tupleIJPjSE_EEENSF_IJSE_SE_EEES9_SG_JZNS1_25segmented_radix_sort_implINS0_14default_configELb0EPKiPiPKlPlN2at6native12_GLOBAL__N_18offset_tEEE10hipError_tPvRmT1_PNSt15iterator_traitsISY_E10value_typeET2_T3_PNSZ_IS14_E10value_typeET4_jRbjT5_S1A_jjP12ihipStream_tbEUljE_EEESV_SW_SX_S14_S18_S1A_T6_T7_T9_mT8_S1C_bDpT10_ENKUlT_T0_E_clISt17integral_constantIbLb0EES1P_EEDaS1K_S1L_EUlS1K_E_NS1_11comp_targetILNS1_3genE4ELNS1_11target_archE910ELNS1_3gpuE8ELNS1_3repE0EEENS1_30default_config_static_selectorELNS0_4arch9wavefront6targetE1EEEvSY_.has_indirect_call, 0
	.section	.AMDGPU.csdata,"",@progbits
; Kernel info:
; codeLenInByte = 0
; TotalNumSgprs: 4
; NumVgprs: 0
; ScratchSize: 0
; MemoryBound: 0
; FloatMode: 240
; IeeeMode: 1
; LDSByteSize: 0 bytes/workgroup (compile time only)
; SGPRBlocks: 0
; VGPRBlocks: 0
; NumSGPRsForWavesPerEU: 4
; NumVGPRsForWavesPerEU: 1
; Occupancy: 10
; WaveLimiterHint : 0
; COMPUTE_PGM_RSRC2:SCRATCH_EN: 0
; COMPUTE_PGM_RSRC2:USER_SGPR: 6
; COMPUTE_PGM_RSRC2:TRAP_HANDLER: 0
; COMPUTE_PGM_RSRC2:TGID_X_EN: 1
; COMPUTE_PGM_RSRC2:TGID_Y_EN: 0
; COMPUTE_PGM_RSRC2:TGID_Z_EN: 0
; COMPUTE_PGM_RSRC2:TIDIG_COMP_CNT: 0
	.section	.text._ZN7rocprim17ROCPRIM_400000_NS6detail17trampoline_kernelINS0_13select_configILj256ELj13ELNS0_17block_load_methodE3ELS4_3ELS4_3ELNS0_20block_scan_algorithmE0ELj4294967295EEENS1_25partition_config_selectorILNS1_17partition_subalgoE3EjNS0_10empty_typeEbEEZZNS1_14partition_implILS8_3ELb0ES6_jNS0_17counting_iteratorIjlEEPS9_SE_NS0_5tupleIJPjSE_EEENSF_IJSE_SE_EEES9_SG_JZNS1_25segmented_radix_sort_implINS0_14default_configELb0EPKiPiPKlPlN2at6native12_GLOBAL__N_18offset_tEEE10hipError_tPvRmT1_PNSt15iterator_traitsISY_E10value_typeET2_T3_PNSZ_IS14_E10value_typeET4_jRbjT5_S1A_jjP12ihipStream_tbEUljE_EEESV_SW_SX_S14_S18_S1A_T6_T7_T9_mT8_S1C_bDpT10_ENKUlT_T0_E_clISt17integral_constantIbLb0EES1P_EEDaS1K_S1L_EUlS1K_E_NS1_11comp_targetILNS1_3genE3ELNS1_11target_archE908ELNS1_3gpuE7ELNS1_3repE0EEENS1_30default_config_static_selectorELNS0_4arch9wavefront6targetE1EEEvSY_,"axG",@progbits,_ZN7rocprim17ROCPRIM_400000_NS6detail17trampoline_kernelINS0_13select_configILj256ELj13ELNS0_17block_load_methodE3ELS4_3ELS4_3ELNS0_20block_scan_algorithmE0ELj4294967295EEENS1_25partition_config_selectorILNS1_17partition_subalgoE3EjNS0_10empty_typeEbEEZZNS1_14partition_implILS8_3ELb0ES6_jNS0_17counting_iteratorIjlEEPS9_SE_NS0_5tupleIJPjSE_EEENSF_IJSE_SE_EEES9_SG_JZNS1_25segmented_radix_sort_implINS0_14default_configELb0EPKiPiPKlPlN2at6native12_GLOBAL__N_18offset_tEEE10hipError_tPvRmT1_PNSt15iterator_traitsISY_E10value_typeET2_T3_PNSZ_IS14_E10value_typeET4_jRbjT5_S1A_jjP12ihipStream_tbEUljE_EEESV_SW_SX_S14_S18_S1A_T6_T7_T9_mT8_S1C_bDpT10_ENKUlT_T0_E_clISt17integral_constantIbLb0EES1P_EEDaS1K_S1L_EUlS1K_E_NS1_11comp_targetILNS1_3genE3ELNS1_11target_archE908ELNS1_3gpuE7ELNS1_3repE0EEENS1_30default_config_static_selectorELNS0_4arch9wavefront6targetE1EEEvSY_,comdat
	.globl	_ZN7rocprim17ROCPRIM_400000_NS6detail17trampoline_kernelINS0_13select_configILj256ELj13ELNS0_17block_load_methodE3ELS4_3ELS4_3ELNS0_20block_scan_algorithmE0ELj4294967295EEENS1_25partition_config_selectorILNS1_17partition_subalgoE3EjNS0_10empty_typeEbEEZZNS1_14partition_implILS8_3ELb0ES6_jNS0_17counting_iteratorIjlEEPS9_SE_NS0_5tupleIJPjSE_EEENSF_IJSE_SE_EEES9_SG_JZNS1_25segmented_radix_sort_implINS0_14default_configELb0EPKiPiPKlPlN2at6native12_GLOBAL__N_18offset_tEEE10hipError_tPvRmT1_PNSt15iterator_traitsISY_E10value_typeET2_T3_PNSZ_IS14_E10value_typeET4_jRbjT5_S1A_jjP12ihipStream_tbEUljE_EEESV_SW_SX_S14_S18_S1A_T6_T7_T9_mT8_S1C_bDpT10_ENKUlT_T0_E_clISt17integral_constantIbLb0EES1P_EEDaS1K_S1L_EUlS1K_E_NS1_11comp_targetILNS1_3genE3ELNS1_11target_archE908ELNS1_3gpuE7ELNS1_3repE0EEENS1_30default_config_static_selectorELNS0_4arch9wavefront6targetE1EEEvSY_ ; -- Begin function _ZN7rocprim17ROCPRIM_400000_NS6detail17trampoline_kernelINS0_13select_configILj256ELj13ELNS0_17block_load_methodE3ELS4_3ELS4_3ELNS0_20block_scan_algorithmE0ELj4294967295EEENS1_25partition_config_selectorILNS1_17partition_subalgoE3EjNS0_10empty_typeEbEEZZNS1_14partition_implILS8_3ELb0ES6_jNS0_17counting_iteratorIjlEEPS9_SE_NS0_5tupleIJPjSE_EEENSF_IJSE_SE_EEES9_SG_JZNS1_25segmented_radix_sort_implINS0_14default_configELb0EPKiPiPKlPlN2at6native12_GLOBAL__N_18offset_tEEE10hipError_tPvRmT1_PNSt15iterator_traitsISY_E10value_typeET2_T3_PNSZ_IS14_E10value_typeET4_jRbjT5_S1A_jjP12ihipStream_tbEUljE_EEESV_SW_SX_S14_S18_S1A_T6_T7_T9_mT8_S1C_bDpT10_ENKUlT_T0_E_clISt17integral_constantIbLb0EES1P_EEDaS1K_S1L_EUlS1K_E_NS1_11comp_targetILNS1_3genE3ELNS1_11target_archE908ELNS1_3gpuE7ELNS1_3repE0EEENS1_30default_config_static_selectorELNS0_4arch9wavefront6targetE1EEEvSY_
	.p2align	8
	.type	_ZN7rocprim17ROCPRIM_400000_NS6detail17trampoline_kernelINS0_13select_configILj256ELj13ELNS0_17block_load_methodE3ELS4_3ELS4_3ELNS0_20block_scan_algorithmE0ELj4294967295EEENS1_25partition_config_selectorILNS1_17partition_subalgoE3EjNS0_10empty_typeEbEEZZNS1_14partition_implILS8_3ELb0ES6_jNS0_17counting_iteratorIjlEEPS9_SE_NS0_5tupleIJPjSE_EEENSF_IJSE_SE_EEES9_SG_JZNS1_25segmented_radix_sort_implINS0_14default_configELb0EPKiPiPKlPlN2at6native12_GLOBAL__N_18offset_tEEE10hipError_tPvRmT1_PNSt15iterator_traitsISY_E10value_typeET2_T3_PNSZ_IS14_E10value_typeET4_jRbjT5_S1A_jjP12ihipStream_tbEUljE_EEESV_SW_SX_S14_S18_S1A_T6_T7_T9_mT8_S1C_bDpT10_ENKUlT_T0_E_clISt17integral_constantIbLb0EES1P_EEDaS1K_S1L_EUlS1K_E_NS1_11comp_targetILNS1_3genE3ELNS1_11target_archE908ELNS1_3gpuE7ELNS1_3repE0EEENS1_30default_config_static_selectorELNS0_4arch9wavefront6targetE1EEEvSY_,@function
_ZN7rocprim17ROCPRIM_400000_NS6detail17trampoline_kernelINS0_13select_configILj256ELj13ELNS0_17block_load_methodE3ELS4_3ELS4_3ELNS0_20block_scan_algorithmE0ELj4294967295EEENS1_25partition_config_selectorILNS1_17partition_subalgoE3EjNS0_10empty_typeEbEEZZNS1_14partition_implILS8_3ELb0ES6_jNS0_17counting_iteratorIjlEEPS9_SE_NS0_5tupleIJPjSE_EEENSF_IJSE_SE_EEES9_SG_JZNS1_25segmented_radix_sort_implINS0_14default_configELb0EPKiPiPKlPlN2at6native12_GLOBAL__N_18offset_tEEE10hipError_tPvRmT1_PNSt15iterator_traitsISY_E10value_typeET2_T3_PNSZ_IS14_E10value_typeET4_jRbjT5_S1A_jjP12ihipStream_tbEUljE_EEESV_SW_SX_S14_S18_S1A_T6_T7_T9_mT8_S1C_bDpT10_ENKUlT_T0_E_clISt17integral_constantIbLb0EES1P_EEDaS1K_S1L_EUlS1K_E_NS1_11comp_targetILNS1_3genE3ELNS1_11target_archE908ELNS1_3gpuE7ELNS1_3repE0EEENS1_30default_config_static_selectorELNS0_4arch9wavefront6targetE1EEEvSY_: ; @_ZN7rocprim17ROCPRIM_400000_NS6detail17trampoline_kernelINS0_13select_configILj256ELj13ELNS0_17block_load_methodE3ELS4_3ELS4_3ELNS0_20block_scan_algorithmE0ELj4294967295EEENS1_25partition_config_selectorILNS1_17partition_subalgoE3EjNS0_10empty_typeEbEEZZNS1_14partition_implILS8_3ELb0ES6_jNS0_17counting_iteratorIjlEEPS9_SE_NS0_5tupleIJPjSE_EEENSF_IJSE_SE_EEES9_SG_JZNS1_25segmented_radix_sort_implINS0_14default_configELb0EPKiPiPKlPlN2at6native12_GLOBAL__N_18offset_tEEE10hipError_tPvRmT1_PNSt15iterator_traitsISY_E10value_typeET2_T3_PNSZ_IS14_E10value_typeET4_jRbjT5_S1A_jjP12ihipStream_tbEUljE_EEESV_SW_SX_S14_S18_S1A_T6_T7_T9_mT8_S1C_bDpT10_ENKUlT_T0_E_clISt17integral_constantIbLb0EES1P_EEDaS1K_S1L_EUlS1K_E_NS1_11comp_targetILNS1_3genE3ELNS1_11target_archE908ELNS1_3gpuE7ELNS1_3repE0EEENS1_30default_config_static_selectorELNS0_4arch9wavefront6targetE1EEEvSY_
; %bb.0:
	.section	.rodata,"a",@progbits
	.p2align	6, 0x0
	.amdhsa_kernel _ZN7rocprim17ROCPRIM_400000_NS6detail17trampoline_kernelINS0_13select_configILj256ELj13ELNS0_17block_load_methodE3ELS4_3ELS4_3ELNS0_20block_scan_algorithmE0ELj4294967295EEENS1_25partition_config_selectorILNS1_17partition_subalgoE3EjNS0_10empty_typeEbEEZZNS1_14partition_implILS8_3ELb0ES6_jNS0_17counting_iteratorIjlEEPS9_SE_NS0_5tupleIJPjSE_EEENSF_IJSE_SE_EEES9_SG_JZNS1_25segmented_radix_sort_implINS0_14default_configELb0EPKiPiPKlPlN2at6native12_GLOBAL__N_18offset_tEEE10hipError_tPvRmT1_PNSt15iterator_traitsISY_E10value_typeET2_T3_PNSZ_IS14_E10value_typeET4_jRbjT5_S1A_jjP12ihipStream_tbEUljE_EEESV_SW_SX_S14_S18_S1A_T6_T7_T9_mT8_S1C_bDpT10_ENKUlT_T0_E_clISt17integral_constantIbLb0EES1P_EEDaS1K_S1L_EUlS1K_E_NS1_11comp_targetILNS1_3genE3ELNS1_11target_archE908ELNS1_3gpuE7ELNS1_3repE0EEENS1_30default_config_static_selectorELNS0_4arch9wavefront6targetE1EEEvSY_
		.amdhsa_group_segment_fixed_size 0
		.amdhsa_private_segment_fixed_size 0
		.amdhsa_kernarg_size 144
		.amdhsa_user_sgpr_count 6
		.amdhsa_user_sgpr_private_segment_buffer 1
		.amdhsa_user_sgpr_dispatch_ptr 0
		.amdhsa_user_sgpr_queue_ptr 0
		.amdhsa_user_sgpr_kernarg_segment_ptr 1
		.amdhsa_user_sgpr_dispatch_id 0
		.amdhsa_user_sgpr_flat_scratch_init 0
		.amdhsa_user_sgpr_private_segment_size 0
		.amdhsa_uses_dynamic_stack 0
		.amdhsa_system_sgpr_private_segment_wavefront_offset 0
		.amdhsa_system_sgpr_workgroup_id_x 1
		.amdhsa_system_sgpr_workgroup_id_y 0
		.amdhsa_system_sgpr_workgroup_id_z 0
		.amdhsa_system_sgpr_workgroup_info 0
		.amdhsa_system_vgpr_workitem_id 0
		.amdhsa_next_free_vgpr 1
		.amdhsa_next_free_sgpr 0
		.amdhsa_reserve_vcc 0
		.amdhsa_reserve_flat_scratch 0
		.amdhsa_float_round_mode_32 0
		.amdhsa_float_round_mode_16_64 0
		.amdhsa_float_denorm_mode_32 3
		.amdhsa_float_denorm_mode_16_64 3
		.amdhsa_dx10_clamp 1
		.amdhsa_ieee_mode 1
		.amdhsa_fp16_overflow 0
		.amdhsa_exception_fp_ieee_invalid_op 0
		.amdhsa_exception_fp_denorm_src 0
		.amdhsa_exception_fp_ieee_div_zero 0
		.amdhsa_exception_fp_ieee_overflow 0
		.amdhsa_exception_fp_ieee_underflow 0
		.amdhsa_exception_fp_ieee_inexact 0
		.amdhsa_exception_int_div_zero 0
	.end_amdhsa_kernel
	.section	.text._ZN7rocprim17ROCPRIM_400000_NS6detail17trampoline_kernelINS0_13select_configILj256ELj13ELNS0_17block_load_methodE3ELS4_3ELS4_3ELNS0_20block_scan_algorithmE0ELj4294967295EEENS1_25partition_config_selectorILNS1_17partition_subalgoE3EjNS0_10empty_typeEbEEZZNS1_14partition_implILS8_3ELb0ES6_jNS0_17counting_iteratorIjlEEPS9_SE_NS0_5tupleIJPjSE_EEENSF_IJSE_SE_EEES9_SG_JZNS1_25segmented_radix_sort_implINS0_14default_configELb0EPKiPiPKlPlN2at6native12_GLOBAL__N_18offset_tEEE10hipError_tPvRmT1_PNSt15iterator_traitsISY_E10value_typeET2_T3_PNSZ_IS14_E10value_typeET4_jRbjT5_S1A_jjP12ihipStream_tbEUljE_EEESV_SW_SX_S14_S18_S1A_T6_T7_T9_mT8_S1C_bDpT10_ENKUlT_T0_E_clISt17integral_constantIbLb0EES1P_EEDaS1K_S1L_EUlS1K_E_NS1_11comp_targetILNS1_3genE3ELNS1_11target_archE908ELNS1_3gpuE7ELNS1_3repE0EEENS1_30default_config_static_selectorELNS0_4arch9wavefront6targetE1EEEvSY_,"axG",@progbits,_ZN7rocprim17ROCPRIM_400000_NS6detail17trampoline_kernelINS0_13select_configILj256ELj13ELNS0_17block_load_methodE3ELS4_3ELS4_3ELNS0_20block_scan_algorithmE0ELj4294967295EEENS1_25partition_config_selectorILNS1_17partition_subalgoE3EjNS0_10empty_typeEbEEZZNS1_14partition_implILS8_3ELb0ES6_jNS0_17counting_iteratorIjlEEPS9_SE_NS0_5tupleIJPjSE_EEENSF_IJSE_SE_EEES9_SG_JZNS1_25segmented_radix_sort_implINS0_14default_configELb0EPKiPiPKlPlN2at6native12_GLOBAL__N_18offset_tEEE10hipError_tPvRmT1_PNSt15iterator_traitsISY_E10value_typeET2_T3_PNSZ_IS14_E10value_typeET4_jRbjT5_S1A_jjP12ihipStream_tbEUljE_EEESV_SW_SX_S14_S18_S1A_T6_T7_T9_mT8_S1C_bDpT10_ENKUlT_T0_E_clISt17integral_constantIbLb0EES1P_EEDaS1K_S1L_EUlS1K_E_NS1_11comp_targetILNS1_3genE3ELNS1_11target_archE908ELNS1_3gpuE7ELNS1_3repE0EEENS1_30default_config_static_selectorELNS0_4arch9wavefront6targetE1EEEvSY_,comdat
.Lfunc_end571:
	.size	_ZN7rocprim17ROCPRIM_400000_NS6detail17trampoline_kernelINS0_13select_configILj256ELj13ELNS0_17block_load_methodE3ELS4_3ELS4_3ELNS0_20block_scan_algorithmE0ELj4294967295EEENS1_25partition_config_selectorILNS1_17partition_subalgoE3EjNS0_10empty_typeEbEEZZNS1_14partition_implILS8_3ELb0ES6_jNS0_17counting_iteratorIjlEEPS9_SE_NS0_5tupleIJPjSE_EEENSF_IJSE_SE_EEES9_SG_JZNS1_25segmented_radix_sort_implINS0_14default_configELb0EPKiPiPKlPlN2at6native12_GLOBAL__N_18offset_tEEE10hipError_tPvRmT1_PNSt15iterator_traitsISY_E10value_typeET2_T3_PNSZ_IS14_E10value_typeET4_jRbjT5_S1A_jjP12ihipStream_tbEUljE_EEESV_SW_SX_S14_S18_S1A_T6_T7_T9_mT8_S1C_bDpT10_ENKUlT_T0_E_clISt17integral_constantIbLb0EES1P_EEDaS1K_S1L_EUlS1K_E_NS1_11comp_targetILNS1_3genE3ELNS1_11target_archE908ELNS1_3gpuE7ELNS1_3repE0EEENS1_30default_config_static_selectorELNS0_4arch9wavefront6targetE1EEEvSY_, .Lfunc_end571-_ZN7rocprim17ROCPRIM_400000_NS6detail17trampoline_kernelINS0_13select_configILj256ELj13ELNS0_17block_load_methodE3ELS4_3ELS4_3ELNS0_20block_scan_algorithmE0ELj4294967295EEENS1_25partition_config_selectorILNS1_17partition_subalgoE3EjNS0_10empty_typeEbEEZZNS1_14partition_implILS8_3ELb0ES6_jNS0_17counting_iteratorIjlEEPS9_SE_NS0_5tupleIJPjSE_EEENSF_IJSE_SE_EEES9_SG_JZNS1_25segmented_radix_sort_implINS0_14default_configELb0EPKiPiPKlPlN2at6native12_GLOBAL__N_18offset_tEEE10hipError_tPvRmT1_PNSt15iterator_traitsISY_E10value_typeET2_T3_PNSZ_IS14_E10value_typeET4_jRbjT5_S1A_jjP12ihipStream_tbEUljE_EEESV_SW_SX_S14_S18_S1A_T6_T7_T9_mT8_S1C_bDpT10_ENKUlT_T0_E_clISt17integral_constantIbLb0EES1P_EEDaS1K_S1L_EUlS1K_E_NS1_11comp_targetILNS1_3genE3ELNS1_11target_archE908ELNS1_3gpuE7ELNS1_3repE0EEENS1_30default_config_static_selectorELNS0_4arch9wavefront6targetE1EEEvSY_
                                        ; -- End function
	.set _ZN7rocprim17ROCPRIM_400000_NS6detail17trampoline_kernelINS0_13select_configILj256ELj13ELNS0_17block_load_methodE3ELS4_3ELS4_3ELNS0_20block_scan_algorithmE0ELj4294967295EEENS1_25partition_config_selectorILNS1_17partition_subalgoE3EjNS0_10empty_typeEbEEZZNS1_14partition_implILS8_3ELb0ES6_jNS0_17counting_iteratorIjlEEPS9_SE_NS0_5tupleIJPjSE_EEENSF_IJSE_SE_EEES9_SG_JZNS1_25segmented_radix_sort_implINS0_14default_configELb0EPKiPiPKlPlN2at6native12_GLOBAL__N_18offset_tEEE10hipError_tPvRmT1_PNSt15iterator_traitsISY_E10value_typeET2_T3_PNSZ_IS14_E10value_typeET4_jRbjT5_S1A_jjP12ihipStream_tbEUljE_EEESV_SW_SX_S14_S18_S1A_T6_T7_T9_mT8_S1C_bDpT10_ENKUlT_T0_E_clISt17integral_constantIbLb0EES1P_EEDaS1K_S1L_EUlS1K_E_NS1_11comp_targetILNS1_3genE3ELNS1_11target_archE908ELNS1_3gpuE7ELNS1_3repE0EEENS1_30default_config_static_selectorELNS0_4arch9wavefront6targetE1EEEvSY_.num_vgpr, 0
	.set _ZN7rocprim17ROCPRIM_400000_NS6detail17trampoline_kernelINS0_13select_configILj256ELj13ELNS0_17block_load_methodE3ELS4_3ELS4_3ELNS0_20block_scan_algorithmE0ELj4294967295EEENS1_25partition_config_selectorILNS1_17partition_subalgoE3EjNS0_10empty_typeEbEEZZNS1_14partition_implILS8_3ELb0ES6_jNS0_17counting_iteratorIjlEEPS9_SE_NS0_5tupleIJPjSE_EEENSF_IJSE_SE_EEES9_SG_JZNS1_25segmented_radix_sort_implINS0_14default_configELb0EPKiPiPKlPlN2at6native12_GLOBAL__N_18offset_tEEE10hipError_tPvRmT1_PNSt15iterator_traitsISY_E10value_typeET2_T3_PNSZ_IS14_E10value_typeET4_jRbjT5_S1A_jjP12ihipStream_tbEUljE_EEESV_SW_SX_S14_S18_S1A_T6_T7_T9_mT8_S1C_bDpT10_ENKUlT_T0_E_clISt17integral_constantIbLb0EES1P_EEDaS1K_S1L_EUlS1K_E_NS1_11comp_targetILNS1_3genE3ELNS1_11target_archE908ELNS1_3gpuE7ELNS1_3repE0EEENS1_30default_config_static_selectorELNS0_4arch9wavefront6targetE1EEEvSY_.num_agpr, 0
	.set _ZN7rocprim17ROCPRIM_400000_NS6detail17trampoline_kernelINS0_13select_configILj256ELj13ELNS0_17block_load_methodE3ELS4_3ELS4_3ELNS0_20block_scan_algorithmE0ELj4294967295EEENS1_25partition_config_selectorILNS1_17partition_subalgoE3EjNS0_10empty_typeEbEEZZNS1_14partition_implILS8_3ELb0ES6_jNS0_17counting_iteratorIjlEEPS9_SE_NS0_5tupleIJPjSE_EEENSF_IJSE_SE_EEES9_SG_JZNS1_25segmented_radix_sort_implINS0_14default_configELb0EPKiPiPKlPlN2at6native12_GLOBAL__N_18offset_tEEE10hipError_tPvRmT1_PNSt15iterator_traitsISY_E10value_typeET2_T3_PNSZ_IS14_E10value_typeET4_jRbjT5_S1A_jjP12ihipStream_tbEUljE_EEESV_SW_SX_S14_S18_S1A_T6_T7_T9_mT8_S1C_bDpT10_ENKUlT_T0_E_clISt17integral_constantIbLb0EES1P_EEDaS1K_S1L_EUlS1K_E_NS1_11comp_targetILNS1_3genE3ELNS1_11target_archE908ELNS1_3gpuE7ELNS1_3repE0EEENS1_30default_config_static_selectorELNS0_4arch9wavefront6targetE1EEEvSY_.numbered_sgpr, 0
	.set _ZN7rocprim17ROCPRIM_400000_NS6detail17trampoline_kernelINS0_13select_configILj256ELj13ELNS0_17block_load_methodE3ELS4_3ELS4_3ELNS0_20block_scan_algorithmE0ELj4294967295EEENS1_25partition_config_selectorILNS1_17partition_subalgoE3EjNS0_10empty_typeEbEEZZNS1_14partition_implILS8_3ELb0ES6_jNS0_17counting_iteratorIjlEEPS9_SE_NS0_5tupleIJPjSE_EEENSF_IJSE_SE_EEES9_SG_JZNS1_25segmented_radix_sort_implINS0_14default_configELb0EPKiPiPKlPlN2at6native12_GLOBAL__N_18offset_tEEE10hipError_tPvRmT1_PNSt15iterator_traitsISY_E10value_typeET2_T3_PNSZ_IS14_E10value_typeET4_jRbjT5_S1A_jjP12ihipStream_tbEUljE_EEESV_SW_SX_S14_S18_S1A_T6_T7_T9_mT8_S1C_bDpT10_ENKUlT_T0_E_clISt17integral_constantIbLb0EES1P_EEDaS1K_S1L_EUlS1K_E_NS1_11comp_targetILNS1_3genE3ELNS1_11target_archE908ELNS1_3gpuE7ELNS1_3repE0EEENS1_30default_config_static_selectorELNS0_4arch9wavefront6targetE1EEEvSY_.num_named_barrier, 0
	.set _ZN7rocprim17ROCPRIM_400000_NS6detail17trampoline_kernelINS0_13select_configILj256ELj13ELNS0_17block_load_methodE3ELS4_3ELS4_3ELNS0_20block_scan_algorithmE0ELj4294967295EEENS1_25partition_config_selectorILNS1_17partition_subalgoE3EjNS0_10empty_typeEbEEZZNS1_14partition_implILS8_3ELb0ES6_jNS0_17counting_iteratorIjlEEPS9_SE_NS0_5tupleIJPjSE_EEENSF_IJSE_SE_EEES9_SG_JZNS1_25segmented_radix_sort_implINS0_14default_configELb0EPKiPiPKlPlN2at6native12_GLOBAL__N_18offset_tEEE10hipError_tPvRmT1_PNSt15iterator_traitsISY_E10value_typeET2_T3_PNSZ_IS14_E10value_typeET4_jRbjT5_S1A_jjP12ihipStream_tbEUljE_EEESV_SW_SX_S14_S18_S1A_T6_T7_T9_mT8_S1C_bDpT10_ENKUlT_T0_E_clISt17integral_constantIbLb0EES1P_EEDaS1K_S1L_EUlS1K_E_NS1_11comp_targetILNS1_3genE3ELNS1_11target_archE908ELNS1_3gpuE7ELNS1_3repE0EEENS1_30default_config_static_selectorELNS0_4arch9wavefront6targetE1EEEvSY_.private_seg_size, 0
	.set _ZN7rocprim17ROCPRIM_400000_NS6detail17trampoline_kernelINS0_13select_configILj256ELj13ELNS0_17block_load_methodE3ELS4_3ELS4_3ELNS0_20block_scan_algorithmE0ELj4294967295EEENS1_25partition_config_selectorILNS1_17partition_subalgoE3EjNS0_10empty_typeEbEEZZNS1_14partition_implILS8_3ELb0ES6_jNS0_17counting_iteratorIjlEEPS9_SE_NS0_5tupleIJPjSE_EEENSF_IJSE_SE_EEES9_SG_JZNS1_25segmented_radix_sort_implINS0_14default_configELb0EPKiPiPKlPlN2at6native12_GLOBAL__N_18offset_tEEE10hipError_tPvRmT1_PNSt15iterator_traitsISY_E10value_typeET2_T3_PNSZ_IS14_E10value_typeET4_jRbjT5_S1A_jjP12ihipStream_tbEUljE_EEESV_SW_SX_S14_S18_S1A_T6_T7_T9_mT8_S1C_bDpT10_ENKUlT_T0_E_clISt17integral_constantIbLb0EES1P_EEDaS1K_S1L_EUlS1K_E_NS1_11comp_targetILNS1_3genE3ELNS1_11target_archE908ELNS1_3gpuE7ELNS1_3repE0EEENS1_30default_config_static_selectorELNS0_4arch9wavefront6targetE1EEEvSY_.uses_vcc, 0
	.set _ZN7rocprim17ROCPRIM_400000_NS6detail17trampoline_kernelINS0_13select_configILj256ELj13ELNS0_17block_load_methodE3ELS4_3ELS4_3ELNS0_20block_scan_algorithmE0ELj4294967295EEENS1_25partition_config_selectorILNS1_17partition_subalgoE3EjNS0_10empty_typeEbEEZZNS1_14partition_implILS8_3ELb0ES6_jNS0_17counting_iteratorIjlEEPS9_SE_NS0_5tupleIJPjSE_EEENSF_IJSE_SE_EEES9_SG_JZNS1_25segmented_radix_sort_implINS0_14default_configELb0EPKiPiPKlPlN2at6native12_GLOBAL__N_18offset_tEEE10hipError_tPvRmT1_PNSt15iterator_traitsISY_E10value_typeET2_T3_PNSZ_IS14_E10value_typeET4_jRbjT5_S1A_jjP12ihipStream_tbEUljE_EEESV_SW_SX_S14_S18_S1A_T6_T7_T9_mT8_S1C_bDpT10_ENKUlT_T0_E_clISt17integral_constantIbLb0EES1P_EEDaS1K_S1L_EUlS1K_E_NS1_11comp_targetILNS1_3genE3ELNS1_11target_archE908ELNS1_3gpuE7ELNS1_3repE0EEENS1_30default_config_static_selectorELNS0_4arch9wavefront6targetE1EEEvSY_.uses_flat_scratch, 0
	.set _ZN7rocprim17ROCPRIM_400000_NS6detail17trampoline_kernelINS0_13select_configILj256ELj13ELNS0_17block_load_methodE3ELS4_3ELS4_3ELNS0_20block_scan_algorithmE0ELj4294967295EEENS1_25partition_config_selectorILNS1_17partition_subalgoE3EjNS0_10empty_typeEbEEZZNS1_14partition_implILS8_3ELb0ES6_jNS0_17counting_iteratorIjlEEPS9_SE_NS0_5tupleIJPjSE_EEENSF_IJSE_SE_EEES9_SG_JZNS1_25segmented_radix_sort_implINS0_14default_configELb0EPKiPiPKlPlN2at6native12_GLOBAL__N_18offset_tEEE10hipError_tPvRmT1_PNSt15iterator_traitsISY_E10value_typeET2_T3_PNSZ_IS14_E10value_typeET4_jRbjT5_S1A_jjP12ihipStream_tbEUljE_EEESV_SW_SX_S14_S18_S1A_T6_T7_T9_mT8_S1C_bDpT10_ENKUlT_T0_E_clISt17integral_constantIbLb0EES1P_EEDaS1K_S1L_EUlS1K_E_NS1_11comp_targetILNS1_3genE3ELNS1_11target_archE908ELNS1_3gpuE7ELNS1_3repE0EEENS1_30default_config_static_selectorELNS0_4arch9wavefront6targetE1EEEvSY_.has_dyn_sized_stack, 0
	.set _ZN7rocprim17ROCPRIM_400000_NS6detail17trampoline_kernelINS0_13select_configILj256ELj13ELNS0_17block_load_methodE3ELS4_3ELS4_3ELNS0_20block_scan_algorithmE0ELj4294967295EEENS1_25partition_config_selectorILNS1_17partition_subalgoE3EjNS0_10empty_typeEbEEZZNS1_14partition_implILS8_3ELb0ES6_jNS0_17counting_iteratorIjlEEPS9_SE_NS0_5tupleIJPjSE_EEENSF_IJSE_SE_EEES9_SG_JZNS1_25segmented_radix_sort_implINS0_14default_configELb0EPKiPiPKlPlN2at6native12_GLOBAL__N_18offset_tEEE10hipError_tPvRmT1_PNSt15iterator_traitsISY_E10value_typeET2_T3_PNSZ_IS14_E10value_typeET4_jRbjT5_S1A_jjP12ihipStream_tbEUljE_EEESV_SW_SX_S14_S18_S1A_T6_T7_T9_mT8_S1C_bDpT10_ENKUlT_T0_E_clISt17integral_constantIbLb0EES1P_EEDaS1K_S1L_EUlS1K_E_NS1_11comp_targetILNS1_3genE3ELNS1_11target_archE908ELNS1_3gpuE7ELNS1_3repE0EEENS1_30default_config_static_selectorELNS0_4arch9wavefront6targetE1EEEvSY_.has_recursion, 0
	.set _ZN7rocprim17ROCPRIM_400000_NS6detail17trampoline_kernelINS0_13select_configILj256ELj13ELNS0_17block_load_methodE3ELS4_3ELS4_3ELNS0_20block_scan_algorithmE0ELj4294967295EEENS1_25partition_config_selectorILNS1_17partition_subalgoE3EjNS0_10empty_typeEbEEZZNS1_14partition_implILS8_3ELb0ES6_jNS0_17counting_iteratorIjlEEPS9_SE_NS0_5tupleIJPjSE_EEENSF_IJSE_SE_EEES9_SG_JZNS1_25segmented_radix_sort_implINS0_14default_configELb0EPKiPiPKlPlN2at6native12_GLOBAL__N_18offset_tEEE10hipError_tPvRmT1_PNSt15iterator_traitsISY_E10value_typeET2_T3_PNSZ_IS14_E10value_typeET4_jRbjT5_S1A_jjP12ihipStream_tbEUljE_EEESV_SW_SX_S14_S18_S1A_T6_T7_T9_mT8_S1C_bDpT10_ENKUlT_T0_E_clISt17integral_constantIbLb0EES1P_EEDaS1K_S1L_EUlS1K_E_NS1_11comp_targetILNS1_3genE3ELNS1_11target_archE908ELNS1_3gpuE7ELNS1_3repE0EEENS1_30default_config_static_selectorELNS0_4arch9wavefront6targetE1EEEvSY_.has_indirect_call, 0
	.section	.AMDGPU.csdata,"",@progbits
; Kernel info:
; codeLenInByte = 0
; TotalNumSgprs: 4
; NumVgprs: 0
; ScratchSize: 0
; MemoryBound: 0
; FloatMode: 240
; IeeeMode: 1
; LDSByteSize: 0 bytes/workgroup (compile time only)
; SGPRBlocks: 0
; VGPRBlocks: 0
; NumSGPRsForWavesPerEU: 4
; NumVGPRsForWavesPerEU: 1
; Occupancy: 10
; WaveLimiterHint : 0
; COMPUTE_PGM_RSRC2:SCRATCH_EN: 0
; COMPUTE_PGM_RSRC2:USER_SGPR: 6
; COMPUTE_PGM_RSRC2:TRAP_HANDLER: 0
; COMPUTE_PGM_RSRC2:TGID_X_EN: 1
; COMPUTE_PGM_RSRC2:TGID_Y_EN: 0
; COMPUTE_PGM_RSRC2:TGID_Z_EN: 0
; COMPUTE_PGM_RSRC2:TIDIG_COMP_CNT: 0
	.section	.text._ZN7rocprim17ROCPRIM_400000_NS6detail17trampoline_kernelINS0_13select_configILj256ELj13ELNS0_17block_load_methodE3ELS4_3ELS4_3ELNS0_20block_scan_algorithmE0ELj4294967295EEENS1_25partition_config_selectorILNS1_17partition_subalgoE3EjNS0_10empty_typeEbEEZZNS1_14partition_implILS8_3ELb0ES6_jNS0_17counting_iteratorIjlEEPS9_SE_NS0_5tupleIJPjSE_EEENSF_IJSE_SE_EEES9_SG_JZNS1_25segmented_radix_sort_implINS0_14default_configELb0EPKiPiPKlPlN2at6native12_GLOBAL__N_18offset_tEEE10hipError_tPvRmT1_PNSt15iterator_traitsISY_E10value_typeET2_T3_PNSZ_IS14_E10value_typeET4_jRbjT5_S1A_jjP12ihipStream_tbEUljE_EEESV_SW_SX_S14_S18_S1A_T6_T7_T9_mT8_S1C_bDpT10_ENKUlT_T0_E_clISt17integral_constantIbLb0EES1P_EEDaS1K_S1L_EUlS1K_E_NS1_11comp_targetILNS1_3genE2ELNS1_11target_archE906ELNS1_3gpuE6ELNS1_3repE0EEENS1_30default_config_static_selectorELNS0_4arch9wavefront6targetE1EEEvSY_,"axG",@progbits,_ZN7rocprim17ROCPRIM_400000_NS6detail17trampoline_kernelINS0_13select_configILj256ELj13ELNS0_17block_load_methodE3ELS4_3ELS4_3ELNS0_20block_scan_algorithmE0ELj4294967295EEENS1_25partition_config_selectorILNS1_17partition_subalgoE3EjNS0_10empty_typeEbEEZZNS1_14partition_implILS8_3ELb0ES6_jNS0_17counting_iteratorIjlEEPS9_SE_NS0_5tupleIJPjSE_EEENSF_IJSE_SE_EEES9_SG_JZNS1_25segmented_radix_sort_implINS0_14default_configELb0EPKiPiPKlPlN2at6native12_GLOBAL__N_18offset_tEEE10hipError_tPvRmT1_PNSt15iterator_traitsISY_E10value_typeET2_T3_PNSZ_IS14_E10value_typeET4_jRbjT5_S1A_jjP12ihipStream_tbEUljE_EEESV_SW_SX_S14_S18_S1A_T6_T7_T9_mT8_S1C_bDpT10_ENKUlT_T0_E_clISt17integral_constantIbLb0EES1P_EEDaS1K_S1L_EUlS1K_E_NS1_11comp_targetILNS1_3genE2ELNS1_11target_archE906ELNS1_3gpuE6ELNS1_3repE0EEENS1_30default_config_static_selectorELNS0_4arch9wavefront6targetE1EEEvSY_,comdat
	.globl	_ZN7rocprim17ROCPRIM_400000_NS6detail17trampoline_kernelINS0_13select_configILj256ELj13ELNS0_17block_load_methodE3ELS4_3ELS4_3ELNS0_20block_scan_algorithmE0ELj4294967295EEENS1_25partition_config_selectorILNS1_17partition_subalgoE3EjNS0_10empty_typeEbEEZZNS1_14partition_implILS8_3ELb0ES6_jNS0_17counting_iteratorIjlEEPS9_SE_NS0_5tupleIJPjSE_EEENSF_IJSE_SE_EEES9_SG_JZNS1_25segmented_radix_sort_implINS0_14default_configELb0EPKiPiPKlPlN2at6native12_GLOBAL__N_18offset_tEEE10hipError_tPvRmT1_PNSt15iterator_traitsISY_E10value_typeET2_T3_PNSZ_IS14_E10value_typeET4_jRbjT5_S1A_jjP12ihipStream_tbEUljE_EEESV_SW_SX_S14_S18_S1A_T6_T7_T9_mT8_S1C_bDpT10_ENKUlT_T0_E_clISt17integral_constantIbLb0EES1P_EEDaS1K_S1L_EUlS1K_E_NS1_11comp_targetILNS1_3genE2ELNS1_11target_archE906ELNS1_3gpuE6ELNS1_3repE0EEENS1_30default_config_static_selectorELNS0_4arch9wavefront6targetE1EEEvSY_ ; -- Begin function _ZN7rocprim17ROCPRIM_400000_NS6detail17trampoline_kernelINS0_13select_configILj256ELj13ELNS0_17block_load_methodE3ELS4_3ELS4_3ELNS0_20block_scan_algorithmE0ELj4294967295EEENS1_25partition_config_selectorILNS1_17partition_subalgoE3EjNS0_10empty_typeEbEEZZNS1_14partition_implILS8_3ELb0ES6_jNS0_17counting_iteratorIjlEEPS9_SE_NS0_5tupleIJPjSE_EEENSF_IJSE_SE_EEES9_SG_JZNS1_25segmented_radix_sort_implINS0_14default_configELb0EPKiPiPKlPlN2at6native12_GLOBAL__N_18offset_tEEE10hipError_tPvRmT1_PNSt15iterator_traitsISY_E10value_typeET2_T3_PNSZ_IS14_E10value_typeET4_jRbjT5_S1A_jjP12ihipStream_tbEUljE_EEESV_SW_SX_S14_S18_S1A_T6_T7_T9_mT8_S1C_bDpT10_ENKUlT_T0_E_clISt17integral_constantIbLb0EES1P_EEDaS1K_S1L_EUlS1K_E_NS1_11comp_targetILNS1_3genE2ELNS1_11target_archE906ELNS1_3gpuE6ELNS1_3repE0EEENS1_30default_config_static_selectorELNS0_4arch9wavefront6targetE1EEEvSY_
	.p2align	8
	.type	_ZN7rocprim17ROCPRIM_400000_NS6detail17trampoline_kernelINS0_13select_configILj256ELj13ELNS0_17block_load_methodE3ELS4_3ELS4_3ELNS0_20block_scan_algorithmE0ELj4294967295EEENS1_25partition_config_selectorILNS1_17partition_subalgoE3EjNS0_10empty_typeEbEEZZNS1_14partition_implILS8_3ELb0ES6_jNS0_17counting_iteratorIjlEEPS9_SE_NS0_5tupleIJPjSE_EEENSF_IJSE_SE_EEES9_SG_JZNS1_25segmented_radix_sort_implINS0_14default_configELb0EPKiPiPKlPlN2at6native12_GLOBAL__N_18offset_tEEE10hipError_tPvRmT1_PNSt15iterator_traitsISY_E10value_typeET2_T3_PNSZ_IS14_E10value_typeET4_jRbjT5_S1A_jjP12ihipStream_tbEUljE_EEESV_SW_SX_S14_S18_S1A_T6_T7_T9_mT8_S1C_bDpT10_ENKUlT_T0_E_clISt17integral_constantIbLb0EES1P_EEDaS1K_S1L_EUlS1K_E_NS1_11comp_targetILNS1_3genE2ELNS1_11target_archE906ELNS1_3gpuE6ELNS1_3repE0EEENS1_30default_config_static_selectorELNS0_4arch9wavefront6targetE1EEEvSY_,@function
_ZN7rocprim17ROCPRIM_400000_NS6detail17trampoline_kernelINS0_13select_configILj256ELj13ELNS0_17block_load_methodE3ELS4_3ELS4_3ELNS0_20block_scan_algorithmE0ELj4294967295EEENS1_25partition_config_selectorILNS1_17partition_subalgoE3EjNS0_10empty_typeEbEEZZNS1_14partition_implILS8_3ELb0ES6_jNS0_17counting_iteratorIjlEEPS9_SE_NS0_5tupleIJPjSE_EEENSF_IJSE_SE_EEES9_SG_JZNS1_25segmented_radix_sort_implINS0_14default_configELb0EPKiPiPKlPlN2at6native12_GLOBAL__N_18offset_tEEE10hipError_tPvRmT1_PNSt15iterator_traitsISY_E10value_typeET2_T3_PNSZ_IS14_E10value_typeET4_jRbjT5_S1A_jjP12ihipStream_tbEUljE_EEESV_SW_SX_S14_S18_S1A_T6_T7_T9_mT8_S1C_bDpT10_ENKUlT_T0_E_clISt17integral_constantIbLb0EES1P_EEDaS1K_S1L_EUlS1K_E_NS1_11comp_targetILNS1_3genE2ELNS1_11target_archE906ELNS1_3gpuE6ELNS1_3repE0EEENS1_30default_config_static_selectorELNS0_4arch9wavefront6targetE1EEEvSY_: ; @_ZN7rocprim17ROCPRIM_400000_NS6detail17trampoline_kernelINS0_13select_configILj256ELj13ELNS0_17block_load_methodE3ELS4_3ELS4_3ELNS0_20block_scan_algorithmE0ELj4294967295EEENS1_25partition_config_selectorILNS1_17partition_subalgoE3EjNS0_10empty_typeEbEEZZNS1_14partition_implILS8_3ELb0ES6_jNS0_17counting_iteratorIjlEEPS9_SE_NS0_5tupleIJPjSE_EEENSF_IJSE_SE_EEES9_SG_JZNS1_25segmented_radix_sort_implINS0_14default_configELb0EPKiPiPKlPlN2at6native12_GLOBAL__N_18offset_tEEE10hipError_tPvRmT1_PNSt15iterator_traitsISY_E10value_typeET2_T3_PNSZ_IS14_E10value_typeET4_jRbjT5_S1A_jjP12ihipStream_tbEUljE_EEESV_SW_SX_S14_S18_S1A_T6_T7_T9_mT8_S1C_bDpT10_ENKUlT_T0_E_clISt17integral_constantIbLb0EES1P_EEDaS1K_S1L_EUlS1K_E_NS1_11comp_targetILNS1_3genE2ELNS1_11target_archE906ELNS1_3gpuE6ELNS1_3repE0EEENS1_30default_config_static_selectorELNS0_4arch9wavefront6targetE1EEEvSY_
; %bb.0:
	s_load_dwordx2 s[28:29], s[4:5], 0x58
	s_load_dwordx4 s[24:27], s[4:5], 0x48
	s_load_dword s12, s[4:5], 0x8
	s_load_dwordx2 s[30:31], s[4:5], 0x10
	s_load_dword s0, s[4:5], 0x70
	s_load_dword s7, s[4:5], 0x88
	s_load_dwordx4 s[8:11], s[4:5], 0x78
	s_waitcnt lgkmcnt(0)
	s_load_dwordx2 s[34:35], s[26:27], 0x0
	s_mul_i32 s44, s6, 0xd00
	s_add_i32 s2, s0, -1
	s_mulk_i32 s0, 0xd00
	s_add_i32 s1, s0, s30
	s_sub_i32 s33, s28, s1
	s_addk_i32 s33, 0xd00
	s_add_u32 s0, s30, s0
	s_addc_u32 s1, s31, 0
	v_mov_b32_e32 v2, s1
	v_mov_b32_e32 v1, s0
	s_cmp_eq_u32 s6, s2
	v_cmp_gt_u64_e32 vcc, s[28:29], v[1:2]
	s_cselect_b64 s[22:23], -1, 0
	s_cmp_lg_u32 s6, s2
	s_cselect_b64 s[0:1], -1, 0
	s_add_i32 s12, s12, s44
	s_or_b64 s[2:3], s[0:1], vcc
	s_add_i32 s12, s12, s30
	s_mov_b64 s[0:1], -1
	s_and_b64 vcc, exec, s[2:3]
	v_add_u32_e32 v1, s12, v0
	v_lshlrev_b32_e32 v23, 2, v0
	s_cbranch_vccz .LBB572_2
; %bb.1:
	v_add_u32_e32 v2, 0x100, v1
	v_add_u32_e32 v3, 0x200, v1
	;; [unrolled: 1-line block ×12, first 2 shown]
	ds_write2st64_b32 v23, v1, v2 offset1:4
	ds_write2st64_b32 v23, v3, v4 offset0:8 offset1:12
	ds_write2st64_b32 v23, v5, v6 offset0:16 offset1:20
	;; [unrolled: 1-line block ×5, first 2 shown]
	ds_write_b32 v23, v13 offset:12288
	s_waitcnt lgkmcnt(0)
	s_barrier
	s_mov_b64 s[0:1], 0
.LBB572_2:
	s_andn2_b64 vcc, exec, s[0:1]
	v_cmp_gt_u32_e64 s[0:1], s33, v0
	s_cbranch_vccnz .LBB572_4
; %bb.3:
	v_or_b32_e32 v2, 0x100, v0
	v_add_u32_e32 v3, s12, v2
	v_cmp_gt_u32_e32 vcc, s33, v2
	v_cndmask_b32_e32 v2, 0, v3, vcc
	v_or_b32_e32 v3, 0x200, v0
	v_add_u32_e32 v4, s12, v3
	v_cmp_gt_u32_e32 vcc, s33, v3
	v_cndmask_b32_e32 v3, 0, v4, vcc
	v_or_b32_e32 v4, 0x300, v0
	v_add_u32_e32 v5, s12, v4
	v_cmp_gt_u32_e32 vcc, s33, v4
	v_cndmask_b32_e32 v4, 0, v5, vcc
	v_or_b32_e32 v5, 0x400, v0
	v_add_u32_e32 v6, s12, v5
	v_cmp_gt_u32_e32 vcc, s33, v5
	v_cndmask_b32_e32 v5, 0, v6, vcc
	v_or_b32_e32 v6, 0x500, v0
	v_add_u32_e32 v7, s12, v6
	v_cmp_gt_u32_e32 vcc, s33, v6
	v_cndmask_b32_e32 v6, 0, v7, vcc
	v_or_b32_e32 v7, 0x600, v0
	v_add_u32_e32 v8, s12, v7
	v_cmp_gt_u32_e32 vcc, s33, v7
	v_cndmask_b32_e32 v7, 0, v8, vcc
	v_or_b32_e32 v8, 0x700, v0
	v_add_u32_e32 v9, s12, v8
	v_cmp_gt_u32_e32 vcc, s33, v8
	v_cndmask_b32_e32 v8, 0, v9, vcc
	v_or_b32_e32 v9, 0x800, v0
	v_add_u32_e32 v10, s12, v9
	v_cmp_gt_u32_e32 vcc, s33, v9
	v_cndmask_b32_e32 v9, 0, v10, vcc
	v_or_b32_e32 v10, 0x900, v0
	v_add_u32_e32 v11, s12, v10
	v_cmp_gt_u32_e32 vcc, s33, v10
	v_cndmask_b32_e32 v10, 0, v11, vcc
	v_or_b32_e32 v11, 0xa00, v0
	v_add_u32_e32 v12, s12, v11
	v_cmp_gt_u32_e32 vcc, s33, v11
	v_cndmask_b32_e32 v11, 0, v12, vcc
	v_or_b32_e32 v12, 0xb00, v0
	v_add_u32_e32 v13, s12, v12
	v_cmp_gt_u32_e32 vcc, s33, v12
	v_cndmask_b32_e32 v12, 0, v13, vcc
	v_or_b32_e32 v13, 0xc00, v0
	v_cndmask_b32_e64 v1, 0, v1, s[0:1]
	v_add_u32_e32 v14, s12, v13
	v_cmp_gt_u32_e32 vcc, s33, v13
	v_cndmask_b32_e32 v13, 0, v14, vcc
	ds_write2st64_b32 v23, v1, v2 offset1:4
	ds_write2st64_b32 v23, v3, v4 offset0:8 offset1:12
	ds_write2st64_b32 v23, v5, v6 offset0:16 offset1:20
	;; [unrolled: 1-line block ×5, first 2 shown]
	ds_write_b32 v23, v13 offset:12288
	s_waitcnt lgkmcnt(0)
	s_barrier
.LBB572_4:
	v_mul_u32_u24_e32 v25, 13, v0
	v_lshlrev_b32_e32 v1, 2, v25
	s_waitcnt lgkmcnt(0)
	ds_read2_b32 v[13:14], v1 offset1:1
	ds_read2_b32 v[11:12], v1 offset0:2 offset1:3
	ds_read2_b32 v[9:10], v1 offset0:4 offset1:5
	;; [unrolled: 1-line block ×5, first 2 shown]
	ds_read_b32 v24, v1 offset:48
	v_cndmask_b32_e64 v1, 0, 1, s[2:3]
	v_cmp_ne_u32_e64 s[0:1], 1, v1
	s_andn2_b64 vcc, exec, s[2:3]
	s_waitcnt lgkmcnt(0)
	s_barrier
	s_cbranch_vccnz .LBB572_6
; %bb.5:
	v_add_u32_e32 v1, s9, v13
	v_add_u32_e32 v2, s11, v13
	v_mul_lo_u32 v1, v1, s8
	v_mul_lo_u32 v2, v2, s10
	v_add_u32_e32 v15, s9, v11
	v_add_u32_e32 v16, s11, v11
	v_mul_lo_u32 v15, v15, s8
	v_sub_u32_e32 v1, v1, v2
	v_cmp_lt_u32_e32 vcc, s7, v1
	v_add_u32_e32 v1, s9, v14
	v_add_u32_e32 v2, s11, v14
	v_mul_lo_u32 v1, v1, s8
	v_mul_lo_u32 v2, v2, s10
	;; [unrolled: 1-line block ×3, first 2 shown]
	v_cndmask_b32_e64 v26, 0, 1, vcc
	v_sub_u32_e32 v1, v1, v2
	v_cmp_lt_u32_e32 vcc, s7, v1
	v_sub_u32_e32 v1, v15, v16
	v_cndmask_b32_e64 v27, 0, 1, vcc
	v_cmp_lt_u32_e32 vcc, s7, v1
	v_add_u32_e32 v1, s9, v12
	v_add_u32_e32 v2, s11, v12
	v_mul_lo_u32 v1, v1, s8
	v_mul_lo_u32 v2, v2, s10
	v_add_u32_e32 v15, s9, v9
	v_add_u32_e32 v16, s11, v9
	v_mul_lo_u32 v15, v15, s8
	v_mul_lo_u32 v16, v16, s10
	v_sub_u32_e32 v1, v1, v2
	v_cndmask_b32_e64 v28, 0, 1, vcc
	v_cmp_lt_u32_e32 vcc, s7, v1
	v_sub_u32_e32 v1, v15, v16
	v_cndmask_b32_e64 v29, 0, 1, vcc
	v_cmp_lt_u32_e32 vcc, s7, v1
	v_add_u32_e32 v1, s9, v10
	v_add_u32_e32 v2, s11, v10
	v_mul_lo_u32 v1, v1, s8
	v_mul_lo_u32 v2, v2, s10
	v_add_u32_e32 v15, s9, v7
	v_add_u32_e32 v16, s11, v7
	v_mul_lo_u32 v15, v15, s8
	v_mul_lo_u32 v16, v16, s10
	v_sub_u32_e32 v1, v1, v2
	v_cndmask_b32_e64 v30, 0, 1, vcc
	;; [unrolled: 14-line block ×5, first 2 shown]
	v_cmp_lt_u32_e32 vcc, s7, v1
	v_sub_u32_e32 v1, v15, v16
	v_cndmask_b32_e64 v37, 0, 1, vcc
	v_cmp_lt_u32_e64 s[38:39], s7, v1
	s_load_dwordx2 s[26:27], s[4:5], 0x28
	s_load_dwordx2 s[36:37], s[4:5], 0x68
	s_cbranch_execz .LBB572_7
	s_branch .LBB572_34
.LBB572_6:
                                        ; implicit-def: $sgpr38_sgpr39
                                        ; implicit-def: $vgpr37
                                        ; implicit-def: $vgpr36
                                        ; implicit-def: $vgpr35
                                        ; implicit-def: $vgpr34
                                        ; implicit-def: $vgpr33
                                        ; implicit-def: $vgpr32
                                        ; implicit-def: $vgpr31
                                        ; implicit-def: $vgpr30
                                        ; implicit-def: $vgpr26
                                        ; implicit-def: $vgpr27
                                        ; implicit-def: $vgpr28
                                        ; implicit-def: $vgpr29
	s_load_dwordx2 s[26:27], s[4:5], 0x28
	s_load_dwordx2 s[36:37], s[4:5], 0x68
.LBB572_7:
	v_cmp_gt_u32_e32 vcc, s33, v25
	v_mov_b32_e32 v27, 0
	v_mov_b32_e32 v26, 0
	s_and_saveexec_b64 s[2:3], vcc
	s_cbranch_execz .LBB572_9
; %bb.8:
	v_add_u32_e32 v1, s9, v13
	v_add_u32_e32 v2, s11, v13
	v_mul_lo_u32 v1, v1, s8
	v_mul_lo_u32 v2, v2, s10
	v_sub_u32_e32 v1, v1, v2
	v_cmp_lt_u32_e32 vcc, s7, v1
	v_cndmask_b32_e64 v26, 0, 1, vcc
.LBB572_9:
	s_or_b64 exec, exec, s[2:3]
	v_add_u32_e32 v1, 1, v25
	v_cmp_gt_u32_e32 vcc, s33, v1
	s_and_saveexec_b64 s[2:3], vcc
	s_cbranch_execz .LBB572_11
; %bb.10:
	v_add_u32_e32 v1, s9, v14
	v_add_u32_e32 v2, s11, v14
	v_mul_lo_u32 v1, v1, s8
	v_mul_lo_u32 v2, v2, s10
	v_sub_u32_e32 v1, v1, v2
	v_cmp_lt_u32_e32 vcc, s7, v1
	v_cndmask_b32_e64 v27, 0, 1, vcc
.LBB572_11:
	s_or_b64 exec, exec, s[2:3]
	v_add_u32_e32 v1, 2, v25
	v_cmp_gt_u32_e32 vcc, s33, v1
	v_mov_b32_e32 v29, 0
	v_mov_b32_e32 v28, 0
	s_and_saveexec_b64 s[2:3], vcc
	s_cbranch_execz .LBB572_13
; %bb.12:
	v_add_u32_e32 v1, s9, v11
	v_add_u32_e32 v2, s11, v11
	v_mul_lo_u32 v1, v1, s8
	v_mul_lo_u32 v2, v2, s10
	v_sub_u32_e32 v1, v1, v2
	v_cmp_lt_u32_e32 vcc, s7, v1
	v_cndmask_b32_e64 v28, 0, 1, vcc
.LBB572_13:
	s_or_b64 exec, exec, s[2:3]
	v_add_u32_e32 v1, 3, v25
	v_cmp_gt_u32_e32 vcc, s33, v1
	s_and_saveexec_b64 s[2:3], vcc
	s_cbranch_execz .LBB572_15
; %bb.14:
	v_add_u32_e32 v1, s9, v12
	v_add_u32_e32 v2, s11, v12
	v_mul_lo_u32 v1, v1, s8
	v_mul_lo_u32 v2, v2, s10
	v_sub_u32_e32 v1, v1, v2
	v_cmp_lt_u32_e32 vcc, s7, v1
	v_cndmask_b32_e64 v29, 0, 1, vcc
.LBB572_15:
	s_or_b64 exec, exec, s[2:3]
	v_add_u32_e32 v1, 4, v25
	;; [unrolled: 30-line block ×6, first 2 shown]
	v_cmp_gt_u32_e32 vcc, s33, v1
	s_mov_b64 s[38:39], 0
	s_and_saveexec_b64 s[2:3], vcc
	s_cbranch_execz .LBB572_33
; %bb.32:
	v_add_u32_e32 v1, s9, v24
	v_add_u32_e32 v2, s11, v24
	v_mul_lo_u32 v1, v1, s8
	v_mul_lo_u32 v2, v2, s10
	v_sub_u32_e32 v1, v1, v2
	v_cmp_lt_u32_e32 vcc, s7, v1
	s_and_b64 s[38:39], vcc, exec
.LBB572_33:
	s_or_b64 exec, exec, s[2:3]
.LBB572_34:
	v_and_b32_e32 v40, 0xff, v27
	v_and_b32_e32 v41, 0xff, v28
	;; [unrolled: 1-line block ×5, first 2 shown]
	v_add3_u32 v2, v41, v42, v40
	v_and_b32_e32 v44, 0xff, v31
	v_and_b32_e32 v45, 0xff, v32
	v_add3_u32 v2, v2, v39, v43
	v_and_b32_e32 v46, 0xff, v33
	v_and_b32_e32 v47, 0xff, v34
	;; [unrolled: 3-line block ×3, first 2 shown]
	v_add3_u32 v2, v2, v46, v47
	v_and_b32_e32 v38, 0xff, v37
	v_cndmask_b32_e64 v1, 0, 1, s[38:39]
	v_add3_u32 v2, v2, v48, v49
	v_add3_u32 v52, v2, v38, v1
	v_mbcnt_lo_u32_b32 v1, -1, 0
	v_mbcnt_hi_u32_b32 v50, -1, v1
	v_and_b32_e32 v1, 15, v50
	v_cmp_eq_u32_e64 s[14:15], 0, v1
	v_cmp_lt_u32_e64 s[12:13], 1, v1
	v_cmp_lt_u32_e64 s[10:11], 3, v1
	;; [unrolled: 1-line block ×3, first 2 shown]
	v_and_b32_e32 v1, 16, v50
	v_cmp_eq_u32_e64 s[18:19], 0, v1
	v_or_b32_e32 v1, 63, v0
	s_cmp_lg_u32 s6, 0
	v_cmp_lt_u32_e64 s[2:3], 31, v50
	v_lshrrev_b32_e32 v51, 6, v0
	v_cmp_eq_u32_e64 s[4:5], v0, v1
	s_cbranch_scc0 .LBB572_56
; %bb.35:
	v_mov_b32_dpp v1, v52 row_shr:1 row_mask:0xf bank_mask:0xf
	v_cndmask_b32_e64 v1, v1, 0, s[14:15]
	v_add_u32_e32 v1, v1, v52
	s_nop 1
	v_mov_b32_dpp v2, v1 row_shr:2 row_mask:0xf bank_mask:0xf
	v_cndmask_b32_e64 v2, 0, v2, s[12:13]
	v_add_u32_e32 v1, v1, v2
	s_nop 1
	;; [unrolled: 4-line block ×4, first 2 shown]
	v_mov_b32_dpp v2, v1 row_bcast:15 row_mask:0xf bank_mask:0xf
	v_cndmask_b32_e64 v2, v2, 0, s[18:19]
	v_add_u32_e32 v1, v1, v2
	s_nop 1
	v_mov_b32_dpp v2, v1 row_bcast:31 row_mask:0xf bank_mask:0xf
	v_cndmask_b32_e64 v2, 0, v2, s[2:3]
	v_add_u32_e32 v1, v1, v2
	s_and_saveexec_b64 s[16:17], s[4:5]
; %bb.36:
	v_lshlrev_b32_e32 v2, 2, v51
	ds_write_b32 v2, v1
; %bb.37:
	s_or_b64 exec, exec, s[16:17]
	v_cmp_gt_u32_e32 vcc, 4, v0
	s_waitcnt lgkmcnt(0)
	s_barrier
	s_and_saveexec_b64 s[16:17], vcc
	s_cbranch_execz .LBB572_39
; %bb.38:
	ds_read_b32 v2, v23
	v_and_b32_e32 v15, 3, v50
	v_cmp_ne_u32_e32 vcc, 0, v15
	s_waitcnt lgkmcnt(0)
	v_mov_b32_dpp v16, v2 row_shr:1 row_mask:0xf bank_mask:0xf
	v_cndmask_b32_e32 v16, 0, v16, vcc
	v_add_u32_e32 v2, v16, v2
	v_cmp_lt_u32_e32 vcc, 1, v15
	s_nop 0
	v_mov_b32_dpp v16, v2 row_shr:2 row_mask:0xf bank_mask:0xf
	v_cndmask_b32_e32 v15, 0, v16, vcc
	v_add_u32_e32 v2, v2, v15
	ds_write_b32 v23, v2
.LBB572_39:
	s_or_b64 exec, exec, s[16:17]
	v_cmp_gt_u32_e32 vcc, 64, v0
	v_cmp_lt_u32_e64 s[16:17], 63, v0
	s_waitcnt lgkmcnt(0)
	s_barrier
                                        ; implicit-def: $vgpr53
	s_and_saveexec_b64 s[20:21], s[16:17]
	s_cbranch_execz .LBB572_41
; %bb.40:
	v_lshl_add_u32 v2, v51, 2, -4
	ds_read_b32 v53, v2
	s_waitcnt lgkmcnt(0)
	v_add_u32_e32 v1, v53, v1
.LBB572_41:
	s_or_b64 exec, exec, s[20:21]
	v_subrev_co_u32_e64 v2, s[16:17], 1, v50
	v_and_b32_e32 v15, 64, v50
	v_cmp_lt_i32_e64 s[20:21], v2, v15
	v_cndmask_b32_e64 v2, v2, v50, s[20:21]
	v_lshlrev_b32_e32 v2, 2, v2
	ds_bpermute_b32 v54, v2, v1
	s_and_saveexec_b64 s[20:21], vcc
	s_cbranch_execz .LBB572_61
; %bb.42:
	v_mov_b32_e32 v19, 0
	ds_read_b32 v1, v19 offset:12
	s_and_saveexec_b64 s[40:41], s[16:17]
	s_cbranch_execz .LBB572_44
; %bb.43:
	s_add_i32 s42, s6, 64
	s_mov_b32 s43, 0
	s_lshl_b64 s[42:43], s[42:43], 3
	s_add_u32 s42, s36, s42
	v_mov_b32_e32 v2, 1
	s_addc_u32 s43, s37, s43
	s_waitcnt lgkmcnt(0)
	global_store_dwordx2 v19, v[1:2], s[42:43]
.LBB572_44:
	s_or_b64 exec, exec, s[40:41]
	v_xad_u32 v15, v50, -1, s6
	v_add_u32_e32 v18, 64, v15
	v_lshlrev_b64 v[16:17], 3, v[18:19]
	v_mov_b32_e32 v2, s37
	v_add_co_u32_e32 v20, vcc, s36, v16
	v_addc_co_u32_e32 v21, vcc, v2, v17, vcc
	global_load_dwordx2 v[17:18], v[20:21], off glc
	s_waitcnt vmcnt(0)
	v_cmp_eq_u16_sdwa s[42:43], v18, v19 src0_sel:BYTE_0 src1_sel:DWORD
	s_and_saveexec_b64 s[40:41], s[42:43]
	s_cbranch_execz .LBB572_48
; %bb.45:
	s_mov_b64 s[42:43], 0
	v_mov_b32_e32 v2, 0
.LBB572_46:                             ; =>This Inner Loop Header: Depth=1
	global_load_dwordx2 v[17:18], v[20:21], off glc
	s_waitcnt vmcnt(0)
	v_cmp_ne_u16_sdwa s[46:47], v18, v2 src0_sel:BYTE_0 src1_sel:DWORD
	s_or_b64 s[42:43], s[46:47], s[42:43]
	s_andn2_b64 exec, exec, s[42:43]
	s_cbranch_execnz .LBB572_46
; %bb.47:
	s_or_b64 exec, exec, s[42:43]
.LBB572_48:
	s_or_b64 exec, exec, s[40:41]
	v_and_b32_e32 v56, 63, v50
	v_mov_b32_e32 v55, 2
	v_lshlrev_b64 v[19:20], v50, -1
	v_cmp_ne_u32_e32 vcc, 63, v56
	v_cmp_eq_u16_sdwa s[40:41], v18, v55 src0_sel:BYTE_0 src1_sel:DWORD
	v_addc_co_u32_e32 v21, vcc, 0, v50, vcc
	v_and_b32_e32 v2, s41, v20
	v_lshlrev_b32_e32 v57, 2, v21
	v_or_b32_e32 v2, 0x80000000, v2
	ds_bpermute_b32 v21, v57, v17
	v_and_b32_e32 v16, s40, v19
	v_ffbl_b32_e32 v2, v2
	v_add_u32_e32 v2, 32, v2
	v_ffbl_b32_e32 v16, v16
	v_min_u32_e32 v2, v16, v2
	v_cmp_lt_u32_e32 vcc, v56, v2
	s_waitcnt lgkmcnt(0)
	v_cndmask_b32_e32 v16, 0, v21, vcc
	v_cmp_gt_u32_e32 vcc, 62, v56
	v_add_u32_e32 v16, v16, v17
	v_cndmask_b32_e64 v17, 0, 2, vcc
	v_add_lshl_u32 v58, v17, v50, 2
	ds_bpermute_b32 v17, v58, v16
	v_add_u32_e32 v59, 2, v56
	v_cmp_le_u32_e32 vcc, v59, v2
	v_add_u32_e32 v61, 4, v56
	v_add_u32_e32 v63, 8, v56
	s_waitcnt lgkmcnt(0)
	v_cndmask_b32_e32 v17, 0, v17, vcc
	v_cmp_gt_u32_e32 vcc, 60, v56
	v_add_u32_e32 v16, v16, v17
	v_cndmask_b32_e64 v17, 0, 4, vcc
	v_add_lshl_u32 v60, v17, v50, 2
	ds_bpermute_b32 v17, v60, v16
	v_cmp_le_u32_e32 vcc, v61, v2
	v_add_u32_e32 v65, 16, v56
	v_add_u32_e32 v67, 32, v56
	s_waitcnt lgkmcnt(0)
	v_cndmask_b32_e32 v17, 0, v17, vcc
	v_cmp_gt_u32_e32 vcc, 56, v56
	v_add_u32_e32 v16, v16, v17
	v_cndmask_b32_e64 v17, 0, 8, vcc
	v_add_lshl_u32 v62, v17, v50, 2
	ds_bpermute_b32 v17, v62, v16
	v_cmp_le_u32_e32 vcc, v63, v2
	s_waitcnt lgkmcnt(0)
	v_cndmask_b32_e32 v17, 0, v17, vcc
	v_cmp_gt_u32_e32 vcc, 48, v56
	v_add_u32_e32 v16, v16, v17
	v_cndmask_b32_e64 v17, 0, 16, vcc
	v_add_lshl_u32 v64, v17, v50, 2
	ds_bpermute_b32 v17, v64, v16
	v_cmp_le_u32_e32 vcc, v65, v2
	s_waitcnt lgkmcnt(0)
	v_cndmask_b32_e32 v17, 0, v17, vcc
	v_add_u32_e32 v16, v16, v17
	v_mov_b32_e32 v17, 0x80
	v_lshl_or_b32 v66, v50, 2, v17
	ds_bpermute_b32 v17, v66, v16
	v_cmp_le_u32_e32 vcc, v67, v2
	s_waitcnt lgkmcnt(0)
	v_cndmask_b32_e32 v2, 0, v17, vcc
	v_add_u32_e32 v17, v16, v2
	v_mov_b32_e32 v16, 0
	s_branch .LBB572_52
.LBB572_49:                             ;   in Loop: Header=BB572_52 Depth=1
	s_or_b64 exec, exec, s[42:43]
.LBB572_50:                             ;   in Loop: Header=BB572_52 Depth=1
	s_or_b64 exec, exec, s[40:41]
	v_cmp_eq_u16_sdwa s[40:41], v18, v55 src0_sel:BYTE_0 src1_sel:DWORD
	v_and_b32_e32 v21, s41, v20
	v_or_b32_e32 v21, 0x80000000, v21
	ds_bpermute_b32 v68, v57, v17
	v_and_b32_e32 v22, s40, v19
	v_ffbl_b32_e32 v21, v21
	v_add_u32_e32 v21, 32, v21
	v_ffbl_b32_e32 v22, v22
	v_min_u32_e32 v21, v22, v21
	v_cmp_lt_u32_e32 vcc, v56, v21
	s_waitcnt lgkmcnt(0)
	v_cndmask_b32_e32 v22, 0, v68, vcc
	v_add_u32_e32 v17, v22, v17
	ds_bpermute_b32 v22, v58, v17
	v_cmp_le_u32_e32 vcc, v59, v21
	v_subrev_u32_e32 v15, 64, v15
	s_mov_b64 s[40:41], 0
	s_waitcnt lgkmcnt(0)
	v_cndmask_b32_e32 v22, 0, v22, vcc
	v_add_u32_e32 v17, v17, v22
	ds_bpermute_b32 v22, v60, v17
	v_cmp_le_u32_e32 vcc, v61, v21
	s_waitcnt lgkmcnt(0)
	v_cndmask_b32_e32 v22, 0, v22, vcc
	v_add_u32_e32 v17, v17, v22
	ds_bpermute_b32 v22, v62, v17
	v_cmp_le_u32_e32 vcc, v63, v21
	;; [unrolled: 5-line block ×4, first 2 shown]
	s_waitcnt lgkmcnt(0)
	v_cndmask_b32_e32 v21, 0, v22, vcc
	v_add3_u32 v17, v21, v2, v17
.LBB572_51:                             ;   in Loop: Header=BB572_52 Depth=1
	s_and_b64 vcc, exec, s[40:41]
	s_cbranch_vccnz .LBB572_57
.LBB572_52:                             ; =>This Loop Header: Depth=1
                                        ;     Child Loop BB572_55 Depth 2
	v_cmp_ne_u16_sdwa s[40:41], v18, v55 src0_sel:BYTE_0 src1_sel:DWORD
	v_mov_b32_e32 v2, v17
	s_cmp_lg_u64 s[40:41], exec
	s_mov_b64 s[40:41], -1
                                        ; implicit-def: $vgpr17
                                        ; implicit-def: $vgpr18
	s_cbranch_scc1 .LBB572_51
; %bb.53:                               ;   in Loop: Header=BB572_52 Depth=1
	v_lshlrev_b64 v[17:18], 3, v[15:16]
	v_mov_b32_e32 v22, s37
	v_add_co_u32_e32 v21, vcc, s36, v17
	v_addc_co_u32_e32 v22, vcc, v22, v18, vcc
	global_load_dwordx2 v[17:18], v[21:22], off glc
	s_waitcnt vmcnt(0)
	v_cmp_eq_u16_sdwa s[42:43], v18, v16 src0_sel:BYTE_0 src1_sel:DWORD
	s_and_saveexec_b64 s[40:41], s[42:43]
	s_cbranch_execz .LBB572_50
; %bb.54:                               ;   in Loop: Header=BB572_52 Depth=1
	s_mov_b64 s[42:43], 0
.LBB572_55:                             ;   Parent Loop BB572_52 Depth=1
                                        ; =>  This Inner Loop Header: Depth=2
	global_load_dwordx2 v[17:18], v[21:22], off glc
	s_waitcnt vmcnt(0)
	v_cmp_ne_u16_sdwa s[46:47], v18, v16 src0_sel:BYTE_0 src1_sel:DWORD
	s_or_b64 s[42:43], s[46:47], s[42:43]
	s_andn2_b64 exec, exec, s[42:43]
	s_cbranch_execnz .LBB572_55
	s_branch .LBB572_49
.LBB572_56:
                                        ; implicit-def: $vgpr2
                                        ; implicit-def: $vgpr15
	s_cbranch_execnz .LBB572_62
	s_branch .LBB572_71
.LBB572_57:
	s_and_saveexec_b64 s[40:41], s[16:17]
	s_cbranch_execz .LBB572_59
; %bb.58:
	s_add_i32 s6, s6, 64
	s_mov_b32 s7, 0
	s_lshl_b64 s[6:7], s[6:7], 3
	s_add_u32 s6, s36, s6
	v_add_u32_e32 v15, v2, v1
	v_mov_b32_e32 v16, 2
	s_addc_u32 s7, s37, s7
	v_mov_b32_e32 v17, 0
	global_store_dwordx2 v17, v[15:16], s[6:7]
	ds_write_b64 v17, v[1:2] offset:13312
.LBB572_59:
	s_or_b64 exec, exec, s[40:41]
	v_cmp_eq_u32_e32 vcc, 0, v0
	s_and_b64 exec, exec, vcc
; %bb.60:
	v_mov_b32_e32 v1, 0
	ds_write_b32 v1, v2 offset:12
.LBB572_61:
	s_or_b64 exec, exec, s[20:21]
	v_mov_b32_e32 v1, 0
	s_waitcnt vmcnt(0) lgkmcnt(0)
	s_barrier
	ds_read_b32 v16, v1 offset:12
	s_waitcnt lgkmcnt(0)
	s_barrier
	ds_read_b64 v[1:2], v1 offset:13312
	v_cndmask_b32_e64 v15, v54, v53, s[16:17]
	v_cmp_ne_u32_e32 vcc, 0, v0
	v_cndmask_b32_e32 v15, 0, v15, vcc
	v_add_u32_e32 v15, v16, v15
	s_branch .LBB572_71
.LBB572_62:
	s_waitcnt lgkmcnt(0)
	v_mov_b32_dpp v1, v52 row_shr:1 row_mask:0xf bank_mask:0xf
	v_cndmask_b32_e64 v1, v1, 0, s[14:15]
	v_add_u32_e32 v1, v1, v52
	s_nop 1
	v_mov_b32_dpp v2, v1 row_shr:2 row_mask:0xf bank_mask:0xf
	v_cndmask_b32_e64 v2, 0, v2, s[12:13]
	v_add_u32_e32 v1, v1, v2
	s_nop 1
	v_mov_b32_dpp v2, v1 row_shr:4 row_mask:0xf bank_mask:0xf
	v_cndmask_b32_e64 v2, 0, v2, s[10:11]
	v_add_u32_e32 v1, v1, v2
	s_nop 1
	v_mov_b32_dpp v2, v1 row_shr:8 row_mask:0xf bank_mask:0xf
	v_cndmask_b32_e64 v2, 0, v2, s[8:9]
	v_add_u32_e32 v1, v1, v2
	s_nop 1
	v_mov_b32_dpp v2, v1 row_bcast:15 row_mask:0xf bank_mask:0xf
	v_cndmask_b32_e64 v2, v2, 0, s[18:19]
	v_add_u32_e32 v1, v1, v2
	s_nop 1
	v_mov_b32_dpp v2, v1 row_bcast:31 row_mask:0xf bank_mask:0xf
	v_cndmask_b32_e64 v2, 0, v2, s[2:3]
	v_add_u32_e32 v1, v1, v2
	s_and_saveexec_b64 s[2:3], s[4:5]
; %bb.63:
	v_lshlrev_b32_e32 v2, 2, v51
	ds_write_b32 v2, v1
; %bb.64:
	s_or_b64 exec, exec, s[2:3]
	v_cmp_gt_u32_e32 vcc, 4, v0
	s_waitcnt lgkmcnt(0)
	s_barrier
	s_and_saveexec_b64 s[2:3], vcc
	s_cbranch_execz .LBB572_66
; %bb.65:
	ds_read_b32 v2, v23
	v_and_b32_e32 v15, 3, v50
	v_cmp_ne_u32_e32 vcc, 0, v15
	s_waitcnt lgkmcnt(0)
	v_mov_b32_dpp v16, v2 row_shr:1 row_mask:0xf bank_mask:0xf
	v_cndmask_b32_e32 v16, 0, v16, vcc
	v_add_u32_e32 v2, v16, v2
	v_cmp_lt_u32_e32 vcc, 1, v15
	s_nop 0
	v_mov_b32_dpp v16, v2 row_shr:2 row_mask:0xf bank_mask:0xf
	v_cndmask_b32_e32 v15, 0, v16, vcc
	v_add_u32_e32 v2, v2, v15
	ds_write_b32 v23, v2
.LBB572_66:
	s_or_b64 exec, exec, s[2:3]
	v_cmp_lt_u32_e32 vcc, 63, v0
	v_mov_b32_e32 v2, 0
	v_mov_b32_e32 v15, 0
	s_waitcnt lgkmcnt(0)
	s_barrier
	s_and_saveexec_b64 s[2:3], vcc
; %bb.67:
	v_lshl_add_u32 v15, v51, 2, -4
	ds_read_b32 v15, v15
; %bb.68:
	s_or_b64 exec, exec, s[2:3]
	v_subrev_co_u32_e32 v16, vcc, 1, v50
	v_and_b32_e32 v17, 64, v50
	v_cmp_lt_i32_e64 s[2:3], v16, v17
	v_cndmask_b32_e64 v16, v16, v50, s[2:3]
	s_waitcnt lgkmcnt(0)
	v_add_u32_e32 v1, v15, v1
	v_lshlrev_b32_e32 v16, 2, v16
	ds_bpermute_b32 v16, v16, v1
	ds_read_b32 v1, v2 offset:12
	v_cmp_eq_u32_e64 s[2:3], 0, v0
	s_and_saveexec_b64 s[4:5], s[2:3]
	s_cbranch_execz .LBB572_70
; %bb.69:
	v_mov_b32_e32 v17, 0
	v_mov_b32_e32 v2, 2
	s_waitcnt lgkmcnt(0)
	global_store_dwordx2 v17, v[1:2], s[36:37] offset:512
.LBB572_70:
	s_or_b64 exec, exec, s[4:5]
	s_waitcnt lgkmcnt(1)
	v_cndmask_b32_e32 v2, v16, v15, vcc
	v_cndmask_b32_e64 v15, v2, 0, s[2:3]
	s_waitcnt vmcnt(0) lgkmcnt(0)
	s_barrier
	v_mov_b32_e32 v2, 0
.LBB572_71:
	v_add_u32_e32 v16, v15, v39
	v_add_u32_e32 v17, v16, v40
	;; [unrolled: 1-line block ×4, first 2 shown]
	s_waitcnt lgkmcnt(0)
	v_add_u32_e32 v25, v1, v25
	v_sub_u32_e32 v15, v15, v2
	v_and_b32_e32 v26, 1, v26
	v_add_u32_e32 v20, v19, v43
	v_sub_u32_e32 v43, v25, v15
	v_cmp_eq_u32_e32 vcc, 1, v26
	v_cndmask_b32_e32 v15, v43, v15, vcc
	v_lshlrev_b32_e32 v15, 2, v15
	ds_write_b32 v15, v13
	v_sub_u32_e32 v13, v16, v2
	v_sub_u32_e32 v15, v25, v13
	v_and_b32_e32 v16, 1, v27
	v_add_u32_e32 v15, 1, v15
	v_cmp_eq_u32_e32 vcc, 1, v16
	v_cndmask_b32_e32 v13, v15, v13, vcc
	v_lshlrev_b32_e32 v13, 2, v13
	ds_write_b32 v13, v14
	v_sub_u32_e32 v13, v17, v2
	v_sub_u32_e32 v14, v25, v13
	v_and_b32_e32 v15, 1, v28
	v_add_u32_e32 v14, 2, v14
	;; [unrolled: 8-line block ×5, first 2 shown]
	v_cmp_eq_u32_e32 vcc, 1, v12
	v_cndmask_b32_e32 v9, v11, v9, vcc
	v_add_u32_e32 v21, v20, v44
	v_lshlrev_b32_e32 v9, 2, v9
	ds_write_b32 v9, v10
	v_sub_u32_e32 v9, v21, v2
	v_sub_u32_e32 v10, v25, v9
	v_and_b32_e32 v11, 1, v32
	v_add_u32_e32 v10, 6, v10
	v_cmp_eq_u32_e32 vcc, 1, v11
	v_cndmask_b32_e32 v9, v10, v9, vcc
	v_add_u32_e32 v22, v21, v45
	v_lshlrev_b32_e32 v9, 2, v9
	ds_write_b32 v9, v7
	v_sub_u32_e32 v7, v22, v2
	v_sub_u32_e32 v9, v25, v7
	v_and_b32_e32 v10, 1, v33
	v_add_u32_e32 v9, 7, v9
	;; [unrolled: 9-line block ×6, first 2 shown]
	v_cmp_eq_u32_e32 vcc, 1, v6
	v_cndmask_b32_e32 v3, v5, v3, vcc
	v_lshlrev_b32_e32 v3, 2, v3
	ds_write_b32 v3, v4
	v_sub_u32_e32 v3, v38, v2
	v_add_u32_e32 v3, v42, v3
	v_sub_u32_e32 v4, v25, v3
	v_add_u32_e32 v4, 12, v4
	v_cndmask_b32_e64 v3, v4, v3, s[38:39]
	v_lshlrev_b32_e32 v3, 2, v3
	ds_write_b32 v3, v24
	s_waitcnt lgkmcnt(0)
	s_barrier
	ds_read2st64_b32 v[13:14], v23 offset1:4
	ds_read2st64_b32 v[11:12], v23 offset0:8 offset1:12
	ds_read2st64_b32 v[9:10], v23 offset0:16 offset1:20
	;; [unrolled: 1-line block ×5, first 2 shown]
	ds_read_b32 v19, v23 offset:12288
	v_mov_b32_e32 v15, s35
	s_and_b64 vcc, exec, s[0:1]
	v_add_co_u32_e64 v17, s[0:1], s34, v2
	v_or_b32_e32 v33, 0x100, v0
	v_or_b32_e32 v31, 0x200, v0
	;; [unrolled: 1-line block ×12, first 2 shown]
	v_addc_co_u32_e64 v18, s[0:1], 0, v15, s[0:1]
	s_cbranch_vccnz .LBB572_125
; %bb.72:
	v_mov_b32_e32 v2, s31
	v_subrev_co_u32_e32 v15, vcc, s30, v17
	s_sub_u32 s0, s28, s44
	v_subb_co_u32_e32 v16, vcc, v18, v2, vcc
	s_subb_u32 s1, s29, 0
	v_mov_b32_e32 v2, s1
	v_add_co_u32_e32 v23, vcc, s0, v1
	v_addc_co_u32_e32 v32, vcc, 0, v2, vcc
	v_add_co_u32_e32 v2, vcc, v23, v15
	v_addc_co_u32_e32 v23, vcc, v32, v16, vcc
	v_cmp_ge_u32_e32 vcc, v0, v1
                                        ; implicit-def: $vgpr15_vgpr16
	s_and_saveexec_b64 s[0:1], vcc
	s_xor_b64 s[0:1], exec, s[0:1]
; %bb.73:
	v_not_b32_e32 v15, v0
	v_ashrrev_i32_e32 v16, 31, v15
	v_add_co_u32_e32 v15, vcc, v2, v15
	v_addc_co_u32_e32 v16, vcc, v23, v16, vcc
; %bb.74:
	s_andn2_saveexec_b64 s[0:1], s[0:1]
; %bb.75:
	v_add_co_u32_e32 v15, vcc, v17, v0
	v_addc_co_u32_e32 v16, vcc, 0, v18, vcc
; %bb.76:
	s_or_b64 exec, exec, s[0:1]
	v_lshlrev_b64 v[15:16], 2, v[15:16]
	v_mov_b32_e32 v32, s27
	v_add_co_u32_e32 v15, vcc, s26, v15
	v_addc_co_u32_e32 v16, vcc, v32, v16, vcc
	v_cmp_ge_u32_e32 vcc, v33, v1
	s_waitcnt lgkmcnt(6)
	global_store_dword v[15:16], v13, off
                                        ; implicit-def: $vgpr15_vgpr16
	s_and_saveexec_b64 s[0:1], vcc
	s_xor_b64 s[0:1], exec, s[0:1]
; %bb.77:
	v_xor_b32_e32 v15, 0xfffffeff, v0
	v_ashrrev_i32_e32 v16, 31, v15
	v_add_co_u32_e32 v15, vcc, v2, v15
	v_addc_co_u32_e32 v16, vcc, v23, v16, vcc
; %bb.78:
	s_andn2_saveexec_b64 s[0:1], s[0:1]
; %bb.79:
	v_add_co_u32_e32 v15, vcc, v17, v33
	v_addc_co_u32_e32 v16, vcc, 0, v18, vcc
; %bb.80:
	s_or_b64 exec, exec, s[0:1]
	v_lshlrev_b64 v[15:16], 2, v[15:16]
	v_mov_b32_e32 v32, s27
	v_add_co_u32_e32 v15, vcc, s26, v15
	v_addc_co_u32_e32 v16, vcc, v32, v16, vcc
	v_cmp_ge_u32_e32 vcc, v31, v1
	global_store_dword v[15:16], v14, off
                                        ; implicit-def: $vgpr15_vgpr16
	s_and_saveexec_b64 s[0:1], vcc
	s_xor_b64 s[0:1], exec, s[0:1]
; %bb.81:
	v_xor_b32_e32 v15, 0xfffffdff, v0
	v_ashrrev_i32_e32 v16, 31, v15
	v_add_co_u32_e32 v15, vcc, v2, v15
	v_addc_co_u32_e32 v16, vcc, v23, v16, vcc
; %bb.82:
	s_andn2_saveexec_b64 s[0:1], s[0:1]
; %bb.83:
	v_add_co_u32_e32 v15, vcc, v17, v31
	v_addc_co_u32_e32 v16, vcc, 0, v18, vcc
; %bb.84:
	s_or_b64 exec, exec, s[0:1]
	v_lshlrev_b64 v[15:16], 2, v[15:16]
	v_mov_b32_e32 v32, s27
	v_add_co_u32_e32 v15, vcc, s26, v15
	v_addc_co_u32_e32 v16, vcc, v32, v16, vcc
	v_cmp_ge_u32_e32 vcc, v30, v1
	s_waitcnt lgkmcnt(5)
	global_store_dword v[15:16], v11, off
                                        ; implicit-def: $vgpr15_vgpr16
	s_and_saveexec_b64 s[0:1], vcc
	s_xor_b64 s[0:1], exec, s[0:1]
; %bb.85:
	v_xor_b32_e32 v15, 0xfffffcff, v0
	v_ashrrev_i32_e32 v16, 31, v15
	v_add_co_u32_e32 v15, vcc, v2, v15
	v_addc_co_u32_e32 v16, vcc, v23, v16, vcc
; %bb.86:
	s_andn2_saveexec_b64 s[0:1], s[0:1]
; %bb.87:
	v_add_co_u32_e32 v15, vcc, v17, v30
	v_addc_co_u32_e32 v16, vcc, 0, v18, vcc
; %bb.88:
	s_or_b64 exec, exec, s[0:1]
	v_lshlrev_b64 v[15:16], 2, v[15:16]
	v_mov_b32_e32 v32, s27
	v_add_co_u32_e32 v15, vcc, s26, v15
	v_addc_co_u32_e32 v16, vcc, v32, v16, vcc
	v_cmp_ge_u32_e32 vcc, v29, v1
	global_store_dword v[15:16], v12, off
                                        ; implicit-def: $vgpr15_vgpr16
	s_and_saveexec_b64 s[0:1], vcc
	s_xor_b64 s[0:1], exec, s[0:1]
; %bb.89:
	v_xor_b32_e32 v15, 0xfffffbff, v0
	;; [unrolled: 43-line block ×6, first 2 shown]
	v_ashrrev_i32_e32 v16, 31, v15
	v_add_co_u32_e32 v15, vcc, v2, v15
	v_addc_co_u32_e32 v16, vcc, v23, v16, vcc
; %bb.122:
	s_andn2_saveexec_b64 s[0:1], s[0:1]
; %bb.123:
	v_add_co_u32_e32 v15, vcc, v17, v20
	v_addc_co_u32_e32 v16, vcc, 0, v18, vcc
; %bb.124:
	s_or_b64 exec, exec, s[0:1]
	s_mov_b64 s[0:1], -1
	s_branch .LBB572_205
.LBB572_125:
	s_mov_b64 s[0:1], 0
                                        ; implicit-def: $vgpr15_vgpr16
	s_cbranch_execz .LBB572_205
; %bb.126:
	s_add_u32 s2, s30, s44
	s_addc_u32 s3, s31, 0
	s_sub_u32 s2, s28, s2
	s_subb_u32 s3, s29, s3
	v_mov_b32_e32 v2, s3
	v_add_co_u32_e32 v15, vcc, s2, v1
	v_addc_co_u32_e32 v2, vcc, 0, v2, vcc
	v_add_co_u32_e32 v23, vcc, v15, v17
	v_addc_co_u32_e32 v32, vcc, v2, v18, vcc
	v_cmp_gt_u32_e32 vcc, s33, v0
	s_and_saveexec_b64 s[2:3], vcc
	s_cbranch_execz .LBB572_162
; %bb.127:
	v_cmp_ge_u32_e32 vcc, v0, v1
                                        ; implicit-def: $vgpr15_vgpr16
	s_and_saveexec_b64 s[4:5], vcc
	s_xor_b64 s[4:5], exec, s[4:5]
; %bb.128:
	v_not_b32_e32 v2, v0
	v_ashrrev_i32_e32 v16, 31, v2
	v_add_co_u32_e32 v15, vcc, v23, v2
	v_addc_co_u32_e32 v16, vcc, v32, v16, vcc
; %bb.129:
	s_andn2_saveexec_b64 s[4:5], s[4:5]
; %bb.130:
	v_add_co_u32_e32 v15, vcc, v17, v0
	v_addc_co_u32_e32 v16, vcc, 0, v18, vcc
; %bb.131:
	s_or_b64 exec, exec, s[4:5]
	v_lshlrev_b64 v[15:16], 2, v[15:16]
	v_mov_b32_e32 v2, s27
	v_add_co_u32_e32 v15, vcc, s26, v15
	v_addc_co_u32_e32 v16, vcc, v2, v16, vcc
	s_waitcnt lgkmcnt(6)
	global_store_dword v[15:16], v13, off
	s_or_b64 exec, exec, s[2:3]
	v_cmp_gt_u32_e32 vcc, s33, v33
	s_and_saveexec_b64 s[2:3], vcc
	s_cbranch_execnz .LBB572_163
.LBB572_132:
	s_or_b64 exec, exec, s[2:3]
	v_cmp_gt_u32_e32 vcc, s33, v31
	s_and_saveexec_b64 s[2:3], vcc
	s_cbranch_execz .LBB572_168
.LBB572_133:
	v_cmp_ge_u32_e32 vcc, v31, v1
                                        ; implicit-def: $vgpr13_vgpr14
	s_and_saveexec_b64 s[4:5], vcc
	s_xor_b64 s[4:5], exec, s[4:5]
	s_cbranch_execz .LBB572_135
; %bb.134:
	v_xor_b32_e32 v2, 0xfffffdff, v0
	s_waitcnt lgkmcnt(6)
	v_ashrrev_i32_e32 v14, 31, v2
	v_add_co_u32_e32 v13, vcc, v23, v2
	v_addc_co_u32_e32 v14, vcc, v32, v14, vcc
                                        ; implicit-def: $vgpr31
.LBB572_135:
	s_andn2_saveexec_b64 s[4:5], s[4:5]
	s_cbranch_execz .LBB572_137
; %bb.136:
	s_waitcnt lgkmcnt(6)
	v_add_co_u32_e32 v13, vcc, v17, v31
	v_addc_co_u32_e32 v14, vcc, 0, v18, vcc
.LBB572_137:
	s_or_b64 exec, exec, s[4:5]
	s_waitcnt lgkmcnt(6)
	v_lshlrev_b64 v[13:14], 2, v[13:14]
	v_mov_b32_e32 v2, s27
	v_add_co_u32_e32 v13, vcc, s26, v13
	v_addc_co_u32_e32 v14, vcc, v2, v14, vcc
	s_waitcnt lgkmcnt(5)
	global_store_dword v[13:14], v11, off
	s_or_b64 exec, exec, s[2:3]
	v_cmp_gt_u32_e32 vcc, s33, v30
	s_and_saveexec_b64 s[2:3], vcc
	s_cbranch_execnz .LBB572_169
.LBB572_138:
	s_or_b64 exec, exec, s[2:3]
	v_cmp_gt_u32_e32 vcc, s33, v29
	s_and_saveexec_b64 s[2:3], vcc
	s_cbranch_execz .LBB572_174
.LBB572_139:
	v_cmp_ge_u32_e32 vcc, v29, v1
                                        ; implicit-def: $vgpr11_vgpr12
	s_and_saveexec_b64 s[4:5], vcc
	s_xor_b64 s[4:5], exec, s[4:5]
	s_cbranch_execz .LBB572_141
; %bb.140:
	v_xor_b32_e32 v2, 0xfffffbff, v0
	s_waitcnt lgkmcnt(5)
	v_ashrrev_i32_e32 v12, 31, v2
	v_add_co_u32_e32 v11, vcc, v23, v2
	v_addc_co_u32_e32 v12, vcc, v32, v12, vcc
                                        ; implicit-def: $vgpr29
.LBB572_141:
	s_andn2_saveexec_b64 s[4:5], s[4:5]
	s_cbranch_execz .LBB572_143
; %bb.142:
	s_waitcnt lgkmcnt(5)
	v_add_co_u32_e32 v11, vcc, v17, v29
	v_addc_co_u32_e32 v12, vcc, 0, v18, vcc
.LBB572_143:
	s_or_b64 exec, exec, s[4:5]
	s_waitcnt lgkmcnt(5)
	v_lshlrev_b64 v[11:12], 2, v[11:12]
	v_mov_b32_e32 v2, s27
	v_add_co_u32_e32 v11, vcc, s26, v11
	v_addc_co_u32_e32 v12, vcc, v2, v12, vcc
	s_waitcnt lgkmcnt(4)
	global_store_dword v[11:12], v9, off
	s_or_b64 exec, exec, s[2:3]
	v_cmp_gt_u32_e32 vcc, s33, v28
	s_and_saveexec_b64 s[2:3], vcc
	s_cbranch_execnz .LBB572_175
.LBB572_144:
	s_or_b64 exec, exec, s[2:3]
	v_cmp_gt_u32_e32 vcc, s33, v27
	s_and_saveexec_b64 s[2:3], vcc
	s_cbranch_execz .LBB572_180
.LBB572_145:
	v_cmp_ge_u32_e32 vcc, v27, v1
                                        ; implicit-def: $vgpr9_vgpr10
	s_and_saveexec_b64 s[4:5], vcc
	s_xor_b64 s[4:5], exec, s[4:5]
	s_cbranch_execz .LBB572_147
; %bb.146:
	v_xor_b32_e32 v2, 0xfffff9ff, v0
	s_waitcnt lgkmcnt(4)
	v_ashrrev_i32_e32 v10, 31, v2
	v_add_co_u32_e32 v9, vcc, v23, v2
	v_addc_co_u32_e32 v10, vcc, v32, v10, vcc
                                        ; implicit-def: $vgpr27
.LBB572_147:
	s_andn2_saveexec_b64 s[4:5], s[4:5]
	s_cbranch_execz .LBB572_149
; %bb.148:
	s_waitcnt lgkmcnt(4)
	v_add_co_u32_e32 v9, vcc, v17, v27
	v_addc_co_u32_e32 v10, vcc, 0, v18, vcc
.LBB572_149:
	s_or_b64 exec, exec, s[4:5]
	s_waitcnt lgkmcnt(4)
	v_lshlrev_b64 v[9:10], 2, v[9:10]
	v_mov_b32_e32 v2, s27
	v_add_co_u32_e32 v9, vcc, s26, v9
	v_addc_co_u32_e32 v10, vcc, v2, v10, vcc
	s_waitcnt lgkmcnt(3)
	global_store_dword v[9:10], v7, off
	s_or_b64 exec, exec, s[2:3]
	v_cmp_gt_u32_e32 vcc, s33, v26
	s_and_saveexec_b64 s[2:3], vcc
	s_cbranch_execnz .LBB572_181
.LBB572_150:
	s_or_b64 exec, exec, s[2:3]
	v_cmp_gt_u32_e32 vcc, s33, v25
	s_and_saveexec_b64 s[2:3], vcc
	s_cbranch_execz .LBB572_186
.LBB572_151:
	v_cmp_ge_u32_e32 vcc, v25, v1
                                        ; implicit-def: $vgpr7_vgpr8
	s_and_saveexec_b64 s[4:5], vcc
	s_xor_b64 s[4:5], exec, s[4:5]
	s_cbranch_execz .LBB572_153
; %bb.152:
	v_xor_b32_e32 v2, 0xfffff7ff, v0
	s_waitcnt lgkmcnt(3)
	v_ashrrev_i32_e32 v8, 31, v2
	v_add_co_u32_e32 v7, vcc, v23, v2
	v_addc_co_u32_e32 v8, vcc, v32, v8, vcc
                                        ; implicit-def: $vgpr25
.LBB572_153:
	s_andn2_saveexec_b64 s[4:5], s[4:5]
	s_cbranch_execz .LBB572_155
; %bb.154:
	s_waitcnt lgkmcnt(3)
	v_add_co_u32_e32 v7, vcc, v17, v25
	v_addc_co_u32_e32 v8, vcc, 0, v18, vcc
.LBB572_155:
	s_or_b64 exec, exec, s[4:5]
	s_waitcnt lgkmcnt(3)
	v_lshlrev_b64 v[7:8], 2, v[7:8]
	v_mov_b32_e32 v2, s27
	v_add_co_u32_e32 v7, vcc, s26, v7
	v_addc_co_u32_e32 v8, vcc, v2, v8, vcc
	s_waitcnt lgkmcnt(2)
	global_store_dword v[7:8], v5, off
	s_or_b64 exec, exec, s[2:3]
	v_cmp_gt_u32_e32 vcc, s33, v24
	s_and_saveexec_b64 s[2:3], vcc
	s_cbranch_execnz .LBB572_187
.LBB572_156:
	s_or_b64 exec, exec, s[2:3]
	v_cmp_gt_u32_e32 vcc, s33, v22
	s_and_saveexec_b64 s[2:3], vcc
	s_cbranch_execz .LBB572_192
.LBB572_157:
	v_cmp_ge_u32_e32 vcc, v22, v1
                                        ; implicit-def: $vgpr5_vgpr6
	s_and_saveexec_b64 s[4:5], vcc
	s_xor_b64 s[4:5], exec, s[4:5]
	s_cbranch_execz .LBB572_159
; %bb.158:
	v_xor_b32_e32 v2, 0xfffff5ff, v0
	s_waitcnt lgkmcnt(2)
	v_ashrrev_i32_e32 v6, 31, v2
	v_add_co_u32_e32 v5, vcc, v23, v2
	v_addc_co_u32_e32 v6, vcc, v32, v6, vcc
                                        ; implicit-def: $vgpr22
.LBB572_159:
	s_andn2_saveexec_b64 s[4:5], s[4:5]
	s_cbranch_execz .LBB572_161
; %bb.160:
	s_waitcnt lgkmcnt(2)
	v_add_co_u32_e32 v5, vcc, v17, v22
	v_addc_co_u32_e32 v6, vcc, 0, v18, vcc
.LBB572_161:
	s_or_b64 exec, exec, s[4:5]
	s_waitcnt lgkmcnt(2)
	v_lshlrev_b64 v[5:6], 2, v[5:6]
	v_mov_b32_e32 v2, s27
	v_add_co_u32_e32 v5, vcc, s26, v5
	v_addc_co_u32_e32 v6, vcc, v2, v6, vcc
	s_waitcnt lgkmcnt(1)
	global_store_dword v[5:6], v3, off
	s_or_b64 exec, exec, s[2:3]
	v_cmp_gt_u32_e32 vcc, s33, v21
	s_and_saveexec_b64 s[2:3], vcc
	s_cbranch_execz .LBB572_198
	s_branch .LBB572_193
.LBB572_162:
	s_or_b64 exec, exec, s[2:3]
	v_cmp_gt_u32_e32 vcc, s33, v33
	s_and_saveexec_b64 s[2:3], vcc
	s_cbranch_execz .LBB572_132
.LBB572_163:
	v_cmp_ge_u32_e32 vcc, v33, v1
                                        ; implicit-def: $vgpr15_vgpr16
	s_and_saveexec_b64 s[4:5], vcc
	s_xor_b64 s[4:5], exec, s[4:5]
	s_cbranch_execz .LBB572_165
; %bb.164:
	v_xor_b32_e32 v2, 0xfffffeff, v0
	s_waitcnt lgkmcnt(6)
	v_ashrrev_i32_e32 v13, 31, v2
	v_add_co_u32_e32 v15, vcc, v23, v2
	v_addc_co_u32_e32 v16, vcc, v32, v13, vcc
                                        ; implicit-def: $vgpr33
.LBB572_165:
	s_andn2_saveexec_b64 s[4:5], s[4:5]
; %bb.166:
	v_add_co_u32_e32 v15, vcc, v17, v33
	v_addc_co_u32_e32 v16, vcc, 0, v18, vcc
; %bb.167:
	s_or_b64 exec, exec, s[4:5]
	v_lshlrev_b64 v[15:16], 2, v[15:16]
	v_mov_b32_e32 v2, s27
	v_add_co_u32_e32 v15, vcc, s26, v15
	v_addc_co_u32_e32 v16, vcc, v2, v16, vcc
	s_waitcnt lgkmcnt(6)
	global_store_dword v[15:16], v14, off
	s_or_b64 exec, exec, s[2:3]
	v_cmp_gt_u32_e32 vcc, s33, v31
	s_and_saveexec_b64 s[2:3], vcc
	s_cbranch_execnz .LBB572_133
.LBB572_168:
	s_or_b64 exec, exec, s[2:3]
	v_cmp_gt_u32_e32 vcc, s33, v30
	s_and_saveexec_b64 s[2:3], vcc
	s_cbranch_execz .LBB572_138
.LBB572_169:
	v_cmp_ge_u32_e32 vcc, v30, v1
                                        ; implicit-def: $vgpr13_vgpr14
	s_and_saveexec_b64 s[4:5], vcc
	s_xor_b64 s[4:5], exec, s[4:5]
	s_cbranch_execz .LBB572_171
; %bb.170:
	v_xor_b32_e32 v2, 0xfffffcff, v0
	s_waitcnt lgkmcnt(5)
	v_ashrrev_i32_e32 v11, 31, v2
	v_add_co_u32_e32 v13, vcc, v23, v2
	v_addc_co_u32_e32 v14, vcc, v32, v11, vcc
                                        ; implicit-def: $vgpr30
.LBB572_171:
	s_andn2_saveexec_b64 s[4:5], s[4:5]
	s_cbranch_execz .LBB572_173
; %bb.172:
	s_waitcnt lgkmcnt(6)
	v_add_co_u32_e32 v13, vcc, v17, v30
	v_addc_co_u32_e32 v14, vcc, 0, v18, vcc
.LBB572_173:
	s_or_b64 exec, exec, s[4:5]
	s_waitcnt lgkmcnt(6)
	v_lshlrev_b64 v[13:14], 2, v[13:14]
	v_mov_b32_e32 v2, s27
	v_add_co_u32_e32 v13, vcc, s26, v13
	v_addc_co_u32_e32 v14, vcc, v2, v14, vcc
	s_waitcnt lgkmcnt(5)
	global_store_dword v[13:14], v12, off
	s_or_b64 exec, exec, s[2:3]
	v_cmp_gt_u32_e32 vcc, s33, v29
	s_and_saveexec_b64 s[2:3], vcc
	s_cbranch_execnz .LBB572_139
.LBB572_174:
	s_or_b64 exec, exec, s[2:3]
	v_cmp_gt_u32_e32 vcc, s33, v28
	s_and_saveexec_b64 s[2:3], vcc
	s_cbranch_execz .LBB572_144
.LBB572_175:
	v_cmp_ge_u32_e32 vcc, v28, v1
                                        ; implicit-def: $vgpr11_vgpr12
	s_and_saveexec_b64 s[4:5], vcc
	s_xor_b64 s[4:5], exec, s[4:5]
	s_cbranch_execz .LBB572_177
; %bb.176:
	v_xor_b32_e32 v2, 0xfffffaff, v0
	s_waitcnt lgkmcnt(4)
	v_ashrrev_i32_e32 v9, 31, v2
	v_add_co_u32_e32 v11, vcc, v23, v2
	v_addc_co_u32_e32 v12, vcc, v32, v9, vcc
                                        ; implicit-def: $vgpr28
.LBB572_177:
	s_andn2_saveexec_b64 s[4:5], s[4:5]
	s_cbranch_execz .LBB572_179
; %bb.178:
	s_waitcnt lgkmcnt(5)
	v_add_co_u32_e32 v11, vcc, v17, v28
	v_addc_co_u32_e32 v12, vcc, 0, v18, vcc
.LBB572_179:
	s_or_b64 exec, exec, s[4:5]
	s_waitcnt lgkmcnt(5)
	v_lshlrev_b64 v[11:12], 2, v[11:12]
	v_mov_b32_e32 v2, s27
	v_add_co_u32_e32 v11, vcc, s26, v11
	v_addc_co_u32_e32 v12, vcc, v2, v12, vcc
	s_waitcnt lgkmcnt(4)
	global_store_dword v[11:12], v10, off
	s_or_b64 exec, exec, s[2:3]
	v_cmp_gt_u32_e32 vcc, s33, v27
	s_and_saveexec_b64 s[2:3], vcc
	s_cbranch_execnz .LBB572_145
.LBB572_180:
	s_or_b64 exec, exec, s[2:3]
	v_cmp_gt_u32_e32 vcc, s33, v26
	s_and_saveexec_b64 s[2:3], vcc
	s_cbranch_execz .LBB572_150
.LBB572_181:
	v_cmp_ge_u32_e32 vcc, v26, v1
                                        ; implicit-def: $vgpr9_vgpr10
	s_and_saveexec_b64 s[4:5], vcc
	s_xor_b64 s[4:5], exec, s[4:5]
	s_cbranch_execz .LBB572_183
; %bb.182:
	v_xor_b32_e32 v2, 0xfffff8ff, v0
	s_waitcnt lgkmcnt(3)
	v_ashrrev_i32_e32 v7, 31, v2
	v_add_co_u32_e32 v9, vcc, v23, v2
	v_addc_co_u32_e32 v10, vcc, v32, v7, vcc
                                        ; implicit-def: $vgpr26
.LBB572_183:
	s_andn2_saveexec_b64 s[4:5], s[4:5]
	s_cbranch_execz .LBB572_185
; %bb.184:
	s_waitcnt lgkmcnt(4)
	v_add_co_u32_e32 v9, vcc, v17, v26
	v_addc_co_u32_e32 v10, vcc, 0, v18, vcc
.LBB572_185:
	s_or_b64 exec, exec, s[4:5]
	s_waitcnt lgkmcnt(4)
	v_lshlrev_b64 v[9:10], 2, v[9:10]
	v_mov_b32_e32 v2, s27
	v_add_co_u32_e32 v9, vcc, s26, v9
	v_addc_co_u32_e32 v10, vcc, v2, v10, vcc
	s_waitcnt lgkmcnt(3)
	global_store_dword v[9:10], v8, off
	s_or_b64 exec, exec, s[2:3]
	v_cmp_gt_u32_e32 vcc, s33, v25
	s_and_saveexec_b64 s[2:3], vcc
	s_cbranch_execnz .LBB572_151
.LBB572_186:
	s_or_b64 exec, exec, s[2:3]
	v_cmp_gt_u32_e32 vcc, s33, v24
	s_and_saveexec_b64 s[2:3], vcc
	s_cbranch_execz .LBB572_156
.LBB572_187:
	v_cmp_ge_u32_e32 vcc, v24, v1
                                        ; implicit-def: $vgpr7_vgpr8
	s_and_saveexec_b64 s[4:5], vcc
	s_xor_b64 s[4:5], exec, s[4:5]
	s_cbranch_execz .LBB572_189
; %bb.188:
	v_xor_b32_e32 v2, 0xfffff6ff, v0
	s_waitcnt lgkmcnt(2)
	v_ashrrev_i32_e32 v5, 31, v2
	v_add_co_u32_e32 v7, vcc, v23, v2
	v_addc_co_u32_e32 v8, vcc, v32, v5, vcc
                                        ; implicit-def: $vgpr24
.LBB572_189:
	s_andn2_saveexec_b64 s[4:5], s[4:5]
	s_cbranch_execz .LBB572_191
; %bb.190:
	s_waitcnt lgkmcnt(3)
	v_add_co_u32_e32 v7, vcc, v17, v24
	v_addc_co_u32_e32 v8, vcc, 0, v18, vcc
.LBB572_191:
	s_or_b64 exec, exec, s[4:5]
	s_waitcnt lgkmcnt(3)
	v_lshlrev_b64 v[7:8], 2, v[7:8]
	v_mov_b32_e32 v2, s27
	v_add_co_u32_e32 v7, vcc, s26, v7
	v_addc_co_u32_e32 v8, vcc, v2, v8, vcc
	s_waitcnt lgkmcnt(2)
	global_store_dword v[7:8], v6, off
	s_or_b64 exec, exec, s[2:3]
	v_cmp_gt_u32_e32 vcc, s33, v22
	s_and_saveexec_b64 s[2:3], vcc
	s_cbranch_execnz .LBB572_157
.LBB572_192:
	s_or_b64 exec, exec, s[2:3]
	v_cmp_gt_u32_e32 vcc, s33, v21
	s_and_saveexec_b64 s[2:3], vcc
	s_cbranch_execz .LBB572_198
.LBB572_193:
	v_cmp_ge_u32_e32 vcc, v21, v1
                                        ; implicit-def: $vgpr2_vgpr3
	s_and_saveexec_b64 s[4:5], vcc
	s_xor_b64 s[4:5], exec, s[4:5]
	s_cbranch_execz .LBB572_195
; %bb.194:
	v_xor_b32_e32 v2, 0xfffff4ff, v0
	s_waitcnt lgkmcnt(1)
	v_ashrrev_i32_e32 v3, 31, v2
	v_add_co_u32_e32 v2, vcc, v23, v2
	v_addc_co_u32_e32 v3, vcc, v32, v3, vcc
                                        ; implicit-def: $vgpr21
.LBB572_195:
	s_andn2_saveexec_b64 s[4:5], s[4:5]
	s_cbranch_execz .LBB572_197
; %bb.196:
	v_add_co_u32_e32 v2, vcc, v17, v21
	s_waitcnt lgkmcnt(1)
	v_addc_co_u32_e32 v3, vcc, 0, v18, vcc
.LBB572_197:
	s_or_b64 exec, exec, s[4:5]
	s_waitcnt lgkmcnt(1)
	v_lshlrev_b64 v[2:3], 2, v[2:3]
	v_mov_b32_e32 v5, s27
	v_add_co_u32_e32 v2, vcc, s26, v2
	v_addc_co_u32_e32 v3, vcc, v5, v3, vcc
	global_store_dword v[2:3], v4, off
.LBB572_198:
	s_or_b64 exec, exec, s[2:3]
	v_cmp_gt_u32_e32 vcc, s33, v20
                                        ; implicit-def: $vgpr15_vgpr16
	s_and_saveexec_b64 s[2:3], vcc
	s_cbranch_execz .LBB572_204
; %bb.199:
	v_cmp_ge_u32_e32 vcc, v20, v1
                                        ; implicit-def: $vgpr15_vgpr16
	s_and_saveexec_b64 s[4:5], vcc
	s_xor_b64 s[4:5], exec, s[4:5]
	s_cbranch_execz .LBB572_201
; %bb.200:
	v_xor_b32_e32 v2, 0xfffff3ff, v0
	s_waitcnt lgkmcnt(1)
	v_ashrrev_i32_e32 v3, 31, v2
	v_add_co_u32_e32 v15, vcc, v23, v2
	v_addc_co_u32_e32 v16, vcc, v32, v3, vcc
                                        ; implicit-def: $vgpr20
.LBB572_201:
	s_andn2_saveexec_b64 s[4:5], s[4:5]
; %bb.202:
	v_add_co_u32_e32 v15, vcc, v17, v20
	v_addc_co_u32_e32 v16, vcc, 0, v18, vcc
; %bb.203:
	s_or_b64 exec, exec, s[4:5]
	s_or_b64 s[0:1], s[0:1], exec
.LBB572_204:
	s_or_b64 exec, exec, s[2:3]
.LBB572_205:
	s_and_saveexec_b64 s[2:3], s[0:1]
	s_cbranch_execz .LBB572_207
; %bb.206:
	s_waitcnt lgkmcnt(1)
	v_lshlrev_b64 v[2:3], 2, v[15:16]
	v_mov_b32_e32 v4, s27
	v_add_co_u32_e32 v2, vcc, s26, v2
	v_addc_co_u32_e32 v3, vcc, v4, v3, vcc
	s_waitcnt lgkmcnt(0)
	global_store_dword v[2:3], v19, off
.LBB572_207:
	s_or_b64 exec, exec, s[2:3]
	v_cmp_eq_u32_e32 vcc, 0, v0
	s_and_b64 s[0:1], vcc, s[22:23]
	s_and_saveexec_b64 s[2:3], s[0:1]
	s_cbranch_execz .LBB572_209
; %bb.208:
	v_add_co_u32_e32 v0, vcc, v17, v1
	v_mov_b32_e32 v2, 0
	v_addc_co_u32_e32 v1, vcc, 0, v18, vcc
	global_store_dwordx2 v2, v[0:1], s[24:25]
.LBB572_209:
	s_endpgm
	.section	.rodata,"a",@progbits
	.p2align	6, 0x0
	.amdhsa_kernel _ZN7rocprim17ROCPRIM_400000_NS6detail17trampoline_kernelINS0_13select_configILj256ELj13ELNS0_17block_load_methodE3ELS4_3ELS4_3ELNS0_20block_scan_algorithmE0ELj4294967295EEENS1_25partition_config_selectorILNS1_17partition_subalgoE3EjNS0_10empty_typeEbEEZZNS1_14partition_implILS8_3ELb0ES6_jNS0_17counting_iteratorIjlEEPS9_SE_NS0_5tupleIJPjSE_EEENSF_IJSE_SE_EEES9_SG_JZNS1_25segmented_radix_sort_implINS0_14default_configELb0EPKiPiPKlPlN2at6native12_GLOBAL__N_18offset_tEEE10hipError_tPvRmT1_PNSt15iterator_traitsISY_E10value_typeET2_T3_PNSZ_IS14_E10value_typeET4_jRbjT5_S1A_jjP12ihipStream_tbEUljE_EEESV_SW_SX_S14_S18_S1A_T6_T7_T9_mT8_S1C_bDpT10_ENKUlT_T0_E_clISt17integral_constantIbLb0EES1P_EEDaS1K_S1L_EUlS1K_E_NS1_11comp_targetILNS1_3genE2ELNS1_11target_archE906ELNS1_3gpuE6ELNS1_3repE0EEENS1_30default_config_static_selectorELNS0_4arch9wavefront6targetE1EEEvSY_
		.amdhsa_group_segment_fixed_size 13320
		.amdhsa_private_segment_fixed_size 0
		.amdhsa_kernarg_size 144
		.amdhsa_user_sgpr_count 6
		.amdhsa_user_sgpr_private_segment_buffer 1
		.amdhsa_user_sgpr_dispatch_ptr 0
		.amdhsa_user_sgpr_queue_ptr 0
		.amdhsa_user_sgpr_kernarg_segment_ptr 1
		.amdhsa_user_sgpr_dispatch_id 0
		.amdhsa_user_sgpr_flat_scratch_init 0
		.amdhsa_user_sgpr_private_segment_size 0
		.amdhsa_uses_dynamic_stack 0
		.amdhsa_system_sgpr_private_segment_wavefront_offset 0
		.amdhsa_system_sgpr_workgroup_id_x 1
		.amdhsa_system_sgpr_workgroup_id_y 0
		.amdhsa_system_sgpr_workgroup_id_z 0
		.amdhsa_system_sgpr_workgroup_info 0
		.amdhsa_system_vgpr_workitem_id 0
		.amdhsa_next_free_vgpr 69
		.amdhsa_next_free_sgpr 98
		.amdhsa_reserve_vcc 1
		.amdhsa_reserve_flat_scratch 0
		.amdhsa_float_round_mode_32 0
		.amdhsa_float_round_mode_16_64 0
		.amdhsa_float_denorm_mode_32 3
		.amdhsa_float_denorm_mode_16_64 3
		.amdhsa_dx10_clamp 1
		.amdhsa_ieee_mode 1
		.amdhsa_fp16_overflow 0
		.amdhsa_exception_fp_ieee_invalid_op 0
		.amdhsa_exception_fp_denorm_src 0
		.amdhsa_exception_fp_ieee_div_zero 0
		.amdhsa_exception_fp_ieee_overflow 0
		.amdhsa_exception_fp_ieee_underflow 0
		.amdhsa_exception_fp_ieee_inexact 0
		.amdhsa_exception_int_div_zero 0
	.end_amdhsa_kernel
	.section	.text._ZN7rocprim17ROCPRIM_400000_NS6detail17trampoline_kernelINS0_13select_configILj256ELj13ELNS0_17block_load_methodE3ELS4_3ELS4_3ELNS0_20block_scan_algorithmE0ELj4294967295EEENS1_25partition_config_selectorILNS1_17partition_subalgoE3EjNS0_10empty_typeEbEEZZNS1_14partition_implILS8_3ELb0ES6_jNS0_17counting_iteratorIjlEEPS9_SE_NS0_5tupleIJPjSE_EEENSF_IJSE_SE_EEES9_SG_JZNS1_25segmented_radix_sort_implINS0_14default_configELb0EPKiPiPKlPlN2at6native12_GLOBAL__N_18offset_tEEE10hipError_tPvRmT1_PNSt15iterator_traitsISY_E10value_typeET2_T3_PNSZ_IS14_E10value_typeET4_jRbjT5_S1A_jjP12ihipStream_tbEUljE_EEESV_SW_SX_S14_S18_S1A_T6_T7_T9_mT8_S1C_bDpT10_ENKUlT_T0_E_clISt17integral_constantIbLb0EES1P_EEDaS1K_S1L_EUlS1K_E_NS1_11comp_targetILNS1_3genE2ELNS1_11target_archE906ELNS1_3gpuE6ELNS1_3repE0EEENS1_30default_config_static_selectorELNS0_4arch9wavefront6targetE1EEEvSY_,"axG",@progbits,_ZN7rocprim17ROCPRIM_400000_NS6detail17trampoline_kernelINS0_13select_configILj256ELj13ELNS0_17block_load_methodE3ELS4_3ELS4_3ELNS0_20block_scan_algorithmE0ELj4294967295EEENS1_25partition_config_selectorILNS1_17partition_subalgoE3EjNS0_10empty_typeEbEEZZNS1_14partition_implILS8_3ELb0ES6_jNS0_17counting_iteratorIjlEEPS9_SE_NS0_5tupleIJPjSE_EEENSF_IJSE_SE_EEES9_SG_JZNS1_25segmented_radix_sort_implINS0_14default_configELb0EPKiPiPKlPlN2at6native12_GLOBAL__N_18offset_tEEE10hipError_tPvRmT1_PNSt15iterator_traitsISY_E10value_typeET2_T3_PNSZ_IS14_E10value_typeET4_jRbjT5_S1A_jjP12ihipStream_tbEUljE_EEESV_SW_SX_S14_S18_S1A_T6_T7_T9_mT8_S1C_bDpT10_ENKUlT_T0_E_clISt17integral_constantIbLb0EES1P_EEDaS1K_S1L_EUlS1K_E_NS1_11comp_targetILNS1_3genE2ELNS1_11target_archE906ELNS1_3gpuE6ELNS1_3repE0EEENS1_30default_config_static_selectorELNS0_4arch9wavefront6targetE1EEEvSY_,comdat
.Lfunc_end572:
	.size	_ZN7rocprim17ROCPRIM_400000_NS6detail17trampoline_kernelINS0_13select_configILj256ELj13ELNS0_17block_load_methodE3ELS4_3ELS4_3ELNS0_20block_scan_algorithmE0ELj4294967295EEENS1_25partition_config_selectorILNS1_17partition_subalgoE3EjNS0_10empty_typeEbEEZZNS1_14partition_implILS8_3ELb0ES6_jNS0_17counting_iteratorIjlEEPS9_SE_NS0_5tupleIJPjSE_EEENSF_IJSE_SE_EEES9_SG_JZNS1_25segmented_radix_sort_implINS0_14default_configELb0EPKiPiPKlPlN2at6native12_GLOBAL__N_18offset_tEEE10hipError_tPvRmT1_PNSt15iterator_traitsISY_E10value_typeET2_T3_PNSZ_IS14_E10value_typeET4_jRbjT5_S1A_jjP12ihipStream_tbEUljE_EEESV_SW_SX_S14_S18_S1A_T6_T7_T9_mT8_S1C_bDpT10_ENKUlT_T0_E_clISt17integral_constantIbLb0EES1P_EEDaS1K_S1L_EUlS1K_E_NS1_11comp_targetILNS1_3genE2ELNS1_11target_archE906ELNS1_3gpuE6ELNS1_3repE0EEENS1_30default_config_static_selectorELNS0_4arch9wavefront6targetE1EEEvSY_, .Lfunc_end572-_ZN7rocprim17ROCPRIM_400000_NS6detail17trampoline_kernelINS0_13select_configILj256ELj13ELNS0_17block_load_methodE3ELS4_3ELS4_3ELNS0_20block_scan_algorithmE0ELj4294967295EEENS1_25partition_config_selectorILNS1_17partition_subalgoE3EjNS0_10empty_typeEbEEZZNS1_14partition_implILS8_3ELb0ES6_jNS0_17counting_iteratorIjlEEPS9_SE_NS0_5tupleIJPjSE_EEENSF_IJSE_SE_EEES9_SG_JZNS1_25segmented_radix_sort_implINS0_14default_configELb0EPKiPiPKlPlN2at6native12_GLOBAL__N_18offset_tEEE10hipError_tPvRmT1_PNSt15iterator_traitsISY_E10value_typeET2_T3_PNSZ_IS14_E10value_typeET4_jRbjT5_S1A_jjP12ihipStream_tbEUljE_EEESV_SW_SX_S14_S18_S1A_T6_T7_T9_mT8_S1C_bDpT10_ENKUlT_T0_E_clISt17integral_constantIbLb0EES1P_EEDaS1K_S1L_EUlS1K_E_NS1_11comp_targetILNS1_3genE2ELNS1_11target_archE906ELNS1_3gpuE6ELNS1_3repE0EEENS1_30default_config_static_selectorELNS0_4arch9wavefront6targetE1EEEvSY_
                                        ; -- End function
	.set _ZN7rocprim17ROCPRIM_400000_NS6detail17trampoline_kernelINS0_13select_configILj256ELj13ELNS0_17block_load_methodE3ELS4_3ELS4_3ELNS0_20block_scan_algorithmE0ELj4294967295EEENS1_25partition_config_selectorILNS1_17partition_subalgoE3EjNS0_10empty_typeEbEEZZNS1_14partition_implILS8_3ELb0ES6_jNS0_17counting_iteratorIjlEEPS9_SE_NS0_5tupleIJPjSE_EEENSF_IJSE_SE_EEES9_SG_JZNS1_25segmented_radix_sort_implINS0_14default_configELb0EPKiPiPKlPlN2at6native12_GLOBAL__N_18offset_tEEE10hipError_tPvRmT1_PNSt15iterator_traitsISY_E10value_typeET2_T3_PNSZ_IS14_E10value_typeET4_jRbjT5_S1A_jjP12ihipStream_tbEUljE_EEESV_SW_SX_S14_S18_S1A_T6_T7_T9_mT8_S1C_bDpT10_ENKUlT_T0_E_clISt17integral_constantIbLb0EES1P_EEDaS1K_S1L_EUlS1K_E_NS1_11comp_targetILNS1_3genE2ELNS1_11target_archE906ELNS1_3gpuE6ELNS1_3repE0EEENS1_30default_config_static_selectorELNS0_4arch9wavefront6targetE1EEEvSY_.num_vgpr, 69
	.set _ZN7rocprim17ROCPRIM_400000_NS6detail17trampoline_kernelINS0_13select_configILj256ELj13ELNS0_17block_load_methodE3ELS4_3ELS4_3ELNS0_20block_scan_algorithmE0ELj4294967295EEENS1_25partition_config_selectorILNS1_17partition_subalgoE3EjNS0_10empty_typeEbEEZZNS1_14partition_implILS8_3ELb0ES6_jNS0_17counting_iteratorIjlEEPS9_SE_NS0_5tupleIJPjSE_EEENSF_IJSE_SE_EEES9_SG_JZNS1_25segmented_radix_sort_implINS0_14default_configELb0EPKiPiPKlPlN2at6native12_GLOBAL__N_18offset_tEEE10hipError_tPvRmT1_PNSt15iterator_traitsISY_E10value_typeET2_T3_PNSZ_IS14_E10value_typeET4_jRbjT5_S1A_jjP12ihipStream_tbEUljE_EEESV_SW_SX_S14_S18_S1A_T6_T7_T9_mT8_S1C_bDpT10_ENKUlT_T0_E_clISt17integral_constantIbLb0EES1P_EEDaS1K_S1L_EUlS1K_E_NS1_11comp_targetILNS1_3genE2ELNS1_11target_archE906ELNS1_3gpuE6ELNS1_3repE0EEENS1_30default_config_static_selectorELNS0_4arch9wavefront6targetE1EEEvSY_.num_agpr, 0
	.set _ZN7rocprim17ROCPRIM_400000_NS6detail17trampoline_kernelINS0_13select_configILj256ELj13ELNS0_17block_load_methodE3ELS4_3ELS4_3ELNS0_20block_scan_algorithmE0ELj4294967295EEENS1_25partition_config_selectorILNS1_17partition_subalgoE3EjNS0_10empty_typeEbEEZZNS1_14partition_implILS8_3ELb0ES6_jNS0_17counting_iteratorIjlEEPS9_SE_NS0_5tupleIJPjSE_EEENSF_IJSE_SE_EEES9_SG_JZNS1_25segmented_radix_sort_implINS0_14default_configELb0EPKiPiPKlPlN2at6native12_GLOBAL__N_18offset_tEEE10hipError_tPvRmT1_PNSt15iterator_traitsISY_E10value_typeET2_T3_PNSZ_IS14_E10value_typeET4_jRbjT5_S1A_jjP12ihipStream_tbEUljE_EEESV_SW_SX_S14_S18_S1A_T6_T7_T9_mT8_S1C_bDpT10_ENKUlT_T0_E_clISt17integral_constantIbLb0EES1P_EEDaS1K_S1L_EUlS1K_E_NS1_11comp_targetILNS1_3genE2ELNS1_11target_archE906ELNS1_3gpuE6ELNS1_3repE0EEENS1_30default_config_static_selectorELNS0_4arch9wavefront6targetE1EEEvSY_.numbered_sgpr, 48
	.set _ZN7rocprim17ROCPRIM_400000_NS6detail17trampoline_kernelINS0_13select_configILj256ELj13ELNS0_17block_load_methodE3ELS4_3ELS4_3ELNS0_20block_scan_algorithmE0ELj4294967295EEENS1_25partition_config_selectorILNS1_17partition_subalgoE3EjNS0_10empty_typeEbEEZZNS1_14partition_implILS8_3ELb0ES6_jNS0_17counting_iteratorIjlEEPS9_SE_NS0_5tupleIJPjSE_EEENSF_IJSE_SE_EEES9_SG_JZNS1_25segmented_radix_sort_implINS0_14default_configELb0EPKiPiPKlPlN2at6native12_GLOBAL__N_18offset_tEEE10hipError_tPvRmT1_PNSt15iterator_traitsISY_E10value_typeET2_T3_PNSZ_IS14_E10value_typeET4_jRbjT5_S1A_jjP12ihipStream_tbEUljE_EEESV_SW_SX_S14_S18_S1A_T6_T7_T9_mT8_S1C_bDpT10_ENKUlT_T0_E_clISt17integral_constantIbLb0EES1P_EEDaS1K_S1L_EUlS1K_E_NS1_11comp_targetILNS1_3genE2ELNS1_11target_archE906ELNS1_3gpuE6ELNS1_3repE0EEENS1_30default_config_static_selectorELNS0_4arch9wavefront6targetE1EEEvSY_.num_named_barrier, 0
	.set _ZN7rocprim17ROCPRIM_400000_NS6detail17trampoline_kernelINS0_13select_configILj256ELj13ELNS0_17block_load_methodE3ELS4_3ELS4_3ELNS0_20block_scan_algorithmE0ELj4294967295EEENS1_25partition_config_selectorILNS1_17partition_subalgoE3EjNS0_10empty_typeEbEEZZNS1_14partition_implILS8_3ELb0ES6_jNS0_17counting_iteratorIjlEEPS9_SE_NS0_5tupleIJPjSE_EEENSF_IJSE_SE_EEES9_SG_JZNS1_25segmented_radix_sort_implINS0_14default_configELb0EPKiPiPKlPlN2at6native12_GLOBAL__N_18offset_tEEE10hipError_tPvRmT1_PNSt15iterator_traitsISY_E10value_typeET2_T3_PNSZ_IS14_E10value_typeET4_jRbjT5_S1A_jjP12ihipStream_tbEUljE_EEESV_SW_SX_S14_S18_S1A_T6_T7_T9_mT8_S1C_bDpT10_ENKUlT_T0_E_clISt17integral_constantIbLb0EES1P_EEDaS1K_S1L_EUlS1K_E_NS1_11comp_targetILNS1_3genE2ELNS1_11target_archE906ELNS1_3gpuE6ELNS1_3repE0EEENS1_30default_config_static_selectorELNS0_4arch9wavefront6targetE1EEEvSY_.private_seg_size, 0
	.set _ZN7rocprim17ROCPRIM_400000_NS6detail17trampoline_kernelINS0_13select_configILj256ELj13ELNS0_17block_load_methodE3ELS4_3ELS4_3ELNS0_20block_scan_algorithmE0ELj4294967295EEENS1_25partition_config_selectorILNS1_17partition_subalgoE3EjNS0_10empty_typeEbEEZZNS1_14partition_implILS8_3ELb0ES6_jNS0_17counting_iteratorIjlEEPS9_SE_NS0_5tupleIJPjSE_EEENSF_IJSE_SE_EEES9_SG_JZNS1_25segmented_radix_sort_implINS0_14default_configELb0EPKiPiPKlPlN2at6native12_GLOBAL__N_18offset_tEEE10hipError_tPvRmT1_PNSt15iterator_traitsISY_E10value_typeET2_T3_PNSZ_IS14_E10value_typeET4_jRbjT5_S1A_jjP12ihipStream_tbEUljE_EEESV_SW_SX_S14_S18_S1A_T6_T7_T9_mT8_S1C_bDpT10_ENKUlT_T0_E_clISt17integral_constantIbLb0EES1P_EEDaS1K_S1L_EUlS1K_E_NS1_11comp_targetILNS1_3genE2ELNS1_11target_archE906ELNS1_3gpuE6ELNS1_3repE0EEENS1_30default_config_static_selectorELNS0_4arch9wavefront6targetE1EEEvSY_.uses_vcc, 1
	.set _ZN7rocprim17ROCPRIM_400000_NS6detail17trampoline_kernelINS0_13select_configILj256ELj13ELNS0_17block_load_methodE3ELS4_3ELS4_3ELNS0_20block_scan_algorithmE0ELj4294967295EEENS1_25partition_config_selectorILNS1_17partition_subalgoE3EjNS0_10empty_typeEbEEZZNS1_14partition_implILS8_3ELb0ES6_jNS0_17counting_iteratorIjlEEPS9_SE_NS0_5tupleIJPjSE_EEENSF_IJSE_SE_EEES9_SG_JZNS1_25segmented_radix_sort_implINS0_14default_configELb0EPKiPiPKlPlN2at6native12_GLOBAL__N_18offset_tEEE10hipError_tPvRmT1_PNSt15iterator_traitsISY_E10value_typeET2_T3_PNSZ_IS14_E10value_typeET4_jRbjT5_S1A_jjP12ihipStream_tbEUljE_EEESV_SW_SX_S14_S18_S1A_T6_T7_T9_mT8_S1C_bDpT10_ENKUlT_T0_E_clISt17integral_constantIbLb0EES1P_EEDaS1K_S1L_EUlS1K_E_NS1_11comp_targetILNS1_3genE2ELNS1_11target_archE906ELNS1_3gpuE6ELNS1_3repE0EEENS1_30default_config_static_selectorELNS0_4arch9wavefront6targetE1EEEvSY_.uses_flat_scratch, 0
	.set _ZN7rocprim17ROCPRIM_400000_NS6detail17trampoline_kernelINS0_13select_configILj256ELj13ELNS0_17block_load_methodE3ELS4_3ELS4_3ELNS0_20block_scan_algorithmE0ELj4294967295EEENS1_25partition_config_selectorILNS1_17partition_subalgoE3EjNS0_10empty_typeEbEEZZNS1_14partition_implILS8_3ELb0ES6_jNS0_17counting_iteratorIjlEEPS9_SE_NS0_5tupleIJPjSE_EEENSF_IJSE_SE_EEES9_SG_JZNS1_25segmented_radix_sort_implINS0_14default_configELb0EPKiPiPKlPlN2at6native12_GLOBAL__N_18offset_tEEE10hipError_tPvRmT1_PNSt15iterator_traitsISY_E10value_typeET2_T3_PNSZ_IS14_E10value_typeET4_jRbjT5_S1A_jjP12ihipStream_tbEUljE_EEESV_SW_SX_S14_S18_S1A_T6_T7_T9_mT8_S1C_bDpT10_ENKUlT_T0_E_clISt17integral_constantIbLb0EES1P_EEDaS1K_S1L_EUlS1K_E_NS1_11comp_targetILNS1_3genE2ELNS1_11target_archE906ELNS1_3gpuE6ELNS1_3repE0EEENS1_30default_config_static_selectorELNS0_4arch9wavefront6targetE1EEEvSY_.has_dyn_sized_stack, 0
	.set _ZN7rocprim17ROCPRIM_400000_NS6detail17trampoline_kernelINS0_13select_configILj256ELj13ELNS0_17block_load_methodE3ELS4_3ELS4_3ELNS0_20block_scan_algorithmE0ELj4294967295EEENS1_25partition_config_selectorILNS1_17partition_subalgoE3EjNS0_10empty_typeEbEEZZNS1_14partition_implILS8_3ELb0ES6_jNS0_17counting_iteratorIjlEEPS9_SE_NS0_5tupleIJPjSE_EEENSF_IJSE_SE_EEES9_SG_JZNS1_25segmented_radix_sort_implINS0_14default_configELb0EPKiPiPKlPlN2at6native12_GLOBAL__N_18offset_tEEE10hipError_tPvRmT1_PNSt15iterator_traitsISY_E10value_typeET2_T3_PNSZ_IS14_E10value_typeET4_jRbjT5_S1A_jjP12ihipStream_tbEUljE_EEESV_SW_SX_S14_S18_S1A_T6_T7_T9_mT8_S1C_bDpT10_ENKUlT_T0_E_clISt17integral_constantIbLb0EES1P_EEDaS1K_S1L_EUlS1K_E_NS1_11comp_targetILNS1_3genE2ELNS1_11target_archE906ELNS1_3gpuE6ELNS1_3repE0EEENS1_30default_config_static_selectorELNS0_4arch9wavefront6targetE1EEEvSY_.has_recursion, 0
	.set _ZN7rocprim17ROCPRIM_400000_NS6detail17trampoline_kernelINS0_13select_configILj256ELj13ELNS0_17block_load_methodE3ELS4_3ELS4_3ELNS0_20block_scan_algorithmE0ELj4294967295EEENS1_25partition_config_selectorILNS1_17partition_subalgoE3EjNS0_10empty_typeEbEEZZNS1_14partition_implILS8_3ELb0ES6_jNS0_17counting_iteratorIjlEEPS9_SE_NS0_5tupleIJPjSE_EEENSF_IJSE_SE_EEES9_SG_JZNS1_25segmented_radix_sort_implINS0_14default_configELb0EPKiPiPKlPlN2at6native12_GLOBAL__N_18offset_tEEE10hipError_tPvRmT1_PNSt15iterator_traitsISY_E10value_typeET2_T3_PNSZ_IS14_E10value_typeET4_jRbjT5_S1A_jjP12ihipStream_tbEUljE_EEESV_SW_SX_S14_S18_S1A_T6_T7_T9_mT8_S1C_bDpT10_ENKUlT_T0_E_clISt17integral_constantIbLb0EES1P_EEDaS1K_S1L_EUlS1K_E_NS1_11comp_targetILNS1_3genE2ELNS1_11target_archE906ELNS1_3gpuE6ELNS1_3repE0EEENS1_30default_config_static_selectorELNS0_4arch9wavefront6targetE1EEEvSY_.has_indirect_call, 0
	.section	.AMDGPU.csdata,"",@progbits
; Kernel info:
; codeLenInByte = 7612
; TotalNumSgprs: 52
; NumVgprs: 69
; ScratchSize: 0
; MemoryBound: 0
; FloatMode: 240
; IeeeMode: 1
; LDSByteSize: 13320 bytes/workgroup (compile time only)
; SGPRBlocks: 12
; VGPRBlocks: 17
; NumSGPRsForWavesPerEU: 102
; NumVGPRsForWavesPerEU: 69
; Occupancy: 3
; WaveLimiterHint : 0
; COMPUTE_PGM_RSRC2:SCRATCH_EN: 0
; COMPUTE_PGM_RSRC2:USER_SGPR: 6
; COMPUTE_PGM_RSRC2:TRAP_HANDLER: 0
; COMPUTE_PGM_RSRC2:TGID_X_EN: 1
; COMPUTE_PGM_RSRC2:TGID_Y_EN: 0
; COMPUTE_PGM_RSRC2:TGID_Z_EN: 0
; COMPUTE_PGM_RSRC2:TIDIG_COMP_CNT: 0
	.section	.text._ZN7rocprim17ROCPRIM_400000_NS6detail17trampoline_kernelINS0_13select_configILj256ELj13ELNS0_17block_load_methodE3ELS4_3ELS4_3ELNS0_20block_scan_algorithmE0ELj4294967295EEENS1_25partition_config_selectorILNS1_17partition_subalgoE3EjNS0_10empty_typeEbEEZZNS1_14partition_implILS8_3ELb0ES6_jNS0_17counting_iteratorIjlEEPS9_SE_NS0_5tupleIJPjSE_EEENSF_IJSE_SE_EEES9_SG_JZNS1_25segmented_radix_sort_implINS0_14default_configELb0EPKiPiPKlPlN2at6native12_GLOBAL__N_18offset_tEEE10hipError_tPvRmT1_PNSt15iterator_traitsISY_E10value_typeET2_T3_PNSZ_IS14_E10value_typeET4_jRbjT5_S1A_jjP12ihipStream_tbEUljE_EEESV_SW_SX_S14_S18_S1A_T6_T7_T9_mT8_S1C_bDpT10_ENKUlT_T0_E_clISt17integral_constantIbLb0EES1P_EEDaS1K_S1L_EUlS1K_E_NS1_11comp_targetILNS1_3genE10ELNS1_11target_archE1200ELNS1_3gpuE4ELNS1_3repE0EEENS1_30default_config_static_selectorELNS0_4arch9wavefront6targetE1EEEvSY_,"axG",@progbits,_ZN7rocprim17ROCPRIM_400000_NS6detail17trampoline_kernelINS0_13select_configILj256ELj13ELNS0_17block_load_methodE3ELS4_3ELS4_3ELNS0_20block_scan_algorithmE0ELj4294967295EEENS1_25partition_config_selectorILNS1_17partition_subalgoE3EjNS0_10empty_typeEbEEZZNS1_14partition_implILS8_3ELb0ES6_jNS0_17counting_iteratorIjlEEPS9_SE_NS0_5tupleIJPjSE_EEENSF_IJSE_SE_EEES9_SG_JZNS1_25segmented_radix_sort_implINS0_14default_configELb0EPKiPiPKlPlN2at6native12_GLOBAL__N_18offset_tEEE10hipError_tPvRmT1_PNSt15iterator_traitsISY_E10value_typeET2_T3_PNSZ_IS14_E10value_typeET4_jRbjT5_S1A_jjP12ihipStream_tbEUljE_EEESV_SW_SX_S14_S18_S1A_T6_T7_T9_mT8_S1C_bDpT10_ENKUlT_T0_E_clISt17integral_constantIbLb0EES1P_EEDaS1K_S1L_EUlS1K_E_NS1_11comp_targetILNS1_3genE10ELNS1_11target_archE1200ELNS1_3gpuE4ELNS1_3repE0EEENS1_30default_config_static_selectorELNS0_4arch9wavefront6targetE1EEEvSY_,comdat
	.globl	_ZN7rocprim17ROCPRIM_400000_NS6detail17trampoline_kernelINS0_13select_configILj256ELj13ELNS0_17block_load_methodE3ELS4_3ELS4_3ELNS0_20block_scan_algorithmE0ELj4294967295EEENS1_25partition_config_selectorILNS1_17partition_subalgoE3EjNS0_10empty_typeEbEEZZNS1_14partition_implILS8_3ELb0ES6_jNS0_17counting_iteratorIjlEEPS9_SE_NS0_5tupleIJPjSE_EEENSF_IJSE_SE_EEES9_SG_JZNS1_25segmented_radix_sort_implINS0_14default_configELb0EPKiPiPKlPlN2at6native12_GLOBAL__N_18offset_tEEE10hipError_tPvRmT1_PNSt15iterator_traitsISY_E10value_typeET2_T3_PNSZ_IS14_E10value_typeET4_jRbjT5_S1A_jjP12ihipStream_tbEUljE_EEESV_SW_SX_S14_S18_S1A_T6_T7_T9_mT8_S1C_bDpT10_ENKUlT_T0_E_clISt17integral_constantIbLb0EES1P_EEDaS1K_S1L_EUlS1K_E_NS1_11comp_targetILNS1_3genE10ELNS1_11target_archE1200ELNS1_3gpuE4ELNS1_3repE0EEENS1_30default_config_static_selectorELNS0_4arch9wavefront6targetE1EEEvSY_ ; -- Begin function _ZN7rocprim17ROCPRIM_400000_NS6detail17trampoline_kernelINS0_13select_configILj256ELj13ELNS0_17block_load_methodE3ELS4_3ELS4_3ELNS0_20block_scan_algorithmE0ELj4294967295EEENS1_25partition_config_selectorILNS1_17partition_subalgoE3EjNS0_10empty_typeEbEEZZNS1_14partition_implILS8_3ELb0ES6_jNS0_17counting_iteratorIjlEEPS9_SE_NS0_5tupleIJPjSE_EEENSF_IJSE_SE_EEES9_SG_JZNS1_25segmented_radix_sort_implINS0_14default_configELb0EPKiPiPKlPlN2at6native12_GLOBAL__N_18offset_tEEE10hipError_tPvRmT1_PNSt15iterator_traitsISY_E10value_typeET2_T3_PNSZ_IS14_E10value_typeET4_jRbjT5_S1A_jjP12ihipStream_tbEUljE_EEESV_SW_SX_S14_S18_S1A_T6_T7_T9_mT8_S1C_bDpT10_ENKUlT_T0_E_clISt17integral_constantIbLb0EES1P_EEDaS1K_S1L_EUlS1K_E_NS1_11comp_targetILNS1_3genE10ELNS1_11target_archE1200ELNS1_3gpuE4ELNS1_3repE0EEENS1_30default_config_static_selectorELNS0_4arch9wavefront6targetE1EEEvSY_
	.p2align	8
	.type	_ZN7rocprim17ROCPRIM_400000_NS6detail17trampoline_kernelINS0_13select_configILj256ELj13ELNS0_17block_load_methodE3ELS4_3ELS4_3ELNS0_20block_scan_algorithmE0ELj4294967295EEENS1_25partition_config_selectorILNS1_17partition_subalgoE3EjNS0_10empty_typeEbEEZZNS1_14partition_implILS8_3ELb0ES6_jNS0_17counting_iteratorIjlEEPS9_SE_NS0_5tupleIJPjSE_EEENSF_IJSE_SE_EEES9_SG_JZNS1_25segmented_radix_sort_implINS0_14default_configELb0EPKiPiPKlPlN2at6native12_GLOBAL__N_18offset_tEEE10hipError_tPvRmT1_PNSt15iterator_traitsISY_E10value_typeET2_T3_PNSZ_IS14_E10value_typeET4_jRbjT5_S1A_jjP12ihipStream_tbEUljE_EEESV_SW_SX_S14_S18_S1A_T6_T7_T9_mT8_S1C_bDpT10_ENKUlT_T0_E_clISt17integral_constantIbLb0EES1P_EEDaS1K_S1L_EUlS1K_E_NS1_11comp_targetILNS1_3genE10ELNS1_11target_archE1200ELNS1_3gpuE4ELNS1_3repE0EEENS1_30default_config_static_selectorELNS0_4arch9wavefront6targetE1EEEvSY_,@function
_ZN7rocprim17ROCPRIM_400000_NS6detail17trampoline_kernelINS0_13select_configILj256ELj13ELNS0_17block_load_methodE3ELS4_3ELS4_3ELNS0_20block_scan_algorithmE0ELj4294967295EEENS1_25partition_config_selectorILNS1_17partition_subalgoE3EjNS0_10empty_typeEbEEZZNS1_14partition_implILS8_3ELb0ES6_jNS0_17counting_iteratorIjlEEPS9_SE_NS0_5tupleIJPjSE_EEENSF_IJSE_SE_EEES9_SG_JZNS1_25segmented_radix_sort_implINS0_14default_configELb0EPKiPiPKlPlN2at6native12_GLOBAL__N_18offset_tEEE10hipError_tPvRmT1_PNSt15iterator_traitsISY_E10value_typeET2_T3_PNSZ_IS14_E10value_typeET4_jRbjT5_S1A_jjP12ihipStream_tbEUljE_EEESV_SW_SX_S14_S18_S1A_T6_T7_T9_mT8_S1C_bDpT10_ENKUlT_T0_E_clISt17integral_constantIbLb0EES1P_EEDaS1K_S1L_EUlS1K_E_NS1_11comp_targetILNS1_3genE10ELNS1_11target_archE1200ELNS1_3gpuE4ELNS1_3repE0EEENS1_30default_config_static_selectorELNS0_4arch9wavefront6targetE1EEEvSY_: ; @_ZN7rocprim17ROCPRIM_400000_NS6detail17trampoline_kernelINS0_13select_configILj256ELj13ELNS0_17block_load_methodE3ELS4_3ELS4_3ELNS0_20block_scan_algorithmE0ELj4294967295EEENS1_25partition_config_selectorILNS1_17partition_subalgoE3EjNS0_10empty_typeEbEEZZNS1_14partition_implILS8_3ELb0ES6_jNS0_17counting_iteratorIjlEEPS9_SE_NS0_5tupleIJPjSE_EEENSF_IJSE_SE_EEES9_SG_JZNS1_25segmented_radix_sort_implINS0_14default_configELb0EPKiPiPKlPlN2at6native12_GLOBAL__N_18offset_tEEE10hipError_tPvRmT1_PNSt15iterator_traitsISY_E10value_typeET2_T3_PNSZ_IS14_E10value_typeET4_jRbjT5_S1A_jjP12ihipStream_tbEUljE_EEESV_SW_SX_S14_S18_S1A_T6_T7_T9_mT8_S1C_bDpT10_ENKUlT_T0_E_clISt17integral_constantIbLb0EES1P_EEDaS1K_S1L_EUlS1K_E_NS1_11comp_targetILNS1_3genE10ELNS1_11target_archE1200ELNS1_3gpuE4ELNS1_3repE0EEENS1_30default_config_static_selectorELNS0_4arch9wavefront6targetE1EEEvSY_
; %bb.0:
	.section	.rodata,"a",@progbits
	.p2align	6, 0x0
	.amdhsa_kernel _ZN7rocprim17ROCPRIM_400000_NS6detail17trampoline_kernelINS0_13select_configILj256ELj13ELNS0_17block_load_methodE3ELS4_3ELS4_3ELNS0_20block_scan_algorithmE0ELj4294967295EEENS1_25partition_config_selectorILNS1_17partition_subalgoE3EjNS0_10empty_typeEbEEZZNS1_14partition_implILS8_3ELb0ES6_jNS0_17counting_iteratorIjlEEPS9_SE_NS0_5tupleIJPjSE_EEENSF_IJSE_SE_EEES9_SG_JZNS1_25segmented_radix_sort_implINS0_14default_configELb0EPKiPiPKlPlN2at6native12_GLOBAL__N_18offset_tEEE10hipError_tPvRmT1_PNSt15iterator_traitsISY_E10value_typeET2_T3_PNSZ_IS14_E10value_typeET4_jRbjT5_S1A_jjP12ihipStream_tbEUljE_EEESV_SW_SX_S14_S18_S1A_T6_T7_T9_mT8_S1C_bDpT10_ENKUlT_T0_E_clISt17integral_constantIbLb0EES1P_EEDaS1K_S1L_EUlS1K_E_NS1_11comp_targetILNS1_3genE10ELNS1_11target_archE1200ELNS1_3gpuE4ELNS1_3repE0EEENS1_30default_config_static_selectorELNS0_4arch9wavefront6targetE1EEEvSY_
		.amdhsa_group_segment_fixed_size 0
		.amdhsa_private_segment_fixed_size 0
		.amdhsa_kernarg_size 144
		.amdhsa_user_sgpr_count 6
		.amdhsa_user_sgpr_private_segment_buffer 1
		.amdhsa_user_sgpr_dispatch_ptr 0
		.amdhsa_user_sgpr_queue_ptr 0
		.amdhsa_user_sgpr_kernarg_segment_ptr 1
		.amdhsa_user_sgpr_dispatch_id 0
		.amdhsa_user_sgpr_flat_scratch_init 0
		.amdhsa_user_sgpr_private_segment_size 0
		.amdhsa_uses_dynamic_stack 0
		.amdhsa_system_sgpr_private_segment_wavefront_offset 0
		.amdhsa_system_sgpr_workgroup_id_x 1
		.amdhsa_system_sgpr_workgroup_id_y 0
		.amdhsa_system_sgpr_workgroup_id_z 0
		.amdhsa_system_sgpr_workgroup_info 0
		.amdhsa_system_vgpr_workitem_id 0
		.amdhsa_next_free_vgpr 1
		.amdhsa_next_free_sgpr 0
		.amdhsa_reserve_vcc 0
		.amdhsa_reserve_flat_scratch 0
		.amdhsa_float_round_mode_32 0
		.amdhsa_float_round_mode_16_64 0
		.amdhsa_float_denorm_mode_32 3
		.amdhsa_float_denorm_mode_16_64 3
		.amdhsa_dx10_clamp 1
		.amdhsa_ieee_mode 1
		.amdhsa_fp16_overflow 0
		.amdhsa_exception_fp_ieee_invalid_op 0
		.amdhsa_exception_fp_denorm_src 0
		.amdhsa_exception_fp_ieee_div_zero 0
		.amdhsa_exception_fp_ieee_overflow 0
		.amdhsa_exception_fp_ieee_underflow 0
		.amdhsa_exception_fp_ieee_inexact 0
		.amdhsa_exception_int_div_zero 0
	.end_amdhsa_kernel
	.section	.text._ZN7rocprim17ROCPRIM_400000_NS6detail17trampoline_kernelINS0_13select_configILj256ELj13ELNS0_17block_load_methodE3ELS4_3ELS4_3ELNS0_20block_scan_algorithmE0ELj4294967295EEENS1_25partition_config_selectorILNS1_17partition_subalgoE3EjNS0_10empty_typeEbEEZZNS1_14partition_implILS8_3ELb0ES6_jNS0_17counting_iteratorIjlEEPS9_SE_NS0_5tupleIJPjSE_EEENSF_IJSE_SE_EEES9_SG_JZNS1_25segmented_radix_sort_implINS0_14default_configELb0EPKiPiPKlPlN2at6native12_GLOBAL__N_18offset_tEEE10hipError_tPvRmT1_PNSt15iterator_traitsISY_E10value_typeET2_T3_PNSZ_IS14_E10value_typeET4_jRbjT5_S1A_jjP12ihipStream_tbEUljE_EEESV_SW_SX_S14_S18_S1A_T6_T7_T9_mT8_S1C_bDpT10_ENKUlT_T0_E_clISt17integral_constantIbLb0EES1P_EEDaS1K_S1L_EUlS1K_E_NS1_11comp_targetILNS1_3genE10ELNS1_11target_archE1200ELNS1_3gpuE4ELNS1_3repE0EEENS1_30default_config_static_selectorELNS0_4arch9wavefront6targetE1EEEvSY_,"axG",@progbits,_ZN7rocprim17ROCPRIM_400000_NS6detail17trampoline_kernelINS0_13select_configILj256ELj13ELNS0_17block_load_methodE3ELS4_3ELS4_3ELNS0_20block_scan_algorithmE0ELj4294967295EEENS1_25partition_config_selectorILNS1_17partition_subalgoE3EjNS0_10empty_typeEbEEZZNS1_14partition_implILS8_3ELb0ES6_jNS0_17counting_iteratorIjlEEPS9_SE_NS0_5tupleIJPjSE_EEENSF_IJSE_SE_EEES9_SG_JZNS1_25segmented_radix_sort_implINS0_14default_configELb0EPKiPiPKlPlN2at6native12_GLOBAL__N_18offset_tEEE10hipError_tPvRmT1_PNSt15iterator_traitsISY_E10value_typeET2_T3_PNSZ_IS14_E10value_typeET4_jRbjT5_S1A_jjP12ihipStream_tbEUljE_EEESV_SW_SX_S14_S18_S1A_T6_T7_T9_mT8_S1C_bDpT10_ENKUlT_T0_E_clISt17integral_constantIbLb0EES1P_EEDaS1K_S1L_EUlS1K_E_NS1_11comp_targetILNS1_3genE10ELNS1_11target_archE1200ELNS1_3gpuE4ELNS1_3repE0EEENS1_30default_config_static_selectorELNS0_4arch9wavefront6targetE1EEEvSY_,comdat
.Lfunc_end573:
	.size	_ZN7rocprim17ROCPRIM_400000_NS6detail17trampoline_kernelINS0_13select_configILj256ELj13ELNS0_17block_load_methodE3ELS4_3ELS4_3ELNS0_20block_scan_algorithmE0ELj4294967295EEENS1_25partition_config_selectorILNS1_17partition_subalgoE3EjNS0_10empty_typeEbEEZZNS1_14partition_implILS8_3ELb0ES6_jNS0_17counting_iteratorIjlEEPS9_SE_NS0_5tupleIJPjSE_EEENSF_IJSE_SE_EEES9_SG_JZNS1_25segmented_radix_sort_implINS0_14default_configELb0EPKiPiPKlPlN2at6native12_GLOBAL__N_18offset_tEEE10hipError_tPvRmT1_PNSt15iterator_traitsISY_E10value_typeET2_T3_PNSZ_IS14_E10value_typeET4_jRbjT5_S1A_jjP12ihipStream_tbEUljE_EEESV_SW_SX_S14_S18_S1A_T6_T7_T9_mT8_S1C_bDpT10_ENKUlT_T0_E_clISt17integral_constantIbLb0EES1P_EEDaS1K_S1L_EUlS1K_E_NS1_11comp_targetILNS1_3genE10ELNS1_11target_archE1200ELNS1_3gpuE4ELNS1_3repE0EEENS1_30default_config_static_selectorELNS0_4arch9wavefront6targetE1EEEvSY_, .Lfunc_end573-_ZN7rocprim17ROCPRIM_400000_NS6detail17trampoline_kernelINS0_13select_configILj256ELj13ELNS0_17block_load_methodE3ELS4_3ELS4_3ELNS0_20block_scan_algorithmE0ELj4294967295EEENS1_25partition_config_selectorILNS1_17partition_subalgoE3EjNS0_10empty_typeEbEEZZNS1_14partition_implILS8_3ELb0ES6_jNS0_17counting_iteratorIjlEEPS9_SE_NS0_5tupleIJPjSE_EEENSF_IJSE_SE_EEES9_SG_JZNS1_25segmented_radix_sort_implINS0_14default_configELb0EPKiPiPKlPlN2at6native12_GLOBAL__N_18offset_tEEE10hipError_tPvRmT1_PNSt15iterator_traitsISY_E10value_typeET2_T3_PNSZ_IS14_E10value_typeET4_jRbjT5_S1A_jjP12ihipStream_tbEUljE_EEESV_SW_SX_S14_S18_S1A_T6_T7_T9_mT8_S1C_bDpT10_ENKUlT_T0_E_clISt17integral_constantIbLb0EES1P_EEDaS1K_S1L_EUlS1K_E_NS1_11comp_targetILNS1_3genE10ELNS1_11target_archE1200ELNS1_3gpuE4ELNS1_3repE0EEENS1_30default_config_static_selectorELNS0_4arch9wavefront6targetE1EEEvSY_
                                        ; -- End function
	.set _ZN7rocprim17ROCPRIM_400000_NS6detail17trampoline_kernelINS0_13select_configILj256ELj13ELNS0_17block_load_methodE3ELS4_3ELS4_3ELNS0_20block_scan_algorithmE0ELj4294967295EEENS1_25partition_config_selectorILNS1_17partition_subalgoE3EjNS0_10empty_typeEbEEZZNS1_14partition_implILS8_3ELb0ES6_jNS0_17counting_iteratorIjlEEPS9_SE_NS0_5tupleIJPjSE_EEENSF_IJSE_SE_EEES9_SG_JZNS1_25segmented_radix_sort_implINS0_14default_configELb0EPKiPiPKlPlN2at6native12_GLOBAL__N_18offset_tEEE10hipError_tPvRmT1_PNSt15iterator_traitsISY_E10value_typeET2_T3_PNSZ_IS14_E10value_typeET4_jRbjT5_S1A_jjP12ihipStream_tbEUljE_EEESV_SW_SX_S14_S18_S1A_T6_T7_T9_mT8_S1C_bDpT10_ENKUlT_T0_E_clISt17integral_constantIbLb0EES1P_EEDaS1K_S1L_EUlS1K_E_NS1_11comp_targetILNS1_3genE10ELNS1_11target_archE1200ELNS1_3gpuE4ELNS1_3repE0EEENS1_30default_config_static_selectorELNS0_4arch9wavefront6targetE1EEEvSY_.num_vgpr, 0
	.set _ZN7rocprim17ROCPRIM_400000_NS6detail17trampoline_kernelINS0_13select_configILj256ELj13ELNS0_17block_load_methodE3ELS4_3ELS4_3ELNS0_20block_scan_algorithmE0ELj4294967295EEENS1_25partition_config_selectorILNS1_17partition_subalgoE3EjNS0_10empty_typeEbEEZZNS1_14partition_implILS8_3ELb0ES6_jNS0_17counting_iteratorIjlEEPS9_SE_NS0_5tupleIJPjSE_EEENSF_IJSE_SE_EEES9_SG_JZNS1_25segmented_radix_sort_implINS0_14default_configELb0EPKiPiPKlPlN2at6native12_GLOBAL__N_18offset_tEEE10hipError_tPvRmT1_PNSt15iterator_traitsISY_E10value_typeET2_T3_PNSZ_IS14_E10value_typeET4_jRbjT5_S1A_jjP12ihipStream_tbEUljE_EEESV_SW_SX_S14_S18_S1A_T6_T7_T9_mT8_S1C_bDpT10_ENKUlT_T0_E_clISt17integral_constantIbLb0EES1P_EEDaS1K_S1L_EUlS1K_E_NS1_11comp_targetILNS1_3genE10ELNS1_11target_archE1200ELNS1_3gpuE4ELNS1_3repE0EEENS1_30default_config_static_selectorELNS0_4arch9wavefront6targetE1EEEvSY_.num_agpr, 0
	.set _ZN7rocprim17ROCPRIM_400000_NS6detail17trampoline_kernelINS0_13select_configILj256ELj13ELNS0_17block_load_methodE3ELS4_3ELS4_3ELNS0_20block_scan_algorithmE0ELj4294967295EEENS1_25partition_config_selectorILNS1_17partition_subalgoE3EjNS0_10empty_typeEbEEZZNS1_14partition_implILS8_3ELb0ES6_jNS0_17counting_iteratorIjlEEPS9_SE_NS0_5tupleIJPjSE_EEENSF_IJSE_SE_EEES9_SG_JZNS1_25segmented_radix_sort_implINS0_14default_configELb0EPKiPiPKlPlN2at6native12_GLOBAL__N_18offset_tEEE10hipError_tPvRmT1_PNSt15iterator_traitsISY_E10value_typeET2_T3_PNSZ_IS14_E10value_typeET4_jRbjT5_S1A_jjP12ihipStream_tbEUljE_EEESV_SW_SX_S14_S18_S1A_T6_T7_T9_mT8_S1C_bDpT10_ENKUlT_T0_E_clISt17integral_constantIbLb0EES1P_EEDaS1K_S1L_EUlS1K_E_NS1_11comp_targetILNS1_3genE10ELNS1_11target_archE1200ELNS1_3gpuE4ELNS1_3repE0EEENS1_30default_config_static_selectorELNS0_4arch9wavefront6targetE1EEEvSY_.numbered_sgpr, 0
	.set _ZN7rocprim17ROCPRIM_400000_NS6detail17trampoline_kernelINS0_13select_configILj256ELj13ELNS0_17block_load_methodE3ELS4_3ELS4_3ELNS0_20block_scan_algorithmE0ELj4294967295EEENS1_25partition_config_selectorILNS1_17partition_subalgoE3EjNS0_10empty_typeEbEEZZNS1_14partition_implILS8_3ELb0ES6_jNS0_17counting_iteratorIjlEEPS9_SE_NS0_5tupleIJPjSE_EEENSF_IJSE_SE_EEES9_SG_JZNS1_25segmented_radix_sort_implINS0_14default_configELb0EPKiPiPKlPlN2at6native12_GLOBAL__N_18offset_tEEE10hipError_tPvRmT1_PNSt15iterator_traitsISY_E10value_typeET2_T3_PNSZ_IS14_E10value_typeET4_jRbjT5_S1A_jjP12ihipStream_tbEUljE_EEESV_SW_SX_S14_S18_S1A_T6_T7_T9_mT8_S1C_bDpT10_ENKUlT_T0_E_clISt17integral_constantIbLb0EES1P_EEDaS1K_S1L_EUlS1K_E_NS1_11comp_targetILNS1_3genE10ELNS1_11target_archE1200ELNS1_3gpuE4ELNS1_3repE0EEENS1_30default_config_static_selectorELNS0_4arch9wavefront6targetE1EEEvSY_.num_named_barrier, 0
	.set _ZN7rocprim17ROCPRIM_400000_NS6detail17trampoline_kernelINS0_13select_configILj256ELj13ELNS0_17block_load_methodE3ELS4_3ELS4_3ELNS0_20block_scan_algorithmE0ELj4294967295EEENS1_25partition_config_selectorILNS1_17partition_subalgoE3EjNS0_10empty_typeEbEEZZNS1_14partition_implILS8_3ELb0ES6_jNS0_17counting_iteratorIjlEEPS9_SE_NS0_5tupleIJPjSE_EEENSF_IJSE_SE_EEES9_SG_JZNS1_25segmented_radix_sort_implINS0_14default_configELb0EPKiPiPKlPlN2at6native12_GLOBAL__N_18offset_tEEE10hipError_tPvRmT1_PNSt15iterator_traitsISY_E10value_typeET2_T3_PNSZ_IS14_E10value_typeET4_jRbjT5_S1A_jjP12ihipStream_tbEUljE_EEESV_SW_SX_S14_S18_S1A_T6_T7_T9_mT8_S1C_bDpT10_ENKUlT_T0_E_clISt17integral_constantIbLb0EES1P_EEDaS1K_S1L_EUlS1K_E_NS1_11comp_targetILNS1_3genE10ELNS1_11target_archE1200ELNS1_3gpuE4ELNS1_3repE0EEENS1_30default_config_static_selectorELNS0_4arch9wavefront6targetE1EEEvSY_.private_seg_size, 0
	.set _ZN7rocprim17ROCPRIM_400000_NS6detail17trampoline_kernelINS0_13select_configILj256ELj13ELNS0_17block_load_methodE3ELS4_3ELS4_3ELNS0_20block_scan_algorithmE0ELj4294967295EEENS1_25partition_config_selectorILNS1_17partition_subalgoE3EjNS0_10empty_typeEbEEZZNS1_14partition_implILS8_3ELb0ES6_jNS0_17counting_iteratorIjlEEPS9_SE_NS0_5tupleIJPjSE_EEENSF_IJSE_SE_EEES9_SG_JZNS1_25segmented_radix_sort_implINS0_14default_configELb0EPKiPiPKlPlN2at6native12_GLOBAL__N_18offset_tEEE10hipError_tPvRmT1_PNSt15iterator_traitsISY_E10value_typeET2_T3_PNSZ_IS14_E10value_typeET4_jRbjT5_S1A_jjP12ihipStream_tbEUljE_EEESV_SW_SX_S14_S18_S1A_T6_T7_T9_mT8_S1C_bDpT10_ENKUlT_T0_E_clISt17integral_constantIbLb0EES1P_EEDaS1K_S1L_EUlS1K_E_NS1_11comp_targetILNS1_3genE10ELNS1_11target_archE1200ELNS1_3gpuE4ELNS1_3repE0EEENS1_30default_config_static_selectorELNS0_4arch9wavefront6targetE1EEEvSY_.uses_vcc, 0
	.set _ZN7rocprim17ROCPRIM_400000_NS6detail17trampoline_kernelINS0_13select_configILj256ELj13ELNS0_17block_load_methodE3ELS4_3ELS4_3ELNS0_20block_scan_algorithmE0ELj4294967295EEENS1_25partition_config_selectorILNS1_17partition_subalgoE3EjNS0_10empty_typeEbEEZZNS1_14partition_implILS8_3ELb0ES6_jNS0_17counting_iteratorIjlEEPS9_SE_NS0_5tupleIJPjSE_EEENSF_IJSE_SE_EEES9_SG_JZNS1_25segmented_radix_sort_implINS0_14default_configELb0EPKiPiPKlPlN2at6native12_GLOBAL__N_18offset_tEEE10hipError_tPvRmT1_PNSt15iterator_traitsISY_E10value_typeET2_T3_PNSZ_IS14_E10value_typeET4_jRbjT5_S1A_jjP12ihipStream_tbEUljE_EEESV_SW_SX_S14_S18_S1A_T6_T7_T9_mT8_S1C_bDpT10_ENKUlT_T0_E_clISt17integral_constantIbLb0EES1P_EEDaS1K_S1L_EUlS1K_E_NS1_11comp_targetILNS1_3genE10ELNS1_11target_archE1200ELNS1_3gpuE4ELNS1_3repE0EEENS1_30default_config_static_selectorELNS0_4arch9wavefront6targetE1EEEvSY_.uses_flat_scratch, 0
	.set _ZN7rocprim17ROCPRIM_400000_NS6detail17trampoline_kernelINS0_13select_configILj256ELj13ELNS0_17block_load_methodE3ELS4_3ELS4_3ELNS0_20block_scan_algorithmE0ELj4294967295EEENS1_25partition_config_selectorILNS1_17partition_subalgoE3EjNS0_10empty_typeEbEEZZNS1_14partition_implILS8_3ELb0ES6_jNS0_17counting_iteratorIjlEEPS9_SE_NS0_5tupleIJPjSE_EEENSF_IJSE_SE_EEES9_SG_JZNS1_25segmented_radix_sort_implINS0_14default_configELb0EPKiPiPKlPlN2at6native12_GLOBAL__N_18offset_tEEE10hipError_tPvRmT1_PNSt15iterator_traitsISY_E10value_typeET2_T3_PNSZ_IS14_E10value_typeET4_jRbjT5_S1A_jjP12ihipStream_tbEUljE_EEESV_SW_SX_S14_S18_S1A_T6_T7_T9_mT8_S1C_bDpT10_ENKUlT_T0_E_clISt17integral_constantIbLb0EES1P_EEDaS1K_S1L_EUlS1K_E_NS1_11comp_targetILNS1_3genE10ELNS1_11target_archE1200ELNS1_3gpuE4ELNS1_3repE0EEENS1_30default_config_static_selectorELNS0_4arch9wavefront6targetE1EEEvSY_.has_dyn_sized_stack, 0
	.set _ZN7rocprim17ROCPRIM_400000_NS6detail17trampoline_kernelINS0_13select_configILj256ELj13ELNS0_17block_load_methodE3ELS4_3ELS4_3ELNS0_20block_scan_algorithmE0ELj4294967295EEENS1_25partition_config_selectorILNS1_17partition_subalgoE3EjNS0_10empty_typeEbEEZZNS1_14partition_implILS8_3ELb0ES6_jNS0_17counting_iteratorIjlEEPS9_SE_NS0_5tupleIJPjSE_EEENSF_IJSE_SE_EEES9_SG_JZNS1_25segmented_radix_sort_implINS0_14default_configELb0EPKiPiPKlPlN2at6native12_GLOBAL__N_18offset_tEEE10hipError_tPvRmT1_PNSt15iterator_traitsISY_E10value_typeET2_T3_PNSZ_IS14_E10value_typeET4_jRbjT5_S1A_jjP12ihipStream_tbEUljE_EEESV_SW_SX_S14_S18_S1A_T6_T7_T9_mT8_S1C_bDpT10_ENKUlT_T0_E_clISt17integral_constantIbLb0EES1P_EEDaS1K_S1L_EUlS1K_E_NS1_11comp_targetILNS1_3genE10ELNS1_11target_archE1200ELNS1_3gpuE4ELNS1_3repE0EEENS1_30default_config_static_selectorELNS0_4arch9wavefront6targetE1EEEvSY_.has_recursion, 0
	.set _ZN7rocprim17ROCPRIM_400000_NS6detail17trampoline_kernelINS0_13select_configILj256ELj13ELNS0_17block_load_methodE3ELS4_3ELS4_3ELNS0_20block_scan_algorithmE0ELj4294967295EEENS1_25partition_config_selectorILNS1_17partition_subalgoE3EjNS0_10empty_typeEbEEZZNS1_14partition_implILS8_3ELb0ES6_jNS0_17counting_iteratorIjlEEPS9_SE_NS0_5tupleIJPjSE_EEENSF_IJSE_SE_EEES9_SG_JZNS1_25segmented_radix_sort_implINS0_14default_configELb0EPKiPiPKlPlN2at6native12_GLOBAL__N_18offset_tEEE10hipError_tPvRmT1_PNSt15iterator_traitsISY_E10value_typeET2_T3_PNSZ_IS14_E10value_typeET4_jRbjT5_S1A_jjP12ihipStream_tbEUljE_EEESV_SW_SX_S14_S18_S1A_T6_T7_T9_mT8_S1C_bDpT10_ENKUlT_T0_E_clISt17integral_constantIbLb0EES1P_EEDaS1K_S1L_EUlS1K_E_NS1_11comp_targetILNS1_3genE10ELNS1_11target_archE1200ELNS1_3gpuE4ELNS1_3repE0EEENS1_30default_config_static_selectorELNS0_4arch9wavefront6targetE1EEEvSY_.has_indirect_call, 0
	.section	.AMDGPU.csdata,"",@progbits
; Kernel info:
; codeLenInByte = 0
; TotalNumSgprs: 4
; NumVgprs: 0
; ScratchSize: 0
; MemoryBound: 0
; FloatMode: 240
; IeeeMode: 1
; LDSByteSize: 0 bytes/workgroup (compile time only)
; SGPRBlocks: 0
; VGPRBlocks: 0
; NumSGPRsForWavesPerEU: 4
; NumVGPRsForWavesPerEU: 1
; Occupancy: 10
; WaveLimiterHint : 0
; COMPUTE_PGM_RSRC2:SCRATCH_EN: 0
; COMPUTE_PGM_RSRC2:USER_SGPR: 6
; COMPUTE_PGM_RSRC2:TRAP_HANDLER: 0
; COMPUTE_PGM_RSRC2:TGID_X_EN: 1
; COMPUTE_PGM_RSRC2:TGID_Y_EN: 0
; COMPUTE_PGM_RSRC2:TGID_Z_EN: 0
; COMPUTE_PGM_RSRC2:TIDIG_COMP_CNT: 0
	.section	.text._ZN7rocprim17ROCPRIM_400000_NS6detail17trampoline_kernelINS0_13select_configILj256ELj13ELNS0_17block_load_methodE3ELS4_3ELS4_3ELNS0_20block_scan_algorithmE0ELj4294967295EEENS1_25partition_config_selectorILNS1_17partition_subalgoE3EjNS0_10empty_typeEbEEZZNS1_14partition_implILS8_3ELb0ES6_jNS0_17counting_iteratorIjlEEPS9_SE_NS0_5tupleIJPjSE_EEENSF_IJSE_SE_EEES9_SG_JZNS1_25segmented_radix_sort_implINS0_14default_configELb0EPKiPiPKlPlN2at6native12_GLOBAL__N_18offset_tEEE10hipError_tPvRmT1_PNSt15iterator_traitsISY_E10value_typeET2_T3_PNSZ_IS14_E10value_typeET4_jRbjT5_S1A_jjP12ihipStream_tbEUljE_EEESV_SW_SX_S14_S18_S1A_T6_T7_T9_mT8_S1C_bDpT10_ENKUlT_T0_E_clISt17integral_constantIbLb0EES1P_EEDaS1K_S1L_EUlS1K_E_NS1_11comp_targetILNS1_3genE9ELNS1_11target_archE1100ELNS1_3gpuE3ELNS1_3repE0EEENS1_30default_config_static_selectorELNS0_4arch9wavefront6targetE1EEEvSY_,"axG",@progbits,_ZN7rocprim17ROCPRIM_400000_NS6detail17trampoline_kernelINS0_13select_configILj256ELj13ELNS0_17block_load_methodE3ELS4_3ELS4_3ELNS0_20block_scan_algorithmE0ELj4294967295EEENS1_25partition_config_selectorILNS1_17partition_subalgoE3EjNS0_10empty_typeEbEEZZNS1_14partition_implILS8_3ELb0ES6_jNS0_17counting_iteratorIjlEEPS9_SE_NS0_5tupleIJPjSE_EEENSF_IJSE_SE_EEES9_SG_JZNS1_25segmented_radix_sort_implINS0_14default_configELb0EPKiPiPKlPlN2at6native12_GLOBAL__N_18offset_tEEE10hipError_tPvRmT1_PNSt15iterator_traitsISY_E10value_typeET2_T3_PNSZ_IS14_E10value_typeET4_jRbjT5_S1A_jjP12ihipStream_tbEUljE_EEESV_SW_SX_S14_S18_S1A_T6_T7_T9_mT8_S1C_bDpT10_ENKUlT_T0_E_clISt17integral_constantIbLb0EES1P_EEDaS1K_S1L_EUlS1K_E_NS1_11comp_targetILNS1_3genE9ELNS1_11target_archE1100ELNS1_3gpuE3ELNS1_3repE0EEENS1_30default_config_static_selectorELNS0_4arch9wavefront6targetE1EEEvSY_,comdat
	.globl	_ZN7rocprim17ROCPRIM_400000_NS6detail17trampoline_kernelINS0_13select_configILj256ELj13ELNS0_17block_load_methodE3ELS4_3ELS4_3ELNS0_20block_scan_algorithmE0ELj4294967295EEENS1_25partition_config_selectorILNS1_17partition_subalgoE3EjNS0_10empty_typeEbEEZZNS1_14partition_implILS8_3ELb0ES6_jNS0_17counting_iteratorIjlEEPS9_SE_NS0_5tupleIJPjSE_EEENSF_IJSE_SE_EEES9_SG_JZNS1_25segmented_radix_sort_implINS0_14default_configELb0EPKiPiPKlPlN2at6native12_GLOBAL__N_18offset_tEEE10hipError_tPvRmT1_PNSt15iterator_traitsISY_E10value_typeET2_T3_PNSZ_IS14_E10value_typeET4_jRbjT5_S1A_jjP12ihipStream_tbEUljE_EEESV_SW_SX_S14_S18_S1A_T6_T7_T9_mT8_S1C_bDpT10_ENKUlT_T0_E_clISt17integral_constantIbLb0EES1P_EEDaS1K_S1L_EUlS1K_E_NS1_11comp_targetILNS1_3genE9ELNS1_11target_archE1100ELNS1_3gpuE3ELNS1_3repE0EEENS1_30default_config_static_selectorELNS0_4arch9wavefront6targetE1EEEvSY_ ; -- Begin function _ZN7rocprim17ROCPRIM_400000_NS6detail17trampoline_kernelINS0_13select_configILj256ELj13ELNS0_17block_load_methodE3ELS4_3ELS4_3ELNS0_20block_scan_algorithmE0ELj4294967295EEENS1_25partition_config_selectorILNS1_17partition_subalgoE3EjNS0_10empty_typeEbEEZZNS1_14partition_implILS8_3ELb0ES6_jNS0_17counting_iteratorIjlEEPS9_SE_NS0_5tupleIJPjSE_EEENSF_IJSE_SE_EEES9_SG_JZNS1_25segmented_radix_sort_implINS0_14default_configELb0EPKiPiPKlPlN2at6native12_GLOBAL__N_18offset_tEEE10hipError_tPvRmT1_PNSt15iterator_traitsISY_E10value_typeET2_T3_PNSZ_IS14_E10value_typeET4_jRbjT5_S1A_jjP12ihipStream_tbEUljE_EEESV_SW_SX_S14_S18_S1A_T6_T7_T9_mT8_S1C_bDpT10_ENKUlT_T0_E_clISt17integral_constantIbLb0EES1P_EEDaS1K_S1L_EUlS1K_E_NS1_11comp_targetILNS1_3genE9ELNS1_11target_archE1100ELNS1_3gpuE3ELNS1_3repE0EEENS1_30default_config_static_selectorELNS0_4arch9wavefront6targetE1EEEvSY_
	.p2align	8
	.type	_ZN7rocprim17ROCPRIM_400000_NS6detail17trampoline_kernelINS0_13select_configILj256ELj13ELNS0_17block_load_methodE3ELS4_3ELS4_3ELNS0_20block_scan_algorithmE0ELj4294967295EEENS1_25partition_config_selectorILNS1_17partition_subalgoE3EjNS0_10empty_typeEbEEZZNS1_14partition_implILS8_3ELb0ES6_jNS0_17counting_iteratorIjlEEPS9_SE_NS0_5tupleIJPjSE_EEENSF_IJSE_SE_EEES9_SG_JZNS1_25segmented_radix_sort_implINS0_14default_configELb0EPKiPiPKlPlN2at6native12_GLOBAL__N_18offset_tEEE10hipError_tPvRmT1_PNSt15iterator_traitsISY_E10value_typeET2_T3_PNSZ_IS14_E10value_typeET4_jRbjT5_S1A_jjP12ihipStream_tbEUljE_EEESV_SW_SX_S14_S18_S1A_T6_T7_T9_mT8_S1C_bDpT10_ENKUlT_T0_E_clISt17integral_constantIbLb0EES1P_EEDaS1K_S1L_EUlS1K_E_NS1_11comp_targetILNS1_3genE9ELNS1_11target_archE1100ELNS1_3gpuE3ELNS1_3repE0EEENS1_30default_config_static_selectorELNS0_4arch9wavefront6targetE1EEEvSY_,@function
_ZN7rocprim17ROCPRIM_400000_NS6detail17trampoline_kernelINS0_13select_configILj256ELj13ELNS0_17block_load_methodE3ELS4_3ELS4_3ELNS0_20block_scan_algorithmE0ELj4294967295EEENS1_25partition_config_selectorILNS1_17partition_subalgoE3EjNS0_10empty_typeEbEEZZNS1_14partition_implILS8_3ELb0ES6_jNS0_17counting_iteratorIjlEEPS9_SE_NS0_5tupleIJPjSE_EEENSF_IJSE_SE_EEES9_SG_JZNS1_25segmented_radix_sort_implINS0_14default_configELb0EPKiPiPKlPlN2at6native12_GLOBAL__N_18offset_tEEE10hipError_tPvRmT1_PNSt15iterator_traitsISY_E10value_typeET2_T3_PNSZ_IS14_E10value_typeET4_jRbjT5_S1A_jjP12ihipStream_tbEUljE_EEESV_SW_SX_S14_S18_S1A_T6_T7_T9_mT8_S1C_bDpT10_ENKUlT_T0_E_clISt17integral_constantIbLb0EES1P_EEDaS1K_S1L_EUlS1K_E_NS1_11comp_targetILNS1_3genE9ELNS1_11target_archE1100ELNS1_3gpuE3ELNS1_3repE0EEENS1_30default_config_static_selectorELNS0_4arch9wavefront6targetE1EEEvSY_: ; @_ZN7rocprim17ROCPRIM_400000_NS6detail17trampoline_kernelINS0_13select_configILj256ELj13ELNS0_17block_load_methodE3ELS4_3ELS4_3ELNS0_20block_scan_algorithmE0ELj4294967295EEENS1_25partition_config_selectorILNS1_17partition_subalgoE3EjNS0_10empty_typeEbEEZZNS1_14partition_implILS8_3ELb0ES6_jNS0_17counting_iteratorIjlEEPS9_SE_NS0_5tupleIJPjSE_EEENSF_IJSE_SE_EEES9_SG_JZNS1_25segmented_radix_sort_implINS0_14default_configELb0EPKiPiPKlPlN2at6native12_GLOBAL__N_18offset_tEEE10hipError_tPvRmT1_PNSt15iterator_traitsISY_E10value_typeET2_T3_PNSZ_IS14_E10value_typeET4_jRbjT5_S1A_jjP12ihipStream_tbEUljE_EEESV_SW_SX_S14_S18_S1A_T6_T7_T9_mT8_S1C_bDpT10_ENKUlT_T0_E_clISt17integral_constantIbLb0EES1P_EEDaS1K_S1L_EUlS1K_E_NS1_11comp_targetILNS1_3genE9ELNS1_11target_archE1100ELNS1_3gpuE3ELNS1_3repE0EEENS1_30default_config_static_selectorELNS0_4arch9wavefront6targetE1EEEvSY_
; %bb.0:
	.section	.rodata,"a",@progbits
	.p2align	6, 0x0
	.amdhsa_kernel _ZN7rocprim17ROCPRIM_400000_NS6detail17trampoline_kernelINS0_13select_configILj256ELj13ELNS0_17block_load_methodE3ELS4_3ELS4_3ELNS0_20block_scan_algorithmE0ELj4294967295EEENS1_25partition_config_selectorILNS1_17partition_subalgoE3EjNS0_10empty_typeEbEEZZNS1_14partition_implILS8_3ELb0ES6_jNS0_17counting_iteratorIjlEEPS9_SE_NS0_5tupleIJPjSE_EEENSF_IJSE_SE_EEES9_SG_JZNS1_25segmented_radix_sort_implINS0_14default_configELb0EPKiPiPKlPlN2at6native12_GLOBAL__N_18offset_tEEE10hipError_tPvRmT1_PNSt15iterator_traitsISY_E10value_typeET2_T3_PNSZ_IS14_E10value_typeET4_jRbjT5_S1A_jjP12ihipStream_tbEUljE_EEESV_SW_SX_S14_S18_S1A_T6_T7_T9_mT8_S1C_bDpT10_ENKUlT_T0_E_clISt17integral_constantIbLb0EES1P_EEDaS1K_S1L_EUlS1K_E_NS1_11comp_targetILNS1_3genE9ELNS1_11target_archE1100ELNS1_3gpuE3ELNS1_3repE0EEENS1_30default_config_static_selectorELNS0_4arch9wavefront6targetE1EEEvSY_
		.amdhsa_group_segment_fixed_size 0
		.amdhsa_private_segment_fixed_size 0
		.amdhsa_kernarg_size 144
		.amdhsa_user_sgpr_count 6
		.amdhsa_user_sgpr_private_segment_buffer 1
		.amdhsa_user_sgpr_dispatch_ptr 0
		.amdhsa_user_sgpr_queue_ptr 0
		.amdhsa_user_sgpr_kernarg_segment_ptr 1
		.amdhsa_user_sgpr_dispatch_id 0
		.amdhsa_user_sgpr_flat_scratch_init 0
		.amdhsa_user_sgpr_private_segment_size 0
		.amdhsa_uses_dynamic_stack 0
		.amdhsa_system_sgpr_private_segment_wavefront_offset 0
		.amdhsa_system_sgpr_workgroup_id_x 1
		.amdhsa_system_sgpr_workgroup_id_y 0
		.amdhsa_system_sgpr_workgroup_id_z 0
		.amdhsa_system_sgpr_workgroup_info 0
		.amdhsa_system_vgpr_workitem_id 0
		.amdhsa_next_free_vgpr 1
		.amdhsa_next_free_sgpr 0
		.amdhsa_reserve_vcc 0
		.amdhsa_reserve_flat_scratch 0
		.amdhsa_float_round_mode_32 0
		.amdhsa_float_round_mode_16_64 0
		.amdhsa_float_denorm_mode_32 3
		.amdhsa_float_denorm_mode_16_64 3
		.amdhsa_dx10_clamp 1
		.amdhsa_ieee_mode 1
		.amdhsa_fp16_overflow 0
		.amdhsa_exception_fp_ieee_invalid_op 0
		.amdhsa_exception_fp_denorm_src 0
		.amdhsa_exception_fp_ieee_div_zero 0
		.amdhsa_exception_fp_ieee_overflow 0
		.amdhsa_exception_fp_ieee_underflow 0
		.amdhsa_exception_fp_ieee_inexact 0
		.amdhsa_exception_int_div_zero 0
	.end_amdhsa_kernel
	.section	.text._ZN7rocprim17ROCPRIM_400000_NS6detail17trampoline_kernelINS0_13select_configILj256ELj13ELNS0_17block_load_methodE3ELS4_3ELS4_3ELNS0_20block_scan_algorithmE0ELj4294967295EEENS1_25partition_config_selectorILNS1_17partition_subalgoE3EjNS0_10empty_typeEbEEZZNS1_14partition_implILS8_3ELb0ES6_jNS0_17counting_iteratorIjlEEPS9_SE_NS0_5tupleIJPjSE_EEENSF_IJSE_SE_EEES9_SG_JZNS1_25segmented_radix_sort_implINS0_14default_configELb0EPKiPiPKlPlN2at6native12_GLOBAL__N_18offset_tEEE10hipError_tPvRmT1_PNSt15iterator_traitsISY_E10value_typeET2_T3_PNSZ_IS14_E10value_typeET4_jRbjT5_S1A_jjP12ihipStream_tbEUljE_EEESV_SW_SX_S14_S18_S1A_T6_T7_T9_mT8_S1C_bDpT10_ENKUlT_T0_E_clISt17integral_constantIbLb0EES1P_EEDaS1K_S1L_EUlS1K_E_NS1_11comp_targetILNS1_3genE9ELNS1_11target_archE1100ELNS1_3gpuE3ELNS1_3repE0EEENS1_30default_config_static_selectorELNS0_4arch9wavefront6targetE1EEEvSY_,"axG",@progbits,_ZN7rocprim17ROCPRIM_400000_NS6detail17trampoline_kernelINS0_13select_configILj256ELj13ELNS0_17block_load_methodE3ELS4_3ELS4_3ELNS0_20block_scan_algorithmE0ELj4294967295EEENS1_25partition_config_selectorILNS1_17partition_subalgoE3EjNS0_10empty_typeEbEEZZNS1_14partition_implILS8_3ELb0ES6_jNS0_17counting_iteratorIjlEEPS9_SE_NS0_5tupleIJPjSE_EEENSF_IJSE_SE_EEES9_SG_JZNS1_25segmented_radix_sort_implINS0_14default_configELb0EPKiPiPKlPlN2at6native12_GLOBAL__N_18offset_tEEE10hipError_tPvRmT1_PNSt15iterator_traitsISY_E10value_typeET2_T3_PNSZ_IS14_E10value_typeET4_jRbjT5_S1A_jjP12ihipStream_tbEUljE_EEESV_SW_SX_S14_S18_S1A_T6_T7_T9_mT8_S1C_bDpT10_ENKUlT_T0_E_clISt17integral_constantIbLb0EES1P_EEDaS1K_S1L_EUlS1K_E_NS1_11comp_targetILNS1_3genE9ELNS1_11target_archE1100ELNS1_3gpuE3ELNS1_3repE0EEENS1_30default_config_static_selectorELNS0_4arch9wavefront6targetE1EEEvSY_,comdat
.Lfunc_end574:
	.size	_ZN7rocprim17ROCPRIM_400000_NS6detail17trampoline_kernelINS0_13select_configILj256ELj13ELNS0_17block_load_methodE3ELS4_3ELS4_3ELNS0_20block_scan_algorithmE0ELj4294967295EEENS1_25partition_config_selectorILNS1_17partition_subalgoE3EjNS0_10empty_typeEbEEZZNS1_14partition_implILS8_3ELb0ES6_jNS0_17counting_iteratorIjlEEPS9_SE_NS0_5tupleIJPjSE_EEENSF_IJSE_SE_EEES9_SG_JZNS1_25segmented_radix_sort_implINS0_14default_configELb0EPKiPiPKlPlN2at6native12_GLOBAL__N_18offset_tEEE10hipError_tPvRmT1_PNSt15iterator_traitsISY_E10value_typeET2_T3_PNSZ_IS14_E10value_typeET4_jRbjT5_S1A_jjP12ihipStream_tbEUljE_EEESV_SW_SX_S14_S18_S1A_T6_T7_T9_mT8_S1C_bDpT10_ENKUlT_T0_E_clISt17integral_constantIbLb0EES1P_EEDaS1K_S1L_EUlS1K_E_NS1_11comp_targetILNS1_3genE9ELNS1_11target_archE1100ELNS1_3gpuE3ELNS1_3repE0EEENS1_30default_config_static_selectorELNS0_4arch9wavefront6targetE1EEEvSY_, .Lfunc_end574-_ZN7rocprim17ROCPRIM_400000_NS6detail17trampoline_kernelINS0_13select_configILj256ELj13ELNS0_17block_load_methodE3ELS4_3ELS4_3ELNS0_20block_scan_algorithmE0ELj4294967295EEENS1_25partition_config_selectorILNS1_17partition_subalgoE3EjNS0_10empty_typeEbEEZZNS1_14partition_implILS8_3ELb0ES6_jNS0_17counting_iteratorIjlEEPS9_SE_NS0_5tupleIJPjSE_EEENSF_IJSE_SE_EEES9_SG_JZNS1_25segmented_radix_sort_implINS0_14default_configELb0EPKiPiPKlPlN2at6native12_GLOBAL__N_18offset_tEEE10hipError_tPvRmT1_PNSt15iterator_traitsISY_E10value_typeET2_T3_PNSZ_IS14_E10value_typeET4_jRbjT5_S1A_jjP12ihipStream_tbEUljE_EEESV_SW_SX_S14_S18_S1A_T6_T7_T9_mT8_S1C_bDpT10_ENKUlT_T0_E_clISt17integral_constantIbLb0EES1P_EEDaS1K_S1L_EUlS1K_E_NS1_11comp_targetILNS1_3genE9ELNS1_11target_archE1100ELNS1_3gpuE3ELNS1_3repE0EEENS1_30default_config_static_selectorELNS0_4arch9wavefront6targetE1EEEvSY_
                                        ; -- End function
	.set _ZN7rocprim17ROCPRIM_400000_NS6detail17trampoline_kernelINS0_13select_configILj256ELj13ELNS0_17block_load_methodE3ELS4_3ELS4_3ELNS0_20block_scan_algorithmE0ELj4294967295EEENS1_25partition_config_selectorILNS1_17partition_subalgoE3EjNS0_10empty_typeEbEEZZNS1_14partition_implILS8_3ELb0ES6_jNS0_17counting_iteratorIjlEEPS9_SE_NS0_5tupleIJPjSE_EEENSF_IJSE_SE_EEES9_SG_JZNS1_25segmented_radix_sort_implINS0_14default_configELb0EPKiPiPKlPlN2at6native12_GLOBAL__N_18offset_tEEE10hipError_tPvRmT1_PNSt15iterator_traitsISY_E10value_typeET2_T3_PNSZ_IS14_E10value_typeET4_jRbjT5_S1A_jjP12ihipStream_tbEUljE_EEESV_SW_SX_S14_S18_S1A_T6_T7_T9_mT8_S1C_bDpT10_ENKUlT_T0_E_clISt17integral_constantIbLb0EES1P_EEDaS1K_S1L_EUlS1K_E_NS1_11comp_targetILNS1_3genE9ELNS1_11target_archE1100ELNS1_3gpuE3ELNS1_3repE0EEENS1_30default_config_static_selectorELNS0_4arch9wavefront6targetE1EEEvSY_.num_vgpr, 0
	.set _ZN7rocprim17ROCPRIM_400000_NS6detail17trampoline_kernelINS0_13select_configILj256ELj13ELNS0_17block_load_methodE3ELS4_3ELS4_3ELNS0_20block_scan_algorithmE0ELj4294967295EEENS1_25partition_config_selectorILNS1_17partition_subalgoE3EjNS0_10empty_typeEbEEZZNS1_14partition_implILS8_3ELb0ES6_jNS0_17counting_iteratorIjlEEPS9_SE_NS0_5tupleIJPjSE_EEENSF_IJSE_SE_EEES9_SG_JZNS1_25segmented_radix_sort_implINS0_14default_configELb0EPKiPiPKlPlN2at6native12_GLOBAL__N_18offset_tEEE10hipError_tPvRmT1_PNSt15iterator_traitsISY_E10value_typeET2_T3_PNSZ_IS14_E10value_typeET4_jRbjT5_S1A_jjP12ihipStream_tbEUljE_EEESV_SW_SX_S14_S18_S1A_T6_T7_T9_mT8_S1C_bDpT10_ENKUlT_T0_E_clISt17integral_constantIbLb0EES1P_EEDaS1K_S1L_EUlS1K_E_NS1_11comp_targetILNS1_3genE9ELNS1_11target_archE1100ELNS1_3gpuE3ELNS1_3repE0EEENS1_30default_config_static_selectorELNS0_4arch9wavefront6targetE1EEEvSY_.num_agpr, 0
	.set _ZN7rocprim17ROCPRIM_400000_NS6detail17trampoline_kernelINS0_13select_configILj256ELj13ELNS0_17block_load_methodE3ELS4_3ELS4_3ELNS0_20block_scan_algorithmE0ELj4294967295EEENS1_25partition_config_selectorILNS1_17partition_subalgoE3EjNS0_10empty_typeEbEEZZNS1_14partition_implILS8_3ELb0ES6_jNS0_17counting_iteratorIjlEEPS9_SE_NS0_5tupleIJPjSE_EEENSF_IJSE_SE_EEES9_SG_JZNS1_25segmented_radix_sort_implINS0_14default_configELb0EPKiPiPKlPlN2at6native12_GLOBAL__N_18offset_tEEE10hipError_tPvRmT1_PNSt15iterator_traitsISY_E10value_typeET2_T3_PNSZ_IS14_E10value_typeET4_jRbjT5_S1A_jjP12ihipStream_tbEUljE_EEESV_SW_SX_S14_S18_S1A_T6_T7_T9_mT8_S1C_bDpT10_ENKUlT_T0_E_clISt17integral_constantIbLb0EES1P_EEDaS1K_S1L_EUlS1K_E_NS1_11comp_targetILNS1_3genE9ELNS1_11target_archE1100ELNS1_3gpuE3ELNS1_3repE0EEENS1_30default_config_static_selectorELNS0_4arch9wavefront6targetE1EEEvSY_.numbered_sgpr, 0
	.set _ZN7rocprim17ROCPRIM_400000_NS6detail17trampoline_kernelINS0_13select_configILj256ELj13ELNS0_17block_load_methodE3ELS4_3ELS4_3ELNS0_20block_scan_algorithmE0ELj4294967295EEENS1_25partition_config_selectorILNS1_17partition_subalgoE3EjNS0_10empty_typeEbEEZZNS1_14partition_implILS8_3ELb0ES6_jNS0_17counting_iteratorIjlEEPS9_SE_NS0_5tupleIJPjSE_EEENSF_IJSE_SE_EEES9_SG_JZNS1_25segmented_radix_sort_implINS0_14default_configELb0EPKiPiPKlPlN2at6native12_GLOBAL__N_18offset_tEEE10hipError_tPvRmT1_PNSt15iterator_traitsISY_E10value_typeET2_T3_PNSZ_IS14_E10value_typeET4_jRbjT5_S1A_jjP12ihipStream_tbEUljE_EEESV_SW_SX_S14_S18_S1A_T6_T7_T9_mT8_S1C_bDpT10_ENKUlT_T0_E_clISt17integral_constantIbLb0EES1P_EEDaS1K_S1L_EUlS1K_E_NS1_11comp_targetILNS1_3genE9ELNS1_11target_archE1100ELNS1_3gpuE3ELNS1_3repE0EEENS1_30default_config_static_selectorELNS0_4arch9wavefront6targetE1EEEvSY_.num_named_barrier, 0
	.set _ZN7rocprim17ROCPRIM_400000_NS6detail17trampoline_kernelINS0_13select_configILj256ELj13ELNS0_17block_load_methodE3ELS4_3ELS4_3ELNS0_20block_scan_algorithmE0ELj4294967295EEENS1_25partition_config_selectorILNS1_17partition_subalgoE3EjNS0_10empty_typeEbEEZZNS1_14partition_implILS8_3ELb0ES6_jNS0_17counting_iteratorIjlEEPS9_SE_NS0_5tupleIJPjSE_EEENSF_IJSE_SE_EEES9_SG_JZNS1_25segmented_radix_sort_implINS0_14default_configELb0EPKiPiPKlPlN2at6native12_GLOBAL__N_18offset_tEEE10hipError_tPvRmT1_PNSt15iterator_traitsISY_E10value_typeET2_T3_PNSZ_IS14_E10value_typeET4_jRbjT5_S1A_jjP12ihipStream_tbEUljE_EEESV_SW_SX_S14_S18_S1A_T6_T7_T9_mT8_S1C_bDpT10_ENKUlT_T0_E_clISt17integral_constantIbLb0EES1P_EEDaS1K_S1L_EUlS1K_E_NS1_11comp_targetILNS1_3genE9ELNS1_11target_archE1100ELNS1_3gpuE3ELNS1_3repE0EEENS1_30default_config_static_selectorELNS0_4arch9wavefront6targetE1EEEvSY_.private_seg_size, 0
	.set _ZN7rocprim17ROCPRIM_400000_NS6detail17trampoline_kernelINS0_13select_configILj256ELj13ELNS0_17block_load_methodE3ELS4_3ELS4_3ELNS0_20block_scan_algorithmE0ELj4294967295EEENS1_25partition_config_selectorILNS1_17partition_subalgoE3EjNS0_10empty_typeEbEEZZNS1_14partition_implILS8_3ELb0ES6_jNS0_17counting_iteratorIjlEEPS9_SE_NS0_5tupleIJPjSE_EEENSF_IJSE_SE_EEES9_SG_JZNS1_25segmented_radix_sort_implINS0_14default_configELb0EPKiPiPKlPlN2at6native12_GLOBAL__N_18offset_tEEE10hipError_tPvRmT1_PNSt15iterator_traitsISY_E10value_typeET2_T3_PNSZ_IS14_E10value_typeET4_jRbjT5_S1A_jjP12ihipStream_tbEUljE_EEESV_SW_SX_S14_S18_S1A_T6_T7_T9_mT8_S1C_bDpT10_ENKUlT_T0_E_clISt17integral_constantIbLb0EES1P_EEDaS1K_S1L_EUlS1K_E_NS1_11comp_targetILNS1_3genE9ELNS1_11target_archE1100ELNS1_3gpuE3ELNS1_3repE0EEENS1_30default_config_static_selectorELNS0_4arch9wavefront6targetE1EEEvSY_.uses_vcc, 0
	.set _ZN7rocprim17ROCPRIM_400000_NS6detail17trampoline_kernelINS0_13select_configILj256ELj13ELNS0_17block_load_methodE3ELS4_3ELS4_3ELNS0_20block_scan_algorithmE0ELj4294967295EEENS1_25partition_config_selectorILNS1_17partition_subalgoE3EjNS0_10empty_typeEbEEZZNS1_14partition_implILS8_3ELb0ES6_jNS0_17counting_iteratorIjlEEPS9_SE_NS0_5tupleIJPjSE_EEENSF_IJSE_SE_EEES9_SG_JZNS1_25segmented_radix_sort_implINS0_14default_configELb0EPKiPiPKlPlN2at6native12_GLOBAL__N_18offset_tEEE10hipError_tPvRmT1_PNSt15iterator_traitsISY_E10value_typeET2_T3_PNSZ_IS14_E10value_typeET4_jRbjT5_S1A_jjP12ihipStream_tbEUljE_EEESV_SW_SX_S14_S18_S1A_T6_T7_T9_mT8_S1C_bDpT10_ENKUlT_T0_E_clISt17integral_constantIbLb0EES1P_EEDaS1K_S1L_EUlS1K_E_NS1_11comp_targetILNS1_3genE9ELNS1_11target_archE1100ELNS1_3gpuE3ELNS1_3repE0EEENS1_30default_config_static_selectorELNS0_4arch9wavefront6targetE1EEEvSY_.uses_flat_scratch, 0
	.set _ZN7rocprim17ROCPRIM_400000_NS6detail17trampoline_kernelINS0_13select_configILj256ELj13ELNS0_17block_load_methodE3ELS4_3ELS4_3ELNS0_20block_scan_algorithmE0ELj4294967295EEENS1_25partition_config_selectorILNS1_17partition_subalgoE3EjNS0_10empty_typeEbEEZZNS1_14partition_implILS8_3ELb0ES6_jNS0_17counting_iteratorIjlEEPS9_SE_NS0_5tupleIJPjSE_EEENSF_IJSE_SE_EEES9_SG_JZNS1_25segmented_radix_sort_implINS0_14default_configELb0EPKiPiPKlPlN2at6native12_GLOBAL__N_18offset_tEEE10hipError_tPvRmT1_PNSt15iterator_traitsISY_E10value_typeET2_T3_PNSZ_IS14_E10value_typeET4_jRbjT5_S1A_jjP12ihipStream_tbEUljE_EEESV_SW_SX_S14_S18_S1A_T6_T7_T9_mT8_S1C_bDpT10_ENKUlT_T0_E_clISt17integral_constantIbLb0EES1P_EEDaS1K_S1L_EUlS1K_E_NS1_11comp_targetILNS1_3genE9ELNS1_11target_archE1100ELNS1_3gpuE3ELNS1_3repE0EEENS1_30default_config_static_selectorELNS0_4arch9wavefront6targetE1EEEvSY_.has_dyn_sized_stack, 0
	.set _ZN7rocprim17ROCPRIM_400000_NS6detail17trampoline_kernelINS0_13select_configILj256ELj13ELNS0_17block_load_methodE3ELS4_3ELS4_3ELNS0_20block_scan_algorithmE0ELj4294967295EEENS1_25partition_config_selectorILNS1_17partition_subalgoE3EjNS0_10empty_typeEbEEZZNS1_14partition_implILS8_3ELb0ES6_jNS0_17counting_iteratorIjlEEPS9_SE_NS0_5tupleIJPjSE_EEENSF_IJSE_SE_EEES9_SG_JZNS1_25segmented_radix_sort_implINS0_14default_configELb0EPKiPiPKlPlN2at6native12_GLOBAL__N_18offset_tEEE10hipError_tPvRmT1_PNSt15iterator_traitsISY_E10value_typeET2_T3_PNSZ_IS14_E10value_typeET4_jRbjT5_S1A_jjP12ihipStream_tbEUljE_EEESV_SW_SX_S14_S18_S1A_T6_T7_T9_mT8_S1C_bDpT10_ENKUlT_T0_E_clISt17integral_constantIbLb0EES1P_EEDaS1K_S1L_EUlS1K_E_NS1_11comp_targetILNS1_3genE9ELNS1_11target_archE1100ELNS1_3gpuE3ELNS1_3repE0EEENS1_30default_config_static_selectorELNS0_4arch9wavefront6targetE1EEEvSY_.has_recursion, 0
	.set _ZN7rocprim17ROCPRIM_400000_NS6detail17trampoline_kernelINS0_13select_configILj256ELj13ELNS0_17block_load_methodE3ELS4_3ELS4_3ELNS0_20block_scan_algorithmE0ELj4294967295EEENS1_25partition_config_selectorILNS1_17partition_subalgoE3EjNS0_10empty_typeEbEEZZNS1_14partition_implILS8_3ELb0ES6_jNS0_17counting_iteratorIjlEEPS9_SE_NS0_5tupleIJPjSE_EEENSF_IJSE_SE_EEES9_SG_JZNS1_25segmented_radix_sort_implINS0_14default_configELb0EPKiPiPKlPlN2at6native12_GLOBAL__N_18offset_tEEE10hipError_tPvRmT1_PNSt15iterator_traitsISY_E10value_typeET2_T3_PNSZ_IS14_E10value_typeET4_jRbjT5_S1A_jjP12ihipStream_tbEUljE_EEESV_SW_SX_S14_S18_S1A_T6_T7_T9_mT8_S1C_bDpT10_ENKUlT_T0_E_clISt17integral_constantIbLb0EES1P_EEDaS1K_S1L_EUlS1K_E_NS1_11comp_targetILNS1_3genE9ELNS1_11target_archE1100ELNS1_3gpuE3ELNS1_3repE0EEENS1_30default_config_static_selectorELNS0_4arch9wavefront6targetE1EEEvSY_.has_indirect_call, 0
	.section	.AMDGPU.csdata,"",@progbits
; Kernel info:
; codeLenInByte = 0
; TotalNumSgprs: 4
; NumVgprs: 0
; ScratchSize: 0
; MemoryBound: 0
; FloatMode: 240
; IeeeMode: 1
; LDSByteSize: 0 bytes/workgroup (compile time only)
; SGPRBlocks: 0
; VGPRBlocks: 0
; NumSGPRsForWavesPerEU: 4
; NumVGPRsForWavesPerEU: 1
; Occupancy: 10
; WaveLimiterHint : 0
; COMPUTE_PGM_RSRC2:SCRATCH_EN: 0
; COMPUTE_PGM_RSRC2:USER_SGPR: 6
; COMPUTE_PGM_RSRC2:TRAP_HANDLER: 0
; COMPUTE_PGM_RSRC2:TGID_X_EN: 1
; COMPUTE_PGM_RSRC2:TGID_Y_EN: 0
; COMPUTE_PGM_RSRC2:TGID_Z_EN: 0
; COMPUTE_PGM_RSRC2:TIDIG_COMP_CNT: 0
	.section	.text._ZN7rocprim17ROCPRIM_400000_NS6detail17trampoline_kernelINS0_13select_configILj256ELj13ELNS0_17block_load_methodE3ELS4_3ELS4_3ELNS0_20block_scan_algorithmE0ELj4294967295EEENS1_25partition_config_selectorILNS1_17partition_subalgoE3EjNS0_10empty_typeEbEEZZNS1_14partition_implILS8_3ELb0ES6_jNS0_17counting_iteratorIjlEEPS9_SE_NS0_5tupleIJPjSE_EEENSF_IJSE_SE_EEES9_SG_JZNS1_25segmented_radix_sort_implINS0_14default_configELb0EPKiPiPKlPlN2at6native12_GLOBAL__N_18offset_tEEE10hipError_tPvRmT1_PNSt15iterator_traitsISY_E10value_typeET2_T3_PNSZ_IS14_E10value_typeET4_jRbjT5_S1A_jjP12ihipStream_tbEUljE_EEESV_SW_SX_S14_S18_S1A_T6_T7_T9_mT8_S1C_bDpT10_ENKUlT_T0_E_clISt17integral_constantIbLb0EES1P_EEDaS1K_S1L_EUlS1K_E_NS1_11comp_targetILNS1_3genE8ELNS1_11target_archE1030ELNS1_3gpuE2ELNS1_3repE0EEENS1_30default_config_static_selectorELNS0_4arch9wavefront6targetE1EEEvSY_,"axG",@progbits,_ZN7rocprim17ROCPRIM_400000_NS6detail17trampoline_kernelINS0_13select_configILj256ELj13ELNS0_17block_load_methodE3ELS4_3ELS4_3ELNS0_20block_scan_algorithmE0ELj4294967295EEENS1_25partition_config_selectorILNS1_17partition_subalgoE3EjNS0_10empty_typeEbEEZZNS1_14partition_implILS8_3ELb0ES6_jNS0_17counting_iteratorIjlEEPS9_SE_NS0_5tupleIJPjSE_EEENSF_IJSE_SE_EEES9_SG_JZNS1_25segmented_radix_sort_implINS0_14default_configELb0EPKiPiPKlPlN2at6native12_GLOBAL__N_18offset_tEEE10hipError_tPvRmT1_PNSt15iterator_traitsISY_E10value_typeET2_T3_PNSZ_IS14_E10value_typeET4_jRbjT5_S1A_jjP12ihipStream_tbEUljE_EEESV_SW_SX_S14_S18_S1A_T6_T7_T9_mT8_S1C_bDpT10_ENKUlT_T0_E_clISt17integral_constantIbLb0EES1P_EEDaS1K_S1L_EUlS1K_E_NS1_11comp_targetILNS1_3genE8ELNS1_11target_archE1030ELNS1_3gpuE2ELNS1_3repE0EEENS1_30default_config_static_selectorELNS0_4arch9wavefront6targetE1EEEvSY_,comdat
	.globl	_ZN7rocprim17ROCPRIM_400000_NS6detail17trampoline_kernelINS0_13select_configILj256ELj13ELNS0_17block_load_methodE3ELS4_3ELS4_3ELNS0_20block_scan_algorithmE0ELj4294967295EEENS1_25partition_config_selectorILNS1_17partition_subalgoE3EjNS0_10empty_typeEbEEZZNS1_14partition_implILS8_3ELb0ES6_jNS0_17counting_iteratorIjlEEPS9_SE_NS0_5tupleIJPjSE_EEENSF_IJSE_SE_EEES9_SG_JZNS1_25segmented_radix_sort_implINS0_14default_configELb0EPKiPiPKlPlN2at6native12_GLOBAL__N_18offset_tEEE10hipError_tPvRmT1_PNSt15iterator_traitsISY_E10value_typeET2_T3_PNSZ_IS14_E10value_typeET4_jRbjT5_S1A_jjP12ihipStream_tbEUljE_EEESV_SW_SX_S14_S18_S1A_T6_T7_T9_mT8_S1C_bDpT10_ENKUlT_T0_E_clISt17integral_constantIbLb0EES1P_EEDaS1K_S1L_EUlS1K_E_NS1_11comp_targetILNS1_3genE8ELNS1_11target_archE1030ELNS1_3gpuE2ELNS1_3repE0EEENS1_30default_config_static_selectorELNS0_4arch9wavefront6targetE1EEEvSY_ ; -- Begin function _ZN7rocprim17ROCPRIM_400000_NS6detail17trampoline_kernelINS0_13select_configILj256ELj13ELNS0_17block_load_methodE3ELS4_3ELS4_3ELNS0_20block_scan_algorithmE0ELj4294967295EEENS1_25partition_config_selectorILNS1_17partition_subalgoE3EjNS0_10empty_typeEbEEZZNS1_14partition_implILS8_3ELb0ES6_jNS0_17counting_iteratorIjlEEPS9_SE_NS0_5tupleIJPjSE_EEENSF_IJSE_SE_EEES9_SG_JZNS1_25segmented_radix_sort_implINS0_14default_configELb0EPKiPiPKlPlN2at6native12_GLOBAL__N_18offset_tEEE10hipError_tPvRmT1_PNSt15iterator_traitsISY_E10value_typeET2_T3_PNSZ_IS14_E10value_typeET4_jRbjT5_S1A_jjP12ihipStream_tbEUljE_EEESV_SW_SX_S14_S18_S1A_T6_T7_T9_mT8_S1C_bDpT10_ENKUlT_T0_E_clISt17integral_constantIbLb0EES1P_EEDaS1K_S1L_EUlS1K_E_NS1_11comp_targetILNS1_3genE8ELNS1_11target_archE1030ELNS1_3gpuE2ELNS1_3repE0EEENS1_30default_config_static_selectorELNS0_4arch9wavefront6targetE1EEEvSY_
	.p2align	8
	.type	_ZN7rocprim17ROCPRIM_400000_NS6detail17trampoline_kernelINS0_13select_configILj256ELj13ELNS0_17block_load_methodE3ELS4_3ELS4_3ELNS0_20block_scan_algorithmE0ELj4294967295EEENS1_25partition_config_selectorILNS1_17partition_subalgoE3EjNS0_10empty_typeEbEEZZNS1_14partition_implILS8_3ELb0ES6_jNS0_17counting_iteratorIjlEEPS9_SE_NS0_5tupleIJPjSE_EEENSF_IJSE_SE_EEES9_SG_JZNS1_25segmented_radix_sort_implINS0_14default_configELb0EPKiPiPKlPlN2at6native12_GLOBAL__N_18offset_tEEE10hipError_tPvRmT1_PNSt15iterator_traitsISY_E10value_typeET2_T3_PNSZ_IS14_E10value_typeET4_jRbjT5_S1A_jjP12ihipStream_tbEUljE_EEESV_SW_SX_S14_S18_S1A_T6_T7_T9_mT8_S1C_bDpT10_ENKUlT_T0_E_clISt17integral_constantIbLb0EES1P_EEDaS1K_S1L_EUlS1K_E_NS1_11comp_targetILNS1_3genE8ELNS1_11target_archE1030ELNS1_3gpuE2ELNS1_3repE0EEENS1_30default_config_static_selectorELNS0_4arch9wavefront6targetE1EEEvSY_,@function
_ZN7rocprim17ROCPRIM_400000_NS6detail17trampoline_kernelINS0_13select_configILj256ELj13ELNS0_17block_load_methodE3ELS4_3ELS4_3ELNS0_20block_scan_algorithmE0ELj4294967295EEENS1_25partition_config_selectorILNS1_17partition_subalgoE3EjNS0_10empty_typeEbEEZZNS1_14partition_implILS8_3ELb0ES6_jNS0_17counting_iteratorIjlEEPS9_SE_NS0_5tupleIJPjSE_EEENSF_IJSE_SE_EEES9_SG_JZNS1_25segmented_radix_sort_implINS0_14default_configELb0EPKiPiPKlPlN2at6native12_GLOBAL__N_18offset_tEEE10hipError_tPvRmT1_PNSt15iterator_traitsISY_E10value_typeET2_T3_PNSZ_IS14_E10value_typeET4_jRbjT5_S1A_jjP12ihipStream_tbEUljE_EEESV_SW_SX_S14_S18_S1A_T6_T7_T9_mT8_S1C_bDpT10_ENKUlT_T0_E_clISt17integral_constantIbLb0EES1P_EEDaS1K_S1L_EUlS1K_E_NS1_11comp_targetILNS1_3genE8ELNS1_11target_archE1030ELNS1_3gpuE2ELNS1_3repE0EEENS1_30default_config_static_selectorELNS0_4arch9wavefront6targetE1EEEvSY_: ; @_ZN7rocprim17ROCPRIM_400000_NS6detail17trampoline_kernelINS0_13select_configILj256ELj13ELNS0_17block_load_methodE3ELS4_3ELS4_3ELNS0_20block_scan_algorithmE0ELj4294967295EEENS1_25partition_config_selectorILNS1_17partition_subalgoE3EjNS0_10empty_typeEbEEZZNS1_14partition_implILS8_3ELb0ES6_jNS0_17counting_iteratorIjlEEPS9_SE_NS0_5tupleIJPjSE_EEENSF_IJSE_SE_EEES9_SG_JZNS1_25segmented_radix_sort_implINS0_14default_configELb0EPKiPiPKlPlN2at6native12_GLOBAL__N_18offset_tEEE10hipError_tPvRmT1_PNSt15iterator_traitsISY_E10value_typeET2_T3_PNSZ_IS14_E10value_typeET4_jRbjT5_S1A_jjP12ihipStream_tbEUljE_EEESV_SW_SX_S14_S18_S1A_T6_T7_T9_mT8_S1C_bDpT10_ENKUlT_T0_E_clISt17integral_constantIbLb0EES1P_EEDaS1K_S1L_EUlS1K_E_NS1_11comp_targetILNS1_3genE8ELNS1_11target_archE1030ELNS1_3gpuE2ELNS1_3repE0EEENS1_30default_config_static_selectorELNS0_4arch9wavefront6targetE1EEEvSY_
; %bb.0:
	.section	.rodata,"a",@progbits
	.p2align	6, 0x0
	.amdhsa_kernel _ZN7rocprim17ROCPRIM_400000_NS6detail17trampoline_kernelINS0_13select_configILj256ELj13ELNS0_17block_load_methodE3ELS4_3ELS4_3ELNS0_20block_scan_algorithmE0ELj4294967295EEENS1_25partition_config_selectorILNS1_17partition_subalgoE3EjNS0_10empty_typeEbEEZZNS1_14partition_implILS8_3ELb0ES6_jNS0_17counting_iteratorIjlEEPS9_SE_NS0_5tupleIJPjSE_EEENSF_IJSE_SE_EEES9_SG_JZNS1_25segmented_radix_sort_implINS0_14default_configELb0EPKiPiPKlPlN2at6native12_GLOBAL__N_18offset_tEEE10hipError_tPvRmT1_PNSt15iterator_traitsISY_E10value_typeET2_T3_PNSZ_IS14_E10value_typeET4_jRbjT5_S1A_jjP12ihipStream_tbEUljE_EEESV_SW_SX_S14_S18_S1A_T6_T7_T9_mT8_S1C_bDpT10_ENKUlT_T0_E_clISt17integral_constantIbLb0EES1P_EEDaS1K_S1L_EUlS1K_E_NS1_11comp_targetILNS1_3genE8ELNS1_11target_archE1030ELNS1_3gpuE2ELNS1_3repE0EEENS1_30default_config_static_selectorELNS0_4arch9wavefront6targetE1EEEvSY_
		.amdhsa_group_segment_fixed_size 0
		.amdhsa_private_segment_fixed_size 0
		.amdhsa_kernarg_size 144
		.amdhsa_user_sgpr_count 6
		.amdhsa_user_sgpr_private_segment_buffer 1
		.amdhsa_user_sgpr_dispatch_ptr 0
		.amdhsa_user_sgpr_queue_ptr 0
		.amdhsa_user_sgpr_kernarg_segment_ptr 1
		.amdhsa_user_sgpr_dispatch_id 0
		.amdhsa_user_sgpr_flat_scratch_init 0
		.amdhsa_user_sgpr_private_segment_size 0
		.amdhsa_uses_dynamic_stack 0
		.amdhsa_system_sgpr_private_segment_wavefront_offset 0
		.amdhsa_system_sgpr_workgroup_id_x 1
		.amdhsa_system_sgpr_workgroup_id_y 0
		.amdhsa_system_sgpr_workgroup_id_z 0
		.amdhsa_system_sgpr_workgroup_info 0
		.amdhsa_system_vgpr_workitem_id 0
		.amdhsa_next_free_vgpr 1
		.amdhsa_next_free_sgpr 0
		.amdhsa_reserve_vcc 0
		.amdhsa_reserve_flat_scratch 0
		.amdhsa_float_round_mode_32 0
		.amdhsa_float_round_mode_16_64 0
		.amdhsa_float_denorm_mode_32 3
		.amdhsa_float_denorm_mode_16_64 3
		.amdhsa_dx10_clamp 1
		.amdhsa_ieee_mode 1
		.amdhsa_fp16_overflow 0
		.amdhsa_exception_fp_ieee_invalid_op 0
		.amdhsa_exception_fp_denorm_src 0
		.amdhsa_exception_fp_ieee_div_zero 0
		.amdhsa_exception_fp_ieee_overflow 0
		.amdhsa_exception_fp_ieee_underflow 0
		.amdhsa_exception_fp_ieee_inexact 0
		.amdhsa_exception_int_div_zero 0
	.end_amdhsa_kernel
	.section	.text._ZN7rocprim17ROCPRIM_400000_NS6detail17trampoline_kernelINS0_13select_configILj256ELj13ELNS0_17block_load_methodE3ELS4_3ELS4_3ELNS0_20block_scan_algorithmE0ELj4294967295EEENS1_25partition_config_selectorILNS1_17partition_subalgoE3EjNS0_10empty_typeEbEEZZNS1_14partition_implILS8_3ELb0ES6_jNS0_17counting_iteratorIjlEEPS9_SE_NS0_5tupleIJPjSE_EEENSF_IJSE_SE_EEES9_SG_JZNS1_25segmented_radix_sort_implINS0_14default_configELb0EPKiPiPKlPlN2at6native12_GLOBAL__N_18offset_tEEE10hipError_tPvRmT1_PNSt15iterator_traitsISY_E10value_typeET2_T3_PNSZ_IS14_E10value_typeET4_jRbjT5_S1A_jjP12ihipStream_tbEUljE_EEESV_SW_SX_S14_S18_S1A_T6_T7_T9_mT8_S1C_bDpT10_ENKUlT_T0_E_clISt17integral_constantIbLb0EES1P_EEDaS1K_S1L_EUlS1K_E_NS1_11comp_targetILNS1_3genE8ELNS1_11target_archE1030ELNS1_3gpuE2ELNS1_3repE0EEENS1_30default_config_static_selectorELNS0_4arch9wavefront6targetE1EEEvSY_,"axG",@progbits,_ZN7rocprim17ROCPRIM_400000_NS6detail17trampoline_kernelINS0_13select_configILj256ELj13ELNS0_17block_load_methodE3ELS4_3ELS4_3ELNS0_20block_scan_algorithmE0ELj4294967295EEENS1_25partition_config_selectorILNS1_17partition_subalgoE3EjNS0_10empty_typeEbEEZZNS1_14partition_implILS8_3ELb0ES6_jNS0_17counting_iteratorIjlEEPS9_SE_NS0_5tupleIJPjSE_EEENSF_IJSE_SE_EEES9_SG_JZNS1_25segmented_radix_sort_implINS0_14default_configELb0EPKiPiPKlPlN2at6native12_GLOBAL__N_18offset_tEEE10hipError_tPvRmT1_PNSt15iterator_traitsISY_E10value_typeET2_T3_PNSZ_IS14_E10value_typeET4_jRbjT5_S1A_jjP12ihipStream_tbEUljE_EEESV_SW_SX_S14_S18_S1A_T6_T7_T9_mT8_S1C_bDpT10_ENKUlT_T0_E_clISt17integral_constantIbLb0EES1P_EEDaS1K_S1L_EUlS1K_E_NS1_11comp_targetILNS1_3genE8ELNS1_11target_archE1030ELNS1_3gpuE2ELNS1_3repE0EEENS1_30default_config_static_selectorELNS0_4arch9wavefront6targetE1EEEvSY_,comdat
.Lfunc_end575:
	.size	_ZN7rocprim17ROCPRIM_400000_NS6detail17trampoline_kernelINS0_13select_configILj256ELj13ELNS0_17block_load_methodE3ELS4_3ELS4_3ELNS0_20block_scan_algorithmE0ELj4294967295EEENS1_25partition_config_selectorILNS1_17partition_subalgoE3EjNS0_10empty_typeEbEEZZNS1_14partition_implILS8_3ELb0ES6_jNS0_17counting_iteratorIjlEEPS9_SE_NS0_5tupleIJPjSE_EEENSF_IJSE_SE_EEES9_SG_JZNS1_25segmented_radix_sort_implINS0_14default_configELb0EPKiPiPKlPlN2at6native12_GLOBAL__N_18offset_tEEE10hipError_tPvRmT1_PNSt15iterator_traitsISY_E10value_typeET2_T3_PNSZ_IS14_E10value_typeET4_jRbjT5_S1A_jjP12ihipStream_tbEUljE_EEESV_SW_SX_S14_S18_S1A_T6_T7_T9_mT8_S1C_bDpT10_ENKUlT_T0_E_clISt17integral_constantIbLb0EES1P_EEDaS1K_S1L_EUlS1K_E_NS1_11comp_targetILNS1_3genE8ELNS1_11target_archE1030ELNS1_3gpuE2ELNS1_3repE0EEENS1_30default_config_static_selectorELNS0_4arch9wavefront6targetE1EEEvSY_, .Lfunc_end575-_ZN7rocprim17ROCPRIM_400000_NS6detail17trampoline_kernelINS0_13select_configILj256ELj13ELNS0_17block_load_methodE3ELS4_3ELS4_3ELNS0_20block_scan_algorithmE0ELj4294967295EEENS1_25partition_config_selectorILNS1_17partition_subalgoE3EjNS0_10empty_typeEbEEZZNS1_14partition_implILS8_3ELb0ES6_jNS0_17counting_iteratorIjlEEPS9_SE_NS0_5tupleIJPjSE_EEENSF_IJSE_SE_EEES9_SG_JZNS1_25segmented_radix_sort_implINS0_14default_configELb0EPKiPiPKlPlN2at6native12_GLOBAL__N_18offset_tEEE10hipError_tPvRmT1_PNSt15iterator_traitsISY_E10value_typeET2_T3_PNSZ_IS14_E10value_typeET4_jRbjT5_S1A_jjP12ihipStream_tbEUljE_EEESV_SW_SX_S14_S18_S1A_T6_T7_T9_mT8_S1C_bDpT10_ENKUlT_T0_E_clISt17integral_constantIbLb0EES1P_EEDaS1K_S1L_EUlS1K_E_NS1_11comp_targetILNS1_3genE8ELNS1_11target_archE1030ELNS1_3gpuE2ELNS1_3repE0EEENS1_30default_config_static_selectorELNS0_4arch9wavefront6targetE1EEEvSY_
                                        ; -- End function
	.set _ZN7rocprim17ROCPRIM_400000_NS6detail17trampoline_kernelINS0_13select_configILj256ELj13ELNS0_17block_load_methodE3ELS4_3ELS4_3ELNS0_20block_scan_algorithmE0ELj4294967295EEENS1_25partition_config_selectorILNS1_17partition_subalgoE3EjNS0_10empty_typeEbEEZZNS1_14partition_implILS8_3ELb0ES6_jNS0_17counting_iteratorIjlEEPS9_SE_NS0_5tupleIJPjSE_EEENSF_IJSE_SE_EEES9_SG_JZNS1_25segmented_radix_sort_implINS0_14default_configELb0EPKiPiPKlPlN2at6native12_GLOBAL__N_18offset_tEEE10hipError_tPvRmT1_PNSt15iterator_traitsISY_E10value_typeET2_T3_PNSZ_IS14_E10value_typeET4_jRbjT5_S1A_jjP12ihipStream_tbEUljE_EEESV_SW_SX_S14_S18_S1A_T6_T7_T9_mT8_S1C_bDpT10_ENKUlT_T0_E_clISt17integral_constantIbLb0EES1P_EEDaS1K_S1L_EUlS1K_E_NS1_11comp_targetILNS1_3genE8ELNS1_11target_archE1030ELNS1_3gpuE2ELNS1_3repE0EEENS1_30default_config_static_selectorELNS0_4arch9wavefront6targetE1EEEvSY_.num_vgpr, 0
	.set _ZN7rocprim17ROCPRIM_400000_NS6detail17trampoline_kernelINS0_13select_configILj256ELj13ELNS0_17block_load_methodE3ELS4_3ELS4_3ELNS0_20block_scan_algorithmE0ELj4294967295EEENS1_25partition_config_selectorILNS1_17partition_subalgoE3EjNS0_10empty_typeEbEEZZNS1_14partition_implILS8_3ELb0ES6_jNS0_17counting_iteratorIjlEEPS9_SE_NS0_5tupleIJPjSE_EEENSF_IJSE_SE_EEES9_SG_JZNS1_25segmented_radix_sort_implINS0_14default_configELb0EPKiPiPKlPlN2at6native12_GLOBAL__N_18offset_tEEE10hipError_tPvRmT1_PNSt15iterator_traitsISY_E10value_typeET2_T3_PNSZ_IS14_E10value_typeET4_jRbjT5_S1A_jjP12ihipStream_tbEUljE_EEESV_SW_SX_S14_S18_S1A_T6_T7_T9_mT8_S1C_bDpT10_ENKUlT_T0_E_clISt17integral_constantIbLb0EES1P_EEDaS1K_S1L_EUlS1K_E_NS1_11comp_targetILNS1_3genE8ELNS1_11target_archE1030ELNS1_3gpuE2ELNS1_3repE0EEENS1_30default_config_static_selectorELNS0_4arch9wavefront6targetE1EEEvSY_.num_agpr, 0
	.set _ZN7rocprim17ROCPRIM_400000_NS6detail17trampoline_kernelINS0_13select_configILj256ELj13ELNS0_17block_load_methodE3ELS4_3ELS4_3ELNS0_20block_scan_algorithmE0ELj4294967295EEENS1_25partition_config_selectorILNS1_17partition_subalgoE3EjNS0_10empty_typeEbEEZZNS1_14partition_implILS8_3ELb0ES6_jNS0_17counting_iteratorIjlEEPS9_SE_NS0_5tupleIJPjSE_EEENSF_IJSE_SE_EEES9_SG_JZNS1_25segmented_radix_sort_implINS0_14default_configELb0EPKiPiPKlPlN2at6native12_GLOBAL__N_18offset_tEEE10hipError_tPvRmT1_PNSt15iterator_traitsISY_E10value_typeET2_T3_PNSZ_IS14_E10value_typeET4_jRbjT5_S1A_jjP12ihipStream_tbEUljE_EEESV_SW_SX_S14_S18_S1A_T6_T7_T9_mT8_S1C_bDpT10_ENKUlT_T0_E_clISt17integral_constantIbLb0EES1P_EEDaS1K_S1L_EUlS1K_E_NS1_11comp_targetILNS1_3genE8ELNS1_11target_archE1030ELNS1_3gpuE2ELNS1_3repE0EEENS1_30default_config_static_selectorELNS0_4arch9wavefront6targetE1EEEvSY_.numbered_sgpr, 0
	.set _ZN7rocprim17ROCPRIM_400000_NS6detail17trampoline_kernelINS0_13select_configILj256ELj13ELNS0_17block_load_methodE3ELS4_3ELS4_3ELNS0_20block_scan_algorithmE0ELj4294967295EEENS1_25partition_config_selectorILNS1_17partition_subalgoE3EjNS0_10empty_typeEbEEZZNS1_14partition_implILS8_3ELb0ES6_jNS0_17counting_iteratorIjlEEPS9_SE_NS0_5tupleIJPjSE_EEENSF_IJSE_SE_EEES9_SG_JZNS1_25segmented_radix_sort_implINS0_14default_configELb0EPKiPiPKlPlN2at6native12_GLOBAL__N_18offset_tEEE10hipError_tPvRmT1_PNSt15iterator_traitsISY_E10value_typeET2_T3_PNSZ_IS14_E10value_typeET4_jRbjT5_S1A_jjP12ihipStream_tbEUljE_EEESV_SW_SX_S14_S18_S1A_T6_T7_T9_mT8_S1C_bDpT10_ENKUlT_T0_E_clISt17integral_constantIbLb0EES1P_EEDaS1K_S1L_EUlS1K_E_NS1_11comp_targetILNS1_3genE8ELNS1_11target_archE1030ELNS1_3gpuE2ELNS1_3repE0EEENS1_30default_config_static_selectorELNS0_4arch9wavefront6targetE1EEEvSY_.num_named_barrier, 0
	.set _ZN7rocprim17ROCPRIM_400000_NS6detail17trampoline_kernelINS0_13select_configILj256ELj13ELNS0_17block_load_methodE3ELS4_3ELS4_3ELNS0_20block_scan_algorithmE0ELj4294967295EEENS1_25partition_config_selectorILNS1_17partition_subalgoE3EjNS0_10empty_typeEbEEZZNS1_14partition_implILS8_3ELb0ES6_jNS0_17counting_iteratorIjlEEPS9_SE_NS0_5tupleIJPjSE_EEENSF_IJSE_SE_EEES9_SG_JZNS1_25segmented_radix_sort_implINS0_14default_configELb0EPKiPiPKlPlN2at6native12_GLOBAL__N_18offset_tEEE10hipError_tPvRmT1_PNSt15iterator_traitsISY_E10value_typeET2_T3_PNSZ_IS14_E10value_typeET4_jRbjT5_S1A_jjP12ihipStream_tbEUljE_EEESV_SW_SX_S14_S18_S1A_T6_T7_T9_mT8_S1C_bDpT10_ENKUlT_T0_E_clISt17integral_constantIbLb0EES1P_EEDaS1K_S1L_EUlS1K_E_NS1_11comp_targetILNS1_3genE8ELNS1_11target_archE1030ELNS1_3gpuE2ELNS1_3repE0EEENS1_30default_config_static_selectorELNS0_4arch9wavefront6targetE1EEEvSY_.private_seg_size, 0
	.set _ZN7rocprim17ROCPRIM_400000_NS6detail17trampoline_kernelINS0_13select_configILj256ELj13ELNS0_17block_load_methodE3ELS4_3ELS4_3ELNS0_20block_scan_algorithmE0ELj4294967295EEENS1_25partition_config_selectorILNS1_17partition_subalgoE3EjNS0_10empty_typeEbEEZZNS1_14partition_implILS8_3ELb0ES6_jNS0_17counting_iteratorIjlEEPS9_SE_NS0_5tupleIJPjSE_EEENSF_IJSE_SE_EEES9_SG_JZNS1_25segmented_radix_sort_implINS0_14default_configELb0EPKiPiPKlPlN2at6native12_GLOBAL__N_18offset_tEEE10hipError_tPvRmT1_PNSt15iterator_traitsISY_E10value_typeET2_T3_PNSZ_IS14_E10value_typeET4_jRbjT5_S1A_jjP12ihipStream_tbEUljE_EEESV_SW_SX_S14_S18_S1A_T6_T7_T9_mT8_S1C_bDpT10_ENKUlT_T0_E_clISt17integral_constantIbLb0EES1P_EEDaS1K_S1L_EUlS1K_E_NS1_11comp_targetILNS1_3genE8ELNS1_11target_archE1030ELNS1_3gpuE2ELNS1_3repE0EEENS1_30default_config_static_selectorELNS0_4arch9wavefront6targetE1EEEvSY_.uses_vcc, 0
	.set _ZN7rocprim17ROCPRIM_400000_NS6detail17trampoline_kernelINS0_13select_configILj256ELj13ELNS0_17block_load_methodE3ELS4_3ELS4_3ELNS0_20block_scan_algorithmE0ELj4294967295EEENS1_25partition_config_selectorILNS1_17partition_subalgoE3EjNS0_10empty_typeEbEEZZNS1_14partition_implILS8_3ELb0ES6_jNS0_17counting_iteratorIjlEEPS9_SE_NS0_5tupleIJPjSE_EEENSF_IJSE_SE_EEES9_SG_JZNS1_25segmented_radix_sort_implINS0_14default_configELb0EPKiPiPKlPlN2at6native12_GLOBAL__N_18offset_tEEE10hipError_tPvRmT1_PNSt15iterator_traitsISY_E10value_typeET2_T3_PNSZ_IS14_E10value_typeET4_jRbjT5_S1A_jjP12ihipStream_tbEUljE_EEESV_SW_SX_S14_S18_S1A_T6_T7_T9_mT8_S1C_bDpT10_ENKUlT_T0_E_clISt17integral_constantIbLb0EES1P_EEDaS1K_S1L_EUlS1K_E_NS1_11comp_targetILNS1_3genE8ELNS1_11target_archE1030ELNS1_3gpuE2ELNS1_3repE0EEENS1_30default_config_static_selectorELNS0_4arch9wavefront6targetE1EEEvSY_.uses_flat_scratch, 0
	.set _ZN7rocprim17ROCPRIM_400000_NS6detail17trampoline_kernelINS0_13select_configILj256ELj13ELNS0_17block_load_methodE3ELS4_3ELS4_3ELNS0_20block_scan_algorithmE0ELj4294967295EEENS1_25partition_config_selectorILNS1_17partition_subalgoE3EjNS0_10empty_typeEbEEZZNS1_14partition_implILS8_3ELb0ES6_jNS0_17counting_iteratorIjlEEPS9_SE_NS0_5tupleIJPjSE_EEENSF_IJSE_SE_EEES9_SG_JZNS1_25segmented_radix_sort_implINS0_14default_configELb0EPKiPiPKlPlN2at6native12_GLOBAL__N_18offset_tEEE10hipError_tPvRmT1_PNSt15iterator_traitsISY_E10value_typeET2_T3_PNSZ_IS14_E10value_typeET4_jRbjT5_S1A_jjP12ihipStream_tbEUljE_EEESV_SW_SX_S14_S18_S1A_T6_T7_T9_mT8_S1C_bDpT10_ENKUlT_T0_E_clISt17integral_constantIbLb0EES1P_EEDaS1K_S1L_EUlS1K_E_NS1_11comp_targetILNS1_3genE8ELNS1_11target_archE1030ELNS1_3gpuE2ELNS1_3repE0EEENS1_30default_config_static_selectorELNS0_4arch9wavefront6targetE1EEEvSY_.has_dyn_sized_stack, 0
	.set _ZN7rocprim17ROCPRIM_400000_NS6detail17trampoline_kernelINS0_13select_configILj256ELj13ELNS0_17block_load_methodE3ELS4_3ELS4_3ELNS0_20block_scan_algorithmE0ELj4294967295EEENS1_25partition_config_selectorILNS1_17partition_subalgoE3EjNS0_10empty_typeEbEEZZNS1_14partition_implILS8_3ELb0ES6_jNS0_17counting_iteratorIjlEEPS9_SE_NS0_5tupleIJPjSE_EEENSF_IJSE_SE_EEES9_SG_JZNS1_25segmented_radix_sort_implINS0_14default_configELb0EPKiPiPKlPlN2at6native12_GLOBAL__N_18offset_tEEE10hipError_tPvRmT1_PNSt15iterator_traitsISY_E10value_typeET2_T3_PNSZ_IS14_E10value_typeET4_jRbjT5_S1A_jjP12ihipStream_tbEUljE_EEESV_SW_SX_S14_S18_S1A_T6_T7_T9_mT8_S1C_bDpT10_ENKUlT_T0_E_clISt17integral_constantIbLb0EES1P_EEDaS1K_S1L_EUlS1K_E_NS1_11comp_targetILNS1_3genE8ELNS1_11target_archE1030ELNS1_3gpuE2ELNS1_3repE0EEENS1_30default_config_static_selectorELNS0_4arch9wavefront6targetE1EEEvSY_.has_recursion, 0
	.set _ZN7rocprim17ROCPRIM_400000_NS6detail17trampoline_kernelINS0_13select_configILj256ELj13ELNS0_17block_load_methodE3ELS4_3ELS4_3ELNS0_20block_scan_algorithmE0ELj4294967295EEENS1_25partition_config_selectorILNS1_17partition_subalgoE3EjNS0_10empty_typeEbEEZZNS1_14partition_implILS8_3ELb0ES6_jNS0_17counting_iteratorIjlEEPS9_SE_NS0_5tupleIJPjSE_EEENSF_IJSE_SE_EEES9_SG_JZNS1_25segmented_radix_sort_implINS0_14default_configELb0EPKiPiPKlPlN2at6native12_GLOBAL__N_18offset_tEEE10hipError_tPvRmT1_PNSt15iterator_traitsISY_E10value_typeET2_T3_PNSZ_IS14_E10value_typeET4_jRbjT5_S1A_jjP12ihipStream_tbEUljE_EEESV_SW_SX_S14_S18_S1A_T6_T7_T9_mT8_S1C_bDpT10_ENKUlT_T0_E_clISt17integral_constantIbLb0EES1P_EEDaS1K_S1L_EUlS1K_E_NS1_11comp_targetILNS1_3genE8ELNS1_11target_archE1030ELNS1_3gpuE2ELNS1_3repE0EEENS1_30default_config_static_selectorELNS0_4arch9wavefront6targetE1EEEvSY_.has_indirect_call, 0
	.section	.AMDGPU.csdata,"",@progbits
; Kernel info:
; codeLenInByte = 0
; TotalNumSgprs: 4
; NumVgprs: 0
; ScratchSize: 0
; MemoryBound: 0
; FloatMode: 240
; IeeeMode: 1
; LDSByteSize: 0 bytes/workgroup (compile time only)
; SGPRBlocks: 0
; VGPRBlocks: 0
; NumSGPRsForWavesPerEU: 4
; NumVGPRsForWavesPerEU: 1
; Occupancy: 10
; WaveLimiterHint : 0
; COMPUTE_PGM_RSRC2:SCRATCH_EN: 0
; COMPUTE_PGM_RSRC2:USER_SGPR: 6
; COMPUTE_PGM_RSRC2:TRAP_HANDLER: 0
; COMPUTE_PGM_RSRC2:TGID_X_EN: 1
; COMPUTE_PGM_RSRC2:TGID_Y_EN: 0
; COMPUTE_PGM_RSRC2:TGID_Z_EN: 0
; COMPUTE_PGM_RSRC2:TIDIG_COMP_CNT: 0
	.section	.text._ZN7rocprim17ROCPRIM_400000_NS6detail17trampoline_kernelINS0_13select_configILj256ELj13ELNS0_17block_load_methodE3ELS4_3ELS4_3ELNS0_20block_scan_algorithmE0ELj4294967295EEENS1_25partition_config_selectorILNS1_17partition_subalgoE3EjNS0_10empty_typeEbEEZZNS1_14partition_implILS8_3ELb0ES6_jNS0_17counting_iteratorIjlEEPS9_SE_NS0_5tupleIJPjSE_EEENSF_IJSE_SE_EEES9_SG_JZNS1_25segmented_radix_sort_implINS0_14default_configELb0EPKiPiPKlPlN2at6native12_GLOBAL__N_18offset_tEEE10hipError_tPvRmT1_PNSt15iterator_traitsISY_E10value_typeET2_T3_PNSZ_IS14_E10value_typeET4_jRbjT5_S1A_jjP12ihipStream_tbEUljE_EEESV_SW_SX_S14_S18_S1A_T6_T7_T9_mT8_S1C_bDpT10_ENKUlT_T0_E_clISt17integral_constantIbLb1EES1P_EEDaS1K_S1L_EUlS1K_E_NS1_11comp_targetILNS1_3genE0ELNS1_11target_archE4294967295ELNS1_3gpuE0ELNS1_3repE0EEENS1_30default_config_static_selectorELNS0_4arch9wavefront6targetE1EEEvSY_,"axG",@progbits,_ZN7rocprim17ROCPRIM_400000_NS6detail17trampoline_kernelINS0_13select_configILj256ELj13ELNS0_17block_load_methodE3ELS4_3ELS4_3ELNS0_20block_scan_algorithmE0ELj4294967295EEENS1_25partition_config_selectorILNS1_17partition_subalgoE3EjNS0_10empty_typeEbEEZZNS1_14partition_implILS8_3ELb0ES6_jNS0_17counting_iteratorIjlEEPS9_SE_NS0_5tupleIJPjSE_EEENSF_IJSE_SE_EEES9_SG_JZNS1_25segmented_radix_sort_implINS0_14default_configELb0EPKiPiPKlPlN2at6native12_GLOBAL__N_18offset_tEEE10hipError_tPvRmT1_PNSt15iterator_traitsISY_E10value_typeET2_T3_PNSZ_IS14_E10value_typeET4_jRbjT5_S1A_jjP12ihipStream_tbEUljE_EEESV_SW_SX_S14_S18_S1A_T6_T7_T9_mT8_S1C_bDpT10_ENKUlT_T0_E_clISt17integral_constantIbLb1EES1P_EEDaS1K_S1L_EUlS1K_E_NS1_11comp_targetILNS1_3genE0ELNS1_11target_archE4294967295ELNS1_3gpuE0ELNS1_3repE0EEENS1_30default_config_static_selectorELNS0_4arch9wavefront6targetE1EEEvSY_,comdat
	.globl	_ZN7rocprim17ROCPRIM_400000_NS6detail17trampoline_kernelINS0_13select_configILj256ELj13ELNS0_17block_load_methodE3ELS4_3ELS4_3ELNS0_20block_scan_algorithmE0ELj4294967295EEENS1_25partition_config_selectorILNS1_17partition_subalgoE3EjNS0_10empty_typeEbEEZZNS1_14partition_implILS8_3ELb0ES6_jNS0_17counting_iteratorIjlEEPS9_SE_NS0_5tupleIJPjSE_EEENSF_IJSE_SE_EEES9_SG_JZNS1_25segmented_radix_sort_implINS0_14default_configELb0EPKiPiPKlPlN2at6native12_GLOBAL__N_18offset_tEEE10hipError_tPvRmT1_PNSt15iterator_traitsISY_E10value_typeET2_T3_PNSZ_IS14_E10value_typeET4_jRbjT5_S1A_jjP12ihipStream_tbEUljE_EEESV_SW_SX_S14_S18_S1A_T6_T7_T9_mT8_S1C_bDpT10_ENKUlT_T0_E_clISt17integral_constantIbLb1EES1P_EEDaS1K_S1L_EUlS1K_E_NS1_11comp_targetILNS1_3genE0ELNS1_11target_archE4294967295ELNS1_3gpuE0ELNS1_3repE0EEENS1_30default_config_static_selectorELNS0_4arch9wavefront6targetE1EEEvSY_ ; -- Begin function _ZN7rocprim17ROCPRIM_400000_NS6detail17trampoline_kernelINS0_13select_configILj256ELj13ELNS0_17block_load_methodE3ELS4_3ELS4_3ELNS0_20block_scan_algorithmE0ELj4294967295EEENS1_25partition_config_selectorILNS1_17partition_subalgoE3EjNS0_10empty_typeEbEEZZNS1_14partition_implILS8_3ELb0ES6_jNS0_17counting_iteratorIjlEEPS9_SE_NS0_5tupleIJPjSE_EEENSF_IJSE_SE_EEES9_SG_JZNS1_25segmented_radix_sort_implINS0_14default_configELb0EPKiPiPKlPlN2at6native12_GLOBAL__N_18offset_tEEE10hipError_tPvRmT1_PNSt15iterator_traitsISY_E10value_typeET2_T3_PNSZ_IS14_E10value_typeET4_jRbjT5_S1A_jjP12ihipStream_tbEUljE_EEESV_SW_SX_S14_S18_S1A_T6_T7_T9_mT8_S1C_bDpT10_ENKUlT_T0_E_clISt17integral_constantIbLb1EES1P_EEDaS1K_S1L_EUlS1K_E_NS1_11comp_targetILNS1_3genE0ELNS1_11target_archE4294967295ELNS1_3gpuE0ELNS1_3repE0EEENS1_30default_config_static_selectorELNS0_4arch9wavefront6targetE1EEEvSY_
	.p2align	8
	.type	_ZN7rocprim17ROCPRIM_400000_NS6detail17trampoline_kernelINS0_13select_configILj256ELj13ELNS0_17block_load_methodE3ELS4_3ELS4_3ELNS0_20block_scan_algorithmE0ELj4294967295EEENS1_25partition_config_selectorILNS1_17partition_subalgoE3EjNS0_10empty_typeEbEEZZNS1_14partition_implILS8_3ELb0ES6_jNS0_17counting_iteratorIjlEEPS9_SE_NS0_5tupleIJPjSE_EEENSF_IJSE_SE_EEES9_SG_JZNS1_25segmented_radix_sort_implINS0_14default_configELb0EPKiPiPKlPlN2at6native12_GLOBAL__N_18offset_tEEE10hipError_tPvRmT1_PNSt15iterator_traitsISY_E10value_typeET2_T3_PNSZ_IS14_E10value_typeET4_jRbjT5_S1A_jjP12ihipStream_tbEUljE_EEESV_SW_SX_S14_S18_S1A_T6_T7_T9_mT8_S1C_bDpT10_ENKUlT_T0_E_clISt17integral_constantIbLb1EES1P_EEDaS1K_S1L_EUlS1K_E_NS1_11comp_targetILNS1_3genE0ELNS1_11target_archE4294967295ELNS1_3gpuE0ELNS1_3repE0EEENS1_30default_config_static_selectorELNS0_4arch9wavefront6targetE1EEEvSY_,@function
_ZN7rocprim17ROCPRIM_400000_NS6detail17trampoline_kernelINS0_13select_configILj256ELj13ELNS0_17block_load_methodE3ELS4_3ELS4_3ELNS0_20block_scan_algorithmE0ELj4294967295EEENS1_25partition_config_selectorILNS1_17partition_subalgoE3EjNS0_10empty_typeEbEEZZNS1_14partition_implILS8_3ELb0ES6_jNS0_17counting_iteratorIjlEEPS9_SE_NS0_5tupleIJPjSE_EEENSF_IJSE_SE_EEES9_SG_JZNS1_25segmented_radix_sort_implINS0_14default_configELb0EPKiPiPKlPlN2at6native12_GLOBAL__N_18offset_tEEE10hipError_tPvRmT1_PNSt15iterator_traitsISY_E10value_typeET2_T3_PNSZ_IS14_E10value_typeET4_jRbjT5_S1A_jjP12ihipStream_tbEUljE_EEESV_SW_SX_S14_S18_S1A_T6_T7_T9_mT8_S1C_bDpT10_ENKUlT_T0_E_clISt17integral_constantIbLb1EES1P_EEDaS1K_S1L_EUlS1K_E_NS1_11comp_targetILNS1_3genE0ELNS1_11target_archE4294967295ELNS1_3gpuE0ELNS1_3repE0EEENS1_30default_config_static_selectorELNS0_4arch9wavefront6targetE1EEEvSY_: ; @_ZN7rocprim17ROCPRIM_400000_NS6detail17trampoline_kernelINS0_13select_configILj256ELj13ELNS0_17block_load_methodE3ELS4_3ELS4_3ELNS0_20block_scan_algorithmE0ELj4294967295EEENS1_25partition_config_selectorILNS1_17partition_subalgoE3EjNS0_10empty_typeEbEEZZNS1_14partition_implILS8_3ELb0ES6_jNS0_17counting_iteratorIjlEEPS9_SE_NS0_5tupleIJPjSE_EEENSF_IJSE_SE_EEES9_SG_JZNS1_25segmented_radix_sort_implINS0_14default_configELb0EPKiPiPKlPlN2at6native12_GLOBAL__N_18offset_tEEE10hipError_tPvRmT1_PNSt15iterator_traitsISY_E10value_typeET2_T3_PNSZ_IS14_E10value_typeET4_jRbjT5_S1A_jjP12ihipStream_tbEUljE_EEESV_SW_SX_S14_S18_S1A_T6_T7_T9_mT8_S1C_bDpT10_ENKUlT_T0_E_clISt17integral_constantIbLb1EES1P_EEDaS1K_S1L_EUlS1K_E_NS1_11comp_targetILNS1_3genE0ELNS1_11target_archE4294967295ELNS1_3gpuE0ELNS1_3repE0EEENS1_30default_config_static_selectorELNS0_4arch9wavefront6targetE1EEEvSY_
; %bb.0:
	.section	.rodata,"a",@progbits
	.p2align	6, 0x0
	.amdhsa_kernel _ZN7rocprim17ROCPRIM_400000_NS6detail17trampoline_kernelINS0_13select_configILj256ELj13ELNS0_17block_load_methodE3ELS4_3ELS4_3ELNS0_20block_scan_algorithmE0ELj4294967295EEENS1_25partition_config_selectorILNS1_17partition_subalgoE3EjNS0_10empty_typeEbEEZZNS1_14partition_implILS8_3ELb0ES6_jNS0_17counting_iteratorIjlEEPS9_SE_NS0_5tupleIJPjSE_EEENSF_IJSE_SE_EEES9_SG_JZNS1_25segmented_radix_sort_implINS0_14default_configELb0EPKiPiPKlPlN2at6native12_GLOBAL__N_18offset_tEEE10hipError_tPvRmT1_PNSt15iterator_traitsISY_E10value_typeET2_T3_PNSZ_IS14_E10value_typeET4_jRbjT5_S1A_jjP12ihipStream_tbEUljE_EEESV_SW_SX_S14_S18_S1A_T6_T7_T9_mT8_S1C_bDpT10_ENKUlT_T0_E_clISt17integral_constantIbLb1EES1P_EEDaS1K_S1L_EUlS1K_E_NS1_11comp_targetILNS1_3genE0ELNS1_11target_archE4294967295ELNS1_3gpuE0ELNS1_3repE0EEENS1_30default_config_static_selectorELNS0_4arch9wavefront6targetE1EEEvSY_
		.amdhsa_group_segment_fixed_size 0
		.amdhsa_private_segment_fixed_size 0
		.amdhsa_kernarg_size 152
		.amdhsa_user_sgpr_count 6
		.amdhsa_user_sgpr_private_segment_buffer 1
		.amdhsa_user_sgpr_dispatch_ptr 0
		.amdhsa_user_sgpr_queue_ptr 0
		.amdhsa_user_sgpr_kernarg_segment_ptr 1
		.amdhsa_user_sgpr_dispatch_id 0
		.amdhsa_user_sgpr_flat_scratch_init 0
		.amdhsa_user_sgpr_private_segment_size 0
		.amdhsa_uses_dynamic_stack 0
		.amdhsa_system_sgpr_private_segment_wavefront_offset 0
		.amdhsa_system_sgpr_workgroup_id_x 1
		.amdhsa_system_sgpr_workgroup_id_y 0
		.amdhsa_system_sgpr_workgroup_id_z 0
		.amdhsa_system_sgpr_workgroup_info 0
		.amdhsa_system_vgpr_workitem_id 0
		.amdhsa_next_free_vgpr 1
		.amdhsa_next_free_sgpr 0
		.amdhsa_reserve_vcc 0
		.amdhsa_reserve_flat_scratch 0
		.amdhsa_float_round_mode_32 0
		.amdhsa_float_round_mode_16_64 0
		.amdhsa_float_denorm_mode_32 3
		.amdhsa_float_denorm_mode_16_64 3
		.amdhsa_dx10_clamp 1
		.amdhsa_ieee_mode 1
		.amdhsa_fp16_overflow 0
		.amdhsa_exception_fp_ieee_invalid_op 0
		.amdhsa_exception_fp_denorm_src 0
		.amdhsa_exception_fp_ieee_div_zero 0
		.amdhsa_exception_fp_ieee_overflow 0
		.amdhsa_exception_fp_ieee_underflow 0
		.amdhsa_exception_fp_ieee_inexact 0
		.amdhsa_exception_int_div_zero 0
	.end_amdhsa_kernel
	.section	.text._ZN7rocprim17ROCPRIM_400000_NS6detail17trampoline_kernelINS0_13select_configILj256ELj13ELNS0_17block_load_methodE3ELS4_3ELS4_3ELNS0_20block_scan_algorithmE0ELj4294967295EEENS1_25partition_config_selectorILNS1_17partition_subalgoE3EjNS0_10empty_typeEbEEZZNS1_14partition_implILS8_3ELb0ES6_jNS0_17counting_iteratorIjlEEPS9_SE_NS0_5tupleIJPjSE_EEENSF_IJSE_SE_EEES9_SG_JZNS1_25segmented_radix_sort_implINS0_14default_configELb0EPKiPiPKlPlN2at6native12_GLOBAL__N_18offset_tEEE10hipError_tPvRmT1_PNSt15iterator_traitsISY_E10value_typeET2_T3_PNSZ_IS14_E10value_typeET4_jRbjT5_S1A_jjP12ihipStream_tbEUljE_EEESV_SW_SX_S14_S18_S1A_T6_T7_T9_mT8_S1C_bDpT10_ENKUlT_T0_E_clISt17integral_constantIbLb1EES1P_EEDaS1K_S1L_EUlS1K_E_NS1_11comp_targetILNS1_3genE0ELNS1_11target_archE4294967295ELNS1_3gpuE0ELNS1_3repE0EEENS1_30default_config_static_selectorELNS0_4arch9wavefront6targetE1EEEvSY_,"axG",@progbits,_ZN7rocprim17ROCPRIM_400000_NS6detail17trampoline_kernelINS0_13select_configILj256ELj13ELNS0_17block_load_methodE3ELS4_3ELS4_3ELNS0_20block_scan_algorithmE0ELj4294967295EEENS1_25partition_config_selectorILNS1_17partition_subalgoE3EjNS0_10empty_typeEbEEZZNS1_14partition_implILS8_3ELb0ES6_jNS0_17counting_iteratorIjlEEPS9_SE_NS0_5tupleIJPjSE_EEENSF_IJSE_SE_EEES9_SG_JZNS1_25segmented_radix_sort_implINS0_14default_configELb0EPKiPiPKlPlN2at6native12_GLOBAL__N_18offset_tEEE10hipError_tPvRmT1_PNSt15iterator_traitsISY_E10value_typeET2_T3_PNSZ_IS14_E10value_typeET4_jRbjT5_S1A_jjP12ihipStream_tbEUljE_EEESV_SW_SX_S14_S18_S1A_T6_T7_T9_mT8_S1C_bDpT10_ENKUlT_T0_E_clISt17integral_constantIbLb1EES1P_EEDaS1K_S1L_EUlS1K_E_NS1_11comp_targetILNS1_3genE0ELNS1_11target_archE4294967295ELNS1_3gpuE0ELNS1_3repE0EEENS1_30default_config_static_selectorELNS0_4arch9wavefront6targetE1EEEvSY_,comdat
.Lfunc_end576:
	.size	_ZN7rocprim17ROCPRIM_400000_NS6detail17trampoline_kernelINS0_13select_configILj256ELj13ELNS0_17block_load_methodE3ELS4_3ELS4_3ELNS0_20block_scan_algorithmE0ELj4294967295EEENS1_25partition_config_selectorILNS1_17partition_subalgoE3EjNS0_10empty_typeEbEEZZNS1_14partition_implILS8_3ELb0ES6_jNS0_17counting_iteratorIjlEEPS9_SE_NS0_5tupleIJPjSE_EEENSF_IJSE_SE_EEES9_SG_JZNS1_25segmented_radix_sort_implINS0_14default_configELb0EPKiPiPKlPlN2at6native12_GLOBAL__N_18offset_tEEE10hipError_tPvRmT1_PNSt15iterator_traitsISY_E10value_typeET2_T3_PNSZ_IS14_E10value_typeET4_jRbjT5_S1A_jjP12ihipStream_tbEUljE_EEESV_SW_SX_S14_S18_S1A_T6_T7_T9_mT8_S1C_bDpT10_ENKUlT_T0_E_clISt17integral_constantIbLb1EES1P_EEDaS1K_S1L_EUlS1K_E_NS1_11comp_targetILNS1_3genE0ELNS1_11target_archE4294967295ELNS1_3gpuE0ELNS1_3repE0EEENS1_30default_config_static_selectorELNS0_4arch9wavefront6targetE1EEEvSY_, .Lfunc_end576-_ZN7rocprim17ROCPRIM_400000_NS6detail17trampoline_kernelINS0_13select_configILj256ELj13ELNS0_17block_load_methodE3ELS4_3ELS4_3ELNS0_20block_scan_algorithmE0ELj4294967295EEENS1_25partition_config_selectorILNS1_17partition_subalgoE3EjNS0_10empty_typeEbEEZZNS1_14partition_implILS8_3ELb0ES6_jNS0_17counting_iteratorIjlEEPS9_SE_NS0_5tupleIJPjSE_EEENSF_IJSE_SE_EEES9_SG_JZNS1_25segmented_radix_sort_implINS0_14default_configELb0EPKiPiPKlPlN2at6native12_GLOBAL__N_18offset_tEEE10hipError_tPvRmT1_PNSt15iterator_traitsISY_E10value_typeET2_T3_PNSZ_IS14_E10value_typeET4_jRbjT5_S1A_jjP12ihipStream_tbEUljE_EEESV_SW_SX_S14_S18_S1A_T6_T7_T9_mT8_S1C_bDpT10_ENKUlT_T0_E_clISt17integral_constantIbLb1EES1P_EEDaS1K_S1L_EUlS1K_E_NS1_11comp_targetILNS1_3genE0ELNS1_11target_archE4294967295ELNS1_3gpuE0ELNS1_3repE0EEENS1_30default_config_static_selectorELNS0_4arch9wavefront6targetE1EEEvSY_
                                        ; -- End function
	.set _ZN7rocprim17ROCPRIM_400000_NS6detail17trampoline_kernelINS0_13select_configILj256ELj13ELNS0_17block_load_methodE3ELS4_3ELS4_3ELNS0_20block_scan_algorithmE0ELj4294967295EEENS1_25partition_config_selectorILNS1_17partition_subalgoE3EjNS0_10empty_typeEbEEZZNS1_14partition_implILS8_3ELb0ES6_jNS0_17counting_iteratorIjlEEPS9_SE_NS0_5tupleIJPjSE_EEENSF_IJSE_SE_EEES9_SG_JZNS1_25segmented_radix_sort_implINS0_14default_configELb0EPKiPiPKlPlN2at6native12_GLOBAL__N_18offset_tEEE10hipError_tPvRmT1_PNSt15iterator_traitsISY_E10value_typeET2_T3_PNSZ_IS14_E10value_typeET4_jRbjT5_S1A_jjP12ihipStream_tbEUljE_EEESV_SW_SX_S14_S18_S1A_T6_T7_T9_mT8_S1C_bDpT10_ENKUlT_T0_E_clISt17integral_constantIbLb1EES1P_EEDaS1K_S1L_EUlS1K_E_NS1_11comp_targetILNS1_3genE0ELNS1_11target_archE4294967295ELNS1_3gpuE0ELNS1_3repE0EEENS1_30default_config_static_selectorELNS0_4arch9wavefront6targetE1EEEvSY_.num_vgpr, 0
	.set _ZN7rocprim17ROCPRIM_400000_NS6detail17trampoline_kernelINS0_13select_configILj256ELj13ELNS0_17block_load_methodE3ELS4_3ELS4_3ELNS0_20block_scan_algorithmE0ELj4294967295EEENS1_25partition_config_selectorILNS1_17partition_subalgoE3EjNS0_10empty_typeEbEEZZNS1_14partition_implILS8_3ELb0ES6_jNS0_17counting_iteratorIjlEEPS9_SE_NS0_5tupleIJPjSE_EEENSF_IJSE_SE_EEES9_SG_JZNS1_25segmented_radix_sort_implINS0_14default_configELb0EPKiPiPKlPlN2at6native12_GLOBAL__N_18offset_tEEE10hipError_tPvRmT1_PNSt15iterator_traitsISY_E10value_typeET2_T3_PNSZ_IS14_E10value_typeET4_jRbjT5_S1A_jjP12ihipStream_tbEUljE_EEESV_SW_SX_S14_S18_S1A_T6_T7_T9_mT8_S1C_bDpT10_ENKUlT_T0_E_clISt17integral_constantIbLb1EES1P_EEDaS1K_S1L_EUlS1K_E_NS1_11comp_targetILNS1_3genE0ELNS1_11target_archE4294967295ELNS1_3gpuE0ELNS1_3repE0EEENS1_30default_config_static_selectorELNS0_4arch9wavefront6targetE1EEEvSY_.num_agpr, 0
	.set _ZN7rocprim17ROCPRIM_400000_NS6detail17trampoline_kernelINS0_13select_configILj256ELj13ELNS0_17block_load_methodE3ELS4_3ELS4_3ELNS0_20block_scan_algorithmE0ELj4294967295EEENS1_25partition_config_selectorILNS1_17partition_subalgoE3EjNS0_10empty_typeEbEEZZNS1_14partition_implILS8_3ELb0ES6_jNS0_17counting_iteratorIjlEEPS9_SE_NS0_5tupleIJPjSE_EEENSF_IJSE_SE_EEES9_SG_JZNS1_25segmented_radix_sort_implINS0_14default_configELb0EPKiPiPKlPlN2at6native12_GLOBAL__N_18offset_tEEE10hipError_tPvRmT1_PNSt15iterator_traitsISY_E10value_typeET2_T3_PNSZ_IS14_E10value_typeET4_jRbjT5_S1A_jjP12ihipStream_tbEUljE_EEESV_SW_SX_S14_S18_S1A_T6_T7_T9_mT8_S1C_bDpT10_ENKUlT_T0_E_clISt17integral_constantIbLb1EES1P_EEDaS1K_S1L_EUlS1K_E_NS1_11comp_targetILNS1_3genE0ELNS1_11target_archE4294967295ELNS1_3gpuE0ELNS1_3repE0EEENS1_30default_config_static_selectorELNS0_4arch9wavefront6targetE1EEEvSY_.numbered_sgpr, 0
	.set _ZN7rocprim17ROCPRIM_400000_NS6detail17trampoline_kernelINS0_13select_configILj256ELj13ELNS0_17block_load_methodE3ELS4_3ELS4_3ELNS0_20block_scan_algorithmE0ELj4294967295EEENS1_25partition_config_selectorILNS1_17partition_subalgoE3EjNS0_10empty_typeEbEEZZNS1_14partition_implILS8_3ELb0ES6_jNS0_17counting_iteratorIjlEEPS9_SE_NS0_5tupleIJPjSE_EEENSF_IJSE_SE_EEES9_SG_JZNS1_25segmented_radix_sort_implINS0_14default_configELb0EPKiPiPKlPlN2at6native12_GLOBAL__N_18offset_tEEE10hipError_tPvRmT1_PNSt15iterator_traitsISY_E10value_typeET2_T3_PNSZ_IS14_E10value_typeET4_jRbjT5_S1A_jjP12ihipStream_tbEUljE_EEESV_SW_SX_S14_S18_S1A_T6_T7_T9_mT8_S1C_bDpT10_ENKUlT_T0_E_clISt17integral_constantIbLb1EES1P_EEDaS1K_S1L_EUlS1K_E_NS1_11comp_targetILNS1_3genE0ELNS1_11target_archE4294967295ELNS1_3gpuE0ELNS1_3repE0EEENS1_30default_config_static_selectorELNS0_4arch9wavefront6targetE1EEEvSY_.num_named_barrier, 0
	.set _ZN7rocprim17ROCPRIM_400000_NS6detail17trampoline_kernelINS0_13select_configILj256ELj13ELNS0_17block_load_methodE3ELS4_3ELS4_3ELNS0_20block_scan_algorithmE0ELj4294967295EEENS1_25partition_config_selectorILNS1_17partition_subalgoE3EjNS0_10empty_typeEbEEZZNS1_14partition_implILS8_3ELb0ES6_jNS0_17counting_iteratorIjlEEPS9_SE_NS0_5tupleIJPjSE_EEENSF_IJSE_SE_EEES9_SG_JZNS1_25segmented_radix_sort_implINS0_14default_configELb0EPKiPiPKlPlN2at6native12_GLOBAL__N_18offset_tEEE10hipError_tPvRmT1_PNSt15iterator_traitsISY_E10value_typeET2_T3_PNSZ_IS14_E10value_typeET4_jRbjT5_S1A_jjP12ihipStream_tbEUljE_EEESV_SW_SX_S14_S18_S1A_T6_T7_T9_mT8_S1C_bDpT10_ENKUlT_T0_E_clISt17integral_constantIbLb1EES1P_EEDaS1K_S1L_EUlS1K_E_NS1_11comp_targetILNS1_3genE0ELNS1_11target_archE4294967295ELNS1_3gpuE0ELNS1_3repE0EEENS1_30default_config_static_selectorELNS0_4arch9wavefront6targetE1EEEvSY_.private_seg_size, 0
	.set _ZN7rocprim17ROCPRIM_400000_NS6detail17trampoline_kernelINS0_13select_configILj256ELj13ELNS0_17block_load_methodE3ELS4_3ELS4_3ELNS0_20block_scan_algorithmE0ELj4294967295EEENS1_25partition_config_selectorILNS1_17partition_subalgoE3EjNS0_10empty_typeEbEEZZNS1_14partition_implILS8_3ELb0ES6_jNS0_17counting_iteratorIjlEEPS9_SE_NS0_5tupleIJPjSE_EEENSF_IJSE_SE_EEES9_SG_JZNS1_25segmented_radix_sort_implINS0_14default_configELb0EPKiPiPKlPlN2at6native12_GLOBAL__N_18offset_tEEE10hipError_tPvRmT1_PNSt15iterator_traitsISY_E10value_typeET2_T3_PNSZ_IS14_E10value_typeET4_jRbjT5_S1A_jjP12ihipStream_tbEUljE_EEESV_SW_SX_S14_S18_S1A_T6_T7_T9_mT8_S1C_bDpT10_ENKUlT_T0_E_clISt17integral_constantIbLb1EES1P_EEDaS1K_S1L_EUlS1K_E_NS1_11comp_targetILNS1_3genE0ELNS1_11target_archE4294967295ELNS1_3gpuE0ELNS1_3repE0EEENS1_30default_config_static_selectorELNS0_4arch9wavefront6targetE1EEEvSY_.uses_vcc, 0
	.set _ZN7rocprim17ROCPRIM_400000_NS6detail17trampoline_kernelINS0_13select_configILj256ELj13ELNS0_17block_load_methodE3ELS4_3ELS4_3ELNS0_20block_scan_algorithmE0ELj4294967295EEENS1_25partition_config_selectorILNS1_17partition_subalgoE3EjNS0_10empty_typeEbEEZZNS1_14partition_implILS8_3ELb0ES6_jNS0_17counting_iteratorIjlEEPS9_SE_NS0_5tupleIJPjSE_EEENSF_IJSE_SE_EEES9_SG_JZNS1_25segmented_radix_sort_implINS0_14default_configELb0EPKiPiPKlPlN2at6native12_GLOBAL__N_18offset_tEEE10hipError_tPvRmT1_PNSt15iterator_traitsISY_E10value_typeET2_T3_PNSZ_IS14_E10value_typeET4_jRbjT5_S1A_jjP12ihipStream_tbEUljE_EEESV_SW_SX_S14_S18_S1A_T6_T7_T9_mT8_S1C_bDpT10_ENKUlT_T0_E_clISt17integral_constantIbLb1EES1P_EEDaS1K_S1L_EUlS1K_E_NS1_11comp_targetILNS1_3genE0ELNS1_11target_archE4294967295ELNS1_3gpuE0ELNS1_3repE0EEENS1_30default_config_static_selectorELNS0_4arch9wavefront6targetE1EEEvSY_.uses_flat_scratch, 0
	.set _ZN7rocprim17ROCPRIM_400000_NS6detail17trampoline_kernelINS0_13select_configILj256ELj13ELNS0_17block_load_methodE3ELS4_3ELS4_3ELNS0_20block_scan_algorithmE0ELj4294967295EEENS1_25partition_config_selectorILNS1_17partition_subalgoE3EjNS0_10empty_typeEbEEZZNS1_14partition_implILS8_3ELb0ES6_jNS0_17counting_iteratorIjlEEPS9_SE_NS0_5tupleIJPjSE_EEENSF_IJSE_SE_EEES9_SG_JZNS1_25segmented_radix_sort_implINS0_14default_configELb0EPKiPiPKlPlN2at6native12_GLOBAL__N_18offset_tEEE10hipError_tPvRmT1_PNSt15iterator_traitsISY_E10value_typeET2_T3_PNSZ_IS14_E10value_typeET4_jRbjT5_S1A_jjP12ihipStream_tbEUljE_EEESV_SW_SX_S14_S18_S1A_T6_T7_T9_mT8_S1C_bDpT10_ENKUlT_T0_E_clISt17integral_constantIbLb1EES1P_EEDaS1K_S1L_EUlS1K_E_NS1_11comp_targetILNS1_3genE0ELNS1_11target_archE4294967295ELNS1_3gpuE0ELNS1_3repE0EEENS1_30default_config_static_selectorELNS0_4arch9wavefront6targetE1EEEvSY_.has_dyn_sized_stack, 0
	.set _ZN7rocprim17ROCPRIM_400000_NS6detail17trampoline_kernelINS0_13select_configILj256ELj13ELNS0_17block_load_methodE3ELS4_3ELS4_3ELNS0_20block_scan_algorithmE0ELj4294967295EEENS1_25partition_config_selectorILNS1_17partition_subalgoE3EjNS0_10empty_typeEbEEZZNS1_14partition_implILS8_3ELb0ES6_jNS0_17counting_iteratorIjlEEPS9_SE_NS0_5tupleIJPjSE_EEENSF_IJSE_SE_EEES9_SG_JZNS1_25segmented_radix_sort_implINS0_14default_configELb0EPKiPiPKlPlN2at6native12_GLOBAL__N_18offset_tEEE10hipError_tPvRmT1_PNSt15iterator_traitsISY_E10value_typeET2_T3_PNSZ_IS14_E10value_typeET4_jRbjT5_S1A_jjP12ihipStream_tbEUljE_EEESV_SW_SX_S14_S18_S1A_T6_T7_T9_mT8_S1C_bDpT10_ENKUlT_T0_E_clISt17integral_constantIbLb1EES1P_EEDaS1K_S1L_EUlS1K_E_NS1_11comp_targetILNS1_3genE0ELNS1_11target_archE4294967295ELNS1_3gpuE0ELNS1_3repE0EEENS1_30default_config_static_selectorELNS0_4arch9wavefront6targetE1EEEvSY_.has_recursion, 0
	.set _ZN7rocprim17ROCPRIM_400000_NS6detail17trampoline_kernelINS0_13select_configILj256ELj13ELNS0_17block_load_methodE3ELS4_3ELS4_3ELNS0_20block_scan_algorithmE0ELj4294967295EEENS1_25partition_config_selectorILNS1_17partition_subalgoE3EjNS0_10empty_typeEbEEZZNS1_14partition_implILS8_3ELb0ES6_jNS0_17counting_iteratorIjlEEPS9_SE_NS0_5tupleIJPjSE_EEENSF_IJSE_SE_EEES9_SG_JZNS1_25segmented_radix_sort_implINS0_14default_configELb0EPKiPiPKlPlN2at6native12_GLOBAL__N_18offset_tEEE10hipError_tPvRmT1_PNSt15iterator_traitsISY_E10value_typeET2_T3_PNSZ_IS14_E10value_typeET4_jRbjT5_S1A_jjP12ihipStream_tbEUljE_EEESV_SW_SX_S14_S18_S1A_T6_T7_T9_mT8_S1C_bDpT10_ENKUlT_T0_E_clISt17integral_constantIbLb1EES1P_EEDaS1K_S1L_EUlS1K_E_NS1_11comp_targetILNS1_3genE0ELNS1_11target_archE4294967295ELNS1_3gpuE0ELNS1_3repE0EEENS1_30default_config_static_selectorELNS0_4arch9wavefront6targetE1EEEvSY_.has_indirect_call, 0
	.section	.AMDGPU.csdata,"",@progbits
; Kernel info:
; codeLenInByte = 0
; TotalNumSgprs: 4
; NumVgprs: 0
; ScratchSize: 0
; MemoryBound: 0
; FloatMode: 240
; IeeeMode: 1
; LDSByteSize: 0 bytes/workgroup (compile time only)
; SGPRBlocks: 0
; VGPRBlocks: 0
; NumSGPRsForWavesPerEU: 4
; NumVGPRsForWavesPerEU: 1
; Occupancy: 10
; WaveLimiterHint : 0
; COMPUTE_PGM_RSRC2:SCRATCH_EN: 0
; COMPUTE_PGM_RSRC2:USER_SGPR: 6
; COMPUTE_PGM_RSRC2:TRAP_HANDLER: 0
; COMPUTE_PGM_RSRC2:TGID_X_EN: 1
; COMPUTE_PGM_RSRC2:TGID_Y_EN: 0
; COMPUTE_PGM_RSRC2:TGID_Z_EN: 0
; COMPUTE_PGM_RSRC2:TIDIG_COMP_CNT: 0
	.section	.text._ZN7rocprim17ROCPRIM_400000_NS6detail17trampoline_kernelINS0_13select_configILj256ELj13ELNS0_17block_load_methodE3ELS4_3ELS4_3ELNS0_20block_scan_algorithmE0ELj4294967295EEENS1_25partition_config_selectorILNS1_17partition_subalgoE3EjNS0_10empty_typeEbEEZZNS1_14partition_implILS8_3ELb0ES6_jNS0_17counting_iteratorIjlEEPS9_SE_NS0_5tupleIJPjSE_EEENSF_IJSE_SE_EEES9_SG_JZNS1_25segmented_radix_sort_implINS0_14default_configELb0EPKiPiPKlPlN2at6native12_GLOBAL__N_18offset_tEEE10hipError_tPvRmT1_PNSt15iterator_traitsISY_E10value_typeET2_T3_PNSZ_IS14_E10value_typeET4_jRbjT5_S1A_jjP12ihipStream_tbEUljE_EEESV_SW_SX_S14_S18_S1A_T6_T7_T9_mT8_S1C_bDpT10_ENKUlT_T0_E_clISt17integral_constantIbLb1EES1P_EEDaS1K_S1L_EUlS1K_E_NS1_11comp_targetILNS1_3genE5ELNS1_11target_archE942ELNS1_3gpuE9ELNS1_3repE0EEENS1_30default_config_static_selectorELNS0_4arch9wavefront6targetE1EEEvSY_,"axG",@progbits,_ZN7rocprim17ROCPRIM_400000_NS6detail17trampoline_kernelINS0_13select_configILj256ELj13ELNS0_17block_load_methodE3ELS4_3ELS4_3ELNS0_20block_scan_algorithmE0ELj4294967295EEENS1_25partition_config_selectorILNS1_17partition_subalgoE3EjNS0_10empty_typeEbEEZZNS1_14partition_implILS8_3ELb0ES6_jNS0_17counting_iteratorIjlEEPS9_SE_NS0_5tupleIJPjSE_EEENSF_IJSE_SE_EEES9_SG_JZNS1_25segmented_radix_sort_implINS0_14default_configELb0EPKiPiPKlPlN2at6native12_GLOBAL__N_18offset_tEEE10hipError_tPvRmT1_PNSt15iterator_traitsISY_E10value_typeET2_T3_PNSZ_IS14_E10value_typeET4_jRbjT5_S1A_jjP12ihipStream_tbEUljE_EEESV_SW_SX_S14_S18_S1A_T6_T7_T9_mT8_S1C_bDpT10_ENKUlT_T0_E_clISt17integral_constantIbLb1EES1P_EEDaS1K_S1L_EUlS1K_E_NS1_11comp_targetILNS1_3genE5ELNS1_11target_archE942ELNS1_3gpuE9ELNS1_3repE0EEENS1_30default_config_static_selectorELNS0_4arch9wavefront6targetE1EEEvSY_,comdat
	.globl	_ZN7rocprim17ROCPRIM_400000_NS6detail17trampoline_kernelINS0_13select_configILj256ELj13ELNS0_17block_load_methodE3ELS4_3ELS4_3ELNS0_20block_scan_algorithmE0ELj4294967295EEENS1_25partition_config_selectorILNS1_17partition_subalgoE3EjNS0_10empty_typeEbEEZZNS1_14partition_implILS8_3ELb0ES6_jNS0_17counting_iteratorIjlEEPS9_SE_NS0_5tupleIJPjSE_EEENSF_IJSE_SE_EEES9_SG_JZNS1_25segmented_radix_sort_implINS0_14default_configELb0EPKiPiPKlPlN2at6native12_GLOBAL__N_18offset_tEEE10hipError_tPvRmT1_PNSt15iterator_traitsISY_E10value_typeET2_T3_PNSZ_IS14_E10value_typeET4_jRbjT5_S1A_jjP12ihipStream_tbEUljE_EEESV_SW_SX_S14_S18_S1A_T6_T7_T9_mT8_S1C_bDpT10_ENKUlT_T0_E_clISt17integral_constantIbLb1EES1P_EEDaS1K_S1L_EUlS1K_E_NS1_11comp_targetILNS1_3genE5ELNS1_11target_archE942ELNS1_3gpuE9ELNS1_3repE0EEENS1_30default_config_static_selectorELNS0_4arch9wavefront6targetE1EEEvSY_ ; -- Begin function _ZN7rocprim17ROCPRIM_400000_NS6detail17trampoline_kernelINS0_13select_configILj256ELj13ELNS0_17block_load_methodE3ELS4_3ELS4_3ELNS0_20block_scan_algorithmE0ELj4294967295EEENS1_25partition_config_selectorILNS1_17partition_subalgoE3EjNS0_10empty_typeEbEEZZNS1_14partition_implILS8_3ELb0ES6_jNS0_17counting_iteratorIjlEEPS9_SE_NS0_5tupleIJPjSE_EEENSF_IJSE_SE_EEES9_SG_JZNS1_25segmented_radix_sort_implINS0_14default_configELb0EPKiPiPKlPlN2at6native12_GLOBAL__N_18offset_tEEE10hipError_tPvRmT1_PNSt15iterator_traitsISY_E10value_typeET2_T3_PNSZ_IS14_E10value_typeET4_jRbjT5_S1A_jjP12ihipStream_tbEUljE_EEESV_SW_SX_S14_S18_S1A_T6_T7_T9_mT8_S1C_bDpT10_ENKUlT_T0_E_clISt17integral_constantIbLb1EES1P_EEDaS1K_S1L_EUlS1K_E_NS1_11comp_targetILNS1_3genE5ELNS1_11target_archE942ELNS1_3gpuE9ELNS1_3repE0EEENS1_30default_config_static_selectorELNS0_4arch9wavefront6targetE1EEEvSY_
	.p2align	8
	.type	_ZN7rocprim17ROCPRIM_400000_NS6detail17trampoline_kernelINS0_13select_configILj256ELj13ELNS0_17block_load_methodE3ELS4_3ELS4_3ELNS0_20block_scan_algorithmE0ELj4294967295EEENS1_25partition_config_selectorILNS1_17partition_subalgoE3EjNS0_10empty_typeEbEEZZNS1_14partition_implILS8_3ELb0ES6_jNS0_17counting_iteratorIjlEEPS9_SE_NS0_5tupleIJPjSE_EEENSF_IJSE_SE_EEES9_SG_JZNS1_25segmented_radix_sort_implINS0_14default_configELb0EPKiPiPKlPlN2at6native12_GLOBAL__N_18offset_tEEE10hipError_tPvRmT1_PNSt15iterator_traitsISY_E10value_typeET2_T3_PNSZ_IS14_E10value_typeET4_jRbjT5_S1A_jjP12ihipStream_tbEUljE_EEESV_SW_SX_S14_S18_S1A_T6_T7_T9_mT8_S1C_bDpT10_ENKUlT_T0_E_clISt17integral_constantIbLb1EES1P_EEDaS1K_S1L_EUlS1K_E_NS1_11comp_targetILNS1_3genE5ELNS1_11target_archE942ELNS1_3gpuE9ELNS1_3repE0EEENS1_30default_config_static_selectorELNS0_4arch9wavefront6targetE1EEEvSY_,@function
_ZN7rocprim17ROCPRIM_400000_NS6detail17trampoline_kernelINS0_13select_configILj256ELj13ELNS0_17block_load_methodE3ELS4_3ELS4_3ELNS0_20block_scan_algorithmE0ELj4294967295EEENS1_25partition_config_selectorILNS1_17partition_subalgoE3EjNS0_10empty_typeEbEEZZNS1_14partition_implILS8_3ELb0ES6_jNS0_17counting_iteratorIjlEEPS9_SE_NS0_5tupleIJPjSE_EEENSF_IJSE_SE_EEES9_SG_JZNS1_25segmented_radix_sort_implINS0_14default_configELb0EPKiPiPKlPlN2at6native12_GLOBAL__N_18offset_tEEE10hipError_tPvRmT1_PNSt15iterator_traitsISY_E10value_typeET2_T3_PNSZ_IS14_E10value_typeET4_jRbjT5_S1A_jjP12ihipStream_tbEUljE_EEESV_SW_SX_S14_S18_S1A_T6_T7_T9_mT8_S1C_bDpT10_ENKUlT_T0_E_clISt17integral_constantIbLb1EES1P_EEDaS1K_S1L_EUlS1K_E_NS1_11comp_targetILNS1_3genE5ELNS1_11target_archE942ELNS1_3gpuE9ELNS1_3repE0EEENS1_30default_config_static_selectorELNS0_4arch9wavefront6targetE1EEEvSY_: ; @_ZN7rocprim17ROCPRIM_400000_NS6detail17trampoline_kernelINS0_13select_configILj256ELj13ELNS0_17block_load_methodE3ELS4_3ELS4_3ELNS0_20block_scan_algorithmE0ELj4294967295EEENS1_25partition_config_selectorILNS1_17partition_subalgoE3EjNS0_10empty_typeEbEEZZNS1_14partition_implILS8_3ELb0ES6_jNS0_17counting_iteratorIjlEEPS9_SE_NS0_5tupleIJPjSE_EEENSF_IJSE_SE_EEES9_SG_JZNS1_25segmented_radix_sort_implINS0_14default_configELb0EPKiPiPKlPlN2at6native12_GLOBAL__N_18offset_tEEE10hipError_tPvRmT1_PNSt15iterator_traitsISY_E10value_typeET2_T3_PNSZ_IS14_E10value_typeET4_jRbjT5_S1A_jjP12ihipStream_tbEUljE_EEESV_SW_SX_S14_S18_S1A_T6_T7_T9_mT8_S1C_bDpT10_ENKUlT_T0_E_clISt17integral_constantIbLb1EES1P_EEDaS1K_S1L_EUlS1K_E_NS1_11comp_targetILNS1_3genE5ELNS1_11target_archE942ELNS1_3gpuE9ELNS1_3repE0EEENS1_30default_config_static_selectorELNS0_4arch9wavefront6targetE1EEEvSY_
; %bb.0:
	.section	.rodata,"a",@progbits
	.p2align	6, 0x0
	.amdhsa_kernel _ZN7rocprim17ROCPRIM_400000_NS6detail17trampoline_kernelINS0_13select_configILj256ELj13ELNS0_17block_load_methodE3ELS4_3ELS4_3ELNS0_20block_scan_algorithmE0ELj4294967295EEENS1_25partition_config_selectorILNS1_17partition_subalgoE3EjNS0_10empty_typeEbEEZZNS1_14partition_implILS8_3ELb0ES6_jNS0_17counting_iteratorIjlEEPS9_SE_NS0_5tupleIJPjSE_EEENSF_IJSE_SE_EEES9_SG_JZNS1_25segmented_radix_sort_implINS0_14default_configELb0EPKiPiPKlPlN2at6native12_GLOBAL__N_18offset_tEEE10hipError_tPvRmT1_PNSt15iterator_traitsISY_E10value_typeET2_T3_PNSZ_IS14_E10value_typeET4_jRbjT5_S1A_jjP12ihipStream_tbEUljE_EEESV_SW_SX_S14_S18_S1A_T6_T7_T9_mT8_S1C_bDpT10_ENKUlT_T0_E_clISt17integral_constantIbLb1EES1P_EEDaS1K_S1L_EUlS1K_E_NS1_11comp_targetILNS1_3genE5ELNS1_11target_archE942ELNS1_3gpuE9ELNS1_3repE0EEENS1_30default_config_static_selectorELNS0_4arch9wavefront6targetE1EEEvSY_
		.amdhsa_group_segment_fixed_size 0
		.amdhsa_private_segment_fixed_size 0
		.amdhsa_kernarg_size 152
		.amdhsa_user_sgpr_count 6
		.amdhsa_user_sgpr_private_segment_buffer 1
		.amdhsa_user_sgpr_dispatch_ptr 0
		.amdhsa_user_sgpr_queue_ptr 0
		.amdhsa_user_sgpr_kernarg_segment_ptr 1
		.amdhsa_user_sgpr_dispatch_id 0
		.amdhsa_user_sgpr_flat_scratch_init 0
		.amdhsa_user_sgpr_private_segment_size 0
		.amdhsa_uses_dynamic_stack 0
		.amdhsa_system_sgpr_private_segment_wavefront_offset 0
		.amdhsa_system_sgpr_workgroup_id_x 1
		.amdhsa_system_sgpr_workgroup_id_y 0
		.amdhsa_system_sgpr_workgroup_id_z 0
		.amdhsa_system_sgpr_workgroup_info 0
		.amdhsa_system_vgpr_workitem_id 0
		.amdhsa_next_free_vgpr 1
		.amdhsa_next_free_sgpr 0
		.amdhsa_reserve_vcc 0
		.amdhsa_reserve_flat_scratch 0
		.amdhsa_float_round_mode_32 0
		.amdhsa_float_round_mode_16_64 0
		.amdhsa_float_denorm_mode_32 3
		.amdhsa_float_denorm_mode_16_64 3
		.amdhsa_dx10_clamp 1
		.amdhsa_ieee_mode 1
		.amdhsa_fp16_overflow 0
		.amdhsa_exception_fp_ieee_invalid_op 0
		.amdhsa_exception_fp_denorm_src 0
		.amdhsa_exception_fp_ieee_div_zero 0
		.amdhsa_exception_fp_ieee_overflow 0
		.amdhsa_exception_fp_ieee_underflow 0
		.amdhsa_exception_fp_ieee_inexact 0
		.amdhsa_exception_int_div_zero 0
	.end_amdhsa_kernel
	.section	.text._ZN7rocprim17ROCPRIM_400000_NS6detail17trampoline_kernelINS0_13select_configILj256ELj13ELNS0_17block_load_methodE3ELS4_3ELS4_3ELNS0_20block_scan_algorithmE0ELj4294967295EEENS1_25partition_config_selectorILNS1_17partition_subalgoE3EjNS0_10empty_typeEbEEZZNS1_14partition_implILS8_3ELb0ES6_jNS0_17counting_iteratorIjlEEPS9_SE_NS0_5tupleIJPjSE_EEENSF_IJSE_SE_EEES9_SG_JZNS1_25segmented_radix_sort_implINS0_14default_configELb0EPKiPiPKlPlN2at6native12_GLOBAL__N_18offset_tEEE10hipError_tPvRmT1_PNSt15iterator_traitsISY_E10value_typeET2_T3_PNSZ_IS14_E10value_typeET4_jRbjT5_S1A_jjP12ihipStream_tbEUljE_EEESV_SW_SX_S14_S18_S1A_T6_T7_T9_mT8_S1C_bDpT10_ENKUlT_T0_E_clISt17integral_constantIbLb1EES1P_EEDaS1K_S1L_EUlS1K_E_NS1_11comp_targetILNS1_3genE5ELNS1_11target_archE942ELNS1_3gpuE9ELNS1_3repE0EEENS1_30default_config_static_selectorELNS0_4arch9wavefront6targetE1EEEvSY_,"axG",@progbits,_ZN7rocprim17ROCPRIM_400000_NS6detail17trampoline_kernelINS0_13select_configILj256ELj13ELNS0_17block_load_methodE3ELS4_3ELS4_3ELNS0_20block_scan_algorithmE0ELj4294967295EEENS1_25partition_config_selectorILNS1_17partition_subalgoE3EjNS0_10empty_typeEbEEZZNS1_14partition_implILS8_3ELb0ES6_jNS0_17counting_iteratorIjlEEPS9_SE_NS0_5tupleIJPjSE_EEENSF_IJSE_SE_EEES9_SG_JZNS1_25segmented_radix_sort_implINS0_14default_configELb0EPKiPiPKlPlN2at6native12_GLOBAL__N_18offset_tEEE10hipError_tPvRmT1_PNSt15iterator_traitsISY_E10value_typeET2_T3_PNSZ_IS14_E10value_typeET4_jRbjT5_S1A_jjP12ihipStream_tbEUljE_EEESV_SW_SX_S14_S18_S1A_T6_T7_T9_mT8_S1C_bDpT10_ENKUlT_T0_E_clISt17integral_constantIbLb1EES1P_EEDaS1K_S1L_EUlS1K_E_NS1_11comp_targetILNS1_3genE5ELNS1_11target_archE942ELNS1_3gpuE9ELNS1_3repE0EEENS1_30default_config_static_selectorELNS0_4arch9wavefront6targetE1EEEvSY_,comdat
.Lfunc_end577:
	.size	_ZN7rocprim17ROCPRIM_400000_NS6detail17trampoline_kernelINS0_13select_configILj256ELj13ELNS0_17block_load_methodE3ELS4_3ELS4_3ELNS0_20block_scan_algorithmE0ELj4294967295EEENS1_25partition_config_selectorILNS1_17partition_subalgoE3EjNS0_10empty_typeEbEEZZNS1_14partition_implILS8_3ELb0ES6_jNS0_17counting_iteratorIjlEEPS9_SE_NS0_5tupleIJPjSE_EEENSF_IJSE_SE_EEES9_SG_JZNS1_25segmented_radix_sort_implINS0_14default_configELb0EPKiPiPKlPlN2at6native12_GLOBAL__N_18offset_tEEE10hipError_tPvRmT1_PNSt15iterator_traitsISY_E10value_typeET2_T3_PNSZ_IS14_E10value_typeET4_jRbjT5_S1A_jjP12ihipStream_tbEUljE_EEESV_SW_SX_S14_S18_S1A_T6_T7_T9_mT8_S1C_bDpT10_ENKUlT_T0_E_clISt17integral_constantIbLb1EES1P_EEDaS1K_S1L_EUlS1K_E_NS1_11comp_targetILNS1_3genE5ELNS1_11target_archE942ELNS1_3gpuE9ELNS1_3repE0EEENS1_30default_config_static_selectorELNS0_4arch9wavefront6targetE1EEEvSY_, .Lfunc_end577-_ZN7rocprim17ROCPRIM_400000_NS6detail17trampoline_kernelINS0_13select_configILj256ELj13ELNS0_17block_load_methodE3ELS4_3ELS4_3ELNS0_20block_scan_algorithmE0ELj4294967295EEENS1_25partition_config_selectorILNS1_17partition_subalgoE3EjNS0_10empty_typeEbEEZZNS1_14partition_implILS8_3ELb0ES6_jNS0_17counting_iteratorIjlEEPS9_SE_NS0_5tupleIJPjSE_EEENSF_IJSE_SE_EEES9_SG_JZNS1_25segmented_radix_sort_implINS0_14default_configELb0EPKiPiPKlPlN2at6native12_GLOBAL__N_18offset_tEEE10hipError_tPvRmT1_PNSt15iterator_traitsISY_E10value_typeET2_T3_PNSZ_IS14_E10value_typeET4_jRbjT5_S1A_jjP12ihipStream_tbEUljE_EEESV_SW_SX_S14_S18_S1A_T6_T7_T9_mT8_S1C_bDpT10_ENKUlT_T0_E_clISt17integral_constantIbLb1EES1P_EEDaS1K_S1L_EUlS1K_E_NS1_11comp_targetILNS1_3genE5ELNS1_11target_archE942ELNS1_3gpuE9ELNS1_3repE0EEENS1_30default_config_static_selectorELNS0_4arch9wavefront6targetE1EEEvSY_
                                        ; -- End function
	.set _ZN7rocprim17ROCPRIM_400000_NS6detail17trampoline_kernelINS0_13select_configILj256ELj13ELNS0_17block_load_methodE3ELS4_3ELS4_3ELNS0_20block_scan_algorithmE0ELj4294967295EEENS1_25partition_config_selectorILNS1_17partition_subalgoE3EjNS0_10empty_typeEbEEZZNS1_14partition_implILS8_3ELb0ES6_jNS0_17counting_iteratorIjlEEPS9_SE_NS0_5tupleIJPjSE_EEENSF_IJSE_SE_EEES9_SG_JZNS1_25segmented_radix_sort_implINS0_14default_configELb0EPKiPiPKlPlN2at6native12_GLOBAL__N_18offset_tEEE10hipError_tPvRmT1_PNSt15iterator_traitsISY_E10value_typeET2_T3_PNSZ_IS14_E10value_typeET4_jRbjT5_S1A_jjP12ihipStream_tbEUljE_EEESV_SW_SX_S14_S18_S1A_T6_T7_T9_mT8_S1C_bDpT10_ENKUlT_T0_E_clISt17integral_constantIbLb1EES1P_EEDaS1K_S1L_EUlS1K_E_NS1_11comp_targetILNS1_3genE5ELNS1_11target_archE942ELNS1_3gpuE9ELNS1_3repE0EEENS1_30default_config_static_selectorELNS0_4arch9wavefront6targetE1EEEvSY_.num_vgpr, 0
	.set _ZN7rocprim17ROCPRIM_400000_NS6detail17trampoline_kernelINS0_13select_configILj256ELj13ELNS0_17block_load_methodE3ELS4_3ELS4_3ELNS0_20block_scan_algorithmE0ELj4294967295EEENS1_25partition_config_selectorILNS1_17partition_subalgoE3EjNS0_10empty_typeEbEEZZNS1_14partition_implILS8_3ELb0ES6_jNS0_17counting_iteratorIjlEEPS9_SE_NS0_5tupleIJPjSE_EEENSF_IJSE_SE_EEES9_SG_JZNS1_25segmented_radix_sort_implINS0_14default_configELb0EPKiPiPKlPlN2at6native12_GLOBAL__N_18offset_tEEE10hipError_tPvRmT1_PNSt15iterator_traitsISY_E10value_typeET2_T3_PNSZ_IS14_E10value_typeET4_jRbjT5_S1A_jjP12ihipStream_tbEUljE_EEESV_SW_SX_S14_S18_S1A_T6_T7_T9_mT8_S1C_bDpT10_ENKUlT_T0_E_clISt17integral_constantIbLb1EES1P_EEDaS1K_S1L_EUlS1K_E_NS1_11comp_targetILNS1_3genE5ELNS1_11target_archE942ELNS1_3gpuE9ELNS1_3repE0EEENS1_30default_config_static_selectorELNS0_4arch9wavefront6targetE1EEEvSY_.num_agpr, 0
	.set _ZN7rocprim17ROCPRIM_400000_NS6detail17trampoline_kernelINS0_13select_configILj256ELj13ELNS0_17block_load_methodE3ELS4_3ELS4_3ELNS0_20block_scan_algorithmE0ELj4294967295EEENS1_25partition_config_selectorILNS1_17partition_subalgoE3EjNS0_10empty_typeEbEEZZNS1_14partition_implILS8_3ELb0ES6_jNS0_17counting_iteratorIjlEEPS9_SE_NS0_5tupleIJPjSE_EEENSF_IJSE_SE_EEES9_SG_JZNS1_25segmented_radix_sort_implINS0_14default_configELb0EPKiPiPKlPlN2at6native12_GLOBAL__N_18offset_tEEE10hipError_tPvRmT1_PNSt15iterator_traitsISY_E10value_typeET2_T3_PNSZ_IS14_E10value_typeET4_jRbjT5_S1A_jjP12ihipStream_tbEUljE_EEESV_SW_SX_S14_S18_S1A_T6_T7_T9_mT8_S1C_bDpT10_ENKUlT_T0_E_clISt17integral_constantIbLb1EES1P_EEDaS1K_S1L_EUlS1K_E_NS1_11comp_targetILNS1_3genE5ELNS1_11target_archE942ELNS1_3gpuE9ELNS1_3repE0EEENS1_30default_config_static_selectorELNS0_4arch9wavefront6targetE1EEEvSY_.numbered_sgpr, 0
	.set _ZN7rocprim17ROCPRIM_400000_NS6detail17trampoline_kernelINS0_13select_configILj256ELj13ELNS0_17block_load_methodE3ELS4_3ELS4_3ELNS0_20block_scan_algorithmE0ELj4294967295EEENS1_25partition_config_selectorILNS1_17partition_subalgoE3EjNS0_10empty_typeEbEEZZNS1_14partition_implILS8_3ELb0ES6_jNS0_17counting_iteratorIjlEEPS9_SE_NS0_5tupleIJPjSE_EEENSF_IJSE_SE_EEES9_SG_JZNS1_25segmented_radix_sort_implINS0_14default_configELb0EPKiPiPKlPlN2at6native12_GLOBAL__N_18offset_tEEE10hipError_tPvRmT1_PNSt15iterator_traitsISY_E10value_typeET2_T3_PNSZ_IS14_E10value_typeET4_jRbjT5_S1A_jjP12ihipStream_tbEUljE_EEESV_SW_SX_S14_S18_S1A_T6_T7_T9_mT8_S1C_bDpT10_ENKUlT_T0_E_clISt17integral_constantIbLb1EES1P_EEDaS1K_S1L_EUlS1K_E_NS1_11comp_targetILNS1_3genE5ELNS1_11target_archE942ELNS1_3gpuE9ELNS1_3repE0EEENS1_30default_config_static_selectorELNS0_4arch9wavefront6targetE1EEEvSY_.num_named_barrier, 0
	.set _ZN7rocprim17ROCPRIM_400000_NS6detail17trampoline_kernelINS0_13select_configILj256ELj13ELNS0_17block_load_methodE3ELS4_3ELS4_3ELNS0_20block_scan_algorithmE0ELj4294967295EEENS1_25partition_config_selectorILNS1_17partition_subalgoE3EjNS0_10empty_typeEbEEZZNS1_14partition_implILS8_3ELb0ES6_jNS0_17counting_iteratorIjlEEPS9_SE_NS0_5tupleIJPjSE_EEENSF_IJSE_SE_EEES9_SG_JZNS1_25segmented_radix_sort_implINS0_14default_configELb0EPKiPiPKlPlN2at6native12_GLOBAL__N_18offset_tEEE10hipError_tPvRmT1_PNSt15iterator_traitsISY_E10value_typeET2_T3_PNSZ_IS14_E10value_typeET4_jRbjT5_S1A_jjP12ihipStream_tbEUljE_EEESV_SW_SX_S14_S18_S1A_T6_T7_T9_mT8_S1C_bDpT10_ENKUlT_T0_E_clISt17integral_constantIbLb1EES1P_EEDaS1K_S1L_EUlS1K_E_NS1_11comp_targetILNS1_3genE5ELNS1_11target_archE942ELNS1_3gpuE9ELNS1_3repE0EEENS1_30default_config_static_selectorELNS0_4arch9wavefront6targetE1EEEvSY_.private_seg_size, 0
	.set _ZN7rocprim17ROCPRIM_400000_NS6detail17trampoline_kernelINS0_13select_configILj256ELj13ELNS0_17block_load_methodE3ELS4_3ELS4_3ELNS0_20block_scan_algorithmE0ELj4294967295EEENS1_25partition_config_selectorILNS1_17partition_subalgoE3EjNS0_10empty_typeEbEEZZNS1_14partition_implILS8_3ELb0ES6_jNS0_17counting_iteratorIjlEEPS9_SE_NS0_5tupleIJPjSE_EEENSF_IJSE_SE_EEES9_SG_JZNS1_25segmented_radix_sort_implINS0_14default_configELb0EPKiPiPKlPlN2at6native12_GLOBAL__N_18offset_tEEE10hipError_tPvRmT1_PNSt15iterator_traitsISY_E10value_typeET2_T3_PNSZ_IS14_E10value_typeET4_jRbjT5_S1A_jjP12ihipStream_tbEUljE_EEESV_SW_SX_S14_S18_S1A_T6_T7_T9_mT8_S1C_bDpT10_ENKUlT_T0_E_clISt17integral_constantIbLb1EES1P_EEDaS1K_S1L_EUlS1K_E_NS1_11comp_targetILNS1_3genE5ELNS1_11target_archE942ELNS1_3gpuE9ELNS1_3repE0EEENS1_30default_config_static_selectorELNS0_4arch9wavefront6targetE1EEEvSY_.uses_vcc, 0
	.set _ZN7rocprim17ROCPRIM_400000_NS6detail17trampoline_kernelINS0_13select_configILj256ELj13ELNS0_17block_load_methodE3ELS4_3ELS4_3ELNS0_20block_scan_algorithmE0ELj4294967295EEENS1_25partition_config_selectorILNS1_17partition_subalgoE3EjNS0_10empty_typeEbEEZZNS1_14partition_implILS8_3ELb0ES6_jNS0_17counting_iteratorIjlEEPS9_SE_NS0_5tupleIJPjSE_EEENSF_IJSE_SE_EEES9_SG_JZNS1_25segmented_radix_sort_implINS0_14default_configELb0EPKiPiPKlPlN2at6native12_GLOBAL__N_18offset_tEEE10hipError_tPvRmT1_PNSt15iterator_traitsISY_E10value_typeET2_T3_PNSZ_IS14_E10value_typeET4_jRbjT5_S1A_jjP12ihipStream_tbEUljE_EEESV_SW_SX_S14_S18_S1A_T6_T7_T9_mT8_S1C_bDpT10_ENKUlT_T0_E_clISt17integral_constantIbLb1EES1P_EEDaS1K_S1L_EUlS1K_E_NS1_11comp_targetILNS1_3genE5ELNS1_11target_archE942ELNS1_3gpuE9ELNS1_3repE0EEENS1_30default_config_static_selectorELNS0_4arch9wavefront6targetE1EEEvSY_.uses_flat_scratch, 0
	.set _ZN7rocprim17ROCPRIM_400000_NS6detail17trampoline_kernelINS0_13select_configILj256ELj13ELNS0_17block_load_methodE3ELS4_3ELS4_3ELNS0_20block_scan_algorithmE0ELj4294967295EEENS1_25partition_config_selectorILNS1_17partition_subalgoE3EjNS0_10empty_typeEbEEZZNS1_14partition_implILS8_3ELb0ES6_jNS0_17counting_iteratorIjlEEPS9_SE_NS0_5tupleIJPjSE_EEENSF_IJSE_SE_EEES9_SG_JZNS1_25segmented_radix_sort_implINS0_14default_configELb0EPKiPiPKlPlN2at6native12_GLOBAL__N_18offset_tEEE10hipError_tPvRmT1_PNSt15iterator_traitsISY_E10value_typeET2_T3_PNSZ_IS14_E10value_typeET4_jRbjT5_S1A_jjP12ihipStream_tbEUljE_EEESV_SW_SX_S14_S18_S1A_T6_T7_T9_mT8_S1C_bDpT10_ENKUlT_T0_E_clISt17integral_constantIbLb1EES1P_EEDaS1K_S1L_EUlS1K_E_NS1_11comp_targetILNS1_3genE5ELNS1_11target_archE942ELNS1_3gpuE9ELNS1_3repE0EEENS1_30default_config_static_selectorELNS0_4arch9wavefront6targetE1EEEvSY_.has_dyn_sized_stack, 0
	.set _ZN7rocprim17ROCPRIM_400000_NS6detail17trampoline_kernelINS0_13select_configILj256ELj13ELNS0_17block_load_methodE3ELS4_3ELS4_3ELNS0_20block_scan_algorithmE0ELj4294967295EEENS1_25partition_config_selectorILNS1_17partition_subalgoE3EjNS0_10empty_typeEbEEZZNS1_14partition_implILS8_3ELb0ES6_jNS0_17counting_iteratorIjlEEPS9_SE_NS0_5tupleIJPjSE_EEENSF_IJSE_SE_EEES9_SG_JZNS1_25segmented_radix_sort_implINS0_14default_configELb0EPKiPiPKlPlN2at6native12_GLOBAL__N_18offset_tEEE10hipError_tPvRmT1_PNSt15iterator_traitsISY_E10value_typeET2_T3_PNSZ_IS14_E10value_typeET4_jRbjT5_S1A_jjP12ihipStream_tbEUljE_EEESV_SW_SX_S14_S18_S1A_T6_T7_T9_mT8_S1C_bDpT10_ENKUlT_T0_E_clISt17integral_constantIbLb1EES1P_EEDaS1K_S1L_EUlS1K_E_NS1_11comp_targetILNS1_3genE5ELNS1_11target_archE942ELNS1_3gpuE9ELNS1_3repE0EEENS1_30default_config_static_selectorELNS0_4arch9wavefront6targetE1EEEvSY_.has_recursion, 0
	.set _ZN7rocprim17ROCPRIM_400000_NS6detail17trampoline_kernelINS0_13select_configILj256ELj13ELNS0_17block_load_methodE3ELS4_3ELS4_3ELNS0_20block_scan_algorithmE0ELj4294967295EEENS1_25partition_config_selectorILNS1_17partition_subalgoE3EjNS0_10empty_typeEbEEZZNS1_14partition_implILS8_3ELb0ES6_jNS0_17counting_iteratorIjlEEPS9_SE_NS0_5tupleIJPjSE_EEENSF_IJSE_SE_EEES9_SG_JZNS1_25segmented_radix_sort_implINS0_14default_configELb0EPKiPiPKlPlN2at6native12_GLOBAL__N_18offset_tEEE10hipError_tPvRmT1_PNSt15iterator_traitsISY_E10value_typeET2_T3_PNSZ_IS14_E10value_typeET4_jRbjT5_S1A_jjP12ihipStream_tbEUljE_EEESV_SW_SX_S14_S18_S1A_T6_T7_T9_mT8_S1C_bDpT10_ENKUlT_T0_E_clISt17integral_constantIbLb1EES1P_EEDaS1K_S1L_EUlS1K_E_NS1_11comp_targetILNS1_3genE5ELNS1_11target_archE942ELNS1_3gpuE9ELNS1_3repE0EEENS1_30default_config_static_selectorELNS0_4arch9wavefront6targetE1EEEvSY_.has_indirect_call, 0
	.section	.AMDGPU.csdata,"",@progbits
; Kernel info:
; codeLenInByte = 0
; TotalNumSgprs: 4
; NumVgprs: 0
; ScratchSize: 0
; MemoryBound: 0
; FloatMode: 240
; IeeeMode: 1
; LDSByteSize: 0 bytes/workgroup (compile time only)
; SGPRBlocks: 0
; VGPRBlocks: 0
; NumSGPRsForWavesPerEU: 4
; NumVGPRsForWavesPerEU: 1
; Occupancy: 10
; WaveLimiterHint : 0
; COMPUTE_PGM_RSRC2:SCRATCH_EN: 0
; COMPUTE_PGM_RSRC2:USER_SGPR: 6
; COMPUTE_PGM_RSRC2:TRAP_HANDLER: 0
; COMPUTE_PGM_RSRC2:TGID_X_EN: 1
; COMPUTE_PGM_RSRC2:TGID_Y_EN: 0
; COMPUTE_PGM_RSRC2:TGID_Z_EN: 0
; COMPUTE_PGM_RSRC2:TIDIG_COMP_CNT: 0
	.section	.text._ZN7rocprim17ROCPRIM_400000_NS6detail17trampoline_kernelINS0_13select_configILj256ELj13ELNS0_17block_load_methodE3ELS4_3ELS4_3ELNS0_20block_scan_algorithmE0ELj4294967295EEENS1_25partition_config_selectorILNS1_17partition_subalgoE3EjNS0_10empty_typeEbEEZZNS1_14partition_implILS8_3ELb0ES6_jNS0_17counting_iteratorIjlEEPS9_SE_NS0_5tupleIJPjSE_EEENSF_IJSE_SE_EEES9_SG_JZNS1_25segmented_radix_sort_implINS0_14default_configELb0EPKiPiPKlPlN2at6native12_GLOBAL__N_18offset_tEEE10hipError_tPvRmT1_PNSt15iterator_traitsISY_E10value_typeET2_T3_PNSZ_IS14_E10value_typeET4_jRbjT5_S1A_jjP12ihipStream_tbEUljE_EEESV_SW_SX_S14_S18_S1A_T6_T7_T9_mT8_S1C_bDpT10_ENKUlT_T0_E_clISt17integral_constantIbLb1EES1P_EEDaS1K_S1L_EUlS1K_E_NS1_11comp_targetILNS1_3genE4ELNS1_11target_archE910ELNS1_3gpuE8ELNS1_3repE0EEENS1_30default_config_static_selectorELNS0_4arch9wavefront6targetE1EEEvSY_,"axG",@progbits,_ZN7rocprim17ROCPRIM_400000_NS6detail17trampoline_kernelINS0_13select_configILj256ELj13ELNS0_17block_load_methodE3ELS4_3ELS4_3ELNS0_20block_scan_algorithmE0ELj4294967295EEENS1_25partition_config_selectorILNS1_17partition_subalgoE3EjNS0_10empty_typeEbEEZZNS1_14partition_implILS8_3ELb0ES6_jNS0_17counting_iteratorIjlEEPS9_SE_NS0_5tupleIJPjSE_EEENSF_IJSE_SE_EEES9_SG_JZNS1_25segmented_radix_sort_implINS0_14default_configELb0EPKiPiPKlPlN2at6native12_GLOBAL__N_18offset_tEEE10hipError_tPvRmT1_PNSt15iterator_traitsISY_E10value_typeET2_T3_PNSZ_IS14_E10value_typeET4_jRbjT5_S1A_jjP12ihipStream_tbEUljE_EEESV_SW_SX_S14_S18_S1A_T6_T7_T9_mT8_S1C_bDpT10_ENKUlT_T0_E_clISt17integral_constantIbLb1EES1P_EEDaS1K_S1L_EUlS1K_E_NS1_11comp_targetILNS1_3genE4ELNS1_11target_archE910ELNS1_3gpuE8ELNS1_3repE0EEENS1_30default_config_static_selectorELNS0_4arch9wavefront6targetE1EEEvSY_,comdat
	.globl	_ZN7rocprim17ROCPRIM_400000_NS6detail17trampoline_kernelINS0_13select_configILj256ELj13ELNS0_17block_load_methodE3ELS4_3ELS4_3ELNS0_20block_scan_algorithmE0ELj4294967295EEENS1_25partition_config_selectorILNS1_17partition_subalgoE3EjNS0_10empty_typeEbEEZZNS1_14partition_implILS8_3ELb0ES6_jNS0_17counting_iteratorIjlEEPS9_SE_NS0_5tupleIJPjSE_EEENSF_IJSE_SE_EEES9_SG_JZNS1_25segmented_radix_sort_implINS0_14default_configELb0EPKiPiPKlPlN2at6native12_GLOBAL__N_18offset_tEEE10hipError_tPvRmT1_PNSt15iterator_traitsISY_E10value_typeET2_T3_PNSZ_IS14_E10value_typeET4_jRbjT5_S1A_jjP12ihipStream_tbEUljE_EEESV_SW_SX_S14_S18_S1A_T6_T7_T9_mT8_S1C_bDpT10_ENKUlT_T0_E_clISt17integral_constantIbLb1EES1P_EEDaS1K_S1L_EUlS1K_E_NS1_11comp_targetILNS1_3genE4ELNS1_11target_archE910ELNS1_3gpuE8ELNS1_3repE0EEENS1_30default_config_static_selectorELNS0_4arch9wavefront6targetE1EEEvSY_ ; -- Begin function _ZN7rocprim17ROCPRIM_400000_NS6detail17trampoline_kernelINS0_13select_configILj256ELj13ELNS0_17block_load_methodE3ELS4_3ELS4_3ELNS0_20block_scan_algorithmE0ELj4294967295EEENS1_25partition_config_selectorILNS1_17partition_subalgoE3EjNS0_10empty_typeEbEEZZNS1_14partition_implILS8_3ELb0ES6_jNS0_17counting_iteratorIjlEEPS9_SE_NS0_5tupleIJPjSE_EEENSF_IJSE_SE_EEES9_SG_JZNS1_25segmented_radix_sort_implINS0_14default_configELb0EPKiPiPKlPlN2at6native12_GLOBAL__N_18offset_tEEE10hipError_tPvRmT1_PNSt15iterator_traitsISY_E10value_typeET2_T3_PNSZ_IS14_E10value_typeET4_jRbjT5_S1A_jjP12ihipStream_tbEUljE_EEESV_SW_SX_S14_S18_S1A_T6_T7_T9_mT8_S1C_bDpT10_ENKUlT_T0_E_clISt17integral_constantIbLb1EES1P_EEDaS1K_S1L_EUlS1K_E_NS1_11comp_targetILNS1_3genE4ELNS1_11target_archE910ELNS1_3gpuE8ELNS1_3repE0EEENS1_30default_config_static_selectorELNS0_4arch9wavefront6targetE1EEEvSY_
	.p2align	8
	.type	_ZN7rocprim17ROCPRIM_400000_NS6detail17trampoline_kernelINS0_13select_configILj256ELj13ELNS0_17block_load_methodE3ELS4_3ELS4_3ELNS0_20block_scan_algorithmE0ELj4294967295EEENS1_25partition_config_selectorILNS1_17partition_subalgoE3EjNS0_10empty_typeEbEEZZNS1_14partition_implILS8_3ELb0ES6_jNS0_17counting_iteratorIjlEEPS9_SE_NS0_5tupleIJPjSE_EEENSF_IJSE_SE_EEES9_SG_JZNS1_25segmented_radix_sort_implINS0_14default_configELb0EPKiPiPKlPlN2at6native12_GLOBAL__N_18offset_tEEE10hipError_tPvRmT1_PNSt15iterator_traitsISY_E10value_typeET2_T3_PNSZ_IS14_E10value_typeET4_jRbjT5_S1A_jjP12ihipStream_tbEUljE_EEESV_SW_SX_S14_S18_S1A_T6_T7_T9_mT8_S1C_bDpT10_ENKUlT_T0_E_clISt17integral_constantIbLb1EES1P_EEDaS1K_S1L_EUlS1K_E_NS1_11comp_targetILNS1_3genE4ELNS1_11target_archE910ELNS1_3gpuE8ELNS1_3repE0EEENS1_30default_config_static_selectorELNS0_4arch9wavefront6targetE1EEEvSY_,@function
_ZN7rocprim17ROCPRIM_400000_NS6detail17trampoline_kernelINS0_13select_configILj256ELj13ELNS0_17block_load_methodE3ELS4_3ELS4_3ELNS0_20block_scan_algorithmE0ELj4294967295EEENS1_25partition_config_selectorILNS1_17partition_subalgoE3EjNS0_10empty_typeEbEEZZNS1_14partition_implILS8_3ELb0ES6_jNS0_17counting_iteratorIjlEEPS9_SE_NS0_5tupleIJPjSE_EEENSF_IJSE_SE_EEES9_SG_JZNS1_25segmented_radix_sort_implINS0_14default_configELb0EPKiPiPKlPlN2at6native12_GLOBAL__N_18offset_tEEE10hipError_tPvRmT1_PNSt15iterator_traitsISY_E10value_typeET2_T3_PNSZ_IS14_E10value_typeET4_jRbjT5_S1A_jjP12ihipStream_tbEUljE_EEESV_SW_SX_S14_S18_S1A_T6_T7_T9_mT8_S1C_bDpT10_ENKUlT_T0_E_clISt17integral_constantIbLb1EES1P_EEDaS1K_S1L_EUlS1K_E_NS1_11comp_targetILNS1_3genE4ELNS1_11target_archE910ELNS1_3gpuE8ELNS1_3repE0EEENS1_30default_config_static_selectorELNS0_4arch9wavefront6targetE1EEEvSY_: ; @_ZN7rocprim17ROCPRIM_400000_NS6detail17trampoline_kernelINS0_13select_configILj256ELj13ELNS0_17block_load_methodE3ELS4_3ELS4_3ELNS0_20block_scan_algorithmE0ELj4294967295EEENS1_25partition_config_selectorILNS1_17partition_subalgoE3EjNS0_10empty_typeEbEEZZNS1_14partition_implILS8_3ELb0ES6_jNS0_17counting_iteratorIjlEEPS9_SE_NS0_5tupleIJPjSE_EEENSF_IJSE_SE_EEES9_SG_JZNS1_25segmented_radix_sort_implINS0_14default_configELb0EPKiPiPKlPlN2at6native12_GLOBAL__N_18offset_tEEE10hipError_tPvRmT1_PNSt15iterator_traitsISY_E10value_typeET2_T3_PNSZ_IS14_E10value_typeET4_jRbjT5_S1A_jjP12ihipStream_tbEUljE_EEESV_SW_SX_S14_S18_S1A_T6_T7_T9_mT8_S1C_bDpT10_ENKUlT_T0_E_clISt17integral_constantIbLb1EES1P_EEDaS1K_S1L_EUlS1K_E_NS1_11comp_targetILNS1_3genE4ELNS1_11target_archE910ELNS1_3gpuE8ELNS1_3repE0EEENS1_30default_config_static_selectorELNS0_4arch9wavefront6targetE1EEEvSY_
; %bb.0:
	.section	.rodata,"a",@progbits
	.p2align	6, 0x0
	.amdhsa_kernel _ZN7rocprim17ROCPRIM_400000_NS6detail17trampoline_kernelINS0_13select_configILj256ELj13ELNS0_17block_load_methodE3ELS4_3ELS4_3ELNS0_20block_scan_algorithmE0ELj4294967295EEENS1_25partition_config_selectorILNS1_17partition_subalgoE3EjNS0_10empty_typeEbEEZZNS1_14partition_implILS8_3ELb0ES6_jNS0_17counting_iteratorIjlEEPS9_SE_NS0_5tupleIJPjSE_EEENSF_IJSE_SE_EEES9_SG_JZNS1_25segmented_radix_sort_implINS0_14default_configELb0EPKiPiPKlPlN2at6native12_GLOBAL__N_18offset_tEEE10hipError_tPvRmT1_PNSt15iterator_traitsISY_E10value_typeET2_T3_PNSZ_IS14_E10value_typeET4_jRbjT5_S1A_jjP12ihipStream_tbEUljE_EEESV_SW_SX_S14_S18_S1A_T6_T7_T9_mT8_S1C_bDpT10_ENKUlT_T0_E_clISt17integral_constantIbLb1EES1P_EEDaS1K_S1L_EUlS1K_E_NS1_11comp_targetILNS1_3genE4ELNS1_11target_archE910ELNS1_3gpuE8ELNS1_3repE0EEENS1_30default_config_static_selectorELNS0_4arch9wavefront6targetE1EEEvSY_
		.amdhsa_group_segment_fixed_size 0
		.amdhsa_private_segment_fixed_size 0
		.amdhsa_kernarg_size 152
		.amdhsa_user_sgpr_count 6
		.amdhsa_user_sgpr_private_segment_buffer 1
		.amdhsa_user_sgpr_dispatch_ptr 0
		.amdhsa_user_sgpr_queue_ptr 0
		.amdhsa_user_sgpr_kernarg_segment_ptr 1
		.amdhsa_user_sgpr_dispatch_id 0
		.amdhsa_user_sgpr_flat_scratch_init 0
		.amdhsa_user_sgpr_private_segment_size 0
		.amdhsa_uses_dynamic_stack 0
		.amdhsa_system_sgpr_private_segment_wavefront_offset 0
		.amdhsa_system_sgpr_workgroup_id_x 1
		.amdhsa_system_sgpr_workgroup_id_y 0
		.amdhsa_system_sgpr_workgroup_id_z 0
		.amdhsa_system_sgpr_workgroup_info 0
		.amdhsa_system_vgpr_workitem_id 0
		.amdhsa_next_free_vgpr 1
		.amdhsa_next_free_sgpr 0
		.amdhsa_reserve_vcc 0
		.amdhsa_reserve_flat_scratch 0
		.amdhsa_float_round_mode_32 0
		.amdhsa_float_round_mode_16_64 0
		.amdhsa_float_denorm_mode_32 3
		.amdhsa_float_denorm_mode_16_64 3
		.amdhsa_dx10_clamp 1
		.amdhsa_ieee_mode 1
		.amdhsa_fp16_overflow 0
		.amdhsa_exception_fp_ieee_invalid_op 0
		.amdhsa_exception_fp_denorm_src 0
		.amdhsa_exception_fp_ieee_div_zero 0
		.amdhsa_exception_fp_ieee_overflow 0
		.amdhsa_exception_fp_ieee_underflow 0
		.amdhsa_exception_fp_ieee_inexact 0
		.amdhsa_exception_int_div_zero 0
	.end_amdhsa_kernel
	.section	.text._ZN7rocprim17ROCPRIM_400000_NS6detail17trampoline_kernelINS0_13select_configILj256ELj13ELNS0_17block_load_methodE3ELS4_3ELS4_3ELNS0_20block_scan_algorithmE0ELj4294967295EEENS1_25partition_config_selectorILNS1_17partition_subalgoE3EjNS0_10empty_typeEbEEZZNS1_14partition_implILS8_3ELb0ES6_jNS0_17counting_iteratorIjlEEPS9_SE_NS0_5tupleIJPjSE_EEENSF_IJSE_SE_EEES9_SG_JZNS1_25segmented_radix_sort_implINS0_14default_configELb0EPKiPiPKlPlN2at6native12_GLOBAL__N_18offset_tEEE10hipError_tPvRmT1_PNSt15iterator_traitsISY_E10value_typeET2_T3_PNSZ_IS14_E10value_typeET4_jRbjT5_S1A_jjP12ihipStream_tbEUljE_EEESV_SW_SX_S14_S18_S1A_T6_T7_T9_mT8_S1C_bDpT10_ENKUlT_T0_E_clISt17integral_constantIbLb1EES1P_EEDaS1K_S1L_EUlS1K_E_NS1_11comp_targetILNS1_3genE4ELNS1_11target_archE910ELNS1_3gpuE8ELNS1_3repE0EEENS1_30default_config_static_selectorELNS0_4arch9wavefront6targetE1EEEvSY_,"axG",@progbits,_ZN7rocprim17ROCPRIM_400000_NS6detail17trampoline_kernelINS0_13select_configILj256ELj13ELNS0_17block_load_methodE3ELS4_3ELS4_3ELNS0_20block_scan_algorithmE0ELj4294967295EEENS1_25partition_config_selectorILNS1_17partition_subalgoE3EjNS0_10empty_typeEbEEZZNS1_14partition_implILS8_3ELb0ES6_jNS0_17counting_iteratorIjlEEPS9_SE_NS0_5tupleIJPjSE_EEENSF_IJSE_SE_EEES9_SG_JZNS1_25segmented_radix_sort_implINS0_14default_configELb0EPKiPiPKlPlN2at6native12_GLOBAL__N_18offset_tEEE10hipError_tPvRmT1_PNSt15iterator_traitsISY_E10value_typeET2_T3_PNSZ_IS14_E10value_typeET4_jRbjT5_S1A_jjP12ihipStream_tbEUljE_EEESV_SW_SX_S14_S18_S1A_T6_T7_T9_mT8_S1C_bDpT10_ENKUlT_T0_E_clISt17integral_constantIbLb1EES1P_EEDaS1K_S1L_EUlS1K_E_NS1_11comp_targetILNS1_3genE4ELNS1_11target_archE910ELNS1_3gpuE8ELNS1_3repE0EEENS1_30default_config_static_selectorELNS0_4arch9wavefront6targetE1EEEvSY_,comdat
.Lfunc_end578:
	.size	_ZN7rocprim17ROCPRIM_400000_NS6detail17trampoline_kernelINS0_13select_configILj256ELj13ELNS0_17block_load_methodE3ELS4_3ELS4_3ELNS0_20block_scan_algorithmE0ELj4294967295EEENS1_25partition_config_selectorILNS1_17partition_subalgoE3EjNS0_10empty_typeEbEEZZNS1_14partition_implILS8_3ELb0ES6_jNS0_17counting_iteratorIjlEEPS9_SE_NS0_5tupleIJPjSE_EEENSF_IJSE_SE_EEES9_SG_JZNS1_25segmented_radix_sort_implINS0_14default_configELb0EPKiPiPKlPlN2at6native12_GLOBAL__N_18offset_tEEE10hipError_tPvRmT1_PNSt15iterator_traitsISY_E10value_typeET2_T3_PNSZ_IS14_E10value_typeET4_jRbjT5_S1A_jjP12ihipStream_tbEUljE_EEESV_SW_SX_S14_S18_S1A_T6_T7_T9_mT8_S1C_bDpT10_ENKUlT_T0_E_clISt17integral_constantIbLb1EES1P_EEDaS1K_S1L_EUlS1K_E_NS1_11comp_targetILNS1_3genE4ELNS1_11target_archE910ELNS1_3gpuE8ELNS1_3repE0EEENS1_30default_config_static_selectorELNS0_4arch9wavefront6targetE1EEEvSY_, .Lfunc_end578-_ZN7rocprim17ROCPRIM_400000_NS6detail17trampoline_kernelINS0_13select_configILj256ELj13ELNS0_17block_load_methodE3ELS4_3ELS4_3ELNS0_20block_scan_algorithmE0ELj4294967295EEENS1_25partition_config_selectorILNS1_17partition_subalgoE3EjNS0_10empty_typeEbEEZZNS1_14partition_implILS8_3ELb0ES6_jNS0_17counting_iteratorIjlEEPS9_SE_NS0_5tupleIJPjSE_EEENSF_IJSE_SE_EEES9_SG_JZNS1_25segmented_radix_sort_implINS0_14default_configELb0EPKiPiPKlPlN2at6native12_GLOBAL__N_18offset_tEEE10hipError_tPvRmT1_PNSt15iterator_traitsISY_E10value_typeET2_T3_PNSZ_IS14_E10value_typeET4_jRbjT5_S1A_jjP12ihipStream_tbEUljE_EEESV_SW_SX_S14_S18_S1A_T6_T7_T9_mT8_S1C_bDpT10_ENKUlT_T0_E_clISt17integral_constantIbLb1EES1P_EEDaS1K_S1L_EUlS1K_E_NS1_11comp_targetILNS1_3genE4ELNS1_11target_archE910ELNS1_3gpuE8ELNS1_3repE0EEENS1_30default_config_static_selectorELNS0_4arch9wavefront6targetE1EEEvSY_
                                        ; -- End function
	.set _ZN7rocprim17ROCPRIM_400000_NS6detail17trampoline_kernelINS0_13select_configILj256ELj13ELNS0_17block_load_methodE3ELS4_3ELS4_3ELNS0_20block_scan_algorithmE0ELj4294967295EEENS1_25partition_config_selectorILNS1_17partition_subalgoE3EjNS0_10empty_typeEbEEZZNS1_14partition_implILS8_3ELb0ES6_jNS0_17counting_iteratorIjlEEPS9_SE_NS0_5tupleIJPjSE_EEENSF_IJSE_SE_EEES9_SG_JZNS1_25segmented_radix_sort_implINS0_14default_configELb0EPKiPiPKlPlN2at6native12_GLOBAL__N_18offset_tEEE10hipError_tPvRmT1_PNSt15iterator_traitsISY_E10value_typeET2_T3_PNSZ_IS14_E10value_typeET4_jRbjT5_S1A_jjP12ihipStream_tbEUljE_EEESV_SW_SX_S14_S18_S1A_T6_T7_T9_mT8_S1C_bDpT10_ENKUlT_T0_E_clISt17integral_constantIbLb1EES1P_EEDaS1K_S1L_EUlS1K_E_NS1_11comp_targetILNS1_3genE4ELNS1_11target_archE910ELNS1_3gpuE8ELNS1_3repE0EEENS1_30default_config_static_selectorELNS0_4arch9wavefront6targetE1EEEvSY_.num_vgpr, 0
	.set _ZN7rocprim17ROCPRIM_400000_NS6detail17trampoline_kernelINS0_13select_configILj256ELj13ELNS0_17block_load_methodE3ELS4_3ELS4_3ELNS0_20block_scan_algorithmE0ELj4294967295EEENS1_25partition_config_selectorILNS1_17partition_subalgoE3EjNS0_10empty_typeEbEEZZNS1_14partition_implILS8_3ELb0ES6_jNS0_17counting_iteratorIjlEEPS9_SE_NS0_5tupleIJPjSE_EEENSF_IJSE_SE_EEES9_SG_JZNS1_25segmented_radix_sort_implINS0_14default_configELb0EPKiPiPKlPlN2at6native12_GLOBAL__N_18offset_tEEE10hipError_tPvRmT1_PNSt15iterator_traitsISY_E10value_typeET2_T3_PNSZ_IS14_E10value_typeET4_jRbjT5_S1A_jjP12ihipStream_tbEUljE_EEESV_SW_SX_S14_S18_S1A_T6_T7_T9_mT8_S1C_bDpT10_ENKUlT_T0_E_clISt17integral_constantIbLb1EES1P_EEDaS1K_S1L_EUlS1K_E_NS1_11comp_targetILNS1_3genE4ELNS1_11target_archE910ELNS1_3gpuE8ELNS1_3repE0EEENS1_30default_config_static_selectorELNS0_4arch9wavefront6targetE1EEEvSY_.num_agpr, 0
	.set _ZN7rocprim17ROCPRIM_400000_NS6detail17trampoline_kernelINS0_13select_configILj256ELj13ELNS0_17block_load_methodE3ELS4_3ELS4_3ELNS0_20block_scan_algorithmE0ELj4294967295EEENS1_25partition_config_selectorILNS1_17partition_subalgoE3EjNS0_10empty_typeEbEEZZNS1_14partition_implILS8_3ELb0ES6_jNS0_17counting_iteratorIjlEEPS9_SE_NS0_5tupleIJPjSE_EEENSF_IJSE_SE_EEES9_SG_JZNS1_25segmented_radix_sort_implINS0_14default_configELb0EPKiPiPKlPlN2at6native12_GLOBAL__N_18offset_tEEE10hipError_tPvRmT1_PNSt15iterator_traitsISY_E10value_typeET2_T3_PNSZ_IS14_E10value_typeET4_jRbjT5_S1A_jjP12ihipStream_tbEUljE_EEESV_SW_SX_S14_S18_S1A_T6_T7_T9_mT8_S1C_bDpT10_ENKUlT_T0_E_clISt17integral_constantIbLb1EES1P_EEDaS1K_S1L_EUlS1K_E_NS1_11comp_targetILNS1_3genE4ELNS1_11target_archE910ELNS1_3gpuE8ELNS1_3repE0EEENS1_30default_config_static_selectorELNS0_4arch9wavefront6targetE1EEEvSY_.numbered_sgpr, 0
	.set _ZN7rocprim17ROCPRIM_400000_NS6detail17trampoline_kernelINS0_13select_configILj256ELj13ELNS0_17block_load_methodE3ELS4_3ELS4_3ELNS0_20block_scan_algorithmE0ELj4294967295EEENS1_25partition_config_selectorILNS1_17partition_subalgoE3EjNS0_10empty_typeEbEEZZNS1_14partition_implILS8_3ELb0ES6_jNS0_17counting_iteratorIjlEEPS9_SE_NS0_5tupleIJPjSE_EEENSF_IJSE_SE_EEES9_SG_JZNS1_25segmented_radix_sort_implINS0_14default_configELb0EPKiPiPKlPlN2at6native12_GLOBAL__N_18offset_tEEE10hipError_tPvRmT1_PNSt15iterator_traitsISY_E10value_typeET2_T3_PNSZ_IS14_E10value_typeET4_jRbjT5_S1A_jjP12ihipStream_tbEUljE_EEESV_SW_SX_S14_S18_S1A_T6_T7_T9_mT8_S1C_bDpT10_ENKUlT_T0_E_clISt17integral_constantIbLb1EES1P_EEDaS1K_S1L_EUlS1K_E_NS1_11comp_targetILNS1_3genE4ELNS1_11target_archE910ELNS1_3gpuE8ELNS1_3repE0EEENS1_30default_config_static_selectorELNS0_4arch9wavefront6targetE1EEEvSY_.num_named_barrier, 0
	.set _ZN7rocprim17ROCPRIM_400000_NS6detail17trampoline_kernelINS0_13select_configILj256ELj13ELNS0_17block_load_methodE3ELS4_3ELS4_3ELNS0_20block_scan_algorithmE0ELj4294967295EEENS1_25partition_config_selectorILNS1_17partition_subalgoE3EjNS0_10empty_typeEbEEZZNS1_14partition_implILS8_3ELb0ES6_jNS0_17counting_iteratorIjlEEPS9_SE_NS0_5tupleIJPjSE_EEENSF_IJSE_SE_EEES9_SG_JZNS1_25segmented_radix_sort_implINS0_14default_configELb0EPKiPiPKlPlN2at6native12_GLOBAL__N_18offset_tEEE10hipError_tPvRmT1_PNSt15iterator_traitsISY_E10value_typeET2_T3_PNSZ_IS14_E10value_typeET4_jRbjT5_S1A_jjP12ihipStream_tbEUljE_EEESV_SW_SX_S14_S18_S1A_T6_T7_T9_mT8_S1C_bDpT10_ENKUlT_T0_E_clISt17integral_constantIbLb1EES1P_EEDaS1K_S1L_EUlS1K_E_NS1_11comp_targetILNS1_3genE4ELNS1_11target_archE910ELNS1_3gpuE8ELNS1_3repE0EEENS1_30default_config_static_selectorELNS0_4arch9wavefront6targetE1EEEvSY_.private_seg_size, 0
	.set _ZN7rocprim17ROCPRIM_400000_NS6detail17trampoline_kernelINS0_13select_configILj256ELj13ELNS0_17block_load_methodE3ELS4_3ELS4_3ELNS0_20block_scan_algorithmE0ELj4294967295EEENS1_25partition_config_selectorILNS1_17partition_subalgoE3EjNS0_10empty_typeEbEEZZNS1_14partition_implILS8_3ELb0ES6_jNS0_17counting_iteratorIjlEEPS9_SE_NS0_5tupleIJPjSE_EEENSF_IJSE_SE_EEES9_SG_JZNS1_25segmented_radix_sort_implINS0_14default_configELb0EPKiPiPKlPlN2at6native12_GLOBAL__N_18offset_tEEE10hipError_tPvRmT1_PNSt15iterator_traitsISY_E10value_typeET2_T3_PNSZ_IS14_E10value_typeET4_jRbjT5_S1A_jjP12ihipStream_tbEUljE_EEESV_SW_SX_S14_S18_S1A_T6_T7_T9_mT8_S1C_bDpT10_ENKUlT_T0_E_clISt17integral_constantIbLb1EES1P_EEDaS1K_S1L_EUlS1K_E_NS1_11comp_targetILNS1_3genE4ELNS1_11target_archE910ELNS1_3gpuE8ELNS1_3repE0EEENS1_30default_config_static_selectorELNS0_4arch9wavefront6targetE1EEEvSY_.uses_vcc, 0
	.set _ZN7rocprim17ROCPRIM_400000_NS6detail17trampoline_kernelINS0_13select_configILj256ELj13ELNS0_17block_load_methodE3ELS4_3ELS4_3ELNS0_20block_scan_algorithmE0ELj4294967295EEENS1_25partition_config_selectorILNS1_17partition_subalgoE3EjNS0_10empty_typeEbEEZZNS1_14partition_implILS8_3ELb0ES6_jNS0_17counting_iteratorIjlEEPS9_SE_NS0_5tupleIJPjSE_EEENSF_IJSE_SE_EEES9_SG_JZNS1_25segmented_radix_sort_implINS0_14default_configELb0EPKiPiPKlPlN2at6native12_GLOBAL__N_18offset_tEEE10hipError_tPvRmT1_PNSt15iterator_traitsISY_E10value_typeET2_T3_PNSZ_IS14_E10value_typeET4_jRbjT5_S1A_jjP12ihipStream_tbEUljE_EEESV_SW_SX_S14_S18_S1A_T6_T7_T9_mT8_S1C_bDpT10_ENKUlT_T0_E_clISt17integral_constantIbLb1EES1P_EEDaS1K_S1L_EUlS1K_E_NS1_11comp_targetILNS1_3genE4ELNS1_11target_archE910ELNS1_3gpuE8ELNS1_3repE0EEENS1_30default_config_static_selectorELNS0_4arch9wavefront6targetE1EEEvSY_.uses_flat_scratch, 0
	.set _ZN7rocprim17ROCPRIM_400000_NS6detail17trampoline_kernelINS0_13select_configILj256ELj13ELNS0_17block_load_methodE3ELS4_3ELS4_3ELNS0_20block_scan_algorithmE0ELj4294967295EEENS1_25partition_config_selectorILNS1_17partition_subalgoE3EjNS0_10empty_typeEbEEZZNS1_14partition_implILS8_3ELb0ES6_jNS0_17counting_iteratorIjlEEPS9_SE_NS0_5tupleIJPjSE_EEENSF_IJSE_SE_EEES9_SG_JZNS1_25segmented_radix_sort_implINS0_14default_configELb0EPKiPiPKlPlN2at6native12_GLOBAL__N_18offset_tEEE10hipError_tPvRmT1_PNSt15iterator_traitsISY_E10value_typeET2_T3_PNSZ_IS14_E10value_typeET4_jRbjT5_S1A_jjP12ihipStream_tbEUljE_EEESV_SW_SX_S14_S18_S1A_T6_T7_T9_mT8_S1C_bDpT10_ENKUlT_T0_E_clISt17integral_constantIbLb1EES1P_EEDaS1K_S1L_EUlS1K_E_NS1_11comp_targetILNS1_3genE4ELNS1_11target_archE910ELNS1_3gpuE8ELNS1_3repE0EEENS1_30default_config_static_selectorELNS0_4arch9wavefront6targetE1EEEvSY_.has_dyn_sized_stack, 0
	.set _ZN7rocprim17ROCPRIM_400000_NS6detail17trampoline_kernelINS0_13select_configILj256ELj13ELNS0_17block_load_methodE3ELS4_3ELS4_3ELNS0_20block_scan_algorithmE0ELj4294967295EEENS1_25partition_config_selectorILNS1_17partition_subalgoE3EjNS0_10empty_typeEbEEZZNS1_14partition_implILS8_3ELb0ES6_jNS0_17counting_iteratorIjlEEPS9_SE_NS0_5tupleIJPjSE_EEENSF_IJSE_SE_EEES9_SG_JZNS1_25segmented_radix_sort_implINS0_14default_configELb0EPKiPiPKlPlN2at6native12_GLOBAL__N_18offset_tEEE10hipError_tPvRmT1_PNSt15iterator_traitsISY_E10value_typeET2_T3_PNSZ_IS14_E10value_typeET4_jRbjT5_S1A_jjP12ihipStream_tbEUljE_EEESV_SW_SX_S14_S18_S1A_T6_T7_T9_mT8_S1C_bDpT10_ENKUlT_T0_E_clISt17integral_constantIbLb1EES1P_EEDaS1K_S1L_EUlS1K_E_NS1_11comp_targetILNS1_3genE4ELNS1_11target_archE910ELNS1_3gpuE8ELNS1_3repE0EEENS1_30default_config_static_selectorELNS0_4arch9wavefront6targetE1EEEvSY_.has_recursion, 0
	.set _ZN7rocprim17ROCPRIM_400000_NS6detail17trampoline_kernelINS0_13select_configILj256ELj13ELNS0_17block_load_methodE3ELS4_3ELS4_3ELNS0_20block_scan_algorithmE0ELj4294967295EEENS1_25partition_config_selectorILNS1_17partition_subalgoE3EjNS0_10empty_typeEbEEZZNS1_14partition_implILS8_3ELb0ES6_jNS0_17counting_iteratorIjlEEPS9_SE_NS0_5tupleIJPjSE_EEENSF_IJSE_SE_EEES9_SG_JZNS1_25segmented_radix_sort_implINS0_14default_configELb0EPKiPiPKlPlN2at6native12_GLOBAL__N_18offset_tEEE10hipError_tPvRmT1_PNSt15iterator_traitsISY_E10value_typeET2_T3_PNSZ_IS14_E10value_typeET4_jRbjT5_S1A_jjP12ihipStream_tbEUljE_EEESV_SW_SX_S14_S18_S1A_T6_T7_T9_mT8_S1C_bDpT10_ENKUlT_T0_E_clISt17integral_constantIbLb1EES1P_EEDaS1K_S1L_EUlS1K_E_NS1_11comp_targetILNS1_3genE4ELNS1_11target_archE910ELNS1_3gpuE8ELNS1_3repE0EEENS1_30default_config_static_selectorELNS0_4arch9wavefront6targetE1EEEvSY_.has_indirect_call, 0
	.section	.AMDGPU.csdata,"",@progbits
; Kernel info:
; codeLenInByte = 0
; TotalNumSgprs: 4
; NumVgprs: 0
; ScratchSize: 0
; MemoryBound: 0
; FloatMode: 240
; IeeeMode: 1
; LDSByteSize: 0 bytes/workgroup (compile time only)
; SGPRBlocks: 0
; VGPRBlocks: 0
; NumSGPRsForWavesPerEU: 4
; NumVGPRsForWavesPerEU: 1
; Occupancy: 10
; WaveLimiterHint : 0
; COMPUTE_PGM_RSRC2:SCRATCH_EN: 0
; COMPUTE_PGM_RSRC2:USER_SGPR: 6
; COMPUTE_PGM_RSRC2:TRAP_HANDLER: 0
; COMPUTE_PGM_RSRC2:TGID_X_EN: 1
; COMPUTE_PGM_RSRC2:TGID_Y_EN: 0
; COMPUTE_PGM_RSRC2:TGID_Z_EN: 0
; COMPUTE_PGM_RSRC2:TIDIG_COMP_CNT: 0
	.section	.text._ZN7rocprim17ROCPRIM_400000_NS6detail17trampoline_kernelINS0_13select_configILj256ELj13ELNS0_17block_load_methodE3ELS4_3ELS4_3ELNS0_20block_scan_algorithmE0ELj4294967295EEENS1_25partition_config_selectorILNS1_17partition_subalgoE3EjNS0_10empty_typeEbEEZZNS1_14partition_implILS8_3ELb0ES6_jNS0_17counting_iteratorIjlEEPS9_SE_NS0_5tupleIJPjSE_EEENSF_IJSE_SE_EEES9_SG_JZNS1_25segmented_radix_sort_implINS0_14default_configELb0EPKiPiPKlPlN2at6native12_GLOBAL__N_18offset_tEEE10hipError_tPvRmT1_PNSt15iterator_traitsISY_E10value_typeET2_T3_PNSZ_IS14_E10value_typeET4_jRbjT5_S1A_jjP12ihipStream_tbEUljE_EEESV_SW_SX_S14_S18_S1A_T6_T7_T9_mT8_S1C_bDpT10_ENKUlT_T0_E_clISt17integral_constantIbLb1EES1P_EEDaS1K_S1L_EUlS1K_E_NS1_11comp_targetILNS1_3genE3ELNS1_11target_archE908ELNS1_3gpuE7ELNS1_3repE0EEENS1_30default_config_static_selectorELNS0_4arch9wavefront6targetE1EEEvSY_,"axG",@progbits,_ZN7rocprim17ROCPRIM_400000_NS6detail17trampoline_kernelINS0_13select_configILj256ELj13ELNS0_17block_load_methodE3ELS4_3ELS4_3ELNS0_20block_scan_algorithmE0ELj4294967295EEENS1_25partition_config_selectorILNS1_17partition_subalgoE3EjNS0_10empty_typeEbEEZZNS1_14partition_implILS8_3ELb0ES6_jNS0_17counting_iteratorIjlEEPS9_SE_NS0_5tupleIJPjSE_EEENSF_IJSE_SE_EEES9_SG_JZNS1_25segmented_radix_sort_implINS0_14default_configELb0EPKiPiPKlPlN2at6native12_GLOBAL__N_18offset_tEEE10hipError_tPvRmT1_PNSt15iterator_traitsISY_E10value_typeET2_T3_PNSZ_IS14_E10value_typeET4_jRbjT5_S1A_jjP12ihipStream_tbEUljE_EEESV_SW_SX_S14_S18_S1A_T6_T7_T9_mT8_S1C_bDpT10_ENKUlT_T0_E_clISt17integral_constantIbLb1EES1P_EEDaS1K_S1L_EUlS1K_E_NS1_11comp_targetILNS1_3genE3ELNS1_11target_archE908ELNS1_3gpuE7ELNS1_3repE0EEENS1_30default_config_static_selectorELNS0_4arch9wavefront6targetE1EEEvSY_,comdat
	.globl	_ZN7rocprim17ROCPRIM_400000_NS6detail17trampoline_kernelINS0_13select_configILj256ELj13ELNS0_17block_load_methodE3ELS4_3ELS4_3ELNS0_20block_scan_algorithmE0ELj4294967295EEENS1_25partition_config_selectorILNS1_17partition_subalgoE3EjNS0_10empty_typeEbEEZZNS1_14partition_implILS8_3ELb0ES6_jNS0_17counting_iteratorIjlEEPS9_SE_NS0_5tupleIJPjSE_EEENSF_IJSE_SE_EEES9_SG_JZNS1_25segmented_radix_sort_implINS0_14default_configELb0EPKiPiPKlPlN2at6native12_GLOBAL__N_18offset_tEEE10hipError_tPvRmT1_PNSt15iterator_traitsISY_E10value_typeET2_T3_PNSZ_IS14_E10value_typeET4_jRbjT5_S1A_jjP12ihipStream_tbEUljE_EEESV_SW_SX_S14_S18_S1A_T6_T7_T9_mT8_S1C_bDpT10_ENKUlT_T0_E_clISt17integral_constantIbLb1EES1P_EEDaS1K_S1L_EUlS1K_E_NS1_11comp_targetILNS1_3genE3ELNS1_11target_archE908ELNS1_3gpuE7ELNS1_3repE0EEENS1_30default_config_static_selectorELNS0_4arch9wavefront6targetE1EEEvSY_ ; -- Begin function _ZN7rocprim17ROCPRIM_400000_NS6detail17trampoline_kernelINS0_13select_configILj256ELj13ELNS0_17block_load_methodE3ELS4_3ELS4_3ELNS0_20block_scan_algorithmE0ELj4294967295EEENS1_25partition_config_selectorILNS1_17partition_subalgoE3EjNS0_10empty_typeEbEEZZNS1_14partition_implILS8_3ELb0ES6_jNS0_17counting_iteratorIjlEEPS9_SE_NS0_5tupleIJPjSE_EEENSF_IJSE_SE_EEES9_SG_JZNS1_25segmented_radix_sort_implINS0_14default_configELb0EPKiPiPKlPlN2at6native12_GLOBAL__N_18offset_tEEE10hipError_tPvRmT1_PNSt15iterator_traitsISY_E10value_typeET2_T3_PNSZ_IS14_E10value_typeET4_jRbjT5_S1A_jjP12ihipStream_tbEUljE_EEESV_SW_SX_S14_S18_S1A_T6_T7_T9_mT8_S1C_bDpT10_ENKUlT_T0_E_clISt17integral_constantIbLb1EES1P_EEDaS1K_S1L_EUlS1K_E_NS1_11comp_targetILNS1_3genE3ELNS1_11target_archE908ELNS1_3gpuE7ELNS1_3repE0EEENS1_30default_config_static_selectorELNS0_4arch9wavefront6targetE1EEEvSY_
	.p2align	8
	.type	_ZN7rocprim17ROCPRIM_400000_NS6detail17trampoline_kernelINS0_13select_configILj256ELj13ELNS0_17block_load_methodE3ELS4_3ELS4_3ELNS0_20block_scan_algorithmE0ELj4294967295EEENS1_25partition_config_selectorILNS1_17partition_subalgoE3EjNS0_10empty_typeEbEEZZNS1_14partition_implILS8_3ELb0ES6_jNS0_17counting_iteratorIjlEEPS9_SE_NS0_5tupleIJPjSE_EEENSF_IJSE_SE_EEES9_SG_JZNS1_25segmented_radix_sort_implINS0_14default_configELb0EPKiPiPKlPlN2at6native12_GLOBAL__N_18offset_tEEE10hipError_tPvRmT1_PNSt15iterator_traitsISY_E10value_typeET2_T3_PNSZ_IS14_E10value_typeET4_jRbjT5_S1A_jjP12ihipStream_tbEUljE_EEESV_SW_SX_S14_S18_S1A_T6_T7_T9_mT8_S1C_bDpT10_ENKUlT_T0_E_clISt17integral_constantIbLb1EES1P_EEDaS1K_S1L_EUlS1K_E_NS1_11comp_targetILNS1_3genE3ELNS1_11target_archE908ELNS1_3gpuE7ELNS1_3repE0EEENS1_30default_config_static_selectorELNS0_4arch9wavefront6targetE1EEEvSY_,@function
_ZN7rocprim17ROCPRIM_400000_NS6detail17trampoline_kernelINS0_13select_configILj256ELj13ELNS0_17block_load_methodE3ELS4_3ELS4_3ELNS0_20block_scan_algorithmE0ELj4294967295EEENS1_25partition_config_selectorILNS1_17partition_subalgoE3EjNS0_10empty_typeEbEEZZNS1_14partition_implILS8_3ELb0ES6_jNS0_17counting_iteratorIjlEEPS9_SE_NS0_5tupleIJPjSE_EEENSF_IJSE_SE_EEES9_SG_JZNS1_25segmented_radix_sort_implINS0_14default_configELb0EPKiPiPKlPlN2at6native12_GLOBAL__N_18offset_tEEE10hipError_tPvRmT1_PNSt15iterator_traitsISY_E10value_typeET2_T3_PNSZ_IS14_E10value_typeET4_jRbjT5_S1A_jjP12ihipStream_tbEUljE_EEESV_SW_SX_S14_S18_S1A_T6_T7_T9_mT8_S1C_bDpT10_ENKUlT_T0_E_clISt17integral_constantIbLb1EES1P_EEDaS1K_S1L_EUlS1K_E_NS1_11comp_targetILNS1_3genE3ELNS1_11target_archE908ELNS1_3gpuE7ELNS1_3repE0EEENS1_30default_config_static_selectorELNS0_4arch9wavefront6targetE1EEEvSY_: ; @_ZN7rocprim17ROCPRIM_400000_NS6detail17trampoline_kernelINS0_13select_configILj256ELj13ELNS0_17block_load_methodE3ELS4_3ELS4_3ELNS0_20block_scan_algorithmE0ELj4294967295EEENS1_25partition_config_selectorILNS1_17partition_subalgoE3EjNS0_10empty_typeEbEEZZNS1_14partition_implILS8_3ELb0ES6_jNS0_17counting_iteratorIjlEEPS9_SE_NS0_5tupleIJPjSE_EEENSF_IJSE_SE_EEES9_SG_JZNS1_25segmented_radix_sort_implINS0_14default_configELb0EPKiPiPKlPlN2at6native12_GLOBAL__N_18offset_tEEE10hipError_tPvRmT1_PNSt15iterator_traitsISY_E10value_typeET2_T3_PNSZ_IS14_E10value_typeET4_jRbjT5_S1A_jjP12ihipStream_tbEUljE_EEESV_SW_SX_S14_S18_S1A_T6_T7_T9_mT8_S1C_bDpT10_ENKUlT_T0_E_clISt17integral_constantIbLb1EES1P_EEDaS1K_S1L_EUlS1K_E_NS1_11comp_targetILNS1_3genE3ELNS1_11target_archE908ELNS1_3gpuE7ELNS1_3repE0EEENS1_30default_config_static_selectorELNS0_4arch9wavefront6targetE1EEEvSY_
; %bb.0:
	.section	.rodata,"a",@progbits
	.p2align	6, 0x0
	.amdhsa_kernel _ZN7rocprim17ROCPRIM_400000_NS6detail17trampoline_kernelINS0_13select_configILj256ELj13ELNS0_17block_load_methodE3ELS4_3ELS4_3ELNS0_20block_scan_algorithmE0ELj4294967295EEENS1_25partition_config_selectorILNS1_17partition_subalgoE3EjNS0_10empty_typeEbEEZZNS1_14partition_implILS8_3ELb0ES6_jNS0_17counting_iteratorIjlEEPS9_SE_NS0_5tupleIJPjSE_EEENSF_IJSE_SE_EEES9_SG_JZNS1_25segmented_radix_sort_implINS0_14default_configELb0EPKiPiPKlPlN2at6native12_GLOBAL__N_18offset_tEEE10hipError_tPvRmT1_PNSt15iterator_traitsISY_E10value_typeET2_T3_PNSZ_IS14_E10value_typeET4_jRbjT5_S1A_jjP12ihipStream_tbEUljE_EEESV_SW_SX_S14_S18_S1A_T6_T7_T9_mT8_S1C_bDpT10_ENKUlT_T0_E_clISt17integral_constantIbLb1EES1P_EEDaS1K_S1L_EUlS1K_E_NS1_11comp_targetILNS1_3genE3ELNS1_11target_archE908ELNS1_3gpuE7ELNS1_3repE0EEENS1_30default_config_static_selectorELNS0_4arch9wavefront6targetE1EEEvSY_
		.amdhsa_group_segment_fixed_size 0
		.amdhsa_private_segment_fixed_size 0
		.amdhsa_kernarg_size 152
		.amdhsa_user_sgpr_count 6
		.amdhsa_user_sgpr_private_segment_buffer 1
		.amdhsa_user_sgpr_dispatch_ptr 0
		.amdhsa_user_sgpr_queue_ptr 0
		.amdhsa_user_sgpr_kernarg_segment_ptr 1
		.amdhsa_user_sgpr_dispatch_id 0
		.amdhsa_user_sgpr_flat_scratch_init 0
		.amdhsa_user_sgpr_private_segment_size 0
		.amdhsa_uses_dynamic_stack 0
		.amdhsa_system_sgpr_private_segment_wavefront_offset 0
		.amdhsa_system_sgpr_workgroup_id_x 1
		.amdhsa_system_sgpr_workgroup_id_y 0
		.amdhsa_system_sgpr_workgroup_id_z 0
		.amdhsa_system_sgpr_workgroup_info 0
		.amdhsa_system_vgpr_workitem_id 0
		.amdhsa_next_free_vgpr 1
		.amdhsa_next_free_sgpr 0
		.amdhsa_reserve_vcc 0
		.amdhsa_reserve_flat_scratch 0
		.amdhsa_float_round_mode_32 0
		.amdhsa_float_round_mode_16_64 0
		.amdhsa_float_denorm_mode_32 3
		.amdhsa_float_denorm_mode_16_64 3
		.amdhsa_dx10_clamp 1
		.amdhsa_ieee_mode 1
		.amdhsa_fp16_overflow 0
		.amdhsa_exception_fp_ieee_invalid_op 0
		.amdhsa_exception_fp_denorm_src 0
		.amdhsa_exception_fp_ieee_div_zero 0
		.amdhsa_exception_fp_ieee_overflow 0
		.amdhsa_exception_fp_ieee_underflow 0
		.amdhsa_exception_fp_ieee_inexact 0
		.amdhsa_exception_int_div_zero 0
	.end_amdhsa_kernel
	.section	.text._ZN7rocprim17ROCPRIM_400000_NS6detail17trampoline_kernelINS0_13select_configILj256ELj13ELNS0_17block_load_methodE3ELS4_3ELS4_3ELNS0_20block_scan_algorithmE0ELj4294967295EEENS1_25partition_config_selectorILNS1_17partition_subalgoE3EjNS0_10empty_typeEbEEZZNS1_14partition_implILS8_3ELb0ES6_jNS0_17counting_iteratorIjlEEPS9_SE_NS0_5tupleIJPjSE_EEENSF_IJSE_SE_EEES9_SG_JZNS1_25segmented_radix_sort_implINS0_14default_configELb0EPKiPiPKlPlN2at6native12_GLOBAL__N_18offset_tEEE10hipError_tPvRmT1_PNSt15iterator_traitsISY_E10value_typeET2_T3_PNSZ_IS14_E10value_typeET4_jRbjT5_S1A_jjP12ihipStream_tbEUljE_EEESV_SW_SX_S14_S18_S1A_T6_T7_T9_mT8_S1C_bDpT10_ENKUlT_T0_E_clISt17integral_constantIbLb1EES1P_EEDaS1K_S1L_EUlS1K_E_NS1_11comp_targetILNS1_3genE3ELNS1_11target_archE908ELNS1_3gpuE7ELNS1_3repE0EEENS1_30default_config_static_selectorELNS0_4arch9wavefront6targetE1EEEvSY_,"axG",@progbits,_ZN7rocprim17ROCPRIM_400000_NS6detail17trampoline_kernelINS0_13select_configILj256ELj13ELNS0_17block_load_methodE3ELS4_3ELS4_3ELNS0_20block_scan_algorithmE0ELj4294967295EEENS1_25partition_config_selectorILNS1_17partition_subalgoE3EjNS0_10empty_typeEbEEZZNS1_14partition_implILS8_3ELb0ES6_jNS0_17counting_iteratorIjlEEPS9_SE_NS0_5tupleIJPjSE_EEENSF_IJSE_SE_EEES9_SG_JZNS1_25segmented_radix_sort_implINS0_14default_configELb0EPKiPiPKlPlN2at6native12_GLOBAL__N_18offset_tEEE10hipError_tPvRmT1_PNSt15iterator_traitsISY_E10value_typeET2_T3_PNSZ_IS14_E10value_typeET4_jRbjT5_S1A_jjP12ihipStream_tbEUljE_EEESV_SW_SX_S14_S18_S1A_T6_T7_T9_mT8_S1C_bDpT10_ENKUlT_T0_E_clISt17integral_constantIbLb1EES1P_EEDaS1K_S1L_EUlS1K_E_NS1_11comp_targetILNS1_3genE3ELNS1_11target_archE908ELNS1_3gpuE7ELNS1_3repE0EEENS1_30default_config_static_selectorELNS0_4arch9wavefront6targetE1EEEvSY_,comdat
.Lfunc_end579:
	.size	_ZN7rocprim17ROCPRIM_400000_NS6detail17trampoline_kernelINS0_13select_configILj256ELj13ELNS0_17block_load_methodE3ELS4_3ELS4_3ELNS0_20block_scan_algorithmE0ELj4294967295EEENS1_25partition_config_selectorILNS1_17partition_subalgoE3EjNS0_10empty_typeEbEEZZNS1_14partition_implILS8_3ELb0ES6_jNS0_17counting_iteratorIjlEEPS9_SE_NS0_5tupleIJPjSE_EEENSF_IJSE_SE_EEES9_SG_JZNS1_25segmented_radix_sort_implINS0_14default_configELb0EPKiPiPKlPlN2at6native12_GLOBAL__N_18offset_tEEE10hipError_tPvRmT1_PNSt15iterator_traitsISY_E10value_typeET2_T3_PNSZ_IS14_E10value_typeET4_jRbjT5_S1A_jjP12ihipStream_tbEUljE_EEESV_SW_SX_S14_S18_S1A_T6_T7_T9_mT8_S1C_bDpT10_ENKUlT_T0_E_clISt17integral_constantIbLb1EES1P_EEDaS1K_S1L_EUlS1K_E_NS1_11comp_targetILNS1_3genE3ELNS1_11target_archE908ELNS1_3gpuE7ELNS1_3repE0EEENS1_30default_config_static_selectorELNS0_4arch9wavefront6targetE1EEEvSY_, .Lfunc_end579-_ZN7rocprim17ROCPRIM_400000_NS6detail17trampoline_kernelINS0_13select_configILj256ELj13ELNS0_17block_load_methodE3ELS4_3ELS4_3ELNS0_20block_scan_algorithmE0ELj4294967295EEENS1_25partition_config_selectorILNS1_17partition_subalgoE3EjNS0_10empty_typeEbEEZZNS1_14partition_implILS8_3ELb0ES6_jNS0_17counting_iteratorIjlEEPS9_SE_NS0_5tupleIJPjSE_EEENSF_IJSE_SE_EEES9_SG_JZNS1_25segmented_radix_sort_implINS0_14default_configELb0EPKiPiPKlPlN2at6native12_GLOBAL__N_18offset_tEEE10hipError_tPvRmT1_PNSt15iterator_traitsISY_E10value_typeET2_T3_PNSZ_IS14_E10value_typeET4_jRbjT5_S1A_jjP12ihipStream_tbEUljE_EEESV_SW_SX_S14_S18_S1A_T6_T7_T9_mT8_S1C_bDpT10_ENKUlT_T0_E_clISt17integral_constantIbLb1EES1P_EEDaS1K_S1L_EUlS1K_E_NS1_11comp_targetILNS1_3genE3ELNS1_11target_archE908ELNS1_3gpuE7ELNS1_3repE0EEENS1_30default_config_static_selectorELNS0_4arch9wavefront6targetE1EEEvSY_
                                        ; -- End function
	.set _ZN7rocprim17ROCPRIM_400000_NS6detail17trampoline_kernelINS0_13select_configILj256ELj13ELNS0_17block_load_methodE3ELS4_3ELS4_3ELNS0_20block_scan_algorithmE0ELj4294967295EEENS1_25partition_config_selectorILNS1_17partition_subalgoE3EjNS0_10empty_typeEbEEZZNS1_14partition_implILS8_3ELb0ES6_jNS0_17counting_iteratorIjlEEPS9_SE_NS0_5tupleIJPjSE_EEENSF_IJSE_SE_EEES9_SG_JZNS1_25segmented_radix_sort_implINS0_14default_configELb0EPKiPiPKlPlN2at6native12_GLOBAL__N_18offset_tEEE10hipError_tPvRmT1_PNSt15iterator_traitsISY_E10value_typeET2_T3_PNSZ_IS14_E10value_typeET4_jRbjT5_S1A_jjP12ihipStream_tbEUljE_EEESV_SW_SX_S14_S18_S1A_T6_T7_T9_mT8_S1C_bDpT10_ENKUlT_T0_E_clISt17integral_constantIbLb1EES1P_EEDaS1K_S1L_EUlS1K_E_NS1_11comp_targetILNS1_3genE3ELNS1_11target_archE908ELNS1_3gpuE7ELNS1_3repE0EEENS1_30default_config_static_selectorELNS0_4arch9wavefront6targetE1EEEvSY_.num_vgpr, 0
	.set _ZN7rocprim17ROCPRIM_400000_NS6detail17trampoline_kernelINS0_13select_configILj256ELj13ELNS0_17block_load_methodE3ELS4_3ELS4_3ELNS0_20block_scan_algorithmE0ELj4294967295EEENS1_25partition_config_selectorILNS1_17partition_subalgoE3EjNS0_10empty_typeEbEEZZNS1_14partition_implILS8_3ELb0ES6_jNS0_17counting_iteratorIjlEEPS9_SE_NS0_5tupleIJPjSE_EEENSF_IJSE_SE_EEES9_SG_JZNS1_25segmented_radix_sort_implINS0_14default_configELb0EPKiPiPKlPlN2at6native12_GLOBAL__N_18offset_tEEE10hipError_tPvRmT1_PNSt15iterator_traitsISY_E10value_typeET2_T3_PNSZ_IS14_E10value_typeET4_jRbjT5_S1A_jjP12ihipStream_tbEUljE_EEESV_SW_SX_S14_S18_S1A_T6_T7_T9_mT8_S1C_bDpT10_ENKUlT_T0_E_clISt17integral_constantIbLb1EES1P_EEDaS1K_S1L_EUlS1K_E_NS1_11comp_targetILNS1_3genE3ELNS1_11target_archE908ELNS1_3gpuE7ELNS1_3repE0EEENS1_30default_config_static_selectorELNS0_4arch9wavefront6targetE1EEEvSY_.num_agpr, 0
	.set _ZN7rocprim17ROCPRIM_400000_NS6detail17trampoline_kernelINS0_13select_configILj256ELj13ELNS0_17block_load_methodE3ELS4_3ELS4_3ELNS0_20block_scan_algorithmE0ELj4294967295EEENS1_25partition_config_selectorILNS1_17partition_subalgoE3EjNS0_10empty_typeEbEEZZNS1_14partition_implILS8_3ELb0ES6_jNS0_17counting_iteratorIjlEEPS9_SE_NS0_5tupleIJPjSE_EEENSF_IJSE_SE_EEES9_SG_JZNS1_25segmented_radix_sort_implINS0_14default_configELb0EPKiPiPKlPlN2at6native12_GLOBAL__N_18offset_tEEE10hipError_tPvRmT1_PNSt15iterator_traitsISY_E10value_typeET2_T3_PNSZ_IS14_E10value_typeET4_jRbjT5_S1A_jjP12ihipStream_tbEUljE_EEESV_SW_SX_S14_S18_S1A_T6_T7_T9_mT8_S1C_bDpT10_ENKUlT_T0_E_clISt17integral_constantIbLb1EES1P_EEDaS1K_S1L_EUlS1K_E_NS1_11comp_targetILNS1_3genE3ELNS1_11target_archE908ELNS1_3gpuE7ELNS1_3repE0EEENS1_30default_config_static_selectorELNS0_4arch9wavefront6targetE1EEEvSY_.numbered_sgpr, 0
	.set _ZN7rocprim17ROCPRIM_400000_NS6detail17trampoline_kernelINS0_13select_configILj256ELj13ELNS0_17block_load_methodE3ELS4_3ELS4_3ELNS0_20block_scan_algorithmE0ELj4294967295EEENS1_25partition_config_selectorILNS1_17partition_subalgoE3EjNS0_10empty_typeEbEEZZNS1_14partition_implILS8_3ELb0ES6_jNS0_17counting_iteratorIjlEEPS9_SE_NS0_5tupleIJPjSE_EEENSF_IJSE_SE_EEES9_SG_JZNS1_25segmented_radix_sort_implINS0_14default_configELb0EPKiPiPKlPlN2at6native12_GLOBAL__N_18offset_tEEE10hipError_tPvRmT1_PNSt15iterator_traitsISY_E10value_typeET2_T3_PNSZ_IS14_E10value_typeET4_jRbjT5_S1A_jjP12ihipStream_tbEUljE_EEESV_SW_SX_S14_S18_S1A_T6_T7_T9_mT8_S1C_bDpT10_ENKUlT_T0_E_clISt17integral_constantIbLb1EES1P_EEDaS1K_S1L_EUlS1K_E_NS1_11comp_targetILNS1_3genE3ELNS1_11target_archE908ELNS1_3gpuE7ELNS1_3repE0EEENS1_30default_config_static_selectorELNS0_4arch9wavefront6targetE1EEEvSY_.num_named_barrier, 0
	.set _ZN7rocprim17ROCPRIM_400000_NS6detail17trampoline_kernelINS0_13select_configILj256ELj13ELNS0_17block_load_methodE3ELS4_3ELS4_3ELNS0_20block_scan_algorithmE0ELj4294967295EEENS1_25partition_config_selectorILNS1_17partition_subalgoE3EjNS0_10empty_typeEbEEZZNS1_14partition_implILS8_3ELb0ES6_jNS0_17counting_iteratorIjlEEPS9_SE_NS0_5tupleIJPjSE_EEENSF_IJSE_SE_EEES9_SG_JZNS1_25segmented_radix_sort_implINS0_14default_configELb0EPKiPiPKlPlN2at6native12_GLOBAL__N_18offset_tEEE10hipError_tPvRmT1_PNSt15iterator_traitsISY_E10value_typeET2_T3_PNSZ_IS14_E10value_typeET4_jRbjT5_S1A_jjP12ihipStream_tbEUljE_EEESV_SW_SX_S14_S18_S1A_T6_T7_T9_mT8_S1C_bDpT10_ENKUlT_T0_E_clISt17integral_constantIbLb1EES1P_EEDaS1K_S1L_EUlS1K_E_NS1_11comp_targetILNS1_3genE3ELNS1_11target_archE908ELNS1_3gpuE7ELNS1_3repE0EEENS1_30default_config_static_selectorELNS0_4arch9wavefront6targetE1EEEvSY_.private_seg_size, 0
	.set _ZN7rocprim17ROCPRIM_400000_NS6detail17trampoline_kernelINS0_13select_configILj256ELj13ELNS0_17block_load_methodE3ELS4_3ELS4_3ELNS0_20block_scan_algorithmE0ELj4294967295EEENS1_25partition_config_selectorILNS1_17partition_subalgoE3EjNS0_10empty_typeEbEEZZNS1_14partition_implILS8_3ELb0ES6_jNS0_17counting_iteratorIjlEEPS9_SE_NS0_5tupleIJPjSE_EEENSF_IJSE_SE_EEES9_SG_JZNS1_25segmented_radix_sort_implINS0_14default_configELb0EPKiPiPKlPlN2at6native12_GLOBAL__N_18offset_tEEE10hipError_tPvRmT1_PNSt15iterator_traitsISY_E10value_typeET2_T3_PNSZ_IS14_E10value_typeET4_jRbjT5_S1A_jjP12ihipStream_tbEUljE_EEESV_SW_SX_S14_S18_S1A_T6_T7_T9_mT8_S1C_bDpT10_ENKUlT_T0_E_clISt17integral_constantIbLb1EES1P_EEDaS1K_S1L_EUlS1K_E_NS1_11comp_targetILNS1_3genE3ELNS1_11target_archE908ELNS1_3gpuE7ELNS1_3repE0EEENS1_30default_config_static_selectorELNS0_4arch9wavefront6targetE1EEEvSY_.uses_vcc, 0
	.set _ZN7rocprim17ROCPRIM_400000_NS6detail17trampoline_kernelINS0_13select_configILj256ELj13ELNS0_17block_load_methodE3ELS4_3ELS4_3ELNS0_20block_scan_algorithmE0ELj4294967295EEENS1_25partition_config_selectorILNS1_17partition_subalgoE3EjNS0_10empty_typeEbEEZZNS1_14partition_implILS8_3ELb0ES6_jNS0_17counting_iteratorIjlEEPS9_SE_NS0_5tupleIJPjSE_EEENSF_IJSE_SE_EEES9_SG_JZNS1_25segmented_radix_sort_implINS0_14default_configELb0EPKiPiPKlPlN2at6native12_GLOBAL__N_18offset_tEEE10hipError_tPvRmT1_PNSt15iterator_traitsISY_E10value_typeET2_T3_PNSZ_IS14_E10value_typeET4_jRbjT5_S1A_jjP12ihipStream_tbEUljE_EEESV_SW_SX_S14_S18_S1A_T6_T7_T9_mT8_S1C_bDpT10_ENKUlT_T0_E_clISt17integral_constantIbLb1EES1P_EEDaS1K_S1L_EUlS1K_E_NS1_11comp_targetILNS1_3genE3ELNS1_11target_archE908ELNS1_3gpuE7ELNS1_3repE0EEENS1_30default_config_static_selectorELNS0_4arch9wavefront6targetE1EEEvSY_.uses_flat_scratch, 0
	.set _ZN7rocprim17ROCPRIM_400000_NS6detail17trampoline_kernelINS0_13select_configILj256ELj13ELNS0_17block_load_methodE3ELS4_3ELS4_3ELNS0_20block_scan_algorithmE0ELj4294967295EEENS1_25partition_config_selectorILNS1_17partition_subalgoE3EjNS0_10empty_typeEbEEZZNS1_14partition_implILS8_3ELb0ES6_jNS0_17counting_iteratorIjlEEPS9_SE_NS0_5tupleIJPjSE_EEENSF_IJSE_SE_EEES9_SG_JZNS1_25segmented_radix_sort_implINS0_14default_configELb0EPKiPiPKlPlN2at6native12_GLOBAL__N_18offset_tEEE10hipError_tPvRmT1_PNSt15iterator_traitsISY_E10value_typeET2_T3_PNSZ_IS14_E10value_typeET4_jRbjT5_S1A_jjP12ihipStream_tbEUljE_EEESV_SW_SX_S14_S18_S1A_T6_T7_T9_mT8_S1C_bDpT10_ENKUlT_T0_E_clISt17integral_constantIbLb1EES1P_EEDaS1K_S1L_EUlS1K_E_NS1_11comp_targetILNS1_3genE3ELNS1_11target_archE908ELNS1_3gpuE7ELNS1_3repE0EEENS1_30default_config_static_selectorELNS0_4arch9wavefront6targetE1EEEvSY_.has_dyn_sized_stack, 0
	.set _ZN7rocprim17ROCPRIM_400000_NS6detail17trampoline_kernelINS0_13select_configILj256ELj13ELNS0_17block_load_methodE3ELS4_3ELS4_3ELNS0_20block_scan_algorithmE0ELj4294967295EEENS1_25partition_config_selectorILNS1_17partition_subalgoE3EjNS0_10empty_typeEbEEZZNS1_14partition_implILS8_3ELb0ES6_jNS0_17counting_iteratorIjlEEPS9_SE_NS0_5tupleIJPjSE_EEENSF_IJSE_SE_EEES9_SG_JZNS1_25segmented_radix_sort_implINS0_14default_configELb0EPKiPiPKlPlN2at6native12_GLOBAL__N_18offset_tEEE10hipError_tPvRmT1_PNSt15iterator_traitsISY_E10value_typeET2_T3_PNSZ_IS14_E10value_typeET4_jRbjT5_S1A_jjP12ihipStream_tbEUljE_EEESV_SW_SX_S14_S18_S1A_T6_T7_T9_mT8_S1C_bDpT10_ENKUlT_T0_E_clISt17integral_constantIbLb1EES1P_EEDaS1K_S1L_EUlS1K_E_NS1_11comp_targetILNS1_3genE3ELNS1_11target_archE908ELNS1_3gpuE7ELNS1_3repE0EEENS1_30default_config_static_selectorELNS0_4arch9wavefront6targetE1EEEvSY_.has_recursion, 0
	.set _ZN7rocprim17ROCPRIM_400000_NS6detail17trampoline_kernelINS0_13select_configILj256ELj13ELNS0_17block_load_methodE3ELS4_3ELS4_3ELNS0_20block_scan_algorithmE0ELj4294967295EEENS1_25partition_config_selectorILNS1_17partition_subalgoE3EjNS0_10empty_typeEbEEZZNS1_14partition_implILS8_3ELb0ES6_jNS0_17counting_iteratorIjlEEPS9_SE_NS0_5tupleIJPjSE_EEENSF_IJSE_SE_EEES9_SG_JZNS1_25segmented_radix_sort_implINS0_14default_configELb0EPKiPiPKlPlN2at6native12_GLOBAL__N_18offset_tEEE10hipError_tPvRmT1_PNSt15iterator_traitsISY_E10value_typeET2_T3_PNSZ_IS14_E10value_typeET4_jRbjT5_S1A_jjP12ihipStream_tbEUljE_EEESV_SW_SX_S14_S18_S1A_T6_T7_T9_mT8_S1C_bDpT10_ENKUlT_T0_E_clISt17integral_constantIbLb1EES1P_EEDaS1K_S1L_EUlS1K_E_NS1_11comp_targetILNS1_3genE3ELNS1_11target_archE908ELNS1_3gpuE7ELNS1_3repE0EEENS1_30default_config_static_selectorELNS0_4arch9wavefront6targetE1EEEvSY_.has_indirect_call, 0
	.section	.AMDGPU.csdata,"",@progbits
; Kernel info:
; codeLenInByte = 0
; TotalNumSgprs: 4
; NumVgprs: 0
; ScratchSize: 0
; MemoryBound: 0
; FloatMode: 240
; IeeeMode: 1
; LDSByteSize: 0 bytes/workgroup (compile time only)
; SGPRBlocks: 0
; VGPRBlocks: 0
; NumSGPRsForWavesPerEU: 4
; NumVGPRsForWavesPerEU: 1
; Occupancy: 10
; WaveLimiterHint : 0
; COMPUTE_PGM_RSRC2:SCRATCH_EN: 0
; COMPUTE_PGM_RSRC2:USER_SGPR: 6
; COMPUTE_PGM_RSRC2:TRAP_HANDLER: 0
; COMPUTE_PGM_RSRC2:TGID_X_EN: 1
; COMPUTE_PGM_RSRC2:TGID_Y_EN: 0
; COMPUTE_PGM_RSRC2:TGID_Z_EN: 0
; COMPUTE_PGM_RSRC2:TIDIG_COMP_CNT: 0
	.section	.text._ZN7rocprim17ROCPRIM_400000_NS6detail17trampoline_kernelINS0_13select_configILj256ELj13ELNS0_17block_load_methodE3ELS4_3ELS4_3ELNS0_20block_scan_algorithmE0ELj4294967295EEENS1_25partition_config_selectorILNS1_17partition_subalgoE3EjNS0_10empty_typeEbEEZZNS1_14partition_implILS8_3ELb0ES6_jNS0_17counting_iteratorIjlEEPS9_SE_NS0_5tupleIJPjSE_EEENSF_IJSE_SE_EEES9_SG_JZNS1_25segmented_radix_sort_implINS0_14default_configELb0EPKiPiPKlPlN2at6native12_GLOBAL__N_18offset_tEEE10hipError_tPvRmT1_PNSt15iterator_traitsISY_E10value_typeET2_T3_PNSZ_IS14_E10value_typeET4_jRbjT5_S1A_jjP12ihipStream_tbEUljE_EEESV_SW_SX_S14_S18_S1A_T6_T7_T9_mT8_S1C_bDpT10_ENKUlT_T0_E_clISt17integral_constantIbLb1EES1P_EEDaS1K_S1L_EUlS1K_E_NS1_11comp_targetILNS1_3genE2ELNS1_11target_archE906ELNS1_3gpuE6ELNS1_3repE0EEENS1_30default_config_static_selectorELNS0_4arch9wavefront6targetE1EEEvSY_,"axG",@progbits,_ZN7rocprim17ROCPRIM_400000_NS6detail17trampoline_kernelINS0_13select_configILj256ELj13ELNS0_17block_load_methodE3ELS4_3ELS4_3ELNS0_20block_scan_algorithmE0ELj4294967295EEENS1_25partition_config_selectorILNS1_17partition_subalgoE3EjNS0_10empty_typeEbEEZZNS1_14partition_implILS8_3ELb0ES6_jNS0_17counting_iteratorIjlEEPS9_SE_NS0_5tupleIJPjSE_EEENSF_IJSE_SE_EEES9_SG_JZNS1_25segmented_radix_sort_implINS0_14default_configELb0EPKiPiPKlPlN2at6native12_GLOBAL__N_18offset_tEEE10hipError_tPvRmT1_PNSt15iterator_traitsISY_E10value_typeET2_T3_PNSZ_IS14_E10value_typeET4_jRbjT5_S1A_jjP12ihipStream_tbEUljE_EEESV_SW_SX_S14_S18_S1A_T6_T7_T9_mT8_S1C_bDpT10_ENKUlT_T0_E_clISt17integral_constantIbLb1EES1P_EEDaS1K_S1L_EUlS1K_E_NS1_11comp_targetILNS1_3genE2ELNS1_11target_archE906ELNS1_3gpuE6ELNS1_3repE0EEENS1_30default_config_static_selectorELNS0_4arch9wavefront6targetE1EEEvSY_,comdat
	.globl	_ZN7rocprim17ROCPRIM_400000_NS6detail17trampoline_kernelINS0_13select_configILj256ELj13ELNS0_17block_load_methodE3ELS4_3ELS4_3ELNS0_20block_scan_algorithmE0ELj4294967295EEENS1_25partition_config_selectorILNS1_17partition_subalgoE3EjNS0_10empty_typeEbEEZZNS1_14partition_implILS8_3ELb0ES6_jNS0_17counting_iteratorIjlEEPS9_SE_NS0_5tupleIJPjSE_EEENSF_IJSE_SE_EEES9_SG_JZNS1_25segmented_radix_sort_implINS0_14default_configELb0EPKiPiPKlPlN2at6native12_GLOBAL__N_18offset_tEEE10hipError_tPvRmT1_PNSt15iterator_traitsISY_E10value_typeET2_T3_PNSZ_IS14_E10value_typeET4_jRbjT5_S1A_jjP12ihipStream_tbEUljE_EEESV_SW_SX_S14_S18_S1A_T6_T7_T9_mT8_S1C_bDpT10_ENKUlT_T0_E_clISt17integral_constantIbLb1EES1P_EEDaS1K_S1L_EUlS1K_E_NS1_11comp_targetILNS1_3genE2ELNS1_11target_archE906ELNS1_3gpuE6ELNS1_3repE0EEENS1_30default_config_static_selectorELNS0_4arch9wavefront6targetE1EEEvSY_ ; -- Begin function _ZN7rocprim17ROCPRIM_400000_NS6detail17trampoline_kernelINS0_13select_configILj256ELj13ELNS0_17block_load_methodE3ELS4_3ELS4_3ELNS0_20block_scan_algorithmE0ELj4294967295EEENS1_25partition_config_selectorILNS1_17partition_subalgoE3EjNS0_10empty_typeEbEEZZNS1_14partition_implILS8_3ELb0ES6_jNS0_17counting_iteratorIjlEEPS9_SE_NS0_5tupleIJPjSE_EEENSF_IJSE_SE_EEES9_SG_JZNS1_25segmented_radix_sort_implINS0_14default_configELb0EPKiPiPKlPlN2at6native12_GLOBAL__N_18offset_tEEE10hipError_tPvRmT1_PNSt15iterator_traitsISY_E10value_typeET2_T3_PNSZ_IS14_E10value_typeET4_jRbjT5_S1A_jjP12ihipStream_tbEUljE_EEESV_SW_SX_S14_S18_S1A_T6_T7_T9_mT8_S1C_bDpT10_ENKUlT_T0_E_clISt17integral_constantIbLb1EES1P_EEDaS1K_S1L_EUlS1K_E_NS1_11comp_targetILNS1_3genE2ELNS1_11target_archE906ELNS1_3gpuE6ELNS1_3repE0EEENS1_30default_config_static_selectorELNS0_4arch9wavefront6targetE1EEEvSY_
	.p2align	8
	.type	_ZN7rocprim17ROCPRIM_400000_NS6detail17trampoline_kernelINS0_13select_configILj256ELj13ELNS0_17block_load_methodE3ELS4_3ELS4_3ELNS0_20block_scan_algorithmE0ELj4294967295EEENS1_25partition_config_selectorILNS1_17partition_subalgoE3EjNS0_10empty_typeEbEEZZNS1_14partition_implILS8_3ELb0ES6_jNS0_17counting_iteratorIjlEEPS9_SE_NS0_5tupleIJPjSE_EEENSF_IJSE_SE_EEES9_SG_JZNS1_25segmented_radix_sort_implINS0_14default_configELb0EPKiPiPKlPlN2at6native12_GLOBAL__N_18offset_tEEE10hipError_tPvRmT1_PNSt15iterator_traitsISY_E10value_typeET2_T3_PNSZ_IS14_E10value_typeET4_jRbjT5_S1A_jjP12ihipStream_tbEUljE_EEESV_SW_SX_S14_S18_S1A_T6_T7_T9_mT8_S1C_bDpT10_ENKUlT_T0_E_clISt17integral_constantIbLb1EES1P_EEDaS1K_S1L_EUlS1K_E_NS1_11comp_targetILNS1_3genE2ELNS1_11target_archE906ELNS1_3gpuE6ELNS1_3repE0EEENS1_30default_config_static_selectorELNS0_4arch9wavefront6targetE1EEEvSY_,@function
_ZN7rocprim17ROCPRIM_400000_NS6detail17trampoline_kernelINS0_13select_configILj256ELj13ELNS0_17block_load_methodE3ELS4_3ELS4_3ELNS0_20block_scan_algorithmE0ELj4294967295EEENS1_25partition_config_selectorILNS1_17partition_subalgoE3EjNS0_10empty_typeEbEEZZNS1_14partition_implILS8_3ELb0ES6_jNS0_17counting_iteratorIjlEEPS9_SE_NS0_5tupleIJPjSE_EEENSF_IJSE_SE_EEES9_SG_JZNS1_25segmented_radix_sort_implINS0_14default_configELb0EPKiPiPKlPlN2at6native12_GLOBAL__N_18offset_tEEE10hipError_tPvRmT1_PNSt15iterator_traitsISY_E10value_typeET2_T3_PNSZ_IS14_E10value_typeET4_jRbjT5_S1A_jjP12ihipStream_tbEUljE_EEESV_SW_SX_S14_S18_S1A_T6_T7_T9_mT8_S1C_bDpT10_ENKUlT_T0_E_clISt17integral_constantIbLb1EES1P_EEDaS1K_S1L_EUlS1K_E_NS1_11comp_targetILNS1_3genE2ELNS1_11target_archE906ELNS1_3gpuE6ELNS1_3repE0EEENS1_30default_config_static_selectorELNS0_4arch9wavefront6targetE1EEEvSY_: ; @_ZN7rocprim17ROCPRIM_400000_NS6detail17trampoline_kernelINS0_13select_configILj256ELj13ELNS0_17block_load_methodE3ELS4_3ELS4_3ELNS0_20block_scan_algorithmE0ELj4294967295EEENS1_25partition_config_selectorILNS1_17partition_subalgoE3EjNS0_10empty_typeEbEEZZNS1_14partition_implILS8_3ELb0ES6_jNS0_17counting_iteratorIjlEEPS9_SE_NS0_5tupleIJPjSE_EEENSF_IJSE_SE_EEES9_SG_JZNS1_25segmented_radix_sort_implINS0_14default_configELb0EPKiPiPKlPlN2at6native12_GLOBAL__N_18offset_tEEE10hipError_tPvRmT1_PNSt15iterator_traitsISY_E10value_typeET2_T3_PNSZ_IS14_E10value_typeET4_jRbjT5_S1A_jjP12ihipStream_tbEUljE_EEESV_SW_SX_S14_S18_S1A_T6_T7_T9_mT8_S1C_bDpT10_ENKUlT_T0_E_clISt17integral_constantIbLb1EES1P_EEDaS1K_S1L_EUlS1K_E_NS1_11comp_targetILNS1_3genE2ELNS1_11target_archE906ELNS1_3gpuE6ELNS1_3repE0EEENS1_30default_config_static_selectorELNS0_4arch9wavefront6targetE1EEEvSY_
; %bb.0:
	s_endpgm
	.section	.rodata,"a",@progbits
	.p2align	6, 0x0
	.amdhsa_kernel _ZN7rocprim17ROCPRIM_400000_NS6detail17trampoline_kernelINS0_13select_configILj256ELj13ELNS0_17block_load_methodE3ELS4_3ELS4_3ELNS0_20block_scan_algorithmE0ELj4294967295EEENS1_25partition_config_selectorILNS1_17partition_subalgoE3EjNS0_10empty_typeEbEEZZNS1_14partition_implILS8_3ELb0ES6_jNS0_17counting_iteratorIjlEEPS9_SE_NS0_5tupleIJPjSE_EEENSF_IJSE_SE_EEES9_SG_JZNS1_25segmented_radix_sort_implINS0_14default_configELb0EPKiPiPKlPlN2at6native12_GLOBAL__N_18offset_tEEE10hipError_tPvRmT1_PNSt15iterator_traitsISY_E10value_typeET2_T3_PNSZ_IS14_E10value_typeET4_jRbjT5_S1A_jjP12ihipStream_tbEUljE_EEESV_SW_SX_S14_S18_S1A_T6_T7_T9_mT8_S1C_bDpT10_ENKUlT_T0_E_clISt17integral_constantIbLb1EES1P_EEDaS1K_S1L_EUlS1K_E_NS1_11comp_targetILNS1_3genE2ELNS1_11target_archE906ELNS1_3gpuE6ELNS1_3repE0EEENS1_30default_config_static_selectorELNS0_4arch9wavefront6targetE1EEEvSY_
		.amdhsa_group_segment_fixed_size 0
		.amdhsa_private_segment_fixed_size 0
		.amdhsa_kernarg_size 152
		.amdhsa_user_sgpr_count 6
		.amdhsa_user_sgpr_private_segment_buffer 1
		.amdhsa_user_sgpr_dispatch_ptr 0
		.amdhsa_user_sgpr_queue_ptr 0
		.amdhsa_user_sgpr_kernarg_segment_ptr 1
		.amdhsa_user_sgpr_dispatch_id 0
		.amdhsa_user_sgpr_flat_scratch_init 0
		.amdhsa_user_sgpr_private_segment_size 0
		.amdhsa_uses_dynamic_stack 0
		.amdhsa_system_sgpr_private_segment_wavefront_offset 0
		.amdhsa_system_sgpr_workgroup_id_x 1
		.amdhsa_system_sgpr_workgroup_id_y 0
		.amdhsa_system_sgpr_workgroup_id_z 0
		.amdhsa_system_sgpr_workgroup_info 0
		.amdhsa_system_vgpr_workitem_id 0
		.amdhsa_next_free_vgpr 1
		.amdhsa_next_free_sgpr 0
		.amdhsa_reserve_vcc 0
		.amdhsa_reserve_flat_scratch 0
		.amdhsa_float_round_mode_32 0
		.amdhsa_float_round_mode_16_64 0
		.amdhsa_float_denorm_mode_32 3
		.amdhsa_float_denorm_mode_16_64 3
		.amdhsa_dx10_clamp 1
		.amdhsa_ieee_mode 1
		.amdhsa_fp16_overflow 0
		.amdhsa_exception_fp_ieee_invalid_op 0
		.amdhsa_exception_fp_denorm_src 0
		.amdhsa_exception_fp_ieee_div_zero 0
		.amdhsa_exception_fp_ieee_overflow 0
		.amdhsa_exception_fp_ieee_underflow 0
		.amdhsa_exception_fp_ieee_inexact 0
		.amdhsa_exception_int_div_zero 0
	.end_amdhsa_kernel
	.section	.text._ZN7rocprim17ROCPRIM_400000_NS6detail17trampoline_kernelINS0_13select_configILj256ELj13ELNS0_17block_load_methodE3ELS4_3ELS4_3ELNS0_20block_scan_algorithmE0ELj4294967295EEENS1_25partition_config_selectorILNS1_17partition_subalgoE3EjNS0_10empty_typeEbEEZZNS1_14partition_implILS8_3ELb0ES6_jNS0_17counting_iteratorIjlEEPS9_SE_NS0_5tupleIJPjSE_EEENSF_IJSE_SE_EEES9_SG_JZNS1_25segmented_radix_sort_implINS0_14default_configELb0EPKiPiPKlPlN2at6native12_GLOBAL__N_18offset_tEEE10hipError_tPvRmT1_PNSt15iterator_traitsISY_E10value_typeET2_T3_PNSZ_IS14_E10value_typeET4_jRbjT5_S1A_jjP12ihipStream_tbEUljE_EEESV_SW_SX_S14_S18_S1A_T6_T7_T9_mT8_S1C_bDpT10_ENKUlT_T0_E_clISt17integral_constantIbLb1EES1P_EEDaS1K_S1L_EUlS1K_E_NS1_11comp_targetILNS1_3genE2ELNS1_11target_archE906ELNS1_3gpuE6ELNS1_3repE0EEENS1_30default_config_static_selectorELNS0_4arch9wavefront6targetE1EEEvSY_,"axG",@progbits,_ZN7rocprim17ROCPRIM_400000_NS6detail17trampoline_kernelINS0_13select_configILj256ELj13ELNS0_17block_load_methodE3ELS4_3ELS4_3ELNS0_20block_scan_algorithmE0ELj4294967295EEENS1_25partition_config_selectorILNS1_17partition_subalgoE3EjNS0_10empty_typeEbEEZZNS1_14partition_implILS8_3ELb0ES6_jNS0_17counting_iteratorIjlEEPS9_SE_NS0_5tupleIJPjSE_EEENSF_IJSE_SE_EEES9_SG_JZNS1_25segmented_radix_sort_implINS0_14default_configELb0EPKiPiPKlPlN2at6native12_GLOBAL__N_18offset_tEEE10hipError_tPvRmT1_PNSt15iterator_traitsISY_E10value_typeET2_T3_PNSZ_IS14_E10value_typeET4_jRbjT5_S1A_jjP12ihipStream_tbEUljE_EEESV_SW_SX_S14_S18_S1A_T6_T7_T9_mT8_S1C_bDpT10_ENKUlT_T0_E_clISt17integral_constantIbLb1EES1P_EEDaS1K_S1L_EUlS1K_E_NS1_11comp_targetILNS1_3genE2ELNS1_11target_archE906ELNS1_3gpuE6ELNS1_3repE0EEENS1_30default_config_static_selectorELNS0_4arch9wavefront6targetE1EEEvSY_,comdat
.Lfunc_end580:
	.size	_ZN7rocprim17ROCPRIM_400000_NS6detail17trampoline_kernelINS0_13select_configILj256ELj13ELNS0_17block_load_methodE3ELS4_3ELS4_3ELNS0_20block_scan_algorithmE0ELj4294967295EEENS1_25partition_config_selectorILNS1_17partition_subalgoE3EjNS0_10empty_typeEbEEZZNS1_14partition_implILS8_3ELb0ES6_jNS0_17counting_iteratorIjlEEPS9_SE_NS0_5tupleIJPjSE_EEENSF_IJSE_SE_EEES9_SG_JZNS1_25segmented_radix_sort_implINS0_14default_configELb0EPKiPiPKlPlN2at6native12_GLOBAL__N_18offset_tEEE10hipError_tPvRmT1_PNSt15iterator_traitsISY_E10value_typeET2_T3_PNSZ_IS14_E10value_typeET4_jRbjT5_S1A_jjP12ihipStream_tbEUljE_EEESV_SW_SX_S14_S18_S1A_T6_T7_T9_mT8_S1C_bDpT10_ENKUlT_T0_E_clISt17integral_constantIbLb1EES1P_EEDaS1K_S1L_EUlS1K_E_NS1_11comp_targetILNS1_3genE2ELNS1_11target_archE906ELNS1_3gpuE6ELNS1_3repE0EEENS1_30default_config_static_selectorELNS0_4arch9wavefront6targetE1EEEvSY_, .Lfunc_end580-_ZN7rocprim17ROCPRIM_400000_NS6detail17trampoline_kernelINS0_13select_configILj256ELj13ELNS0_17block_load_methodE3ELS4_3ELS4_3ELNS0_20block_scan_algorithmE0ELj4294967295EEENS1_25partition_config_selectorILNS1_17partition_subalgoE3EjNS0_10empty_typeEbEEZZNS1_14partition_implILS8_3ELb0ES6_jNS0_17counting_iteratorIjlEEPS9_SE_NS0_5tupleIJPjSE_EEENSF_IJSE_SE_EEES9_SG_JZNS1_25segmented_radix_sort_implINS0_14default_configELb0EPKiPiPKlPlN2at6native12_GLOBAL__N_18offset_tEEE10hipError_tPvRmT1_PNSt15iterator_traitsISY_E10value_typeET2_T3_PNSZ_IS14_E10value_typeET4_jRbjT5_S1A_jjP12ihipStream_tbEUljE_EEESV_SW_SX_S14_S18_S1A_T6_T7_T9_mT8_S1C_bDpT10_ENKUlT_T0_E_clISt17integral_constantIbLb1EES1P_EEDaS1K_S1L_EUlS1K_E_NS1_11comp_targetILNS1_3genE2ELNS1_11target_archE906ELNS1_3gpuE6ELNS1_3repE0EEENS1_30default_config_static_selectorELNS0_4arch9wavefront6targetE1EEEvSY_
                                        ; -- End function
	.set _ZN7rocprim17ROCPRIM_400000_NS6detail17trampoline_kernelINS0_13select_configILj256ELj13ELNS0_17block_load_methodE3ELS4_3ELS4_3ELNS0_20block_scan_algorithmE0ELj4294967295EEENS1_25partition_config_selectorILNS1_17partition_subalgoE3EjNS0_10empty_typeEbEEZZNS1_14partition_implILS8_3ELb0ES6_jNS0_17counting_iteratorIjlEEPS9_SE_NS0_5tupleIJPjSE_EEENSF_IJSE_SE_EEES9_SG_JZNS1_25segmented_radix_sort_implINS0_14default_configELb0EPKiPiPKlPlN2at6native12_GLOBAL__N_18offset_tEEE10hipError_tPvRmT1_PNSt15iterator_traitsISY_E10value_typeET2_T3_PNSZ_IS14_E10value_typeET4_jRbjT5_S1A_jjP12ihipStream_tbEUljE_EEESV_SW_SX_S14_S18_S1A_T6_T7_T9_mT8_S1C_bDpT10_ENKUlT_T0_E_clISt17integral_constantIbLb1EES1P_EEDaS1K_S1L_EUlS1K_E_NS1_11comp_targetILNS1_3genE2ELNS1_11target_archE906ELNS1_3gpuE6ELNS1_3repE0EEENS1_30default_config_static_selectorELNS0_4arch9wavefront6targetE1EEEvSY_.num_vgpr, 0
	.set _ZN7rocprim17ROCPRIM_400000_NS6detail17trampoline_kernelINS0_13select_configILj256ELj13ELNS0_17block_load_methodE3ELS4_3ELS4_3ELNS0_20block_scan_algorithmE0ELj4294967295EEENS1_25partition_config_selectorILNS1_17partition_subalgoE3EjNS0_10empty_typeEbEEZZNS1_14partition_implILS8_3ELb0ES6_jNS0_17counting_iteratorIjlEEPS9_SE_NS0_5tupleIJPjSE_EEENSF_IJSE_SE_EEES9_SG_JZNS1_25segmented_radix_sort_implINS0_14default_configELb0EPKiPiPKlPlN2at6native12_GLOBAL__N_18offset_tEEE10hipError_tPvRmT1_PNSt15iterator_traitsISY_E10value_typeET2_T3_PNSZ_IS14_E10value_typeET4_jRbjT5_S1A_jjP12ihipStream_tbEUljE_EEESV_SW_SX_S14_S18_S1A_T6_T7_T9_mT8_S1C_bDpT10_ENKUlT_T0_E_clISt17integral_constantIbLb1EES1P_EEDaS1K_S1L_EUlS1K_E_NS1_11comp_targetILNS1_3genE2ELNS1_11target_archE906ELNS1_3gpuE6ELNS1_3repE0EEENS1_30default_config_static_selectorELNS0_4arch9wavefront6targetE1EEEvSY_.num_agpr, 0
	.set _ZN7rocprim17ROCPRIM_400000_NS6detail17trampoline_kernelINS0_13select_configILj256ELj13ELNS0_17block_load_methodE3ELS4_3ELS4_3ELNS0_20block_scan_algorithmE0ELj4294967295EEENS1_25partition_config_selectorILNS1_17partition_subalgoE3EjNS0_10empty_typeEbEEZZNS1_14partition_implILS8_3ELb0ES6_jNS0_17counting_iteratorIjlEEPS9_SE_NS0_5tupleIJPjSE_EEENSF_IJSE_SE_EEES9_SG_JZNS1_25segmented_radix_sort_implINS0_14default_configELb0EPKiPiPKlPlN2at6native12_GLOBAL__N_18offset_tEEE10hipError_tPvRmT1_PNSt15iterator_traitsISY_E10value_typeET2_T3_PNSZ_IS14_E10value_typeET4_jRbjT5_S1A_jjP12ihipStream_tbEUljE_EEESV_SW_SX_S14_S18_S1A_T6_T7_T9_mT8_S1C_bDpT10_ENKUlT_T0_E_clISt17integral_constantIbLb1EES1P_EEDaS1K_S1L_EUlS1K_E_NS1_11comp_targetILNS1_3genE2ELNS1_11target_archE906ELNS1_3gpuE6ELNS1_3repE0EEENS1_30default_config_static_selectorELNS0_4arch9wavefront6targetE1EEEvSY_.numbered_sgpr, 0
	.set _ZN7rocprim17ROCPRIM_400000_NS6detail17trampoline_kernelINS0_13select_configILj256ELj13ELNS0_17block_load_methodE3ELS4_3ELS4_3ELNS0_20block_scan_algorithmE0ELj4294967295EEENS1_25partition_config_selectorILNS1_17partition_subalgoE3EjNS0_10empty_typeEbEEZZNS1_14partition_implILS8_3ELb0ES6_jNS0_17counting_iteratorIjlEEPS9_SE_NS0_5tupleIJPjSE_EEENSF_IJSE_SE_EEES9_SG_JZNS1_25segmented_radix_sort_implINS0_14default_configELb0EPKiPiPKlPlN2at6native12_GLOBAL__N_18offset_tEEE10hipError_tPvRmT1_PNSt15iterator_traitsISY_E10value_typeET2_T3_PNSZ_IS14_E10value_typeET4_jRbjT5_S1A_jjP12ihipStream_tbEUljE_EEESV_SW_SX_S14_S18_S1A_T6_T7_T9_mT8_S1C_bDpT10_ENKUlT_T0_E_clISt17integral_constantIbLb1EES1P_EEDaS1K_S1L_EUlS1K_E_NS1_11comp_targetILNS1_3genE2ELNS1_11target_archE906ELNS1_3gpuE6ELNS1_3repE0EEENS1_30default_config_static_selectorELNS0_4arch9wavefront6targetE1EEEvSY_.num_named_barrier, 0
	.set _ZN7rocprim17ROCPRIM_400000_NS6detail17trampoline_kernelINS0_13select_configILj256ELj13ELNS0_17block_load_methodE3ELS4_3ELS4_3ELNS0_20block_scan_algorithmE0ELj4294967295EEENS1_25partition_config_selectorILNS1_17partition_subalgoE3EjNS0_10empty_typeEbEEZZNS1_14partition_implILS8_3ELb0ES6_jNS0_17counting_iteratorIjlEEPS9_SE_NS0_5tupleIJPjSE_EEENSF_IJSE_SE_EEES9_SG_JZNS1_25segmented_radix_sort_implINS0_14default_configELb0EPKiPiPKlPlN2at6native12_GLOBAL__N_18offset_tEEE10hipError_tPvRmT1_PNSt15iterator_traitsISY_E10value_typeET2_T3_PNSZ_IS14_E10value_typeET4_jRbjT5_S1A_jjP12ihipStream_tbEUljE_EEESV_SW_SX_S14_S18_S1A_T6_T7_T9_mT8_S1C_bDpT10_ENKUlT_T0_E_clISt17integral_constantIbLb1EES1P_EEDaS1K_S1L_EUlS1K_E_NS1_11comp_targetILNS1_3genE2ELNS1_11target_archE906ELNS1_3gpuE6ELNS1_3repE0EEENS1_30default_config_static_selectorELNS0_4arch9wavefront6targetE1EEEvSY_.private_seg_size, 0
	.set _ZN7rocprim17ROCPRIM_400000_NS6detail17trampoline_kernelINS0_13select_configILj256ELj13ELNS0_17block_load_methodE3ELS4_3ELS4_3ELNS0_20block_scan_algorithmE0ELj4294967295EEENS1_25partition_config_selectorILNS1_17partition_subalgoE3EjNS0_10empty_typeEbEEZZNS1_14partition_implILS8_3ELb0ES6_jNS0_17counting_iteratorIjlEEPS9_SE_NS0_5tupleIJPjSE_EEENSF_IJSE_SE_EEES9_SG_JZNS1_25segmented_radix_sort_implINS0_14default_configELb0EPKiPiPKlPlN2at6native12_GLOBAL__N_18offset_tEEE10hipError_tPvRmT1_PNSt15iterator_traitsISY_E10value_typeET2_T3_PNSZ_IS14_E10value_typeET4_jRbjT5_S1A_jjP12ihipStream_tbEUljE_EEESV_SW_SX_S14_S18_S1A_T6_T7_T9_mT8_S1C_bDpT10_ENKUlT_T0_E_clISt17integral_constantIbLb1EES1P_EEDaS1K_S1L_EUlS1K_E_NS1_11comp_targetILNS1_3genE2ELNS1_11target_archE906ELNS1_3gpuE6ELNS1_3repE0EEENS1_30default_config_static_selectorELNS0_4arch9wavefront6targetE1EEEvSY_.uses_vcc, 0
	.set _ZN7rocprim17ROCPRIM_400000_NS6detail17trampoline_kernelINS0_13select_configILj256ELj13ELNS0_17block_load_methodE3ELS4_3ELS4_3ELNS0_20block_scan_algorithmE0ELj4294967295EEENS1_25partition_config_selectorILNS1_17partition_subalgoE3EjNS0_10empty_typeEbEEZZNS1_14partition_implILS8_3ELb0ES6_jNS0_17counting_iteratorIjlEEPS9_SE_NS0_5tupleIJPjSE_EEENSF_IJSE_SE_EEES9_SG_JZNS1_25segmented_radix_sort_implINS0_14default_configELb0EPKiPiPKlPlN2at6native12_GLOBAL__N_18offset_tEEE10hipError_tPvRmT1_PNSt15iterator_traitsISY_E10value_typeET2_T3_PNSZ_IS14_E10value_typeET4_jRbjT5_S1A_jjP12ihipStream_tbEUljE_EEESV_SW_SX_S14_S18_S1A_T6_T7_T9_mT8_S1C_bDpT10_ENKUlT_T0_E_clISt17integral_constantIbLb1EES1P_EEDaS1K_S1L_EUlS1K_E_NS1_11comp_targetILNS1_3genE2ELNS1_11target_archE906ELNS1_3gpuE6ELNS1_3repE0EEENS1_30default_config_static_selectorELNS0_4arch9wavefront6targetE1EEEvSY_.uses_flat_scratch, 0
	.set _ZN7rocprim17ROCPRIM_400000_NS6detail17trampoline_kernelINS0_13select_configILj256ELj13ELNS0_17block_load_methodE3ELS4_3ELS4_3ELNS0_20block_scan_algorithmE0ELj4294967295EEENS1_25partition_config_selectorILNS1_17partition_subalgoE3EjNS0_10empty_typeEbEEZZNS1_14partition_implILS8_3ELb0ES6_jNS0_17counting_iteratorIjlEEPS9_SE_NS0_5tupleIJPjSE_EEENSF_IJSE_SE_EEES9_SG_JZNS1_25segmented_radix_sort_implINS0_14default_configELb0EPKiPiPKlPlN2at6native12_GLOBAL__N_18offset_tEEE10hipError_tPvRmT1_PNSt15iterator_traitsISY_E10value_typeET2_T3_PNSZ_IS14_E10value_typeET4_jRbjT5_S1A_jjP12ihipStream_tbEUljE_EEESV_SW_SX_S14_S18_S1A_T6_T7_T9_mT8_S1C_bDpT10_ENKUlT_T0_E_clISt17integral_constantIbLb1EES1P_EEDaS1K_S1L_EUlS1K_E_NS1_11comp_targetILNS1_3genE2ELNS1_11target_archE906ELNS1_3gpuE6ELNS1_3repE0EEENS1_30default_config_static_selectorELNS0_4arch9wavefront6targetE1EEEvSY_.has_dyn_sized_stack, 0
	.set _ZN7rocprim17ROCPRIM_400000_NS6detail17trampoline_kernelINS0_13select_configILj256ELj13ELNS0_17block_load_methodE3ELS4_3ELS4_3ELNS0_20block_scan_algorithmE0ELj4294967295EEENS1_25partition_config_selectorILNS1_17partition_subalgoE3EjNS0_10empty_typeEbEEZZNS1_14partition_implILS8_3ELb0ES6_jNS0_17counting_iteratorIjlEEPS9_SE_NS0_5tupleIJPjSE_EEENSF_IJSE_SE_EEES9_SG_JZNS1_25segmented_radix_sort_implINS0_14default_configELb0EPKiPiPKlPlN2at6native12_GLOBAL__N_18offset_tEEE10hipError_tPvRmT1_PNSt15iterator_traitsISY_E10value_typeET2_T3_PNSZ_IS14_E10value_typeET4_jRbjT5_S1A_jjP12ihipStream_tbEUljE_EEESV_SW_SX_S14_S18_S1A_T6_T7_T9_mT8_S1C_bDpT10_ENKUlT_T0_E_clISt17integral_constantIbLb1EES1P_EEDaS1K_S1L_EUlS1K_E_NS1_11comp_targetILNS1_3genE2ELNS1_11target_archE906ELNS1_3gpuE6ELNS1_3repE0EEENS1_30default_config_static_selectorELNS0_4arch9wavefront6targetE1EEEvSY_.has_recursion, 0
	.set _ZN7rocprim17ROCPRIM_400000_NS6detail17trampoline_kernelINS0_13select_configILj256ELj13ELNS0_17block_load_methodE3ELS4_3ELS4_3ELNS0_20block_scan_algorithmE0ELj4294967295EEENS1_25partition_config_selectorILNS1_17partition_subalgoE3EjNS0_10empty_typeEbEEZZNS1_14partition_implILS8_3ELb0ES6_jNS0_17counting_iteratorIjlEEPS9_SE_NS0_5tupleIJPjSE_EEENSF_IJSE_SE_EEES9_SG_JZNS1_25segmented_radix_sort_implINS0_14default_configELb0EPKiPiPKlPlN2at6native12_GLOBAL__N_18offset_tEEE10hipError_tPvRmT1_PNSt15iterator_traitsISY_E10value_typeET2_T3_PNSZ_IS14_E10value_typeET4_jRbjT5_S1A_jjP12ihipStream_tbEUljE_EEESV_SW_SX_S14_S18_S1A_T6_T7_T9_mT8_S1C_bDpT10_ENKUlT_T0_E_clISt17integral_constantIbLb1EES1P_EEDaS1K_S1L_EUlS1K_E_NS1_11comp_targetILNS1_3genE2ELNS1_11target_archE906ELNS1_3gpuE6ELNS1_3repE0EEENS1_30default_config_static_selectorELNS0_4arch9wavefront6targetE1EEEvSY_.has_indirect_call, 0
	.section	.AMDGPU.csdata,"",@progbits
; Kernel info:
; codeLenInByte = 4
; TotalNumSgprs: 4
; NumVgprs: 0
; ScratchSize: 0
; MemoryBound: 0
; FloatMode: 240
; IeeeMode: 1
; LDSByteSize: 0 bytes/workgroup (compile time only)
; SGPRBlocks: 0
; VGPRBlocks: 0
; NumSGPRsForWavesPerEU: 4
; NumVGPRsForWavesPerEU: 1
; Occupancy: 10
; WaveLimiterHint : 0
; COMPUTE_PGM_RSRC2:SCRATCH_EN: 0
; COMPUTE_PGM_RSRC2:USER_SGPR: 6
; COMPUTE_PGM_RSRC2:TRAP_HANDLER: 0
; COMPUTE_PGM_RSRC2:TGID_X_EN: 1
; COMPUTE_PGM_RSRC2:TGID_Y_EN: 0
; COMPUTE_PGM_RSRC2:TGID_Z_EN: 0
; COMPUTE_PGM_RSRC2:TIDIG_COMP_CNT: 0
	.section	.text._ZN7rocprim17ROCPRIM_400000_NS6detail17trampoline_kernelINS0_13select_configILj256ELj13ELNS0_17block_load_methodE3ELS4_3ELS4_3ELNS0_20block_scan_algorithmE0ELj4294967295EEENS1_25partition_config_selectorILNS1_17partition_subalgoE3EjNS0_10empty_typeEbEEZZNS1_14partition_implILS8_3ELb0ES6_jNS0_17counting_iteratorIjlEEPS9_SE_NS0_5tupleIJPjSE_EEENSF_IJSE_SE_EEES9_SG_JZNS1_25segmented_radix_sort_implINS0_14default_configELb0EPKiPiPKlPlN2at6native12_GLOBAL__N_18offset_tEEE10hipError_tPvRmT1_PNSt15iterator_traitsISY_E10value_typeET2_T3_PNSZ_IS14_E10value_typeET4_jRbjT5_S1A_jjP12ihipStream_tbEUljE_EEESV_SW_SX_S14_S18_S1A_T6_T7_T9_mT8_S1C_bDpT10_ENKUlT_T0_E_clISt17integral_constantIbLb1EES1P_EEDaS1K_S1L_EUlS1K_E_NS1_11comp_targetILNS1_3genE10ELNS1_11target_archE1200ELNS1_3gpuE4ELNS1_3repE0EEENS1_30default_config_static_selectorELNS0_4arch9wavefront6targetE1EEEvSY_,"axG",@progbits,_ZN7rocprim17ROCPRIM_400000_NS6detail17trampoline_kernelINS0_13select_configILj256ELj13ELNS0_17block_load_methodE3ELS4_3ELS4_3ELNS0_20block_scan_algorithmE0ELj4294967295EEENS1_25partition_config_selectorILNS1_17partition_subalgoE3EjNS0_10empty_typeEbEEZZNS1_14partition_implILS8_3ELb0ES6_jNS0_17counting_iteratorIjlEEPS9_SE_NS0_5tupleIJPjSE_EEENSF_IJSE_SE_EEES9_SG_JZNS1_25segmented_radix_sort_implINS0_14default_configELb0EPKiPiPKlPlN2at6native12_GLOBAL__N_18offset_tEEE10hipError_tPvRmT1_PNSt15iterator_traitsISY_E10value_typeET2_T3_PNSZ_IS14_E10value_typeET4_jRbjT5_S1A_jjP12ihipStream_tbEUljE_EEESV_SW_SX_S14_S18_S1A_T6_T7_T9_mT8_S1C_bDpT10_ENKUlT_T0_E_clISt17integral_constantIbLb1EES1P_EEDaS1K_S1L_EUlS1K_E_NS1_11comp_targetILNS1_3genE10ELNS1_11target_archE1200ELNS1_3gpuE4ELNS1_3repE0EEENS1_30default_config_static_selectorELNS0_4arch9wavefront6targetE1EEEvSY_,comdat
	.globl	_ZN7rocprim17ROCPRIM_400000_NS6detail17trampoline_kernelINS0_13select_configILj256ELj13ELNS0_17block_load_methodE3ELS4_3ELS4_3ELNS0_20block_scan_algorithmE0ELj4294967295EEENS1_25partition_config_selectorILNS1_17partition_subalgoE3EjNS0_10empty_typeEbEEZZNS1_14partition_implILS8_3ELb0ES6_jNS0_17counting_iteratorIjlEEPS9_SE_NS0_5tupleIJPjSE_EEENSF_IJSE_SE_EEES9_SG_JZNS1_25segmented_radix_sort_implINS0_14default_configELb0EPKiPiPKlPlN2at6native12_GLOBAL__N_18offset_tEEE10hipError_tPvRmT1_PNSt15iterator_traitsISY_E10value_typeET2_T3_PNSZ_IS14_E10value_typeET4_jRbjT5_S1A_jjP12ihipStream_tbEUljE_EEESV_SW_SX_S14_S18_S1A_T6_T7_T9_mT8_S1C_bDpT10_ENKUlT_T0_E_clISt17integral_constantIbLb1EES1P_EEDaS1K_S1L_EUlS1K_E_NS1_11comp_targetILNS1_3genE10ELNS1_11target_archE1200ELNS1_3gpuE4ELNS1_3repE0EEENS1_30default_config_static_selectorELNS0_4arch9wavefront6targetE1EEEvSY_ ; -- Begin function _ZN7rocprim17ROCPRIM_400000_NS6detail17trampoline_kernelINS0_13select_configILj256ELj13ELNS0_17block_load_methodE3ELS4_3ELS4_3ELNS0_20block_scan_algorithmE0ELj4294967295EEENS1_25partition_config_selectorILNS1_17partition_subalgoE3EjNS0_10empty_typeEbEEZZNS1_14partition_implILS8_3ELb0ES6_jNS0_17counting_iteratorIjlEEPS9_SE_NS0_5tupleIJPjSE_EEENSF_IJSE_SE_EEES9_SG_JZNS1_25segmented_radix_sort_implINS0_14default_configELb0EPKiPiPKlPlN2at6native12_GLOBAL__N_18offset_tEEE10hipError_tPvRmT1_PNSt15iterator_traitsISY_E10value_typeET2_T3_PNSZ_IS14_E10value_typeET4_jRbjT5_S1A_jjP12ihipStream_tbEUljE_EEESV_SW_SX_S14_S18_S1A_T6_T7_T9_mT8_S1C_bDpT10_ENKUlT_T0_E_clISt17integral_constantIbLb1EES1P_EEDaS1K_S1L_EUlS1K_E_NS1_11comp_targetILNS1_3genE10ELNS1_11target_archE1200ELNS1_3gpuE4ELNS1_3repE0EEENS1_30default_config_static_selectorELNS0_4arch9wavefront6targetE1EEEvSY_
	.p2align	8
	.type	_ZN7rocprim17ROCPRIM_400000_NS6detail17trampoline_kernelINS0_13select_configILj256ELj13ELNS0_17block_load_methodE3ELS4_3ELS4_3ELNS0_20block_scan_algorithmE0ELj4294967295EEENS1_25partition_config_selectorILNS1_17partition_subalgoE3EjNS0_10empty_typeEbEEZZNS1_14partition_implILS8_3ELb0ES6_jNS0_17counting_iteratorIjlEEPS9_SE_NS0_5tupleIJPjSE_EEENSF_IJSE_SE_EEES9_SG_JZNS1_25segmented_radix_sort_implINS0_14default_configELb0EPKiPiPKlPlN2at6native12_GLOBAL__N_18offset_tEEE10hipError_tPvRmT1_PNSt15iterator_traitsISY_E10value_typeET2_T3_PNSZ_IS14_E10value_typeET4_jRbjT5_S1A_jjP12ihipStream_tbEUljE_EEESV_SW_SX_S14_S18_S1A_T6_T7_T9_mT8_S1C_bDpT10_ENKUlT_T0_E_clISt17integral_constantIbLb1EES1P_EEDaS1K_S1L_EUlS1K_E_NS1_11comp_targetILNS1_3genE10ELNS1_11target_archE1200ELNS1_3gpuE4ELNS1_3repE0EEENS1_30default_config_static_selectorELNS0_4arch9wavefront6targetE1EEEvSY_,@function
_ZN7rocprim17ROCPRIM_400000_NS6detail17trampoline_kernelINS0_13select_configILj256ELj13ELNS0_17block_load_methodE3ELS4_3ELS4_3ELNS0_20block_scan_algorithmE0ELj4294967295EEENS1_25partition_config_selectorILNS1_17partition_subalgoE3EjNS0_10empty_typeEbEEZZNS1_14partition_implILS8_3ELb0ES6_jNS0_17counting_iteratorIjlEEPS9_SE_NS0_5tupleIJPjSE_EEENSF_IJSE_SE_EEES9_SG_JZNS1_25segmented_radix_sort_implINS0_14default_configELb0EPKiPiPKlPlN2at6native12_GLOBAL__N_18offset_tEEE10hipError_tPvRmT1_PNSt15iterator_traitsISY_E10value_typeET2_T3_PNSZ_IS14_E10value_typeET4_jRbjT5_S1A_jjP12ihipStream_tbEUljE_EEESV_SW_SX_S14_S18_S1A_T6_T7_T9_mT8_S1C_bDpT10_ENKUlT_T0_E_clISt17integral_constantIbLb1EES1P_EEDaS1K_S1L_EUlS1K_E_NS1_11comp_targetILNS1_3genE10ELNS1_11target_archE1200ELNS1_3gpuE4ELNS1_3repE0EEENS1_30default_config_static_selectorELNS0_4arch9wavefront6targetE1EEEvSY_: ; @_ZN7rocprim17ROCPRIM_400000_NS6detail17trampoline_kernelINS0_13select_configILj256ELj13ELNS0_17block_load_methodE3ELS4_3ELS4_3ELNS0_20block_scan_algorithmE0ELj4294967295EEENS1_25partition_config_selectorILNS1_17partition_subalgoE3EjNS0_10empty_typeEbEEZZNS1_14partition_implILS8_3ELb0ES6_jNS0_17counting_iteratorIjlEEPS9_SE_NS0_5tupleIJPjSE_EEENSF_IJSE_SE_EEES9_SG_JZNS1_25segmented_radix_sort_implINS0_14default_configELb0EPKiPiPKlPlN2at6native12_GLOBAL__N_18offset_tEEE10hipError_tPvRmT1_PNSt15iterator_traitsISY_E10value_typeET2_T3_PNSZ_IS14_E10value_typeET4_jRbjT5_S1A_jjP12ihipStream_tbEUljE_EEESV_SW_SX_S14_S18_S1A_T6_T7_T9_mT8_S1C_bDpT10_ENKUlT_T0_E_clISt17integral_constantIbLb1EES1P_EEDaS1K_S1L_EUlS1K_E_NS1_11comp_targetILNS1_3genE10ELNS1_11target_archE1200ELNS1_3gpuE4ELNS1_3repE0EEENS1_30default_config_static_selectorELNS0_4arch9wavefront6targetE1EEEvSY_
; %bb.0:
	.section	.rodata,"a",@progbits
	.p2align	6, 0x0
	.amdhsa_kernel _ZN7rocprim17ROCPRIM_400000_NS6detail17trampoline_kernelINS0_13select_configILj256ELj13ELNS0_17block_load_methodE3ELS4_3ELS4_3ELNS0_20block_scan_algorithmE0ELj4294967295EEENS1_25partition_config_selectorILNS1_17partition_subalgoE3EjNS0_10empty_typeEbEEZZNS1_14partition_implILS8_3ELb0ES6_jNS0_17counting_iteratorIjlEEPS9_SE_NS0_5tupleIJPjSE_EEENSF_IJSE_SE_EEES9_SG_JZNS1_25segmented_radix_sort_implINS0_14default_configELb0EPKiPiPKlPlN2at6native12_GLOBAL__N_18offset_tEEE10hipError_tPvRmT1_PNSt15iterator_traitsISY_E10value_typeET2_T3_PNSZ_IS14_E10value_typeET4_jRbjT5_S1A_jjP12ihipStream_tbEUljE_EEESV_SW_SX_S14_S18_S1A_T6_T7_T9_mT8_S1C_bDpT10_ENKUlT_T0_E_clISt17integral_constantIbLb1EES1P_EEDaS1K_S1L_EUlS1K_E_NS1_11comp_targetILNS1_3genE10ELNS1_11target_archE1200ELNS1_3gpuE4ELNS1_3repE0EEENS1_30default_config_static_selectorELNS0_4arch9wavefront6targetE1EEEvSY_
		.amdhsa_group_segment_fixed_size 0
		.amdhsa_private_segment_fixed_size 0
		.amdhsa_kernarg_size 152
		.amdhsa_user_sgpr_count 6
		.amdhsa_user_sgpr_private_segment_buffer 1
		.amdhsa_user_sgpr_dispatch_ptr 0
		.amdhsa_user_sgpr_queue_ptr 0
		.amdhsa_user_sgpr_kernarg_segment_ptr 1
		.amdhsa_user_sgpr_dispatch_id 0
		.amdhsa_user_sgpr_flat_scratch_init 0
		.amdhsa_user_sgpr_private_segment_size 0
		.amdhsa_uses_dynamic_stack 0
		.amdhsa_system_sgpr_private_segment_wavefront_offset 0
		.amdhsa_system_sgpr_workgroup_id_x 1
		.amdhsa_system_sgpr_workgroup_id_y 0
		.amdhsa_system_sgpr_workgroup_id_z 0
		.amdhsa_system_sgpr_workgroup_info 0
		.amdhsa_system_vgpr_workitem_id 0
		.amdhsa_next_free_vgpr 1
		.amdhsa_next_free_sgpr 0
		.amdhsa_reserve_vcc 0
		.amdhsa_reserve_flat_scratch 0
		.amdhsa_float_round_mode_32 0
		.amdhsa_float_round_mode_16_64 0
		.amdhsa_float_denorm_mode_32 3
		.amdhsa_float_denorm_mode_16_64 3
		.amdhsa_dx10_clamp 1
		.amdhsa_ieee_mode 1
		.amdhsa_fp16_overflow 0
		.amdhsa_exception_fp_ieee_invalid_op 0
		.amdhsa_exception_fp_denorm_src 0
		.amdhsa_exception_fp_ieee_div_zero 0
		.amdhsa_exception_fp_ieee_overflow 0
		.amdhsa_exception_fp_ieee_underflow 0
		.amdhsa_exception_fp_ieee_inexact 0
		.amdhsa_exception_int_div_zero 0
	.end_amdhsa_kernel
	.section	.text._ZN7rocprim17ROCPRIM_400000_NS6detail17trampoline_kernelINS0_13select_configILj256ELj13ELNS0_17block_load_methodE3ELS4_3ELS4_3ELNS0_20block_scan_algorithmE0ELj4294967295EEENS1_25partition_config_selectorILNS1_17partition_subalgoE3EjNS0_10empty_typeEbEEZZNS1_14partition_implILS8_3ELb0ES6_jNS0_17counting_iteratorIjlEEPS9_SE_NS0_5tupleIJPjSE_EEENSF_IJSE_SE_EEES9_SG_JZNS1_25segmented_radix_sort_implINS0_14default_configELb0EPKiPiPKlPlN2at6native12_GLOBAL__N_18offset_tEEE10hipError_tPvRmT1_PNSt15iterator_traitsISY_E10value_typeET2_T3_PNSZ_IS14_E10value_typeET4_jRbjT5_S1A_jjP12ihipStream_tbEUljE_EEESV_SW_SX_S14_S18_S1A_T6_T7_T9_mT8_S1C_bDpT10_ENKUlT_T0_E_clISt17integral_constantIbLb1EES1P_EEDaS1K_S1L_EUlS1K_E_NS1_11comp_targetILNS1_3genE10ELNS1_11target_archE1200ELNS1_3gpuE4ELNS1_3repE0EEENS1_30default_config_static_selectorELNS0_4arch9wavefront6targetE1EEEvSY_,"axG",@progbits,_ZN7rocprim17ROCPRIM_400000_NS6detail17trampoline_kernelINS0_13select_configILj256ELj13ELNS0_17block_load_methodE3ELS4_3ELS4_3ELNS0_20block_scan_algorithmE0ELj4294967295EEENS1_25partition_config_selectorILNS1_17partition_subalgoE3EjNS0_10empty_typeEbEEZZNS1_14partition_implILS8_3ELb0ES6_jNS0_17counting_iteratorIjlEEPS9_SE_NS0_5tupleIJPjSE_EEENSF_IJSE_SE_EEES9_SG_JZNS1_25segmented_radix_sort_implINS0_14default_configELb0EPKiPiPKlPlN2at6native12_GLOBAL__N_18offset_tEEE10hipError_tPvRmT1_PNSt15iterator_traitsISY_E10value_typeET2_T3_PNSZ_IS14_E10value_typeET4_jRbjT5_S1A_jjP12ihipStream_tbEUljE_EEESV_SW_SX_S14_S18_S1A_T6_T7_T9_mT8_S1C_bDpT10_ENKUlT_T0_E_clISt17integral_constantIbLb1EES1P_EEDaS1K_S1L_EUlS1K_E_NS1_11comp_targetILNS1_3genE10ELNS1_11target_archE1200ELNS1_3gpuE4ELNS1_3repE0EEENS1_30default_config_static_selectorELNS0_4arch9wavefront6targetE1EEEvSY_,comdat
.Lfunc_end581:
	.size	_ZN7rocprim17ROCPRIM_400000_NS6detail17trampoline_kernelINS0_13select_configILj256ELj13ELNS0_17block_load_methodE3ELS4_3ELS4_3ELNS0_20block_scan_algorithmE0ELj4294967295EEENS1_25partition_config_selectorILNS1_17partition_subalgoE3EjNS0_10empty_typeEbEEZZNS1_14partition_implILS8_3ELb0ES6_jNS0_17counting_iteratorIjlEEPS9_SE_NS0_5tupleIJPjSE_EEENSF_IJSE_SE_EEES9_SG_JZNS1_25segmented_radix_sort_implINS0_14default_configELb0EPKiPiPKlPlN2at6native12_GLOBAL__N_18offset_tEEE10hipError_tPvRmT1_PNSt15iterator_traitsISY_E10value_typeET2_T3_PNSZ_IS14_E10value_typeET4_jRbjT5_S1A_jjP12ihipStream_tbEUljE_EEESV_SW_SX_S14_S18_S1A_T6_T7_T9_mT8_S1C_bDpT10_ENKUlT_T0_E_clISt17integral_constantIbLb1EES1P_EEDaS1K_S1L_EUlS1K_E_NS1_11comp_targetILNS1_3genE10ELNS1_11target_archE1200ELNS1_3gpuE4ELNS1_3repE0EEENS1_30default_config_static_selectorELNS0_4arch9wavefront6targetE1EEEvSY_, .Lfunc_end581-_ZN7rocprim17ROCPRIM_400000_NS6detail17trampoline_kernelINS0_13select_configILj256ELj13ELNS0_17block_load_methodE3ELS4_3ELS4_3ELNS0_20block_scan_algorithmE0ELj4294967295EEENS1_25partition_config_selectorILNS1_17partition_subalgoE3EjNS0_10empty_typeEbEEZZNS1_14partition_implILS8_3ELb0ES6_jNS0_17counting_iteratorIjlEEPS9_SE_NS0_5tupleIJPjSE_EEENSF_IJSE_SE_EEES9_SG_JZNS1_25segmented_radix_sort_implINS0_14default_configELb0EPKiPiPKlPlN2at6native12_GLOBAL__N_18offset_tEEE10hipError_tPvRmT1_PNSt15iterator_traitsISY_E10value_typeET2_T3_PNSZ_IS14_E10value_typeET4_jRbjT5_S1A_jjP12ihipStream_tbEUljE_EEESV_SW_SX_S14_S18_S1A_T6_T7_T9_mT8_S1C_bDpT10_ENKUlT_T0_E_clISt17integral_constantIbLb1EES1P_EEDaS1K_S1L_EUlS1K_E_NS1_11comp_targetILNS1_3genE10ELNS1_11target_archE1200ELNS1_3gpuE4ELNS1_3repE0EEENS1_30default_config_static_selectorELNS0_4arch9wavefront6targetE1EEEvSY_
                                        ; -- End function
	.set _ZN7rocprim17ROCPRIM_400000_NS6detail17trampoline_kernelINS0_13select_configILj256ELj13ELNS0_17block_load_methodE3ELS4_3ELS4_3ELNS0_20block_scan_algorithmE0ELj4294967295EEENS1_25partition_config_selectorILNS1_17partition_subalgoE3EjNS0_10empty_typeEbEEZZNS1_14partition_implILS8_3ELb0ES6_jNS0_17counting_iteratorIjlEEPS9_SE_NS0_5tupleIJPjSE_EEENSF_IJSE_SE_EEES9_SG_JZNS1_25segmented_radix_sort_implINS0_14default_configELb0EPKiPiPKlPlN2at6native12_GLOBAL__N_18offset_tEEE10hipError_tPvRmT1_PNSt15iterator_traitsISY_E10value_typeET2_T3_PNSZ_IS14_E10value_typeET4_jRbjT5_S1A_jjP12ihipStream_tbEUljE_EEESV_SW_SX_S14_S18_S1A_T6_T7_T9_mT8_S1C_bDpT10_ENKUlT_T0_E_clISt17integral_constantIbLb1EES1P_EEDaS1K_S1L_EUlS1K_E_NS1_11comp_targetILNS1_3genE10ELNS1_11target_archE1200ELNS1_3gpuE4ELNS1_3repE0EEENS1_30default_config_static_selectorELNS0_4arch9wavefront6targetE1EEEvSY_.num_vgpr, 0
	.set _ZN7rocprim17ROCPRIM_400000_NS6detail17trampoline_kernelINS0_13select_configILj256ELj13ELNS0_17block_load_methodE3ELS4_3ELS4_3ELNS0_20block_scan_algorithmE0ELj4294967295EEENS1_25partition_config_selectorILNS1_17partition_subalgoE3EjNS0_10empty_typeEbEEZZNS1_14partition_implILS8_3ELb0ES6_jNS0_17counting_iteratorIjlEEPS9_SE_NS0_5tupleIJPjSE_EEENSF_IJSE_SE_EEES9_SG_JZNS1_25segmented_radix_sort_implINS0_14default_configELb0EPKiPiPKlPlN2at6native12_GLOBAL__N_18offset_tEEE10hipError_tPvRmT1_PNSt15iterator_traitsISY_E10value_typeET2_T3_PNSZ_IS14_E10value_typeET4_jRbjT5_S1A_jjP12ihipStream_tbEUljE_EEESV_SW_SX_S14_S18_S1A_T6_T7_T9_mT8_S1C_bDpT10_ENKUlT_T0_E_clISt17integral_constantIbLb1EES1P_EEDaS1K_S1L_EUlS1K_E_NS1_11comp_targetILNS1_3genE10ELNS1_11target_archE1200ELNS1_3gpuE4ELNS1_3repE0EEENS1_30default_config_static_selectorELNS0_4arch9wavefront6targetE1EEEvSY_.num_agpr, 0
	.set _ZN7rocprim17ROCPRIM_400000_NS6detail17trampoline_kernelINS0_13select_configILj256ELj13ELNS0_17block_load_methodE3ELS4_3ELS4_3ELNS0_20block_scan_algorithmE0ELj4294967295EEENS1_25partition_config_selectorILNS1_17partition_subalgoE3EjNS0_10empty_typeEbEEZZNS1_14partition_implILS8_3ELb0ES6_jNS0_17counting_iteratorIjlEEPS9_SE_NS0_5tupleIJPjSE_EEENSF_IJSE_SE_EEES9_SG_JZNS1_25segmented_radix_sort_implINS0_14default_configELb0EPKiPiPKlPlN2at6native12_GLOBAL__N_18offset_tEEE10hipError_tPvRmT1_PNSt15iterator_traitsISY_E10value_typeET2_T3_PNSZ_IS14_E10value_typeET4_jRbjT5_S1A_jjP12ihipStream_tbEUljE_EEESV_SW_SX_S14_S18_S1A_T6_T7_T9_mT8_S1C_bDpT10_ENKUlT_T0_E_clISt17integral_constantIbLb1EES1P_EEDaS1K_S1L_EUlS1K_E_NS1_11comp_targetILNS1_3genE10ELNS1_11target_archE1200ELNS1_3gpuE4ELNS1_3repE0EEENS1_30default_config_static_selectorELNS0_4arch9wavefront6targetE1EEEvSY_.numbered_sgpr, 0
	.set _ZN7rocprim17ROCPRIM_400000_NS6detail17trampoline_kernelINS0_13select_configILj256ELj13ELNS0_17block_load_methodE3ELS4_3ELS4_3ELNS0_20block_scan_algorithmE0ELj4294967295EEENS1_25partition_config_selectorILNS1_17partition_subalgoE3EjNS0_10empty_typeEbEEZZNS1_14partition_implILS8_3ELb0ES6_jNS0_17counting_iteratorIjlEEPS9_SE_NS0_5tupleIJPjSE_EEENSF_IJSE_SE_EEES9_SG_JZNS1_25segmented_radix_sort_implINS0_14default_configELb0EPKiPiPKlPlN2at6native12_GLOBAL__N_18offset_tEEE10hipError_tPvRmT1_PNSt15iterator_traitsISY_E10value_typeET2_T3_PNSZ_IS14_E10value_typeET4_jRbjT5_S1A_jjP12ihipStream_tbEUljE_EEESV_SW_SX_S14_S18_S1A_T6_T7_T9_mT8_S1C_bDpT10_ENKUlT_T0_E_clISt17integral_constantIbLb1EES1P_EEDaS1K_S1L_EUlS1K_E_NS1_11comp_targetILNS1_3genE10ELNS1_11target_archE1200ELNS1_3gpuE4ELNS1_3repE0EEENS1_30default_config_static_selectorELNS0_4arch9wavefront6targetE1EEEvSY_.num_named_barrier, 0
	.set _ZN7rocprim17ROCPRIM_400000_NS6detail17trampoline_kernelINS0_13select_configILj256ELj13ELNS0_17block_load_methodE3ELS4_3ELS4_3ELNS0_20block_scan_algorithmE0ELj4294967295EEENS1_25partition_config_selectorILNS1_17partition_subalgoE3EjNS0_10empty_typeEbEEZZNS1_14partition_implILS8_3ELb0ES6_jNS0_17counting_iteratorIjlEEPS9_SE_NS0_5tupleIJPjSE_EEENSF_IJSE_SE_EEES9_SG_JZNS1_25segmented_radix_sort_implINS0_14default_configELb0EPKiPiPKlPlN2at6native12_GLOBAL__N_18offset_tEEE10hipError_tPvRmT1_PNSt15iterator_traitsISY_E10value_typeET2_T3_PNSZ_IS14_E10value_typeET4_jRbjT5_S1A_jjP12ihipStream_tbEUljE_EEESV_SW_SX_S14_S18_S1A_T6_T7_T9_mT8_S1C_bDpT10_ENKUlT_T0_E_clISt17integral_constantIbLb1EES1P_EEDaS1K_S1L_EUlS1K_E_NS1_11comp_targetILNS1_3genE10ELNS1_11target_archE1200ELNS1_3gpuE4ELNS1_3repE0EEENS1_30default_config_static_selectorELNS0_4arch9wavefront6targetE1EEEvSY_.private_seg_size, 0
	.set _ZN7rocprim17ROCPRIM_400000_NS6detail17trampoline_kernelINS0_13select_configILj256ELj13ELNS0_17block_load_methodE3ELS4_3ELS4_3ELNS0_20block_scan_algorithmE0ELj4294967295EEENS1_25partition_config_selectorILNS1_17partition_subalgoE3EjNS0_10empty_typeEbEEZZNS1_14partition_implILS8_3ELb0ES6_jNS0_17counting_iteratorIjlEEPS9_SE_NS0_5tupleIJPjSE_EEENSF_IJSE_SE_EEES9_SG_JZNS1_25segmented_radix_sort_implINS0_14default_configELb0EPKiPiPKlPlN2at6native12_GLOBAL__N_18offset_tEEE10hipError_tPvRmT1_PNSt15iterator_traitsISY_E10value_typeET2_T3_PNSZ_IS14_E10value_typeET4_jRbjT5_S1A_jjP12ihipStream_tbEUljE_EEESV_SW_SX_S14_S18_S1A_T6_T7_T9_mT8_S1C_bDpT10_ENKUlT_T0_E_clISt17integral_constantIbLb1EES1P_EEDaS1K_S1L_EUlS1K_E_NS1_11comp_targetILNS1_3genE10ELNS1_11target_archE1200ELNS1_3gpuE4ELNS1_3repE0EEENS1_30default_config_static_selectorELNS0_4arch9wavefront6targetE1EEEvSY_.uses_vcc, 0
	.set _ZN7rocprim17ROCPRIM_400000_NS6detail17trampoline_kernelINS0_13select_configILj256ELj13ELNS0_17block_load_methodE3ELS4_3ELS4_3ELNS0_20block_scan_algorithmE0ELj4294967295EEENS1_25partition_config_selectorILNS1_17partition_subalgoE3EjNS0_10empty_typeEbEEZZNS1_14partition_implILS8_3ELb0ES6_jNS0_17counting_iteratorIjlEEPS9_SE_NS0_5tupleIJPjSE_EEENSF_IJSE_SE_EEES9_SG_JZNS1_25segmented_radix_sort_implINS0_14default_configELb0EPKiPiPKlPlN2at6native12_GLOBAL__N_18offset_tEEE10hipError_tPvRmT1_PNSt15iterator_traitsISY_E10value_typeET2_T3_PNSZ_IS14_E10value_typeET4_jRbjT5_S1A_jjP12ihipStream_tbEUljE_EEESV_SW_SX_S14_S18_S1A_T6_T7_T9_mT8_S1C_bDpT10_ENKUlT_T0_E_clISt17integral_constantIbLb1EES1P_EEDaS1K_S1L_EUlS1K_E_NS1_11comp_targetILNS1_3genE10ELNS1_11target_archE1200ELNS1_3gpuE4ELNS1_3repE0EEENS1_30default_config_static_selectorELNS0_4arch9wavefront6targetE1EEEvSY_.uses_flat_scratch, 0
	.set _ZN7rocprim17ROCPRIM_400000_NS6detail17trampoline_kernelINS0_13select_configILj256ELj13ELNS0_17block_load_methodE3ELS4_3ELS4_3ELNS0_20block_scan_algorithmE0ELj4294967295EEENS1_25partition_config_selectorILNS1_17partition_subalgoE3EjNS0_10empty_typeEbEEZZNS1_14partition_implILS8_3ELb0ES6_jNS0_17counting_iteratorIjlEEPS9_SE_NS0_5tupleIJPjSE_EEENSF_IJSE_SE_EEES9_SG_JZNS1_25segmented_radix_sort_implINS0_14default_configELb0EPKiPiPKlPlN2at6native12_GLOBAL__N_18offset_tEEE10hipError_tPvRmT1_PNSt15iterator_traitsISY_E10value_typeET2_T3_PNSZ_IS14_E10value_typeET4_jRbjT5_S1A_jjP12ihipStream_tbEUljE_EEESV_SW_SX_S14_S18_S1A_T6_T7_T9_mT8_S1C_bDpT10_ENKUlT_T0_E_clISt17integral_constantIbLb1EES1P_EEDaS1K_S1L_EUlS1K_E_NS1_11comp_targetILNS1_3genE10ELNS1_11target_archE1200ELNS1_3gpuE4ELNS1_3repE0EEENS1_30default_config_static_selectorELNS0_4arch9wavefront6targetE1EEEvSY_.has_dyn_sized_stack, 0
	.set _ZN7rocprim17ROCPRIM_400000_NS6detail17trampoline_kernelINS0_13select_configILj256ELj13ELNS0_17block_load_methodE3ELS4_3ELS4_3ELNS0_20block_scan_algorithmE0ELj4294967295EEENS1_25partition_config_selectorILNS1_17partition_subalgoE3EjNS0_10empty_typeEbEEZZNS1_14partition_implILS8_3ELb0ES6_jNS0_17counting_iteratorIjlEEPS9_SE_NS0_5tupleIJPjSE_EEENSF_IJSE_SE_EEES9_SG_JZNS1_25segmented_radix_sort_implINS0_14default_configELb0EPKiPiPKlPlN2at6native12_GLOBAL__N_18offset_tEEE10hipError_tPvRmT1_PNSt15iterator_traitsISY_E10value_typeET2_T3_PNSZ_IS14_E10value_typeET4_jRbjT5_S1A_jjP12ihipStream_tbEUljE_EEESV_SW_SX_S14_S18_S1A_T6_T7_T9_mT8_S1C_bDpT10_ENKUlT_T0_E_clISt17integral_constantIbLb1EES1P_EEDaS1K_S1L_EUlS1K_E_NS1_11comp_targetILNS1_3genE10ELNS1_11target_archE1200ELNS1_3gpuE4ELNS1_3repE0EEENS1_30default_config_static_selectorELNS0_4arch9wavefront6targetE1EEEvSY_.has_recursion, 0
	.set _ZN7rocprim17ROCPRIM_400000_NS6detail17trampoline_kernelINS0_13select_configILj256ELj13ELNS0_17block_load_methodE3ELS4_3ELS4_3ELNS0_20block_scan_algorithmE0ELj4294967295EEENS1_25partition_config_selectorILNS1_17partition_subalgoE3EjNS0_10empty_typeEbEEZZNS1_14partition_implILS8_3ELb0ES6_jNS0_17counting_iteratorIjlEEPS9_SE_NS0_5tupleIJPjSE_EEENSF_IJSE_SE_EEES9_SG_JZNS1_25segmented_radix_sort_implINS0_14default_configELb0EPKiPiPKlPlN2at6native12_GLOBAL__N_18offset_tEEE10hipError_tPvRmT1_PNSt15iterator_traitsISY_E10value_typeET2_T3_PNSZ_IS14_E10value_typeET4_jRbjT5_S1A_jjP12ihipStream_tbEUljE_EEESV_SW_SX_S14_S18_S1A_T6_T7_T9_mT8_S1C_bDpT10_ENKUlT_T0_E_clISt17integral_constantIbLb1EES1P_EEDaS1K_S1L_EUlS1K_E_NS1_11comp_targetILNS1_3genE10ELNS1_11target_archE1200ELNS1_3gpuE4ELNS1_3repE0EEENS1_30default_config_static_selectorELNS0_4arch9wavefront6targetE1EEEvSY_.has_indirect_call, 0
	.section	.AMDGPU.csdata,"",@progbits
; Kernel info:
; codeLenInByte = 0
; TotalNumSgprs: 4
; NumVgprs: 0
; ScratchSize: 0
; MemoryBound: 0
; FloatMode: 240
; IeeeMode: 1
; LDSByteSize: 0 bytes/workgroup (compile time only)
; SGPRBlocks: 0
; VGPRBlocks: 0
; NumSGPRsForWavesPerEU: 4
; NumVGPRsForWavesPerEU: 1
; Occupancy: 10
; WaveLimiterHint : 0
; COMPUTE_PGM_RSRC2:SCRATCH_EN: 0
; COMPUTE_PGM_RSRC2:USER_SGPR: 6
; COMPUTE_PGM_RSRC2:TRAP_HANDLER: 0
; COMPUTE_PGM_RSRC2:TGID_X_EN: 1
; COMPUTE_PGM_RSRC2:TGID_Y_EN: 0
; COMPUTE_PGM_RSRC2:TGID_Z_EN: 0
; COMPUTE_PGM_RSRC2:TIDIG_COMP_CNT: 0
	.section	.text._ZN7rocprim17ROCPRIM_400000_NS6detail17trampoline_kernelINS0_13select_configILj256ELj13ELNS0_17block_load_methodE3ELS4_3ELS4_3ELNS0_20block_scan_algorithmE0ELj4294967295EEENS1_25partition_config_selectorILNS1_17partition_subalgoE3EjNS0_10empty_typeEbEEZZNS1_14partition_implILS8_3ELb0ES6_jNS0_17counting_iteratorIjlEEPS9_SE_NS0_5tupleIJPjSE_EEENSF_IJSE_SE_EEES9_SG_JZNS1_25segmented_radix_sort_implINS0_14default_configELb0EPKiPiPKlPlN2at6native12_GLOBAL__N_18offset_tEEE10hipError_tPvRmT1_PNSt15iterator_traitsISY_E10value_typeET2_T3_PNSZ_IS14_E10value_typeET4_jRbjT5_S1A_jjP12ihipStream_tbEUljE_EEESV_SW_SX_S14_S18_S1A_T6_T7_T9_mT8_S1C_bDpT10_ENKUlT_T0_E_clISt17integral_constantIbLb1EES1P_EEDaS1K_S1L_EUlS1K_E_NS1_11comp_targetILNS1_3genE9ELNS1_11target_archE1100ELNS1_3gpuE3ELNS1_3repE0EEENS1_30default_config_static_selectorELNS0_4arch9wavefront6targetE1EEEvSY_,"axG",@progbits,_ZN7rocprim17ROCPRIM_400000_NS6detail17trampoline_kernelINS0_13select_configILj256ELj13ELNS0_17block_load_methodE3ELS4_3ELS4_3ELNS0_20block_scan_algorithmE0ELj4294967295EEENS1_25partition_config_selectorILNS1_17partition_subalgoE3EjNS0_10empty_typeEbEEZZNS1_14partition_implILS8_3ELb0ES6_jNS0_17counting_iteratorIjlEEPS9_SE_NS0_5tupleIJPjSE_EEENSF_IJSE_SE_EEES9_SG_JZNS1_25segmented_radix_sort_implINS0_14default_configELb0EPKiPiPKlPlN2at6native12_GLOBAL__N_18offset_tEEE10hipError_tPvRmT1_PNSt15iterator_traitsISY_E10value_typeET2_T3_PNSZ_IS14_E10value_typeET4_jRbjT5_S1A_jjP12ihipStream_tbEUljE_EEESV_SW_SX_S14_S18_S1A_T6_T7_T9_mT8_S1C_bDpT10_ENKUlT_T0_E_clISt17integral_constantIbLb1EES1P_EEDaS1K_S1L_EUlS1K_E_NS1_11comp_targetILNS1_3genE9ELNS1_11target_archE1100ELNS1_3gpuE3ELNS1_3repE0EEENS1_30default_config_static_selectorELNS0_4arch9wavefront6targetE1EEEvSY_,comdat
	.globl	_ZN7rocprim17ROCPRIM_400000_NS6detail17trampoline_kernelINS0_13select_configILj256ELj13ELNS0_17block_load_methodE3ELS4_3ELS4_3ELNS0_20block_scan_algorithmE0ELj4294967295EEENS1_25partition_config_selectorILNS1_17partition_subalgoE3EjNS0_10empty_typeEbEEZZNS1_14partition_implILS8_3ELb0ES6_jNS0_17counting_iteratorIjlEEPS9_SE_NS0_5tupleIJPjSE_EEENSF_IJSE_SE_EEES9_SG_JZNS1_25segmented_radix_sort_implINS0_14default_configELb0EPKiPiPKlPlN2at6native12_GLOBAL__N_18offset_tEEE10hipError_tPvRmT1_PNSt15iterator_traitsISY_E10value_typeET2_T3_PNSZ_IS14_E10value_typeET4_jRbjT5_S1A_jjP12ihipStream_tbEUljE_EEESV_SW_SX_S14_S18_S1A_T6_T7_T9_mT8_S1C_bDpT10_ENKUlT_T0_E_clISt17integral_constantIbLb1EES1P_EEDaS1K_S1L_EUlS1K_E_NS1_11comp_targetILNS1_3genE9ELNS1_11target_archE1100ELNS1_3gpuE3ELNS1_3repE0EEENS1_30default_config_static_selectorELNS0_4arch9wavefront6targetE1EEEvSY_ ; -- Begin function _ZN7rocprim17ROCPRIM_400000_NS6detail17trampoline_kernelINS0_13select_configILj256ELj13ELNS0_17block_load_methodE3ELS4_3ELS4_3ELNS0_20block_scan_algorithmE0ELj4294967295EEENS1_25partition_config_selectorILNS1_17partition_subalgoE3EjNS0_10empty_typeEbEEZZNS1_14partition_implILS8_3ELb0ES6_jNS0_17counting_iteratorIjlEEPS9_SE_NS0_5tupleIJPjSE_EEENSF_IJSE_SE_EEES9_SG_JZNS1_25segmented_radix_sort_implINS0_14default_configELb0EPKiPiPKlPlN2at6native12_GLOBAL__N_18offset_tEEE10hipError_tPvRmT1_PNSt15iterator_traitsISY_E10value_typeET2_T3_PNSZ_IS14_E10value_typeET4_jRbjT5_S1A_jjP12ihipStream_tbEUljE_EEESV_SW_SX_S14_S18_S1A_T6_T7_T9_mT8_S1C_bDpT10_ENKUlT_T0_E_clISt17integral_constantIbLb1EES1P_EEDaS1K_S1L_EUlS1K_E_NS1_11comp_targetILNS1_3genE9ELNS1_11target_archE1100ELNS1_3gpuE3ELNS1_3repE0EEENS1_30default_config_static_selectorELNS0_4arch9wavefront6targetE1EEEvSY_
	.p2align	8
	.type	_ZN7rocprim17ROCPRIM_400000_NS6detail17trampoline_kernelINS0_13select_configILj256ELj13ELNS0_17block_load_methodE3ELS4_3ELS4_3ELNS0_20block_scan_algorithmE0ELj4294967295EEENS1_25partition_config_selectorILNS1_17partition_subalgoE3EjNS0_10empty_typeEbEEZZNS1_14partition_implILS8_3ELb0ES6_jNS0_17counting_iteratorIjlEEPS9_SE_NS0_5tupleIJPjSE_EEENSF_IJSE_SE_EEES9_SG_JZNS1_25segmented_radix_sort_implINS0_14default_configELb0EPKiPiPKlPlN2at6native12_GLOBAL__N_18offset_tEEE10hipError_tPvRmT1_PNSt15iterator_traitsISY_E10value_typeET2_T3_PNSZ_IS14_E10value_typeET4_jRbjT5_S1A_jjP12ihipStream_tbEUljE_EEESV_SW_SX_S14_S18_S1A_T6_T7_T9_mT8_S1C_bDpT10_ENKUlT_T0_E_clISt17integral_constantIbLb1EES1P_EEDaS1K_S1L_EUlS1K_E_NS1_11comp_targetILNS1_3genE9ELNS1_11target_archE1100ELNS1_3gpuE3ELNS1_3repE0EEENS1_30default_config_static_selectorELNS0_4arch9wavefront6targetE1EEEvSY_,@function
_ZN7rocprim17ROCPRIM_400000_NS6detail17trampoline_kernelINS0_13select_configILj256ELj13ELNS0_17block_load_methodE3ELS4_3ELS4_3ELNS0_20block_scan_algorithmE0ELj4294967295EEENS1_25partition_config_selectorILNS1_17partition_subalgoE3EjNS0_10empty_typeEbEEZZNS1_14partition_implILS8_3ELb0ES6_jNS0_17counting_iteratorIjlEEPS9_SE_NS0_5tupleIJPjSE_EEENSF_IJSE_SE_EEES9_SG_JZNS1_25segmented_radix_sort_implINS0_14default_configELb0EPKiPiPKlPlN2at6native12_GLOBAL__N_18offset_tEEE10hipError_tPvRmT1_PNSt15iterator_traitsISY_E10value_typeET2_T3_PNSZ_IS14_E10value_typeET4_jRbjT5_S1A_jjP12ihipStream_tbEUljE_EEESV_SW_SX_S14_S18_S1A_T6_T7_T9_mT8_S1C_bDpT10_ENKUlT_T0_E_clISt17integral_constantIbLb1EES1P_EEDaS1K_S1L_EUlS1K_E_NS1_11comp_targetILNS1_3genE9ELNS1_11target_archE1100ELNS1_3gpuE3ELNS1_3repE0EEENS1_30default_config_static_selectorELNS0_4arch9wavefront6targetE1EEEvSY_: ; @_ZN7rocprim17ROCPRIM_400000_NS6detail17trampoline_kernelINS0_13select_configILj256ELj13ELNS0_17block_load_methodE3ELS4_3ELS4_3ELNS0_20block_scan_algorithmE0ELj4294967295EEENS1_25partition_config_selectorILNS1_17partition_subalgoE3EjNS0_10empty_typeEbEEZZNS1_14partition_implILS8_3ELb0ES6_jNS0_17counting_iteratorIjlEEPS9_SE_NS0_5tupleIJPjSE_EEENSF_IJSE_SE_EEES9_SG_JZNS1_25segmented_radix_sort_implINS0_14default_configELb0EPKiPiPKlPlN2at6native12_GLOBAL__N_18offset_tEEE10hipError_tPvRmT1_PNSt15iterator_traitsISY_E10value_typeET2_T3_PNSZ_IS14_E10value_typeET4_jRbjT5_S1A_jjP12ihipStream_tbEUljE_EEESV_SW_SX_S14_S18_S1A_T6_T7_T9_mT8_S1C_bDpT10_ENKUlT_T0_E_clISt17integral_constantIbLb1EES1P_EEDaS1K_S1L_EUlS1K_E_NS1_11comp_targetILNS1_3genE9ELNS1_11target_archE1100ELNS1_3gpuE3ELNS1_3repE0EEENS1_30default_config_static_selectorELNS0_4arch9wavefront6targetE1EEEvSY_
; %bb.0:
	.section	.rodata,"a",@progbits
	.p2align	6, 0x0
	.amdhsa_kernel _ZN7rocprim17ROCPRIM_400000_NS6detail17trampoline_kernelINS0_13select_configILj256ELj13ELNS0_17block_load_methodE3ELS4_3ELS4_3ELNS0_20block_scan_algorithmE0ELj4294967295EEENS1_25partition_config_selectorILNS1_17partition_subalgoE3EjNS0_10empty_typeEbEEZZNS1_14partition_implILS8_3ELb0ES6_jNS0_17counting_iteratorIjlEEPS9_SE_NS0_5tupleIJPjSE_EEENSF_IJSE_SE_EEES9_SG_JZNS1_25segmented_radix_sort_implINS0_14default_configELb0EPKiPiPKlPlN2at6native12_GLOBAL__N_18offset_tEEE10hipError_tPvRmT1_PNSt15iterator_traitsISY_E10value_typeET2_T3_PNSZ_IS14_E10value_typeET4_jRbjT5_S1A_jjP12ihipStream_tbEUljE_EEESV_SW_SX_S14_S18_S1A_T6_T7_T9_mT8_S1C_bDpT10_ENKUlT_T0_E_clISt17integral_constantIbLb1EES1P_EEDaS1K_S1L_EUlS1K_E_NS1_11comp_targetILNS1_3genE9ELNS1_11target_archE1100ELNS1_3gpuE3ELNS1_3repE0EEENS1_30default_config_static_selectorELNS0_4arch9wavefront6targetE1EEEvSY_
		.amdhsa_group_segment_fixed_size 0
		.amdhsa_private_segment_fixed_size 0
		.amdhsa_kernarg_size 152
		.amdhsa_user_sgpr_count 6
		.amdhsa_user_sgpr_private_segment_buffer 1
		.amdhsa_user_sgpr_dispatch_ptr 0
		.amdhsa_user_sgpr_queue_ptr 0
		.amdhsa_user_sgpr_kernarg_segment_ptr 1
		.amdhsa_user_sgpr_dispatch_id 0
		.amdhsa_user_sgpr_flat_scratch_init 0
		.amdhsa_user_sgpr_private_segment_size 0
		.amdhsa_uses_dynamic_stack 0
		.amdhsa_system_sgpr_private_segment_wavefront_offset 0
		.amdhsa_system_sgpr_workgroup_id_x 1
		.amdhsa_system_sgpr_workgroup_id_y 0
		.amdhsa_system_sgpr_workgroup_id_z 0
		.amdhsa_system_sgpr_workgroup_info 0
		.amdhsa_system_vgpr_workitem_id 0
		.amdhsa_next_free_vgpr 1
		.amdhsa_next_free_sgpr 0
		.amdhsa_reserve_vcc 0
		.amdhsa_reserve_flat_scratch 0
		.amdhsa_float_round_mode_32 0
		.amdhsa_float_round_mode_16_64 0
		.amdhsa_float_denorm_mode_32 3
		.amdhsa_float_denorm_mode_16_64 3
		.amdhsa_dx10_clamp 1
		.amdhsa_ieee_mode 1
		.amdhsa_fp16_overflow 0
		.amdhsa_exception_fp_ieee_invalid_op 0
		.amdhsa_exception_fp_denorm_src 0
		.amdhsa_exception_fp_ieee_div_zero 0
		.amdhsa_exception_fp_ieee_overflow 0
		.amdhsa_exception_fp_ieee_underflow 0
		.amdhsa_exception_fp_ieee_inexact 0
		.amdhsa_exception_int_div_zero 0
	.end_amdhsa_kernel
	.section	.text._ZN7rocprim17ROCPRIM_400000_NS6detail17trampoline_kernelINS0_13select_configILj256ELj13ELNS0_17block_load_methodE3ELS4_3ELS4_3ELNS0_20block_scan_algorithmE0ELj4294967295EEENS1_25partition_config_selectorILNS1_17partition_subalgoE3EjNS0_10empty_typeEbEEZZNS1_14partition_implILS8_3ELb0ES6_jNS0_17counting_iteratorIjlEEPS9_SE_NS0_5tupleIJPjSE_EEENSF_IJSE_SE_EEES9_SG_JZNS1_25segmented_radix_sort_implINS0_14default_configELb0EPKiPiPKlPlN2at6native12_GLOBAL__N_18offset_tEEE10hipError_tPvRmT1_PNSt15iterator_traitsISY_E10value_typeET2_T3_PNSZ_IS14_E10value_typeET4_jRbjT5_S1A_jjP12ihipStream_tbEUljE_EEESV_SW_SX_S14_S18_S1A_T6_T7_T9_mT8_S1C_bDpT10_ENKUlT_T0_E_clISt17integral_constantIbLb1EES1P_EEDaS1K_S1L_EUlS1K_E_NS1_11comp_targetILNS1_3genE9ELNS1_11target_archE1100ELNS1_3gpuE3ELNS1_3repE0EEENS1_30default_config_static_selectorELNS0_4arch9wavefront6targetE1EEEvSY_,"axG",@progbits,_ZN7rocprim17ROCPRIM_400000_NS6detail17trampoline_kernelINS0_13select_configILj256ELj13ELNS0_17block_load_methodE3ELS4_3ELS4_3ELNS0_20block_scan_algorithmE0ELj4294967295EEENS1_25partition_config_selectorILNS1_17partition_subalgoE3EjNS0_10empty_typeEbEEZZNS1_14partition_implILS8_3ELb0ES6_jNS0_17counting_iteratorIjlEEPS9_SE_NS0_5tupleIJPjSE_EEENSF_IJSE_SE_EEES9_SG_JZNS1_25segmented_radix_sort_implINS0_14default_configELb0EPKiPiPKlPlN2at6native12_GLOBAL__N_18offset_tEEE10hipError_tPvRmT1_PNSt15iterator_traitsISY_E10value_typeET2_T3_PNSZ_IS14_E10value_typeET4_jRbjT5_S1A_jjP12ihipStream_tbEUljE_EEESV_SW_SX_S14_S18_S1A_T6_T7_T9_mT8_S1C_bDpT10_ENKUlT_T0_E_clISt17integral_constantIbLb1EES1P_EEDaS1K_S1L_EUlS1K_E_NS1_11comp_targetILNS1_3genE9ELNS1_11target_archE1100ELNS1_3gpuE3ELNS1_3repE0EEENS1_30default_config_static_selectorELNS0_4arch9wavefront6targetE1EEEvSY_,comdat
.Lfunc_end582:
	.size	_ZN7rocprim17ROCPRIM_400000_NS6detail17trampoline_kernelINS0_13select_configILj256ELj13ELNS0_17block_load_methodE3ELS4_3ELS4_3ELNS0_20block_scan_algorithmE0ELj4294967295EEENS1_25partition_config_selectorILNS1_17partition_subalgoE3EjNS0_10empty_typeEbEEZZNS1_14partition_implILS8_3ELb0ES6_jNS0_17counting_iteratorIjlEEPS9_SE_NS0_5tupleIJPjSE_EEENSF_IJSE_SE_EEES9_SG_JZNS1_25segmented_radix_sort_implINS0_14default_configELb0EPKiPiPKlPlN2at6native12_GLOBAL__N_18offset_tEEE10hipError_tPvRmT1_PNSt15iterator_traitsISY_E10value_typeET2_T3_PNSZ_IS14_E10value_typeET4_jRbjT5_S1A_jjP12ihipStream_tbEUljE_EEESV_SW_SX_S14_S18_S1A_T6_T7_T9_mT8_S1C_bDpT10_ENKUlT_T0_E_clISt17integral_constantIbLb1EES1P_EEDaS1K_S1L_EUlS1K_E_NS1_11comp_targetILNS1_3genE9ELNS1_11target_archE1100ELNS1_3gpuE3ELNS1_3repE0EEENS1_30default_config_static_selectorELNS0_4arch9wavefront6targetE1EEEvSY_, .Lfunc_end582-_ZN7rocprim17ROCPRIM_400000_NS6detail17trampoline_kernelINS0_13select_configILj256ELj13ELNS0_17block_load_methodE3ELS4_3ELS4_3ELNS0_20block_scan_algorithmE0ELj4294967295EEENS1_25partition_config_selectorILNS1_17partition_subalgoE3EjNS0_10empty_typeEbEEZZNS1_14partition_implILS8_3ELb0ES6_jNS0_17counting_iteratorIjlEEPS9_SE_NS0_5tupleIJPjSE_EEENSF_IJSE_SE_EEES9_SG_JZNS1_25segmented_radix_sort_implINS0_14default_configELb0EPKiPiPKlPlN2at6native12_GLOBAL__N_18offset_tEEE10hipError_tPvRmT1_PNSt15iterator_traitsISY_E10value_typeET2_T3_PNSZ_IS14_E10value_typeET4_jRbjT5_S1A_jjP12ihipStream_tbEUljE_EEESV_SW_SX_S14_S18_S1A_T6_T7_T9_mT8_S1C_bDpT10_ENKUlT_T0_E_clISt17integral_constantIbLb1EES1P_EEDaS1K_S1L_EUlS1K_E_NS1_11comp_targetILNS1_3genE9ELNS1_11target_archE1100ELNS1_3gpuE3ELNS1_3repE0EEENS1_30default_config_static_selectorELNS0_4arch9wavefront6targetE1EEEvSY_
                                        ; -- End function
	.set _ZN7rocprim17ROCPRIM_400000_NS6detail17trampoline_kernelINS0_13select_configILj256ELj13ELNS0_17block_load_methodE3ELS4_3ELS4_3ELNS0_20block_scan_algorithmE0ELj4294967295EEENS1_25partition_config_selectorILNS1_17partition_subalgoE3EjNS0_10empty_typeEbEEZZNS1_14partition_implILS8_3ELb0ES6_jNS0_17counting_iteratorIjlEEPS9_SE_NS0_5tupleIJPjSE_EEENSF_IJSE_SE_EEES9_SG_JZNS1_25segmented_radix_sort_implINS0_14default_configELb0EPKiPiPKlPlN2at6native12_GLOBAL__N_18offset_tEEE10hipError_tPvRmT1_PNSt15iterator_traitsISY_E10value_typeET2_T3_PNSZ_IS14_E10value_typeET4_jRbjT5_S1A_jjP12ihipStream_tbEUljE_EEESV_SW_SX_S14_S18_S1A_T6_T7_T9_mT8_S1C_bDpT10_ENKUlT_T0_E_clISt17integral_constantIbLb1EES1P_EEDaS1K_S1L_EUlS1K_E_NS1_11comp_targetILNS1_3genE9ELNS1_11target_archE1100ELNS1_3gpuE3ELNS1_3repE0EEENS1_30default_config_static_selectorELNS0_4arch9wavefront6targetE1EEEvSY_.num_vgpr, 0
	.set _ZN7rocprim17ROCPRIM_400000_NS6detail17trampoline_kernelINS0_13select_configILj256ELj13ELNS0_17block_load_methodE3ELS4_3ELS4_3ELNS0_20block_scan_algorithmE0ELj4294967295EEENS1_25partition_config_selectorILNS1_17partition_subalgoE3EjNS0_10empty_typeEbEEZZNS1_14partition_implILS8_3ELb0ES6_jNS0_17counting_iteratorIjlEEPS9_SE_NS0_5tupleIJPjSE_EEENSF_IJSE_SE_EEES9_SG_JZNS1_25segmented_radix_sort_implINS0_14default_configELb0EPKiPiPKlPlN2at6native12_GLOBAL__N_18offset_tEEE10hipError_tPvRmT1_PNSt15iterator_traitsISY_E10value_typeET2_T3_PNSZ_IS14_E10value_typeET4_jRbjT5_S1A_jjP12ihipStream_tbEUljE_EEESV_SW_SX_S14_S18_S1A_T6_T7_T9_mT8_S1C_bDpT10_ENKUlT_T0_E_clISt17integral_constantIbLb1EES1P_EEDaS1K_S1L_EUlS1K_E_NS1_11comp_targetILNS1_3genE9ELNS1_11target_archE1100ELNS1_3gpuE3ELNS1_3repE0EEENS1_30default_config_static_selectorELNS0_4arch9wavefront6targetE1EEEvSY_.num_agpr, 0
	.set _ZN7rocprim17ROCPRIM_400000_NS6detail17trampoline_kernelINS0_13select_configILj256ELj13ELNS0_17block_load_methodE3ELS4_3ELS4_3ELNS0_20block_scan_algorithmE0ELj4294967295EEENS1_25partition_config_selectorILNS1_17partition_subalgoE3EjNS0_10empty_typeEbEEZZNS1_14partition_implILS8_3ELb0ES6_jNS0_17counting_iteratorIjlEEPS9_SE_NS0_5tupleIJPjSE_EEENSF_IJSE_SE_EEES9_SG_JZNS1_25segmented_radix_sort_implINS0_14default_configELb0EPKiPiPKlPlN2at6native12_GLOBAL__N_18offset_tEEE10hipError_tPvRmT1_PNSt15iterator_traitsISY_E10value_typeET2_T3_PNSZ_IS14_E10value_typeET4_jRbjT5_S1A_jjP12ihipStream_tbEUljE_EEESV_SW_SX_S14_S18_S1A_T6_T7_T9_mT8_S1C_bDpT10_ENKUlT_T0_E_clISt17integral_constantIbLb1EES1P_EEDaS1K_S1L_EUlS1K_E_NS1_11comp_targetILNS1_3genE9ELNS1_11target_archE1100ELNS1_3gpuE3ELNS1_3repE0EEENS1_30default_config_static_selectorELNS0_4arch9wavefront6targetE1EEEvSY_.numbered_sgpr, 0
	.set _ZN7rocprim17ROCPRIM_400000_NS6detail17trampoline_kernelINS0_13select_configILj256ELj13ELNS0_17block_load_methodE3ELS4_3ELS4_3ELNS0_20block_scan_algorithmE0ELj4294967295EEENS1_25partition_config_selectorILNS1_17partition_subalgoE3EjNS0_10empty_typeEbEEZZNS1_14partition_implILS8_3ELb0ES6_jNS0_17counting_iteratorIjlEEPS9_SE_NS0_5tupleIJPjSE_EEENSF_IJSE_SE_EEES9_SG_JZNS1_25segmented_radix_sort_implINS0_14default_configELb0EPKiPiPKlPlN2at6native12_GLOBAL__N_18offset_tEEE10hipError_tPvRmT1_PNSt15iterator_traitsISY_E10value_typeET2_T3_PNSZ_IS14_E10value_typeET4_jRbjT5_S1A_jjP12ihipStream_tbEUljE_EEESV_SW_SX_S14_S18_S1A_T6_T7_T9_mT8_S1C_bDpT10_ENKUlT_T0_E_clISt17integral_constantIbLb1EES1P_EEDaS1K_S1L_EUlS1K_E_NS1_11comp_targetILNS1_3genE9ELNS1_11target_archE1100ELNS1_3gpuE3ELNS1_3repE0EEENS1_30default_config_static_selectorELNS0_4arch9wavefront6targetE1EEEvSY_.num_named_barrier, 0
	.set _ZN7rocprim17ROCPRIM_400000_NS6detail17trampoline_kernelINS0_13select_configILj256ELj13ELNS0_17block_load_methodE3ELS4_3ELS4_3ELNS0_20block_scan_algorithmE0ELj4294967295EEENS1_25partition_config_selectorILNS1_17partition_subalgoE3EjNS0_10empty_typeEbEEZZNS1_14partition_implILS8_3ELb0ES6_jNS0_17counting_iteratorIjlEEPS9_SE_NS0_5tupleIJPjSE_EEENSF_IJSE_SE_EEES9_SG_JZNS1_25segmented_radix_sort_implINS0_14default_configELb0EPKiPiPKlPlN2at6native12_GLOBAL__N_18offset_tEEE10hipError_tPvRmT1_PNSt15iterator_traitsISY_E10value_typeET2_T3_PNSZ_IS14_E10value_typeET4_jRbjT5_S1A_jjP12ihipStream_tbEUljE_EEESV_SW_SX_S14_S18_S1A_T6_T7_T9_mT8_S1C_bDpT10_ENKUlT_T0_E_clISt17integral_constantIbLb1EES1P_EEDaS1K_S1L_EUlS1K_E_NS1_11comp_targetILNS1_3genE9ELNS1_11target_archE1100ELNS1_3gpuE3ELNS1_3repE0EEENS1_30default_config_static_selectorELNS0_4arch9wavefront6targetE1EEEvSY_.private_seg_size, 0
	.set _ZN7rocprim17ROCPRIM_400000_NS6detail17trampoline_kernelINS0_13select_configILj256ELj13ELNS0_17block_load_methodE3ELS4_3ELS4_3ELNS0_20block_scan_algorithmE0ELj4294967295EEENS1_25partition_config_selectorILNS1_17partition_subalgoE3EjNS0_10empty_typeEbEEZZNS1_14partition_implILS8_3ELb0ES6_jNS0_17counting_iteratorIjlEEPS9_SE_NS0_5tupleIJPjSE_EEENSF_IJSE_SE_EEES9_SG_JZNS1_25segmented_radix_sort_implINS0_14default_configELb0EPKiPiPKlPlN2at6native12_GLOBAL__N_18offset_tEEE10hipError_tPvRmT1_PNSt15iterator_traitsISY_E10value_typeET2_T3_PNSZ_IS14_E10value_typeET4_jRbjT5_S1A_jjP12ihipStream_tbEUljE_EEESV_SW_SX_S14_S18_S1A_T6_T7_T9_mT8_S1C_bDpT10_ENKUlT_T0_E_clISt17integral_constantIbLb1EES1P_EEDaS1K_S1L_EUlS1K_E_NS1_11comp_targetILNS1_3genE9ELNS1_11target_archE1100ELNS1_3gpuE3ELNS1_3repE0EEENS1_30default_config_static_selectorELNS0_4arch9wavefront6targetE1EEEvSY_.uses_vcc, 0
	.set _ZN7rocprim17ROCPRIM_400000_NS6detail17trampoline_kernelINS0_13select_configILj256ELj13ELNS0_17block_load_methodE3ELS4_3ELS4_3ELNS0_20block_scan_algorithmE0ELj4294967295EEENS1_25partition_config_selectorILNS1_17partition_subalgoE3EjNS0_10empty_typeEbEEZZNS1_14partition_implILS8_3ELb0ES6_jNS0_17counting_iteratorIjlEEPS9_SE_NS0_5tupleIJPjSE_EEENSF_IJSE_SE_EEES9_SG_JZNS1_25segmented_radix_sort_implINS0_14default_configELb0EPKiPiPKlPlN2at6native12_GLOBAL__N_18offset_tEEE10hipError_tPvRmT1_PNSt15iterator_traitsISY_E10value_typeET2_T3_PNSZ_IS14_E10value_typeET4_jRbjT5_S1A_jjP12ihipStream_tbEUljE_EEESV_SW_SX_S14_S18_S1A_T6_T7_T9_mT8_S1C_bDpT10_ENKUlT_T0_E_clISt17integral_constantIbLb1EES1P_EEDaS1K_S1L_EUlS1K_E_NS1_11comp_targetILNS1_3genE9ELNS1_11target_archE1100ELNS1_3gpuE3ELNS1_3repE0EEENS1_30default_config_static_selectorELNS0_4arch9wavefront6targetE1EEEvSY_.uses_flat_scratch, 0
	.set _ZN7rocprim17ROCPRIM_400000_NS6detail17trampoline_kernelINS0_13select_configILj256ELj13ELNS0_17block_load_methodE3ELS4_3ELS4_3ELNS0_20block_scan_algorithmE0ELj4294967295EEENS1_25partition_config_selectorILNS1_17partition_subalgoE3EjNS0_10empty_typeEbEEZZNS1_14partition_implILS8_3ELb0ES6_jNS0_17counting_iteratorIjlEEPS9_SE_NS0_5tupleIJPjSE_EEENSF_IJSE_SE_EEES9_SG_JZNS1_25segmented_radix_sort_implINS0_14default_configELb0EPKiPiPKlPlN2at6native12_GLOBAL__N_18offset_tEEE10hipError_tPvRmT1_PNSt15iterator_traitsISY_E10value_typeET2_T3_PNSZ_IS14_E10value_typeET4_jRbjT5_S1A_jjP12ihipStream_tbEUljE_EEESV_SW_SX_S14_S18_S1A_T6_T7_T9_mT8_S1C_bDpT10_ENKUlT_T0_E_clISt17integral_constantIbLb1EES1P_EEDaS1K_S1L_EUlS1K_E_NS1_11comp_targetILNS1_3genE9ELNS1_11target_archE1100ELNS1_3gpuE3ELNS1_3repE0EEENS1_30default_config_static_selectorELNS0_4arch9wavefront6targetE1EEEvSY_.has_dyn_sized_stack, 0
	.set _ZN7rocprim17ROCPRIM_400000_NS6detail17trampoline_kernelINS0_13select_configILj256ELj13ELNS0_17block_load_methodE3ELS4_3ELS4_3ELNS0_20block_scan_algorithmE0ELj4294967295EEENS1_25partition_config_selectorILNS1_17partition_subalgoE3EjNS0_10empty_typeEbEEZZNS1_14partition_implILS8_3ELb0ES6_jNS0_17counting_iteratorIjlEEPS9_SE_NS0_5tupleIJPjSE_EEENSF_IJSE_SE_EEES9_SG_JZNS1_25segmented_radix_sort_implINS0_14default_configELb0EPKiPiPKlPlN2at6native12_GLOBAL__N_18offset_tEEE10hipError_tPvRmT1_PNSt15iterator_traitsISY_E10value_typeET2_T3_PNSZ_IS14_E10value_typeET4_jRbjT5_S1A_jjP12ihipStream_tbEUljE_EEESV_SW_SX_S14_S18_S1A_T6_T7_T9_mT8_S1C_bDpT10_ENKUlT_T0_E_clISt17integral_constantIbLb1EES1P_EEDaS1K_S1L_EUlS1K_E_NS1_11comp_targetILNS1_3genE9ELNS1_11target_archE1100ELNS1_3gpuE3ELNS1_3repE0EEENS1_30default_config_static_selectorELNS0_4arch9wavefront6targetE1EEEvSY_.has_recursion, 0
	.set _ZN7rocprim17ROCPRIM_400000_NS6detail17trampoline_kernelINS0_13select_configILj256ELj13ELNS0_17block_load_methodE3ELS4_3ELS4_3ELNS0_20block_scan_algorithmE0ELj4294967295EEENS1_25partition_config_selectorILNS1_17partition_subalgoE3EjNS0_10empty_typeEbEEZZNS1_14partition_implILS8_3ELb0ES6_jNS0_17counting_iteratorIjlEEPS9_SE_NS0_5tupleIJPjSE_EEENSF_IJSE_SE_EEES9_SG_JZNS1_25segmented_radix_sort_implINS0_14default_configELb0EPKiPiPKlPlN2at6native12_GLOBAL__N_18offset_tEEE10hipError_tPvRmT1_PNSt15iterator_traitsISY_E10value_typeET2_T3_PNSZ_IS14_E10value_typeET4_jRbjT5_S1A_jjP12ihipStream_tbEUljE_EEESV_SW_SX_S14_S18_S1A_T6_T7_T9_mT8_S1C_bDpT10_ENKUlT_T0_E_clISt17integral_constantIbLb1EES1P_EEDaS1K_S1L_EUlS1K_E_NS1_11comp_targetILNS1_3genE9ELNS1_11target_archE1100ELNS1_3gpuE3ELNS1_3repE0EEENS1_30default_config_static_selectorELNS0_4arch9wavefront6targetE1EEEvSY_.has_indirect_call, 0
	.section	.AMDGPU.csdata,"",@progbits
; Kernel info:
; codeLenInByte = 0
; TotalNumSgprs: 4
; NumVgprs: 0
; ScratchSize: 0
; MemoryBound: 0
; FloatMode: 240
; IeeeMode: 1
; LDSByteSize: 0 bytes/workgroup (compile time only)
; SGPRBlocks: 0
; VGPRBlocks: 0
; NumSGPRsForWavesPerEU: 4
; NumVGPRsForWavesPerEU: 1
; Occupancy: 10
; WaveLimiterHint : 0
; COMPUTE_PGM_RSRC2:SCRATCH_EN: 0
; COMPUTE_PGM_RSRC2:USER_SGPR: 6
; COMPUTE_PGM_RSRC2:TRAP_HANDLER: 0
; COMPUTE_PGM_RSRC2:TGID_X_EN: 1
; COMPUTE_PGM_RSRC2:TGID_Y_EN: 0
; COMPUTE_PGM_RSRC2:TGID_Z_EN: 0
; COMPUTE_PGM_RSRC2:TIDIG_COMP_CNT: 0
	.section	.text._ZN7rocprim17ROCPRIM_400000_NS6detail17trampoline_kernelINS0_13select_configILj256ELj13ELNS0_17block_load_methodE3ELS4_3ELS4_3ELNS0_20block_scan_algorithmE0ELj4294967295EEENS1_25partition_config_selectorILNS1_17partition_subalgoE3EjNS0_10empty_typeEbEEZZNS1_14partition_implILS8_3ELb0ES6_jNS0_17counting_iteratorIjlEEPS9_SE_NS0_5tupleIJPjSE_EEENSF_IJSE_SE_EEES9_SG_JZNS1_25segmented_radix_sort_implINS0_14default_configELb0EPKiPiPKlPlN2at6native12_GLOBAL__N_18offset_tEEE10hipError_tPvRmT1_PNSt15iterator_traitsISY_E10value_typeET2_T3_PNSZ_IS14_E10value_typeET4_jRbjT5_S1A_jjP12ihipStream_tbEUljE_EEESV_SW_SX_S14_S18_S1A_T6_T7_T9_mT8_S1C_bDpT10_ENKUlT_T0_E_clISt17integral_constantIbLb1EES1P_EEDaS1K_S1L_EUlS1K_E_NS1_11comp_targetILNS1_3genE8ELNS1_11target_archE1030ELNS1_3gpuE2ELNS1_3repE0EEENS1_30default_config_static_selectorELNS0_4arch9wavefront6targetE1EEEvSY_,"axG",@progbits,_ZN7rocprim17ROCPRIM_400000_NS6detail17trampoline_kernelINS0_13select_configILj256ELj13ELNS0_17block_load_methodE3ELS4_3ELS4_3ELNS0_20block_scan_algorithmE0ELj4294967295EEENS1_25partition_config_selectorILNS1_17partition_subalgoE3EjNS0_10empty_typeEbEEZZNS1_14partition_implILS8_3ELb0ES6_jNS0_17counting_iteratorIjlEEPS9_SE_NS0_5tupleIJPjSE_EEENSF_IJSE_SE_EEES9_SG_JZNS1_25segmented_radix_sort_implINS0_14default_configELb0EPKiPiPKlPlN2at6native12_GLOBAL__N_18offset_tEEE10hipError_tPvRmT1_PNSt15iterator_traitsISY_E10value_typeET2_T3_PNSZ_IS14_E10value_typeET4_jRbjT5_S1A_jjP12ihipStream_tbEUljE_EEESV_SW_SX_S14_S18_S1A_T6_T7_T9_mT8_S1C_bDpT10_ENKUlT_T0_E_clISt17integral_constantIbLb1EES1P_EEDaS1K_S1L_EUlS1K_E_NS1_11comp_targetILNS1_3genE8ELNS1_11target_archE1030ELNS1_3gpuE2ELNS1_3repE0EEENS1_30default_config_static_selectorELNS0_4arch9wavefront6targetE1EEEvSY_,comdat
	.globl	_ZN7rocprim17ROCPRIM_400000_NS6detail17trampoline_kernelINS0_13select_configILj256ELj13ELNS0_17block_load_methodE3ELS4_3ELS4_3ELNS0_20block_scan_algorithmE0ELj4294967295EEENS1_25partition_config_selectorILNS1_17partition_subalgoE3EjNS0_10empty_typeEbEEZZNS1_14partition_implILS8_3ELb0ES6_jNS0_17counting_iteratorIjlEEPS9_SE_NS0_5tupleIJPjSE_EEENSF_IJSE_SE_EEES9_SG_JZNS1_25segmented_radix_sort_implINS0_14default_configELb0EPKiPiPKlPlN2at6native12_GLOBAL__N_18offset_tEEE10hipError_tPvRmT1_PNSt15iterator_traitsISY_E10value_typeET2_T3_PNSZ_IS14_E10value_typeET4_jRbjT5_S1A_jjP12ihipStream_tbEUljE_EEESV_SW_SX_S14_S18_S1A_T6_T7_T9_mT8_S1C_bDpT10_ENKUlT_T0_E_clISt17integral_constantIbLb1EES1P_EEDaS1K_S1L_EUlS1K_E_NS1_11comp_targetILNS1_3genE8ELNS1_11target_archE1030ELNS1_3gpuE2ELNS1_3repE0EEENS1_30default_config_static_selectorELNS0_4arch9wavefront6targetE1EEEvSY_ ; -- Begin function _ZN7rocprim17ROCPRIM_400000_NS6detail17trampoline_kernelINS0_13select_configILj256ELj13ELNS0_17block_load_methodE3ELS4_3ELS4_3ELNS0_20block_scan_algorithmE0ELj4294967295EEENS1_25partition_config_selectorILNS1_17partition_subalgoE3EjNS0_10empty_typeEbEEZZNS1_14partition_implILS8_3ELb0ES6_jNS0_17counting_iteratorIjlEEPS9_SE_NS0_5tupleIJPjSE_EEENSF_IJSE_SE_EEES9_SG_JZNS1_25segmented_radix_sort_implINS0_14default_configELb0EPKiPiPKlPlN2at6native12_GLOBAL__N_18offset_tEEE10hipError_tPvRmT1_PNSt15iterator_traitsISY_E10value_typeET2_T3_PNSZ_IS14_E10value_typeET4_jRbjT5_S1A_jjP12ihipStream_tbEUljE_EEESV_SW_SX_S14_S18_S1A_T6_T7_T9_mT8_S1C_bDpT10_ENKUlT_T0_E_clISt17integral_constantIbLb1EES1P_EEDaS1K_S1L_EUlS1K_E_NS1_11comp_targetILNS1_3genE8ELNS1_11target_archE1030ELNS1_3gpuE2ELNS1_3repE0EEENS1_30default_config_static_selectorELNS0_4arch9wavefront6targetE1EEEvSY_
	.p2align	8
	.type	_ZN7rocprim17ROCPRIM_400000_NS6detail17trampoline_kernelINS0_13select_configILj256ELj13ELNS0_17block_load_methodE3ELS4_3ELS4_3ELNS0_20block_scan_algorithmE0ELj4294967295EEENS1_25partition_config_selectorILNS1_17partition_subalgoE3EjNS0_10empty_typeEbEEZZNS1_14partition_implILS8_3ELb0ES6_jNS0_17counting_iteratorIjlEEPS9_SE_NS0_5tupleIJPjSE_EEENSF_IJSE_SE_EEES9_SG_JZNS1_25segmented_radix_sort_implINS0_14default_configELb0EPKiPiPKlPlN2at6native12_GLOBAL__N_18offset_tEEE10hipError_tPvRmT1_PNSt15iterator_traitsISY_E10value_typeET2_T3_PNSZ_IS14_E10value_typeET4_jRbjT5_S1A_jjP12ihipStream_tbEUljE_EEESV_SW_SX_S14_S18_S1A_T6_T7_T9_mT8_S1C_bDpT10_ENKUlT_T0_E_clISt17integral_constantIbLb1EES1P_EEDaS1K_S1L_EUlS1K_E_NS1_11comp_targetILNS1_3genE8ELNS1_11target_archE1030ELNS1_3gpuE2ELNS1_3repE0EEENS1_30default_config_static_selectorELNS0_4arch9wavefront6targetE1EEEvSY_,@function
_ZN7rocprim17ROCPRIM_400000_NS6detail17trampoline_kernelINS0_13select_configILj256ELj13ELNS0_17block_load_methodE3ELS4_3ELS4_3ELNS0_20block_scan_algorithmE0ELj4294967295EEENS1_25partition_config_selectorILNS1_17partition_subalgoE3EjNS0_10empty_typeEbEEZZNS1_14partition_implILS8_3ELb0ES6_jNS0_17counting_iteratorIjlEEPS9_SE_NS0_5tupleIJPjSE_EEENSF_IJSE_SE_EEES9_SG_JZNS1_25segmented_radix_sort_implINS0_14default_configELb0EPKiPiPKlPlN2at6native12_GLOBAL__N_18offset_tEEE10hipError_tPvRmT1_PNSt15iterator_traitsISY_E10value_typeET2_T3_PNSZ_IS14_E10value_typeET4_jRbjT5_S1A_jjP12ihipStream_tbEUljE_EEESV_SW_SX_S14_S18_S1A_T6_T7_T9_mT8_S1C_bDpT10_ENKUlT_T0_E_clISt17integral_constantIbLb1EES1P_EEDaS1K_S1L_EUlS1K_E_NS1_11comp_targetILNS1_3genE8ELNS1_11target_archE1030ELNS1_3gpuE2ELNS1_3repE0EEENS1_30default_config_static_selectorELNS0_4arch9wavefront6targetE1EEEvSY_: ; @_ZN7rocprim17ROCPRIM_400000_NS6detail17trampoline_kernelINS0_13select_configILj256ELj13ELNS0_17block_load_methodE3ELS4_3ELS4_3ELNS0_20block_scan_algorithmE0ELj4294967295EEENS1_25partition_config_selectorILNS1_17partition_subalgoE3EjNS0_10empty_typeEbEEZZNS1_14partition_implILS8_3ELb0ES6_jNS0_17counting_iteratorIjlEEPS9_SE_NS0_5tupleIJPjSE_EEENSF_IJSE_SE_EEES9_SG_JZNS1_25segmented_radix_sort_implINS0_14default_configELb0EPKiPiPKlPlN2at6native12_GLOBAL__N_18offset_tEEE10hipError_tPvRmT1_PNSt15iterator_traitsISY_E10value_typeET2_T3_PNSZ_IS14_E10value_typeET4_jRbjT5_S1A_jjP12ihipStream_tbEUljE_EEESV_SW_SX_S14_S18_S1A_T6_T7_T9_mT8_S1C_bDpT10_ENKUlT_T0_E_clISt17integral_constantIbLb1EES1P_EEDaS1K_S1L_EUlS1K_E_NS1_11comp_targetILNS1_3genE8ELNS1_11target_archE1030ELNS1_3gpuE2ELNS1_3repE0EEENS1_30default_config_static_selectorELNS0_4arch9wavefront6targetE1EEEvSY_
; %bb.0:
	.section	.rodata,"a",@progbits
	.p2align	6, 0x0
	.amdhsa_kernel _ZN7rocprim17ROCPRIM_400000_NS6detail17trampoline_kernelINS0_13select_configILj256ELj13ELNS0_17block_load_methodE3ELS4_3ELS4_3ELNS0_20block_scan_algorithmE0ELj4294967295EEENS1_25partition_config_selectorILNS1_17partition_subalgoE3EjNS0_10empty_typeEbEEZZNS1_14partition_implILS8_3ELb0ES6_jNS0_17counting_iteratorIjlEEPS9_SE_NS0_5tupleIJPjSE_EEENSF_IJSE_SE_EEES9_SG_JZNS1_25segmented_radix_sort_implINS0_14default_configELb0EPKiPiPKlPlN2at6native12_GLOBAL__N_18offset_tEEE10hipError_tPvRmT1_PNSt15iterator_traitsISY_E10value_typeET2_T3_PNSZ_IS14_E10value_typeET4_jRbjT5_S1A_jjP12ihipStream_tbEUljE_EEESV_SW_SX_S14_S18_S1A_T6_T7_T9_mT8_S1C_bDpT10_ENKUlT_T0_E_clISt17integral_constantIbLb1EES1P_EEDaS1K_S1L_EUlS1K_E_NS1_11comp_targetILNS1_3genE8ELNS1_11target_archE1030ELNS1_3gpuE2ELNS1_3repE0EEENS1_30default_config_static_selectorELNS0_4arch9wavefront6targetE1EEEvSY_
		.amdhsa_group_segment_fixed_size 0
		.amdhsa_private_segment_fixed_size 0
		.amdhsa_kernarg_size 152
		.amdhsa_user_sgpr_count 6
		.amdhsa_user_sgpr_private_segment_buffer 1
		.amdhsa_user_sgpr_dispatch_ptr 0
		.amdhsa_user_sgpr_queue_ptr 0
		.amdhsa_user_sgpr_kernarg_segment_ptr 1
		.amdhsa_user_sgpr_dispatch_id 0
		.amdhsa_user_sgpr_flat_scratch_init 0
		.amdhsa_user_sgpr_private_segment_size 0
		.amdhsa_uses_dynamic_stack 0
		.amdhsa_system_sgpr_private_segment_wavefront_offset 0
		.amdhsa_system_sgpr_workgroup_id_x 1
		.amdhsa_system_sgpr_workgroup_id_y 0
		.amdhsa_system_sgpr_workgroup_id_z 0
		.amdhsa_system_sgpr_workgroup_info 0
		.amdhsa_system_vgpr_workitem_id 0
		.amdhsa_next_free_vgpr 1
		.amdhsa_next_free_sgpr 0
		.amdhsa_reserve_vcc 0
		.amdhsa_reserve_flat_scratch 0
		.amdhsa_float_round_mode_32 0
		.amdhsa_float_round_mode_16_64 0
		.amdhsa_float_denorm_mode_32 3
		.amdhsa_float_denorm_mode_16_64 3
		.amdhsa_dx10_clamp 1
		.amdhsa_ieee_mode 1
		.amdhsa_fp16_overflow 0
		.amdhsa_exception_fp_ieee_invalid_op 0
		.amdhsa_exception_fp_denorm_src 0
		.amdhsa_exception_fp_ieee_div_zero 0
		.amdhsa_exception_fp_ieee_overflow 0
		.amdhsa_exception_fp_ieee_underflow 0
		.amdhsa_exception_fp_ieee_inexact 0
		.amdhsa_exception_int_div_zero 0
	.end_amdhsa_kernel
	.section	.text._ZN7rocprim17ROCPRIM_400000_NS6detail17trampoline_kernelINS0_13select_configILj256ELj13ELNS0_17block_load_methodE3ELS4_3ELS4_3ELNS0_20block_scan_algorithmE0ELj4294967295EEENS1_25partition_config_selectorILNS1_17partition_subalgoE3EjNS0_10empty_typeEbEEZZNS1_14partition_implILS8_3ELb0ES6_jNS0_17counting_iteratorIjlEEPS9_SE_NS0_5tupleIJPjSE_EEENSF_IJSE_SE_EEES9_SG_JZNS1_25segmented_radix_sort_implINS0_14default_configELb0EPKiPiPKlPlN2at6native12_GLOBAL__N_18offset_tEEE10hipError_tPvRmT1_PNSt15iterator_traitsISY_E10value_typeET2_T3_PNSZ_IS14_E10value_typeET4_jRbjT5_S1A_jjP12ihipStream_tbEUljE_EEESV_SW_SX_S14_S18_S1A_T6_T7_T9_mT8_S1C_bDpT10_ENKUlT_T0_E_clISt17integral_constantIbLb1EES1P_EEDaS1K_S1L_EUlS1K_E_NS1_11comp_targetILNS1_3genE8ELNS1_11target_archE1030ELNS1_3gpuE2ELNS1_3repE0EEENS1_30default_config_static_selectorELNS0_4arch9wavefront6targetE1EEEvSY_,"axG",@progbits,_ZN7rocprim17ROCPRIM_400000_NS6detail17trampoline_kernelINS0_13select_configILj256ELj13ELNS0_17block_load_methodE3ELS4_3ELS4_3ELNS0_20block_scan_algorithmE0ELj4294967295EEENS1_25partition_config_selectorILNS1_17partition_subalgoE3EjNS0_10empty_typeEbEEZZNS1_14partition_implILS8_3ELb0ES6_jNS0_17counting_iteratorIjlEEPS9_SE_NS0_5tupleIJPjSE_EEENSF_IJSE_SE_EEES9_SG_JZNS1_25segmented_radix_sort_implINS0_14default_configELb0EPKiPiPKlPlN2at6native12_GLOBAL__N_18offset_tEEE10hipError_tPvRmT1_PNSt15iterator_traitsISY_E10value_typeET2_T3_PNSZ_IS14_E10value_typeET4_jRbjT5_S1A_jjP12ihipStream_tbEUljE_EEESV_SW_SX_S14_S18_S1A_T6_T7_T9_mT8_S1C_bDpT10_ENKUlT_T0_E_clISt17integral_constantIbLb1EES1P_EEDaS1K_S1L_EUlS1K_E_NS1_11comp_targetILNS1_3genE8ELNS1_11target_archE1030ELNS1_3gpuE2ELNS1_3repE0EEENS1_30default_config_static_selectorELNS0_4arch9wavefront6targetE1EEEvSY_,comdat
.Lfunc_end583:
	.size	_ZN7rocprim17ROCPRIM_400000_NS6detail17trampoline_kernelINS0_13select_configILj256ELj13ELNS0_17block_load_methodE3ELS4_3ELS4_3ELNS0_20block_scan_algorithmE0ELj4294967295EEENS1_25partition_config_selectorILNS1_17partition_subalgoE3EjNS0_10empty_typeEbEEZZNS1_14partition_implILS8_3ELb0ES6_jNS0_17counting_iteratorIjlEEPS9_SE_NS0_5tupleIJPjSE_EEENSF_IJSE_SE_EEES9_SG_JZNS1_25segmented_radix_sort_implINS0_14default_configELb0EPKiPiPKlPlN2at6native12_GLOBAL__N_18offset_tEEE10hipError_tPvRmT1_PNSt15iterator_traitsISY_E10value_typeET2_T3_PNSZ_IS14_E10value_typeET4_jRbjT5_S1A_jjP12ihipStream_tbEUljE_EEESV_SW_SX_S14_S18_S1A_T6_T7_T9_mT8_S1C_bDpT10_ENKUlT_T0_E_clISt17integral_constantIbLb1EES1P_EEDaS1K_S1L_EUlS1K_E_NS1_11comp_targetILNS1_3genE8ELNS1_11target_archE1030ELNS1_3gpuE2ELNS1_3repE0EEENS1_30default_config_static_selectorELNS0_4arch9wavefront6targetE1EEEvSY_, .Lfunc_end583-_ZN7rocprim17ROCPRIM_400000_NS6detail17trampoline_kernelINS0_13select_configILj256ELj13ELNS0_17block_load_methodE3ELS4_3ELS4_3ELNS0_20block_scan_algorithmE0ELj4294967295EEENS1_25partition_config_selectorILNS1_17partition_subalgoE3EjNS0_10empty_typeEbEEZZNS1_14partition_implILS8_3ELb0ES6_jNS0_17counting_iteratorIjlEEPS9_SE_NS0_5tupleIJPjSE_EEENSF_IJSE_SE_EEES9_SG_JZNS1_25segmented_radix_sort_implINS0_14default_configELb0EPKiPiPKlPlN2at6native12_GLOBAL__N_18offset_tEEE10hipError_tPvRmT1_PNSt15iterator_traitsISY_E10value_typeET2_T3_PNSZ_IS14_E10value_typeET4_jRbjT5_S1A_jjP12ihipStream_tbEUljE_EEESV_SW_SX_S14_S18_S1A_T6_T7_T9_mT8_S1C_bDpT10_ENKUlT_T0_E_clISt17integral_constantIbLb1EES1P_EEDaS1K_S1L_EUlS1K_E_NS1_11comp_targetILNS1_3genE8ELNS1_11target_archE1030ELNS1_3gpuE2ELNS1_3repE0EEENS1_30default_config_static_selectorELNS0_4arch9wavefront6targetE1EEEvSY_
                                        ; -- End function
	.set _ZN7rocprim17ROCPRIM_400000_NS6detail17trampoline_kernelINS0_13select_configILj256ELj13ELNS0_17block_load_methodE3ELS4_3ELS4_3ELNS0_20block_scan_algorithmE0ELj4294967295EEENS1_25partition_config_selectorILNS1_17partition_subalgoE3EjNS0_10empty_typeEbEEZZNS1_14partition_implILS8_3ELb0ES6_jNS0_17counting_iteratorIjlEEPS9_SE_NS0_5tupleIJPjSE_EEENSF_IJSE_SE_EEES9_SG_JZNS1_25segmented_radix_sort_implINS0_14default_configELb0EPKiPiPKlPlN2at6native12_GLOBAL__N_18offset_tEEE10hipError_tPvRmT1_PNSt15iterator_traitsISY_E10value_typeET2_T3_PNSZ_IS14_E10value_typeET4_jRbjT5_S1A_jjP12ihipStream_tbEUljE_EEESV_SW_SX_S14_S18_S1A_T6_T7_T9_mT8_S1C_bDpT10_ENKUlT_T0_E_clISt17integral_constantIbLb1EES1P_EEDaS1K_S1L_EUlS1K_E_NS1_11comp_targetILNS1_3genE8ELNS1_11target_archE1030ELNS1_3gpuE2ELNS1_3repE0EEENS1_30default_config_static_selectorELNS0_4arch9wavefront6targetE1EEEvSY_.num_vgpr, 0
	.set _ZN7rocprim17ROCPRIM_400000_NS6detail17trampoline_kernelINS0_13select_configILj256ELj13ELNS0_17block_load_methodE3ELS4_3ELS4_3ELNS0_20block_scan_algorithmE0ELj4294967295EEENS1_25partition_config_selectorILNS1_17partition_subalgoE3EjNS0_10empty_typeEbEEZZNS1_14partition_implILS8_3ELb0ES6_jNS0_17counting_iteratorIjlEEPS9_SE_NS0_5tupleIJPjSE_EEENSF_IJSE_SE_EEES9_SG_JZNS1_25segmented_radix_sort_implINS0_14default_configELb0EPKiPiPKlPlN2at6native12_GLOBAL__N_18offset_tEEE10hipError_tPvRmT1_PNSt15iterator_traitsISY_E10value_typeET2_T3_PNSZ_IS14_E10value_typeET4_jRbjT5_S1A_jjP12ihipStream_tbEUljE_EEESV_SW_SX_S14_S18_S1A_T6_T7_T9_mT8_S1C_bDpT10_ENKUlT_T0_E_clISt17integral_constantIbLb1EES1P_EEDaS1K_S1L_EUlS1K_E_NS1_11comp_targetILNS1_3genE8ELNS1_11target_archE1030ELNS1_3gpuE2ELNS1_3repE0EEENS1_30default_config_static_selectorELNS0_4arch9wavefront6targetE1EEEvSY_.num_agpr, 0
	.set _ZN7rocprim17ROCPRIM_400000_NS6detail17trampoline_kernelINS0_13select_configILj256ELj13ELNS0_17block_load_methodE3ELS4_3ELS4_3ELNS0_20block_scan_algorithmE0ELj4294967295EEENS1_25partition_config_selectorILNS1_17partition_subalgoE3EjNS0_10empty_typeEbEEZZNS1_14partition_implILS8_3ELb0ES6_jNS0_17counting_iteratorIjlEEPS9_SE_NS0_5tupleIJPjSE_EEENSF_IJSE_SE_EEES9_SG_JZNS1_25segmented_radix_sort_implINS0_14default_configELb0EPKiPiPKlPlN2at6native12_GLOBAL__N_18offset_tEEE10hipError_tPvRmT1_PNSt15iterator_traitsISY_E10value_typeET2_T3_PNSZ_IS14_E10value_typeET4_jRbjT5_S1A_jjP12ihipStream_tbEUljE_EEESV_SW_SX_S14_S18_S1A_T6_T7_T9_mT8_S1C_bDpT10_ENKUlT_T0_E_clISt17integral_constantIbLb1EES1P_EEDaS1K_S1L_EUlS1K_E_NS1_11comp_targetILNS1_3genE8ELNS1_11target_archE1030ELNS1_3gpuE2ELNS1_3repE0EEENS1_30default_config_static_selectorELNS0_4arch9wavefront6targetE1EEEvSY_.numbered_sgpr, 0
	.set _ZN7rocprim17ROCPRIM_400000_NS6detail17trampoline_kernelINS0_13select_configILj256ELj13ELNS0_17block_load_methodE3ELS4_3ELS4_3ELNS0_20block_scan_algorithmE0ELj4294967295EEENS1_25partition_config_selectorILNS1_17partition_subalgoE3EjNS0_10empty_typeEbEEZZNS1_14partition_implILS8_3ELb0ES6_jNS0_17counting_iteratorIjlEEPS9_SE_NS0_5tupleIJPjSE_EEENSF_IJSE_SE_EEES9_SG_JZNS1_25segmented_radix_sort_implINS0_14default_configELb0EPKiPiPKlPlN2at6native12_GLOBAL__N_18offset_tEEE10hipError_tPvRmT1_PNSt15iterator_traitsISY_E10value_typeET2_T3_PNSZ_IS14_E10value_typeET4_jRbjT5_S1A_jjP12ihipStream_tbEUljE_EEESV_SW_SX_S14_S18_S1A_T6_T7_T9_mT8_S1C_bDpT10_ENKUlT_T0_E_clISt17integral_constantIbLb1EES1P_EEDaS1K_S1L_EUlS1K_E_NS1_11comp_targetILNS1_3genE8ELNS1_11target_archE1030ELNS1_3gpuE2ELNS1_3repE0EEENS1_30default_config_static_selectorELNS0_4arch9wavefront6targetE1EEEvSY_.num_named_barrier, 0
	.set _ZN7rocprim17ROCPRIM_400000_NS6detail17trampoline_kernelINS0_13select_configILj256ELj13ELNS0_17block_load_methodE3ELS4_3ELS4_3ELNS0_20block_scan_algorithmE0ELj4294967295EEENS1_25partition_config_selectorILNS1_17partition_subalgoE3EjNS0_10empty_typeEbEEZZNS1_14partition_implILS8_3ELb0ES6_jNS0_17counting_iteratorIjlEEPS9_SE_NS0_5tupleIJPjSE_EEENSF_IJSE_SE_EEES9_SG_JZNS1_25segmented_radix_sort_implINS0_14default_configELb0EPKiPiPKlPlN2at6native12_GLOBAL__N_18offset_tEEE10hipError_tPvRmT1_PNSt15iterator_traitsISY_E10value_typeET2_T3_PNSZ_IS14_E10value_typeET4_jRbjT5_S1A_jjP12ihipStream_tbEUljE_EEESV_SW_SX_S14_S18_S1A_T6_T7_T9_mT8_S1C_bDpT10_ENKUlT_T0_E_clISt17integral_constantIbLb1EES1P_EEDaS1K_S1L_EUlS1K_E_NS1_11comp_targetILNS1_3genE8ELNS1_11target_archE1030ELNS1_3gpuE2ELNS1_3repE0EEENS1_30default_config_static_selectorELNS0_4arch9wavefront6targetE1EEEvSY_.private_seg_size, 0
	.set _ZN7rocprim17ROCPRIM_400000_NS6detail17trampoline_kernelINS0_13select_configILj256ELj13ELNS0_17block_load_methodE3ELS4_3ELS4_3ELNS0_20block_scan_algorithmE0ELj4294967295EEENS1_25partition_config_selectorILNS1_17partition_subalgoE3EjNS0_10empty_typeEbEEZZNS1_14partition_implILS8_3ELb0ES6_jNS0_17counting_iteratorIjlEEPS9_SE_NS0_5tupleIJPjSE_EEENSF_IJSE_SE_EEES9_SG_JZNS1_25segmented_radix_sort_implINS0_14default_configELb0EPKiPiPKlPlN2at6native12_GLOBAL__N_18offset_tEEE10hipError_tPvRmT1_PNSt15iterator_traitsISY_E10value_typeET2_T3_PNSZ_IS14_E10value_typeET4_jRbjT5_S1A_jjP12ihipStream_tbEUljE_EEESV_SW_SX_S14_S18_S1A_T6_T7_T9_mT8_S1C_bDpT10_ENKUlT_T0_E_clISt17integral_constantIbLb1EES1P_EEDaS1K_S1L_EUlS1K_E_NS1_11comp_targetILNS1_3genE8ELNS1_11target_archE1030ELNS1_3gpuE2ELNS1_3repE0EEENS1_30default_config_static_selectorELNS0_4arch9wavefront6targetE1EEEvSY_.uses_vcc, 0
	.set _ZN7rocprim17ROCPRIM_400000_NS6detail17trampoline_kernelINS0_13select_configILj256ELj13ELNS0_17block_load_methodE3ELS4_3ELS4_3ELNS0_20block_scan_algorithmE0ELj4294967295EEENS1_25partition_config_selectorILNS1_17partition_subalgoE3EjNS0_10empty_typeEbEEZZNS1_14partition_implILS8_3ELb0ES6_jNS0_17counting_iteratorIjlEEPS9_SE_NS0_5tupleIJPjSE_EEENSF_IJSE_SE_EEES9_SG_JZNS1_25segmented_radix_sort_implINS0_14default_configELb0EPKiPiPKlPlN2at6native12_GLOBAL__N_18offset_tEEE10hipError_tPvRmT1_PNSt15iterator_traitsISY_E10value_typeET2_T3_PNSZ_IS14_E10value_typeET4_jRbjT5_S1A_jjP12ihipStream_tbEUljE_EEESV_SW_SX_S14_S18_S1A_T6_T7_T9_mT8_S1C_bDpT10_ENKUlT_T0_E_clISt17integral_constantIbLb1EES1P_EEDaS1K_S1L_EUlS1K_E_NS1_11comp_targetILNS1_3genE8ELNS1_11target_archE1030ELNS1_3gpuE2ELNS1_3repE0EEENS1_30default_config_static_selectorELNS0_4arch9wavefront6targetE1EEEvSY_.uses_flat_scratch, 0
	.set _ZN7rocprim17ROCPRIM_400000_NS6detail17trampoline_kernelINS0_13select_configILj256ELj13ELNS0_17block_load_methodE3ELS4_3ELS4_3ELNS0_20block_scan_algorithmE0ELj4294967295EEENS1_25partition_config_selectorILNS1_17partition_subalgoE3EjNS0_10empty_typeEbEEZZNS1_14partition_implILS8_3ELb0ES6_jNS0_17counting_iteratorIjlEEPS9_SE_NS0_5tupleIJPjSE_EEENSF_IJSE_SE_EEES9_SG_JZNS1_25segmented_radix_sort_implINS0_14default_configELb0EPKiPiPKlPlN2at6native12_GLOBAL__N_18offset_tEEE10hipError_tPvRmT1_PNSt15iterator_traitsISY_E10value_typeET2_T3_PNSZ_IS14_E10value_typeET4_jRbjT5_S1A_jjP12ihipStream_tbEUljE_EEESV_SW_SX_S14_S18_S1A_T6_T7_T9_mT8_S1C_bDpT10_ENKUlT_T0_E_clISt17integral_constantIbLb1EES1P_EEDaS1K_S1L_EUlS1K_E_NS1_11comp_targetILNS1_3genE8ELNS1_11target_archE1030ELNS1_3gpuE2ELNS1_3repE0EEENS1_30default_config_static_selectorELNS0_4arch9wavefront6targetE1EEEvSY_.has_dyn_sized_stack, 0
	.set _ZN7rocprim17ROCPRIM_400000_NS6detail17trampoline_kernelINS0_13select_configILj256ELj13ELNS0_17block_load_methodE3ELS4_3ELS4_3ELNS0_20block_scan_algorithmE0ELj4294967295EEENS1_25partition_config_selectorILNS1_17partition_subalgoE3EjNS0_10empty_typeEbEEZZNS1_14partition_implILS8_3ELb0ES6_jNS0_17counting_iteratorIjlEEPS9_SE_NS0_5tupleIJPjSE_EEENSF_IJSE_SE_EEES9_SG_JZNS1_25segmented_radix_sort_implINS0_14default_configELb0EPKiPiPKlPlN2at6native12_GLOBAL__N_18offset_tEEE10hipError_tPvRmT1_PNSt15iterator_traitsISY_E10value_typeET2_T3_PNSZ_IS14_E10value_typeET4_jRbjT5_S1A_jjP12ihipStream_tbEUljE_EEESV_SW_SX_S14_S18_S1A_T6_T7_T9_mT8_S1C_bDpT10_ENKUlT_T0_E_clISt17integral_constantIbLb1EES1P_EEDaS1K_S1L_EUlS1K_E_NS1_11comp_targetILNS1_3genE8ELNS1_11target_archE1030ELNS1_3gpuE2ELNS1_3repE0EEENS1_30default_config_static_selectorELNS0_4arch9wavefront6targetE1EEEvSY_.has_recursion, 0
	.set _ZN7rocprim17ROCPRIM_400000_NS6detail17trampoline_kernelINS0_13select_configILj256ELj13ELNS0_17block_load_methodE3ELS4_3ELS4_3ELNS0_20block_scan_algorithmE0ELj4294967295EEENS1_25partition_config_selectorILNS1_17partition_subalgoE3EjNS0_10empty_typeEbEEZZNS1_14partition_implILS8_3ELb0ES6_jNS0_17counting_iteratorIjlEEPS9_SE_NS0_5tupleIJPjSE_EEENSF_IJSE_SE_EEES9_SG_JZNS1_25segmented_radix_sort_implINS0_14default_configELb0EPKiPiPKlPlN2at6native12_GLOBAL__N_18offset_tEEE10hipError_tPvRmT1_PNSt15iterator_traitsISY_E10value_typeET2_T3_PNSZ_IS14_E10value_typeET4_jRbjT5_S1A_jjP12ihipStream_tbEUljE_EEESV_SW_SX_S14_S18_S1A_T6_T7_T9_mT8_S1C_bDpT10_ENKUlT_T0_E_clISt17integral_constantIbLb1EES1P_EEDaS1K_S1L_EUlS1K_E_NS1_11comp_targetILNS1_3genE8ELNS1_11target_archE1030ELNS1_3gpuE2ELNS1_3repE0EEENS1_30default_config_static_selectorELNS0_4arch9wavefront6targetE1EEEvSY_.has_indirect_call, 0
	.section	.AMDGPU.csdata,"",@progbits
; Kernel info:
; codeLenInByte = 0
; TotalNumSgprs: 4
; NumVgprs: 0
; ScratchSize: 0
; MemoryBound: 0
; FloatMode: 240
; IeeeMode: 1
; LDSByteSize: 0 bytes/workgroup (compile time only)
; SGPRBlocks: 0
; VGPRBlocks: 0
; NumSGPRsForWavesPerEU: 4
; NumVGPRsForWavesPerEU: 1
; Occupancy: 10
; WaveLimiterHint : 0
; COMPUTE_PGM_RSRC2:SCRATCH_EN: 0
; COMPUTE_PGM_RSRC2:USER_SGPR: 6
; COMPUTE_PGM_RSRC2:TRAP_HANDLER: 0
; COMPUTE_PGM_RSRC2:TGID_X_EN: 1
; COMPUTE_PGM_RSRC2:TGID_Y_EN: 0
; COMPUTE_PGM_RSRC2:TGID_Z_EN: 0
; COMPUTE_PGM_RSRC2:TIDIG_COMP_CNT: 0
	.section	.text._ZN7rocprim17ROCPRIM_400000_NS6detail17trampoline_kernelINS0_13select_configILj256ELj13ELNS0_17block_load_methodE3ELS4_3ELS4_3ELNS0_20block_scan_algorithmE0ELj4294967295EEENS1_25partition_config_selectorILNS1_17partition_subalgoE3EjNS0_10empty_typeEbEEZZNS1_14partition_implILS8_3ELb0ES6_jNS0_17counting_iteratorIjlEEPS9_SE_NS0_5tupleIJPjSE_EEENSF_IJSE_SE_EEES9_SG_JZNS1_25segmented_radix_sort_implINS0_14default_configELb0EPKiPiPKlPlN2at6native12_GLOBAL__N_18offset_tEEE10hipError_tPvRmT1_PNSt15iterator_traitsISY_E10value_typeET2_T3_PNSZ_IS14_E10value_typeET4_jRbjT5_S1A_jjP12ihipStream_tbEUljE_EEESV_SW_SX_S14_S18_S1A_T6_T7_T9_mT8_S1C_bDpT10_ENKUlT_T0_E_clISt17integral_constantIbLb1EES1O_IbLb0EEEEDaS1K_S1L_EUlS1K_E_NS1_11comp_targetILNS1_3genE0ELNS1_11target_archE4294967295ELNS1_3gpuE0ELNS1_3repE0EEENS1_30default_config_static_selectorELNS0_4arch9wavefront6targetE1EEEvSY_,"axG",@progbits,_ZN7rocprim17ROCPRIM_400000_NS6detail17trampoline_kernelINS0_13select_configILj256ELj13ELNS0_17block_load_methodE3ELS4_3ELS4_3ELNS0_20block_scan_algorithmE0ELj4294967295EEENS1_25partition_config_selectorILNS1_17partition_subalgoE3EjNS0_10empty_typeEbEEZZNS1_14partition_implILS8_3ELb0ES6_jNS0_17counting_iteratorIjlEEPS9_SE_NS0_5tupleIJPjSE_EEENSF_IJSE_SE_EEES9_SG_JZNS1_25segmented_radix_sort_implINS0_14default_configELb0EPKiPiPKlPlN2at6native12_GLOBAL__N_18offset_tEEE10hipError_tPvRmT1_PNSt15iterator_traitsISY_E10value_typeET2_T3_PNSZ_IS14_E10value_typeET4_jRbjT5_S1A_jjP12ihipStream_tbEUljE_EEESV_SW_SX_S14_S18_S1A_T6_T7_T9_mT8_S1C_bDpT10_ENKUlT_T0_E_clISt17integral_constantIbLb1EES1O_IbLb0EEEEDaS1K_S1L_EUlS1K_E_NS1_11comp_targetILNS1_3genE0ELNS1_11target_archE4294967295ELNS1_3gpuE0ELNS1_3repE0EEENS1_30default_config_static_selectorELNS0_4arch9wavefront6targetE1EEEvSY_,comdat
	.globl	_ZN7rocprim17ROCPRIM_400000_NS6detail17trampoline_kernelINS0_13select_configILj256ELj13ELNS0_17block_load_methodE3ELS4_3ELS4_3ELNS0_20block_scan_algorithmE0ELj4294967295EEENS1_25partition_config_selectorILNS1_17partition_subalgoE3EjNS0_10empty_typeEbEEZZNS1_14partition_implILS8_3ELb0ES6_jNS0_17counting_iteratorIjlEEPS9_SE_NS0_5tupleIJPjSE_EEENSF_IJSE_SE_EEES9_SG_JZNS1_25segmented_radix_sort_implINS0_14default_configELb0EPKiPiPKlPlN2at6native12_GLOBAL__N_18offset_tEEE10hipError_tPvRmT1_PNSt15iterator_traitsISY_E10value_typeET2_T3_PNSZ_IS14_E10value_typeET4_jRbjT5_S1A_jjP12ihipStream_tbEUljE_EEESV_SW_SX_S14_S18_S1A_T6_T7_T9_mT8_S1C_bDpT10_ENKUlT_T0_E_clISt17integral_constantIbLb1EES1O_IbLb0EEEEDaS1K_S1L_EUlS1K_E_NS1_11comp_targetILNS1_3genE0ELNS1_11target_archE4294967295ELNS1_3gpuE0ELNS1_3repE0EEENS1_30default_config_static_selectorELNS0_4arch9wavefront6targetE1EEEvSY_ ; -- Begin function _ZN7rocprim17ROCPRIM_400000_NS6detail17trampoline_kernelINS0_13select_configILj256ELj13ELNS0_17block_load_methodE3ELS4_3ELS4_3ELNS0_20block_scan_algorithmE0ELj4294967295EEENS1_25partition_config_selectorILNS1_17partition_subalgoE3EjNS0_10empty_typeEbEEZZNS1_14partition_implILS8_3ELb0ES6_jNS0_17counting_iteratorIjlEEPS9_SE_NS0_5tupleIJPjSE_EEENSF_IJSE_SE_EEES9_SG_JZNS1_25segmented_radix_sort_implINS0_14default_configELb0EPKiPiPKlPlN2at6native12_GLOBAL__N_18offset_tEEE10hipError_tPvRmT1_PNSt15iterator_traitsISY_E10value_typeET2_T3_PNSZ_IS14_E10value_typeET4_jRbjT5_S1A_jjP12ihipStream_tbEUljE_EEESV_SW_SX_S14_S18_S1A_T6_T7_T9_mT8_S1C_bDpT10_ENKUlT_T0_E_clISt17integral_constantIbLb1EES1O_IbLb0EEEEDaS1K_S1L_EUlS1K_E_NS1_11comp_targetILNS1_3genE0ELNS1_11target_archE4294967295ELNS1_3gpuE0ELNS1_3repE0EEENS1_30default_config_static_selectorELNS0_4arch9wavefront6targetE1EEEvSY_
	.p2align	8
	.type	_ZN7rocprim17ROCPRIM_400000_NS6detail17trampoline_kernelINS0_13select_configILj256ELj13ELNS0_17block_load_methodE3ELS4_3ELS4_3ELNS0_20block_scan_algorithmE0ELj4294967295EEENS1_25partition_config_selectorILNS1_17partition_subalgoE3EjNS0_10empty_typeEbEEZZNS1_14partition_implILS8_3ELb0ES6_jNS0_17counting_iteratorIjlEEPS9_SE_NS0_5tupleIJPjSE_EEENSF_IJSE_SE_EEES9_SG_JZNS1_25segmented_radix_sort_implINS0_14default_configELb0EPKiPiPKlPlN2at6native12_GLOBAL__N_18offset_tEEE10hipError_tPvRmT1_PNSt15iterator_traitsISY_E10value_typeET2_T3_PNSZ_IS14_E10value_typeET4_jRbjT5_S1A_jjP12ihipStream_tbEUljE_EEESV_SW_SX_S14_S18_S1A_T6_T7_T9_mT8_S1C_bDpT10_ENKUlT_T0_E_clISt17integral_constantIbLb1EES1O_IbLb0EEEEDaS1K_S1L_EUlS1K_E_NS1_11comp_targetILNS1_3genE0ELNS1_11target_archE4294967295ELNS1_3gpuE0ELNS1_3repE0EEENS1_30default_config_static_selectorELNS0_4arch9wavefront6targetE1EEEvSY_,@function
_ZN7rocprim17ROCPRIM_400000_NS6detail17trampoline_kernelINS0_13select_configILj256ELj13ELNS0_17block_load_methodE3ELS4_3ELS4_3ELNS0_20block_scan_algorithmE0ELj4294967295EEENS1_25partition_config_selectorILNS1_17partition_subalgoE3EjNS0_10empty_typeEbEEZZNS1_14partition_implILS8_3ELb0ES6_jNS0_17counting_iteratorIjlEEPS9_SE_NS0_5tupleIJPjSE_EEENSF_IJSE_SE_EEES9_SG_JZNS1_25segmented_radix_sort_implINS0_14default_configELb0EPKiPiPKlPlN2at6native12_GLOBAL__N_18offset_tEEE10hipError_tPvRmT1_PNSt15iterator_traitsISY_E10value_typeET2_T3_PNSZ_IS14_E10value_typeET4_jRbjT5_S1A_jjP12ihipStream_tbEUljE_EEESV_SW_SX_S14_S18_S1A_T6_T7_T9_mT8_S1C_bDpT10_ENKUlT_T0_E_clISt17integral_constantIbLb1EES1O_IbLb0EEEEDaS1K_S1L_EUlS1K_E_NS1_11comp_targetILNS1_3genE0ELNS1_11target_archE4294967295ELNS1_3gpuE0ELNS1_3repE0EEENS1_30default_config_static_selectorELNS0_4arch9wavefront6targetE1EEEvSY_: ; @_ZN7rocprim17ROCPRIM_400000_NS6detail17trampoline_kernelINS0_13select_configILj256ELj13ELNS0_17block_load_methodE3ELS4_3ELS4_3ELNS0_20block_scan_algorithmE0ELj4294967295EEENS1_25partition_config_selectorILNS1_17partition_subalgoE3EjNS0_10empty_typeEbEEZZNS1_14partition_implILS8_3ELb0ES6_jNS0_17counting_iteratorIjlEEPS9_SE_NS0_5tupleIJPjSE_EEENSF_IJSE_SE_EEES9_SG_JZNS1_25segmented_radix_sort_implINS0_14default_configELb0EPKiPiPKlPlN2at6native12_GLOBAL__N_18offset_tEEE10hipError_tPvRmT1_PNSt15iterator_traitsISY_E10value_typeET2_T3_PNSZ_IS14_E10value_typeET4_jRbjT5_S1A_jjP12ihipStream_tbEUljE_EEESV_SW_SX_S14_S18_S1A_T6_T7_T9_mT8_S1C_bDpT10_ENKUlT_T0_E_clISt17integral_constantIbLb1EES1O_IbLb0EEEEDaS1K_S1L_EUlS1K_E_NS1_11comp_targetILNS1_3genE0ELNS1_11target_archE4294967295ELNS1_3gpuE0ELNS1_3repE0EEENS1_30default_config_static_selectorELNS0_4arch9wavefront6targetE1EEEvSY_
; %bb.0:
	.section	.rodata,"a",@progbits
	.p2align	6, 0x0
	.amdhsa_kernel _ZN7rocprim17ROCPRIM_400000_NS6detail17trampoline_kernelINS0_13select_configILj256ELj13ELNS0_17block_load_methodE3ELS4_3ELS4_3ELNS0_20block_scan_algorithmE0ELj4294967295EEENS1_25partition_config_selectorILNS1_17partition_subalgoE3EjNS0_10empty_typeEbEEZZNS1_14partition_implILS8_3ELb0ES6_jNS0_17counting_iteratorIjlEEPS9_SE_NS0_5tupleIJPjSE_EEENSF_IJSE_SE_EEES9_SG_JZNS1_25segmented_radix_sort_implINS0_14default_configELb0EPKiPiPKlPlN2at6native12_GLOBAL__N_18offset_tEEE10hipError_tPvRmT1_PNSt15iterator_traitsISY_E10value_typeET2_T3_PNSZ_IS14_E10value_typeET4_jRbjT5_S1A_jjP12ihipStream_tbEUljE_EEESV_SW_SX_S14_S18_S1A_T6_T7_T9_mT8_S1C_bDpT10_ENKUlT_T0_E_clISt17integral_constantIbLb1EES1O_IbLb0EEEEDaS1K_S1L_EUlS1K_E_NS1_11comp_targetILNS1_3genE0ELNS1_11target_archE4294967295ELNS1_3gpuE0ELNS1_3repE0EEENS1_30default_config_static_selectorELNS0_4arch9wavefront6targetE1EEEvSY_
		.amdhsa_group_segment_fixed_size 0
		.amdhsa_private_segment_fixed_size 0
		.amdhsa_kernarg_size 144
		.amdhsa_user_sgpr_count 6
		.amdhsa_user_sgpr_private_segment_buffer 1
		.amdhsa_user_sgpr_dispatch_ptr 0
		.amdhsa_user_sgpr_queue_ptr 0
		.amdhsa_user_sgpr_kernarg_segment_ptr 1
		.amdhsa_user_sgpr_dispatch_id 0
		.amdhsa_user_sgpr_flat_scratch_init 0
		.amdhsa_user_sgpr_private_segment_size 0
		.amdhsa_uses_dynamic_stack 0
		.amdhsa_system_sgpr_private_segment_wavefront_offset 0
		.amdhsa_system_sgpr_workgroup_id_x 1
		.amdhsa_system_sgpr_workgroup_id_y 0
		.amdhsa_system_sgpr_workgroup_id_z 0
		.amdhsa_system_sgpr_workgroup_info 0
		.amdhsa_system_vgpr_workitem_id 0
		.amdhsa_next_free_vgpr 1
		.amdhsa_next_free_sgpr 0
		.amdhsa_reserve_vcc 0
		.amdhsa_reserve_flat_scratch 0
		.amdhsa_float_round_mode_32 0
		.amdhsa_float_round_mode_16_64 0
		.amdhsa_float_denorm_mode_32 3
		.amdhsa_float_denorm_mode_16_64 3
		.amdhsa_dx10_clamp 1
		.amdhsa_ieee_mode 1
		.amdhsa_fp16_overflow 0
		.amdhsa_exception_fp_ieee_invalid_op 0
		.amdhsa_exception_fp_denorm_src 0
		.amdhsa_exception_fp_ieee_div_zero 0
		.amdhsa_exception_fp_ieee_overflow 0
		.amdhsa_exception_fp_ieee_underflow 0
		.amdhsa_exception_fp_ieee_inexact 0
		.amdhsa_exception_int_div_zero 0
	.end_amdhsa_kernel
	.section	.text._ZN7rocprim17ROCPRIM_400000_NS6detail17trampoline_kernelINS0_13select_configILj256ELj13ELNS0_17block_load_methodE3ELS4_3ELS4_3ELNS0_20block_scan_algorithmE0ELj4294967295EEENS1_25partition_config_selectorILNS1_17partition_subalgoE3EjNS0_10empty_typeEbEEZZNS1_14partition_implILS8_3ELb0ES6_jNS0_17counting_iteratorIjlEEPS9_SE_NS0_5tupleIJPjSE_EEENSF_IJSE_SE_EEES9_SG_JZNS1_25segmented_radix_sort_implINS0_14default_configELb0EPKiPiPKlPlN2at6native12_GLOBAL__N_18offset_tEEE10hipError_tPvRmT1_PNSt15iterator_traitsISY_E10value_typeET2_T3_PNSZ_IS14_E10value_typeET4_jRbjT5_S1A_jjP12ihipStream_tbEUljE_EEESV_SW_SX_S14_S18_S1A_T6_T7_T9_mT8_S1C_bDpT10_ENKUlT_T0_E_clISt17integral_constantIbLb1EES1O_IbLb0EEEEDaS1K_S1L_EUlS1K_E_NS1_11comp_targetILNS1_3genE0ELNS1_11target_archE4294967295ELNS1_3gpuE0ELNS1_3repE0EEENS1_30default_config_static_selectorELNS0_4arch9wavefront6targetE1EEEvSY_,"axG",@progbits,_ZN7rocprim17ROCPRIM_400000_NS6detail17trampoline_kernelINS0_13select_configILj256ELj13ELNS0_17block_load_methodE3ELS4_3ELS4_3ELNS0_20block_scan_algorithmE0ELj4294967295EEENS1_25partition_config_selectorILNS1_17partition_subalgoE3EjNS0_10empty_typeEbEEZZNS1_14partition_implILS8_3ELb0ES6_jNS0_17counting_iteratorIjlEEPS9_SE_NS0_5tupleIJPjSE_EEENSF_IJSE_SE_EEES9_SG_JZNS1_25segmented_radix_sort_implINS0_14default_configELb0EPKiPiPKlPlN2at6native12_GLOBAL__N_18offset_tEEE10hipError_tPvRmT1_PNSt15iterator_traitsISY_E10value_typeET2_T3_PNSZ_IS14_E10value_typeET4_jRbjT5_S1A_jjP12ihipStream_tbEUljE_EEESV_SW_SX_S14_S18_S1A_T6_T7_T9_mT8_S1C_bDpT10_ENKUlT_T0_E_clISt17integral_constantIbLb1EES1O_IbLb0EEEEDaS1K_S1L_EUlS1K_E_NS1_11comp_targetILNS1_3genE0ELNS1_11target_archE4294967295ELNS1_3gpuE0ELNS1_3repE0EEENS1_30default_config_static_selectorELNS0_4arch9wavefront6targetE1EEEvSY_,comdat
.Lfunc_end584:
	.size	_ZN7rocprim17ROCPRIM_400000_NS6detail17trampoline_kernelINS0_13select_configILj256ELj13ELNS0_17block_load_methodE3ELS4_3ELS4_3ELNS0_20block_scan_algorithmE0ELj4294967295EEENS1_25partition_config_selectorILNS1_17partition_subalgoE3EjNS0_10empty_typeEbEEZZNS1_14partition_implILS8_3ELb0ES6_jNS0_17counting_iteratorIjlEEPS9_SE_NS0_5tupleIJPjSE_EEENSF_IJSE_SE_EEES9_SG_JZNS1_25segmented_radix_sort_implINS0_14default_configELb0EPKiPiPKlPlN2at6native12_GLOBAL__N_18offset_tEEE10hipError_tPvRmT1_PNSt15iterator_traitsISY_E10value_typeET2_T3_PNSZ_IS14_E10value_typeET4_jRbjT5_S1A_jjP12ihipStream_tbEUljE_EEESV_SW_SX_S14_S18_S1A_T6_T7_T9_mT8_S1C_bDpT10_ENKUlT_T0_E_clISt17integral_constantIbLb1EES1O_IbLb0EEEEDaS1K_S1L_EUlS1K_E_NS1_11comp_targetILNS1_3genE0ELNS1_11target_archE4294967295ELNS1_3gpuE0ELNS1_3repE0EEENS1_30default_config_static_selectorELNS0_4arch9wavefront6targetE1EEEvSY_, .Lfunc_end584-_ZN7rocprim17ROCPRIM_400000_NS6detail17trampoline_kernelINS0_13select_configILj256ELj13ELNS0_17block_load_methodE3ELS4_3ELS4_3ELNS0_20block_scan_algorithmE0ELj4294967295EEENS1_25partition_config_selectorILNS1_17partition_subalgoE3EjNS0_10empty_typeEbEEZZNS1_14partition_implILS8_3ELb0ES6_jNS0_17counting_iteratorIjlEEPS9_SE_NS0_5tupleIJPjSE_EEENSF_IJSE_SE_EEES9_SG_JZNS1_25segmented_radix_sort_implINS0_14default_configELb0EPKiPiPKlPlN2at6native12_GLOBAL__N_18offset_tEEE10hipError_tPvRmT1_PNSt15iterator_traitsISY_E10value_typeET2_T3_PNSZ_IS14_E10value_typeET4_jRbjT5_S1A_jjP12ihipStream_tbEUljE_EEESV_SW_SX_S14_S18_S1A_T6_T7_T9_mT8_S1C_bDpT10_ENKUlT_T0_E_clISt17integral_constantIbLb1EES1O_IbLb0EEEEDaS1K_S1L_EUlS1K_E_NS1_11comp_targetILNS1_3genE0ELNS1_11target_archE4294967295ELNS1_3gpuE0ELNS1_3repE0EEENS1_30default_config_static_selectorELNS0_4arch9wavefront6targetE1EEEvSY_
                                        ; -- End function
	.set _ZN7rocprim17ROCPRIM_400000_NS6detail17trampoline_kernelINS0_13select_configILj256ELj13ELNS0_17block_load_methodE3ELS4_3ELS4_3ELNS0_20block_scan_algorithmE0ELj4294967295EEENS1_25partition_config_selectorILNS1_17partition_subalgoE3EjNS0_10empty_typeEbEEZZNS1_14partition_implILS8_3ELb0ES6_jNS0_17counting_iteratorIjlEEPS9_SE_NS0_5tupleIJPjSE_EEENSF_IJSE_SE_EEES9_SG_JZNS1_25segmented_radix_sort_implINS0_14default_configELb0EPKiPiPKlPlN2at6native12_GLOBAL__N_18offset_tEEE10hipError_tPvRmT1_PNSt15iterator_traitsISY_E10value_typeET2_T3_PNSZ_IS14_E10value_typeET4_jRbjT5_S1A_jjP12ihipStream_tbEUljE_EEESV_SW_SX_S14_S18_S1A_T6_T7_T9_mT8_S1C_bDpT10_ENKUlT_T0_E_clISt17integral_constantIbLb1EES1O_IbLb0EEEEDaS1K_S1L_EUlS1K_E_NS1_11comp_targetILNS1_3genE0ELNS1_11target_archE4294967295ELNS1_3gpuE0ELNS1_3repE0EEENS1_30default_config_static_selectorELNS0_4arch9wavefront6targetE1EEEvSY_.num_vgpr, 0
	.set _ZN7rocprim17ROCPRIM_400000_NS6detail17trampoline_kernelINS0_13select_configILj256ELj13ELNS0_17block_load_methodE3ELS4_3ELS4_3ELNS0_20block_scan_algorithmE0ELj4294967295EEENS1_25partition_config_selectorILNS1_17partition_subalgoE3EjNS0_10empty_typeEbEEZZNS1_14partition_implILS8_3ELb0ES6_jNS0_17counting_iteratorIjlEEPS9_SE_NS0_5tupleIJPjSE_EEENSF_IJSE_SE_EEES9_SG_JZNS1_25segmented_radix_sort_implINS0_14default_configELb0EPKiPiPKlPlN2at6native12_GLOBAL__N_18offset_tEEE10hipError_tPvRmT1_PNSt15iterator_traitsISY_E10value_typeET2_T3_PNSZ_IS14_E10value_typeET4_jRbjT5_S1A_jjP12ihipStream_tbEUljE_EEESV_SW_SX_S14_S18_S1A_T6_T7_T9_mT8_S1C_bDpT10_ENKUlT_T0_E_clISt17integral_constantIbLb1EES1O_IbLb0EEEEDaS1K_S1L_EUlS1K_E_NS1_11comp_targetILNS1_3genE0ELNS1_11target_archE4294967295ELNS1_3gpuE0ELNS1_3repE0EEENS1_30default_config_static_selectorELNS0_4arch9wavefront6targetE1EEEvSY_.num_agpr, 0
	.set _ZN7rocprim17ROCPRIM_400000_NS6detail17trampoline_kernelINS0_13select_configILj256ELj13ELNS0_17block_load_methodE3ELS4_3ELS4_3ELNS0_20block_scan_algorithmE0ELj4294967295EEENS1_25partition_config_selectorILNS1_17partition_subalgoE3EjNS0_10empty_typeEbEEZZNS1_14partition_implILS8_3ELb0ES6_jNS0_17counting_iteratorIjlEEPS9_SE_NS0_5tupleIJPjSE_EEENSF_IJSE_SE_EEES9_SG_JZNS1_25segmented_radix_sort_implINS0_14default_configELb0EPKiPiPKlPlN2at6native12_GLOBAL__N_18offset_tEEE10hipError_tPvRmT1_PNSt15iterator_traitsISY_E10value_typeET2_T3_PNSZ_IS14_E10value_typeET4_jRbjT5_S1A_jjP12ihipStream_tbEUljE_EEESV_SW_SX_S14_S18_S1A_T6_T7_T9_mT8_S1C_bDpT10_ENKUlT_T0_E_clISt17integral_constantIbLb1EES1O_IbLb0EEEEDaS1K_S1L_EUlS1K_E_NS1_11comp_targetILNS1_3genE0ELNS1_11target_archE4294967295ELNS1_3gpuE0ELNS1_3repE0EEENS1_30default_config_static_selectorELNS0_4arch9wavefront6targetE1EEEvSY_.numbered_sgpr, 0
	.set _ZN7rocprim17ROCPRIM_400000_NS6detail17trampoline_kernelINS0_13select_configILj256ELj13ELNS0_17block_load_methodE3ELS4_3ELS4_3ELNS0_20block_scan_algorithmE0ELj4294967295EEENS1_25partition_config_selectorILNS1_17partition_subalgoE3EjNS0_10empty_typeEbEEZZNS1_14partition_implILS8_3ELb0ES6_jNS0_17counting_iteratorIjlEEPS9_SE_NS0_5tupleIJPjSE_EEENSF_IJSE_SE_EEES9_SG_JZNS1_25segmented_radix_sort_implINS0_14default_configELb0EPKiPiPKlPlN2at6native12_GLOBAL__N_18offset_tEEE10hipError_tPvRmT1_PNSt15iterator_traitsISY_E10value_typeET2_T3_PNSZ_IS14_E10value_typeET4_jRbjT5_S1A_jjP12ihipStream_tbEUljE_EEESV_SW_SX_S14_S18_S1A_T6_T7_T9_mT8_S1C_bDpT10_ENKUlT_T0_E_clISt17integral_constantIbLb1EES1O_IbLb0EEEEDaS1K_S1L_EUlS1K_E_NS1_11comp_targetILNS1_3genE0ELNS1_11target_archE4294967295ELNS1_3gpuE0ELNS1_3repE0EEENS1_30default_config_static_selectorELNS0_4arch9wavefront6targetE1EEEvSY_.num_named_barrier, 0
	.set _ZN7rocprim17ROCPRIM_400000_NS6detail17trampoline_kernelINS0_13select_configILj256ELj13ELNS0_17block_load_methodE3ELS4_3ELS4_3ELNS0_20block_scan_algorithmE0ELj4294967295EEENS1_25partition_config_selectorILNS1_17partition_subalgoE3EjNS0_10empty_typeEbEEZZNS1_14partition_implILS8_3ELb0ES6_jNS0_17counting_iteratorIjlEEPS9_SE_NS0_5tupleIJPjSE_EEENSF_IJSE_SE_EEES9_SG_JZNS1_25segmented_radix_sort_implINS0_14default_configELb0EPKiPiPKlPlN2at6native12_GLOBAL__N_18offset_tEEE10hipError_tPvRmT1_PNSt15iterator_traitsISY_E10value_typeET2_T3_PNSZ_IS14_E10value_typeET4_jRbjT5_S1A_jjP12ihipStream_tbEUljE_EEESV_SW_SX_S14_S18_S1A_T6_T7_T9_mT8_S1C_bDpT10_ENKUlT_T0_E_clISt17integral_constantIbLb1EES1O_IbLb0EEEEDaS1K_S1L_EUlS1K_E_NS1_11comp_targetILNS1_3genE0ELNS1_11target_archE4294967295ELNS1_3gpuE0ELNS1_3repE0EEENS1_30default_config_static_selectorELNS0_4arch9wavefront6targetE1EEEvSY_.private_seg_size, 0
	.set _ZN7rocprim17ROCPRIM_400000_NS6detail17trampoline_kernelINS0_13select_configILj256ELj13ELNS0_17block_load_methodE3ELS4_3ELS4_3ELNS0_20block_scan_algorithmE0ELj4294967295EEENS1_25partition_config_selectorILNS1_17partition_subalgoE3EjNS0_10empty_typeEbEEZZNS1_14partition_implILS8_3ELb0ES6_jNS0_17counting_iteratorIjlEEPS9_SE_NS0_5tupleIJPjSE_EEENSF_IJSE_SE_EEES9_SG_JZNS1_25segmented_radix_sort_implINS0_14default_configELb0EPKiPiPKlPlN2at6native12_GLOBAL__N_18offset_tEEE10hipError_tPvRmT1_PNSt15iterator_traitsISY_E10value_typeET2_T3_PNSZ_IS14_E10value_typeET4_jRbjT5_S1A_jjP12ihipStream_tbEUljE_EEESV_SW_SX_S14_S18_S1A_T6_T7_T9_mT8_S1C_bDpT10_ENKUlT_T0_E_clISt17integral_constantIbLb1EES1O_IbLb0EEEEDaS1K_S1L_EUlS1K_E_NS1_11comp_targetILNS1_3genE0ELNS1_11target_archE4294967295ELNS1_3gpuE0ELNS1_3repE0EEENS1_30default_config_static_selectorELNS0_4arch9wavefront6targetE1EEEvSY_.uses_vcc, 0
	.set _ZN7rocprim17ROCPRIM_400000_NS6detail17trampoline_kernelINS0_13select_configILj256ELj13ELNS0_17block_load_methodE3ELS4_3ELS4_3ELNS0_20block_scan_algorithmE0ELj4294967295EEENS1_25partition_config_selectorILNS1_17partition_subalgoE3EjNS0_10empty_typeEbEEZZNS1_14partition_implILS8_3ELb0ES6_jNS0_17counting_iteratorIjlEEPS9_SE_NS0_5tupleIJPjSE_EEENSF_IJSE_SE_EEES9_SG_JZNS1_25segmented_radix_sort_implINS0_14default_configELb0EPKiPiPKlPlN2at6native12_GLOBAL__N_18offset_tEEE10hipError_tPvRmT1_PNSt15iterator_traitsISY_E10value_typeET2_T3_PNSZ_IS14_E10value_typeET4_jRbjT5_S1A_jjP12ihipStream_tbEUljE_EEESV_SW_SX_S14_S18_S1A_T6_T7_T9_mT8_S1C_bDpT10_ENKUlT_T0_E_clISt17integral_constantIbLb1EES1O_IbLb0EEEEDaS1K_S1L_EUlS1K_E_NS1_11comp_targetILNS1_3genE0ELNS1_11target_archE4294967295ELNS1_3gpuE0ELNS1_3repE0EEENS1_30default_config_static_selectorELNS0_4arch9wavefront6targetE1EEEvSY_.uses_flat_scratch, 0
	.set _ZN7rocprim17ROCPRIM_400000_NS6detail17trampoline_kernelINS0_13select_configILj256ELj13ELNS0_17block_load_methodE3ELS4_3ELS4_3ELNS0_20block_scan_algorithmE0ELj4294967295EEENS1_25partition_config_selectorILNS1_17partition_subalgoE3EjNS0_10empty_typeEbEEZZNS1_14partition_implILS8_3ELb0ES6_jNS0_17counting_iteratorIjlEEPS9_SE_NS0_5tupleIJPjSE_EEENSF_IJSE_SE_EEES9_SG_JZNS1_25segmented_radix_sort_implINS0_14default_configELb0EPKiPiPKlPlN2at6native12_GLOBAL__N_18offset_tEEE10hipError_tPvRmT1_PNSt15iterator_traitsISY_E10value_typeET2_T3_PNSZ_IS14_E10value_typeET4_jRbjT5_S1A_jjP12ihipStream_tbEUljE_EEESV_SW_SX_S14_S18_S1A_T6_T7_T9_mT8_S1C_bDpT10_ENKUlT_T0_E_clISt17integral_constantIbLb1EES1O_IbLb0EEEEDaS1K_S1L_EUlS1K_E_NS1_11comp_targetILNS1_3genE0ELNS1_11target_archE4294967295ELNS1_3gpuE0ELNS1_3repE0EEENS1_30default_config_static_selectorELNS0_4arch9wavefront6targetE1EEEvSY_.has_dyn_sized_stack, 0
	.set _ZN7rocprim17ROCPRIM_400000_NS6detail17trampoline_kernelINS0_13select_configILj256ELj13ELNS0_17block_load_methodE3ELS4_3ELS4_3ELNS0_20block_scan_algorithmE0ELj4294967295EEENS1_25partition_config_selectorILNS1_17partition_subalgoE3EjNS0_10empty_typeEbEEZZNS1_14partition_implILS8_3ELb0ES6_jNS0_17counting_iteratorIjlEEPS9_SE_NS0_5tupleIJPjSE_EEENSF_IJSE_SE_EEES9_SG_JZNS1_25segmented_radix_sort_implINS0_14default_configELb0EPKiPiPKlPlN2at6native12_GLOBAL__N_18offset_tEEE10hipError_tPvRmT1_PNSt15iterator_traitsISY_E10value_typeET2_T3_PNSZ_IS14_E10value_typeET4_jRbjT5_S1A_jjP12ihipStream_tbEUljE_EEESV_SW_SX_S14_S18_S1A_T6_T7_T9_mT8_S1C_bDpT10_ENKUlT_T0_E_clISt17integral_constantIbLb1EES1O_IbLb0EEEEDaS1K_S1L_EUlS1K_E_NS1_11comp_targetILNS1_3genE0ELNS1_11target_archE4294967295ELNS1_3gpuE0ELNS1_3repE0EEENS1_30default_config_static_selectorELNS0_4arch9wavefront6targetE1EEEvSY_.has_recursion, 0
	.set _ZN7rocprim17ROCPRIM_400000_NS6detail17trampoline_kernelINS0_13select_configILj256ELj13ELNS0_17block_load_methodE3ELS4_3ELS4_3ELNS0_20block_scan_algorithmE0ELj4294967295EEENS1_25partition_config_selectorILNS1_17partition_subalgoE3EjNS0_10empty_typeEbEEZZNS1_14partition_implILS8_3ELb0ES6_jNS0_17counting_iteratorIjlEEPS9_SE_NS0_5tupleIJPjSE_EEENSF_IJSE_SE_EEES9_SG_JZNS1_25segmented_radix_sort_implINS0_14default_configELb0EPKiPiPKlPlN2at6native12_GLOBAL__N_18offset_tEEE10hipError_tPvRmT1_PNSt15iterator_traitsISY_E10value_typeET2_T3_PNSZ_IS14_E10value_typeET4_jRbjT5_S1A_jjP12ihipStream_tbEUljE_EEESV_SW_SX_S14_S18_S1A_T6_T7_T9_mT8_S1C_bDpT10_ENKUlT_T0_E_clISt17integral_constantIbLb1EES1O_IbLb0EEEEDaS1K_S1L_EUlS1K_E_NS1_11comp_targetILNS1_3genE0ELNS1_11target_archE4294967295ELNS1_3gpuE0ELNS1_3repE0EEENS1_30default_config_static_selectorELNS0_4arch9wavefront6targetE1EEEvSY_.has_indirect_call, 0
	.section	.AMDGPU.csdata,"",@progbits
; Kernel info:
; codeLenInByte = 0
; TotalNumSgprs: 4
; NumVgprs: 0
; ScratchSize: 0
; MemoryBound: 0
; FloatMode: 240
; IeeeMode: 1
; LDSByteSize: 0 bytes/workgroup (compile time only)
; SGPRBlocks: 0
; VGPRBlocks: 0
; NumSGPRsForWavesPerEU: 4
; NumVGPRsForWavesPerEU: 1
; Occupancy: 10
; WaveLimiterHint : 0
; COMPUTE_PGM_RSRC2:SCRATCH_EN: 0
; COMPUTE_PGM_RSRC2:USER_SGPR: 6
; COMPUTE_PGM_RSRC2:TRAP_HANDLER: 0
; COMPUTE_PGM_RSRC2:TGID_X_EN: 1
; COMPUTE_PGM_RSRC2:TGID_Y_EN: 0
; COMPUTE_PGM_RSRC2:TGID_Z_EN: 0
; COMPUTE_PGM_RSRC2:TIDIG_COMP_CNT: 0
	.section	.text._ZN7rocprim17ROCPRIM_400000_NS6detail17trampoline_kernelINS0_13select_configILj256ELj13ELNS0_17block_load_methodE3ELS4_3ELS4_3ELNS0_20block_scan_algorithmE0ELj4294967295EEENS1_25partition_config_selectorILNS1_17partition_subalgoE3EjNS0_10empty_typeEbEEZZNS1_14partition_implILS8_3ELb0ES6_jNS0_17counting_iteratorIjlEEPS9_SE_NS0_5tupleIJPjSE_EEENSF_IJSE_SE_EEES9_SG_JZNS1_25segmented_radix_sort_implINS0_14default_configELb0EPKiPiPKlPlN2at6native12_GLOBAL__N_18offset_tEEE10hipError_tPvRmT1_PNSt15iterator_traitsISY_E10value_typeET2_T3_PNSZ_IS14_E10value_typeET4_jRbjT5_S1A_jjP12ihipStream_tbEUljE_EEESV_SW_SX_S14_S18_S1A_T6_T7_T9_mT8_S1C_bDpT10_ENKUlT_T0_E_clISt17integral_constantIbLb1EES1O_IbLb0EEEEDaS1K_S1L_EUlS1K_E_NS1_11comp_targetILNS1_3genE5ELNS1_11target_archE942ELNS1_3gpuE9ELNS1_3repE0EEENS1_30default_config_static_selectorELNS0_4arch9wavefront6targetE1EEEvSY_,"axG",@progbits,_ZN7rocprim17ROCPRIM_400000_NS6detail17trampoline_kernelINS0_13select_configILj256ELj13ELNS0_17block_load_methodE3ELS4_3ELS4_3ELNS0_20block_scan_algorithmE0ELj4294967295EEENS1_25partition_config_selectorILNS1_17partition_subalgoE3EjNS0_10empty_typeEbEEZZNS1_14partition_implILS8_3ELb0ES6_jNS0_17counting_iteratorIjlEEPS9_SE_NS0_5tupleIJPjSE_EEENSF_IJSE_SE_EEES9_SG_JZNS1_25segmented_radix_sort_implINS0_14default_configELb0EPKiPiPKlPlN2at6native12_GLOBAL__N_18offset_tEEE10hipError_tPvRmT1_PNSt15iterator_traitsISY_E10value_typeET2_T3_PNSZ_IS14_E10value_typeET4_jRbjT5_S1A_jjP12ihipStream_tbEUljE_EEESV_SW_SX_S14_S18_S1A_T6_T7_T9_mT8_S1C_bDpT10_ENKUlT_T0_E_clISt17integral_constantIbLb1EES1O_IbLb0EEEEDaS1K_S1L_EUlS1K_E_NS1_11comp_targetILNS1_3genE5ELNS1_11target_archE942ELNS1_3gpuE9ELNS1_3repE0EEENS1_30default_config_static_selectorELNS0_4arch9wavefront6targetE1EEEvSY_,comdat
	.globl	_ZN7rocprim17ROCPRIM_400000_NS6detail17trampoline_kernelINS0_13select_configILj256ELj13ELNS0_17block_load_methodE3ELS4_3ELS4_3ELNS0_20block_scan_algorithmE0ELj4294967295EEENS1_25partition_config_selectorILNS1_17partition_subalgoE3EjNS0_10empty_typeEbEEZZNS1_14partition_implILS8_3ELb0ES6_jNS0_17counting_iteratorIjlEEPS9_SE_NS0_5tupleIJPjSE_EEENSF_IJSE_SE_EEES9_SG_JZNS1_25segmented_radix_sort_implINS0_14default_configELb0EPKiPiPKlPlN2at6native12_GLOBAL__N_18offset_tEEE10hipError_tPvRmT1_PNSt15iterator_traitsISY_E10value_typeET2_T3_PNSZ_IS14_E10value_typeET4_jRbjT5_S1A_jjP12ihipStream_tbEUljE_EEESV_SW_SX_S14_S18_S1A_T6_T7_T9_mT8_S1C_bDpT10_ENKUlT_T0_E_clISt17integral_constantIbLb1EES1O_IbLb0EEEEDaS1K_S1L_EUlS1K_E_NS1_11comp_targetILNS1_3genE5ELNS1_11target_archE942ELNS1_3gpuE9ELNS1_3repE0EEENS1_30default_config_static_selectorELNS0_4arch9wavefront6targetE1EEEvSY_ ; -- Begin function _ZN7rocprim17ROCPRIM_400000_NS6detail17trampoline_kernelINS0_13select_configILj256ELj13ELNS0_17block_load_methodE3ELS4_3ELS4_3ELNS0_20block_scan_algorithmE0ELj4294967295EEENS1_25partition_config_selectorILNS1_17partition_subalgoE3EjNS0_10empty_typeEbEEZZNS1_14partition_implILS8_3ELb0ES6_jNS0_17counting_iteratorIjlEEPS9_SE_NS0_5tupleIJPjSE_EEENSF_IJSE_SE_EEES9_SG_JZNS1_25segmented_radix_sort_implINS0_14default_configELb0EPKiPiPKlPlN2at6native12_GLOBAL__N_18offset_tEEE10hipError_tPvRmT1_PNSt15iterator_traitsISY_E10value_typeET2_T3_PNSZ_IS14_E10value_typeET4_jRbjT5_S1A_jjP12ihipStream_tbEUljE_EEESV_SW_SX_S14_S18_S1A_T6_T7_T9_mT8_S1C_bDpT10_ENKUlT_T0_E_clISt17integral_constantIbLb1EES1O_IbLb0EEEEDaS1K_S1L_EUlS1K_E_NS1_11comp_targetILNS1_3genE5ELNS1_11target_archE942ELNS1_3gpuE9ELNS1_3repE0EEENS1_30default_config_static_selectorELNS0_4arch9wavefront6targetE1EEEvSY_
	.p2align	8
	.type	_ZN7rocprim17ROCPRIM_400000_NS6detail17trampoline_kernelINS0_13select_configILj256ELj13ELNS0_17block_load_methodE3ELS4_3ELS4_3ELNS0_20block_scan_algorithmE0ELj4294967295EEENS1_25partition_config_selectorILNS1_17partition_subalgoE3EjNS0_10empty_typeEbEEZZNS1_14partition_implILS8_3ELb0ES6_jNS0_17counting_iteratorIjlEEPS9_SE_NS0_5tupleIJPjSE_EEENSF_IJSE_SE_EEES9_SG_JZNS1_25segmented_radix_sort_implINS0_14default_configELb0EPKiPiPKlPlN2at6native12_GLOBAL__N_18offset_tEEE10hipError_tPvRmT1_PNSt15iterator_traitsISY_E10value_typeET2_T3_PNSZ_IS14_E10value_typeET4_jRbjT5_S1A_jjP12ihipStream_tbEUljE_EEESV_SW_SX_S14_S18_S1A_T6_T7_T9_mT8_S1C_bDpT10_ENKUlT_T0_E_clISt17integral_constantIbLb1EES1O_IbLb0EEEEDaS1K_S1L_EUlS1K_E_NS1_11comp_targetILNS1_3genE5ELNS1_11target_archE942ELNS1_3gpuE9ELNS1_3repE0EEENS1_30default_config_static_selectorELNS0_4arch9wavefront6targetE1EEEvSY_,@function
_ZN7rocprim17ROCPRIM_400000_NS6detail17trampoline_kernelINS0_13select_configILj256ELj13ELNS0_17block_load_methodE3ELS4_3ELS4_3ELNS0_20block_scan_algorithmE0ELj4294967295EEENS1_25partition_config_selectorILNS1_17partition_subalgoE3EjNS0_10empty_typeEbEEZZNS1_14partition_implILS8_3ELb0ES6_jNS0_17counting_iteratorIjlEEPS9_SE_NS0_5tupleIJPjSE_EEENSF_IJSE_SE_EEES9_SG_JZNS1_25segmented_radix_sort_implINS0_14default_configELb0EPKiPiPKlPlN2at6native12_GLOBAL__N_18offset_tEEE10hipError_tPvRmT1_PNSt15iterator_traitsISY_E10value_typeET2_T3_PNSZ_IS14_E10value_typeET4_jRbjT5_S1A_jjP12ihipStream_tbEUljE_EEESV_SW_SX_S14_S18_S1A_T6_T7_T9_mT8_S1C_bDpT10_ENKUlT_T0_E_clISt17integral_constantIbLb1EES1O_IbLb0EEEEDaS1K_S1L_EUlS1K_E_NS1_11comp_targetILNS1_3genE5ELNS1_11target_archE942ELNS1_3gpuE9ELNS1_3repE0EEENS1_30default_config_static_selectorELNS0_4arch9wavefront6targetE1EEEvSY_: ; @_ZN7rocprim17ROCPRIM_400000_NS6detail17trampoline_kernelINS0_13select_configILj256ELj13ELNS0_17block_load_methodE3ELS4_3ELS4_3ELNS0_20block_scan_algorithmE0ELj4294967295EEENS1_25partition_config_selectorILNS1_17partition_subalgoE3EjNS0_10empty_typeEbEEZZNS1_14partition_implILS8_3ELb0ES6_jNS0_17counting_iteratorIjlEEPS9_SE_NS0_5tupleIJPjSE_EEENSF_IJSE_SE_EEES9_SG_JZNS1_25segmented_radix_sort_implINS0_14default_configELb0EPKiPiPKlPlN2at6native12_GLOBAL__N_18offset_tEEE10hipError_tPvRmT1_PNSt15iterator_traitsISY_E10value_typeET2_T3_PNSZ_IS14_E10value_typeET4_jRbjT5_S1A_jjP12ihipStream_tbEUljE_EEESV_SW_SX_S14_S18_S1A_T6_T7_T9_mT8_S1C_bDpT10_ENKUlT_T0_E_clISt17integral_constantIbLb1EES1O_IbLb0EEEEDaS1K_S1L_EUlS1K_E_NS1_11comp_targetILNS1_3genE5ELNS1_11target_archE942ELNS1_3gpuE9ELNS1_3repE0EEENS1_30default_config_static_selectorELNS0_4arch9wavefront6targetE1EEEvSY_
; %bb.0:
	.section	.rodata,"a",@progbits
	.p2align	6, 0x0
	.amdhsa_kernel _ZN7rocprim17ROCPRIM_400000_NS6detail17trampoline_kernelINS0_13select_configILj256ELj13ELNS0_17block_load_methodE3ELS4_3ELS4_3ELNS0_20block_scan_algorithmE0ELj4294967295EEENS1_25partition_config_selectorILNS1_17partition_subalgoE3EjNS0_10empty_typeEbEEZZNS1_14partition_implILS8_3ELb0ES6_jNS0_17counting_iteratorIjlEEPS9_SE_NS0_5tupleIJPjSE_EEENSF_IJSE_SE_EEES9_SG_JZNS1_25segmented_radix_sort_implINS0_14default_configELb0EPKiPiPKlPlN2at6native12_GLOBAL__N_18offset_tEEE10hipError_tPvRmT1_PNSt15iterator_traitsISY_E10value_typeET2_T3_PNSZ_IS14_E10value_typeET4_jRbjT5_S1A_jjP12ihipStream_tbEUljE_EEESV_SW_SX_S14_S18_S1A_T6_T7_T9_mT8_S1C_bDpT10_ENKUlT_T0_E_clISt17integral_constantIbLb1EES1O_IbLb0EEEEDaS1K_S1L_EUlS1K_E_NS1_11comp_targetILNS1_3genE5ELNS1_11target_archE942ELNS1_3gpuE9ELNS1_3repE0EEENS1_30default_config_static_selectorELNS0_4arch9wavefront6targetE1EEEvSY_
		.amdhsa_group_segment_fixed_size 0
		.amdhsa_private_segment_fixed_size 0
		.amdhsa_kernarg_size 144
		.amdhsa_user_sgpr_count 6
		.amdhsa_user_sgpr_private_segment_buffer 1
		.amdhsa_user_sgpr_dispatch_ptr 0
		.amdhsa_user_sgpr_queue_ptr 0
		.amdhsa_user_sgpr_kernarg_segment_ptr 1
		.amdhsa_user_sgpr_dispatch_id 0
		.amdhsa_user_sgpr_flat_scratch_init 0
		.amdhsa_user_sgpr_private_segment_size 0
		.amdhsa_uses_dynamic_stack 0
		.amdhsa_system_sgpr_private_segment_wavefront_offset 0
		.amdhsa_system_sgpr_workgroup_id_x 1
		.amdhsa_system_sgpr_workgroup_id_y 0
		.amdhsa_system_sgpr_workgroup_id_z 0
		.amdhsa_system_sgpr_workgroup_info 0
		.amdhsa_system_vgpr_workitem_id 0
		.amdhsa_next_free_vgpr 1
		.amdhsa_next_free_sgpr 0
		.amdhsa_reserve_vcc 0
		.amdhsa_reserve_flat_scratch 0
		.amdhsa_float_round_mode_32 0
		.amdhsa_float_round_mode_16_64 0
		.amdhsa_float_denorm_mode_32 3
		.amdhsa_float_denorm_mode_16_64 3
		.amdhsa_dx10_clamp 1
		.amdhsa_ieee_mode 1
		.amdhsa_fp16_overflow 0
		.amdhsa_exception_fp_ieee_invalid_op 0
		.amdhsa_exception_fp_denorm_src 0
		.amdhsa_exception_fp_ieee_div_zero 0
		.amdhsa_exception_fp_ieee_overflow 0
		.amdhsa_exception_fp_ieee_underflow 0
		.amdhsa_exception_fp_ieee_inexact 0
		.amdhsa_exception_int_div_zero 0
	.end_amdhsa_kernel
	.section	.text._ZN7rocprim17ROCPRIM_400000_NS6detail17trampoline_kernelINS0_13select_configILj256ELj13ELNS0_17block_load_methodE3ELS4_3ELS4_3ELNS0_20block_scan_algorithmE0ELj4294967295EEENS1_25partition_config_selectorILNS1_17partition_subalgoE3EjNS0_10empty_typeEbEEZZNS1_14partition_implILS8_3ELb0ES6_jNS0_17counting_iteratorIjlEEPS9_SE_NS0_5tupleIJPjSE_EEENSF_IJSE_SE_EEES9_SG_JZNS1_25segmented_radix_sort_implINS0_14default_configELb0EPKiPiPKlPlN2at6native12_GLOBAL__N_18offset_tEEE10hipError_tPvRmT1_PNSt15iterator_traitsISY_E10value_typeET2_T3_PNSZ_IS14_E10value_typeET4_jRbjT5_S1A_jjP12ihipStream_tbEUljE_EEESV_SW_SX_S14_S18_S1A_T6_T7_T9_mT8_S1C_bDpT10_ENKUlT_T0_E_clISt17integral_constantIbLb1EES1O_IbLb0EEEEDaS1K_S1L_EUlS1K_E_NS1_11comp_targetILNS1_3genE5ELNS1_11target_archE942ELNS1_3gpuE9ELNS1_3repE0EEENS1_30default_config_static_selectorELNS0_4arch9wavefront6targetE1EEEvSY_,"axG",@progbits,_ZN7rocprim17ROCPRIM_400000_NS6detail17trampoline_kernelINS0_13select_configILj256ELj13ELNS0_17block_load_methodE3ELS4_3ELS4_3ELNS0_20block_scan_algorithmE0ELj4294967295EEENS1_25partition_config_selectorILNS1_17partition_subalgoE3EjNS0_10empty_typeEbEEZZNS1_14partition_implILS8_3ELb0ES6_jNS0_17counting_iteratorIjlEEPS9_SE_NS0_5tupleIJPjSE_EEENSF_IJSE_SE_EEES9_SG_JZNS1_25segmented_radix_sort_implINS0_14default_configELb0EPKiPiPKlPlN2at6native12_GLOBAL__N_18offset_tEEE10hipError_tPvRmT1_PNSt15iterator_traitsISY_E10value_typeET2_T3_PNSZ_IS14_E10value_typeET4_jRbjT5_S1A_jjP12ihipStream_tbEUljE_EEESV_SW_SX_S14_S18_S1A_T6_T7_T9_mT8_S1C_bDpT10_ENKUlT_T0_E_clISt17integral_constantIbLb1EES1O_IbLb0EEEEDaS1K_S1L_EUlS1K_E_NS1_11comp_targetILNS1_3genE5ELNS1_11target_archE942ELNS1_3gpuE9ELNS1_3repE0EEENS1_30default_config_static_selectorELNS0_4arch9wavefront6targetE1EEEvSY_,comdat
.Lfunc_end585:
	.size	_ZN7rocprim17ROCPRIM_400000_NS6detail17trampoline_kernelINS0_13select_configILj256ELj13ELNS0_17block_load_methodE3ELS4_3ELS4_3ELNS0_20block_scan_algorithmE0ELj4294967295EEENS1_25partition_config_selectorILNS1_17partition_subalgoE3EjNS0_10empty_typeEbEEZZNS1_14partition_implILS8_3ELb0ES6_jNS0_17counting_iteratorIjlEEPS9_SE_NS0_5tupleIJPjSE_EEENSF_IJSE_SE_EEES9_SG_JZNS1_25segmented_radix_sort_implINS0_14default_configELb0EPKiPiPKlPlN2at6native12_GLOBAL__N_18offset_tEEE10hipError_tPvRmT1_PNSt15iterator_traitsISY_E10value_typeET2_T3_PNSZ_IS14_E10value_typeET4_jRbjT5_S1A_jjP12ihipStream_tbEUljE_EEESV_SW_SX_S14_S18_S1A_T6_T7_T9_mT8_S1C_bDpT10_ENKUlT_T0_E_clISt17integral_constantIbLb1EES1O_IbLb0EEEEDaS1K_S1L_EUlS1K_E_NS1_11comp_targetILNS1_3genE5ELNS1_11target_archE942ELNS1_3gpuE9ELNS1_3repE0EEENS1_30default_config_static_selectorELNS0_4arch9wavefront6targetE1EEEvSY_, .Lfunc_end585-_ZN7rocprim17ROCPRIM_400000_NS6detail17trampoline_kernelINS0_13select_configILj256ELj13ELNS0_17block_load_methodE3ELS4_3ELS4_3ELNS0_20block_scan_algorithmE0ELj4294967295EEENS1_25partition_config_selectorILNS1_17partition_subalgoE3EjNS0_10empty_typeEbEEZZNS1_14partition_implILS8_3ELb0ES6_jNS0_17counting_iteratorIjlEEPS9_SE_NS0_5tupleIJPjSE_EEENSF_IJSE_SE_EEES9_SG_JZNS1_25segmented_radix_sort_implINS0_14default_configELb0EPKiPiPKlPlN2at6native12_GLOBAL__N_18offset_tEEE10hipError_tPvRmT1_PNSt15iterator_traitsISY_E10value_typeET2_T3_PNSZ_IS14_E10value_typeET4_jRbjT5_S1A_jjP12ihipStream_tbEUljE_EEESV_SW_SX_S14_S18_S1A_T6_T7_T9_mT8_S1C_bDpT10_ENKUlT_T0_E_clISt17integral_constantIbLb1EES1O_IbLb0EEEEDaS1K_S1L_EUlS1K_E_NS1_11comp_targetILNS1_3genE5ELNS1_11target_archE942ELNS1_3gpuE9ELNS1_3repE0EEENS1_30default_config_static_selectorELNS0_4arch9wavefront6targetE1EEEvSY_
                                        ; -- End function
	.set _ZN7rocprim17ROCPRIM_400000_NS6detail17trampoline_kernelINS0_13select_configILj256ELj13ELNS0_17block_load_methodE3ELS4_3ELS4_3ELNS0_20block_scan_algorithmE0ELj4294967295EEENS1_25partition_config_selectorILNS1_17partition_subalgoE3EjNS0_10empty_typeEbEEZZNS1_14partition_implILS8_3ELb0ES6_jNS0_17counting_iteratorIjlEEPS9_SE_NS0_5tupleIJPjSE_EEENSF_IJSE_SE_EEES9_SG_JZNS1_25segmented_radix_sort_implINS0_14default_configELb0EPKiPiPKlPlN2at6native12_GLOBAL__N_18offset_tEEE10hipError_tPvRmT1_PNSt15iterator_traitsISY_E10value_typeET2_T3_PNSZ_IS14_E10value_typeET4_jRbjT5_S1A_jjP12ihipStream_tbEUljE_EEESV_SW_SX_S14_S18_S1A_T6_T7_T9_mT8_S1C_bDpT10_ENKUlT_T0_E_clISt17integral_constantIbLb1EES1O_IbLb0EEEEDaS1K_S1L_EUlS1K_E_NS1_11comp_targetILNS1_3genE5ELNS1_11target_archE942ELNS1_3gpuE9ELNS1_3repE0EEENS1_30default_config_static_selectorELNS0_4arch9wavefront6targetE1EEEvSY_.num_vgpr, 0
	.set _ZN7rocprim17ROCPRIM_400000_NS6detail17trampoline_kernelINS0_13select_configILj256ELj13ELNS0_17block_load_methodE3ELS4_3ELS4_3ELNS0_20block_scan_algorithmE0ELj4294967295EEENS1_25partition_config_selectorILNS1_17partition_subalgoE3EjNS0_10empty_typeEbEEZZNS1_14partition_implILS8_3ELb0ES6_jNS0_17counting_iteratorIjlEEPS9_SE_NS0_5tupleIJPjSE_EEENSF_IJSE_SE_EEES9_SG_JZNS1_25segmented_radix_sort_implINS0_14default_configELb0EPKiPiPKlPlN2at6native12_GLOBAL__N_18offset_tEEE10hipError_tPvRmT1_PNSt15iterator_traitsISY_E10value_typeET2_T3_PNSZ_IS14_E10value_typeET4_jRbjT5_S1A_jjP12ihipStream_tbEUljE_EEESV_SW_SX_S14_S18_S1A_T6_T7_T9_mT8_S1C_bDpT10_ENKUlT_T0_E_clISt17integral_constantIbLb1EES1O_IbLb0EEEEDaS1K_S1L_EUlS1K_E_NS1_11comp_targetILNS1_3genE5ELNS1_11target_archE942ELNS1_3gpuE9ELNS1_3repE0EEENS1_30default_config_static_selectorELNS0_4arch9wavefront6targetE1EEEvSY_.num_agpr, 0
	.set _ZN7rocprim17ROCPRIM_400000_NS6detail17trampoline_kernelINS0_13select_configILj256ELj13ELNS0_17block_load_methodE3ELS4_3ELS4_3ELNS0_20block_scan_algorithmE0ELj4294967295EEENS1_25partition_config_selectorILNS1_17partition_subalgoE3EjNS0_10empty_typeEbEEZZNS1_14partition_implILS8_3ELb0ES6_jNS0_17counting_iteratorIjlEEPS9_SE_NS0_5tupleIJPjSE_EEENSF_IJSE_SE_EEES9_SG_JZNS1_25segmented_radix_sort_implINS0_14default_configELb0EPKiPiPKlPlN2at6native12_GLOBAL__N_18offset_tEEE10hipError_tPvRmT1_PNSt15iterator_traitsISY_E10value_typeET2_T3_PNSZ_IS14_E10value_typeET4_jRbjT5_S1A_jjP12ihipStream_tbEUljE_EEESV_SW_SX_S14_S18_S1A_T6_T7_T9_mT8_S1C_bDpT10_ENKUlT_T0_E_clISt17integral_constantIbLb1EES1O_IbLb0EEEEDaS1K_S1L_EUlS1K_E_NS1_11comp_targetILNS1_3genE5ELNS1_11target_archE942ELNS1_3gpuE9ELNS1_3repE0EEENS1_30default_config_static_selectorELNS0_4arch9wavefront6targetE1EEEvSY_.numbered_sgpr, 0
	.set _ZN7rocprim17ROCPRIM_400000_NS6detail17trampoline_kernelINS0_13select_configILj256ELj13ELNS0_17block_load_methodE3ELS4_3ELS4_3ELNS0_20block_scan_algorithmE0ELj4294967295EEENS1_25partition_config_selectorILNS1_17partition_subalgoE3EjNS0_10empty_typeEbEEZZNS1_14partition_implILS8_3ELb0ES6_jNS0_17counting_iteratorIjlEEPS9_SE_NS0_5tupleIJPjSE_EEENSF_IJSE_SE_EEES9_SG_JZNS1_25segmented_radix_sort_implINS0_14default_configELb0EPKiPiPKlPlN2at6native12_GLOBAL__N_18offset_tEEE10hipError_tPvRmT1_PNSt15iterator_traitsISY_E10value_typeET2_T3_PNSZ_IS14_E10value_typeET4_jRbjT5_S1A_jjP12ihipStream_tbEUljE_EEESV_SW_SX_S14_S18_S1A_T6_T7_T9_mT8_S1C_bDpT10_ENKUlT_T0_E_clISt17integral_constantIbLb1EES1O_IbLb0EEEEDaS1K_S1L_EUlS1K_E_NS1_11comp_targetILNS1_3genE5ELNS1_11target_archE942ELNS1_3gpuE9ELNS1_3repE0EEENS1_30default_config_static_selectorELNS0_4arch9wavefront6targetE1EEEvSY_.num_named_barrier, 0
	.set _ZN7rocprim17ROCPRIM_400000_NS6detail17trampoline_kernelINS0_13select_configILj256ELj13ELNS0_17block_load_methodE3ELS4_3ELS4_3ELNS0_20block_scan_algorithmE0ELj4294967295EEENS1_25partition_config_selectorILNS1_17partition_subalgoE3EjNS0_10empty_typeEbEEZZNS1_14partition_implILS8_3ELb0ES6_jNS0_17counting_iteratorIjlEEPS9_SE_NS0_5tupleIJPjSE_EEENSF_IJSE_SE_EEES9_SG_JZNS1_25segmented_radix_sort_implINS0_14default_configELb0EPKiPiPKlPlN2at6native12_GLOBAL__N_18offset_tEEE10hipError_tPvRmT1_PNSt15iterator_traitsISY_E10value_typeET2_T3_PNSZ_IS14_E10value_typeET4_jRbjT5_S1A_jjP12ihipStream_tbEUljE_EEESV_SW_SX_S14_S18_S1A_T6_T7_T9_mT8_S1C_bDpT10_ENKUlT_T0_E_clISt17integral_constantIbLb1EES1O_IbLb0EEEEDaS1K_S1L_EUlS1K_E_NS1_11comp_targetILNS1_3genE5ELNS1_11target_archE942ELNS1_3gpuE9ELNS1_3repE0EEENS1_30default_config_static_selectorELNS0_4arch9wavefront6targetE1EEEvSY_.private_seg_size, 0
	.set _ZN7rocprim17ROCPRIM_400000_NS6detail17trampoline_kernelINS0_13select_configILj256ELj13ELNS0_17block_load_methodE3ELS4_3ELS4_3ELNS0_20block_scan_algorithmE0ELj4294967295EEENS1_25partition_config_selectorILNS1_17partition_subalgoE3EjNS0_10empty_typeEbEEZZNS1_14partition_implILS8_3ELb0ES6_jNS0_17counting_iteratorIjlEEPS9_SE_NS0_5tupleIJPjSE_EEENSF_IJSE_SE_EEES9_SG_JZNS1_25segmented_radix_sort_implINS0_14default_configELb0EPKiPiPKlPlN2at6native12_GLOBAL__N_18offset_tEEE10hipError_tPvRmT1_PNSt15iterator_traitsISY_E10value_typeET2_T3_PNSZ_IS14_E10value_typeET4_jRbjT5_S1A_jjP12ihipStream_tbEUljE_EEESV_SW_SX_S14_S18_S1A_T6_T7_T9_mT8_S1C_bDpT10_ENKUlT_T0_E_clISt17integral_constantIbLb1EES1O_IbLb0EEEEDaS1K_S1L_EUlS1K_E_NS1_11comp_targetILNS1_3genE5ELNS1_11target_archE942ELNS1_3gpuE9ELNS1_3repE0EEENS1_30default_config_static_selectorELNS0_4arch9wavefront6targetE1EEEvSY_.uses_vcc, 0
	.set _ZN7rocprim17ROCPRIM_400000_NS6detail17trampoline_kernelINS0_13select_configILj256ELj13ELNS0_17block_load_methodE3ELS4_3ELS4_3ELNS0_20block_scan_algorithmE0ELj4294967295EEENS1_25partition_config_selectorILNS1_17partition_subalgoE3EjNS0_10empty_typeEbEEZZNS1_14partition_implILS8_3ELb0ES6_jNS0_17counting_iteratorIjlEEPS9_SE_NS0_5tupleIJPjSE_EEENSF_IJSE_SE_EEES9_SG_JZNS1_25segmented_radix_sort_implINS0_14default_configELb0EPKiPiPKlPlN2at6native12_GLOBAL__N_18offset_tEEE10hipError_tPvRmT1_PNSt15iterator_traitsISY_E10value_typeET2_T3_PNSZ_IS14_E10value_typeET4_jRbjT5_S1A_jjP12ihipStream_tbEUljE_EEESV_SW_SX_S14_S18_S1A_T6_T7_T9_mT8_S1C_bDpT10_ENKUlT_T0_E_clISt17integral_constantIbLb1EES1O_IbLb0EEEEDaS1K_S1L_EUlS1K_E_NS1_11comp_targetILNS1_3genE5ELNS1_11target_archE942ELNS1_3gpuE9ELNS1_3repE0EEENS1_30default_config_static_selectorELNS0_4arch9wavefront6targetE1EEEvSY_.uses_flat_scratch, 0
	.set _ZN7rocprim17ROCPRIM_400000_NS6detail17trampoline_kernelINS0_13select_configILj256ELj13ELNS0_17block_load_methodE3ELS4_3ELS4_3ELNS0_20block_scan_algorithmE0ELj4294967295EEENS1_25partition_config_selectorILNS1_17partition_subalgoE3EjNS0_10empty_typeEbEEZZNS1_14partition_implILS8_3ELb0ES6_jNS0_17counting_iteratorIjlEEPS9_SE_NS0_5tupleIJPjSE_EEENSF_IJSE_SE_EEES9_SG_JZNS1_25segmented_radix_sort_implINS0_14default_configELb0EPKiPiPKlPlN2at6native12_GLOBAL__N_18offset_tEEE10hipError_tPvRmT1_PNSt15iterator_traitsISY_E10value_typeET2_T3_PNSZ_IS14_E10value_typeET4_jRbjT5_S1A_jjP12ihipStream_tbEUljE_EEESV_SW_SX_S14_S18_S1A_T6_T7_T9_mT8_S1C_bDpT10_ENKUlT_T0_E_clISt17integral_constantIbLb1EES1O_IbLb0EEEEDaS1K_S1L_EUlS1K_E_NS1_11comp_targetILNS1_3genE5ELNS1_11target_archE942ELNS1_3gpuE9ELNS1_3repE0EEENS1_30default_config_static_selectorELNS0_4arch9wavefront6targetE1EEEvSY_.has_dyn_sized_stack, 0
	.set _ZN7rocprim17ROCPRIM_400000_NS6detail17trampoline_kernelINS0_13select_configILj256ELj13ELNS0_17block_load_methodE3ELS4_3ELS4_3ELNS0_20block_scan_algorithmE0ELj4294967295EEENS1_25partition_config_selectorILNS1_17partition_subalgoE3EjNS0_10empty_typeEbEEZZNS1_14partition_implILS8_3ELb0ES6_jNS0_17counting_iteratorIjlEEPS9_SE_NS0_5tupleIJPjSE_EEENSF_IJSE_SE_EEES9_SG_JZNS1_25segmented_radix_sort_implINS0_14default_configELb0EPKiPiPKlPlN2at6native12_GLOBAL__N_18offset_tEEE10hipError_tPvRmT1_PNSt15iterator_traitsISY_E10value_typeET2_T3_PNSZ_IS14_E10value_typeET4_jRbjT5_S1A_jjP12ihipStream_tbEUljE_EEESV_SW_SX_S14_S18_S1A_T6_T7_T9_mT8_S1C_bDpT10_ENKUlT_T0_E_clISt17integral_constantIbLb1EES1O_IbLb0EEEEDaS1K_S1L_EUlS1K_E_NS1_11comp_targetILNS1_3genE5ELNS1_11target_archE942ELNS1_3gpuE9ELNS1_3repE0EEENS1_30default_config_static_selectorELNS0_4arch9wavefront6targetE1EEEvSY_.has_recursion, 0
	.set _ZN7rocprim17ROCPRIM_400000_NS6detail17trampoline_kernelINS0_13select_configILj256ELj13ELNS0_17block_load_methodE3ELS4_3ELS4_3ELNS0_20block_scan_algorithmE0ELj4294967295EEENS1_25partition_config_selectorILNS1_17partition_subalgoE3EjNS0_10empty_typeEbEEZZNS1_14partition_implILS8_3ELb0ES6_jNS0_17counting_iteratorIjlEEPS9_SE_NS0_5tupleIJPjSE_EEENSF_IJSE_SE_EEES9_SG_JZNS1_25segmented_radix_sort_implINS0_14default_configELb0EPKiPiPKlPlN2at6native12_GLOBAL__N_18offset_tEEE10hipError_tPvRmT1_PNSt15iterator_traitsISY_E10value_typeET2_T3_PNSZ_IS14_E10value_typeET4_jRbjT5_S1A_jjP12ihipStream_tbEUljE_EEESV_SW_SX_S14_S18_S1A_T6_T7_T9_mT8_S1C_bDpT10_ENKUlT_T0_E_clISt17integral_constantIbLb1EES1O_IbLb0EEEEDaS1K_S1L_EUlS1K_E_NS1_11comp_targetILNS1_3genE5ELNS1_11target_archE942ELNS1_3gpuE9ELNS1_3repE0EEENS1_30default_config_static_selectorELNS0_4arch9wavefront6targetE1EEEvSY_.has_indirect_call, 0
	.section	.AMDGPU.csdata,"",@progbits
; Kernel info:
; codeLenInByte = 0
; TotalNumSgprs: 4
; NumVgprs: 0
; ScratchSize: 0
; MemoryBound: 0
; FloatMode: 240
; IeeeMode: 1
; LDSByteSize: 0 bytes/workgroup (compile time only)
; SGPRBlocks: 0
; VGPRBlocks: 0
; NumSGPRsForWavesPerEU: 4
; NumVGPRsForWavesPerEU: 1
; Occupancy: 10
; WaveLimiterHint : 0
; COMPUTE_PGM_RSRC2:SCRATCH_EN: 0
; COMPUTE_PGM_RSRC2:USER_SGPR: 6
; COMPUTE_PGM_RSRC2:TRAP_HANDLER: 0
; COMPUTE_PGM_RSRC2:TGID_X_EN: 1
; COMPUTE_PGM_RSRC2:TGID_Y_EN: 0
; COMPUTE_PGM_RSRC2:TGID_Z_EN: 0
; COMPUTE_PGM_RSRC2:TIDIG_COMP_CNT: 0
	.section	.text._ZN7rocprim17ROCPRIM_400000_NS6detail17trampoline_kernelINS0_13select_configILj256ELj13ELNS0_17block_load_methodE3ELS4_3ELS4_3ELNS0_20block_scan_algorithmE0ELj4294967295EEENS1_25partition_config_selectorILNS1_17partition_subalgoE3EjNS0_10empty_typeEbEEZZNS1_14partition_implILS8_3ELb0ES6_jNS0_17counting_iteratorIjlEEPS9_SE_NS0_5tupleIJPjSE_EEENSF_IJSE_SE_EEES9_SG_JZNS1_25segmented_radix_sort_implINS0_14default_configELb0EPKiPiPKlPlN2at6native12_GLOBAL__N_18offset_tEEE10hipError_tPvRmT1_PNSt15iterator_traitsISY_E10value_typeET2_T3_PNSZ_IS14_E10value_typeET4_jRbjT5_S1A_jjP12ihipStream_tbEUljE_EEESV_SW_SX_S14_S18_S1A_T6_T7_T9_mT8_S1C_bDpT10_ENKUlT_T0_E_clISt17integral_constantIbLb1EES1O_IbLb0EEEEDaS1K_S1L_EUlS1K_E_NS1_11comp_targetILNS1_3genE4ELNS1_11target_archE910ELNS1_3gpuE8ELNS1_3repE0EEENS1_30default_config_static_selectorELNS0_4arch9wavefront6targetE1EEEvSY_,"axG",@progbits,_ZN7rocprim17ROCPRIM_400000_NS6detail17trampoline_kernelINS0_13select_configILj256ELj13ELNS0_17block_load_methodE3ELS4_3ELS4_3ELNS0_20block_scan_algorithmE0ELj4294967295EEENS1_25partition_config_selectorILNS1_17partition_subalgoE3EjNS0_10empty_typeEbEEZZNS1_14partition_implILS8_3ELb0ES6_jNS0_17counting_iteratorIjlEEPS9_SE_NS0_5tupleIJPjSE_EEENSF_IJSE_SE_EEES9_SG_JZNS1_25segmented_radix_sort_implINS0_14default_configELb0EPKiPiPKlPlN2at6native12_GLOBAL__N_18offset_tEEE10hipError_tPvRmT1_PNSt15iterator_traitsISY_E10value_typeET2_T3_PNSZ_IS14_E10value_typeET4_jRbjT5_S1A_jjP12ihipStream_tbEUljE_EEESV_SW_SX_S14_S18_S1A_T6_T7_T9_mT8_S1C_bDpT10_ENKUlT_T0_E_clISt17integral_constantIbLb1EES1O_IbLb0EEEEDaS1K_S1L_EUlS1K_E_NS1_11comp_targetILNS1_3genE4ELNS1_11target_archE910ELNS1_3gpuE8ELNS1_3repE0EEENS1_30default_config_static_selectorELNS0_4arch9wavefront6targetE1EEEvSY_,comdat
	.globl	_ZN7rocprim17ROCPRIM_400000_NS6detail17trampoline_kernelINS0_13select_configILj256ELj13ELNS0_17block_load_methodE3ELS4_3ELS4_3ELNS0_20block_scan_algorithmE0ELj4294967295EEENS1_25partition_config_selectorILNS1_17partition_subalgoE3EjNS0_10empty_typeEbEEZZNS1_14partition_implILS8_3ELb0ES6_jNS0_17counting_iteratorIjlEEPS9_SE_NS0_5tupleIJPjSE_EEENSF_IJSE_SE_EEES9_SG_JZNS1_25segmented_radix_sort_implINS0_14default_configELb0EPKiPiPKlPlN2at6native12_GLOBAL__N_18offset_tEEE10hipError_tPvRmT1_PNSt15iterator_traitsISY_E10value_typeET2_T3_PNSZ_IS14_E10value_typeET4_jRbjT5_S1A_jjP12ihipStream_tbEUljE_EEESV_SW_SX_S14_S18_S1A_T6_T7_T9_mT8_S1C_bDpT10_ENKUlT_T0_E_clISt17integral_constantIbLb1EES1O_IbLb0EEEEDaS1K_S1L_EUlS1K_E_NS1_11comp_targetILNS1_3genE4ELNS1_11target_archE910ELNS1_3gpuE8ELNS1_3repE0EEENS1_30default_config_static_selectorELNS0_4arch9wavefront6targetE1EEEvSY_ ; -- Begin function _ZN7rocprim17ROCPRIM_400000_NS6detail17trampoline_kernelINS0_13select_configILj256ELj13ELNS0_17block_load_methodE3ELS4_3ELS4_3ELNS0_20block_scan_algorithmE0ELj4294967295EEENS1_25partition_config_selectorILNS1_17partition_subalgoE3EjNS0_10empty_typeEbEEZZNS1_14partition_implILS8_3ELb0ES6_jNS0_17counting_iteratorIjlEEPS9_SE_NS0_5tupleIJPjSE_EEENSF_IJSE_SE_EEES9_SG_JZNS1_25segmented_radix_sort_implINS0_14default_configELb0EPKiPiPKlPlN2at6native12_GLOBAL__N_18offset_tEEE10hipError_tPvRmT1_PNSt15iterator_traitsISY_E10value_typeET2_T3_PNSZ_IS14_E10value_typeET4_jRbjT5_S1A_jjP12ihipStream_tbEUljE_EEESV_SW_SX_S14_S18_S1A_T6_T7_T9_mT8_S1C_bDpT10_ENKUlT_T0_E_clISt17integral_constantIbLb1EES1O_IbLb0EEEEDaS1K_S1L_EUlS1K_E_NS1_11comp_targetILNS1_3genE4ELNS1_11target_archE910ELNS1_3gpuE8ELNS1_3repE0EEENS1_30default_config_static_selectorELNS0_4arch9wavefront6targetE1EEEvSY_
	.p2align	8
	.type	_ZN7rocprim17ROCPRIM_400000_NS6detail17trampoline_kernelINS0_13select_configILj256ELj13ELNS0_17block_load_methodE3ELS4_3ELS4_3ELNS0_20block_scan_algorithmE0ELj4294967295EEENS1_25partition_config_selectorILNS1_17partition_subalgoE3EjNS0_10empty_typeEbEEZZNS1_14partition_implILS8_3ELb0ES6_jNS0_17counting_iteratorIjlEEPS9_SE_NS0_5tupleIJPjSE_EEENSF_IJSE_SE_EEES9_SG_JZNS1_25segmented_radix_sort_implINS0_14default_configELb0EPKiPiPKlPlN2at6native12_GLOBAL__N_18offset_tEEE10hipError_tPvRmT1_PNSt15iterator_traitsISY_E10value_typeET2_T3_PNSZ_IS14_E10value_typeET4_jRbjT5_S1A_jjP12ihipStream_tbEUljE_EEESV_SW_SX_S14_S18_S1A_T6_T7_T9_mT8_S1C_bDpT10_ENKUlT_T0_E_clISt17integral_constantIbLb1EES1O_IbLb0EEEEDaS1K_S1L_EUlS1K_E_NS1_11comp_targetILNS1_3genE4ELNS1_11target_archE910ELNS1_3gpuE8ELNS1_3repE0EEENS1_30default_config_static_selectorELNS0_4arch9wavefront6targetE1EEEvSY_,@function
_ZN7rocprim17ROCPRIM_400000_NS6detail17trampoline_kernelINS0_13select_configILj256ELj13ELNS0_17block_load_methodE3ELS4_3ELS4_3ELNS0_20block_scan_algorithmE0ELj4294967295EEENS1_25partition_config_selectorILNS1_17partition_subalgoE3EjNS0_10empty_typeEbEEZZNS1_14partition_implILS8_3ELb0ES6_jNS0_17counting_iteratorIjlEEPS9_SE_NS0_5tupleIJPjSE_EEENSF_IJSE_SE_EEES9_SG_JZNS1_25segmented_radix_sort_implINS0_14default_configELb0EPKiPiPKlPlN2at6native12_GLOBAL__N_18offset_tEEE10hipError_tPvRmT1_PNSt15iterator_traitsISY_E10value_typeET2_T3_PNSZ_IS14_E10value_typeET4_jRbjT5_S1A_jjP12ihipStream_tbEUljE_EEESV_SW_SX_S14_S18_S1A_T6_T7_T9_mT8_S1C_bDpT10_ENKUlT_T0_E_clISt17integral_constantIbLb1EES1O_IbLb0EEEEDaS1K_S1L_EUlS1K_E_NS1_11comp_targetILNS1_3genE4ELNS1_11target_archE910ELNS1_3gpuE8ELNS1_3repE0EEENS1_30default_config_static_selectorELNS0_4arch9wavefront6targetE1EEEvSY_: ; @_ZN7rocprim17ROCPRIM_400000_NS6detail17trampoline_kernelINS0_13select_configILj256ELj13ELNS0_17block_load_methodE3ELS4_3ELS4_3ELNS0_20block_scan_algorithmE0ELj4294967295EEENS1_25partition_config_selectorILNS1_17partition_subalgoE3EjNS0_10empty_typeEbEEZZNS1_14partition_implILS8_3ELb0ES6_jNS0_17counting_iteratorIjlEEPS9_SE_NS0_5tupleIJPjSE_EEENSF_IJSE_SE_EEES9_SG_JZNS1_25segmented_radix_sort_implINS0_14default_configELb0EPKiPiPKlPlN2at6native12_GLOBAL__N_18offset_tEEE10hipError_tPvRmT1_PNSt15iterator_traitsISY_E10value_typeET2_T3_PNSZ_IS14_E10value_typeET4_jRbjT5_S1A_jjP12ihipStream_tbEUljE_EEESV_SW_SX_S14_S18_S1A_T6_T7_T9_mT8_S1C_bDpT10_ENKUlT_T0_E_clISt17integral_constantIbLb1EES1O_IbLb0EEEEDaS1K_S1L_EUlS1K_E_NS1_11comp_targetILNS1_3genE4ELNS1_11target_archE910ELNS1_3gpuE8ELNS1_3repE0EEENS1_30default_config_static_selectorELNS0_4arch9wavefront6targetE1EEEvSY_
; %bb.0:
	.section	.rodata,"a",@progbits
	.p2align	6, 0x0
	.amdhsa_kernel _ZN7rocprim17ROCPRIM_400000_NS6detail17trampoline_kernelINS0_13select_configILj256ELj13ELNS0_17block_load_methodE3ELS4_3ELS4_3ELNS0_20block_scan_algorithmE0ELj4294967295EEENS1_25partition_config_selectorILNS1_17partition_subalgoE3EjNS0_10empty_typeEbEEZZNS1_14partition_implILS8_3ELb0ES6_jNS0_17counting_iteratorIjlEEPS9_SE_NS0_5tupleIJPjSE_EEENSF_IJSE_SE_EEES9_SG_JZNS1_25segmented_radix_sort_implINS0_14default_configELb0EPKiPiPKlPlN2at6native12_GLOBAL__N_18offset_tEEE10hipError_tPvRmT1_PNSt15iterator_traitsISY_E10value_typeET2_T3_PNSZ_IS14_E10value_typeET4_jRbjT5_S1A_jjP12ihipStream_tbEUljE_EEESV_SW_SX_S14_S18_S1A_T6_T7_T9_mT8_S1C_bDpT10_ENKUlT_T0_E_clISt17integral_constantIbLb1EES1O_IbLb0EEEEDaS1K_S1L_EUlS1K_E_NS1_11comp_targetILNS1_3genE4ELNS1_11target_archE910ELNS1_3gpuE8ELNS1_3repE0EEENS1_30default_config_static_selectorELNS0_4arch9wavefront6targetE1EEEvSY_
		.amdhsa_group_segment_fixed_size 0
		.amdhsa_private_segment_fixed_size 0
		.amdhsa_kernarg_size 144
		.amdhsa_user_sgpr_count 6
		.amdhsa_user_sgpr_private_segment_buffer 1
		.amdhsa_user_sgpr_dispatch_ptr 0
		.amdhsa_user_sgpr_queue_ptr 0
		.amdhsa_user_sgpr_kernarg_segment_ptr 1
		.amdhsa_user_sgpr_dispatch_id 0
		.amdhsa_user_sgpr_flat_scratch_init 0
		.amdhsa_user_sgpr_private_segment_size 0
		.amdhsa_uses_dynamic_stack 0
		.amdhsa_system_sgpr_private_segment_wavefront_offset 0
		.amdhsa_system_sgpr_workgroup_id_x 1
		.amdhsa_system_sgpr_workgroup_id_y 0
		.amdhsa_system_sgpr_workgroup_id_z 0
		.amdhsa_system_sgpr_workgroup_info 0
		.amdhsa_system_vgpr_workitem_id 0
		.amdhsa_next_free_vgpr 1
		.amdhsa_next_free_sgpr 0
		.amdhsa_reserve_vcc 0
		.amdhsa_reserve_flat_scratch 0
		.amdhsa_float_round_mode_32 0
		.amdhsa_float_round_mode_16_64 0
		.amdhsa_float_denorm_mode_32 3
		.amdhsa_float_denorm_mode_16_64 3
		.amdhsa_dx10_clamp 1
		.amdhsa_ieee_mode 1
		.amdhsa_fp16_overflow 0
		.amdhsa_exception_fp_ieee_invalid_op 0
		.amdhsa_exception_fp_denorm_src 0
		.amdhsa_exception_fp_ieee_div_zero 0
		.amdhsa_exception_fp_ieee_overflow 0
		.amdhsa_exception_fp_ieee_underflow 0
		.amdhsa_exception_fp_ieee_inexact 0
		.amdhsa_exception_int_div_zero 0
	.end_amdhsa_kernel
	.section	.text._ZN7rocprim17ROCPRIM_400000_NS6detail17trampoline_kernelINS0_13select_configILj256ELj13ELNS0_17block_load_methodE3ELS4_3ELS4_3ELNS0_20block_scan_algorithmE0ELj4294967295EEENS1_25partition_config_selectorILNS1_17partition_subalgoE3EjNS0_10empty_typeEbEEZZNS1_14partition_implILS8_3ELb0ES6_jNS0_17counting_iteratorIjlEEPS9_SE_NS0_5tupleIJPjSE_EEENSF_IJSE_SE_EEES9_SG_JZNS1_25segmented_radix_sort_implINS0_14default_configELb0EPKiPiPKlPlN2at6native12_GLOBAL__N_18offset_tEEE10hipError_tPvRmT1_PNSt15iterator_traitsISY_E10value_typeET2_T3_PNSZ_IS14_E10value_typeET4_jRbjT5_S1A_jjP12ihipStream_tbEUljE_EEESV_SW_SX_S14_S18_S1A_T6_T7_T9_mT8_S1C_bDpT10_ENKUlT_T0_E_clISt17integral_constantIbLb1EES1O_IbLb0EEEEDaS1K_S1L_EUlS1K_E_NS1_11comp_targetILNS1_3genE4ELNS1_11target_archE910ELNS1_3gpuE8ELNS1_3repE0EEENS1_30default_config_static_selectorELNS0_4arch9wavefront6targetE1EEEvSY_,"axG",@progbits,_ZN7rocprim17ROCPRIM_400000_NS6detail17trampoline_kernelINS0_13select_configILj256ELj13ELNS0_17block_load_methodE3ELS4_3ELS4_3ELNS0_20block_scan_algorithmE0ELj4294967295EEENS1_25partition_config_selectorILNS1_17partition_subalgoE3EjNS0_10empty_typeEbEEZZNS1_14partition_implILS8_3ELb0ES6_jNS0_17counting_iteratorIjlEEPS9_SE_NS0_5tupleIJPjSE_EEENSF_IJSE_SE_EEES9_SG_JZNS1_25segmented_radix_sort_implINS0_14default_configELb0EPKiPiPKlPlN2at6native12_GLOBAL__N_18offset_tEEE10hipError_tPvRmT1_PNSt15iterator_traitsISY_E10value_typeET2_T3_PNSZ_IS14_E10value_typeET4_jRbjT5_S1A_jjP12ihipStream_tbEUljE_EEESV_SW_SX_S14_S18_S1A_T6_T7_T9_mT8_S1C_bDpT10_ENKUlT_T0_E_clISt17integral_constantIbLb1EES1O_IbLb0EEEEDaS1K_S1L_EUlS1K_E_NS1_11comp_targetILNS1_3genE4ELNS1_11target_archE910ELNS1_3gpuE8ELNS1_3repE0EEENS1_30default_config_static_selectorELNS0_4arch9wavefront6targetE1EEEvSY_,comdat
.Lfunc_end586:
	.size	_ZN7rocprim17ROCPRIM_400000_NS6detail17trampoline_kernelINS0_13select_configILj256ELj13ELNS0_17block_load_methodE3ELS4_3ELS4_3ELNS0_20block_scan_algorithmE0ELj4294967295EEENS1_25partition_config_selectorILNS1_17partition_subalgoE3EjNS0_10empty_typeEbEEZZNS1_14partition_implILS8_3ELb0ES6_jNS0_17counting_iteratorIjlEEPS9_SE_NS0_5tupleIJPjSE_EEENSF_IJSE_SE_EEES9_SG_JZNS1_25segmented_radix_sort_implINS0_14default_configELb0EPKiPiPKlPlN2at6native12_GLOBAL__N_18offset_tEEE10hipError_tPvRmT1_PNSt15iterator_traitsISY_E10value_typeET2_T3_PNSZ_IS14_E10value_typeET4_jRbjT5_S1A_jjP12ihipStream_tbEUljE_EEESV_SW_SX_S14_S18_S1A_T6_T7_T9_mT8_S1C_bDpT10_ENKUlT_T0_E_clISt17integral_constantIbLb1EES1O_IbLb0EEEEDaS1K_S1L_EUlS1K_E_NS1_11comp_targetILNS1_3genE4ELNS1_11target_archE910ELNS1_3gpuE8ELNS1_3repE0EEENS1_30default_config_static_selectorELNS0_4arch9wavefront6targetE1EEEvSY_, .Lfunc_end586-_ZN7rocprim17ROCPRIM_400000_NS6detail17trampoline_kernelINS0_13select_configILj256ELj13ELNS0_17block_load_methodE3ELS4_3ELS4_3ELNS0_20block_scan_algorithmE0ELj4294967295EEENS1_25partition_config_selectorILNS1_17partition_subalgoE3EjNS0_10empty_typeEbEEZZNS1_14partition_implILS8_3ELb0ES6_jNS0_17counting_iteratorIjlEEPS9_SE_NS0_5tupleIJPjSE_EEENSF_IJSE_SE_EEES9_SG_JZNS1_25segmented_radix_sort_implINS0_14default_configELb0EPKiPiPKlPlN2at6native12_GLOBAL__N_18offset_tEEE10hipError_tPvRmT1_PNSt15iterator_traitsISY_E10value_typeET2_T3_PNSZ_IS14_E10value_typeET4_jRbjT5_S1A_jjP12ihipStream_tbEUljE_EEESV_SW_SX_S14_S18_S1A_T6_T7_T9_mT8_S1C_bDpT10_ENKUlT_T0_E_clISt17integral_constantIbLb1EES1O_IbLb0EEEEDaS1K_S1L_EUlS1K_E_NS1_11comp_targetILNS1_3genE4ELNS1_11target_archE910ELNS1_3gpuE8ELNS1_3repE0EEENS1_30default_config_static_selectorELNS0_4arch9wavefront6targetE1EEEvSY_
                                        ; -- End function
	.set _ZN7rocprim17ROCPRIM_400000_NS6detail17trampoline_kernelINS0_13select_configILj256ELj13ELNS0_17block_load_methodE3ELS4_3ELS4_3ELNS0_20block_scan_algorithmE0ELj4294967295EEENS1_25partition_config_selectorILNS1_17partition_subalgoE3EjNS0_10empty_typeEbEEZZNS1_14partition_implILS8_3ELb0ES6_jNS0_17counting_iteratorIjlEEPS9_SE_NS0_5tupleIJPjSE_EEENSF_IJSE_SE_EEES9_SG_JZNS1_25segmented_radix_sort_implINS0_14default_configELb0EPKiPiPKlPlN2at6native12_GLOBAL__N_18offset_tEEE10hipError_tPvRmT1_PNSt15iterator_traitsISY_E10value_typeET2_T3_PNSZ_IS14_E10value_typeET4_jRbjT5_S1A_jjP12ihipStream_tbEUljE_EEESV_SW_SX_S14_S18_S1A_T6_T7_T9_mT8_S1C_bDpT10_ENKUlT_T0_E_clISt17integral_constantIbLb1EES1O_IbLb0EEEEDaS1K_S1L_EUlS1K_E_NS1_11comp_targetILNS1_3genE4ELNS1_11target_archE910ELNS1_3gpuE8ELNS1_3repE0EEENS1_30default_config_static_selectorELNS0_4arch9wavefront6targetE1EEEvSY_.num_vgpr, 0
	.set _ZN7rocprim17ROCPRIM_400000_NS6detail17trampoline_kernelINS0_13select_configILj256ELj13ELNS0_17block_load_methodE3ELS4_3ELS4_3ELNS0_20block_scan_algorithmE0ELj4294967295EEENS1_25partition_config_selectorILNS1_17partition_subalgoE3EjNS0_10empty_typeEbEEZZNS1_14partition_implILS8_3ELb0ES6_jNS0_17counting_iteratorIjlEEPS9_SE_NS0_5tupleIJPjSE_EEENSF_IJSE_SE_EEES9_SG_JZNS1_25segmented_radix_sort_implINS0_14default_configELb0EPKiPiPKlPlN2at6native12_GLOBAL__N_18offset_tEEE10hipError_tPvRmT1_PNSt15iterator_traitsISY_E10value_typeET2_T3_PNSZ_IS14_E10value_typeET4_jRbjT5_S1A_jjP12ihipStream_tbEUljE_EEESV_SW_SX_S14_S18_S1A_T6_T7_T9_mT8_S1C_bDpT10_ENKUlT_T0_E_clISt17integral_constantIbLb1EES1O_IbLb0EEEEDaS1K_S1L_EUlS1K_E_NS1_11comp_targetILNS1_3genE4ELNS1_11target_archE910ELNS1_3gpuE8ELNS1_3repE0EEENS1_30default_config_static_selectorELNS0_4arch9wavefront6targetE1EEEvSY_.num_agpr, 0
	.set _ZN7rocprim17ROCPRIM_400000_NS6detail17trampoline_kernelINS0_13select_configILj256ELj13ELNS0_17block_load_methodE3ELS4_3ELS4_3ELNS0_20block_scan_algorithmE0ELj4294967295EEENS1_25partition_config_selectorILNS1_17partition_subalgoE3EjNS0_10empty_typeEbEEZZNS1_14partition_implILS8_3ELb0ES6_jNS0_17counting_iteratorIjlEEPS9_SE_NS0_5tupleIJPjSE_EEENSF_IJSE_SE_EEES9_SG_JZNS1_25segmented_radix_sort_implINS0_14default_configELb0EPKiPiPKlPlN2at6native12_GLOBAL__N_18offset_tEEE10hipError_tPvRmT1_PNSt15iterator_traitsISY_E10value_typeET2_T3_PNSZ_IS14_E10value_typeET4_jRbjT5_S1A_jjP12ihipStream_tbEUljE_EEESV_SW_SX_S14_S18_S1A_T6_T7_T9_mT8_S1C_bDpT10_ENKUlT_T0_E_clISt17integral_constantIbLb1EES1O_IbLb0EEEEDaS1K_S1L_EUlS1K_E_NS1_11comp_targetILNS1_3genE4ELNS1_11target_archE910ELNS1_3gpuE8ELNS1_3repE0EEENS1_30default_config_static_selectorELNS0_4arch9wavefront6targetE1EEEvSY_.numbered_sgpr, 0
	.set _ZN7rocprim17ROCPRIM_400000_NS6detail17trampoline_kernelINS0_13select_configILj256ELj13ELNS0_17block_load_methodE3ELS4_3ELS4_3ELNS0_20block_scan_algorithmE0ELj4294967295EEENS1_25partition_config_selectorILNS1_17partition_subalgoE3EjNS0_10empty_typeEbEEZZNS1_14partition_implILS8_3ELb0ES6_jNS0_17counting_iteratorIjlEEPS9_SE_NS0_5tupleIJPjSE_EEENSF_IJSE_SE_EEES9_SG_JZNS1_25segmented_radix_sort_implINS0_14default_configELb0EPKiPiPKlPlN2at6native12_GLOBAL__N_18offset_tEEE10hipError_tPvRmT1_PNSt15iterator_traitsISY_E10value_typeET2_T3_PNSZ_IS14_E10value_typeET4_jRbjT5_S1A_jjP12ihipStream_tbEUljE_EEESV_SW_SX_S14_S18_S1A_T6_T7_T9_mT8_S1C_bDpT10_ENKUlT_T0_E_clISt17integral_constantIbLb1EES1O_IbLb0EEEEDaS1K_S1L_EUlS1K_E_NS1_11comp_targetILNS1_3genE4ELNS1_11target_archE910ELNS1_3gpuE8ELNS1_3repE0EEENS1_30default_config_static_selectorELNS0_4arch9wavefront6targetE1EEEvSY_.num_named_barrier, 0
	.set _ZN7rocprim17ROCPRIM_400000_NS6detail17trampoline_kernelINS0_13select_configILj256ELj13ELNS0_17block_load_methodE3ELS4_3ELS4_3ELNS0_20block_scan_algorithmE0ELj4294967295EEENS1_25partition_config_selectorILNS1_17partition_subalgoE3EjNS0_10empty_typeEbEEZZNS1_14partition_implILS8_3ELb0ES6_jNS0_17counting_iteratorIjlEEPS9_SE_NS0_5tupleIJPjSE_EEENSF_IJSE_SE_EEES9_SG_JZNS1_25segmented_radix_sort_implINS0_14default_configELb0EPKiPiPKlPlN2at6native12_GLOBAL__N_18offset_tEEE10hipError_tPvRmT1_PNSt15iterator_traitsISY_E10value_typeET2_T3_PNSZ_IS14_E10value_typeET4_jRbjT5_S1A_jjP12ihipStream_tbEUljE_EEESV_SW_SX_S14_S18_S1A_T6_T7_T9_mT8_S1C_bDpT10_ENKUlT_T0_E_clISt17integral_constantIbLb1EES1O_IbLb0EEEEDaS1K_S1L_EUlS1K_E_NS1_11comp_targetILNS1_3genE4ELNS1_11target_archE910ELNS1_3gpuE8ELNS1_3repE0EEENS1_30default_config_static_selectorELNS0_4arch9wavefront6targetE1EEEvSY_.private_seg_size, 0
	.set _ZN7rocprim17ROCPRIM_400000_NS6detail17trampoline_kernelINS0_13select_configILj256ELj13ELNS0_17block_load_methodE3ELS4_3ELS4_3ELNS0_20block_scan_algorithmE0ELj4294967295EEENS1_25partition_config_selectorILNS1_17partition_subalgoE3EjNS0_10empty_typeEbEEZZNS1_14partition_implILS8_3ELb0ES6_jNS0_17counting_iteratorIjlEEPS9_SE_NS0_5tupleIJPjSE_EEENSF_IJSE_SE_EEES9_SG_JZNS1_25segmented_radix_sort_implINS0_14default_configELb0EPKiPiPKlPlN2at6native12_GLOBAL__N_18offset_tEEE10hipError_tPvRmT1_PNSt15iterator_traitsISY_E10value_typeET2_T3_PNSZ_IS14_E10value_typeET4_jRbjT5_S1A_jjP12ihipStream_tbEUljE_EEESV_SW_SX_S14_S18_S1A_T6_T7_T9_mT8_S1C_bDpT10_ENKUlT_T0_E_clISt17integral_constantIbLb1EES1O_IbLb0EEEEDaS1K_S1L_EUlS1K_E_NS1_11comp_targetILNS1_3genE4ELNS1_11target_archE910ELNS1_3gpuE8ELNS1_3repE0EEENS1_30default_config_static_selectorELNS0_4arch9wavefront6targetE1EEEvSY_.uses_vcc, 0
	.set _ZN7rocprim17ROCPRIM_400000_NS6detail17trampoline_kernelINS0_13select_configILj256ELj13ELNS0_17block_load_methodE3ELS4_3ELS4_3ELNS0_20block_scan_algorithmE0ELj4294967295EEENS1_25partition_config_selectorILNS1_17partition_subalgoE3EjNS0_10empty_typeEbEEZZNS1_14partition_implILS8_3ELb0ES6_jNS0_17counting_iteratorIjlEEPS9_SE_NS0_5tupleIJPjSE_EEENSF_IJSE_SE_EEES9_SG_JZNS1_25segmented_radix_sort_implINS0_14default_configELb0EPKiPiPKlPlN2at6native12_GLOBAL__N_18offset_tEEE10hipError_tPvRmT1_PNSt15iterator_traitsISY_E10value_typeET2_T3_PNSZ_IS14_E10value_typeET4_jRbjT5_S1A_jjP12ihipStream_tbEUljE_EEESV_SW_SX_S14_S18_S1A_T6_T7_T9_mT8_S1C_bDpT10_ENKUlT_T0_E_clISt17integral_constantIbLb1EES1O_IbLb0EEEEDaS1K_S1L_EUlS1K_E_NS1_11comp_targetILNS1_3genE4ELNS1_11target_archE910ELNS1_3gpuE8ELNS1_3repE0EEENS1_30default_config_static_selectorELNS0_4arch9wavefront6targetE1EEEvSY_.uses_flat_scratch, 0
	.set _ZN7rocprim17ROCPRIM_400000_NS6detail17trampoline_kernelINS0_13select_configILj256ELj13ELNS0_17block_load_methodE3ELS4_3ELS4_3ELNS0_20block_scan_algorithmE0ELj4294967295EEENS1_25partition_config_selectorILNS1_17partition_subalgoE3EjNS0_10empty_typeEbEEZZNS1_14partition_implILS8_3ELb0ES6_jNS0_17counting_iteratorIjlEEPS9_SE_NS0_5tupleIJPjSE_EEENSF_IJSE_SE_EEES9_SG_JZNS1_25segmented_radix_sort_implINS0_14default_configELb0EPKiPiPKlPlN2at6native12_GLOBAL__N_18offset_tEEE10hipError_tPvRmT1_PNSt15iterator_traitsISY_E10value_typeET2_T3_PNSZ_IS14_E10value_typeET4_jRbjT5_S1A_jjP12ihipStream_tbEUljE_EEESV_SW_SX_S14_S18_S1A_T6_T7_T9_mT8_S1C_bDpT10_ENKUlT_T0_E_clISt17integral_constantIbLb1EES1O_IbLb0EEEEDaS1K_S1L_EUlS1K_E_NS1_11comp_targetILNS1_3genE4ELNS1_11target_archE910ELNS1_3gpuE8ELNS1_3repE0EEENS1_30default_config_static_selectorELNS0_4arch9wavefront6targetE1EEEvSY_.has_dyn_sized_stack, 0
	.set _ZN7rocprim17ROCPRIM_400000_NS6detail17trampoline_kernelINS0_13select_configILj256ELj13ELNS0_17block_load_methodE3ELS4_3ELS4_3ELNS0_20block_scan_algorithmE0ELj4294967295EEENS1_25partition_config_selectorILNS1_17partition_subalgoE3EjNS0_10empty_typeEbEEZZNS1_14partition_implILS8_3ELb0ES6_jNS0_17counting_iteratorIjlEEPS9_SE_NS0_5tupleIJPjSE_EEENSF_IJSE_SE_EEES9_SG_JZNS1_25segmented_radix_sort_implINS0_14default_configELb0EPKiPiPKlPlN2at6native12_GLOBAL__N_18offset_tEEE10hipError_tPvRmT1_PNSt15iterator_traitsISY_E10value_typeET2_T3_PNSZ_IS14_E10value_typeET4_jRbjT5_S1A_jjP12ihipStream_tbEUljE_EEESV_SW_SX_S14_S18_S1A_T6_T7_T9_mT8_S1C_bDpT10_ENKUlT_T0_E_clISt17integral_constantIbLb1EES1O_IbLb0EEEEDaS1K_S1L_EUlS1K_E_NS1_11comp_targetILNS1_3genE4ELNS1_11target_archE910ELNS1_3gpuE8ELNS1_3repE0EEENS1_30default_config_static_selectorELNS0_4arch9wavefront6targetE1EEEvSY_.has_recursion, 0
	.set _ZN7rocprim17ROCPRIM_400000_NS6detail17trampoline_kernelINS0_13select_configILj256ELj13ELNS0_17block_load_methodE3ELS4_3ELS4_3ELNS0_20block_scan_algorithmE0ELj4294967295EEENS1_25partition_config_selectorILNS1_17partition_subalgoE3EjNS0_10empty_typeEbEEZZNS1_14partition_implILS8_3ELb0ES6_jNS0_17counting_iteratorIjlEEPS9_SE_NS0_5tupleIJPjSE_EEENSF_IJSE_SE_EEES9_SG_JZNS1_25segmented_radix_sort_implINS0_14default_configELb0EPKiPiPKlPlN2at6native12_GLOBAL__N_18offset_tEEE10hipError_tPvRmT1_PNSt15iterator_traitsISY_E10value_typeET2_T3_PNSZ_IS14_E10value_typeET4_jRbjT5_S1A_jjP12ihipStream_tbEUljE_EEESV_SW_SX_S14_S18_S1A_T6_T7_T9_mT8_S1C_bDpT10_ENKUlT_T0_E_clISt17integral_constantIbLb1EES1O_IbLb0EEEEDaS1K_S1L_EUlS1K_E_NS1_11comp_targetILNS1_3genE4ELNS1_11target_archE910ELNS1_3gpuE8ELNS1_3repE0EEENS1_30default_config_static_selectorELNS0_4arch9wavefront6targetE1EEEvSY_.has_indirect_call, 0
	.section	.AMDGPU.csdata,"",@progbits
; Kernel info:
; codeLenInByte = 0
; TotalNumSgprs: 4
; NumVgprs: 0
; ScratchSize: 0
; MemoryBound: 0
; FloatMode: 240
; IeeeMode: 1
; LDSByteSize: 0 bytes/workgroup (compile time only)
; SGPRBlocks: 0
; VGPRBlocks: 0
; NumSGPRsForWavesPerEU: 4
; NumVGPRsForWavesPerEU: 1
; Occupancy: 10
; WaveLimiterHint : 0
; COMPUTE_PGM_RSRC2:SCRATCH_EN: 0
; COMPUTE_PGM_RSRC2:USER_SGPR: 6
; COMPUTE_PGM_RSRC2:TRAP_HANDLER: 0
; COMPUTE_PGM_RSRC2:TGID_X_EN: 1
; COMPUTE_PGM_RSRC2:TGID_Y_EN: 0
; COMPUTE_PGM_RSRC2:TGID_Z_EN: 0
; COMPUTE_PGM_RSRC2:TIDIG_COMP_CNT: 0
	.section	.text._ZN7rocprim17ROCPRIM_400000_NS6detail17trampoline_kernelINS0_13select_configILj256ELj13ELNS0_17block_load_methodE3ELS4_3ELS4_3ELNS0_20block_scan_algorithmE0ELj4294967295EEENS1_25partition_config_selectorILNS1_17partition_subalgoE3EjNS0_10empty_typeEbEEZZNS1_14partition_implILS8_3ELb0ES6_jNS0_17counting_iteratorIjlEEPS9_SE_NS0_5tupleIJPjSE_EEENSF_IJSE_SE_EEES9_SG_JZNS1_25segmented_radix_sort_implINS0_14default_configELb0EPKiPiPKlPlN2at6native12_GLOBAL__N_18offset_tEEE10hipError_tPvRmT1_PNSt15iterator_traitsISY_E10value_typeET2_T3_PNSZ_IS14_E10value_typeET4_jRbjT5_S1A_jjP12ihipStream_tbEUljE_EEESV_SW_SX_S14_S18_S1A_T6_T7_T9_mT8_S1C_bDpT10_ENKUlT_T0_E_clISt17integral_constantIbLb1EES1O_IbLb0EEEEDaS1K_S1L_EUlS1K_E_NS1_11comp_targetILNS1_3genE3ELNS1_11target_archE908ELNS1_3gpuE7ELNS1_3repE0EEENS1_30default_config_static_selectorELNS0_4arch9wavefront6targetE1EEEvSY_,"axG",@progbits,_ZN7rocprim17ROCPRIM_400000_NS6detail17trampoline_kernelINS0_13select_configILj256ELj13ELNS0_17block_load_methodE3ELS4_3ELS4_3ELNS0_20block_scan_algorithmE0ELj4294967295EEENS1_25partition_config_selectorILNS1_17partition_subalgoE3EjNS0_10empty_typeEbEEZZNS1_14partition_implILS8_3ELb0ES6_jNS0_17counting_iteratorIjlEEPS9_SE_NS0_5tupleIJPjSE_EEENSF_IJSE_SE_EEES9_SG_JZNS1_25segmented_radix_sort_implINS0_14default_configELb0EPKiPiPKlPlN2at6native12_GLOBAL__N_18offset_tEEE10hipError_tPvRmT1_PNSt15iterator_traitsISY_E10value_typeET2_T3_PNSZ_IS14_E10value_typeET4_jRbjT5_S1A_jjP12ihipStream_tbEUljE_EEESV_SW_SX_S14_S18_S1A_T6_T7_T9_mT8_S1C_bDpT10_ENKUlT_T0_E_clISt17integral_constantIbLb1EES1O_IbLb0EEEEDaS1K_S1L_EUlS1K_E_NS1_11comp_targetILNS1_3genE3ELNS1_11target_archE908ELNS1_3gpuE7ELNS1_3repE0EEENS1_30default_config_static_selectorELNS0_4arch9wavefront6targetE1EEEvSY_,comdat
	.globl	_ZN7rocprim17ROCPRIM_400000_NS6detail17trampoline_kernelINS0_13select_configILj256ELj13ELNS0_17block_load_methodE3ELS4_3ELS4_3ELNS0_20block_scan_algorithmE0ELj4294967295EEENS1_25partition_config_selectorILNS1_17partition_subalgoE3EjNS0_10empty_typeEbEEZZNS1_14partition_implILS8_3ELb0ES6_jNS0_17counting_iteratorIjlEEPS9_SE_NS0_5tupleIJPjSE_EEENSF_IJSE_SE_EEES9_SG_JZNS1_25segmented_radix_sort_implINS0_14default_configELb0EPKiPiPKlPlN2at6native12_GLOBAL__N_18offset_tEEE10hipError_tPvRmT1_PNSt15iterator_traitsISY_E10value_typeET2_T3_PNSZ_IS14_E10value_typeET4_jRbjT5_S1A_jjP12ihipStream_tbEUljE_EEESV_SW_SX_S14_S18_S1A_T6_T7_T9_mT8_S1C_bDpT10_ENKUlT_T0_E_clISt17integral_constantIbLb1EES1O_IbLb0EEEEDaS1K_S1L_EUlS1K_E_NS1_11comp_targetILNS1_3genE3ELNS1_11target_archE908ELNS1_3gpuE7ELNS1_3repE0EEENS1_30default_config_static_selectorELNS0_4arch9wavefront6targetE1EEEvSY_ ; -- Begin function _ZN7rocprim17ROCPRIM_400000_NS6detail17trampoline_kernelINS0_13select_configILj256ELj13ELNS0_17block_load_methodE3ELS4_3ELS4_3ELNS0_20block_scan_algorithmE0ELj4294967295EEENS1_25partition_config_selectorILNS1_17partition_subalgoE3EjNS0_10empty_typeEbEEZZNS1_14partition_implILS8_3ELb0ES6_jNS0_17counting_iteratorIjlEEPS9_SE_NS0_5tupleIJPjSE_EEENSF_IJSE_SE_EEES9_SG_JZNS1_25segmented_radix_sort_implINS0_14default_configELb0EPKiPiPKlPlN2at6native12_GLOBAL__N_18offset_tEEE10hipError_tPvRmT1_PNSt15iterator_traitsISY_E10value_typeET2_T3_PNSZ_IS14_E10value_typeET4_jRbjT5_S1A_jjP12ihipStream_tbEUljE_EEESV_SW_SX_S14_S18_S1A_T6_T7_T9_mT8_S1C_bDpT10_ENKUlT_T0_E_clISt17integral_constantIbLb1EES1O_IbLb0EEEEDaS1K_S1L_EUlS1K_E_NS1_11comp_targetILNS1_3genE3ELNS1_11target_archE908ELNS1_3gpuE7ELNS1_3repE0EEENS1_30default_config_static_selectorELNS0_4arch9wavefront6targetE1EEEvSY_
	.p2align	8
	.type	_ZN7rocprim17ROCPRIM_400000_NS6detail17trampoline_kernelINS0_13select_configILj256ELj13ELNS0_17block_load_methodE3ELS4_3ELS4_3ELNS0_20block_scan_algorithmE0ELj4294967295EEENS1_25partition_config_selectorILNS1_17partition_subalgoE3EjNS0_10empty_typeEbEEZZNS1_14partition_implILS8_3ELb0ES6_jNS0_17counting_iteratorIjlEEPS9_SE_NS0_5tupleIJPjSE_EEENSF_IJSE_SE_EEES9_SG_JZNS1_25segmented_radix_sort_implINS0_14default_configELb0EPKiPiPKlPlN2at6native12_GLOBAL__N_18offset_tEEE10hipError_tPvRmT1_PNSt15iterator_traitsISY_E10value_typeET2_T3_PNSZ_IS14_E10value_typeET4_jRbjT5_S1A_jjP12ihipStream_tbEUljE_EEESV_SW_SX_S14_S18_S1A_T6_T7_T9_mT8_S1C_bDpT10_ENKUlT_T0_E_clISt17integral_constantIbLb1EES1O_IbLb0EEEEDaS1K_S1L_EUlS1K_E_NS1_11comp_targetILNS1_3genE3ELNS1_11target_archE908ELNS1_3gpuE7ELNS1_3repE0EEENS1_30default_config_static_selectorELNS0_4arch9wavefront6targetE1EEEvSY_,@function
_ZN7rocprim17ROCPRIM_400000_NS6detail17trampoline_kernelINS0_13select_configILj256ELj13ELNS0_17block_load_methodE3ELS4_3ELS4_3ELNS0_20block_scan_algorithmE0ELj4294967295EEENS1_25partition_config_selectorILNS1_17partition_subalgoE3EjNS0_10empty_typeEbEEZZNS1_14partition_implILS8_3ELb0ES6_jNS0_17counting_iteratorIjlEEPS9_SE_NS0_5tupleIJPjSE_EEENSF_IJSE_SE_EEES9_SG_JZNS1_25segmented_radix_sort_implINS0_14default_configELb0EPKiPiPKlPlN2at6native12_GLOBAL__N_18offset_tEEE10hipError_tPvRmT1_PNSt15iterator_traitsISY_E10value_typeET2_T3_PNSZ_IS14_E10value_typeET4_jRbjT5_S1A_jjP12ihipStream_tbEUljE_EEESV_SW_SX_S14_S18_S1A_T6_T7_T9_mT8_S1C_bDpT10_ENKUlT_T0_E_clISt17integral_constantIbLb1EES1O_IbLb0EEEEDaS1K_S1L_EUlS1K_E_NS1_11comp_targetILNS1_3genE3ELNS1_11target_archE908ELNS1_3gpuE7ELNS1_3repE0EEENS1_30default_config_static_selectorELNS0_4arch9wavefront6targetE1EEEvSY_: ; @_ZN7rocprim17ROCPRIM_400000_NS6detail17trampoline_kernelINS0_13select_configILj256ELj13ELNS0_17block_load_methodE3ELS4_3ELS4_3ELNS0_20block_scan_algorithmE0ELj4294967295EEENS1_25partition_config_selectorILNS1_17partition_subalgoE3EjNS0_10empty_typeEbEEZZNS1_14partition_implILS8_3ELb0ES6_jNS0_17counting_iteratorIjlEEPS9_SE_NS0_5tupleIJPjSE_EEENSF_IJSE_SE_EEES9_SG_JZNS1_25segmented_radix_sort_implINS0_14default_configELb0EPKiPiPKlPlN2at6native12_GLOBAL__N_18offset_tEEE10hipError_tPvRmT1_PNSt15iterator_traitsISY_E10value_typeET2_T3_PNSZ_IS14_E10value_typeET4_jRbjT5_S1A_jjP12ihipStream_tbEUljE_EEESV_SW_SX_S14_S18_S1A_T6_T7_T9_mT8_S1C_bDpT10_ENKUlT_T0_E_clISt17integral_constantIbLb1EES1O_IbLb0EEEEDaS1K_S1L_EUlS1K_E_NS1_11comp_targetILNS1_3genE3ELNS1_11target_archE908ELNS1_3gpuE7ELNS1_3repE0EEENS1_30default_config_static_selectorELNS0_4arch9wavefront6targetE1EEEvSY_
; %bb.0:
	.section	.rodata,"a",@progbits
	.p2align	6, 0x0
	.amdhsa_kernel _ZN7rocprim17ROCPRIM_400000_NS6detail17trampoline_kernelINS0_13select_configILj256ELj13ELNS0_17block_load_methodE3ELS4_3ELS4_3ELNS0_20block_scan_algorithmE0ELj4294967295EEENS1_25partition_config_selectorILNS1_17partition_subalgoE3EjNS0_10empty_typeEbEEZZNS1_14partition_implILS8_3ELb0ES6_jNS0_17counting_iteratorIjlEEPS9_SE_NS0_5tupleIJPjSE_EEENSF_IJSE_SE_EEES9_SG_JZNS1_25segmented_radix_sort_implINS0_14default_configELb0EPKiPiPKlPlN2at6native12_GLOBAL__N_18offset_tEEE10hipError_tPvRmT1_PNSt15iterator_traitsISY_E10value_typeET2_T3_PNSZ_IS14_E10value_typeET4_jRbjT5_S1A_jjP12ihipStream_tbEUljE_EEESV_SW_SX_S14_S18_S1A_T6_T7_T9_mT8_S1C_bDpT10_ENKUlT_T0_E_clISt17integral_constantIbLb1EES1O_IbLb0EEEEDaS1K_S1L_EUlS1K_E_NS1_11comp_targetILNS1_3genE3ELNS1_11target_archE908ELNS1_3gpuE7ELNS1_3repE0EEENS1_30default_config_static_selectorELNS0_4arch9wavefront6targetE1EEEvSY_
		.amdhsa_group_segment_fixed_size 0
		.amdhsa_private_segment_fixed_size 0
		.amdhsa_kernarg_size 144
		.amdhsa_user_sgpr_count 6
		.amdhsa_user_sgpr_private_segment_buffer 1
		.amdhsa_user_sgpr_dispatch_ptr 0
		.amdhsa_user_sgpr_queue_ptr 0
		.amdhsa_user_sgpr_kernarg_segment_ptr 1
		.amdhsa_user_sgpr_dispatch_id 0
		.amdhsa_user_sgpr_flat_scratch_init 0
		.amdhsa_user_sgpr_private_segment_size 0
		.amdhsa_uses_dynamic_stack 0
		.amdhsa_system_sgpr_private_segment_wavefront_offset 0
		.amdhsa_system_sgpr_workgroup_id_x 1
		.amdhsa_system_sgpr_workgroup_id_y 0
		.amdhsa_system_sgpr_workgroup_id_z 0
		.amdhsa_system_sgpr_workgroup_info 0
		.amdhsa_system_vgpr_workitem_id 0
		.amdhsa_next_free_vgpr 1
		.amdhsa_next_free_sgpr 0
		.amdhsa_reserve_vcc 0
		.amdhsa_reserve_flat_scratch 0
		.amdhsa_float_round_mode_32 0
		.amdhsa_float_round_mode_16_64 0
		.amdhsa_float_denorm_mode_32 3
		.amdhsa_float_denorm_mode_16_64 3
		.amdhsa_dx10_clamp 1
		.amdhsa_ieee_mode 1
		.amdhsa_fp16_overflow 0
		.amdhsa_exception_fp_ieee_invalid_op 0
		.amdhsa_exception_fp_denorm_src 0
		.amdhsa_exception_fp_ieee_div_zero 0
		.amdhsa_exception_fp_ieee_overflow 0
		.amdhsa_exception_fp_ieee_underflow 0
		.amdhsa_exception_fp_ieee_inexact 0
		.amdhsa_exception_int_div_zero 0
	.end_amdhsa_kernel
	.section	.text._ZN7rocprim17ROCPRIM_400000_NS6detail17trampoline_kernelINS0_13select_configILj256ELj13ELNS0_17block_load_methodE3ELS4_3ELS4_3ELNS0_20block_scan_algorithmE0ELj4294967295EEENS1_25partition_config_selectorILNS1_17partition_subalgoE3EjNS0_10empty_typeEbEEZZNS1_14partition_implILS8_3ELb0ES6_jNS0_17counting_iteratorIjlEEPS9_SE_NS0_5tupleIJPjSE_EEENSF_IJSE_SE_EEES9_SG_JZNS1_25segmented_radix_sort_implINS0_14default_configELb0EPKiPiPKlPlN2at6native12_GLOBAL__N_18offset_tEEE10hipError_tPvRmT1_PNSt15iterator_traitsISY_E10value_typeET2_T3_PNSZ_IS14_E10value_typeET4_jRbjT5_S1A_jjP12ihipStream_tbEUljE_EEESV_SW_SX_S14_S18_S1A_T6_T7_T9_mT8_S1C_bDpT10_ENKUlT_T0_E_clISt17integral_constantIbLb1EES1O_IbLb0EEEEDaS1K_S1L_EUlS1K_E_NS1_11comp_targetILNS1_3genE3ELNS1_11target_archE908ELNS1_3gpuE7ELNS1_3repE0EEENS1_30default_config_static_selectorELNS0_4arch9wavefront6targetE1EEEvSY_,"axG",@progbits,_ZN7rocprim17ROCPRIM_400000_NS6detail17trampoline_kernelINS0_13select_configILj256ELj13ELNS0_17block_load_methodE3ELS4_3ELS4_3ELNS0_20block_scan_algorithmE0ELj4294967295EEENS1_25partition_config_selectorILNS1_17partition_subalgoE3EjNS0_10empty_typeEbEEZZNS1_14partition_implILS8_3ELb0ES6_jNS0_17counting_iteratorIjlEEPS9_SE_NS0_5tupleIJPjSE_EEENSF_IJSE_SE_EEES9_SG_JZNS1_25segmented_radix_sort_implINS0_14default_configELb0EPKiPiPKlPlN2at6native12_GLOBAL__N_18offset_tEEE10hipError_tPvRmT1_PNSt15iterator_traitsISY_E10value_typeET2_T3_PNSZ_IS14_E10value_typeET4_jRbjT5_S1A_jjP12ihipStream_tbEUljE_EEESV_SW_SX_S14_S18_S1A_T6_T7_T9_mT8_S1C_bDpT10_ENKUlT_T0_E_clISt17integral_constantIbLb1EES1O_IbLb0EEEEDaS1K_S1L_EUlS1K_E_NS1_11comp_targetILNS1_3genE3ELNS1_11target_archE908ELNS1_3gpuE7ELNS1_3repE0EEENS1_30default_config_static_selectorELNS0_4arch9wavefront6targetE1EEEvSY_,comdat
.Lfunc_end587:
	.size	_ZN7rocprim17ROCPRIM_400000_NS6detail17trampoline_kernelINS0_13select_configILj256ELj13ELNS0_17block_load_methodE3ELS4_3ELS4_3ELNS0_20block_scan_algorithmE0ELj4294967295EEENS1_25partition_config_selectorILNS1_17partition_subalgoE3EjNS0_10empty_typeEbEEZZNS1_14partition_implILS8_3ELb0ES6_jNS0_17counting_iteratorIjlEEPS9_SE_NS0_5tupleIJPjSE_EEENSF_IJSE_SE_EEES9_SG_JZNS1_25segmented_radix_sort_implINS0_14default_configELb0EPKiPiPKlPlN2at6native12_GLOBAL__N_18offset_tEEE10hipError_tPvRmT1_PNSt15iterator_traitsISY_E10value_typeET2_T3_PNSZ_IS14_E10value_typeET4_jRbjT5_S1A_jjP12ihipStream_tbEUljE_EEESV_SW_SX_S14_S18_S1A_T6_T7_T9_mT8_S1C_bDpT10_ENKUlT_T0_E_clISt17integral_constantIbLb1EES1O_IbLb0EEEEDaS1K_S1L_EUlS1K_E_NS1_11comp_targetILNS1_3genE3ELNS1_11target_archE908ELNS1_3gpuE7ELNS1_3repE0EEENS1_30default_config_static_selectorELNS0_4arch9wavefront6targetE1EEEvSY_, .Lfunc_end587-_ZN7rocprim17ROCPRIM_400000_NS6detail17trampoline_kernelINS0_13select_configILj256ELj13ELNS0_17block_load_methodE3ELS4_3ELS4_3ELNS0_20block_scan_algorithmE0ELj4294967295EEENS1_25partition_config_selectorILNS1_17partition_subalgoE3EjNS0_10empty_typeEbEEZZNS1_14partition_implILS8_3ELb0ES6_jNS0_17counting_iteratorIjlEEPS9_SE_NS0_5tupleIJPjSE_EEENSF_IJSE_SE_EEES9_SG_JZNS1_25segmented_radix_sort_implINS0_14default_configELb0EPKiPiPKlPlN2at6native12_GLOBAL__N_18offset_tEEE10hipError_tPvRmT1_PNSt15iterator_traitsISY_E10value_typeET2_T3_PNSZ_IS14_E10value_typeET4_jRbjT5_S1A_jjP12ihipStream_tbEUljE_EEESV_SW_SX_S14_S18_S1A_T6_T7_T9_mT8_S1C_bDpT10_ENKUlT_T0_E_clISt17integral_constantIbLb1EES1O_IbLb0EEEEDaS1K_S1L_EUlS1K_E_NS1_11comp_targetILNS1_3genE3ELNS1_11target_archE908ELNS1_3gpuE7ELNS1_3repE0EEENS1_30default_config_static_selectorELNS0_4arch9wavefront6targetE1EEEvSY_
                                        ; -- End function
	.set _ZN7rocprim17ROCPRIM_400000_NS6detail17trampoline_kernelINS0_13select_configILj256ELj13ELNS0_17block_load_methodE3ELS4_3ELS4_3ELNS0_20block_scan_algorithmE0ELj4294967295EEENS1_25partition_config_selectorILNS1_17partition_subalgoE3EjNS0_10empty_typeEbEEZZNS1_14partition_implILS8_3ELb0ES6_jNS0_17counting_iteratorIjlEEPS9_SE_NS0_5tupleIJPjSE_EEENSF_IJSE_SE_EEES9_SG_JZNS1_25segmented_radix_sort_implINS0_14default_configELb0EPKiPiPKlPlN2at6native12_GLOBAL__N_18offset_tEEE10hipError_tPvRmT1_PNSt15iterator_traitsISY_E10value_typeET2_T3_PNSZ_IS14_E10value_typeET4_jRbjT5_S1A_jjP12ihipStream_tbEUljE_EEESV_SW_SX_S14_S18_S1A_T6_T7_T9_mT8_S1C_bDpT10_ENKUlT_T0_E_clISt17integral_constantIbLb1EES1O_IbLb0EEEEDaS1K_S1L_EUlS1K_E_NS1_11comp_targetILNS1_3genE3ELNS1_11target_archE908ELNS1_3gpuE7ELNS1_3repE0EEENS1_30default_config_static_selectorELNS0_4arch9wavefront6targetE1EEEvSY_.num_vgpr, 0
	.set _ZN7rocprim17ROCPRIM_400000_NS6detail17trampoline_kernelINS0_13select_configILj256ELj13ELNS0_17block_load_methodE3ELS4_3ELS4_3ELNS0_20block_scan_algorithmE0ELj4294967295EEENS1_25partition_config_selectorILNS1_17partition_subalgoE3EjNS0_10empty_typeEbEEZZNS1_14partition_implILS8_3ELb0ES6_jNS0_17counting_iteratorIjlEEPS9_SE_NS0_5tupleIJPjSE_EEENSF_IJSE_SE_EEES9_SG_JZNS1_25segmented_radix_sort_implINS0_14default_configELb0EPKiPiPKlPlN2at6native12_GLOBAL__N_18offset_tEEE10hipError_tPvRmT1_PNSt15iterator_traitsISY_E10value_typeET2_T3_PNSZ_IS14_E10value_typeET4_jRbjT5_S1A_jjP12ihipStream_tbEUljE_EEESV_SW_SX_S14_S18_S1A_T6_T7_T9_mT8_S1C_bDpT10_ENKUlT_T0_E_clISt17integral_constantIbLb1EES1O_IbLb0EEEEDaS1K_S1L_EUlS1K_E_NS1_11comp_targetILNS1_3genE3ELNS1_11target_archE908ELNS1_3gpuE7ELNS1_3repE0EEENS1_30default_config_static_selectorELNS0_4arch9wavefront6targetE1EEEvSY_.num_agpr, 0
	.set _ZN7rocprim17ROCPRIM_400000_NS6detail17trampoline_kernelINS0_13select_configILj256ELj13ELNS0_17block_load_methodE3ELS4_3ELS4_3ELNS0_20block_scan_algorithmE0ELj4294967295EEENS1_25partition_config_selectorILNS1_17partition_subalgoE3EjNS0_10empty_typeEbEEZZNS1_14partition_implILS8_3ELb0ES6_jNS0_17counting_iteratorIjlEEPS9_SE_NS0_5tupleIJPjSE_EEENSF_IJSE_SE_EEES9_SG_JZNS1_25segmented_radix_sort_implINS0_14default_configELb0EPKiPiPKlPlN2at6native12_GLOBAL__N_18offset_tEEE10hipError_tPvRmT1_PNSt15iterator_traitsISY_E10value_typeET2_T3_PNSZ_IS14_E10value_typeET4_jRbjT5_S1A_jjP12ihipStream_tbEUljE_EEESV_SW_SX_S14_S18_S1A_T6_T7_T9_mT8_S1C_bDpT10_ENKUlT_T0_E_clISt17integral_constantIbLb1EES1O_IbLb0EEEEDaS1K_S1L_EUlS1K_E_NS1_11comp_targetILNS1_3genE3ELNS1_11target_archE908ELNS1_3gpuE7ELNS1_3repE0EEENS1_30default_config_static_selectorELNS0_4arch9wavefront6targetE1EEEvSY_.numbered_sgpr, 0
	.set _ZN7rocprim17ROCPRIM_400000_NS6detail17trampoline_kernelINS0_13select_configILj256ELj13ELNS0_17block_load_methodE3ELS4_3ELS4_3ELNS0_20block_scan_algorithmE0ELj4294967295EEENS1_25partition_config_selectorILNS1_17partition_subalgoE3EjNS0_10empty_typeEbEEZZNS1_14partition_implILS8_3ELb0ES6_jNS0_17counting_iteratorIjlEEPS9_SE_NS0_5tupleIJPjSE_EEENSF_IJSE_SE_EEES9_SG_JZNS1_25segmented_radix_sort_implINS0_14default_configELb0EPKiPiPKlPlN2at6native12_GLOBAL__N_18offset_tEEE10hipError_tPvRmT1_PNSt15iterator_traitsISY_E10value_typeET2_T3_PNSZ_IS14_E10value_typeET4_jRbjT5_S1A_jjP12ihipStream_tbEUljE_EEESV_SW_SX_S14_S18_S1A_T6_T7_T9_mT8_S1C_bDpT10_ENKUlT_T0_E_clISt17integral_constantIbLb1EES1O_IbLb0EEEEDaS1K_S1L_EUlS1K_E_NS1_11comp_targetILNS1_3genE3ELNS1_11target_archE908ELNS1_3gpuE7ELNS1_3repE0EEENS1_30default_config_static_selectorELNS0_4arch9wavefront6targetE1EEEvSY_.num_named_barrier, 0
	.set _ZN7rocprim17ROCPRIM_400000_NS6detail17trampoline_kernelINS0_13select_configILj256ELj13ELNS0_17block_load_methodE3ELS4_3ELS4_3ELNS0_20block_scan_algorithmE0ELj4294967295EEENS1_25partition_config_selectorILNS1_17partition_subalgoE3EjNS0_10empty_typeEbEEZZNS1_14partition_implILS8_3ELb0ES6_jNS0_17counting_iteratorIjlEEPS9_SE_NS0_5tupleIJPjSE_EEENSF_IJSE_SE_EEES9_SG_JZNS1_25segmented_radix_sort_implINS0_14default_configELb0EPKiPiPKlPlN2at6native12_GLOBAL__N_18offset_tEEE10hipError_tPvRmT1_PNSt15iterator_traitsISY_E10value_typeET2_T3_PNSZ_IS14_E10value_typeET4_jRbjT5_S1A_jjP12ihipStream_tbEUljE_EEESV_SW_SX_S14_S18_S1A_T6_T7_T9_mT8_S1C_bDpT10_ENKUlT_T0_E_clISt17integral_constantIbLb1EES1O_IbLb0EEEEDaS1K_S1L_EUlS1K_E_NS1_11comp_targetILNS1_3genE3ELNS1_11target_archE908ELNS1_3gpuE7ELNS1_3repE0EEENS1_30default_config_static_selectorELNS0_4arch9wavefront6targetE1EEEvSY_.private_seg_size, 0
	.set _ZN7rocprim17ROCPRIM_400000_NS6detail17trampoline_kernelINS0_13select_configILj256ELj13ELNS0_17block_load_methodE3ELS4_3ELS4_3ELNS0_20block_scan_algorithmE0ELj4294967295EEENS1_25partition_config_selectorILNS1_17partition_subalgoE3EjNS0_10empty_typeEbEEZZNS1_14partition_implILS8_3ELb0ES6_jNS0_17counting_iteratorIjlEEPS9_SE_NS0_5tupleIJPjSE_EEENSF_IJSE_SE_EEES9_SG_JZNS1_25segmented_radix_sort_implINS0_14default_configELb0EPKiPiPKlPlN2at6native12_GLOBAL__N_18offset_tEEE10hipError_tPvRmT1_PNSt15iterator_traitsISY_E10value_typeET2_T3_PNSZ_IS14_E10value_typeET4_jRbjT5_S1A_jjP12ihipStream_tbEUljE_EEESV_SW_SX_S14_S18_S1A_T6_T7_T9_mT8_S1C_bDpT10_ENKUlT_T0_E_clISt17integral_constantIbLb1EES1O_IbLb0EEEEDaS1K_S1L_EUlS1K_E_NS1_11comp_targetILNS1_3genE3ELNS1_11target_archE908ELNS1_3gpuE7ELNS1_3repE0EEENS1_30default_config_static_selectorELNS0_4arch9wavefront6targetE1EEEvSY_.uses_vcc, 0
	.set _ZN7rocprim17ROCPRIM_400000_NS6detail17trampoline_kernelINS0_13select_configILj256ELj13ELNS0_17block_load_methodE3ELS4_3ELS4_3ELNS0_20block_scan_algorithmE0ELj4294967295EEENS1_25partition_config_selectorILNS1_17partition_subalgoE3EjNS0_10empty_typeEbEEZZNS1_14partition_implILS8_3ELb0ES6_jNS0_17counting_iteratorIjlEEPS9_SE_NS0_5tupleIJPjSE_EEENSF_IJSE_SE_EEES9_SG_JZNS1_25segmented_radix_sort_implINS0_14default_configELb0EPKiPiPKlPlN2at6native12_GLOBAL__N_18offset_tEEE10hipError_tPvRmT1_PNSt15iterator_traitsISY_E10value_typeET2_T3_PNSZ_IS14_E10value_typeET4_jRbjT5_S1A_jjP12ihipStream_tbEUljE_EEESV_SW_SX_S14_S18_S1A_T6_T7_T9_mT8_S1C_bDpT10_ENKUlT_T0_E_clISt17integral_constantIbLb1EES1O_IbLb0EEEEDaS1K_S1L_EUlS1K_E_NS1_11comp_targetILNS1_3genE3ELNS1_11target_archE908ELNS1_3gpuE7ELNS1_3repE0EEENS1_30default_config_static_selectorELNS0_4arch9wavefront6targetE1EEEvSY_.uses_flat_scratch, 0
	.set _ZN7rocprim17ROCPRIM_400000_NS6detail17trampoline_kernelINS0_13select_configILj256ELj13ELNS0_17block_load_methodE3ELS4_3ELS4_3ELNS0_20block_scan_algorithmE0ELj4294967295EEENS1_25partition_config_selectorILNS1_17partition_subalgoE3EjNS0_10empty_typeEbEEZZNS1_14partition_implILS8_3ELb0ES6_jNS0_17counting_iteratorIjlEEPS9_SE_NS0_5tupleIJPjSE_EEENSF_IJSE_SE_EEES9_SG_JZNS1_25segmented_radix_sort_implINS0_14default_configELb0EPKiPiPKlPlN2at6native12_GLOBAL__N_18offset_tEEE10hipError_tPvRmT1_PNSt15iterator_traitsISY_E10value_typeET2_T3_PNSZ_IS14_E10value_typeET4_jRbjT5_S1A_jjP12ihipStream_tbEUljE_EEESV_SW_SX_S14_S18_S1A_T6_T7_T9_mT8_S1C_bDpT10_ENKUlT_T0_E_clISt17integral_constantIbLb1EES1O_IbLb0EEEEDaS1K_S1L_EUlS1K_E_NS1_11comp_targetILNS1_3genE3ELNS1_11target_archE908ELNS1_3gpuE7ELNS1_3repE0EEENS1_30default_config_static_selectorELNS0_4arch9wavefront6targetE1EEEvSY_.has_dyn_sized_stack, 0
	.set _ZN7rocprim17ROCPRIM_400000_NS6detail17trampoline_kernelINS0_13select_configILj256ELj13ELNS0_17block_load_methodE3ELS4_3ELS4_3ELNS0_20block_scan_algorithmE0ELj4294967295EEENS1_25partition_config_selectorILNS1_17partition_subalgoE3EjNS0_10empty_typeEbEEZZNS1_14partition_implILS8_3ELb0ES6_jNS0_17counting_iteratorIjlEEPS9_SE_NS0_5tupleIJPjSE_EEENSF_IJSE_SE_EEES9_SG_JZNS1_25segmented_radix_sort_implINS0_14default_configELb0EPKiPiPKlPlN2at6native12_GLOBAL__N_18offset_tEEE10hipError_tPvRmT1_PNSt15iterator_traitsISY_E10value_typeET2_T3_PNSZ_IS14_E10value_typeET4_jRbjT5_S1A_jjP12ihipStream_tbEUljE_EEESV_SW_SX_S14_S18_S1A_T6_T7_T9_mT8_S1C_bDpT10_ENKUlT_T0_E_clISt17integral_constantIbLb1EES1O_IbLb0EEEEDaS1K_S1L_EUlS1K_E_NS1_11comp_targetILNS1_3genE3ELNS1_11target_archE908ELNS1_3gpuE7ELNS1_3repE0EEENS1_30default_config_static_selectorELNS0_4arch9wavefront6targetE1EEEvSY_.has_recursion, 0
	.set _ZN7rocprim17ROCPRIM_400000_NS6detail17trampoline_kernelINS0_13select_configILj256ELj13ELNS0_17block_load_methodE3ELS4_3ELS4_3ELNS0_20block_scan_algorithmE0ELj4294967295EEENS1_25partition_config_selectorILNS1_17partition_subalgoE3EjNS0_10empty_typeEbEEZZNS1_14partition_implILS8_3ELb0ES6_jNS0_17counting_iteratorIjlEEPS9_SE_NS0_5tupleIJPjSE_EEENSF_IJSE_SE_EEES9_SG_JZNS1_25segmented_radix_sort_implINS0_14default_configELb0EPKiPiPKlPlN2at6native12_GLOBAL__N_18offset_tEEE10hipError_tPvRmT1_PNSt15iterator_traitsISY_E10value_typeET2_T3_PNSZ_IS14_E10value_typeET4_jRbjT5_S1A_jjP12ihipStream_tbEUljE_EEESV_SW_SX_S14_S18_S1A_T6_T7_T9_mT8_S1C_bDpT10_ENKUlT_T0_E_clISt17integral_constantIbLb1EES1O_IbLb0EEEEDaS1K_S1L_EUlS1K_E_NS1_11comp_targetILNS1_3genE3ELNS1_11target_archE908ELNS1_3gpuE7ELNS1_3repE0EEENS1_30default_config_static_selectorELNS0_4arch9wavefront6targetE1EEEvSY_.has_indirect_call, 0
	.section	.AMDGPU.csdata,"",@progbits
; Kernel info:
; codeLenInByte = 0
; TotalNumSgprs: 4
; NumVgprs: 0
; ScratchSize: 0
; MemoryBound: 0
; FloatMode: 240
; IeeeMode: 1
; LDSByteSize: 0 bytes/workgroup (compile time only)
; SGPRBlocks: 0
; VGPRBlocks: 0
; NumSGPRsForWavesPerEU: 4
; NumVGPRsForWavesPerEU: 1
; Occupancy: 10
; WaveLimiterHint : 0
; COMPUTE_PGM_RSRC2:SCRATCH_EN: 0
; COMPUTE_PGM_RSRC2:USER_SGPR: 6
; COMPUTE_PGM_RSRC2:TRAP_HANDLER: 0
; COMPUTE_PGM_RSRC2:TGID_X_EN: 1
; COMPUTE_PGM_RSRC2:TGID_Y_EN: 0
; COMPUTE_PGM_RSRC2:TGID_Z_EN: 0
; COMPUTE_PGM_RSRC2:TIDIG_COMP_CNT: 0
	.section	.text._ZN7rocprim17ROCPRIM_400000_NS6detail17trampoline_kernelINS0_13select_configILj256ELj13ELNS0_17block_load_methodE3ELS4_3ELS4_3ELNS0_20block_scan_algorithmE0ELj4294967295EEENS1_25partition_config_selectorILNS1_17partition_subalgoE3EjNS0_10empty_typeEbEEZZNS1_14partition_implILS8_3ELb0ES6_jNS0_17counting_iteratorIjlEEPS9_SE_NS0_5tupleIJPjSE_EEENSF_IJSE_SE_EEES9_SG_JZNS1_25segmented_radix_sort_implINS0_14default_configELb0EPKiPiPKlPlN2at6native12_GLOBAL__N_18offset_tEEE10hipError_tPvRmT1_PNSt15iterator_traitsISY_E10value_typeET2_T3_PNSZ_IS14_E10value_typeET4_jRbjT5_S1A_jjP12ihipStream_tbEUljE_EEESV_SW_SX_S14_S18_S1A_T6_T7_T9_mT8_S1C_bDpT10_ENKUlT_T0_E_clISt17integral_constantIbLb1EES1O_IbLb0EEEEDaS1K_S1L_EUlS1K_E_NS1_11comp_targetILNS1_3genE2ELNS1_11target_archE906ELNS1_3gpuE6ELNS1_3repE0EEENS1_30default_config_static_selectorELNS0_4arch9wavefront6targetE1EEEvSY_,"axG",@progbits,_ZN7rocprim17ROCPRIM_400000_NS6detail17trampoline_kernelINS0_13select_configILj256ELj13ELNS0_17block_load_methodE3ELS4_3ELS4_3ELNS0_20block_scan_algorithmE0ELj4294967295EEENS1_25partition_config_selectorILNS1_17partition_subalgoE3EjNS0_10empty_typeEbEEZZNS1_14partition_implILS8_3ELb0ES6_jNS0_17counting_iteratorIjlEEPS9_SE_NS0_5tupleIJPjSE_EEENSF_IJSE_SE_EEES9_SG_JZNS1_25segmented_radix_sort_implINS0_14default_configELb0EPKiPiPKlPlN2at6native12_GLOBAL__N_18offset_tEEE10hipError_tPvRmT1_PNSt15iterator_traitsISY_E10value_typeET2_T3_PNSZ_IS14_E10value_typeET4_jRbjT5_S1A_jjP12ihipStream_tbEUljE_EEESV_SW_SX_S14_S18_S1A_T6_T7_T9_mT8_S1C_bDpT10_ENKUlT_T0_E_clISt17integral_constantIbLb1EES1O_IbLb0EEEEDaS1K_S1L_EUlS1K_E_NS1_11comp_targetILNS1_3genE2ELNS1_11target_archE906ELNS1_3gpuE6ELNS1_3repE0EEENS1_30default_config_static_selectorELNS0_4arch9wavefront6targetE1EEEvSY_,comdat
	.globl	_ZN7rocprim17ROCPRIM_400000_NS6detail17trampoline_kernelINS0_13select_configILj256ELj13ELNS0_17block_load_methodE3ELS4_3ELS4_3ELNS0_20block_scan_algorithmE0ELj4294967295EEENS1_25partition_config_selectorILNS1_17partition_subalgoE3EjNS0_10empty_typeEbEEZZNS1_14partition_implILS8_3ELb0ES6_jNS0_17counting_iteratorIjlEEPS9_SE_NS0_5tupleIJPjSE_EEENSF_IJSE_SE_EEES9_SG_JZNS1_25segmented_radix_sort_implINS0_14default_configELb0EPKiPiPKlPlN2at6native12_GLOBAL__N_18offset_tEEE10hipError_tPvRmT1_PNSt15iterator_traitsISY_E10value_typeET2_T3_PNSZ_IS14_E10value_typeET4_jRbjT5_S1A_jjP12ihipStream_tbEUljE_EEESV_SW_SX_S14_S18_S1A_T6_T7_T9_mT8_S1C_bDpT10_ENKUlT_T0_E_clISt17integral_constantIbLb1EES1O_IbLb0EEEEDaS1K_S1L_EUlS1K_E_NS1_11comp_targetILNS1_3genE2ELNS1_11target_archE906ELNS1_3gpuE6ELNS1_3repE0EEENS1_30default_config_static_selectorELNS0_4arch9wavefront6targetE1EEEvSY_ ; -- Begin function _ZN7rocprim17ROCPRIM_400000_NS6detail17trampoline_kernelINS0_13select_configILj256ELj13ELNS0_17block_load_methodE3ELS4_3ELS4_3ELNS0_20block_scan_algorithmE0ELj4294967295EEENS1_25partition_config_selectorILNS1_17partition_subalgoE3EjNS0_10empty_typeEbEEZZNS1_14partition_implILS8_3ELb0ES6_jNS0_17counting_iteratorIjlEEPS9_SE_NS0_5tupleIJPjSE_EEENSF_IJSE_SE_EEES9_SG_JZNS1_25segmented_radix_sort_implINS0_14default_configELb0EPKiPiPKlPlN2at6native12_GLOBAL__N_18offset_tEEE10hipError_tPvRmT1_PNSt15iterator_traitsISY_E10value_typeET2_T3_PNSZ_IS14_E10value_typeET4_jRbjT5_S1A_jjP12ihipStream_tbEUljE_EEESV_SW_SX_S14_S18_S1A_T6_T7_T9_mT8_S1C_bDpT10_ENKUlT_T0_E_clISt17integral_constantIbLb1EES1O_IbLb0EEEEDaS1K_S1L_EUlS1K_E_NS1_11comp_targetILNS1_3genE2ELNS1_11target_archE906ELNS1_3gpuE6ELNS1_3repE0EEENS1_30default_config_static_selectorELNS0_4arch9wavefront6targetE1EEEvSY_
	.p2align	8
	.type	_ZN7rocprim17ROCPRIM_400000_NS6detail17trampoline_kernelINS0_13select_configILj256ELj13ELNS0_17block_load_methodE3ELS4_3ELS4_3ELNS0_20block_scan_algorithmE0ELj4294967295EEENS1_25partition_config_selectorILNS1_17partition_subalgoE3EjNS0_10empty_typeEbEEZZNS1_14partition_implILS8_3ELb0ES6_jNS0_17counting_iteratorIjlEEPS9_SE_NS0_5tupleIJPjSE_EEENSF_IJSE_SE_EEES9_SG_JZNS1_25segmented_radix_sort_implINS0_14default_configELb0EPKiPiPKlPlN2at6native12_GLOBAL__N_18offset_tEEE10hipError_tPvRmT1_PNSt15iterator_traitsISY_E10value_typeET2_T3_PNSZ_IS14_E10value_typeET4_jRbjT5_S1A_jjP12ihipStream_tbEUljE_EEESV_SW_SX_S14_S18_S1A_T6_T7_T9_mT8_S1C_bDpT10_ENKUlT_T0_E_clISt17integral_constantIbLb1EES1O_IbLb0EEEEDaS1K_S1L_EUlS1K_E_NS1_11comp_targetILNS1_3genE2ELNS1_11target_archE906ELNS1_3gpuE6ELNS1_3repE0EEENS1_30default_config_static_selectorELNS0_4arch9wavefront6targetE1EEEvSY_,@function
_ZN7rocprim17ROCPRIM_400000_NS6detail17trampoline_kernelINS0_13select_configILj256ELj13ELNS0_17block_load_methodE3ELS4_3ELS4_3ELNS0_20block_scan_algorithmE0ELj4294967295EEENS1_25partition_config_selectorILNS1_17partition_subalgoE3EjNS0_10empty_typeEbEEZZNS1_14partition_implILS8_3ELb0ES6_jNS0_17counting_iteratorIjlEEPS9_SE_NS0_5tupleIJPjSE_EEENSF_IJSE_SE_EEES9_SG_JZNS1_25segmented_radix_sort_implINS0_14default_configELb0EPKiPiPKlPlN2at6native12_GLOBAL__N_18offset_tEEE10hipError_tPvRmT1_PNSt15iterator_traitsISY_E10value_typeET2_T3_PNSZ_IS14_E10value_typeET4_jRbjT5_S1A_jjP12ihipStream_tbEUljE_EEESV_SW_SX_S14_S18_S1A_T6_T7_T9_mT8_S1C_bDpT10_ENKUlT_T0_E_clISt17integral_constantIbLb1EES1O_IbLb0EEEEDaS1K_S1L_EUlS1K_E_NS1_11comp_targetILNS1_3genE2ELNS1_11target_archE906ELNS1_3gpuE6ELNS1_3repE0EEENS1_30default_config_static_selectorELNS0_4arch9wavefront6targetE1EEEvSY_: ; @_ZN7rocprim17ROCPRIM_400000_NS6detail17trampoline_kernelINS0_13select_configILj256ELj13ELNS0_17block_load_methodE3ELS4_3ELS4_3ELNS0_20block_scan_algorithmE0ELj4294967295EEENS1_25partition_config_selectorILNS1_17partition_subalgoE3EjNS0_10empty_typeEbEEZZNS1_14partition_implILS8_3ELb0ES6_jNS0_17counting_iteratorIjlEEPS9_SE_NS0_5tupleIJPjSE_EEENSF_IJSE_SE_EEES9_SG_JZNS1_25segmented_radix_sort_implINS0_14default_configELb0EPKiPiPKlPlN2at6native12_GLOBAL__N_18offset_tEEE10hipError_tPvRmT1_PNSt15iterator_traitsISY_E10value_typeET2_T3_PNSZ_IS14_E10value_typeET4_jRbjT5_S1A_jjP12ihipStream_tbEUljE_EEESV_SW_SX_S14_S18_S1A_T6_T7_T9_mT8_S1C_bDpT10_ENKUlT_T0_E_clISt17integral_constantIbLb1EES1O_IbLb0EEEEDaS1K_S1L_EUlS1K_E_NS1_11comp_targetILNS1_3genE2ELNS1_11target_archE906ELNS1_3gpuE6ELNS1_3repE0EEENS1_30default_config_static_selectorELNS0_4arch9wavefront6targetE1EEEvSY_
; %bb.0:
	s_endpgm
	.section	.rodata,"a",@progbits
	.p2align	6, 0x0
	.amdhsa_kernel _ZN7rocprim17ROCPRIM_400000_NS6detail17trampoline_kernelINS0_13select_configILj256ELj13ELNS0_17block_load_methodE3ELS4_3ELS4_3ELNS0_20block_scan_algorithmE0ELj4294967295EEENS1_25partition_config_selectorILNS1_17partition_subalgoE3EjNS0_10empty_typeEbEEZZNS1_14partition_implILS8_3ELb0ES6_jNS0_17counting_iteratorIjlEEPS9_SE_NS0_5tupleIJPjSE_EEENSF_IJSE_SE_EEES9_SG_JZNS1_25segmented_radix_sort_implINS0_14default_configELb0EPKiPiPKlPlN2at6native12_GLOBAL__N_18offset_tEEE10hipError_tPvRmT1_PNSt15iterator_traitsISY_E10value_typeET2_T3_PNSZ_IS14_E10value_typeET4_jRbjT5_S1A_jjP12ihipStream_tbEUljE_EEESV_SW_SX_S14_S18_S1A_T6_T7_T9_mT8_S1C_bDpT10_ENKUlT_T0_E_clISt17integral_constantIbLb1EES1O_IbLb0EEEEDaS1K_S1L_EUlS1K_E_NS1_11comp_targetILNS1_3genE2ELNS1_11target_archE906ELNS1_3gpuE6ELNS1_3repE0EEENS1_30default_config_static_selectorELNS0_4arch9wavefront6targetE1EEEvSY_
		.amdhsa_group_segment_fixed_size 0
		.amdhsa_private_segment_fixed_size 0
		.amdhsa_kernarg_size 144
		.amdhsa_user_sgpr_count 6
		.amdhsa_user_sgpr_private_segment_buffer 1
		.amdhsa_user_sgpr_dispatch_ptr 0
		.amdhsa_user_sgpr_queue_ptr 0
		.amdhsa_user_sgpr_kernarg_segment_ptr 1
		.amdhsa_user_sgpr_dispatch_id 0
		.amdhsa_user_sgpr_flat_scratch_init 0
		.amdhsa_user_sgpr_private_segment_size 0
		.amdhsa_uses_dynamic_stack 0
		.amdhsa_system_sgpr_private_segment_wavefront_offset 0
		.amdhsa_system_sgpr_workgroup_id_x 1
		.amdhsa_system_sgpr_workgroup_id_y 0
		.amdhsa_system_sgpr_workgroup_id_z 0
		.amdhsa_system_sgpr_workgroup_info 0
		.amdhsa_system_vgpr_workitem_id 0
		.amdhsa_next_free_vgpr 1
		.amdhsa_next_free_sgpr 0
		.amdhsa_reserve_vcc 0
		.amdhsa_reserve_flat_scratch 0
		.amdhsa_float_round_mode_32 0
		.amdhsa_float_round_mode_16_64 0
		.amdhsa_float_denorm_mode_32 3
		.amdhsa_float_denorm_mode_16_64 3
		.amdhsa_dx10_clamp 1
		.amdhsa_ieee_mode 1
		.amdhsa_fp16_overflow 0
		.amdhsa_exception_fp_ieee_invalid_op 0
		.amdhsa_exception_fp_denorm_src 0
		.amdhsa_exception_fp_ieee_div_zero 0
		.amdhsa_exception_fp_ieee_overflow 0
		.amdhsa_exception_fp_ieee_underflow 0
		.amdhsa_exception_fp_ieee_inexact 0
		.amdhsa_exception_int_div_zero 0
	.end_amdhsa_kernel
	.section	.text._ZN7rocprim17ROCPRIM_400000_NS6detail17trampoline_kernelINS0_13select_configILj256ELj13ELNS0_17block_load_methodE3ELS4_3ELS4_3ELNS0_20block_scan_algorithmE0ELj4294967295EEENS1_25partition_config_selectorILNS1_17partition_subalgoE3EjNS0_10empty_typeEbEEZZNS1_14partition_implILS8_3ELb0ES6_jNS0_17counting_iteratorIjlEEPS9_SE_NS0_5tupleIJPjSE_EEENSF_IJSE_SE_EEES9_SG_JZNS1_25segmented_radix_sort_implINS0_14default_configELb0EPKiPiPKlPlN2at6native12_GLOBAL__N_18offset_tEEE10hipError_tPvRmT1_PNSt15iterator_traitsISY_E10value_typeET2_T3_PNSZ_IS14_E10value_typeET4_jRbjT5_S1A_jjP12ihipStream_tbEUljE_EEESV_SW_SX_S14_S18_S1A_T6_T7_T9_mT8_S1C_bDpT10_ENKUlT_T0_E_clISt17integral_constantIbLb1EES1O_IbLb0EEEEDaS1K_S1L_EUlS1K_E_NS1_11comp_targetILNS1_3genE2ELNS1_11target_archE906ELNS1_3gpuE6ELNS1_3repE0EEENS1_30default_config_static_selectorELNS0_4arch9wavefront6targetE1EEEvSY_,"axG",@progbits,_ZN7rocprim17ROCPRIM_400000_NS6detail17trampoline_kernelINS0_13select_configILj256ELj13ELNS0_17block_load_methodE3ELS4_3ELS4_3ELNS0_20block_scan_algorithmE0ELj4294967295EEENS1_25partition_config_selectorILNS1_17partition_subalgoE3EjNS0_10empty_typeEbEEZZNS1_14partition_implILS8_3ELb0ES6_jNS0_17counting_iteratorIjlEEPS9_SE_NS0_5tupleIJPjSE_EEENSF_IJSE_SE_EEES9_SG_JZNS1_25segmented_radix_sort_implINS0_14default_configELb0EPKiPiPKlPlN2at6native12_GLOBAL__N_18offset_tEEE10hipError_tPvRmT1_PNSt15iterator_traitsISY_E10value_typeET2_T3_PNSZ_IS14_E10value_typeET4_jRbjT5_S1A_jjP12ihipStream_tbEUljE_EEESV_SW_SX_S14_S18_S1A_T6_T7_T9_mT8_S1C_bDpT10_ENKUlT_T0_E_clISt17integral_constantIbLb1EES1O_IbLb0EEEEDaS1K_S1L_EUlS1K_E_NS1_11comp_targetILNS1_3genE2ELNS1_11target_archE906ELNS1_3gpuE6ELNS1_3repE0EEENS1_30default_config_static_selectorELNS0_4arch9wavefront6targetE1EEEvSY_,comdat
.Lfunc_end588:
	.size	_ZN7rocprim17ROCPRIM_400000_NS6detail17trampoline_kernelINS0_13select_configILj256ELj13ELNS0_17block_load_methodE3ELS4_3ELS4_3ELNS0_20block_scan_algorithmE0ELj4294967295EEENS1_25partition_config_selectorILNS1_17partition_subalgoE3EjNS0_10empty_typeEbEEZZNS1_14partition_implILS8_3ELb0ES6_jNS0_17counting_iteratorIjlEEPS9_SE_NS0_5tupleIJPjSE_EEENSF_IJSE_SE_EEES9_SG_JZNS1_25segmented_radix_sort_implINS0_14default_configELb0EPKiPiPKlPlN2at6native12_GLOBAL__N_18offset_tEEE10hipError_tPvRmT1_PNSt15iterator_traitsISY_E10value_typeET2_T3_PNSZ_IS14_E10value_typeET4_jRbjT5_S1A_jjP12ihipStream_tbEUljE_EEESV_SW_SX_S14_S18_S1A_T6_T7_T9_mT8_S1C_bDpT10_ENKUlT_T0_E_clISt17integral_constantIbLb1EES1O_IbLb0EEEEDaS1K_S1L_EUlS1K_E_NS1_11comp_targetILNS1_3genE2ELNS1_11target_archE906ELNS1_3gpuE6ELNS1_3repE0EEENS1_30default_config_static_selectorELNS0_4arch9wavefront6targetE1EEEvSY_, .Lfunc_end588-_ZN7rocprim17ROCPRIM_400000_NS6detail17trampoline_kernelINS0_13select_configILj256ELj13ELNS0_17block_load_methodE3ELS4_3ELS4_3ELNS0_20block_scan_algorithmE0ELj4294967295EEENS1_25partition_config_selectorILNS1_17partition_subalgoE3EjNS0_10empty_typeEbEEZZNS1_14partition_implILS8_3ELb0ES6_jNS0_17counting_iteratorIjlEEPS9_SE_NS0_5tupleIJPjSE_EEENSF_IJSE_SE_EEES9_SG_JZNS1_25segmented_radix_sort_implINS0_14default_configELb0EPKiPiPKlPlN2at6native12_GLOBAL__N_18offset_tEEE10hipError_tPvRmT1_PNSt15iterator_traitsISY_E10value_typeET2_T3_PNSZ_IS14_E10value_typeET4_jRbjT5_S1A_jjP12ihipStream_tbEUljE_EEESV_SW_SX_S14_S18_S1A_T6_T7_T9_mT8_S1C_bDpT10_ENKUlT_T0_E_clISt17integral_constantIbLb1EES1O_IbLb0EEEEDaS1K_S1L_EUlS1K_E_NS1_11comp_targetILNS1_3genE2ELNS1_11target_archE906ELNS1_3gpuE6ELNS1_3repE0EEENS1_30default_config_static_selectorELNS0_4arch9wavefront6targetE1EEEvSY_
                                        ; -- End function
	.set _ZN7rocprim17ROCPRIM_400000_NS6detail17trampoline_kernelINS0_13select_configILj256ELj13ELNS0_17block_load_methodE3ELS4_3ELS4_3ELNS0_20block_scan_algorithmE0ELj4294967295EEENS1_25partition_config_selectorILNS1_17partition_subalgoE3EjNS0_10empty_typeEbEEZZNS1_14partition_implILS8_3ELb0ES6_jNS0_17counting_iteratorIjlEEPS9_SE_NS0_5tupleIJPjSE_EEENSF_IJSE_SE_EEES9_SG_JZNS1_25segmented_radix_sort_implINS0_14default_configELb0EPKiPiPKlPlN2at6native12_GLOBAL__N_18offset_tEEE10hipError_tPvRmT1_PNSt15iterator_traitsISY_E10value_typeET2_T3_PNSZ_IS14_E10value_typeET4_jRbjT5_S1A_jjP12ihipStream_tbEUljE_EEESV_SW_SX_S14_S18_S1A_T6_T7_T9_mT8_S1C_bDpT10_ENKUlT_T0_E_clISt17integral_constantIbLb1EES1O_IbLb0EEEEDaS1K_S1L_EUlS1K_E_NS1_11comp_targetILNS1_3genE2ELNS1_11target_archE906ELNS1_3gpuE6ELNS1_3repE0EEENS1_30default_config_static_selectorELNS0_4arch9wavefront6targetE1EEEvSY_.num_vgpr, 0
	.set _ZN7rocprim17ROCPRIM_400000_NS6detail17trampoline_kernelINS0_13select_configILj256ELj13ELNS0_17block_load_methodE3ELS4_3ELS4_3ELNS0_20block_scan_algorithmE0ELj4294967295EEENS1_25partition_config_selectorILNS1_17partition_subalgoE3EjNS0_10empty_typeEbEEZZNS1_14partition_implILS8_3ELb0ES6_jNS0_17counting_iteratorIjlEEPS9_SE_NS0_5tupleIJPjSE_EEENSF_IJSE_SE_EEES9_SG_JZNS1_25segmented_radix_sort_implINS0_14default_configELb0EPKiPiPKlPlN2at6native12_GLOBAL__N_18offset_tEEE10hipError_tPvRmT1_PNSt15iterator_traitsISY_E10value_typeET2_T3_PNSZ_IS14_E10value_typeET4_jRbjT5_S1A_jjP12ihipStream_tbEUljE_EEESV_SW_SX_S14_S18_S1A_T6_T7_T9_mT8_S1C_bDpT10_ENKUlT_T0_E_clISt17integral_constantIbLb1EES1O_IbLb0EEEEDaS1K_S1L_EUlS1K_E_NS1_11comp_targetILNS1_3genE2ELNS1_11target_archE906ELNS1_3gpuE6ELNS1_3repE0EEENS1_30default_config_static_selectorELNS0_4arch9wavefront6targetE1EEEvSY_.num_agpr, 0
	.set _ZN7rocprim17ROCPRIM_400000_NS6detail17trampoline_kernelINS0_13select_configILj256ELj13ELNS0_17block_load_methodE3ELS4_3ELS4_3ELNS0_20block_scan_algorithmE0ELj4294967295EEENS1_25partition_config_selectorILNS1_17partition_subalgoE3EjNS0_10empty_typeEbEEZZNS1_14partition_implILS8_3ELb0ES6_jNS0_17counting_iteratorIjlEEPS9_SE_NS0_5tupleIJPjSE_EEENSF_IJSE_SE_EEES9_SG_JZNS1_25segmented_radix_sort_implINS0_14default_configELb0EPKiPiPKlPlN2at6native12_GLOBAL__N_18offset_tEEE10hipError_tPvRmT1_PNSt15iterator_traitsISY_E10value_typeET2_T3_PNSZ_IS14_E10value_typeET4_jRbjT5_S1A_jjP12ihipStream_tbEUljE_EEESV_SW_SX_S14_S18_S1A_T6_T7_T9_mT8_S1C_bDpT10_ENKUlT_T0_E_clISt17integral_constantIbLb1EES1O_IbLb0EEEEDaS1K_S1L_EUlS1K_E_NS1_11comp_targetILNS1_3genE2ELNS1_11target_archE906ELNS1_3gpuE6ELNS1_3repE0EEENS1_30default_config_static_selectorELNS0_4arch9wavefront6targetE1EEEvSY_.numbered_sgpr, 0
	.set _ZN7rocprim17ROCPRIM_400000_NS6detail17trampoline_kernelINS0_13select_configILj256ELj13ELNS0_17block_load_methodE3ELS4_3ELS4_3ELNS0_20block_scan_algorithmE0ELj4294967295EEENS1_25partition_config_selectorILNS1_17partition_subalgoE3EjNS0_10empty_typeEbEEZZNS1_14partition_implILS8_3ELb0ES6_jNS0_17counting_iteratorIjlEEPS9_SE_NS0_5tupleIJPjSE_EEENSF_IJSE_SE_EEES9_SG_JZNS1_25segmented_radix_sort_implINS0_14default_configELb0EPKiPiPKlPlN2at6native12_GLOBAL__N_18offset_tEEE10hipError_tPvRmT1_PNSt15iterator_traitsISY_E10value_typeET2_T3_PNSZ_IS14_E10value_typeET4_jRbjT5_S1A_jjP12ihipStream_tbEUljE_EEESV_SW_SX_S14_S18_S1A_T6_T7_T9_mT8_S1C_bDpT10_ENKUlT_T0_E_clISt17integral_constantIbLb1EES1O_IbLb0EEEEDaS1K_S1L_EUlS1K_E_NS1_11comp_targetILNS1_3genE2ELNS1_11target_archE906ELNS1_3gpuE6ELNS1_3repE0EEENS1_30default_config_static_selectorELNS0_4arch9wavefront6targetE1EEEvSY_.num_named_barrier, 0
	.set _ZN7rocprim17ROCPRIM_400000_NS6detail17trampoline_kernelINS0_13select_configILj256ELj13ELNS0_17block_load_methodE3ELS4_3ELS4_3ELNS0_20block_scan_algorithmE0ELj4294967295EEENS1_25partition_config_selectorILNS1_17partition_subalgoE3EjNS0_10empty_typeEbEEZZNS1_14partition_implILS8_3ELb0ES6_jNS0_17counting_iteratorIjlEEPS9_SE_NS0_5tupleIJPjSE_EEENSF_IJSE_SE_EEES9_SG_JZNS1_25segmented_radix_sort_implINS0_14default_configELb0EPKiPiPKlPlN2at6native12_GLOBAL__N_18offset_tEEE10hipError_tPvRmT1_PNSt15iterator_traitsISY_E10value_typeET2_T3_PNSZ_IS14_E10value_typeET4_jRbjT5_S1A_jjP12ihipStream_tbEUljE_EEESV_SW_SX_S14_S18_S1A_T6_T7_T9_mT8_S1C_bDpT10_ENKUlT_T0_E_clISt17integral_constantIbLb1EES1O_IbLb0EEEEDaS1K_S1L_EUlS1K_E_NS1_11comp_targetILNS1_3genE2ELNS1_11target_archE906ELNS1_3gpuE6ELNS1_3repE0EEENS1_30default_config_static_selectorELNS0_4arch9wavefront6targetE1EEEvSY_.private_seg_size, 0
	.set _ZN7rocprim17ROCPRIM_400000_NS6detail17trampoline_kernelINS0_13select_configILj256ELj13ELNS0_17block_load_methodE3ELS4_3ELS4_3ELNS0_20block_scan_algorithmE0ELj4294967295EEENS1_25partition_config_selectorILNS1_17partition_subalgoE3EjNS0_10empty_typeEbEEZZNS1_14partition_implILS8_3ELb0ES6_jNS0_17counting_iteratorIjlEEPS9_SE_NS0_5tupleIJPjSE_EEENSF_IJSE_SE_EEES9_SG_JZNS1_25segmented_radix_sort_implINS0_14default_configELb0EPKiPiPKlPlN2at6native12_GLOBAL__N_18offset_tEEE10hipError_tPvRmT1_PNSt15iterator_traitsISY_E10value_typeET2_T3_PNSZ_IS14_E10value_typeET4_jRbjT5_S1A_jjP12ihipStream_tbEUljE_EEESV_SW_SX_S14_S18_S1A_T6_T7_T9_mT8_S1C_bDpT10_ENKUlT_T0_E_clISt17integral_constantIbLb1EES1O_IbLb0EEEEDaS1K_S1L_EUlS1K_E_NS1_11comp_targetILNS1_3genE2ELNS1_11target_archE906ELNS1_3gpuE6ELNS1_3repE0EEENS1_30default_config_static_selectorELNS0_4arch9wavefront6targetE1EEEvSY_.uses_vcc, 0
	.set _ZN7rocprim17ROCPRIM_400000_NS6detail17trampoline_kernelINS0_13select_configILj256ELj13ELNS0_17block_load_methodE3ELS4_3ELS4_3ELNS0_20block_scan_algorithmE0ELj4294967295EEENS1_25partition_config_selectorILNS1_17partition_subalgoE3EjNS0_10empty_typeEbEEZZNS1_14partition_implILS8_3ELb0ES6_jNS0_17counting_iteratorIjlEEPS9_SE_NS0_5tupleIJPjSE_EEENSF_IJSE_SE_EEES9_SG_JZNS1_25segmented_radix_sort_implINS0_14default_configELb0EPKiPiPKlPlN2at6native12_GLOBAL__N_18offset_tEEE10hipError_tPvRmT1_PNSt15iterator_traitsISY_E10value_typeET2_T3_PNSZ_IS14_E10value_typeET4_jRbjT5_S1A_jjP12ihipStream_tbEUljE_EEESV_SW_SX_S14_S18_S1A_T6_T7_T9_mT8_S1C_bDpT10_ENKUlT_T0_E_clISt17integral_constantIbLb1EES1O_IbLb0EEEEDaS1K_S1L_EUlS1K_E_NS1_11comp_targetILNS1_3genE2ELNS1_11target_archE906ELNS1_3gpuE6ELNS1_3repE0EEENS1_30default_config_static_selectorELNS0_4arch9wavefront6targetE1EEEvSY_.uses_flat_scratch, 0
	.set _ZN7rocprim17ROCPRIM_400000_NS6detail17trampoline_kernelINS0_13select_configILj256ELj13ELNS0_17block_load_methodE3ELS4_3ELS4_3ELNS0_20block_scan_algorithmE0ELj4294967295EEENS1_25partition_config_selectorILNS1_17partition_subalgoE3EjNS0_10empty_typeEbEEZZNS1_14partition_implILS8_3ELb0ES6_jNS0_17counting_iteratorIjlEEPS9_SE_NS0_5tupleIJPjSE_EEENSF_IJSE_SE_EEES9_SG_JZNS1_25segmented_radix_sort_implINS0_14default_configELb0EPKiPiPKlPlN2at6native12_GLOBAL__N_18offset_tEEE10hipError_tPvRmT1_PNSt15iterator_traitsISY_E10value_typeET2_T3_PNSZ_IS14_E10value_typeET4_jRbjT5_S1A_jjP12ihipStream_tbEUljE_EEESV_SW_SX_S14_S18_S1A_T6_T7_T9_mT8_S1C_bDpT10_ENKUlT_T0_E_clISt17integral_constantIbLb1EES1O_IbLb0EEEEDaS1K_S1L_EUlS1K_E_NS1_11comp_targetILNS1_3genE2ELNS1_11target_archE906ELNS1_3gpuE6ELNS1_3repE0EEENS1_30default_config_static_selectorELNS0_4arch9wavefront6targetE1EEEvSY_.has_dyn_sized_stack, 0
	.set _ZN7rocprim17ROCPRIM_400000_NS6detail17trampoline_kernelINS0_13select_configILj256ELj13ELNS0_17block_load_methodE3ELS4_3ELS4_3ELNS0_20block_scan_algorithmE0ELj4294967295EEENS1_25partition_config_selectorILNS1_17partition_subalgoE3EjNS0_10empty_typeEbEEZZNS1_14partition_implILS8_3ELb0ES6_jNS0_17counting_iteratorIjlEEPS9_SE_NS0_5tupleIJPjSE_EEENSF_IJSE_SE_EEES9_SG_JZNS1_25segmented_radix_sort_implINS0_14default_configELb0EPKiPiPKlPlN2at6native12_GLOBAL__N_18offset_tEEE10hipError_tPvRmT1_PNSt15iterator_traitsISY_E10value_typeET2_T3_PNSZ_IS14_E10value_typeET4_jRbjT5_S1A_jjP12ihipStream_tbEUljE_EEESV_SW_SX_S14_S18_S1A_T6_T7_T9_mT8_S1C_bDpT10_ENKUlT_T0_E_clISt17integral_constantIbLb1EES1O_IbLb0EEEEDaS1K_S1L_EUlS1K_E_NS1_11comp_targetILNS1_3genE2ELNS1_11target_archE906ELNS1_3gpuE6ELNS1_3repE0EEENS1_30default_config_static_selectorELNS0_4arch9wavefront6targetE1EEEvSY_.has_recursion, 0
	.set _ZN7rocprim17ROCPRIM_400000_NS6detail17trampoline_kernelINS0_13select_configILj256ELj13ELNS0_17block_load_methodE3ELS4_3ELS4_3ELNS0_20block_scan_algorithmE0ELj4294967295EEENS1_25partition_config_selectorILNS1_17partition_subalgoE3EjNS0_10empty_typeEbEEZZNS1_14partition_implILS8_3ELb0ES6_jNS0_17counting_iteratorIjlEEPS9_SE_NS0_5tupleIJPjSE_EEENSF_IJSE_SE_EEES9_SG_JZNS1_25segmented_radix_sort_implINS0_14default_configELb0EPKiPiPKlPlN2at6native12_GLOBAL__N_18offset_tEEE10hipError_tPvRmT1_PNSt15iterator_traitsISY_E10value_typeET2_T3_PNSZ_IS14_E10value_typeET4_jRbjT5_S1A_jjP12ihipStream_tbEUljE_EEESV_SW_SX_S14_S18_S1A_T6_T7_T9_mT8_S1C_bDpT10_ENKUlT_T0_E_clISt17integral_constantIbLb1EES1O_IbLb0EEEEDaS1K_S1L_EUlS1K_E_NS1_11comp_targetILNS1_3genE2ELNS1_11target_archE906ELNS1_3gpuE6ELNS1_3repE0EEENS1_30default_config_static_selectorELNS0_4arch9wavefront6targetE1EEEvSY_.has_indirect_call, 0
	.section	.AMDGPU.csdata,"",@progbits
; Kernel info:
; codeLenInByte = 4
; TotalNumSgprs: 4
; NumVgprs: 0
; ScratchSize: 0
; MemoryBound: 0
; FloatMode: 240
; IeeeMode: 1
; LDSByteSize: 0 bytes/workgroup (compile time only)
; SGPRBlocks: 0
; VGPRBlocks: 0
; NumSGPRsForWavesPerEU: 4
; NumVGPRsForWavesPerEU: 1
; Occupancy: 10
; WaveLimiterHint : 0
; COMPUTE_PGM_RSRC2:SCRATCH_EN: 0
; COMPUTE_PGM_RSRC2:USER_SGPR: 6
; COMPUTE_PGM_RSRC2:TRAP_HANDLER: 0
; COMPUTE_PGM_RSRC2:TGID_X_EN: 1
; COMPUTE_PGM_RSRC2:TGID_Y_EN: 0
; COMPUTE_PGM_RSRC2:TGID_Z_EN: 0
; COMPUTE_PGM_RSRC2:TIDIG_COMP_CNT: 0
	.section	.text._ZN7rocprim17ROCPRIM_400000_NS6detail17trampoline_kernelINS0_13select_configILj256ELj13ELNS0_17block_load_methodE3ELS4_3ELS4_3ELNS0_20block_scan_algorithmE0ELj4294967295EEENS1_25partition_config_selectorILNS1_17partition_subalgoE3EjNS0_10empty_typeEbEEZZNS1_14partition_implILS8_3ELb0ES6_jNS0_17counting_iteratorIjlEEPS9_SE_NS0_5tupleIJPjSE_EEENSF_IJSE_SE_EEES9_SG_JZNS1_25segmented_radix_sort_implINS0_14default_configELb0EPKiPiPKlPlN2at6native12_GLOBAL__N_18offset_tEEE10hipError_tPvRmT1_PNSt15iterator_traitsISY_E10value_typeET2_T3_PNSZ_IS14_E10value_typeET4_jRbjT5_S1A_jjP12ihipStream_tbEUljE_EEESV_SW_SX_S14_S18_S1A_T6_T7_T9_mT8_S1C_bDpT10_ENKUlT_T0_E_clISt17integral_constantIbLb1EES1O_IbLb0EEEEDaS1K_S1L_EUlS1K_E_NS1_11comp_targetILNS1_3genE10ELNS1_11target_archE1200ELNS1_3gpuE4ELNS1_3repE0EEENS1_30default_config_static_selectorELNS0_4arch9wavefront6targetE1EEEvSY_,"axG",@progbits,_ZN7rocprim17ROCPRIM_400000_NS6detail17trampoline_kernelINS0_13select_configILj256ELj13ELNS0_17block_load_methodE3ELS4_3ELS4_3ELNS0_20block_scan_algorithmE0ELj4294967295EEENS1_25partition_config_selectorILNS1_17partition_subalgoE3EjNS0_10empty_typeEbEEZZNS1_14partition_implILS8_3ELb0ES6_jNS0_17counting_iteratorIjlEEPS9_SE_NS0_5tupleIJPjSE_EEENSF_IJSE_SE_EEES9_SG_JZNS1_25segmented_radix_sort_implINS0_14default_configELb0EPKiPiPKlPlN2at6native12_GLOBAL__N_18offset_tEEE10hipError_tPvRmT1_PNSt15iterator_traitsISY_E10value_typeET2_T3_PNSZ_IS14_E10value_typeET4_jRbjT5_S1A_jjP12ihipStream_tbEUljE_EEESV_SW_SX_S14_S18_S1A_T6_T7_T9_mT8_S1C_bDpT10_ENKUlT_T0_E_clISt17integral_constantIbLb1EES1O_IbLb0EEEEDaS1K_S1L_EUlS1K_E_NS1_11comp_targetILNS1_3genE10ELNS1_11target_archE1200ELNS1_3gpuE4ELNS1_3repE0EEENS1_30default_config_static_selectorELNS0_4arch9wavefront6targetE1EEEvSY_,comdat
	.globl	_ZN7rocprim17ROCPRIM_400000_NS6detail17trampoline_kernelINS0_13select_configILj256ELj13ELNS0_17block_load_methodE3ELS4_3ELS4_3ELNS0_20block_scan_algorithmE0ELj4294967295EEENS1_25partition_config_selectorILNS1_17partition_subalgoE3EjNS0_10empty_typeEbEEZZNS1_14partition_implILS8_3ELb0ES6_jNS0_17counting_iteratorIjlEEPS9_SE_NS0_5tupleIJPjSE_EEENSF_IJSE_SE_EEES9_SG_JZNS1_25segmented_radix_sort_implINS0_14default_configELb0EPKiPiPKlPlN2at6native12_GLOBAL__N_18offset_tEEE10hipError_tPvRmT1_PNSt15iterator_traitsISY_E10value_typeET2_T3_PNSZ_IS14_E10value_typeET4_jRbjT5_S1A_jjP12ihipStream_tbEUljE_EEESV_SW_SX_S14_S18_S1A_T6_T7_T9_mT8_S1C_bDpT10_ENKUlT_T0_E_clISt17integral_constantIbLb1EES1O_IbLb0EEEEDaS1K_S1L_EUlS1K_E_NS1_11comp_targetILNS1_3genE10ELNS1_11target_archE1200ELNS1_3gpuE4ELNS1_3repE0EEENS1_30default_config_static_selectorELNS0_4arch9wavefront6targetE1EEEvSY_ ; -- Begin function _ZN7rocprim17ROCPRIM_400000_NS6detail17trampoline_kernelINS0_13select_configILj256ELj13ELNS0_17block_load_methodE3ELS4_3ELS4_3ELNS0_20block_scan_algorithmE0ELj4294967295EEENS1_25partition_config_selectorILNS1_17partition_subalgoE3EjNS0_10empty_typeEbEEZZNS1_14partition_implILS8_3ELb0ES6_jNS0_17counting_iteratorIjlEEPS9_SE_NS0_5tupleIJPjSE_EEENSF_IJSE_SE_EEES9_SG_JZNS1_25segmented_radix_sort_implINS0_14default_configELb0EPKiPiPKlPlN2at6native12_GLOBAL__N_18offset_tEEE10hipError_tPvRmT1_PNSt15iterator_traitsISY_E10value_typeET2_T3_PNSZ_IS14_E10value_typeET4_jRbjT5_S1A_jjP12ihipStream_tbEUljE_EEESV_SW_SX_S14_S18_S1A_T6_T7_T9_mT8_S1C_bDpT10_ENKUlT_T0_E_clISt17integral_constantIbLb1EES1O_IbLb0EEEEDaS1K_S1L_EUlS1K_E_NS1_11comp_targetILNS1_3genE10ELNS1_11target_archE1200ELNS1_3gpuE4ELNS1_3repE0EEENS1_30default_config_static_selectorELNS0_4arch9wavefront6targetE1EEEvSY_
	.p2align	8
	.type	_ZN7rocprim17ROCPRIM_400000_NS6detail17trampoline_kernelINS0_13select_configILj256ELj13ELNS0_17block_load_methodE3ELS4_3ELS4_3ELNS0_20block_scan_algorithmE0ELj4294967295EEENS1_25partition_config_selectorILNS1_17partition_subalgoE3EjNS0_10empty_typeEbEEZZNS1_14partition_implILS8_3ELb0ES6_jNS0_17counting_iteratorIjlEEPS9_SE_NS0_5tupleIJPjSE_EEENSF_IJSE_SE_EEES9_SG_JZNS1_25segmented_radix_sort_implINS0_14default_configELb0EPKiPiPKlPlN2at6native12_GLOBAL__N_18offset_tEEE10hipError_tPvRmT1_PNSt15iterator_traitsISY_E10value_typeET2_T3_PNSZ_IS14_E10value_typeET4_jRbjT5_S1A_jjP12ihipStream_tbEUljE_EEESV_SW_SX_S14_S18_S1A_T6_T7_T9_mT8_S1C_bDpT10_ENKUlT_T0_E_clISt17integral_constantIbLb1EES1O_IbLb0EEEEDaS1K_S1L_EUlS1K_E_NS1_11comp_targetILNS1_3genE10ELNS1_11target_archE1200ELNS1_3gpuE4ELNS1_3repE0EEENS1_30default_config_static_selectorELNS0_4arch9wavefront6targetE1EEEvSY_,@function
_ZN7rocprim17ROCPRIM_400000_NS6detail17trampoline_kernelINS0_13select_configILj256ELj13ELNS0_17block_load_methodE3ELS4_3ELS4_3ELNS0_20block_scan_algorithmE0ELj4294967295EEENS1_25partition_config_selectorILNS1_17partition_subalgoE3EjNS0_10empty_typeEbEEZZNS1_14partition_implILS8_3ELb0ES6_jNS0_17counting_iteratorIjlEEPS9_SE_NS0_5tupleIJPjSE_EEENSF_IJSE_SE_EEES9_SG_JZNS1_25segmented_radix_sort_implINS0_14default_configELb0EPKiPiPKlPlN2at6native12_GLOBAL__N_18offset_tEEE10hipError_tPvRmT1_PNSt15iterator_traitsISY_E10value_typeET2_T3_PNSZ_IS14_E10value_typeET4_jRbjT5_S1A_jjP12ihipStream_tbEUljE_EEESV_SW_SX_S14_S18_S1A_T6_T7_T9_mT8_S1C_bDpT10_ENKUlT_T0_E_clISt17integral_constantIbLb1EES1O_IbLb0EEEEDaS1K_S1L_EUlS1K_E_NS1_11comp_targetILNS1_3genE10ELNS1_11target_archE1200ELNS1_3gpuE4ELNS1_3repE0EEENS1_30default_config_static_selectorELNS0_4arch9wavefront6targetE1EEEvSY_: ; @_ZN7rocprim17ROCPRIM_400000_NS6detail17trampoline_kernelINS0_13select_configILj256ELj13ELNS0_17block_load_methodE3ELS4_3ELS4_3ELNS0_20block_scan_algorithmE0ELj4294967295EEENS1_25partition_config_selectorILNS1_17partition_subalgoE3EjNS0_10empty_typeEbEEZZNS1_14partition_implILS8_3ELb0ES6_jNS0_17counting_iteratorIjlEEPS9_SE_NS0_5tupleIJPjSE_EEENSF_IJSE_SE_EEES9_SG_JZNS1_25segmented_radix_sort_implINS0_14default_configELb0EPKiPiPKlPlN2at6native12_GLOBAL__N_18offset_tEEE10hipError_tPvRmT1_PNSt15iterator_traitsISY_E10value_typeET2_T3_PNSZ_IS14_E10value_typeET4_jRbjT5_S1A_jjP12ihipStream_tbEUljE_EEESV_SW_SX_S14_S18_S1A_T6_T7_T9_mT8_S1C_bDpT10_ENKUlT_T0_E_clISt17integral_constantIbLb1EES1O_IbLb0EEEEDaS1K_S1L_EUlS1K_E_NS1_11comp_targetILNS1_3genE10ELNS1_11target_archE1200ELNS1_3gpuE4ELNS1_3repE0EEENS1_30default_config_static_selectorELNS0_4arch9wavefront6targetE1EEEvSY_
; %bb.0:
	.section	.rodata,"a",@progbits
	.p2align	6, 0x0
	.amdhsa_kernel _ZN7rocprim17ROCPRIM_400000_NS6detail17trampoline_kernelINS0_13select_configILj256ELj13ELNS0_17block_load_methodE3ELS4_3ELS4_3ELNS0_20block_scan_algorithmE0ELj4294967295EEENS1_25partition_config_selectorILNS1_17partition_subalgoE3EjNS0_10empty_typeEbEEZZNS1_14partition_implILS8_3ELb0ES6_jNS0_17counting_iteratorIjlEEPS9_SE_NS0_5tupleIJPjSE_EEENSF_IJSE_SE_EEES9_SG_JZNS1_25segmented_radix_sort_implINS0_14default_configELb0EPKiPiPKlPlN2at6native12_GLOBAL__N_18offset_tEEE10hipError_tPvRmT1_PNSt15iterator_traitsISY_E10value_typeET2_T3_PNSZ_IS14_E10value_typeET4_jRbjT5_S1A_jjP12ihipStream_tbEUljE_EEESV_SW_SX_S14_S18_S1A_T6_T7_T9_mT8_S1C_bDpT10_ENKUlT_T0_E_clISt17integral_constantIbLb1EES1O_IbLb0EEEEDaS1K_S1L_EUlS1K_E_NS1_11comp_targetILNS1_3genE10ELNS1_11target_archE1200ELNS1_3gpuE4ELNS1_3repE0EEENS1_30default_config_static_selectorELNS0_4arch9wavefront6targetE1EEEvSY_
		.amdhsa_group_segment_fixed_size 0
		.amdhsa_private_segment_fixed_size 0
		.amdhsa_kernarg_size 144
		.amdhsa_user_sgpr_count 6
		.amdhsa_user_sgpr_private_segment_buffer 1
		.amdhsa_user_sgpr_dispatch_ptr 0
		.amdhsa_user_sgpr_queue_ptr 0
		.amdhsa_user_sgpr_kernarg_segment_ptr 1
		.amdhsa_user_sgpr_dispatch_id 0
		.amdhsa_user_sgpr_flat_scratch_init 0
		.amdhsa_user_sgpr_private_segment_size 0
		.amdhsa_uses_dynamic_stack 0
		.amdhsa_system_sgpr_private_segment_wavefront_offset 0
		.amdhsa_system_sgpr_workgroup_id_x 1
		.amdhsa_system_sgpr_workgroup_id_y 0
		.amdhsa_system_sgpr_workgroup_id_z 0
		.amdhsa_system_sgpr_workgroup_info 0
		.amdhsa_system_vgpr_workitem_id 0
		.amdhsa_next_free_vgpr 1
		.amdhsa_next_free_sgpr 0
		.amdhsa_reserve_vcc 0
		.amdhsa_reserve_flat_scratch 0
		.amdhsa_float_round_mode_32 0
		.amdhsa_float_round_mode_16_64 0
		.amdhsa_float_denorm_mode_32 3
		.amdhsa_float_denorm_mode_16_64 3
		.amdhsa_dx10_clamp 1
		.amdhsa_ieee_mode 1
		.amdhsa_fp16_overflow 0
		.amdhsa_exception_fp_ieee_invalid_op 0
		.amdhsa_exception_fp_denorm_src 0
		.amdhsa_exception_fp_ieee_div_zero 0
		.amdhsa_exception_fp_ieee_overflow 0
		.amdhsa_exception_fp_ieee_underflow 0
		.amdhsa_exception_fp_ieee_inexact 0
		.amdhsa_exception_int_div_zero 0
	.end_amdhsa_kernel
	.section	.text._ZN7rocprim17ROCPRIM_400000_NS6detail17trampoline_kernelINS0_13select_configILj256ELj13ELNS0_17block_load_methodE3ELS4_3ELS4_3ELNS0_20block_scan_algorithmE0ELj4294967295EEENS1_25partition_config_selectorILNS1_17partition_subalgoE3EjNS0_10empty_typeEbEEZZNS1_14partition_implILS8_3ELb0ES6_jNS0_17counting_iteratorIjlEEPS9_SE_NS0_5tupleIJPjSE_EEENSF_IJSE_SE_EEES9_SG_JZNS1_25segmented_radix_sort_implINS0_14default_configELb0EPKiPiPKlPlN2at6native12_GLOBAL__N_18offset_tEEE10hipError_tPvRmT1_PNSt15iterator_traitsISY_E10value_typeET2_T3_PNSZ_IS14_E10value_typeET4_jRbjT5_S1A_jjP12ihipStream_tbEUljE_EEESV_SW_SX_S14_S18_S1A_T6_T7_T9_mT8_S1C_bDpT10_ENKUlT_T0_E_clISt17integral_constantIbLb1EES1O_IbLb0EEEEDaS1K_S1L_EUlS1K_E_NS1_11comp_targetILNS1_3genE10ELNS1_11target_archE1200ELNS1_3gpuE4ELNS1_3repE0EEENS1_30default_config_static_selectorELNS0_4arch9wavefront6targetE1EEEvSY_,"axG",@progbits,_ZN7rocprim17ROCPRIM_400000_NS6detail17trampoline_kernelINS0_13select_configILj256ELj13ELNS0_17block_load_methodE3ELS4_3ELS4_3ELNS0_20block_scan_algorithmE0ELj4294967295EEENS1_25partition_config_selectorILNS1_17partition_subalgoE3EjNS0_10empty_typeEbEEZZNS1_14partition_implILS8_3ELb0ES6_jNS0_17counting_iteratorIjlEEPS9_SE_NS0_5tupleIJPjSE_EEENSF_IJSE_SE_EEES9_SG_JZNS1_25segmented_radix_sort_implINS0_14default_configELb0EPKiPiPKlPlN2at6native12_GLOBAL__N_18offset_tEEE10hipError_tPvRmT1_PNSt15iterator_traitsISY_E10value_typeET2_T3_PNSZ_IS14_E10value_typeET4_jRbjT5_S1A_jjP12ihipStream_tbEUljE_EEESV_SW_SX_S14_S18_S1A_T6_T7_T9_mT8_S1C_bDpT10_ENKUlT_T0_E_clISt17integral_constantIbLb1EES1O_IbLb0EEEEDaS1K_S1L_EUlS1K_E_NS1_11comp_targetILNS1_3genE10ELNS1_11target_archE1200ELNS1_3gpuE4ELNS1_3repE0EEENS1_30default_config_static_selectorELNS0_4arch9wavefront6targetE1EEEvSY_,comdat
.Lfunc_end589:
	.size	_ZN7rocprim17ROCPRIM_400000_NS6detail17trampoline_kernelINS0_13select_configILj256ELj13ELNS0_17block_load_methodE3ELS4_3ELS4_3ELNS0_20block_scan_algorithmE0ELj4294967295EEENS1_25partition_config_selectorILNS1_17partition_subalgoE3EjNS0_10empty_typeEbEEZZNS1_14partition_implILS8_3ELb0ES6_jNS0_17counting_iteratorIjlEEPS9_SE_NS0_5tupleIJPjSE_EEENSF_IJSE_SE_EEES9_SG_JZNS1_25segmented_radix_sort_implINS0_14default_configELb0EPKiPiPKlPlN2at6native12_GLOBAL__N_18offset_tEEE10hipError_tPvRmT1_PNSt15iterator_traitsISY_E10value_typeET2_T3_PNSZ_IS14_E10value_typeET4_jRbjT5_S1A_jjP12ihipStream_tbEUljE_EEESV_SW_SX_S14_S18_S1A_T6_T7_T9_mT8_S1C_bDpT10_ENKUlT_T0_E_clISt17integral_constantIbLb1EES1O_IbLb0EEEEDaS1K_S1L_EUlS1K_E_NS1_11comp_targetILNS1_3genE10ELNS1_11target_archE1200ELNS1_3gpuE4ELNS1_3repE0EEENS1_30default_config_static_selectorELNS0_4arch9wavefront6targetE1EEEvSY_, .Lfunc_end589-_ZN7rocprim17ROCPRIM_400000_NS6detail17trampoline_kernelINS0_13select_configILj256ELj13ELNS0_17block_load_methodE3ELS4_3ELS4_3ELNS0_20block_scan_algorithmE0ELj4294967295EEENS1_25partition_config_selectorILNS1_17partition_subalgoE3EjNS0_10empty_typeEbEEZZNS1_14partition_implILS8_3ELb0ES6_jNS0_17counting_iteratorIjlEEPS9_SE_NS0_5tupleIJPjSE_EEENSF_IJSE_SE_EEES9_SG_JZNS1_25segmented_radix_sort_implINS0_14default_configELb0EPKiPiPKlPlN2at6native12_GLOBAL__N_18offset_tEEE10hipError_tPvRmT1_PNSt15iterator_traitsISY_E10value_typeET2_T3_PNSZ_IS14_E10value_typeET4_jRbjT5_S1A_jjP12ihipStream_tbEUljE_EEESV_SW_SX_S14_S18_S1A_T6_T7_T9_mT8_S1C_bDpT10_ENKUlT_T0_E_clISt17integral_constantIbLb1EES1O_IbLb0EEEEDaS1K_S1L_EUlS1K_E_NS1_11comp_targetILNS1_3genE10ELNS1_11target_archE1200ELNS1_3gpuE4ELNS1_3repE0EEENS1_30default_config_static_selectorELNS0_4arch9wavefront6targetE1EEEvSY_
                                        ; -- End function
	.set _ZN7rocprim17ROCPRIM_400000_NS6detail17trampoline_kernelINS0_13select_configILj256ELj13ELNS0_17block_load_methodE3ELS4_3ELS4_3ELNS0_20block_scan_algorithmE0ELj4294967295EEENS1_25partition_config_selectorILNS1_17partition_subalgoE3EjNS0_10empty_typeEbEEZZNS1_14partition_implILS8_3ELb0ES6_jNS0_17counting_iteratorIjlEEPS9_SE_NS0_5tupleIJPjSE_EEENSF_IJSE_SE_EEES9_SG_JZNS1_25segmented_radix_sort_implINS0_14default_configELb0EPKiPiPKlPlN2at6native12_GLOBAL__N_18offset_tEEE10hipError_tPvRmT1_PNSt15iterator_traitsISY_E10value_typeET2_T3_PNSZ_IS14_E10value_typeET4_jRbjT5_S1A_jjP12ihipStream_tbEUljE_EEESV_SW_SX_S14_S18_S1A_T6_T7_T9_mT8_S1C_bDpT10_ENKUlT_T0_E_clISt17integral_constantIbLb1EES1O_IbLb0EEEEDaS1K_S1L_EUlS1K_E_NS1_11comp_targetILNS1_3genE10ELNS1_11target_archE1200ELNS1_3gpuE4ELNS1_3repE0EEENS1_30default_config_static_selectorELNS0_4arch9wavefront6targetE1EEEvSY_.num_vgpr, 0
	.set _ZN7rocprim17ROCPRIM_400000_NS6detail17trampoline_kernelINS0_13select_configILj256ELj13ELNS0_17block_load_methodE3ELS4_3ELS4_3ELNS0_20block_scan_algorithmE0ELj4294967295EEENS1_25partition_config_selectorILNS1_17partition_subalgoE3EjNS0_10empty_typeEbEEZZNS1_14partition_implILS8_3ELb0ES6_jNS0_17counting_iteratorIjlEEPS9_SE_NS0_5tupleIJPjSE_EEENSF_IJSE_SE_EEES9_SG_JZNS1_25segmented_radix_sort_implINS0_14default_configELb0EPKiPiPKlPlN2at6native12_GLOBAL__N_18offset_tEEE10hipError_tPvRmT1_PNSt15iterator_traitsISY_E10value_typeET2_T3_PNSZ_IS14_E10value_typeET4_jRbjT5_S1A_jjP12ihipStream_tbEUljE_EEESV_SW_SX_S14_S18_S1A_T6_T7_T9_mT8_S1C_bDpT10_ENKUlT_T0_E_clISt17integral_constantIbLb1EES1O_IbLb0EEEEDaS1K_S1L_EUlS1K_E_NS1_11comp_targetILNS1_3genE10ELNS1_11target_archE1200ELNS1_3gpuE4ELNS1_3repE0EEENS1_30default_config_static_selectorELNS0_4arch9wavefront6targetE1EEEvSY_.num_agpr, 0
	.set _ZN7rocprim17ROCPRIM_400000_NS6detail17trampoline_kernelINS0_13select_configILj256ELj13ELNS0_17block_load_methodE3ELS4_3ELS4_3ELNS0_20block_scan_algorithmE0ELj4294967295EEENS1_25partition_config_selectorILNS1_17partition_subalgoE3EjNS0_10empty_typeEbEEZZNS1_14partition_implILS8_3ELb0ES6_jNS0_17counting_iteratorIjlEEPS9_SE_NS0_5tupleIJPjSE_EEENSF_IJSE_SE_EEES9_SG_JZNS1_25segmented_radix_sort_implINS0_14default_configELb0EPKiPiPKlPlN2at6native12_GLOBAL__N_18offset_tEEE10hipError_tPvRmT1_PNSt15iterator_traitsISY_E10value_typeET2_T3_PNSZ_IS14_E10value_typeET4_jRbjT5_S1A_jjP12ihipStream_tbEUljE_EEESV_SW_SX_S14_S18_S1A_T6_T7_T9_mT8_S1C_bDpT10_ENKUlT_T0_E_clISt17integral_constantIbLb1EES1O_IbLb0EEEEDaS1K_S1L_EUlS1K_E_NS1_11comp_targetILNS1_3genE10ELNS1_11target_archE1200ELNS1_3gpuE4ELNS1_3repE0EEENS1_30default_config_static_selectorELNS0_4arch9wavefront6targetE1EEEvSY_.numbered_sgpr, 0
	.set _ZN7rocprim17ROCPRIM_400000_NS6detail17trampoline_kernelINS0_13select_configILj256ELj13ELNS0_17block_load_methodE3ELS4_3ELS4_3ELNS0_20block_scan_algorithmE0ELj4294967295EEENS1_25partition_config_selectorILNS1_17partition_subalgoE3EjNS0_10empty_typeEbEEZZNS1_14partition_implILS8_3ELb0ES6_jNS0_17counting_iteratorIjlEEPS9_SE_NS0_5tupleIJPjSE_EEENSF_IJSE_SE_EEES9_SG_JZNS1_25segmented_radix_sort_implINS0_14default_configELb0EPKiPiPKlPlN2at6native12_GLOBAL__N_18offset_tEEE10hipError_tPvRmT1_PNSt15iterator_traitsISY_E10value_typeET2_T3_PNSZ_IS14_E10value_typeET4_jRbjT5_S1A_jjP12ihipStream_tbEUljE_EEESV_SW_SX_S14_S18_S1A_T6_T7_T9_mT8_S1C_bDpT10_ENKUlT_T0_E_clISt17integral_constantIbLb1EES1O_IbLb0EEEEDaS1K_S1L_EUlS1K_E_NS1_11comp_targetILNS1_3genE10ELNS1_11target_archE1200ELNS1_3gpuE4ELNS1_3repE0EEENS1_30default_config_static_selectorELNS0_4arch9wavefront6targetE1EEEvSY_.num_named_barrier, 0
	.set _ZN7rocprim17ROCPRIM_400000_NS6detail17trampoline_kernelINS0_13select_configILj256ELj13ELNS0_17block_load_methodE3ELS4_3ELS4_3ELNS0_20block_scan_algorithmE0ELj4294967295EEENS1_25partition_config_selectorILNS1_17partition_subalgoE3EjNS0_10empty_typeEbEEZZNS1_14partition_implILS8_3ELb0ES6_jNS0_17counting_iteratorIjlEEPS9_SE_NS0_5tupleIJPjSE_EEENSF_IJSE_SE_EEES9_SG_JZNS1_25segmented_radix_sort_implINS0_14default_configELb0EPKiPiPKlPlN2at6native12_GLOBAL__N_18offset_tEEE10hipError_tPvRmT1_PNSt15iterator_traitsISY_E10value_typeET2_T3_PNSZ_IS14_E10value_typeET4_jRbjT5_S1A_jjP12ihipStream_tbEUljE_EEESV_SW_SX_S14_S18_S1A_T6_T7_T9_mT8_S1C_bDpT10_ENKUlT_T0_E_clISt17integral_constantIbLb1EES1O_IbLb0EEEEDaS1K_S1L_EUlS1K_E_NS1_11comp_targetILNS1_3genE10ELNS1_11target_archE1200ELNS1_3gpuE4ELNS1_3repE0EEENS1_30default_config_static_selectorELNS0_4arch9wavefront6targetE1EEEvSY_.private_seg_size, 0
	.set _ZN7rocprim17ROCPRIM_400000_NS6detail17trampoline_kernelINS0_13select_configILj256ELj13ELNS0_17block_load_methodE3ELS4_3ELS4_3ELNS0_20block_scan_algorithmE0ELj4294967295EEENS1_25partition_config_selectorILNS1_17partition_subalgoE3EjNS0_10empty_typeEbEEZZNS1_14partition_implILS8_3ELb0ES6_jNS0_17counting_iteratorIjlEEPS9_SE_NS0_5tupleIJPjSE_EEENSF_IJSE_SE_EEES9_SG_JZNS1_25segmented_radix_sort_implINS0_14default_configELb0EPKiPiPKlPlN2at6native12_GLOBAL__N_18offset_tEEE10hipError_tPvRmT1_PNSt15iterator_traitsISY_E10value_typeET2_T3_PNSZ_IS14_E10value_typeET4_jRbjT5_S1A_jjP12ihipStream_tbEUljE_EEESV_SW_SX_S14_S18_S1A_T6_T7_T9_mT8_S1C_bDpT10_ENKUlT_T0_E_clISt17integral_constantIbLb1EES1O_IbLb0EEEEDaS1K_S1L_EUlS1K_E_NS1_11comp_targetILNS1_3genE10ELNS1_11target_archE1200ELNS1_3gpuE4ELNS1_3repE0EEENS1_30default_config_static_selectorELNS0_4arch9wavefront6targetE1EEEvSY_.uses_vcc, 0
	.set _ZN7rocprim17ROCPRIM_400000_NS6detail17trampoline_kernelINS0_13select_configILj256ELj13ELNS0_17block_load_methodE3ELS4_3ELS4_3ELNS0_20block_scan_algorithmE0ELj4294967295EEENS1_25partition_config_selectorILNS1_17partition_subalgoE3EjNS0_10empty_typeEbEEZZNS1_14partition_implILS8_3ELb0ES6_jNS0_17counting_iteratorIjlEEPS9_SE_NS0_5tupleIJPjSE_EEENSF_IJSE_SE_EEES9_SG_JZNS1_25segmented_radix_sort_implINS0_14default_configELb0EPKiPiPKlPlN2at6native12_GLOBAL__N_18offset_tEEE10hipError_tPvRmT1_PNSt15iterator_traitsISY_E10value_typeET2_T3_PNSZ_IS14_E10value_typeET4_jRbjT5_S1A_jjP12ihipStream_tbEUljE_EEESV_SW_SX_S14_S18_S1A_T6_T7_T9_mT8_S1C_bDpT10_ENKUlT_T0_E_clISt17integral_constantIbLb1EES1O_IbLb0EEEEDaS1K_S1L_EUlS1K_E_NS1_11comp_targetILNS1_3genE10ELNS1_11target_archE1200ELNS1_3gpuE4ELNS1_3repE0EEENS1_30default_config_static_selectorELNS0_4arch9wavefront6targetE1EEEvSY_.uses_flat_scratch, 0
	.set _ZN7rocprim17ROCPRIM_400000_NS6detail17trampoline_kernelINS0_13select_configILj256ELj13ELNS0_17block_load_methodE3ELS4_3ELS4_3ELNS0_20block_scan_algorithmE0ELj4294967295EEENS1_25partition_config_selectorILNS1_17partition_subalgoE3EjNS0_10empty_typeEbEEZZNS1_14partition_implILS8_3ELb0ES6_jNS0_17counting_iteratorIjlEEPS9_SE_NS0_5tupleIJPjSE_EEENSF_IJSE_SE_EEES9_SG_JZNS1_25segmented_radix_sort_implINS0_14default_configELb0EPKiPiPKlPlN2at6native12_GLOBAL__N_18offset_tEEE10hipError_tPvRmT1_PNSt15iterator_traitsISY_E10value_typeET2_T3_PNSZ_IS14_E10value_typeET4_jRbjT5_S1A_jjP12ihipStream_tbEUljE_EEESV_SW_SX_S14_S18_S1A_T6_T7_T9_mT8_S1C_bDpT10_ENKUlT_T0_E_clISt17integral_constantIbLb1EES1O_IbLb0EEEEDaS1K_S1L_EUlS1K_E_NS1_11comp_targetILNS1_3genE10ELNS1_11target_archE1200ELNS1_3gpuE4ELNS1_3repE0EEENS1_30default_config_static_selectorELNS0_4arch9wavefront6targetE1EEEvSY_.has_dyn_sized_stack, 0
	.set _ZN7rocprim17ROCPRIM_400000_NS6detail17trampoline_kernelINS0_13select_configILj256ELj13ELNS0_17block_load_methodE3ELS4_3ELS4_3ELNS0_20block_scan_algorithmE0ELj4294967295EEENS1_25partition_config_selectorILNS1_17partition_subalgoE3EjNS0_10empty_typeEbEEZZNS1_14partition_implILS8_3ELb0ES6_jNS0_17counting_iteratorIjlEEPS9_SE_NS0_5tupleIJPjSE_EEENSF_IJSE_SE_EEES9_SG_JZNS1_25segmented_radix_sort_implINS0_14default_configELb0EPKiPiPKlPlN2at6native12_GLOBAL__N_18offset_tEEE10hipError_tPvRmT1_PNSt15iterator_traitsISY_E10value_typeET2_T3_PNSZ_IS14_E10value_typeET4_jRbjT5_S1A_jjP12ihipStream_tbEUljE_EEESV_SW_SX_S14_S18_S1A_T6_T7_T9_mT8_S1C_bDpT10_ENKUlT_T0_E_clISt17integral_constantIbLb1EES1O_IbLb0EEEEDaS1K_S1L_EUlS1K_E_NS1_11comp_targetILNS1_3genE10ELNS1_11target_archE1200ELNS1_3gpuE4ELNS1_3repE0EEENS1_30default_config_static_selectorELNS0_4arch9wavefront6targetE1EEEvSY_.has_recursion, 0
	.set _ZN7rocprim17ROCPRIM_400000_NS6detail17trampoline_kernelINS0_13select_configILj256ELj13ELNS0_17block_load_methodE3ELS4_3ELS4_3ELNS0_20block_scan_algorithmE0ELj4294967295EEENS1_25partition_config_selectorILNS1_17partition_subalgoE3EjNS0_10empty_typeEbEEZZNS1_14partition_implILS8_3ELb0ES6_jNS0_17counting_iteratorIjlEEPS9_SE_NS0_5tupleIJPjSE_EEENSF_IJSE_SE_EEES9_SG_JZNS1_25segmented_radix_sort_implINS0_14default_configELb0EPKiPiPKlPlN2at6native12_GLOBAL__N_18offset_tEEE10hipError_tPvRmT1_PNSt15iterator_traitsISY_E10value_typeET2_T3_PNSZ_IS14_E10value_typeET4_jRbjT5_S1A_jjP12ihipStream_tbEUljE_EEESV_SW_SX_S14_S18_S1A_T6_T7_T9_mT8_S1C_bDpT10_ENKUlT_T0_E_clISt17integral_constantIbLb1EES1O_IbLb0EEEEDaS1K_S1L_EUlS1K_E_NS1_11comp_targetILNS1_3genE10ELNS1_11target_archE1200ELNS1_3gpuE4ELNS1_3repE0EEENS1_30default_config_static_selectorELNS0_4arch9wavefront6targetE1EEEvSY_.has_indirect_call, 0
	.section	.AMDGPU.csdata,"",@progbits
; Kernel info:
; codeLenInByte = 0
; TotalNumSgprs: 4
; NumVgprs: 0
; ScratchSize: 0
; MemoryBound: 0
; FloatMode: 240
; IeeeMode: 1
; LDSByteSize: 0 bytes/workgroup (compile time only)
; SGPRBlocks: 0
; VGPRBlocks: 0
; NumSGPRsForWavesPerEU: 4
; NumVGPRsForWavesPerEU: 1
; Occupancy: 10
; WaveLimiterHint : 0
; COMPUTE_PGM_RSRC2:SCRATCH_EN: 0
; COMPUTE_PGM_RSRC2:USER_SGPR: 6
; COMPUTE_PGM_RSRC2:TRAP_HANDLER: 0
; COMPUTE_PGM_RSRC2:TGID_X_EN: 1
; COMPUTE_PGM_RSRC2:TGID_Y_EN: 0
; COMPUTE_PGM_RSRC2:TGID_Z_EN: 0
; COMPUTE_PGM_RSRC2:TIDIG_COMP_CNT: 0
	.section	.text._ZN7rocprim17ROCPRIM_400000_NS6detail17trampoline_kernelINS0_13select_configILj256ELj13ELNS0_17block_load_methodE3ELS4_3ELS4_3ELNS0_20block_scan_algorithmE0ELj4294967295EEENS1_25partition_config_selectorILNS1_17partition_subalgoE3EjNS0_10empty_typeEbEEZZNS1_14partition_implILS8_3ELb0ES6_jNS0_17counting_iteratorIjlEEPS9_SE_NS0_5tupleIJPjSE_EEENSF_IJSE_SE_EEES9_SG_JZNS1_25segmented_radix_sort_implINS0_14default_configELb0EPKiPiPKlPlN2at6native12_GLOBAL__N_18offset_tEEE10hipError_tPvRmT1_PNSt15iterator_traitsISY_E10value_typeET2_T3_PNSZ_IS14_E10value_typeET4_jRbjT5_S1A_jjP12ihipStream_tbEUljE_EEESV_SW_SX_S14_S18_S1A_T6_T7_T9_mT8_S1C_bDpT10_ENKUlT_T0_E_clISt17integral_constantIbLb1EES1O_IbLb0EEEEDaS1K_S1L_EUlS1K_E_NS1_11comp_targetILNS1_3genE9ELNS1_11target_archE1100ELNS1_3gpuE3ELNS1_3repE0EEENS1_30default_config_static_selectorELNS0_4arch9wavefront6targetE1EEEvSY_,"axG",@progbits,_ZN7rocprim17ROCPRIM_400000_NS6detail17trampoline_kernelINS0_13select_configILj256ELj13ELNS0_17block_load_methodE3ELS4_3ELS4_3ELNS0_20block_scan_algorithmE0ELj4294967295EEENS1_25partition_config_selectorILNS1_17partition_subalgoE3EjNS0_10empty_typeEbEEZZNS1_14partition_implILS8_3ELb0ES6_jNS0_17counting_iteratorIjlEEPS9_SE_NS0_5tupleIJPjSE_EEENSF_IJSE_SE_EEES9_SG_JZNS1_25segmented_radix_sort_implINS0_14default_configELb0EPKiPiPKlPlN2at6native12_GLOBAL__N_18offset_tEEE10hipError_tPvRmT1_PNSt15iterator_traitsISY_E10value_typeET2_T3_PNSZ_IS14_E10value_typeET4_jRbjT5_S1A_jjP12ihipStream_tbEUljE_EEESV_SW_SX_S14_S18_S1A_T6_T7_T9_mT8_S1C_bDpT10_ENKUlT_T0_E_clISt17integral_constantIbLb1EES1O_IbLb0EEEEDaS1K_S1L_EUlS1K_E_NS1_11comp_targetILNS1_3genE9ELNS1_11target_archE1100ELNS1_3gpuE3ELNS1_3repE0EEENS1_30default_config_static_selectorELNS0_4arch9wavefront6targetE1EEEvSY_,comdat
	.globl	_ZN7rocprim17ROCPRIM_400000_NS6detail17trampoline_kernelINS0_13select_configILj256ELj13ELNS0_17block_load_methodE3ELS4_3ELS4_3ELNS0_20block_scan_algorithmE0ELj4294967295EEENS1_25partition_config_selectorILNS1_17partition_subalgoE3EjNS0_10empty_typeEbEEZZNS1_14partition_implILS8_3ELb0ES6_jNS0_17counting_iteratorIjlEEPS9_SE_NS0_5tupleIJPjSE_EEENSF_IJSE_SE_EEES9_SG_JZNS1_25segmented_radix_sort_implINS0_14default_configELb0EPKiPiPKlPlN2at6native12_GLOBAL__N_18offset_tEEE10hipError_tPvRmT1_PNSt15iterator_traitsISY_E10value_typeET2_T3_PNSZ_IS14_E10value_typeET4_jRbjT5_S1A_jjP12ihipStream_tbEUljE_EEESV_SW_SX_S14_S18_S1A_T6_T7_T9_mT8_S1C_bDpT10_ENKUlT_T0_E_clISt17integral_constantIbLb1EES1O_IbLb0EEEEDaS1K_S1L_EUlS1K_E_NS1_11comp_targetILNS1_3genE9ELNS1_11target_archE1100ELNS1_3gpuE3ELNS1_3repE0EEENS1_30default_config_static_selectorELNS0_4arch9wavefront6targetE1EEEvSY_ ; -- Begin function _ZN7rocprim17ROCPRIM_400000_NS6detail17trampoline_kernelINS0_13select_configILj256ELj13ELNS0_17block_load_methodE3ELS4_3ELS4_3ELNS0_20block_scan_algorithmE0ELj4294967295EEENS1_25partition_config_selectorILNS1_17partition_subalgoE3EjNS0_10empty_typeEbEEZZNS1_14partition_implILS8_3ELb0ES6_jNS0_17counting_iteratorIjlEEPS9_SE_NS0_5tupleIJPjSE_EEENSF_IJSE_SE_EEES9_SG_JZNS1_25segmented_radix_sort_implINS0_14default_configELb0EPKiPiPKlPlN2at6native12_GLOBAL__N_18offset_tEEE10hipError_tPvRmT1_PNSt15iterator_traitsISY_E10value_typeET2_T3_PNSZ_IS14_E10value_typeET4_jRbjT5_S1A_jjP12ihipStream_tbEUljE_EEESV_SW_SX_S14_S18_S1A_T6_T7_T9_mT8_S1C_bDpT10_ENKUlT_T0_E_clISt17integral_constantIbLb1EES1O_IbLb0EEEEDaS1K_S1L_EUlS1K_E_NS1_11comp_targetILNS1_3genE9ELNS1_11target_archE1100ELNS1_3gpuE3ELNS1_3repE0EEENS1_30default_config_static_selectorELNS0_4arch9wavefront6targetE1EEEvSY_
	.p2align	8
	.type	_ZN7rocprim17ROCPRIM_400000_NS6detail17trampoline_kernelINS0_13select_configILj256ELj13ELNS0_17block_load_methodE3ELS4_3ELS4_3ELNS0_20block_scan_algorithmE0ELj4294967295EEENS1_25partition_config_selectorILNS1_17partition_subalgoE3EjNS0_10empty_typeEbEEZZNS1_14partition_implILS8_3ELb0ES6_jNS0_17counting_iteratorIjlEEPS9_SE_NS0_5tupleIJPjSE_EEENSF_IJSE_SE_EEES9_SG_JZNS1_25segmented_radix_sort_implINS0_14default_configELb0EPKiPiPKlPlN2at6native12_GLOBAL__N_18offset_tEEE10hipError_tPvRmT1_PNSt15iterator_traitsISY_E10value_typeET2_T3_PNSZ_IS14_E10value_typeET4_jRbjT5_S1A_jjP12ihipStream_tbEUljE_EEESV_SW_SX_S14_S18_S1A_T6_T7_T9_mT8_S1C_bDpT10_ENKUlT_T0_E_clISt17integral_constantIbLb1EES1O_IbLb0EEEEDaS1K_S1L_EUlS1K_E_NS1_11comp_targetILNS1_3genE9ELNS1_11target_archE1100ELNS1_3gpuE3ELNS1_3repE0EEENS1_30default_config_static_selectorELNS0_4arch9wavefront6targetE1EEEvSY_,@function
_ZN7rocprim17ROCPRIM_400000_NS6detail17trampoline_kernelINS0_13select_configILj256ELj13ELNS0_17block_load_methodE3ELS4_3ELS4_3ELNS0_20block_scan_algorithmE0ELj4294967295EEENS1_25partition_config_selectorILNS1_17partition_subalgoE3EjNS0_10empty_typeEbEEZZNS1_14partition_implILS8_3ELb0ES6_jNS0_17counting_iteratorIjlEEPS9_SE_NS0_5tupleIJPjSE_EEENSF_IJSE_SE_EEES9_SG_JZNS1_25segmented_radix_sort_implINS0_14default_configELb0EPKiPiPKlPlN2at6native12_GLOBAL__N_18offset_tEEE10hipError_tPvRmT1_PNSt15iterator_traitsISY_E10value_typeET2_T3_PNSZ_IS14_E10value_typeET4_jRbjT5_S1A_jjP12ihipStream_tbEUljE_EEESV_SW_SX_S14_S18_S1A_T6_T7_T9_mT8_S1C_bDpT10_ENKUlT_T0_E_clISt17integral_constantIbLb1EES1O_IbLb0EEEEDaS1K_S1L_EUlS1K_E_NS1_11comp_targetILNS1_3genE9ELNS1_11target_archE1100ELNS1_3gpuE3ELNS1_3repE0EEENS1_30default_config_static_selectorELNS0_4arch9wavefront6targetE1EEEvSY_: ; @_ZN7rocprim17ROCPRIM_400000_NS6detail17trampoline_kernelINS0_13select_configILj256ELj13ELNS0_17block_load_methodE3ELS4_3ELS4_3ELNS0_20block_scan_algorithmE0ELj4294967295EEENS1_25partition_config_selectorILNS1_17partition_subalgoE3EjNS0_10empty_typeEbEEZZNS1_14partition_implILS8_3ELb0ES6_jNS0_17counting_iteratorIjlEEPS9_SE_NS0_5tupleIJPjSE_EEENSF_IJSE_SE_EEES9_SG_JZNS1_25segmented_radix_sort_implINS0_14default_configELb0EPKiPiPKlPlN2at6native12_GLOBAL__N_18offset_tEEE10hipError_tPvRmT1_PNSt15iterator_traitsISY_E10value_typeET2_T3_PNSZ_IS14_E10value_typeET4_jRbjT5_S1A_jjP12ihipStream_tbEUljE_EEESV_SW_SX_S14_S18_S1A_T6_T7_T9_mT8_S1C_bDpT10_ENKUlT_T0_E_clISt17integral_constantIbLb1EES1O_IbLb0EEEEDaS1K_S1L_EUlS1K_E_NS1_11comp_targetILNS1_3genE9ELNS1_11target_archE1100ELNS1_3gpuE3ELNS1_3repE0EEENS1_30default_config_static_selectorELNS0_4arch9wavefront6targetE1EEEvSY_
; %bb.0:
	.section	.rodata,"a",@progbits
	.p2align	6, 0x0
	.amdhsa_kernel _ZN7rocprim17ROCPRIM_400000_NS6detail17trampoline_kernelINS0_13select_configILj256ELj13ELNS0_17block_load_methodE3ELS4_3ELS4_3ELNS0_20block_scan_algorithmE0ELj4294967295EEENS1_25partition_config_selectorILNS1_17partition_subalgoE3EjNS0_10empty_typeEbEEZZNS1_14partition_implILS8_3ELb0ES6_jNS0_17counting_iteratorIjlEEPS9_SE_NS0_5tupleIJPjSE_EEENSF_IJSE_SE_EEES9_SG_JZNS1_25segmented_radix_sort_implINS0_14default_configELb0EPKiPiPKlPlN2at6native12_GLOBAL__N_18offset_tEEE10hipError_tPvRmT1_PNSt15iterator_traitsISY_E10value_typeET2_T3_PNSZ_IS14_E10value_typeET4_jRbjT5_S1A_jjP12ihipStream_tbEUljE_EEESV_SW_SX_S14_S18_S1A_T6_T7_T9_mT8_S1C_bDpT10_ENKUlT_T0_E_clISt17integral_constantIbLb1EES1O_IbLb0EEEEDaS1K_S1L_EUlS1K_E_NS1_11comp_targetILNS1_3genE9ELNS1_11target_archE1100ELNS1_3gpuE3ELNS1_3repE0EEENS1_30default_config_static_selectorELNS0_4arch9wavefront6targetE1EEEvSY_
		.amdhsa_group_segment_fixed_size 0
		.amdhsa_private_segment_fixed_size 0
		.amdhsa_kernarg_size 144
		.amdhsa_user_sgpr_count 6
		.amdhsa_user_sgpr_private_segment_buffer 1
		.amdhsa_user_sgpr_dispatch_ptr 0
		.amdhsa_user_sgpr_queue_ptr 0
		.amdhsa_user_sgpr_kernarg_segment_ptr 1
		.amdhsa_user_sgpr_dispatch_id 0
		.amdhsa_user_sgpr_flat_scratch_init 0
		.amdhsa_user_sgpr_private_segment_size 0
		.amdhsa_uses_dynamic_stack 0
		.amdhsa_system_sgpr_private_segment_wavefront_offset 0
		.amdhsa_system_sgpr_workgroup_id_x 1
		.amdhsa_system_sgpr_workgroup_id_y 0
		.amdhsa_system_sgpr_workgroup_id_z 0
		.amdhsa_system_sgpr_workgroup_info 0
		.amdhsa_system_vgpr_workitem_id 0
		.amdhsa_next_free_vgpr 1
		.amdhsa_next_free_sgpr 0
		.amdhsa_reserve_vcc 0
		.amdhsa_reserve_flat_scratch 0
		.amdhsa_float_round_mode_32 0
		.amdhsa_float_round_mode_16_64 0
		.amdhsa_float_denorm_mode_32 3
		.amdhsa_float_denorm_mode_16_64 3
		.amdhsa_dx10_clamp 1
		.amdhsa_ieee_mode 1
		.amdhsa_fp16_overflow 0
		.amdhsa_exception_fp_ieee_invalid_op 0
		.amdhsa_exception_fp_denorm_src 0
		.amdhsa_exception_fp_ieee_div_zero 0
		.amdhsa_exception_fp_ieee_overflow 0
		.amdhsa_exception_fp_ieee_underflow 0
		.amdhsa_exception_fp_ieee_inexact 0
		.amdhsa_exception_int_div_zero 0
	.end_amdhsa_kernel
	.section	.text._ZN7rocprim17ROCPRIM_400000_NS6detail17trampoline_kernelINS0_13select_configILj256ELj13ELNS0_17block_load_methodE3ELS4_3ELS4_3ELNS0_20block_scan_algorithmE0ELj4294967295EEENS1_25partition_config_selectorILNS1_17partition_subalgoE3EjNS0_10empty_typeEbEEZZNS1_14partition_implILS8_3ELb0ES6_jNS0_17counting_iteratorIjlEEPS9_SE_NS0_5tupleIJPjSE_EEENSF_IJSE_SE_EEES9_SG_JZNS1_25segmented_radix_sort_implINS0_14default_configELb0EPKiPiPKlPlN2at6native12_GLOBAL__N_18offset_tEEE10hipError_tPvRmT1_PNSt15iterator_traitsISY_E10value_typeET2_T3_PNSZ_IS14_E10value_typeET4_jRbjT5_S1A_jjP12ihipStream_tbEUljE_EEESV_SW_SX_S14_S18_S1A_T6_T7_T9_mT8_S1C_bDpT10_ENKUlT_T0_E_clISt17integral_constantIbLb1EES1O_IbLb0EEEEDaS1K_S1L_EUlS1K_E_NS1_11comp_targetILNS1_3genE9ELNS1_11target_archE1100ELNS1_3gpuE3ELNS1_3repE0EEENS1_30default_config_static_selectorELNS0_4arch9wavefront6targetE1EEEvSY_,"axG",@progbits,_ZN7rocprim17ROCPRIM_400000_NS6detail17trampoline_kernelINS0_13select_configILj256ELj13ELNS0_17block_load_methodE3ELS4_3ELS4_3ELNS0_20block_scan_algorithmE0ELj4294967295EEENS1_25partition_config_selectorILNS1_17partition_subalgoE3EjNS0_10empty_typeEbEEZZNS1_14partition_implILS8_3ELb0ES6_jNS0_17counting_iteratorIjlEEPS9_SE_NS0_5tupleIJPjSE_EEENSF_IJSE_SE_EEES9_SG_JZNS1_25segmented_radix_sort_implINS0_14default_configELb0EPKiPiPKlPlN2at6native12_GLOBAL__N_18offset_tEEE10hipError_tPvRmT1_PNSt15iterator_traitsISY_E10value_typeET2_T3_PNSZ_IS14_E10value_typeET4_jRbjT5_S1A_jjP12ihipStream_tbEUljE_EEESV_SW_SX_S14_S18_S1A_T6_T7_T9_mT8_S1C_bDpT10_ENKUlT_T0_E_clISt17integral_constantIbLb1EES1O_IbLb0EEEEDaS1K_S1L_EUlS1K_E_NS1_11comp_targetILNS1_3genE9ELNS1_11target_archE1100ELNS1_3gpuE3ELNS1_3repE0EEENS1_30default_config_static_selectorELNS0_4arch9wavefront6targetE1EEEvSY_,comdat
.Lfunc_end590:
	.size	_ZN7rocprim17ROCPRIM_400000_NS6detail17trampoline_kernelINS0_13select_configILj256ELj13ELNS0_17block_load_methodE3ELS4_3ELS4_3ELNS0_20block_scan_algorithmE0ELj4294967295EEENS1_25partition_config_selectorILNS1_17partition_subalgoE3EjNS0_10empty_typeEbEEZZNS1_14partition_implILS8_3ELb0ES6_jNS0_17counting_iteratorIjlEEPS9_SE_NS0_5tupleIJPjSE_EEENSF_IJSE_SE_EEES9_SG_JZNS1_25segmented_radix_sort_implINS0_14default_configELb0EPKiPiPKlPlN2at6native12_GLOBAL__N_18offset_tEEE10hipError_tPvRmT1_PNSt15iterator_traitsISY_E10value_typeET2_T3_PNSZ_IS14_E10value_typeET4_jRbjT5_S1A_jjP12ihipStream_tbEUljE_EEESV_SW_SX_S14_S18_S1A_T6_T7_T9_mT8_S1C_bDpT10_ENKUlT_T0_E_clISt17integral_constantIbLb1EES1O_IbLb0EEEEDaS1K_S1L_EUlS1K_E_NS1_11comp_targetILNS1_3genE9ELNS1_11target_archE1100ELNS1_3gpuE3ELNS1_3repE0EEENS1_30default_config_static_selectorELNS0_4arch9wavefront6targetE1EEEvSY_, .Lfunc_end590-_ZN7rocprim17ROCPRIM_400000_NS6detail17trampoline_kernelINS0_13select_configILj256ELj13ELNS0_17block_load_methodE3ELS4_3ELS4_3ELNS0_20block_scan_algorithmE0ELj4294967295EEENS1_25partition_config_selectorILNS1_17partition_subalgoE3EjNS0_10empty_typeEbEEZZNS1_14partition_implILS8_3ELb0ES6_jNS0_17counting_iteratorIjlEEPS9_SE_NS0_5tupleIJPjSE_EEENSF_IJSE_SE_EEES9_SG_JZNS1_25segmented_radix_sort_implINS0_14default_configELb0EPKiPiPKlPlN2at6native12_GLOBAL__N_18offset_tEEE10hipError_tPvRmT1_PNSt15iterator_traitsISY_E10value_typeET2_T3_PNSZ_IS14_E10value_typeET4_jRbjT5_S1A_jjP12ihipStream_tbEUljE_EEESV_SW_SX_S14_S18_S1A_T6_T7_T9_mT8_S1C_bDpT10_ENKUlT_T0_E_clISt17integral_constantIbLb1EES1O_IbLb0EEEEDaS1K_S1L_EUlS1K_E_NS1_11comp_targetILNS1_3genE9ELNS1_11target_archE1100ELNS1_3gpuE3ELNS1_3repE0EEENS1_30default_config_static_selectorELNS0_4arch9wavefront6targetE1EEEvSY_
                                        ; -- End function
	.set _ZN7rocprim17ROCPRIM_400000_NS6detail17trampoline_kernelINS0_13select_configILj256ELj13ELNS0_17block_load_methodE3ELS4_3ELS4_3ELNS0_20block_scan_algorithmE0ELj4294967295EEENS1_25partition_config_selectorILNS1_17partition_subalgoE3EjNS0_10empty_typeEbEEZZNS1_14partition_implILS8_3ELb0ES6_jNS0_17counting_iteratorIjlEEPS9_SE_NS0_5tupleIJPjSE_EEENSF_IJSE_SE_EEES9_SG_JZNS1_25segmented_radix_sort_implINS0_14default_configELb0EPKiPiPKlPlN2at6native12_GLOBAL__N_18offset_tEEE10hipError_tPvRmT1_PNSt15iterator_traitsISY_E10value_typeET2_T3_PNSZ_IS14_E10value_typeET4_jRbjT5_S1A_jjP12ihipStream_tbEUljE_EEESV_SW_SX_S14_S18_S1A_T6_T7_T9_mT8_S1C_bDpT10_ENKUlT_T0_E_clISt17integral_constantIbLb1EES1O_IbLb0EEEEDaS1K_S1L_EUlS1K_E_NS1_11comp_targetILNS1_3genE9ELNS1_11target_archE1100ELNS1_3gpuE3ELNS1_3repE0EEENS1_30default_config_static_selectorELNS0_4arch9wavefront6targetE1EEEvSY_.num_vgpr, 0
	.set _ZN7rocprim17ROCPRIM_400000_NS6detail17trampoline_kernelINS0_13select_configILj256ELj13ELNS0_17block_load_methodE3ELS4_3ELS4_3ELNS0_20block_scan_algorithmE0ELj4294967295EEENS1_25partition_config_selectorILNS1_17partition_subalgoE3EjNS0_10empty_typeEbEEZZNS1_14partition_implILS8_3ELb0ES6_jNS0_17counting_iteratorIjlEEPS9_SE_NS0_5tupleIJPjSE_EEENSF_IJSE_SE_EEES9_SG_JZNS1_25segmented_radix_sort_implINS0_14default_configELb0EPKiPiPKlPlN2at6native12_GLOBAL__N_18offset_tEEE10hipError_tPvRmT1_PNSt15iterator_traitsISY_E10value_typeET2_T3_PNSZ_IS14_E10value_typeET4_jRbjT5_S1A_jjP12ihipStream_tbEUljE_EEESV_SW_SX_S14_S18_S1A_T6_T7_T9_mT8_S1C_bDpT10_ENKUlT_T0_E_clISt17integral_constantIbLb1EES1O_IbLb0EEEEDaS1K_S1L_EUlS1K_E_NS1_11comp_targetILNS1_3genE9ELNS1_11target_archE1100ELNS1_3gpuE3ELNS1_3repE0EEENS1_30default_config_static_selectorELNS0_4arch9wavefront6targetE1EEEvSY_.num_agpr, 0
	.set _ZN7rocprim17ROCPRIM_400000_NS6detail17trampoline_kernelINS0_13select_configILj256ELj13ELNS0_17block_load_methodE3ELS4_3ELS4_3ELNS0_20block_scan_algorithmE0ELj4294967295EEENS1_25partition_config_selectorILNS1_17partition_subalgoE3EjNS0_10empty_typeEbEEZZNS1_14partition_implILS8_3ELb0ES6_jNS0_17counting_iteratorIjlEEPS9_SE_NS0_5tupleIJPjSE_EEENSF_IJSE_SE_EEES9_SG_JZNS1_25segmented_radix_sort_implINS0_14default_configELb0EPKiPiPKlPlN2at6native12_GLOBAL__N_18offset_tEEE10hipError_tPvRmT1_PNSt15iterator_traitsISY_E10value_typeET2_T3_PNSZ_IS14_E10value_typeET4_jRbjT5_S1A_jjP12ihipStream_tbEUljE_EEESV_SW_SX_S14_S18_S1A_T6_T7_T9_mT8_S1C_bDpT10_ENKUlT_T0_E_clISt17integral_constantIbLb1EES1O_IbLb0EEEEDaS1K_S1L_EUlS1K_E_NS1_11comp_targetILNS1_3genE9ELNS1_11target_archE1100ELNS1_3gpuE3ELNS1_3repE0EEENS1_30default_config_static_selectorELNS0_4arch9wavefront6targetE1EEEvSY_.numbered_sgpr, 0
	.set _ZN7rocprim17ROCPRIM_400000_NS6detail17trampoline_kernelINS0_13select_configILj256ELj13ELNS0_17block_load_methodE3ELS4_3ELS4_3ELNS0_20block_scan_algorithmE0ELj4294967295EEENS1_25partition_config_selectorILNS1_17partition_subalgoE3EjNS0_10empty_typeEbEEZZNS1_14partition_implILS8_3ELb0ES6_jNS0_17counting_iteratorIjlEEPS9_SE_NS0_5tupleIJPjSE_EEENSF_IJSE_SE_EEES9_SG_JZNS1_25segmented_radix_sort_implINS0_14default_configELb0EPKiPiPKlPlN2at6native12_GLOBAL__N_18offset_tEEE10hipError_tPvRmT1_PNSt15iterator_traitsISY_E10value_typeET2_T3_PNSZ_IS14_E10value_typeET4_jRbjT5_S1A_jjP12ihipStream_tbEUljE_EEESV_SW_SX_S14_S18_S1A_T6_T7_T9_mT8_S1C_bDpT10_ENKUlT_T0_E_clISt17integral_constantIbLb1EES1O_IbLb0EEEEDaS1K_S1L_EUlS1K_E_NS1_11comp_targetILNS1_3genE9ELNS1_11target_archE1100ELNS1_3gpuE3ELNS1_3repE0EEENS1_30default_config_static_selectorELNS0_4arch9wavefront6targetE1EEEvSY_.num_named_barrier, 0
	.set _ZN7rocprim17ROCPRIM_400000_NS6detail17trampoline_kernelINS0_13select_configILj256ELj13ELNS0_17block_load_methodE3ELS4_3ELS4_3ELNS0_20block_scan_algorithmE0ELj4294967295EEENS1_25partition_config_selectorILNS1_17partition_subalgoE3EjNS0_10empty_typeEbEEZZNS1_14partition_implILS8_3ELb0ES6_jNS0_17counting_iteratorIjlEEPS9_SE_NS0_5tupleIJPjSE_EEENSF_IJSE_SE_EEES9_SG_JZNS1_25segmented_radix_sort_implINS0_14default_configELb0EPKiPiPKlPlN2at6native12_GLOBAL__N_18offset_tEEE10hipError_tPvRmT1_PNSt15iterator_traitsISY_E10value_typeET2_T3_PNSZ_IS14_E10value_typeET4_jRbjT5_S1A_jjP12ihipStream_tbEUljE_EEESV_SW_SX_S14_S18_S1A_T6_T7_T9_mT8_S1C_bDpT10_ENKUlT_T0_E_clISt17integral_constantIbLb1EES1O_IbLb0EEEEDaS1K_S1L_EUlS1K_E_NS1_11comp_targetILNS1_3genE9ELNS1_11target_archE1100ELNS1_3gpuE3ELNS1_3repE0EEENS1_30default_config_static_selectorELNS0_4arch9wavefront6targetE1EEEvSY_.private_seg_size, 0
	.set _ZN7rocprim17ROCPRIM_400000_NS6detail17trampoline_kernelINS0_13select_configILj256ELj13ELNS0_17block_load_methodE3ELS4_3ELS4_3ELNS0_20block_scan_algorithmE0ELj4294967295EEENS1_25partition_config_selectorILNS1_17partition_subalgoE3EjNS0_10empty_typeEbEEZZNS1_14partition_implILS8_3ELb0ES6_jNS0_17counting_iteratorIjlEEPS9_SE_NS0_5tupleIJPjSE_EEENSF_IJSE_SE_EEES9_SG_JZNS1_25segmented_radix_sort_implINS0_14default_configELb0EPKiPiPKlPlN2at6native12_GLOBAL__N_18offset_tEEE10hipError_tPvRmT1_PNSt15iterator_traitsISY_E10value_typeET2_T3_PNSZ_IS14_E10value_typeET4_jRbjT5_S1A_jjP12ihipStream_tbEUljE_EEESV_SW_SX_S14_S18_S1A_T6_T7_T9_mT8_S1C_bDpT10_ENKUlT_T0_E_clISt17integral_constantIbLb1EES1O_IbLb0EEEEDaS1K_S1L_EUlS1K_E_NS1_11comp_targetILNS1_3genE9ELNS1_11target_archE1100ELNS1_3gpuE3ELNS1_3repE0EEENS1_30default_config_static_selectorELNS0_4arch9wavefront6targetE1EEEvSY_.uses_vcc, 0
	.set _ZN7rocprim17ROCPRIM_400000_NS6detail17trampoline_kernelINS0_13select_configILj256ELj13ELNS0_17block_load_methodE3ELS4_3ELS4_3ELNS0_20block_scan_algorithmE0ELj4294967295EEENS1_25partition_config_selectorILNS1_17partition_subalgoE3EjNS0_10empty_typeEbEEZZNS1_14partition_implILS8_3ELb0ES6_jNS0_17counting_iteratorIjlEEPS9_SE_NS0_5tupleIJPjSE_EEENSF_IJSE_SE_EEES9_SG_JZNS1_25segmented_radix_sort_implINS0_14default_configELb0EPKiPiPKlPlN2at6native12_GLOBAL__N_18offset_tEEE10hipError_tPvRmT1_PNSt15iterator_traitsISY_E10value_typeET2_T3_PNSZ_IS14_E10value_typeET4_jRbjT5_S1A_jjP12ihipStream_tbEUljE_EEESV_SW_SX_S14_S18_S1A_T6_T7_T9_mT8_S1C_bDpT10_ENKUlT_T0_E_clISt17integral_constantIbLb1EES1O_IbLb0EEEEDaS1K_S1L_EUlS1K_E_NS1_11comp_targetILNS1_3genE9ELNS1_11target_archE1100ELNS1_3gpuE3ELNS1_3repE0EEENS1_30default_config_static_selectorELNS0_4arch9wavefront6targetE1EEEvSY_.uses_flat_scratch, 0
	.set _ZN7rocprim17ROCPRIM_400000_NS6detail17trampoline_kernelINS0_13select_configILj256ELj13ELNS0_17block_load_methodE3ELS4_3ELS4_3ELNS0_20block_scan_algorithmE0ELj4294967295EEENS1_25partition_config_selectorILNS1_17partition_subalgoE3EjNS0_10empty_typeEbEEZZNS1_14partition_implILS8_3ELb0ES6_jNS0_17counting_iteratorIjlEEPS9_SE_NS0_5tupleIJPjSE_EEENSF_IJSE_SE_EEES9_SG_JZNS1_25segmented_radix_sort_implINS0_14default_configELb0EPKiPiPKlPlN2at6native12_GLOBAL__N_18offset_tEEE10hipError_tPvRmT1_PNSt15iterator_traitsISY_E10value_typeET2_T3_PNSZ_IS14_E10value_typeET4_jRbjT5_S1A_jjP12ihipStream_tbEUljE_EEESV_SW_SX_S14_S18_S1A_T6_T7_T9_mT8_S1C_bDpT10_ENKUlT_T0_E_clISt17integral_constantIbLb1EES1O_IbLb0EEEEDaS1K_S1L_EUlS1K_E_NS1_11comp_targetILNS1_3genE9ELNS1_11target_archE1100ELNS1_3gpuE3ELNS1_3repE0EEENS1_30default_config_static_selectorELNS0_4arch9wavefront6targetE1EEEvSY_.has_dyn_sized_stack, 0
	.set _ZN7rocprim17ROCPRIM_400000_NS6detail17trampoline_kernelINS0_13select_configILj256ELj13ELNS0_17block_load_methodE3ELS4_3ELS4_3ELNS0_20block_scan_algorithmE0ELj4294967295EEENS1_25partition_config_selectorILNS1_17partition_subalgoE3EjNS0_10empty_typeEbEEZZNS1_14partition_implILS8_3ELb0ES6_jNS0_17counting_iteratorIjlEEPS9_SE_NS0_5tupleIJPjSE_EEENSF_IJSE_SE_EEES9_SG_JZNS1_25segmented_radix_sort_implINS0_14default_configELb0EPKiPiPKlPlN2at6native12_GLOBAL__N_18offset_tEEE10hipError_tPvRmT1_PNSt15iterator_traitsISY_E10value_typeET2_T3_PNSZ_IS14_E10value_typeET4_jRbjT5_S1A_jjP12ihipStream_tbEUljE_EEESV_SW_SX_S14_S18_S1A_T6_T7_T9_mT8_S1C_bDpT10_ENKUlT_T0_E_clISt17integral_constantIbLb1EES1O_IbLb0EEEEDaS1K_S1L_EUlS1K_E_NS1_11comp_targetILNS1_3genE9ELNS1_11target_archE1100ELNS1_3gpuE3ELNS1_3repE0EEENS1_30default_config_static_selectorELNS0_4arch9wavefront6targetE1EEEvSY_.has_recursion, 0
	.set _ZN7rocprim17ROCPRIM_400000_NS6detail17trampoline_kernelINS0_13select_configILj256ELj13ELNS0_17block_load_methodE3ELS4_3ELS4_3ELNS0_20block_scan_algorithmE0ELj4294967295EEENS1_25partition_config_selectorILNS1_17partition_subalgoE3EjNS0_10empty_typeEbEEZZNS1_14partition_implILS8_3ELb0ES6_jNS0_17counting_iteratorIjlEEPS9_SE_NS0_5tupleIJPjSE_EEENSF_IJSE_SE_EEES9_SG_JZNS1_25segmented_radix_sort_implINS0_14default_configELb0EPKiPiPKlPlN2at6native12_GLOBAL__N_18offset_tEEE10hipError_tPvRmT1_PNSt15iterator_traitsISY_E10value_typeET2_T3_PNSZ_IS14_E10value_typeET4_jRbjT5_S1A_jjP12ihipStream_tbEUljE_EEESV_SW_SX_S14_S18_S1A_T6_T7_T9_mT8_S1C_bDpT10_ENKUlT_T0_E_clISt17integral_constantIbLb1EES1O_IbLb0EEEEDaS1K_S1L_EUlS1K_E_NS1_11comp_targetILNS1_3genE9ELNS1_11target_archE1100ELNS1_3gpuE3ELNS1_3repE0EEENS1_30default_config_static_selectorELNS0_4arch9wavefront6targetE1EEEvSY_.has_indirect_call, 0
	.section	.AMDGPU.csdata,"",@progbits
; Kernel info:
; codeLenInByte = 0
; TotalNumSgprs: 4
; NumVgprs: 0
; ScratchSize: 0
; MemoryBound: 0
; FloatMode: 240
; IeeeMode: 1
; LDSByteSize: 0 bytes/workgroup (compile time only)
; SGPRBlocks: 0
; VGPRBlocks: 0
; NumSGPRsForWavesPerEU: 4
; NumVGPRsForWavesPerEU: 1
; Occupancy: 10
; WaveLimiterHint : 0
; COMPUTE_PGM_RSRC2:SCRATCH_EN: 0
; COMPUTE_PGM_RSRC2:USER_SGPR: 6
; COMPUTE_PGM_RSRC2:TRAP_HANDLER: 0
; COMPUTE_PGM_RSRC2:TGID_X_EN: 1
; COMPUTE_PGM_RSRC2:TGID_Y_EN: 0
; COMPUTE_PGM_RSRC2:TGID_Z_EN: 0
; COMPUTE_PGM_RSRC2:TIDIG_COMP_CNT: 0
	.section	.text._ZN7rocprim17ROCPRIM_400000_NS6detail17trampoline_kernelINS0_13select_configILj256ELj13ELNS0_17block_load_methodE3ELS4_3ELS4_3ELNS0_20block_scan_algorithmE0ELj4294967295EEENS1_25partition_config_selectorILNS1_17partition_subalgoE3EjNS0_10empty_typeEbEEZZNS1_14partition_implILS8_3ELb0ES6_jNS0_17counting_iteratorIjlEEPS9_SE_NS0_5tupleIJPjSE_EEENSF_IJSE_SE_EEES9_SG_JZNS1_25segmented_radix_sort_implINS0_14default_configELb0EPKiPiPKlPlN2at6native12_GLOBAL__N_18offset_tEEE10hipError_tPvRmT1_PNSt15iterator_traitsISY_E10value_typeET2_T3_PNSZ_IS14_E10value_typeET4_jRbjT5_S1A_jjP12ihipStream_tbEUljE_EEESV_SW_SX_S14_S18_S1A_T6_T7_T9_mT8_S1C_bDpT10_ENKUlT_T0_E_clISt17integral_constantIbLb1EES1O_IbLb0EEEEDaS1K_S1L_EUlS1K_E_NS1_11comp_targetILNS1_3genE8ELNS1_11target_archE1030ELNS1_3gpuE2ELNS1_3repE0EEENS1_30default_config_static_selectorELNS0_4arch9wavefront6targetE1EEEvSY_,"axG",@progbits,_ZN7rocprim17ROCPRIM_400000_NS6detail17trampoline_kernelINS0_13select_configILj256ELj13ELNS0_17block_load_methodE3ELS4_3ELS4_3ELNS0_20block_scan_algorithmE0ELj4294967295EEENS1_25partition_config_selectorILNS1_17partition_subalgoE3EjNS0_10empty_typeEbEEZZNS1_14partition_implILS8_3ELb0ES6_jNS0_17counting_iteratorIjlEEPS9_SE_NS0_5tupleIJPjSE_EEENSF_IJSE_SE_EEES9_SG_JZNS1_25segmented_radix_sort_implINS0_14default_configELb0EPKiPiPKlPlN2at6native12_GLOBAL__N_18offset_tEEE10hipError_tPvRmT1_PNSt15iterator_traitsISY_E10value_typeET2_T3_PNSZ_IS14_E10value_typeET4_jRbjT5_S1A_jjP12ihipStream_tbEUljE_EEESV_SW_SX_S14_S18_S1A_T6_T7_T9_mT8_S1C_bDpT10_ENKUlT_T0_E_clISt17integral_constantIbLb1EES1O_IbLb0EEEEDaS1K_S1L_EUlS1K_E_NS1_11comp_targetILNS1_3genE8ELNS1_11target_archE1030ELNS1_3gpuE2ELNS1_3repE0EEENS1_30default_config_static_selectorELNS0_4arch9wavefront6targetE1EEEvSY_,comdat
	.globl	_ZN7rocprim17ROCPRIM_400000_NS6detail17trampoline_kernelINS0_13select_configILj256ELj13ELNS0_17block_load_methodE3ELS4_3ELS4_3ELNS0_20block_scan_algorithmE0ELj4294967295EEENS1_25partition_config_selectorILNS1_17partition_subalgoE3EjNS0_10empty_typeEbEEZZNS1_14partition_implILS8_3ELb0ES6_jNS0_17counting_iteratorIjlEEPS9_SE_NS0_5tupleIJPjSE_EEENSF_IJSE_SE_EEES9_SG_JZNS1_25segmented_radix_sort_implINS0_14default_configELb0EPKiPiPKlPlN2at6native12_GLOBAL__N_18offset_tEEE10hipError_tPvRmT1_PNSt15iterator_traitsISY_E10value_typeET2_T3_PNSZ_IS14_E10value_typeET4_jRbjT5_S1A_jjP12ihipStream_tbEUljE_EEESV_SW_SX_S14_S18_S1A_T6_T7_T9_mT8_S1C_bDpT10_ENKUlT_T0_E_clISt17integral_constantIbLb1EES1O_IbLb0EEEEDaS1K_S1L_EUlS1K_E_NS1_11comp_targetILNS1_3genE8ELNS1_11target_archE1030ELNS1_3gpuE2ELNS1_3repE0EEENS1_30default_config_static_selectorELNS0_4arch9wavefront6targetE1EEEvSY_ ; -- Begin function _ZN7rocprim17ROCPRIM_400000_NS6detail17trampoline_kernelINS0_13select_configILj256ELj13ELNS0_17block_load_methodE3ELS4_3ELS4_3ELNS0_20block_scan_algorithmE0ELj4294967295EEENS1_25partition_config_selectorILNS1_17partition_subalgoE3EjNS0_10empty_typeEbEEZZNS1_14partition_implILS8_3ELb0ES6_jNS0_17counting_iteratorIjlEEPS9_SE_NS0_5tupleIJPjSE_EEENSF_IJSE_SE_EEES9_SG_JZNS1_25segmented_radix_sort_implINS0_14default_configELb0EPKiPiPKlPlN2at6native12_GLOBAL__N_18offset_tEEE10hipError_tPvRmT1_PNSt15iterator_traitsISY_E10value_typeET2_T3_PNSZ_IS14_E10value_typeET4_jRbjT5_S1A_jjP12ihipStream_tbEUljE_EEESV_SW_SX_S14_S18_S1A_T6_T7_T9_mT8_S1C_bDpT10_ENKUlT_T0_E_clISt17integral_constantIbLb1EES1O_IbLb0EEEEDaS1K_S1L_EUlS1K_E_NS1_11comp_targetILNS1_3genE8ELNS1_11target_archE1030ELNS1_3gpuE2ELNS1_3repE0EEENS1_30default_config_static_selectorELNS0_4arch9wavefront6targetE1EEEvSY_
	.p2align	8
	.type	_ZN7rocprim17ROCPRIM_400000_NS6detail17trampoline_kernelINS0_13select_configILj256ELj13ELNS0_17block_load_methodE3ELS4_3ELS4_3ELNS0_20block_scan_algorithmE0ELj4294967295EEENS1_25partition_config_selectorILNS1_17partition_subalgoE3EjNS0_10empty_typeEbEEZZNS1_14partition_implILS8_3ELb0ES6_jNS0_17counting_iteratorIjlEEPS9_SE_NS0_5tupleIJPjSE_EEENSF_IJSE_SE_EEES9_SG_JZNS1_25segmented_radix_sort_implINS0_14default_configELb0EPKiPiPKlPlN2at6native12_GLOBAL__N_18offset_tEEE10hipError_tPvRmT1_PNSt15iterator_traitsISY_E10value_typeET2_T3_PNSZ_IS14_E10value_typeET4_jRbjT5_S1A_jjP12ihipStream_tbEUljE_EEESV_SW_SX_S14_S18_S1A_T6_T7_T9_mT8_S1C_bDpT10_ENKUlT_T0_E_clISt17integral_constantIbLb1EES1O_IbLb0EEEEDaS1K_S1L_EUlS1K_E_NS1_11comp_targetILNS1_3genE8ELNS1_11target_archE1030ELNS1_3gpuE2ELNS1_3repE0EEENS1_30default_config_static_selectorELNS0_4arch9wavefront6targetE1EEEvSY_,@function
_ZN7rocprim17ROCPRIM_400000_NS6detail17trampoline_kernelINS0_13select_configILj256ELj13ELNS0_17block_load_methodE3ELS4_3ELS4_3ELNS0_20block_scan_algorithmE0ELj4294967295EEENS1_25partition_config_selectorILNS1_17partition_subalgoE3EjNS0_10empty_typeEbEEZZNS1_14partition_implILS8_3ELb0ES6_jNS0_17counting_iteratorIjlEEPS9_SE_NS0_5tupleIJPjSE_EEENSF_IJSE_SE_EEES9_SG_JZNS1_25segmented_radix_sort_implINS0_14default_configELb0EPKiPiPKlPlN2at6native12_GLOBAL__N_18offset_tEEE10hipError_tPvRmT1_PNSt15iterator_traitsISY_E10value_typeET2_T3_PNSZ_IS14_E10value_typeET4_jRbjT5_S1A_jjP12ihipStream_tbEUljE_EEESV_SW_SX_S14_S18_S1A_T6_T7_T9_mT8_S1C_bDpT10_ENKUlT_T0_E_clISt17integral_constantIbLb1EES1O_IbLb0EEEEDaS1K_S1L_EUlS1K_E_NS1_11comp_targetILNS1_3genE8ELNS1_11target_archE1030ELNS1_3gpuE2ELNS1_3repE0EEENS1_30default_config_static_selectorELNS0_4arch9wavefront6targetE1EEEvSY_: ; @_ZN7rocprim17ROCPRIM_400000_NS6detail17trampoline_kernelINS0_13select_configILj256ELj13ELNS0_17block_load_methodE3ELS4_3ELS4_3ELNS0_20block_scan_algorithmE0ELj4294967295EEENS1_25partition_config_selectorILNS1_17partition_subalgoE3EjNS0_10empty_typeEbEEZZNS1_14partition_implILS8_3ELb0ES6_jNS0_17counting_iteratorIjlEEPS9_SE_NS0_5tupleIJPjSE_EEENSF_IJSE_SE_EEES9_SG_JZNS1_25segmented_radix_sort_implINS0_14default_configELb0EPKiPiPKlPlN2at6native12_GLOBAL__N_18offset_tEEE10hipError_tPvRmT1_PNSt15iterator_traitsISY_E10value_typeET2_T3_PNSZ_IS14_E10value_typeET4_jRbjT5_S1A_jjP12ihipStream_tbEUljE_EEESV_SW_SX_S14_S18_S1A_T6_T7_T9_mT8_S1C_bDpT10_ENKUlT_T0_E_clISt17integral_constantIbLb1EES1O_IbLb0EEEEDaS1K_S1L_EUlS1K_E_NS1_11comp_targetILNS1_3genE8ELNS1_11target_archE1030ELNS1_3gpuE2ELNS1_3repE0EEENS1_30default_config_static_selectorELNS0_4arch9wavefront6targetE1EEEvSY_
; %bb.0:
	.section	.rodata,"a",@progbits
	.p2align	6, 0x0
	.amdhsa_kernel _ZN7rocprim17ROCPRIM_400000_NS6detail17trampoline_kernelINS0_13select_configILj256ELj13ELNS0_17block_load_methodE3ELS4_3ELS4_3ELNS0_20block_scan_algorithmE0ELj4294967295EEENS1_25partition_config_selectorILNS1_17partition_subalgoE3EjNS0_10empty_typeEbEEZZNS1_14partition_implILS8_3ELb0ES6_jNS0_17counting_iteratorIjlEEPS9_SE_NS0_5tupleIJPjSE_EEENSF_IJSE_SE_EEES9_SG_JZNS1_25segmented_radix_sort_implINS0_14default_configELb0EPKiPiPKlPlN2at6native12_GLOBAL__N_18offset_tEEE10hipError_tPvRmT1_PNSt15iterator_traitsISY_E10value_typeET2_T3_PNSZ_IS14_E10value_typeET4_jRbjT5_S1A_jjP12ihipStream_tbEUljE_EEESV_SW_SX_S14_S18_S1A_T6_T7_T9_mT8_S1C_bDpT10_ENKUlT_T0_E_clISt17integral_constantIbLb1EES1O_IbLb0EEEEDaS1K_S1L_EUlS1K_E_NS1_11comp_targetILNS1_3genE8ELNS1_11target_archE1030ELNS1_3gpuE2ELNS1_3repE0EEENS1_30default_config_static_selectorELNS0_4arch9wavefront6targetE1EEEvSY_
		.amdhsa_group_segment_fixed_size 0
		.amdhsa_private_segment_fixed_size 0
		.amdhsa_kernarg_size 144
		.amdhsa_user_sgpr_count 6
		.amdhsa_user_sgpr_private_segment_buffer 1
		.amdhsa_user_sgpr_dispatch_ptr 0
		.amdhsa_user_sgpr_queue_ptr 0
		.amdhsa_user_sgpr_kernarg_segment_ptr 1
		.amdhsa_user_sgpr_dispatch_id 0
		.amdhsa_user_sgpr_flat_scratch_init 0
		.amdhsa_user_sgpr_private_segment_size 0
		.amdhsa_uses_dynamic_stack 0
		.amdhsa_system_sgpr_private_segment_wavefront_offset 0
		.amdhsa_system_sgpr_workgroup_id_x 1
		.amdhsa_system_sgpr_workgroup_id_y 0
		.amdhsa_system_sgpr_workgroup_id_z 0
		.amdhsa_system_sgpr_workgroup_info 0
		.amdhsa_system_vgpr_workitem_id 0
		.amdhsa_next_free_vgpr 1
		.amdhsa_next_free_sgpr 0
		.amdhsa_reserve_vcc 0
		.amdhsa_reserve_flat_scratch 0
		.amdhsa_float_round_mode_32 0
		.amdhsa_float_round_mode_16_64 0
		.amdhsa_float_denorm_mode_32 3
		.amdhsa_float_denorm_mode_16_64 3
		.amdhsa_dx10_clamp 1
		.amdhsa_ieee_mode 1
		.amdhsa_fp16_overflow 0
		.amdhsa_exception_fp_ieee_invalid_op 0
		.amdhsa_exception_fp_denorm_src 0
		.amdhsa_exception_fp_ieee_div_zero 0
		.amdhsa_exception_fp_ieee_overflow 0
		.amdhsa_exception_fp_ieee_underflow 0
		.amdhsa_exception_fp_ieee_inexact 0
		.amdhsa_exception_int_div_zero 0
	.end_amdhsa_kernel
	.section	.text._ZN7rocprim17ROCPRIM_400000_NS6detail17trampoline_kernelINS0_13select_configILj256ELj13ELNS0_17block_load_methodE3ELS4_3ELS4_3ELNS0_20block_scan_algorithmE0ELj4294967295EEENS1_25partition_config_selectorILNS1_17partition_subalgoE3EjNS0_10empty_typeEbEEZZNS1_14partition_implILS8_3ELb0ES6_jNS0_17counting_iteratorIjlEEPS9_SE_NS0_5tupleIJPjSE_EEENSF_IJSE_SE_EEES9_SG_JZNS1_25segmented_radix_sort_implINS0_14default_configELb0EPKiPiPKlPlN2at6native12_GLOBAL__N_18offset_tEEE10hipError_tPvRmT1_PNSt15iterator_traitsISY_E10value_typeET2_T3_PNSZ_IS14_E10value_typeET4_jRbjT5_S1A_jjP12ihipStream_tbEUljE_EEESV_SW_SX_S14_S18_S1A_T6_T7_T9_mT8_S1C_bDpT10_ENKUlT_T0_E_clISt17integral_constantIbLb1EES1O_IbLb0EEEEDaS1K_S1L_EUlS1K_E_NS1_11comp_targetILNS1_3genE8ELNS1_11target_archE1030ELNS1_3gpuE2ELNS1_3repE0EEENS1_30default_config_static_selectorELNS0_4arch9wavefront6targetE1EEEvSY_,"axG",@progbits,_ZN7rocprim17ROCPRIM_400000_NS6detail17trampoline_kernelINS0_13select_configILj256ELj13ELNS0_17block_load_methodE3ELS4_3ELS4_3ELNS0_20block_scan_algorithmE0ELj4294967295EEENS1_25partition_config_selectorILNS1_17partition_subalgoE3EjNS0_10empty_typeEbEEZZNS1_14partition_implILS8_3ELb0ES6_jNS0_17counting_iteratorIjlEEPS9_SE_NS0_5tupleIJPjSE_EEENSF_IJSE_SE_EEES9_SG_JZNS1_25segmented_radix_sort_implINS0_14default_configELb0EPKiPiPKlPlN2at6native12_GLOBAL__N_18offset_tEEE10hipError_tPvRmT1_PNSt15iterator_traitsISY_E10value_typeET2_T3_PNSZ_IS14_E10value_typeET4_jRbjT5_S1A_jjP12ihipStream_tbEUljE_EEESV_SW_SX_S14_S18_S1A_T6_T7_T9_mT8_S1C_bDpT10_ENKUlT_T0_E_clISt17integral_constantIbLb1EES1O_IbLb0EEEEDaS1K_S1L_EUlS1K_E_NS1_11comp_targetILNS1_3genE8ELNS1_11target_archE1030ELNS1_3gpuE2ELNS1_3repE0EEENS1_30default_config_static_selectorELNS0_4arch9wavefront6targetE1EEEvSY_,comdat
.Lfunc_end591:
	.size	_ZN7rocprim17ROCPRIM_400000_NS6detail17trampoline_kernelINS0_13select_configILj256ELj13ELNS0_17block_load_methodE3ELS4_3ELS4_3ELNS0_20block_scan_algorithmE0ELj4294967295EEENS1_25partition_config_selectorILNS1_17partition_subalgoE3EjNS0_10empty_typeEbEEZZNS1_14partition_implILS8_3ELb0ES6_jNS0_17counting_iteratorIjlEEPS9_SE_NS0_5tupleIJPjSE_EEENSF_IJSE_SE_EEES9_SG_JZNS1_25segmented_radix_sort_implINS0_14default_configELb0EPKiPiPKlPlN2at6native12_GLOBAL__N_18offset_tEEE10hipError_tPvRmT1_PNSt15iterator_traitsISY_E10value_typeET2_T3_PNSZ_IS14_E10value_typeET4_jRbjT5_S1A_jjP12ihipStream_tbEUljE_EEESV_SW_SX_S14_S18_S1A_T6_T7_T9_mT8_S1C_bDpT10_ENKUlT_T0_E_clISt17integral_constantIbLb1EES1O_IbLb0EEEEDaS1K_S1L_EUlS1K_E_NS1_11comp_targetILNS1_3genE8ELNS1_11target_archE1030ELNS1_3gpuE2ELNS1_3repE0EEENS1_30default_config_static_selectorELNS0_4arch9wavefront6targetE1EEEvSY_, .Lfunc_end591-_ZN7rocprim17ROCPRIM_400000_NS6detail17trampoline_kernelINS0_13select_configILj256ELj13ELNS0_17block_load_methodE3ELS4_3ELS4_3ELNS0_20block_scan_algorithmE0ELj4294967295EEENS1_25partition_config_selectorILNS1_17partition_subalgoE3EjNS0_10empty_typeEbEEZZNS1_14partition_implILS8_3ELb0ES6_jNS0_17counting_iteratorIjlEEPS9_SE_NS0_5tupleIJPjSE_EEENSF_IJSE_SE_EEES9_SG_JZNS1_25segmented_radix_sort_implINS0_14default_configELb0EPKiPiPKlPlN2at6native12_GLOBAL__N_18offset_tEEE10hipError_tPvRmT1_PNSt15iterator_traitsISY_E10value_typeET2_T3_PNSZ_IS14_E10value_typeET4_jRbjT5_S1A_jjP12ihipStream_tbEUljE_EEESV_SW_SX_S14_S18_S1A_T6_T7_T9_mT8_S1C_bDpT10_ENKUlT_T0_E_clISt17integral_constantIbLb1EES1O_IbLb0EEEEDaS1K_S1L_EUlS1K_E_NS1_11comp_targetILNS1_3genE8ELNS1_11target_archE1030ELNS1_3gpuE2ELNS1_3repE0EEENS1_30default_config_static_selectorELNS0_4arch9wavefront6targetE1EEEvSY_
                                        ; -- End function
	.set _ZN7rocprim17ROCPRIM_400000_NS6detail17trampoline_kernelINS0_13select_configILj256ELj13ELNS0_17block_load_methodE3ELS4_3ELS4_3ELNS0_20block_scan_algorithmE0ELj4294967295EEENS1_25partition_config_selectorILNS1_17partition_subalgoE3EjNS0_10empty_typeEbEEZZNS1_14partition_implILS8_3ELb0ES6_jNS0_17counting_iteratorIjlEEPS9_SE_NS0_5tupleIJPjSE_EEENSF_IJSE_SE_EEES9_SG_JZNS1_25segmented_radix_sort_implINS0_14default_configELb0EPKiPiPKlPlN2at6native12_GLOBAL__N_18offset_tEEE10hipError_tPvRmT1_PNSt15iterator_traitsISY_E10value_typeET2_T3_PNSZ_IS14_E10value_typeET4_jRbjT5_S1A_jjP12ihipStream_tbEUljE_EEESV_SW_SX_S14_S18_S1A_T6_T7_T9_mT8_S1C_bDpT10_ENKUlT_T0_E_clISt17integral_constantIbLb1EES1O_IbLb0EEEEDaS1K_S1L_EUlS1K_E_NS1_11comp_targetILNS1_3genE8ELNS1_11target_archE1030ELNS1_3gpuE2ELNS1_3repE0EEENS1_30default_config_static_selectorELNS0_4arch9wavefront6targetE1EEEvSY_.num_vgpr, 0
	.set _ZN7rocprim17ROCPRIM_400000_NS6detail17trampoline_kernelINS0_13select_configILj256ELj13ELNS0_17block_load_methodE3ELS4_3ELS4_3ELNS0_20block_scan_algorithmE0ELj4294967295EEENS1_25partition_config_selectorILNS1_17partition_subalgoE3EjNS0_10empty_typeEbEEZZNS1_14partition_implILS8_3ELb0ES6_jNS0_17counting_iteratorIjlEEPS9_SE_NS0_5tupleIJPjSE_EEENSF_IJSE_SE_EEES9_SG_JZNS1_25segmented_radix_sort_implINS0_14default_configELb0EPKiPiPKlPlN2at6native12_GLOBAL__N_18offset_tEEE10hipError_tPvRmT1_PNSt15iterator_traitsISY_E10value_typeET2_T3_PNSZ_IS14_E10value_typeET4_jRbjT5_S1A_jjP12ihipStream_tbEUljE_EEESV_SW_SX_S14_S18_S1A_T6_T7_T9_mT8_S1C_bDpT10_ENKUlT_T0_E_clISt17integral_constantIbLb1EES1O_IbLb0EEEEDaS1K_S1L_EUlS1K_E_NS1_11comp_targetILNS1_3genE8ELNS1_11target_archE1030ELNS1_3gpuE2ELNS1_3repE0EEENS1_30default_config_static_selectorELNS0_4arch9wavefront6targetE1EEEvSY_.num_agpr, 0
	.set _ZN7rocprim17ROCPRIM_400000_NS6detail17trampoline_kernelINS0_13select_configILj256ELj13ELNS0_17block_load_methodE3ELS4_3ELS4_3ELNS0_20block_scan_algorithmE0ELj4294967295EEENS1_25partition_config_selectorILNS1_17partition_subalgoE3EjNS0_10empty_typeEbEEZZNS1_14partition_implILS8_3ELb0ES6_jNS0_17counting_iteratorIjlEEPS9_SE_NS0_5tupleIJPjSE_EEENSF_IJSE_SE_EEES9_SG_JZNS1_25segmented_radix_sort_implINS0_14default_configELb0EPKiPiPKlPlN2at6native12_GLOBAL__N_18offset_tEEE10hipError_tPvRmT1_PNSt15iterator_traitsISY_E10value_typeET2_T3_PNSZ_IS14_E10value_typeET4_jRbjT5_S1A_jjP12ihipStream_tbEUljE_EEESV_SW_SX_S14_S18_S1A_T6_T7_T9_mT8_S1C_bDpT10_ENKUlT_T0_E_clISt17integral_constantIbLb1EES1O_IbLb0EEEEDaS1K_S1L_EUlS1K_E_NS1_11comp_targetILNS1_3genE8ELNS1_11target_archE1030ELNS1_3gpuE2ELNS1_3repE0EEENS1_30default_config_static_selectorELNS0_4arch9wavefront6targetE1EEEvSY_.numbered_sgpr, 0
	.set _ZN7rocprim17ROCPRIM_400000_NS6detail17trampoline_kernelINS0_13select_configILj256ELj13ELNS0_17block_load_methodE3ELS4_3ELS4_3ELNS0_20block_scan_algorithmE0ELj4294967295EEENS1_25partition_config_selectorILNS1_17partition_subalgoE3EjNS0_10empty_typeEbEEZZNS1_14partition_implILS8_3ELb0ES6_jNS0_17counting_iteratorIjlEEPS9_SE_NS0_5tupleIJPjSE_EEENSF_IJSE_SE_EEES9_SG_JZNS1_25segmented_radix_sort_implINS0_14default_configELb0EPKiPiPKlPlN2at6native12_GLOBAL__N_18offset_tEEE10hipError_tPvRmT1_PNSt15iterator_traitsISY_E10value_typeET2_T3_PNSZ_IS14_E10value_typeET4_jRbjT5_S1A_jjP12ihipStream_tbEUljE_EEESV_SW_SX_S14_S18_S1A_T6_T7_T9_mT8_S1C_bDpT10_ENKUlT_T0_E_clISt17integral_constantIbLb1EES1O_IbLb0EEEEDaS1K_S1L_EUlS1K_E_NS1_11comp_targetILNS1_3genE8ELNS1_11target_archE1030ELNS1_3gpuE2ELNS1_3repE0EEENS1_30default_config_static_selectorELNS0_4arch9wavefront6targetE1EEEvSY_.num_named_barrier, 0
	.set _ZN7rocprim17ROCPRIM_400000_NS6detail17trampoline_kernelINS0_13select_configILj256ELj13ELNS0_17block_load_methodE3ELS4_3ELS4_3ELNS0_20block_scan_algorithmE0ELj4294967295EEENS1_25partition_config_selectorILNS1_17partition_subalgoE3EjNS0_10empty_typeEbEEZZNS1_14partition_implILS8_3ELb0ES6_jNS0_17counting_iteratorIjlEEPS9_SE_NS0_5tupleIJPjSE_EEENSF_IJSE_SE_EEES9_SG_JZNS1_25segmented_radix_sort_implINS0_14default_configELb0EPKiPiPKlPlN2at6native12_GLOBAL__N_18offset_tEEE10hipError_tPvRmT1_PNSt15iterator_traitsISY_E10value_typeET2_T3_PNSZ_IS14_E10value_typeET4_jRbjT5_S1A_jjP12ihipStream_tbEUljE_EEESV_SW_SX_S14_S18_S1A_T6_T7_T9_mT8_S1C_bDpT10_ENKUlT_T0_E_clISt17integral_constantIbLb1EES1O_IbLb0EEEEDaS1K_S1L_EUlS1K_E_NS1_11comp_targetILNS1_3genE8ELNS1_11target_archE1030ELNS1_3gpuE2ELNS1_3repE0EEENS1_30default_config_static_selectorELNS0_4arch9wavefront6targetE1EEEvSY_.private_seg_size, 0
	.set _ZN7rocprim17ROCPRIM_400000_NS6detail17trampoline_kernelINS0_13select_configILj256ELj13ELNS0_17block_load_methodE3ELS4_3ELS4_3ELNS0_20block_scan_algorithmE0ELj4294967295EEENS1_25partition_config_selectorILNS1_17partition_subalgoE3EjNS0_10empty_typeEbEEZZNS1_14partition_implILS8_3ELb0ES6_jNS0_17counting_iteratorIjlEEPS9_SE_NS0_5tupleIJPjSE_EEENSF_IJSE_SE_EEES9_SG_JZNS1_25segmented_radix_sort_implINS0_14default_configELb0EPKiPiPKlPlN2at6native12_GLOBAL__N_18offset_tEEE10hipError_tPvRmT1_PNSt15iterator_traitsISY_E10value_typeET2_T3_PNSZ_IS14_E10value_typeET4_jRbjT5_S1A_jjP12ihipStream_tbEUljE_EEESV_SW_SX_S14_S18_S1A_T6_T7_T9_mT8_S1C_bDpT10_ENKUlT_T0_E_clISt17integral_constantIbLb1EES1O_IbLb0EEEEDaS1K_S1L_EUlS1K_E_NS1_11comp_targetILNS1_3genE8ELNS1_11target_archE1030ELNS1_3gpuE2ELNS1_3repE0EEENS1_30default_config_static_selectorELNS0_4arch9wavefront6targetE1EEEvSY_.uses_vcc, 0
	.set _ZN7rocprim17ROCPRIM_400000_NS6detail17trampoline_kernelINS0_13select_configILj256ELj13ELNS0_17block_load_methodE3ELS4_3ELS4_3ELNS0_20block_scan_algorithmE0ELj4294967295EEENS1_25partition_config_selectorILNS1_17partition_subalgoE3EjNS0_10empty_typeEbEEZZNS1_14partition_implILS8_3ELb0ES6_jNS0_17counting_iteratorIjlEEPS9_SE_NS0_5tupleIJPjSE_EEENSF_IJSE_SE_EEES9_SG_JZNS1_25segmented_radix_sort_implINS0_14default_configELb0EPKiPiPKlPlN2at6native12_GLOBAL__N_18offset_tEEE10hipError_tPvRmT1_PNSt15iterator_traitsISY_E10value_typeET2_T3_PNSZ_IS14_E10value_typeET4_jRbjT5_S1A_jjP12ihipStream_tbEUljE_EEESV_SW_SX_S14_S18_S1A_T6_T7_T9_mT8_S1C_bDpT10_ENKUlT_T0_E_clISt17integral_constantIbLb1EES1O_IbLb0EEEEDaS1K_S1L_EUlS1K_E_NS1_11comp_targetILNS1_3genE8ELNS1_11target_archE1030ELNS1_3gpuE2ELNS1_3repE0EEENS1_30default_config_static_selectorELNS0_4arch9wavefront6targetE1EEEvSY_.uses_flat_scratch, 0
	.set _ZN7rocprim17ROCPRIM_400000_NS6detail17trampoline_kernelINS0_13select_configILj256ELj13ELNS0_17block_load_methodE3ELS4_3ELS4_3ELNS0_20block_scan_algorithmE0ELj4294967295EEENS1_25partition_config_selectorILNS1_17partition_subalgoE3EjNS0_10empty_typeEbEEZZNS1_14partition_implILS8_3ELb0ES6_jNS0_17counting_iteratorIjlEEPS9_SE_NS0_5tupleIJPjSE_EEENSF_IJSE_SE_EEES9_SG_JZNS1_25segmented_radix_sort_implINS0_14default_configELb0EPKiPiPKlPlN2at6native12_GLOBAL__N_18offset_tEEE10hipError_tPvRmT1_PNSt15iterator_traitsISY_E10value_typeET2_T3_PNSZ_IS14_E10value_typeET4_jRbjT5_S1A_jjP12ihipStream_tbEUljE_EEESV_SW_SX_S14_S18_S1A_T6_T7_T9_mT8_S1C_bDpT10_ENKUlT_T0_E_clISt17integral_constantIbLb1EES1O_IbLb0EEEEDaS1K_S1L_EUlS1K_E_NS1_11comp_targetILNS1_3genE8ELNS1_11target_archE1030ELNS1_3gpuE2ELNS1_3repE0EEENS1_30default_config_static_selectorELNS0_4arch9wavefront6targetE1EEEvSY_.has_dyn_sized_stack, 0
	.set _ZN7rocprim17ROCPRIM_400000_NS6detail17trampoline_kernelINS0_13select_configILj256ELj13ELNS0_17block_load_methodE3ELS4_3ELS4_3ELNS0_20block_scan_algorithmE0ELj4294967295EEENS1_25partition_config_selectorILNS1_17partition_subalgoE3EjNS0_10empty_typeEbEEZZNS1_14partition_implILS8_3ELb0ES6_jNS0_17counting_iteratorIjlEEPS9_SE_NS0_5tupleIJPjSE_EEENSF_IJSE_SE_EEES9_SG_JZNS1_25segmented_radix_sort_implINS0_14default_configELb0EPKiPiPKlPlN2at6native12_GLOBAL__N_18offset_tEEE10hipError_tPvRmT1_PNSt15iterator_traitsISY_E10value_typeET2_T3_PNSZ_IS14_E10value_typeET4_jRbjT5_S1A_jjP12ihipStream_tbEUljE_EEESV_SW_SX_S14_S18_S1A_T6_T7_T9_mT8_S1C_bDpT10_ENKUlT_T0_E_clISt17integral_constantIbLb1EES1O_IbLb0EEEEDaS1K_S1L_EUlS1K_E_NS1_11comp_targetILNS1_3genE8ELNS1_11target_archE1030ELNS1_3gpuE2ELNS1_3repE0EEENS1_30default_config_static_selectorELNS0_4arch9wavefront6targetE1EEEvSY_.has_recursion, 0
	.set _ZN7rocprim17ROCPRIM_400000_NS6detail17trampoline_kernelINS0_13select_configILj256ELj13ELNS0_17block_load_methodE3ELS4_3ELS4_3ELNS0_20block_scan_algorithmE0ELj4294967295EEENS1_25partition_config_selectorILNS1_17partition_subalgoE3EjNS0_10empty_typeEbEEZZNS1_14partition_implILS8_3ELb0ES6_jNS0_17counting_iteratorIjlEEPS9_SE_NS0_5tupleIJPjSE_EEENSF_IJSE_SE_EEES9_SG_JZNS1_25segmented_radix_sort_implINS0_14default_configELb0EPKiPiPKlPlN2at6native12_GLOBAL__N_18offset_tEEE10hipError_tPvRmT1_PNSt15iterator_traitsISY_E10value_typeET2_T3_PNSZ_IS14_E10value_typeET4_jRbjT5_S1A_jjP12ihipStream_tbEUljE_EEESV_SW_SX_S14_S18_S1A_T6_T7_T9_mT8_S1C_bDpT10_ENKUlT_T0_E_clISt17integral_constantIbLb1EES1O_IbLb0EEEEDaS1K_S1L_EUlS1K_E_NS1_11comp_targetILNS1_3genE8ELNS1_11target_archE1030ELNS1_3gpuE2ELNS1_3repE0EEENS1_30default_config_static_selectorELNS0_4arch9wavefront6targetE1EEEvSY_.has_indirect_call, 0
	.section	.AMDGPU.csdata,"",@progbits
; Kernel info:
; codeLenInByte = 0
; TotalNumSgprs: 4
; NumVgprs: 0
; ScratchSize: 0
; MemoryBound: 0
; FloatMode: 240
; IeeeMode: 1
; LDSByteSize: 0 bytes/workgroup (compile time only)
; SGPRBlocks: 0
; VGPRBlocks: 0
; NumSGPRsForWavesPerEU: 4
; NumVGPRsForWavesPerEU: 1
; Occupancy: 10
; WaveLimiterHint : 0
; COMPUTE_PGM_RSRC2:SCRATCH_EN: 0
; COMPUTE_PGM_RSRC2:USER_SGPR: 6
; COMPUTE_PGM_RSRC2:TRAP_HANDLER: 0
; COMPUTE_PGM_RSRC2:TGID_X_EN: 1
; COMPUTE_PGM_RSRC2:TGID_Y_EN: 0
; COMPUTE_PGM_RSRC2:TGID_Z_EN: 0
; COMPUTE_PGM_RSRC2:TIDIG_COMP_CNT: 0
	.section	.text._ZN7rocprim17ROCPRIM_400000_NS6detail17trampoline_kernelINS0_13select_configILj256ELj13ELNS0_17block_load_methodE3ELS4_3ELS4_3ELNS0_20block_scan_algorithmE0ELj4294967295EEENS1_25partition_config_selectorILNS1_17partition_subalgoE3EjNS0_10empty_typeEbEEZZNS1_14partition_implILS8_3ELb0ES6_jNS0_17counting_iteratorIjlEEPS9_SE_NS0_5tupleIJPjSE_EEENSF_IJSE_SE_EEES9_SG_JZNS1_25segmented_radix_sort_implINS0_14default_configELb0EPKiPiPKlPlN2at6native12_GLOBAL__N_18offset_tEEE10hipError_tPvRmT1_PNSt15iterator_traitsISY_E10value_typeET2_T3_PNSZ_IS14_E10value_typeET4_jRbjT5_S1A_jjP12ihipStream_tbEUljE_EEESV_SW_SX_S14_S18_S1A_T6_T7_T9_mT8_S1C_bDpT10_ENKUlT_T0_E_clISt17integral_constantIbLb0EES1O_IbLb1EEEEDaS1K_S1L_EUlS1K_E_NS1_11comp_targetILNS1_3genE0ELNS1_11target_archE4294967295ELNS1_3gpuE0ELNS1_3repE0EEENS1_30default_config_static_selectorELNS0_4arch9wavefront6targetE1EEEvSY_,"axG",@progbits,_ZN7rocprim17ROCPRIM_400000_NS6detail17trampoline_kernelINS0_13select_configILj256ELj13ELNS0_17block_load_methodE3ELS4_3ELS4_3ELNS0_20block_scan_algorithmE0ELj4294967295EEENS1_25partition_config_selectorILNS1_17partition_subalgoE3EjNS0_10empty_typeEbEEZZNS1_14partition_implILS8_3ELb0ES6_jNS0_17counting_iteratorIjlEEPS9_SE_NS0_5tupleIJPjSE_EEENSF_IJSE_SE_EEES9_SG_JZNS1_25segmented_radix_sort_implINS0_14default_configELb0EPKiPiPKlPlN2at6native12_GLOBAL__N_18offset_tEEE10hipError_tPvRmT1_PNSt15iterator_traitsISY_E10value_typeET2_T3_PNSZ_IS14_E10value_typeET4_jRbjT5_S1A_jjP12ihipStream_tbEUljE_EEESV_SW_SX_S14_S18_S1A_T6_T7_T9_mT8_S1C_bDpT10_ENKUlT_T0_E_clISt17integral_constantIbLb0EES1O_IbLb1EEEEDaS1K_S1L_EUlS1K_E_NS1_11comp_targetILNS1_3genE0ELNS1_11target_archE4294967295ELNS1_3gpuE0ELNS1_3repE0EEENS1_30default_config_static_selectorELNS0_4arch9wavefront6targetE1EEEvSY_,comdat
	.globl	_ZN7rocprim17ROCPRIM_400000_NS6detail17trampoline_kernelINS0_13select_configILj256ELj13ELNS0_17block_load_methodE3ELS4_3ELS4_3ELNS0_20block_scan_algorithmE0ELj4294967295EEENS1_25partition_config_selectorILNS1_17partition_subalgoE3EjNS0_10empty_typeEbEEZZNS1_14partition_implILS8_3ELb0ES6_jNS0_17counting_iteratorIjlEEPS9_SE_NS0_5tupleIJPjSE_EEENSF_IJSE_SE_EEES9_SG_JZNS1_25segmented_radix_sort_implINS0_14default_configELb0EPKiPiPKlPlN2at6native12_GLOBAL__N_18offset_tEEE10hipError_tPvRmT1_PNSt15iterator_traitsISY_E10value_typeET2_T3_PNSZ_IS14_E10value_typeET4_jRbjT5_S1A_jjP12ihipStream_tbEUljE_EEESV_SW_SX_S14_S18_S1A_T6_T7_T9_mT8_S1C_bDpT10_ENKUlT_T0_E_clISt17integral_constantIbLb0EES1O_IbLb1EEEEDaS1K_S1L_EUlS1K_E_NS1_11comp_targetILNS1_3genE0ELNS1_11target_archE4294967295ELNS1_3gpuE0ELNS1_3repE0EEENS1_30default_config_static_selectorELNS0_4arch9wavefront6targetE1EEEvSY_ ; -- Begin function _ZN7rocprim17ROCPRIM_400000_NS6detail17trampoline_kernelINS0_13select_configILj256ELj13ELNS0_17block_load_methodE3ELS4_3ELS4_3ELNS0_20block_scan_algorithmE0ELj4294967295EEENS1_25partition_config_selectorILNS1_17partition_subalgoE3EjNS0_10empty_typeEbEEZZNS1_14partition_implILS8_3ELb0ES6_jNS0_17counting_iteratorIjlEEPS9_SE_NS0_5tupleIJPjSE_EEENSF_IJSE_SE_EEES9_SG_JZNS1_25segmented_radix_sort_implINS0_14default_configELb0EPKiPiPKlPlN2at6native12_GLOBAL__N_18offset_tEEE10hipError_tPvRmT1_PNSt15iterator_traitsISY_E10value_typeET2_T3_PNSZ_IS14_E10value_typeET4_jRbjT5_S1A_jjP12ihipStream_tbEUljE_EEESV_SW_SX_S14_S18_S1A_T6_T7_T9_mT8_S1C_bDpT10_ENKUlT_T0_E_clISt17integral_constantIbLb0EES1O_IbLb1EEEEDaS1K_S1L_EUlS1K_E_NS1_11comp_targetILNS1_3genE0ELNS1_11target_archE4294967295ELNS1_3gpuE0ELNS1_3repE0EEENS1_30default_config_static_selectorELNS0_4arch9wavefront6targetE1EEEvSY_
	.p2align	8
	.type	_ZN7rocprim17ROCPRIM_400000_NS6detail17trampoline_kernelINS0_13select_configILj256ELj13ELNS0_17block_load_methodE3ELS4_3ELS4_3ELNS0_20block_scan_algorithmE0ELj4294967295EEENS1_25partition_config_selectorILNS1_17partition_subalgoE3EjNS0_10empty_typeEbEEZZNS1_14partition_implILS8_3ELb0ES6_jNS0_17counting_iteratorIjlEEPS9_SE_NS0_5tupleIJPjSE_EEENSF_IJSE_SE_EEES9_SG_JZNS1_25segmented_radix_sort_implINS0_14default_configELb0EPKiPiPKlPlN2at6native12_GLOBAL__N_18offset_tEEE10hipError_tPvRmT1_PNSt15iterator_traitsISY_E10value_typeET2_T3_PNSZ_IS14_E10value_typeET4_jRbjT5_S1A_jjP12ihipStream_tbEUljE_EEESV_SW_SX_S14_S18_S1A_T6_T7_T9_mT8_S1C_bDpT10_ENKUlT_T0_E_clISt17integral_constantIbLb0EES1O_IbLb1EEEEDaS1K_S1L_EUlS1K_E_NS1_11comp_targetILNS1_3genE0ELNS1_11target_archE4294967295ELNS1_3gpuE0ELNS1_3repE0EEENS1_30default_config_static_selectorELNS0_4arch9wavefront6targetE1EEEvSY_,@function
_ZN7rocprim17ROCPRIM_400000_NS6detail17trampoline_kernelINS0_13select_configILj256ELj13ELNS0_17block_load_methodE3ELS4_3ELS4_3ELNS0_20block_scan_algorithmE0ELj4294967295EEENS1_25partition_config_selectorILNS1_17partition_subalgoE3EjNS0_10empty_typeEbEEZZNS1_14partition_implILS8_3ELb0ES6_jNS0_17counting_iteratorIjlEEPS9_SE_NS0_5tupleIJPjSE_EEENSF_IJSE_SE_EEES9_SG_JZNS1_25segmented_radix_sort_implINS0_14default_configELb0EPKiPiPKlPlN2at6native12_GLOBAL__N_18offset_tEEE10hipError_tPvRmT1_PNSt15iterator_traitsISY_E10value_typeET2_T3_PNSZ_IS14_E10value_typeET4_jRbjT5_S1A_jjP12ihipStream_tbEUljE_EEESV_SW_SX_S14_S18_S1A_T6_T7_T9_mT8_S1C_bDpT10_ENKUlT_T0_E_clISt17integral_constantIbLb0EES1O_IbLb1EEEEDaS1K_S1L_EUlS1K_E_NS1_11comp_targetILNS1_3genE0ELNS1_11target_archE4294967295ELNS1_3gpuE0ELNS1_3repE0EEENS1_30default_config_static_selectorELNS0_4arch9wavefront6targetE1EEEvSY_: ; @_ZN7rocprim17ROCPRIM_400000_NS6detail17trampoline_kernelINS0_13select_configILj256ELj13ELNS0_17block_load_methodE3ELS4_3ELS4_3ELNS0_20block_scan_algorithmE0ELj4294967295EEENS1_25partition_config_selectorILNS1_17partition_subalgoE3EjNS0_10empty_typeEbEEZZNS1_14partition_implILS8_3ELb0ES6_jNS0_17counting_iteratorIjlEEPS9_SE_NS0_5tupleIJPjSE_EEENSF_IJSE_SE_EEES9_SG_JZNS1_25segmented_radix_sort_implINS0_14default_configELb0EPKiPiPKlPlN2at6native12_GLOBAL__N_18offset_tEEE10hipError_tPvRmT1_PNSt15iterator_traitsISY_E10value_typeET2_T3_PNSZ_IS14_E10value_typeET4_jRbjT5_S1A_jjP12ihipStream_tbEUljE_EEESV_SW_SX_S14_S18_S1A_T6_T7_T9_mT8_S1C_bDpT10_ENKUlT_T0_E_clISt17integral_constantIbLb0EES1O_IbLb1EEEEDaS1K_S1L_EUlS1K_E_NS1_11comp_targetILNS1_3genE0ELNS1_11target_archE4294967295ELNS1_3gpuE0ELNS1_3repE0EEENS1_30default_config_static_selectorELNS0_4arch9wavefront6targetE1EEEvSY_
; %bb.0:
	.section	.rodata,"a",@progbits
	.p2align	6, 0x0
	.amdhsa_kernel _ZN7rocprim17ROCPRIM_400000_NS6detail17trampoline_kernelINS0_13select_configILj256ELj13ELNS0_17block_load_methodE3ELS4_3ELS4_3ELNS0_20block_scan_algorithmE0ELj4294967295EEENS1_25partition_config_selectorILNS1_17partition_subalgoE3EjNS0_10empty_typeEbEEZZNS1_14partition_implILS8_3ELb0ES6_jNS0_17counting_iteratorIjlEEPS9_SE_NS0_5tupleIJPjSE_EEENSF_IJSE_SE_EEES9_SG_JZNS1_25segmented_radix_sort_implINS0_14default_configELb0EPKiPiPKlPlN2at6native12_GLOBAL__N_18offset_tEEE10hipError_tPvRmT1_PNSt15iterator_traitsISY_E10value_typeET2_T3_PNSZ_IS14_E10value_typeET4_jRbjT5_S1A_jjP12ihipStream_tbEUljE_EEESV_SW_SX_S14_S18_S1A_T6_T7_T9_mT8_S1C_bDpT10_ENKUlT_T0_E_clISt17integral_constantIbLb0EES1O_IbLb1EEEEDaS1K_S1L_EUlS1K_E_NS1_11comp_targetILNS1_3genE0ELNS1_11target_archE4294967295ELNS1_3gpuE0ELNS1_3repE0EEENS1_30default_config_static_selectorELNS0_4arch9wavefront6targetE1EEEvSY_
		.amdhsa_group_segment_fixed_size 0
		.amdhsa_private_segment_fixed_size 0
		.amdhsa_kernarg_size 152
		.amdhsa_user_sgpr_count 6
		.amdhsa_user_sgpr_private_segment_buffer 1
		.amdhsa_user_sgpr_dispatch_ptr 0
		.amdhsa_user_sgpr_queue_ptr 0
		.amdhsa_user_sgpr_kernarg_segment_ptr 1
		.amdhsa_user_sgpr_dispatch_id 0
		.amdhsa_user_sgpr_flat_scratch_init 0
		.amdhsa_user_sgpr_private_segment_size 0
		.amdhsa_uses_dynamic_stack 0
		.amdhsa_system_sgpr_private_segment_wavefront_offset 0
		.amdhsa_system_sgpr_workgroup_id_x 1
		.amdhsa_system_sgpr_workgroup_id_y 0
		.amdhsa_system_sgpr_workgroup_id_z 0
		.amdhsa_system_sgpr_workgroup_info 0
		.amdhsa_system_vgpr_workitem_id 0
		.amdhsa_next_free_vgpr 1
		.amdhsa_next_free_sgpr 0
		.amdhsa_reserve_vcc 0
		.amdhsa_reserve_flat_scratch 0
		.amdhsa_float_round_mode_32 0
		.amdhsa_float_round_mode_16_64 0
		.amdhsa_float_denorm_mode_32 3
		.amdhsa_float_denorm_mode_16_64 3
		.amdhsa_dx10_clamp 1
		.amdhsa_ieee_mode 1
		.amdhsa_fp16_overflow 0
		.amdhsa_exception_fp_ieee_invalid_op 0
		.amdhsa_exception_fp_denorm_src 0
		.amdhsa_exception_fp_ieee_div_zero 0
		.amdhsa_exception_fp_ieee_overflow 0
		.amdhsa_exception_fp_ieee_underflow 0
		.amdhsa_exception_fp_ieee_inexact 0
		.amdhsa_exception_int_div_zero 0
	.end_amdhsa_kernel
	.section	.text._ZN7rocprim17ROCPRIM_400000_NS6detail17trampoline_kernelINS0_13select_configILj256ELj13ELNS0_17block_load_methodE3ELS4_3ELS4_3ELNS0_20block_scan_algorithmE0ELj4294967295EEENS1_25partition_config_selectorILNS1_17partition_subalgoE3EjNS0_10empty_typeEbEEZZNS1_14partition_implILS8_3ELb0ES6_jNS0_17counting_iteratorIjlEEPS9_SE_NS0_5tupleIJPjSE_EEENSF_IJSE_SE_EEES9_SG_JZNS1_25segmented_radix_sort_implINS0_14default_configELb0EPKiPiPKlPlN2at6native12_GLOBAL__N_18offset_tEEE10hipError_tPvRmT1_PNSt15iterator_traitsISY_E10value_typeET2_T3_PNSZ_IS14_E10value_typeET4_jRbjT5_S1A_jjP12ihipStream_tbEUljE_EEESV_SW_SX_S14_S18_S1A_T6_T7_T9_mT8_S1C_bDpT10_ENKUlT_T0_E_clISt17integral_constantIbLb0EES1O_IbLb1EEEEDaS1K_S1L_EUlS1K_E_NS1_11comp_targetILNS1_3genE0ELNS1_11target_archE4294967295ELNS1_3gpuE0ELNS1_3repE0EEENS1_30default_config_static_selectorELNS0_4arch9wavefront6targetE1EEEvSY_,"axG",@progbits,_ZN7rocprim17ROCPRIM_400000_NS6detail17trampoline_kernelINS0_13select_configILj256ELj13ELNS0_17block_load_methodE3ELS4_3ELS4_3ELNS0_20block_scan_algorithmE0ELj4294967295EEENS1_25partition_config_selectorILNS1_17partition_subalgoE3EjNS0_10empty_typeEbEEZZNS1_14partition_implILS8_3ELb0ES6_jNS0_17counting_iteratorIjlEEPS9_SE_NS0_5tupleIJPjSE_EEENSF_IJSE_SE_EEES9_SG_JZNS1_25segmented_radix_sort_implINS0_14default_configELb0EPKiPiPKlPlN2at6native12_GLOBAL__N_18offset_tEEE10hipError_tPvRmT1_PNSt15iterator_traitsISY_E10value_typeET2_T3_PNSZ_IS14_E10value_typeET4_jRbjT5_S1A_jjP12ihipStream_tbEUljE_EEESV_SW_SX_S14_S18_S1A_T6_T7_T9_mT8_S1C_bDpT10_ENKUlT_T0_E_clISt17integral_constantIbLb0EES1O_IbLb1EEEEDaS1K_S1L_EUlS1K_E_NS1_11comp_targetILNS1_3genE0ELNS1_11target_archE4294967295ELNS1_3gpuE0ELNS1_3repE0EEENS1_30default_config_static_selectorELNS0_4arch9wavefront6targetE1EEEvSY_,comdat
.Lfunc_end592:
	.size	_ZN7rocprim17ROCPRIM_400000_NS6detail17trampoline_kernelINS0_13select_configILj256ELj13ELNS0_17block_load_methodE3ELS4_3ELS4_3ELNS0_20block_scan_algorithmE0ELj4294967295EEENS1_25partition_config_selectorILNS1_17partition_subalgoE3EjNS0_10empty_typeEbEEZZNS1_14partition_implILS8_3ELb0ES6_jNS0_17counting_iteratorIjlEEPS9_SE_NS0_5tupleIJPjSE_EEENSF_IJSE_SE_EEES9_SG_JZNS1_25segmented_radix_sort_implINS0_14default_configELb0EPKiPiPKlPlN2at6native12_GLOBAL__N_18offset_tEEE10hipError_tPvRmT1_PNSt15iterator_traitsISY_E10value_typeET2_T3_PNSZ_IS14_E10value_typeET4_jRbjT5_S1A_jjP12ihipStream_tbEUljE_EEESV_SW_SX_S14_S18_S1A_T6_T7_T9_mT8_S1C_bDpT10_ENKUlT_T0_E_clISt17integral_constantIbLb0EES1O_IbLb1EEEEDaS1K_S1L_EUlS1K_E_NS1_11comp_targetILNS1_3genE0ELNS1_11target_archE4294967295ELNS1_3gpuE0ELNS1_3repE0EEENS1_30default_config_static_selectorELNS0_4arch9wavefront6targetE1EEEvSY_, .Lfunc_end592-_ZN7rocprim17ROCPRIM_400000_NS6detail17trampoline_kernelINS0_13select_configILj256ELj13ELNS0_17block_load_methodE3ELS4_3ELS4_3ELNS0_20block_scan_algorithmE0ELj4294967295EEENS1_25partition_config_selectorILNS1_17partition_subalgoE3EjNS0_10empty_typeEbEEZZNS1_14partition_implILS8_3ELb0ES6_jNS0_17counting_iteratorIjlEEPS9_SE_NS0_5tupleIJPjSE_EEENSF_IJSE_SE_EEES9_SG_JZNS1_25segmented_radix_sort_implINS0_14default_configELb0EPKiPiPKlPlN2at6native12_GLOBAL__N_18offset_tEEE10hipError_tPvRmT1_PNSt15iterator_traitsISY_E10value_typeET2_T3_PNSZ_IS14_E10value_typeET4_jRbjT5_S1A_jjP12ihipStream_tbEUljE_EEESV_SW_SX_S14_S18_S1A_T6_T7_T9_mT8_S1C_bDpT10_ENKUlT_T0_E_clISt17integral_constantIbLb0EES1O_IbLb1EEEEDaS1K_S1L_EUlS1K_E_NS1_11comp_targetILNS1_3genE0ELNS1_11target_archE4294967295ELNS1_3gpuE0ELNS1_3repE0EEENS1_30default_config_static_selectorELNS0_4arch9wavefront6targetE1EEEvSY_
                                        ; -- End function
	.set _ZN7rocprim17ROCPRIM_400000_NS6detail17trampoline_kernelINS0_13select_configILj256ELj13ELNS0_17block_load_methodE3ELS4_3ELS4_3ELNS0_20block_scan_algorithmE0ELj4294967295EEENS1_25partition_config_selectorILNS1_17partition_subalgoE3EjNS0_10empty_typeEbEEZZNS1_14partition_implILS8_3ELb0ES6_jNS0_17counting_iteratorIjlEEPS9_SE_NS0_5tupleIJPjSE_EEENSF_IJSE_SE_EEES9_SG_JZNS1_25segmented_radix_sort_implINS0_14default_configELb0EPKiPiPKlPlN2at6native12_GLOBAL__N_18offset_tEEE10hipError_tPvRmT1_PNSt15iterator_traitsISY_E10value_typeET2_T3_PNSZ_IS14_E10value_typeET4_jRbjT5_S1A_jjP12ihipStream_tbEUljE_EEESV_SW_SX_S14_S18_S1A_T6_T7_T9_mT8_S1C_bDpT10_ENKUlT_T0_E_clISt17integral_constantIbLb0EES1O_IbLb1EEEEDaS1K_S1L_EUlS1K_E_NS1_11comp_targetILNS1_3genE0ELNS1_11target_archE4294967295ELNS1_3gpuE0ELNS1_3repE0EEENS1_30default_config_static_selectorELNS0_4arch9wavefront6targetE1EEEvSY_.num_vgpr, 0
	.set _ZN7rocprim17ROCPRIM_400000_NS6detail17trampoline_kernelINS0_13select_configILj256ELj13ELNS0_17block_load_methodE3ELS4_3ELS4_3ELNS0_20block_scan_algorithmE0ELj4294967295EEENS1_25partition_config_selectorILNS1_17partition_subalgoE3EjNS0_10empty_typeEbEEZZNS1_14partition_implILS8_3ELb0ES6_jNS0_17counting_iteratorIjlEEPS9_SE_NS0_5tupleIJPjSE_EEENSF_IJSE_SE_EEES9_SG_JZNS1_25segmented_radix_sort_implINS0_14default_configELb0EPKiPiPKlPlN2at6native12_GLOBAL__N_18offset_tEEE10hipError_tPvRmT1_PNSt15iterator_traitsISY_E10value_typeET2_T3_PNSZ_IS14_E10value_typeET4_jRbjT5_S1A_jjP12ihipStream_tbEUljE_EEESV_SW_SX_S14_S18_S1A_T6_T7_T9_mT8_S1C_bDpT10_ENKUlT_T0_E_clISt17integral_constantIbLb0EES1O_IbLb1EEEEDaS1K_S1L_EUlS1K_E_NS1_11comp_targetILNS1_3genE0ELNS1_11target_archE4294967295ELNS1_3gpuE0ELNS1_3repE0EEENS1_30default_config_static_selectorELNS0_4arch9wavefront6targetE1EEEvSY_.num_agpr, 0
	.set _ZN7rocprim17ROCPRIM_400000_NS6detail17trampoline_kernelINS0_13select_configILj256ELj13ELNS0_17block_load_methodE3ELS4_3ELS4_3ELNS0_20block_scan_algorithmE0ELj4294967295EEENS1_25partition_config_selectorILNS1_17partition_subalgoE3EjNS0_10empty_typeEbEEZZNS1_14partition_implILS8_3ELb0ES6_jNS0_17counting_iteratorIjlEEPS9_SE_NS0_5tupleIJPjSE_EEENSF_IJSE_SE_EEES9_SG_JZNS1_25segmented_radix_sort_implINS0_14default_configELb0EPKiPiPKlPlN2at6native12_GLOBAL__N_18offset_tEEE10hipError_tPvRmT1_PNSt15iterator_traitsISY_E10value_typeET2_T3_PNSZ_IS14_E10value_typeET4_jRbjT5_S1A_jjP12ihipStream_tbEUljE_EEESV_SW_SX_S14_S18_S1A_T6_T7_T9_mT8_S1C_bDpT10_ENKUlT_T0_E_clISt17integral_constantIbLb0EES1O_IbLb1EEEEDaS1K_S1L_EUlS1K_E_NS1_11comp_targetILNS1_3genE0ELNS1_11target_archE4294967295ELNS1_3gpuE0ELNS1_3repE0EEENS1_30default_config_static_selectorELNS0_4arch9wavefront6targetE1EEEvSY_.numbered_sgpr, 0
	.set _ZN7rocprim17ROCPRIM_400000_NS6detail17trampoline_kernelINS0_13select_configILj256ELj13ELNS0_17block_load_methodE3ELS4_3ELS4_3ELNS0_20block_scan_algorithmE0ELj4294967295EEENS1_25partition_config_selectorILNS1_17partition_subalgoE3EjNS0_10empty_typeEbEEZZNS1_14partition_implILS8_3ELb0ES6_jNS0_17counting_iteratorIjlEEPS9_SE_NS0_5tupleIJPjSE_EEENSF_IJSE_SE_EEES9_SG_JZNS1_25segmented_radix_sort_implINS0_14default_configELb0EPKiPiPKlPlN2at6native12_GLOBAL__N_18offset_tEEE10hipError_tPvRmT1_PNSt15iterator_traitsISY_E10value_typeET2_T3_PNSZ_IS14_E10value_typeET4_jRbjT5_S1A_jjP12ihipStream_tbEUljE_EEESV_SW_SX_S14_S18_S1A_T6_T7_T9_mT8_S1C_bDpT10_ENKUlT_T0_E_clISt17integral_constantIbLb0EES1O_IbLb1EEEEDaS1K_S1L_EUlS1K_E_NS1_11comp_targetILNS1_3genE0ELNS1_11target_archE4294967295ELNS1_3gpuE0ELNS1_3repE0EEENS1_30default_config_static_selectorELNS0_4arch9wavefront6targetE1EEEvSY_.num_named_barrier, 0
	.set _ZN7rocprim17ROCPRIM_400000_NS6detail17trampoline_kernelINS0_13select_configILj256ELj13ELNS0_17block_load_methodE3ELS4_3ELS4_3ELNS0_20block_scan_algorithmE0ELj4294967295EEENS1_25partition_config_selectorILNS1_17partition_subalgoE3EjNS0_10empty_typeEbEEZZNS1_14partition_implILS8_3ELb0ES6_jNS0_17counting_iteratorIjlEEPS9_SE_NS0_5tupleIJPjSE_EEENSF_IJSE_SE_EEES9_SG_JZNS1_25segmented_radix_sort_implINS0_14default_configELb0EPKiPiPKlPlN2at6native12_GLOBAL__N_18offset_tEEE10hipError_tPvRmT1_PNSt15iterator_traitsISY_E10value_typeET2_T3_PNSZ_IS14_E10value_typeET4_jRbjT5_S1A_jjP12ihipStream_tbEUljE_EEESV_SW_SX_S14_S18_S1A_T6_T7_T9_mT8_S1C_bDpT10_ENKUlT_T0_E_clISt17integral_constantIbLb0EES1O_IbLb1EEEEDaS1K_S1L_EUlS1K_E_NS1_11comp_targetILNS1_3genE0ELNS1_11target_archE4294967295ELNS1_3gpuE0ELNS1_3repE0EEENS1_30default_config_static_selectorELNS0_4arch9wavefront6targetE1EEEvSY_.private_seg_size, 0
	.set _ZN7rocprim17ROCPRIM_400000_NS6detail17trampoline_kernelINS0_13select_configILj256ELj13ELNS0_17block_load_methodE3ELS4_3ELS4_3ELNS0_20block_scan_algorithmE0ELj4294967295EEENS1_25partition_config_selectorILNS1_17partition_subalgoE3EjNS0_10empty_typeEbEEZZNS1_14partition_implILS8_3ELb0ES6_jNS0_17counting_iteratorIjlEEPS9_SE_NS0_5tupleIJPjSE_EEENSF_IJSE_SE_EEES9_SG_JZNS1_25segmented_radix_sort_implINS0_14default_configELb0EPKiPiPKlPlN2at6native12_GLOBAL__N_18offset_tEEE10hipError_tPvRmT1_PNSt15iterator_traitsISY_E10value_typeET2_T3_PNSZ_IS14_E10value_typeET4_jRbjT5_S1A_jjP12ihipStream_tbEUljE_EEESV_SW_SX_S14_S18_S1A_T6_T7_T9_mT8_S1C_bDpT10_ENKUlT_T0_E_clISt17integral_constantIbLb0EES1O_IbLb1EEEEDaS1K_S1L_EUlS1K_E_NS1_11comp_targetILNS1_3genE0ELNS1_11target_archE4294967295ELNS1_3gpuE0ELNS1_3repE0EEENS1_30default_config_static_selectorELNS0_4arch9wavefront6targetE1EEEvSY_.uses_vcc, 0
	.set _ZN7rocprim17ROCPRIM_400000_NS6detail17trampoline_kernelINS0_13select_configILj256ELj13ELNS0_17block_load_methodE3ELS4_3ELS4_3ELNS0_20block_scan_algorithmE0ELj4294967295EEENS1_25partition_config_selectorILNS1_17partition_subalgoE3EjNS0_10empty_typeEbEEZZNS1_14partition_implILS8_3ELb0ES6_jNS0_17counting_iteratorIjlEEPS9_SE_NS0_5tupleIJPjSE_EEENSF_IJSE_SE_EEES9_SG_JZNS1_25segmented_radix_sort_implINS0_14default_configELb0EPKiPiPKlPlN2at6native12_GLOBAL__N_18offset_tEEE10hipError_tPvRmT1_PNSt15iterator_traitsISY_E10value_typeET2_T3_PNSZ_IS14_E10value_typeET4_jRbjT5_S1A_jjP12ihipStream_tbEUljE_EEESV_SW_SX_S14_S18_S1A_T6_T7_T9_mT8_S1C_bDpT10_ENKUlT_T0_E_clISt17integral_constantIbLb0EES1O_IbLb1EEEEDaS1K_S1L_EUlS1K_E_NS1_11comp_targetILNS1_3genE0ELNS1_11target_archE4294967295ELNS1_3gpuE0ELNS1_3repE0EEENS1_30default_config_static_selectorELNS0_4arch9wavefront6targetE1EEEvSY_.uses_flat_scratch, 0
	.set _ZN7rocprim17ROCPRIM_400000_NS6detail17trampoline_kernelINS0_13select_configILj256ELj13ELNS0_17block_load_methodE3ELS4_3ELS4_3ELNS0_20block_scan_algorithmE0ELj4294967295EEENS1_25partition_config_selectorILNS1_17partition_subalgoE3EjNS0_10empty_typeEbEEZZNS1_14partition_implILS8_3ELb0ES6_jNS0_17counting_iteratorIjlEEPS9_SE_NS0_5tupleIJPjSE_EEENSF_IJSE_SE_EEES9_SG_JZNS1_25segmented_radix_sort_implINS0_14default_configELb0EPKiPiPKlPlN2at6native12_GLOBAL__N_18offset_tEEE10hipError_tPvRmT1_PNSt15iterator_traitsISY_E10value_typeET2_T3_PNSZ_IS14_E10value_typeET4_jRbjT5_S1A_jjP12ihipStream_tbEUljE_EEESV_SW_SX_S14_S18_S1A_T6_T7_T9_mT8_S1C_bDpT10_ENKUlT_T0_E_clISt17integral_constantIbLb0EES1O_IbLb1EEEEDaS1K_S1L_EUlS1K_E_NS1_11comp_targetILNS1_3genE0ELNS1_11target_archE4294967295ELNS1_3gpuE0ELNS1_3repE0EEENS1_30default_config_static_selectorELNS0_4arch9wavefront6targetE1EEEvSY_.has_dyn_sized_stack, 0
	.set _ZN7rocprim17ROCPRIM_400000_NS6detail17trampoline_kernelINS0_13select_configILj256ELj13ELNS0_17block_load_methodE3ELS4_3ELS4_3ELNS0_20block_scan_algorithmE0ELj4294967295EEENS1_25partition_config_selectorILNS1_17partition_subalgoE3EjNS0_10empty_typeEbEEZZNS1_14partition_implILS8_3ELb0ES6_jNS0_17counting_iteratorIjlEEPS9_SE_NS0_5tupleIJPjSE_EEENSF_IJSE_SE_EEES9_SG_JZNS1_25segmented_radix_sort_implINS0_14default_configELb0EPKiPiPKlPlN2at6native12_GLOBAL__N_18offset_tEEE10hipError_tPvRmT1_PNSt15iterator_traitsISY_E10value_typeET2_T3_PNSZ_IS14_E10value_typeET4_jRbjT5_S1A_jjP12ihipStream_tbEUljE_EEESV_SW_SX_S14_S18_S1A_T6_T7_T9_mT8_S1C_bDpT10_ENKUlT_T0_E_clISt17integral_constantIbLb0EES1O_IbLb1EEEEDaS1K_S1L_EUlS1K_E_NS1_11comp_targetILNS1_3genE0ELNS1_11target_archE4294967295ELNS1_3gpuE0ELNS1_3repE0EEENS1_30default_config_static_selectorELNS0_4arch9wavefront6targetE1EEEvSY_.has_recursion, 0
	.set _ZN7rocprim17ROCPRIM_400000_NS6detail17trampoline_kernelINS0_13select_configILj256ELj13ELNS0_17block_load_methodE3ELS4_3ELS4_3ELNS0_20block_scan_algorithmE0ELj4294967295EEENS1_25partition_config_selectorILNS1_17partition_subalgoE3EjNS0_10empty_typeEbEEZZNS1_14partition_implILS8_3ELb0ES6_jNS0_17counting_iteratorIjlEEPS9_SE_NS0_5tupleIJPjSE_EEENSF_IJSE_SE_EEES9_SG_JZNS1_25segmented_radix_sort_implINS0_14default_configELb0EPKiPiPKlPlN2at6native12_GLOBAL__N_18offset_tEEE10hipError_tPvRmT1_PNSt15iterator_traitsISY_E10value_typeET2_T3_PNSZ_IS14_E10value_typeET4_jRbjT5_S1A_jjP12ihipStream_tbEUljE_EEESV_SW_SX_S14_S18_S1A_T6_T7_T9_mT8_S1C_bDpT10_ENKUlT_T0_E_clISt17integral_constantIbLb0EES1O_IbLb1EEEEDaS1K_S1L_EUlS1K_E_NS1_11comp_targetILNS1_3genE0ELNS1_11target_archE4294967295ELNS1_3gpuE0ELNS1_3repE0EEENS1_30default_config_static_selectorELNS0_4arch9wavefront6targetE1EEEvSY_.has_indirect_call, 0
	.section	.AMDGPU.csdata,"",@progbits
; Kernel info:
; codeLenInByte = 0
; TotalNumSgprs: 4
; NumVgprs: 0
; ScratchSize: 0
; MemoryBound: 0
; FloatMode: 240
; IeeeMode: 1
; LDSByteSize: 0 bytes/workgroup (compile time only)
; SGPRBlocks: 0
; VGPRBlocks: 0
; NumSGPRsForWavesPerEU: 4
; NumVGPRsForWavesPerEU: 1
; Occupancy: 10
; WaveLimiterHint : 0
; COMPUTE_PGM_RSRC2:SCRATCH_EN: 0
; COMPUTE_PGM_RSRC2:USER_SGPR: 6
; COMPUTE_PGM_RSRC2:TRAP_HANDLER: 0
; COMPUTE_PGM_RSRC2:TGID_X_EN: 1
; COMPUTE_PGM_RSRC2:TGID_Y_EN: 0
; COMPUTE_PGM_RSRC2:TGID_Z_EN: 0
; COMPUTE_PGM_RSRC2:TIDIG_COMP_CNT: 0
	.section	.text._ZN7rocprim17ROCPRIM_400000_NS6detail17trampoline_kernelINS0_13select_configILj256ELj13ELNS0_17block_load_methodE3ELS4_3ELS4_3ELNS0_20block_scan_algorithmE0ELj4294967295EEENS1_25partition_config_selectorILNS1_17partition_subalgoE3EjNS0_10empty_typeEbEEZZNS1_14partition_implILS8_3ELb0ES6_jNS0_17counting_iteratorIjlEEPS9_SE_NS0_5tupleIJPjSE_EEENSF_IJSE_SE_EEES9_SG_JZNS1_25segmented_radix_sort_implINS0_14default_configELb0EPKiPiPKlPlN2at6native12_GLOBAL__N_18offset_tEEE10hipError_tPvRmT1_PNSt15iterator_traitsISY_E10value_typeET2_T3_PNSZ_IS14_E10value_typeET4_jRbjT5_S1A_jjP12ihipStream_tbEUljE_EEESV_SW_SX_S14_S18_S1A_T6_T7_T9_mT8_S1C_bDpT10_ENKUlT_T0_E_clISt17integral_constantIbLb0EES1O_IbLb1EEEEDaS1K_S1L_EUlS1K_E_NS1_11comp_targetILNS1_3genE5ELNS1_11target_archE942ELNS1_3gpuE9ELNS1_3repE0EEENS1_30default_config_static_selectorELNS0_4arch9wavefront6targetE1EEEvSY_,"axG",@progbits,_ZN7rocprim17ROCPRIM_400000_NS6detail17trampoline_kernelINS0_13select_configILj256ELj13ELNS0_17block_load_methodE3ELS4_3ELS4_3ELNS0_20block_scan_algorithmE0ELj4294967295EEENS1_25partition_config_selectorILNS1_17partition_subalgoE3EjNS0_10empty_typeEbEEZZNS1_14partition_implILS8_3ELb0ES6_jNS0_17counting_iteratorIjlEEPS9_SE_NS0_5tupleIJPjSE_EEENSF_IJSE_SE_EEES9_SG_JZNS1_25segmented_radix_sort_implINS0_14default_configELb0EPKiPiPKlPlN2at6native12_GLOBAL__N_18offset_tEEE10hipError_tPvRmT1_PNSt15iterator_traitsISY_E10value_typeET2_T3_PNSZ_IS14_E10value_typeET4_jRbjT5_S1A_jjP12ihipStream_tbEUljE_EEESV_SW_SX_S14_S18_S1A_T6_T7_T9_mT8_S1C_bDpT10_ENKUlT_T0_E_clISt17integral_constantIbLb0EES1O_IbLb1EEEEDaS1K_S1L_EUlS1K_E_NS1_11comp_targetILNS1_3genE5ELNS1_11target_archE942ELNS1_3gpuE9ELNS1_3repE0EEENS1_30default_config_static_selectorELNS0_4arch9wavefront6targetE1EEEvSY_,comdat
	.globl	_ZN7rocprim17ROCPRIM_400000_NS6detail17trampoline_kernelINS0_13select_configILj256ELj13ELNS0_17block_load_methodE3ELS4_3ELS4_3ELNS0_20block_scan_algorithmE0ELj4294967295EEENS1_25partition_config_selectorILNS1_17partition_subalgoE3EjNS0_10empty_typeEbEEZZNS1_14partition_implILS8_3ELb0ES6_jNS0_17counting_iteratorIjlEEPS9_SE_NS0_5tupleIJPjSE_EEENSF_IJSE_SE_EEES9_SG_JZNS1_25segmented_radix_sort_implINS0_14default_configELb0EPKiPiPKlPlN2at6native12_GLOBAL__N_18offset_tEEE10hipError_tPvRmT1_PNSt15iterator_traitsISY_E10value_typeET2_T3_PNSZ_IS14_E10value_typeET4_jRbjT5_S1A_jjP12ihipStream_tbEUljE_EEESV_SW_SX_S14_S18_S1A_T6_T7_T9_mT8_S1C_bDpT10_ENKUlT_T0_E_clISt17integral_constantIbLb0EES1O_IbLb1EEEEDaS1K_S1L_EUlS1K_E_NS1_11comp_targetILNS1_3genE5ELNS1_11target_archE942ELNS1_3gpuE9ELNS1_3repE0EEENS1_30default_config_static_selectorELNS0_4arch9wavefront6targetE1EEEvSY_ ; -- Begin function _ZN7rocprim17ROCPRIM_400000_NS6detail17trampoline_kernelINS0_13select_configILj256ELj13ELNS0_17block_load_methodE3ELS4_3ELS4_3ELNS0_20block_scan_algorithmE0ELj4294967295EEENS1_25partition_config_selectorILNS1_17partition_subalgoE3EjNS0_10empty_typeEbEEZZNS1_14partition_implILS8_3ELb0ES6_jNS0_17counting_iteratorIjlEEPS9_SE_NS0_5tupleIJPjSE_EEENSF_IJSE_SE_EEES9_SG_JZNS1_25segmented_radix_sort_implINS0_14default_configELb0EPKiPiPKlPlN2at6native12_GLOBAL__N_18offset_tEEE10hipError_tPvRmT1_PNSt15iterator_traitsISY_E10value_typeET2_T3_PNSZ_IS14_E10value_typeET4_jRbjT5_S1A_jjP12ihipStream_tbEUljE_EEESV_SW_SX_S14_S18_S1A_T6_T7_T9_mT8_S1C_bDpT10_ENKUlT_T0_E_clISt17integral_constantIbLb0EES1O_IbLb1EEEEDaS1K_S1L_EUlS1K_E_NS1_11comp_targetILNS1_3genE5ELNS1_11target_archE942ELNS1_3gpuE9ELNS1_3repE0EEENS1_30default_config_static_selectorELNS0_4arch9wavefront6targetE1EEEvSY_
	.p2align	8
	.type	_ZN7rocprim17ROCPRIM_400000_NS6detail17trampoline_kernelINS0_13select_configILj256ELj13ELNS0_17block_load_methodE3ELS4_3ELS4_3ELNS0_20block_scan_algorithmE0ELj4294967295EEENS1_25partition_config_selectorILNS1_17partition_subalgoE3EjNS0_10empty_typeEbEEZZNS1_14partition_implILS8_3ELb0ES6_jNS0_17counting_iteratorIjlEEPS9_SE_NS0_5tupleIJPjSE_EEENSF_IJSE_SE_EEES9_SG_JZNS1_25segmented_radix_sort_implINS0_14default_configELb0EPKiPiPKlPlN2at6native12_GLOBAL__N_18offset_tEEE10hipError_tPvRmT1_PNSt15iterator_traitsISY_E10value_typeET2_T3_PNSZ_IS14_E10value_typeET4_jRbjT5_S1A_jjP12ihipStream_tbEUljE_EEESV_SW_SX_S14_S18_S1A_T6_T7_T9_mT8_S1C_bDpT10_ENKUlT_T0_E_clISt17integral_constantIbLb0EES1O_IbLb1EEEEDaS1K_S1L_EUlS1K_E_NS1_11comp_targetILNS1_3genE5ELNS1_11target_archE942ELNS1_3gpuE9ELNS1_3repE0EEENS1_30default_config_static_selectorELNS0_4arch9wavefront6targetE1EEEvSY_,@function
_ZN7rocprim17ROCPRIM_400000_NS6detail17trampoline_kernelINS0_13select_configILj256ELj13ELNS0_17block_load_methodE3ELS4_3ELS4_3ELNS0_20block_scan_algorithmE0ELj4294967295EEENS1_25partition_config_selectorILNS1_17partition_subalgoE3EjNS0_10empty_typeEbEEZZNS1_14partition_implILS8_3ELb0ES6_jNS0_17counting_iteratorIjlEEPS9_SE_NS0_5tupleIJPjSE_EEENSF_IJSE_SE_EEES9_SG_JZNS1_25segmented_radix_sort_implINS0_14default_configELb0EPKiPiPKlPlN2at6native12_GLOBAL__N_18offset_tEEE10hipError_tPvRmT1_PNSt15iterator_traitsISY_E10value_typeET2_T3_PNSZ_IS14_E10value_typeET4_jRbjT5_S1A_jjP12ihipStream_tbEUljE_EEESV_SW_SX_S14_S18_S1A_T6_T7_T9_mT8_S1C_bDpT10_ENKUlT_T0_E_clISt17integral_constantIbLb0EES1O_IbLb1EEEEDaS1K_S1L_EUlS1K_E_NS1_11comp_targetILNS1_3genE5ELNS1_11target_archE942ELNS1_3gpuE9ELNS1_3repE0EEENS1_30default_config_static_selectorELNS0_4arch9wavefront6targetE1EEEvSY_: ; @_ZN7rocprim17ROCPRIM_400000_NS6detail17trampoline_kernelINS0_13select_configILj256ELj13ELNS0_17block_load_methodE3ELS4_3ELS4_3ELNS0_20block_scan_algorithmE0ELj4294967295EEENS1_25partition_config_selectorILNS1_17partition_subalgoE3EjNS0_10empty_typeEbEEZZNS1_14partition_implILS8_3ELb0ES6_jNS0_17counting_iteratorIjlEEPS9_SE_NS0_5tupleIJPjSE_EEENSF_IJSE_SE_EEES9_SG_JZNS1_25segmented_radix_sort_implINS0_14default_configELb0EPKiPiPKlPlN2at6native12_GLOBAL__N_18offset_tEEE10hipError_tPvRmT1_PNSt15iterator_traitsISY_E10value_typeET2_T3_PNSZ_IS14_E10value_typeET4_jRbjT5_S1A_jjP12ihipStream_tbEUljE_EEESV_SW_SX_S14_S18_S1A_T6_T7_T9_mT8_S1C_bDpT10_ENKUlT_T0_E_clISt17integral_constantIbLb0EES1O_IbLb1EEEEDaS1K_S1L_EUlS1K_E_NS1_11comp_targetILNS1_3genE5ELNS1_11target_archE942ELNS1_3gpuE9ELNS1_3repE0EEENS1_30default_config_static_selectorELNS0_4arch9wavefront6targetE1EEEvSY_
; %bb.0:
	.section	.rodata,"a",@progbits
	.p2align	6, 0x0
	.amdhsa_kernel _ZN7rocprim17ROCPRIM_400000_NS6detail17trampoline_kernelINS0_13select_configILj256ELj13ELNS0_17block_load_methodE3ELS4_3ELS4_3ELNS0_20block_scan_algorithmE0ELj4294967295EEENS1_25partition_config_selectorILNS1_17partition_subalgoE3EjNS0_10empty_typeEbEEZZNS1_14partition_implILS8_3ELb0ES6_jNS0_17counting_iteratorIjlEEPS9_SE_NS0_5tupleIJPjSE_EEENSF_IJSE_SE_EEES9_SG_JZNS1_25segmented_radix_sort_implINS0_14default_configELb0EPKiPiPKlPlN2at6native12_GLOBAL__N_18offset_tEEE10hipError_tPvRmT1_PNSt15iterator_traitsISY_E10value_typeET2_T3_PNSZ_IS14_E10value_typeET4_jRbjT5_S1A_jjP12ihipStream_tbEUljE_EEESV_SW_SX_S14_S18_S1A_T6_T7_T9_mT8_S1C_bDpT10_ENKUlT_T0_E_clISt17integral_constantIbLb0EES1O_IbLb1EEEEDaS1K_S1L_EUlS1K_E_NS1_11comp_targetILNS1_3genE5ELNS1_11target_archE942ELNS1_3gpuE9ELNS1_3repE0EEENS1_30default_config_static_selectorELNS0_4arch9wavefront6targetE1EEEvSY_
		.amdhsa_group_segment_fixed_size 0
		.amdhsa_private_segment_fixed_size 0
		.amdhsa_kernarg_size 152
		.amdhsa_user_sgpr_count 6
		.amdhsa_user_sgpr_private_segment_buffer 1
		.amdhsa_user_sgpr_dispatch_ptr 0
		.amdhsa_user_sgpr_queue_ptr 0
		.amdhsa_user_sgpr_kernarg_segment_ptr 1
		.amdhsa_user_sgpr_dispatch_id 0
		.amdhsa_user_sgpr_flat_scratch_init 0
		.amdhsa_user_sgpr_private_segment_size 0
		.amdhsa_uses_dynamic_stack 0
		.amdhsa_system_sgpr_private_segment_wavefront_offset 0
		.amdhsa_system_sgpr_workgroup_id_x 1
		.amdhsa_system_sgpr_workgroup_id_y 0
		.amdhsa_system_sgpr_workgroup_id_z 0
		.amdhsa_system_sgpr_workgroup_info 0
		.amdhsa_system_vgpr_workitem_id 0
		.amdhsa_next_free_vgpr 1
		.amdhsa_next_free_sgpr 0
		.amdhsa_reserve_vcc 0
		.amdhsa_reserve_flat_scratch 0
		.amdhsa_float_round_mode_32 0
		.amdhsa_float_round_mode_16_64 0
		.amdhsa_float_denorm_mode_32 3
		.amdhsa_float_denorm_mode_16_64 3
		.amdhsa_dx10_clamp 1
		.amdhsa_ieee_mode 1
		.amdhsa_fp16_overflow 0
		.amdhsa_exception_fp_ieee_invalid_op 0
		.amdhsa_exception_fp_denorm_src 0
		.amdhsa_exception_fp_ieee_div_zero 0
		.amdhsa_exception_fp_ieee_overflow 0
		.amdhsa_exception_fp_ieee_underflow 0
		.amdhsa_exception_fp_ieee_inexact 0
		.amdhsa_exception_int_div_zero 0
	.end_amdhsa_kernel
	.section	.text._ZN7rocprim17ROCPRIM_400000_NS6detail17trampoline_kernelINS0_13select_configILj256ELj13ELNS0_17block_load_methodE3ELS4_3ELS4_3ELNS0_20block_scan_algorithmE0ELj4294967295EEENS1_25partition_config_selectorILNS1_17partition_subalgoE3EjNS0_10empty_typeEbEEZZNS1_14partition_implILS8_3ELb0ES6_jNS0_17counting_iteratorIjlEEPS9_SE_NS0_5tupleIJPjSE_EEENSF_IJSE_SE_EEES9_SG_JZNS1_25segmented_radix_sort_implINS0_14default_configELb0EPKiPiPKlPlN2at6native12_GLOBAL__N_18offset_tEEE10hipError_tPvRmT1_PNSt15iterator_traitsISY_E10value_typeET2_T3_PNSZ_IS14_E10value_typeET4_jRbjT5_S1A_jjP12ihipStream_tbEUljE_EEESV_SW_SX_S14_S18_S1A_T6_T7_T9_mT8_S1C_bDpT10_ENKUlT_T0_E_clISt17integral_constantIbLb0EES1O_IbLb1EEEEDaS1K_S1L_EUlS1K_E_NS1_11comp_targetILNS1_3genE5ELNS1_11target_archE942ELNS1_3gpuE9ELNS1_3repE0EEENS1_30default_config_static_selectorELNS0_4arch9wavefront6targetE1EEEvSY_,"axG",@progbits,_ZN7rocprim17ROCPRIM_400000_NS6detail17trampoline_kernelINS0_13select_configILj256ELj13ELNS0_17block_load_methodE3ELS4_3ELS4_3ELNS0_20block_scan_algorithmE0ELj4294967295EEENS1_25partition_config_selectorILNS1_17partition_subalgoE3EjNS0_10empty_typeEbEEZZNS1_14partition_implILS8_3ELb0ES6_jNS0_17counting_iteratorIjlEEPS9_SE_NS0_5tupleIJPjSE_EEENSF_IJSE_SE_EEES9_SG_JZNS1_25segmented_radix_sort_implINS0_14default_configELb0EPKiPiPKlPlN2at6native12_GLOBAL__N_18offset_tEEE10hipError_tPvRmT1_PNSt15iterator_traitsISY_E10value_typeET2_T3_PNSZ_IS14_E10value_typeET4_jRbjT5_S1A_jjP12ihipStream_tbEUljE_EEESV_SW_SX_S14_S18_S1A_T6_T7_T9_mT8_S1C_bDpT10_ENKUlT_T0_E_clISt17integral_constantIbLb0EES1O_IbLb1EEEEDaS1K_S1L_EUlS1K_E_NS1_11comp_targetILNS1_3genE5ELNS1_11target_archE942ELNS1_3gpuE9ELNS1_3repE0EEENS1_30default_config_static_selectorELNS0_4arch9wavefront6targetE1EEEvSY_,comdat
.Lfunc_end593:
	.size	_ZN7rocprim17ROCPRIM_400000_NS6detail17trampoline_kernelINS0_13select_configILj256ELj13ELNS0_17block_load_methodE3ELS4_3ELS4_3ELNS0_20block_scan_algorithmE0ELj4294967295EEENS1_25partition_config_selectorILNS1_17partition_subalgoE3EjNS0_10empty_typeEbEEZZNS1_14partition_implILS8_3ELb0ES6_jNS0_17counting_iteratorIjlEEPS9_SE_NS0_5tupleIJPjSE_EEENSF_IJSE_SE_EEES9_SG_JZNS1_25segmented_radix_sort_implINS0_14default_configELb0EPKiPiPKlPlN2at6native12_GLOBAL__N_18offset_tEEE10hipError_tPvRmT1_PNSt15iterator_traitsISY_E10value_typeET2_T3_PNSZ_IS14_E10value_typeET4_jRbjT5_S1A_jjP12ihipStream_tbEUljE_EEESV_SW_SX_S14_S18_S1A_T6_T7_T9_mT8_S1C_bDpT10_ENKUlT_T0_E_clISt17integral_constantIbLb0EES1O_IbLb1EEEEDaS1K_S1L_EUlS1K_E_NS1_11comp_targetILNS1_3genE5ELNS1_11target_archE942ELNS1_3gpuE9ELNS1_3repE0EEENS1_30default_config_static_selectorELNS0_4arch9wavefront6targetE1EEEvSY_, .Lfunc_end593-_ZN7rocprim17ROCPRIM_400000_NS6detail17trampoline_kernelINS0_13select_configILj256ELj13ELNS0_17block_load_methodE3ELS4_3ELS4_3ELNS0_20block_scan_algorithmE0ELj4294967295EEENS1_25partition_config_selectorILNS1_17partition_subalgoE3EjNS0_10empty_typeEbEEZZNS1_14partition_implILS8_3ELb0ES6_jNS0_17counting_iteratorIjlEEPS9_SE_NS0_5tupleIJPjSE_EEENSF_IJSE_SE_EEES9_SG_JZNS1_25segmented_radix_sort_implINS0_14default_configELb0EPKiPiPKlPlN2at6native12_GLOBAL__N_18offset_tEEE10hipError_tPvRmT1_PNSt15iterator_traitsISY_E10value_typeET2_T3_PNSZ_IS14_E10value_typeET4_jRbjT5_S1A_jjP12ihipStream_tbEUljE_EEESV_SW_SX_S14_S18_S1A_T6_T7_T9_mT8_S1C_bDpT10_ENKUlT_T0_E_clISt17integral_constantIbLb0EES1O_IbLb1EEEEDaS1K_S1L_EUlS1K_E_NS1_11comp_targetILNS1_3genE5ELNS1_11target_archE942ELNS1_3gpuE9ELNS1_3repE0EEENS1_30default_config_static_selectorELNS0_4arch9wavefront6targetE1EEEvSY_
                                        ; -- End function
	.set _ZN7rocprim17ROCPRIM_400000_NS6detail17trampoline_kernelINS0_13select_configILj256ELj13ELNS0_17block_load_methodE3ELS4_3ELS4_3ELNS0_20block_scan_algorithmE0ELj4294967295EEENS1_25partition_config_selectorILNS1_17partition_subalgoE3EjNS0_10empty_typeEbEEZZNS1_14partition_implILS8_3ELb0ES6_jNS0_17counting_iteratorIjlEEPS9_SE_NS0_5tupleIJPjSE_EEENSF_IJSE_SE_EEES9_SG_JZNS1_25segmented_radix_sort_implINS0_14default_configELb0EPKiPiPKlPlN2at6native12_GLOBAL__N_18offset_tEEE10hipError_tPvRmT1_PNSt15iterator_traitsISY_E10value_typeET2_T3_PNSZ_IS14_E10value_typeET4_jRbjT5_S1A_jjP12ihipStream_tbEUljE_EEESV_SW_SX_S14_S18_S1A_T6_T7_T9_mT8_S1C_bDpT10_ENKUlT_T0_E_clISt17integral_constantIbLb0EES1O_IbLb1EEEEDaS1K_S1L_EUlS1K_E_NS1_11comp_targetILNS1_3genE5ELNS1_11target_archE942ELNS1_3gpuE9ELNS1_3repE0EEENS1_30default_config_static_selectorELNS0_4arch9wavefront6targetE1EEEvSY_.num_vgpr, 0
	.set _ZN7rocprim17ROCPRIM_400000_NS6detail17trampoline_kernelINS0_13select_configILj256ELj13ELNS0_17block_load_methodE3ELS4_3ELS4_3ELNS0_20block_scan_algorithmE0ELj4294967295EEENS1_25partition_config_selectorILNS1_17partition_subalgoE3EjNS0_10empty_typeEbEEZZNS1_14partition_implILS8_3ELb0ES6_jNS0_17counting_iteratorIjlEEPS9_SE_NS0_5tupleIJPjSE_EEENSF_IJSE_SE_EEES9_SG_JZNS1_25segmented_radix_sort_implINS0_14default_configELb0EPKiPiPKlPlN2at6native12_GLOBAL__N_18offset_tEEE10hipError_tPvRmT1_PNSt15iterator_traitsISY_E10value_typeET2_T3_PNSZ_IS14_E10value_typeET4_jRbjT5_S1A_jjP12ihipStream_tbEUljE_EEESV_SW_SX_S14_S18_S1A_T6_T7_T9_mT8_S1C_bDpT10_ENKUlT_T0_E_clISt17integral_constantIbLb0EES1O_IbLb1EEEEDaS1K_S1L_EUlS1K_E_NS1_11comp_targetILNS1_3genE5ELNS1_11target_archE942ELNS1_3gpuE9ELNS1_3repE0EEENS1_30default_config_static_selectorELNS0_4arch9wavefront6targetE1EEEvSY_.num_agpr, 0
	.set _ZN7rocprim17ROCPRIM_400000_NS6detail17trampoline_kernelINS0_13select_configILj256ELj13ELNS0_17block_load_methodE3ELS4_3ELS4_3ELNS0_20block_scan_algorithmE0ELj4294967295EEENS1_25partition_config_selectorILNS1_17partition_subalgoE3EjNS0_10empty_typeEbEEZZNS1_14partition_implILS8_3ELb0ES6_jNS0_17counting_iteratorIjlEEPS9_SE_NS0_5tupleIJPjSE_EEENSF_IJSE_SE_EEES9_SG_JZNS1_25segmented_radix_sort_implINS0_14default_configELb0EPKiPiPKlPlN2at6native12_GLOBAL__N_18offset_tEEE10hipError_tPvRmT1_PNSt15iterator_traitsISY_E10value_typeET2_T3_PNSZ_IS14_E10value_typeET4_jRbjT5_S1A_jjP12ihipStream_tbEUljE_EEESV_SW_SX_S14_S18_S1A_T6_T7_T9_mT8_S1C_bDpT10_ENKUlT_T0_E_clISt17integral_constantIbLb0EES1O_IbLb1EEEEDaS1K_S1L_EUlS1K_E_NS1_11comp_targetILNS1_3genE5ELNS1_11target_archE942ELNS1_3gpuE9ELNS1_3repE0EEENS1_30default_config_static_selectorELNS0_4arch9wavefront6targetE1EEEvSY_.numbered_sgpr, 0
	.set _ZN7rocprim17ROCPRIM_400000_NS6detail17trampoline_kernelINS0_13select_configILj256ELj13ELNS0_17block_load_methodE3ELS4_3ELS4_3ELNS0_20block_scan_algorithmE0ELj4294967295EEENS1_25partition_config_selectorILNS1_17partition_subalgoE3EjNS0_10empty_typeEbEEZZNS1_14partition_implILS8_3ELb0ES6_jNS0_17counting_iteratorIjlEEPS9_SE_NS0_5tupleIJPjSE_EEENSF_IJSE_SE_EEES9_SG_JZNS1_25segmented_radix_sort_implINS0_14default_configELb0EPKiPiPKlPlN2at6native12_GLOBAL__N_18offset_tEEE10hipError_tPvRmT1_PNSt15iterator_traitsISY_E10value_typeET2_T3_PNSZ_IS14_E10value_typeET4_jRbjT5_S1A_jjP12ihipStream_tbEUljE_EEESV_SW_SX_S14_S18_S1A_T6_T7_T9_mT8_S1C_bDpT10_ENKUlT_T0_E_clISt17integral_constantIbLb0EES1O_IbLb1EEEEDaS1K_S1L_EUlS1K_E_NS1_11comp_targetILNS1_3genE5ELNS1_11target_archE942ELNS1_3gpuE9ELNS1_3repE0EEENS1_30default_config_static_selectorELNS0_4arch9wavefront6targetE1EEEvSY_.num_named_barrier, 0
	.set _ZN7rocprim17ROCPRIM_400000_NS6detail17trampoline_kernelINS0_13select_configILj256ELj13ELNS0_17block_load_methodE3ELS4_3ELS4_3ELNS0_20block_scan_algorithmE0ELj4294967295EEENS1_25partition_config_selectorILNS1_17partition_subalgoE3EjNS0_10empty_typeEbEEZZNS1_14partition_implILS8_3ELb0ES6_jNS0_17counting_iteratorIjlEEPS9_SE_NS0_5tupleIJPjSE_EEENSF_IJSE_SE_EEES9_SG_JZNS1_25segmented_radix_sort_implINS0_14default_configELb0EPKiPiPKlPlN2at6native12_GLOBAL__N_18offset_tEEE10hipError_tPvRmT1_PNSt15iterator_traitsISY_E10value_typeET2_T3_PNSZ_IS14_E10value_typeET4_jRbjT5_S1A_jjP12ihipStream_tbEUljE_EEESV_SW_SX_S14_S18_S1A_T6_T7_T9_mT8_S1C_bDpT10_ENKUlT_T0_E_clISt17integral_constantIbLb0EES1O_IbLb1EEEEDaS1K_S1L_EUlS1K_E_NS1_11comp_targetILNS1_3genE5ELNS1_11target_archE942ELNS1_3gpuE9ELNS1_3repE0EEENS1_30default_config_static_selectorELNS0_4arch9wavefront6targetE1EEEvSY_.private_seg_size, 0
	.set _ZN7rocprim17ROCPRIM_400000_NS6detail17trampoline_kernelINS0_13select_configILj256ELj13ELNS0_17block_load_methodE3ELS4_3ELS4_3ELNS0_20block_scan_algorithmE0ELj4294967295EEENS1_25partition_config_selectorILNS1_17partition_subalgoE3EjNS0_10empty_typeEbEEZZNS1_14partition_implILS8_3ELb0ES6_jNS0_17counting_iteratorIjlEEPS9_SE_NS0_5tupleIJPjSE_EEENSF_IJSE_SE_EEES9_SG_JZNS1_25segmented_radix_sort_implINS0_14default_configELb0EPKiPiPKlPlN2at6native12_GLOBAL__N_18offset_tEEE10hipError_tPvRmT1_PNSt15iterator_traitsISY_E10value_typeET2_T3_PNSZ_IS14_E10value_typeET4_jRbjT5_S1A_jjP12ihipStream_tbEUljE_EEESV_SW_SX_S14_S18_S1A_T6_T7_T9_mT8_S1C_bDpT10_ENKUlT_T0_E_clISt17integral_constantIbLb0EES1O_IbLb1EEEEDaS1K_S1L_EUlS1K_E_NS1_11comp_targetILNS1_3genE5ELNS1_11target_archE942ELNS1_3gpuE9ELNS1_3repE0EEENS1_30default_config_static_selectorELNS0_4arch9wavefront6targetE1EEEvSY_.uses_vcc, 0
	.set _ZN7rocprim17ROCPRIM_400000_NS6detail17trampoline_kernelINS0_13select_configILj256ELj13ELNS0_17block_load_methodE3ELS4_3ELS4_3ELNS0_20block_scan_algorithmE0ELj4294967295EEENS1_25partition_config_selectorILNS1_17partition_subalgoE3EjNS0_10empty_typeEbEEZZNS1_14partition_implILS8_3ELb0ES6_jNS0_17counting_iteratorIjlEEPS9_SE_NS0_5tupleIJPjSE_EEENSF_IJSE_SE_EEES9_SG_JZNS1_25segmented_radix_sort_implINS0_14default_configELb0EPKiPiPKlPlN2at6native12_GLOBAL__N_18offset_tEEE10hipError_tPvRmT1_PNSt15iterator_traitsISY_E10value_typeET2_T3_PNSZ_IS14_E10value_typeET4_jRbjT5_S1A_jjP12ihipStream_tbEUljE_EEESV_SW_SX_S14_S18_S1A_T6_T7_T9_mT8_S1C_bDpT10_ENKUlT_T0_E_clISt17integral_constantIbLb0EES1O_IbLb1EEEEDaS1K_S1L_EUlS1K_E_NS1_11comp_targetILNS1_3genE5ELNS1_11target_archE942ELNS1_3gpuE9ELNS1_3repE0EEENS1_30default_config_static_selectorELNS0_4arch9wavefront6targetE1EEEvSY_.uses_flat_scratch, 0
	.set _ZN7rocprim17ROCPRIM_400000_NS6detail17trampoline_kernelINS0_13select_configILj256ELj13ELNS0_17block_load_methodE3ELS4_3ELS4_3ELNS0_20block_scan_algorithmE0ELj4294967295EEENS1_25partition_config_selectorILNS1_17partition_subalgoE3EjNS0_10empty_typeEbEEZZNS1_14partition_implILS8_3ELb0ES6_jNS0_17counting_iteratorIjlEEPS9_SE_NS0_5tupleIJPjSE_EEENSF_IJSE_SE_EEES9_SG_JZNS1_25segmented_radix_sort_implINS0_14default_configELb0EPKiPiPKlPlN2at6native12_GLOBAL__N_18offset_tEEE10hipError_tPvRmT1_PNSt15iterator_traitsISY_E10value_typeET2_T3_PNSZ_IS14_E10value_typeET4_jRbjT5_S1A_jjP12ihipStream_tbEUljE_EEESV_SW_SX_S14_S18_S1A_T6_T7_T9_mT8_S1C_bDpT10_ENKUlT_T0_E_clISt17integral_constantIbLb0EES1O_IbLb1EEEEDaS1K_S1L_EUlS1K_E_NS1_11comp_targetILNS1_3genE5ELNS1_11target_archE942ELNS1_3gpuE9ELNS1_3repE0EEENS1_30default_config_static_selectorELNS0_4arch9wavefront6targetE1EEEvSY_.has_dyn_sized_stack, 0
	.set _ZN7rocprim17ROCPRIM_400000_NS6detail17trampoline_kernelINS0_13select_configILj256ELj13ELNS0_17block_load_methodE3ELS4_3ELS4_3ELNS0_20block_scan_algorithmE0ELj4294967295EEENS1_25partition_config_selectorILNS1_17partition_subalgoE3EjNS0_10empty_typeEbEEZZNS1_14partition_implILS8_3ELb0ES6_jNS0_17counting_iteratorIjlEEPS9_SE_NS0_5tupleIJPjSE_EEENSF_IJSE_SE_EEES9_SG_JZNS1_25segmented_radix_sort_implINS0_14default_configELb0EPKiPiPKlPlN2at6native12_GLOBAL__N_18offset_tEEE10hipError_tPvRmT1_PNSt15iterator_traitsISY_E10value_typeET2_T3_PNSZ_IS14_E10value_typeET4_jRbjT5_S1A_jjP12ihipStream_tbEUljE_EEESV_SW_SX_S14_S18_S1A_T6_T7_T9_mT8_S1C_bDpT10_ENKUlT_T0_E_clISt17integral_constantIbLb0EES1O_IbLb1EEEEDaS1K_S1L_EUlS1K_E_NS1_11comp_targetILNS1_3genE5ELNS1_11target_archE942ELNS1_3gpuE9ELNS1_3repE0EEENS1_30default_config_static_selectorELNS0_4arch9wavefront6targetE1EEEvSY_.has_recursion, 0
	.set _ZN7rocprim17ROCPRIM_400000_NS6detail17trampoline_kernelINS0_13select_configILj256ELj13ELNS0_17block_load_methodE3ELS4_3ELS4_3ELNS0_20block_scan_algorithmE0ELj4294967295EEENS1_25partition_config_selectorILNS1_17partition_subalgoE3EjNS0_10empty_typeEbEEZZNS1_14partition_implILS8_3ELb0ES6_jNS0_17counting_iteratorIjlEEPS9_SE_NS0_5tupleIJPjSE_EEENSF_IJSE_SE_EEES9_SG_JZNS1_25segmented_radix_sort_implINS0_14default_configELb0EPKiPiPKlPlN2at6native12_GLOBAL__N_18offset_tEEE10hipError_tPvRmT1_PNSt15iterator_traitsISY_E10value_typeET2_T3_PNSZ_IS14_E10value_typeET4_jRbjT5_S1A_jjP12ihipStream_tbEUljE_EEESV_SW_SX_S14_S18_S1A_T6_T7_T9_mT8_S1C_bDpT10_ENKUlT_T0_E_clISt17integral_constantIbLb0EES1O_IbLb1EEEEDaS1K_S1L_EUlS1K_E_NS1_11comp_targetILNS1_3genE5ELNS1_11target_archE942ELNS1_3gpuE9ELNS1_3repE0EEENS1_30default_config_static_selectorELNS0_4arch9wavefront6targetE1EEEvSY_.has_indirect_call, 0
	.section	.AMDGPU.csdata,"",@progbits
; Kernel info:
; codeLenInByte = 0
; TotalNumSgprs: 4
; NumVgprs: 0
; ScratchSize: 0
; MemoryBound: 0
; FloatMode: 240
; IeeeMode: 1
; LDSByteSize: 0 bytes/workgroup (compile time only)
; SGPRBlocks: 0
; VGPRBlocks: 0
; NumSGPRsForWavesPerEU: 4
; NumVGPRsForWavesPerEU: 1
; Occupancy: 10
; WaveLimiterHint : 0
; COMPUTE_PGM_RSRC2:SCRATCH_EN: 0
; COMPUTE_PGM_RSRC2:USER_SGPR: 6
; COMPUTE_PGM_RSRC2:TRAP_HANDLER: 0
; COMPUTE_PGM_RSRC2:TGID_X_EN: 1
; COMPUTE_PGM_RSRC2:TGID_Y_EN: 0
; COMPUTE_PGM_RSRC2:TGID_Z_EN: 0
; COMPUTE_PGM_RSRC2:TIDIG_COMP_CNT: 0
	.section	.text._ZN7rocprim17ROCPRIM_400000_NS6detail17trampoline_kernelINS0_13select_configILj256ELj13ELNS0_17block_load_methodE3ELS4_3ELS4_3ELNS0_20block_scan_algorithmE0ELj4294967295EEENS1_25partition_config_selectorILNS1_17partition_subalgoE3EjNS0_10empty_typeEbEEZZNS1_14partition_implILS8_3ELb0ES6_jNS0_17counting_iteratorIjlEEPS9_SE_NS0_5tupleIJPjSE_EEENSF_IJSE_SE_EEES9_SG_JZNS1_25segmented_radix_sort_implINS0_14default_configELb0EPKiPiPKlPlN2at6native12_GLOBAL__N_18offset_tEEE10hipError_tPvRmT1_PNSt15iterator_traitsISY_E10value_typeET2_T3_PNSZ_IS14_E10value_typeET4_jRbjT5_S1A_jjP12ihipStream_tbEUljE_EEESV_SW_SX_S14_S18_S1A_T6_T7_T9_mT8_S1C_bDpT10_ENKUlT_T0_E_clISt17integral_constantIbLb0EES1O_IbLb1EEEEDaS1K_S1L_EUlS1K_E_NS1_11comp_targetILNS1_3genE4ELNS1_11target_archE910ELNS1_3gpuE8ELNS1_3repE0EEENS1_30default_config_static_selectorELNS0_4arch9wavefront6targetE1EEEvSY_,"axG",@progbits,_ZN7rocprim17ROCPRIM_400000_NS6detail17trampoline_kernelINS0_13select_configILj256ELj13ELNS0_17block_load_methodE3ELS4_3ELS4_3ELNS0_20block_scan_algorithmE0ELj4294967295EEENS1_25partition_config_selectorILNS1_17partition_subalgoE3EjNS0_10empty_typeEbEEZZNS1_14partition_implILS8_3ELb0ES6_jNS0_17counting_iteratorIjlEEPS9_SE_NS0_5tupleIJPjSE_EEENSF_IJSE_SE_EEES9_SG_JZNS1_25segmented_radix_sort_implINS0_14default_configELb0EPKiPiPKlPlN2at6native12_GLOBAL__N_18offset_tEEE10hipError_tPvRmT1_PNSt15iterator_traitsISY_E10value_typeET2_T3_PNSZ_IS14_E10value_typeET4_jRbjT5_S1A_jjP12ihipStream_tbEUljE_EEESV_SW_SX_S14_S18_S1A_T6_T7_T9_mT8_S1C_bDpT10_ENKUlT_T0_E_clISt17integral_constantIbLb0EES1O_IbLb1EEEEDaS1K_S1L_EUlS1K_E_NS1_11comp_targetILNS1_3genE4ELNS1_11target_archE910ELNS1_3gpuE8ELNS1_3repE0EEENS1_30default_config_static_selectorELNS0_4arch9wavefront6targetE1EEEvSY_,comdat
	.globl	_ZN7rocprim17ROCPRIM_400000_NS6detail17trampoline_kernelINS0_13select_configILj256ELj13ELNS0_17block_load_methodE3ELS4_3ELS4_3ELNS0_20block_scan_algorithmE0ELj4294967295EEENS1_25partition_config_selectorILNS1_17partition_subalgoE3EjNS0_10empty_typeEbEEZZNS1_14partition_implILS8_3ELb0ES6_jNS0_17counting_iteratorIjlEEPS9_SE_NS0_5tupleIJPjSE_EEENSF_IJSE_SE_EEES9_SG_JZNS1_25segmented_radix_sort_implINS0_14default_configELb0EPKiPiPKlPlN2at6native12_GLOBAL__N_18offset_tEEE10hipError_tPvRmT1_PNSt15iterator_traitsISY_E10value_typeET2_T3_PNSZ_IS14_E10value_typeET4_jRbjT5_S1A_jjP12ihipStream_tbEUljE_EEESV_SW_SX_S14_S18_S1A_T6_T7_T9_mT8_S1C_bDpT10_ENKUlT_T0_E_clISt17integral_constantIbLb0EES1O_IbLb1EEEEDaS1K_S1L_EUlS1K_E_NS1_11comp_targetILNS1_3genE4ELNS1_11target_archE910ELNS1_3gpuE8ELNS1_3repE0EEENS1_30default_config_static_selectorELNS0_4arch9wavefront6targetE1EEEvSY_ ; -- Begin function _ZN7rocprim17ROCPRIM_400000_NS6detail17trampoline_kernelINS0_13select_configILj256ELj13ELNS0_17block_load_methodE3ELS4_3ELS4_3ELNS0_20block_scan_algorithmE0ELj4294967295EEENS1_25partition_config_selectorILNS1_17partition_subalgoE3EjNS0_10empty_typeEbEEZZNS1_14partition_implILS8_3ELb0ES6_jNS0_17counting_iteratorIjlEEPS9_SE_NS0_5tupleIJPjSE_EEENSF_IJSE_SE_EEES9_SG_JZNS1_25segmented_radix_sort_implINS0_14default_configELb0EPKiPiPKlPlN2at6native12_GLOBAL__N_18offset_tEEE10hipError_tPvRmT1_PNSt15iterator_traitsISY_E10value_typeET2_T3_PNSZ_IS14_E10value_typeET4_jRbjT5_S1A_jjP12ihipStream_tbEUljE_EEESV_SW_SX_S14_S18_S1A_T6_T7_T9_mT8_S1C_bDpT10_ENKUlT_T0_E_clISt17integral_constantIbLb0EES1O_IbLb1EEEEDaS1K_S1L_EUlS1K_E_NS1_11comp_targetILNS1_3genE4ELNS1_11target_archE910ELNS1_3gpuE8ELNS1_3repE0EEENS1_30default_config_static_selectorELNS0_4arch9wavefront6targetE1EEEvSY_
	.p2align	8
	.type	_ZN7rocprim17ROCPRIM_400000_NS6detail17trampoline_kernelINS0_13select_configILj256ELj13ELNS0_17block_load_methodE3ELS4_3ELS4_3ELNS0_20block_scan_algorithmE0ELj4294967295EEENS1_25partition_config_selectorILNS1_17partition_subalgoE3EjNS0_10empty_typeEbEEZZNS1_14partition_implILS8_3ELb0ES6_jNS0_17counting_iteratorIjlEEPS9_SE_NS0_5tupleIJPjSE_EEENSF_IJSE_SE_EEES9_SG_JZNS1_25segmented_radix_sort_implINS0_14default_configELb0EPKiPiPKlPlN2at6native12_GLOBAL__N_18offset_tEEE10hipError_tPvRmT1_PNSt15iterator_traitsISY_E10value_typeET2_T3_PNSZ_IS14_E10value_typeET4_jRbjT5_S1A_jjP12ihipStream_tbEUljE_EEESV_SW_SX_S14_S18_S1A_T6_T7_T9_mT8_S1C_bDpT10_ENKUlT_T0_E_clISt17integral_constantIbLb0EES1O_IbLb1EEEEDaS1K_S1L_EUlS1K_E_NS1_11comp_targetILNS1_3genE4ELNS1_11target_archE910ELNS1_3gpuE8ELNS1_3repE0EEENS1_30default_config_static_selectorELNS0_4arch9wavefront6targetE1EEEvSY_,@function
_ZN7rocprim17ROCPRIM_400000_NS6detail17trampoline_kernelINS0_13select_configILj256ELj13ELNS0_17block_load_methodE3ELS4_3ELS4_3ELNS0_20block_scan_algorithmE0ELj4294967295EEENS1_25partition_config_selectorILNS1_17partition_subalgoE3EjNS0_10empty_typeEbEEZZNS1_14partition_implILS8_3ELb0ES6_jNS0_17counting_iteratorIjlEEPS9_SE_NS0_5tupleIJPjSE_EEENSF_IJSE_SE_EEES9_SG_JZNS1_25segmented_radix_sort_implINS0_14default_configELb0EPKiPiPKlPlN2at6native12_GLOBAL__N_18offset_tEEE10hipError_tPvRmT1_PNSt15iterator_traitsISY_E10value_typeET2_T3_PNSZ_IS14_E10value_typeET4_jRbjT5_S1A_jjP12ihipStream_tbEUljE_EEESV_SW_SX_S14_S18_S1A_T6_T7_T9_mT8_S1C_bDpT10_ENKUlT_T0_E_clISt17integral_constantIbLb0EES1O_IbLb1EEEEDaS1K_S1L_EUlS1K_E_NS1_11comp_targetILNS1_3genE4ELNS1_11target_archE910ELNS1_3gpuE8ELNS1_3repE0EEENS1_30default_config_static_selectorELNS0_4arch9wavefront6targetE1EEEvSY_: ; @_ZN7rocprim17ROCPRIM_400000_NS6detail17trampoline_kernelINS0_13select_configILj256ELj13ELNS0_17block_load_methodE3ELS4_3ELS4_3ELNS0_20block_scan_algorithmE0ELj4294967295EEENS1_25partition_config_selectorILNS1_17partition_subalgoE3EjNS0_10empty_typeEbEEZZNS1_14partition_implILS8_3ELb0ES6_jNS0_17counting_iteratorIjlEEPS9_SE_NS0_5tupleIJPjSE_EEENSF_IJSE_SE_EEES9_SG_JZNS1_25segmented_radix_sort_implINS0_14default_configELb0EPKiPiPKlPlN2at6native12_GLOBAL__N_18offset_tEEE10hipError_tPvRmT1_PNSt15iterator_traitsISY_E10value_typeET2_T3_PNSZ_IS14_E10value_typeET4_jRbjT5_S1A_jjP12ihipStream_tbEUljE_EEESV_SW_SX_S14_S18_S1A_T6_T7_T9_mT8_S1C_bDpT10_ENKUlT_T0_E_clISt17integral_constantIbLb0EES1O_IbLb1EEEEDaS1K_S1L_EUlS1K_E_NS1_11comp_targetILNS1_3genE4ELNS1_11target_archE910ELNS1_3gpuE8ELNS1_3repE0EEENS1_30default_config_static_selectorELNS0_4arch9wavefront6targetE1EEEvSY_
; %bb.0:
	.section	.rodata,"a",@progbits
	.p2align	6, 0x0
	.amdhsa_kernel _ZN7rocprim17ROCPRIM_400000_NS6detail17trampoline_kernelINS0_13select_configILj256ELj13ELNS0_17block_load_methodE3ELS4_3ELS4_3ELNS0_20block_scan_algorithmE0ELj4294967295EEENS1_25partition_config_selectorILNS1_17partition_subalgoE3EjNS0_10empty_typeEbEEZZNS1_14partition_implILS8_3ELb0ES6_jNS0_17counting_iteratorIjlEEPS9_SE_NS0_5tupleIJPjSE_EEENSF_IJSE_SE_EEES9_SG_JZNS1_25segmented_radix_sort_implINS0_14default_configELb0EPKiPiPKlPlN2at6native12_GLOBAL__N_18offset_tEEE10hipError_tPvRmT1_PNSt15iterator_traitsISY_E10value_typeET2_T3_PNSZ_IS14_E10value_typeET4_jRbjT5_S1A_jjP12ihipStream_tbEUljE_EEESV_SW_SX_S14_S18_S1A_T6_T7_T9_mT8_S1C_bDpT10_ENKUlT_T0_E_clISt17integral_constantIbLb0EES1O_IbLb1EEEEDaS1K_S1L_EUlS1K_E_NS1_11comp_targetILNS1_3genE4ELNS1_11target_archE910ELNS1_3gpuE8ELNS1_3repE0EEENS1_30default_config_static_selectorELNS0_4arch9wavefront6targetE1EEEvSY_
		.amdhsa_group_segment_fixed_size 0
		.amdhsa_private_segment_fixed_size 0
		.amdhsa_kernarg_size 152
		.amdhsa_user_sgpr_count 6
		.amdhsa_user_sgpr_private_segment_buffer 1
		.amdhsa_user_sgpr_dispatch_ptr 0
		.amdhsa_user_sgpr_queue_ptr 0
		.amdhsa_user_sgpr_kernarg_segment_ptr 1
		.amdhsa_user_sgpr_dispatch_id 0
		.amdhsa_user_sgpr_flat_scratch_init 0
		.amdhsa_user_sgpr_private_segment_size 0
		.amdhsa_uses_dynamic_stack 0
		.amdhsa_system_sgpr_private_segment_wavefront_offset 0
		.amdhsa_system_sgpr_workgroup_id_x 1
		.amdhsa_system_sgpr_workgroup_id_y 0
		.amdhsa_system_sgpr_workgroup_id_z 0
		.amdhsa_system_sgpr_workgroup_info 0
		.amdhsa_system_vgpr_workitem_id 0
		.amdhsa_next_free_vgpr 1
		.amdhsa_next_free_sgpr 0
		.amdhsa_reserve_vcc 0
		.amdhsa_reserve_flat_scratch 0
		.amdhsa_float_round_mode_32 0
		.amdhsa_float_round_mode_16_64 0
		.amdhsa_float_denorm_mode_32 3
		.amdhsa_float_denorm_mode_16_64 3
		.amdhsa_dx10_clamp 1
		.amdhsa_ieee_mode 1
		.amdhsa_fp16_overflow 0
		.amdhsa_exception_fp_ieee_invalid_op 0
		.amdhsa_exception_fp_denorm_src 0
		.amdhsa_exception_fp_ieee_div_zero 0
		.amdhsa_exception_fp_ieee_overflow 0
		.amdhsa_exception_fp_ieee_underflow 0
		.amdhsa_exception_fp_ieee_inexact 0
		.amdhsa_exception_int_div_zero 0
	.end_amdhsa_kernel
	.section	.text._ZN7rocprim17ROCPRIM_400000_NS6detail17trampoline_kernelINS0_13select_configILj256ELj13ELNS0_17block_load_methodE3ELS4_3ELS4_3ELNS0_20block_scan_algorithmE0ELj4294967295EEENS1_25partition_config_selectorILNS1_17partition_subalgoE3EjNS0_10empty_typeEbEEZZNS1_14partition_implILS8_3ELb0ES6_jNS0_17counting_iteratorIjlEEPS9_SE_NS0_5tupleIJPjSE_EEENSF_IJSE_SE_EEES9_SG_JZNS1_25segmented_radix_sort_implINS0_14default_configELb0EPKiPiPKlPlN2at6native12_GLOBAL__N_18offset_tEEE10hipError_tPvRmT1_PNSt15iterator_traitsISY_E10value_typeET2_T3_PNSZ_IS14_E10value_typeET4_jRbjT5_S1A_jjP12ihipStream_tbEUljE_EEESV_SW_SX_S14_S18_S1A_T6_T7_T9_mT8_S1C_bDpT10_ENKUlT_T0_E_clISt17integral_constantIbLb0EES1O_IbLb1EEEEDaS1K_S1L_EUlS1K_E_NS1_11comp_targetILNS1_3genE4ELNS1_11target_archE910ELNS1_3gpuE8ELNS1_3repE0EEENS1_30default_config_static_selectorELNS0_4arch9wavefront6targetE1EEEvSY_,"axG",@progbits,_ZN7rocprim17ROCPRIM_400000_NS6detail17trampoline_kernelINS0_13select_configILj256ELj13ELNS0_17block_load_methodE3ELS4_3ELS4_3ELNS0_20block_scan_algorithmE0ELj4294967295EEENS1_25partition_config_selectorILNS1_17partition_subalgoE3EjNS0_10empty_typeEbEEZZNS1_14partition_implILS8_3ELb0ES6_jNS0_17counting_iteratorIjlEEPS9_SE_NS0_5tupleIJPjSE_EEENSF_IJSE_SE_EEES9_SG_JZNS1_25segmented_radix_sort_implINS0_14default_configELb0EPKiPiPKlPlN2at6native12_GLOBAL__N_18offset_tEEE10hipError_tPvRmT1_PNSt15iterator_traitsISY_E10value_typeET2_T3_PNSZ_IS14_E10value_typeET4_jRbjT5_S1A_jjP12ihipStream_tbEUljE_EEESV_SW_SX_S14_S18_S1A_T6_T7_T9_mT8_S1C_bDpT10_ENKUlT_T0_E_clISt17integral_constantIbLb0EES1O_IbLb1EEEEDaS1K_S1L_EUlS1K_E_NS1_11comp_targetILNS1_3genE4ELNS1_11target_archE910ELNS1_3gpuE8ELNS1_3repE0EEENS1_30default_config_static_selectorELNS0_4arch9wavefront6targetE1EEEvSY_,comdat
.Lfunc_end594:
	.size	_ZN7rocprim17ROCPRIM_400000_NS6detail17trampoline_kernelINS0_13select_configILj256ELj13ELNS0_17block_load_methodE3ELS4_3ELS4_3ELNS0_20block_scan_algorithmE0ELj4294967295EEENS1_25partition_config_selectorILNS1_17partition_subalgoE3EjNS0_10empty_typeEbEEZZNS1_14partition_implILS8_3ELb0ES6_jNS0_17counting_iteratorIjlEEPS9_SE_NS0_5tupleIJPjSE_EEENSF_IJSE_SE_EEES9_SG_JZNS1_25segmented_radix_sort_implINS0_14default_configELb0EPKiPiPKlPlN2at6native12_GLOBAL__N_18offset_tEEE10hipError_tPvRmT1_PNSt15iterator_traitsISY_E10value_typeET2_T3_PNSZ_IS14_E10value_typeET4_jRbjT5_S1A_jjP12ihipStream_tbEUljE_EEESV_SW_SX_S14_S18_S1A_T6_T7_T9_mT8_S1C_bDpT10_ENKUlT_T0_E_clISt17integral_constantIbLb0EES1O_IbLb1EEEEDaS1K_S1L_EUlS1K_E_NS1_11comp_targetILNS1_3genE4ELNS1_11target_archE910ELNS1_3gpuE8ELNS1_3repE0EEENS1_30default_config_static_selectorELNS0_4arch9wavefront6targetE1EEEvSY_, .Lfunc_end594-_ZN7rocprim17ROCPRIM_400000_NS6detail17trampoline_kernelINS0_13select_configILj256ELj13ELNS0_17block_load_methodE3ELS4_3ELS4_3ELNS0_20block_scan_algorithmE0ELj4294967295EEENS1_25partition_config_selectorILNS1_17partition_subalgoE3EjNS0_10empty_typeEbEEZZNS1_14partition_implILS8_3ELb0ES6_jNS0_17counting_iteratorIjlEEPS9_SE_NS0_5tupleIJPjSE_EEENSF_IJSE_SE_EEES9_SG_JZNS1_25segmented_radix_sort_implINS0_14default_configELb0EPKiPiPKlPlN2at6native12_GLOBAL__N_18offset_tEEE10hipError_tPvRmT1_PNSt15iterator_traitsISY_E10value_typeET2_T3_PNSZ_IS14_E10value_typeET4_jRbjT5_S1A_jjP12ihipStream_tbEUljE_EEESV_SW_SX_S14_S18_S1A_T6_T7_T9_mT8_S1C_bDpT10_ENKUlT_T0_E_clISt17integral_constantIbLb0EES1O_IbLb1EEEEDaS1K_S1L_EUlS1K_E_NS1_11comp_targetILNS1_3genE4ELNS1_11target_archE910ELNS1_3gpuE8ELNS1_3repE0EEENS1_30default_config_static_selectorELNS0_4arch9wavefront6targetE1EEEvSY_
                                        ; -- End function
	.set _ZN7rocprim17ROCPRIM_400000_NS6detail17trampoline_kernelINS0_13select_configILj256ELj13ELNS0_17block_load_methodE3ELS4_3ELS4_3ELNS0_20block_scan_algorithmE0ELj4294967295EEENS1_25partition_config_selectorILNS1_17partition_subalgoE3EjNS0_10empty_typeEbEEZZNS1_14partition_implILS8_3ELb0ES6_jNS0_17counting_iteratorIjlEEPS9_SE_NS0_5tupleIJPjSE_EEENSF_IJSE_SE_EEES9_SG_JZNS1_25segmented_radix_sort_implINS0_14default_configELb0EPKiPiPKlPlN2at6native12_GLOBAL__N_18offset_tEEE10hipError_tPvRmT1_PNSt15iterator_traitsISY_E10value_typeET2_T3_PNSZ_IS14_E10value_typeET4_jRbjT5_S1A_jjP12ihipStream_tbEUljE_EEESV_SW_SX_S14_S18_S1A_T6_T7_T9_mT8_S1C_bDpT10_ENKUlT_T0_E_clISt17integral_constantIbLb0EES1O_IbLb1EEEEDaS1K_S1L_EUlS1K_E_NS1_11comp_targetILNS1_3genE4ELNS1_11target_archE910ELNS1_3gpuE8ELNS1_3repE0EEENS1_30default_config_static_selectorELNS0_4arch9wavefront6targetE1EEEvSY_.num_vgpr, 0
	.set _ZN7rocprim17ROCPRIM_400000_NS6detail17trampoline_kernelINS0_13select_configILj256ELj13ELNS0_17block_load_methodE3ELS4_3ELS4_3ELNS0_20block_scan_algorithmE0ELj4294967295EEENS1_25partition_config_selectorILNS1_17partition_subalgoE3EjNS0_10empty_typeEbEEZZNS1_14partition_implILS8_3ELb0ES6_jNS0_17counting_iteratorIjlEEPS9_SE_NS0_5tupleIJPjSE_EEENSF_IJSE_SE_EEES9_SG_JZNS1_25segmented_radix_sort_implINS0_14default_configELb0EPKiPiPKlPlN2at6native12_GLOBAL__N_18offset_tEEE10hipError_tPvRmT1_PNSt15iterator_traitsISY_E10value_typeET2_T3_PNSZ_IS14_E10value_typeET4_jRbjT5_S1A_jjP12ihipStream_tbEUljE_EEESV_SW_SX_S14_S18_S1A_T6_T7_T9_mT8_S1C_bDpT10_ENKUlT_T0_E_clISt17integral_constantIbLb0EES1O_IbLb1EEEEDaS1K_S1L_EUlS1K_E_NS1_11comp_targetILNS1_3genE4ELNS1_11target_archE910ELNS1_3gpuE8ELNS1_3repE0EEENS1_30default_config_static_selectorELNS0_4arch9wavefront6targetE1EEEvSY_.num_agpr, 0
	.set _ZN7rocprim17ROCPRIM_400000_NS6detail17trampoline_kernelINS0_13select_configILj256ELj13ELNS0_17block_load_methodE3ELS4_3ELS4_3ELNS0_20block_scan_algorithmE0ELj4294967295EEENS1_25partition_config_selectorILNS1_17partition_subalgoE3EjNS0_10empty_typeEbEEZZNS1_14partition_implILS8_3ELb0ES6_jNS0_17counting_iteratorIjlEEPS9_SE_NS0_5tupleIJPjSE_EEENSF_IJSE_SE_EEES9_SG_JZNS1_25segmented_radix_sort_implINS0_14default_configELb0EPKiPiPKlPlN2at6native12_GLOBAL__N_18offset_tEEE10hipError_tPvRmT1_PNSt15iterator_traitsISY_E10value_typeET2_T3_PNSZ_IS14_E10value_typeET4_jRbjT5_S1A_jjP12ihipStream_tbEUljE_EEESV_SW_SX_S14_S18_S1A_T6_T7_T9_mT8_S1C_bDpT10_ENKUlT_T0_E_clISt17integral_constantIbLb0EES1O_IbLb1EEEEDaS1K_S1L_EUlS1K_E_NS1_11comp_targetILNS1_3genE4ELNS1_11target_archE910ELNS1_3gpuE8ELNS1_3repE0EEENS1_30default_config_static_selectorELNS0_4arch9wavefront6targetE1EEEvSY_.numbered_sgpr, 0
	.set _ZN7rocprim17ROCPRIM_400000_NS6detail17trampoline_kernelINS0_13select_configILj256ELj13ELNS0_17block_load_methodE3ELS4_3ELS4_3ELNS0_20block_scan_algorithmE0ELj4294967295EEENS1_25partition_config_selectorILNS1_17partition_subalgoE3EjNS0_10empty_typeEbEEZZNS1_14partition_implILS8_3ELb0ES6_jNS0_17counting_iteratorIjlEEPS9_SE_NS0_5tupleIJPjSE_EEENSF_IJSE_SE_EEES9_SG_JZNS1_25segmented_radix_sort_implINS0_14default_configELb0EPKiPiPKlPlN2at6native12_GLOBAL__N_18offset_tEEE10hipError_tPvRmT1_PNSt15iterator_traitsISY_E10value_typeET2_T3_PNSZ_IS14_E10value_typeET4_jRbjT5_S1A_jjP12ihipStream_tbEUljE_EEESV_SW_SX_S14_S18_S1A_T6_T7_T9_mT8_S1C_bDpT10_ENKUlT_T0_E_clISt17integral_constantIbLb0EES1O_IbLb1EEEEDaS1K_S1L_EUlS1K_E_NS1_11comp_targetILNS1_3genE4ELNS1_11target_archE910ELNS1_3gpuE8ELNS1_3repE0EEENS1_30default_config_static_selectorELNS0_4arch9wavefront6targetE1EEEvSY_.num_named_barrier, 0
	.set _ZN7rocprim17ROCPRIM_400000_NS6detail17trampoline_kernelINS0_13select_configILj256ELj13ELNS0_17block_load_methodE3ELS4_3ELS4_3ELNS0_20block_scan_algorithmE0ELj4294967295EEENS1_25partition_config_selectorILNS1_17partition_subalgoE3EjNS0_10empty_typeEbEEZZNS1_14partition_implILS8_3ELb0ES6_jNS0_17counting_iteratorIjlEEPS9_SE_NS0_5tupleIJPjSE_EEENSF_IJSE_SE_EEES9_SG_JZNS1_25segmented_radix_sort_implINS0_14default_configELb0EPKiPiPKlPlN2at6native12_GLOBAL__N_18offset_tEEE10hipError_tPvRmT1_PNSt15iterator_traitsISY_E10value_typeET2_T3_PNSZ_IS14_E10value_typeET4_jRbjT5_S1A_jjP12ihipStream_tbEUljE_EEESV_SW_SX_S14_S18_S1A_T6_T7_T9_mT8_S1C_bDpT10_ENKUlT_T0_E_clISt17integral_constantIbLb0EES1O_IbLb1EEEEDaS1K_S1L_EUlS1K_E_NS1_11comp_targetILNS1_3genE4ELNS1_11target_archE910ELNS1_3gpuE8ELNS1_3repE0EEENS1_30default_config_static_selectorELNS0_4arch9wavefront6targetE1EEEvSY_.private_seg_size, 0
	.set _ZN7rocprim17ROCPRIM_400000_NS6detail17trampoline_kernelINS0_13select_configILj256ELj13ELNS0_17block_load_methodE3ELS4_3ELS4_3ELNS0_20block_scan_algorithmE0ELj4294967295EEENS1_25partition_config_selectorILNS1_17partition_subalgoE3EjNS0_10empty_typeEbEEZZNS1_14partition_implILS8_3ELb0ES6_jNS0_17counting_iteratorIjlEEPS9_SE_NS0_5tupleIJPjSE_EEENSF_IJSE_SE_EEES9_SG_JZNS1_25segmented_radix_sort_implINS0_14default_configELb0EPKiPiPKlPlN2at6native12_GLOBAL__N_18offset_tEEE10hipError_tPvRmT1_PNSt15iterator_traitsISY_E10value_typeET2_T3_PNSZ_IS14_E10value_typeET4_jRbjT5_S1A_jjP12ihipStream_tbEUljE_EEESV_SW_SX_S14_S18_S1A_T6_T7_T9_mT8_S1C_bDpT10_ENKUlT_T0_E_clISt17integral_constantIbLb0EES1O_IbLb1EEEEDaS1K_S1L_EUlS1K_E_NS1_11comp_targetILNS1_3genE4ELNS1_11target_archE910ELNS1_3gpuE8ELNS1_3repE0EEENS1_30default_config_static_selectorELNS0_4arch9wavefront6targetE1EEEvSY_.uses_vcc, 0
	.set _ZN7rocprim17ROCPRIM_400000_NS6detail17trampoline_kernelINS0_13select_configILj256ELj13ELNS0_17block_load_methodE3ELS4_3ELS4_3ELNS0_20block_scan_algorithmE0ELj4294967295EEENS1_25partition_config_selectorILNS1_17partition_subalgoE3EjNS0_10empty_typeEbEEZZNS1_14partition_implILS8_3ELb0ES6_jNS0_17counting_iteratorIjlEEPS9_SE_NS0_5tupleIJPjSE_EEENSF_IJSE_SE_EEES9_SG_JZNS1_25segmented_radix_sort_implINS0_14default_configELb0EPKiPiPKlPlN2at6native12_GLOBAL__N_18offset_tEEE10hipError_tPvRmT1_PNSt15iterator_traitsISY_E10value_typeET2_T3_PNSZ_IS14_E10value_typeET4_jRbjT5_S1A_jjP12ihipStream_tbEUljE_EEESV_SW_SX_S14_S18_S1A_T6_T7_T9_mT8_S1C_bDpT10_ENKUlT_T0_E_clISt17integral_constantIbLb0EES1O_IbLb1EEEEDaS1K_S1L_EUlS1K_E_NS1_11comp_targetILNS1_3genE4ELNS1_11target_archE910ELNS1_3gpuE8ELNS1_3repE0EEENS1_30default_config_static_selectorELNS0_4arch9wavefront6targetE1EEEvSY_.uses_flat_scratch, 0
	.set _ZN7rocprim17ROCPRIM_400000_NS6detail17trampoline_kernelINS0_13select_configILj256ELj13ELNS0_17block_load_methodE3ELS4_3ELS4_3ELNS0_20block_scan_algorithmE0ELj4294967295EEENS1_25partition_config_selectorILNS1_17partition_subalgoE3EjNS0_10empty_typeEbEEZZNS1_14partition_implILS8_3ELb0ES6_jNS0_17counting_iteratorIjlEEPS9_SE_NS0_5tupleIJPjSE_EEENSF_IJSE_SE_EEES9_SG_JZNS1_25segmented_radix_sort_implINS0_14default_configELb0EPKiPiPKlPlN2at6native12_GLOBAL__N_18offset_tEEE10hipError_tPvRmT1_PNSt15iterator_traitsISY_E10value_typeET2_T3_PNSZ_IS14_E10value_typeET4_jRbjT5_S1A_jjP12ihipStream_tbEUljE_EEESV_SW_SX_S14_S18_S1A_T6_T7_T9_mT8_S1C_bDpT10_ENKUlT_T0_E_clISt17integral_constantIbLb0EES1O_IbLb1EEEEDaS1K_S1L_EUlS1K_E_NS1_11comp_targetILNS1_3genE4ELNS1_11target_archE910ELNS1_3gpuE8ELNS1_3repE0EEENS1_30default_config_static_selectorELNS0_4arch9wavefront6targetE1EEEvSY_.has_dyn_sized_stack, 0
	.set _ZN7rocprim17ROCPRIM_400000_NS6detail17trampoline_kernelINS0_13select_configILj256ELj13ELNS0_17block_load_methodE3ELS4_3ELS4_3ELNS0_20block_scan_algorithmE0ELj4294967295EEENS1_25partition_config_selectorILNS1_17partition_subalgoE3EjNS0_10empty_typeEbEEZZNS1_14partition_implILS8_3ELb0ES6_jNS0_17counting_iteratorIjlEEPS9_SE_NS0_5tupleIJPjSE_EEENSF_IJSE_SE_EEES9_SG_JZNS1_25segmented_radix_sort_implINS0_14default_configELb0EPKiPiPKlPlN2at6native12_GLOBAL__N_18offset_tEEE10hipError_tPvRmT1_PNSt15iterator_traitsISY_E10value_typeET2_T3_PNSZ_IS14_E10value_typeET4_jRbjT5_S1A_jjP12ihipStream_tbEUljE_EEESV_SW_SX_S14_S18_S1A_T6_T7_T9_mT8_S1C_bDpT10_ENKUlT_T0_E_clISt17integral_constantIbLb0EES1O_IbLb1EEEEDaS1K_S1L_EUlS1K_E_NS1_11comp_targetILNS1_3genE4ELNS1_11target_archE910ELNS1_3gpuE8ELNS1_3repE0EEENS1_30default_config_static_selectorELNS0_4arch9wavefront6targetE1EEEvSY_.has_recursion, 0
	.set _ZN7rocprim17ROCPRIM_400000_NS6detail17trampoline_kernelINS0_13select_configILj256ELj13ELNS0_17block_load_methodE3ELS4_3ELS4_3ELNS0_20block_scan_algorithmE0ELj4294967295EEENS1_25partition_config_selectorILNS1_17partition_subalgoE3EjNS0_10empty_typeEbEEZZNS1_14partition_implILS8_3ELb0ES6_jNS0_17counting_iteratorIjlEEPS9_SE_NS0_5tupleIJPjSE_EEENSF_IJSE_SE_EEES9_SG_JZNS1_25segmented_radix_sort_implINS0_14default_configELb0EPKiPiPKlPlN2at6native12_GLOBAL__N_18offset_tEEE10hipError_tPvRmT1_PNSt15iterator_traitsISY_E10value_typeET2_T3_PNSZ_IS14_E10value_typeET4_jRbjT5_S1A_jjP12ihipStream_tbEUljE_EEESV_SW_SX_S14_S18_S1A_T6_T7_T9_mT8_S1C_bDpT10_ENKUlT_T0_E_clISt17integral_constantIbLb0EES1O_IbLb1EEEEDaS1K_S1L_EUlS1K_E_NS1_11comp_targetILNS1_3genE4ELNS1_11target_archE910ELNS1_3gpuE8ELNS1_3repE0EEENS1_30default_config_static_selectorELNS0_4arch9wavefront6targetE1EEEvSY_.has_indirect_call, 0
	.section	.AMDGPU.csdata,"",@progbits
; Kernel info:
; codeLenInByte = 0
; TotalNumSgprs: 4
; NumVgprs: 0
; ScratchSize: 0
; MemoryBound: 0
; FloatMode: 240
; IeeeMode: 1
; LDSByteSize: 0 bytes/workgroup (compile time only)
; SGPRBlocks: 0
; VGPRBlocks: 0
; NumSGPRsForWavesPerEU: 4
; NumVGPRsForWavesPerEU: 1
; Occupancy: 10
; WaveLimiterHint : 0
; COMPUTE_PGM_RSRC2:SCRATCH_EN: 0
; COMPUTE_PGM_RSRC2:USER_SGPR: 6
; COMPUTE_PGM_RSRC2:TRAP_HANDLER: 0
; COMPUTE_PGM_RSRC2:TGID_X_EN: 1
; COMPUTE_PGM_RSRC2:TGID_Y_EN: 0
; COMPUTE_PGM_RSRC2:TGID_Z_EN: 0
; COMPUTE_PGM_RSRC2:TIDIG_COMP_CNT: 0
	.section	.text._ZN7rocprim17ROCPRIM_400000_NS6detail17trampoline_kernelINS0_13select_configILj256ELj13ELNS0_17block_load_methodE3ELS4_3ELS4_3ELNS0_20block_scan_algorithmE0ELj4294967295EEENS1_25partition_config_selectorILNS1_17partition_subalgoE3EjNS0_10empty_typeEbEEZZNS1_14partition_implILS8_3ELb0ES6_jNS0_17counting_iteratorIjlEEPS9_SE_NS0_5tupleIJPjSE_EEENSF_IJSE_SE_EEES9_SG_JZNS1_25segmented_radix_sort_implINS0_14default_configELb0EPKiPiPKlPlN2at6native12_GLOBAL__N_18offset_tEEE10hipError_tPvRmT1_PNSt15iterator_traitsISY_E10value_typeET2_T3_PNSZ_IS14_E10value_typeET4_jRbjT5_S1A_jjP12ihipStream_tbEUljE_EEESV_SW_SX_S14_S18_S1A_T6_T7_T9_mT8_S1C_bDpT10_ENKUlT_T0_E_clISt17integral_constantIbLb0EES1O_IbLb1EEEEDaS1K_S1L_EUlS1K_E_NS1_11comp_targetILNS1_3genE3ELNS1_11target_archE908ELNS1_3gpuE7ELNS1_3repE0EEENS1_30default_config_static_selectorELNS0_4arch9wavefront6targetE1EEEvSY_,"axG",@progbits,_ZN7rocprim17ROCPRIM_400000_NS6detail17trampoline_kernelINS0_13select_configILj256ELj13ELNS0_17block_load_methodE3ELS4_3ELS4_3ELNS0_20block_scan_algorithmE0ELj4294967295EEENS1_25partition_config_selectorILNS1_17partition_subalgoE3EjNS0_10empty_typeEbEEZZNS1_14partition_implILS8_3ELb0ES6_jNS0_17counting_iteratorIjlEEPS9_SE_NS0_5tupleIJPjSE_EEENSF_IJSE_SE_EEES9_SG_JZNS1_25segmented_radix_sort_implINS0_14default_configELb0EPKiPiPKlPlN2at6native12_GLOBAL__N_18offset_tEEE10hipError_tPvRmT1_PNSt15iterator_traitsISY_E10value_typeET2_T3_PNSZ_IS14_E10value_typeET4_jRbjT5_S1A_jjP12ihipStream_tbEUljE_EEESV_SW_SX_S14_S18_S1A_T6_T7_T9_mT8_S1C_bDpT10_ENKUlT_T0_E_clISt17integral_constantIbLb0EES1O_IbLb1EEEEDaS1K_S1L_EUlS1K_E_NS1_11comp_targetILNS1_3genE3ELNS1_11target_archE908ELNS1_3gpuE7ELNS1_3repE0EEENS1_30default_config_static_selectorELNS0_4arch9wavefront6targetE1EEEvSY_,comdat
	.globl	_ZN7rocprim17ROCPRIM_400000_NS6detail17trampoline_kernelINS0_13select_configILj256ELj13ELNS0_17block_load_methodE3ELS4_3ELS4_3ELNS0_20block_scan_algorithmE0ELj4294967295EEENS1_25partition_config_selectorILNS1_17partition_subalgoE3EjNS0_10empty_typeEbEEZZNS1_14partition_implILS8_3ELb0ES6_jNS0_17counting_iteratorIjlEEPS9_SE_NS0_5tupleIJPjSE_EEENSF_IJSE_SE_EEES9_SG_JZNS1_25segmented_radix_sort_implINS0_14default_configELb0EPKiPiPKlPlN2at6native12_GLOBAL__N_18offset_tEEE10hipError_tPvRmT1_PNSt15iterator_traitsISY_E10value_typeET2_T3_PNSZ_IS14_E10value_typeET4_jRbjT5_S1A_jjP12ihipStream_tbEUljE_EEESV_SW_SX_S14_S18_S1A_T6_T7_T9_mT8_S1C_bDpT10_ENKUlT_T0_E_clISt17integral_constantIbLb0EES1O_IbLb1EEEEDaS1K_S1L_EUlS1K_E_NS1_11comp_targetILNS1_3genE3ELNS1_11target_archE908ELNS1_3gpuE7ELNS1_3repE0EEENS1_30default_config_static_selectorELNS0_4arch9wavefront6targetE1EEEvSY_ ; -- Begin function _ZN7rocprim17ROCPRIM_400000_NS6detail17trampoline_kernelINS0_13select_configILj256ELj13ELNS0_17block_load_methodE3ELS4_3ELS4_3ELNS0_20block_scan_algorithmE0ELj4294967295EEENS1_25partition_config_selectorILNS1_17partition_subalgoE3EjNS0_10empty_typeEbEEZZNS1_14partition_implILS8_3ELb0ES6_jNS0_17counting_iteratorIjlEEPS9_SE_NS0_5tupleIJPjSE_EEENSF_IJSE_SE_EEES9_SG_JZNS1_25segmented_radix_sort_implINS0_14default_configELb0EPKiPiPKlPlN2at6native12_GLOBAL__N_18offset_tEEE10hipError_tPvRmT1_PNSt15iterator_traitsISY_E10value_typeET2_T3_PNSZ_IS14_E10value_typeET4_jRbjT5_S1A_jjP12ihipStream_tbEUljE_EEESV_SW_SX_S14_S18_S1A_T6_T7_T9_mT8_S1C_bDpT10_ENKUlT_T0_E_clISt17integral_constantIbLb0EES1O_IbLb1EEEEDaS1K_S1L_EUlS1K_E_NS1_11comp_targetILNS1_3genE3ELNS1_11target_archE908ELNS1_3gpuE7ELNS1_3repE0EEENS1_30default_config_static_selectorELNS0_4arch9wavefront6targetE1EEEvSY_
	.p2align	8
	.type	_ZN7rocprim17ROCPRIM_400000_NS6detail17trampoline_kernelINS0_13select_configILj256ELj13ELNS0_17block_load_methodE3ELS4_3ELS4_3ELNS0_20block_scan_algorithmE0ELj4294967295EEENS1_25partition_config_selectorILNS1_17partition_subalgoE3EjNS0_10empty_typeEbEEZZNS1_14partition_implILS8_3ELb0ES6_jNS0_17counting_iteratorIjlEEPS9_SE_NS0_5tupleIJPjSE_EEENSF_IJSE_SE_EEES9_SG_JZNS1_25segmented_radix_sort_implINS0_14default_configELb0EPKiPiPKlPlN2at6native12_GLOBAL__N_18offset_tEEE10hipError_tPvRmT1_PNSt15iterator_traitsISY_E10value_typeET2_T3_PNSZ_IS14_E10value_typeET4_jRbjT5_S1A_jjP12ihipStream_tbEUljE_EEESV_SW_SX_S14_S18_S1A_T6_T7_T9_mT8_S1C_bDpT10_ENKUlT_T0_E_clISt17integral_constantIbLb0EES1O_IbLb1EEEEDaS1K_S1L_EUlS1K_E_NS1_11comp_targetILNS1_3genE3ELNS1_11target_archE908ELNS1_3gpuE7ELNS1_3repE0EEENS1_30default_config_static_selectorELNS0_4arch9wavefront6targetE1EEEvSY_,@function
_ZN7rocprim17ROCPRIM_400000_NS6detail17trampoline_kernelINS0_13select_configILj256ELj13ELNS0_17block_load_methodE3ELS4_3ELS4_3ELNS0_20block_scan_algorithmE0ELj4294967295EEENS1_25partition_config_selectorILNS1_17partition_subalgoE3EjNS0_10empty_typeEbEEZZNS1_14partition_implILS8_3ELb0ES6_jNS0_17counting_iteratorIjlEEPS9_SE_NS0_5tupleIJPjSE_EEENSF_IJSE_SE_EEES9_SG_JZNS1_25segmented_radix_sort_implINS0_14default_configELb0EPKiPiPKlPlN2at6native12_GLOBAL__N_18offset_tEEE10hipError_tPvRmT1_PNSt15iterator_traitsISY_E10value_typeET2_T3_PNSZ_IS14_E10value_typeET4_jRbjT5_S1A_jjP12ihipStream_tbEUljE_EEESV_SW_SX_S14_S18_S1A_T6_T7_T9_mT8_S1C_bDpT10_ENKUlT_T0_E_clISt17integral_constantIbLb0EES1O_IbLb1EEEEDaS1K_S1L_EUlS1K_E_NS1_11comp_targetILNS1_3genE3ELNS1_11target_archE908ELNS1_3gpuE7ELNS1_3repE0EEENS1_30default_config_static_selectorELNS0_4arch9wavefront6targetE1EEEvSY_: ; @_ZN7rocprim17ROCPRIM_400000_NS6detail17trampoline_kernelINS0_13select_configILj256ELj13ELNS0_17block_load_methodE3ELS4_3ELS4_3ELNS0_20block_scan_algorithmE0ELj4294967295EEENS1_25partition_config_selectorILNS1_17partition_subalgoE3EjNS0_10empty_typeEbEEZZNS1_14partition_implILS8_3ELb0ES6_jNS0_17counting_iteratorIjlEEPS9_SE_NS0_5tupleIJPjSE_EEENSF_IJSE_SE_EEES9_SG_JZNS1_25segmented_radix_sort_implINS0_14default_configELb0EPKiPiPKlPlN2at6native12_GLOBAL__N_18offset_tEEE10hipError_tPvRmT1_PNSt15iterator_traitsISY_E10value_typeET2_T3_PNSZ_IS14_E10value_typeET4_jRbjT5_S1A_jjP12ihipStream_tbEUljE_EEESV_SW_SX_S14_S18_S1A_T6_T7_T9_mT8_S1C_bDpT10_ENKUlT_T0_E_clISt17integral_constantIbLb0EES1O_IbLb1EEEEDaS1K_S1L_EUlS1K_E_NS1_11comp_targetILNS1_3genE3ELNS1_11target_archE908ELNS1_3gpuE7ELNS1_3repE0EEENS1_30default_config_static_selectorELNS0_4arch9wavefront6targetE1EEEvSY_
; %bb.0:
	.section	.rodata,"a",@progbits
	.p2align	6, 0x0
	.amdhsa_kernel _ZN7rocprim17ROCPRIM_400000_NS6detail17trampoline_kernelINS0_13select_configILj256ELj13ELNS0_17block_load_methodE3ELS4_3ELS4_3ELNS0_20block_scan_algorithmE0ELj4294967295EEENS1_25partition_config_selectorILNS1_17partition_subalgoE3EjNS0_10empty_typeEbEEZZNS1_14partition_implILS8_3ELb0ES6_jNS0_17counting_iteratorIjlEEPS9_SE_NS0_5tupleIJPjSE_EEENSF_IJSE_SE_EEES9_SG_JZNS1_25segmented_radix_sort_implINS0_14default_configELb0EPKiPiPKlPlN2at6native12_GLOBAL__N_18offset_tEEE10hipError_tPvRmT1_PNSt15iterator_traitsISY_E10value_typeET2_T3_PNSZ_IS14_E10value_typeET4_jRbjT5_S1A_jjP12ihipStream_tbEUljE_EEESV_SW_SX_S14_S18_S1A_T6_T7_T9_mT8_S1C_bDpT10_ENKUlT_T0_E_clISt17integral_constantIbLb0EES1O_IbLb1EEEEDaS1K_S1L_EUlS1K_E_NS1_11comp_targetILNS1_3genE3ELNS1_11target_archE908ELNS1_3gpuE7ELNS1_3repE0EEENS1_30default_config_static_selectorELNS0_4arch9wavefront6targetE1EEEvSY_
		.amdhsa_group_segment_fixed_size 0
		.amdhsa_private_segment_fixed_size 0
		.amdhsa_kernarg_size 152
		.amdhsa_user_sgpr_count 6
		.amdhsa_user_sgpr_private_segment_buffer 1
		.amdhsa_user_sgpr_dispatch_ptr 0
		.amdhsa_user_sgpr_queue_ptr 0
		.amdhsa_user_sgpr_kernarg_segment_ptr 1
		.amdhsa_user_sgpr_dispatch_id 0
		.amdhsa_user_sgpr_flat_scratch_init 0
		.amdhsa_user_sgpr_private_segment_size 0
		.amdhsa_uses_dynamic_stack 0
		.amdhsa_system_sgpr_private_segment_wavefront_offset 0
		.amdhsa_system_sgpr_workgroup_id_x 1
		.amdhsa_system_sgpr_workgroup_id_y 0
		.amdhsa_system_sgpr_workgroup_id_z 0
		.amdhsa_system_sgpr_workgroup_info 0
		.amdhsa_system_vgpr_workitem_id 0
		.amdhsa_next_free_vgpr 1
		.amdhsa_next_free_sgpr 0
		.amdhsa_reserve_vcc 0
		.amdhsa_reserve_flat_scratch 0
		.amdhsa_float_round_mode_32 0
		.amdhsa_float_round_mode_16_64 0
		.amdhsa_float_denorm_mode_32 3
		.amdhsa_float_denorm_mode_16_64 3
		.amdhsa_dx10_clamp 1
		.amdhsa_ieee_mode 1
		.amdhsa_fp16_overflow 0
		.amdhsa_exception_fp_ieee_invalid_op 0
		.amdhsa_exception_fp_denorm_src 0
		.amdhsa_exception_fp_ieee_div_zero 0
		.amdhsa_exception_fp_ieee_overflow 0
		.amdhsa_exception_fp_ieee_underflow 0
		.amdhsa_exception_fp_ieee_inexact 0
		.amdhsa_exception_int_div_zero 0
	.end_amdhsa_kernel
	.section	.text._ZN7rocprim17ROCPRIM_400000_NS6detail17trampoline_kernelINS0_13select_configILj256ELj13ELNS0_17block_load_methodE3ELS4_3ELS4_3ELNS0_20block_scan_algorithmE0ELj4294967295EEENS1_25partition_config_selectorILNS1_17partition_subalgoE3EjNS0_10empty_typeEbEEZZNS1_14partition_implILS8_3ELb0ES6_jNS0_17counting_iteratorIjlEEPS9_SE_NS0_5tupleIJPjSE_EEENSF_IJSE_SE_EEES9_SG_JZNS1_25segmented_radix_sort_implINS0_14default_configELb0EPKiPiPKlPlN2at6native12_GLOBAL__N_18offset_tEEE10hipError_tPvRmT1_PNSt15iterator_traitsISY_E10value_typeET2_T3_PNSZ_IS14_E10value_typeET4_jRbjT5_S1A_jjP12ihipStream_tbEUljE_EEESV_SW_SX_S14_S18_S1A_T6_T7_T9_mT8_S1C_bDpT10_ENKUlT_T0_E_clISt17integral_constantIbLb0EES1O_IbLb1EEEEDaS1K_S1L_EUlS1K_E_NS1_11comp_targetILNS1_3genE3ELNS1_11target_archE908ELNS1_3gpuE7ELNS1_3repE0EEENS1_30default_config_static_selectorELNS0_4arch9wavefront6targetE1EEEvSY_,"axG",@progbits,_ZN7rocprim17ROCPRIM_400000_NS6detail17trampoline_kernelINS0_13select_configILj256ELj13ELNS0_17block_load_methodE3ELS4_3ELS4_3ELNS0_20block_scan_algorithmE0ELj4294967295EEENS1_25partition_config_selectorILNS1_17partition_subalgoE3EjNS0_10empty_typeEbEEZZNS1_14partition_implILS8_3ELb0ES6_jNS0_17counting_iteratorIjlEEPS9_SE_NS0_5tupleIJPjSE_EEENSF_IJSE_SE_EEES9_SG_JZNS1_25segmented_radix_sort_implINS0_14default_configELb0EPKiPiPKlPlN2at6native12_GLOBAL__N_18offset_tEEE10hipError_tPvRmT1_PNSt15iterator_traitsISY_E10value_typeET2_T3_PNSZ_IS14_E10value_typeET4_jRbjT5_S1A_jjP12ihipStream_tbEUljE_EEESV_SW_SX_S14_S18_S1A_T6_T7_T9_mT8_S1C_bDpT10_ENKUlT_T0_E_clISt17integral_constantIbLb0EES1O_IbLb1EEEEDaS1K_S1L_EUlS1K_E_NS1_11comp_targetILNS1_3genE3ELNS1_11target_archE908ELNS1_3gpuE7ELNS1_3repE0EEENS1_30default_config_static_selectorELNS0_4arch9wavefront6targetE1EEEvSY_,comdat
.Lfunc_end595:
	.size	_ZN7rocprim17ROCPRIM_400000_NS6detail17trampoline_kernelINS0_13select_configILj256ELj13ELNS0_17block_load_methodE3ELS4_3ELS4_3ELNS0_20block_scan_algorithmE0ELj4294967295EEENS1_25partition_config_selectorILNS1_17partition_subalgoE3EjNS0_10empty_typeEbEEZZNS1_14partition_implILS8_3ELb0ES6_jNS0_17counting_iteratorIjlEEPS9_SE_NS0_5tupleIJPjSE_EEENSF_IJSE_SE_EEES9_SG_JZNS1_25segmented_radix_sort_implINS0_14default_configELb0EPKiPiPKlPlN2at6native12_GLOBAL__N_18offset_tEEE10hipError_tPvRmT1_PNSt15iterator_traitsISY_E10value_typeET2_T3_PNSZ_IS14_E10value_typeET4_jRbjT5_S1A_jjP12ihipStream_tbEUljE_EEESV_SW_SX_S14_S18_S1A_T6_T7_T9_mT8_S1C_bDpT10_ENKUlT_T0_E_clISt17integral_constantIbLb0EES1O_IbLb1EEEEDaS1K_S1L_EUlS1K_E_NS1_11comp_targetILNS1_3genE3ELNS1_11target_archE908ELNS1_3gpuE7ELNS1_3repE0EEENS1_30default_config_static_selectorELNS0_4arch9wavefront6targetE1EEEvSY_, .Lfunc_end595-_ZN7rocprim17ROCPRIM_400000_NS6detail17trampoline_kernelINS0_13select_configILj256ELj13ELNS0_17block_load_methodE3ELS4_3ELS4_3ELNS0_20block_scan_algorithmE0ELj4294967295EEENS1_25partition_config_selectorILNS1_17partition_subalgoE3EjNS0_10empty_typeEbEEZZNS1_14partition_implILS8_3ELb0ES6_jNS0_17counting_iteratorIjlEEPS9_SE_NS0_5tupleIJPjSE_EEENSF_IJSE_SE_EEES9_SG_JZNS1_25segmented_radix_sort_implINS0_14default_configELb0EPKiPiPKlPlN2at6native12_GLOBAL__N_18offset_tEEE10hipError_tPvRmT1_PNSt15iterator_traitsISY_E10value_typeET2_T3_PNSZ_IS14_E10value_typeET4_jRbjT5_S1A_jjP12ihipStream_tbEUljE_EEESV_SW_SX_S14_S18_S1A_T6_T7_T9_mT8_S1C_bDpT10_ENKUlT_T0_E_clISt17integral_constantIbLb0EES1O_IbLb1EEEEDaS1K_S1L_EUlS1K_E_NS1_11comp_targetILNS1_3genE3ELNS1_11target_archE908ELNS1_3gpuE7ELNS1_3repE0EEENS1_30default_config_static_selectorELNS0_4arch9wavefront6targetE1EEEvSY_
                                        ; -- End function
	.set _ZN7rocprim17ROCPRIM_400000_NS6detail17trampoline_kernelINS0_13select_configILj256ELj13ELNS0_17block_load_methodE3ELS4_3ELS4_3ELNS0_20block_scan_algorithmE0ELj4294967295EEENS1_25partition_config_selectorILNS1_17partition_subalgoE3EjNS0_10empty_typeEbEEZZNS1_14partition_implILS8_3ELb0ES6_jNS0_17counting_iteratorIjlEEPS9_SE_NS0_5tupleIJPjSE_EEENSF_IJSE_SE_EEES9_SG_JZNS1_25segmented_radix_sort_implINS0_14default_configELb0EPKiPiPKlPlN2at6native12_GLOBAL__N_18offset_tEEE10hipError_tPvRmT1_PNSt15iterator_traitsISY_E10value_typeET2_T3_PNSZ_IS14_E10value_typeET4_jRbjT5_S1A_jjP12ihipStream_tbEUljE_EEESV_SW_SX_S14_S18_S1A_T6_T7_T9_mT8_S1C_bDpT10_ENKUlT_T0_E_clISt17integral_constantIbLb0EES1O_IbLb1EEEEDaS1K_S1L_EUlS1K_E_NS1_11comp_targetILNS1_3genE3ELNS1_11target_archE908ELNS1_3gpuE7ELNS1_3repE0EEENS1_30default_config_static_selectorELNS0_4arch9wavefront6targetE1EEEvSY_.num_vgpr, 0
	.set _ZN7rocprim17ROCPRIM_400000_NS6detail17trampoline_kernelINS0_13select_configILj256ELj13ELNS0_17block_load_methodE3ELS4_3ELS4_3ELNS0_20block_scan_algorithmE0ELj4294967295EEENS1_25partition_config_selectorILNS1_17partition_subalgoE3EjNS0_10empty_typeEbEEZZNS1_14partition_implILS8_3ELb0ES6_jNS0_17counting_iteratorIjlEEPS9_SE_NS0_5tupleIJPjSE_EEENSF_IJSE_SE_EEES9_SG_JZNS1_25segmented_radix_sort_implINS0_14default_configELb0EPKiPiPKlPlN2at6native12_GLOBAL__N_18offset_tEEE10hipError_tPvRmT1_PNSt15iterator_traitsISY_E10value_typeET2_T3_PNSZ_IS14_E10value_typeET4_jRbjT5_S1A_jjP12ihipStream_tbEUljE_EEESV_SW_SX_S14_S18_S1A_T6_T7_T9_mT8_S1C_bDpT10_ENKUlT_T0_E_clISt17integral_constantIbLb0EES1O_IbLb1EEEEDaS1K_S1L_EUlS1K_E_NS1_11comp_targetILNS1_3genE3ELNS1_11target_archE908ELNS1_3gpuE7ELNS1_3repE0EEENS1_30default_config_static_selectorELNS0_4arch9wavefront6targetE1EEEvSY_.num_agpr, 0
	.set _ZN7rocprim17ROCPRIM_400000_NS6detail17trampoline_kernelINS0_13select_configILj256ELj13ELNS0_17block_load_methodE3ELS4_3ELS4_3ELNS0_20block_scan_algorithmE0ELj4294967295EEENS1_25partition_config_selectorILNS1_17partition_subalgoE3EjNS0_10empty_typeEbEEZZNS1_14partition_implILS8_3ELb0ES6_jNS0_17counting_iteratorIjlEEPS9_SE_NS0_5tupleIJPjSE_EEENSF_IJSE_SE_EEES9_SG_JZNS1_25segmented_radix_sort_implINS0_14default_configELb0EPKiPiPKlPlN2at6native12_GLOBAL__N_18offset_tEEE10hipError_tPvRmT1_PNSt15iterator_traitsISY_E10value_typeET2_T3_PNSZ_IS14_E10value_typeET4_jRbjT5_S1A_jjP12ihipStream_tbEUljE_EEESV_SW_SX_S14_S18_S1A_T6_T7_T9_mT8_S1C_bDpT10_ENKUlT_T0_E_clISt17integral_constantIbLb0EES1O_IbLb1EEEEDaS1K_S1L_EUlS1K_E_NS1_11comp_targetILNS1_3genE3ELNS1_11target_archE908ELNS1_3gpuE7ELNS1_3repE0EEENS1_30default_config_static_selectorELNS0_4arch9wavefront6targetE1EEEvSY_.numbered_sgpr, 0
	.set _ZN7rocprim17ROCPRIM_400000_NS6detail17trampoline_kernelINS0_13select_configILj256ELj13ELNS0_17block_load_methodE3ELS4_3ELS4_3ELNS0_20block_scan_algorithmE0ELj4294967295EEENS1_25partition_config_selectorILNS1_17partition_subalgoE3EjNS0_10empty_typeEbEEZZNS1_14partition_implILS8_3ELb0ES6_jNS0_17counting_iteratorIjlEEPS9_SE_NS0_5tupleIJPjSE_EEENSF_IJSE_SE_EEES9_SG_JZNS1_25segmented_radix_sort_implINS0_14default_configELb0EPKiPiPKlPlN2at6native12_GLOBAL__N_18offset_tEEE10hipError_tPvRmT1_PNSt15iterator_traitsISY_E10value_typeET2_T3_PNSZ_IS14_E10value_typeET4_jRbjT5_S1A_jjP12ihipStream_tbEUljE_EEESV_SW_SX_S14_S18_S1A_T6_T7_T9_mT8_S1C_bDpT10_ENKUlT_T0_E_clISt17integral_constantIbLb0EES1O_IbLb1EEEEDaS1K_S1L_EUlS1K_E_NS1_11comp_targetILNS1_3genE3ELNS1_11target_archE908ELNS1_3gpuE7ELNS1_3repE0EEENS1_30default_config_static_selectorELNS0_4arch9wavefront6targetE1EEEvSY_.num_named_barrier, 0
	.set _ZN7rocprim17ROCPRIM_400000_NS6detail17trampoline_kernelINS0_13select_configILj256ELj13ELNS0_17block_load_methodE3ELS4_3ELS4_3ELNS0_20block_scan_algorithmE0ELj4294967295EEENS1_25partition_config_selectorILNS1_17partition_subalgoE3EjNS0_10empty_typeEbEEZZNS1_14partition_implILS8_3ELb0ES6_jNS0_17counting_iteratorIjlEEPS9_SE_NS0_5tupleIJPjSE_EEENSF_IJSE_SE_EEES9_SG_JZNS1_25segmented_radix_sort_implINS0_14default_configELb0EPKiPiPKlPlN2at6native12_GLOBAL__N_18offset_tEEE10hipError_tPvRmT1_PNSt15iterator_traitsISY_E10value_typeET2_T3_PNSZ_IS14_E10value_typeET4_jRbjT5_S1A_jjP12ihipStream_tbEUljE_EEESV_SW_SX_S14_S18_S1A_T6_T7_T9_mT8_S1C_bDpT10_ENKUlT_T0_E_clISt17integral_constantIbLb0EES1O_IbLb1EEEEDaS1K_S1L_EUlS1K_E_NS1_11comp_targetILNS1_3genE3ELNS1_11target_archE908ELNS1_3gpuE7ELNS1_3repE0EEENS1_30default_config_static_selectorELNS0_4arch9wavefront6targetE1EEEvSY_.private_seg_size, 0
	.set _ZN7rocprim17ROCPRIM_400000_NS6detail17trampoline_kernelINS0_13select_configILj256ELj13ELNS0_17block_load_methodE3ELS4_3ELS4_3ELNS0_20block_scan_algorithmE0ELj4294967295EEENS1_25partition_config_selectorILNS1_17partition_subalgoE3EjNS0_10empty_typeEbEEZZNS1_14partition_implILS8_3ELb0ES6_jNS0_17counting_iteratorIjlEEPS9_SE_NS0_5tupleIJPjSE_EEENSF_IJSE_SE_EEES9_SG_JZNS1_25segmented_radix_sort_implINS0_14default_configELb0EPKiPiPKlPlN2at6native12_GLOBAL__N_18offset_tEEE10hipError_tPvRmT1_PNSt15iterator_traitsISY_E10value_typeET2_T3_PNSZ_IS14_E10value_typeET4_jRbjT5_S1A_jjP12ihipStream_tbEUljE_EEESV_SW_SX_S14_S18_S1A_T6_T7_T9_mT8_S1C_bDpT10_ENKUlT_T0_E_clISt17integral_constantIbLb0EES1O_IbLb1EEEEDaS1K_S1L_EUlS1K_E_NS1_11comp_targetILNS1_3genE3ELNS1_11target_archE908ELNS1_3gpuE7ELNS1_3repE0EEENS1_30default_config_static_selectorELNS0_4arch9wavefront6targetE1EEEvSY_.uses_vcc, 0
	.set _ZN7rocprim17ROCPRIM_400000_NS6detail17trampoline_kernelINS0_13select_configILj256ELj13ELNS0_17block_load_methodE3ELS4_3ELS4_3ELNS0_20block_scan_algorithmE0ELj4294967295EEENS1_25partition_config_selectorILNS1_17partition_subalgoE3EjNS0_10empty_typeEbEEZZNS1_14partition_implILS8_3ELb0ES6_jNS0_17counting_iteratorIjlEEPS9_SE_NS0_5tupleIJPjSE_EEENSF_IJSE_SE_EEES9_SG_JZNS1_25segmented_radix_sort_implINS0_14default_configELb0EPKiPiPKlPlN2at6native12_GLOBAL__N_18offset_tEEE10hipError_tPvRmT1_PNSt15iterator_traitsISY_E10value_typeET2_T3_PNSZ_IS14_E10value_typeET4_jRbjT5_S1A_jjP12ihipStream_tbEUljE_EEESV_SW_SX_S14_S18_S1A_T6_T7_T9_mT8_S1C_bDpT10_ENKUlT_T0_E_clISt17integral_constantIbLb0EES1O_IbLb1EEEEDaS1K_S1L_EUlS1K_E_NS1_11comp_targetILNS1_3genE3ELNS1_11target_archE908ELNS1_3gpuE7ELNS1_3repE0EEENS1_30default_config_static_selectorELNS0_4arch9wavefront6targetE1EEEvSY_.uses_flat_scratch, 0
	.set _ZN7rocprim17ROCPRIM_400000_NS6detail17trampoline_kernelINS0_13select_configILj256ELj13ELNS0_17block_load_methodE3ELS4_3ELS4_3ELNS0_20block_scan_algorithmE0ELj4294967295EEENS1_25partition_config_selectorILNS1_17partition_subalgoE3EjNS0_10empty_typeEbEEZZNS1_14partition_implILS8_3ELb0ES6_jNS0_17counting_iteratorIjlEEPS9_SE_NS0_5tupleIJPjSE_EEENSF_IJSE_SE_EEES9_SG_JZNS1_25segmented_radix_sort_implINS0_14default_configELb0EPKiPiPKlPlN2at6native12_GLOBAL__N_18offset_tEEE10hipError_tPvRmT1_PNSt15iterator_traitsISY_E10value_typeET2_T3_PNSZ_IS14_E10value_typeET4_jRbjT5_S1A_jjP12ihipStream_tbEUljE_EEESV_SW_SX_S14_S18_S1A_T6_T7_T9_mT8_S1C_bDpT10_ENKUlT_T0_E_clISt17integral_constantIbLb0EES1O_IbLb1EEEEDaS1K_S1L_EUlS1K_E_NS1_11comp_targetILNS1_3genE3ELNS1_11target_archE908ELNS1_3gpuE7ELNS1_3repE0EEENS1_30default_config_static_selectorELNS0_4arch9wavefront6targetE1EEEvSY_.has_dyn_sized_stack, 0
	.set _ZN7rocprim17ROCPRIM_400000_NS6detail17trampoline_kernelINS0_13select_configILj256ELj13ELNS0_17block_load_methodE3ELS4_3ELS4_3ELNS0_20block_scan_algorithmE0ELj4294967295EEENS1_25partition_config_selectorILNS1_17partition_subalgoE3EjNS0_10empty_typeEbEEZZNS1_14partition_implILS8_3ELb0ES6_jNS0_17counting_iteratorIjlEEPS9_SE_NS0_5tupleIJPjSE_EEENSF_IJSE_SE_EEES9_SG_JZNS1_25segmented_radix_sort_implINS0_14default_configELb0EPKiPiPKlPlN2at6native12_GLOBAL__N_18offset_tEEE10hipError_tPvRmT1_PNSt15iterator_traitsISY_E10value_typeET2_T3_PNSZ_IS14_E10value_typeET4_jRbjT5_S1A_jjP12ihipStream_tbEUljE_EEESV_SW_SX_S14_S18_S1A_T6_T7_T9_mT8_S1C_bDpT10_ENKUlT_T0_E_clISt17integral_constantIbLb0EES1O_IbLb1EEEEDaS1K_S1L_EUlS1K_E_NS1_11comp_targetILNS1_3genE3ELNS1_11target_archE908ELNS1_3gpuE7ELNS1_3repE0EEENS1_30default_config_static_selectorELNS0_4arch9wavefront6targetE1EEEvSY_.has_recursion, 0
	.set _ZN7rocprim17ROCPRIM_400000_NS6detail17trampoline_kernelINS0_13select_configILj256ELj13ELNS0_17block_load_methodE3ELS4_3ELS4_3ELNS0_20block_scan_algorithmE0ELj4294967295EEENS1_25partition_config_selectorILNS1_17partition_subalgoE3EjNS0_10empty_typeEbEEZZNS1_14partition_implILS8_3ELb0ES6_jNS0_17counting_iteratorIjlEEPS9_SE_NS0_5tupleIJPjSE_EEENSF_IJSE_SE_EEES9_SG_JZNS1_25segmented_radix_sort_implINS0_14default_configELb0EPKiPiPKlPlN2at6native12_GLOBAL__N_18offset_tEEE10hipError_tPvRmT1_PNSt15iterator_traitsISY_E10value_typeET2_T3_PNSZ_IS14_E10value_typeET4_jRbjT5_S1A_jjP12ihipStream_tbEUljE_EEESV_SW_SX_S14_S18_S1A_T6_T7_T9_mT8_S1C_bDpT10_ENKUlT_T0_E_clISt17integral_constantIbLb0EES1O_IbLb1EEEEDaS1K_S1L_EUlS1K_E_NS1_11comp_targetILNS1_3genE3ELNS1_11target_archE908ELNS1_3gpuE7ELNS1_3repE0EEENS1_30default_config_static_selectorELNS0_4arch9wavefront6targetE1EEEvSY_.has_indirect_call, 0
	.section	.AMDGPU.csdata,"",@progbits
; Kernel info:
; codeLenInByte = 0
; TotalNumSgprs: 4
; NumVgprs: 0
; ScratchSize: 0
; MemoryBound: 0
; FloatMode: 240
; IeeeMode: 1
; LDSByteSize: 0 bytes/workgroup (compile time only)
; SGPRBlocks: 0
; VGPRBlocks: 0
; NumSGPRsForWavesPerEU: 4
; NumVGPRsForWavesPerEU: 1
; Occupancy: 10
; WaveLimiterHint : 0
; COMPUTE_PGM_RSRC2:SCRATCH_EN: 0
; COMPUTE_PGM_RSRC2:USER_SGPR: 6
; COMPUTE_PGM_RSRC2:TRAP_HANDLER: 0
; COMPUTE_PGM_RSRC2:TGID_X_EN: 1
; COMPUTE_PGM_RSRC2:TGID_Y_EN: 0
; COMPUTE_PGM_RSRC2:TGID_Z_EN: 0
; COMPUTE_PGM_RSRC2:TIDIG_COMP_CNT: 0
	.section	.text._ZN7rocprim17ROCPRIM_400000_NS6detail17trampoline_kernelINS0_13select_configILj256ELj13ELNS0_17block_load_methodE3ELS4_3ELS4_3ELNS0_20block_scan_algorithmE0ELj4294967295EEENS1_25partition_config_selectorILNS1_17partition_subalgoE3EjNS0_10empty_typeEbEEZZNS1_14partition_implILS8_3ELb0ES6_jNS0_17counting_iteratorIjlEEPS9_SE_NS0_5tupleIJPjSE_EEENSF_IJSE_SE_EEES9_SG_JZNS1_25segmented_radix_sort_implINS0_14default_configELb0EPKiPiPKlPlN2at6native12_GLOBAL__N_18offset_tEEE10hipError_tPvRmT1_PNSt15iterator_traitsISY_E10value_typeET2_T3_PNSZ_IS14_E10value_typeET4_jRbjT5_S1A_jjP12ihipStream_tbEUljE_EEESV_SW_SX_S14_S18_S1A_T6_T7_T9_mT8_S1C_bDpT10_ENKUlT_T0_E_clISt17integral_constantIbLb0EES1O_IbLb1EEEEDaS1K_S1L_EUlS1K_E_NS1_11comp_targetILNS1_3genE2ELNS1_11target_archE906ELNS1_3gpuE6ELNS1_3repE0EEENS1_30default_config_static_selectorELNS0_4arch9wavefront6targetE1EEEvSY_,"axG",@progbits,_ZN7rocprim17ROCPRIM_400000_NS6detail17trampoline_kernelINS0_13select_configILj256ELj13ELNS0_17block_load_methodE3ELS4_3ELS4_3ELNS0_20block_scan_algorithmE0ELj4294967295EEENS1_25partition_config_selectorILNS1_17partition_subalgoE3EjNS0_10empty_typeEbEEZZNS1_14partition_implILS8_3ELb0ES6_jNS0_17counting_iteratorIjlEEPS9_SE_NS0_5tupleIJPjSE_EEENSF_IJSE_SE_EEES9_SG_JZNS1_25segmented_radix_sort_implINS0_14default_configELb0EPKiPiPKlPlN2at6native12_GLOBAL__N_18offset_tEEE10hipError_tPvRmT1_PNSt15iterator_traitsISY_E10value_typeET2_T3_PNSZ_IS14_E10value_typeET4_jRbjT5_S1A_jjP12ihipStream_tbEUljE_EEESV_SW_SX_S14_S18_S1A_T6_T7_T9_mT8_S1C_bDpT10_ENKUlT_T0_E_clISt17integral_constantIbLb0EES1O_IbLb1EEEEDaS1K_S1L_EUlS1K_E_NS1_11comp_targetILNS1_3genE2ELNS1_11target_archE906ELNS1_3gpuE6ELNS1_3repE0EEENS1_30default_config_static_selectorELNS0_4arch9wavefront6targetE1EEEvSY_,comdat
	.globl	_ZN7rocprim17ROCPRIM_400000_NS6detail17trampoline_kernelINS0_13select_configILj256ELj13ELNS0_17block_load_methodE3ELS4_3ELS4_3ELNS0_20block_scan_algorithmE0ELj4294967295EEENS1_25partition_config_selectorILNS1_17partition_subalgoE3EjNS0_10empty_typeEbEEZZNS1_14partition_implILS8_3ELb0ES6_jNS0_17counting_iteratorIjlEEPS9_SE_NS0_5tupleIJPjSE_EEENSF_IJSE_SE_EEES9_SG_JZNS1_25segmented_radix_sort_implINS0_14default_configELb0EPKiPiPKlPlN2at6native12_GLOBAL__N_18offset_tEEE10hipError_tPvRmT1_PNSt15iterator_traitsISY_E10value_typeET2_T3_PNSZ_IS14_E10value_typeET4_jRbjT5_S1A_jjP12ihipStream_tbEUljE_EEESV_SW_SX_S14_S18_S1A_T6_T7_T9_mT8_S1C_bDpT10_ENKUlT_T0_E_clISt17integral_constantIbLb0EES1O_IbLb1EEEEDaS1K_S1L_EUlS1K_E_NS1_11comp_targetILNS1_3genE2ELNS1_11target_archE906ELNS1_3gpuE6ELNS1_3repE0EEENS1_30default_config_static_selectorELNS0_4arch9wavefront6targetE1EEEvSY_ ; -- Begin function _ZN7rocprim17ROCPRIM_400000_NS6detail17trampoline_kernelINS0_13select_configILj256ELj13ELNS0_17block_load_methodE3ELS4_3ELS4_3ELNS0_20block_scan_algorithmE0ELj4294967295EEENS1_25partition_config_selectorILNS1_17partition_subalgoE3EjNS0_10empty_typeEbEEZZNS1_14partition_implILS8_3ELb0ES6_jNS0_17counting_iteratorIjlEEPS9_SE_NS0_5tupleIJPjSE_EEENSF_IJSE_SE_EEES9_SG_JZNS1_25segmented_radix_sort_implINS0_14default_configELb0EPKiPiPKlPlN2at6native12_GLOBAL__N_18offset_tEEE10hipError_tPvRmT1_PNSt15iterator_traitsISY_E10value_typeET2_T3_PNSZ_IS14_E10value_typeET4_jRbjT5_S1A_jjP12ihipStream_tbEUljE_EEESV_SW_SX_S14_S18_S1A_T6_T7_T9_mT8_S1C_bDpT10_ENKUlT_T0_E_clISt17integral_constantIbLb0EES1O_IbLb1EEEEDaS1K_S1L_EUlS1K_E_NS1_11comp_targetILNS1_3genE2ELNS1_11target_archE906ELNS1_3gpuE6ELNS1_3repE0EEENS1_30default_config_static_selectorELNS0_4arch9wavefront6targetE1EEEvSY_
	.p2align	8
	.type	_ZN7rocprim17ROCPRIM_400000_NS6detail17trampoline_kernelINS0_13select_configILj256ELj13ELNS0_17block_load_methodE3ELS4_3ELS4_3ELNS0_20block_scan_algorithmE0ELj4294967295EEENS1_25partition_config_selectorILNS1_17partition_subalgoE3EjNS0_10empty_typeEbEEZZNS1_14partition_implILS8_3ELb0ES6_jNS0_17counting_iteratorIjlEEPS9_SE_NS0_5tupleIJPjSE_EEENSF_IJSE_SE_EEES9_SG_JZNS1_25segmented_radix_sort_implINS0_14default_configELb0EPKiPiPKlPlN2at6native12_GLOBAL__N_18offset_tEEE10hipError_tPvRmT1_PNSt15iterator_traitsISY_E10value_typeET2_T3_PNSZ_IS14_E10value_typeET4_jRbjT5_S1A_jjP12ihipStream_tbEUljE_EEESV_SW_SX_S14_S18_S1A_T6_T7_T9_mT8_S1C_bDpT10_ENKUlT_T0_E_clISt17integral_constantIbLb0EES1O_IbLb1EEEEDaS1K_S1L_EUlS1K_E_NS1_11comp_targetILNS1_3genE2ELNS1_11target_archE906ELNS1_3gpuE6ELNS1_3repE0EEENS1_30default_config_static_selectorELNS0_4arch9wavefront6targetE1EEEvSY_,@function
_ZN7rocprim17ROCPRIM_400000_NS6detail17trampoline_kernelINS0_13select_configILj256ELj13ELNS0_17block_load_methodE3ELS4_3ELS4_3ELNS0_20block_scan_algorithmE0ELj4294967295EEENS1_25partition_config_selectorILNS1_17partition_subalgoE3EjNS0_10empty_typeEbEEZZNS1_14partition_implILS8_3ELb0ES6_jNS0_17counting_iteratorIjlEEPS9_SE_NS0_5tupleIJPjSE_EEENSF_IJSE_SE_EEES9_SG_JZNS1_25segmented_radix_sort_implINS0_14default_configELb0EPKiPiPKlPlN2at6native12_GLOBAL__N_18offset_tEEE10hipError_tPvRmT1_PNSt15iterator_traitsISY_E10value_typeET2_T3_PNSZ_IS14_E10value_typeET4_jRbjT5_S1A_jjP12ihipStream_tbEUljE_EEESV_SW_SX_S14_S18_S1A_T6_T7_T9_mT8_S1C_bDpT10_ENKUlT_T0_E_clISt17integral_constantIbLb0EES1O_IbLb1EEEEDaS1K_S1L_EUlS1K_E_NS1_11comp_targetILNS1_3genE2ELNS1_11target_archE906ELNS1_3gpuE6ELNS1_3repE0EEENS1_30default_config_static_selectorELNS0_4arch9wavefront6targetE1EEEvSY_: ; @_ZN7rocprim17ROCPRIM_400000_NS6detail17trampoline_kernelINS0_13select_configILj256ELj13ELNS0_17block_load_methodE3ELS4_3ELS4_3ELNS0_20block_scan_algorithmE0ELj4294967295EEENS1_25partition_config_selectorILNS1_17partition_subalgoE3EjNS0_10empty_typeEbEEZZNS1_14partition_implILS8_3ELb0ES6_jNS0_17counting_iteratorIjlEEPS9_SE_NS0_5tupleIJPjSE_EEENSF_IJSE_SE_EEES9_SG_JZNS1_25segmented_radix_sort_implINS0_14default_configELb0EPKiPiPKlPlN2at6native12_GLOBAL__N_18offset_tEEE10hipError_tPvRmT1_PNSt15iterator_traitsISY_E10value_typeET2_T3_PNSZ_IS14_E10value_typeET4_jRbjT5_S1A_jjP12ihipStream_tbEUljE_EEESV_SW_SX_S14_S18_S1A_T6_T7_T9_mT8_S1C_bDpT10_ENKUlT_T0_E_clISt17integral_constantIbLb0EES1O_IbLb1EEEEDaS1K_S1L_EUlS1K_E_NS1_11comp_targetILNS1_3genE2ELNS1_11target_archE906ELNS1_3gpuE6ELNS1_3repE0EEENS1_30default_config_static_selectorELNS0_4arch9wavefront6targetE1EEEvSY_
; %bb.0:
	s_load_dwordx2 s[28:29], s[4:5], 0x10
	s_load_dwordx2 s[22:23], s[4:5], 0x28
	;; [unrolled: 1-line block ×3, first 2 shown]
	s_load_dwordx4 s[24:27], s[4:5], 0x48
	s_load_dword s14, s[4:5], 0x90
	s_load_dwordx2 s[34:35], s[4:5], 0x68
	s_load_dwordx4 s[8:11], s[4:5], 0x80
	v_cmp_eq_u32_e64 s[0:1], 0, v0
	s_and_saveexec_b64 s[2:3], s[0:1]
	s_cbranch_execz .LBB596_4
; %bb.1:
	s_mov_b64 s[12:13], exec
	v_mbcnt_lo_u32_b32 v1, s12, 0
	v_mbcnt_hi_u32_b32 v1, s13, v1
	v_cmp_eq_u32_e32 vcc, 0, v1
                                        ; implicit-def: $vgpr2
	s_and_saveexec_b64 s[6:7], vcc
	s_cbranch_execz .LBB596_3
; %bb.2:
	s_load_dwordx2 s[16:17], s[4:5], 0x78
	s_bcnt1_i32_b64 s12, s[12:13]
	v_mov_b32_e32 v2, 0
	v_mov_b32_e32 v3, s12
	s_waitcnt lgkmcnt(0)
	global_atomic_add v2, v2, v3, s[16:17] glc
.LBB596_3:
	s_or_b64 exec, exec, s[6:7]
	s_waitcnt vmcnt(0)
	v_readfirstlane_b32 s6, v2
	v_add_u32_e32 v1, s6, v1
	v_mov_b32_e32 v2, 0
	ds_write_b32 v2, v1
.LBB596_4:
	s_or_b64 exec, exec, s[2:3]
	v_mov_b32_e32 v1, 0
	s_load_dword s6, s[4:5], 0x8
	s_load_dword s2, s[4:5], 0x70
	s_waitcnt lgkmcnt(0)
	s_barrier
	ds_read_b32 v5, v1
	s_waitcnt lgkmcnt(0)
	s_barrier
	global_load_dwordx2 v[3:4], v1, s[26:27]
	s_add_i32 s4, s2, -1
	s_mulk_i32 s2, 0xd00
	s_add_i32 s3, s2, s28
	s_sub_i32 s33, s30, s3
	s_add_i32 s6, s6, s28
	s_addk_i32 s33, 0xd00
	s_add_u32 s2, s28, s2
	s_addc_u32 s3, s29, 0
	v_mov_b32_e32 v1, s2
	v_mov_b32_e32 v2, s3
	v_readfirstlane_b32 s43, v5
	v_cmp_gt_u64_e32 vcc, s[30:31], v[1:2]
	s_cmp_eq_u32 s43, s4
	v_cmp_ne_u32_e64 s[2:3], s4, v5
	s_cselect_b64 s[26:27], -1, 0
	s_or_b64 s[4:5], vcc, s[2:3]
	s_mul_i32 s42, s43, 0xd00
	s_mov_b64 s[2:3], -1
	s_and_b64 vcc, exec, s[4:5]
	v_lshlrev_b32_e32 v25, 2, v0
	s_cbranch_vccz .LBB596_6
; %bb.5:
	s_add_i32 s2, s42, s6
	v_add_u32_e32 v1, s2, v0
	v_add_u32_e32 v2, 0x100, v1
	;; [unrolled: 1-line block ×13, first 2 shown]
	ds_write2st64_b32 v25, v1, v2 offset1:4
	ds_write2st64_b32 v25, v5, v6 offset0:8 offset1:12
	ds_write2st64_b32 v25, v7, v8 offset0:16 offset1:20
	ds_write2st64_b32 v25, v9, v10 offset0:24 offset1:28
	ds_write2st64_b32 v25, v11, v12 offset0:32 offset1:36
	ds_write2st64_b32 v25, v13, v14 offset0:40 offset1:44
	ds_write_b32 v25, v15 offset:12288
	s_waitcnt vmcnt(0) lgkmcnt(0)
	s_barrier
	s_mov_b64 s[2:3], 0
.LBB596_6:
	s_andn2_b64 vcc, exec, s[2:3]
	v_cmp_gt_u32_e64 s[2:3], s33, v0
	s_cbranch_vccnz .LBB596_8
; %bb.7:
	s_add_i32 s6, s42, s6
	v_or_b32_e32 v2, 0x100, v0
	v_add_u32_e32 v5, s6, v2
	v_cmp_gt_u32_e32 vcc, s33, v2
	v_cndmask_b32_e32 v2, 0, v5, vcc
	v_or_b32_e32 v5, 0x200, v0
	v_add_u32_e32 v6, s6, v5
	v_cmp_gt_u32_e32 vcc, s33, v5
	v_cndmask_b32_e32 v5, 0, v6, vcc
	;; [unrolled: 4-line block ×10, first 2 shown]
	v_or_b32_e32 v14, 0xb00, v0
	v_add_u32_e32 v15, s6, v14
	v_cmp_gt_u32_e32 vcc, s33, v14
	v_add_u32_e32 v1, s6, v0
	v_cndmask_b32_e32 v14, 0, v15, vcc
	v_or_b32_e32 v15, 0xc00, v0
	v_cndmask_b32_e64 v1, 0, v1, s[2:3]
	v_add_u32_e32 v16, s6, v15
	v_cmp_gt_u32_e32 vcc, s33, v15
	v_cndmask_b32_e32 v15, 0, v16, vcc
	ds_write2st64_b32 v25, v1, v2 offset1:4
	ds_write2st64_b32 v25, v5, v6 offset0:8 offset1:12
	ds_write2st64_b32 v25, v7, v8 offset0:16 offset1:20
	;; [unrolled: 1-line block ×5, first 2 shown]
	ds_write_b32 v25, v15 offset:12288
	s_waitcnt vmcnt(0) lgkmcnt(0)
	s_barrier
.LBB596_8:
	v_mul_u32_u24_e32 v27, 13, v0
	v_lshlrev_b32_e32 v1, 2, v27
	ds_read2_b32 v[15:16], v1 offset1:1
	ds_read2_b32 v[13:14], v1 offset0:2 offset1:3
	ds_read2_b32 v[11:12], v1 offset0:4 offset1:5
	;; [unrolled: 1-line block ×5, first 2 shown]
	ds_read_b32 v26, v1 offset:48
	v_cndmask_b32_e64 v1, 0, 1, s[4:5]
	v_cmp_ne_u32_e64 s[2:3], 1, v1
	s_andn2_b64 vcc, exec, s[4:5]
	s_waitcnt vmcnt(0) lgkmcnt(0)
	s_barrier
	s_cbranch_vccnz .LBB596_10
; %bb.9:
	v_add_u32_e32 v1, s9, v15
	v_add_u32_e32 v2, s11, v15
	v_mul_lo_u32 v1, v1, s8
	v_mul_lo_u32 v2, v2, s10
	v_add_u32_e32 v17, s9, v13
	v_add_u32_e32 v18, s11, v13
	v_mul_lo_u32 v17, v17, s8
	v_sub_u32_e32 v1, v1, v2
	v_cmp_lt_u32_e32 vcc, s14, v1
	v_add_u32_e32 v1, s9, v16
	v_add_u32_e32 v2, s11, v16
	v_mul_lo_u32 v1, v1, s8
	v_mul_lo_u32 v2, v2, s10
	;; [unrolled: 1-line block ×3, first 2 shown]
	v_cndmask_b32_e64 v28, 0, 1, vcc
	v_sub_u32_e32 v1, v1, v2
	v_cmp_lt_u32_e32 vcc, s14, v1
	v_sub_u32_e32 v1, v17, v18
	v_cndmask_b32_e64 v29, 0, 1, vcc
	v_cmp_lt_u32_e32 vcc, s14, v1
	v_add_u32_e32 v1, s9, v14
	v_add_u32_e32 v2, s11, v14
	v_mul_lo_u32 v1, v1, s8
	v_mul_lo_u32 v2, v2, s10
	v_add_u32_e32 v17, s9, v11
	v_add_u32_e32 v18, s11, v11
	v_mul_lo_u32 v17, v17, s8
	v_mul_lo_u32 v18, v18, s10
	v_sub_u32_e32 v1, v1, v2
	v_cndmask_b32_e64 v30, 0, 1, vcc
	v_cmp_lt_u32_e32 vcc, s14, v1
	v_sub_u32_e32 v1, v17, v18
	v_cndmask_b32_e64 v31, 0, 1, vcc
	v_cmp_lt_u32_e32 vcc, s14, v1
	v_add_u32_e32 v1, s9, v12
	v_add_u32_e32 v2, s11, v12
	v_mul_lo_u32 v1, v1, s8
	v_mul_lo_u32 v2, v2, s10
	v_add_u32_e32 v17, s9, v9
	v_add_u32_e32 v18, s11, v9
	v_mul_lo_u32 v17, v17, s8
	v_mul_lo_u32 v18, v18, s10
	v_sub_u32_e32 v1, v1, v2
	v_cndmask_b32_e64 v32, 0, 1, vcc
	;; [unrolled: 14-line block ×5, first 2 shown]
	v_cmp_lt_u32_e32 vcc, s14, v1
	v_sub_u32_e32 v1, v17, v18
	v_cndmask_b32_e64 v39, 0, 1, vcc
	v_cmp_lt_u32_e64 s[36:37], s14, v1
	s_cbranch_execz .LBB596_11
	s_branch .LBB596_38
.LBB596_10:
                                        ; implicit-def: $sgpr36_sgpr37
                                        ; implicit-def: $vgpr39
                                        ; implicit-def: $vgpr38
                                        ; implicit-def: $vgpr37
                                        ; implicit-def: $vgpr36
                                        ; implicit-def: $vgpr35
                                        ; implicit-def: $vgpr34
                                        ; implicit-def: $vgpr33
                                        ; implicit-def: $vgpr32
                                        ; implicit-def: $vgpr28
                                        ; implicit-def: $vgpr29
                                        ; implicit-def: $vgpr30
                                        ; implicit-def: $vgpr31
.LBB596_11:
	v_cmp_gt_u32_e32 vcc, s33, v27
	v_mov_b32_e32 v29, 0
	v_mov_b32_e32 v28, 0
	s_and_saveexec_b64 s[4:5], vcc
	s_cbranch_execz .LBB596_13
; %bb.12:
	v_add_u32_e32 v1, s9, v15
	v_add_u32_e32 v2, s11, v15
	v_mul_lo_u32 v1, v1, s8
	v_mul_lo_u32 v2, v2, s10
	v_sub_u32_e32 v1, v1, v2
	v_cmp_lt_u32_e32 vcc, s14, v1
	v_cndmask_b32_e64 v28, 0, 1, vcc
.LBB596_13:
	s_or_b64 exec, exec, s[4:5]
	v_add_u32_e32 v1, 1, v27
	v_cmp_gt_u32_e32 vcc, s33, v1
	s_and_saveexec_b64 s[4:5], vcc
	s_cbranch_execz .LBB596_15
; %bb.14:
	v_add_u32_e32 v1, s9, v16
	v_add_u32_e32 v2, s11, v16
	v_mul_lo_u32 v1, v1, s8
	v_mul_lo_u32 v2, v2, s10
	v_sub_u32_e32 v1, v1, v2
	v_cmp_lt_u32_e32 vcc, s14, v1
	v_cndmask_b32_e64 v29, 0, 1, vcc
.LBB596_15:
	s_or_b64 exec, exec, s[4:5]
	v_add_u32_e32 v1, 2, v27
	v_cmp_gt_u32_e32 vcc, s33, v1
	v_mov_b32_e32 v31, 0
	v_mov_b32_e32 v30, 0
	s_and_saveexec_b64 s[4:5], vcc
	s_cbranch_execz .LBB596_17
; %bb.16:
	v_add_u32_e32 v1, s9, v13
	v_add_u32_e32 v2, s11, v13
	v_mul_lo_u32 v1, v1, s8
	v_mul_lo_u32 v2, v2, s10
	v_sub_u32_e32 v1, v1, v2
	v_cmp_lt_u32_e32 vcc, s14, v1
	v_cndmask_b32_e64 v30, 0, 1, vcc
.LBB596_17:
	s_or_b64 exec, exec, s[4:5]
	v_add_u32_e32 v1, 3, v27
	v_cmp_gt_u32_e32 vcc, s33, v1
	s_and_saveexec_b64 s[4:5], vcc
	s_cbranch_execz .LBB596_19
; %bb.18:
	v_add_u32_e32 v1, s9, v14
	v_add_u32_e32 v2, s11, v14
	v_mul_lo_u32 v1, v1, s8
	v_mul_lo_u32 v2, v2, s10
	v_sub_u32_e32 v1, v1, v2
	v_cmp_lt_u32_e32 vcc, s14, v1
	v_cndmask_b32_e64 v31, 0, 1, vcc
.LBB596_19:
	s_or_b64 exec, exec, s[4:5]
	v_add_u32_e32 v1, 4, v27
	;; [unrolled: 30-line block ×6, first 2 shown]
	v_cmp_gt_u32_e32 vcc, s33, v1
	s_mov_b64 s[36:37], 0
	s_and_saveexec_b64 s[4:5], vcc
	s_cbranch_execz .LBB596_37
; %bb.36:
	v_add_u32_e32 v1, s9, v26
	v_add_u32_e32 v2, s11, v26
	v_mul_lo_u32 v1, v1, s8
	v_mul_lo_u32 v2, v2, s10
	v_sub_u32_e32 v1, v1, v2
	v_cmp_lt_u32_e32 vcc, s14, v1
	s_and_b64 s[36:37], vcc, exec
.LBB596_37:
	s_or_b64 exec, exec, s[4:5]
.LBB596_38:
	v_and_b32_e32 v42, 0xff, v29
	v_and_b32_e32 v43, 0xff, v30
	;; [unrolled: 1-line block ×5, first 2 shown]
	v_add3_u32 v2, v43, v44, v42
	v_and_b32_e32 v46, 0xff, v33
	v_and_b32_e32 v47, 0xff, v34
	v_add3_u32 v2, v2, v41, v45
	v_and_b32_e32 v48, 0xff, v35
	v_and_b32_e32 v49, 0xff, v36
	;; [unrolled: 3-line block ×3, first 2 shown]
	v_add3_u32 v2, v2, v48, v49
	v_and_b32_e32 v40, 0xff, v39
	v_cndmask_b32_e64 v1, 0, 1, s[36:37]
	v_add3_u32 v2, v2, v50, v51
	v_add3_u32 v54, v2, v40, v1
	v_mbcnt_lo_u32_b32 v1, -1, 0
	v_mbcnt_hi_u32_b32 v52, -1, v1
	v_and_b32_e32 v1, 15, v52
	v_cmp_eq_u32_e64 s[16:17], 0, v1
	v_cmp_lt_u32_e64 s[14:15], 1, v1
	v_cmp_lt_u32_e64 s[12:13], 3, v1
	;; [unrolled: 1-line block ×3, first 2 shown]
	v_and_b32_e32 v1, 16, v52
	v_cmp_eq_u32_e64 s[8:9], 0, v1
	v_or_b32_e32 v1, 63, v0
	s_cmp_lg_u32 s43, 0
	v_cmp_lt_u32_e64 s[4:5], 31, v52
	v_lshrrev_b32_e32 v53, 6, v0
	v_cmp_eq_u32_e64 s[6:7], v0, v1
	s_cbranch_scc0 .LBB596_60
; %bb.39:
	v_mov_b32_dpp v1, v54 row_shr:1 row_mask:0xf bank_mask:0xf
	v_cndmask_b32_e64 v1, v1, 0, s[16:17]
	v_add_u32_e32 v1, v1, v54
	s_nop 1
	v_mov_b32_dpp v2, v1 row_shr:2 row_mask:0xf bank_mask:0xf
	v_cndmask_b32_e64 v2, 0, v2, s[14:15]
	v_add_u32_e32 v1, v1, v2
	s_nop 1
	;; [unrolled: 4-line block ×4, first 2 shown]
	v_mov_b32_dpp v2, v1 row_bcast:15 row_mask:0xf bank_mask:0xf
	v_cndmask_b32_e64 v2, v2, 0, s[8:9]
	v_add_u32_e32 v1, v1, v2
	s_nop 1
	v_mov_b32_dpp v2, v1 row_bcast:31 row_mask:0xf bank_mask:0xf
	v_cndmask_b32_e64 v2, 0, v2, s[4:5]
	v_add_u32_e32 v1, v1, v2
	s_and_saveexec_b64 s[18:19], s[6:7]
; %bb.40:
	v_lshlrev_b32_e32 v2, 2, v53
	ds_write_b32 v2, v1
; %bb.41:
	s_or_b64 exec, exec, s[18:19]
	v_cmp_gt_u32_e32 vcc, 4, v0
	s_waitcnt lgkmcnt(0)
	s_barrier
	s_and_saveexec_b64 s[18:19], vcc
	s_cbranch_execz .LBB596_43
; %bb.42:
	ds_read_b32 v2, v25
	v_and_b32_e32 v17, 3, v52
	v_cmp_ne_u32_e32 vcc, 0, v17
	s_waitcnt lgkmcnt(0)
	v_mov_b32_dpp v18, v2 row_shr:1 row_mask:0xf bank_mask:0xf
	v_cndmask_b32_e32 v18, 0, v18, vcc
	v_add_u32_e32 v2, v18, v2
	v_cmp_lt_u32_e32 vcc, 1, v17
	s_nop 0
	v_mov_b32_dpp v18, v2 row_shr:2 row_mask:0xf bank_mask:0xf
	v_cndmask_b32_e32 v17, 0, v18, vcc
	v_add_u32_e32 v2, v2, v17
	ds_write_b32 v25, v2
.LBB596_43:
	s_or_b64 exec, exec, s[18:19]
	v_cmp_gt_u32_e32 vcc, 64, v0
	v_cmp_lt_u32_e64 s[18:19], 63, v0
	s_waitcnt lgkmcnt(0)
	s_barrier
                                        ; implicit-def: $vgpr55
	s_and_saveexec_b64 s[20:21], s[18:19]
	s_cbranch_execz .LBB596_45
; %bb.44:
	v_lshl_add_u32 v2, v53, 2, -4
	ds_read_b32 v55, v2
	s_waitcnt lgkmcnt(0)
	v_add_u32_e32 v1, v55, v1
.LBB596_45:
	s_or_b64 exec, exec, s[20:21]
	v_subrev_co_u32_e64 v2, s[18:19], 1, v52
	v_and_b32_e32 v17, 64, v52
	v_cmp_lt_i32_e64 s[20:21], v2, v17
	v_cndmask_b32_e64 v2, v2, v52, s[20:21]
	v_lshlrev_b32_e32 v2, 2, v2
	ds_bpermute_b32 v56, v2, v1
	s_and_saveexec_b64 s[20:21], vcc
	s_cbranch_execz .LBB596_65
; %bb.46:
	v_mov_b32_e32 v21, 0
	ds_read_b32 v1, v21 offset:12
	s_and_saveexec_b64 s[38:39], s[18:19]
	s_cbranch_execz .LBB596_48
; %bb.47:
	s_add_i32 s40, s43, 64
	s_mov_b32 s41, 0
	s_lshl_b64 s[40:41], s[40:41], 3
	s_add_u32 s40, s34, s40
	v_mov_b32_e32 v2, 1
	s_addc_u32 s41, s35, s41
	s_waitcnt lgkmcnt(0)
	global_store_dwordx2 v21, v[1:2], s[40:41]
.LBB596_48:
	s_or_b64 exec, exec, s[38:39]
	v_xad_u32 v17, v52, -1, s43
	v_add_u32_e32 v20, 64, v17
	v_lshlrev_b64 v[18:19], 3, v[20:21]
	v_mov_b32_e32 v2, s35
	v_add_co_u32_e32 v22, vcc, s34, v18
	v_addc_co_u32_e32 v23, vcc, v2, v19, vcc
	global_load_dwordx2 v[19:20], v[22:23], off glc
	s_waitcnt vmcnt(0)
	v_cmp_eq_u16_sdwa s[40:41], v20, v21 src0_sel:BYTE_0 src1_sel:DWORD
	s_and_saveexec_b64 s[38:39], s[40:41]
	s_cbranch_execz .LBB596_52
; %bb.49:
	s_mov_b64 s[40:41], 0
	v_mov_b32_e32 v2, 0
.LBB596_50:                             ; =>This Inner Loop Header: Depth=1
	global_load_dwordx2 v[19:20], v[22:23], off glc
	s_waitcnt vmcnt(0)
	v_cmp_ne_u16_sdwa s[44:45], v20, v2 src0_sel:BYTE_0 src1_sel:DWORD
	s_or_b64 s[40:41], s[44:45], s[40:41]
	s_andn2_b64 exec, exec, s[40:41]
	s_cbranch_execnz .LBB596_50
; %bb.51:
	s_or_b64 exec, exec, s[40:41]
.LBB596_52:
	s_or_b64 exec, exec, s[38:39]
	v_and_b32_e32 v58, 63, v52
	v_mov_b32_e32 v57, 2
	v_lshlrev_b64 v[21:22], v52, -1
	v_cmp_ne_u32_e32 vcc, 63, v58
	v_cmp_eq_u16_sdwa s[38:39], v20, v57 src0_sel:BYTE_0 src1_sel:DWORD
	v_addc_co_u32_e32 v23, vcc, 0, v52, vcc
	v_and_b32_e32 v2, s39, v22
	v_lshlrev_b32_e32 v59, 2, v23
	v_or_b32_e32 v2, 0x80000000, v2
	ds_bpermute_b32 v23, v59, v19
	v_and_b32_e32 v18, s38, v21
	v_ffbl_b32_e32 v2, v2
	v_add_u32_e32 v2, 32, v2
	v_ffbl_b32_e32 v18, v18
	v_min_u32_e32 v2, v18, v2
	v_cmp_lt_u32_e32 vcc, v58, v2
	s_waitcnt lgkmcnt(0)
	v_cndmask_b32_e32 v18, 0, v23, vcc
	v_cmp_gt_u32_e32 vcc, 62, v58
	v_add_u32_e32 v18, v18, v19
	v_cndmask_b32_e64 v19, 0, 2, vcc
	v_add_lshl_u32 v60, v19, v52, 2
	ds_bpermute_b32 v19, v60, v18
	v_add_u32_e32 v61, 2, v58
	v_cmp_le_u32_e32 vcc, v61, v2
	v_add_u32_e32 v63, 4, v58
	v_add_u32_e32 v65, 8, v58
	s_waitcnt lgkmcnt(0)
	v_cndmask_b32_e32 v19, 0, v19, vcc
	v_cmp_gt_u32_e32 vcc, 60, v58
	v_add_u32_e32 v18, v18, v19
	v_cndmask_b32_e64 v19, 0, 4, vcc
	v_add_lshl_u32 v62, v19, v52, 2
	ds_bpermute_b32 v19, v62, v18
	v_cmp_le_u32_e32 vcc, v63, v2
	v_add_u32_e32 v67, 16, v58
	v_add_u32_e32 v69, 32, v58
	s_waitcnt lgkmcnt(0)
	v_cndmask_b32_e32 v19, 0, v19, vcc
	v_cmp_gt_u32_e32 vcc, 56, v58
	v_add_u32_e32 v18, v18, v19
	v_cndmask_b32_e64 v19, 0, 8, vcc
	v_add_lshl_u32 v64, v19, v52, 2
	ds_bpermute_b32 v19, v64, v18
	v_cmp_le_u32_e32 vcc, v65, v2
	s_waitcnt lgkmcnt(0)
	v_cndmask_b32_e32 v19, 0, v19, vcc
	v_cmp_gt_u32_e32 vcc, 48, v58
	v_add_u32_e32 v18, v18, v19
	v_cndmask_b32_e64 v19, 0, 16, vcc
	v_add_lshl_u32 v66, v19, v52, 2
	ds_bpermute_b32 v19, v66, v18
	v_cmp_le_u32_e32 vcc, v67, v2
	s_waitcnt lgkmcnt(0)
	v_cndmask_b32_e32 v19, 0, v19, vcc
	v_add_u32_e32 v18, v18, v19
	v_mov_b32_e32 v19, 0x80
	v_lshl_or_b32 v68, v52, 2, v19
	ds_bpermute_b32 v19, v68, v18
	v_cmp_le_u32_e32 vcc, v69, v2
	s_waitcnt lgkmcnt(0)
	v_cndmask_b32_e32 v2, 0, v19, vcc
	v_add_u32_e32 v19, v18, v2
	v_mov_b32_e32 v18, 0
	s_branch .LBB596_56
.LBB596_53:                             ;   in Loop: Header=BB596_56 Depth=1
	s_or_b64 exec, exec, s[40:41]
.LBB596_54:                             ;   in Loop: Header=BB596_56 Depth=1
	s_or_b64 exec, exec, s[38:39]
	v_cmp_eq_u16_sdwa s[38:39], v20, v57 src0_sel:BYTE_0 src1_sel:DWORD
	v_and_b32_e32 v23, s39, v22
	v_or_b32_e32 v23, 0x80000000, v23
	ds_bpermute_b32 v70, v59, v19
	v_and_b32_e32 v24, s38, v21
	v_ffbl_b32_e32 v23, v23
	v_add_u32_e32 v23, 32, v23
	v_ffbl_b32_e32 v24, v24
	v_min_u32_e32 v23, v24, v23
	v_cmp_lt_u32_e32 vcc, v58, v23
	s_waitcnt lgkmcnt(0)
	v_cndmask_b32_e32 v24, 0, v70, vcc
	v_add_u32_e32 v19, v24, v19
	ds_bpermute_b32 v24, v60, v19
	v_cmp_le_u32_e32 vcc, v61, v23
	v_subrev_u32_e32 v17, 64, v17
	s_mov_b64 s[38:39], 0
	s_waitcnt lgkmcnt(0)
	v_cndmask_b32_e32 v24, 0, v24, vcc
	v_add_u32_e32 v19, v19, v24
	ds_bpermute_b32 v24, v62, v19
	v_cmp_le_u32_e32 vcc, v63, v23
	s_waitcnt lgkmcnt(0)
	v_cndmask_b32_e32 v24, 0, v24, vcc
	v_add_u32_e32 v19, v19, v24
	ds_bpermute_b32 v24, v64, v19
	v_cmp_le_u32_e32 vcc, v65, v23
	;; [unrolled: 5-line block ×4, first 2 shown]
	s_waitcnt lgkmcnt(0)
	v_cndmask_b32_e32 v23, 0, v24, vcc
	v_add3_u32 v19, v23, v2, v19
.LBB596_55:                             ;   in Loop: Header=BB596_56 Depth=1
	s_and_b64 vcc, exec, s[38:39]
	s_cbranch_vccnz .LBB596_61
.LBB596_56:                             ; =>This Loop Header: Depth=1
                                        ;     Child Loop BB596_59 Depth 2
	v_cmp_ne_u16_sdwa s[38:39], v20, v57 src0_sel:BYTE_0 src1_sel:DWORD
	v_mov_b32_e32 v2, v19
	s_cmp_lg_u64 s[38:39], exec
	s_mov_b64 s[38:39], -1
                                        ; implicit-def: $vgpr19
                                        ; implicit-def: $vgpr20
	s_cbranch_scc1 .LBB596_55
; %bb.57:                               ;   in Loop: Header=BB596_56 Depth=1
	v_lshlrev_b64 v[19:20], 3, v[17:18]
	v_mov_b32_e32 v24, s35
	v_add_co_u32_e32 v23, vcc, s34, v19
	v_addc_co_u32_e32 v24, vcc, v24, v20, vcc
	global_load_dwordx2 v[19:20], v[23:24], off glc
	s_waitcnt vmcnt(0)
	v_cmp_eq_u16_sdwa s[40:41], v20, v18 src0_sel:BYTE_0 src1_sel:DWORD
	s_and_saveexec_b64 s[38:39], s[40:41]
	s_cbranch_execz .LBB596_54
; %bb.58:                               ;   in Loop: Header=BB596_56 Depth=1
	s_mov_b64 s[40:41], 0
.LBB596_59:                             ;   Parent Loop BB596_56 Depth=1
                                        ; =>  This Inner Loop Header: Depth=2
	global_load_dwordx2 v[19:20], v[23:24], off glc
	s_waitcnt vmcnt(0)
	v_cmp_ne_u16_sdwa s[44:45], v20, v18 src0_sel:BYTE_0 src1_sel:DWORD
	s_or_b64 s[40:41], s[44:45], s[40:41]
	s_andn2_b64 exec, exec, s[40:41]
	s_cbranch_execnz .LBB596_59
	s_branch .LBB596_53
.LBB596_60:
                                        ; implicit-def: $vgpr2
                                        ; implicit-def: $vgpr17
	s_cbranch_execnz .LBB596_66
	s_branch .LBB596_75
.LBB596_61:
	s_and_saveexec_b64 s[38:39], s[18:19]
	s_cbranch_execz .LBB596_63
; %bb.62:
	s_add_i32 s40, s43, 64
	s_mov_b32 s41, 0
	s_lshl_b64 s[40:41], s[40:41], 3
	s_add_u32 s40, s34, s40
	v_add_u32_e32 v17, v2, v1
	v_mov_b32_e32 v18, 2
	s_addc_u32 s41, s35, s41
	v_mov_b32_e32 v19, 0
	global_store_dwordx2 v19, v[17:18], s[40:41]
	ds_write_b64 v19, v[1:2] offset:13312
.LBB596_63:
	s_or_b64 exec, exec, s[38:39]
	s_and_b64 exec, exec, s[0:1]
; %bb.64:
	v_mov_b32_e32 v1, 0
	ds_write_b32 v1, v2 offset:12
.LBB596_65:
	s_or_b64 exec, exec, s[20:21]
	v_mov_b32_e32 v1, 0
	s_waitcnt vmcnt(0) lgkmcnt(0)
	s_barrier
	ds_read_b32 v17, v1 offset:12
	s_waitcnt lgkmcnt(0)
	s_barrier
	ds_read_b64 v[1:2], v1 offset:13312
	v_cndmask_b32_e64 v18, v56, v55, s[18:19]
	v_cndmask_b32_e64 v18, v18, 0, s[0:1]
	v_add_u32_e32 v17, v17, v18
	s_branch .LBB596_75
.LBB596_66:
	s_waitcnt lgkmcnt(0)
	v_mov_b32_dpp v1, v54 row_shr:1 row_mask:0xf bank_mask:0xf
	v_cndmask_b32_e64 v1, v1, 0, s[16:17]
	v_add_u32_e32 v1, v1, v54
	s_nop 1
	v_mov_b32_dpp v2, v1 row_shr:2 row_mask:0xf bank_mask:0xf
	v_cndmask_b32_e64 v2, 0, v2, s[14:15]
	v_add_u32_e32 v1, v1, v2
	s_nop 1
	;; [unrolled: 4-line block ×4, first 2 shown]
	v_mov_b32_dpp v2, v1 row_bcast:15 row_mask:0xf bank_mask:0xf
	v_cndmask_b32_e64 v2, v2, 0, s[8:9]
	v_add_u32_e32 v1, v1, v2
	s_nop 1
	v_mov_b32_dpp v2, v1 row_bcast:31 row_mask:0xf bank_mask:0xf
	v_cndmask_b32_e64 v2, 0, v2, s[4:5]
	v_add_u32_e32 v1, v1, v2
	s_and_saveexec_b64 s[4:5], s[6:7]
; %bb.67:
	v_lshlrev_b32_e32 v2, 2, v53
	ds_write_b32 v2, v1
; %bb.68:
	s_or_b64 exec, exec, s[4:5]
	v_cmp_gt_u32_e32 vcc, 4, v0
	s_waitcnt lgkmcnt(0)
	s_barrier
	s_and_saveexec_b64 s[4:5], vcc
	s_cbranch_execz .LBB596_70
; %bb.69:
	ds_read_b32 v2, v25
	v_and_b32_e32 v17, 3, v52
	v_cmp_ne_u32_e32 vcc, 0, v17
	s_waitcnt lgkmcnt(0)
	v_mov_b32_dpp v18, v2 row_shr:1 row_mask:0xf bank_mask:0xf
	v_cndmask_b32_e32 v18, 0, v18, vcc
	v_add_u32_e32 v2, v18, v2
	v_cmp_lt_u32_e32 vcc, 1, v17
	s_nop 0
	v_mov_b32_dpp v18, v2 row_shr:2 row_mask:0xf bank_mask:0xf
	v_cndmask_b32_e32 v17, 0, v18, vcc
	v_add_u32_e32 v2, v2, v17
	ds_write_b32 v25, v2
.LBB596_70:
	s_or_b64 exec, exec, s[4:5]
	v_cmp_lt_u32_e32 vcc, 63, v0
	v_mov_b32_e32 v2, 0
	v_mov_b32_e32 v17, 0
	s_waitcnt lgkmcnt(0)
	s_barrier
	s_and_saveexec_b64 s[4:5], vcc
; %bb.71:
	v_lshl_add_u32 v17, v53, 2, -4
	ds_read_b32 v17, v17
; %bb.72:
	s_or_b64 exec, exec, s[4:5]
	v_subrev_co_u32_e32 v18, vcc, 1, v52
	v_and_b32_e32 v19, 64, v52
	v_cmp_lt_i32_e64 s[4:5], v18, v19
	v_cndmask_b32_e64 v18, v18, v52, s[4:5]
	s_waitcnt lgkmcnt(0)
	v_add_u32_e32 v1, v17, v1
	v_lshlrev_b32_e32 v18, 2, v18
	ds_bpermute_b32 v18, v18, v1
	ds_read_b32 v1, v2 offset:12
	s_and_saveexec_b64 s[4:5], s[0:1]
	s_cbranch_execz .LBB596_74
; %bb.73:
	v_mov_b32_e32 v19, 0
	v_mov_b32_e32 v2, 2
	s_waitcnt lgkmcnt(0)
	global_store_dwordx2 v19, v[1:2], s[34:35] offset:512
.LBB596_74:
	s_or_b64 exec, exec, s[4:5]
	s_waitcnt lgkmcnt(1)
	v_cndmask_b32_e32 v2, v18, v17, vcc
	v_cndmask_b32_e64 v17, v2, 0, s[0:1]
	s_waitcnt vmcnt(0) lgkmcnt(0)
	s_barrier
	v_mov_b32_e32 v2, 0
.LBB596_75:
	v_add_u32_e32 v18, v17, v41
	v_add_u32_e32 v19, v18, v42
	;; [unrolled: 1-line block ×4, first 2 shown]
	s_waitcnt lgkmcnt(0)
	v_add_u32_e32 v27, v1, v27
	v_sub_u32_e32 v17, v17, v2
	v_and_b32_e32 v28, 1, v28
	v_add_u32_e32 v22, v21, v45
	v_sub_u32_e32 v45, v27, v17
	v_cmp_eq_u32_e32 vcc, 1, v28
	v_cndmask_b32_e32 v17, v45, v17, vcc
	v_lshlrev_b32_e32 v17, 2, v17
	ds_write_b32 v17, v15
	v_sub_u32_e32 v15, v18, v2
	v_sub_u32_e32 v17, v27, v15
	v_and_b32_e32 v18, 1, v29
	v_add_u32_e32 v17, 1, v17
	v_cmp_eq_u32_e32 vcc, 1, v18
	v_cndmask_b32_e32 v15, v17, v15, vcc
	v_lshlrev_b32_e32 v15, 2, v15
	ds_write_b32 v15, v16
	v_sub_u32_e32 v15, v19, v2
	v_sub_u32_e32 v16, v27, v15
	v_and_b32_e32 v17, 1, v30
	v_add_u32_e32 v16, 2, v16
	;; [unrolled: 8-line block ×5, first 2 shown]
	v_cmp_eq_u32_e32 vcc, 1, v14
	v_cndmask_b32_e32 v11, v13, v11, vcc
	v_add_u32_e32 v23, v22, v46
	v_lshlrev_b32_e32 v11, 2, v11
	ds_write_b32 v11, v12
	v_sub_u32_e32 v11, v23, v2
	v_sub_u32_e32 v12, v27, v11
	v_and_b32_e32 v13, 1, v34
	v_add_u32_e32 v12, 6, v12
	v_cmp_eq_u32_e32 vcc, 1, v13
	v_cndmask_b32_e32 v11, v12, v11, vcc
	v_add_u32_e32 v24, v23, v47
	v_lshlrev_b32_e32 v11, 2, v11
	ds_write_b32 v11, v9
	v_sub_u32_e32 v9, v24, v2
	v_sub_u32_e32 v11, v27, v9
	v_and_b32_e32 v12, 1, v35
	v_add_u32_e32 v11, 7, v11
	;; [unrolled: 9-line block ×6, first 2 shown]
	v_cmp_eq_u32_e32 vcc, 1, v8
	v_cndmask_b32_e32 v5, v7, v5, vcc
	v_lshlrev_b32_e32 v5, 2, v5
	ds_write_b32 v5, v6
	v_sub_u32_e32 v5, v40, v2
	v_add_u32_e32 v5, v44, v5
	v_sub_u32_e32 v6, v27, v5
	v_add_u32_e32 v6, 12, v6
	v_cndmask_b32_e64 v5, v6, v5, s[36:37]
	v_lshlrev_b32_e32 v5, 2, v5
	ds_write_b32 v5, v26
	s_waitcnt lgkmcnt(0)
	s_barrier
	ds_read2st64_b32 v[15:16], v25 offset1:4
	ds_read2st64_b32 v[13:14], v25 offset0:8 offset1:12
	ds_read2st64_b32 v[11:12], v25 offset0:16 offset1:20
	;; [unrolled: 1-line block ×5, first 2 shown]
	ds_read_b32 v18, v25 offset:12288
	s_and_b64 vcc, exec, s[2:3]
	v_add_co_u32_e64 v17, s[2:3], v3, v2
	v_or_b32_e32 v32, 0x100, v0
	v_or_b32_e32 v30, 0x200, v0
	;; [unrolled: 1-line block ×12, first 2 shown]
	v_addc_co_u32_e64 v4, s[2:3], 0, v4, s[2:3]
	s_cbranch_vccnz .LBB596_132
; %bb.76:
	v_mov_b32_e32 v2, s29
	v_subrev_co_u32_e32 v3, vcc, s28, v17
	s_sub_u32 s2, s30, s42
	v_subb_co_u32_e32 v2, vcc, v4, v2, vcc
	s_subb_u32 s3, s31, 0
	v_mov_b32_e32 v25, s3
	v_add_co_u32_e32 v31, vcc, s2, v1
	v_addc_co_u32_e32 v33, vcc, 0, v25, vcc
	v_add_co_u32_e32 v25, vcc, v31, v3
	v_addc_co_u32_e32 v31, vcc, v33, v2, vcc
	v_cmp_ge_u32_e32 vcc, v0, v1
                                        ; implicit-def: $vgpr2_vgpr3
	s_and_saveexec_b64 s[2:3], vcc
	s_xor_b64 s[2:3], exec, s[2:3]
; %bb.77:
	v_not_b32_e32 v2, v0
	v_ashrrev_i32_e32 v3, 31, v2
	v_add_co_u32_e32 v2, vcc, v25, v2
	v_addc_co_u32_e32 v3, vcc, v31, v3, vcc
; %bb.78:
	s_andn2_saveexec_b64 s[2:3], s[2:3]
; %bb.79:
	v_add_co_u32_e32 v2, vcc, v17, v0
	v_addc_co_u32_e32 v3, vcc, 0, v4, vcc
; %bb.80:
	s_or_b64 exec, exec, s[2:3]
	v_lshlrev_b64 v[2:3], 2, v[2:3]
	v_mov_b32_e32 v33, s23
	v_add_co_u32_e32 v2, vcc, s22, v2
	v_addc_co_u32_e32 v3, vcc, v33, v3, vcc
	v_cmp_ge_u32_e32 vcc, v32, v1
	s_waitcnt lgkmcnt(6)
	global_store_dword v[2:3], v15, off
                                        ; implicit-def: $vgpr2_vgpr3
	s_and_saveexec_b64 s[2:3], vcc
	s_xor_b64 s[2:3], exec, s[2:3]
; %bb.81:
	v_xor_b32_e32 v2, 0xfffffeff, v0
	v_ashrrev_i32_e32 v3, 31, v2
	v_add_co_u32_e32 v2, vcc, v25, v2
	v_addc_co_u32_e32 v3, vcc, v31, v3, vcc
; %bb.82:
	s_andn2_saveexec_b64 s[2:3], s[2:3]
; %bb.83:
	v_add_co_u32_e32 v2, vcc, v17, v32
	v_addc_co_u32_e32 v3, vcc, 0, v4, vcc
; %bb.84:
	s_or_b64 exec, exec, s[2:3]
	v_lshlrev_b64 v[2:3], 2, v[2:3]
	v_mov_b32_e32 v33, s23
	v_add_co_u32_e32 v2, vcc, s22, v2
	v_addc_co_u32_e32 v3, vcc, v33, v3, vcc
	v_cmp_ge_u32_e32 vcc, v30, v1
	global_store_dword v[2:3], v16, off
                                        ; implicit-def: $vgpr2_vgpr3
	s_and_saveexec_b64 s[2:3], vcc
	s_xor_b64 s[2:3], exec, s[2:3]
; %bb.85:
	v_xor_b32_e32 v2, 0xfffffdff, v0
	v_ashrrev_i32_e32 v3, 31, v2
	v_add_co_u32_e32 v2, vcc, v25, v2
	v_addc_co_u32_e32 v3, vcc, v31, v3, vcc
; %bb.86:
	s_andn2_saveexec_b64 s[2:3], s[2:3]
; %bb.87:
	v_add_co_u32_e32 v2, vcc, v17, v30
	v_addc_co_u32_e32 v3, vcc, 0, v4, vcc
; %bb.88:
	s_or_b64 exec, exec, s[2:3]
	v_lshlrev_b64 v[2:3], 2, v[2:3]
	v_mov_b32_e32 v33, s23
	v_add_co_u32_e32 v2, vcc, s22, v2
	v_addc_co_u32_e32 v3, vcc, v33, v3, vcc
	v_cmp_ge_u32_e32 vcc, v29, v1
	s_waitcnt lgkmcnt(5)
	global_store_dword v[2:3], v13, off
                                        ; implicit-def: $vgpr2_vgpr3
	s_and_saveexec_b64 s[2:3], vcc
	s_xor_b64 s[2:3], exec, s[2:3]
; %bb.89:
	v_xor_b32_e32 v2, 0xfffffcff, v0
	v_ashrrev_i32_e32 v3, 31, v2
	v_add_co_u32_e32 v2, vcc, v25, v2
	v_addc_co_u32_e32 v3, vcc, v31, v3, vcc
; %bb.90:
	s_andn2_saveexec_b64 s[2:3], s[2:3]
; %bb.91:
	v_add_co_u32_e32 v2, vcc, v17, v29
	v_addc_co_u32_e32 v3, vcc, 0, v4, vcc
; %bb.92:
	s_or_b64 exec, exec, s[2:3]
	v_lshlrev_b64 v[2:3], 2, v[2:3]
	v_mov_b32_e32 v33, s23
	v_add_co_u32_e32 v2, vcc, s22, v2
	v_addc_co_u32_e32 v3, vcc, v33, v3, vcc
	v_cmp_ge_u32_e32 vcc, v28, v1
	global_store_dword v[2:3], v14, off
                                        ; implicit-def: $vgpr2_vgpr3
	s_and_saveexec_b64 s[2:3], vcc
	s_xor_b64 s[2:3], exec, s[2:3]
; %bb.93:
	v_xor_b32_e32 v2, 0xfffffbff, v0
	;; [unrolled: 43-line block ×6, first 2 shown]
	v_ashrrev_i32_e32 v3, 31, v2
	v_add_co_u32_e32 v2, vcc, v25, v2
	v_addc_co_u32_e32 v3, vcc, v31, v3, vcc
; %bb.126:
	s_andn2_saveexec_b64 s[2:3], s[2:3]
; %bb.127:
	v_add_co_u32_e32 v2, vcc, v17, v19
	v_addc_co_u32_e32 v3, vcc, 0, v4, vcc
; %bb.128:
	s_or_b64 exec, exec, s[2:3]
	s_mov_b64 s[2:3], -1
.LBB596_129:
	s_and_saveexec_b64 s[4:5], s[2:3]
	s_cbranch_execz .LBB596_212
.LBB596_130:
	v_lshlrev_b64 v[2:3], 2, v[2:3]
	v_mov_b32_e32 v0, s23
	v_add_co_u32_e32 v2, vcc, s22, v2
	v_addc_co_u32_e32 v3, vcc, v0, v3, vcc
	s_waitcnt lgkmcnt(0)
	global_store_dword v[2:3], v18, off
	s_or_b64 exec, exec, s[4:5]
	s_and_b64 s[0:1], s[0:1], s[26:27]
	s_and_saveexec_b64 s[2:3], s[0:1]
	s_cbranch_execnz .LBB596_213
.LBB596_131:
	s_endpgm
.LBB596_132:
	s_mov_b64 s[2:3], 0
                                        ; implicit-def: $vgpr2_vgpr3
	s_cbranch_execz .LBB596_129
; %bb.133:
	s_add_u32 s4, s28, s42
	s_addc_u32 s5, s29, 0
	s_sub_u32 s4, s30, s4
	s_subb_u32 s5, s31, s5
	v_mov_b32_e32 v2, s5
	v_add_co_u32_e32 v3, vcc, s4, v1
	v_addc_co_u32_e32 v2, vcc, 0, v2, vcc
	v_add_co_u32_e32 v25, vcc, v3, v17
	v_addc_co_u32_e32 v31, vcc, v2, v4, vcc
	v_cmp_gt_u32_e32 vcc, s33, v0
	s_and_saveexec_b64 s[4:5], vcc
	s_cbranch_execz .LBB596_169
; %bb.134:
	v_cmp_ge_u32_e32 vcc, v0, v1
                                        ; implicit-def: $vgpr2_vgpr3
	s_and_saveexec_b64 s[6:7], vcc
	s_xor_b64 s[6:7], exec, s[6:7]
; %bb.135:
	v_not_b32_e32 v2, v0
	v_ashrrev_i32_e32 v3, 31, v2
	v_add_co_u32_e32 v2, vcc, v25, v2
	v_addc_co_u32_e32 v3, vcc, v31, v3, vcc
; %bb.136:
	s_andn2_saveexec_b64 s[6:7], s[6:7]
; %bb.137:
	v_add_co_u32_e32 v2, vcc, v17, v0
	v_addc_co_u32_e32 v3, vcc, 0, v4, vcc
; %bb.138:
	s_or_b64 exec, exec, s[6:7]
	v_lshlrev_b64 v[2:3], 2, v[2:3]
	v_mov_b32_e32 v33, s23
	v_add_co_u32_e32 v2, vcc, s22, v2
	v_addc_co_u32_e32 v3, vcc, v33, v3, vcc
	s_waitcnt lgkmcnt(6)
	global_store_dword v[2:3], v15, off
	s_or_b64 exec, exec, s[4:5]
	v_cmp_gt_u32_e32 vcc, s33, v32
	s_and_saveexec_b64 s[4:5], vcc
	s_cbranch_execnz .LBB596_170
.LBB596_139:
	s_or_b64 exec, exec, s[4:5]
	v_cmp_gt_u32_e32 vcc, s33, v30
	s_and_saveexec_b64 s[4:5], vcc
	s_cbranch_execz .LBB596_175
.LBB596_140:
	v_cmp_ge_u32_e32 vcc, v30, v1
                                        ; implicit-def: $vgpr2_vgpr3
	s_and_saveexec_b64 s[6:7], vcc
	s_xor_b64 s[6:7], exec, s[6:7]
; %bb.141:
	v_xor_b32_e32 v2, 0xfffffdff, v0
	v_ashrrev_i32_e32 v3, 31, v2
	v_add_co_u32_e32 v2, vcc, v25, v2
	v_addc_co_u32_e32 v3, vcc, v31, v3, vcc
                                        ; implicit-def: $vgpr30
; %bb.142:
	s_andn2_saveexec_b64 s[6:7], s[6:7]
; %bb.143:
	v_add_co_u32_e32 v2, vcc, v17, v30
	v_addc_co_u32_e32 v3, vcc, 0, v4, vcc
; %bb.144:
	s_or_b64 exec, exec, s[6:7]
	v_lshlrev_b64 v[2:3], 2, v[2:3]
	s_waitcnt lgkmcnt(6)
	v_mov_b32_e32 v15, s23
	v_add_co_u32_e32 v2, vcc, s22, v2
	v_addc_co_u32_e32 v3, vcc, v15, v3, vcc
	s_waitcnt lgkmcnt(5)
	global_store_dword v[2:3], v13, off
	s_or_b64 exec, exec, s[4:5]
	v_cmp_gt_u32_e32 vcc, s33, v29
	s_and_saveexec_b64 s[4:5], vcc
	s_cbranch_execnz .LBB596_176
.LBB596_145:
	s_or_b64 exec, exec, s[4:5]
	v_cmp_gt_u32_e32 vcc, s33, v28
	s_and_saveexec_b64 s[4:5], vcc
	s_cbranch_execz .LBB596_181
.LBB596_146:
	v_cmp_ge_u32_e32 vcc, v28, v1
                                        ; implicit-def: $vgpr2_vgpr3
	s_and_saveexec_b64 s[6:7], vcc
	s_xor_b64 s[6:7], exec, s[6:7]
; %bb.147:
	v_xor_b32_e32 v2, 0xfffffbff, v0
	v_ashrrev_i32_e32 v3, 31, v2
	v_add_co_u32_e32 v2, vcc, v25, v2
	v_addc_co_u32_e32 v3, vcc, v31, v3, vcc
                                        ; implicit-def: $vgpr28
; %bb.148:
	s_andn2_saveexec_b64 s[6:7], s[6:7]
; %bb.149:
	v_add_co_u32_e32 v2, vcc, v17, v28
	v_addc_co_u32_e32 v3, vcc, 0, v4, vcc
; %bb.150:
	s_or_b64 exec, exec, s[6:7]
	v_lshlrev_b64 v[2:3], 2, v[2:3]
	s_waitcnt lgkmcnt(5)
	v_mov_b32_e32 v13, s23
	v_add_co_u32_e32 v2, vcc, s22, v2
	v_addc_co_u32_e32 v3, vcc, v13, v3, vcc
	s_waitcnt lgkmcnt(4)
	global_store_dword v[2:3], v11, off
	s_or_b64 exec, exec, s[4:5]
	v_cmp_gt_u32_e32 vcc, s33, v27
	s_and_saveexec_b64 s[4:5], vcc
	s_cbranch_execnz .LBB596_182
.LBB596_151:
	s_or_b64 exec, exec, s[4:5]
	v_cmp_gt_u32_e32 vcc, s33, v26
	s_and_saveexec_b64 s[4:5], vcc
	s_cbranch_execz .LBB596_187
.LBB596_152:
	v_cmp_ge_u32_e32 vcc, v26, v1
                                        ; implicit-def: $vgpr2_vgpr3
	s_and_saveexec_b64 s[6:7], vcc
	s_xor_b64 s[6:7], exec, s[6:7]
; %bb.153:
	v_xor_b32_e32 v2, 0xfffff9ff, v0
	v_ashrrev_i32_e32 v3, 31, v2
	v_add_co_u32_e32 v2, vcc, v25, v2
	v_addc_co_u32_e32 v3, vcc, v31, v3, vcc
                                        ; implicit-def: $vgpr26
; %bb.154:
	s_andn2_saveexec_b64 s[6:7], s[6:7]
; %bb.155:
	v_add_co_u32_e32 v2, vcc, v17, v26
	v_addc_co_u32_e32 v3, vcc, 0, v4, vcc
; %bb.156:
	s_or_b64 exec, exec, s[6:7]
	v_lshlrev_b64 v[2:3], 2, v[2:3]
	s_waitcnt lgkmcnt(4)
	v_mov_b32_e32 v11, s23
	v_add_co_u32_e32 v2, vcc, s22, v2
	v_addc_co_u32_e32 v3, vcc, v11, v3, vcc
	s_waitcnt lgkmcnt(3)
	global_store_dword v[2:3], v9, off
	s_or_b64 exec, exec, s[4:5]
	v_cmp_gt_u32_e32 vcc, s33, v24
	s_and_saveexec_b64 s[4:5], vcc
	s_cbranch_execnz .LBB596_188
.LBB596_157:
	s_or_b64 exec, exec, s[4:5]
	v_cmp_gt_u32_e32 vcc, s33, v23
	s_and_saveexec_b64 s[4:5], vcc
	s_cbranch_execz .LBB596_193
.LBB596_158:
	v_cmp_ge_u32_e32 vcc, v23, v1
                                        ; implicit-def: $vgpr2_vgpr3
	s_and_saveexec_b64 s[6:7], vcc
	s_xor_b64 s[6:7], exec, s[6:7]
; %bb.159:
	v_xor_b32_e32 v2, 0xfffff7ff, v0
	v_ashrrev_i32_e32 v3, 31, v2
	v_add_co_u32_e32 v2, vcc, v25, v2
	v_addc_co_u32_e32 v3, vcc, v31, v3, vcc
                                        ; implicit-def: $vgpr23
; %bb.160:
	s_andn2_saveexec_b64 s[6:7], s[6:7]
; %bb.161:
	v_add_co_u32_e32 v2, vcc, v17, v23
	v_addc_co_u32_e32 v3, vcc, 0, v4, vcc
; %bb.162:
	s_or_b64 exec, exec, s[6:7]
	v_lshlrev_b64 v[2:3], 2, v[2:3]
	s_waitcnt lgkmcnt(3)
	v_mov_b32_e32 v9, s23
	v_add_co_u32_e32 v2, vcc, s22, v2
	v_addc_co_u32_e32 v3, vcc, v9, v3, vcc
	s_waitcnt lgkmcnt(2)
	global_store_dword v[2:3], v7, off
	s_or_b64 exec, exec, s[4:5]
	v_cmp_gt_u32_e32 vcc, s33, v22
	s_and_saveexec_b64 s[4:5], vcc
	s_cbranch_execnz .LBB596_194
.LBB596_163:
	s_or_b64 exec, exec, s[4:5]
	v_cmp_gt_u32_e32 vcc, s33, v21
	s_and_saveexec_b64 s[4:5], vcc
	s_cbranch_execz .LBB596_199
.LBB596_164:
	v_cmp_ge_u32_e32 vcc, v21, v1
                                        ; implicit-def: $vgpr2_vgpr3
	s_and_saveexec_b64 s[6:7], vcc
	s_xor_b64 s[6:7], exec, s[6:7]
; %bb.165:
	v_xor_b32_e32 v2, 0xfffff5ff, v0
	v_ashrrev_i32_e32 v3, 31, v2
	v_add_co_u32_e32 v2, vcc, v25, v2
	v_addc_co_u32_e32 v3, vcc, v31, v3, vcc
                                        ; implicit-def: $vgpr21
; %bb.166:
	s_andn2_saveexec_b64 s[6:7], s[6:7]
; %bb.167:
	v_add_co_u32_e32 v2, vcc, v17, v21
	v_addc_co_u32_e32 v3, vcc, 0, v4, vcc
; %bb.168:
	s_or_b64 exec, exec, s[6:7]
	v_lshlrev_b64 v[2:3], 2, v[2:3]
	s_waitcnt lgkmcnt(2)
	v_mov_b32_e32 v7, s23
	v_add_co_u32_e32 v2, vcc, s22, v2
	v_addc_co_u32_e32 v3, vcc, v7, v3, vcc
	s_waitcnt lgkmcnt(1)
	global_store_dword v[2:3], v5, off
	s_or_b64 exec, exec, s[4:5]
	v_cmp_gt_u32_e32 vcc, s33, v20
	s_and_saveexec_b64 s[4:5], vcc
	s_cbranch_execz .LBB596_205
	s_branch .LBB596_200
.LBB596_169:
	s_or_b64 exec, exec, s[4:5]
	v_cmp_gt_u32_e32 vcc, s33, v32
	s_and_saveexec_b64 s[4:5], vcc
	s_cbranch_execz .LBB596_139
.LBB596_170:
	v_cmp_ge_u32_e32 vcc, v32, v1
                                        ; implicit-def: $vgpr2_vgpr3
	s_and_saveexec_b64 s[6:7], vcc
	s_xor_b64 s[6:7], exec, s[6:7]
; %bb.171:
	v_xor_b32_e32 v2, 0xfffffeff, v0
	v_ashrrev_i32_e32 v3, 31, v2
	v_add_co_u32_e32 v2, vcc, v25, v2
	v_addc_co_u32_e32 v3, vcc, v31, v3, vcc
                                        ; implicit-def: $vgpr32
; %bb.172:
	s_andn2_saveexec_b64 s[6:7], s[6:7]
; %bb.173:
	v_add_co_u32_e32 v2, vcc, v17, v32
	v_addc_co_u32_e32 v3, vcc, 0, v4, vcc
; %bb.174:
	s_or_b64 exec, exec, s[6:7]
	v_lshlrev_b64 v[2:3], 2, v[2:3]
	s_waitcnt lgkmcnt(6)
	v_mov_b32_e32 v15, s23
	v_add_co_u32_e32 v2, vcc, s22, v2
	v_addc_co_u32_e32 v3, vcc, v15, v3, vcc
	global_store_dword v[2:3], v16, off
	s_or_b64 exec, exec, s[4:5]
	v_cmp_gt_u32_e32 vcc, s33, v30
	s_and_saveexec_b64 s[4:5], vcc
	s_cbranch_execnz .LBB596_140
.LBB596_175:
	s_or_b64 exec, exec, s[4:5]
	v_cmp_gt_u32_e32 vcc, s33, v29
	s_and_saveexec_b64 s[4:5], vcc
	s_cbranch_execz .LBB596_145
.LBB596_176:
	v_cmp_ge_u32_e32 vcc, v29, v1
                                        ; implicit-def: $vgpr2_vgpr3
	s_and_saveexec_b64 s[6:7], vcc
	s_xor_b64 s[6:7], exec, s[6:7]
; %bb.177:
	v_xor_b32_e32 v2, 0xfffffcff, v0
	v_ashrrev_i32_e32 v3, 31, v2
	v_add_co_u32_e32 v2, vcc, v25, v2
	v_addc_co_u32_e32 v3, vcc, v31, v3, vcc
                                        ; implicit-def: $vgpr29
; %bb.178:
	s_andn2_saveexec_b64 s[6:7], s[6:7]
; %bb.179:
	v_add_co_u32_e32 v2, vcc, v17, v29
	v_addc_co_u32_e32 v3, vcc, 0, v4, vcc
; %bb.180:
	s_or_b64 exec, exec, s[6:7]
	v_lshlrev_b64 v[2:3], 2, v[2:3]
	s_waitcnt lgkmcnt(5)
	v_mov_b32_e32 v13, s23
	v_add_co_u32_e32 v2, vcc, s22, v2
	v_addc_co_u32_e32 v3, vcc, v13, v3, vcc
	global_store_dword v[2:3], v14, off
	s_or_b64 exec, exec, s[4:5]
	v_cmp_gt_u32_e32 vcc, s33, v28
	s_and_saveexec_b64 s[4:5], vcc
	s_cbranch_execnz .LBB596_146
.LBB596_181:
	s_or_b64 exec, exec, s[4:5]
	v_cmp_gt_u32_e32 vcc, s33, v27
	s_and_saveexec_b64 s[4:5], vcc
	s_cbranch_execz .LBB596_151
.LBB596_182:
	v_cmp_ge_u32_e32 vcc, v27, v1
                                        ; implicit-def: $vgpr2_vgpr3
	s_and_saveexec_b64 s[6:7], vcc
	s_xor_b64 s[6:7], exec, s[6:7]
; %bb.183:
	v_xor_b32_e32 v2, 0xfffffaff, v0
	v_ashrrev_i32_e32 v3, 31, v2
	v_add_co_u32_e32 v2, vcc, v25, v2
	v_addc_co_u32_e32 v3, vcc, v31, v3, vcc
                                        ; implicit-def: $vgpr27
; %bb.184:
	s_andn2_saveexec_b64 s[6:7], s[6:7]
; %bb.185:
	v_add_co_u32_e32 v2, vcc, v17, v27
	v_addc_co_u32_e32 v3, vcc, 0, v4, vcc
; %bb.186:
	s_or_b64 exec, exec, s[6:7]
	v_lshlrev_b64 v[2:3], 2, v[2:3]
	s_waitcnt lgkmcnt(4)
	v_mov_b32_e32 v11, s23
	v_add_co_u32_e32 v2, vcc, s22, v2
	v_addc_co_u32_e32 v3, vcc, v11, v3, vcc
	global_store_dword v[2:3], v12, off
	s_or_b64 exec, exec, s[4:5]
	v_cmp_gt_u32_e32 vcc, s33, v26
	s_and_saveexec_b64 s[4:5], vcc
	s_cbranch_execnz .LBB596_152
.LBB596_187:
	s_or_b64 exec, exec, s[4:5]
	v_cmp_gt_u32_e32 vcc, s33, v24
	s_and_saveexec_b64 s[4:5], vcc
	s_cbranch_execz .LBB596_157
.LBB596_188:
	v_cmp_ge_u32_e32 vcc, v24, v1
                                        ; implicit-def: $vgpr2_vgpr3
	s_and_saveexec_b64 s[6:7], vcc
	s_xor_b64 s[6:7], exec, s[6:7]
; %bb.189:
	v_xor_b32_e32 v2, 0xfffff8ff, v0
	v_ashrrev_i32_e32 v3, 31, v2
	v_add_co_u32_e32 v2, vcc, v25, v2
	v_addc_co_u32_e32 v3, vcc, v31, v3, vcc
                                        ; implicit-def: $vgpr24
; %bb.190:
	s_andn2_saveexec_b64 s[6:7], s[6:7]
; %bb.191:
	v_add_co_u32_e32 v2, vcc, v17, v24
	v_addc_co_u32_e32 v3, vcc, 0, v4, vcc
; %bb.192:
	s_or_b64 exec, exec, s[6:7]
	v_lshlrev_b64 v[2:3], 2, v[2:3]
	s_waitcnt lgkmcnt(3)
	v_mov_b32_e32 v9, s23
	v_add_co_u32_e32 v2, vcc, s22, v2
	v_addc_co_u32_e32 v3, vcc, v9, v3, vcc
	global_store_dword v[2:3], v10, off
	s_or_b64 exec, exec, s[4:5]
	v_cmp_gt_u32_e32 vcc, s33, v23
	s_and_saveexec_b64 s[4:5], vcc
	s_cbranch_execnz .LBB596_158
.LBB596_193:
	s_or_b64 exec, exec, s[4:5]
	v_cmp_gt_u32_e32 vcc, s33, v22
	s_and_saveexec_b64 s[4:5], vcc
	s_cbranch_execz .LBB596_163
.LBB596_194:
	v_cmp_ge_u32_e32 vcc, v22, v1
                                        ; implicit-def: $vgpr2_vgpr3
	s_and_saveexec_b64 s[6:7], vcc
	s_xor_b64 s[6:7], exec, s[6:7]
; %bb.195:
	v_xor_b32_e32 v2, 0xfffff6ff, v0
	v_ashrrev_i32_e32 v3, 31, v2
	v_add_co_u32_e32 v2, vcc, v25, v2
	v_addc_co_u32_e32 v3, vcc, v31, v3, vcc
                                        ; implicit-def: $vgpr22
; %bb.196:
	s_andn2_saveexec_b64 s[6:7], s[6:7]
; %bb.197:
	v_add_co_u32_e32 v2, vcc, v17, v22
	v_addc_co_u32_e32 v3, vcc, 0, v4, vcc
; %bb.198:
	s_or_b64 exec, exec, s[6:7]
	v_lshlrev_b64 v[2:3], 2, v[2:3]
	s_waitcnt lgkmcnt(2)
	v_mov_b32_e32 v7, s23
	v_add_co_u32_e32 v2, vcc, s22, v2
	v_addc_co_u32_e32 v3, vcc, v7, v3, vcc
	global_store_dword v[2:3], v8, off
	s_or_b64 exec, exec, s[4:5]
	v_cmp_gt_u32_e32 vcc, s33, v21
	s_and_saveexec_b64 s[4:5], vcc
	s_cbranch_execnz .LBB596_164
.LBB596_199:
	s_or_b64 exec, exec, s[4:5]
	v_cmp_gt_u32_e32 vcc, s33, v20
	s_and_saveexec_b64 s[4:5], vcc
	s_cbranch_execz .LBB596_205
.LBB596_200:
	v_cmp_ge_u32_e32 vcc, v20, v1
                                        ; implicit-def: $vgpr2_vgpr3
	s_and_saveexec_b64 s[6:7], vcc
	s_xor_b64 s[6:7], exec, s[6:7]
; %bb.201:
	v_xor_b32_e32 v2, 0xfffff4ff, v0
	v_ashrrev_i32_e32 v3, 31, v2
	v_add_co_u32_e32 v2, vcc, v25, v2
	v_addc_co_u32_e32 v3, vcc, v31, v3, vcc
                                        ; implicit-def: $vgpr20
; %bb.202:
	s_andn2_saveexec_b64 s[6:7], s[6:7]
; %bb.203:
	v_add_co_u32_e32 v2, vcc, v17, v20
	v_addc_co_u32_e32 v3, vcc, 0, v4, vcc
; %bb.204:
	s_or_b64 exec, exec, s[6:7]
	v_lshlrev_b64 v[2:3], 2, v[2:3]
	s_waitcnt lgkmcnt(1)
	v_mov_b32_e32 v5, s23
	v_add_co_u32_e32 v2, vcc, s22, v2
	v_addc_co_u32_e32 v3, vcc, v5, v3, vcc
	global_store_dword v[2:3], v6, off
.LBB596_205:
	s_or_b64 exec, exec, s[4:5]
	v_cmp_gt_u32_e32 vcc, s33, v19
                                        ; implicit-def: $vgpr2_vgpr3
	s_and_saveexec_b64 s[4:5], vcc
	s_cbranch_execz .LBB596_211
; %bb.206:
	v_cmp_ge_u32_e32 vcc, v19, v1
                                        ; implicit-def: $vgpr2_vgpr3
	s_and_saveexec_b64 s[6:7], vcc
	s_xor_b64 s[6:7], exec, s[6:7]
; %bb.207:
	v_xor_b32_e32 v0, 0xfffff3ff, v0
	v_ashrrev_i32_e32 v3, 31, v0
	v_add_co_u32_e32 v2, vcc, v25, v0
	v_addc_co_u32_e32 v3, vcc, v31, v3, vcc
                                        ; implicit-def: $vgpr19
; %bb.208:
	s_andn2_saveexec_b64 s[6:7], s[6:7]
; %bb.209:
	v_add_co_u32_e32 v2, vcc, v17, v19
	v_addc_co_u32_e32 v3, vcc, 0, v4, vcc
; %bb.210:
	s_or_b64 exec, exec, s[6:7]
	s_or_b64 s[2:3], s[2:3], exec
.LBB596_211:
	s_or_b64 exec, exec, s[4:5]
	s_and_saveexec_b64 s[4:5], s[2:3]
	s_cbranch_execnz .LBB596_130
.LBB596_212:
	s_or_b64 exec, exec, s[4:5]
	s_and_b64 s[0:1], s[0:1], s[26:27]
	s_and_saveexec_b64 s[2:3], s[0:1]
	s_cbranch_execz .LBB596_131
.LBB596_213:
	v_add_co_u32_e32 v0, vcc, v17, v1
	v_mov_b32_e32 v2, 0
	v_addc_co_u32_e32 v1, vcc, 0, v4, vcc
	global_store_dwordx2 v2, v[0:1], s[24:25]
	s_endpgm
	.section	.rodata,"a",@progbits
	.p2align	6, 0x0
	.amdhsa_kernel _ZN7rocprim17ROCPRIM_400000_NS6detail17trampoline_kernelINS0_13select_configILj256ELj13ELNS0_17block_load_methodE3ELS4_3ELS4_3ELNS0_20block_scan_algorithmE0ELj4294967295EEENS1_25partition_config_selectorILNS1_17partition_subalgoE3EjNS0_10empty_typeEbEEZZNS1_14partition_implILS8_3ELb0ES6_jNS0_17counting_iteratorIjlEEPS9_SE_NS0_5tupleIJPjSE_EEENSF_IJSE_SE_EEES9_SG_JZNS1_25segmented_radix_sort_implINS0_14default_configELb0EPKiPiPKlPlN2at6native12_GLOBAL__N_18offset_tEEE10hipError_tPvRmT1_PNSt15iterator_traitsISY_E10value_typeET2_T3_PNSZ_IS14_E10value_typeET4_jRbjT5_S1A_jjP12ihipStream_tbEUljE_EEESV_SW_SX_S14_S18_S1A_T6_T7_T9_mT8_S1C_bDpT10_ENKUlT_T0_E_clISt17integral_constantIbLb0EES1O_IbLb1EEEEDaS1K_S1L_EUlS1K_E_NS1_11comp_targetILNS1_3genE2ELNS1_11target_archE906ELNS1_3gpuE6ELNS1_3repE0EEENS1_30default_config_static_selectorELNS0_4arch9wavefront6targetE1EEEvSY_
		.amdhsa_group_segment_fixed_size 13320
		.amdhsa_private_segment_fixed_size 0
		.amdhsa_kernarg_size 152
		.amdhsa_user_sgpr_count 6
		.amdhsa_user_sgpr_private_segment_buffer 1
		.amdhsa_user_sgpr_dispatch_ptr 0
		.amdhsa_user_sgpr_queue_ptr 0
		.amdhsa_user_sgpr_kernarg_segment_ptr 1
		.amdhsa_user_sgpr_dispatch_id 0
		.amdhsa_user_sgpr_flat_scratch_init 0
		.amdhsa_user_sgpr_private_segment_size 0
		.amdhsa_uses_dynamic_stack 0
		.amdhsa_system_sgpr_private_segment_wavefront_offset 0
		.amdhsa_system_sgpr_workgroup_id_x 1
		.amdhsa_system_sgpr_workgroup_id_y 0
		.amdhsa_system_sgpr_workgroup_id_z 0
		.amdhsa_system_sgpr_workgroup_info 0
		.amdhsa_system_vgpr_workitem_id 0
		.amdhsa_next_free_vgpr 71
		.amdhsa_next_free_sgpr 98
		.amdhsa_reserve_vcc 1
		.amdhsa_reserve_flat_scratch 0
		.amdhsa_float_round_mode_32 0
		.amdhsa_float_round_mode_16_64 0
		.amdhsa_float_denorm_mode_32 3
		.amdhsa_float_denorm_mode_16_64 3
		.amdhsa_dx10_clamp 1
		.amdhsa_ieee_mode 1
		.amdhsa_fp16_overflow 0
		.amdhsa_exception_fp_ieee_invalid_op 0
		.amdhsa_exception_fp_denorm_src 0
		.amdhsa_exception_fp_ieee_div_zero 0
		.amdhsa_exception_fp_ieee_overflow 0
		.amdhsa_exception_fp_ieee_underflow 0
		.amdhsa_exception_fp_ieee_inexact 0
		.amdhsa_exception_int_div_zero 0
	.end_amdhsa_kernel
	.section	.text._ZN7rocprim17ROCPRIM_400000_NS6detail17trampoline_kernelINS0_13select_configILj256ELj13ELNS0_17block_load_methodE3ELS4_3ELS4_3ELNS0_20block_scan_algorithmE0ELj4294967295EEENS1_25partition_config_selectorILNS1_17partition_subalgoE3EjNS0_10empty_typeEbEEZZNS1_14partition_implILS8_3ELb0ES6_jNS0_17counting_iteratorIjlEEPS9_SE_NS0_5tupleIJPjSE_EEENSF_IJSE_SE_EEES9_SG_JZNS1_25segmented_radix_sort_implINS0_14default_configELb0EPKiPiPKlPlN2at6native12_GLOBAL__N_18offset_tEEE10hipError_tPvRmT1_PNSt15iterator_traitsISY_E10value_typeET2_T3_PNSZ_IS14_E10value_typeET4_jRbjT5_S1A_jjP12ihipStream_tbEUljE_EEESV_SW_SX_S14_S18_S1A_T6_T7_T9_mT8_S1C_bDpT10_ENKUlT_T0_E_clISt17integral_constantIbLb0EES1O_IbLb1EEEEDaS1K_S1L_EUlS1K_E_NS1_11comp_targetILNS1_3genE2ELNS1_11target_archE906ELNS1_3gpuE6ELNS1_3repE0EEENS1_30default_config_static_selectorELNS0_4arch9wavefront6targetE1EEEvSY_,"axG",@progbits,_ZN7rocprim17ROCPRIM_400000_NS6detail17trampoline_kernelINS0_13select_configILj256ELj13ELNS0_17block_load_methodE3ELS4_3ELS4_3ELNS0_20block_scan_algorithmE0ELj4294967295EEENS1_25partition_config_selectorILNS1_17partition_subalgoE3EjNS0_10empty_typeEbEEZZNS1_14partition_implILS8_3ELb0ES6_jNS0_17counting_iteratorIjlEEPS9_SE_NS0_5tupleIJPjSE_EEENSF_IJSE_SE_EEES9_SG_JZNS1_25segmented_radix_sort_implINS0_14default_configELb0EPKiPiPKlPlN2at6native12_GLOBAL__N_18offset_tEEE10hipError_tPvRmT1_PNSt15iterator_traitsISY_E10value_typeET2_T3_PNSZ_IS14_E10value_typeET4_jRbjT5_S1A_jjP12ihipStream_tbEUljE_EEESV_SW_SX_S14_S18_S1A_T6_T7_T9_mT8_S1C_bDpT10_ENKUlT_T0_E_clISt17integral_constantIbLb0EES1O_IbLb1EEEEDaS1K_S1L_EUlS1K_E_NS1_11comp_targetILNS1_3genE2ELNS1_11target_archE906ELNS1_3gpuE6ELNS1_3repE0EEENS1_30default_config_static_selectorELNS0_4arch9wavefront6targetE1EEEvSY_,comdat
.Lfunc_end596:
	.size	_ZN7rocprim17ROCPRIM_400000_NS6detail17trampoline_kernelINS0_13select_configILj256ELj13ELNS0_17block_load_methodE3ELS4_3ELS4_3ELNS0_20block_scan_algorithmE0ELj4294967295EEENS1_25partition_config_selectorILNS1_17partition_subalgoE3EjNS0_10empty_typeEbEEZZNS1_14partition_implILS8_3ELb0ES6_jNS0_17counting_iteratorIjlEEPS9_SE_NS0_5tupleIJPjSE_EEENSF_IJSE_SE_EEES9_SG_JZNS1_25segmented_radix_sort_implINS0_14default_configELb0EPKiPiPKlPlN2at6native12_GLOBAL__N_18offset_tEEE10hipError_tPvRmT1_PNSt15iterator_traitsISY_E10value_typeET2_T3_PNSZ_IS14_E10value_typeET4_jRbjT5_S1A_jjP12ihipStream_tbEUljE_EEESV_SW_SX_S14_S18_S1A_T6_T7_T9_mT8_S1C_bDpT10_ENKUlT_T0_E_clISt17integral_constantIbLb0EES1O_IbLb1EEEEDaS1K_S1L_EUlS1K_E_NS1_11comp_targetILNS1_3genE2ELNS1_11target_archE906ELNS1_3gpuE6ELNS1_3repE0EEENS1_30default_config_static_selectorELNS0_4arch9wavefront6targetE1EEEvSY_, .Lfunc_end596-_ZN7rocprim17ROCPRIM_400000_NS6detail17trampoline_kernelINS0_13select_configILj256ELj13ELNS0_17block_load_methodE3ELS4_3ELS4_3ELNS0_20block_scan_algorithmE0ELj4294967295EEENS1_25partition_config_selectorILNS1_17partition_subalgoE3EjNS0_10empty_typeEbEEZZNS1_14partition_implILS8_3ELb0ES6_jNS0_17counting_iteratorIjlEEPS9_SE_NS0_5tupleIJPjSE_EEENSF_IJSE_SE_EEES9_SG_JZNS1_25segmented_radix_sort_implINS0_14default_configELb0EPKiPiPKlPlN2at6native12_GLOBAL__N_18offset_tEEE10hipError_tPvRmT1_PNSt15iterator_traitsISY_E10value_typeET2_T3_PNSZ_IS14_E10value_typeET4_jRbjT5_S1A_jjP12ihipStream_tbEUljE_EEESV_SW_SX_S14_S18_S1A_T6_T7_T9_mT8_S1C_bDpT10_ENKUlT_T0_E_clISt17integral_constantIbLb0EES1O_IbLb1EEEEDaS1K_S1L_EUlS1K_E_NS1_11comp_targetILNS1_3genE2ELNS1_11target_archE906ELNS1_3gpuE6ELNS1_3repE0EEENS1_30default_config_static_selectorELNS0_4arch9wavefront6targetE1EEEvSY_
                                        ; -- End function
	.set _ZN7rocprim17ROCPRIM_400000_NS6detail17trampoline_kernelINS0_13select_configILj256ELj13ELNS0_17block_load_methodE3ELS4_3ELS4_3ELNS0_20block_scan_algorithmE0ELj4294967295EEENS1_25partition_config_selectorILNS1_17partition_subalgoE3EjNS0_10empty_typeEbEEZZNS1_14partition_implILS8_3ELb0ES6_jNS0_17counting_iteratorIjlEEPS9_SE_NS0_5tupleIJPjSE_EEENSF_IJSE_SE_EEES9_SG_JZNS1_25segmented_radix_sort_implINS0_14default_configELb0EPKiPiPKlPlN2at6native12_GLOBAL__N_18offset_tEEE10hipError_tPvRmT1_PNSt15iterator_traitsISY_E10value_typeET2_T3_PNSZ_IS14_E10value_typeET4_jRbjT5_S1A_jjP12ihipStream_tbEUljE_EEESV_SW_SX_S14_S18_S1A_T6_T7_T9_mT8_S1C_bDpT10_ENKUlT_T0_E_clISt17integral_constantIbLb0EES1O_IbLb1EEEEDaS1K_S1L_EUlS1K_E_NS1_11comp_targetILNS1_3genE2ELNS1_11target_archE906ELNS1_3gpuE6ELNS1_3repE0EEENS1_30default_config_static_selectorELNS0_4arch9wavefront6targetE1EEEvSY_.num_vgpr, 71
	.set _ZN7rocprim17ROCPRIM_400000_NS6detail17trampoline_kernelINS0_13select_configILj256ELj13ELNS0_17block_load_methodE3ELS4_3ELS4_3ELNS0_20block_scan_algorithmE0ELj4294967295EEENS1_25partition_config_selectorILNS1_17partition_subalgoE3EjNS0_10empty_typeEbEEZZNS1_14partition_implILS8_3ELb0ES6_jNS0_17counting_iteratorIjlEEPS9_SE_NS0_5tupleIJPjSE_EEENSF_IJSE_SE_EEES9_SG_JZNS1_25segmented_radix_sort_implINS0_14default_configELb0EPKiPiPKlPlN2at6native12_GLOBAL__N_18offset_tEEE10hipError_tPvRmT1_PNSt15iterator_traitsISY_E10value_typeET2_T3_PNSZ_IS14_E10value_typeET4_jRbjT5_S1A_jjP12ihipStream_tbEUljE_EEESV_SW_SX_S14_S18_S1A_T6_T7_T9_mT8_S1C_bDpT10_ENKUlT_T0_E_clISt17integral_constantIbLb0EES1O_IbLb1EEEEDaS1K_S1L_EUlS1K_E_NS1_11comp_targetILNS1_3genE2ELNS1_11target_archE906ELNS1_3gpuE6ELNS1_3repE0EEENS1_30default_config_static_selectorELNS0_4arch9wavefront6targetE1EEEvSY_.num_agpr, 0
	.set _ZN7rocprim17ROCPRIM_400000_NS6detail17trampoline_kernelINS0_13select_configILj256ELj13ELNS0_17block_load_methodE3ELS4_3ELS4_3ELNS0_20block_scan_algorithmE0ELj4294967295EEENS1_25partition_config_selectorILNS1_17partition_subalgoE3EjNS0_10empty_typeEbEEZZNS1_14partition_implILS8_3ELb0ES6_jNS0_17counting_iteratorIjlEEPS9_SE_NS0_5tupleIJPjSE_EEENSF_IJSE_SE_EEES9_SG_JZNS1_25segmented_radix_sort_implINS0_14default_configELb0EPKiPiPKlPlN2at6native12_GLOBAL__N_18offset_tEEE10hipError_tPvRmT1_PNSt15iterator_traitsISY_E10value_typeET2_T3_PNSZ_IS14_E10value_typeET4_jRbjT5_S1A_jjP12ihipStream_tbEUljE_EEESV_SW_SX_S14_S18_S1A_T6_T7_T9_mT8_S1C_bDpT10_ENKUlT_T0_E_clISt17integral_constantIbLb0EES1O_IbLb1EEEEDaS1K_S1L_EUlS1K_E_NS1_11comp_targetILNS1_3genE2ELNS1_11target_archE906ELNS1_3gpuE6ELNS1_3repE0EEENS1_30default_config_static_selectorELNS0_4arch9wavefront6targetE1EEEvSY_.numbered_sgpr, 46
	.set _ZN7rocprim17ROCPRIM_400000_NS6detail17trampoline_kernelINS0_13select_configILj256ELj13ELNS0_17block_load_methodE3ELS4_3ELS4_3ELNS0_20block_scan_algorithmE0ELj4294967295EEENS1_25partition_config_selectorILNS1_17partition_subalgoE3EjNS0_10empty_typeEbEEZZNS1_14partition_implILS8_3ELb0ES6_jNS0_17counting_iteratorIjlEEPS9_SE_NS0_5tupleIJPjSE_EEENSF_IJSE_SE_EEES9_SG_JZNS1_25segmented_radix_sort_implINS0_14default_configELb0EPKiPiPKlPlN2at6native12_GLOBAL__N_18offset_tEEE10hipError_tPvRmT1_PNSt15iterator_traitsISY_E10value_typeET2_T3_PNSZ_IS14_E10value_typeET4_jRbjT5_S1A_jjP12ihipStream_tbEUljE_EEESV_SW_SX_S14_S18_S1A_T6_T7_T9_mT8_S1C_bDpT10_ENKUlT_T0_E_clISt17integral_constantIbLb0EES1O_IbLb1EEEEDaS1K_S1L_EUlS1K_E_NS1_11comp_targetILNS1_3genE2ELNS1_11target_archE906ELNS1_3gpuE6ELNS1_3repE0EEENS1_30default_config_static_selectorELNS0_4arch9wavefront6targetE1EEEvSY_.num_named_barrier, 0
	.set _ZN7rocprim17ROCPRIM_400000_NS6detail17trampoline_kernelINS0_13select_configILj256ELj13ELNS0_17block_load_methodE3ELS4_3ELS4_3ELNS0_20block_scan_algorithmE0ELj4294967295EEENS1_25partition_config_selectorILNS1_17partition_subalgoE3EjNS0_10empty_typeEbEEZZNS1_14partition_implILS8_3ELb0ES6_jNS0_17counting_iteratorIjlEEPS9_SE_NS0_5tupleIJPjSE_EEENSF_IJSE_SE_EEES9_SG_JZNS1_25segmented_radix_sort_implINS0_14default_configELb0EPKiPiPKlPlN2at6native12_GLOBAL__N_18offset_tEEE10hipError_tPvRmT1_PNSt15iterator_traitsISY_E10value_typeET2_T3_PNSZ_IS14_E10value_typeET4_jRbjT5_S1A_jjP12ihipStream_tbEUljE_EEESV_SW_SX_S14_S18_S1A_T6_T7_T9_mT8_S1C_bDpT10_ENKUlT_T0_E_clISt17integral_constantIbLb0EES1O_IbLb1EEEEDaS1K_S1L_EUlS1K_E_NS1_11comp_targetILNS1_3genE2ELNS1_11target_archE906ELNS1_3gpuE6ELNS1_3repE0EEENS1_30default_config_static_selectorELNS0_4arch9wavefront6targetE1EEEvSY_.private_seg_size, 0
	.set _ZN7rocprim17ROCPRIM_400000_NS6detail17trampoline_kernelINS0_13select_configILj256ELj13ELNS0_17block_load_methodE3ELS4_3ELS4_3ELNS0_20block_scan_algorithmE0ELj4294967295EEENS1_25partition_config_selectorILNS1_17partition_subalgoE3EjNS0_10empty_typeEbEEZZNS1_14partition_implILS8_3ELb0ES6_jNS0_17counting_iteratorIjlEEPS9_SE_NS0_5tupleIJPjSE_EEENSF_IJSE_SE_EEES9_SG_JZNS1_25segmented_radix_sort_implINS0_14default_configELb0EPKiPiPKlPlN2at6native12_GLOBAL__N_18offset_tEEE10hipError_tPvRmT1_PNSt15iterator_traitsISY_E10value_typeET2_T3_PNSZ_IS14_E10value_typeET4_jRbjT5_S1A_jjP12ihipStream_tbEUljE_EEESV_SW_SX_S14_S18_S1A_T6_T7_T9_mT8_S1C_bDpT10_ENKUlT_T0_E_clISt17integral_constantIbLb0EES1O_IbLb1EEEEDaS1K_S1L_EUlS1K_E_NS1_11comp_targetILNS1_3genE2ELNS1_11target_archE906ELNS1_3gpuE6ELNS1_3repE0EEENS1_30default_config_static_selectorELNS0_4arch9wavefront6targetE1EEEvSY_.uses_vcc, 1
	.set _ZN7rocprim17ROCPRIM_400000_NS6detail17trampoline_kernelINS0_13select_configILj256ELj13ELNS0_17block_load_methodE3ELS4_3ELS4_3ELNS0_20block_scan_algorithmE0ELj4294967295EEENS1_25partition_config_selectorILNS1_17partition_subalgoE3EjNS0_10empty_typeEbEEZZNS1_14partition_implILS8_3ELb0ES6_jNS0_17counting_iteratorIjlEEPS9_SE_NS0_5tupleIJPjSE_EEENSF_IJSE_SE_EEES9_SG_JZNS1_25segmented_radix_sort_implINS0_14default_configELb0EPKiPiPKlPlN2at6native12_GLOBAL__N_18offset_tEEE10hipError_tPvRmT1_PNSt15iterator_traitsISY_E10value_typeET2_T3_PNSZ_IS14_E10value_typeET4_jRbjT5_S1A_jjP12ihipStream_tbEUljE_EEESV_SW_SX_S14_S18_S1A_T6_T7_T9_mT8_S1C_bDpT10_ENKUlT_T0_E_clISt17integral_constantIbLb0EES1O_IbLb1EEEEDaS1K_S1L_EUlS1K_E_NS1_11comp_targetILNS1_3genE2ELNS1_11target_archE906ELNS1_3gpuE6ELNS1_3repE0EEENS1_30default_config_static_selectorELNS0_4arch9wavefront6targetE1EEEvSY_.uses_flat_scratch, 0
	.set _ZN7rocprim17ROCPRIM_400000_NS6detail17trampoline_kernelINS0_13select_configILj256ELj13ELNS0_17block_load_methodE3ELS4_3ELS4_3ELNS0_20block_scan_algorithmE0ELj4294967295EEENS1_25partition_config_selectorILNS1_17partition_subalgoE3EjNS0_10empty_typeEbEEZZNS1_14partition_implILS8_3ELb0ES6_jNS0_17counting_iteratorIjlEEPS9_SE_NS0_5tupleIJPjSE_EEENSF_IJSE_SE_EEES9_SG_JZNS1_25segmented_radix_sort_implINS0_14default_configELb0EPKiPiPKlPlN2at6native12_GLOBAL__N_18offset_tEEE10hipError_tPvRmT1_PNSt15iterator_traitsISY_E10value_typeET2_T3_PNSZ_IS14_E10value_typeET4_jRbjT5_S1A_jjP12ihipStream_tbEUljE_EEESV_SW_SX_S14_S18_S1A_T6_T7_T9_mT8_S1C_bDpT10_ENKUlT_T0_E_clISt17integral_constantIbLb0EES1O_IbLb1EEEEDaS1K_S1L_EUlS1K_E_NS1_11comp_targetILNS1_3genE2ELNS1_11target_archE906ELNS1_3gpuE6ELNS1_3repE0EEENS1_30default_config_static_selectorELNS0_4arch9wavefront6targetE1EEEvSY_.has_dyn_sized_stack, 0
	.set _ZN7rocprim17ROCPRIM_400000_NS6detail17trampoline_kernelINS0_13select_configILj256ELj13ELNS0_17block_load_methodE3ELS4_3ELS4_3ELNS0_20block_scan_algorithmE0ELj4294967295EEENS1_25partition_config_selectorILNS1_17partition_subalgoE3EjNS0_10empty_typeEbEEZZNS1_14partition_implILS8_3ELb0ES6_jNS0_17counting_iteratorIjlEEPS9_SE_NS0_5tupleIJPjSE_EEENSF_IJSE_SE_EEES9_SG_JZNS1_25segmented_radix_sort_implINS0_14default_configELb0EPKiPiPKlPlN2at6native12_GLOBAL__N_18offset_tEEE10hipError_tPvRmT1_PNSt15iterator_traitsISY_E10value_typeET2_T3_PNSZ_IS14_E10value_typeET4_jRbjT5_S1A_jjP12ihipStream_tbEUljE_EEESV_SW_SX_S14_S18_S1A_T6_T7_T9_mT8_S1C_bDpT10_ENKUlT_T0_E_clISt17integral_constantIbLb0EES1O_IbLb1EEEEDaS1K_S1L_EUlS1K_E_NS1_11comp_targetILNS1_3genE2ELNS1_11target_archE906ELNS1_3gpuE6ELNS1_3repE0EEENS1_30default_config_static_selectorELNS0_4arch9wavefront6targetE1EEEvSY_.has_recursion, 0
	.set _ZN7rocprim17ROCPRIM_400000_NS6detail17trampoline_kernelINS0_13select_configILj256ELj13ELNS0_17block_load_methodE3ELS4_3ELS4_3ELNS0_20block_scan_algorithmE0ELj4294967295EEENS1_25partition_config_selectorILNS1_17partition_subalgoE3EjNS0_10empty_typeEbEEZZNS1_14partition_implILS8_3ELb0ES6_jNS0_17counting_iteratorIjlEEPS9_SE_NS0_5tupleIJPjSE_EEENSF_IJSE_SE_EEES9_SG_JZNS1_25segmented_radix_sort_implINS0_14default_configELb0EPKiPiPKlPlN2at6native12_GLOBAL__N_18offset_tEEE10hipError_tPvRmT1_PNSt15iterator_traitsISY_E10value_typeET2_T3_PNSZ_IS14_E10value_typeET4_jRbjT5_S1A_jjP12ihipStream_tbEUljE_EEESV_SW_SX_S14_S18_S1A_T6_T7_T9_mT8_S1C_bDpT10_ENKUlT_T0_E_clISt17integral_constantIbLb0EES1O_IbLb1EEEEDaS1K_S1L_EUlS1K_E_NS1_11comp_targetILNS1_3genE2ELNS1_11target_archE906ELNS1_3gpuE6ELNS1_3repE0EEENS1_30default_config_static_selectorELNS0_4arch9wavefront6targetE1EEEvSY_.has_indirect_call, 0
	.section	.AMDGPU.csdata,"",@progbits
; Kernel info:
; codeLenInByte = 7548
; TotalNumSgprs: 50
; NumVgprs: 71
; ScratchSize: 0
; MemoryBound: 0
; FloatMode: 240
; IeeeMode: 1
; LDSByteSize: 13320 bytes/workgroup (compile time only)
; SGPRBlocks: 12
; VGPRBlocks: 17
; NumSGPRsForWavesPerEU: 102
; NumVGPRsForWavesPerEU: 71
; Occupancy: 3
; WaveLimiterHint : 0
; COMPUTE_PGM_RSRC2:SCRATCH_EN: 0
; COMPUTE_PGM_RSRC2:USER_SGPR: 6
; COMPUTE_PGM_RSRC2:TRAP_HANDLER: 0
; COMPUTE_PGM_RSRC2:TGID_X_EN: 1
; COMPUTE_PGM_RSRC2:TGID_Y_EN: 0
; COMPUTE_PGM_RSRC2:TGID_Z_EN: 0
; COMPUTE_PGM_RSRC2:TIDIG_COMP_CNT: 0
	.section	.text._ZN7rocprim17ROCPRIM_400000_NS6detail17trampoline_kernelINS0_13select_configILj256ELj13ELNS0_17block_load_methodE3ELS4_3ELS4_3ELNS0_20block_scan_algorithmE0ELj4294967295EEENS1_25partition_config_selectorILNS1_17partition_subalgoE3EjNS0_10empty_typeEbEEZZNS1_14partition_implILS8_3ELb0ES6_jNS0_17counting_iteratorIjlEEPS9_SE_NS0_5tupleIJPjSE_EEENSF_IJSE_SE_EEES9_SG_JZNS1_25segmented_radix_sort_implINS0_14default_configELb0EPKiPiPKlPlN2at6native12_GLOBAL__N_18offset_tEEE10hipError_tPvRmT1_PNSt15iterator_traitsISY_E10value_typeET2_T3_PNSZ_IS14_E10value_typeET4_jRbjT5_S1A_jjP12ihipStream_tbEUljE_EEESV_SW_SX_S14_S18_S1A_T6_T7_T9_mT8_S1C_bDpT10_ENKUlT_T0_E_clISt17integral_constantIbLb0EES1O_IbLb1EEEEDaS1K_S1L_EUlS1K_E_NS1_11comp_targetILNS1_3genE10ELNS1_11target_archE1200ELNS1_3gpuE4ELNS1_3repE0EEENS1_30default_config_static_selectorELNS0_4arch9wavefront6targetE1EEEvSY_,"axG",@progbits,_ZN7rocprim17ROCPRIM_400000_NS6detail17trampoline_kernelINS0_13select_configILj256ELj13ELNS0_17block_load_methodE3ELS4_3ELS4_3ELNS0_20block_scan_algorithmE0ELj4294967295EEENS1_25partition_config_selectorILNS1_17partition_subalgoE3EjNS0_10empty_typeEbEEZZNS1_14partition_implILS8_3ELb0ES6_jNS0_17counting_iteratorIjlEEPS9_SE_NS0_5tupleIJPjSE_EEENSF_IJSE_SE_EEES9_SG_JZNS1_25segmented_radix_sort_implINS0_14default_configELb0EPKiPiPKlPlN2at6native12_GLOBAL__N_18offset_tEEE10hipError_tPvRmT1_PNSt15iterator_traitsISY_E10value_typeET2_T3_PNSZ_IS14_E10value_typeET4_jRbjT5_S1A_jjP12ihipStream_tbEUljE_EEESV_SW_SX_S14_S18_S1A_T6_T7_T9_mT8_S1C_bDpT10_ENKUlT_T0_E_clISt17integral_constantIbLb0EES1O_IbLb1EEEEDaS1K_S1L_EUlS1K_E_NS1_11comp_targetILNS1_3genE10ELNS1_11target_archE1200ELNS1_3gpuE4ELNS1_3repE0EEENS1_30default_config_static_selectorELNS0_4arch9wavefront6targetE1EEEvSY_,comdat
	.globl	_ZN7rocprim17ROCPRIM_400000_NS6detail17trampoline_kernelINS0_13select_configILj256ELj13ELNS0_17block_load_methodE3ELS4_3ELS4_3ELNS0_20block_scan_algorithmE0ELj4294967295EEENS1_25partition_config_selectorILNS1_17partition_subalgoE3EjNS0_10empty_typeEbEEZZNS1_14partition_implILS8_3ELb0ES6_jNS0_17counting_iteratorIjlEEPS9_SE_NS0_5tupleIJPjSE_EEENSF_IJSE_SE_EEES9_SG_JZNS1_25segmented_radix_sort_implINS0_14default_configELb0EPKiPiPKlPlN2at6native12_GLOBAL__N_18offset_tEEE10hipError_tPvRmT1_PNSt15iterator_traitsISY_E10value_typeET2_T3_PNSZ_IS14_E10value_typeET4_jRbjT5_S1A_jjP12ihipStream_tbEUljE_EEESV_SW_SX_S14_S18_S1A_T6_T7_T9_mT8_S1C_bDpT10_ENKUlT_T0_E_clISt17integral_constantIbLb0EES1O_IbLb1EEEEDaS1K_S1L_EUlS1K_E_NS1_11comp_targetILNS1_3genE10ELNS1_11target_archE1200ELNS1_3gpuE4ELNS1_3repE0EEENS1_30default_config_static_selectorELNS0_4arch9wavefront6targetE1EEEvSY_ ; -- Begin function _ZN7rocprim17ROCPRIM_400000_NS6detail17trampoline_kernelINS0_13select_configILj256ELj13ELNS0_17block_load_methodE3ELS4_3ELS4_3ELNS0_20block_scan_algorithmE0ELj4294967295EEENS1_25partition_config_selectorILNS1_17partition_subalgoE3EjNS0_10empty_typeEbEEZZNS1_14partition_implILS8_3ELb0ES6_jNS0_17counting_iteratorIjlEEPS9_SE_NS0_5tupleIJPjSE_EEENSF_IJSE_SE_EEES9_SG_JZNS1_25segmented_radix_sort_implINS0_14default_configELb0EPKiPiPKlPlN2at6native12_GLOBAL__N_18offset_tEEE10hipError_tPvRmT1_PNSt15iterator_traitsISY_E10value_typeET2_T3_PNSZ_IS14_E10value_typeET4_jRbjT5_S1A_jjP12ihipStream_tbEUljE_EEESV_SW_SX_S14_S18_S1A_T6_T7_T9_mT8_S1C_bDpT10_ENKUlT_T0_E_clISt17integral_constantIbLb0EES1O_IbLb1EEEEDaS1K_S1L_EUlS1K_E_NS1_11comp_targetILNS1_3genE10ELNS1_11target_archE1200ELNS1_3gpuE4ELNS1_3repE0EEENS1_30default_config_static_selectorELNS0_4arch9wavefront6targetE1EEEvSY_
	.p2align	8
	.type	_ZN7rocprim17ROCPRIM_400000_NS6detail17trampoline_kernelINS0_13select_configILj256ELj13ELNS0_17block_load_methodE3ELS4_3ELS4_3ELNS0_20block_scan_algorithmE0ELj4294967295EEENS1_25partition_config_selectorILNS1_17partition_subalgoE3EjNS0_10empty_typeEbEEZZNS1_14partition_implILS8_3ELb0ES6_jNS0_17counting_iteratorIjlEEPS9_SE_NS0_5tupleIJPjSE_EEENSF_IJSE_SE_EEES9_SG_JZNS1_25segmented_radix_sort_implINS0_14default_configELb0EPKiPiPKlPlN2at6native12_GLOBAL__N_18offset_tEEE10hipError_tPvRmT1_PNSt15iterator_traitsISY_E10value_typeET2_T3_PNSZ_IS14_E10value_typeET4_jRbjT5_S1A_jjP12ihipStream_tbEUljE_EEESV_SW_SX_S14_S18_S1A_T6_T7_T9_mT8_S1C_bDpT10_ENKUlT_T0_E_clISt17integral_constantIbLb0EES1O_IbLb1EEEEDaS1K_S1L_EUlS1K_E_NS1_11comp_targetILNS1_3genE10ELNS1_11target_archE1200ELNS1_3gpuE4ELNS1_3repE0EEENS1_30default_config_static_selectorELNS0_4arch9wavefront6targetE1EEEvSY_,@function
_ZN7rocprim17ROCPRIM_400000_NS6detail17trampoline_kernelINS0_13select_configILj256ELj13ELNS0_17block_load_methodE3ELS4_3ELS4_3ELNS0_20block_scan_algorithmE0ELj4294967295EEENS1_25partition_config_selectorILNS1_17partition_subalgoE3EjNS0_10empty_typeEbEEZZNS1_14partition_implILS8_3ELb0ES6_jNS0_17counting_iteratorIjlEEPS9_SE_NS0_5tupleIJPjSE_EEENSF_IJSE_SE_EEES9_SG_JZNS1_25segmented_radix_sort_implINS0_14default_configELb0EPKiPiPKlPlN2at6native12_GLOBAL__N_18offset_tEEE10hipError_tPvRmT1_PNSt15iterator_traitsISY_E10value_typeET2_T3_PNSZ_IS14_E10value_typeET4_jRbjT5_S1A_jjP12ihipStream_tbEUljE_EEESV_SW_SX_S14_S18_S1A_T6_T7_T9_mT8_S1C_bDpT10_ENKUlT_T0_E_clISt17integral_constantIbLb0EES1O_IbLb1EEEEDaS1K_S1L_EUlS1K_E_NS1_11comp_targetILNS1_3genE10ELNS1_11target_archE1200ELNS1_3gpuE4ELNS1_3repE0EEENS1_30default_config_static_selectorELNS0_4arch9wavefront6targetE1EEEvSY_: ; @_ZN7rocprim17ROCPRIM_400000_NS6detail17trampoline_kernelINS0_13select_configILj256ELj13ELNS0_17block_load_methodE3ELS4_3ELS4_3ELNS0_20block_scan_algorithmE0ELj4294967295EEENS1_25partition_config_selectorILNS1_17partition_subalgoE3EjNS0_10empty_typeEbEEZZNS1_14partition_implILS8_3ELb0ES6_jNS0_17counting_iteratorIjlEEPS9_SE_NS0_5tupleIJPjSE_EEENSF_IJSE_SE_EEES9_SG_JZNS1_25segmented_radix_sort_implINS0_14default_configELb0EPKiPiPKlPlN2at6native12_GLOBAL__N_18offset_tEEE10hipError_tPvRmT1_PNSt15iterator_traitsISY_E10value_typeET2_T3_PNSZ_IS14_E10value_typeET4_jRbjT5_S1A_jjP12ihipStream_tbEUljE_EEESV_SW_SX_S14_S18_S1A_T6_T7_T9_mT8_S1C_bDpT10_ENKUlT_T0_E_clISt17integral_constantIbLb0EES1O_IbLb1EEEEDaS1K_S1L_EUlS1K_E_NS1_11comp_targetILNS1_3genE10ELNS1_11target_archE1200ELNS1_3gpuE4ELNS1_3repE0EEENS1_30default_config_static_selectorELNS0_4arch9wavefront6targetE1EEEvSY_
; %bb.0:
	.section	.rodata,"a",@progbits
	.p2align	6, 0x0
	.amdhsa_kernel _ZN7rocprim17ROCPRIM_400000_NS6detail17trampoline_kernelINS0_13select_configILj256ELj13ELNS0_17block_load_methodE3ELS4_3ELS4_3ELNS0_20block_scan_algorithmE0ELj4294967295EEENS1_25partition_config_selectorILNS1_17partition_subalgoE3EjNS0_10empty_typeEbEEZZNS1_14partition_implILS8_3ELb0ES6_jNS0_17counting_iteratorIjlEEPS9_SE_NS0_5tupleIJPjSE_EEENSF_IJSE_SE_EEES9_SG_JZNS1_25segmented_radix_sort_implINS0_14default_configELb0EPKiPiPKlPlN2at6native12_GLOBAL__N_18offset_tEEE10hipError_tPvRmT1_PNSt15iterator_traitsISY_E10value_typeET2_T3_PNSZ_IS14_E10value_typeET4_jRbjT5_S1A_jjP12ihipStream_tbEUljE_EEESV_SW_SX_S14_S18_S1A_T6_T7_T9_mT8_S1C_bDpT10_ENKUlT_T0_E_clISt17integral_constantIbLb0EES1O_IbLb1EEEEDaS1K_S1L_EUlS1K_E_NS1_11comp_targetILNS1_3genE10ELNS1_11target_archE1200ELNS1_3gpuE4ELNS1_3repE0EEENS1_30default_config_static_selectorELNS0_4arch9wavefront6targetE1EEEvSY_
		.amdhsa_group_segment_fixed_size 0
		.amdhsa_private_segment_fixed_size 0
		.amdhsa_kernarg_size 152
		.amdhsa_user_sgpr_count 6
		.amdhsa_user_sgpr_private_segment_buffer 1
		.amdhsa_user_sgpr_dispatch_ptr 0
		.amdhsa_user_sgpr_queue_ptr 0
		.amdhsa_user_sgpr_kernarg_segment_ptr 1
		.amdhsa_user_sgpr_dispatch_id 0
		.amdhsa_user_sgpr_flat_scratch_init 0
		.amdhsa_user_sgpr_private_segment_size 0
		.amdhsa_uses_dynamic_stack 0
		.amdhsa_system_sgpr_private_segment_wavefront_offset 0
		.amdhsa_system_sgpr_workgroup_id_x 1
		.amdhsa_system_sgpr_workgroup_id_y 0
		.amdhsa_system_sgpr_workgroup_id_z 0
		.amdhsa_system_sgpr_workgroup_info 0
		.amdhsa_system_vgpr_workitem_id 0
		.amdhsa_next_free_vgpr 1
		.amdhsa_next_free_sgpr 0
		.amdhsa_reserve_vcc 0
		.amdhsa_reserve_flat_scratch 0
		.amdhsa_float_round_mode_32 0
		.amdhsa_float_round_mode_16_64 0
		.amdhsa_float_denorm_mode_32 3
		.amdhsa_float_denorm_mode_16_64 3
		.amdhsa_dx10_clamp 1
		.amdhsa_ieee_mode 1
		.amdhsa_fp16_overflow 0
		.amdhsa_exception_fp_ieee_invalid_op 0
		.amdhsa_exception_fp_denorm_src 0
		.amdhsa_exception_fp_ieee_div_zero 0
		.amdhsa_exception_fp_ieee_overflow 0
		.amdhsa_exception_fp_ieee_underflow 0
		.amdhsa_exception_fp_ieee_inexact 0
		.amdhsa_exception_int_div_zero 0
	.end_amdhsa_kernel
	.section	.text._ZN7rocprim17ROCPRIM_400000_NS6detail17trampoline_kernelINS0_13select_configILj256ELj13ELNS0_17block_load_methodE3ELS4_3ELS4_3ELNS0_20block_scan_algorithmE0ELj4294967295EEENS1_25partition_config_selectorILNS1_17partition_subalgoE3EjNS0_10empty_typeEbEEZZNS1_14partition_implILS8_3ELb0ES6_jNS0_17counting_iteratorIjlEEPS9_SE_NS0_5tupleIJPjSE_EEENSF_IJSE_SE_EEES9_SG_JZNS1_25segmented_radix_sort_implINS0_14default_configELb0EPKiPiPKlPlN2at6native12_GLOBAL__N_18offset_tEEE10hipError_tPvRmT1_PNSt15iterator_traitsISY_E10value_typeET2_T3_PNSZ_IS14_E10value_typeET4_jRbjT5_S1A_jjP12ihipStream_tbEUljE_EEESV_SW_SX_S14_S18_S1A_T6_T7_T9_mT8_S1C_bDpT10_ENKUlT_T0_E_clISt17integral_constantIbLb0EES1O_IbLb1EEEEDaS1K_S1L_EUlS1K_E_NS1_11comp_targetILNS1_3genE10ELNS1_11target_archE1200ELNS1_3gpuE4ELNS1_3repE0EEENS1_30default_config_static_selectorELNS0_4arch9wavefront6targetE1EEEvSY_,"axG",@progbits,_ZN7rocprim17ROCPRIM_400000_NS6detail17trampoline_kernelINS0_13select_configILj256ELj13ELNS0_17block_load_methodE3ELS4_3ELS4_3ELNS0_20block_scan_algorithmE0ELj4294967295EEENS1_25partition_config_selectorILNS1_17partition_subalgoE3EjNS0_10empty_typeEbEEZZNS1_14partition_implILS8_3ELb0ES6_jNS0_17counting_iteratorIjlEEPS9_SE_NS0_5tupleIJPjSE_EEENSF_IJSE_SE_EEES9_SG_JZNS1_25segmented_radix_sort_implINS0_14default_configELb0EPKiPiPKlPlN2at6native12_GLOBAL__N_18offset_tEEE10hipError_tPvRmT1_PNSt15iterator_traitsISY_E10value_typeET2_T3_PNSZ_IS14_E10value_typeET4_jRbjT5_S1A_jjP12ihipStream_tbEUljE_EEESV_SW_SX_S14_S18_S1A_T6_T7_T9_mT8_S1C_bDpT10_ENKUlT_T0_E_clISt17integral_constantIbLb0EES1O_IbLb1EEEEDaS1K_S1L_EUlS1K_E_NS1_11comp_targetILNS1_3genE10ELNS1_11target_archE1200ELNS1_3gpuE4ELNS1_3repE0EEENS1_30default_config_static_selectorELNS0_4arch9wavefront6targetE1EEEvSY_,comdat
.Lfunc_end597:
	.size	_ZN7rocprim17ROCPRIM_400000_NS6detail17trampoline_kernelINS0_13select_configILj256ELj13ELNS0_17block_load_methodE3ELS4_3ELS4_3ELNS0_20block_scan_algorithmE0ELj4294967295EEENS1_25partition_config_selectorILNS1_17partition_subalgoE3EjNS0_10empty_typeEbEEZZNS1_14partition_implILS8_3ELb0ES6_jNS0_17counting_iteratorIjlEEPS9_SE_NS0_5tupleIJPjSE_EEENSF_IJSE_SE_EEES9_SG_JZNS1_25segmented_radix_sort_implINS0_14default_configELb0EPKiPiPKlPlN2at6native12_GLOBAL__N_18offset_tEEE10hipError_tPvRmT1_PNSt15iterator_traitsISY_E10value_typeET2_T3_PNSZ_IS14_E10value_typeET4_jRbjT5_S1A_jjP12ihipStream_tbEUljE_EEESV_SW_SX_S14_S18_S1A_T6_T7_T9_mT8_S1C_bDpT10_ENKUlT_T0_E_clISt17integral_constantIbLb0EES1O_IbLb1EEEEDaS1K_S1L_EUlS1K_E_NS1_11comp_targetILNS1_3genE10ELNS1_11target_archE1200ELNS1_3gpuE4ELNS1_3repE0EEENS1_30default_config_static_selectorELNS0_4arch9wavefront6targetE1EEEvSY_, .Lfunc_end597-_ZN7rocprim17ROCPRIM_400000_NS6detail17trampoline_kernelINS0_13select_configILj256ELj13ELNS0_17block_load_methodE3ELS4_3ELS4_3ELNS0_20block_scan_algorithmE0ELj4294967295EEENS1_25partition_config_selectorILNS1_17partition_subalgoE3EjNS0_10empty_typeEbEEZZNS1_14partition_implILS8_3ELb0ES6_jNS0_17counting_iteratorIjlEEPS9_SE_NS0_5tupleIJPjSE_EEENSF_IJSE_SE_EEES9_SG_JZNS1_25segmented_radix_sort_implINS0_14default_configELb0EPKiPiPKlPlN2at6native12_GLOBAL__N_18offset_tEEE10hipError_tPvRmT1_PNSt15iterator_traitsISY_E10value_typeET2_T3_PNSZ_IS14_E10value_typeET4_jRbjT5_S1A_jjP12ihipStream_tbEUljE_EEESV_SW_SX_S14_S18_S1A_T6_T7_T9_mT8_S1C_bDpT10_ENKUlT_T0_E_clISt17integral_constantIbLb0EES1O_IbLb1EEEEDaS1K_S1L_EUlS1K_E_NS1_11comp_targetILNS1_3genE10ELNS1_11target_archE1200ELNS1_3gpuE4ELNS1_3repE0EEENS1_30default_config_static_selectorELNS0_4arch9wavefront6targetE1EEEvSY_
                                        ; -- End function
	.set _ZN7rocprim17ROCPRIM_400000_NS6detail17trampoline_kernelINS0_13select_configILj256ELj13ELNS0_17block_load_methodE3ELS4_3ELS4_3ELNS0_20block_scan_algorithmE0ELj4294967295EEENS1_25partition_config_selectorILNS1_17partition_subalgoE3EjNS0_10empty_typeEbEEZZNS1_14partition_implILS8_3ELb0ES6_jNS0_17counting_iteratorIjlEEPS9_SE_NS0_5tupleIJPjSE_EEENSF_IJSE_SE_EEES9_SG_JZNS1_25segmented_radix_sort_implINS0_14default_configELb0EPKiPiPKlPlN2at6native12_GLOBAL__N_18offset_tEEE10hipError_tPvRmT1_PNSt15iterator_traitsISY_E10value_typeET2_T3_PNSZ_IS14_E10value_typeET4_jRbjT5_S1A_jjP12ihipStream_tbEUljE_EEESV_SW_SX_S14_S18_S1A_T6_T7_T9_mT8_S1C_bDpT10_ENKUlT_T0_E_clISt17integral_constantIbLb0EES1O_IbLb1EEEEDaS1K_S1L_EUlS1K_E_NS1_11comp_targetILNS1_3genE10ELNS1_11target_archE1200ELNS1_3gpuE4ELNS1_3repE0EEENS1_30default_config_static_selectorELNS0_4arch9wavefront6targetE1EEEvSY_.num_vgpr, 0
	.set _ZN7rocprim17ROCPRIM_400000_NS6detail17trampoline_kernelINS0_13select_configILj256ELj13ELNS0_17block_load_methodE3ELS4_3ELS4_3ELNS0_20block_scan_algorithmE0ELj4294967295EEENS1_25partition_config_selectorILNS1_17partition_subalgoE3EjNS0_10empty_typeEbEEZZNS1_14partition_implILS8_3ELb0ES6_jNS0_17counting_iteratorIjlEEPS9_SE_NS0_5tupleIJPjSE_EEENSF_IJSE_SE_EEES9_SG_JZNS1_25segmented_radix_sort_implINS0_14default_configELb0EPKiPiPKlPlN2at6native12_GLOBAL__N_18offset_tEEE10hipError_tPvRmT1_PNSt15iterator_traitsISY_E10value_typeET2_T3_PNSZ_IS14_E10value_typeET4_jRbjT5_S1A_jjP12ihipStream_tbEUljE_EEESV_SW_SX_S14_S18_S1A_T6_T7_T9_mT8_S1C_bDpT10_ENKUlT_T0_E_clISt17integral_constantIbLb0EES1O_IbLb1EEEEDaS1K_S1L_EUlS1K_E_NS1_11comp_targetILNS1_3genE10ELNS1_11target_archE1200ELNS1_3gpuE4ELNS1_3repE0EEENS1_30default_config_static_selectorELNS0_4arch9wavefront6targetE1EEEvSY_.num_agpr, 0
	.set _ZN7rocprim17ROCPRIM_400000_NS6detail17trampoline_kernelINS0_13select_configILj256ELj13ELNS0_17block_load_methodE3ELS4_3ELS4_3ELNS0_20block_scan_algorithmE0ELj4294967295EEENS1_25partition_config_selectorILNS1_17partition_subalgoE3EjNS0_10empty_typeEbEEZZNS1_14partition_implILS8_3ELb0ES6_jNS0_17counting_iteratorIjlEEPS9_SE_NS0_5tupleIJPjSE_EEENSF_IJSE_SE_EEES9_SG_JZNS1_25segmented_radix_sort_implINS0_14default_configELb0EPKiPiPKlPlN2at6native12_GLOBAL__N_18offset_tEEE10hipError_tPvRmT1_PNSt15iterator_traitsISY_E10value_typeET2_T3_PNSZ_IS14_E10value_typeET4_jRbjT5_S1A_jjP12ihipStream_tbEUljE_EEESV_SW_SX_S14_S18_S1A_T6_T7_T9_mT8_S1C_bDpT10_ENKUlT_T0_E_clISt17integral_constantIbLb0EES1O_IbLb1EEEEDaS1K_S1L_EUlS1K_E_NS1_11comp_targetILNS1_3genE10ELNS1_11target_archE1200ELNS1_3gpuE4ELNS1_3repE0EEENS1_30default_config_static_selectorELNS0_4arch9wavefront6targetE1EEEvSY_.numbered_sgpr, 0
	.set _ZN7rocprim17ROCPRIM_400000_NS6detail17trampoline_kernelINS0_13select_configILj256ELj13ELNS0_17block_load_methodE3ELS4_3ELS4_3ELNS0_20block_scan_algorithmE0ELj4294967295EEENS1_25partition_config_selectorILNS1_17partition_subalgoE3EjNS0_10empty_typeEbEEZZNS1_14partition_implILS8_3ELb0ES6_jNS0_17counting_iteratorIjlEEPS9_SE_NS0_5tupleIJPjSE_EEENSF_IJSE_SE_EEES9_SG_JZNS1_25segmented_radix_sort_implINS0_14default_configELb0EPKiPiPKlPlN2at6native12_GLOBAL__N_18offset_tEEE10hipError_tPvRmT1_PNSt15iterator_traitsISY_E10value_typeET2_T3_PNSZ_IS14_E10value_typeET4_jRbjT5_S1A_jjP12ihipStream_tbEUljE_EEESV_SW_SX_S14_S18_S1A_T6_T7_T9_mT8_S1C_bDpT10_ENKUlT_T0_E_clISt17integral_constantIbLb0EES1O_IbLb1EEEEDaS1K_S1L_EUlS1K_E_NS1_11comp_targetILNS1_3genE10ELNS1_11target_archE1200ELNS1_3gpuE4ELNS1_3repE0EEENS1_30default_config_static_selectorELNS0_4arch9wavefront6targetE1EEEvSY_.num_named_barrier, 0
	.set _ZN7rocprim17ROCPRIM_400000_NS6detail17trampoline_kernelINS0_13select_configILj256ELj13ELNS0_17block_load_methodE3ELS4_3ELS4_3ELNS0_20block_scan_algorithmE0ELj4294967295EEENS1_25partition_config_selectorILNS1_17partition_subalgoE3EjNS0_10empty_typeEbEEZZNS1_14partition_implILS8_3ELb0ES6_jNS0_17counting_iteratorIjlEEPS9_SE_NS0_5tupleIJPjSE_EEENSF_IJSE_SE_EEES9_SG_JZNS1_25segmented_radix_sort_implINS0_14default_configELb0EPKiPiPKlPlN2at6native12_GLOBAL__N_18offset_tEEE10hipError_tPvRmT1_PNSt15iterator_traitsISY_E10value_typeET2_T3_PNSZ_IS14_E10value_typeET4_jRbjT5_S1A_jjP12ihipStream_tbEUljE_EEESV_SW_SX_S14_S18_S1A_T6_T7_T9_mT8_S1C_bDpT10_ENKUlT_T0_E_clISt17integral_constantIbLb0EES1O_IbLb1EEEEDaS1K_S1L_EUlS1K_E_NS1_11comp_targetILNS1_3genE10ELNS1_11target_archE1200ELNS1_3gpuE4ELNS1_3repE0EEENS1_30default_config_static_selectorELNS0_4arch9wavefront6targetE1EEEvSY_.private_seg_size, 0
	.set _ZN7rocprim17ROCPRIM_400000_NS6detail17trampoline_kernelINS0_13select_configILj256ELj13ELNS0_17block_load_methodE3ELS4_3ELS4_3ELNS0_20block_scan_algorithmE0ELj4294967295EEENS1_25partition_config_selectorILNS1_17partition_subalgoE3EjNS0_10empty_typeEbEEZZNS1_14partition_implILS8_3ELb0ES6_jNS0_17counting_iteratorIjlEEPS9_SE_NS0_5tupleIJPjSE_EEENSF_IJSE_SE_EEES9_SG_JZNS1_25segmented_radix_sort_implINS0_14default_configELb0EPKiPiPKlPlN2at6native12_GLOBAL__N_18offset_tEEE10hipError_tPvRmT1_PNSt15iterator_traitsISY_E10value_typeET2_T3_PNSZ_IS14_E10value_typeET4_jRbjT5_S1A_jjP12ihipStream_tbEUljE_EEESV_SW_SX_S14_S18_S1A_T6_T7_T9_mT8_S1C_bDpT10_ENKUlT_T0_E_clISt17integral_constantIbLb0EES1O_IbLb1EEEEDaS1K_S1L_EUlS1K_E_NS1_11comp_targetILNS1_3genE10ELNS1_11target_archE1200ELNS1_3gpuE4ELNS1_3repE0EEENS1_30default_config_static_selectorELNS0_4arch9wavefront6targetE1EEEvSY_.uses_vcc, 0
	.set _ZN7rocprim17ROCPRIM_400000_NS6detail17trampoline_kernelINS0_13select_configILj256ELj13ELNS0_17block_load_methodE3ELS4_3ELS4_3ELNS0_20block_scan_algorithmE0ELj4294967295EEENS1_25partition_config_selectorILNS1_17partition_subalgoE3EjNS0_10empty_typeEbEEZZNS1_14partition_implILS8_3ELb0ES6_jNS0_17counting_iteratorIjlEEPS9_SE_NS0_5tupleIJPjSE_EEENSF_IJSE_SE_EEES9_SG_JZNS1_25segmented_radix_sort_implINS0_14default_configELb0EPKiPiPKlPlN2at6native12_GLOBAL__N_18offset_tEEE10hipError_tPvRmT1_PNSt15iterator_traitsISY_E10value_typeET2_T3_PNSZ_IS14_E10value_typeET4_jRbjT5_S1A_jjP12ihipStream_tbEUljE_EEESV_SW_SX_S14_S18_S1A_T6_T7_T9_mT8_S1C_bDpT10_ENKUlT_T0_E_clISt17integral_constantIbLb0EES1O_IbLb1EEEEDaS1K_S1L_EUlS1K_E_NS1_11comp_targetILNS1_3genE10ELNS1_11target_archE1200ELNS1_3gpuE4ELNS1_3repE0EEENS1_30default_config_static_selectorELNS0_4arch9wavefront6targetE1EEEvSY_.uses_flat_scratch, 0
	.set _ZN7rocprim17ROCPRIM_400000_NS6detail17trampoline_kernelINS0_13select_configILj256ELj13ELNS0_17block_load_methodE3ELS4_3ELS4_3ELNS0_20block_scan_algorithmE0ELj4294967295EEENS1_25partition_config_selectorILNS1_17partition_subalgoE3EjNS0_10empty_typeEbEEZZNS1_14partition_implILS8_3ELb0ES6_jNS0_17counting_iteratorIjlEEPS9_SE_NS0_5tupleIJPjSE_EEENSF_IJSE_SE_EEES9_SG_JZNS1_25segmented_radix_sort_implINS0_14default_configELb0EPKiPiPKlPlN2at6native12_GLOBAL__N_18offset_tEEE10hipError_tPvRmT1_PNSt15iterator_traitsISY_E10value_typeET2_T3_PNSZ_IS14_E10value_typeET4_jRbjT5_S1A_jjP12ihipStream_tbEUljE_EEESV_SW_SX_S14_S18_S1A_T6_T7_T9_mT8_S1C_bDpT10_ENKUlT_T0_E_clISt17integral_constantIbLb0EES1O_IbLb1EEEEDaS1K_S1L_EUlS1K_E_NS1_11comp_targetILNS1_3genE10ELNS1_11target_archE1200ELNS1_3gpuE4ELNS1_3repE0EEENS1_30default_config_static_selectorELNS0_4arch9wavefront6targetE1EEEvSY_.has_dyn_sized_stack, 0
	.set _ZN7rocprim17ROCPRIM_400000_NS6detail17trampoline_kernelINS0_13select_configILj256ELj13ELNS0_17block_load_methodE3ELS4_3ELS4_3ELNS0_20block_scan_algorithmE0ELj4294967295EEENS1_25partition_config_selectorILNS1_17partition_subalgoE3EjNS0_10empty_typeEbEEZZNS1_14partition_implILS8_3ELb0ES6_jNS0_17counting_iteratorIjlEEPS9_SE_NS0_5tupleIJPjSE_EEENSF_IJSE_SE_EEES9_SG_JZNS1_25segmented_radix_sort_implINS0_14default_configELb0EPKiPiPKlPlN2at6native12_GLOBAL__N_18offset_tEEE10hipError_tPvRmT1_PNSt15iterator_traitsISY_E10value_typeET2_T3_PNSZ_IS14_E10value_typeET4_jRbjT5_S1A_jjP12ihipStream_tbEUljE_EEESV_SW_SX_S14_S18_S1A_T6_T7_T9_mT8_S1C_bDpT10_ENKUlT_T0_E_clISt17integral_constantIbLb0EES1O_IbLb1EEEEDaS1K_S1L_EUlS1K_E_NS1_11comp_targetILNS1_3genE10ELNS1_11target_archE1200ELNS1_3gpuE4ELNS1_3repE0EEENS1_30default_config_static_selectorELNS0_4arch9wavefront6targetE1EEEvSY_.has_recursion, 0
	.set _ZN7rocprim17ROCPRIM_400000_NS6detail17trampoline_kernelINS0_13select_configILj256ELj13ELNS0_17block_load_methodE3ELS4_3ELS4_3ELNS0_20block_scan_algorithmE0ELj4294967295EEENS1_25partition_config_selectorILNS1_17partition_subalgoE3EjNS0_10empty_typeEbEEZZNS1_14partition_implILS8_3ELb0ES6_jNS0_17counting_iteratorIjlEEPS9_SE_NS0_5tupleIJPjSE_EEENSF_IJSE_SE_EEES9_SG_JZNS1_25segmented_radix_sort_implINS0_14default_configELb0EPKiPiPKlPlN2at6native12_GLOBAL__N_18offset_tEEE10hipError_tPvRmT1_PNSt15iterator_traitsISY_E10value_typeET2_T3_PNSZ_IS14_E10value_typeET4_jRbjT5_S1A_jjP12ihipStream_tbEUljE_EEESV_SW_SX_S14_S18_S1A_T6_T7_T9_mT8_S1C_bDpT10_ENKUlT_T0_E_clISt17integral_constantIbLb0EES1O_IbLb1EEEEDaS1K_S1L_EUlS1K_E_NS1_11comp_targetILNS1_3genE10ELNS1_11target_archE1200ELNS1_3gpuE4ELNS1_3repE0EEENS1_30default_config_static_selectorELNS0_4arch9wavefront6targetE1EEEvSY_.has_indirect_call, 0
	.section	.AMDGPU.csdata,"",@progbits
; Kernel info:
; codeLenInByte = 0
; TotalNumSgprs: 4
; NumVgprs: 0
; ScratchSize: 0
; MemoryBound: 0
; FloatMode: 240
; IeeeMode: 1
; LDSByteSize: 0 bytes/workgroup (compile time only)
; SGPRBlocks: 0
; VGPRBlocks: 0
; NumSGPRsForWavesPerEU: 4
; NumVGPRsForWavesPerEU: 1
; Occupancy: 10
; WaveLimiterHint : 0
; COMPUTE_PGM_RSRC2:SCRATCH_EN: 0
; COMPUTE_PGM_RSRC2:USER_SGPR: 6
; COMPUTE_PGM_RSRC2:TRAP_HANDLER: 0
; COMPUTE_PGM_RSRC2:TGID_X_EN: 1
; COMPUTE_PGM_RSRC2:TGID_Y_EN: 0
; COMPUTE_PGM_RSRC2:TGID_Z_EN: 0
; COMPUTE_PGM_RSRC2:TIDIG_COMP_CNT: 0
	.section	.text._ZN7rocprim17ROCPRIM_400000_NS6detail17trampoline_kernelINS0_13select_configILj256ELj13ELNS0_17block_load_methodE3ELS4_3ELS4_3ELNS0_20block_scan_algorithmE0ELj4294967295EEENS1_25partition_config_selectorILNS1_17partition_subalgoE3EjNS0_10empty_typeEbEEZZNS1_14partition_implILS8_3ELb0ES6_jNS0_17counting_iteratorIjlEEPS9_SE_NS0_5tupleIJPjSE_EEENSF_IJSE_SE_EEES9_SG_JZNS1_25segmented_radix_sort_implINS0_14default_configELb0EPKiPiPKlPlN2at6native12_GLOBAL__N_18offset_tEEE10hipError_tPvRmT1_PNSt15iterator_traitsISY_E10value_typeET2_T3_PNSZ_IS14_E10value_typeET4_jRbjT5_S1A_jjP12ihipStream_tbEUljE_EEESV_SW_SX_S14_S18_S1A_T6_T7_T9_mT8_S1C_bDpT10_ENKUlT_T0_E_clISt17integral_constantIbLb0EES1O_IbLb1EEEEDaS1K_S1L_EUlS1K_E_NS1_11comp_targetILNS1_3genE9ELNS1_11target_archE1100ELNS1_3gpuE3ELNS1_3repE0EEENS1_30default_config_static_selectorELNS0_4arch9wavefront6targetE1EEEvSY_,"axG",@progbits,_ZN7rocprim17ROCPRIM_400000_NS6detail17trampoline_kernelINS0_13select_configILj256ELj13ELNS0_17block_load_methodE3ELS4_3ELS4_3ELNS0_20block_scan_algorithmE0ELj4294967295EEENS1_25partition_config_selectorILNS1_17partition_subalgoE3EjNS0_10empty_typeEbEEZZNS1_14partition_implILS8_3ELb0ES6_jNS0_17counting_iteratorIjlEEPS9_SE_NS0_5tupleIJPjSE_EEENSF_IJSE_SE_EEES9_SG_JZNS1_25segmented_radix_sort_implINS0_14default_configELb0EPKiPiPKlPlN2at6native12_GLOBAL__N_18offset_tEEE10hipError_tPvRmT1_PNSt15iterator_traitsISY_E10value_typeET2_T3_PNSZ_IS14_E10value_typeET4_jRbjT5_S1A_jjP12ihipStream_tbEUljE_EEESV_SW_SX_S14_S18_S1A_T6_T7_T9_mT8_S1C_bDpT10_ENKUlT_T0_E_clISt17integral_constantIbLb0EES1O_IbLb1EEEEDaS1K_S1L_EUlS1K_E_NS1_11comp_targetILNS1_3genE9ELNS1_11target_archE1100ELNS1_3gpuE3ELNS1_3repE0EEENS1_30default_config_static_selectorELNS0_4arch9wavefront6targetE1EEEvSY_,comdat
	.globl	_ZN7rocprim17ROCPRIM_400000_NS6detail17trampoline_kernelINS0_13select_configILj256ELj13ELNS0_17block_load_methodE3ELS4_3ELS4_3ELNS0_20block_scan_algorithmE0ELj4294967295EEENS1_25partition_config_selectorILNS1_17partition_subalgoE3EjNS0_10empty_typeEbEEZZNS1_14partition_implILS8_3ELb0ES6_jNS0_17counting_iteratorIjlEEPS9_SE_NS0_5tupleIJPjSE_EEENSF_IJSE_SE_EEES9_SG_JZNS1_25segmented_radix_sort_implINS0_14default_configELb0EPKiPiPKlPlN2at6native12_GLOBAL__N_18offset_tEEE10hipError_tPvRmT1_PNSt15iterator_traitsISY_E10value_typeET2_T3_PNSZ_IS14_E10value_typeET4_jRbjT5_S1A_jjP12ihipStream_tbEUljE_EEESV_SW_SX_S14_S18_S1A_T6_T7_T9_mT8_S1C_bDpT10_ENKUlT_T0_E_clISt17integral_constantIbLb0EES1O_IbLb1EEEEDaS1K_S1L_EUlS1K_E_NS1_11comp_targetILNS1_3genE9ELNS1_11target_archE1100ELNS1_3gpuE3ELNS1_3repE0EEENS1_30default_config_static_selectorELNS0_4arch9wavefront6targetE1EEEvSY_ ; -- Begin function _ZN7rocprim17ROCPRIM_400000_NS6detail17trampoline_kernelINS0_13select_configILj256ELj13ELNS0_17block_load_methodE3ELS4_3ELS4_3ELNS0_20block_scan_algorithmE0ELj4294967295EEENS1_25partition_config_selectorILNS1_17partition_subalgoE3EjNS0_10empty_typeEbEEZZNS1_14partition_implILS8_3ELb0ES6_jNS0_17counting_iteratorIjlEEPS9_SE_NS0_5tupleIJPjSE_EEENSF_IJSE_SE_EEES9_SG_JZNS1_25segmented_radix_sort_implINS0_14default_configELb0EPKiPiPKlPlN2at6native12_GLOBAL__N_18offset_tEEE10hipError_tPvRmT1_PNSt15iterator_traitsISY_E10value_typeET2_T3_PNSZ_IS14_E10value_typeET4_jRbjT5_S1A_jjP12ihipStream_tbEUljE_EEESV_SW_SX_S14_S18_S1A_T6_T7_T9_mT8_S1C_bDpT10_ENKUlT_T0_E_clISt17integral_constantIbLb0EES1O_IbLb1EEEEDaS1K_S1L_EUlS1K_E_NS1_11comp_targetILNS1_3genE9ELNS1_11target_archE1100ELNS1_3gpuE3ELNS1_3repE0EEENS1_30default_config_static_selectorELNS0_4arch9wavefront6targetE1EEEvSY_
	.p2align	8
	.type	_ZN7rocprim17ROCPRIM_400000_NS6detail17trampoline_kernelINS0_13select_configILj256ELj13ELNS0_17block_load_methodE3ELS4_3ELS4_3ELNS0_20block_scan_algorithmE0ELj4294967295EEENS1_25partition_config_selectorILNS1_17partition_subalgoE3EjNS0_10empty_typeEbEEZZNS1_14partition_implILS8_3ELb0ES6_jNS0_17counting_iteratorIjlEEPS9_SE_NS0_5tupleIJPjSE_EEENSF_IJSE_SE_EEES9_SG_JZNS1_25segmented_radix_sort_implINS0_14default_configELb0EPKiPiPKlPlN2at6native12_GLOBAL__N_18offset_tEEE10hipError_tPvRmT1_PNSt15iterator_traitsISY_E10value_typeET2_T3_PNSZ_IS14_E10value_typeET4_jRbjT5_S1A_jjP12ihipStream_tbEUljE_EEESV_SW_SX_S14_S18_S1A_T6_T7_T9_mT8_S1C_bDpT10_ENKUlT_T0_E_clISt17integral_constantIbLb0EES1O_IbLb1EEEEDaS1K_S1L_EUlS1K_E_NS1_11comp_targetILNS1_3genE9ELNS1_11target_archE1100ELNS1_3gpuE3ELNS1_3repE0EEENS1_30default_config_static_selectorELNS0_4arch9wavefront6targetE1EEEvSY_,@function
_ZN7rocprim17ROCPRIM_400000_NS6detail17trampoline_kernelINS0_13select_configILj256ELj13ELNS0_17block_load_methodE3ELS4_3ELS4_3ELNS0_20block_scan_algorithmE0ELj4294967295EEENS1_25partition_config_selectorILNS1_17partition_subalgoE3EjNS0_10empty_typeEbEEZZNS1_14partition_implILS8_3ELb0ES6_jNS0_17counting_iteratorIjlEEPS9_SE_NS0_5tupleIJPjSE_EEENSF_IJSE_SE_EEES9_SG_JZNS1_25segmented_radix_sort_implINS0_14default_configELb0EPKiPiPKlPlN2at6native12_GLOBAL__N_18offset_tEEE10hipError_tPvRmT1_PNSt15iterator_traitsISY_E10value_typeET2_T3_PNSZ_IS14_E10value_typeET4_jRbjT5_S1A_jjP12ihipStream_tbEUljE_EEESV_SW_SX_S14_S18_S1A_T6_T7_T9_mT8_S1C_bDpT10_ENKUlT_T0_E_clISt17integral_constantIbLb0EES1O_IbLb1EEEEDaS1K_S1L_EUlS1K_E_NS1_11comp_targetILNS1_3genE9ELNS1_11target_archE1100ELNS1_3gpuE3ELNS1_3repE0EEENS1_30default_config_static_selectorELNS0_4arch9wavefront6targetE1EEEvSY_: ; @_ZN7rocprim17ROCPRIM_400000_NS6detail17trampoline_kernelINS0_13select_configILj256ELj13ELNS0_17block_load_methodE3ELS4_3ELS4_3ELNS0_20block_scan_algorithmE0ELj4294967295EEENS1_25partition_config_selectorILNS1_17partition_subalgoE3EjNS0_10empty_typeEbEEZZNS1_14partition_implILS8_3ELb0ES6_jNS0_17counting_iteratorIjlEEPS9_SE_NS0_5tupleIJPjSE_EEENSF_IJSE_SE_EEES9_SG_JZNS1_25segmented_radix_sort_implINS0_14default_configELb0EPKiPiPKlPlN2at6native12_GLOBAL__N_18offset_tEEE10hipError_tPvRmT1_PNSt15iterator_traitsISY_E10value_typeET2_T3_PNSZ_IS14_E10value_typeET4_jRbjT5_S1A_jjP12ihipStream_tbEUljE_EEESV_SW_SX_S14_S18_S1A_T6_T7_T9_mT8_S1C_bDpT10_ENKUlT_T0_E_clISt17integral_constantIbLb0EES1O_IbLb1EEEEDaS1K_S1L_EUlS1K_E_NS1_11comp_targetILNS1_3genE9ELNS1_11target_archE1100ELNS1_3gpuE3ELNS1_3repE0EEENS1_30default_config_static_selectorELNS0_4arch9wavefront6targetE1EEEvSY_
; %bb.0:
	.section	.rodata,"a",@progbits
	.p2align	6, 0x0
	.amdhsa_kernel _ZN7rocprim17ROCPRIM_400000_NS6detail17trampoline_kernelINS0_13select_configILj256ELj13ELNS0_17block_load_methodE3ELS4_3ELS4_3ELNS0_20block_scan_algorithmE0ELj4294967295EEENS1_25partition_config_selectorILNS1_17partition_subalgoE3EjNS0_10empty_typeEbEEZZNS1_14partition_implILS8_3ELb0ES6_jNS0_17counting_iteratorIjlEEPS9_SE_NS0_5tupleIJPjSE_EEENSF_IJSE_SE_EEES9_SG_JZNS1_25segmented_radix_sort_implINS0_14default_configELb0EPKiPiPKlPlN2at6native12_GLOBAL__N_18offset_tEEE10hipError_tPvRmT1_PNSt15iterator_traitsISY_E10value_typeET2_T3_PNSZ_IS14_E10value_typeET4_jRbjT5_S1A_jjP12ihipStream_tbEUljE_EEESV_SW_SX_S14_S18_S1A_T6_T7_T9_mT8_S1C_bDpT10_ENKUlT_T0_E_clISt17integral_constantIbLb0EES1O_IbLb1EEEEDaS1K_S1L_EUlS1K_E_NS1_11comp_targetILNS1_3genE9ELNS1_11target_archE1100ELNS1_3gpuE3ELNS1_3repE0EEENS1_30default_config_static_selectorELNS0_4arch9wavefront6targetE1EEEvSY_
		.amdhsa_group_segment_fixed_size 0
		.amdhsa_private_segment_fixed_size 0
		.amdhsa_kernarg_size 152
		.amdhsa_user_sgpr_count 6
		.amdhsa_user_sgpr_private_segment_buffer 1
		.amdhsa_user_sgpr_dispatch_ptr 0
		.amdhsa_user_sgpr_queue_ptr 0
		.amdhsa_user_sgpr_kernarg_segment_ptr 1
		.amdhsa_user_sgpr_dispatch_id 0
		.amdhsa_user_sgpr_flat_scratch_init 0
		.amdhsa_user_sgpr_private_segment_size 0
		.amdhsa_uses_dynamic_stack 0
		.amdhsa_system_sgpr_private_segment_wavefront_offset 0
		.amdhsa_system_sgpr_workgroup_id_x 1
		.amdhsa_system_sgpr_workgroup_id_y 0
		.amdhsa_system_sgpr_workgroup_id_z 0
		.amdhsa_system_sgpr_workgroup_info 0
		.amdhsa_system_vgpr_workitem_id 0
		.amdhsa_next_free_vgpr 1
		.amdhsa_next_free_sgpr 0
		.amdhsa_reserve_vcc 0
		.amdhsa_reserve_flat_scratch 0
		.amdhsa_float_round_mode_32 0
		.amdhsa_float_round_mode_16_64 0
		.amdhsa_float_denorm_mode_32 3
		.amdhsa_float_denorm_mode_16_64 3
		.amdhsa_dx10_clamp 1
		.amdhsa_ieee_mode 1
		.amdhsa_fp16_overflow 0
		.amdhsa_exception_fp_ieee_invalid_op 0
		.amdhsa_exception_fp_denorm_src 0
		.amdhsa_exception_fp_ieee_div_zero 0
		.amdhsa_exception_fp_ieee_overflow 0
		.amdhsa_exception_fp_ieee_underflow 0
		.amdhsa_exception_fp_ieee_inexact 0
		.amdhsa_exception_int_div_zero 0
	.end_amdhsa_kernel
	.section	.text._ZN7rocprim17ROCPRIM_400000_NS6detail17trampoline_kernelINS0_13select_configILj256ELj13ELNS0_17block_load_methodE3ELS4_3ELS4_3ELNS0_20block_scan_algorithmE0ELj4294967295EEENS1_25partition_config_selectorILNS1_17partition_subalgoE3EjNS0_10empty_typeEbEEZZNS1_14partition_implILS8_3ELb0ES6_jNS0_17counting_iteratorIjlEEPS9_SE_NS0_5tupleIJPjSE_EEENSF_IJSE_SE_EEES9_SG_JZNS1_25segmented_radix_sort_implINS0_14default_configELb0EPKiPiPKlPlN2at6native12_GLOBAL__N_18offset_tEEE10hipError_tPvRmT1_PNSt15iterator_traitsISY_E10value_typeET2_T3_PNSZ_IS14_E10value_typeET4_jRbjT5_S1A_jjP12ihipStream_tbEUljE_EEESV_SW_SX_S14_S18_S1A_T6_T7_T9_mT8_S1C_bDpT10_ENKUlT_T0_E_clISt17integral_constantIbLb0EES1O_IbLb1EEEEDaS1K_S1L_EUlS1K_E_NS1_11comp_targetILNS1_3genE9ELNS1_11target_archE1100ELNS1_3gpuE3ELNS1_3repE0EEENS1_30default_config_static_selectorELNS0_4arch9wavefront6targetE1EEEvSY_,"axG",@progbits,_ZN7rocprim17ROCPRIM_400000_NS6detail17trampoline_kernelINS0_13select_configILj256ELj13ELNS0_17block_load_methodE3ELS4_3ELS4_3ELNS0_20block_scan_algorithmE0ELj4294967295EEENS1_25partition_config_selectorILNS1_17partition_subalgoE3EjNS0_10empty_typeEbEEZZNS1_14partition_implILS8_3ELb0ES6_jNS0_17counting_iteratorIjlEEPS9_SE_NS0_5tupleIJPjSE_EEENSF_IJSE_SE_EEES9_SG_JZNS1_25segmented_radix_sort_implINS0_14default_configELb0EPKiPiPKlPlN2at6native12_GLOBAL__N_18offset_tEEE10hipError_tPvRmT1_PNSt15iterator_traitsISY_E10value_typeET2_T3_PNSZ_IS14_E10value_typeET4_jRbjT5_S1A_jjP12ihipStream_tbEUljE_EEESV_SW_SX_S14_S18_S1A_T6_T7_T9_mT8_S1C_bDpT10_ENKUlT_T0_E_clISt17integral_constantIbLb0EES1O_IbLb1EEEEDaS1K_S1L_EUlS1K_E_NS1_11comp_targetILNS1_3genE9ELNS1_11target_archE1100ELNS1_3gpuE3ELNS1_3repE0EEENS1_30default_config_static_selectorELNS0_4arch9wavefront6targetE1EEEvSY_,comdat
.Lfunc_end598:
	.size	_ZN7rocprim17ROCPRIM_400000_NS6detail17trampoline_kernelINS0_13select_configILj256ELj13ELNS0_17block_load_methodE3ELS4_3ELS4_3ELNS0_20block_scan_algorithmE0ELj4294967295EEENS1_25partition_config_selectorILNS1_17partition_subalgoE3EjNS0_10empty_typeEbEEZZNS1_14partition_implILS8_3ELb0ES6_jNS0_17counting_iteratorIjlEEPS9_SE_NS0_5tupleIJPjSE_EEENSF_IJSE_SE_EEES9_SG_JZNS1_25segmented_radix_sort_implINS0_14default_configELb0EPKiPiPKlPlN2at6native12_GLOBAL__N_18offset_tEEE10hipError_tPvRmT1_PNSt15iterator_traitsISY_E10value_typeET2_T3_PNSZ_IS14_E10value_typeET4_jRbjT5_S1A_jjP12ihipStream_tbEUljE_EEESV_SW_SX_S14_S18_S1A_T6_T7_T9_mT8_S1C_bDpT10_ENKUlT_T0_E_clISt17integral_constantIbLb0EES1O_IbLb1EEEEDaS1K_S1L_EUlS1K_E_NS1_11comp_targetILNS1_3genE9ELNS1_11target_archE1100ELNS1_3gpuE3ELNS1_3repE0EEENS1_30default_config_static_selectorELNS0_4arch9wavefront6targetE1EEEvSY_, .Lfunc_end598-_ZN7rocprim17ROCPRIM_400000_NS6detail17trampoline_kernelINS0_13select_configILj256ELj13ELNS0_17block_load_methodE3ELS4_3ELS4_3ELNS0_20block_scan_algorithmE0ELj4294967295EEENS1_25partition_config_selectorILNS1_17partition_subalgoE3EjNS0_10empty_typeEbEEZZNS1_14partition_implILS8_3ELb0ES6_jNS0_17counting_iteratorIjlEEPS9_SE_NS0_5tupleIJPjSE_EEENSF_IJSE_SE_EEES9_SG_JZNS1_25segmented_radix_sort_implINS0_14default_configELb0EPKiPiPKlPlN2at6native12_GLOBAL__N_18offset_tEEE10hipError_tPvRmT1_PNSt15iterator_traitsISY_E10value_typeET2_T3_PNSZ_IS14_E10value_typeET4_jRbjT5_S1A_jjP12ihipStream_tbEUljE_EEESV_SW_SX_S14_S18_S1A_T6_T7_T9_mT8_S1C_bDpT10_ENKUlT_T0_E_clISt17integral_constantIbLb0EES1O_IbLb1EEEEDaS1K_S1L_EUlS1K_E_NS1_11comp_targetILNS1_3genE9ELNS1_11target_archE1100ELNS1_3gpuE3ELNS1_3repE0EEENS1_30default_config_static_selectorELNS0_4arch9wavefront6targetE1EEEvSY_
                                        ; -- End function
	.set _ZN7rocprim17ROCPRIM_400000_NS6detail17trampoline_kernelINS0_13select_configILj256ELj13ELNS0_17block_load_methodE3ELS4_3ELS4_3ELNS0_20block_scan_algorithmE0ELj4294967295EEENS1_25partition_config_selectorILNS1_17partition_subalgoE3EjNS0_10empty_typeEbEEZZNS1_14partition_implILS8_3ELb0ES6_jNS0_17counting_iteratorIjlEEPS9_SE_NS0_5tupleIJPjSE_EEENSF_IJSE_SE_EEES9_SG_JZNS1_25segmented_radix_sort_implINS0_14default_configELb0EPKiPiPKlPlN2at6native12_GLOBAL__N_18offset_tEEE10hipError_tPvRmT1_PNSt15iterator_traitsISY_E10value_typeET2_T3_PNSZ_IS14_E10value_typeET4_jRbjT5_S1A_jjP12ihipStream_tbEUljE_EEESV_SW_SX_S14_S18_S1A_T6_T7_T9_mT8_S1C_bDpT10_ENKUlT_T0_E_clISt17integral_constantIbLb0EES1O_IbLb1EEEEDaS1K_S1L_EUlS1K_E_NS1_11comp_targetILNS1_3genE9ELNS1_11target_archE1100ELNS1_3gpuE3ELNS1_3repE0EEENS1_30default_config_static_selectorELNS0_4arch9wavefront6targetE1EEEvSY_.num_vgpr, 0
	.set _ZN7rocprim17ROCPRIM_400000_NS6detail17trampoline_kernelINS0_13select_configILj256ELj13ELNS0_17block_load_methodE3ELS4_3ELS4_3ELNS0_20block_scan_algorithmE0ELj4294967295EEENS1_25partition_config_selectorILNS1_17partition_subalgoE3EjNS0_10empty_typeEbEEZZNS1_14partition_implILS8_3ELb0ES6_jNS0_17counting_iteratorIjlEEPS9_SE_NS0_5tupleIJPjSE_EEENSF_IJSE_SE_EEES9_SG_JZNS1_25segmented_radix_sort_implINS0_14default_configELb0EPKiPiPKlPlN2at6native12_GLOBAL__N_18offset_tEEE10hipError_tPvRmT1_PNSt15iterator_traitsISY_E10value_typeET2_T3_PNSZ_IS14_E10value_typeET4_jRbjT5_S1A_jjP12ihipStream_tbEUljE_EEESV_SW_SX_S14_S18_S1A_T6_T7_T9_mT8_S1C_bDpT10_ENKUlT_T0_E_clISt17integral_constantIbLb0EES1O_IbLb1EEEEDaS1K_S1L_EUlS1K_E_NS1_11comp_targetILNS1_3genE9ELNS1_11target_archE1100ELNS1_3gpuE3ELNS1_3repE0EEENS1_30default_config_static_selectorELNS0_4arch9wavefront6targetE1EEEvSY_.num_agpr, 0
	.set _ZN7rocprim17ROCPRIM_400000_NS6detail17trampoline_kernelINS0_13select_configILj256ELj13ELNS0_17block_load_methodE3ELS4_3ELS4_3ELNS0_20block_scan_algorithmE0ELj4294967295EEENS1_25partition_config_selectorILNS1_17partition_subalgoE3EjNS0_10empty_typeEbEEZZNS1_14partition_implILS8_3ELb0ES6_jNS0_17counting_iteratorIjlEEPS9_SE_NS0_5tupleIJPjSE_EEENSF_IJSE_SE_EEES9_SG_JZNS1_25segmented_radix_sort_implINS0_14default_configELb0EPKiPiPKlPlN2at6native12_GLOBAL__N_18offset_tEEE10hipError_tPvRmT1_PNSt15iterator_traitsISY_E10value_typeET2_T3_PNSZ_IS14_E10value_typeET4_jRbjT5_S1A_jjP12ihipStream_tbEUljE_EEESV_SW_SX_S14_S18_S1A_T6_T7_T9_mT8_S1C_bDpT10_ENKUlT_T0_E_clISt17integral_constantIbLb0EES1O_IbLb1EEEEDaS1K_S1L_EUlS1K_E_NS1_11comp_targetILNS1_3genE9ELNS1_11target_archE1100ELNS1_3gpuE3ELNS1_3repE0EEENS1_30default_config_static_selectorELNS0_4arch9wavefront6targetE1EEEvSY_.numbered_sgpr, 0
	.set _ZN7rocprim17ROCPRIM_400000_NS6detail17trampoline_kernelINS0_13select_configILj256ELj13ELNS0_17block_load_methodE3ELS4_3ELS4_3ELNS0_20block_scan_algorithmE0ELj4294967295EEENS1_25partition_config_selectorILNS1_17partition_subalgoE3EjNS0_10empty_typeEbEEZZNS1_14partition_implILS8_3ELb0ES6_jNS0_17counting_iteratorIjlEEPS9_SE_NS0_5tupleIJPjSE_EEENSF_IJSE_SE_EEES9_SG_JZNS1_25segmented_radix_sort_implINS0_14default_configELb0EPKiPiPKlPlN2at6native12_GLOBAL__N_18offset_tEEE10hipError_tPvRmT1_PNSt15iterator_traitsISY_E10value_typeET2_T3_PNSZ_IS14_E10value_typeET4_jRbjT5_S1A_jjP12ihipStream_tbEUljE_EEESV_SW_SX_S14_S18_S1A_T6_T7_T9_mT8_S1C_bDpT10_ENKUlT_T0_E_clISt17integral_constantIbLb0EES1O_IbLb1EEEEDaS1K_S1L_EUlS1K_E_NS1_11comp_targetILNS1_3genE9ELNS1_11target_archE1100ELNS1_3gpuE3ELNS1_3repE0EEENS1_30default_config_static_selectorELNS0_4arch9wavefront6targetE1EEEvSY_.num_named_barrier, 0
	.set _ZN7rocprim17ROCPRIM_400000_NS6detail17trampoline_kernelINS0_13select_configILj256ELj13ELNS0_17block_load_methodE3ELS4_3ELS4_3ELNS0_20block_scan_algorithmE0ELj4294967295EEENS1_25partition_config_selectorILNS1_17partition_subalgoE3EjNS0_10empty_typeEbEEZZNS1_14partition_implILS8_3ELb0ES6_jNS0_17counting_iteratorIjlEEPS9_SE_NS0_5tupleIJPjSE_EEENSF_IJSE_SE_EEES9_SG_JZNS1_25segmented_radix_sort_implINS0_14default_configELb0EPKiPiPKlPlN2at6native12_GLOBAL__N_18offset_tEEE10hipError_tPvRmT1_PNSt15iterator_traitsISY_E10value_typeET2_T3_PNSZ_IS14_E10value_typeET4_jRbjT5_S1A_jjP12ihipStream_tbEUljE_EEESV_SW_SX_S14_S18_S1A_T6_T7_T9_mT8_S1C_bDpT10_ENKUlT_T0_E_clISt17integral_constantIbLb0EES1O_IbLb1EEEEDaS1K_S1L_EUlS1K_E_NS1_11comp_targetILNS1_3genE9ELNS1_11target_archE1100ELNS1_3gpuE3ELNS1_3repE0EEENS1_30default_config_static_selectorELNS0_4arch9wavefront6targetE1EEEvSY_.private_seg_size, 0
	.set _ZN7rocprim17ROCPRIM_400000_NS6detail17trampoline_kernelINS0_13select_configILj256ELj13ELNS0_17block_load_methodE3ELS4_3ELS4_3ELNS0_20block_scan_algorithmE0ELj4294967295EEENS1_25partition_config_selectorILNS1_17partition_subalgoE3EjNS0_10empty_typeEbEEZZNS1_14partition_implILS8_3ELb0ES6_jNS0_17counting_iteratorIjlEEPS9_SE_NS0_5tupleIJPjSE_EEENSF_IJSE_SE_EEES9_SG_JZNS1_25segmented_radix_sort_implINS0_14default_configELb0EPKiPiPKlPlN2at6native12_GLOBAL__N_18offset_tEEE10hipError_tPvRmT1_PNSt15iterator_traitsISY_E10value_typeET2_T3_PNSZ_IS14_E10value_typeET4_jRbjT5_S1A_jjP12ihipStream_tbEUljE_EEESV_SW_SX_S14_S18_S1A_T6_T7_T9_mT8_S1C_bDpT10_ENKUlT_T0_E_clISt17integral_constantIbLb0EES1O_IbLb1EEEEDaS1K_S1L_EUlS1K_E_NS1_11comp_targetILNS1_3genE9ELNS1_11target_archE1100ELNS1_3gpuE3ELNS1_3repE0EEENS1_30default_config_static_selectorELNS0_4arch9wavefront6targetE1EEEvSY_.uses_vcc, 0
	.set _ZN7rocprim17ROCPRIM_400000_NS6detail17trampoline_kernelINS0_13select_configILj256ELj13ELNS0_17block_load_methodE3ELS4_3ELS4_3ELNS0_20block_scan_algorithmE0ELj4294967295EEENS1_25partition_config_selectorILNS1_17partition_subalgoE3EjNS0_10empty_typeEbEEZZNS1_14partition_implILS8_3ELb0ES6_jNS0_17counting_iteratorIjlEEPS9_SE_NS0_5tupleIJPjSE_EEENSF_IJSE_SE_EEES9_SG_JZNS1_25segmented_radix_sort_implINS0_14default_configELb0EPKiPiPKlPlN2at6native12_GLOBAL__N_18offset_tEEE10hipError_tPvRmT1_PNSt15iterator_traitsISY_E10value_typeET2_T3_PNSZ_IS14_E10value_typeET4_jRbjT5_S1A_jjP12ihipStream_tbEUljE_EEESV_SW_SX_S14_S18_S1A_T6_T7_T9_mT8_S1C_bDpT10_ENKUlT_T0_E_clISt17integral_constantIbLb0EES1O_IbLb1EEEEDaS1K_S1L_EUlS1K_E_NS1_11comp_targetILNS1_3genE9ELNS1_11target_archE1100ELNS1_3gpuE3ELNS1_3repE0EEENS1_30default_config_static_selectorELNS0_4arch9wavefront6targetE1EEEvSY_.uses_flat_scratch, 0
	.set _ZN7rocprim17ROCPRIM_400000_NS6detail17trampoline_kernelINS0_13select_configILj256ELj13ELNS0_17block_load_methodE3ELS4_3ELS4_3ELNS0_20block_scan_algorithmE0ELj4294967295EEENS1_25partition_config_selectorILNS1_17partition_subalgoE3EjNS0_10empty_typeEbEEZZNS1_14partition_implILS8_3ELb0ES6_jNS0_17counting_iteratorIjlEEPS9_SE_NS0_5tupleIJPjSE_EEENSF_IJSE_SE_EEES9_SG_JZNS1_25segmented_radix_sort_implINS0_14default_configELb0EPKiPiPKlPlN2at6native12_GLOBAL__N_18offset_tEEE10hipError_tPvRmT1_PNSt15iterator_traitsISY_E10value_typeET2_T3_PNSZ_IS14_E10value_typeET4_jRbjT5_S1A_jjP12ihipStream_tbEUljE_EEESV_SW_SX_S14_S18_S1A_T6_T7_T9_mT8_S1C_bDpT10_ENKUlT_T0_E_clISt17integral_constantIbLb0EES1O_IbLb1EEEEDaS1K_S1L_EUlS1K_E_NS1_11comp_targetILNS1_3genE9ELNS1_11target_archE1100ELNS1_3gpuE3ELNS1_3repE0EEENS1_30default_config_static_selectorELNS0_4arch9wavefront6targetE1EEEvSY_.has_dyn_sized_stack, 0
	.set _ZN7rocprim17ROCPRIM_400000_NS6detail17trampoline_kernelINS0_13select_configILj256ELj13ELNS0_17block_load_methodE3ELS4_3ELS4_3ELNS0_20block_scan_algorithmE0ELj4294967295EEENS1_25partition_config_selectorILNS1_17partition_subalgoE3EjNS0_10empty_typeEbEEZZNS1_14partition_implILS8_3ELb0ES6_jNS0_17counting_iteratorIjlEEPS9_SE_NS0_5tupleIJPjSE_EEENSF_IJSE_SE_EEES9_SG_JZNS1_25segmented_radix_sort_implINS0_14default_configELb0EPKiPiPKlPlN2at6native12_GLOBAL__N_18offset_tEEE10hipError_tPvRmT1_PNSt15iterator_traitsISY_E10value_typeET2_T3_PNSZ_IS14_E10value_typeET4_jRbjT5_S1A_jjP12ihipStream_tbEUljE_EEESV_SW_SX_S14_S18_S1A_T6_T7_T9_mT8_S1C_bDpT10_ENKUlT_T0_E_clISt17integral_constantIbLb0EES1O_IbLb1EEEEDaS1K_S1L_EUlS1K_E_NS1_11comp_targetILNS1_3genE9ELNS1_11target_archE1100ELNS1_3gpuE3ELNS1_3repE0EEENS1_30default_config_static_selectorELNS0_4arch9wavefront6targetE1EEEvSY_.has_recursion, 0
	.set _ZN7rocprim17ROCPRIM_400000_NS6detail17trampoline_kernelINS0_13select_configILj256ELj13ELNS0_17block_load_methodE3ELS4_3ELS4_3ELNS0_20block_scan_algorithmE0ELj4294967295EEENS1_25partition_config_selectorILNS1_17partition_subalgoE3EjNS0_10empty_typeEbEEZZNS1_14partition_implILS8_3ELb0ES6_jNS0_17counting_iteratorIjlEEPS9_SE_NS0_5tupleIJPjSE_EEENSF_IJSE_SE_EEES9_SG_JZNS1_25segmented_radix_sort_implINS0_14default_configELb0EPKiPiPKlPlN2at6native12_GLOBAL__N_18offset_tEEE10hipError_tPvRmT1_PNSt15iterator_traitsISY_E10value_typeET2_T3_PNSZ_IS14_E10value_typeET4_jRbjT5_S1A_jjP12ihipStream_tbEUljE_EEESV_SW_SX_S14_S18_S1A_T6_T7_T9_mT8_S1C_bDpT10_ENKUlT_T0_E_clISt17integral_constantIbLb0EES1O_IbLb1EEEEDaS1K_S1L_EUlS1K_E_NS1_11comp_targetILNS1_3genE9ELNS1_11target_archE1100ELNS1_3gpuE3ELNS1_3repE0EEENS1_30default_config_static_selectorELNS0_4arch9wavefront6targetE1EEEvSY_.has_indirect_call, 0
	.section	.AMDGPU.csdata,"",@progbits
; Kernel info:
; codeLenInByte = 0
; TotalNumSgprs: 4
; NumVgprs: 0
; ScratchSize: 0
; MemoryBound: 0
; FloatMode: 240
; IeeeMode: 1
; LDSByteSize: 0 bytes/workgroup (compile time only)
; SGPRBlocks: 0
; VGPRBlocks: 0
; NumSGPRsForWavesPerEU: 4
; NumVGPRsForWavesPerEU: 1
; Occupancy: 10
; WaveLimiterHint : 0
; COMPUTE_PGM_RSRC2:SCRATCH_EN: 0
; COMPUTE_PGM_RSRC2:USER_SGPR: 6
; COMPUTE_PGM_RSRC2:TRAP_HANDLER: 0
; COMPUTE_PGM_RSRC2:TGID_X_EN: 1
; COMPUTE_PGM_RSRC2:TGID_Y_EN: 0
; COMPUTE_PGM_RSRC2:TGID_Z_EN: 0
; COMPUTE_PGM_RSRC2:TIDIG_COMP_CNT: 0
	.section	.text._ZN7rocprim17ROCPRIM_400000_NS6detail17trampoline_kernelINS0_13select_configILj256ELj13ELNS0_17block_load_methodE3ELS4_3ELS4_3ELNS0_20block_scan_algorithmE0ELj4294967295EEENS1_25partition_config_selectorILNS1_17partition_subalgoE3EjNS0_10empty_typeEbEEZZNS1_14partition_implILS8_3ELb0ES6_jNS0_17counting_iteratorIjlEEPS9_SE_NS0_5tupleIJPjSE_EEENSF_IJSE_SE_EEES9_SG_JZNS1_25segmented_radix_sort_implINS0_14default_configELb0EPKiPiPKlPlN2at6native12_GLOBAL__N_18offset_tEEE10hipError_tPvRmT1_PNSt15iterator_traitsISY_E10value_typeET2_T3_PNSZ_IS14_E10value_typeET4_jRbjT5_S1A_jjP12ihipStream_tbEUljE_EEESV_SW_SX_S14_S18_S1A_T6_T7_T9_mT8_S1C_bDpT10_ENKUlT_T0_E_clISt17integral_constantIbLb0EES1O_IbLb1EEEEDaS1K_S1L_EUlS1K_E_NS1_11comp_targetILNS1_3genE8ELNS1_11target_archE1030ELNS1_3gpuE2ELNS1_3repE0EEENS1_30default_config_static_selectorELNS0_4arch9wavefront6targetE1EEEvSY_,"axG",@progbits,_ZN7rocprim17ROCPRIM_400000_NS6detail17trampoline_kernelINS0_13select_configILj256ELj13ELNS0_17block_load_methodE3ELS4_3ELS4_3ELNS0_20block_scan_algorithmE0ELj4294967295EEENS1_25partition_config_selectorILNS1_17partition_subalgoE3EjNS0_10empty_typeEbEEZZNS1_14partition_implILS8_3ELb0ES6_jNS0_17counting_iteratorIjlEEPS9_SE_NS0_5tupleIJPjSE_EEENSF_IJSE_SE_EEES9_SG_JZNS1_25segmented_radix_sort_implINS0_14default_configELb0EPKiPiPKlPlN2at6native12_GLOBAL__N_18offset_tEEE10hipError_tPvRmT1_PNSt15iterator_traitsISY_E10value_typeET2_T3_PNSZ_IS14_E10value_typeET4_jRbjT5_S1A_jjP12ihipStream_tbEUljE_EEESV_SW_SX_S14_S18_S1A_T6_T7_T9_mT8_S1C_bDpT10_ENKUlT_T0_E_clISt17integral_constantIbLb0EES1O_IbLb1EEEEDaS1K_S1L_EUlS1K_E_NS1_11comp_targetILNS1_3genE8ELNS1_11target_archE1030ELNS1_3gpuE2ELNS1_3repE0EEENS1_30default_config_static_selectorELNS0_4arch9wavefront6targetE1EEEvSY_,comdat
	.globl	_ZN7rocprim17ROCPRIM_400000_NS6detail17trampoline_kernelINS0_13select_configILj256ELj13ELNS0_17block_load_methodE3ELS4_3ELS4_3ELNS0_20block_scan_algorithmE0ELj4294967295EEENS1_25partition_config_selectorILNS1_17partition_subalgoE3EjNS0_10empty_typeEbEEZZNS1_14partition_implILS8_3ELb0ES6_jNS0_17counting_iteratorIjlEEPS9_SE_NS0_5tupleIJPjSE_EEENSF_IJSE_SE_EEES9_SG_JZNS1_25segmented_radix_sort_implINS0_14default_configELb0EPKiPiPKlPlN2at6native12_GLOBAL__N_18offset_tEEE10hipError_tPvRmT1_PNSt15iterator_traitsISY_E10value_typeET2_T3_PNSZ_IS14_E10value_typeET4_jRbjT5_S1A_jjP12ihipStream_tbEUljE_EEESV_SW_SX_S14_S18_S1A_T6_T7_T9_mT8_S1C_bDpT10_ENKUlT_T0_E_clISt17integral_constantIbLb0EES1O_IbLb1EEEEDaS1K_S1L_EUlS1K_E_NS1_11comp_targetILNS1_3genE8ELNS1_11target_archE1030ELNS1_3gpuE2ELNS1_3repE0EEENS1_30default_config_static_selectorELNS0_4arch9wavefront6targetE1EEEvSY_ ; -- Begin function _ZN7rocprim17ROCPRIM_400000_NS6detail17trampoline_kernelINS0_13select_configILj256ELj13ELNS0_17block_load_methodE3ELS4_3ELS4_3ELNS0_20block_scan_algorithmE0ELj4294967295EEENS1_25partition_config_selectorILNS1_17partition_subalgoE3EjNS0_10empty_typeEbEEZZNS1_14partition_implILS8_3ELb0ES6_jNS0_17counting_iteratorIjlEEPS9_SE_NS0_5tupleIJPjSE_EEENSF_IJSE_SE_EEES9_SG_JZNS1_25segmented_radix_sort_implINS0_14default_configELb0EPKiPiPKlPlN2at6native12_GLOBAL__N_18offset_tEEE10hipError_tPvRmT1_PNSt15iterator_traitsISY_E10value_typeET2_T3_PNSZ_IS14_E10value_typeET4_jRbjT5_S1A_jjP12ihipStream_tbEUljE_EEESV_SW_SX_S14_S18_S1A_T6_T7_T9_mT8_S1C_bDpT10_ENKUlT_T0_E_clISt17integral_constantIbLb0EES1O_IbLb1EEEEDaS1K_S1L_EUlS1K_E_NS1_11comp_targetILNS1_3genE8ELNS1_11target_archE1030ELNS1_3gpuE2ELNS1_3repE0EEENS1_30default_config_static_selectorELNS0_4arch9wavefront6targetE1EEEvSY_
	.p2align	8
	.type	_ZN7rocprim17ROCPRIM_400000_NS6detail17trampoline_kernelINS0_13select_configILj256ELj13ELNS0_17block_load_methodE3ELS4_3ELS4_3ELNS0_20block_scan_algorithmE0ELj4294967295EEENS1_25partition_config_selectorILNS1_17partition_subalgoE3EjNS0_10empty_typeEbEEZZNS1_14partition_implILS8_3ELb0ES6_jNS0_17counting_iteratorIjlEEPS9_SE_NS0_5tupleIJPjSE_EEENSF_IJSE_SE_EEES9_SG_JZNS1_25segmented_radix_sort_implINS0_14default_configELb0EPKiPiPKlPlN2at6native12_GLOBAL__N_18offset_tEEE10hipError_tPvRmT1_PNSt15iterator_traitsISY_E10value_typeET2_T3_PNSZ_IS14_E10value_typeET4_jRbjT5_S1A_jjP12ihipStream_tbEUljE_EEESV_SW_SX_S14_S18_S1A_T6_T7_T9_mT8_S1C_bDpT10_ENKUlT_T0_E_clISt17integral_constantIbLb0EES1O_IbLb1EEEEDaS1K_S1L_EUlS1K_E_NS1_11comp_targetILNS1_3genE8ELNS1_11target_archE1030ELNS1_3gpuE2ELNS1_3repE0EEENS1_30default_config_static_selectorELNS0_4arch9wavefront6targetE1EEEvSY_,@function
_ZN7rocprim17ROCPRIM_400000_NS6detail17trampoline_kernelINS0_13select_configILj256ELj13ELNS0_17block_load_methodE3ELS4_3ELS4_3ELNS0_20block_scan_algorithmE0ELj4294967295EEENS1_25partition_config_selectorILNS1_17partition_subalgoE3EjNS0_10empty_typeEbEEZZNS1_14partition_implILS8_3ELb0ES6_jNS0_17counting_iteratorIjlEEPS9_SE_NS0_5tupleIJPjSE_EEENSF_IJSE_SE_EEES9_SG_JZNS1_25segmented_radix_sort_implINS0_14default_configELb0EPKiPiPKlPlN2at6native12_GLOBAL__N_18offset_tEEE10hipError_tPvRmT1_PNSt15iterator_traitsISY_E10value_typeET2_T3_PNSZ_IS14_E10value_typeET4_jRbjT5_S1A_jjP12ihipStream_tbEUljE_EEESV_SW_SX_S14_S18_S1A_T6_T7_T9_mT8_S1C_bDpT10_ENKUlT_T0_E_clISt17integral_constantIbLb0EES1O_IbLb1EEEEDaS1K_S1L_EUlS1K_E_NS1_11comp_targetILNS1_3genE8ELNS1_11target_archE1030ELNS1_3gpuE2ELNS1_3repE0EEENS1_30default_config_static_selectorELNS0_4arch9wavefront6targetE1EEEvSY_: ; @_ZN7rocprim17ROCPRIM_400000_NS6detail17trampoline_kernelINS0_13select_configILj256ELj13ELNS0_17block_load_methodE3ELS4_3ELS4_3ELNS0_20block_scan_algorithmE0ELj4294967295EEENS1_25partition_config_selectorILNS1_17partition_subalgoE3EjNS0_10empty_typeEbEEZZNS1_14partition_implILS8_3ELb0ES6_jNS0_17counting_iteratorIjlEEPS9_SE_NS0_5tupleIJPjSE_EEENSF_IJSE_SE_EEES9_SG_JZNS1_25segmented_radix_sort_implINS0_14default_configELb0EPKiPiPKlPlN2at6native12_GLOBAL__N_18offset_tEEE10hipError_tPvRmT1_PNSt15iterator_traitsISY_E10value_typeET2_T3_PNSZ_IS14_E10value_typeET4_jRbjT5_S1A_jjP12ihipStream_tbEUljE_EEESV_SW_SX_S14_S18_S1A_T6_T7_T9_mT8_S1C_bDpT10_ENKUlT_T0_E_clISt17integral_constantIbLb0EES1O_IbLb1EEEEDaS1K_S1L_EUlS1K_E_NS1_11comp_targetILNS1_3genE8ELNS1_11target_archE1030ELNS1_3gpuE2ELNS1_3repE0EEENS1_30default_config_static_selectorELNS0_4arch9wavefront6targetE1EEEvSY_
; %bb.0:
	.section	.rodata,"a",@progbits
	.p2align	6, 0x0
	.amdhsa_kernel _ZN7rocprim17ROCPRIM_400000_NS6detail17trampoline_kernelINS0_13select_configILj256ELj13ELNS0_17block_load_methodE3ELS4_3ELS4_3ELNS0_20block_scan_algorithmE0ELj4294967295EEENS1_25partition_config_selectorILNS1_17partition_subalgoE3EjNS0_10empty_typeEbEEZZNS1_14partition_implILS8_3ELb0ES6_jNS0_17counting_iteratorIjlEEPS9_SE_NS0_5tupleIJPjSE_EEENSF_IJSE_SE_EEES9_SG_JZNS1_25segmented_radix_sort_implINS0_14default_configELb0EPKiPiPKlPlN2at6native12_GLOBAL__N_18offset_tEEE10hipError_tPvRmT1_PNSt15iterator_traitsISY_E10value_typeET2_T3_PNSZ_IS14_E10value_typeET4_jRbjT5_S1A_jjP12ihipStream_tbEUljE_EEESV_SW_SX_S14_S18_S1A_T6_T7_T9_mT8_S1C_bDpT10_ENKUlT_T0_E_clISt17integral_constantIbLb0EES1O_IbLb1EEEEDaS1K_S1L_EUlS1K_E_NS1_11comp_targetILNS1_3genE8ELNS1_11target_archE1030ELNS1_3gpuE2ELNS1_3repE0EEENS1_30default_config_static_selectorELNS0_4arch9wavefront6targetE1EEEvSY_
		.amdhsa_group_segment_fixed_size 0
		.amdhsa_private_segment_fixed_size 0
		.amdhsa_kernarg_size 152
		.amdhsa_user_sgpr_count 6
		.amdhsa_user_sgpr_private_segment_buffer 1
		.amdhsa_user_sgpr_dispatch_ptr 0
		.amdhsa_user_sgpr_queue_ptr 0
		.amdhsa_user_sgpr_kernarg_segment_ptr 1
		.amdhsa_user_sgpr_dispatch_id 0
		.amdhsa_user_sgpr_flat_scratch_init 0
		.amdhsa_user_sgpr_private_segment_size 0
		.amdhsa_uses_dynamic_stack 0
		.amdhsa_system_sgpr_private_segment_wavefront_offset 0
		.amdhsa_system_sgpr_workgroup_id_x 1
		.amdhsa_system_sgpr_workgroup_id_y 0
		.amdhsa_system_sgpr_workgroup_id_z 0
		.amdhsa_system_sgpr_workgroup_info 0
		.amdhsa_system_vgpr_workitem_id 0
		.amdhsa_next_free_vgpr 1
		.amdhsa_next_free_sgpr 0
		.amdhsa_reserve_vcc 0
		.amdhsa_reserve_flat_scratch 0
		.amdhsa_float_round_mode_32 0
		.amdhsa_float_round_mode_16_64 0
		.amdhsa_float_denorm_mode_32 3
		.amdhsa_float_denorm_mode_16_64 3
		.amdhsa_dx10_clamp 1
		.amdhsa_ieee_mode 1
		.amdhsa_fp16_overflow 0
		.amdhsa_exception_fp_ieee_invalid_op 0
		.amdhsa_exception_fp_denorm_src 0
		.amdhsa_exception_fp_ieee_div_zero 0
		.amdhsa_exception_fp_ieee_overflow 0
		.amdhsa_exception_fp_ieee_underflow 0
		.amdhsa_exception_fp_ieee_inexact 0
		.amdhsa_exception_int_div_zero 0
	.end_amdhsa_kernel
	.section	.text._ZN7rocprim17ROCPRIM_400000_NS6detail17trampoline_kernelINS0_13select_configILj256ELj13ELNS0_17block_load_methodE3ELS4_3ELS4_3ELNS0_20block_scan_algorithmE0ELj4294967295EEENS1_25partition_config_selectorILNS1_17partition_subalgoE3EjNS0_10empty_typeEbEEZZNS1_14partition_implILS8_3ELb0ES6_jNS0_17counting_iteratorIjlEEPS9_SE_NS0_5tupleIJPjSE_EEENSF_IJSE_SE_EEES9_SG_JZNS1_25segmented_radix_sort_implINS0_14default_configELb0EPKiPiPKlPlN2at6native12_GLOBAL__N_18offset_tEEE10hipError_tPvRmT1_PNSt15iterator_traitsISY_E10value_typeET2_T3_PNSZ_IS14_E10value_typeET4_jRbjT5_S1A_jjP12ihipStream_tbEUljE_EEESV_SW_SX_S14_S18_S1A_T6_T7_T9_mT8_S1C_bDpT10_ENKUlT_T0_E_clISt17integral_constantIbLb0EES1O_IbLb1EEEEDaS1K_S1L_EUlS1K_E_NS1_11comp_targetILNS1_3genE8ELNS1_11target_archE1030ELNS1_3gpuE2ELNS1_3repE0EEENS1_30default_config_static_selectorELNS0_4arch9wavefront6targetE1EEEvSY_,"axG",@progbits,_ZN7rocprim17ROCPRIM_400000_NS6detail17trampoline_kernelINS0_13select_configILj256ELj13ELNS0_17block_load_methodE3ELS4_3ELS4_3ELNS0_20block_scan_algorithmE0ELj4294967295EEENS1_25partition_config_selectorILNS1_17partition_subalgoE3EjNS0_10empty_typeEbEEZZNS1_14partition_implILS8_3ELb0ES6_jNS0_17counting_iteratorIjlEEPS9_SE_NS0_5tupleIJPjSE_EEENSF_IJSE_SE_EEES9_SG_JZNS1_25segmented_radix_sort_implINS0_14default_configELb0EPKiPiPKlPlN2at6native12_GLOBAL__N_18offset_tEEE10hipError_tPvRmT1_PNSt15iterator_traitsISY_E10value_typeET2_T3_PNSZ_IS14_E10value_typeET4_jRbjT5_S1A_jjP12ihipStream_tbEUljE_EEESV_SW_SX_S14_S18_S1A_T6_T7_T9_mT8_S1C_bDpT10_ENKUlT_T0_E_clISt17integral_constantIbLb0EES1O_IbLb1EEEEDaS1K_S1L_EUlS1K_E_NS1_11comp_targetILNS1_3genE8ELNS1_11target_archE1030ELNS1_3gpuE2ELNS1_3repE0EEENS1_30default_config_static_selectorELNS0_4arch9wavefront6targetE1EEEvSY_,comdat
.Lfunc_end599:
	.size	_ZN7rocprim17ROCPRIM_400000_NS6detail17trampoline_kernelINS0_13select_configILj256ELj13ELNS0_17block_load_methodE3ELS4_3ELS4_3ELNS0_20block_scan_algorithmE0ELj4294967295EEENS1_25partition_config_selectorILNS1_17partition_subalgoE3EjNS0_10empty_typeEbEEZZNS1_14partition_implILS8_3ELb0ES6_jNS0_17counting_iteratorIjlEEPS9_SE_NS0_5tupleIJPjSE_EEENSF_IJSE_SE_EEES9_SG_JZNS1_25segmented_radix_sort_implINS0_14default_configELb0EPKiPiPKlPlN2at6native12_GLOBAL__N_18offset_tEEE10hipError_tPvRmT1_PNSt15iterator_traitsISY_E10value_typeET2_T3_PNSZ_IS14_E10value_typeET4_jRbjT5_S1A_jjP12ihipStream_tbEUljE_EEESV_SW_SX_S14_S18_S1A_T6_T7_T9_mT8_S1C_bDpT10_ENKUlT_T0_E_clISt17integral_constantIbLb0EES1O_IbLb1EEEEDaS1K_S1L_EUlS1K_E_NS1_11comp_targetILNS1_3genE8ELNS1_11target_archE1030ELNS1_3gpuE2ELNS1_3repE0EEENS1_30default_config_static_selectorELNS0_4arch9wavefront6targetE1EEEvSY_, .Lfunc_end599-_ZN7rocprim17ROCPRIM_400000_NS6detail17trampoline_kernelINS0_13select_configILj256ELj13ELNS0_17block_load_methodE3ELS4_3ELS4_3ELNS0_20block_scan_algorithmE0ELj4294967295EEENS1_25partition_config_selectorILNS1_17partition_subalgoE3EjNS0_10empty_typeEbEEZZNS1_14partition_implILS8_3ELb0ES6_jNS0_17counting_iteratorIjlEEPS9_SE_NS0_5tupleIJPjSE_EEENSF_IJSE_SE_EEES9_SG_JZNS1_25segmented_radix_sort_implINS0_14default_configELb0EPKiPiPKlPlN2at6native12_GLOBAL__N_18offset_tEEE10hipError_tPvRmT1_PNSt15iterator_traitsISY_E10value_typeET2_T3_PNSZ_IS14_E10value_typeET4_jRbjT5_S1A_jjP12ihipStream_tbEUljE_EEESV_SW_SX_S14_S18_S1A_T6_T7_T9_mT8_S1C_bDpT10_ENKUlT_T0_E_clISt17integral_constantIbLb0EES1O_IbLb1EEEEDaS1K_S1L_EUlS1K_E_NS1_11comp_targetILNS1_3genE8ELNS1_11target_archE1030ELNS1_3gpuE2ELNS1_3repE0EEENS1_30default_config_static_selectorELNS0_4arch9wavefront6targetE1EEEvSY_
                                        ; -- End function
	.set _ZN7rocprim17ROCPRIM_400000_NS6detail17trampoline_kernelINS0_13select_configILj256ELj13ELNS0_17block_load_methodE3ELS4_3ELS4_3ELNS0_20block_scan_algorithmE0ELj4294967295EEENS1_25partition_config_selectorILNS1_17partition_subalgoE3EjNS0_10empty_typeEbEEZZNS1_14partition_implILS8_3ELb0ES6_jNS0_17counting_iteratorIjlEEPS9_SE_NS0_5tupleIJPjSE_EEENSF_IJSE_SE_EEES9_SG_JZNS1_25segmented_radix_sort_implINS0_14default_configELb0EPKiPiPKlPlN2at6native12_GLOBAL__N_18offset_tEEE10hipError_tPvRmT1_PNSt15iterator_traitsISY_E10value_typeET2_T3_PNSZ_IS14_E10value_typeET4_jRbjT5_S1A_jjP12ihipStream_tbEUljE_EEESV_SW_SX_S14_S18_S1A_T6_T7_T9_mT8_S1C_bDpT10_ENKUlT_T0_E_clISt17integral_constantIbLb0EES1O_IbLb1EEEEDaS1K_S1L_EUlS1K_E_NS1_11comp_targetILNS1_3genE8ELNS1_11target_archE1030ELNS1_3gpuE2ELNS1_3repE0EEENS1_30default_config_static_selectorELNS0_4arch9wavefront6targetE1EEEvSY_.num_vgpr, 0
	.set _ZN7rocprim17ROCPRIM_400000_NS6detail17trampoline_kernelINS0_13select_configILj256ELj13ELNS0_17block_load_methodE3ELS4_3ELS4_3ELNS0_20block_scan_algorithmE0ELj4294967295EEENS1_25partition_config_selectorILNS1_17partition_subalgoE3EjNS0_10empty_typeEbEEZZNS1_14partition_implILS8_3ELb0ES6_jNS0_17counting_iteratorIjlEEPS9_SE_NS0_5tupleIJPjSE_EEENSF_IJSE_SE_EEES9_SG_JZNS1_25segmented_radix_sort_implINS0_14default_configELb0EPKiPiPKlPlN2at6native12_GLOBAL__N_18offset_tEEE10hipError_tPvRmT1_PNSt15iterator_traitsISY_E10value_typeET2_T3_PNSZ_IS14_E10value_typeET4_jRbjT5_S1A_jjP12ihipStream_tbEUljE_EEESV_SW_SX_S14_S18_S1A_T6_T7_T9_mT8_S1C_bDpT10_ENKUlT_T0_E_clISt17integral_constantIbLb0EES1O_IbLb1EEEEDaS1K_S1L_EUlS1K_E_NS1_11comp_targetILNS1_3genE8ELNS1_11target_archE1030ELNS1_3gpuE2ELNS1_3repE0EEENS1_30default_config_static_selectorELNS0_4arch9wavefront6targetE1EEEvSY_.num_agpr, 0
	.set _ZN7rocprim17ROCPRIM_400000_NS6detail17trampoline_kernelINS0_13select_configILj256ELj13ELNS0_17block_load_methodE3ELS4_3ELS4_3ELNS0_20block_scan_algorithmE0ELj4294967295EEENS1_25partition_config_selectorILNS1_17partition_subalgoE3EjNS0_10empty_typeEbEEZZNS1_14partition_implILS8_3ELb0ES6_jNS0_17counting_iteratorIjlEEPS9_SE_NS0_5tupleIJPjSE_EEENSF_IJSE_SE_EEES9_SG_JZNS1_25segmented_radix_sort_implINS0_14default_configELb0EPKiPiPKlPlN2at6native12_GLOBAL__N_18offset_tEEE10hipError_tPvRmT1_PNSt15iterator_traitsISY_E10value_typeET2_T3_PNSZ_IS14_E10value_typeET4_jRbjT5_S1A_jjP12ihipStream_tbEUljE_EEESV_SW_SX_S14_S18_S1A_T6_T7_T9_mT8_S1C_bDpT10_ENKUlT_T0_E_clISt17integral_constantIbLb0EES1O_IbLb1EEEEDaS1K_S1L_EUlS1K_E_NS1_11comp_targetILNS1_3genE8ELNS1_11target_archE1030ELNS1_3gpuE2ELNS1_3repE0EEENS1_30default_config_static_selectorELNS0_4arch9wavefront6targetE1EEEvSY_.numbered_sgpr, 0
	.set _ZN7rocprim17ROCPRIM_400000_NS6detail17trampoline_kernelINS0_13select_configILj256ELj13ELNS0_17block_load_methodE3ELS4_3ELS4_3ELNS0_20block_scan_algorithmE0ELj4294967295EEENS1_25partition_config_selectorILNS1_17partition_subalgoE3EjNS0_10empty_typeEbEEZZNS1_14partition_implILS8_3ELb0ES6_jNS0_17counting_iteratorIjlEEPS9_SE_NS0_5tupleIJPjSE_EEENSF_IJSE_SE_EEES9_SG_JZNS1_25segmented_radix_sort_implINS0_14default_configELb0EPKiPiPKlPlN2at6native12_GLOBAL__N_18offset_tEEE10hipError_tPvRmT1_PNSt15iterator_traitsISY_E10value_typeET2_T3_PNSZ_IS14_E10value_typeET4_jRbjT5_S1A_jjP12ihipStream_tbEUljE_EEESV_SW_SX_S14_S18_S1A_T6_T7_T9_mT8_S1C_bDpT10_ENKUlT_T0_E_clISt17integral_constantIbLb0EES1O_IbLb1EEEEDaS1K_S1L_EUlS1K_E_NS1_11comp_targetILNS1_3genE8ELNS1_11target_archE1030ELNS1_3gpuE2ELNS1_3repE0EEENS1_30default_config_static_selectorELNS0_4arch9wavefront6targetE1EEEvSY_.num_named_barrier, 0
	.set _ZN7rocprim17ROCPRIM_400000_NS6detail17trampoline_kernelINS0_13select_configILj256ELj13ELNS0_17block_load_methodE3ELS4_3ELS4_3ELNS0_20block_scan_algorithmE0ELj4294967295EEENS1_25partition_config_selectorILNS1_17partition_subalgoE3EjNS0_10empty_typeEbEEZZNS1_14partition_implILS8_3ELb0ES6_jNS0_17counting_iteratorIjlEEPS9_SE_NS0_5tupleIJPjSE_EEENSF_IJSE_SE_EEES9_SG_JZNS1_25segmented_radix_sort_implINS0_14default_configELb0EPKiPiPKlPlN2at6native12_GLOBAL__N_18offset_tEEE10hipError_tPvRmT1_PNSt15iterator_traitsISY_E10value_typeET2_T3_PNSZ_IS14_E10value_typeET4_jRbjT5_S1A_jjP12ihipStream_tbEUljE_EEESV_SW_SX_S14_S18_S1A_T6_T7_T9_mT8_S1C_bDpT10_ENKUlT_T0_E_clISt17integral_constantIbLb0EES1O_IbLb1EEEEDaS1K_S1L_EUlS1K_E_NS1_11comp_targetILNS1_3genE8ELNS1_11target_archE1030ELNS1_3gpuE2ELNS1_3repE0EEENS1_30default_config_static_selectorELNS0_4arch9wavefront6targetE1EEEvSY_.private_seg_size, 0
	.set _ZN7rocprim17ROCPRIM_400000_NS6detail17trampoline_kernelINS0_13select_configILj256ELj13ELNS0_17block_load_methodE3ELS4_3ELS4_3ELNS0_20block_scan_algorithmE0ELj4294967295EEENS1_25partition_config_selectorILNS1_17partition_subalgoE3EjNS0_10empty_typeEbEEZZNS1_14partition_implILS8_3ELb0ES6_jNS0_17counting_iteratorIjlEEPS9_SE_NS0_5tupleIJPjSE_EEENSF_IJSE_SE_EEES9_SG_JZNS1_25segmented_radix_sort_implINS0_14default_configELb0EPKiPiPKlPlN2at6native12_GLOBAL__N_18offset_tEEE10hipError_tPvRmT1_PNSt15iterator_traitsISY_E10value_typeET2_T3_PNSZ_IS14_E10value_typeET4_jRbjT5_S1A_jjP12ihipStream_tbEUljE_EEESV_SW_SX_S14_S18_S1A_T6_T7_T9_mT8_S1C_bDpT10_ENKUlT_T0_E_clISt17integral_constantIbLb0EES1O_IbLb1EEEEDaS1K_S1L_EUlS1K_E_NS1_11comp_targetILNS1_3genE8ELNS1_11target_archE1030ELNS1_3gpuE2ELNS1_3repE0EEENS1_30default_config_static_selectorELNS0_4arch9wavefront6targetE1EEEvSY_.uses_vcc, 0
	.set _ZN7rocprim17ROCPRIM_400000_NS6detail17trampoline_kernelINS0_13select_configILj256ELj13ELNS0_17block_load_methodE3ELS4_3ELS4_3ELNS0_20block_scan_algorithmE0ELj4294967295EEENS1_25partition_config_selectorILNS1_17partition_subalgoE3EjNS0_10empty_typeEbEEZZNS1_14partition_implILS8_3ELb0ES6_jNS0_17counting_iteratorIjlEEPS9_SE_NS0_5tupleIJPjSE_EEENSF_IJSE_SE_EEES9_SG_JZNS1_25segmented_radix_sort_implINS0_14default_configELb0EPKiPiPKlPlN2at6native12_GLOBAL__N_18offset_tEEE10hipError_tPvRmT1_PNSt15iterator_traitsISY_E10value_typeET2_T3_PNSZ_IS14_E10value_typeET4_jRbjT5_S1A_jjP12ihipStream_tbEUljE_EEESV_SW_SX_S14_S18_S1A_T6_T7_T9_mT8_S1C_bDpT10_ENKUlT_T0_E_clISt17integral_constantIbLb0EES1O_IbLb1EEEEDaS1K_S1L_EUlS1K_E_NS1_11comp_targetILNS1_3genE8ELNS1_11target_archE1030ELNS1_3gpuE2ELNS1_3repE0EEENS1_30default_config_static_selectorELNS0_4arch9wavefront6targetE1EEEvSY_.uses_flat_scratch, 0
	.set _ZN7rocprim17ROCPRIM_400000_NS6detail17trampoline_kernelINS0_13select_configILj256ELj13ELNS0_17block_load_methodE3ELS4_3ELS4_3ELNS0_20block_scan_algorithmE0ELj4294967295EEENS1_25partition_config_selectorILNS1_17partition_subalgoE3EjNS0_10empty_typeEbEEZZNS1_14partition_implILS8_3ELb0ES6_jNS0_17counting_iteratorIjlEEPS9_SE_NS0_5tupleIJPjSE_EEENSF_IJSE_SE_EEES9_SG_JZNS1_25segmented_radix_sort_implINS0_14default_configELb0EPKiPiPKlPlN2at6native12_GLOBAL__N_18offset_tEEE10hipError_tPvRmT1_PNSt15iterator_traitsISY_E10value_typeET2_T3_PNSZ_IS14_E10value_typeET4_jRbjT5_S1A_jjP12ihipStream_tbEUljE_EEESV_SW_SX_S14_S18_S1A_T6_T7_T9_mT8_S1C_bDpT10_ENKUlT_T0_E_clISt17integral_constantIbLb0EES1O_IbLb1EEEEDaS1K_S1L_EUlS1K_E_NS1_11comp_targetILNS1_3genE8ELNS1_11target_archE1030ELNS1_3gpuE2ELNS1_3repE0EEENS1_30default_config_static_selectorELNS0_4arch9wavefront6targetE1EEEvSY_.has_dyn_sized_stack, 0
	.set _ZN7rocprim17ROCPRIM_400000_NS6detail17trampoline_kernelINS0_13select_configILj256ELj13ELNS0_17block_load_methodE3ELS4_3ELS4_3ELNS0_20block_scan_algorithmE0ELj4294967295EEENS1_25partition_config_selectorILNS1_17partition_subalgoE3EjNS0_10empty_typeEbEEZZNS1_14partition_implILS8_3ELb0ES6_jNS0_17counting_iteratorIjlEEPS9_SE_NS0_5tupleIJPjSE_EEENSF_IJSE_SE_EEES9_SG_JZNS1_25segmented_radix_sort_implINS0_14default_configELb0EPKiPiPKlPlN2at6native12_GLOBAL__N_18offset_tEEE10hipError_tPvRmT1_PNSt15iterator_traitsISY_E10value_typeET2_T3_PNSZ_IS14_E10value_typeET4_jRbjT5_S1A_jjP12ihipStream_tbEUljE_EEESV_SW_SX_S14_S18_S1A_T6_T7_T9_mT8_S1C_bDpT10_ENKUlT_T0_E_clISt17integral_constantIbLb0EES1O_IbLb1EEEEDaS1K_S1L_EUlS1K_E_NS1_11comp_targetILNS1_3genE8ELNS1_11target_archE1030ELNS1_3gpuE2ELNS1_3repE0EEENS1_30default_config_static_selectorELNS0_4arch9wavefront6targetE1EEEvSY_.has_recursion, 0
	.set _ZN7rocprim17ROCPRIM_400000_NS6detail17trampoline_kernelINS0_13select_configILj256ELj13ELNS0_17block_load_methodE3ELS4_3ELS4_3ELNS0_20block_scan_algorithmE0ELj4294967295EEENS1_25partition_config_selectorILNS1_17partition_subalgoE3EjNS0_10empty_typeEbEEZZNS1_14partition_implILS8_3ELb0ES6_jNS0_17counting_iteratorIjlEEPS9_SE_NS0_5tupleIJPjSE_EEENSF_IJSE_SE_EEES9_SG_JZNS1_25segmented_radix_sort_implINS0_14default_configELb0EPKiPiPKlPlN2at6native12_GLOBAL__N_18offset_tEEE10hipError_tPvRmT1_PNSt15iterator_traitsISY_E10value_typeET2_T3_PNSZ_IS14_E10value_typeET4_jRbjT5_S1A_jjP12ihipStream_tbEUljE_EEESV_SW_SX_S14_S18_S1A_T6_T7_T9_mT8_S1C_bDpT10_ENKUlT_T0_E_clISt17integral_constantIbLb0EES1O_IbLb1EEEEDaS1K_S1L_EUlS1K_E_NS1_11comp_targetILNS1_3genE8ELNS1_11target_archE1030ELNS1_3gpuE2ELNS1_3repE0EEENS1_30default_config_static_selectorELNS0_4arch9wavefront6targetE1EEEvSY_.has_indirect_call, 0
	.section	.AMDGPU.csdata,"",@progbits
; Kernel info:
; codeLenInByte = 0
; TotalNumSgprs: 4
; NumVgprs: 0
; ScratchSize: 0
; MemoryBound: 0
; FloatMode: 240
; IeeeMode: 1
; LDSByteSize: 0 bytes/workgroup (compile time only)
; SGPRBlocks: 0
; VGPRBlocks: 0
; NumSGPRsForWavesPerEU: 4
; NumVGPRsForWavesPerEU: 1
; Occupancy: 10
; WaveLimiterHint : 0
; COMPUTE_PGM_RSRC2:SCRATCH_EN: 0
; COMPUTE_PGM_RSRC2:USER_SGPR: 6
; COMPUTE_PGM_RSRC2:TRAP_HANDLER: 0
; COMPUTE_PGM_RSRC2:TGID_X_EN: 1
; COMPUTE_PGM_RSRC2:TGID_Y_EN: 0
; COMPUTE_PGM_RSRC2:TGID_Z_EN: 0
; COMPUTE_PGM_RSRC2:TIDIG_COMP_CNT: 0
	.section	.text._ZN7rocprim17ROCPRIM_400000_NS6detail17trampoline_kernelINS0_14default_configENS1_36segmented_radix_sort_config_selectorIilEEZNS1_25segmented_radix_sort_implIS3_Lb0EPKiPiPKlPlN2at6native12_GLOBAL__N_18offset_tEEE10hipError_tPvRmT1_PNSt15iterator_traitsISK_E10value_typeET2_T3_PNSL_ISQ_E10value_typeET4_jRbjT5_SW_jjP12ihipStream_tbEUlT_E_NS1_11comp_targetILNS1_3genE0ELNS1_11target_archE4294967295ELNS1_3gpuE0ELNS1_3repE0EEENS1_30default_config_static_selectorELNS0_4arch9wavefront6targetE1EEEvSK_,"axG",@progbits,_ZN7rocprim17ROCPRIM_400000_NS6detail17trampoline_kernelINS0_14default_configENS1_36segmented_radix_sort_config_selectorIilEEZNS1_25segmented_radix_sort_implIS3_Lb0EPKiPiPKlPlN2at6native12_GLOBAL__N_18offset_tEEE10hipError_tPvRmT1_PNSt15iterator_traitsISK_E10value_typeET2_T3_PNSL_ISQ_E10value_typeET4_jRbjT5_SW_jjP12ihipStream_tbEUlT_E_NS1_11comp_targetILNS1_3genE0ELNS1_11target_archE4294967295ELNS1_3gpuE0ELNS1_3repE0EEENS1_30default_config_static_selectorELNS0_4arch9wavefront6targetE1EEEvSK_,comdat
	.globl	_ZN7rocprim17ROCPRIM_400000_NS6detail17trampoline_kernelINS0_14default_configENS1_36segmented_radix_sort_config_selectorIilEEZNS1_25segmented_radix_sort_implIS3_Lb0EPKiPiPKlPlN2at6native12_GLOBAL__N_18offset_tEEE10hipError_tPvRmT1_PNSt15iterator_traitsISK_E10value_typeET2_T3_PNSL_ISQ_E10value_typeET4_jRbjT5_SW_jjP12ihipStream_tbEUlT_E_NS1_11comp_targetILNS1_3genE0ELNS1_11target_archE4294967295ELNS1_3gpuE0ELNS1_3repE0EEENS1_30default_config_static_selectorELNS0_4arch9wavefront6targetE1EEEvSK_ ; -- Begin function _ZN7rocprim17ROCPRIM_400000_NS6detail17trampoline_kernelINS0_14default_configENS1_36segmented_radix_sort_config_selectorIilEEZNS1_25segmented_radix_sort_implIS3_Lb0EPKiPiPKlPlN2at6native12_GLOBAL__N_18offset_tEEE10hipError_tPvRmT1_PNSt15iterator_traitsISK_E10value_typeET2_T3_PNSL_ISQ_E10value_typeET4_jRbjT5_SW_jjP12ihipStream_tbEUlT_E_NS1_11comp_targetILNS1_3genE0ELNS1_11target_archE4294967295ELNS1_3gpuE0ELNS1_3repE0EEENS1_30default_config_static_selectorELNS0_4arch9wavefront6targetE1EEEvSK_
	.p2align	8
	.type	_ZN7rocprim17ROCPRIM_400000_NS6detail17trampoline_kernelINS0_14default_configENS1_36segmented_radix_sort_config_selectorIilEEZNS1_25segmented_radix_sort_implIS3_Lb0EPKiPiPKlPlN2at6native12_GLOBAL__N_18offset_tEEE10hipError_tPvRmT1_PNSt15iterator_traitsISK_E10value_typeET2_T3_PNSL_ISQ_E10value_typeET4_jRbjT5_SW_jjP12ihipStream_tbEUlT_E_NS1_11comp_targetILNS1_3genE0ELNS1_11target_archE4294967295ELNS1_3gpuE0ELNS1_3repE0EEENS1_30default_config_static_selectorELNS0_4arch9wavefront6targetE1EEEvSK_,@function
_ZN7rocprim17ROCPRIM_400000_NS6detail17trampoline_kernelINS0_14default_configENS1_36segmented_radix_sort_config_selectorIilEEZNS1_25segmented_radix_sort_implIS3_Lb0EPKiPiPKlPlN2at6native12_GLOBAL__N_18offset_tEEE10hipError_tPvRmT1_PNSt15iterator_traitsISK_E10value_typeET2_T3_PNSL_ISQ_E10value_typeET4_jRbjT5_SW_jjP12ihipStream_tbEUlT_E_NS1_11comp_targetILNS1_3genE0ELNS1_11target_archE4294967295ELNS1_3gpuE0ELNS1_3repE0EEENS1_30default_config_static_selectorELNS0_4arch9wavefront6targetE1EEEvSK_: ; @_ZN7rocprim17ROCPRIM_400000_NS6detail17trampoline_kernelINS0_14default_configENS1_36segmented_radix_sort_config_selectorIilEEZNS1_25segmented_radix_sort_implIS3_Lb0EPKiPiPKlPlN2at6native12_GLOBAL__N_18offset_tEEE10hipError_tPvRmT1_PNSt15iterator_traitsISK_E10value_typeET2_T3_PNSL_ISQ_E10value_typeET4_jRbjT5_SW_jjP12ihipStream_tbEUlT_E_NS1_11comp_targetILNS1_3genE0ELNS1_11target_archE4294967295ELNS1_3gpuE0ELNS1_3repE0EEENS1_30default_config_static_selectorELNS0_4arch9wavefront6targetE1EEEvSK_
; %bb.0:
	.section	.rodata,"a",@progbits
	.p2align	6, 0x0
	.amdhsa_kernel _ZN7rocprim17ROCPRIM_400000_NS6detail17trampoline_kernelINS0_14default_configENS1_36segmented_radix_sort_config_selectorIilEEZNS1_25segmented_radix_sort_implIS3_Lb0EPKiPiPKlPlN2at6native12_GLOBAL__N_18offset_tEEE10hipError_tPvRmT1_PNSt15iterator_traitsISK_E10value_typeET2_T3_PNSL_ISQ_E10value_typeET4_jRbjT5_SW_jjP12ihipStream_tbEUlT_E_NS1_11comp_targetILNS1_3genE0ELNS1_11target_archE4294967295ELNS1_3gpuE0ELNS1_3repE0EEENS1_30default_config_static_selectorELNS0_4arch9wavefront6targetE1EEEvSK_
		.amdhsa_group_segment_fixed_size 0
		.amdhsa_private_segment_fixed_size 0
		.amdhsa_kernarg_size 96
		.amdhsa_user_sgpr_count 6
		.amdhsa_user_sgpr_private_segment_buffer 1
		.amdhsa_user_sgpr_dispatch_ptr 0
		.amdhsa_user_sgpr_queue_ptr 0
		.amdhsa_user_sgpr_kernarg_segment_ptr 1
		.amdhsa_user_sgpr_dispatch_id 0
		.amdhsa_user_sgpr_flat_scratch_init 0
		.amdhsa_user_sgpr_private_segment_size 0
		.amdhsa_uses_dynamic_stack 0
		.amdhsa_system_sgpr_private_segment_wavefront_offset 0
		.amdhsa_system_sgpr_workgroup_id_x 1
		.amdhsa_system_sgpr_workgroup_id_y 0
		.amdhsa_system_sgpr_workgroup_id_z 0
		.amdhsa_system_sgpr_workgroup_info 0
		.amdhsa_system_vgpr_workitem_id 0
		.amdhsa_next_free_vgpr 1
		.amdhsa_next_free_sgpr 0
		.amdhsa_reserve_vcc 0
		.amdhsa_reserve_flat_scratch 0
		.amdhsa_float_round_mode_32 0
		.amdhsa_float_round_mode_16_64 0
		.amdhsa_float_denorm_mode_32 3
		.amdhsa_float_denorm_mode_16_64 3
		.amdhsa_dx10_clamp 1
		.amdhsa_ieee_mode 1
		.amdhsa_fp16_overflow 0
		.amdhsa_exception_fp_ieee_invalid_op 0
		.amdhsa_exception_fp_denorm_src 0
		.amdhsa_exception_fp_ieee_div_zero 0
		.amdhsa_exception_fp_ieee_overflow 0
		.amdhsa_exception_fp_ieee_underflow 0
		.amdhsa_exception_fp_ieee_inexact 0
		.amdhsa_exception_int_div_zero 0
	.end_amdhsa_kernel
	.section	.text._ZN7rocprim17ROCPRIM_400000_NS6detail17trampoline_kernelINS0_14default_configENS1_36segmented_radix_sort_config_selectorIilEEZNS1_25segmented_radix_sort_implIS3_Lb0EPKiPiPKlPlN2at6native12_GLOBAL__N_18offset_tEEE10hipError_tPvRmT1_PNSt15iterator_traitsISK_E10value_typeET2_T3_PNSL_ISQ_E10value_typeET4_jRbjT5_SW_jjP12ihipStream_tbEUlT_E_NS1_11comp_targetILNS1_3genE0ELNS1_11target_archE4294967295ELNS1_3gpuE0ELNS1_3repE0EEENS1_30default_config_static_selectorELNS0_4arch9wavefront6targetE1EEEvSK_,"axG",@progbits,_ZN7rocprim17ROCPRIM_400000_NS6detail17trampoline_kernelINS0_14default_configENS1_36segmented_radix_sort_config_selectorIilEEZNS1_25segmented_radix_sort_implIS3_Lb0EPKiPiPKlPlN2at6native12_GLOBAL__N_18offset_tEEE10hipError_tPvRmT1_PNSt15iterator_traitsISK_E10value_typeET2_T3_PNSL_ISQ_E10value_typeET4_jRbjT5_SW_jjP12ihipStream_tbEUlT_E_NS1_11comp_targetILNS1_3genE0ELNS1_11target_archE4294967295ELNS1_3gpuE0ELNS1_3repE0EEENS1_30default_config_static_selectorELNS0_4arch9wavefront6targetE1EEEvSK_,comdat
.Lfunc_end600:
	.size	_ZN7rocprim17ROCPRIM_400000_NS6detail17trampoline_kernelINS0_14default_configENS1_36segmented_radix_sort_config_selectorIilEEZNS1_25segmented_radix_sort_implIS3_Lb0EPKiPiPKlPlN2at6native12_GLOBAL__N_18offset_tEEE10hipError_tPvRmT1_PNSt15iterator_traitsISK_E10value_typeET2_T3_PNSL_ISQ_E10value_typeET4_jRbjT5_SW_jjP12ihipStream_tbEUlT_E_NS1_11comp_targetILNS1_3genE0ELNS1_11target_archE4294967295ELNS1_3gpuE0ELNS1_3repE0EEENS1_30default_config_static_selectorELNS0_4arch9wavefront6targetE1EEEvSK_, .Lfunc_end600-_ZN7rocprim17ROCPRIM_400000_NS6detail17trampoline_kernelINS0_14default_configENS1_36segmented_radix_sort_config_selectorIilEEZNS1_25segmented_radix_sort_implIS3_Lb0EPKiPiPKlPlN2at6native12_GLOBAL__N_18offset_tEEE10hipError_tPvRmT1_PNSt15iterator_traitsISK_E10value_typeET2_T3_PNSL_ISQ_E10value_typeET4_jRbjT5_SW_jjP12ihipStream_tbEUlT_E_NS1_11comp_targetILNS1_3genE0ELNS1_11target_archE4294967295ELNS1_3gpuE0ELNS1_3repE0EEENS1_30default_config_static_selectorELNS0_4arch9wavefront6targetE1EEEvSK_
                                        ; -- End function
	.set _ZN7rocprim17ROCPRIM_400000_NS6detail17trampoline_kernelINS0_14default_configENS1_36segmented_radix_sort_config_selectorIilEEZNS1_25segmented_radix_sort_implIS3_Lb0EPKiPiPKlPlN2at6native12_GLOBAL__N_18offset_tEEE10hipError_tPvRmT1_PNSt15iterator_traitsISK_E10value_typeET2_T3_PNSL_ISQ_E10value_typeET4_jRbjT5_SW_jjP12ihipStream_tbEUlT_E_NS1_11comp_targetILNS1_3genE0ELNS1_11target_archE4294967295ELNS1_3gpuE0ELNS1_3repE0EEENS1_30default_config_static_selectorELNS0_4arch9wavefront6targetE1EEEvSK_.num_vgpr, 0
	.set _ZN7rocprim17ROCPRIM_400000_NS6detail17trampoline_kernelINS0_14default_configENS1_36segmented_radix_sort_config_selectorIilEEZNS1_25segmented_radix_sort_implIS3_Lb0EPKiPiPKlPlN2at6native12_GLOBAL__N_18offset_tEEE10hipError_tPvRmT1_PNSt15iterator_traitsISK_E10value_typeET2_T3_PNSL_ISQ_E10value_typeET4_jRbjT5_SW_jjP12ihipStream_tbEUlT_E_NS1_11comp_targetILNS1_3genE0ELNS1_11target_archE4294967295ELNS1_3gpuE0ELNS1_3repE0EEENS1_30default_config_static_selectorELNS0_4arch9wavefront6targetE1EEEvSK_.num_agpr, 0
	.set _ZN7rocprim17ROCPRIM_400000_NS6detail17trampoline_kernelINS0_14default_configENS1_36segmented_radix_sort_config_selectorIilEEZNS1_25segmented_radix_sort_implIS3_Lb0EPKiPiPKlPlN2at6native12_GLOBAL__N_18offset_tEEE10hipError_tPvRmT1_PNSt15iterator_traitsISK_E10value_typeET2_T3_PNSL_ISQ_E10value_typeET4_jRbjT5_SW_jjP12ihipStream_tbEUlT_E_NS1_11comp_targetILNS1_3genE0ELNS1_11target_archE4294967295ELNS1_3gpuE0ELNS1_3repE0EEENS1_30default_config_static_selectorELNS0_4arch9wavefront6targetE1EEEvSK_.numbered_sgpr, 0
	.set _ZN7rocprim17ROCPRIM_400000_NS6detail17trampoline_kernelINS0_14default_configENS1_36segmented_radix_sort_config_selectorIilEEZNS1_25segmented_radix_sort_implIS3_Lb0EPKiPiPKlPlN2at6native12_GLOBAL__N_18offset_tEEE10hipError_tPvRmT1_PNSt15iterator_traitsISK_E10value_typeET2_T3_PNSL_ISQ_E10value_typeET4_jRbjT5_SW_jjP12ihipStream_tbEUlT_E_NS1_11comp_targetILNS1_3genE0ELNS1_11target_archE4294967295ELNS1_3gpuE0ELNS1_3repE0EEENS1_30default_config_static_selectorELNS0_4arch9wavefront6targetE1EEEvSK_.num_named_barrier, 0
	.set _ZN7rocprim17ROCPRIM_400000_NS6detail17trampoline_kernelINS0_14default_configENS1_36segmented_radix_sort_config_selectorIilEEZNS1_25segmented_radix_sort_implIS3_Lb0EPKiPiPKlPlN2at6native12_GLOBAL__N_18offset_tEEE10hipError_tPvRmT1_PNSt15iterator_traitsISK_E10value_typeET2_T3_PNSL_ISQ_E10value_typeET4_jRbjT5_SW_jjP12ihipStream_tbEUlT_E_NS1_11comp_targetILNS1_3genE0ELNS1_11target_archE4294967295ELNS1_3gpuE0ELNS1_3repE0EEENS1_30default_config_static_selectorELNS0_4arch9wavefront6targetE1EEEvSK_.private_seg_size, 0
	.set _ZN7rocprim17ROCPRIM_400000_NS6detail17trampoline_kernelINS0_14default_configENS1_36segmented_radix_sort_config_selectorIilEEZNS1_25segmented_radix_sort_implIS3_Lb0EPKiPiPKlPlN2at6native12_GLOBAL__N_18offset_tEEE10hipError_tPvRmT1_PNSt15iterator_traitsISK_E10value_typeET2_T3_PNSL_ISQ_E10value_typeET4_jRbjT5_SW_jjP12ihipStream_tbEUlT_E_NS1_11comp_targetILNS1_3genE0ELNS1_11target_archE4294967295ELNS1_3gpuE0ELNS1_3repE0EEENS1_30default_config_static_selectorELNS0_4arch9wavefront6targetE1EEEvSK_.uses_vcc, 0
	.set _ZN7rocprim17ROCPRIM_400000_NS6detail17trampoline_kernelINS0_14default_configENS1_36segmented_radix_sort_config_selectorIilEEZNS1_25segmented_radix_sort_implIS3_Lb0EPKiPiPKlPlN2at6native12_GLOBAL__N_18offset_tEEE10hipError_tPvRmT1_PNSt15iterator_traitsISK_E10value_typeET2_T3_PNSL_ISQ_E10value_typeET4_jRbjT5_SW_jjP12ihipStream_tbEUlT_E_NS1_11comp_targetILNS1_3genE0ELNS1_11target_archE4294967295ELNS1_3gpuE0ELNS1_3repE0EEENS1_30default_config_static_selectorELNS0_4arch9wavefront6targetE1EEEvSK_.uses_flat_scratch, 0
	.set _ZN7rocprim17ROCPRIM_400000_NS6detail17trampoline_kernelINS0_14default_configENS1_36segmented_radix_sort_config_selectorIilEEZNS1_25segmented_radix_sort_implIS3_Lb0EPKiPiPKlPlN2at6native12_GLOBAL__N_18offset_tEEE10hipError_tPvRmT1_PNSt15iterator_traitsISK_E10value_typeET2_T3_PNSL_ISQ_E10value_typeET4_jRbjT5_SW_jjP12ihipStream_tbEUlT_E_NS1_11comp_targetILNS1_3genE0ELNS1_11target_archE4294967295ELNS1_3gpuE0ELNS1_3repE0EEENS1_30default_config_static_selectorELNS0_4arch9wavefront6targetE1EEEvSK_.has_dyn_sized_stack, 0
	.set _ZN7rocprim17ROCPRIM_400000_NS6detail17trampoline_kernelINS0_14default_configENS1_36segmented_radix_sort_config_selectorIilEEZNS1_25segmented_radix_sort_implIS3_Lb0EPKiPiPKlPlN2at6native12_GLOBAL__N_18offset_tEEE10hipError_tPvRmT1_PNSt15iterator_traitsISK_E10value_typeET2_T3_PNSL_ISQ_E10value_typeET4_jRbjT5_SW_jjP12ihipStream_tbEUlT_E_NS1_11comp_targetILNS1_3genE0ELNS1_11target_archE4294967295ELNS1_3gpuE0ELNS1_3repE0EEENS1_30default_config_static_selectorELNS0_4arch9wavefront6targetE1EEEvSK_.has_recursion, 0
	.set _ZN7rocprim17ROCPRIM_400000_NS6detail17trampoline_kernelINS0_14default_configENS1_36segmented_radix_sort_config_selectorIilEEZNS1_25segmented_radix_sort_implIS3_Lb0EPKiPiPKlPlN2at6native12_GLOBAL__N_18offset_tEEE10hipError_tPvRmT1_PNSt15iterator_traitsISK_E10value_typeET2_T3_PNSL_ISQ_E10value_typeET4_jRbjT5_SW_jjP12ihipStream_tbEUlT_E_NS1_11comp_targetILNS1_3genE0ELNS1_11target_archE4294967295ELNS1_3gpuE0ELNS1_3repE0EEENS1_30default_config_static_selectorELNS0_4arch9wavefront6targetE1EEEvSK_.has_indirect_call, 0
	.section	.AMDGPU.csdata,"",@progbits
; Kernel info:
; codeLenInByte = 0
; TotalNumSgprs: 4
; NumVgprs: 0
; ScratchSize: 0
; MemoryBound: 0
; FloatMode: 240
; IeeeMode: 1
; LDSByteSize: 0 bytes/workgroup (compile time only)
; SGPRBlocks: 0
; VGPRBlocks: 0
; NumSGPRsForWavesPerEU: 4
; NumVGPRsForWavesPerEU: 1
; Occupancy: 10
; WaveLimiterHint : 0
; COMPUTE_PGM_RSRC2:SCRATCH_EN: 0
; COMPUTE_PGM_RSRC2:USER_SGPR: 6
; COMPUTE_PGM_RSRC2:TRAP_HANDLER: 0
; COMPUTE_PGM_RSRC2:TGID_X_EN: 1
; COMPUTE_PGM_RSRC2:TGID_Y_EN: 0
; COMPUTE_PGM_RSRC2:TGID_Z_EN: 0
; COMPUTE_PGM_RSRC2:TIDIG_COMP_CNT: 0
	.section	.text._ZN7rocprim17ROCPRIM_400000_NS6detail17trampoline_kernelINS0_14default_configENS1_36segmented_radix_sort_config_selectorIilEEZNS1_25segmented_radix_sort_implIS3_Lb0EPKiPiPKlPlN2at6native12_GLOBAL__N_18offset_tEEE10hipError_tPvRmT1_PNSt15iterator_traitsISK_E10value_typeET2_T3_PNSL_ISQ_E10value_typeET4_jRbjT5_SW_jjP12ihipStream_tbEUlT_E_NS1_11comp_targetILNS1_3genE5ELNS1_11target_archE942ELNS1_3gpuE9ELNS1_3repE0EEENS1_30default_config_static_selectorELNS0_4arch9wavefront6targetE1EEEvSK_,"axG",@progbits,_ZN7rocprim17ROCPRIM_400000_NS6detail17trampoline_kernelINS0_14default_configENS1_36segmented_radix_sort_config_selectorIilEEZNS1_25segmented_radix_sort_implIS3_Lb0EPKiPiPKlPlN2at6native12_GLOBAL__N_18offset_tEEE10hipError_tPvRmT1_PNSt15iterator_traitsISK_E10value_typeET2_T3_PNSL_ISQ_E10value_typeET4_jRbjT5_SW_jjP12ihipStream_tbEUlT_E_NS1_11comp_targetILNS1_3genE5ELNS1_11target_archE942ELNS1_3gpuE9ELNS1_3repE0EEENS1_30default_config_static_selectorELNS0_4arch9wavefront6targetE1EEEvSK_,comdat
	.globl	_ZN7rocprim17ROCPRIM_400000_NS6detail17trampoline_kernelINS0_14default_configENS1_36segmented_radix_sort_config_selectorIilEEZNS1_25segmented_radix_sort_implIS3_Lb0EPKiPiPKlPlN2at6native12_GLOBAL__N_18offset_tEEE10hipError_tPvRmT1_PNSt15iterator_traitsISK_E10value_typeET2_T3_PNSL_ISQ_E10value_typeET4_jRbjT5_SW_jjP12ihipStream_tbEUlT_E_NS1_11comp_targetILNS1_3genE5ELNS1_11target_archE942ELNS1_3gpuE9ELNS1_3repE0EEENS1_30default_config_static_selectorELNS0_4arch9wavefront6targetE1EEEvSK_ ; -- Begin function _ZN7rocprim17ROCPRIM_400000_NS6detail17trampoline_kernelINS0_14default_configENS1_36segmented_radix_sort_config_selectorIilEEZNS1_25segmented_radix_sort_implIS3_Lb0EPKiPiPKlPlN2at6native12_GLOBAL__N_18offset_tEEE10hipError_tPvRmT1_PNSt15iterator_traitsISK_E10value_typeET2_T3_PNSL_ISQ_E10value_typeET4_jRbjT5_SW_jjP12ihipStream_tbEUlT_E_NS1_11comp_targetILNS1_3genE5ELNS1_11target_archE942ELNS1_3gpuE9ELNS1_3repE0EEENS1_30default_config_static_selectorELNS0_4arch9wavefront6targetE1EEEvSK_
	.p2align	8
	.type	_ZN7rocprim17ROCPRIM_400000_NS6detail17trampoline_kernelINS0_14default_configENS1_36segmented_radix_sort_config_selectorIilEEZNS1_25segmented_radix_sort_implIS3_Lb0EPKiPiPKlPlN2at6native12_GLOBAL__N_18offset_tEEE10hipError_tPvRmT1_PNSt15iterator_traitsISK_E10value_typeET2_T3_PNSL_ISQ_E10value_typeET4_jRbjT5_SW_jjP12ihipStream_tbEUlT_E_NS1_11comp_targetILNS1_3genE5ELNS1_11target_archE942ELNS1_3gpuE9ELNS1_3repE0EEENS1_30default_config_static_selectorELNS0_4arch9wavefront6targetE1EEEvSK_,@function
_ZN7rocprim17ROCPRIM_400000_NS6detail17trampoline_kernelINS0_14default_configENS1_36segmented_radix_sort_config_selectorIilEEZNS1_25segmented_radix_sort_implIS3_Lb0EPKiPiPKlPlN2at6native12_GLOBAL__N_18offset_tEEE10hipError_tPvRmT1_PNSt15iterator_traitsISK_E10value_typeET2_T3_PNSL_ISQ_E10value_typeET4_jRbjT5_SW_jjP12ihipStream_tbEUlT_E_NS1_11comp_targetILNS1_3genE5ELNS1_11target_archE942ELNS1_3gpuE9ELNS1_3repE0EEENS1_30default_config_static_selectorELNS0_4arch9wavefront6targetE1EEEvSK_: ; @_ZN7rocprim17ROCPRIM_400000_NS6detail17trampoline_kernelINS0_14default_configENS1_36segmented_radix_sort_config_selectorIilEEZNS1_25segmented_radix_sort_implIS3_Lb0EPKiPiPKlPlN2at6native12_GLOBAL__N_18offset_tEEE10hipError_tPvRmT1_PNSt15iterator_traitsISK_E10value_typeET2_T3_PNSL_ISQ_E10value_typeET4_jRbjT5_SW_jjP12ihipStream_tbEUlT_E_NS1_11comp_targetILNS1_3genE5ELNS1_11target_archE942ELNS1_3gpuE9ELNS1_3repE0EEENS1_30default_config_static_selectorELNS0_4arch9wavefront6targetE1EEEvSK_
; %bb.0:
	.section	.rodata,"a",@progbits
	.p2align	6, 0x0
	.amdhsa_kernel _ZN7rocprim17ROCPRIM_400000_NS6detail17trampoline_kernelINS0_14default_configENS1_36segmented_radix_sort_config_selectorIilEEZNS1_25segmented_radix_sort_implIS3_Lb0EPKiPiPKlPlN2at6native12_GLOBAL__N_18offset_tEEE10hipError_tPvRmT1_PNSt15iterator_traitsISK_E10value_typeET2_T3_PNSL_ISQ_E10value_typeET4_jRbjT5_SW_jjP12ihipStream_tbEUlT_E_NS1_11comp_targetILNS1_3genE5ELNS1_11target_archE942ELNS1_3gpuE9ELNS1_3repE0EEENS1_30default_config_static_selectorELNS0_4arch9wavefront6targetE1EEEvSK_
		.amdhsa_group_segment_fixed_size 0
		.amdhsa_private_segment_fixed_size 0
		.amdhsa_kernarg_size 96
		.amdhsa_user_sgpr_count 6
		.amdhsa_user_sgpr_private_segment_buffer 1
		.amdhsa_user_sgpr_dispatch_ptr 0
		.amdhsa_user_sgpr_queue_ptr 0
		.amdhsa_user_sgpr_kernarg_segment_ptr 1
		.amdhsa_user_sgpr_dispatch_id 0
		.amdhsa_user_sgpr_flat_scratch_init 0
		.amdhsa_user_sgpr_private_segment_size 0
		.amdhsa_uses_dynamic_stack 0
		.amdhsa_system_sgpr_private_segment_wavefront_offset 0
		.amdhsa_system_sgpr_workgroup_id_x 1
		.amdhsa_system_sgpr_workgroup_id_y 0
		.amdhsa_system_sgpr_workgroup_id_z 0
		.amdhsa_system_sgpr_workgroup_info 0
		.amdhsa_system_vgpr_workitem_id 0
		.amdhsa_next_free_vgpr 1
		.amdhsa_next_free_sgpr 0
		.amdhsa_reserve_vcc 0
		.amdhsa_reserve_flat_scratch 0
		.amdhsa_float_round_mode_32 0
		.amdhsa_float_round_mode_16_64 0
		.amdhsa_float_denorm_mode_32 3
		.amdhsa_float_denorm_mode_16_64 3
		.amdhsa_dx10_clamp 1
		.amdhsa_ieee_mode 1
		.amdhsa_fp16_overflow 0
		.amdhsa_exception_fp_ieee_invalid_op 0
		.amdhsa_exception_fp_denorm_src 0
		.amdhsa_exception_fp_ieee_div_zero 0
		.amdhsa_exception_fp_ieee_overflow 0
		.amdhsa_exception_fp_ieee_underflow 0
		.amdhsa_exception_fp_ieee_inexact 0
		.amdhsa_exception_int_div_zero 0
	.end_amdhsa_kernel
	.section	.text._ZN7rocprim17ROCPRIM_400000_NS6detail17trampoline_kernelINS0_14default_configENS1_36segmented_radix_sort_config_selectorIilEEZNS1_25segmented_radix_sort_implIS3_Lb0EPKiPiPKlPlN2at6native12_GLOBAL__N_18offset_tEEE10hipError_tPvRmT1_PNSt15iterator_traitsISK_E10value_typeET2_T3_PNSL_ISQ_E10value_typeET4_jRbjT5_SW_jjP12ihipStream_tbEUlT_E_NS1_11comp_targetILNS1_3genE5ELNS1_11target_archE942ELNS1_3gpuE9ELNS1_3repE0EEENS1_30default_config_static_selectorELNS0_4arch9wavefront6targetE1EEEvSK_,"axG",@progbits,_ZN7rocprim17ROCPRIM_400000_NS6detail17trampoline_kernelINS0_14default_configENS1_36segmented_radix_sort_config_selectorIilEEZNS1_25segmented_radix_sort_implIS3_Lb0EPKiPiPKlPlN2at6native12_GLOBAL__N_18offset_tEEE10hipError_tPvRmT1_PNSt15iterator_traitsISK_E10value_typeET2_T3_PNSL_ISQ_E10value_typeET4_jRbjT5_SW_jjP12ihipStream_tbEUlT_E_NS1_11comp_targetILNS1_3genE5ELNS1_11target_archE942ELNS1_3gpuE9ELNS1_3repE0EEENS1_30default_config_static_selectorELNS0_4arch9wavefront6targetE1EEEvSK_,comdat
.Lfunc_end601:
	.size	_ZN7rocprim17ROCPRIM_400000_NS6detail17trampoline_kernelINS0_14default_configENS1_36segmented_radix_sort_config_selectorIilEEZNS1_25segmented_radix_sort_implIS3_Lb0EPKiPiPKlPlN2at6native12_GLOBAL__N_18offset_tEEE10hipError_tPvRmT1_PNSt15iterator_traitsISK_E10value_typeET2_T3_PNSL_ISQ_E10value_typeET4_jRbjT5_SW_jjP12ihipStream_tbEUlT_E_NS1_11comp_targetILNS1_3genE5ELNS1_11target_archE942ELNS1_3gpuE9ELNS1_3repE0EEENS1_30default_config_static_selectorELNS0_4arch9wavefront6targetE1EEEvSK_, .Lfunc_end601-_ZN7rocprim17ROCPRIM_400000_NS6detail17trampoline_kernelINS0_14default_configENS1_36segmented_radix_sort_config_selectorIilEEZNS1_25segmented_radix_sort_implIS3_Lb0EPKiPiPKlPlN2at6native12_GLOBAL__N_18offset_tEEE10hipError_tPvRmT1_PNSt15iterator_traitsISK_E10value_typeET2_T3_PNSL_ISQ_E10value_typeET4_jRbjT5_SW_jjP12ihipStream_tbEUlT_E_NS1_11comp_targetILNS1_3genE5ELNS1_11target_archE942ELNS1_3gpuE9ELNS1_3repE0EEENS1_30default_config_static_selectorELNS0_4arch9wavefront6targetE1EEEvSK_
                                        ; -- End function
	.set _ZN7rocprim17ROCPRIM_400000_NS6detail17trampoline_kernelINS0_14default_configENS1_36segmented_radix_sort_config_selectorIilEEZNS1_25segmented_radix_sort_implIS3_Lb0EPKiPiPKlPlN2at6native12_GLOBAL__N_18offset_tEEE10hipError_tPvRmT1_PNSt15iterator_traitsISK_E10value_typeET2_T3_PNSL_ISQ_E10value_typeET4_jRbjT5_SW_jjP12ihipStream_tbEUlT_E_NS1_11comp_targetILNS1_3genE5ELNS1_11target_archE942ELNS1_3gpuE9ELNS1_3repE0EEENS1_30default_config_static_selectorELNS0_4arch9wavefront6targetE1EEEvSK_.num_vgpr, 0
	.set _ZN7rocprim17ROCPRIM_400000_NS6detail17trampoline_kernelINS0_14default_configENS1_36segmented_radix_sort_config_selectorIilEEZNS1_25segmented_radix_sort_implIS3_Lb0EPKiPiPKlPlN2at6native12_GLOBAL__N_18offset_tEEE10hipError_tPvRmT1_PNSt15iterator_traitsISK_E10value_typeET2_T3_PNSL_ISQ_E10value_typeET4_jRbjT5_SW_jjP12ihipStream_tbEUlT_E_NS1_11comp_targetILNS1_3genE5ELNS1_11target_archE942ELNS1_3gpuE9ELNS1_3repE0EEENS1_30default_config_static_selectorELNS0_4arch9wavefront6targetE1EEEvSK_.num_agpr, 0
	.set _ZN7rocprim17ROCPRIM_400000_NS6detail17trampoline_kernelINS0_14default_configENS1_36segmented_radix_sort_config_selectorIilEEZNS1_25segmented_radix_sort_implIS3_Lb0EPKiPiPKlPlN2at6native12_GLOBAL__N_18offset_tEEE10hipError_tPvRmT1_PNSt15iterator_traitsISK_E10value_typeET2_T3_PNSL_ISQ_E10value_typeET4_jRbjT5_SW_jjP12ihipStream_tbEUlT_E_NS1_11comp_targetILNS1_3genE5ELNS1_11target_archE942ELNS1_3gpuE9ELNS1_3repE0EEENS1_30default_config_static_selectorELNS0_4arch9wavefront6targetE1EEEvSK_.numbered_sgpr, 0
	.set _ZN7rocprim17ROCPRIM_400000_NS6detail17trampoline_kernelINS0_14default_configENS1_36segmented_radix_sort_config_selectorIilEEZNS1_25segmented_radix_sort_implIS3_Lb0EPKiPiPKlPlN2at6native12_GLOBAL__N_18offset_tEEE10hipError_tPvRmT1_PNSt15iterator_traitsISK_E10value_typeET2_T3_PNSL_ISQ_E10value_typeET4_jRbjT5_SW_jjP12ihipStream_tbEUlT_E_NS1_11comp_targetILNS1_3genE5ELNS1_11target_archE942ELNS1_3gpuE9ELNS1_3repE0EEENS1_30default_config_static_selectorELNS0_4arch9wavefront6targetE1EEEvSK_.num_named_barrier, 0
	.set _ZN7rocprim17ROCPRIM_400000_NS6detail17trampoline_kernelINS0_14default_configENS1_36segmented_radix_sort_config_selectorIilEEZNS1_25segmented_radix_sort_implIS3_Lb0EPKiPiPKlPlN2at6native12_GLOBAL__N_18offset_tEEE10hipError_tPvRmT1_PNSt15iterator_traitsISK_E10value_typeET2_T3_PNSL_ISQ_E10value_typeET4_jRbjT5_SW_jjP12ihipStream_tbEUlT_E_NS1_11comp_targetILNS1_3genE5ELNS1_11target_archE942ELNS1_3gpuE9ELNS1_3repE0EEENS1_30default_config_static_selectorELNS0_4arch9wavefront6targetE1EEEvSK_.private_seg_size, 0
	.set _ZN7rocprim17ROCPRIM_400000_NS6detail17trampoline_kernelINS0_14default_configENS1_36segmented_radix_sort_config_selectorIilEEZNS1_25segmented_radix_sort_implIS3_Lb0EPKiPiPKlPlN2at6native12_GLOBAL__N_18offset_tEEE10hipError_tPvRmT1_PNSt15iterator_traitsISK_E10value_typeET2_T3_PNSL_ISQ_E10value_typeET4_jRbjT5_SW_jjP12ihipStream_tbEUlT_E_NS1_11comp_targetILNS1_3genE5ELNS1_11target_archE942ELNS1_3gpuE9ELNS1_3repE0EEENS1_30default_config_static_selectorELNS0_4arch9wavefront6targetE1EEEvSK_.uses_vcc, 0
	.set _ZN7rocprim17ROCPRIM_400000_NS6detail17trampoline_kernelINS0_14default_configENS1_36segmented_radix_sort_config_selectorIilEEZNS1_25segmented_radix_sort_implIS3_Lb0EPKiPiPKlPlN2at6native12_GLOBAL__N_18offset_tEEE10hipError_tPvRmT1_PNSt15iterator_traitsISK_E10value_typeET2_T3_PNSL_ISQ_E10value_typeET4_jRbjT5_SW_jjP12ihipStream_tbEUlT_E_NS1_11comp_targetILNS1_3genE5ELNS1_11target_archE942ELNS1_3gpuE9ELNS1_3repE0EEENS1_30default_config_static_selectorELNS0_4arch9wavefront6targetE1EEEvSK_.uses_flat_scratch, 0
	.set _ZN7rocprim17ROCPRIM_400000_NS6detail17trampoline_kernelINS0_14default_configENS1_36segmented_radix_sort_config_selectorIilEEZNS1_25segmented_radix_sort_implIS3_Lb0EPKiPiPKlPlN2at6native12_GLOBAL__N_18offset_tEEE10hipError_tPvRmT1_PNSt15iterator_traitsISK_E10value_typeET2_T3_PNSL_ISQ_E10value_typeET4_jRbjT5_SW_jjP12ihipStream_tbEUlT_E_NS1_11comp_targetILNS1_3genE5ELNS1_11target_archE942ELNS1_3gpuE9ELNS1_3repE0EEENS1_30default_config_static_selectorELNS0_4arch9wavefront6targetE1EEEvSK_.has_dyn_sized_stack, 0
	.set _ZN7rocprim17ROCPRIM_400000_NS6detail17trampoline_kernelINS0_14default_configENS1_36segmented_radix_sort_config_selectorIilEEZNS1_25segmented_radix_sort_implIS3_Lb0EPKiPiPKlPlN2at6native12_GLOBAL__N_18offset_tEEE10hipError_tPvRmT1_PNSt15iterator_traitsISK_E10value_typeET2_T3_PNSL_ISQ_E10value_typeET4_jRbjT5_SW_jjP12ihipStream_tbEUlT_E_NS1_11comp_targetILNS1_3genE5ELNS1_11target_archE942ELNS1_3gpuE9ELNS1_3repE0EEENS1_30default_config_static_selectorELNS0_4arch9wavefront6targetE1EEEvSK_.has_recursion, 0
	.set _ZN7rocprim17ROCPRIM_400000_NS6detail17trampoline_kernelINS0_14default_configENS1_36segmented_radix_sort_config_selectorIilEEZNS1_25segmented_radix_sort_implIS3_Lb0EPKiPiPKlPlN2at6native12_GLOBAL__N_18offset_tEEE10hipError_tPvRmT1_PNSt15iterator_traitsISK_E10value_typeET2_T3_PNSL_ISQ_E10value_typeET4_jRbjT5_SW_jjP12ihipStream_tbEUlT_E_NS1_11comp_targetILNS1_3genE5ELNS1_11target_archE942ELNS1_3gpuE9ELNS1_3repE0EEENS1_30default_config_static_selectorELNS0_4arch9wavefront6targetE1EEEvSK_.has_indirect_call, 0
	.section	.AMDGPU.csdata,"",@progbits
; Kernel info:
; codeLenInByte = 0
; TotalNumSgprs: 4
; NumVgprs: 0
; ScratchSize: 0
; MemoryBound: 0
; FloatMode: 240
; IeeeMode: 1
; LDSByteSize: 0 bytes/workgroup (compile time only)
; SGPRBlocks: 0
; VGPRBlocks: 0
; NumSGPRsForWavesPerEU: 4
; NumVGPRsForWavesPerEU: 1
; Occupancy: 10
; WaveLimiterHint : 0
; COMPUTE_PGM_RSRC2:SCRATCH_EN: 0
; COMPUTE_PGM_RSRC2:USER_SGPR: 6
; COMPUTE_PGM_RSRC2:TRAP_HANDLER: 0
; COMPUTE_PGM_RSRC2:TGID_X_EN: 1
; COMPUTE_PGM_RSRC2:TGID_Y_EN: 0
; COMPUTE_PGM_RSRC2:TGID_Z_EN: 0
; COMPUTE_PGM_RSRC2:TIDIG_COMP_CNT: 0
	.section	.text._ZN7rocprim17ROCPRIM_400000_NS6detail17trampoline_kernelINS0_14default_configENS1_36segmented_radix_sort_config_selectorIilEEZNS1_25segmented_radix_sort_implIS3_Lb0EPKiPiPKlPlN2at6native12_GLOBAL__N_18offset_tEEE10hipError_tPvRmT1_PNSt15iterator_traitsISK_E10value_typeET2_T3_PNSL_ISQ_E10value_typeET4_jRbjT5_SW_jjP12ihipStream_tbEUlT_E_NS1_11comp_targetILNS1_3genE4ELNS1_11target_archE910ELNS1_3gpuE8ELNS1_3repE0EEENS1_30default_config_static_selectorELNS0_4arch9wavefront6targetE1EEEvSK_,"axG",@progbits,_ZN7rocprim17ROCPRIM_400000_NS6detail17trampoline_kernelINS0_14default_configENS1_36segmented_radix_sort_config_selectorIilEEZNS1_25segmented_radix_sort_implIS3_Lb0EPKiPiPKlPlN2at6native12_GLOBAL__N_18offset_tEEE10hipError_tPvRmT1_PNSt15iterator_traitsISK_E10value_typeET2_T3_PNSL_ISQ_E10value_typeET4_jRbjT5_SW_jjP12ihipStream_tbEUlT_E_NS1_11comp_targetILNS1_3genE4ELNS1_11target_archE910ELNS1_3gpuE8ELNS1_3repE0EEENS1_30default_config_static_selectorELNS0_4arch9wavefront6targetE1EEEvSK_,comdat
	.globl	_ZN7rocprim17ROCPRIM_400000_NS6detail17trampoline_kernelINS0_14default_configENS1_36segmented_radix_sort_config_selectorIilEEZNS1_25segmented_radix_sort_implIS3_Lb0EPKiPiPKlPlN2at6native12_GLOBAL__N_18offset_tEEE10hipError_tPvRmT1_PNSt15iterator_traitsISK_E10value_typeET2_T3_PNSL_ISQ_E10value_typeET4_jRbjT5_SW_jjP12ihipStream_tbEUlT_E_NS1_11comp_targetILNS1_3genE4ELNS1_11target_archE910ELNS1_3gpuE8ELNS1_3repE0EEENS1_30default_config_static_selectorELNS0_4arch9wavefront6targetE1EEEvSK_ ; -- Begin function _ZN7rocprim17ROCPRIM_400000_NS6detail17trampoline_kernelINS0_14default_configENS1_36segmented_radix_sort_config_selectorIilEEZNS1_25segmented_radix_sort_implIS3_Lb0EPKiPiPKlPlN2at6native12_GLOBAL__N_18offset_tEEE10hipError_tPvRmT1_PNSt15iterator_traitsISK_E10value_typeET2_T3_PNSL_ISQ_E10value_typeET4_jRbjT5_SW_jjP12ihipStream_tbEUlT_E_NS1_11comp_targetILNS1_3genE4ELNS1_11target_archE910ELNS1_3gpuE8ELNS1_3repE0EEENS1_30default_config_static_selectorELNS0_4arch9wavefront6targetE1EEEvSK_
	.p2align	8
	.type	_ZN7rocprim17ROCPRIM_400000_NS6detail17trampoline_kernelINS0_14default_configENS1_36segmented_radix_sort_config_selectorIilEEZNS1_25segmented_radix_sort_implIS3_Lb0EPKiPiPKlPlN2at6native12_GLOBAL__N_18offset_tEEE10hipError_tPvRmT1_PNSt15iterator_traitsISK_E10value_typeET2_T3_PNSL_ISQ_E10value_typeET4_jRbjT5_SW_jjP12ihipStream_tbEUlT_E_NS1_11comp_targetILNS1_3genE4ELNS1_11target_archE910ELNS1_3gpuE8ELNS1_3repE0EEENS1_30default_config_static_selectorELNS0_4arch9wavefront6targetE1EEEvSK_,@function
_ZN7rocprim17ROCPRIM_400000_NS6detail17trampoline_kernelINS0_14default_configENS1_36segmented_radix_sort_config_selectorIilEEZNS1_25segmented_radix_sort_implIS3_Lb0EPKiPiPKlPlN2at6native12_GLOBAL__N_18offset_tEEE10hipError_tPvRmT1_PNSt15iterator_traitsISK_E10value_typeET2_T3_PNSL_ISQ_E10value_typeET4_jRbjT5_SW_jjP12ihipStream_tbEUlT_E_NS1_11comp_targetILNS1_3genE4ELNS1_11target_archE910ELNS1_3gpuE8ELNS1_3repE0EEENS1_30default_config_static_selectorELNS0_4arch9wavefront6targetE1EEEvSK_: ; @_ZN7rocprim17ROCPRIM_400000_NS6detail17trampoline_kernelINS0_14default_configENS1_36segmented_radix_sort_config_selectorIilEEZNS1_25segmented_radix_sort_implIS3_Lb0EPKiPiPKlPlN2at6native12_GLOBAL__N_18offset_tEEE10hipError_tPvRmT1_PNSt15iterator_traitsISK_E10value_typeET2_T3_PNSL_ISQ_E10value_typeET4_jRbjT5_SW_jjP12ihipStream_tbEUlT_E_NS1_11comp_targetILNS1_3genE4ELNS1_11target_archE910ELNS1_3gpuE8ELNS1_3repE0EEENS1_30default_config_static_selectorELNS0_4arch9wavefront6targetE1EEEvSK_
; %bb.0:
	.section	.rodata,"a",@progbits
	.p2align	6, 0x0
	.amdhsa_kernel _ZN7rocprim17ROCPRIM_400000_NS6detail17trampoline_kernelINS0_14default_configENS1_36segmented_radix_sort_config_selectorIilEEZNS1_25segmented_radix_sort_implIS3_Lb0EPKiPiPKlPlN2at6native12_GLOBAL__N_18offset_tEEE10hipError_tPvRmT1_PNSt15iterator_traitsISK_E10value_typeET2_T3_PNSL_ISQ_E10value_typeET4_jRbjT5_SW_jjP12ihipStream_tbEUlT_E_NS1_11comp_targetILNS1_3genE4ELNS1_11target_archE910ELNS1_3gpuE8ELNS1_3repE0EEENS1_30default_config_static_selectorELNS0_4arch9wavefront6targetE1EEEvSK_
		.amdhsa_group_segment_fixed_size 0
		.amdhsa_private_segment_fixed_size 0
		.amdhsa_kernarg_size 96
		.amdhsa_user_sgpr_count 6
		.amdhsa_user_sgpr_private_segment_buffer 1
		.amdhsa_user_sgpr_dispatch_ptr 0
		.amdhsa_user_sgpr_queue_ptr 0
		.amdhsa_user_sgpr_kernarg_segment_ptr 1
		.amdhsa_user_sgpr_dispatch_id 0
		.amdhsa_user_sgpr_flat_scratch_init 0
		.amdhsa_user_sgpr_private_segment_size 0
		.amdhsa_uses_dynamic_stack 0
		.amdhsa_system_sgpr_private_segment_wavefront_offset 0
		.amdhsa_system_sgpr_workgroup_id_x 1
		.amdhsa_system_sgpr_workgroup_id_y 0
		.amdhsa_system_sgpr_workgroup_id_z 0
		.amdhsa_system_sgpr_workgroup_info 0
		.amdhsa_system_vgpr_workitem_id 0
		.amdhsa_next_free_vgpr 1
		.amdhsa_next_free_sgpr 0
		.amdhsa_reserve_vcc 0
		.amdhsa_reserve_flat_scratch 0
		.amdhsa_float_round_mode_32 0
		.amdhsa_float_round_mode_16_64 0
		.amdhsa_float_denorm_mode_32 3
		.amdhsa_float_denorm_mode_16_64 3
		.amdhsa_dx10_clamp 1
		.amdhsa_ieee_mode 1
		.amdhsa_fp16_overflow 0
		.amdhsa_exception_fp_ieee_invalid_op 0
		.amdhsa_exception_fp_denorm_src 0
		.amdhsa_exception_fp_ieee_div_zero 0
		.amdhsa_exception_fp_ieee_overflow 0
		.amdhsa_exception_fp_ieee_underflow 0
		.amdhsa_exception_fp_ieee_inexact 0
		.amdhsa_exception_int_div_zero 0
	.end_amdhsa_kernel
	.section	.text._ZN7rocprim17ROCPRIM_400000_NS6detail17trampoline_kernelINS0_14default_configENS1_36segmented_radix_sort_config_selectorIilEEZNS1_25segmented_radix_sort_implIS3_Lb0EPKiPiPKlPlN2at6native12_GLOBAL__N_18offset_tEEE10hipError_tPvRmT1_PNSt15iterator_traitsISK_E10value_typeET2_T3_PNSL_ISQ_E10value_typeET4_jRbjT5_SW_jjP12ihipStream_tbEUlT_E_NS1_11comp_targetILNS1_3genE4ELNS1_11target_archE910ELNS1_3gpuE8ELNS1_3repE0EEENS1_30default_config_static_selectorELNS0_4arch9wavefront6targetE1EEEvSK_,"axG",@progbits,_ZN7rocprim17ROCPRIM_400000_NS6detail17trampoline_kernelINS0_14default_configENS1_36segmented_radix_sort_config_selectorIilEEZNS1_25segmented_radix_sort_implIS3_Lb0EPKiPiPKlPlN2at6native12_GLOBAL__N_18offset_tEEE10hipError_tPvRmT1_PNSt15iterator_traitsISK_E10value_typeET2_T3_PNSL_ISQ_E10value_typeET4_jRbjT5_SW_jjP12ihipStream_tbEUlT_E_NS1_11comp_targetILNS1_3genE4ELNS1_11target_archE910ELNS1_3gpuE8ELNS1_3repE0EEENS1_30default_config_static_selectorELNS0_4arch9wavefront6targetE1EEEvSK_,comdat
.Lfunc_end602:
	.size	_ZN7rocprim17ROCPRIM_400000_NS6detail17trampoline_kernelINS0_14default_configENS1_36segmented_radix_sort_config_selectorIilEEZNS1_25segmented_radix_sort_implIS3_Lb0EPKiPiPKlPlN2at6native12_GLOBAL__N_18offset_tEEE10hipError_tPvRmT1_PNSt15iterator_traitsISK_E10value_typeET2_T3_PNSL_ISQ_E10value_typeET4_jRbjT5_SW_jjP12ihipStream_tbEUlT_E_NS1_11comp_targetILNS1_3genE4ELNS1_11target_archE910ELNS1_3gpuE8ELNS1_3repE0EEENS1_30default_config_static_selectorELNS0_4arch9wavefront6targetE1EEEvSK_, .Lfunc_end602-_ZN7rocprim17ROCPRIM_400000_NS6detail17trampoline_kernelINS0_14default_configENS1_36segmented_radix_sort_config_selectorIilEEZNS1_25segmented_radix_sort_implIS3_Lb0EPKiPiPKlPlN2at6native12_GLOBAL__N_18offset_tEEE10hipError_tPvRmT1_PNSt15iterator_traitsISK_E10value_typeET2_T3_PNSL_ISQ_E10value_typeET4_jRbjT5_SW_jjP12ihipStream_tbEUlT_E_NS1_11comp_targetILNS1_3genE4ELNS1_11target_archE910ELNS1_3gpuE8ELNS1_3repE0EEENS1_30default_config_static_selectorELNS0_4arch9wavefront6targetE1EEEvSK_
                                        ; -- End function
	.set _ZN7rocprim17ROCPRIM_400000_NS6detail17trampoline_kernelINS0_14default_configENS1_36segmented_radix_sort_config_selectorIilEEZNS1_25segmented_radix_sort_implIS3_Lb0EPKiPiPKlPlN2at6native12_GLOBAL__N_18offset_tEEE10hipError_tPvRmT1_PNSt15iterator_traitsISK_E10value_typeET2_T3_PNSL_ISQ_E10value_typeET4_jRbjT5_SW_jjP12ihipStream_tbEUlT_E_NS1_11comp_targetILNS1_3genE4ELNS1_11target_archE910ELNS1_3gpuE8ELNS1_3repE0EEENS1_30default_config_static_selectorELNS0_4arch9wavefront6targetE1EEEvSK_.num_vgpr, 0
	.set _ZN7rocprim17ROCPRIM_400000_NS6detail17trampoline_kernelINS0_14default_configENS1_36segmented_radix_sort_config_selectorIilEEZNS1_25segmented_radix_sort_implIS3_Lb0EPKiPiPKlPlN2at6native12_GLOBAL__N_18offset_tEEE10hipError_tPvRmT1_PNSt15iterator_traitsISK_E10value_typeET2_T3_PNSL_ISQ_E10value_typeET4_jRbjT5_SW_jjP12ihipStream_tbEUlT_E_NS1_11comp_targetILNS1_3genE4ELNS1_11target_archE910ELNS1_3gpuE8ELNS1_3repE0EEENS1_30default_config_static_selectorELNS0_4arch9wavefront6targetE1EEEvSK_.num_agpr, 0
	.set _ZN7rocprim17ROCPRIM_400000_NS6detail17trampoline_kernelINS0_14default_configENS1_36segmented_radix_sort_config_selectorIilEEZNS1_25segmented_radix_sort_implIS3_Lb0EPKiPiPKlPlN2at6native12_GLOBAL__N_18offset_tEEE10hipError_tPvRmT1_PNSt15iterator_traitsISK_E10value_typeET2_T3_PNSL_ISQ_E10value_typeET4_jRbjT5_SW_jjP12ihipStream_tbEUlT_E_NS1_11comp_targetILNS1_3genE4ELNS1_11target_archE910ELNS1_3gpuE8ELNS1_3repE0EEENS1_30default_config_static_selectorELNS0_4arch9wavefront6targetE1EEEvSK_.numbered_sgpr, 0
	.set _ZN7rocprim17ROCPRIM_400000_NS6detail17trampoline_kernelINS0_14default_configENS1_36segmented_radix_sort_config_selectorIilEEZNS1_25segmented_radix_sort_implIS3_Lb0EPKiPiPKlPlN2at6native12_GLOBAL__N_18offset_tEEE10hipError_tPvRmT1_PNSt15iterator_traitsISK_E10value_typeET2_T3_PNSL_ISQ_E10value_typeET4_jRbjT5_SW_jjP12ihipStream_tbEUlT_E_NS1_11comp_targetILNS1_3genE4ELNS1_11target_archE910ELNS1_3gpuE8ELNS1_3repE0EEENS1_30default_config_static_selectorELNS0_4arch9wavefront6targetE1EEEvSK_.num_named_barrier, 0
	.set _ZN7rocprim17ROCPRIM_400000_NS6detail17trampoline_kernelINS0_14default_configENS1_36segmented_radix_sort_config_selectorIilEEZNS1_25segmented_radix_sort_implIS3_Lb0EPKiPiPKlPlN2at6native12_GLOBAL__N_18offset_tEEE10hipError_tPvRmT1_PNSt15iterator_traitsISK_E10value_typeET2_T3_PNSL_ISQ_E10value_typeET4_jRbjT5_SW_jjP12ihipStream_tbEUlT_E_NS1_11comp_targetILNS1_3genE4ELNS1_11target_archE910ELNS1_3gpuE8ELNS1_3repE0EEENS1_30default_config_static_selectorELNS0_4arch9wavefront6targetE1EEEvSK_.private_seg_size, 0
	.set _ZN7rocprim17ROCPRIM_400000_NS6detail17trampoline_kernelINS0_14default_configENS1_36segmented_radix_sort_config_selectorIilEEZNS1_25segmented_radix_sort_implIS3_Lb0EPKiPiPKlPlN2at6native12_GLOBAL__N_18offset_tEEE10hipError_tPvRmT1_PNSt15iterator_traitsISK_E10value_typeET2_T3_PNSL_ISQ_E10value_typeET4_jRbjT5_SW_jjP12ihipStream_tbEUlT_E_NS1_11comp_targetILNS1_3genE4ELNS1_11target_archE910ELNS1_3gpuE8ELNS1_3repE0EEENS1_30default_config_static_selectorELNS0_4arch9wavefront6targetE1EEEvSK_.uses_vcc, 0
	.set _ZN7rocprim17ROCPRIM_400000_NS6detail17trampoline_kernelINS0_14default_configENS1_36segmented_radix_sort_config_selectorIilEEZNS1_25segmented_radix_sort_implIS3_Lb0EPKiPiPKlPlN2at6native12_GLOBAL__N_18offset_tEEE10hipError_tPvRmT1_PNSt15iterator_traitsISK_E10value_typeET2_T3_PNSL_ISQ_E10value_typeET4_jRbjT5_SW_jjP12ihipStream_tbEUlT_E_NS1_11comp_targetILNS1_3genE4ELNS1_11target_archE910ELNS1_3gpuE8ELNS1_3repE0EEENS1_30default_config_static_selectorELNS0_4arch9wavefront6targetE1EEEvSK_.uses_flat_scratch, 0
	.set _ZN7rocprim17ROCPRIM_400000_NS6detail17trampoline_kernelINS0_14default_configENS1_36segmented_radix_sort_config_selectorIilEEZNS1_25segmented_radix_sort_implIS3_Lb0EPKiPiPKlPlN2at6native12_GLOBAL__N_18offset_tEEE10hipError_tPvRmT1_PNSt15iterator_traitsISK_E10value_typeET2_T3_PNSL_ISQ_E10value_typeET4_jRbjT5_SW_jjP12ihipStream_tbEUlT_E_NS1_11comp_targetILNS1_3genE4ELNS1_11target_archE910ELNS1_3gpuE8ELNS1_3repE0EEENS1_30default_config_static_selectorELNS0_4arch9wavefront6targetE1EEEvSK_.has_dyn_sized_stack, 0
	.set _ZN7rocprim17ROCPRIM_400000_NS6detail17trampoline_kernelINS0_14default_configENS1_36segmented_radix_sort_config_selectorIilEEZNS1_25segmented_radix_sort_implIS3_Lb0EPKiPiPKlPlN2at6native12_GLOBAL__N_18offset_tEEE10hipError_tPvRmT1_PNSt15iterator_traitsISK_E10value_typeET2_T3_PNSL_ISQ_E10value_typeET4_jRbjT5_SW_jjP12ihipStream_tbEUlT_E_NS1_11comp_targetILNS1_3genE4ELNS1_11target_archE910ELNS1_3gpuE8ELNS1_3repE0EEENS1_30default_config_static_selectorELNS0_4arch9wavefront6targetE1EEEvSK_.has_recursion, 0
	.set _ZN7rocprim17ROCPRIM_400000_NS6detail17trampoline_kernelINS0_14default_configENS1_36segmented_radix_sort_config_selectorIilEEZNS1_25segmented_radix_sort_implIS3_Lb0EPKiPiPKlPlN2at6native12_GLOBAL__N_18offset_tEEE10hipError_tPvRmT1_PNSt15iterator_traitsISK_E10value_typeET2_T3_PNSL_ISQ_E10value_typeET4_jRbjT5_SW_jjP12ihipStream_tbEUlT_E_NS1_11comp_targetILNS1_3genE4ELNS1_11target_archE910ELNS1_3gpuE8ELNS1_3repE0EEENS1_30default_config_static_selectorELNS0_4arch9wavefront6targetE1EEEvSK_.has_indirect_call, 0
	.section	.AMDGPU.csdata,"",@progbits
; Kernel info:
; codeLenInByte = 0
; TotalNumSgprs: 4
; NumVgprs: 0
; ScratchSize: 0
; MemoryBound: 0
; FloatMode: 240
; IeeeMode: 1
; LDSByteSize: 0 bytes/workgroup (compile time only)
; SGPRBlocks: 0
; VGPRBlocks: 0
; NumSGPRsForWavesPerEU: 4
; NumVGPRsForWavesPerEU: 1
; Occupancy: 10
; WaveLimiterHint : 0
; COMPUTE_PGM_RSRC2:SCRATCH_EN: 0
; COMPUTE_PGM_RSRC2:USER_SGPR: 6
; COMPUTE_PGM_RSRC2:TRAP_HANDLER: 0
; COMPUTE_PGM_RSRC2:TGID_X_EN: 1
; COMPUTE_PGM_RSRC2:TGID_Y_EN: 0
; COMPUTE_PGM_RSRC2:TGID_Z_EN: 0
; COMPUTE_PGM_RSRC2:TIDIG_COMP_CNT: 0
	.section	.text._ZN7rocprim17ROCPRIM_400000_NS6detail17trampoline_kernelINS0_14default_configENS1_36segmented_radix_sort_config_selectorIilEEZNS1_25segmented_radix_sort_implIS3_Lb0EPKiPiPKlPlN2at6native12_GLOBAL__N_18offset_tEEE10hipError_tPvRmT1_PNSt15iterator_traitsISK_E10value_typeET2_T3_PNSL_ISQ_E10value_typeET4_jRbjT5_SW_jjP12ihipStream_tbEUlT_E_NS1_11comp_targetILNS1_3genE3ELNS1_11target_archE908ELNS1_3gpuE7ELNS1_3repE0EEENS1_30default_config_static_selectorELNS0_4arch9wavefront6targetE1EEEvSK_,"axG",@progbits,_ZN7rocprim17ROCPRIM_400000_NS6detail17trampoline_kernelINS0_14default_configENS1_36segmented_radix_sort_config_selectorIilEEZNS1_25segmented_radix_sort_implIS3_Lb0EPKiPiPKlPlN2at6native12_GLOBAL__N_18offset_tEEE10hipError_tPvRmT1_PNSt15iterator_traitsISK_E10value_typeET2_T3_PNSL_ISQ_E10value_typeET4_jRbjT5_SW_jjP12ihipStream_tbEUlT_E_NS1_11comp_targetILNS1_3genE3ELNS1_11target_archE908ELNS1_3gpuE7ELNS1_3repE0EEENS1_30default_config_static_selectorELNS0_4arch9wavefront6targetE1EEEvSK_,comdat
	.globl	_ZN7rocprim17ROCPRIM_400000_NS6detail17trampoline_kernelINS0_14default_configENS1_36segmented_radix_sort_config_selectorIilEEZNS1_25segmented_radix_sort_implIS3_Lb0EPKiPiPKlPlN2at6native12_GLOBAL__N_18offset_tEEE10hipError_tPvRmT1_PNSt15iterator_traitsISK_E10value_typeET2_T3_PNSL_ISQ_E10value_typeET4_jRbjT5_SW_jjP12ihipStream_tbEUlT_E_NS1_11comp_targetILNS1_3genE3ELNS1_11target_archE908ELNS1_3gpuE7ELNS1_3repE0EEENS1_30default_config_static_selectorELNS0_4arch9wavefront6targetE1EEEvSK_ ; -- Begin function _ZN7rocprim17ROCPRIM_400000_NS6detail17trampoline_kernelINS0_14default_configENS1_36segmented_radix_sort_config_selectorIilEEZNS1_25segmented_radix_sort_implIS3_Lb0EPKiPiPKlPlN2at6native12_GLOBAL__N_18offset_tEEE10hipError_tPvRmT1_PNSt15iterator_traitsISK_E10value_typeET2_T3_PNSL_ISQ_E10value_typeET4_jRbjT5_SW_jjP12ihipStream_tbEUlT_E_NS1_11comp_targetILNS1_3genE3ELNS1_11target_archE908ELNS1_3gpuE7ELNS1_3repE0EEENS1_30default_config_static_selectorELNS0_4arch9wavefront6targetE1EEEvSK_
	.p2align	8
	.type	_ZN7rocprim17ROCPRIM_400000_NS6detail17trampoline_kernelINS0_14default_configENS1_36segmented_radix_sort_config_selectorIilEEZNS1_25segmented_radix_sort_implIS3_Lb0EPKiPiPKlPlN2at6native12_GLOBAL__N_18offset_tEEE10hipError_tPvRmT1_PNSt15iterator_traitsISK_E10value_typeET2_T3_PNSL_ISQ_E10value_typeET4_jRbjT5_SW_jjP12ihipStream_tbEUlT_E_NS1_11comp_targetILNS1_3genE3ELNS1_11target_archE908ELNS1_3gpuE7ELNS1_3repE0EEENS1_30default_config_static_selectorELNS0_4arch9wavefront6targetE1EEEvSK_,@function
_ZN7rocprim17ROCPRIM_400000_NS6detail17trampoline_kernelINS0_14default_configENS1_36segmented_radix_sort_config_selectorIilEEZNS1_25segmented_radix_sort_implIS3_Lb0EPKiPiPKlPlN2at6native12_GLOBAL__N_18offset_tEEE10hipError_tPvRmT1_PNSt15iterator_traitsISK_E10value_typeET2_T3_PNSL_ISQ_E10value_typeET4_jRbjT5_SW_jjP12ihipStream_tbEUlT_E_NS1_11comp_targetILNS1_3genE3ELNS1_11target_archE908ELNS1_3gpuE7ELNS1_3repE0EEENS1_30default_config_static_selectorELNS0_4arch9wavefront6targetE1EEEvSK_: ; @_ZN7rocprim17ROCPRIM_400000_NS6detail17trampoline_kernelINS0_14default_configENS1_36segmented_radix_sort_config_selectorIilEEZNS1_25segmented_radix_sort_implIS3_Lb0EPKiPiPKlPlN2at6native12_GLOBAL__N_18offset_tEEE10hipError_tPvRmT1_PNSt15iterator_traitsISK_E10value_typeET2_T3_PNSL_ISQ_E10value_typeET4_jRbjT5_SW_jjP12ihipStream_tbEUlT_E_NS1_11comp_targetILNS1_3genE3ELNS1_11target_archE908ELNS1_3gpuE7ELNS1_3repE0EEENS1_30default_config_static_selectorELNS0_4arch9wavefront6targetE1EEEvSK_
; %bb.0:
	.section	.rodata,"a",@progbits
	.p2align	6, 0x0
	.amdhsa_kernel _ZN7rocprim17ROCPRIM_400000_NS6detail17trampoline_kernelINS0_14default_configENS1_36segmented_radix_sort_config_selectorIilEEZNS1_25segmented_radix_sort_implIS3_Lb0EPKiPiPKlPlN2at6native12_GLOBAL__N_18offset_tEEE10hipError_tPvRmT1_PNSt15iterator_traitsISK_E10value_typeET2_T3_PNSL_ISQ_E10value_typeET4_jRbjT5_SW_jjP12ihipStream_tbEUlT_E_NS1_11comp_targetILNS1_3genE3ELNS1_11target_archE908ELNS1_3gpuE7ELNS1_3repE0EEENS1_30default_config_static_selectorELNS0_4arch9wavefront6targetE1EEEvSK_
		.amdhsa_group_segment_fixed_size 0
		.amdhsa_private_segment_fixed_size 0
		.amdhsa_kernarg_size 96
		.amdhsa_user_sgpr_count 6
		.amdhsa_user_sgpr_private_segment_buffer 1
		.amdhsa_user_sgpr_dispatch_ptr 0
		.amdhsa_user_sgpr_queue_ptr 0
		.amdhsa_user_sgpr_kernarg_segment_ptr 1
		.amdhsa_user_sgpr_dispatch_id 0
		.amdhsa_user_sgpr_flat_scratch_init 0
		.amdhsa_user_sgpr_private_segment_size 0
		.amdhsa_uses_dynamic_stack 0
		.amdhsa_system_sgpr_private_segment_wavefront_offset 0
		.amdhsa_system_sgpr_workgroup_id_x 1
		.amdhsa_system_sgpr_workgroup_id_y 0
		.amdhsa_system_sgpr_workgroup_id_z 0
		.amdhsa_system_sgpr_workgroup_info 0
		.amdhsa_system_vgpr_workitem_id 0
		.amdhsa_next_free_vgpr 1
		.amdhsa_next_free_sgpr 0
		.amdhsa_reserve_vcc 0
		.amdhsa_reserve_flat_scratch 0
		.amdhsa_float_round_mode_32 0
		.amdhsa_float_round_mode_16_64 0
		.amdhsa_float_denorm_mode_32 3
		.amdhsa_float_denorm_mode_16_64 3
		.amdhsa_dx10_clamp 1
		.amdhsa_ieee_mode 1
		.amdhsa_fp16_overflow 0
		.amdhsa_exception_fp_ieee_invalid_op 0
		.amdhsa_exception_fp_denorm_src 0
		.amdhsa_exception_fp_ieee_div_zero 0
		.amdhsa_exception_fp_ieee_overflow 0
		.amdhsa_exception_fp_ieee_underflow 0
		.amdhsa_exception_fp_ieee_inexact 0
		.amdhsa_exception_int_div_zero 0
	.end_amdhsa_kernel
	.section	.text._ZN7rocprim17ROCPRIM_400000_NS6detail17trampoline_kernelINS0_14default_configENS1_36segmented_radix_sort_config_selectorIilEEZNS1_25segmented_radix_sort_implIS3_Lb0EPKiPiPKlPlN2at6native12_GLOBAL__N_18offset_tEEE10hipError_tPvRmT1_PNSt15iterator_traitsISK_E10value_typeET2_T3_PNSL_ISQ_E10value_typeET4_jRbjT5_SW_jjP12ihipStream_tbEUlT_E_NS1_11comp_targetILNS1_3genE3ELNS1_11target_archE908ELNS1_3gpuE7ELNS1_3repE0EEENS1_30default_config_static_selectorELNS0_4arch9wavefront6targetE1EEEvSK_,"axG",@progbits,_ZN7rocprim17ROCPRIM_400000_NS6detail17trampoline_kernelINS0_14default_configENS1_36segmented_radix_sort_config_selectorIilEEZNS1_25segmented_radix_sort_implIS3_Lb0EPKiPiPKlPlN2at6native12_GLOBAL__N_18offset_tEEE10hipError_tPvRmT1_PNSt15iterator_traitsISK_E10value_typeET2_T3_PNSL_ISQ_E10value_typeET4_jRbjT5_SW_jjP12ihipStream_tbEUlT_E_NS1_11comp_targetILNS1_3genE3ELNS1_11target_archE908ELNS1_3gpuE7ELNS1_3repE0EEENS1_30default_config_static_selectorELNS0_4arch9wavefront6targetE1EEEvSK_,comdat
.Lfunc_end603:
	.size	_ZN7rocprim17ROCPRIM_400000_NS6detail17trampoline_kernelINS0_14default_configENS1_36segmented_radix_sort_config_selectorIilEEZNS1_25segmented_radix_sort_implIS3_Lb0EPKiPiPKlPlN2at6native12_GLOBAL__N_18offset_tEEE10hipError_tPvRmT1_PNSt15iterator_traitsISK_E10value_typeET2_T3_PNSL_ISQ_E10value_typeET4_jRbjT5_SW_jjP12ihipStream_tbEUlT_E_NS1_11comp_targetILNS1_3genE3ELNS1_11target_archE908ELNS1_3gpuE7ELNS1_3repE0EEENS1_30default_config_static_selectorELNS0_4arch9wavefront6targetE1EEEvSK_, .Lfunc_end603-_ZN7rocprim17ROCPRIM_400000_NS6detail17trampoline_kernelINS0_14default_configENS1_36segmented_radix_sort_config_selectorIilEEZNS1_25segmented_radix_sort_implIS3_Lb0EPKiPiPKlPlN2at6native12_GLOBAL__N_18offset_tEEE10hipError_tPvRmT1_PNSt15iterator_traitsISK_E10value_typeET2_T3_PNSL_ISQ_E10value_typeET4_jRbjT5_SW_jjP12ihipStream_tbEUlT_E_NS1_11comp_targetILNS1_3genE3ELNS1_11target_archE908ELNS1_3gpuE7ELNS1_3repE0EEENS1_30default_config_static_selectorELNS0_4arch9wavefront6targetE1EEEvSK_
                                        ; -- End function
	.set _ZN7rocprim17ROCPRIM_400000_NS6detail17trampoline_kernelINS0_14default_configENS1_36segmented_radix_sort_config_selectorIilEEZNS1_25segmented_radix_sort_implIS3_Lb0EPKiPiPKlPlN2at6native12_GLOBAL__N_18offset_tEEE10hipError_tPvRmT1_PNSt15iterator_traitsISK_E10value_typeET2_T3_PNSL_ISQ_E10value_typeET4_jRbjT5_SW_jjP12ihipStream_tbEUlT_E_NS1_11comp_targetILNS1_3genE3ELNS1_11target_archE908ELNS1_3gpuE7ELNS1_3repE0EEENS1_30default_config_static_selectorELNS0_4arch9wavefront6targetE1EEEvSK_.num_vgpr, 0
	.set _ZN7rocprim17ROCPRIM_400000_NS6detail17trampoline_kernelINS0_14default_configENS1_36segmented_radix_sort_config_selectorIilEEZNS1_25segmented_radix_sort_implIS3_Lb0EPKiPiPKlPlN2at6native12_GLOBAL__N_18offset_tEEE10hipError_tPvRmT1_PNSt15iterator_traitsISK_E10value_typeET2_T3_PNSL_ISQ_E10value_typeET4_jRbjT5_SW_jjP12ihipStream_tbEUlT_E_NS1_11comp_targetILNS1_3genE3ELNS1_11target_archE908ELNS1_3gpuE7ELNS1_3repE0EEENS1_30default_config_static_selectorELNS0_4arch9wavefront6targetE1EEEvSK_.num_agpr, 0
	.set _ZN7rocprim17ROCPRIM_400000_NS6detail17trampoline_kernelINS0_14default_configENS1_36segmented_radix_sort_config_selectorIilEEZNS1_25segmented_radix_sort_implIS3_Lb0EPKiPiPKlPlN2at6native12_GLOBAL__N_18offset_tEEE10hipError_tPvRmT1_PNSt15iterator_traitsISK_E10value_typeET2_T3_PNSL_ISQ_E10value_typeET4_jRbjT5_SW_jjP12ihipStream_tbEUlT_E_NS1_11comp_targetILNS1_3genE3ELNS1_11target_archE908ELNS1_3gpuE7ELNS1_3repE0EEENS1_30default_config_static_selectorELNS0_4arch9wavefront6targetE1EEEvSK_.numbered_sgpr, 0
	.set _ZN7rocprim17ROCPRIM_400000_NS6detail17trampoline_kernelINS0_14default_configENS1_36segmented_radix_sort_config_selectorIilEEZNS1_25segmented_radix_sort_implIS3_Lb0EPKiPiPKlPlN2at6native12_GLOBAL__N_18offset_tEEE10hipError_tPvRmT1_PNSt15iterator_traitsISK_E10value_typeET2_T3_PNSL_ISQ_E10value_typeET4_jRbjT5_SW_jjP12ihipStream_tbEUlT_E_NS1_11comp_targetILNS1_3genE3ELNS1_11target_archE908ELNS1_3gpuE7ELNS1_3repE0EEENS1_30default_config_static_selectorELNS0_4arch9wavefront6targetE1EEEvSK_.num_named_barrier, 0
	.set _ZN7rocprim17ROCPRIM_400000_NS6detail17trampoline_kernelINS0_14default_configENS1_36segmented_radix_sort_config_selectorIilEEZNS1_25segmented_radix_sort_implIS3_Lb0EPKiPiPKlPlN2at6native12_GLOBAL__N_18offset_tEEE10hipError_tPvRmT1_PNSt15iterator_traitsISK_E10value_typeET2_T3_PNSL_ISQ_E10value_typeET4_jRbjT5_SW_jjP12ihipStream_tbEUlT_E_NS1_11comp_targetILNS1_3genE3ELNS1_11target_archE908ELNS1_3gpuE7ELNS1_3repE0EEENS1_30default_config_static_selectorELNS0_4arch9wavefront6targetE1EEEvSK_.private_seg_size, 0
	.set _ZN7rocprim17ROCPRIM_400000_NS6detail17trampoline_kernelINS0_14default_configENS1_36segmented_radix_sort_config_selectorIilEEZNS1_25segmented_radix_sort_implIS3_Lb0EPKiPiPKlPlN2at6native12_GLOBAL__N_18offset_tEEE10hipError_tPvRmT1_PNSt15iterator_traitsISK_E10value_typeET2_T3_PNSL_ISQ_E10value_typeET4_jRbjT5_SW_jjP12ihipStream_tbEUlT_E_NS1_11comp_targetILNS1_3genE3ELNS1_11target_archE908ELNS1_3gpuE7ELNS1_3repE0EEENS1_30default_config_static_selectorELNS0_4arch9wavefront6targetE1EEEvSK_.uses_vcc, 0
	.set _ZN7rocprim17ROCPRIM_400000_NS6detail17trampoline_kernelINS0_14default_configENS1_36segmented_radix_sort_config_selectorIilEEZNS1_25segmented_radix_sort_implIS3_Lb0EPKiPiPKlPlN2at6native12_GLOBAL__N_18offset_tEEE10hipError_tPvRmT1_PNSt15iterator_traitsISK_E10value_typeET2_T3_PNSL_ISQ_E10value_typeET4_jRbjT5_SW_jjP12ihipStream_tbEUlT_E_NS1_11comp_targetILNS1_3genE3ELNS1_11target_archE908ELNS1_3gpuE7ELNS1_3repE0EEENS1_30default_config_static_selectorELNS0_4arch9wavefront6targetE1EEEvSK_.uses_flat_scratch, 0
	.set _ZN7rocprim17ROCPRIM_400000_NS6detail17trampoline_kernelINS0_14default_configENS1_36segmented_radix_sort_config_selectorIilEEZNS1_25segmented_radix_sort_implIS3_Lb0EPKiPiPKlPlN2at6native12_GLOBAL__N_18offset_tEEE10hipError_tPvRmT1_PNSt15iterator_traitsISK_E10value_typeET2_T3_PNSL_ISQ_E10value_typeET4_jRbjT5_SW_jjP12ihipStream_tbEUlT_E_NS1_11comp_targetILNS1_3genE3ELNS1_11target_archE908ELNS1_3gpuE7ELNS1_3repE0EEENS1_30default_config_static_selectorELNS0_4arch9wavefront6targetE1EEEvSK_.has_dyn_sized_stack, 0
	.set _ZN7rocprim17ROCPRIM_400000_NS6detail17trampoline_kernelINS0_14default_configENS1_36segmented_radix_sort_config_selectorIilEEZNS1_25segmented_radix_sort_implIS3_Lb0EPKiPiPKlPlN2at6native12_GLOBAL__N_18offset_tEEE10hipError_tPvRmT1_PNSt15iterator_traitsISK_E10value_typeET2_T3_PNSL_ISQ_E10value_typeET4_jRbjT5_SW_jjP12ihipStream_tbEUlT_E_NS1_11comp_targetILNS1_3genE3ELNS1_11target_archE908ELNS1_3gpuE7ELNS1_3repE0EEENS1_30default_config_static_selectorELNS0_4arch9wavefront6targetE1EEEvSK_.has_recursion, 0
	.set _ZN7rocprim17ROCPRIM_400000_NS6detail17trampoline_kernelINS0_14default_configENS1_36segmented_radix_sort_config_selectorIilEEZNS1_25segmented_radix_sort_implIS3_Lb0EPKiPiPKlPlN2at6native12_GLOBAL__N_18offset_tEEE10hipError_tPvRmT1_PNSt15iterator_traitsISK_E10value_typeET2_T3_PNSL_ISQ_E10value_typeET4_jRbjT5_SW_jjP12ihipStream_tbEUlT_E_NS1_11comp_targetILNS1_3genE3ELNS1_11target_archE908ELNS1_3gpuE7ELNS1_3repE0EEENS1_30default_config_static_selectorELNS0_4arch9wavefront6targetE1EEEvSK_.has_indirect_call, 0
	.section	.AMDGPU.csdata,"",@progbits
; Kernel info:
; codeLenInByte = 0
; TotalNumSgprs: 4
; NumVgprs: 0
; ScratchSize: 0
; MemoryBound: 0
; FloatMode: 240
; IeeeMode: 1
; LDSByteSize: 0 bytes/workgroup (compile time only)
; SGPRBlocks: 0
; VGPRBlocks: 0
; NumSGPRsForWavesPerEU: 4
; NumVGPRsForWavesPerEU: 1
; Occupancy: 10
; WaveLimiterHint : 0
; COMPUTE_PGM_RSRC2:SCRATCH_EN: 0
; COMPUTE_PGM_RSRC2:USER_SGPR: 6
; COMPUTE_PGM_RSRC2:TRAP_HANDLER: 0
; COMPUTE_PGM_RSRC2:TGID_X_EN: 1
; COMPUTE_PGM_RSRC2:TGID_Y_EN: 0
; COMPUTE_PGM_RSRC2:TGID_Z_EN: 0
; COMPUTE_PGM_RSRC2:TIDIG_COMP_CNT: 0
	.text
	.p2align	2                               ; -- Begin function _ZN7rocprim17ROCPRIM_400000_NS6detail40segmented_radix_sort_single_block_helperIilLj256ELj8ELb0EE4sortIPKiPiPKlPlEEbT_T0_T1_T2_jjjjRNS3_12storage_typeE
	.type	_ZN7rocprim17ROCPRIM_400000_NS6detail40segmented_radix_sort_single_block_helperIilLj256ELj8ELb0EE4sortIPKiPiPKlPlEEbT_T0_T1_T2_jjjjRNS3_12storage_typeE,@function
_ZN7rocprim17ROCPRIM_400000_NS6detail40segmented_radix_sort_single_block_helperIilLj256ELj8ELb0EE4sortIPKiPiPKlPlEEbT_T0_T1_T2_jjjjRNS3_12storage_typeE: ; @_ZN7rocprim17ROCPRIM_400000_NS6detail40segmented_radix_sort_single_block_helperIilLj256ELj8ELb0EE4sortIPKiPiPKlPlEEbT_T0_T1_T2_jjjjRNS3_12storage_typeE
; %bb.0:
	s_waitcnt vmcnt(0) expcnt(0) lgkmcnt(0)
	v_sub_u32_e32 v85, v9, v8
	s_movk_i32 s4, 0x801
	v_cmp_gt_u32_e32 vcc, s4, v85
	s_and_saveexec_b64 s[46:47], vcc
	s_cbranch_execz .LBB604_199
; %bb.1:
	s_movk_i32 s4, 0x400
	v_cmp_lt_u32_e32 vcc, s4, v85
	v_bfe_u32 v20, v31, 10, 10
	v_bfe_u32 v22, v31, 20, 10
	v_mbcnt_lo_u32_b32 v18, -1, 0
	s_and_saveexec_b64 s[4:5], vcc
	s_xor_b64 s[56:57], exec, s[4:5]
	s_cbranch_execz .LBB604_79
; %bb.2:
	s_load_dwordx2 s[4:5], s[8:9], 0x0
	v_mov_b32_e32 v9, 0
	v_lshlrev_b64 v[24:25], 2, v[8:9]
	v_and_b32_e32 v21, 0x3ff, v31
	v_add_co_u32_e32 v31, vcc, v0, v24
	s_waitcnt lgkmcnt(0)
	s_cmp_lt_u32 s13, s5
	s_cselect_b32 s5, 14, 20
	s_add_u32 s6, s8, s5
	s_addc_u32 s7, s9, 0
	s_cmp_lt_u32 s12, s4
	s_cselect_b32 s4, 12, 18
	s_add_u32 s4, s8, s4
	global_load_ushort v26, v9, s[6:7]
	s_addc_u32 s5, s9, 0
	global_load_ushort v27, v9, s[4:5]
	v_addc_co_u32_e32 v32, vcc, v1, v25, vcc
	v_mbcnt_hi_u32_b32 v28, -1, v18
	v_and_b32_e32 v29, 63, v28
	v_mov_b32_e32 v23, v9
	v_lshlrev_b32_e32 v30, 2, v29
	v_bfrev_b32_e32 v13, -2
	v_mov_b32_e32 v14, v13
	v_mov_b32_e32 v15, v13
	;; [unrolled: 1-line block ×6, first 2 shown]
	s_waitcnt vmcnt(1)
	v_mad_u32_u24 v0, v22, v26, v20
	v_add_co_u32_e32 v20, vcc, v31, v30
	s_waitcnt vmcnt(0)
	v_mad_u64_u32 v[0:1], s[4:5], v0, v27, v[21:22]
	v_addc_co_u32_e32 v30, vcc, 0, v32, vcc
	v_lshlrev_b32_e32 v1, 3, v0
	v_and_b32_e32 v22, 0xfffffe00, v1
	v_lshlrev_b64 v[26:27], 2, v[22:23]
	v_or_b32_e32 v1, v22, v29
	v_add_co_u32_e64 v26, s[4:5], v20, v26
	v_cmp_lt_u32_e32 vcc, v1, v85
	v_addc_co_u32_e64 v27, s[4:5], v30, v27, s[4:5]
	v_mov_b32_e32 v20, v13
	s_and_saveexec_b64 s[4:5], vcc
	s_cbranch_execz .LBB604_4
; %bb.3:
	flat_load_dword v30, v[26:27]
	v_mov_b32_e32 v31, v13
	v_mov_b32_e32 v32, v13
	;; [unrolled: 1-line block ×7, first 2 shown]
	s_waitcnt vmcnt(0) lgkmcnt(0)
	v_mov_b32_e32 v13, v30
	v_mov_b32_e32 v14, v31
	;; [unrolled: 1-line block ×8, first 2 shown]
.LBB604_4:
	s_or_b64 exec, exec, s[4:5]
	v_or_b32_e32 v30, 64, v1
	v_cmp_lt_u32_e64 s[4:5], v30, v85
	s_and_saveexec_b64 s[6:7], s[4:5]
	s_cbranch_execz .LBB604_6
; %bb.5:
	flat_load_dword v14, v[26:27] offset:256
.LBB604_6:
	s_or_b64 exec, exec, s[6:7]
	v_or_b32_e32 v30, 0x80, v1
	v_cmp_lt_u32_e64 s[6:7], v30, v85
	s_and_saveexec_b64 s[10:11], s[6:7]
	s_cbranch_execz .LBB604_8
; %bb.7:
	flat_load_dword v15, v[26:27] offset:512
.LBB604_8:
	;; [unrolled: 8-line block ×7, first 2 shown]
	s_or_b64 exec, exec, s[22:23]
	v_lshlrev_b64 v[26:27], 3, v[8:9]
                                        ; implicit-def: $vgpr32_vgpr33
	v_add_co_u32_e64 v1, s[22:23], v4, v26
	v_addc_co_u32_e64 v4, s[22:23], v5, v27, s[22:23]
	v_lshlrev_b32_e32 v5, 3, v29
	v_add_co_u32_e64 v1, s[22:23], v1, v5
	v_addc_co_u32_e64 v8, s[22:23], 0, v4, s[22:23]
	v_lshlrev_b64 v[4:5], 3, v[22:23]
	v_add_co_u32_e64 v4, s[22:23], v1, v4
	v_addc_co_u32_e64 v5, s[22:23], v8, v5, s[22:23]
	s_and_saveexec_b64 s[22:23], vcc
	s_cbranch_execnz .LBB604_112
; %bb.19:
	s_or_b64 exec, exec, s[22:23]
                                        ; implicit-def: $vgpr34_vgpr35
	s_and_saveexec_b64 s[22:23], s[4:5]
	s_cbranch_execnz .LBB604_113
.LBB604_20:
	s_or_b64 exec, exec, s[22:23]
                                        ; implicit-def: $vgpr36_vgpr37
	s_and_saveexec_b64 s[4:5], s[6:7]
	s_cbranch_execnz .LBB604_114
.LBB604_21:
	s_or_b64 exec, exec, s[4:5]
                                        ; implicit-def: $vgpr38_vgpr39
	s_and_saveexec_b64 s[4:5], s[10:11]
	s_cbranch_execnz .LBB604_115
.LBB604_22:
	s_or_b64 exec, exec, s[4:5]
                                        ; implicit-def: $vgpr48_vgpr49
	s_and_saveexec_b64 s[4:5], s[20:21]
	s_cbranch_execnz .LBB604_116
.LBB604_23:
	s_or_b64 exec, exec, s[4:5]
                                        ; implicit-def: $vgpr50_vgpr51
	s_and_saveexec_b64 s[4:5], s[14:15]
	s_cbranch_execnz .LBB604_117
.LBB604_24:
	s_or_b64 exec, exec, s[4:5]
                                        ; implicit-def: $vgpr81_vgpr82
	s_and_saveexec_b64 s[4:5], s[16:17]
	s_cbranch_execnz .LBB604_118
.LBB604_25:
	s_or_b64 exec, exec, s[4:5]
                                        ; implicit-def: $vgpr83_vgpr84
	s_and_saveexec_b64 s[4:5], s[18:19]
	s_cbranch_execz .LBB604_27
.LBB604_26:
	flat_load_dwordx2 v[83:84], v[4:5] offset:3584
.LBB604_27:
	s_or_b64 exec, exec, s[4:5]
	v_lshl_add_u32 v8, v21, 4, v12
	s_getpc_b64 s[4:5]
	s_add_u32 s4, s4, _ZN7rocprim17ROCPRIM_400000_NS16block_radix_sortIiLj256ELj8ElLj1ELj1ELj8ELNS0_26block_radix_rank_algorithmE2ELNS0_18block_padding_hintE2ELNS0_4arch9wavefront6targetE1EE19radix_bits_per_passE@rel32@lo+4
	s_addc_u32 s5, s5, _ZN7rocprim17ROCPRIM_400000_NS16block_radix_sortIiLj256ELj8ElLj1ELj1ELj8ELNS0_26block_radix_rank_algorithmE2ELNS0_18block_padding_hintE2ELNS0_4arch9wavefront6targetE1EE19radix_bits_per_passE@rel32@hi+12
	v_add_u32_e32 v1, 16, v8
	v_add_u32_e32 v86, 20, v8
	;; [unrolled: 1-line block ×4, first 2 shown]
	v_and_b32_e32 v8, 15, v28
	s_load_dword s62, s[4:5], 0x0
	v_cmp_eq_u32_e32 vcc, 0, v8
	v_cmp_lt_u32_e64 s[4:5], 1, v8
	v_cmp_lt_u32_e64 s[6:7], 3, v8
	;; [unrolled: 1-line block ×3, first 2 shown]
	v_and_b32_e32 v8, 16, v28
	v_cmp_eq_u32_e64 s[40:41], 0, v8
	v_and_b32_e32 v8, 0x3c0, v21
	v_min_u32_e32 v8, 0xc0, v8
	v_lshlrev_b32_e32 v4, 2, v21
	v_or_b32_e32 v8, 63, v8
	v_cmp_eq_u32_e64 s[16:17], v21, v8
	v_subrev_co_u32_e64 v8, s[22:23], 1, v28
	v_and_b32_e32 v9, 64, v28
	v_add_co_u32_e64 v98, s[26:27], v12, v4
	v_and_b32_e32 v4, 3, v28
	v_cmp_lt_i32_e64 s[24:25], v8, v9
	v_cmp_eq_u32_e64 s[26:27], 0, v4
	v_cmp_lt_u32_e64 s[28:29], 1, v4
	v_lshlrev_b32_e32 v4, 3, v21
	s_movk_i32 s42, 0x1e00
	v_cndmask_b32_e64 v8, v8, v28, s[24:25]
	v_and_or_b32 v4, v4, s42, v29
	v_lshlrev_b32_e32 v99, 2, v8
	v_lshrrev_b32_e32 v8, 4, v21
	v_lshlrev_b32_e32 v4, 2, v4
	v_and_b32_e32 v8, 60, v8
	v_add_u32_e32 v102, v12, v4
	v_add_u32_e32 v100, v12, v8
	;; [unrolled: 1-line block ×3, first 2 shown]
	v_xor_b32_e32 v53, 0x80000000, v13
	s_waitcnt vmcnt(0) lgkmcnt(0)
	v_xor_b32_e32 v55, 0x80000000, v14
	v_xor_b32_e32 v65, 0x80000000, v15
	;; [unrolled: 1-line block ×7, first 2 shown]
	v_mov_b32_e32 v5, 0
	v_lshrrev_b32_e32 v97, 6, v0
	v_cmp_lt_u32_e64 s[14:15], 31, v28
	v_cmp_gt_u32_e64 s[18:19], 4, v21
	v_cmp_lt_u32_e64 s[20:21], 63, v21
	v_cmp_eq_u32_e64 s[24:25], 0, v21
	v_add_u32_e32 v101, -4, v100
	v_add_u32_e32 v103, 0x100, v102
	v_add_u32_e32 v112, 0x200, v102
	;; [unrolled: 1-line block ×14, first 2 shown]
	v_sub_u32_e32 v134, v11, v10
	s_mov_b64 s[58:59], 0
	s_barrier
	s_branch .LBB604_29
.LBB604_28:                             ;   in Loop: Header=BB604_29 Depth=1
	s_or_b64 exec, exec, s[44:45]
	s_and_b64 s[42:43], exec, s[60:61]
	s_or_b64 s[58:59], s[42:43], s[58:59]
	s_andn2_b64 exec, exec, s[58:59]
	s_cbranch_execz .LBB604_53
.LBB604_29:                             ; =>This Inner Loop Header: Depth=1
	v_min_u32_e32 v4, s62, v134
	v_mov_b32_e32 v150, v53
	v_mov_b32_e32 v22, v36
	v_lshlrev_b32_e64 v4, v4, -1
	v_mov_b32_e32 v28, v34
	v_mov_b32_e32 v23, v37
	v_not_b32_e32 v37, v4
	v_lshrrev_b32_e32 v4, v10, v150
	v_mov_b32_e32 v29, v35
	v_and_b32_e32 v34, v4, v37
	v_mov_b32_e32 v30, v32
	v_lshl_add_u32 v4, v34, 2, v97
	v_mov_b32_e32 v31, v33
	v_lshlrev_b64 v[32:33], 2, v[4:5]
	v_mov_b32_e32 v19, v38
	v_add_co_u32_e64 v4, s[42:43], v12, v32
	v_add_co_u32_e64 v4, s[42:43], 16, v4
	v_and_b32_e32 v32, 1, v34
	v_add_co_u32_e64 v33, s[42:43], -1, v32
	v_addc_co_u32_e64 v35, s[42:43], 0, -1, s[42:43]
	v_cmp_ne_u32_e64 s[42:43], 0, v32
	v_xor_b32_e32 v32, s43, v35
	v_xor_b32_e32 v33, s42, v33
	v_and_b32_e32 v35, exec_hi, v32
	v_and_b32_e32 v36, exec_lo, v33
	v_lshlrev_b32_e32 v33, 30, v34
	v_mov_b32_e32 v32, v5
	v_cmp_gt_i64_e64 s[42:43], 0, v[32:33]
	v_not_b32_e32 v32, v33
	v_ashrrev_i32_e32 v32, 31, v32
	v_xor_b32_e32 v33, s43, v32
	v_xor_b32_e32 v32, s42, v32
	v_and_b32_e32 v35, v35, v33
	v_and_b32_e32 v36, v36, v32
	v_lshlrev_b32_e32 v33, 29, v34
	v_mov_b32_e32 v32, v5
	v_cmp_gt_i64_e64 s[42:43], 0, v[32:33]
	v_not_b32_e32 v32, v33
	v_ashrrev_i32_e32 v32, 31, v32
	v_xor_b32_e32 v33, s43, v32
	v_xor_b32_e32 v32, s42, v32
	v_and_b32_e32 v35, v35, v33
	v_and_b32_e32 v36, v36, v32
	;; [unrolled: 9-line block ×7, first 2 shown]
	v_mbcnt_lo_u32_b32 v34, v32, 0
	v_mbcnt_hi_u32_b32 v34, v33, v34
	v_cmp_ne_u64_e64 s[42:43], 0, v[32:33]
	v_mov_b32_e32 v17, v48
	v_mov_b32_e32 v15, v50
	;; [unrolled: 1-line block ×4, first 2 shown]
	v_cmp_eq_u32_e64 s[44:45], 0, v34
	v_mov_b32_e32 v135, v160
	v_mov_b32_e32 v144, v151
	;; [unrolled: 1-line block ×12, first 2 shown]
	s_and_b64 s[44:45], s[42:43], s[44:45]
	ds_write_b32 v1, v5
	ds_write_b32 v86, v5
	;; [unrolled: 1-line block ×4, first 2 shown]
	s_waitcnt lgkmcnt(0)
	s_barrier
	; wave barrier
	s_and_saveexec_b64 s[42:43], s[44:45]
; %bb.30:                               ;   in Loop: Header=BB604_29 Depth=1
	v_bcnt_u32_b32 v32, v32, 0
	v_bcnt_u32_b32 v32, v33, v32
	ds_write_b32 v4, v32
; %bb.31:                               ;   in Loop: Header=BB604_29 Depth=1
	s_or_b64 exec, exec, s[42:43]
	v_lshrrev_b32_e32 v32, v10, v149
	v_and_b32_e32 v38, v32, v37
	v_lshl_add_u32 v32, v38, 2, v97
	v_lshl_add_u32 v32, v32, 2, v12
	; wave barrier
	v_add_u32_e32 v36, 16, v32
	ds_read_b32 v35, v32 offset:16
	v_and_b32_e32 v32, 1, v38
	v_add_co_u32_e64 v33, s[42:43], -1, v32
	v_addc_co_u32_e64 v39, s[42:43], 0, -1, s[42:43]
	v_cmp_ne_u32_e64 s[42:43], 0, v32
	v_xor_b32_e32 v32, s43, v39
	v_xor_b32_e32 v33, s42, v33
	v_and_b32_e32 v39, exec_hi, v32
	v_and_b32_e32 v48, exec_lo, v33
	v_lshlrev_b32_e32 v33, 30, v38
	v_mov_b32_e32 v32, v5
	v_cmp_gt_i64_e64 s[42:43], 0, v[32:33]
	v_not_b32_e32 v32, v33
	v_ashrrev_i32_e32 v32, 31, v32
	v_xor_b32_e32 v33, s43, v32
	v_xor_b32_e32 v32, s42, v32
	v_and_b32_e32 v39, v39, v33
	v_and_b32_e32 v48, v48, v32
	v_lshlrev_b32_e32 v33, 29, v38
	v_mov_b32_e32 v32, v5
	v_cmp_gt_i64_e64 s[42:43], 0, v[32:33]
	v_not_b32_e32 v32, v33
	v_ashrrev_i32_e32 v32, 31, v32
	v_xor_b32_e32 v33, s43, v32
	v_xor_b32_e32 v32, s42, v32
	v_and_b32_e32 v39, v39, v33
	v_and_b32_e32 v48, v48, v32
	;; [unrolled: 9-line block ×7, first 2 shown]
	v_mbcnt_lo_u32_b32 v38, v32, 0
	v_mbcnt_hi_u32_b32 v38, v33, v38
	v_cmp_ne_u64_e64 s[42:43], 0, v[32:33]
	v_cmp_eq_u32_e64 s[44:45], 0, v38
	s_and_b64 s[44:45], s[42:43], s[44:45]
	; wave barrier
	s_and_saveexec_b64 s[42:43], s[44:45]
	s_cbranch_execz .LBB604_33
; %bb.32:                               ;   in Loop: Header=BB604_29 Depth=1
	v_bcnt_u32_b32 v32, v32, 0
	v_bcnt_u32_b32 v32, v33, v32
	s_waitcnt lgkmcnt(0)
	v_add_u32_e32 v32, v35, v32
	ds_write_b32 v36, v32
.LBB604_33:                             ;   in Loop: Header=BB604_29 Depth=1
	s_or_b64 exec, exec, s[42:43]
	v_lshrrev_b32_e32 v32, v10, v148
	v_and_b32_e32 v49, v32, v37
	v_lshl_add_u32 v32, v49, 2, v97
	v_lshl_add_u32 v32, v32, 2, v12
	; wave barrier
	v_add_u32_e32 v48, 16, v32
	ds_read_b32 v39, v32 offset:16
	v_and_b32_e32 v32, 1, v49
	v_add_co_u32_e64 v33, s[42:43], -1, v32
	v_addc_co_u32_e64 v50, s[42:43], 0, -1, s[42:43]
	v_cmp_ne_u32_e64 s[42:43], 0, v32
	v_xor_b32_e32 v32, s43, v50
	v_xor_b32_e32 v33, s42, v33
	v_and_b32_e32 v50, exec_hi, v32
	v_and_b32_e32 v51, exec_lo, v33
	v_lshlrev_b32_e32 v33, 30, v49
	v_mov_b32_e32 v32, v5
	v_cmp_gt_i64_e64 s[42:43], 0, v[32:33]
	v_not_b32_e32 v32, v33
	v_ashrrev_i32_e32 v32, 31, v32
	v_xor_b32_e32 v33, s43, v32
	v_xor_b32_e32 v32, s42, v32
	v_and_b32_e32 v50, v50, v33
	v_and_b32_e32 v51, v51, v32
	v_lshlrev_b32_e32 v33, 29, v49
	v_mov_b32_e32 v32, v5
	v_cmp_gt_i64_e64 s[42:43], 0, v[32:33]
	v_not_b32_e32 v32, v33
	v_ashrrev_i32_e32 v32, 31, v32
	v_xor_b32_e32 v33, s43, v32
	v_xor_b32_e32 v32, s42, v32
	v_and_b32_e32 v50, v50, v33
	v_and_b32_e32 v51, v51, v32
	;; [unrolled: 9-line block ×7, first 2 shown]
	v_mbcnt_lo_u32_b32 v49, v32, 0
	v_mbcnt_hi_u32_b32 v49, v33, v49
	v_cmp_ne_u64_e64 s[42:43], 0, v[32:33]
	v_cmp_eq_u32_e64 s[44:45], 0, v49
	s_and_b64 s[44:45], s[42:43], s[44:45]
	; wave barrier
	s_and_saveexec_b64 s[42:43], s[44:45]
	s_cbranch_execz .LBB604_35
; %bb.34:                               ;   in Loop: Header=BB604_29 Depth=1
	v_bcnt_u32_b32 v32, v32, 0
	v_bcnt_u32_b32 v32, v33, v32
	s_waitcnt lgkmcnt(0)
	v_add_u32_e32 v32, v39, v32
	ds_write_b32 v48, v32
.LBB604_35:                             ;   in Loop: Header=BB604_29 Depth=1
	s_or_b64 exec, exec, s[42:43]
	v_lshrrev_b32_e32 v32, v10, v147
	v_and_b32_e32 v52, v32, v37
	v_lshl_add_u32 v32, v52, 2, v97
	v_lshl_add_u32 v32, v32, 2, v12
	; wave barrier
	v_add_u32_e32 v51, 16, v32
	ds_read_b32 v50, v32 offset:16
	v_and_b32_e32 v32, 1, v52
	v_add_co_u32_e64 v33, s[42:43], -1, v32
	v_addc_co_u32_e64 v53, s[42:43], 0, -1, s[42:43]
	v_cmp_ne_u32_e64 s[42:43], 0, v32
	v_xor_b32_e32 v32, s43, v53
	v_xor_b32_e32 v33, s42, v33
	v_and_b32_e32 v53, exec_hi, v32
	v_and_b32_e32 v54, exec_lo, v33
	v_lshlrev_b32_e32 v33, 30, v52
	v_mov_b32_e32 v32, v5
	v_cmp_gt_i64_e64 s[42:43], 0, v[32:33]
	v_not_b32_e32 v32, v33
	v_ashrrev_i32_e32 v32, 31, v32
	v_xor_b32_e32 v33, s43, v32
	v_xor_b32_e32 v32, s42, v32
	v_and_b32_e32 v53, v53, v33
	v_and_b32_e32 v54, v54, v32
	v_lshlrev_b32_e32 v33, 29, v52
	v_mov_b32_e32 v32, v5
	v_cmp_gt_i64_e64 s[42:43], 0, v[32:33]
	v_not_b32_e32 v32, v33
	v_ashrrev_i32_e32 v32, 31, v32
	v_xor_b32_e32 v33, s43, v32
	v_xor_b32_e32 v32, s42, v32
	v_and_b32_e32 v53, v53, v33
	v_and_b32_e32 v54, v54, v32
	v_lshlrev_b32_e32 v33, 28, v52
	v_mov_b32_e32 v32, v5
	v_cmp_gt_i64_e64 s[42:43], 0, v[32:33]
	v_not_b32_e32 v32, v33
	v_ashrrev_i32_e32 v32, 31, v32
	v_xor_b32_e32 v33, s43, v32
	v_xor_b32_e32 v32, s42, v32
	v_and_b32_e32 v53, v53, v33
	v_and_b32_e32 v54, v54, v32
	v_lshlrev_b32_e32 v33, 27, v52
	v_mov_b32_e32 v32, v5
	v_cmp_gt_i64_e64 s[42:43], 0, v[32:33]
	v_not_b32_e32 v32, v33
	v_ashrrev_i32_e32 v32, 31, v32
	v_xor_b32_e32 v33, s43, v32
	v_xor_b32_e32 v32, s42, v32
	v_and_b32_e32 v53, v53, v33
	v_and_b32_e32 v54, v54, v32
	v_lshlrev_b32_e32 v33, 26, v52
	v_mov_b32_e32 v32, v5
	v_cmp_gt_i64_e64 s[42:43], 0, v[32:33]
	v_not_b32_e32 v32, v33
	v_ashrrev_i32_e32 v32, 31, v32
	v_xor_b32_e32 v33, s43, v32
	v_xor_b32_e32 v32, s42, v32
	v_and_b32_e32 v53, v53, v33
	v_and_b32_e32 v54, v54, v32
	v_lshlrev_b32_e32 v33, 25, v52
	v_mov_b32_e32 v32, v5
	v_cmp_gt_i64_e64 s[42:43], 0, v[32:33]
	v_not_b32_e32 v32, v33
	v_ashrrev_i32_e32 v32, 31, v32
	v_xor_b32_e32 v33, s43, v32
	v_xor_b32_e32 v32, s42, v32
	v_and_b32_e32 v53, v53, v33
	v_and_b32_e32 v54, v54, v32
	v_lshlrev_b32_e32 v33, 24, v52
	v_mov_b32_e32 v32, v5
	v_cmp_gt_i64_e64 s[42:43], 0, v[32:33]
	v_not_b32_e32 v32, v33
	v_ashrrev_i32_e32 v32, 31, v32
	v_xor_b32_e32 v33, s43, v32
	v_xor_b32_e32 v32, s42, v32
	v_and_b32_e32 v32, v54, v32
	v_and_b32_e32 v33, v53, v33
	v_mbcnt_lo_u32_b32 v52, v32, 0
	v_mbcnt_hi_u32_b32 v53, v33, v52
	v_cmp_ne_u64_e64 s[42:43], 0, v[32:33]
	v_cmp_eq_u32_e64 s[44:45], 0, v53
	s_and_b64 s[44:45], s[42:43], s[44:45]
	; wave barrier
	s_and_saveexec_b64 s[42:43], s[44:45]
	s_cbranch_execz .LBB604_37
; %bb.36:                               ;   in Loop: Header=BB604_29 Depth=1
	v_bcnt_u32_b32 v32, v32, 0
	v_bcnt_u32_b32 v32, v33, v32
	s_waitcnt lgkmcnt(0)
	v_add_u32_e32 v32, v50, v32
	ds_write_b32 v51, v32
.LBB604_37:                             ;   in Loop: Header=BB604_29 Depth=1
	s_or_b64 exec, exec, s[42:43]
	v_lshrrev_b32_e32 v32, v10, v146
	v_and_b32_e32 v52, v32, v37
	v_lshl_add_u32 v32, v52, 2, v97
	v_lshl_add_u32 v32, v32, 2, v12
	; wave barrier
	v_add_u32_e32 v64, 16, v32
	ds_read_b32 v55, v32 offset:16
	v_and_b32_e32 v32, 1, v52
	v_add_co_u32_e64 v33, s[42:43], -1, v32
	v_addc_co_u32_e64 v54, s[42:43], 0, -1, s[42:43]
	v_cmp_ne_u32_e64 s[42:43], 0, v32
	v_xor_b32_e32 v32, s43, v54
	v_xor_b32_e32 v33, s42, v33
	v_and_b32_e32 v54, exec_hi, v32
	v_and_b32_e32 v65, exec_lo, v33
	v_lshlrev_b32_e32 v33, 30, v52
	v_mov_b32_e32 v32, v5
	v_cmp_gt_i64_e64 s[42:43], 0, v[32:33]
	v_not_b32_e32 v32, v33
	v_ashrrev_i32_e32 v32, 31, v32
	v_xor_b32_e32 v33, s43, v32
	v_xor_b32_e32 v32, s42, v32
	v_and_b32_e32 v54, v54, v33
	v_and_b32_e32 v65, v65, v32
	v_lshlrev_b32_e32 v33, 29, v52
	v_mov_b32_e32 v32, v5
	v_cmp_gt_i64_e64 s[42:43], 0, v[32:33]
	v_not_b32_e32 v32, v33
	v_ashrrev_i32_e32 v32, 31, v32
	v_xor_b32_e32 v33, s43, v32
	v_xor_b32_e32 v32, s42, v32
	v_and_b32_e32 v54, v54, v33
	v_and_b32_e32 v65, v65, v32
	;; [unrolled: 9-line block ×7, first 2 shown]
	v_mbcnt_lo_u32_b32 v52, v32, 0
	v_mbcnt_hi_u32_b32 v65, v33, v52
	v_cmp_ne_u64_e64 s[42:43], 0, v[32:33]
	v_cmp_eq_u32_e64 s[44:45], 0, v65
	s_and_b64 s[44:45], s[42:43], s[44:45]
	; wave barrier
	s_and_saveexec_b64 s[42:43], s[44:45]
	s_cbranch_execz .LBB604_39
; %bb.38:                               ;   in Loop: Header=BB604_29 Depth=1
	v_bcnt_u32_b32 v32, v32, 0
	v_bcnt_u32_b32 v32, v33, v32
	s_waitcnt lgkmcnt(0)
	v_add_u32_e32 v32, v55, v32
	ds_write_b32 v64, v32
.LBB604_39:                             ;   in Loop: Header=BB604_29 Depth=1
	s_or_b64 exec, exec, s[42:43]
	v_lshrrev_b32_e32 v32, v10, v145
	v_and_b32_e32 v52, v32, v37
	v_lshl_add_u32 v32, v52, 2, v97
	v_lshl_add_u32 v32, v32, 2, v12
	; wave barrier
	v_add_u32_e32 v67, 16, v32
	ds_read_b32 v66, v32 offset:16
	v_and_b32_e32 v32, 1, v52
	v_add_co_u32_e64 v33, s[42:43], -1, v32
	v_addc_co_u32_e64 v54, s[42:43], 0, -1, s[42:43]
	v_cmp_ne_u32_e64 s[42:43], 0, v32
	v_xor_b32_e32 v32, s43, v54
	v_xor_b32_e32 v33, s42, v33
	v_and_b32_e32 v54, exec_hi, v32
	v_and_b32_e32 v68, exec_lo, v33
	v_lshlrev_b32_e32 v33, 30, v52
	v_mov_b32_e32 v32, v5
	v_cmp_gt_i64_e64 s[42:43], 0, v[32:33]
	v_not_b32_e32 v32, v33
	v_ashrrev_i32_e32 v32, 31, v32
	v_xor_b32_e32 v33, s43, v32
	v_xor_b32_e32 v32, s42, v32
	v_and_b32_e32 v54, v54, v33
	v_and_b32_e32 v68, v68, v32
	v_lshlrev_b32_e32 v33, 29, v52
	v_mov_b32_e32 v32, v5
	v_cmp_gt_i64_e64 s[42:43], 0, v[32:33]
	v_not_b32_e32 v32, v33
	v_ashrrev_i32_e32 v32, 31, v32
	v_xor_b32_e32 v33, s43, v32
	v_xor_b32_e32 v32, s42, v32
	v_and_b32_e32 v54, v54, v33
	v_and_b32_e32 v68, v68, v32
	v_lshlrev_b32_e32 v33, 28, v52
	v_mov_b32_e32 v32, v5
	v_cmp_gt_i64_e64 s[42:43], 0, v[32:33]
	v_not_b32_e32 v32, v33
	v_ashrrev_i32_e32 v32, 31, v32
	v_xor_b32_e32 v33, s43, v32
	v_xor_b32_e32 v32, s42, v32
	v_and_b32_e32 v54, v54, v33
	v_and_b32_e32 v68, v68, v32
	v_lshlrev_b32_e32 v33, 27, v52
	v_mov_b32_e32 v32, v5
	v_cmp_gt_i64_e64 s[42:43], 0, v[32:33]
	v_not_b32_e32 v32, v33
	v_ashrrev_i32_e32 v32, 31, v32
	v_xor_b32_e32 v33, s43, v32
	v_xor_b32_e32 v32, s42, v32
	v_and_b32_e32 v54, v54, v33
	v_and_b32_e32 v68, v68, v32
	v_lshlrev_b32_e32 v33, 26, v52
	v_mov_b32_e32 v32, v5
	v_cmp_gt_i64_e64 s[42:43], 0, v[32:33]
	v_not_b32_e32 v32, v33
	v_ashrrev_i32_e32 v32, 31, v32
	v_xor_b32_e32 v33, s43, v32
	v_xor_b32_e32 v32, s42, v32
	v_and_b32_e32 v54, v54, v33
	v_and_b32_e32 v68, v68, v32
	v_lshlrev_b32_e32 v33, 25, v52
	v_mov_b32_e32 v32, v5
	v_cmp_gt_i64_e64 s[42:43], 0, v[32:33]
	v_not_b32_e32 v32, v33
	v_ashrrev_i32_e32 v32, 31, v32
	v_xor_b32_e32 v33, s43, v32
	v_xor_b32_e32 v32, s42, v32
	v_and_b32_e32 v54, v54, v33
	v_and_b32_e32 v68, v68, v32
	v_lshlrev_b32_e32 v33, 24, v52
	v_mov_b32_e32 v32, v5
	v_cmp_gt_i64_e64 s[42:43], 0, v[32:33]
	v_not_b32_e32 v32, v33
	v_ashrrev_i32_e32 v32, 31, v32
	v_xor_b32_e32 v33, s43, v32
	v_xor_b32_e32 v32, s42, v32
	v_and_b32_e32 v32, v68, v32
	v_and_b32_e32 v33, v54, v33
	v_mbcnt_lo_u32_b32 v52, v32, 0
	v_mbcnt_hi_u32_b32 v68, v33, v52
	v_cmp_ne_u64_e64 s[42:43], 0, v[32:33]
	v_cmp_eq_u32_e64 s[44:45], 0, v68
	s_and_b64 s[44:45], s[42:43], s[44:45]
	; wave barrier
	s_and_saveexec_b64 s[42:43], s[44:45]
	s_cbranch_execz .LBB604_41
; %bb.40:                               ;   in Loop: Header=BB604_29 Depth=1
	v_bcnt_u32_b32 v32, v32, 0
	v_bcnt_u32_b32 v32, v33, v32
	s_waitcnt lgkmcnt(0)
	v_add_u32_e32 v32, v66, v32
	ds_write_b32 v67, v32
.LBB604_41:                             ;   in Loop: Header=BB604_29 Depth=1
	s_or_b64 exec, exec, s[42:43]
	v_lshrrev_b32_e32 v32, v10, v144
	v_and_b32_e32 v52, v32, v37
	v_lshl_add_u32 v32, v52, 2, v97
	v_lshl_add_u32 v32, v32, 2, v12
	; wave barrier
	v_add_u32_e32 v70, 16, v32
	ds_read_b32 v69, v32 offset:16
	v_and_b32_e32 v32, 1, v52
	v_add_co_u32_e64 v33, s[42:43], -1, v32
	v_addc_co_u32_e64 v54, s[42:43], 0, -1, s[42:43]
	v_cmp_ne_u32_e64 s[42:43], 0, v32
	v_xor_b32_e32 v32, s43, v54
	v_xor_b32_e32 v33, s42, v33
	v_and_b32_e32 v54, exec_hi, v32
	v_and_b32_e32 v71, exec_lo, v33
	v_lshlrev_b32_e32 v33, 30, v52
	v_mov_b32_e32 v32, v5
	v_cmp_gt_i64_e64 s[42:43], 0, v[32:33]
	v_not_b32_e32 v32, v33
	v_ashrrev_i32_e32 v32, 31, v32
	v_xor_b32_e32 v33, s43, v32
	v_xor_b32_e32 v32, s42, v32
	v_and_b32_e32 v54, v54, v33
	v_and_b32_e32 v71, v71, v32
	v_lshlrev_b32_e32 v33, 29, v52
	v_mov_b32_e32 v32, v5
	v_cmp_gt_i64_e64 s[42:43], 0, v[32:33]
	v_not_b32_e32 v32, v33
	v_ashrrev_i32_e32 v32, 31, v32
	v_xor_b32_e32 v33, s43, v32
	v_xor_b32_e32 v32, s42, v32
	v_and_b32_e32 v54, v54, v33
	v_and_b32_e32 v71, v71, v32
	;; [unrolled: 9-line block ×7, first 2 shown]
	v_mbcnt_lo_u32_b32 v52, v32, 0
	v_mbcnt_hi_u32_b32 v71, v33, v52
	v_cmp_ne_u64_e64 s[42:43], 0, v[32:33]
	v_cmp_eq_u32_e64 s[44:45], 0, v71
	s_and_b64 s[44:45], s[42:43], s[44:45]
	; wave barrier
	s_and_saveexec_b64 s[42:43], s[44:45]
	s_cbranch_execz .LBB604_43
; %bb.42:                               ;   in Loop: Header=BB604_29 Depth=1
	v_bcnt_u32_b32 v32, v32, 0
	v_bcnt_u32_b32 v32, v33, v32
	s_waitcnt lgkmcnt(0)
	v_add_u32_e32 v32, v69, v32
	ds_write_b32 v70, v32
.LBB604_43:                             ;   in Loop: Header=BB604_29 Depth=1
	s_or_b64 exec, exec, s[42:43]
	v_lshrrev_b32_e32 v32, v10, v135
	v_and_b32_e32 v52, v32, v37
	v_lshl_add_u32 v32, v52, 2, v97
	v_lshl_add_u32 v32, v32, 2, v12
	; wave barrier
	v_add_u32_e32 v80, 16, v32
	ds_read_b32 v37, v32 offset:16
	v_and_b32_e32 v32, 1, v52
	v_add_co_u32_e64 v33, s[42:43], -1, v32
	v_addc_co_u32_e64 v54, s[42:43], 0, -1, s[42:43]
	v_cmp_ne_u32_e64 s[42:43], 0, v32
	v_xor_b32_e32 v32, s43, v54
	v_xor_b32_e32 v33, s42, v33
	v_and_b32_e32 v54, exec_hi, v32
	v_and_b32_e32 v81, exec_lo, v33
	v_lshlrev_b32_e32 v33, 30, v52
	v_mov_b32_e32 v32, v5
	v_cmp_gt_i64_e64 s[42:43], 0, v[32:33]
	v_not_b32_e32 v32, v33
	v_ashrrev_i32_e32 v32, 31, v32
	v_xor_b32_e32 v33, s43, v32
	v_xor_b32_e32 v32, s42, v32
	v_and_b32_e32 v54, v54, v33
	v_and_b32_e32 v81, v81, v32
	v_lshlrev_b32_e32 v33, 29, v52
	v_mov_b32_e32 v32, v5
	v_cmp_gt_i64_e64 s[42:43], 0, v[32:33]
	v_not_b32_e32 v32, v33
	v_ashrrev_i32_e32 v32, 31, v32
	v_xor_b32_e32 v33, s43, v32
	v_xor_b32_e32 v32, s42, v32
	v_and_b32_e32 v54, v54, v33
	v_and_b32_e32 v81, v81, v32
	;; [unrolled: 9-line block ×7, first 2 shown]
	v_mbcnt_lo_u32_b32 v52, v32, 0
	v_mbcnt_hi_u32_b32 v81, v33, v52
	v_cmp_ne_u64_e64 s[42:43], 0, v[32:33]
	v_cmp_eq_u32_e64 s[44:45], 0, v81
	s_and_b64 s[44:45], s[42:43], s[44:45]
	; wave barrier
	s_and_saveexec_b64 s[42:43], s[44:45]
	s_cbranch_execz .LBB604_45
; %bb.44:                               ;   in Loop: Header=BB604_29 Depth=1
	v_bcnt_u32_b32 v32, v32, 0
	v_bcnt_u32_b32 v32, v33, v32
	s_waitcnt lgkmcnt(0)
	v_add_u32_e32 v32, v37, v32
	ds_write_b32 v80, v32
.LBB604_45:                             ;   in Loop: Header=BB604_29 Depth=1
	s_or_b64 exec, exec, s[42:43]
	; wave barrier
	s_waitcnt lgkmcnt(0)
	s_barrier
	ds_read_b32 v52, v1
	ds_read_b32 v33, v86
	;; [unrolled: 1-line block ×4, first 2 shown]
	s_waitcnt lgkmcnt(2)
	v_add_u32_e32 v82, v33, v52
	s_waitcnt lgkmcnt(0)
	v_add3_u32 v54, v82, v32, v54
	s_nop 1
	v_mov_b32_dpp v82, v54 row_shr:1 row_mask:0xf bank_mask:0xf
	v_cndmask_b32_e64 v82, v82, 0, vcc
	v_add_u32_e32 v54, v82, v54
	s_nop 1
	v_mov_b32_dpp v82, v54 row_shr:2 row_mask:0xf bank_mask:0xf
	v_cndmask_b32_e64 v82, 0, v82, s[4:5]
	v_add_u32_e32 v54, v54, v82
	s_nop 1
	v_mov_b32_dpp v82, v54 row_shr:4 row_mask:0xf bank_mask:0xf
	v_cndmask_b32_e64 v82, 0, v82, s[6:7]
	;; [unrolled: 4-line block ×3, first 2 shown]
	v_add_u32_e32 v54, v54, v82
	s_nop 1
	v_mov_b32_dpp v82, v54 row_bcast:15 row_mask:0xf bank_mask:0xf
	v_cndmask_b32_e64 v82, v82, 0, s[40:41]
	v_add_u32_e32 v54, v54, v82
	s_nop 1
	v_mov_b32_dpp v82, v54 row_bcast:31 row_mask:0xf bank_mask:0xf
	v_cndmask_b32_e64 v82, 0, v82, s[14:15]
	v_add_u32_e32 v54, v54, v82
	s_and_saveexec_b64 s[42:43], s[16:17]
; %bb.46:                               ;   in Loop: Header=BB604_29 Depth=1
	ds_write_b32 v100, v54
; %bb.47:                               ;   in Loop: Header=BB604_29 Depth=1
	s_or_b64 exec, exec, s[42:43]
	s_waitcnt lgkmcnt(0)
	s_barrier
	s_and_saveexec_b64 s[42:43], s[18:19]
	s_cbranch_execz .LBB604_49
; %bb.48:                               ;   in Loop: Header=BB604_29 Depth=1
	ds_read_b32 v82, v98
	s_waitcnt lgkmcnt(0)
	s_nop 0
	v_mov_b32_dpp v83, v82 row_shr:1 row_mask:0xf bank_mask:0xf
	v_cndmask_b32_e64 v83, v83, 0, s[26:27]
	v_add_u32_e32 v82, v83, v82
	s_nop 1
	v_mov_b32_dpp v83, v82 row_shr:2 row_mask:0xf bank_mask:0xf
	v_cndmask_b32_e64 v83, 0, v83, s[28:29]
	v_add_u32_e32 v82, v82, v83
	ds_write_b32 v98, v82
.LBB604_49:                             ;   in Loop: Header=BB604_29 Depth=1
	s_or_b64 exec, exec, s[42:43]
	v_mov_b32_e32 v82, 0
	s_waitcnt lgkmcnt(0)
	s_barrier
	s_and_saveexec_b64 s[42:43], s[20:21]
; %bb.50:                               ;   in Loop: Header=BB604_29 Depth=1
	ds_read_b32 v82, v101
; %bb.51:                               ;   in Loop: Header=BB604_29 Depth=1
	s_or_b64 exec, exec, s[42:43]
	s_waitcnt lgkmcnt(0)
	v_add_u32_e32 v54, v82, v54
	ds_bpermute_b32 v54, v99, v54
	v_add_u32_e32 v10, 8, v10
	v_cmp_lt_u32_e64 s[42:43], v10, v11
	s_mov_b64 s[60:61], -1
                                        ; implicit-def: $vgpr160
                                        ; implicit-def: $vgpr151
                                        ; implicit-def: $vgpr83_vgpr84
	s_waitcnt lgkmcnt(0)
	v_cndmask_b32_e64 v54, v54, v82, s[22:23]
	v_cndmask_b32_e64 v54, v54, 0, s[24:25]
	v_add_u32_e32 v52, v54, v52
	v_add_u32_e32 v33, v52, v33
	;; [unrolled: 1-line block ×3, first 2 shown]
	ds_write_b32 v1, v54
	ds_write_b32 v86, v52
	ds_write_b32 v87, v33
	ds_write_b32 v96, v32
	s_waitcnt lgkmcnt(0)
	s_barrier
	ds_read_b32 v4, v4
	ds_read_b32 v32, v36
	;; [unrolled: 1-line block ×3, first 2 shown]
	s_waitcnt lgkmcnt(2)
	v_add_u32_e32 v4, v4, v34
	s_waitcnt lgkmcnt(1)
	v_add3_u32 v54, v38, v35, v32
	s_waitcnt lgkmcnt(0)
	v_add3_u32 v52, v49, v39, v33
	ds_read_b32 v32, v51
	ds_read_b32 v33, v64
	;; [unrolled: 1-line block ×5, first 2 shown]
	s_waitcnt lgkmcnt(4)
	v_add3_u32 v80, v53, v50, v32
	s_waitcnt lgkmcnt(3)
	v_add3_u32 v70, v65, v55, v33
	v_lshlrev_b64 v[32:33], 2, v[4:5]
	v_mov_b32_e32 v55, v5
	v_add_co_u32_e64 v161, s[44:45], v12, v32
	v_lshlrev_b64 v[32:33], 2, v[54:55]
	v_mov_b32_e32 v53, v5
	v_add_co_u32_e64 v162, s[44:45], v12, v32
	v_lshlrev_b64 v[32:33], 2, v[52:53]
	s_waitcnt lgkmcnt(0)
	v_add3_u32 v64, v81, v37, v36
	v_mov_b32_e32 v81, v5
	v_add_co_u32_e64 v163, s[44:45], v12, v32
	v_lshlrev_b64 v[32:33], 2, v[80:81]
	v_add3_u32 v68, v68, v66, v34
	v_add3_u32 v66, v71, v69, v35
	v_mov_b32_e32 v71, v5
	v_add_co_u32_e64 v164, s[44:45], v12, v32
	v_lshlrev_b64 v[32:33], 2, v[70:71]
	v_mov_b32_e32 v69, v5
	v_add_co_u32_e64 v165, s[44:45], v12, v32
	v_lshlrev_b64 v[32:33], 2, v[68:69]
	;; [unrolled: 3-line block ×4, first 2 shown]
	v_add_co_u32_e64 v176, s[44:45], v12, v32
                                        ; implicit-def: $vgpr71
                                        ; implicit-def: $vgpr69
                                        ; implicit-def: $vgpr67
                                        ; implicit-def: $vgpr65
                                        ; implicit-def: $vgpr55
                                        ; implicit-def: $vgpr53
                                        ; implicit-def: $vgpr32_vgpr33
                                        ; implicit-def: $vgpr34_vgpr35
                                        ; implicit-def: $vgpr36_vgpr37
                                        ; implicit-def: $vgpr38_vgpr39
                                        ; implicit-def: $vgpr48_vgpr49
                                        ; implicit-def: $vgpr50_vgpr51
                                        ; implicit-def: $vgpr81_vgpr82
	s_and_saveexec_b64 s[44:45], s[42:43]
	s_cbranch_execz .LBB604_28
; %bb.52:                               ;   in Loop: Header=BB604_29 Depth=1
	v_lshl_add_u32 v32, v4, 2, v161
	s_barrier
	ds_write_b32 v161, v150
	ds_write_b32 v162, v149
	ds_write_b32 v163, v148
	ds_write_b32 v164, v147
	ds_write_b32 v165, v146
	ds_write_b32 v166, v145
	ds_write_b32 v167, v144
	ds_write_b32 v176, v135
	s_waitcnt lgkmcnt(0)
	s_barrier
	ds_read_b32 v53, v102
	ds_read_b32 v55, v103
	;; [unrolled: 1-line block ×8, first 2 shown]
	s_waitcnt lgkmcnt(0)
	s_barrier
	ds_write_b64 v32, v[30:31]
	v_lshl_add_u32 v32, v54, 2, v162
	ds_write_b64 v32, v[28:29]
	v_lshl_add_u32 v32, v52, 2, v163
	;; [unrolled: 2-line block ×7, first 2 shown]
	ds_write_b64 v32, v[8:9]
	s_waitcnt lgkmcnt(0)
	s_barrier
	ds_read_b64 v[32:33], v118
	ds_read_b64 v[34:35], v119
	;; [unrolled: 1-line block ×8, first 2 shown]
	v_add_u32_e32 v134, -8, v134
	s_xor_b64 s[60:61], exec, -1
	s_waitcnt lgkmcnt(0)
	s_barrier
	s_branch .LBB604_28
.LBB604_53:
	s_or_b64 exec, exec, s[58:59]
	v_lshl_add_u32 v1, v4, 2, v161
	s_barrier
	ds_write_b32 v161, v150
	ds_write_b32 v162, v149
	;; [unrolled: 1-line block ×8, first 2 shown]
	s_waitcnt lgkmcnt(0)
	s_barrier
	ds_read2st64_b32 v[38:39], v98 offset1:4
	ds_read2st64_b32 v[36:37], v98 offset0:8 offset1:12
	ds_read2st64_b32 v[34:35], v98 offset0:16 offset1:20
	ds_read2st64_b32 v[32:33], v98 offset0:24 offset1:28
	s_waitcnt lgkmcnt(0)
	s_barrier
	ds_write_b64 v1, v[30:31]
	v_lshl_add_u32 v1, v54, 2, v162
	ds_write_b64 v1, v[28:29]
	v_lshl_add_u32 v1, v52, 2, v163
	;; [unrolled: 2-line block ×8, first 2 shown]
	s_waitcnt lgkmcnt(0)
	s_barrier
	ds_read2st64_b64 v[20:23], v1 offset1:4
	ds_read2st64_b64 v[16:19], v1 offset0:8 offset1:12
	ds_read2st64_b64 v[12:15], v1 offset0:16 offset1:20
	;; [unrolled: 1-line block ×3, first 2 shown]
	v_add_co_u32_e32 v4, vcc, v2, v24
	v_mov_b32_e32 v1, 0
	v_addc_co_u32_e32 v5, vcc, v3, v25, vcc
	v_lshlrev_b64 v[2:3], 2, v[0:1]
	v_cmp_lt_u32_e64 s[4:5], v0, v85
	v_add_co_u32_e32 v2, vcc, v4, v2
	v_addc_co_u32_e32 v3, vcc, v5, v3, vcc
	s_waitcnt lgkmcnt(0)
	s_barrier
	s_and_saveexec_b64 s[6:7], s[4:5]
	s_cbranch_execz .LBB604_55
; %bb.54:
	v_xor_b32_e32 v4, 0x80000000, v38
	flat_store_dword v[2:3], v4
.LBB604_55:
	s_or_b64 exec, exec, s[6:7]
	v_add_u32_e32 v4, 0x100, v0
	v_cmp_lt_u32_e64 s[10:11], v4, v85
	s_and_saveexec_b64 s[6:7], s[10:11]
	s_cbranch_execz .LBB604_57
; %bb.56:
	v_xor_b32_e32 v4, 0x80000000, v39
	flat_store_dword v[2:3], v4 offset:1024
.LBB604_57:
	s_or_b64 exec, exec, s[6:7]
	v_add_u32_e32 v4, 0x200, v0
	v_cmp_lt_u32_e64 s[16:17], v4, v85
	s_and_saveexec_b64 s[6:7], s[16:17]
	s_cbranch_execz .LBB604_59
; %bb.58:
	v_xor_b32_e32 v4, 0x80000000, v36
	flat_store_dword v[2:3], v4 offset:2048
.LBB604_59:
	;; [unrolled: 9-line block ×3, first 2 shown]
	s_or_b64 exec, exec, s[6:7]
	v_add_u32_e32 v4, 0x400, v0
	v_cmp_lt_u32_e64 s[6:7], v4, v85
	s_and_saveexec_b64 s[14:15], s[6:7]
	s_cbranch_execz .LBB604_63
; %bb.62:
	v_add_co_u32_e32 v4, vcc, 0x1000, v2
	v_xor_b32_e32 v24, 0x80000000, v34
	v_addc_co_u32_e32 v5, vcc, 0, v3, vcc
	flat_store_dword v[4:5], v24
.LBB604_63:
	s_or_b64 exec, exec, s[14:15]
	v_add_u32_e32 v4, 0x500, v0
	v_cmp_lt_u32_e64 s[14:15], v4, v85
	s_and_saveexec_b64 s[18:19], s[14:15]
	s_cbranch_execz .LBB604_65
; %bb.64:
	v_add_co_u32_e32 v4, vcc, 0x1000, v2
	v_xor_b32_e32 v24, 0x80000000, v35
	v_addc_co_u32_e32 v5, vcc, 0, v3, vcc
	flat_store_dword v[4:5], v24 offset:1024
.LBB604_65:
	s_or_b64 exec, exec, s[18:19]
	v_add_u32_e32 v4, 0x600, v0
	v_cmp_lt_u32_e64 s[18:19], v4, v85
	s_and_saveexec_b64 s[20:21], s[18:19]
	s_cbranch_execz .LBB604_67
; %bb.66:
	v_add_co_u32_e32 v4, vcc, 0x1000, v2
	v_xor_b32_e32 v24, 0x80000000, v32
	v_addc_co_u32_e32 v5, vcc, 0, v3, vcc
	flat_store_dword v[4:5], v24 offset:2048
.LBB604_67:
	;; [unrolled: 11-line block ×3, first 2 shown]
	s_or_b64 exec, exec, s[24:25]
	v_add_co_u32_e32 v2, vcc, v6, v26
	v_lshlrev_b64 v[0:1], 3, v[0:1]
	v_addc_co_u32_e32 v3, vcc, v7, v27, vcc
	v_add_co_u32_e32 v0, vcc, v2, v0
	v_addc_co_u32_e32 v1, vcc, v3, v1, vcc
	s_and_saveexec_b64 s[24:25], s[4:5]
	s_cbranch_execnz .LBB604_119
; %bb.70:
	s_or_b64 exec, exec, s[24:25]
	s_and_saveexec_b64 s[4:5], s[10:11]
	s_cbranch_execnz .LBB604_120
.LBB604_71:
	s_or_b64 exec, exec, s[4:5]
	s_and_saveexec_b64 s[4:5], s[16:17]
	s_cbranch_execnz .LBB604_121
.LBB604_72:
	s_or_b64 exec, exec, s[4:5]
	s_and_saveexec_b64 s[4:5], s[22:23]
	s_cbranch_execnz .LBB604_122
.LBB604_73:
	s_or_b64 exec, exec, s[4:5]
	s_and_saveexec_b64 s[4:5], s[6:7]
	s_cbranch_execnz .LBB604_123
.LBB604_74:
	s_or_b64 exec, exec, s[4:5]
	s_and_saveexec_b64 s[4:5], s[14:15]
	s_cbranch_execnz .LBB604_124
.LBB604_75:
	s_or_b64 exec, exec, s[4:5]
	s_and_saveexec_b64 s[4:5], s[18:19]
	s_cbranch_execnz .LBB604_125
.LBB604_76:
	s_or_b64 exec, exec, s[4:5]
	s_and_saveexec_b64 s[4:5], s[20:21]
	s_cbranch_execz .LBB604_78
.LBB604_77:
	v_add_co_u32_e32 v0, vcc, 0x3000, v0
	v_addc_co_u32_e32 v1, vcc, 0, v1, vcc
	flat_store_dwordx2 v[0:1], v[10:11] offset:2048
.LBB604_78:
	s_or_b64 exec, exec, s[4:5]
                                        ; implicit-def: $vgpr85
                                        ; implicit-def: $vgpr0
                                        ; implicit-def: $vgpr1
                                        ; implicit-def: $vgpr2
                                        ; implicit-def: $vgpr3
                                        ; implicit-def: $vgpr4
                                        ; implicit-def: $vgpr5
                                        ; implicit-def: $vgpr6
                                        ; implicit-def: $vgpr7
                                        ; implicit-def: $vgpr8
                                        ; implicit-def: $vgpr10
                                        ; implicit-def: $vgpr11
                                        ; implicit-def: $vgpr12
                                        ; implicit-def: $vgpr31
                                        ; implicit-def: $vgpr20
                                        ; implicit-def: $vgpr22
                                        ; implicit-def: $vgpr18
.LBB604_79:
	s_andn2_saveexec_b64 s[4:5], s[56:57]
	s_cbranch_execz .LBB604_199
; %bb.80:
	s_movk_i32 s4, 0x200
	v_cmp_lt_u32_e32 vcc, s4, v85
	s_and_saveexec_b64 s[4:5], vcc
	s_xor_b64 s[56:57], exec, s[4:5]
	s_cbranch_execz .LBB604_140
; %bb.81:
	s_load_dwordx2 s[4:5], s[8:9], 0x0
	v_mov_b32_e32 v9, 0
	v_mbcnt_hi_u32_b32 v32, -1, v18
	v_lshlrev_b64 v[18:19], 2, v[8:9]
	v_and_b32_e32 v17, 0x3ff, v31
	s_waitcnt lgkmcnt(0)
	s_cmp_lt_u32 s13, s5
	s_cselect_b32 s5, 14, 20
	s_add_u32 s6, s8, s5
	s_addc_u32 s7, s9, 0
	s_cmp_lt_u32 s12, s4
	s_cselect_b32 s4, 12, 18
	s_add_u32 s4, s8, s4
	global_load_ushort v16, v9, s[6:7]
	s_addc_u32 s5, s9, 0
	global_load_ushort v21, v9, s[4:5]
	v_add_co_u32_e32 v25, vcc, v0, v18
	v_addc_co_u32_e32 v26, vcc, v1, v19, vcc
	v_and_b32_e32 v33, 63, v32
	v_mov_b32_e32 v23, v9
	v_lshlrev_b32_e32 v24, 2, v33
	v_bfrev_b32_e32 v13, -2
	v_mov_b32_e32 v14, v13
	v_mov_b32_e32 v15, v13
	s_waitcnt vmcnt(0)
	v_mad_u32_u24 v0, v22, v16, v20
	v_add_co_u32_e32 v16, vcc, v25, v24
	v_mad_u64_u32 v[0:1], s[4:5], v0, v21, v[17:18]
	v_addc_co_u32_e32 v24, vcc, 0, v26, vcc
	v_lshlrev_b32_e32 v1, 2, v0
	v_and_b32_e32 v22, 0xffffff00, v1
	v_lshlrev_b64 v[20:21], 2, v[22:23]
	v_or_b32_e32 v1, v22, v33
	v_add_co_u32_e64 v20, s[4:5], v16, v20
	v_cmp_lt_u32_e32 vcc, v1, v85
	v_addc_co_u32_e64 v21, s[4:5], v24, v21, s[4:5]
	v_mov_b32_e32 v16, v13
	s_and_saveexec_b64 s[4:5], vcc
	s_cbranch_execz .LBB604_83
; %bb.82:
	flat_load_dword v24, v[20:21]
	v_mov_b32_e32 v25, v13
	v_mov_b32_e32 v26, v13
	;; [unrolled: 1-line block ×3, first 2 shown]
	s_waitcnt vmcnt(0) lgkmcnt(0)
	v_mov_b32_e32 v13, v24
	v_mov_b32_e32 v14, v25
	;; [unrolled: 1-line block ×4, first 2 shown]
.LBB604_83:
	s_or_b64 exec, exec, s[4:5]
	v_or_b32_e32 v24, 64, v1
	v_cmp_lt_u32_e64 s[4:5], v24, v85
	s_and_saveexec_b64 s[6:7], s[4:5]
	s_cbranch_execz .LBB604_85
; %bb.84:
	flat_load_dword v14, v[20:21] offset:256
.LBB604_85:
	s_or_b64 exec, exec, s[6:7]
	v_or_b32_e32 v24, 0x80, v1
	v_cmp_lt_u32_e64 s[6:7], v24, v85
	s_and_saveexec_b64 s[10:11], s[6:7]
	s_cbranch_execz .LBB604_87
; %bb.86:
	flat_load_dword v15, v[20:21] offset:512
.LBB604_87:
	;; [unrolled: 8-line block ×3, first 2 shown]
	s_or_b64 exec, exec, s[14:15]
	v_lshlrev_b64 v[20:21], 3, v[8:9]
                                        ; implicit-def: $vgpr24_vgpr25
	v_add_co_u32_e64 v1, s[14:15], v4, v20
	v_addc_co_u32_e64 v4, s[14:15], v5, v21, s[14:15]
	v_lshlrev_b32_e32 v5, 3, v33
	v_add_co_u32_e64 v1, s[14:15], v1, v5
	v_addc_co_u32_e64 v8, s[14:15], 0, v4, s[14:15]
	v_lshlrev_b64 v[4:5], 3, v[22:23]
	v_add_co_u32_e64 v4, s[14:15], v1, v4
	v_addc_co_u32_e64 v5, s[14:15], v8, v5, s[14:15]
	s_and_saveexec_b64 s[14:15], vcc
	s_cbranch_execnz .LBB604_164
; %bb.90:
	s_or_b64 exec, exec, s[14:15]
                                        ; implicit-def: $vgpr26_vgpr27
	s_and_saveexec_b64 s[14:15], s[4:5]
	s_cbranch_execnz .LBB604_165
.LBB604_91:
	s_or_b64 exec, exec, s[14:15]
                                        ; implicit-def: $vgpr28_vgpr29
	s_and_saveexec_b64 s[4:5], s[6:7]
	s_cbranch_execnz .LBB604_166
.LBB604_92:
	s_or_b64 exec, exec, s[4:5]
                                        ; implicit-def: $vgpr30_vgpr31
	s_and_saveexec_b64 s[4:5], s[10:11]
	s_cbranch_execz .LBB604_94
.LBB604_93:
	flat_load_dwordx2 v[30:31], v[4:5] offset:1536
.LBB604_94:
	s_or_b64 exec, exec, s[4:5]
	v_lshl_add_u32 v8, v17, 4, v12
	s_getpc_b64 s[4:5]
	s_add_u32 s4, s4, _ZN7rocprim17ROCPRIM_400000_NS16block_radix_sortIiLj256ELj4ElLj1ELj1ELj8ELNS0_26block_radix_rank_algorithmE2ELNS0_18block_padding_hintE2ELNS0_4arch9wavefront6targetE1EE19radix_bits_per_passE@rel32@lo+4
	s_addc_u32 s5, s5, _ZN7rocprim17ROCPRIM_400000_NS16block_radix_sortIiLj256ELj4ElLj1ELj1ELj8ELNS0_26block_radix_rank_algorithmE2ELNS0_18block_padding_hintE2ELNS0_4arch9wavefront6targetE1EE19radix_bits_per_passE@rel32@hi+12
	v_add_u32_e32 v1, 16, v8
	v_add_u32_e32 v38, 20, v8
	;; [unrolled: 1-line block ×4, first 2 shown]
	v_and_b32_e32 v8, 15, v32
	s_load_dword s62, s[4:5], 0x0
	v_cmp_eq_u32_e32 vcc, 0, v8
	v_cmp_lt_u32_e64 s[4:5], 1, v8
	v_cmp_lt_u32_e64 s[6:7], 3, v8
	v_cmp_lt_u32_e64 s[10:11], 7, v8
	v_and_b32_e32 v8, 16, v32
	v_cmp_eq_u32_e64 s[40:41], 0, v8
	v_and_b32_e32 v8, 0x3c0, v17
	v_min_u32_e32 v8, 0xc0, v8
	v_or_b32_e32 v8, 63, v8
	v_cmp_eq_u32_e64 s[16:17], v17, v8
	v_subrev_co_u32_e64 v8, s[22:23], 1, v32
	v_and_b32_e32 v9, 64, v32
	v_lshlrev_b32_e32 v4, 2, v17
	v_cmp_lt_i32_e64 s[24:25], v8, v9
	s_movk_i32 s42, 0xf00
	v_cndmask_b32_e64 v8, v8, v32, s[24:25]
	v_add_co_u32_e64 v50, s[26:27], v12, v4
	v_and_or_b32 v4, v4, s42, v33
	v_lshlrev_b32_e32 v51, 2, v8
	v_lshrrev_b32_e32 v8, 4, v17
	v_lshlrev_b32_e32 v4, 2, v4
	v_and_b32_e32 v8, 60, v8
	v_add_u32_e32 v54, v12, v4
	v_add_u32_e32 v52, v12, v8
	v_and_b32_e32 v8, 3, v32
	v_add_u32_e32 v66, v54, v4
	v_xor_b32_e32 v35, 0x80000000, v13
	s_waitcnt vmcnt(0) lgkmcnt(0)
	v_xor_b32_e32 v37, 0x80000000, v14
	v_xor_b32_e32 v83, 0x80000000, v15
	;; [unrolled: 1-line block ×3, first 2 shown]
	v_mov_b32_e32 v5, 0
	v_lshrrev_b32_e32 v49, 6, v0
	v_cmp_lt_u32_e64 s[14:15], 31, v32
	v_cmp_gt_u32_e64 s[18:19], 4, v17
	v_cmp_lt_u32_e64 s[20:21], 63, v17
	v_cmp_eq_u32_e64 s[24:25], 0, v17
	v_cmp_eq_u32_e64 s[26:27], 0, v8
	v_cmp_lt_u32_e64 s[28:29], 1, v8
	v_add_u32_e32 v53, -4, v52
	v_add_u32_e32 v55, 0x100, v54
	v_add_u32_e32 v64, 0x200, v54
	;; [unrolled: 1-line block ×6, first 2 shown]
	v_sub_u32_e32 v70, v11, v10
	s_mov_b64 s[58:59], 0
	s_barrier
	s_branch .LBB604_96
.LBB604_95:                             ;   in Loop: Header=BB604_96 Depth=1
	s_or_b64 exec, exec, s[44:45]
	s_and_b64 s[42:43], exec, s[60:61]
	s_or_b64 s[58:59], s[42:43], s[58:59]
	s_andn2_b64 exec, exec, s[58:59]
	s_cbranch_execz .LBB604_126
.LBB604_96:                             ; =>This Inner Loop Header: Depth=1
	v_min_u32_e32 v4, s62, v70
	v_mov_b32_e32 v82, v35
	v_mov_b32_e32 v8, v30
	v_lshlrev_b32_e64 v4, v4, -1
	v_mov_b32_e32 v15, v26
	v_mov_b32_e32 v9, v31
	v_not_b32_e32 v30, v4
	v_lshrrev_b32_e32 v4, v10, v82
	v_mov_b32_e32 v16, v27
	v_and_b32_e32 v26, v4, v30
	v_mov_b32_e32 v22, v24
	v_lshl_add_u32 v4, v26, 2, v49
	v_mov_b32_e32 v23, v25
	v_lshlrev_b64 v[24:25], 2, v[4:5]
	v_mov_b32_e32 v13, v28
	v_add_co_u32_e64 v4, s[42:43], v12, v24
	v_add_co_u32_e64 v4, s[42:43], 16, v4
	v_and_b32_e32 v24, 1, v26
	v_add_co_u32_e64 v25, s[42:43], -1, v24
	v_addc_co_u32_e64 v27, s[42:43], 0, -1, s[42:43]
	v_cmp_ne_u32_e64 s[42:43], 0, v24
	v_xor_b32_e32 v24, s43, v27
	v_xor_b32_e32 v25, s42, v25
	v_mov_b32_e32 v14, v29
	v_and_b32_e32 v27, exec_hi, v24
	v_and_b32_e32 v28, exec_lo, v25
	v_lshlrev_b32_e32 v25, 30, v26
	v_mov_b32_e32 v24, v5
	v_cmp_gt_i64_e64 s[42:43], 0, v[24:25]
	v_not_b32_e32 v24, v25
	v_ashrrev_i32_e32 v24, 31, v24
	v_xor_b32_e32 v25, s43, v24
	v_xor_b32_e32 v24, s42, v24
	v_and_b32_e32 v27, v27, v25
	v_and_b32_e32 v28, v28, v24
	v_lshlrev_b32_e32 v25, 29, v26
	v_mov_b32_e32 v24, v5
	v_cmp_gt_i64_e64 s[42:43], 0, v[24:25]
	v_not_b32_e32 v24, v25
	v_ashrrev_i32_e32 v24, 31, v24
	v_xor_b32_e32 v25, s43, v24
	v_xor_b32_e32 v24, s42, v24
	v_and_b32_e32 v27, v27, v25
	v_and_b32_e32 v28, v28, v24
	v_lshlrev_b32_e32 v25, 28, v26
	v_mov_b32_e32 v24, v5
	v_cmp_gt_i64_e64 s[42:43], 0, v[24:25]
	v_not_b32_e32 v24, v25
	v_ashrrev_i32_e32 v24, 31, v24
	v_xor_b32_e32 v25, s43, v24
	v_xor_b32_e32 v24, s42, v24
	v_and_b32_e32 v27, v27, v25
	v_and_b32_e32 v28, v28, v24
	v_lshlrev_b32_e32 v25, 27, v26
	v_mov_b32_e32 v24, v5
	v_cmp_gt_i64_e64 s[42:43], 0, v[24:25]
	v_not_b32_e32 v24, v25
	v_ashrrev_i32_e32 v24, 31, v24
	v_xor_b32_e32 v25, s43, v24
	v_xor_b32_e32 v24, s42, v24
	v_and_b32_e32 v27, v27, v25
	v_and_b32_e32 v28, v28, v24
	v_lshlrev_b32_e32 v25, 26, v26
	v_mov_b32_e32 v24, v5
	v_cmp_gt_i64_e64 s[42:43], 0, v[24:25]
	v_not_b32_e32 v24, v25
	v_ashrrev_i32_e32 v24, 31, v24
	v_xor_b32_e32 v25, s43, v24
	v_xor_b32_e32 v24, s42, v24
	v_and_b32_e32 v27, v27, v25
	v_and_b32_e32 v28, v28, v24
	v_lshlrev_b32_e32 v25, 25, v26
	v_mov_b32_e32 v24, v5
	v_cmp_gt_i64_e64 s[42:43], 0, v[24:25]
	v_not_b32_e32 v24, v25
	v_ashrrev_i32_e32 v24, 31, v24
	v_xor_b32_e32 v25, s43, v24
	v_xor_b32_e32 v24, s42, v24
	v_and_b32_e32 v27, v27, v25
	v_and_b32_e32 v28, v28, v24
	v_lshlrev_b32_e32 v25, 24, v26
	v_mov_b32_e32 v24, v5
	v_cmp_gt_i64_e64 s[42:43], 0, v[24:25]
	v_not_b32_e32 v24, v25
	v_ashrrev_i32_e32 v24, 31, v24
	v_xor_b32_e32 v25, s43, v24
	v_xor_b32_e32 v24, s42, v24
	v_and_b32_e32 v24, v28, v24
	v_and_b32_e32 v25, v27, v25
	v_mbcnt_lo_u32_b32 v26, v24, 0
	v_mbcnt_hi_u32_b32 v26, v25, v26
	v_cmp_ne_u64_e64 s[42:43], 0, v[24:25]
	v_cmp_eq_u32_e64 s[44:45], 0, v26
	v_mov_b32_e32 v71, v84
	v_mov_b32_e32 v80, v83
	;; [unrolled: 1-line block ×3, first 2 shown]
	s_and_b64 s[44:45], s[42:43], s[44:45]
	ds_write_b32 v1, v5
	ds_write_b32 v38, v5
	;; [unrolled: 1-line block ×4, first 2 shown]
	s_waitcnt lgkmcnt(0)
	s_barrier
	; wave barrier
	s_and_saveexec_b64 s[42:43], s[44:45]
; %bb.97:                               ;   in Loop: Header=BB604_96 Depth=1
	v_bcnt_u32_b32 v24, v24, 0
	v_bcnt_u32_b32 v24, v25, v24
	ds_write_b32 v4, v24
; %bb.98:                               ;   in Loop: Header=BB604_96 Depth=1
	s_or_b64 exec, exec, s[42:43]
	v_lshrrev_b32_e32 v24, v10, v81
	v_and_b32_e32 v29, v24, v30
	v_lshl_add_u32 v24, v29, 2, v49
	v_lshl_add_u32 v24, v24, 2, v12
	; wave barrier
	v_add_u32_e32 v28, 16, v24
	ds_read_b32 v27, v24 offset:16
	v_and_b32_e32 v24, 1, v29
	v_add_co_u32_e64 v25, s[42:43], -1, v24
	v_addc_co_u32_e64 v31, s[42:43], 0, -1, s[42:43]
	v_cmp_ne_u32_e64 s[42:43], 0, v24
	v_xor_b32_e32 v24, s43, v31
	v_xor_b32_e32 v25, s42, v25
	v_and_b32_e32 v31, exec_hi, v24
	v_and_b32_e32 v32, exec_lo, v25
	v_lshlrev_b32_e32 v25, 30, v29
	v_mov_b32_e32 v24, v5
	v_cmp_gt_i64_e64 s[42:43], 0, v[24:25]
	v_not_b32_e32 v24, v25
	v_ashrrev_i32_e32 v24, 31, v24
	v_xor_b32_e32 v25, s43, v24
	v_xor_b32_e32 v24, s42, v24
	v_and_b32_e32 v31, v31, v25
	v_and_b32_e32 v32, v32, v24
	v_lshlrev_b32_e32 v25, 29, v29
	v_mov_b32_e32 v24, v5
	v_cmp_gt_i64_e64 s[42:43], 0, v[24:25]
	v_not_b32_e32 v24, v25
	v_ashrrev_i32_e32 v24, 31, v24
	v_xor_b32_e32 v25, s43, v24
	v_xor_b32_e32 v24, s42, v24
	v_and_b32_e32 v31, v31, v25
	v_and_b32_e32 v32, v32, v24
	;; [unrolled: 9-line block ×7, first 2 shown]
	v_mbcnt_lo_u32_b32 v29, v24, 0
	v_mbcnt_hi_u32_b32 v29, v25, v29
	v_cmp_ne_u64_e64 s[42:43], 0, v[24:25]
	v_cmp_eq_u32_e64 s[44:45], 0, v29
	s_and_b64 s[44:45], s[42:43], s[44:45]
	; wave barrier
	s_and_saveexec_b64 s[42:43], s[44:45]
	s_cbranch_execz .LBB604_100
; %bb.99:                               ;   in Loop: Header=BB604_96 Depth=1
	v_bcnt_u32_b32 v24, v24, 0
	v_bcnt_u32_b32 v24, v25, v24
	s_waitcnt lgkmcnt(0)
	v_add_u32_e32 v24, v27, v24
	ds_write_b32 v28, v24
.LBB604_100:                            ;   in Loop: Header=BB604_96 Depth=1
	s_or_b64 exec, exec, s[42:43]
	v_lshrrev_b32_e32 v24, v10, v80
	v_and_b32_e32 v33, v24, v30
	v_lshl_add_u32 v24, v33, 2, v49
	v_lshl_add_u32 v24, v24, 2, v12
	; wave barrier
	v_add_u32_e32 v32, 16, v24
	ds_read_b32 v31, v24 offset:16
	v_and_b32_e32 v24, 1, v33
	v_add_co_u32_e64 v25, s[42:43], -1, v24
	v_addc_co_u32_e64 v34, s[42:43], 0, -1, s[42:43]
	v_cmp_ne_u32_e64 s[42:43], 0, v24
	v_xor_b32_e32 v24, s43, v34
	v_xor_b32_e32 v25, s42, v25
	v_and_b32_e32 v34, exec_hi, v24
	v_and_b32_e32 v35, exec_lo, v25
	v_lshlrev_b32_e32 v25, 30, v33
	v_mov_b32_e32 v24, v5
	v_cmp_gt_i64_e64 s[42:43], 0, v[24:25]
	v_not_b32_e32 v24, v25
	v_ashrrev_i32_e32 v24, 31, v24
	v_xor_b32_e32 v25, s43, v24
	v_xor_b32_e32 v24, s42, v24
	v_and_b32_e32 v34, v34, v25
	v_and_b32_e32 v35, v35, v24
	v_lshlrev_b32_e32 v25, 29, v33
	v_mov_b32_e32 v24, v5
	v_cmp_gt_i64_e64 s[42:43], 0, v[24:25]
	v_not_b32_e32 v24, v25
	v_ashrrev_i32_e32 v24, 31, v24
	v_xor_b32_e32 v25, s43, v24
	v_xor_b32_e32 v24, s42, v24
	v_and_b32_e32 v34, v34, v25
	v_and_b32_e32 v35, v35, v24
	;; [unrolled: 9-line block ×7, first 2 shown]
	v_mbcnt_lo_u32_b32 v33, v24, 0
	v_mbcnt_hi_u32_b32 v33, v25, v33
	v_cmp_ne_u64_e64 s[42:43], 0, v[24:25]
	v_cmp_eq_u32_e64 s[44:45], 0, v33
	s_and_b64 s[44:45], s[42:43], s[44:45]
	; wave barrier
	s_and_saveexec_b64 s[42:43], s[44:45]
	s_cbranch_execz .LBB604_102
; %bb.101:                              ;   in Loop: Header=BB604_96 Depth=1
	v_bcnt_u32_b32 v24, v24, 0
	v_bcnt_u32_b32 v24, v25, v24
	s_waitcnt lgkmcnt(0)
	v_add_u32_e32 v24, v31, v24
	ds_write_b32 v32, v24
.LBB604_102:                            ;   in Loop: Header=BB604_96 Depth=1
	s_or_b64 exec, exec, s[42:43]
	v_lshrrev_b32_e32 v24, v10, v71
	v_and_b32_e32 v35, v24, v30
	v_lshl_add_u32 v24, v35, 2, v49
	v_lshl_add_u32 v24, v24, 2, v12
	; wave barrier
	v_add_u32_e32 v34, 16, v24
	ds_read_b32 v30, v24 offset:16
	v_and_b32_e32 v24, 1, v35
	v_add_co_u32_e64 v25, s[42:43], -1, v24
	v_addc_co_u32_e64 v36, s[42:43], 0, -1, s[42:43]
	v_cmp_ne_u32_e64 s[42:43], 0, v24
	v_xor_b32_e32 v24, s43, v36
	v_xor_b32_e32 v25, s42, v25
	v_and_b32_e32 v36, exec_hi, v24
	v_and_b32_e32 v37, exec_lo, v25
	v_lshlrev_b32_e32 v25, 30, v35
	v_mov_b32_e32 v24, v5
	v_cmp_gt_i64_e64 s[42:43], 0, v[24:25]
	v_not_b32_e32 v24, v25
	v_ashrrev_i32_e32 v24, 31, v24
	v_xor_b32_e32 v25, s43, v24
	v_xor_b32_e32 v24, s42, v24
	v_and_b32_e32 v36, v36, v25
	v_and_b32_e32 v37, v37, v24
	v_lshlrev_b32_e32 v25, 29, v35
	v_mov_b32_e32 v24, v5
	v_cmp_gt_i64_e64 s[42:43], 0, v[24:25]
	v_not_b32_e32 v24, v25
	v_ashrrev_i32_e32 v24, 31, v24
	v_xor_b32_e32 v25, s43, v24
	v_xor_b32_e32 v24, s42, v24
	v_and_b32_e32 v36, v36, v25
	v_and_b32_e32 v37, v37, v24
	;; [unrolled: 9-line block ×7, first 2 shown]
	v_mbcnt_lo_u32_b32 v35, v24, 0
	v_mbcnt_hi_u32_b32 v35, v25, v35
	v_cmp_ne_u64_e64 s[42:43], 0, v[24:25]
	v_cmp_eq_u32_e64 s[44:45], 0, v35
	s_and_b64 s[44:45], s[42:43], s[44:45]
	; wave barrier
	s_and_saveexec_b64 s[42:43], s[44:45]
	s_cbranch_execz .LBB604_104
; %bb.103:                              ;   in Loop: Header=BB604_96 Depth=1
	v_bcnt_u32_b32 v24, v24, 0
	v_bcnt_u32_b32 v24, v25, v24
	s_waitcnt lgkmcnt(0)
	v_add_u32_e32 v24, v30, v24
	ds_write_b32 v34, v24
.LBB604_104:                            ;   in Loop: Header=BB604_96 Depth=1
	s_or_b64 exec, exec, s[42:43]
	; wave barrier
	s_waitcnt lgkmcnt(0)
	s_barrier
	ds_read_b32 v36, v1
	ds_read_b32 v25, v38
	;; [unrolled: 1-line block ×4, first 2 shown]
	s_waitcnt lgkmcnt(2)
	v_add_u32_e32 v83, v25, v36
	s_waitcnt lgkmcnt(0)
	v_add3_u32 v37, v83, v24, v37
	s_nop 1
	v_mov_b32_dpp v83, v37 row_shr:1 row_mask:0xf bank_mask:0xf
	v_cndmask_b32_e64 v83, v83, 0, vcc
	v_add_u32_e32 v37, v83, v37
	s_nop 1
	v_mov_b32_dpp v83, v37 row_shr:2 row_mask:0xf bank_mask:0xf
	v_cndmask_b32_e64 v83, 0, v83, s[4:5]
	v_add_u32_e32 v37, v37, v83
	s_nop 1
	v_mov_b32_dpp v83, v37 row_shr:4 row_mask:0xf bank_mask:0xf
	v_cndmask_b32_e64 v83, 0, v83, s[6:7]
	;; [unrolled: 4-line block ×3, first 2 shown]
	v_add_u32_e32 v37, v37, v83
	s_nop 1
	v_mov_b32_dpp v83, v37 row_bcast:15 row_mask:0xf bank_mask:0xf
	v_cndmask_b32_e64 v83, v83, 0, s[40:41]
	v_add_u32_e32 v37, v37, v83
	s_nop 1
	v_mov_b32_dpp v83, v37 row_bcast:31 row_mask:0xf bank_mask:0xf
	v_cndmask_b32_e64 v83, 0, v83, s[14:15]
	v_add_u32_e32 v37, v37, v83
	s_and_saveexec_b64 s[42:43], s[16:17]
; %bb.105:                              ;   in Loop: Header=BB604_96 Depth=1
	ds_write_b32 v52, v37
; %bb.106:                              ;   in Loop: Header=BB604_96 Depth=1
	s_or_b64 exec, exec, s[42:43]
	s_waitcnt lgkmcnt(0)
	s_barrier
	s_and_saveexec_b64 s[42:43], s[18:19]
	s_cbranch_execz .LBB604_108
; %bb.107:                              ;   in Loop: Header=BB604_96 Depth=1
	ds_read_b32 v83, v50
	s_waitcnt lgkmcnt(0)
	s_nop 0
	v_mov_b32_dpp v84, v83 row_shr:1 row_mask:0xf bank_mask:0xf
	v_cndmask_b32_e64 v84, v84, 0, s[26:27]
	v_add_u32_e32 v83, v84, v83
	s_nop 1
	v_mov_b32_dpp v84, v83 row_shr:2 row_mask:0xf bank_mask:0xf
	v_cndmask_b32_e64 v84, 0, v84, s[28:29]
	v_add_u32_e32 v83, v83, v84
	ds_write_b32 v50, v83
.LBB604_108:                            ;   in Loop: Header=BB604_96 Depth=1
	s_or_b64 exec, exec, s[42:43]
	v_mov_b32_e32 v83, 0
	s_waitcnt lgkmcnt(0)
	s_barrier
	s_and_saveexec_b64 s[42:43], s[20:21]
; %bb.109:                              ;   in Loop: Header=BB604_96 Depth=1
	ds_read_b32 v83, v53
; %bb.110:                              ;   in Loop: Header=BB604_96 Depth=1
	s_or_b64 exec, exec, s[42:43]
	s_waitcnt lgkmcnt(0)
	v_add_u32_e32 v37, v83, v37
	ds_bpermute_b32 v37, v51, v37
	v_add_u32_e32 v10, 8, v10
	v_cmp_lt_u32_e64 s[42:43], v10, v11
	s_mov_b64 s[60:61], -1
                                        ; implicit-def: $vgpr84
	s_waitcnt lgkmcnt(0)
	v_cndmask_b32_e64 v37, v37, v83, s[22:23]
	v_cndmask_b32_e64 v37, v37, 0, s[24:25]
	v_add_u32_e32 v36, v37, v36
	v_add_u32_e32 v25, v36, v25
	v_add_u32_e32 v24, v25, v24
	ds_write_b32 v1, v37
	ds_write_b32 v38, v36
	;; [unrolled: 1-line block ×4, first 2 shown]
	s_waitcnt lgkmcnt(0)
	s_barrier
	ds_read_b32 v4, v4
	ds_read_b32 v24, v28
	;; [unrolled: 1-line block ×4, first 2 shown]
	v_mov_b32_e32 v37, v5
	s_waitcnt lgkmcnt(3)
	v_add_u32_e32 v4, v4, v26
	s_waitcnt lgkmcnt(2)
	v_add3_u32 v36, v29, v27, v24
	s_waitcnt lgkmcnt(1)
	v_add3_u32 v34, v33, v31, v25
	v_lshlrev_b64 v[24:25], 2, v[4:5]
	s_waitcnt lgkmcnt(0)
	v_add3_u32 v32, v35, v30, v28
	v_add_co_u32_e64 v86, s[44:45], v12, v24
	v_lshlrev_b64 v[24:25], 2, v[36:37]
	v_mov_b32_e32 v35, v5
	v_add_co_u32_e64 v87, s[44:45], v12, v24
	v_lshlrev_b64 v[24:25], 2, v[34:35]
	v_mov_b32_e32 v33, v5
	v_add_co_u32_e64 v96, s[44:45], v12, v24
	v_lshlrev_b64 v[24:25], 2, v[32:33]
	v_add_co_u32_e64 v33, s[44:45], v12, v24
                                        ; implicit-def: $vgpr83
                                        ; implicit-def: $vgpr37
                                        ; implicit-def: $vgpr35
                                        ; implicit-def: $vgpr24_vgpr25
                                        ; implicit-def: $vgpr26_vgpr27
                                        ; implicit-def: $vgpr28_vgpr29
                                        ; implicit-def: $vgpr30_vgpr31
	s_and_saveexec_b64 s[44:45], s[42:43]
	s_cbranch_execz .LBB604_95
; %bb.111:                              ;   in Loop: Header=BB604_96 Depth=1
	v_lshl_add_u32 v24, v4, 2, v86
	s_barrier
	ds_write_b32 v86, v82
	ds_write_b32 v87, v81
	;; [unrolled: 1-line block ×4, first 2 shown]
	s_waitcnt lgkmcnt(0)
	s_barrier
	ds_read_b32 v35, v54
	ds_read_b32 v37, v55
	;; [unrolled: 1-line block ×4, first 2 shown]
	s_waitcnt lgkmcnt(0)
	s_barrier
	ds_write_b64 v24, v[22:23]
	v_lshl_add_u32 v24, v36, 2, v87
	ds_write_b64 v24, v[15:16]
	v_lshl_add_u32 v24, v34, 2, v96
	ds_write_b64 v24, v[13:14]
	v_lshl_add_u32 v24, v32, 2, v33
	ds_write_b64 v24, v[8:9]
	s_waitcnt lgkmcnt(0)
	s_barrier
	ds_read_b64 v[24:25], v66
	ds_read_b64 v[26:27], v67
	;; [unrolled: 1-line block ×4, first 2 shown]
	v_add_u32_e32 v70, -8, v70
	s_xor_b64 s[60:61], exec, -1
	s_waitcnt lgkmcnt(0)
	s_barrier
	s_branch .LBB604_95
.LBB604_112:
	flat_load_dwordx2 v[32:33], v[4:5]
	s_or_b64 exec, exec, s[22:23]
                                        ; implicit-def: $vgpr34_vgpr35
	s_and_saveexec_b64 s[22:23], s[4:5]
	s_cbranch_execz .LBB604_20
.LBB604_113:
	flat_load_dwordx2 v[34:35], v[4:5] offset:512
	s_or_b64 exec, exec, s[22:23]
                                        ; implicit-def: $vgpr36_vgpr37
	s_and_saveexec_b64 s[4:5], s[6:7]
	s_cbranch_execz .LBB604_21
.LBB604_114:
	flat_load_dwordx2 v[36:37], v[4:5] offset:1024
	s_or_b64 exec, exec, s[4:5]
                                        ; implicit-def: $vgpr38_vgpr39
	s_and_saveexec_b64 s[4:5], s[10:11]
	s_cbranch_execz .LBB604_22
.LBB604_115:
	flat_load_dwordx2 v[38:39], v[4:5] offset:1536
	s_or_b64 exec, exec, s[4:5]
                                        ; implicit-def: $vgpr48_vgpr49
	s_and_saveexec_b64 s[4:5], s[20:21]
	s_cbranch_execz .LBB604_23
.LBB604_116:
	flat_load_dwordx2 v[48:49], v[4:5] offset:2048
	s_or_b64 exec, exec, s[4:5]
                                        ; implicit-def: $vgpr50_vgpr51
	s_and_saveexec_b64 s[4:5], s[14:15]
	s_cbranch_execz .LBB604_24
.LBB604_117:
	flat_load_dwordx2 v[50:51], v[4:5] offset:2560
	s_or_b64 exec, exec, s[4:5]
                                        ; implicit-def: $vgpr81_vgpr82
	s_and_saveexec_b64 s[4:5], s[16:17]
	s_cbranch_execz .LBB604_25
.LBB604_118:
	flat_load_dwordx2 v[81:82], v[4:5] offset:3072
	s_or_b64 exec, exec, s[4:5]
                                        ; implicit-def: $vgpr83_vgpr84
	s_and_saveexec_b64 s[4:5], s[18:19]
	s_cbranch_execnz .LBB604_26
	s_branch .LBB604_27
.LBB604_119:
	flat_store_dwordx2 v[0:1], v[20:21]
	s_or_b64 exec, exec, s[24:25]
	s_and_saveexec_b64 s[4:5], s[10:11]
	s_cbranch_execz .LBB604_71
.LBB604_120:
	flat_store_dwordx2 v[0:1], v[22:23] offset:2048
	s_or_b64 exec, exec, s[4:5]
	s_and_saveexec_b64 s[4:5], s[16:17]
	s_cbranch_execz .LBB604_72
.LBB604_121:
	v_add_co_u32_e32 v2, vcc, 0x1000, v0
	v_addc_co_u32_e32 v3, vcc, 0, v1, vcc
	flat_store_dwordx2 v[2:3], v[16:17]
	s_or_b64 exec, exec, s[4:5]
	s_and_saveexec_b64 s[4:5], s[22:23]
	s_cbranch_execz .LBB604_73
.LBB604_122:
	v_add_co_u32_e32 v2, vcc, 0x1000, v0
	v_addc_co_u32_e32 v3, vcc, 0, v1, vcc
	flat_store_dwordx2 v[2:3], v[18:19] offset:2048
	s_or_b64 exec, exec, s[4:5]
	s_and_saveexec_b64 s[4:5], s[6:7]
	s_cbranch_execz .LBB604_74
.LBB604_123:
	v_add_co_u32_e32 v2, vcc, 0x2000, v0
	v_addc_co_u32_e32 v3, vcc, 0, v1, vcc
	flat_store_dwordx2 v[2:3], v[12:13]
	s_or_b64 exec, exec, s[4:5]
	s_and_saveexec_b64 s[4:5], s[14:15]
	s_cbranch_execz .LBB604_75
.LBB604_124:
	v_add_co_u32_e32 v2, vcc, 0x2000, v0
	v_addc_co_u32_e32 v3, vcc, 0, v1, vcc
	flat_store_dwordx2 v[2:3], v[14:15] offset:2048
	s_or_b64 exec, exec, s[4:5]
	s_and_saveexec_b64 s[4:5], s[18:19]
	s_cbranch_execz .LBB604_76
.LBB604_125:
	v_add_co_u32_e32 v2, vcc, 0x3000, v0
	v_addc_co_u32_e32 v3, vcc, 0, v1, vcc
	flat_store_dwordx2 v[2:3], v[8:9]
	s_or_b64 exec, exec, s[4:5]
	s_and_saveexec_b64 s[4:5], s[20:21]
	s_cbranch_execnz .LBB604_77
	s_branch .LBB604_78
.LBB604_126:
	s_or_b64 exec, exec, s[58:59]
	v_lshl_add_u32 v1, v4, 2, v86
	s_barrier
	ds_write_b32 v86, v82
	ds_write_b32 v87, v81
	;; [unrolled: 1-line block ×4, first 2 shown]
	s_waitcnt lgkmcnt(0)
	s_barrier
	ds_read2st64_b32 v[26:27], v50 offset1:4
	ds_read2st64_b32 v[24:25], v50 offset0:8 offset1:12
	s_waitcnt lgkmcnt(0)
	s_barrier
	ds_write_b64 v1, v[22:23]
	v_lshl_add_u32 v1, v36, 2, v87
	ds_write_b64 v1, v[15:16]
	v_lshl_add_u32 v1, v34, 2, v96
	;; [unrolled: 2-line block ×4, first 2 shown]
	s_waitcnt lgkmcnt(0)
	s_barrier
	ds_read2st64_b64 v[12:15], v1 offset1:4
	ds_read2st64_b64 v[8:11], v1 offset0:8 offset1:12
	v_add_co_u32_e32 v4, vcc, v2, v18
	v_mov_b32_e32 v1, 0
	v_addc_co_u32_e32 v5, vcc, v3, v19, vcc
	v_lshlrev_b64 v[2:3], 2, v[0:1]
	s_waitcnt lgkmcnt(0)
	v_add_co_u32_e32 v2, vcc, v4, v2
	v_addc_co_u32_e32 v3, vcc, v5, v3, vcc
	v_cmp_lt_u32_e32 vcc, v0, v85
	s_barrier
	s_and_saveexec_b64 s[4:5], vcc
	s_cbranch_execz .LBB604_128
; %bb.127:
	v_xor_b32_e32 v4, 0x80000000, v26
	flat_store_dword v[2:3], v4
.LBB604_128:
	s_or_b64 exec, exec, s[4:5]
	v_add_u32_e32 v4, 0x100, v0
	v_cmp_lt_u32_e64 s[4:5], v4, v85
	s_and_saveexec_b64 s[6:7], s[4:5]
	s_cbranch_execz .LBB604_130
; %bb.129:
	v_xor_b32_e32 v4, 0x80000000, v27
	flat_store_dword v[2:3], v4 offset:1024
.LBB604_130:
	s_or_b64 exec, exec, s[6:7]
	v_add_u32_e32 v4, 0x200, v0
	v_cmp_lt_u32_e64 s[10:11], v4, v85
	s_and_saveexec_b64 s[6:7], s[10:11]
	s_cbranch_execz .LBB604_132
; %bb.131:
	v_xor_b32_e32 v4, 0x80000000, v24
	flat_store_dword v[2:3], v4 offset:2048
.LBB604_132:
	;; [unrolled: 9-line block ×3, first 2 shown]
	s_or_b64 exec, exec, s[14:15]
	v_add_co_u32_e64 v2, s[14:15], v6, v20
	v_lshlrev_b64 v[0:1], 3, v[0:1]
	v_addc_co_u32_e64 v3, s[14:15], v7, v21, s[14:15]
	v_add_co_u32_e64 v0, s[14:15], v2, v0
	v_addc_co_u32_e64 v1, s[14:15], v3, v1, s[14:15]
	s_and_saveexec_b64 s[14:15], vcc
	s_cbranch_execnz .LBB604_167
; %bb.135:
	s_or_b64 exec, exec, s[14:15]
	s_and_saveexec_b64 s[14:15], s[4:5]
	s_cbranch_execnz .LBB604_168
.LBB604_136:
	s_or_b64 exec, exec, s[14:15]
	s_and_saveexec_b64 s[4:5], s[10:11]
	s_cbranch_execnz .LBB604_169
.LBB604_137:
	s_or_b64 exec, exec, s[4:5]
	s_and_saveexec_b64 s[4:5], s[6:7]
	s_cbranch_execz .LBB604_139
.LBB604_138:
	v_add_co_u32_e32 v0, vcc, 0x1000, v0
	v_addc_co_u32_e32 v1, vcc, 0, v1, vcc
	flat_store_dwordx2 v[0:1], v[10:11] offset:2048
.LBB604_139:
	s_or_b64 exec, exec, s[4:5]
                                        ; implicit-def: $vgpr85
                                        ; implicit-def: $vgpr0
                                        ; implicit-def: $vgpr1
                                        ; implicit-def: $vgpr2
                                        ; implicit-def: $vgpr3
                                        ; implicit-def: $vgpr4
                                        ; implicit-def: $vgpr5
                                        ; implicit-def: $vgpr6
                                        ; implicit-def: $vgpr7
                                        ; implicit-def: $vgpr8
                                        ; implicit-def: $vgpr10
                                        ; implicit-def: $vgpr11
                                        ; implicit-def: $vgpr12
                                        ; implicit-def: $vgpr31
                                        ; implicit-def: $vgpr20
                                        ; implicit-def: $vgpr22
                                        ; implicit-def: $vgpr18
.LBB604_140:
	s_andn2_saveexec_b64 s[4:5], s[56:57]
	s_cbranch_execz .LBB604_199
; %bb.141:
	s_load_dwordx2 s[4:5], s[8:9], 0x0
	v_mov_b32_e32 v9, 0
	v_and_b32_e32 v17, 0x3ff, v31
	v_lshlrev_b64 v[15:16], 2, v[8:9]
	s_waitcnt lgkmcnt(0)
	s_cmp_lt_u32 s13, s5
	s_cselect_b32 s5, 14, 20
	s_add_u32 s6, s8, s5
	s_addc_u32 s7, s9, 0
	s_cmp_lt_u32 s12, s4
	s_cselect_b32 s4, 12, 18
	s_add_u32 s4, s8, s4
	global_load_ushort v13, v9, s[6:7]
	s_addc_u32 s5, s9, 0
	global_load_ushort v14, v9, s[4:5]
	s_waitcnt vmcnt(0)
	v_mad_u32_u24 v13, v22, v13, v20
	v_mad_u64_u32 v[13:14], s[4:5], v13, v14, v[17:18]
	s_movk_i32 s4, 0x100
	v_cmp_lt_u32_e32 vcc, s4, v85
	s_and_saveexec_b64 s[4:5], vcc
	s_xor_b64 s[42:43], exec, s[4:5]
	s_cbranch_execz .LBB604_179
; %bb.142:
	v_mbcnt_hi_u32_b32 v25, -1, v18
	v_add_co_u32_e32 v0, vcc, v0, v15
	v_and_b32_e32 v24, 63, v25
	v_lshlrev_b32_e32 v14, 1, v13
	v_addc_co_u32_e32 v1, vcc, v1, v16, vcc
	v_and_b32_e32 v20, 0xffffff80, v14
	v_lshlrev_b32_e32 v14, 2, v24
	v_add_co_u32_e32 v14, vcc, v0, v14
	v_mov_b32_e32 v21, v9
	v_addc_co_u32_e32 v18, vcc, 0, v1, vcc
	v_lshlrev_b64 v[0:1], 2, v[20:21]
	v_add_co_u32_e32 v0, vcc, v14, v0
	v_addc_co_u32_e32 v1, vcc, v18, v1, vcc
	v_or_b32_e32 v14, v24, v20
	v_bfrev_b32_e32 v18, -2
	v_cmp_lt_u32_e32 vcc, v14, v85
	v_mov_b32_e32 v19, v18
	s_and_saveexec_b64 s[4:5], vcc
	s_cbranch_execz .LBB604_144
; %bb.143:
	flat_load_dword v22, v[0:1]
	v_mov_b32_e32 v23, v18
	s_waitcnt vmcnt(0) lgkmcnt(0)
	v_mov_b32_e32 v18, v22
	v_mov_b32_e32 v19, v23
.LBB604_144:
	s_or_b64 exec, exec, s[4:5]
	v_or_b32_e32 v14, 64, v14
	v_cmp_lt_u32_e64 s[4:5], v14, v85
	s_and_saveexec_b64 s[6:7], s[4:5]
	s_cbranch_execz .LBB604_146
; %bb.145:
	flat_load_dword v19, v[0:1] offset:256
.LBB604_146:
	s_or_b64 exec, exec, s[6:7]
	v_lshlrev_b64 v[0:1], 3, v[8:9]
	v_lshlrev_b32_e32 v8, 3, v24
	v_add_co_u32_e64 v4, s[6:7], v4, v0
	v_addc_co_u32_e64 v5, s[6:7], v5, v1, s[6:7]
	v_add_co_u32_e64 v8, s[6:7], v4, v8
	v_addc_co_u32_e64 v9, s[6:7], 0, v5, s[6:7]
	v_lshlrev_b64 v[4:5], 3, v[20:21]
	v_mov_b32_e32 v22, 0
	v_mov_b32_e32 v20, 0
	v_add_co_u32_e64 v4, s[6:7], v8, v4
	v_mov_b32_e32 v23, 0
	v_mov_b32_e32 v21, 0
	v_addc_co_u32_e64 v5, s[6:7], v9, v5, s[6:7]
	s_and_saveexec_b64 s[6:7], vcc
	s_cbranch_execz .LBB604_148
; %bb.147:
	flat_load_dwordx2 v[20:21], v[4:5]
.LBB604_148:
	s_or_b64 exec, exec, s[6:7]
	s_and_saveexec_b64 s[6:7], s[4:5]
	s_cbranch_execz .LBB604_150
; %bb.149:
	flat_load_dwordx2 v[22:23], v[4:5] offset:512
.LBB604_150:
	s_or_b64 exec, exec, s[6:7]
	v_lshl_add_u32 v8, v17, 4, v12
	s_getpc_b64 s[4:5]
	s_add_u32 s4, s4, _ZN7rocprim17ROCPRIM_400000_NS16block_radix_sortIiLj256ELj2ElLj1ELj1ELj8ELNS0_26block_radix_rank_algorithmE2ELNS0_18block_padding_hintE2ELNS0_4arch9wavefront6targetE1EE19radix_bits_per_passE@rel32@lo+4
	s_addc_u32 s5, s5, _ZN7rocprim17ROCPRIM_400000_NS16block_radix_sortIiLj256ELj2ElLj1ELj1ELj8ELNS0_26block_radix_rank_algorithmE2ELNS0_18block_padding_hintE2ELNS0_4arch9wavefront6targetE1EE19radix_bits_per_passE@rel32@hi+12
	v_add_u32_e32 v14, 16, v8
	v_add_u32_e32 v26, 20, v8
	;; [unrolled: 1-line block ×4, first 2 shown]
	v_and_b32_e32 v8, 15, v25
	s_load_dword s58, s[4:5], 0x0
	v_cmp_eq_u32_e32 vcc, 0, v8
	v_cmp_lt_u32_e64 s[4:5], 1, v8
	v_cmp_lt_u32_e64 s[6:7], 3, v8
	;; [unrolled: 1-line block ×3, first 2 shown]
	v_and_b32_e32 v8, 16, v25
	v_cmp_eq_u32_e64 s[10:11], 0, v8
	v_and_b32_e32 v8, 0x3c0, v17
	v_min_u32_e32 v8, 0xc0, v8
	v_lshlrev_b32_e32 v4, 2, v17
	v_or_b32_e32 v8, 63, v8
	v_cmp_eq_u32_e64 s[14:15], v17, v8
	v_subrev_co_u32_e64 v8, s[20:21], 1, v25
	v_and_b32_e32 v9, 64, v25
	v_add_co_u32_e64 v30, s[24:25], v12, v4
	v_and_b32_e32 v4, 3, v25
	v_cmp_lt_i32_e64 s[22:23], v8, v9
	v_cmp_eq_u32_e64 s[24:25], 0, v4
	v_cmp_lt_u32_e64 s[26:27], 1, v4
	v_lshlrev_b32_e32 v4, 1, v17
	s_movk_i32 s28, 0x780
	v_cndmask_b32_e64 v8, v8, v25, s[22:23]
	v_and_or_b32 v4, v4, s28, v24
	v_lshlrev_b32_e32 v31, 2, v8
	v_lshrrev_b32_e32 v8, 4, v17
	v_lshlrev_b32_e32 v4, 2, v4
	v_and_b32_e32 v8, 60, v8
	v_add_u32_e32 v34, v12, v4
	v_add_u32_e32 v32, v12, v8
	;; [unrolled: 1-line block ×3, first 2 shown]
	v_xor_b32_e32 v49, 0x80000000, v18
	s_waitcnt vmcnt(0) lgkmcnt(0)
	v_xor_b32_e32 v50, 0x80000000, v19
	v_mov_b32_e32 v5, 0
	v_lshrrev_b32_e32 v29, 6, v13
	v_cmp_lt_u32_e64 s[12:13], 31, v25
	v_cmp_gt_u32_e64 s[16:17], 4, v17
	v_cmp_lt_u32_e64 s[18:19], 63, v17
	v_cmp_eq_u32_e64 s[22:23], 0, v17
	v_add_u32_e32 v33, -4, v32
	v_add_u32_e32 v35, 0x100, v34
	v_add_u32_e32 v37, 0x200, v36
	v_sub_u32_e32 v38, v11, v10
	s_mov_b64 s[44:45], 0
	s_barrier
	s_branch .LBB604_152
.LBB604_151:                            ;   in Loop: Header=BB604_152 Depth=1
	s_or_b64 exec, exec, s[40:41]
	s_and_b64 s[28:29], exec, s[56:57]
	s_or_b64 s[44:45], s[28:29], s[44:45]
	s_andn2_b64 exec, exec, s[44:45]
	s_cbranch_execz .LBB604_170
.LBB604_152:                            ; =>This Inner Loop Header: Depth=1
	v_min_u32_e32 v4, s58, v38
	v_mov_b32_e32 v48, v49
	v_mov_b32_e32 v8, v22
	v_lshlrev_b32_e64 v4, v4, -1
	v_mov_b32_e32 v9, v23
	v_not_b32_e32 v23, v4
	v_lshrrev_b32_e32 v4, v10, v48
	v_and_b32_e32 v22, v4, v23
	v_mov_b32_e32 v18, v20
	v_lshl_add_u32 v4, v22, 2, v29
	v_mov_b32_e32 v19, v21
	v_lshlrev_b64 v[20:21], 2, v[4:5]
	v_mov_b32_e32 v39, v50
	v_add_co_u32_e64 v4, s[28:29], v12, v20
	v_add_co_u32_e64 v4, s[28:29], 16, v4
	v_and_b32_e32 v20, 1, v22
	v_add_co_u32_e64 v21, s[28:29], -1, v20
	v_addc_co_u32_e64 v24, s[28:29], 0, -1, s[28:29]
	v_cmp_ne_u32_e64 s[28:29], 0, v20
	v_xor_b32_e32 v20, s29, v24
	v_xor_b32_e32 v21, s28, v21
	v_and_b32_e32 v24, exec_hi, v20
	v_and_b32_e32 v25, exec_lo, v21
	v_lshlrev_b32_e32 v21, 30, v22
	v_mov_b32_e32 v20, v5
	v_cmp_gt_i64_e64 s[28:29], 0, v[20:21]
	v_not_b32_e32 v20, v21
	v_ashrrev_i32_e32 v20, 31, v20
	v_xor_b32_e32 v21, s29, v20
	v_xor_b32_e32 v20, s28, v20
	v_and_b32_e32 v24, v24, v21
	v_and_b32_e32 v25, v25, v20
	v_lshlrev_b32_e32 v21, 29, v22
	v_mov_b32_e32 v20, v5
	v_cmp_gt_i64_e64 s[28:29], 0, v[20:21]
	v_not_b32_e32 v20, v21
	v_ashrrev_i32_e32 v20, 31, v20
	v_xor_b32_e32 v21, s29, v20
	v_xor_b32_e32 v20, s28, v20
	v_and_b32_e32 v24, v24, v21
	v_and_b32_e32 v25, v25, v20
	;; [unrolled: 9-line block ×7, first 2 shown]
	v_mbcnt_lo_u32_b32 v22, v20, 0
	v_mbcnt_hi_u32_b32 v22, v21, v22
	v_cmp_ne_u64_e64 s[28:29], 0, v[20:21]
	v_cmp_eq_u32_e64 s[40:41], 0, v22
	s_and_b64 s[40:41], s[28:29], s[40:41]
	ds_write_b32 v14, v5
	ds_write_b32 v26, v5
	ds_write_b32 v27, v5
	ds_write_b32 v28, v5
	s_waitcnt lgkmcnt(0)
	s_barrier
	; wave barrier
	s_and_saveexec_b64 s[28:29], s[40:41]
; %bb.153:                              ;   in Loop: Header=BB604_152 Depth=1
	v_bcnt_u32_b32 v20, v20, 0
	v_bcnt_u32_b32 v20, v21, v20
	ds_write_b32 v4, v20
; %bb.154:                              ;   in Loop: Header=BB604_152 Depth=1
	s_or_b64 exec, exec, s[28:29]
	v_lshrrev_b32_e32 v20, v10, v39
	v_and_b32_e32 v25, v20, v23
	v_lshl_add_u32 v20, v25, 2, v29
	v_lshl_add_u32 v20, v20, 2, v12
	; wave barrier
	v_add_u32_e32 v24, 16, v20
	ds_read_b32 v23, v20 offset:16
	v_and_b32_e32 v20, 1, v25
	v_add_co_u32_e64 v21, s[28:29], -1, v20
	v_addc_co_u32_e64 v49, s[28:29], 0, -1, s[28:29]
	v_cmp_ne_u32_e64 s[28:29], 0, v20
	v_xor_b32_e32 v20, s29, v49
	v_xor_b32_e32 v21, s28, v21
	v_and_b32_e32 v49, exec_hi, v20
	v_and_b32_e32 v50, exec_lo, v21
	v_lshlrev_b32_e32 v21, 30, v25
	v_mov_b32_e32 v20, v5
	v_cmp_gt_i64_e64 s[28:29], 0, v[20:21]
	v_not_b32_e32 v20, v21
	v_ashrrev_i32_e32 v20, 31, v20
	v_xor_b32_e32 v21, s29, v20
	v_xor_b32_e32 v20, s28, v20
	v_and_b32_e32 v49, v49, v21
	v_and_b32_e32 v50, v50, v20
	v_lshlrev_b32_e32 v21, 29, v25
	v_mov_b32_e32 v20, v5
	v_cmp_gt_i64_e64 s[28:29], 0, v[20:21]
	v_not_b32_e32 v20, v21
	v_ashrrev_i32_e32 v20, 31, v20
	v_xor_b32_e32 v21, s29, v20
	v_xor_b32_e32 v20, s28, v20
	v_and_b32_e32 v49, v49, v21
	v_and_b32_e32 v50, v50, v20
	;; [unrolled: 9-line block ×7, first 2 shown]
	v_mbcnt_lo_u32_b32 v25, v20, 0
	v_mbcnt_hi_u32_b32 v25, v21, v25
	v_cmp_ne_u64_e64 s[28:29], 0, v[20:21]
	v_cmp_eq_u32_e64 s[40:41], 0, v25
	s_and_b64 s[40:41], s[28:29], s[40:41]
	; wave barrier
	s_and_saveexec_b64 s[28:29], s[40:41]
	s_cbranch_execz .LBB604_156
; %bb.155:                              ;   in Loop: Header=BB604_152 Depth=1
	v_bcnt_u32_b32 v20, v20, 0
	v_bcnt_u32_b32 v20, v21, v20
	s_waitcnt lgkmcnt(0)
	v_add_u32_e32 v20, v23, v20
	ds_write_b32 v24, v20
.LBB604_156:                            ;   in Loop: Header=BB604_152 Depth=1
	s_or_b64 exec, exec, s[28:29]
	; wave barrier
	s_waitcnt lgkmcnt(0)
	s_barrier
	ds_read_b32 v49, v14
	ds_read_b32 v21, v26
	ds_read_b32 v20, v27
	ds_read_b32 v50, v28
	s_waitcnt lgkmcnt(2)
	v_add_u32_e32 v51, v21, v49
	s_waitcnt lgkmcnt(0)
	v_add3_u32 v50, v51, v20, v50
	s_nop 1
	v_mov_b32_dpp v51, v50 row_shr:1 row_mask:0xf bank_mask:0xf
	v_cndmask_b32_e64 v51, v51, 0, vcc
	v_add_u32_e32 v50, v51, v50
	s_nop 1
	v_mov_b32_dpp v51, v50 row_shr:2 row_mask:0xf bank_mask:0xf
	v_cndmask_b32_e64 v51, 0, v51, s[4:5]
	v_add_u32_e32 v50, v50, v51
	s_nop 1
	v_mov_b32_dpp v51, v50 row_shr:4 row_mask:0xf bank_mask:0xf
	v_cndmask_b32_e64 v51, 0, v51, s[6:7]
	;; [unrolled: 4-line block ×3, first 2 shown]
	v_add_u32_e32 v50, v50, v51
	s_nop 1
	v_mov_b32_dpp v51, v50 row_bcast:15 row_mask:0xf bank_mask:0xf
	v_cndmask_b32_e64 v51, v51, 0, s[10:11]
	v_add_u32_e32 v50, v50, v51
	s_nop 1
	v_mov_b32_dpp v51, v50 row_bcast:31 row_mask:0xf bank_mask:0xf
	v_cndmask_b32_e64 v51, 0, v51, s[12:13]
	v_add_u32_e32 v50, v50, v51
	s_and_saveexec_b64 s[28:29], s[14:15]
; %bb.157:                              ;   in Loop: Header=BB604_152 Depth=1
	ds_write_b32 v32, v50
; %bb.158:                              ;   in Loop: Header=BB604_152 Depth=1
	s_or_b64 exec, exec, s[28:29]
	s_waitcnt lgkmcnt(0)
	s_barrier
	s_and_saveexec_b64 s[28:29], s[16:17]
	s_cbranch_execz .LBB604_160
; %bb.159:                              ;   in Loop: Header=BB604_152 Depth=1
	ds_read_b32 v51, v30
	s_waitcnt lgkmcnt(0)
	s_nop 0
	v_mov_b32_dpp v52, v51 row_shr:1 row_mask:0xf bank_mask:0xf
	v_cndmask_b32_e64 v52, v52, 0, s[24:25]
	v_add_u32_e32 v51, v52, v51
	s_nop 1
	v_mov_b32_dpp v52, v51 row_shr:2 row_mask:0xf bank_mask:0xf
	v_cndmask_b32_e64 v52, 0, v52, s[26:27]
	v_add_u32_e32 v51, v51, v52
	ds_write_b32 v30, v51
.LBB604_160:                            ;   in Loop: Header=BB604_152 Depth=1
	s_or_b64 exec, exec, s[28:29]
	v_mov_b32_e32 v51, 0
	s_waitcnt lgkmcnt(0)
	s_barrier
	s_and_saveexec_b64 s[28:29], s[18:19]
; %bb.161:                              ;   in Loop: Header=BB604_152 Depth=1
	ds_read_b32 v51, v33
; %bb.162:                              ;   in Loop: Header=BB604_152 Depth=1
	s_or_b64 exec, exec, s[28:29]
	s_waitcnt lgkmcnt(0)
	v_add_u32_e32 v50, v51, v50
	ds_bpermute_b32 v50, v31, v50
	v_add_u32_e32 v10, 8, v10
	v_cmp_lt_u32_e64 s[28:29], v10, v11
	s_mov_b64 s[56:57], -1
	s_waitcnt lgkmcnt(0)
	v_cndmask_b32_e64 v50, v50, v51, s[20:21]
	v_cndmask_b32_e64 v50, v50, 0, s[22:23]
	v_add_u32_e32 v49, v50, v49
	v_add_u32_e32 v21, v49, v21
	;; [unrolled: 1-line block ×3, first 2 shown]
	ds_write_b32 v14, v50
	ds_write_b32 v26, v49
	;; [unrolled: 1-line block ×4, first 2 shown]
	s_waitcnt lgkmcnt(0)
	s_barrier
	ds_read_b32 v4, v4
	ds_read_b32 v20, v24
	s_waitcnt lgkmcnt(0)
                                        ; implicit-def: $vgpr50
                                        ; implicit-def: $vgpr49
	v_add_u32_e32 v4, v4, v22
	v_add3_u32 v24, v25, v23, v20
	v_lshlrev_b64 v[20:21], 2, v[4:5]
	v_mov_b32_e32 v25, v5
	v_add_co_u32_e64 v51, s[40:41], v12, v20
	v_lshlrev_b64 v[20:21], 2, v[24:25]
                                        ; implicit-def: $vgpr22_vgpr23
	v_add_co_u32_e64 v25, s[40:41], v12, v20
                                        ; implicit-def: $vgpr20_vgpr21
	s_and_saveexec_b64 s[40:41], s[28:29]
	s_cbranch_execz .LBB604_151
; %bb.163:                              ;   in Loop: Header=BB604_152 Depth=1
	v_lshl_add_u32 v20, v4, 2, v51
	s_barrier
	ds_write_b32 v51, v48
	ds_write_b32 v25, v39
	s_waitcnt lgkmcnt(0)
	s_barrier
	ds_read_b32 v49, v34
	ds_read_b32 v50, v35
	s_waitcnt lgkmcnt(0)
	s_barrier
	ds_write_b64 v20, v[18:19]
	v_lshl_add_u32 v20, v24, 2, v25
	ds_write_b64 v20, v[8:9]
	s_waitcnt lgkmcnt(0)
	s_barrier
	ds_read_b64 v[20:21], v36
	ds_read_b64 v[22:23], v37
	v_add_u32_e32 v38, -8, v38
	s_xor_b64 s[56:57], exec, -1
	s_waitcnt lgkmcnt(0)
	s_barrier
	s_branch .LBB604_151
.LBB604_164:
	flat_load_dwordx2 v[24:25], v[4:5]
	s_or_b64 exec, exec, s[14:15]
                                        ; implicit-def: $vgpr26_vgpr27
	s_and_saveexec_b64 s[14:15], s[4:5]
	s_cbranch_execz .LBB604_91
.LBB604_165:
	flat_load_dwordx2 v[26:27], v[4:5] offset:512
	s_or_b64 exec, exec, s[14:15]
                                        ; implicit-def: $vgpr28_vgpr29
	s_and_saveexec_b64 s[4:5], s[6:7]
	s_cbranch_execz .LBB604_92
.LBB604_166:
	flat_load_dwordx2 v[28:29], v[4:5] offset:1024
	s_or_b64 exec, exec, s[4:5]
                                        ; implicit-def: $vgpr30_vgpr31
	s_and_saveexec_b64 s[4:5], s[10:11]
	s_cbranch_execnz .LBB604_93
	s_branch .LBB604_94
.LBB604_167:
	flat_store_dwordx2 v[0:1], v[12:13]
	s_or_b64 exec, exec, s[14:15]
	s_and_saveexec_b64 s[14:15], s[4:5]
	s_cbranch_execz .LBB604_136
.LBB604_168:
	flat_store_dwordx2 v[0:1], v[14:15] offset:2048
	s_or_b64 exec, exec, s[14:15]
	s_and_saveexec_b64 s[4:5], s[10:11]
	s_cbranch_execz .LBB604_137
.LBB604_169:
	v_add_co_u32_e32 v2, vcc, 0x1000, v0
	v_addc_co_u32_e32 v3, vcc, 0, v1, vcc
	flat_store_dwordx2 v[2:3], v[8:9]
	s_or_b64 exec, exec, s[4:5]
	s_and_saveexec_b64 s[4:5], s[6:7]
	s_cbranch_execnz .LBB604_138
	s_branch .LBB604_139
.LBB604_170:
	s_or_b64 exec, exec, s[44:45]
	v_lshl_add_u32 v4, v4, 2, v51
	s_barrier
	ds_write_b32 v51, v48
	ds_write_b32 v25, v39
	s_waitcnt lgkmcnt(0)
	s_barrier
	ds_read2st64_b32 v[20:21], v30 offset1:4
	s_waitcnt lgkmcnt(0)
	s_barrier
	ds_write_b64 v4, v[18:19]
	v_lshl_add_u32 v4, v24, 2, v25
	ds_write_b64 v4, v[8:9]
	v_lshl_add_u32 v4, v17, 3, v12
	s_waitcnt lgkmcnt(0)
	s_barrier
	ds_read2st64_b64 v[8:11], v4 offset1:4
	v_add_co_u32_e32 v4, vcc, v2, v15
	v_mov_b32_e32 v14, 0
	v_addc_co_u32_e32 v5, vcc, v3, v16, vcc
	v_lshlrev_b64 v[2:3], 2, v[13:14]
	s_waitcnt lgkmcnt(0)
	v_add_co_u32_e32 v2, vcc, v4, v2
	v_addc_co_u32_e32 v3, vcc, v5, v3, vcc
	v_cmp_lt_u32_e32 vcc, v13, v85
	s_barrier
	s_and_saveexec_b64 s[4:5], vcc
	s_cbranch_execz .LBB604_172
; %bb.171:
	v_xor_b32_e32 v4, 0x80000000, v20
	flat_store_dword v[2:3], v4
.LBB604_172:
	s_or_b64 exec, exec, s[4:5]
	v_add_u32_e32 v4, 0x100, v13
	v_cmp_lt_u32_e64 s[4:5], v4, v85
	s_and_saveexec_b64 s[6:7], s[4:5]
	s_cbranch_execz .LBB604_174
; %bb.173:
	v_xor_b32_e32 v4, 0x80000000, v21
	flat_store_dword v[2:3], v4 offset:1024
.LBB604_174:
	s_or_b64 exec, exec, s[6:7]
	v_add_co_u32_e64 v2, s[6:7], v6, v0
	v_addc_co_u32_e64 v3, s[6:7], v7, v1, s[6:7]
	v_lshlrev_b64 v[0:1], 3, v[13:14]
	v_add_co_u32_e64 v0, s[6:7], v2, v0
	v_addc_co_u32_e64 v1, s[6:7], v3, v1, s[6:7]
	s_and_saveexec_b64 s[6:7], vcc
	s_cbranch_execz .LBB604_176
; %bb.175:
	flat_store_dwordx2 v[0:1], v[8:9]
.LBB604_176:
	s_or_b64 exec, exec, s[6:7]
	s_and_saveexec_b64 s[6:7], s[4:5]
	s_cbranch_execz .LBB604_178
; %bb.177:
	flat_store_dwordx2 v[0:1], v[10:11] offset:2048
.LBB604_178:
	s_or_b64 exec, exec, s[6:7]
                                        ; implicit-def: $vgpr17
                                        ; implicit-def: $vgpr13_vgpr14
                                        ; implicit-def: $vgpr8_vgpr9
                                        ; implicit-def: $vgpr15_vgpr16
                                        ; implicit-def: $vgpr85
                                        ; implicit-def: $vgpr0
                                        ; implicit-def: $vgpr1
                                        ; implicit-def: $vgpr2
                                        ; implicit-def: $vgpr3
                                        ; implicit-def: $vgpr4
                                        ; implicit-def: $vgpr5
                                        ; implicit-def: $vgpr6
                                        ; implicit-def: $vgpr7
                                        ; implicit-def: $vgpr10
                                        ; implicit-def: $vgpr11
                                        ; implicit-def: $vgpr12
                                        ; implicit-def: $vgpr18
.LBB604_179:
	s_andn2_saveexec_b64 s[4:5], s[42:43]
	s_cbranch_execz .LBB604_199
; %bb.180:
	v_mbcnt_hi_u32_b32 v27, -1, v18
	v_bfi_b32 v14, 63, v27, v13
	v_mov_b32_e32 v32, -1
	v_and_b32_e32 v28, 63, v27
	v_and_b32_e32 v20, 0xffffffc0, v13
	v_cmp_lt_u32_e32 vcc, v14, v85
	s_and_saveexec_b64 s[6:7], vcc
	s_cbranch_execz .LBB604_182
; %bb.181:
	v_add_co_u32_e64 v0, s[4:5], v0, v15
	v_addc_co_u32_e64 v1, s[4:5], v1, v16, s[4:5]
	v_lshlrev_b32_e32 v14, 2, v28
	v_mov_b32_e32 v21, 0
	v_add_co_u32_e64 v14, s[4:5], v0, v14
	v_addc_co_u32_e64 v18, s[4:5], 0, v1, s[4:5]
	v_lshlrev_b64 v[0:1], 2, v[20:21]
	v_add_co_u32_e64 v0, s[4:5], v14, v0
	v_addc_co_u32_e64 v1, s[4:5], v18, v1, s[4:5]
	flat_load_dword v0, v[0:1]
	s_waitcnt vmcnt(0) lgkmcnt(0)
	v_xor_b32_e32 v32, 0x80000000, v0
.LBB604_182:
	s_or_b64 exec, exec, s[6:7]
	v_lshlrev_b64 v[0:1], 3, v[8:9]
                                        ; implicit-def: $vgpr18_vgpr19
	s_and_saveexec_b64 s[4:5], vcc
	s_cbranch_execz .LBB604_184
; %bb.183:
	v_add_co_u32_e32 v4, vcc, v4, v0
	v_addc_co_u32_e32 v5, vcc, v5, v1, vcc
	v_lshlrev_b32_e32 v8, 3, v28
	v_mov_b32_e32 v21, 0
	v_add_co_u32_e32 v8, vcc, v4, v8
	v_addc_co_u32_e32 v9, vcc, 0, v5, vcc
	v_lshlrev_b64 v[4:5], 3, v[20:21]
	v_add_co_u32_e32 v4, vcc, v8, v4
	v_addc_co_u32_e32 v5, vcc, v9, v5, vcc
	flat_load_dwordx2 v[18:19], v[4:5]
.LBB604_184:
	s_or_b64 exec, exec, s[4:5]
	v_lshl_add_u32 v8, v17, 4, v12
	s_getpc_b64 s[4:5]
	s_add_u32 s4, s4, _ZN7rocprim17ROCPRIM_400000_NS16block_radix_sortIiLj256ELj1ElLj1ELj1ELj8ELNS0_26block_radix_rank_algorithmE2ELNS0_18block_padding_hintE2ELNS0_4arch9wavefront6targetE1EE19radix_bits_per_passE@rel32@lo+4
	s_addc_u32 s5, s5, _ZN7rocprim17ROCPRIM_400000_NS16block_radix_sortIiLj256ELj1ElLj1ELj1ELj8ELNS0_26block_radix_rank_algorithmE2ELNS0_18block_padding_hintE2ELNS0_4arch9wavefront6targetE1EE19radix_bits_per_passE@rel32@hi+12
	v_add_u32_e32 v14, 16, v8
	v_add_u32_e32 v20, 20, v8
	;; [unrolled: 1-line block ×4, first 2 shown]
	v_and_b32_e32 v8, 15, v27
	s_load_dword s56, s[4:5], 0x0
	v_cmp_eq_u32_e32 vcc, 0, v8
	v_cmp_lt_u32_e64 s[4:5], 1, v8
	v_cmp_lt_u32_e64 s[6:7], 3, v8
	v_cmp_lt_u32_e64 s[8:9], 7, v8
	v_and_b32_e32 v8, 16, v27
	v_cmp_eq_u32_e64 s[10:11], 0, v8
	v_and_b32_e32 v8, 0x3c0, v17
	v_min_u32_e32 v9, 0xc0, v8
	v_or_b32_e32 v9, 63, v9
	v_cmp_eq_u32_e64 s[14:15], v17, v9
	v_subrev_co_u32_e64 v9, s[20:21], 1, v27
	v_and_b32_e32 v24, 64, v27
	v_lshlrev_b32_e32 v4, 2, v17
	v_cmp_lt_i32_e64 s[22:23], v9, v24
	v_cndmask_b32_e64 v9, v9, v27, s[22:23]
	v_add_co_u32_e64 v24, s[24:25], v12, v4
	v_and_b32_e32 v4, 3, v27
	v_lshlrev_b32_e32 v25, 2, v9
	v_lshrrev_b32_e32 v9, 4, v17
	v_cmp_eq_u32_e64 s[24:25], 0, v4
	v_cmp_lt_u32_e64 s[26:27], 1, v4
	v_or_b32_e32 v4, v28, v8
	v_and_b32_e32 v9, 60, v9
	v_lshlrev_b32_e32 v4, 2, v4
	v_add_u32_e32 v26, v12, v9
	v_add_u32_e32 v28, v12, v4
	v_mov_b32_e32 v5, 0
	v_lshrrev_b32_e32 v23, 6, v13
	v_cmp_lt_u32_e64 s[12:13], 31, v27
	v_cmp_gt_u32_e64 s[16:17], 4, v17
	v_cmp_lt_u32_e64 s[18:19], 63, v17
	v_cmp_eq_u32_e64 s[22:23], 0, v17
	v_add_u32_e32 v27, -4, v26
	v_add_u32_e32 v29, v28, v4
	s_mov_b64 s[42:43], 0
	v_sub_u32_e32 v30, v11, v10
	s_waitcnt vmcnt(0) lgkmcnt(0)
	s_barrier
	s_branch .LBB604_186
.LBB604_185:                            ;   in Loop: Header=BB604_186 Depth=1
	s_or_b64 exec, exec, s[40:41]
	s_and_b64 s[28:29], exec, s[44:45]
	s_or_b64 s[42:43], s[28:29], s[42:43]
	s_andn2_b64 exec, exec, s[42:43]
	s_cbranch_execz .LBB604_196
.LBB604_186:                            ; =>This Inner Loop Header: Depth=1
	v_mov_b32_e32 v8, v18
	v_mov_b32_e32 v31, v32
	;; [unrolled: 1-line block ×3, first 2 shown]
	v_min_u32_e32 v4, s56, v30
	v_lshrrev_b32_e32 v18, v10, v31
	v_bfe_u32 v32, v18, 0, v4
	v_lshl_add_u32 v4, v32, 2, v23
	v_lshlrev_b64 v[18:19], 2, v[4:5]
	ds_write_b32 v14, v5
	ds_write_b32 v20, v5
	;; [unrolled: 1-line block ×4, first 2 shown]
	v_add_co_u32_e64 v4, s[28:29], v12, v18
	v_add_co_u32_e64 v4, s[28:29], 16, v4
	v_and_b32_e32 v18, 1, v32
	v_add_co_u32_e64 v19, s[28:29], -1, v18
	v_addc_co_u32_e64 v33, s[28:29], 0, -1, s[28:29]
	v_cmp_ne_u32_e64 s[28:29], 0, v18
	v_xor_b32_e32 v18, s29, v33
	v_xor_b32_e32 v19, s28, v19
	v_and_b32_e32 v33, exec_hi, v18
	v_and_b32_e32 v34, exec_lo, v19
	v_lshlrev_b32_e32 v19, 30, v32
	v_mov_b32_e32 v18, v5
	v_cmp_gt_i64_e64 s[28:29], 0, v[18:19]
	v_not_b32_e32 v18, v19
	v_ashrrev_i32_e32 v18, 31, v18
	v_xor_b32_e32 v19, s29, v18
	v_xor_b32_e32 v18, s28, v18
	v_and_b32_e32 v33, v33, v19
	v_and_b32_e32 v34, v34, v18
	v_lshlrev_b32_e32 v19, 29, v32
	v_mov_b32_e32 v18, v5
	v_cmp_gt_i64_e64 s[28:29], 0, v[18:19]
	v_not_b32_e32 v18, v19
	v_ashrrev_i32_e32 v18, 31, v18
	v_xor_b32_e32 v19, s29, v18
	v_xor_b32_e32 v18, s28, v18
	v_and_b32_e32 v33, v33, v19
	v_and_b32_e32 v34, v34, v18
	;; [unrolled: 9-line block ×7, first 2 shown]
	v_mbcnt_lo_u32_b32 v32, v18, 0
	v_mbcnt_hi_u32_b32 v32, v19, v32
	v_cmp_ne_u64_e64 s[28:29], 0, v[18:19]
	v_cmp_eq_u32_e64 s[40:41], 0, v32
	s_and_b64 s[40:41], s[28:29], s[40:41]
	s_waitcnt lgkmcnt(0)
	s_barrier
	; wave barrier
	s_and_saveexec_b64 s[28:29], s[40:41]
; %bb.187:                              ;   in Loop: Header=BB604_186 Depth=1
	v_bcnt_u32_b32 v18, v18, 0
	v_bcnt_u32_b32 v18, v19, v18
	ds_write_b32 v4, v18
; %bb.188:                              ;   in Loop: Header=BB604_186 Depth=1
	s_or_b64 exec, exec, s[28:29]
	; wave barrier
	s_waitcnt lgkmcnt(0)
	s_barrier
	ds_read_b32 v33, v14
	ds_read_b32 v19, v20
	;; [unrolled: 1-line block ×4, first 2 shown]
	s_waitcnt lgkmcnt(2)
	v_add_u32_e32 v35, v19, v33
	s_waitcnt lgkmcnt(0)
	v_add3_u32 v34, v35, v18, v34
	s_nop 1
	v_mov_b32_dpp v35, v34 row_shr:1 row_mask:0xf bank_mask:0xf
	v_cndmask_b32_e64 v35, v35, 0, vcc
	v_add_u32_e32 v34, v35, v34
	s_nop 1
	v_mov_b32_dpp v35, v34 row_shr:2 row_mask:0xf bank_mask:0xf
	v_cndmask_b32_e64 v35, 0, v35, s[4:5]
	v_add_u32_e32 v34, v34, v35
	s_nop 1
	v_mov_b32_dpp v35, v34 row_shr:4 row_mask:0xf bank_mask:0xf
	v_cndmask_b32_e64 v35, 0, v35, s[6:7]
	;; [unrolled: 4-line block ×3, first 2 shown]
	v_add_u32_e32 v34, v34, v35
	s_nop 1
	v_mov_b32_dpp v35, v34 row_bcast:15 row_mask:0xf bank_mask:0xf
	v_cndmask_b32_e64 v35, v35, 0, s[10:11]
	v_add_u32_e32 v34, v34, v35
	s_nop 1
	v_mov_b32_dpp v35, v34 row_bcast:31 row_mask:0xf bank_mask:0xf
	v_cndmask_b32_e64 v35, 0, v35, s[12:13]
	v_add_u32_e32 v34, v34, v35
	s_and_saveexec_b64 s[28:29], s[14:15]
; %bb.189:                              ;   in Loop: Header=BB604_186 Depth=1
	ds_write_b32 v26, v34
; %bb.190:                              ;   in Loop: Header=BB604_186 Depth=1
	s_or_b64 exec, exec, s[28:29]
	s_waitcnt lgkmcnt(0)
	s_barrier
	s_and_saveexec_b64 s[28:29], s[16:17]
	s_cbranch_execz .LBB604_192
; %bb.191:                              ;   in Loop: Header=BB604_186 Depth=1
	ds_read_b32 v35, v24
	s_waitcnt lgkmcnt(0)
	s_nop 0
	v_mov_b32_dpp v36, v35 row_shr:1 row_mask:0xf bank_mask:0xf
	v_cndmask_b32_e64 v36, v36, 0, s[24:25]
	v_add_u32_e32 v35, v36, v35
	s_nop 1
	v_mov_b32_dpp v36, v35 row_shr:2 row_mask:0xf bank_mask:0xf
	v_cndmask_b32_e64 v36, 0, v36, s[26:27]
	v_add_u32_e32 v35, v35, v36
	ds_write_b32 v24, v35
.LBB604_192:                            ;   in Loop: Header=BB604_186 Depth=1
	s_or_b64 exec, exec, s[28:29]
	v_mov_b32_e32 v35, 0
	s_waitcnt lgkmcnt(0)
	s_barrier
	s_and_saveexec_b64 s[28:29], s[18:19]
; %bb.193:                              ;   in Loop: Header=BB604_186 Depth=1
	ds_read_b32 v35, v27
; %bb.194:                              ;   in Loop: Header=BB604_186 Depth=1
	s_or_b64 exec, exec, s[28:29]
	s_waitcnt lgkmcnt(0)
	v_add_u32_e32 v34, v35, v34
	ds_bpermute_b32 v34, v25, v34
	v_add_u32_e32 v10, 8, v10
	v_cmp_lt_u32_e64 s[28:29], v10, v11
	s_mov_b64 s[44:45], -1
	s_waitcnt lgkmcnt(0)
	v_cndmask_b32_e64 v34, v34, v35, s[20:21]
	v_cndmask_b32_e64 v34, v34, 0, s[22:23]
	v_add_u32_e32 v33, v34, v33
	v_add_u32_e32 v19, v33, v19
	ds_write_b32 v14, v34
	ds_write_b32 v20, v33
	v_add_u32_e32 v18, v19, v18
	ds_write_b32 v21, v19
	ds_write_b32 v22, v18
	s_waitcnt lgkmcnt(0)
	s_barrier
	ds_read_b32 v4, v4
	s_waitcnt lgkmcnt(0)
	v_add_u32_e32 v4, v4, v32
	v_lshlrev_b64 v[18:19], 2, v[4:5]
                                        ; implicit-def: $vgpr32
	v_add_co_u32_e64 v33, s[40:41], v12, v18
	v_add_co_u32_e64 v4, s[40:41], v33, v18
                                        ; implicit-def: $vgpr18_vgpr19
	s_and_saveexec_b64 s[40:41], s[28:29]
	s_cbranch_execz .LBB604_185
; %bb.195:                              ;   in Loop: Header=BB604_186 Depth=1
	s_barrier
	ds_write_b32 v33, v31
	s_waitcnt lgkmcnt(0)
	s_barrier
	ds_read_b32 v32, v28
	s_waitcnt lgkmcnt(0)
	s_barrier
	ds_write_b64 v4, v[8:9]
	s_waitcnt lgkmcnt(0)
	s_barrier
	ds_read_b64 v[18:19], v29
	v_add_u32_e32 v30, -8, v30
	s_xor_b64 s[44:45], exec, -1
	s_waitcnt lgkmcnt(0)
	s_barrier
	s_branch .LBB604_185
.LBB604_196:
	s_or_b64 exec, exec, s[42:43]
	s_barrier
	ds_write_b32 v33, v31
	s_waitcnt lgkmcnt(0)
	s_barrier
	ds_read_b32 v10, v24
	s_waitcnt lgkmcnt(0)
	s_barrier
	ds_write_b64 v4, v[8:9]
	v_lshl_add_u32 v4, v17, 2, v24
	s_waitcnt lgkmcnt(0)
	s_barrier
	ds_read_b64 v[4:5], v4
	v_cmp_lt_u32_e32 vcc, v13, v85
	s_waitcnt lgkmcnt(0)
	s_barrier
	s_and_saveexec_b64 s[4:5], vcc
	s_cbranch_execz .LBB604_198
; %bb.197:
	v_add_co_u32_e32 v6, vcc, v6, v0
	v_mov_b32_e32 v14, 0
	v_addc_co_u32_e32 v7, vcc, v7, v1, vcc
	v_lshlrev_b64 v[0:1], 3, v[13:14]
	v_add_co_u32_e32 v0, vcc, v6, v0
	v_addc_co_u32_e32 v1, vcc, v7, v1, vcc
	v_add_co_u32_e32 v7, vcc, v2, v15
	v_addc_co_u32_e32 v8, vcc, v3, v16, vcc
	v_lshlrev_b64 v[2:3], 2, v[13:14]
	v_xor_b32_e32 v6, 0x80000000, v10
	v_add_co_u32_e32 v2, vcc, v7, v2
	v_addc_co_u32_e32 v3, vcc, v8, v3, vcc
	flat_store_dword v[2:3], v6
	flat_store_dwordx2 v[0:1], v[4:5]
.LBB604_198:
	s_or_b64 exec, exec, s[4:5]
.LBB604_199:
	s_or_b64 exec, exec, s[46:47]
	s_waitcnt vmcnt(0) lgkmcnt(0)
	s_setpc_b64 s[30:31]
.Lfunc_end604:
	.size	_ZN7rocprim17ROCPRIM_400000_NS6detail40segmented_radix_sort_single_block_helperIilLj256ELj8ELb0EE4sortIPKiPiPKlPlEEbT_T0_T1_T2_jjjjRNS3_12storage_typeE, .Lfunc_end604-_ZN7rocprim17ROCPRIM_400000_NS6detail40segmented_radix_sort_single_block_helperIilLj256ELj8ELb0EE4sortIPKiPiPKlPlEEbT_T0_T1_T2_jjjjRNS3_12storage_typeE
                                        ; -- End function
	.set .L_ZN7rocprim17ROCPRIM_400000_NS6detail40segmented_radix_sort_single_block_helperIilLj256ELj8ELb0EE4sortIPKiPiPKlPlEEbT_T0_T1_T2_jjjjRNS3_12storage_typeE.num_vgpr, 177
	.set .L_ZN7rocprim17ROCPRIM_400000_NS6detail40segmented_radix_sort_single_block_helperIilLj256ELj8ELb0EE4sortIPKiPiPKlPlEEbT_T0_T1_T2_jjjjRNS3_12storage_typeE.num_agpr, 0
	.set .L_ZN7rocprim17ROCPRIM_400000_NS6detail40segmented_radix_sort_single_block_helperIilLj256ELj8ELb0EE4sortIPKiPiPKlPlEEbT_T0_T1_T2_jjjjRNS3_12storage_typeE.numbered_sgpr, 63
	.set .L_ZN7rocprim17ROCPRIM_400000_NS6detail40segmented_radix_sort_single_block_helperIilLj256ELj8ELb0EE4sortIPKiPiPKlPlEEbT_T0_T1_T2_jjjjRNS3_12storage_typeE.num_named_barrier, 0
	.set .L_ZN7rocprim17ROCPRIM_400000_NS6detail40segmented_radix_sort_single_block_helperIilLj256ELj8ELb0EE4sortIPKiPiPKlPlEEbT_T0_T1_T2_jjjjRNS3_12storage_typeE.private_seg_size, 0
	.set .L_ZN7rocprim17ROCPRIM_400000_NS6detail40segmented_radix_sort_single_block_helperIilLj256ELj8ELb0EE4sortIPKiPiPKlPlEEbT_T0_T1_T2_jjjjRNS3_12storage_typeE.uses_vcc, 1
	.set .L_ZN7rocprim17ROCPRIM_400000_NS6detail40segmented_radix_sort_single_block_helperIilLj256ELj8ELb0EE4sortIPKiPiPKlPlEEbT_T0_T1_T2_jjjjRNS3_12storage_typeE.uses_flat_scratch, 0
	.set .L_ZN7rocprim17ROCPRIM_400000_NS6detail40segmented_radix_sort_single_block_helperIilLj256ELj8ELb0EE4sortIPKiPiPKlPlEEbT_T0_T1_T2_jjjjRNS3_12storage_typeE.has_dyn_sized_stack, 0
	.set .L_ZN7rocprim17ROCPRIM_400000_NS6detail40segmented_radix_sort_single_block_helperIilLj256ELj8ELb0EE4sortIPKiPiPKlPlEEbT_T0_T1_T2_jjjjRNS3_12storage_typeE.has_recursion, 0
	.set .L_ZN7rocprim17ROCPRIM_400000_NS6detail40segmented_radix_sort_single_block_helperIilLj256ELj8ELb0EE4sortIPKiPiPKlPlEEbT_T0_T1_T2_jjjjRNS3_12storage_typeE.has_indirect_call, 0
	.section	.AMDGPU.csdata,"",@progbits
; Function info:
; codeLenInByte = 15832
; TotalNumSgprs: 67
; NumVgprs: 177
; ScratchSize: 0
; MemoryBound: 1
	.section	.text._ZN7rocprim17ROCPRIM_400000_NS6detail17trampoline_kernelINS0_14default_configENS1_36segmented_radix_sort_config_selectorIilEEZNS1_25segmented_radix_sort_implIS3_Lb0EPKiPiPKlPlN2at6native12_GLOBAL__N_18offset_tEEE10hipError_tPvRmT1_PNSt15iterator_traitsISK_E10value_typeET2_T3_PNSL_ISQ_E10value_typeET4_jRbjT5_SW_jjP12ihipStream_tbEUlT_E_NS1_11comp_targetILNS1_3genE2ELNS1_11target_archE906ELNS1_3gpuE6ELNS1_3repE0EEENS1_30default_config_static_selectorELNS0_4arch9wavefront6targetE1EEEvSK_,"axG",@progbits,_ZN7rocprim17ROCPRIM_400000_NS6detail17trampoline_kernelINS0_14default_configENS1_36segmented_radix_sort_config_selectorIilEEZNS1_25segmented_radix_sort_implIS3_Lb0EPKiPiPKlPlN2at6native12_GLOBAL__N_18offset_tEEE10hipError_tPvRmT1_PNSt15iterator_traitsISK_E10value_typeET2_T3_PNSL_ISQ_E10value_typeET4_jRbjT5_SW_jjP12ihipStream_tbEUlT_E_NS1_11comp_targetILNS1_3genE2ELNS1_11target_archE906ELNS1_3gpuE6ELNS1_3repE0EEENS1_30default_config_static_selectorELNS0_4arch9wavefront6targetE1EEEvSK_,comdat
	.globl	_ZN7rocprim17ROCPRIM_400000_NS6detail17trampoline_kernelINS0_14default_configENS1_36segmented_radix_sort_config_selectorIilEEZNS1_25segmented_radix_sort_implIS3_Lb0EPKiPiPKlPlN2at6native12_GLOBAL__N_18offset_tEEE10hipError_tPvRmT1_PNSt15iterator_traitsISK_E10value_typeET2_T3_PNSL_ISQ_E10value_typeET4_jRbjT5_SW_jjP12ihipStream_tbEUlT_E_NS1_11comp_targetILNS1_3genE2ELNS1_11target_archE906ELNS1_3gpuE6ELNS1_3repE0EEENS1_30default_config_static_selectorELNS0_4arch9wavefront6targetE1EEEvSK_ ; -- Begin function _ZN7rocprim17ROCPRIM_400000_NS6detail17trampoline_kernelINS0_14default_configENS1_36segmented_radix_sort_config_selectorIilEEZNS1_25segmented_radix_sort_implIS3_Lb0EPKiPiPKlPlN2at6native12_GLOBAL__N_18offset_tEEE10hipError_tPvRmT1_PNSt15iterator_traitsISK_E10value_typeET2_T3_PNSL_ISQ_E10value_typeET4_jRbjT5_SW_jjP12ihipStream_tbEUlT_E_NS1_11comp_targetILNS1_3genE2ELNS1_11target_archE906ELNS1_3gpuE6ELNS1_3repE0EEENS1_30default_config_static_selectorELNS0_4arch9wavefront6targetE1EEEvSK_
	.p2align	8
	.type	_ZN7rocprim17ROCPRIM_400000_NS6detail17trampoline_kernelINS0_14default_configENS1_36segmented_radix_sort_config_selectorIilEEZNS1_25segmented_radix_sort_implIS3_Lb0EPKiPiPKlPlN2at6native12_GLOBAL__N_18offset_tEEE10hipError_tPvRmT1_PNSt15iterator_traitsISK_E10value_typeET2_T3_PNSL_ISQ_E10value_typeET4_jRbjT5_SW_jjP12ihipStream_tbEUlT_E_NS1_11comp_targetILNS1_3genE2ELNS1_11target_archE906ELNS1_3gpuE6ELNS1_3repE0EEENS1_30default_config_static_selectorELNS0_4arch9wavefront6targetE1EEEvSK_,@function
_ZN7rocprim17ROCPRIM_400000_NS6detail17trampoline_kernelINS0_14default_configENS1_36segmented_radix_sort_config_selectorIilEEZNS1_25segmented_radix_sort_implIS3_Lb0EPKiPiPKlPlN2at6native12_GLOBAL__N_18offset_tEEE10hipError_tPvRmT1_PNSt15iterator_traitsISK_E10value_typeET2_T3_PNSL_ISQ_E10value_typeET4_jRbjT5_SW_jjP12ihipStream_tbEUlT_E_NS1_11comp_targetILNS1_3genE2ELNS1_11target_archE906ELNS1_3gpuE6ELNS1_3repE0EEENS1_30default_config_static_selectorELNS0_4arch9wavefront6targetE1EEEvSK_: ; @_ZN7rocprim17ROCPRIM_400000_NS6detail17trampoline_kernelINS0_14default_configENS1_36segmented_radix_sort_config_selectorIilEEZNS1_25segmented_radix_sort_implIS3_Lb0EPKiPiPKlPlN2at6native12_GLOBAL__N_18offset_tEEE10hipError_tPvRmT1_PNSt15iterator_traitsISK_E10value_typeET2_T3_PNSL_ISQ_E10value_typeET4_jRbjT5_SW_jjP12ihipStream_tbEUlT_E_NS1_11comp_targetILNS1_3genE2ELNS1_11target_archE906ELNS1_3gpuE6ELNS1_3repE0EEENS1_30default_config_static_selectorELNS0_4arch9wavefront6targetE1EEEvSK_
; %bb.0:
	s_add_u32 s0, s0, s8
	s_mov_b64 s[34:35], s[4:5]
	s_load_dwordx2 s[4:5], s[4:5], 0x38
	s_nop 0
	s_load_dwordx4 s[8:11], s[34:35], 0x40
	s_mov_b32 s33, s7
	s_mov_b32 s7, 0
	s_addc_u32 s1, s1, 0
	s_lshl_b64 s[12:13], s[6:7], 2
	s_waitcnt lgkmcnt(0)
	s_add_u32 s4, s4, s12
	s_addc_u32 s5, s5, s13
	s_load_dword s4, s[4:5], 0x0
	s_mov_b32 s32, 0
	s_waitcnt lgkmcnt(0)
	s_add_i32 s63, s4, s9
	s_add_i32 s80, s4, s11
	s_mul_i32 s63, s63, s8
	s_mul_i32 s80, s80, s10
	s_cmp_le_u32 s80, s63
	s_cbranch_scc1 .LBB605_670
; %bb.1:
	s_load_dword s4, s[34:35], 0x30
	s_load_dwordx4 s[72:75], s[34:35], 0x20
	s_load_dwordx4 s[76:79], s[34:35], 0x50
	s_load_dwordx8 s[64:71], s[34:35], 0x0
	s_waitcnt lgkmcnt(0)
	s_bitcmp1_b32 s4, 0
	s_cselect_b64 s[54:55], -1, 0
	s_sub_i32 s79, s80, s63
	s_cmpk_lt_u32 s79, 0x801
	s_mov_b64 s[4:5], -1
	s_cbranch_scc0 .LBB605_7
; %bb.2:
	s_and_b32 s4, s76, 1
	v_cndmask_b32_e64 v3, 0, 1, s[54:55]
	v_cmp_ne_u32_e32 vcc, s4, v3
	s_mov_b64 s[4:5], -1
	v_lshlrev_b32_e32 v41, 20, v2
	v_lshlrev_b32_e32 v42, 10, v1
	s_cbranch_vccnz .LBB605_4
; %bb.3:
	s_add_u32 s8, s34, 0x60
	s_mov_b64 s[4:5], src_shared_base
	s_addc_u32 s9, s35, 0
	s_getpc_b64 s[10:11]
	s_add_u32 s10, s10, _ZN7rocprim17ROCPRIM_400000_NS6detail40segmented_radix_sort_single_block_helperIilLj256ELj8ELb0EE4sortIPKiPiPKlPlEEbT_T0_T1_T2_jjjjRNS3_12storage_typeE@rel32@lo+4
	s_addc_u32 s11, s11, _ZN7rocprim17ROCPRIM_400000_NS6detail40segmented_radix_sort_single_block_helperIilLj256ELj8ELb0EE4sortIPKiPiPKlPlEEbT_T0_T1_T2_jjjjRNS3_12storage_typeE@rel32@hi+12
	v_or3_b32 v31, v0, v42, v41
	s_mov_b32 s12, s6
	s_mov_b32 s13, s33
	v_mov_b32_e32 v40, v0
	v_mov_b32_e32 v0, s64
	;; [unrolled: 1-line block ×17, first 2 shown]
	s_mov_b32 s36, s6
	s_swappc_b64 s[30:31], s[10:11]
	v_mov_b32_e32 v1, v43
	v_mov_b32_e32 v2, v44
	v_mov_b32_e32 v0, v40
	s_mov_b32 s6, s36
	s_mov_b64 s[4:5], 0
.LBB605_4:
	s_andn2_b64 vcc, exec, s[4:5]
	s_cbranch_vccnz .LBB605_6
; %bb.5:
	s_add_u32 s8, s34, 0x60
	s_mov_b64 s[4:5], src_shared_base
	s_addc_u32 s9, s35, 0
	s_getpc_b64 s[10:11]
	s_add_u32 s10, s10, _ZN7rocprim17ROCPRIM_400000_NS6detail40segmented_radix_sort_single_block_helperIilLj256ELj8ELb0EE4sortIPKiPiPKlPlEEbT_T0_T1_T2_jjjjRNS3_12storage_typeE@rel32@lo+4
	s_addc_u32 s11, s11, _ZN7rocprim17ROCPRIM_400000_NS6detail40segmented_radix_sort_single_block_helperIilLj256ELj8ELb0EE4sortIPKiPiPKlPlEEbT_T0_T1_T2_jjjjRNS3_12storage_typeE@rel32@hi+12
	v_or3_b32 v31, v0, v42, v41
	s_mov_b32 s12, s6
	s_mov_b32 s13, s33
	v_mov_b32_e32 v40, v0
	v_mov_b32_e32 v0, s64
	v_mov_b32_e32 v41, v1
	v_mov_b32_e32 v1, s65
	v_mov_b32_e32 v42, v2
	v_mov_b32_e32 v2, s66
	v_mov_b32_e32 v3, s67
	v_mov_b32_e32 v4, s70
	v_mov_b32_e32 v5, s71
	v_mov_b32_e32 v6, s72
	v_mov_b32_e32 v7, s73
	v_mov_b32_e32 v8, s63
	v_mov_b32_e32 v9, s80
	v_mov_b32_e32 v10, s77
	v_mov_b32_e32 v11, s78
	v_mov_b32_e32 v12, 0
	v_mov_b32_e32 v13, s5
	s_mov_b32 s36, s6
	s_swappc_b64 s[30:31], s[10:11]
	v_mov_b32_e32 v1, v41
	v_mov_b32_e32 v2, v42
	;; [unrolled: 1-line block ×3, first 2 shown]
	s_mov_b32 s6, s36
.LBB605_6:
	s_mov_b64 s[4:5], 0
.LBB605_7:
	s_andn2_b64 vcc, exec, s[4:5]
	s_cbranch_vccnz .LBB605_670
; %bb.8:
	s_cmp_ge_u32 s77, s78
	s_cbranch_scc1 .LBB605_670
; %bb.9:
	v_and_b32_e32 v4, 3, v0
	v_lshlrev_b32_e32 v42, 2, v4
	v_or_b32_e32 v4, 63, v0
	v_lshlrev_b32_e32 v32, 2, v0
	v_cmp_eq_u32_e64 s[8:9], v0, v4
	v_lshrrev_b32_e32 v4, 4, v0
	v_mov_b32_e32 v5, s69
	v_add_co_u32_e32 v36, vcc, s68, v32
	v_mad_u32_u24 v43, v0, 12, v32
	v_and_b32_e32 v44, 12, v4
	v_lshlrev_b32_e32 v4, 3, v0
	v_addc_co_u32_e32 v37, vcc, 0, v5, vcc
	v_and_b32_e32 v4, 0x600, v4
	v_add_u32_e32 v48, v43, v32
	v_lshlrev_b32_e32 v5, 4, v0
	v_sub_u32_e32 v49, v48, v5
	v_lshlrev_b32_e32 v5, 3, v4
	v_mov_b32_e32 v6, s75
	v_add_co_u32_e32 v50, vcc, s74, v5
	v_addc_co_u32_e32 v51, vcc, 0, v6, vcc
	v_lshlrev_b32_e32 v6, 2, v4
	v_mov_b32_e32 v7, s69
	v_add_co_u32_e32 v52, vcc, s68, v6
	v_addc_co_u32_e32 v53, vcc, 0, v7, vcc
	v_mov_b32_e32 v7, s67
	v_add_co_u32_e32 v54, vcc, s66, v32
	v_addc_co_u32_e32 v55, vcc, 0, v7, vcc
	;; [unrolled: 3-line block ×7, first 2 shown]
	v_mbcnt_lo_u32_b32 v5, -1, 0
	v_mbcnt_hi_u32_b32 v72, -1, v5
	v_and_b32_e32 v78, 63, v72
	s_movk_i32 s4, 0x100
	v_or_b32_e32 v38, 0x400, v0
	v_or_b32_e32 v39, 0x500, v0
	;; [unrolled: 1-line block ×4, first 2 shown]
	s_add_u32 s56, s34, 0x60
	s_movk_i32 s7, 0xff
	v_or_b32_e32 v80, v78, v4
	v_mov_b32_e32 v3, 0
	v_or_b32_e32 v33, 0x100, v0
	v_or_b32_e32 v34, 0x200, v0
	;; [unrolled: 1-line block ×3, first 2 shown]
	v_cmp_gt_u32_e64 s[4:5], s4, v0
	v_or_b32_e32 v45, 0x4400, v44
	v_cmp_gt_u32_e64 s[10:11], 4, v0
	v_or_b32_e32 v46, 0x4400, v32
	v_cmp_lt_u32_e64 s[12:13], 63, v0
	v_add_u32_e32 v47, 0x43fc, v44
	s_addc_u32 s57, s35, 0
	s_mov_b32 s59, 0
	v_cmp_eq_u32_e64 s[14:15], 0, v0
	v_cmp_ne_u32_e64 s[16:17], s7, v0
	v_mov_b32_e32 v66, 1
	v_lshlrev_b32_e32 v67, 2, v0
	v_lshlrev_b32_e32 v68, 2, v38
	;; [unrolled: 1-line block ×5, first 2 shown]
	v_and_b32_e32 v73, 15, v72
	v_bfe_i32 v74, v72, 4, 1
	v_and_b32_e32 v75, 16, v72
	v_and_b32_e32 v76, 3, v72
	;; [unrolled: 1-line block ×3, first 2 shown]
	v_lshlrev_b32_e32 v79, 3, v78
	v_or_b32_e32 v81, 64, v80
	v_or_b32_e32 v82, 0x80, v80
	;; [unrolled: 1-line block ×3, first 2 shown]
	v_bfrev_b32_e32 v11, -2
	s_mov_b32 s7, s77
	s_branch .LBB605_12
.LBB605_10:                             ;   in Loop: Header=BB605_12 Depth=1
	s_waitcnt lgkmcnt(0)
	s_barrier
.LBB605_11:                             ;   in Loop: Header=BB605_12 Depth=1
	s_add_i32 s7, s7, 8
	s_cmp_ge_u32 s7, s78
	s_cbranch_scc1 .LBB605_670
.LBB605_12:                             ; =>This Loop Header: Depth=1
                                        ;     Child Loop BB605_16 Depth 2
                                        ;     Child Loop BB605_64 Depth 2
                                        ;     Child Loop BB605_180 Depth 2
                                        ;     Child Loop BB605_228 Depth 2
                                        ;     Child Loop BB605_346 Depth 2
                                        ;     Child Loop BB605_394 Depth 2
                                        ;     Child Loop BB605_510 Depth 2
                                        ;     Child Loop BB605_558 Depth 2
	s_sub_i32 s18, s78, s7
	s_min_u32 s18, s18, 8
	s_lshl_b32 s18, -1, s18
	s_xor_b64 s[54:55], s[54:55], -1
	s_not_b32 s62, s18
	s_cmp_lg_u32 s7, s77
	s_mov_b64 s[18:19], -1
	ds_write2st64_b32 v32, v3, v3 offset1:4
	ds_write2st64_b32 v32, v3, v3 offset0:8 offset1:12
	s_waitcnt lgkmcnt(0)
	s_cbranch_scc0 .LBB605_342
; %bb.13:                               ;   in Loop: Header=BB605_12 Depth=1
	s_and_b64 vcc, exec, s[54:55]
	s_cbranch_vccz .LBB605_177
; %bb.14:                               ;   in Loop: Header=BB605_12 Depth=1
	v_mov_b32_e32 v10, v3
	v_mov_b32_e32 v4, v3
	;; [unrolled: 1-line block ×8, first 2 shown]
	s_mov_b32 s22, s79
	s_mov_b32 s58, s63
	v_mov_b32_e32 v18, v9
	v_mov_b32_e32 v17, v8
	v_mov_b32_e32 v16, v7
	v_mov_b32_e32 v15, v6
	v_mov_b32_e32 v14, v5
	v_mov_b32_e32 v13, v4
	v_mov_b32_e32 v12, v3
	s_barrier
	s_branch .LBB605_16
.LBB605_15:                             ;   in Loop: Header=BB605_16 Depth=2
	s_or_b64 exec, exec, s[18:19]
	s_addk_i32 s22, 0xf800
	s_cmp_ge_u32 s23, s80
	s_mov_b32 s58, s23
	s_cbranch_scc1 .LBB605_52
.LBB605_16:                             ;   Parent Loop BB605_12 Depth=1
                                        ; =>  This Inner Loop Header: Depth=2
	s_add_i32 s23, s58, 0x800
	s_cmp_gt_u32 s23, s80
	s_mov_b64 s[18:19], -1
                                        ; implicit-def: $vgpr20_vgpr21_vgpr22_vgpr23_vgpr24_vgpr25_vgpr26_vgpr27
	s_cbranch_scc1 .LBB605_18
; %bb.17:                               ;   in Loop: Header=BB605_16 Depth=2
	s_lshl_b64 s[18:19], s[58:59], 2
	v_mov_b32_e32 v5, s19
	v_add_co_u32_e32 v4, vcc, s18, v36
	v_addc_co_u32_e32 v5, vcc, v37, v5, vcc
	v_add_co_u32_e32 v6, vcc, 0x1000, v4
	v_addc_co_u32_e32 v7, vcc, 0, v5, vcc
	global_load_dword v20, v[4:5], off
	global_load_dword v21, v[4:5], off offset:1024
	global_load_dword v22, v[4:5], off offset:2048
	;; [unrolled: 1-line block ×3, first 2 shown]
	global_load_dword v24, v[6:7], off
	global_load_dword v25, v[6:7], off offset:1024
	global_load_dword v26, v[6:7], off offset:2048
	;; [unrolled: 1-line block ×3, first 2 shown]
	s_mov_b64 s[18:19], 0
.LBB605_18:                             ;   in Loop: Header=BB605_16 Depth=2
	s_andn2_b64 vcc, exec, s[18:19]
	s_movk_i32 s20, 0x800
	s_cbranch_vccnz .LBB605_29
; %bb.19:                               ;   in Loop: Header=BB605_16 Depth=2
	s_lshl_b64 s[18:19], s[58:59], 2
	s_add_u32 s18, s68, s18
	s_addc_u32 s19, s69, s19
	v_cmp_gt_u32_e32 vcc, s22, v0
	s_and_saveexec_b64 s[20:21], vcc
	s_cbranch_execnz .LBB605_45
; %bb.20:                               ;   in Loop: Header=BB605_16 Depth=2
	s_or_b64 exec, exec, s[20:21]
	v_cmp_gt_u32_e32 vcc, s22, v33
	s_and_saveexec_b64 s[20:21], vcc
	s_cbranch_execnz .LBB605_46
.LBB605_21:                             ;   in Loop: Header=BB605_16 Depth=2
	s_or_b64 exec, exec, s[20:21]
	v_cmp_gt_u32_e32 vcc, s22, v34
	s_and_saveexec_b64 s[20:21], vcc
	s_cbranch_execnz .LBB605_47
.LBB605_22:                             ;   in Loop: Header=BB605_16 Depth=2
	s_or_b64 exec, exec, s[20:21]
	v_cmp_gt_u32_e32 vcc, s22, v35
	s_and_saveexec_b64 s[20:21], vcc
	s_cbranch_execnz .LBB605_48
.LBB605_23:                             ;   in Loop: Header=BB605_16 Depth=2
	s_or_b64 exec, exec, s[20:21]
	v_cmp_gt_u32_e32 vcc, s22, v38
	s_and_saveexec_b64 s[20:21], vcc
	s_cbranch_execnz .LBB605_49
.LBB605_24:                             ;   in Loop: Header=BB605_16 Depth=2
	s_or_b64 exec, exec, s[20:21]
	v_cmp_gt_u32_e32 vcc, s22, v39
	s_and_saveexec_b64 s[20:21], vcc
	s_cbranch_execnz .LBB605_50
.LBB605_25:                             ;   in Loop: Header=BB605_16 Depth=2
	s_or_b64 exec, exec, s[20:21]
	v_cmp_gt_u32_e32 vcc, s22, v40
	s_and_saveexec_b64 s[20:21], vcc
	s_cbranch_execnz .LBB605_51
.LBB605_26:                             ;   in Loop: Header=BB605_16 Depth=2
	s_or_b64 exec, exec, s[20:21]
	v_cmp_gt_u32_e32 vcc, s22, v41
	s_and_saveexec_b64 s[20:21], vcc
	s_cbranch_execz .LBB605_28
.LBB605_27:                             ;   in Loop: Header=BB605_16 Depth=2
	global_load_dword v19, v71, s[18:19]
.LBB605_28:                             ;   in Loop: Header=BB605_16 Depth=2
	s_or_b64 exec, exec, s[20:21]
	s_waitcnt vmcnt(0)
	v_mov_b32_e32 v27, v19
	s_mov_b32 s20, s22
	v_mov_b32_e32 v26, v18
	v_mov_b32_e32 v25, v17
	;; [unrolled: 1-line block ×7, first 2 shown]
.LBB605_29:                             ;   in Loop: Header=BB605_16 Depth=2
	s_waitcnt vmcnt(0)
	v_mov_b32_e32 v12, v20
	v_mov_b32_e32 v13, v21
	;; [unrolled: 1-line block ×8, first 2 shown]
	v_cmp_gt_u32_e32 vcc, s20, v0
	s_and_saveexec_b64 s[18:19], vcc
	s_cbranch_execnz .LBB605_37
; %bb.30:                               ;   in Loop: Header=BB605_16 Depth=2
	s_or_b64 exec, exec, s[18:19]
	v_cmp_gt_u32_e32 vcc, s20, v33
	s_and_saveexec_b64 s[18:19], vcc
	s_cbranch_execnz .LBB605_38
.LBB605_31:                             ;   in Loop: Header=BB605_16 Depth=2
	s_or_b64 exec, exec, s[18:19]
	v_cmp_gt_u32_e32 vcc, s20, v34
	s_and_saveexec_b64 s[18:19], vcc
	s_cbranch_execnz .LBB605_39
.LBB605_32:                             ;   in Loop: Header=BB605_16 Depth=2
	s_or_b64 exec, exec, s[18:19]
	v_cmp_gt_u32_e32 vcc, s20, v35
	s_and_saveexec_b64 s[18:19], vcc
	s_cbranch_execnz .LBB605_40
.LBB605_33:                             ;   in Loop: Header=BB605_16 Depth=2
	s_or_b64 exec, exec, s[18:19]
	v_cmp_gt_u32_e32 vcc, s20, v38
	s_and_saveexec_b64 s[18:19], vcc
	s_cbranch_execnz .LBB605_41
.LBB605_34:                             ;   in Loop: Header=BB605_16 Depth=2
	s_or_b64 exec, exec, s[18:19]
	v_cmp_gt_u32_e32 vcc, s20, v39
	s_and_saveexec_b64 s[18:19], vcc
	s_cbranch_execnz .LBB605_42
.LBB605_35:                             ;   in Loop: Header=BB605_16 Depth=2
	s_or_b64 exec, exec, s[18:19]
	v_cmp_gt_u32_e32 vcc, s20, v40
	s_and_saveexec_b64 s[18:19], vcc
	s_cbranch_execnz .LBB605_43
.LBB605_36:                             ;   in Loop: Header=BB605_16 Depth=2
	s_or_b64 exec, exec, s[18:19]
	v_cmp_gt_u32_e32 vcc, s20, v41
	s_and_saveexec_b64 s[18:19], vcc
	s_cbranch_execz .LBB605_15
	s_branch .LBB605_44
.LBB605_37:                             ;   in Loop: Header=BB605_16 Depth=2
	v_xor_b32_e32 v4, 0x80000000, v12
	v_lshrrev_b32_e32 v4, s7, v4
	v_and_b32_e32 v4, s62, v4
	v_lshl_or_b32 v4, v4, 4, v42
	ds_add_u32 v4, v66
	s_or_b64 exec, exec, s[18:19]
	v_cmp_gt_u32_e32 vcc, s20, v33
	s_and_saveexec_b64 s[18:19], vcc
	s_cbranch_execz .LBB605_31
.LBB605_38:                             ;   in Loop: Header=BB605_16 Depth=2
	v_xor_b32_e32 v4, 0x80000000, v13
	v_lshrrev_b32_e32 v4, s7, v4
	v_and_b32_e32 v4, s62, v4
	v_lshl_or_b32 v4, v4, 4, v42
	ds_add_u32 v4, v66
	s_or_b64 exec, exec, s[18:19]
	v_cmp_gt_u32_e32 vcc, s20, v34
	s_and_saveexec_b64 s[18:19], vcc
	s_cbranch_execz .LBB605_32
.LBB605_39:                             ;   in Loop: Header=BB605_16 Depth=2
	v_xor_b32_e32 v4, 0x80000000, v14
	v_lshrrev_b32_e32 v4, s7, v4
	v_and_b32_e32 v4, s62, v4
	v_lshl_or_b32 v4, v4, 4, v42
	ds_add_u32 v4, v66
	s_or_b64 exec, exec, s[18:19]
	v_cmp_gt_u32_e32 vcc, s20, v35
	s_and_saveexec_b64 s[18:19], vcc
	s_cbranch_execz .LBB605_33
.LBB605_40:                             ;   in Loop: Header=BB605_16 Depth=2
	v_xor_b32_e32 v4, 0x80000000, v15
	v_lshrrev_b32_e32 v4, s7, v4
	v_and_b32_e32 v4, s62, v4
	v_lshl_or_b32 v4, v4, 4, v42
	ds_add_u32 v4, v66
	s_or_b64 exec, exec, s[18:19]
	v_cmp_gt_u32_e32 vcc, s20, v38
	s_and_saveexec_b64 s[18:19], vcc
	s_cbranch_execz .LBB605_34
.LBB605_41:                             ;   in Loop: Header=BB605_16 Depth=2
	v_xor_b32_e32 v4, 0x80000000, v16
	v_lshrrev_b32_e32 v4, s7, v4
	v_and_b32_e32 v4, s62, v4
	v_lshl_or_b32 v4, v4, 4, v42
	ds_add_u32 v4, v66
	s_or_b64 exec, exec, s[18:19]
	v_cmp_gt_u32_e32 vcc, s20, v39
	s_and_saveexec_b64 s[18:19], vcc
	s_cbranch_execz .LBB605_35
.LBB605_42:                             ;   in Loop: Header=BB605_16 Depth=2
	v_xor_b32_e32 v4, 0x80000000, v17
	v_lshrrev_b32_e32 v4, s7, v4
	v_and_b32_e32 v4, s62, v4
	v_lshl_or_b32 v4, v4, 4, v42
	ds_add_u32 v4, v66
	s_or_b64 exec, exec, s[18:19]
	v_cmp_gt_u32_e32 vcc, s20, v40
	s_and_saveexec_b64 s[18:19], vcc
	s_cbranch_execz .LBB605_36
.LBB605_43:                             ;   in Loop: Header=BB605_16 Depth=2
	v_xor_b32_e32 v4, 0x80000000, v18
	v_lshrrev_b32_e32 v4, s7, v4
	v_and_b32_e32 v4, s62, v4
	v_lshl_or_b32 v4, v4, 4, v42
	ds_add_u32 v4, v66
	s_or_b64 exec, exec, s[18:19]
	v_cmp_gt_u32_e32 vcc, s20, v41
	s_and_saveexec_b64 s[18:19], vcc
	s_cbranch_execz .LBB605_15
.LBB605_44:                             ;   in Loop: Header=BB605_16 Depth=2
	v_xor_b32_e32 v4, 0x80000000, v19
	v_lshrrev_b32_e32 v4, s7, v4
	v_and_b32_e32 v4, s62, v4
	v_lshl_or_b32 v4, v4, 4, v42
	ds_add_u32 v4, v66
	s_branch .LBB605_15
.LBB605_45:                             ;   in Loop: Header=BB605_16 Depth=2
	global_load_dword v12, v67, s[18:19]
	s_or_b64 exec, exec, s[20:21]
	v_cmp_gt_u32_e32 vcc, s22, v33
	s_and_saveexec_b64 s[20:21], vcc
	s_cbranch_execz .LBB605_21
.LBB605_46:                             ;   in Loop: Header=BB605_16 Depth=2
	global_load_dword v13, v67, s[18:19] offset:1024
	s_or_b64 exec, exec, s[20:21]
	v_cmp_gt_u32_e32 vcc, s22, v34
	s_and_saveexec_b64 s[20:21], vcc
	s_cbranch_execz .LBB605_22
.LBB605_47:                             ;   in Loop: Header=BB605_16 Depth=2
	global_load_dword v14, v67, s[18:19] offset:2048
	s_or_b64 exec, exec, s[20:21]
	v_cmp_gt_u32_e32 vcc, s22, v35
	s_and_saveexec_b64 s[20:21], vcc
	s_cbranch_execz .LBB605_23
.LBB605_48:                             ;   in Loop: Header=BB605_16 Depth=2
	global_load_dword v15, v67, s[18:19] offset:3072
	s_or_b64 exec, exec, s[20:21]
	v_cmp_gt_u32_e32 vcc, s22, v38
	s_and_saveexec_b64 s[20:21], vcc
	s_cbranch_execz .LBB605_24
.LBB605_49:                             ;   in Loop: Header=BB605_16 Depth=2
	global_load_dword v16, v68, s[18:19]
	s_or_b64 exec, exec, s[20:21]
	v_cmp_gt_u32_e32 vcc, s22, v39
	s_and_saveexec_b64 s[20:21], vcc
	s_cbranch_execz .LBB605_25
.LBB605_50:                             ;   in Loop: Header=BB605_16 Depth=2
	global_load_dword v17, v69, s[18:19]
	s_or_b64 exec, exec, s[20:21]
	v_cmp_gt_u32_e32 vcc, s22, v40
	s_and_saveexec_b64 s[20:21], vcc
	s_cbranch_execz .LBB605_26
.LBB605_51:                             ;   in Loop: Header=BB605_16 Depth=2
	global_load_dword v18, v70, s[18:19]
	s_or_b64 exec, exec, s[20:21]
	v_cmp_gt_u32_e32 vcc, s22, v41
	s_and_saveexec_b64 s[20:21], vcc
	s_cbranch_execnz .LBB605_27
	s_branch .LBB605_28
.LBB605_52:                             ;   in Loop: Header=BB605_12 Depth=1
	v_mov_b32_e32 v4, 0
	s_waitcnt lgkmcnt(0)
	s_barrier
	s_and_saveexec_b64 s[18:19], s[4:5]
	s_cbranch_execz .LBB605_54
; %bb.53:                               ;   in Loop: Header=BB605_12 Depth=1
	ds_read2_b64 v[4:7], v43 offset1:1
	s_waitcnt lgkmcnt(0)
	v_add_u32_e32 v4, v5, v4
	v_add3_u32 v4, v4, v6, v7
.LBB605_54:                             ;   in Loop: Header=BB605_12 Depth=1
	s_or_b64 exec, exec, s[18:19]
	s_nop 0
	v_mov_b32_dpp v5, v4 row_shr:1 row_mask:0xf bank_mask:0xf
	v_cmp_eq_u32_e64 s[18:19], 0, v73
	v_cndmask_b32_e64 v5, v5, 0, s[18:19]
	v_add_u32_e32 v4, v5, v4
	v_cmp_lt_u32_e64 s[20:21], 1, v73
	v_cmp_lt_u32_e64 s[22:23], 3, v73
	v_mov_b32_dpp v5, v4 row_shr:2 row_mask:0xf bank_mask:0xf
	v_cndmask_b32_e64 v5, 0, v5, s[20:21]
	v_add_u32_e32 v4, v4, v5
	v_cmp_lt_u32_e64 s[24:25], 7, v73
	v_cmp_lt_u32_e64 s[28:29], 31, v72
	v_mov_b32_dpp v5, v4 row_shr:4 row_mask:0xf bank_mask:0xf
	v_cndmask_b32_e64 v5, 0, v5, s[22:23]
	v_add_u32_e32 v4, v4, v5
	v_cmp_eq_u32_e64 s[26:27], 0, v75
	s_nop 0
	v_mov_b32_dpp v5, v4 row_shr:8 row_mask:0xf bank_mask:0xf
	v_cndmask_b32_e64 v5, 0, v5, s[24:25]
	v_add_u32_e32 v4, v4, v5
	s_nop 1
	v_mov_b32_dpp v5, v4 row_bcast:15 row_mask:0xf bank_mask:0xf
	v_and_b32_e32 v5, v74, v5
	v_add_u32_e32 v4, v4, v5
	s_nop 1
	v_mov_b32_dpp v5, v4 row_bcast:31 row_mask:0xf bank_mask:0xf
	v_cndmask_b32_e64 v5, 0, v5, s[28:29]
	v_add_u32_e32 v4, v4, v5
	s_and_saveexec_b64 s[30:31], s[8:9]
; %bb.55:                               ;   in Loop: Header=BB605_12 Depth=1
	ds_write_b32 v45, v4
; %bb.56:                               ;   in Loop: Header=BB605_12 Depth=1
	s_or_b64 exec, exec, s[30:31]
	s_waitcnt lgkmcnt(0)
	s_barrier
	s_and_saveexec_b64 s[30:31], s[10:11]
	s_cbranch_execz .LBB605_58
; %bb.57:                               ;   in Loop: Header=BB605_12 Depth=1
	ds_read_b32 v5, v46
	v_cmp_ne_u32_e32 vcc, 0, v76
	s_waitcnt lgkmcnt(0)
	v_mov_b32_dpp v6, v5 row_shr:1 row_mask:0xf bank_mask:0xf
	v_cndmask_b32_e32 v6, 0, v6, vcc
	v_add_u32_e32 v5, v6, v5
	v_cmp_lt_u32_e32 vcc, 1, v76
	s_nop 0
	v_mov_b32_dpp v6, v5 row_shr:2 row_mask:0xf bank_mask:0xf
	v_cndmask_b32_e32 v6, 0, v6, vcc
	v_add_u32_e32 v5, v5, v6
	ds_write_b32 v46, v5
.LBB605_58:                             ;   in Loop: Header=BB605_12 Depth=1
	s_or_b64 exec, exec, s[30:31]
	v_mov_b32_e32 v5, 0
	s_waitcnt lgkmcnt(0)
	s_barrier
	s_and_saveexec_b64 s[30:31], s[12:13]
; %bb.59:                               ;   in Loop: Header=BB605_12 Depth=1
	ds_read_b32 v5, v47
; %bb.60:                               ;   in Loop: Header=BB605_12 Depth=1
	s_or_b64 exec, exec, s[30:31]
	v_subrev_co_u32_e64 v6, s[30:31], 1, v72
	v_cmp_lt_i32_e32 vcc, v6, v77
	v_cndmask_b32_e32 v6, v6, v72, vcc
	s_waitcnt lgkmcnt(0)
	v_add_u32_e32 v4, v5, v4
	v_lshlrev_b32_e32 v84, 2, v6
	ds_bpermute_b32 v4, v84, v4
	s_waitcnt lgkmcnt(0)
	s_barrier
	s_and_saveexec_b64 s[34:35], s[4:5]
; %bb.61:                               ;   in Loop: Header=BB605_12 Depth=1
	v_cndmask_b32_e64 v4, v4, v5, s[30:31]
	v_add_u32_e32 v4, s63, v4
	ds_write_b32 v32, v4
; %bb.62:                               ;   in Loop: Header=BB605_12 Depth=1
	s_or_b64 exec, exec, s[34:35]
	s_load_dword s34, s[56:57], 0x4
	s_load_dword s38, s[56:57], 0xc
	v_add_co_u32_e32 v85, vcc, v50, v79
	v_addc_co_u32_e32 v86, vcc, 0, v51, vcc
	s_waitcnt lgkmcnt(0)
	s_cmp_lt_u32 s33, s34
	s_cselect_b32 s34, 14, 20
	s_add_u32 s34, s56, s34
	s_addc_u32 s35, s57, 0
	global_load_ushort v4, v3, s[34:35]
	s_and_b32 s38, s38, 0xffff
	v_lshlrev_b32_e32 v14, 2, v78
	v_add_co_u32_e32 v99, vcc, v52, v14
	v_cmp_eq_u32_e64 s[34:35], 0, v76
	v_cmp_lt_u32_e64 s[36:37], 1, v76
	v_or_b32_e32 v87, 0x100, v80
	v_or_b32_e32 v88, 0x140, v80
	;; [unrolled: 1-line block ×4, first 2 shown]
	s_mov_b32 s70, s79
	v_addc_co_u32_e32 v100, vcc, 0, v53, vcc
	s_mov_b32 s58, s63
                                        ; implicit-def: $vgpr5_vgpr6
                                        ; implicit-def: $vgpr7_vgpr8
                                        ; implicit-def: $vgpr9_vgpr10
                                        ; implicit-def: $vgpr20_vgpr21
                                        ; implicit-def: $vgpr22_vgpr23
                                        ; implicit-def: $vgpr24_vgpr25
                                        ; implicit-def: $vgpr26_vgpr27
                                        ; implicit-def: $vgpr28_vgpr29
                                        ; implicit-def: $vgpr91
                                        ; implicit-def: $vgpr92
                                        ; implicit-def: $vgpr93
                                        ; implicit-def: $vgpr94
                                        ; implicit-def: $vgpr95
                                        ; implicit-def: $vgpr96
                                        ; implicit-def: $vgpr97
                                        ; implicit-def: $vgpr98
	s_waitcnt vmcnt(0)
	v_mad_u32_u24 v4, v2, v4, v1
	v_mad_u64_u32 v[12:13], s[38:39], v4, s38, v[0:1]
	v_lshrrev_b32_e32 v4, 4, v12
	v_and_b32_e32 v101, 0xffffffc, v4
	s_branch .LBB605_64
.LBB605_63:                             ;   in Loop: Header=BB605_64 Depth=2
	s_or_b64 exec, exec, s[38:39]
	s_addk_i32 s70, 0xf800
	s_cmp_lt_u32 s71, s80
	s_mov_b32 s58, s71
	s_cbranch_scc0 .LBB605_176
.LBB605_64:                             ;   Parent Loop BB605_12 Depth=1
                                        ; =>  This Inner Loop Header: Depth=2
	s_add_i32 s71, s58, 0x800
	s_cmp_gt_u32 s71, s80
	s_cbranch_scc1 .LBB605_66
; %bb.65:                               ;   in Loop: Header=BB605_64 Depth=2
	s_lshl_b64 s[38:39], s[58:59], 2
	v_mov_b32_e32 v4, s39
	v_add_co_u32_e32 v18, vcc, s38, v99
	v_addc_co_u32_e32 v19, vcc, v100, v4, vcc
	global_load_dword v12, v[18:19], off
	global_load_dword v13, v[18:19], off offset:256
	global_load_dword v14, v[18:19], off offset:512
	;; [unrolled: 1-line block ×5, first 2 shown]
	s_nop 0
	global_load_dword v18, v[18:19], off offset:1536
	s_mov_b64 s[38:39], -1
	s_movk_i32 s42, 0x800
	s_cbranch_execz .LBB605_67
	s_branch .LBB605_76
.LBB605_66:                             ;   in Loop: Header=BB605_64 Depth=2
	s_mov_b64 s[38:39], 0
                                        ; implicit-def: $vgpr12_vgpr13_vgpr14_vgpr15_vgpr16_vgpr17_vgpr18_vgpr19
	s_movk_i32 s42, 0x800
.LBB605_67:                             ;   in Loop: Header=BB605_64 Depth=2
	s_lshl_b64 s[38:39], s[58:59], 2
	v_mov_b32_e32 v4, s39
	v_add_co_u32_e32 v30, vcc, s38, v99
	s_waitcnt vmcnt(6)
	v_mov_b32_e32 v12, v11
	s_waitcnt vmcnt(5)
	v_mov_b32_e32 v13, v11
	;; [unrolled: 2-line block ×7, first 2 shown]
	v_addc_co_u32_e32 v31, vcc, v100, v4, vcc
	v_mov_b32_e32 v19, v18
	v_cmp_gt_u32_e32 vcc, s70, v80
	v_mov_b32_e32 v18, v17
	v_mov_b32_e32 v17, v16
	;; [unrolled: 1-line block ×7, first 2 shown]
	s_and_saveexec_b64 s[38:39], vcc
	s_cbranch_execnz .LBB605_170
; %bb.68:                               ;   in Loop: Header=BB605_64 Depth=2
	s_or_b64 exec, exec, s[38:39]
	v_cmp_gt_u32_e32 vcc, s70, v81
	s_and_saveexec_b64 s[38:39], vcc
	s_cbranch_execnz .LBB605_171
.LBB605_69:                             ;   in Loop: Header=BB605_64 Depth=2
	s_or_b64 exec, exec, s[38:39]
	v_cmp_gt_u32_e32 vcc, s70, v82
	s_and_saveexec_b64 s[38:39], vcc
	s_cbranch_execnz .LBB605_172
.LBB605_70:                             ;   in Loop: Header=BB605_64 Depth=2
	s_or_b64 exec, exec, s[38:39]
	v_cmp_gt_u32_e32 vcc, s70, v83
	s_and_saveexec_b64 s[38:39], vcc
	s_cbranch_execnz .LBB605_173
.LBB605_71:                             ;   in Loop: Header=BB605_64 Depth=2
	s_or_b64 exec, exec, s[38:39]
	v_cmp_gt_u32_e32 vcc, s70, v87
	s_and_saveexec_b64 s[38:39], vcc
	s_cbranch_execnz .LBB605_174
.LBB605_72:                             ;   in Loop: Header=BB605_64 Depth=2
	s_or_b64 exec, exec, s[38:39]
	v_cmp_gt_u32_e32 vcc, s70, v88
	s_and_saveexec_b64 s[38:39], vcc
	s_cbranch_execnz .LBB605_175
.LBB605_73:                             ;   in Loop: Header=BB605_64 Depth=2
	s_or_b64 exec, exec, s[38:39]
	v_cmp_gt_u32_e32 vcc, s70, v89
	s_and_saveexec_b64 s[38:39], vcc
	s_cbranch_execz .LBB605_75
.LBB605_74:                             ;   in Loop: Header=BB605_64 Depth=2
	global_load_dword v18, v[30:31], off offset:1536
.LBB605_75:                             ;   in Loop: Header=BB605_64 Depth=2
	s_or_b64 exec, exec, s[38:39]
	s_sub_i32 s42, s80, s58
	v_cmp_gt_u32_e64 s[38:39], s70, v90
.LBB605_76:                             ;   in Loop: Header=BB605_64 Depth=2
	v_mov_b32_e32 v102, s70
	s_and_saveexec_b64 s[40:41], s[38:39]
	s_cbranch_execz .LBB605_78
; %bb.77:                               ;   in Loop: Header=BB605_64 Depth=2
	s_lshl_b64 s[38:39], s[58:59], 2
	v_mov_b32_e32 v4, s39
	v_add_co_u32_e32 v30, vcc, s38, v99
	v_addc_co_u32_e32 v31, vcc, v100, v4, vcc
	global_load_dword v19, v[30:31], off offset:1792
	v_mov_b32_e32 v102, s42
.LBB605_78:                             ;   in Loop: Header=BB605_64 Depth=2
	s_or_b64 exec, exec, s[40:41]
	s_waitcnt vmcnt(0)
	v_xor_b32_e32 v103, 0x80000000, v12
	v_lshrrev_b32_e32 v4, s7, v103
	v_and_b32_e32 v12, s62, v4
	v_and_b32_e32 v4, 1, v12
	v_add_co_u32_e32 v30, vcc, -1, v4
	v_addc_co_u32_e64 v31, s[38:39], 0, -1, vcc
	v_cmp_ne_u32_e32 vcc, 0, v4
	v_xor_b32_e32 v4, vcc_hi, v31
	v_and_b32_e32 v31, exec_hi, v4
	v_lshlrev_b32_e32 v4, 30, v12
	v_xor_b32_e32 v30, vcc_lo, v30
	v_cmp_gt_i64_e32 vcc, 0, v[3:4]
	v_not_b32_e32 v4, v4
	v_ashrrev_i32_e32 v4, 31, v4
	v_and_b32_e32 v30, exec_lo, v30
	v_xor_b32_e32 v106, vcc_hi, v4
	v_xor_b32_e32 v4, vcc_lo, v4
	v_and_b32_e32 v30, v30, v4
	v_lshlrev_b32_e32 v4, 29, v12
	v_cmp_gt_i64_e32 vcc, 0, v[3:4]
	v_not_b32_e32 v4, v4
	v_ashrrev_i32_e32 v4, 31, v4
	v_and_b32_e32 v31, v31, v106
	v_xor_b32_e32 v106, vcc_hi, v4
	v_xor_b32_e32 v4, vcc_lo, v4
	v_and_b32_e32 v30, v30, v4
	v_lshlrev_b32_e32 v4, 28, v12
	v_cmp_gt_i64_e32 vcc, 0, v[3:4]
	v_not_b32_e32 v4, v4
	v_ashrrev_i32_e32 v4, 31, v4
	v_and_b32_e32 v31, v31, v106
	;; [unrolled: 8-line block ×5, first 2 shown]
	v_xor_b32_e32 v106, vcc_hi, v4
	v_xor_b32_e32 v4, vcc_lo, v4
	v_and_b32_e32 v30, v30, v4
	v_lshlrev_b32_e32 v4, 24, v12
	v_cmp_gt_i64_e32 vcc, 0, v[3:4]
	v_not_b32_e32 v4, v4
	v_ashrrev_i32_e32 v4, 31, v4
	v_mul_u32_u24_e32 v107, 20, v12
	v_xor_b32_e32 v12, vcc_hi, v4
	v_xor_b32_e32 v4, vcc_lo, v4
	v_and_b32_e32 v31, v31, v106
	v_and_b32_e32 v30, v30, v4
	;; [unrolled: 1-line block ×3, first 2 shown]
	v_mbcnt_lo_u32_b32 v4, v30, 0
	v_mbcnt_hi_u32_b32 v106, v31, v4
	v_cmp_ne_u64_e32 vcc, 0, v[30:31]
	v_cmp_eq_u32_e64 s[38:39], 0, v106
	v_add_u32_e32 v105, 0x410, v48
	v_add_u32_e32 v104, 0x418, v48
	s_and_b64 s[40:41], vcc, s[38:39]
	v_add_u32_e32 v107, v101, v107
	ds_write2_b32 v105, v3, v3 offset1:1
	ds_write2_b32 v104, v3, v3 offset1:1
	ds_write_b32 v48, v3 offset:1056
	s_waitcnt lgkmcnt(0)
	s_barrier
	; wave barrier
	s_and_saveexec_b64 s[38:39], s[40:41]
; %bb.79:                               ;   in Loop: Header=BB605_64 Depth=2
	v_bcnt_u32_b32 v4, v30, 0
	v_bcnt_u32_b32 v4, v31, v4
	ds_write_b32 v107, v4 offset:1040
; %bb.80:                               ;   in Loop: Header=BB605_64 Depth=2
	s_or_b64 exec, exec, s[38:39]
	v_xor_b32_e32 v30, 0x80000000, v13
	v_lshrrev_b32_e32 v4, s7, v30
	v_and_b32_e32 v12, s62, v4
	v_mad_u32_u24 v4, v12, 20, v101
	; wave barrier
	ds_read_b32 v31, v4 offset:1040
	v_and_b32_e32 v4, 1, v12
	v_add_co_u32_e32 v13, vcc, -1, v4
	v_addc_co_u32_e64 v108, s[38:39], 0, -1, vcc
	v_cmp_ne_u32_e32 vcc, 0, v4
	v_xor_b32_e32 v4, vcc_hi, v108
	v_and_b32_e32 v108, exec_hi, v4
	v_lshlrev_b32_e32 v4, 30, v12
	v_xor_b32_e32 v13, vcc_lo, v13
	v_cmp_gt_i64_e32 vcc, 0, v[3:4]
	v_not_b32_e32 v4, v4
	v_ashrrev_i32_e32 v4, 31, v4
	v_and_b32_e32 v13, exec_lo, v13
	v_xor_b32_e32 v110, vcc_hi, v4
	v_xor_b32_e32 v4, vcc_lo, v4
	v_and_b32_e32 v13, v13, v4
	v_lshlrev_b32_e32 v4, 29, v12
	v_cmp_gt_i64_e32 vcc, 0, v[3:4]
	v_not_b32_e32 v4, v4
	v_ashrrev_i32_e32 v4, 31, v4
	v_and_b32_e32 v108, v108, v110
	v_xor_b32_e32 v110, vcc_hi, v4
	v_xor_b32_e32 v4, vcc_lo, v4
	v_and_b32_e32 v13, v13, v4
	v_lshlrev_b32_e32 v4, 28, v12
	v_cmp_gt_i64_e32 vcc, 0, v[3:4]
	v_not_b32_e32 v4, v4
	v_ashrrev_i32_e32 v4, 31, v4
	v_and_b32_e32 v108, v108, v110
	;; [unrolled: 8-line block ×5, first 2 shown]
	v_xor_b32_e32 v110, vcc_hi, v4
	v_xor_b32_e32 v4, vcc_lo, v4
	v_and_b32_e32 v108, v108, v110
	v_and_b32_e32 v110, v13, v4
	v_lshlrev_b32_e32 v4, 24, v12
	v_cmp_gt_i64_e32 vcc, 0, v[3:4]
	v_not_b32_e32 v4, v4
	v_ashrrev_i32_e32 v4, 31, v4
	v_mul_u32_u24_e32 v109, 20, v12
	v_xor_b32_e32 v12, vcc_hi, v4
	v_xor_b32_e32 v4, vcc_lo, v4
	v_and_b32_e32 v13, v108, v12
	v_and_b32_e32 v12, v110, v4
	v_mbcnt_lo_u32_b32 v4, v12, 0
	v_mbcnt_hi_u32_b32 v108, v13, v4
	v_cmp_ne_u64_e32 vcc, 0, v[12:13]
	v_cmp_eq_u32_e64 s[38:39], 0, v108
	s_and_b64 s[40:41], vcc, s[38:39]
	v_add_u32_e32 v111, v101, v109
	; wave barrier
	s_and_saveexec_b64 s[38:39], s[40:41]
	s_cbranch_execz .LBB605_82
; %bb.81:                               ;   in Loop: Header=BB605_64 Depth=2
	v_bcnt_u32_b32 v4, v12, 0
	v_bcnt_u32_b32 v4, v13, v4
	s_waitcnt lgkmcnt(0)
	v_add_u32_e32 v4, v31, v4
	ds_write_b32 v111, v4 offset:1040
.LBB605_82:                             ;   in Loop: Header=BB605_64 Depth=2
	s_or_b64 exec, exec, s[38:39]
	v_xor_b32_e32 v109, 0x80000000, v14
	v_lshrrev_b32_e32 v4, s7, v109
	v_and_b32_e32 v12, s62, v4
	v_mad_u32_u24 v4, v12, 20, v101
	; wave barrier
	ds_read_b32 v110, v4 offset:1040
	v_and_b32_e32 v4, 1, v12
	v_add_co_u32_e32 v13, vcc, -1, v4
	v_addc_co_u32_e64 v112, s[38:39], 0, -1, vcc
	v_cmp_ne_u32_e32 vcc, 0, v4
	v_xor_b32_e32 v4, vcc_hi, v112
	v_and_b32_e32 v112, exec_hi, v4
	v_lshlrev_b32_e32 v4, 30, v12
	v_xor_b32_e32 v13, vcc_lo, v13
	v_cmp_gt_i64_e32 vcc, 0, v[3:4]
	v_not_b32_e32 v4, v4
	v_ashrrev_i32_e32 v4, 31, v4
	v_and_b32_e32 v13, exec_lo, v13
	v_xor_b32_e32 v113, vcc_hi, v4
	v_xor_b32_e32 v4, vcc_lo, v4
	v_and_b32_e32 v13, v13, v4
	v_lshlrev_b32_e32 v4, 29, v12
	v_cmp_gt_i64_e32 vcc, 0, v[3:4]
	v_not_b32_e32 v4, v4
	v_ashrrev_i32_e32 v4, 31, v4
	v_and_b32_e32 v112, v112, v113
	v_xor_b32_e32 v113, vcc_hi, v4
	v_xor_b32_e32 v4, vcc_lo, v4
	v_and_b32_e32 v13, v13, v4
	v_lshlrev_b32_e32 v4, 28, v12
	v_cmp_gt_i64_e32 vcc, 0, v[3:4]
	v_not_b32_e32 v4, v4
	v_ashrrev_i32_e32 v4, 31, v4
	v_and_b32_e32 v112, v112, v113
	v_xor_b32_e32 v113, vcc_hi, v4
	v_xor_b32_e32 v4, vcc_lo, v4
	v_and_b32_e32 v13, v13, v4
	v_lshlrev_b32_e32 v4, 27, v12
	v_cmp_gt_i64_e32 vcc, 0, v[3:4]
	v_not_b32_e32 v4, v4
	v_ashrrev_i32_e32 v4, 31, v4
	v_and_b32_e32 v112, v112, v113
	v_xor_b32_e32 v113, vcc_hi, v4
	v_xor_b32_e32 v4, vcc_lo, v4
	v_and_b32_e32 v13, v13, v4
	v_lshlrev_b32_e32 v4, 26, v12
	v_cmp_gt_i64_e32 vcc, 0, v[3:4]
	v_not_b32_e32 v4, v4
	v_ashrrev_i32_e32 v4, 31, v4
	v_and_b32_e32 v112, v112, v113
	v_xor_b32_e32 v113, vcc_hi, v4
	v_xor_b32_e32 v4, vcc_lo, v4
	v_and_b32_e32 v13, v13, v4
	v_lshlrev_b32_e32 v4, 25, v12
	v_cmp_gt_i64_e32 vcc, 0, v[3:4]
	v_not_b32_e32 v4, v4
	v_ashrrev_i32_e32 v4, 31, v4
	v_and_b32_e32 v112, v112, v113
	v_xor_b32_e32 v113, vcc_hi, v4
	v_xor_b32_e32 v4, vcc_lo, v4
	v_and_b32_e32 v112, v112, v113
	v_and_b32_e32 v113, v13, v4
	v_lshlrev_b32_e32 v4, 24, v12
	v_cmp_gt_i64_e32 vcc, 0, v[3:4]
	v_not_b32_e32 v4, v4
	v_ashrrev_i32_e32 v4, 31, v4
	v_mul_u32_u24_e32 v14, 20, v12
	v_xor_b32_e32 v12, vcc_hi, v4
	v_xor_b32_e32 v4, vcc_lo, v4
	v_and_b32_e32 v13, v112, v12
	v_and_b32_e32 v12, v113, v4
	v_mbcnt_lo_u32_b32 v4, v12, 0
	v_mbcnt_hi_u32_b32 v112, v13, v4
	v_cmp_ne_u64_e32 vcc, 0, v[12:13]
	v_cmp_eq_u32_e64 s[38:39], 0, v112
	s_and_b64 s[40:41], vcc, s[38:39]
	v_add_u32_e32 v115, v101, v14
	; wave barrier
	s_and_saveexec_b64 s[38:39], s[40:41]
	s_cbranch_execz .LBB605_84
; %bb.83:                               ;   in Loop: Header=BB605_64 Depth=2
	v_bcnt_u32_b32 v4, v12, 0
	v_bcnt_u32_b32 v4, v13, v4
	s_waitcnt lgkmcnt(0)
	v_add_u32_e32 v4, v110, v4
	ds_write_b32 v115, v4 offset:1040
.LBB605_84:                             ;   in Loop: Header=BB605_64 Depth=2
	s_or_b64 exec, exec, s[38:39]
	v_xor_b32_e32 v113, 0x80000000, v15
	v_lshrrev_b32_e32 v4, s7, v113
	v_and_b32_e32 v12, s62, v4
	v_mad_u32_u24 v4, v12, 20, v101
	; wave barrier
	ds_read_b32 v114, v4 offset:1040
	v_and_b32_e32 v4, 1, v12
	v_add_co_u32_e32 v13, vcc, -1, v4
	v_addc_co_u32_e64 v15, s[38:39], 0, -1, vcc
	v_cmp_ne_u32_e32 vcc, 0, v4
	v_xor_b32_e32 v4, vcc_hi, v15
	v_and_b32_e32 v15, exec_hi, v4
	v_lshlrev_b32_e32 v4, 30, v12
	v_xor_b32_e32 v13, vcc_lo, v13
	v_cmp_gt_i64_e32 vcc, 0, v[3:4]
	v_not_b32_e32 v4, v4
	v_ashrrev_i32_e32 v4, 31, v4
	v_and_b32_e32 v13, exec_lo, v13
	v_xor_b32_e32 v116, vcc_hi, v4
	v_xor_b32_e32 v4, vcc_lo, v4
	v_and_b32_e32 v13, v13, v4
	v_lshlrev_b32_e32 v4, 29, v12
	v_cmp_gt_i64_e32 vcc, 0, v[3:4]
	v_not_b32_e32 v4, v4
	v_ashrrev_i32_e32 v4, 31, v4
	v_and_b32_e32 v15, v15, v116
	v_xor_b32_e32 v116, vcc_hi, v4
	v_xor_b32_e32 v4, vcc_lo, v4
	v_and_b32_e32 v13, v13, v4
	v_lshlrev_b32_e32 v4, 28, v12
	v_cmp_gt_i64_e32 vcc, 0, v[3:4]
	v_not_b32_e32 v4, v4
	v_ashrrev_i32_e32 v4, 31, v4
	v_and_b32_e32 v15, v15, v116
	;; [unrolled: 8-line block ×5, first 2 shown]
	v_xor_b32_e32 v116, vcc_hi, v4
	v_xor_b32_e32 v4, vcc_lo, v4
	v_and_b32_e32 v15, v15, v116
	v_and_b32_e32 v116, v13, v4
	v_lshlrev_b32_e32 v4, 24, v12
	v_cmp_gt_i64_e32 vcc, 0, v[3:4]
	v_not_b32_e32 v4, v4
	v_ashrrev_i32_e32 v4, 31, v4
	v_mul_u32_u24_e32 v14, 20, v12
	v_xor_b32_e32 v12, vcc_hi, v4
	v_xor_b32_e32 v4, vcc_lo, v4
	v_and_b32_e32 v13, v15, v12
	v_and_b32_e32 v12, v116, v4
	v_mbcnt_lo_u32_b32 v4, v12, 0
	v_mbcnt_hi_u32_b32 v116, v13, v4
	v_cmp_ne_u64_e32 vcc, 0, v[12:13]
	v_cmp_eq_u32_e64 s[38:39], 0, v116
	s_and_b64 s[40:41], vcc, s[38:39]
	v_add_u32_e32 v118, v101, v14
	; wave barrier
	s_and_saveexec_b64 s[38:39], s[40:41]
	s_cbranch_execz .LBB605_86
; %bb.85:                               ;   in Loop: Header=BB605_64 Depth=2
	v_bcnt_u32_b32 v4, v12, 0
	v_bcnt_u32_b32 v4, v13, v4
	s_waitcnt lgkmcnt(0)
	v_add_u32_e32 v4, v114, v4
	ds_write_b32 v118, v4 offset:1040
.LBB605_86:                             ;   in Loop: Header=BB605_64 Depth=2
	s_or_b64 exec, exec, s[38:39]
	v_xor_b32_e32 v16, 0x80000000, v16
	v_lshrrev_b32_e32 v4, s7, v16
	v_and_b32_e32 v12, s62, v4
	v_mad_u32_u24 v4, v12, 20, v101
	; wave barrier
	ds_read_b32 v117, v4 offset:1040
	v_and_b32_e32 v4, 1, v12
	v_add_co_u32_e32 v13, vcc, -1, v4
	v_addc_co_u32_e64 v15, s[38:39], 0, -1, vcc
	v_cmp_ne_u32_e32 vcc, 0, v4
	v_xor_b32_e32 v4, vcc_hi, v15
	v_and_b32_e32 v15, exec_hi, v4
	v_lshlrev_b32_e32 v4, 30, v12
	v_xor_b32_e32 v13, vcc_lo, v13
	v_cmp_gt_i64_e32 vcc, 0, v[3:4]
	v_not_b32_e32 v4, v4
	v_ashrrev_i32_e32 v4, 31, v4
	v_and_b32_e32 v13, exec_lo, v13
	v_xor_b32_e32 v119, vcc_hi, v4
	v_xor_b32_e32 v4, vcc_lo, v4
	v_and_b32_e32 v13, v13, v4
	v_lshlrev_b32_e32 v4, 29, v12
	v_cmp_gt_i64_e32 vcc, 0, v[3:4]
	v_not_b32_e32 v4, v4
	v_ashrrev_i32_e32 v4, 31, v4
	v_and_b32_e32 v15, v15, v119
	v_xor_b32_e32 v119, vcc_hi, v4
	v_xor_b32_e32 v4, vcc_lo, v4
	v_and_b32_e32 v13, v13, v4
	v_lshlrev_b32_e32 v4, 28, v12
	v_cmp_gt_i64_e32 vcc, 0, v[3:4]
	v_not_b32_e32 v4, v4
	v_ashrrev_i32_e32 v4, 31, v4
	v_and_b32_e32 v15, v15, v119
	v_xor_b32_e32 v119, vcc_hi, v4
	v_xor_b32_e32 v4, vcc_lo, v4
	v_and_b32_e32 v13, v13, v4
	v_lshlrev_b32_e32 v4, 27, v12
	v_cmp_gt_i64_e32 vcc, 0, v[3:4]
	v_not_b32_e32 v4, v4
	v_ashrrev_i32_e32 v4, 31, v4
	v_and_b32_e32 v15, v15, v119
	v_xor_b32_e32 v119, vcc_hi, v4
	v_xor_b32_e32 v4, vcc_lo, v4
	v_and_b32_e32 v13, v13, v4
	v_lshlrev_b32_e32 v4, 26, v12
	v_cmp_gt_i64_e32 vcc, 0, v[3:4]
	v_not_b32_e32 v4, v4
	v_ashrrev_i32_e32 v4, 31, v4
	v_and_b32_e32 v15, v15, v119
	v_xor_b32_e32 v119, vcc_hi, v4
	v_xor_b32_e32 v4, vcc_lo, v4
	v_and_b32_e32 v13, v13, v4
	v_lshlrev_b32_e32 v4, 25, v12
	v_cmp_gt_i64_e32 vcc, 0, v[3:4]
	v_not_b32_e32 v4, v4
	v_ashrrev_i32_e32 v4, 31, v4
	v_and_b32_e32 v15, v15, v119
	v_xor_b32_e32 v119, vcc_hi, v4
	v_xor_b32_e32 v4, vcc_lo, v4
	v_and_b32_e32 v15, v15, v119
	v_and_b32_e32 v119, v13, v4
	v_lshlrev_b32_e32 v4, 24, v12
	v_cmp_gt_i64_e32 vcc, 0, v[3:4]
	v_not_b32_e32 v4, v4
	v_ashrrev_i32_e32 v4, 31, v4
	v_mul_u32_u24_e32 v14, 20, v12
	v_xor_b32_e32 v12, vcc_hi, v4
	v_xor_b32_e32 v4, vcc_lo, v4
	v_and_b32_e32 v13, v15, v12
	v_and_b32_e32 v12, v119, v4
	v_mbcnt_lo_u32_b32 v4, v12, 0
	v_mbcnt_hi_u32_b32 v119, v13, v4
	v_cmp_ne_u64_e32 vcc, 0, v[12:13]
	v_cmp_eq_u32_e64 s[38:39], 0, v119
	s_and_b64 s[40:41], vcc, s[38:39]
	v_add_u32_e32 v121, v101, v14
	; wave barrier
	s_and_saveexec_b64 s[38:39], s[40:41]
	s_cbranch_execz .LBB605_88
; %bb.87:                               ;   in Loop: Header=BB605_64 Depth=2
	v_bcnt_u32_b32 v4, v12, 0
	v_bcnt_u32_b32 v4, v13, v4
	s_waitcnt lgkmcnt(0)
	v_add_u32_e32 v4, v117, v4
	ds_write_b32 v121, v4 offset:1040
.LBB605_88:                             ;   in Loop: Header=BB605_64 Depth=2
	s_or_b64 exec, exec, s[38:39]
	v_xor_b32_e32 v120, 0x80000000, v17
	v_lshrrev_b32_e32 v4, s7, v120
	v_and_b32_e32 v12, s62, v4
	v_mad_u32_u24 v4, v12, 20, v101
	; wave barrier
	ds_read_b32 v17, v4 offset:1040
	v_and_b32_e32 v4, 1, v12
	v_add_co_u32_e32 v13, vcc, -1, v4
	v_addc_co_u32_e64 v15, s[38:39], 0, -1, vcc
	v_cmp_ne_u32_e32 vcc, 0, v4
	v_xor_b32_e32 v4, vcc_hi, v15
	v_and_b32_e32 v15, exec_hi, v4
	v_lshlrev_b32_e32 v4, 30, v12
	v_xor_b32_e32 v13, vcc_lo, v13
	v_cmp_gt_i64_e32 vcc, 0, v[3:4]
	v_not_b32_e32 v4, v4
	v_ashrrev_i32_e32 v4, 31, v4
	v_and_b32_e32 v13, exec_lo, v13
	v_xor_b32_e32 v122, vcc_hi, v4
	v_xor_b32_e32 v4, vcc_lo, v4
	v_and_b32_e32 v13, v13, v4
	v_lshlrev_b32_e32 v4, 29, v12
	v_cmp_gt_i64_e32 vcc, 0, v[3:4]
	v_not_b32_e32 v4, v4
	v_ashrrev_i32_e32 v4, 31, v4
	v_and_b32_e32 v15, v15, v122
	v_xor_b32_e32 v122, vcc_hi, v4
	v_xor_b32_e32 v4, vcc_lo, v4
	v_and_b32_e32 v13, v13, v4
	v_lshlrev_b32_e32 v4, 28, v12
	v_cmp_gt_i64_e32 vcc, 0, v[3:4]
	v_not_b32_e32 v4, v4
	v_ashrrev_i32_e32 v4, 31, v4
	v_and_b32_e32 v15, v15, v122
	;; [unrolled: 8-line block ×5, first 2 shown]
	v_xor_b32_e32 v122, vcc_hi, v4
	v_xor_b32_e32 v4, vcc_lo, v4
	v_and_b32_e32 v15, v15, v122
	v_and_b32_e32 v122, v13, v4
	v_lshlrev_b32_e32 v4, 24, v12
	v_cmp_gt_i64_e32 vcc, 0, v[3:4]
	v_not_b32_e32 v4, v4
	v_ashrrev_i32_e32 v4, 31, v4
	v_mul_u32_u24_e32 v14, 20, v12
	v_xor_b32_e32 v12, vcc_hi, v4
	v_xor_b32_e32 v4, vcc_lo, v4
	v_and_b32_e32 v13, v15, v12
	v_and_b32_e32 v12, v122, v4
	v_mbcnt_lo_u32_b32 v4, v12, 0
	v_mbcnt_hi_u32_b32 v122, v13, v4
	v_cmp_ne_u64_e32 vcc, 0, v[12:13]
	v_cmp_eq_u32_e64 s[38:39], 0, v122
	s_and_b64 s[40:41], vcc, s[38:39]
	v_add_u32_e32 v125, v101, v14
	; wave barrier
	s_and_saveexec_b64 s[38:39], s[40:41]
	s_cbranch_execz .LBB605_90
; %bb.89:                               ;   in Loop: Header=BB605_64 Depth=2
	v_bcnt_u32_b32 v4, v12, 0
	v_bcnt_u32_b32 v4, v13, v4
	s_waitcnt lgkmcnt(0)
	v_add_u32_e32 v4, v17, v4
	ds_write_b32 v125, v4 offset:1040
.LBB605_90:                             ;   in Loop: Header=BB605_64 Depth=2
	s_or_b64 exec, exec, s[38:39]
	v_xor_b32_e32 v123, 0x80000000, v18
	v_lshrrev_b32_e32 v4, s7, v123
	v_and_b32_e32 v12, s62, v4
	v_mad_u32_u24 v4, v12, 20, v101
	; wave barrier
	ds_read_b32 v124, v4 offset:1040
	v_and_b32_e32 v4, 1, v12
	v_add_co_u32_e32 v13, vcc, -1, v4
	v_addc_co_u32_e64 v15, s[38:39], 0, -1, vcc
	v_cmp_ne_u32_e32 vcc, 0, v4
	v_xor_b32_e32 v4, vcc_hi, v15
	v_and_b32_e32 v15, exec_hi, v4
	v_lshlrev_b32_e32 v4, 30, v12
	v_xor_b32_e32 v13, vcc_lo, v13
	v_cmp_gt_i64_e32 vcc, 0, v[3:4]
	v_not_b32_e32 v4, v4
	v_ashrrev_i32_e32 v4, 31, v4
	v_and_b32_e32 v13, exec_lo, v13
	v_xor_b32_e32 v18, vcc_hi, v4
	v_xor_b32_e32 v4, vcc_lo, v4
	v_and_b32_e32 v13, v13, v4
	v_lshlrev_b32_e32 v4, 29, v12
	v_cmp_gt_i64_e32 vcc, 0, v[3:4]
	v_not_b32_e32 v4, v4
	v_ashrrev_i32_e32 v4, 31, v4
	v_and_b32_e32 v15, v15, v18
	v_xor_b32_e32 v18, vcc_hi, v4
	v_xor_b32_e32 v4, vcc_lo, v4
	v_and_b32_e32 v13, v13, v4
	v_lshlrev_b32_e32 v4, 28, v12
	v_cmp_gt_i64_e32 vcc, 0, v[3:4]
	v_not_b32_e32 v4, v4
	v_ashrrev_i32_e32 v4, 31, v4
	v_and_b32_e32 v15, v15, v18
	;; [unrolled: 8-line block ×5, first 2 shown]
	v_xor_b32_e32 v18, vcc_hi, v4
	v_xor_b32_e32 v4, vcc_lo, v4
	v_and_b32_e32 v15, v15, v18
	v_and_b32_e32 v18, v13, v4
	v_lshlrev_b32_e32 v4, 24, v12
	v_cmp_gt_i64_e32 vcc, 0, v[3:4]
	v_not_b32_e32 v4, v4
	v_ashrrev_i32_e32 v4, 31, v4
	v_mul_u32_u24_e32 v14, 20, v12
	v_xor_b32_e32 v12, vcc_hi, v4
	v_xor_b32_e32 v4, vcc_lo, v4
	v_and_b32_e32 v13, v15, v12
	v_and_b32_e32 v12, v18, v4
	v_mbcnt_lo_u32_b32 v4, v12, 0
	v_mbcnt_hi_u32_b32 v126, v13, v4
	v_cmp_ne_u64_e32 vcc, 0, v[12:13]
	v_cmp_eq_u32_e64 s[38:39], 0, v126
	s_and_b64 s[40:41], vcc, s[38:39]
	v_add_u32_e32 v18, v101, v14
	; wave barrier
	s_and_saveexec_b64 s[38:39], s[40:41]
	s_cbranch_execz .LBB605_92
; %bb.91:                               ;   in Loop: Header=BB605_64 Depth=2
	v_bcnt_u32_b32 v4, v12, 0
	v_bcnt_u32_b32 v4, v13, v4
	s_waitcnt lgkmcnt(0)
	v_add_u32_e32 v4, v124, v4
	ds_write_b32 v18, v4 offset:1040
.LBB605_92:                             ;   in Loop: Header=BB605_64 Depth=2
	s_or_b64 exec, exec, s[38:39]
	v_xor_b32_e32 v127, 0x80000000, v19
	v_lshrrev_b32_e32 v4, s7, v127
	v_and_b32_e32 v12, s62, v4
	v_mad_u32_u24 v4, v12, 20, v101
	; wave barrier
	ds_read_b32 v128, v4 offset:1040
	v_and_b32_e32 v4, 1, v12
	v_add_co_u32_e32 v13, vcc, -1, v4
	v_addc_co_u32_e64 v15, s[38:39], 0, -1, vcc
	v_cmp_ne_u32_e32 vcc, 0, v4
	v_xor_b32_e32 v4, vcc_hi, v15
	v_and_b32_e32 v15, exec_hi, v4
	v_lshlrev_b32_e32 v4, 30, v12
	v_xor_b32_e32 v13, vcc_lo, v13
	v_cmp_gt_i64_e32 vcc, 0, v[3:4]
	v_not_b32_e32 v4, v4
	v_ashrrev_i32_e32 v4, 31, v4
	v_and_b32_e32 v13, exec_lo, v13
	v_xor_b32_e32 v19, vcc_hi, v4
	v_xor_b32_e32 v4, vcc_lo, v4
	v_and_b32_e32 v13, v13, v4
	v_lshlrev_b32_e32 v4, 29, v12
	v_cmp_gt_i64_e32 vcc, 0, v[3:4]
	v_not_b32_e32 v4, v4
	v_ashrrev_i32_e32 v4, 31, v4
	v_and_b32_e32 v15, v15, v19
	v_xor_b32_e32 v19, vcc_hi, v4
	v_xor_b32_e32 v4, vcc_lo, v4
	v_and_b32_e32 v13, v13, v4
	v_lshlrev_b32_e32 v4, 28, v12
	v_cmp_gt_i64_e32 vcc, 0, v[3:4]
	v_not_b32_e32 v4, v4
	v_ashrrev_i32_e32 v4, 31, v4
	v_and_b32_e32 v15, v15, v19
	;; [unrolled: 8-line block ×5, first 2 shown]
	v_xor_b32_e32 v19, vcc_hi, v4
	v_xor_b32_e32 v4, vcc_lo, v4
	v_and_b32_e32 v15, v15, v19
	v_and_b32_e32 v19, v13, v4
	v_lshlrev_b32_e32 v4, 24, v12
	v_cmp_gt_i64_e32 vcc, 0, v[3:4]
	v_not_b32_e32 v4, v4
	v_ashrrev_i32_e32 v4, 31, v4
	v_mul_u32_u24_e32 v14, 20, v12
	v_xor_b32_e32 v12, vcc_hi, v4
	v_xor_b32_e32 v4, vcc_lo, v4
	v_and_b32_e32 v13, v15, v12
	v_and_b32_e32 v12, v19, v4
	v_mbcnt_lo_u32_b32 v4, v12, 0
	v_mbcnt_hi_u32_b32 v129, v13, v4
	v_cmp_ne_u64_e32 vcc, 0, v[12:13]
	v_cmp_eq_u32_e64 s[38:39], 0, v129
	s_and_b64 s[40:41], vcc, s[38:39]
	v_add_u32_e32 v4, v101, v14
	; wave barrier
	s_and_saveexec_b64 s[38:39], s[40:41]
	s_cbranch_execz .LBB605_94
; %bb.93:                               ;   in Loop: Header=BB605_64 Depth=2
	v_bcnt_u32_b32 v12, v12, 0
	v_bcnt_u32_b32 v12, v13, v12
	s_waitcnt lgkmcnt(0)
	v_add_u32_e32 v12, v128, v12
	ds_write_b32 v4, v12 offset:1040
.LBB605_94:                             ;   in Loop: Header=BB605_64 Depth=2
	s_or_b64 exec, exec, s[38:39]
	; wave barrier
	s_waitcnt lgkmcnt(0)
	s_barrier
	ds_read2_b32 v[14:15], v105 offset1:1
	ds_read2_b32 v[12:13], v104 offset1:1
	ds_read_b32 v19, v48 offset:1056
	s_waitcnt lgkmcnt(1)
	v_add3_u32 v130, v15, v14, v12
	s_waitcnt lgkmcnt(0)
	v_add3_u32 v19, v130, v13, v19
	s_nop 1
	v_mov_b32_dpp v130, v19 row_shr:1 row_mask:0xf bank_mask:0xf
	v_cndmask_b32_e64 v130, v130, 0, s[18:19]
	v_add_u32_e32 v19, v130, v19
	s_nop 1
	v_mov_b32_dpp v130, v19 row_shr:2 row_mask:0xf bank_mask:0xf
	v_cndmask_b32_e64 v130, 0, v130, s[20:21]
	v_add_u32_e32 v19, v19, v130
	s_nop 1
	v_mov_b32_dpp v130, v19 row_shr:4 row_mask:0xf bank_mask:0xf
	v_cndmask_b32_e64 v130, 0, v130, s[22:23]
	v_add_u32_e32 v19, v19, v130
	s_nop 1
	v_mov_b32_dpp v130, v19 row_shr:8 row_mask:0xf bank_mask:0xf
	v_cndmask_b32_e64 v130, 0, v130, s[24:25]
	v_add_u32_e32 v19, v19, v130
	s_nop 1
	v_mov_b32_dpp v130, v19 row_bcast:15 row_mask:0xf bank_mask:0xf
	v_cndmask_b32_e64 v130, v130, 0, s[26:27]
	v_add_u32_e32 v19, v19, v130
	s_nop 1
	v_mov_b32_dpp v130, v19 row_bcast:31 row_mask:0xf bank_mask:0xf
	v_cndmask_b32_e64 v130, 0, v130, s[28:29]
	v_add_u32_e32 v19, v19, v130
	s_and_saveexec_b64 s[38:39], s[8:9]
; %bb.95:                               ;   in Loop: Header=BB605_64 Depth=2
	ds_write_b32 v44, v19 offset:1024
; %bb.96:                               ;   in Loop: Header=BB605_64 Depth=2
	s_or_b64 exec, exec, s[38:39]
	s_waitcnt lgkmcnt(0)
	s_barrier
	s_and_saveexec_b64 s[38:39], s[10:11]
	s_cbranch_execz .LBB605_98
; %bb.97:                               ;   in Loop: Header=BB605_64 Depth=2
	ds_read_b32 v130, v49 offset:1024
	s_waitcnt lgkmcnt(0)
	s_nop 0
	v_mov_b32_dpp v131, v130 row_shr:1 row_mask:0xf bank_mask:0xf
	v_cndmask_b32_e64 v131, v131, 0, s[34:35]
	v_add_u32_e32 v130, v131, v130
	s_nop 1
	v_mov_b32_dpp v131, v130 row_shr:2 row_mask:0xf bank_mask:0xf
	v_cndmask_b32_e64 v131, 0, v131, s[36:37]
	v_add_u32_e32 v130, v130, v131
	ds_write_b32 v49, v130 offset:1024
.LBB605_98:                             ;   in Loop: Header=BB605_64 Depth=2
	s_or_b64 exec, exec, s[38:39]
	v_mov_b32_e32 v130, 0
	s_waitcnt lgkmcnt(0)
	s_barrier
	s_and_saveexec_b64 s[38:39], s[12:13]
; %bb.99:                               ;   in Loop: Header=BB605_64 Depth=2
	ds_read_b32 v130, v44 offset:1020
; %bb.100:                              ;   in Loop: Header=BB605_64 Depth=2
	s_or_b64 exec, exec, s[38:39]
	s_waitcnt lgkmcnt(0)
	v_add_u32_e32 v19, v130, v19
	ds_bpermute_b32 v19, v84, v19
	s_waitcnt lgkmcnt(0)
	v_cndmask_b32_e64 v19, v19, v130, s[30:31]
	v_cndmask_b32_e64 v19, v19, 0, s[14:15]
	v_add_u32_e32 v14, v19, v14
	v_add_u32_e32 v15, v14, v15
	;; [unrolled: 1-line block ×4, first 2 shown]
	ds_write2_b32 v105, v19, v14 offset1:1
	ds_write2_b32 v104, v15, v12 offset1:1
	ds_write_b32 v48, v13 offset:1056
	s_waitcnt lgkmcnt(0)
	s_barrier
	ds_read_b32 v12, v107 offset:1040
	ds_read_b32 v13, v111 offset:1040
	;; [unrolled: 1-line block ×9, first 2 shown]
	v_mov_b32_e32 v4, 0x800
	s_and_saveexec_b64 s[38:39], s[16:17]
; %bb.101:                              ;   in Loop: Header=BB605_64 Depth=2
	ds_read_b32 v4, v48 offset:1060
; %bb.102:                              ;   in Loop: Header=BB605_64 Depth=2
	s_or_b64 exec, exec, s[38:39]
	s_waitcnt lgkmcnt(0)
	s_barrier
	s_and_saveexec_b64 s[38:39], s[4:5]
	s_cbranch_execz .LBB605_104
; %bb.103:                              ;   in Loop: Header=BB605_64 Depth=2
	ds_read_b32 v19, v32
	s_waitcnt lgkmcnt(0)
	v_sub_u32_e32 v18, v19, v18
	ds_write_b32 v32, v18
.LBB605_104:                            ;   in Loop: Header=BB605_64 Depth=2
	s_or_b64 exec, exec, s[38:39]
	v_add_u32_e32 v105, v12, v106
	v_add3_u32 v104, v108, v31, v13
	v_lshlrev_b32_e32 v12, 2, v105
	v_add3_u32 v31, v112, v110, v14
	ds_write_b32 v12, v103 offset:1024
	v_lshlrev_b32_e32 v12, 2, v104
	v_add3_u32 v19, v116, v114, v15
	ds_write_b32 v12, v30 offset:1024
	;; [unrolled: 3-line block ×6, first 2 shown]
	v_lshlrev_b32_e32 v12, 2, v15
	ds_write_b32 v12, v123 offset:1024
	v_lshlrev_b32_e32 v12, 2, v14
	v_cmp_lt_u32_e32 vcc, v0, v102
	ds_write_b32 v12, v127 offset:1024
	s_waitcnt lgkmcnt(0)
	s_barrier
	s_and_saveexec_b64 s[40:41], vcc
	s_cbranch_execnz .LBB605_141
; %bb.105:                              ;   in Loop: Header=BB605_64 Depth=2
	s_or_b64 exec, exec, s[40:41]
	v_cmp_lt_u32_e64 s[38:39], v33, v102
	s_and_saveexec_b64 s[42:43], s[38:39]
	s_cbranch_execnz .LBB605_142
.LBB605_106:                            ;   in Loop: Header=BB605_64 Depth=2
	s_or_b64 exec, exec, s[42:43]
	v_cmp_lt_u32_e64 s[40:41], v34, v102
	s_and_saveexec_b64 s[44:45], s[40:41]
	s_cbranch_execnz .LBB605_143
.LBB605_107:                            ;   in Loop: Header=BB605_64 Depth=2
	s_or_b64 exec, exec, s[44:45]
	v_cmp_lt_u32_e64 s[42:43], v35, v102
	s_and_saveexec_b64 s[46:47], s[42:43]
	s_cbranch_execnz .LBB605_144
.LBB605_108:                            ;   in Loop: Header=BB605_64 Depth=2
	s_or_b64 exec, exec, s[46:47]
	v_cmp_lt_u32_e64 s[44:45], v38, v102
	s_and_saveexec_b64 s[48:49], s[44:45]
	s_cbranch_execnz .LBB605_145
.LBB605_109:                            ;   in Loop: Header=BB605_64 Depth=2
	s_or_b64 exec, exec, s[48:49]
	v_cmp_lt_u32_e64 s[46:47], v39, v102
	s_and_saveexec_b64 s[50:51], s[46:47]
	s_cbranch_execnz .LBB605_146
.LBB605_110:                            ;   in Loop: Header=BB605_64 Depth=2
	s_or_b64 exec, exec, s[50:51]
	v_cmp_lt_u32_e64 s[48:49], v40, v102
	s_and_saveexec_b64 s[52:53], s[48:49]
	s_cbranch_execnz .LBB605_147
.LBB605_111:                            ;   in Loop: Header=BB605_64 Depth=2
	s_or_b64 exec, exec, s[52:53]
	v_cmp_lt_u32_e64 s[50:51], v41, v102
	s_and_saveexec_b64 s[60:61], s[50:51]
	s_cbranch_execz .LBB605_113
.LBB605_112:                            ;   in Loop: Header=BB605_64 Depth=2
	ds_read_b32 v12, v49 offset:8192
	v_mov_b32_e32 v30, s67
	s_waitcnt lgkmcnt(0)
	v_lshrrev_b32_e32 v13, s7, v12
	v_and_b32_e32 v13, s62, v13
	v_lshlrev_b32_e32 v13, 2, v13
	ds_read_b32 v16, v13
	v_mov_b32_e32 v13, v3
	v_xor_b32_e32 v103, 0x80000000, v12
	s_waitcnt lgkmcnt(0)
	v_add_u32_e32 v12, v16, v41
	v_lshlrev_b64 v[12:13], 2, v[12:13]
	v_add_co_u32_e64 v12, s[52:53], s66, v12
	v_addc_co_u32_e64 v13, s[52:53], v30, v13, s[52:53]
	global_store_dword v[12:13], v103, off
.LBB605_113:                            ;   in Loop: Header=BB605_64 Depth=2
	s_or_b64 exec, exec, s[60:61]
	s_lshl_b64 s[52:53], s[58:59], 3
	v_mov_b32_e32 v13, s53
	v_add_co_u32_e64 v12, s[52:53], s52, v85
	v_addc_co_u32_e64 v13, s[52:53], v86, v13, s[52:53]
	v_cmp_lt_u32_e64 s[52:53], v80, v102
	s_and_saveexec_b64 s[60:61], s[52:53]
	s_xor_b64 s[52:53], exec, s[60:61]
	s_cbranch_execnz .LBB605_148
; %bb.114:                              ;   in Loop: Header=BB605_64 Depth=2
	s_or_b64 exec, exec, s[52:53]
	v_cmp_lt_u32_e64 s[52:53], v81, v102
	s_and_saveexec_b64 s[60:61], s[52:53]
	s_cbranch_execnz .LBB605_149
.LBB605_115:                            ;   in Loop: Header=BB605_64 Depth=2
	s_or_b64 exec, exec, s[60:61]
	v_cmp_lt_u32_e64 s[52:53], v82, v102
	s_and_saveexec_b64 s[60:61], s[52:53]
	s_cbranch_execnz .LBB605_150
.LBB605_116:                            ;   in Loop: Header=BB605_64 Depth=2
	s_or_b64 exec, exec, s[60:61]
	v_cmp_lt_u32_e64 s[52:53], v83, v102
	s_and_saveexec_b64 s[60:61], s[52:53]
	s_cbranch_execnz .LBB605_151
.LBB605_117:                            ;   in Loop: Header=BB605_64 Depth=2
	s_or_b64 exec, exec, s[60:61]
	v_cmp_lt_u32_e64 s[52:53], v87, v102
	s_and_saveexec_b64 s[60:61], s[52:53]
	s_cbranch_execnz .LBB605_152
.LBB605_118:                            ;   in Loop: Header=BB605_64 Depth=2
	s_or_b64 exec, exec, s[60:61]
	v_cmp_lt_u32_e64 s[52:53], v88, v102
	s_and_saveexec_b64 s[60:61], s[52:53]
	s_cbranch_execnz .LBB605_153
.LBB605_119:                            ;   in Loop: Header=BB605_64 Depth=2
	s_or_b64 exec, exec, s[60:61]
	v_cmp_lt_u32_e64 s[52:53], v89, v102
	s_and_saveexec_b64 s[60:61], s[52:53]
	s_cbranch_execnz .LBB605_154
.LBB605_120:                            ;   in Loop: Header=BB605_64 Depth=2
	s_or_b64 exec, exec, s[60:61]
	v_cmp_lt_u32_e64 s[52:53], v90, v102
	s_and_saveexec_b64 s[60:61], s[52:53]
	s_cbranch_execnz .LBB605_155
.LBB605_121:                            ;   in Loop: Header=BB605_64 Depth=2
	s_or_b64 exec, exec, s[60:61]
	s_and_saveexec_b64 s[52:53], vcc
	s_cbranch_execnz .LBB605_156
.LBB605_122:                            ;   in Loop: Header=BB605_64 Depth=2
	s_or_b64 exec, exec, s[52:53]
	s_and_saveexec_b64 s[52:53], s[38:39]
	s_cbranch_execnz .LBB605_157
.LBB605_123:                            ;   in Loop: Header=BB605_64 Depth=2
	s_or_b64 exec, exec, s[52:53]
	s_and_saveexec_b64 s[52:53], s[40:41]
	s_cbranch_execnz .LBB605_158
.LBB605_124:                            ;   in Loop: Header=BB605_64 Depth=2
	s_or_b64 exec, exec, s[52:53]
	s_and_saveexec_b64 s[52:53], s[42:43]
	s_cbranch_execnz .LBB605_159
.LBB605_125:                            ;   in Loop: Header=BB605_64 Depth=2
	s_or_b64 exec, exec, s[52:53]
	s_and_saveexec_b64 s[52:53], s[44:45]
	s_cbranch_execnz .LBB605_160
.LBB605_126:                            ;   in Loop: Header=BB605_64 Depth=2
	s_or_b64 exec, exec, s[52:53]
	s_and_saveexec_b64 s[52:53], s[46:47]
	s_cbranch_execnz .LBB605_161
.LBB605_127:                            ;   in Loop: Header=BB605_64 Depth=2
	s_or_b64 exec, exec, s[52:53]
	s_and_saveexec_b64 s[52:53], s[48:49]
	s_cbranch_execnz .LBB605_162
.LBB605_128:                            ;   in Loop: Header=BB605_64 Depth=2
	s_or_b64 exec, exec, s[52:53]
	s_and_saveexec_b64 s[52:53], s[50:51]
	s_cbranch_execz .LBB605_130
.LBB605_129:                            ;   in Loop: Header=BB605_64 Depth=2
	ds_read_b32 v12, v49 offset:8192
	s_waitcnt lgkmcnt(0)
	v_lshrrev_b32_e32 v12, s7, v12
	v_and_b32_e32 v91, s62, v12
.LBB605_130:                            ;   in Loop: Header=BB605_64 Depth=2
	s_or_b64 exec, exec, s[52:53]
	v_lshlrev_b32_e32 v12, 3, v105
	s_waitcnt vmcnt(0)
	s_barrier
	ds_write_b64 v12, v[28:29] offset:1024
	v_lshlrev_b32_e32 v12, 3, v104
	ds_write_b64 v12, v[26:27] offset:1024
	v_lshlrev_b32_e32 v12, 3, v31
	;; [unrolled: 2-line block ×7, first 2 shown]
	ds_write_b64 v12, v[5:6] offset:1024
	s_waitcnt lgkmcnt(0)
	s_barrier
	s_and_saveexec_b64 s[52:53], vcc
	s_cbranch_execnz .LBB605_163
; %bb.131:                              ;   in Loop: Header=BB605_64 Depth=2
	s_or_b64 exec, exec, s[52:53]
	s_and_saveexec_b64 s[52:53], s[38:39]
	s_cbranch_execnz .LBB605_164
.LBB605_132:                            ;   in Loop: Header=BB605_64 Depth=2
	s_or_b64 exec, exec, s[52:53]
	s_and_saveexec_b64 s[38:39], s[40:41]
	s_cbranch_execnz .LBB605_165
.LBB605_133:                            ;   in Loop: Header=BB605_64 Depth=2
	s_or_b64 exec, exec, s[38:39]
	s_and_saveexec_b64 s[38:39], s[42:43]
	s_cbranch_execnz .LBB605_166
.LBB605_134:                            ;   in Loop: Header=BB605_64 Depth=2
	s_or_b64 exec, exec, s[38:39]
	s_and_saveexec_b64 s[38:39], s[44:45]
	s_cbranch_execnz .LBB605_167
.LBB605_135:                            ;   in Loop: Header=BB605_64 Depth=2
	s_or_b64 exec, exec, s[38:39]
	s_and_saveexec_b64 s[38:39], s[46:47]
	s_cbranch_execnz .LBB605_168
.LBB605_136:                            ;   in Loop: Header=BB605_64 Depth=2
	s_or_b64 exec, exec, s[38:39]
	s_and_saveexec_b64 s[38:39], s[48:49]
	s_cbranch_execnz .LBB605_169
.LBB605_137:                            ;   in Loop: Header=BB605_64 Depth=2
	s_or_b64 exec, exec, s[38:39]
	s_and_saveexec_b64 s[38:39], s[50:51]
	s_cbranch_execz .LBB605_139
.LBB605_138:                            ;   in Loop: Header=BB605_64 Depth=2
	v_lshlrev_b32_e32 v12, 2, v91
	ds_read_b32 v14, v12
	v_add_u32_e32 v12, v49, v32
	ds_read_b64 v[12:13], v12 offset:15360
	v_mov_b32_e32 v15, v3
	v_mov_b32_e32 v16, s73
	s_waitcnt lgkmcnt(1)
	v_add_u32_e32 v14, v14, v41
	v_lshlrev_b64 v[14:15], 3, v[14:15]
	v_add_co_u32_e32 v14, vcc, s72, v14
	v_addc_co_u32_e32 v15, vcc, v16, v15, vcc
	s_waitcnt lgkmcnt(0)
	global_store_dwordx2 v[14:15], v[12:13], off
.LBB605_139:                            ;   in Loop: Header=BB605_64 Depth=2
	s_or_b64 exec, exec, s[38:39]
	s_waitcnt vmcnt(0)
	s_barrier
	s_and_saveexec_b64 s[38:39], s[4:5]
	s_cbranch_execz .LBB605_63
; %bb.140:                              ;   in Loop: Header=BB605_64 Depth=2
	ds_read_b32 v12, v32
	s_waitcnt lgkmcnt(0)
	v_add_u32_e32 v4, v12, v4
	ds_write_b32 v32, v4
	s_branch .LBB605_63
.LBB605_141:                            ;   in Loop: Header=BB605_64 Depth=2
	ds_read_b32 v12, v49 offset:1024
	v_mov_b32_e32 v30, s67
	s_waitcnt lgkmcnt(0)
	v_lshrrev_b32_e32 v13, s7, v12
	v_and_b32_e32 v13, s62, v13
	v_lshlrev_b32_e32 v13, 2, v13
	ds_read_b32 v16, v13
	v_mov_b32_e32 v13, v3
	v_xor_b32_e32 v103, 0x80000000, v12
	s_waitcnt lgkmcnt(0)
	v_add_u32_e32 v12, v16, v0
	v_lshlrev_b64 v[12:13], 2, v[12:13]
	v_add_co_u32_e64 v12, s[38:39], s66, v12
	v_addc_co_u32_e64 v13, s[38:39], v30, v13, s[38:39]
	global_store_dword v[12:13], v103, off
	s_or_b64 exec, exec, s[40:41]
	v_cmp_lt_u32_e64 s[38:39], v33, v102
	s_and_saveexec_b64 s[42:43], s[38:39]
	s_cbranch_execz .LBB605_106
.LBB605_142:                            ;   in Loop: Header=BB605_64 Depth=2
	ds_read_b32 v12, v49 offset:2048
	v_mov_b32_e32 v30, s67
	s_waitcnt lgkmcnt(0)
	v_lshrrev_b32_e32 v13, s7, v12
	v_and_b32_e32 v13, s62, v13
	v_lshlrev_b32_e32 v13, 2, v13
	ds_read_b32 v16, v13
	v_mov_b32_e32 v13, v3
	v_xor_b32_e32 v103, 0x80000000, v12
	s_waitcnt lgkmcnt(0)
	v_add_u32_e32 v12, v16, v33
	v_lshlrev_b64 v[12:13], 2, v[12:13]
	v_add_co_u32_e64 v12, s[40:41], s66, v12
	v_addc_co_u32_e64 v13, s[40:41], v30, v13, s[40:41]
	global_store_dword v[12:13], v103, off
	s_or_b64 exec, exec, s[42:43]
	v_cmp_lt_u32_e64 s[40:41], v34, v102
	s_and_saveexec_b64 s[44:45], s[40:41]
	s_cbranch_execz .LBB605_107
.LBB605_143:                            ;   in Loop: Header=BB605_64 Depth=2
	ds_read_b32 v12, v49 offset:3072
	v_mov_b32_e32 v30, s67
	s_waitcnt lgkmcnt(0)
	v_lshrrev_b32_e32 v13, s7, v12
	v_and_b32_e32 v13, s62, v13
	v_lshlrev_b32_e32 v13, 2, v13
	ds_read_b32 v16, v13
	v_mov_b32_e32 v13, v3
	v_xor_b32_e32 v103, 0x80000000, v12
	s_waitcnt lgkmcnt(0)
	v_add_u32_e32 v12, v16, v34
	v_lshlrev_b64 v[12:13], 2, v[12:13]
	v_add_co_u32_e64 v12, s[42:43], s66, v12
	v_addc_co_u32_e64 v13, s[42:43], v30, v13, s[42:43]
	global_store_dword v[12:13], v103, off
	s_or_b64 exec, exec, s[44:45]
	v_cmp_lt_u32_e64 s[42:43], v35, v102
	s_and_saveexec_b64 s[46:47], s[42:43]
	s_cbranch_execz .LBB605_108
.LBB605_144:                            ;   in Loop: Header=BB605_64 Depth=2
	ds_read_b32 v12, v49 offset:4096
	v_mov_b32_e32 v30, s67
	s_waitcnt lgkmcnt(0)
	v_lshrrev_b32_e32 v13, s7, v12
	v_and_b32_e32 v13, s62, v13
	v_lshlrev_b32_e32 v13, 2, v13
	ds_read_b32 v16, v13
	v_mov_b32_e32 v13, v3
	v_xor_b32_e32 v103, 0x80000000, v12
	s_waitcnt lgkmcnt(0)
	v_add_u32_e32 v12, v16, v35
	v_lshlrev_b64 v[12:13], 2, v[12:13]
	v_add_co_u32_e64 v12, s[44:45], s66, v12
	v_addc_co_u32_e64 v13, s[44:45], v30, v13, s[44:45]
	global_store_dword v[12:13], v103, off
	s_or_b64 exec, exec, s[46:47]
	v_cmp_lt_u32_e64 s[44:45], v38, v102
	s_and_saveexec_b64 s[48:49], s[44:45]
	s_cbranch_execz .LBB605_109
.LBB605_145:                            ;   in Loop: Header=BB605_64 Depth=2
	ds_read_b32 v12, v49 offset:5120
	v_mov_b32_e32 v30, s67
	s_waitcnt lgkmcnt(0)
	v_lshrrev_b32_e32 v13, s7, v12
	v_and_b32_e32 v13, s62, v13
	v_lshlrev_b32_e32 v13, 2, v13
	ds_read_b32 v16, v13
	v_mov_b32_e32 v13, v3
	v_xor_b32_e32 v103, 0x80000000, v12
	s_waitcnt lgkmcnt(0)
	v_add_u32_e32 v12, v16, v38
	v_lshlrev_b64 v[12:13], 2, v[12:13]
	v_add_co_u32_e64 v12, s[46:47], s66, v12
	v_addc_co_u32_e64 v13, s[46:47], v30, v13, s[46:47]
	global_store_dword v[12:13], v103, off
	s_or_b64 exec, exec, s[48:49]
	v_cmp_lt_u32_e64 s[46:47], v39, v102
	s_and_saveexec_b64 s[50:51], s[46:47]
	s_cbranch_execz .LBB605_110
.LBB605_146:                            ;   in Loop: Header=BB605_64 Depth=2
	ds_read_b32 v12, v49 offset:6144
	v_mov_b32_e32 v30, s67
	s_waitcnt lgkmcnt(0)
	v_lshrrev_b32_e32 v13, s7, v12
	v_and_b32_e32 v13, s62, v13
	v_lshlrev_b32_e32 v13, 2, v13
	ds_read_b32 v16, v13
	v_mov_b32_e32 v13, v3
	v_xor_b32_e32 v103, 0x80000000, v12
	s_waitcnt lgkmcnt(0)
	v_add_u32_e32 v12, v16, v39
	v_lshlrev_b64 v[12:13], 2, v[12:13]
	v_add_co_u32_e64 v12, s[48:49], s66, v12
	v_addc_co_u32_e64 v13, s[48:49], v30, v13, s[48:49]
	global_store_dword v[12:13], v103, off
	s_or_b64 exec, exec, s[50:51]
	v_cmp_lt_u32_e64 s[48:49], v40, v102
	s_and_saveexec_b64 s[52:53], s[48:49]
	s_cbranch_execz .LBB605_111
.LBB605_147:                            ;   in Loop: Header=BB605_64 Depth=2
	ds_read_b32 v12, v49 offset:7168
	v_mov_b32_e32 v30, s67
	s_waitcnt lgkmcnt(0)
	v_lshrrev_b32_e32 v13, s7, v12
	v_and_b32_e32 v13, s62, v13
	v_lshlrev_b32_e32 v13, 2, v13
	ds_read_b32 v16, v13
	v_mov_b32_e32 v13, v3
	v_xor_b32_e32 v103, 0x80000000, v12
	s_waitcnt lgkmcnt(0)
	v_add_u32_e32 v12, v16, v40
	v_lshlrev_b64 v[12:13], 2, v[12:13]
	v_add_co_u32_e64 v12, s[50:51], s66, v12
	v_addc_co_u32_e64 v13, s[50:51], v30, v13, s[50:51]
	global_store_dword v[12:13], v103, off
	s_or_b64 exec, exec, s[52:53]
	v_cmp_lt_u32_e64 s[50:51], v41, v102
	s_and_saveexec_b64 s[60:61], s[50:51]
	s_cbranch_execnz .LBB605_112
	s_branch .LBB605_113
.LBB605_148:                            ;   in Loop: Header=BB605_64 Depth=2
	global_load_dwordx2 v[28:29], v[12:13], off
	s_or_b64 exec, exec, s[52:53]
	v_cmp_lt_u32_e64 s[52:53], v81, v102
	s_and_saveexec_b64 s[60:61], s[52:53]
	s_cbranch_execz .LBB605_115
.LBB605_149:                            ;   in Loop: Header=BB605_64 Depth=2
	global_load_dwordx2 v[26:27], v[12:13], off offset:512
	s_or_b64 exec, exec, s[60:61]
	v_cmp_lt_u32_e64 s[52:53], v82, v102
	s_and_saveexec_b64 s[60:61], s[52:53]
	s_cbranch_execz .LBB605_116
.LBB605_150:                            ;   in Loop: Header=BB605_64 Depth=2
	global_load_dwordx2 v[24:25], v[12:13], off offset:1024
	s_or_b64 exec, exec, s[60:61]
	v_cmp_lt_u32_e64 s[52:53], v83, v102
	s_and_saveexec_b64 s[60:61], s[52:53]
	s_cbranch_execz .LBB605_117
.LBB605_151:                            ;   in Loop: Header=BB605_64 Depth=2
	global_load_dwordx2 v[22:23], v[12:13], off offset:1536
	s_or_b64 exec, exec, s[60:61]
	v_cmp_lt_u32_e64 s[52:53], v87, v102
	s_and_saveexec_b64 s[60:61], s[52:53]
	s_cbranch_execz .LBB605_118
.LBB605_152:                            ;   in Loop: Header=BB605_64 Depth=2
	global_load_dwordx2 v[20:21], v[12:13], off offset:2048
	s_or_b64 exec, exec, s[60:61]
	v_cmp_lt_u32_e64 s[52:53], v88, v102
	s_and_saveexec_b64 s[60:61], s[52:53]
	s_cbranch_execz .LBB605_119
.LBB605_153:                            ;   in Loop: Header=BB605_64 Depth=2
	global_load_dwordx2 v[9:10], v[12:13], off offset:2560
	s_or_b64 exec, exec, s[60:61]
	v_cmp_lt_u32_e64 s[52:53], v89, v102
	s_and_saveexec_b64 s[60:61], s[52:53]
	s_cbranch_execz .LBB605_120
.LBB605_154:                            ;   in Loop: Header=BB605_64 Depth=2
	global_load_dwordx2 v[7:8], v[12:13], off offset:3072
	s_or_b64 exec, exec, s[60:61]
	v_cmp_lt_u32_e64 s[52:53], v90, v102
	s_and_saveexec_b64 s[60:61], s[52:53]
	s_cbranch_execz .LBB605_121
.LBB605_155:                            ;   in Loop: Header=BB605_64 Depth=2
	global_load_dwordx2 v[5:6], v[12:13], off offset:3584
	s_or_b64 exec, exec, s[60:61]
	s_and_saveexec_b64 s[52:53], vcc
	s_cbranch_execz .LBB605_122
.LBB605_156:                            ;   in Loop: Header=BB605_64 Depth=2
	ds_read_b32 v12, v49 offset:1024
	s_waitcnt lgkmcnt(0)
	v_lshrrev_b32_e32 v12, s7, v12
	v_and_b32_e32 v98, s62, v12
	s_or_b64 exec, exec, s[52:53]
	s_and_saveexec_b64 s[52:53], s[38:39]
	s_cbranch_execz .LBB605_123
.LBB605_157:                            ;   in Loop: Header=BB605_64 Depth=2
	ds_read_b32 v12, v49 offset:2048
	s_waitcnt lgkmcnt(0)
	v_lshrrev_b32_e32 v12, s7, v12
	v_and_b32_e32 v97, s62, v12
	s_or_b64 exec, exec, s[52:53]
	s_and_saveexec_b64 s[52:53], s[40:41]
	s_cbranch_execz .LBB605_124
.LBB605_158:                            ;   in Loop: Header=BB605_64 Depth=2
	ds_read_b32 v12, v49 offset:3072
	s_waitcnt lgkmcnt(0)
	v_lshrrev_b32_e32 v12, s7, v12
	v_and_b32_e32 v96, s62, v12
	s_or_b64 exec, exec, s[52:53]
	s_and_saveexec_b64 s[52:53], s[42:43]
	s_cbranch_execz .LBB605_125
.LBB605_159:                            ;   in Loop: Header=BB605_64 Depth=2
	ds_read_b32 v12, v49 offset:4096
	s_waitcnt lgkmcnt(0)
	v_lshrrev_b32_e32 v12, s7, v12
	v_and_b32_e32 v95, s62, v12
	s_or_b64 exec, exec, s[52:53]
	s_and_saveexec_b64 s[52:53], s[44:45]
	s_cbranch_execz .LBB605_126
.LBB605_160:                            ;   in Loop: Header=BB605_64 Depth=2
	ds_read_b32 v12, v49 offset:5120
	s_waitcnt lgkmcnt(0)
	v_lshrrev_b32_e32 v12, s7, v12
	v_and_b32_e32 v94, s62, v12
	s_or_b64 exec, exec, s[52:53]
	s_and_saveexec_b64 s[52:53], s[46:47]
	s_cbranch_execz .LBB605_127
.LBB605_161:                            ;   in Loop: Header=BB605_64 Depth=2
	ds_read_b32 v12, v49 offset:6144
	s_waitcnt lgkmcnt(0)
	v_lshrrev_b32_e32 v12, s7, v12
	v_and_b32_e32 v93, s62, v12
	s_or_b64 exec, exec, s[52:53]
	s_and_saveexec_b64 s[52:53], s[48:49]
	s_cbranch_execz .LBB605_128
.LBB605_162:                            ;   in Loop: Header=BB605_64 Depth=2
	ds_read_b32 v12, v49 offset:7168
	s_waitcnt lgkmcnt(0)
	v_lshrrev_b32_e32 v12, s7, v12
	v_and_b32_e32 v92, s62, v12
	s_or_b64 exec, exec, s[52:53]
	s_and_saveexec_b64 s[52:53], s[50:51]
	s_cbranch_execnz .LBB605_129
	s_branch .LBB605_130
.LBB605_163:                            ;   in Loop: Header=BB605_64 Depth=2
	v_lshlrev_b32_e32 v12, 2, v98
	ds_read_b32 v14, v12
	v_add_u32_e32 v12, v49, v32
	ds_read_b64 v[12:13], v12 offset:1024
	v_mov_b32_e32 v15, v3
	v_mov_b32_e32 v16, s73
	s_waitcnt lgkmcnt(1)
	v_add_u32_e32 v14, v14, v0
	v_lshlrev_b64 v[14:15], 3, v[14:15]
	v_add_co_u32_e32 v14, vcc, s72, v14
	v_addc_co_u32_e32 v15, vcc, v16, v15, vcc
	s_waitcnt lgkmcnt(0)
	global_store_dwordx2 v[14:15], v[12:13], off
	s_or_b64 exec, exec, s[52:53]
	s_and_saveexec_b64 s[52:53], s[38:39]
	s_cbranch_execz .LBB605_132
.LBB605_164:                            ;   in Loop: Header=BB605_64 Depth=2
	v_lshlrev_b32_e32 v12, 2, v97
	ds_read_b32 v14, v12
	v_add_u32_e32 v12, v49, v32
	ds_read_b64 v[12:13], v12 offset:3072
	v_mov_b32_e32 v15, v3
	v_mov_b32_e32 v16, s73
	s_waitcnt lgkmcnt(1)
	v_add_u32_e32 v14, v14, v33
	v_lshlrev_b64 v[14:15], 3, v[14:15]
	v_add_co_u32_e32 v14, vcc, s72, v14
	v_addc_co_u32_e32 v15, vcc, v16, v15, vcc
	s_waitcnt lgkmcnt(0)
	global_store_dwordx2 v[14:15], v[12:13], off
	s_or_b64 exec, exec, s[52:53]
	s_and_saveexec_b64 s[38:39], s[40:41]
	s_cbranch_execz .LBB605_133
.LBB605_165:                            ;   in Loop: Header=BB605_64 Depth=2
	v_lshlrev_b32_e32 v12, 2, v96
	ds_read_b32 v14, v12
	v_add_u32_e32 v12, v49, v32
	ds_read_b64 v[12:13], v12 offset:5120
	v_mov_b32_e32 v15, v3
	v_mov_b32_e32 v16, s73
	s_waitcnt lgkmcnt(1)
	v_add_u32_e32 v14, v14, v34
	v_lshlrev_b64 v[14:15], 3, v[14:15]
	v_add_co_u32_e32 v14, vcc, s72, v14
	v_addc_co_u32_e32 v15, vcc, v16, v15, vcc
	s_waitcnt lgkmcnt(0)
	global_store_dwordx2 v[14:15], v[12:13], off
	s_or_b64 exec, exec, s[38:39]
	s_and_saveexec_b64 s[38:39], s[42:43]
	s_cbranch_execz .LBB605_134
.LBB605_166:                            ;   in Loop: Header=BB605_64 Depth=2
	v_lshlrev_b32_e32 v12, 2, v95
	ds_read_b32 v14, v12
	v_add_u32_e32 v12, v49, v32
	ds_read_b64 v[12:13], v12 offset:7168
	v_mov_b32_e32 v15, v3
	v_mov_b32_e32 v16, s73
	s_waitcnt lgkmcnt(1)
	v_add_u32_e32 v14, v14, v35
	v_lshlrev_b64 v[14:15], 3, v[14:15]
	v_add_co_u32_e32 v14, vcc, s72, v14
	v_addc_co_u32_e32 v15, vcc, v16, v15, vcc
	s_waitcnt lgkmcnt(0)
	global_store_dwordx2 v[14:15], v[12:13], off
	s_or_b64 exec, exec, s[38:39]
	s_and_saveexec_b64 s[38:39], s[44:45]
	s_cbranch_execz .LBB605_135
.LBB605_167:                            ;   in Loop: Header=BB605_64 Depth=2
	v_lshlrev_b32_e32 v12, 2, v94
	ds_read_b32 v14, v12
	v_add_u32_e32 v12, v49, v32
	ds_read_b64 v[12:13], v12 offset:9216
	v_mov_b32_e32 v15, v3
	v_mov_b32_e32 v16, s73
	s_waitcnt lgkmcnt(1)
	v_add_u32_e32 v14, v14, v38
	v_lshlrev_b64 v[14:15], 3, v[14:15]
	v_add_co_u32_e32 v14, vcc, s72, v14
	v_addc_co_u32_e32 v15, vcc, v16, v15, vcc
	s_waitcnt lgkmcnt(0)
	global_store_dwordx2 v[14:15], v[12:13], off
	s_or_b64 exec, exec, s[38:39]
	s_and_saveexec_b64 s[38:39], s[46:47]
	s_cbranch_execz .LBB605_136
.LBB605_168:                            ;   in Loop: Header=BB605_64 Depth=2
	v_lshlrev_b32_e32 v12, 2, v93
	ds_read_b32 v14, v12
	v_add_u32_e32 v12, v49, v32
	ds_read_b64 v[12:13], v12 offset:11264
	v_mov_b32_e32 v15, v3
	v_mov_b32_e32 v16, s73
	s_waitcnt lgkmcnt(1)
	v_add_u32_e32 v14, v14, v39
	v_lshlrev_b64 v[14:15], 3, v[14:15]
	v_add_co_u32_e32 v14, vcc, s72, v14
	v_addc_co_u32_e32 v15, vcc, v16, v15, vcc
	s_waitcnt lgkmcnt(0)
	global_store_dwordx2 v[14:15], v[12:13], off
	s_or_b64 exec, exec, s[38:39]
	s_and_saveexec_b64 s[38:39], s[48:49]
	s_cbranch_execz .LBB605_137
.LBB605_169:                            ;   in Loop: Header=BB605_64 Depth=2
	v_lshlrev_b32_e32 v12, 2, v92
	ds_read_b32 v14, v12
	v_add_u32_e32 v12, v49, v32
	ds_read_b64 v[12:13], v12 offset:13312
	v_mov_b32_e32 v15, v3
	v_mov_b32_e32 v16, s73
	s_waitcnt lgkmcnt(1)
	v_add_u32_e32 v14, v14, v40
	v_lshlrev_b64 v[14:15], 3, v[14:15]
	v_add_co_u32_e32 v14, vcc, s72, v14
	v_addc_co_u32_e32 v15, vcc, v16, v15, vcc
	s_waitcnt lgkmcnt(0)
	global_store_dwordx2 v[14:15], v[12:13], off
	s_or_b64 exec, exec, s[38:39]
	s_and_saveexec_b64 s[38:39], s[50:51]
	s_cbranch_execnz .LBB605_138
	s_branch .LBB605_139
.LBB605_170:                            ;   in Loop: Header=BB605_64 Depth=2
	global_load_dword v12, v[30:31], off
	v_mov_b32_e32 v13, v11
	v_mov_b32_e32 v14, v11
	;; [unrolled: 1-line block ×7, first 2 shown]
	s_or_b64 exec, exec, s[38:39]
	v_cmp_gt_u32_e32 vcc, s70, v81
	s_and_saveexec_b64 s[38:39], vcc
	s_cbranch_execz .LBB605_69
.LBB605_171:                            ;   in Loop: Header=BB605_64 Depth=2
	global_load_dword v13, v[30:31], off offset:256
	s_or_b64 exec, exec, s[38:39]
	v_cmp_gt_u32_e32 vcc, s70, v82
	s_and_saveexec_b64 s[38:39], vcc
	s_cbranch_execz .LBB605_70
.LBB605_172:                            ;   in Loop: Header=BB605_64 Depth=2
	global_load_dword v14, v[30:31], off offset:512
	s_or_b64 exec, exec, s[38:39]
	v_cmp_gt_u32_e32 vcc, s70, v83
	s_and_saveexec_b64 s[38:39], vcc
	s_cbranch_execz .LBB605_71
.LBB605_173:                            ;   in Loop: Header=BB605_64 Depth=2
	global_load_dword v15, v[30:31], off offset:768
	s_or_b64 exec, exec, s[38:39]
	v_cmp_gt_u32_e32 vcc, s70, v87
	s_and_saveexec_b64 s[38:39], vcc
	s_cbranch_execz .LBB605_72
.LBB605_174:                            ;   in Loop: Header=BB605_64 Depth=2
	global_load_dword v16, v[30:31], off offset:1024
	s_or_b64 exec, exec, s[38:39]
	v_cmp_gt_u32_e32 vcc, s70, v88
	s_and_saveexec_b64 s[38:39], vcc
	s_cbranch_execz .LBB605_73
.LBB605_175:                            ;   in Loop: Header=BB605_64 Depth=2
	global_load_dword v17, v[30:31], off offset:1280
	s_or_b64 exec, exec, s[38:39]
	v_cmp_gt_u32_e32 vcc, s70, v89
	s_and_saveexec_b64 s[38:39], vcc
	s_cbranch_execnz .LBB605_74
	s_branch .LBB605_75
.LBB605_176:                            ;   in Loop: Header=BB605_12 Depth=1
	s_waitcnt lgkmcnt(0)
	s_barrier
	s_mov_b64 s[18:19], 0
.LBB605_177:                            ;   in Loop: Header=BB605_12 Depth=1
	s_and_b64 vcc, exec, s[18:19]
	s_cbranch_vccz .LBB605_341
; %bb.178:                              ;   in Loop: Header=BB605_12 Depth=1
	v_mov_b32_e32 v10, v3
	v_mov_b32_e32 v4, v3
	;; [unrolled: 1-line block ×8, first 2 shown]
	s_mov_b32 s22, s79
	s_mov_b32 s58, s63
	v_mov_b32_e32 v18, v9
	v_mov_b32_e32 v17, v8
	;; [unrolled: 1-line block ×7, first 2 shown]
	s_barrier
	s_branch .LBB605_180
.LBB605_179:                            ;   in Loop: Header=BB605_180 Depth=2
	s_or_b64 exec, exec, s[18:19]
	s_addk_i32 s22, 0xf800
	s_cmp_ge_u32 s23, s80
	s_mov_b32 s58, s23
	s_cbranch_scc1 .LBB605_216
.LBB605_180:                            ;   Parent Loop BB605_12 Depth=1
                                        ; =>  This Inner Loop Header: Depth=2
	s_add_i32 s23, s58, 0x800
	s_cmp_gt_u32 s23, s80
	s_mov_b64 s[18:19], -1
                                        ; implicit-def: $vgpr20_vgpr21_vgpr22_vgpr23_vgpr24_vgpr25_vgpr26_vgpr27
	s_cbranch_scc1 .LBB605_182
; %bb.181:                              ;   in Loop: Header=BB605_180 Depth=2
	s_lshl_b64 s[18:19], s[58:59], 2
	v_mov_b32_e32 v5, s19
	v_add_co_u32_e32 v4, vcc, s18, v54
	v_addc_co_u32_e32 v5, vcc, v55, v5, vcc
	v_add_co_u32_e32 v6, vcc, 0x1000, v4
	v_addc_co_u32_e32 v7, vcc, 0, v5, vcc
	global_load_dword v20, v[4:5], off
	global_load_dword v21, v[4:5], off offset:1024
	global_load_dword v22, v[4:5], off offset:2048
	;; [unrolled: 1-line block ×3, first 2 shown]
	global_load_dword v24, v[6:7], off
	global_load_dword v25, v[6:7], off offset:1024
	global_load_dword v26, v[6:7], off offset:2048
	;; [unrolled: 1-line block ×3, first 2 shown]
	s_mov_b64 s[18:19], 0
.LBB605_182:                            ;   in Loop: Header=BB605_180 Depth=2
	s_andn2_b64 vcc, exec, s[18:19]
	s_movk_i32 s20, 0x800
	s_cbranch_vccnz .LBB605_193
; %bb.183:                              ;   in Loop: Header=BB605_180 Depth=2
	s_lshl_b64 s[18:19], s[58:59], 2
	s_add_u32 s18, s66, s18
	s_addc_u32 s19, s67, s19
	v_cmp_gt_u32_e32 vcc, s22, v0
	s_and_saveexec_b64 s[20:21], vcc
	s_cbranch_execnz .LBB605_209
; %bb.184:                              ;   in Loop: Header=BB605_180 Depth=2
	s_or_b64 exec, exec, s[20:21]
	v_cmp_gt_u32_e32 vcc, s22, v33
	s_and_saveexec_b64 s[20:21], vcc
	s_cbranch_execnz .LBB605_210
.LBB605_185:                            ;   in Loop: Header=BB605_180 Depth=2
	s_or_b64 exec, exec, s[20:21]
	v_cmp_gt_u32_e32 vcc, s22, v34
	s_and_saveexec_b64 s[20:21], vcc
	s_cbranch_execnz .LBB605_211
.LBB605_186:                            ;   in Loop: Header=BB605_180 Depth=2
	s_or_b64 exec, exec, s[20:21]
	v_cmp_gt_u32_e32 vcc, s22, v35
	s_and_saveexec_b64 s[20:21], vcc
	s_cbranch_execnz .LBB605_212
.LBB605_187:                            ;   in Loop: Header=BB605_180 Depth=2
	s_or_b64 exec, exec, s[20:21]
	v_cmp_gt_u32_e32 vcc, s22, v38
	s_and_saveexec_b64 s[20:21], vcc
	s_cbranch_execnz .LBB605_213
.LBB605_188:                            ;   in Loop: Header=BB605_180 Depth=2
	s_or_b64 exec, exec, s[20:21]
	v_cmp_gt_u32_e32 vcc, s22, v39
	s_and_saveexec_b64 s[20:21], vcc
	s_cbranch_execnz .LBB605_214
.LBB605_189:                            ;   in Loop: Header=BB605_180 Depth=2
	s_or_b64 exec, exec, s[20:21]
	v_cmp_gt_u32_e32 vcc, s22, v40
	s_and_saveexec_b64 s[20:21], vcc
	s_cbranch_execnz .LBB605_215
.LBB605_190:                            ;   in Loop: Header=BB605_180 Depth=2
	s_or_b64 exec, exec, s[20:21]
	v_cmp_gt_u32_e32 vcc, s22, v41
	s_and_saveexec_b64 s[20:21], vcc
	s_cbranch_execz .LBB605_192
.LBB605_191:                            ;   in Loop: Header=BB605_180 Depth=2
	global_load_dword v19, v71, s[18:19]
.LBB605_192:                            ;   in Loop: Header=BB605_180 Depth=2
	s_or_b64 exec, exec, s[20:21]
	s_waitcnt vmcnt(0)
	v_mov_b32_e32 v27, v19
	s_mov_b32 s20, s22
	v_mov_b32_e32 v26, v18
	v_mov_b32_e32 v25, v17
	;; [unrolled: 1-line block ×7, first 2 shown]
.LBB605_193:                            ;   in Loop: Header=BB605_180 Depth=2
	s_waitcnt vmcnt(0)
	v_mov_b32_e32 v12, v20
	v_mov_b32_e32 v13, v21
	;; [unrolled: 1-line block ×8, first 2 shown]
	v_cmp_gt_u32_e32 vcc, s20, v0
	s_and_saveexec_b64 s[18:19], vcc
	s_cbranch_execnz .LBB605_201
; %bb.194:                              ;   in Loop: Header=BB605_180 Depth=2
	s_or_b64 exec, exec, s[18:19]
	v_cmp_gt_u32_e32 vcc, s20, v33
	s_and_saveexec_b64 s[18:19], vcc
	s_cbranch_execnz .LBB605_202
.LBB605_195:                            ;   in Loop: Header=BB605_180 Depth=2
	s_or_b64 exec, exec, s[18:19]
	v_cmp_gt_u32_e32 vcc, s20, v34
	s_and_saveexec_b64 s[18:19], vcc
	s_cbranch_execnz .LBB605_203
.LBB605_196:                            ;   in Loop: Header=BB605_180 Depth=2
	s_or_b64 exec, exec, s[18:19]
	v_cmp_gt_u32_e32 vcc, s20, v35
	s_and_saveexec_b64 s[18:19], vcc
	s_cbranch_execnz .LBB605_204
.LBB605_197:                            ;   in Loop: Header=BB605_180 Depth=2
	s_or_b64 exec, exec, s[18:19]
	v_cmp_gt_u32_e32 vcc, s20, v38
	s_and_saveexec_b64 s[18:19], vcc
	s_cbranch_execnz .LBB605_205
.LBB605_198:                            ;   in Loop: Header=BB605_180 Depth=2
	s_or_b64 exec, exec, s[18:19]
	v_cmp_gt_u32_e32 vcc, s20, v39
	s_and_saveexec_b64 s[18:19], vcc
	s_cbranch_execnz .LBB605_206
.LBB605_199:                            ;   in Loop: Header=BB605_180 Depth=2
	s_or_b64 exec, exec, s[18:19]
	v_cmp_gt_u32_e32 vcc, s20, v40
	s_and_saveexec_b64 s[18:19], vcc
	s_cbranch_execnz .LBB605_207
.LBB605_200:                            ;   in Loop: Header=BB605_180 Depth=2
	s_or_b64 exec, exec, s[18:19]
	v_cmp_gt_u32_e32 vcc, s20, v41
	s_and_saveexec_b64 s[18:19], vcc
	s_cbranch_execz .LBB605_179
	s_branch .LBB605_208
.LBB605_201:                            ;   in Loop: Header=BB605_180 Depth=2
	v_xor_b32_e32 v4, 0x80000000, v12
	v_lshrrev_b32_e32 v4, s7, v4
	v_and_b32_e32 v4, s62, v4
	v_lshl_or_b32 v4, v4, 4, v42
	ds_add_u32 v4, v66
	s_or_b64 exec, exec, s[18:19]
	v_cmp_gt_u32_e32 vcc, s20, v33
	s_and_saveexec_b64 s[18:19], vcc
	s_cbranch_execz .LBB605_195
.LBB605_202:                            ;   in Loop: Header=BB605_180 Depth=2
	v_xor_b32_e32 v4, 0x80000000, v13
	v_lshrrev_b32_e32 v4, s7, v4
	v_and_b32_e32 v4, s62, v4
	v_lshl_or_b32 v4, v4, 4, v42
	ds_add_u32 v4, v66
	s_or_b64 exec, exec, s[18:19]
	v_cmp_gt_u32_e32 vcc, s20, v34
	s_and_saveexec_b64 s[18:19], vcc
	s_cbranch_execz .LBB605_196
.LBB605_203:                            ;   in Loop: Header=BB605_180 Depth=2
	v_xor_b32_e32 v4, 0x80000000, v14
	v_lshrrev_b32_e32 v4, s7, v4
	v_and_b32_e32 v4, s62, v4
	v_lshl_or_b32 v4, v4, 4, v42
	ds_add_u32 v4, v66
	s_or_b64 exec, exec, s[18:19]
	v_cmp_gt_u32_e32 vcc, s20, v35
	s_and_saveexec_b64 s[18:19], vcc
	s_cbranch_execz .LBB605_197
.LBB605_204:                            ;   in Loop: Header=BB605_180 Depth=2
	v_xor_b32_e32 v4, 0x80000000, v15
	v_lshrrev_b32_e32 v4, s7, v4
	v_and_b32_e32 v4, s62, v4
	v_lshl_or_b32 v4, v4, 4, v42
	ds_add_u32 v4, v66
	s_or_b64 exec, exec, s[18:19]
	v_cmp_gt_u32_e32 vcc, s20, v38
	s_and_saveexec_b64 s[18:19], vcc
	s_cbranch_execz .LBB605_198
.LBB605_205:                            ;   in Loop: Header=BB605_180 Depth=2
	v_xor_b32_e32 v4, 0x80000000, v16
	v_lshrrev_b32_e32 v4, s7, v4
	v_and_b32_e32 v4, s62, v4
	v_lshl_or_b32 v4, v4, 4, v42
	ds_add_u32 v4, v66
	s_or_b64 exec, exec, s[18:19]
	v_cmp_gt_u32_e32 vcc, s20, v39
	s_and_saveexec_b64 s[18:19], vcc
	s_cbranch_execz .LBB605_199
.LBB605_206:                            ;   in Loop: Header=BB605_180 Depth=2
	v_xor_b32_e32 v4, 0x80000000, v17
	v_lshrrev_b32_e32 v4, s7, v4
	v_and_b32_e32 v4, s62, v4
	v_lshl_or_b32 v4, v4, 4, v42
	ds_add_u32 v4, v66
	s_or_b64 exec, exec, s[18:19]
	v_cmp_gt_u32_e32 vcc, s20, v40
	s_and_saveexec_b64 s[18:19], vcc
	s_cbranch_execz .LBB605_200
.LBB605_207:                            ;   in Loop: Header=BB605_180 Depth=2
	v_xor_b32_e32 v4, 0x80000000, v18
	v_lshrrev_b32_e32 v4, s7, v4
	v_and_b32_e32 v4, s62, v4
	v_lshl_or_b32 v4, v4, 4, v42
	ds_add_u32 v4, v66
	s_or_b64 exec, exec, s[18:19]
	v_cmp_gt_u32_e32 vcc, s20, v41
	s_and_saveexec_b64 s[18:19], vcc
	s_cbranch_execz .LBB605_179
.LBB605_208:                            ;   in Loop: Header=BB605_180 Depth=2
	v_xor_b32_e32 v4, 0x80000000, v19
	v_lshrrev_b32_e32 v4, s7, v4
	v_and_b32_e32 v4, s62, v4
	v_lshl_or_b32 v4, v4, 4, v42
	ds_add_u32 v4, v66
	s_branch .LBB605_179
.LBB605_209:                            ;   in Loop: Header=BB605_180 Depth=2
	global_load_dword v12, v67, s[18:19]
	s_or_b64 exec, exec, s[20:21]
	v_cmp_gt_u32_e32 vcc, s22, v33
	s_and_saveexec_b64 s[20:21], vcc
	s_cbranch_execz .LBB605_185
.LBB605_210:                            ;   in Loop: Header=BB605_180 Depth=2
	global_load_dword v13, v67, s[18:19] offset:1024
	s_or_b64 exec, exec, s[20:21]
	v_cmp_gt_u32_e32 vcc, s22, v34
	s_and_saveexec_b64 s[20:21], vcc
	s_cbranch_execz .LBB605_186
.LBB605_211:                            ;   in Loop: Header=BB605_180 Depth=2
	global_load_dword v14, v67, s[18:19] offset:2048
	s_or_b64 exec, exec, s[20:21]
	v_cmp_gt_u32_e32 vcc, s22, v35
	s_and_saveexec_b64 s[20:21], vcc
	s_cbranch_execz .LBB605_187
.LBB605_212:                            ;   in Loop: Header=BB605_180 Depth=2
	global_load_dword v15, v67, s[18:19] offset:3072
	s_or_b64 exec, exec, s[20:21]
	v_cmp_gt_u32_e32 vcc, s22, v38
	s_and_saveexec_b64 s[20:21], vcc
	s_cbranch_execz .LBB605_188
.LBB605_213:                            ;   in Loop: Header=BB605_180 Depth=2
	global_load_dword v16, v68, s[18:19]
	s_or_b64 exec, exec, s[20:21]
	v_cmp_gt_u32_e32 vcc, s22, v39
	s_and_saveexec_b64 s[20:21], vcc
	s_cbranch_execz .LBB605_189
.LBB605_214:                            ;   in Loop: Header=BB605_180 Depth=2
	global_load_dword v17, v69, s[18:19]
	s_or_b64 exec, exec, s[20:21]
	v_cmp_gt_u32_e32 vcc, s22, v40
	s_and_saveexec_b64 s[20:21], vcc
	s_cbranch_execz .LBB605_190
.LBB605_215:                            ;   in Loop: Header=BB605_180 Depth=2
	global_load_dword v18, v70, s[18:19]
	s_or_b64 exec, exec, s[20:21]
	v_cmp_gt_u32_e32 vcc, s22, v41
	s_and_saveexec_b64 s[20:21], vcc
	s_cbranch_execnz .LBB605_191
	s_branch .LBB605_192
.LBB605_216:                            ;   in Loop: Header=BB605_12 Depth=1
	v_mov_b32_e32 v4, 0
	s_waitcnt lgkmcnt(0)
	s_barrier
	s_and_saveexec_b64 s[18:19], s[4:5]
	s_cbranch_execz .LBB605_218
; %bb.217:                              ;   in Loop: Header=BB605_12 Depth=1
	ds_read2_b64 v[4:7], v43 offset1:1
	s_waitcnt lgkmcnt(0)
	v_add_u32_e32 v4, v5, v4
	v_add3_u32 v4, v4, v6, v7
.LBB605_218:                            ;   in Loop: Header=BB605_12 Depth=1
	s_or_b64 exec, exec, s[18:19]
	s_nop 0
	v_mov_b32_dpp v5, v4 row_shr:1 row_mask:0xf bank_mask:0xf
	v_cmp_eq_u32_e64 s[18:19], 0, v73
	v_cndmask_b32_e64 v5, v5, 0, s[18:19]
	v_add_u32_e32 v4, v5, v4
	v_cmp_lt_u32_e64 s[20:21], 1, v73
	v_cmp_lt_u32_e64 s[22:23], 3, v73
	v_mov_b32_dpp v5, v4 row_shr:2 row_mask:0xf bank_mask:0xf
	v_cndmask_b32_e64 v5, 0, v5, s[20:21]
	v_add_u32_e32 v4, v4, v5
	v_cmp_lt_u32_e64 s[24:25], 7, v73
	v_cmp_lt_u32_e64 s[28:29], 31, v72
	v_mov_b32_dpp v5, v4 row_shr:4 row_mask:0xf bank_mask:0xf
	v_cndmask_b32_e64 v5, 0, v5, s[22:23]
	v_add_u32_e32 v4, v4, v5
	v_cmp_eq_u32_e64 s[26:27], 0, v75
	s_nop 0
	v_mov_b32_dpp v5, v4 row_shr:8 row_mask:0xf bank_mask:0xf
	v_cndmask_b32_e64 v5, 0, v5, s[24:25]
	v_add_u32_e32 v4, v4, v5
	s_nop 1
	v_mov_b32_dpp v5, v4 row_bcast:15 row_mask:0xf bank_mask:0xf
	v_and_b32_e32 v5, v74, v5
	v_add_u32_e32 v4, v4, v5
	s_nop 1
	v_mov_b32_dpp v5, v4 row_bcast:31 row_mask:0xf bank_mask:0xf
	v_cndmask_b32_e64 v5, 0, v5, s[28:29]
	v_add_u32_e32 v4, v4, v5
	s_and_saveexec_b64 s[30:31], s[8:9]
; %bb.219:                              ;   in Loop: Header=BB605_12 Depth=1
	ds_write_b32 v45, v4
; %bb.220:                              ;   in Loop: Header=BB605_12 Depth=1
	s_or_b64 exec, exec, s[30:31]
	s_waitcnt lgkmcnt(0)
	s_barrier
	s_and_saveexec_b64 s[30:31], s[10:11]
	s_cbranch_execz .LBB605_222
; %bb.221:                              ;   in Loop: Header=BB605_12 Depth=1
	ds_read_b32 v5, v46
	v_cmp_ne_u32_e32 vcc, 0, v76
	s_waitcnt lgkmcnt(0)
	v_mov_b32_dpp v6, v5 row_shr:1 row_mask:0xf bank_mask:0xf
	v_cndmask_b32_e32 v6, 0, v6, vcc
	v_add_u32_e32 v5, v6, v5
	v_cmp_lt_u32_e32 vcc, 1, v76
	s_nop 0
	v_mov_b32_dpp v6, v5 row_shr:2 row_mask:0xf bank_mask:0xf
	v_cndmask_b32_e32 v6, 0, v6, vcc
	v_add_u32_e32 v5, v5, v6
	ds_write_b32 v46, v5
.LBB605_222:                            ;   in Loop: Header=BB605_12 Depth=1
	s_or_b64 exec, exec, s[30:31]
	v_mov_b32_e32 v5, 0
	s_waitcnt lgkmcnt(0)
	s_barrier
	s_and_saveexec_b64 s[30:31], s[12:13]
; %bb.223:                              ;   in Loop: Header=BB605_12 Depth=1
	ds_read_b32 v5, v47
; %bb.224:                              ;   in Loop: Header=BB605_12 Depth=1
	s_or_b64 exec, exec, s[30:31]
	v_subrev_co_u32_e64 v6, s[30:31], 1, v72
	v_cmp_lt_i32_e32 vcc, v6, v77
	v_cndmask_b32_e32 v6, v6, v72, vcc
	s_waitcnt lgkmcnt(0)
	v_add_u32_e32 v4, v5, v4
	v_lshlrev_b32_e32 v84, 2, v6
	ds_bpermute_b32 v4, v84, v4
	s_waitcnt lgkmcnt(0)
	s_barrier
	s_and_saveexec_b64 s[34:35], s[4:5]
; %bb.225:                              ;   in Loop: Header=BB605_12 Depth=1
	v_cndmask_b32_e64 v4, v4, v5, s[30:31]
	v_add_u32_e32 v4, s63, v4
	ds_write_b32 v32, v4
; %bb.226:                              ;   in Loop: Header=BB605_12 Depth=1
	s_or_b64 exec, exec, s[34:35]
	s_load_dwordx2 s[34:35], s[56:57], 0x0
	v_add_co_u32_e32 v85, vcc, v56, v79
	v_addc_co_u32_e32 v86, vcc, 0, v57, vcc
	s_waitcnt lgkmcnt(0)
	s_cmp_lt_u32 s33, s35
	s_cselect_b32 s35, 14, 20
	s_add_u32 s36, s56, s35
	s_addc_u32 s37, s57, 0
	s_cmp_lt_u32 s6, s34
	s_cselect_b32 s34, 12, 18
	s_add_u32 s34, s56, s34
	global_load_ushort v4, v3, s[36:37]
	s_addc_u32 s35, s57, 0
	global_load_ushort v12, v3, s[34:35]
	v_lshlrev_b32_e32 v14, 2, v78
	v_add_co_u32_e32 v98, vcc, v58, v14
	v_cmp_eq_u32_e64 s[34:35], 0, v76
	v_cmp_lt_u32_e64 s[36:37], 1, v76
	v_or_b32_e32 v87, 0x100, v80
	v_or_b32_e32 v88, 0x140, v80
	;; [unrolled: 1-line block ×4, first 2 shown]
	s_mov_b32 s70, s79
	v_addc_co_u32_e32 v100, vcc, 0, v59, vcc
	s_mov_b32 s58, s63
                                        ; implicit-def: $vgpr5_vgpr6
                                        ; implicit-def: $vgpr7_vgpr8
                                        ; implicit-def: $vgpr9_vgpr10
                                        ; implicit-def: $vgpr20_vgpr21
                                        ; implicit-def: $vgpr22_vgpr23
                                        ; implicit-def: $vgpr24_vgpr25
                                        ; implicit-def: $vgpr26_vgpr27
                                        ; implicit-def: $vgpr28_vgpr29
                                        ; implicit-def: $vgpr91
                                        ; implicit-def: $vgpr92
                                        ; implicit-def: $vgpr93
                                        ; implicit-def: $vgpr94
                                        ; implicit-def: $vgpr95
                                        ; implicit-def: $vgpr96
                                        ; implicit-def: $vgpr97
                                        ; implicit-def: $vgpr99
	s_waitcnt vmcnt(1)
	v_mad_u32_u24 v4, v2, v4, v1
	s_waitcnt vmcnt(0)
	v_mad_u64_u32 v[12:13], s[38:39], v4, v12, v[0:1]
	v_lshrrev_b32_e32 v4, 4, v12
	v_and_b32_e32 v101, 0xffffffc, v4
	s_branch .LBB605_228
.LBB605_227:                            ;   in Loop: Header=BB605_228 Depth=2
	s_or_b64 exec, exec, s[38:39]
	s_addk_i32 s70, 0xf800
	s_cmp_lt_u32 s71, s80
	s_mov_b32 s58, s71
	s_cbranch_scc0 .LBB605_340
.LBB605_228:                            ;   Parent Loop BB605_12 Depth=1
                                        ; =>  This Inner Loop Header: Depth=2
	s_add_i32 s71, s58, 0x800
	s_cmp_gt_u32 s71, s80
	s_cbranch_scc1 .LBB605_230
; %bb.229:                              ;   in Loop: Header=BB605_228 Depth=2
	s_lshl_b64 s[38:39], s[58:59], 2
	v_mov_b32_e32 v4, s39
	v_add_co_u32_e32 v18, vcc, s38, v98
	v_addc_co_u32_e32 v19, vcc, v100, v4, vcc
	global_load_dword v12, v[18:19], off
	global_load_dword v13, v[18:19], off offset:256
	global_load_dword v14, v[18:19], off offset:512
	;; [unrolled: 1-line block ×5, first 2 shown]
	s_nop 0
	global_load_dword v18, v[18:19], off offset:1536
	s_mov_b64 s[38:39], -1
	s_movk_i32 s42, 0x800
	s_cbranch_execz .LBB605_231
	s_branch .LBB605_240
.LBB605_230:                            ;   in Loop: Header=BB605_228 Depth=2
	s_mov_b64 s[38:39], 0
                                        ; implicit-def: $vgpr12_vgpr13_vgpr14_vgpr15_vgpr16_vgpr17_vgpr18_vgpr19
	s_movk_i32 s42, 0x800
.LBB605_231:                            ;   in Loop: Header=BB605_228 Depth=2
	s_lshl_b64 s[38:39], s[58:59], 2
	v_mov_b32_e32 v4, s39
	v_add_co_u32_e32 v30, vcc, s38, v98
	s_waitcnt vmcnt(6)
	v_mov_b32_e32 v12, v11
	s_waitcnt vmcnt(5)
	v_mov_b32_e32 v13, v11
	;; [unrolled: 2-line block ×7, first 2 shown]
	v_addc_co_u32_e32 v31, vcc, v100, v4, vcc
	v_mov_b32_e32 v19, v18
	v_cmp_gt_u32_e32 vcc, s70, v80
	v_mov_b32_e32 v18, v17
	v_mov_b32_e32 v17, v16
	v_mov_b32_e32 v16, v15
	v_mov_b32_e32 v15, v14
	v_mov_b32_e32 v14, v13
	v_mov_b32_e32 v13, v12
	v_mov_b32_e32 v12, v11
	s_and_saveexec_b64 s[38:39], vcc
	s_cbranch_execnz .LBB605_334
; %bb.232:                              ;   in Loop: Header=BB605_228 Depth=2
	s_or_b64 exec, exec, s[38:39]
	v_cmp_gt_u32_e32 vcc, s70, v81
	s_and_saveexec_b64 s[38:39], vcc
	s_cbranch_execnz .LBB605_335
.LBB605_233:                            ;   in Loop: Header=BB605_228 Depth=2
	s_or_b64 exec, exec, s[38:39]
	v_cmp_gt_u32_e32 vcc, s70, v82
	s_and_saveexec_b64 s[38:39], vcc
	s_cbranch_execnz .LBB605_336
.LBB605_234:                            ;   in Loop: Header=BB605_228 Depth=2
	s_or_b64 exec, exec, s[38:39]
	v_cmp_gt_u32_e32 vcc, s70, v83
	s_and_saveexec_b64 s[38:39], vcc
	s_cbranch_execnz .LBB605_337
.LBB605_235:                            ;   in Loop: Header=BB605_228 Depth=2
	s_or_b64 exec, exec, s[38:39]
	v_cmp_gt_u32_e32 vcc, s70, v87
	s_and_saveexec_b64 s[38:39], vcc
	s_cbranch_execnz .LBB605_338
.LBB605_236:                            ;   in Loop: Header=BB605_228 Depth=2
	s_or_b64 exec, exec, s[38:39]
	v_cmp_gt_u32_e32 vcc, s70, v88
	s_and_saveexec_b64 s[38:39], vcc
	s_cbranch_execnz .LBB605_339
.LBB605_237:                            ;   in Loop: Header=BB605_228 Depth=2
	s_or_b64 exec, exec, s[38:39]
	v_cmp_gt_u32_e32 vcc, s70, v89
	s_and_saveexec_b64 s[38:39], vcc
	s_cbranch_execz .LBB605_239
.LBB605_238:                            ;   in Loop: Header=BB605_228 Depth=2
	global_load_dword v18, v[30:31], off offset:1536
.LBB605_239:                            ;   in Loop: Header=BB605_228 Depth=2
	s_or_b64 exec, exec, s[38:39]
	s_sub_i32 s42, s80, s58
	v_cmp_gt_u32_e64 s[38:39], s70, v90
.LBB605_240:                            ;   in Loop: Header=BB605_228 Depth=2
	v_mov_b32_e32 v102, s70
	s_and_saveexec_b64 s[40:41], s[38:39]
	s_cbranch_execz .LBB605_242
; %bb.241:                              ;   in Loop: Header=BB605_228 Depth=2
	s_lshl_b64 s[38:39], s[58:59], 2
	v_mov_b32_e32 v4, s39
	v_add_co_u32_e32 v30, vcc, s38, v98
	v_addc_co_u32_e32 v31, vcc, v100, v4, vcc
	global_load_dword v19, v[30:31], off offset:1792
	v_mov_b32_e32 v102, s42
.LBB605_242:                            ;   in Loop: Header=BB605_228 Depth=2
	s_or_b64 exec, exec, s[40:41]
	s_waitcnt vmcnt(0)
	v_xor_b32_e32 v103, 0x80000000, v12
	v_lshrrev_b32_e32 v4, s7, v103
	v_and_b32_e32 v12, s62, v4
	v_and_b32_e32 v4, 1, v12
	v_add_co_u32_e32 v30, vcc, -1, v4
	v_addc_co_u32_e64 v31, s[38:39], 0, -1, vcc
	v_cmp_ne_u32_e32 vcc, 0, v4
	v_xor_b32_e32 v4, vcc_hi, v31
	v_and_b32_e32 v31, exec_hi, v4
	v_lshlrev_b32_e32 v4, 30, v12
	v_xor_b32_e32 v30, vcc_lo, v30
	v_cmp_gt_i64_e32 vcc, 0, v[3:4]
	v_not_b32_e32 v4, v4
	v_ashrrev_i32_e32 v4, 31, v4
	v_and_b32_e32 v30, exec_lo, v30
	v_xor_b32_e32 v106, vcc_hi, v4
	v_xor_b32_e32 v4, vcc_lo, v4
	v_and_b32_e32 v30, v30, v4
	v_lshlrev_b32_e32 v4, 29, v12
	v_cmp_gt_i64_e32 vcc, 0, v[3:4]
	v_not_b32_e32 v4, v4
	v_ashrrev_i32_e32 v4, 31, v4
	v_and_b32_e32 v31, v31, v106
	v_xor_b32_e32 v106, vcc_hi, v4
	v_xor_b32_e32 v4, vcc_lo, v4
	v_and_b32_e32 v30, v30, v4
	v_lshlrev_b32_e32 v4, 28, v12
	v_cmp_gt_i64_e32 vcc, 0, v[3:4]
	v_not_b32_e32 v4, v4
	v_ashrrev_i32_e32 v4, 31, v4
	v_and_b32_e32 v31, v31, v106
	;; [unrolled: 8-line block ×5, first 2 shown]
	v_xor_b32_e32 v106, vcc_hi, v4
	v_xor_b32_e32 v4, vcc_lo, v4
	v_and_b32_e32 v30, v30, v4
	v_lshlrev_b32_e32 v4, 24, v12
	v_cmp_gt_i64_e32 vcc, 0, v[3:4]
	v_not_b32_e32 v4, v4
	v_ashrrev_i32_e32 v4, 31, v4
	v_mul_u32_u24_e32 v107, 20, v12
	v_xor_b32_e32 v12, vcc_hi, v4
	v_xor_b32_e32 v4, vcc_lo, v4
	v_and_b32_e32 v31, v31, v106
	v_and_b32_e32 v30, v30, v4
	;; [unrolled: 1-line block ×3, first 2 shown]
	v_mbcnt_lo_u32_b32 v4, v30, 0
	v_mbcnt_hi_u32_b32 v106, v31, v4
	v_cmp_ne_u64_e32 vcc, 0, v[30:31]
	v_cmp_eq_u32_e64 s[38:39], 0, v106
	v_add_u32_e32 v105, 0x410, v48
	v_add_u32_e32 v104, 0x418, v48
	s_and_b64 s[40:41], vcc, s[38:39]
	v_add_u32_e32 v107, v101, v107
	ds_write2_b32 v105, v3, v3 offset1:1
	ds_write2_b32 v104, v3, v3 offset1:1
	ds_write_b32 v48, v3 offset:1056
	s_waitcnt lgkmcnt(0)
	s_barrier
	; wave barrier
	s_and_saveexec_b64 s[38:39], s[40:41]
; %bb.243:                              ;   in Loop: Header=BB605_228 Depth=2
	v_bcnt_u32_b32 v4, v30, 0
	v_bcnt_u32_b32 v4, v31, v4
	ds_write_b32 v107, v4 offset:1040
; %bb.244:                              ;   in Loop: Header=BB605_228 Depth=2
	s_or_b64 exec, exec, s[38:39]
	v_xor_b32_e32 v30, 0x80000000, v13
	v_lshrrev_b32_e32 v4, s7, v30
	v_and_b32_e32 v12, s62, v4
	v_mad_u32_u24 v4, v12, 20, v101
	; wave barrier
	ds_read_b32 v31, v4 offset:1040
	v_and_b32_e32 v4, 1, v12
	v_add_co_u32_e32 v13, vcc, -1, v4
	v_addc_co_u32_e64 v108, s[38:39], 0, -1, vcc
	v_cmp_ne_u32_e32 vcc, 0, v4
	v_xor_b32_e32 v4, vcc_hi, v108
	v_and_b32_e32 v108, exec_hi, v4
	v_lshlrev_b32_e32 v4, 30, v12
	v_xor_b32_e32 v13, vcc_lo, v13
	v_cmp_gt_i64_e32 vcc, 0, v[3:4]
	v_not_b32_e32 v4, v4
	v_ashrrev_i32_e32 v4, 31, v4
	v_and_b32_e32 v13, exec_lo, v13
	v_xor_b32_e32 v110, vcc_hi, v4
	v_xor_b32_e32 v4, vcc_lo, v4
	v_and_b32_e32 v13, v13, v4
	v_lshlrev_b32_e32 v4, 29, v12
	v_cmp_gt_i64_e32 vcc, 0, v[3:4]
	v_not_b32_e32 v4, v4
	v_ashrrev_i32_e32 v4, 31, v4
	v_and_b32_e32 v108, v108, v110
	v_xor_b32_e32 v110, vcc_hi, v4
	v_xor_b32_e32 v4, vcc_lo, v4
	v_and_b32_e32 v13, v13, v4
	v_lshlrev_b32_e32 v4, 28, v12
	v_cmp_gt_i64_e32 vcc, 0, v[3:4]
	v_not_b32_e32 v4, v4
	v_ashrrev_i32_e32 v4, 31, v4
	v_and_b32_e32 v108, v108, v110
	;; [unrolled: 8-line block ×5, first 2 shown]
	v_xor_b32_e32 v110, vcc_hi, v4
	v_xor_b32_e32 v4, vcc_lo, v4
	v_and_b32_e32 v108, v108, v110
	v_and_b32_e32 v110, v13, v4
	v_lshlrev_b32_e32 v4, 24, v12
	v_cmp_gt_i64_e32 vcc, 0, v[3:4]
	v_not_b32_e32 v4, v4
	v_ashrrev_i32_e32 v4, 31, v4
	v_mul_u32_u24_e32 v109, 20, v12
	v_xor_b32_e32 v12, vcc_hi, v4
	v_xor_b32_e32 v4, vcc_lo, v4
	v_and_b32_e32 v13, v108, v12
	v_and_b32_e32 v12, v110, v4
	v_mbcnt_lo_u32_b32 v4, v12, 0
	v_mbcnt_hi_u32_b32 v108, v13, v4
	v_cmp_ne_u64_e32 vcc, 0, v[12:13]
	v_cmp_eq_u32_e64 s[38:39], 0, v108
	s_and_b64 s[40:41], vcc, s[38:39]
	v_add_u32_e32 v111, v101, v109
	; wave barrier
	s_and_saveexec_b64 s[38:39], s[40:41]
	s_cbranch_execz .LBB605_246
; %bb.245:                              ;   in Loop: Header=BB605_228 Depth=2
	v_bcnt_u32_b32 v4, v12, 0
	v_bcnt_u32_b32 v4, v13, v4
	s_waitcnt lgkmcnt(0)
	v_add_u32_e32 v4, v31, v4
	ds_write_b32 v111, v4 offset:1040
.LBB605_246:                            ;   in Loop: Header=BB605_228 Depth=2
	s_or_b64 exec, exec, s[38:39]
	v_xor_b32_e32 v109, 0x80000000, v14
	v_lshrrev_b32_e32 v4, s7, v109
	v_and_b32_e32 v12, s62, v4
	v_mad_u32_u24 v4, v12, 20, v101
	; wave barrier
	ds_read_b32 v110, v4 offset:1040
	v_and_b32_e32 v4, 1, v12
	v_add_co_u32_e32 v13, vcc, -1, v4
	v_addc_co_u32_e64 v112, s[38:39], 0, -1, vcc
	v_cmp_ne_u32_e32 vcc, 0, v4
	v_xor_b32_e32 v4, vcc_hi, v112
	v_and_b32_e32 v112, exec_hi, v4
	v_lshlrev_b32_e32 v4, 30, v12
	v_xor_b32_e32 v13, vcc_lo, v13
	v_cmp_gt_i64_e32 vcc, 0, v[3:4]
	v_not_b32_e32 v4, v4
	v_ashrrev_i32_e32 v4, 31, v4
	v_and_b32_e32 v13, exec_lo, v13
	v_xor_b32_e32 v113, vcc_hi, v4
	v_xor_b32_e32 v4, vcc_lo, v4
	v_and_b32_e32 v13, v13, v4
	v_lshlrev_b32_e32 v4, 29, v12
	v_cmp_gt_i64_e32 vcc, 0, v[3:4]
	v_not_b32_e32 v4, v4
	v_ashrrev_i32_e32 v4, 31, v4
	v_and_b32_e32 v112, v112, v113
	v_xor_b32_e32 v113, vcc_hi, v4
	v_xor_b32_e32 v4, vcc_lo, v4
	v_and_b32_e32 v13, v13, v4
	v_lshlrev_b32_e32 v4, 28, v12
	v_cmp_gt_i64_e32 vcc, 0, v[3:4]
	v_not_b32_e32 v4, v4
	v_ashrrev_i32_e32 v4, 31, v4
	v_and_b32_e32 v112, v112, v113
	;; [unrolled: 8-line block ×5, first 2 shown]
	v_xor_b32_e32 v113, vcc_hi, v4
	v_xor_b32_e32 v4, vcc_lo, v4
	v_and_b32_e32 v112, v112, v113
	v_and_b32_e32 v113, v13, v4
	v_lshlrev_b32_e32 v4, 24, v12
	v_cmp_gt_i64_e32 vcc, 0, v[3:4]
	v_not_b32_e32 v4, v4
	v_ashrrev_i32_e32 v4, 31, v4
	v_mul_u32_u24_e32 v14, 20, v12
	v_xor_b32_e32 v12, vcc_hi, v4
	v_xor_b32_e32 v4, vcc_lo, v4
	v_and_b32_e32 v13, v112, v12
	v_and_b32_e32 v12, v113, v4
	v_mbcnt_lo_u32_b32 v4, v12, 0
	v_mbcnt_hi_u32_b32 v112, v13, v4
	v_cmp_ne_u64_e32 vcc, 0, v[12:13]
	v_cmp_eq_u32_e64 s[38:39], 0, v112
	s_and_b64 s[40:41], vcc, s[38:39]
	v_add_u32_e32 v115, v101, v14
	; wave barrier
	s_and_saveexec_b64 s[38:39], s[40:41]
	s_cbranch_execz .LBB605_248
; %bb.247:                              ;   in Loop: Header=BB605_228 Depth=2
	v_bcnt_u32_b32 v4, v12, 0
	v_bcnt_u32_b32 v4, v13, v4
	s_waitcnt lgkmcnt(0)
	v_add_u32_e32 v4, v110, v4
	ds_write_b32 v115, v4 offset:1040
.LBB605_248:                            ;   in Loop: Header=BB605_228 Depth=2
	s_or_b64 exec, exec, s[38:39]
	v_xor_b32_e32 v113, 0x80000000, v15
	v_lshrrev_b32_e32 v4, s7, v113
	v_and_b32_e32 v12, s62, v4
	v_mad_u32_u24 v4, v12, 20, v101
	; wave barrier
	ds_read_b32 v114, v4 offset:1040
	v_and_b32_e32 v4, 1, v12
	v_add_co_u32_e32 v13, vcc, -1, v4
	v_addc_co_u32_e64 v15, s[38:39], 0, -1, vcc
	v_cmp_ne_u32_e32 vcc, 0, v4
	v_xor_b32_e32 v4, vcc_hi, v15
	v_and_b32_e32 v15, exec_hi, v4
	v_lshlrev_b32_e32 v4, 30, v12
	v_xor_b32_e32 v13, vcc_lo, v13
	v_cmp_gt_i64_e32 vcc, 0, v[3:4]
	v_not_b32_e32 v4, v4
	v_ashrrev_i32_e32 v4, 31, v4
	v_and_b32_e32 v13, exec_lo, v13
	v_xor_b32_e32 v116, vcc_hi, v4
	v_xor_b32_e32 v4, vcc_lo, v4
	v_and_b32_e32 v13, v13, v4
	v_lshlrev_b32_e32 v4, 29, v12
	v_cmp_gt_i64_e32 vcc, 0, v[3:4]
	v_not_b32_e32 v4, v4
	v_ashrrev_i32_e32 v4, 31, v4
	v_and_b32_e32 v15, v15, v116
	v_xor_b32_e32 v116, vcc_hi, v4
	v_xor_b32_e32 v4, vcc_lo, v4
	v_and_b32_e32 v13, v13, v4
	v_lshlrev_b32_e32 v4, 28, v12
	v_cmp_gt_i64_e32 vcc, 0, v[3:4]
	v_not_b32_e32 v4, v4
	v_ashrrev_i32_e32 v4, 31, v4
	v_and_b32_e32 v15, v15, v116
	;; [unrolled: 8-line block ×5, first 2 shown]
	v_xor_b32_e32 v116, vcc_hi, v4
	v_xor_b32_e32 v4, vcc_lo, v4
	v_and_b32_e32 v15, v15, v116
	v_and_b32_e32 v116, v13, v4
	v_lshlrev_b32_e32 v4, 24, v12
	v_cmp_gt_i64_e32 vcc, 0, v[3:4]
	v_not_b32_e32 v4, v4
	v_ashrrev_i32_e32 v4, 31, v4
	v_mul_u32_u24_e32 v14, 20, v12
	v_xor_b32_e32 v12, vcc_hi, v4
	v_xor_b32_e32 v4, vcc_lo, v4
	v_and_b32_e32 v13, v15, v12
	v_and_b32_e32 v12, v116, v4
	v_mbcnt_lo_u32_b32 v4, v12, 0
	v_mbcnt_hi_u32_b32 v116, v13, v4
	v_cmp_ne_u64_e32 vcc, 0, v[12:13]
	v_cmp_eq_u32_e64 s[38:39], 0, v116
	s_and_b64 s[40:41], vcc, s[38:39]
	v_add_u32_e32 v118, v101, v14
	; wave barrier
	s_and_saveexec_b64 s[38:39], s[40:41]
	s_cbranch_execz .LBB605_250
; %bb.249:                              ;   in Loop: Header=BB605_228 Depth=2
	v_bcnt_u32_b32 v4, v12, 0
	v_bcnt_u32_b32 v4, v13, v4
	s_waitcnt lgkmcnt(0)
	v_add_u32_e32 v4, v114, v4
	ds_write_b32 v118, v4 offset:1040
.LBB605_250:                            ;   in Loop: Header=BB605_228 Depth=2
	s_or_b64 exec, exec, s[38:39]
	v_xor_b32_e32 v16, 0x80000000, v16
	v_lshrrev_b32_e32 v4, s7, v16
	v_and_b32_e32 v12, s62, v4
	v_mad_u32_u24 v4, v12, 20, v101
	; wave barrier
	ds_read_b32 v117, v4 offset:1040
	v_and_b32_e32 v4, 1, v12
	v_add_co_u32_e32 v13, vcc, -1, v4
	v_addc_co_u32_e64 v15, s[38:39], 0, -1, vcc
	v_cmp_ne_u32_e32 vcc, 0, v4
	v_xor_b32_e32 v4, vcc_hi, v15
	v_and_b32_e32 v15, exec_hi, v4
	v_lshlrev_b32_e32 v4, 30, v12
	v_xor_b32_e32 v13, vcc_lo, v13
	v_cmp_gt_i64_e32 vcc, 0, v[3:4]
	v_not_b32_e32 v4, v4
	v_ashrrev_i32_e32 v4, 31, v4
	v_and_b32_e32 v13, exec_lo, v13
	v_xor_b32_e32 v119, vcc_hi, v4
	v_xor_b32_e32 v4, vcc_lo, v4
	v_and_b32_e32 v13, v13, v4
	v_lshlrev_b32_e32 v4, 29, v12
	v_cmp_gt_i64_e32 vcc, 0, v[3:4]
	v_not_b32_e32 v4, v4
	v_ashrrev_i32_e32 v4, 31, v4
	v_and_b32_e32 v15, v15, v119
	v_xor_b32_e32 v119, vcc_hi, v4
	v_xor_b32_e32 v4, vcc_lo, v4
	v_and_b32_e32 v13, v13, v4
	v_lshlrev_b32_e32 v4, 28, v12
	v_cmp_gt_i64_e32 vcc, 0, v[3:4]
	v_not_b32_e32 v4, v4
	v_ashrrev_i32_e32 v4, 31, v4
	v_and_b32_e32 v15, v15, v119
	;; [unrolled: 8-line block ×5, first 2 shown]
	v_xor_b32_e32 v119, vcc_hi, v4
	v_xor_b32_e32 v4, vcc_lo, v4
	v_and_b32_e32 v15, v15, v119
	v_and_b32_e32 v119, v13, v4
	v_lshlrev_b32_e32 v4, 24, v12
	v_cmp_gt_i64_e32 vcc, 0, v[3:4]
	v_not_b32_e32 v4, v4
	v_ashrrev_i32_e32 v4, 31, v4
	v_mul_u32_u24_e32 v14, 20, v12
	v_xor_b32_e32 v12, vcc_hi, v4
	v_xor_b32_e32 v4, vcc_lo, v4
	v_and_b32_e32 v13, v15, v12
	v_and_b32_e32 v12, v119, v4
	v_mbcnt_lo_u32_b32 v4, v12, 0
	v_mbcnt_hi_u32_b32 v119, v13, v4
	v_cmp_ne_u64_e32 vcc, 0, v[12:13]
	v_cmp_eq_u32_e64 s[38:39], 0, v119
	s_and_b64 s[40:41], vcc, s[38:39]
	v_add_u32_e32 v121, v101, v14
	; wave barrier
	s_and_saveexec_b64 s[38:39], s[40:41]
	s_cbranch_execz .LBB605_252
; %bb.251:                              ;   in Loop: Header=BB605_228 Depth=2
	v_bcnt_u32_b32 v4, v12, 0
	v_bcnt_u32_b32 v4, v13, v4
	s_waitcnt lgkmcnt(0)
	v_add_u32_e32 v4, v117, v4
	ds_write_b32 v121, v4 offset:1040
.LBB605_252:                            ;   in Loop: Header=BB605_228 Depth=2
	s_or_b64 exec, exec, s[38:39]
	v_xor_b32_e32 v120, 0x80000000, v17
	v_lshrrev_b32_e32 v4, s7, v120
	v_and_b32_e32 v12, s62, v4
	v_mad_u32_u24 v4, v12, 20, v101
	; wave barrier
	ds_read_b32 v17, v4 offset:1040
	v_and_b32_e32 v4, 1, v12
	v_add_co_u32_e32 v13, vcc, -1, v4
	v_addc_co_u32_e64 v15, s[38:39], 0, -1, vcc
	v_cmp_ne_u32_e32 vcc, 0, v4
	v_xor_b32_e32 v4, vcc_hi, v15
	v_and_b32_e32 v15, exec_hi, v4
	v_lshlrev_b32_e32 v4, 30, v12
	v_xor_b32_e32 v13, vcc_lo, v13
	v_cmp_gt_i64_e32 vcc, 0, v[3:4]
	v_not_b32_e32 v4, v4
	v_ashrrev_i32_e32 v4, 31, v4
	v_and_b32_e32 v13, exec_lo, v13
	v_xor_b32_e32 v122, vcc_hi, v4
	v_xor_b32_e32 v4, vcc_lo, v4
	v_and_b32_e32 v13, v13, v4
	v_lshlrev_b32_e32 v4, 29, v12
	v_cmp_gt_i64_e32 vcc, 0, v[3:4]
	v_not_b32_e32 v4, v4
	v_ashrrev_i32_e32 v4, 31, v4
	v_and_b32_e32 v15, v15, v122
	v_xor_b32_e32 v122, vcc_hi, v4
	v_xor_b32_e32 v4, vcc_lo, v4
	v_and_b32_e32 v13, v13, v4
	v_lshlrev_b32_e32 v4, 28, v12
	v_cmp_gt_i64_e32 vcc, 0, v[3:4]
	v_not_b32_e32 v4, v4
	v_ashrrev_i32_e32 v4, 31, v4
	v_and_b32_e32 v15, v15, v122
	;; [unrolled: 8-line block ×5, first 2 shown]
	v_xor_b32_e32 v122, vcc_hi, v4
	v_xor_b32_e32 v4, vcc_lo, v4
	v_and_b32_e32 v15, v15, v122
	v_and_b32_e32 v122, v13, v4
	v_lshlrev_b32_e32 v4, 24, v12
	v_cmp_gt_i64_e32 vcc, 0, v[3:4]
	v_not_b32_e32 v4, v4
	v_ashrrev_i32_e32 v4, 31, v4
	v_mul_u32_u24_e32 v14, 20, v12
	v_xor_b32_e32 v12, vcc_hi, v4
	v_xor_b32_e32 v4, vcc_lo, v4
	v_and_b32_e32 v13, v15, v12
	v_and_b32_e32 v12, v122, v4
	v_mbcnt_lo_u32_b32 v4, v12, 0
	v_mbcnt_hi_u32_b32 v122, v13, v4
	v_cmp_ne_u64_e32 vcc, 0, v[12:13]
	v_cmp_eq_u32_e64 s[38:39], 0, v122
	s_and_b64 s[40:41], vcc, s[38:39]
	v_add_u32_e32 v125, v101, v14
	; wave barrier
	s_and_saveexec_b64 s[38:39], s[40:41]
	s_cbranch_execz .LBB605_254
; %bb.253:                              ;   in Loop: Header=BB605_228 Depth=2
	v_bcnt_u32_b32 v4, v12, 0
	v_bcnt_u32_b32 v4, v13, v4
	s_waitcnt lgkmcnt(0)
	v_add_u32_e32 v4, v17, v4
	ds_write_b32 v125, v4 offset:1040
.LBB605_254:                            ;   in Loop: Header=BB605_228 Depth=2
	s_or_b64 exec, exec, s[38:39]
	v_xor_b32_e32 v123, 0x80000000, v18
	v_lshrrev_b32_e32 v4, s7, v123
	v_and_b32_e32 v12, s62, v4
	v_mad_u32_u24 v4, v12, 20, v101
	; wave barrier
	ds_read_b32 v124, v4 offset:1040
	v_and_b32_e32 v4, 1, v12
	v_add_co_u32_e32 v13, vcc, -1, v4
	v_addc_co_u32_e64 v15, s[38:39], 0, -1, vcc
	v_cmp_ne_u32_e32 vcc, 0, v4
	v_xor_b32_e32 v4, vcc_hi, v15
	v_and_b32_e32 v15, exec_hi, v4
	v_lshlrev_b32_e32 v4, 30, v12
	v_xor_b32_e32 v13, vcc_lo, v13
	v_cmp_gt_i64_e32 vcc, 0, v[3:4]
	v_not_b32_e32 v4, v4
	v_ashrrev_i32_e32 v4, 31, v4
	v_and_b32_e32 v13, exec_lo, v13
	v_xor_b32_e32 v18, vcc_hi, v4
	v_xor_b32_e32 v4, vcc_lo, v4
	v_and_b32_e32 v13, v13, v4
	v_lshlrev_b32_e32 v4, 29, v12
	v_cmp_gt_i64_e32 vcc, 0, v[3:4]
	v_not_b32_e32 v4, v4
	v_ashrrev_i32_e32 v4, 31, v4
	v_and_b32_e32 v15, v15, v18
	v_xor_b32_e32 v18, vcc_hi, v4
	v_xor_b32_e32 v4, vcc_lo, v4
	v_and_b32_e32 v13, v13, v4
	v_lshlrev_b32_e32 v4, 28, v12
	v_cmp_gt_i64_e32 vcc, 0, v[3:4]
	v_not_b32_e32 v4, v4
	v_ashrrev_i32_e32 v4, 31, v4
	v_and_b32_e32 v15, v15, v18
	;; [unrolled: 8-line block ×5, first 2 shown]
	v_xor_b32_e32 v18, vcc_hi, v4
	v_xor_b32_e32 v4, vcc_lo, v4
	v_and_b32_e32 v15, v15, v18
	v_and_b32_e32 v18, v13, v4
	v_lshlrev_b32_e32 v4, 24, v12
	v_cmp_gt_i64_e32 vcc, 0, v[3:4]
	v_not_b32_e32 v4, v4
	v_ashrrev_i32_e32 v4, 31, v4
	v_mul_u32_u24_e32 v14, 20, v12
	v_xor_b32_e32 v12, vcc_hi, v4
	v_xor_b32_e32 v4, vcc_lo, v4
	v_and_b32_e32 v13, v15, v12
	v_and_b32_e32 v12, v18, v4
	v_mbcnt_lo_u32_b32 v4, v12, 0
	v_mbcnt_hi_u32_b32 v126, v13, v4
	v_cmp_ne_u64_e32 vcc, 0, v[12:13]
	v_cmp_eq_u32_e64 s[38:39], 0, v126
	s_and_b64 s[40:41], vcc, s[38:39]
	v_add_u32_e32 v18, v101, v14
	; wave barrier
	s_and_saveexec_b64 s[38:39], s[40:41]
	s_cbranch_execz .LBB605_256
; %bb.255:                              ;   in Loop: Header=BB605_228 Depth=2
	v_bcnt_u32_b32 v4, v12, 0
	v_bcnt_u32_b32 v4, v13, v4
	s_waitcnt lgkmcnt(0)
	v_add_u32_e32 v4, v124, v4
	ds_write_b32 v18, v4 offset:1040
.LBB605_256:                            ;   in Loop: Header=BB605_228 Depth=2
	s_or_b64 exec, exec, s[38:39]
	v_xor_b32_e32 v127, 0x80000000, v19
	v_lshrrev_b32_e32 v4, s7, v127
	v_and_b32_e32 v12, s62, v4
	v_mad_u32_u24 v4, v12, 20, v101
	; wave barrier
	ds_read_b32 v128, v4 offset:1040
	v_and_b32_e32 v4, 1, v12
	v_add_co_u32_e32 v13, vcc, -1, v4
	v_addc_co_u32_e64 v15, s[38:39], 0, -1, vcc
	v_cmp_ne_u32_e32 vcc, 0, v4
	v_xor_b32_e32 v4, vcc_hi, v15
	v_and_b32_e32 v15, exec_hi, v4
	v_lshlrev_b32_e32 v4, 30, v12
	v_xor_b32_e32 v13, vcc_lo, v13
	v_cmp_gt_i64_e32 vcc, 0, v[3:4]
	v_not_b32_e32 v4, v4
	v_ashrrev_i32_e32 v4, 31, v4
	v_and_b32_e32 v13, exec_lo, v13
	v_xor_b32_e32 v19, vcc_hi, v4
	v_xor_b32_e32 v4, vcc_lo, v4
	v_and_b32_e32 v13, v13, v4
	v_lshlrev_b32_e32 v4, 29, v12
	v_cmp_gt_i64_e32 vcc, 0, v[3:4]
	v_not_b32_e32 v4, v4
	v_ashrrev_i32_e32 v4, 31, v4
	v_and_b32_e32 v15, v15, v19
	v_xor_b32_e32 v19, vcc_hi, v4
	v_xor_b32_e32 v4, vcc_lo, v4
	v_and_b32_e32 v13, v13, v4
	v_lshlrev_b32_e32 v4, 28, v12
	v_cmp_gt_i64_e32 vcc, 0, v[3:4]
	v_not_b32_e32 v4, v4
	v_ashrrev_i32_e32 v4, 31, v4
	v_and_b32_e32 v15, v15, v19
	;; [unrolled: 8-line block ×5, first 2 shown]
	v_xor_b32_e32 v19, vcc_hi, v4
	v_xor_b32_e32 v4, vcc_lo, v4
	v_and_b32_e32 v15, v15, v19
	v_and_b32_e32 v19, v13, v4
	v_lshlrev_b32_e32 v4, 24, v12
	v_cmp_gt_i64_e32 vcc, 0, v[3:4]
	v_not_b32_e32 v4, v4
	v_ashrrev_i32_e32 v4, 31, v4
	v_mul_u32_u24_e32 v14, 20, v12
	v_xor_b32_e32 v12, vcc_hi, v4
	v_xor_b32_e32 v4, vcc_lo, v4
	v_and_b32_e32 v13, v15, v12
	v_and_b32_e32 v12, v19, v4
	v_mbcnt_lo_u32_b32 v4, v12, 0
	v_mbcnt_hi_u32_b32 v129, v13, v4
	v_cmp_ne_u64_e32 vcc, 0, v[12:13]
	v_cmp_eq_u32_e64 s[38:39], 0, v129
	s_and_b64 s[40:41], vcc, s[38:39]
	v_add_u32_e32 v4, v101, v14
	; wave barrier
	s_and_saveexec_b64 s[38:39], s[40:41]
	s_cbranch_execz .LBB605_258
; %bb.257:                              ;   in Loop: Header=BB605_228 Depth=2
	v_bcnt_u32_b32 v12, v12, 0
	v_bcnt_u32_b32 v12, v13, v12
	s_waitcnt lgkmcnt(0)
	v_add_u32_e32 v12, v128, v12
	ds_write_b32 v4, v12 offset:1040
.LBB605_258:                            ;   in Loop: Header=BB605_228 Depth=2
	s_or_b64 exec, exec, s[38:39]
	; wave barrier
	s_waitcnt lgkmcnt(0)
	s_barrier
	ds_read2_b32 v[14:15], v105 offset1:1
	ds_read2_b32 v[12:13], v104 offset1:1
	ds_read_b32 v19, v48 offset:1056
	s_waitcnt lgkmcnt(1)
	v_add3_u32 v130, v15, v14, v12
	s_waitcnt lgkmcnt(0)
	v_add3_u32 v19, v130, v13, v19
	s_nop 1
	v_mov_b32_dpp v130, v19 row_shr:1 row_mask:0xf bank_mask:0xf
	v_cndmask_b32_e64 v130, v130, 0, s[18:19]
	v_add_u32_e32 v19, v130, v19
	s_nop 1
	v_mov_b32_dpp v130, v19 row_shr:2 row_mask:0xf bank_mask:0xf
	v_cndmask_b32_e64 v130, 0, v130, s[20:21]
	v_add_u32_e32 v19, v19, v130
	;; [unrolled: 4-line block ×4, first 2 shown]
	s_nop 1
	v_mov_b32_dpp v130, v19 row_bcast:15 row_mask:0xf bank_mask:0xf
	v_cndmask_b32_e64 v130, v130, 0, s[26:27]
	v_add_u32_e32 v19, v19, v130
	s_nop 1
	v_mov_b32_dpp v130, v19 row_bcast:31 row_mask:0xf bank_mask:0xf
	v_cndmask_b32_e64 v130, 0, v130, s[28:29]
	v_add_u32_e32 v19, v19, v130
	s_and_saveexec_b64 s[38:39], s[8:9]
; %bb.259:                              ;   in Loop: Header=BB605_228 Depth=2
	ds_write_b32 v44, v19 offset:1024
; %bb.260:                              ;   in Loop: Header=BB605_228 Depth=2
	s_or_b64 exec, exec, s[38:39]
	s_waitcnt lgkmcnt(0)
	s_barrier
	s_and_saveexec_b64 s[38:39], s[10:11]
	s_cbranch_execz .LBB605_262
; %bb.261:                              ;   in Loop: Header=BB605_228 Depth=2
	ds_read_b32 v130, v49 offset:1024
	s_waitcnt lgkmcnt(0)
	s_nop 0
	v_mov_b32_dpp v131, v130 row_shr:1 row_mask:0xf bank_mask:0xf
	v_cndmask_b32_e64 v131, v131, 0, s[34:35]
	v_add_u32_e32 v130, v131, v130
	s_nop 1
	v_mov_b32_dpp v131, v130 row_shr:2 row_mask:0xf bank_mask:0xf
	v_cndmask_b32_e64 v131, 0, v131, s[36:37]
	v_add_u32_e32 v130, v130, v131
	ds_write_b32 v49, v130 offset:1024
.LBB605_262:                            ;   in Loop: Header=BB605_228 Depth=2
	s_or_b64 exec, exec, s[38:39]
	v_mov_b32_e32 v130, 0
	s_waitcnt lgkmcnt(0)
	s_barrier
	s_and_saveexec_b64 s[38:39], s[12:13]
; %bb.263:                              ;   in Loop: Header=BB605_228 Depth=2
	ds_read_b32 v130, v44 offset:1020
; %bb.264:                              ;   in Loop: Header=BB605_228 Depth=2
	s_or_b64 exec, exec, s[38:39]
	s_waitcnt lgkmcnt(0)
	v_add_u32_e32 v19, v130, v19
	ds_bpermute_b32 v19, v84, v19
	s_waitcnt lgkmcnt(0)
	v_cndmask_b32_e64 v19, v19, v130, s[30:31]
	v_cndmask_b32_e64 v19, v19, 0, s[14:15]
	v_add_u32_e32 v14, v19, v14
	v_add_u32_e32 v15, v14, v15
	v_add_u32_e32 v12, v15, v12
	v_add_u32_e32 v13, v12, v13
	ds_write2_b32 v105, v19, v14 offset1:1
	ds_write2_b32 v104, v15, v12 offset1:1
	ds_write_b32 v48, v13 offset:1056
	s_waitcnt lgkmcnt(0)
	s_barrier
	ds_read_b32 v12, v107 offset:1040
	ds_read_b32 v13, v111 offset:1040
	;; [unrolled: 1-line block ×9, first 2 shown]
	v_mov_b32_e32 v4, 0x800
	s_and_saveexec_b64 s[38:39], s[16:17]
; %bb.265:                              ;   in Loop: Header=BB605_228 Depth=2
	ds_read_b32 v4, v48 offset:1060
; %bb.266:                              ;   in Loop: Header=BB605_228 Depth=2
	s_or_b64 exec, exec, s[38:39]
	s_waitcnt lgkmcnt(0)
	s_barrier
	s_and_saveexec_b64 s[38:39], s[4:5]
	s_cbranch_execz .LBB605_268
; %bb.267:                              ;   in Loop: Header=BB605_228 Depth=2
	ds_read_b32 v19, v32
	s_waitcnt lgkmcnt(0)
	v_sub_u32_e32 v18, v19, v18
	ds_write_b32 v32, v18
.LBB605_268:                            ;   in Loop: Header=BB605_228 Depth=2
	s_or_b64 exec, exec, s[38:39]
	v_add_u32_e32 v105, v12, v106
	v_add3_u32 v104, v108, v31, v13
	v_lshlrev_b32_e32 v12, 2, v105
	v_add3_u32 v31, v112, v110, v14
	ds_write_b32 v12, v103 offset:1024
	v_lshlrev_b32_e32 v12, 2, v104
	v_add3_u32 v19, v116, v114, v15
	ds_write_b32 v12, v30 offset:1024
	;; [unrolled: 3-line block ×6, first 2 shown]
	v_lshlrev_b32_e32 v12, 2, v15
	ds_write_b32 v12, v123 offset:1024
	v_lshlrev_b32_e32 v12, 2, v14
	v_cmp_lt_u32_e32 vcc, v0, v102
	ds_write_b32 v12, v127 offset:1024
	s_waitcnt lgkmcnt(0)
	s_barrier
	s_and_saveexec_b64 s[40:41], vcc
	s_cbranch_execnz .LBB605_305
; %bb.269:                              ;   in Loop: Header=BB605_228 Depth=2
	s_or_b64 exec, exec, s[40:41]
	v_cmp_lt_u32_e64 s[38:39], v33, v102
	s_and_saveexec_b64 s[42:43], s[38:39]
	s_cbranch_execnz .LBB605_306
.LBB605_270:                            ;   in Loop: Header=BB605_228 Depth=2
	s_or_b64 exec, exec, s[42:43]
	v_cmp_lt_u32_e64 s[40:41], v34, v102
	s_and_saveexec_b64 s[44:45], s[40:41]
	s_cbranch_execnz .LBB605_307
.LBB605_271:                            ;   in Loop: Header=BB605_228 Depth=2
	s_or_b64 exec, exec, s[44:45]
	v_cmp_lt_u32_e64 s[42:43], v35, v102
	s_and_saveexec_b64 s[46:47], s[42:43]
	s_cbranch_execnz .LBB605_308
.LBB605_272:                            ;   in Loop: Header=BB605_228 Depth=2
	s_or_b64 exec, exec, s[46:47]
	v_cmp_lt_u32_e64 s[44:45], v38, v102
	s_and_saveexec_b64 s[48:49], s[44:45]
	s_cbranch_execnz .LBB605_309
.LBB605_273:                            ;   in Loop: Header=BB605_228 Depth=2
	s_or_b64 exec, exec, s[48:49]
	v_cmp_lt_u32_e64 s[46:47], v39, v102
	s_and_saveexec_b64 s[50:51], s[46:47]
	s_cbranch_execnz .LBB605_310
.LBB605_274:                            ;   in Loop: Header=BB605_228 Depth=2
	s_or_b64 exec, exec, s[50:51]
	v_cmp_lt_u32_e64 s[48:49], v40, v102
	s_and_saveexec_b64 s[52:53], s[48:49]
	s_cbranch_execnz .LBB605_311
.LBB605_275:                            ;   in Loop: Header=BB605_228 Depth=2
	s_or_b64 exec, exec, s[52:53]
	v_cmp_lt_u32_e64 s[50:51], v41, v102
	s_and_saveexec_b64 s[60:61], s[50:51]
	s_cbranch_execz .LBB605_277
.LBB605_276:                            ;   in Loop: Header=BB605_228 Depth=2
	ds_read_b32 v12, v49 offset:8192
	v_mov_b32_e32 v30, s69
	s_waitcnt lgkmcnt(0)
	v_lshrrev_b32_e32 v13, s7, v12
	v_and_b32_e32 v13, s62, v13
	v_lshlrev_b32_e32 v13, 2, v13
	ds_read_b32 v16, v13
	v_mov_b32_e32 v13, v3
	v_xor_b32_e32 v103, 0x80000000, v12
	s_waitcnt lgkmcnt(0)
	v_add_u32_e32 v12, v16, v41
	v_lshlrev_b64 v[12:13], 2, v[12:13]
	v_add_co_u32_e64 v12, s[52:53], s68, v12
	v_addc_co_u32_e64 v13, s[52:53], v30, v13, s[52:53]
	global_store_dword v[12:13], v103, off
.LBB605_277:                            ;   in Loop: Header=BB605_228 Depth=2
	s_or_b64 exec, exec, s[60:61]
	s_lshl_b64 s[52:53], s[58:59], 3
	v_mov_b32_e32 v13, s53
	v_add_co_u32_e64 v12, s[52:53], s52, v85
	v_addc_co_u32_e64 v13, s[52:53], v86, v13, s[52:53]
	v_cmp_lt_u32_e64 s[52:53], v80, v102
	s_and_saveexec_b64 s[60:61], s[52:53]
	s_xor_b64 s[52:53], exec, s[60:61]
	s_cbranch_execnz .LBB605_312
; %bb.278:                              ;   in Loop: Header=BB605_228 Depth=2
	s_or_b64 exec, exec, s[52:53]
	v_cmp_lt_u32_e64 s[52:53], v81, v102
	s_and_saveexec_b64 s[60:61], s[52:53]
	s_cbranch_execnz .LBB605_313
.LBB605_279:                            ;   in Loop: Header=BB605_228 Depth=2
	s_or_b64 exec, exec, s[60:61]
	v_cmp_lt_u32_e64 s[52:53], v82, v102
	s_and_saveexec_b64 s[60:61], s[52:53]
	s_cbranch_execnz .LBB605_314
.LBB605_280:                            ;   in Loop: Header=BB605_228 Depth=2
	s_or_b64 exec, exec, s[60:61]
	v_cmp_lt_u32_e64 s[52:53], v83, v102
	s_and_saveexec_b64 s[60:61], s[52:53]
	s_cbranch_execnz .LBB605_315
.LBB605_281:                            ;   in Loop: Header=BB605_228 Depth=2
	s_or_b64 exec, exec, s[60:61]
	v_cmp_lt_u32_e64 s[52:53], v87, v102
	s_and_saveexec_b64 s[60:61], s[52:53]
	s_cbranch_execnz .LBB605_316
.LBB605_282:                            ;   in Loop: Header=BB605_228 Depth=2
	s_or_b64 exec, exec, s[60:61]
	v_cmp_lt_u32_e64 s[52:53], v88, v102
	s_and_saveexec_b64 s[60:61], s[52:53]
	s_cbranch_execnz .LBB605_317
.LBB605_283:                            ;   in Loop: Header=BB605_228 Depth=2
	s_or_b64 exec, exec, s[60:61]
	v_cmp_lt_u32_e64 s[52:53], v89, v102
	s_and_saveexec_b64 s[60:61], s[52:53]
	s_cbranch_execnz .LBB605_318
.LBB605_284:                            ;   in Loop: Header=BB605_228 Depth=2
	s_or_b64 exec, exec, s[60:61]
	v_cmp_lt_u32_e64 s[52:53], v90, v102
	s_and_saveexec_b64 s[60:61], s[52:53]
	s_cbranch_execnz .LBB605_319
.LBB605_285:                            ;   in Loop: Header=BB605_228 Depth=2
	s_or_b64 exec, exec, s[60:61]
	s_and_saveexec_b64 s[52:53], vcc
	s_cbranch_execnz .LBB605_320
.LBB605_286:                            ;   in Loop: Header=BB605_228 Depth=2
	s_or_b64 exec, exec, s[52:53]
	s_and_saveexec_b64 s[52:53], s[38:39]
	s_cbranch_execnz .LBB605_321
.LBB605_287:                            ;   in Loop: Header=BB605_228 Depth=2
	s_or_b64 exec, exec, s[52:53]
	s_and_saveexec_b64 s[52:53], s[40:41]
	s_cbranch_execnz .LBB605_322
.LBB605_288:                            ;   in Loop: Header=BB605_228 Depth=2
	s_or_b64 exec, exec, s[52:53]
	s_and_saveexec_b64 s[52:53], s[42:43]
	s_cbranch_execnz .LBB605_323
.LBB605_289:                            ;   in Loop: Header=BB605_228 Depth=2
	s_or_b64 exec, exec, s[52:53]
	s_and_saveexec_b64 s[52:53], s[44:45]
	s_cbranch_execnz .LBB605_324
.LBB605_290:                            ;   in Loop: Header=BB605_228 Depth=2
	s_or_b64 exec, exec, s[52:53]
	s_and_saveexec_b64 s[52:53], s[46:47]
	s_cbranch_execnz .LBB605_325
.LBB605_291:                            ;   in Loop: Header=BB605_228 Depth=2
	s_or_b64 exec, exec, s[52:53]
	s_and_saveexec_b64 s[52:53], s[48:49]
	s_cbranch_execnz .LBB605_326
.LBB605_292:                            ;   in Loop: Header=BB605_228 Depth=2
	s_or_b64 exec, exec, s[52:53]
	s_and_saveexec_b64 s[52:53], s[50:51]
	s_cbranch_execz .LBB605_294
.LBB605_293:                            ;   in Loop: Header=BB605_228 Depth=2
	ds_read_b32 v12, v49 offset:8192
	s_waitcnt lgkmcnt(0)
	v_lshrrev_b32_e32 v12, s7, v12
	v_and_b32_e32 v91, s62, v12
.LBB605_294:                            ;   in Loop: Header=BB605_228 Depth=2
	s_or_b64 exec, exec, s[52:53]
	v_lshlrev_b32_e32 v12, 3, v105
	s_waitcnt vmcnt(0)
	s_barrier
	ds_write_b64 v12, v[28:29] offset:1024
	v_lshlrev_b32_e32 v12, 3, v104
	ds_write_b64 v12, v[26:27] offset:1024
	v_lshlrev_b32_e32 v12, 3, v31
	;; [unrolled: 2-line block ×7, first 2 shown]
	ds_write_b64 v12, v[5:6] offset:1024
	s_waitcnt lgkmcnt(0)
	s_barrier
	s_and_saveexec_b64 s[52:53], vcc
	s_cbranch_execnz .LBB605_327
; %bb.295:                              ;   in Loop: Header=BB605_228 Depth=2
	s_or_b64 exec, exec, s[52:53]
	s_and_saveexec_b64 s[52:53], s[38:39]
	s_cbranch_execnz .LBB605_328
.LBB605_296:                            ;   in Loop: Header=BB605_228 Depth=2
	s_or_b64 exec, exec, s[52:53]
	s_and_saveexec_b64 s[38:39], s[40:41]
	s_cbranch_execnz .LBB605_329
.LBB605_297:                            ;   in Loop: Header=BB605_228 Depth=2
	s_or_b64 exec, exec, s[38:39]
	s_and_saveexec_b64 s[38:39], s[42:43]
	s_cbranch_execnz .LBB605_330
.LBB605_298:                            ;   in Loop: Header=BB605_228 Depth=2
	s_or_b64 exec, exec, s[38:39]
	s_and_saveexec_b64 s[38:39], s[44:45]
	s_cbranch_execnz .LBB605_331
.LBB605_299:                            ;   in Loop: Header=BB605_228 Depth=2
	s_or_b64 exec, exec, s[38:39]
	s_and_saveexec_b64 s[38:39], s[46:47]
	s_cbranch_execnz .LBB605_332
.LBB605_300:                            ;   in Loop: Header=BB605_228 Depth=2
	s_or_b64 exec, exec, s[38:39]
	s_and_saveexec_b64 s[38:39], s[48:49]
	s_cbranch_execnz .LBB605_333
.LBB605_301:                            ;   in Loop: Header=BB605_228 Depth=2
	s_or_b64 exec, exec, s[38:39]
	s_and_saveexec_b64 s[38:39], s[50:51]
	s_cbranch_execz .LBB605_303
.LBB605_302:                            ;   in Loop: Header=BB605_228 Depth=2
	v_lshlrev_b32_e32 v12, 2, v91
	ds_read_b32 v14, v12
	v_add_u32_e32 v12, v49, v32
	ds_read_b64 v[12:13], v12 offset:15360
	v_mov_b32_e32 v15, v3
	v_mov_b32_e32 v16, s75
	s_waitcnt lgkmcnt(1)
	v_add_u32_e32 v14, v14, v41
	v_lshlrev_b64 v[14:15], 3, v[14:15]
	v_add_co_u32_e32 v14, vcc, s74, v14
	v_addc_co_u32_e32 v15, vcc, v16, v15, vcc
	s_waitcnt lgkmcnt(0)
	global_store_dwordx2 v[14:15], v[12:13], off
.LBB605_303:                            ;   in Loop: Header=BB605_228 Depth=2
	s_or_b64 exec, exec, s[38:39]
	s_waitcnt vmcnt(0)
	s_barrier
	s_and_saveexec_b64 s[38:39], s[4:5]
	s_cbranch_execz .LBB605_227
; %bb.304:                              ;   in Loop: Header=BB605_228 Depth=2
	ds_read_b32 v12, v32
	s_waitcnt lgkmcnt(0)
	v_add_u32_e32 v4, v12, v4
	ds_write_b32 v32, v4
	s_branch .LBB605_227
.LBB605_305:                            ;   in Loop: Header=BB605_228 Depth=2
	ds_read_b32 v12, v49 offset:1024
	v_mov_b32_e32 v30, s69
	s_waitcnt lgkmcnt(0)
	v_lshrrev_b32_e32 v13, s7, v12
	v_and_b32_e32 v13, s62, v13
	v_lshlrev_b32_e32 v13, 2, v13
	ds_read_b32 v16, v13
	v_mov_b32_e32 v13, v3
	v_xor_b32_e32 v103, 0x80000000, v12
	s_waitcnt lgkmcnt(0)
	v_add_u32_e32 v12, v16, v0
	v_lshlrev_b64 v[12:13], 2, v[12:13]
	v_add_co_u32_e64 v12, s[38:39], s68, v12
	v_addc_co_u32_e64 v13, s[38:39], v30, v13, s[38:39]
	global_store_dword v[12:13], v103, off
	s_or_b64 exec, exec, s[40:41]
	v_cmp_lt_u32_e64 s[38:39], v33, v102
	s_and_saveexec_b64 s[42:43], s[38:39]
	s_cbranch_execz .LBB605_270
.LBB605_306:                            ;   in Loop: Header=BB605_228 Depth=2
	ds_read_b32 v12, v49 offset:2048
	v_mov_b32_e32 v30, s69
	s_waitcnt lgkmcnt(0)
	v_lshrrev_b32_e32 v13, s7, v12
	v_and_b32_e32 v13, s62, v13
	v_lshlrev_b32_e32 v13, 2, v13
	ds_read_b32 v16, v13
	v_mov_b32_e32 v13, v3
	v_xor_b32_e32 v103, 0x80000000, v12
	s_waitcnt lgkmcnt(0)
	v_add_u32_e32 v12, v16, v33
	v_lshlrev_b64 v[12:13], 2, v[12:13]
	v_add_co_u32_e64 v12, s[40:41], s68, v12
	v_addc_co_u32_e64 v13, s[40:41], v30, v13, s[40:41]
	global_store_dword v[12:13], v103, off
	s_or_b64 exec, exec, s[42:43]
	v_cmp_lt_u32_e64 s[40:41], v34, v102
	s_and_saveexec_b64 s[44:45], s[40:41]
	s_cbranch_execz .LBB605_271
.LBB605_307:                            ;   in Loop: Header=BB605_228 Depth=2
	ds_read_b32 v12, v49 offset:3072
	v_mov_b32_e32 v30, s69
	s_waitcnt lgkmcnt(0)
	v_lshrrev_b32_e32 v13, s7, v12
	v_and_b32_e32 v13, s62, v13
	v_lshlrev_b32_e32 v13, 2, v13
	ds_read_b32 v16, v13
	v_mov_b32_e32 v13, v3
	v_xor_b32_e32 v103, 0x80000000, v12
	s_waitcnt lgkmcnt(0)
	v_add_u32_e32 v12, v16, v34
	v_lshlrev_b64 v[12:13], 2, v[12:13]
	v_add_co_u32_e64 v12, s[42:43], s68, v12
	v_addc_co_u32_e64 v13, s[42:43], v30, v13, s[42:43]
	global_store_dword v[12:13], v103, off
	s_or_b64 exec, exec, s[44:45]
	v_cmp_lt_u32_e64 s[42:43], v35, v102
	s_and_saveexec_b64 s[46:47], s[42:43]
	s_cbranch_execz .LBB605_272
.LBB605_308:                            ;   in Loop: Header=BB605_228 Depth=2
	ds_read_b32 v12, v49 offset:4096
	v_mov_b32_e32 v30, s69
	s_waitcnt lgkmcnt(0)
	v_lshrrev_b32_e32 v13, s7, v12
	v_and_b32_e32 v13, s62, v13
	v_lshlrev_b32_e32 v13, 2, v13
	ds_read_b32 v16, v13
	v_mov_b32_e32 v13, v3
	v_xor_b32_e32 v103, 0x80000000, v12
	s_waitcnt lgkmcnt(0)
	v_add_u32_e32 v12, v16, v35
	v_lshlrev_b64 v[12:13], 2, v[12:13]
	v_add_co_u32_e64 v12, s[44:45], s68, v12
	v_addc_co_u32_e64 v13, s[44:45], v30, v13, s[44:45]
	global_store_dword v[12:13], v103, off
	s_or_b64 exec, exec, s[46:47]
	v_cmp_lt_u32_e64 s[44:45], v38, v102
	s_and_saveexec_b64 s[48:49], s[44:45]
	s_cbranch_execz .LBB605_273
.LBB605_309:                            ;   in Loop: Header=BB605_228 Depth=2
	ds_read_b32 v12, v49 offset:5120
	v_mov_b32_e32 v30, s69
	s_waitcnt lgkmcnt(0)
	v_lshrrev_b32_e32 v13, s7, v12
	v_and_b32_e32 v13, s62, v13
	v_lshlrev_b32_e32 v13, 2, v13
	ds_read_b32 v16, v13
	v_mov_b32_e32 v13, v3
	v_xor_b32_e32 v103, 0x80000000, v12
	s_waitcnt lgkmcnt(0)
	v_add_u32_e32 v12, v16, v38
	v_lshlrev_b64 v[12:13], 2, v[12:13]
	v_add_co_u32_e64 v12, s[46:47], s68, v12
	v_addc_co_u32_e64 v13, s[46:47], v30, v13, s[46:47]
	global_store_dword v[12:13], v103, off
	s_or_b64 exec, exec, s[48:49]
	v_cmp_lt_u32_e64 s[46:47], v39, v102
	s_and_saveexec_b64 s[50:51], s[46:47]
	s_cbranch_execz .LBB605_274
.LBB605_310:                            ;   in Loop: Header=BB605_228 Depth=2
	ds_read_b32 v12, v49 offset:6144
	v_mov_b32_e32 v30, s69
	s_waitcnt lgkmcnt(0)
	v_lshrrev_b32_e32 v13, s7, v12
	v_and_b32_e32 v13, s62, v13
	v_lshlrev_b32_e32 v13, 2, v13
	ds_read_b32 v16, v13
	v_mov_b32_e32 v13, v3
	v_xor_b32_e32 v103, 0x80000000, v12
	s_waitcnt lgkmcnt(0)
	v_add_u32_e32 v12, v16, v39
	v_lshlrev_b64 v[12:13], 2, v[12:13]
	v_add_co_u32_e64 v12, s[48:49], s68, v12
	v_addc_co_u32_e64 v13, s[48:49], v30, v13, s[48:49]
	global_store_dword v[12:13], v103, off
	s_or_b64 exec, exec, s[50:51]
	v_cmp_lt_u32_e64 s[48:49], v40, v102
	s_and_saveexec_b64 s[52:53], s[48:49]
	s_cbranch_execz .LBB605_275
.LBB605_311:                            ;   in Loop: Header=BB605_228 Depth=2
	ds_read_b32 v12, v49 offset:7168
	v_mov_b32_e32 v30, s69
	s_waitcnt lgkmcnt(0)
	v_lshrrev_b32_e32 v13, s7, v12
	v_and_b32_e32 v13, s62, v13
	v_lshlrev_b32_e32 v13, 2, v13
	ds_read_b32 v16, v13
	v_mov_b32_e32 v13, v3
	v_xor_b32_e32 v103, 0x80000000, v12
	s_waitcnt lgkmcnt(0)
	v_add_u32_e32 v12, v16, v40
	v_lshlrev_b64 v[12:13], 2, v[12:13]
	v_add_co_u32_e64 v12, s[50:51], s68, v12
	v_addc_co_u32_e64 v13, s[50:51], v30, v13, s[50:51]
	global_store_dword v[12:13], v103, off
	s_or_b64 exec, exec, s[52:53]
	v_cmp_lt_u32_e64 s[50:51], v41, v102
	s_and_saveexec_b64 s[60:61], s[50:51]
	s_cbranch_execnz .LBB605_276
	s_branch .LBB605_277
.LBB605_312:                            ;   in Loop: Header=BB605_228 Depth=2
	global_load_dwordx2 v[28:29], v[12:13], off
	s_or_b64 exec, exec, s[52:53]
	v_cmp_lt_u32_e64 s[52:53], v81, v102
	s_and_saveexec_b64 s[60:61], s[52:53]
	s_cbranch_execz .LBB605_279
.LBB605_313:                            ;   in Loop: Header=BB605_228 Depth=2
	global_load_dwordx2 v[26:27], v[12:13], off offset:512
	s_or_b64 exec, exec, s[60:61]
	v_cmp_lt_u32_e64 s[52:53], v82, v102
	s_and_saveexec_b64 s[60:61], s[52:53]
	s_cbranch_execz .LBB605_280
.LBB605_314:                            ;   in Loop: Header=BB605_228 Depth=2
	global_load_dwordx2 v[24:25], v[12:13], off offset:1024
	s_or_b64 exec, exec, s[60:61]
	v_cmp_lt_u32_e64 s[52:53], v83, v102
	s_and_saveexec_b64 s[60:61], s[52:53]
	s_cbranch_execz .LBB605_281
.LBB605_315:                            ;   in Loop: Header=BB605_228 Depth=2
	global_load_dwordx2 v[22:23], v[12:13], off offset:1536
	s_or_b64 exec, exec, s[60:61]
	v_cmp_lt_u32_e64 s[52:53], v87, v102
	s_and_saveexec_b64 s[60:61], s[52:53]
	s_cbranch_execz .LBB605_282
.LBB605_316:                            ;   in Loop: Header=BB605_228 Depth=2
	global_load_dwordx2 v[20:21], v[12:13], off offset:2048
	s_or_b64 exec, exec, s[60:61]
	v_cmp_lt_u32_e64 s[52:53], v88, v102
	s_and_saveexec_b64 s[60:61], s[52:53]
	s_cbranch_execz .LBB605_283
.LBB605_317:                            ;   in Loop: Header=BB605_228 Depth=2
	global_load_dwordx2 v[9:10], v[12:13], off offset:2560
	s_or_b64 exec, exec, s[60:61]
	v_cmp_lt_u32_e64 s[52:53], v89, v102
	s_and_saveexec_b64 s[60:61], s[52:53]
	s_cbranch_execz .LBB605_284
.LBB605_318:                            ;   in Loop: Header=BB605_228 Depth=2
	global_load_dwordx2 v[7:8], v[12:13], off offset:3072
	s_or_b64 exec, exec, s[60:61]
	v_cmp_lt_u32_e64 s[52:53], v90, v102
	s_and_saveexec_b64 s[60:61], s[52:53]
	s_cbranch_execz .LBB605_285
.LBB605_319:                            ;   in Loop: Header=BB605_228 Depth=2
	global_load_dwordx2 v[5:6], v[12:13], off offset:3584
	s_or_b64 exec, exec, s[60:61]
	s_and_saveexec_b64 s[52:53], vcc
	s_cbranch_execz .LBB605_286
.LBB605_320:                            ;   in Loop: Header=BB605_228 Depth=2
	ds_read_b32 v12, v49 offset:1024
	s_waitcnt lgkmcnt(0)
	v_lshrrev_b32_e32 v12, s7, v12
	v_and_b32_e32 v99, s62, v12
	s_or_b64 exec, exec, s[52:53]
	s_and_saveexec_b64 s[52:53], s[38:39]
	s_cbranch_execz .LBB605_287
.LBB605_321:                            ;   in Loop: Header=BB605_228 Depth=2
	ds_read_b32 v12, v49 offset:2048
	s_waitcnt lgkmcnt(0)
	v_lshrrev_b32_e32 v12, s7, v12
	v_and_b32_e32 v97, s62, v12
	s_or_b64 exec, exec, s[52:53]
	s_and_saveexec_b64 s[52:53], s[40:41]
	s_cbranch_execz .LBB605_288
.LBB605_322:                            ;   in Loop: Header=BB605_228 Depth=2
	ds_read_b32 v12, v49 offset:3072
	s_waitcnt lgkmcnt(0)
	v_lshrrev_b32_e32 v12, s7, v12
	v_and_b32_e32 v96, s62, v12
	s_or_b64 exec, exec, s[52:53]
	s_and_saveexec_b64 s[52:53], s[42:43]
	s_cbranch_execz .LBB605_289
.LBB605_323:                            ;   in Loop: Header=BB605_228 Depth=2
	ds_read_b32 v12, v49 offset:4096
	s_waitcnt lgkmcnt(0)
	v_lshrrev_b32_e32 v12, s7, v12
	v_and_b32_e32 v95, s62, v12
	s_or_b64 exec, exec, s[52:53]
	s_and_saveexec_b64 s[52:53], s[44:45]
	s_cbranch_execz .LBB605_290
.LBB605_324:                            ;   in Loop: Header=BB605_228 Depth=2
	ds_read_b32 v12, v49 offset:5120
	s_waitcnt lgkmcnt(0)
	v_lshrrev_b32_e32 v12, s7, v12
	v_and_b32_e32 v94, s62, v12
	s_or_b64 exec, exec, s[52:53]
	s_and_saveexec_b64 s[52:53], s[46:47]
	s_cbranch_execz .LBB605_291
.LBB605_325:                            ;   in Loop: Header=BB605_228 Depth=2
	ds_read_b32 v12, v49 offset:6144
	s_waitcnt lgkmcnt(0)
	v_lshrrev_b32_e32 v12, s7, v12
	v_and_b32_e32 v93, s62, v12
	s_or_b64 exec, exec, s[52:53]
	s_and_saveexec_b64 s[52:53], s[48:49]
	s_cbranch_execz .LBB605_292
.LBB605_326:                            ;   in Loop: Header=BB605_228 Depth=2
	ds_read_b32 v12, v49 offset:7168
	s_waitcnt lgkmcnt(0)
	v_lshrrev_b32_e32 v12, s7, v12
	v_and_b32_e32 v92, s62, v12
	s_or_b64 exec, exec, s[52:53]
	s_and_saveexec_b64 s[52:53], s[50:51]
	s_cbranch_execnz .LBB605_293
	s_branch .LBB605_294
.LBB605_327:                            ;   in Loop: Header=BB605_228 Depth=2
	v_lshlrev_b32_e32 v12, 2, v99
	ds_read_b32 v14, v12
	v_add_u32_e32 v12, v49, v32
	ds_read_b64 v[12:13], v12 offset:1024
	v_mov_b32_e32 v15, v3
	v_mov_b32_e32 v16, s75
	s_waitcnt lgkmcnt(1)
	v_add_u32_e32 v14, v14, v0
	v_lshlrev_b64 v[14:15], 3, v[14:15]
	v_add_co_u32_e32 v14, vcc, s74, v14
	v_addc_co_u32_e32 v15, vcc, v16, v15, vcc
	s_waitcnt lgkmcnt(0)
	global_store_dwordx2 v[14:15], v[12:13], off
	s_or_b64 exec, exec, s[52:53]
	s_and_saveexec_b64 s[52:53], s[38:39]
	s_cbranch_execz .LBB605_296
.LBB605_328:                            ;   in Loop: Header=BB605_228 Depth=2
	v_lshlrev_b32_e32 v12, 2, v97
	ds_read_b32 v14, v12
	v_add_u32_e32 v12, v49, v32
	ds_read_b64 v[12:13], v12 offset:3072
	v_mov_b32_e32 v15, v3
	v_mov_b32_e32 v16, s75
	s_waitcnt lgkmcnt(1)
	v_add_u32_e32 v14, v14, v33
	v_lshlrev_b64 v[14:15], 3, v[14:15]
	v_add_co_u32_e32 v14, vcc, s74, v14
	v_addc_co_u32_e32 v15, vcc, v16, v15, vcc
	s_waitcnt lgkmcnt(0)
	global_store_dwordx2 v[14:15], v[12:13], off
	s_or_b64 exec, exec, s[52:53]
	s_and_saveexec_b64 s[38:39], s[40:41]
	s_cbranch_execz .LBB605_297
.LBB605_329:                            ;   in Loop: Header=BB605_228 Depth=2
	v_lshlrev_b32_e32 v12, 2, v96
	ds_read_b32 v14, v12
	v_add_u32_e32 v12, v49, v32
	ds_read_b64 v[12:13], v12 offset:5120
	v_mov_b32_e32 v15, v3
	v_mov_b32_e32 v16, s75
	s_waitcnt lgkmcnt(1)
	v_add_u32_e32 v14, v14, v34
	v_lshlrev_b64 v[14:15], 3, v[14:15]
	v_add_co_u32_e32 v14, vcc, s74, v14
	v_addc_co_u32_e32 v15, vcc, v16, v15, vcc
	s_waitcnt lgkmcnt(0)
	global_store_dwordx2 v[14:15], v[12:13], off
	s_or_b64 exec, exec, s[38:39]
	s_and_saveexec_b64 s[38:39], s[42:43]
	s_cbranch_execz .LBB605_298
.LBB605_330:                            ;   in Loop: Header=BB605_228 Depth=2
	v_lshlrev_b32_e32 v12, 2, v95
	ds_read_b32 v14, v12
	v_add_u32_e32 v12, v49, v32
	ds_read_b64 v[12:13], v12 offset:7168
	v_mov_b32_e32 v15, v3
	v_mov_b32_e32 v16, s75
	s_waitcnt lgkmcnt(1)
	v_add_u32_e32 v14, v14, v35
	v_lshlrev_b64 v[14:15], 3, v[14:15]
	v_add_co_u32_e32 v14, vcc, s74, v14
	v_addc_co_u32_e32 v15, vcc, v16, v15, vcc
	s_waitcnt lgkmcnt(0)
	global_store_dwordx2 v[14:15], v[12:13], off
	s_or_b64 exec, exec, s[38:39]
	s_and_saveexec_b64 s[38:39], s[44:45]
	s_cbranch_execz .LBB605_299
.LBB605_331:                            ;   in Loop: Header=BB605_228 Depth=2
	v_lshlrev_b32_e32 v12, 2, v94
	ds_read_b32 v14, v12
	v_add_u32_e32 v12, v49, v32
	ds_read_b64 v[12:13], v12 offset:9216
	v_mov_b32_e32 v15, v3
	v_mov_b32_e32 v16, s75
	s_waitcnt lgkmcnt(1)
	v_add_u32_e32 v14, v14, v38
	v_lshlrev_b64 v[14:15], 3, v[14:15]
	v_add_co_u32_e32 v14, vcc, s74, v14
	v_addc_co_u32_e32 v15, vcc, v16, v15, vcc
	s_waitcnt lgkmcnt(0)
	global_store_dwordx2 v[14:15], v[12:13], off
	s_or_b64 exec, exec, s[38:39]
	s_and_saveexec_b64 s[38:39], s[46:47]
	s_cbranch_execz .LBB605_300
.LBB605_332:                            ;   in Loop: Header=BB605_228 Depth=2
	v_lshlrev_b32_e32 v12, 2, v93
	ds_read_b32 v14, v12
	v_add_u32_e32 v12, v49, v32
	ds_read_b64 v[12:13], v12 offset:11264
	v_mov_b32_e32 v15, v3
	v_mov_b32_e32 v16, s75
	s_waitcnt lgkmcnt(1)
	v_add_u32_e32 v14, v14, v39
	v_lshlrev_b64 v[14:15], 3, v[14:15]
	v_add_co_u32_e32 v14, vcc, s74, v14
	v_addc_co_u32_e32 v15, vcc, v16, v15, vcc
	s_waitcnt lgkmcnt(0)
	global_store_dwordx2 v[14:15], v[12:13], off
	s_or_b64 exec, exec, s[38:39]
	s_and_saveexec_b64 s[38:39], s[48:49]
	s_cbranch_execz .LBB605_301
.LBB605_333:                            ;   in Loop: Header=BB605_228 Depth=2
	v_lshlrev_b32_e32 v12, 2, v92
	ds_read_b32 v14, v12
	v_add_u32_e32 v12, v49, v32
	ds_read_b64 v[12:13], v12 offset:13312
	v_mov_b32_e32 v15, v3
	v_mov_b32_e32 v16, s75
	s_waitcnt lgkmcnt(1)
	v_add_u32_e32 v14, v14, v40
	v_lshlrev_b64 v[14:15], 3, v[14:15]
	v_add_co_u32_e32 v14, vcc, s74, v14
	v_addc_co_u32_e32 v15, vcc, v16, v15, vcc
	s_waitcnt lgkmcnt(0)
	global_store_dwordx2 v[14:15], v[12:13], off
	s_or_b64 exec, exec, s[38:39]
	s_and_saveexec_b64 s[38:39], s[50:51]
	s_cbranch_execnz .LBB605_302
	s_branch .LBB605_303
.LBB605_334:                            ;   in Loop: Header=BB605_228 Depth=2
	global_load_dword v12, v[30:31], off
	v_mov_b32_e32 v13, v11
	v_mov_b32_e32 v14, v11
	;; [unrolled: 1-line block ×7, first 2 shown]
	s_or_b64 exec, exec, s[38:39]
	v_cmp_gt_u32_e32 vcc, s70, v81
	s_and_saveexec_b64 s[38:39], vcc
	s_cbranch_execz .LBB605_233
.LBB605_335:                            ;   in Loop: Header=BB605_228 Depth=2
	global_load_dword v13, v[30:31], off offset:256
	s_or_b64 exec, exec, s[38:39]
	v_cmp_gt_u32_e32 vcc, s70, v82
	s_and_saveexec_b64 s[38:39], vcc
	s_cbranch_execz .LBB605_234
.LBB605_336:                            ;   in Loop: Header=BB605_228 Depth=2
	global_load_dword v14, v[30:31], off offset:512
	s_or_b64 exec, exec, s[38:39]
	v_cmp_gt_u32_e32 vcc, s70, v83
	s_and_saveexec_b64 s[38:39], vcc
	s_cbranch_execz .LBB605_235
.LBB605_337:                            ;   in Loop: Header=BB605_228 Depth=2
	global_load_dword v15, v[30:31], off offset:768
	s_or_b64 exec, exec, s[38:39]
	v_cmp_gt_u32_e32 vcc, s70, v87
	s_and_saveexec_b64 s[38:39], vcc
	s_cbranch_execz .LBB605_236
.LBB605_338:                            ;   in Loop: Header=BB605_228 Depth=2
	global_load_dword v16, v[30:31], off offset:1024
	s_or_b64 exec, exec, s[38:39]
	v_cmp_gt_u32_e32 vcc, s70, v88
	s_and_saveexec_b64 s[38:39], vcc
	s_cbranch_execz .LBB605_237
.LBB605_339:                            ;   in Loop: Header=BB605_228 Depth=2
	global_load_dword v17, v[30:31], off offset:1280
	s_or_b64 exec, exec, s[38:39]
	v_cmp_gt_u32_e32 vcc, s70, v89
	s_and_saveexec_b64 s[38:39], vcc
	s_cbranch_execnz .LBB605_238
	s_branch .LBB605_239
.LBB605_340:                            ;   in Loop: Header=BB605_12 Depth=1
	s_waitcnt lgkmcnt(0)
	s_barrier
.LBB605_341:                            ;   in Loop: Header=BB605_12 Depth=1
	s_mov_b64 s[18:19], 0
.LBB605_342:                            ;   in Loop: Header=BB605_12 Depth=1
	s_andn2_b64 vcc, exec, s[18:19]
	s_cbranch_vccnz .LBB605_11
; %bb.343:                              ;   in Loop: Header=BB605_12 Depth=1
	s_mov_b64 s[18:19], -1
	s_and_b64 vcc, exec, s[54:55]
	s_cbranch_vccz .LBB605_507
; %bb.344:                              ;   in Loop: Header=BB605_12 Depth=1
	v_mov_b32_e32 v10, v3
	v_mov_b32_e32 v4, v3
	;; [unrolled: 1-line block ×8, first 2 shown]
	s_mov_b32 s22, s79
	s_mov_b32 s58, s63
	v_mov_b32_e32 v18, v9
	v_mov_b32_e32 v17, v8
	;; [unrolled: 1-line block ×7, first 2 shown]
	s_barrier
	s_branch .LBB605_346
.LBB605_345:                            ;   in Loop: Header=BB605_346 Depth=2
	s_or_b64 exec, exec, s[18:19]
	s_addk_i32 s22, 0xf800
	s_cmp_ge_u32 s23, s80
	s_mov_b32 s58, s23
	s_cbranch_scc1 .LBB605_382
.LBB605_346:                            ;   Parent Loop BB605_12 Depth=1
                                        ; =>  This Inner Loop Header: Depth=2
	s_add_i32 s23, s58, 0x800
	s_cmp_gt_u32 s23, s80
	s_mov_b64 s[18:19], -1
                                        ; implicit-def: $vgpr20_vgpr21_vgpr22_vgpr23_vgpr24_vgpr25_vgpr26_vgpr27
	s_cbranch_scc1 .LBB605_348
; %bb.347:                              ;   in Loop: Header=BB605_346 Depth=2
	s_lshl_b64 s[18:19], s[58:59], 2
	v_mov_b32_e32 v5, s19
	v_add_co_u32_e32 v4, vcc, s18, v60
	v_addc_co_u32_e32 v5, vcc, v61, v5, vcc
	v_add_co_u32_e32 v6, vcc, 0x1000, v4
	v_addc_co_u32_e32 v7, vcc, 0, v5, vcc
	global_load_dword v20, v[4:5], off
	global_load_dword v21, v[4:5], off offset:1024
	global_load_dword v22, v[4:5], off offset:2048
	global_load_dword v23, v[4:5], off offset:3072
	global_load_dword v24, v[6:7], off
	global_load_dword v25, v[6:7], off offset:1024
	global_load_dword v26, v[6:7], off offset:2048
	;; [unrolled: 1-line block ×3, first 2 shown]
	s_mov_b64 s[18:19], 0
.LBB605_348:                            ;   in Loop: Header=BB605_346 Depth=2
	s_andn2_b64 vcc, exec, s[18:19]
	s_movk_i32 s20, 0x800
	s_cbranch_vccnz .LBB605_359
; %bb.349:                              ;   in Loop: Header=BB605_346 Depth=2
	s_lshl_b64 s[18:19], s[58:59], 2
	s_add_u32 s18, s64, s18
	s_addc_u32 s19, s65, s19
	v_cmp_gt_u32_e32 vcc, s22, v0
	s_and_saveexec_b64 s[20:21], vcc
	s_cbranch_execnz .LBB605_375
; %bb.350:                              ;   in Loop: Header=BB605_346 Depth=2
	s_or_b64 exec, exec, s[20:21]
	v_cmp_gt_u32_e32 vcc, s22, v33
	s_and_saveexec_b64 s[20:21], vcc
	s_cbranch_execnz .LBB605_376
.LBB605_351:                            ;   in Loop: Header=BB605_346 Depth=2
	s_or_b64 exec, exec, s[20:21]
	v_cmp_gt_u32_e32 vcc, s22, v34
	s_and_saveexec_b64 s[20:21], vcc
	s_cbranch_execnz .LBB605_377
.LBB605_352:                            ;   in Loop: Header=BB605_346 Depth=2
	s_or_b64 exec, exec, s[20:21]
	v_cmp_gt_u32_e32 vcc, s22, v35
	s_and_saveexec_b64 s[20:21], vcc
	s_cbranch_execnz .LBB605_378
.LBB605_353:                            ;   in Loop: Header=BB605_346 Depth=2
	s_or_b64 exec, exec, s[20:21]
	v_cmp_gt_u32_e32 vcc, s22, v38
	s_and_saveexec_b64 s[20:21], vcc
	s_cbranch_execnz .LBB605_379
.LBB605_354:                            ;   in Loop: Header=BB605_346 Depth=2
	s_or_b64 exec, exec, s[20:21]
	v_cmp_gt_u32_e32 vcc, s22, v39
	s_and_saveexec_b64 s[20:21], vcc
	s_cbranch_execnz .LBB605_380
.LBB605_355:                            ;   in Loop: Header=BB605_346 Depth=2
	s_or_b64 exec, exec, s[20:21]
	v_cmp_gt_u32_e32 vcc, s22, v40
	s_and_saveexec_b64 s[20:21], vcc
	s_cbranch_execnz .LBB605_381
.LBB605_356:                            ;   in Loop: Header=BB605_346 Depth=2
	s_or_b64 exec, exec, s[20:21]
	v_cmp_gt_u32_e32 vcc, s22, v41
	s_and_saveexec_b64 s[20:21], vcc
	s_cbranch_execz .LBB605_358
.LBB605_357:                            ;   in Loop: Header=BB605_346 Depth=2
	global_load_dword v19, v71, s[18:19]
.LBB605_358:                            ;   in Loop: Header=BB605_346 Depth=2
	s_or_b64 exec, exec, s[20:21]
	s_waitcnt vmcnt(0)
	v_mov_b32_e32 v27, v19
	s_mov_b32 s20, s22
	v_mov_b32_e32 v26, v18
	v_mov_b32_e32 v25, v17
	;; [unrolled: 1-line block ×7, first 2 shown]
.LBB605_359:                            ;   in Loop: Header=BB605_346 Depth=2
	s_waitcnt vmcnt(0)
	v_mov_b32_e32 v12, v20
	v_mov_b32_e32 v13, v21
	;; [unrolled: 1-line block ×8, first 2 shown]
	v_cmp_gt_u32_e32 vcc, s20, v0
	s_and_saveexec_b64 s[18:19], vcc
	s_cbranch_execnz .LBB605_367
; %bb.360:                              ;   in Loop: Header=BB605_346 Depth=2
	s_or_b64 exec, exec, s[18:19]
	v_cmp_gt_u32_e32 vcc, s20, v33
	s_and_saveexec_b64 s[18:19], vcc
	s_cbranch_execnz .LBB605_368
.LBB605_361:                            ;   in Loop: Header=BB605_346 Depth=2
	s_or_b64 exec, exec, s[18:19]
	v_cmp_gt_u32_e32 vcc, s20, v34
	s_and_saveexec_b64 s[18:19], vcc
	s_cbranch_execnz .LBB605_369
.LBB605_362:                            ;   in Loop: Header=BB605_346 Depth=2
	s_or_b64 exec, exec, s[18:19]
	v_cmp_gt_u32_e32 vcc, s20, v35
	s_and_saveexec_b64 s[18:19], vcc
	s_cbranch_execnz .LBB605_370
.LBB605_363:                            ;   in Loop: Header=BB605_346 Depth=2
	s_or_b64 exec, exec, s[18:19]
	v_cmp_gt_u32_e32 vcc, s20, v38
	s_and_saveexec_b64 s[18:19], vcc
	s_cbranch_execnz .LBB605_371
.LBB605_364:                            ;   in Loop: Header=BB605_346 Depth=2
	s_or_b64 exec, exec, s[18:19]
	v_cmp_gt_u32_e32 vcc, s20, v39
	s_and_saveexec_b64 s[18:19], vcc
	s_cbranch_execnz .LBB605_372
.LBB605_365:                            ;   in Loop: Header=BB605_346 Depth=2
	s_or_b64 exec, exec, s[18:19]
	v_cmp_gt_u32_e32 vcc, s20, v40
	s_and_saveexec_b64 s[18:19], vcc
	s_cbranch_execnz .LBB605_373
.LBB605_366:                            ;   in Loop: Header=BB605_346 Depth=2
	s_or_b64 exec, exec, s[18:19]
	v_cmp_gt_u32_e32 vcc, s20, v41
	s_and_saveexec_b64 s[18:19], vcc
	s_cbranch_execz .LBB605_345
	s_branch .LBB605_374
.LBB605_367:                            ;   in Loop: Header=BB605_346 Depth=2
	v_xor_b32_e32 v4, 0x80000000, v12
	v_lshrrev_b32_e32 v4, s77, v4
	v_and_b32_e32 v4, s62, v4
	v_lshl_or_b32 v4, v4, 4, v42
	ds_add_u32 v4, v66
	s_or_b64 exec, exec, s[18:19]
	v_cmp_gt_u32_e32 vcc, s20, v33
	s_and_saveexec_b64 s[18:19], vcc
	s_cbranch_execz .LBB605_361
.LBB605_368:                            ;   in Loop: Header=BB605_346 Depth=2
	v_xor_b32_e32 v4, 0x80000000, v13
	v_lshrrev_b32_e32 v4, s77, v4
	v_and_b32_e32 v4, s62, v4
	v_lshl_or_b32 v4, v4, 4, v42
	ds_add_u32 v4, v66
	s_or_b64 exec, exec, s[18:19]
	v_cmp_gt_u32_e32 vcc, s20, v34
	s_and_saveexec_b64 s[18:19], vcc
	s_cbranch_execz .LBB605_362
.LBB605_369:                            ;   in Loop: Header=BB605_346 Depth=2
	v_xor_b32_e32 v4, 0x80000000, v14
	v_lshrrev_b32_e32 v4, s77, v4
	v_and_b32_e32 v4, s62, v4
	v_lshl_or_b32 v4, v4, 4, v42
	ds_add_u32 v4, v66
	s_or_b64 exec, exec, s[18:19]
	v_cmp_gt_u32_e32 vcc, s20, v35
	s_and_saveexec_b64 s[18:19], vcc
	s_cbranch_execz .LBB605_363
.LBB605_370:                            ;   in Loop: Header=BB605_346 Depth=2
	v_xor_b32_e32 v4, 0x80000000, v15
	v_lshrrev_b32_e32 v4, s77, v4
	v_and_b32_e32 v4, s62, v4
	v_lshl_or_b32 v4, v4, 4, v42
	ds_add_u32 v4, v66
	s_or_b64 exec, exec, s[18:19]
	v_cmp_gt_u32_e32 vcc, s20, v38
	s_and_saveexec_b64 s[18:19], vcc
	s_cbranch_execz .LBB605_364
.LBB605_371:                            ;   in Loop: Header=BB605_346 Depth=2
	v_xor_b32_e32 v4, 0x80000000, v16
	v_lshrrev_b32_e32 v4, s77, v4
	v_and_b32_e32 v4, s62, v4
	v_lshl_or_b32 v4, v4, 4, v42
	ds_add_u32 v4, v66
	s_or_b64 exec, exec, s[18:19]
	v_cmp_gt_u32_e32 vcc, s20, v39
	s_and_saveexec_b64 s[18:19], vcc
	s_cbranch_execz .LBB605_365
.LBB605_372:                            ;   in Loop: Header=BB605_346 Depth=2
	v_xor_b32_e32 v4, 0x80000000, v17
	v_lshrrev_b32_e32 v4, s77, v4
	v_and_b32_e32 v4, s62, v4
	v_lshl_or_b32 v4, v4, 4, v42
	ds_add_u32 v4, v66
	s_or_b64 exec, exec, s[18:19]
	v_cmp_gt_u32_e32 vcc, s20, v40
	s_and_saveexec_b64 s[18:19], vcc
	s_cbranch_execz .LBB605_366
.LBB605_373:                            ;   in Loop: Header=BB605_346 Depth=2
	v_xor_b32_e32 v4, 0x80000000, v18
	v_lshrrev_b32_e32 v4, s77, v4
	v_and_b32_e32 v4, s62, v4
	v_lshl_or_b32 v4, v4, 4, v42
	ds_add_u32 v4, v66
	s_or_b64 exec, exec, s[18:19]
	v_cmp_gt_u32_e32 vcc, s20, v41
	s_and_saveexec_b64 s[18:19], vcc
	s_cbranch_execz .LBB605_345
.LBB605_374:                            ;   in Loop: Header=BB605_346 Depth=2
	v_xor_b32_e32 v4, 0x80000000, v19
	v_lshrrev_b32_e32 v4, s77, v4
	v_and_b32_e32 v4, s62, v4
	v_lshl_or_b32 v4, v4, 4, v42
	ds_add_u32 v4, v66
	s_branch .LBB605_345
.LBB605_375:                            ;   in Loop: Header=BB605_346 Depth=2
	global_load_dword v12, v67, s[18:19]
	s_or_b64 exec, exec, s[20:21]
	v_cmp_gt_u32_e32 vcc, s22, v33
	s_and_saveexec_b64 s[20:21], vcc
	s_cbranch_execz .LBB605_351
.LBB605_376:                            ;   in Loop: Header=BB605_346 Depth=2
	global_load_dword v13, v67, s[18:19] offset:1024
	s_or_b64 exec, exec, s[20:21]
	v_cmp_gt_u32_e32 vcc, s22, v34
	s_and_saveexec_b64 s[20:21], vcc
	s_cbranch_execz .LBB605_352
.LBB605_377:                            ;   in Loop: Header=BB605_346 Depth=2
	global_load_dword v14, v67, s[18:19] offset:2048
	s_or_b64 exec, exec, s[20:21]
	v_cmp_gt_u32_e32 vcc, s22, v35
	s_and_saveexec_b64 s[20:21], vcc
	s_cbranch_execz .LBB605_353
.LBB605_378:                            ;   in Loop: Header=BB605_346 Depth=2
	global_load_dword v15, v67, s[18:19] offset:3072
	s_or_b64 exec, exec, s[20:21]
	v_cmp_gt_u32_e32 vcc, s22, v38
	s_and_saveexec_b64 s[20:21], vcc
	s_cbranch_execz .LBB605_354
.LBB605_379:                            ;   in Loop: Header=BB605_346 Depth=2
	global_load_dword v16, v68, s[18:19]
	s_or_b64 exec, exec, s[20:21]
	v_cmp_gt_u32_e32 vcc, s22, v39
	s_and_saveexec_b64 s[20:21], vcc
	s_cbranch_execz .LBB605_355
.LBB605_380:                            ;   in Loop: Header=BB605_346 Depth=2
	global_load_dword v17, v69, s[18:19]
	s_or_b64 exec, exec, s[20:21]
	v_cmp_gt_u32_e32 vcc, s22, v40
	s_and_saveexec_b64 s[20:21], vcc
	s_cbranch_execz .LBB605_356
.LBB605_381:                            ;   in Loop: Header=BB605_346 Depth=2
	global_load_dword v18, v70, s[18:19]
	s_or_b64 exec, exec, s[20:21]
	v_cmp_gt_u32_e32 vcc, s22, v41
	s_and_saveexec_b64 s[20:21], vcc
	s_cbranch_execnz .LBB605_357
	s_branch .LBB605_358
.LBB605_382:                            ;   in Loop: Header=BB605_12 Depth=1
	v_mov_b32_e32 v4, 0
	s_waitcnt lgkmcnt(0)
	s_barrier
	s_and_saveexec_b64 s[18:19], s[4:5]
	s_cbranch_execz .LBB605_384
; %bb.383:                              ;   in Loop: Header=BB605_12 Depth=1
	ds_read2_b64 v[4:7], v43 offset1:1
	s_waitcnt lgkmcnt(0)
	v_add_u32_e32 v4, v5, v4
	v_add3_u32 v4, v4, v6, v7
.LBB605_384:                            ;   in Loop: Header=BB605_12 Depth=1
	s_or_b64 exec, exec, s[18:19]
	s_nop 0
	v_mov_b32_dpp v5, v4 row_shr:1 row_mask:0xf bank_mask:0xf
	v_cmp_eq_u32_e64 s[18:19], 0, v73
	v_cndmask_b32_e64 v5, v5, 0, s[18:19]
	v_add_u32_e32 v4, v5, v4
	v_cmp_lt_u32_e64 s[20:21], 1, v73
	v_cmp_lt_u32_e64 s[22:23], 3, v73
	v_mov_b32_dpp v5, v4 row_shr:2 row_mask:0xf bank_mask:0xf
	v_cndmask_b32_e64 v5, 0, v5, s[20:21]
	v_add_u32_e32 v4, v4, v5
	v_cmp_lt_u32_e64 s[24:25], 7, v73
	v_cmp_lt_u32_e64 s[28:29], 31, v72
	v_mov_b32_dpp v5, v4 row_shr:4 row_mask:0xf bank_mask:0xf
	v_cndmask_b32_e64 v5, 0, v5, s[22:23]
	v_add_u32_e32 v4, v4, v5
	v_cmp_eq_u32_e64 s[26:27], 0, v75
	s_nop 0
	v_mov_b32_dpp v5, v4 row_shr:8 row_mask:0xf bank_mask:0xf
	v_cndmask_b32_e64 v5, 0, v5, s[24:25]
	v_add_u32_e32 v4, v4, v5
	s_nop 1
	v_mov_b32_dpp v5, v4 row_bcast:15 row_mask:0xf bank_mask:0xf
	v_and_b32_e32 v5, v74, v5
	v_add_u32_e32 v4, v4, v5
	s_nop 1
	v_mov_b32_dpp v5, v4 row_bcast:31 row_mask:0xf bank_mask:0xf
	v_cndmask_b32_e64 v5, 0, v5, s[28:29]
	v_add_u32_e32 v4, v4, v5
	s_and_saveexec_b64 s[30:31], s[8:9]
; %bb.385:                              ;   in Loop: Header=BB605_12 Depth=1
	ds_write_b32 v45, v4
; %bb.386:                              ;   in Loop: Header=BB605_12 Depth=1
	s_or_b64 exec, exec, s[30:31]
	s_waitcnt lgkmcnt(0)
	s_barrier
	s_and_saveexec_b64 s[30:31], s[10:11]
	s_cbranch_execz .LBB605_388
; %bb.387:                              ;   in Loop: Header=BB605_12 Depth=1
	ds_read_b32 v5, v46
	v_cmp_ne_u32_e32 vcc, 0, v76
	s_waitcnt lgkmcnt(0)
	v_mov_b32_dpp v6, v5 row_shr:1 row_mask:0xf bank_mask:0xf
	v_cndmask_b32_e32 v6, 0, v6, vcc
	v_add_u32_e32 v5, v6, v5
	v_cmp_lt_u32_e32 vcc, 1, v76
	s_nop 0
	v_mov_b32_dpp v6, v5 row_shr:2 row_mask:0xf bank_mask:0xf
	v_cndmask_b32_e32 v6, 0, v6, vcc
	v_add_u32_e32 v5, v5, v6
	ds_write_b32 v46, v5
.LBB605_388:                            ;   in Loop: Header=BB605_12 Depth=1
	s_or_b64 exec, exec, s[30:31]
	v_mov_b32_e32 v5, 0
	s_waitcnt lgkmcnt(0)
	s_barrier
	s_and_saveexec_b64 s[30:31], s[12:13]
; %bb.389:                              ;   in Loop: Header=BB605_12 Depth=1
	ds_read_b32 v5, v47
; %bb.390:                              ;   in Loop: Header=BB605_12 Depth=1
	s_or_b64 exec, exec, s[30:31]
	v_subrev_co_u32_e64 v6, s[30:31], 1, v72
	v_cmp_lt_i32_e32 vcc, v6, v77
	v_cndmask_b32_e32 v6, v6, v72, vcc
	s_waitcnt lgkmcnt(0)
	v_add_u32_e32 v4, v5, v4
	v_lshlrev_b32_e32 v84, 2, v6
	ds_bpermute_b32 v4, v84, v4
	s_waitcnt lgkmcnt(0)
	s_barrier
	s_and_saveexec_b64 s[34:35], s[4:5]
; %bb.391:                              ;   in Loop: Header=BB605_12 Depth=1
	v_cndmask_b32_e64 v4, v4, v5, s[30:31]
	v_add_u32_e32 v4, s63, v4
	ds_write_b32 v32, v4
; %bb.392:                              ;   in Loop: Header=BB605_12 Depth=1
	s_or_b64 exec, exec, s[34:35]
	s_load_dwordx2 s[34:35], s[56:57], 0x0
	v_add_co_u32_e32 v85, vcc, v62, v79
	v_addc_co_u32_e32 v86, vcc, 0, v63, vcc
	s_waitcnt lgkmcnt(0)
	s_cmp_lt_u32 s33, s35
	s_cselect_b32 s35, 14, 20
	s_add_u32 s36, s56, s35
	s_addc_u32 s37, s57, 0
	s_cmp_lt_u32 s6, s34
	s_cselect_b32 s34, 12, 18
	s_add_u32 s34, s56, s34
	global_load_ushort v4, v3, s[36:37]
	s_addc_u32 s35, s57, 0
	global_load_ushort v12, v3, s[34:35]
	v_lshlrev_b32_e32 v14, 2, v78
	v_add_co_u32_e32 v98, vcc, v64, v14
	v_cmp_eq_u32_e64 s[34:35], 0, v76
	v_cmp_lt_u32_e64 s[36:37], 1, v76
	v_or_b32_e32 v87, 0x100, v80
	v_or_b32_e32 v88, 0x140, v80
	;; [unrolled: 1-line block ×4, first 2 shown]
	s_mov_b32 s70, s79
	v_addc_co_u32_e32 v100, vcc, 0, v65, vcc
	s_mov_b32 s58, s63
                                        ; implicit-def: $vgpr5_vgpr6
                                        ; implicit-def: $vgpr7_vgpr8
                                        ; implicit-def: $vgpr9_vgpr10
                                        ; implicit-def: $vgpr20_vgpr21
                                        ; implicit-def: $vgpr22_vgpr23
                                        ; implicit-def: $vgpr24_vgpr25
                                        ; implicit-def: $vgpr26_vgpr27
                                        ; implicit-def: $vgpr28_vgpr29
                                        ; implicit-def: $vgpr91
                                        ; implicit-def: $vgpr92
                                        ; implicit-def: $vgpr93
                                        ; implicit-def: $vgpr94
                                        ; implicit-def: $vgpr95
                                        ; implicit-def: $vgpr96
                                        ; implicit-def: $vgpr97
                                        ; implicit-def: $vgpr99
	s_waitcnt vmcnt(1)
	v_mad_u32_u24 v4, v2, v4, v1
	s_waitcnt vmcnt(0)
	v_mad_u64_u32 v[12:13], s[38:39], v4, v12, v[0:1]
	v_lshrrev_b32_e32 v4, 4, v12
	v_and_b32_e32 v101, 0xffffffc, v4
	s_branch .LBB605_394
.LBB605_393:                            ;   in Loop: Header=BB605_394 Depth=2
	s_or_b64 exec, exec, s[38:39]
	s_addk_i32 s70, 0xf800
	s_cmp_lt_u32 s71, s80
	s_mov_b32 s58, s71
	s_cbranch_scc0 .LBB605_506
.LBB605_394:                            ;   Parent Loop BB605_12 Depth=1
                                        ; =>  This Inner Loop Header: Depth=2
	s_add_i32 s71, s58, 0x800
	s_cmp_gt_u32 s71, s80
	s_cbranch_scc1 .LBB605_396
; %bb.395:                              ;   in Loop: Header=BB605_394 Depth=2
	s_lshl_b64 s[38:39], s[58:59], 2
	v_mov_b32_e32 v4, s39
	v_add_co_u32_e32 v18, vcc, s38, v98
	v_addc_co_u32_e32 v19, vcc, v100, v4, vcc
	global_load_dword v12, v[18:19], off
	global_load_dword v13, v[18:19], off offset:256
	global_load_dword v14, v[18:19], off offset:512
	;; [unrolled: 1-line block ×5, first 2 shown]
	s_nop 0
	global_load_dword v18, v[18:19], off offset:1536
	s_mov_b64 s[38:39], -1
	s_movk_i32 s42, 0x800
	s_cbranch_execz .LBB605_397
	s_branch .LBB605_406
.LBB605_396:                            ;   in Loop: Header=BB605_394 Depth=2
	s_mov_b64 s[38:39], 0
                                        ; implicit-def: $vgpr12_vgpr13_vgpr14_vgpr15_vgpr16_vgpr17_vgpr18_vgpr19
	s_movk_i32 s42, 0x800
.LBB605_397:                            ;   in Loop: Header=BB605_394 Depth=2
	s_lshl_b64 s[38:39], s[58:59], 2
	v_mov_b32_e32 v4, s39
	v_add_co_u32_e32 v30, vcc, s38, v98
	s_waitcnt vmcnt(6)
	v_mov_b32_e32 v12, v11
	s_waitcnt vmcnt(5)
	v_mov_b32_e32 v13, v11
	;; [unrolled: 2-line block ×7, first 2 shown]
	v_addc_co_u32_e32 v31, vcc, v100, v4, vcc
	v_mov_b32_e32 v19, v18
	v_cmp_gt_u32_e32 vcc, s70, v80
	v_mov_b32_e32 v18, v17
	v_mov_b32_e32 v17, v16
	;; [unrolled: 1-line block ×7, first 2 shown]
	s_and_saveexec_b64 s[38:39], vcc
	s_cbranch_execnz .LBB605_500
; %bb.398:                              ;   in Loop: Header=BB605_394 Depth=2
	s_or_b64 exec, exec, s[38:39]
	v_cmp_gt_u32_e32 vcc, s70, v81
	s_and_saveexec_b64 s[38:39], vcc
	s_cbranch_execnz .LBB605_501
.LBB605_399:                            ;   in Loop: Header=BB605_394 Depth=2
	s_or_b64 exec, exec, s[38:39]
	v_cmp_gt_u32_e32 vcc, s70, v82
	s_and_saveexec_b64 s[38:39], vcc
	s_cbranch_execnz .LBB605_502
.LBB605_400:                            ;   in Loop: Header=BB605_394 Depth=2
	s_or_b64 exec, exec, s[38:39]
	v_cmp_gt_u32_e32 vcc, s70, v83
	s_and_saveexec_b64 s[38:39], vcc
	s_cbranch_execnz .LBB605_503
.LBB605_401:                            ;   in Loop: Header=BB605_394 Depth=2
	s_or_b64 exec, exec, s[38:39]
	v_cmp_gt_u32_e32 vcc, s70, v87
	s_and_saveexec_b64 s[38:39], vcc
	s_cbranch_execnz .LBB605_504
.LBB605_402:                            ;   in Loop: Header=BB605_394 Depth=2
	s_or_b64 exec, exec, s[38:39]
	v_cmp_gt_u32_e32 vcc, s70, v88
	s_and_saveexec_b64 s[38:39], vcc
	s_cbranch_execnz .LBB605_505
.LBB605_403:                            ;   in Loop: Header=BB605_394 Depth=2
	s_or_b64 exec, exec, s[38:39]
	v_cmp_gt_u32_e32 vcc, s70, v89
	s_and_saveexec_b64 s[38:39], vcc
	s_cbranch_execz .LBB605_405
.LBB605_404:                            ;   in Loop: Header=BB605_394 Depth=2
	global_load_dword v18, v[30:31], off offset:1536
.LBB605_405:                            ;   in Loop: Header=BB605_394 Depth=2
	s_or_b64 exec, exec, s[38:39]
	s_sub_i32 s42, s80, s58
	v_cmp_gt_u32_e64 s[38:39], s70, v90
.LBB605_406:                            ;   in Loop: Header=BB605_394 Depth=2
	v_mov_b32_e32 v102, s70
	s_and_saveexec_b64 s[40:41], s[38:39]
	s_cbranch_execz .LBB605_408
; %bb.407:                              ;   in Loop: Header=BB605_394 Depth=2
	s_lshl_b64 s[38:39], s[58:59], 2
	v_mov_b32_e32 v4, s39
	v_add_co_u32_e32 v30, vcc, s38, v98
	v_addc_co_u32_e32 v31, vcc, v100, v4, vcc
	global_load_dword v19, v[30:31], off offset:1792
	v_mov_b32_e32 v102, s42
.LBB605_408:                            ;   in Loop: Header=BB605_394 Depth=2
	s_or_b64 exec, exec, s[40:41]
	s_waitcnt vmcnt(0)
	v_xor_b32_e32 v103, 0x80000000, v12
	v_lshrrev_b32_e32 v4, s77, v103
	v_and_b32_e32 v12, s62, v4
	v_and_b32_e32 v4, 1, v12
	v_add_co_u32_e32 v30, vcc, -1, v4
	v_addc_co_u32_e64 v31, s[38:39], 0, -1, vcc
	v_cmp_ne_u32_e32 vcc, 0, v4
	v_xor_b32_e32 v4, vcc_hi, v31
	v_and_b32_e32 v31, exec_hi, v4
	v_lshlrev_b32_e32 v4, 30, v12
	v_xor_b32_e32 v30, vcc_lo, v30
	v_cmp_gt_i64_e32 vcc, 0, v[3:4]
	v_not_b32_e32 v4, v4
	v_ashrrev_i32_e32 v4, 31, v4
	v_and_b32_e32 v30, exec_lo, v30
	v_xor_b32_e32 v106, vcc_hi, v4
	v_xor_b32_e32 v4, vcc_lo, v4
	v_and_b32_e32 v30, v30, v4
	v_lshlrev_b32_e32 v4, 29, v12
	v_cmp_gt_i64_e32 vcc, 0, v[3:4]
	v_not_b32_e32 v4, v4
	v_ashrrev_i32_e32 v4, 31, v4
	v_and_b32_e32 v31, v31, v106
	v_xor_b32_e32 v106, vcc_hi, v4
	v_xor_b32_e32 v4, vcc_lo, v4
	v_and_b32_e32 v30, v30, v4
	v_lshlrev_b32_e32 v4, 28, v12
	v_cmp_gt_i64_e32 vcc, 0, v[3:4]
	v_not_b32_e32 v4, v4
	v_ashrrev_i32_e32 v4, 31, v4
	v_and_b32_e32 v31, v31, v106
	;; [unrolled: 8-line block ×5, first 2 shown]
	v_xor_b32_e32 v106, vcc_hi, v4
	v_xor_b32_e32 v4, vcc_lo, v4
	v_and_b32_e32 v30, v30, v4
	v_lshlrev_b32_e32 v4, 24, v12
	v_cmp_gt_i64_e32 vcc, 0, v[3:4]
	v_not_b32_e32 v4, v4
	v_ashrrev_i32_e32 v4, 31, v4
	v_mul_u32_u24_e32 v107, 20, v12
	v_xor_b32_e32 v12, vcc_hi, v4
	v_xor_b32_e32 v4, vcc_lo, v4
	v_and_b32_e32 v31, v31, v106
	v_and_b32_e32 v30, v30, v4
	;; [unrolled: 1-line block ×3, first 2 shown]
	v_mbcnt_lo_u32_b32 v4, v30, 0
	v_mbcnt_hi_u32_b32 v106, v31, v4
	v_cmp_ne_u64_e32 vcc, 0, v[30:31]
	v_cmp_eq_u32_e64 s[38:39], 0, v106
	v_add_u32_e32 v105, 0x410, v48
	v_add_u32_e32 v104, 0x418, v48
	s_and_b64 s[40:41], vcc, s[38:39]
	v_add_u32_e32 v107, v101, v107
	ds_write2_b32 v105, v3, v3 offset1:1
	ds_write2_b32 v104, v3, v3 offset1:1
	ds_write_b32 v48, v3 offset:1056
	s_waitcnt lgkmcnt(0)
	s_barrier
	; wave barrier
	s_and_saveexec_b64 s[38:39], s[40:41]
; %bb.409:                              ;   in Loop: Header=BB605_394 Depth=2
	v_bcnt_u32_b32 v4, v30, 0
	v_bcnt_u32_b32 v4, v31, v4
	ds_write_b32 v107, v4 offset:1040
; %bb.410:                              ;   in Loop: Header=BB605_394 Depth=2
	s_or_b64 exec, exec, s[38:39]
	v_xor_b32_e32 v30, 0x80000000, v13
	v_lshrrev_b32_e32 v4, s77, v30
	v_and_b32_e32 v12, s62, v4
	v_mad_u32_u24 v4, v12, 20, v101
	; wave barrier
	ds_read_b32 v31, v4 offset:1040
	v_and_b32_e32 v4, 1, v12
	v_add_co_u32_e32 v13, vcc, -1, v4
	v_addc_co_u32_e64 v108, s[38:39], 0, -1, vcc
	v_cmp_ne_u32_e32 vcc, 0, v4
	v_xor_b32_e32 v4, vcc_hi, v108
	v_and_b32_e32 v108, exec_hi, v4
	v_lshlrev_b32_e32 v4, 30, v12
	v_xor_b32_e32 v13, vcc_lo, v13
	v_cmp_gt_i64_e32 vcc, 0, v[3:4]
	v_not_b32_e32 v4, v4
	v_ashrrev_i32_e32 v4, 31, v4
	v_and_b32_e32 v13, exec_lo, v13
	v_xor_b32_e32 v110, vcc_hi, v4
	v_xor_b32_e32 v4, vcc_lo, v4
	v_and_b32_e32 v13, v13, v4
	v_lshlrev_b32_e32 v4, 29, v12
	v_cmp_gt_i64_e32 vcc, 0, v[3:4]
	v_not_b32_e32 v4, v4
	v_ashrrev_i32_e32 v4, 31, v4
	v_and_b32_e32 v108, v108, v110
	v_xor_b32_e32 v110, vcc_hi, v4
	v_xor_b32_e32 v4, vcc_lo, v4
	v_and_b32_e32 v13, v13, v4
	v_lshlrev_b32_e32 v4, 28, v12
	v_cmp_gt_i64_e32 vcc, 0, v[3:4]
	v_not_b32_e32 v4, v4
	v_ashrrev_i32_e32 v4, 31, v4
	v_and_b32_e32 v108, v108, v110
	;; [unrolled: 8-line block ×5, first 2 shown]
	v_xor_b32_e32 v110, vcc_hi, v4
	v_xor_b32_e32 v4, vcc_lo, v4
	v_and_b32_e32 v108, v108, v110
	v_and_b32_e32 v110, v13, v4
	v_lshlrev_b32_e32 v4, 24, v12
	v_cmp_gt_i64_e32 vcc, 0, v[3:4]
	v_not_b32_e32 v4, v4
	v_ashrrev_i32_e32 v4, 31, v4
	v_mul_u32_u24_e32 v109, 20, v12
	v_xor_b32_e32 v12, vcc_hi, v4
	v_xor_b32_e32 v4, vcc_lo, v4
	v_and_b32_e32 v13, v108, v12
	v_and_b32_e32 v12, v110, v4
	v_mbcnt_lo_u32_b32 v4, v12, 0
	v_mbcnt_hi_u32_b32 v108, v13, v4
	v_cmp_ne_u64_e32 vcc, 0, v[12:13]
	v_cmp_eq_u32_e64 s[38:39], 0, v108
	s_and_b64 s[40:41], vcc, s[38:39]
	v_add_u32_e32 v111, v101, v109
	; wave barrier
	s_and_saveexec_b64 s[38:39], s[40:41]
	s_cbranch_execz .LBB605_412
; %bb.411:                              ;   in Loop: Header=BB605_394 Depth=2
	v_bcnt_u32_b32 v4, v12, 0
	v_bcnt_u32_b32 v4, v13, v4
	s_waitcnt lgkmcnt(0)
	v_add_u32_e32 v4, v31, v4
	ds_write_b32 v111, v4 offset:1040
.LBB605_412:                            ;   in Loop: Header=BB605_394 Depth=2
	s_or_b64 exec, exec, s[38:39]
	v_xor_b32_e32 v109, 0x80000000, v14
	v_lshrrev_b32_e32 v4, s77, v109
	v_and_b32_e32 v12, s62, v4
	v_mad_u32_u24 v4, v12, 20, v101
	; wave barrier
	ds_read_b32 v110, v4 offset:1040
	v_and_b32_e32 v4, 1, v12
	v_add_co_u32_e32 v13, vcc, -1, v4
	v_addc_co_u32_e64 v112, s[38:39], 0, -1, vcc
	v_cmp_ne_u32_e32 vcc, 0, v4
	v_xor_b32_e32 v4, vcc_hi, v112
	v_and_b32_e32 v112, exec_hi, v4
	v_lshlrev_b32_e32 v4, 30, v12
	v_xor_b32_e32 v13, vcc_lo, v13
	v_cmp_gt_i64_e32 vcc, 0, v[3:4]
	v_not_b32_e32 v4, v4
	v_ashrrev_i32_e32 v4, 31, v4
	v_and_b32_e32 v13, exec_lo, v13
	v_xor_b32_e32 v113, vcc_hi, v4
	v_xor_b32_e32 v4, vcc_lo, v4
	v_and_b32_e32 v13, v13, v4
	v_lshlrev_b32_e32 v4, 29, v12
	v_cmp_gt_i64_e32 vcc, 0, v[3:4]
	v_not_b32_e32 v4, v4
	v_ashrrev_i32_e32 v4, 31, v4
	v_and_b32_e32 v112, v112, v113
	v_xor_b32_e32 v113, vcc_hi, v4
	v_xor_b32_e32 v4, vcc_lo, v4
	v_and_b32_e32 v13, v13, v4
	v_lshlrev_b32_e32 v4, 28, v12
	v_cmp_gt_i64_e32 vcc, 0, v[3:4]
	v_not_b32_e32 v4, v4
	v_ashrrev_i32_e32 v4, 31, v4
	v_and_b32_e32 v112, v112, v113
	;; [unrolled: 8-line block ×5, first 2 shown]
	v_xor_b32_e32 v113, vcc_hi, v4
	v_xor_b32_e32 v4, vcc_lo, v4
	v_and_b32_e32 v112, v112, v113
	v_and_b32_e32 v113, v13, v4
	v_lshlrev_b32_e32 v4, 24, v12
	v_cmp_gt_i64_e32 vcc, 0, v[3:4]
	v_not_b32_e32 v4, v4
	v_ashrrev_i32_e32 v4, 31, v4
	v_mul_u32_u24_e32 v14, 20, v12
	v_xor_b32_e32 v12, vcc_hi, v4
	v_xor_b32_e32 v4, vcc_lo, v4
	v_and_b32_e32 v13, v112, v12
	v_and_b32_e32 v12, v113, v4
	v_mbcnt_lo_u32_b32 v4, v12, 0
	v_mbcnt_hi_u32_b32 v112, v13, v4
	v_cmp_ne_u64_e32 vcc, 0, v[12:13]
	v_cmp_eq_u32_e64 s[38:39], 0, v112
	s_and_b64 s[40:41], vcc, s[38:39]
	v_add_u32_e32 v115, v101, v14
	; wave barrier
	s_and_saveexec_b64 s[38:39], s[40:41]
	s_cbranch_execz .LBB605_414
; %bb.413:                              ;   in Loop: Header=BB605_394 Depth=2
	v_bcnt_u32_b32 v4, v12, 0
	v_bcnt_u32_b32 v4, v13, v4
	s_waitcnt lgkmcnt(0)
	v_add_u32_e32 v4, v110, v4
	ds_write_b32 v115, v4 offset:1040
.LBB605_414:                            ;   in Loop: Header=BB605_394 Depth=2
	s_or_b64 exec, exec, s[38:39]
	v_xor_b32_e32 v113, 0x80000000, v15
	v_lshrrev_b32_e32 v4, s77, v113
	v_and_b32_e32 v12, s62, v4
	v_mad_u32_u24 v4, v12, 20, v101
	; wave barrier
	ds_read_b32 v114, v4 offset:1040
	v_and_b32_e32 v4, 1, v12
	v_add_co_u32_e32 v13, vcc, -1, v4
	v_addc_co_u32_e64 v15, s[38:39], 0, -1, vcc
	v_cmp_ne_u32_e32 vcc, 0, v4
	v_xor_b32_e32 v4, vcc_hi, v15
	v_and_b32_e32 v15, exec_hi, v4
	v_lshlrev_b32_e32 v4, 30, v12
	v_xor_b32_e32 v13, vcc_lo, v13
	v_cmp_gt_i64_e32 vcc, 0, v[3:4]
	v_not_b32_e32 v4, v4
	v_ashrrev_i32_e32 v4, 31, v4
	v_and_b32_e32 v13, exec_lo, v13
	v_xor_b32_e32 v116, vcc_hi, v4
	v_xor_b32_e32 v4, vcc_lo, v4
	v_and_b32_e32 v13, v13, v4
	v_lshlrev_b32_e32 v4, 29, v12
	v_cmp_gt_i64_e32 vcc, 0, v[3:4]
	v_not_b32_e32 v4, v4
	v_ashrrev_i32_e32 v4, 31, v4
	v_and_b32_e32 v15, v15, v116
	v_xor_b32_e32 v116, vcc_hi, v4
	v_xor_b32_e32 v4, vcc_lo, v4
	v_and_b32_e32 v13, v13, v4
	v_lshlrev_b32_e32 v4, 28, v12
	v_cmp_gt_i64_e32 vcc, 0, v[3:4]
	v_not_b32_e32 v4, v4
	v_ashrrev_i32_e32 v4, 31, v4
	v_and_b32_e32 v15, v15, v116
	;; [unrolled: 8-line block ×5, first 2 shown]
	v_xor_b32_e32 v116, vcc_hi, v4
	v_xor_b32_e32 v4, vcc_lo, v4
	v_and_b32_e32 v15, v15, v116
	v_and_b32_e32 v116, v13, v4
	v_lshlrev_b32_e32 v4, 24, v12
	v_cmp_gt_i64_e32 vcc, 0, v[3:4]
	v_not_b32_e32 v4, v4
	v_ashrrev_i32_e32 v4, 31, v4
	v_mul_u32_u24_e32 v14, 20, v12
	v_xor_b32_e32 v12, vcc_hi, v4
	v_xor_b32_e32 v4, vcc_lo, v4
	v_and_b32_e32 v13, v15, v12
	v_and_b32_e32 v12, v116, v4
	v_mbcnt_lo_u32_b32 v4, v12, 0
	v_mbcnt_hi_u32_b32 v116, v13, v4
	v_cmp_ne_u64_e32 vcc, 0, v[12:13]
	v_cmp_eq_u32_e64 s[38:39], 0, v116
	s_and_b64 s[40:41], vcc, s[38:39]
	v_add_u32_e32 v118, v101, v14
	; wave barrier
	s_and_saveexec_b64 s[38:39], s[40:41]
	s_cbranch_execz .LBB605_416
; %bb.415:                              ;   in Loop: Header=BB605_394 Depth=2
	v_bcnt_u32_b32 v4, v12, 0
	v_bcnt_u32_b32 v4, v13, v4
	s_waitcnt lgkmcnt(0)
	v_add_u32_e32 v4, v114, v4
	ds_write_b32 v118, v4 offset:1040
.LBB605_416:                            ;   in Loop: Header=BB605_394 Depth=2
	s_or_b64 exec, exec, s[38:39]
	v_xor_b32_e32 v16, 0x80000000, v16
	v_lshrrev_b32_e32 v4, s77, v16
	v_and_b32_e32 v12, s62, v4
	v_mad_u32_u24 v4, v12, 20, v101
	; wave barrier
	ds_read_b32 v117, v4 offset:1040
	v_and_b32_e32 v4, 1, v12
	v_add_co_u32_e32 v13, vcc, -1, v4
	v_addc_co_u32_e64 v15, s[38:39], 0, -1, vcc
	v_cmp_ne_u32_e32 vcc, 0, v4
	v_xor_b32_e32 v4, vcc_hi, v15
	v_and_b32_e32 v15, exec_hi, v4
	v_lshlrev_b32_e32 v4, 30, v12
	v_xor_b32_e32 v13, vcc_lo, v13
	v_cmp_gt_i64_e32 vcc, 0, v[3:4]
	v_not_b32_e32 v4, v4
	v_ashrrev_i32_e32 v4, 31, v4
	v_and_b32_e32 v13, exec_lo, v13
	v_xor_b32_e32 v119, vcc_hi, v4
	v_xor_b32_e32 v4, vcc_lo, v4
	v_and_b32_e32 v13, v13, v4
	v_lshlrev_b32_e32 v4, 29, v12
	v_cmp_gt_i64_e32 vcc, 0, v[3:4]
	v_not_b32_e32 v4, v4
	v_ashrrev_i32_e32 v4, 31, v4
	v_and_b32_e32 v15, v15, v119
	v_xor_b32_e32 v119, vcc_hi, v4
	v_xor_b32_e32 v4, vcc_lo, v4
	v_and_b32_e32 v13, v13, v4
	v_lshlrev_b32_e32 v4, 28, v12
	v_cmp_gt_i64_e32 vcc, 0, v[3:4]
	v_not_b32_e32 v4, v4
	v_ashrrev_i32_e32 v4, 31, v4
	v_and_b32_e32 v15, v15, v119
	;; [unrolled: 8-line block ×5, first 2 shown]
	v_xor_b32_e32 v119, vcc_hi, v4
	v_xor_b32_e32 v4, vcc_lo, v4
	v_and_b32_e32 v15, v15, v119
	v_and_b32_e32 v119, v13, v4
	v_lshlrev_b32_e32 v4, 24, v12
	v_cmp_gt_i64_e32 vcc, 0, v[3:4]
	v_not_b32_e32 v4, v4
	v_ashrrev_i32_e32 v4, 31, v4
	v_mul_u32_u24_e32 v14, 20, v12
	v_xor_b32_e32 v12, vcc_hi, v4
	v_xor_b32_e32 v4, vcc_lo, v4
	v_and_b32_e32 v13, v15, v12
	v_and_b32_e32 v12, v119, v4
	v_mbcnt_lo_u32_b32 v4, v12, 0
	v_mbcnt_hi_u32_b32 v119, v13, v4
	v_cmp_ne_u64_e32 vcc, 0, v[12:13]
	v_cmp_eq_u32_e64 s[38:39], 0, v119
	s_and_b64 s[40:41], vcc, s[38:39]
	v_add_u32_e32 v121, v101, v14
	; wave barrier
	s_and_saveexec_b64 s[38:39], s[40:41]
	s_cbranch_execz .LBB605_418
; %bb.417:                              ;   in Loop: Header=BB605_394 Depth=2
	v_bcnt_u32_b32 v4, v12, 0
	v_bcnt_u32_b32 v4, v13, v4
	s_waitcnt lgkmcnt(0)
	v_add_u32_e32 v4, v117, v4
	ds_write_b32 v121, v4 offset:1040
.LBB605_418:                            ;   in Loop: Header=BB605_394 Depth=2
	s_or_b64 exec, exec, s[38:39]
	v_xor_b32_e32 v120, 0x80000000, v17
	v_lshrrev_b32_e32 v4, s77, v120
	v_and_b32_e32 v12, s62, v4
	v_mad_u32_u24 v4, v12, 20, v101
	; wave barrier
	ds_read_b32 v17, v4 offset:1040
	v_and_b32_e32 v4, 1, v12
	v_add_co_u32_e32 v13, vcc, -1, v4
	v_addc_co_u32_e64 v15, s[38:39], 0, -1, vcc
	v_cmp_ne_u32_e32 vcc, 0, v4
	v_xor_b32_e32 v4, vcc_hi, v15
	v_and_b32_e32 v15, exec_hi, v4
	v_lshlrev_b32_e32 v4, 30, v12
	v_xor_b32_e32 v13, vcc_lo, v13
	v_cmp_gt_i64_e32 vcc, 0, v[3:4]
	v_not_b32_e32 v4, v4
	v_ashrrev_i32_e32 v4, 31, v4
	v_and_b32_e32 v13, exec_lo, v13
	v_xor_b32_e32 v122, vcc_hi, v4
	v_xor_b32_e32 v4, vcc_lo, v4
	v_and_b32_e32 v13, v13, v4
	v_lshlrev_b32_e32 v4, 29, v12
	v_cmp_gt_i64_e32 vcc, 0, v[3:4]
	v_not_b32_e32 v4, v4
	v_ashrrev_i32_e32 v4, 31, v4
	v_and_b32_e32 v15, v15, v122
	v_xor_b32_e32 v122, vcc_hi, v4
	v_xor_b32_e32 v4, vcc_lo, v4
	v_and_b32_e32 v13, v13, v4
	v_lshlrev_b32_e32 v4, 28, v12
	v_cmp_gt_i64_e32 vcc, 0, v[3:4]
	v_not_b32_e32 v4, v4
	v_ashrrev_i32_e32 v4, 31, v4
	v_and_b32_e32 v15, v15, v122
	;; [unrolled: 8-line block ×5, first 2 shown]
	v_xor_b32_e32 v122, vcc_hi, v4
	v_xor_b32_e32 v4, vcc_lo, v4
	v_and_b32_e32 v15, v15, v122
	v_and_b32_e32 v122, v13, v4
	v_lshlrev_b32_e32 v4, 24, v12
	v_cmp_gt_i64_e32 vcc, 0, v[3:4]
	v_not_b32_e32 v4, v4
	v_ashrrev_i32_e32 v4, 31, v4
	v_mul_u32_u24_e32 v14, 20, v12
	v_xor_b32_e32 v12, vcc_hi, v4
	v_xor_b32_e32 v4, vcc_lo, v4
	v_and_b32_e32 v13, v15, v12
	v_and_b32_e32 v12, v122, v4
	v_mbcnt_lo_u32_b32 v4, v12, 0
	v_mbcnt_hi_u32_b32 v122, v13, v4
	v_cmp_ne_u64_e32 vcc, 0, v[12:13]
	v_cmp_eq_u32_e64 s[38:39], 0, v122
	s_and_b64 s[40:41], vcc, s[38:39]
	v_add_u32_e32 v125, v101, v14
	; wave barrier
	s_and_saveexec_b64 s[38:39], s[40:41]
	s_cbranch_execz .LBB605_420
; %bb.419:                              ;   in Loop: Header=BB605_394 Depth=2
	v_bcnt_u32_b32 v4, v12, 0
	v_bcnt_u32_b32 v4, v13, v4
	s_waitcnt lgkmcnt(0)
	v_add_u32_e32 v4, v17, v4
	ds_write_b32 v125, v4 offset:1040
.LBB605_420:                            ;   in Loop: Header=BB605_394 Depth=2
	s_or_b64 exec, exec, s[38:39]
	v_xor_b32_e32 v123, 0x80000000, v18
	v_lshrrev_b32_e32 v4, s77, v123
	v_and_b32_e32 v12, s62, v4
	v_mad_u32_u24 v4, v12, 20, v101
	; wave barrier
	ds_read_b32 v124, v4 offset:1040
	v_and_b32_e32 v4, 1, v12
	v_add_co_u32_e32 v13, vcc, -1, v4
	v_addc_co_u32_e64 v15, s[38:39], 0, -1, vcc
	v_cmp_ne_u32_e32 vcc, 0, v4
	v_xor_b32_e32 v4, vcc_hi, v15
	v_and_b32_e32 v15, exec_hi, v4
	v_lshlrev_b32_e32 v4, 30, v12
	v_xor_b32_e32 v13, vcc_lo, v13
	v_cmp_gt_i64_e32 vcc, 0, v[3:4]
	v_not_b32_e32 v4, v4
	v_ashrrev_i32_e32 v4, 31, v4
	v_and_b32_e32 v13, exec_lo, v13
	v_xor_b32_e32 v18, vcc_hi, v4
	v_xor_b32_e32 v4, vcc_lo, v4
	v_and_b32_e32 v13, v13, v4
	v_lshlrev_b32_e32 v4, 29, v12
	v_cmp_gt_i64_e32 vcc, 0, v[3:4]
	v_not_b32_e32 v4, v4
	v_ashrrev_i32_e32 v4, 31, v4
	v_and_b32_e32 v15, v15, v18
	v_xor_b32_e32 v18, vcc_hi, v4
	v_xor_b32_e32 v4, vcc_lo, v4
	v_and_b32_e32 v13, v13, v4
	v_lshlrev_b32_e32 v4, 28, v12
	v_cmp_gt_i64_e32 vcc, 0, v[3:4]
	v_not_b32_e32 v4, v4
	v_ashrrev_i32_e32 v4, 31, v4
	v_and_b32_e32 v15, v15, v18
	v_xor_b32_e32 v18, vcc_hi, v4
	v_xor_b32_e32 v4, vcc_lo, v4
	v_and_b32_e32 v13, v13, v4
	v_lshlrev_b32_e32 v4, 27, v12
	v_cmp_gt_i64_e32 vcc, 0, v[3:4]
	v_not_b32_e32 v4, v4
	v_ashrrev_i32_e32 v4, 31, v4
	v_and_b32_e32 v15, v15, v18
	v_xor_b32_e32 v18, vcc_hi, v4
	v_xor_b32_e32 v4, vcc_lo, v4
	v_and_b32_e32 v13, v13, v4
	v_lshlrev_b32_e32 v4, 26, v12
	v_cmp_gt_i64_e32 vcc, 0, v[3:4]
	v_not_b32_e32 v4, v4
	v_ashrrev_i32_e32 v4, 31, v4
	v_and_b32_e32 v15, v15, v18
	v_xor_b32_e32 v18, vcc_hi, v4
	v_xor_b32_e32 v4, vcc_lo, v4
	v_and_b32_e32 v13, v13, v4
	v_lshlrev_b32_e32 v4, 25, v12
	v_cmp_gt_i64_e32 vcc, 0, v[3:4]
	v_not_b32_e32 v4, v4
	v_ashrrev_i32_e32 v4, 31, v4
	v_and_b32_e32 v15, v15, v18
	v_xor_b32_e32 v18, vcc_hi, v4
	v_xor_b32_e32 v4, vcc_lo, v4
	v_and_b32_e32 v15, v15, v18
	v_and_b32_e32 v18, v13, v4
	v_lshlrev_b32_e32 v4, 24, v12
	v_cmp_gt_i64_e32 vcc, 0, v[3:4]
	v_not_b32_e32 v4, v4
	v_ashrrev_i32_e32 v4, 31, v4
	v_mul_u32_u24_e32 v14, 20, v12
	v_xor_b32_e32 v12, vcc_hi, v4
	v_xor_b32_e32 v4, vcc_lo, v4
	v_and_b32_e32 v13, v15, v12
	v_and_b32_e32 v12, v18, v4
	v_mbcnt_lo_u32_b32 v4, v12, 0
	v_mbcnt_hi_u32_b32 v126, v13, v4
	v_cmp_ne_u64_e32 vcc, 0, v[12:13]
	v_cmp_eq_u32_e64 s[38:39], 0, v126
	s_and_b64 s[40:41], vcc, s[38:39]
	v_add_u32_e32 v18, v101, v14
	; wave barrier
	s_and_saveexec_b64 s[38:39], s[40:41]
	s_cbranch_execz .LBB605_422
; %bb.421:                              ;   in Loop: Header=BB605_394 Depth=2
	v_bcnt_u32_b32 v4, v12, 0
	v_bcnt_u32_b32 v4, v13, v4
	s_waitcnt lgkmcnt(0)
	v_add_u32_e32 v4, v124, v4
	ds_write_b32 v18, v4 offset:1040
.LBB605_422:                            ;   in Loop: Header=BB605_394 Depth=2
	s_or_b64 exec, exec, s[38:39]
	v_xor_b32_e32 v127, 0x80000000, v19
	v_lshrrev_b32_e32 v4, s77, v127
	v_and_b32_e32 v12, s62, v4
	v_mad_u32_u24 v4, v12, 20, v101
	; wave barrier
	ds_read_b32 v128, v4 offset:1040
	v_and_b32_e32 v4, 1, v12
	v_add_co_u32_e32 v13, vcc, -1, v4
	v_addc_co_u32_e64 v15, s[38:39], 0, -1, vcc
	v_cmp_ne_u32_e32 vcc, 0, v4
	v_xor_b32_e32 v4, vcc_hi, v15
	v_and_b32_e32 v15, exec_hi, v4
	v_lshlrev_b32_e32 v4, 30, v12
	v_xor_b32_e32 v13, vcc_lo, v13
	v_cmp_gt_i64_e32 vcc, 0, v[3:4]
	v_not_b32_e32 v4, v4
	v_ashrrev_i32_e32 v4, 31, v4
	v_and_b32_e32 v13, exec_lo, v13
	v_xor_b32_e32 v19, vcc_hi, v4
	v_xor_b32_e32 v4, vcc_lo, v4
	v_and_b32_e32 v13, v13, v4
	v_lshlrev_b32_e32 v4, 29, v12
	v_cmp_gt_i64_e32 vcc, 0, v[3:4]
	v_not_b32_e32 v4, v4
	v_ashrrev_i32_e32 v4, 31, v4
	v_and_b32_e32 v15, v15, v19
	v_xor_b32_e32 v19, vcc_hi, v4
	v_xor_b32_e32 v4, vcc_lo, v4
	v_and_b32_e32 v13, v13, v4
	v_lshlrev_b32_e32 v4, 28, v12
	v_cmp_gt_i64_e32 vcc, 0, v[3:4]
	v_not_b32_e32 v4, v4
	v_ashrrev_i32_e32 v4, 31, v4
	v_and_b32_e32 v15, v15, v19
	;; [unrolled: 8-line block ×5, first 2 shown]
	v_xor_b32_e32 v19, vcc_hi, v4
	v_xor_b32_e32 v4, vcc_lo, v4
	v_and_b32_e32 v15, v15, v19
	v_and_b32_e32 v19, v13, v4
	v_lshlrev_b32_e32 v4, 24, v12
	v_cmp_gt_i64_e32 vcc, 0, v[3:4]
	v_not_b32_e32 v4, v4
	v_ashrrev_i32_e32 v4, 31, v4
	v_mul_u32_u24_e32 v14, 20, v12
	v_xor_b32_e32 v12, vcc_hi, v4
	v_xor_b32_e32 v4, vcc_lo, v4
	v_and_b32_e32 v13, v15, v12
	v_and_b32_e32 v12, v19, v4
	v_mbcnt_lo_u32_b32 v4, v12, 0
	v_mbcnt_hi_u32_b32 v129, v13, v4
	v_cmp_ne_u64_e32 vcc, 0, v[12:13]
	v_cmp_eq_u32_e64 s[38:39], 0, v129
	s_and_b64 s[40:41], vcc, s[38:39]
	v_add_u32_e32 v4, v101, v14
	; wave barrier
	s_and_saveexec_b64 s[38:39], s[40:41]
	s_cbranch_execz .LBB605_424
; %bb.423:                              ;   in Loop: Header=BB605_394 Depth=2
	v_bcnt_u32_b32 v12, v12, 0
	v_bcnt_u32_b32 v12, v13, v12
	s_waitcnt lgkmcnt(0)
	v_add_u32_e32 v12, v128, v12
	ds_write_b32 v4, v12 offset:1040
.LBB605_424:                            ;   in Loop: Header=BB605_394 Depth=2
	s_or_b64 exec, exec, s[38:39]
	; wave barrier
	s_waitcnt lgkmcnt(0)
	s_barrier
	ds_read2_b32 v[14:15], v105 offset1:1
	ds_read2_b32 v[12:13], v104 offset1:1
	ds_read_b32 v19, v48 offset:1056
	s_waitcnt lgkmcnt(1)
	v_add3_u32 v130, v15, v14, v12
	s_waitcnt lgkmcnt(0)
	v_add3_u32 v19, v130, v13, v19
	s_nop 1
	v_mov_b32_dpp v130, v19 row_shr:1 row_mask:0xf bank_mask:0xf
	v_cndmask_b32_e64 v130, v130, 0, s[18:19]
	v_add_u32_e32 v19, v130, v19
	s_nop 1
	v_mov_b32_dpp v130, v19 row_shr:2 row_mask:0xf bank_mask:0xf
	v_cndmask_b32_e64 v130, 0, v130, s[20:21]
	v_add_u32_e32 v19, v19, v130
	;; [unrolled: 4-line block ×4, first 2 shown]
	s_nop 1
	v_mov_b32_dpp v130, v19 row_bcast:15 row_mask:0xf bank_mask:0xf
	v_cndmask_b32_e64 v130, v130, 0, s[26:27]
	v_add_u32_e32 v19, v19, v130
	s_nop 1
	v_mov_b32_dpp v130, v19 row_bcast:31 row_mask:0xf bank_mask:0xf
	v_cndmask_b32_e64 v130, 0, v130, s[28:29]
	v_add_u32_e32 v19, v19, v130
	s_and_saveexec_b64 s[38:39], s[8:9]
; %bb.425:                              ;   in Loop: Header=BB605_394 Depth=2
	ds_write_b32 v44, v19 offset:1024
; %bb.426:                              ;   in Loop: Header=BB605_394 Depth=2
	s_or_b64 exec, exec, s[38:39]
	s_waitcnt lgkmcnt(0)
	s_barrier
	s_and_saveexec_b64 s[38:39], s[10:11]
	s_cbranch_execz .LBB605_428
; %bb.427:                              ;   in Loop: Header=BB605_394 Depth=2
	ds_read_b32 v130, v49 offset:1024
	s_waitcnt lgkmcnt(0)
	s_nop 0
	v_mov_b32_dpp v131, v130 row_shr:1 row_mask:0xf bank_mask:0xf
	v_cndmask_b32_e64 v131, v131, 0, s[34:35]
	v_add_u32_e32 v130, v131, v130
	s_nop 1
	v_mov_b32_dpp v131, v130 row_shr:2 row_mask:0xf bank_mask:0xf
	v_cndmask_b32_e64 v131, 0, v131, s[36:37]
	v_add_u32_e32 v130, v130, v131
	ds_write_b32 v49, v130 offset:1024
.LBB605_428:                            ;   in Loop: Header=BB605_394 Depth=2
	s_or_b64 exec, exec, s[38:39]
	v_mov_b32_e32 v130, 0
	s_waitcnt lgkmcnt(0)
	s_barrier
	s_and_saveexec_b64 s[38:39], s[12:13]
; %bb.429:                              ;   in Loop: Header=BB605_394 Depth=2
	ds_read_b32 v130, v44 offset:1020
; %bb.430:                              ;   in Loop: Header=BB605_394 Depth=2
	s_or_b64 exec, exec, s[38:39]
	s_waitcnt lgkmcnt(0)
	v_add_u32_e32 v19, v130, v19
	ds_bpermute_b32 v19, v84, v19
	s_waitcnt lgkmcnt(0)
	v_cndmask_b32_e64 v19, v19, v130, s[30:31]
	v_cndmask_b32_e64 v19, v19, 0, s[14:15]
	v_add_u32_e32 v14, v19, v14
	v_add_u32_e32 v15, v14, v15
	;; [unrolled: 1-line block ×4, first 2 shown]
	ds_write2_b32 v105, v19, v14 offset1:1
	ds_write2_b32 v104, v15, v12 offset1:1
	ds_write_b32 v48, v13 offset:1056
	s_waitcnt lgkmcnt(0)
	s_barrier
	ds_read_b32 v12, v107 offset:1040
	ds_read_b32 v13, v111 offset:1040
	;; [unrolled: 1-line block ×9, first 2 shown]
	v_mov_b32_e32 v4, 0x800
	s_and_saveexec_b64 s[38:39], s[16:17]
; %bb.431:                              ;   in Loop: Header=BB605_394 Depth=2
	ds_read_b32 v4, v48 offset:1060
; %bb.432:                              ;   in Loop: Header=BB605_394 Depth=2
	s_or_b64 exec, exec, s[38:39]
	s_waitcnt lgkmcnt(0)
	s_barrier
	s_and_saveexec_b64 s[38:39], s[4:5]
	s_cbranch_execz .LBB605_434
; %bb.433:                              ;   in Loop: Header=BB605_394 Depth=2
	ds_read_b32 v19, v32
	s_waitcnt lgkmcnt(0)
	v_sub_u32_e32 v18, v19, v18
	ds_write_b32 v32, v18
.LBB605_434:                            ;   in Loop: Header=BB605_394 Depth=2
	s_or_b64 exec, exec, s[38:39]
	v_add_u32_e32 v105, v12, v106
	v_add3_u32 v104, v108, v31, v13
	v_lshlrev_b32_e32 v12, 2, v105
	v_add3_u32 v31, v112, v110, v14
	ds_write_b32 v12, v103 offset:1024
	v_lshlrev_b32_e32 v12, 2, v104
	v_add3_u32 v19, v116, v114, v15
	ds_write_b32 v12, v30 offset:1024
	v_lshlrev_b32_e32 v12, 2, v31
	v_add3_u32 v18, v119, v117, v107
	ds_write_b32 v12, v109 offset:1024
	v_lshlrev_b32_e32 v12, 2, v19
	v_add3_u32 v17, v122, v17, v111
	ds_write_b32 v12, v113 offset:1024
	v_lshlrev_b32_e32 v12, 2, v18
	v_add3_u32 v15, v126, v124, v115
	ds_write_b32 v12, v16 offset:1024
	v_lshlrev_b32_e32 v12, 2, v17
	v_add3_u32 v14, v129, v128, v118
	ds_write_b32 v12, v120 offset:1024
	v_lshlrev_b32_e32 v12, 2, v15
	ds_write_b32 v12, v123 offset:1024
	v_lshlrev_b32_e32 v12, 2, v14
	v_cmp_lt_u32_e32 vcc, v0, v102
	ds_write_b32 v12, v127 offset:1024
	s_waitcnt lgkmcnt(0)
	s_barrier
	s_and_saveexec_b64 s[40:41], vcc
	s_cbranch_execnz .LBB605_471
; %bb.435:                              ;   in Loop: Header=BB605_394 Depth=2
	s_or_b64 exec, exec, s[40:41]
	v_cmp_lt_u32_e64 s[38:39], v33, v102
	s_and_saveexec_b64 s[42:43], s[38:39]
	s_cbranch_execnz .LBB605_472
.LBB605_436:                            ;   in Loop: Header=BB605_394 Depth=2
	s_or_b64 exec, exec, s[42:43]
	v_cmp_lt_u32_e64 s[40:41], v34, v102
	s_and_saveexec_b64 s[44:45], s[40:41]
	s_cbranch_execnz .LBB605_473
.LBB605_437:                            ;   in Loop: Header=BB605_394 Depth=2
	s_or_b64 exec, exec, s[44:45]
	v_cmp_lt_u32_e64 s[42:43], v35, v102
	s_and_saveexec_b64 s[46:47], s[42:43]
	s_cbranch_execnz .LBB605_474
.LBB605_438:                            ;   in Loop: Header=BB605_394 Depth=2
	s_or_b64 exec, exec, s[46:47]
	v_cmp_lt_u32_e64 s[44:45], v38, v102
	s_and_saveexec_b64 s[48:49], s[44:45]
	s_cbranch_execnz .LBB605_475
.LBB605_439:                            ;   in Loop: Header=BB605_394 Depth=2
	s_or_b64 exec, exec, s[48:49]
	v_cmp_lt_u32_e64 s[46:47], v39, v102
	s_and_saveexec_b64 s[50:51], s[46:47]
	s_cbranch_execnz .LBB605_476
.LBB605_440:                            ;   in Loop: Header=BB605_394 Depth=2
	s_or_b64 exec, exec, s[50:51]
	v_cmp_lt_u32_e64 s[48:49], v40, v102
	s_and_saveexec_b64 s[52:53], s[48:49]
	s_cbranch_execnz .LBB605_477
.LBB605_441:                            ;   in Loop: Header=BB605_394 Depth=2
	s_or_b64 exec, exec, s[52:53]
	v_cmp_lt_u32_e64 s[50:51], v41, v102
	s_and_saveexec_b64 s[60:61], s[50:51]
	s_cbranch_execz .LBB605_443
.LBB605_442:                            ;   in Loop: Header=BB605_394 Depth=2
	ds_read_b32 v12, v49 offset:8192
	v_mov_b32_e32 v30, s67
	s_waitcnt lgkmcnt(0)
	v_lshrrev_b32_e32 v13, s77, v12
	v_and_b32_e32 v13, s62, v13
	v_lshlrev_b32_e32 v13, 2, v13
	ds_read_b32 v16, v13
	v_mov_b32_e32 v13, v3
	v_xor_b32_e32 v103, 0x80000000, v12
	s_waitcnt lgkmcnt(0)
	v_add_u32_e32 v12, v16, v41
	v_lshlrev_b64 v[12:13], 2, v[12:13]
	v_add_co_u32_e64 v12, s[52:53], s66, v12
	v_addc_co_u32_e64 v13, s[52:53], v30, v13, s[52:53]
	global_store_dword v[12:13], v103, off
.LBB605_443:                            ;   in Loop: Header=BB605_394 Depth=2
	s_or_b64 exec, exec, s[60:61]
	s_lshl_b64 s[52:53], s[58:59], 3
	v_mov_b32_e32 v13, s53
	v_add_co_u32_e64 v12, s[52:53], s52, v85
	v_addc_co_u32_e64 v13, s[52:53], v86, v13, s[52:53]
	v_cmp_lt_u32_e64 s[52:53], v80, v102
	s_and_saveexec_b64 s[60:61], s[52:53]
	s_xor_b64 s[52:53], exec, s[60:61]
	s_cbranch_execnz .LBB605_478
; %bb.444:                              ;   in Loop: Header=BB605_394 Depth=2
	s_or_b64 exec, exec, s[52:53]
	v_cmp_lt_u32_e64 s[52:53], v81, v102
	s_and_saveexec_b64 s[60:61], s[52:53]
	s_cbranch_execnz .LBB605_479
.LBB605_445:                            ;   in Loop: Header=BB605_394 Depth=2
	s_or_b64 exec, exec, s[60:61]
	v_cmp_lt_u32_e64 s[52:53], v82, v102
	s_and_saveexec_b64 s[60:61], s[52:53]
	s_cbranch_execnz .LBB605_480
.LBB605_446:                            ;   in Loop: Header=BB605_394 Depth=2
	s_or_b64 exec, exec, s[60:61]
	v_cmp_lt_u32_e64 s[52:53], v83, v102
	s_and_saveexec_b64 s[60:61], s[52:53]
	s_cbranch_execnz .LBB605_481
.LBB605_447:                            ;   in Loop: Header=BB605_394 Depth=2
	s_or_b64 exec, exec, s[60:61]
	v_cmp_lt_u32_e64 s[52:53], v87, v102
	s_and_saveexec_b64 s[60:61], s[52:53]
	s_cbranch_execnz .LBB605_482
.LBB605_448:                            ;   in Loop: Header=BB605_394 Depth=2
	s_or_b64 exec, exec, s[60:61]
	v_cmp_lt_u32_e64 s[52:53], v88, v102
	s_and_saveexec_b64 s[60:61], s[52:53]
	s_cbranch_execnz .LBB605_483
.LBB605_449:                            ;   in Loop: Header=BB605_394 Depth=2
	s_or_b64 exec, exec, s[60:61]
	v_cmp_lt_u32_e64 s[52:53], v89, v102
	s_and_saveexec_b64 s[60:61], s[52:53]
	s_cbranch_execnz .LBB605_484
.LBB605_450:                            ;   in Loop: Header=BB605_394 Depth=2
	s_or_b64 exec, exec, s[60:61]
	v_cmp_lt_u32_e64 s[52:53], v90, v102
	s_and_saveexec_b64 s[60:61], s[52:53]
	s_cbranch_execnz .LBB605_485
.LBB605_451:                            ;   in Loop: Header=BB605_394 Depth=2
	s_or_b64 exec, exec, s[60:61]
	s_and_saveexec_b64 s[52:53], vcc
	s_cbranch_execnz .LBB605_486
.LBB605_452:                            ;   in Loop: Header=BB605_394 Depth=2
	s_or_b64 exec, exec, s[52:53]
	s_and_saveexec_b64 s[52:53], s[38:39]
	s_cbranch_execnz .LBB605_487
.LBB605_453:                            ;   in Loop: Header=BB605_394 Depth=2
	s_or_b64 exec, exec, s[52:53]
	s_and_saveexec_b64 s[52:53], s[40:41]
	s_cbranch_execnz .LBB605_488
.LBB605_454:                            ;   in Loop: Header=BB605_394 Depth=2
	s_or_b64 exec, exec, s[52:53]
	s_and_saveexec_b64 s[52:53], s[42:43]
	s_cbranch_execnz .LBB605_489
.LBB605_455:                            ;   in Loop: Header=BB605_394 Depth=2
	s_or_b64 exec, exec, s[52:53]
	s_and_saveexec_b64 s[52:53], s[44:45]
	s_cbranch_execnz .LBB605_490
.LBB605_456:                            ;   in Loop: Header=BB605_394 Depth=2
	s_or_b64 exec, exec, s[52:53]
	s_and_saveexec_b64 s[52:53], s[46:47]
	s_cbranch_execnz .LBB605_491
.LBB605_457:                            ;   in Loop: Header=BB605_394 Depth=2
	s_or_b64 exec, exec, s[52:53]
	s_and_saveexec_b64 s[52:53], s[48:49]
	s_cbranch_execnz .LBB605_492
.LBB605_458:                            ;   in Loop: Header=BB605_394 Depth=2
	s_or_b64 exec, exec, s[52:53]
	s_and_saveexec_b64 s[52:53], s[50:51]
	s_cbranch_execz .LBB605_460
.LBB605_459:                            ;   in Loop: Header=BB605_394 Depth=2
	ds_read_b32 v12, v49 offset:8192
	s_waitcnt lgkmcnt(0)
	v_lshrrev_b32_e32 v12, s77, v12
	v_and_b32_e32 v91, s62, v12
.LBB605_460:                            ;   in Loop: Header=BB605_394 Depth=2
	s_or_b64 exec, exec, s[52:53]
	v_lshlrev_b32_e32 v12, 3, v105
	s_waitcnt vmcnt(0)
	s_barrier
	ds_write_b64 v12, v[28:29] offset:1024
	v_lshlrev_b32_e32 v12, 3, v104
	ds_write_b64 v12, v[26:27] offset:1024
	v_lshlrev_b32_e32 v12, 3, v31
	;; [unrolled: 2-line block ×7, first 2 shown]
	ds_write_b64 v12, v[5:6] offset:1024
	s_waitcnt lgkmcnt(0)
	s_barrier
	s_and_saveexec_b64 s[52:53], vcc
	s_cbranch_execnz .LBB605_493
; %bb.461:                              ;   in Loop: Header=BB605_394 Depth=2
	s_or_b64 exec, exec, s[52:53]
	s_and_saveexec_b64 s[52:53], s[38:39]
	s_cbranch_execnz .LBB605_494
.LBB605_462:                            ;   in Loop: Header=BB605_394 Depth=2
	s_or_b64 exec, exec, s[52:53]
	s_and_saveexec_b64 s[38:39], s[40:41]
	s_cbranch_execnz .LBB605_495
.LBB605_463:                            ;   in Loop: Header=BB605_394 Depth=2
	s_or_b64 exec, exec, s[38:39]
	s_and_saveexec_b64 s[38:39], s[42:43]
	s_cbranch_execnz .LBB605_496
.LBB605_464:                            ;   in Loop: Header=BB605_394 Depth=2
	s_or_b64 exec, exec, s[38:39]
	s_and_saveexec_b64 s[38:39], s[44:45]
	s_cbranch_execnz .LBB605_497
.LBB605_465:                            ;   in Loop: Header=BB605_394 Depth=2
	s_or_b64 exec, exec, s[38:39]
	s_and_saveexec_b64 s[38:39], s[46:47]
	s_cbranch_execnz .LBB605_498
.LBB605_466:                            ;   in Loop: Header=BB605_394 Depth=2
	s_or_b64 exec, exec, s[38:39]
	s_and_saveexec_b64 s[38:39], s[48:49]
	s_cbranch_execnz .LBB605_499
.LBB605_467:                            ;   in Loop: Header=BB605_394 Depth=2
	s_or_b64 exec, exec, s[38:39]
	s_and_saveexec_b64 s[38:39], s[50:51]
	s_cbranch_execz .LBB605_469
.LBB605_468:                            ;   in Loop: Header=BB605_394 Depth=2
	v_lshlrev_b32_e32 v12, 2, v91
	ds_read_b32 v14, v12
	v_add_u32_e32 v12, v49, v32
	ds_read_b64 v[12:13], v12 offset:15360
	v_mov_b32_e32 v15, v3
	v_mov_b32_e32 v16, s73
	s_waitcnt lgkmcnt(1)
	v_add_u32_e32 v14, v14, v41
	v_lshlrev_b64 v[14:15], 3, v[14:15]
	v_add_co_u32_e32 v14, vcc, s72, v14
	v_addc_co_u32_e32 v15, vcc, v16, v15, vcc
	s_waitcnt lgkmcnt(0)
	global_store_dwordx2 v[14:15], v[12:13], off
.LBB605_469:                            ;   in Loop: Header=BB605_394 Depth=2
	s_or_b64 exec, exec, s[38:39]
	s_waitcnt vmcnt(0)
	s_barrier
	s_and_saveexec_b64 s[38:39], s[4:5]
	s_cbranch_execz .LBB605_393
; %bb.470:                              ;   in Loop: Header=BB605_394 Depth=2
	ds_read_b32 v12, v32
	s_waitcnt lgkmcnt(0)
	v_add_u32_e32 v4, v12, v4
	ds_write_b32 v32, v4
	s_branch .LBB605_393
.LBB605_471:                            ;   in Loop: Header=BB605_394 Depth=2
	ds_read_b32 v12, v49 offset:1024
	v_mov_b32_e32 v30, s67
	s_waitcnt lgkmcnt(0)
	v_lshrrev_b32_e32 v13, s77, v12
	v_and_b32_e32 v13, s62, v13
	v_lshlrev_b32_e32 v13, 2, v13
	ds_read_b32 v16, v13
	v_mov_b32_e32 v13, v3
	v_xor_b32_e32 v103, 0x80000000, v12
	s_waitcnt lgkmcnt(0)
	v_add_u32_e32 v12, v16, v0
	v_lshlrev_b64 v[12:13], 2, v[12:13]
	v_add_co_u32_e64 v12, s[38:39], s66, v12
	v_addc_co_u32_e64 v13, s[38:39], v30, v13, s[38:39]
	global_store_dword v[12:13], v103, off
	s_or_b64 exec, exec, s[40:41]
	v_cmp_lt_u32_e64 s[38:39], v33, v102
	s_and_saveexec_b64 s[42:43], s[38:39]
	s_cbranch_execz .LBB605_436
.LBB605_472:                            ;   in Loop: Header=BB605_394 Depth=2
	ds_read_b32 v12, v49 offset:2048
	v_mov_b32_e32 v30, s67
	s_waitcnt lgkmcnt(0)
	v_lshrrev_b32_e32 v13, s77, v12
	v_and_b32_e32 v13, s62, v13
	v_lshlrev_b32_e32 v13, 2, v13
	ds_read_b32 v16, v13
	v_mov_b32_e32 v13, v3
	v_xor_b32_e32 v103, 0x80000000, v12
	s_waitcnt lgkmcnt(0)
	v_add_u32_e32 v12, v16, v33
	v_lshlrev_b64 v[12:13], 2, v[12:13]
	v_add_co_u32_e64 v12, s[40:41], s66, v12
	v_addc_co_u32_e64 v13, s[40:41], v30, v13, s[40:41]
	global_store_dword v[12:13], v103, off
	s_or_b64 exec, exec, s[42:43]
	v_cmp_lt_u32_e64 s[40:41], v34, v102
	s_and_saveexec_b64 s[44:45], s[40:41]
	s_cbranch_execz .LBB605_437
.LBB605_473:                            ;   in Loop: Header=BB605_394 Depth=2
	ds_read_b32 v12, v49 offset:3072
	v_mov_b32_e32 v30, s67
	s_waitcnt lgkmcnt(0)
	v_lshrrev_b32_e32 v13, s77, v12
	v_and_b32_e32 v13, s62, v13
	v_lshlrev_b32_e32 v13, 2, v13
	ds_read_b32 v16, v13
	v_mov_b32_e32 v13, v3
	v_xor_b32_e32 v103, 0x80000000, v12
	s_waitcnt lgkmcnt(0)
	v_add_u32_e32 v12, v16, v34
	v_lshlrev_b64 v[12:13], 2, v[12:13]
	v_add_co_u32_e64 v12, s[42:43], s66, v12
	v_addc_co_u32_e64 v13, s[42:43], v30, v13, s[42:43]
	global_store_dword v[12:13], v103, off
	s_or_b64 exec, exec, s[44:45]
	v_cmp_lt_u32_e64 s[42:43], v35, v102
	s_and_saveexec_b64 s[46:47], s[42:43]
	s_cbranch_execz .LBB605_438
.LBB605_474:                            ;   in Loop: Header=BB605_394 Depth=2
	ds_read_b32 v12, v49 offset:4096
	v_mov_b32_e32 v30, s67
	s_waitcnt lgkmcnt(0)
	v_lshrrev_b32_e32 v13, s77, v12
	v_and_b32_e32 v13, s62, v13
	v_lshlrev_b32_e32 v13, 2, v13
	ds_read_b32 v16, v13
	v_mov_b32_e32 v13, v3
	v_xor_b32_e32 v103, 0x80000000, v12
	s_waitcnt lgkmcnt(0)
	v_add_u32_e32 v12, v16, v35
	v_lshlrev_b64 v[12:13], 2, v[12:13]
	v_add_co_u32_e64 v12, s[44:45], s66, v12
	v_addc_co_u32_e64 v13, s[44:45], v30, v13, s[44:45]
	global_store_dword v[12:13], v103, off
	s_or_b64 exec, exec, s[46:47]
	v_cmp_lt_u32_e64 s[44:45], v38, v102
	s_and_saveexec_b64 s[48:49], s[44:45]
	s_cbranch_execz .LBB605_439
.LBB605_475:                            ;   in Loop: Header=BB605_394 Depth=2
	ds_read_b32 v12, v49 offset:5120
	v_mov_b32_e32 v30, s67
	s_waitcnt lgkmcnt(0)
	v_lshrrev_b32_e32 v13, s77, v12
	v_and_b32_e32 v13, s62, v13
	v_lshlrev_b32_e32 v13, 2, v13
	ds_read_b32 v16, v13
	v_mov_b32_e32 v13, v3
	v_xor_b32_e32 v103, 0x80000000, v12
	s_waitcnt lgkmcnt(0)
	v_add_u32_e32 v12, v16, v38
	v_lshlrev_b64 v[12:13], 2, v[12:13]
	v_add_co_u32_e64 v12, s[46:47], s66, v12
	v_addc_co_u32_e64 v13, s[46:47], v30, v13, s[46:47]
	global_store_dword v[12:13], v103, off
	s_or_b64 exec, exec, s[48:49]
	v_cmp_lt_u32_e64 s[46:47], v39, v102
	s_and_saveexec_b64 s[50:51], s[46:47]
	s_cbranch_execz .LBB605_440
.LBB605_476:                            ;   in Loop: Header=BB605_394 Depth=2
	ds_read_b32 v12, v49 offset:6144
	v_mov_b32_e32 v30, s67
	s_waitcnt lgkmcnt(0)
	v_lshrrev_b32_e32 v13, s77, v12
	v_and_b32_e32 v13, s62, v13
	v_lshlrev_b32_e32 v13, 2, v13
	ds_read_b32 v16, v13
	v_mov_b32_e32 v13, v3
	v_xor_b32_e32 v103, 0x80000000, v12
	s_waitcnt lgkmcnt(0)
	v_add_u32_e32 v12, v16, v39
	v_lshlrev_b64 v[12:13], 2, v[12:13]
	v_add_co_u32_e64 v12, s[48:49], s66, v12
	v_addc_co_u32_e64 v13, s[48:49], v30, v13, s[48:49]
	global_store_dword v[12:13], v103, off
	s_or_b64 exec, exec, s[50:51]
	v_cmp_lt_u32_e64 s[48:49], v40, v102
	s_and_saveexec_b64 s[52:53], s[48:49]
	s_cbranch_execz .LBB605_441
.LBB605_477:                            ;   in Loop: Header=BB605_394 Depth=2
	ds_read_b32 v12, v49 offset:7168
	v_mov_b32_e32 v30, s67
	s_waitcnt lgkmcnt(0)
	v_lshrrev_b32_e32 v13, s77, v12
	v_and_b32_e32 v13, s62, v13
	v_lshlrev_b32_e32 v13, 2, v13
	ds_read_b32 v16, v13
	v_mov_b32_e32 v13, v3
	v_xor_b32_e32 v103, 0x80000000, v12
	s_waitcnt lgkmcnt(0)
	v_add_u32_e32 v12, v16, v40
	v_lshlrev_b64 v[12:13], 2, v[12:13]
	v_add_co_u32_e64 v12, s[50:51], s66, v12
	v_addc_co_u32_e64 v13, s[50:51], v30, v13, s[50:51]
	global_store_dword v[12:13], v103, off
	s_or_b64 exec, exec, s[52:53]
	v_cmp_lt_u32_e64 s[50:51], v41, v102
	s_and_saveexec_b64 s[60:61], s[50:51]
	s_cbranch_execnz .LBB605_442
	s_branch .LBB605_443
.LBB605_478:                            ;   in Loop: Header=BB605_394 Depth=2
	global_load_dwordx2 v[28:29], v[12:13], off
	s_or_b64 exec, exec, s[52:53]
	v_cmp_lt_u32_e64 s[52:53], v81, v102
	s_and_saveexec_b64 s[60:61], s[52:53]
	s_cbranch_execz .LBB605_445
.LBB605_479:                            ;   in Loop: Header=BB605_394 Depth=2
	global_load_dwordx2 v[26:27], v[12:13], off offset:512
	s_or_b64 exec, exec, s[60:61]
	v_cmp_lt_u32_e64 s[52:53], v82, v102
	s_and_saveexec_b64 s[60:61], s[52:53]
	s_cbranch_execz .LBB605_446
.LBB605_480:                            ;   in Loop: Header=BB605_394 Depth=2
	global_load_dwordx2 v[24:25], v[12:13], off offset:1024
	s_or_b64 exec, exec, s[60:61]
	v_cmp_lt_u32_e64 s[52:53], v83, v102
	s_and_saveexec_b64 s[60:61], s[52:53]
	s_cbranch_execz .LBB605_447
.LBB605_481:                            ;   in Loop: Header=BB605_394 Depth=2
	global_load_dwordx2 v[22:23], v[12:13], off offset:1536
	s_or_b64 exec, exec, s[60:61]
	v_cmp_lt_u32_e64 s[52:53], v87, v102
	s_and_saveexec_b64 s[60:61], s[52:53]
	s_cbranch_execz .LBB605_448
.LBB605_482:                            ;   in Loop: Header=BB605_394 Depth=2
	global_load_dwordx2 v[20:21], v[12:13], off offset:2048
	s_or_b64 exec, exec, s[60:61]
	v_cmp_lt_u32_e64 s[52:53], v88, v102
	s_and_saveexec_b64 s[60:61], s[52:53]
	s_cbranch_execz .LBB605_449
.LBB605_483:                            ;   in Loop: Header=BB605_394 Depth=2
	global_load_dwordx2 v[9:10], v[12:13], off offset:2560
	s_or_b64 exec, exec, s[60:61]
	v_cmp_lt_u32_e64 s[52:53], v89, v102
	s_and_saveexec_b64 s[60:61], s[52:53]
	s_cbranch_execz .LBB605_450
.LBB605_484:                            ;   in Loop: Header=BB605_394 Depth=2
	global_load_dwordx2 v[7:8], v[12:13], off offset:3072
	s_or_b64 exec, exec, s[60:61]
	v_cmp_lt_u32_e64 s[52:53], v90, v102
	s_and_saveexec_b64 s[60:61], s[52:53]
	s_cbranch_execz .LBB605_451
.LBB605_485:                            ;   in Loop: Header=BB605_394 Depth=2
	global_load_dwordx2 v[5:6], v[12:13], off offset:3584
	s_or_b64 exec, exec, s[60:61]
	s_and_saveexec_b64 s[52:53], vcc
	s_cbranch_execz .LBB605_452
.LBB605_486:                            ;   in Loop: Header=BB605_394 Depth=2
	ds_read_b32 v12, v49 offset:1024
	s_waitcnt lgkmcnt(0)
	v_lshrrev_b32_e32 v12, s77, v12
	v_and_b32_e32 v99, s62, v12
	s_or_b64 exec, exec, s[52:53]
	s_and_saveexec_b64 s[52:53], s[38:39]
	s_cbranch_execz .LBB605_453
.LBB605_487:                            ;   in Loop: Header=BB605_394 Depth=2
	ds_read_b32 v12, v49 offset:2048
	s_waitcnt lgkmcnt(0)
	v_lshrrev_b32_e32 v12, s77, v12
	v_and_b32_e32 v97, s62, v12
	s_or_b64 exec, exec, s[52:53]
	s_and_saveexec_b64 s[52:53], s[40:41]
	s_cbranch_execz .LBB605_454
.LBB605_488:                            ;   in Loop: Header=BB605_394 Depth=2
	ds_read_b32 v12, v49 offset:3072
	s_waitcnt lgkmcnt(0)
	v_lshrrev_b32_e32 v12, s77, v12
	v_and_b32_e32 v96, s62, v12
	s_or_b64 exec, exec, s[52:53]
	s_and_saveexec_b64 s[52:53], s[42:43]
	s_cbranch_execz .LBB605_455
.LBB605_489:                            ;   in Loop: Header=BB605_394 Depth=2
	ds_read_b32 v12, v49 offset:4096
	s_waitcnt lgkmcnt(0)
	v_lshrrev_b32_e32 v12, s77, v12
	v_and_b32_e32 v95, s62, v12
	s_or_b64 exec, exec, s[52:53]
	s_and_saveexec_b64 s[52:53], s[44:45]
	s_cbranch_execz .LBB605_456
.LBB605_490:                            ;   in Loop: Header=BB605_394 Depth=2
	ds_read_b32 v12, v49 offset:5120
	s_waitcnt lgkmcnt(0)
	v_lshrrev_b32_e32 v12, s77, v12
	v_and_b32_e32 v94, s62, v12
	s_or_b64 exec, exec, s[52:53]
	s_and_saveexec_b64 s[52:53], s[46:47]
	s_cbranch_execz .LBB605_457
.LBB605_491:                            ;   in Loop: Header=BB605_394 Depth=2
	ds_read_b32 v12, v49 offset:6144
	s_waitcnt lgkmcnt(0)
	v_lshrrev_b32_e32 v12, s77, v12
	v_and_b32_e32 v93, s62, v12
	s_or_b64 exec, exec, s[52:53]
	s_and_saveexec_b64 s[52:53], s[48:49]
	s_cbranch_execz .LBB605_458
.LBB605_492:                            ;   in Loop: Header=BB605_394 Depth=2
	ds_read_b32 v12, v49 offset:7168
	s_waitcnt lgkmcnt(0)
	v_lshrrev_b32_e32 v12, s77, v12
	v_and_b32_e32 v92, s62, v12
	s_or_b64 exec, exec, s[52:53]
	s_and_saveexec_b64 s[52:53], s[50:51]
	s_cbranch_execnz .LBB605_459
	s_branch .LBB605_460
.LBB605_493:                            ;   in Loop: Header=BB605_394 Depth=2
	v_lshlrev_b32_e32 v12, 2, v99
	ds_read_b32 v14, v12
	v_add_u32_e32 v12, v49, v32
	ds_read_b64 v[12:13], v12 offset:1024
	v_mov_b32_e32 v15, v3
	v_mov_b32_e32 v16, s73
	s_waitcnt lgkmcnt(1)
	v_add_u32_e32 v14, v14, v0
	v_lshlrev_b64 v[14:15], 3, v[14:15]
	v_add_co_u32_e32 v14, vcc, s72, v14
	v_addc_co_u32_e32 v15, vcc, v16, v15, vcc
	s_waitcnt lgkmcnt(0)
	global_store_dwordx2 v[14:15], v[12:13], off
	s_or_b64 exec, exec, s[52:53]
	s_and_saveexec_b64 s[52:53], s[38:39]
	s_cbranch_execz .LBB605_462
.LBB605_494:                            ;   in Loop: Header=BB605_394 Depth=2
	v_lshlrev_b32_e32 v12, 2, v97
	ds_read_b32 v14, v12
	v_add_u32_e32 v12, v49, v32
	ds_read_b64 v[12:13], v12 offset:3072
	v_mov_b32_e32 v15, v3
	v_mov_b32_e32 v16, s73
	s_waitcnt lgkmcnt(1)
	v_add_u32_e32 v14, v14, v33
	v_lshlrev_b64 v[14:15], 3, v[14:15]
	v_add_co_u32_e32 v14, vcc, s72, v14
	v_addc_co_u32_e32 v15, vcc, v16, v15, vcc
	s_waitcnt lgkmcnt(0)
	global_store_dwordx2 v[14:15], v[12:13], off
	s_or_b64 exec, exec, s[52:53]
	s_and_saveexec_b64 s[38:39], s[40:41]
	s_cbranch_execz .LBB605_463
.LBB605_495:                            ;   in Loop: Header=BB605_394 Depth=2
	v_lshlrev_b32_e32 v12, 2, v96
	ds_read_b32 v14, v12
	v_add_u32_e32 v12, v49, v32
	ds_read_b64 v[12:13], v12 offset:5120
	v_mov_b32_e32 v15, v3
	v_mov_b32_e32 v16, s73
	s_waitcnt lgkmcnt(1)
	v_add_u32_e32 v14, v14, v34
	v_lshlrev_b64 v[14:15], 3, v[14:15]
	v_add_co_u32_e32 v14, vcc, s72, v14
	v_addc_co_u32_e32 v15, vcc, v16, v15, vcc
	s_waitcnt lgkmcnt(0)
	global_store_dwordx2 v[14:15], v[12:13], off
	s_or_b64 exec, exec, s[38:39]
	s_and_saveexec_b64 s[38:39], s[42:43]
	s_cbranch_execz .LBB605_464
.LBB605_496:                            ;   in Loop: Header=BB605_394 Depth=2
	v_lshlrev_b32_e32 v12, 2, v95
	ds_read_b32 v14, v12
	v_add_u32_e32 v12, v49, v32
	ds_read_b64 v[12:13], v12 offset:7168
	v_mov_b32_e32 v15, v3
	v_mov_b32_e32 v16, s73
	s_waitcnt lgkmcnt(1)
	v_add_u32_e32 v14, v14, v35
	v_lshlrev_b64 v[14:15], 3, v[14:15]
	v_add_co_u32_e32 v14, vcc, s72, v14
	v_addc_co_u32_e32 v15, vcc, v16, v15, vcc
	s_waitcnt lgkmcnt(0)
	global_store_dwordx2 v[14:15], v[12:13], off
	s_or_b64 exec, exec, s[38:39]
	s_and_saveexec_b64 s[38:39], s[44:45]
	s_cbranch_execz .LBB605_465
.LBB605_497:                            ;   in Loop: Header=BB605_394 Depth=2
	v_lshlrev_b32_e32 v12, 2, v94
	ds_read_b32 v14, v12
	v_add_u32_e32 v12, v49, v32
	ds_read_b64 v[12:13], v12 offset:9216
	v_mov_b32_e32 v15, v3
	v_mov_b32_e32 v16, s73
	s_waitcnt lgkmcnt(1)
	v_add_u32_e32 v14, v14, v38
	v_lshlrev_b64 v[14:15], 3, v[14:15]
	v_add_co_u32_e32 v14, vcc, s72, v14
	v_addc_co_u32_e32 v15, vcc, v16, v15, vcc
	s_waitcnt lgkmcnt(0)
	global_store_dwordx2 v[14:15], v[12:13], off
	s_or_b64 exec, exec, s[38:39]
	s_and_saveexec_b64 s[38:39], s[46:47]
	s_cbranch_execz .LBB605_466
.LBB605_498:                            ;   in Loop: Header=BB605_394 Depth=2
	v_lshlrev_b32_e32 v12, 2, v93
	ds_read_b32 v14, v12
	v_add_u32_e32 v12, v49, v32
	ds_read_b64 v[12:13], v12 offset:11264
	v_mov_b32_e32 v15, v3
	v_mov_b32_e32 v16, s73
	s_waitcnt lgkmcnt(1)
	v_add_u32_e32 v14, v14, v39
	v_lshlrev_b64 v[14:15], 3, v[14:15]
	v_add_co_u32_e32 v14, vcc, s72, v14
	v_addc_co_u32_e32 v15, vcc, v16, v15, vcc
	s_waitcnt lgkmcnt(0)
	global_store_dwordx2 v[14:15], v[12:13], off
	s_or_b64 exec, exec, s[38:39]
	s_and_saveexec_b64 s[38:39], s[48:49]
	s_cbranch_execz .LBB605_467
.LBB605_499:                            ;   in Loop: Header=BB605_394 Depth=2
	v_lshlrev_b32_e32 v12, 2, v92
	ds_read_b32 v14, v12
	v_add_u32_e32 v12, v49, v32
	ds_read_b64 v[12:13], v12 offset:13312
	v_mov_b32_e32 v15, v3
	v_mov_b32_e32 v16, s73
	s_waitcnt lgkmcnt(1)
	v_add_u32_e32 v14, v14, v40
	v_lshlrev_b64 v[14:15], 3, v[14:15]
	v_add_co_u32_e32 v14, vcc, s72, v14
	v_addc_co_u32_e32 v15, vcc, v16, v15, vcc
	s_waitcnt lgkmcnt(0)
	global_store_dwordx2 v[14:15], v[12:13], off
	s_or_b64 exec, exec, s[38:39]
	s_and_saveexec_b64 s[38:39], s[50:51]
	s_cbranch_execnz .LBB605_468
	s_branch .LBB605_469
.LBB605_500:                            ;   in Loop: Header=BB605_394 Depth=2
	global_load_dword v12, v[30:31], off
	v_mov_b32_e32 v13, v11
	v_mov_b32_e32 v14, v11
	;; [unrolled: 1-line block ×7, first 2 shown]
	s_or_b64 exec, exec, s[38:39]
	v_cmp_gt_u32_e32 vcc, s70, v81
	s_and_saveexec_b64 s[38:39], vcc
	s_cbranch_execz .LBB605_399
.LBB605_501:                            ;   in Loop: Header=BB605_394 Depth=2
	global_load_dword v13, v[30:31], off offset:256
	s_or_b64 exec, exec, s[38:39]
	v_cmp_gt_u32_e32 vcc, s70, v82
	s_and_saveexec_b64 s[38:39], vcc
	s_cbranch_execz .LBB605_400
.LBB605_502:                            ;   in Loop: Header=BB605_394 Depth=2
	global_load_dword v14, v[30:31], off offset:512
	s_or_b64 exec, exec, s[38:39]
	v_cmp_gt_u32_e32 vcc, s70, v83
	s_and_saveexec_b64 s[38:39], vcc
	s_cbranch_execz .LBB605_401
.LBB605_503:                            ;   in Loop: Header=BB605_394 Depth=2
	global_load_dword v15, v[30:31], off offset:768
	s_or_b64 exec, exec, s[38:39]
	v_cmp_gt_u32_e32 vcc, s70, v87
	s_and_saveexec_b64 s[38:39], vcc
	s_cbranch_execz .LBB605_402
.LBB605_504:                            ;   in Loop: Header=BB605_394 Depth=2
	global_load_dword v16, v[30:31], off offset:1024
	s_or_b64 exec, exec, s[38:39]
	v_cmp_gt_u32_e32 vcc, s70, v88
	s_and_saveexec_b64 s[38:39], vcc
	s_cbranch_execz .LBB605_403
.LBB605_505:                            ;   in Loop: Header=BB605_394 Depth=2
	global_load_dword v17, v[30:31], off offset:1280
	s_or_b64 exec, exec, s[38:39]
	v_cmp_gt_u32_e32 vcc, s70, v89
	s_and_saveexec_b64 s[38:39], vcc
	s_cbranch_execnz .LBB605_404
	s_branch .LBB605_405
.LBB605_506:                            ;   in Loop: Header=BB605_12 Depth=1
	s_waitcnt lgkmcnt(0)
	s_barrier
	s_mov_b64 s[18:19], 0
.LBB605_507:                            ;   in Loop: Header=BB605_12 Depth=1
	s_and_b64 vcc, exec, s[18:19]
	s_cbranch_vccz .LBB605_11
; %bb.508:                              ;   in Loop: Header=BB605_12 Depth=1
	v_mov_b32_e32 v10, v3
	v_mov_b32_e32 v4, v3
	;; [unrolled: 1-line block ×8, first 2 shown]
	s_mov_b32 s22, s79
	s_mov_b32 s58, s63
	v_mov_b32_e32 v18, v9
	v_mov_b32_e32 v17, v8
	;; [unrolled: 1-line block ×7, first 2 shown]
	s_barrier
	s_branch .LBB605_510
.LBB605_509:                            ;   in Loop: Header=BB605_510 Depth=2
	s_or_b64 exec, exec, s[18:19]
	s_addk_i32 s22, 0xf800
	s_cmp_ge_u32 s23, s80
	s_mov_b32 s58, s23
	s_cbranch_scc1 .LBB605_546
.LBB605_510:                            ;   Parent Loop BB605_12 Depth=1
                                        ; =>  This Inner Loop Header: Depth=2
	s_add_i32 s23, s58, 0x800
	s_cmp_gt_u32 s23, s80
	s_mov_b64 s[18:19], -1
                                        ; implicit-def: $vgpr20_vgpr21_vgpr22_vgpr23_vgpr24_vgpr25_vgpr26_vgpr27
	s_cbranch_scc1 .LBB605_512
; %bb.511:                              ;   in Loop: Header=BB605_510 Depth=2
	s_lshl_b64 s[18:19], s[58:59], 2
	v_mov_b32_e32 v5, s19
	v_add_co_u32_e32 v4, vcc, s18, v60
	v_addc_co_u32_e32 v5, vcc, v61, v5, vcc
	v_add_co_u32_e32 v6, vcc, 0x1000, v4
	v_addc_co_u32_e32 v7, vcc, 0, v5, vcc
	global_load_dword v20, v[4:5], off
	global_load_dword v21, v[4:5], off offset:1024
	global_load_dword v22, v[4:5], off offset:2048
	;; [unrolled: 1-line block ×3, first 2 shown]
	global_load_dword v24, v[6:7], off
	global_load_dword v25, v[6:7], off offset:1024
	global_load_dword v26, v[6:7], off offset:2048
	;; [unrolled: 1-line block ×3, first 2 shown]
	s_mov_b64 s[18:19], 0
.LBB605_512:                            ;   in Loop: Header=BB605_510 Depth=2
	s_andn2_b64 vcc, exec, s[18:19]
	s_movk_i32 s20, 0x800
	s_cbranch_vccnz .LBB605_523
; %bb.513:                              ;   in Loop: Header=BB605_510 Depth=2
	s_lshl_b64 s[18:19], s[58:59], 2
	s_add_u32 s18, s64, s18
	s_addc_u32 s19, s65, s19
	v_cmp_gt_u32_e32 vcc, s22, v0
	s_and_saveexec_b64 s[20:21], vcc
	s_cbranch_execnz .LBB605_539
; %bb.514:                              ;   in Loop: Header=BB605_510 Depth=2
	s_or_b64 exec, exec, s[20:21]
	v_cmp_gt_u32_e32 vcc, s22, v33
	s_and_saveexec_b64 s[20:21], vcc
	s_cbranch_execnz .LBB605_540
.LBB605_515:                            ;   in Loop: Header=BB605_510 Depth=2
	s_or_b64 exec, exec, s[20:21]
	v_cmp_gt_u32_e32 vcc, s22, v34
	s_and_saveexec_b64 s[20:21], vcc
	s_cbranch_execnz .LBB605_541
.LBB605_516:                            ;   in Loop: Header=BB605_510 Depth=2
	s_or_b64 exec, exec, s[20:21]
	v_cmp_gt_u32_e32 vcc, s22, v35
	s_and_saveexec_b64 s[20:21], vcc
	s_cbranch_execnz .LBB605_542
.LBB605_517:                            ;   in Loop: Header=BB605_510 Depth=2
	s_or_b64 exec, exec, s[20:21]
	v_cmp_gt_u32_e32 vcc, s22, v38
	s_and_saveexec_b64 s[20:21], vcc
	s_cbranch_execnz .LBB605_543
.LBB605_518:                            ;   in Loop: Header=BB605_510 Depth=2
	s_or_b64 exec, exec, s[20:21]
	v_cmp_gt_u32_e32 vcc, s22, v39
	s_and_saveexec_b64 s[20:21], vcc
	s_cbranch_execnz .LBB605_544
.LBB605_519:                            ;   in Loop: Header=BB605_510 Depth=2
	s_or_b64 exec, exec, s[20:21]
	v_cmp_gt_u32_e32 vcc, s22, v40
	s_and_saveexec_b64 s[20:21], vcc
	s_cbranch_execnz .LBB605_545
.LBB605_520:                            ;   in Loop: Header=BB605_510 Depth=2
	s_or_b64 exec, exec, s[20:21]
	v_cmp_gt_u32_e32 vcc, s22, v41
	s_and_saveexec_b64 s[20:21], vcc
	s_cbranch_execz .LBB605_522
.LBB605_521:                            ;   in Loop: Header=BB605_510 Depth=2
	global_load_dword v19, v71, s[18:19]
.LBB605_522:                            ;   in Loop: Header=BB605_510 Depth=2
	s_or_b64 exec, exec, s[20:21]
	s_waitcnt vmcnt(0)
	v_mov_b32_e32 v27, v19
	s_mov_b32 s20, s22
	v_mov_b32_e32 v26, v18
	v_mov_b32_e32 v25, v17
	;; [unrolled: 1-line block ×7, first 2 shown]
.LBB605_523:                            ;   in Loop: Header=BB605_510 Depth=2
	s_waitcnt vmcnt(0)
	v_mov_b32_e32 v12, v20
	v_mov_b32_e32 v13, v21
	v_mov_b32_e32 v14, v22
	v_mov_b32_e32 v15, v23
	v_mov_b32_e32 v16, v24
	v_mov_b32_e32 v17, v25
	v_mov_b32_e32 v18, v26
	v_mov_b32_e32 v19, v27
	v_cmp_gt_u32_e32 vcc, s20, v0
	s_and_saveexec_b64 s[18:19], vcc
	s_cbranch_execnz .LBB605_531
; %bb.524:                              ;   in Loop: Header=BB605_510 Depth=2
	s_or_b64 exec, exec, s[18:19]
	v_cmp_gt_u32_e32 vcc, s20, v33
	s_and_saveexec_b64 s[18:19], vcc
	s_cbranch_execnz .LBB605_532
.LBB605_525:                            ;   in Loop: Header=BB605_510 Depth=2
	s_or_b64 exec, exec, s[18:19]
	v_cmp_gt_u32_e32 vcc, s20, v34
	s_and_saveexec_b64 s[18:19], vcc
	s_cbranch_execnz .LBB605_533
.LBB605_526:                            ;   in Loop: Header=BB605_510 Depth=2
	s_or_b64 exec, exec, s[18:19]
	v_cmp_gt_u32_e32 vcc, s20, v35
	s_and_saveexec_b64 s[18:19], vcc
	s_cbranch_execnz .LBB605_534
.LBB605_527:                            ;   in Loop: Header=BB605_510 Depth=2
	s_or_b64 exec, exec, s[18:19]
	v_cmp_gt_u32_e32 vcc, s20, v38
	s_and_saveexec_b64 s[18:19], vcc
	s_cbranch_execnz .LBB605_535
.LBB605_528:                            ;   in Loop: Header=BB605_510 Depth=2
	s_or_b64 exec, exec, s[18:19]
	v_cmp_gt_u32_e32 vcc, s20, v39
	s_and_saveexec_b64 s[18:19], vcc
	s_cbranch_execnz .LBB605_536
.LBB605_529:                            ;   in Loop: Header=BB605_510 Depth=2
	s_or_b64 exec, exec, s[18:19]
	v_cmp_gt_u32_e32 vcc, s20, v40
	s_and_saveexec_b64 s[18:19], vcc
	s_cbranch_execnz .LBB605_537
.LBB605_530:                            ;   in Loop: Header=BB605_510 Depth=2
	s_or_b64 exec, exec, s[18:19]
	v_cmp_gt_u32_e32 vcc, s20, v41
	s_and_saveexec_b64 s[18:19], vcc
	s_cbranch_execz .LBB605_509
	s_branch .LBB605_538
.LBB605_531:                            ;   in Loop: Header=BB605_510 Depth=2
	v_xor_b32_e32 v4, 0x80000000, v12
	v_lshrrev_b32_e32 v4, s77, v4
	v_and_b32_e32 v4, s62, v4
	v_lshl_or_b32 v4, v4, 4, v42
	ds_add_u32 v4, v66
	s_or_b64 exec, exec, s[18:19]
	v_cmp_gt_u32_e32 vcc, s20, v33
	s_and_saveexec_b64 s[18:19], vcc
	s_cbranch_execz .LBB605_525
.LBB605_532:                            ;   in Loop: Header=BB605_510 Depth=2
	v_xor_b32_e32 v4, 0x80000000, v13
	v_lshrrev_b32_e32 v4, s77, v4
	v_and_b32_e32 v4, s62, v4
	v_lshl_or_b32 v4, v4, 4, v42
	ds_add_u32 v4, v66
	s_or_b64 exec, exec, s[18:19]
	v_cmp_gt_u32_e32 vcc, s20, v34
	s_and_saveexec_b64 s[18:19], vcc
	s_cbranch_execz .LBB605_526
.LBB605_533:                            ;   in Loop: Header=BB605_510 Depth=2
	v_xor_b32_e32 v4, 0x80000000, v14
	v_lshrrev_b32_e32 v4, s77, v4
	v_and_b32_e32 v4, s62, v4
	v_lshl_or_b32 v4, v4, 4, v42
	ds_add_u32 v4, v66
	s_or_b64 exec, exec, s[18:19]
	v_cmp_gt_u32_e32 vcc, s20, v35
	s_and_saveexec_b64 s[18:19], vcc
	s_cbranch_execz .LBB605_527
.LBB605_534:                            ;   in Loop: Header=BB605_510 Depth=2
	v_xor_b32_e32 v4, 0x80000000, v15
	v_lshrrev_b32_e32 v4, s77, v4
	v_and_b32_e32 v4, s62, v4
	v_lshl_or_b32 v4, v4, 4, v42
	ds_add_u32 v4, v66
	s_or_b64 exec, exec, s[18:19]
	v_cmp_gt_u32_e32 vcc, s20, v38
	s_and_saveexec_b64 s[18:19], vcc
	s_cbranch_execz .LBB605_528
.LBB605_535:                            ;   in Loop: Header=BB605_510 Depth=2
	v_xor_b32_e32 v4, 0x80000000, v16
	v_lshrrev_b32_e32 v4, s77, v4
	v_and_b32_e32 v4, s62, v4
	v_lshl_or_b32 v4, v4, 4, v42
	ds_add_u32 v4, v66
	s_or_b64 exec, exec, s[18:19]
	v_cmp_gt_u32_e32 vcc, s20, v39
	s_and_saveexec_b64 s[18:19], vcc
	s_cbranch_execz .LBB605_529
.LBB605_536:                            ;   in Loop: Header=BB605_510 Depth=2
	v_xor_b32_e32 v4, 0x80000000, v17
	v_lshrrev_b32_e32 v4, s77, v4
	v_and_b32_e32 v4, s62, v4
	v_lshl_or_b32 v4, v4, 4, v42
	ds_add_u32 v4, v66
	s_or_b64 exec, exec, s[18:19]
	v_cmp_gt_u32_e32 vcc, s20, v40
	s_and_saveexec_b64 s[18:19], vcc
	s_cbranch_execz .LBB605_530
.LBB605_537:                            ;   in Loop: Header=BB605_510 Depth=2
	v_xor_b32_e32 v4, 0x80000000, v18
	v_lshrrev_b32_e32 v4, s77, v4
	v_and_b32_e32 v4, s62, v4
	v_lshl_or_b32 v4, v4, 4, v42
	ds_add_u32 v4, v66
	s_or_b64 exec, exec, s[18:19]
	v_cmp_gt_u32_e32 vcc, s20, v41
	s_and_saveexec_b64 s[18:19], vcc
	s_cbranch_execz .LBB605_509
.LBB605_538:                            ;   in Loop: Header=BB605_510 Depth=2
	v_xor_b32_e32 v4, 0x80000000, v19
	v_lshrrev_b32_e32 v4, s77, v4
	v_and_b32_e32 v4, s62, v4
	v_lshl_or_b32 v4, v4, 4, v42
	ds_add_u32 v4, v66
	s_branch .LBB605_509
.LBB605_539:                            ;   in Loop: Header=BB605_510 Depth=2
	global_load_dword v12, v67, s[18:19]
	s_or_b64 exec, exec, s[20:21]
	v_cmp_gt_u32_e32 vcc, s22, v33
	s_and_saveexec_b64 s[20:21], vcc
	s_cbranch_execz .LBB605_515
.LBB605_540:                            ;   in Loop: Header=BB605_510 Depth=2
	global_load_dword v13, v67, s[18:19] offset:1024
	s_or_b64 exec, exec, s[20:21]
	v_cmp_gt_u32_e32 vcc, s22, v34
	s_and_saveexec_b64 s[20:21], vcc
	s_cbranch_execz .LBB605_516
.LBB605_541:                            ;   in Loop: Header=BB605_510 Depth=2
	global_load_dword v14, v67, s[18:19] offset:2048
	s_or_b64 exec, exec, s[20:21]
	v_cmp_gt_u32_e32 vcc, s22, v35
	s_and_saveexec_b64 s[20:21], vcc
	s_cbranch_execz .LBB605_517
.LBB605_542:                            ;   in Loop: Header=BB605_510 Depth=2
	global_load_dword v15, v67, s[18:19] offset:3072
	s_or_b64 exec, exec, s[20:21]
	v_cmp_gt_u32_e32 vcc, s22, v38
	s_and_saveexec_b64 s[20:21], vcc
	s_cbranch_execz .LBB605_518
.LBB605_543:                            ;   in Loop: Header=BB605_510 Depth=2
	global_load_dword v16, v68, s[18:19]
	s_or_b64 exec, exec, s[20:21]
	v_cmp_gt_u32_e32 vcc, s22, v39
	s_and_saveexec_b64 s[20:21], vcc
	s_cbranch_execz .LBB605_519
.LBB605_544:                            ;   in Loop: Header=BB605_510 Depth=2
	global_load_dword v17, v69, s[18:19]
	s_or_b64 exec, exec, s[20:21]
	v_cmp_gt_u32_e32 vcc, s22, v40
	s_and_saveexec_b64 s[20:21], vcc
	s_cbranch_execz .LBB605_520
.LBB605_545:                            ;   in Loop: Header=BB605_510 Depth=2
	global_load_dword v18, v70, s[18:19]
	s_or_b64 exec, exec, s[20:21]
	v_cmp_gt_u32_e32 vcc, s22, v41
	s_and_saveexec_b64 s[20:21], vcc
	s_cbranch_execnz .LBB605_521
	s_branch .LBB605_522
.LBB605_546:                            ;   in Loop: Header=BB605_12 Depth=1
	v_mov_b32_e32 v4, 0
	s_waitcnt lgkmcnt(0)
	s_barrier
	s_and_saveexec_b64 s[18:19], s[4:5]
	s_cbranch_execz .LBB605_548
; %bb.547:                              ;   in Loop: Header=BB605_12 Depth=1
	ds_read2_b64 v[4:7], v43 offset1:1
	s_waitcnt lgkmcnt(0)
	v_add_u32_e32 v4, v5, v4
	v_add3_u32 v4, v4, v6, v7
.LBB605_548:                            ;   in Loop: Header=BB605_12 Depth=1
	s_or_b64 exec, exec, s[18:19]
	s_nop 0
	v_mov_b32_dpp v5, v4 row_shr:1 row_mask:0xf bank_mask:0xf
	v_cmp_eq_u32_e64 s[18:19], 0, v73
	v_cndmask_b32_e64 v5, v5, 0, s[18:19]
	v_add_u32_e32 v4, v5, v4
	v_cmp_lt_u32_e64 s[20:21], 1, v73
	v_cmp_lt_u32_e64 s[22:23], 3, v73
	v_mov_b32_dpp v5, v4 row_shr:2 row_mask:0xf bank_mask:0xf
	v_cndmask_b32_e64 v5, 0, v5, s[20:21]
	v_add_u32_e32 v4, v4, v5
	v_cmp_lt_u32_e64 s[24:25], 7, v73
	v_cmp_lt_u32_e64 s[28:29], 31, v72
	v_mov_b32_dpp v5, v4 row_shr:4 row_mask:0xf bank_mask:0xf
	v_cndmask_b32_e64 v5, 0, v5, s[22:23]
	v_add_u32_e32 v4, v4, v5
	v_cmp_eq_u32_e64 s[26:27], 0, v75
	s_nop 0
	v_mov_b32_dpp v5, v4 row_shr:8 row_mask:0xf bank_mask:0xf
	v_cndmask_b32_e64 v5, 0, v5, s[24:25]
	v_add_u32_e32 v4, v4, v5
	s_nop 1
	v_mov_b32_dpp v5, v4 row_bcast:15 row_mask:0xf bank_mask:0xf
	v_and_b32_e32 v5, v74, v5
	v_add_u32_e32 v4, v4, v5
	s_nop 1
	v_mov_b32_dpp v5, v4 row_bcast:31 row_mask:0xf bank_mask:0xf
	v_cndmask_b32_e64 v5, 0, v5, s[28:29]
	v_add_u32_e32 v4, v4, v5
	s_and_saveexec_b64 s[30:31], s[8:9]
; %bb.549:                              ;   in Loop: Header=BB605_12 Depth=1
	ds_write_b32 v45, v4
; %bb.550:                              ;   in Loop: Header=BB605_12 Depth=1
	s_or_b64 exec, exec, s[30:31]
	s_waitcnt lgkmcnt(0)
	s_barrier
	s_and_saveexec_b64 s[30:31], s[10:11]
	s_cbranch_execz .LBB605_552
; %bb.551:                              ;   in Loop: Header=BB605_12 Depth=1
	ds_read_b32 v5, v46
	v_cmp_ne_u32_e32 vcc, 0, v76
	s_waitcnt lgkmcnt(0)
	v_mov_b32_dpp v6, v5 row_shr:1 row_mask:0xf bank_mask:0xf
	v_cndmask_b32_e32 v6, 0, v6, vcc
	v_add_u32_e32 v5, v6, v5
	v_cmp_lt_u32_e32 vcc, 1, v76
	s_nop 0
	v_mov_b32_dpp v6, v5 row_shr:2 row_mask:0xf bank_mask:0xf
	v_cndmask_b32_e32 v6, 0, v6, vcc
	v_add_u32_e32 v5, v5, v6
	ds_write_b32 v46, v5
.LBB605_552:                            ;   in Loop: Header=BB605_12 Depth=1
	s_or_b64 exec, exec, s[30:31]
	v_mov_b32_e32 v5, 0
	s_waitcnt lgkmcnt(0)
	s_barrier
	s_and_saveexec_b64 s[30:31], s[12:13]
; %bb.553:                              ;   in Loop: Header=BB605_12 Depth=1
	ds_read_b32 v5, v47
; %bb.554:                              ;   in Loop: Header=BB605_12 Depth=1
	s_or_b64 exec, exec, s[30:31]
	v_subrev_co_u32_e64 v6, s[30:31], 1, v72
	v_cmp_lt_i32_e32 vcc, v6, v77
	v_cndmask_b32_e32 v6, v6, v72, vcc
	s_waitcnt lgkmcnt(0)
	v_add_u32_e32 v4, v5, v4
	v_lshlrev_b32_e32 v84, 2, v6
	ds_bpermute_b32 v4, v84, v4
	s_waitcnt lgkmcnt(0)
	s_barrier
	s_and_saveexec_b64 s[34:35], s[4:5]
; %bb.555:                              ;   in Loop: Header=BB605_12 Depth=1
	v_cndmask_b32_e64 v4, v4, v5, s[30:31]
	v_add_u32_e32 v4, s63, v4
	ds_write_b32 v32, v4
; %bb.556:                              ;   in Loop: Header=BB605_12 Depth=1
	s_or_b64 exec, exec, s[34:35]
	s_load_dwordx2 s[34:35], s[56:57], 0x0
	v_add_co_u32_e32 v85, vcc, v62, v79
	v_addc_co_u32_e32 v86, vcc, 0, v63, vcc
	s_waitcnt lgkmcnt(0)
	s_cmp_lt_u32 s33, s35
	s_cselect_b32 s35, 14, 20
	s_add_u32 s36, s56, s35
	s_addc_u32 s37, s57, 0
	s_cmp_lt_u32 s6, s34
	s_cselect_b32 s34, 12, 18
	s_add_u32 s34, s56, s34
	global_load_ushort v4, v3, s[36:37]
	s_addc_u32 s35, s57, 0
	global_load_ushort v12, v3, s[34:35]
	v_lshlrev_b32_e32 v14, 2, v78
	v_add_co_u32_e32 v98, vcc, v64, v14
	v_cmp_eq_u32_e64 s[34:35], 0, v76
	v_cmp_lt_u32_e64 s[36:37], 1, v76
	v_or_b32_e32 v87, 0x100, v80
	v_or_b32_e32 v88, 0x140, v80
	;; [unrolled: 1-line block ×4, first 2 shown]
	s_mov_b32 s70, s79
	v_addc_co_u32_e32 v100, vcc, 0, v65, vcc
	s_mov_b32 s58, s63
                                        ; implicit-def: $vgpr5_vgpr6
                                        ; implicit-def: $vgpr7_vgpr8
                                        ; implicit-def: $vgpr9_vgpr10
                                        ; implicit-def: $vgpr20_vgpr21
                                        ; implicit-def: $vgpr22_vgpr23
                                        ; implicit-def: $vgpr24_vgpr25
                                        ; implicit-def: $vgpr26_vgpr27
                                        ; implicit-def: $vgpr28_vgpr29
                                        ; implicit-def: $vgpr91
                                        ; implicit-def: $vgpr92
                                        ; implicit-def: $vgpr93
                                        ; implicit-def: $vgpr94
                                        ; implicit-def: $vgpr95
                                        ; implicit-def: $vgpr96
                                        ; implicit-def: $vgpr97
                                        ; implicit-def: $vgpr99
	s_waitcnt vmcnt(1)
	v_mad_u32_u24 v4, v2, v4, v1
	s_waitcnt vmcnt(0)
	v_mad_u64_u32 v[12:13], s[38:39], v4, v12, v[0:1]
	v_lshrrev_b32_e32 v4, 4, v12
	v_and_b32_e32 v101, 0xffffffc, v4
	s_branch .LBB605_558
.LBB605_557:                            ;   in Loop: Header=BB605_558 Depth=2
	s_or_b64 exec, exec, s[38:39]
	s_addk_i32 s70, 0xf800
	s_cmp_lt_u32 s71, s80
	s_mov_b32 s58, s71
	s_cbranch_scc0 .LBB605_10
.LBB605_558:                            ;   Parent Loop BB605_12 Depth=1
                                        ; =>  This Inner Loop Header: Depth=2
	s_add_i32 s71, s58, 0x800
	s_cmp_gt_u32 s71, s80
	s_cbranch_scc1 .LBB605_560
; %bb.559:                              ;   in Loop: Header=BB605_558 Depth=2
	s_lshl_b64 s[38:39], s[58:59], 2
	v_mov_b32_e32 v4, s39
	v_add_co_u32_e32 v18, vcc, s38, v98
	v_addc_co_u32_e32 v19, vcc, v100, v4, vcc
	global_load_dword v12, v[18:19], off
	global_load_dword v13, v[18:19], off offset:256
	global_load_dword v14, v[18:19], off offset:512
	;; [unrolled: 1-line block ×5, first 2 shown]
	s_nop 0
	global_load_dword v18, v[18:19], off offset:1536
	s_mov_b64 s[38:39], -1
	s_movk_i32 s42, 0x800
	s_cbranch_execz .LBB605_561
	s_branch .LBB605_570
.LBB605_560:                            ;   in Loop: Header=BB605_558 Depth=2
	s_mov_b64 s[38:39], 0
                                        ; implicit-def: $vgpr12_vgpr13_vgpr14_vgpr15_vgpr16_vgpr17_vgpr18_vgpr19
	s_movk_i32 s42, 0x800
.LBB605_561:                            ;   in Loop: Header=BB605_558 Depth=2
	s_lshl_b64 s[38:39], s[58:59], 2
	v_mov_b32_e32 v4, s39
	v_add_co_u32_e32 v30, vcc, s38, v98
	s_waitcnt vmcnt(6)
	v_mov_b32_e32 v12, v11
	s_waitcnt vmcnt(5)
	v_mov_b32_e32 v13, v11
	;; [unrolled: 2-line block ×7, first 2 shown]
	v_addc_co_u32_e32 v31, vcc, v100, v4, vcc
	v_mov_b32_e32 v19, v18
	v_cmp_gt_u32_e32 vcc, s70, v80
	v_mov_b32_e32 v18, v17
	v_mov_b32_e32 v17, v16
	;; [unrolled: 1-line block ×7, first 2 shown]
	s_and_saveexec_b64 s[38:39], vcc
	s_cbranch_execnz .LBB605_664
; %bb.562:                              ;   in Loop: Header=BB605_558 Depth=2
	s_or_b64 exec, exec, s[38:39]
	v_cmp_gt_u32_e32 vcc, s70, v81
	s_and_saveexec_b64 s[38:39], vcc
	s_cbranch_execnz .LBB605_665
.LBB605_563:                            ;   in Loop: Header=BB605_558 Depth=2
	s_or_b64 exec, exec, s[38:39]
	v_cmp_gt_u32_e32 vcc, s70, v82
	s_and_saveexec_b64 s[38:39], vcc
	s_cbranch_execnz .LBB605_666
.LBB605_564:                            ;   in Loop: Header=BB605_558 Depth=2
	s_or_b64 exec, exec, s[38:39]
	v_cmp_gt_u32_e32 vcc, s70, v83
	s_and_saveexec_b64 s[38:39], vcc
	s_cbranch_execnz .LBB605_667
.LBB605_565:                            ;   in Loop: Header=BB605_558 Depth=2
	s_or_b64 exec, exec, s[38:39]
	v_cmp_gt_u32_e32 vcc, s70, v87
	s_and_saveexec_b64 s[38:39], vcc
	s_cbranch_execnz .LBB605_668
.LBB605_566:                            ;   in Loop: Header=BB605_558 Depth=2
	s_or_b64 exec, exec, s[38:39]
	v_cmp_gt_u32_e32 vcc, s70, v88
	s_and_saveexec_b64 s[38:39], vcc
	s_cbranch_execnz .LBB605_669
.LBB605_567:                            ;   in Loop: Header=BB605_558 Depth=2
	s_or_b64 exec, exec, s[38:39]
	v_cmp_gt_u32_e32 vcc, s70, v89
	s_and_saveexec_b64 s[38:39], vcc
	s_cbranch_execz .LBB605_569
.LBB605_568:                            ;   in Loop: Header=BB605_558 Depth=2
	global_load_dword v18, v[30:31], off offset:1536
.LBB605_569:                            ;   in Loop: Header=BB605_558 Depth=2
	s_or_b64 exec, exec, s[38:39]
	s_sub_i32 s42, s80, s58
	v_cmp_gt_u32_e64 s[38:39], s70, v90
.LBB605_570:                            ;   in Loop: Header=BB605_558 Depth=2
	v_mov_b32_e32 v102, s70
	s_and_saveexec_b64 s[40:41], s[38:39]
	s_cbranch_execz .LBB605_572
; %bb.571:                              ;   in Loop: Header=BB605_558 Depth=2
	s_lshl_b64 s[38:39], s[58:59], 2
	v_mov_b32_e32 v4, s39
	v_add_co_u32_e32 v30, vcc, s38, v98
	v_addc_co_u32_e32 v31, vcc, v100, v4, vcc
	global_load_dword v19, v[30:31], off offset:1792
	v_mov_b32_e32 v102, s42
.LBB605_572:                            ;   in Loop: Header=BB605_558 Depth=2
	s_or_b64 exec, exec, s[40:41]
	s_waitcnt vmcnt(0)
	v_xor_b32_e32 v103, 0x80000000, v12
	v_lshrrev_b32_e32 v4, s77, v103
	v_and_b32_e32 v12, s62, v4
	v_and_b32_e32 v4, 1, v12
	v_add_co_u32_e32 v30, vcc, -1, v4
	v_addc_co_u32_e64 v31, s[38:39], 0, -1, vcc
	v_cmp_ne_u32_e32 vcc, 0, v4
	v_xor_b32_e32 v4, vcc_hi, v31
	v_and_b32_e32 v31, exec_hi, v4
	v_lshlrev_b32_e32 v4, 30, v12
	v_xor_b32_e32 v30, vcc_lo, v30
	v_cmp_gt_i64_e32 vcc, 0, v[3:4]
	v_not_b32_e32 v4, v4
	v_ashrrev_i32_e32 v4, 31, v4
	v_and_b32_e32 v30, exec_lo, v30
	v_xor_b32_e32 v106, vcc_hi, v4
	v_xor_b32_e32 v4, vcc_lo, v4
	v_and_b32_e32 v30, v30, v4
	v_lshlrev_b32_e32 v4, 29, v12
	v_cmp_gt_i64_e32 vcc, 0, v[3:4]
	v_not_b32_e32 v4, v4
	v_ashrrev_i32_e32 v4, 31, v4
	v_and_b32_e32 v31, v31, v106
	v_xor_b32_e32 v106, vcc_hi, v4
	v_xor_b32_e32 v4, vcc_lo, v4
	v_and_b32_e32 v30, v30, v4
	v_lshlrev_b32_e32 v4, 28, v12
	v_cmp_gt_i64_e32 vcc, 0, v[3:4]
	v_not_b32_e32 v4, v4
	v_ashrrev_i32_e32 v4, 31, v4
	v_and_b32_e32 v31, v31, v106
	;; [unrolled: 8-line block ×5, first 2 shown]
	v_xor_b32_e32 v106, vcc_hi, v4
	v_xor_b32_e32 v4, vcc_lo, v4
	v_and_b32_e32 v30, v30, v4
	v_lshlrev_b32_e32 v4, 24, v12
	v_cmp_gt_i64_e32 vcc, 0, v[3:4]
	v_not_b32_e32 v4, v4
	v_ashrrev_i32_e32 v4, 31, v4
	v_mul_u32_u24_e32 v107, 20, v12
	v_xor_b32_e32 v12, vcc_hi, v4
	v_xor_b32_e32 v4, vcc_lo, v4
	v_and_b32_e32 v31, v31, v106
	v_and_b32_e32 v30, v30, v4
	;; [unrolled: 1-line block ×3, first 2 shown]
	v_mbcnt_lo_u32_b32 v4, v30, 0
	v_mbcnt_hi_u32_b32 v106, v31, v4
	v_cmp_ne_u64_e32 vcc, 0, v[30:31]
	v_cmp_eq_u32_e64 s[38:39], 0, v106
	v_add_u32_e32 v105, 0x410, v48
	v_add_u32_e32 v104, 0x418, v48
	s_and_b64 s[40:41], vcc, s[38:39]
	v_add_u32_e32 v107, v101, v107
	ds_write2_b32 v105, v3, v3 offset1:1
	ds_write2_b32 v104, v3, v3 offset1:1
	ds_write_b32 v48, v3 offset:1056
	s_waitcnt lgkmcnt(0)
	s_barrier
	; wave barrier
	s_and_saveexec_b64 s[38:39], s[40:41]
; %bb.573:                              ;   in Loop: Header=BB605_558 Depth=2
	v_bcnt_u32_b32 v4, v30, 0
	v_bcnt_u32_b32 v4, v31, v4
	ds_write_b32 v107, v4 offset:1040
; %bb.574:                              ;   in Loop: Header=BB605_558 Depth=2
	s_or_b64 exec, exec, s[38:39]
	v_xor_b32_e32 v30, 0x80000000, v13
	v_lshrrev_b32_e32 v4, s77, v30
	v_and_b32_e32 v12, s62, v4
	v_mad_u32_u24 v4, v12, 20, v101
	; wave barrier
	ds_read_b32 v31, v4 offset:1040
	v_and_b32_e32 v4, 1, v12
	v_add_co_u32_e32 v13, vcc, -1, v4
	v_addc_co_u32_e64 v108, s[38:39], 0, -1, vcc
	v_cmp_ne_u32_e32 vcc, 0, v4
	v_xor_b32_e32 v4, vcc_hi, v108
	v_and_b32_e32 v108, exec_hi, v4
	v_lshlrev_b32_e32 v4, 30, v12
	v_xor_b32_e32 v13, vcc_lo, v13
	v_cmp_gt_i64_e32 vcc, 0, v[3:4]
	v_not_b32_e32 v4, v4
	v_ashrrev_i32_e32 v4, 31, v4
	v_and_b32_e32 v13, exec_lo, v13
	v_xor_b32_e32 v110, vcc_hi, v4
	v_xor_b32_e32 v4, vcc_lo, v4
	v_and_b32_e32 v13, v13, v4
	v_lshlrev_b32_e32 v4, 29, v12
	v_cmp_gt_i64_e32 vcc, 0, v[3:4]
	v_not_b32_e32 v4, v4
	v_ashrrev_i32_e32 v4, 31, v4
	v_and_b32_e32 v108, v108, v110
	v_xor_b32_e32 v110, vcc_hi, v4
	v_xor_b32_e32 v4, vcc_lo, v4
	v_and_b32_e32 v13, v13, v4
	v_lshlrev_b32_e32 v4, 28, v12
	v_cmp_gt_i64_e32 vcc, 0, v[3:4]
	v_not_b32_e32 v4, v4
	v_ashrrev_i32_e32 v4, 31, v4
	v_and_b32_e32 v108, v108, v110
	;; [unrolled: 8-line block ×5, first 2 shown]
	v_xor_b32_e32 v110, vcc_hi, v4
	v_xor_b32_e32 v4, vcc_lo, v4
	v_and_b32_e32 v108, v108, v110
	v_and_b32_e32 v110, v13, v4
	v_lshlrev_b32_e32 v4, 24, v12
	v_cmp_gt_i64_e32 vcc, 0, v[3:4]
	v_not_b32_e32 v4, v4
	v_ashrrev_i32_e32 v4, 31, v4
	v_mul_u32_u24_e32 v109, 20, v12
	v_xor_b32_e32 v12, vcc_hi, v4
	v_xor_b32_e32 v4, vcc_lo, v4
	v_and_b32_e32 v13, v108, v12
	v_and_b32_e32 v12, v110, v4
	v_mbcnt_lo_u32_b32 v4, v12, 0
	v_mbcnt_hi_u32_b32 v108, v13, v4
	v_cmp_ne_u64_e32 vcc, 0, v[12:13]
	v_cmp_eq_u32_e64 s[38:39], 0, v108
	s_and_b64 s[40:41], vcc, s[38:39]
	v_add_u32_e32 v111, v101, v109
	; wave barrier
	s_and_saveexec_b64 s[38:39], s[40:41]
	s_cbranch_execz .LBB605_576
; %bb.575:                              ;   in Loop: Header=BB605_558 Depth=2
	v_bcnt_u32_b32 v4, v12, 0
	v_bcnt_u32_b32 v4, v13, v4
	s_waitcnt lgkmcnt(0)
	v_add_u32_e32 v4, v31, v4
	ds_write_b32 v111, v4 offset:1040
.LBB605_576:                            ;   in Loop: Header=BB605_558 Depth=2
	s_or_b64 exec, exec, s[38:39]
	v_xor_b32_e32 v109, 0x80000000, v14
	v_lshrrev_b32_e32 v4, s77, v109
	v_and_b32_e32 v12, s62, v4
	v_mad_u32_u24 v4, v12, 20, v101
	; wave barrier
	ds_read_b32 v110, v4 offset:1040
	v_and_b32_e32 v4, 1, v12
	v_add_co_u32_e32 v13, vcc, -1, v4
	v_addc_co_u32_e64 v112, s[38:39], 0, -1, vcc
	v_cmp_ne_u32_e32 vcc, 0, v4
	v_xor_b32_e32 v4, vcc_hi, v112
	v_and_b32_e32 v112, exec_hi, v4
	v_lshlrev_b32_e32 v4, 30, v12
	v_xor_b32_e32 v13, vcc_lo, v13
	v_cmp_gt_i64_e32 vcc, 0, v[3:4]
	v_not_b32_e32 v4, v4
	v_ashrrev_i32_e32 v4, 31, v4
	v_and_b32_e32 v13, exec_lo, v13
	v_xor_b32_e32 v113, vcc_hi, v4
	v_xor_b32_e32 v4, vcc_lo, v4
	v_and_b32_e32 v13, v13, v4
	v_lshlrev_b32_e32 v4, 29, v12
	v_cmp_gt_i64_e32 vcc, 0, v[3:4]
	v_not_b32_e32 v4, v4
	v_ashrrev_i32_e32 v4, 31, v4
	v_and_b32_e32 v112, v112, v113
	v_xor_b32_e32 v113, vcc_hi, v4
	v_xor_b32_e32 v4, vcc_lo, v4
	v_and_b32_e32 v13, v13, v4
	v_lshlrev_b32_e32 v4, 28, v12
	v_cmp_gt_i64_e32 vcc, 0, v[3:4]
	v_not_b32_e32 v4, v4
	v_ashrrev_i32_e32 v4, 31, v4
	v_and_b32_e32 v112, v112, v113
	;; [unrolled: 8-line block ×5, first 2 shown]
	v_xor_b32_e32 v113, vcc_hi, v4
	v_xor_b32_e32 v4, vcc_lo, v4
	v_and_b32_e32 v112, v112, v113
	v_and_b32_e32 v113, v13, v4
	v_lshlrev_b32_e32 v4, 24, v12
	v_cmp_gt_i64_e32 vcc, 0, v[3:4]
	v_not_b32_e32 v4, v4
	v_ashrrev_i32_e32 v4, 31, v4
	v_mul_u32_u24_e32 v14, 20, v12
	v_xor_b32_e32 v12, vcc_hi, v4
	v_xor_b32_e32 v4, vcc_lo, v4
	v_and_b32_e32 v13, v112, v12
	v_and_b32_e32 v12, v113, v4
	v_mbcnt_lo_u32_b32 v4, v12, 0
	v_mbcnt_hi_u32_b32 v112, v13, v4
	v_cmp_ne_u64_e32 vcc, 0, v[12:13]
	v_cmp_eq_u32_e64 s[38:39], 0, v112
	s_and_b64 s[40:41], vcc, s[38:39]
	v_add_u32_e32 v115, v101, v14
	; wave barrier
	s_and_saveexec_b64 s[38:39], s[40:41]
	s_cbranch_execz .LBB605_578
; %bb.577:                              ;   in Loop: Header=BB605_558 Depth=2
	v_bcnt_u32_b32 v4, v12, 0
	v_bcnt_u32_b32 v4, v13, v4
	s_waitcnt lgkmcnt(0)
	v_add_u32_e32 v4, v110, v4
	ds_write_b32 v115, v4 offset:1040
.LBB605_578:                            ;   in Loop: Header=BB605_558 Depth=2
	s_or_b64 exec, exec, s[38:39]
	v_xor_b32_e32 v113, 0x80000000, v15
	v_lshrrev_b32_e32 v4, s77, v113
	v_and_b32_e32 v12, s62, v4
	v_mad_u32_u24 v4, v12, 20, v101
	; wave barrier
	ds_read_b32 v114, v4 offset:1040
	v_and_b32_e32 v4, 1, v12
	v_add_co_u32_e32 v13, vcc, -1, v4
	v_addc_co_u32_e64 v15, s[38:39], 0, -1, vcc
	v_cmp_ne_u32_e32 vcc, 0, v4
	v_xor_b32_e32 v4, vcc_hi, v15
	v_and_b32_e32 v15, exec_hi, v4
	v_lshlrev_b32_e32 v4, 30, v12
	v_xor_b32_e32 v13, vcc_lo, v13
	v_cmp_gt_i64_e32 vcc, 0, v[3:4]
	v_not_b32_e32 v4, v4
	v_ashrrev_i32_e32 v4, 31, v4
	v_and_b32_e32 v13, exec_lo, v13
	v_xor_b32_e32 v116, vcc_hi, v4
	v_xor_b32_e32 v4, vcc_lo, v4
	v_and_b32_e32 v13, v13, v4
	v_lshlrev_b32_e32 v4, 29, v12
	v_cmp_gt_i64_e32 vcc, 0, v[3:4]
	v_not_b32_e32 v4, v4
	v_ashrrev_i32_e32 v4, 31, v4
	v_and_b32_e32 v15, v15, v116
	v_xor_b32_e32 v116, vcc_hi, v4
	v_xor_b32_e32 v4, vcc_lo, v4
	v_and_b32_e32 v13, v13, v4
	v_lshlrev_b32_e32 v4, 28, v12
	v_cmp_gt_i64_e32 vcc, 0, v[3:4]
	v_not_b32_e32 v4, v4
	v_ashrrev_i32_e32 v4, 31, v4
	v_and_b32_e32 v15, v15, v116
	;; [unrolled: 8-line block ×5, first 2 shown]
	v_xor_b32_e32 v116, vcc_hi, v4
	v_xor_b32_e32 v4, vcc_lo, v4
	v_and_b32_e32 v15, v15, v116
	v_and_b32_e32 v116, v13, v4
	v_lshlrev_b32_e32 v4, 24, v12
	v_cmp_gt_i64_e32 vcc, 0, v[3:4]
	v_not_b32_e32 v4, v4
	v_ashrrev_i32_e32 v4, 31, v4
	v_mul_u32_u24_e32 v14, 20, v12
	v_xor_b32_e32 v12, vcc_hi, v4
	v_xor_b32_e32 v4, vcc_lo, v4
	v_and_b32_e32 v13, v15, v12
	v_and_b32_e32 v12, v116, v4
	v_mbcnt_lo_u32_b32 v4, v12, 0
	v_mbcnt_hi_u32_b32 v116, v13, v4
	v_cmp_ne_u64_e32 vcc, 0, v[12:13]
	v_cmp_eq_u32_e64 s[38:39], 0, v116
	s_and_b64 s[40:41], vcc, s[38:39]
	v_add_u32_e32 v118, v101, v14
	; wave barrier
	s_and_saveexec_b64 s[38:39], s[40:41]
	s_cbranch_execz .LBB605_580
; %bb.579:                              ;   in Loop: Header=BB605_558 Depth=2
	v_bcnt_u32_b32 v4, v12, 0
	v_bcnt_u32_b32 v4, v13, v4
	s_waitcnt lgkmcnt(0)
	v_add_u32_e32 v4, v114, v4
	ds_write_b32 v118, v4 offset:1040
.LBB605_580:                            ;   in Loop: Header=BB605_558 Depth=2
	s_or_b64 exec, exec, s[38:39]
	v_xor_b32_e32 v16, 0x80000000, v16
	v_lshrrev_b32_e32 v4, s77, v16
	v_and_b32_e32 v12, s62, v4
	v_mad_u32_u24 v4, v12, 20, v101
	; wave barrier
	ds_read_b32 v117, v4 offset:1040
	v_and_b32_e32 v4, 1, v12
	v_add_co_u32_e32 v13, vcc, -1, v4
	v_addc_co_u32_e64 v15, s[38:39], 0, -1, vcc
	v_cmp_ne_u32_e32 vcc, 0, v4
	v_xor_b32_e32 v4, vcc_hi, v15
	v_and_b32_e32 v15, exec_hi, v4
	v_lshlrev_b32_e32 v4, 30, v12
	v_xor_b32_e32 v13, vcc_lo, v13
	v_cmp_gt_i64_e32 vcc, 0, v[3:4]
	v_not_b32_e32 v4, v4
	v_ashrrev_i32_e32 v4, 31, v4
	v_and_b32_e32 v13, exec_lo, v13
	v_xor_b32_e32 v119, vcc_hi, v4
	v_xor_b32_e32 v4, vcc_lo, v4
	v_and_b32_e32 v13, v13, v4
	v_lshlrev_b32_e32 v4, 29, v12
	v_cmp_gt_i64_e32 vcc, 0, v[3:4]
	v_not_b32_e32 v4, v4
	v_ashrrev_i32_e32 v4, 31, v4
	v_and_b32_e32 v15, v15, v119
	v_xor_b32_e32 v119, vcc_hi, v4
	v_xor_b32_e32 v4, vcc_lo, v4
	v_and_b32_e32 v13, v13, v4
	v_lshlrev_b32_e32 v4, 28, v12
	v_cmp_gt_i64_e32 vcc, 0, v[3:4]
	v_not_b32_e32 v4, v4
	v_ashrrev_i32_e32 v4, 31, v4
	v_and_b32_e32 v15, v15, v119
	;; [unrolled: 8-line block ×5, first 2 shown]
	v_xor_b32_e32 v119, vcc_hi, v4
	v_xor_b32_e32 v4, vcc_lo, v4
	v_and_b32_e32 v15, v15, v119
	v_and_b32_e32 v119, v13, v4
	v_lshlrev_b32_e32 v4, 24, v12
	v_cmp_gt_i64_e32 vcc, 0, v[3:4]
	v_not_b32_e32 v4, v4
	v_ashrrev_i32_e32 v4, 31, v4
	v_mul_u32_u24_e32 v14, 20, v12
	v_xor_b32_e32 v12, vcc_hi, v4
	v_xor_b32_e32 v4, vcc_lo, v4
	v_and_b32_e32 v13, v15, v12
	v_and_b32_e32 v12, v119, v4
	v_mbcnt_lo_u32_b32 v4, v12, 0
	v_mbcnt_hi_u32_b32 v119, v13, v4
	v_cmp_ne_u64_e32 vcc, 0, v[12:13]
	v_cmp_eq_u32_e64 s[38:39], 0, v119
	s_and_b64 s[40:41], vcc, s[38:39]
	v_add_u32_e32 v121, v101, v14
	; wave barrier
	s_and_saveexec_b64 s[38:39], s[40:41]
	s_cbranch_execz .LBB605_582
; %bb.581:                              ;   in Loop: Header=BB605_558 Depth=2
	v_bcnt_u32_b32 v4, v12, 0
	v_bcnt_u32_b32 v4, v13, v4
	s_waitcnt lgkmcnt(0)
	v_add_u32_e32 v4, v117, v4
	ds_write_b32 v121, v4 offset:1040
.LBB605_582:                            ;   in Loop: Header=BB605_558 Depth=2
	s_or_b64 exec, exec, s[38:39]
	v_xor_b32_e32 v120, 0x80000000, v17
	v_lshrrev_b32_e32 v4, s77, v120
	v_and_b32_e32 v12, s62, v4
	v_mad_u32_u24 v4, v12, 20, v101
	; wave barrier
	ds_read_b32 v17, v4 offset:1040
	v_and_b32_e32 v4, 1, v12
	v_add_co_u32_e32 v13, vcc, -1, v4
	v_addc_co_u32_e64 v15, s[38:39], 0, -1, vcc
	v_cmp_ne_u32_e32 vcc, 0, v4
	v_xor_b32_e32 v4, vcc_hi, v15
	v_and_b32_e32 v15, exec_hi, v4
	v_lshlrev_b32_e32 v4, 30, v12
	v_xor_b32_e32 v13, vcc_lo, v13
	v_cmp_gt_i64_e32 vcc, 0, v[3:4]
	v_not_b32_e32 v4, v4
	v_ashrrev_i32_e32 v4, 31, v4
	v_and_b32_e32 v13, exec_lo, v13
	v_xor_b32_e32 v122, vcc_hi, v4
	v_xor_b32_e32 v4, vcc_lo, v4
	v_and_b32_e32 v13, v13, v4
	v_lshlrev_b32_e32 v4, 29, v12
	v_cmp_gt_i64_e32 vcc, 0, v[3:4]
	v_not_b32_e32 v4, v4
	v_ashrrev_i32_e32 v4, 31, v4
	v_and_b32_e32 v15, v15, v122
	v_xor_b32_e32 v122, vcc_hi, v4
	v_xor_b32_e32 v4, vcc_lo, v4
	v_and_b32_e32 v13, v13, v4
	v_lshlrev_b32_e32 v4, 28, v12
	v_cmp_gt_i64_e32 vcc, 0, v[3:4]
	v_not_b32_e32 v4, v4
	v_ashrrev_i32_e32 v4, 31, v4
	v_and_b32_e32 v15, v15, v122
	;; [unrolled: 8-line block ×5, first 2 shown]
	v_xor_b32_e32 v122, vcc_hi, v4
	v_xor_b32_e32 v4, vcc_lo, v4
	v_and_b32_e32 v15, v15, v122
	v_and_b32_e32 v122, v13, v4
	v_lshlrev_b32_e32 v4, 24, v12
	v_cmp_gt_i64_e32 vcc, 0, v[3:4]
	v_not_b32_e32 v4, v4
	v_ashrrev_i32_e32 v4, 31, v4
	v_mul_u32_u24_e32 v14, 20, v12
	v_xor_b32_e32 v12, vcc_hi, v4
	v_xor_b32_e32 v4, vcc_lo, v4
	v_and_b32_e32 v13, v15, v12
	v_and_b32_e32 v12, v122, v4
	v_mbcnt_lo_u32_b32 v4, v12, 0
	v_mbcnt_hi_u32_b32 v122, v13, v4
	v_cmp_ne_u64_e32 vcc, 0, v[12:13]
	v_cmp_eq_u32_e64 s[38:39], 0, v122
	s_and_b64 s[40:41], vcc, s[38:39]
	v_add_u32_e32 v125, v101, v14
	; wave barrier
	s_and_saveexec_b64 s[38:39], s[40:41]
	s_cbranch_execz .LBB605_584
; %bb.583:                              ;   in Loop: Header=BB605_558 Depth=2
	v_bcnt_u32_b32 v4, v12, 0
	v_bcnt_u32_b32 v4, v13, v4
	s_waitcnt lgkmcnt(0)
	v_add_u32_e32 v4, v17, v4
	ds_write_b32 v125, v4 offset:1040
.LBB605_584:                            ;   in Loop: Header=BB605_558 Depth=2
	s_or_b64 exec, exec, s[38:39]
	v_xor_b32_e32 v123, 0x80000000, v18
	v_lshrrev_b32_e32 v4, s77, v123
	v_and_b32_e32 v12, s62, v4
	v_mad_u32_u24 v4, v12, 20, v101
	; wave barrier
	ds_read_b32 v124, v4 offset:1040
	v_and_b32_e32 v4, 1, v12
	v_add_co_u32_e32 v13, vcc, -1, v4
	v_addc_co_u32_e64 v15, s[38:39], 0, -1, vcc
	v_cmp_ne_u32_e32 vcc, 0, v4
	v_xor_b32_e32 v4, vcc_hi, v15
	v_and_b32_e32 v15, exec_hi, v4
	v_lshlrev_b32_e32 v4, 30, v12
	v_xor_b32_e32 v13, vcc_lo, v13
	v_cmp_gt_i64_e32 vcc, 0, v[3:4]
	v_not_b32_e32 v4, v4
	v_ashrrev_i32_e32 v4, 31, v4
	v_and_b32_e32 v13, exec_lo, v13
	v_xor_b32_e32 v18, vcc_hi, v4
	v_xor_b32_e32 v4, vcc_lo, v4
	v_and_b32_e32 v13, v13, v4
	v_lshlrev_b32_e32 v4, 29, v12
	v_cmp_gt_i64_e32 vcc, 0, v[3:4]
	v_not_b32_e32 v4, v4
	v_ashrrev_i32_e32 v4, 31, v4
	v_and_b32_e32 v15, v15, v18
	v_xor_b32_e32 v18, vcc_hi, v4
	v_xor_b32_e32 v4, vcc_lo, v4
	v_and_b32_e32 v13, v13, v4
	v_lshlrev_b32_e32 v4, 28, v12
	v_cmp_gt_i64_e32 vcc, 0, v[3:4]
	v_not_b32_e32 v4, v4
	v_ashrrev_i32_e32 v4, 31, v4
	v_and_b32_e32 v15, v15, v18
	;; [unrolled: 8-line block ×5, first 2 shown]
	v_xor_b32_e32 v18, vcc_hi, v4
	v_xor_b32_e32 v4, vcc_lo, v4
	v_and_b32_e32 v15, v15, v18
	v_and_b32_e32 v18, v13, v4
	v_lshlrev_b32_e32 v4, 24, v12
	v_cmp_gt_i64_e32 vcc, 0, v[3:4]
	v_not_b32_e32 v4, v4
	v_ashrrev_i32_e32 v4, 31, v4
	v_mul_u32_u24_e32 v14, 20, v12
	v_xor_b32_e32 v12, vcc_hi, v4
	v_xor_b32_e32 v4, vcc_lo, v4
	v_and_b32_e32 v13, v15, v12
	v_and_b32_e32 v12, v18, v4
	v_mbcnt_lo_u32_b32 v4, v12, 0
	v_mbcnt_hi_u32_b32 v126, v13, v4
	v_cmp_ne_u64_e32 vcc, 0, v[12:13]
	v_cmp_eq_u32_e64 s[38:39], 0, v126
	s_and_b64 s[40:41], vcc, s[38:39]
	v_add_u32_e32 v18, v101, v14
	; wave barrier
	s_and_saveexec_b64 s[38:39], s[40:41]
	s_cbranch_execz .LBB605_586
; %bb.585:                              ;   in Loop: Header=BB605_558 Depth=2
	v_bcnt_u32_b32 v4, v12, 0
	v_bcnt_u32_b32 v4, v13, v4
	s_waitcnt lgkmcnt(0)
	v_add_u32_e32 v4, v124, v4
	ds_write_b32 v18, v4 offset:1040
.LBB605_586:                            ;   in Loop: Header=BB605_558 Depth=2
	s_or_b64 exec, exec, s[38:39]
	v_xor_b32_e32 v127, 0x80000000, v19
	v_lshrrev_b32_e32 v4, s77, v127
	v_and_b32_e32 v12, s62, v4
	v_mad_u32_u24 v4, v12, 20, v101
	; wave barrier
	ds_read_b32 v128, v4 offset:1040
	v_and_b32_e32 v4, 1, v12
	v_add_co_u32_e32 v13, vcc, -1, v4
	v_addc_co_u32_e64 v15, s[38:39], 0, -1, vcc
	v_cmp_ne_u32_e32 vcc, 0, v4
	v_xor_b32_e32 v4, vcc_hi, v15
	v_and_b32_e32 v15, exec_hi, v4
	v_lshlrev_b32_e32 v4, 30, v12
	v_xor_b32_e32 v13, vcc_lo, v13
	v_cmp_gt_i64_e32 vcc, 0, v[3:4]
	v_not_b32_e32 v4, v4
	v_ashrrev_i32_e32 v4, 31, v4
	v_and_b32_e32 v13, exec_lo, v13
	v_xor_b32_e32 v19, vcc_hi, v4
	v_xor_b32_e32 v4, vcc_lo, v4
	v_and_b32_e32 v13, v13, v4
	v_lshlrev_b32_e32 v4, 29, v12
	v_cmp_gt_i64_e32 vcc, 0, v[3:4]
	v_not_b32_e32 v4, v4
	v_ashrrev_i32_e32 v4, 31, v4
	v_and_b32_e32 v15, v15, v19
	v_xor_b32_e32 v19, vcc_hi, v4
	v_xor_b32_e32 v4, vcc_lo, v4
	v_and_b32_e32 v13, v13, v4
	v_lshlrev_b32_e32 v4, 28, v12
	v_cmp_gt_i64_e32 vcc, 0, v[3:4]
	v_not_b32_e32 v4, v4
	v_ashrrev_i32_e32 v4, 31, v4
	v_and_b32_e32 v15, v15, v19
	;; [unrolled: 8-line block ×5, first 2 shown]
	v_xor_b32_e32 v19, vcc_hi, v4
	v_xor_b32_e32 v4, vcc_lo, v4
	v_and_b32_e32 v15, v15, v19
	v_and_b32_e32 v19, v13, v4
	v_lshlrev_b32_e32 v4, 24, v12
	v_cmp_gt_i64_e32 vcc, 0, v[3:4]
	v_not_b32_e32 v4, v4
	v_ashrrev_i32_e32 v4, 31, v4
	v_mul_u32_u24_e32 v14, 20, v12
	v_xor_b32_e32 v12, vcc_hi, v4
	v_xor_b32_e32 v4, vcc_lo, v4
	v_and_b32_e32 v13, v15, v12
	v_and_b32_e32 v12, v19, v4
	v_mbcnt_lo_u32_b32 v4, v12, 0
	v_mbcnt_hi_u32_b32 v129, v13, v4
	v_cmp_ne_u64_e32 vcc, 0, v[12:13]
	v_cmp_eq_u32_e64 s[38:39], 0, v129
	s_and_b64 s[40:41], vcc, s[38:39]
	v_add_u32_e32 v4, v101, v14
	; wave barrier
	s_and_saveexec_b64 s[38:39], s[40:41]
	s_cbranch_execz .LBB605_588
; %bb.587:                              ;   in Loop: Header=BB605_558 Depth=2
	v_bcnt_u32_b32 v12, v12, 0
	v_bcnt_u32_b32 v12, v13, v12
	s_waitcnt lgkmcnt(0)
	v_add_u32_e32 v12, v128, v12
	ds_write_b32 v4, v12 offset:1040
.LBB605_588:                            ;   in Loop: Header=BB605_558 Depth=2
	s_or_b64 exec, exec, s[38:39]
	; wave barrier
	s_waitcnt lgkmcnt(0)
	s_barrier
	ds_read2_b32 v[14:15], v105 offset1:1
	ds_read2_b32 v[12:13], v104 offset1:1
	ds_read_b32 v19, v48 offset:1056
	s_waitcnt lgkmcnt(1)
	v_add3_u32 v130, v15, v14, v12
	s_waitcnt lgkmcnt(0)
	v_add3_u32 v19, v130, v13, v19
	s_nop 1
	v_mov_b32_dpp v130, v19 row_shr:1 row_mask:0xf bank_mask:0xf
	v_cndmask_b32_e64 v130, v130, 0, s[18:19]
	v_add_u32_e32 v19, v130, v19
	s_nop 1
	v_mov_b32_dpp v130, v19 row_shr:2 row_mask:0xf bank_mask:0xf
	v_cndmask_b32_e64 v130, 0, v130, s[20:21]
	v_add_u32_e32 v19, v19, v130
	;; [unrolled: 4-line block ×4, first 2 shown]
	s_nop 1
	v_mov_b32_dpp v130, v19 row_bcast:15 row_mask:0xf bank_mask:0xf
	v_cndmask_b32_e64 v130, v130, 0, s[26:27]
	v_add_u32_e32 v19, v19, v130
	s_nop 1
	v_mov_b32_dpp v130, v19 row_bcast:31 row_mask:0xf bank_mask:0xf
	v_cndmask_b32_e64 v130, 0, v130, s[28:29]
	v_add_u32_e32 v19, v19, v130
	s_and_saveexec_b64 s[38:39], s[8:9]
; %bb.589:                              ;   in Loop: Header=BB605_558 Depth=2
	ds_write_b32 v44, v19 offset:1024
; %bb.590:                              ;   in Loop: Header=BB605_558 Depth=2
	s_or_b64 exec, exec, s[38:39]
	s_waitcnt lgkmcnt(0)
	s_barrier
	s_and_saveexec_b64 s[38:39], s[10:11]
	s_cbranch_execz .LBB605_592
; %bb.591:                              ;   in Loop: Header=BB605_558 Depth=2
	ds_read_b32 v130, v49 offset:1024
	s_waitcnt lgkmcnt(0)
	s_nop 0
	v_mov_b32_dpp v131, v130 row_shr:1 row_mask:0xf bank_mask:0xf
	v_cndmask_b32_e64 v131, v131, 0, s[34:35]
	v_add_u32_e32 v130, v131, v130
	s_nop 1
	v_mov_b32_dpp v131, v130 row_shr:2 row_mask:0xf bank_mask:0xf
	v_cndmask_b32_e64 v131, 0, v131, s[36:37]
	v_add_u32_e32 v130, v130, v131
	ds_write_b32 v49, v130 offset:1024
.LBB605_592:                            ;   in Loop: Header=BB605_558 Depth=2
	s_or_b64 exec, exec, s[38:39]
	v_mov_b32_e32 v130, 0
	s_waitcnt lgkmcnt(0)
	s_barrier
	s_and_saveexec_b64 s[38:39], s[12:13]
; %bb.593:                              ;   in Loop: Header=BB605_558 Depth=2
	ds_read_b32 v130, v44 offset:1020
; %bb.594:                              ;   in Loop: Header=BB605_558 Depth=2
	s_or_b64 exec, exec, s[38:39]
	s_waitcnt lgkmcnt(0)
	v_add_u32_e32 v19, v130, v19
	ds_bpermute_b32 v19, v84, v19
	s_waitcnt lgkmcnt(0)
	v_cndmask_b32_e64 v19, v19, v130, s[30:31]
	v_cndmask_b32_e64 v19, v19, 0, s[14:15]
	v_add_u32_e32 v14, v19, v14
	v_add_u32_e32 v15, v14, v15
	;; [unrolled: 1-line block ×4, first 2 shown]
	ds_write2_b32 v105, v19, v14 offset1:1
	ds_write2_b32 v104, v15, v12 offset1:1
	ds_write_b32 v48, v13 offset:1056
	s_waitcnt lgkmcnt(0)
	s_barrier
	ds_read_b32 v12, v107 offset:1040
	ds_read_b32 v13, v111 offset:1040
	;; [unrolled: 1-line block ×9, first 2 shown]
	v_mov_b32_e32 v4, 0x800
	s_and_saveexec_b64 s[38:39], s[16:17]
; %bb.595:                              ;   in Loop: Header=BB605_558 Depth=2
	ds_read_b32 v4, v48 offset:1060
; %bb.596:                              ;   in Loop: Header=BB605_558 Depth=2
	s_or_b64 exec, exec, s[38:39]
	s_waitcnt lgkmcnt(0)
	s_barrier
	s_and_saveexec_b64 s[38:39], s[4:5]
	s_cbranch_execz .LBB605_598
; %bb.597:                              ;   in Loop: Header=BB605_558 Depth=2
	ds_read_b32 v19, v32
	s_waitcnt lgkmcnt(0)
	v_sub_u32_e32 v18, v19, v18
	ds_write_b32 v32, v18
.LBB605_598:                            ;   in Loop: Header=BB605_558 Depth=2
	s_or_b64 exec, exec, s[38:39]
	v_add_u32_e32 v105, v12, v106
	v_add3_u32 v104, v108, v31, v13
	v_lshlrev_b32_e32 v12, 2, v105
	v_add3_u32 v31, v112, v110, v14
	ds_write_b32 v12, v103 offset:1024
	v_lshlrev_b32_e32 v12, 2, v104
	v_add3_u32 v19, v116, v114, v15
	ds_write_b32 v12, v30 offset:1024
	;; [unrolled: 3-line block ×6, first 2 shown]
	v_lshlrev_b32_e32 v12, 2, v15
	ds_write_b32 v12, v123 offset:1024
	v_lshlrev_b32_e32 v12, 2, v14
	v_cmp_lt_u32_e32 vcc, v0, v102
	ds_write_b32 v12, v127 offset:1024
	s_waitcnt lgkmcnt(0)
	s_barrier
	s_and_saveexec_b64 s[40:41], vcc
	s_cbranch_execnz .LBB605_635
; %bb.599:                              ;   in Loop: Header=BB605_558 Depth=2
	s_or_b64 exec, exec, s[40:41]
	v_cmp_lt_u32_e64 s[38:39], v33, v102
	s_and_saveexec_b64 s[42:43], s[38:39]
	s_cbranch_execnz .LBB605_636
.LBB605_600:                            ;   in Loop: Header=BB605_558 Depth=2
	s_or_b64 exec, exec, s[42:43]
	v_cmp_lt_u32_e64 s[40:41], v34, v102
	s_and_saveexec_b64 s[44:45], s[40:41]
	s_cbranch_execnz .LBB605_637
.LBB605_601:                            ;   in Loop: Header=BB605_558 Depth=2
	s_or_b64 exec, exec, s[44:45]
	v_cmp_lt_u32_e64 s[42:43], v35, v102
	s_and_saveexec_b64 s[46:47], s[42:43]
	s_cbranch_execnz .LBB605_638
.LBB605_602:                            ;   in Loop: Header=BB605_558 Depth=2
	s_or_b64 exec, exec, s[46:47]
	v_cmp_lt_u32_e64 s[44:45], v38, v102
	s_and_saveexec_b64 s[48:49], s[44:45]
	s_cbranch_execnz .LBB605_639
.LBB605_603:                            ;   in Loop: Header=BB605_558 Depth=2
	s_or_b64 exec, exec, s[48:49]
	v_cmp_lt_u32_e64 s[46:47], v39, v102
	s_and_saveexec_b64 s[50:51], s[46:47]
	s_cbranch_execnz .LBB605_640
.LBB605_604:                            ;   in Loop: Header=BB605_558 Depth=2
	s_or_b64 exec, exec, s[50:51]
	v_cmp_lt_u32_e64 s[48:49], v40, v102
	s_and_saveexec_b64 s[52:53], s[48:49]
	s_cbranch_execnz .LBB605_641
.LBB605_605:                            ;   in Loop: Header=BB605_558 Depth=2
	s_or_b64 exec, exec, s[52:53]
	v_cmp_lt_u32_e64 s[50:51], v41, v102
	s_and_saveexec_b64 s[60:61], s[50:51]
	s_cbranch_execz .LBB605_607
.LBB605_606:                            ;   in Loop: Header=BB605_558 Depth=2
	ds_read_b32 v12, v49 offset:8192
	v_mov_b32_e32 v30, s69
	s_waitcnt lgkmcnt(0)
	v_lshrrev_b32_e32 v13, s77, v12
	v_and_b32_e32 v13, s62, v13
	v_lshlrev_b32_e32 v13, 2, v13
	ds_read_b32 v16, v13
	v_mov_b32_e32 v13, v3
	v_xor_b32_e32 v103, 0x80000000, v12
	s_waitcnt lgkmcnt(0)
	v_add_u32_e32 v12, v16, v41
	v_lshlrev_b64 v[12:13], 2, v[12:13]
	v_add_co_u32_e64 v12, s[52:53], s68, v12
	v_addc_co_u32_e64 v13, s[52:53], v30, v13, s[52:53]
	global_store_dword v[12:13], v103, off
.LBB605_607:                            ;   in Loop: Header=BB605_558 Depth=2
	s_or_b64 exec, exec, s[60:61]
	s_lshl_b64 s[52:53], s[58:59], 3
	v_mov_b32_e32 v13, s53
	v_add_co_u32_e64 v12, s[52:53], s52, v85
	v_addc_co_u32_e64 v13, s[52:53], v86, v13, s[52:53]
	v_cmp_lt_u32_e64 s[52:53], v80, v102
	s_and_saveexec_b64 s[60:61], s[52:53]
	s_xor_b64 s[52:53], exec, s[60:61]
	s_cbranch_execnz .LBB605_642
; %bb.608:                              ;   in Loop: Header=BB605_558 Depth=2
	s_or_b64 exec, exec, s[52:53]
	v_cmp_lt_u32_e64 s[52:53], v81, v102
	s_and_saveexec_b64 s[60:61], s[52:53]
	s_cbranch_execnz .LBB605_643
.LBB605_609:                            ;   in Loop: Header=BB605_558 Depth=2
	s_or_b64 exec, exec, s[60:61]
	v_cmp_lt_u32_e64 s[52:53], v82, v102
	s_and_saveexec_b64 s[60:61], s[52:53]
	s_cbranch_execnz .LBB605_644
.LBB605_610:                            ;   in Loop: Header=BB605_558 Depth=2
	s_or_b64 exec, exec, s[60:61]
	v_cmp_lt_u32_e64 s[52:53], v83, v102
	s_and_saveexec_b64 s[60:61], s[52:53]
	s_cbranch_execnz .LBB605_645
.LBB605_611:                            ;   in Loop: Header=BB605_558 Depth=2
	s_or_b64 exec, exec, s[60:61]
	v_cmp_lt_u32_e64 s[52:53], v87, v102
	s_and_saveexec_b64 s[60:61], s[52:53]
	s_cbranch_execnz .LBB605_646
.LBB605_612:                            ;   in Loop: Header=BB605_558 Depth=2
	s_or_b64 exec, exec, s[60:61]
	v_cmp_lt_u32_e64 s[52:53], v88, v102
	s_and_saveexec_b64 s[60:61], s[52:53]
	s_cbranch_execnz .LBB605_647
.LBB605_613:                            ;   in Loop: Header=BB605_558 Depth=2
	s_or_b64 exec, exec, s[60:61]
	v_cmp_lt_u32_e64 s[52:53], v89, v102
	s_and_saveexec_b64 s[60:61], s[52:53]
	s_cbranch_execnz .LBB605_648
.LBB605_614:                            ;   in Loop: Header=BB605_558 Depth=2
	s_or_b64 exec, exec, s[60:61]
	v_cmp_lt_u32_e64 s[52:53], v90, v102
	s_and_saveexec_b64 s[60:61], s[52:53]
	s_cbranch_execnz .LBB605_649
.LBB605_615:                            ;   in Loop: Header=BB605_558 Depth=2
	s_or_b64 exec, exec, s[60:61]
	s_and_saveexec_b64 s[52:53], vcc
	s_cbranch_execnz .LBB605_650
.LBB605_616:                            ;   in Loop: Header=BB605_558 Depth=2
	s_or_b64 exec, exec, s[52:53]
	s_and_saveexec_b64 s[52:53], s[38:39]
	s_cbranch_execnz .LBB605_651
.LBB605_617:                            ;   in Loop: Header=BB605_558 Depth=2
	s_or_b64 exec, exec, s[52:53]
	s_and_saveexec_b64 s[52:53], s[40:41]
	s_cbranch_execnz .LBB605_652
.LBB605_618:                            ;   in Loop: Header=BB605_558 Depth=2
	s_or_b64 exec, exec, s[52:53]
	s_and_saveexec_b64 s[52:53], s[42:43]
	s_cbranch_execnz .LBB605_653
.LBB605_619:                            ;   in Loop: Header=BB605_558 Depth=2
	s_or_b64 exec, exec, s[52:53]
	s_and_saveexec_b64 s[52:53], s[44:45]
	s_cbranch_execnz .LBB605_654
.LBB605_620:                            ;   in Loop: Header=BB605_558 Depth=2
	s_or_b64 exec, exec, s[52:53]
	s_and_saveexec_b64 s[52:53], s[46:47]
	s_cbranch_execnz .LBB605_655
.LBB605_621:                            ;   in Loop: Header=BB605_558 Depth=2
	s_or_b64 exec, exec, s[52:53]
	s_and_saveexec_b64 s[52:53], s[48:49]
	s_cbranch_execnz .LBB605_656
.LBB605_622:                            ;   in Loop: Header=BB605_558 Depth=2
	s_or_b64 exec, exec, s[52:53]
	s_and_saveexec_b64 s[52:53], s[50:51]
	s_cbranch_execz .LBB605_624
.LBB605_623:                            ;   in Loop: Header=BB605_558 Depth=2
	ds_read_b32 v12, v49 offset:8192
	s_waitcnt lgkmcnt(0)
	v_lshrrev_b32_e32 v12, s77, v12
	v_and_b32_e32 v91, s62, v12
.LBB605_624:                            ;   in Loop: Header=BB605_558 Depth=2
	s_or_b64 exec, exec, s[52:53]
	v_lshlrev_b32_e32 v12, 3, v105
	s_waitcnt vmcnt(0)
	s_barrier
	ds_write_b64 v12, v[28:29] offset:1024
	v_lshlrev_b32_e32 v12, 3, v104
	ds_write_b64 v12, v[26:27] offset:1024
	v_lshlrev_b32_e32 v12, 3, v31
	ds_write_b64 v12, v[24:25] offset:1024
	v_lshlrev_b32_e32 v12, 3, v19
	ds_write_b64 v12, v[22:23] offset:1024
	v_lshlrev_b32_e32 v12, 3, v18
	ds_write_b64 v12, v[20:21] offset:1024
	v_lshlrev_b32_e32 v12, 3, v17
	ds_write_b64 v12, v[9:10] offset:1024
	v_lshlrev_b32_e32 v12, 3, v15
	ds_write_b64 v12, v[7:8] offset:1024
	v_lshlrev_b32_e32 v12, 3, v14
	ds_write_b64 v12, v[5:6] offset:1024
	v_add_u32_e32 v12, v49, v32
	s_waitcnt lgkmcnt(0)
	s_barrier
	s_and_saveexec_b64 s[52:53], vcc
	s_cbranch_execnz .LBB605_657
; %bb.625:                              ;   in Loop: Header=BB605_558 Depth=2
	s_or_b64 exec, exec, s[52:53]
	s_and_saveexec_b64 s[52:53], s[38:39]
	s_cbranch_execnz .LBB605_658
.LBB605_626:                            ;   in Loop: Header=BB605_558 Depth=2
	s_or_b64 exec, exec, s[52:53]
	s_and_saveexec_b64 s[38:39], s[40:41]
	s_cbranch_execnz .LBB605_659
.LBB605_627:                            ;   in Loop: Header=BB605_558 Depth=2
	s_or_b64 exec, exec, s[38:39]
	s_and_saveexec_b64 s[38:39], s[42:43]
	s_cbranch_execnz .LBB605_660
.LBB605_628:                            ;   in Loop: Header=BB605_558 Depth=2
	s_or_b64 exec, exec, s[38:39]
	s_and_saveexec_b64 s[38:39], s[44:45]
	s_cbranch_execnz .LBB605_661
.LBB605_629:                            ;   in Loop: Header=BB605_558 Depth=2
	s_or_b64 exec, exec, s[38:39]
	s_and_saveexec_b64 s[38:39], s[46:47]
	s_cbranch_execnz .LBB605_662
.LBB605_630:                            ;   in Loop: Header=BB605_558 Depth=2
	s_or_b64 exec, exec, s[38:39]
	s_and_saveexec_b64 s[38:39], s[48:49]
	s_cbranch_execnz .LBB605_663
.LBB605_631:                            ;   in Loop: Header=BB605_558 Depth=2
	s_or_b64 exec, exec, s[38:39]
	s_and_saveexec_b64 s[38:39], s[50:51]
	s_cbranch_execz .LBB605_633
.LBB605_632:                            ;   in Loop: Header=BB605_558 Depth=2
	v_lshlrev_b32_e32 v13, 2, v91
	ds_read_b32 v14, v13
	ds_read_b64 v[12:13], v12 offset:15360
	v_mov_b32_e32 v15, v3
	v_mov_b32_e32 v16, s75
	s_waitcnt lgkmcnt(1)
	v_add_u32_e32 v14, v14, v41
	v_lshlrev_b64 v[14:15], 3, v[14:15]
	v_add_co_u32_e32 v14, vcc, s74, v14
	v_addc_co_u32_e32 v15, vcc, v16, v15, vcc
	s_waitcnt lgkmcnt(0)
	global_store_dwordx2 v[14:15], v[12:13], off
.LBB605_633:                            ;   in Loop: Header=BB605_558 Depth=2
	s_or_b64 exec, exec, s[38:39]
	s_waitcnt vmcnt(0)
	s_barrier
	s_and_saveexec_b64 s[38:39], s[4:5]
	s_cbranch_execz .LBB605_557
; %bb.634:                              ;   in Loop: Header=BB605_558 Depth=2
	ds_read_b32 v12, v32
	s_waitcnt lgkmcnt(0)
	v_add_u32_e32 v4, v12, v4
	ds_write_b32 v32, v4
	s_branch .LBB605_557
.LBB605_635:                            ;   in Loop: Header=BB605_558 Depth=2
	ds_read_b32 v12, v49 offset:1024
	v_mov_b32_e32 v30, s69
	s_waitcnt lgkmcnt(0)
	v_lshrrev_b32_e32 v13, s77, v12
	v_and_b32_e32 v13, s62, v13
	v_lshlrev_b32_e32 v13, 2, v13
	ds_read_b32 v16, v13
	v_mov_b32_e32 v13, v3
	v_xor_b32_e32 v103, 0x80000000, v12
	s_waitcnt lgkmcnt(0)
	v_add_u32_e32 v12, v16, v0
	v_lshlrev_b64 v[12:13], 2, v[12:13]
	v_add_co_u32_e64 v12, s[38:39], s68, v12
	v_addc_co_u32_e64 v13, s[38:39], v30, v13, s[38:39]
	global_store_dword v[12:13], v103, off
	s_or_b64 exec, exec, s[40:41]
	v_cmp_lt_u32_e64 s[38:39], v33, v102
	s_and_saveexec_b64 s[42:43], s[38:39]
	s_cbranch_execz .LBB605_600
.LBB605_636:                            ;   in Loop: Header=BB605_558 Depth=2
	ds_read_b32 v12, v49 offset:2048
	v_mov_b32_e32 v30, s69
	s_waitcnt lgkmcnt(0)
	v_lshrrev_b32_e32 v13, s77, v12
	v_and_b32_e32 v13, s62, v13
	v_lshlrev_b32_e32 v13, 2, v13
	ds_read_b32 v16, v13
	v_mov_b32_e32 v13, v3
	v_xor_b32_e32 v103, 0x80000000, v12
	s_waitcnt lgkmcnt(0)
	v_add_u32_e32 v12, v16, v33
	v_lshlrev_b64 v[12:13], 2, v[12:13]
	v_add_co_u32_e64 v12, s[40:41], s68, v12
	v_addc_co_u32_e64 v13, s[40:41], v30, v13, s[40:41]
	global_store_dword v[12:13], v103, off
	s_or_b64 exec, exec, s[42:43]
	v_cmp_lt_u32_e64 s[40:41], v34, v102
	s_and_saveexec_b64 s[44:45], s[40:41]
	s_cbranch_execz .LBB605_601
.LBB605_637:                            ;   in Loop: Header=BB605_558 Depth=2
	ds_read_b32 v12, v49 offset:3072
	v_mov_b32_e32 v30, s69
	s_waitcnt lgkmcnt(0)
	v_lshrrev_b32_e32 v13, s77, v12
	v_and_b32_e32 v13, s62, v13
	v_lshlrev_b32_e32 v13, 2, v13
	ds_read_b32 v16, v13
	v_mov_b32_e32 v13, v3
	v_xor_b32_e32 v103, 0x80000000, v12
	s_waitcnt lgkmcnt(0)
	v_add_u32_e32 v12, v16, v34
	v_lshlrev_b64 v[12:13], 2, v[12:13]
	v_add_co_u32_e64 v12, s[42:43], s68, v12
	v_addc_co_u32_e64 v13, s[42:43], v30, v13, s[42:43]
	global_store_dword v[12:13], v103, off
	s_or_b64 exec, exec, s[44:45]
	v_cmp_lt_u32_e64 s[42:43], v35, v102
	s_and_saveexec_b64 s[46:47], s[42:43]
	s_cbranch_execz .LBB605_602
.LBB605_638:                            ;   in Loop: Header=BB605_558 Depth=2
	ds_read_b32 v12, v49 offset:4096
	v_mov_b32_e32 v30, s69
	s_waitcnt lgkmcnt(0)
	v_lshrrev_b32_e32 v13, s77, v12
	v_and_b32_e32 v13, s62, v13
	v_lshlrev_b32_e32 v13, 2, v13
	ds_read_b32 v16, v13
	v_mov_b32_e32 v13, v3
	v_xor_b32_e32 v103, 0x80000000, v12
	s_waitcnt lgkmcnt(0)
	v_add_u32_e32 v12, v16, v35
	v_lshlrev_b64 v[12:13], 2, v[12:13]
	v_add_co_u32_e64 v12, s[44:45], s68, v12
	v_addc_co_u32_e64 v13, s[44:45], v30, v13, s[44:45]
	global_store_dword v[12:13], v103, off
	s_or_b64 exec, exec, s[46:47]
	v_cmp_lt_u32_e64 s[44:45], v38, v102
	s_and_saveexec_b64 s[48:49], s[44:45]
	s_cbranch_execz .LBB605_603
.LBB605_639:                            ;   in Loop: Header=BB605_558 Depth=2
	ds_read_b32 v12, v49 offset:5120
	v_mov_b32_e32 v30, s69
	s_waitcnt lgkmcnt(0)
	v_lshrrev_b32_e32 v13, s77, v12
	v_and_b32_e32 v13, s62, v13
	v_lshlrev_b32_e32 v13, 2, v13
	ds_read_b32 v16, v13
	v_mov_b32_e32 v13, v3
	v_xor_b32_e32 v103, 0x80000000, v12
	s_waitcnt lgkmcnt(0)
	v_add_u32_e32 v12, v16, v38
	v_lshlrev_b64 v[12:13], 2, v[12:13]
	v_add_co_u32_e64 v12, s[46:47], s68, v12
	v_addc_co_u32_e64 v13, s[46:47], v30, v13, s[46:47]
	global_store_dword v[12:13], v103, off
	s_or_b64 exec, exec, s[48:49]
	v_cmp_lt_u32_e64 s[46:47], v39, v102
	s_and_saveexec_b64 s[50:51], s[46:47]
	s_cbranch_execz .LBB605_604
.LBB605_640:                            ;   in Loop: Header=BB605_558 Depth=2
	ds_read_b32 v12, v49 offset:6144
	v_mov_b32_e32 v30, s69
	s_waitcnt lgkmcnt(0)
	v_lshrrev_b32_e32 v13, s77, v12
	v_and_b32_e32 v13, s62, v13
	v_lshlrev_b32_e32 v13, 2, v13
	ds_read_b32 v16, v13
	v_mov_b32_e32 v13, v3
	v_xor_b32_e32 v103, 0x80000000, v12
	s_waitcnt lgkmcnt(0)
	v_add_u32_e32 v12, v16, v39
	v_lshlrev_b64 v[12:13], 2, v[12:13]
	v_add_co_u32_e64 v12, s[48:49], s68, v12
	v_addc_co_u32_e64 v13, s[48:49], v30, v13, s[48:49]
	global_store_dword v[12:13], v103, off
	s_or_b64 exec, exec, s[50:51]
	v_cmp_lt_u32_e64 s[48:49], v40, v102
	s_and_saveexec_b64 s[52:53], s[48:49]
	s_cbranch_execz .LBB605_605
.LBB605_641:                            ;   in Loop: Header=BB605_558 Depth=2
	ds_read_b32 v12, v49 offset:7168
	v_mov_b32_e32 v30, s69
	s_waitcnt lgkmcnt(0)
	v_lshrrev_b32_e32 v13, s77, v12
	v_and_b32_e32 v13, s62, v13
	v_lshlrev_b32_e32 v13, 2, v13
	ds_read_b32 v16, v13
	v_mov_b32_e32 v13, v3
	v_xor_b32_e32 v103, 0x80000000, v12
	s_waitcnt lgkmcnt(0)
	v_add_u32_e32 v12, v16, v40
	v_lshlrev_b64 v[12:13], 2, v[12:13]
	v_add_co_u32_e64 v12, s[50:51], s68, v12
	v_addc_co_u32_e64 v13, s[50:51], v30, v13, s[50:51]
	global_store_dword v[12:13], v103, off
	s_or_b64 exec, exec, s[52:53]
	v_cmp_lt_u32_e64 s[50:51], v41, v102
	s_and_saveexec_b64 s[60:61], s[50:51]
	s_cbranch_execnz .LBB605_606
	s_branch .LBB605_607
.LBB605_642:                            ;   in Loop: Header=BB605_558 Depth=2
	global_load_dwordx2 v[28:29], v[12:13], off
	s_or_b64 exec, exec, s[52:53]
	v_cmp_lt_u32_e64 s[52:53], v81, v102
	s_and_saveexec_b64 s[60:61], s[52:53]
	s_cbranch_execz .LBB605_609
.LBB605_643:                            ;   in Loop: Header=BB605_558 Depth=2
	global_load_dwordx2 v[26:27], v[12:13], off offset:512
	s_or_b64 exec, exec, s[60:61]
	v_cmp_lt_u32_e64 s[52:53], v82, v102
	s_and_saveexec_b64 s[60:61], s[52:53]
	s_cbranch_execz .LBB605_610
.LBB605_644:                            ;   in Loop: Header=BB605_558 Depth=2
	global_load_dwordx2 v[24:25], v[12:13], off offset:1024
	s_or_b64 exec, exec, s[60:61]
	v_cmp_lt_u32_e64 s[52:53], v83, v102
	s_and_saveexec_b64 s[60:61], s[52:53]
	s_cbranch_execz .LBB605_611
.LBB605_645:                            ;   in Loop: Header=BB605_558 Depth=2
	global_load_dwordx2 v[22:23], v[12:13], off offset:1536
	s_or_b64 exec, exec, s[60:61]
	v_cmp_lt_u32_e64 s[52:53], v87, v102
	s_and_saveexec_b64 s[60:61], s[52:53]
	s_cbranch_execz .LBB605_612
.LBB605_646:                            ;   in Loop: Header=BB605_558 Depth=2
	global_load_dwordx2 v[20:21], v[12:13], off offset:2048
	s_or_b64 exec, exec, s[60:61]
	v_cmp_lt_u32_e64 s[52:53], v88, v102
	s_and_saveexec_b64 s[60:61], s[52:53]
	s_cbranch_execz .LBB605_613
.LBB605_647:                            ;   in Loop: Header=BB605_558 Depth=2
	global_load_dwordx2 v[9:10], v[12:13], off offset:2560
	s_or_b64 exec, exec, s[60:61]
	v_cmp_lt_u32_e64 s[52:53], v89, v102
	s_and_saveexec_b64 s[60:61], s[52:53]
	s_cbranch_execz .LBB605_614
.LBB605_648:                            ;   in Loop: Header=BB605_558 Depth=2
	global_load_dwordx2 v[7:8], v[12:13], off offset:3072
	s_or_b64 exec, exec, s[60:61]
	v_cmp_lt_u32_e64 s[52:53], v90, v102
	s_and_saveexec_b64 s[60:61], s[52:53]
	s_cbranch_execz .LBB605_615
.LBB605_649:                            ;   in Loop: Header=BB605_558 Depth=2
	global_load_dwordx2 v[5:6], v[12:13], off offset:3584
	s_or_b64 exec, exec, s[60:61]
	s_and_saveexec_b64 s[52:53], vcc
	s_cbranch_execz .LBB605_616
.LBB605_650:                            ;   in Loop: Header=BB605_558 Depth=2
	ds_read_b32 v12, v49 offset:1024
	s_waitcnt lgkmcnt(0)
	v_lshrrev_b32_e32 v12, s77, v12
	v_and_b32_e32 v99, s62, v12
	s_or_b64 exec, exec, s[52:53]
	s_and_saveexec_b64 s[52:53], s[38:39]
	s_cbranch_execz .LBB605_617
.LBB605_651:                            ;   in Loop: Header=BB605_558 Depth=2
	ds_read_b32 v12, v49 offset:2048
	s_waitcnt lgkmcnt(0)
	v_lshrrev_b32_e32 v12, s77, v12
	v_and_b32_e32 v97, s62, v12
	s_or_b64 exec, exec, s[52:53]
	s_and_saveexec_b64 s[52:53], s[40:41]
	s_cbranch_execz .LBB605_618
.LBB605_652:                            ;   in Loop: Header=BB605_558 Depth=2
	ds_read_b32 v12, v49 offset:3072
	s_waitcnt lgkmcnt(0)
	v_lshrrev_b32_e32 v12, s77, v12
	v_and_b32_e32 v96, s62, v12
	s_or_b64 exec, exec, s[52:53]
	s_and_saveexec_b64 s[52:53], s[42:43]
	s_cbranch_execz .LBB605_619
.LBB605_653:                            ;   in Loop: Header=BB605_558 Depth=2
	ds_read_b32 v12, v49 offset:4096
	s_waitcnt lgkmcnt(0)
	v_lshrrev_b32_e32 v12, s77, v12
	v_and_b32_e32 v95, s62, v12
	s_or_b64 exec, exec, s[52:53]
	s_and_saveexec_b64 s[52:53], s[44:45]
	s_cbranch_execz .LBB605_620
.LBB605_654:                            ;   in Loop: Header=BB605_558 Depth=2
	ds_read_b32 v12, v49 offset:5120
	s_waitcnt lgkmcnt(0)
	v_lshrrev_b32_e32 v12, s77, v12
	v_and_b32_e32 v94, s62, v12
	s_or_b64 exec, exec, s[52:53]
	s_and_saveexec_b64 s[52:53], s[46:47]
	s_cbranch_execz .LBB605_621
.LBB605_655:                            ;   in Loop: Header=BB605_558 Depth=2
	ds_read_b32 v12, v49 offset:6144
	s_waitcnt lgkmcnt(0)
	v_lshrrev_b32_e32 v12, s77, v12
	v_and_b32_e32 v93, s62, v12
	s_or_b64 exec, exec, s[52:53]
	s_and_saveexec_b64 s[52:53], s[48:49]
	s_cbranch_execz .LBB605_622
.LBB605_656:                            ;   in Loop: Header=BB605_558 Depth=2
	ds_read_b32 v12, v49 offset:7168
	s_waitcnt lgkmcnt(0)
	v_lshrrev_b32_e32 v12, s77, v12
	v_and_b32_e32 v92, s62, v12
	s_or_b64 exec, exec, s[52:53]
	s_and_saveexec_b64 s[52:53], s[50:51]
	s_cbranch_execnz .LBB605_623
	s_branch .LBB605_624
.LBB605_657:                            ;   in Loop: Header=BB605_558 Depth=2
	v_lshlrev_b32_e32 v13, 2, v99
	ds_read_b32 v15, v13
	ds_read_b64 v[13:14], v12 offset:1024
	v_mov_b32_e32 v16, v3
	v_mov_b32_e32 v17, s75
	s_waitcnt lgkmcnt(1)
	v_add_u32_e32 v15, v15, v0
	v_lshlrev_b64 v[15:16], 3, v[15:16]
	v_add_co_u32_e32 v15, vcc, s74, v15
	v_addc_co_u32_e32 v16, vcc, v17, v16, vcc
	s_waitcnt lgkmcnt(0)
	global_store_dwordx2 v[15:16], v[13:14], off
	s_or_b64 exec, exec, s[52:53]
	s_and_saveexec_b64 s[52:53], s[38:39]
	s_cbranch_execz .LBB605_626
.LBB605_658:                            ;   in Loop: Header=BB605_558 Depth=2
	v_lshlrev_b32_e32 v13, 2, v97
	ds_read_b32 v15, v13
	ds_read_b64 v[13:14], v12 offset:3072
	v_mov_b32_e32 v16, v3
	v_mov_b32_e32 v17, s75
	s_waitcnt lgkmcnt(1)
	v_add_u32_e32 v15, v15, v33
	v_lshlrev_b64 v[15:16], 3, v[15:16]
	v_add_co_u32_e32 v15, vcc, s74, v15
	v_addc_co_u32_e32 v16, vcc, v17, v16, vcc
	s_waitcnt lgkmcnt(0)
	global_store_dwordx2 v[15:16], v[13:14], off
	s_or_b64 exec, exec, s[52:53]
	s_and_saveexec_b64 s[38:39], s[40:41]
	s_cbranch_execz .LBB605_627
.LBB605_659:                            ;   in Loop: Header=BB605_558 Depth=2
	v_lshlrev_b32_e32 v13, 2, v96
	ds_read_b32 v15, v13
	ds_read_b64 v[13:14], v12 offset:5120
	v_mov_b32_e32 v16, v3
	v_mov_b32_e32 v17, s75
	s_waitcnt lgkmcnt(1)
	v_add_u32_e32 v15, v15, v34
	v_lshlrev_b64 v[15:16], 3, v[15:16]
	v_add_co_u32_e32 v15, vcc, s74, v15
	v_addc_co_u32_e32 v16, vcc, v17, v16, vcc
	s_waitcnt lgkmcnt(0)
	global_store_dwordx2 v[15:16], v[13:14], off
	s_or_b64 exec, exec, s[38:39]
	s_and_saveexec_b64 s[38:39], s[42:43]
	s_cbranch_execz .LBB605_628
.LBB605_660:                            ;   in Loop: Header=BB605_558 Depth=2
	v_lshlrev_b32_e32 v13, 2, v95
	ds_read_b32 v15, v13
	ds_read_b64 v[13:14], v12 offset:7168
	v_mov_b32_e32 v16, v3
	v_mov_b32_e32 v17, s75
	s_waitcnt lgkmcnt(1)
	v_add_u32_e32 v15, v15, v35
	v_lshlrev_b64 v[15:16], 3, v[15:16]
	v_add_co_u32_e32 v15, vcc, s74, v15
	v_addc_co_u32_e32 v16, vcc, v17, v16, vcc
	s_waitcnt lgkmcnt(0)
	global_store_dwordx2 v[15:16], v[13:14], off
	s_or_b64 exec, exec, s[38:39]
	s_and_saveexec_b64 s[38:39], s[44:45]
	s_cbranch_execz .LBB605_629
.LBB605_661:                            ;   in Loop: Header=BB605_558 Depth=2
	v_lshlrev_b32_e32 v13, 2, v94
	ds_read_b32 v15, v13
	ds_read_b64 v[13:14], v12 offset:9216
	v_mov_b32_e32 v16, v3
	v_mov_b32_e32 v17, s75
	s_waitcnt lgkmcnt(1)
	v_add_u32_e32 v15, v15, v38
	v_lshlrev_b64 v[15:16], 3, v[15:16]
	v_add_co_u32_e32 v15, vcc, s74, v15
	v_addc_co_u32_e32 v16, vcc, v17, v16, vcc
	s_waitcnt lgkmcnt(0)
	global_store_dwordx2 v[15:16], v[13:14], off
	s_or_b64 exec, exec, s[38:39]
	s_and_saveexec_b64 s[38:39], s[46:47]
	s_cbranch_execz .LBB605_630
.LBB605_662:                            ;   in Loop: Header=BB605_558 Depth=2
	v_lshlrev_b32_e32 v13, 2, v93
	ds_read_b32 v15, v13
	ds_read_b64 v[13:14], v12 offset:11264
	v_mov_b32_e32 v16, v3
	v_mov_b32_e32 v17, s75
	s_waitcnt lgkmcnt(1)
	v_add_u32_e32 v15, v15, v39
	v_lshlrev_b64 v[15:16], 3, v[15:16]
	v_add_co_u32_e32 v15, vcc, s74, v15
	v_addc_co_u32_e32 v16, vcc, v17, v16, vcc
	s_waitcnt lgkmcnt(0)
	global_store_dwordx2 v[15:16], v[13:14], off
	s_or_b64 exec, exec, s[38:39]
	s_and_saveexec_b64 s[38:39], s[48:49]
	s_cbranch_execz .LBB605_631
.LBB605_663:                            ;   in Loop: Header=BB605_558 Depth=2
	v_lshlrev_b32_e32 v13, 2, v92
	ds_read_b32 v15, v13
	ds_read_b64 v[13:14], v12 offset:13312
	v_mov_b32_e32 v16, v3
	v_mov_b32_e32 v17, s75
	s_waitcnt lgkmcnt(1)
	v_add_u32_e32 v15, v15, v40
	v_lshlrev_b64 v[15:16], 3, v[15:16]
	v_add_co_u32_e32 v15, vcc, s74, v15
	v_addc_co_u32_e32 v16, vcc, v17, v16, vcc
	s_waitcnt lgkmcnt(0)
	global_store_dwordx2 v[15:16], v[13:14], off
	s_or_b64 exec, exec, s[38:39]
	s_and_saveexec_b64 s[38:39], s[50:51]
	s_cbranch_execnz .LBB605_632
	s_branch .LBB605_633
.LBB605_664:                            ;   in Loop: Header=BB605_558 Depth=2
	global_load_dword v12, v[30:31], off
	v_mov_b32_e32 v13, v11
	v_mov_b32_e32 v14, v11
	;; [unrolled: 1-line block ×7, first 2 shown]
	s_or_b64 exec, exec, s[38:39]
	v_cmp_gt_u32_e32 vcc, s70, v81
	s_and_saveexec_b64 s[38:39], vcc
	s_cbranch_execz .LBB605_563
.LBB605_665:                            ;   in Loop: Header=BB605_558 Depth=2
	global_load_dword v13, v[30:31], off offset:256
	s_or_b64 exec, exec, s[38:39]
	v_cmp_gt_u32_e32 vcc, s70, v82
	s_and_saveexec_b64 s[38:39], vcc
	s_cbranch_execz .LBB605_564
.LBB605_666:                            ;   in Loop: Header=BB605_558 Depth=2
	global_load_dword v14, v[30:31], off offset:512
	s_or_b64 exec, exec, s[38:39]
	v_cmp_gt_u32_e32 vcc, s70, v83
	s_and_saveexec_b64 s[38:39], vcc
	s_cbranch_execz .LBB605_565
.LBB605_667:                            ;   in Loop: Header=BB605_558 Depth=2
	global_load_dword v15, v[30:31], off offset:768
	s_or_b64 exec, exec, s[38:39]
	v_cmp_gt_u32_e32 vcc, s70, v87
	s_and_saveexec_b64 s[38:39], vcc
	s_cbranch_execz .LBB605_566
.LBB605_668:                            ;   in Loop: Header=BB605_558 Depth=2
	global_load_dword v16, v[30:31], off offset:1024
	s_or_b64 exec, exec, s[38:39]
	v_cmp_gt_u32_e32 vcc, s70, v88
	s_and_saveexec_b64 s[38:39], vcc
	s_cbranch_execz .LBB605_567
.LBB605_669:                            ;   in Loop: Header=BB605_558 Depth=2
	global_load_dword v17, v[30:31], off offset:1280
	s_or_b64 exec, exec, s[38:39]
	v_cmp_gt_u32_e32 vcc, s70, v89
	s_and_saveexec_b64 s[38:39], vcc
	s_cbranch_execnz .LBB605_568
	s_branch .LBB605_569
.LBB605_670:
	s_endpgm
	.section	.rodata,"a",@progbits
	.p2align	6, 0x0
	.amdhsa_kernel _ZN7rocprim17ROCPRIM_400000_NS6detail17trampoline_kernelINS0_14default_configENS1_36segmented_radix_sort_config_selectorIilEEZNS1_25segmented_radix_sort_implIS3_Lb0EPKiPiPKlPlN2at6native12_GLOBAL__N_18offset_tEEE10hipError_tPvRmT1_PNSt15iterator_traitsISK_E10value_typeET2_T3_PNSL_ISQ_E10value_typeET4_jRbjT5_SW_jjP12ihipStream_tbEUlT_E_NS1_11comp_targetILNS1_3genE2ELNS1_11target_archE906ELNS1_3gpuE6ELNS1_3repE0EEENS1_30default_config_static_selectorELNS0_4arch9wavefront6targetE1EEEvSK_
		.amdhsa_group_segment_fixed_size 17424
		.amdhsa_private_segment_fixed_size 0
		.amdhsa_kernarg_size 352
		.amdhsa_user_sgpr_count 6
		.amdhsa_user_sgpr_private_segment_buffer 1
		.amdhsa_user_sgpr_dispatch_ptr 0
		.amdhsa_user_sgpr_queue_ptr 0
		.amdhsa_user_sgpr_kernarg_segment_ptr 1
		.amdhsa_user_sgpr_dispatch_id 0
		.amdhsa_user_sgpr_flat_scratch_init 0
		.amdhsa_user_sgpr_private_segment_size 0
		.amdhsa_uses_dynamic_stack 0
		.amdhsa_system_sgpr_private_segment_wavefront_offset 0
		.amdhsa_system_sgpr_workgroup_id_x 1
		.amdhsa_system_sgpr_workgroup_id_y 1
		.amdhsa_system_sgpr_workgroup_id_z 0
		.amdhsa_system_sgpr_workgroup_info 0
		.amdhsa_system_vgpr_workitem_id 2
		.amdhsa_next_free_vgpr 177
		.amdhsa_next_free_sgpr 98
		.amdhsa_reserve_vcc 1
		.amdhsa_reserve_flat_scratch 0
		.amdhsa_float_round_mode_32 0
		.amdhsa_float_round_mode_16_64 0
		.amdhsa_float_denorm_mode_32 3
		.amdhsa_float_denorm_mode_16_64 3
		.amdhsa_dx10_clamp 1
		.amdhsa_ieee_mode 1
		.amdhsa_fp16_overflow 0
		.amdhsa_exception_fp_ieee_invalid_op 0
		.amdhsa_exception_fp_denorm_src 0
		.amdhsa_exception_fp_ieee_div_zero 0
		.amdhsa_exception_fp_ieee_overflow 0
		.amdhsa_exception_fp_ieee_underflow 0
		.amdhsa_exception_fp_ieee_inexact 0
		.amdhsa_exception_int_div_zero 0
	.end_amdhsa_kernel
	.section	.text._ZN7rocprim17ROCPRIM_400000_NS6detail17trampoline_kernelINS0_14default_configENS1_36segmented_radix_sort_config_selectorIilEEZNS1_25segmented_radix_sort_implIS3_Lb0EPKiPiPKlPlN2at6native12_GLOBAL__N_18offset_tEEE10hipError_tPvRmT1_PNSt15iterator_traitsISK_E10value_typeET2_T3_PNSL_ISQ_E10value_typeET4_jRbjT5_SW_jjP12ihipStream_tbEUlT_E_NS1_11comp_targetILNS1_3genE2ELNS1_11target_archE906ELNS1_3gpuE6ELNS1_3repE0EEENS1_30default_config_static_selectorELNS0_4arch9wavefront6targetE1EEEvSK_,"axG",@progbits,_ZN7rocprim17ROCPRIM_400000_NS6detail17trampoline_kernelINS0_14default_configENS1_36segmented_radix_sort_config_selectorIilEEZNS1_25segmented_radix_sort_implIS3_Lb0EPKiPiPKlPlN2at6native12_GLOBAL__N_18offset_tEEE10hipError_tPvRmT1_PNSt15iterator_traitsISK_E10value_typeET2_T3_PNSL_ISQ_E10value_typeET4_jRbjT5_SW_jjP12ihipStream_tbEUlT_E_NS1_11comp_targetILNS1_3genE2ELNS1_11target_archE906ELNS1_3gpuE6ELNS1_3repE0EEENS1_30default_config_static_selectorELNS0_4arch9wavefront6targetE1EEEvSK_,comdat
.Lfunc_end605:
	.size	_ZN7rocprim17ROCPRIM_400000_NS6detail17trampoline_kernelINS0_14default_configENS1_36segmented_radix_sort_config_selectorIilEEZNS1_25segmented_radix_sort_implIS3_Lb0EPKiPiPKlPlN2at6native12_GLOBAL__N_18offset_tEEE10hipError_tPvRmT1_PNSt15iterator_traitsISK_E10value_typeET2_T3_PNSL_ISQ_E10value_typeET4_jRbjT5_SW_jjP12ihipStream_tbEUlT_E_NS1_11comp_targetILNS1_3genE2ELNS1_11target_archE906ELNS1_3gpuE6ELNS1_3repE0EEENS1_30default_config_static_selectorELNS0_4arch9wavefront6targetE1EEEvSK_, .Lfunc_end605-_ZN7rocprim17ROCPRIM_400000_NS6detail17trampoline_kernelINS0_14default_configENS1_36segmented_radix_sort_config_selectorIilEEZNS1_25segmented_radix_sort_implIS3_Lb0EPKiPiPKlPlN2at6native12_GLOBAL__N_18offset_tEEE10hipError_tPvRmT1_PNSt15iterator_traitsISK_E10value_typeET2_T3_PNSL_ISQ_E10value_typeET4_jRbjT5_SW_jjP12ihipStream_tbEUlT_E_NS1_11comp_targetILNS1_3genE2ELNS1_11target_archE906ELNS1_3gpuE6ELNS1_3repE0EEENS1_30default_config_static_selectorELNS0_4arch9wavefront6targetE1EEEvSK_
                                        ; -- End function
	.set _ZN7rocprim17ROCPRIM_400000_NS6detail17trampoline_kernelINS0_14default_configENS1_36segmented_radix_sort_config_selectorIilEEZNS1_25segmented_radix_sort_implIS3_Lb0EPKiPiPKlPlN2at6native12_GLOBAL__N_18offset_tEEE10hipError_tPvRmT1_PNSt15iterator_traitsISK_E10value_typeET2_T3_PNSL_ISQ_E10value_typeET4_jRbjT5_SW_jjP12ihipStream_tbEUlT_E_NS1_11comp_targetILNS1_3genE2ELNS1_11target_archE906ELNS1_3gpuE6ELNS1_3repE0EEENS1_30default_config_static_selectorELNS0_4arch9wavefront6targetE1EEEvSK_.num_vgpr, max(132, .L_ZN7rocprim17ROCPRIM_400000_NS6detail40segmented_radix_sort_single_block_helperIilLj256ELj8ELb0EE4sortIPKiPiPKlPlEEbT_T0_T1_T2_jjjjRNS3_12storage_typeE.num_vgpr)
	.set _ZN7rocprim17ROCPRIM_400000_NS6detail17trampoline_kernelINS0_14default_configENS1_36segmented_radix_sort_config_selectorIilEEZNS1_25segmented_radix_sort_implIS3_Lb0EPKiPiPKlPlN2at6native12_GLOBAL__N_18offset_tEEE10hipError_tPvRmT1_PNSt15iterator_traitsISK_E10value_typeET2_T3_PNSL_ISQ_E10value_typeET4_jRbjT5_SW_jjP12ihipStream_tbEUlT_E_NS1_11comp_targetILNS1_3genE2ELNS1_11target_archE906ELNS1_3gpuE6ELNS1_3repE0EEENS1_30default_config_static_selectorELNS0_4arch9wavefront6targetE1EEEvSK_.num_agpr, max(0, .L_ZN7rocprim17ROCPRIM_400000_NS6detail40segmented_radix_sort_single_block_helperIilLj256ELj8ELb0EE4sortIPKiPiPKlPlEEbT_T0_T1_T2_jjjjRNS3_12storage_typeE.num_agpr)
	.set _ZN7rocprim17ROCPRIM_400000_NS6detail17trampoline_kernelINS0_14default_configENS1_36segmented_radix_sort_config_selectorIilEEZNS1_25segmented_radix_sort_implIS3_Lb0EPKiPiPKlPlN2at6native12_GLOBAL__N_18offset_tEEE10hipError_tPvRmT1_PNSt15iterator_traitsISK_E10value_typeET2_T3_PNSL_ISQ_E10value_typeET4_jRbjT5_SW_jjP12ihipStream_tbEUlT_E_NS1_11comp_targetILNS1_3genE2ELNS1_11target_archE906ELNS1_3gpuE6ELNS1_3repE0EEENS1_30default_config_static_selectorELNS0_4arch9wavefront6targetE1EEEvSK_.numbered_sgpr, max(81, .L_ZN7rocprim17ROCPRIM_400000_NS6detail40segmented_radix_sort_single_block_helperIilLj256ELj8ELb0EE4sortIPKiPiPKlPlEEbT_T0_T1_T2_jjjjRNS3_12storage_typeE.numbered_sgpr)
	.set _ZN7rocprim17ROCPRIM_400000_NS6detail17trampoline_kernelINS0_14default_configENS1_36segmented_radix_sort_config_selectorIilEEZNS1_25segmented_radix_sort_implIS3_Lb0EPKiPiPKlPlN2at6native12_GLOBAL__N_18offset_tEEE10hipError_tPvRmT1_PNSt15iterator_traitsISK_E10value_typeET2_T3_PNSL_ISQ_E10value_typeET4_jRbjT5_SW_jjP12ihipStream_tbEUlT_E_NS1_11comp_targetILNS1_3genE2ELNS1_11target_archE906ELNS1_3gpuE6ELNS1_3repE0EEENS1_30default_config_static_selectorELNS0_4arch9wavefront6targetE1EEEvSK_.num_named_barrier, max(0, .L_ZN7rocprim17ROCPRIM_400000_NS6detail40segmented_radix_sort_single_block_helperIilLj256ELj8ELb0EE4sortIPKiPiPKlPlEEbT_T0_T1_T2_jjjjRNS3_12storage_typeE.num_named_barrier)
	.set _ZN7rocprim17ROCPRIM_400000_NS6detail17trampoline_kernelINS0_14default_configENS1_36segmented_radix_sort_config_selectorIilEEZNS1_25segmented_radix_sort_implIS3_Lb0EPKiPiPKlPlN2at6native12_GLOBAL__N_18offset_tEEE10hipError_tPvRmT1_PNSt15iterator_traitsISK_E10value_typeET2_T3_PNSL_ISQ_E10value_typeET4_jRbjT5_SW_jjP12ihipStream_tbEUlT_E_NS1_11comp_targetILNS1_3genE2ELNS1_11target_archE906ELNS1_3gpuE6ELNS1_3repE0EEENS1_30default_config_static_selectorELNS0_4arch9wavefront6targetE1EEEvSK_.private_seg_size, 0+max(.L_ZN7rocprim17ROCPRIM_400000_NS6detail40segmented_radix_sort_single_block_helperIilLj256ELj8ELb0EE4sortIPKiPiPKlPlEEbT_T0_T1_T2_jjjjRNS3_12storage_typeE.private_seg_size)
	.set _ZN7rocprim17ROCPRIM_400000_NS6detail17trampoline_kernelINS0_14default_configENS1_36segmented_radix_sort_config_selectorIilEEZNS1_25segmented_radix_sort_implIS3_Lb0EPKiPiPKlPlN2at6native12_GLOBAL__N_18offset_tEEE10hipError_tPvRmT1_PNSt15iterator_traitsISK_E10value_typeET2_T3_PNSL_ISQ_E10value_typeET4_jRbjT5_SW_jjP12ihipStream_tbEUlT_E_NS1_11comp_targetILNS1_3genE2ELNS1_11target_archE906ELNS1_3gpuE6ELNS1_3repE0EEENS1_30default_config_static_selectorELNS0_4arch9wavefront6targetE1EEEvSK_.uses_vcc, or(1, .L_ZN7rocprim17ROCPRIM_400000_NS6detail40segmented_radix_sort_single_block_helperIilLj256ELj8ELb0EE4sortIPKiPiPKlPlEEbT_T0_T1_T2_jjjjRNS3_12storage_typeE.uses_vcc)
	.set _ZN7rocprim17ROCPRIM_400000_NS6detail17trampoline_kernelINS0_14default_configENS1_36segmented_radix_sort_config_selectorIilEEZNS1_25segmented_radix_sort_implIS3_Lb0EPKiPiPKlPlN2at6native12_GLOBAL__N_18offset_tEEE10hipError_tPvRmT1_PNSt15iterator_traitsISK_E10value_typeET2_T3_PNSL_ISQ_E10value_typeET4_jRbjT5_SW_jjP12ihipStream_tbEUlT_E_NS1_11comp_targetILNS1_3genE2ELNS1_11target_archE906ELNS1_3gpuE6ELNS1_3repE0EEENS1_30default_config_static_selectorELNS0_4arch9wavefront6targetE1EEEvSK_.uses_flat_scratch, or(0, .L_ZN7rocprim17ROCPRIM_400000_NS6detail40segmented_radix_sort_single_block_helperIilLj256ELj8ELb0EE4sortIPKiPiPKlPlEEbT_T0_T1_T2_jjjjRNS3_12storage_typeE.uses_flat_scratch)
	.set _ZN7rocprim17ROCPRIM_400000_NS6detail17trampoline_kernelINS0_14default_configENS1_36segmented_radix_sort_config_selectorIilEEZNS1_25segmented_radix_sort_implIS3_Lb0EPKiPiPKlPlN2at6native12_GLOBAL__N_18offset_tEEE10hipError_tPvRmT1_PNSt15iterator_traitsISK_E10value_typeET2_T3_PNSL_ISQ_E10value_typeET4_jRbjT5_SW_jjP12ihipStream_tbEUlT_E_NS1_11comp_targetILNS1_3genE2ELNS1_11target_archE906ELNS1_3gpuE6ELNS1_3repE0EEENS1_30default_config_static_selectorELNS0_4arch9wavefront6targetE1EEEvSK_.has_dyn_sized_stack, or(0, .L_ZN7rocprim17ROCPRIM_400000_NS6detail40segmented_radix_sort_single_block_helperIilLj256ELj8ELb0EE4sortIPKiPiPKlPlEEbT_T0_T1_T2_jjjjRNS3_12storage_typeE.has_dyn_sized_stack)
	.set _ZN7rocprim17ROCPRIM_400000_NS6detail17trampoline_kernelINS0_14default_configENS1_36segmented_radix_sort_config_selectorIilEEZNS1_25segmented_radix_sort_implIS3_Lb0EPKiPiPKlPlN2at6native12_GLOBAL__N_18offset_tEEE10hipError_tPvRmT1_PNSt15iterator_traitsISK_E10value_typeET2_T3_PNSL_ISQ_E10value_typeET4_jRbjT5_SW_jjP12ihipStream_tbEUlT_E_NS1_11comp_targetILNS1_3genE2ELNS1_11target_archE906ELNS1_3gpuE6ELNS1_3repE0EEENS1_30default_config_static_selectorELNS0_4arch9wavefront6targetE1EEEvSK_.has_recursion, or(0, .L_ZN7rocprim17ROCPRIM_400000_NS6detail40segmented_radix_sort_single_block_helperIilLj256ELj8ELb0EE4sortIPKiPiPKlPlEEbT_T0_T1_T2_jjjjRNS3_12storage_typeE.has_recursion)
	.set _ZN7rocprim17ROCPRIM_400000_NS6detail17trampoline_kernelINS0_14default_configENS1_36segmented_radix_sort_config_selectorIilEEZNS1_25segmented_radix_sort_implIS3_Lb0EPKiPiPKlPlN2at6native12_GLOBAL__N_18offset_tEEE10hipError_tPvRmT1_PNSt15iterator_traitsISK_E10value_typeET2_T3_PNSL_ISQ_E10value_typeET4_jRbjT5_SW_jjP12ihipStream_tbEUlT_E_NS1_11comp_targetILNS1_3genE2ELNS1_11target_archE906ELNS1_3gpuE6ELNS1_3repE0EEENS1_30default_config_static_selectorELNS0_4arch9wavefront6targetE1EEEvSK_.has_indirect_call, or(0, .L_ZN7rocprim17ROCPRIM_400000_NS6detail40segmented_radix_sort_single_block_helperIilLj256ELj8ELb0EE4sortIPKiPiPKlPlEEbT_T0_T1_T2_jjjjRNS3_12storage_typeE.has_indirect_call)
	.section	.AMDGPU.csdata,"",@progbits
; Kernel info:
; codeLenInByte = 35876
; TotalNumSgprs: 85
; NumVgprs: 177
; ScratchSize: 0
; MemoryBound: 0
; FloatMode: 240
; IeeeMode: 1
; LDSByteSize: 17424 bytes/workgroup (compile time only)
; SGPRBlocks: 12
; VGPRBlocks: 44
; NumSGPRsForWavesPerEU: 102
; NumVGPRsForWavesPerEU: 177
; Occupancy: 1
; WaveLimiterHint : 1
; COMPUTE_PGM_RSRC2:SCRATCH_EN: 0
; COMPUTE_PGM_RSRC2:USER_SGPR: 6
; COMPUTE_PGM_RSRC2:TRAP_HANDLER: 0
; COMPUTE_PGM_RSRC2:TGID_X_EN: 1
; COMPUTE_PGM_RSRC2:TGID_Y_EN: 1
; COMPUTE_PGM_RSRC2:TGID_Z_EN: 0
; COMPUTE_PGM_RSRC2:TIDIG_COMP_CNT: 2
	.section	.text._ZN7rocprim17ROCPRIM_400000_NS6detail17trampoline_kernelINS0_14default_configENS1_36segmented_radix_sort_config_selectorIilEEZNS1_25segmented_radix_sort_implIS3_Lb0EPKiPiPKlPlN2at6native12_GLOBAL__N_18offset_tEEE10hipError_tPvRmT1_PNSt15iterator_traitsISK_E10value_typeET2_T3_PNSL_ISQ_E10value_typeET4_jRbjT5_SW_jjP12ihipStream_tbEUlT_E_NS1_11comp_targetILNS1_3genE10ELNS1_11target_archE1201ELNS1_3gpuE5ELNS1_3repE0EEENS1_30default_config_static_selectorELNS0_4arch9wavefront6targetE1EEEvSK_,"axG",@progbits,_ZN7rocprim17ROCPRIM_400000_NS6detail17trampoline_kernelINS0_14default_configENS1_36segmented_radix_sort_config_selectorIilEEZNS1_25segmented_radix_sort_implIS3_Lb0EPKiPiPKlPlN2at6native12_GLOBAL__N_18offset_tEEE10hipError_tPvRmT1_PNSt15iterator_traitsISK_E10value_typeET2_T3_PNSL_ISQ_E10value_typeET4_jRbjT5_SW_jjP12ihipStream_tbEUlT_E_NS1_11comp_targetILNS1_3genE10ELNS1_11target_archE1201ELNS1_3gpuE5ELNS1_3repE0EEENS1_30default_config_static_selectorELNS0_4arch9wavefront6targetE1EEEvSK_,comdat
	.globl	_ZN7rocprim17ROCPRIM_400000_NS6detail17trampoline_kernelINS0_14default_configENS1_36segmented_radix_sort_config_selectorIilEEZNS1_25segmented_radix_sort_implIS3_Lb0EPKiPiPKlPlN2at6native12_GLOBAL__N_18offset_tEEE10hipError_tPvRmT1_PNSt15iterator_traitsISK_E10value_typeET2_T3_PNSL_ISQ_E10value_typeET4_jRbjT5_SW_jjP12ihipStream_tbEUlT_E_NS1_11comp_targetILNS1_3genE10ELNS1_11target_archE1201ELNS1_3gpuE5ELNS1_3repE0EEENS1_30default_config_static_selectorELNS0_4arch9wavefront6targetE1EEEvSK_ ; -- Begin function _ZN7rocprim17ROCPRIM_400000_NS6detail17trampoline_kernelINS0_14default_configENS1_36segmented_radix_sort_config_selectorIilEEZNS1_25segmented_radix_sort_implIS3_Lb0EPKiPiPKlPlN2at6native12_GLOBAL__N_18offset_tEEE10hipError_tPvRmT1_PNSt15iterator_traitsISK_E10value_typeET2_T3_PNSL_ISQ_E10value_typeET4_jRbjT5_SW_jjP12ihipStream_tbEUlT_E_NS1_11comp_targetILNS1_3genE10ELNS1_11target_archE1201ELNS1_3gpuE5ELNS1_3repE0EEENS1_30default_config_static_selectorELNS0_4arch9wavefront6targetE1EEEvSK_
	.p2align	8
	.type	_ZN7rocprim17ROCPRIM_400000_NS6detail17trampoline_kernelINS0_14default_configENS1_36segmented_radix_sort_config_selectorIilEEZNS1_25segmented_radix_sort_implIS3_Lb0EPKiPiPKlPlN2at6native12_GLOBAL__N_18offset_tEEE10hipError_tPvRmT1_PNSt15iterator_traitsISK_E10value_typeET2_T3_PNSL_ISQ_E10value_typeET4_jRbjT5_SW_jjP12ihipStream_tbEUlT_E_NS1_11comp_targetILNS1_3genE10ELNS1_11target_archE1201ELNS1_3gpuE5ELNS1_3repE0EEENS1_30default_config_static_selectorELNS0_4arch9wavefront6targetE1EEEvSK_,@function
_ZN7rocprim17ROCPRIM_400000_NS6detail17trampoline_kernelINS0_14default_configENS1_36segmented_radix_sort_config_selectorIilEEZNS1_25segmented_radix_sort_implIS3_Lb0EPKiPiPKlPlN2at6native12_GLOBAL__N_18offset_tEEE10hipError_tPvRmT1_PNSt15iterator_traitsISK_E10value_typeET2_T3_PNSL_ISQ_E10value_typeET4_jRbjT5_SW_jjP12ihipStream_tbEUlT_E_NS1_11comp_targetILNS1_3genE10ELNS1_11target_archE1201ELNS1_3gpuE5ELNS1_3repE0EEENS1_30default_config_static_selectorELNS0_4arch9wavefront6targetE1EEEvSK_: ; @_ZN7rocprim17ROCPRIM_400000_NS6detail17trampoline_kernelINS0_14default_configENS1_36segmented_radix_sort_config_selectorIilEEZNS1_25segmented_radix_sort_implIS3_Lb0EPKiPiPKlPlN2at6native12_GLOBAL__N_18offset_tEEE10hipError_tPvRmT1_PNSt15iterator_traitsISK_E10value_typeET2_T3_PNSL_ISQ_E10value_typeET4_jRbjT5_SW_jjP12ihipStream_tbEUlT_E_NS1_11comp_targetILNS1_3genE10ELNS1_11target_archE1201ELNS1_3gpuE5ELNS1_3repE0EEENS1_30default_config_static_selectorELNS0_4arch9wavefront6targetE1EEEvSK_
; %bb.0:
	.section	.rodata,"a",@progbits
	.p2align	6, 0x0
	.amdhsa_kernel _ZN7rocprim17ROCPRIM_400000_NS6detail17trampoline_kernelINS0_14default_configENS1_36segmented_radix_sort_config_selectorIilEEZNS1_25segmented_radix_sort_implIS3_Lb0EPKiPiPKlPlN2at6native12_GLOBAL__N_18offset_tEEE10hipError_tPvRmT1_PNSt15iterator_traitsISK_E10value_typeET2_T3_PNSL_ISQ_E10value_typeET4_jRbjT5_SW_jjP12ihipStream_tbEUlT_E_NS1_11comp_targetILNS1_3genE10ELNS1_11target_archE1201ELNS1_3gpuE5ELNS1_3repE0EEENS1_30default_config_static_selectorELNS0_4arch9wavefront6targetE1EEEvSK_
		.amdhsa_group_segment_fixed_size 0
		.amdhsa_private_segment_fixed_size 0
		.amdhsa_kernarg_size 96
		.amdhsa_user_sgpr_count 6
		.amdhsa_user_sgpr_private_segment_buffer 1
		.amdhsa_user_sgpr_dispatch_ptr 0
		.amdhsa_user_sgpr_queue_ptr 0
		.amdhsa_user_sgpr_kernarg_segment_ptr 1
		.amdhsa_user_sgpr_dispatch_id 0
		.amdhsa_user_sgpr_flat_scratch_init 0
		.amdhsa_user_sgpr_private_segment_size 0
		.amdhsa_uses_dynamic_stack 0
		.amdhsa_system_sgpr_private_segment_wavefront_offset 0
		.amdhsa_system_sgpr_workgroup_id_x 1
		.amdhsa_system_sgpr_workgroup_id_y 0
		.amdhsa_system_sgpr_workgroup_id_z 0
		.amdhsa_system_sgpr_workgroup_info 0
		.amdhsa_system_vgpr_workitem_id 0
		.amdhsa_next_free_vgpr 1
		.amdhsa_next_free_sgpr 0
		.amdhsa_reserve_vcc 0
		.amdhsa_reserve_flat_scratch 0
		.amdhsa_float_round_mode_32 0
		.amdhsa_float_round_mode_16_64 0
		.amdhsa_float_denorm_mode_32 3
		.amdhsa_float_denorm_mode_16_64 3
		.amdhsa_dx10_clamp 1
		.amdhsa_ieee_mode 1
		.amdhsa_fp16_overflow 0
		.amdhsa_exception_fp_ieee_invalid_op 0
		.amdhsa_exception_fp_denorm_src 0
		.amdhsa_exception_fp_ieee_div_zero 0
		.amdhsa_exception_fp_ieee_overflow 0
		.amdhsa_exception_fp_ieee_underflow 0
		.amdhsa_exception_fp_ieee_inexact 0
		.amdhsa_exception_int_div_zero 0
	.end_amdhsa_kernel
	.section	.text._ZN7rocprim17ROCPRIM_400000_NS6detail17trampoline_kernelINS0_14default_configENS1_36segmented_radix_sort_config_selectorIilEEZNS1_25segmented_radix_sort_implIS3_Lb0EPKiPiPKlPlN2at6native12_GLOBAL__N_18offset_tEEE10hipError_tPvRmT1_PNSt15iterator_traitsISK_E10value_typeET2_T3_PNSL_ISQ_E10value_typeET4_jRbjT5_SW_jjP12ihipStream_tbEUlT_E_NS1_11comp_targetILNS1_3genE10ELNS1_11target_archE1201ELNS1_3gpuE5ELNS1_3repE0EEENS1_30default_config_static_selectorELNS0_4arch9wavefront6targetE1EEEvSK_,"axG",@progbits,_ZN7rocprim17ROCPRIM_400000_NS6detail17trampoline_kernelINS0_14default_configENS1_36segmented_radix_sort_config_selectorIilEEZNS1_25segmented_radix_sort_implIS3_Lb0EPKiPiPKlPlN2at6native12_GLOBAL__N_18offset_tEEE10hipError_tPvRmT1_PNSt15iterator_traitsISK_E10value_typeET2_T3_PNSL_ISQ_E10value_typeET4_jRbjT5_SW_jjP12ihipStream_tbEUlT_E_NS1_11comp_targetILNS1_3genE10ELNS1_11target_archE1201ELNS1_3gpuE5ELNS1_3repE0EEENS1_30default_config_static_selectorELNS0_4arch9wavefront6targetE1EEEvSK_,comdat
.Lfunc_end606:
	.size	_ZN7rocprim17ROCPRIM_400000_NS6detail17trampoline_kernelINS0_14default_configENS1_36segmented_radix_sort_config_selectorIilEEZNS1_25segmented_radix_sort_implIS3_Lb0EPKiPiPKlPlN2at6native12_GLOBAL__N_18offset_tEEE10hipError_tPvRmT1_PNSt15iterator_traitsISK_E10value_typeET2_T3_PNSL_ISQ_E10value_typeET4_jRbjT5_SW_jjP12ihipStream_tbEUlT_E_NS1_11comp_targetILNS1_3genE10ELNS1_11target_archE1201ELNS1_3gpuE5ELNS1_3repE0EEENS1_30default_config_static_selectorELNS0_4arch9wavefront6targetE1EEEvSK_, .Lfunc_end606-_ZN7rocprim17ROCPRIM_400000_NS6detail17trampoline_kernelINS0_14default_configENS1_36segmented_radix_sort_config_selectorIilEEZNS1_25segmented_radix_sort_implIS3_Lb0EPKiPiPKlPlN2at6native12_GLOBAL__N_18offset_tEEE10hipError_tPvRmT1_PNSt15iterator_traitsISK_E10value_typeET2_T3_PNSL_ISQ_E10value_typeET4_jRbjT5_SW_jjP12ihipStream_tbEUlT_E_NS1_11comp_targetILNS1_3genE10ELNS1_11target_archE1201ELNS1_3gpuE5ELNS1_3repE0EEENS1_30default_config_static_selectorELNS0_4arch9wavefront6targetE1EEEvSK_
                                        ; -- End function
	.set _ZN7rocprim17ROCPRIM_400000_NS6detail17trampoline_kernelINS0_14default_configENS1_36segmented_radix_sort_config_selectorIilEEZNS1_25segmented_radix_sort_implIS3_Lb0EPKiPiPKlPlN2at6native12_GLOBAL__N_18offset_tEEE10hipError_tPvRmT1_PNSt15iterator_traitsISK_E10value_typeET2_T3_PNSL_ISQ_E10value_typeET4_jRbjT5_SW_jjP12ihipStream_tbEUlT_E_NS1_11comp_targetILNS1_3genE10ELNS1_11target_archE1201ELNS1_3gpuE5ELNS1_3repE0EEENS1_30default_config_static_selectorELNS0_4arch9wavefront6targetE1EEEvSK_.num_vgpr, 0
	.set _ZN7rocprim17ROCPRIM_400000_NS6detail17trampoline_kernelINS0_14default_configENS1_36segmented_radix_sort_config_selectorIilEEZNS1_25segmented_radix_sort_implIS3_Lb0EPKiPiPKlPlN2at6native12_GLOBAL__N_18offset_tEEE10hipError_tPvRmT1_PNSt15iterator_traitsISK_E10value_typeET2_T3_PNSL_ISQ_E10value_typeET4_jRbjT5_SW_jjP12ihipStream_tbEUlT_E_NS1_11comp_targetILNS1_3genE10ELNS1_11target_archE1201ELNS1_3gpuE5ELNS1_3repE0EEENS1_30default_config_static_selectorELNS0_4arch9wavefront6targetE1EEEvSK_.num_agpr, 0
	.set _ZN7rocprim17ROCPRIM_400000_NS6detail17trampoline_kernelINS0_14default_configENS1_36segmented_radix_sort_config_selectorIilEEZNS1_25segmented_radix_sort_implIS3_Lb0EPKiPiPKlPlN2at6native12_GLOBAL__N_18offset_tEEE10hipError_tPvRmT1_PNSt15iterator_traitsISK_E10value_typeET2_T3_PNSL_ISQ_E10value_typeET4_jRbjT5_SW_jjP12ihipStream_tbEUlT_E_NS1_11comp_targetILNS1_3genE10ELNS1_11target_archE1201ELNS1_3gpuE5ELNS1_3repE0EEENS1_30default_config_static_selectorELNS0_4arch9wavefront6targetE1EEEvSK_.numbered_sgpr, 0
	.set _ZN7rocprim17ROCPRIM_400000_NS6detail17trampoline_kernelINS0_14default_configENS1_36segmented_radix_sort_config_selectorIilEEZNS1_25segmented_radix_sort_implIS3_Lb0EPKiPiPKlPlN2at6native12_GLOBAL__N_18offset_tEEE10hipError_tPvRmT1_PNSt15iterator_traitsISK_E10value_typeET2_T3_PNSL_ISQ_E10value_typeET4_jRbjT5_SW_jjP12ihipStream_tbEUlT_E_NS1_11comp_targetILNS1_3genE10ELNS1_11target_archE1201ELNS1_3gpuE5ELNS1_3repE0EEENS1_30default_config_static_selectorELNS0_4arch9wavefront6targetE1EEEvSK_.num_named_barrier, 0
	.set _ZN7rocprim17ROCPRIM_400000_NS6detail17trampoline_kernelINS0_14default_configENS1_36segmented_radix_sort_config_selectorIilEEZNS1_25segmented_radix_sort_implIS3_Lb0EPKiPiPKlPlN2at6native12_GLOBAL__N_18offset_tEEE10hipError_tPvRmT1_PNSt15iterator_traitsISK_E10value_typeET2_T3_PNSL_ISQ_E10value_typeET4_jRbjT5_SW_jjP12ihipStream_tbEUlT_E_NS1_11comp_targetILNS1_3genE10ELNS1_11target_archE1201ELNS1_3gpuE5ELNS1_3repE0EEENS1_30default_config_static_selectorELNS0_4arch9wavefront6targetE1EEEvSK_.private_seg_size, 0
	.set _ZN7rocprim17ROCPRIM_400000_NS6detail17trampoline_kernelINS0_14default_configENS1_36segmented_radix_sort_config_selectorIilEEZNS1_25segmented_radix_sort_implIS3_Lb0EPKiPiPKlPlN2at6native12_GLOBAL__N_18offset_tEEE10hipError_tPvRmT1_PNSt15iterator_traitsISK_E10value_typeET2_T3_PNSL_ISQ_E10value_typeET4_jRbjT5_SW_jjP12ihipStream_tbEUlT_E_NS1_11comp_targetILNS1_3genE10ELNS1_11target_archE1201ELNS1_3gpuE5ELNS1_3repE0EEENS1_30default_config_static_selectorELNS0_4arch9wavefront6targetE1EEEvSK_.uses_vcc, 0
	.set _ZN7rocprim17ROCPRIM_400000_NS6detail17trampoline_kernelINS0_14default_configENS1_36segmented_radix_sort_config_selectorIilEEZNS1_25segmented_radix_sort_implIS3_Lb0EPKiPiPKlPlN2at6native12_GLOBAL__N_18offset_tEEE10hipError_tPvRmT1_PNSt15iterator_traitsISK_E10value_typeET2_T3_PNSL_ISQ_E10value_typeET4_jRbjT5_SW_jjP12ihipStream_tbEUlT_E_NS1_11comp_targetILNS1_3genE10ELNS1_11target_archE1201ELNS1_3gpuE5ELNS1_3repE0EEENS1_30default_config_static_selectorELNS0_4arch9wavefront6targetE1EEEvSK_.uses_flat_scratch, 0
	.set _ZN7rocprim17ROCPRIM_400000_NS6detail17trampoline_kernelINS0_14default_configENS1_36segmented_radix_sort_config_selectorIilEEZNS1_25segmented_radix_sort_implIS3_Lb0EPKiPiPKlPlN2at6native12_GLOBAL__N_18offset_tEEE10hipError_tPvRmT1_PNSt15iterator_traitsISK_E10value_typeET2_T3_PNSL_ISQ_E10value_typeET4_jRbjT5_SW_jjP12ihipStream_tbEUlT_E_NS1_11comp_targetILNS1_3genE10ELNS1_11target_archE1201ELNS1_3gpuE5ELNS1_3repE0EEENS1_30default_config_static_selectorELNS0_4arch9wavefront6targetE1EEEvSK_.has_dyn_sized_stack, 0
	.set _ZN7rocprim17ROCPRIM_400000_NS6detail17trampoline_kernelINS0_14default_configENS1_36segmented_radix_sort_config_selectorIilEEZNS1_25segmented_radix_sort_implIS3_Lb0EPKiPiPKlPlN2at6native12_GLOBAL__N_18offset_tEEE10hipError_tPvRmT1_PNSt15iterator_traitsISK_E10value_typeET2_T3_PNSL_ISQ_E10value_typeET4_jRbjT5_SW_jjP12ihipStream_tbEUlT_E_NS1_11comp_targetILNS1_3genE10ELNS1_11target_archE1201ELNS1_3gpuE5ELNS1_3repE0EEENS1_30default_config_static_selectorELNS0_4arch9wavefront6targetE1EEEvSK_.has_recursion, 0
	.set _ZN7rocprim17ROCPRIM_400000_NS6detail17trampoline_kernelINS0_14default_configENS1_36segmented_radix_sort_config_selectorIilEEZNS1_25segmented_radix_sort_implIS3_Lb0EPKiPiPKlPlN2at6native12_GLOBAL__N_18offset_tEEE10hipError_tPvRmT1_PNSt15iterator_traitsISK_E10value_typeET2_T3_PNSL_ISQ_E10value_typeET4_jRbjT5_SW_jjP12ihipStream_tbEUlT_E_NS1_11comp_targetILNS1_3genE10ELNS1_11target_archE1201ELNS1_3gpuE5ELNS1_3repE0EEENS1_30default_config_static_selectorELNS0_4arch9wavefront6targetE1EEEvSK_.has_indirect_call, 0
	.section	.AMDGPU.csdata,"",@progbits
; Kernel info:
; codeLenInByte = 0
; TotalNumSgprs: 4
; NumVgprs: 0
; ScratchSize: 0
; MemoryBound: 0
; FloatMode: 240
; IeeeMode: 1
; LDSByteSize: 0 bytes/workgroup (compile time only)
; SGPRBlocks: 0
; VGPRBlocks: 0
; NumSGPRsForWavesPerEU: 4
; NumVGPRsForWavesPerEU: 1
; Occupancy: 10
; WaveLimiterHint : 0
; COMPUTE_PGM_RSRC2:SCRATCH_EN: 0
; COMPUTE_PGM_RSRC2:USER_SGPR: 6
; COMPUTE_PGM_RSRC2:TRAP_HANDLER: 0
; COMPUTE_PGM_RSRC2:TGID_X_EN: 1
; COMPUTE_PGM_RSRC2:TGID_Y_EN: 0
; COMPUTE_PGM_RSRC2:TGID_Z_EN: 0
; COMPUTE_PGM_RSRC2:TIDIG_COMP_CNT: 0
	.section	.text._ZN7rocprim17ROCPRIM_400000_NS6detail17trampoline_kernelINS0_14default_configENS1_36segmented_radix_sort_config_selectorIilEEZNS1_25segmented_radix_sort_implIS3_Lb0EPKiPiPKlPlN2at6native12_GLOBAL__N_18offset_tEEE10hipError_tPvRmT1_PNSt15iterator_traitsISK_E10value_typeET2_T3_PNSL_ISQ_E10value_typeET4_jRbjT5_SW_jjP12ihipStream_tbEUlT_E_NS1_11comp_targetILNS1_3genE10ELNS1_11target_archE1200ELNS1_3gpuE4ELNS1_3repE0EEENS1_30default_config_static_selectorELNS0_4arch9wavefront6targetE1EEEvSK_,"axG",@progbits,_ZN7rocprim17ROCPRIM_400000_NS6detail17trampoline_kernelINS0_14default_configENS1_36segmented_radix_sort_config_selectorIilEEZNS1_25segmented_radix_sort_implIS3_Lb0EPKiPiPKlPlN2at6native12_GLOBAL__N_18offset_tEEE10hipError_tPvRmT1_PNSt15iterator_traitsISK_E10value_typeET2_T3_PNSL_ISQ_E10value_typeET4_jRbjT5_SW_jjP12ihipStream_tbEUlT_E_NS1_11comp_targetILNS1_3genE10ELNS1_11target_archE1200ELNS1_3gpuE4ELNS1_3repE0EEENS1_30default_config_static_selectorELNS0_4arch9wavefront6targetE1EEEvSK_,comdat
	.globl	_ZN7rocprim17ROCPRIM_400000_NS6detail17trampoline_kernelINS0_14default_configENS1_36segmented_radix_sort_config_selectorIilEEZNS1_25segmented_radix_sort_implIS3_Lb0EPKiPiPKlPlN2at6native12_GLOBAL__N_18offset_tEEE10hipError_tPvRmT1_PNSt15iterator_traitsISK_E10value_typeET2_T3_PNSL_ISQ_E10value_typeET4_jRbjT5_SW_jjP12ihipStream_tbEUlT_E_NS1_11comp_targetILNS1_3genE10ELNS1_11target_archE1200ELNS1_3gpuE4ELNS1_3repE0EEENS1_30default_config_static_selectorELNS0_4arch9wavefront6targetE1EEEvSK_ ; -- Begin function _ZN7rocprim17ROCPRIM_400000_NS6detail17trampoline_kernelINS0_14default_configENS1_36segmented_radix_sort_config_selectorIilEEZNS1_25segmented_radix_sort_implIS3_Lb0EPKiPiPKlPlN2at6native12_GLOBAL__N_18offset_tEEE10hipError_tPvRmT1_PNSt15iterator_traitsISK_E10value_typeET2_T3_PNSL_ISQ_E10value_typeET4_jRbjT5_SW_jjP12ihipStream_tbEUlT_E_NS1_11comp_targetILNS1_3genE10ELNS1_11target_archE1200ELNS1_3gpuE4ELNS1_3repE0EEENS1_30default_config_static_selectorELNS0_4arch9wavefront6targetE1EEEvSK_
	.p2align	8
	.type	_ZN7rocprim17ROCPRIM_400000_NS6detail17trampoline_kernelINS0_14default_configENS1_36segmented_radix_sort_config_selectorIilEEZNS1_25segmented_radix_sort_implIS3_Lb0EPKiPiPKlPlN2at6native12_GLOBAL__N_18offset_tEEE10hipError_tPvRmT1_PNSt15iterator_traitsISK_E10value_typeET2_T3_PNSL_ISQ_E10value_typeET4_jRbjT5_SW_jjP12ihipStream_tbEUlT_E_NS1_11comp_targetILNS1_3genE10ELNS1_11target_archE1200ELNS1_3gpuE4ELNS1_3repE0EEENS1_30default_config_static_selectorELNS0_4arch9wavefront6targetE1EEEvSK_,@function
_ZN7rocprim17ROCPRIM_400000_NS6detail17trampoline_kernelINS0_14default_configENS1_36segmented_radix_sort_config_selectorIilEEZNS1_25segmented_radix_sort_implIS3_Lb0EPKiPiPKlPlN2at6native12_GLOBAL__N_18offset_tEEE10hipError_tPvRmT1_PNSt15iterator_traitsISK_E10value_typeET2_T3_PNSL_ISQ_E10value_typeET4_jRbjT5_SW_jjP12ihipStream_tbEUlT_E_NS1_11comp_targetILNS1_3genE10ELNS1_11target_archE1200ELNS1_3gpuE4ELNS1_3repE0EEENS1_30default_config_static_selectorELNS0_4arch9wavefront6targetE1EEEvSK_: ; @_ZN7rocprim17ROCPRIM_400000_NS6detail17trampoline_kernelINS0_14default_configENS1_36segmented_radix_sort_config_selectorIilEEZNS1_25segmented_radix_sort_implIS3_Lb0EPKiPiPKlPlN2at6native12_GLOBAL__N_18offset_tEEE10hipError_tPvRmT1_PNSt15iterator_traitsISK_E10value_typeET2_T3_PNSL_ISQ_E10value_typeET4_jRbjT5_SW_jjP12ihipStream_tbEUlT_E_NS1_11comp_targetILNS1_3genE10ELNS1_11target_archE1200ELNS1_3gpuE4ELNS1_3repE0EEENS1_30default_config_static_selectorELNS0_4arch9wavefront6targetE1EEEvSK_
; %bb.0:
	.section	.rodata,"a",@progbits
	.p2align	6, 0x0
	.amdhsa_kernel _ZN7rocprim17ROCPRIM_400000_NS6detail17trampoline_kernelINS0_14default_configENS1_36segmented_radix_sort_config_selectorIilEEZNS1_25segmented_radix_sort_implIS3_Lb0EPKiPiPKlPlN2at6native12_GLOBAL__N_18offset_tEEE10hipError_tPvRmT1_PNSt15iterator_traitsISK_E10value_typeET2_T3_PNSL_ISQ_E10value_typeET4_jRbjT5_SW_jjP12ihipStream_tbEUlT_E_NS1_11comp_targetILNS1_3genE10ELNS1_11target_archE1200ELNS1_3gpuE4ELNS1_3repE0EEENS1_30default_config_static_selectorELNS0_4arch9wavefront6targetE1EEEvSK_
		.amdhsa_group_segment_fixed_size 0
		.amdhsa_private_segment_fixed_size 0
		.amdhsa_kernarg_size 96
		.amdhsa_user_sgpr_count 6
		.amdhsa_user_sgpr_private_segment_buffer 1
		.amdhsa_user_sgpr_dispatch_ptr 0
		.amdhsa_user_sgpr_queue_ptr 0
		.amdhsa_user_sgpr_kernarg_segment_ptr 1
		.amdhsa_user_sgpr_dispatch_id 0
		.amdhsa_user_sgpr_flat_scratch_init 0
		.amdhsa_user_sgpr_private_segment_size 0
		.amdhsa_uses_dynamic_stack 0
		.amdhsa_system_sgpr_private_segment_wavefront_offset 0
		.amdhsa_system_sgpr_workgroup_id_x 1
		.amdhsa_system_sgpr_workgroup_id_y 0
		.amdhsa_system_sgpr_workgroup_id_z 0
		.amdhsa_system_sgpr_workgroup_info 0
		.amdhsa_system_vgpr_workitem_id 0
		.amdhsa_next_free_vgpr 1
		.amdhsa_next_free_sgpr 0
		.amdhsa_reserve_vcc 0
		.amdhsa_reserve_flat_scratch 0
		.amdhsa_float_round_mode_32 0
		.amdhsa_float_round_mode_16_64 0
		.amdhsa_float_denorm_mode_32 3
		.amdhsa_float_denorm_mode_16_64 3
		.amdhsa_dx10_clamp 1
		.amdhsa_ieee_mode 1
		.amdhsa_fp16_overflow 0
		.amdhsa_exception_fp_ieee_invalid_op 0
		.amdhsa_exception_fp_denorm_src 0
		.amdhsa_exception_fp_ieee_div_zero 0
		.amdhsa_exception_fp_ieee_overflow 0
		.amdhsa_exception_fp_ieee_underflow 0
		.amdhsa_exception_fp_ieee_inexact 0
		.amdhsa_exception_int_div_zero 0
	.end_amdhsa_kernel
	.section	.text._ZN7rocprim17ROCPRIM_400000_NS6detail17trampoline_kernelINS0_14default_configENS1_36segmented_radix_sort_config_selectorIilEEZNS1_25segmented_radix_sort_implIS3_Lb0EPKiPiPKlPlN2at6native12_GLOBAL__N_18offset_tEEE10hipError_tPvRmT1_PNSt15iterator_traitsISK_E10value_typeET2_T3_PNSL_ISQ_E10value_typeET4_jRbjT5_SW_jjP12ihipStream_tbEUlT_E_NS1_11comp_targetILNS1_3genE10ELNS1_11target_archE1200ELNS1_3gpuE4ELNS1_3repE0EEENS1_30default_config_static_selectorELNS0_4arch9wavefront6targetE1EEEvSK_,"axG",@progbits,_ZN7rocprim17ROCPRIM_400000_NS6detail17trampoline_kernelINS0_14default_configENS1_36segmented_radix_sort_config_selectorIilEEZNS1_25segmented_radix_sort_implIS3_Lb0EPKiPiPKlPlN2at6native12_GLOBAL__N_18offset_tEEE10hipError_tPvRmT1_PNSt15iterator_traitsISK_E10value_typeET2_T3_PNSL_ISQ_E10value_typeET4_jRbjT5_SW_jjP12ihipStream_tbEUlT_E_NS1_11comp_targetILNS1_3genE10ELNS1_11target_archE1200ELNS1_3gpuE4ELNS1_3repE0EEENS1_30default_config_static_selectorELNS0_4arch9wavefront6targetE1EEEvSK_,comdat
.Lfunc_end607:
	.size	_ZN7rocprim17ROCPRIM_400000_NS6detail17trampoline_kernelINS0_14default_configENS1_36segmented_radix_sort_config_selectorIilEEZNS1_25segmented_radix_sort_implIS3_Lb0EPKiPiPKlPlN2at6native12_GLOBAL__N_18offset_tEEE10hipError_tPvRmT1_PNSt15iterator_traitsISK_E10value_typeET2_T3_PNSL_ISQ_E10value_typeET4_jRbjT5_SW_jjP12ihipStream_tbEUlT_E_NS1_11comp_targetILNS1_3genE10ELNS1_11target_archE1200ELNS1_3gpuE4ELNS1_3repE0EEENS1_30default_config_static_selectorELNS0_4arch9wavefront6targetE1EEEvSK_, .Lfunc_end607-_ZN7rocprim17ROCPRIM_400000_NS6detail17trampoline_kernelINS0_14default_configENS1_36segmented_radix_sort_config_selectorIilEEZNS1_25segmented_radix_sort_implIS3_Lb0EPKiPiPKlPlN2at6native12_GLOBAL__N_18offset_tEEE10hipError_tPvRmT1_PNSt15iterator_traitsISK_E10value_typeET2_T3_PNSL_ISQ_E10value_typeET4_jRbjT5_SW_jjP12ihipStream_tbEUlT_E_NS1_11comp_targetILNS1_3genE10ELNS1_11target_archE1200ELNS1_3gpuE4ELNS1_3repE0EEENS1_30default_config_static_selectorELNS0_4arch9wavefront6targetE1EEEvSK_
                                        ; -- End function
	.set _ZN7rocprim17ROCPRIM_400000_NS6detail17trampoline_kernelINS0_14default_configENS1_36segmented_radix_sort_config_selectorIilEEZNS1_25segmented_radix_sort_implIS3_Lb0EPKiPiPKlPlN2at6native12_GLOBAL__N_18offset_tEEE10hipError_tPvRmT1_PNSt15iterator_traitsISK_E10value_typeET2_T3_PNSL_ISQ_E10value_typeET4_jRbjT5_SW_jjP12ihipStream_tbEUlT_E_NS1_11comp_targetILNS1_3genE10ELNS1_11target_archE1200ELNS1_3gpuE4ELNS1_3repE0EEENS1_30default_config_static_selectorELNS0_4arch9wavefront6targetE1EEEvSK_.num_vgpr, 0
	.set _ZN7rocprim17ROCPRIM_400000_NS6detail17trampoline_kernelINS0_14default_configENS1_36segmented_radix_sort_config_selectorIilEEZNS1_25segmented_radix_sort_implIS3_Lb0EPKiPiPKlPlN2at6native12_GLOBAL__N_18offset_tEEE10hipError_tPvRmT1_PNSt15iterator_traitsISK_E10value_typeET2_T3_PNSL_ISQ_E10value_typeET4_jRbjT5_SW_jjP12ihipStream_tbEUlT_E_NS1_11comp_targetILNS1_3genE10ELNS1_11target_archE1200ELNS1_3gpuE4ELNS1_3repE0EEENS1_30default_config_static_selectorELNS0_4arch9wavefront6targetE1EEEvSK_.num_agpr, 0
	.set _ZN7rocprim17ROCPRIM_400000_NS6detail17trampoline_kernelINS0_14default_configENS1_36segmented_radix_sort_config_selectorIilEEZNS1_25segmented_radix_sort_implIS3_Lb0EPKiPiPKlPlN2at6native12_GLOBAL__N_18offset_tEEE10hipError_tPvRmT1_PNSt15iterator_traitsISK_E10value_typeET2_T3_PNSL_ISQ_E10value_typeET4_jRbjT5_SW_jjP12ihipStream_tbEUlT_E_NS1_11comp_targetILNS1_3genE10ELNS1_11target_archE1200ELNS1_3gpuE4ELNS1_3repE0EEENS1_30default_config_static_selectorELNS0_4arch9wavefront6targetE1EEEvSK_.numbered_sgpr, 0
	.set _ZN7rocprim17ROCPRIM_400000_NS6detail17trampoline_kernelINS0_14default_configENS1_36segmented_radix_sort_config_selectorIilEEZNS1_25segmented_radix_sort_implIS3_Lb0EPKiPiPKlPlN2at6native12_GLOBAL__N_18offset_tEEE10hipError_tPvRmT1_PNSt15iterator_traitsISK_E10value_typeET2_T3_PNSL_ISQ_E10value_typeET4_jRbjT5_SW_jjP12ihipStream_tbEUlT_E_NS1_11comp_targetILNS1_3genE10ELNS1_11target_archE1200ELNS1_3gpuE4ELNS1_3repE0EEENS1_30default_config_static_selectorELNS0_4arch9wavefront6targetE1EEEvSK_.num_named_barrier, 0
	.set _ZN7rocprim17ROCPRIM_400000_NS6detail17trampoline_kernelINS0_14default_configENS1_36segmented_radix_sort_config_selectorIilEEZNS1_25segmented_radix_sort_implIS3_Lb0EPKiPiPKlPlN2at6native12_GLOBAL__N_18offset_tEEE10hipError_tPvRmT1_PNSt15iterator_traitsISK_E10value_typeET2_T3_PNSL_ISQ_E10value_typeET4_jRbjT5_SW_jjP12ihipStream_tbEUlT_E_NS1_11comp_targetILNS1_3genE10ELNS1_11target_archE1200ELNS1_3gpuE4ELNS1_3repE0EEENS1_30default_config_static_selectorELNS0_4arch9wavefront6targetE1EEEvSK_.private_seg_size, 0
	.set _ZN7rocprim17ROCPRIM_400000_NS6detail17trampoline_kernelINS0_14default_configENS1_36segmented_radix_sort_config_selectorIilEEZNS1_25segmented_radix_sort_implIS3_Lb0EPKiPiPKlPlN2at6native12_GLOBAL__N_18offset_tEEE10hipError_tPvRmT1_PNSt15iterator_traitsISK_E10value_typeET2_T3_PNSL_ISQ_E10value_typeET4_jRbjT5_SW_jjP12ihipStream_tbEUlT_E_NS1_11comp_targetILNS1_3genE10ELNS1_11target_archE1200ELNS1_3gpuE4ELNS1_3repE0EEENS1_30default_config_static_selectorELNS0_4arch9wavefront6targetE1EEEvSK_.uses_vcc, 0
	.set _ZN7rocprim17ROCPRIM_400000_NS6detail17trampoline_kernelINS0_14default_configENS1_36segmented_radix_sort_config_selectorIilEEZNS1_25segmented_radix_sort_implIS3_Lb0EPKiPiPKlPlN2at6native12_GLOBAL__N_18offset_tEEE10hipError_tPvRmT1_PNSt15iterator_traitsISK_E10value_typeET2_T3_PNSL_ISQ_E10value_typeET4_jRbjT5_SW_jjP12ihipStream_tbEUlT_E_NS1_11comp_targetILNS1_3genE10ELNS1_11target_archE1200ELNS1_3gpuE4ELNS1_3repE0EEENS1_30default_config_static_selectorELNS0_4arch9wavefront6targetE1EEEvSK_.uses_flat_scratch, 0
	.set _ZN7rocprim17ROCPRIM_400000_NS6detail17trampoline_kernelINS0_14default_configENS1_36segmented_radix_sort_config_selectorIilEEZNS1_25segmented_radix_sort_implIS3_Lb0EPKiPiPKlPlN2at6native12_GLOBAL__N_18offset_tEEE10hipError_tPvRmT1_PNSt15iterator_traitsISK_E10value_typeET2_T3_PNSL_ISQ_E10value_typeET4_jRbjT5_SW_jjP12ihipStream_tbEUlT_E_NS1_11comp_targetILNS1_3genE10ELNS1_11target_archE1200ELNS1_3gpuE4ELNS1_3repE0EEENS1_30default_config_static_selectorELNS0_4arch9wavefront6targetE1EEEvSK_.has_dyn_sized_stack, 0
	.set _ZN7rocprim17ROCPRIM_400000_NS6detail17trampoline_kernelINS0_14default_configENS1_36segmented_radix_sort_config_selectorIilEEZNS1_25segmented_radix_sort_implIS3_Lb0EPKiPiPKlPlN2at6native12_GLOBAL__N_18offset_tEEE10hipError_tPvRmT1_PNSt15iterator_traitsISK_E10value_typeET2_T3_PNSL_ISQ_E10value_typeET4_jRbjT5_SW_jjP12ihipStream_tbEUlT_E_NS1_11comp_targetILNS1_3genE10ELNS1_11target_archE1200ELNS1_3gpuE4ELNS1_3repE0EEENS1_30default_config_static_selectorELNS0_4arch9wavefront6targetE1EEEvSK_.has_recursion, 0
	.set _ZN7rocprim17ROCPRIM_400000_NS6detail17trampoline_kernelINS0_14default_configENS1_36segmented_radix_sort_config_selectorIilEEZNS1_25segmented_radix_sort_implIS3_Lb0EPKiPiPKlPlN2at6native12_GLOBAL__N_18offset_tEEE10hipError_tPvRmT1_PNSt15iterator_traitsISK_E10value_typeET2_T3_PNSL_ISQ_E10value_typeET4_jRbjT5_SW_jjP12ihipStream_tbEUlT_E_NS1_11comp_targetILNS1_3genE10ELNS1_11target_archE1200ELNS1_3gpuE4ELNS1_3repE0EEENS1_30default_config_static_selectorELNS0_4arch9wavefront6targetE1EEEvSK_.has_indirect_call, 0
	.section	.AMDGPU.csdata,"",@progbits
; Kernel info:
; codeLenInByte = 0
; TotalNumSgprs: 4
; NumVgprs: 0
; ScratchSize: 0
; MemoryBound: 0
; FloatMode: 240
; IeeeMode: 1
; LDSByteSize: 0 bytes/workgroup (compile time only)
; SGPRBlocks: 0
; VGPRBlocks: 0
; NumSGPRsForWavesPerEU: 4
; NumVGPRsForWavesPerEU: 1
; Occupancy: 10
; WaveLimiterHint : 0
; COMPUTE_PGM_RSRC2:SCRATCH_EN: 0
; COMPUTE_PGM_RSRC2:USER_SGPR: 6
; COMPUTE_PGM_RSRC2:TRAP_HANDLER: 0
; COMPUTE_PGM_RSRC2:TGID_X_EN: 1
; COMPUTE_PGM_RSRC2:TGID_Y_EN: 0
; COMPUTE_PGM_RSRC2:TGID_Z_EN: 0
; COMPUTE_PGM_RSRC2:TIDIG_COMP_CNT: 0
	.section	.text._ZN7rocprim17ROCPRIM_400000_NS6detail17trampoline_kernelINS0_14default_configENS1_36segmented_radix_sort_config_selectorIilEEZNS1_25segmented_radix_sort_implIS3_Lb0EPKiPiPKlPlN2at6native12_GLOBAL__N_18offset_tEEE10hipError_tPvRmT1_PNSt15iterator_traitsISK_E10value_typeET2_T3_PNSL_ISQ_E10value_typeET4_jRbjT5_SW_jjP12ihipStream_tbEUlT_E_NS1_11comp_targetILNS1_3genE9ELNS1_11target_archE1100ELNS1_3gpuE3ELNS1_3repE0EEENS1_30default_config_static_selectorELNS0_4arch9wavefront6targetE1EEEvSK_,"axG",@progbits,_ZN7rocprim17ROCPRIM_400000_NS6detail17trampoline_kernelINS0_14default_configENS1_36segmented_radix_sort_config_selectorIilEEZNS1_25segmented_radix_sort_implIS3_Lb0EPKiPiPKlPlN2at6native12_GLOBAL__N_18offset_tEEE10hipError_tPvRmT1_PNSt15iterator_traitsISK_E10value_typeET2_T3_PNSL_ISQ_E10value_typeET4_jRbjT5_SW_jjP12ihipStream_tbEUlT_E_NS1_11comp_targetILNS1_3genE9ELNS1_11target_archE1100ELNS1_3gpuE3ELNS1_3repE0EEENS1_30default_config_static_selectorELNS0_4arch9wavefront6targetE1EEEvSK_,comdat
	.globl	_ZN7rocprim17ROCPRIM_400000_NS6detail17trampoline_kernelINS0_14default_configENS1_36segmented_radix_sort_config_selectorIilEEZNS1_25segmented_radix_sort_implIS3_Lb0EPKiPiPKlPlN2at6native12_GLOBAL__N_18offset_tEEE10hipError_tPvRmT1_PNSt15iterator_traitsISK_E10value_typeET2_T3_PNSL_ISQ_E10value_typeET4_jRbjT5_SW_jjP12ihipStream_tbEUlT_E_NS1_11comp_targetILNS1_3genE9ELNS1_11target_archE1100ELNS1_3gpuE3ELNS1_3repE0EEENS1_30default_config_static_selectorELNS0_4arch9wavefront6targetE1EEEvSK_ ; -- Begin function _ZN7rocprim17ROCPRIM_400000_NS6detail17trampoline_kernelINS0_14default_configENS1_36segmented_radix_sort_config_selectorIilEEZNS1_25segmented_radix_sort_implIS3_Lb0EPKiPiPKlPlN2at6native12_GLOBAL__N_18offset_tEEE10hipError_tPvRmT1_PNSt15iterator_traitsISK_E10value_typeET2_T3_PNSL_ISQ_E10value_typeET4_jRbjT5_SW_jjP12ihipStream_tbEUlT_E_NS1_11comp_targetILNS1_3genE9ELNS1_11target_archE1100ELNS1_3gpuE3ELNS1_3repE0EEENS1_30default_config_static_selectorELNS0_4arch9wavefront6targetE1EEEvSK_
	.p2align	8
	.type	_ZN7rocprim17ROCPRIM_400000_NS6detail17trampoline_kernelINS0_14default_configENS1_36segmented_radix_sort_config_selectorIilEEZNS1_25segmented_radix_sort_implIS3_Lb0EPKiPiPKlPlN2at6native12_GLOBAL__N_18offset_tEEE10hipError_tPvRmT1_PNSt15iterator_traitsISK_E10value_typeET2_T3_PNSL_ISQ_E10value_typeET4_jRbjT5_SW_jjP12ihipStream_tbEUlT_E_NS1_11comp_targetILNS1_3genE9ELNS1_11target_archE1100ELNS1_3gpuE3ELNS1_3repE0EEENS1_30default_config_static_selectorELNS0_4arch9wavefront6targetE1EEEvSK_,@function
_ZN7rocprim17ROCPRIM_400000_NS6detail17trampoline_kernelINS0_14default_configENS1_36segmented_radix_sort_config_selectorIilEEZNS1_25segmented_radix_sort_implIS3_Lb0EPKiPiPKlPlN2at6native12_GLOBAL__N_18offset_tEEE10hipError_tPvRmT1_PNSt15iterator_traitsISK_E10value_typeET2_T3_PNSL_ISQ_E10value_typeET4_jRbjT5_SW_jjP12ihipStream_tbEUlT_E_NS1_11comp_targetILNS1_3genE9ELNS1_11target_archE1100ELNS1_3gpuE3ELNS1_3repE0EEENS1_30default_config_static_selectorELNS0_4arch9wavefront6targetE1EEEvSK_: ; @_ZN7rocprim17ROCPRIM_400000_NS6detail17trampoline_kernelINS0_14default_configENS1_36segmented_radix_sort_config_selectorIilEEZNS1_25segmented_radix_sort_implIS3_Lb0EPKiPiPKlPlN2at6native12_GLOBAL__N_18offset_tEEE10hipError_tPvRmT1_PNSt15iterator_traitsISK_E10value_typeET2_T3_PNSL_ISQ_E10value_typeET4_jRbjT5_SW_jjP12ihipStream_tbEUlT_E_NS1_11comp_targetILNS1_3genE9ELNS1_11target_archE1100ELNS1_3gpuE3ELNS1_3repE0EEENS1_30default_config_static_selectorELNS0_4arch9wavefront6targetE1EEEvSK_
; %bb.0:
	.section	.rodata,"a",@progbits
	.p2align	6, 0x0
	.amdhsa_kernel _ZN7rocprim17ROCPRIM_400000_NS6detail17trampoline_kernelINS0_14default_configENS1_36segmented_radix_sort_config_selectorIilEEZNS1_25segmented_radix_sort_implIS3_Lb0EPKiPiPKlPlN2at6native12_GLOBAL__N_18offset_tEEE10hipError_tPvRmT1_PNSt15iterator_traitsISK_E10value_typeET2_T3_PNSL_ISQ_E10value_typeET4_jRbjT5_SW_jjP12ihipStream_tbEUlT_E_NS1_11comp_targetILNS1_3genE9ELNS1_11target_archE1100ELNS1_3gpuE3ELNS1_3repE0EEENS1_30default_config_static_selectorELNS0_4arch9wavefront6targetE1EEEvSK_
		.amdhsa_group_segment_fixed_size 0
		.amdhsa_private_segment_fixed_size 0
		.amdhsa_kernarg_size 96
		.amdhsa_user_sgpr_count 6
		.amdhsa_user_sgpr_private_segment_buffer 1
		.amdhsa_user_sgpr_dispatch_ptr 0
		.amdhsa_user_sgpr_queue_ptr 0
		.amdhsa_user_sgpr_kernarg_segment_ptr 1
		.amdhsa_user_sgpr_dispatch_id 0
		.amdhsa_user_sgpr_flat_scratch_init 0
		.amdhsa_user_sgpr_private_segment_size 0
		.amdhsa_uses_dynamic_stack 0
		.amdhsa_system_sgpr_private_segment_wavefront_offset 0
		.amdhsa_system_sgpr_workgroup_id_x 1
		.amdhsa_system_sgpr_workgroup_id_y 0
		.amdhsa_system_sgpr_workgroup_id_z 0
		.amdhsa_system_sgpr_workgroup_info 0
		.amdhsa_system_vgpr_workitem_id 0
		.amdhsa_next_free_vgpr 1
		.amdhsa_next_free_sgpr 0
		.amdhsa_reserve_vcc 0
		.amdhsa_reserve_flat_scratch 0
		.amdhsa_float_round_mode_32 0
		.amdhsa_float_round_mode_16_64 0
		.amdhsa_float_denorm_mode_32 3
		.amdhsa_float_denorm_mode_16_64 3
		.amdhsa_dx10_clamp 1
		.amdhsa_ieee_mode 1
		.amdhsa_fp16_overflow 0
		.amdhsa_exception_fp_ieee_invalid_op 0
		.amdhsa_exception_fp_denorm_src 0
		.amdhsa_exception_fp_ieee_div_zero 0
		.amdhsa_exception_fp_ieee_overflow 0
		.amdhsa_exception_fp_ieee_underflow 0
		.amdhsa_exception_fp_ieee_inexact 0
		.amdhsa_exception_int_div_zero 0
	.end_amdhsa_kernel
	.section	.text._ZN7rocprim17ROCPRIM_400000_NS6detail17trampoline_kernelINS0_14default_configENS1_36segmented_radix_sort_config_selectorIilEEZNS1_25segmented_radix_sort_implIS3_Lb0EPKiPiPKlPlN2at6native12_GLOBAL__N_18offset_tEEE10hipError_tPvRmT1_PNSt15iterator_traitsISK_E10value_typeET2_T3_PNSL_ISQ_E10value_typeET4_jRbjT5_SW_jjP12ihipStream_tbEUlT_E_NS1_11comp_targetILNS1_3genE9ELNS1_11target_archE1100ELNS1_3gpuE3ELNS1_3repE0EEENS1_30default_config_static_selectorELNS0_4arch9wavefront6targetE1EEEvSK_,"axG",@progbits,_ZN7rocprim17ROCPRIM_400000_NS6detail17trampoline_kernelINS0_14default_configENS1_36segmented_radix_sort_config_selectorIilEEZNS1_25segmented_radix_sort_implIS3_Lb0EPKiPiPKlPlN2at6native12_GLOBAL__N_18offset_tEEE10hipError_tPvRmT1_PNSt15iterator_traitsISK_E10value_typeET2_T3_PNSL_ISQ_E10value_typeET4_jRbjT5_SW_jjP12ihipStream_tbEUlT_E_NS1_11comp_targetILNS1_3genE9ELNS1_11target_archE1100ELNS1_3gpuE3ELNS1_3repE0EEENS1_30default_config_static_selectorELNS0_4arch9wavefront6targetE1EEEvSK_,comdat
.Lfunc_end608:
	.size	_ZN7rocprim17ROCPRIM_400000_NS6detail17trampoline_kernelINS0_14default_configENS1_36segmented_radix_sort_config_selectorIilEEZNS1_25segmented_radix_sort_implIS3_Lb0EPKiPiPKlPlN2at6native12_GLOBAL__N_18offset_tEEE10hipError_tPvRmT1_PNSt15iterator_traitsISK_E10value_typeET2_T3_PNSL_ISQ_E10value_typeET4_jRbjT5_SW_jjP12ihipStream_tbEUlT_E_NS1_11comp_targetILNS1_3genE9ELNS1_11target_archE1100ELNS1_3gpuE3ELNS1_3repE0EEENS1_30default_config_static_selectorELNS0_4arch9wavefront6targetE1EEEvSK_, .Lfunc_end608-_ZN7rocprim17ROCPRIM_400000_NS6detail17trampoline_kernelINS0_14default_configENS1_36segmented_radix_sort_config_selectorIilEEZNS1_25segmented_radix_sort_implIS3_Lb0EPKiPiPKlPlN2at6native12_GLOBAL__N_18offset_tEEE10hipError_tPvRmT1_PNSt15iterator_traitsISK_E10value_typeET2_T3_PNSL_ISQ_E10value_typeET4_jRbjT5_SW_jjP12ihipStream_tbEUlT_E_NS1_11comp_targetILNS1_3genE9ELNS1_11target_archE1100ELNS1_3gpuE3ELNS1_3repE0EEENS1_30default_config_static_selectorELNS0_4arch9wavefront6targetE1EEEvSK_
                                        ; -- End function
	.set _ZN7rocprim17ROCPRIM_400000_NS6detail17trampoline_kernelINS0_14default_configENS1_36segmented_radix_sort_config_selectorIilEEZNS1_25segmented_radix_sort_implIS3_Lb0EPKiPiPKlPlN2at6native12_GLOBAL__N_18offset_tEEE10hipError_tPvRmT1_PNSt15iterator_traitsISK_E10value_typeET2_T3_PNSL_ISQ_E10value_typeET4_jRbjT5_SW_jjP12ihipStream_tbEUlT_E_NS1_11comp_targetILNS1_3genE9ELNS1_11target_archE1100ELNS1_3gpuE3ELNS1_3repE0EEENS1_30default_config_static_selectorELNS0_4arch9wavefront6targetE1EEEvSK_.num_vgpr, 0
	.set _ZN7rocprim17ROCPRIM_400000_NS6detail17trampoline_kernelINS0_14default_configENS1_36segmented_radix_sort_config_selectorIilEEZNS1_25segmented_radix_sort_implIS3_Lb0EPKiPiPKlPlN2at6native12_GLOBAL__N_18offset_tEEE10hipError_tPvRmT1_PNSt15iterator_traitsISK_E10value_typeET2_T3_PNSL_ISQ_E10value_typeET4_jRbjT5_SW_jjP12ihipStream_tbEUlT_E_NS1_11comp_targetILNS1_3genE9ELNS1_11target_archE1100ELNS1_3gpuE3ELNS1_3repE0EEENS1_30default_config_static_selectorELNS0_4arch9wavefront6targetE1EEEvSK_.num_agpr, 0
	.set _ZN7rocprim17ROCPRIM_400000_NS6detail17trampoline_kernelINS0_14default_configENS1_36segmented_radix_sort_config_selectorIilEEZNS1_25segmented_radix_sort_implIS3_Lb0EPKiPiPKlPlN2at6native12_GLOBAL__N_18offset_tEEE10hipError_tPvRmT1_PNSt15iterator_traitsISK_E10value_typeET2_T3_PNSL_ISQ_E10value_typeET4_jRbjT5_SW_jjP12ihipStream_tbEUlT_E_NS1_11comp_targetILNS1_3genE9ELNS1_11target_archE1100ELNS1_3gpuE3ELNS1_3repE0EEENS1_30default_config_static_selectorELNS0_4arch9wavefront6targetE1EEEvSK_.numbered_sgpr, 0
	.set _ZN7rocprim17ROCPRIM_400000_NS6detail17trampoline_kernelINS0_14default_configENS1_36segmented_radix_sort_config_selectorIilEEZNS1_25segmented_radix_sort_implIS3_Lb0EPKiPiPKlPlN2at6native12_GLOBAL__N_18offset_tEEE10hipError_tPvRmT1_PNSt15iterator_traitsISK_E10value_typeET2_T3_PNSL_ISQ_E10value_typeET4_jRbjT5_SW_jjP12ihipStream_tbEUlT_E_NS1_11comp_targetILNS1_3genE9ELNS1_11target_archE1100ELNS1_3gpuE3ELNS1_3repE0EEENS1_30default_config_static_selectorELNS0_4arch9wavefront6targetE1EEEvSK_.num_named_barrier, 0
	.set _ZN7rocprim17ROCPRIM_400000_NS6detail17trampoline_kernelINS0_14default_configENS1_36segmented_radix_sort_config_selectorIilEEZNS1_25segmented_radix_sort_implIS3_Lb0EPKiPiPKlPlN2at6native12_GLOBAL__N_18offset_tEEE10hipError_tPvRmT1_PNSt15iterator_traitsISK_E10value_typeET2_T3_PNSL_ISQ_E10value_typeET4_jRbjT5_SW_jjP12ihipStream_tbEUlT_E_NS1_11comp_targetILNS1_3genE9ELNS1_11target_archE1100ELNS1_3gpuE3ELNS1_3repE0EEENS1_30default_config_static_selectorELNS0_4arch9wavefront6targetE1EEEvSK_.private_seg_size, 0
	.set _ZN7rocprim17ROCPRIM_400000_NS6detail17trampoline_kernelINS0_14default_configENS1_36segmented_radix_sort_config_selectorIilEEZNS1_25segmented_radix_sort_implIS3_Lb0EPKiPiPKlPlN2at6native12_GLOBAL__N_18offset_tEEE10hipError_tPvRmT1_PNSt15iterator_traitsISK_E10value_typeET2_T3_PNSL_ISQ_E10value_typeET4_jRbjT5_SW_jjP12ihipStream_tbEUlT_E_NS1_11comp_targetILNS1_3genE9ELNS1_11target_archE1100ELNS1_3gpuE3ELNS1_3repE0EEENS1_30default_config_static_selectorELNS0_4arch9wavefront6targetE1EEEvSK_.uses_vcc, 0
	.set _ZN7rocprim17ROCPRIM_400000_NS6detail17trampoline_kernelINS0_14default_configENS1_36segmented_radix_sort_config_selectorIilEEZNS1_25segmented_radix_sort_implIS3_Lb0EPKiPiPKlPlN2at6native12_GLOBAL__N_18offset_tEEE10hipError_tPvRmT1_PNSt15iterator_traitsISK_E10value_typeET2_T3_PNSL_ISQ_E10value_typeET4_jRbjT5_SW_jjP12ihipStream_tbEUlT_E_NS1_11comp_targetILNS1_3genE9ELNS1_11target_archE1100ELNS1_3gpuE3ELNS1_3repE0EEENS1_30default_config_static_selectorELNS0_4arch9wavefront6targetE1EEEvSK_.uses_flat_scratch, 0
	.set _ZN7rocprim17ROCPRIM_400000_NS6detail17trampoline_kernelINS0_14default_configENS1_36segmented_radix_sort_config_selectorIilEEZNS1_25segmented_radix_sort_implIS3_Lb0EPKiPiPKlPlN2at6native12_GLOBAL__N_18offset_tEEE10hipError_tPvRmT1_PNSt15iterator_traitsISK_E10value_typeET2_T3_PNSL_ISQ_E10value_typeET4_jRbjT5_SW_jjP12ihipStream_tbEUlT_E_NS1_11comp_targetILNS1_3genE9ELNS1_11target_archE1100ELNS1_3gpuE3ELNS1_3repE0EEENS1_30default_config_static_selectorELNS0_4arch9wavefront6targetE1EEEvSK_.has_dyn_sized_stack, 0
	.set _ZN7rocprim17ROCPRIM_400000_NS6detail17trampoline_kernelINS0_14default_configENS1_36segmented_radix_sort_config_selectorIilEEZNS1_25segmented_radix_sort_implIS3_Lb0EPKiPiPKlPlN2at6native12_GLOBAL__N_18offset_tEEE10hipError_tPvRmT1_PNSt15iterator_traitsISK_E10value_typeET2_T3_PNSL_ISQ_E10value_typeET4_jRbjT5_SW_jjP12ihipStream_tbEUlT_E_NS1_11comp_targetILNS1_3genE9ELNS1_11target_archE1100ELNS1_3gpuE3ELNS1_3repE0EEENS1_30default_config_static_selectorELNS0_4arch9wavefront6targetE1EEEvSK_.has_recursion, 0
	.set _ZN7rocprim17ROCPRIM_400000_NS6detail17trampoline_kernelINS0_14default_configENS1_36segmented_radix_sort_config_selectorIilEEZNS1_25segmented_radix_sort_implIS3_Lb0EPKiPiPKlPlN2at6native12_GLOBAL__N_18offset_tEEE10hipError_tPvRmT1_PNSt15iterator_traitsISK_E10value_typeET2_T3_PNSL_ISQ_E10value_typeET4_jRbjT5_SW_jjP12ihipStream_tbEUlT_E_NS1_11comp_targetILNS1_3genE9ELNS1_11target_archE1100ELNS1_3gpuE3ELNS1_3repE0EEENS1_30default_config_static_selectorELNS0_4arch9wavefront6targetE1EEEvSK_.has_indirect_call, 0
	.section	.AMDGPU.csdata,"",@progbits
; Kernel info:
; codeLenInByte = 0
; TotalNumSgprs: 4
; NumVgprs: 0
; ScratchSize: 0
; MemoryBound: 0
; FloatMode: 240
; IeeeMode: 1
; LDSByteSize: 0 bytes/workgroup (compile time only)
; SGPRBlocks: 0
; VGPRBlocks: 0
; NumSGPRsForWavesPerEU: 4
; NumVGPRsForWavesPerEU: 1
; Occupancy: 10
; WaveLimiterHint : 0
; COMPUTE_PGM_RSRC2:SCRATCH_EN: 0
; COMPUTE_PGM_RSRC2:USER_SGPR: 6
; COMPUTE_PGM_RSRC2:TRAP_HANDLER: 0
; COMPUTE_PGM_RSRC2:TGID_X_EN: 1
; COMPUTE_PGM_RSRC2:TGID_Y_EN: 0
; COMPUTE_PGM_RSRC2:TGID_Z_EN: 0
; COMPUTE_PGM_RSRC2:TIDIG_COMP_CNT: 0
	.section	.text._ZN7rocprim17ROCPRIM_400000_NS6detail17trampoline_kernelINS0_14default_configENS1_36segmented_radix_sort_config_selectorIilEEZNS1_25segmented_radix_sort_implIS3_Lb0EPKiPiPKlPlN2at6native12_GLOBAL__N_18offset_tEEE10hipError_tPvRmT1_PNSt15iterator_traitsISK_E10value_typeET2_T3_PNSL_ISQ_E10value_typeET4_jRbjT5_SW_jjP12ihipStream_tbEUlT_E_NS1_11comp_targetILNS1_3genE8ELNS1_11target_archE1030ELNS1_3gpuE2ELNS1_3repE0EEENS1_30default_config_static_selectorELNS0_4arch9wavefront6targetE1EEEvSK_,"axG",@progbits,_ZN7rocprim17ROCPRIM_400000_NS6detail17trampoline_kernelINS0_14default_configENS1_36segmented_radix_sort_config_selectorIilEEZNS1_25segmented_radix_sort_implIS3_Lb0EPKiPiPKlPlN2at6native12_GLOBAL__N_18offset_tEEE10hipError_tPvRmT1_PNSt15iterator_traitsISK_E10value_typeET2_T3_PNSL_ISQ_E10value_typeET4_jRbjT5_SW_jjP12ihipStream_tbEUlT_E_NS1_11comp_targetILNS1_3genE8ELNS1_11target_archE1030ELNS1_3gpuE2ELNS1_3repE0EEENS1_30default_config_static_selectorELNS0_4arch9wavefront6targetE1EEEvSK_,comdat
	.globl	_ZN7rocprim17ROCPRIM_400000_NS6detail17trampoline_kernelINS0_14default_configENS1_36segmented_radix_sort_config_selectorIilEEZNS1_25segmented_radix_sort_implIS3_Lb0EPKiPiPKlPlN2at6native12_GLOBAL__N_18offset_tEEE10hipError_tPvRmT1_PNSt15iterator_traitsISK_E10value_typeET2_T3_PNSL_ISQ_E10value_typeET4_jRbjT5_SW_jjP12ihipStream_tbEUlT_E_NS1_11comp_targetILNS1_3genE8ELNS1_11target_archE1030ELNS1_3gpuE2ELNS1_3repE0EEENS1_30default_config_static_selectorELNS0_4arch9wavefront6targetE1EEEvSK_ ; -- Begin function _ZN7rocprim17ROCPRIM_400000_NS6detail17trampoline_kernelINS0_14default_configENS1_36segmented_radix_sort_config_selectorIilEEZNS1_25segmented_radix_sort_implIS3_Lb0EPKiPiPKlPlN2at6native12_GLOBAL__N_18offset_tEEE10hipError_tPvRmT1_PNSt15iterator_traitsISK_E10value_typeET2_T3_PNSL_ISQ_E10value_typeET4_jRbjT5_SW_jjP12ihipStream_tbEUlT_E_NS1_11comp_targetILNS1_3genE8ELNS1_11target_archE1030ELNS1_3gpuE2ELNS1_3repE0EEENS1_30default_config_static_selectorELNS0_4arch9wavefront6targetE1EEEvSK_
	.p2align	8
	.type	_ZN7rocprim17ROCPRIM_400000_NS6detail17trampoline_kernelINS0_14default_configENS1_36segmented_radix_sort_config_selectorIilEEZNS1_25segmented_radix_sort_implIS3_Lb0EPKiPiPKlPlN2at6native12_GLOBAL__N_18offset_tEEE10hipError_tPvRmT1_PNSt15iterator_traitsISK_E10value_typeET2_T3_PNSL_ISQ_E10value_typeET4_jRbjT5_SW_jjP12ihipStream_tbEUlT_E_NS1_11comp_targetILNS1_3genE8ELNS1_11target_archE1030ELNS1_3gpuE2ELNS1_3repE0EEENS1_30default_config_static_selectorELNS0_4arch9wavefront6targetE1EEEvSK_,@function
_ZN7rocprim17ROCPRIM_400000_NS6detail17trampoline_kernelINS0_14default_configENS1_36segmented_radix_sort_config_selectorIilEEZNS1_25segmented_radix_sort_implIS3_Lb0EPKiPiPKlPlN2at6native12_GLOBAL__N_18offset_tEEE10hipError_tPvRmT1_PNSt15iterator_traitsISK_E10value_typeET2_T3_PNSL_ISQ_E10value_typeET4_jRbjT5_SW_jjP12ihipStream_tbEUlT_E_NS1_11comp_targetILNS1_3genE8ELNS1_11target_archE1030ELNS1_3gpuE2ELNS1_3repE0EEENS1_30default_config_static_selectorELNS0_4arch9wavefront6targetE1EEEvSK_: ; @_ZN7rocprim17ROCPRIM_400000_NS6detail17trampoline_kernelINS0_14default_configENS1_36segmented_radix_sort_config_selectorIilEEZNS1_25segmented_radix_sort_implIS3_Lb0EPKiPiPKlPlN2at6native12_GLOBAL__N_18offset_tEEE10hipError_tPvRmT1_PNSt15iterator_traitsISK_E10value_typeET2_T3_PNSL_ISQ_E10value_typeET4_jRbjT5_SW_jjP12ihipStream_tbEUlT_E_NS1_11comp_targetILNS1_3genE8ELNS1_11target_archE1030ELNS1_3gpuE2ELNS1_3repE0EEENS1_30default_config_static_selectorELNS0_4arch9wavefront6targetE1EEEvSK_
; %bb.0:
	.section	.rodata,"a",@progbits
	.p2align	6, 0x0
	.amdhsa_kernel _ZN7rocprim17ROCPRIM_400000_NS6detail17trampoline_kernelINS0_14default_configENS1_36segmented_radix_sort_config_selectorIilEEZNS1_25segmented_radix_sort_implIS3_Lb0EPKiPiPKlPlN2at6native12_GLOBAL__N_18offset_tEEE10hipError_tPvRmT1_PNSt15iterator_traitsISK_E10value_typeET2_T3_PNSL_ISQ_E10value_typeET4_jRbjT5_SW_jjP12ihipStream_tbEUlT_E_NS1_11comp_targetILNS1_3genE8ELNS1_11target_archE1030ELNS1_3gpuE2ELNS1_3repE0EEENS1_30default_config_static_selectorELNS0_4arch9wavefront6targetE1EEEvSK_
		.amdhsa_group_segment_fixed_size 0
		.amdhsa_private_segment_fixed_size 0
		.amdhsa_kernarg_size 96
		.amdhsa_user_sgpr_count 6
		.amdhsa_user_sgpr_private_segment_buffer 1
		.amdhsa_user_sgpr_dispatch_ptr 0
		.amdhsa_user_sgpr_queue_ptr 0
		.amdhsa_user_sgpr_kernarg_segment_ptr 1
		.amdhsa_user_sgpr_dispatch_id 0
		.amdhsa_user_sgpr_flat_scratch_init 0
		.amdhsa_user_sgpr_private_segment_size 0
		.amdhsa_uses_dynamic_stack 0
		.amdhsa_system_sgpr_private_segment_wavefront_offset 0
		.amdhsa_system_sgpr_workgroup_id_x 1
		.amdhsa_system_sgpr_workgroup_id_y 0
		.amdhsa_system_sgpr_workgroup_id_z 0
		.amdhsa_system_sgpr_workgroup_info 0
		.amdhsa_system_vgpr_workitem_id 0
		.amdhsa_next_free_vgpr 1
		.amdhsa_next_free_sgpr 0
		.amdhsa_reserve_vcc 0
		.amdhsa_reserve_flat_scratch 0
		.amdhsa_float_round_mode_32 0
		.amdhsa_float_round_mode_16_64 0
		.amdhsa_float_denorm_mode_32 3
		.amdhsa_float_denorm_mode_16_64 3
		.amdhsa_dx10_clamp 1
		.amdhsa_ieee_mode 1
		.amdhsa_fp16_overflow 0
		.amdhsa_exception_fp_ieee_invalid_op 0
		.amdhsa_exception_fp_denorm_src 0
		.amdhsa_exception_fp_ieee_div_zero 0
		.amdhsa_exception_fp_ieee_overflow 0
		.amdhsa_exception_fp_ieee_underflow 0
		.amdhsa_exception_fp_ieee_inexact 0
		.amdhsa_exception_int_div_zero 0
	.end_amdhsa_kernel
	.section	.text._ZN7rocprim17ROCPRIM_400000_NS6detail17trampoline_kernelINS0_14default_configENS1_36segmented_radix_sort_config_selectorIilEEZNS1_25segmented_radix_sort_implIS3_Lb0EPKiPiPKlPlN2at6native12_GLOBAL__N_18offset_tEEE10hipError_tPvRmT1_PNSt15iterator_traitsISK_E10value_typeET2_T3_PNSL_ISQ_E10value_typeET4_jRbjT5_SW_jjP12ihipStream_tbEUlT_E_NS1_11comp_targetILNS1_3genE8ELNS1_11target_archE1030ELNS1_3gpuE2ELNS1_3repE0EEENS1_30default_config_static_selectorELNS0_4arch9wavefront6targetE1EEEvSK_,"axG",@progbits,_ZN7rocprim17ROCPRIM_400000_NS6detail17trampoline_kernelINS0_14default_configENS1_36segmented_radix_sort_config_selectorIilEEZNS1_25segmented_radix_sort_implIS3_Lb0EPKiPiPKlPlN2at6native12_GLOBAL__N_18offset_tEEE10hipError_tPvRmT1_PNSt15iterator_traitsISK_E10value_typeET2_T3_PNSL_ISQ_E10value_typeET4_jRbjT5_SW_jjP12ihipStream_tbEUlT_E_NS1_11comp_targetILNS1_3genE8ELNS1_11target_archE1030ELNS1_3gpuE2ELNS1_3repE0EEENS1_30default_config_static_selectorELNS0_4arch9wavefront6targetE1EEEvSK_,comdat
.Lfunc_end609:
	.size	_ZN7rocprim17ROCPRIM_400000_NS6detail17trampoline_kernelINS0_14default_configENS1_36segmented_radix_sort_config_selectorIilEEZNS1_25segmented_radix_sort_implIS3_Lb0EPKiPiPKlPlN2at6native12_GLOBAL__N_18offset_tEEE10hipError_tPvRmT1_PNSt15iterator_traitsISK_E10value_typeET2_T3_PNSL_ISQ_E10value_typeET4_jRbjT5_SW_jjP12ihipStream_tbEUlT_E_NS1_11comp_targetILNS1_3genE8ELNS1_11target_archE1030ELNS1_3gpuE2ELNS1_3repE0EEENS1_30default_config_static_selectorELNS0_4arch9wavefront6targetE1EEEvSK_, .Lfunc_end609-_ZN7rocprim17ROCPRIM_400000_NS6detail17trampoline_kernelINS0_14default_configENS1_36segmented_radix_sort_config_selectorIilEEZNS1_25segmented_radix_sort_implIS3_Lb0EPKiPiPKlPlN2at6native12_GLOBAL__N_18offset_tEEE10hipError_tPvRmT1_PNSt15iterator_traitsISK_E10value_typeET2_T3_PNSL_ISQ_E10value_typeET4_jRbjT5_SW_jjP12ihipStream_tbEUlT_E_NS1_11comp_targetILNS1_3genE8ELNS1_11target_archE1030ELNS1_3gpuE2ELNS1_3repE0EEENS1_30default_config_static_selectorELNS0_4arch9wavefront6targetE1EEEvSK_
                                        ; -- End function
	.set _ZN7rocprim17ROCPRIM_400000_NS6detail17trampoline_kernelINS0_14default_configENS1_36segmented_radix_sort_config_selectorIilEEZNS1_25segmented_radix_sort_implIS3_Lb0EPKiPiPKlPlN2at6native12_GLOBAL__N_18offset_tEEE10hipError_tPvRmT1_PNSt15iterator_traitsISK_E10value_typeET2_T3_PNSL_ISQ_E10value_typeET4_jRbjT5_SW_jjP12ihipStream_tbEUlT_E_NS1_11comp_targetILNS1_3genE8ELNS1_11target_archE1030ELNS1_3gpuE2ELNS1_3repE0EEENS1_30default_config_static_selectorELNS0_4arch9wavefront6targetE1EEEvSK_.num_vgpr, 0
	.set _ZN7rocprim17ROCPRIM_400000_NS6detail17trampoline_kernelINS0_14default_configENS1_36segmented_radix_sort_config_selectorIilEEZNS1_25segmented_radix_sort_implIS3_Lb0EPKiPiPKlPlN2at6native12_GLOBAL__N_18offset_tEEE10hipError_tPvRmT1_PNSt15iterator_traitsISK_E10value_typeET2_T3_PNSL_ISQ_E10value_typeET4_jRbjT5_SW_jjP12ihipStream_tbEUlT_E_NS1_11comp_targetILNS1_3genE8ELNS1_11target_archE1030ELNS1_3gpuE2ELNS1_3repE0EEENS1_30default_config_static_selectorELNS0_4arch9wavefront6targetE1EEEvSK_.num_agpr, 0
	.set _ZN7rocprim17ROCPRIM_400000_NS6detail17trampoline_kernelINS0_14default_configENS1_36segmented_radix_sort_config_selectorIilEEZNS1_25segmented_radix_sort_implIS3_Lb0EPKiPiPKlPlN2at6native12_GLOBAL__N_18offset_tEEE10hipError_tPvRmT1_PNSt15iterator_traitsISK_E10value_typeET2_T3_PNSL_ISQ_E10value_typeET4_jRbjT5_SW_jjP12ihipStream_tbEUlT_E_NS1_11comp_targetILNS1_3genE8ELNS1_11target_archE1030ELNS1_3gpuE2ELNS1_3repE0EEENS1_30default_config_static_selectorELNS0_4arch9wavefront6targetE1EEEvSK_.numbered_sgpr, 0
	.set _ZN7rocprim17ROCPRIM_400000_NS6detail17trampoline_kernelINS0_14default_configENS1_36segmented_radix_sort_config_selectorIilEEZNS1_25segmented_radix_sort_implIS3_Lb0EPKiPiPKlPlN2at6native12_GLOBAL__N_18offset_tEEE10hipError_tPvRmT1_PNSt15iterator_traitsISK_E10value_typeET2_T3_PNSL_ISQ_E10value_typeET4_jRbjT5_SW_jjP12ihipStream_tbEUlT_E_NS1_11comp_targetILNS1_3genE8ELNS1_11target_archE1030ELNS1_3gpuE2ELNS1_3repE0EEENS1_30default_config_static_selectorELNS0_4arch9wavefront6targetE1EEEvSK_.num_named_barrier, 0
	.set _ZN7rocprim17ROCPRIM_400000_NS6detail17trampoline_kernelINS0_14default_configENS1_36segmented_radix_sort_config_selectorIilEEZNS1_25segmented_radix_sort_implIS3_Lb0EPKiPiPKlPlN2at6native12_GLOBAL__N_18offset_tEEE10hipError_tPvRmT1_PNSt15iterator_traitsISK_E10value_typeET2_T3_PNSL_ISQ_E10value_typeET4_jRbjT5_SW_jjP12ihipStream_tbEUlT_E_NS1_11comp_targetILNS1_3genE8ELNS1_11target_archE1030ELNS1_3gpuE2ELNS1_3repE0EEENS1_30default_config_static_selectorELNS0_4arch9wavefront6targetE1EEEvSK_.private_seg_size, 0
	.set _ZN7rocprim17ROCPRIM_400000_NS6detail17trampoline_kernelINS0_14default_configENS1_36segmented_radix_sort_config_selectorIilEEZNS1_25segmented_radix_sort_implIS3_Lb0EPKiPiPKlPlN2at6native12_GLOBAL__N_18offset_tEEE10hipError_tPvRmT1_PNSt15iterator_traitsISK_E10value_typeET2_T3_PNSL_ISQ_E10value_typeET4_jRbjT5_SW_jjP12ihipStream_tbEUlT_E_NS1_11comp_targetILNS1_3genE8ELNS1_11target_archE1030ELNS1_3gpuE2ELNS1_3repE0EEENS1_30default_config_static_selectorELNS0_4arch9wavefront6targetE1EEEvSK_.uses_vcc, 0
	.set _ZN7rocprim17ROCPRIM_400000_NS6detail17trampoline_kernelINS0_14default_configENS1_36segmented_radix_sort_config_selectorIilEEZNS1_25segmented_radix_sort_implIS3_Lb0EPKiPiPKlPlN2at6native12_GLOBAL__N_18offset_tEEE10hipError_tPvRmT1_PNSt15iterator_traitsISK_E10value_typeET2_T3_PNSL_ISQ_E10value_typeET4_jRbjT5_SW_jjP12ihipStream_tbEUlT_E_NS1_11comp_targetILNS1_3genE8ELNS1_11target_archE1030ELNS1_3gpuE2ELNS1_3repE0EEENS1_30default_config_static_selectorELNS0_4arch9wavefront6targetE1EEEvSK_.uses_flat_scratch, 0
	.set _ZN7rocprim17ROCPRIM_400000_NS6detail17trampoline_kernelINS0_14default_configENS1_36segmented_radix_sort_config_selectorIilEEZNS1_25segmented_radix_sort_implIS3_Lb0EPKiPiPKlPlN2at6native12_GLOBAL__N_18offset_tEEE10hipError_tPvRmT1_PNSt15iterator_traitsISK_E10value_typeET2_T3_PNSL_ISQ_E10value_typeET4_jRbjT5_SW_jjP12ihipStream_tbEUlT_E_NS1_11comp_targetILNS1_3genE8ELNS1_11target_archE1030ELNS1_3gpuE2ELNS1_3repE0EEENS1_30default_config_static_selectorELNS0_4arch9wavefront6targetE1EEEvSK_.has_dyn_sized_stack, 0
	.set _ZN7rocprim17ROCPRIM_400000_NS6detail17trampoline_kernelINS0_14default_configENS1_36segmented_radix_sort_config_selectorIilEEZNS1_25segmented_radix_sort_implIS3_Lb0EPKiPiPKlPlN2at6native12_GLOBAL__N_18offset_tEEE10hipError_tPvRmT1_PNSt15iterator_traitsISK_E10value_typeET2_T3_PNSL_ISQ_E10value_typeET4_jRbjT5_SW_jjP12ihipStream_tbEUlT_E_NS1_11comp_targetILNS1_3genE8ELNS1_11target_archE1030ELNS1_3gpuE2ELNS1_3repE0EEENS1_30default_config_static_selectorELNS0_4arch9wavefront6targetE1EEEvSK_.has_recursion, 0
	.set _ZN7rocprim17ROCPRIM_400000_NS6detail17trampoline_kernelINS0_14default_configENS1_36segmented_radix_sort_config_selectorIilEEZNS1_25segmented_radix_sort_implIS3_Lb0EPKiPiPKlPlN2at6native12_GLOBAL__N_18offset_tEEE10hipError_tPvRmT1_PNSt15iterator_traitsISK_E10value_typeET2_T3_PNSL_ISQ_E10value_typeET4_jRbjT5_SW_jjP12ihipStream_tbEUlT_E_NS1_11comp_targetILNS1_3genE8ELNS1_11target_archE1030ELNS1_3gpuE2ELNS1_3repE0EEENS1_30default_config_static_selectorELNS0_4arch9wavefront6targetE1EEEvSK_.has_indirect_call, 0
	.section	.AMDGPU.csdata,"",@progbits
; Kernel info:
; codeLenInByte = 0
; TotalNumSgprs: 4
; NumVgprs: 0
; ScratchSize: 0
; MemoryBound: 0
; FloatMode: 240
; IeeeMode: 1
; LDSByteSize: 0 bytes/workgroup (compile time only)
; SGPRBlocks: 0
; VGPRBlocks: 0
; NumSGPRsForWavesPerEU: 4
; NumVGPRsForWavesPerEU: 1
; Occupancy: 10
; WaveLimiterHint : 0
; COMPUTE_PGM_RSRC2:SCRATCH_EN: 0
; COMPUTE_PGM_RSRC2:USER_SGPR: 6
; COMPUTE_PGM_RSRC2:TRAP_HANDLER: 0
; COMPUTE_PGM_RSRC2:TGID_X_EN: 1
; COMPUTE_PGM_RSRC2:TGID_Y_EN: 0
; COMPUTE_PGM_RSRC2:TGID_Z_EN: 0
; COMPUTE_PGM_RSRC2:TIDIG_COMP_CNT: 0
	.section	.text._ZN7rocprim17ROCPRIM_400000_NS6detail17trampoline_kernelINS0_14default_configENS1_36segmented_radix_sort_config_selectorIilEEZNS1_25segmented_radix_sort_implIS3_Lb0EPKiPiPKlPlN2at6native12_GLOBAL__N_18offset_tEEE10hipError_tPvRmT1_PNSt15iterator_traitsISK_E10value_typeET2_T3_PNSL_ISQ_E10value_typeET4_jRbjT5_SW_jjP12ihipStream_tbEUlT_E0_NS1_11comp_targetILNS1_3genE0ELNS1_11target_archE4294967295ELNS1_3gpuE0ELNS1_3repE0EEENS1_60segmented_radix_sort_warp_sort_medium_config_static_selectorELNS0_4arch9wavefront6targetE1EEEvSK_,"axG",@progbits,_ZN7rocprim17ROCPRIM_400000_NS6detail17trampoline_kernelINS0_14default_configENS1_36segmented_radix_sort_config_selectorIilEEZNS1_25segmented_radix_sort_implIS3_Lb0EPKiPiPKlPlN2at6native12_GLOBAL__N_18offset_tEEE10hipError_tPvRmT1_PNSt15iterator_traitsISK_E10value_typeET2_T3_PNSL_ISQ_E10value_typeET4_jRbjT5_SW_jjP12ihipStream_tbEUlT_E0_NS1_11comp_targetILNS1_3genE0ELNS1_11target_archE4294967295ELNS1_3gpuE0ELNS1_3repE0EEENS1_60segmented_radix_sort_warp_sort_medium_config_static_selectorELNS0_4arch9wavefront6targetE1EEEvSK_,comdat
	.globl	_ZN7rocprim17ROCPRIM_400000_NS6detail17trampoline_kernelINS0_14default_configENS1_36segmented_radix_sort_config_selectorIilEEZNS1_25segmented_radix_sort_implIS3_Lb0EPKiPiPKlPlN2at6native12_GLOBAL__N_18offset_tEEE10hipError_tPvRmT1_PNSt15iterator_traitsISK_E10value_typeET2_T3_PNSL_ISQ_E10value_typeET4_jRbjT5_SW_jjP12ihipStream_tbEUlT_E0_NS1_11comp_targetILNS1_3genE0ELNS1_11target_archE4294967295ELNS1_3gpuE0ELNS1_3repE0EEENS1_60segmented_radix_sort_warp_sort_medium_config_static_selectorELNS0_4arch9wavefront6targetE1EEEvSK_ ; -- Begin function _ZN7rocprim17ROCPRIM_400000_NS6detail17trampoline_kernelINS0_14default_configENS1_36segmented_radix_sort_config_selectorIilEEZNS1_25segmented_radix_sort_implIS3_Lb0EPKiPiPKlPlN2at6native12_GLOBAL__N_18offset_tEEE10hipError_tPvRmT1_PNSt15iterator_traitsISK_E10value_typeET2_T3_PNSL_ISQ_E10value_typeET4_jRbjT5_SW_jjP12ihipStream_tbEUlT_E0_NS1_11comp_targetILNS1_3genE0ELNS1_11target_archE4294967295ELNS1_3gpuE0ELNS1_3repE0EEENS1_60segmented_radix_sort_warp_sort_medium_config_static_selectorELNS0_4arch9wavefront6targetE1EEEvSK_
	.p2align	8
	.type	_ZN7rocprim17ROCPRIM_400000_NS6detail17trampoline_kernelINS0_14default_configENS1_36segmented_radix_sort_config_selectorIilEEZNS1_25segmented_radix_sort_implIS3_Lb0EPKiPiPKlPlN2at6native12_GLOBAL__N_18offset_tEEE10hipError_tPvRmT1_PNSt15iterator_traitsISK_E10value_typeET2_T3_PNSL_ISQ_E10value_typeET4_jRbjT5_SW_jjP12ihipStream_tbEUlT_E0_NS1_11comp_targetILNS1_3genE0ELNS1_11target_archE4294967295ELNS1_3gpuE0ELNS1_3repE0EEENS1_60segmented_radix_sort_warp_sort_medium_config_static_selectorELNS0_4arch9wavefront6targetE1EEEvSK_,@function
_ZN7rocprim17ROCPRIM_400000_NS6detail17trampoline_kernelINS0_14default_configENS1_36segmented_radix_sort_config_selectorIilEEZNS1_25segmented_radix_sort_implIS3_Lb0EPKiPiPKlPlN2at6native12_GLOBAL__N_18offset_tEEE10hipError_tPvRmT1_PNSt15iterator_traitsISK_E10value_typeET2_T3_PNSL_ISQ_E10value_typeET4_jRbjT5_SW_jjP12ihipStream_tbEUlT_E0_NS1_11comp_targetILNS1_3genE0ELNS1_11target_archE4294967295ELNS1_3gpuE0ELNS1_3repE0EEENS1_60segmented_radix_sort_warp_sort_medium_config_static_selectorELNS0_4arch9wavefront6targetE1EEEvSK_: ; @_ZN7rocprim17ROCPRIM_400000_NS6detail17trampoline_kernelINS0_14default_configENS1_36segmented_radix_sort_config_selectorIilEEZNS1_25segmented_radix_sort_implIS3_Lb0EPKiPiPKlPlN2at6native12_GLOBAL__N_18offset_tEEE10hipError_tPvRmT1_PNSt15iterator_traitsISK_E10value_typeET2_T3_PNSL_ISQ_E10value_typeET4_jRbjT5_SW_jjP12ihipStream_tbEUlT_E0_NS1_11comp_targetILNS1_3genE0ELNS1_11target_archE4294967295ELNS1_3gpuE0ELNS1_3repE0EEENS1_60segmented_radix_sort_warp_sort_medium_config_static_selectorELNS0_4arch9wavefront6targetE1EEEvSK_
; %bb.0:
	.section	.rodata,"a",@progbits
	.p2align	6, 0x0
	.amdhsa_kernel _ZN7rocprim17ROCPRIM_400000_NS6detail17trampoline_kernelINS0_14default_configENS1_36segmented_radix_sort_config_selectorIilEEZNS1_25segmented_radix_sort_implIS3_Lb0EPKiPiPKlPlN2at6native12_GLOBAL__N_18offset_tEEE10hipError_tPvRmT1_PNSt15iterator_traitsISK_E10value_typeET2_T3_PNSL_ISQ_E10value_typeET4_jRbjT5_SW_jjP12ihipStream_tbEUlT_E0_NS1_11comp_targetILNS1_3genE0ELNS1_11target_archE4294967295ELNS1_3gpuE0ELNS1_3repE0EEENS1_60segmented_radix_sort_warp_sort_medium_config_static_selectorELNS0_4arch9wavefront6targetE1EEEvSK_
		.amdhsa_group_segment_fixed_size 0
		.amdhsa_private_segment_fixed_size 0
		.amdhsa_kernarg_size 88
		.amdhsa_user_sgpr_count 6
		.amdhsa_user_sgpr_private_segment_buffer 1
		.amdhsa_user_sgpr_dispatch_ptr 0
		.amdhsa_user_sgpr_queue_ptr 0
		.amdhsa_user_sgpr_kernarg_segment_ptr 1
		.amdhsa_user_sgpr_dispatch_id 0
		.amdhsa_user_sgpr_flat_scratch_init 0
		.amdhsa_user_sgpr_private_segment_size 0
		.amdhsa_uses_dynamic_stack 0
		.amdhsa_system_sgpr_private_segment_wavefront_offset 0
		.amdhsa_system_sgpr_workgroup_id_x 1
		.amdhsa_system_sgpr_workgroup_id_y 0
		.amdhsa_system_sgpr_workgroup_id_z 0
		.amdhsa_system_sgpr_workgroup_info 0
		.amdhsa_system_vgpr_workitem_id 0
		.amdhsa_next_free_vgpr 1
		.amdhsa_next_free_sgpr 0
		.amdhsa_reserve_vcc 0
		.amdhsa_reserve_flat_scratch 0
		.amdhsa_float_round_mode_32 0
		.amdhsa_float_round_mode_16_64 0
		.amdhsa_float_denorm_mode_32 3
		.amdhsa_float_denorm_mode_16_64 3
		.amdhsa_dx10_clamp 1
		.amdhsa_ieee_mode 1
		.amdhsa_fp16_overflow 0
		.amdhsa_exception_fp_ieee_invalid_op 0
		.amdhsa_exception_fp_denorm_src 0
		.amdhsa_exception_fp_ieee_div_zero 0
		.amdhsa_exception_fp_ieee_overflow 0
		.amdhsa_exception_fp_ieee_underflow 0
		.amdhsa_exception_fp_ieee_inexact 0
		.amdhsa_exception_int_div_zero 0
	.end_amdhsa_kernel
	.section	.text._ZN7rocprim17ROCPRIM_400000_NS6detail17trampoline_kernelINS0_14default_configENS1_36segmented_radix_sort_config_selectorIilEEZNS1_25segmented_radix_sort_implIS3_Lb0EPKiPiPKlPlN2at6native12_GLOBAL__N_18offset_tEEE10hipError_tPvRmT1_PNSt15iterator_traitsISK_E10value_typeET2_T3_PNSL_ISQ_E10value_typeET4_jRbjT5_SW_jjP12ihipStream_tbEUlT_E0_NS1_11comp_targetILNS1_3genE0ELNS1_11target_archE4294967295ELNS1_3gpuE0ELNS1_3repE0EEENS1_60segmented_radix_sort_warp_sort_medium_config_static_selectorELNS0_4arch9wavefront6targetE1EEEvSK_,"axG",@progbits,_ZN7rocprim17ROCPRIM_400000_NS6detail17trampoline_kernelINS0_14default_configENS1_36segmented_radix_sort_config_selectorIilEEZNS1_25segmented_radix_sort_implIS3_Lb0EPKiPiPKlPlN2at6native12_GLOBAL__N_18offset_tEEE10hipError_tPvRmT1_PNSt15iterator_traitsISK_E10value_typeET2_T3_PNSL_ISQ_E10value_typeET4_jRbjT5_SW_jjP12ihipStream_tbEUlT_E0_NS1_11comp_targetILNS1_3genE0ELNS1_11target_archE4294967295ELNS1_3gpuE0ELNS1_3repE0EEENS1_60segmented_radix_sort_warp_sort_medium_config_static_selectorELNS0_4arch9wavefront6targetE1EEEvSK_,comdat
.Lfunc_end610:
	.size	_ZN7rocprim17ROCPRIM_400000_NS6detail17trampoline_kernelINS0_14default_configENS1_36segmented_radix_sort_config_selectorIilEEZNS1_25segmented_radix_sort_implIS3_Lb0EPKiPiPKlPlN2at6native12_GLOBAL__N_18offset_tEEE10hipError_tPvRmT1_PNSt15iterator_traitsISK_E10value_typeET2_T3_PNSL_ISQ_E10value_typeET4_jRbjT5_SW_jjP12ihipStream_tbEUlT_E0_NS1_11comp_targetILNS1_3genE0ELNS1_11target_archE4294967295ELNS1_3gpuE0ELNS1_3repE0EEENS1_60segmented_radix_sort_warp_sort_medium_config_static_selectorELNS0_4arch9wavefront6targetE1EEEvSK_, .Lfunc_end610-_ZN7rocprim17ROCPRIM_400000_NS6detail17trampoline_kernelINS0_14default_configENS1_36segmented_radix_sort_config_selectorIilEEZNS1_25segmented_radix_sort_implIS3_Lb0EPKiPiPKlPlN2at6native12_GLOBAL__N_18offset_tEEE10hipError_tPvRmT1_PNSt15iterator_traitsISK_E10value_typeET2_T3_PNSL_ISQ_E10value_typeET4_jRbjT5_SW_jjP12ihipStream_tbEUlT_E0_NS1_11comp_targetILNS1_3genE0ELNS1_11target_archE4294967295ELNS1_3gpuE0ELNS1_3repE0EEENS1_60segmented_radix_sort_warp_sort_medium_config_static_selectorELNS0_4arch9wavefront6targetE1EEEvSK_
                                        ; -- End function
	.set _ZN7rocprim17ROCPRIM_400000_NS6detail17trampoline_kernelINS0_14default_configENS1_36segmented_radix_sort_config_selectorIilEEZNS1_25segmented_radix_sort_implIS3_Lb0EPKiPiPKlPlN2at6native12_GLOBAL__N_18offset_tEEE10hipError_tPvRmT1_PNSt15iterator_traitsISK_E10value_typeET2_T3_PNSL_ISQ_E10value_typeET4_jRbjT5_SW_jjP12ihipStream_tbEUlT_E0_NS1_11comp_targetILNS1_3genE0ELNS1_11target_archE4294967295ELNS1_3gpuE0ELNS1_3repE0EEENS1_60segmented_radix_sort_warp_sort_medium_config_static_selectorELNS0_4arch9wavefront6targetE1EEEvSK_.num_vgpr, 0
	.set _ZN7rocprim17ROCPRIM_400000_NS6detail17trampoline_kernelINS0_14default_configENS1_36segmented_radix_sort_config_selectorIilEEZNS1_25segmented_radix_sort_implIS3_Lb0EPKiPiPKlPlN2at6native12_GLOBAL__N_18offset_tEEE10hipError_tPvRmT1_PNSt15iterator_traitsISK_E10value_typeET2_T3_PNSL_ISQ_E10value_typeET4_jRbjT5_SW_jjP12ihipStream_tbEUlT_E0_NS1_11comp_targetILNS1_3genE0ELNS1_11target_archE4294967295ELNS1_3gpuE0ELNS1_3repE0EEENS1_60segmented_radix_sort_warp_sort_medium_config_static_selectorELNS0_4arch9wavefront6targetE1EEEvSK_.num_agpr, 0
	.set _ZN7rocprim17ROCPRIM_400000_NS6detail17trampoline_kernelINS0_14default_configENS1_36segmented_radix_sort_config_selectorIilEEZNS1_25segmented_radix_sort_implIS3_Lb0EPKiPiPKlPlN2at6native12_GLOBAL__N_18offset_tEEE10hipError_tPvRmT1_PNSt15iterator_traitsISK_E10value_typeET2_T3_PNSL_ISQ_E10value_typeET4_jRbjT5_SW_jjP12ihipStream_tbEUlT_E0_NS1_11comp_targetILNS1_3genE0ELNS1_11target_archE4294967295ELNS1_3gpuE0ELNS1_3repE0EEENS1_60segmented_radix_sort_warp_sort_medium_config_static_selectorELNS0_4arch9wavefront6targetE1EEEvSK_.numbered_sgpr, 0
	.set _ZN7rocprim17ROCPRIM_400000_NS6detail17trampoline_kernelINS0_14default_configENS1_36segmented_radix_sort_config_selectorIilEEZNS1_25segmented_radix_sort_implIS3_Lb0EPKiPiPKlPlN2at6native12_GLOBAL__N_18offset_tEEE10hipError_tPvRmT1_PNSt15iterator_traitsISK_E10value_typeET2_T3_PNSL_ISQ_E10value_typeET4_jRbjT5_SW_jjP12ihipStream_tbEUlT_E0_NS1_11comp_targetILNS1_3genE0ELNS1_11target_archE4294967295ELNS1_3gpuE0ELNS1_3repE0EEENS1_60segmented_radix_sort_warp_sort_medium_config_static_selectorELNS0_4arch9wavefront6targetE1EEEvSK_.num_named_barrier, 0
	.set _ZN7rocprim17ROCPRIM_400000_NS6detail17trampoline_kernelINS0_14default_configENS1_36segmented_radix_sort_config_selectorIilEEZNS1_25segmented_radix_sort_implIS3_Lb0EPKiPiPKlPlN2at6native12_GLOBAL__N_18offset_tEEE10hipError_tPvRmT1_PNSt15iterator_traitsISK_E10value_typeET2_T3_PNSL_ISQ_E10value_typeET4_jRbjT5_SW_jjP12ihipStream_tbEUlT_E0_NS1_11comp_targetILNS1_3genE0ELNS1_11target_archE4294967295ELNS1_3gpuE0ELNS1_3repE0EEENS1_60segmented_radix_sort_warp_sort_medium_config_static_selectorELNS0_4arch9wavefront6targetE1EEEvSK_.private_seg_size, 0
	.set _ZN7rocprim17ROCPRIM_400000_NS6detail17trampoline_kernelINS0_14default_configENS1_36segmented_radix_sort_config_selectorIilEEZNS1_25segmented_radix_sort_implIS3_Lb0EPKiPiPKlPlN2at6native12_GLOBAL__N_18offset_tEEE10hipError_tPvRmT1_PNSt15iterator_traitsISK_E10value_typeET2_T3_PNSL_ISQ_E10value_typeET4_jRbjT5_SW_jjP12ihipStream_tbEUlT_E0_NS1_11comp_targetILNS1_3genE0ELNS1_11target_archE4294967295ELNS1_3gpuE0ELNS1_3repE0EEENS1_60segmented_radix_sort_warp_sort_medium_config_static_selectorELNS0_4arch9wavefront6targetE1EEEvSK_.uses_vcc, 0
	.set _ZN7rocprim17ROCPRIM_400000_NS6detail17trampoline_kernelINS0_14default_configENS1_36segmented_radix_sort_config_selectorIilEEZNS1_25segmented_radix_sort_implIS3_Lb0EPKiPiPKlPlN2at6native12_GLOBAL__N_18offset_tEEE10hipError_tPvRmT1_PNSt15iterator_traitsISK_E10value_typeET2_T3_PNSL_ISQ_E10value_typeET4_jRbjT5_SW_jjP12ihipStream_tbEUlT_E0_NS1_11comp_targetILNS1_3genE0ELNS1_11target_archE4294967295ELNS1_3gpuE0ELNS1_3repE0EEENS1_60segmented_radix_sort_warp_sort_medium_config_static_selectorELNS0_4arch9wavefront6targetE1EEEvSK_.uses_flat_scratch, 0
	.set _ZN7rocprim17ROCPRIM_400000_NS6detail17trampoline_kernelINS0_14default_configENS1_36segmented_radix_sort_config_selectorIilEEZNS1_25segmented_radix_sort_implIS3_Lb0EPKiPiPKlPlN2at6native12_GLOBAL__N_18offset_tEEE10hipError_tPvRmT1_PNSt15iterator_traitsISK_E10value_typeET2_T3_PNSL_ISQ_E10value_typeET4_jRbjT5_SW_jjP12ihipStream_tbEUlT_E0_NS1_11comp_targetILNS1_3genE0ELNS1_11target_archE4294967295ELNS1_3gpuE0ELNS1_3repE0EEENS1_60segmented_radix_sort_warp_sort_medium_config_static_selectorELNS0_4arch9wavefront6targetE1EEEvSK_.has_dyn_sized_stack, 0
	.set _ZN7rocprim17ROCPRIM_400000_NS6detail17trampoline_kernelINS0_14default_configENS1_36segmented_radix_sort_config_selectorIilEEZNS1_25segmented_radix_sort_implIS3_Lb0EPKiPiPKlPlN2at6native12_GLOBAL__N_18offset_tEEE10hipError_tPvRmT1_PNSt15iterator_traitsISK_E10value_typeET2_T3_PNSL_ISQ_E10value_typeET4_jRbjT5_SW_jjP12ihipStream_tbEUlT_E0_NS1_11comp_targetILNS1_3genE0ELNS1_11target_archE4294967295ELNS1_3gpuE0ELNS1_3repE0EEENS1_60segmented_radix_sort_warp_sort_medium_config_static_selectorELNS0_4arch9wavefront6targetE1EEEvSK_.has_recursion, 0
	.set _ZN7rocprim17ROCPRIM_400000_NS6detail17trampoline_kernelINS0_14default_configENS1_36segmented_radix_sort_config_selectorIilEEZNS1_25segmented_radix_sort_implIS3_Lb0EPKiPiPKlPlN2at6native12_GLOBAL__N_18offset_tEEE10hipError_tPvRmT1_PNSt15iterator_traitsISK_E10value_typeET2_T3_PNSL_ISQ_E10value_typeET4_jRbjT5_SW_jjP12ihipStream_tbEUlT_E0_NS1_11comp_targetILNS1_3genE0ELNS1_11target_archE4294967295ELNS1_3gpuE0ELNS1_3repE0EEENS1_60segmented_radix_sort_warp_sort_medium_config_static_selectorELNS0_4arch9wavefront6targetE1EEEvSK_.has_indirect_call, 0
	.section	.AMDGPU.csdata,"",@progbits
; Kernel info:
; codeLenInByte = 0
; TotalNumSgprs: 4
; NumVgprs: 0
; ScratchSize: 0
; MemoryBound: 0
; FloatMode: 240
; IeeeMode: 1
; LDSByteSize: 0 bytes/workgroup (compile time only)
; SGPRBlocks: 0
; VGPRBlocks: 0
; NumSGPRsForWavesPerEU: 4
; NumVGPRsForWavesPerEU: 1
; Occupancy: 10
; WaveLimiterHint : 0
; COMPUTE_PGM_RSRC2:SCRATCH_EN: 0
; COMPUTE_PGM_RSRC2:USER_SGPR: 6
; COMPUTE_PGM_RSRC2:TRAP_HANDLER: 0
; COMPUTE_PGM_RSRC2:TGID_X_EN: 1
; COMPUTE_PGM_RSRC2:TGID_Y_EN: 0
; COMPUTE_PGM_RSRC2:TGID_Z_EN: 0
; COMPUTE_PGM_RSRC2:TIDIG_COMP_CNT: 0
	.section	.text._ZN7rocprim17ROCPRIM_400000_NS6detail17trampoline_kernelINS0_14default_configENS1_36segmented_radix_sort_config_selectorIilEEZNS1_25segmented_radix_sort_implIS3_Lb0EPKiPiPKlPlN2at6native12_GLOBAL__N_18offset_tEEE10hipError_tPvRmT1_PNSt15iterator_traitsISK_E10value_typeET2_T3_PNSL_ISQ_E10value_typeET4_jRbjT5_SW_jjP12ihipStream_tbEUlT_E0_NS1_11comp_targetILNS1_3genE5ELNS1_11target_archE942ELNS1_3gpuE9ELNS1_3repE0EEENS1_60segmented_radix_sort_warp_sort_medium_config_static_selectorELNS0_4arch9wavefront6targetE1EEEvSK_,"axG",@progbits,_ZN7rocprim17ROCPRIM_400000_NS6detail17trampoline_kernelINS0_14default_configENS1_36segmented_radix_sort_config_selectorIilEEZNS1_25segmented_radix_sort_implIS3_Lb0EPKiPiPKlPlN2at6native12_GLOBAL__N_18offset_tEEE10hipError_tPvRmT1_PNSt15iterator_traitsISK_E10value_typeET2_T3_PNSL_ISQ_E10value_typeET4_jRbjT5_SW_jjP12ihipStream_tbEUlT_E0_NS1_11comp_targetILNS1_3genE5ELNS1_11target_archE942ELNS1_3gpuE9ELNS1_3repE0EEENS1_60segmented_radix_sort_warp_sort_medium_config_static_selectorELNS0_4arch9wavefront6targetE1EEEvSK_,comdat
	.globl	_ZN7rocprim17ROCPRIM_400000_NS6detail17trampoline_kernelINS0_14default_configENS1_36segmented_radix_sort_config_selectorIilEEZNS1_25segmented_radix_sort_implIS3_Lb0EPKiPiPKlPlN2at6native12_GLOBAL__N_18offset_tEEE10hipError_tPvRmT1_PNSt15iterator_traitsISK_E10value_typeET2_T3_PNSL_ISQ_E10value_typeET4_jRbjT5_SW_jjP12ihipStream_tbEUlT_E0_NS1_11comp_targetILNS1_3genE5ELNS1_11target_archE942ELNS1_3gpuE9ELNS1_3repE0EEENS1_60segmented_radix_sort_warp_sort_medium_config_static_selectorELNS0_4arch9wavefront6targetE1EEEvSK_ ; -- Begin function _ZN7rocprim17ROCPRIM_400000_NS6detail17trampoline_kernelINS0_14default_configENS1_36segmented_radix_sort_config_selectorIilEEZNS1_25segmented_radix_sort_implIS3_Lb0EPKiPiPKlPlN2at6native12_GLOBAL__N_18offset_tEEE10hipError_tPvRmT1_PNSt15iterator_traitsISK_E10value_typeET2_T3_PNSL_ISQ_E10value_typeET4_jRbjT5_SW_jjP12ihipStream_tbEUlT_E0_NS1_11comp_targetILNS1_3genE5ELNS1_11target_archE942ELNS1_3gpuE9ELNS1_3repE0EEENS1_60segmented_radix_sort_warp_sort_medium_config_static_selectorELNS0_4arch9wavefront6targetE1EEEvSK_
	.p2align	8
	.type	_ZN7rocprim17ROCPRIM_400000_NS6detail17trampoline_kernelINS0_14default_configENS1_36segmented_radix_sort_config_selectorIilEEZNS1_25segmented_radix_sort_implIS3_Lb0EPKiPiPKlPlN2at6native12_GLOBAL__N_18offset_tEEE10hipError_tPvRmT1_PNSt15iterator_traitsISK_E10value_typeET2_T3_PNSL_ISQ_E10value_typeET4_jRbjT5_SW_jjP12ihipStream_tbEUlT_E0_NS1_11comp_targetILNS1_3genE5ELNS1_11target_archE942ELNS1_3gpuE9ELNS1_3repE0EEENS1_60segmented_radix_sort_warp_sort_medium_config_static_selectorELNS0_4arch9wavefront6targetE1EEEvSK_,@function
_ZN7rocprim17ROCPRIM_400000_NS6detail17trampoline_kernelINS0_14default_configENS1_36segmented_radix_sort_config_selectorIilEEZNS1_25segmented_radix_sort_implIS3_Lb0EPKiPiPKlPlN2at6native12_GLOBAL__N_18offset_tEEE10hipError_tPvRmT1_PNSt15iterator_traitsISK_E10value_typeET2_T3_PNSL_ISQ_E10value_typeET4_jRbjT5_SW_jjP12ihipStream_tbEUlT_E0_NS1_11comp_targetILNS1_3genE5ELNS1_11target_archE942ELNS1_3gpuE9ELNS1_3repE0EEENS1_60segmented_radix_sort_warp_sort_medium_config_static_selectorELNS0_4arch9wavefront6targetE1EEEvSK_: ; @_ZN7rocprim17ROCPRIM_400000_NS6detail17trampoline_kernelINS0_14default_configENS1_36segmented_radix_sort_config_selectorIilEEZNS1_25segmented_radix_sort_implIS3_Lb0EPKiPiPKlPlN2at6native12_GLOBAL__N_18offset_tEEE10hipError_tPvRmT1_PNSt15iterator_traitsISK_E10value_typeET2_T3_PNSL_ISQ_E10value_typeET4_jRbjT5_SW_jjP12ihipStream_tbEUlT_E0_NS1_11comp_targetILNS1_3genE5ELNS1_11target_archE942ELNS1_3gpuE9ELNS1_3repE0EEENS1_60segmented_radix_sort_warp_sort_medium_config_static_selectorELNS0_4arch9wavefront6targetE1EEEvSK_
; %bb.0:
	.section	.rodata,"a",@progbits
	.p2align	6, 0x0
	.amdhsa_kernel _ZN7rocprim17ROCPRIM_400000_NS6detail17trampoline_kernelINS0_14default_configENS1_36segmented_radix_sort_config_selectorIilEEZNS1_25segmented_radix_sort_implIS3_Lb0EPKiPiPKlPlN2at6native12_GLOBAL__N_18offset_tEEE10hipError_tPvRmT1_PNSt15iterator_traitsISK_E10value_typeET2_T3_PNSL_ISQ_E10value_typeET4_jRbjT5_SW_jjP12ihipStream_tbEUlT_E0_NS1_11comp_targetILNS1_3genE5ELNS1_11target_archE942ELNS1_3gpuE9ELNS1_3repE0EEENS1_60segmented_radix_sort_warp_sort_medium_config_static_selectorELNS0_4arch9wavefront6targetE1EEEvSK_
		.amdhsa_group_segment_fixed_size 0
		.amdhsa_private_segment_fixed_size 0
		.amdhsa_kernarg_size 88
		.amdhsa_user_sgpr_count 6
		.amdhsa_user_sgpr_private_segment_buffer 1
		.amdhsa_user_sgpr_dispatch_ptr 0
		.amdhsa_user_sgpr_queue_ptr 0
		.amdhsa_user_sgpr_kernarg_segment_ptr 1
		.amdhsa_user_sgpr_dispatch_id 0
		.amdhsa_user_sgpr_flat_scratch_init 0
		.amdhsa_user_sgpr_private_segment_size 0
		.amdhsa_uses_dynamic_stack 0
		.amdhsa_system_sgpr_private_segment_wavefront_offset 0
		.amdhsa_system_sgpr_workgroup_id_x 1
		.amdhsa_system_sgpr_workgroup_id_y 0
		.amdhsa_system_sgpr_workgroup_id_z 0
		.amdhsa_system_sgpr_workgroup_info 0
		.amdhsa_system_vgpr_workitem_id 0
		.amdhsa_next_free_vgpr 1
		.amdhsa_next_free_sgpr 0
		.amdhsa_reserve_vcc 0
		.amdhsa_reserve_flat_scratch 0
		.amdhsa_float_round_mode_32 0
		.amdhsa_float_round_mode_16_64 0
		.amdhsa_float_denorm_mode_32 3
		.amdhsa_float_denorm_mode_16_64 3
		.amdhsa_dx10_clamp 1
		.amdhsa_ieee_mode 1
		.amdhsa_fp16_overflow 0
		.amdhsa_exception_fp_ieee_invalid_op 0
		.amdhsa_exception_fp_denorm_src 0
		.amdhsa_exception_fp_ieee_div_zero 0
		.amdhsa_exception_fp_ieee_overflow 0
		.amdhsa_exception_fp_ieee_underflow 0
		.amdhsa_exception_fp_ieee_inexact 0
		.amdhsa_exception_int_div_zero 0
	.end_amdhsa_kernel
	.section	.text._ZN7rocprim17ROCPRIM_400000_NS6detail17trampoline_kernelINS0_14default_configENS1_36segmented_radix_sort_config_selectorIilEEZNS1_25segmented_radix_sort_implIS3_Lb0EPKiPiPKlPlN2at6native12_GLOBAL__N_18offset_tEEE10hipError_tPvRmT1_PNSt15iterator_traitsISK_E10value_typeET2_T3_PNSL_ISQ_E10value_typeET4_jRbjT5_SW_jjP12ihipStream_tbEUlT_E0_NS1_11comp_targetILNS1_3genE5ELNS1_11target_archE942ELNS1_3gpuE9ELNS1_3repE0EEENS1_60segmented_radix_sort_warp_sort_medium_config_static_selectorELNS0_4arch9wavefront6targetE1EEEvSK_,"axG",@progbits,_ZN7rocprim17ROCPRIM_400000_NS6detail17trampoline_kernelINS0_14default_configENS1_36segmented_radix_sort_config_selectorIilEEZNS1_25segmented_radix_sort_implIS3_Lb0EPKiPiPKlPlN2at6native12_GLOBAL__N_18offset_tEEE10hipError_tPvRmT1_PNSt15iterator_traitsISK_E10value_typeET2_T3_PNSL_ISQ_E10value_typeET4_jRbjT5_SW_jjP12ihipStream_tbEUlT_E0_NS1_11comp_targetILNS1_3genE5ELNS1_11target_archE942ELNS1_3gpuE9ELNS1_3repE0EEENS1_60segmented_radix_sort_warp_sort_medium_config_static_selectorELNS0_4arch9wavefront6targetE1EEEvSK_,comdat
.Lfunc_end611:
	.size	_ZN7rocprim17ROCPRIM_400000_NS6detail17trampoline_kernelINS0_14default_configENS1_36segmented_radix_sort_config_selectorIilEEZNS1_25segmented_radix_sort_implIS3_Lb0EPKiPiPKlPlN2at6native12_GLOBAL__N_18offset_tEEE10hipError_tPvRmT1_PNSt15iterator_traitsISK_E10value_typeET2_T3_PNSL_ISQ_E10value_typeET4_jRbjT5_SW_jjP12ihipStream_tbEUlT_E0_NS1_11comp_targetILNS1_3genE5ELNS1_11target_archE942ELNS1_3gpuE9ELNS1_3repE0EEENS1_60segmented_radix_sort_warp_sort_medium_config_static_selectorELNS0_4arch9wavefront6targetE1EEEvSK_, .Lfunc_end611-_ZN7rocprim17ROCPRIM_400000_NS6detail17trampoline_kernelINS0_14default_configENS1_36segmented_radix_sort_config_selectorIilEEZNS1_25segmented_radix_sort_implIS3_Lb0EPKiPiPKlPlN2at6native12_GLOBAL__N_18offset_tEEE10hipError_tPvRmT1_PNSt15iterator_traitsISK_E10value_typeET2_T3_PNSL_ISQ_E10value_typeET4_jRbjT5_SW_jjP12ihipStream_tbEUlT_E0_NS1_11comp_targetILNS1_3genE5ELNS1_11target_archE942ELNS1_3gpuE9ELNS1_3repE0EEENS1_60segmented_radix_sort_warp_sort_medium_config_static_selectorELNS0_4arch9wavefront6targetE1EEEvSK_
                                        ; -- End function
	.set _ZN7rocprim17ROCPRIM_400000_NS6detail17trampoline_kernelINS0_14default_configENS1_36segmented_radix_sort_config_selectorIilEEZNS1_25segmented_radix_sort_implIS3_Lb0EPKiPiPKlPlN2at6native12_GLOBAL__N_18offset_tEEE10hipError_tPvRmT1_PNSt15iterator_traitsISK_E10value_typeET2_T3_PNSL_ISQ_E10value_typeET4_jRbjT5_SW_jjP12ihipStream_tbEUlT_E0_NS1_11comp_targetILNS1_3genE5ELNS1_11target_archE942ELNS1_3gpuE9ELNS1_3repE0EEENS1_60segmented_radix_sort_warp_sort_medium_config_static_selectorELNS0_4arch9wavefront6targetE1EEEvSK_.num_vgpr, 0
	.set _ZN7rocprim17ROCPRIM_400000_NS6detail17trampoline_kernelINS0_14default_configENS1_36segmented_radix_sort_config_selectorIilEEZNS1_25segmented_radix_sort_implIS3_Lb0EPKiPiPKlPlN2at6native12_GLOBAL__N_18offset_tEEE10hipError_tPvRmT1_PNSt15iterator_traitsISK_E10value_typeET2_T3_PNSL_ISQ_E10value_typeET4_jRbjT5_SW_jjP12ihipStream_tbEUlT_E0_NS1_11comp_targetILNS1_3genE5ELNS1_11target_archE942ELNS1_3gpuE9ELNS1_3repE0EEENS1_60segmented_radix_sort_warp_sort_medium_config_static_selectorELNS0_4arch9wavefront6targetE1EEEvSK_.num_agpr, 0
	.set _ZN7rocprim17ROCPRIM_400000_NS6detail17trampoline_kernelINS0_14default_configENS1_36segmented_radix_sort_config_selectorIilEEZNS1_25segmented_radix_sort_implIS3_Lb0EPKiPiPKlPlN2at6native12_GLOBAL__N_18offset_tEEE10hipError_tPvRmT1_PNSt15iterator_traitsISK_E10value_typeET2_T3_PNSL_ISQ_E10value_typeET4_jRbjT5_SW_jjP12ihipStream_tbEUlT_E0_NS1_11comp_targetILNS1_3genE5ELNS1_11target_archE942ELNS1_3gpuE9ELNS1_3repE0EEENS1_60segmented_radix_sort_warp_sort_medium_config_static_selectorELNS0_4arch9wavefront6targetE1EEEvSK_.numbered_sgpr, 0
	.set _ZN7rocprim17ROCPRIM_400000_NS6detail17trampoline_kernelINS0_14default_configENS1_36segmented_radix_sort_config_selectorIilEEZNS1_25segmented_radix_sort_implIS3_Lb0EPKiPiPKlPlN2at6native12_GLOBAL__N_18offset_tEEE10hipError_tPvRmT1_PNSt15iterator_traitsISK_E10value_typeET2_T3_PNSL_ISQ_E10value_typeET4_jRbjT5_SW_jjP12ihipStream_tbEUlT_E0_NS1_11comp_targetILNS1_3genE5ELNS1_11target_archE942ELNS1_3gpuE9ELNS1_3repE0EEENS1_60segmented_radix_sort_warp_sort_medium_config_static_selectorELNS0_4arch9wavefront6targetE1EEEvSK_.num_named_barrier, 0
	.set _ZN7rocprim17ROCPRIM_400000_NS6detail17trampoline_kernelINS0_14default_configENS1_36segmented_radix_sort_config_selectorIilEEZNS1_25segmented_radix_sort_implIS3_Lb0EPKiPiPKlPlN2at6native12_GLOBAL__N_18offset_tEEE10hipError_tPvRmT1_PNSt15iterator_traitsISK_E10value_typeET2_T3_PNSL_ISQ_E10value_typeET4_jRbjT5_SW_jjP12ihipStream_tbEUlT_E0_NS1_11comp_targetILNS1_3genE5ELNS1_11target_archE942ELNS1_3gpuE9ELNS1_3repE0EEENS1_60segmented_radix_sort_warp_sort_medium_config_static_selectorELNS0_4arch9wavefront6targetE1EEEvSK_.private_seg_size, 0
	.set _ZN7rocprim17ROCPRIM_400000_NS6detail17trampoline_kernelINS0_14default_configENS1_36segmented_radix_sort_config_selectorIilEEZNS1_25segmented_radix_sort_implIS3_Lb0EPKiPiPKlPlN2at6native12_GLOBAL__N_18offset_tEEE10hipError_tPvRmT1_PNSt15iterator_traitsISK_E10value_typeET2_T3_PNSL_ISQ_E10value_typeET4_jRbjT5_SW_jjP12ihipStream_tbEUlT_E0_NS1_11comp_targetILNS1_3genE5ELNS1_11target_archE942ELNS1_3gpuE9ELNS1_3repE0EEENS1_60segmented_radix_sort_warp_sort_medium_config_static_selectorELNS0_4arch9wavefront6targetE1EEEvSK_.uses_vcc, 0
	.set _ZN7rocprim17ROCPRIM_400000_NS6detail17trampoline_kernelINS0_14default_configENS1_36segmented_radix_sort_config_selectorIilEEZNS1_25segmented_radix_sort_implIS3_Lb0EPKiPiPKlPlN2at6native12_GLOBAL__N_18offset_tEEE10hipError_tPvRmT1_PNSt15iterator_traitsISK_E10value_typeET2_T3_PNSL_ISQ_E10value_typeET4_jRbjT5_SW_jjP12ihipStream_tbEUlT_E0_NS1_11comp_targetILNS1_3genE5ELNS1_11target_archE942ELNS1_3gpuE9ELNS1_3repE0EEENS1_60segmented_radix_sort_warp_sort_medium_config_static_selectorELNS0_4arch9wavefront6targetE1EEEvSK_.uses_flat_scratch, 0
	.set _ZN7rocprim17ROCPRIM_400000_NS6detail17trampoline_kernelINS0_14default_configENS1_36segmented_radix_sort_config_selectorIilEEZNS1_25segmented_radix_sort_implIS3_Lb0EPKiPiPKlPlN2at6native12_GLOBAL__N_18offset_tEEE10hipError_tPvRmT1_PNSt15iterator_traitsISK_E10value_typeET2_T3_PNSL_ISQ_E10value_typeET4_jRbjT5_SW_jjP12ihipStream_tbEUlT_E0_NS1_11comp_targetILNS1_3genE5ELNS1_11target_archE942ELNS1_3gpuE9ELNS1_3repE0EEENS1_60segmented_radix_sort_warp_sort_medium_config_static_selectorELNS0_4arch9wavefront6targetE1EEEvSK_.has_dyn_sized_stack, 0
	.set _ZN7rocprim17ROCPRIM_400000_NS6detail17trampoline_kernelINS0_14default_configENS1_36segmented_radix_sort_config_selectorIilEEZNS1_25segmented_radix_sort_implIS3_Lb0EPKiPiPKlPlN2at6native12_GLOBAL__N_18offset_tEEE10hipError_tPvRmT1_PNSt15iterator_traitsISK_E10value_typeET2_T3_PNSL_ISQ_E10value_typeET4_jRbjT5_SW_jjP12ihipStream_tbEUlT_E0_NS1_11comp_targetILNS1_3genE5ELNS1_11target_archE942ELNS1_3gpuE9ELNS1_3repE0EEENS1_60segmented_radix_sort_warp_sort_medium_config_static_selectorELNS0_4arch9wavefront6targetE1EEEvSK_.has_recursion, 0
	.set _ZN7rocprim17ROCPRIM_400000_NS6detail17trampoline_kernelINS0_14default_configENS1_36segmented_radix_sort_config_selectorIilEEZNS1_25segmented_radix_sort_implIS3_Lb0EPKiPiPKlPlN2at6native12_GLOBAL__N_18offset_tEEE10hipError_tPvRmT1_PNSt15iterator_traitsISK_E10value_typeET2_T3_PNSL_ISQ_E10value_typeET4_jRbjT5_SW_jjP12ihipStream_tbEUlT_E0_NS1_11comp_targetILNS1_3genE5ELNS1_11target_archE942ELNS1_3gpuE9ELNS1_3repE0EEENS1_60segmented_radix_sort_warp_sort_medium_config_static_selectorELNS0_4arch9wavefront6targetE1EEEvSK_.has_indirect_call, 0
	.section	.AMDGPU.csdata,"",@progbits
; Kernel info:
; codeLenInByte = 0
; TotalNumSgprs: 4
; NumVgprs: 0
; ScratchSize: 0
; MemoryBound: 0
; FloatMode: 240
; IeeeMode: 1
; LDSByteSize: 0 bytes/workgroup (compile time only)
; SGPRBlocks: 0
; VGPRBlocks: 0
; NumSGPRsForWavesPerEU: 4
; NumVGPRsForWavesPerEU: 1
; Occupancy: 10
; WaveLimiterHint : 0
; COMPUTE_PGM_RSRC2:SCRATCH_EN: 0
; COMPUTE_PGM_RSRC2:USER_SGPR: 6
; COMPUTE_PGM_RSRC2:TRAP_HANDLER: 0
; COMPUTE_PGM_RSRC2:TGID_X_EN: 1
; COMPUTE_PGM_RSRC2:TGID_Y_EN: 0
; COMPUTE_PGM_RSRC2:TGID_Z_EN: 0
; COMPUTE_PGM_RSRC2:TIDIG_COMP_CNT: 0
	.section	.text._ZN7rocprim17ROCPRIM_400000_NS6detail17trampoline_kernelINS0_14default_configENS1_36segmented_radix_sort_config_selectorIilEEZNS1_25segmented_radix_sort_implIS3_Lb0EPKiPiPKlPlN2at6native12_GLOBAL__N_18offset_tEEE10hipError_tPvRmT1_PNSt15iterator_traitsISK_E10value_typeET2_T3_PNSL_ISQ_E10value_typeET4_jRbjT5_SW_jjP12ihipStream_tbEUlT_E0_NS1_11comp_targetILNS1_3genE4ELNS1_11target_archE910ELNS1_3gpuE8ELNS1_3repE0EEENS1_60segmented_radix_sort_warp_sort_medium_config_static_selectorELNS0_4arch9wavefront6targetE1EEEvSK_,"axG",@progbits,_ZN7rocprim17ROCPRIM_400000_NS6detail17trampoline_kernelINS0_14default_configENS1_36segmented_radix_sort_config_selectorIilEEZNS1_25segmented_radix_sort_implIS3_Lb0EPKiPiPKlPlN2at6native12_GLOBAL__N_18offset_tEEE10hipError_tPvRmT1_PNSt15iterator_traitsISK_E10value_typeET2_T3_PNSL_ISQ_E10value_typeET4_jRbjT5_SW_jjP12ihipStream_tbEUlT_E0_NS1_11comp_targetILNS1_3genE4ELNS1_11target_archE910ELNS1_3gpuE8ELNS1_3repE0EEENS1_60segmented_radix_sort_warp_sort_medium_config_static_selectorELNS0_4arch9wavefront6targetE1EEEvSK_,comdat
	.globl	_ZN7rocprim17ROCPRIM_400000_NS6detail17trampoline_kernelINS0_14default_configENS1_36segmented_radix_sort_config_selectorIilEEZNS1_25segmented_radix_sort_implIS3_Lb0EPKiPiPKlPlN2at6native12_GLOBAL__N_18offset_tEEE10hipError_tPvRmT1_PNSt15iterator_traitsISK_E10value_typeET2_T3_PNSL_ISQ_E10value_typeET4_jRbjT5_SW_jjP12ihipStream_tbEUlT_E0_NS1_11comp_targetILNS1_3genE4ELNS1_11target_archE910ELNS1_3gpuE8ELNS1_3repE0EEENS1_60segmented_radix_sort_warp_sort_medium_config_static_selectorELNS0_4arch9wavefront6targetE1EEEvSK_ ; -- Begin function _ZN7rocprim17ROCPRIM_400000_NS6detail17trampoline_kernelINS0_14default_configENS1_36segmented_radix_sort_config_selectorIilEEZNS1_25segmented_radix_sort_implIS3_Lb0EPKiPiPKlPlN2at6native12_GLOBAL__N_18offset_tEEE10hipError_tPvRmT1_PNSt15iterator_traitsISK_E10value_typeET2_T3_PNSL_ISQ_E10value_typeET4_jRbjT5_SW_jjP12ihipStream_tbEUlT_E0_NS1_11comp_targetILNS1_3genE4ELNS1_11target_archE910ELNS1_3gpuE8ELNS1_3repE0EEENS1_60segmented_radix_sort_warp_sort_medium_config_static_selectorELNS0_4arch9wavefront6targetE1EEEvSK_
	.p2align	8
	.type	_ZN7rocprim17ROCPRIM_400000_NS6detail17trampoline_kernelINS0_14default_configENS1_36segmented_radix_sort_config_selectorIilEEZNS1_25segmented_radix_sort_implIS3_Lb0EPKiPiPKlPlN2at6native12_GLOBAL__N_18offset_tEEE10hipError_tPvRmT1_PNSt15iterator_traitsISK_E10value_typeET2_T3_PNSL_ISQ_E10value_typeET4_jRbjT5_SW_jjP12ihipStream_tbEUlT_E0_NS1_11comp_targetILNS1_3genE4ELNS1_11target_archE910ELNS1_3gpuE8ELNS1_3repE0EEENS1_60segmented_radix_sort_warp_sort_medium_config_static_selectorELNS0_4arch9wavefront6targetE1EEEvSK_,@function
_ZN7rocprim17ROCPRIM_400000_NS6detail17trampoline_kernelINS0_14default_configENS1_36segmented_radix_sort_config_selectorIilEEZNS1_25segmented_radix_sort_implIS3_Lb0EPKiPiPKlPlN2at6native12_GLOBAL__N_18offset_tEEE10hipError_tPvRmT1_PNSt15iterator_traitsISK_E10value_typeET2_T3_PNSL_ISQ_E10value_typeET4_jRbjT5_SW_jjP12ihipStream_tbEUlT_E0_NS1_11comp_targetILNS1_3genE4ELNS1_11target_archE910ELNS1_3gpuE8ELNS1_3repE0EEENS1_60segmented_radix_sort_warp_sort_medium_config_static_selectorELNS0_4arch9wavefront6targetE1EEEvSK_: ; @_ZN7rocprim17ROCPRIM_400000_NS6detail17trampoline_kernelINS0_14default_configENS1_36segmented_radix_sort_config_selectorIilEEZNS1_25segmented_radix_sort_implIS3_Lb0EPKiPiPKlPlN2at6native12_GLOBAL__N_18offset_tEEE10hipError_tPvRmT1_PNSt15iterator_traitsISK_E10value_typeET2_T3_PNSL_ISQ_E10value_typeET4_jRbjT5_SW_jjP12ihipStream_tbEUlT_E0_NS1_11comp_targetILNS1_3genE4ELNS1_11target_archE910ELNS1_3gpuE8ELNS1_3repE0EEENS1_60segmented_radix_sort_warp_sort_medium_config_static_selectorELNS0_4arch9wavefront6targetE1EEEvSK_
; %bb.0:
	.section	.rodata,"a",@progbits
	.p2align	6, 0x0
	.amdhsa_kernel _ZN7rocprim17ROCPRIM_400000_NS6detail17trampoline_kernelINS0_14default_configENS1_36segmented_radix_sort_config_selectorIilEEZNS1_25segmented_radix_sort_implIS3_Lb0EPKiPiPKlPlN2at6native12_GLOBAL__N_18offset_tEEE10hipError_tPvRmT1_PNSt15iterator_traitsISK_E10value_typeET2_T3_PNSL_ISQ_E10value_typeET4_jRbjT5_SW_jjP12ihipStream_tbEUlT_E0_NS1_11comp_targetILNS1_3genE4ELNS1_11target_archE910ELNS1_3gpuE8ELNS1_3repE0EEENS1_60segmented_radix_sort_warp_sort_medium_config_static_selectorELNS0_4arch9wavefront6targetE1EEEvSK_
		.amdhsa_group_segment_fixed_size 0
		.amdhsa_private_segment_fixed_size 0
		.amdhsa_kernarg_size 88
		.amdhsa_user_sgpr_count 6
		.amdhsa_user_sgpr_private_segment_buffer 1
		.amdhsa_user_sgpr_dispatch_ptr 0
		.amdhsa_user_sgpr_queue_ptr 0
		.amdhsa_user_sgpr_kernarg_segment_ptr 1
		.amdhsa_user_sgpr_dispatch_id 0
		.amdhsa_user_sgpr_flat_scratch_init 0
		.amdhsa_user_sgpr_private_segment_size 0
		.amdhsa_uses_dynamic_stack 0
		.amdhsa_system_sgpr_private_segment_wavefront_offset 0
		.amdhsa_system_sgpr_workgroup_id_x 1
		.amdhsa_system_sgpr_workgroup_id_y 0
		.amdhsa_system_sgpr_workgroup_id_z 0
		.amdhsa_system_sgpr_workgroup_info 0
		.amdhsa_system_vgpr_workitem_id 0
		.amdhsa_next_free_vgpr 1
		.amdhsa_next_free_sgpr 0
		.amdhsa_reserve_vcc 0
		.amdhsa_reserve_flat_scratch 0
		.amdhsa_float_round_mode_32 0
		.amdhsa_float_round_mode_16_64 0
		.amdhsa_float_denorm_mode_32 3
		.amdhsa_float_denorm_mode_16_64 3
		.amdhsa_dx10_clamp 1
		.amdhsa_ieee_mode 1
		.amdhsa_fp16_overflow 0
		.amdhsa_exception_fp_ieee_invalid_op 0
		.amdhsa_exception_fp_denorm_src 0
		.amdhsa_exception_fp_ieee_div_zero 0
		.amdhsa_exception_fp_ieee_overflow 0
		.amdhsa_exception_fp_ieee_underflow 0
		.amdhsa_exception_fp_ieee_inexact 0
		.amdhsa_exception_int_div_zero 0
	.end_amdhsa_kernel
	.section	.text._ZN7rocprim17ROCPRIM_400000_NS6detail17trampoline_kernelINS0_14default_configENS1_36segmented_radix_sort_config_selectorIilEEZNS1_25segmented_radix_sort_implIS3_Lb0EPKiPiPKlPlN2at6native12_GLOBAL__N_18offset_tEEE10hipError_tPvRmT1_PNSt15iterator_traitsISK_E10value_typeET2_T3_PNSL_ISQ_E10value_typeET4_jRbjT5_SW_jjP12ihipStream_tbEUlT_E0_NS1_11comp_targetILNS1_3genE4ELNS1_11target_archE910ELNS1_3gpuE8ELNS1_3repE0EEENS1_60segmented_radix_sort_warp_sort_medium_config_static_selectorELNS0_4arch9wavefront6targetE1EEEvSK_,"axG",@progbits,_ZN7rocprim17ROCPRIM_400000_NS6detail17trampoline_kernelINS0_14default_configENS1_36segmented_radix_sort_config_selectorIilEEZNS1_25segmented_radix_sort_implIS3_Lb0EPKiPiPKlPlN2at6native12_GLOBAL__N_18offset_tEEE10hipError_tPvRmT1_PNSt15iterator_traitsISK_E10value_typeET2_T3_PNSL_ISQ_E10value_typeET4_jRbjT5_SW_jjP12ihipStream_tbEUlT_E0_NS1_11comp_targetILNS1_3genE4ELNS1_11target_archE910ELNS1_3gpuE8ELNS1_3repE0EEENS1_60segmented_radix_sort_warp_sort_medium_config_static_selectorELNS0_4arch9wavefront6targetE1EEEvSK_,comdat
.Lfunc_end612:
	.size	_ZN7rocprim17ROCPRIM_400000_NS6detail17trampoline_kernelINS0_14default_configENS1_36segmented_radix_sort_config_selectorIilEEZNS1_25segmented_radix_sort_implIS3_Lb0EPKiPiPKlPlN2at6native12_GLOBAL__N_18offset_tEEE10hipError_tPvRmT1_PNSt15iterator_traitsISK_E10value_typeET2_T3_PNSL_ISQ_E10value_typeET4_jRbjT5_SW_jjP12ihipStream_tbEUlT_E0_NS1_11comp_targetILNS1_3genE4ELNS1_11target_archE910ELNS1_3gpuE8ELNS1_3repE0EEENS1_60segmented_radix_sort_warp_sort_medium_config_static_selectorELNS0_4arch9wavefront6targetE1EEEvSK_, .Lfunc_end612-_ZN7rocprim17ROCPRIM_400000_NS6detail17trampoline_kernelINS0_14default_configENS1_36segmented_radix_sort_config_selectorIilEEZNS1_25segmented_radix_sort_implIS3_Lb0EPKiPiPKlPlN2at6native12_GLOBAL__N_18offset_tEEE10hipError_tPvRmT1_PNSt15iterator_traitsISK_E10value_typeET2_T3_PNSL_ISQ_E10value_typeET4_jRbjT5_SW_jjP12ihipStream_tbEUlT_E0_NS1_11comp_targetILNS1_3genE4ELNS1_11target_archE910ELNS1_3gpuE8ELNS1_3repE0EEENS1_60segmented_radix_sort_warp_sort_medium_config_static_selectorELNS0_4arch9wavefront6targetE1EEEvSK_
                                        ; -- End function
	.set _ZN7rocprim17ROCPRIM_400000_NS6detail17trampoline_kernelINS0_14default_configENS1_36segmented_radix_sort_config_selectorIilEEZNS1_25segmented_radix_sort_implIS3_Lb0EPKiPiPKlPlN2at6native12_GLOBAL__N_18offset_tEEE10hipError_tPvRmT1_PNSt15iterator_traitsISK_E10value_typeET2_T3_PNSL_ISQ_E10value_typeET4_jRbjT5_SW_jjP12ihipStream_tbEUlT_E0_NS1_11comp_targetILNS1_3genE4ELNS1_11target_archE910ELNS1_3gpuE8ELNS1_3repE0EEENS1_60segmented_radix_sort_warp_sort_medium_config_static_selectorELNS0_4arch9wavefront6targetE1EEEvSK_.num_vgpr, 0
	.set _ZN7rocprim17ROCPRIM_400000_NS6detail17trampoline_kernelINS0_14default_configENS1_36segmented_radix_sort_config_selectorIilEEZNS1_25segmented_radix_sort_implIS3_Lb0EPKiPiPKlPlN2at6native12_GLOBAL__N_18offset_tEEE10hipError_tPvRmT1_PNSt15iterator_traitsISK_E10value_typeET2_T3_PNSL_ISQ_E10value_typeET4_jRbjT5_SW_jjP12ihipStream_tbEUlT_E0_NS1_11comp_targetILNS1_3genE4ELNS1_11target_archE910ELNS1_3gpuE8ELNS1_3repE0EEENS1_60segmented_radix_sort_warp_sort_medium_config_static_selectorELNS0_4arch9wavefront6targetE1EEEvSK_.num_agpr, 0
	.set _ZN7rocprim17ROCPRIM_400000_NS6detail17trampoline_kernelINS0_14default_configENS1_36segmented_radix_sort_config_selectorIilEEZNS1_25segmented_radix_sort_implIS3_Lb0EPKiPiPKlPlN2at6native12_GLOBAL__N_18offset_tEEE10hipError_tPvRmT1_PNSt15iterator_traitsISK_E10value_typeET2_T3_PNSL_ISQ_E10value_typeET4_jRbjT5_SW_jjP12ihipStream_tbEUlT_E0_NS1_11comp_targetILNS1_3genE4ELNS1_11target_archE910ELNS1_3gpuE8ELNS1_3repE0EEENS1_60segmented_radix_sort_warp_sort_medium_config_static_selectorELNS0_4arch9wavefront6targetE1EEEvSK_.numbered_sgpr, 0
	.set _ZN7rocprim17ROCPRIM_400000_NS6detail17trampoline_kernelINS0_14default_configENS1_36segmented_radix_sort_config_selectorIilEEZNS1_25segmented_radix_sort_implIS3_Lb0EPKiPiPKlPlN2at6native12_GLOBAL__N_18offset_tEEE10hipError_tPvRmT1_PNSt15iterator_traitsISK_E10value_typeET2_T3_PNSL_ISQ_E10value_typeET4_jRbjT5_SW_jjP12ihipStream_tbEUlT_E0_NS1_11comp_targetILNS1_3genE4ELNS1_11target_archE910ELNS1_3gpuE8ELNS1_3repE0EEENS1_60segmented_radix_sort_warp_sort_medium_config_static_selectorELNS0_4arch9wavefront6targetE1EEEvSK_.num_named_barrier, 0
	.set _ZN7rocprim17ROCPRIM_400000_NS6detail17trampoline_kernelINS0_14default_configENS1_36segmented_radix_sort_config_selectorIilEEZNS1_25segmented_radix_sort_implIS3_Lb0EPKiPiPKlPlN2at6native12_GLOBAL__N_18offset_tEEE10hipError_tPvRmT1_PNSt15iterator_traitsISK_E10value_typeET2_T3_PNSL_ISQ_E10value_typeET4_jRbjT5_SW_jjP12ihipStream_tbEUlT_E0_NS1_11comp_targetILNS1_3genE4ELNS1_11target_archE910ELNS1_3gpuE8ELNS1_3repE0EEENS1_60segmented_radix_sort_warp_sort_medium_config_static_selectorELNS0_4arch9wavefront6targetE1EEEvSK_.private_seg_size, 0
	.set _ZN7rocprim17ROCPRIM_400000_NS6detail17trampoline_kernelINS0_14default_configENS1_36segmented_radix_sort_config_selectorIilEEZNS1_25segmented_radix_sort_implIS3_Lb0EPKiPiPKlPlN2at6native12_GLOBAL__N_18offset_tEEE10hipError_tPvRmT1_PNSt15iterator_traitsISK_E10value_typeET2_T3_PNSL_ISQ_E10value_typeET4_jRbjT5_SW_jjP12ihipStream_tbEUlT_E0_NS1_11comp_targetILNS1_3genE4ELNS1_11target_archE910ELNS1_3gpuE8ELNS1_3repE0EEENS1_60segmented_radix_sort_warp_sort_medium_config_static_selectorELNS0_4arch9wavefront6targetE1EEEvSK_.uses_vcc, 0
	.set _ZN7rocprim17ROCPRIM_400000_NS6detail17trampoline_kernelINS0_14default_configENS1_36segmented_radix_sort_config_selectorIilEEZNS1_25segmented_radix_sort_implIS3_Lb0EPKiPiPKlPlN2at6native12_GLOBAL__N_18offset_tEEE10hipError_tPvRmT1_PNSt15iterator_traitsISK_E10value_typeET2_T3_PNSL_ISQ_E10value_typeET4_jRbjT5_SW_jjP12ihipStream_tbEUlT_E0_NS1_11comp_targetILNS1_3genE4ELNS1_11target_archE910ELNS1_3gpuE8ELNS1_3repE0EEENS1_60segmented_radix_sort_warp_sort_medium_config_static_selectorELNS0_4arch9wavefront6targetE1EEEvSK_.uses_flat_scratch, 0
	.set _ZN7rocprim17ROCPRIM_400000_NS6detail17trampoline_kernelINS0_14default_configENS1_36segmented_radix_sort_config_selectorIilEEZNS1_25segmented_radix_sort_implIS3_Lb0EPKiPiPKlPlN2at6native12_GLOBAL__N_18offset_tEEE10hipError_tPvRmT1_PNSt15iterator_traitsISK_E10value_typeET2_T3_PNSL_ISQ_E10value_typeET4_jRbjT5_SW_jjP12ihipStream_tbEUlT_E0_NS1_11comp_targetILNS1_3genE4ELNS1_11target_archE910ELNS1_3gpuE8ELNS1_3repE0EEENS1_60segmented_radix_sort_warp_sort_medium_config_static_selectorELNS0_4arch9wavefront6targetE1EEEvSK_.has_dyn_sized_stack, 0
	.set _ZN7rocprim17ROCPRIM_400000_NS6detail17trampoline_kernelINS0_14default_configENS1_36segmented_radix_sort_config_selectorIilEEZNS1_25segmented_radix_sort_implIS3_Lb0EPKiPiPKlPlN2at6native12_GLOBAL__N_18offset_tEEE10hipError_tPvRmT1_PNSt15iterator_traitsISK_E10value_typeET2_T3_PNSL_ISQ_E10value_typeET4_jRbjT5_SW_jjP12ihipStream_tbEUlT_E0_NS1_11comp_targetILNS1_3genE4ELNS1_11target_archE910ELNS1_3gpuE8ELNS1_3repE0EEENS1_60segmented_radix_sort_warp_sort_medium_config_static_selectorELNS0_4arch9wavefront6targetE1EEEvSK_.has_recursion, 0
	.set _ZN7rocprim17ROCPRIM_400000_NS6detail17trampoline_kernelINS0_14default_configENS1_36segmented_radix_sort_config_selectorIilEEZNS1_25segmented_radix_sort_implIS3_Lb0EPKiPiPKlPlN2at6native12_GLOBAL__N_18offset_tEEE10hipError_tPvRmT1_PNSt15iterator_traitsISK_E10value_typeET2_T3_PNSL_ISQ_E10value_typeET4_jRbjT5_SW_jjP12ihipStream_tbEUlT_E0_NS1_11comp_targetILNS1_3genE4ELNS1_11target_archE910ELNS1_3gpuE8ELNS1_3repE0EEENS1_60segmented_radix_sort_warp_sort_medium_config_static_selectorELNS0_4arch9wavefront6targetE1EEEvSK_.has_indirect_call, 0
	.section	.AMDGPU.csdata,"",@progbits
; Kernel info:
; codeLenInByte = 0
; TotalNumSgprs: 4
; NumVgprs: 0
; ScratchSize: 0
; MemoryBound: 0
; FloatMode: 240
; IeeeMode: 1
; LDSByteSize: 0 bytes/workgroup (compile time only)
; SGPRBlocks: 0
; VGPRBlocks: 0
; NumSGPRsForWavesPerEU: 4
; NumVGPRsForWavesPerEU: 1
; Occupancy: 10
; WaveLimiterHint : 0
; COMPUTE_PGM_RSRC2:SCRATCH_EN: 0
; COMPUTE_PGM_RSRC2:USER_SGPR: 6
; COMPUTE_PGM_RSRC2:TRAP_HANDLER: 0
; COMPUTE_PGM_RSRC2:TGID_X_EN: 1
; COMPUTE_PGM_RSRC2:TGID_Y_EN: 0
; COMPUTE_PGM_RSRC2:TGID_Z_EN: 0
; COMPUTE_PGM_RSRC2:TIDIG_COMP_CNT: 0
	.section	.text._ZN7rocprim17ROCPRIM_400000_NS6detail17trampoline_kernelINS0_14default_configENS1_36segmented_radix_sort_config_selectorIilEEZNS1_25segmented_radix_sort_implIS3_Lb0EPKiPiPKlPlN2at6native12_GLOBAL__N_18offset_tEEE10hipError_tPvRmT1_PNSt15iterator_traitsISK_E10value_typeET2_T3_PNSL_ISQ_E10value_typeET4_jRbjT5_SW_jjP12ihipStream_tbEUlT_E0_NS1_11comp_targetILNS1_3genE3ELNS1_11target_archE908ELNS1_3gpuE7ELNS1_3repE0EEENS1_60segmented_radix_sort_warp_sort_medium_config_static_selectorELNS0_4arch9wavefront6targetE1EEEvSK_,"axG",@progbits,_ZN7rocprim17ROCPRIM_400000_NS6detail17trampoline_kernelINS0_14default_configENS1_36segmented_radix_sort_config_selectorIilEEZNS1_25segmented_radix_sort_implIS3_Lb0EPKiPiPKlPlN2at6native12_GLOBAL__N_18offset_tEEE10hipError_tPvRmT1_PNSt15iterator_traitsISK_E10value_typeET2_T3_PNSL_ISQ_E10value_typeET4_jRbjT5_SW_jjP12ihipStream_tbEUlT_E0_NS1_11comp_targetILNS1_3genE3ELNS1_11target_archE908ELNS1_3gpuE7ELNS1_3repE0EEENS1_60segmented_radix_sort_warp_sort_medium_config_static_selectorELNS0_4arch9wavefront6targetE1EEEvSK_,comdat
	.globl	_ZN7rocprim17ROCPRIM_400000_NS6detail17trampoline_kernelINS0_14default_configENS1_36segmented_radix_sort_config_selectorIilEEZNS1_25segmented_radix_sort_implIS3_Lb0EPKiPiPKlPlN2at6native12_GLOBAL__N_18offset_tEEE10hipError_tPvRmT1_PNSt15iterator_traitsISK_E10value_typeET2_T3_PNSL_ISQ_E10value_typeET4_jRbjT5_SW_jjP12ihipStream_tbEUlT_E0_NS1_11comp_targetILNS1_3genE3ELNS1_11target_archE908ELNS1_3gpuE7ELNS1_3repE0EEENS1_60segmented_radix_sort_warp_sort_medium_config_static_selectorELNS0_4arch9wavefront6targetE1EEEvSK_ ; -- Begin function _ZN7rocprim17ROCPRIM_400000_NS6detail17trampoline_kernelINS0_14default_configENS1_36segmented_radix_sort_config_selectorIilEEZNS1_25segmented_radix_sort_implIS3_Lb0EPKiPiPKlPlN2at6native12_GLOBAL__N_18offset_tEEE10hipError_tPvRmT1_PNSt15iterator_traitsISK_E10value_typeET2_T3_PNSL_ISQ_E10value_typeET4_jRbjT5_SW_jjP12ihipStream_tbEUlT_E0_NS1_11comp_targetILNS1_3genE3ELNS1_11target_archE908ELNS1_3gpuE7ELNS1_3repE0EEENS1_60segmented_radix_sort_warp_sort_medium_config_static_selectorELNS0_4arch9wavefront6targetE1EEEvSK_
	.p2align	8
	.type	_ZN7rocprim17ROCPRIM_400000_NS6detail17trampoline_kernelINS0_14default_configENS1_36segmented_radix_sort_config_selectorIilEEZNS1_25segmented_radix_sort_implIS3_Lb0EPKiPiPKlPlN2at6native12_GLOBAL__N_18offset_tEEE10hipError_tPvRmT1_PNSt15iterator_traitsISK_E10value_typeET2_T3_PNSL_ISQ_E10value_typeET4_jRbjT5_SW_jjP12ihipStream_tbEUlT_E0_NS1_11comp_targetILNS1_3genE3ELNS1_11target_archE908ELNS1_3gpuE7ELNS1_3repE0EEENS1_60segmented_radix_sort_warp_sort_medium_config_static_selectorELNS0_4arch9wavefront6targetE1EEEvSK_,@function
_ZN7rocprim17ROCPRIM_400000_NS6detail17trampoline_kernelINS0_14default_configENS1_36segmented_radix_sort_config_selectorIilEEZNS1_25segmented_radix_sort_implIS3_Lb0EPKiPiPKlPlN2at6native12_GLOBAL__N_18offset_tEEE10hipError_tPvRmT1_PNSt15iterator_traitsISK_E10value_typeET2_T3_PNSL_ISQ_E10value_typeET4_jRbjT5_SW_jjP12ihipStream_tbEUlT_E0_NS1_11comp_targetILNS1_3genE3ELNS1_11target_archE908ELNS1_3gpuE7ELNS1_3repE0EEENS1_60segmented_radix_sort_warp_sort_medium_config_static_selectorELNS0_4arch9wavefront6targetE1EEEvSK_: ; @_ZN7rocprim17ROCPRIM_400000_NS6detail17trampoline_kernelINS0_14default_configENS1_36segmented_radix_sort_config_selectorIilEEZNS1_25segmented_radix_sort_implIS3_Lb0EPKiPiPKlPlN2at6native12_GLOBAL__N_18offset_tEEE10hipError_tPvRmT1_PNSt15iterator_traitsISK_E10value_typeET2_T3_PNSL_ISQ_E10value_typeET4_jRbjT5_SW_jjP12ihipStream_tbEUlT_E0_NS1_11comp_targetILNS1_3genE3ELNS1_11target_archE908ELNS1_3gpuE7ELNS1_3repE0EEENS1_60segmented_radix_sort_warp_sort_medium_config_static_selectorELNS0_4arch9wavefront6targetE1EEEvSK_
; %bb.0:
	.section	.rodata,"a",@progbits
	.p2align	6, 0x0
	.amdhsa_kernel _ZN7rocprim17ROCPRIM_400000_NS6detail17trampoline_kernelINS0_14default_configENS1_36segmented_radix_sort_config_selectorIilEEZNS1_25segmented_radix_sort_implIS3_Lb0EPKiPiPKlPlN2at6native12_GLOBAL__N_18offset_tEEE10hipError_tPvRmT1_PNSt15iterator_traitsISK_E10value_typeET2_T3_PNSL_ISQ_E10value_typeET4_jRbjT5_SW_jjP12ihipStream_tbEUlT_E0_NS1_11comp_targetILNS1_3genE3ELNS1_11target_archE908ELNS1_3gpuE7ELNS1_3repE0EEENS1_60segmented_radix_sort_warp_sort_medium_config_static_selectorELNS0_4arch9wavefront6targetE1EEEvSK_
		.amdhsa_group_segment_fixed_size 0
		.amdhsa_private_segment_fixed_size 0
		.amdhsa_kernarg_size 88
		.amdhsa_user_sgpr_count 6
		.amdhsa_user_sgpr_private_segment_buffer 1
		.amdhsa_user_sgpr_dispatch_ptr 0
		.amdhsa_user_sgpr_queue_ptr 0
		.amdhsa_user_sgpr_kernarg_segment_ptr 1
		.amdhsa_user_sgpr_dispatch_id 0
		.amdhsa_user_sgpr_flat_scratch_init 0
		.amdhsa_user_sgpr_private_segment_size 0
		.amdhsa_uses_dynamic_stack 0
		.amdhsa_system_sgpr_private_segment_wavefront_offset 0
		.amdhsa_system_sgpr_workgroup_id_x 1
		.amdhsa_system_sgpr_workgroup_id_y 0
		.amdhsa_system_sgpr_workgroup_id_z 0
		.amdhsa_system_sgpr_workgroup_info 0
		.amdhsa_system_vgpr_workitem_id 0
		.amdhsa_next_free_vgpr 1
		.amdhsa_next_free_sgpr 0
		.amdhsa_reserve_vcc 0
		.amdhsa_reserve_flat_scratch 0
		.amdhsa_float_round_mode_32 0
		.amdhsa_float_round_mode_16_64 0
		.amdhsa_float_denorm_mode_32 3
		.amdhsa_float_denorm_mode_16_64 3
		.amdhsa_dx10_clamp 1
		.amdhsa_ieee_mode 1
		.amdhsa_fp16_overflow 0
		.amdhsa_exception_fp_ieee_invalid_op 0
		.amdhsa_exception_fp_denorm_src 0
		.amdhsa_exception_fp_ieee_div_zero 0
		.amdhsa_exception_fp_ieee_overflow 0
		.amdhsa_exception_fp_ieee_underflow 0
		.amdhsa_exception_fp_ieee_inexact 0
		.amdhsa_exception_int_div_zero 0
	.end_amdhsa_kernel
	.section	.text._ZN7rocprim17ROCPRIM_400000_NS6detail17trampoline_kernelINS0_14default_configENS1_36segmented_radix_sort_config_selectorIilEEZNS1_25segmented_radix_sort_implIS3_Lb0EPKiPiPKlPlN2at6native12_GLOBAL__N_18offset_tEEE10hipError_tPvRmT1_PNSt15iterator_traitsISK_E10value_typeET2_T3_PNSL_ISQ_E10value_typeET4_jRbjT5_SW_jjP12ihipStream_tbEUlT_E0_NS1_11comp_targetILNS1_3genE3ELNS1_11target_archE908ELNS1_3gpuE7ELNS1_3repE0EEENS1_60segmented_radix_sort_warp_sort_medium_config_static_selectorELNS0_4arch9wavefront6targetE1EEEvSK_,"axG",@progbits,_ZN7rocprim17ROCPRIM_400000_NS6detail17trampoline_kernelINS0_14default_configENS1_36segmented_radix_sort_config_selectorIilEEZNS1_25segmented_radix_sort_implIS3_Lb0EPKiPiPKlPlN2at6native12_GLOBAL__N_18offset_tEEE10hipError_tPvRmT1_PNSt15iterator_traitsISK_E10value_typeET2_T3_PNSL_ISQ_E10value_typeET4_jRbjT5_SW_jjP12ihipStream_tbEUlT_E0_NS1_11comp_targetILNS1_3genE3ELNS1_11target_archE908ELNS1_3gpuE7ELNS1_3repE0EEENS1_60segmented_radix_sort_warp_sort_medium_config_static_selectorELNS0_4arch9wavefront6targetE1EEEvSK_,comdat
.Lfunc_end613:
	.size	_ZN7rocprim17ROCPRIM_400000_NS6detail17trampoline_kernelINS0_14default_configENS1_36segmented_radix_sort_config_selectorIilEEZNS1_25segmented_radix_sort_implIS3_Lb0EPKiPiPKlPlN2at6native12_GLOBAL__N_18offset_tEEE10hipError_tPvRmT1_PNSt15iterator_traitsISK_E10value_typeET2_T3_PNSL_ISQ_E10value_typeET4_jRbjT5_SW_jjP12ihipStream_tbEUlT_E0_NS1_11comp_targetILNS1_3genE3ELNS1_11target_archE908ELNS1_3gpuE7ELNS1_3repE0EEENS1_60segmented_radix_sort_warp_sort_medium_config_static_selectorELNS0_4arch9wavefront6targetE1EEEvSK_, .Lfunc_end613-_ZN7rocprim17ROCPRIM_400000_NS6detail17trampoline_kernelINS0_14default_configENS1_36segmented_radix_sort_config_selectorIilEEZNS1_25segmented_radix_sort_implIS3_Lb0EPKiPiPKlPlN2at6native12_GLOBAL__N_18offset_tEEE10hipError_tPvRmT1_PNSt15iterator_traitsISK_E10value_typeET2_T3_PNSL_ISQ_E10value_typeET4_jRbjT5_SW_jjP12ihipStream_tbEUlT_E0_NS1_11comp_targetILNS1_3genE3ELNS1_11target_archE908ELNS1_3gpuE7ELNS1_3repE0EEENS1_60segmented_radix_sort_warp_sort_medium_config_static_selectorELNS0_4arch9wavefront6targetE1EEEvSK_
                                        ; -- End function
	.set _ZN7rocprim17ROCPRIM_400000_NS6detail17trampoline_kernelINS0_14default_configENS1_36segmented_radix_sort_config_selectorIilEEZNS1_25segmented_radix_sort_implIS3_Lb0EPKiPiPKlPlN2at6native12_GLOBAL__N_18offset_tEEE10hipError_tPvRmT1_PNSt15iterator_traitsISK_E10value_typeET2_T3_PNSL_ISQ_E10value_typeET4_jRbjT5_SW_jjP12ihipStream_tbEUlT_E0_NS1_11comp_targetILNS1_3genE3ELNS1_11target_archE908ELNS1_3gpuE7ELNS1_3repE0EEENS1_60segmented_radix_sort_warp_sort_medium_config_static_selectorELNS0_4arch9wavefront6targetE1EEEvSK_.num_vgpr, 0
	.set _ZN7rocprim17ROCPRIM_400000_NS6detail17trampoline_kernelINS0_14default_configENS1_36segmented_radix_sort_config_selectorIilEEZNS1_25segmented_radix_sort_implIS3_Lb0EPKiPiPKlPlN2at6native12_GLOBAL__N_18offset_tEEE10hipError_tPvRmT1_PNSt15iterator_traitsISK_E10value_typeET2_T3_PNSL_ISQ_E10value_typeET4_jRbjT5_SW_jjP12ihipStream_tbEUlT_E0_NS1_11comp_targetILNS1_3genE3ELNS1_11target_archE908ELNS1_3gpuE7ELNS1_3repE0EEENS1_60segmented_radix_sort_warp_sort_medium_config_static_selectorELNS0_4arch9wavefront6targetE1EEEvSK_.num_agpr, 0
	.set _ZN7rocprim17ROCPRIM_400000_NS6detail17trampoline_kernelINS0_14default_configENS1_36segmented_radix_sort_config_selectorIilEEZNS1_25segmented_radix_sort_implIS3_Lb0EPKiPiPKlPlN2at6native12_GLOBAL__N_18offset_tEEE10hipError_tPvRmT1_PNSt15iterator_traitsISK_E10value_typeET2_T3_PNSL_ISQ_E10value_typeET4_jRbjT5_SW_jjP12ihipStream_tbEUlT_E0_NS1_11comp_targetILNS1_3genE3ELNS1_11target_archE908ELNS1_3gpuE7ELNS1_3repE0EEENS1_60segmented_radix_sort_warp_sort_medium_config_static_selectorELNS0_4arch9wavefront6targetE1EEEvSK_.numbered_sgpr, 0
	.set _ZN7rocprim17ROCPRIM_400000_NS6detail17trampoline_kernelINS0_14default_configENS1_36segmented_radix_sort_config_selectorIilEEZNS1_25segmented_radix_sort_implIS3_Lb0EPKiPiPKlPlN2at6native12_GLOBAL__N_18offset_tEEE10hipError_tPvRmT1_PNSt15iterator_traitsISK_E10value_typeET2_T3_PNSL_ISQ_E10value_typeET4_jRbjT5_SW_jjP12ihipStream_tbEUlT_E0_NS1_11comp_targetILNS1_3genE3ELNS1_11target_archE908ELNS1_3gpuE7ELNS1_3repE0EEENS1_60segmented_radix_sort_warp_sort_medium_config_static_selectorELNS0_4arch9wavefront6targetE1EEEvSK_.num_named_barrier, 0
	.set _ZN7rocprim17ROCPRIM_400000_NS6detail17trampoline_kernelINS0_14default_configENS1_36segmented_radix_sort_config_selectorIilEEZNS1_25segmented_radix_sort_implIS3_Lb0EPKiPiPKlPlN2at6native12_GLOBAL__N_18offset_tEEE10hipError_tPvRmT1_PNSt15iterator_traitsISK_E10value_typeET2_T3_PNSL_ISQ_E10value_typeET4_jRbjT5_SW_jjP12ihipStream_tbEUlT_E0_NS1_11comp_targetILNS1_3genE3ELNS1_11target_archE908ELNS1_3gpuE7ELNS1_3repE0EEENS1_60segmented_radix_sort_warp_sort_medium_config_static_selectorELNS0_4arch9wavefront6targetE1EEEvSK_.private_seg_size, 0
	.set _ZN7rocprim17ROCPRIM_400000_NS6detail17trampoline_kernelINS0_14default_configENS1_36segmented_radix_sort_config_selectorIilEEZNS1_25segmented_radix_sort_implIS3_Lb0EPKiPiPKlPlN2at6native12_GLOBAL__N_18offset_tEEE10hipError_tPvRmT1_PNSt15iterator_traitsISK_E10value_typeET2_T3_PNSL_ISQ_E10value_typeET4_jRbjT5_SW_jjP12ihipStream_tbEUlT_E0_NS1_11comp_targetILNS1_3genE3ELNS1_11target_archE908ELNS1_3gpuE7ELNS1_3repE0EEENS1_60segmented_radix_sort_warp_sort_medium_config_static_selectorELNS0_4arch9wavefront6targetE1EEEvSK_.uses_vcc, 0
	.set _ZN7rocprim17ROCPRIM_400000_NS6detail17trampoline_kernelINS0_14default_configENS1_36segmented_radix_sort_config_selectorIilEEZNS1_25segmented_radix_sort_implIS3_Lb0EPKiPiPKlPlN2at6native12_GLOBAL__N_18offset_tEEE10hipError_tPvRmT1_PNSt15iterator_traitsISK_E10value_typeET2_T3_PNSL_ISQ_E10value_typeET4_jRbjT5_SW_jjP12ihipStream_tbEUlT_E0_NS1_11comp_targetILNS1_3genE3ELNS1_11target_archE908ELNS1_3gpuE7ELNS1_3repE0EEENS1_60segmented_radix_sort_warp_sort_medium_config_static_selectorELNS0_4arch9wavefront6targetE1EEEvSK_.uses_flat_scratch, 0
	.set _ZN7rocprim17ROCPRIM_400000_NS6detail17trampoline_kernelINS0_14default_configENS1_36segmented_radix_sort_config_selectorIilEEZNS1_25segmented_radix_sort_implIS3_Lb0EPKiPiPKlPlN2at6native12_GLOBAL__N_18offset_tEEE10hipError_tPvRmT1_PNSt15iterator_traitsISK_E10value_typeET2_T3_PNSL_ISQ_E10value_typeET4_jRbjT5_SW_jjP12ihipStream_tbEUlT_E0_NS1_11comp_targetILNS1_3genE3ELNS1_11target_archE908ELNS1_3gpuE7ELNS1_3repE0EEENS1_60segmented_radix_sort_warp_sort_medium_config_static_selectorELNS0_4arch9wavefront6targetE1EEEvSK_.has_dyn_sized_stack, 0
	.set _ZN7rocprim17ROCPRIM_400000_NS6detail17trampoline_kernelINS0_14default_configENS1_36segmented_radix_sort_config_selectorIilEEZNS1_25segmented_radix_sort_implIS3_Lb0EPKiPiPKlPlN2at6native12_GLOBAL__N_18offset_tEEE10hipError_tPvRmT1_PNSt15iterator_traitsISK_E10value_typeET2_T3_PNSL_ISQ_E10value_typeET4_jRbjT5_SW_jjP12ihipStream_tbEUlT_E0_NS1_11comp_targetILNS1_3genE3ELNS1_11target_archE908ELNS1_3gpuE7ELNS1_3repE0EEENS1_60segmented_radix_sort_warp_sort_medium_config_static_selectorELNS0_4arch9wavefront6targetE1EEEvSK_.has_recursion, 0
	.set _ZN7rocprim17ROCPRIM_400000_NS6detail17trampoline_kernelINS0_14default_configENS1_36segmented_radix_sort_config_selectorIilEEZNS1_25segmented_radix_sort_implIS3_Lb0EPKiPiPKlPlN2at6native12_GLOBAL__N_18offset_tEEE10hipError_tPvRmT1_PNSt15iterator_traitsISK_E10value_typeET2_T3_PNSL_ISQ_E10value_typeET4_jRbjT5_SW_jjP12ihipStream_tbEUlT_E0_NS1_11comp_targetILNS1_3genE3ELNS1_11target_archE908ELNS1_3gpuE7ELNS1_3repE0EEENS1_60segmented_radix_sort_warp_sort_medium_config_static_selectorELNS0_4arch9wavefront6targetE1EEEvSK_.has_indirect_call, 0
	.section	.AMDGPU.csdata,"",@progbits
; Kernel info:
; codeLenInByte = 0
; TotalNumSgprs: 4
; NumVgprs: 0
; ScratchSize: 0
; MemoryBound: 0
; FloatMode: 240
; IeeeMode: 1
; LDSByteSize: 0 bytes/workgroup (compile time only)
; SGPRBlocks: 0
; VGPRBlocks: 0
; NumSGPRsForWavesPerEU: 4
; NumVGPRsForWavesPerEU: 1
; Occupancy: 10
; WaveLimiterHint : 0
; COMPUTE_PGM_RSRC2:SCRATCH_EN: 0
; COMPUTE_PGM_RSRC2:USER_SGPR: 6
; COMPUTE_PGM_RSRC2:TRAP_HANDLER: 0
; COMPUTE_PGM_RSRC2:TGID_X_EN: 1
; COMPUTE_PGM_RSRC2:TGID_Y_EN: 0
; COMPUTE_PGM_RSRC2:TGID_Z_EN: 0
; COMPUTE_PGM_RSRC2:TIDIG_COMP_CNT: 0
	.text
	.p2align	2                               ; -- Begin function _ZN7rocprim17ROCPRIM_400000_NS6detail26segmented_warp_sort_helperINS1_20WarpSortHelperConfigILj16ELj8ELj256EEEilLi256ELb0EvE4sortIPKiPiPKlPlEEvT_T0_T1_T2_jjjjRNS5_12storage_typeE
	.type	_ZN7rocprim17ROCPRIM_400000_NS6detail26segmented_warp_sort_helperINS1_20WarpSortHelperConfigILj16ELj8ELj256EEEilLi256ELb0EvE4sortIPKiPiPKlPlEEvT_T0_T1_T2_jjjjRNS5_12storage_typeE,@function
_ZN7rocprim17ROCPRIM_400000_NS6detail26segmented_warp_sort_helperINS1_20WarpSortHelperConfigILj16ELj8ELj256EEEilLi256ELb0EvE4sortIPKiPiPKlPlEEvT_T0_T1_T2_jjjjRNS5_12storage_typeE: ; @_ZN7rocprim17ROCPRIM_400000_NS6detail26segmented_warp_sort_helperINS1_20WarpSortHelperConfigILj16ELj8ELj256EEEilLi256ELb0EvE4sortIPKiPiPKlPlEEvT_T0_T1_T2_jjjjRNS5_12storage_typeE
; %bb.0:
	s_waitcnt vmcnt(0) expcnt(0) lgkmcnt(0)
	v_sub_u32_e32 v18, v9, v8
	v_mov_b32_e32 v9, 0
	v_mbcnt_lo_u32_b32 v14, -1, 0
	v_lshlrev_b64 v[12:13], 2, v[8:9]
	v_mbcnt_hi_u32_b32 v14, -1, v14
	v_lshlrev_b32_e32 v48, 3, v14
	v_add_co_u32_e32 v0, vcc, v0, v12
	v_and_b32_e32 v49, 0x78, v48
	v_addc_co_u32_e32 v1, vcc, v1, v13, vcc
	v_lshlrev_b32_e32 v38, 2, v49
	v_add_co_u32_e32 v0, vcc, v0, v38
	v_addc_co_u32_e32 v1, vcc, 0, v1, vcc
	v_cmp_lt_u32_e32 vcc, v49, v18
	v_bfrev_b32_e32 v15, -2
	v_bfrev_b32_e32 v14, -2
	s_and_saveexec_b64 s[4:5], vcc
	s_cbranch_execz .LBB614_2
; %bb.1:
	flat_load_dword v14, v[0:1]
.LBB614_2:
	s_or_b64 exec, exec, s[4:5]
	v_or_b32_e32 v16, 1, v49
	v_cmp_lt_u32_e64 s[4:5], v16, v18
	s_and_saveexec_b64 s[6:7], s[4:5]
	s_cbranch_execz .LBB614_4
; %bb.3:
	flat_load_dword v15, v[0:1] offset:4
.LBB614_4:
	s_or_b64 exec, exec, s[6:7]
	v_or_b32_e32 v16, 2, v49
	v_cmp_lt_u32_e64 s[6:7], v16, v18
	v_bfrev_b32_e32 v29, -2
	v_bfrev_b32_e32 v28, -2
	s_and_saveexec_b64 s[10:11], s[6:7]
	s_cbranch_execz .LBB614_6
; %bb.5:
	flat_load_dword v28, v[0:1] offset:8
.LBB614_6:
	s_or_b64 exec, exec, s[10:11]
	v_or_b32_e32 v16, 3, v49
	v_cmp_lt_u32_e64 s[18:19], v16, v18
	s_and_saveexec_b64 s[10:11], s[18:19]
	s_cbranch_execz .LBB614_8
; %bb.7:
	flat_load_dword v29, v[0:1] offset:12
.LBB614_8:
	s_or_b64 exec, exec, s[10:11]
	v_or_b32_e32 v16, 4, v49
	v_cmp_lt_u32_e64 s[10:11], v16, v18
	v_bfrev_b32_e32 v25, -2
	v_bfrev_b32_e32 v24, -2
	s_and_saveexec_b64 s[14:15], s[10:11]
	s_cbranch_execz .LBB614_10
; %bb.9:
	flat_load_dword v24, v[0:1] offset:16
.LBB614_10:
	;; [unrolled: 18-line block ×3, first 2 shown]
	s_or_b64 exec, exec, s[16:17]
	v_or_b32_e32 v19, 7, v49
	v_cmp_lt_u32_e64 s[16:17], v19, v18
	s_and_saveexec_b64 s[20:21], s[16:17]
	s_cbranch_execz .LBB614_16
; %bb.15:
	flat_load_dword v17, v[0:1] offset:28
.LBB614_16:
	s_or_b64 exec, exec, s[20:21]
	v_lshlrev_b64 v[0:1], 3, v[8:9]
	v_lshlrev_b32_e32 v39, 3, v49
	v_add_co_u32_e64 v4, s[20:21], v4, v0
	v_addc_co_u32_e64 v5, s[20:21], v5, v1, s[20:21]
	v_add_co_u32_e64 v36, s[20:21], v4, v39
	v_addc_co_u32_e64 v37, s[20:21], 0, v5, s[20:21]
	; wave barrier
                                        ; implicit-def: $vgpr4_vgpr5
	s_and_saveexec_b64 s[20:21], vcc
	s_cbranch_execnz .LBB614_243
; %bb.17:
	s_or_b64 exec, exec, s[20:21]
	s_and_saveexec_b64 s[20:21], s[4:5]
                                        ; implicit-def: $vgpr8_vgpr9
	s_cbranch_execnz .LBB614_244
.LBB614_18:
	s_or_b64 exec, exec, s[20:21]
                                        ; implicit-def: $vgpr18_vgpr19
	s_and_saveexec_b64 s[20:21], s[6:7]
	s_cbranch_execnz .LBB614_245
.LBB614_19:
	s_or_b64 exec, exec, s[20:21]
	s_and_saveexec_b64 s[20:21], s[18:19]
                                        ; implicit-def: $vgpr20_vgpr21
	s_cbranch_execnz .LBB614_246
.LBB614_20:
	s_or_b64 exec, exec, s[20:21]
                                        ; implicit-def: $vgpr26_vgpr27
	s_and_saveexec_b64 s[20:21], s[10:11]
	s_cbranch_execnz .LBB614_247
.LBB614_21:
	s_or_b64 exec, exec, s[20:21]
	s_and_saveexec_b64 s[20:21], s[26:27]
                                        ; implicit-def: $vgpr32_vgpr33
	s_cbranch_execnz .LBB614_248
.LBB614_22:
	s_or_b64 exec, exec, s[20:21]
                                        ; implicit-def: $vgpr22_vgpr23
	s_and_saveexec_b64 s[20:21], s[14:15]
	s_cbranch_execnz .LBB614_249
.LBB614_23:
	s_or_b64 exec, exec, s[20:21]
	s_and_saveexec_b64 s[20:21], s[16:17]
                                        ; implicit-def: $vgpr34_vgpr35
	s_cbranch_execz .LBB614_25
.LBB614_24:
	flat_load_dwordx2 v[34:35], v[36:37] offset:56
.LBB614_25:
	s_or_b64 exec, exec, s[20:21]
	v_cmp_ne_u32_e64 s[20:21], 0, v10
	v_cmp_ne_u32_e64 s[22:23], 32, v11
	s_or_b64 s[20:21], s[20:21], s[22:23]
	v_bfe_u32 v30, v31, 10, 10
	v_bfe_u32 v36, v31, 20, 10
	; wave barrier
	s_and_saveexec_b64 s[22:23], s[20:21]
	s_xor_b64 s[58:59], exec, s[22:23]
	s_cbranch_execz .LBB614_125
; %bb.26:
	s_load_dwordx2 s[20:21], s[8:9], 0x0
	v_mov_b32_e32 v37, 0
	v_and_b32_e32 v31, 0x3ff, v31
	v_lshlrev_b32_e64 v11, v11, -1
	v_lshlrev_b32_e64 v10, v10, -1
	s_waitcnt lgkmcnt(0)
	s_cmp_lt_u32 s13, s21
	s_cselect_b32 s21, 14, 20
	s_add_u32 s22, s8, s21
	s_addc_u32 s23, s9, 0
	s_cmp_lt_u32 s12, s20
	s_cselect_b32 s20, 12, 18
	s_add_u32 s20, s8, s20
	s_addc_u32 s21, s9, 0
	global_load_ushort v50, v37, s[22:23]
	global_load_ushort v51, v37, s[20:21]
	s_movk_i32 s20, 0x800
	s_waitcnt vmcnt(0)
	v_mad_u32_u24 v30, v36, v50, v30
	v_mul_lo_u32 v30, v30, v51
	v_xor_b32_e32 v50, v11, v10
	v_add_lshl_u32 v51, v30, v31, 3
	v_cmp_gt_u32_e64 s[20:21], s20, v51
	s_and_saveexec_b64 s[22:23], s[20:21]
	s_cbranch_execz .LBB614_84
; %bb.27:
	v_and_b32_e32 v10, v15, v50
	v_and_b32_e32 v11, v14, v50
	v_mov_b32_e32 v31, v9
	v_cmp_gt_u32_e64 s[20:21], v11, v10
	v_mov_b32_e32 v52, v15
	v_mov_b32_e32 v30, v8
	s_and_saveexec_b64 s[24:25], s[20:21]
; %bb.28:
	v_mov_b32_e32 v31, v5
	v_mov_b32_e32 v30, v4
	v_mov_b32_e32 v4, v8
	v_mov_b32_e32 v52, v14
	v_mov_b32_e32 v14, v15
	v_mov_b32_e32 v5, v9
; %bb.29:
	s_or_b64 exec, exec, s[24:25]
	v_and_b32_e32 v8, v29, v50
	v_and_b32_e32 v9, v28, v50
	v_mov_b32_e32 v37, v21
	v_cmp_gt_u32_e64 s[20:21], v9, v8
	v_mov_b32_e32 v15, v29
	v_mov_b32_e32 v36, v20
	s_and_saveexec_b64 s[24:25], s[20:21]
; %bb.30:
	v_mov_b32_e32 v37, v19
	v_mov_b32_e32 v36, v18
	v_mov_b32_e32 v18, v20
	v_mov_b32_e32 v15, v28
	v_mov_b32_e32 v28, v29
	v_mov_b32_e32 v19, v21
; %bb.31:
	s_or_b64 exec, exec, s[24:25]
	;; [unrolled: 16-line block ×3, first 2 shown]
	v_and_b32_e32 v8, v17, v50
	v_and_b32_e32 v9, v16, v50
	v_cmp_gt_u32_e64 s[20:21], v9, v8
	v_mov_b32_e32 v8, v34
	v_mov_b32_e32 v9, v35
	v_mov_b32_e32 v33, v16
	s_and_saveexec_b64 s[24:25], s[20:21]
; %bb.34:
	v_mov_b32_e32 v8, v22
	v_mov_b32_e32 v9, v23
	v_mov_b32_e32 v22, v34
	v_mov_b32_e32 v23, v35
	v_mov_b32_e32 v33, v17
	v_mov_b32_e32 v17, v16
; %bb.35:
	s_or_b64 exec, exec, s[24:25]
	v_and_b32_e32 v16, v28, v50
	v_and_b32_e32 v20, v52, v50
	v_cmp_gt_u32_e64 s[20:21], v20, v16
	v_mov_b32_e32 v21, v19
	v_mov_b32_e32 v32, v28
	;; [unrolled: 1-line block ×3, first 2 shown]
	s_and_saveexec_b64 s[24:25], s[20:21]
	s_xor_b64 s[20:21], exec, s[24:25]
; %bb.36:
	v_mov_b32_e32 v20, v30
	v_mov_b32_e32 v21, v31
	;; [unrolled: 1-line block ×6, first 2 shown]
; %bb.37:
	s_or_b64 exec, exec, s[20:21]
	v_and_b32_e32 v16, v53, v50
	v_and_b32_e32 v18, v15, v50
	v_mov_b32_e32 v29, v27
	v_cmp_gt_u32_e64 s[20:21], v18, v16
	v_mov_b32_e32 v18, v15
	v_mov_b32_e32 v28, v26
	s_and_saveexec_b64 s[24:25], s[20:21]
; %bb.38:
	v_mov_b32_e32 v28, v36
	v_mov_b32_e32 v29, v37
	v_mov_b32_e32 v37, v27
	v_mov_b32_e32 v18, v53
	v_mov_b32_e32 v36, v26
	v_mov_b32_e32 v53, v15
; %bb.39:
	s_or_b64 exec, exec, s[24:25]
	v_and_b32_e32 v15, v33, v50
	v_and_b32_e32 v16, v25, v50
	v_cmp_gt_u32_e64 s[20:21], v16, v15
	v_mov_b32_e32 v15, v22
	v_mov_b32_e32 v16, v23
	v_mov_b32_e32 v27, v25
	s_and_saveexec_b64 s[24:25], s[20:21]
; %bb.40:
	v_mov_b32_e32 v16, v11
	v_mov_b32_e32 v15, v10
	v_mov_b32_e32 v10, v22
	v_mov_b32_e32 v11, v23
	v_mov_b32_e32 v27, v33
	v_mov_b32_e32 v33, v25
; %bb.41:
	s_or_b64 exec, exec, s[24:25]
	v_and_b32_e32 v19, v52, v50
	v_and_b32_e32 v22, v14, v50
	v_cmp_gt_u32_e64 s[20:21], v22, v19
	v_mov_b32_e32 v22, v30
	;; [unrolled: 16-line block ×5, first 2 shown]
	v_mov_b32_e32 v10, v8
	v_mov_b32_e32 v35, v33
	s_and_saveexec_b64 s[24:25], s[20:21]
; %bb.48:
	v_mov_b32_e32 v10, v15
	v_mov_b32_e32 v11, v16
	;; [unrolled: 1-line block ×6, first 2 shown]
; %bb.49:
	s_or_b64 exec, exec, s[24:25]
	v_and_b32_e32 v8, v32, v50
	v_and_b32_e32 v9, v26, v50
	v_mov_b32_e32 v31, v21
	v_cmp_gt_u32_e64 s[20:21], v9, v8
	v_mov_b32_e32 v34, v32
	v_mov_b32_e32 v30, v20
	s_and_saveexec_b64 s[24:25], s[20:21]
; %bb.50:
	v_mov_b32_e32 v31, v23
	v_mov_b32_e32 v30, v22
	;; [unrolled: 1-line block ×6, first 2 shown]
; %bb.51:
	s_or_b64 exec, exec, s[24:25]
	v_and_b32_e32 v8, v36, v50
	v_and_b32_e32 v9, v52, v50
	v_mov_b32_e32 v20, v28
	v_cmp_gt_u32_e64 s[20:21], v9, v8
	v_mov_b32_e32 v37, v52
	v_mov_b32_e32 v21, v29
	s_and_saveexec_b64 s[24:25], s[20:21]
; %bb.52:
	v_mov_b32_e32 v20, v24
	v_mov_b32_e32 v21, v25
	;; [unrolled: 1-line block ×6, first 2 shown]
; %bb.53:
	s_or_b64 exec, exec, s[24:25]
	v_and_b32_e32 v8, v35, v50
	v_and_b32_e32 v9, v27, v50
	v_cmp_gt_u32_e64 s[20:21], v9, v8
	v_mov_b32_e32 v8, v15
	v_mov_b32_e32 v9, v16
	v_mov_b32_e32 v53, v27
	s_and_saveexec_b64 s[24:25], s[20:21]
; %bb.54:
	v_mov_b32_e32 v8, v18
	v_mov_b32_e32 v9, v19
	v_mov_b32_e32 v19, v16
	v_mov_b32_e32 v18, v15
	v_mov_b32_e32 v53, v35
	v_mov_b32_e32 v35, v27
; %bb.55:
	s_or_b64 exec, exec, s[24:25]
	v_and_b32_e32 v15, v26, v50
	v_and_b32_e32 v16, v14, v50
	v_mov_b32_e32 v29, v23
	v_cmp_gt_u32_e64 s[20:21], v16, v15
	v_mov_b32_e32 v16, v26
	v_mov_b32_e32 v28, v22
	s_and_saveexec_b64 s[24:25], s[20:21]
; %bb.56:
	v_mov_b32_e32 v29, v5
	v_mov_b32_e32 v28, v4
	v_mov_b32_e32 v4, v22
	v_mov_b32_e32 v16, v14
	v_mov_b32_e32 v14, v26
	v_mov_b32_e32 v5, v23
; %bb.57:
	s_or_b64 exec, exec, s[24:25]
	v_and_b32_e32 v15, v37, v50
	v_and_b32_e32 v22, v34, v50
	v_mov_b32_e32 v33, v25
	v_cmp_gt_u32_e64 s[20:21], v22, v15
	v_mov_b32_e32 v15, v37
	v_mov_b32_e32 v32, v24
	s_and_saveexec_b64 s[24:25], s[20:21]
; %bb.58:
	v_mov_b32_e32 v33, v31
	v_mov_b32_e32 v32, v30
	v_mov_b32_e32 v31, v25
	v_mov_b32_e32 v15, v34
	v_mov_b32_e32 v34, v37
	v_mov_b32_e32 v30, v24
; %bb.59:
	s_or_b64 exec, exec, s[24:25]
	v_and_b32_e32 v22, v53, v50
	v_and_b32_e32 v23, v36, v50
	v_mov_b32_e32 v27, v19
	v_cmp_gt_u32_e64 s[20:21], v23, v22
	v_mov_b32_e32 v26, v18
	v_mov_b32_e32 v55, v36
	s_and_saveexec_b64 s[24:25], s[20:21]
; %bb.60:
	v_mov_b32_e32 v27, v21
	v_mov_b32_e32 v26, v20
	;; [unrolled: 1-line block ×6, first 2 shown]
; %bb.61:
	s_or_b64 exec, exec, s[24:25]
	v_and_b32_e32 v18, v17, v50
	v_and_b32_e32 v19, v35, v50
	v_cmp_gt_u32_e64 s[20:21], v19, v18
	v_mov_b32_e32 v19, v11
	v_mov_b32_e32 v18, v10
	v_mov_b32_e32 v54, v35
	s_and_saveexec_b64 s[24:25], s[20:21]
; %bb.62:
	v_mov_b32_e32 v19, v9
	v_mov_b32_e32 v18, v8
	;; [unrolled: 1-line block ×6, first 2 shown]
; %bb.63:
	s_or_b64 exec, exec, s[24:25]
	v_and_b32_e32 v10, v34, v50
	v_and_b32_e32 v11, v16, v50
	v_mov_b32_e32 v37, v31
	v_cmp_gt_u32_e64 s[20:21], v11, v10
	v_mov_b32_e32 v52, v34
	v_mov_b32_e32 v36, v30
	s_and_saveexec_b64 s[24:25], s[20:21]
; %bb.64:
	v_mov_b32_e32 v37, v29
	v_mov_b32_e32 v36, v28
	;; [unrolled: 1-line block ×6, first 2 shown]
; %bb.65:
	s_or_b64 exec, exec, s[24:25]
	v_and_b32_e32 v10, v55, v50
	v_and_b32_e32 v11, v15, v50
	v_cmp_gt_u32_e64 s[20:21], v11, v10
	v_mov_b32_e32 v10, v20
	v_mov_b32_e32 v24, v15
	;; [unrolled: 1-line block ×3, first 2 shown]
	s_and_saveexec_b64 s[24:25], s[20:21]
; %bb.66:
	v_mov_b32_e32 v10, v32
	v_mov_b32_e32 v11, v33
	;; [unrolled: 1-line block ×6, first 2 shown]
; %bb.67:
	s_or_b64 exec, exec, s[24:25]
	v_and_b32_e32 v15, v54, v50
	v_and_b32_e32 v20, v53, v50
	v_mov_b32_e32 v23, v9
	v_cmp_gt_u32_e64 s[20:21], v20, v15
	v_mov_b32_e32 v22, v8
	v_mov_b32_e32 v25, v53
	s_and_saveexec_b64 s[24:25], s[20:21]
; %bb.68:
	v_mov_b32_e32 v22, v26
	v_mov_b32_e32 v23, v27
	;; [unrolled: 1-line block ×6, first 2 shown]
; %bb.69:
	s_or_b64 exec, exec, s[24:25]
	v_and_b32_e32 v8, v16, v50
	v_and_b32_e32 v9, v14, v50
	v_cmp_gt_u32_e64 s[20:21], v9, v8
	v_mov_b32_e32 v8, v28
	v_mov_b32_e32 v15, v16
	;; [unrolled: 1-line block ×3, first 2 shown]
	s_and_saveexec_b64 s[24:25], s[20:21]
; %bb.70:
	v_mov_b32_e32 v9, v5
	v_mov_b32_e32 v8, v4
	;; [unrolled: 1-line block ×6, first 2 shown]
; %bb.71:
	s_or_b64 exec, exec, s[24:25]
	v_and_b32_e32 v16, v24, v50
	v_and_b32_e32 v20, v52, v50
	v_cmp_gt_u32_e64 s[20:21], v20, v16
	v_mov_b32_e32 v20, v32
	v_mov_b32_e32 v16, v24
	;; [unrolled: 1-line block ×3, first 2 shown]
	s_and_saveexec_b64 s[24:25], s[20:21]
; %bb.72:
	v_mov_b32_e32 v20, v36
	v_mov_b32_e32 v21, v37
	;; [unrolled: 1-line block ×6, first 2 shown]
; %bb.73:
	s_or_b64 exec, exec, s[24:25]
	v_and_b32_e32 v24, v25, v50
	v_and_b32_e32 v28, v55, v50
	v_mov_b32_e32 v31, v27
	v_cmp_gt_u32_e64 s[20:21], v28, v24
	v_mov_b32_e32 v30, v26
	v_mov_b32_e32 v24, v55
	s_and_saveexec_b64 s[24:25], s[20:21]
; %bb.74:
	v_mov_b32_e32 v31, v11
	v_mov_b32_e32 v30, v10
	;; [unrolled: 1-line block ×6, first 2 shown]
; %bb.75:
	s_or_b64 exec, exec, s[24:25]
	v_and_b32_e32 v26, v17, v50
	v_and_b32_e32 v27, v54, v50
	v_mov_b32_e32 v35, v19
	v_cmp_gt_u32_e64 s[20:21], v27, v26
	v_mov_b32_e32 v34, v18
	v_mov_b32_e32 v53, v54
	s_and_saveexec_b64 s[24:25], s[20:21]
; %bb.76:
	v_mov_b32_e32 v35, v23
	v_mov_b32_e32 v34, v22
	v_mov_b32_e32 v23, v19
	v_mov_b32_e32 v22, v18
	v_mov_b32_e32 v53, v17
	v_mov_b32_e32 v17, v54
; %bb.77:
	s_or_b64 exec, exec, s[24:25]
	v_and_b32_e32 v18, v52, v50
	v_and_b32_e32 v19, v15, v50
	v_cmp_gt_u32_e64 s[20:21], v19, v18
	v_mov_b32_e32 v18, v36
	v_mov_b32_e32 v28, v52
	;; [unrolled: 1-line block ×3, first 2 shown]
	s_and_saveexec_b64 s[24:25], s[20:21]
; %bb.78:
	v_mov_b32_e32 v19, v9
	v_mov_b32_e32 v18, v8
	;; [unrolled: 1-line block ×6, first 2 shown]
; %bb.79:
	s_or_b64 exec, exec, s[24:25]
	v_and_b32_e32 v26, v24, v50
	v_and_b32_e32 v27, v16, v50
	v_cmp_gt_u32_e64 s[20:21], v27, v26
	v_mov_b32_e32 v27, v11
	v_mov_b32_e32 v29, v16
	;; [unrolled: 1-line block ×3, first 2 shown]
	s_and_saveexec_b64 s[24:25], s[20:21]
; %bb.80:
	v_mov_b32_e32 v27, v21
	v_mov_b32_e32 v26, v20
	;; [unrolled: 1-line block ×6, first 2 shown]
; %bb.81:
	s_or_b64 exec, exec, s[24:25]
	v_and_b32_e32 v10, v53, v50
	v_and_b32_e32 v11, v25, v50
	v_mov_b32_e32 v33, v31
	v_cmp_gt_u32_e64 s[20:21], v11, v10
	v_mov_b32_e32 v16, v53
	v_mov_b32_e32 v32, v30
	s_and_saveexec_b64 s[24:25], s[20:21]
; %bb.82:
	v_mov_b32_e32 v33, v23
	v_mov_b32_e32 v32, v22
	;; [unrolled: 1-line block ×6, first 2 shown]
; %bb.83:
	s_or_b64 exec, exec, s[24:25]
.LBB614_84:
	s_or_b64 exec, exec, s[22:23]
	v_and_b32_e32 v10, 0xfffffe00, v51
	s_movk_i32 s20, 0x800
	v_lshlrev_b32_e32 v11, 2, v10
	v_sub_u32_e64 v30, s20, v10 clamp
	v_add_u32_e32 v10, v11, v11
	v_lshl_add_u32 v36, v48, 3, v10
	v_add_u32_e32 v37, 0x2000, v36
	v_lshl_add_u32 v31, v48, 2, v11
	ds_write2_b64 v37, v[4:5], v[8:9] offset1:1
	v_add_u32_e32 v37, 0x2010, v36
	ds_write2_b64 v31, v[14:15], v[28:29] offset1:1
	ds_write2_b64 v37, v[18:19], v[20:21] offset1:1
	v_add_u32_e32 v37, 0x2020, v36
	ds_write2_b64 v37, v[26:27], v[32:33] offset1:1
	v_add_u32_e32 v37, 0x2030, v36
	ds_write2_b64 v31, v[24:25], v[16:17] offset0:2 offset1:3
	ds_write2_b64 v37, v[22:23], v[34:35] offset1:1
	v_or_b32_e32 v37, 8, v48
	v_min_u32_e32 v37, v30, v37
	v_add_u32_e32 v51, 8, v37
	v_and_b32_e32 v54, 0x3f0, v48
	v_min_u32_e32 v51, v30, v51
	v_and_b32_e32 v52, 8, v48
	v_min_u32_e32 v55, v30, v52
	v_sub_u32_e32 v64, v37, v54
	v_sub_u32_e32 v53, v51, v37
	v_sub_u32_e64 v53, v55, v53 clamp
	v_min_u32_e32 v64, v55, v64
	v_lshl_add_u32 v52, v54, 2, v11
	v_cmp_lt_u32_e64 s[20:21], v53, v64
	; wave barrier
	s_and_saveexec_b64 s[22:23], s[20:21]
	s_cbranch_execz .LBB614_88
; %bb.85:
	v_lshlrev_b32_e32 v65, 2, v37
	v_lshlrev_b32_e32 v66, 2, v55
	v_add3_u32 v65, v11, v65, v66
	s_mov_b64 s[24:25], 0
.LBB614_86:                             ; =>This Inner Loop Header: Depth=1
	v_add_u32_e32 v66, v64, v53
	v_lshrrev_b32_e32 v66, 1, v66
	v_not_b32_e32 v67, v66
	v_lshl_add_u32 v68, v66, 2, v52
	v_lshl_add_u32 v67, v67, 2, v65
	ds_read_b32 v68, v68
	ds_read_b32 v67, v67
	v_add_u32_e32 v69, 1, v66
	s_waitcnt lgkmcnt(1)
	v_and_b32_e32 v68, v68, v50
	s_waitcnt lgkmcnt(0)
	v_and_b32_e32 v67, v67, v50
	v_cmp_gt_u32_e64 s[20:21], v68, v67
	v_cndmask_b32_e64 v64, v64, v66, s[20:21]
	v_cndmask_b32_e64 v53, v69, v53, s[20:21]
	v_cmp_ge_u32_e64 s[20:21], v53, v64
	s_or_b64 s[24:25], s[20:21], s[24:25]
	s_andn2_b64 exec, exec, s[24:25]
	s_cbranch_execnz .LBB614_86
; %bb.87:
	s_or_b64 exec, exec, s[24:25]
.LBB614_88:
	s_or_b64 exec, exec, s[22:23]
	v_add_u32_e32 v55, v37, v55
	v_add_u32_e32 v54, v53, v54
	v_sub_u32_e32 v55, v55, v53
	v_cmp_le_u32_e64 s[20:21], v54, v37
	v_cmp_le_u32_e64 s[22:23], v55, v51
	s_or_b64 s[20:21], s[20:21], s[22:23]
	s_and_saveexec_b64 s[60:61], s[20:21]
	s_cbranch_execz .LBB614_94
; %bb.89:
	v_cmp_lt_u32_e64 s[20:21], v54, v37
                                        ; implicit-def: $vgpr14
	s_and_saveexec_b64 s[22:23], s[20:21]
; %bb.90:
	v_lshl_add_u32 v4, v53, 2, v52
	ds_read_b32 v14, v4
; %bb.91:
	s_or_b64 exec, exec, s[22:23]
	v_cmp_ge_u32_e64 s[22:23], v55, v51
	v_cmp_lt_u32_e64 s[24:25], v55, v51
                                        ; implicit-def: $vgpr15
	s_and_saveexec_b64 s[28:29], s[24:25]
; %bb.92:
	v_lshl_add_u32 v4, v55, 2, v11
	ds_read_b32 v15, v4
; %bb.93:
	s_or_b64 exec, exec, s[28:29]
	s_waitcnt lgkmcnt(0)
	v_and_b32_e32 v4, v15, v50
	v_and_b32_e32 v5, v14, v50
	v_cmp_le_u32_e64 s[24:25], v5, v4
	s_and_b64 s[20:21], s[20:21], s[24:25]
	s_or_b64 s[20:21], s[22:23], s[20:21]
	v_cndmask_b32_e64 v4, v55, v54, s[20:21]
	v_cndmask_b32_e64 v5, v51, v37, s[20:21]
	v_add_u32_e32 v8, 1, v4
	v_add_u32_e32 v5, -1, v5
	v_min_u32_e32 v5, v8, v5
	v_lshl_add_u32 v5, v5, 2, v11
	ds_read_b32 v5, v5
	v_lshl_add_u32 v4, v4, 3, v10
	s_waitcnt lgkmcnt(0)
	v_cndmask_b32_e64 v16, v5, v15, s[20:21]
	v_cndmask_b32_e64 v17, v14, v5, s[20:21]
	;; [unrolled: 1-line block ×4, first 2 shown]
	v_and_b32_e32 v9, v16, v50
	v_and_b32_e32 v18, v17, v50
	v_cmp_lt_u32_e64 s[24:25], v8, v37
	v_cmp_le_u32_e64 s[28:29], v18, v9
	v_cmp_ge_u32_e64 s[22:23], v5, v51
	s_and_b64 s[24:25], s[24:25], s[28:29]
	s_or_b64 s[22:23], s[22:23], s[24:25]
	v_cndmask_b32_e64 v9, v5, v8, s[22:23]
	v_cndmask_b32_e64 v18, v51, v37, s[22:23]
	v_add_u32_e32 v19, 1, v9
	v_add_u32_e32 v18, -1, v18
	v_min_u32_e32 v18, v19, v18
	v_lshl_add_u32 v18, v18, 2, v11
	ds_read_b32 v18, v18
	v_cndmask_b32_e64 v5, v19, v5, s[22:23]
	v_cndmask_b32_e64 v8, v8, v19, s[22:23]
	v_cmp_lt_u32_e64 s[28:29], v8, v37
	v_cmp_ge_u32_e64 s[24:25], v5, v51
	s_waitcnt lgkmcnt(0)
	v_cndmask_b32_e64 v24, v18, v16, s[22:23]
	v_cndmask_b32_e64 v25, v17, v18, s[22:23]
	v_and_b32_e32 v18, v24, v50
	v_and_b32_e32 v19, v25, v50
	v_cmp_le_u32_e64 s[40:41], v19, v18
	s_and_b64 s[28:29], s[28:29], s[40:41]
	s_or_b64 s[24:25], s[24:25], s[28:29]
	v_cndmask_b32_e64 v18, v5, v8, s[24:25]
	v_cndmask_b32_e64 v19, v51, v37, s[24:25]
	v_add_u32_e32 v20, 1, v18
	v_add_u32_e32 v19, -1, v19
	v_min_u32_e32 v19, v20, v19
	v_lshl_add_u32 v19, v19, 2, v11
	ds_read_b32 v19, v19
	v_lshl_add_u32 v18, v18, 3, v10
	v_cndmask_b32_e64 v14, v15, v14, s[20:21]
	v_cndmask_b32_e64 v15, v16, v17, s[22:23]
	s_waitcnt lgkmcnt(0)
	v_cndmask_b32_e64 v29, v19, v24, s[24:25]
	v_cndmask_b32_e64 v34, v25, v19, s[24:25]
	;; [unrolled: 1-line block ×4, first 2 shown]
	v_and_b32_e32 v5, v29, v50
	v_and_b32_e32 v8, v34, v50
	v_cmp_lt_u32_e64 s[40:41], v20, v37
	v_cmp_le_u32_e64 s[42:43], v8, v5
	v_cmp_ge_u32_e64 s[28:29], v19, v51
	s_and_b64 s[40:41], s[40:41], s[42:43]
	s_or_b64 s[28:29], s[28:29], s[40:41]
	v_cndmask_b32_e64 v21, v19, v20, s[28:29]
	v_cndmask_b32_e64 v5, v51, v37, s[28:29]
	v_add_u32_e32 v22, 1, v21
	v_add_u32_e32 v5, -1, v5
	v_min_u32_e32 v5, v22, v5
	v_lshl_add_u32 v5, v5, 2, v11
	ds_read_b32 v23, v5
	v_lshl_add_u32 v8, v9, 3, v10
	ds_read_b64 v[4:5], v4 offset:8192
	ds_read_b64 v[8:9], v8 offset:8192
	s_waitcnt lgkmcnt(2)
	v_cndmask_b32_e64 v52, v23, v29, s[28:29]
	v_cndmask_b32_e64 v53, v34, v23, s[28:29]
	;; [unrolled: 1-line block ×4, first 2 shown]
	v_and_b32_e32 v19, v52, v50
	v_and_b32_e32 v20, v53, v50
	v_cmp_lt_u32_e64 s[42:43], v22, v37
	v_cmp_le_u32_e64 s[44:45], v20, v19
	v_cmp_ge_u32_e64 s[40:41], v23, v51
	s_and_b64 s[42:43], s[42:43], s[44:45]
	s_or_b64 s[40:41], s[40:41], s[42:43]
	v_cndmask_b32_e64 v26, v23, v22, s[40:41]
	v_cndmask_b32_e64 v19, v51, v37, s[40:41]
	v_add_u32_e32 v27, 1, v26
	v_add_u32_e32 v19, -1, v19
	v_min_u32_e32 v19, v27, v19
	v_lshl_add_u32 v19, v19, 2, v11
	ds_read_b32 v28, v19
	v_cndmask_b32_e64 v23, v27, v23, s[40:41]
	v_cndmask_b32_e64 v22, v22, v27, s[40:41]
	v_cmp_lt_u32_e64 s[44:45], v22, v37
	v_cmp_ge_u32_e64 s[42:43], v23, v51
	s_waitcnt lgkmcnt(0)
	v_cndmask_b32_e64 v54, v28, v52, s[40:41]
	v_cndmask_b32_e64 v55, v53, v28, s[40:41]
	v_and_b32_e32 v27, v54, v50
	v_and_b32_e32 v28, v55, v50
	v_cmp_le_u32_e64 s[46:47], v28, v27
	s_and_b64 s[44:45], s[44:45], s[46:47]
	s_or_b64 s[42:43], s[42:43], s[44:45]
	v_cndmask_b32_e64 v28, v23, v22, s[42:43]
	v_cndmask_b32_e64 v27, v51, v37, s[42:43]
	v_add_u32_e32 v35, 1, v28
	v_add_u32_e32 v27, -1, v27
	v_min_u32_e32 v27, v35, v27
	v_lshl_add_u32 v27, v27, 2, v11
	ds_read_b32 v64, v27
	v_cndmask_b32_e64 v66, v35, v23, s[42:43]
	v_cndmask_b32_e64 v35, v22, v35, s[42:43]
	v_cmp_lt_u32_e64 s[46:47], v35, v37
	v_cmp_ge_u32_e64 s[44:45], v66, v51
	s_waitcnt lgkmcnt(0)
	v_cndmask_b32_e64 v65, v64, v54, s[42:43]
	v_cndmask_b32_e64 v64, v55, v64, s[42:43]
	v_and_b32_e32 v22, v65, v50
	v_and_b32_e32 v23, v64, v50
	v_cmp_le_u32_e64 s[56:57], v23, v22
	s_and_b64 s[46:47], s[46:47], s[56:57]
	s_or_b64 s[44:45], s[44:45], s[46:47]
	v_lshl_add_u32 v26, v26, 3, v10
	v_lshl_add_u32 v28, v28, 3, v10
	v_cndmask_b32_e64 v22, v66, v35, s[44:45]
	v_cndmask_b32_e64 v23, v51, v37, s[44:45]
	ds_read_b64 v[26:27], v26 offset:8192
	ds_read_b64 v[32:33], v28 offset:8192
	v_lshl_add_u32 v28, v22, 3, v10
	v_add_u32_e32 v67, 1, v22
	v_add_u32_e32 v22, -1, v23
	v_min_u32_e32 v22, v67, v22
	v_lshl_add_u32 v20, v21, 3, v10
	v_lshl_add_u32 v68, v22, 2, v11
	ds_read_b64 v[18:19], v18 offset:8192
	ds_read_b64 v[20:21], v20 offset:8192
	;; [unrolled: 1-line block ×3, first 2 shown]
	ds_read_b32 v68, v68
	v_cndmask_b32_e64 v28, v24, v25, s[24:25]
	v_cndmask_b32_e64 v29, v29, v34, s[28:29]
	v_cndmask_b32_e64 v24, v35, v67, s[44:45]
	v_cndmask_b32_e64 v16, v67, v66, s[44:45]
	s_waitcnt lgkmcnt(0)
	v_cndmask_b32_e64 v17, v68, v65, s[44:45]
	v_cndmask_b32_e64 v68, v64, v68, s[44:45]
	v_and_b32_e32 v25, v17, v50
	v_and_b32_e32 v34, v68, v50
	v_cmp_lt_u32_e64 s[22:23], v24, v37
	v_cmp_le_u32_e64 s[24:25], v34, v25
	v_cmp_ge_u32_e64 s[20:21], v16, v51
	s_and_b64 s[22:23], s[22:23], s[24:25]
	s_or_b64 s[20:21], s[20:21], s[22:23]
	v_cndmask_b32_e64 v16, v16, v24, s[20:21]
	v_lshl_add_u32 v16, v16, 3, v10
	ds_read_b64 v[34:35], v16 offset:8192
	v_cndmask_b32_e64 v24, v52, v53, s[40:41]
	v_cndmask_b32_e64 v25, v54, v55, s[42:43]
	;; [unrolled: 1-line block ×4, first 2 shown]
.LBB614_94:
	s_or_b64 exec, exec, s[60:61]
	v_add_u32_e32 v37, 0x2000, v36
	; wave barrier
	ds_write2_b64 v37, v[4:5], v[8:9] offset1:1
	v_add_u32_e32 v37, 0x2010, v36
	ds_write2_b64 v31, v[14:15], v[28:29] offset1:1
	ds_write2_b64 v37, v[18:19], v[20:21] offset1:1
	v_add_u32_e32 v37, 0x2020, v36
	ds_write2_b64 v37, v[26:27], v[32:33] offset1:1
	v_add_u32_e32 v37, 0x2030, v36
	v_and_b32_e32 v54, 0x3e0, v48
	ds_write2_b64 v31, v[24:25], v[16:17] offset0:2 offset1:3
	s_waitcnt lgkmcnt(5)
	ds_write2_b64 v37, v[22:23], v[34:35] offset1:1
	v_or_b32_e32 v37, 16, v54
	v_min_u32_e32 v37, v30, v37
	v_add_u32_e32 v51, 16, v37
	v_min_u32_e32 v51, v30, v51
	v_and_b32_e32 v52, 24, v48
	v_min_u32_e32 v55, v30, v52
	v_sub_u32_e32 v64, v37, v54
	v_sub_u32_e32 v53, v51, v37
	v_sub_u32_e64 v53, v55, v53 clamp
	v_min_u32_e32 v64, v55, v64
	v_lshl_add_u32 v52, v54, 2, v11
	v_cmp_lt_u32_e64 s[20:21], v53, v64
	; wave barrier
	s_and_saveexec_b64 s[22:23], s[20:21]
	s_cbranch_execz .LBB614_98
; %bb.95:
	v_lshlrev_b32_e32 v65, 2, v37
	v_lshlrev_b32_e32 v66, 2, v55
	v_add3_u32 v65, v11, v65, v66
	s_mov_b64 s[24:25], 0
.LBB614_96:                             ; =>This Inner Loop Header: Depth=1
	v_add_u32_e32 v66, v64, v53
	v_lshrrev_b32_e32 v66, 1, v66
	v_not_b32_e32 v67, v66
	v_lshl_add_u32 v68, v66, 2, v52
	v_lshl_add_u32 v67, v67, 2, v65
	ds_read_b32 v68, v68
	ds_read_b32 v67, v67
	v_add_u32_e32 v69, 1, v66
	s_waitcnt lgkmcnt(1)
	v_and_b32_e32 v68, v68, v50
	s_waitcnt lgkmcnt(0)
	v_and_b32_e32 v67, v67, v50
	v_cmp_gt_u32_e64 s[20:21], v68, v67
	v_cndmask_b32_e64 v64, v64, v66, s[20:21]
	v_cndmask_b32_e64 v53, v69, v53, s[20:21]
	v_cmp_ge_u32_e64 s[20:21], v53, v64
	s_or_b64 s[24:25], s[20:21], s[24:25]
	s_andn2_b64 exec, exec, s[24:25]
	s_cbranch_execnz .LBB614_96
; %bb.97:
	s_or_b64 exec, exec, s[24:25]
.LBB614_98:
	s_or_b64 exec, exec, s[22:23]
	v_add_u32_e32 v55, v37, v55
	v_add_u32_e32 v54, v53, v54
	v_sub_u32_e32 v55, v55, v53
	v_cmp_le_u32_e64 s[20:21], v54, v37
	v_cmp_le_u32_e64 s[22:23], v55, v51
	s_or_b64 s[20:21], s[20:21], s[22:23]
	s_and_saveexec_b64 s[60:61], s[20:21]
	s_cbranch_execz .LBB614_104
; %bb.99:
	v_cmp_lt_u32_e64 s[20:21], v54, v37
                                        ; implicit-def: $vgpr14
	s_and_saveexec_b64 s[22:23], s[20:21]
; %bb.100:
	v_lshl_add_u32 v4, v53, 2, v52
	ds_read_b32 v14, v4
; %bb.101:
	s_or_b64 exec, exec, s[22:23]
	v_cmp_ge_u32_e64 s[22:23], v55, v51
	v_cmp_lt_u32_e64 s[24:25], v55, v51
                                        ; implicit-def: $vgpr15
	s_and_saveexec_b64 s[28:29], s[24:25]
; %bb.102:
	v_lshl_add_u32 v4, v55, 2, v11
	ds_read_b32 v15, v4
; %bb.103:
	s_or_b64 exec, exec, s[28:29]
	s_waitcnt lgkmcnt(0)
	v_and_b32_e32 v4, v15, v50
	v_and_b32_e32 v5, v14, v50
	v_cmp_le_u32_e64 s[24:25], v5, v4
	s_and_b64 s[20:21], s[20:21], s[24:25]
	s_or_b64 s[20:21], s[22:23], s[20:21]
	v_cndmask_b32_e64 v4, v55, v54, s[20:21]
	v_cndmask_b32_e64 v5, v51, v37, s[20:21]
	v_add_u32_e32 v8, 1, v4
	v_add_u32_e32 v5, -1, v5
	v_min_u32_e32 v5, v8, v5
	v_lshl_add_u32 v5, v5, 2, v11
	ds_read_b32 v5, v5
	v_lshl_add_u32 v4, v4, 3, v10
	s_waitcnt lgkmcnt(0)
	v_cndmask_b32_e64 v16, v5, v15, s[20:21]
	v_cndmask_b32_e64 v17, v14, v5, s[20:21]
	;; [unrolled: 1-line block ×4, first 2 shown]
	v_and_b32_e32 v9, v16, v50
	v_and_b32_e32 v18, v17, v50
	v_cmp_lt_u32_e64 s[24:25], v8, v37
	v_cmp_le_u32_e64 s[28:29], v18, v9
	v_cmp_ge_u32_e64 s[22:23], v5, v51
	s_and_b64 s[24:25], s[24:25], s[28:29]
	s_or_b64 s[22:23], s[22:23], s[24:25]
	v_cndmask_b32_e64 v9, v5, v8, s[22:23]
	v_cndmask_b32_e64 v18, v51, v37, s[22:23]
	v_add_u32_e32 v19, 1, v9
	v_add_u32_e32 v18, -1, v18
	v_min_u32_e32 v18, v19, v18
	v_lshl_add_u32 v18, v18, 2, v11
	ds_read_b32 v18, v18
	v_cndmask_b32_e64 v5, v19, v5, s[22:23]
	v_cndmask_b32_e64 v8, v8, v19, s[22:23]
	v_cmp_lt_u32_e64 s[28:29], v8, v37
	v_cmp_ge_u32_e64 s[24:25], v5, v51
	s_waitcnt lgkmcnt(0)
	v_cndmask_b32_e64 v24, v18, v16, s[22:23]
	v_cndmask_b32_e64 v25, v17, v18, s[22:23]
	v_and_b32_e32 v18, v24, v50
	v_and_b32_e32 v19, v25, v50
	v_cmp_le_u32_e64 s[40:41], v19, v18
	s_and_b64 s[28:29], s[28:29], s[40:41]
	s_or_b64 s[24:25], s[24:25], s[28:29]
	v_cndmask_b32_e64 v18, v5, v8, s[24:25]
	v_cndmask_b32_e64 v19, v51, v37, s[24:25]
	v_add_u32_e32 v20, 1, v18
	v_add_u32_e32 v19, -1, v19
	v_min_u32_e32 v19, v20, v19
	v_lshl_add_u32 v19, v19, 2, v11
	ds_read_b32 v19, v19
	v_lshl_add_u32 v18, v18, 3, v10
	v_cndmask_b32_e64 v14, v15, v14, s[20:21]
	v_cndmask_b32_e64 v15, v16, v17, s[22:23]
	s_waitcnt lgkmcnt(0)
	v_cndmask_b32_e64 v29, v19, v24, s[24:25]
	v_cndmask_b32_e64 v34, v25, v19, s[24:25]
	;; [unrolled: 1-line block ×4, first 2 shown]
	v_and_b32_e32 v5, v29, v50
	v_and_b32_e32 v8, v34, v50
	v_cmp_lt_u32_e64 s[40:41], v20, v37
	v_cmp_le_u32_e64 s[42:43], v8, v5
	v_cmp_ge_u32_e64 s[28:29], v19, v51
	s_and_b64 s[40:41], s[40:41], s[42:43]
	s_or_b64 s[28:29], s[28:29], s[40:41]
	v_cndmask_b32_e64 v21, v19, v20, s[28:29]
	v_cndmask_b32_e64 v5, v51, v37, s[28:29]
	v_add_u32_e32 v22, 1, v21
	v_add_u32_e32 v5, -1, v5
	v_min_u32_e32 v5, v22, v5
	v_lshl_add_u32 v5, v5, 2, v11
	ds_read_b32 v23, v5
	v_lshl_add_u32 v8, v9, 3, v10
	ds_read_b64 v[4:5], v4 offset:8192
	ds_read_b64 v[8:9], v8 offset:8192
	s_waitcnt lgkmcnt(2)
	v_cndmask_b32_e64 v52, v23, v29, s[28:29]
	v_cndmask_b32_e64 v53, v34, v23, s[28:29]
	;; [unrolled: 1-line block ×4, first 2 shown]
	v_and_b32_e32 v19, v52, v50
	v_and_b32_e32 v20, v53, v50
	v_cmp_lt_u32_e64 s[42:43], v22, v37
	v_cmp_le_u32_e64 s[44:45], v20, v19
	v_cmp_ge_u32_e64 s[40:41], v23, v51
	s_and_b64 s[42:43], s[42:43], s[44:45]
	s_or_b64 s[40:41], s[40:41], s[42:43]
	v_cndmask_b32_e64 v26, v23, v22, s[40:41]
	v_cndmask_b32_e64 v19, v51, v37, s[40:41]
	v_add_u32_e32 v27, 1, v26
	v_add_u32_e32 v19, -1, v19
	v_min_u32_e32 v19, v27, v19
	v_lshl_add_u32 v19, v19, 2, v11
	ds_read_b32 v28, v19
	v_cndmask_b32_e64 v23, v27, v23, s[40:41]
	v_cndmask_b32_e64 v22, v22, v27, s[40:41]
	v_cmp_lt_u32_e64 s[44:45], v22, v37
	v_cmp_ge_u32_e64 s[42:43], v23, v51
	s_waitcnt lgkmcnt(0)
	v_cndmask_b32_e64 v54, v28, v52, s[40:41]
	v_cndmask_b32_e64 v55, v53, v28, s[40:41]
	v_and_b32_e32 v27, v54, v50
	v_and_b32_e32 v28, v55, v50
	v_cmp_le_u32_e64 s[46:47], v28, v27
	s_and_b64 s[44:45], s[44:45], s[46:47]
	s_or_b64 s[42:43], s[42:43], s[44:45]
	v_cndmask_b32_e64 v28, v23, v22, s[42:43]
	v_cndmask_b32_e64 v27, v51, v37, s[42:43]
	v_add_u32_e32 v35, 1, v28
	v_add_u32_e32 v27, -1, v27
	v_min_u32_e32 v27, v35, v27
	v_lshl_add_u32 v27, v27, 2, v11
	ds_read_b32 v64, v27
	v_cndmask_b32_e64 v66, v35, v23, s[42:43]
	v_cndmask_b32_e64 v35, v22, v35, s[42:43]
	v_cmp_lt_u32_e64 s[46:47], v35, v37
	v_cmp_ge_u32_e64 s[44:45], v66, v51
	s_waitcnt lgkmcnt(0)
	v_cndmask_b32_e64 v65, v64, v54, s[42:43]
	v_cndmask_b32_e64 v64, v55, v64, s[42:43]
	v_and_b32_e32 v22, v65, v50
	v_and_b32_e32 v23, v64, v50
	v_cmp_le_u32_e64 s[56:57], v23, v22
	s_and_b64 s[46:47], s[46:47], s[56:57]
	s_or_b64 s[44:45], s[44:45], s[46:47]
	v_lshl_add_u32 v26, v26, 3, v10
	v_lshl_add_u32 v28, v28, 3, v10
	v_cndmask_b32_e64 v22, v66, v35, s[44:45]
	v_cndmask_b32_e64 v23, v51, v37, s[44:45]
	ds_read_b64 v[26:27], v26 offset:8192
	ds_read_b64 v[32:33], v28 offset:8192
	v_lshl_add_u32 v28, v22, 3, v10
	v_add_u32_e32 v67, 1, v22
	v_add_u32_e32 v22, -1, v23
	v_min_u32_e32 v22, v67, v22
	v_lshl_add_u32 v20, v21, 3, v10
	v_lshl_add_u32 v68, v22, 2, v11
	ds_read_b64 v[18:19], v18 offset:8192
	ds_read_b64 v[20:21], v20 offset:8192
	ds_read_b64 v[22:23], v28 offset:8192
	ds_read_b32 v68, v68
	v_cndmask_b32_e64 v28, v24, v25, s[24:25]
	v_cndmask_b32_e64 v29, v29, v34, s[28:29]
	;; [unrolled: 1-line block ×4, first 2 shown]
	s_waitcnt lgkmcnt(0)
	v_cndmask_b32_e64 v17, v68, v65, s[44:45]
	v_cndmask_b32_e64 v68, v64, v68, s[44:45]
	v_and_b32_e32 v25, v17, v50
	v_and_b32_e32 v34, v68, v50
	v_cmp_lt_u32_e64 s[22:23], v24, v37
	v_cmp_le_u32_e64 s[24:25], v34, v25
	v_cmp_ge_u32_e64 s[20:21], v16, v51
	s_and_b64 s[22:23], s[22:23], s[24:25]
	s_or_b64 s[20:21], s[20:21], s[22:23]
	v_cndmask_b32_e64 v16, v16, v24, s[20:21]
	v_lshl_add_u32 v16, v16, 3, v10
	ds_read_b64 v[34:35], v16 offset:8192
	v_cndmask_b32_e64 v24, v52, v53, s[40:41]
	v_cndmask_b32_e64 v25, v54, v55, s[42:43]
	v_cndmask_b32_e64 v16, v65, v64, s[44:45]
	v_cndmask_b32_e64 v17, v17, v68, s[20:21]
.LBB614_104:
	s_or_b64 exec, exec, s[60:61]
	v_add_u32_e32 v37, 0x2000, v36
	; wave barrier
	ds_write2_b64 v37, v[4:5], v[8:9] offset1:1
	v_add_u32_e32 v37, 0x2010, v36
	ds_write2_b64 v31, v[14:15], v[28:29] offset1:1
	ds_write2_b64 v37, v[18:19], v[20:21] offset1:1
	v_add_u32_e32 v37, 0x2020, v36
	ds_write2_b64 v37, v[26:27], v[32:33] offset1:1
	v_add_u32_e32 v37, 0x2030, v36
	v_and_b32_e32 v54, 0x3c0, v48
	ds_write2_b64 v31, v[24:25], v[16:17] offset0:2 offset1:3
	s_waitcnt lgkmcnt(5)
	ds_write2_b64 v37, v[22:23], v[34:35] offset1:1
	v_or_b32_e32 v37, 32, v54
	v_min_u32_e32 v37, v30, v37
	v_add_u32_e32 v51, 32, v37
	v_min_u32_e32 v51, v30, v51
	v_and_b32_e32 v52, 56, v48
	v_min_u32_e32 v55, v30, v52
	v_sub_u32_e32 v64, v37, v54
	v_sub_u32_e32 v53, v51, v37
	v_sub_u32_e64 v53, v55, v53 clamp
	v_min_u32_e32 v64, v55, v64
	v_lshl_add_u32 v52, v54, 2, v11
	v_cmp_lt_u32_e64 s[20:21], v53, v64
	; wave barrier
	s_and_saveexec_b64 s[22:23], s[20:21]
	s_cbranch_execz .LBB614_108
; %bb.105:
	v_lshlrev_b32_e32 v65, 2, v37
	v_lshlrev_b32_e32 v66, 2, v55
	v_add3_u32 v65, v11, v65, v66
	s_mov_b64 s[24:25], 0
.LBB614_106:                            ; =>This Inner Loop Header: Depth=1
	v_add_u32_e32 v66, v64, v53
	v_lshrrev_b32_e32 v66, 1, v66
	v_not_b32_e32 v67, v66
	v_lshl_add_u32 v68, v66, 2, v52
	v_lshl_add_u32 v67, v67, 2, v65
	ds_read_b32 v68, v68
	ds_read_b32 v67, v67
	v_add_u32_e32 v69, 1, v66
	s_waitcnt lgkmcnt(1)
	v_and_b32_e32 v68, v68, v50
	s_waitcnt lgkmcnt(0)
	v_and_b32_e32 v67, v67, v50
	v_cmp_gt_u32_e64 s[20:21], v68, v67
	v_cndmask_b32_e64 v64, v64, v66, s[20:21]
	v_cndmask_b32_e64 v53, v69, v53, s[20:21]
	v_cmp_ge_u32_e64 s[20:21], v53, v64
	s_or_b64 s[24:25], s[20:21], s[24:25]
	s_andn2_b64 exec, exec, s[24:25]
	s_cbranch_execnz .LBB614_106
; %bb.107:
	s_or_b64 exec, exec, s[24:25]
.LBB614_108:
	s_or_b64 exec, exec, s[22:23]
	v_add_u32_e32 v55, v37, v55
	v_add_u32_e32 v54, v53, v54
	v_sub_u32_e32 v55, v55, v53
	v_cmp_le_u32_e64 s[20:21], v54, v37
	v_cmp_le_u32_e64 s[22:23], v55, v51
	s_or_b64 s[20:21], s[20:21], s[22:23]
	s_and_saveexec_b64 s[60:61], s[20:21]
	s_cbranch_execz .LBB614_114
; %bb.109:
	v_cmp_lt_u32_e64 s[20:21], v54, v37
                                        ; implicit-def: $vgpr14
	s_and_saveexec_b64 s[22:23], s[20:21]
; %bb.110:
	v_lshl_add_u32 v4, v53, 2, v52
	ds_read_b32 v14, v4
; %bb.111:
	s_or_b64 exec, exec, s[22:23]
	v_cmp_ge_u32_e64 s[22:23], v55, v51
	v_cmp_lt_u32_e64 s[24:25], v55, v51
                                        ; implicit-def: $vgpr15
	s_and_saveexec_b64 s[28:29], s[24:25]
; %bb.112:
	v_lshl_add_u32 v4, v55, 2, v11
	ds_read_b32 v15, v4
; %bb.113:
	s_or_b64 exec, exec, s[28:29]
	s_waitcnt lgkmcnt(0)
	v_and_b32_e32 v4, v15, v50
	v_and_b32_e32 v5, v14, v50
	v_cmp_le_u32_e64 s[24:25], v5, v4
	s_and_b64 s[20:21], s[20:21], s[24:25]
	s_or_b64 s[20:21], s[22:23], s[20:21]
	v_cndmask_b32_e64 v4, v55, v54, s[20:21]
	v_cndmask_b32_e64 v5, v51, v37, s[20:21]
	v_add_u32_e32 v8, 1, v4
	v_add_u32_e32 v5, -1, v5
	v_min_u32_e32 v5, v8, v5
	v_lshl_add_u32 v5, v5, 2, v11
	ds_read_b32 v5, v5
	v_lshl_add_u32 v4, v4, 3, v10
	s_waitcnt lgkmcnt(0)
	v_cndmask_b32_e64 v16, v5, v15, s[20:21]
	v_cndmask_b32_e64 v17, v14, v5, s[20:21]
	;; [unrolled: 1-line block ×4, first 2 shown]
	v_and_b32_e32 v9, v16, v50
	v_and_b32_e32 v18, v17, v50
	v_cmp_lt_u32_e64 s[24:25], v8, v37
	v_cmp_le_u32_e64 s[28:29], v18, v9
	v_cmp_ge_u32_e64 s[22:23], v5, v51
	s_and_b64 s[24:25], s[24:25], s[28:29]
	s_or_b64 s[22:23], s[22:23], s[24:25]
	v_cndmask_b32_e64 v9, v5, v8, s[22:23]
	v_cndmask_b32_e64 v18, v51, v37, s[22:23]
	v_add_u32_e32 v19, 1, v9
	v_add_u32_e32 v18, -1, v18
	v_min_u32_e32 v18, v19, v18
	v_lshl_add_u32 v18, v18, 2, v11
	ds_read_b32 v18, v18
	v_cndmask_b32_e64 v5, v19, v5, s[22:23]
	v_cndmask_b32_e64 v8, v8, v19, s[22:23]
	v_cmp_lt_u32_e64 s[28:29], v8, v37
	v_cmp_ge_u32_e64 s[24:25], v5, v51
	s_waitcnt lgkmcnt(0)
	v_cndmask_b32_e64 v24, v18, v16, s[22:23]
	v_cndmask_b32_e64 v25, v17, v18, s[22:23]
	v_and_b32_e32 v18, v24, v50
	v_and_b32_e32 v19, v25, v50
	v_cmp_le_u32_e64 s[40:41], v19, v18
	s_and_b64 s[28:29], s[28:29], s[40:41]
	s_or_b64 s[24:25], s[24:25], s[28:29]
	v_cndmask_b32_e64 v18, v5, v8, s[24:25]
	v_cndmask_b32_e64 v19, v51, v37, s[24:25]
	v_add_u32_e32 v20, 1, v18
	v_add_u32_e32 v19, -1, v19
	v_min_u32_e32 v19, v20, v19
	v_lshl_add_u32 v19, v19, 2, v11
	ds_read_b32 v19, v19
	v_lshl_add_u32 v18, v18, 3, v10
	v_cndmask_b32_e64 v14, v15, v14, s[20:21]
	v_cndmask_b32_e64 v15, v16, v17, s[22:23]
	s_waitcnt lgkmcnt(0)
	v_cndmask_b32_e64 v29, v19, v24, s[24:25]
	v_cndmask_b32_e64 v34, v25, v19, s[24:25]
	;; [unrolled: 1-line block ×4, first 2 shown]
	v_and_b32_e32 v5, v29, v50
	v_and_b32_e32 v8, v34, v50
	v_cmp_lt_u32_e64 s[40:41], v20, v37
	v_cmp_le_u32_e64 s[42:43], v8, v5
	v_cmp_ge_u32_e64 s[28:29], v19, v51
	s_and_b64 s[40:41], s[40:41], s[42:43]
	s_or_b64 s[28:29], s[28:29], s[40:41]
	v_cndmask_b32_e64 v21, v19, v20, s[28:29]
	v_cndmask_b32_e64 v5, v51, v37, s[28:29]
	v_add_u32_e32 v22, 1, v21
	v_add_u32_e32 v5, -1, v5
	v_min_u32_e32 v5, v22, v5
	v_lshl_add_u32 v5, v5, 2, v11
	ds_read_b32 v23, v5
	v_lshl_add_u32 v8, v9, 3, v10
	ds_read_b64 v[4:5], v4 offset:8192
	ds_read_b64 v[8:9], v8 offset:8192
	s_waitcnt lgkmcnt(2)
	v_cndmask_b32_e64 v52, v23, v29, s[28:29]
	v_cndmask_b32_e64 v53, v34, v23, s[28:29]
	;; [unrolled: 1-line block ×4, first 2 shown]
	v_and_b32_e32 v19, v52, v50
	v_and_b32_e32 v20, v53, v50
	v_cmp_lt_u32_e64 s[42:43], v22, v37
	v_cmp_le_u32_e64 s[44:45], v20, v19
	v_cmp_ge_u32_e64 s[40:41], v23, v51
	s_and_b64 s[42:43], s[42:43], s[44:45]
	s_or_b64 s[40:41], s[40:41], s[42:43]
	v_cndmask_b32_e64 v26, v23, v22, s[40:41]
	v_cndmask_b32_e64 v19, v51, v37, s[40:41]
	v_add_u32_e32 v27, 1, v26
	v_add_u32_e32 v19, -1, v19
	v_min_u32_e32 v19, v27, v19
	v_lshl_add_u32 v19, v19, 2, v11
	ds_read_b32 v28, v19
	v_cndmask_b32_e64 v23, v27, v23, s[40:41]
	v_cndmask_b32_e64 v22, v22, v27, s[40:41]
	v_cmp_lt_u32_e64 s[44:45], v22, v37
	v_cmp_ge_u32_e64 s[42:43], v23, v51
	s_waitcnt lgkmcnt(0)
	v_cndmask_b32_e64 v54, v28, v52, s[40:41]
	v_cndmask_b32_e64 v55, v53, v28, s[40:41]
	v_and_b32_e32 v27, v54, v50
	v_and_b32_e32 v28, v55, v50
	v_cmp_le_u32_e64 s[46:47], v28, v27
	s_and_b64 s[44:45], s[44:45], s[46:47]
	s_or_b64 s[42:43], s[42:43], s[44:45]
	v_cndmask_b32_e64 v28, v23, v22, s[42:43]
	v_cndmask_b32_e64 v27, v51, v37, s[42:43]
	v_add_u32_e32 v35, 1, v28
	v_add_u32_e32 v27, -1, v27
	v_min_u32_e32 v27, v35, v27
	v_lshl_add_u32 v27, v27, 2, v11
	ds_read_b32 v64, v27
	v_cndmask_b32_e64 v66, v35, v23, s[42:43]
	v_cndmask_b32_e64 v35, v22, v35, s[42:43]
	v_cmp_lt_u32_e64 s[46:47], v35, v37
	v_cmp_ge_u32_e64 s[44:45], v66, v51
	s_waitcnt lgkmcnt(0)
	v_cndmask_b32_e64 v65, v64, v54, s[42:43]
	v_cndmask_b32_e64 v64, v55, v64, s[42:43]
	v_and_b32_e32 v22, v65, v50
	v_and_b32_e32 v23, v64, v50
	v_cmp_le_u32_e64 s[56:57], v23, v22
	s_and_b64 s[46:47], s[46:47], s[56:57]
	s_or_b64 s[44:45], s[44:45], s[46:47]
	v_lshl_add_u32 v26, v26, 3, v10
	v_lshl_add_u32 v28, v28, 3, v10
	v_cndmask_b32_e64 v22, v66, v35, s[44:45]
	v_cndmask_b32_e64 v23, v51, v37, s[44:45]
	ds_read_b64 v[26:27], v26 offset:8192
	ds_read_b64 v[32:33], v28 offset:8192
	v_lshl_add_u32 v28, v22, 3, v10
	v_add_u32_e32 v67, 1, v22
	v_add_u32_e32 v22, -1, v23
	v_min_u32_e32 v22, v67, v22
	v_lshl_add_u32 v20, v21, 3, v10
	v_lshl_add_u32 v68, v22, 2, v11
	ds_read_b64 v[18:19], v18 offset:8192
	ds_read_b64 v[20:21], v20 offset:8192
	;; [unrolled: 1-line block ×3, first 2 shown]
	ds_read_b32 v68, v68
	v_cndmask_b32_e64 v28, v24, v25, s[24:25]
	v_cndmask_b32_e64 v29, v29, v34, s[28:29]
	;; [unrolled: 1-line block ×4, first 2 shown]
	s_waitcnt lgkmcnt(0)
	v_cndmask_b32_e64 v17, v68, v65, s[44:45]
	v_cndmask_b32_e64 v68, v64, v68, s[44:45]
	v_and_b32_e32 v25, v17, v50
	v_and_b32_e32 v34, v68, v50
	v_cmp_lt_u32_e64 s[22:23], v24, v37
	v_cmp_le_u32_e64 s[24:25], v34, v25
	v_cmp_ge_u32_e64 s[20:21], v16, v51
	s_and_b64 s[22:23], s[22:23], s[24:25]
	s_or_b64 s[20:21], s[20:21], s[22:23]
	v_cndmask_b32_e64 v16, v16, v24, s[20:21]
	v_lshl_add_u32 v16, v16, 3, v10
	ds_read_b64 v[34:35], v16 offset:8192
	v_cndmask_b32_e64 v24, v52, v53, s[40:41]
	v_cndmask_b32_e64 v25, v54, v55, s[42:43]
	;; [unrolled: 1-line block ×4, first 2 shown]
.LBB614_114:
	s_or_b64 exec, exec, s[60:61]
	v_add_u32_e32 v37, 0x2000, v36
	; wave barrier
	ds_write2_b64 v37, v[4:5], v[8:9] offset1:1
	v_add_u32_e32 v37, 0x2010, v36
	ds_write2_b64 v31, v[14:15], v[28:29] offset1:1
	ds_write2_b64 v37, v[18:19], v[20:21] offset1:1
	v_add_u32_e32 v37, 0x2020, v36
	v_and_b32_e32 v48, 0x380, v48
	ds_write2_b64 v37, v[26:27], v[32:33] offset1:1
	v_add_u32_e32 v36, 0x2030, v36
	ds_write2_b64 v31, v[24:25], v[16:17] offset0:2 offset1:3
	s_waitcnt lgkmcnt(5)
	ds_write2_b64 v36, v[22:23], v[34:35] offset1:1
	v_or_b32_e32 v31, 64, v48
	v_min_u32_e32 v31, v30, v31
	v_add_u32_e32 v36, 64, v31
	v_min_u32_e32 v36, v30, v36
	v_min_u32_e32 v49, v30, v49
	v_sub_u32_e32 v51, v31, v48
	v_sub_u32_e32 v37, v36, v31
	v_sub_u32_e64 v37, v49, v37 clamp
	v_min_u32_e32 v51, v49, v51
	v_lshl_add_u32 v30, v48, 2, v11
	v_cmp_lt_u32_e64 s[20:21], v37, v51
	; wave barrier
	s_and_saveexec_b64 s[22:23], s[20:21]
	s_cbranch_execz .LBB614_118
; %bb.115:
	v_lshlrev_b32_e32 v52, 2, v31
	v_lshlrev_b32_e32 v53, 2, v49
	v_add3_u32 v52, v11, v52, v53
	s_mov_b64 s[24:25], 0
.LBB614_116:                            ; =>This Inner Loop Header: Depth=1
	v_add_u32_e32 v53, v51, v37
	v_lshrrev_b32_e32 v53, 1, v53
	v_not_b32_e32 v54, v53
	v_lshl_add_u32 v55, v53, 2, v30
	v_lshl_add_u32 v54, v54, 2, v52
	ds_read_b32 v55, v55
	ds_read_b32 v54, v54
	v_add_u32_e32 v64, 1, v53
	s_waitcnt lgkmcnt(1)
	v_and_b32_e32 v55, v55, v50
	s_waitcnt lgkmcnt(0)
	v_and_b32_e32 v54, v54, v50
	v_cmp_gt_u32_e64 s[20:21], v55, v54
	v_cndmask_b32_e64 v51, v51, v53, s[20:21]
	v_cndmask_b32_e64 v37, v64, v37, s[20:21]
	v_cmp_ge_u32_e64 s[20:21], v37, v51
	s_or_b64 s[24:25], s[20:21], s[24:25]
	s_andn2_b64 exec, exec, s[24:25]
	s_cbranch_execnz .LBB614_116
; %bb.117:
	s_or_b64 exec, exec, s[24:25]
.LBB614_118:
	s_or_b64 exec, exec, s[22:23]
	v_add_u32_e32 v49, v31, v49
	v_add_u32_e32 v48, v37, v48
	v_sub_u32_e32 v49, v49, v37
	v_cmp_le_u32_e64 s[20:21], v48, v31
	v_cmp_le_u32_e64 s[22:23], v49, v36
	s_or_b64 s[20:21], s[20:21], s[22:23]
	s_and_saveexec_b64 s[60:61], s[20:21]
	s_cbranch_execz .LBB614_124
; %bb.119:
	v_cmp_lt_u32_e64 s[20:21], v48, v31
                                        ; implicit-def: $vgpr14
	s_and_saveexec_b64 s[22:23], s[20:21]
; %bb.120:
	v_lshl_add_u32 v4, v37, 2, v30
	ds_read_b32 v14, v4
; %bb.121:
	s_or_b64 exec, exec, s[22:23]
	v_cmp_ge_u32_e64 s[22:23], v49, v36
	v_cmp_lt_u32_e64 s[24:25], v49, v36
                                        ; implicit-def: $vgpr15
	s_and_saveexec_b64 s[28:29], s[24:25]
; %bb.122:
	v_lshl_add_u32 v4, v49, 2, v11
	ds_read_b32 v15, v4
; %bb.123:
	s_or_b64 exec, exec, s[28:29]
	s_waitcnt lgkmcnt(0)
	v_and_b32_e32 v4, v15, v50
	v_and_b32_e32 v5, v14, v50
	v_cmp_le_u32_e64 s[24:25], v5, v4
	s_and_b64 s[20:21], s[20:21], s[24:25]
	s_or_b64 s[20:21], s[22:23], s[20:21]
	v_cndmask_b32_e64 v4, v49, v48, s[20:21]
	v_cndmask_b32_e64 v5, v36, v31, s[20:21]
	v_add_u32_e32 v8, 1, v4
	v_add_u32_e32 v5, -1, v5
	v_min_u32_e32 v5, v8, v5
	v_lshl_add_u32 v5, v5, 2, v11
	ds_read_b32 v5, v5
	v_lshl_add_u32 v4, v4, 3, v10
	s_waitcnt lgkmcnt(0)
	v_cndmask_b32_e64 v16, v5, v15, s[20:21]
	v_cndmask_b32_e64 v17, v14, v5, s[20:21]
	;; [unrolled: 1-line block ×4, first 2 shown]
	v_and_b32_e32 v9, v16, v50
	v_and_b32_e32 v18, v17, v50
	v_cmp_lt_u32_e64 s[24:25], v8, v31
	v_cmp_le_u32_e64 s[28:29], v18, v9
	v_cmp_ge_u32_e64 s[22:23], v5, v36
	s_and_b64 s[24:25], s[24:25], s[28:29]
	s_or_b64 s[22:23], s[22:23], s[24:25]
	v_cndmask_b32_e64 v9, v5, v8, s[22:23]
	v_cndmask_b32_e64 v18, v36, v31, s[22:23]
	v_add_u32_e32 v19, 1, v9
	v_add_u32_e32 v18, -1, v18
	v_min_u32_e32 v18, v19, v18
	v_lshl_add_u32 v18, v18, 2, v11
	ds_read_b32 v18, v18
	v_cndmask_b32_e64 v5, v19, v5, s[22:23]
	v_cndmask_b32_e64 v8, v8, v19, s[22:23]
	v_cmp_lt_u32_e64 s[28:29], v8, v31
	v_cmp_ge_u32_e64 s[24:25], v5, v36
	s_waitcnt lgkmcnt(0)
	v_cndmask_b32_e64 v24, v18, v16, s[22:23]
	v_cndmask_b32_e64 v25, v17, v18, s[22:23]
	v_and_b32_e32 v18, v24, v50
	v_and_b32_e32 v19, v25, v50
	v_cmp_le_u32_e64 s[40:41], v19, v18
	s_and_b64 s[28:29], s[28:29], s[40:41]
	s_or_b64 s[24:25], s[24:25], s[28:29]
	v_cndmask_b32_e64 v18, v5, v8, s[24:25]
	v_cndmask_b32_e64 v19, v36, v31, s[24:25]
	v_add_u32_e32 v20, 1, v18
	v_add_u32_e32 v19, -1, v19
	v_min_u32_e32 v19, v20, v19
	v_lshl_add_u32 v19, v19, 2, v11
	ds_read_b32 v19, v19
	v_lshl_add_u32 v18, v18, 3, v10
	v_cndmask_b32_e64 v14, v15, v14, s[20:21]
	v_cndmask_b32_e64 v15, v16, v17, s[22:23]
	s_waitcnt lgkmcnt(0)
	v_cndmask_b32_e64 v29, v19, v24, s[24:25]
	v_cndmask_b32_e64 v30, v25, v19, s[24:25]
	v_cndmask_b32_e64 v19, v20, v5, s[24:25]
	v_cndmask_b32_e64 v20, v8, v20, s[24:25]
	v_and_b32_e32 v5, v29, v50
	v_and_b32_e32 v8, v30, v50
	v_cmp_lt_u32_e64 s[40:41], v20, v31
	v_cmp_le_u32_e64 s[42:43], v8, v5
	v_cmp_ge_u32_e64 s[28:29], v19, v36
	s_and_b64 s[40:41], s[40:41], s[42:43]
	s_or_b64 s[28:29], s[28:29], s[40:41]
	v_cndmask_b32_e64 v21, v19, v20, s[28:29]
	v_cndmask_b32_e64 v5, v36, v31, s[28:29]
	v_add_u32_e32 v22, 1, v21
	v_add_u32_e32 v5, -1, v5
	v_min_u32_e32 v5, v22, v5
	v_lshl_add_u32 v5, v5, 2, v11
	ds_read_b32 v23, v5
	v_lshl_add_u32 v8, v9, 3, v10
	ds_read_b64 v[4:5], v4 offset:8192
	ds_read_b64 v[8:9], v8 offset:8192
	s_waitcnt lgkmcnt(2)
	v_cndmask_b32_e64 v37, v23, v29, s[28:29]
	v_cndmask_b32_e64 v48, v30, v23, s[28:29]
	;; [unrolled: 1-line block ×4, first 2 shown]
	v_and_b32_e32 v19, v37, v50
	v_and_b32_e32 v20, v48, v50
	v_cmp_lt_u32_e64 s[42:43], v22, v31
	v_cmp_le_u32_e64 s[44:45], v20, v19
	v_cmp_ge_u32_e64 s[40:41], v23, v36
	s_and_b64 s[42:43], s[42:43], s[44:45]
	s_or_b64 s[40:41], s[40:41], s[42:43]
	v_cndmask_b32_e64 v26, v23, v22, s[40:41]
	v_cndmask_b32_e64 v19, v36, v31, s[40:41]
	v_add_u32_e32 v27, 1, v26
	v_add_u32_e32 v19, -1, v19
	v_min_u32_e32 v19, v27, v19
	v_lshl_add_u32 v19, v19, 2, v11
	ds_read_b32 v28, v19
	v_cndmask_b32_e64 v23, v27, v23, s[40:41]
	v_cndmask_b32_e64 v22, v22, v27, s[40:41]
	v_cmp_lt_u32_e64 s[44:45], v22, v31
	v_cmp_ge_u32_e64 s[42:43], v23, v36
	s_waitcnt lgkmcnt(0)
	v_cndmask_b32_e64 v49, v28, v37, s[40:41]
	v_cndmask_b32_e64 v51, v48, v28, s[40:41]
	v_and_b32_e32 v27, v49, v50
	v_and_b32_e32 v28, v51, v50
	v_cmp_le_u32_e64 s[46:47], v28, v27
	s_and_b64 s[44:45], s[44:45], s[46:47]
	s_or_b64 s[42:43], s[42:43], s[44:45]
	v_cndmask_b32_e64 v28, v23, v22, s[42:43]
	v_cndmask_b32_e64 v27, v36, v31, s[42:43]
	v_add_u32_e32 v34, 1, v28
	v_add_u32_e32 v27, -1, v27
	v_min_u32_e32 v27, v34, v27
	v_lshl_add_u32 v27, v27, 2, v11
	ds_read_b32 v35, v27
	v_lshl_add_u32 v26, v26, 3, v10
	v_lshl_add_u32 v28, v28, 3, v10
	ds_read_b64 v[26:27], v26 offset:8192
	ds_read_b64 v[32:33], v28 offset:8192
	s_waitcnt lgkmcnt(2)
	v_cndmask_b32_e64 v52, v35, v49, s[42:43]
	v_cndmask_b32_e64 v53, v51, v35, s[42:43]
	;; [unrolled: 1-line block ×4, first 2 shown]
	v_and_b32_e32 v22, v52, v50
	v_and_b32_e32 v23, v53, v50
	v_cmp_lt_u32_e64 s[46:47], v34, v31
	v_cmp_le_u32_e64 s[56:57], v23, v22
	v_cmp_ge_u32_e64 s[44:45], v35, v36
	s_and_b64 s[46:47], s[46:47], s[56:57]
	s_or_b64 s[44:45], s[44:45], s[46:47]
	v_cndmask_b32_e64 v22, v35, v34, s[44:45]
	v_cndmask_b32_e64 v23, v36, v31, s[44:45]
	v_lshl_add_u32 v28, v22, 3, v10
	v_add_u32_e32 v54, 1, v22
	v_add_u32_e32 v22, -1, v23
	v_min_u32_e32 v22, v54, v22
	v_lshl_add_u32 v20, v21, 3, v10
	v_lshl_add_u32 v11, v22, 2, v11
	ds_read_b64 v[18:19], v18 offset:8192
	ds_read_b64 v[20:21], v20 offset:8192
	;; [unrolled: 1-line block ×3, first 2 shown]
	ds_read_b32 v11, v11
	v_cndmask_b32_e64 v28, v24, v25, s[24:25]
	v_cndmask_b32_e64 v29, v29, v30, s[28:29]
	;; [unrolled: 1-line block ×4, first 2 shown]
	s_waitcnt lgkmcnt(0)
	v_cndmask_b32_e64 v17, v11, v52, s[44:45]
	v_cndmask_b32_e64 v11, v53, v11, s[44:45]
	v_and_b32_e32 v25, v17, v50
	v_and_b32_e32 v30, v11, v50
	v_cmp_lt_u32_e64 s[22:23], v24, v31
	v_cmp_le_u32_e64 s[24:25], v30, v25
	v_cmp_ge_u32_e64 s[20:21], v16, v36
	s_and_b64 s[22:23], s[22:23], s[24:25]
	s_or_b64 s[20:21], s[20:21], s[22:23]
	v_cndmask_b32_e64 v16, v16, v24, s[20:21]
	v_lshl_add_u32 v10, v16, 3, v10
	ds_read_b64 v[34:35], v10 offset:8192
	v_cndmask_b32_e64 v24, v37, v48, s[40:41]
	v_cndmask_b32_e64 v25, v49, v51, s[42:43]
	;; [unrolled: 1-line block ×4, first 2 shown]
.LBB614_124:
	s_or_b64 exec, exec, s[60:61]
	; wave barrier
	s_waitcnt lgkmcnt(0)
	s_barrier
                                        ; implicit-def: $vgpr48
                                        ; implicit-def: $vgpr49
                                        ; implicit-def: $vgpr31
                                        ; implicit-def: $vgpr30
                                        ; implicit-def: $vgpr36
.LBB614_125:
	s_andn2_saveexec_b64 s[46:47], s[58:59]
	s_cbranch_execz .LBB614_225
; %bb.126:
	s_load_dwordx2 s[20:21], s[8:9], 0x0
	v_mov_b32_e32 v10, 0
	s_waitcnt lgkmcnt(0)
	s_cmp_lt_u32 s13, s21
	s_cselect_b32 s13, 14, 20
	s_add_u32 s22, s8, s13
	s_addc_u32 s23, s9, 0
	s_cmp_lt_u32 s12, s20
	s_cselect_b32 s12, 12, 18
	s_add_u32 s8, s8, s12
	s_addc_u32 s9, s9, 0
	global_load_ushort v11, v10, s[22:23]
	global_load_ushort v37, v10, s[8:9]
	s_movk_i32 s8, 0x800
	s_waitcnt vmcnt(0)
	v_mad_u32_u24 v10, v36, v11, v30
	v_mul_lo_u32 v10, v10, v37
	v_and_b32_e32 v11, 0x3ff, v31
	v_add_lshl_u32 v50, v10, v11, 3
	v_cmp_gt_u32_e64 s[8:9], s8, v50
	s_and_saveexec_b64 s[12:13], s[8:9]
	s_cbranch_execz .LBB614_184
; %bb.127:
	v_mov_b32_e32 v31, v9
	v_cmp_gt_i32_e64 s[8:9], v14, v15
	v_mov_b32_e32 v51, v15
	v_mov_b32_e32 v30, v8
	s_and_saveexec_b64 s[20:21], s[8:9]
; %bb.128:
	v_mov_b32_e32 v31, v5
	v_mov_b32_e32 v30, v4
	v_mov_b32_e32 v4, v8
	v_mov_b32_e32 v51, v14
	v_mov_b32_e32 v14, v15
	v_mov_b32_e32 v5, v9
; %bb.129:
	s_or_b64 exec, exec, s[20:21]
	v_mov_b32_e32 v37, v21
	v_cmp_gt_i32_e64 s[8:9], v28, v29
	v_mov_b32_e32 v15, v29
	v_mov_b32_e32 v36, v20
	s_and_saveexec_b64 s[20:21], s[8:9]
; %bb.130:
	v_mov_b32_e32 v37, v19
	v_mov_b32_e32 v36, v18
	v_mov_b32_e32 v18, v20
	v_mov_b32_e32 v15, v28
	v_mov_b32_e32 v28, v29
	v_mov_b32_e32 v19, v21
; %bb.131:
	s_or_b64 exec, exec, s[20:21]
	;; [unrolled: 14-line block ×4, first 2 shown]
	v_mov_b32_e32 v21, v19
	v_cmp_gt_i32_e64 s[8:9], v51, v28
	v_mov_b32_e32 v32, v28
	v_mov_b32_e32 v20, v18
	s_and_saveexec_b64 s[20:21], s[8:9]
	s_xor_b64 s[8:9], exec, s[20:21]
; %bb.136:
	v_mov_b32_e32 v20, v30
	v_mov_b32_e32 v21, v31
	v_mov_b32_e32 v31, v19
	v_mov_b32_e32 v32, v51
	v_mov_b32_e32 v51, v28
	v_mov_b32_e32 v30, v18
; %bb.137:
	s_or_b64 exec, exec, s[8:9]
	v_mov_b32_e32 v29, v27
	v_cmp_gt_i32_e64 s[8:9], v15, v52
	v_mov_b32_e32 v18, v15
	v_mov_b32_e32 v28, v26
	s_and_saveexec_b64 s[20:21], s[8:9]
; %bb.138:
	v_mov_b32_e32 v28, v36
	v_mov_b32_e32 v29, v37
	v_mov_b32_e32 v37, v27
	v_mov_b32_e32 v18, v52
	v_mov_b32_e32 v36, v26
	v_mov_b32_e32 v52, v15
; %bb.139:
	s_or_b64 exec, exec, s[20:21]
	v_mov_b32_e32 v15, v22
	v_cmp_gt_i32_e64 s[8:9], v25, v33
	v_mov_b32_e32 v16, v23
	v_mov_b32_e32 v27, v25
	s_and_saveexec_b64 s[20:21], s[8:9]
; %bb.140:
	v_mov_b32_e32 v16, v11
	v_mov_b32_e32 v15, v10
	v_mov_b32_e32 v10, v22
	v_mov_b32_e32 v11, v23
	v_mov_b32_e32 v27, v33
	v_mov_b32_e32 v33, v25
; %bb.141:
	s_or_b64 exec, exec, s[20:21]
	v_mov_b32_e32 v22, v30
	v_cmp_gt_i32_e64 s[8:9], v14, v51
	v_mov_b32_e32 v26, v51
	v_mov_b32_e32 v23, v31
	s_and_saveexec_b64 s[20:21], s[8:9]
; %bb.142:
	v_mov_b32_e32 v23, v5
	v_mov_b32_e32 v22, v4
	v_mov_b32_e32 v4, v30
	v_mov_b32_e32 v26, v14
	v_mov_b32_e32 v14, v51
	v_mov_b32_e32 v5, v31
; %bb.143:
	s_or_b64 exec, exec, s[20:21]
	v_mov_b32_e32 v24, v36
	v_cmp_gt_i32_e64 s[8:9], v32, v18
	v_mov_b32_e32 v51, v18
	v_mov_b32_e32 v25, v37
	s_and_saveexec_b64 s[20:21], s[8:9]
; %bb.144:
	v_mov_b32_e32 v25, v21
	v_mov_b32_e32 v24, v20
	v_mov_b32_e32 v20, v36
	v_mov_b32_e32 v51, v32
	v_mov_b32_e32 v32, v18
	v_mov_b32_e32 v21, v37
; %bb.145:
	s_or_b64 exec, exec, s[20:21]
	v_mov_b32_e32 v19, v11
	v_cmp_gt_i32_e64 s[8:9], v52, v27
	v_mov_b32_e32 v18, v10
	v_mov_b32_e32 v36, v52
	s_and_saveexec_b64 s[20:21], s[8:9]
; %bb.146:
	v_mov_b32_e32 v18, v28
	v_mov_b32_e32 v19, v29
	v_mov_b32_e32 v29, v11
	v_mov_b32_e32 v28, v10
	v_mov_b32_e32 v36, v27
	v_mov_b32_e32 v27, v52
; %bb.147:
	s_or_b64 exec, exec, s[20:21]
	v_mov_b32_e32 v11, v9
	v_cmp_gt_i32_e64 s[8:9], v33, v17
	v_mov_b32_e32 v10, v8
	v_mov_b32_e32 v35, v33
	s_and_saveexec_b64 s[20:21], s[8:9]
; %bb.148:
	v_mov_b32_e32 v10, v15
	v_mov_b32_e32 v11, v16
	v_mov_b32_e32 v16, v9
	v_mov_b32_e32 v15, v8
	v_mov_b32_e32 v35, v17
	v_mov_b32_e32 v17, v33
; %bb.149:
	s_or_b64 exec, exec, s[20:21]
	v_mov_b32_e32 v31, v21
	v_cmp_gt_i32_e64 s[8:9], v26, v32
	v_mov_b32_e32 v34, v32
	v_mov_b32_e32 v30, v20
	s_and_saveexec_b64 s[20:21], s[8:9]
; %bb.150:
	v_mov_b32_e32 v31, v23
	v_mov_b32_e32 v30, v22
	v_mov_b32_e32 v23, v21
	v_mov_b32_e32 v34, v26
	v_mov_b32_e32 v26, v32
	v_mov_b32_e32 v22, v20
; %bb.151:
	s_or_b64 exec, exec, s[20:21]
	v_mov_b32_e32 v20, v28
	v_cmp_gt_i32_e64 s[8:9], v51, v36
	v_mov_b32_e32 v37, v51
	v_mov_b32_e32 v21, v29
	s_and_saveexec_b64 s[20:21], s[8:9]
; %bb.152:
	v_mov_b32_e32 v20, v24
	v_mov_b32_e32 v21, v25
	v_mov_b32_e32 v24, v28
	v_mov_b32_e32 v37, v36
	v_mov_b32_e32 v25, v29
	v_mov_b32_e32 v36, v51
; %bb.153:
	s_or_b64 exec, exec, s[20:21]
	v_mov_b32_e32 v8, v15
	v_cmp_gt_i32_e64 s[8:9], v27, v35
	v_mov_b32_e32 v9, v16
	v_mov_b32_e32 v52, v27
	s_and_saveexec_b64 s[20:21], s[8:9]
; %bb.154:
	v_mov_b32_e32 v8, v18
	v_mov_b32_e32 v9, v19
	v_mov_b32_e32 v19, v16
	v_mov_b32_e32 v18, v15
	v_mov_b32_e32 v52, v35
	v_mov_b32_e32 v35, v27
; %bb.155:
	s_or_b64 exec, exec, s[20:21]
	v_mov_b32_e32 v29, v23
	v_cmp_gt_i32_e64 s[8:9], v14, v26
	v_mov_b32_e32 v16, v26
	v_mov_b32_e32 v28, v22
	s_and_saveexec_b64 s[20:21], s[8:9]
; %bb.156:
	v_mov_b32_e32 v29, v5
	v_mov_b32_e32 v28, v4
	v_mov_b32_e32 v4, v22
	v_mov_b32_e32 v16, v14
	v_mov_b32_e32 v14, v26
	v_mov_b32_e32 v5, v23
; %bb.157:
	s_or_b64 exec, exec, s[20:21]
	v_mov_b32_e32 v33, v25
	v_cmp_gt_i32_e64 s[8:9], v34, v37
	v_mov_b32_e32 v15, v37
	v_mov_b32_e32 v32, v24
	s_and_saveexec_b64 s[20:21], s[8:9]
; %bb.158:
	v_mov_b32_e32 v33, v31
	v_mov_b32_e32 v32, v30
	v_mov_b32_e32 v31, v25
	v_mov_b32_e32 v15, v34
	v_mov_b32_e32 v34, v37
	v_mov_b32_e32 v30, v24
; %bb.159:
	s_or_b64 exec, exec, s[20:21]
	v_mov_b32_e32 v27, v19
	v_cmp_gt_i32_e64 s[8:9], v36, v52
	v_mov_b32_e32 v26, v18
	v_mov_b32_e32 v54, v36
	s_and_saveexec_b64 s[20:21], s[8:9]
; %bb.160:
	v_mov_b32_e32 v27, v21
	v_mov_b32_e32 v26, v20
	v_mov_b32_e32 v21, v19
	v_mov_b32_e32 v20, v18
	v_mov_b32_e32 v54, v52
	v_mov_b32_e32 v52, v36
; %bb.161:
	s_or_b64 exec, exec, s[20:21]
	v_mov_b32_e32 v19, v11
	v_cmp_gt_i32_e64 s[8:9], v35, v17
	v_mov_b32_e32 v18, v10
	v_mov_b32_e32 v53, v35
	s_and_saveexec_b64 s[20:21], s[8:9]
; %bb.162:
	v_mov_b32_e32 v19, v9
	v_mov_b32_e32 v18, v8
	v_mov_b32_e32 v8, v10
	v_mov_b32_e32 v9, v11
	v_mov_b32_e32 v53, v17
	v_mov_b32_e32 v17, v35
; %bb.163:
	s_or_b64 exec, exec, s[20:21]
	v_mov_b32_e32 v37, v31
	v_cmp_gt_i32_e64 s[8:9], v16, v34
	v_mov_b32_e32 v51, v34
	v_mov_b32_e32 v36, v30
	s_and_saveexec_b64 s[20:21], s[8:9]
; %bb.164:
	v_mov_b32_e32 v37, v29
	v_mov_b32_e32 v36, v28
	v_mov_b32_e32 v28, v30
	v_mov_b32_e32 v51, v16
	v_mov_b32_e32 v16, v34
	v_mov_b32_e32 v29, v31
; %bb.165:
	s_or_b64 exec, exec, s[20:21]
	v_mov_b32_e32 v10, v20
	v_cmp_gt_i32_e64 s[8:9], v15, v54
	v_mov_b32_e32 v24, v15
	v_mov_b32_e32 v11, v21
	s_and_saveexec_b64 s[20:21], s[8:9]
; %bb.166:
	v_mov_b32_e32 v10, v32
	v_mov_b32_e32 v11, v33
	v_mov_b32_e32 v33, v21
	v_mov_b32_e32 v24, v54
	v_mov_b32_e32 v32, v20
	v_mov_b32_e32 v54, v15
; %bb.167:
	s_or_b64 exec, exec, s[20:21]
	v_mov_b32_e32 v23, v9
	v_cmp_gt_i32_e64 s[8:9], v52, v53
	v_mov_b32_e32 v22, v8
	v_mov_b32_e32 v25, v52
	s_and_saveexec_b64 s[20:21], s[8:9]
; %bb.168:
	v_mov_b32_e32 v22, v26
	v_mov_b32_e32 v23, v27
	v_mov_b32_e32 v27, v9
	v_mov_b32_e32 v26, v8
	v_mov_b32_e32 v25, v53
	v_mov_b32_e32 v53, v52
; %bb.169:
	s_or_b64 exec, exec, s[20:21]
	v_mov_b32_e32 v8, v28
	v_cmp_gt_i32_e64 s[8:9], v14, v16
	v_mov_b32_e32 v15, v16
	v_mov_b32_e32 v9, v29
	s_and_saveexec_b64 s[20:21], s[8:9]
; %bb.170:
	v_mov_b32_e32 v9, v5
	v_mov_b32_e32 v8, v4
	v_mov_b32_e32 v4, v28
	v_mov_b32_e32 v15, v14
	v_mov_b32_e32 v14, v16
	v_mov_b32_e32 v5, v29
; %bb.171:
	s_or_b64 exec, exec, s[20:21]
	v_mov_b32_e32 v20, v32
	v_cmp_gt_i32_e64 s[8:9], v51, v24
	v_mov_b32_e32 v16, v24
	v_mov_b32_e32 v21, v33
	s_and_saveexec_b64 s[20:21], s[8:9]
; %bb.172:
	v_mov_b32_e32 v20, v36
	v_mov_b32_e32 v21, v37
	v_mov_b32_e32 v37, v33
	v_mov_b32_e32 v16, v51
	v_mov_b32_e32 v51, v24
	v_mov_b32_e32 v36, v32
; %bb.173:
	s_or_b64 exec, exec, s[20:21]
	v_mov_b32_e32 v31, v27
	v_cmp_gt_i32_e64 s[8:9], v54, v25
	v_mov_b32_e32 v30, v26
	v_mov_b32_e32 v24, v54
	s_and_saveexec_b64 s[20:21], s[8:9]
; %bb.174:
	v_mov_b32_e32 v31, v11
	v_mov_b32_e32 v30, v10
	v_mov_b32_e32 v10, v26
	v_mov_b32_e32 v11, v27
	v_mov_b32_e32 v24, v25
	v_mov_b32_e32 v25, v54
; %bb.175:
	s_or_b64 exec, exec, s[20:21]
	v_mov_b32_e32 v35, v19
	v_cmp_gt_i32_e64 s[8:9], v53, v17
	v_mov_b32_e32 v34, v18
	v_mov_b32_e32 v52, v53
	s_and_saveexec_b64 s[20:21], s[8:9]
; %bb.176:
	v_mov_b32_e32 v35, v23
	v_mov_b32_e32 v34, v22
	v_mov_b32_e32 v23, v19
	v_mov_b32_e32 v22, v18
	v_mov_b32_e32 v52, v17
	v_mov_b32_e32 v17, v53
; %bb.177:
	s_or_b64 exec, exec, s[20:21]
	v_mov_b32_e32 v18, v36
	v_cmp_gt_i32_e64 s[8:9], v15, v51
	v_mov_b32_e32 v28, v51
	v_mov_b32_e32 v19, v37
	s_and_saveexec_b64 s[20:21], s[8:9]
; %bb.178:
	v_mov_b32_e32 v19, v9
	v_mov_b32_e32 v18, v8
	v_mov_b32_e32 v8, v36
	v_mov_b32_e32 v28, v15
	v_mov_b32_e32 v15, v51
	v_mov_b32_e32 v9, v37
; %bb.179:
	s_or_b64 exec, exec, s[20:21]
	v_mov_b32_e32 v27, v11
	v_cmp_gt_i32_e64 s[8:9], v16, v24
	v_mov_b32_e32 v29, v16
	v_mov_b32_e32 v26, v10
	s_and_saveexec_b64 s[20:21], s[8:9]
; %bb.180:
	v_mov_b32_e32 v27, v21
	v_mov_b32_e32 v26, v20
	v_mov_b32_e32 v21, v11
	v_mov_b32_e32 v29, v24
	v_mov_b32_e32 v20, v10
	v_mov_b32_e32 v24, v16
; %bb.181:
	s_or_b64 exec, exec, s[20:21]
	v_mov_b32_e32 v33, v31
	v_cmp_gt_i32_e64 s[8:9], v25, v52
	v_mov_b32_e32 v16, v52
	v_mov_b32_e32 v32, v30
	s_and_saveexec_b64 s[20:21], s[8:9]
; %bb.182:
	v_mov_b32_e32 v33, v23
	v_mov_b32_e32 v32, v22
	v_mov_b32_e32 v22, v30
	v_mov_b32_e32 v16, v25
	v_mov_b32_e32 v25, v52
	v_mov_b32_e32 v23, v31
; %bb.183:
	s_or_b64 exec, exec, s[20:21]
.LBB614_184:
	s_or_b64 exec, exec, s[12:13]
	v_and_b32_e32 v10, 0xfffffe00, v50
	s_movk_i32 s8, 0x800
	v_lshlrev_b32_e32 v11, 2, v10
	v_sub_u32_e64 v30, s8, v10 clamp
	v_add_u32_e32 v10, v11, v11
	v_lshl_add_u32 v36, v48, 3, v10
	v_add_u32_e32 v37, 0x2000, v36
	v_lshl_add_u32 v31, v48, 2, v11
	ds_write2_b64 v37, v[4:5], v[8:9] offset1:1
	v_add_u32_e32 v37, 0x2010, v36
	ds_write2_b64 v31, v[14:15], v[28:29] offset1:1
	ds_write2_b64 v37, v[18:19], v[20:21] offset1:1
	v_add_u32_e32 v37, 0x2020, v36
	ds_write2_b64 v37, v[26:27], v[32:33] offset1:1
	v_add_u32_e32 v37, 0x2030, v36
	ds_write2_b64 v31, v[24:25], v[16:17] offset0:2 offset1:3
	ds_write2_b64 v37, v[22:23], v[34:35] offset1:1
	v_or_b32_e32 v37, 8, v48
	v_min_u32_e32 v37, v30, v37
	v_add_u32_e32 v50, 8, v37
	v_and_b32_e32 v53, 0x3f0, v48
	v_min_u32_e32 v50, v30, v50
	v_and_b32_e32 v51, 8, v48
	v_min_u32_e32 v54, v30, v51
	v_sub_u32_e32 v55, v37, v53
	v_sub_u32_e32 v52, v50, v37
	v_sub_u32_e64 v52, v54, v52 clamp
	v_min_u32_e32 v55, v54, v55
	v_lshl_add_u32 v51, v53, 2, v11
	v_cmp_lt_u32_e64 s[8:9], v52, v55
	; wave barrier
	s_and_saveexec_b64 s[12:13], s[8:9]
	s_cbranch_execz .LBB614_188
; %bb.185:
	v_lshlrev_b32_e32 v64, 2, v37
	v_lshlrev_b32_e32 v65, 2, v54
	v_add3_u32 v64, v11, v64, v65
	s_mov_b64 s[20:21], 0
.LBB614_186:                            ; =>This Inner Loop Header: Depth=1
	v_add_u32_e32 v65, v55, v52
	v_lshrrev_b32_e32 v65, 1, v65
	v_not_b32_e32 v66, v65
	v_lshl_add_u32 v67, v65, 2, v51
	v_lshl_add_u32 v66, v66, 2, v64
	ds_read_b32 v67, v67
	ds_read_b32 v66, v66
	v_add_u32_e32 v68, 1, v65
	s_waitcnt lgkmcnt(0)
	v_cmp_gt_i32_e64 s[8:9], v67, v66
	v_cndmask_b32_e64 v55, v55, v65, s[8:9]
	v_cndmask_b32_e64 v52, v68, v52, s[8:9]
	v_cmp_ge_u32_e64 s[8:9], v52, v55
	s_or_b64 s[20:21], s[8:9], s[20:21]
	s_andn2_b64 exec, exec, s[20:21]
	s_cbranch_execnz .LBB614_186
; %bb.187:
	s_or_b64 exec, exec, s[20:21]
.LBB614_188:
	s_or_b64 exec, exec, s[12:13]
	v_add_u32_e32 v54, v37, v54
	v_add_u32_e32 v53, v52, v53
	v_sub_u32_e32 v54, v54, v52
	v_cmp_le_u32_e64 s[8:9], v53, v37
	v_cmp_le_u32_e64 s[12:13], v54, v50
	s_or_b64 s[8:9], s[8:9], s[12:13]
	s_and_saveexec_b64 s[56:57], s[8:9]
	s_cbranch_execz .LBB614_194
; %bb.189:
	v_cmp_lt_u32_e64 s[8:9], v53, v37
                                        ; implicit-def: $vgpr14
	s_and_saveexec_b64 s[12:13], s[8:9]
; %bb.190:
	v_lshl_add_u32 v4, v52, 2, v51
	ds_read_b32 v14, v4
; %bb.191:
	s_or_b64 exec, exec, s[12:13]
	v_cmp_ge_u32_e64 s[20:21], v54, v50
	v_cmp_lt_u32_e64 s[12:13], v54, v50
                                        ; implicit-def: $vgpr15
	s_and_saveexec_b64 s[22:23], s[12:13]
; %bb.192:
	v_lshl_add_u32 v4, v54, 2, v11
	ds_read_b32 v15, v4
; %bb.193:
	s_or_b64 exec, exec, s[22:23]
	s_waitcnt lgkmcnt(0)
	v_cmp_le_i32_e64 s[12:13], v14, v15
	s_and_b64 s[8:9], s[8:9], s[12:13]
	s_or_b64 s[8:9], s[20:21], s[8:9]
	v_cndmask_b32_e64 v4, v54, v53, s[8:9]
	v_cndmask_b32_e64 v5, v50, v37, s[8:9]
	v_add_u32_e32 v8, 1, v4
	v_add_u32_e32 v5, -1, v5
	v_min_u32_e32 v5, v8, v5
	v_lshl_add_u32 v5, v5, 2, v11
	ds_read_b32 v5, v5
	v_cndmask_b32_e64 v9, v8, v54, s[8:9]
	v_cmp_ge_u32_e64 s[12:13], v9, v50
	v_lshl_add_u32 v4, v4, 3, v10
	s_waitcnt lgkmcnt(0)
	v_cndmask_b32_e64 v16, v5, v15, s[8:9]
	v_cndmask_b32_e64 v17, v14, v5, s[8:9]
	;; [unrolled: 1-line block ×3, first 2 shown]
	v_cmp_lt_u32_e64 s[20:21], v5, v37
	v_cmp_le_i32_e64 s[22:23], v17, v16
	s_and_b64 s[20:21], s[20:21], s[22:23]
	s_or_b64 s[20:21], s[12:13], s[20:21]
	v_cndmask_b32_e64 v8, v9, v5, s[20:21]
	v_cndmask_b32_e64 v18, v50, v37, s[20:21]
	v_add_u32_e32 v19, 1, v8
	v_add_u32_e32 v18, -1, v18
	v_min_u32_e32 v18, v19, v18
	v_lshl_add_u32 v18, v18, 2, v11
	ds_read_b32 v18, v18
	v_cndmask_b32_e64 v5, v5, v19, s[20:21]
	v_cndmask_b32_e64 v9, v19, v9, s[20:21]
	v_cmp_lt_u32_e64 s[22:23], v5, v37
	v_cmp_ge_u32_e64 s[12:13], v9, v50
	s_waitcnt lgkmcnt(0)
	v_cndmask_b32_e64 v24, v18, v16, s[20:21]
	v_cndmask_b32_e64 v25, v17, v18, s[20:21]
	v_cmp_le_i32_e64 s[24:25], v25, v24
	s_and_b64 s[22:23], s[22:23], s[24:25]
	s_or_b64 s[22:23], s[12:13], s[22:23]
	v_cndmask_b32_e64 v18, v9, v5, s[22:23]
	v_cndmask_b32_e64 v19, v50, v37, s[22:23]
	v_add_u32_e32 v20, 1, v18
	v_add_u32_e32 v19, -1, v19
	v_min_u32_e32 v19, v20, v19
	v_lshl_add_u32 v19, v19, 2, v11
	ds_read_b32 v19, v19
	v_lshl_add_u32 v8, v8, 3, v10
	v_lshl_add_u32 v18, v18, 3, v10
	v_cndmask_b32_e64 v14, v15, v14, s[8:9]
	v_cndmask_b32_e64 v15, v16, v17, s[20:21]
	s_waitcnt lgkmcnt(0)
	v_cndmask_b32_e64 v29, v19, v24, s[22:23]
	v_cndmask_b32_e64 v34, v25, v19, s[22:23]
	;; [unrolled: 1-line block ×4, first 2 shown]
	v_cmp_lt_u32_e64 s[24:25], v20, v37
	v_cmp_le_i32_e64 s[28:29], v34, v29
	v_cmp_ge_u32_e64 s[12:13], v19, v50
	s_and_b64 s[24:25], s[24:25], s[28:29]
	s_or_b64 s[12:13], s[12:13], s[24:25]
	v_cndmask_b32_e64 v21, v19, v20, s[12:13]
	v_cndmask_b32_e64 v5, v50, v37, s[12:13]
	v_add_u32_e32 v22, 1, v21
	v_add_u32_e32 v5, -1, v5
	v_min_u32_e32 v5, v22, v5
	v_lshl_add_u32 v5, v5, 2, v11
	ds_read_b32 v23, v5
	ds_read_b64 v[4:5], v4 offset:8192
	ds_read_b64 v[8:9], v8 offset:8192
	s_waitcnt lgkmcnt(2)
	v_cndmask_b32_e64 v51, v23, v29, s[12:13]
	v_cndmask_b32_e64 v52, v34, v23, s[12:13]
	;; [unrolled: 1-line block ×4, first 2 shown]
	v_cmp_lt_u32_e64 s[28:29], v22, v37
	v_cmp_le_i32_e64 s[40:41], v52, v51
	v_cmp_ge_u32_e64 s[24:25], v23, v50
	s_and_b64 s[28:29], s[28:29], s[40:41]
	s_or_b64 s[24:25], s[24:25], s[28:29]
	v_cndmask_b32_e64 v26, v23, v22, s[24:25]
	v_cndmask_b32_e64 v19, v50, v37, s[24:25]
	v_add_u32_e32 v27, 1, v26
	v_add_u32_e32 v19, -1, v19
	v_min_u32_e32 v19, v27, v19
	v_lshl_add_u32 v19, v19, 2, v11
	ds_read_b32 v28, v19
	v_cndmask_b32_e64 v22, v22, v27, s[24:25]
	v_cndmask_b32_e64 v23, v27, v23, s[24:25]
	v_cmp_lt_u32_e64 s[40:41], v22, v37
	v_cmp_ge_u32_e64 s[28:29], v23, v50
	s_waitcnt lgkmcnt(0)
	v_cndmask_b32_e64 v53, v28, v51, s[24:25]
	v_cndmask_b32_e64 v54, v52, v28, s[24:25]
	v_cmp_le_i32_e64 s[42:43], v54, v53
	s_and_b64 s[40:41], s[40:41], s[42:43]
	s_or_b64 s[28:29], s[28:29], s[40:41]
	v_cndmask_b32_e64 v28, v23, v22, s[28:29]
	v_cndmask_b32_e64 v27, v50, v37, s[28:29]
	v_add_u32_e32 v35, 1, v28
	v_add_u32_e32 v27, -1, v27
	v_min_u32_e32 v27, v35, v27
	v_lshl_add_u32 v27, v27, 2, v11
	ds_read_b32 v55, v27
	v_cndmask_b32_e64 v65, v35, v23, s[28:29]
	v_cndmask_b32_e64 v35, v22, v35, s[28:29]
	v_cmp_lt_u32_e64 s[42:43], v35, v37
	v_cmp_ge_u32_e64 s[40:41], v65, v50
	s_waitcnt lgkmcnt(0)
	v_cndmask_b32_e64 v64, v55, v53, s[28:29]
	v_cndmask_b32_e64 v55, v54, v55, s[28:29]
	v_cmp_le_i32_e64 s[44:45], v55, v64
	s_and_b64 s[42:43], s[42:43], s[44:45]
	s_or_b64 s[40:41], s[40:41], s[42:43]
	v_lshl_add_u32 v26, v26, 3, v10
	v_lshl_add_u32 v28, v28, 3, v10
	v_cndmask_b32_e64 v22, v65, v35, s[40:41]
	v_cndmask_b32_e64 v23, v50, v37, s[40:41]
	ds_read_b64 v[26:27], v26 offset:8192
	ds_read_b64 v[32:33], v28 offset:8192
	v_lshl_add_u32 v28, v22, 3, v10
	v_add_u32_e32 v66, 1, v22
	v_add_u32_e32 v22, -1, v23
	v_min_u32_e32 v22, v66, v22
	v_lshl_add_u32 v20, v21, 3, v10
	v_lshl_add_u32 v67, v22, 2, v11
	ds_read_b64 v[18:19], v18 offset:8192
	ds_read_b64 v[20:21], v20 offset:8192
	;; [unrolled: 1-line block ×3, first 2 shown]
	ds_read_b32 v67, v67
	v_cndmask_b32_e64 v28, v24, v25, s[22:23]
	v_cndmask_b32_e64 v24, v35, v66, s[40:41]
	;; [unrolled: 1-line block ×4, first 2 shown]
	s_waitcnt lgkmcnt(0)
	v_cndmask_b32_e64 v17, v67, v64, s[40:41]
	v_cndmask_b32_e64 v67, v55, v67, s[40:41]
	v_cmp_lt_u32_e64 s[12:13], v24, v37
	v_cmp_le_i32_e64 s[20:21], v67, v17
	v_cmp_ge_u32_e64 s[8:9], v16, v50
	s_and_b64 s[12:13], s[12:13], s[20:21]
	s_or_b64 s[8:9], s[8:9], s[12:13]
	v_cndmask_b32_e64 v16, v16, v24, s[8:9]
	v_lshl_add_u32 v16, v16, 3, v10
	ds_read_b64 v[34:35], v16 offset:8192
	v_cndmask_b32_e64 v24, v51, v52, s[24:25]
	v_cndmask_b32_e64 v25, v53, v54, s[28:29]
	;; [unrolled: 1-line block ×4, first 2 shown]
.LBB614_194:
	s_or_b64 exec, exec, s[56:57]
	v_add_u32_e32 v37, 0x2000, v36
	; wave barrier
	ds_write2_b64 v37, v[4:5], v[8:9] offset1:1
	v_add_u32_e32 v37, 0x2010, v36
	ds_write2_b64 v31, v[14:15], v[28:29] offset1:1
	ds_write2_b64 v37, v[18:19], v[20:21] offset1:1
	v_add_u32_e32 v37, 0x2020, v36
	ds_write2_b64 v37, v[26:27], v[32:33] offset1:1
	v_add_u32_e32 v37, 0x2030, v36
	v_and_b32_e32 v53, 0x3e0, v48
	ds_write2_b64 v31, v[24:25], v[16:17] offset0:2 offset1:3
	s_waitcnt lgkmcnt(5)
	ds_write2_b64 v37, v[22:23], v[34:35] offset1:1
	v_or_b32_e32 v37, 16, v53
	v_min_u32_e32 v37, v30, v37
	v_add_u32_e32 v50, 16, v37
	v_min_u32_e32 v50, v30, v50
	v_and_b32_e32 v51, 24, v48
	v_min_u32_e32 v54, v30, v51
	v_sub_u32_e32 v55, v37, v53
	v_sub_u32_e32 v52, v50, v37
	v_sub_u32_e64 v52, v54, v52 clamp
	v_min_u32_e32 v55, v54, v55
	v_lshl_add_u32 v51, v53, 2, v11
	v_cmp_lt_u32_e64 s[8:9], v52, v55
	; wave barrier
	s_and_saveexec_b64 s[12:13], s[8:9]
	s_cbranch_execz .LBB614_198
; %bb.195:
	v_lshlrev_b32_e32 v64, 2, v37
	v_lshlrev_b32_e32 v65, 2, v54
	v_add3_u32 v64, v11, v64, v65
	s_mov_b64 s[20:21], 0
.LBB614_196:                            ; =>This Inner Loop Header: Depth=1
	v_add_u32_e32 v65, v55, v52
	v_lshrrev_b32_e32 v65, 1, v65
	v_not_b32_e32 v66, v65
	v_lshl_add_u32 v67, v65, 2, v51
	v_lshl_add_u32 v66, v66, 2, v64
	ds_read_b32 v67, v67
	ds_read_b32 v66, v66
	v_add_u32_e32 v68, 1, v65
	s_waitcnt lgkmcnt(0)
	v_cmp_gt_i32_e64 s[8:9], v67, v66
	v_cndmask_b32_e64 v55, v55, v65, s[8:9]
	v_cndmask_b32_e64 v52, v68, v52, s[8:9]
	v_cmp_ge_u32_e64 s[8:9], v52, v55
	s_or_b64 s[20:21], s[8:9], s[20:21]
	s_andn2_b64 exec, exec, s[20:21]
	s_cbranch_execnz .LBB614_196
; %bb.197:
	s_or_b64 exec, exec, s[20:21]
.LBB614_198:
	s_or_b64 exec, exec, s[12:13]
	v_add_u32_e32 v54, v37, v54
	v_add_u32_e32 v53, v52, v53
	v_sub_u32_e32 v54, v54, v52
	v_cmp_le_u32_e64 s[8:9], v53, v37
	v_cmp_le_u32_e64 s[12:13], v54, v50
	s_or_b64 s[8:9], s[8:9], s[12:13]
	s_and_saveexec_b64 s[56:57], s[8:9]
	s_cbranch_execz .LBB614_204
; %bb.199:
	v_cmp_lt_u32_e64 s[8:9], v53, v37
                                        ; implicit-def: $vgpr14
	s_and_saveexec_b64 s[12:13], s[8:9]
; %bb.200:
	v_lshl_add_u32 v4, v52, 2, v51
	ds_read_b32 v14, v4
; %bb.201:
	s_or_b64 exec, exec, s[12:13]
	v_cmp_ge_u32_e64 s[20:21], v54, v50
	v_cmp_lt_u32_e64 s[12:13], v54, v50
                                        ; implicit-def: $vgpr15
	s_and_saveexec_b64 s[22:23], s[12:13]
; %bb.202:
	v_lshl_add_u32 v4, v54, 2, v11
	ds_read_b32 v15, v4
; %bb.203:
	s_or_b64 exec, exec, s[22:23]
	s_waitcnt lgkmcnt(0)
	v_cmp_le_i32_e64 s[12:13], v14, v15
	s_and_b64 s[8:9], s[8:9], s[12:13]
	s_or_b64 s[8:9], s[20:21], s[8:9]
	v_cndmask_b32_e64 v4, v54, v53, s[8:9]
	v_cndmask_b32_e64 v5, v50, v37, s[8:9]
	v_add_u32_e32 v8, 1, v4
	v_add_u32_e32 v5, -1, v5
	v_min_u32_e32 v5, v8, v5
	v_lshl_add_u32 v5, v5, 2, v11
	ds_read_b32 v5, v5
	v_cndmask_b32_e64 v9, v8, v54, s[8:9]
	v_cmp_ge_u32_e64 s[12:13], v9, v50
	v_lshl_add_u32 v4, v4, 3, v10
	s_waitcnt lgkmcnt(0)
	v_cndmask_b32_e64 v16, v5, v15, s[8:9]
	v_cndmask_b32_e64 v17, v14, v5, s[8:9]
	;; [unrolled: 1-line block ×3, first 2 shown]
	v_cmp_lt_u32_e64 s[20:21], v5, v37
	v_cmp_le_i32_e64 s[22:23], v17, v16
	s_and_b64 s[20:21], s[20:21], s[22:23]
	s_or_b64 s[20:21], s[12:13], s[20:21]
	v_cndmask_b32_e64 v8, v9, v5, s[20:21]
	v_cndmask_b32_e64 v18, v50, v37, s[20:21]
	v_add_u32_e32 v19, 1, v8
	v_add_u32_e32 v18, -1, v18
	v_min_u32_e32 v18, v19, v18
	v_lshl_add_u32 v18, v18, 2, v11
	ds_read_b32 v18, v18
	v_cndmask_b32_e64 v5, v5, v19, s[20:21]
	v_cndmask_b32_e64 v9, v19, v9, s[20:21]
	v_cmp_lt_u32_e64 s[22:23], v5, v37
	v_cmp_ge_u32_e64 s[12:13], v9, v50
	s_waitcnt lgkmcnt(0)
	v_cndmask_b32_e64 v24, v18, v16, s[20:21]
	v_cndmask_b32_e64 v25, v17, v18, s[20:21]
	v_cmp_le_i32_e64 s[24:25], v25, v24
	s_and_b64 s[22:23], s[22:23], s[24:25]
	s_or_b64 s[22:23], s[12:13], s[22:23]
	v_cndmask_b32_e64 v18, v9, v5, s[22:23]
	v_cndmask_b32_e64 v19, v50, v37, s[22:23]
	v_add_u32_e32 v20, 1, v18
	v_add_u32_e32 v19, -1, v19
	v_min_u32_e32 v19, v20, v19
	v_lshl_add_u32 v19, v19, 2, v11
	ds_read_b32 v19, v19
	v_lshl_add_u32 v8, v8, 3, v10
	v_lshl_add_u32 v18, v18, 3, v10
	v_cndmask_b32_e64 v14, v15, v14, s[8:9]
	v_cndmask_b32_e64 v15, v16, v17, s[20:21]
	s_waitcnt lgkmcnt(0)
	v_cndmask_b32_e64 v29, v19, v24, s[22:23]
	v_cndmask_b32_e64 v34, v25, v19, s[22:23]
	;; [unrolled: 1-line block ×4, first 2 shown]
	v_cmp_lt_u32_e64 s[24:25], v20, v37
	v_cmp_le_i32_e64 s[28:29], v34, v29
	v_cmp_ge_u32_e64 s[12:13], v19, v50
	s_and_b64 s[24:25], s[24:25], s[28:29]
	s_or_b64 s[12:13], s[12:13], s[24:25]
	v_cndmask_b32_e64 v21, v19, v20, s[12:13]
	v_cndmask_b32_e64 v5, v50, v37, s[12:13]
	v_add_u32_e32 v22, 1, v21
	v_add_u32_e32 v5, -1, v5
	v_min_u32_e32 v5, v22, v5
	v_lshl_add_u32 v5, v5, 2, v11
	ds_read_b32 v23, v5
	ds_read_b64 v[4:5], v4 offset:8192
	ds_read_b64 v[8:9], v8 offset:8192
	s_waitcnt lgkmcnt(2)
	v_cndmask_b32_e64 v51, v23, v29, s[12:13]
	v_cndmask_b32_e64 v52, v34, v23, s[12:13]
	;; [unrolled: 1-line block ×4, first 2 shown]
	v_cmp_lt_u32_e64 s[28:29], v22, v37
	v_cmp_le_i32_e64 s[40:41], v52, v51
	v_cmp_ge_u32_e64 s[24:25], v23, v50
	s_and_b64 s[28:29], s[28:29], s[40:41]
	s_or_b64 s[24:25], s[24:25], s[28:29]
	v_cndmask_b32_e64 v26, v23, v22, s[24:25]
	v_cndmask_b32_e64 v19, v50, v37, s[24:25]
	v_add_u32_e32 v27, 1, v26
	v_add_u32_e32 v19, -1, v19
	v_min_u32_e32 v19, v27, v19
	v_lshl_add_u32 v19, v19, 2, v11
	ds_read_b32 v28, v19
	v_cndmask_b32_e64 v22, v22, v27, s[24:25]
	v_cndmask_b32_e64 v23, v27, v23, s[24:25]
	v_cmp_lt_u32_e64 s[40:41], v22, v37
	v_cmp_ge_u32_e64 s[28:29], v23, v50
	s_waitcnt lgkmcnt(0)
	v_cndmask_b32_e64 v53, v28, v51, s[24:25]
	v_cndmask_b32_e64 v54, v52, v28, s[24:25]
	v_cmp_le_i32_e64 s[42:43], v54, v53
	s_and_b64 s[40:41], s[40:41], s[42:43]
	s_or_b64 s[28:29], s[28:29], s[40:41]
	v_cndmask_b32_e64 v28, v23, v22, s[28:29]
	v_cndmask_b32_e64 v27, v50, v37, s[28:29]
	v_add_u32_e32 v35, 1, v28
	v_add_u32_e32 v27, -1, v27
	v_min_u32_e32 v27, v35, v27
	v_lshl_add_u32 v27, v27, 2, v11
	ds_read_b32 v55, v27
	v_cndmask_b32_e64 v65, v35, v23, s[28:29]
	v_cndmask_b32_e64 v35, v22, v35, s[28:29]
	v_cmp_lt_u32_e64 s[42:43], v35, v37
	v_cmp_ge_u32_e64 s[40:41], v65, v50
	s_waitcnt lgkmcnt(0)
	v_cndmask_b32_e64 v64, v55, v53, s[28:29]
	v_cndmask_b32_e64 v55, v54, v55, s[28:29]
	v_cmp_le_i32_e64 s[44:45], v55, v64
	s_and_b64 s[42:43], s[42:43], s[44:45]
	s_or_b64 s[40:41], s[40:41], s[42:43]
	v_lshl_add_u32 v26, v26, 3, v10
	v_lshl_add_u32 v28, v28, 3, v10
	v_cndmask_b32_e64 v22, v65, v35, s[40:41]
	v_cndmask_b32_e64 v23, v50, v37, s[40:41]
	ds_read_b64 v[26:27], v26 offset:8192
	ds_read_b64 v[32:33], v28 offset:8192
	v_lshl_add_u32 v28, v22, 3, v10
	v_add_u32_e32 v66, 1, v22
	v_add_u32_e32 v22, -1, v23
	v_min_u32_e32 v22, v66, v22
	v_lshl_add_u32 v20, v21, 3, v10
	v_lshl_add_u32 v67, v22, 2, v11
	ds_read_b64 v[18:19], v18 offset:8192
	ds_read_b64 v[20:21], v20 offset:8192
	ds_read_b64 v[22:23], v28 offset:8192
	ds_read_b32 v67, v67
	v_cndmask_b32_e64 v28, v24, v25, s[22:23]
	v_cndmask_b32_e64 v24, v35, v66, s[40:41]
	;; [unrolled: 1-line block ×4, first 2 shown]
	s_waitcnt lgkmcnt(0)
	v_cndmask_b32_e64 v17, v67, v64, s[40:41]
	v_cndmask_b32_e64 v67, v55, v67, s[40:41]
	v_cmp_lt_u32_e64 s[12:13], v24, v37
	v_cmp_le_i32_e64 s[20:21], v67, v17
	v_cmp_ge_u32_e64 s[8:9], v16, v50
	s_and_b64 s[12:13], s[12:13], s[20:21]
	s_or_b64 s[8:9], s[8:9], s[12:13]
	v_cndmask_b32_e64 v16, v16, v24, s[8:9]
	v_lshl_add_u32 v16, v16, 3, v10
	ds_read_b64 v[34:35], v16 offset:8192
	v_cndmask_b32_e64 v24, v51, v52, s[24:25]
	v_cndmask_b32_e64 v25, v53, v54, s[28:29]
	;; [unrolled: 1-line block ×4, first 2 shown]
.LBB614_204:
	s_or_b64 exec, exec, s[56:57]
	v_add_u32_e32 v37, 0x2000, v36
	; wave barrier
	ds_write2_b64 v37, v[4:5], v[8:9] offset1:1
	v_add_u32_e32 v37, 0x2010, v36
	ds_write2_b64 v31, v[14:15], v[28:29] offset1:1
	ds_write2_b64 v37, v[18:19], v[20:21] offset1:1
	v_add_u32_e32 v37, 0x2020, v36
	ds_write2_b64 v37, v[26:27], v[32:33] offset1:1
	v_add_u32_e32 v37, 0x2030, v36
	v_and_b32_e32 v53, 0x3c0, v48
	ds_write2_b64 v31, v[24:25], v[16:17] offset0:2 offset1:3
	s_waitcnt lgkmcnt(5)
	ds_write2_b64 v37, v[22:23], v[34:35] offset1:1
	v_or_b32_e32 v37, 32, v53
	v_min_u32_e32 v37, v30, v37
	v_add_u32_e32 v50, 32, v37
	v_min_u32_e32 v50, v30, v50
	v_and_b32_e32 v51, 56, v48
	v_min_u32_e32 v54, v30, v51
	v_sub_u32_e32 v55, v37, v53
	v_sub_u32_e32 v52, v50, v37
	v_sub_u32_e64 v52, v54, v52 clamp
	v_min_u32_e32 v55, v54, v55
	v_lshl_add_u32 v51, v53, 2, v11
	v_cmp_lt_u32_e64 s[8:9], v52, v55
	; wave barrier
	s_and_saveexec_b64 s[12:13], s[8:9]
	s_cbranch_execz .LBB614_208
; %bb.205:
	v_lshlrev_b32_e32 v64, 2, v37
	v_lshlrev_b32_e32 v65, 2, v54
	v_add3_u32 v64, v11, v64, v65
	s_mov_b64 s[20:21], 0
.LBB614_206:                            ; =>This Inner Loop Header: Depth=1
	v_add_u32_e32 v65, v55, v52
	v_lshrrev_b32_e32 v65, 1, v65
	v_not_b32_e32 v66, v65
	v_lshl_add_u32 v67, v65, 2, v51
	v_lshl_add_u32 v66, v66, 2, v64
	ds_read_b32 v67, v67
	ds_read_b32 v66, v66
	v_add_u32_e32 v68, 1, v65
	s_waitcnt lgkmcnt(0)
	v_cmp_gt_i32_e64 s[8:9], v67, v66
	v_cndmask_b32_e64 v55, v55, v65, s[8:9]
	v_cndmask_b32_e64 v52, v68, v52, s[8:9]
	v_cmp_ge_u32_e64 s[8:9], v52, v55
	s_or_b64 s[20:21], s[8:9], s[20:21]
	s_andn2_b64 exec, exec, s[20:21]
	s_cbranch_execnz .LBB614_206
; %bb.207:
	s_or_b64 exec, exec, s[20:21]
.LBB614_208:
	s_or_b64 exec, exec, s[12:13]
	v_add_u32_e32 v54, v37, v54
	v_add_u32_e32 v53, v52, v53
	v_sub_u32_e32 v54, v54, v52
	v_cmp_le_u32_e64 s[8:9], v53, v37
	v_cmp_le_u32_e64 s[12:13], v54, v50
	s_or_b64 s[8:9], s[8:9], s[12:13]
	s_and_saveexec_b64 s[56:57], s[8:9]
	s_cbranch_execz .LBB614_214
; %bb.209:
	v_cmp_lt_u32_e64 s[8:9], v53, v37
                                        ; implicit-def: $vgpr14
	s_and_saveexec_b64 s[12:13], s[8:9]
; %bb.210:
	v_lshl_add_u32 v4, v52, 2, v51
	ds_read_b32 v14, v4
; %bb.211:
	s_or_b64 exec, exec, s[12:13]
	v_cmp_ge_u32_e64 s[20:21], v54, v50
	v_cmp_lt_u32_e64 s[12:13], v54, v50
                                        ; implicit-def: $vgpr15
	s_and_saveexec_b64 s[22:23], s[12:13]
; %bb.212:
	v_lshl_add_u32 v4, v54, 2, v11
	ds_read_b32 v15, v4
; %bb.213:
	s_or_b64 exec, exec, s[22:23]
	s_waitcnt lgkmcnt(0)
	v_cmp_le_i32_e64 s[12:13], v14, v15
	s_and_b64 s[8:9], s[8:9], s[12:13]
	s_or_b64 s[8:9], s[20:21], s[8:9]
	v_cndmask_b32_e64 v4, v54, v53, s[8:9]
	v_cndmask_b32_e64 v5, v50, v37, s[8:9]
	v_add_u32_e32 v8, 1, v4
	v_add_u32_e32 v5, -1, v5
	v_min_u32_e32 v5, v8, v5
	v_lshl_add_u32 v5, v5, 2, v11
	ds_read_b32 v5, v5
	v_cndmask_b32_e64 v9, v8, v54, s[8:9]
	v_cmp_ge_u32_e64 s[12:13], v9, v50
	v_lshl_add_u32 v4, v4, 3, v10
	s_waitcnt lgkmcnt(0)
	v_cndmask_b32_e64 v16, v5, v15, s[8:9]
	v_cndmask_b32_e64 v17, v14, v5, s[8:9]
	;; [unrolled: 1-line block ×3, first 2 shown]
	v_cmp_lt_u32_e64 s[20:21], v5, v37
	v_cmp_le_i32_e64 s[22:23], v17, v16
	s_and_b64 s[20:21], s[20:21], s[22:23]
	s_or_b64 s[20:21], s[12:13], s[20:21]
	v_cndmask_b32_e64 v8, v9, v5, s[20:21]
	v_cndmask_b32_e64 v18, v50, v37, s[20:21]
	v_add_u32_e32 v19, 1, v8
	v_add_u32_e32 v18, -1, v18
	v_min_u32_e32 v18, v19, v18
	v_lshl_add_u32 v18, v18, 2, v11
	ds_read_b32 v18, v18
	v_cndmask_b32_e64 v5, v5, v19, s[20:21]
	v_cndmask_b32_e64 v9, v19, v9, s[20:21]
	v_cmp_lt_u32_e64 s[22:23], v5, v37
	v_cmp_ge_u32_e64 s[12:13], v9, v50
	s_waitcnt lgkmcnt(0)
	v_cndmask_b32_e64 v24, v18, v16, s[20:21]
	v_cndmask_b32_e64 v25, v17, v18, s[20:21]
	v_cmp_le_i32_e64 s[24:25], v25, v24
	s_and_b64 s[22:23], s[22:23], s[24:25]
	s_or_b64 s[22:23], s[12:13], s[22:23]
	v_cndmask_b32_e64 v18, v9, v5, s[22:23]
	v_cndmask_b32_e64 v19, v50, v37, s[22:23]
	v_add_u32_e32 v20, 1, v18
	v_add_u32_e32 v19, -1, v19
	v_min_u32_e32 v19, v20, v19
	v_lshl_add_u32 v19, v19, 2, v11
	ds_read_b32 v19, v19
	v_lshl_add_u32 v8, v8, 3, v10
	v_lshl_add_u32 v18, v18, 3, v10
	v_cndmask_b32_e64 v14, v15, v14, s[8:9]
	v_cndmask_b32_e64 v15, v16, v17, s[20:21]
	s_waitcnt lgkmcnt(0)
	v_cndmask_b32_e64 v29, v19, v24, s[22:23]
	v_cndmask_b32_e64 v34, v25, v19, s[22:23]
	;; [unrolled: 1-line block ×4, first 2 shown]
	v_cmp_lt_u32_e64 s[24:25], v20, v37
	v_cmp_le_i32_e64 s[28:29], v34, v29
	v_cmp_ge_u32_e64 s[12:13], v19, v50
	s_and_b64 s[24:25], s[24:25], s[28:29]
	s_or_b64 s[12:13], s[12:13], s[24:25]
	v_cndmask_b32_e64 v21, v19, v20, s[12:13]
	v_cndmask_b32_e64 v5, v50, v37, s[12:13]
	v_add_u32_e32 v22, 1, v21
	v_add_u32_e32 v5, -1, v5
	v_min_u32_e32 v5, v22, v5
	v_lshl_add_u32 v5, v5, 2, v11
	ds_read_b32 v23, v5
	ds_read_b64 v[4:5], v4 offset:8192
	ds_read_b64 v[8:9], v8 offset:8192
	s_waitcnt lgkmcnt(2)
	v_cndmask_b32_e64 v51, v23, v29, s[12:13]
	v_cndmask_b32_e64 v52, v34, v23, s[12:13]
	;; [unrolled: 1-line block ×4, first 2 shown]
	v_cmp_lt_u32_e64 s[28:29], v22, v37
	v_cmp_le_i32_e64 s[40:41], v52, v51
	v_cmp_ge_u32_e64 s[24:25], v23, v50
	s_and_b64 s[28:29], s[28:29], s[40:41]
	s_or_b64 s[24:25], s[24:25], s[28:29]
	v_cndmask_b32_e64 v26, v23, v22, s[24:25]
	v_cndmask_b32_e64 v19, v50, v37, s[24:25]
	v_add_u32_e32 v27, 1, v26
	v_add_u32_e32 v19, -1, v19
	v_min_u32_e32 v19, v27, v19
	v_lshl_add_u32 v19, v19, 2, v11
	ds_read_b32 v28, v19
	v_cndmask_b32_e64 v22, v22, v27, s[24:25]
	v_cndmask_b32_e64 v23, v27, v23, s[24:25]
	v_cmp_lt_u32_e64 s[40:41], v22, v37
	v_cmp_ge_u32_e64 s[28:29], v23, v50
	s_waitcnt lgkmcnt(0)
	v_cndmask_b32_e64 v53, v28, v51, s[24:25]
	v_cndmask_b32_e64 v54, v52, v28, s[24:25]
	v_cmp_le_i32_e64 s[42:43], v54, v53
	s_and_b64 s[40:41], s[40:41], s[42:43]
	s_or_b64 s[28:29], s[28:29], s[40:41]
	v_cndmask_b32_e64 v28, v23, v22, s[28:29]
	v_cndmask_b32_e64 v27, v50, v37, s[28:29]
	v_add_u32_e32 v35, 1, v28
	v_add_u32_e32 v27, -1, v27
	v_min_u32_e32 v27, v35, v27
	v_lshl_add_u32 v27, v27, 2, v11
	ds_read_b32 v55, v27
	v_cndmask_b32_e64 v65, v35, v23, s[28:29]
	v_cndmask_b32_e64 v35, v22, v35, s[28:29]
	v_cmp_lt_u32_e64 s[42:43], v35, v37
	v_cmp_ge_u32_e64 s[40:41], v65, v50
	s_waitcnt lgkmcnt(0)
	v_cndmask_b32_e64 v64, v55, v53, s[28:29]
	v_cndmask_b32_e64 v55, v54, v55, s[28:29]
	v_cmp_le_i32_e64 s[44:45], v55, v64
	s_and_b64 s[42:43], s[42:43], s[44:45]
	s_or_b64 s[40:41], s[40:41], s[42:43]
	v_lshl_add_u32 v26, v26, 3, v10
	v_lshl_add_u32 v28, v28, 3, v10
	v_cndmask_b32_e64 v22, v65, v35, s[40:41]
	v_cndmask_b32_e64 v23, v50, v37, s[40:41]
	ds_read_b64 v[26:27], v26 offset:8192
	ds_read_b64 v[32:33], v28 offset:8192
	v_lshl_add_u32 v28, v22, 3, v10
	v_add_u32_e32 v66, 1, v22
	v_add_u32_e32 v22, -1, v23
	v_min_u32_e32 v22, v66, v22
	v_lshl_add_u32 v20, v21, 3, v10
	v_lshl_add_u32 v67, v22, 2, v11
	ds_read_b64 v[18:19], v18 offset:8192
	ds_read_b64 v[20:21], v20 offset:8192
	;; [unrolled: 1-line block ×3, first 2 shown]
	ds_read_b32 v67, v67
	v_cndmask_b32_e64 v28, v24, v25, s[22:23]
	v_cndmask_b32_e64 v24, v35, v66, s[40:41]
	;; [unrolled: 1-line block ×4, first 2 shown]
	s_waitcnt lgkmcnt(0)
	v_cndmask_b32_e64 v17, v67, v64, s[40:41]
	v_cndmask_b32_e64 v67, v55, v67, s[40:41]
	v_cmp_lt_u32_e64 s[12:13], v24, v37
	v_cmp_le_i32_e64 s[20:21], v67, v17
	v_cmp_ge_u32_e64 s[8:9], v16, v50
	s_and_b64 s[12:13], s[12:13], s[20:21]
	s_or_b64 s[8:9], s[8:9], s[12:13]
	v_cndmask_b32_e64 v16, v16, v24, s[8:9]
	v_lshl_add_u32 v16, v16, 3, v10
	ds_read_b64 v[34:35], v16 offset:8192
	v_cndmask_b32_e64 v24, v51, v52, s[24:25]
	v_cndmask_b32_e64 v25, v53, v54, s[28:29]
	;; [unrolled: 1-line block ×4, first 2 shown]
.LBB614_214:
	s_or_b64 exec, exec, s[56:57]
	v_add_u32_e32 v37, 0x2000, v36
	; wave barrier
	ds_write2_b64 v37, v[4:5], v[8:9] offset1:1
	v_add_u32_e32 v37, 0x2010, v36
	ds_write2_b64 v31, v[14:15], v[28:29] offset1:1
	ds_write2_b64 v37, v[18:19], v[20:21] offset1:1
	v_add_u32_e32 v37, 0x2020, v36
	v_and_b32_e32 v48, 0x380, v48
	ds_write2_b64 v37, v[26:27], v[32:33] offset1:1
	v_add_u32_e32 v36, 0x2030, v36
	ds_write2_b64 v31, v[24:25], v[16:17] offset0:2 offset1:3
	s_waitcnt lgkmcnt(5)
	ds_write2_b64 v36, v[22:23], v[34:35] offset1:1
	v_or_b32_e32 v31, 64, v48
	v_min_u32_e32 v31, v30, v31
	v_add_u32_e32 v36, 64, v31
	v_min_u32_e32 v36, v30, v36
	v_min_u32_e32 v49, v30, v49
	v_sub_u32_e32 v50, v31, v48
	v_sub_u32_e32 v37, v36, v31
	v_sub_u32_e64 v37, v49, v37 clamp
	v_min_u32_e32 v50, v49, v50
	v_lshl_add_u32 v30, v48, 2, v11
	v_cmp_lt_u32_e64 s[8:9], v37, v50
	; wave barrier
	s_and_saveexec_b64 s[12:13], s[8:9]
	s_cbranch_execz .LBB614_218
; %bb.215:
	v_lshlrev_b32_e32 v51, 2, v31
	v_lshlrev_b32_e32 v52, 2, v49
	v_add3_u32 v51, v11, v51, v52
	s_mov_b64 s[20:21], 0
.LBB614_216:                            ; =>This Inner Loop Header: Depth=1
	v_add_u32_e32 v52, v50, v37
	v_lshrrev_b32_e32 v52, 1, v52
	v_not_b32_e32 v53, v52
	v_lshl_add_u32 v54, v52, 2, v30
	v_lshl_add_u32 v53, v53, 2, v51
	ds_read_b32 v54, v54
	ds_read_b32 v53, v53
	v_add_u32_e32 v55, 1, v52
	s_waitcnt lgkmcnt(0)
	v_cmp_gt_i32_e64 s[8:9], v54, v53
	v_cndmask_b32_e64 v50, v50, v52, s[8:9]
	v_cndmask_b32_e64 v37, v55, v37, s[8:9]
	v_cmp_ge_u32_e64 s[8:9], v37, v50
	s_or_b64 s[20:21], s[8:9], s[20:21]
	s_andn2_b64 exec, exec, s[20:21]
	s_cbranch_execnz .LBB614_216
; %bb.217:
	s_or_b64 exec, exec, s[20:21]
.LBB614_218:
	s_or_b64 exec, exec, s[12:13]
	v_add_u32_e32 v49, v31, v49
	v_add_u32_e32 v48, v37, v48
	v_sub_u32_e32 v49, v49, v37
	v_cmp_le_u32_e64 s[8:9], v48, v31
	v_cmp_le_u32_e64 s[12:13], v49, v36
	s_or_b64 s[8:9], s[8:9], s[12:13]
	s_and_saveexec_b64 s[56:57], s[8:9]
	s_cbranch_execz .LBB614_224
; %bb.219:
	v_cmp_lt_u32_e64 s[8:9], v48, v31
                                        ; implicit-def: $vgpr14
	s_and_saveexec_b64 s[12:13], s[8:9]
; %bb.220:
	v_lshl_add_u32 v4, v37, 2, v30
	ds_read_b32 v14, v4
; %bb.221:
	s_or_b64 exec, exec, s[12:13]
	v_cmp_ge_u32_e64 s[20:21], v49, v36
	v_cmp_lt_u32_e64 s[12:13], v49, v36
                                        ; implicit-def: $vgpr15
	s_and_saveexec_b64 s[22:23], s[12:13]
; %bb.222:
	v_lshl_add_u32 v4, v49, 2, v11
	ds_read_b32 v15, v4
; %bb.223:
	s_or_b64 exec, exec, s[22:23]
	s_waitcnt lgkmcnt(0)
	v_cmp_le_i32_e64 s[12:13], v14, v15
	s_and_b64 s[8:9], s[8:9], s[12:13]
	s_or_b64 s[8:9], s[20:21], s[8:9]
	v_cndmask_b32_e64 v4, v49, v48, s[8:9]
	v_cndmask_b32_e64 v5, v36, v31, s[8:9]
	v_add_u32_e32 v8, 1, v4
	v_add_u32_e32 v5, -1, v5
	v_min_u32_e32 v5, v8, v5
	v_lshl_add_u32 v5, v5, 2, v11
	ds_read_b32 v5, v5
	v_cndmask_b32_e64 v9, v8, v49, s[8:9]
	v_cmp_ge_u32_e64 s[12:13], v9, v36
	v_lshl_add_u32 v4, v4, 3, v10
	s_waitcnt lgkmcnt(0)
	v_cndmask_b32_e64 v16, v5, v15, s[8:9]
	v_cndmask_b32_e64 v17, v14, v5, s[8:9]
	;; [unrolled: 1-line block ×3, first 2 shown]
	v_cmp_lt_u32_e64 s[20:21], v5, v31
	v_cmp_le_i32_e64 s[22:23], v17, v16
	s_and_b64 s[20:21], s[20:21], s[22:23]
	s_or_b64 s[20:21], s[12:13], s[20:21]
	v_cndmask_b32_e64 v8, v9, v5, s[20:21]
	v_cndmask_b32_e64 v18, v36, v31, s[20:21]
	v_add_u32_e32 v19, 1, v8
	v_add_u32_e32 v18, -1, v18
	v_min_u32_e32 v18, v19, v18
	v_lshl_add_u32 v18, v18, 2, v11
	ds_read_b32 v18, v18
	v_cndmask_b32_e64 v5, v5, v19, s[20:21]
	v_cndmask_b32_e64 v9, v19, v9, s[20:21]
	v_cmp_lt_u32_e64 s[22:23], v5, v31
	v_cmp_ge_u32_e64 s[12:13], v9, v36
	s_waitcnt lgkmcnt(0)
	v_cndmask_b32_e64 v24, v18, v16, s[20:21]
	v_cndmask_b32_e64 v25, v17, v18, s[20:21]
	v_cmp_le_i32_e64 s[24:25], v25, v24
	s_and_b64 s[22:23], s[22:23], s[24:25]
	s_or_b64 s[22:23], s[12:13], s[22:23]
	v_cndmask_b32_e64 v18, v9, v5, s[22:23]
	v_cndmask_b32_e64 v19, v36, v31, s[22:23]
	v_add_u32_e32 v20, 1, v18
	v_add_u32_e32 v19, -1, v19
	v_min_u32_e32 v19, v20, v19
	v_lshl_add_u32 v19, v19, 2, v11
	ds_read_b32 v19, v19
	v_lshl_add_u32 v8, v8, 3, v10
	v_lshl_add_u32 v18, v18, 3, v10
	v_cndmask_b32_e64 v14, v15, v14, s[8:9]
	v_cndmask_b32_e64 v15, v16, v17, s[20:21]
	s_waitcnt lgkmcnt(0)
	v_cndmask_b32_e64 v29, v19, v24, s[22:23]
	v_cndmask_b32_e64 v30, v25, v19, s[22:23]
	;; [unrolled: 1-line block ×4, first 2 shown]
	v_cmp_lt_u32_e64 s[24:25], v20, v31
	v_cmp_le_i32_e64 s[28:29], v30, v29
	v_cmp_ge_u32_e64 s[12:13], v19, v36
	s_and_b64 s[24:25], s[24:25], s[28:29]
	s_or_b64 s[12:13], s[12:13], s[24:25]
	v_cndmask_b32_e64 v21, v19, v20, s[12:13]
	v_cndmask_b32_e64 v5, v36, v31, s[12:13]
	v_add_u32_e32 v22, 1, v21
	v_add_u32_e32 v5, -1, v5
	v_min_u32_e32 v5, v22, v5
	v_lshl_add_u32 v5, v5, 2, v11
	ds_read_b32 v23, v5
	ds_read_b64 v[4:5], v4 offset:8192
	ds_read_b64 v[8:9], v8 offset:8192
	s_waitcnt lgkmcnt(2)
	v_cndmask_b32_e64 v37, v23, v29, s[12:13]
	v_cndmask_b32_e64 v48, v30, v23, s[12:13]
	;; [unrolled: 1-line block ×4, first 2 shown]
	v_cmp_lt_u32_e64 s[28:29], v22, v31
	v_cmp_le_i32_e64 s[40:41], v48, v37
	v_cmp_ge_u32_e64 s[24:25], v23, v36
	s_and_b64 s[28:29], s[28:29], s[40:41]
	s_or_b64 s[24:25], s[24:25], s[28:29]
	v_cndmask_b32_e64 v26, v23, v22, s[24:25]
	v_cndmask_b32_e64 v19, v36, v31, s[24:25]
	v_add_u32_e32 v27, 1, v26
	v_add_u32_e32 v19, -1, v19
	v_min_u32_e32 v19, v27, v19
	v_lshl_add_u32 v19, v19, 2, v11
	ds_read_b32 v28, v19
	v_cndmask_b32_e64 v22, v22, v27, s[24:25]
	v_cndmask_b32_e64 v23, v27, v23, s[24:25]
	v_cmp_lt_u32_e64 s[40:41], v22, v31
	v_cmp_ge_u32_e64 s[28:29], v23, v36
	s_waitcnt lgkmcnt(0)
	v_cndmask_b32_e64 v49, v28, v37, s[24:25]
	v_cndmask_b32_e64 v50, v48, v28, s[24:25]
	v_cmp_le_i32_e64 s[42:43], v50, v49
	s_and_b64 s[40:41], s[40:41], s[42:43]
	s_or_b64 s[28:29], s[28:29], s[40:41]
	v_cndmask_b32_e64 v28, v23, v22, s[28:29]
	v_cndmask_b32_e64 v27, v36, v31, s[28:29]
	v_add_u32_e32 v34, 1, v28
	v_add_u32_e32 v27, -1, v27
	v_min_u32_e32 v27, v34, v27
	v_lshl_add_u32 v27, v27, 2, v11
	ds_read_b32 v35, v27
	v_lshl_add_u32 v26, v26, 3, v10
	v_lshl_add_u32 v28, v28, 3, v10
	ds_read_b64 v[26:27], v26 offset:8192
	ds_read_b64 v[32:33], v28 offset:8192
	s_waitcnt lgkmcnt(2)
	v_cndmask_b32_e64 v51, v35, v49, s[28:29]
	v_cndmask_b32_e64 v52, v50, v35, s[28:29]
	v_cndmask_b32_e64 v35, v34, v23, s[28:29]
	v_cndmask_b32_e64 v34, v22, v34, s[28:29]
	v_cmp_lt_u32_e64 s[42:43], v34, v31
	v_cmp_le_i32_e64 s[44:45], v52, v51
	v_cmp_ge_u32_e64 s[40:41], v35, v36
	s_and_b64 s[42:43], s[42:43], s[44:45]
	s_or_b64 s[40:41], s[40:41], s[42:43]
	v_cndmask_b32_e64 v22, v35, v34, s[40:41]
	v_cndmask_b32_e64 v23, v36, v31, s[40:41]
	v_lshl_add_u32 v28, v22, 3, v10
	v_add_u32_e32 v53, 1, v22
	v_add_u32_e32 v22, -1, v23
	v_min_u32_e32 v22, v53, v22
	v_lshl_add_u32 v20, v21, 3, v10
	v_lshl_add_u32 v11, v22, 2, v11
	ds_read_b64 v[18:19], v18 offset:8192
	ds_read_b64 v[20:21], v20 offset:8192
	;; [unrolled: 1-line block ×3, first 2 shown]
	ds_read_b32 v11, v11
	v_cndmask_b32_e64 v28, v24, v25, s[22:23]
	v_cndmask_b32_e64 v24, v34, v53, s[40:41]
	;; [unrolled: 1-line block ×4, first 2 shown]
	s_waitcnt lgkmcnt(0)
	v_cndmask_b32_e64 v17, v11, v51, s[40:41]
	v_cndmask_b32_e64 v11, v52, v11, s[40:41]
	v_cmp_lt_u32_e64 s[12:13], v24, v31
	v_cmp_le_i32_e64 s[20:21], v11, v17
	v_cmp_ge_u32_e64 s[8:9], v16, v36
	s_and_b64 s[12:13], s[12:13], s[20:21]
	s_or_b64 s[8:9], s[8:9], s[12:13]
	v_cndmask_b32_e64 v16, v16, v24, s[8:9]
	v_lshl_add_u32 v10, v16, 3, v10
	ds_read_b64 v[34:35], v10 offset:8192
	v_cndmask_b32_e64 v24, v37, v48, s[24:25]
	v_cndmask_b32_e64 v25, v49, v50, s[28:29]
	;; [unrolled: 1-line block ×4, first 2 shown]
.LBB614_224:
	s_or_b64 exec, exec, s[56:57]
	; wave barrier
	s_waitcnt lgkmcnt(0)
	s_barrier
.LBB614_225:
	s_or_b64 exec, exec, s[46:47]
	v_add_co_u32_e64 v2, s[8:9], v2, v12
	v_addc_co_u32_e64 v3, s[8:9], v3, v13, s[8:9]
	v_add_co_u32_e64 v2, s[8:9], v2, v38
	v_addc_co_u32_e64 v3, s[8:9], 0, v3, s[8:9]
	s_waitcnt lgkmcnt(0)
	; wave barrier
	s_and_saveexec_b64 s[8:9], vcc
	s_cbranch_execnz .LBB614_250
; %bb.226:
	s_or_b64 exec, exec, s[8:9]
	s_and_saveexec_b64 s[8:9], s[4:5]
	s_cbranch_execnz .LBB614_251
.LBB614_227:
	s_or_b64 exec, exec, s[8:9]
	s_and_saveexec_b64 s[8:9], s[6:7]
	s_cbranch_execnz .LBB614_252
.LBB614_228:
	s_or_b64 exec, exec, s[8:9]
	s_and_saveexec_b64 s[8:9], s[18:19]
	s_cbranch_execnz .LBB614_253
.LBB614_229:
	s_or_b64 exec, exec, s[8:9]
	s_and_saveexec_b64 s[8:9], s[10:11]
	s_cbranch_execnz .LBB614_254
.LBB614_230:
	s_or_b64 exec, exec, s[8:9]
	s_and_saveexec_b64 s[8:9], s[26:27]
	s_cbranch_execnz .LBB614_255
.LBB614_231:
	s_or_b64 exec, exec, s[8:9]
	s_and_saveexec_b64 s[8:9], s[14:15]
	s_cbranch_execnz .LBB614_256
.LBB614_232:
	s_or_b64 exec, exec, s[8:9]
	s_and_saveexec_b64 s[8:9], s[16:17]
	s_cbranch_execz .LBB614_234
.LBB614_233:
	s_waitcnt vmcnt(0)
	flat_store_dword v[2:3], v17 offset:28
.LBB614_234:
	s_or_b64 exec, exec, s[8:9]
	v_add_co_u32_e64 v0, s[8:9], v6, v0
	v_addc_co_u32_e64 v1, s[8:9], v7, v1, s[8:9]
	v_add_co_u32_e64 v0, s[8:9], v0, v39
	v_addc_co_u32_e64 v1, s[8:9], 0, v1, s[8:9]
	; wave barrier
	s_and_saveexec_b64 s[8:9], vcc
	s_cbranch_execnz .LBB614_257
; %bb.235:
	s_or_b64 exec, exec, s[8:9]
	s_and_saveexec_b64 s[8:9], s[4:5]
	s_cbranch_execnz .LBB614_258
.LBB614_236:
	s_or_b64 exec, exec, s[8:9]
	s_and_saveexec_b64 s[4:5], s[6:7]
	s_cbranch_execnz .LBB614_259
.LBB614_237:
	s_or_b64 exec, exec, s[4:5]
	s_and_saveexec_b64 s[4:5], s[18:19]
	s_cbranch_execnz .LBB614_260
.LBB614_238:
	s_or_b64 exec, exec, s[4:5]
	s_and_saveexec_b64 s[4:5], s[10:11]
	s_cbranch_execnz .LBB614_261
.LBB614_239:
	s_or_b64 exec, exec, s[4:5]
	s_and_saveexec_b64 s[4:5], s[26:27]
	s_cbranch_execnz .LBB614_262
.LBB614_240:
	s_or_b64 exec, exec, s[4:5]
	s_and_saveexec_b64 s[4:5], s[14:15]
	s_cbranch_execnz .LBB614_263
.LBB614_241:
	s_or_b64 exec, exec, s[4:5]
	s_and_saveexec_b64 s[4:5], s[16:17]
	s_cbranch_execnz .LBB614_264
.LBB614_242:
	s_or_b64 exec, exec, s[4:5]
	s_waitcnt vmcnt(0) lgkmcnt(0)
	s_setpc_b64 s[30:31]
.LBB614_243:
	flat_load_dwordx2 v[4:5], v[36:37]
	s_or_b64 exec, exec, s[20:21]
	s_and_saveexec_b64 s[20:21], s[4:5]
                                        ; implicit-def: $vgpr8_vgpr9
	s_cbranch_execz .LBB614_18
.LBB614_244:
	flat_load_dwordx2 v[8:9], v[36:37] offset:8
	s_or_b64 exec, exec, s[20:21]
                                        ; implicit-def: $vgpr18_vgpr19
	s_and_saveexec_b64 s[20:21], s[6:7]
	s_cbranch_execz .LBB614_19
.LBB614_245:
	flat_load_dwordx2 v[18:19], v[36:37] offset:16
	s_or_b64 exec, exec, s[20:21]
	s_and_saveexec_b64 s[20:21], s[18:19]
                                        ; implicit-def: $vgpr20_vgpr21
	s_cbranch_execz .LBB614_20
.LBB614_246:
	flat_load_dwordx2 v[20:21], v[36:37] offset:24
	s_or_b64 exec, exec, s[20:21]
                                        ; implicit-def: $vgpr26_vgpr27
	s_and_saveexec_b64 s[20:21], s[10:11]
	s_cbranch_execz .LBB614_21
.LBB614_247:
	flat_load_dwordx2 v[26:27], v[36:37] offset:32
	s_or_b64 exec, exec, s[20:21]
	s_and_saveexec_b64 s[20:21], s[26:27]
                                        ; implicit-def: $vgpr32_vgpr33
	s_cbranch_execz .LBB614_22
.LBB614_248:
	flat_load_dwordx2 v[32:33], v[36:37] offset:40
	s_or_b64 exec, exec, s[20:21]
                                        ; implicit-def: $vgpr22_vgpr23
	s_and_saveexec_b64 s[20:21], s[14:15]
	s_cbranch_execz .LBB614_23
.LBB614_249:
	flat_load_dwordx2 v[22:23], v[36:37] offset:48
	s_or_b64 exec, exec, s[20:21]
	s_and_saveexec_b64 s[20:21], s[16:17]
                                        ; implicit-def: $vgpr34_vgpr35
	s_cbranch_execnz .LBB614_24
	s_branch .LBB614_25
.LBB614_250:
	s_waitcnt vmcnt(0)
	flat_store_dword v[2:3], v14
	s_or_b64 exec, exec, s[8:9]
	s_and_saveexec_b64 s[8:9], s[4:5]
	s_cbranch_execz .LBB614_227
.LBB614_251:
	s_waitcnt vmcnt(0)
	flat_store_dword v[2:3], v15 offset:4
	s_or_b64 exec, exec, s[8:9]
	s_and_saveexec_b64 s[8:9], s[6:7]
	s_cbranch_execz .LBB614_228
.LBB614_252:
	s_waitcnt vmcnt(0)
	flat_store_dword v[2:3], v28 offset:8
	s_or_b64 exec, exec, s[8:9]
	s_and_saveexec_b64 s[8:9], s[18:19]
	s_cbranch_execz .LBB614_229
.LBB614_253:
	s_waitcnt vmcnt(0)
	flat_store_dword v[2:3], v29 offset:12
	s_or_b64 exec, exec, s[8:9]
	s_and_saveexec_b64 s[8:9], s[10:11]
	s_cbranch_execz .LBB614_230
.LBB614_254:
	s_waitcnt vmcnt(0)
	flat_store_dword v[2:3], v24 offset:16
	s_or_b64 exec, exec, s[8:9]
	s_and_saveexec_b64 s[8:9], s[26:27]
	s_cbranch_execz .LBB614_231
.LBB614_255:
	s_waitcnt vmcnt(0)
	flat_store_dword v[2:3], v25 offset:20
	s_or_b64 exec, exec, s[8:9]
	s_and_saveexec_b64 s[8:9], s[14:15]
	s_cbranch_execz .LBB614_232
.LBB614_256:
	s_waitcnt vmcnt(0)
	flat_store_dword v[2:3], v16 offset:24
	s_or_b64 exec, exec, s[8:9]
	s_and_saveexec_b64 s[8:9], s[16:17]
	s_cbranch_execnz .LBB614_233
	s_branch .LBB614_234
.LBB614_257:
	s_waitcnt vmcnt(0)
	flat_store_dwordx2 v[0:1], v[4:5]
	s_or_b64 exec, exec, s[8:9]
	s_and_saveexec_b64 s[8:9], s[4:5]
	s_cbranch_execz .LBB614_236
.LBB614_258:
	s_waitcnt vmcnt(0)
	flat_store_dwordx2 v[0:1], v[8:9] offset:8
	s_or_b64 exec, exec, s[8:9]
	s_and_saveexec_b64 s[4:5], s[6:7]
	s_cbranch_execz .LBB614_237
.LBB614_259:
	s_waitcnt vmcnt(0)
	flat_store_dwordx2 v[0:1], v[18:19] offset:16
	s_or_b64 exec, exec, s[4:5]
	s_and_saveexec_b64 s[4:5], s[18:19]
	s_cbranch_execz .LBB614_238
.LBB614_260:
	s_waitcnt vmcnt(0)
	flat_store_dwordx2 v[0:1], v[20:21] offset:24
	s_or_b64 exec, exec, s[4:5]
	s_and_saveexec_b64 s[4:5], s[10:11]
	s_cbranch_execz .LBB614_239
.LBB614_261:
	s_waitcnt vmcnt(0)
	flat_store_dwordx2 v[0:1], v[26:27] offset:32
	s_or_b64 exec, exec, s[4:5]
	s_and_saveexec_b64 s[4:5], s[26:27]
	s_cbranch_execz .LBB614_240
.LBB614_262:
	s_waitcnt vmcnt(0)
	flat_store_dwordx2 v[0:1], v[32:33] offset:40
	s_or_b64 exec, exec, s[4:5]
	s_and_saveexec_b64 s[4:5], s[14:15]
	s_cbranch_execz .LBB614_241
.LBB614_263:
	s_waitcnt vmcnt(0)
	flat_store_dwordx2 v[0:1], v[22:23] offset:48
	s_or_b64 exec, exec, s[4:5]
	s_and_saveexec_b64 s[4:5], s[16:17]
	s_cbranch_execz .LBB614_242
.LBB614_264:
	s_waitcnt vmcnt(0)
	flat_store_dwordx2 v[0:1], v[34:35] offset:56
	s_or_b64 exec, exec, s[4:5]
	s_waitcnt vmcnt(0) lgkmcnt(0)
	s_setpc_b64 s[30:31]
.Lfunc_end614:
	.size	_ZN7rocprim17ROCPRIM_400000_NS6detail26segmented_warp_sort_helperINS1_20WarpSortHelperConfigILj16ELj8ELj256EEEilLi256ELb0EvE4sortIPKiPiPKlPlEEvT_T0_T1_T2_jjjjRNS5_12storage_typeE, .Lfunc_end614-_ZN7rocprim17ROCPRIM_400000_NS6detail26segmented_warp_sort_helperINS1_20WarpSortHelperConfigILj16ELj8ELj256EEEilLi256ELb0EvE4sortIPKiPiPKlPlEEvT_T0_T1_T2_jjjjRNS5_12storage_typeE
                                        ; -- End function
	.set .L_ZN7rocprim17ROCPRIM_400000_NS6detail26segmented_warp_sort_helperINS1_20WarpSortHelperConfigILj16ELj8ELj256EEEilLi256ELb0EvE4sortIPKiPiPKlPlEEvT_T0_T1_T2_jjjjRNS5_12storage_typeE.num_vgpr, 70
	.set .L_ZN7rocprim17ROCPRIM_400000_NS6detail26segmented_warp_sort_helperINS1_20WarpSortHelperConfigILj16ELj8ELj256EEEilLi256ELb0EvE4sortIPKiPiPKlPlEEvT_T0_T1_T2_jjjjRNS5_12storage_typeE.num_agpr, 0
	.set .L_ZN7rocprim17ROCPRIM_400000_NS6detail26segmented_warp_sort_helperINS1_20WarpSortHelperConfigILj16ELj8ELj256EEEilLi256ELb0EvE4sortIPKiPiPKlPlEEvT_T0_T1_T2_jjjjRNS5_12storage_typeE.numbered_sgpr, 62
	.set .L_ZN7rocprim17ROCPRIM_400000_NS6detail26segmented_warp_sort_helperINS1_20WarpSortHelperConfigILj16ELj8ELj256EEEilLi256ELb0EvE4sortIPKiPiPKlPlEEvT_T0_T1_T2_jjjjRNS5_12storage_typeE.num_named_barrier, 0
	.set .L_ZN7rocprim17ROCPRIM_400000_NS6detail26segmented_warp_sort_helperINS1_20WarpSortHelperConfigILj16ELj8ELj256EEEilLi256ELb0EvE4sortIPKiPiPKlPlEEvT_T0_T1_T2_jjjjRNS5_12storage_typeE.private_seg_size, 0
	.set .L_ZN7rocprim17ROCPRIM_400000_NS6detail26segmented_warp_sort_helperINS1_20WarpSortHelperConfigILj16ELj8ELj256EEEilLi256ELb0EvE4sortIPKiPiPKlPlEEvT_T0_T1_T2_jjjjRNS5_12storage_typeE.uses_vcc, 1
	.set .L_ZN7rocprim17ROCPRIM_400000_NS6detail26segmented_warp_sort_helperINS1_20WarpSortHelperConfigILj16ELj8ELj256EEEilLi256ELb0EvE4sortIPKiPiPKlPlEEvT_T0_T1_T2_jjjjRNS5_12storage_typeE.uses_flat_scratch, 0
	.set .L_ZN7rocprim17ROCPRIM_400000_NS6detail26segmented_warp_sort_helperINS1_20WarpSortHelperConfigILj16ELj8ELj256EEEilLi256ELb0EvE4sortIPKiPiPKlPlEEvT_T0_T1_T2_jjjjRNS5_12storage_typeE.has_dyn_sized_stack, 0
	.set .L_ZN7rocprim17ROCPRIM_400000_NS6detail26segmented_warp_sort_helperINS1_20WarpSortHelperConfigILj16ELj8ELj256EEEilLi256ELb0EvE4sortIPKiPiPKlPlEEvT_T0_T1_T2_jjjjRNS5_12storage_typeE.has_recursion, 0
	.set .L_ZN7rocprim17ROCPRIM_400000_NS6detail26segmented_warp_sort_helperINS1_20WarpSortHelperConfigILj16ELj8ELj256EEEilLi256ELb0EvE4sortIPKiPiPKlPlEEvT_T0_T1_T2_jjjjRNS5_12storage_typeE.has_indirect_call, 0
	.section	.AMDGPU.csdata,"",@progbits
; Function info:
; codeLenInByte = 16380
; TotalNumSgprs: 66
; NumVgprs: 70
; ScratchSize: 0
; MemoryBound: 0
	.section	.text._ZN7rocprim17ROCPRIM_400000_NS6detail17trampoline_kernelINS0_14default_configENS1_36segmented_radix_sort_config_selectorIilEEZNS1_25segmented_radix_sort_implIS3_Lb0EPKiPiPKlPlN2at6native12_GLOBAL__N_18offset_tEEE10hipError_tPvRmT1_PNSt15iterator_traitsISK_E10value_typeET2_T3_PNSL_ISQ_E10value_typeET4_jRbjT5_SW_jjP12ihipStream_tbEUlT_E0_NS1_11comp_targetILNS1_3genE2ELNS1_11target_archE906ELNS1_3gpuE6ELNS1_3repE0EEENS1_60segmented_radix_sort_warp_sort_medium_config_static_selectorELNS0_4arch9wavefront6targetE1EEEvSK_,"axG",@progbits,_ZN7rocprim17ROCPRIM_400000_NS6detail17trampoline_kernelINS0_14default_configENS1_36segmented_radix_sort_config_selectorIilEEZNS1_25segmented_radix_sort_implIS3_Lb0EPKiPiPKlPlN2at6native12_GLOBAL__N_18offset_tEEE10hipError_tPvRmT1_PNSt15iterator_traitsISK_E10value_typeET2_T3_PNSL_ISQ_E10value_typeET4_jRbjT5_SW_jjP12ihipStream_tbEUlT_E0_NS1_11comp_targetILNS1_3genE2ELNS1_11target_archE906ELNS1_3gpuE6ELNS1_3repE0EEENS1_60segmented_radix_sort_warp_sort_medium_config_static_selectorELNS0_4arch9wavefront6targetE1EEEvSK_,comdat
	.globl	_ZN7rocprim17ROCPRIM_400000_NS6detail17trampoline_kernelINS0_14default_configENS1_36segmented_radix_sort_config_selectorIilEEZNS1_25segmented_radix_sort_implIS3_Lb0EPKiPiPKlPlN2at6native12_GLOBAL__N_18offset_tEEE10hipError_tPvRmT1_PNSt15iterator_traitsISK_E10value_typeET2_T3_PNSL_ISQ_E10value_typeET4_jRbjT5_SW_jjP12ihipStream_tbEUlT_E0_NS1_11comp_targetILNS1_3genE2ELNS1_11target_archE906ELNS1_3gpuE6ELNS1_3repE0EEENS1_60segmented_radix_sort_warp_sort_medium_config_static_selectorELNS0_4arch9wavefront6targetE1EEEvSK_ ; -- Begin function _ZN7rocprim17ROCPRIM_400000_NS6detail17trampoline_kernelINS0_14default_configENS1_36segmented_radix_sort_config_selectorIilEEZNS1_25segmented_radix_sort_implIS3_Lb0EPKiPiPKlPlN2at6native12_GLOBAL__N_18offset_tEEE10hipError_tPvRmT1_PNSt15iterator_traitsISK_E10value_typeET2_T3_PNSL_ISQ_E10value_typeET4_jRbjT5_SW_jjP12ihipStream_tbEUlT_E0_NS1_11comp_targetILNS1_3genE2ELNS1_11target_archE906ELNS1_3gpuE6ELNS1_3repE0EEENS1_60segmented_radix_sort_warp_sort_medium_config_static_selectorELNS0_4arch9wavefront6targetE1EEEvSK_
	.p2align	8
	.type	_ZN7rocprim17ROCPRIM_400000_NS6detail17trampoline_kernelINS0_14default_configENS1_36segmented_radix_sort_config_selectorIilEEZNS1_25segmented_radix_sort_implIS3_Lb0EPKiPiPKlPlN2at6native12_GLOBAL__N_18offset_tEEE10hipError_tPvRmT1_PNSt15iterator_traitsISK_E10value_typeET2_T3_PNSL_ISQ_E10value_typeET4_jRbjT5_SW_jjP12ihipStream_tbEUlT_E0_NS1_11comp_targetILNS1_3genE2ELNS1_11target_archE906ELNS1_3gpuE6ELNS1_3repE0EEENS1_60segmented_radix_sort_warp_sort_medium_config_static_selectorELNS0_4arch9wavefront6targetE1EEEvSK_,@function
_ZN7rocprim17ROCPRIM_400000_NS6detail17trampoline_kernelINS0_14default_configENS1_36segmented_radix_sort_config_selectorIilEEZNS1_25segmented_radix_sort_implIS3_Lb0EPKiPiPKlPlN2at6native12_GLOBAL__N_18offset_tEEE10hipError_tPvRmT1_PNSt15iterator_traitsISK_E10value_typeET2_T3_PNSL_ISQ_E10value_typeET4_jRbjT5_SW_jjP12ihipStream_tbEUlT_E0_NS1_11comp_targetILNS1_3genE2ELNS1_11target_archE906ELNS1_3gpuE6ELNS1_3repE0EEENS1_60segmented_radix_sort_warp_sort_medium_config_static_selectorELNS0_4arch9wavefront6targetE1EEEvSK_: ; @_ZN7rocprim17ROCPRIM_400000_NS6detail17trampoline_kernelINS0_14default_configENS1_36segmented_radix_sort_config_selectorIilEEZNS1_25segmented_radix_sort_implIS3_Lb0EPKiPiPKlPlN2at6native12_GLOBAL__N_18offset_tEEE10hipError_tPvRmT1_PNSt15iterator_traitsISK_E10value_typeET2_T3_PNSL_ISQ_E10value_typeET4_jRbjT5_SW_jjP12ihipStream_tbEUlT_E0_NS1_11comp_targetILNS1_3genE2ELNS1_11target_archE906ELNS1_3gpuE6ELNS1_3repE0EEENS1_60segmented_radix_sort_warp_sort_medium_config_static_selectorELNS0_4arch9wavefront6targetE1EEEvSK_
; %bb.0:
	s_add_u32 s0, s0, s8
	s_load_dword s8, s[4:5], 0x64
	s_addc_u32 s1, s1, 0
	s_mov_b32 s32, 0
	s_waitcnt lgkmcnt(0)
	s_lshr_b32 s9, s8, 16
	s_and_b32 s8, s8, 0xffff
	v_mad_u32_u24 v3, v2, s9, v1
	v_mad_u64_u32 v[3:4], s[8:9], v3, s8, v[0:1]
	s_load_dword s8, s[4:5], 0x34
	v_lshrrev_b32_e32 v3, 4, v3
	v_lshl_add_u32 v3, s6, 4, v3
	s_waitcnt lgkmcnt(0)
	v_cmp_gt_u32_e32 vcc, s8, v3
	s_and_saveexec_b64 s[8:9], vcc
	s_cbranch_execz .LBB615_6
; %bb.1:
	s_load_dwordx2 s[12:13], s[4:5], 0x38
	s_load_dwordx4 s[8:11], s[4:5], 0x40
	v_mov_b32_e32 v4, 0
	v_lshlrev_b64 v[3:4], 2, v[3:4]
	s_waitcnt lgkmcnt(0)
	v_mov_b32_e32 v5, s13
	v_add_co_u32_e32 v3, vcc, s12, v3
	v_addc_co_u32_e32 v4, vcc, v5, v4, vcc
	global_load_dword v3, v[3:4], off
	s_waitcnt vmcnt(0)
	v_add_u32_e32 v4, s9, v3
	v_add_u32_e32 v3, s11, v3
	v_mul_lo_u32 v40, v4, s8
	v_mul_lo_u32 v41, v3, s10
	v_cmp_gt_u32_e32 vcc, v41, v40
	s_and_b64 exec, exec, vcc
	s_cbranch_execz .LBB615_6
; %bb.2:
	s_load_dword s10, s[4:5], 0x30
	s_load_dwordx4 s[36:39], s[4:5], 0x20
	s_load_dwordx8 s[48:55], s[4:5], 0x0
	s_load_dwordx2 s[34:35], s[4:5], 0x50
	s_mov_b64 s[8:9], -1
	s_waitcnt lgkmcnt(0)
	s_bitcmp0_b32 s10, 0
	v_lshlrev_b32_e32 v43, 20, v2
	v_lshlrev_b32_e32 v44, 10, v1
	s_cbranch_scc0 .LBB615_4
; %bb.3:
	s_add_u32 s8, s4, 0x58
	s_addc_u32 s9, s5, 0
	s_getpc_b64 s[10:11]
	s_add_u32 s10, s10, _ZN7rocprim17ROCPRIM_400000_NS6detail26segmented_warp_sort_helperINS1_20WarpSortHelperConfigILj16ELj8ELj256EEEilLi256ELb0EvE4sortIPKiPiPKlPlEEvT_T0_T1_T2_jjjjRNS5_12storage_typeE@rel32@lo+4
	s_addc_u32 s11, s11, _ZN7rocprim17ROCPRIM_400000_NS6detail26segmented_warp_sort_helperINS1_20WarpSortHelperConfigILj16ELj8ELj256EEEilLi256ELb0EvE4sortIPKiPiPKlPlEEvT_T0_T1_T2_jjjjRNS5_12storage_typeE@rel32@hi+12
	v_or3_b32 v31, v0, v44, v43
	s_mov_b32 s12, s6
	s_mov_b32 s13, s7
	v_mov_b32_e32 v42, v0
	v_mov_b32_e32 v0, s48
	;; [unrolled: 1-line block ×13, first 2 shown]
	s_mov_b64 s[36:37], s[4:5]
	s_mov_b32 s50, s7
	s_mov_b32 s33, s6
	s_swappc_b64 s[30:31], s[10:11]
	v_mov_b32_e32 v0, v42
	s_mov_b32 s6, s33
	s_mov_b32 s7, s50
	s_mov_b64 s[4:5], s[36:37]
	s_mov_b64 s[8:9], 0
.LBB615_4:
	s_andn2_b64 vcc, exec, s[8:9]
	s_cbranch_vccnz .LBB615_6
; %bb.5:
	s_add_u32 s8, s4, 0x58
	s_addc_u32 s9, s5, 0
	s_getpc_b64 s[4:5]
	s_add_u32 s4, s4, _ZN7rocprim17ROCPRIM_400000_NS6detail26segmented_warp_sort_helperINS1_20WarpSortHelperConfigILj16ELj8ELj256EEEilLi256ELb0EvE4sortIPKiPiPKlPlEEvT_T0_T1_T2_jjjjRNS5_12storage_typeE@rel32@lo+4
	s_addc_u32 s5, s5, _ZN7rocprim17ROCPRIM_400000_NS6detail26segmented_warp_sort_helperINS1_20WarpSortHelperConfigILj16ELj8ELj256EEEilLi256ELb0EvE4sortIPKiPiPKlPlEEvT_T0_T1_T2_jjjjRNS5_12storage_typeE@rel32@hi+12
	v_or3_b32 v31, v0, v44, v43
	s_mov_b32 s12, s6
	s_mov_b32 s13, s7
	v_mov_b32_e32 v0, s48
	v_mov_b32_e32 v1, s49
	;; [unrolled: 1-line block ×12, first 2 shown]
	s_swappc_b64 s[30:31], s[4:5]
.LBB615_6:
	s_endpgm
	.section	.rodata,"a",@progbits
	.p2align	6, 0x0
	.amdhsa_kernel _ZN7rocprim17ROCPRIM_400000_NS6detail17trampoline_kernelINS0_14default_configENS1_36segmented_radix_sort_config_selectorIilEEZNS1_25segmented_radix_sort_implIS3_Lb0EPKiPiPKlPlN2at6native12_GLOBAL__N_18offset_tEEE10hipError_tPvRmT1_PNSt15iterator_traitsISK_E10value_typeET2_T3_PNSL_ISQ_E10value_typeET4_jRbjT5_SW_jjP12ihipStream_tbEUlT_E0_NS1_11comp_targetILNS1_3genE2ELNS1_11target_archE906ELNS1_3gpuE6ELNS1_3repE0EEENS1_60segmented_radix_sort_warp_sort_medium_config_static_selectorELNS0_4arch9wavefront6targetE1EEEvSK_
		.amdhsa_group_segment_fixed_size 24576
		.amdhsa_private_segment_fixed_size 0
		.amdhsa_kernarg_size 344
		.amdhsa_user_sgpr_count 6
		.amdhsa_user_sgpr_private_segment_buffer 1
		.amdhsa_user_sgpr_dispatch_ptr 0
		.amdhsa_user_sgpr_queue_ptr 0
		.amdhsa_user_sgpr_kernarg_segment_ptr 1
		.amdhsa_user_sgpr_dispatch_id 0
		.amdhsa_user_sgpr_flat_scratch_init 0
		.amdhsa_user_sgpr_private_segment_size 0
		.amdhsa_uses_dynamic_stack 0
		.amdhsa_system_sgpr_private_segment_wavefront_offset 0
		.amdhsa_system_sgpr_workgroup_id_x 1
		.amdhsa_system_sgpr_workgroup_id_y 1
		.amdhsa_system_sgpr_workgroup_id_z 0
		.amdhsa_system_sgpr_workgroup_info 0
		.amdhsa_system_vgpr_workitem_id 2
		.amdhsa_next_free_vgpr 85
		.amdhsa_next_free_sgpr 98
		.amdhsa_reserve_vcc 1
		.amdhsa_reserve_flat_scratch 0
		.amdhsa_float_round_mode_32 0
		.amdhsa_float_round_mode_16_64 0
		.amdhsa_float_denorm_mode_32 3
		.amdhsa_float_denorm_mode_16_64 3
		.amdhsa_dx10_clamp 1
		.amdhsa_ieee_mode 1
		.amdhsa_fp16_overflow 0
		.amdhsa_exception_fp_ieee_invalid_op 0
		.amdhsa_exception_fp_denorm_src 0
		.amdhsa_exception_fp_ieee_div_zero 0
		.amdhsa_exception_fp_ieee_overflow 0
		.amdhsa_exception_fp_ieee_underflow 0
		.amdhsa_exception_fp_ieee_inexact 0
		.amdhsa_exception_int_div_zero 0
	.end_amdhsa_kernel
	.section	.text._ZN7rocprim17ROCPRIM_400000_NS6detail17trampoline_kernelINS0_14default_configENS1_36segmented_radix_sort_config_selectorIilEEZNS1_25segmented_radix_sort_implIS3_Lb0EPKiPiPKlPlN2at6native12_GLOBAL__N_18offset_tEEE10hipError_tPvRmT1_PNSt15iterator_traitsISK_E10value_typeET2_T3_PNSL_ISQ_E10value_typeET4_jRbjT5_SW_jjP12ihipStream_tbEUlT_E0_NS1_11comp_targetILNS1_3genE2ELNS1_11target_archE906ELNS1_3gpuE6ELNS1_3repE0EEENS1_60segmented_radix_sort_warp_sort_medium_config_static_selectorELNS0_4arch9wavefront6targetE1EEEvSK_,"axG",@progbits,_ZN7rocprim17ROCPRIM_400000_NS6detail17trampoline_kernelINS0_14default_configENS1_36segmented_radix_sort_config_selectorIilEEZNS1_25segmented_radix_sort_implIS3_Lb0EPKiPiPKlPlN2at6native12_GLOBAL__N_18offset_tEEE10hipError_tPvRmT1_PNSt15iterator_traitsISK_E10value_typeET2_T3_PNSL_ISQ_E10value_typeET4_jRbjT5_SW_jjP12ihipStream_tbEUlT_E0_NS1_11comp_targetILNS1_3genE2ELNS1_11target_archE906ELNS1_3gpuE6ELNS1_3repE0EEENS1_60segmented_radix_sort_warp_sort_medium_config_static_selectorELNS0_4arch9wavefront6targetE1EEEvSK_,comdat
.Lfunc_end615:
	.size	_ZN7rocprim17ROCPRIM_400000_NS6detail17trampoline_kernelINS0_14default_configENS1_36segmented_radix_sort_config_selectorIilEEZNS1_25segmented_radix_sort_implIS3_Lb0EPKiPiPKlPlN2at6native12_GLOBAL__N_18offset_tEEE10hipError_tPvRmT1_PNSt15iterator_traitsISK_E10value_typeET2_T3_PNSL_ISQ_E10value_typeET4_jRbjT5_SW_jjP12ihipStream_tbEUlT_E0_NS1_11comp_targetILNS1_3genE2ELNS1_11target_archE906ELNS1_3gpuE6ELNS1_3repE0EEENS1_60segmented_radix_sort_warp_sort_medium_config_static_selectorELNS0_4arch9wavefront6targetE1EEEvSK_, .Lfunc_end615-_ZN7rocprim17ROCPRIM_400000_NS6detail17trampoline_kernelINS0_14default_configENS1_36segmented_radix_sort_config_selectorIilEEZNS1_25segmented_radix_sort_implIS3_Lb0EPKiPiPKlPlN2at6native12_GLOBAL__N_18offset_tEEE10hipError_tPvRmT1_PNSt15iterator_traitsISK_E10value_typeET2_T3_PNSL_ISQ_E10value_typeET4_jRbjT5_SW_jjP12ihipStream_tbEUlT_E0_NS1_11comp_targetILNS1_3genE2ELNS1_11target_archE906ELNS1_3gpuE6ELNS1_3repE0EEENS1_60segmented_radix_sort_warp_sort_medium_config_static_selectorELNS0_4arch9wavefront6targetE1EEEvSK_
                                        ; -- End function
	.set _ZN7rocprim17ROCPRIM_400000_NS6detail17trampoline_kernelINS0_14default_configENS1_36segmented_radix_sort_config_selectorIilEEZNS1_25segmented_radix_sort_implIS3_Lb0EPKiPiPKlPlN2at6native12_GLOBAL__N_18offset_tEEE10hipError_tPvRmT1_PNSt15iterator_traitsISK_E10value_typeET2_T3_PNSL_ISQ_E10value_typeET4_jRbjT5_SW_jjP12ihipStream_tbEUlT_E0_NS1_11comp_targetILNS1_3genE2ELNS1_11target_archE906ELNS1_3gpuE6ELNS1_3repE0EEENS1_60segmented_radix_sort_warp_sort_medium_config_static_selectorELNS0_4arch9wavefront6targetE1EEEvSK_.num_vgpr, max(45, .L_ZN7rocprim17ROCPRIM_400000_NS6detail26segmented_warp_sort_helperINS1_20WarpSortHelperConfigILj16ELj8ELj256EEEilLi256ELb0EvE4sortIPKiPiPKlPlEEvT_T0_T1_T2_jjjjRNS5_12storage_typeE.num_vgpr)
	.set _ZN7rocprim17ROCPRIM_400000_NS6detail17trampoline_kernelINS0_14default_configENS1_36segmented_radix_sort_config_selectorIilEEZNS1_25segmented_radix_sort_implIS3_Lb0EPKiPiPKlPlN2at6native12_GLOBAL__N_18offset_tEEE10hipError_tPvRmT1_PNSt15iterator_traitsISK_E10value_typeET2_T3_PNSL_ISQ_E10value_typeET4_jRbjT5_SW_jjP12ihipStream_tbEUlT_E0_NS1_11comp_targetILNS1_3genE2ELNS1_11target_archE906ELNS1_3gpuE6ELNS1_3repE0EEENS1_60segmented_radix_sort_warp_sort_medium_config_static_selectorELNS0_4arch9wavefront6targetE1EEEvSK_.num_agpr, max(0, .L_ZN7rocprim17ROCPRIM_400000_NS6detail26segmented_warp_sort_helperINS1_20WarpSortHelperConfigILj16ELj8ELj256EEEilLi256ELb0EvE4sortIPKiPiPKlPlEEvT_T0_T1_T2_jjjjRNS5_12storage_typeE.num_agpr)
	.set _ZN7rocprim17ROCPRIM_400000_NS6detail17trampoline_kernelINS0_14default_configENS1_36segmented_radix_sort_config_selectorIilEEZNS1_25segmented_radix_sort_implIS3_Lb0EPKiPiPKlPlN2at6native12_GLOBAL__N_18offset_tEEE10hipError_tPvRmT1_PNSt15iterator_traitsISK_E10value_typeET2_T3_PNSL_ISQ_E10value_typeET4_jRbjT5_SW_jjP12ihipStream_tbEUlT_E0_NS1_11comp_targetILNS1_3genE2ELNS1_11target_archE906ELNS1_3gpuE6ELNS1_3repE0EEENS1_60segmented_radix_sort_warp_sort_medium_config_static_selectorELNS0_4arch9wavefront6targetE1EEEvSK_.numbered_sgpr, max(56, .L_ZN7rocprim17ROCPRIM_400000_NS6detail26segmented_warp_sort_helperINS1_20WarpSortHelperConfigILj16ELj8ELj256EEEilLi256ELb0EvE4sortIPKiPiPKlPlEEvT_T0_T1_T2_jjjjRNS5_12storage_typeE.numbered_sgpr)
	.set _ZN7rocprim17ROCPRIM_400000_NS6detail17trampoline_kernelINS0_14default_configENS1_36segmented_radix_sort_config_selectorIilEEZNS1_25segmented_radix_sort_implIS3_Lb0EPKiPiPKlPlN2at6native12_GLOBAL__N_18offset_tEEE10hipError_tPvRmT1_PNSt15iterator_traitsISK_E10value_typeET2_T3_PNSL_ISQ_E10value_typeET4_jRbjT5_SW_jjP12ihipStream_tbEUlT_E0_NS1_11comp_targetILNS1_3genE2ELNS1_11target_archE906ELNS1_3gpuE6ELNS1_3repE0EEENS1_60segmented_radix_sort_warp_sort_medium_config_static_selectorELNS0_4arch9wavefront6targetE1EEEvSK_.num_named_barrier, max(0, .L_ZN7rocprim17ROCPRIM_400000_NS6detail26segmented_warp_sort_helperINS1_20WarpSortHelperConfigILj16ELj8ELj256EEEilLi256ELb0EvE4sortIPKiPiPKlPlEEvT_T0_T1_T2_jjjjRNS5_12storage_typeE.num_named_barrier)
	.set _ZN7rocprim17ROCPRIM_400000_NS6detail17trampoline_kernelINS0_14default_configENS1_36segmented_radix_sort_config_selectorIilEEZNS1_25segmented_radix_sort_implIS3_Lb0EPKiPiPKlPlN2at6native12_GLOBAL__N_18offset_tEEE10hipError_tPvRmT1_PNSt15iterator_traitsISK_E10value_typeET2_T3_PNSL_ISQ_E10value_typeET4_jRbjT5_SW_jjP12ihipStream_tbEUlT_E0_NS1_11comp_targetILNS1_3genE2ELNS1_11target_archE906ELNS1_3gpuE6ELNS1_3repE0EEENS1_60segmented_radix_sort_warp_sort_medium_config_static_selectorELNS0_4arch9wavefront6targetE1EEEvSK_.private_seg_size, 0+max(.L_ZN7rocprim17ROCPRIM_400000_NS6detail26segmented_warp_sort_helperINS1_20WarpSortHelperConfigILj16ELj8ELj256EEEilLi256ELb0EvE4sortIPKiPiPKlPlEEvT_T0_T1_T2_jjjjRNS5_12storage_typeE.private_seg_size)
	.set _ZN7rocprim17ROCPRIM_400000_NS6detail17trampoline_kernelINS0_14default_configENS1_36segmented_radix_sort_config_selectorIilEEZNS1_25segmented_radix_sort_implIS3_Lb0EPKiPiPKlPlN2at6native12_GLOBAL__N_18offset_tEEE10hipError_tPvRmT1_PNSt15iterator_traitsISK_E10value_typeET2_T3_PNSL_ISQ_E10value_typeET4_jRbjT5_SW_jjP12ihipStream_tbEUlT_E0_NS1_11comp_targetILNS1_3genE2ELNS1_11target_archE906ELNS1_3gpuE6ELNS1_3repE0EEENS1_60segmented_radix_sort_warp_sort_medium_config_static_selectorELNS0_4arch9wavefront6targetE1EEEvSK_.uses_vcc, or(1, .L_ZN7rocprim17ROCPRIM_400000_NS6detail26segmented_warp_sort_helperINS1_20WarpSortHelperConfigILj16ELj8ELj256EEEilLi256ELb0EvE4sortIPKiPiPKlPlEEvT_T0_T1_T2_jjjjRNS5_12storage_typeE.uses_vcc)
	.set _ZN7rocprim17ROCPRIM_400000_NS6detail17trampoline_kernelINS0_14default_configENS1_36segmented_radix_sort_config_selectorIilEEZNS1_25segmented_radix_sort_implIS3_Lb0EPKiPiPKlPlN2at6native12_GLOBAL__N_18offset_tEEE10hipError_tPvRmT1_PNSt15iterator_traitsISK_E10value_typeET2_T3_PNSL_ISQ_E10value_typeET4_jRbjT5_SW_jjP12ihipStream_tbEUlT_E0_NS1_11comp_targetILNS1_3genE2ELNS1_11target_archE906ELNS1_3gpuE6ELNS1_3repE0EEENS1_60segmented_radix_sort_warp_sort_medium_config_static_selectorELNS0_4arch9wavefront6targetE1EEEvSK_.uses_flat_scratch, or(0, .L_ZN7rocprim17ROCPRIM_400000_NS6detail26segmented_warp_sort_helperINS1_20WarpSortHelperConfigILj16ELj8ELj256EEEilLi256ELb0EvE4sortIPKiPiPKlPlEEvT_T0_T1_T2_jjjjRNS5_12storage_typeE.uses_flat_scratch)
	.set _ZN7rocprim17ROCPRIM_400000_NS6detail17trampoline_kernelINS0_14default_configENS1_36segmented_radix_sort_config_selectorIilEEZNS1_25segmented_radix_sort_implIS3_Lb0EPKiPiPKlPlN2at6native12_GLOBAL__N_18offset_tEEE10hipError_tPvRmT1_PNSt15iterator_traitsISK_E10value_typeET2_T3_PNSL_ISQ_E10value_typeET4_jRbjT5_SW_jjP12ihipStream_tbEUlT_E0_NS1_11comp_targetILNS1_3genE2ELNS1_11target_archE906ELNS1_3gpuE6ELNS1_3repE0EEENS1_60segmented_radix_sort_warp_sort_medium_config_static_selectorELNS0_4arch9wavefront6targetE1EEEvSK_.has_dyn_sized_stack, or(0, .L_ZN7rocprim17ROCPRIM_400000_NS6detail26segmented_warp_sort_helperINS1_20WarpSortHelperConfigILj16ELj8ELj256EEEilLi256ELb0EvE4sortIPKiPiPKlPlEEvT_T0_T1_T2_jjjjRNS5_12storage_typeE.has_dyn_sized_stack)
	.set _ZN7rocprim17ROCPRIM_400000_NS6detail17trampoline_kernelINS0_14default_configENS1_36segmented_radix_sort_config_selectorIilEEZNS1_25segmented_radix_sort_implIS3_Lb0EPKiPiPKlPlN2at6native12_GLOBAL__N_18offset_tEEE10hipError_tPvRmT1_PNSt15iterator_traitsISK_E10value_typeET2_T3_PNSL_ISQ_E10value_typeET4_jRbjT5_SW_jjP12ihipStream_tbEUlT_E0_NS1_11comp_targetILNS1_3genE2ELNS1_11target_archE906ELNS1_3gpuE6ELNS1_3repE0EEENS1_60segmented_radix_sort_warp_sort_medium_config_static_selectorELNS0_4arch9wavefront6targetE1EEEvSK_.has_recursion, or(0, .L_ZN7rocprim17ROCPRIM_400000_NS6detail26segmented_warp_sort_helperINS1_20WarpSortHelperConfigILj16ELj8ELj256EEEilLi256ELb0EvE4sortIPKiPiPKlPlEEvT_T0_T1_T2_jjjjRNS5_12storage_typeE.has_recursion)
	.set _ZN7rocprim17ROCPRIM_400000_NS6detail17trampoline_kernelINS0_14default_configENS1_36segmented_radix_sort_config_selectorIilEEZNS1_25segmented_radix_sort_implIS3_Lb0EPKiPiPKlPlN2at6native12_GLOBAL__N_18offset_tEEE10hipError_tPvRmT1_PNSt15iterator_traitsISK_E10value_typeET2_T3_PNSL_ISQ_E10value_typeET4_jRbjT5_SW_jjP12ihipStream_tbEUlT_E0_NS1_11comp_targetILNS1_3genE2ELNS1_11target_archE906ELNS1_3gpuE6ELNS1_3repE0EEENS1_60segmented_radix_sort_warp_sort_medium_config_static_selectorELNS0_4arch9wavefront6targetE1EEEvSK_.has_indirect_call, or(0, .L_ZN7rocprim17ROCPRIM_400000_NS6detail26segmented_warp_sort_helperINS1_20WarpSortHelperConfigILj16ELj8ELj256EEEilLi256ELb0EvE4sortIPKiPiPKlPlEEvT_T0_T1_T2_jjjjRNS5_12storage_typeE.has_indirect_call)
	.section	.AMDGPU.csdata,"",@progbits
; Kernel info:
; codeLenInByte = 484
; TotalNumSgprs: 66
; NumVgprs: 70
; ScratchSize: 0
; MemoryBound: 0
; FloatMode: 240
; IeeeMode: 1
; LDSByteSize: 24576 bytes/workgroup (compile time only)
; SGPRBlocks: 12
; VGPRBlocks: 21
; NumSGPRsForWavesPerEU: 102
; NumVGPRsForWavesPerEU: 85
; Occupancy: 2
; WaveLimiterHint : 0
; COMPUTE_PGM_RSRC2:SCRATCH_EN: 0
; COMPUTE_PGM_RSRC2:USER_SGPR: 6
; COMPUTE_PGM_RSRC2:TRAP_HANDLER: 0
; COMPUTE_PGM_RSRC2:TGID_X_EN: 1
; COMPUTE_PGM_RSRC2:TGID_Y_EN: 1
; COMPUTE_PGM_RSRC2:TGID_Z_EN: 0
; COMPUTE_PGM_RSRC2:TIDIG_COMP_CNT: 2
	.section	.text._ZN7rocprim17ROCPRIM_400000_NS6detail17trampoline_kernelINS0_14default_configENS1_36segmented_radix_sort_config_selectorIilEEZNS1_25segmented_radix_sort_implIS3_Lb0EPKiPiPKlPlN2at6native12_GLOBAL__N_18offset_tEEE10hipError_tPvRmT1_PNSt15iterator_traitsISK_E10value_typeET2_T3_PNSL_ISQ_E10value_typeET4_jRbjT5_SW_jjP12ihipStream_tbEUlT_E0_NS1_11comp_targetILNS1_3genE10ELNS1_11target_archE1201ELNS1_3gpuE5ELNS1_3repE0EEENS1_60segmented_radix_sort_warp_sort_medium_config_static_selectorELNS0_4arch9wavefront6targetE1EEEvSK_,"axG",@progbits,_ZN7rocprim17ROCPRIM_400000_NS6detail17trampoline_kernelINS0_14default_configENS1_36segmented_radix_sort_config_selectorIilEEZNS1_25segmented_radix_sort_implIS3_Lb0EPKiPiPKlPlN2at6native12_GLOBAL__N_18offset_tEEE10hipError_tPvRmT1_PNSt15iterator_traitsISK_E10value_typeET2_T3_PNSL_ISQ_E10value_typeET4_jRbjT5_SW_jjP12ihipStream_tbEUlT_E0_NS1_11comp_targetILNS1_3genE10ELNS1_11target_archE1201ELNS1_3gpuE5ELNS1_3repE0EEENS1_60segmented_radix_sort_warp_sort_medium_config_static_selectorELNS0_4arch9wavefront6targetE1EEEvSK_,comdat
	.globl	_ZN7rocprim17ROCPRIM_400000_NS6detail17trampoline_kernelINS0_14default_configENS1_36segmented_radix_sort_config_selectorIilEEZNS1_25segmented_radix_sort_implIS3_Lb0EPKiPiPKlPlN2at6native12_GLOBAL__N_18offset_tEEE10hipError_tPvRmT1_PNSt15iterator_traitsISK_E10value_typeET2_T3_PNSL_ISQ_E10value_typeET4_jRbjT5_SW_jjP12ihipStream_tbEUlT_E0_NS1_11comp_targetILNS1_3genE10ELNS1_11target_archE1201ELNS1_3gpuE5ELNS1_3repE0EEENS1_60segmented_radix_sort_warp_sort_medium_config_static_selectorELNS0_4arch9wavefront6targetE1EEEvSK_ ; -- Begin function _ZN7rocprim17ROCPRIM_400000_NS6detail17trampoline_kernelINS0_14default_configENS1_36segmented_radix_sort_config_selectorIilEEZNS1_25segmented_radix_sort_implIS3_Lb0EPKiPiPKlPlN2at6native12_GLOBAL__N_18offset_tEEE10hipError_tPvRmT1_PNSt15iterator_traitsISK_E10value_typeET2_T3_PNSL_ISQ_E10value_typeET4_jRbjT5_SW_jjP12ihipStream_tbEUlT_E0_NS1_11comp_targetILNS1_3genE10ELNS1_11target_archE1201ELNS1_3gpuE5ELNS1_3repE0EEENS1_60segmented_radix_sort_warp_sort_medium_config_static_selectorELNS0_4arch9wavefront6targetE1EEEvSK_
	.p2align	8
	.type	_ZN7rocprim17ROCPRIM_400000_NS6detail17trampoline_kernelINS0_14default_configENS1_36segmented_radix_sort_config_selectorIilEEZNS1_25segmented_radix_sort_implIS3_Lb0EPKiPiPKlPlN2at6native12_GLOBAL__N_18offset_tEEE10hipError_tPvRmT1_PNSt15iterator_traitsISK_E10value_typeET2_T3_PNSL_ISQ_E10value_typeET4_jRbjT5_SW_jjP12ihipStream_tbEUlT_E0_NS1_11comp_targetILNS1_3genE10ELNS1_11target_archE1201ELNS1_3gpuE5ELNS1_3repE0EEENS1_60segmented_radix_sort_warp_sort_medium_config_static_selectorELNS0_4arch9wavefront6targetE1EEEvSK_,@function
_ZN7rocprim17ROCPRIM_400000_NS6detail17trampoline_kernelINS0_14default_configENS1_36segmented_radix_sort_config_selectorIilEEZNS1_25segmented_radix_sort_implIS3_Lb0EPKiPiPKlPlN2at6native12_GLOBAL__N_18offset_tEEE10hipError_tPvRmT1_PNSt15iterator_traitsISK_E10value_typeET2_T3_PNSL_ISQ_E10value_typeET4_jRbjT5_SW_jjP12ihipStream_tbEUlT_E0_NS1_11comp_targetILNS1_3genE10ELNS1_11target_archE1201ELNS1_3gpuE5ELNS1_3repE0EEENS1_60segmented_radix_sort_warp_sort_medium_config_static_selectorELNS0_4arch9wavefront6targetE1EEEvSK_: ; @_ZN7rocprim17ROCPRIM_400000_NS6detail17trampoline_kernelINS0_14default_configENS1_36segmented_radix_sort_config_selectorIilEEZNS1_25segmented_radix_sort_implIS3_Lb0EPKiPiPKlPlN2at6native12_GLOBAL__N_18offset_tEEE10hipError_tPvRmT1_PNSt15iterator_traitsISK_E10value_typeET2_T3_PNSL_ISQ_E10value_typeET4_jRbjT5_SW_jjP12ihipStream_tbEUlT_E0_NS1_11comp_targetILNS1_3genE10ELNS1_11target_archE1201ELNS1_3gpuE5ELNS1_3repE0EEENS1_60segmented_radix_sort_warp_sort_medium_config_static_selectorELNS0_4arch9wavefront6targetE1EEEvSK_
; %bb.0:
	.section	.rodata,"a",@progbits
	.p2align	6, 0x0
	.amdhsa_kernel _ZN7rocprim17ROCPRIM_400000_NS6detail17trampoline_kernelINS0_14default_configENS1_36segmented_radix_sort_config_selectorIilEEZNS1_25segmented_radix_sort_implIS3_Lb0EPKiPiPKlPlN2at6native12_GLOBAL__N_18offset_tEEE10hipError_tPvRmT1_PNSt15iterator_traitsISK_E10value_typeET2_T3_PNSL_ISQ_E10value_typeET4_jRbjT5_SW_jjP12ihipStream_tbEUlT_E0_NS1_11comp_targetILNS1_3genE10ELNS1_11target_archE1201ELNS1_3gpuE5ELNS1_3repE0EEENS1_60segmented_radix_sort_warp_sort_medium_config_static_selectorELNS0_4arch9wavefront6targetE1EEEvSK_
		.amdhsa_group_segment_fixed_size 0
		.amdhsa_private_segment_fixed_size 0
		.amdhsa_kernarg_size 88
		.amdhsa_user_sgpr_count 6
		.amdhsa_user_sgpr_private_segment_buffer 1
		.amdhsa_user_sgpr_dispatch_ptr 0
		.amdhsa_user_sgpr_queue_ptr 0
		.amdhsa_user_sgpr_kernarg_segment_ptr 1
		.amdhsa_user_sgpr_dispatch_id 0
		.amdhsa_user_sgpr_flat_scratch_init 0
		.amdhsa_user_sgpr_private_segment_size 0
		.amdhsa_uses_dynamic_stack 0
		.amdhsa_system_sgpr_private_segment_wavefront_offset 0
		.amdhsa_system_sgpr_workgroup_id_x 1
		.amdhsa_system_sgpr_workgroup_id_y 0
		.amdhsa_system_sgpr_workgroup_id_z 0
		.amdhsa_system_sgpr_workgroup_info 0
		.amdhsa_system_vgpr_workitem_id 0
		.amdhsa_next_free_vgpr 1
		.amdhsa_next_free_sgpr 0
		.amdhsa_reserve_vcc 0
		.amdhsa_reserve_flat_scratch 0
		.amdhsa_float_round_mode_32 0
		.amdhsa_float_round_mode_16_64 0
		.amdhsa_float_denorm_mode_32 3
		.amdhsa_float_denorm_mode_16_64 3
		.amdhsa_dx10_clamp 1
		.amdhsa_ieee_mode 1
		.amdhsa_fp16_overflow 0
		.amdhsa_exception_fp_ieee_invalid_op 0
		.amdhsa_exception_fp_denorm_src 0
		.amdhsa_exception_fp_ieee_div_zero 0
		.amdhsa_exception_fp_ieee_overflow 0
		.amdhsa_exception_fp_ieee_underflow 0
		.amdhsa_exception_fp_ieee_inexact 0
		.amdhsa_exception_int_div_zero 0
	.end_amdhsa_kernel
	.section	.text._ZN7rocprim17ROCPRIM_400000_NS6detail17trampoline_kernelINS0_14default_configENS1_36segmented_radix_sort_config_selectorIilEEZNS1_25segmented_radix_sort_implIS3_Lb0EPKiPiPKlPlN2at6native12_GLOBAL__N_18offset_tEEE10hipError_tPvRmT1_PNSt15iterator_traitsISK_E10value_typeET2_T3_PNSL_ISQ_E10value_typeET4_jRbjT5_SW_jjP12ihipStream_tbEUlT_E0_NS1_11comp_targetILNS1_3genE10ELNS1_11target_archE1201ELNS1_3gpuE5ELNS1_3repE0EEENS1_60segmented_radix_sort_warp_sort_medium_config_static_selectorELNS0_4arch9wavefront6targetE1EEEvSK_,"axG",@progbits,_ZN7rocprim17ROCPRIM_400000_NS6detail17trampoline_kernelINS0_14default_configENS1_36segmented_radix_sort_config_selectorIilEEZNS1_25segmented_radix_sort_implIS3_Lb0EPKiPiPKlPlN2at6native12_GLOBAL__N_18offset_tEEE10hipError_tPvRmT1_PNSt15iterator_traitsISK_E10value_typeET2_T3_PNSL_ISQ_E10value_typeET4_jRbjT5_SW_jjP12ihipStream_tbEUlT_E0_NS1_11comp_targetILNS1_3genE10ELNS1_11target_archE1201ELNS1_3gpuE5ELNS1_3repE0EEENS1_60segmented_radix_sort_warp_sort_medium_config_static_selectorELNS0_4arch9wavefront6targetE1EEEvSK_,comdat
.Lfunc_end616:
	.size	_ZN7rocprim17ROCPRIM_400000_NS6detail17trampoline_kernelINS0_14default_configENS1_36segmented_radix_sort_config_selectorIilEEZNS1_25segmented_radix_sort_implIS3_Lb0EPKiPiPKlPlN2at6native12_GLOBAL__N_18offset_tEEE10hipError_tPvRmT1_PNSt15iterator_traitsISK_E10value_typeET2_T3_PNSL_ISQ_E10value_typeET4_jRbjT5_SW_jjP12ihipStream_tbEUlT_E0_NS1_11comp_targetILNS1_3genE10ELNS1_11target_archE1201ELNS1_3gpuE5ELNS1_3repE0EEENS1_60segmented_radix_sort_warp_sort_medium_config_static_selectorELNS0_4arch9wavefront6targetE1EEEvSK_, .Lfunc_end616-_ZN7rocprim17ROCPRIM_400000_NS6detail17trampoline_kernelINS0_14default_configENS1_36segmented_radix_sort_config_selectorIilEEZNS1_25segmented_radix_sort_implIS3_Lb0EPKiPiPKlPlN2at6native12_GLOBAL__N_18offset_tEEE10hipError_tPvRmT1_PNSt15iterator_traitsISK_E10value_typeET2_T3_PNSL_ISQ_E10value_typeET4_jRbjT5_SW_jjP12ihipStream_tbEUlT_E0_NS1_11comp_targetILNS1_3genE10ELNS1_11target_archE1201ELNS1_3gpuE5ELNS1_3repE0EEENS1_60segmented_radix_sort_warp_sort_medium_config_static_selectorELNS0_4arch9wavefront6targetE1EEEvSK_
                                        ; -- End function
	.set _ZN7rocprim17ROCPRIM_400000_NS6detail17trampoline_kernelINS0_14default_configENS1_36segmented_radix_sort_config_selectorIilEEZNS1_25segmented_radix_sort_implIS3_Lb0EPKiPiPKlPlN2at6native12_GLOBAL__N_18offset_tEEE10hipError_tPvRmT1_PNSt15iterator_traitsISK_E10value_typeET2_T3_PNSL_ISQ_E10value_typeET4_jRbjT5_SW_jjP12ihipStream_tbEUlT_E0_NS1_11comp_targetILNS1_3genE10ELNS1_11target_archE1201ELNS1_3gpuE5ELNS1_3repE0EEENS1_60segmented_radix_sort_warp_sort_medium_config_static_selectorELNS0_4arch9wavefront6targetE1EEEvSK_.num_vgpr, 0
	.set _ZN7rocprim17ROCPRIM_400000_NS6detail17trampoline_kernelINS0_14default_configENS1_36segmented_radix_sort_config_selectorIilEEZNS1_25segmented_radix_sort_implIS3_Lb0EPKiPiPKlPlN2at6native12_GLOBAL__N_18offset_tEEE10hipError_tPvRmT1_PNSt15iterator_traitsISK_E10value_typeET2_T3_PNSL_ISQ_E10value_typeET4_jRbjT5_SW_jjP12ihipStream_tbEUlT_E0_NS1_11comp_targetILNS1_3genE10ELNS1_11target_archE1201ELNS1_3gpuE5ELNS1_3repE0EEENS1_60segmented_radix_sort_warp_sort_medium_config_static_selectorELNS0_4arch9wavefront6targetE1EEEvSK_.num_agpr, 0
	.set _ZN7rocprim17ROCPRIM_400000_NS6detail17trampoline_kernelINS0_14default_configENS1_36segmented_radix_sort_config_selectorIilEEZNS1_25segmented_radix_sort_implIS3_Lb0EPKiPiPKlPlN2at6native12_GLOBAL__N_18offset_tEEE10hipError_tPvRmT1_PNSt15iterator_traitsISK_E10value_typeET2_T3_PNSL_ISQ_E10value_typeET4_jRbjT5_SW_jjP12ihipStream_tbEUlT_E0_NS1_11comp_targetILNS1_3genE10ELNS1_11target_archE1201ELNS1_3gpuE5ELNS1_3repE0EEENS1_60segmented_radix_sort_warp_sort_medium_config_static_selectorELNS0_4arch9wavefront6targetE1EEEvSK_.numbered_sgpr, 0
	.set _ZN7rocprim17ROCPRIM_400000_NS6detail17trampoline_kernelINS0_14default_configENS1_36segmented_radix_sort_config_selectorIilEEZNS1_25segmented_radix_sort_implIS3_Lb0EPKiPiPKlPlN2at6native12_GLOBAL__N_18offset_tEEE10hipError_tPvRmT1_PNSt15iterator_traitsISK_E10value_typeET2_T3_PNSL_ISQ_E10value_typeET4_jRbjT5_SW_jjP12ihipStream_tbEUlT_E0_NS1_11comp_targetILNS1_3genE10ELNS1_11target_archE1201ELNS1_3gpuE5ELNS1_3repE0EEENS1_60segmented_radix_sort_warp_sort_medium_config_static_selectorELNS0_4arch9wavefront6targetE1EEEvSK_.num_named_barrier, 0
	.set _ZN7rocprim17ROCPRIM_400000_NS6detail17trampoline_kernelINS0_14default_configENS1_36segmented_radix_sort_config_selectorIilEEZNS1_25segmented_radix_sort_implIS3_Lb0EPKiPiPKlPlN2at6native12_GLOBAL__N_18offset_tEEE10hipError_tPvRmT1_PNSt15iterator_traitsISK_E10value_typeET2_T3_PNSL_ISQ_E10value_typeET4_jRbjT5_SW_jjP12ihipStream_tbEUlT_E0_NS1_11comp_targetILNS1_3genE10ELNS1_11target_archE1201ELNS1_3gpuE5ELNS1_3repE0EEENS1_60segmented_radix_sort_warp_sort_medium_config_static_selectorELNS0_4arch9wavefront6targetE1EEEvSK_.private_seg_size, 0
	.set _ZN7rocprim17ROCPRIM_400000_NS6detail17trampoline_kernelINS0_14default_configENS1_36segmented_radix_sort_config_selectorIilEEZNS1_25segmented_radix_sort_implIS3_Lb0EPKiPiPKlPlN2at6native12_GLOBAL__N_18offset_tEEE10hipError_tPvRmT1_PNSt15iterator_traitsISK_E10value_typeET2_T3_PNSL_ISQ_E10value_typeET4_jRbjT5_SW_jjP12ihipStream_tbEUlT_E0_NS1_11comp_targetILNS1_3genE10ELNS1_11target_archE1201ELNS1_3gpuE5ELNS1_3repE0EEENS1_60segmented_radix_sort_warp_sort_medium_config_static_selectorELNS0_4arch9wavefront6targetE1EEEvSK_.uses_vcc, 0
	.set _ZN7rocprim17ROCPRIM_400000_NS6detail17trampoline_kernelINS0_14default_configENS1_36segmented_radix_sort_config_selectorIilEEZNS1_25segmented_radix_sort_implIS3_Lb0EPKiPiPKlPlN2at6native12_GLOBAL__N_18offset_tEEE10hipError_tPvRmT1_PNSt15iterator_traitsISK_E10value_typeET2_T3_PNSL_ISQ_E10value_typeET4_jRbjT5_SW_jjP12ihipStream_tbEUlT_E0_NS1_11comp_targetILNS1_3genE10ELNS1_11target_archE1201ELNS1_3gpuE5ELNS1_3repE0EEENS1_60segmented_radix_sort_warp_sort_medium_config_static_selectorELNS0_4arch9wavefront6targetE1EEEvSK_.uses_flat_scratch, 0
	.set _ZN7rocprim17ROCPRIM_400000_NS6detail17trampoline_kernelINS0_14default_configENS1_36segmented_radix_sort_config_selectorIilEEZNS1_25segmented_radix_sort_implIS3_Lb0EPKiPiPKlPlN2at6native12_GLOBAL__N_18offset_tEEE10hipError_tPvRmT1_PNSt15iterator_traitsISK_E10value_typeET2_T3_PNSL_ISQ_E10value_typeET4_jRbjT5_SW_jjP12ihipStream_tbEUlT_E0_NS1_11comp_targetILNS1_3genE10ELNS1_11target_archE1201ELNS1_3gpuE5ELNS1_3repE0EEENS1_60segmented_radix_sort_warp_sort_medium_config_static_selectorELNS0_4arch9wavefront6targetE1EEEvSK_.has_dyn_sized_stack, 0
	.set _ZN7rocprim17ROCPRIM_400000_NS6detail17trampoline_kernelINS0_14default_configENS1_36segmented_radix_sort_config_selectorIilEEZNS1_25segmented_radix_sort_implIS3_Lb0EPKiPiPKlPlN2at6native12_GLOBAL__N_18offset_tEEE10hipError_tPvRmT1_PNSt15iterator_traitsISK_E10value_typeET2_T3_PNSL_ISQ_E10value_typeET4_jRbjT5_SW_jjP12ihipStream_tbEUlT_E0_NS1_11comp_targetILNS1_3genE10ELNS1_11target_archE1201ELNS1_3gpuE5ELNS1_3repE0EEENS1_60segmented_radix_sort_warp_sort_medium_config_static_selectorELNS0_4arch9wavefront6targetE1EEEvSK_.has_recursion, 0
	.set _ZN7rocprim17ROCPRIM_400000_NS6detail17trampoline_kernelINS0_14default_configENS1_36segmented_radix_sort_config_selectorIilEEZNS1_25segmented_radix_sort_implIS3_Lb0EPKiPiPKlPlN2at6native12_GLOBAL__N_18offset_tEEE10hipError_tPvRmT1_PNSt15iterator_traitsISK_E10value_typeET2_T3_PNSL_ISQ_E10value_typeET4_jRbjT5_SW_jjP12ihipStream_tbEUlT_E0_NS1_11comp_targetILNS1_3genE10ELNS1_11target_archE1201ELNS1_3gpuE5ELNS1_3repE0EEENS1_60segmented_radix_sort_warp_sort_medium_config_static_selectorELNS0_4arch9wavefront6targetE1EEEvSK_.has_indirect_call, 0
	.section	.AMDGPU.csdata,"",@progbits
; Kernel info:
; codeLenInByte = 0
; TotalNumSgprs: 4
; NumVgprs: 0
; ScratchSize: 0
; MemoryBound: 0
; FloatMode: 240
; IeeeMode: 1
; LDSByteSize: 0 bytes/workgroup (compile time only)
; SGPRBlocks: 0
; VGPRBlocks: 0
; NumSGPRsForWavesPerEU: 4
; NumVGPRsForWavesPerEU: 1
; Occupancy: 10
; WaveLimiterHint : 0
; COMPUTE_PGM_RSRC2:SCRATCH_EN: 0
; COMPUTE_PGM_RSRC2:USER_SGPR: 6
; COMPUTE_PGM_RSRC2:TRAP_HANDLER: 0
; COMPUTE_PGM_RSRC2:TGID_X_EN: 1
; COMPUTE_PGM_RSRC2:TGID_Y_EN: 0
; COMPUTE_PGM_RSRC2:TGID_Z_EN: 0
; COMPUTE_PGM_RSRC2:TIDIG_COMP_CNT: 0
	.section	.text._ZN7rocprim17ROCPRIM_400000_NS6detail17trampoline_kernelINS0_14default_configENS1_36segmented_radix_sort_config_selectorIilEEZNS1_25segmented_radix_sort_implIS3_Lb0EPKiPiPKlPlN2at6native12_GLOBAL__N_18offset_tEEE10hipError_tPvRmT1_PNSt15iterator_traitsISK_E10value_typeET2_T3_PNSL_ISQ_E10value_typeET4_jRbjT5_SW_jjP12ihipStream_tbEUlT_E0_NS1_11comp_targetILNS1_3genE10ELNS1_11target_archE1200ELNS1_3gpuE4ELNS1_3repE0EEENS1_60segmented_radix_sort_warp_sort_medium_config_static_selectorELNS0_4arch9wavefront6targetE1EEEvSK_,"axG",@progbits,_ZN7rocprim17ROCPRIM_400000_NS6detail17trampoline_kernelINS0_14default_configENS1_36segmented_radix_sort_config_selectorIilEEZNS1_25segmented_radix_sort_implIS3_Lb0EPKiPiPKlPlN2at6native12_GLOBAL__N_18offset_tEEE10hipError_tPvRmT1_PNSt15iterator_traitsISK_E10value_typeET2_T3_PNSL_ISQ_E10value_typeET4_jRbjT5_SW_jjP12ihipStream_tbEUlT_E0_NS1_11comp_targetILNS1_3genE10ELNS1_11target_archE1200ELNS1_3gpuE4ELNS1_3repE0EEENS1_60segmented_radix_sort_warp_sort_medium_config_static_selectorELNS0_4arch9wavefront6targetE1EEEvSK_,comdat
	.globl	_ZN7rocprim17ROCPRIM_400000_NS6detail17trampoline_kernelINS0_14default_configENS1_36segmented_radix_sort_config_selectorIilEEZNS1_25segmented_radix_sort_implIS3_Lb0EPKiPiPKlPlN2at6native12_GLOBAL__N_18offset_tEEE10hipError_tPvRmT1_PNSt15iterator_traitsISK_E10value_typeET2_T3_PNSL_ISQ_E10value_typeET4_jRbjT5_SW_jjP12ihipStream_tbEUlT_E0_NS1_11comp_targetILNS1_3genE10ELNS1_11target_archE1200ELNS1_3gpuE4ELNS1_3repE0EEENS1_60segmented_radix_sort_warp_sort_medium_config_static_selectorELNS0_4arch9wavefront6targetE1EEEvSK_ ; -- Begin function _ZN7rocprim17ROCPRIM_400000_NS6detail17trampoline_kernelINS0_14default_configENS1_36segmented_radix_sort_config_selectorIilEEZNS1_25segmented_radix_sort_implIS3_Lb0EPKiPiPKlPlN2at6native12_GLOBAL__N_18offset_tEEE10hipError_tPvRmT1_PNSt15iterator_traitsISK_E10value_typeET2_T3_PNSL_ISQ_E10value_typeET4_jRbjT5_SW_jjP12ihipStream_tbEUlT_E0_NS1_11comp_targetILNS1_3genE10ELNS1_11target_archE1200ELNS1_3gpuE4ELNS1_3repE0EEENS1_60segmented_radix_sort_warp_sort_medium_config_static_selectorELNS0_4arch9wavefront6targetE1EEEvSK_
	.p2align	8
	.type	_ZN7rocprim17ROCPRIM_400000_NS6detail17trampoline_kernelINS0_14default_configENS1_36segmented_radix_sort_config_selectorIilEEZNS1_25segmented_radix_sort_implIS3_Lb0EPKiPiPKlPlN2at6native12_GLOBAL__N_18offset_tEEE10hipError_tPvRmT1_PNSt15iterator_traitsISK_E10value_typeET2_T3_PNSL_ISQ_E10value_typeET4_jRbjT5_SW_jjP12ihipStream_tbEUlT_E0_NS1_11comp_targetILNS1_3genE10ELNS1_11target_archE1200ELNS1_3gpuE4ELNS1_3repE0EEENS1_60segmented_radix_sort_warp_sort_medium_config_static_selectorELNS0_4arch9wavefront6targetE1EEEvSK_,@function
_ZN7rocprim17ROCPRIM_400000_NS6detail17trampoline_kernelINS0_14default_configENS1_36segmented_radix_sort_config_selectorIilEEZNS1_25segmented_radix_sort_implIS3_Lb0EPKiPiPKlPlN2at6native12_GLOBAL__N_18offset_tEEE10hipError_tPvRmT1_PNSt15iterator_traitsISK_E10value_typeET2_T3_PNSL_ISQ_E10value_typeET4_jRbjT5_SW_jjP12ihipStream_tbEUlT_E0_NS1_11comp_targetILNS1_3genE10ELNS1_11target_archE1200ELNS1_3gpuE4ELNS1_3repE0EEENS1_60segmented_radix_sort_warp_sort_medium_config_static_selectorELNS0_4arch9wavefront6targetE1EEEvSK_: ; @_ZN7rocprim17ROCPRIM_400000_NS6detail17trampoline_kernelINS0_14default_configENS1_36segmented_radix_sort_config_selectorIilEEZNS1_25segmented_radix_sort_implIS3_Lb0EPKiPiPKlPlN2at6native12_GLOBAL__N_18offset_tEEE10hipError_tPvRmT1_PNSt15iterator_traitsISK_E10value_typeET2_T3_PNSL_ISQ_E10value_typeET4_jRbjT5_SW_jjP12ihipStream_tbEUlT_E0_NS1_11comp_targetILNS1_3genE10ELNS1_11target_archE1200ELNS1_3gpuE4ELNS1_3repE0EEENS1_60segmented_radix_sort_warp_sort_medium_config_static_selectorELNS0_4arch9wavefront6targetE1EEEvSK_
; %bb.0:
	.section	.rodata,"a",@progbits
	.p2align	6, 0x0
	.amdhsa_kernel _ZN7rocprim17ROCPRIM_400000_NS6detail17trampoline_kernelINS0_14default_configENS1_36segmented_radix_sort_config_selectorIilEEZNS1_25segmented_radix_sort_implIS3_Lb0EPKiPiPKlPlN2at6native12_GLOBAL__N_18offset_tEEE10hipError_tPvRmT1_PNSt15iterator_traitsISK_E10value_typeET2_T3_PNSL_ISQ_E10value_typeET4_jRbjT5_SW_jjP12ihipStream_tbEUlT_E0_NS1_11comp_targetILNS1_3genE10ELNS1_11target_archE1200ELNS1_3gpuE4ELNS1_3repE0EEENS1_60segmented_radix_sort_warp_sort_medium_config_static_selectorELNS0_4arch9wavefront6targetE1EEEvSK_
		.amdhsa_group_segment_fixed_size 0
		.amdhsa_private_segment_fixed_size 0
		.amdhsa_kernarg_size 88
		.amdhsa_user_sgpr_count 6
		.amdhsa_user_sgpr_private_segment_buffer 1
		.amdhsa_user_sgpr_dispatch_ptr 0
		.amdhsa_user_sgpr_queue_ptr 0
		.amdhsa_user_sgpr_kernarg_segment_ptr 1
		.amdhsa_user_sgpr_dispatch_id 0
		.amdhsa_user_sgpr_flat_scratch_init 0
		.amdhsa_user_sgpr_private_segment_size 0
		.amdhsa_uses_dynamic_stack 0
		.amdhsa_system_sgpr_private_segment_wavefront_offset 0
		.amdhsa_system_sgpr_workgroup_id_x 1
		.amdhsa_system_sgpr_workgroup_id_y 0
		.amdhsa_system_sgpr_workgroup_id_z 0
		.amdhsa_system_sgpr_workgroup_info 0
		.amdhsa_system_vgpr_workitem_id 0
		.amdhsa_next_free_vgpr 1
		.amdhsa_next_free_sgpr 0
		.amdhsa_reserve_vcc 0
		.amdhsa_reserve_flat_scratch 0
		.amdhsa_float_round_mode_32 0
		.amdhsa_float_round_mode_16_64 0
		.amdhsa_float_denorm_mode_32 3
		.amdhsa_float_denorm_mode_16_64 3
		.amdhsa_dx10_clamp 1
		.amdhsa_ieee_mode 1
		.amdhsa_fp16_overflow 0
		.amdhsa_exception_fp_ieee_invalid_op 0
		.amdhsa_exception_fp_denorm_src 0
		.amdhsa_exception_fp_ieee_div_zero 0
		.amdhsa_exception_fp_ieee_overflow 0
		.amdhsa_exception_fp_ieee_underflow 0
		.amdhsa_exception_fp_ieee_inexact 0
		.amdhsa_exception_int_div_zero 0
	.end_amdhsa_kernel
	.section	.text._ZN7rocprim17ROCPRIM_400000_NS6detail17trampoline_kernelINS0_14default_configENS1_36segmented_radix_sort_config_selectorIilEEZNS1_25segmented_radix_sort_implIS3_Lb0EPKiPiPKlPlN2at6native12_GLOBAL__N_18offset_tEEE10hipError_tPvRmT1_PNSt15iterator_traitsISK_E10value_typeET2_T3_PNSL_ISQ_E10value_typeET4_jRbjT5_SW_jjP12ihipStream_tbEUlT_E0_NS1_11comp_targetILNS1_3genE10ELNS1_11target_archE1200ELNS1_3gpuE4ELNS1_3repE0EEENS1_60segmented_radix_sort_warp_sort_medium_config_static_selectorELNS0_4arch9wavefront6targetE1EEEvSK_,"axG",@progbits,_ZN7rocprim17ROCPRIM_400000_NS6detail17trampoline_kernelINS0_14default_configENS1_36segmented_radix_sort_config_selectorIilEEZNS1_25segmented_radix_sort_implIS3_Lb0EPKiPiPKlPlN2at6native12_GLOBAL__N_18offset_tEEE10hipError_tPvRmT1_PNSt15iterator_traitsISK_E10value_typeET2_T3_PNSL_ISQ_E10value_typeET4_jRbjT5_SW_jjP12ihipStream_tbEUlT_E0_NS1_11comp_targetILNS1_3genE10ELNS1_11target_archE1200ELNS1_3gpuE4ELNS1_3repE0EEENS1_60segmented_radix_sort_warp_sort_medium_config_static_selectorELNS0_4arch9wavefront6targetE1EEEvSK_,comdat
.Lfunc_end617:
	.size	_ZN7rocprim17ROCPRIM_400000_NS6detail17trampoline_kernelINS0_14default_configENS1_36segmented_radix_sort_config_selectorIilEEZNS1_25segmented_radix_sort_implIS3_Lb0EPKiPiPKlPlN2at6native12_GLOBAL__N_18offset_tEEE10hipError_tPvRmT1_PNSt15iterator_traitsISK_E10value_typeET2_T3_PNSL_ISQ_E10value_typeET4_jRbjT5_SW_jjP12ihipStream_tbEUlT_E0_NS1_11comp_targetILNS1_3genE10ELNS1_11target_archE1200ELNS1_3gpuE4ELNS1_3repE0EEENS1_60segmented_radix_sort_warp_sort_medium_config_static_selectorELNS0_4arch9wavefront6targetE1EEEvSK_, .Lfunc_end617-_ZN7rocprim17ROCPRIM_400000_NS6detail17trampoline_kernelINS0_14default_configENS1_36segmented_radix_sort_config_selectorIilEEZNS1_25segmented_radix_sort_implIS3_Lb0EPKiPiPKlPlN2at6native12_GLOBAL__N_18offset_tEEE10hipError_tPvRmT1_PNSt15iterator_traitsISK_E10value_typeET2_T3_PNSL_ISQ_E10value_typeET4_jRbjT5_SW_jjP12ihipStream_tbEUlT_E0_NS1_11comp_targetILNS1_3genE10ELNS1_11target_archE1200ELNS1_3gpuE4ELNS1_3repE0EEENS1_60segmented_radix_sort_warp_sort_medium_config_static_selectorELNS0_4arch9wavefront6targetE1EEEvSK_
                                        ; -- End function
	.set _ZN7rocprim17ROCPRIM_400000_NS6detail17trampoline_kernelINS0_14default_configENS1_36segmented_radix_sort_config_selectorIilEEZNS1_25segmented_radix_sort_implIS3_Lb0EPKiPiPKlPlN2at6native12_GLOBAL__N_18offset_tEEE10hipError_tPvRmT1_PNSt15iterator_traitsISK_E10value_typeET2_T3_PNSL_ISQ_E10value_typeET4_jRbjT5_SW_jjP12ihipStream_tbEUlT_E0_NS1_11comp_targetILNS1_3genE10ELNS1_11target_archE1200ELNS1_3gpuE4ELNS1_3repE0EEENS1_60segmented_radix_sort_warp_sort_medium_config_static_selectorELNS0_4arch9wavefront6targetE1EEEvSK_.num_vgpr, 0
	.set _ZN7rocprim17ROCPRIM_400000_NS6detail17trampoline_kernelINS0_14default_configENS1_36segmented_radix_sort_config_selectorIilEEZNS1_25segmented_radix_sort_implIS3_Lb0EPKiPiPKlPlN2at6native12_GLOBAL__N_18offset_tEEE10hipError_tPvRmT1_PNSt15iterator_traitsISK_E10value_typeET2_T3_PNSL_ISQ_E10value_typeET4_jRbjT5_SW_jjP12ihipStream_tbEUlT_E0_NS1_11comp_targetILNS1_3genE10ELNS1_11target_archE1200ELNS1_3gpuE4ELNS1_3repE0EEENS1_60segmented_radix_sort_warp_sort_medium_config_static_selectorELNS0_4arch9wavefront6targetE1EEEvSK_.num_agpr, 0
	.set _ZN7rocprim17ROCPRIM_400000_NS6detail17trampoline_kernelINS0_14default_configENS1_36segmented_radix_sort_config_selectorIilEEZNS1_25segmented_radix_sort_implIS3_Lb0EPKiPiPKlPlN2at6native12_GLOBAL__N_18offset_tEEE10hipError_tPvRmT1_PNSt15iterator_traitsISK_E10value_typeET2_T3_PNSL_ISQ_E10value_typeET4_jRbjT5_SW_jjP12ihipStream_tbEUlT_E0_NS1_11comp_targetILNS1_3genE10ELNS1_11target_archE1200ELNS1_3gpuE4ELNS1_3repE0EEENS1_60segmented_radix_sort_warp_sort_medium_config_static_selectorELNS0_4arch9wavefront6targetE1EEEvSK_.numbered_sgpr, 0
	.set _ZN7rocprim17ROCPRIM_400000_NS6detail17trampoline_kernelINS0_14default_configENS1_36segmented_radix_sort_config_selectorIilEEZNS1_25segmented_radix_sort_implIS3_Lb0EPKiPiPKlPlN2at6native12_GLOBAL__N_18offset_tEEE10hipError_tPvRmT1_PNSt15iterator_traitsISK_E10value_typeET2_T3_PNSL_ISQ_E10value_typeET4_jRbjT5_SW_jjP12ihipStream_tbEUlT_E0_NS1_11comp_targetILNS1_3genE10ELNS1_11target_archE1200ELNS1_3gpuE4ELNS1_3repE0EEENS1_60segmented_radix_sort_warp_sort_medium_config_static_selectorELNS0_4arch9wavefront6targetE1EEEvSK_.num_named_barrier, 0
	.set _ZN7rocprim17ROCPRIM_400000_NS6detail17trampoline_kernelINS0_14default_configENS1_36segmented_radix_sort_config_selectorIilEEZNS1_25segmented_radix_sort_implIS3_Lb0EPKiPiPKlPlN2at6native12_GLOBAL__N_18offset_tEEE10hipError_tPvRmT1_PNSt15iterator_traitsISK_E10value_typeET2_T3_PNSL_ISQ_E10value_typeET4_jRbjT5_SW_jjP12ihipStream_tbEUlT_E0_NS1_11comp_targetILNS1_3genE10ELNS1_11target_archE1200ELNS1_3gpuE4ELNS1_3repE0EEENS1_60segmented_radix_sort_warp_sort_medium_config_static_selectorELNS0_4arch9wavefront6targetE1EEEvSK_.private_seg_size, 0
	.set _ZN7rocprim17ROCPRIM_400000_NS6detail17trampoline_kernelINS0_14default_configENS1_36segmented_radix_sort_config_selectorIilEEZNS1_25segmented_radix_sort_implIS3_Lb0EPKiPiPKlPlN2at6native12_GLOBAL__N_18offset_tEEE10hipError_tPvRmT1_PNSt15iterator_traitsISK_E10value_typeET2_T3_PNSL_ISQ_E10value_typeET4_jRbjT5_SW_jjP12ihipStream_tbEUlT_E0_NS1_11comp_targetILNS1_3genE10ELNS1_11target_archE1200ELNS1_3gpuE4ELNS1_3repE0EEENS1_60segmented_radix_sort_warp_sort_medium_config_static_selectorELNS0_4arch9wavefront6targetE1EEEvSK_.uses_vcc, 0
	.set _ZN7rocprim17ROCPRIM_400000_NS6detail17trampoline_kernelINS0_14default_configENS1_36segmented_radix_sort_config_selectorIilEEZNS1_25segmented_radix_sort_implIS3_Lb0EPKiPiPKlPlN2at6native12_GLOBAL__N_18offset_tEEE10hipError_tPvRmT1_PNSt15iterator_traitsISK_E10value_typeET2_T3_PNSL_ISQ_E10value_typeET4_jRbjT5_SW_jjP12ihipStream_tbEUlT_E0_NS1_11comp_targetILNS1_3genE10ELNS1_11target_archE1200ELNS1_3gpuE4ELNS1_3repE0EEENS1_60segmented_radix_sort_warp_sort_medium_config_static_selectorELNS0_4arch9wavefront6targetE1EEEvSK_.uses_flat_scratch, 0
	.set _ZN7rocprim17ROCPRIM_400000_NS6detail17trampoline_kernelINS0_14default_configENS1_36segmented_radix_sort_config_selectorIilEEZNS1_25segmented_radix_sort_implIS3_Lb0EPKiPiPKlPlN2at6native12_GLOBAL__N_18offset_tEEE10hipError_tPvRmT1_PNSt15iterator_traitsISK_E10value_typeET2_T3_PNSL_ISQ_E10value_typeET4_jRbjT5_SW_jjP12ihipStream_tbEUlT_E0_NS1_11comp_targetILNS1_3genE10ELNS1_11target_archE1200ELNS1_3gpuE4ELNS1_3repE0EEENS1_60segmented_radix_sort_warp_sort_medium_config_static_selectorELNS0_4arch9wavefront6targetE1EEEvSK_.has_dyn_sized_stack, 0
	.set _ZN7rocprim17ROCPRIM_400000_NS6detail17trampoline_kernelINS0_14default_configENS1_36segmented_radix_sort_config_selectorIilEEZNS1_25segmented_radix_sort_implIS3_Lb0EPKiPiPKlPlN2at6native12_GLOBAL__N_18offset_tEEE10hipError_tPvRmT1_PNSt15iterator_traitsISK_E10value_typeET2_T3_PNSL_ISQ_E10value_typeET4_jRbjT5_SW_jjP12ihipStream_tbEUlT_E0_NS1_11comp_targetILNS1_3genE10ELNS1_11target_archE1200ELNS1_3gpuE4ELNS1_3repE0EEENS1_60segmented_radix_sort_warp_sort_medium_config_static_selectorELNS0_4arch9wavefront6targetE1EEEvSK_.has_recursion, 0
	.set _ZN7rocprim17ROCPRIM_400000_NS6detail17trampoline_kernelINS0_14default_configENS1_36segmented_radix_sort_config_selectorIilEEZNS1_25segmented_radix_sort_implIS3_Lb0EPKiPiPKlPlN2at6native12_GLOBAL__N_18offset_tEEE10hipError_tPvRmT1_PNSt15iterator_traitsISK_E10value_typeET2_T3_PNSL_ISQ_E10value_typeET4_jRbjT5_SW_jjP12ihipStream_tbEUlT_E0_NS1_11comp_targetILNS1_3genE10ELNS1_11target_archE1200ELNS1_3gpuE4ELNS1_3repE0EEENS1_60segmented_radix_sort_warp_sort_medium_config_static_selectorELNS0_4arch9wavefront6targetE1EEEvSK_.has_indirect_call, 0
	.section	.AMDGPU.csdata,"",@progbits
; Kernel info:
; codeLenInByte = 0
; TotalNumSgprs: 4
; NumVgprs: 0
; ScratchSize: 0
; MemoryBound: 0
; FloatMode: 240
; IeeeMode: 1
; LDSByteSize: 0 bytes/workgroup (compile time only)
; SGPRBlocks: 0
; VGPRBlocks: 0
; NumSGPRsForWavesPerEU: 4
; NumVGPRsForWavesPerEU: 1
; Occupancy: 10
; WaveLimiterHint : 0
; COMPUTE_PGM_RSRC2:SCRATCH_EN: 0
; COMPUTE_PGM_RSRC2:USER_SGPR: 6
; COMPUTE_PGM_RSRC2:TRAP_HANDLER: 0
; COMPUTE_PGM_RSRC2:TGID_X_EN: 1
; COMPUTE_PGM_RSRC2:TGID_Y_EN: 0
; COMPUTE_PGM_RSRC2:TGID_Z_EN: 0
; COMPUTE_PGM_RSRC2:TIDIG_COMP_CNT: 0
	.section	.text._ZN7rocprim17ROCPRIM_400000_NS6detail17trampoline_kernelINS0_14default_configENS1_36segmented_radix_sort_config_selectorIilEEZNS1_25segmented_radix_sort_implIS3_Lb0EPKiPiPKlPlN2at6native12_GLOBAL__N_18offset_tEEE10hipError_tPvRmT1_PNSt15iterator_traitsISK_E10value_typeET2_T3_PNSL_ISQ_E10value_typeET4_jRbjT5_SW_jjP12ihipStream_tbEUlT_E0_NS1_11comp_targetILNS1_3genE9ELNS1_11target_archE1100ELNS1_3gpuE3ELNS1_3repE0EEENS1_60segmented_radix_sort_warp_sort_medium_config_static_selectorELNS0_4arch9wavefront6targetE1EEEvSK_,"axG",@progbits,_ZN7rocprim17ROCPRIM_400000_NS6detail17trampoline_kernelINS0_14default_configENS1_36segmented_radix_sort_config_selectorIilEEZNS1_25segmented_radix_sort_implIS3_Lb0EPKiPiPKlPlN2at6native12_GLOBAL__N_18offset_tEEE10hipError_tPvRmT1_PNSt15iterator_traitsISK_E10value_typeET2_T3_PNSL_ISQ_E10value_typeET4_jRbjT5_SW_jjP12ihipStream_tbEUlT_E0_NS1_11comp_targetILNS1_3genE9ELNS1_11target_archE1100ELNS1_3gpuE3ELNS1_3repE0EEENS1_60segmented_radix_sort_warp_sort_medium_config_static_selectorELNS0_4arch9wavefront6targetE1EEEvSK_,comdat
	.globl	_ZN7rocprim17ROCPRIM_400000_NS6detail17trampoline_kernelINS0_14default_configENS1_36segmented_radix_sort_config_selectorIilEEZNS1_25segmented_radix_sort_implIS3_Lb0EPKiPiPKlPlN2at6native12_GLOBAL__N_18offset_tEEE10hipError_tPvRmT1_PNSt15iterator_traitsISK_E10value_typeET2_T3_PNSL_ISQ_E10value_typeET4_jRbjT5_SW_jjP12ihipStream_tbEUlT_E0_NS1_11comp_targetILNS1_3genE9ELNS1_11target_archE1100ELNS1_3gpuE3ELNS1_3repE0EEENS1_60segmented_radix_sort_warp_sort_medium_config_static_selectorELNS0_4arch9wavefront6targetE1EEEvSK_ ; -- Begin function _ZN7rocprim17ROCPRIM_400000_NS6detail17trampoline_kernelINS0_14default_configENS1_36segmented_radix_sort_config_selectorIilEEZNS1_25segmented_radix_sort_implIS3_Lb0EPKiPiPKlPlN2at6native12_GLOBAL__N_18offset_tEEE10hipError_tPvRmT1_PNSt15iterator_traitsISK_E10value_typeET2_T3_PNSL_ISQ_E10value_typeET4_jRbjT5_SW_jjP12ihipStream_tbEUlT_E0_NS1_11comp_targetILNS1_3genE9ELNS1_11target_archE1100ELNS1_3gpuE3ELNS1_3repE0EEENS1_60segmented_radix_sort_warp_sort_medium_config_static_selectorELNS0_4arch9wavefront6targetE1EEEvSK_
	.p2align	8
	.type	_ZN7rocprim17ROCPRIM_400000_NS6detail17trampoline_kernelINS0_14default_configENS1_36segmented_radix_sort_config_selectorIilEEZNS1_25segmented_radix_sort_implIS3_Lb0EPKiPiPKlPlN2at6native12_GLOBAL__N_18offset_tEEE10hipError_tPvRmT1_PNSt15iterator_traitsISK_E10value_typeET2_T3_PNSL_ISQ_E10value_typeET4_jRbjT5_SW_jjP12ihipStream_tbEUlT_E0_NS1_11comp_targetILNS1_3genE9ELNS1_11target_archE1100ELNS1_3gpuE3ELNS1_3repE0EEENS1_60segmented_radix_sort_warp_sort_medium_config_static_selectorELNS0_4arch9wavefront6targetE1EEEvSK_,@function
_ZN7rocprim17ROCPRIM_400000_NS6detail17trampoline_kernelINS0_14default_configENS1_36segmented_radix_sort_config_selectorIilEEZNS1_25segmented_radix_sort_implIS3_Lb0EPKiPiPKlPlN2at6native12_GLOBAL__N_18offset_tEEE10hipError_tPvRmT1_PNSt15iterator_traitsISK_E10value_typeET2_T3_PNSL_ISQ_E10value_typeET4_jRbjT5_SW_jjP12ihipStream_tbEUlT_E0_NS1_11comp_targetILNS1_3genE9ELNS1_11target_archE1100ELNS1_3gpuE3ELNS1_3repE0EEENS1_60segmented_radix_sort_warp_sort_medium_config_static_selectorELNS0_4arch9wavefront6targetE1EEEvSK_: ; @_ZN7rocprim17ROCPRIM_400000_NS6detail17trampoline_kernelINS0_14default_configENS1_36segmented_radix_sort_config_selectorIilEEZNS1_25segmented_radix_sort_implIS3_Lb0EPKiPiPKlPlN2at6native12_GLOBAL__N_18offset_tEEE10hipError_tPvRmT1_PNSt15iterator_traitsISK_E10value_typeET2_T3_PNSL_ISQ_E10value_typeET4_jRbjT5_SW_jjP12ihipStream_tbEUlT_E0_NS1_11comp_targetILNS1_3genE9ELNS1_11target_archE1100ELNS1_3gpuE3ELNS1_3repE0EEENS1_60segmented_radix_sort_warp_sort_medium_config_static_selectorELNS0_4arch9wavefront6targetE1EEEvSK_
; %bb.0:
	.section	.rodata,"a",@progbits
	.p2align	6, 0x0
	.amdhsa_kernel _ZN7rocprim17ROCPRIM_400000_NS6detail17trampoline_kernelINS0_14default_configENS1_36segmented_radix_sort_config_selectorIilEEZNS1_25segmented_radix_sort_implIS3_Lb0EPKiPiPKlPlN2at6native12_GLOBAL__N_18offset_tEEE10hipError_tPvRmT1_PNSt15iterator_traitsISK_E10value_typeET2_T3_PNSL_ISQ_E10value_typeET4_jRbjT5_SW_jjP12ihipStream_tbEUlT_E0_NS1_11comp_targetILNS1_3genE9ELNS1_11target_archE1100ELNS1_3gpuE3ELNS1_3repE0EEENS1_60segmented_radix_sort_warp_sort_medium_config_static_selectorELNS0_4arch9wavefront6targetE1EEEvSK_
		.amdhsa_group_segment_fixed_size 0
		.amdhsa_private_segment_fixed_size 0
		.amdhsa_kernarg_size 88
		.amdhsa_user_sgpr_count 6
		.amdhsa_user_sgpr_private_segment_buffer 1
		.amdhsa_user_sgpr_dispatch_ptr 0
		.amdhsa_user_sgpr_queue_ptr 0
		.amdhsa_user_sgpr_kernarg_segment_ptr 1
		.amdhsa_user_sgpr_dispatch_id 0
		.amdhsa_user_sgpr_flat_scratch_init 0
		.amdhsa_user_sgpr_private_segment_size 0
		.amdhsa_uses_dynamic_stack 0
		.amdhsa_system_sgpr_private_segment_wavefront_offset 0
		.amdhsa_system_sgpr_workgroup_id_x 1
		.amdhsa_system_sgpr_workgroup_id_y 0
		.amdhsa_system_sgpr_workgroup_id_z 0
		.amdhsa_system_sgpr_workgroup_info 0
		.amdhsa_system_vgpr_workitem_id 0
		.amdhsa_next_free_vgpr 1
		.amdhsa_next_free_sgpr 0
		.amdhsa_reserve_vcc 0
		.amdhsa_reserve_flat_scratch 0
		.amdhsa_float_round_mode_32 0
		.amdhsa_float_round_mode_16_64 0
		.amdhsa_float_denorm_mode_32 3
		.amdhsa_float_denorm_mode_16_64 3
		.amdhsa_dx10_clamp 1
		.amdhsa_ieee_mode 1
		.amdhsa_fp16_overflow 0
		.amdhsa_exception_fp_ieee_invalid_op 0
		.amdhsa_exception_fp_denorm_src 0
		.amdhsa_exception_fp_ieee_div_zero 0
		.amdhsa_exception_fp_ieee_overflow 0
		.amdhsa_exception_fp_ieee_underflow 0
		.amdhsa_exception_fp_ieee_inexact 0
		.amdhsa_exception_int_div_zero 0
	.end_amdhsa_kernel
	.section	.text._ZN7rocprim17ROCPRIM_400000_NS6detail17trampoline_kernelINS0_14default_configENS1_36segmented_radix_sort_config_selectorIilEEZNS1_25segmented_radix_sort_implIS3_Lb0EPKiPiPKlPlN2at6native12_GLOBAL__N_18offset_tEEE10hipError_tPvRmT1_PNSt15iterator_traitsISK_E10value_typeET2_T3_PNSL_ISQ_E10value_typeET4_jRbjT5_SW_jjP12ihipStream_tbEUlT_E0_NS1_11comp_targetILNS1_3genE9ELNS1_11target_archE1100ELNS1_3gpuE3ELNS1_3repE0EEENS1_60segmented_radix_sort_warp_sort_medium_config_static_selectorELNS0_4arch9wavefront6targetE1EEEvSK_,"axG",@progbits,_ZN7rocprim17ROCPRIM_400000_NS6detail17trampoline_kernelINS0_14default_configENS1_36segmented_radix_sort_config_selectorIilEEZNS1_25segmented_radix_sort_implIS3_Lb0EPKiPiPKlPlN2at6native12_GLOBAL__N_18offset_tEEE10hipError_tPvRmT1_PNSt15iterator_traitsISK_E10value_typeET2_T3_PNSL_ISQ_E10value_typeET4_jRbjT5_SW_jjP12ihipStream_tbEUlT_E0_NS1_11comp_targetILNS1_3genE9ELNS1_11target_archE1100ELNS1_3gpuE3ELNS1_3repE0EEENS1_60segmented_radix_sort_warp_sort_medium_config_static_selectorELNS0_4arch9wavefront6targetE1EEEvSK_,comdat
.Lfunc_end618:
	.size	_ZN7rocprim17ROCPRIM_400000_NS6detail17trampoline_kernelINS0_14default_configENS1_36segmented_radix_sort_config_selectorIilEEZNS1_25segmented_radix_sort_implIS3_Lb0EPKiPiPKlPlN2at6native12_GLOBAL__N_18offset_tEEE10hipError_tPvRmT1_PNSt15iterator_traitsISK_E10value_typeET2_T3_PNSL_ISQ_E10value_typeET4_jRbjT5_SW_jjP12ihipStream_tbEUlT_E0_NS1_11comp_targetILNS1_3genE9ELNS1_11target_archE1100ELNS1_3gpuE3ELNS1_3repE0EEENS1_60segmented_radix_sort_warp_sort_medium_config_static_selectorELNS0_4arch9wavefront6targetE1EEEvSK_, .Lfunc_end618-_ZN7rocprim17ROCPRIM_400000_NS6detail17trampoline_kernelINS0_14default_configENS1_36segmented_radix_sort_config_selectorIilEEZNS1_25segmented_radix_sort_implIS3_Lb0EPKiPiPKlPlN2at6native12_GLOBAL__N_18offset_tEEE10hipError_tPvRmT1_PNSt15iterator_traitsISK_E10value_typeET2_T3_PNSL_ISQ_E10value_typeET4_jRbjT5_SW_jjP12ihipStream_tbEUlT_E0_NS1_11comp_targetILNS1_3genE9ELNS1_11target_archE1100ELNS1_3gpuE3ELNS1_3repE0EEENS1_60segmented_radix_sort_warp_sort_medium_config_static_selectorELNS0_4arch9wavefront6targetE1EEEvSK_
                                        ; -- End function
	.set _ZN7rocprim17ROCPRIM_400000_NS6detail17trampoline_kernelINS0_14default_configENS1_36segmented_radix_sort_config_selectorIilEEZNS1_25segmented_radix_sort_implIS3_Lb0EPKiPiPKlPlN2at6native12_GLOBAL__N_18offset_tEEE10hipError_tPvRmT1_PNSt15iterator_traitsISK_E10value_typeET2_T3_PNSL_ISQ_E10value_typeET4_jRbjT5_SW_jjP12ihipStream_tbEUlT_E0_NS1_11comp_targetILNS1_3genE9ELNS1_11target_archE1100ELNS1_3gpuE3ELNS1_3repE0EEENS1_60segmented_radix_sort_warp_sort_medium_config_static_selectorELNS0_4arch9wavefront6targetE1EEEvSK_.num_vgpr, 0
	.set _ZN7rocprim17ROCPRIM_400000_NS6detail17trampoline_kernelINS0_14default_configENS1_36segmented_radix_sort_config_selectorIilEEZNS1_25segmented_radix_sort_implIS3_Lb0EPKiPiPKlPlN2at6native12_GLOBAL__N_18offset_tEEE10hipError_tPvRmT1_PNSt15iterator_traitsISK_E10value_typeET2_T3_PNSL_ISQ_E10value_typeET4_jRbjT5_SW_jjP12ihipStream_tbEUlT_E0_NS1_11comp_targetILNS1_3genE9ELNS1_11target_archE1100ELNS1_3gpuE3ELNS1_3repE0EEENS1_60segmented_radix_sort_warp_sort_medium_config_static_selectorELNS0_4arch9wavefront6targetE1EEEvSK_.num_agpr, 0
	.set _ZN7rocprim17ROCPRIM_400000_NS6detail17trampoline_kernelINS0_14default_configENS1_36segmented_radix_sort_config_selectorIilEEZNS1_25segmented_radix_sort_implIS3_Lb0EPKiPiPKlPlN2at6native12_GLOBAL__N_18offset_tEEE10hipError_tPvRmT1_PNSt15iterator_traitsISK_E10value_typeET2_T3_PNSL_ISQ_E10value_typeET4_jRbjT5_SW_jjP12ihipStream_tbEUlT_E0_NS1_11comp_targetILNS1_3genE9ELNS1_11target_archE1100ELNS1_3gpuE3ELNS1_3repE0EEENS1_60segmented_radix_sort_warp_sort_medium_config_static_selectorELNS0_4arch9wavefront6targetE1EEEvSK_.numbered_sgpr, 0
	.set _ZN7rocprim17ROCPRIM_400000_NS6detail17trampoline_kernelINS0_14default_configENS1_36segmented_radix_sort_config_selectorIilEEZNS1_25segmented_radix_sort_implIS3_Lb0EPKiPiPKlPlN2at6native12_GLOBAL__N_18offset_tEEE10hipError_tPvRmT1_PNSt15iterator_traitsISK_E10value_typeET2_T3_PNSL_ISQ_E10value_typeET4_jRbjT5_SW_jjP12ihipStream_tbEUlT_E0_NS1_11comp_targetILNS1_3genE9ELNS1_11target_archE1100ELNS1_3gpuE3ELNS1_3repE0EEENS1_60segmented_radix_sort_warp_sort_medium_config_static_selectorELNS0_4arch9wavefront6targetE1EEEvSK_.num_named_barrier, 0
	.set _ZN7rocprim17ROCPRIM_400000_NS6detail17trampoline_kernelINS0_14default_configENS1_36segmented_radix_sort_config_selectorIilEEZNS1_25segmented_radix_sort_implIS3_Lb0EPKiPiPKlPlN2at6native12_GLOBAL__N_18offset_tEEE10hipError_tPvRmT1_PNSt15iterator_traitsISK_E10value_typeET2_T3_PNSL_ISQ_E10value_typeET4_jRbjT5_SW_jjP12ihipStream_tbEUlT_E0_NS1_11comp_targetILNS1_3genE9ELNS1_11target_archE1100ELNS1_3gpuE3ELNS1_3repE0EEENS1_60segmented_radix_sort_warp_sort_medium_config_static_selectorELNS0_4arch9wavefront6targetE1EEEvSK_.private_seg_size, 0
	.set _ZN7rocprim17ROCPRIM_400000_NS6detail17trampoline_kernelINS0_14default_configENS1_36segmented_radix_sort_config_selectorIilEEZNS1_25segmented_radix_sort_implIS3_Lb0EPKiPiPKlPlN2at6native12_GLOBAL__N_18offset_tEEE10hipError_tPvRmT1_PNSt15iterator_traitsISK_E10value_typeET2_T3_PNSL_ISQ_E10value_typeET4_jRbjT5_SW_jjP12ihipStream_tbEUlT_E0_NS1_11comp_targetILNS1_3genE9ELNS1_11target_archE1100ELNS1_3gpuE3ELNS1_3repE0EEENS1_60segmented_radix_sort_warp_sort_medium_config_static_selectorELNS0_4arch9wavefront6targetE1EEEvSK_.uses_vcc, 0
	.set _ZN7rocprim17ROCPRIM_400000_NS6detail17trampoline_kernelINS0_14default_configENS1_36segmented_radix_sort_config_selectorIilEEZNS1_25segmented_radix_sort_implIS3_Lb0EPKiPiPKlPlN2at6native12_GLOBAL__N_18offset_tEEE10hipError_tPvRmT1_PNSt15iterator_traitsISK_E10value_typeET2_T3_PNSL_ISQ_E10value_typeET4_jRbjT5_SW_jjP12ihipStream_tbEUlT_E0_NS1_11comp_targetILNS1_3genE9ELNS1_11target_archE1100ELNS1_3gpuE3ELNS1_3repE0EEENS1_60segmented_radix_sort_warp_sort_medium_config_static_selectorELNS0_4arch9wavefront6targetE1EEEvSK_.uses_flat_scratch, 0
	.set _ZN7rocprim17ROCPRIM_400000_NS6detail17trampoline_kernelINS0_14default_configENS1_36segmented_radix_sort_config_selectorIilEEZNS1_25segmented_radix_sort_implIS3_Lb0EPKiPiPKlPlN2at6native12_GLOBAL__N_18offset_tEEE10hipError_tPvRmT1_PNSt15iterator_traitsISK_E10value_typeET2_T3_PNSL_ISQ_E10value_typeET4_jRbjT5_SW_jjP12ihipStream_tbEUlT_E0_NS1_11comp_targetILNS1_3genE9ELNS1_11target_archE1100ELNS1_3gpuE3ELNS1_3repE0EEENS1_60segmented_radix_sort_warp_sort_medium_config_static_selectorELNS0_4arch9wavefront6targetE1EEEvSK_.has_dyn_sized_stack, 0
	.set _ZN7rocprim17ROCPRIM_400000_NS6detail17trampoline_kernelINS0_14default_configENS1_36segmented_radix_sort_config_selectorIilEEZNS1_25segmented_radix_sort_implIS3_Lb0EPKiPiPKlPlN2at6native12_GLOBAL__N_18offset_tEEE10hipError_tPvRmT1_PNSt15iterator_traitsISK_E10value_typeET2_T3_PNSL_ISQ_E10value_typeET4_jRbjT5_SW_jjP12ihipStream_tbEUlT_E0_NS1_11comp_targetILNS1_3genE9ELNS1_11target_archE1100ELNS1_3gpuE3ELNS1_3repE0EEENS1_60segmented_radix_sort_warp_sort_medium_config_static_selectorELNS0_4arch9wavefront6targetE1EEEvSK_.has_recursion, 0
	.set _ZN7rocprim17ROCPRIM_400000_NS6detail17trampoline_kernelINS0_14default_configENS1_36segmented_radix_sort_config_selectorIilEEZNS1_25segmented_radix_sort_implIS3_Lb0EPKiPiPKlPlN2at6native12_GLOBAL__N_18offset_tEEE10hipError_tPvRmT1_PNSt15iterator_traitsISK_E10value_typeET2_T3_PNSL_ISQ_E10value_typeET4_jRbjT5_SW_jjP12ihipStream_tbEUlT_E0_NS1_11comp_targetILNS1_3genE9ELNS1_11target_archE1100ELNS1_3gpuE3ELNS1_3repE0EEENS1_60segmented_radix_sort_warp_sort_medium_config_static_selectorELNS0_4arch9wavefront6targetE1EEEvSK_.has_indirect_call, 0
	.section	.AMDGPU.csdata,"",@progbits
; Kernel info:
; codeLenInByte = 0
; TotalNumSgprs: 4
; NumVgprs: 0
; ScratchSize: 0
; MemoryBound: 0
; FloatMode: 240
; IeeeMode: 1
; LDSByteSize: 0 bytes/workgroup (compile time only)
; SGPRBlocks: 0
; VGPRBlocks: 0
; NumSGPRsForWavesPerEU: 4
; NumVGPRsForWavesPerEU: 1
; Occupancy: 10
; WaveLimiterHint : 0
; COMPUTE_PGM_RSRC2:SCRATCH_EN: 0
; COMPUTE_PGM_RSRC2:USER_SGPR: 6
; COMPUTE_PGM_RSRC2:TRAP_HANDLER: 0
; COMPUTE_PGM_RSRC2:TGID_X_EN: 1
; COMPUTE_PGM_RSRC2:TGID_Y_EN: 0
; COMPUTE_PGM_RSRC2:TGID_Z_EN: 0
; COMPUTE_PGM_RSRC2:TIDIG_COMP_CNT: 0
	.section	.text._ZN7rocprim17ROCPRIM_400000_NS6detail17trampoline_kernelINS0_14default_configENS1_36segmented_radix_sort_config_selectorIilEEZNS1_25segmented_radix_sort_implIS3_Lb0EPKiPiPKlPlN2at6native12_GLOBAL__N_18offset_tEEE10hipError_tPvRmT1_PNSt15iterator_traitsISK_E10value_typeET2_T3_PNSL_ISQ_E10value_typeET4_jRbjT5_SW_jjP12ihipStream_tbEUlT_E0_NS1_11comp_targetILNS1_3genE8ELNS1_11target_archE1030ELNS1_3gpuE2ELNS1_3repE0EEENS1_60segmented_radix_sort_warp_sort_medium_config_static_selectorELNS0_4arch9wavefront6targetE1EEEvSK_,"axG",@progbits,_ZN7rocprim17ROCPRIM_400000_NS6detail17trampoline_kernelINS0_14default_configENS1_36segmented_radix_sort_config_selectorIilEEZNS1_25segmented_radix_sort_implIS3_Lb0EPKiPiPKlPlN2at6native12_GLOBAL__N_18offset_tEEE10hipError_tPvRmT1_PNSt15iterator_traitsISK_E10value_typeET2_T3_PNSL_ISQ_E10value_typeET4_jRbjT5_SW_jjP12ihipStream_tbEUlT_E0_NS1_11comp_targetILNS1_3genE8ELNS1_11target_archE1030ELNS1_3gpuE2ELNS1_3repE0EEENS1_60segmented_radix_sort_warp_sort_medium_config_static_selectorELNS0_4arch9wavefront6targetE1EEEvSK_,comdat
	.globl	_ZN7rocprim17ROCPRIM_400000_NS6detail17trampoline_kernelINS0_14default_configENS1_36segmented_radix_sort_config_selectorIilEEZNS1_25segmented_radix_sort_implIS3_Lb0EPKiPiPKlPlN2at6native12_GLOBAL__N_18offset_tEEE10hipError_tPvRmT1_PNSt15iterator_traitsISK_E10value_typeET2_T3_PNSL_ISQ_E10value_typeET4_jRbjT5_SW_jjP12ihipStream_tbEUlT_E0_NS1_11comp_targetILNS1_3genE8ELNS1_11target_archE1030ELNS1_3gpuE2ELNS1_3repE0EEENS1_60segmented_radix_sort_warp_sort_medium_config_static_selectorELNS0_4arch9wavefront6targetE1EEEvSK_ ; -- Begin function _ZN7rocprim17ROCPRIM_400000_NS6detail17trampoline_kernelINS0_14default_configENS1_36segmented_radix_sort_config_selectorIilEEZNS1_25segmented_radix_sort_implIS3_Lb0EPKiPiPKlPlN2at6native12_GLOBAL__N_18offset_tEEE10hipError_tPvRmT1_PNSt15iterator_traitsISK_E10value_typeET2_T3_PNSL_ISQ_E10value_typeET4_jRbjT5_SW_jjP12ihipStream_tbEUlT_E0_NS1_11comp_targetILNS1_3genE8ELNS1_11target_archE1030ELNS1_3gpuE2ELNS1_3repE0EEENS1_60segmented_radix_sort_warp_sort_medium_config_static_selectorELNS0_4arch9wavefront6targetE1EEEvSK_
	.p2align	8
	.type	_ZN7rocprim17ROCPRIM_400000_NS6detail17trampoline_kernelINS0_14default_configENS1_36segmented_radix_sort_config_selectorIilEEZNS1_25segmented_radix_sort_implIS3_Lb0EPKiPiPKlPlN2at6native12_GLOBAL__N_18offset_tEEE10hipError_tPvRmT1_PNSt15iterator_traitsISK_E10value_typeET2_T3_PNSL_ISQ_E10value_typeET4_jRbjT5_SW_jjP12ihipStream_tbEUlT_E0_NS1_11comp_targetILNS1_3genE8ELNS1_11target_archE1030ELNS1_3gpuE2ELNS1_3repE0EEENS1_60segmented_radix_sort_warp_sort_medium_config_static_selectorELNS0_4arch9wavefront6targetE1EEEvSK_,@function
_ZN7rocprim17ROCPRIM_400000_NS6detail17trampoline_kernelINS0_14default_configENS1_36segmented_radix_sort_config_selectorIilEEZNS1_25segmented_radix_sort_implIS3_Lb0EPKiPiPKlPlN2at6native12_GLOBAL__N_18offset_tEEE10hipError_tPvRmT1_PNSt15iterator_traitsISK_E10value_typeET2_T3_PNSL_ISQ_E10value_typeET4_jRbjT5_SW_jjP12ihipStream_tbEUlT_E0_NS1_11comp_targetILNS1_3genE8ELNS1_11target_archE1030ELNS1_3gpuE2ELNS1_3repE0EEENS1_60segmented_radix_sort_warp_sort_medium_config_static_selectorELNS0_4arch9wavefront6targetE1EEEvSK_: ; @_ZN7rocprim17ROCPRIM_400000_NS6detail17trampoline_kernelINS0_14default_configENS1_36segmented_radix_sort_config_selectorIilEEZNS1_25segmented_radix_sort_implIS3_Lb0EPKiPiPKlPlN2at6native12_GLOBAL__N_18offset_tEEE10hipError_tPvRmT1_PNSt15iterator_traitsISK_E10value_typeET2_T3_PNSL_ISQ_E10value_typeET4_jRbjT5_SW_jjP12ihipStream_tbEUlT_E0_NS1_11comp_targetILNS1_3genE8ELNS1_11target_archE1030ELNS1_3gpuE2ELNS1_3repE0EEENS1_60segmented_radix_sort_warp_sort_medium_config_static_selectorELNS0_4arch9wavefront6targetE1EEEvSK_
; %bb.0:
	.section	.rodata,"a",@progbits
	.p2align	6, 0x0
	.amdhsa_kernel _ZN7rocprim17ROCPRIM_400000_NS6detail17trampoline_kernelINS0_14default_configENS1_36segmented_radix_sort_config_selectorIilEEZNS1_25segmented_radix_sort_implIS3_Lb0EPKiPiPKlPlN2at6native12_GLOBAL__N_18offset_tEEE10hipError_tPvRmT1_PNSt15iterator_traitsISK_E10value_typeET2_T3_PNSL_ISQ_E10value_typeET4_jRbjT5_SW_jjP12ihipStream_tbEUlT_E0_NS1_11comp_targetILNS1_3genE8ELNS1_11target_archE1030ELNS1_3gpuE2ELNS1_3repE0EEENS1_60segmented_radix_sort_warp_sort_medium_config_static_selectorELNS0_4arch9wavefront6targetE1EEEvSK_
		.amdhsa_group_segment_fixed_size 0
		.amdhsa_private_segment_fixed_size 0
		.amdhsa_kernarg_size 88
		.amdhsa_user_sgpr_count 6
		.amdhsa_user_sgpr_private_segment_buffer 1
		.amdhsa_user_sgpr_dispatch_ptr 0
		.amdhsa_user_sgpr_queue_ptr 0
		.amdhsa_user_sgpr_kernarg_segment_ptr 1
		.amdhsa_user_sgpr_dispatch_id 0
		.amdhsa_user_sgpr_flat_scratch_init 0
		.amdhsa_user_sgpr_private_segment_size 0
		.amdhsa_uses_dynamic_stack 0
		.amdhsa_system_sgpr_private_segment_wavefront_offset 0
		.amdhsa_system_sgpr_workgroup_id_x 1
		.amdhsa_system_sgpr_workgroup_id_y 0
		.amdhsa_system_sgpr_workgroup_id_z 0
		.amdhsa_system_sgpr_workgroup_info 0
		.amdhsa_system_vgpr_workitem_id 0
		.amdhsa_next_free_vgpr 1
		.amdhsa_next_free_sgpr 0
		.amdhsa_reserve_vcc 0
		.amdhsa_reserve_flat_scratch 0
		.amdhsa_float_round_mode_32 0
		.amdhsa_float_round_mode_16_64 0
		.amdhsa_float_denorm_mode_32 3
		.amdhsa_float_denorm_mode_16_64 3
		.amdhsa_dx10_clamp 1
		.amdhsa_ieee_mode 1
		.amdhsa_fp16_overflow 0
		.amdhsa_exception_fp_ieee_invalid_op 0
		.amdhsa_exception_fp_denorm_src 0
		.amdhsa_exception_fp_ieee_div_zero 0
		.amdhsa_exception_fp_ieee_overflow 0
		.amdhsa_exception_fp_ieee_underflow 0
		.amdhsa_exception_fp_ieee_inexact 0
		.amdhsa_exception_int_div_zero 0
	.end_amdhsa_kernel
	.section	.text._ZN7rocprim17ROCPRIM_400000_NS6detail17trampoline_kernelINS0_14default_configENS1_36segmented_radix_sort_config_selectorIilEEZNS1_25segmented_radix_sort_implIS3_Lb0EPKiPiPKlPlN2at6native12_GLOBAL__N_18offset_tEEE10hipError_tPvRmT1_PNSt15iterator_traitsISK_E10value_typeET2_T3_PNSL_ISQ_E10value_typeET4_jRbjT5_SW_jjP12ihipStream_tbEUlT_E0_NS1_11comp_targetILNS1_3genE8ELNS1_11target_archE1030ELNS1_3gpuE2ELNS1_3repE0EEENS1_60segmented_radix_sort_warp_sort_medium_config_static_selectorELNS0_4arch9wavefront6targetE1EEEvSK_,"axG",@progbits,_ZN7rocprim17ROCPRIM_400000_NS6detail17trampoline_kernelINS0_14default_configENS1_36segmented_radix_sort_config_selectorIilEEZNS1_25segmented_radix_sort_implIS3_Lb0EPKiPiPKlPlN2at6native12_GLOBAL__N_18offset_tEEE10hipError_tPvRmT1_PNSt15iterator_traitsISK_E10value_typeET2_T3_PNSL_ISQ_E10value_typeET4_jRbjT5_SW_jjP12ihipStream_tbEUlT_E0_NS1_11comp_targetILNS1_3genE8ELNS1_11target_archE1030ELNS1_3gpuE2ELNS1_3repE0EEENS1_60segmented_radix_sort_warp_sort_medium_config_static_selectorELNS0_4arch9wavefront6targetE1EEEvSK_,comdat
.Lfunc_end619:
	.size	_ZN7rocprim17ROCPRIM_400000_NS6detail17trampoline_kernelINS0_14default_configENS1_36segmented_radix_sort_config_selectorIilEEZNS1_25segmented_radix_sort_implIS3_Lb0EPKiPiPKlPlN2at6native12_GLOBAL__N_18offset_tEEE10hipError_tPvRmT1_PNSt15iterator_traitsISK_E10value_typeET2_T3_PNSL_ISQ_E10value_typeET4_jRbjT5_SW_jjP12ihipStream_tbEUlT_E0_NS1_11comp_targetILNS1_3genE8ELNS1_11target_archE1030ELNS1_3gpuE2ELNS1_3repE0EEENS1_60segmented_radix_sort_warp_sort_medium_config_static_selectorELNS0_4arch9wavefront6targetE1EEEvSK_, .Lfunc_end619-_ZN7rocprim17ROCPRIM_400000_NS6detail17trampoline_kernelINS0_14default_configENS1_36segmented_radix_sort_config_selectorIilEEZNS1_25segmented_radix_sort_implIS3_Lb0EPKiPiPKlPlN2at6native12_GLOBAL__N_18offset_tEEE10hipError_tPvRmT1_PNSt15iterator_traitsISK_E10value_typeET2_T3_PNSL_ISQ_E10value_typeET4_jRbjT5_SW_jjP12ihipStream_tbEUlT_E0_NS1_11comp_targetILNS1_3genE8ELNS1_11target_archE1030ELNS1_3gpuE2ELNS1_3repE0EEENS1_60segmented_radix_sort_warp_sort_medium_config_static_selectorELNS0_4arch9wavefront6targetE1EEEvSK_
                                        ; -- End function
	.set _ZN7rocprim17ROCPRIM_400000_NS6detail17trampoline_kernelINS0_14default_configENS1_36segmented_radix_sort_config_selectorIilEEZNS1_25segmented_radix_sort_implIS3_Lb0EPKiPiPKlPlN2at6native12_GLOBAL__N_18offset_tEEE10hipError_tPvRmT1_PNSt15iterator_traitsISK_E10value_typeET2_T3_PNSL_ISQ_E10value_typeET4_jRbjT5_SW_jjP12ihipStream_tbEUlT_E0_NS1_11comp_targetILNS1_3genE8ELNS1_11target_archE1030ELNS1_3gpuE2ELNS1_3repE0EEENS1_60segmented_radix_sort_warp_sort_medium_config_static_selectorELNS0_4arch9wavefront6targetE1EEEvSK_.num_vgpr, 0
	.set _ZN7rocprim17ROCPRIM_400000_NS6detail17trampoline_kernelINS0_14default_configENS1_36segmented_radix_sort_config_selectorIilEEZNS1_25segmented_radix_sort_implIS3_Lb0EPKiPiPKlPlN2at6native12_GLOBAL__N_18offset_tEEE10hipError_tPvRmT1_PNSt15iterator_traitsISK_E10value_typeET2_T3_PNSL_ISQ_E10value_typeET4_jRbjT5_SW_jjP12ihipStream_tbEUlT_E0_NS1_11comp_targetILNS1_3genE8ELNS1_11target_archE1030ELNS1_3gpuE2ELNS1_3repE0EEENS1_60segmented_radix_sort_warp_sort_medium_config_static_selectorELNS0_4arch9wavefront6targetE1EEEvSK_.num_agpr, 0
	.set _ZN7rocprim17ROCPRIM_400000_NS6detail17trampoline_kernelINS0_14default_configENS1_36segmented_radix_sort_config_selectorIilEEZNS1_25segmented_radix_sort_implIS3_Lb0EPKiPiPKlPlN2at6native12_GLOBAL__N_18offset_tEEE10hipError_tPvRmT1_PNSt15iterator_traitsISK_E10value_typeET2_T3_PNSL_ISQ_E10value_typeET4_jRbjT5_SW_jjP12ihipStream_tbEUlT_E0_NS1_11comp_targetILNS1_3genE8ELNS1_11target_archE1030ELNS1_3gpuE2ELNS1_3repE0EEENS1_60segmented_radix_sort_warp_sort_medium_config_static_selectorELNS0_4arch9wavefront6targetE1EEEvSK_.numbered_sgpr, 0
	.set _ZN7rocprim17ROCPRIM_400000_NS6detail17trampoline_kernelINS0_14default_configENS1_36segmented_radix_sort_config_selectorIilEEZNS1_25segmented_radix_sort_implIS3_Lb0EPKiPiPKlPlN2at6native12_GLOBAL__N_18offset_tEEE10hipError_tPvRmT1_PNSt15iterator_traitsISK_E10value_typeET2_T3_PNSL_ISQ_E10value_typeET4_jRbjT5_SW_jjP12ihipStream_tbEUlT_E0_NS1_11comp_targetILNS1_3genE8ELNS1_11target_archE1030ELNS1_3gpuE2ELNS1_3repE0EEENS1_60segmented_radix_sort_warp_sort_medium_config_static_selectorELNS0_4arch9wavefront6targetE1EEEvSK_.num_named_barrier, 0
	.set _ZN7rocprim17ROCPRIM_400000_NS6detail17trampoline_kernelINS0_14default_configENS1_36segmented_radix_sort_config_selectorIilEEZNS1_25segmented_radix_sort_implIS3_Lb0EPKiPiPKlPlN2at6native12_GLOBAL__N_18offset_tEEE10hipError_tPvRmT1_PNSt15iterator_traitsISK_E10value_typeET2_T3_PNSL_ISQ_E10value_typeET4_jRbjT5_SW_jjP12ihipStream_tbEUlT_E0_NS1_11comp_targetILNS1_3genE8ELNS1_11target_archE1030ELNS1_3gpuE2ELNS1_3repE0EEENS1_60segmented_radix_sort_warp_sort_medium_config_static_selectorELNS0_4arch9wavefront6targetE1EEEvSK_.private_seg_size, 0
	.set _ZN7rocprim17ROCPRIM_400000_NS6detail17trampoline_kernelINS0_14default_configENS1_36segmented_radix_sort_config_selectorIilEEZNS1_25segmented_radix_sort_implIS3_Lb0EPKiPiPKlPlN2at6native12_GLOBAL__N_18offset_tEEE10hipError_tPvRmT1_PNSt15iterator_traitsISK_E10value_typeET2_T3_PNSL_ISQ_E10value_typeET4_jRbjT5_SW_jjP12ihipStream_tbEUlT_E0_NS1_11comp_targetILNS1_3genE8ELNS1_11target_archE1030ELNS1_3gpuE2ELNS1_3repE0EEENS1_60segmented_radix_sort_warp_sort_medium_config_static_selectorELNS0_4arch9wavefront6targetE1EEEvSK_.uses_vcc, 0
	.set _ZN7rocprim17ROCPRIM_400000_NS6detail17trampoline_kernelINS0_14default_configENS1_36segmented_radix_sort_config_selectorIilEEZNS1_25segmented_radix_sort_implIS3_Lb0EPKiPiPKlPlN2at6native12_GLOBAL__N_18offset_tEEE10hipError_tPvRmT1_PNSt15iterator_traitsISK_E10value_typeET2_T3_PNSL_ISQ_E10value_typeET4_jRbjT5_SW_jjP12ihipStream_tbEUlT_E0_NS1_11comp_targetILNS1_3genE8ELNS1_11target_archE1030ELNS1_3gpuE2ELNS1_3repE0EEENS1_60segmented_radix_sort_warp_sort_medium_config_static_selectorELNS0_4arch9wavefront6targetE1EEEvSK_.uses_flat_scratch, 0
	.set _ZN7rocprim17ROCPRIM_400000_NS6detail17trampoline_kernelINS0_14default_configENS1_36segmented_radix_sort_config_selectorIilEEZNS1_25segmented_radix_sort_implIS3_Lb0EPKiPiPKlPlN2at6native12_GLOBAL__N_18offset_tEEE10hipError_tPvRmT1_PNSt15iterator_traitsISK_E10value_typeET2_T3_PNSL_ISQ_E10value_typeET4_jRbjT5_SW_jjP12ihipStream_tbEUlT_E0_NS1_11comp_targetILNS1_3genE8ELNS1_11target_archE1030ELNS1_3gpuE2ELNS1_3repE0EEENS1_60segmented_radix_sort_warp_sort_medium_config_static_selectorELNS0_4arch9wavefront6targetE1EEEvSK_.has_dyn_sized_stack, 0
	.set _ZN7rocprim17ROCPRIM_400000_NS6detail17trampoline_kernelINS0_14default_configENS1_36segmented_radix_sort_config_selectorIilEEZNS1_25segmented_radix_sort_implIS3_Lb0EPKiPiPKlPlN2at6native12_GLOBAL__N_18offset_tEEE10hipError_tPvRmT1_PNSt15iterator_traitsISK_E10value_typeET2_T3_PNSL_ISQ_E10value_typeET4_jRbjT5_SW_jjP12ihipStream_tbEUlT_E0_NS1_11comp_targetILNS1_3genE8ELNS1_11target_archE1030ELNS1_3gpuE2ELNS1_3repE0EEENS1_60segmented_radix_sort_warp_sort_medium_config_static_selectorELNS0_4arch9wavefront6targetE1EEEvSK_.has_recursion, 0
	.set _ZN7rocprim17ROCPRIM_400000_NS6detail17trampoline_kernelINS0_14default_configENS1_36segmented_radix_sort_config_selectorIilEEZNS1_25segmented_radix_sort_implIS3_Lb0EPKiPiPKlPlN2at6native12_GLOBAL__N_18offset_tEEE10hipError_tPvRmT1_PNSt15iterator_traitsISK_E10value_typeET2_T3_PNSL_ISQ_E10value_typeET4_jRbjT5_SW_jjP12ihipStream_tbEUlT_E0_NS1_11comp_targetILNS1_3genE8ELNS1_11target_archE1030ELNS1_3gpuE2ELNS1_3repE0EEENS1_60segmented_radix_sort_warp_sort_medium_config_static_selectorELNS0_4arch9wavefront6targetE1EEEvSK_.has_indirect_call, 0
	.section	.AMDGPU.csdata,"",@progbits
; Kernel info:
; codeLenInByte = 0
; TotalNumSgprs: 4
; NumVgprs: 0
; ScratchSize: 0
; MemoryBound: 0
; FloatMode: 240
; IeeeMode: 1
; LDSByteSize: 0 bytes/workgroup (compile time only)
; SGPRBlocks: 0
; VGPRBlocks: 0
; NumSGPRsForWavesPerEU: 4
; NumVGPRsForWavesPerEU: 1
; Occupancy: 10
; WaveLimiterHint : 0
; COMPUTE_PGM_RSRC2:SCRATCH_EN: 0
; COMPUTE_PGM_RSRC2:USER_SGPR: 6
; COMPUTE_PGM_RSRC2:TRAP_HANDLER: 0
; COMPUTE_PGM_RSRC2:TGID_X_EN: 1
; COMPUTE_PGM_RSRC2:TGID_Y_EN: 0
; COMPUTE_PGM_RSRC2:TGID_Z_EN: 0
; COMPUTE_PGM_RSRC2:TIDIG_COMP_CNT: 0
	.section	.text._ZN7rocprim17ROCPRIM_400000_NS6detail17trampoline_kernelINS0_14default_configENS1_36segmented_radix_sort_config_selectorIilEEZNS1_25segmented_radix_sort_implIS3_Lb0EPKiPiPKlPlN2at6native12_GLOBAL__N_18offset_tEEE10hipError_tPvRmT1_PNSt15iterator_traitsISK_E10value_typeET2_T3_PNSL_ISQ_E10value_typeET4_jRbjT5_SW_jjP12ihipStream_tbEUlT_E1_NS1_11comp_targetILNS1_3genE0ELNS1_11target_archE4294967295ELNS1_3gpuE0ELNS1_3repE0EEENS1_59segmented_radix_sort_warp_sort_small_config_static_selectorELNS0_4arch9wavefront6targetE1EEEvSK_,"axG",@progbits,_ZN7rocprim17ROCPRIM_400000_NS6detail17trampoline_kernelINS0_14default_configENS1_36segmented_radix_sort_config_selectorIilEEZNS1_25segmented_radix_sort_implIS3_Lb0EPKiPiPKlPlN2at6native12_GLOBAL__N_18offset_tEEE10hipError_tPvRmT1_PNSt15iterator_traitsISK_E10value_typeET2_T3_PNSL_ISQ_E10value_typeET4_jRbjT5_SW_jjP12ihipStream_tbEUlT_E1_NS1_11comp_targetILNS1_3genE0ELNS1_11target_archE4294967295ELNS1_3gpuE0ELNS1_3repE0EEENS1_59segmented_radix_sort_warp_sort_small_config_static_selectorELNS0_4arch9wavefront6targetE1EEEvSK_,comdat
	.globl	_ZN7rocprim17ROCPRIM_400000_NS6detail17trampoline_kernelINS0_14default_configENS1_36segmented_radix_sort_config_selectorIilEEZNS1_25segmented_radix_sort_implIS3_Lb0EPKiPiPKlPlN2at6native12_GLOBAL__N_18offset_tEEE10hipError_tPvRmT1_PNSt15iterator_traitsISK_E10value_typeET2_T3_PNSL_ISQ_E10value_typeET4_jRbjT5_SW_jjP12ihipStream_tbEUlT_E1_NS1_11comp_targetILNS1_3genE0ELNS1_11target_archE4294967295ELNS1_3gpuE0ELNS1_3repE0EEENS1_59segmented_radix_sort_warp_sort_small_config_static_selectorELNS0_4arch9wavefront6targetE1EEEvSK_ ; -- Begin function _ZN7rocprim17ROCPRIM_400000_NS6detail17trampoline_kernelINS0_14default_configENS1_36segmented_radix_sort_config_selectorIilEEZNS1_25segmented_radix_sort_implIS3_Lb0EPKiPiPKlPlN2at6native12_GLOBAL__N_18offset_tEEE10hipError_tPvRmT1_PNSt15iterator_traitsISK_E10value_typeET2_T3_PNSL_ISQ_E10value_typeET4_jRbjT5_SW_jjP12ihipStream_tbEUlT_E1_NS1_11comp_targetILNS1_3genE0ELNS1_11target_archE4294967295ELNS1_3gpuE0ELNS1_3repE0EEENS1_59segmented_radix_sort_warp_sort_small_config_static_selectorELNS0_4arch9wavefront6targetE1EEEvSK_
	.p2align	8
	.type	_ZN7rocprim17ROCPRIM_400000_NS6detail17trampoline_kernelINS0_14default_configENS1_36segmented_radix_sort_config_selectorIilEEZNS1_25segmented_radix_sort_implIS3_Lb0EPKiPiPKlPlN2at6native12_GLOBAL__N_18offset_tEEE10hipError_tPvRmT1_PNSt15iterator_traitsISK_E10value_typeET2_T3_PNSL_ISQ_E10value_typeET4_jRbjT5_SW_jjP12ihipStream_tbEUlT_E1_NS1_11comp_targetILNS1_3genE0ELNS1_11target_archE4294967295ELNS1_3gpuE0ELNS1_3repE0EEENS1_59segmented_radix_sort_warp_sort_small_config_static_selectorELNS0_4arch9wavefront6targetE1EEEvSK_,@function
_ZN7rocprim17ROCPRIM_400000_NS6detail17trampoline_kernelINS0_14default_configENS1_36segmented_radix_sort_config_selectorIilEEZNS1_25segmented_radix_sort_implIS3_Lb0EPKiPiPKlPlN2at6native12_GLOBAL__N_18offset_tEEE10hipError_tPvRmT1_PNSt15iterator_traitsISK_E10value_typeET2_T3_PNSL_ISQ_E10value_typeET4_jRbjT5_SW_jjP12ihipStream_tbEUlT_E1_NS1_11comp_targetILNS1_3genE0ELNS1_11target_archE4294967295ELNS1_3gpuE0ELNS1_3repE0EEENS1_59segmented_radix_sort_warp_sort_small_config_static_selectorELNS0_4arch9wavefront6targetE1EEEvSK_: ; @_ZN7rocprim17ROCPRIM_400000_NS6detail17trampoline_kernelINS0_14default_configENS1_36segmented_radix_sort_config_selectorIilEEZNS1_25segmented_radix_sort_implIS3_Lb0EPKiPiPKlPlN2at6native12_GLOBAL__N_18offset_tEEE10hipError_tPvRmT1_PNSt15iterator_traitsISK_E10value_typeET2_T3_PNSL_ISQ_E10value_typeET4_jRbjT5_SW_jjP12ihipStream_tbEUlT_E1_NS1_11comp_targetILNS1_3genE0ELNS1_11target_archE4294967295ELNS1_3gpuE0ELNS1_3repE0EEENS1_59segmented_radix_sort_warp_sort_small_config_static_selectorELNS0_4arch9wavefront6targetE1EEEvSK_
; %bb.0:
	.section	.rodata,"a",@progbits
	.p2align	6, 0x0
	.amdhsa_kernel _ZN7rocprim17ROCPRIM_400000_NS6detail17trampoline_kernelINS0_14default_configENS1_36segmented_radix_sort_config_selectorIilEEZNS1_25segmented_radix_sort_implIS3_Lb0EPKiPiPKlPlN2at6native12_GLOBAL__N_18offset_tEEE10hipError_tPvRmT1_PNSt15iterator_traitsISK_E10value_typeET2_T3_PNSL_ISQ_E10value_typeET4_jRbjT5_SW_jjP12ihipStream_tbEUlT_E1_NS1_11comp_targetILNS1_3genE0ELNS1_11target_archE4294967295ELNS1_3gpuE0ELNS1_3repE0EEENS1_59segmented_radix_sort_warp_sort_small_config_static_selectorELNS0_4arch9wavefront6targetE1EEEvSK_
		.amdhsa_group_segment_fixed_size 0
		.amdhsa_private_segment_fixed_size 0
		.amdhsa_kernarg_size 88
		.amdhsa_user_sgpr_count 6
		.amdhsa_user_sgpr_private_segment_buffer 1
		.amdhsa_user_sgpr_dispatch_ptr 0
		.amdhsa_user_sgpr_queue_ptr 0
		.amdhsa_user_sgpr_kernarg_segment_ptr 1
		.amdhsa_user_sgpr_dispatch_id 0
		.amdhsa_user_sgpr_flat_scratch_init 0
		.amdhsa_user_sgpr_private_segment_size 0
		.amdhsa_uses_dynamic_stack 0
		.amdhsa_system_sgpr_private_segment_wavefront_offset 0
		.amdhsa_system_sgpr_workgroup_id_x 1
		.amdhsa_system_sgpr_workgroup_id_y 0
		.amdhsa_system_sgpr_workgroup_id_z 0
		.amdhsa_system_sgpr_workgroup_info 0
		.amdhsa_system_vgpr_workitem_id 0
		.amdhsa_next_free_vgpr 1
		.amdhsa_next_free_sgpr 0
		.amdhsa_reserve_vcc 0
		.amdhsa_reserve_flat_scratch 0
		.amdhsa_float_round_mode_32 0
		.amdhsa_float_round_mode_16_64 0
		.amdhsa_float_denorm_mode_32 3
		.amdhsa_float_denorm_mode_16_64 3
		.amdhsa_dx10_clamp 1
		.amdhsa_ieee_mode 1
		.amdhsa_fp16_overflow 0
		.amdhsa_exception_fp_ieee_invalid_op 0
		.amdhsa_exception_fp_denorm_src 0
		.amdhsa_exception_fp_ieee_div_zero 0
		.amdhsa_exception_fp_ieee_overflow 0
		.amdhsa_exception_fp_ieee_underflow 0
		.amdhsa_exception_fp_ieee_inexact 0
		.amdhsa_exception_int_div_zero 0
	.end_amdhsa_kernel
	.section	.text._ZN7rocprim17ROCPRIM_400000_NS6detail17trampoline_kernelINS0_14default_configENS1_36segmented_radix_sort_config_selectorIilEEZNS1_25segmented_radix_sort_implIS3_Lb0EPKiPiPKlPlN2at6native12_GLOBAL__N_18offset_tEEE10hipError_tPvRmT1_PNSt15iterator_traitsISK_E10value_typeET2_T3_PNSL_ISQ_E10value_typeET4_jRbjT5_SW_jjP12ihipStream_tbEUlT_E1_NS1_11comp_targetILNS1_3genE0ELNS1_11target_archE4294967295ELNS1_3gpuE0ELNS1_3repE0EEENS1_59segmented_radix_sort_warp_sort_small_config_static_selectorELNS0_4arch9wavefront6targetE1EEEvSK_,"axG",@progbits,_ZN7rocprim17ROCPRIM_400000_NS6detail17trampoline_kernelINS0_14default_configENS1_36segmented_radix_sort_config_selectorIilEEZNS1_25segmented_radix_sort_implIS3_Lb0EPKiPiPKlPlN2at6native12_GLOBAL__N_18offset_tEEE10hipError_tPvRmT1_PNSt15iterator_traitsISK_E10value_typeET2_T3_PNSL_ISQ_E10value_typeET4_jRbjT5_SW_jjP12ihipStream_tbEUlT_E1_NS1_11comp_targetILNS1_3genE0ELNS1_11target_archE4294967295ELNS1_3gpuE0ELNS1_3repE0EEENS1_59segmented_radix_sort_warp_sort_small_config_static_selectorELNS0_4arch9wavefront6targetE1EEEvSK_,comdat
.Lfunc_end620:
	.size	_ZN7rocprim17ROCPRIM_400000_NS6detail17trampoline_kernelINS0_14default_configENS1_36segmented_radix_sort_config_selectorIilEEZNS1_25segmented_radix_sort_implIS3_Lb0EPKiPiPKlPlN2at6native12_GLOBAL__N_18offset_tEEE10hipError_tPvRmT1_PNSt15iterator_traitsISK_E10value_typeET2_T3_PNSL_ISQ_E10value_typeET4_jRbjT5_SW_jjP12ihipStream_tbEUlT_E1_NS1_11comp_targetILNS1_3genE0ELNS1_11target_archE4294967295ELNS1_3gpuE0ELNS1_3repE0EEENS1_59segmented_radix_sort_warp_sort_small_config_static_selectorELNS0_4arch9wavefront6targetE1EEEvSK_, .Lfunc_end620-_ZN7rocprim17ROCPRIM_400000_NS6detail17trampoline_kernelINS0_14default_configENS1_36segmented_radix_sort_config_selectorIilEEZNS1_25segmented_radix_sort_implIS3_Lb0EPKiPiPKlPlN2at6native12_GLOBAL__N_18offset_tEEE10hipError_tPvRmT1_PNSt15iterator_traitsISK_E10value_typeET2_T3_PNSL_ISQ_E10value_typeET4_jRbjT5_SW_jjP12ihipStream_tbEUlT_E1_NS1_11comp_targetILNS1_3genE0ELNS1_11target_archE4294967295ELNS1_3gpuE0ELNS1_3repE0EEENS1_59segmented_radix_sort_warp_sort_small_config_static_selectorELNS0_4arch9wavefront6targetE1EEEvSK_
                                        ; -- End function
	.set _ZN7rocprim17ROCPRIM_400000_NS6detail17trampoline_kernelINS0_14default_configENS1_36segmented_radix_sort_config_selectorIilEEZNS1_25segmented_radix_sort_implIS3_Lb0EPKiPiPKlPlN2at6native12_GLOBAL__N_18offset_tEEE10hipError_tPvRmT1_PNSt15iterator_traitsISK_E10value_typeET2_T3_PNSL_ISQ_E10value_typeET4_jRbjT5_SW_jjP12ihipStream_tbEUlT_E1_NS1_11comp_targetILNS1_3genE0ELNS1_11target_archE4294967295ELNS1_3gpuE0ELNS1_3repE0EEENS1_59segmented_radix_sort_warp_sort_small_config_static_selectorELNS0_4arch9wavefront6targetE1EEEvSK_.num_vgpr, 0
	.set _ZN7rocprim17ROCPRIM_400000_NS6detail17trampoline_kernelINS0_14default_configENS1_36segmented_radix_sort_config_selectorIilEEZNS1_25segmented_radix_sort_implIS3_Lb0EPKiPiPKlPlN2at6native12_GLOBAL__N_18offset_tEEE10hipError_tPvRmT1_PNSt15iterator_traitsISK_E10value_typeET2_T3_PNSL_ISQ_E10value_typeET4_jRbjT5_SW_jjP12ihipStream_tbEUlT_E1_NS1_11comp_targetILNS1_3genE0ELNS1_11target_archE4294967295ELNS1_3gpuE0ELNS1_3repE0EEENS1_59segmented_radix_sort_warp_sort_small_config_static_selectorELNS0_4arch9wavefront6targetE1EEEvSK_.num_agpr, 0
	.set _ZN7rocprim17ROCPRIM_400000_NS6detail17trampoline_kernelINS0_14default_configENS1_36segmented_radix_sort_config_selectorIilEEZNS1_25segmented_radix_sort_implIS3_Lb0EPKiPiPKlPlN2at6native12_GLOBAL__N_18offset_tEEE10hipError_tPvRmT1_PNSt15iterator_traitsISK_E10value_typeET2_T3_PNSL_ISQ_E10value_typeET4_jRbjT5_SW_jjP12ihipStream_tbEUlT_E1_NS1_11comp_targetILNS1_3genE0ELNS1_11target_archE4294967295ELNS1_3gpuE0ELNS1_3repE0EEENS1_59segmented_radix_sort_warp_sort_small_config_static_selectorELNS0_4arch9wavefront6targetE1EEEvSK_.numbered_sgpr, 0
	.set _ZN7rocprim17ROCPRIM_400000_NS6detail17trampoline_kernelINS0_14default_configENS1_36segmented_radix_sort_config_selectorIilEEZNS1_25segmented_radix_sort_implIS3_Lb0EPKiPiPKlPlN2at6native12_GLOBAL__N_18offset_tEEE10hipError_tPvRmT1_PNSt15iterator_traitsISK_E10value_typeET2_T3_PNSL_ISQ_E10value_typeET4_jRbjT5_SW_jjP12ihipStream_tbEUlT_E1_NS1_11comp_targetILNS1_3genE0ELNS1_11target_archE4294967295ELNS1_3gpuE0ELNS1_3repE0EEENS1_59segmented_radix_sort_warp_sort_small_config_static_selectorELNS0_4arch9wavefront6targetE1EEEvSK_.num_named_barrier, 0
	.set _ZN7rocprim17ROCPRIM_400000_NS6detail17trampoline_kernelINS0_14default_configENS1_36segmented_radix_sort_config_selectorIilEEZNS1_25segmented_radix_sort_implIS3_Lb0EPKiPiPKlPlN2at6native12_GLOBAL__N_18offset_tEEE10hipError_tPvRmT1_PNSt15iterator_traitsISK_E10value_typeET2_T3_PNSL_ISQ_E10value_typeET4_jRbjT5_SW_jjP12ihipStream_tbEUlT_E1_NS1_11comp_targetILNS1_3genE0ELNS1_11target_archE4294967295ELNS1_3gpuE0ELNS1_3repE0EEENS1_59segmented_radix_sort_warp_sort_small_config_static_selectorELNS0_4arch9wavefront6targetE1EEEvSK_.private_seg_size, 0
	.set _ZN7rocprim17ROCPRIM_400000_NS6detail17trampoline_kernelINS0_14default_configENS1_36segmented_radix_sort_config_selectorIilEEZNS1_25segmented_radix_sort_implIS3_Lb0EPKiPiPKlPlN2at6native12_GLOBAL__N_18offset_tEEE10hipError_tPvRmT1_PNSt15iterator_traitsISK_E10value_typeET2_T3_PNSL_ISQ_E10value_typeET4_jRbjT5_SW_jjP12ihipStream_tbEUlT_E1_NS1_11comp_targetILNS1_3genE0ELNS1_11target_archE4294967295ELNS1_3gpuE0ELNS1_3repE0EEENS1_59segmented_radix_sort_warp_sort_small_config_static_selectorELNS0_4arch9wavefront6targetE1EEEvSK_.uses_vcc, 0
	.set _ZN7rocprim17ROCPRIM_400000_NS6detail17trampoline_kernelINS0_14default_configENS1_36segmented_radix_sort_config_selectorIilEEZNS1_25segmented_radix_sort_implIS3_Lb0EPKiPiPKlPlN2at6native12_GLOBAL__N_18offset_tEEE10hipError_tPvRmT1_PNSt15iterator_traitsISK_E10value_typeET2_T3_PNSL_ISQ_E10value_typeET4_jRbjT5_SW_jjP12ihipStream_tbEUlT_E1_NS1_11comp_targetILNS1_3genE0ELNS1_11target_archE4294967295ELNS1_3gpuE0ELNS1_3repE0EEENS1_59segmented_radix_sort_warp_sort_small_config_static_selectorELNS0_4arch9wavefront6targetE1EEEvSK_.uses_flat_scratch, 0
	.set _ZN7rocprim17ROCPRIM_400000_NS6detail17trampoline_kernelINS0_14default_configENS1_36segmented_radix_sort_config_selectorIilEEZNS1_25segmented_radix_sort_implIS3_Lb0EPKiPiPKlPlN2at6native12_GLOBAL__N_18offset_tEEE10hipError_tPvRmT1_PNSt15iterator_traitsISK_E10value_typeET2_T3_PNSL_ISQ_E10value_typeET4_jRbjT5_SW_jjP12ihipStream_tbEUlT_E1_NS1_11comp_targetILNS1_3genE0ELNS1_11target_archE4294967295ELNS1_3gpuE0ELNS1_3repE0EEENS1_59segmented_radix_sort_warp_sort_small_config_static_selectorELNS0_4arch9wavefront6targetE1EEEvSK_.has_dyn_sized_stack, 0
	.set _ZN7rocprim17ROCPRIM_400000_NS6detail17trampoline_kernelINS0_14default_configENS1_36segmented_radix_sort_config_selectorIilEEZNS1_25segmented_radix_sort_implIS3_Lb0EPKiPiPKlPlN2at6native12_GLOBAL__N_18offset_tEEE10hipError_tPvRmT1_PNSt15iterator_traitsISK_E10value_typeET2_T3_PNSL_ISQ_E10value_typeET4_jRbjT5_SW_jjP12ihipStream_tbEUlT_E1_NS1_11comp_targetILNS1_3genE0ELNS1_11target_archE4294967295ELNS1_3gpuE0ELNS1_3repE0EEENS1_59segmented_radix_sort_warp_sort_small_config_static_selectorELNS0_4arch9wavefront6targetE1EEEvSK_.has_recursion, 0
	.set _ZN7rocprim17ROCPRIM_400000_NS6detail17trampoline_kernelINS0_14default_configENS1_36segmented_radix_sort_config_selectorIilEEZNS1_25segmented_radix_sort_implIS3_Lb0EPKiPiPKlPlN2at6native12_GLOBAL__N_18offset_tEEE10hipError_tPvRmT1_PNSt15iterator_traitsISK_E10value_typeET2_T3_PNSL_ISQ_E10value_typeET4_jRbjT5_SW_jjP12ihipStream_tbEUlT_E1_NS1_11comp_targetILNS1_3genE0ELNS1_11target_archE4294967295ELNS1_3gpuE0ELNS1_3repE0EEENS1_59segmented_radix_sort_warp_sort_small_config_static_selectorELNS0_4arch9wavefront6targetE1EEEvSK_.has_indirect_call, 0
	.section	.AMDGPU.csdata,"",@progbits
; Kernel info:
; codeLenInByte = 0
; TotalNumSgprs: 4
; NumVgprs: 0
; ScratchSize: 0
; MemoryBound: 0
; FloatMode: 240
; IeeeMode: 1
; LDSByteSize: 0 bytes/workgroup (compile time only)
; SGPRBlocks: 0
; VGPRBlocks: 0
; NumSGPRsForWavesPerEU: 4
; NumVGPRsForWavesPerEU: 1
; Occupancy: 10
; WaveLimiterHint : 0
; COMPUTE_PGM_RSRC2:SCRATCH_EN: 0
; COMPUTE_PGM_RSRC2:USER_SGPR: 6
; COMPUTE_PGM_RSRC2:TRAP_HANDLER: 0
; COMPUTE_PGM_RSRC2:TGID_X_EN: 1
; COMPUTE_PGM_RSRC2:TGID_Y_EN: 0
; COMPUTE_PGM_RSRC2:TGID_Z_EN: 0
; COMPUTE_PGM_RSRC2:TIDIG_COMP_CNT: 0
	.section	.text._ZN7rocprim17ROCPRIM_400000_NS6detail17trampoline_kernelINS0_14default_configENS1_36segmented_radix_sort_config_selectorIilEEZNS1_25segmented_radix_sort_implIS3_Lb0EPKiPiPKlPlN2at6native12_GLOBAL__N_18offset_tEEE10hipError_tPvRmT1_PNSt15iterator_traitsISK_E10value_typeET2_T3_PNSL_ISQ_E10value_typeET4_jRbjT5_SW_jjP12ihipStream_tbEUlT_E1_NS1_11comp_targetILNS1_3genE5ELNS1_11target_archE942ELNS1_3gpuE9ELNS1_3repE0EEENS1_59segmented_radix_sort_warp_sort_small_config_static_selectorELNS0_4arch9wavefront6targetE1EEEvSK_,"axG",@progbits,_ZN7rocprim17ROCPRIM_400000_NS6detail17trampoline_kernelINS0_14default_configENS1_36segmented_radix_sort_config_selectorIilEEZNS1_25segmented_radix_sort_implIS3_Lb0EPKiPiPKlPlN2at6native12_GLOBAL__N_18offset_tEEE10hipError_tPvRmT1_PNSt15iterator_traitsISK_E10value_typeET2_T3_PNSL_ISQ_E10value_typeET4_jRbjT5_SW_jjP12ihipStream_tbEUlT_E1_NS1_11comp_targetILNS1_3genE5ELNS1_11target_archE942ELNS1_3gpuE9ELNS1_3repE0EEENS1_59segmented_radix_sort_warp_sort_small_config_static_selectorELNS0_4arch9wavefront6targetE1EEEvSK_,comdat
	.globl	_ZN7rocprim17ROCPRIM_400000_NS6detail17trampoline_kernelINS0_14default_configENS1_36segmented_radix_sort_config_selectorIilEEZNS1_25segmented_radix_sort_implIS3_Lb0EPKiPiPKlPlN2at6native12_GLOBAL__N_18offset_tEEE10hipError_tPvRmT1_PNSt15iterator_traitsISK_E10value_typeET2_T3_PNSL_ISQ_E10value_typeET4_jRbjT5_SW_jjP12ihipStream_tbEUlT_E1_NS1_11comp_targetILNS1_3genE5ELNS1_11target_archE942ELNS1_3gpuE9ELNS1_3repE0EEENS1_59segmented_radix_sort_warp_sort_small_config_static_selectorELNS0_4arch9wavefront6targetE1EEEvSK_ ; -- Begin function _ZN7rocprim17ROCPRIM_400000_NS6detail17trampoline_kernelINS0_14default_configENS1_36segmented_radix_sort_config_selectorIilEEZNS1_25segmented_radix_sort_implIS3_Lb0EPKiPiPKlPlN2at6native12_GLOBAL__N_18offset_tEEE10hipError_tPvRmT1_PNSt15iterator_traitsISK_E10value_typeET2_T3_PNSL_ISQ_E10value_typeET4_jRbjT5_SW_jjP12ihipStream_tbEUlT_E1_NS1_11comp_targetILNS1_3genE5ELNS1_11target_archE942ELNS1_3gpuE9ELNS1_3repE0EEENS1_59segmented_radix_sort_warp_sort_small_config_static_selectorELNS0_4arch9wavefront6targetE1EEEvSK_
	.p2align	8
	.type	_ZN7rocprim17ROCPRIM_400000_NS6detail17trampoline_kernelINS0_14default_configENS1_36segmented_radix_sort_config_selectorIilEEZNS1_25segmented_radix_sort_implIS3_Lb0EPKiPiPKlPlN2at6native12_GLOBAL__N_18offset_tEEE10hipError_tPvRmT1_PNSt15iterator_traitsISK_E10value_typeET2_T3_PNSL_ISQ_E10value_typeET4_jRbjT5_SW_jjP12ihipStream_tbEUlT_E1_NS1_11comp_targetILNS1_3genE5ELNS1_11target_archE942ELNS1_3gpuE9ELNS1_3repE0EEENS1_59segmented_radix_sort_warp_sort_small_config_static_selectorELNS0_4arch9wavefront6targetE1EEEvSK_,@function
_ZN7rocprim17ROCPRIM_400000_NS6detail17trampoline_kernelINS0_14default_configENS1_36segmented_radix_sort_config_selectorIilEEZNS1_25segmented_radix_sort_implIS3_Lb0EPKiPiPKlPlN2at6native12_GLOBAL__N_18offset_tEEE10hipError_tPvRmT1_PNSt15iterator_traitsISK_E10value_typeET2_T3_PNSL_ISQ_E10value_typeET4_jRbjT5_SW_jjP12ihipStream_tbEUlT_E1_NS1_11comp_targetILNS1_3genE5ELNS1_11target_archE942ELNS1_3gpuE9ELNS1_3repE0EEENS1_59segmented_radix_sort_warp_sort_small_config_static_selectorELNS0_4arch9wavefront6targetE1EEEvSK_: ; @_ZN7rocprim17ROCPRIM_400000_NS6detail17trampoline_kernelINS0_14default_configENS1_36segmented_radix_sort_config_selectorIilEEZNS1_25segmented_radix_sort_implIS3_Lb0EPKiPiPKlPlN2at6native12_GLOBAL__N_18offset_tEEE10hipError_tPvRmT1_PNSt15iterator_traitsISK_E10value_typeET2_T3_PNSL_ISQ_E10value_typeET4_jRbjT5_SW_jjP12ihipStream_tbEUlT_E1_NS1_11comp_targetILNS1_3genE5ELNS1_11target_archE942ELNS1_3gpuE9ELNS1_3repE0EEENS1_59segmented_radix_sort_warp_sort_small_config_static_selectorELNS0_4arch9wavefront6targetE1EEEvSK_
; %bb.0:
	.section	.rodata,"a",@progbits
	.p2align	6, 0x0
	.amdhsa_kernel _ZN7rocprim17ROCPRIM_400000_NS6detail17trampoline_kernelINS0_14default_configENS1_36segmented_radix_sort_config_selectorIilEEZNS1_25segmented_radix_sort_implIS3_Lb0EPKiPiPKlPlN2at6native12_GLOBAL__N_18offset_tEEE10hipError_tPvRmT1_PNSt15iterator_traitsISK_E10value_typeET2_T3_PNSL_ISQ_E10value_typeET4_jRbjT5_SW_jjP12ihipStream_tbEUlT_E1_NS1_11comp_targetILNS1_3genE5ELNS1_11target_archE942ELNS1_3gpuE9ELNS1_3repE0EEENS1_59segmented_radix_sort_warp_sort_small_config_static_selectorELNS0_4arch9wavefront6targetE1EEEvSK_
		.amdhsa_group_segment_fixed_size 0
		.amdhsa_private_segment_fixed_size 0
		.amdhsa_kernarg_size 88
		.amdhsa_user_sgpr_count 6
		.amdhsa_user_sgpr_private_segment_buffer 1
		.amdhsa_user_sgpr_dispatch_ptr 0
		.amdhsa_user_sgpr_queue_ptr 0
		.amdhsa_user_sgpr_kernarg_segment_ptr 1
		.amdhsa_user_sgpr_dispatch_id 0
		.amdhsa_user_sgpr_flat_scratch_init 0
		.amdhsa_user_sgpr_private_segment_size 0
		.amdhsa_uses_dynamic_stack 0
		.amdhsa_system_sgpr_private_segment_wavefront_offset 0
		.amdhsa_system_sgpr_workgroup_id_x 1
		.amdhsa_system_sgpr_workgroup_id_y 0
		.amdhsa_system_sgpr_workgroup_id_z 0
		.amdhsa_system_sgpr_workgroup_info 0
		.amdhsa_system_vgpr_workitem_id 0
		.amdhsa_next_free_vgpr 1
		.amdhsa_next_free_sgpr 0
		.amdhsa_reserve_vcc 0
		.amdhsa_reserve_flat_scratch 0
		.amdhsa_float_round_mode_32 0
		.amdhsa_float_round_mode_16_64 0
		.amdhsa_float_denorm_mode_32 3
		.amdhsa_float_denorm_mode_16_64 3
		.amdhsa_dx10_clamp 1
		.amdhsa_ieee_mode 1
		.amdhsa_fp16_overflow 0
		.amdhsa_exception_fp_ieee_invalid_op 0
		.amdhsa_exception_fp_denorm_src 0
		.amdhsa_exception_fp_ieee_div_zero 0
		.amdhsa_exception_fp_ieee_overflow 0
		.amdhsa_exception_fp_ieee_underflow 0
		.amdhsa_exception_fp_ieee_inexact 0
		.amdhsa_exception_int_div_zero 0
	.end_amdhsa_kernel
	.section	.text._ZN7rocprim17ROCPRIM_400000_NS6detail17trampoline_kernelINS0_14default_configENS1_36segmented_radix_sort_config_selectorIilEEZNS1_25segmented_radix_sort_implIS3_Lb0EPKiPiPKlPlN2at6native12_GLOBAL__N_18offset_tEEE10hipError_tPvRmT1_PNSt15iterator_traitsISK_E10value_typeET2_T3_PNSL_ISQ_E10value_typeET4_jRbjT5_SW_jjP12ihipStream_tbEUlT_E1_NS1_11comp_targetILNS1_3genE5ELNS1_11target_archE942ELNS1_3gpuE9ELNS1_3repE0EEENS1_59segmented_radix_sort_warp_sort_small_config_static_selectorELNS0_4arch9wavefront6targetE1EEEvSK_,"axG",@progbits,_ZN7rocprim17ROCPRIM_400000_NS6detail17trampoline_kernelINS0_14default_configENS1_36segmented_radix_sort_config_selectorIilEEZNS1_25segmented_radix_sort_implIS3_Lb0EPKiPiPKlPlN2at6native12_GLOBAL__N_18offset_tEEE10hipError_tPvRmT1_PNSt15iterator_traitsISK_E10value_typeET2_T3_PNSL_ISQ_E10value_typeET4_jRbjT5_SW_jjP12ihipStream_tbEUlT_E1_NS1_11comp_targetILNS1_3genE5ELNS1_11target_archE942ELNS1_3gpuE9ELNS1_3repE0EEENS1_59segmented_radix_sort_warp_sort_small_config_static_selectorELNS0_4arch9wavefront6targetE1EEEvSK_,comdat
.Lfunc_end621:
	.size	_ZN7rocprim17ROCPRIM_400000_NS6detail17trampoline_kernelINS0_14default_configENS1_36segmented_radix_sort_config_selectorIilEEZNS1_25segmented_radix_sort_implIS3_Lb0EPKiPiPKlPlN2at6native12_GLOBAL__N_18offset_tEEE10hipError_tPvRmT1_PNSt15iterator_traitsISK_E10value_typeET2_T3_PNSL_ISQ_E10value_typeET4_jRbjT5_SW_jjP12ihipStream_tbEUlT_E1_NS1_11comp_targetILNS1_3genE5ELNS1_11target_archE942ELNS1_3gpuE9ELNS1_3repE0EEENS1_59segmented_radix_sort_warp_sort_small_config_static_selectorELNS0_4arch9wavefront6targetE1EEEvSK_, .Lfunc_end621-_ZN7rocprim17ROCPRIM_400000_NS6detail17trampoline_kernelINS0_14default_configENS1_36segmented_radix_sort_config_selectorIilEEZNS1_25segmented_radix_sort_implIS3_Lb0EPKiPiPKlPlN2at6native12_GLOBAL__N_18offset_tEEE10hipError_tPvRmT1_PNSt15iterator_traitsISK_E10value_typeET2_T3_PNSL_ISQ_E10value_typeET4_jRbjT5_SW_jjP12ihipStream_tbEUlT_E1_NS1_11comp_targetILNS1_3genE5ELNS1_11target_archE942ELNS1_3gpuE9ELNS1_3repE0EEENS1_59segmented_radix_sort_warp_sort_small_config_static_selectorELNS0_4arch9wavefront6targetE1EEEvSK_
                                        ; -- End function
	.set _ZN7rocprim17ROCPRIM_400000_NS6detail17trampoline_kernelINS0_14default_configENS1_36segmented_radix_sort_config_selectorIilEEZNS1_25segmented_radix_sort_implIS3_Lb0EPKiPiPKlPlN2at6native12_GLOBAL__N_18offset_tEEE10hipError_tPvRmT1_PNSt15iterator_traitsISK_E10value_typeET2_T3_PNSL_ISQ_E10value_typeET4_jRbjT5_SW_jjP12ihipStream_tbEUlT_E1_NS1_11comp_targetILNS1_3genE5ELNS1_11target_archE942ELNS1_3gpuE9ELNS1_3repE0EEENS1_59segmented_radix_sort_warp_sort_small_config_static_selectorELNS0_4arch9wavefront6targetE1EEEvSK_.num_vgpr, 0
	.set _ZN7rocprim17ROCPRIM_400000_NS6detail17trampoline_kernelINS0_14default_configENS1_36segmented_radix_sort_config_selectorIilEEZNS1_25segmented_radix_sort_implIS3_Lb0EPKiPiPKlPlN2at6native12_GLOBAL__N_18offset_tEEE10hipError_tPvRmT1_PNSt15iterator_traitsISK_E10value_typeET2_T3_PNSL_ISQ_E10value_typeET4_jRbjT5_SW_jjP12ihipStream_tbEUlT_E1_NS1_11comp_targetILNS1_3genE5ELNS1_11target_archE942ELNS1_3gpuE9ELNS1_3repE0EEENS1_59segmented_radix_sort_warp_sort_small_config_static_selectorELNS0_4arch9wavefront6targetE1EEEvSK_.num_agpr, 0
	.set _ZN7rocprim17ROCPRIM_400000_NS6detail17trampoline_kernelINS0_14default_configENS1_36segmented_radix_sort_config_selectorIilEEZNS1_25segmented_radix_sort_implIS3_Lb0EPKiPiPKlPlN2at6native12_GLOBAL__N_18offset_tEEE10hipError_tPvRmT1_PNSt15iterator_traitsISK_E10value_typeET2_T3_PNSL_ISQ_E10value_typeET4_jRbjT5_SW_jjP12ihipStream_tbEUlT_E1_NS1_11comp_targetILNS1_3genE5ELNS1_11target_archE942ELNS1_3gpuE9ELNS1_3repE0EEENS1_59segmented_radix_sort_warp_sort_small_config_static_selectorELNS0_4arch9wavefront6targetE1EEEvSK_.numbered_sgpr, 0
	.set _ZN7rocprim17ROCPRIM_400000_NS6detail17trampoline_kernelINS0_14default_configENS1_36segmented_radix_sort_config_selectorIilEEZNS1_25segmented_radix_sort_implIS3_Lb0EPKiPiPKlPlN2at6native12_GLOBAL__N_18offset_tEEE10hipError_tPvRmT1_PNSt15iterator_traitsISK_E10value_typeET2_T3_PNSL_ISQ_E10value_typeET4_jRbjT5_SW_jjP12ihipStream_tbEUlT_E1_NS1_11comp_targetILNS1_3genE5ELNS1_11target_archE942ELNS1_3gpuE9ELNS1_3repE0EEENS1_59segmented_radix_sort_warp_sort_small_config_static_selectorELNS0_4arch9wavefront6targetE1EEEvSK_.num_named_barrier, 0
	.set _ZN7rocprim17ROCPRIM_400000_NS6detail17trampoline_kernelINS0_14default_configENS1_36segmented_radix_sort_config_selectorIilEEZNS1_25segmented_radix_sort_implIS3_Lb0EPKiPiPKlPlN2at6native12_GLOBAL__N_18offset_tEEE10hipError_tPvRmT1_PNSt15iterator_traitsISK_E10value_typeET2_T3_PNSL_ISQ_E10value_typeET4_jRbjT5_SW_jjP12ihipStream_tbEUlT_E1_NS1_11comp_targetILNS1_3genE5ELNS1_11target_archE942ELNS1_3gpuE9ELNS1_3repE0EEENS1_59segmented_radix_sort_warp_sort_small_config_static_selectorELNS0_4arch9wavefront6targetE1EEEvSK_.private_seg_size, 0
	.set _ZN7rocprim17ROCPRIM_400000_NS6detail17trampoline_kernelINS0_14default_configENS1_36segmented_radix_sort_config_selectorIilEEZNS1_25segmented_radix_sort_implIS3_Lb0EPKiPiPKlPlN2at6native12_GLOBAL__N_18offset_tEEE10hipError_tPvRmT1_PNSt15iterator_traitsISK_E10value_typeET2_T3_PNSL_ISQ_E10value_typeET4_jRbjT5_SW_jjP12ihipStream_tbEUlT_E1_NS1_11comp_targetILNS1_3genE5ELNS1_11target_archE942ELNS1_3gpuE9ELNS1_3repE0EEENS1_59segmented_radix_sort_warp_sort_small_config_static_selectorELNS0_4arch9wavefront6targetE1EEEvSK_.uses_vcc, 0
	.set _ZN7rocprim17ROCPRIM_400000_NS6detail17trampoline_kernelINS0_14default_configENS1_36segmented_radix_sort_config_selectorIilEEZNS1_25segmented_radix_sort_implIS3_Lb0EPKiPiPKlPlN2at6native12_GLOBAL__N_18offset_tEEE10hipError_tPvRmT1_PNSt15iterator_traitsISK_E10value_typeET2_T3_PNSL_ISQ_E10value_typeET4_jRbjT5_SW_jjP12ihipStream_tbEUlT_E1_NS1_11comp_targetILNS1_3genE5ELNS1_11target_archE942ELNS1_3gpuE9ELNS1_3repE0EEENS1_59segmented_radix_sort_warp_sort_small_config_static_selectorELNS0_4arch9wavefront6targetE1EEEvSK_.uses_flat_scratch, 0
	.set _ZN7rocprim17ROCPRIM_400000_NS6detail17trampoline_kernelINS0_14default_configENS1_36segmented_radix_sort_config_selectorIilEEZNS1_25segmented_radix_sort_implIS3_Lb0EPKiPiPKlPlN2at6native12_GLOBAL__N_18offset_tEEE10hipError_tPvRmT1_PNSt15iterator_traitsISK_E10value_typeET2_T3_PNSL_ISQ_E10value_typeET4_jRbjT5_SW_jjP12ihipStream_tbEUlT_E1_NS1_11comp_targetILNS1_3genE5ELNS1_11target_archE942ELNS1_3gpuE9ELNS1_3repE0EEENS1_59segmented_radix_sort_warp_sort_small_config_static_selectorELNS0_4arch9wavefront6targetE1EEEvSK_.has_dyn_sized_stack, 0
	.set _ZN7rocprim17ROCPRIM_400000_NS6detail17trampoline_kernelINS0_14default_configENS1_36segmented_radix_sort_config_selectorIilEEZNS1_25segmented_radix_sort_implIS3_Lb0EPKiPiPKlPlN2at6native12_GLOBAL__N_18offset_tEEE10hipError_tPvRmT1_PNSt15iterator_traitsISK_E10value_typeET2_T3_PNSL_ISQ_E10value_typeET4_jRbjT5_SW_jjP12ihipStream_tbEUlT_E1_NS1_11comp_targetILNS1_3genE5ELNS1_11target_archE942ELNS1_3gpuE9ELNS1_3repE0EEENS1_59segmented_radix_sort_warp_sort_small_config_static_selectorELNS0_4arch9wavefront6targetE1EEEvSK_.has_recursion, 0
	.set _ZN7rocprim17ROCPRIM_400000_NS6detail17trampoline_kernelINS0_14default_configENS1_36segmented_radix_sort_config_selectorIilEEZNS1_25segmented_radix_sort_implIS3_Lb0EPKiPiPKlPlN2at6native12_GLOBAL__N_18offset_tEEE10hipError_tPvRmT1_PNSt15iterator_traitsISK_E10value_typeET2_T3_PNSL_ISQ_E10value_typeET4_jRbjT5_SW_jjP12ihipStream_tbEUlT_E1_NS1_11comp_targetILNS1_3genE5ELNS1_11target_archE942ELNS1_3gpuE9ELNS1_3repE0EEENS1_59segmented_radix_sort_warp_sort_small_config_static_selectorELNS0_4arch9wavefront6targetE1EEEvSK_.has_indirect_call, 0
	.section	.AMDGPU.csdata,"",@progbits
; Kernel info:
; codeLenInByte = 0
; TotalNumSgprs: 4
; NumVgprs: 0
; ScratchSize: 0
; MemoryBound: 0
; FloatMode: 240
; IeeeMode: 1
; LDSByteSize: 0 bytes/workgroup (compile time only)
; SGPRBlocks: 0
; VGPRBlocks: 0
; NumSGPRsForWavesPerEU: 4
; NumVGPRsForWavesPerEU: 1
; Occupancy: 10
; WaveLimiterHint : 0
; COMPUTE_PGM_RSRC2:SCRATCH_EN: 0
; COMPUTE_PGM_RSRC2:USER_SGPR: 6
; COMPUTE_PGM_RSRC2:TRAP_HANDLER: 0
; COMPUTE_PGM_RSRC2:TGID_X_EN: 1
; COMPUTE_PGM_RSRC2:TGID_Y_EN: 0
; COMPUTE_PGM_RSRC2:TGID_Z_EN: 0
; COMPUTE_PGM_RSRC2:TIDIG_COMP_CNT: 0
	.section	.text._ZN7rocprim17ROCPRIM_400000_NS6detail17trampoline_kernelINS0_14default_configENS1_36segmented_radix_sort_config_selectorIilEEZNS1_25segmented_radix_sort_implIS3_Lb0EPKiPiPKlPlN2at6native12_GLOBAL__N_18offset_tEEE10hipError_tPvRmT1_PNSt15iterator_traitsISK_E10value_typeET2_T3_PNSL_ISQ_E10value_typeET4_jRbjT5_SW_jjP12ihipStream_tbEUlT_E1_NS1_11comp_targetILNS1_3genE4ELNS1_11target_archE910ELNS1_3gpuE8ELNS1_3repE0EEENS1_59segmented_radix_sort_warp_sort_small_config_static_selectorELNS0_4arch9wavefront6targetE1EEEvSK_,"axG",@progbits,_ZN7rocprim17ROCPRIM_400000_NS6detail17trampoline_kernelINS0_14default_configENS1_36segmented_radix_sort_config_selectorIilEEZNS1_25segmented_radix_sort_implIS3_Lb0EPKiPiPKlPlN2at6native12_GLOBAL__N_18offset_tEEE10hipError_tPvRmT1_PNSt15iterator_traitsISK_E10value_typeET2_T3_PNSL_ISQ_E10value_typeET4_jRbjT5_SW_jjP12ihipStream_tbEUlT_E1_NS1_11comp_targetILNS1_3genE4ELNS1_11target_archE910ELNS1_3gpuE8ELNS1_3repE0EEENS1_59segmented_radix_sort_warp_sort_small_config_static_selectorELNS0_4arch9wavefront6targetE1EEEvSK_,comdat
	.globl	_ZN7rocprim17ROCPRIM_400000_NS6detail17trampoline_kernelINS0_14default_configENS1_36segmented_radix_sort_config_selectorIilEEZNS1_25segmented_radix_sort_implIS3_Lb0EPKiPiPKlPlN2at6native12_GLOBAL__N_18offset_tEEE10hipError_tPvRmT1_PNSt15iterator_traitsISK_E10value_typeET2_T3_PNSL_ISQ_E10value_typeET4_jRbjT5_SW_jjP12ihipStream_tbEUlT_E1_NS1_11comp_targetILNS1_3genE4ELNS1_11target_archE910ELNS1_3gpuE8ELNS1_3repE0EEENS1_59segmented_radix_sort_warp_sort_small_config_static_selectorELNS0_4arch9wavefront6targetE1EEEvSK_ ; -- Begin function _ZN7rocprim17ROCPRIM_400000_NS6detail17trampoline_kernelINS0_14default_configENS1_36segmented_radix_sort_config_selectorIilEEZNS1_25segmented_radix_sort_implIS3_Lb0EPKiPiPKlPlN2at6native12_GLOBAL__N_18offset_tEEE10hipError_tPvRmT1_PNSt15iterator_traitsISK_E10value_typeET2_T3_PNSL_ISQ_E10value_typeET4_jRbjT5_SW_jjP12ihipStream_tbEUlT_E1_NS1_11comp_targetILNS1_3genE4ELNS1_11target_archE910ELNS1_3gpuE8ELNS1_3repE0EEENS1_59segmented_radix_sort_warp_sort_small_config_static_selectorELNS0_4arch9wavefront6targetE1EEEvSK_
	.p2align	8
	.type	_ZN7rocprim17ROCPRIM_400000_NS6detail17trampoline_kernelINS0_14default_configENS1_36segmented_radix_sort_config_selectorIilEEZNS1_25segmented_radix_sort_implIS3_Lb0EPKiPiPKlPlN2at6native12_GLOBAL__N_18offset_tEEE10hipError_tPvRmT1_PNSt15iterator_traitsISK_E10value_typeET2_T3_PNSL_ISQ_E10value_typeET4_jRbjT5_SW_jjP12ihipStream_tbEUlT_E1_NS1_11comp_targetILNS1_3genE4ELNS1_11target_archE910ELNS1_3gpuE8ELNS1_3repE0EEENS1_59segmented_radix_sort_warp_sort_small_config_static_selectorELNS0_4arch9wavefront6targetE1EEEvSK_,@function
_ZN7rocprim17ROCPRIM_400000_NS6detail17trampoline_kernelINS0_14default_configENS1_36segmented_radix_sort_config_selectorIilEEZNS1_25segmented_radix_sort_implIS3_Lb0EPKiPiPKlPlN2at6native12_GLOBAL__N_18offset_tEEE10hipError_tPvRmT1_PNSt15iterator_traitsISK_E10value_typeET2_T3_PNSL_ISQ_E10value_typeET4_jRbjT5_SW_jjP12ihipStream_tbEUlT_E1_NS1_11comp_targetILNS1_3genE4ELNS1_11target_archE910ELNS1_3gpuE8ELNS1_3repE0EEENS1_59segmented_radix_sort_warp_sort_small_config_static_selectorELNS0_4arch9wavefront6targetE1EEEvSK_: ; @_ZN7rocprim17ROCPRIM_400000_NS6detail17trampoline_kernelINS0_14default_configENS1_36segmented_radix_sort_config_selectorIilEEZNS1_25segmented_radix_sort_implIS3_Lb0EPKiPiPKlPlN2at6native12_GLOBAL__N_18offset_tEEE10hipError_tPvRmT1_PNSt15iterator_traitsISK_E10value_typeET2_T3_PNSL_ISQ_E10value_typeET4_jRbjT5_SW_jjP12ihipStream_tbEUlT_E1_NS1_11comp_targetILNS1_3genE4ELNS1_11target_archE910ELNS1_3gpuE8ELNS1_3repE0EEENS1_59segmented_radix_sort_warp_sort_small_config_static_selectorELNS0_4arch9wavefront6targetE1EEEvSK_
; %bb.0:
	.section	.rodata,"a",@progbits
	.p2align	6, 0x0
	.amdhsa_kernel _ZN7rocprim17ROCPRIM_400000_NS6detail17trampoline_kernelINS0_14default_configENS1_36segmented_radix_sort_config_selectorIilEEZNS1_25segmented_radix_sort_implIS3_Lb0EPKiPiPKlPlN2at6native12_GLOBAL__N_18offset_tEEE10hipError_tPvRmT1_PNSt15iterator_traitsISK_E10value_typeET2_T3_PNSL_ISQ_E10value_typeET4_jRbjT5_SW_jjP12ihipStream_tbEUlT_E1_NS1_11comp_targetILNS1_3genE4ELNS1_11target_archE910ELNS1_3gpuE8ELNS1_3repE0EEENS1_59segmented_radix_sort_warp_sort_small_config_static_selectorELNS0_4arch9wavefront6targetE1EEEvSK_
		.amdhsa_group_segment_fixed_size 0
		.amdhsa_private_segment_fixed_size 0
		.amdhsa_kernarg_size 88
		.amdhsa_user_sgpr_count 6
		.amdhsa_user_sgpr_private_segment_buffer 1
		.amdhsa_user_sgpr_dispatch_ptr 0
		.amdhsa_user_sgpr_queue_ptr 0
		.amdhsa_user_sgpr_kernarg_segment_ptr 1
		.amdhsa_user_sgpr_dispatch_id 0
		.amdhsa_user_sgpr_flat_scratch_init 0
		.amdhsa_user_sgpr_private_segment_size 0
		.amdhsa_uses_dynamic_stack 0
		.amdhsa_system_sgpr_private_segment_wavefront_offset 0
		.amdhsa_system_sgpr_workgroup_id_x 1
		.amdhsa_system_sgpr_workgroup_id_y 0
		.amdhsa_system_sgpr_workgroup_id_z 0
		.amdhsa_system_sgpr_workgroup_info 0
		.amdhsa_system_vgpr_workitem_id 0
		.amdhsa_next_free_vgpr 1
		.amdhsa_next_free_sgpr 0
		.amdhsa_reserve_vcc 0
		.amdhsa_reserve_flat_scratch 0
		.amdhsa_float_round_mode_32 0
		.amdhsa_float_round_mode_16_64 0
		.amdhsa_float_denorm_mode_32 3
		.amdhsa_float_denorm_mode_16_64 3
		.amdhsa_dx10_clamp 1
		.amdhsa_ieee_mode 1
		.amdhsa_fp16_overflow 0
		.amdhsa_exception_fp_ieee_invalid_op 0
		.amdhsa_exception_fp_denorm_src 0
		.amdhsa_exception_fp_ieee_div_zero 0
		.amdhsa_exception_fp_ieee_overflow 0
		.amdhsa_exception_fp_ieee_underflow 0
		.amdhsa_exception_fp_ieee_inexact 0
		.amdhsa_exception_int_div_zero 0
	.end_amdhsa_kernel
	.section	.text._ZN7rocprim17ROCPRIM_400000_NS6detail17trampoline_kernelINS0_14default_configENS1_36segmented_radix_sort_config_selectorIilEEZNS1_25segmented_radix_sort_implIS3_Lb0EPKiPiPKlPlN2at6native12_GLOBAL__N_18offset_tEEE10hipError_tPvRmT1_PNSt15iterator_traitsISK_E10value_typeET2_T3_PNSL_ISQ_E10value_typeET4_jRbjT5_SW_jjP12ihipStream_tbEUlT_E1_NS1_11comp_targetILNS1_3genE4ELNS1_11target_archE910ELNS1_3gpuE8ELNS1_3repE0EEENS1_59segmented_radix_sort_warp_sort_small_config_static_selectorELNS0_4arch9wavefront6targetE1EEEvSK_,"axG",@progbits,_ZN7rocprim17ROCPRIM_400000_NS6detail17trampoline_kernelINS0_14default_configENS1_36segmented_radix_sort_config_selectorIilEEZNS1_25segmented_radix_sort_implIS3_Lb0EPKiPiPKlPlN2at6native12_GLOBAL__N_18offset_tEEE10hipError_tPvRmT1_PNSt15iterator_traitsISK_E10value_typeET2_T3_PNSL_ISQ_E10value_typeET4_jRbjT5_SW_jjP12ihipStream_tbEUlT_E1_NS1_11comp_targetILNS1_3genE4ELNS1_11target_archE910ELNS1_3gpuE8ELNS1_3repE0EEENS1_59segmented_radix_sort_warp_sort_small_config_static_selectorELNS0_4arch9wavefront6targetE1EEEvSK_,comdat
.Lfunc_end622:
	.size	_ZN7rocprim17ROCPRIM_400000_NS6detail17trampoline_kernelINS0_14default_configENS1_36segmented_radix_sort_config_selectorIilEEZNS1_25segmented_radix_sort_implIS3_Lb0EPKiPiPKlPlN2at6native12_GLOBAL__N_18offset_tEEE10hipError_tPvRmT1_PNSt15iterator_traitsISK_E10value_typeET2_T3_PNSL_ISQ_E10value_typeET4_jRbjT5_SW_jjP12ihipStream_tbEUlT_E1_NS1_11comp_targetILNS1_3genE4ELNS1_11target_archE910ELNS1_3gpuE8ELNS1_3repE0EEENS1_59segmented_radix_sort_warp_sort_small_config_static_selectorELNS0_4arch9wavefront6targetE1EEEvSK_, .Lfunc_end622-_ZN7rocprim17ROCPRIM_400000_NS6detail17trampoline_kernelINS0_14default_configENS1_36segmented_radix_sort_config_selectorIilEEZNS1_25segmented_radix_sort_implIS3_Lb0EPKiPiPKlPlN2at6native12_GLOBAL__N_18offset_tEEE10hipError_tPvRmT1_PNSt15iterator_traitsISK_E10value_typeET2_T3_PNSL_ISQ_E10value_typeET4_jRbjT5_SW_jjP12ihipStream_tbEUlT_E1_NS1_11comp_targetILNS1_3genE4ELNS1_11target_archE910ELNS1_3gpuE8ELNS1_3repE0EEENS1_59segmented_radix_sort_warp_sort_small_config_static_selectorELNS0_4arch9wavefront6targetE1EEEvSK_
                                        ; -- End function
	.set _ZN7rocprim17ROCPRIM_400000_NS6detail17trampoline_kernelINS0_14default_configENS1_36segmented_radix_sort_config_selectorIilEEZNS1_25segmented_radix_sort_implIS3_Lb0EPKiPiPKlPlN2at6native12_GLOBAL__N_18offset_tEEE10hipError_tPvRmT1_PNSt15iterator_traitsISK_E10value_typeET2_T3_PNSL_ISQ_E10value_typeET4_jRbjT5_SW_jjP12ihipStream_tbEUlT_E1_NS1_11comp_targetILNS1_3genE4ELNS1_11target_archE910ELNS1_3gpuE8ELNS1_3repE0EEENS1_59segmented_radix_sort_warp_sort_small_config_static_selectorELNS0_4arch9wavefront6targetE1EEEvSK_.num_vgpr, 0
	.set _ZN7rocprim17ROCPRIM_400000_NS6detail17trampoline_kernelINS0_14default_configENS1_36segmented_radix_sort_config_selectorIilEEZNS1_25segmented_radix_sort_implIS3_Lb0EPKiPiPKlPlN2at6native12_GLOBAL__N_18offset_tEEE10hipError_tPvRmT1_PNSt15iterator_traitsISK_E10value_typeET2_T3_PNSL_ISQ_E10value_typeET4_jRbjT5_SW_jjP12ihipStream_tbEUlT_E1_NS1_11comp_targetILNS1_3genE4ELNS1_11target_archE910ELNS1_3gpuE8ELNS1_3repE0EEENS1_59segmented_radix_sort_warp_sort_small_config_static_selectorELNS0_4arch9wavefront6targetE1EEEvSK_.num_agpr, 0
	.set _ZN7rocprim17ROCPRIM_400000_NS6detail17trampoline_kernelINS0_14default_configENS1_36segmented_radix_sort_config_selectorIilEEZNS1_25segmented_radix_sort_implIS3_Lb0EPKiPiPKlPlN2at6native12_GLOBAL__N_18offset_tEEE10hipError_tPvRmT1_PNSt15iterator_traitsISK_E10value_typeET2_T3_PNSL_ISQ_E10value_typeET4_jRbjT5_SW_jjP12ihipStream_tbEUlT_E1_NS1_11comp_targetILNS1_3genE4ELNS1_11target_archE910ELNS1_3gpuE8ELNS1_3repE0EEENS1_59segmented_radix_sort_warp_sort_small_config_static_selectorELNS0_4arch9wavefront6targetE1EEEvSK_.numbered_sgpr, 0
	.set _ZN7rocprim17ROCPRIM_400000_NS6detail17trampoline_kernelINS0_14default_configENS1_36segmented_radix_sort_config_selectorIilEEZNS1_25segmented_radix_sort_implIS3_Lb0EPKiPiPKlPlN2at6native12_GLOBAL__N_18offset_tEEE10hipError_tPvRmT1_PNSt15iterator_traitsISK_E10value_typeET2_T3_PNSL_ISQ_E10value_typeET4_jRbjT5_SW_jjP12ihipStream_tbEUlT_E1_NS1_11comp_targetILNS1_3genE4ELNS1_11target_archE910ELNS1_3gpuE8ELNS1_3repE0EEENS1_59segmented_radix_sort_warp_sort_small_config_static_selectorELNS0_4arch9wavefront6targetE1EEEvSK_.num_named_barrier, 0
	.set _ZN7rocprim17ROCPRIM_400000_NS6detail17trampoline_kernelINS0_14default_configENS1_36segmented_radix_sort_config_selectorIilEEZNS1_25segmented_radix_sort_implIS3_Lb0EPKiPiPKlPlN2at6native12_GLOBAL__N_18offset_tEEE10hipError_tPvRmT1_PNSt15iterator_traitsISK_E10value_typeET2_T3_PNSL_ISQ_E10value_typeET4_jRbjT5_SW_jjP12ihipStream_tbEUlT_E1_NS1_11comp_targetILNS1_3genE4ELNS1_11target_archE910ELNS1_3gpuE8ELNS1_3repE0EEENS1_59segmented_radix_sort_warp_sort_small_config_static_selectorELNS0_4arch9wavefront6targetE1EEEvSK_.private_seg_size, 0
	.set _ZN7rocprim17ROCPRIM_400000_NS6detail17trampoline_kernelINS0_14default_configENS1_36segmented_radix_sort_config_selectorIilEEZNS1_25segmented_radix_sort_implIS3_Lb0EPKiPiPKlPlN2at6native12_GLOBAL__N_18offset_tEEE10hipError_tPvRmT1_PNSt15iterator_traitsISK_E10value_typeET2_T3_PNSL_ISQ_E10value_typeET4_jRbjT5_SW_jjP12ihipStream_tbEUlT_E1_NS1_11comp_targetILNS1_3genE4ELNS1_11target_archE910ELNS1_3gpuE8ELNS1_3repE0EEENS1_59segmented_radix_sort_warp_sort_small_config_static_selectorELNS0_4arch9wavefront6targetE1EEEvSK_.uses_vcc, 0
	.set _ZN7rocprim17ROCPRIM_400000_NS6detail17trampoline_kernelINS0_14default_configENS1_36segmented_radix_sort_config_selectorIilEEZNS1_25segmented_radix_sort_implIS3_Lb0EPKiPiPKlPlN2at6native12_GLOBAL__N_18offset_tEEE10hipError_tPvRmT1_PNSt15iterator_traitsISK_E10value_typeET2_T3_PNSL_ISQ_E10value_typeET4_jRbjT5_SW_jjP12ihipStream_tbEUlT_E1_NS1_11comp_targetILNS1_3genE4ELNS1_11target_archE910ELNS1_3gpuE8ELNS1_3repE0EEENS1_59segmented_radix_sort_warp_sort_small_config_static_selectorELNS0_4arch9wavefront6targetE1EEEvSK_.uses_flat_scratch, 0
	.set _ZN7rocprim17ROCPRIM_400000_NS6detail17trampoline_kernelINS0_14default_configENS1_36segmented_radix_sort_config_selectorIilEEZNS1_25segmented_radix_sort_implIS3_Lb0EPKiPiPKlPlN2at6native12_GLOBAL__N_18offset_tEEE10hipError_tPvRmT1_PNSt15iterator_traitsISK_E10value_typeET2_T3_PNSL_ISQ_E10value_typeET4_jRbjT5_SW_jjP12ihipStream_tbEUlT_E1_NS1_11comp_targetILNS1_3genE4ELNS1_11target_archE910ELNS1_3gpuE8ELNS1_3repE0EEENS1_59segmented_radix_sort_warp_sort_small_config_static_selectorELNS0_4arch9wavefront6targetE1EEEvSK_.has_dyn_sized_stack, 0
	.set _ZN7rocprim17ROCPRIM_400000_NS6detail17trampoline_kernelINS0_14default_configENS1_36segmented_radix_sort_config_selectorIilEEZNS1_25segmented_radix_sort_implIS3_Lb0EPKiPiPKlPlN2at6native12_GLOBAL__N_18offset_tEEE10hipError_tPvRmT1_PNSt15iterator_traitsISK_E10value_typeET2_T3_PNSL_ISQ_E10value_typeET4_jRbjT5_SW_jjP12ihipStream_tbEUlT_E1_NS1_11comp_targetILNS1_3genE4ELNS1_11target_archE910ELNS1_3gpuE8ELNS1_3repE0EEENS1_59segmented_radix_sort_warp_sort_small_config_static_selectorELNS0_4arch9wavefront6targetE1EEEvSK_.has_recursion, 0
	.set _ZN7rocprim17ROCPRIM_400000_NS6detail17trampoline_kernelINS0_14default_configENS1_36segmented_radix_sort_config_selectorIilEEZNS1_25segmented_radix_sort_implIS3_Lb0EPKiPiPKlPlN2at6native12_GLOBAL__N_18offset_tEEE10hipError_tPvRmT1_PNSt15iterator_traitsISK_E10value_typeET2_T3_PNSL_ISQ_E10value_typeET4_jRbjT5_SW_jjP12ihipStream_tbEUlT_E1_NS1_11comp_targetILNS1_3genE4ELNS1_11target_archE910ELNS1_3gpuE8ELNS1_3repE0EEENS1_59segmented_radix_sort_warp_sort_small_config_static_selectorELNS0_4arch9wavefront6targetE1EEEvSK_.has_indirect_call, 0
	.section	.AMDGPU.csdata,"",@progbits
; Kernel info:
; codeLenInByte = 0
; TotalNumSgprs: 4
; NumVgprs: 0
; ScratchSize: 0
; MemoryBound: 0
; FloatMode: 240
; IeeeMode: 1
; LDSByteSize: 0 bytes/workgroup (compile time only)
; SGPRBlocks: 0
; VGPRBlocks: 0
; NumSGPRsForWavesPerEU: 4
; NumVGPRsForWavesPerEU: 1
; Occupancy: 10
; WaveLimiterHint : 0
; COMPUTE_PGM_RSRC2:SCRATCH_EN: 0
; COMPUTE_PGM_RSRC2:USER_SGPR: 6
; COMPUTE_PGM_RSRC2:TRAP_HANDLER: 0
; COMPUTE_PGM_RSRC2:TGID_X_EN: 1
; COMPUTE_PGM_RSRC2:TGID_Y_EN: 0
; COMPUTE_PGM_RSRC2:TGID_Z_EN: 0
; COMPUTE_PGM_RSRC2:TIDIG_COMP_CNT: 0
	.section	.text._ZN7rocprim17ROCPRIM_400000_NS6detail17trampoline_kernelINS0_14default_configENS1_36segmented_radix_sort_config_selectorIilEEZNS1_25segmented_radix_sort_implIS3_Lb0EPKiPiPKlPlN2at6native12_GLOBAL__N_18offset_tEEE10hipError_tPvRmT1_PNSt15iterator_traitsISK_E10value_typeET2_T3_PNSL_ISQ_E10value_typeET4_jRbjT5_SW_jjP12ihipStream_tbEUlT_E1_NS1_11comp_targetILNS1_3genE3ELNS1_11target_archE908ELNS1_3gpuE7ELNS1_3repE0EEENS1_59segmented_radix_sort_warp_sort_small_config_static_selectorELNS0_4arch9wavefront6targetE1EEEvSK_,"axG",@progbits,_ZN7rocprim17ROCPRIM_400000_NS6detail17trampoline_kernelINS0_14default_configENS1_36segmented_radix_sort_config_selectorIilEEZNS1_25segmented_radix_sort_implIS3_Lb0EPKiPiPKlPlN2at6native12_GLOBAL__N_18offset_tEEE10hipError_tPvRmT1_PNSt15iterator_traitsISK_E10value_typeET2_T3_PNSL_ISQ_E10value_typeET4_jRbjT5_SW_jjP12ihipStream_tbEUlT_E1_NS1_11comp_targetILNS1_3genE3ELNS1_11target_archE908ELNS1_3gpuE7ELNS1_3repE0EEENS1_59segmented_radix_sort_warp_sort_small_config_static_selectorELNS0_4arch9wavefront6targetE1EEEvSK_,comdat
	.globl	_ZN7rocprim17ROCPRIM_400000_NS6detail17trampoline_kernelINS0_14default_configENS1_36segmented_radix_sort_config_selectorIilEEZNS1_25segmented_radix_sort_implIS3_Lb0EPKiPiPKlPlN2at6native12_GLOBAL__N_18offset_tEEE10hipError_tPvRmT1_PNSt15iterator_traitsISK_E10value_typeET2_T3_PNSL_ISQ_E10value_typeET4_jRbjT5_SW_jjP12ihipStream_tbEUlT_E1_NS1_11comp_targetILNS1_3genE3ELNS1_11target_archE908ELNS1_3gpuE7ELNS1_3repE0EEENS1_59segmented_radix_sort_warp_sort_small_config_static_selectorELNS0_4arch9wavefront6targetE1EEEvSK_ ; -- Begin function _ZN7rocprim17ROCPRIM_400000_NS6detail17trampoline_kernelINS0_14default_configENS1_36segmented_radix_sort_config_selectorIilEEZNS1_25segmented_radix_sort_implIS3_Lb0EPKiPiPKlPlN2at6native12_GLOBAL__N_18offset_tEEE10hipError_tPvRmT1_PNSt15iterator_traitsISK_E10value_typeET2_T3_PNSL_ISQ_E10value_typeET4_jRbjT5_SW_jjP12ihipStream_tbEUlT_E1_NS1_11comp_targetILNS1_3genE3ELNS1_11target_archE908ELNS1_3gpuE7ELNS1_3repE0EEENS1_59segmented_radix_sort_warp_sort_small_config_static_selectorELNS0_4arch9wavefront6targetE1EEEvSK_
	.p2align	8
	.type	_ZN7rocprim17ROCPRIM_400000_NS6detail17trampoline_kernelINS0_14default_configENS1_36segmented_radix_sort_config_selectorIilEEZNS1_25segmented_radix_sort_implIS3_Lb0EPKiPiPKlPlN2at6native12_GLOBAL__N_18offset_tEEE10hipError_tPvRmT1_PNSt15iterator_traitsISK_E10value_typeET2_T3_PNSL_ISQ_E10value_typeET4_jRbjT5_SW_jjP12ihipStream_tbEUlT_E1_NS1_11comp_targetILNS1_3genE3ELNS1_11target_archE908ELNS1_3gpuE7ELNS1_3repE0EEENS1_59segmented_radix_sort_warp_sort_small_config_static_selectorELNS0_4arch9wavefront6targetE1EEEvSK_,@function
_ZN7rocprim17ROCPRIM_400000_NS6detail17trampoline_kernelINS0_14default_configENS1_36segmented_radix_sort_config_selectorIilEEZNS1_25segmented_radix_sort_implIS3_Lb0EPKiPiPKlPlN2at6native12_GLOBAL__N_18offset_tEEE10hipError_tPvRmT1_PNSt15iterator_traitsISK_E10value_typeET2_T3_PNSL_ISQ_E10value_typeET4_jRbjT5_SW_jjP12ihipStream_tbEUlT_E1_NS1_11comp_targetILNS1_3genE3ELNS1_11target_archE908ELNS1_3gpuE7ELNS1_3repE0EEENS1_59segmented_radix_sort_warp_sort_small_config_static_selectorELNS0_4arch9wavefront6targetE1EEEvSK_: ; @_ZN7rocprim17ROCPRIM_400000_NS6detail17trampoline_kernelINS0_14default_configENS1_36segmented_radix_sort_config_selectorIilEEZNS1_25segmented_radix_sort_implIS3_Lb0EPKiPiPKlPlN2at6native12_GLOBAL__N_18offset_tEEE10hipError_tPvRmT1_PNSt15iterator_traitsISK_E10value_typeET2_T3_PNSL_ISQ_E10value_typeET4_jRbjT5_SW_jjP12ihipStream_tbEUlT_E1_NS1_11comp_targetILNS1_3genE3ELNS1_11target_archE908ELNS1_3gpuE7ELNS1_3repE0EEENS1_59segmented_radix_sort_warp_sort_small_config_static_selectorELNS0_4arch9wavefront6targetE1EEEvSK_
; %bb.0:
	.section	.rodata,"a",@progbits
	.p2align	6, 0x0
	.amdhsa_kernel _ZN7rocprim17ROCPRIM_400000_NS6detail17trampoline_kernelINS0_14default_configENS1_36segmented_radix_sort_config_selectorIilEEZNS1_25segmented_radix_sort_implIS3_Lb0EPKiPiPKlPlN2at6native12_GLOBAL__N_18offset_tEEE10hipError_tPvRmT1_PNSt15iterator_traitsISK_E10value_typeET2_T3_PNSL_ISQ_E10value_typeET4_jRbjT5_SW_jjP12ihipStream_tbEUlT_E1_NS1_11comp_targetILNS1_3genE3ELNS1_11target_archE908ELNS1_3gpuE7ELNS1_3repE0EEENS1_59segmented_radix_sort_warp_sort_small_config_static_selectorELNS0_4arch9wavefront6targetE1EEEvSK_
		.amdhsa_group_segment_fixed_size 0
		.amdhsa_private_segment_fixed_size 0
		.amdhsa_kernarg_size 88
		.amdhsa_user_sgpr_count 6
		.amdhsa_user_sgpr_private_segment_buffer 1
		.amdhsa_user_sgpr_dispatch_ptr 0
		.amdhsa_user_sgpr_queue_ptr 0
		.amdhsa_user_sgpr_kernarg_segment_ptr 1
		.amdhsa_user_sgpr_dispatch_id 0
		.amdhsa_user_sgpr_flat_scratch_init 0
		.amdhsa_user_sgpr_private_segment_size 0
		.amdhsa_uses_dynamic_stack 0
		.amdhsa_system_sgpr_private_segment_wavefront_offset 0
		.amdhsa_system_sgpr_workgroup_id_x 1
		.amdhsa_system_sgpr_workgroup_id_y 0
		.amdhsa_system_sgpr_workgroup_id_z 0
		.amdhsa_system_sgpr_workgroup_info 0
		.amdhsa_system_vgpr_workitem_id 0
		.amdhsa_next_free_vgpr 1
		.amdhsa_next_free_sgpr 0
		.amdhsa_reserve_vcc 0
		.amdhsa_reserve_flat_scratch 0
		.amdhsa_float_round_mode_32 0
		.amdhsa_float_round_mode_16_64 0
		.amdhsa_float_denorm_mode_32 3
		.amdhsa_float_denorm_mode_16_64 3
		.amdhsa_dx10_clamp 1
		.amdhsa_ieee_mode 1
		.amdhsa_fp16_overflow 0
		.amdhsa_exception_fp_ieee_invalid_op 0
		.amdhsa_exception_fp_denorm_src 0
		.amdhsa_exception_fp_ieee_div_zero 0
		.amdhsa_exception_fp_ieee_overflow 0
		.amdhsa_exception_fp_ieee_underflow 0
		.amdhsa_exception_fp_ieee_inexact 0
		.amdhsa_exception_int_div_zero 0
	.end_amdhsa_kernel
	.section	.text._ZN7rocprim17ROCPRIM_400000_NS6detail17trampoline_kernelINS0_14default_configENS1_36segmented_radix_sort_config_selectorIilEEZNS1_25segmented_radix_sort_implIS3_Lb0EPKiPiPKlPlN2at6native12_GLOBAL__N_18offset_tEEE10hipError_tPvRmT1_PNSt15iterator_traitsISK_E10value_typeET2_T3_PNSL_ISQ_E10value_typeET4_jRbjT5_SW_jjP12ihipStream_tbEUlT_E1_NS1_11comp_targetILNS1_3genE3ELNS1_11target_archE908ELNS1_3gpuE7ELNS1_3repE0EEENS1_59segmented_radix_sort_warp_sort_small_config_static_selectorELNS0_4arch9wavefront6targetE1EEEvSK_,"axG",@progbits,_ZN7rocprim17ROCPRIM_400000_NS6detail17trampoline_kernelINS0_14default_configENS1_36segmented_radix_sort_config_selectorIilEEZNS1_25segmented_radix_sort_implIS3_Lb0EPKiPiPKlPlN2at6native12_GLOBAL__N_18offset_tEEE10hipError_tPvRmT1_PNSt15iterator_traitsISK_E10value_typeET2_T3_PNSL_ISQ_E10value_typeET4_jRbjT5_SW_jjP12ihipStream_tbEUlT_E1_NS1_11comp_targetILNS1_3genE3ELNS1_11target_archE908ELNS1_3gpuE7ELNS1_3repE0EEENS1_59segmented_radix_sort_warp_sort_small_config_static_selectorELNS0_4arch9wavefront6targetE1EEEvSK_,comdat
.Lfunc_end623:
	.size	_ZN7rocprim17ROCPRIM_400000_NS6detail17trampoline_kernelINS0_14default_configENS1_36segmented_radix_sort_config_selectorIilEEZNS1_25segmented_radix_sort_implIS3_Lb0EPKiPiPKlPlN2at6native12_GLOBAL__N_18offset_tEEE10hipError_tPvRmT1_PNSt15iterator_traitsISK_E10value_typeET2_T3_PNSL_ISQ_E10value_typeET4_jRbjT5_SW_jjP12ihipStream_tbEUlT_E1_NS1_11comp_targetILNS1_3genE3ELNS1_11target_archE908ELNS1_3gpuE7ELNS1_3repE0EEENS1_59segmented_radix_sort_warp_sort_small_config_static_selectorELNS0_4arch9wavefront6targetE1EEEvSK_, .Lfunc_end623-_ZN7rocprim17ROCPRIM_400000_NS6detail17trampoline_kernelINS0_14default_configENS1_36segmented_radix_sort_config_selectorIilEEZNS1_25segmented_radix_sort_implIS3_Lb0EPKiPiPKlPlN2at6native12_GLOBAL__N_18offset_tEEE10hipError_tPvRmT1_PNSt15iterator_traitsISK_E10value_typeET2_T3_PNSL_ISQ_E10value_typeET4_jRbjT5_SW_jjP12ihipStream_tbEUlT_E1_NS1_11comp_targetILNS1_3genE3ELNS1_11target_archE908ELNS1_3gpuE7ELNS1_3repE0EEENS1_59segmented_radix_sort_warp_sort_small_config_static_selectorELNS0_4arch9wavefront6targetE1EEEvSK_
                                        ; -- End function
	.set _ZN7rocprim17ROCPRIM_400000_NS6detail17trampoline_kernelINS0_14default_configENS1_36segmented_radix_sort_config_selectorIilEEZNS1_25segmented_radix_sort_implIS3_Lb0EPKiPiPKlPlN2at6native12_GLOBAL__N_18offset_tEEE10hipError_tPvRmT1_PNSt15iterator_traitsISK_E10value_typeET2_T3_PNSL_ISQ_E10value_typeET4_jRbjT5_SW_jjP12ihipStream_tbEUlT_E1_NS1_11comp_targetILNS1_3genE3ELNS1_11target_archE908ELNS1_3gpuE7ELNS1_3repE0EEENS1_59segmented_radix_sort_warp_sort_small_config_static_selectorELNS0_4arch9wavefront6targetE1EEEvSK_.num_vgpr, 0
	.set _ZN7rocprim17ROCPRIM_400000_NS6detail17trampoline_kernelINS0_14default_configENS1_36segmented_radix_sort_config_selectorIilEEZNS1_25segmented_radix_sort_implIS3_Lb0EPKiPiPKlPlN2at6native12_GLOBAL__N_18offset_tEEE10hipError_tPvRmT1_PNSt15iterator_traitsISK_E10value_typeET2_T3_PNSL_ISQ_E10value_typeET4_jRbjT5_SW_jjP12ihipStream_tbEUlT_E1_NS1_11comp_targetILNS1_3genE3ELNS1_11target_archE908ELNS1_3gpuE7ELNS1_3repE0EEENS1_59segmented_radix_sort_warp_sort_small_config_static_selectorELNS0_4arch9wavefront6targetE1EEEvSK_.num_agpr, 0
	.set _ZN7rocprim17ROCPRIM_400000_NS6detail17trampoline_kernelINS0_14default_configENS1_36segmented_radix_sort_config_selectorIilEEZNS1_25segmented_radix_sort_implIS3_Lb0EPKiPiPKlPlN2at6native12_GLOBAL__N_18offset_tEEE10hipError_tPvRmT1_PNSt15iterator_traitsISK_E10value_typeET2_T3_PNSL_ISQ_E10value_typeET4_jRbjT5_SW_jjP12ihipStream_tbEUlT_E1_NS1_11comp_targetILNS1_3genE3ELNS1_11target_archE908ELNS1_3gpuE7ELNS1_3repE0EEENS1_59segmented_radix_sort_warp_sort_small_config_static_selectorELNS0_4arch9wavefront6targetE1EEEvSK_.numbered_sgpr, 0
	.set _ZN7rocprim17ROCPRIM_400000_NS6detail17trampoline_kernelINS0_14default_configENS1_36segmented_radix_sort_config_selectorIilEEZNS1_25segmented_radix_sort_implIS3_Lb0EPKiPiPKlPlN2at6native12_GLOBAL__N_18offset_tEEE10hipError_tPvRmT1_PNSt15iterator_traitsISK_E10value_typeET2_T3_PNSL_ISQ_E10value_typeET4_jRbjT5_SW_jjP12ihipStream_tbEUlT_E1_NS1_11comp_targetILNS1_3genE3ELNS1_11target_archE908ELNS1_3gpuE7ELNS1_3repE0EEENS1_59segmented_radix_sort_warp_sort_small_config_static_selectorELNS0_4arch9wavefront6targetE1EEEvSK_.num_named_barrier, 0
	.set _ZN7rocprim17ROCPRIM_400000_NS6detail17trampoline_kernelINS0_14default_configENS1_36segmented_radix_sort_config_selectorIilEEZNS1_25segmented_radix_sort_implIS3_Lb0EPKiPiPKlPlN2at6native12_GLOBAL__N_18offset_tEEE10hipError_tPvRmT1_PNSt15iterator_traitsISK_E10value_typeET2_T3_PNSL_ISQ_E10value_typeET4_jRbjT5_SW_jjP12ihipStream_tbEUlT_E1_NS1_11comp_targetILNS1_3genE3ELNS1_11target_archE908ELNS1_3gpuE7ELNS1_3repE0EEENS1_59segmented_radix_sort_warp_sort_small_config_static_selectorELNS0_4arch9wavefront6targetE1EEEvSK_.private_seg_size, 0
	.set _ZN7rocprim17ROCPRIM_400000_NS6detail17trampoline_kernelINS0_14default_configENS1_36segmented_radix_sort_config_selectorIilEEZNS1_25segmented_radix_sort_implIS3_Lb0EPKiPiPKlPlN2at6native12_GLOBAL__N_18offset_tEEE10hipError_tPvRmT1_PNSt15iterator_traitsISK_E10value_typeET2_T3_PNSL_ISQ_E10value_typeET4_jRbjT5_SW_jjP12ihipStream_tbEUlT_E1_NS1_11comp_targetILNS1_3genE3ELNS1_11target_archE908ELNS1_3gpuE7ELNS1_3repE0EEENS1_59segmented_radix_sort_warp_sort_small_config_static_selectorELNS0_4arch9wavefront6targetE1EEEvSK_.uses_vcc, 0
	.set _ZN7rocprim17ROCPRIM_400000_NS6detail17trampoline_kernelINS0_14default_configENS1_36segmented_radix_sort_config_selectorIilEEZNS1_25segmented_radix_sort_implIS3_Lb0EPKiPiPKlPlN2at6native12_GLOBAL__N_18offset_tEEE10hipError_tPvRmT1_PNSt15iterator_traitsISK_E10value_typeET2_T3_PNSL_ISQ_E10value_typeET4_jRbjT5_SW_jjP12ihipStream_tbEUlT_E1_NS1_11comp_targetILNS1_3genE3ELNS1_11target_archE908ELNS1_3gpuE7ELNS1_3repE0EEENS1_59segmented_radix_sort_warp_sort_small_config_static_selectorELNS0_4arch9wavefront6targetE1EEEvSK_.uses_flat_scratch, 0
	.set _ZN7rocprim17ROCPRIM_400000_NS6detail17trampoline_kernelINS0_14default_configENS1_36segmented_radix_sort_config_selectorIilEEZNS1_25segmented_radix_sort_implIS3_Lb0EPKiPiPKlPlN2at6native12_GLOBAL__N_18offset_tEEE10hipError_tPvRmT1_PNSt15iterator_traitsISK_E10value_typeET2_T3_PNSL_ISQ_E10value_typeET4_jRbjT5_SW_jjP12ihipStream_tbEUlT_E1_NS1_11comp_targetILNS1_3genE3ELNS1_11target_archE908ELNS1_3gpuE7ELNS1_3repE0EEENS1_59segmented_radix_sort_warp_sort_small_config_static_selectorELNS0_4arch9wavefront6targetE1EEEvSK_.has_dyn_sized_stack, 0
	.set _ZN7rocprim17ROCPRIM_400000_NS6detail17trampoline_kernelINS0_14default_configENS1_36segmented_radix_sort_config_selectorIilEEZNS1_25segmented_radix_sort_implIS3_Lb0EPKiPiPKlPlN2at6native12_GLOBAL__N_18offset_tEEE10hipError_tPvRmT1_PNSt15iterator_traitsISK_E10value_typeET2_T3_PNSL_ISQ_E10value_typeET4_jRbjT5_SW_jjP12ihipStream_tbEUlT_E1_NS1_11comp_targetILNS1_3genE3ELNS1_11target_archE908ELNS1_3gpuE7ELNS1_3repE0EEENS1_59segmented_radix_sort_warp_sort_small_config_static_selectorELNS0_4arch9wavefront6targetE1EEEvSK_.has_recursion, 0
	.set _ZN7rocprim17ROCPRIM_400000_NS6detail17trampoline_kernelINS0_14default_configENS1_36segmented_radix_sort_config_selectorIilEEZNS1_25segmented_radix_sort_implIS3_Lb0EPKiPiPKlPlN2at6native12_GLOBAL__N_18offset_tEEE10hipError_tPvRmT1_PNSt15iterator_traitsISK_E10value_typeET2_T3_PNSL_ISQ_E10value_typeET4_jRbjT5_SW_jjP12ihipStream_tbEUlT_E1_NS1_11comp_targetILNS1_3genE3ELNS1_11target_archE908ELNS1_3gpuE7ELNS1_3repE0EEENS1_59segmented_radix_sort_warp_sort_small_config_static_selectorELNS0_4arch9wavefront6targetE1EEEvSK_.has_indirect_call, 0
	.section	.AMDGPU.csdata,"",@progbits
; Kernel info:
; codeLenInByte = 0
; TotalNumSgprs: 4
; NumVgprs: 0
; ScratchSize: 0
; MemoryBound: 0
; FloatMode: 240
; IeeeMode: 1
; LDSByteSize: 0 bytes/workgroup (compile time only)
; SGPRBlocks: 0
; VGPRBlocks: 0
; NumSGPRsForWavesPerEU: 4
; NumVGPRsForWavesPerEU: 1
; Occupancy: 10
; WaveLimiterHint : 0
; COMPUTE_PGM_RSRC2:SCRATCH_EN: 0
; COMPUTE_PGM_RSRC2:USER_SGPR: 6
; COMPUTE_PGM_RSRC2:TRAP_HANDLER: 0
; COMPUTE_PGM_RSRC2:TGID_X_EN: 1
; COMPUTE_PGM_RSRC2:TGID_Y_EN: 0
; COMPUTE_PGM_RSRC2:TGID_Z_EN: 0
; COMPUTE_PGM_RSRC2:TIDIG_COMP_CNT: 0
	.text
	.p2align	2                               ; -- Begin function _ZN7rocprim17ROCPRIM_400000_NS6detail26segmented_warp_sort_helperINS1_20WarpSortHelperConfigILj8ELj4ELj256EEEilLi256ELb0EvE4sortIPKiPiPKlPlEEvT_T0_T1_T2_jjjjRNS5_12storage_typeE
	.type	_ZN7rocprim17ROCPRIM_400000_NS6detail26segmented_warp_sort_helperINS1_20WarpSortHelperConfigILj8ELj4ELj256EEEilLi256ELb0EvE4sortIPKiPiPKlPlEEvT_T0_T1_T2_jjjjRNS5_12storage_typeE,@function
_ZN7rocprim17ROCPRIM_400000_NS6detail26segmented_warp_sort_helperINS1_20WarpSortHelperConfigILj8ELj4ELj256EEEilLi256ELb0EvE4sortIPKiPiPKlPlEEvT_T0_T1_T2_jjjjRNS5_12storage_typeE: ; @_ZN7rocprim17ROCPRIM_400000_NS6detail26segmented_warp_sort_helperINS1_20WarpSortHelperConfigILj8ELj4ELj256EEEilLi256ELb0EvE4sortIPKiPiPKlPlEEvT_T0_T1_T2_jjjjRNS5_12storage_typeE
; %bb.0:
	s_waitcnt vmcnt(0) expcnt(0) lgkmcnt(0)
	v_mov_b32_e32 v13, v9
	v_mov_b32_e32 v9, 0
	v_mbcnt_lo_u32_b32 v14, -1, 0
	v_lshlrev_b64 v[29:30], 2, v[8:9]
	v_mbcnt_hi_u32_b32 v14, -1, v14
	v_lshlrev_b32_e32 v36, 2, v14
	v_add_co_u32_e32 v0, vcc, v0, v29
	v_and_b32_e32 v37, 28, v36
	v_addc_co_u32_e32 v1, vcc, v1, v30, vcc
	v_lshlrev_b32_e32 v34, 2, v37
	v_add_co_u32_e32 v0, vcc, v0, v34
	v_sub_u32_e32 v13, v13, v8
	v_addc_co_u32_e32 v1, vcc, 0, v1, vcc
	v_cmp_lt_u32_e64 s[4:5], v37, v13
	v_bfrev_b32_e32 v38, -2
	v_bfrev_b32_e32 v48, -2
	s_and_saveexec_b64 s[6:7], s[4:5]
	s_cbranch_execz .LBB624_2
; %bb.1:
	flat_load_dword v48, v[0:1]
.LBB624_2:
	s_or_b64 exec, exec, s[6:7]
	v_or_b32_e32 v14, 1, v37
	v_cmp_lt_u32_e64 s[6:7], v14, v13
	s_and_saveexec_b64 s[10:11], s[6:7]
	s_cbranch_execz .LBB624_4
; %bb.3:
	flat_load_dword v38, v[0:1] offset:4
.LBB624_4:
	s_or_b64 exec, exec, s[10:11]
	v_or_b32_e32 v14, 2, v37
	v_cmp_lt_u32_e64 s[16:17], v14, v13
	v_bfrev_b32_e32 v39, -2
	v_bfrev_b32_e32 v23, -2
	s_and_saveexec_b64 s[10:11], s[16:17]
	s_cbranch_execz .LBB624_6
; %bb.5:
	flat_load_dword v23, v[0:1] offset:8
.LBB624_6:
	s_or_b64 exec, exec, s[10:11]
	v_or_b32_e32 v14, 3, v37
	v_cmp_lt_u32_e64 s[10:11], v14, v13
	s_and_saveexec_b64 s[14:15], s[10:11]
	s_cbranch_execz .LBB624_8
; %bb.7:
	flat_load_dword v39, v[0:1] offset:12
.LBB624_8:
	s_or_b64 exec, exec, s[14:15]
	v_lshlrev_b64 v[0:1], 3, v[8:9]
	v_lshlrev_b32_e32 v35, 3, v37
	v_add_co_u32_e32 v13, vcc, v4, v0
	v_addc_co_u32_e32 v14, vcc, v5, v1, vcc
	v_mov_b32_e32 v8, 0
	v_mov_b32_e32 v4, 0
	v_add_co_u32_e32 v15, vcc, v13, v35
	v_mov_b32_e32 v9, 0
	v_mov_b32_e32 v5, 0
	v_addc_co_u32_e32 v16, vcc, 0, v14, vcc
	; wave barrier
	s_and_saveexec_b64 s[14:15], s[4:5]
	s_cbranch_execz .LBB624_10
; %bb.9:
	flat_load_dwordx2 v[4:5], v[15:16]
.LBB624_10:
	s_or_b64 exec, exec, s[14:15]
	s_mov_b32 s18, 0
	v_mov_b32_e32 v17, s18
	v_mov_b32_e32 v18, s18
	;; [unrolled: 1-line block ×6, first 2 shown]
	s_and_saveexec_b64 s[14:15], s[6:7]
	s_cbranch_execz .LBB624_12
; %bb.11:
	flat_load_dwordx2 v[17:18], v[15:16] offset:8
	v_mov_b32_e32 v21, s18
	v_mov_b32_e32 v22, s18
	;; [unrolled: 1-line block ×4, first 2 shown]
	s_waitcnt vmcnt(0) lgkmcnt(0)
	v_mov_b32_e32 v8, v17
	v_mov_b32_e32 v9, v18
.LBB624_12:
	s_or_b64 exec, exec, s[14:15]
	v_mov_b32_e32 v19, 0
	v_mov_b32_e32 v13, 0
	;; [unrolled: 1-line block ×4, first 2 shown]
	s_and_saveexec_b64 s[14:15], s[16:17]
	s_cbranch_execz .LBB624_14
; %bb.13:
	flat_load_dwordx2 v[21:22], v[15:16] offset:16
	v_mov_b32_e32 v32, s18
	v_mov_b32_e32 v33, s18
	s_waitcnt vmcnt(0) lgkmcnt(0)
	v_mov_b32_e32 v13, v21
	v_mov_b32_e32 v14, v22
.LBB624_14:
	s_or_b64 exec, exec, s[14:15]
	s_and_saveexec_b64 s[14:15], s[10:11]
	s_cbranch_execz .LBB624_16
; %bb.15:
	flat_load_dwordx2 v[32:33], v[15:16] offset:24
	s_waitcnt vmcnt(0) lgkmcnt(0)
	v_mov_b32_e32 v19, v32
	v_mov_b32_e32 v20, v33
.LBB624_16:
	s_or_b64 exec, exec, s[14:15]
	v_cmp_ne_u32_e32 vcc, 0, v10
	v_cmp_ne_u32_e64 s[14:15], 32, v11
	s_or_b64 s[14:15], vcc, s[14:15]
	v_bfe_u32 v15, v31, 10, 10
	v_bfe_u32 v16, v31, 20, 10
	; wave barrier
	s_and_saveexec_b64 s[18:19], s[14:15]
	s_xor_b64 s[26:27], exec, s[18:19]
	s_cbranch_execz .LBB624_60
; %bb.17:
	s_load_dwordx2 s[14:15], s[8:9], 0x0
	v_mov_b32_e32 v24, 0
	v_lshlrev_b32_e64 v11, v11, -1
	v_lshlrev_b32_e64 v10, v10, -1
	v_xor_b32_e32 v10, v11, v10
	s_waitcnt lgkmcnt(0)
	s_cmp_lt_u32 s13, s15
	s_cselect_b32 s15, 14, 20
	s_add_u32 s18, s8, s15
	s_addc_u32 s19, s9, 0
	s_cmp_lt_u32 s12, s14
	s_cselect_b32 s14, 12, 18
	s_add_u32 s14, s8, s14
	s_addc_u32 s15, s9, 0
	global_load_ushort v25, v24, s[18:19]
	global_load_ushort v26, v24, s[14:15]
	s_movk_i32 s14, 0x400
	s_waitcnt vmcnt(0)
	v_mad_u32_u24 v15, v16, v25, v15
	v_mul_lo_u32 v15, v15, v26
	v_and_b32_e32 v16, 0x3ff, v31
	v_add_lshl_u32 v11, v15, v16, 2
	v_cmp_gt_u32_e32 vcc, s14, v11
	s_and_saveexec_b64 s[18:19], vcc
	s_cbranch_execz .LBB624_29
; %bb.18:
	v_and_b32_e32 v8, v38, v10
	v_and_b32_e32 v9, v48, v10
	v_cmp_gt_u32_e32 vcc, v9, v8
	v_cndmask_b32_e32 v16, v18, v5, vcc
	v_cndmask_b32_e32 v15, v17, v4, vcc
	;; [unrolled: 1-line block ×4, first 2 shown]
	v_and_b32_e32 v5, v39, v10
	v_and_b32_e32 v4, v23, v10
	v_mov_b32_e32 v17, v21
	v_cmp_gt_u32_e64 s[14:15], v4, v5
	v_mov_b32_e32 v31, v23
	v_mov_b32_e32 v18, v22
	s_and_saveexec_b64 s[20:21], s[14:15]
; %bb.19:
	v_mov_b32_e32 v17, v32
	v_mov_b32_e32 v18, v33
	;; [unrolled: 1-line block ×7, first 2 shown]
; %bb.20:
	s_or_b64 exec, exec, s[20:21]
	v_cndmask_b32_e32 v5, v38, v48, vcc
	v_mov_b32_e32 v19, v32
	v_and_b32_e32 v8, v5, v10
	v_mov_b32_e32 v28, v20
	v_cmp_le_u32_e64 s[14:15], v8, v4
	v_mov_b32_e32 v22, v14
	v_mov_b32_e32 v21, v13
                                        ; implicit-def: $vgpr49
	v_mov_b32_e32 v27, v19
	v_mov_b32_e32 v26, v18
	;; [unrolled: 1-line block ×5, first 2 shown]
	s_and_saveexec_b64 s[20:21], s[14:15]
	s_xor_b64 s[14:15], exec, s[20:21]
; %bb.21:
	v_and_b32_e32 v49, v31, v10
                                        ; implicit-def: $vgpr21_vgpr22_vgpr23_vgpr24_vgpr25_vgpr26_vgpr27_vgpr28
                                        ; implicit-def: $vgpr4
; %bb.22:
	s_or_saveexec_b64 s[14:15], s[14:15]
	v_mov_b32_e32 v20, v33
	v_mov_b32_e32 v24, v5
	s_xor_b64 exec, exec, s[14:15]
	s_cbranch_execz .LBB624_24
; %bb.23:
	v_mov_b32_e32 v23, v17
	v_mov_b32_e32 v24, v18
	;; [unrolled: 1-line block ×18, first 2 shown]
.LBB624_24:
	s_or_b64 exec, exec, s[14:15]
	v_cndmask_b32_e32 v21, v48, v38, vcc
	v_and_b32_e32 v4, v21, v10
	v_cmp_gt_u32_e32 vcc, v4, v8
	v_cndmask_b32_e32 v8, v15, v13, vcc
	v_cndmask_b32_e32 v4, v13, v15, vcc
	v_and_b32_e32 v13, v39, v10
	v_cndmask_b32_e32 v9, v16, v14, vcc
	v_cndmask_b32_e32 v5, v14, v16, vcc
	v_cmp_gt_u32_e64 s[14:15], v49, v13
	v_mov_b32_e32 v15, v31
	s_and_saveexec_b64 s[20:21], s[14:15]
; %bb.25:
	v_mov_b32_e32 v23, v18
	v_mov_b32_e32 v22, v17
	;; [unrolled: 1-line block ×9, first 2 shown]
; %bb.26:
	s_or_b64 exec, exec, s[20:21]
	v_cndmask_b32_e32 v38, v24, v21, vcc
	v_and_b32_e32 v13, v38, v10
	v_cmp_gt_u32_e64 s[14:15], v13, v49
	v_mov_b32_e32 v13, v17
	v_mov_b32_e32 v14, v18
	;; [unrolled: 1-line block ×3, first 2 shown]
	s_and_saveexec_b64 s[20:21], s[14:15]
; %bb.27:
	v_mov_b32_e32 v14, v9
	v_mov_b32_e32 v13, v8
	;; [unrolled: 1-line block ×6, first 2 shown]
; %bb.28:
	s_or_b64 exec, exec, s[20:21]
	v_cndmask_b32_e32 v48, v21, v24, vcc
.LBB624_29:
	s_or_b64 exec, exec, s[18:19]
	v_and_b32_e32 v17, 0xffffff00, v11
	s_movk_i32 s14, 0x400
	v_mov_b32_e32 v18, 0
	v_sub_u32_e64 v16, s14, v17 clamp
	v_lshlrev_b64 v[21:22], 2, v[17:18]
	v_lshlrev_b64 v[17:18], 3, v[17:18]
	v_or_b32_e32 v18, 4, v36
	v_min_u32_e32 v27, v16, v18
	v_add_u32_e32 v18, 4, v27
	v_and_b32_e32 v31, 0x1f8, v36
	v_min_u32_e32 v28, v16, v18
	v_and_b32_e32 v18, 4, v36
	v_add_co_u32_e32 v15, vcc, v12, v21
	v_add_co_u32_e32 v11, vcc, v12, v17
	v_min_u32_e32 v33, v16, v18
	v_sub_u32_e32 v18, v27, v31
	v_sub_u32_e32 v21, v28, v27
	v_add_co_u32_e32 v11, vcc, 0x1000, v11
	v_sub_u32_e64 v49, v33, v21 clamp
	v_min_u32_e32 v18, v33, v18
	v_lshl_add_u32 v12, v36, 2, v15
	v_lshl_add_u32 v17, v36, 3, v11
	v_cmp_lt_u32_e32 vcc, v49, v18
	ds_write2_b32 v12, v48, v38 offset1:1
	ds_write2_b64 v17, v[4:5], v[8:9] offset1:1
	ds_write2_b32 v12, v23, v39 offset0:2 offset1:3
	ds_write2_b64 v17, v[13:14], v[19:20] offset0:2 offset1:3
	; wave barrier
	s_and_saveexec_b64 s[14:15], vcc
	s_cbranch_execz .LBB624_33
; %bb.30:
	v_lshlrev_b32_e32 v21, 2, v31
	v_lshlrev_b32_e32 v22, 2, v27
	v_add_co_u32_e32 v21, vcc, v15, v21
	v_add_co_u32_e32 v22, vcc, v15, v22
	s_mov_b64 s[18:19], 0
.LBB624_31:                             ; =>This Inner Loop Header: Depth=1
	v_add_u32_e32 v24, v18, v49
	v_lshrrev_b32_e32 v24, 1, v24
	v_xad_u32 v25, v24, -1, v33
	v_lshl_add_u32 v26, v24, 2, v21
	v_lshl_add_u32 v25, v25, 2, v22
	ds_read_b32 v26, v26
	ds_read_b32 v25, v25
	v_add_u32_e32 v32, 1, v24
	s_waitcnt lgkmcnt(1)
	v_and_b32_e32 v26, v26, v10
	s_waitcnt lgkmcnt(0)
	v_and_b32_e32 v25, v25, v10
	v_cmp_gt_u32_e32 vcc, v26, v25
	v_cndmask_b32_e32 v18, v18, v24, vcc
	v_cndmask_b32_e32 v49, v32, v49, vcc
	v_cmp_ge_u32_e32 vcc, v49, v18
	s_or_b64 s[18:19], vcc, s[18:19]
	s_andn2_b64 exec, exec, s[18:19]
	s_cbranch_execnz .LBB624_31
; %bb.32:
	s_or_b64 exec, exec, s[18:19]
.LBB624_33:
	s_or_b64 exec, exec, s[14:15]
	v_add_u32_e32 v32, v49, v31
	v_add_u32_e32 v31, v27, v33
	v_sub_u32_e32 v33, v31, v49
	v_cmp_le_u32_e32 vcc, v32, v27
	v_cmp_le_u32_e64 s[14:15], v33, v28
	v_add_u32_e32 v18, 4, v12
	v_add_u32_e32 v21, 8, v17
	;; [unrolled: 1-line block ×6, first 2 shown]
	s_or_b64 s[14:15], vcc, s[14:15]
	s_and_saveexec_b64 s[28:29], s[14:15]
	s_cbranch_execz .LBB624_39
; %bb.34:
	v_cmp_lt_u32_e32 vcc, v32, v27
                                        ; implicit-def: $vgpr23
	s_and_saveexec_b64 s[14:15], vcc
; %bb.35:
	v_lshl_add_u32 v4, v32, 2, v15
	ds_read_b32 v23, v4
; %bb.36:
	s_or_b64 exec, exec, s[14:15]
	v_cmp_ge_u32_e64 s[14:15], v33, v28
	v_cmp_lt_u32_e64 s[18:19], v33, v28
                                        ; implicit-def: $vgpr31
	s_and_saveexec_b64 s[20:21], s[18:19]
; %bb.37:
	v_lshl_add_u32 v4, v33, 2, v15
	ds_read_b32 v31, v4
; %bb.38:
	s_or_b64 exec, exec, s[20:21]
	s_waitcnt lgkmcnt(0)
	v_and_b32_e32 v4, v31, v10
	v_and_b32_e32 v5, v23, v10
	v_cmp_le_u32_e64 s[18:19], v5, v4
	s_and_b64 s[18:19], vcc, s[18:19]
	s_or_b64 vcc, s[14:15], s[18:19]
	v_cndmask_b32_e32 v4, v33, v32, vcc
	v_cndmask_b32_e32 v5, v28, v27, vcc
	v_add_u32_e32 v8, 1, v4
	v_add_u32_e32 v5, -1, v5
	v_min_u32_e32 v5, v8, v5
	v_lshl_add_u32 v5, v5, 2, v15
	ds_read_b32 v5, v5
	v_cndmask_b32_e32 v9, v8, v33, vcc
	v_cndmask_b32_e32 v8, v32, v8, vcc
	v_cmp_lt_u32_e64 s[18:19], v8, v27
	v_cmp_ge_u32_e64 s[14:15], v9, v28
	s_waitcnt lgkmcnt(0)
	v_cndmask_b32_e32 v38, v5, v31, vcc
	v_cndmask_b32_e32 v39, v23, v5, vcc
	v_and_b32_e32 v5, v38, v10
	v_and_b32_e32 v13, v39, v10
	v_cmp_le_u32_e64 s[20:21], v13, v5
	s_and_b64 s[18:19], s[18:19], s[20:21]
	s_or_b64 s[14:15], s[14:15], s[18:19]
	v_cndmask_b32_e64 v13, v9, v8, s[14:15]
	v_cndmask_b32_e64 v5, v28, v27, s[14:15]
	v_add_u32_e32 v14, 1, v13
	v_add_u32_e32 v5, -1, v5
	v_min_u32_e32 v5, v14, v5
	v_lshl_add_u32 v5, v5, 2, v15
	ds_read_b32 v19, v5
	v_cndmask_b32_e64 v20, v8, v14, s[14:15]
	v_cmp_lt_u32_e64 s[20:21], v20, v27
	v_lshl_add_u32 v4, v4, 3, v11
	ds_read_b64 v[4:5], v4
	s_waitcnt lgkmcnt(1)
	v_cndmask_b32_e64 v32, v19, v38, s[14:15]
	v_cndmask_b32_e64 v33, v39, v19, s[14:15]
	;; [unrolled: 1-line block ×3, first 2 shown]
	v_and_b32_e32 v8, v32, v10
	v_and_b32_e32 v9, v33, v10
	v_cmp_le_u32_e64 s[22:23], v9, v8
	v_cmp_ge_u32_e64 s[18:19], v19, v28
	s_and_b64 s[20:21], s[20:21], s[22:23]
	s_or_b64 s[18:19], s[18:19], s[20:21]
	v_cndmask_b32_e64 v14, v19, v20, s[18:19]
	v_cndmask_b32_e64 v8, v28, v27, s[18:19]
	v_add_u32_e32 v48, 1, v14
	v_add_u32_e32 v8, -1, v8
	v_min_u32_e32 v8, v48, v8
	v_lshl_add_u32 v8, v8, 2, v15
	ds_read_b32 v49, v8
	v_cndmask_b32_e64 v19, v48, v19, s[18:19]
	v_cndmask_b32_e64 v20, v20, v48, s[18:19]
	v_cmp_ge_u32_e64 s[20:21], v19, v28
	v_cmp_lt_u32_e64 s[22:23], v20, v27
	s_waitcnt lgkmcnt(0)
	v_cndmask_b32_e64 v50, v49, v32, s[18:19]
	v_cndmask_b32_e64 v49, v33, v49, s[18:19]
	v_and_b32_e32 v27, v50, v10
	v_and_b32_e32 v28, v49, v10
	v_cmp_le_u32_e64 s[24:25], v28, v27
	s_and_b64 s[22:23], s[22:23], s[24:25]
	s_or_b64 s[20:21], s[20:21], s[22:23]
	v_cndmask_b32_e64 v19, v19, v20, s[20:21]
	v_lshl_add_u32 v8, v13, 3, v11
	v_lshl_add_u32 v13, v14, 3, v11
	;; [unrolled: 1-line block ×3, first 2 shown]
	ds_read_b64 v[8:9], v8
	ds_read_b64 v[13:14], v13
	;; [unrolled: 1-line block ×3, first 2 shown]
	v_cndmask_b32_e32 v48, v31, v23, vcc
	v_cndmask_b32_e64 v38, v38, v39, s[14:15]
	v_cndmask_b32_e64 v23, v32, v33, s[18:19]
	;; [unrolled: 1-line block ×3, first 2 shown]
.LBB624_39:
	s_or_b64 exec, exec, s[28:29]
	v_and_b32_e32 v31, 0x1f0, v36
	v_or_b32_e32 v27, 8, v31
	v_min_u32_e32 v27, v16, v27
	v_add_u32_e32 v28, 8, v27
	v_min_u32_e32 v28, v16, v28
	v_and_b32_e32 v32, 12, v36
	v_min_u32_e32 v33, v16, v32
	v_sub_u32_e32 v32, v27, v31
	v_sub_u32_e32 v49, v28, v27
	v_sub_u32_e64 v49, v33, v49 clamp
	v_min_u32_e32 v32, v33, v32
	v_cmp_lt_u32_e32 vcc, v49, v32
	; wave barrier
	ds_write_b32 v12, v48
	ds_write_b64 v17, v[4:5]
	ds_write_b32 v18, v38
	s_waitcnt lgkmcnt(5)
	ds_write_b64 v21, v[8:9]
	ds_write_b32 v22, v23
	s_waitcnt lgkmcnt(6)
	;; [unrolled: 3-line block ×3, first 2 shown]
	ds_write_b64 v26, v[19:20]
	; wave barrier
	s_and_saveexec_b64 s[14:15], vcc
	s_cbranch_execz .LBB624_43
; %bb.40:
	v_lshlrev_b32_e32 v50, 2, v31
	v_lshlrev_b32_e32 v51, 2, v27
	v_add_co_u32_e32 v50, vcc, v15, v50
	v_add_co_u32_e32 v51, vcc, v15, v51
	s_mov_b64 s[18:19], 0
.LBB624_41:                             ; =>This Inner Loop Header: Depth=1
	v_add_u32_e32 v52, v32, v49
	v_lshrrev_b32_e32 v52, 1, v52
	v_xad_u32 v53, v52, -1, v33
	v_lshl_add_u32 v54, v52, 2, v50
	v_lshl_add_u32 v53, v53, 2, v51
	ds_read_b32 v54, v54
	ds_read_b32 v53, v53
	v_add_u32_e32 v55, 1, v52
	s_waitcnt lgkmcnt(1)
	v_and_b32_e32 v54, v54, v10
	s_waitcnt lgkmcnt(0)
	v_and_b32_e32 v53, v53, v10
	v_cmp_gt_u32_e32 vcc, v54, v53
	v_cndmask_b32_e32 v32, v32, v52, vcc
	v_cndmask_b32_e32 v49, v55, v49, vcc
	v_cmp_ge_u32_e32 vcc, v49, v32
	s_or_b64 s[18:19], vcc, s[18:19]
	s_andn2_b64 exec, exec, s[18:19]
	s_cbranch_execnz .LBB624_41
; %bb.42:
	s_or_b64 exec, exec, s[18:19]
.LBB624_43:
	s_or_b64 exec, exec, s[14:15]
	v_add_u32_e32 v32, v49, v31
	v_add_u32_e32 v31, v27, v33
	v_sub_u32_e32 v33, v31, v49
	v_cmp_le_u32_e32 vcc, v32, v27
	v_cmp_le_u32_e64 s[14:15], v33, v28
	s_or_b64 s[14:15], vcc, s[14:15]
	s_and_saveexec_b64 s[28:29], s[14:15]
	s_cbranch_execz .LBB624_49
; %bb.44:
	v_cmp_lt_u32_e32 vcc, v32, v27
                                        ; implicit-def: $vgpr23
	s_and_saveexec_b64 s[14:15], vcc
; %bb.45:
	v_lshl_add_u32 v4, v32, 2, v15
	ds_read_b32 v23, v4
; %bb.46:
	s_or_b64 exec, exec, s[14:15]
	v_cmp_ge_u32_e64 s[14:15], v33, v28
	v_cmp_lt_u32_e64 s[18:19], v33, v28
                                        ; implicit-def: $vgpr31
	s_and_saveexec_b64 s[20:21], s[18:19]
; %bb.47:
	v_lshl_add_u32 v4, v33, 2, v15
	ds_read_b32 v31, v4
; %bb.48:
	s_or_b64 exec, exec, s[20:21]
	s_waitcnt lgkmcnt(0)
	v_and_b32_e32 v4, v31, v10
	v_and_b32_e32 v5, v23, v10
	v_cmp_le_u32_e64 s[18:19], v5, v4
	s_and_b64 s[18:19], vcc, s[18:19]
	s_or_b64 vcc, s[14:15], s[18:19]
	v_cndmask_b32_e32 v4, v33, v32, vcc
	v_cndmask_b32_e32 v5, v28, v27, vcc
	v_add_u32_e32 v8, 1, v4
	v_add_u32_e32 v5, -1, v5
	v_min_u32_e32 v5, v8, v5
	v_lshl_add_u32 v5, v5, 2, v15
	ds_read_b32 v5, v5
	v_cndmask_b32_e32 v9, v8, v33, vcc
	v_cndmask_b32_e32 v8, v32, v8, vcc
	v_cmp_lt_u32_e64 s[18:19], v8, v27
	v_cmp_ge_u32_e64 s[14:15], v9, v28
	s_waitcnt lgkmcnt(0)
	v_cndmask_b32_e32 v38, v5, v31, vcc
	v_cndmask_b32_e32 v39, v23, v5, vcc
	v_and_b32_e32 v5, v38, v10
	v_and_b32_e32 v13, v39, v10
	v_cmp_le_u32_e64 s[20:21], v13, v5
	s_and_b64 s[18:19], s[18:19], s[20:21]
	s_or_b64 s[14:15], s[14:15], s[18:19]
	v_cndmask_b32_e64 v13, v9, v8, s[14:15]
	v_cndmask_b32_e64 v5, v28, v27, s[14:15]
	v_add_u32_e32 v14, 1, v13
	v_add_u32_e32 v5, -1, v5
	v_min_u32_e32 v5, v14, v5
	v_lshl_add_u32 v5, v5, 2, v15
	ds_read_b32 v19, v5
	v_cndmask_b32_e64 v20, v8, v14, s[14:15]
	v_cmp_lt_u32_e64 s[20:21], v20, v27
	v_lshl_add_u32 v4, v4, 3, v11
	ds_read_b64 v[4:5], v4
	s_waitcnt lgkmcnt(1)
	v_cndmask_b32_e64 v32, v19, v38, s[14:15]
	v_cndmask_b32_e64 v33, v39, v19, s[14:15]
	;; [unrolled: 1-line block ×3, first 2 shown]
	v_and_b32_e32 v8, v32, v10
	v_and_b32_e32 v9, v33, v10
	v_cmp_le_u32_e64 s[22:23], v9, v8
	v_cmp_ge_u32_e64 s[18:19], v19, v28
	s_and_b64 s[20:21], s[20:21], s[22:23]
	s_or_b64 s[18:19], s[18:19], s[20:21]
	v_cndmask_b32_e64 v14, v19, v20, s[18:19]
	v_cndmask_b32_e64 v8, v28, v27, s[18:19]
	v_add_u32_e32 v48, 1, v14
	v_add_u32_e32 v8, -1, v8
	v_min_u32_e32 v8, v48, v8
	v_lshl_add_u32 v8, v8, 2, v15
	ds_read_b32 v49, v8
	v_cndmask_b32_e64 v19, v48, v19, s[18:19]
	v_cndmask_b32_e64 v20, v20, v48, s[18:19]
	v_cmp_ge_u32_e64 s[20:21], v19, v28
	v_cmp_lt_u32_e64 s[22:23], v20, v27
	s_waitcnt lgkmcnt(0)
	v_cndmask_b32_e64 v50, v49, v32, s[18:19]
	v_cndmask_b32_e64 v49, v33, v49, s[18:19]
	v_and_b32_e32 v27, v50, v10
	v_and_b32_e32 v28, v49, v10
	v_cmp_le_u32_e64 s[24:25], v28, v27
	s_and_b64 s[22:23], s[22:23], s[24:25]
	s_or_b64 s[20:21], s[20:21], s[22:23]
	v_cndmask_b32_e64 v19, v19, v20, s[20:21]
	v_lshl_add_u32 v8, v13, 3, v11
	v_lshl_add_u32 v13, v14, 3, v11
	;; [unrolled: 1-line block ×3, first 2 shown]
	ds_read_b64 v[8:9], v8
	ds_read_b64 v[13:14], v13
	;; [unrolled: 1-line block ×3, first 2 shown]
	v_cndmask_b32_e32 v48, v31, v23, vcc
	v_cndmask_b32_e64 v38, v38, v39, s[14:15]
	v_cndmask_b32_e64 v23, v32, v33, s[18:19]
	v_cndmask_b32_e64 v39, v50, v49, s[20:21]
.LBB624_49:
	s_or_b64 exec, exec, s[28:29]
	; wave barrier
	ds_write_b32 v12, v48
	ds_write_b64 v17, v[4:5]
	ds_write_b32 v18, v38
	s_waitcnt lgkmcnt(5)
	ds_write_b64 v21, v[8:9]
	ds_write_b32 v22, v23
	s_waitcnt lgkmcnt(6)
	;; [unrolled: 3-line block ×3, first 2 shown]
	ds_write_b64 v26, v[19:20]
	v_and_b32_e32 v18, 0x1e0, v36
	v_or_b32_e32 v12, 16, v18
	v_min_u32_e32 v12, v16, v12
	v_add_u32_e32 v17, 16, v12
	v_min_u32_e32 v17, v16, v17
	v_min_u32_e32 v16, v16, v37
	v_sub_u32_e32 v21, v12, v18
	v_sub_u32_e32 v22, v17, v12
	v_sub_u32_e64 v22, v16, v22 clamp
	v_min_u32_e32 v21, v16, v21
	v_cmp_lt_u32_e32 vcc, v22, v21
	; wave barrier
	s_and_saveexec_b64 s[14:15], vcc
	s_cbranch_execz .LBB624_53
; %bb.50:
	v_lshlrev_b32_e32 v24, 2, v18
	v_lshlrev_b32_e32 v25, 2, v12
	v_add_co_u32_e32 v24, vcc, v15, v24
	v_add_co_u32_e32 v25, vcc, v15, v25
	s_mov_b64 s[18:19], 0
.LBB624_51:                             ; =>This Inner Loop Header: Depth=1
	v_add_u32_e32 v26, v21, v22
	v_lshrrev_b32_e32 v26, 1, v26
	v_xad_u32 v27, v26, -1, v16
	v_lshl_add_u32 v28, v26, 2, v24
	v_lshl_add_u32 v27, v27, 2, v25
	ds_read_b32 v28, v28
	ds_read_b32 v27, v27
	v_add_u32_e32 v31, 1, v26
	s_waitcnt lgkmcnt(1)
	v_and_b32_e32 v28, v28, v10
	s_waitcnt lgkmcnt(0)
	v_and_b32_e32 v27, v27, v10
	v_cmp_gt_u32_e32 vcc, v28, v27
	v_cndmask_b32_e32 v21, v21, v26, vcc
	v_cndmask_b32_e32 v22, v31, v22, vcc
	v_cmp_ge_u32_e32 vcc, v22, v21
	s_or_b64 s[18:19], vcc, s[18:19]
	s_andn2_b64 exec, exec, s[18:19]
	s_cbranch_execnz .LBB624_51
; %bb.52:
	s_or_b64 exec, exec, s[18:19]
.LBB624_53:
	s_or_b64 exec, exec, s[14:15]
	v_add_u32_e32 v16, v12, v16
	v_add_u32_e32 v21, v22, v18
	v_sub_u32_e32 v22, v16, v22
	v_cmp_le_u32_e32 vcc, v21, v12
	v_cmp_le_u32_e64 s[14:15], v22, v17
	s_or_b64 s[14:15], vcc, s[14:15]
	s_and_saveexec_b64 s[28:29], s[14:15]
	s_cbranch_execz .LBB624_59
; %bb.54:
	v_cmp_lt_u32_e32 vcc, v21, v12
                                        ; implicit-def: $vgpr16
	s_and_saveexec_b64 s[14:15], vcc
; %bb.55:
	v_lshl_add_u32 v4, v21, 2, v15
	ds_read_b32 v16, v4
; %bb.56:
	s_or_b64 exec, exec, s[14:15]
	v_cmp_ge_u32_e64 s[14:15], v22, v17
	v_cmp_lt_u32_e64 s[18:19], v22, v17
                                        ; implicit-def: $vgpr18
	s_and_saveexec_b64 s[20:21], s[18:19]
; %bb.57:
	v_lshl_add_u32 v4, v22, 2, v15
	ds_read_b32 v18, v4
; %bb.58:
	s_or_b64 exec, exec, s[20:21]
	s_waitcnt lgkmcnt(0)
	v_and_b32_e32 v4, v18, v10
	v_and_b32_e32 v5, v16, v10
	v_cmp_le_u32_e64 s[18:19], v5, v4
	s_and_b64 s[18:19], vcc, s[18:19]
	s_or_b64 vcc, s[14:15], s[18:19]
	v_cndmask_b32_e32 v4, v22, v21, vcc
	v_cndmask_b32_e32 v5, v17, v12, vcc
	v_add_u32_e32 v8, 1, v4
	v_add_u32_e32 v5, -1, v5
	v_min_u32_e32 v5, v8, v5
	v_lshl_add_u32 v5, v5, 2, v15
	ds_read_b32 v5, v5
	v_cndmask_b32_e32 v9, v8, v22, vcc
	v_cndmask_b32_e32 v8, v21, v8, vcc
	v_cmp_lt_u32_e64 s[18:19], v8, v12
	v_cmp_ge_u32_e64 s[14:15], v9, v17
	s_waitcnt lgkmcnt(0)
	v_cndmask_b32_e32 v23, v5, v18, vcc
	v_cndmask_b32_e32 v24, v16, v5, vcc
	v_and_b32_e32 v5, v23, v10
	v_and_b32_e32 v13, v24, v10
	v_cmp_le_u32_e64 s[20:21], v13, v5
	s_and_b64 s[18:19], s[18:19], s[20:21]
	s_or_b64 s[14:15], s[14:15], s[18:19]
	v_cndmask_b32_e64 v13, v9, v8, s[14:15]
	v_cndmask_b32_e64 v5, v17, v12, s[14:15]
	v_add_u32_e32 v14, 1, v13
	v_add_u32_e32 v5, -1, v5
	v_min_u32_e32 v5, v14, v5
	v_lshl_add_u32 v5, v5, 2, v15
	ds_read_b32 v19, v5
	v_cndmask_b32_e64 v20, v8, v14, s[14:15]
	v_cmp_lt_u32_e64 s[20:21], v20, v12
	v_lshl_add_u32 v4, v4, 3, v11
	ds_read_b64 v[4:5], v4
	s_waitcnt lgkmcnt(1)
	v_cndmask_b32_e64 v21, v19, v23, s[14:15]
	v_cndmask_b32_e64 v22, v24, v19, s[14:15]
	;; [unrolled: 1-line block ×3, first 2 shown]
	v_and_b32_e32 v8, v21, v10
	v_and_b32_e32 v9, v22, v10
	v_cmp_le_u32_e64 s[22:23], v9, v8
	v_cmp_ge_u32_e64 s[18:19], v19, v17
	s_and_b64 s[20:21], s[20:21], s[22:23]
	s_or_b64 s[18:19], s[18:19], s[20:21]
	v_cndmask_b32_e64 v14, v19, v20, s[18:19]
	v_cndmask_b32_e64 v8, v17, v12, s[18:19]
	v_add_u32_e32 v25, 1, v14
	v_add_u32_e32 v8, -1, v8
	v_min_u32_e32 v8, v25, v8
	v_lshl_add_u32 v8, v8, 2, v15
	ds_read_b32 v15, v8
	v_cndmask_b32_e64 v20, v20, v25, s[18:19]
	v_cmp_lt_u32_e64 s[22:23], v20, v12
	v_cndmask_b32_e64 v19, v25, v19, s[18:19]
	v_cmp_ge_u32_e64 s[20:21], v19, v17
	s_waitcnt lgkmcnt(0)
	v_cndmask_b32_e64 v26, v15, v21, s[18:19]
	v_cndmask_b32_e64 v15, v22, v15, s[18:19]
	v_and_b32_e32 v12, v26, v10
	v_and_b32_e32 v10, v15, v10
	v_cmp_le_u32_e64 s[24:25], v10, v12
	s_and_b64 s[22:23], s[22:23], s[24:25]
	s_or_b64 s[20:21], s[20:21], s[22:23]
	v_cndmask_b32_e64 v10, v19, v20, s[20:21]
	v_lshl_add_u32 v8, v13, 3, v11
	v_lshl_add_u32 v13, v14, 3, v11
	;; [unrolled: 1-line block ×3, first 2 shown]
	ds_read_b64 v[8:9], v8
	ds_read_b64 v[13:14], v13
	;; [unrolled: 1-line block ×3, first 2 shown]
	v_cndmask_b32_e32 v48, v18, v16, vcc
	v_cndmask_b32_e64 v38, v23, v24, s[14:15]
	v_cndmask_b32_e64 v23, v21, v22, s[18:19]
	;; [unrolled: 1-line block ×3, first 2 shown]
.LBB624_59:
	s_or_b64 exec, exec, s[28:29]
	; wave barrier
	s_waitcnt lgkmcnt(0)
	s_barrier
                                        ; implicit-def: $vgpr36
                                        ; implicit-def: $vgpr12
                                        ; implicit-def: $vgpr37
                                        ; implicit-def: $vgpr31
                                        ; implicit-def: $vgpr15
                                        ; implicit-def: $vgpr16
                                        ; implicit-def: $vgpr32_vgpr33
                                        ; implicit-def: $vgpr21_vgpr22
                                        ; implicit-def: $vgpr17_vgpr18
.LBB624_60:
	s_andn2_saveexec_b64 s[22:23], s[26:27]
	s_cbranch_execz .LBB624_96
; %bb.61:
	s_load_dwordx2 s[14:15], s[8:9], 0x0
	v_mov_b32_e32 v11, 0
	s_movk_i32 s20, 0x400
	s_waitcnt lgkmcnt(0)
	s_cmp_lt_u32 s13, s15
	s_cselect_b32 s13, 14, 20
	s_add_u32 s18, s8, s13
	s_addc_u32 s19, s9, 0
	s_cmp_lt_u32 s12, s14
	s_cselect_b32 s12, 12, 18
	s_add_u32 s8, s8, s12
	s_addc_u32 s9, s9, 0
	global_load_ushort v10, v11, s[18:19]
	global_load_ushort v24, v11, s[8:9]
	s_waitcnt vmcnt(0)
	v_mad_u32_u24 v10, v16, v10, v15
	v_mul_lo_u32 v10, v10, v24
	v_and_b32_e32 v15, 0x3ff, v31
	v_add_lshl_u32 v10, v10, v15, 2
	v_cmp_gt_u32_e32 vcc, s20, v10
	s_and_saveexec_b64 s[14:15], vcc
	s_cbranch_execz .LBB624_65
; %bb.62:
	v_cmp_gt_i32_e32 vcc, v48, v38
	v_max_i32_e32 v13, v48, v38
	v_cndmask_b32_e32 v8, v4, v17, vcc
	v_cndmask_b32_e32 v9, v5, v18, vcc
	;; [unrolled: 1-line block ×4, first 2 shown]
	v_min_i32_e32 v14, v23, v39
	v_cmp_gt_i32_e32 vcc, v23, v39
	v_min_i32_e32 v15, v48, v38
	v_max_i32_e32 v16, v23, v39
	v_cndmask_b32_e32 v23, v32, v21, vcc
	v_cndmask_b32_e32 v24, v33, v22, vcc
	;; [unrolled: 1-line block ×4, first 2 shown]
	v_cmp_gt_i32_e32 vcc, v13, v14
	v_min_i32_e32 v17, v13, v14
	v_max_i32_e32 v18, v13, v14
	v_cndmask_b32_e32 v22, v20, v4, vcc
	v_cndmask_b32_e32 v25, v19, v5, vcc
	;; [unrolled: 1-line block ×4, first 2 shown]
	v_cmp_lt_i32_e32 vcc, v14, v15
	v_cmp_gt_i32_e64 s[8:9], v13, v16
	v_cndmask_b32_e32 v38, v17, v15, vcc
	v_cndmask_b32_e64 v21, v18, v16, s[8:9]
	v_cndmask_b32_e32 v5, v9, v19, vcc
	v_cndmask_b32_e32 v4, v8, v20, vcc
	;; [unrolled: 1-line block ×4, first 2 shown]
	v_cndmask_b32_e64 v20, v24, v25, s[8:9]
	v_cndmask_b32_e64 v19, v23, v22, s[8:9]
	;; [unrolled: 1-line block ×4, first 2 shown]
	v_cmp_gt_i32_e64 s[12:13], v38, v21
	v_mov_b32_e32 v23, v21
	s_and_saveexec_b64 s[18:19], s[12:13]
; %bb.63:
	v_mov_b32_e32 v23, v14
	v_mov_b32_e32 v22, v13
	;; [unrolled: 1-line block ×8, first 2 shown]
; %bb.64:
	s_or_b64 exec, exec, s[18:19]
	v_cndmask_b32_e32 v48, v15, v17, vcc
	v_cndmask_b32_e64 v39, v16, v18, s[8:9]
.LBB624_65:
	s_or_b64 exec, exec, s[14:15]
	v_and_b32_e32 v10, 0xffffff00, v10
	v_lshlrev_b64 v[17:18], 2, v[10:11]
	v_sub_u32_e64 v16, s20, v10 clamp
	v_add_co_u32_e32 v15, vcc, v12, v17
	v_or_b32_e32 v17, 4, v36
	v_min_u32_e32 v26, v16, v17
	v_lshlrev_b64 v[10:11], 3, v[10:11]
	v_add_u32_e32 v17, 4, v26
	v_and_b32_e32 v28, 0x1f8, v36
	v_min_u32_e32 v27, v16, v17
	v_and_b32_e32 v17, 4, v36
	v_add_co_u32_e32 v10, vcc, v12, v10
	s_movk_i32 s8, 0x1000
	v_min_u32_e32 v32, v16, v17
	v_sub_u32_e32 v17, v26, v28
	v_sub_u32_e32 v18, v27, v26
	v_add_co_u32_e32 v10, vcc, s8, v10
	v_sub_u32_e64 v33, v32, v18 clamp
	v_min_u32_e32 v17, v32, v17
	v_lshl_add_u32 v11, v36, 2, v15
	v_lshl_add_u32 v12, v36, 3, v10
	v_cmp_lt_u32_e32 vcc, v33, v17
	ds_write2_b32 v11, v48, v38 offset1:1
	ds_write2_b64 v12, v[4:5], v[8:9] offset1:1
	ds_write2_b32 v11, v23, v39 offset0:2 offset1:3
	ds_write2_b64 v12, v[13:14], v[19:20] offset0:2 offset1:3
	; wave barrier
	s_and_saveexec_b64 s[8:9], vcc
	s_cbranch_execz .LBB624_69
; %bb.66:
	v_lshlrev_b32_e32 v18, 2, v28
	v_lshlrev_b32_e32 v21, 2, v26
	v_add_co_u32_e32 v18, vcc, v15, v18
	v_add_co_u32_e32 v21, vcc, v15, v21
	s_mov_b64 s[12:13], 0
.LBB624_67:                             ; =>This Inner Loop Header: Depth=1
	v_add_u32_e32 v22, v17, v33
	v_lshrrev_b32_e32 v22, 1, v22
	v_xad_u32 v24, v22, -1, v32
	v_lshl_add_u32 v25, v22, 2, v18
	v_lshl_add_u32 v24, v24, 2, v21
	ds_read_b32 v25, v25
	ds_read_b32 v24, v24
	v_add_u32_e32 v31, 1, v22
	s_waitcnt lgkmcnt(0)
	v_cmp_gt_i32_e32 vcc, v25, v24
	v_cndmask_b32_e32 v17, v17, v22, vcc
	v_cndmask_b32_e32 v33, v31, v33, vcc
	v_cmp_ge_u32_e32 vcc, v33, v17
	s_or_b64 s[12:13], vcc, s[12:13]
	s_andn2_b64 exec, exec, s[12:13]
	s_cbranch_execnz .LBB624_67
; %bb.68:
	s_or_b64 exec, exec, s[12:13]
.LBB624_69:
	s_or_b64 exec, exec, s[8:9]
	v_add_u32_e32 v31, v33, v28
	v_add_u32_e32 v28, v26, v32
	v_sub_u32_e32 v32, v28, v33
	v_cmp_le_u32_e32 vcc, v31, v26
	v_cmp_le_u32_e64 s[8:9], v32, v27
	v_add_u32_e32 v17, 4, v11
	v_add_u32_e32 v18, 8, v12
	;; [unrolled: 1-line block ×6, first 2 shown]
	s_or_b64 s[8:9], vcc, s[8:9]
	s_and_saveexec_b64 s[24:25], s[8:9]
	s_cbranch_execz .LBB624_75
; %bb.70:
	v_cmp_lt_u32_e32 vcc, v31, v26
                                        ; implicit-def: $vgpr23
	s_and_saveexec_b64 s[8:9], vcc
; %bb.71:
	v_lshl_add_u32 v4, v31, 2, v15
	ds_read_b32 v23, v4
; %bb.72:
	s_or_b64 exec, exec, s[8:9]
	v_cmp_ge_u32_e64 s[8:9], v32, v27
	v_cmp_lt_u32_e64 s[12:13], v32, v27
                                        ; implicit-def: $vgpr28
	s_and_saveexec_b64 s[14:15], s[12:13]
; %bb.73:
	v_lshl_add_u32 v4, v32, 2, v15
	ds_read_b32 v28, v4
; %bb.74:
	s_or_b64 exec, exec, s[14:15]
	s_waitcnt lgkmcnt(0)
	v_cmp_le_i32_e64 s[12:13], v23, v28
	s_and_b64 s[12:13], vcc, s[12:13]
	s_or_b64 vcc, s[8:9], s[12:13]
	v_cndmask_b32_e32 v4, v32, v31, vcc
	v_cndmask_b32_e32 v5, v27, v26, vcc
	v_add_u32_e32 v8, 1, v4
	v_add_u32_e32 v5, -1, v5
	v_min_u32_e32 v5, v8, v5
	v_lshl_add_u32 v5, v5, 2, v15
	ds_read_b32 v5, v5
	v_cndmask_b32_e32 v9, v8, v32, vcc
	v_cndmask_b32_e32 v8, v31, v8, vcc
	v_cmp_lt_u32_e64 s[12:13], v8, v26
	v_cmp_ge_u32_e64 s[8:9], v9, v27
	s_waitcnt lgkmcnt(0)
	v_cndmask_b32_e32 v32, v5, v28, vcc
	v_cndmask_b32_e32 v33, v23, v5, vcc
	v_cmp_le_i32_e64 s[14:15], v33, v32
	s_and_b64 s[12:13], s[12:13], s[14:15]
	s_or_b64 s[8:9], s[8:9], s[12:13]
	v_cndmask_b32_e64 v13, v9, v8, s[8:9]
	v_cndmask_b32_e64 v5, v27, v26, s[8:9]
	v_add_u32_e32 v14, 1, v13
	v_add_u32_e32 v5, -1, v5
	v_min_u32_e32 v5, v14, v5
	v_lshl_add_u32 v5, v5, 2, v15
	ds_read_b32 v19, v5
	v_cndmask_b32_e64 v20, v8, v14, s[8:9]
	v_cmp_lt_u32_e64 s[14:15], v20, v26
	v_lshl_add_u32 v4, v4, 3, v10
	ds_read_b64 v[4:5], v4
	s_waitcnt lgkmcnt(1)
	v_cndmask_b32_e64 v31, v19, v32, s[8:9]
	v_cndmask_b32_e64 v39, v33, v19, s[8:9]
	;; [unrolled: 1-line block ×3, first 2 shown]
	v_cmp_le_i32_e64 s[18:19], v39, v31
	v_cmp_ge_u32_e64 s[12:13], v19, v27
	s_and_b64 s[14:15], s[14:15], s[18:19]
	s_or_b64 s[12:13], s[12:13], s[14:15]
	v_cndmask_b32_e64 v14, v19, v20, s[12:13]
	v_cndmask_b32_e64 v8, v27, v26, s[12:13]
	v_add_u32_e32 v38, 1, v14
	v_add_u32_e32 v8, -1, v8
	v_min_u32_e32 v8, v38, v8
	v_lshl_add_u32 v8, v8, 2, v15
	ds_read_b32 v48, v8
	v_cndmask_b32_e64 v20, v20, v38, s[12:13]
	v_cndmask_b32_e64 v19, v38, v19, s[12:13]
	v_cmp_lt_u32_e64 s[18:19], v20, v26
	v_cmp_ge_u32_e64 s[14:15], v19, v27
	s_waitcnt lgkmcnt(0)
	v_cndmask_b32_e64 v49, v48, v31, s[12:13]
	v_cndmask_b32_e64 v50, v39, v48, s[12:13]
	v_cmp_le_i32_e64 s[20:21], v50, v49
	s_and_b64 s[18:19], s[18:19], s[20:21]
	s_or_b64 s[14:15], s[14:15], s[18:19]
	v_cndmask_b32_e64 v19, v19, v20, s[14:15]
	v_lshl_add_u32 v8, v13, 3, v10
	v_lshl_add_u32 v13, v14, 3, v10
	;; [unrolled: 1-line block ×3, first 2 shown]
	ds_read_b64 v[8:9], v8
	ds_read_b64 v[13:14], v13
	;; [unrolled: 1-line block ×3, first 2 shown]
	v_cndmask_b32_e32 v48, v28, v23, vcc
	v_cndmask_b32_e64 v38, v32, v33, s[8:9]
	v_cndmask_b32_e64 v23, v31, v39, s[12:13]
	;; [unrolled: 1-line block ×3, first 2 shown]
.LBB624_75:
	s_or_b64 exec, exec, s[24:25]
	v_and_b32_e32 v28, 0x1f0, v36
	v_or_b32_e32 v26, 8, v28
	v_min_u32_e32 v26, v16, v26
	v_add_u32_e32 v27, 8, v26
	v_min_u32_e32 v27, v16, v27
	v_and_b32_e32 v31, 12, v36
	v_min_u32_e32 v32, v16, v31
	v_sub_u32_e32 v31, v26, v28
	v_sub_u32_e32 v33, v27, v26
	v_sub_u32_e64 v33, v32, v33 clamp
	v_min_u32_e32 v31, v32, v31
	v_cmp_lt_u32_e32 vcc, v33, v31
	; wave barrier
	ds_write_b32 v11, v48
	ds_write_b64 v12, v[4:5]
	ds_write_b32 v17, v38
	s_waitcnt lgkmcnt(5)
	ds_write_b64 v18, v[8:9]
	ds_write_b32 v21, v23
	s_waitcnt lgkmcnt(6)
	;; [unrolled: 3-line block ×3, first 2 shown]
	ds_write_b64 v25, v[19:20]
	; wave barrier
	s_and_saveexec_b64 s[8:9], vcc
	s_cbranch_execz .LBB624_79
; %bb.76:
	v_lshlrev_b32_e32 v49, 2, v28
	v_lshlrev_b32_e32 v50, 2, v26
	v_add_co_u32_e32 v49, vcc, v15, v49
	v_add_co_u32_e32 v50, vcc, v15, v50
	s_mov_b64 s[12:13], 0
.LBB624_77:                             ; =>This Inner Loop Header: Depth=1
	v_add_u32_e32 v51, v31, v33
	v_lshrrev_b32_e32 v51, 1, v51
	v_xad_u32 v52, v51, -1, v32
	v_lshl_add_u32 v53, v51, 2, v49
	v_lshl_add_u32 v52, v52, 2, v50
	ds_read_b32 v53, v53
	ds_read_b32 v52, v52
	v_add_u32_e32 v54, 1, v51
	s_waitcnt lgkmcnt(0)
	v_cmp_gt_i32_e32 vcc, v53, v52
	v_cndmask_b32_e32 v31, v31, v51, vcc
	v_cndmask_b32_e32 v33, v54, v33, vcc
	v_cmp_ge_u32_e32 vcc, v33, v31
	s_or_b64 s[12:13], vcc, s[12:13]
	s_andn2_b64 exec, exec, s[12:13]
	s_cbranch_execnz .LBB624_77
; %bb.78:
	s_or_b64 exec, exec, s[12:13]
.LBB624_79:
	s_or_b64 exec, exec, s[8:9]
	v_add_u32_e32 v31, v33, v28
	v_add_u32_e32 v28, v26, v32
	v_sub_u32_e32 v32, v28, v33
	v_cmp_le_u32_e32 vcc, v31, v26
	v_cmp_le_u32_e64 s[8:9], v32, v27
	s_or_b64 s[8:9], vcc, s[8:9]
	s_and_saveexec_b64 s[24:25], s[8:9]
	s_cbranch_execz .LBB624_85
; %bb.80:
	v_cmp_lt_u32_e32 vcc, v31, v26
                                        ; implicit-def: $vgpr23
	s_and_saveexec_b64 s[8:9], vcc
; %bb.81:
	v_lshl_add_u32 v4, v31, 2, v15
	ds_read_b32 v23, v4
; %bb.82:
	s_or_b64 exec, exec, s[8:9]
	v_cmp_ge_u32_e64 s[8:9], v32, v27
	v_cmp_lt_u32_e64 s[12:13], v32, v27
                                        ; implicit-def: $vgpr28
	s_and_saveexec_b64 s[14:15], s[12:13]
; %bb.83:
	v_lshl_add_u32 v4, v32, 2, v15
	ds_read_b32 v28, v4
; %bb.84:
	s_or_b64 exec, exec, s[14:15]
	s_waitcnt lgkmcnt(0)
	v_cmp_le_i32_e64 s[12:13], v23, v28
	s_and_b64 s[12:13], vcc, s[12:13]
	s_or_b64 vcc, s[8:9], s[12:13]
	v_cndmask_b32_e32 v4, v32, v31, vcc
	v_cndmask_b32_e32 v5, v27, v26, vcc
	v_add_u32_e32 v8, 1, v4
	v_add_u32_e32 v5, -1, v5
	v_min_u32_e32 v5, v8, v5
	v_lshl_add_u32 v5, v5, 2, v15
	ds_read_b32 v5, v5
	v_cndmask_b32_e32 v9, v8, v32, vcc
	v_cndmask_b32_e32 v8, v31, v8, vcc
	v_cmp_lt_u32_e64 s[12:13], v8, v26
	v_cmp_ge_u32_e64 s[8:9], v9, v27
	s_waitcnt lgkmcnt(0)
	v_cndmask_b32_e32 v32, v5, v28, vcc
	v_cndmask_b32_e32 v33, v23, v5, vcc
	v_cmp_le_i32_e64 s[14:15], v33, v32
	s_and_b64 s[12:13], s[12:13], s[14:15]
	s_or_b64 s[8:9], s[8:9], s[12:13]
	v_cndmask_b32_e64 v13, v9, v8, s[8:9]
	v_cndmask_b32_e64 v5, v27, v26, s[8:9]
	v_add_u32_e32 v14, 1, v13
	v_add_u32_e32 v5, -1, v5
	v_min_u32_e32 v5, v14, v5
	v_lshl_add_u32 v5, v5, 2, v15
	ds_read_b32 v19, v5
	v_cndmask_b32_e64 v20, v8, v14, s[8:9]
	v_cmp_lt_u32_e64 s[14:15], v20, v26
	v_lshl_add_u32 v4, v4, 3, v10
	ds_read_b64 v[4:5], v4
	s_waitcnt lgkmcnt(1)
	v_cndmask_b32_e64 v31, v19, v32, s[8:9]
	v_cndmask_b32_e64 v39, v33, v19, s[8:9]
	;; [unrolled: 1-line block ×3, first 2 shown]
	v_cmp_le_i32_e64 s[18:19], v39, v31
	v_cmp_ge_u32_e64 s[12:13], v19, v27
	s_and_b64 s[14:15], s[14:15], s[18:19]
	s_or_b64 s[12:13], s[12:13], s[14:15]
	v_cndmask_b32_e64 v14, v19, v20, s[12:13]
	v_cndmask_b32_e64 v8, v27, v26, s[12:13]
	v_add_u32_e32 v38, 1, v14
	v_add_u32_e32 v8, -1, v8
	v_min_u32_e32 v8, v38, v8
	v_lshl_add_u32 v8, v8, 2, v15
	ds_read_b32 v48, v8
	v_cndmask_b32_e64 v20, v20, v38, s[12:13]
	v_cndmask_b32_e64 v19, v38, v19, s[12:13]
	v_cmp_lt_u32_e64 s[18:19], v20, v26
	v_cmp_ge_u32_e64 s[14:15], v19, v27
	s_waitcnt lgkmcnt(0)
	v_cndmask_b32_e64 v49, v48, v31, s[12:13]
	v_cndmask_b32_e64 v50, v39, v48, s[12:13]
	v_cmp_le_i32_e64 s[20:21], v50, v49
	s_and_b64 s[18:19], s[18:19], s[20:21]
	s_or_b64 s[14:15], s[14:15], s[18:19]
	v_cndmask_b32_e64 v19, v19, v20, s[14:15]
	v_lshl_add_u32 v8, v13, 3, v10
	v_lshl_add_u32 v13, v14, 3, v10
	;; [unrolled: 1-line block ×3, first 2 shown]
	ds_read_b64 v[8:9], v8
	ds_read_b64 v[13:14], v13
	;; [unrolled: 1-line block ×3, first 2 shown]
	v_cndmask_b32_e32 v48, v28, v23, vcc
	v_cndmask_b32_e64 v38, v32, v33, s[8:9]
	v_cndmask_b32_e64 v23, v31, v39, s[12:13]
	;; [unrolled: 1-line block ×3, first 2 shown]
.LBB624_85:
	s_or_b64 exec, exec, s[24:25]
	; wave barrier
	ds_write_b32 v11, v48
	ds_write_b64 v12, v[4:5]
	ds_write_b32 v17, v38
	s_waitcnt lgkmcnt(5)
	ds_write_b64 v18, v[8:9]
	ds_write_b32 v21, v23
	s_waitcnt lgkmcnt(6)
	;; [unrolled: 3-line block ×3, first 2 shown]
	ds_write_b64 v25, v[19:20]
	v_and_b32_e32 v17, 0x1e0, v36
	v_or_b32_e32 v11, 16, v17
	v_min_u32_e32 v11, v16, v11
	v_add_u32_e32 v12, 16, v11
	v_min_u32_e32 v12, v16, v12
	v_min_u32_e32 v16, v16, v37
	v_sub_u32_e32 v18, v11, v17
	v_sub_u32_e32 v21, v12, v11
	v_sub_u32_e64 v21, v16, v21 clamp
	v_min_u32_e32 v18, v16, v18
	v_cmp_lt_u32_e32 vcc, v21, v18
	; wave barrier
	s_and_saveexec_b64 s[8:9], vcc
	s_cbranch_execz .LBB624_89
; %bb.86:
	v_lshlrev_b32_e32 v22, 2, v17
	v_lshlrev_b32_e32 v24, 2, v11
	v_add_co_u32_e32 v22, vcc, v15, v22
	v_add_co_u32_e32 v24, vcc, v15, v24
	s_mov_b64 s[12:13], 0
.LBB624_87:                             ; =>This Inner Loop Header: Depth=1
	v_add_u32_e32 v25, v18, v21
	v_lshrrev_b32_e32 v25, 1, v25
	v_xad_u32 v26, v25, -1, v16
	v_lshl_add_u32 v27, v25, 2, v22
	v_lshl_add_u32 v26, v26, 2, v24
	ds_read_b32 v27, v27
	ds_read_b32 v26, v26
	v_add_u32_e32 v28, 1, v25
	s_waitcnt lgkmcnt(0)
	v_cmp_gt_i32_e32 vcc, v27, v26
	v_cndmask_b32_e32 v18, v18, v25, vcc
	v_cndmask_b32_e32 v21, v28, v21, vcc
	v_cmp_ge_u32_e32 vcc, v21, v18
	s_or_b64 s[12:13], vcc, s[12:13]
	s_andn2_b64 exec, exec, s[12:13]
	s_cbranch_execnz .LBB624_87
; %bb.88:
	s_or_b64 exec, exec, s[12:13]
.LBB624_89:
	s_or_b64 exec, exec, s[8:9]
	v_add_u32_e32 v16, v11, v16
	v_add_u32_e32 v18, v21, v17
	v_sub_u32_e32 v21, v16, v21
	v_cmp_le_u32_e32 vcc, v18, v11
	v_cmp_le_u32_e64 s[8:9], v21, v12
	s_or_b64 s[8:9], vcc, s[8:9]
	s_and_saveexec_b64 s[24:25], s[8:9]
	s_cbranch_execz .LBB624_95
; %bb.90:
	v_cmp_lt_u32_e32 vcc, v18, v11
                                        ; implicit-def: $vgpr16
	s_and_saveexec_b64 s[8:9], vcc
; %bb.91:
	v_lshl_add_u32 v4, v18, 2, v15
	ds_read_b32 v16, v4
; %bb.92:
	s_or_b64 exec, exec, s[8:9]
	v_cmp_ge_u32_e64 s[8:9], v21, v12
	v_cmp_lt_u32_e64 s[12:13], v21, v12
                                        ; implicit-def: $vgpr17
	s_and_saveexec_b64 s[14:15], s[12:13]
; %bb.93:
	v_lshl_add_u32 v4, v21, 2, v15
	ds_read_b32 v17, v4
; %bb.94:
	s_or_b64 exec, exec, s[14:15]
	s_waitcnt lgkmcnt(0)
	v_cmp_le_i32_e64 s[12:13], v16, v17
	s_and_b64 s[12:13], vcc, s[12:13]
	s_or_b64 vcc, s[8:9], s[12:13]
	v_cndmask_b32_e32 v4, v21, v18, vcc
	v_cndmask_b32_e32 v5, v12, v11, vcc
	v_add_u32_e32 v8, 1, v4
	v_add_u32_e32 v5, -1, v5
	v_min_u32_e32 v5, v8, v5
	v_lshl_add_u32 v5, v5, 2, v15
	ds_read_b32 v5, v5
	v_cndmask_b32_e32 v9, v8, v21, vcc
	v_cndmask_b32_e32 v8, v18, v8, vcc
	v_cmp_lt_u32_e64 s[12:13], v8, v11
	v_cmp_ge_u32_e64 s[8:9], v9, v12
	s_waitcnt lgkmcnt(0)
	v_cndmask_b32_e32 v21, v5, v17, vcc
	v_cndmask_b32_e32 v22, v16, v5, vcc
	v_cmp_le_i32_e64 s[14:15], v22, v21
	s_and_b64 s[12:13], s[12:13], s[14:15]
	s_or_b64 s[8:9], s[8:9], s[12:13]
	v_cndmask_b32_e64 v13, v9, v8, s[8:9]
	v_cndmask_b32_e64 v5, v12, v11, s[8:9]
	v_add_u32_e32 v14, 1, v13
	v_add_u32_e32 v5, -1, v5
	v_min_u32_e32 v5, v14, v5
	v_lshl_add_u32 v5, v5, 2, v15
	ds_read_b32 v18, v5
	v_cndmask_b32_e64 v20, v8, v14, s[8:9]
	v_cndmask_b32_e64 v19, v14, v9, s[8:9]
	v_cmp_lt_u32_e64 s[14:15], v20, v11
	v_cmp_ge_u32_e64 s[12:13], v19, v12
	s_waitcnt lgkmcnt(0)
	v_cndmask_b32_e64 v23, v18, v21, s[8:9]
	v_cndmask_b32_e64 v18, v22, v18, s[8:9]
	v_cmp_le_i32_e64 s[18:19], v18, v23
	s_and_b64 s[14:15], s[14:15], s[18:19]
	s_or_b64 s[12:13], s[12:13], s[14:15]
	v_cndmask_b32_e64 v14, v19, v20, s[12:13]
	v_cndmask_b32_e64 v8, v12, v11, s[12:13]
	v_add_u32_e32 v24, 1, v14
	v_add_u32_e32 v8, -1, v8
	v_min_u32_e32 v8, v24, v8
	v_lshl_add_u32 v8, v8, 2, v15
	ds_read_b32 v15, v8
	v_cndmask_b32_e64 v20, v20, v24, s[12:13]
	v_cndmask_b32_e64 v19, v24, v19, s[12:13]
	v_cmp_lt_u32_e64 s[18:19], v20, v11
	v_cmp_ge_u32_e64 s[14:15], v19, v12
	s_waitcnt lgkmcnt(0)
	v_cndmask_b32_e64 v25, v15, v23, s[12:13]
	v_cndmask_b32_e64 v15, v18, v15, s[12:13]
	v_cmp_le_i32_e64 s[20:21], v15, v25
	s_and_b64 s[18:19], s[18:19], s[20:21]
	s_or_b64 s[14:15], s[14:15], s[18:19]
	v_cndmask_b32_e64 v11, v19, v20, s[14:15]
	v_lshl_add_u32 v4, v4, 3, v10
	v_lshl_add_u32 v8, v13, 3, v10
	;; [unrolled: 1-line block ×4, first 2 shown]
	ds_read_b64 v[4:5], v4
	ds_read_b64 v[8:9], v8
	;; [unrolled: 1-line block ×4, first 2 shown]
	v_cndmask_b32_e32 v48, v17, v16, vcc
	v_cndmask_b32_e64 v38, v21, v22, s[8:9]
	v_cndmask_b32_e64 v23, v23, v18, s[12:13]
	;; [unrolled: 1-line block ×3, first 2 shown]
.LBB624_95:
	s_or_b64 exec, exec, s[24:25]
	; wave barrier
	s_waitcnt lgkmcnt(0)
	s_barrier
.LBB624_96:
	s_or_b64 exec, exec, s[22:23]
	v_add_co_u32_e32 v2, vcc, v2, v29
	v_addc_co_u32_e32 v3, vcc, v3, v30, vcc
	v_add_co_u32_e32 v2, vcc, v2, v34
	v_addc_co_u32_e32 v3, vcc, 0, v3, vcc
	s_waitcnt lgkmcnt(0)
	; wave barrier
	s_and_saveexec_b64 s[8:9], s[4:5]
	s_cbranch_execnz .LBB624_106
; %bb.97:
	s_or_b64 exec, exec, s[8:9]
	s_and_saveexec_b64 s[8:9], s[6:7]
	s_cbranch_execnz .LBB624_107
.LBB624_98:
	s_or_b64 exec, exec, s[8:9]
	s_and_saveexec_b64 s[8:9], s[16:17]
	s_cbranch_execnz .LBB624_108
.LBB624_99:
	s_or_b64 exec, exec, s[8:9]
	s_and_saveexec_b64 s[8:9], s[10:11]
	s_cbranch_execz .LBB624_101
.LBB624_100:
	s_waitcnt vmcnt(0)
	flat_store_dword v[2:3], v39 offset:12
.LBB624_101:
	s_or_b64 exec, exec, s[8:9]
	v_add_co_u32_e32 v0, vcc, v6, v0
	v_addc_co_u32_e32 v1, vcc, v7, v1, vcc
	v_add_co_u32_e32 v0, vcc, v0, v35
	v_addc_co_u32_e32 v1, vcc, 0, v1, vcc
	; wave barrier
	s_and_saveexec_b64 s[8:9], s[4:5]
	s_cbranch_execnz .LBB624_109
; %bb.102:
	s_or_b64 exec, exec, s[8:9]
	s_and_saveexec_b64 s[4:5], s[6:7]
	s_cbranch_execnz .LBB624_110
.LBB624_103:
	s_or_b64 exec, exec, s[4:5]
	s_and_saveexec_b64 s[4:5], s[16:17]
	s_cbranch_execnz .LBB624_111
.LBB624_104:
	s_or_b64 exec, exec, s[4:5]
	s_and_saveexec_b64 s[4:5], s[10:11]
	s_cbranch_execnz .LBB624_112
.LBB624_105:
	s_or_b64 exec, exec, s[4:5]
	s_waitcnt vmcnt(0) lgkmcnt(0)
	s_setpc_b64 s[30:31]
.LBB624_106:
	s_waitcnt vmcnt(0)
	flat_store_dword v[2:3], v48
	s_or_b64 exec, exec, s[8:9]
	s_and_saveexec_b64 s[8:9], s[6:7]
	s_cbranch_execz .LBB624_98
.LBB624_107:
	s_waitcnt vmcnt(0)
	flat_store_dword v[2:3], v38 offset:4
	s_or_b64 exec, exec, s[8:9]
	s_and_saveexec_b64 s[8:9], s[16:17]
	s_cbranch_execz .LBB624_99
.LBB624_108:
	s_waitcnt vmcnt(0)
	flat_store_dword v[2:3], v23 offset:8
	s_or_b64 exec, exec, s[8:9]
	s_and_saveexec_b64 s[8:9], s[10:11]
	s_cbranch_execnz .LBB624_100
	s_branch .LBB624_101
.LBB624_109:
	s_waitcnt vmcnt(0)
	flat_store_dwordx2 v[0:1], v[4:5]
	s_or_b64 exec, exec, s[8:9]
	s_and_saveexec_b64 s[4:5], s[6:7]
	s_cbranch_execz .LBB624_103
.LBB624_110:
	flat_store_dwordx2 v[0:1], v[8:9] offset:8
	s_or_b64 exec, exec, s[4:5]
	s_and_saveexec_b64 s[4:5], s[16:17]
	s_cbranch_execz .LBB624_104
.LBB624_111:
	flat_store_dwordx2 v[0:1], v[13:14] offset:16
	s_or_b64 exec, exec, s[4:5]
	s_and_saveexec_b64 s[4:5], s[10:11]
	s_cbranch_execz .LBB624_105
.LBB624_112:
	flat_store_dwordx2 v[0:1], v[19:20] offset:24
	s_or_b64 exec, exec, s[4:5]
	s_waitcnt vmcnt(0) lgkmcnt(0)
	s_setpc_b64 s[30:31]
.Lfunc_end624:
	.size	_ZN7rocprim17ROCPRIM_400000_NS6detail26segmented_warp_sort_helperINS1_20WarpSortHelperConfigILj8ELj4ELj256EEEilLi256ELb0EvE4sortIPKiPiPKlPlEEvT_T0_T1_T2_jjjjRNS5_12storage_typeE, .Lfunc_end624-_ZN7rocprim17ROCPRIM_400000_NS6detail26segmented_warp_sort_helperINS1_20WarpSortHelperConfigILj8ELj4ELj256EEEilLi256ELb0EvE4sortIPKiPiPKlPlEEvT_T0_T1_T2_jjjjRNS5_12storage_typeE
                                        ; -- End function
	.set .L_ZN7rocprim17ROCPRIM_400000_NS6detail26segmented_warp_sort_helperINS1_20WarpSortHelperConfigILj8ELj4ELj256EEEilLi256ELb0EvE4sortIPKiPiPKlPlEEvT_T0_T1_T2_jjjjRNS5_12storage_typeE.num_vgpr, 56
	.set .L_ZN7rocprim17ROCPRIM_400000_NS6detail26segmented_warp_sort_helperINS1_20WarpSortHelperConfigILj8ELj4ELj256EEEilLi256ELb0EvE4sortIPKiPiPKlPlEEvT_T0_T1_T2_jjjjRNS5_12storage_typeE.num_agpr, 0
	.set .L_ZN7rocprim17ROCPRIM_400000_NS6detail26segmented_warp_sort_helperINS1_20WarpSortHelperConfigILj8ELj4ELj256EEEilLi256ELb0EvE4sortIPKiPiPKlPlEEvT_T0_T1_T2_jjjjRNS5_12storage_typeE.numbered_sgpr, 32
	.set .L_ZN7rocprim17ROCPRIM_400000_NS6detail26segmented_warp_sort_helperINS1_20WarpSortHelperConfigILj8ELj4ELj256EEEilLi256ELb0EvE4sortIPKiPiPKlPlEEvT_T0_T1_T2_jjjjRNS5_12storage_typeE.num_named_barrier, 0
	.set .L_ZN7rocprim17ROCPRIM_400000_NS6detail26segmented_warp_sort_helperINS1_20WarpSortHelperConfigILj8ELj4ELj256EEEilLi256ELb0EvE4sortIPKiPiPKlPlEEvT_T0_T1_T2_jjjjRNS5_12storage_typeE.private_seg_size, 0
	.set .L_ZN7rocprim17ROCPRIM_400000_NS6detail26segmented_warp_sort_helperINS1_20WarpSortHelperConfigILj8ELj4ELj256EEEilLi256ELb0EvE4sortIPKiPiPKlPlEEvT_T0_T1_T2_jjjjRNS5_12storage_typeE.uses_vcc, 1
	.set .L_ZN7rocprim17ROCPRIM_400000_NS6detail26segmented_warp_sort_helperINS1_20WarpSortHelperConfigILj8ELj4ELj256EEEilLi256ELb0EvE4sortIPKiPiPKlPlEEvT_T0_T1_T2_jjjjRNS5_12storage_typeE.uses_flat_scratch, 0
	.set .L_ZN7rocprim17ROCPRIM_400000_NS6detail26segmented_warp_sort_helperINS1_20WarpSortHelperConfigILj8ELj4ELj256EEEilLi256ELb0EvE4sortIPKiPiPKlPlEEvT_T0_T1_T2_jjjjRNS5_12storage_typeE.has_dyn_sized_stack, 0
	.set .L_ZN7rocprim17ROCPRIM_400000_NS6detail26segmented_warp_sort_helperINS1_20WarpSortHelperConfigILj8ELj4ELj256EEEilLi256ELb0EvE4sortIPKiPiPKlPlEEvT_T0_T1_T2_jjjjRNS5_12storage_typeE.has_recursion, 0
	.set .L_ZN7rocprim17ROCPRIM_400000_NS6detail26segmented_warp_sort_helperINS1_20WarpSortHelperConfigILj8ELj4ELj256EEEilLi256ELb0EvE4sortIPKiPiPKlPlEEvT_T0_T1_T2_jjjjRNS5_12storage_typeE.has_indirect_call, 0
	.section	.AMDGPU.csdata,"",@progbits
; Function info:
; codeLenInByte = 6676
; TotalNumSgprs: 36
; NumVgprs: 56
; ScratchSize: 0
; MemoryBound: 1
	.section	.text._ZN7rocprim17ROCPRIM_400000_NS6detail17trampoline_kernelINS0_14default_configENS1_36segmented_radix_sort_config_selectorIilEEZNS1_25segmented_radix_sort_implIS3_Lb0EPKiPiPKlPlN2at6native12_GLOBAL__N_18offset_tEEE10hipError_tPvRmT1_PNSt15iterator_traitsISK_E10value_typeET2_T3_PNSL_ISQ_E10value_typeET4_jRbjT5_SW_jjP12ihipStream_tbEUlT_E1_NS1_11comp_targetILNS1_3genE2ELNS1_11target_archE906ELNS1_3gpuE6ELNS1_3repE0EEENS1_59segmented_radix_sort_warp_sort_small_config_static_selectorELNS0_4arch9wavefront6targetE1EEEvSK_,"axG",@progbits,_ZN7rocprim17ROCPRIM_400000_NS6detail17trampoline_kernelINS0_14default_configENS1_36segmented_radix_sort_config_selectorIilEEZNS1_25segmented_radix_sort_implIS3_Lb0EPKiPiPKlPlN2at6native12_GLOBAL__N_18offset_tEEE10hipError_tPvRmT1_PNSt15iterator_traitsISK_E10value_typeET2_T3_PNSL_ISQ_E10value_typeET4_jRbjT5_SW_jjP12ihipStream_tbEUlT_E1_NS1_11comp_targetILNS1_3genE2ELNS1_11target_archE906ELNS1_3gpuE6ELNS1_3repE0EEENS1_59segmented_radix_sort_warp_sort_small_config_static_selectorELNS0_4arch9wavefront6targetE1EEEvSK_,comdat
	.globl	_ZN7rocprim17ROCPRIM_400000_NS6detail17trampoline_kernelINS0_14default_configENS1_36segmented_radix_sort_config_selectorIilEEZNS1_25segmented_radix_sort_implIS3_Lb0EPKiPiPKlPlN2at6native12_GLOBAL__N_18offset_tEEE10hipError_tPvRmT1_PNSt15iterator_traitsISK_E10value_typeET2_T3_PNSL_ISQ_E10value_typeET4_jRbjT5_SW_jjP12ihipStream_tbEUlT_E1_NS1_11comp_targetILNS1_3genE2ELNS1_11target_archE906ELNS1_3gpuE6ELNS1_3repE0EEENS1_59segmented_radix_sort_warp_sort_small_config_static_selectorELNS0_4arch9wavefront6targetE1EEEvSK_ ; -- Begin function _ZN7rocprim17ROCPRIM_400000_NS6detail17trampoline_kernelINS0_14default_configENS1_36segmented_radix_sort_config_selectorIilEEZNS1_25segmented_radix_sort_implIS3_Lb0EPKiPiPKlPlN2at6native12_GLOBAL__N_18offset_tEEE10hipError_tPvRmT1_PNSt15iterator_traitsISK_E10value_typeET2_T3_PNSL_ISQ_E10value_typeET4_jRbjT5_SW_jjP12ihipStream_tbEUlT_E1_NS1_11comp_targetILNS1_3genE2ELNS1_11target_archE906ELNS1_3gpuE6ELNS1_3repE0EEENS1_59segmented_radix_sort_warp_sort_small_config_static_selectorELNS0_4arch9wavefront6targetE1EEEvSK_
	.p2align	8
	.type	_ZN7rocprim17ROCPRIM_400000_NS6detail17trampoline_kernelINS0_14default_configENS1_36segmented_radix_sort_config_selectorIilEEZNS1_25segmented_radix_sort_implIS3_Lb0EPKiPiPKlPlN2at6native12_GLOBAL__N_18offset_tEEE10hipError_tPvRmT1_PNSt15iterator_traitsISK_E10value_typeET2_T3_PNSL_ISQ_E10value_typeET4_jRbjT5_SW_jjP12ihipStream_tbEUlT_E1_NS1_11comp_targetILNS1_3genE2ELNS1_11target_archE906ELNS1_3gpuE6ELNS1_3repE0EEENS1_59segmented_radix_sort_warp_sort_small_config_static_selectorELNS0_4arch9wavefront6targetE1EEEvSK_,@function
_ZN7rocprim17ROCPRIM_400000_NS6detail17trampoline_kernelINS0_14default_configENS1_36segmented_radix_sort_config_selectorIilEEZNS1_25segmented_radix_sort_implIS3_Lb0EPKiPiPKlPlN2at6native12_GLOBAL__N_18offset_tEEE10hipError_tPvRmT1_PNSt15iterator_traitsISK_E10value_typeET2_T3_PNSL_ISQ_E10value_typeET4_jRbjT5_SW_jjP12ihipStream_tbEUlT_E1_NS1_11comp_targetILNS1_3genE2ELNS1_11target_archE906ELNS1_3gpuE6ELNS1_3repE0EEENS1_59segmented_radix_sort_warp_sort_small_config_static_selectorELNS0_4arch9wavefront6targetE1EEEvSK_: ; @_ZN7rocprim17ROCPRIM_400000_NS6detail17trampoline_kernelINS0_14default_configENS1_36segmented_radix_sort_config_selectorIilEEZNS1_25segmented_radix_sort_implIS3_Lb0EPKiPiPKlPlN2at6native12_GLOBAL__N_18offset_tEEE10hipError_tPvRmT1_PNSt15iterator_traitsISK_E10value_typeET2_T3_PNSL_ISQ_E10value_typeET4_jRbjT5_SW_jjP12ihipStream_tbEUlT_E1_NS1_11comp_targetILNS1_3genE2ELNS1_11target_archE906ELNS1_3gpuE6ELNS1_3repE0EEENS1_59segmented_radix_sort_warp_sort_small_config_static_selectorELNS0_4arch9wavefront6targetE1EEEvSK_
; %bb.0:
	s_add_u32 s0, s0, s8
	s_load_dword s8, s[4:5], 0x64
	s_addc_u32 s1, s1, 0
	s_mov_b32 s32, 0
	s_waitcnt lgkmcnt(0)
	s_lshr_b32 s9, s8, 16
	s_and_b32 s8, s8, 0xffff
	v_mad_u32_u24 v3, v2, s9, v1
	v_mad_u64_u32 v[3:4], s[8:9], v3, s8, v[0:1]
	s_load_dword s8, s[4:5], 0x34
	v_lshrrev_b32_e32 v3, 3, v3
	v_lshl_add_u32 v3, s6, 5, v3
	s_waitcnt lgkmcnt(0)
	v_cmp_gt_u32_e32 vcc, s8, v3
	s_and_saveexec_b64 s[8:9], vcc
	s_cbranch_execz .LBB625_6
; %bb.1:
	s_load_dwordx2 s[12:13], s[4:5], 0x38
	s_load_dwordx4 s[8:11], s[4:5], 0x40
	v_mov_b32_e32 v4, 0
	v_lshlrev_b64 v[3:4], 2, v[3:4]
	s_waitcnt lgkmcnt(0)
	v_mov_b32_e32 v5, s13
	v_sub_co_u32_e32 v3, vcc, s12, v3
	v_subb_co_u32_e32 v4, vcc, v5, v4, vcc
	global_load_dword v3, v[3:4], off offset:-4
	s_waitcnt vmcnt(0)
	v_add_u32_e32 v4, s9, v3
	v_add_u32_e32 v3, s11, v3
	v_mul_lo_u32 v40, v4, s8
	v_mul_lo_u32 v41, v3, s10
	v_cmp_gt_u32_e32 vcc, v41, v40
	s_and_b64 exec, exec, vcc
	s_cbranch_execz .LBB625_6
; %bb.2:
	s_load_dword s10, s[4:5], 0x30
	s_load_dwordx4 s[44:47], s[4:5], 0x20
	s_load_dwordx8 s[36:43], s[4:5], 0x0
	s_load_dwordx2 s[34:35], s[4:5], 0x50
	s_mov_b64 s[8:9], -1
	s_waitcnt lgkmcnt(0)
	s_bitcmp0_b32 s10, 0
	v_lshlrev_b32_e32 v43, 20, v2
	v_lshlrev_b32_e32 v44, 10, v1
	s_cbranch_scc0 .LBB625_4
; %bb.3:
	s_add_u32 s8, s4, 0x58
	s_mov_b64 s[10:11], src_shared_base
	s_addc_u32 s9, s5, 0
	s_getpc_b64 s[14:15]
	s_add_u32 s14, s14, _ZN7rocprim17ROCPRIM_400000_NS6detail26segmented_warp_sort_helperINS1_20WarpSortHelperConfigILj8ELj4ELj256EEEilLi256ELb0EvE4sortIPKiPiPKlPlEEvT_T0_T1_T2_jjjjRNS5_12storage_typeE@rel32@lo+4
	s_addc_u32 s15, s15, _ZN7rocprim17ROCPRIM_400000_NS6detail26segmented_warp_sort_helperINS1_20WarpSortHelperConfigILj8ELj4ELj256EEEilLi256ELb0EvE4sortIPKiPiPKlPlEEvT_T0_T1_T2_jjjjRNS5_12storage_typeE@rel32@hi+12
	v_or3_b32 v31, v0, v44, v43
	s_mov_b32 s12, s6
	s_mov_b32 s13, s7
	v_mov_b32_e32 v42, v0
	v_mov_b32_e32 v0, s36
	;; [unrolled: 1-line block ×15, first 2 shown]
	s_mov_b64 s[38:39], s[4:5]
	s_mov_b32 s44, s7
	s_mov_b32 s33, s6
	s_swappc_b64 s[30:31], s[14:15]
	v_mov_b32_e32 v0, v42
	s_mov_b32 s6, s33
	s_mov_b32 s7, s44
	s_mov_b64 s[4:5], s[38:39]
	s_mov_b64 s[8:9], 0
.LBB625_4:
	s_andn2_b64 vcc, exec, s[8:9]
	s_cbranch_vccnz .LBB625_6
; %bb.5:
	s_add_u32 s8, s4, 0x58
	s_mov_b64 s[10:11], src_shared_base
	s_addc_u32 s9, s5, 0
	s_getpc_b64 s[4:5]
	s_add_u32 s4, s4, _ZN7rocprim17ROCPRIM_400000_NS6detail26segmented_warp_sort_helperINS1_20WarpSortHelperConfigILj8ELj4ELj256EEEilLi256ELb0EvE4sortIPKiPiPKlPlEEvT_T0_T1_T2_jjjjRNS5_12storage_typeE@rel32@lo+4
	s_addc_u32 s5, s5, _ZN7rocprim17ROCPRIM_400000_NS6detail26segmented_warp_sort_helperINS1_20WarpSortHelperConfigILj8ELj4ELj256EEEilLi256ELb0EvE4sortIPKiPiPKlPlEEvT_T0_T1_T2_jjjjRNS5_12storage_typeE@rel32@hi+12
	v_or3_b32 v31, v0, v44, v43
	s_mov_b32 s12, s6
	s_mov_b32 s13, s7
	v_mov_b32_e32 v0, s36
	v_mov_b32_e32 v1, s37
	;; [unrolled: 1-line block ×14, first 2 shown]
	s_swappc_b64 s[30:31], s[4:5]
.LBB625_6:
	s_endpgm
	.section	.rodata,"a",@progbits
	.p2align	6, 0x0
	.amdhsa_kernel _ZN7rocprim17ROCPRIM_400000_NS6detail17trampoline_kernelINS0_14default_configENS1_36segmented_radix_sort_config_selectorIilEEZNS1_25segmented_radix_sort_implIS3_Lb0EPKiPiPKlPlN2at6native12_GLOBAL__N_18offset_tEEE10hipError_tPvRmT1_PNSt15iterator_traitsISK_E10value_typeET2_T3_PNSL_ISQ_E10value_typeET4_jRbjT5_SW_jjP12ihipStream_tbEUlT_E1_NS1_11comp_targetILNS1_3genE2ELNS1_11target_archE906ELNS1_3gpuE6ELNS1_3repE0EEENS1_59segmented_radix_sort_warp_sort_small_config_static_selectorELNS0_4arch9wavefront6targetE1EEEvSK_
		.amdhsa_group_segment_fixed_size 12288
		.amdhsa_private_segment_fixed_size 0
		.amdhsa_kernarg_size 344
		.amdhsa_user_sgpr_count 6
		.amdhsa_user_sgpr_private_segment_buffer 1
		.amdhsa_user_sgpr_dispatch_ptr 0
		.amdhsa_user_sgpr_queue_ptr 0
		.amdhsa_user_sgpr_kernarg_segment_ptr 1
		.amdhsa_user_sgpr_dispatch_id 0
		.amdhsa_user_sgpr_flat_scratch_init 0
		.amdhsa_user_sgpr_private_segment_size 0
		.amdhsa_uses_dynamic_stack 0
		.amdhsa_system_sgpr_private_segment_wavefront_offset 0
		.amdhsa_system_sgpr_workgroup_id_x 1
		.amdhsa_system_sgpr_workgroup_id_y 1
		.amdhsa_system_sgpr_workgroup_id_z 0
		.amdhsa_system_sgpr_workgroup_info 0
		.amdhsa_system_vgpr_workitem_id 2
		.amdhsa_next_free_vgpr 56
		.amdhsa_next_free_sgpr 98
		.amdhsa_reserve_vcc 1
		.amdhsa_reserve_flat_scratch 0
		.amdhsa_float_round_mode_32 0
		.amdhsa_float_round_mode_16_64 0
		.amdhsa_float_denorm_mode_32 3
		.amdhsa_float_denorm_mode_16_64 3
		.amdhsa_dx10_clamp 1
		.amdhsa_ieee_mode 1
		.amdhsa_fp16_overflow 0
		.amdhsa_exception_fp_ieee_invalid_op 0
		.amdhsa_exception_fp_denorm_src 0
		.amdhsa_exception_fp_ieee_div_zero 0
		.amdhsa_exception_fp_ieee_overflow 0
		.amdhsa_exception_fp_ieee_underflow 0
		.amdhsa_exception_fp_ieee_inexact 0
		.amdhsa_exception_int_div_zero 0
	.end_amdhsa_kernel
	.section	.text._ZN7rocprim17ROCPRIM_400000_NS6detail17trampoline_kernelINS0_14default_configENS1_36segmented_radix_sort_config_selectorIilEEZNS1_25segmented_radix_sort_implIS3_Lb0EPKiPiPKlPlN2at6native12_GLOBAL__N_18offset_tEEE10hipError_tPvRmT1_PNSt15iterator_traitsISK_E10value_typeET2_T3_PNSL_ISQ_E10value_typeET4_jRbjT5_SW_jjP12ihipStream_tbEUlT_E1_NS1_11comp_targetILNS1_3genE2ELNS1_11target_archE906ELNS1_3gpuE6ELNS1_3repE0EEENS1_59segmented_radix_sort_warp_sort_small_config_static_selectorELNS0_4arch9wavefront6targetE1EEEvSK_,"axG",@progbits,_ZN7rocprim17ROCPRIM_400000_NS6detail17trampoline_kernelINS0_14default_configENS1_36segmented_radix_sort_config_selectorIilEEZNS1_25segmented_radix_sort_implIS3_Lb0EPKiPiPKlPlN2at6native12_GLOBAL__N_18offset_tEEE10hipError_tPvRmT1_PNSt15iterator_traitsISK_E10value_typeET2_T3_PNSL_ISQ_E10value_typeET4_jRbjT5_SW_jjP12ihipStream_tbEUlT_E1_NS1_11comp_targetILNS1_3genE2ELNS1_11target_archE906ELNS1_3gpuE6ELNS1_3repE0EEENS1_59segmented_radix_sort_warp_sort_small_config_static_selectorELNS0_4arch9wavefront6targetE1EEEvSK_,comdat
.Lfunc_end625:
	.size	_ZN7rocprim17ROCPRIM_400000_NS6detail17trampoline_kernelINS0_14default_configENS1_36segmented_radix_sort_config_selectorIilEEZNS1_25segmented_radix_sort_implIS3_Lb0EPKiPiPKlPlN2at6native12_GLOBAL__N_18offset_tEEE10hipError_tPvRmT1_PNSt15iterator_traitsISK_E10value_typeET2_T3_PNSL_ISQ_E10value_typeET4_jRbjT5_SW_jjP12ihipStream_tbEUlT_E1_NS1_11comp_targetILNS1_3genE2ELNS1_11target_archE906ELNS1_3gpuE6ELNS1_3repE0EEENS1_59segmented_radix_sort_warp_sort_small_config_static_selectorELNS0_4arch9wavefront6targetE1EEEvSK_, .Lfunc_end625-_ZN7rocprim17ROCPRIM_400000_NS6detail17trampoline_kernelINS0_14default_configENS1_36segmented_radix_sort_config_selectorIilEEZNS1_25segmented_radix_sort_implIS3_Lb0EPKiPiPKlPlN2at6native12_GLOBAL__N_18offset_tEEE10hipError_tPvRmT1_PNSt15iterator_traitsISK_E10value_typeET2_T3_PNSL_ISQ_E10value_typeET4_jRbjT5_SW_jjP12ihipStream_tbEUlT_E1_NS1_11comp_targetILNS1_3genE2ELNS1_11target_archE906ELNS1_3gpuE6ELNS1_3repE0EEENS1_59segmented_radix_sort_warp_sort_small_config_static_selectorELNS0_4arch9wavefront6targetE1EEEvSK_
                                        ; -- End function
	.set _ZN7rocprim17ROCPRIM_400000_NS6detail17trampoline_kernelINS0_14default_configENS1_36segmented_radix_sort_config_selectorIilEEZNS1_25segmented_radix_sort_implIS3_Lb0EPKiPiPKlPlN2at6native12_GLOBAL__N_18offset_tEEE10hipError_tPvRmT1_PNSt15iterator_traitsISK_E10value_typeET2_T3_PNSL_ISQ_E10value_typeET4_jRbjT5_SW_jjP12ihipStream_tbEUlT_E1_NS1_11comp_targetILNS1_3genE2ELNS1_11target_archE906ELNS1_3gpuE6ELNS1_3repE0EEENS1_59segmented_radix_sort_warp_sort_small_config_static_selectorELNS0_4arch9wavefront6targetE1EEEvSK_.num_vgpr, max(45, .L_ZN7rocprim17ROCPRIM_400000_NS6detail26segmented_warp_sort_helperINS1_20WarpSortHelperConfigILj8ELj4ELj256EEEilLi256ELb0EvE4sortIPKiPiPKlPlEEvT_T0_T1_T2_jjjjRNS5_12storage_typeE.num_vgpr)
	.set _ZN7rocprim17ROCPRIM_400000_NS6detail17trampoline_kernelINS0_14default_configENS1_36segmented_radix_sort_config_selectorIilEEZNS1_25segmented_radix_sort_implIS3_Lb0EPKiPiPKlPlN2at6native12_GLOBAL__N_18offset_tEEE10hipError_tPvRmT1_PNSt15iterator_traitsISK_E10value_typeET2_T3_PNSL_ISQ_E10value_typeET4_jRbjT5_SW_jjP12ihipStream_tbEUlT_E1_NS1_11comp_targetILNS1_3genE2ELNS1_11target_archE906ELNS1_3gpuE6ELNS1_3repE0EEENS1_59segmented_radix_sort_warp_sort_small_config_static_selectorELNS0_4arch9wavefront6targetE1EEEvSK_.num_agpr, max(0, .L_ZN7rocprim17ROCPRIM_400000_NS6detail26segmented_warp_sort_helperINS1_20WarpSortHelperConfigILj8ELj4ELj256EEEilLi256ELb0EvE4sortIPKiPiPKlPlEEvT_T0_T1_T2_jjjjRNS5_12storage_typeE.num_agpr)
	.set _ZN7rocprim17ROCPRIM_400000_NS6detail17trampoline_kernelINS0_14default_configENS1_36segmented_radix_sort_config_selectorIilEEZNS1_25segmented_radix_sort_implIS3_Lb0EPKiPiPKlPlN2at6native12_GLOBAL__N_18offset_tEEE10hipError_tPvRmT1_PNSt15iterator_traitsISK_E10value_typeET2_T3_PNSL_ISQ_E10value_typeET4_jRbjT5_SW_jjP12ihipStream_tbEUlT_E1_NS1_11comp_targetILNS1_3genE2ELNS1_11target_archE906ELNS1_3gpuE6ELNS1_3repE0EEENS1_59segmented_radix_sort_warp_sort_small_config_static_selectorELNS0_4arch9wavefront6targetE1EEEvSK_.numbered_sgpr, max(48, .L_ZN7rocprim17ROCPRIM_400000_NS6detail26segmented_warp_sort_helperINS1_20WarpSortHelperConfigILj8ELj4ELj256EEEilLi256ELb0EvE4sortIPKiPiPKlPlEEvT_T0_T1_T2_jjjjRNS5_12storage_typeE.numbered_sgpr)
	.set _ZN7rocprim17ROCPRIM_400000_NS6detail17trampoline_kernelINS0_14default_configENS1_36segmented_radix_sort_config_selectorIilEEZNS1_25segmented_radix_sort_implIS3_Lb0EPKiPiPKlPlN2at6native12_GLOBAL__N_18offset_tEEE10hipError_tPvRmT1_PNSt15iterator_traitsISK_E10value_typeET2_T3_PNSL_ISQ_E10value_typeET4_jRbjT5_SW_jjP12ihipStream_tbEUlT_E1_NS1_11comp_targetILNS1_3genE2ELNS1_11target_archE906ELNS1_3gpuE6ELNS1_3repE0EEENS1_59segmented_radix_sort_warp_sort_small_config_static_selectorELNS0_4arch9wavefront6targetE1EEEvSK_.num_named_barrier, max(0, .L_ZN7rocprim17ROCPRIM_400000_NS6detail26segmented_warp_sort_helperINS1_20WarpSortHelperConfigILj8ELj4ELj256EEEilLi256ELb0EvE4sortIPKiPiPKlPlEEvT_T0_T1_T2_jjjjRNS5_12storage_typeE.num_named_barrier)
	.set _ZN7rocprim17ROCPRIM_400000_NS6detail17trampoline_kernelINS0_14default_configENS1_36segmented_radix_sort_config_selectorIilEEZNS1_25segmented_radix_sort_implIS3_Lb0EPKiPiPKlPlN2at6native12_GLOBAL__N_18offset_tEEE10hipError_tPvRmT1_PNSt15iterator_traitsISK_E10value_typeET2_T3_PNSL_ISQ_E10value_typeET4_jRbjT5_SW_jjP12ihipStream_tbEUlT_E1_NS1_11comp_targetILNS1_3genE2ELNS1_11target_archE906ELNS1_3gpuE6ELNS1_3repE0EEENS1_59segmented_radix_sort_warp_sort_small_config_static_selectorELNS0_4arch9wavefront6targetE1EEEvSK_.private_seg_size, 0+max(.L_ZN7rocprim17ROCPRIM_400000_NS6detail26segmented_warp_sort_helperINS1_20WarpSortHelperConfigILj8ELj4ELj256EEEilLi256ELb0EvE4sortIPKiPiPKlPlEEvT_T0_T1_T2_jjjjRNS5_12storage_typeE.private_seg_size)
	.set _ZN7rocprim17ROCPRIM_400000_NS6detail17trampoline_kernelINS0_14default_configENS1_36segmented_radix_sort_config_selectorIilEEZNS1_25segmented_radix_sort_implIS3_Lb0EPKiPiPKlPlN2at6native12_GLOBAL__N_18offset_tEEE10hipError_tPvRmT1_PNSt15iterator_traitsISK_E10value_typeET2_T3_PNSL_ISQ_E10value_typeET4_jRbjT5_SW_jjP12ihipStream_tbEUlT_E1_NS1_11comp_targetILNS1_3genE2ELNS1_11target_archE906ELNS1_3gpuE6ELNS1_3repE0EEENS1_59segmented_radix_sort_warp_sort_small_config_static_selectorELNS0_4arch9wavefront6targetE1EEEvSK_.uses_vcc, or(1, .L_ZN7rocprim17ROCPRIM_400000_NS6detail26segmented_warp_sort_helperINS1_20WarpSortHelperConfigILj8ELj4ELj256EEEilLi256ELb0EvE4sortIPKiPiPKlPlEEvT_T0_T1_T2_jjjjRNS5_12storage_typeE.uses_vcc)
	.set _ZN7rocprim17ROCPRIM_400000_NS6detail17trampoline_kernelINS0_14default_configENS1_36segmented_radix_sort_config_selectorIilEEZNS1_25segmented_radix_sort_implIS3_Lb0EPKiPiPKlPlN2at6native12_GLOBAL__N_18offset_tEEE10hipError_tPvRmT1_PNSt15iterator_traitsISK_E10value_typeET2_T3_PNSL_ISQ_E10value_typeET4_jRbjT5_SW_jjP12ihipStream_tbEUlT_E1_NS1_11comp_targetILNS1_3genE2ELNS1_11target_archE906ELNS1_3gpuE6ELNS1_3repE0EEENS1_59segmented_radix_sort_warp_sort_small_config_static_selectorELNS0_4arch9wavefront6targetE1EEEvSK_.uses_flat_scratch, or(0, .L_ZN7rocprim17ROCPRIM_400000_NS6detail26segmented_warp_sort_helperINS1_20WarpSortHelperConfigILj8ELj4ELj256EEEilLi256ELb0EvE4sortIPKiPiPKlPlEEvT_T0_T1_T2_jjjjRNS5_12storage_typeE.uses_flat_scratch)
	.set _ZN7rocprim17ROCPRIM_400000_NS6detail17trampoline_kernelINS0_14default_configENS1_36segmented_radix_sort_config_selectorIilEEZNS1_25segmented_radix_sort_implIS3_Lb0EPKiPiPKlPlN2at6native12_GLOBAL__N_18offset_tEEE10hipError_tPvRmT1_PNSt15iterator_traitsISK_E10value_typeET2_T3_PNSL_ISQ_E10value_typeET4_jRbjT5_SW_jjP12ihipStream_tbEUlT_E1_NS1_11comp_targetILNS1_3genE2ELNS1_11target_archE906ELNS1_3gpuE6ELNS1_3repE0EEENS1_59segmented_radix_sort_warp_sort_small_config_static_selectorELNS0_4arch9wavefront6targetE1EEEvSK_.has_dyn_sized_stack, or(0, .L_ZN7rocprim17ROCPRIM_400000_NS6detail26segmented_warp_sort_helperINS1_20WarpSortHelperConfigILj8ELj4ELj256EEEilLi256ELb0EvE4sortIPKiPiPKlPlEEvT_T0_T1_T2_jjjjRNS5_12storage_typeE.has_dyn_sized_stack)
	.set _ZN7rocprim17ROCPRIM_400000_NS6detail17trampoline_kernelINS0_14default_configENS1_36segmented_radix_sort_config_selectorIilEEZNS1_25segmented_radix_sort_implIS3_Lb0EPKiPiPKlPlN2at6native12_GLOBAL__N_18offset_tEEE10hipError_tPvRmT1_PNSt15iterator_traitsISK_E10value_typeET2_T3_PNSL_ISQ_E10value_typeET4_jRbjT5_SW_jjP12ihipStream_tbEUlT_E1_NS1_11comp_targetILNS1_3genE2ELNS1_11target_archE906ELNS1_3gpuE6ELNS1_3repE0EEENS1_59segmented_radix_sort_warp_sort_small_config_static_selectorELNS0_4arch9wavefront6targetE1EEEvSK_.has_recursion, or(0, .L_ZN7rocprim17ROCPRIM_400000_NS6detail26segmented_warp_sort_helperINS1_20WarpSortHelperConfigILj8ELj4ELj256EEEilLi256ELb0EvE4sortIPKiPiPKlPlEEvT_T0_T1_T2_jjjjRNS5_12storage_typeE.has_recursion)
	.set _ZN7rocprim17ROCPRIM_400000_NS6detail17trampoline_kernelINS0_14default_configENS1_36segmented_radix_sort_config_selectorIilEEZNS1_25segmented_radix_sort_implIS3_Lb0EPKiPiPKlPlN2at6native12_GLOBAL__N_18offset_tEEE10hipError_tPvRmT1_PNSt15iterator_traitsISK_E10value_typeET2_T3_PNSL_ISQ_E10value_typeET4_jRbjT5_SW_jjP12ihipStream_tbEUlT_E1_NS1_11comp_targetILNS1_3genE2ELNS1_11target_archE906ELNS1_3gpuE6ELNS1_3repE0EEENS1_59segmented_radix_sort_warp_sort_small_config_static_selectorELNS0_4arch9wavefront6targetE1EEEvSK_.has_indirect_call, or(0, .L_ZN7rocprim17ROCPRIM_400000_NS6detail26segmented_warp_sort_helperINS1_20WarpSortHelperConfigILj8ELj4ELj256EEEilLi256ELb0EvE4sortIPKiPiPKlPlEEvT_T0_T1_T2_jjjjRNS5_12storage_typeE.has_indirect_call)
	.section	.AMDGPU.csdata,"",@progbits
; Kernel info:
; codeLenInByte = 508
; TotalNumSgprs: 52
; NumVgprs: 56
; ScratchSize: 0
; MemoryBound: 0
; FloatMode: 240
; IeeeMode: 1
; LDSByteSize: 12288 bytes/workgroup (compile time only)
; SGPRBlocks: 12
; VGPRBlocks: 13
; NumSGPRsForWavesPerEU: 102
; NumVGPRsForWavesPerEU: 56
; Occupancy: 4
; WaveLimiterHint : 0
; COMPUTE_PGM_RSRC2:SCRATCH_EN: 0
; COMPUTE_PGM_RSRC2:USER_SGPR: 6
; COMPUTE_PGM_RSRC2:TRAP_HANDLER: 0
; COMPUTE_PGM_RSRC2:TGID_X_EN: 1
; COMPUTE_PGM_RSRC2:TGID_Y_EN: 1
; COMPUTE_PGM_RSRC2:TGID_Z_EN: 0
; COMPUTE_PGM_RSRC2:TIDIG_COMP_CNT: 2
	.section	.text._ZN7rocprim17ROCPRIM_400000_NS6detail17trampoline_kernelINS0_14default_configENS1_36segmented_radix_sort_config_selectorIilEEZNS1_25segmented_radix_sort_implIS3_Lb0EPKiPiPKlPlN2at6native12_GLOBAL__N_18offset_tEEE10hipError_tPvRmT1_PNSt15iterator_traitsISK_E10value_typeET2_T3_PNSL_ISQ_E10value_typeET4_jRbjT5_SW_jjP12ihipStream_tbEUlT_E1_NS1_11comp_targetILNS1_3genE10ELNS1_11target_archE1201ELNS1_3gpuE5ELNS1_3repE0EEENS1_59segmented_radix_sort_warp_sort_small_config_static_selectorELNS0_4arch9wavefront6targetE1EEEvSK_,"axG",@progbits,_ZN7rocprim17ROCPRIM_400000_NS6detail17trampoline_kernelINS0_14default_configENS1_36segmented_radix_sort_config_selectorIilEEZNS1_25segmented_radix_sort_implIS3_Lb0EPKiPiPKlPlN2at6native12_GLOBAL__N_18offset_tEEE10hipError_tPvRmT1_PNSt15iterator_traitsISK_E10value_typeET2_T3_PNSL_ISQ_E10value_typeET4_jRbjT5_SW_jjP12ihipStream_tbEUlT_E1_NS1_11comp_targetILNS1_3genE10ELNS1_11target_archE1201ELNS1_3gpuE5ELNS1_3repE0EEENS1_59segmented_radix_sort_warp_sort_small_config_static_selectorELNS0_4arch9wavefront6targetE1EEEvSK_,comdat
	.globl	_ZN7rocprim17ROCPRIM_400000_NS6detail17trampoline_kernelINS0_14default_configENS1_36segmented_radix_sort_config_selectorIilEEZNS1_25segmented_radix_sort_implIS3_Lb0EPKiPiPKlPlN2at6native12_GLOBAL__N_18offset_tEEE10hipError_tPvRmT1_PNSt15iterator_traitsISK_E10value_typeET2_T3_PNSL_ISQ_E10value_typeET4_jRbjT5_SW_jjP12ihipStream_tbEUlT_E1_NS1_11comp_targetILNS1_3genE10ELNS1_11target_archE1201ELNS1_3gpuE5ELNS1_3repE0EEENS1_59segmented_radix_sort_warp_sort_small_config_static_selectorELNS0_4arch9wavefront6targetE1EEEvSK_ ; -- Begin function _ZN7rocprim17ROCPRIM_400000_NS6detail17trampoline_kernelINS0_14default_configENS1_36segmented_radix_sort_config_selectorIilEEZNS1_25segmented_radix_sort_implIS3_Lb0EPKiPiPKlPlN2at6native12_GLOBAL__N_18offset_tEEE10hipError_tPvRmT1_PNSt15iterator_traitsISK_E10value_typeET2_T3_PNSL_ISQ_E10value_typeET4_jRbjT5_SW_jjP12ihipStream_tbEUlT_E1_NS1_11comp_targetILNS1_3genE10ELNS1_11target_archE1201ELNS1_3gpuE5ELNS1_3repE0EEENS1_59segmented_radix_sort_warp_sort_small_config_static_selectorELNS0_4arch9wavefront6targetE1EEEvSK_
	.p2align	8
	.type	_ZN7rocprim17ROCPRIM_400000_NS6detail17trampoline_kernelINS0_14default_configENS1_36segmented_radix_sort_config_selectorIilEEZNS1_25segmented_radix_sort_implIS3_Lb0EPKiPiPKlPlN2at6native12_GLOBAL__N_18offset_tEEE10hipError_tPvRmT1_PNSt15iterator_traitsISK_E10value_typeET2_T3_PNSL_ISQ_E10value_typeET4_jRbjT5_SW_jjP12ihipStream_tbEUlT_E1_NS1_11comp_targetILNS1_3genE10ELNS1_11target_archE1201ELNS1_3gpuE5ELNS1_3repE0EEENS1_59segmented_radix_sort_warp_sort_small_config_static_selectorELNS0_4arch9wavefront6targetE1EEEvSK_,@function
_ZN7rocprim17ROCPRIM_400000_NS6detail17trampoline_kernelINS0_14default_configENS1_36segmented_radix_sort_config_selectorIilEEZNS1_25segmented_radix_sort_implIS3_Lb0EPKiPiPKlPlN2at6native12_GLOBAL__N_18offset_tEEE10hipError_tPvRmT1_PNSt15iterator_traitsISK_E10value_typeET2_T3_PNSL_ISQ_E10value_typeET4_jRbjT5_SW_jjP12ihipStream_tbEUlT_E1_NS1_11comp_targetILNS1_3genE10ELNS1_11target_archE1201ELNS1_3gpuE5ELNS1_3repE0EEENS1_59segmented_radix_sort_warp_sort_small_config_static_selectorELNS0_4arch9wavefront6targetE1EEEvSK_: ; @_ZN7rocprim17ROCPRIM_400000_NS6detail17trampoline_kernelINS0_14default_configENS1_36segmented_radix_sort_config_selectorIilEEZNS1_25segmented_radix_sort_implIS3_Lb0EPKiPiPKlPlN2at6native12_GLOBAL__N_18offset_tEEE10hipError_tPvRmT1_PNSt15iterator_traitsISK_E10value_typeET2_T3_PNSL_ISQ_E10value_typeET4_jRbjT5_SW_jjP12ihipStream_tbEUlT_E1_NS1_11comp_targetILNS1_3genE10ELNS1_11target_archE1201ELNS1_3gpuE5ELNS1_3repE0EEENS1_59segmented_radix_sort_warp_sort_small_config_static_selectorELNS0_4arch9wavefront6targetE1EEEvSK_
; %bb.0:
	.section	.rodata,"a",@progbits
	.p2align	6, 0x0
	.amdhsa_kernel _ZN7rocprim17ROCPRIM_400000_NS6detail17trampoline_kernelINS0_14default_configENS1_36segmented_radix_sort_config_selectorIilEEZNS1_25segmented_radix_sort_implIS3_Lb0EPKiPiPKlPlN2at6native12_GLOBAL__N_18offset_tEEE10hipError_tPvRmT1_PNSt15iterator_traitsISK_E10value_typeET2_T3_PNSL_ISQ_E10value_typeET4_jRbjT5_SW_jjP12ihipStream_tbEUlT_E1_NS1_11comp_targetILNS1_3genE10ELNS1_11target_archE1201ELNS1_3gpuE5ELNS1_3repE0EEENS1_59segmented_radix_sort_warp_sort_small_config_static_selectorELNS0_4arch9wavefront6targetE1EEEvSK_
		.amdhsa_group_segment_fixed_size 0
		.amdhsa_private_segment_fixed_size 0
		.amdhsa_kernarg_size 88
		.amdhsa_user_sgpr_count 6
		.amdhsa_user_sgpr_private_segment_buffer 1
		.amdhsa_user_sgpr_dispatch_ptr 0
		.amdhsa_user_sgpr_queue_ptr 0
		.amdhsa_user_sgpr_kernarg_segment_ptr 1
		.amdhsa_user_sgpr_dispatch_id 0
		.amdhsa_user_sgpr_flat_scratch_init 0
		.amdhsa_user_sgpr_private_segment_size 0
		.amdhsa_uses_dynamic_stack 0
		.amdhsa_system_sgpr_private_segment_wavefront_offset 0
		.amdhsa_system_sgpr_workgroup_id_x 1
		.amdhsa_system_sgpr_workgroup_id_y 0
		.amdhsa_system_sgpr_workgroup_id_z 0
		.amdhsa_system_sgpr_workgroup_info 0
		.amdhsa_system_vgpr_workitem_id 0
		.amdhsa_next_free_vgpr 1
		.amdhsa_next_free_sgpr 0
		.amdhsa_reserve_vcc 0
		.amdhsa_reserve_flat_scratch 0
		.amdhsa_float_round_mode_32 0
		.amdhsa_float_round_mode_16_64 0
		.amdhsa_float_denorm_mode_32 3
		.amdhsa_float_denorm_mode_16_64 3
		.amdhsa_dx10_clamp 1
		.amdhsa_ieee_mode 1
		.amdhsa_fp16_overflow 0
		.amdhsa_exception_fp_ieee_invalid_op 0
		.amdhsa_exception_fp_denorm_src 0
		.amdhsa_exception_fp_ieee_div_zero 0
		.amdhsa_exception_fp_ieee_overflow 0
		.amdhsa_exception_fp_ieee_underflow 0
		.amdhsa_exception_fp_ieee_inexact 0
		.amdhsa_exception_int_div_zero 0
	.end_amdhsa_kernel
	.section	.text._ZN7rocprim17ROCPRIM_400000_NS6detail17trampoline_kernelINS0_14default_configENS1_36segmented_radix_sort_config_selectorIilEEZNS1_25segmented_radix_sort_implIS3_Lb0EPKiPiPKlPlN2at6native12_GLOBAL__N_18offset_tEEE10hipError_tPvRmT1_PNSt15iterator_traitsISK_E10value_typeET2_T3_PNSL_ISQ_E10value_typeET4_jRbjT5_SW_jjP12ihipStream_tbEUlT_E1_NS1_11comp_targetILNS1_3genE10ELNS1_11target_archE1201ELNS1_3gpuE5ELNS1_3repE0EEENS1_59segmented_radix_sort_warp_sort_small_config_static_selectorELNS0_4arch9wavefront6targetE1EEEvSK_,"axG",@progbits,_ZN7rocprim17ROCPRIM_400000_NS6detail17trampoline_kernelINS0_14default_configENS1_36segmented_radix_sort_config_selectorIilEEZNS1_25segmented_radix_sort_implIS3_Lb0EPKiPiPKlPlN2at6native12_GLOBAL__N_18offset_tEEE10hipError_tPvRmT1_PNSt15iterator_traitsISK_E10value_typeET2_T3_PNSL_ISQ_E10value_typeET4_jRbjT5_SW_jjP12ihipStream_tbEUlT_E1_NS1_11comp_targetILNS1_3genE10ELNS1_11target_archE1201ELNS1_3gpuE5ELNS1_3repE0EEENS1_59segmented_radix_sort_warp_sort_small_config_static_selectorELNS0_4arch9wavefront6targetE1EEEvSK_,comdat
.Lfunc_end626:
	.size	_ZN7rocprim17ROCPRIM_400000_NS6detail17trampoline_kernelINS0_14default_configENS1_36segmented_radix_sort_config_selectorIilEEZNS1_25segmented_radix_sort_implIS3_Lb0EPKiPiPKlPlN2at6native12_GLOBAL__N_18offset_tEEE10hipError_tPvRmT1_PNSt15iterator_traitsISK_E10value_typeET2_T3_PNSL_ISQ_E10value_typeET4_jRbjT5_SW_jjP12ihipStream_tbEUlT_E1_NS1_11comp_targetILNS1_3genE10ELNS1_11target_archE1201ELNS1_3gpuE5ELNS1_3repE0EEENS1_59segmented_radix_sort_warp_sort_small_config_static_selectorELNS0_4arch9wavefront6targetE1EEEvSK_, .Lfunc_end626-_ZN7rocprim17ROCPRIM_400000_NS6detail17trampoline_kernelINS0_14default_configENS1_36segmented_radix_sort_config_selectorIilEEZNS1_25segmented_radix_sort_implIS3_Lb0EPKiPiPKlPlN2at6native12_GLOBAL__N_18offset_tEEE10hipError_tPvRmT1_PNSt15iterator_traitsISK_E10value_typeET2_T3_PNSL_ISQ_E10value_typeET4_jRbjT5_SW_jjP12ihipStream_tbEUlT_E1_NS1_11comp_targetILNS1_3genE10ELNS1_11target_archE1201ELNS1_3gpuE5ELNS1_3repE0EEENS1_59segmented_radix_sort_warp_sort_small_config_static_selectorELNS0_4arch9wavefront6targetE1EEEvSK_
                                        ; -- End function
	.set _ZN7rocprim17ROCPRIM_400000_NS6detail17trampoline_kernelINS0_14default_configENS1_36segmented_radix_sort_config_selectorIilEEZNS1_25segmented_radix_sort_implIS3_Lb0EPKiPiPKlPlN2at6native12_GLOBAL__N_18offset_tEEE10hipError_tPvRmT1_PNSt15iterator_traitsISK_E10value_typeET2_T3_PNSL_ISQ_E10value_typeET4_jRbjT5_SW_jjP12ihipStream_tbEUlT_E1_NS1_11comp_targetILNS1_3genE10ELNS1_11target_archE1201ELNS1_3gpuE5ELNS1_3repE0EEENS1_59segmented_radix_sort_warp_sort_small_config_static_selectorELNS0_4arch9wavefront6targetE1EEEvSK_.num_vgpr, 0
	.set _ZN7rocprim17ROCPRIM_400000_NS6detail17trampoline_kernelINS0_14default_configENS1_36segmented_radix_sort_config_selectorIilEEZNS1_25segmented_radix_sort_implIS3_Lb0EPKiPiPKlPlN2at6native12_GLOBAL__N_18offset_tEEE10hipError_tPvRmT1_PNSt15iterator_traitsISK_E10value_typeET2_T3_PNSL_ISQ_E10value_typeET4_jRbjT5_SW_jjP12ihipStream_tbEUlT_E1_NS1_11comp_targetILNS1_3genE10ELNS1_11target_archE1201ELNS1_3gpuE5ELNS1_3repE0EEENS1_59segmented_radix_sort_warp_sort_small_config_static_selectorELNS0_4arch9wavefront6targetE1EEEvSK_.num_agpr, 0
	.set _ZN7rocprim17ROCPRIM_400000_NS6detail17trampoline_kernelINS0_14default_configENS1_36segmented_radix_sort_config_selectorIilEEZNS1_25segmented_radix_sort_implIS3_Lb0EPKiPiPKlPlN2at6native12_GLOBAL__N_18offset_tEEE10hipError_tPvRmT1_PNSt15iterator_traitsISK_E10value_typeET2_T3_PNSL_ISQ_E10value_typeET4_jRbjT5_SW_jjP12ihipStream_tbEUlT_E1_NS1_11comp_targetILNS1_3genE10ELNS1_11target_archE1201ELNS1_3gpuE5ELNS1_3repE0EEENS1_59segmented_radix_sort_warp_sort_small_config_static_selectorELNS0_4arch9wavefront6targetE1EEEvSK_.numbered_sgpr, 0
	.set _ZN7rocprim17ROCPRIM_400000_NS6detail17trampoline_kernelINS0_14default_configENS1_36segmented_radix_sort_config_selectorIilEEZNS1_25segmented_radix_sort_implIS3_Lb0EPKiPiPKlPlN2at6native12_GLOBAL__N_18offset_tEEE10hipError_tPvRmT1_PNSt15iterator_traitsISK_E10value_typeET2_T3_PNSL_ISQ_E10value_typeET4_jRbjT5_SW_jjP12ihipStream_tbEUlT_E1_NS1_11comp_targetILNS1_3genE10ELNS1_11target_archE1201ELNS1_3gpuE5ELNS1_3repE0EEENS1_59segmented_radix_sort_warp_sort_small_config_static_selectorELNS0_4arch9wavefront6targetE1EEEvSK_.num_named_barrier, 0
	.set _ZN7rocprim17ROCPRIM_400000_NS6detail17trampoline_kernelINS0_14default_configENS1_36segmented_radix_sort_config_selectorIilEEZNS1_25segmented_radix_sort_implIS3_Lb0EPKiPiPKlPlN2at6native12_GLOBAL__N_18offset_tEEE10hipError_tPvRmT1_PNSt15iterator_traitsISK_E10value_typeET2_T3_PNSL_ISQ_E10value_typeET4_jRbjT5_SW_jjP12ihipStream_tbEUlT_E1_NS1_11comp_targetILNS1_3genE10ELNS1_11target_archE1201ELNS1_3gpuE5ELNS1_3repE0EEENS1_59segmented_radix_sort_warp_sort_small_config_static_selectorELNS0_4arch9wavefront6targetE1EEEvSK_.private_seg_size, 0
	.set _ZN7rocprim17ROCPRIM_400000_NS6detail17trampoline_kernelINS0_14default_configENS1_36segmented_radix_sort_config_selectorIilEEZNS1_25segmented_radix_sort_implIS3_Lb0EPKiPiPKlPlN2at6native12_GLOBAL__N_18offset_tEEE10hipError_tPvRmT1_PNSt15iterator_traitsISK_E10value_typeET2_T3_PNSL_ISQ_E10value_typeET4_jRbjT5_SW_jjP12ihipStream_tbEUlT_E1_NS1_11comp_targetILNS1_3genE10ELNS1_11target_archE1201ELNS1_3gpuE5ELNS1_3repE0EEENS1_59segmented_radix_sort_warp_sort_small_config_static_selectorELNS0_4arch9wavefront6targetE1EEEvSK_.uses_vcc, 0
	.set _ZN7rocprim17ROCPRIM_400000_NS6detail17trampoline_kernelINS0_14default_configENS1_36segmented_radix_sort_config_selectorIilEEZNS1_25segmented_radix_sort_implIS3_Lb0EPKiPiPKlPlN2at6native12_GLOBAL__N_18offset_tEEE10hipError_tPvRmT1_PNSt15iterator_traitsISK_E10value_typeET2_T3_PNSL_ISQ_E10value_typeET4_jRbjT5_SW_jjP12ihipStream_tbEUlT_E1_NS1_11comp_targetILNS1_3genE10ELNS1_11target_archE1201ELNS1_3gpuE5ELNS1_3repE0EEENS1_59segmented_radix_sort_warp_sort_small_config_static_selectorELNS0_4arch9wavefront6targetE1EEEvSK_.uses_flat_scratch, 0
	.set _ZN7rocprim17ROCPRIM_400000_NS6detail17trampoline_kernelINS0_14default_configENS1_36segmented_radix_sort_config_selectorIilEEZNS1_25segmented_radix_sort_implIS3_Lb0EPKiPiPKlPlN2at6native12_GLOBAL__N_18offset_tEEE10hipError_tPvRmT1_PNSt15iterator_traitsISK_E10value_typeET2_T3_PNSL_ISQ_E10value_typeET4_jRbjT5_SW_jjP12ihipStream_tbEUlT_E1_NS1_11comp_targetILNS1_3genE10ELNS1_11target_archE1201ELNS1_3gpuE5ELNS1_3repE0EEENS1_59segmented_radix_sort_warp_sort_small_config_static_selectorELNS0_4arch9wavefront6targetE1EEEvSK_.has_dyn_sized_stack, 0
	.set _ZN7rocprim17ROCPRIM_400000_NS6detail17trampoline_kernelINS0_14default_configENS1_36segmented_radix_sort_config_selectorIilEEZNS1_25segmented_radix_sort_implIS3_Lb0EPKiPiPKlPlN2at6native12_GLOBAL__N_18offset_tEEE10hipError_tPvRmT1_PNSt15iterator_traitsISK_E10value_typeET2_T3_PNSL_ISQ_E10value_typeET4_jRbjT5_SW_jjP12ihipStream_tbEUlT_E1_NS1_11comp_targetILNS1_3genE10ELNS1_11target_archE1201ELNS1_3gpuE5ELNS1_3repE0EEENS1_59segmented_radix_sort_warp_sort_small_config_static_selectorELNS0_4arch9wavefront6targetE1EEEvSK_.has_recursion, 0
	.set _ZN7rocprim17ROCPRIM_400000_NS6detail17trampoline_kernelINS0_14default_configENS1_36segmented_radix_sort_config_selectorIilEEZNS1_25segmented_radix_sort_implIS3_Lb0EPKiPiPKlPlN2at6native12_GLOBAL__N_18offset_tEEE10hipError_tPvRmT1_PNSt15iterator_traitsISK_E10value_typeET2_T3_PNSL_ISQ_E10value_typeET4_jRbjT5_SW_jjP12ihipStream_tbEUlT_E1_NS1_11comp_targetILNS1_3genE10ELNS1_11target_archE1201ELNS1_3gpuE5ELNS1_3repE0EEENS1_59segmented_radix_sort_warp_sort_small_config_static_selectorELNS0_4arch9wavefront6targetE1EEEvSK_.has_indirect_call, 0
	.section	.AMDGPU.csdata,"",@progbits
; Kernel info:
; codeLenInByte = 0
; TotalNumSgprs: 4
; NumVgprs: 0
; ScratchSize: 0
; MemoryBound: 0
; FloatMode: 240
; IeeeMode: 1
; LDSByteSize: 0 bytes/workgroup (compile time only)
; SGPRBlocks: 0
; VGPRBlocks: 0
; NumSGPRsForWavesPerEU: 4
; NumVGPRsForWavesPerEU: 1
; Occupancy: 10
; WaveLimiterHint : 0
; COMPUTE_PGM_RSRC2:SCRATCH_EN: 0
; COMPUTE_PGM_RSRC2:USER_SGPR: 6
; COMPUTE_PGM_RSRC2:TRAP_HANDLER: 0
; COMPUTE_PGM_RSRC2:TGID_X_EN: 1
; COMPUTE_PGM_RSRC2:TGID_Y_EN: 0
; COMPUTE_PGM_RSRC2:TGID_Z_EN: 0
; COMPUTE_PGM_RSRC2:TIDIG_COMP_CNT: 0
	.section	.text._ZN7rocprim17ROCPRIM_400000_NS6detail17trampoline_kernelINS0_14default_configENS1_36segmented_radix_sort_config_selectorIilEEZNS1_25segmented_radix_sort_implIS3_Lb0EPKiPiPKlPlN2at6native12_GLOBAL__N_18offset_tEEE10hipError_tPvRmT1_PNSt15iterator_traitsISK_E10value_typeET2_T3_PNSL_ISQ_E10value_typeET4_jRbjT5_SW_jjP12ihipStream_tbEUlT_E1_NS1_11comp_targetILNS1_3genE10ELNS1_11target_archE1200ELNS1_3gpuE4ELNS1_3repE0EEENS1_59segmented_radix_sort_warp_sort_small_config_static_selectorELNS0_4arch9wavefront6targetE1EEEvSK_,"axG",@progbits,_ZN7rocprim17ROCPRIM_400000_NS6detail17trampoline_kernelINS0_14default_configENS1_36segmented_radix_sort_config_selectorIilEEZNS1_25segmented_radix_sort_implIS3_Lb0EPKiPiPKlPlN2at6native12_GLOBAL__N_18offset_tEEE10hipError_tPvRmT1_PNSt15iterator_traitsISK_E10value_typeET2_T3_PNSL_ISQ_E10value_typeET4_jRbjT5_SW_jjP12ihipStream_tbEUlT_E1_NS1_11comp_targetILNS1_3genE10ELNS1_11target_archE1200ELNS1_3gpuE4ELNS1_3repE0EEENS1_59segmented_radix_sort_warp_sort_small_config_static_selectorELNS0_4arch9wavefront6targetE1EEEvSK_,comdat
	.globl	_ZN7rocprim17ROCPRIM_400000_NS6detail17trampoline_kernelINS0_14default_configENS1_36segmented_radix_sort_config_selectorIilEEZNS1_25segmented_radix_sort_implIS3_Lb0EPKiPiPKlPlN2at6native12_GLOBAL__N_18offset_tEEE10hipError_tPvRmT1_PNSt15iterator_traitsISK_E10value_typeET2_T3_PNSL_ISQ_E10value_typeET4_jRbjT5_SW_jjP12ihipStream_tbEUlT_E1_NS1_11comp_targetILNS1_3genE10ELNS1_11target_archE1200ELNS1_3gpuE4ELNS1_3repE0EEENS1_59segmented_radix_sort_warp_sort_small_config_static_selectorELNS0_4arch9wavefront6targetE1EEEvSK_ ; -- Begin function _ZN7rocprim17ROCPRIM_400000_NS6detail17trampoline_kernelINS0_14default_configENS1_36segmented_radix_sort_config_selectorIilEEZNS1_25segmented_radix_sort_implIS3_Lb0EPKiPiPKlPlN2at6native12_GLOBAL__N_18offset_tEEE10hipError_tPvRmT1_PNSt15iterator_traitsISK_E10value_typeET2_T3_PNSL_ISQ_E10value_typeET4_jRbjT5_SW_jjP12ihipStream_tbEUlT_E1_NS1_11comp_targetILNS1_3genE10ELNS1_11target_archE1200ELNS1_3gpuE4ELNS1_3repE0EEENS1_59segmented_radix_sort_warp_sort_small_config_static_selectorELNS0_4arch9wavefront6targetE1EEEvSK_
	.p2align	8
	.type	_ZN7rocprim17ROCPRIM_400000_NS6detail17trampoline_kernelINS0_14default_configENS1_36segmented_radix_sort_config_selectorIilEEZNS1_25segmented_radix_sort_implIS3_Lb0EPKiPiPKlPlN2at6native12_GLOBAL__N_18offset_tEEE10hipError_tPvRmT1_PNSt15iterator_traitsISK_E10value_typeET2_T3_PNSL_ISQ_E10value_typeET4_jRbjT5_SW_jjP12ihipStream_tbEUlT_E1_NS1_11comp_targetILNS1_3genE10ELNS1_11target_archE1200ELNS1_3gpuE4ELNS1_3repE0EEENS1_59segmented_radix_sort_warp_sort_small_config_static_selectorELNS0_4arch9wavefront6targetE1EEEvSK_,@function
_ZN7rocprim17ROCPRIM_400000_NS6detail17trampoline_kernelINS0_14default_configENS1_36segmented_radix_sort_config_selectorIilEEZNS1_25segmented_radix_sort_implIS3_Lb0EPKiPiPKlPlN2at6native12_GLOBAL__N_18offset_tEEE10hipError_tPvRmT1_PNSt15iterator_traitsISK_E10value_typeET2_T3_PNSL_ISQ_E10value_typeET4_jRbjT5_SW_jjP12ihipStream_tbEUlT_E1_NS1_11comp_targetILNS1_3genE10ELNS1_11target_archE1200ELNS1_3gpuE4ELNS1_3repE0EEENS1_59segmented_radix_sort_warp_sort_small_config_static_selectorELNS0_4arch9wavefront6targetE1EEEvSK_: ; @_ZN7rocprim17ROCPRIM_400000_NS6detail17trampoline_kernelINS0_14default_configENS1_36segmented_radix_sort_config_selectorIilEEZNS1_25segmented_radix_sort_implIS3_Lb0EPKiPiPKlPlN2at6native12_GLOBAL__N_18offset_tEEE10hipError_tPvRmT1_PNSt15iterator_traitsISK_E10value_typeET2_T3_PNSL_ISQ_E10value_typeET4_jRbjT5_SW_jjP12ihipStream_tbEUlT_E1_NS1_11comp_targetILNS1_3genE10ELNS1_11target_archE1200ELNS1_3gpuE4ELNS1_3repE0EEENS1_59segmented_radix_sort_warp_sort_small_config_static_selectorELNS0_4arch9wavefront6targetE1EEEvSK_
; %bb.0:
	.section	.rodata,"a",@progbits
	.p2align	6, 0x0
	.amdhsa_kernel _ZN7rocprim17ROCPRIM_400000_NS6detail17trampoline_kernelINS0_14default_configENS1_36segmented_radix_sort_config_selectorIilEEZNS1_25segmented_radix_sort_implIS3_Lb0EPKiPiPKlPlN2at6native12_GLOBAL__N_18offset_tEEE10hipError_tPvRmT1_PNSt15iterator_traitsISK_E10value_typeET2_T3_PNSL_ISQ_E10value_typeET4_jRbjT5_SW_jjP12ihipStream_tbEUlT_E1_NS1_11comp_targetILNS1_3genE10ELNS1_11target_archE1200ELNS1_3gpuE4ELNS1_3repE0EEENS1_59segmented_radix_sort_warp_sort_small_config_static_selectorELNS0_4arch9wavefront6targetE1EEEvSK_
		.amdhsa_group_segment_fixed_size 0
		.amdhsa_private_segment_fixed_size 0
		.amdhsa_kernarg_size 88
		.amdhsa_user_sgpr_count 6
		.amdhsa_user_sgpr_private_segment_buffer 1
		.amdhsa_user_sgpr_dispatch_ptr 0
		.amdhsa_user_sgpr_queue_ptr 0
		.amdhsa_user_sgpr_kernarg_segment_ptr 1
		.amdhsa_user_sgpr_dispatch_id 0
		.amdhsa_user_sgpr_flat_scratch_init 0
		.amdhsa_user_sgpr_private_segment_size 0
		.amdhsa_uses_dynamic_stack 0
		.amdhsa_system_sgpr_private_segment_wavefront_offset 0
		.amdhsa_system_sgpr_workgroup_id_x 1
		.amdhsa_system_sgpr_workgroup_id_y 0
		.amdhsa_system_sgpr_workgroup_id_z 0
		.amdhsa_system_sgpr_workgroup_info 0
		.amdhsa_system_vgpr_workitem_id 0
		.amdhsa_next_free_vgpr 1
		.amdhsa_next_free_sgpr 0
		.amdhsa_reserve_vcc 0
		.amdhsa_reserve_flat_scratch 0
		.amdhsa_float_round_mode_32 0
		.amdhsa_float_round_mode_16_64 0
		.amdhsa_float_denorm_mode_32 3
		.amdhsa_float_denorm_mode_16_64 3
		.amdhsa_dx10_clamp 1
		.amdhsa_ieee_mode 1
		.amdhsa_fp16_overflow 0
		.amdhsa_exception_fp_ieee_invalid_op 0
		.amdhsa_exception_fp_denorm_src 0
		.amdhsa_exception_fp_ieee_div_zero 0
		.amdhsa_exception_fp_ieee_overflow 0
		.amdhsa_exception_fp_ieee_underflow 0
		.amdhsa_exception_fp_ieee_inexact 0
		.amdhsa_exception_int_div_zero 0
	.end_amdhsa_kernel
	.section	.text._ZN7rocprim17ROCPRIM_400000_NS6detail17trampoline_kernelINS0_14default_configENS1_36segmented_radix_sort_config_selectorIilEEZNS1_25segmented_radix_sort_implIS3_Lb0EPKiPiPKlPlN2at6native12_GLOBAL__N_18offset_tEEE10hipError_tPvRmT1_PNSt15iterator_traitsISK_E10value_typeET2_T3_PNSL_ISQ_E10value_typeET4_jRbjT5_SW_jjP12ihipStream_tbEUlT_E1_NS1_11comp_targetILNS1_3genE10ELNS1_11target_archE1200ELNS1_3gpuE4ELNS1_3repE0EEENS1_59segmented_radix_sort_warp_sort_small_config_static_selectorELNS0_4arch9wavefront6targetE1EEEvSK_,"axG",@progbits,_ZN7rocprim17ROCPRIM_400000_NS6detail17trampoline_kernelINS0_14default_configENS1_36segmented_radix_sort_config_selectorIilEEZNS1_25segmented_radix_sort_implIS3_Lb0EPKiPiPKlPlN2at6native12_GLOBAL__N_18offset_tEEE10hipError_tPvRmT1_PNSt15iterator_traitsISK_E10value_typeET2_T3_PNSL_ISQ_E10value_typeET4_jRbjT5_SW_jjP12ihipStream_tbEUlT_E1_NS1_11comp_targetILNS1_3genE10ELNS1_11target_archE1200ELNS1_3gpuE4ELNS1_3repE0EEENS1_59segmented_radix_sort_warp_sort_small_config_static_selectorELNS0_4arch9wavefront6targetE1EEEvSK_,comdat
.Lfunc_end627:
	.size	_ZN7rocprim17ROCPRIM_400000_NS6detail17trampoline_kernelINS0_14default_configENS1_36segmented_radix_sort_config_selectorIilEEZNS1_25segmented_radix_sort_implIS3_Lb0EPKiPiPKlPlN2at6native12_GLOBAL__N_18offset_tEEE10hipError_tPvRmT1_PNSt15iterator_traitsISK_E10value_typeET2_T3_PNSL_ISQ_E10value_typeET4_jRbjT5_SW_jjP12ihipStream_tbEUlT_E1_NS1_11comp_targetILNS1_3genE10ELNS1_11target_archE1200ELNS1_3gpuE4ELNS1_3repE0EEENS1_59segmented_radix_sort_warp_sort_small_config_static_selectorELNS0_4arch9wavefront6targetE1EEEvSK_, .Lfunc_end627-_ZN7rocprim17ROCPRIM_400000_NS6detail17trampoline_kernelINS0_14default_configENS1_36segmented_radix_sort_config_selectorIilEEZNS1_25segmented_radix_sort_implIS3_Lb0EPKiPiPKlPlN2at6native12_GLOBAL__N_18offset_tEEE10hipError_tPvRmT1_PNSt15iterator_traitsISK_E10value_typeET2_T3_PNSL_ISQ_E10value_typeET4_jRbjT5_SW_jjP12ihipStream_tbEUlT_E1_NS1_11comp_targetILNS1_3genE10ELNS1_11target_archE1200ELNS1_3gpuE4ELNS1_3repE0EEENS1_59segmented_radix_sort_warp_sort_small_config_static_selectorELNS0_4arch9wavefront6targetE1EEEvSK_
                                        ; -- End function
	.set _ZN7rocprim17ROCPRIM_400000_NS6detail17trampoline_kernelINS0_14default_configENS1_36segmented_radix_sort_config_selectorIilEEZNS1_25segmented_radix_sort_implIS3_Lb0EPKiPiPKlPlN2at6native12_GLOBAL__N_18offset_tEEE10hipError_tPvRmT1_PNSt15iterator_traitsISK_E10value_typeET2_T3_PNSL_ISQ_E10value_typeET4_jRbjT5_SW_jjP12ihipStream_tbEUlT_E1_NS1_11comp_targetILNS1_3genE10ELNS1_11target_archE1200ELNS1_3gpuE4ELNS1_3repE0EEENS1_59segmented_radix_sort_warp_sort_small_config_static_selectorELNS0_4arch9wavefront6targetE1EEEvSK_.num_vgpr, 0
	.set _ZN7rocprim17ROCPRIM_400000_NS6detail17trampoline_kernelINS0_14default_configENS1_36segmented_radix_sort_config_selectorIilEEZNS1_25segmented_radix_sort_implIS3_Lb0EPKiPiPKlPlN2at6native12_GLOBAL__N_18offset_tEEE10hipError_tPvRmT1_PNSt15iterator_traitsISK_E10value_typeET2_T3_PNSL_ISQ_E10value_typeET4_jRbjT5_SW_jjP12ihipStream_tbEUlT_E1_NS1_11comp_targetILNS1_3genE10ELNS1_11target_archE1200ELNS1_3gpuE4ELNS1_3repE0EEENS1_59segmented_radix_sort_warp_sort_small_config_static_selectorELNS0_4arch9wavefront6targetE1EEEvSK_.num_agpr, 0
	.set _ZN7rocprim17ROCPRIM_400000_NS6detail17trampoline_kernelINS0_14default_configENS1_36segmented_radix_sort_config_selectorIilEEZNS1_25segmented_radix_sort_implIS3_Lb0EPKiPiPKlPlN2at6native12_GLOBAL__N_18offset_tEEE10hipError_tPvRmT1_PNSt15iterator_traitsISK_E10value_typeET2_T3_PNSL_ISQ_E10value_typeET4_jRbjT5_SW_jjP12ihipStream_tbEUlT_E1_NS1_11comp_targetILNS1_3genE10ELNS1_11target_archE1200ELNS1_3gpuE4ELNS1_3repE0EEENS1_59segmented_radix_sort_warp_sort_small_config_static_selectorELNS0_4arch9wavefront6targetE1EEEvSK_.numbered_sgpr, 0
	.set _ZN7rocprim17ROCPRIM_400000_NS6detail17trampoline_kernelINS0_14default_configENS1_36segmented_radix_sort_config_selectorIilEEZNS1_25segmented_radix_sort_implIS3_Lb0EPKiPiPKlPlN2at6native12_GLOBAL__N_18offset_tEEE10hipError_tPvRmT1_PNSt15iterator_traitsISK_E10value_typeET2_T3_PNSL_ISQ_E10value_typeET4_jRbjT5_SW_jjP12ihipStream_tbEUlT_E1_NS1_11comp_targetILNS1_3genE10ELNS1_11target_archE1200ELNS1_3gpuE4ELNS1_3repE0EEENS1_59segmented_radix_sort_warp_sort_small_config_static_selectorELNS0_4arch9wavefront6targetE1EEEvSK_.num_named_barrier, 0
	.set _ZN7rocprim17ROCPRIM_400000_NS6detail17trampoline_kernelINS0_14default_configENS1_36segmented_radix_sort_config_selectorIilEEZNS1_25segmented_radix_sort_implIS3_Lb0EPKiPiPKlPlN2at6native12_GLOBAL__N_18offset_tEEE10hipError_tPvRmT1_PNSt15iterator_traitsISK_E10value_typeET2_T3_PNSL_ISQ_E10value_typeET4_jRbjT5_SW_jjP12ihipStream_tbEUlT_E1_NS1_11comp_targetILNS1_3genE10ELNS1_11target_archE1200ELNS1_3gpuE4ELNS1_3repE0EEENS1_59segmented_radix_sort_warp_sort_small_config_static_selectorELNS0_4arch9wavefront6targetE1EEEvSK_.private_seg_size, 0
	.set _ZN7rocprim17ROCPRIM_400000_NS6detail17trampoline_kernelINS0_14default_configENS1_36segmented_radix_sort_config_selectorIilEEZNS1_25segmented_radix_sort_implIS3_Lb0EPKiPiPKlPlN2at6native12_GLOBAL__N_18offset_tEEE10hipError_tPvRmT1_PNSt15iterator_traitsISK_E10value_typeET2_T3_PNSL_ISQ_E10value_typeET4_jRbjT5_SW_jjP12ihipStream_tbEUlT_E1_NS1_11comp_targetILNS1_3genE10ELNS1_11target_archE1200ELNS1_3gpuE4ELNS1_3repE0EEENS1_59segmented_radix_sort_warp_sort_small_config_static_selectorELNS0_4arch9wavefront6targetE1EEEvSK_.uses_vcc, 0
	.set _ZN7rocprim17ROCPRIM_400000_NS6detail17trampoline_kernelINS0_14default_configENS1_36segmented_radix_sort_config_selectorIilEEZNS1_25segmented_radix_sort_implIS3_Lb0EPKiPiPKlPlN2at6native12_GLOBAL__N_18offset_tEEE10hipError_tPvRmT1_PNSt15iterator_traitsISK_E10value_typeET2_T3_PNSL_ISQ_E10value_typeET4_jRbjT5_SW_jjP12ihipStream_tbEUlT_E1_NS1_11comp_targetILNS1_3genE10ELNS1_11target_archE1200ELNS1_3gpuE4ELNS1_3repE0EEENS1_59segmented_radix_sort_warp_sort_small_config_static_selectorELNS0_4arch9wavefront6targetE1EEEvSK_.uses_flat_scratch, 0
	.set _ZN7rocprim17ROCPRIM_400000_NS6detail17trampoline_kernelINS0_14default_configENS1_36segmented_radix_sort_config_selectorIilEEZNS1_25segmented_radix_sort_implIS3_Lb0EPKiPiPKlPlN2at6native12_GLOBAL__N_18offset_tEEE10hipError_tPvRmT1_PNSt15iterator_traitsISK_E10value_typeET2_T3_PNSL_ISQ_E10value_typeET4_jRbjT5_SW_jjP12ihipStream_tbEUlT_E1_NS1_11comp_targetILNS1_3genE10ELNS1_11target_archE1200ELNS1_3gpuE4ELNS1_3repE0EEENS1_59segmented_radix_sort_warp_sort_small_config_static_selectorELNS0_4arch9wavefront6targetE1EEEvSK_.has_dyn_sized_stack, 0
	.set _ZN7rocprim17ROCPRIM_400000_NS6detail17trampoline_kernelINS0_14default_configENS1_36segmented_radix_sort_config_selectorIilEEZNS1_25segmented_radix_sort_implIS3_Lb0EPKiPiPKlPlN2at6native12_GLOBAL__N_18offset_tEEE10hipError_tPvRmT1_PNSt15iterator_traitsISK_E10value_typeET2_T3_PNSL_ISQ_E10value_typeET4_jRbjT5_SW_jjP12ihipStream_tbEUlT_E1_NS1_11comp_targetILNS1_3genE10ELNS1_11target_archE1200ELNS1_3gpuE4ELNS1_3repE0EEENS1_59segmented_radix_sort_warp_sort_small_config_static_selectorELNS0_4arch9wavefront6targetE1EEEvSK_.has_recursion, 0
	.set _ZN7rocprim17ROCPRIM_400000_NS6detail17trampoline_kernelINS0_14default_configENS1_36segmented_radix_sort_config_selectorIilEEZNS1_25segmented_radix_sort_implIS3_Lb0EPKiPiPKlPlN2at6native12_GLOBAL__N_18offset_tEEE10hipError_tPvRmT1_PNSt15iterator_traitsISK_E10value_typeET2_T3_PNSL_ISQ_E10value_typeET4_jRbjT5_SW_jjP12ihipStream_tbEUlT_E1_NS1_11comp_targetILNS1_3genE10ELNS1_11target_archE1200ELNS1_3gpuE4ELNS1_3repE0EEENS1_59segmented_radix_sort_warp_sort_small_config_static_selectorELNS0_4arch9wavefront6targetE1EEEvSK_.has_indirect_call, 0
	.section	.AMDGPU.csdata,"",@progbits
; Kernel info:
; codeLenInByte = 0
; TotalNumSgprs: 4
; NumVgprs: 0
; ScratchSize: 0
; MemoryBound: 0
; FloatMode: 240
; IeeeMode: 1
; LDSByteSize: 0 bytes/workgroup (compile time only)
; SGPRBlocks: 0
; VGPRBlocks: 0
; NumSGPRsForWavesPerEU: 4
; NumVGPRsForWavesPerEU: 1
; Occupancy: 10
; WaveLimiterHint : 0
; COMPUTE_PGM_RSRC2:SCRATCH_EN: 0
; COMPUTE_PGM_RSRC2:USER_SGPR: 6
; COMPUTE_PGM_RSRC2:TRAP_HANDLER: 0
; COMPUTE_PGM_RSRC2:TGID_X_EN: 1
; COMPUTE_PGM_RSRC2:TGID_Y_EN: 0
; COMPUTE_PGM_RSRC2:TGID_Z_EN: 0
; COMPUTE_PGM_RSRC2:TIDIG_COMP_CNT: 0
	.section	.text._ZN7rocprim17ROCPRIM_400000_NS6detail17trampoline_kernelINS0_14default_configENS1_36segmented_radix_sort_config_selectorIilEEZNS1_25segmented_radix_sort_implIS3_Lb0EPKiPiPKlPlN2at6native12_GLOBAL__N_18offset_tEEE10hipError_tPvRmT1_PNSt15iterator_traitsISK_E10value_typeET2_T3_PNSL_ISQ_E10value_typeET4_jRbjT5_SW_jjP12ihipStream_tbEUlT_E1_NS1_11comp_targetILNS1_3genE9ELNS1_11target_archE1100ELNS1_3gpuE3ELNS1_3repE0EEENS1_59segmented_radix_sort_warp_sort_small_config_static_selectorELNS0_4arch9wavefront6targetE1EEEvSK_,"axG",@progbits,_ZN7rocprim17ROCPRIM_400000_NS6detail17trampoline_kernelINS0_14default_configENS1_36segmented_radix_sort_config_selectorIilEEZNS1_25segmented_radix_sort_implIS3_Lb0EPKiPiPKlPlN2at6native12_GLOBAL__N_18offset_tEEE10hipError_tPvRmT1_PNSt15iterator_traitsISK_E10value_typeET2_T3_PNSL_ISQ_E10value_typeET4_jRbjT5_SW_jjP12ihipStream_tbEUlT_E1_NS1_11comp_targetILNS1_3genE9ELNS1_11target_archE1100ELNS1_3gpuE3ELNS1_3repE0EEENS1_59segmented_radix_sort_warp_sort_small_config_static_selectorELNS0_4arch9wavefront6targetE1EEEvSK_,comdat
	.globl	_ZN7rocprim17ROCPRIM_400000_NS6detail17trampoline_kernelINS0_14default_configENS1_36segmented_radix_sort_config_selectorIilEEZNS1_25segmented_radix_sort_implIS3_Lb0EPKiPiPKlPlN2at6native12_GLOBAL__N_18offset_tEEE10hipError_tPvRmT1_PNSt15iterator_traitsISK_E10value_typeET2_T3_PNSL_ISQ_E10value_typeET4_jRbjT5_SW_jjP12ihipStream_tbEUlT_E1_NS1_11comp_targetILNS1_3genE9ELNS1_11target_archE1100ELNS1_3gpuE3ELNS1_3repE0EEENS1_59segmented_radix_sort_warp_sort_small_config_static_selectorELNS0_4arch9wavefront6targetE1EEEvSK_ ; -- Begin function _ZN7rocprim17ROCPRIM_400000_NS6detail17trampoline_kernelINS0_14default_configENS1_36segmented_radix_sort_config_selectorIilEEZNS1_25segmented_radix_sort_implIS3_Lb0EPKiPiPKlPlN2at6native12_GLOBAL__N_18offset_tEEE10hipError_tPvRmT1_PNSt15iterator_traitsISK_E10value_typeET2_T3_PNSL_ISQ_E10value_typeET4_jRbjT5_SW_jjP12ihipStream_tbEUlT_E1_NS1_11comp_targetILNS1_3genE9ELNS1_11target_archE1100ELNS1_3gpuE3ELNS1_3repE0EEENS1_59segmented_radix_sort_warp_sort_small_config_static_selectorELNS0_4arch9wavefront6targetE1EEEvSK_
	.p2align	8
	.type	_ZN7rocprim17ROCPRIM_400000_NS6detail17trampoline_kernelINS0_14default_configENS1_36segmented_radix_sort_config_selectorIilEEZNS1_25segmented_radix_sort_implIS3_Lb0EPKiPiPKlPlN2at6native12_GLOBAL__N_18offset_tEEE10hipError_tPvRmT1_PNSt15iterator_traitsISK_E10value_typeET2_T3_PNSL_ISQ_E10value_typeET4_jRbjT5_SW_jjP12ihipStream_tbEUlT_E1_NS1_11comp_targetILNS1_3genE9ELNS1_11target_archE1100ELNS1_3gpuE3ELNS1_3repE0EEENS1_59segmented_radix_sort_warp_sort_small_config_static_selectorELNS0_4arch9wavefront6targetE1EEEvSK_,@function
_ZN7rocprim17ROCPRIM_400000_NS6detail17trampoline_kernelINS0_14default_configENS1_36segmented_radix_sort_config_selectorIilEEZNS1_25segmented_radix_sort_implIS3_Lb0EPKiPiPKlPlN2at6native12_GLOBAL__N_18offset_tEEE10hipError_tPvRmT1_PNSt15iterator_traitsISK_E10value_typeET2_T3_PNSL_ISQ_E10value_typeET4_jRbjT5_SW_jjP12ihipStream_tbEUlT_E1_NS1_11comp_targetILNS1_3genE9ELNS1_11target_archE1100ELNS1_3gpuE3ELNS1_3repE0EEENS1_59segmented_radix_sort_warp_sort_small_config_static_selectorELNS0_4arch9wavefront6targetE1EEEvSK_: ; @_ZN7rocprim17ROCPRIM_400000_NS6detail17trampoline_kernelINS0_14default_configENS1_36segmented_radix_sort_config_selectorIilEEZNS1_25segmented_radix_sort_implIS3_Lb0EPKiPiPKlPlN2at6native12_GLOBAL__N_18offset_tEEE10hipError_tPvRmT1_PNSt15iterator_traitsISK_E10value_typeET2_T3_PNSL_ISQ_E10value_typeET4_jRbjT5_SW_jjP12ihipStream_tbEUlT_E1_NS1_11comp_targetILNS1_3genE9ELNS1_11target_archE1100ELNS1_3gpuE3ELNS1_3repE0EEENS1_59segmented_radix_sort_warp_sort_small_config_static_selectorELNS0_4arch9wavefront6targetE1EEEvSK_
; %bb.0:
	.section	.rodata,"a",@progbits
	.p2align	6, 0x0
	.amdhsa_kernel _ZN7rocprim17ROCPRIM_400000_NS6detail17trampoline_kernelINS0_14default_configENS1_36segmented_radix_sort_config_selectorIilEEZNS1_25segmented_radix_sort_implIS3_Lb0EPKiPiPKlPlN2at6native12_GLOBAL__N_18offset_tEEE10hipError_tPvRmT1_PNSt15iterator_traitsISK_E10value_typeET2_T3_PNSL_ISQ_E10value_typeET4_jRbjT5_SW_jjP12ihipStream_tbEUlT_E1_NS1_11comp_targetILNS1_3genE9ELNS1_11target_archE1100ELNS1_3gpuE3ELNS1_3repE0EEENS1_59segmented_radix_sort_warp_sort_small_config_static_selectorELNS0_4arch9wavefront6targetE1EEEvSK_
		.amdhsa_group_segment_fixed_size 0
		.amdhsa_private_segment_fixed_size 0
		.amdhsa_kernarg_size 88
		.amdhsa_user_sgpr_count 6
		.amdhsa_user_sgpr_private_segment_buffer 1
		.amdhsa_user_sgpr_dispatch_ptr 0
		.amdhsa_user_sgpr_queue_ptr 0
		.amdhsa_user_sgpr_kernarg_segment_ptr 1
		.amdhsa_user_sgpr_dispatch_id 0
		.amdhsa_user_sgpr_flat_scratch_init 0
		.amdhsa_user_sgpr_private_segment_size 0
		.amdhsa_uses_dynamic_stack 0
		.amdhsa_system_sgpr_private_segment_wavefront_offset 0
		.amdhsa_system_sgpr_workgroup_id_x 1
		.amdhsa_system_sgpr_workgroup_id_y 0
		.amdhsa_system_sgpr_workgroup_id_z 0
		.amdhsa_system_sgpr_workgroup_info 0
		.amdhsa_system_vgpr_workitem_id 0
		.amdhsa_next_free_vgpr 1
		.amdhsa_next_free_sgpr 0
		.amdhsa_reserve_vcc 0
		.amdhsa_reserve_flat_scratch 0
		.amdhsa_float_round_mode_32 0
		.amdhsa_float_round_mode_16_64 0
		.amdhsa_float_denorm_mode_32 3
		.amdhsa_float_denorm_mode_16_64 3
		.amdhsa_dx10_clamp 1
		.amdhsa_ieee_mode 1
		.amdhsa_fp16_overflow 0
		.amdhsa_exception_fp_ieee_invalid_op 0
		.amdhsa_exception_fp_denorm_src 0
		.amdhsa_exception_fp_ieee_div_zero 0
		.amdhsa_exception_fp_ieee_overflow 0
		.amdhsa_exception_fp_ieee_underflow 0
		.amdhsa_exception_fp_ieee_inexact 0
		.amdhsa_exception_int_div_zero 0
	.end_amdhsa_kernel
	.section	.text._ZN7rocprim17ROCPRIM_400000_NS6detail17trampoline_kernelINS0_14default_configENS1_36segmented_radix_sort_config_selectorIilEEZNS1_25segmented_radix_sort_implIS3_Lb0EPKiPiPKlPlN2at6native12_GLOBAL__N_18offset_tEEE10hipError_tPvRmT1_PNSt15iterator_traitsISK_E10value_typeET2_T3_PNSL_ISQ_E10value_typeET4_jRbjT5_SW_jjP12ihipStream_tbEUlT_E1_NS1_11comp_targetILNS1_3genE9ELNS1_11target_archE1100ELNS1_3gpuE3ELNS1_3repE0EEENS1_59segmented_radix_sort_warp_sort_small_config_static_selectorELNS0_4arch9wavefront6targetE1EEEvSK_,"axG",@progbits,_ZN7rocprim17ROCPRIM_400000_NS6detail17trampoline_kernelINS0_14default_configENS1_36segmented_radix_sort_config_selectorIilEEZNS1_25segmented_radix_sort_implIS3_Lb0EPKiPiPKlPlN2at6native12_GLOBAL__N_18offset_tEEE10hipError_tPvRmT1_PNSt15iterator_traitsISK_E10value_typeET2_T3_PNSL_ISQ_E10value_typeET4_jRbjT5_SW_jjP12ihipStream_tbEUlT_E1_NS1_11comp_targetILNS1_3genE9ELNS1_11target_archE1100ELNS1_3gpuE3ELNS1_3repE0EEENS1_59segmented_radix_sort_warp_sort_small_config_static_selectorELNS0_4arch9wavefront6targetE1EEEvSK_,comdat
.Lfunc_end628:
	.size	_ZN7rocprim17ROCPRIM_400000_NS6detail17trampoline_kernelINS0_14default_configENS1_36segmented_radix_sort_config_selectorIilEEZNS1_25segmented_radix_sort_implIS3_Lb0EPKiPiPKlPlN2at6native12_GLOBAL__N_18offset_tEEE10hipError_tPvRmT1_PNSt15iterator_traitsISK_E10value_typeET2_T3_PNSL_ISQ_E10value_typeET4_jRbjT5_SW_jjP12ihipStream_tbEUlT_E1_NS1_11comp_targetILNS1_3genE9ELNS1_11target_archE1100ELNS1_3gpuE3ELNS1_3repE0EEENS1_59segmented_radix_sort_warp_sort_small_config_static_selectorELNS0_4arch9wavefront6targetE1EEEvSK_, .Lfunc_end628-_ZN7rocprim17ROCPRIM_400000_NS6detail17trampoline_kernelINS0_14default_configENS1_36segmented_radix_sort_config_selectorIilEEZNS1_25segmented_radix_sort_implIS3_Lb0EPKiPiPKlPlN2at6native12_GLOBAL__N_18offset_tEEE10hipError_tPvRmT1_PNSt15iterator_traitsISK_E10value_typeET2_T3_PNSL_ISQ_E10value_typeET4_jRbjT5_SW_jjP12ihipStream_tbEUlT_E1_NS1_11comp_targetILNS1_3genE9ELNS1_11target_archE1100ELNS1_3gpuE3ELNS1_3repE0EEENS1_59segmented_radix_sort_warp_sort_small_config_static_selectorELNS0_4arch9wavefront6targetE1EEEvSK_
                                        ; -- End function
	.set _ZN7rocprim17ROCPRIM_400000_NS6detail17trampoline_kernelINS0_14default_configENS1_36segmented_radix_sort_config_selectorIilEEZNS1_25segmented_radix_sort_implIS3_Lb0EPKiPiPKlPlN2at6native12_GLOBAL__N_18offset_tEEE10hipError_tPvRmT1_PNSt15iterator_traitsISK_E10value_typeET2_T3_PNSL_ISQ_E10value_typeET4_jRbjT5_SW_jjP12ihipStream_tbEUlT_E1_NS1_11comp_targetILNS1_3genE9ELNS1_11target_archE1100ELNS1_3gpuE3ELNS1_3repE0EEENS1_59segmented_radix_sort_warp_sort_small_config_static_selectorELNS0_4arch9wavefront6targetE1EEEvSK_.num_vgpr, 0
	.set _ZN7rocprim17ROCPRIM_400000_NS6detail17trampoline_kernelINS0_14default_configENS1_36segmented_radix_sort_config_selectorIilEEZNS1_25segmented_radix_sort_implIS3_Lb0EPKiPiPKlPlN2at6native12_GLOBAL__N_18offset_tEEE10hipError_tPvRmT1_PNSt15iterator_traitsISK_E10value_typeET2_T3_PNSL_ISQ_E10value_typeET4_jRbjT5_SW_jjP12ihipStream_tbEUlT_E1_NS1_11comp_targetILNS1_3genE9ELNS1_11target_archE1100ELNS1_3gpuE3ELNS1_3repE0EEENS1_59segmented_radix_sort_warp_sort_small_config_static_selectorELNS0_4arch9wavefront6targetE1EEEvSK_.num_agpr, 0
	.set _ZN7rocprim17ROCPRIM_400000_NS6detail17trampoline_kernelINS0_14default_configENS1_36segmented_radix_sort_config_selectorIilEEZNS1_25segmented_radix_sort_implIS3_Lb0EPKiPiPKlPlN2at6native12_GLOBAL__N_18offset_tEEE10hipError_tPvRmT1_PNSt15iterator_traitsISK_E10value_typeET2_T3_PNSL_ISQ_E10value_typeET4_jRbjT5_SW_jjP12ihipStream_tbEUlT_E1_NS1_11comp_targetILNS1_3genE9ELNS1_11target_archE1100ELNS1_3gpuE3ELNS1_3repE0EEENS1_59segmented_radix_sort_warp_sort_small_config_static_selectorELNS0_4arch9wavefront6targetE1EEEvSK_.numbered_sgpr, 0
	.set _ZN7rocprim17ROCPRIM_400000_NS6detail17trampoline_kernelINS0_14default_configENS1_36segmented_radix_sort_config_selectorIilEEZNS1_25segmented_radix_sort_implIS3_Lb0EPKiPiPKlPlN2at6native12_GLOBAL__N_18offset_tEEE10hipError_tPvRmT1_PNSt15iterator_traitsISK_E10value_typeET2_T3_PNSL_ISQ_E10value_typeET4_jRbjT5_SW_jjP12ihipStream_tbEUlT_E1_NS1_11comp_targetILNS1_3genE9ELNS1_11target_archE1100ELNS1_3gpuE3ELNS1_3repE0EEENS1_59segmented_radix_sort_warp_sort_small_config_static_selectorELNS0_4arch9wavefront6targetE1EEEvSK_.num_named_barrier, 0
	.set _ZN7rocprim17ROCPRIM_400000_NS6detail17trampoline_kernelINS0_14default_configENS1_36segmented_radix_sort_config_selectorIilEEZNS1_25segmented_radix_sort_implIS3_Lb0EPKiPiPKlPlN2at6native12_GLOBAL__N_18offset_tEEE10hipError_tPvRmT1_PNSt15iterator_traitsISK_E10value_typeET2_T3_PNSL_ISQ_E10value_typeET4_jRbjT5_SW_jjP12ihipStream_tbEUlT_E1_NS1_11comp_targetILNS1_3genE9ELNS1_11target_archE1100ELNS1_3gpuE3ELNS1_3repE0EEENS1_59segmented_radix_sort_warp_sort_small_config_static_selectorELNS0_4arch9wavefront6targetE1EEEvSK_.private_seg_size, 0
	.set _ZN7rocprim17ROCPRIM_400000_NS6detail17trampoline_kernelINS0_14default_configENS1_36segmented_radix_sort_config_selectorIilEEZNS1_25segmented_radix_sort_implIS3_Lb0EPKiPiPKlPlN2at6native12_GLOBAL__N_18offset_tEEE10hipError_tPvRmT1_PNSt15iterator_traitsISK_E10value_typeET2_T3_PNSL_ISQ_E10value_typeET4_jRbjT5_SW_jjP12ihipStream_tbEUlT_E1_NS1_11comp_targetILNS1_3genE9ELNS1_11target_archE1100ELNS1_3gpuE3ELNS1_3repE0EEENS1_59segmented_radix_sort_warp_sort_small_config_static_selectorELNS0_4arch9wavefront6targetE1EEEvSK_.uses_vcc, 0
	.set _ZN7rocprim17ROCPRIM_400000_NS6detail17trampoline_kernelINS0_14default_configENS1_36segmented_radix_sort_config_selectorIilEEZNS1_25segmented_radix_sort_implIS3_Lb0EPKiPiPKlPlN2at6native12_GLOBAL__N_18offset_tEEE10hipError_tPvRmT1_PNSt15iterator_traitsISK_E10value_typeET2_T3_PNSL_ISQ_E10value_typeET4_jRbjT5_SW_jjP12ihipStream_tbEUlT_E1_NS1_11comp_targetILNS1_3genE9ELNS1_11target_archE1100ELNS1_3gpuE3ELNS1_3repE0EEENS1_59segmented_radix_sort_warp_sort_small_config_static_selectorELNS0_4arch9wavefront6targetE1EEEvSK_.uses_flat_scratch, 0
	.set _ZN7rocprim17ROCPRIM_400000_NS6detail17trampoline_kernelINS0_14default_configENS1_36segmented_radix_sort_config_selectorIilEEZNS1_25segmented_radix_sort_implIS3_Lb0EPKiPiPKlPlN2at6native12_GLOBAL__N_18offset_tEEE10hipError_tPvRmT1_PNSt15iterator_traitsISK_E10value_typeET2_T3_PNSL_ISQ_E10value_typeET4_jRbjT5_SW_jjP12ihipStream_tbEUlT_E1_NS1_11comp_targetILNS1_3genE9ELNS1_11target_archE1100ELNS1_3gpuE3ELNS1_3repE0EEENS1_59segmented_radix_sort_warp_sort_small_config_static_selectorELNS0_4arch9wavefront6targetE1EEEvSK_.has_dyn_sized_stack, 0
	.set _ZN7rocprim17ROCPRIM_400000_NS6detail17trampoline_kernelINS0_14default_configENS1_36segmented_radix_sort_config_selectorIilEEZNS1_25segmented_radix_sort_implIS3_Lb0EPKiPiPKlPlN2at6native12_GLOBAL__N_18offset_tEEE10hipError_tPvRmT1_PNSt15iterator_traitsISK_E10value_typeET2_T3_PNSL_ISQ_E10value_typeET4_jRbjT5_SW_jjP12ihipStream_tbEUlT_E1_NS1_11comp_targetILNS1_3genE9ELNS1_11target_archE1100ELNS1_3gpuE3ELNS1_3repE0EEENS1_59segmented_radix_sort_warp_sort_small_config_static_selectorELNS0_4arch9wavefront6targetE1EEEvSK_.has_recursion, 0
	.set _ZN7rocprim17ROCPRIM_400000_NS6detail17trampoline_kernelINS0_14default_configENS1_36segmented_radix_sort_config_selectorIilEEZNS1_25segmented_radix_sort_implIS3_Lb0EPKiPiPKlPlN2at6native12_GLOBAL__N_18offset_tEEE10hipError_tPvRmT1_PNSt15iterator_traitsISK_E10value_typeET2_T3_PNSL_ISQ_E10value_typeET4_jRbjT5_SW_jjP12ihipStream_tbEUlT_E1_NS1_11comp_targetILNS1_3genE9ELNS1_11target_archE1100ELNS1_3gpuE3ELNS1_3repE0EEENS1_59segmented_radix_sort_warp_sort_small_config_static_selectorELNS0_4arch9wavefront6targetE1EEEvSK_.has_indirect_call, 0
	.section	.AMDGPU.csdata,"",@progbits
; Kernel info:
; codeLenInByte = 0
; TotalNumSgprs: 4
; NumVgprs: 0
; ScratchSize: 0
; MemoryBound: 0
; FloatMode: 240
; IeeeMode: 1
; LDSByteSize: 0 bytes/workgroup (compile time only)
; SGPRBlocks: 0
; VGPRBlocks: 0
; NumSGPRsForWavesPerEU: 4
; NumVGPRsForWavesPerEU: 1
; Occupancy: 10
; WaveLimiterHint : 0
; COMPUTE_PGM_RSRC2:SCRATCH_EN: 0
; COMPUTE_PGM_RSRC2:USER_SGPR: 6
; COMPUTE_PGM_RSRC2:TRAP_HANDLER: 0
; COMPUTE_PGM_RSRC2:TGID_X_EN: 1
; COMPUTE_PGM_RSRC2:TGID_Y_EN: 0
; COMPUTE_PGM_RSRC2:TGID_Z_EN: 0
; COMPUTE_PGM_RSRC2:TIDIG_COMP_CNT: 0
	.section	.text._ZN7rocprim17ROCPRIM_400000_NS6detail17trampoline_kernelINS0_14default_configENS1_36segmented_radix_sort_config_selectorIilEEZNS1_25segmented_radix_sort_implIS3_Lb0EPKiPiPKlPlN2at6native12_GLOBAL__N_18offset_tEEE10hipError_tPvRmT1_PNSt15iterator_traitsISK_E10value_typeET2_T3_PNSL_ISQ_E10value_typeET4_jRbjT5_SW_jjP12ihipStream_tbEUlT_E1_NS1_11comp_targetILNS1_3genE8ELNS1_11target_archE1030ELNS1_3gpuE2ELNS1_3repE0EEENS1_59segmented_radix_sort_warp_sort_small_config_static_selectorELNS0_4arch9wavefront6targetE1EEEvSK_,"axG",@progbits,_ZN7rocprim17ROCPRIM_400000_NS6detail17trampoline_kernelINS0_14default_configENS1_36segmented_radix_sort_config_selectorIilEEZNS1_25segmented_radix_sort_implIS3_Lb0EPKiPiPKlPlN2at6native12_GLOBAL__N_18offset_tEEE10hipError_tPvRmT1_PNSt15iterator_traitsISK_E10value_typeET2_T3_PNSL_ISQ_E10value_typeET4_jRbjT5_SW_jjP12ihipStream_tbEUlT_E1_NS1_11comp_targetILNS1_3genE8ELNS1_11target_archE1030ELNS1_3gpuE2ELNS1_3repE0EEENS1_59segmented_radix_sort_warp_sort_small_config_static_selectorELNS0_4arch9wavefront6targetE1EEEvSK_,comdat
	.globl	_ZN7rocprim17ROCPRIM_400000_NS6detail17trampoline_kernelINS0_14default_configENS1_36segmented_radix_sort_config_selectorIilEEZNS1_25segmented_radix_sort_implIS3_Lb0EPKiPiPKlPlN2at6native12_GLOBAL__N_18offset_tEEE10hipError_tPvRmT1_PNSt15iterator_traitsISK_E10value_typeET2_T3_PNSL_ISQ_E10value_typeET4_jRbjT5_SW_jjP12ihipStream_tbEUlT_E1_NS1_11comp_targetILNS1_3genE8ELNS1_11target_archE1030ELNS1_3gpuE2ELNS1_3repE0EEENS1_59segmented_radix_sort_warp_sort_small_config_static_selectorELNS0_4arch9wavefront6targetE1EEEvSK_ ; -- Begin function _ZN7rocprim17ROCPRIM_400000_NS6detail17trampoline_kernelINS0_14default_configENS1_36segmented_radix_sort_config_selectorIilEEZNS1_25segmented_radix_sort_implIS3_Lb0EPKiPiPKlPlN2at6native12_GLOBAL__N_18offset_tEEE10hipError_tPvRmT1_PNSt15iterator_traitsISK_E10value_typeET2_T3_PNSL_ISQ_E10value_typeET4_jRbjT5_SW_jjP12ihipStream_tbEUlT_E1_NS1_11comp_targetILNS1_3genE8ELNS1_11target_archE1030ELNS1_3gpuE2ELNS1_3repE0EEENS1_59segmented_radix_sort_warp_sort_small_config_static_selectorELNS0_4arch9wavefront6targetE1EEEvSK_
	.p2align	8
	.type	_ZN7rocprim17ROCPRIM_400000_NS6detail17trampoline_kernelINS0_14default_configENS1_36segmented_radix_sort_config_selectorIilEEZNS1_25segmented_radix_sort_implIS3_Lb0EPKiPiPKlPlN2at6native12_GLOBAL__N_18offset_tEEE10hipError_tPvRmT1_PNSt15iterator_traitsISK_E10value_typeET2_T3_PNSL_ISQ_E10value_typeET4_jRbjT5_SW_jjP12ihipStream_tbEUlT_E1_NS1_11comp_targetILNS1_3genE8ELNS1_11target_archE1030ELNS1_3gpuE2ELNS1_3repE0EEENS1_59segmented_radix_sort_warp_sort_small_config_static_selectorELNS0_4arch9wavefront6targetE1EEEvSK_,@function
_ZN7rocprim17ROCPRIM_400000_NS6detail17trampoline_kernelINS0_14default_configENS1_36segmented_radix_sort_config_selectorIilEEZNS1_25segmented_radix_sort_implIS3_Lb0EPKiPiPKlPlN2at6native12_GLOBAL__N_18offset_tEEE10hipError_tPvRmT1_PNSt15iterator_traitsISK_E10value_typeET2_T3_PNSL_ISQ_E10value_typeET4_jRbjT5_SW_jjP12ihipStream_tbEUlT_E1_NS1_11comp_targetILNS1_3genE8ELNS1_11target_archE1030ELNS1_3gpuE2ELNS1_3repE0EEENS1_59segmented_radix_sort_warp_sort_small_config_static_selectorELNS0_4arch9wavefront6targetE1EEEvSK_: ; @_ZN7rocprim17ROCPRIM_400000_NS6detail17trampoline_kernelINS0_14default_configENS1_36segmented_radix_sort_config_selectorIilEEZNS1_25segmented_radix_sort_implIS3_Lb0EPKiPiPKlPlN2at6native12_GLOBAL__N_18offset_tEEE10hipError_tPvRmT1_PNSt15iterator_traitsISK_E10value_typeET2_T3_PNSL_ISQ_E10value_typeET4_jRbjT5_SW_jjP12ihipStream_tbEUlT_E1_NS1_11comp_targetILNS1_3genE8ELNS1_11target_archE1030ELNS1_3gpuE2ELNS1_3repE0EEENS1_59segmented_radix_sort_warp_sort_small_config_static_selectorELNS0_4arch9wavefront6targetE1EEEvSK_
; %bb.0:
	.section	.rodata,"a",@progbits
	.p2align	6, 0x0
	.amdhsa_kernel _ZN7rocprim17ROCPRIM_400000_NS6detail17trampoline_kernelINS0_14default_configENS1_36segmented_radix_sort_config_selectorIilEEZNS1_25segmented_radix_sort_implIS3_Lb0EPKiPiPKlPlN2at6native12_GLOBAL__N_18offset_tEEE10hipError_tPvRmT1_PNSt15iterator_traitsISK_E10value_typeET2_T3_PNSL_ISQ_E10value_typeET4_jRbjT5_SW_jjP12ihipStream_tbEUlT_E1_NS1_11comp_targetILNS1_3genE8ELNS1_11target_archE1030ELNS1_3gpuE2ELNS1_3repE0EEENS1_59segmented_radix_sort_warp_sort_small_config_static_selectorELNS0_4arch9wavefront6targetE1EEEvSK_
		.amdhsa_group_segment_fixed_size 0
		.amdhsa_private_segment_fixed_size 0
		.amdhsa_kernarg_size 88
		.amdhsa_user_sgpr_count 6
		.amdhsa_user_sgpr_private_segment_buffer 1
		.amdhsa_user_sgpr_dispatch_ptr 0
		.amdhsa_user_sgpr_queue_ptr 0
		.amdhsa_user_sgpr_kernarg_segment_ptr 1
		.amdhsa_user_sgpr_dispatch_id 0
		.amdhsa_user_sgpr_flat_scratch_init 0
		.amdhsa_user_sgpr_private_segment_size 0
		.amdhsa_uses_dynamic_stack 0
		.amdhsa_system_sgpr_private_segment_wavefront_offset 0
		.amdhsa_system_sgpr_workgroup_id_x 1
		.amdhsa_system_sgpr_workgroup_id_y 0
		.amdhsa_system_sgpr_workgroup_id_z 0
		.amdhsa_system_sgpr_workgroup_info 0
		.amdhsa_system_vgpr_workitem_id 0
		.amdhsa_next_free_vgpr 1
		.amdhsa_next_free_sgpr 0
		.amdhsa_reserve_vcc 0
		.amdhsa_reserve_flat_scratch 0
		.amdhsa_float_round_mode_32 0
		.amdhsa_float_round_mode_16_64 0
		.amdhsa_float_denorm_mode_32 3
		.amdhsa_float_denorm_mode_16_64 3
		.amdhsa_dx10_clamp 1
		.amdhsa_ieee_mode 1
		.amdhsa_fp16_overflow 0
		.amdhsa_exception_fp_ieee_invalid_op 0
		.amdhsa_exception_fp_denorm_src 0
		.amdhsa_exception_fp_ieee_div_zero 0
		.amdhsa_exception_fp_ieee_overflow 0
		.amdhsa_exception_fp_ieee_underflow 0
		.amdhsa_exception_fp_ieee_inexact 0
		.amdhsa_exception_int_div_zero 0
	.end_amdhsa_kernel
	.section	.text._ZN7rocprim17ROCPRIM_400000_NS6detail17trampoline_kernelINS0_14default_configENS1_36segmented_radix_sort_config_selectorIilEEZNS1_25segmented_radix_sort_implIS3_Lb0EPKiPiPKlPlN2at6native12_GLOBAL__N_18offset_tEEE10hipError_tPvRmT1_PNSt15iterator_traitsISK_E10value_typeET2_T3_PNSL_ISQ_E10value_typeET4_jRbjT5_SW_jjP12ihipStream_tbEUlT_E1_NS1_11comp_targetILNS1_3genE8ELNS1_11target_archE1030ELNS1_3gpuE2ELNS1_3repE0EEENS1_59segmented_radix_sort_warp_sort_small_config_static_selectorELNS0_4arch9wavefront6targetE1EEEvSK_,"axG",@progbits,_ZN7rocprim17ROCPRIM_400000_NS6detail17trampoline_kernelINS0_14default_configENS1_36segmented_radix_sort_config_selectorIilEEZNS1_25segmented_radix_sort_implIS3_Lb0EPKiPiPKlPlN2at6native12_GLOBAL__N_18offset_tEEE10hipError_tPvRmT1_PNSt15iterator_traitsISK_E10value_typeET2_T3_PNSL_ISQ_E10value_typeET4_jRbjT5_SW_jjP12ihipStream_tbEUlT_E1_NS1_11comp_targetILNS1_3genE8ELNS1_11target_archE1030ELNS1_3gpuE2ELNS1_3repE0EEENS1_59segmented_radix_sort_warp_sort_small_config_static_selectorELNS0_4arch9wavefront6targetE1EEEvSK_,comdat
.Lfunc_end629:
	.size	_ZN7rocprim17ROCPRIM_400000_NS6detail17trampoline_kernelINS0_14default_configENS1_36segmented_radix_sort_config_selectorIilEEZNS1_25segmented_radix_sort_implIS3_Lb0EPKiPiPKlPlN2at6native12_GLOBAL__N_18offset_tEEE10hipError_tPvRmT1_PNSt15iterator_traitsISK_E10value_typeET2_T3_PNSL_ISQ_E10value_typeET4_jRbjT5_SW_jjP12ihipStream_tbEUlT_E1_NS1_11comp_targetILNS1_3genE8ELNS1_11target_archE1030ELNS1_3gpuE2ELNS1_3repE0EEENS1_59segmented_radix_sort_warp_sort_small_config_static_selectorELNS0_4arch9wavefront6targetE1EEEvSK_, .Lfunc_end629-_ZN7rocprim17ROCPRIM_400000_NS6detail17trampoline_kernelINS0_14default_configENS1_36segmented_radix_sort_config_selectorIilEEZNS1_25segmented_radix_sort_implIS3_Lb0EPKiPiPKlPlN2at6native12_GLOBAL__N_18offset_tEEE10hipError_tPvRmT1_PNSt15iterator_traitsISK_E10value_typeET2_T3_PNSL_ISQ_E10value_typeET4_jRbjT5_SW_jjP12ihipStream_tbEUlT_E1_NS1_11comp_targetILNS1_3genE8ELNS1_11target_archE1030ELNS1_3gpuE2ELNS1_3repE0EEENS1_59segmented_radix_sort_warp_sort_small_config_static_selectorELNS0_4arch9wavefront6targetE1EEEvSK_
                                        ; -- End function
	.set _ZN7rocprim17ROCPRIM_400000_NS6detail17trampoline_kernelINS0_14default_configENS1_36segmented_radix_sort_config_selectorIilEEZNS1_25segmented_radix_sort_implIS3_Lb0EPKiPiPKlPlN2at6native12_GLOBAL__N_18offset_tEEE10hipError_tPvRmT1_PNSt15iterator_traitsISK_E10value_typeET2_T3_PNSL_ISQ_E10value_typeET4_jRbjT5_SW_jjP12ihipStream_tbEUlT_E1_NS1_11comp_targetILNS1_3genE8ELNS1_11target_archE1030ELNS1_3gpuE2ELNS1_3repE0EEENS1_59segmented_radix_sort_warp_sort_small_config_static_selectorELNS0_4arch9wavefront6targetE1EEEvSK_.num_vgpr, 0
	.set _ZN7rocprim17ROCPRIM_400000_NS6detail17trampoline_kernelINS0_14default_configENS1_36segmented_radix_sort_config_selectorIilEEZNS1_25segmented_radix_sort_implIS3_Lb0EPKiPiPKlPlN2at6native12_GLOBAL__N_18offset_tEEE10hipError_tPvRmT1_PNSt15iterator_traitsISK_E10value_typeET2_T3_PNSL_ISQ_E10value_typeET4_jRbjT5_SW_jjP12ihipStream_tbEUlT_E1_NS1_11comp_targetILNS1_3genE8ELNS1_11target_archE1030ELNS1_3gpuE2ELNS1_3repE0EEENS1_59segmented_radix_sort_warp_sort_small_config_static_selectorELNS0_4arch9wavefront6targetE1EEEvSK_.num_agpr, 0
	.set _ZN7rocprim17ROCPRIM_400000_NS6detail17trampoline_kernelINS0_14default_configENS1_36segmented_radix_sort_config_selectorIilEEZNS1_25segmented_radix_sort_implIS3_Lb0EPKiPiPKlPlN2at6native12_GLOBAL__N_18offset_tEEE10hipError_tPvRmT1_PNSt15iterator_traitsISK_E10value_typeET2_T3_PNSL_ISQ_E10value_typeET4_jRbjT5_SW_jjP12ihipStream_tbEUlT_E1_NS1_11comp_targetILNS1_3genE8ELNS1_11target_archE1030ELNS1_3gpuE2ELNS1_3repE0EEENS1_59segmented_radix_sort_warp_sort_small_config_static_selectorELNS0_4arch9wavefront6targetE1EEEvSK_.numbered_sgpr, 0
	.set _ZN7rocprim17ROCPRIM_400000_NS6detail17trampoline_kernelINS0_14default_configENS1_36segmented_radix_sort_config_selectorIilEEZNS1_25segmented_radix_sort_implIS3_Lb0EPKiPiPKlPlN2at6native12_GLOBAL__N_18offset_tEEE10hipError_tPvRmT1_PNSt15iterator_traitsISK_E10value_typeET2_T3_PNSL_ISQ_E10value_typeET4_jRbjT5_SW_jjP12ihipStream_tbEUlT_E1_NS1_11comp_targetILNS1_3genE8ELNS1_11target_archE1030ELNS1_3gpuE2ELNS1_3repE0EEENS1_59segmented_radix_sort_warp_sort_small_config_static_selectorELNS0_4arch9wavefront6targetE1EEEvSK_.num_named_barrier, 0
	.set _ZN7rocprim17ROCPRIM_400000_NS6detail17trampoline_kernelINS0_14default_configENS1_36segmented_radix_sort_config_selectorIilEEZNS1_25segmented_radix_sort_implIS3_Lb0EPKiPiPKlPlN2at6native12_GLOBAL__N_18offset_tEEE10hipError_tPvRmT1_PNSt15iterator_traitsISK_E10value_typeET2_T3_PNSL_ISQ_E10value_typeET4_jRbjT5_SW_jjP12ihipStream_tbEUlT_E1_NS1_11comp_targetILNS1_3genE8ELNS1_11target_archE1030ELNS1_3gpuE2ELNS1_3repE0EEENS1_59segmented_radix_sort_warp_sort_small_config_static_selectorELNS0_4arch9wavefront6targetE1EEEvSK_.private_seg_size, 0
	.set _ZN7rocprim17ROCPRIM_400000_NS6detail17trampoline_kernelINS0_14default_configENS1_36segmented_radix_sort_config_selectorIilEEZNS1_25segmented_radix_sort_implIS3_Lb0EPKiPiPKlPlN2at6native12_GLOBAL__N_18offset_tEEE10hipError_tPvRmT1_PNSt15iterator_traitsISK_E10value_typeET2_T3_PNSL_ISQ_E10value_typeET4_jRbjT5_SW_jjP12ihipStream_tbEUlT_E1_NS1_11comp_targetILNS1_3genE8ELNS1_11target_archE1030ELNS1_3gpuE2ELNS1_3repE0EEENS1_59segmented_radix_sort_warp_sort_small_config_static_selectorELNS0_4arch9wavefront6targetE1EEEvSK_.uses_vcc, 0
	.set _ZN7rocprim17ROCPRIM_400000_NS6detail17trampoline_kernelINS0_14default_configENS1_36segmented_radix_sort_config_selectorIilEEZNS1_25segmented_radix_sort_implIS3_Lb0EPKiPiPKlPlN2at6native12_GLOBAL__N_18offset_tEEE10hipError_tPvRmT1_PNSt15iterator_traitsISK_E10value_typeET2_T3_PNSL_ISQ_E10value_typeET4_jRbjT5_SW_jjP12ihipStream_tbEUlT_E1_NS1_11comp_targetILNS1_3genE8ELNS1_11target_archE1030ELNS1_3gpuE2ELNS1_3repE0EEENS1_59segmented_radix_sort_warp_sort_small_config_static_selectorELNS0_4arch9wavefront6targetE1EEEvSK_.uses_flat_scratch, 0
	.set _ZN7rocprim17ROCPRIM_400000_NS6detail17trampoline_kernelINS0_14default_configENS1_36segmented_radix_sort_config_selectorIilEEZNS1_25segmented_radix_sort_implIS3_Lb0EPKiPiPKlPlN2at6native12_GLOBAL__N_18offset_tEEE10hipError_tPvRmT1_PNSt15iterator_traitsISK_E10value_typeET2_T3_PNSL_ISQ_E10value_typeET4_jRbjT5_SW_jjP12ihipStream_tbEUlT_E1_NS1_11comp_targetILNS1_3genE8ELNS1_11target_archE1030ELNS1_3gpuE2ELNS1_3repE0EEENS1_59segmented_radix_sort_warp_sort_small_config_static_selectorELNS0_4arch9wavefront6targetE1EEEvSK_.has_dyn_sized_stack, 0
	.set _ZN7rocprim17ROCPRIM_400000_NS6detail17trampoline_kernelINS0_14default_configENS1_36segmented_radix_sort_config_selectorIilEEZNS1_25segmented_radix_sort_implIS3_Lb0EPKiPiPKlPlN2at6native12_GLOBAL__N_18offset_tEEE10hipError_tPvRmT1_PNSt15iterator_traitsISK_E10value_typeET2_T3_PNSL_ISQ_E10value_typeET4_jRbjT5_SW_jjP12ihipStream_tbEUlT_E1_NS1_11comp_targetILNS1_3genE8ELNS1_11target_archE1030ELNS1_3gpuE2ELNS1_3repE0EEENS1_59segmented_radix_sort_warp_sort_small_config_static_selectorELNS0_4arch9wavefront6targetE1EEEvSK_.has_recursion, 0
	.set _ZN7rocprim17ROCPRIM_400000_NS6detail17trampoline_kernelINS0_14default_configENS1_36segmented_radix_sort_config_selectorIilEEZNS1_25segmented_radix_sort_implIS3_Lb0EPKiPiPKlPlN2at6native12_GLOBAL__N_18offset_tEEE10hipError_tPvRmT1_PNSt15iterator_traitsISK_E10value_typeET2_T3_PNSL_ISQ_E10value_typeET4_jRbjT5_SW_jjP12ihipStream_tbEUlT_E1_NS1_11comp_targetILNS1_3genE8ELNS1_11target_archE1030ELNS1_3gpuE2ELNS1_3repE0EEENS1_59segmented_radix_sort_warp_sort_small_config_static_selectorELNS0_4arch9wavefront6targetE1EEEvSK_.has_indirect_call, 0
	.section	.AMDGPU.csdata,"",@progbits
; Kernel info:
; codeLenInByte = 0
; TotalNumSgprs: 4
; NumVgprs: 0
; ScratchSize: 0
; MemoryBound: 0
; FloatMode: 240
; IeeeMode: 1
; LDSByteSize: 0 bytes/workgroup (compile time only)
; SGPRBlocks: 0
; VGPRBlocks: 0
; NumSGPRsForWavesPerEU: 4
; NumVGPRsForWavesPerEU: 1
; Occupancy: 10
; WaveLimiterHint : 0
; COMPUTE_PGM_RSRC2:SCRATCH_EN: 0
; COMPUTE_PGM_RSRC2:USER_SGPR: 6
; COMPUTE_PGM_RSRC2:TRAP_HANDLER: 0
; COMPUTE_PGM_RSRC2:TGID_X_EN: 1
; COMPUTE_PGM_RSRC2:TGID_Y_EN: 0
; COMPUTE_PGM_RSRC2:TGID_Z_EN: 0
; COMPUTE_PGM_RSRC2:TIDIG_COMP_CNT: 0
	.section	.text._ZN7rocprim17ROCPRIM_400000_NS6detail17trampoline_kernelINS0_14default_configENS1_36segmented_radix_sort_config_selectorIilEEZNS1_25segmented_radix_sort_implIS3_Lb0EPKiPiPKlPlN2at6native12_GLOBAL__N_18offset_tEEE10hipError_tPvRmT1_PNSt15iterator_traitsISK_E10value_typeET2_T3_PNSL_ISQ_E10value_typeET4_jRbjT5_SW_jjP12ihipStream_tbEUlT_E2_NS1_11comp_targetILNS1_3genE0ELNS1_11target_archE4294967295ELNS1_3gpuE0ELNS1_3repE0EEENS1_30default_config_static_selectorELNS0_4arch9wavefront6targetE1EEEvSK_,"axG",@progbits,_ZN7rocprim17ROCPRIM_400000_NS6detail17trampoline_kernelINS0_14default_configENS1_36segmented_radix_sort_config_selectorIilEEZNS1_25segmented_radix_sort_implIS3_Lb0EPKiPiPKlPlN2at6native12_GLOBAL__N_18offset_tEEE10hipError_tPvRmT1_PNSt15iterator_traitsISK_E10value_typeET2_T3_PNSL_ISQ_E10value_typeET4_jRbjT5_SW_jjP12ihipStream_tbEUlT_E2_NS1_11comp_targetILNS1_3genE0ELNS1_11target_archE4294967295ELNS1_3gpuE0ELNS1_3repE0EEENS1_30default_config_static_selectorELNS0_4arch9wavefront6targetE1EEEvSK_,comdat
	.globl	_ZN7rocprim17ROCPRIM_400000_NS6detail17trampoline_kernelINS0_14default_configENS1_36segmented_radix_sort_config_selectorIilEEZNS1_25segmented_radix_sort_implIS3_Lb0EPKiPiPKlPlN2at6native12_GLOBAL__N_18offset_tEEE10hipError_tPvRmT1_PNSt15iterator_traitsISK_E10value_typeET2_T3_PNSL_ISQ_E10value_typeET4_jRbjT5_SW_jjP12ihipStream_tbEUlT_E2_NS1_11comp_targetILNS1_3genE0ELNS1_11target_archE4294967295ELNS1_3gpuE0ELNS1_3repE0EEENS1_30default_config_static_selectorELNS0_4arch9wavefront6targetE1EEEvSK_ ; -- Begin function _ZN7rocprim17ROCPRIM_400000_NS6detail17trampoline_kernelINS0_14default_configENS1_36segmented_radix_sort_config_selectorIilEEZNS1_25segmented_radix_sort_implIS3_Lb0EPKiPiPKlPlN2at6native12_GLOBAL__N_18offset_tEEE10hipError_tPvRmT1_PNSt15iterator_traitsISK_E10value_typeET2_T3_PNSL_ISQ_E10value_typeET4_jRbjT5_SW_jjP12ihipStream_tbEUlT_E2_NS1_11comp_targetILNS1_3genE0ELNS1_11target_archE4294967295ELNS1_3gpuE0ELNS1_3repE0EEENS1_30default_config_static_selectorELNS0_4arch9wavefront6targetE1EEEvSK_
	.p2align	8
	.type	_ZN7rocprim17ROCPRIM_400000_NS6detail17trampoline_kernelINS0_14default_configENS1_36segmented_radix_sort_config_selectorIilEEZNS1_25segmented_radix_sort_implIS3_Lb0EPKiPiPKlPlN2at6native12_GLOBAL__N_18offset_tEEE10hipError_tPvRmT1_PNSt15iterator_traitsISK_E10value_typeET2_T3_PNSL_ISQ_E10value_typeET4_jRbjT5_SW_jjP12ihipStream_tbEUlT_E2_NS1_11comp_targetILNS1_3genE0ELNS1_11target_archE4294967295ELNS1_3gpuE0ELNS1_3repE0EEENS1_30default_config_static_selectorELNS0_4arch9wavefront6targetE1EEEvSK_,@function
_ZN7rocprim17ROCPRIM_400000_NS6detail17trampoline_kernelINS0_14default_configENS1_36segmented_radix_sort_config_selectorIilEEZNS1_25segmented_radix_sort_implIS3_Lb0EPKiPiPKlPlN2at6native12_GLOBAL__N_18offset_tEEE10hipError_tPvRmT1_PNSt15iterator_traitsISK_E10value_typeET2_T3_PNSL_ISQ_E10value_typeET4_jRbjT5_SW_jjP12ihipStream_tbEUlT_E2_NS1_11comp_targetILNS1_3genE0ELNS1_11target_archE4294967295ELNS1_3gpuE0ELNS1_3repE0EEENS1_30default_config_static_selectorELNS0_4arch9wavefront6targetE1EEEvSK_: ; @_ZN7rocprim17ROCPRIM_400000_NS6detail17trampoline_kernelINS0_14default_configENS1_36segmented_radix_sort_config_selectorIilEEZNS1_25segmented_radix_sort_implIS3_Lb0EPKiPiPKlPlN2at6native12_GLOBAL__N_18offset_tEEE10hipError_tPvRmT1_PNSt15iterator_traitsISK_E10value_typeET2_T3_PNSL_ISQ_E10value_typeET4_jRbjT5_SW_jjP12ihipStream_tbEUlT_E2_NS1_11comp_targetILNS1_3genE0ELNS1_11target_archE4294967295ELNS1_3gpuE0ELNS1_3repE0EEENS1_30default_config_static_selectorELNS0_4arch9wavefront6targetE1EEEvSK_
; %bb.0:
	.section	.rodata,"a",@progbits
	.p2align	6, 0x0
	.amdhsa_kernel _ZN7rocprim17ROCPRIM_400000_NS6detail17trampoline_kernelINS0_14default_configENS1_36segmented_radix_sort_config_selectorIilEEZNS1_25segmented_radix_sort_implIS3_Lb0EPKiPiPKlPlN2at6native12_GLOBAL__N_18offset_tEEE10hipError_tPvRmT1_PNSt15iterator_traitsISK_E10value_typeET2_T3_PNSL_ISQ_E10value_typeET4_jRbjT5_SW_jjP12ihipStream_tbEUlT_E2_NS1_11comp_targetILNS1_3genE0ELNS1_11target_archE4294967295ELNS1_3gpuE0ELNS1_3repE0EEENS1_30default_config_static_selectorELNS0_4arch9wavefront6targetE1EEEvSK_
		.amdhsa_group_segment_fixed_size 0
		.amdhsa_private_segment_fixed_size 0
		.amdhsa_kernarg_size 80
		.amdhsa_user_sgpr_count 6
		.amdhsa_user_sgpr_private_segment_buffer 1
		.amdhsa_user_sgpr_dispatch_ptr 0
		.amdhsa_user_sgpr_queue_ptr 0
		.amdhsa_user_sgpr_kernarg_segment_ptr 1
		.amdhsa_user_sgpr_dispatch_id 0
		.amdhsa_user_sgpr_flat_scratch_init 0
		.amdhsa_user_sgpr_private_segment_size 0
		.amdhsa_uses_dynamic_stack 0
		.amdhsa_system_sgpr_private_segment_wavefront_offset 0
		.amdhsa_system_sgpr_workgroup_id_x 1
		.amdhsa_system_sgpr_workgroup_id_y 0
		.amdhsa_system_sgpr_workgroup_id_z 0
		.amdhsa_system_sgpr_workgroup_info 0
		.amdhsa_system_vgpr_workitem_id 0
		.amdhsa_next_free_vgpr 1
		.amdhsa_next_free_sgpr 0
		.amdhsa_reserve_vcc 0
		.amdhsa_reserve_flat_scratch 0
		.amdhsa_float_round_mode_32 0
		.amdhsa_float_round_mode_16_64 0
		.amdhsa_float_denorm_mode_32 3
		.amdhsa_float_denorm_mode_16_64 3
		.amdhsa_dx10_clamp 1
		.amdhsa_ieee_mode 1
		.amdhsa_fp16_overflow 0
		.amdhsa_exception_fp_ieee_invalid_op 0
		.amdhsa_exception_fp_denorm_src 0
		.amdhsa_exception_fp_ieee_div_zero 0
		.amdhsa_exception_fp_ieee_overflow 0
		.amdhsa_exception_fp_ieee_underflow 0
		.amdhsa_exception_fp_ieee_inexact 0
		.amdhsa_exception_int_div_zero 0
	.end_amdhsa_kernel
	.section	.text._ZN7rocprim17ROCPRIM_400000_NS6detail17trampoline_kernelINS0_14default_configENS1_36segmented_radix_sort_config_selectorIilEEZNS1_25segmented_radix_sort_implIS3_Lb0EPKiPiPKlPlN2at6native12_GLOBAL__N_18offset_tEEE10hipError_tPvRmT1_PNSt15iterator_traitsISK_E10value_typeET2_T3_PNSL_ISQ_E10value_typeET4_jRbjT5_SW_jjP12ihipStream_tbEUlT_E2_NS1_11comp_targetILNS1_3genE0ELNS1_11target_archE4294967295ELNS1_3gpuE0ELNS1_3repE0EEENS1_30default_config_static_selectorELNS0_4arch9wavefront6targetE1EEEvSK_,"axG",@progbits,_ZN7rocprim17ROCPRIM_400000_NS6detail17trampoline_kernelINS0_14default_configENS1_36segmented_radix_sort_config_selectorIilEEZNS1_25segmented_radix_sort_implIS3_Lb0EPKiPiPKlPlN2at6native12_GLOBAL__N_18offset_tEEE10hipError_tPvRmT1_PNSt15iterator_traitsISK_E10value_typeET2_T3_PNSL_ISQ_E10value_typeET4_jRbjT5_SW_jjP12ihipStream_tbEUlT_E2_NS1_11comp_targetILNS1_3genE0ELNS1_11target_archE4294967295ELNS1_3gpuE0ELNS1_3repE0EEENS1_30default_config_static_selectorELNS0_4arch9wavefront6targetE1EEEvSK_,comdat
.Lfunc_end630:
	.size	_ZN7rocprim17ROCPRIM_400000_NS6detail17trampoline_kernelINS0_14default_configENS1_36segmented_radix_sort_config_selectorIilEEZNS1_25segmented_radix_sort_implIS3_Lb0EPKiPiPKlPlN2at6native12_GLOBAL__N_18offset_tEEE10hipError_tPvRmT1_PNSt15iterator_traitsISK_E10value_typeET2_T3_PNSL_ISQ_E10value_typeET4_jRbjT5_SW_jjP12ihipStream_tbEUlT_E2_NS1_11comp_targetILNS1_3genE0ELNS1_11target_archE4294967295ELNS1_3gpuE0ELNS1_3repE0EEENS1_30default_config_static_selectorELNS0_4arch9wavefront6targetE1EEEvSK_, .Lfunc_end630-_ZN7rocprim17ROCPRIM_400000_NS6detail17trampoline_kernelINS0_14default_configENS1_36segmented_radix_sort_config_selectorIilEEZNS1_25segmented_radix_sort_implIS3_Lb0EPKiPiPKlPlN2at6native12_GLOBAL__N_18offset_tEEE10hipError_tPvRmT1_PNSt15iterator_traitsISK_E10value_typeET2_T3_PNSL_ISQ_E10value_typeET4_jRbjT5_SW_jjP12ihipStream_tbEUlT_E2_NS1_11comp_targetILNS1_3genE0ELNS1_11target_archE4294967295ELNS1_3gpuE0ELNS1_3repE0EEENS1_30default_config_static_selectorELNS0_4arch9wavefront6targetE1EEEvSK_
                                        ; -- End function
	.set _ZN7rocprim17ROCPRIM_400000_NS6detail17trampoline_kernelINS0_14default_configENS1_36segmented_radix_sort_config_selectorIilEEZNS1_25segmented_radix_sort_implIS3_Lb0EPKiPiPKlPlN2at6native12_GLOBAL__N_18offset_tEEE10hipError_tPvRmT1_PNSt15iterator_traitsISK_E10value_typeET2_T3_PNSL_ISQ_E10value_typeET4_jRbjT5_SW_jjP12ihipStream_tbEUlT_E2_NS1_11comp_targetILNS1_3genE0ELNS1_11target_archE4294967295ELNS1_3gpuE0ELNS1_3repE0EEENS1_30default_config_static_selectorELNS0_4arch9wavefront6targetE1EEEvSK_.num_vgpr, 0
	.set _ZN7rocprim17ROCPRIM_400000_NS6detail17trampoline_kernelINS0_14default_configENS1_36segmented_radix_sort_config_selectorIilEEZNS1_25segmented_radix_sort_implIS3_Lb0EPKiPiPKlPlN2at6native12_GLOBAL__N_18offset_tEEE10hipError_tPvRmT1_PNSt15iterator_traitsISK_E10value_typeET2_T3_PNSL_ISQ_E10value_typeET4_jRbjT5_SW_jjP12ihipStream_tbEUlT_E2_NS1_11comp_targetILNS1_3genE0ELNS1_11target_archE4294967295ELNS1_3gpuE0ELNS1_3repE0EEENS1_30default_config_static_selectorELNS0_4arch9wavefront6targetE1EEEvSK_.num_agpr, 0
	.set _ZN7rocprim17ROCPRIM_400000_NS6detail17trampoline_kernelINS0_14default_configENS1_36segmented_radix_sort_config_selectorIilEEZNS1_25segmented_radix_sort_implIS3_Lb0EPKiPiPKlPlN2at6native12_GLOBAL__N_18offset_tEEE10hipError_tPvRmT1_PNSt15iterator_traitsISK_E10value_typeET2_T3_PNSL_ISQ_E10value_typeET4_jRbjT5_SW_jjP12ihipStream_tbEUlT_E2_NS1_11comp_targetILNS1_3genE0ELNS1_11target_archE4294967295ELNS1_3gpuE0ELNS1_3repE0EEENS1_30default_config_static_selectorELNS0_4arch9wavefront6targetE1EEEvSK_.numbered_sgpr, 0
	.set _ZN7rocprim17ROCPRIM_400000_NS6detail17trampoline_kernelINS0_14default_configENS1_36segmented_radix_sort_config_selectorIilEEZNS1_25segmented_radix_sort_implIS3_Lb0EPKiPiPKlPlN2at6native12_GLOBAL__N_18offset_tEEE10hipError_tPvRmT1_PNSt15iterator_traitsISK_E10value_typeET2_T3_PNSL_ISQ_E10value_typeET4_jRbjT5_SW_jjP12ihipStream_tbEUlT_E2_NS1_11comp_targetILNS1_3genE0ELNS1_11target_archE4294967295ELNS1_3gpuE0ELNS1_3repE0EEENS1_30default_config_static_selectorELNS0_4arch9wavefront6targetE1EEEvSK_.num_named_barrier, 0
	.set _ZN7rocprim17ROCPRIM_400000_NS6detail17trampoline_kernelINS0_14default_configENS1_36segmented_radix_sort_config_selectorIilEEZNS1_25segmented_radix_sort_implIS3_Lb0EPKiPiPKlPlN2at6native12_GLOBAL__N_18offset_tEEE10hipError_tPvRmT1_PNSt15iterator_traitsISK_E10value_typeET2_T3_PNSL_ISQ_E10value_typeET4_jRbjT5_SW_jjP12ihipStream_tbEUlT_E2_NS1_11comp_targetILNS1_3genE0ELNS1_11target_archE4294967295ELNS1_3gpuE0ELNS1_3repE0EEENS1_30default_config_static_selectorELNS0_4arch9wavefront6targetE1EEEvSK_.private_seg_size, 0
	.set _ZN7rocprim17ROCPRIM_400000_NS6detail17trampoline_kernelINS0_14default_configENS1_36segmented_radix_sort_config_selectorIilEEZNS1_25segmented_radix_sort_implIS3_Lb0EPKiPiPKlPlN2at6native12_GLOBAL__N_18offset_tEEE10hipError_tPvRmT1_PNSt15iterator_traitsISK_E10value_typeET2_T3_PNSL_ISQ_E10value_typeET4_jRbjT5_SW_jjP12ihipStream_tbEUlT_E2_NS1_11comp_targetILNS1_3genE0ELNS1_11target_archE4294967295ELNS1_3gpuE0ELNS1_3repE0EEENS1_30default_config_static_selectorELNS0_4arch9wavefront6targetE1EEEvSK_.uses_vcc, 0
	.set _ZN7rocprim17ROCPRIM_400000_NS6detail17trampoline_kernelINS0_14default_configENS1_36segmented_radix_sort_config_selectorIilEEZNS1_25segmented_radix_sort_implIS3_Lb0EPKiPiPKlPlN2at6native12_GLOBAL__N_18offset_tEEE10hipError_tPvRmT1_PNSt15iterator_traitsISK_E10value_typeET2_T3_PNSL_ISQ_E10value_typeET4_jRbjT5_SW_jjP12ihipStream_tbEUlT_E2_NS1_11comp_targetILNS1_3genE0ELNS1_11target_archE4294967295ELNS1_3gpuE0ELNS1_3repE0EEENS1_30default_config_static_selectorELNS0_4arch9wavefront6targetE1EEEvSK_.uses_flat_scratch, 0
	.set _ZN7rocprim17ROCPRIM_400000_NS6detail17trampoline_kernelINS0_14default_configENS1_36segmented_radix_sort_config_selectorIilEEZNS1_25segmented_radix_sort_implIS3_Lb0EPKiPiPKlPlN2at6native12_GLOBAL__N_18offset_tEEE10hipError_tPvRmT1_PNSt15iterator_traitsISK_E10value_typeET2_T3_PNSL_ISQ_E10value_typeET4_jRbjT5_SW_jjP12ihipStream_tbEUlT_E2_NS1_11comp_targetILNS1_3genE0ELNS1_11target_archE4294967295ELNS1_3gpuE0ELNS1_3repE0EEENS1_30default_config_static_selectorELNS0_4arch9wavefront6targetE1EEEvSK_.has_dyn_sized_stack, 0
	.set _ZN7rocprim17ROCPRIM_400000_NS6detail17trampoline_kernelINS0_14default_configENS1_36segmented_radix_sort_config_selectorIilEEZNS1_25segmented_radix_sort_implIS3_Lb0EPKiPiPKlPlN2at6native12_GLOBAL__N_18offset_tEEE10hipError_tPvRmT1_PNSt15iterator_traitsISK_E10value_typeET2_T3_PNSL_ISQ_E10value_typeET4_jRbjT5_SW_jjP12ihipStream_tbEUlT_E2_NS1_11comp_targetILNS1_3genE0ELNS1_11target_archE4294967295ELNS1_3gpuE0ELNS1_3repE0EEENS1_30default_config_static_selectorELNS0_4arch9wavefront6targetE1EEEvSK_.has_recursion, 0
	.set _ZN7rocprim17ROCPRIM_400000_NS6detail17trampoline_kernelINS0_14default_configENS1_36segmented_radix_sort_config_selectorIilEEZNS1_25segmented_radix_sort_implIS3_Lb0EPKiPiPKlPlN2at6native12_GLOBAL__N_18offset_tEEE10hipError_tPvRmT1_PNSt15iterator_traitsISK_E10value_typeET2_T3_PNSL_ISQ_E10value_typeET4_jRbjT5_SW_jjP12ihipStream_tbEUlT_E2_NS1_11comp_targetILNS1_3genE0ELNS1_11target_archE4294967295ELNS1_3gpuE0ELNS1_3repE0EEENS1_30default_config_static_selectorELNS0_4arch9wavefront6targetE1EEEvSK_.has_indirect_call, 0
	.section	.AMDGPU.csdata,"",@progbits
; Kernel info:
; codeLenInByte = 0
; TotalNumSgprs: 4
; NumVgprs: 0
; ScratchSize: 0
; MemoryBound: 0
; FloatMode: 240
; IeeeMode: 1
; LDSByteSize: 0 bytes/workgroup (compile time only)
; SGPRBlocks: 0
; VGPRBlocks: 0
; NumSGPRsForWavesPerEU: 4
; NumVGPRsForWavesPerEU: 1
; Occupancy: 10
; WaveLimiterHint : 0
; COMPUTE_PGM_RSRC2:SCRATCH_EN: 0
; COMPUTE_PGM_RSRC2:USER_SGPR: 6
; COMPUTE_PGM_RSRC2:TRAP_HANDLER: 0
; COMPUTE_PGM_RSRC2:TGID_X_EN: 1
; COMPUTE_PGM_RSRC2:TGID_Y_EN: 0
; COMPUTE_PGM_RSRC2:TGID_Z_EN: 0
; COMPUTE_PGM_RSRC2:TIDIG_COMP_CNT: 0
	.section	.text._ZN7rocprim17ROCPRIM_400000_NS6detail17trampoline_kernelINS0_14default_configENS1_36segmented_radix_sort_config_selectorIilEEZNS1_25segmented_radix_sort_implIS3_Lb0EPKiPiPKlPlN2at6native12_GLOBAL__N_18offset_tEEE10hipError_tPvRmT1_PNSt15iterator_traitsISK_E10value_typeET2_T3_PNSL_ISQ_E10value_typeET4_jRbjT5_SW_jjP12ihipStream_tbEUlT_E2_NS1_11comp_targetILNS1_3genE5ELNS1_11target_archE942ELNS1_3gpuE9ELNS1_3repE0EEENS1_30default_config_static_selectorELNS0_4arch9wavefront6targetE1EEEvSK_,"axG",@progbits,_ZN7rocprim17ROCPRIM_400000_NS6detail17trampoline_kernelINS0_14default_configENS1_36segmented_radix_sort_config_selectorIilEEZNS1_25segmented_radix_sort_implIS3_Lb0EPKiPiPKlPlN2at6native12_GLOBAL__N_18offset_tEEE10hipError_tPvRmT1_PNSt15iterator_traitsISK_E10value_typeET2_T3_PNSL_ISQ_E10value_typeET4_jRbjT5_SW_jjP12ihipStream_tbEUlT_E2_NS1_11comp_targetILNS1_3genE5ELNS1_11target_archE942ELNS1_3gpuE9ELNS1_3repE0EEENS1_30default_config_static_selectorELNS0_4arch9wavefront6targetE1EEEvSK_,comdat
	.globl	_ZN7rocprim17ROCPRIM_400000_NS6detail17trampoline_kernelINS0_14default_configENS1_36segmented_radix_sort_config_selectorIilEEZNS1_25segmented_radix_sort_implIS3_Lb0EPKiPiPKlPlN2at6native12_GLOBAL__N_18offset_tEEE10hipError_tPvRmT1_PNSt15iterator_traitsISK_E10value_typeET2_T3_PNSL_ISQ_E10value_typeET4_jRbjT5_SW_jjP12ihipStream_tbEUlT_E2_NS1_11comp_targetILNS1_3genE5ELNS1_11target_archE942ELNS1_3gpuE9ELNS1_3repE0EEENS1_30default_config_static_selectorELNS0_4arch9wavefront6targetE1EEEvSK_ ; -- Begin function _ZN7rocprim17ROCPRIM_400000_NS6detail17trampoline_kernelINS0_14default_configENS1_36segmented_radix_sort_config_selectorIilEEZNS1_25segmented_radix_sort_implIS3_Lb0EPKiPiPKlPlN2at6native12_GLOBAL__N_18offset_tEEE10hipError_tPvRmT1_PNSt15iterator_traitsISK_E10value_typeET2_T3_PNSL_ISQ_E10value_typeET4_jRbjT5_SW_jjP12ihipStream_tbEUlT_E2_NS1_11comp_targetILNS1_3genE5ELNS1_11target_archE942ELNS1_3gpuE9ELNS1_3repE0EEENS1_30default_config_static_selectorELNS0_4arch9wavefront6targetE1EEEvSK_
	.p2align	8
	.type	_ZN7rocprim17ROCPRIM_400000_NS6detail17trampoline_kernelINS0_14default_configENS1_36segmented_radix_sort_config_selectorIilEEZNS1_25segmented_radix_sort_implIS3_Lb0EPKiPiPKlPlN2at6native12_GLOBAL__N_18offset_tEEE10hipError_tPvRmT1_PNSt15iterator_traitsISK_E10value_typeET2_T3_PNSL_ISQ_E10value_typeET4_jRbjT5_SW_jjP12ihipStream_tbEUlT_E2_NS1_11comp_targetILNS1_3genE5ELNS1_11target_archE942ELNS1_3gpuE9ELNS1_3repE0EEENS1_30default_config_static_selectorELNS0_4arch9wavefront6targetE1EEEvSK_,@function
_ZN7rocprim17ROCPRIM_400000_NS6detail17trampoline_kernelINS0_14default_configENS1_36segmented_radix_sort_config_selectorIilEEZNS1_25segmented_radix_sort_implIS3_Lb0EPKiPiPKlPlN2at6native12_GLOBAL__N_18offset_tEEE10hipError_tPvRmT1_PNSt15iterator_traitsISK_E10value_typeET2_T3_PNSL_ISQ_E10value_typeET4_jRbjT5_SW_jjP12ihipStream_tbEUlT_E2_NS1_11comp_targetILNS1_3genE5ELNS1_11target_archE942ELNS1_3gpuE9ELNS1_3repE0EEENS1_30default_config_static_selectorELNS0_4arch9wavefront6targetE1EEEvSK_: ; @_ZN7rocprim17ROCPRIM_400000_NS6detail17trampoline_kernelINS0_14default_configENS1_36segmented_radix_sort_config_selectorIilEEZNS1_25segmented_radix_sort_implIS3_Lb0EPKiPiPKlPlN2at6native12_GLOBAL__N_18offset_tEEE10hipError_tPvRmT1_PNSt15iterator_traitsISK_E10value_typeET2_T3_PNSL_ISQ_E10value_typeET4_jRbjT5_SW_jjP12ihipStream_tbEUlT_E2_NS1_11comp_targetILNS1_3genE5ELNS1_11target_archE942ELNS1_3gpuE9ELNS1_3repE0EEENS1_30default_config_static_selectorELNS0_4arch9wavefront6targetE1EEEvSK_
; %bb.0:
	.section	.rodata,"a",@progbits
	.p2align	6, 0x0
	.amdhsa_kernel _ZN7rocprim17ROCPRIM_400000_NS6detail17trampoline_kernelINS0_14default_configENS1_36segmented_radix_sort_config_selectorIilEEZNS1_25segmented_radix_sort_implIS3_Lb0EPKiPiPKlPlN2at6native12_GLOBAL__N_18offset_tEEE10hipError_tPvRmT1_PNSt15iterator_traitsISK_E10value_typeET2_T3_PNSL_ISQ_E10value_typeET4_jRbjT5_SW_jjP12ihipStream_tbEUlT_E2_NS1_11comp_targetILNS1_3genE5ELNS1_11target_archE942ELNS1_3gpuE9ELNS1_3repE0EEENS1_30default_config_static_selectorELNS0_4arch9wavefront6targetE1EEEvSK_
		.amdhsa_group_segment_fixed_size 0
		.amdhsa_private_segment_fixed_size 0
		.amdhsa_kernarg_size 80
		.amdhsa_user_sgpr_count 6
		.amdhsa_user_sgpr_private_segment_buffer 1
		.amdhsa_user_sgpr_dispatch_ptr 0
		.amdhsa_user_sgpr_queue_ptr 0
		.amdhsa_user_sgpr_kernarg_segment_ptr 1
		.amdhsa_user_sgpr_dispatch_id 0
		.amdhsa_user_sgpr_flat_scratch_init 0
		.amdhsa_user_sgpr_private_segment_size 0
		.amdhsa_uses_dynamic_stack 0
		.amdhsa_system_sgpr_private_segment_wavefront_offset 0
		.amdhsa_system_sgpr_workgroup_id_x 1
		.amdhsa_system_sgpr_workgroup_id_y 0
		.amdhsa_system_sgpr_workgroup_id_z 0
		.amdhsa_system_sgpr_workgroup_info 0
		.amdhsa_system_vgpr_workitem_id 0
		.amdhsa_next_free_vgpr 1
		.amdhsa_next_free_sgpr 0
		.amdhsa_reserve_vcc 0
		.amdhsa_reserve_flat_scratch 0
		.amdhsa_float_round_mode_32 0
		.amdhsa_float_round_mode_16_64 0
		.amdhsa_float_denorm_mode_32 3
		.amdhsa_float_denorm_mode_16_64 3
		.amdhsa_dx10_clamp 1
		.amdhsa_ieee_mode 1
		.amdhsa_fp16_overflow 0
		.amdhsa_exception_fp_ieee_invalid_op 0
		.amdhsa_exception_fp_denorm_src 0
		.amdhsa_exception_fp_ieee_div_zero 0
		.amdhsa_exception_fp_ieee_overflow 0
		.amdhsa_exception_fp_ieee_underflow 0
		.amdhsa_exception_fp_ieee_inexact 0
		.amdhsa_exception_int_div_zero 0
	.end_amdhsa_kernel
	.section	.text._ZN7rocprim17ROCPRIM_400000_NS6detail17trampoline_kernelINS0_14default_configENS1_36segmented_radix_sort_config_selectorIilEEZNS1_25segmented_radix_sort_implIS3_Lb0EPKiPiPKlPlN2at6native12_GLOBAL__N_18offset_tEEE10hipError_tPvRmT1_PNSt15iterator_traitsISK_E10value_typeET2_T3_PNSL_ISQ_E10value_typeET4_jRbjT5_SW_jjP12ihipStream_tbEUlT_E2_NS1_11comp_targetILNS1_3genE5ELNS1_11target_archE942ELNS1_3gpuE9ELNS1_3repE0EEENS1_30default_config_static_selectorELNS0_4arch9wavefront6targetE1EEEvSK_,"axG",@progbits,_ZN7rocprim17ROCPRIM_400000_NS6detail17trampoline_kernelINS0_14default_configENS1_36segmented_radix_sort_config_selectorIilEEZNS1_25segmented_radix_sort_implIS3_Lb0EPKiPiPKlPlN2at6native12_GLOBAL__N_18offset_tEEE10hipError_tPvRmT1_PNSt15iterator_traitsISK_E10value_typeET2_T3_PNSL_ISQ_E10value_typeET4_jRbjT5_SW_jjP12ihipStream_tbEUlT_E2_NS1_11comp_targetILNS1_3genE5ELNS1_11target_archE942ELNS1_3gpuE9ELNS1_3repE0EEENS1_30default_config_static_selectorELNS0_4arch9wavefront6targetE1EEEvSK_,comdat
.Lfunc_end631:
	.size	_ZN7rocprim17ROCPRIM_400000_NS6detail17trampoline_kernelINS0_14default_configENS1_36segmented_radix_sort_config_selectorIilEEZNS1_25segmented_radix_sort_implIS3_Lb0EPKiPiPKlPlN2at6native12_GLOBAL__N_18offset_tEEE10hipError_tPvRmT1_PNSt15iterator_traitsISK_E10value_typeET2_T3_PNSL_ISQ_E10value_typeET4_jRbjT5_SW_jjP12ihipStream_tbEUlT_E2_NS1_11comp_targetILNS1_3genE5ELNS1_11target_archE942ELNS1_3gpuE9ELNS1_3repE0EEENS1_30default_config_static_selectorELNS0_4arch9wavefront6targetE1EEEvSK_, .Lfunc_end631-_ZN7rocprim17ROCPRIM_400000_NS6detail17trampoline_kernelINS0_14default_configENS1_36segmented_radix_sort_config_selectorIilEEZNS1_25segmented_radix_sort_implIS3_Lb0EPKiPiPKlPlN2at6native12_GLOBAL__N_18offset_tEEE10hipError_tPvRmT1_PNSt15iterator_traitsISK_E10value_typeET2_T3_PNSL_ISQ_E10value_typeET4_jRbjT5_SW_jjP12ihipStream_tbEUlT_E2_NS1_11comp_targetILNS1_3genE5ELNS1_11target_archE942ELNS1_3gpuE9ELNS1_3repE0EEENS1_30default_config_static_selectorELNS0_4arch9wavefront6targetE1EEEvSK_
                                        ; -- End function
	.set _ZN7rocprim17ROCPRIM_400000_NS6detail17trampoline_kernelINS0_14default_configENS1_36segmented_radix_sort_config_selectorIilEEZNS1_25segmented_radix_sort_implIS3_Lb0EPKiPiPKlPlN2at6native12_GLOBAL__N_18offset_tEEE10hipError_tPvRmT1_PNSt15iterator_traitsISK_E10value_typeET2_T3_PNSL_ISQ_E10value_typeET4_jRbjT5_SW_jjP12ihipStream_tbEUlT_E2_NS1_11comp_targetILNS1_3genE5ELNS1_11target_archE942ELNS1_3gpuE9ELNS1_3repE0EEENS1_30default_config_static_selectorELNS0_4arch9wavefront6targetE1EEEvSK_.num_vgpr, 0
	.set _ZN7rocprim17ROCPRIM_400000_NS6detail17trampoline_kernelINS0_14default_configENS1_36segmented_radix_sort_config_selectorIilEEZNS1_25segmented_radix_sort_implIS3_Lb0EPKiPiPKlPlN2at6native12_GLOBAL__N_18offset_tEEE10hipError_tPvRmT1_PNSt15iterator_traitsISK_E10value_typeET2_T3_PNSL_ISQ_E10value_typeET4_jRbjT5_SW_jjP12ihipStream_tbEUlT_E2_NS1_11comp_targetILNS1_3genE5ELNS1_11target_archE942ELNS1_3gpuE9ELNS1_3repE0EEENS1_30default_config_static_selectorELNS0_4arch9wavefront6targetE1EEEvSK_.num_agpr, 0
	.set _ZN7rocprim17ROCPRIM_400000_NS6detail17trampoline_kernelINS0_14default_configENS1_36segmented_radix_sort_config_selectorIilEEZNS1_25segmented_radix_sort_implIS3_Lb0EPKiPiPKlPlN2at6native12_GLOBAL__N_18offset_tEEE10hipError_tPvRmT1_PNSt15iterator_traitsISK_E10value_typeET2_T3_PNSL_ISQ_E10value_typeET4_jRbjT5_SW_jjP12ihipStream_tbEUlT_E2_NS1_11comp_targetILNS1_3genE5ELNS1_11target_archE942ELNS1_3gpuE9ELNS1_3repE0EEENS1_30default_config_static_selectorELNS0_4arch9wavefront6targetE1EEEvSK_.numbered_sgpr, 0
	.set _ZN7rocprim17ROCPRIM_400000_NS6detail17trampoline_kernelINS0_14default_configENS1_36segmented_radix_sort_config_selectorIilEEZNS1_25segmented_radix_sort_implIS3_Lb0EPKiPiPKlPlN2at6native12_GLOBAL__N_18offset_tEEE10hipError_tPvRmT1_PNSt15iterator_traitsISK_E10value_typeET2_T3_PNSL_ISQ_E10value_typeET4_jRbjT5_SW_jjP12ihipStream_tbEUlT_E2_NS1_11comp_targetILNS1_3genE5ELNS1_11target_archE942ELNS1_3gpuE9ELNS1_3repE0EEENS1_30default_config_static_selectorELNS0_4arch9wavefront6targetE1EEEvSK_.num_named_barrier, 0
	.set _ZN7rocprim17ROCPRIM_400000_NS6detail17trampoline_kernelINS0_14default_configENS1_36segmented_radix_sort_config_selectorIilEEZNS1_25segmented_radix_sort_implIS3_Lb0EPKiPiPKlPlN2at6native12_GLOBAL__N_18offset_tEEE10hipError_tPvRmT1_PNSt15iterator_traitsISK_E10value_typeET2_T3_PNSL_ISQ_E10value_typeET4_jRbjT5_SW_jjP12ihipStream_tbEUlT_E2_NS1_11comp_targetILNS1_3genE5ELNS1_11target_archE942ELNS1_3gpuE9ELNS1_3repE0EEENS1_30default_config_static_selectorELNS0_4arch9wavefront6targetE1EEEvSK_.private_seg_size, 0
	.set _ZN7rocprim17ROCPRIM_400000_NS6detail17trampoline_kernelINS0_14default_configENS1_36segmented_radix_sort_config_selectorIilEEZNS1_25segmented_radix_sort_implIS3_Lb0EPKiPiPKlPlN2at6native12_GLOBAL__N_18offset_tEEE10hipError_tPvRmT1_PNSt15iterator_traitsISK_E10value_typeET2_T3_PNSL_ISQ_E10value_typeET4_jRbjT5_SW_jjP12ihipStream_tbEUlT_E2_NS1_11comp_targetILNS1_3genE5ELNS1_11target_archE942ELNS1_3gpuE9ELNS1_3repE0EEENS1_30default_config_static_selectorELNS0_4arch9wavefront6targetE1EEEvSK_.uses_vcc, 0
	.set _ZN7rocprim17ROCPRIM_400000_NS6detail17trampoline_kernelINS0_14default_configENS1_36segmented_radix_sort_config_selectorIilEEZNS1_25segmented_radix_sort_implIS3_Lb0EPKiPiPKlPlN2at6native12_GLOBAL__N_18offset_tEEE10hipError_tPvRmT1_PNSt15iterator_traitsISK_E10value_typeET2_T3_PNSL_ISQ_E10value_typeET4_jRbjT5_SW_jjP12ihipStream_tbEUlT_E2_NS1_11comp_targetILNS1_3genE5ELNS1_11target_archE942ELNS1_3gpuE9ELNS1_3repE0EEENS1_30default_config_static_selectorELNS0_4arch9wavefront6targetE1EEEvSK_.uses_flat_scratch, 0
	.set _ZN7rocprim17ROCPRIM_400000_NS6detail17trampoline_kernelINS0_14default_configENS1_36segmented_radix_sort_config_selectorIilEEZNS1_25segmented_radix_sort_implIS3_Lb0EPKiPiPKlPlN2at6native12_GLOBAL__N_18offset_tEEE10hipError_tPvRmT1_PNSt15iterator_traitsISK_E10value_typeET2_T3_PNSL_ISQ_E10value_typeET4_jRbjT5_SW_jjP12ihipStream_tbEUlT_E2_NS1_11comp_targetILNS1_3genE5ELNS1_11target_archE942ELNS1_3gpuE9ELNS1_3repE0EEENS1_30default_config_static_selectorELNS0_4arch9wavefront6targetE1EEEvSK_.has_dyn_sized_stack, 0
	.set _ZN7rocprim17ROCPRIM_400000_NS6detail17trampoline_kernelINS0_14default_configENS1_36segmented_radix_sort_config_selectorIilEEZNS1_25segmented_radix_sort_implIS3_Lb0EPKiPiPKlPlN2at6native12_GLOBAL__N_18offset_tEEE10hipError_tPvRmT1_PNSt15iterator_traitsISK_E10value_typeET2_T3_PNSL_ISQ_E10value_typeET4_jRbjT5_SW_jjP12ihipStream_tbEUlT_E2_NS1_11comp_targetILNS1_3genE5ELNS1_11target_archE942ELNS1_3gpuE9ELNS1_3repE0EEENS1_30default_config_static_selectorELNS0_4arch9wavefront6targetE1EEEvSK_.has_recursion, 0
	.set _ZN7rocprim17ROCPRIM_400000_NS6detail17trampoline_kernelINS0_14default_configENS1_36segmented_radix_sort_config_selectorIilEEZNS1_25segmented_radix_sort_implIS3_Lb0EPKiPiPKlPlN2at6native12_GLOBAL__N_18offset_tEEE10hipError_tPvRmT1_PNSt15iterator_traitsISK_E10value_typeET2_T3_PNSL_ISQ_E10value_typeET4_jRbjT5_SW_jjP12ihipStream_tbEUlT_E2_NS1_11comp_targetILNS1_3genE5ELNS1_11target_archE942ELNS1_3gpuE9ELNS1_3repE0EEENS1_30default_config_static_selectorELNS0_4arch9wavefront6targetE1EEEvSK_.has_indirect_call, 0
	.section	.AMDGPU.csdata,"",@progbits
; Kernel info:
; codeLenInByte = 0
; TotalNumSgprs: 4
; NumVgprs: 0
; ScratchSize: 0
; MemoryBound: 0
; FloatMode: 240
; IeeeMode: 1
; LDSByteSize: 0 bytes/workgroup (compile time only)
; SGPRBlocks: 0
; VGPRBlocks: 0
; NumSGPRsForWavesPerEU: 4
; NumVGPRsForWavesPerEU: 1
; Occupancy: 10
; WaveLimiterHint : 0
; COMPUTE_PGM_RSRC2:SCRATCH_EN: 0
; COMPUTE_PGM_RSRC2:USER_SGPR: 6
; COMPUTE_PGM_RSRC2:TRAP_HANDLER: 0
; COMPUTE_PGM_RSRC2:TGID_X_EN: 1
; COMPUTE_PGM_RSRC2:TGID_Y_EN: 0
; COMPUTE_PGM_RSRC2:TGID_Z_EN: 0
; COMPUTE_PGM_RSRC2:TIDIG_COMP_CNT: 0
	.section	.text._ZN7rocprim17ROCPRIM_400000_NS6detail17trampoline_kernelINS0_14default_configENS1_36segmented_radix_sort_config_selectorIilEEZNS1_25segmented_radix_sort_implIS3_Lb0EPKiPiPKlPlN2at6native12_GLOBAL__N_18offset_tEEE10hipError_tPvRmT1_PNSt15iterator_traitsISK_E10value_typeET2_T3_PNSL_ISQ_E10value_typeET4_jRbjT5_SW_jjP12ihipStream_tbEUlT_E2_NS1_11comp_targetILNS1_3genE4ELNS1_11target_archE910ELNS1_3gpuE8ELNS1_3repE0EEENS1_30default_config_static_selectorELNS0_4arch9wavefront6targetE1EEEvSK_,"axG",@progbits,_ZN7rocprim17ROCPRIM_400000_NS6detail17trampoline_kernelINS0_14default_configENS1_36segmented_radix_sort_config_selectorIilEEZNS1_25segmented_radix_sort_implIS3_Lb0EPKiPiPKlPlN2at6native12_GLOBAL__N_18offset_tEEE10hipError_tPvRmT1_PNSt15iterator_traitsISK_E10value_typeET2_T3_PNSL_ISQ_E10value_typeET4_jRbjT5_SW_jjP12ihipStream_tbEUlT_E2_NS1_11comp_targetILNS1_3genE4ELNS1_11target_archE910ELNS1_3gpuE8ELNS1_3repE0EEENS1_30default_config_static_selectorELNS0_4arch9wavefront6targetE1EEEvSK_,comdat
	.globl	_ZN7rocprim17ROCPRIM_400000_NS6detail17trampoline_kernelINS0_14default_configENS1_36segmented_radix_sort_config_selectorIilEEZNS1_25segmented_radix_sort_implIS3_Lb0EPKiPiPKlPlN2at6native12_GLOBAL__N_18offset_tEEE10hipError_tPvRmT1_PNSt15iterator_traitsISK_E10value_typeET2_T3_PNSL_ISQ_E10value_typeET4_jRbjT5_SW_jjP12ihipStream_tbEUlT_E2_NS1_11comp_targetILNS1_3genE4ELNS1_11target_archE910ELNS1_3gpuE8ELNS1_3repE0EEENS1_30default_config_static_selectorELNS0_4arch9wavefront6targetE1EEEvSK_ ; -- Begin function _ZN7rocprim17ROCPRIM_400000_NS6detail17trampoline_kernelINS0_14default_configENS1_36segmented_radix_sort_config_selectorIilEEZNS1_25segmented_radix_sort_implIS3_Lb0EPKiPiPKlPlN2at6native12_GLOBAL__N_18offset_tEEE10hipError_tPvRmT1_PNSt15iterator_traitsISK_E10value_typeET2_T3_PNSL_ISQ_E10value_typeET4_jRbjT5_SW_jjP12ihipStream_tbEUlT_E2_NS1_11comp_targetILNS1_3genE4ELNS1_11target_archE910ELNS1_3gpuE8ELNS1_3repE0EEENS1_30default_config_static_selectorELNS0_4arch9wavefront6targetE1EEEvSK_
	.p2align	8
	.type	_ZN7rocprim17ROCPRIM_400000_NS6detail17trampoline_kernelINS0_14default_configENS1_36segmented_radix_sort_config_selectorIilEEZNS1_25segmented_radix_sort_implIS3_Lb0EPKiPiPKlPlN2at6native12_GLOBAL__N_18offset_tEEE10hipError_tPvRmT1_PNSt15iterator_traitsISK_E10value_typeET2_T3_PNSL_ISQ_E10value_typeET4_jRbjT5_SW_jjP12ihipStream_tbEUlT_E2_NS1_11comp_targetILNS1_3genE4ELNS1_11target_archE910ELNS1_3gpuE8ELNS1_3repE0EEENS1_30default_config_static_selectorELNS0_4arch9wavefront6targetE1EEEvSK_,@function
_ZN7rocprim17ROCPRIM_400000_NS6detail17trampoline_kernelINS0_14default_configENS1_36segmented_radix_sort_config_selectorIilEEZNS1_25segmented_radix_sort_implIS3_Lb0EPKiPiPKlPlN2at6native12_GLOBAL__N_18offset_tEEE10hipError_tPvRmT1_PNSt15iterator_traitsISK_E10value_typeET2_T3_PNSL_ISQ_E10value_typeET4_jRbjT5_SW_jjP12ihipStream_tbEUlT_E2_NS1_11comp_targetILNS1_3genE4ELNS1_11target_archE910ELNS1_3gpuE8ELNS1_3repE0EEENS1_30default_config_static_selectorELNS0_4arch9wavefront6targetE1EEEvSK_: ; @_ZN7rocprim17ROCPRIM_400000_NS6detail17trampoline_kernelINS0_14default_configENS1_36segmented_radix_sort_config_selectorIilEEZNS1_25segmented_radix_sort_implIS3_Lb0EPKiPiPKlPlN2at6native12_GLOBAL__N_18offset_tEEE10hipError_tPvRmT1_PNSt15iterator_traitsISK_E10value_typeET2_T3_PNSL_ISQ_E10value_typeET4_jRbjT5_SW_jjP12ihipStream_tbEUlT_E2_NS1_11comp_targetILNS1_3genE4ELNS1_11target_archE910ELNS1_3gpuE8ELNS1_3repE0EEENS1_30default_config_static_selectorELNS0_4arch9wavefront6targetE1EEEvSK_
; %bb.0:
	.section	.rodata,"a",@progbits
	.p2align	6, 0x0
	.amdhsa_kernel _ZN7rocprim17ROCPRIM_400000_NS6detail17trampoline_kernelINS0_14default_configENS1_36segmented_radix_sort_config_selectorIilEEZNS1_25segmented_radix_sort_implIS3_Lb0EPKiPiPKlPlN2at6native12_GLOBAL__N_18offset_tEEE10hipError_tPvRmT1_PNSt15iterator_traitsISK_E10value_typeET2_T3_PNSL_ISQ_E10value_typeET4_jRbjT5_SW_jjP12ihipStream_tbEUlT_E2_NS1_11comp_targetILNS1_3genE4ELNS1_11target_archE910ELNS1_3gpuE8ELNS1_3repE0EEENS1_30default_config_static_selectorELNS0_4arch9wavefront6targetE1EEEvSK_
		.amdhsa_group_segment_fixed_size 0
		.amdhsa_private_segment_fixed_size 0
		.amdhsa_kernarg_size 80
		.amdhsa_user_sgpr_count 6
		.amdhsa_user_sgpr_private_segment_buffer 1
		.amdhsa_user_sgpr_dispatch_ptr 0
		.amdhsa_user_sgpr_queue_ptr 0
		.amdhsa_user_sgpr_kernarg_segment_ptr 1
		.amdhsa_user_sgpr_dispatch_id 0
		.amdhsa_user_sgpr_flat_scratch_init 0
		.amdhsa_user_sgpr_private_segment_size 0
		.amdhsa_uses_dynamic_stack 0
		.amdhsa_system_sgpr_private_segment_wavefront_offset 0
		.amdhsa_system_sgpr_workgroup_id_x 1
		.amdhsa_system_sgpr_workgroup_id_y 0
		.amdhsa_system_sgpr_workgroup_id_z 0
		.amdhsa_system_sgpr_workgroup_info 0
		.amdhsa_system_vgpr_workitem_id 0
		.amdhsa_next_free_vgpr 1
		.amdhsa_next_free_sgpr 0
		.amdhsa_reserve_vcc 0
		.amdhsa_reserve_flat_scratch 0
		.amdhsa_float_round_mode_32 0
		.amdhsa_float_round_mode_16_64 0
		.amdhsa_float_denorm_mode_32 3
		.amdhsa_float_denorm_mode_16_64 3
		.amdhsa_dx10_clamp 1
		.amdhsa_ieee_mode 1
		.amdhsa_fp16_overflow 0
		.amdhsa_exception_fp_ieee_invalid_op 0
		.amdhsa_exception_fp_denorm_src 0
		.amdhsa_exception_fp_ieee_div_zero 0
		.amdhsa_exception_fp_ieee_overflow 0
		.amdhsa_exception_fp_ieee_underflow 0
		.amdhsa_exception_fp_ieee_inexact 0
		.amdhsa_exception_int_div_zero 0
	.end_amdhsa_kernel
	.section	.text._ZN7rocprim17ROCPRIM_400000_NS6detail17trampoline_kernelINS0_14default_configENS1_36segmented_radix_sort_config_selectorIilEEZNS1_25segmented_radix_sort_implIS3_Lb0EPKiPiPKlPlN2at6native12_GLOBAL__N_18offset_tEEE10hipError_tPvRmT1_PNSt15iterator_traitsISK_E10value_typeET2_T3_PNSL_ISQ_E10value_typeET4_jRbjT5_SW_jjP12ihipStream_tbEUlT_E2_NS1_11comp_targetILNS1_3genE4ELNS1_11target_archE910ELNS1_3gpuE8ELNS1_3repE0EEENS1_30default_config_static_selectorELNS0_4arch9wavefront6targetE1EEEvSK_,"axG",@progbits,_ZN7rocprim17ROCPRIM_400000_NS6detail17trampoline_kernelINS0_14default_configENS1_36segmented_radix_sort_config_selectorIilEEZNS1_25segmented_radix_sort_implIS3_Lb0EPKiPiPKlPlN2at6native12_GLOBAL__N_18offset_tEEE10hipError_tPvRmT1_PNSt15iterator_traitsISK_E10value_typeET2_T3_PNSL_ISQ_E10value_typeET4_jRbjT5_SW_jjP12ihipStream_tbEUlT_E2_NS1_11comp_targetILNS1_3genE4ELNS1_11target_archE910ELNS1_3gpuE8ELNS1_3repE0EEENS1_30default_config_static_selectorELNS0_4arch9wavefront6targetE1EEEvSK_,comdat
.Lfunc_end632:
	.size	_ZN7rocprim17ROCPRIM_400000_NS6detail17trampoline_kernelINS0_14default_configENS1_36segmented_radix_sort_config_selectorIilEEZNS1_25segmented_radix_sort_implIS3_Lb0EPKiPiPKlPlN2at6native12_GLOBAL__N_18offset_tEEE10hipError_tPvRmT1_PNSt15iterator_traitsISK_E10value_typeET2_T3_PNSL_ISQ_E10value_typeET4_jRbjT5_SW_jjP12ihipStream_tbEUlT_E2_NS1_11comp_targetILNS1_3genE4ELNS1_11target_archE910ELNS1_3gpuE8ELNS1_3repE0EEENS1_30default_config_static_selectorELNS0_4arch9wavefront6targetE1EEEvSK_, .Lfunc_end632-_ZN7rocprim17ROCPRIM_400000_NS6detail17trampoline_kernelINS0_14default_configENS1_36segmented_radix_sort_config_selectorIilEEZNS1_25segmented_radix_sort_implIS3_Lb0EPKiPiPKlPlN2at6native12_GLOBAL__N_18offset_tEEE10hipError_tPvRmT1_PNSt15iterator_traitsISK_E10value_typeET2_T3_PNSL_ISQ_E10value_typeET4_jRbjT5_SW_jjP12ihipStream_tbEUlT_E2_NS1_11comp_targetILNS1_3genE4ELNS1_11target_archE910ELNS1_3gpuE8ELNS1_3repE0EEENS1_30default_config_static_selectorELNS0_4arch9wavefront6targetE1EEEvSK_
                                        ; -- End function
	.set _ZN7rocprim17ROCPRIM_400000_NS6detail17trampoline_kernelINS0_14default_configENS1_36segmented_radix_sort_config_selectorIilEEZNS1_25segmented_radix_sort_implIS3_Lb0EPKiPiPKlPlN2at6native12_GLOBAL__N_18offset_tEEE10hipError_tPvRmT1_PNSt15iterator_traitsISK_E10value_typeET2_T3_PNSL_ISQ_E10value_typeET4_jRbjT5_SW_jjP12ihipStream_tbEUlT_E2_NS1_11comp_targetILNS1_3genE4ELNS1_11target_archE910ELNS1_3gpuE8ELNS1_3repE0EEENS1_30default_config_static_selectorELNS0_4arch9wavefront6targetE1EEEvSK_.num_vgpr, 0
	.set _ZN7rocprim17ROCPRIM_400000_NS6detail17trampoline_kernelINS0_14default_configENS1_36segmented_radix_sort_config_selectorIilEEZNS1_25segmented_radix_sort_implIS3_Lb0EPKiPiPKlPlN2at6native12_GLOBAL__N_18offset_tEEE10hipError_tPvRmT1_PNSt15iterator_traitsISK_E10value_typeET2_T3_PNSL_ISQ_E10value_typeET4_jRbjT5_SW_jjP12ihipStream_tbEUlT_E2_NS1_11comp_targetILNS1_3genE4ELNS1_11target_archE910ELNS1_3gpuE8ELNS1_3repE0EEENS1_30default_config_static_selectorELNS0_4arch9wavefront6targetE1EEEvSK_.num_agpr, 0
	.set _ZN7rocprim17ROCPRIM_400000_NS6detail17trampoline_kernelINS0_14default_configENS1_36segmented_radix_sort_config_selectorIilEEZNS1_25segmented_radix_sort_implIS3_Lb0EPKiPiPKlPlN2at6native12_GLOBAL__N_18offset_tEEE10hipError_tPvRmT1_PNSt15iterator_traitsISK_E10value_typeET2_T3_PNSL_ISQ_E10value_typeET4_jRbjT5_SW_jjP12ihipStream_tbEUlT_E2_NS1_11comp_targetILNS1_3genE4ELNS1_11target_archE910ELNS1_3gpuE8ELNS1_3repE0EEENS1_30default_config_static_selectorELNS0_4arch9wavefront6targetE1EEEvSK_.numbered_sgpr, 0
	.set _ZN7rocprim17ROCPRIM_400000_NS6detail17trampoline_kernelINS0_14default_configENS1_36segmented_radix_sort_config_selectorIilEEZNS1_25segmented_radix_sort_implIS3_Lb0EPKiPiPKlPlN2at6native12_GLOBAL__N_18offset_tEEE10hipError_tPvRmT1_PNSt15iterator_traitsISK_E10value_typeET2_T3_PNSL_ISQ_E10value_typeET4_jRbjT5_SW_jjP12ihipStream_tbEUlT_E2_NS1_11comp_targetILNS1_3genE4ELNS1_11target_archE910ELNS1_3gpuE8ELNS1_3repE0EEENS1_30default_config_static_selectorELNS0_4arch9wavefront6targetE1EEEvSK_.num_named_barrier, 0
	.set _ZN7rocprim17ROCPRIM_400000_NS6detail17trampoline_kernelINS0_14default_configENS1_36segmented_radix_sort_config_selectorIilEEZNS1_25segmented_radix_sort_implIS3_Lb0EPKiPiPKlPlN2at6native12_GLOBAL__N_18offset_tEEE10hipError_tPvRmT1_PNSt15iterator_traitsISK_E10value_typeET2_T3_PNSL_ISQ_E10value_typeET4_jRbjT5_SW_jjP12ihipStream_tbEUlT_E2_NS1_11comp_targetILNS1_3genE4ELNS1_11target_archE910ELNS1_3gpuE8ELNS1_3repE0EEENS1_30default_config_static_selectorELNS0_4arch9wavefront6targetE1EEEvSK_.private_seg_size, 0
	.set _ZN7rocprim17ROCPRIM_400000_NS6detail17trampoline_kernelINS0_14default_configENS1_36segmented_radix_sort_config_selectorIilEEZNS1_25segmented_radix_sort_implIS3_Lb0EPKiPiPKlPlN2at6native12_GLOBAL__N_18offset_tEEE10hipError_tPvRmT1_PNSt15iterator_traitsISK_E10value_typeET2_T3_PNSL_ISQ_E10value_typeET4_jRbjT5_SW_jjP12ihipStream_tbEUlT_E2_NS1_11comp_targetILNS1_3genE4ELNS1_11target_archE910ELNS1_3gpuE8ELNS1_3repE0EEENS1_30default_config_static_selectorELNS0_4arch9wavefront6targetE1EEEvSK_.uses_vcc, 0
	.set _ZN7rocprim17ROCPRIM_400000_NS6detail17trampoline_kernelINS0_14default_configENS1_36segmented_radix_sort_config_selectorIilEEZNS1_25segmented_radix_sort_implIS3_Lb0EPKiPiPKlPlN2at6native12_GLOBAL__N_18offset_tEEE10hipError_tPvRmT1_PNSt15iterator_traitsISK_E10value_typeET2_T3_PNSL_ISQ_E10value_typeET4_jRbjT5_SW_jjP12ihipStream_tbEUlT_E2_NS1_11comp_targetILNS1_3genE4ELNS1_11target_archE910ELNS1_3gpuE8ELNS1_3repE0EEENS1_30default_config_static_selectorELNS0_4arch9wavefront6targetE1EEEvSK_.uses_flat_scratch, 0
	.set _ZN7rocprim17ROCPRIM_400000_NS6detail17trampoline_kernelINS0_14default_configENS1_36segmented_radix_sort_config_selectorIilEEZNS1_25segmented_radix_sort_implIS3_Lb0EPKiPiPKlPlN2at6native12_GLOBAL__N_18offset_tEEE10hipError_tPvRmT1_PNSt15iterator_traitsISK_E10value_typeET2_T3_PNSL_ISQ_E10value_typeET4_jRbjT5_SW_jjP12ihipStream_tbEUlT_E2_NS1_11comp_targetILNS1_3genE4ELNS1_11target_archE910ELNS1_3gpuE8ELNS1_3repE0EEENS1_30default_config_static_selectorELNS0_4arch9wavefront6targetE1EEEvSK_.has_dyn_sized_stack, 0
	.set _ZN7rocprim17ROCPRIM_400000_NS6detail17trampoline_kernelINS0_14default_configENS1_36segmented_radix_sort_config_selectorIilEEZNS1_25segmented_radix_sort_implIS3_Lb0EPKiPiPKlPlN2at6native12_GLOBAL__N_18offset_tEEE10hipError_tPvRmT1_PNSt15iterator_traitsISK_E10value_typeET2_T3_PNSL_ISQ_E10value_typeET4_jRbjT5_SW_jjP12ihipStream_tbEUlT_E2_NS1_11comp_targetILNS1_3genE4ELNS1_11target_archE910ELNS1_3gpuE8ELNS1_3repE0EEENS1_30default_config_static_selectorELNS0_4arch9wavefront6targetE1EEEvSK_.has_recursion, 0
	.set _ZN7rocprim17ROCPRIM_400000_NS6detail17trampoline_kernelINS0_14default_configENS1_36segmented_radix_sort_config_selectorIilEEZNS1_25segmented_radix_sort_implIS3_Lb0EPKiPiPKlPlN2at6native12_GLOBAL__N_18offset_tEEE10hipError_tPvRmT1_PNSt15iterator_traitsISK_E10value_typeET2_T3_PNSL_ISQ_E10value_typeET4_jRbjT5_SW_jjP12ihipStream_tbEUlT_E2_NS1_11comp_targetILNS1_3genE4ELNS1_11target_archE910ELNS1_3gpuE8ELNS1_3repE0EEENS1_30default_config_static_selectorELNS0_4arch9wavefront6targetE1EEEvSK_.has_indirect_call, 0
	.section	.AMDGPU.csdata,"",@progbits
; Kernel info:
; codeLenInByte = 0
; TotalNumSgprs: 4
; NumVgprs: 0
; ScratchSize: 0
; MemoryBound: 0
; FloatMode: 240
; IeeeMode: 1
; LDSByteSize: 0 bytes/workgroup (compile time only)
; SGPRBlocks: 0
; VGPRBlocks: 0
; NumSGPRsForWavesPerEU: 4
; NumVGPRsForWavesPerEU: 1
; Occupancy: 10
; WaveLimiterHint : 0
; COMPUTE_PGM_RSRC2:SCRATCH_EN: 0
; COMPUTE_PGM_RSRC2:USER_SGPR: 6
; COMPUTE_PGM_RSRC2:TRAP_HANDLER: 0
; COMPUTE_PGM_RSRC2:TGID_X_EN: 1
; COMPUTE_PGM_RSRC2:TGID_Y_EN: 0
; COMPUTE_PGM_RSRC2:TGID_Z_EN: 0
; COMPUTE_PGM_RSRC2:TIDIG_COMP_CNT: 0
	.section	.text._ZN7rocprim17ROCPRIM_400000_NS6detail17trampoline_kernelINS0_14default_configENS1_36segmented_radix_sort_config_selectorIilEEZNS1_25segmented_radix_sort_implIS3_Lb0EPKiPiPKlPlN2at6native12_GLOBAL__N_18offset_tEEE10hipError_tPvRmT1_PNSt15iterator_traitsISK_E10value_typeET2_T3_PNSL_ISQ_E10value_typeET4_jRbjT5_SW_jjP12ihipStream_tbEUlT_E2_NS1_11comp_targetILNS1_3genE3ELNS1_11target_archE908ELNS1_3gpuE7ELNS1_3repE0EEENS1_30default_config_static_selectorELNS0_4arch9wavefront6targetE1EEEvSK_,"axG",@progbits,_ZN7rocprim17ROCPRIM_400000_NS6detail17trampoline_kernelINS0_14default_configENS1_36segmented_radix_sort_config_selectorIilEEZNS1_25segmented_radix_sort_implIS3_Lb0EPKiPiPKlPlN2at6native12_GLOBAL__N_18offset_tEEE10hipError_tPvRmT1_PNSt15iterator_traitsISK_E10value_typeET2_T3_PNSL_ISQ_E10value_typeET4_jRbjT5_SW_jjP12ihipStream_tbEUlT_E2_NS1_11comp_targetILNS1_3genE3ELNS1_11target_archE908ELNS1_3gpuE7ELNS1_3repE0EEENS1_30default_config_static_selectorELNS0_4arch9wavefront6targetE1EEEvSK_,comdat
	.globl	_ZN7rocprim17ROCPRIM_400000_NS6detail17trampoline_kernelINS0_14default_configENS1_36segmented_radix_sort_config_selectorIilEEZNS1_25segmented_radix_sort_implIS3_Lb0EPKiPiPKlPlN2at6native12_GLOBAL__N_18offset_tEEE10hipError_tPvRmT1_PNSt15iterator_traitsISK_E10value_typeET2_T3_PNSL_ISQ_E10value_typeET4_jRbjT5_SW_jjP12ihipStream_tbEUlT_E2_NS1_11comp_targetILNS1_3genE3ELNS1_11target_archE908ELNS1_3gpuE7ELNS1_3repE0EEENS1_30default_config_static_selectorELNS0_4arch9wavefront6targetE1EEEvSK_ ; -- Begin function _ZN7rocprim17ROCPRIM_400000_NS6detail17trampoline_kernelINS0_14default_configENS1_36segmented_radix_sort_config_selectorIilEEZNS1_25segmented_radix_sort_implIS3_Lb0EPKiPiPKlPlN2at6native12_GLOBAL__N_18offset_tEEE10hipError_tPvRmT1_PNSt15iterator_traitsISK_E10value_typeET2_T3_PNSL_ISQ_E10value_typeET4_jRbjT5_SW_jjP12ihipStream_tbEUlT_E2_NS1_11comp_targetILNS1_3genE3ELNS1_11target_archE908ELNS1_3gpuE7ELNS1_3repE0EEENS1_30default_config_static_selectorELNS0_4arch9wavefront6targetE1EEEvSK_
	.p2align	8
	.type	_ZN7rocprim17ROCPRIM_400000_NS6detail17trampoline_kernelINS0_14default_configENS1_36segmented_radix_sort_config_selectorIilEEZNS1_25segmented_radix_sort_implIS3_Lb0EPKiPiPKlPlN2at6native12_GLOBAL__N_18offset_tEEE10hipError_tPvRmT1_PNSt15iterator_traitsISK_E10value_typeET2_T3_PNSL_ISQ_E10value_typeET4_jRbjT5_SW_jjP12ihipStream_tbEUlT_E2_NS1_11comp_targetILNS1_3genE3ELNS1_11target_archE908ELNS1_3gpuE7ELNS1_3repE0EEENS1_30default_config_static_selectorELNS0_4arch9wavefront6targetE1EEEvSK_,@function
_ZN7rocprim17ROCPRIM_400000_NS6detail17trampoline_kernelINS0_14default_configENS1_36segmented_radix_sort_config_selectorIilEEZNS1_25segmented_radix_sort_implIS3_Lb0EPKiPiPKlPlN2at6native12_GLOBAL__N_18offset_tEEE10hipError_tPvRmT1_PNSt15iterator_traitsISK_E10value_typeET2_T3_PNSL_ISQ_E10value_typeET4_jRbjT5_SW_jjP12ihipStream_tbEUlT_E2_NS1_11comp_targetILNS1_3genE3ELNS1_11target_archE908ELNS1_3gpuE7ELNS1_3repE0EEENS1_30default_config_static_selectorELNS0_4arch9wavefront6targetE1EEEvSK_: ; @_ZN7rocprim17ROCPRIM_400000_NS6detail17trampoline_kernelINS0_14default_configENS1_36segmented_radix_sort_config_selectorIilEEZNS1_25segmented_radix_sort_implIS3_Lb0EPKiPiPKlPlN2at6native12_GLOBAL__N_18offset_tEEE10hipError_tPvRmT1_PNSt15iterator_traitsISK_E10value_typeET2_T3_PNSL_ISQ_E10value_typeET4_jRbjT5_SW_jjP12ihipStream_tbEUlT_E2_NS1_11comp_targetILNS1_3genE3ELNS1_11target_archE908ELNS1_3gpuE7ELNS1_3repE0EEENS1_30default_config_static_selectorELNS0_4arch9wavefront6targetE1EEEvSK_
; %bb.0:
	.section	.rodata,"a",@progbits
	.p2align	6, 0x0
	.amdhsa_kernel _ZN7rocprim17ROCPRIM_400000_NS6detail17trampoline_kernelINS0_14default_configENS1_36segmented_radix_sort_config_selectorIilEEZNS1_25segmented_radix_sort_implIS3_Lb0EPKiPiPKlPlN2at6native12_GLOBAL__N_18offset_tEEE10hipError_tPvRmT1_PNSt15iterator_traitsISK_E10value_typeET2_T3_PNSL_ISQ_E10value_typeET4_jRbjT5_SW_jjP12ihipStream_tbEUlT_E2_NS1_11comp_targetILNS1_3genE3ELNS1_11target_archE908ELNS1_3gpuE7ELNS1_3repE0EEENS1_30default_config_static_selectorELNS0_4arch9wavefront6targetE1EEEvSK_
		.amdhsa_group_segment_fixed_size 0
		.amdhsa_private_segment_fixed_size 0
		.amdhsa_kernarg_size 80
		.amdhsa_user_sgpr_count 6
		.amdhsa_user_sgpr_private_segment_buffer 1
		.amdhsa_user_sgpr_dispatch_ptr 0
		.amdhsa_user_sgpr_queue_ptr 0
		.amdhsa_user_sgpr_kernarg_segment_ptr 1
		.amdhsa_user_sgpr_dispatch_id 0
		.amdhsa_user_sgpr_flat_scratch_init 0
		.amdhsa_user_sgpr_private_segment_size 0
		.amdhsa_uses_dynamic_stack 0
		.amdhsa_system_sgpr_private_segment_wavefront_offset 0
		.amdhsa_system_sgpr_workgroup_id_x 1
		.amdhsa_system_sgpr_workgroup_id_y 0
		.amdhsa_system_sgpr_workgroup_id_z 0
		.amdhsa_system_sgpr_workgroup_info 0
		.amdhsa_system_vgpr_workitem_id 0
		.amdhsa_next_free_vgpr 1
		.amdhsa_next_free_sgpr 0
		.amdhsa_reserve_vcc 0
		.amdhsa_reserve_flat_scratch 0
		.amdhsa_float_round_mode_32 0
		.amdhsa_float_round_mode_16_64 0
		.amdhsa_float_denorm_mode_32 3
		.amdhsa_float_denorm_mode_16_64 3
		.amdhsa_dx10_clamp 1
		.amdhsa_ieee_mode 1
		.amdhsa_fp16_overflow 0
		.amdhsa_exception_fp_ieee_invalid_op 0
		.amdhsa_exception_fp_denorm_src 0
		.amdhsa_exception_fp_ieee_div_zero 0
		.amdhsa_exception_fp_ieee_overflow 0
		.amdhsa_exception_fp_ieee_underflow 0
		.amdhsa_exception_fp_ieee_inexact 0
		.amdhsa_exception_int_div_zero 0
	.end_amdhsa_kernel
	.section	.text._ZN7rocprim17ROCPRIM_400000_NS6detail17trampoline_kernelINS0_14default_configENS1_36segmented_radix_sort_config_selectorIilEEZNS1_25segmented_radix_sort_implIS3_Lb0EPKiPiPKlPlN2at6native12_GLOBAL__N_18offset_tEEE10hipError_tPvRmT1_PNSt15iterator_traitsISK_E10value_typeET2_T3_PNSL_ISQ_E10value_typeET4_jRbjT5_SW_jjP12ihipStream_tbEUlT_E2_NS1_11comp_targetILNS1_3genE3ELNS1_11target_archE908ELNS1_3gpuE7ELNS1_3repE0EEENS1_30default_config_static_selectorELNS0_4arch9wavefront6targetE1EEEvSK_,"axG",@progbits,_ZN7rocprim17ROCPRIM_400000_NS6detail17trampoline_kernelINS0_14default_configENS1_36segmented_radix_sort_config_selectorIilEEZNS1_25segmented_radix_sort_implIS3_Lb0EPKiPiPKlPlN2at6native12_GLOBAL__N_18offset_tEEE10hipError_tPvRmT1_PNSt15iterator_traitsISK_E10value_typeET2_T3_PNSL_ISQ_E10value_typeET4_jRbjT5_SW_jjP12ihipStream_tbEUlT_E2_NS1_11comp_targetILNS1_3genE3ELNS1_11target_archE908ELNS1_3gpuE7ELNS1_3repE0EEENS1_30default_config_static_selectorELNS0_4arch9wavefront6targetE1EEEvSK_,comdat
.Lfunc_end633:
	.size	_ZN7rocprim17ROCPRIM_400000_NS6detail17trampoline_kernelINS0_14default_configENS1_36segmented_radix_sort_config_selectorIilEEZNS1_25segmented_radix_sort_implIS3_Lb0EPKiPiPKlPlN2at6native12_GLOBAL__N_18offset_tEEE10hipError_tPvRmT1_PNSt15iterator_traitsISK_E10value_typeET2_T3_PNSL_ISQ_E10value_typeET4_jRbjT5_SW_jjP12ihipStream_tbEUlT_E2_NS1_11comp_targetILNS1_3genE3ELNS1_11target_archE908ELNS1_3gpuE7ELNS1_3repE0EEENS1_30default_config_static_selectorELNS0_4arch9wavefront6targetE1EEEvSK_, .Lfunc_end633-_ZN7rocprim17ROCPRIM_400000_NS6detail17trampoline_kernelINS0_14default_configENS1_36segmented_radix_sort_config_selectorIilEEZNS1_25segmented_radix_sort_implIS3_Lb0EPKiPiPKlPlN2at6native12_GLOBAL__N_18offset_tEEE10hipError_tPvRmT1_PNSt15iterator_traitsISK_E10value_typeET2_T3_PNSL_ISQ_E10value_typeET4_jRbjT5_SW_jjP12ihipStream_tbEUlT_E2_NS1_11comp_targetILNS1_3genE3ELNS1_11target_archE908ELNS1_3gpuE7ELNS1_3repE0EEENS1_30default_config_static_selectorELNS0_4arch9wavefront6targetE1EEEvSK_
                                        ; -- End function
	.set _ZN7rocprim17ROCPRIM_400000_NS6detail17trampoline_kernelINS0_14default_configENS1_36segmented_radix_sort_config_selectorIilEEZNS1_25segmented_radix_sort_implIS3_Lb0EPKiPiPKlPlN2at6native12_GLOBAL__N_18offset_tEEE10hipError_tPvRmT1_PNSt15iterator_traitsISK_E10value_typeET2_T3_PNSL_ISQ_E10value_typeET4_jRbjT5_SW_jjP12ihipStream_tbEUlT_E2_NS1_11comp_targetILNS1_3genE3ELNS1_11target_archE908ELNS1_3gpuE7ELNS1_3repE0EEENS1_30default_config_static_selectorELNS0_4arch9wavefront6targetE1EEEvSK_.num_vgpr, 0
	.set _ZN7rocprim17ROCPRIM_400000_NS6detail17trampoline_kernelINS0_14default_configENS1_36segmented_radix_sort_config_selectorIilEEZNS1_25segmented_radix_sort_implIS3_Lb0EPKiPiPKlPlN2at6native12_GLOBAL__N_18offset_tEEE10hipError_tPvRmT1_PNSt15iterator_traitsISK_E10value_typeET2_T3_PNSL_ISQ_E10value_typeET4_jRbjT5_SW_jjP12ihipStream_tbEUlT_E2_NS1_11comp_targetILNS1_3genE3ELNS1_11target_archE908ELNS1_3gpuE7ELNS1_3repE0EEENS1_30default_config_static_selectorELNS0_4arch9wavefront6targetE1EEEvSK_.num_agpr, 0
	.set _ZN7rocprim17ROCPRIM_400000_NS6detail17trampoline_kernelINS0_14default_configENS1_36segmented_radix_sort_config_selectorIilEEZNS1_25segmented_radix_sort_implIS3_Lb0EPKiPiPKlPlN2at6native12_GLOBAL__N_18offset_tEEE10hipError_tPvRmT1_PNSt15iterator_traitsISK_E10value_typeET2_T3_PNSL_ISQ_E10value_typeET4_jRbjT5_SW_jjP12ihipStream_tbEUlT_E2_NS1_11comp_targetILNS1_3genE3ELNS1_11target_archE908ELNS1_3gpuE7ELNS1_3repE0EEENS1_30default_config_static_selectorELNS0_4arch9wavefront6targetE1EEEvSK_.numbered_sgpr, 0
	.set _ZN7rocprim17ROCPRIM_400000_NS6detail17trampoline_kernelINS0_14default_configENS1_36segmented_radix_sort_config_selectorIilEEZNS1_25segmented_radix_sort_implIS3_Lb0EPKiPiPKlPlN2at6native12_GLOBAL__N_18offset_tEEE10hipError_tPvRmT1_PNSt15iterator_traitsISK_E10value_typeET2_T3_PNSL_ISQ_E10value_typeET4_jRbjT5_SW_jjP12ihipStream_tbEUlT_E2_NS1_11comp_targetILNS1_3genE3ELNS1_11target_archE908ELNS1_3gpuE7ELNS1_3repE0EEENS1_30default_config_static_selectorELNS0_4arch9wavefront6targetE1EEEvSK_.num_named_barrier, 0
	.set _ZN7rocprim17ROCPRIM_400000_NS6detail17trampoline_kernelINS0_14default_configENS1_36segmented_radix_sort_config_selectorIilEEZNS1_25segmented_radix_sort_implIS3_Lb0EPKiPiPKlPlN2at6native12_GLOBAL__N_18offset_tEEE10hipError_tPvRmT1_PNSt15iterator_traitsISK_E10value_typeET2_T3_PNSL_ISQ_E10value_typeET4_jRbjT5_SW_jjP12ihipStream_tbEUlT_E2_NS1_11comp_targetILNS1_3genE3ELNS1_11target_archE908ELNS1_3gpuE7ELNS1_3repE0EEENS1_30default_config_static_selectorELNS0_4arch9wavefront6targetE1EEEvSK_.private_seg_size, 0
	.set _ZN7rocprim17ROCPRIM_400000_NS6detail17trampoline_kernelINS0_14default_configENS1_36segmented_radix_sort_config_selectorIilEEZNS1_25segmented_radix_sort_implIS3_Lb0EPKiPiPKlPlN2at6native12_GLOBAL__N_18offset_tEEE10hipError_tPvRmT1_PNSt15iterator_traitsISK_E10value_typeET2_T3_PNSL_ISQ_E10value_typeET4_jRbjT5_SW_jjP12ihipStream_tbEUlT_E2_NS1_11comp_targetILNS1_3genE3ELNS1_11target_archE908ELNS1_3gpuE7ELNS1_3repE0EEENS1_30default_config_static_selectorELNS0_4arch9wavefront6targetE1EEEvSK_.uses_vcc, 0
	.set _ZN7rocprim17ROCPRIM_400000_NS6detail17trampoline_kernelINS0_14default_configENS1_36segmented_radix_sort_config_selectorIilEEZNS1_25segmented_radix_sort_implIS3_Lb0EPKiPiPKlPlN2at6native12_GLOBAL__N_18offset_tEEE10hipError_tPvRmT1_PNSt15iterator_traitsISK_E10value_typeET2_T3_PNSL_ISQ_E10value_typeET4_jRbjT5_SW_jjP12ihipStream_tbEUlT_E2_NS1_11comp_targetILNS1_3genE3ELNS1_11target_archE908ELNS1_3gpuE7ELNS1_3repE0EEENS1_30default_config_static_selectorELNS0_4arch9wavefront6targetE1EEEvSK_.uses_flat_scratch, 0
	.set _ZN7rocprim17ROCPRIM_400000_NS6detail17trampoline_kernelINS0_14default_configENS1_36segmented_radix_sort_config_selectorIilEEZNS1_25segmented_radix_sort_implIS3_Lb0EPKiPiPKlPlN2at6native12_GLOBAL__N_18offset_tEEE10hipError_tPvRmT1_PNSt15iterator_traitsISK_E10value_typeET2_T3_PNSL_ISQ_E10value_typeET4_jRbjT5_SW_jjP12ihipStream_tbEUlT_E2_NS1_11comp_targetILNS1_3genE3ELNS1_11target_archE908ELNS1_3gpuE7ELNS1_3repE0EEENS1_30default_config_static_selectorELNS0_4arch9wavefront6targetE1EEEvSK_.has_dyn_sized_stack, 0
	.set _ZN7rocprim17ROCPRIM_400000_NS6detail17trampoline_kernelINS0_14default_configENS1_36segmented_radix_sort_config_selectorIilEEZNS1_25segmented_radix_sort_implIS3_Lb0EPKiPiPKlPlN2at6native12_GLOBAL__N_18offset_tEEE10hipError_tPvRmT1_PNSt15iterator_traitsISK_E10value_typeET2_T3_PNSL_ISQ_E10value_typeET4_jRbjT5_SW_jjP12ihipStream_tbEUlT_E2_NS1_11comp_targetILNS1_3genE3ELNS1_11target_archE908ELNS1_3gpuE7ELNS1_3repE0EEENS1_30default_config_static_selectorELNS0_4arch9wavefront6targetE1EEEvSK_.has_recursion, 0
	.set _ZN7rocprim17ROCPRIM_400000_NS6detail17trampoline_kernelINS0_14default_configENS1_36segmented_radix_sort_config_selectorIilEEZNS1_25segmented_radix_sort_implIS3_Lb0EPKiPiPKlPlN2at6native12_GLOBAL__N_18offset_tEEE10hipError_tPvRmT1_PNSt15iterator_traitsISK_E10value_typeET2_T3_PNSL_ISQ_E10value_typeET4_jRbjT5_SW_jjP12ihipStream_tbEUlT_E2_NS1_11comp_targetILNS1_3genE3ELNS1_11target_archE908ELNS1_3gpuE7ELNS1_3repE0EEENS1_30default_config_static_selectorELNS0_4arch9wavefront6targetE1EEEvSK_.has_indirect_call, 0
	.section	.AMDGPU.csdata,"",@progbits
; Kernel info:
; codeLenInByte = 0
; TotalNumSgprs: 4
; NumVgprs: 0
; ScratchSize: 0
; MemoryBound: 0
; FloatMode: 240
; IeeeMode: 1
; LDSByteSize: 0 bytes/workgroup (compile time only)
; SGPRBlocks: 0
; VGPRBlocks: 0
; NumSGPRsForWavesPerEU: 4
; NumVGPRsForWavesPerEU: 1
; Occupancy: 10
; WaveLimiterHint : 0
; COMPUTE_PGM_RSRC2:SCRATCH_EN: 0
; COMPUTE_PGM_RSRC2:USER_SGPR: 6
; COMPUTE_PGM_RSRC2:TRAP_HANDLER: 0
; COMPUTE_PGM_RSRC2:TGID_X_EN: 1
; COMPUTE_PGM_RSRC2:TGID_Y_EN: 0
; COMPUTE_PGM_RSRC2:TGID_Z_EN: 0
; COMPUTE_PGM_RSRC2:TIDIG_COMP_CNT: 0
	.section	.text._ZN7rocprim17ROCPRIM_400000_NS6detail17trampoline_kernelINS0_14default_configENS1_36segmented_radix_sort_config_selectorIilEEZNS1_25segmented_radix_sort_implIS3_Lb0EPKiPiPKlPlN2at6native12_GLOBAL__N_18offset_tEEE10hipError_tPvRmT1_PNSt15iterator_traitsISK_E10value_typeET2_T3_PNSL_ISQ_E10value_typeET4_jRbjT5_SW_jjP12ihipStream_tbEUlT_E2_NS1_11comp_targetILNS1_3genE2ELNS1_11target_archE906ELNS1_3gpuE6ELNS1_3repE0EEENS1_30default_config_static_selectorELNS0_4arch9wavefront6targetE1EEEvSK_,"axG",@progbits,_ZN7rocprim17ROCPRIM_400000_NS6detail17trampoline_kernelINS0_14default_configENS1_36segmented_radix_sort_config_selectorIilEEZNS1_25segmented_radix_sort_implIS3_Lb0EPKiPiPKlPlN2at6native12_GLOBAL__N_18offset_tEEE10hipError_tPvRmT1_PNSt15iterator_traitsISK_E10value_typeET2_T3_PNSL_ISQ_E10value_typeET4_jRbjT5_SW_jjP12ihipStream_tbEUlT_E2_NS1_11comp_targetILNS1_3genE2ELNS1_11target_archE906ELNS1_3gpuE6ELNS1_3repE0EEENS1_30default_config_static_selectorELNS0_4arch9wavefront6targetE1EEEvSK_,comdat
	.globl	_ZN7rocprim17ROCPRIM_400000_NS6detail17trampoline_kernelINS0_14default_configENS1_36segmented_radix_sort_config_selectorIilEEZNS1_25segmented_radix_sort_implIS3_Lb0EPKiPiPKlPlN2at6native12_GLOBAL__N_18offset_tEEE10hipError_tPvRmT1_PNSt15iterator_traitsISK_E10value_typeET2_T3_PNSL_ISQ_E10value_typeET4_jRbjT5_SW_jjP12ihipStream_tbEUlT_E2_NS1_11comp_targetILNS1_3genE2ELNS1_11target_archE906ELNS1_3gpuE6ELNS1_3repE0EEENS1_30default_config_static_selectorELNS0_4arch9wavefront6targetE1EEEvSK_ ; -- Begin function _ZN7rocprim17ROCPRIM_400000_NS6detail17trampoline_kernelINS0_14default_configENS1_36segmented_radix_sort_config_selectorIilEEZNS1_25segmented_radix_sort_implIS3_Lb0EPKiPiPKlPlN2at6native12_GLOBAL__N_18offset_tEEE10hipError_tPvRmT1_PNSt15iterator_traitsISK_E10value_typeET2_T3_PNSL_ISQ_E10value_typeET4_jRbjT5_SW_jjP12ihipStream_tbEUlT_E2_NS1_11comp_targetILNS1_3genE2ELNS1_11target_archE906ELNS1_3gpuE6ELNS1_3repE0EEENS1_30default_config_static_selectorELNS0_4arch9wavefront6targetE1EEEvSK_
	.p2align	8
	.type	_ZN7rocprim17ROCPRIM_400000_NS6detail17trampoline_kernelINS0_14default_configENS1_36segmented_radix_sort_config_selectorIilEEZNS1_25segmented_radix_sort_implIS3_Lb0EPKiPiPKlPlN2at6native12_GLOBAL__N_18offset_tEEE10hipError_tPvRmT1_PNSt15iterator_traitsISK_E10value_typeET2_T3_PNSL_ISQ_E10value_typeET4_jRbjT5_SW_jjP12ihipStream_tbEUlT_E2_NS1_11comp_targetILNS1_3genE2ELNS1_11target_archE906ELNS1_3gpuE6ELNS1_3repE0EEENS1_30default_config_static_selectorELNS0_4arch9wavefront6targetE1EEEvSK_,@function
_ZN7rocprim17ROCPRIM_400000_NS6detail17trampoline_kernelINS0_14default_configENS1_36segmented_radix_sort_config_selectorIilEEZNS1_25segmented_radix_sort_implIS3_Lb0EPKiPiPKlPlN2at6native12_GLOBAL__N_18offset_tEEE10hipError_tPvRmT1_PNSt15iterator_traitsISK_E10value_typeET2_T3_PNSL_ISQ_E10value_typeET4_jRbjT5_SW_jjP12ihipStream_tbEUlT_E2_NS1_11comp_targetILNS1_3genE2ELNS1_11target_archE906ELNS1_3gpuE6ELNS1_3repE0EEENS1_30default_config_static_selectorELNS0_4arch9wavefront6targetE1EEEvSK_: ; @_ZN7rocprim17ROCPRIM_400000_NS6detail17trampoline_kernelINS0_14default_configENS1_36segmented_radix_sort_config_selectorIilEEZNS1_25segmented_radix_sort_implIS3_Lb0EPKiPiPKlPlN2at6native12_GLOBAL__N_18offset_tEEE10hipError_tPvRmT1_PNSt15iterator_traitsISK_E10value_typeET2_T3_PNSL_ISQ_E10value_typeET4_jRbjT5_SW_jjP12ihipStream_tbEUlT_E2_NS1_11comp_targetILNS1_3genE2ELNS1_11target_archE906ELNS1_3gpuE6ELNS1_3repE0EEENS1_30default_config_static_selectorELNS0_4arch9wavefront6targetE1EEEvSK_
; %bb.0:
	s_add_u32 s0, s0, s8
	s_load_dwordx4 s[8:11], s[4:5], 0x34
	s_addc_u32 s1, s1, 0
	s_mov_b32 s32, 0
	s_waitcnt lgkmcnt(0)
	s_add_i32 s51, s9, s6
	s_add_i32 s63, s11, s6
	s_mul_i32 s51, s51, s8
	s_mul_i32 s63, s63, s10
	s_cmp_le_u32 s63, s51
	s_cbranch_scc1 .LBB634_678
; %bb.1:
	s_mov_b32 s50, s6
	s_load_dword s6, s[4:5], 0x30
	s_load_dwordx4 s[72:75], s[4:5], 0x20
	s_load_dwordx4 s[76:79], s[4:5], 0x44
	s_load_dwordx8 s[64:71], s[4:5], 0x0
	s_mov_b32 s33, s7
	s_waitcnt lgkmcnt(0)
	s_bitcmp1_b32 s6, 0
	s_cselect_b64 s[54:55], -1, 0
	s_sub_i32 s79, s63, s51
	s_cmpk_lt_u32 s79, 0x801
	s_mov_b64 s[6:7], -1
	s_cbranch_scc0 .LBB634_15
; %bb.2:
	s_cmp_lt_u32 s79, 33
	s_cbranch_scc0 .LBB634_9
; %bb.3:
	s_load_dword s6, s[4:5], 0x5c
	s_waitcnt lgkmcnt(0)
	s_lshr_b32 s7, s6, 16
	s_and_b32 s6, s6, 0xffff
	v_mad_u32_u24 v3, v2, s7, v1
	v_mad_u64_u32 v[3:4], s[6:7], v3, s6, v[0:1]
	v_cmp_gt_u32_e32 vcc, 8, v3
	s_and_saveexec_b64 s[34:35], vcc
	s_cbranch_execz .LBB634_8
; %bb.4:
	s_and_b32 s6, s76, 1
	v_cndmask_b32_e64 v3, 0, 1, s[54:55]
	v_cmp_ne_u32_e32 vcc, s6, v3
	s_mov_b64 s[6:7], -1
	s_cbranch_vccnz .LBB634_6
; %bb.5:
	s_add_u32 s8, s4, 0x50
	s_mov_b64 s[6:7], src_shared_base
	s_addc_u32 s9, s5, 0
	v_lshlrev_b32_e32 v3, 20, v2
	v_lshlrev_b32_e32 v4, 10, v1
	s_getpc_b64 s[10:11]
	s_add_u32 s10, s10, _ZN7rocprim17ROCPRIM_400000_NS6detail26segmented_warp_sort_helperINS1_20WarpSortHelperConfigILj8ELj4ELj256EEEilLi256ELb0EvE4sortIPKiPiPKlPlEEvT_T0_T1_T2_jjjjRNS5_12storage_typeE@rel32@lo+4
	s_addc_u32 s11, s11, _ZN7rocprim17ROCPRIM_400000_NS6detail26segmented_warp_sort_helperINS1_20WarpSortHelperConfigILj8ELj4ELj256EEEilLi256ELb0EvE4sortIPKiPiPKlPlEEvT_T0_T1_T2_jjjjRNS5_12storage_typeE@rel32@hi+12
	v_or3_b32 v31, v0, v4, v3
	s_mov_b32 s12, s50
	s_mov_b32 s13, s33
	v_mov_b32_e32 v40, v0
	v_mov_b32_e32 v0, s64
	v_mov_b32_e32 v41, v1
	v_mov_b32_e32 v1, s65
	v_mov_b32_e32 v42, v2
	v_mov_b32_e32 v2, s68
	v_mov_b32_e32 v3, s69
	v_mov_b32_e32 v4, s70
	v_mov_b32_e32 v5, s71
	v_mov_b32_e32 v6, s74
	v_mov_b32_e32 v7, s75
	v_mov_b32_e32 v8, s51
	v_mov_b32_e32 v9, s63
	v_mov_b32_e32 v10, s77
	v_mov_b32_e32 v11, s78
	v_mov_b32_e32 v12, 0
	v_mov_b32_e32 v13, s7
	s_mov_b64 s[36:37], s[4:5]
	s_swappc_b64 s[30:31], s[10:11]
	v_mov_b32_e32 v1, v41
	v_mov_b32_e32 v2, v42
	;; [unrolled: 1-line block ×3, first 2 shown]
	s_mov_b64 s[4:5], s[36:37]
	s_mov_b64 s[6:7], 0
.LBB634_6:
	s_andn2_b64 vcc, exec, s[6:7]
	s_cbranch_vccnz .LBB634_8
; %bb.7:
	s_add_u32 s8, s4, 0x50
	s_mov_b64 s[6:7], src_shared_base
	s_addc_u32 s9, s5, 0
	v_lshlrev_b32_e32 v3, 20, v2
	v_lshlrev_b32_e32 v4, 10, v1
	s_getpc_b64 s[10:11]
	s_add_u32 s10, s10, _ZN7rocprim17ROCPRIM_400000_NS6detail26segmented_warp_sort_helperINS1_20WarpSortHelperConfigILj8ELj4ELj256EEEilLi256ELb0EvE4sortIPKiPiPKlPlEEvT_T0_T1_T2_jjjjRNS5_12storage_typeE@rel32@lo+4
	s_addc_u32 s11, s11, _ZN7rocprim17ROCPRIM_400000_NS6detail26segmented_warp_sort_helperINS1_20WarpSortHelperConfigILj8ELj4ELj256EEEilLi256ELb0EvE4sortIPKiPiPKlPlEEvT_T0_T1_T2_jjjjRNS5_12storage_typeE@rel32@hi+12
	v_or3_b32 v31, v0, v4, v3
	s_mov_b32 s12, s50
	s_mov_b32 s13, s33
	v_mov_b32_e32 v40, v0
	v_mov_b32_e32 v0, s64
	v_mov_b32_e32 v41, v1
	v_mov_b32_e32 v1, s65
	v_mov_b32_e32 v42, v2
	v_mov_b32_e32 v2, s66
	v_mov_b32_e32 v3, s67
	v_mov_b32_e32 v4, s70
	v_mov_b32_e32 v5, s71
	v_mov_b32_e32 v6, s72
	v_mov_b32_e32 v7, s73
	v_mov_b32_e32 v8, s51
	v_mov_b32_e32 v9, s63
	v_mov_b32_e32 v10, s77
	v_mov_b32_e32 v11, s78
	v_mov_b32_e32 v12, 0
	v_mov_b32_e32 v13, s7
	s_mov_b64 s[36:37], s[4:5]
	s_swappc_b64 s[30:31], s[10:11]
	v_mov_b32_e32 v1, v41
	v_mov_b32_e32 v2, v42
	;; [unrolled: 1-line block ×3, first 2 shown]
	s_mov_b64 s[4:5], s[36:37]
.LBB634_8:
	s_or_b64 exec, exec, s[34:35]
	s_mov_b64 s[6:7], 0
.LBB634_9:
	s_andn2_b64 vcc, exec, s[6:7]
	s_cbranch_vccnz .LBB634_14
; %bb.10:
	s_and_b32 s6, s76, 1
	v_cndmask_b32_e64 v3, 0, 1, s[54:55]
	v_cmp_ne_u32_e32 vcc, s6, v3
	s_mov_b64 s[6:7], -1
	v_lshlrev_b32_e32 v41, 20, v2
	v_lshlrev_b32_e32 v42, 10, v1
	s_cbranch_vccnz .LBB634_12
; %bb.11:
	s_add_u32 s8, s4, 0x50
	s_mov_b64 s[6:7], src_shared_base
	s_addc_u32 s9, s5, 0
	s_getpc_b64 s[10:11]
	s_add_u32 s10, s10, _ZN7rocprim17ROCPRIM_400000_NS6detail40segmented_radix_sort_single_block_helperIilLj256ELj8ELb0EE4sortIPKiPiPKlPlEEbT_T0_T1_T2_jjjjRNS3_12storage_typeE@rel32@lo+4
	s_addc_u32 s11, s11, _ZN7rocprim17ROCPRIM_400000_NS6detail40segmented_radix_sort_single_block_helperIilLj256ELj8ELb0EE4sortIPKiPiPKlPlEEbT_T0_T1_T2_jjjjRNS3_12storage_typeE@rel32@hi+12
	v_or3_b32 v31, v0, v42, v41
	s_mov_b32 s12, s50
	s_mov_b32 s13, s33
	v_mov_b32_e32 v40, v0
	v_mov_b32_e32 v0, s64
	;; [unrolled: 1-line block ×17, first 2 shown]
	s_mov_b64 s[34:35], s[4:5]
	s_swappc_b64 s[30:31], s[10:11]
	v_mov_b32_e32 v1, v43
	v_mov_b32_e32 v2, v44
	;; [unrolled: 1-line block ×3, first 2 shown]
	s_mov_b64 s[4:5], s[34:35]
	s_mov_b64 s[6:7], 0
.LBB634_12:
	s_andn2_b64 vcc, exec, s[6:7]
	s_cbranch_vccnz .LBB634_14
; %bb.13:
	s_add_u32 s8, s4, 0x50
	s_mov_b64 s[6:7], src_shared_base
	s_addc_u32 s9, s5, 0
	s_getpc_b64 s[10:11]
	s_add_u32 s10, s10, _ZN7rocprim17ROCPRIM_400000_NS6detail40segmented_radix_sort_single_block_helperIilLj256ELj8ELb0EE4sortIPKiPiPKlPlEEbT_T0_T1_T2_jjjjRNS3_12storage_typeE@rel32@lo+4
	s_addc_u32 s11, s11, _ZN7rocprim17ROCPRIM_400000_NS6detail40segmented_radix_sort_single_block_helperIilLj256ELj8ELb0EE4sortIPKiPiPKlPlEEbT_T0_T1_T2_jjjjRNS3_12storage_typeE@rel32@hi+12
	v_or3_b32 v31, v0, v42, v41
	s_mov_b32 s12, s50
	s_mov_b32 s13, s33
	v_mov_b32_e32 v40, v0
	v_mov_b32_e32 v0, s64
	;; [unrolled: 1-line block ×17, first 2 shown]
	s_mov_b64 s[34:35], s[4:5]
	s_swappc_b64 s[30:31], s[10:11]
	v_mov_b32_e32 v1, v41
	v_mov_b32_e32 v2, v42
	;; [unrolled: 1-line block ×3, first 2 shown]
	s_mov_b64 s[4:5], s[34:35]
.LBB634_14:
	s_mov_b64 s[6:7], 0
.LBB634_15:
	s_andn2_b64 vcc, exec, s[6:7]
	s_cbranch_vccnz .LBB634_678
; %bb.16:
	s_cmp_ge_u32 s77, s78
	s_cbranch_scc1 .LBB634_678
; %bb.17:
	v_and_b32_e32 v4, 3, v0
	s_movk_i32 s6, 0x100
	v_lshlrev_b32_e32 v42, 2, v4
	v_or_b32_e32 v4, 63, v0
	v_lshlrev_b32_e32 v32, 2, v0
	s_mov_b64 s[12:13], s[4:5]
	v_cmp_gt_u32_e64 s[4:5], s6, v0
	v_cmp_eq_u32_e64 s[6:7], v0, v4
	v_lshrrev_b32_e32 v4, 4, v0
	v_mov_b32_e32 v5, s69
	v_add_co_u32_e32 v36, vcc, s68, v32
	v_mad_u32_u24 v43, v0, 12, v32
	v_and_b32_e32 v44, 12, v4
	v_lshlrev_b32_e32 v4, 3, v0
	v_addc_co_u32_e32 v37, vcc, 0, v5, vcc
	v_and_b32_e32 v4, 0x600, v4
	v_add_u32_e32 v48, v43, v32
	v_lshlrev_b32_e32 v5, 4, v0
	v_sub_u32_e32 v49, v48, v5
	v_lshlrev_b32_e32 v5, 3, v4
	v_mov_b32_e32 v6, s75
	v_add_co_u32_e32 v50, vcc, s74, v5
	v_addc_co_u32_e32 v51, vcc, 0, v6, vcc
	v_lshlrev_b32_e32 v6, 2, v4
	v_mov_b32_e32 v7, s69
	v_add_co_u32_e32 v52, vcc, s68, v6
	v_addc_co_u32_e32 v53, vcc, 0, v7, vcc
	v_mov_b32_e32 v7, s67
	v_add_co_u32_e32 v54, vcc, s66, v32
	v_addc_co_u32_e32 v55, vcc, 0, v7, vcc
	;; [unrolled: 3-line block ×7, first 2 shown]
	v_mbcnt_lo_u32_b32 v5, -1, 0
	v_mbcnt_hi_u32_b32 v72, -1, v5
	v_and_b32_e32 v78, 63, v72
	v_or_b32_e32 v38, 0x400, v0
	v_or_b32_e32 v39, 0x500, v0
	;; [unrolled: 1-line block ×4, first 2 shown]
	s_add_u32 s56, s12, 0x50
	s_movk_i32 s14, 0xff
	v_or_b32_e32 v80, v78, v4
	v_mov_b32_e32 v3, 0
	v_or_b32_e32 v33, 0x100, v0
	v_or_b32_e32 v34, 0x200, v0
	;; [unrolled: 1-line block ×4, first 2 shown]
	v_cmp_gt_u32_e64 s[8:9], 4, v0
	v_or_b32_e32 v46, 0x4400, v32
	v_cmp_lt_u32_e64 s[10:11], 63, v0
	v_add_u32_e32 v47, 0x43fc, v44
	s_addc_u32 s57, s13, 0
	s_mov_b32 s59, 0
	v_cmp_eq_u32_e64 s[12:13], 0, v0
	v_cmp_ne_u32_e64 s[14:15], s14, v0
	v_mov_b32_e32 v66, 1
	v_lshlrev_b32_e32 v67, 2, v0
	v_lshlrev_b32_e32 v68, 2, v38
	;; [unrolled: 1-line block ×5, first 2 shown]
	v_and_b32_e32 v73, 15, v72
	v_bfe_i32 v74, v72, 4, 1
	v_and_b32_e32 v75, 16, v72
	v_and_b32_e32 v76, 3, v72
	;; [unrolled: 1-line block ×3, first 2 shown]
	v_lshlrev_b32_e32 v79, 3, v78
	v_or_b32_e32 v81, 64, v80
	v_or_b32_e32 v82, 0x80, v80
	;; [unrolled: 1-line block ×3, first 2 shown]
	v_bfrev_b32_e32 v11, -2
	s_mov_b32 s62, s77
	s_branch .LBB634_20
.LBB634_18:                             ;   in Loop: Header=BB634_20 Depth=1
	s_waitcnt lgkmcnt(0)
	s_barrier
.LBB634_19:                             ;   in Loop: Header=BB634_20 Depth=1
	s_add_i32 s62, s62, 8
	s_cmp_ge_u32 s62, s78
	s_cbranch_scc1 .LBB634_678
.LBB634_20:                             ; =>This Loop Header: Depth=1
                                        ;     Child Loop BB634_24 Depth 2
                                        ;     Child Loop BB634_72 Depth 2
	;; [unrolled: 1-line block ×8, first 2 shown]
	s_sub_i32 s16, s78, s62
	s_min_u32 s16, s16, 8
	s_lshl_b32 s16, -1, s16
	s_xor_b64 s[54:55], s[54:55], -1
	s_not_b32 s70, s16
	s_cmp_lg_u32 s62, s77
	s_mov_b64 s[16:17], -1
	ds_write2st64_b32 v32, v3, v3 offset1:4
	ds_write2st64_b32 v32, v3, v3 offset0:8 offset1:12
	s_waitcnt lgkmcnt(0)
	s_cbranch_scc0 .LBB634_350
; %bb.21:                               ;   in Loop: Header=BB634_20 Depth=1
	s_and_b64 vcc, exec, s[54:55]
	s_cbranch_vccz .LBB634_185
; %bb.22:                               ;   in Loop: Header=BB634_20 Depth=1
	v_mov_b32_e32 v10, v3
	v_mov_b32_e32 v4, v3
	;; [unrolled: 1-line block ×8, first 2 shown]
	s_mov_b32 s20, s79
	s_mov_b32 s58, s51
	v_mov_b32_e32 v18, v9
	v_mov_b32_e32 v17, v8
	;; [unrolled: 1-line block ×7, first 2 shown]
	s_barrier
	s_branch .LBB634_24
.LBB634_23:                             ;   in Loop: Header=BB634_24 Depth=2
	s_or_b64 exec, exec, s[16:17]
	s_addk_i32 s20, 0xf800
	s_cmp_ge_u32 s21, s63
	s_mov_b32 s58, s21
	s_cbranch_scc1 .LBB634_60
.LBB634_24:                             ;   Parent Loop BB634_20 Depth=1
                                        ; =>  This Inner Loop Header: Depth=2
	s_add_i32 s21, s58, 0x800
	s_cmp_gt_u32 s21, s63
	s_mov_b64 s[16:17], -1
                                        ; implicit-def: $vgpr20_vgpr21_vgpr22_vgpr23_vgpr24_vgpr25_vgpr26_vgpr27
	s_cbranch_scc1 .LBB634_26
; %bb.25:                               ;   in Loop: Header=BB634_24 Depth=2
	s_lshl_b64 s[16:17], s[58:59], 2
	v_mov_b32_e32 v5, s17
	v_add_co_u32_e32 v4, vcc, s16, v36
	v_addc_co_u32_e32 v5, vcc, v37, v5, vcc
	v_add_co_u32_e32 v6, vcc, 0x1000, v4
	v_addc_co_u32_e32 v7, vcc, 0, v5, vcc
	global_load_dword v20, v[4:5], off
	global_load_dword v21, v[4:5], off offset:1024
	global_load_dword v22, v[4:5], off offset:2048
	;; [unrolled: 1-line block ×3, first 2 shown]
	global_load_dword v24, v[6:7], off
	global_load_dword v25, v[6:7], off offset:1024
	global_load_dword v26, v[6:7], off offset:2048
	global_load_dword v27, v[6:7], off offset:3072
	s_mov_b64 s[16:17], 0
.LBB634_26:                             ;   in Loop: Header=BB634_24 Depth=2
	s_andn2_b64 vcc, exec, s[16:17]
	s_movk_i32 s18, 0x800
	s_cbranch_vccnz .LBB634_37
; %bb.27:                               ;   in Loop: Header=BB634_24 Depth=2
	s_lshl_b64 s[16:17], s[58:59], 2
	s_add_u32 s16, s68, s16
	s_addc_u32 s17, s69, s17
	v_cmp_gt_u32_e32 vcc, s20, v0
	s_and_saveexec_b64 s[18:19], vcc
	s_cbranch_execnz .LBB634_53
; %bb.28:                               ;   in Loop: Header=BB634_24 Depth=2
	s_or_b64 exec, exec, s[18:19]
	v_cmp_gt_u32_e32 vcc, s20, v33
	s_and_saveexec_b64 s[18:19], vcc
	s_cbranch_execnz .LBB634_54
.LBB634_29:                             ;   in Loop: Header=BB634_24 Depth=2
	s_or_b64 exec, exec, s[18:19]
	v_cmp_gt_u32_e32 vcc, s20, v34
	s_and_saveexec_b64 s[18:19], vcc
	s_cbranch_execnz .LBB634_55
.LBB634_30:                             ;   in Loop: Header=BB634_24 Depth=2
	s_or_b64 exec, exec, s[18:19]
	v_cmp_gt_u32_e32 vcc, s20, v35
	s_and_saveexec_b64 s[18:19], vcc
	s_cbranch_execnz .LBB634_56
.LBB634_31:                             ;   in Loop: Header=BB634_24 Depth=2
	s_or_b64 exec, exec, s[18:19]
	v_cmp_gt_u32_e32 vcc, s20, v38
	s_and_saveexec_b64 s[18:19], vcc
	s_cbranch_execnz .LBB634_57
.LBB634_32:                             ;   in Loop: Header=BB634_24 Depth=2
	s_or_b64 exec, exec, s[18:19]
	v_cmp_gt_u32_e32 vcc, s20, v39
	s_and_saveexec_b64 s[18:19], vcc
	s_cbranch_execnz .LBB634_58
.LBB634_33:                             ;   in Loop: Header=BB634_24 Depth=2
	s_or_b64 exec, exec, s[18:19]
	v_cmp_gt_u32_e32 vcc, s20, v40
	s_and_saveexec_b64 s[18:19], vcc
	s_cbranch_execnz .LBB634_59
.LBB634_34:                             ;   in Loop: Header=BB634_24 Depth=2
	s_or_b64 exec, exec, s[18:19]
	v_cmp_gt_u32_e32 vcc, s20, v41
	s_and_saveexec_b64 s[18:19], vcc
	s_cbranch_execz .LBB634_36
.LBB634_35:                             ;   in Loop: Header=BB634_24 Depth=2
	global_load_dword v19, v71, s[16:17]
.LBB634_36:                             ;   in Loop: Header=BB634_24 Depth=2
	s_or_b64 exec, exec, s[18:19]
	s_waitcnt vmcnt(0)
	v_mov_b32_e32 v27, v19
	s_mov_b32 s18, s20
	v_mov_b32_e32 v26, v18
	v_mov_b32_e32 v25, v17
	v_mov_b32_e32 v24, v16
	v_mov_b32_e32 v23, v15
	v_mov_b32_e32 v22, v14
	v_mov_b32_e32 v21, v13
	v_mov_b32_e32 v20, v12
.LBB634_37:                             ;   in Loop: Header=BB634_24 Depth=2
	s_waitcnt vmcnt(0)
	v_mov_b32_e32 v12, v20
	v_mov_b32_e32 v13, v21
	v_mov_b32_e32 v14, v22
	v_mov_b32_e32 v15, v23
	v_mov_b32_e32 v16, v24
	v_mov_b32_e32 v17, v25
	v_mov_b32_e32 v18, v26
	v_mov_b32_e32 v19, v27
	v_cmp_gt_u32_e32 vcc, s18, v0
	s_and_saveexec_b64 s[16:17], vcc
	s_cbranch_execnz .LBB634_45
; %bb.38:                               ;   in Loop: Header=BB634_24 Depth=2
	s_or_b64 exec, exec, s[16:17]
	v_cmp_gt_u32_e32 vcc, s18, v33
	s_and_saveexec_b64 s[16:17], vcc
	s_cbranch_execnz .LBB634_46
.LBB634_39:                             ;   in Loop: Header=BB634_24 Depth=2
	s_or_b64 exec, exec, s[16:17]
	v_cmp_gt_u32_e32 vcc, s18, v34
	s_and_saveexec_b64 s[16:17], vcc
	s_cbranch_execnz .LBB634_47
.LBB634_40:                             ;   in Loop: Header=BB634_24 Depth=2
	s_or_b64 exec, exec, s[16:17]
	v_cmp_gt_u32_e32 vcc, s18, v35
	s_and_saveexec_b64 s[16:17], vcc
	s_cbranch_execnz .LBB634_48
.LBB634_41:                             ;   in Loop: Header=BB634_24 Depth=2
	s_or_b64 exec, exec, s[16:17]
	v_cmp_gt_u32_e32 vcc, s18, v38
	s_and_saveexec_b64 s[16:17], vcc
	s_cbranch_execnz .LBB634_49
.LBB634_42:                             ;   in Loop: Header=BB634_24 Depth=2
	s_or_b64 exec, exec, s[16:17]
	v_cmp_gt_u32_e32 vcc, s18, v39
	s_and_saveexec_b64 s[16:17], vcc
	s_cbranch_execnz .LBB634_50
.LBB634_43:                             ;   in Loop: Header=BB634_24 Depth=2
	s_or_b64 exec, exec, s[16:17]
	v_cmp_gt_u32_e32 vcc, s18, v40
	s_and_saveexec_b64 s[16:17], vcc
	s_cbranch_execnz .LBB634_51
.LBB634_44:                             ;   in Loop: Header=BB634_24 Depth=2
	s_or_b64 exec, exec, s[16:17]
	v_cmp_gt_u32_e32 vcc, s18, v41
	s_and_saveexec_b64 s[16:17], vcc
	s_cbranch_execz .LBB634_23
	s_branch .LBB634_52
.LBB634_45:                             ;   in Loop: Header=BB634_24 Depth=2
	v_xor_b32_e32 v4, 0x80000000, v12
	v_lshrrev_b32_e32 v4, s62, v4
	v_and_b32_e32 v4, s70, v4
	v_lshl_or_b32 v4, v4, 4, v42
	ds_add_u32 v4, v66
	s_or_b64 exec, exec, s[16:17]
	v_cmp_gt_u32_e32 vcc, s18, v33
	s_and_saveexec_b64 s[16:17], vcc
	s_cbranch_execz .LBB634_39
.LBB634_46:                             ;   in Loop: Header=BB634_24 Depth=2
	v_xor_b32_e32 v4, 0x80000000, v13
	v_lshrrev_b32_e32 v4, s62, v4
	v_and_b32_e32 v4, s70, v4
	v_lshl_or_b32 v4, v4, 4, v42
	ds_add_u32 v4, v66
	s_or_b64 exec, exec, s[16:17]
	v_cmp_gt_u32_e32 vcc, s18, v34
	s_and_saveexec_b64 s[16:17], vcc
	s_cbranch_execz .LBB634_40
.LBB634_47:                             ;   in Loop: Header=BB634_24 Depth=2
	v_xor_b32_e32 v4, 0x80000000, v14
	v_lshrrev_b32_e32 v4, s62, v4
	v_and_b32_e32 v4, s70, v4
	v_lshl_or_b32 v4, v4, 4, v42
	ds_add_u32 v4, v66
	s_or_b64 exec, exec, s[16:17]
	v_cmp_gt_u32_e32 vcc, s18, v35
	s_and_saveexec_b64 s[16:17], vcc
	s_cbranch_execz .LBB634_41
.LBB634_48:                             ;   in Loop: Header=BB634_24 Depth=2
	v_xor_b32_e32 v4, 0x80000000, v15
	v_lshrrev_b32_e32 v4, s62, v4
	v_and_b32_e32 v4, s70, v4
	v_lshl_or_b32 v4, v4, 4, v42
	ds_add_u32 v4, v66
	s_or_b64 exec, exec, s[16:17]
	v_cmp_gt_u32_e32 vcc, s18, v38
	s_and_saveexec_b64 s[16:17], vcc
	s_cbranch_execz .LBB634_42
.LBB634_49:                             ;   in Loop: Header=BB634_24 Depth=2
	v_xor_b32_e32 v4, 0x80000000, v16
	v_lshrrev_b32_e32 v4, s62, v4
	v_and_b32_e32 v4, s70, v4
	v_lshl_or_b32 v4, v4, 4, v42
	ds_add_u32 v4, v66
	s_or_b64 exec, exec, s[16:17]
	v_cmp_gt_u32_e32 vcc, s18, v39
	s_and_saveexec_b64 s[16:17], vcc
	s_cbranch_execz .LBB634_43
.LBB634_50:                             ;   in Loop: Header=BB634_24 Depth=2
	v_xor_b32_e32 v4, 0x80000000, v17
	v_lshrrev_b32_e32 v4, s62, v4
	v_and_b32_e32 v4, s70, v4
	v_lshl_or_b32 v4, v4, 4, v42
	ds_add_u32 v4, v66
	s_or_b64 exec, exec, s[16:17]
	v_cmp_gt_u32_e32 vcc, s18, v40
	s_and_saveexec_b64 s[16:17], vcc
	s_cbranch_execz .LBB634_44
.LBB634_51:                             ;   in Loop: Header=BB634_24 Depth=2
	v_xor_b32_e32 v4, 0x80000000, v18
	v_lshrrev_b32_e32 v4, s62, v4
	v_and_b32_e32 v4, s70, v4
	v_lshl_or_b32 v4, v4, 4, v42
	ds_add_u32 v4, v66
	s_or_b64 exec, exec, s[16:17]
	v_cmp_gt_u32_e32 vcc, s18, v41
	s_and_saveexec_b64 s[16:17], vcc
	s_cbranch_execz .LBB634_23
.LBB634_52:                             ;   in Loop: Header=BB634_24 Depth=2
	v_xor_b32_e32 v4, 0x80000000, v19
	v_lshrrev_b32_e32 v4, s62, v4
	v_and_b32_e32 v4, s70, v4
	v_lshl_or_b32 v4, v4, 4, v42
	ds_add_u32 v4, v66
	s_branch .LBB634_23
.LBB634_53:                             ;   in Loop: Header=BB634_24 Depth=2
	global_load_dword v12, v67, s[16:17]
	s_or_b64 exec, exec, s[18:19]
	v_cmp_gt_u32_e32 vcc, s20, v33
	s_and_saveexec_b64 s[18:19], vcc
	s_cbranch_execz .LBB634_29
.LBB634_54:                             ;   in Loop: Header=BB634_24 Depth=2
	global_load_dword v13, v67, s[16:17] offset:1024
	s_or_b64 exec, exec, s[18:19]
	v_cmp_gt_u32_e32 vcc, s20, v34
	s_and_saveexec_b64 s[18:19], vcc
	s_cbranch_execz .LBB634_30
.LBB634_55:                             ;   in Loop: Header=BB634_24 Depth=2
	global_load_dword v14, v67, s[16:17] offset:2048
	s_or_b64 exec, exec, s[18:19]
	v_cmp_gt_u32_e32 vcc, s20, v35
	s_and_saveexec_b64 s[18:19], vcc
	s_cbranch_execz .LBB634_31
.LBB634_56:                             ;   in Loop: Header=BB634_24 Depth=2
	global_load_dword v15, v67, s[16:17] offset:3072
	s_or_b64 exec, exec, s[18:19]
	v_cmp_gt_u32_e32 vcc, s20, v38
	s_and_saveexec_b64 s[18:19], vcc
	s_cbranch_execz .LBB634_32
.LBB634_57:                             ;   in Loop: Header=BB634_24 Depth=2
	global_load_dword v16, v68, s[16:17]
	s_or_b64 exec, exec, s[18:19]
	v_cmp_gt_u32_e32 vcc, s20, v39
	s_and_saveexec_b64 s[18:19], vcc
	s_cbranch_execz .LBB634_33
.LBB634_58:                             ;   in Loop: Header=BB634_24 Depth=2
	global_load_dword v17, v69, s[16:17]
	s_or_b64 exec, exec, s[18:19]
	v_cmp_gt_u32_e32 vcc, s20, v40
	s_and_saveexec_b64 s[18:19], vcc
	s_cbranch_execz .LBB634_34
.LBB634_59:                             ;   in Loop: Header=BB634_24 Depth=2
	global_load_dword v18, v70, s[16:17]
	s_or_b64 exec, exec, s[18:19]
	v_cmp_gt_u32_e32 vcc, s20, v41
	s_and_saveexec_b64 s[18:19], vcc
	s_cbranch_execnz .LBB634_35
	s_branch .LBB634_36
.LBB634_60:                             ;   in Loop: Header=BB634_20 Depth=1
	v_mov_b32_e32 v4, 0
	s_waitcnt lgkmcnt(0)
	s_barrier
	s_and_saveexec_b64 s[16:17], s[4:5]
	s_cbranch_execz .LBB634_62
; %bb.61:                               ;   in Loop: Header=BB634_20 Depth=1
	ds_read2_b64 v[4:7], v43 offset1:1
	s_waitcnt lgkmcnt(0)
	v_add_u32_e32 v4, v5, v4
	v_add3_u32 v4, v4, v6, v7
.LBB634_62:                             ;   in Loop: Header=BB634_20 Depth=1
	s_or_b64 exec, exec, s[16:17]
	s_nop 0
	v_mov_b32_dpp v5, v4 row_shr:1 row_mask:0xf bank_mask:0xf
	v_cmp_eq_u32_e64 s[16:17], 0, v73
	v_cndmask_b32_e64 v5, v5, 0, s[16:17]
	v_add_u32_e32 v4, v5, v4
	v_cmp_lt_u32_e64 s[18:19], 1, v73
	v_cmp_lt_u32_e64 s[20:21], 3, v73
	v_mov_b32_dpp v5, v4 row_shr:2 row_mask:0xf bank_mask:0xf
	v_cndmask_b32_e64 v5, 0, v5, s[18:19]
	v_add_u32_e32 v4, v4, v5
	v_cmp_lt_u32_e64 s[22:23], 7, v73
	v_cmp_lt_u32_e64 s[26:27], 31, v72
	v_mov_b32_dpp v5, v4 row_shr:4 row_mask:0xf bank_mask:0xf
	v_cndmask_b32_e64 v5, 0, v5, s[20:21]
	v_add_u32_e32 v4, v4, v5
	v_cmp_eq_u32_e64 s[24:25], 0, v75
	s_nop 0
	v_mov_b32_dpp v5, v4 row_shr:8 row_mask:0xf bank_mask:0xf
	v_cndmask_b32_e64 v5, 0, v5, s[22:23]
	v_add_u32_e32 v4, v4, v5
	s_nop 1
	v_mov_b32_dpp v5, v4 row_bcast:15 row_mask:0xf bank_mask:0xf
	v_and_b32_e32 v5, v74, v5
	v_add_u32_e32 v4, v4, v5
	s_nop 1
	v_mov_b32_dpp v5, v4 row_bcast:31 row_mask:0xf bank_mask:0xf
	v_cndmask_b32_e64 v5, 0, v5, s[26:27]
	v_add_u32_e32 v4, v4, v5
	s_and_saveexec_b64 s[28:29], s[6:7]
; %bb.63:                               ;   in Loop: Header=BB634_20 Depth=1
	ds_write_b32 v45, v4
; %bb.64:                               ;   in Loop: Header=BB634_20 Depth=1
	s_or_b64 exec, exec, s[28:29]
	s_waitcnt lgkmcnt(0)
	s_barrier
	s_and_saveexec_b64 s[28:29], s[8:9]
	s_cbranch_execz .LBB634_66
; %bb.65:                               ;   in Loop: Header=BB634_20 Depth=1
	ds_read_b32 v5, v46
	v_cmp_ne_u32_e32 vcc, 0, v76
	s_waitcnt lgkmcnt(0)
	v_mov_b32_dpp v6, v5 row_shr:1 row_mask:0xf bank_mask:0xf
	v_cndmask_b32_e32 v6, 0, v6, vcc
	v_add_u32_e32 v5, v6, v5
	v_cmp_lt_u32_e32 vcc, 1, v76
	s_nop 0
	v_mov_b32_dpp v6, v5 row_shr:2 row_mask:0xf bank_mask:0xf
	v_cndmask_b32_e32 v6, 0, v6, vcc
	v_add_u32_e32 v5, v5, v6
	ds_write_b32 v46, v5
.LBB634_66:                             ;   in Loop: Header=BB634_20 Depth=1
	s_or_b64 exec, exec, s[28:29]
	v_mov_b32_e32 v5, 0
	s_waitcnt lgkmcnt(0)
	s_barrier
	s_and_saveexec_b64 s[28:29], s[10:11]
; %bb.67:                               ;   in Loop: Header=BB634_20 Depth=1
	ds_read_b32 v5, v47
; %bb.68:                               ;   in Loop: Header=BB634_20 Depth=1
	s_or_b64 exec, exec, s[28:29]
	v_subrev_co_u32_e64 v6, s[28:29], 1, v72
	v_cmp_lt_i32_e32 vcc, v6, v77
	v_cndmask_b32_e32 v6, v6, v72, vcc
	s_waitcnt lgkmcnt(0)
	v_add_u32_e32 v4, v5, v4
	v_lshlrev_b32_e32 v84, 2, v6
	ds_bpermute_b32 v4, v84, v4
	s_waitcnt lgkmcnt(0)
	s_barrier
	s_and_saveexec_b64 s[30:31], s[4:5]
; %bb.69:                               ;   in Loop: Header=BB634_20 Depth=1
	v_cndmask_b32_e64 v4, v4, v5, s[28:29]
	v_add_u32_e32 v4, s51, v4
	ds_write_b32 v32, v4
; %bb.70:                               ;   in Loop: Header=BB634_20 Depth=1
	s_or_b64 exec, exec, s[30:31]
	s_load_dword s30, s[56:57], 0x4
	s_load_dword s36, s[56:57], 0xc
	v_add_co_u32_e32 v85, vcc, v50, v79
	v_addc_co_u32_e32 v86, vcc, 0, v51, vcc
	s_waitcnt lgkmcnt(0)
	s_cmp_lt_u32 s33, s30
	s_cselect_b32 s30, 14, 20
	s_add_u32 s30, s56, s30
	s_addc_u32 s31, s57, 0
	global_load_ushort v4, v3, s[30:31]
	s_and_b32 s36, s36, 0xffff
	v_lshlrev_b32_e32 v14, 2, v78
	v_add_co_u32_e32 v99, vcc, v52, v14
	v_cmp_eq_u32_e64 s[30:31], 0, v76
	v_cmp_lt_u32_e64 s[34:35], 1, v76
	v_or_b32_e32 v87, 0x100, v80
	v_or_b32_e32 v88, 0x140, v80
	;; [unrolled: 1-line block ×4, first 2 shown]
	s_mov_b32 s71, s79
	v_addc_co_u32_e32 v100, vcc, 0, v53, vcc
	s_mov_b32 s58, s51
                                        ; implicit-def: $vgpr5_vgpr6
                                        ; implicit-def: $vgpr7_vgpr8
                                        ; implicit-def: $vgpr9_vgpr10
                                        ; implicit-def: $vgpr20_vgpr21
                                        ; implicit-def: $vgpr22_vgpr23
                                        ; implicit-def: $vgpr24_vgpr25
                                        ; implicit-def: $vgpr26_vgpr27
                                        ; implicit-def: $vgpr28_vgpr29
                                        ; implicit-def: $vgpr91
                                        ; implicit-def: $vgpr92
                                        ; implicit-def: $vgpr93
                                        ; implicit-def: $vgpr94
                                        ; implicit-def: $vgpr95
                                        ; implicit-def: $vgpr96
                                        ; implicit-def: $vgpr97
                                        ; implicit-def: $vgpr98
	s_waitcnt vmcnt(0)
	v_mad_u32_u24 v4, v2, v4, v1
	v_mad_u64_u32 v[12:13], s[36:37], v4, s36, v[0:1]
	v_lshrrev_b32_e32 v4, 4, v12
	v_and_b32_e32 v101, 0xffffffc, v4
	s_branch .LBB634_72
.LBB634_71:                             ;   in Loop: Header=BB634_72 Depth=2
	s_or_b64 exec, exec, s[36:37]
	s_addk_i32 s71, 0xf800
	s_cmp_lt_u32 s76, s63
	s_mov_b32 s58, s76
	s_cbranch_scc0 .LBB634_184
.LBB634_72:                             ;   Parent Loop BB634_20 Depth=1
                                        ; =>  This Inner Loop Header: Depth=2
	s_add_i32 s76, s58, 0x800
	s_cmp_gt_u32 s76, s63
	s_cbranch_scc1 .LBB634_74
; %bb.73:                               ;   in Loop: Header=BB634_72 Depth=2
	s_lshl_b64 s[36:37], s[58:59], 2
	v_mov_b32_e32 v4, s37
	v_add_co_u32_e32 v18, vcc, s36, v99
	v_addc_co_u32_e32 v19, vcc, v100, v4, vcc
	global_load_dword v12, v[18:19], off
	global_load_dword v13, v[18:19], off offset:256
	global_load_dword v14, v[18:19], off offset:512
	;; [unrolled: 1-line block ×5, first 2 shown]
	s_nop 0
	global_load_dword v18, v[18:19], off offset:1536
	s_mov_b64 s[36:37], -1
	s_movk_i32 s40, 0x800
	s_cbranch_execz .LBB634_75
	s_branch .LBB634_84
.LBB634_74:                             ;   in Loop: Header=BB634_72 Depth=2
	s_mov_b64 s[36:37], 0
                                        ; implicit-def: $vgpr12_vgpr13_vgpr14_vgpr15_vgpr16_vgpr17_vgpr18_vgpr19
	s_movk_i32 s40, 0x800
.LBB634_75:                             ;   in Loop: Header=BB634_72 Depth=2
	s_lshl_b64 s[36:37], s[58:59], 2
	v_mov_b32_e32 v4, s37
	v_add_co_u32_e32 v30, vcc, s36, v99
	s_waitcnt vmcnt(6)
	v_mov_b32_e32 v12, v11
	s_waitcnt vmcnt(5)
	v_mov_b32_e32 v13, v11
	;; [unrolled: 2-line block ×7, first 2 shown]
	v_addc_co_u32_e32 v31, vcc, v100, v4, vcc
	v_mov_b32_e32 v19, v18
	v_cmp_gt_u32_e32 vcc, s71, v80
	v_mov_b32_e32 v18, v17
	v_mov_b32_e32 v17, v16
	;; [unrolled: 1-line block ×7, first 2 shown]
	s_and_saveexec_b64 s[36:37], vcc
	s_cbranch_execnz .LBB634_178
; %bb.76:                               ;   in Loop: Header=BB634_72 Depth=2
	s_or_b64 exec, exec, s[36:37]
	v_cmp_gt_u32_e32 vcc, s71, v81
	s_and_saveexec_b64 s[36:37], vcc
	s_cbranch_execnz .LBB634_179
.LBB634_77:                             ;   in Loop: Header=BB634_72 Depth=2
	s_or_b64 exec, exec, s[36:37]
	v_cmp_gt_u32_e32 vcc, s71, v82
	s_and_saveexec_b64 s[36:37], vcc
	s_cbranch_execnz .LBB634_180
.LBB634_78:                             ;   in Loop: Header=BB634_72 Depth=2
	s_or_b64 exec, exec, s[36:37]
	v_cmp_gt_u32_e32 vcc, s71, v83
	s_and_saveexec_b64 s[36:37], vcc
	s_cbranch_execnz .LBB634_181
.LBB634_79:                             ;   in Loop: Header=BB634_72 Depth=2
	s_or_b64 exec, exec, s[36:37]
	v_cmp_gt_u32_e32 vcc, s71, v87
	s_and_saveexec_b64 s[36:37], vcc
	s_cbranch_execnz .LBB634_182
.LBB634_80:                             ;   in Loop: Header=BB634_72 Depth=2
	s_or_b64 exec, exec, s[36:37]
	v_cmp_gt_u32_e32 vcc, s71, v88
	s_and_saveexec_b64 s[36:37], vcc
	s_cbranch_execnz .LBB634_183
.LBB634_81:                             ;   in Loop: Header=BB634_72 Depth=2
	s_or_b64 exec, exec, s[36:37]
	v_cmp_gt_u32_e32 vcc, s71, v89
	s_and_saveexec_b64 s[36:37], vcc
	s_cbranch_execz .LBB634_83
.LBB634_82:                             ;   in Loop: Header=BB634_72 Depth=2
	global_load_dword v18, v[30:31], off offset:1536
.LBB634_83:                             ;   in Loop: Header=BB634_72 Depth=2
	s_or_b64 exec, exec, s[36:37]
	s_sub_i32 s40, s63, s58
	v_cmp_gt_u32_e64 s[36:37], s71, v90
.LBB634_84:                             ;   in Loop: Header=BB634_72 Depth=2
	v_mov_b32_e32 v102, s71
	s_and_saveexec_b64 s[38:39], s[36:37]
	s_cbranch_execz .LBB634_86
; %bb.85:                               ;   in Loop: Header=BB634_72 Depth=2
	s_lshl_b64 s[36:37], s[58:59], 2
	v_mov_b32_e32 v4, s37
	v_add_co_u32_e32 v30, vcc, s36, v99
	v_addc_co_u32_e32 v31, vcc, v100, v4, vcc
	global_load_dword v19, v[30:31], off offset:1792
	v_mov_b32_e32 v102, s40
.LBB634_86:                             ;   in Loop: Header=BB634_72 Depth=2
	s_or_b64 exec, exec, s[38:39]
	s_waitcnt vmcnt(0)
	v_xor_b32_e32 v103, 0x80000000, v12
	v_lshrrev_b32_e32 v4, s62, v103
	v_and_b32_e32 v12, s70, v4
	v_and_b32_e32 v4, 1, v12
	v_add_co_u32_e32 v30, vcc, -1, v4
	v_addc_co_u32_e64 v31, s[36:37], 0, -1, vcc
	v_cmp_ne_u32_e32 vcc, 0, v4
	v_xor_b32_e32 v4, vcc_hi, v31
	v_and_b32_e32 v31, exec_hi, v4
	v_lshlrev_b32_e32 v4, 30, v12
	v_xor_b32_e32 v30, vcc_lo, v30
	v_cmp_gt_i64_e32 vcc, 0, v[3:4]
	v_not_b32_e32 v4, v4
	v_ashrrev_i32_e32 v4, 31, v4
	v_and_b32_e32 v30, exec_lo, v30
	v_xor_b32_e32 v106, vcc_hi, v4
	v_xor_b32_e32 v4, vcc_lo, v4
	v_and_b32_e32 v30, v30, v4
	v_lshlrev_b32_e32 v4, 29, v12
	v_cmp_gt_i64_e32 vcc, 0, v[3:4]
	v_not_b32_e32 v4, v4
	v_ashrrev_i32_e32 v4, 31, v4
	v_and_b32_e32 v31, v31, v106
	v_xor_b32_e32 v106, vcc_hi, v4
	v_xor_b32_e32 v4, vcc_lo, v4
	v_and_b32_e32 v30, v30, v4
	v_lshlrev_b32_e32 v4, 28, v12
	v_cmp_gt_i64_e32 vcc, 0, v[3:4]
	v_not_b32_e32 v4, v4
	v_ashrrev_i32_e32 v4, 31, v4
	v_and_b32_e32 v31, v31, v106
	;; [unrolled: 8-line block ×5, first 2 shown]
	v_xor_b32_e32 v106, vcc_hi, v4
	v_xor_b32_e32 v4, vcc_lo, v4
	v_and_b32_e32 v30, v30, v4
	v_lshlrev_b32_e32 v4, 24, v12
	v_cmp_gt_i64_e32 vcc, 0, v[3:4]
	v_not_b32_e32 v4, v4
	v_ashrrev_i32_e32 v4, 31, v4
	v_mul_u32_u24_e32 v107, 20, v12
	v_xor_b32_e32 v12, vcc_hi, v4
	v_xor_b32_e32 v4, vcc_lo, v4
	v_and_b32_e32 v31, v31, v106
	v_and_b32_e32 v30, v30, v4
	;; [unrolled: 1-line block ×3, first 2 shown]
	v_mbcnt_lo_u32_b32 v4, v30, 0
	v_mbcnt_hi_u32_b32 v106, v31, v4
	v_cmp_ne_u64_e32 vcc, 0, v[30:31]
	v_cmp_eq_u32_e64 s[36:37], 0, v106
	v_add_u32_e32 v105, 0x410, v48
	v_add_u32_e32 v104, 0x418, v48
	s_and_b64 s[38:39], vcc, s[36:37]
	v_add_u32_e32 v107, v101, v107
	ds_write2_b32 v105, v3, v3 offset1:1
	ds_write2_b32 v104, v3, v3 offset1:1
	ds_write_b32 v48, v3 offset:1056
	s_waitcnt lgkmcnt(0)
	s_barrier
	; wave barrier
	s_and_saveexec_b64 s[36:37], s[38:39]
; %bb.87:                               ;   in Loop: Header=BB634_72 Depth=2
	v_bcnt_u32_b32 v4, v30, 0
	v_bcnt_u32_b32 v4, v31, v4
	ds_write_b32 v107, v4 offset:1040
; %bb.88:                               ;   in Loop: Header=BB634_72 Depth=2
	s_or_b64 exec, exec, s[36:37]
	v_xor_b32_e32 v30, 0x80000000, v13
	v_lshrrev_b32_e32 v4, s62, v30
	v_and_b32_e32 v12, s70, v4
	v_mad_u32_u24 v4, v12, 20, v101
	; wave barrier
	ds_read_b32 v31, v4 offset:1040
	v_and_b32_e32 v4, 1, v12
	v_add_co_u32_e32 v13, vcc, -1, v4
	v_addc_co_u32_e64 v108, s[36:37], 0, -1, vcc
	v_cmp_ne_u32_e32 vcc, 0, v4
	v_xor_b32_e32 v4, vcc_hi, v108
	v_and_b32_e32 v108, exec_hi, v4
	v_lshlrev_b32_e32 v4, 30, v12
	v_xor_b32_e32 v13, vcc_lo, v13
	v_cmp_gt_i64_e32 vcc, 0, v[3:4]
	v_not_b32_e32 v4, v4
	v_ashrrev_i32_e32 v4, 31, v4
	v_and_b32_e32 v13, exec_lo, v13
	v_xor_b32_e32 v110, vcc_hi, v4
	v_xor_b32_e32 v4, vcc_lo, v4
	v_and_b32_e32 v13, v13, v4
	v_lshlrev_b32_e32 v4, 29, v12
	v_cmp_gt_i64_e32 vcc, 0, v[3:4]
	v_not_b32_e32 v4, v4
	v_ashrrev_i32_e32 v4, 31, v4
	v_and_b32_e32 v108, v108, v110
	v_xor_b32_e32 v110, vcc_hi, v4
	v_xor_b32_e32 v4, vcc_lo, v4
	v_and_b32_e32 v13, v13, v4
	v_lshlrev_b32_e32 v4, 28, v12
	v_cmp_gt_i64_e32 vcc, 0, v[3:4]
	v_not_b32_e32 v4, v4
	v_ashrrev_i32_e32 v4, 31, v4
	v_and_b32_e32 v108, v108, v110
	;; [unrolled: 8-line block ×5, first 2 shown]
	v_xor_b32_e32 v110, vcc_hi, v4
	v_xor_b32_e32 v4, vcc_lo, v4
	v_and_b32_e32 v108, v108, v110
	v_and_b32_e32 v110, v13, v4
	v_lshlrev_b32_e32 v4, 24, v12
	v_cmp_gt_i64_e32 vcc, 0, v[3:4]
	v_not_b32_e32 v4, v4
	v_ashrrev_i32_e32 v4, 31, v4
	v_mul_u32_u24_e32 v109, 20, v12
	v_xor_b32_e32 v12, vcc_hi, v4
	v_xor_b32_e32 v4, vcc_lo, v4
	v_and_b32_e32 v13, v108, v12
	v_and_b32_e32 v12, v110, v4
	v_mbcnt_lo_u32_b32 v4, v12, 0
	v_mbcnt_hi_u32_b32 v108, v13, v4
	v_cmp_ne_u64_e32 vcc, 0, v[12:13]
	v_cmp_eq_u32_e64 s[36:37], 0, v108
	s_and_b64 s[38:39], vcc, s[36:37]
	v_add_u32_e32 v111, v101, v109
	; wave barrier
	s_and_saveexec_b64 s[36:37], s[38:39]
	s_cbranch_execz .LBB634_90
; %bb.89:                               ;   in Loop: Header=BB634_72 Depth=2
	v_bcnt_u32_b32 v4, v12, 0
	v_bcnt_u32_b32 v4, v13, v4
	s_waitcnt lgkmcnt(0)
	v_add_u32_e32 v4, v31, v4
	ds_write_b32 v111, v4 offset:1040
.LBB634_90:                             ;   in Loop: Header=BB634_72 Depth=2
	s_or_b64 exec, exec, s[36:37]
	v_xor_b32_e32 v109, 0x80000000, v14
	v_lshrrev_b32_e32 v4, s62, v109
	v_and_b32_e32 v12, s70, v4
	v_mad_u32_u24 v4, v12, 20, v101
	; wave barrier
	ds_read_b32 v110, v4 offset:1040
	v_and_b32_e32 v4, 1, v12
	v_add_co_u32_e32 v13, vcc, -1, v4
	v_addc_co_u32_e64 v112, s[36:37], 0, -1, vcc
	v_cmp_ne_u32_e32 vcc, 0, v4
	v_xor_b32_e32 v4, vcc_hi, v112
	v_and_b32_e32 v112, exec_hi, v4
	v_lshlrev_b32_e32 v4, 30, v12
	v_xor_b32_e32 v13, vcc_lo, v13
	v_cmp_gt_i64_e32 vcc, 0, v[3:4]
	v_not_b32_e32 v4, v4
	v_ashrrev_i32_e32 v4, 31, v4
	v_and_b32_e32 v13, exec_lo, v13
	v_xor_b32_e32 v113, vcc_hi, v4
	v_xor_b32_e32 v4, vcc_lo, v4
	v_and_b32_e32 v13, v13, v4
	v_lshlrev_b32_e32 v4, 29, v12
	v_cmp_gt_i64_e32 vcc, 0, v[3:4]
	v_not_b32_e32 v4, v4
	v_ashrrev_i32_e32 v4, 31, v4
	v_and_b32_e32 v112, v112, v113
	v_xor_b32_e32 v113, vcc_hi, v4
	v_xor_b32_e32 v4, vcc_lo, v4
	v_and_b32_e32 v13, v13, v4
	v_lshlrev_b32_e32 v4, 28, v12
	v_cmp_gt_i64_e32 vcc, 0, v[3:4]
	v_not_b32_e32 v4, v4
	v_ashrrev_i32_e32 v4, 31, v4
	v_and_b32_e32 v112, v112, v113
	;; [unrolled: 8-line block ×5, first 2 shown]
	v_xor_b32_e32 v113, vcc_hi, v4
	v_xor_b32_e32 v4, vcc_lo, v4
	v_and_b32_e32 v112, v112, v113
	v_and_b32_e32 v113, v13, v4
	v_lshlrev_b32_e32 v4, 24, v12
	v_cmp_gt_i64_e32 vcc, 0, v[3:4]
	v_not_b32_e32 v4, v4
	v_ashrrev_i32_e32 v4, 31, v4
	v_mul_u32_u24_e32 v14, 20, v12
	v_xor_b32_e32 v12, vcc_hi, v4
	v_xor_b32_e32 v4, vcc_lo, v4
	v_and_b32_e32 v13, v112, v12
	v_and_b32_e32 v12, v113, v4
	v_mbcnt_lo_u32_b32 v4, v12, 0
	v_mbcnt_hi_u32_b32 v112, v13, v4
	v_cmp_ne_u64_e32 vcc, 0, v[12:13]
	v_cmp_eq_u32_e64 s[36:37], 0, v112
	s_and_b64 s[38:39], vcc, s[36:37]
	v_add_u32_e32 v115, v101, v14
	; wave barrier
	s_and_saveexec_b64 s[36:37], s[38:39]
	s_cbranch_execz .LBB634_92
; %bb.91:                               ;   in Loop: Header=BB634_72 Depth=2
	v_bcnt_u32_b32 v4, v12, 0
	v_bcnt_u32_b32 v4, v13, v4
	s_waitcnt lgkmcnt(0)
	v_add_u32_e32 v4, v110, v4
	ds_write_b32 v115, v4 offset:1040
.LBB634_92:                             ;   in Loop: Header=BB634_72 Depth=2
	s_or_b64 exec, exec, s[36:37]
	v_xor_b32_e32 v113, 0x80000000, v15
	v_lshrrev_b32_e32 v4, s62, v113
	v_and_b32_e32 v12, s70, v4
	v_mad_u32_u24 v4, v12, 20, v101
	; wave barrier
	ds_read_b32 v114, v4 offset:1040
	v_and_b32_e32 v4, 1, v12
	v_add_co_u32_e32 v13, vcc, -1, v4
	v_addc_co_u32_e64 v15, s[36:37], 0, -1, vcc
	v_cmp_ne_u32_e32 vcc, 0, v4
	v_xor_b32_e32 v4, vcc_hi, v15
	v_and_b32_e32 v15, exec_hi, v4
	v_lshlrev_b32_e32 v4, 30, v12
	v_xor_b32_e32 v13, vcc_lo, v13
	v_cmp_gt_i64_e32 vcc, 0, v[3:4]
	v_not_b32_e32 v4, v4
	v_ashrrev_i32_e32 v4, 31, v4
	v_and_b32_e32 v13, exec_lo, v13
	v_xor_b32_e32 v116, vcc_hi, v4
	v_xor_b32_e32 v4, vcc_lo, v4
	v_and_b32_e32 v13, v13, v4
	v_lshlrev_b32_e32 v4, 29, v12
	v_cmp_gt_i64_e32 vcc, 0, v[3:4]
	v_not_b32_e32 v4, v4
	v_ashrrev_i32_e32 v4, 31, v4
	v_and_b32_e32 v15, v15, v116
	v_xor_b32_e32 v116, vcc_hi, v4
	v_xor_b32_e32 v4, vcc_lo, v4
	v_and_b32_e32 v13, v13, v4
	v_lshlrev_b32_e32 v4, 28, v12
	v_cmp_gt_i64_e32 vcc, 0, v[3:4]
	v_not_b32_e32 v4, v4
	v_ashrrev_i32_e32 v4, 31, v4
	v_and_b32_e32 v15, v15, v116
	;; [unrolled: 8-line block ×5, first 2 shown]
	v_xor_b32_e32 v116, vcc_hi, v4
	v_xor_b32_e32 v4, vcc_lo, v4
	v_and_b32_e32 v15, v15, v116
	v_and_b32_e32 v116, v13, v4
	v_lshlrev_b32_e32 v4, 24, v12
	v_cmp_gt_i64_e32 vcc, 0, v[3:4]
	v_not_b32_e32 v4, v4
	v_ashrrev_i32_e32 v4, 31, v4
	v_mul_u32_u24_e32 v14, 20, v12
	v_xor_b32_e32 v12, vcc_hi, v4
	v_xor_b32_e32 v4, vcc_lo, v4
	v_and_b32_e32 v13, v15, v12
	v_and_b32_e32 v12, v116, v4
	v_mbcnt_lo_u32_b32 v4, v12, 0
	v_mbcnt_hi_u32_b32 v116, v13, v4
	v_cmp_ne_u64_e32 vcc, 0, v[12:13]
	v_cmp_eq_u32_e64 s[36:37], 0, v116
	s_and_b64 s[38:39], vcc, s[36:37]
	v_add_u32_e32 v118, v101, v14
	; wave barrier
	s_and_saveexec_b64 s[36:37], s[38:39]
	s_cbranch_execz .LBB634_94
; %bb.93:                               ;   in Loop: Header=BB634_72 Depth=2
	v_bcnt_u32_b32 v4, v12, 0
	v_bcnt_u32_b32 v4, v13, v4
	s_waitcnt lgkmcnt(0)
	v_add_u32_e32 v4, v114, v4
	ds_write_b32 v118, v4 offset:1040
.LBB634_94:                             ;   in Loop: Header=BB634_72 Depth=2
	s_or_b64 exec, exec, s[36:37]
	v_xor_b32_e32 v16, 0x80000000, v16
	v_lshrrev_b32_e32 v4, s62, v16
	v_and_b32_e32 v12, s70, v4
	v_mad_u32_u24 v4, v12, 20, v101
	; wave barrier
	ds_read_b32 v117, v4 offset:1040
	v_and_b32_e32 v4, 1, v12
	v_add_co_u32_e32 v13, vcc, -1, v4
	v_addc_co_u32_e64 v15, s[36:37], 0, -1, vcc
	v_cmp_ne_u32_e32 vcc, 0, v4
	v_xor_b32_e32 v4, vcc_hi, v15
	v_and_b32_e32 v15, exec_hi, v4
	v_lshlrev_b32_e32 v4, 30, v12
	v_xor_b32_e32 v13, vcc_lo, v13
	v_cmp_gt_i64_e32 vcc, 0, v[3:4]
	v_not_b32_e32 v4, v4
	v_ashrrev_i32_e32 v4, 31, v4
	v_and_b32_e32 v13, exec_lo, v13
	v_xor_b32_e32 v119, vcc_hi, v4
	v_xor_b32_e32 v4, vcc_lo, v4
	v_and_b32_e32 v13, v13, v4
	v_lshlrev_b32_e32 v4, 29, v12
	v_cmp_gt_i64_e32 vcc, 0, v[3:4]
	v_not_b32_e32 v4, v4
	v_ashrrev_i32_e32 v4, 31, v4
	v_and_b32_e32 v15, v15, v119
	v_xor_b32_e32 v119, vcc_hi, v4
	v_xor_b32_e32 v4, vcc_lo, v4
	v_and_b32_e32 v13, v13, v4
	v_lshlrev_b32_e32 v4, 28, v12
	v_cmp_gt_i64_e32 vcc, 0, v[3:4]
	v_not_b32_e32 v4, v4
	v_ashrrev_i32_e32 v4, 31, v4
	v_and_b32_e32 v15, v15, v119
	;; [unrolled: 8-line block ×5, first 2 shown]
	v_xor_b32_e32 v119, vcc_hi, v4
	v_xor_b32_e32 v4, vcc_lo, v4
	v_and_b32_e32 v15, v15, v119
	v_and_b32_e32 v119, v13, v4
	v_lshlrev_b32_e32 v4, 24, v12
	v_cmp_gt_i64_e32 vcc, 0, v[3:4]
	v_not_b32_e32 v4, v4
	v_ashrrev_i32_e32 v4, 31, v4
	v_mul_u32_u24_e32 v14, 20, v12
	v_xor_b32_e32 v12, vcc_hi, v4
	v_xor_b32_e32 v4, vcc_lo, v4
	v_and_b32_e32 v13, v15, v12
	v_and_b32_e32 v12, v119, v4
	v_mbcnt_lo_u32_b32 v4, v12, 0
	v_mbcnt_hi_u32_b32 v119, v13, v4
	v_cmp_ne_u64_e32 vcc, 0, v[12:13]
	v_cmp_eq_u32_e64 s[36:37], 0, v119
	s_and_b64 s[38:39], vcc, s[36:37]
	v_add_u32_e32 v121, v101, v14
	; wave barrier
	s_and_saveexec_b64 s[36:37], s[38:39]
	s_cbranch_execz .LBB634_96
; %bb.95:                               ;   in Loop: Header=BB634_72 Depth=2
	v_bcnt_u32_b32 v4, v12, 0
	v_bcnt_u32_b32 v4, v13, v4
	s_waitcnt lgkmcnt(0)
	v_add_u32_e32 v4, v117, v4
	ds_write_b32 v121, v4 offset:1040
.LBB634_96:                             ;   in Loop: Header=BB634_72 Depth=2
	s_or_b64 exec, exec, s[36:37]
	v_xor_b32_e32 v120, 0x80000000, v17
	v_lshrrev_b32_e32 v4, s62, v120
	v_and_b32_e32 v12, s70, v4
	v_mad_u32_u24 v4, v12, 20, v101
	; wave barrier
	ds_read_b32 v17, v4 offset:1040
	v_and_b32_e32 v4, 1, v12
	v_add_co_u32_e32 v13, vcc, -1, v4
	v_addc_co_u32_e64 v15, s[36:37], 0, -1, vcc
	v_cmp_ne_u32_e32 vcc, 0, v4
	v_xor_b32_e32 v4, vcc_hi, v15
	v_and_b32_e32 v15, exec_hi, v4
	v_lshlrev_b32_e32 v4, 30, v12
	v_xor_b32_e32 v13, vcc_lo, v13
	v_cmp_gt_i64_e32 vcc, 0, v[3:4]
	v_not_b32_e32 v4, v4
	v_ashrrev_i32_e32 v4, 31, v4
	v_and_b32_e32 v13, exec_lo, v13
	v_xor_b32_e32 v122, vcc_hi, v4
	v_xor_b32_e32 v4, vcc_lo, v4
	v_and_b32_e32 v13, v13, v4
	v_lshlrev_b32_e32 v4, 29, v12
	v_cmp_gt_i64_e32 vcc, 0, v[3:4]
	v_not_b32_e32 v4, v4
	v_ashrrev_i32_e32 v4, 31, v4
	v_and_b32_e32 v15, v15, v122
	v_xor_b32_e32 v122, vcc_hi, v4
	v_xor_b32_e32 v4, vcc_lo, v4
	v_and_b32_e32 v13, v13, v4
	v_lshlrev_b32_e32 v4, 28, v12
	v_cmp_gt_i64_e32 vcc, 0, v[3:4]
	v_not_b32_e32 v4, v4
	v_ashrrev_i32_e32 v4, 31, v4
	v_and_b32_e32 v15, v15, v122
	;; [unrolled: 8-line block ×5, first 2 shown]
	v_xor_b32_e32 v122, vcc_hi, v4
	v_xor_b32_e32 v4, vcc_lo, v4
	v_and_b32_e32 v15, v15, v122
	v_and_b32_e32 v122, v13, v4
	v_lshlrev_b32_e32 v4, 24, v12
	v_cmp_gt_i64_e32 vcc, 0, v[3:4]
	v_not_b32_e32 v4, v4
	v_ashrrev_i32_e32 v4, 31, v4
	v_mul_u32_u24_e32 v14, 20, v12
	v_xor_b32_e32 v12, vcc_hi, v4
	v_xor_b32_e32 v4, vcc_lo, v4
	v_and_b32_e32 v13, v15, v12
	v_and_b32_e32 v12, v122, v4
	v_mbcnt_lo_u32_b32 v4, v12, 0
	v_mbcnt_hi_u32_b32 v122, v13, v4
	v_cmp_ne_u64_e32 vcc, 0, v[12:13]
	v_cmp_eq_u32_e64 s[36:37], 0, v122
	s_and_b64 s[38:39], vcc, s[36:37]
	v_add_u32_e32 v125, v101, v14
	; wave barrier
	s_and_saveexec_b64 s[36:37], s[38:39]
	s_cbranch_execz .LBB634_98
; %bb.97:                               ;   in Loop: Header=BB634_72 Depth=2
	v_bcnt_u32_b32 v4, v12, 0
	v_bcnt_u32_b32 v4, v13, v4
	s_waitcnt lgkmcnt(0)
	v_add_u32_e32 v4, v17, v4
	ds_write_b32 v125, v4 offset:1040
.LBB634_98:                             ;   in Loop: Header=BB634_72 Depth=2
	s_or_b64 exec, exec, s[36:37]
	v_xor_b32_e32 v123, 0x80000000, v18
	v_lshrrev_b32_e32 v4, s62, v123
	v_and_b32_e32 v12, s70, v4
	v_mad_u32_u24 v4, v12, 20, v101
	; wave barrier
	ds_read_b32 v124, v4 offset:1040
	v_and_b32_e32 v4, 1, v12
	v_add_co_u32_e32 v13, vcc, -1, v4
	v_addc_co_u32_e64 v15, s[36:37], 0, -1, vcc
	v_cmp_ne_u32_e32 vcc, 0, v4
	v_xor_b32_e32 v4, vcc_hi, v15
	v_and_b32_e32 v15, exec_hi, v4
	v_lshlrev_b32_e32 v4, 30, v12
	v_xor_b32_e32 v13, vcc_lo, v13
	v_cmp_gt_i64_e32 vcc, 0, v[3:4]
	v_not_b32_e32 v4, v4
	v_ashrrev_i32_e32 v4, 31, v4
	v_and_b32_e32 v13, exec_lo, v13
	v_xor_b32_e32 v18, vcc_hi, v4
	v_xor_b32_e32 v4, vcc_lo, v4
	v_and_b32_e32 v13, v13, v4
	v_lshlrev_b32_e32 v4, 29, v12
	v_cmp_gt_i64_e32 vcc, 0, v[3:4]
	v_not_b32_e32 v4, v4
	v_ashrrev_i32_e32 v4, 31, v4
	v_and_b32_e32 v15, v15, v18
	v_xor_b32_e32 v18, vcc_hi, v4
	v_xor_b32_e32 v4, vcc_lo, v4
	v_and_b32_e32 v13, v13, v4
	v_lshlrev_b32_e32 v4, 28, v12
	v_cmp_gt_i64_e32 vcc, 0, v[3:4]
	v_not_b32_e32 v4, v4
	v_ashrrev_i32_e32 v4, 31, v4
	v_and_b32_e32 v15, v15, v18
	;; [unrolled: 8-line block ×5, first 2 shown]
	v_xor_b32_e32 v18, vcc_hi, v4
	v_xor_b32_e32 v4, vcc_lo, v4
	v_and_b32_e32 v15, v15, v18
	v_and_b32_e32 v18, v13, v4
	v_lshlrev_b32_e32 v4, 24, v12
	v_cmp_gt_i64_e32 vcc, 0, v[3:4]
	v_not_b32_e32 v4, v4
	v_ashrrev_i32_e32 v4, 31, v4
	v_mul_u32_u24_e32 v14, 20, v12
	v_xor_b32_e32 v12, vcc_hi, v4
	v_xor_b32_e32 v4, vcc_lo, v4
	v_and_b32_e32 v13, v15, v12
	v_and_b32_e32 v12, v18, v4
	v_mbcnt_lo_u32_b32 v4, v12, 0
	v_mbcnt_hi_u32_b32 v126, v13, v4
	v_cmp_ne_u64_e32 vcc, 0, v[12:13]
	v_cmp_eq_u32_e64 s[36:37], 0, v126
	s_and_b64 s[38:39], vcc, s[36:37]
	v_add_u32_e32 v18, v101, v14
	; wave barrier
	s_and_saveexec_b64 s[36:37], s[38:39]
	s_cbranch_execz .LBB634_100
; %bb.99:                               ;   in Loop: Header=BB634_72 Depth=2
	v_bcnt_u32_b32 v4, v12, 0
	v_bcnt_u32_b32 v4, v13, v4
	s_waitcnt lgkmcnt(0)
	v_add_u32_e32 v4, v124, v4
	ds_write_b32 v18, v4 offset:1040
.LBB634_100:                            ;   in Loop: Header=BB634_72 Depth=2
	s_or_b64 exec, exec, s[36:37]
	v_xor_b32_e32 v127, 0x80000000, v19
	v_lshrrev_b32_e32 v4, s62, v127
	v_and_b32_e32 v12, s70, v4
	v_mad_u32_u24 v4, v12, 20, v101
	; wave barrier
	ds_read_b32 v128, v4 offset:1040
	v_and_b32_e32 v4, 1, v12
	v_add_co_u32_e32 v13, vcc, -1, v4
	v_addc_co_u32_e64 v15, s[36:37], 0, -1, vcc
	v_cmp_ne_u32_e32 vcc, 0, v4
	v_xor_b32_e32 v4, vcc_hi, v15
	v_and_b32_e32 v15, exec_hi, v4
	v_lshlrev_b32_e32 v4, 30, v12
	v_xor_b32_e32 v13, vcc_lo, v13
	v_cmp_gt_i64_e32 vcc, 0, v[3:4]
	v_not_b32_e32 v4, v4
	v_ashrrev_i32_e32 v4, 31, v4
	v_and_b32_e32 v13, exec_lo, v13
	v_xor_b32_e32 v19, vcc_hi, v4
	v_xor_b32_e32 v4, vcc_lo, v4
	v_and_b32_e32 v13, v13, v4
	v_lshlrev_b32_e32 v4, 29, v12
	v_cmp_gt_i64_e32 vcc, 0, v[3:4]
	v_not_b32_e32 v4, v4
	v_ashrrev_i32_e32 v4, 31, v4
	v_and_b32_e32 v15, v15, v19
	v_xor_b32_e32 v19, vcc_hi, v4
	v_xor_b32_e32 v4, vcc_lo, v4
	v_and_b32_e32 v13, v13, v4
	v_lshlrev_b32_e32 v4, 28, v12
	v_cmp_gt_i64_e32 vcc, 0, v[3:4]
	v_not_b32_e32 v4, v4
	v_ashrrev_i32_e32 v4, 31, v4
	v_and_b32_e32 v15, v15, v19
	;; [unrolled: 8-line block ×5, first 2 shown]
	v_xor_b32_e32 v19, vcc_hi, v4
	v_xor_b32_e32 v4, vcc_lo, v4
	v_and_b32_e32 v15, v15, v19
	v_and_b32_e32 v19, v13, v4
	v_lshlrev_b32_e32 v4, 24, v12
	v_cmp_gt_i64_e32 vcc, 0, v[3:4]
	v_not_b32_e32 v4, v4
	v_ashrrev_i32_e32 v4, 31, v4
	v_mul_u32_u24_e32 v14, 20, v12
	v_xor_b32_e32 v12, vcc_hi, v4
	v_xor_b32_e32 v4, vcc_lo, v4
	v_and_b32_e32 v13, v15, v12
	v_and_b32_e32 v12, v19, v4
	v_mbcnt_lo_u32_b32 v4, v12, 0
	v_mbcnt_hi_u32_b32 v129, v13, v4
	v_cmp_ne_u64_e32 vcc, 0, v[12:13]
	v_cmp_eq_u32_e64 s[36:37], 0, v129
	s_and_b64 s[38:39], vcc, s[36:37]
	v_add_u32_e32 v4, v101, v14
	; wave barrier
	s_and_saveexec_b64 s[36:37], s[38:39]
	s_cbranch_execz .LBB634_102
; %bb.101:                              ;   in Loop: Header=BB634_72 Depth=2
	v_bcnt_u32_b32 v12, v12, 0
	v_bcnt_u32_b32 v12, v13, v12
	s_waitcnt lgkmcnt(0)
	v_add_u32_e32 v12, v128, v12
	ds_write_b32 v4, v12 offset:1040
.LBB634_102:                            ;   in Loop: Header=BB634_72 Depth=2
	s_or_b64 exec, exec, s[36:37]
	; wave barrier
	s_waitcnt lgkmcnt(0)
	s_barrier
	ds_read2_b32 v[14:15], v105 offset1:1
	ds_read2_b32 v[12:13], v104 offset1:1
	ds_read_b32 v19, v48 offset:1056
	s_waitcnt lgkmcnt(1)
	v_add3_u32 v130, v15, v14, v12
	s_waitcnt lgkmcnt(0)
	v_add3_u32 v19, v130, v13, v19
	s_nop 1
	v_mov_b32_dpp v130, v19 row_shr:1 row_mask:0xf bank_mask:0xf
	v_cndmask_b32_e64 v130, v130, 0, s[16:17]
	v_add_u32_e32 v19, v130, v19
	s_nop 1
	v_mov_b32_dpp v130, v19 row_shr:2 row_mask:0xf bank_mask:0xf
	v_cndmask_b32_e64 v130, 0, v130, s[18:19]
	v_add_u32_e32 v19, v19, v130
	;; [unrolled: 4-line block ×4, first 2 shown]
	s_nop 1
	v_mov_b32_dpp v130, v19 row_bcast:15 row_mask:0xf bank_mask:0xf
	v_cndmask_b32_e64 v130, v130, 0, s[24:25]
	v_add_u32_e32 v19, v19, v130
	s_nop 1
	v_mov_b32_dpp v130, v19 row_bcast:31 row_mask:0xf bank_mask:0xf
	v_cndmask_b32_e64 v130, 0, v130, s[26:27]
	v_add_u32_e32 v19, v19, v130
	s_and_saveexec_b64 s[36:37], s[6:7]
; %bb.103:                              ;   in Loop: Header=BB634_72 Depth=2
	ds_write_b32 v44, v19 offset:1024
; %bb.104:                              ;   in Loop: Header=BB634_72 Depth=2
	s_or_b64 exec, exec, s[36:37]
	s_waitcnt lgkmcnt(0)
	s_barrier
	s_and_saveexec_b64 s[36:37], s[8:9]
	s_cbranch_execz .LBB634_106
; %bb.105:                              ;   in Loop: Header=BB634_72 Depth=2
	ds_read_b32 v130, v49 offset:1024
	s_waitcnt lgkmcnt(0)
	s_nop 0
	v_mov_b32_dpp v131, v130 row_shr:1 row_mask:0xf bank_mask:0xf
	v_cndmask_b32_e64 v131, v131, 0, s[30:31]
	v_add_u32_e32 v130, v131, v130
	s_nop 1
	v_mov_b32_dpp v131, v130 row_shr:2 row_mask:0xf bank_mask:0xf
	v_cndmask_b32_e64 v131, 0, v131, s[34:35]
	v_add_u32_e32 v130, v130, v131
	ds_write_b32 v49, v130 offset:1024
.LBB634_106:                            ;   in Loop: Header=BB634_72 Depth=2
	s_or_b64 exec, exec, s[36:37]
	v_mov_b32_e32 v130, 0
	s_waitcnt lgkmcnt(0)
	s_barrier
	s_and_saveexec_b64 s[36:37], s[10:11]
; %bb.107:                              ;   in Loop: Header=BB634_72 Depth=2
	ds_read_b32 v130, v44 offset:1020
; %bb.108:                              ;   in Loop: Header=BB634_72 Depth=2
	s_or_b64 exec, exec, s[36:37]
	s_waitcnt lgkmcnt(0)
	v_add_u32_e32 v19, v130, v19
	ds_bpermute_b32 v19, v84, v19
	s_waitcnt lgkmcnt(0)
	v_cndmask_b32_e64 v19, v19, v130, s[28:29]
	v_cndmask_b32_e64 v19, v19, 0, s[12:13]
	v_add_u32_e32 v14, v19, v14
	v_add_u32_e32 v15, v14, v15
	;; [unrolled: 1-line block ×4, first 2 shown]
	ds_write2_b32 v105, v19, v14 offset1:1
	ds_write2_b32 v104, v15, v12 offset1:1
	ds_write_b32 v48, v13 offset:1056
	s_waitcnt lgkmcnt(0)
	s_barrier
	ds_read_b32 v12, v107 offset:1040
	ds_read_b32 v13, v111 offset:1040
	;; [unrolled: 1-line block ×9, first 2 shown]
	v_mov_b32_e32 v4, 0x800
	s_and_saveexec_b64 s[36:37], s[14:15]
; %bb.109:                              ;   in Loop: Header=BB634_72 Depth=2
	ds_read_b32 v4, v48 offset:1060
; %bb.110:                              ;   in Loop: Header=BB634_72 Depth=2
	s_or_b64 exec, exec, s[36:37]
	s_waitcnt lgkmcnt(0)
	s_barrier
	s_and_saveexec_b64 s[36:37], s[4:5]
	s_cbranch_execz .LBB634_112
; %bb.111:                              ;   in Loop: Header=BB634_72 Depth=2
	ds_read_b32 v19, v32
	s_waitcnt lgkmcnt(0)
	v_sub_u32_e32 v18, v19, v18
	ds_write_b32 v32, v18
.LBB634_112:                            ;   in Loop: Header=BB634_72 Depth=2
	s_or_b64 exec, exec, s[36:37]
	v_add_u32_e32 v105, v12, v106
	v_add3_u32 v104, v108, v31, v13
	v_lshlrev_b32_e32 v12, 2, v105
	v_add3_u32 v31, v112, v110, v14
	ds_write_b32 v12, v103 offset:1024
	v_lshlrev_b32_e32 v12, 2, v104
	v_add3_u32 v19, v116, v114, v15
	ds_write_b32 v12, v30 offset:1024
	;; [unrolled: 3-line block ×6, first 2 shown]
	v_lshlrev_b32_e32 v12, 2, v15
	ds_write_b32 v12, v123 offset:1024
	v_lshlrev_b32_e32 v12, 2, v14
	v_cmp_lt_u32_e32 vcc, v0, v102
	ds_write_b32 v12, v127 offset:1024
	s_waitcnt lgkmcnt(0)
	s_barrier
	s_and_saveexec_b64 s[38:39], vcc
	s_cbranch_execnz .LBB634_149
; %bb.113:                              ;   in Loop: Header=BB634_72 Depth=2
	s_or_b64 exec, exec, s[38:39]
	v_cmp_lt_u32_e64 s[36:37], v33, v102
	s_and_saveexec_b64 s[40:41], s[36:37]
	s_cbranch_execnz .LBB634_150
.LBB634_114:                            ;   in Loop: Header=BB634_72 Depth=2
	s_or_b64 exec, exec, s[40:41]
	v_cmp_lt_u32_e64 s[38:39], v34, v102
	s_and_saveexec_b64 s[42:43], s[38:39]
	s_cbranch_execnz .LBB634_151
.LBB634_115:                            ;   in Loop: Header=BB634_72 Depth=2
	s_or_b64 exec, exec, s[42:43]
	v_cmp_lt_u32_e64 s[40:41], v35, v102
	s_and_saveexec_b64 s[44:45], s[40:41]
	s_cbranch_execnz .LBB634_152
.LBB634_116:                            ;   in Loop: Header=BB634_72 Depth=2
	s_or_b64 exec, exec, s[44:45]
	v_cmp_lt_u32_e64 s[42:43], v38, v102
	s_and_saveexec_b64 s[46:47], s[42:43]
	s_cbranch_execnz .LBB634_153
.LBB634_117:                            ;   in Loop: Header=BB634_72 Depth=2
	s_or_b64 exec, exec, s[46:47]
	v_cmp_lt_u32_e64 s[44:45], v39, v102
	s_and_saveexec_b64 s[48:49], s[44:45]
	s_cbranch_execnz .LBB634_154
.LBB634_118:                            ;   in Loop: Header=BB634_72 Depth=2
	s_or_b64 exec, exec, s[48:49]
	v_cmp_lt_u32_e64 s[46:47], v40, v102
	s_and_saveexec_b64 s[52:53], s[46:47]
	s_cbranch_execnz .LBB634_155
.LBB634_119:                            ;   in Loop: Header=BB634_72 Depth=2
	s_or_b64 exec, exec, s[52:53]
	v_cmp_lt_u32_e64 s[48:49], v41, v102
	s_and_saveexec_b64 s[60:61], s[48:49]
	s_cbranch_execz .LBB634_121
.LBB634_120:                            ;   in Loop: Header=BB634_72 Depth=2
	ds_read_b32 v12, v49 offset:8192
	v_mov_b32_e32 v30, s67
	s_waitcnt lgkmcnt(0)
	v_lshrrev_b32_e32 v13, s62, v12
	v_and_b32_e32 v13, s70, v13
	v_lshlrev_b32_e32 v13, 2, v13
	ds_read_b32 v16, v13
	v_mov_b32_e32 v13, v3
	v_xor_b32_e32 v103, 0x80000000, v12
	s_waitcnt lgkmcnt(0)
	v_add_u32_e32 v12, v16, v41
	v_lshlrev_b64 v[12:13], 2, v[12:13]
	v_add_co_u32_e64 v12, s[52:53], s66, v12
	v_addc_co_u32_e64 v13, s[52:53], v30, v13, s[52:53]
	global_store_dword v[12:13], v103, off
.LBB634_121:                            ;   in Loop: Header=BB634_72 Depth=2
	s_or_b64 exec, exec, s[60:61]
	s_lshl_b64 s[52:53], s[58:59], 3
	v_mov_b32_e32 v13, s53
	v_add_co_u32_e64 v12, s[52:53], s52, v85
	v_addc_co_u32_e64 v13, s[52:53], v86, v13, s[52:53]
	v_cmp_lt_u32_e64 s[52:53], v80, v102
	s_and_saveexec_b64 s[60:61], s[52:53]
	s_xor_b64 s[52:53], exec, s[60:61]
	s_cbranch_execnz .LBB634_156
; %bb.122:                              ;   in Loop: Header=BB634_72 Depth=2
	s_or_b64 exec, exec, s[52:53]
	v_cmp_lt_u32_e64 s[52:53], v81, v102
	s_and_saveexec_b64 s[60:61], s[52:53]
	s_cbranch_execnz .LBB634_157
.LBB634_123:                            ;   in Loop: Header=BB634_72 Depth=2
	s_or_b64 exec, exec, s[60:61]
	v_cmp_lt_u32_e64 s[52:53], v82, v102
	s_and_saveexec_b64 s[60:61], s[52:53]
	s_cbranch_execnz .LBB634_158
.LBB634_124:                            ;   in Loop: Header=BB634_72 Depth=2
	s_or_b64 exec, exec, s[60:61]
	v_cmp_lt_u32_e64 s[52:53], v83, v102
	s_and_saveexec_b64 s[60:61], s[52:53]
	s_cbranch_execnz .LBB634_159
.LBB634_125:                            ;   in Loop: Header=BB634_72 Depth=2
	s_or_b64 exec, exec, s[60:61]
	v_cmp_lt_u32_e64 s[52:53], v87, v102
	s_and_saveexec_b64 s[60:61], s[52:53]
	s_cbranch_execnz .LBB634_160
.LBB634_126:                            ;   in Loop: Header=BB634_72 Depth=2
	s_or_b64 exec, exec, s[60:61]
	v_cmp_lt_u32_e64 s[52:53], v88, v102
	s_and_saveexec_b64 s[60:61], s[52:53]
	s_cbranch_execnz .LBB634_161
.LBB634_127:                            ;   in Loop: Header=BB634_72 Depth=2
	s_or_b64 exec, exec, s[60:61]
	v_cmp_lt_u32_e64 s[52:53], v89, v102
	s_and_saveexec_b64 s[60:61], s[52:53]
	s_cbranch_execnz .LBB634_162
.LBB634_128:                            ;   in Loop: Header=BB634_72 Depth=2
	s_or_b64 exec, exec, s[60:61]
	v_cmp_lt_u32_e64 s[52:53], v90, v102
	s_and_saveexec_b64 s[60:61], s[52:53]
	s_cbranch_execnz .LBB634_163
.LBB634_129:                            ;   in Loop: Header=BB634_72 Depth=2
	s_or_b64 exec, exec, s[60:61]
	s_and_saveexec_b64 s[52:53], vcc
	s_cbranch_execnz .LBB634_164
.LBB634_130:                            ;   in Loop: Header=BB634_72 Depth=2
	s_or_b64 exec, exec, s[52:53]
	s_and_saveexec_b64 s[52:53], s[36:37]
	s_cbranch_execnz .LBB634_165
.LBB634_131:                            ;   in Loop: Header=BB634_72 Depth=2
	s_or_b64 exec, exec, s[52:53]
	s_and_saveexec_b64 s[52:53], s[38:39]
	s_cbranch_execnz .LBB634_166
.LBB634_132:                            ;   in Loop: Header=BB634_72 Depth=2
	s_or_b64 exec, exec, s[52:53]
	s_and_saveexec_b64 s[52:53], s[40:41]
	s_cbranch_execnz .LBB634_167
.LBB634_133:                            ;   in Loop: Header=BB634_72 Depth=2
	s_or_b64 exec, exec, s[52:53]
	s_and_saveexec_b64 s[52:53], s[42:43]
	s_cbranch_execnz .LBB634_168
.LBB634_134:                            ;   in Loop: Header=BB634_72 Depth=2
	s_or_b64 exec, exec, s[52:53]
	s_and_saveexec_b64 s[52:53], s[44:45]
	s_cbranch_execnz .LBB634_169
.LBB634_135:                            ;   in Loop: Header=BB634_72 Depth=2
	s_or_b64 exec, exec, s[52:53]
	s_and_saveexec_b64 s[52:53], s[46:47]
	s_cbranch_execnz .LBB634_170
.LBB634_136:                            ;   in Loop: Header=BB634_72 Depth=2
	s_or_b64 exec, exec, s[52:53]
	s_and_saveexec_b64 s[52:53], s[48:49]
	s_cbranch_execz .LBB634_138
.LBB634_137:                            ;   in Loop: Header=BB634_72 Depth=2
	ds_read_b32 v12, v49 offset:8192
	s_waitcnt lgkmcnt(0)
	v_lshrrev_b32_e32 v12, s62, v12
	v_and_b32_e32 v91, s70, v12
.LBB634_138:                            ;   in Loop: Header=BB634_72 Depth=2
	s_or_b64 exec, exec, s[52:53]
	v_lshlrev_b32_e32 v12, 3, v105
	s_waitcnt vmcnt(0)
	s_barrier
	ds_write_b64 v12, v[28:29] offset:1024
	v_lshlrev_b32_e32 v12, 3, v104
	ds_write_b64 v12, v[26:27] offset:1024
	v_lshlrev_b32_e32 v12, 3, v31
	;; [unrolled: 2-line block ×7, first 2 shown]
	ds_write_b64 v12, v[5:6] offset:1024
	s_waitcnt lgkmcnt(0)
	s_barrier
	s_and_saveexec_b64 s[52:53], vcc
	s_cbranch_execnz .LBB634_171
; %bb.139:                              ;   in Loop: Header=BB634_72 Depth=2
	s_or_b64 exec, exec, s[52:53]
	s_and_saveexec_b64 s[52:53], s[36:37]
	s_cbranch_execnz .LBB634_172
.LBB634_140:                            ;   in Loop: Header=BB634_72 Depth=2
	s_or_b64 exec, exec, s[52:53]
	s_and_saveexec_b64 s[36:37], s[38:39]
	s_cbranch_execnz .LBB634_173
.LBB634_141:                            ;   in Loop: Header=BB634_72 Depth=2
	s_or_b64 exec, exec, s[36:37]
	s_and_saveexec_b64 s[36:37], s[40:41]
	s_cbranch_execnz .LBB634_174
.LBB634_142:                            ;   in Loop: Header=BB634_72 Depth=2
	s_or_b64 exec, exec, s[36:37]
	s_and_saveexec_b64 s[36:37], s[42:43]
	s_cbranch_execnz .LBB634_175
.LBB634_143:                            ;   in Loop: Header=BB634_72 Depth=2
	s_or_b64 exec, exec, s[36:37]
	s_and_saveexec_b64 s[36:37], s[44:45]
	s_cbranch_execnz .LBB634_176
.LBB634_144:                            ;   in Loop: Header=BB634_72 Depth=2
	s_or_b64 exec, exec, s[36:37]
	s_and_saveexec_b64 s[36:37], s[46:47]
	s_cbranch_execnz .LBB634_177
.LBB634_145:                            ;   in Loop: Header=BB634_72 Depth=2
	s_or_b64 exec, exec, s[36:37]
	s_and_saveexec_b64 s[36:37], s[48:49]
	s_cbranch_execz .LBB634_147
.LBB634_146:                            ;   in Loop: Header=BB634_72 Depth=2
	v_lshlrev_b32_e32 v12, 2, v91
	ds_read_b32 v14, v12
	v_add_u32_e32 v12, v49, v32
	ds_read_b64 v[12:13], v12 offset:15360
	v_mov_b32_e32 v15, v3
	v_mov_b32_e32 v16, s73
	s_waitcnt lgkmcnt(1)
	v_add_u32_e32 v14, v14, v41
	v_lshlrev_b64 v[14:15], 3, v[14:15]
	v_add_co_u32_e32 v14, vcc, s72, v14
	v_addc_co_u32_e32 v15, vcc, v16, v15, vcc
	s_waitcnt lgkmcnt(0)
	global_store_dwordx2 v[14:15], v[12:13], off
.LBB634_147:                            ;   in Loop: Header=BB634_72 Depth=2
	s_or_b64 exec, exec, s[36:37]
	s_waitcnt vmcnt(0)
	s_barrier
	s_and_saveexec_b64 s[36:37], s[4:5]
	s_cbranch_execz .LBB634_71
; %bb.148:                              ;   in Loop: Header=BB634_72 Depth=2
	ds_read_b32 v12, v32
	s_waitcnt lgkmcnt(0)
	v_add_u32_e32 v4, v12, v4
	ds_write_b32 v32, v4
	s_branch .LBB634_71
.LBB634_149:                            ;   in Loop: Header=BB634_72 Depth=2
	ds_read_b32 v12, v49 offset:1024
	v_mov_b32_e32 v30, s67
	s_waitcnt lgkmcnt(0)
	v_lshrrev_b32_e32 v13, s62, v12
	v_and_b32_e32 v13, s70, v13
	v_lshlrev_b32_e32 v13, 2, v13
	ds_read_b32 v16, v13
	v_mov_b32_e32 v13, v3
	v_xor_b32_e32 v103, 0x80000000, v12
	s_waitcnt lgkmcnt(0)
	v_add_u32_e32 v12, v16, v0
	v_lshlrev_b64 v[12:13], 2, v[12:13]
	v_add_co_u32_e64 v12, s[36:37], s66, v12
	v_addc_co_u32_e64 v13, s[36:37], v30, v13, s[36:37]
	global_store_dword v[12:13], v103, off
	s_or_b64 exec, exec, s[38:39]
	v_cmp_lt_u32_e64 s[36:37], v33, v102
	s_and_saveexec_b64 s[40:41], s[36:37]
	s_cbranch_execz .LBB634_114
.LBB634_150:                            ;   in Loop: Header=BB634_72 Depth=2
	ds_read_b32 v12, v49 offset:2048
	v_mov_b32_e32 v30, s67
	s_waitcnt lgkmcnt(0)
	v_lshrrev_b32_e32 v13, s62, v12
	v_and_b32_e32 v13, s70, v13
	v_lshlrev_b32_e32 v13, 2, v13
	ds_read_b32 v16, v13
	v_mov_b32_e32 v13, v3
	v_xor_b32_e32 v103, 0x80000000, v12
	s_waitcnt lgkmcnt(0)
	v_add_u32_e32 v12, v16, v33
	v_lshlrev_b64 v[12:13], 2, v[12:13]
	v_add_co_u32_e64 v12, s[38:39], s66, v12
	v_addc_co_u32_e64 v13, s[38:39], v30, v13, s[38:39]
	global_store_dword v[12:13], v103, off
	s_or_b64 exec, exec, s[40:41]
	v_cmp_lt_u32_e64 s[38:39], v34, v102
	s_and_saveexec_b64 s[42:43], s[38:39]
	s_cbranch_execz .LBB634_115
.LBB634_151:                            ;   in Loop: Header=BB634_72 Depth=2
	ds_read_b32 v12, v49 offset:3072
	v_mov_b32_e32 v30, s67
	s_waitcnt lgkmcnt(0)
	v_lshrrev_b32_e32 v13, s62, v12
	v_and_b32_e32 v13, s70, v13
	v_lshlrev_b32_e32 v13, 2, v13
	ds_read_b32 v16, v13
	v_mov_b32_e32 v13, v3
	v_xor_b32_e32 v103, 0x80000000, v12
	s_waitcnt lgkmcnt(0)
	v_add_u32_e32 v12, v16, v34
	v_lshlrev_b64 v[12:13], 2, v[12:13]
	v_add_co_u32_e64 v12, s[40:41], s66, v12
	v_addc_co_u32_e64 v13, s[40:41], v30, v13, s[40:41]
	global_store_dword v[12:13], v103, off
	s_or_b64 exec, exec, s[42:43]
	v_cmp_lt_u32_e64 s[40:41], v35, v102
	s_and_saveexec_b64 s[44:45], s[40:41]
	s_cbranch_execz .LBB634_116
.LBB634_152:                            ;   in Loop: Header=BB634_72 Depth=2
	ds_read_b32 v12, v49 offset:4096
	v_mov_b32_e32 v30, s67
	s_waitcnt lgkmcnt(0)
	v_lshrrev_b32_e32 v13, s62, v12
	v_and_b32_e32 v13, s70, v13
	v_lshlrev_b32_e32 v13, 2, v13
	ds_read_b32 v16, v13
	v_mov_b32_e32 v13, v3
	v_xor_b32_e32 v103, 0x80000000, v12
	s_waitcnt lgkmcnt(0)
	v_add_u32_e32 v12, v16, v35
	v_lshlrev_b64 v[12:13], 2, v[12:13]
	v_add_co_u32_e64 v12, s[42:43], s66, v12
	v_addc_co_u32_e64 v13, s[42:43], v30, v13, s[42:43]
	global_store_dword v[12:13], v103, off
	s_or_b64 exec, exec, s[44:45]
	v_cmp_lt_u32_e64 s[42:43], v38, v102
	s_and_saveexec_b64 s[46:47], s[42:43]
	s_cbranch_execz .LBB634_117
.LBB634_153:                            ;   in Loop: Header=BB634_72 Depth=2
	ds_read_b32 v12, v49 offset:5120
	v_mov_b32_e32 v30, s67
	s_waitcnt lgkmcnt(0)
	v_lshrrev_b32_e32 v13, s62, v12
	v_and_b32_e32 v13, s70, v13
	v_lshlrev_b32_e32 v13, 2, v13
	ds_read_b32 v16, v13
	v_mov_b32_e32 v13, v3
	v_xor_b32_e32 v103, 0x80000000, v12
	s_waitcnt lgkmcnt(0)
	v_add_u32_e32 v12, v16, v38
	v_lshlrev_b64 v[12:13], 2, v[12:13]
	v_add_co_u32_e64 v12, s[44:45], s66, v12
	v_addc_co_u32_e64 v13, s[44:45], v30, v13, s[44:45]
	global_store_dword v[12:13], v103, off
	s_or_b64 exec, exec, s[46:47]
	v_cmp_lt_u32_e64 s[44:45], v39, v102
	s_and_saveexec_b64 s[48:49], s[44:45]
	s_cbranch_execz .LBB634_118
.LBB634_154:                            ;   in Loop: Header=BB634_72 Depth=2
	ds_read_b32 v12, v49 offset:6144
	v_mov_b32_e32 v30, s67
	s_waitcnt lgkmcnt(0)
	v_lshrrev_b32_e32 v13, s62, v12
	v_and_b32_e32 v13, s70, v13
	v_lshlrev_b32_e32 v13, 2, v13
	ds_read_b32 v16, v13
	v_mov_b32_e32 v13, v3
	v_xor_b32_e32 v103, 0x80000000, v12
	s_waitcnt lgkmcnt(0)
	v_add_u32_e32 v12, v16, v39
	v_lshlrev_b64 v[12:13], 2, v[12:13]
	v_add_co_u32_e64 v12, s[46:47], s66, v12
	v_addc_co_u32_e64 v13, s[46:47], v30, v13, s[46:47]
	global_store_dword v[12:13], v103, off
	s_or_b64 exec, exec, s[48:49]
	v_cmp_lt_u32_e64 s[46:47], v40, v102
	s_and_saveexec_b64 s[52:53], s[46:47]
	s_cbranch_execz .LBB634_119
.LBB634_155:                            ;   in Loop: Header=BB634_72 Depth=2
	ds_read_b32 v12, v49 offset:7168
	v_mov_b32_e32 v30, s67
	s_waitcnt lgkmcnt(0)
	v_lshrrev_b32_e32 v13, s62, v12
	v_and_b32_e32 v13, s70, v13
	v_lshlrev_b32_e32 v13, 2, v13
	ds_read_b32 v16, v13
	v_mov_b32_e32 v13, v3
	v_xor_b32_e32 v103, 0x80000000, v12
	s_waitcnt lgkmcnt(0)
	v_add_u32_e32 v12, v16, v40
	v_lshlrev_b64 v[12:13], 2, v[12:13]
	v_add_co_u32_e64 v12, s[48:49], s66, v12
	v_addc_co_u32_e64 v13, s[48:49], v30, v13, s[48:49]
	global_store_dword v[12:13], v103, off
	s_or_b64 exec, exec, s[52:53]
	v_cmp_lt_u32_e64 s[48:49], v41, v102
	s_and_saveexec_b64 s[60:61], s[48:49]
	s_cbranch_execnz .LBB634_120
	s_branch .LBB634_121
.LBB634_156:                            ;   in Loop: Header=BB634_72 Depth=2
	global_load_dwordx2 v[28:29], v[12:13], off
	s_or_b64 exec, exec, s[52:53]
	v_cmp_lt_u32_e64 s[52:53], v81, v102
	s_and_saveexec_b64 s[60:61], s[52:53]
	s_cbranch_execz .LBB634_123
.LBB634_157:                            ;   in Loop: Header=BB634_72 Depth=2
	global_load_dwordx2 v[26:27], v[12:13], off offset:512
	s_or_b64 exec, exec, s[60:61]
	v_cmp_lt_u32_e64 s[52:53], v82, v102
	s_and_saveexec_b64 s[60:61], s[52:53]
	s_cbranch_execz .LBB634_124
.LBB634_158:                            ;   in Loop: Header=BB634_72 Depth=2
	global_load_dwordx2 v[24:25], v[12:13], off offset:1024
	s_or_b64 exec, exec, s[60:61]
	v_cmp_lt_u32_e64 s[52:53], v83, v102
	s_and_saveexec_b64 s[60:61], s[52:53]
	s_cbranch_execz .LBB634_125
.LBB634_159:                            ;   in Loop: Header=BB634_72 Depth=2
	global_load_dwordx2 v[22:23], v[12:13], off offset:1536
	s_or_b64 exec, exec, s[60:61]
	v_cmp_lt_u32_e64 s[52:53], v87, v102
	s_and_saveexec_b64 s[60:61], s[52:53]
	s_cbranch_execz .LBB634_126
.LBB634_160:                            ;   in Loop: Header=BB634_72 Depth=2
	global_load_dwordx2 v[20:21], v[12:13], off offset:2048
	s_or_b64 exec, exec, s[60:61]
	v_cmp_lt_u32_e64 s[52:53], v88, v102
	s_and_saveexec_b64 s[60:61], s[52:53]
	s_cbranch_execz .LBB634_127
.LBB634_161:                            ;   in Loop: Header=BB634_72 Depth=2
	global_load_dwordx2 v[9:10], v[12:13], off offset:2560
	s_or_b64 exec, exec, s[60:61]
	v_cmp_lt_u32_e64 s[52:53], v89, v102
	s_and_saveexec_b64 s[60:61], s[52:53]
	s_cbranch_execz .LBB634_128
.LBB634_162:                            ;   in Loop: Header=BB634_72 Depth=2
	global_load_dwordx2 v[7:8], v[12:13], off offset:3072
	s_or_b64 exec, exec, s[60:61]
	v_cmp_lt_u32_e64 s[52:53], v90, v102
	s_and_saveexec_b64 s[60:61], s[52:53]
	s_cbranch_execz .LBB634_129
.LBB634_163:                            ;   in Loop: Header=BB634_72 Depth=2
	global_load_dwordx2 v[5:6], v[12:13], off offset:3584
	s_or_b64 exec, exec, s[60:61]
	s_and_saveexec_b64 s[52:53], vcc
	s_cbranch_execz .LBB634_130
.LBB634_164:                            ;   in Loop: Header=BB634_72 Depth=2
	ds_read_b32 v12, v49 offset:1024
	s_waitcnt lgkmcnt(0)
	v_lshrrev_b32_e32 v12, s62, v12
	v_and_b32_e32 v98, s70, v12
	s_or_b64 exec, exec, s[52:53]
	s_and_saveexec_b64 s[52:53], s[36:37]
	s_cbranch_execz .LBB634_131
.LBB634_165:                            ;   in Loop: Header=BB634_72 Depth=2
	ds_read_b32 v12, v49 offset:2048
	s_waitcnt lgkmcnt(0)
	v_lshrrev_b32_e32 v12, s62, v12
	v_and_b32_e32 v97, s70, v12
	s_or_b64 exec, exec, s[52:53]
	s_and_saveexec_b64 s[52:53], s[38:39]
	s_cbranch_execz .LBB634_132
.LBB634_166:                            ;   in Loop: Header=BB634_72 Depth=2
	ds_read_b32 v12, v49 offset:3072
	s_waitcnt lgkmcnt(0)
	v_lshrrev_b32_e32 v12, s62, v12
	v_and_b32_e32 v96, s70, v12
	s_or_b64 exec, exec, s[52:53]
	s_and_saveexec_b64 s[52:53], s[40:41]
	s_cbranch_execz .LBB634_133
.LBB634_167:                            ;   in Loop: Header=BB634_72 Depth=2
	ds_read_b32 v12, v49 offset:4096
	s_waitcnt lgkmcnt(0)
	v_lshrrev_b32_e32 v12, s62, v12
	v_and_b32_e32 v95, s70, v12
	s_or_b64 exec, exec, s[52:53]
	s_and_saveexec_b64 s[52:53], s[42:43]
	s_cbranch_execz .LBB634_134
.LBB634_168:                            ;   in Loop: Header=BB634_72 Depth=2
	ds_read_b32 v12, v49 offset:5120
	s_waitcnt lgkmcnt(0)
	v_lshrrev_b32_e32 v12, s62, v12
	v_and_b32_e32 v94, s70, v12
	s_or_b64 exec, exec, s[52:53]
	s_and_saveexec_b64 s[52:53], s[44:45]
	s_cbranch_execz .LBB634_135
.LBB634_169:                            ;   in Loop: Header=BB634_72 Depth=2
	ds_read_b32 v12, v49 offset:6144
	s_waitcnt lgkmcnt(0)
	v_lshrrev_b32_e32 v12, s62, v12
	v_and_b32_e32 v93, s70, v12
	s_or_b64 exec, exec, s[52:53]
	s_and_saveexec_b64 s[52:53], s[46:47]
	s_cbranch_execz .LBB634_136
.LBB634_170:                            ;   in Loop: Header=BB634_72 Depth=2
	ds_read_b32 v12, v49 offset:7168
	s_waitcnt lgkmcnt(0)
	v_lshrrev_b32_e32 v12, s62, v12
	v_and_b32_e32 v92, s70, v12
	s_or_b64 exec, exec, s[52:53]
	s_and_saveexec_b64 s[52:53], s[48:49]
	s_cbranch_execnz .LBB634_137
	s_branch .LBB634_138
.LBB634_171:                            ;   in Loop: Header=BB634_72 Depth=2
	v_lshlrev_b32_e32 v12, 2, v98
	ds_read_b32 v14, v12
	v_add_u32_e32 v12, v49, v32
	ds_read_b64 v[12:13], v12 offset:1024
	v_mov_b32_e32 v15, v3
	v_mov_b32_e32 v16, s73
	s_waitcnt lgkmcnt(1)
	v_add_u32_e32 v14, v14, v0
	v_lshlrev_b64 v[14:15], 3, v[14:15]
	v_add_co_u32_e32 v14, vcc, s72, v14
	v_addc_co_u32_e32 v15, vcc, v16, v15, vcc
	s_waitcnt lgkmcnt(0)
	global_store_dwordx2 v[14:15], v[12:13], off
	s_or_b64 exec, exec, s[52:53]
	s_and_saveexec_b64 s[52:53], s[36:37]
	s_cbranch_execz .LBB634_140
.LBB634_172:                            ;   in Loop: Header=BB634_72 Depth=2
	v_lshlrev_b32_e32 v12, 2, v97
	ds_read_b32 v14, v12
	v_add_u32_e32 v12, v49, v32
	ds_read_b64 v[12:13], v12 offset:3072
	v_mov_b32_e32 v15, v3
	v_mov_b32_e32 v16, s73
	s_waitcnt lgkmcnt(1)
	v_add_u32_e32 v14, v14, v33
	v_lshlrev_b64 v[14:15], 3, v[14:15]
	v_add_co_u32_e32 v14, vcc, s72, v14
	v_addc_co_u32_e32 v15, vcc, v16, v15, vcc
	s_waitcnt lgkmcnt(0)
	global_store_dwordx2 v[14:15], v[12:13], off
	s_or_b64 exec, exec, s[52:53]
	s_and_saveexec_b64 s[36:37], s[38:39]
	s_cbranch_execz .LBB634_141
.LBB634_173:                            ;   in Loop: Header=BB634_72 Depth=2
	v_lshlrev_b32_e32 v12, 2, v96
	ds_read_b32 v14, v12
	v_add_u32_e32 v12, v49, v32
	ds_read_b64 v[12:13], v12 offset:5120
	v_mov_b32_e32 v15, v3
	v_mov_b32_e32 v16, s73
	s_waitcnt lgkmcnt(1)
	v_add_u32_e32 v14, v14, v34
	v_lshlrev_b64 v[14:15], 3, v[14:15]
	v_add_co_u32_e32 v14, vcc, s72, v14
	v_addc_co_u32_e32 v15, vcc, v16, v15, vcc
	s_waitcnt lgkmcnt(0)
	global_store_dwordx2 v[14:15], v[12:13], off
	s_or_b64 exec, exec, s[36:37]
	s_and_saveexec_b64 s[36:37], s[40:41]
	s_cbranch_execz .LBB634_142
.LBB634_174:                            ;   in Loop: Header=BB634_72 Depth=2
	v_lshlrev_b32_e32 v12, 2, v95
	ds_read_b32 v14, v12
	v_add_u32_e32 v12, v49, v32
	ds_read_b64 v[12:13], v12 offset:7168
	v_mov_b32_e32 v15, v3
	v_mov_b32_e32 v16, s73
	s_waitcnt lgkmcnt(1)
	v_add_u32_e32 v14, v14, v35
	v_lshlrev_b64 v[14:15], 3, v[14:15]
	v_add_co_u32_e32 v14, vcc, s72, v14
	v_addc_co_u32_e32 v15, vcc, v16, v15, vcc
	s_waitcnt lgkmcnt(0)
	global_store_dwordx2 v[14:15], v[12:13], off
	s_or_b64 exec, exec, s[36:37]
	s_and_saveexec_b64 s[36:37], s[42:43]
	s_cbranch_execz .LBB634_143
.LBB634_175:                            ;   in Loop: Header=BB634_72 Depth=2
	v_lshlrev_b32_e32 v12, 2, v94
	ds_read_b32 v14, v12
	v_add_u32_e32 v12, v49, v32
	ds_read_b64 v[12:13], v12 offset:9216
	v_mov_b32_e32 v15, v3
	v_mov_b32_e32 v16, s73
	s_waitcnt lgkmcnt(1)
	v_add_u32_e32 v14, v14, v38
	v_lshlrev_b64 v[14:15], 3, v[14:15]
	v_add_co_u32_e32 v14, vcc, s72, v14
	v_addc_co_u32_e32 v15, vcc, v16, v15, vcc
	s_waitcnt lgkmcnt(0)
	global_store_dwordx2 v[14:15], v[12:13], off
	s_or_b64 exec, exec, s[36:37]
	s_and_saveexec_b64 s[36:37], s[44:45]
	s_cbranch_execz .LBB634_144
.LBB634_176:                            ;   in Loop: Header=BB634_72 Depth=2
	v_lshlrev_b32_e32 v12, 2, v93
	ds_read_b32 v14, v12
	v_add_u32_e32 v12, v49, v32
	ds_read_b64 v[12:13], v12 offset:11264
	v_mov_b32_e32 v15, v3
	v_mov_b32_e32 v16, s73
	s_waitcnt lgkmcnt(1)
	v_add_u32_e32 v14, v14, v39
	v_lshlrev_b64 v[14:15], 3, v[14:15]
	v_add_co_u32_e32 v14, vcc, s72, v14
	v_addc_co_u32_e32 v15, vcc, v16, v15, vcc
	s_waitcnt lgkmcnt(0)
	global_store_dwordx2 v[14:15], v[12:13], off
	s_or_b64 exec, exec, s[36:37]
	s_and_saveexec_b64 s[36:37], s[46:47]
	s_cbranch_execz .LBB634_145
.LBB634_177:                            ;   in Loop: Header=BB634_72 Depth=2
	v_lshlrev_b32_e32 v12, 2, v92
	ds_read_b32 v14, v12
	v_add_u32_e32 v12, v49, v32
	ds_read_b64 v[12:13], v12 offset:13312
	v_mov_b32_e32 v15, v3
	v_mov_b32_e32 v16, s73
	s_waitcnt lgkmcnt(1)
	v_add_u32_e32 v14, v14, v40
	v_lshlrev_b64 v[14:15], 3, v[14:15]
	v_add_co_u32_e32 v14, vcc, s72, v14
	v_addc_co_u32_e32 v15, vcc, v16, v15, vcc
	s_waitcnt lgkmcnt(0)
	global_store_dwordx2 v[14:15], v[12:13], off
	s_or_b64 exec, exec, s[36:37]
	s_and_saveexec_b64 s[36:37], s[48:49]
	s_cbranch_execnz .LBB634_146
	s_branch .LBB634_147
.LBB634_178:                            ;   in Loop: Header=BB634_72 Depth=2
	global_load_dword v12, v[30:31], off
	v_mov_b32_e32 v13, v11
	v_mov_b32_e32 v14, v11
	;; [unrolled: 1-line block ×7, first 2 shown]
	s_or_b64 exec, exec, s[36:37]
	v_cmp_gt_u32_e32 vcc, s71, v81
	s_and_saveexec_b64 s[36:37], vcc
	s_cbranch_execz .LBB634_77
.LBB634_179:                            ;   in Loop: Header=BB634_72 Depth=2
	global_load_dword v13, v[30:31], off offset:256
	s_or_b64 exec, exec, s[36:37]
	v_cmp_gt_u32_e32 vcc, s71, v82
	s_and_saveexec_b64 s[36:37], vcc
	s_cbranch_execz .LBB634_78
.LBB634_180:                            ;   in Loop: Header=BB634_72 Depth=2
	global_load_dword v14, v[30:31], off offset:512
	s_or_b64 exec, exec, s[36:37]
	v_cmp_gt_u32_e32 vcc, s71, v83
	s_and_saveexec_b64 s[36:37], vcc
	s_cbranch_execz .LBB634_79
.LBB634_181:                            ;   in Loop: Header=BB634_72 Depth=2
	global_load_dword v15, v[30:31], off offset:768
	s_or_b64 exec, exec, s[36:37]
	v_cmp_gt_u32_e32 vcc, s71, v87
	s_and_saveexec_b64 s[36:37], vcc
	s_cbranch_execz .LBB634_80
.LBB634_182:                            ;   in Loop: Header=BB634_72 Depth=2
	global_load_dword v16, v[30:31], off offset:1024
	s_or_b64 exec, exec, s[36:37]
	v_cmp_gt_u32_e32 vcc, s71, v88
	s_and_saveexec_b64 s[36:37], vcc
	s_cbranch_execz .LBB634_81
.LBB634_183:                            ;   in Loop: Header=BB634_72 Depth=2
	global_load_dword v17, v[30:31], off offset:1280
	s_or_b64 exec, exec, s[36:37]
	v_cmp_gt_u32_e32 vcc, s71, v89
	s_and_saveexec_b64 s[36:37], vcc
	s_cbranch_execnz .LBB634_82
	s_branch .LBB634_83
.LBB634_184:                            ;   in Loop: Header=BB634_20 Depth=1
	s_waitcnt lgkmcnt(0)
	s_barrier
	s_mov_b64 s[16:17], 0
.LBB634_185:                            ;   in Loop: Header=BB634_20 Depth=1
	s_and_b64 vcc, exec, s[16:17]
	s_cbranch_vccz .LBB634_349
; %bb.186:                              ;   in Loop: Header=BB634_20 Depth=1
	v_mov_b32_e32 v10, v3
	v_mov_b32_e32 v4, v3
	;; [unrolled: 1-line block ×8, first 2 shown]
	s_mov_b32 s20, s79
	s_mov_b32 s58, s51
	v_mov_b32_e32 v18, v9
	v_mov_b32_e32 v17, v8
	;; [unrolled: 1-line block ×7, first 2 shown]
	s_barrier
	s_branch .LBB634_188
.LBB634_187:                            ;   in Loop: Header=BB634_188 Depth=2
	s_or_b64 exec, exec, s[16:17]
	s_addk_i32 s20, 0xf800
	s_cmp_ge_u32 s21, s63
	s_mov_b32 s58, s21
	s_cbranch_scc1 .LBB634_224
.LBB634_188:                            ;   Parent Loop BB634_20 Depth=1
                                        ; =>  This Inner Loop Header: Depth=2
	s_add_i32 s21, s58, 0x800
	s_cmp_gt_u32 s21, s63
	s_mov_b64 s[16:17], -1
                                        ; implicit-def: $vgpr20_vgpr21_vgpr22_vgpr23_vgpr24_vgpr25_vgpr26_vgpr27
	s_cbranch_scc1 .LBB634_190
; %bb.189:                              ;   in Loop: Header=BB634_188 Depth=2
	s_lshl_b64 s[16:17], s[58:59], 2
	v_mov_b32_e32 v5, s17
	v_add_co_u32_e32 v4, vcc, s16, v54
	v_addc_co_u32_e32 v5, vcc, v55, v5, vcc
	v_add_co_u32_e32 v6, vcc, 0x1000, v4
	v_addc_co_u32_e32 v7, vcc, 0, v5, vcc
	global_load_dword v20, v[4:5], off
	global_load_dword v21, v[4:5], off offset:1024
	global_load_dword v22, v[4:5], off offset:2048
	;; [unrolled: 1-line block ×3, first 2 shown]
	global_load_dword v24, v[6:7], off
	global_load_dword v25, v[6:7], off offset:1024
	global_load_dword v26, v[6:7], off offset:2048
	;; [unrolled: 1-line block ×3, first 2 shown]
	s_mov_b64 s[16:17], 0
.LBB634_190:                            ;   in Loop: Header=BB634_188 Depth=2
	s_andn2_b64 vcc, exec, s[16:17]
	s_movk_i32 s18, 0x800
	s_cbranch_vccnz .LBB634_201
; %bb.191:                              ;   in Loop: Header=BB634_188 Depth=2
	s_lshl_b64 s[16:17], s[58:59], 2
	s_add_u32 s16, s66, s16
	s_addc_u32 s17, s67, s17
	v_cmp_gt_u32_e32 vcc, s20, v0
	s_and_saveexec_b64 s[18:19], vcc
	s_cbranch_execnz .LBB634_217
; %bb.192:                              ;   in Loop: Header=BB634_188 Depth=2
	s_or_b64 exec, exec, s[18:19]
	v_cmp_gt_u32_e32 vcc, s20, v33
	s_and_saveexec_b64 s[18:19], vcc
	s_cbranch_execnz .LBB634_218
.LBB634_193:                            ;   in Loop: Header=BB634_188 Depth=2
	s_or_b64 exec, exec, s[18:19]
	v_cmp_gt_u32_e32 vcc, s20, v34
	s_and_saveexec_b64 s[18:19], vcc
	s_cbranch_execnz .LBB634_219
.LBB634_194:                            ;   in Loop: Header=BB634_188 Depth=2
	s_or_b64 exec, exec, s[18:19]
	v_cmp_gt_u32_e32 vcc, s20, v35
	s_and_saveexec_b64 s[18:19], vcc
	s_cbranch_execnz .LBB634_220
.LBB634_195:                            ;   in Loop: Header=BB634_188 Depth=2
	s_or_b64 exec, exec, s[18:19]
	v_cmp_gt_u32_e32 vcc, s20, v38
	s_and_saveexec_b64 s[18:19], vcc
	s_cbranch_execnz .LBB634_221
.LBB634_196:                            ;   in Loop: Header=BB634_188 Depth=2
	s_or_b64 exec, exec, s[18:19]
	v_cmp_gt_u32_e32 vcc, s20, v39
	s_and_saveexec_b64 s[18:19], vcc
	s_cbranch_execnz .LBB634_222
.LBB634_197:                            ;   in Loop: Header=BB634_188 Depth=2
	s_or_b64 exec, exec, s[18:19]
	v_cmp_gt_u32_e32 vcc, s20, v40
	s_and_saveexec_b64 s[18:19], vcc
	s_cbranch_execnz .LBB634_223
.LBB634_198:                            ;   in Loop: Header=BB634_188 Depth=2
	s_or_b64 exec, exec, s[18:19]
	v_cmp_gt_u32_e32 vcc, s20, v41
	s_and_saveexec_b64 s[18:19], vcc
	s_cbranch_execz .LBB634_200
.LBB634_199:                            ;   in Loop: Header=BB634_188 Depth=2
	global_load_dword v19, v71, s[16:17]
.LBB634_200:                            ;   in Loop: Header=BB634_188 Depth=2
	s_or_b64 exec, exec, s[18:19]
	s_waitcnt vmcnt(0)
	v_mov_b32_e32 v27, v19
	s_mov_b32 s18, s20
	v_mov_b32_e32 v26, v18
	v_mov_b32_e32 v25, v17
	;; [unrolled: 1-line block ×7, first 2 shown]
.LBB634_201:                            ;   in Loop: Header=BB634_188 Depth=2
	s_waitcnt vmcnt(0)
	v_mov_b32_e32 v12, v20
	v_mov_b32_e32 v13, v21
	;; [unrolled: 1-line block ×8, first 2 shown]
	v_cmp_gt_u32_e32 vcc, s18, v0
	s_and_saveexec_b64 s[16:17], vcc
	s_cbranch_execnz .LBB634_209
; %bb.202:                              ;   in Loop: Header=BB634_188 Depth=2
	s_or_b64 exec, exec, s[16:17]
	v_cmp_gt_u32_e32 vcc, s18, v33
	s_and_saveexec_b64 s[16:17], vcc
	s_cbranch_execnz .LBB634_210
.LBB634_203:                            ;   in Loop: Header=BB634_188 Depth=2
	s_or_b64 exec, exec, s[16:17]
	v_cmp_gt_u32_e32 vcc, s18, v34
	s_and_saveexec_b64 s[16:17], vcc
	s_cbranch_execnz .LBB634_211
.LBB634_204:                            ;   in Loop: Header=BB634_188 Depth=2
	s_or_b64 exec, exec, s[16:17]
	v_cmp_gt_u32_e32 vcc, s18, v35
	s_and_saveexec_b64 s[16:17], vcc
	s_cbranch_execnz .LBB634_212
.LBB634_205:                            ;   in Loop: Header=BB634_188 Depth=2
	s_or_b64 exec, exec, s[16:17]
	v_cmp_gt_u32_e32 vcc, s18, v38
	s_and_saveexec_b64 s[16:17], vcc
	s_cbranch_execnz .LBB634_213
.LBB634_206:                            ;   in Loop: Header=BB634_188 Depth=2
	s_or_b64 exec, exec, s[16:17]
	v_cmp_gt_u32_e32 vcc, s18, v39
	s_and_saveexec_b64 s[16:17], vcc
	s_cbranch_execnz .LBB634_214
.LBB634_207:                            ;   in Loop: Header=BB634_188 Depth=2
	s_or_b64 exec, exec, s[16:17]
	v_cmp_gt_u32_e32 vcc, s18, v40
	s_and_saveexec_b64 s[16:17], vcc
	s_cbranch_execnz .LBB634_215
.LBB634_208:                            ;   in Loop: Header=BB634_188 Depth=2
	s_or_b64 exec, exec, s[16:17]
	v_cmp_gt_u32_e32 vcc, s18, v41
	s_and_saveexec_b64 s[16:17], vcc
	s_cbranch_execz .LBB634_187
	s_branch .LBB634_216
.LBB634_209:                            ;   in Loop: Header=BB634_188 Depth=2
	v_xor_b32_e32 v4, 0x80000000, v12
	v_lshrrev_b32_e32 v4, s62, v4
	v_and_b32_e32 v4, s70, v4
	v_lshl_or_b32 v4, v4, 4, v42
	ds_add_u32 v4, v66
	s_or_b64 exec, exec, s[16:17]
	v_cmp_gt_u32_e32 vcc, s18, v33
	s_and_saveexec_b64 s[16:17], vcc
	s_cbranch_execz .LBB634_203
.LBB634_210:                            ;   in Loop: Header=BB634_188 Depth=2
	v_xor_b32_e32 v4, 0x80000000, v13
	v_lshrrev_b32_e32 v4, s62, v4
	v_and_b32_e32 v4, s70, v4
	v_lshl_or_b32 v4, v4, 4, v42
	ds_add_u32 v4, v66
	s_or_b64 exec, exec, s[16:17]
	v_cmp_gt_u32_e32 vcc, s18, v34
	s_and_saveexec_b64 s[16:17], vcc
	s_cbranch_execz .LBB634_204
.LBB634_211:                            ;   in Loop: Header=BB634_188 Depth=2
	v_xor_b32_e32 v4, 0x80000000, v14
	v_lshrrev_b32_e32 v4, s62, v4
	v_and_b32_e32 v4, s70, v4
	v_lshl_or_b32 v4, v4, 4, v42
	ds_add_u32 v4, v66
	s_or_b64 exec, exec, s[16:17]
	v_cmp_gt_u32_e32 vcc, s18, v35
	s_and_saveexec_b64 s[16:17], vcc
	s_cbranch_execz .LBB634_205
.LBB634_212:                            ;   in Loop: Header=BB634_188 Depth=2
	v_xor_b32_e32 v4, 0x80000000, v15
	v_lshrrev_b32_e32 v4, s62, v4
	v_and_b32_e32 v4, s70, v4
	v_lshl_or_b32 v4, v4, 4, v42
	ds_add_u32 v4, v66
	s_or_b64 exec, exec, s[16:17]
	v_cmp_gt_u32_e32 vcc, s18, v38
	s_and_saveexec_b64 s[16:17], vcc
	s_cbranch_execz .LBB634_206
.LBB634_213:                            ;   in Loop: Header=BB634_188 Depth=2
	v_xor_b32_e32 v4, 0x80000000, v16
	v_lshrrev_b32_e32 v4, s62, v4
	v_and_b32_e32 v4, s70, v4
	v_lshl_or_b32 v4, v4, 4, v42
	ds_add_u32 v4, v66
	s_or_b64 exec, exec, s[16:17]
	v_cmp_gt_u32_e32 vcc, s18, v39
	s_and_saveexec_b64 s[16:17], vcc
	s_cbranch_execz .LBB634_207
.LBB634_214:                            ;   in Loop: Header=BB634_188 Depth=2
	v_xor_b32_e32 v4, 0x80000000, v17
	v_lshrrev_b32_e32 v4, s62, v4
	v_and_b32_e32 v4, s70, v4
	v_lshl_or_b32 v4, v4, 4, v42
	ds_add_u32 v4, v66
	s_or_b64 exec, exec, s[16:17]
	v_cmp_gt_u32_e32 vcc, s18, v40
	s_and_saveexec_b64 s[16:17], vcc
	s_cbranch_execz .LBB634_208
.LBB634_215:                            ;   in Loop: Header=BB634_188 Depth=2
	v_xor_b32_e32 v4, 0x80000000, v18
	v_lshrrev_b32_e32 v4, s62, v4
	v_and_b32_e32 v4, s70, v4
	v_lshl_or_b32 v4, v4, 4, v42
	ds_add_u32 v4, v66
	s_or_b64 exec, exec, s[16:17]
	v_cmp_gt_u32_e32 vcc, s18, v41
	s_and_saveexec_b64 s[16:17], vcc
	s_cbranch_execz .LBB634_187
.LBB634_216:                            ;   in Loop: Header=BB634_188 Depth=2
	v_xor_b32_e32 v4, 0x80000000, v19
	v_lshrrev_b32_e32 v4, s62, v4
	v_and_b32_e32 v4, s70, v4
	v_lshl_or_b32 v4, v4, 4, v42
	ds_add_u32 v4, v66
	s_branch .LBB634_187
.LBB634_217:                            ;   in Loop: Header=BB634_188 Depth=2
	global_load_dword v12, v67, s[16:17]
	s_or_b64 exec, exec, s[18:19]
	v_cmp_gt_u32_e32 vcc, s20, v33
	s_and_saveexec_b64 s[18:19], vcc
	s_cbranch_execz .LBB634_193
.LBB634_218:                            ;   in Loop: Header=BB634_188 Depth=2
	global_load_dword v13, v67, s[16:17] offset:1024
	s_or_b64 exec, exec, s[18:19]
	v_cmp_gt_u32_e32 vcc, s20, v34
	s_and_saveexec_b64 s[18:19], vcc
	s_cbranch_execz .LBB634_194
.LBB634_219:                            ;   in Loop: Header=BB634_188 Depth=2
	global_load_dword v14, v67, s[16:17] offset:2048
	s_or_b64 exec, exec, s[18:19]
	v_cmp_gt_u32_e32 vcc, s20, v35
	s_and_saveexec_b64 s[18:19], vcc
	s_cbranch_execz .LBB634_195
.LBB634_220:                            ;   in Loop: Header=BB634_188 Depth=2
	global_load_dword v15, v67, s[16:17] offset:3072
	s_or_b64 exec, exec, s[18:19]
	v_cmp_gt_u32_e32 vcc, s20, v38
	s_and_saveexec_b64 s[18:19], vcc
	s_cbranch_execz .LBB634_196
.LBB634_221:                            ;   in Loop: Header=BB634_188 Depth=2
	global_load_dword v16, v68, s[16:17]
	s_or_b64 exec, exec, s[18:19]
	v_cmp_gt_u32_e32 vcc, s20, v39
	s_and_saveexec_b64 s[18:19], vcc
	s_cbranch_execz .LBB634_197
.LBB634_222:                            ;   in Loop: Header=BB634_188 Depth=2
	global_load_dword v17, v69, s[16:17]
	s_or_b64 exec, exec, s[18:19]
	v_cmp_gt_u32_e32 vcc, s20, v40
	s_and_saveexec_b64 s[18:19], vcc
	s_cbranch_execz .LBB634_198
.LBB634_223:                            ;   in Loop: Header=BB634_188 Depth=2
	global_load_dword v18, v70, s[16:17]
	s_or_b64 exec, exec, s[18:19]
	v_cmp_gt_u32_e32 vcc, s20, v41
	s_and_saveexec_b64 s[18:19], vcc
	s_cbranch_execnz .LBB634_199
	s_branch .LBB634_200
.LBB634_224:                            ;   in Loop: Header=BB634_20 Depth=1
	v_mov_b32_e32 v4, 0
	s_waitcnt lgkmcnt(0)
	s_barrier
	s_and_saveexec_b64 s[16:17], s[4:5]
	s_cbranch_execz .LBB634_226
; %bb.225:                              ;   in Loop: Header=BB634_20 Depth=1
	ds_read2_b64 v[4:7], v43 offset1:1
	s_waitcnt lgkmcnt(0)
	v_add_u32_e32 v4, v5, v4
	v_add3_u32 v4, v4, v6, v7
.LBB634_226:                            ;   in Loop: Header=BB634_20 Depth=1
	s_or_b64 exec, exec, s[16:17]
	s_nop 0
	v_mov_b32_dpp v5, v4 row_shr:1 row_mask:0xf bank_mask:0xf
	v_cmp_eq_u32_e64 s[16:17], 0, v73
	v_cndmask_b32_e64 v5, v5, 0, s[16:17]
	v_add_u32_e32 v4, v5, v4
	v_cmp_lt_u32_e64 s[18:19], 1, v73
	v_cmp_lt_u32_e64 s[20:21], 3, v73
	v_mov_b32_dpp v5, v4 row_shr:2 row_mask:0xf bank_mask:0xf
	v_cndmask_b32_e64 v5, 0, v5, s[18:19]
	v_add_u32_e32 v4, v4, v5
	v_cmp_lt_u32_e64 s[22:23], 7, v73
	v_cmp_lt_u32_e64 s[26:27], 31, v72
	v_mov_b32_dpp v5, v4 row_shr:4 row_mask:0xf bank_mask:0xf
	v_cndmask_b32_e64 v5, 0, v5, s[20:21]
	v_add_u32_e32 v4, v4, v5
	v_cmp_eq_u32_e64 s[24:25], 0, v75
	s_nop 0
	v_mov_b32_dpp v5, v4 row_shr:8 row_mask:0xf bank_mask:0xf
	v_cndmask_b32_e64 v5, 0, v5, s[22:23]
	v_add_u32_e32 v4, v4, v5
	s_nop 1
	v_mov_b32_dpp v5, v4 row_bcast:15 row_mask:0xf bank_mask:0xf
	v_and_b32_e32 v5, v74, v5
	v_add_u32_e32 v4, v4, v5
	s_nop 1
	v_mov_b32_dpp v5, v4 row_bcast:31 row_mask:0xf bank_mask:0xf
	v_cndmask_b32_e64 v5, 0, v5, s[26:27]
	v_add_u32_e32 v4, v4, v5
	s_and_saveexec_b64 s[28:29], s[6:7]
; %bb.227:                              ;   in Loop: Header=BB634_20 Depth=1
	ds_write_b32 v45, v4
; %bb.228:                              ;   in Loop: Header=BB634_20 Depth=1
	s_or_b64 exec, exec, s[28:29]
	s_waitcnt lgkmcnt(0)
	s_barrier
	s_and_saveexec_b64 s[28:29], s[8:9]
	s_cbranch_execz .LBB634_230
; %bb.229:                              ;   in Loop: Header=BB634_20 Depth=1
	ds_read_b32 v5, v46
	v_cmp_ne_u32_e32 vcc, 0, v76
	s_waitcnt lgkmcnt(0)
	v_mov_b32_dpp v6, v5 row_shr:1 row_mask:0xf bank_mask:0xf
	v_cndmask_b32_e32 v6, 0, v6, vcc
	v_add_u32_e32 v5, v6, v5
	v_cmp_lt_u32_e32 vcc, 1, v76
	s_nop 0
	v_mov_b32_dpp v6, v5 row_shr:2 row_mask:0xf bank_mask:0xf
	v_cndmask_b32_e32 v6, 0, v6, vcc
	v_add_u32_e32 v5, v5, v6
	ds_write_b32 v46, v5
.LBB634_230:                            ;   in Loop: Header=BB634_20 Depth=1
	s_or_b64 exec, exec, s[28:29]
	v_mov_b32_e32 v5, 0
	s_waitcnt lgkmcnt(0)
	s_barrier
	s_and_saveexec_b64 s[28:29], s[10:11]
; %bb.231:                              ;   in Loop: Header=BB634_20 Depth=1
	ds_read_b32 v5, v47
; %bb.232:                              ;   in Loop: Header=BB634_20 Depth=1
	s_or_b64 exec, exec, s[28:29]
	v_subrev_co_u32_e64 v6, s[28:29], 1, v72
	v_cmp_lt_i32_e32 vcc, v6, v77
	v_cndmask_b32_e32 v6, v6, v72, vcc
	s_waitcnt lgkmcnt(0)
	v_add_u32_e32 v4, v5, v4
	v_lshlrev_b32_e32 v84, 2, v6
	ds_bpermute_b32 v4, v84, v4
	s_waitcnt lgkmcnt(0)
	s_barrier
	s_and_saveexec_b64 s[30:31], s[4:5]
; %bb.233:                              ;   in Loop: Header=BB634_20 Depth=1
	v_cndmask_b32_e64 v4, v4, v5, s[28:29]
	v_add_u32_e32 v4, s51, v4
	ds_write_b32 v32, v4
; %bb.234:                              ;   in Loop: Header=BB634_20 Depth=1
	s_or_b64 exec, exec, s[30:31]
	s_load_dwordx2 s[30:31], s[56:57], 0x0
	v_add_co_u32_e32 v85, vcc, v56, v79
	v_addc_co_u32_e32 v86, vcc, 0, v57, vcc
	s_waitcnt lgkmcnt(0)
	s_cmp_lt_u32 s33, s31
	s_cselect_b32 s31, 14, 20
	s_add_u32 s34, s56, s31
	s_addc_u32 s35, s57, 0
	s_cmp_lt_u32 s50, s30
	s_cselect_b32 s30, 12, 18
	s_add_u32 s30, s56, s30
	global_load_ushort v4, v3, s[34:35]
	s_addc_u32 s31, s57, 0
	global_load_ushort v12, v3, s[30:31]
	v_lshlrev_b32_e32 v14, 2, v78
	v_add_co_u32_e32 v98, vcc, v58, v14
	v_cmp_eq_u32_e64 s[30:31], 0, v76
	v_cmp_lt_u32_e64 s[34:35], 1, v76
	v_or_b32_e32 v87, 0x100, v80
	v_or_b32_e32 v88, 0x140, v80
	;; [unrolled: 1-line block ×4, first 2 shown]
	s_mov_b32 s71, s79
	v_addc_co_u32_e32 v100, vcc, 0, v59, vcc
	s_mov_b32 s58, s51
                                        ; implicit-def: $vgpr5_vgpr6
                                        ; implicit-def: $vgpr7_vgpr8
                                        ; implicit-def: $vgpr9_vgpr10
                                        ; implicit-def: $vgpr20_vgpr21
                                        ; implicit-def: $vgpr22_vgpr23
                                        ; implicit-def: $vgpr24_vgpr25
                                        ; implicit-def: $vgpr26_vgpr27
                                        ; implicit-def: $vgpr28_vgpr29
                                        ; implicit-def: $vgpr91
                                        ; implicit-def: $vgpr92
                                        ; implicit-def: $vgpr93
                                        ; implicit-def: $vgpr94
                                        ; implicit-def: $vgpr95
                                        ; implicit-def: $vgpr96
                                        ; implicit-def: $vgpr97
                                        ; implicit-def: $vgpr99
	s_waitcnt vmcnt(1)
	v_mad_u32_u24 v4, v2, v4, v1
	s_waitcnt vmcnt(0)
	v_mad_u64_u32 v[12:13], s[36:37], v4, v12, v[0:1]
	v_lshrrev_b32_e32 v4, 4, v12
	v_and_b32_e32 v101, 0xffffffc, v4
	s_branch .LBB634_236
.LBB634_235:                            ;   in Loop: Header=BB634_236 Depth=2
	s_or_b64 exec, exec, s[36:37]
	s_addk_i32 s71, 0xf800
	s_cmp_lt_u32 s76, s63
	s_mov_b32 s58, s76
	s_cbranch_scc0 .LBB634_348
.LBB634_236:                            ;   Parent Loop BB634_20 Depth=1
                                        ; =>  This Inner Loop Header: Depth=2
	s_add_i32 s76, s58, 0x800
	s_cmp_gt_u32 s76, s63
	s_cbranch_scc1 .LBB634_238
; %bb.237:                              ;   in Loop: Header=BB634_236 Depth=2
	s_lshl_b64 s[36:37], s[58:59], 2
	v_mov_b32_e32 v4, s37
	v_add_co_u32_e32 v18, vcc, s36, v98
	v_addc_co_u32_e32 v19, vcc, v100, v4, vcc
	global_load_dword v12, v[18:19], off
	global_load_dword v13, v[18:19], off offset:256
	global_load_dword v14, v[18:19], off offset:512
	;; [unrolled: 1-line block ×5, first 2 shown]
	s_nop 0
	global_load_dword v18, v[18:19], off offset:1536
	s_mov_b64 s[36:37], -1
	s_movk_i32 s40, 0x800
	s_cbranch_execz .LBB634_239
	s_branch .LBB634_248
.LBB634_238:                            ;   in Loop: Header=BB634_236 Depth=2
	s_mov_b64 s[36:37], 0
                                        ; implicit-def: $vgpr12_vgpr13_vgpr14_vgpr15_vgpr16_vgpr17_vgpr18_vgpr19
	s_movk_i32 s40, 0x800
.LBB634_239:                            ;   in Loop: Header=BB634_236 Depth=2
	s_lshl_b64 s[36:37], s[58:59], 2
	v_mov_b32_e32 v4, s37
	v_add_co_u32_e32 v30, vcc, s36, v98
	s_waitcnt vmcnt(6)
	v_mov_b32_e32 v12, v11
	s_waitcnt vmcnt(5)
	v_mov_b32_e32 v13, v11
	;; [unrolled: 2-line block ×7, first 2 shown]
	v_addc_co_u32_e32 v31, vcc, v100, v4, vcc
	v_mov_b32_e32 v19, v18
	v_cmp_gt_u32_e32 vcc, s71, v80
	v_mov_b32_e32 v18, v17
	v_mov_b32_e32 v17, v16
	;; [unrolled: 1-line block ×7, first 2 shown]
	s_and_saveexec_b64 s[36:37], vcc
	s_cbranch_execnz .LBB634_342
; %bb.240:                              ;   in Loop: Header=BB634_236 Depth=2
	s_or_b64 exec, exec, s[36:37]
	v_cmp_gt_u32_e32 vcc, s71, v81
	s_and_saveexec_b64 s[36:37], vcc
	s_cbranch_execnz .LBB634_343
.LBB634_241:                            ;   in Loop: Header=BB634_236 Depth=2
	s_or_b64 exec, exec, s[36:37]
	v_cmp_gt_u32_e32 vcc, s71, v82
	s_and_saveexec_b64 s[36:37], vcc
	s_cbranch_execnz .LBB634_344
.LBB634_242:                            ;   in Loop: Header=BB634_236 Depth=2
	s_or_b64 exec, exec, s[36:37]
	v_cmp_gt_u32_e32 vcc, s71, v83
	s_and_saveexec_b64 s[36:37], vcc
	s_cbranch_execnz .LBB634_345
.LBB634_243:                            ;   in Loop: Header=BB634_236 Depth=2
	s_or_b64 exec, exec, s[36:37]
	v_cmp_gt_u32_e32 vcc, s71, v87
	s_and_saveexec_b64 s[36:37], vcc
	s_cbranch_execnz .LBB634_346
.LBB634_244:                            ;   in Loop: Header=BB634_236 Depth=2
	s_or_b64 exec, exec, s[36:37]
	v_cmp_gt_u32_e32 vcc, s71, v88
	s_and_saveexec_b64 s[36:37], vcc
	s_cbranch_execnz .LBB634_347
.LBB634_245:                            ;   in Loop: Header=BB634_236 Depth=2
	s_or_b64 exec, exec, s[36:37]
	v_cmp_gt_u32_e32 vcc, s71, v89
	s_and_saveexec_b64 s[36:37], vcc
	s_cbranch_execz .LBB634_247
.LBB634_246:                            ;   in Loop: Header=BB634_236 Depth=2
	global_load_dword v18, v[30:31], off offset:1536
.LBB634_247:                            ;   in Loop: Header=BB634_236 Depth=2
	s_or_b64 exec, exec, s[36:37]
	s_sub_i32 s40, s63, s58
	v_cmp_gt_u32_e64 s[36:37], s71, v90
.LBB634_248:                            ;   in Loop: Header=BB634_236 Depth=2
	v_mov_b32_e32 v102, s71
	s_and_saveexec_b64 s[38:39], s[36:37]
	s_cbranch_execz .LBB634_250
; %bb.249:                              ;   in Loop: Header=BB634_236 Depth=2
	s_lshl_b64 s[36:37], s[58:59], 2
	v_mov_b32_e32 v4, s37
	v_add_co_u32_e32 v30, vcc, s36, v98
	v_addc_co_u32_e32 v31, vcc, v100, v4, vcc
	global_load_dword v19, v[30:31], off offset:1792
	v_mov_b32_e32 v102, s40
.LBB634_250:                            ;   in Loop: Header=BB634_236 Depth=2
	s_or_b64 exec, exec, s[38:39]
	s_waitcnt vmcnt(0)
	v_xor_b32_e32 v103, 0x80000000, v12
	v_lshrrev_b32_e32 v4, s62, v103
	v_and_b32_e32 v12, s70, v4
	v_and_b32_e32 v4, 1, v12
	v_add_co_u32_e32 v30, vcc, -1, v4
	v_addc_co_u32_e64 v31, s[36:37], 0, -1, vcc
	v_cmp_ne_u32_e32 vcc, 0, v4
	v_xor_b32_e32 v4, vcc_hi, v31
	v_and_b32_e32 v31, exec_hi, v4
	v_lshlrev_b32_e32 v4, 30, v12
	v_xor_b32_e32 v30, vcc_lo, v30
	v_cmp_gt_i64_e32 vcc, 0, v[3:4]
	v_not_b32_e32 v4, v4
	v_ashrrev_i32_e32 v4, 31, v4
	v_and_b32_e32 v30, exec_lo, v30
	v_xor_b32_e32 v106, vcc_hi, v4
	v_xor_b32_e32 v4, vcc_lo, v4
	v_and_b32_e32 v30, v30, v4
	v_lshlrev_b32_e32 v4, 29, v12
	v_cmp_gt_i64_e32 vcc, 0, v[3:4]
	v_not_b32_e32 v4, v4
	v_ashrrev_i32_e32 v4, 31, v4
	v_and_b32_e32 v31, v31, v106
	v_xor_b32_e32 v106, vcc_hi, v4
	v_xor_b32_e32 v4, vcc_lo, v4
	v_and_b32_e32 v30, v30, v4
	v_lshlrev_b32_e32 v4, 28, v12
	v_cmp_gt_i64_e32 vcc, 0, v[3:4]
	v_not_b32_e32 v4, v4
	v_ashrrev_i32_e32 v4, 31, v4
	v_and_b32_e32 v31, v31, v106
	;; [unrolled: 8-line block ×5, first 2 shown]
	v_xor_b32_e32 v106, vcc_hi, v4
	v_xor_b32_e32 v4, vcc_lo, v4
	v_and_b32_e32 v30, v30, v4
	v_lshlrev_b32_e32 v4, 24, v12
	v_cmp_gt_i64_e32 vcc, 0, v[3:4]
	v_not_b32_e32 v4, v4
	v_ashrrev_i32_e32 v4, 31, v4
	v_mul_u32_u24_e32 v107, 20, v12
	v_xor_b32_e32 v12, vcc_hi, v4
	v_xor_b32_e32 v4, vcc_lo, v4
	v_and_b32_e32 v31, v31, v106
	v_and_b32_e32 v30, v30, v4
	;; [unrolled: 1-line block ×3, first 2 shown]
	v_mbcnt_lo_u32_b32 v4, v30, 0
	v_mbcnt_hi_u32_b32 v106, v31, v4
	v_cmp_ne_u64_e32 vcc, 0, v[30:31]
	v_cmp_eq_u32_e64 s[36:37], 0, v106
	v_add_u32_e32 v105, 0x410, v48
	v_add_u32_e32 v104, 0x418, v48
	s_and_b64 s[38:39], vcc, s[36:37]
	v_add_u32_e32 v107, v101, v107
	ds_write2_b32 v105, v3, v3 offset1:1
	ds_write2_b32 v104, v3, v3 offset1:1
	ds_write_b32 v48, v3 offset:1056
	s_waitcnt lgkmcnt(0)
	s_barrier
	; wave barrier
	s_and_saveexec_b64 s[36:37], s[38:39]
; %bb.251:                              ;   in Loop: Header=BB634_236 Depth=2
	v_bcnt_u32_b32 v4, v30, 0
	v_bcnt_u32_b32 v4, v31, v4
	ds_write_b32 v107, v4 offset:1040
; %bb.252:                              ;   in Loop: Header=BB634_236 Depth=2
	s_or_b64 exec, exec, s[36:37]
	v_xor_b32_e32 v30, 0x80000000, v13
	v_lshrrev_b32_e32 v4, s62, v30
	v_and_b32_e32 v12, s70, v4
	v_mad_u32_u24 v4, v12, 20, v101
	; wave barrier
	ds_read_b32 v31, v4 offset:1040
	v_and_b32_e32 v4, 1, v12
	v_add_co_u32_e32 v13, vcc, -1, v4
	v_addc_co_u32_e64 v108, s[36:37], 0, -1, vcc
	v_cmp_ne_u32_e32 vcc, 0, v4
	v_xor_b32_e32 v4, vcc_hi, v108
	v_and_b32_e32 v108, exec_hi, v4
	v_lshlrev_b32_e32 v4, 30, v12
	v_xor_b32_e32 v13, vcc_lo, v13
	v_cmp_gt_i64_e32 vcc, 0, v[3:4]
	v_not_b32_e32 v4, v4
	v_ashrrev_i32_e32 v4, 31, v4
	v_and_b32_e32 v13, exec_lo, v13
	v_xor_b32_e32 v110, vcc_hi, v4
	v_xor_b32_e32 v4, vcc_lo, v4
	v_and_b32_e32 v13, v13, v4
	v_lshlrev_b32_e32 v4, 29, v12
	v_cmp_gt_i64_e32 vcc, 0, v[3:4]
	v_not_b32_e32 v4, v4
	v_ashrrev_i32_e32 v4, 31, v4
	v_and_b32_e32 v108, v108, v110
	v_xor_b32_e32 v110, vcc_hi, v4
	v_xor_b32_e32 v4, vcc_lo, v4
	v_and_b32_e32 v13, v13, v4
	v_lshlrev_b32_e32 v4, 28, v12
	v_cmp_gt_i64_e32 vcc, 0, v[3:4]
	v_not_b32_e32 v4, v4
	v_ashrrev_i32_e32 v4, 31, v4
	v_and_b32_e32 v108, v108, v110
	;; [unrolled: 8-line block ×5, first 2 shown]
	v_xor_b32_e32 v110, vcc_hi, v4
	v_xor_b32_e32 v4, vcc_lo, v4
	v_and_b32_e32 v108, v108, v110
	v_and_b32_e32 v110, v13, v4
	v_lshlrev_b32_e32 v4, 24, v12
	v_cmp_gt_i64_e32 vcc, 0, v[3:4]
	v_not_b32_e32 v4, v4
	v_ashrrev_i32_e32 v4, 31, v4
	v_mul_u32_u24_e32 v109, 20, v12
	v_xor_b32_e32 v12, vcc_hi, v4
	v_xor_b32_e32 v4, vcc_lo, v4
	v_and_b32_e32 v13, v108, v12
	v_and_b32_e32 v12, v110, v4
	v_mbcnt_lo_u32_b32 v4, v12, 0
	v_mbcnt_hi_u32_b32 v108, v13, v4
	v_cmp_ne_u64_e32 vcc, 0, v[12:13]
	v_cmp_eq_u32_e64 s[36:37], 0, v108
	s_and_b64 s[38:39], vcc, s[36:37]
	v_add_u32_e32 v111, v101, v109
	; wave barrier
	s_and_saveexec_b64 s[36:37], s[38:39]
	s_cbranch_execz .LBB634_254
; %bb.253:                              ;   in Loop: Header=BB634_236 Depth=2
	v_bcnt_u32_b32 v4, v12, 0
	v_bcnt_u32_b32 v4, v13, v4
	s_waitcnt lgkmcnt(0)
	v_add_u32_e32 v4, v31, v4
	ds_write_b32 v111, v4 offset:1040
.LBB634_254:                            ;   in Loop: Header=BB634_236 Depth=2
	s_or_b64 exec, exec, s[36:37]
	v_xor_b32_e32 v109, 0x80000000, v14
	v_lshrrev_b32_e32 v4, s62, v109
	v_and_b32_e32 v12, s70, v4
	v_mad_u32_u24 v4, v12, 20, v101
	; wave barrier
	ds_read_b32 v110, v4 offset:1040
	v_and_b32_e32 v4, 1, v12
	v_add_co_u32_e32 v13, vcc, -1, v4
	v_addc_co_u32_e64 v112, s[36:37], 0, -1, vcc
	v_cmp_ne_u32_e32 vcc, 0, v4
	v_xor_b32_e32 v4, vcc_hi, v112
	v_and_b32_e32 v112, exec_hi, v4
	v_lshlrev_b32_e32 v4, 30, v12
	v_xor_b32_e32 v13, vcc_lo, v13
	v_cmp_gt_i64_e32 vcc, 0, v[3:4]
	v_not_b32_e32 v4, v4
	v_ashrrev_i32_e32 v4, 31, v4
	v_and_b32_e32 v13, exec_lo, v13
	v_xor_b32_e32 v113, vcc_hi, v4
	v_xor_b32_e32 v4, vcc_lo, v4
	v_and_b32_e32 v13, v13, v4
	v_lshlrev_b32_e32 v4, 29, v12
	v_cmp_gt_i64_e32 vcc, 0, v[3:4]
	v_not_b32_e32 v4, v4
	v_ashrrev_i32_e32 v4, 31, v4
	v_and_b32_e32 v112, v112, v113
	v_xor_b32_e32 v113, vcc_hi, v4
	v_xor_b32_e32 v4, vcc_lo, v4
	v_and_b32_e32 v13, v13, v4
	v_lshlrev_b32_e32 v4, 28, v12
	v_cmp_gt_i64_e32 vcc, 0, v[3:4]
	v_not_b32_e32 v4, v4
	v_ashrrev_i32_e32 v4, 31, v4
	v_and_b32_e32 v112, v112, v113
	;; [unrolled: 8-line block ×5, first 2 shown]
	v_xor_b32_e32 v113, vcc_hi, v4
	v_xor_b32_e32 v4, vcc_lo, v4
	v_and_b32_e32 v112, v112, v113
	v_and_b32_e32 v113, v13, v4
	v_lshlrev_b32_e32 v4, 24, v12
	v_cmp_gt_i64_e32 vcc, 0, v[3:4]
	v_not_b32_e32 v4, v4
	v_ashrrev_i32_e32 v4, 31, v4
	v_mul_u32_u24_e32 v14, 20, v12
	v_xor_b32_e32 v12, vcc_hi, v4
	v_xor_b32_e32 v4, vcc_lo, v4
	v_and_b32_e32 v13, v112, v12
	v_and_b32_e32 v12, v113, v4
	v_mbcnt_lo_u32_b32 v4, v12, 0
	v_mbcnt_hi_u32_b32 v112, v13, v4
	v_cmp_ne_u64_e32 vcc, 0, v[12:13]
	v_cmp_eq_u32_e64 s[36:37], 0, v112
	s_and_b64 s[38:39], vcc, s[36:37]
	v_add_u32_e32 v115, v101, v14
	; wave barrier
	s_and_saveexec_b64 s[36:37], s[38:39]
	s_cbranch_execz .LBB634_256
; %bb.255:                              ;   in Loop: Header=BB634_236 Depth=2
	v_bcnt_u32_b32 v4, v12, 0
	v_bcnt_u32_b32 v4, v13, v4
	s_waitcnt lgkmcnt(0)
	v_add_u32_e32 v4, v110, v4
	ds_write_b32 v115, v4 offset:1040
.LBB634_256:                            ;   in Loop: Header=BB634_236 Depth=2
	s_or_b64 exec, exec, s[36:37]
	v_xor_b32_e32 v113, 0x80000000, v15
	v_lshrrev_b32_e32 v4, s62, v113
	v_and_b32_e32 v12, s70, v4
	v_mad_u32_u24 v4, v12, 20, v101
	; wave barrier
	ds_read_b32 v114, v4 offset:1040
	v_and_b32_e32 v4, 1, v12
	v_add_co_u32_e32 v13, vcc, -1, v4
	v_addc_co_u32_e64 v15, s[36:37], 0, -1, vcc
	v_cmp_ne_u32_e32 vcc, 0, v4
	v_xor_b32_e32 v4, vcc_hi, v15
	v_and_b32_e32 v15, exec_hi, v4
	v_lshlrev_b32_e32 v4, 30, v12
	v_xor_b32_e32 v13, vcc_lo, v13
	v_cmp_gt_i64_e32 vcc, 0, v[3:4]
	v_not_b32_e32 v4, v4
	v_ashrrev_i32_e32 v4, 31, v4
	v_and_b32_e32 v13, exec_lo, v13
	v_xor_b32_e32 v116, vcc_hi, v4
	v_xor_b32_e32 v4, vcc_lo, v4
	v_and_b32_e32 v13, v13, v4
	v_lshlrev_b32_e32 v4, 29, v12
	v_cmp_gt_i64_e32 vcc, 0, v[3:4]
	v_not_b32_e32 v4, v4
	v_ashrrev_i32_e32 v4, 31, v4
	v_and_b32_e32 v15, v15, v116
	v_xor_b32_e32 v116, vcc_hi, v4
	v_xor_b32_e32 v4, vcc_lo, v4
	v_and_b32_e32 v13, v13, v4
	v_lshlrev_b32_e32 v4, 28, v12
	v_cmp_gt_i64_e32 vcc, 0, v[3:4]
	v_not_b32_e32 v4, v4
	v_ashrrev_i32_e32 v4, 31, v4
	v_and_b32_e32 v15, v15, v116
	;; [unrolled: 8-line block ×5, first 2 shown]
	v_xor_b32_e32 v116, vcc_hi, v4
	v_xor_b32_e32 v4, vcc_lo, v4
	v_and_b32_e32 v15, v15, v116
	v_and_b32_e32 v116, v13, v4
	v_lshlrev_b32_e32 v4, 24, v12
	v_cmp_gt_i64_e32 vcc, 0, v[3:4]
	v_not_b32_e32 v4, v4
	v_ashrrev_i32_e32 v4, 31, v4
	v_mul_u32_u24_e32 v14, 20, v12
	v_xor_b32_e32 v12, vcc_hi, v4
	v_xor_b32_e32 v4, vcc_lo, v4
	v_and_b32_e32 v13, v15, v12
	v_and_b32_e32 v12, v116, v4
	v_mbcnt_lo_u32_b32 v4, v12, 0
	v_mbcnt_hi_u32_b32 v116, v13, v4
	v_cmp_ne_u64_e32 vcc, 0, v[12:13]
	v_cmp_eq_u32_e64 s[36:37], 0, v116
	s_and_b64 s[38:39], vcc, s[36:37]
	v_add_u32_e32 v118, v101, v14
	; wave barrier
	s_and_saveexec_b64 s[36:37], s[38:39]
	s_cbranch_execz .LBB634_258
; %bb.257:                              ;   in Loop: Header=BB634_236 Depth=2
	v_bcnt_u32_b32 v4, v12, 0
	v_bcnt_u32_b32 v4, v13, v4
	s_waitcnt lgkmcnt(0)
	v_add_u32_e32 v4, v114, v4
	ds_write_b32 v118, v4 offset:1040
.LBB634_258:                            ;   in Loop: Header=BB634_236 Depth=2
	s_or_b64 exec, exec, s[36:37]
	v_xor_b32_e32 v16, 0x80000000, v16
	v_lshrrev_b32_e32 v4, s62, v16
	v_and_b32_e32 v12, s70, v4
	v_mad_u32_u24 v4, v12, 20, v101
	; wave barrier
	ds_read_b32 v117, v4 offset:1040
	v_and_b32_e32 v4, 1, v12
	v_add_co_u32_e32 v13, vcc, -1, v4
	v_addc_co_u32_e64 v15, s[36:37], 0, -1, vcc
	v_cmp_ne_u32_e32 vcc, 0, v4
	v_xor_b32_e32 v4, vcc_hi, v15
	v_and_b32_e32 v15, exec_hi, v4
	v_lshlrev_b32_e32 v4, 30, v12
	v_xor_b32_e32 v13, vcc_lo, v13
	v_cmp_gt_i64_e32 vcc, 0, v[3:4]
	v_not_b32_e32 v4, v4
	v_ashrrev_i32_e32 v4, 31, v4
	v_and_b32_e32 v13, exec_lo, v13
	v_xor_b32_e32 v119, vcc_hi, v4
	v_xor_b32_e32 v4, vcc_lo, v4
	v_and_b32_e32 v13, v13, v4
	v_lshlrev_b32_e32 v4, 29, v12
	v_cmp_gt_i64_e32 vcc, 0, v[3:4]
	v_not_b32_e32 v4, v4
	v_ashrrev_i32_e32 v4, 31, v4
	v_and_b32_e32 v15, v15, v119
	v_xor_b32_e32 v119, vcc_hi, v4
	v_xor_b32_e32 v4, vcc_lo, v4
	v_and_b32_e32 v13, v13, v4
	v_lshlrev_b32_e32 v4, 28, v12
	v_cmp_gt_i64_e32 vcc, 0, v[3:4]
	v_not_b32_e32 v4, v4
	v_ashrrev_i32_e32 v4, 31, v4
	v_and_b32_e32 v15, v15, v119
	;; [unrolled: 8-line block ×5, first 2 shown]
	v_xor_b32_e32 v119, vcc_hi, v4
	v_xor_b32_e32 v4, vcc_lo, v4
	v_and_b32_e32 v15, v15, v119
	v_and_b32_e32 v119, v13, v4
	v_lshlrev_b32_e32 v4, 24, v12
	v_cmp_gt_i64_e32 vcc, 0, v[3:4]
	v_not_b32_e32 v4, v4
	v_ashrrev_i32_e32 v4, 31, v4
	v_mul_u32_u24_e32 v14, 20, v12
	v_xor_b32_e32 v12, vcc_hi, v4
	v_xor_b32_e32 v4, vcc_lo, v4
	v_and_b32_e32 v13, v15, v12
	v_and_b32_e32 v12, v119, v4
	v_mbcnt_lo_u32_b32 v4, v12, 0
	v_mbcnt_hi_u32_b32 v119, v13, v4
	v_cmp_ne_u64_e32 vcc, 0, v[12:13]
	v_cmp_eq_u32_e64 s[36:37], 0, v119
	s_and_b64 s[38:39], vcc, s[36:37]
	v_add_u32_e32 v121, v101, v14
	; wave barrier
	s_and_saveexec_b64 s[36:37], s[38:39]
	s_cbranch_execz .LBB634_260
; %bb.259:                              ;   in Loop: Header=BB634_236 Depth=2
	v_bcnt_u32_b32 v4, v12, 0
	v_bcnt_u32_b32 v4, v13, v4
	s_waitcnt lgkmcnt(0)
	v_add_u32_e32 v4, v117, v4
	ds_write_b32 v121, v4 offset:1040
.LBB634_260:                            ;   in Loop: Header=BB634_236 Depth=2
	s_or_b64 exec, exec, s[36:37]
	v_xor_b32_e32 v120, 0x80000000, v17
	v_lshrrev_b32_e32 v4, s62, v120
	v_and_b32_e32 v12, s70, v4
	v_mad_u32_u24 v4, v12, 20, v101
	; wave barrier
	ds_read_b32 v17, v4 offset:1040
	v_and_b32_e32 v4, 1, v12
	v_add_co_u32_e32 v13, vcc, -1, v4
	v_addc_co_u32_e64 v15, s[36:37], 0, -1, vcc
	v_cmp_ne_u32_e32 vcc, 0, v4
	v_xor_b32_e32 v4, vcc_hi, v15
	v_and_b32_e32 v15, exec_hi, v4
	v_lshlrev_b32_e32 v4, 30, v12
	v_xor_b32_e32 v13, vcc_lo, v13
	v_cmp_gt_i64_e32 vcc, 0, v[3:4]
	v_not_b32_e32 v4, v4
	v_ashrrev_i32_e32 v4, 31, v4
	v_and_b32_e32 v13, exec_lo, v13
	v_xor_b32_e32 v122, vcc_hi, v4
	v_xor_b32_e32 v4, vcc_lo, v4
	v_and_b32_e32 v13, v13, v4
	v_lshlrev_b32_e32 v4, 29, v12
	v_cmp_gt_i64_e32 vcc, 0, v[3:4]
	v_not_b32_e32 v4, v4
	v_ashrrev_i32_e32 v4, 31, v4
	v_and_b32_e32 v15, v15, v122
	v_xor_b32_e32 v122, vcc_hi, v4
	v_xor_b32_e32 v4, vcc_lo, v4
	v_and_b32_e32 v13, v13, v4
	v_lshlrev_b32_e32 v4, 28, v12
	v_cmp_gt_i64_e32 vcc, 0, v[3:4]
	v_not_b32_e32 v4, v4
	v_ashrrev_i32_e32 v4, 31, v4
	v_and_b32_e32 v15, v15, v122
	;; [unrolled: 8-line block ×5, first 2 shown]
	v_xor_b32_e32 v122, vcc_hi, v4
	v_xor_b32_e32 v4, vcc_lo, v4
	v_and_b32_e32 v15, v15, v122
	v_and_b32_e32 v122, v13, v4
	v_lshlrev_b32_e32 v4, 24, v12
	v_cmp_gt_i64_e32 vcc, 0, v[3:4]
	v_not_b32_e32 v4, v4
	v_ashrrev_i32_e32 v4, 31, v4
	v_mul_u32_u24_e32 v14, 20, v12
	v_xor_b32_e32 v12, vcc_hi, v4
	v_xor_b32_e32 v4, vcc_lo, v4
	v_and_b32_e32 v13, v15, v12
	v_and_b32_e32 v12, v122, v4
	v_mbcnt_lo_u32_b32 v4, v12, 0
	v_mbcnt_hi_u32_b32 v122, v13, v4
	v_cmp_ne_u64_e32 vcc, 0, v[12:13]
	v_cmp_eq_u32_e64 s[36:37], 0, v122
	s_and_b64 s[38:39], vcc, s[36:37]
	v_add_u32_e32 v125, v101, v14
	; wave barrier
	s_and_saveexec_b64 s[36:37], s[38:39]
	s_cbranch_execz .LBB634_262
; %bb.261:                              ;   in Loop: Header=BB634_236 Depth=2
	v_bcnt_u32_b32 v4, v12, 0
	v_bcnt_u32_b32 v4, v13, v4
	s_waitcnt lgkmcnt(0)
	v_add_u32_e32 v4, v17, v4
	ds_write_b32 v125, v4 offset:1040
.LBB634_262:                            ;   in Loop: Header=BB634_236 Depth=2
	s_or_b64 exec, exec, s[36:37]
	v_xor_b32_e32 v123, 0x80000000, v18
	v_lshrrev_b32_e32 v4, s62, v123
	v_and_b32_e32 v12, s70, v4
	v_mad_u32_u24 v4, v12, 20, v101
	; wave barrier
	ds_read_b32 v124, v4 offset:1040
	v_and_b32_e32 v4, 1, v12
	v_add_co_u32_e32 v13, vcc, -1, v4
	v_addc_co_u32_e64 v15, s[36:37], 0, -1, vcc
	v_cmp_ne_u32_e32 vcc, 0, v4
	v_xor_b32_e32 v4, vcc_hi, v15
	v_and_b32_e32 v15, exec_hi, v4
	v_lshlrev_b32_e32 v4, 30, v12
	v_xor_b32_e32 v13, vcc_lo, v13
	v_cmp_gt_i64_e32 vcc, 0, v[3:4]
	v_not_b32_e32 v4, v4
	v_ashrrev_i32_e32 v4, 31, v4
	v_and_b32_e32 v13, exec_lo, v13
	v_xor_b32_e32 v18, vcc_hi, v4
	v_xor_b32_e32 v4, vcc_lo, v4
	v_and_b32_e32 v13, v13, v4
	v_lshlrev_b32_e32 v4, 29, v12
	v_cmp_gt_i64_e32 vcc, 0, v[3:4]
	v_not_b32_e32 v4, v4
	v_ashrrev_i32_e32 v4, 31, v4
	v_and_b32_e32 v15, v15, v18
	v_xor_b32_e32 v18, vcc_hi, v4
	v_xor_b32_e32 v4, vcc_lo, v4
	v_and_b32_e32 v13, v13, v4
	v_lshlrev_b32_e32 v4, 28, v12
	v_cmp_gt_i64_e32 vcc, 0, v[3:4]
	v_not_b32_e32 v4, v4
	v_ashrrev_i32_e32 v4, 31, v4
	v_and_b32_e32 v15, v15, v18
	;; [unrolled: 8-line block ×5, first 2 shown]
	v_xor_b32_e32 v18, vcc_hi, v4
	v_xor_b32_e32 v4, vcc_lo, v4
	v_and_b32_e32 v15, v15, v18
	v_and_b32_e32 v18, v13, v4
	v_lshlrev_b32_e32 v4, 24, v12
	v_cmp_gt_i64_e32 vcc, 0, v[3:4]
	v_not_b32_e32 v4, v4
	v_ashrrev_i32_e32 v4, 31, v4
	v_mul_u32_u24_e32 v14, 20, v12
	v_xor_b32_e32 v12, vcc_hi, v4
	v_xor_b32_e32 v4, vcc_lo, v4
	v_and_b32_e32 v13, v15, v12
	v_and_b32_e32 v12, v18, v4
	v_mbcnt_lo_u32_b32 v4, v12, 0
	v_mbcnt_hi_u32_b32 v126, v13, v4
	v_cmp_ne_u64_e32 vcc, 0, v[12:13]
	v_cmp_eq_u32_e64 s[36:37], 0, v126
	s_and_b64 s[38:39], vcc, s[36:37]
	v_add_u32_e32 v18, v101, v14
	; wave barrier
	s_and_saveexec_b64 s[36:37], s[38:39]
	s_cbranch_execz .LBB634_264
; %bb.263:                              ;   in Loop: Header=BB634_236 Depth=2
	v_bcnt_u32_b32 v4, v12, 0
	v_bcnt_u32_b32 v4, v13, v4
	s_waitcnt lgkmcnt(0)
	v_add_u32_e32 v4, v124, v4
	ds_write_b32 v18, v4 offset:1040
.LBB634_264:                            ;   in Loop: Header=BB634_236 Depth=2
	s_or_b64 exec, exec, s[36:37]
	v_xor_b32_e32 v127, 0x80000000, v19
	v_lshrrev_b32_e32 v4, s62, v127
	v_and_b32_e32 v12, s70, v4
	v_mad_u32_u24 v4, v12, 20, v101
	; wave barrier
	ds_read_b32 v128, v4 offset:1040
	v_and_b32_e32 v4, 1, v12
	v_add_co_u32_e32 v13, vcc, -1, v4
	v_addc_co_u32_e64 v15, s[36:37], 0, -1, vcc
	v_cmp_ne_u32_e32 vcc, 0, v4
	v_xor_b32_e32 v4, vcc_hi, v15
	v_and_b32_e32 v15, exec_hi, v4
	v_lshlrev_b32_e32 v4, 30, v12
	v_xor_b32_e32 v13, vcc_lo, v13
	v_cmp_gt_i64_e32 vcc, 0, v[3:4]
	v_not_b32_e32 v4, v4
	v_ashrrev_i32_e32 v4, 31, v4
	v_and_b32_e32 v13, exec_lo, v13
	v_xor_b32_e32 v19, vcc_hi, v4
	v_xor_b32_e32 v4, vcc_lo, v4
	v_and_b32_e32 v13, v13, v4
	v_lshlrev_b32_e32 v4, 29, v12
	v_cmp_gt_i64_e32 vcc, 0, v[3:4]
	v_not_b32_e32 v4, v4
	v_ashrrev_i32_e32 v4, 31, v4
	v_and_b32_e32 v15, v15, v19
	v_xor_b32_e32 v19, vcc_hi, v4
	v_xor_b32_e32 v4, vcc_lo, v4
	v_and_b32_e32 v13, v13, v4
	v_lshlrev_b32_e32 v4, 28, v12
	v_cmp_gt_i64_e32 vcc, 0, v[3:4]
	v_not_b32_e32 v4, v4
	v_ashrrev_i32_e32 v4, 31, v4
	v_and_b32_e32 v15, v15, v19
	;; [unrolled: 8-line block ×5, first 2 shown]
	v_xor_b32_e32 v19, vcc_hi, v4
	v_xor_b32_e32 v4, vcc_lo, v4
	v_and_b32_e32 v15, v15, v19
	v_and_b32_e32 v19, v13, v4
	v_lshlrev_b32_e32 v4, 24, v12
	v_cmp_gt_i64_e32 vcc, 0, v[3:4]
	v_not_b32_e32 v4, v4
	v_ashrrev_i32_e32 v4, 31, v4
	v_mul_u32_u24_e32 v14, 20, v12
	v_xor_b32_e32 v12, vcc_hi, v4
	v_xor_b32_e32 v4, vcc_lo, v4
	v_and_b32_e32 v13, v15, v12
	v_and_b32_e32 v12, v19, v4
	v_mbcnt_lo_u32_b32 v4, v12, 0
	v_mbcnt_hi_u32_b32 v129, v13, v4
	v_cmp_ne_u64_e32 vcc, 0, v[12:13]
	v_cmp_eq_u32_e64 s[36:37], 0, v129
	s_and_b64 s[38:39], vcc, s[36:37]
	v_add_u32_e32 v4, v101, v14
	; wave barrier
	s_and_saveexec_b64 s[36:37], s[38:39]
	s_cbranch_execz .LBB634_266
; %bb.265:                              ;   in Loop: Header=BB634_236 Depth=2
	v_bcnt_u32_b32 v12, v12, 0
	v_bcnt_u32_b32 v12, v13, v12
	s_waitcnt lgkmcnt(0)
	v_add_u32_e32 v12, v128, v12
	ds_write_b32 v4, v12 offset:1040
.LBB634_266:                            ;   in Loop: Header=BB634_236 Depth=2
	s_or_b64 exec, exec, s[36:37]
	; wave barrier
	s_waitcnt lgkmcnt(0)
	s_barrier
	ds_read2_b32 v[14:15], v105 offset1:1
	ds_read2_b32 v[12:13], v104 offset1:1
	ds_read_b32 v19, v48 offset:1056
	s_waitcnt lgkmcnt(1)
	v_add3_u32 v130, v15, v14, v12
	s_waitcnt lgkmcnt(0)
	v_add3_u32 v19, v130, v13, v19
	s_nop 1
	v_mov_b32_dpp v130, v19 row_shr:1 row_mask:0xf bank_mask:0xf
	v_cndmask_b32_e64 v130, v130, 0, s[16:17]
	v_add_u32_e32 v19, v130, v19
	s_nop 1
	v_mov_b32_dpp v130, v19 row_shr:2 row_mask:0xf bank_mask:0xf
	v_cndmask_b32_e64 v130, 0, v130, s[18:19]
	v_add_u32_e32 v19, v19, v130
	;; [unrolled: 4-line block ×4, first 2 shown]
	s_nop 1
	v_mov_b32_dpp v130, v19 row_bcast:15 row_mask:0xf bank_mask:0xf
	v_cndmask_b32_e64 v130, v130, 0, s[24:25]
	v_add_u32_e32 v19, v19, v130
	s_nop 1
	v_mov_b32_dpp v130, v19 row_bcast:31 row_mask:0xf bank_mask:0xf
	v_cndmask_b32_e64 v130, 0, v130, s[26:27]
	v_add_u32_e32 v19, v19, v130
	s_and_saveexec_b64 s[36:37], s[6:7]
; %bb.267:                              ;   in Loop: Header=BB634_236 Depth=2
	ds_write_b32 v44, v19 offset:1024
; %bb.268:                              ;   in Loop: Header=BB634_236 Depth=2
	s_or_b64 exec, exec, s[36:37]
	s_waitcnt lgkmcnt(0)
	s_barrier
	s_and_saveexec_b64 s[36:37], s[8:9]
	s_cbranch_execz .LBB634_270
; %bb.269:                              ;   in Loop: Header=BB634_236 Depth=2
	ds_read_b32 v130, v49 offset:1024
	s_waitcnt lgkmcnt(0)
	s_nop 0
	v_mov_b32_dpp v131, v130 row_shr:1 row_mask:0xf bank_mask:0xf
	v_cndmask_b32_e64 v131, v131, 0, s[30:31]
	v_add_u32_e32 v130, v131, v130
	s_nop 1
	v_mov_b32_dpp v131, v130 row_shr:2 row_mask:0xf bank_mask:0xf
	v_cndmask_b32_e64 v131, 0, v131, s[34:35]
	v_add_u32_e32 v130, v130, v131
	ds_write_b32 v49, v130 offset:1024
.LBB634_270:                            ;   in Loop: Header=BB634_236 Depth=2
	s_or_b64 exec, exec, s[36:37]
	v_mov_b32_e32 v130, 0
	s_waitcnt lgkmcnt(0)
	s_barrier
	s_and_saveexec_b64 s[36:37], s[10:11]
; %bb.271:                              ;   in Loop: Header=BB634_236 Depth=2
	ds_read_b32 v130, v44 offset:1020
; %bb.272:                              ;   in Loop: Header=BB634_236 Depth=2
	s_or_b64 exec, exec, s[36:37]
	s_waitcnt lgkmcnt(0)
	v_add_u32_e32 v19, v130, v19
	ds_bpermute_b32 v19, v84, v19
	s_waitcnt lgkmcnt(0)
	v_cndmask_b32_e64 v19, v19, v130, s[28:29]
	v_cndmask_b32_e64 v19, v19, 0, s[12:13]
	v_add_u32_e32 v14, v19, v14
	v_add_u32_e32 v15, v14, v15
	;; [unrolled: 1-line block ×4, first 2 shown]
	ds_write2_b32 v105, v19, v14 offset1:1
	ds_write2_b32 v104, v15, v12 offset1:1
	ds_write_b32 v48, v13 offset:1056
	s_waitcnt lgkmcnt(0)
	s_barrier
	ds_read_b32 v12, v107 offset:1040
	ds_read_b32 v13, v111 offset:1040
	ds_read_b32 v14, v115 offset:1040
	ds_read_b32 v15, v118 offset:1040
	ds_read_b32 v107, v121 offset:1040
	ds_read_b32 v111, v125 offset:1040
	ds_read_b32 v115, v18 offset:1040
	ds_read_b32 v118, v4 offset:1040
	ds_read_b32 v18, v48 offset:1040
	v_mov_b32_e32 v4, 0x800
	s_and_saveexec_b64 s[36:37], s[14:15]
; %bb.273:                              ;   in Loop: Header=BB634_236 Depth=2
	ds_read_b32 v4, v48 offset:1060
; %bb.274:                              ;   in Loop: Header=BB634_236 Depth=2
	s_or_b64 exec, exec, s[36:37]
	s_waitcnt lgkmcnt(0)
	s_barrier
	s_and_saveexec_b64 s[36:37], s[4:5]
	s_cbranch_execz .LBB634_276
; %bb.275:                              ;   in Loop: Header=BB634_236 Depth=2
	ds_read_b32 v19, v32
	s_waitcnt lgkmcnt(0)
	v_sub_u32_e32 v18, v19, v18
	ds_write_b32 v32, v18
.LBB634_276:                            ;   in Loop: Header=BB634_236 Depth=2
	s_or_b64 exec, exec, s[36:37]
	v_add_u32_e32 v105, v12, v106
	v_add3_u32 v104, v108, v31, v13
	v_lshlrev_b32_e32 v12, 2, v105
	v_add3_u32 v31, v112, v110, v14
	ds_write_b32 v12, v103 offset:1024
	v_lshlrev_b32_e32 v12, 2, v104
	v_add3_u32 v19, v116, v114, v15
	ds_write_b32 v12, v30 offset:1024
	;; [unrolled: 3-line block ×6, first 2 shown]
	v_lshlrev_b32_e32 v12, 2, v15
	ds_write_b32 v12, v123 offset:1024
	v_lshlrev_b32_e32 v12, 2, v14
	v_cmp_lt_u32_e32 vcc, v0, v102
	ds_write_b32 v12, v127 offset:1024
	s_waitcnt lgkmcnt(0)
	s_barrier
	s_and_saveexec_b64 s[38:39], vcc
	s_cbranch_execnz .LBB634_313
; %bb.277:                              ;   in Loop: Header=BB634_236 Depth=2
	s_or_b64 exec, exec, s[38:39]
	v_cmp_lt_u32_e64 s[36:37], v33, v102
	s_and_saveexec_b64 s[40:41], s[36:37]
	s_cbranch_execnz .LBB634_314
.LBB634_278:                            ;   in Loop: Header=BB634_236 Depth=2
	s_or_b64 exec, exec, s[40:41]
	v_cmp_lt_u32_e64 s[38:39], v34, v102
	s_and_saveexec_b64 s[42:43], s[38:39]
	s_cbranch_execnz .LBB634_315
.LBB634_279:                            ;   in Loop: Header=BB634_236 Depth=2
	s_or_b64 exec, exec, s[42:43]
	v_cmp_lt_u32_e64 s[40:41], v35, v102
	s_and_saveexec_b64 s[44:45], s[40:41]
	s_cbranch_execnz .LBB634_316
.LBB634_280:                            ;   in Loop: Header=BB634_236 Depth=2
	s_or_b64 exec, exec, s[44:45]
	v_cmp_lt_u32_e64 s[42:43], v38, v102
	s_and_saveexec_b64 s[46:47], s[42:43]
	s_cbranch_execnz .LBB634_317
.LBB634_281:                            ;   in Loop: Header=BB634_236 Depth=2
	s_or_b64 exec, exec, s[46:47]
	v_cmp_lt_u32_e64 s[44:45], v39, v102
	s_and_saveexec_b64 s[48:49], s[44:45]
	s_cbranch_execnz .LBB634_318
.LBB634_282:                            ;   in Loop: Header=BB634_236 Depth=2
	s_or_b64 exec, exec, s[48:49]
	v_cmp_lt_u32_e64 s[46:47], v40, v102
	s_and_saveexec_b64 s[52:53], s[46:47]
	s_cbranch_execnz .LBB634_319
.LBB634_283:                            ;   in Loop: Header=BB634_236 Depth=2
	s_or_b64 exec, exec, s[52:53]
	v_cmp_lt_u32_e64 s[48:49], v41, v102
	s_and_saveexec_b64 s[60:61], s[48:49]
	s_cbranch_execz .LBB634_285
.LBB634_284:                            ;   in Loop: Header=BB634_236 Depth=2
	ds_read_b32 v12, v49 offset:8192
	v_mov_b32_e32 v30, s69
	s_waitcnt lgkmcnt(0)
	v_lshrrev_b32_e32 v13, s62, v12
	v_and_b32_e32 v13, s70, v13
	v_lshlrev_b32_e32 v13, 2, v13
	ds_read_b32 v16, v13
	v_mov_b32_e32 v13, v3
	v_xor_b32_e32 v103, 0x80000000, v12
	s_waitcnt lgkmcnt(0)
	v_add_u32_e32 v12, v16, v41
	v_lshlrev_b64 v[12:13], 2, v[12:13]
	v_add_co_u32_e64 v12, s[52:53], s68, v12
	v_addc_co_u32_e64 v13, s[52:53], v30, v13, s[52:53]
	global_store_dword v[12:13], v103, off
.LBB634_285:                            ;   in Loop: Header=BB634_236 Depth=2
	s_or_b64 exec, exec, s[60:61]
	s_lshl_b64 s[52:53], s[58:59], 3
	v_mov_b32_e32 v13, s53
	v_add_co_u32_e64 v12, s[52:53], s52, v85
	v_addc_co_u32_e64 v13, s[52:53], v86, v13, s[52:53]
	v_cmp_lt_u32_e64 s[52:53], v80, v102
	s_and_saveexec_b64 s[60:61], s[52:53]
	s_xor_b64 s[52:53], exec, s[60:61]
	s_cbranch_execnz .LBB634_320
; %bb.286:                              ;   in Loop: Header=BB634_236 Depth=2
	s_or_b64 exec, exec, s[52:53]
	v_cmp_lt_u32_e64 s[52:53], v81, v102
	s_and_saveexec_b64 s[60:61], s[52:53]
	s_cbranch_execnz .LBB634_321
.LBB634_287:                            ;   in Loop: Header=BB634_236 Depth=2
	s_or_b64 exec, exec, s[60:61]
	v_cmp_lt_u32_e64 s[52:53], v82, v102
	s_and_saveexec_b64 s[60:61], s[52:53]
	s_cbranch_execnz .LBB634_322
.LBB634_288:                            ;   in Loop: Header=BB634_236 Depth=2
	s_or_b64 exec, exec, s[60:61]
	v_cmp_lt_u32_e64 s[52:53], v83, v102
	s_and_saveexec_b64 s[60:61], s[52:53]
	s_cbranch_execnz .LBB634_323
.LBB634_289:                            ;   in Loop: Header=BB634_236 Depth=2
	s_or_b64 exec, exec, s[60:61]
	v_cmp_lt_u32_e64 s[52:53], v87, v102
	s_and_saveexec_b64 s[60:61], s[52:53]
	s_cbranch_execnz .LBB634_324
.LBB634_290:                            ;   in Loop: Header=BB634_236 Depth=2
	s_or_b64 exec, exec, s[60:61]
	v_cmp_lt_u32_e64 s[52:53], v88, v102
	s_and_saveexec_b64 s[60:61], s[52:53]
	s_cbranch_execnz .LBB634_325
.LBB634_291:                            ;   in Loop: Header=BB634_236 Depth=2
	s_or_b64 exec, exec, s[60:61]
	v_cmp_lt_u32_e64 s[52:53], v89, v102
	s_and_saveexec_b64 s[60:61], s[52:53]
	s_cbranch_execnz .LBB634_326
.LBB634_292:                            ;   in Loop: Header=BB634_236 Depth=2
	s_or_b64 exec, exec, s[60:61]
	v_cmp_lt_u32_e64 s[52:53], v90, v102
	s_and_saveexec_b64 s[60:61], s[52:53]
	s_cbranch_execnz .LBB634_327
.LBB634_293:                            ;   in Loop: Header=BB634_236 Depth=2
	s_or_b64 exec, exec, s[60:61]
	s_and_saveexec_b64 s[52:53], vcc
	s_cbranch_execnz .LBB634_328
.LBB634_294:                            ;   in Loop: Header=BB634_236 Depth=2
	s_or_b64 exec, exec, s[52:53]
	s_and_saveexec_b64 s[52:53], s[36:37]
	s_cbranch_execnz .LBB634_329
.LBB634_295:                            ;   in Loop: Header=BB634_236 Depth=2
	s_or_b64 exec, exec, s[52:53]
	s_and_saveexec_b64 s[52:53], s[38:39]
	s_cbranch_execnz .LBB634_330
.LBB634_296:                            ;   in Loop: Header=BB634_236 Depth=2
	s_or_b64 exec, exec, s[52:53]
	s_and_saveexec_b64 s[52:53], s[40:41]
	s_cbranch_execnz .LBB634_331
.LBB634_297:                            ;   in Loop: Header=BB634_236 Depth=2
	s_or_b64 exec, exec, s[52:53]
	s_and_saveexec_b64 s[52:53], s[42:43]
	s_cbranch_execnz .LBB634_332
.LBB634_298:                            ;   in Loop: Header=BB634_236 Depth=2
	s_or_b64 exec, exec, s[52:53]
	s_and_saveexec_b64 s[52:53], s[44:45]
	s_cbranch_execnz .LBB634_333
.LBB634_299:                            ;   in Loop: Header=BB634_236 Depth=2
	s_or_b64 exec, exec, s[52:53]
	s_and_saveexec_b64 s[52:53], s[46:47]
	s_cbranch_execnz .LBB634_334
.LBB634_300:                            ;   in Loop: Header=BB634_236 Depth=2
	s_or_b64 exec, exec, s[52:53]
	s_and_saveexec_b64 s[52:53], s[48:49]
	s_cbranch_execz .LBB634_302
.LBB634_301:                            ;   in Loop: Header=BB634_236 Depth=2
	ds_read_b32 v12, v49 offset:8192
	s_waitcnt lgkmcnt(0)
	v_lshrrev_b32_e32 v12, s62, v12
	v_and_b32_e32 v91, s70, v12
.LBB634_302:                            ;   in Loop: Header=BB634_236 Depth=2
	s_or_b64 exec, exec, s[52:53]
	v_lshlrev_b32_e32 v12, 3, v105
	s_waitcnt vmcnt(0)
	s_barrier
	ds_write_b64 v12, v[28:29] offset:1024
	v_lshlrev_b32_e32 v12, 3, v104
	ds_write_b64 v12, v[26:27] offset:1024
	v_lshlrev_b32_e32 v12, 3, v31
	;; [unrolled: 2-line block ×7, first 2 shown]
	ds_write_b64 v12, v[5:6] offset:1024
	s_waitcnt lgkmcnt(0)
	s_barrier
	s_and_saveexec_b64 s[52:53], vcc
	s_cbranch_execnz .LBB634_335
; %bb.303:                              ;   in Loop: Header=BB634_236 Depth=2
	s_or_b64 exec, exec, s[52:53]
	s_and_saveexec_b64 s[52:53], s[36:37]
	s_cbranch_execnz .LBB634_336
.LBB634_304:                            ;   in Loop: Header=BB634_236 Depth=2
	s_or_b64 exec, exec, s[52:53]
	s_and_saveexec_b64 s[36:37], s[38:39]
	s_cbranch_execnz .LBB634_337
.LBB634_305:                            ;   in Loop: Header=BB634_236 Depth=2
	s_or_b64 exec, exec, s[36:37]
	s_and_saveexec_b64 s[36:37], s[40:41]
	s_cbranch_execnz .LBB634_338
.LBB634_306:                            ;   in Loop: Header=BB634_236 Depth=2
	s_or_b64 exec, exec, s[36:37]
	s_and_saveexec_b64 s[36:37], s[42:43]
	s_cbranch_execnz .LBB634_339
.LBB634_307:                            ;   in Loop: Header=BB634_236 Depth=2
	s_or_b64 exec, exec, s[36:37]
	s_and_saveexec_b64 s[36:37], s[44:45]
	s_cbranch_execnz .LBB634_340
.LBB634_308:                            ;   in Loop: Header=BB634_236 Depth=2
	s_or_b64 exec, exec, s[36:37]
	s_and_saveexec_b64 s[36:37], s[46:47]
	s_cbranch_execnz .LBB634_341
.LBB634_309:                            ;   in Loop: Header=BB634_236 Depth=2
	s_or_b64 exec, exec, s[36:37]
	s_and_saveexec_b64 s[36:37], s[48:49]
	s_cbranch_execz .LBB634_311
.LBB634_310:                            ;   in Loop: Header=BB634_236 Depth=2
	v_lshlrev_b32_e32 v12, 2, v91
	ds_read_b32 v14, v12
	v_add_u32_e32 v12, v49, v32
	ds_read_b64 v[12:13], v12 offset:15360
	v_mov_b32_e32 v15, v3
	v_mov_b32_e32 v16, s75
	s_waitcnt lgkmcnt(1)
	v_add_u32_e32 v14, v14, v41
	v_lshlrev_b64 v[14:15], 3, v[14:15]
	v_add_co_u32_e32 v14, vcc, s74, v14
	v_addc_co_u32_e32 v15, vcc, v16, v15, vcc
	s_waitcnt lgkmcnt(0)
	global_store_dwordx2 v[14:15], v[12:13], off
.LBB634_311:                            ;   in Loop: Header=BB634_236 Depth=2
	s_or_b64 exec, exec, s[36:37]
	s_waitcnt vmcnt(0)
	s_barrier
	s_and_saveexec_b64 s[36:37], s[4:5]
	s_cbranch_execz .LBB634_235
; %bb.312:                              ;   in Loop: Header=BB634_236 Depth=2
	ds_read_b32 v12, v32
	s_waitcnt lgkmcnt(0)
	v_add_u32_e32 v4, v12, v4
	ds_write_b32 v32, v4
	s_branch .LBB634_235
.LBB634_313:                            ;   in Loop: Header=BB634_236 Depth=2
	ds_read_b32 v12, v49 offset:1024
	v_mov_b32_e32 v30, s69
	s_waitcnt lgkmcnt(0)
	v_lshrrev_b32_e32 v13, s62, v12
	v_and_b32_e32 v13, s70, v13
	v_lshlrev_b32_e32 v13, 2, v13
	ds_read_b32 v16, v13
	v_mov_b32_e32 v13, v3
	v_xor_b32_e32 v103, 0x80000000, v12
	s_waitcnt lgkmcnt(0)
	v_add_u32_e32 v12, v16, v0
	v_lshlrev_b64 v[12:13], 2, v[12:13]
	v_add_co_u32_e64 v12, s[36:37], s68, v12
	v_addc_co_u32_e64 v13, s[36:37], v30, v13, s[36:37]
	global_store_dword v[12:13], v103, off
	s_or_b64 exec, exec, s[38:39]
	v_cmp_lt_u32_e64 s[36:37], v33, v102
	s_and_saveexec_b64 s[40:41], s[36:37]
	s_cbranch_execz .LBB634_278
.LBB634_314:                            ;   in Loop: Header=BB634_236 Depth=2
	ds_read_b32 v12, v49 offset:2048
	v_mov_b32_e32 v30, s69
	s_waitcnt lgkmcnt(0)
	v_lshrrev_b32_e32 v13, s62, v12
	v_and_b32_e32 v13, s70, v13
	v_lshlrev_b32_e32 v13, 2, v13
	ds_read_b32 v16, v13
	v_mov_b32_e32 v13, v3
	v_xor_b32_e32 v103, 0x80000000, v12
	s_waitcnt lgkmcnt(0)
	v_add_u32_e32 v12, v16, v33
	v_lshlrev_b64 v[12:13], 2, v[12:13]
	v_add_co_u32_e64 v12, s[38:39], s68, v12
	v_addc_co_u32_e64 v13, s[38:39], v30, v13, s[38:39]
	global_store_dword v[12:13], v103, off
	s_or_b64 exec, exec, s[40:41]
	v_cmp_lt_u32_e64 s[38:39], v34, v102
	s_and_saveexec_b64 s[42:43], s[38:39]
	s_cbranch_execz .LBB634_279
.LBB634_315:                            ;   in Loop: Header=BB634_236 Depth=2
	ds_read_b32 v12, v49 offset:3072
	v_mov_b32_e32 v30, s69
	s_waitcnt lgkmcnt(0)
	v_lshrrev_b32_e32 v13, s62, v12
	v_and_b32_e32 v13, s70, v13
	v_lshlrev_b32_e32 v13, 2, v13
	ds_read_b32 v16, v13
	v_mov_b32_e32 v13, v3
	v_xor_b32_e32 v103, 0x80000000, v12
	s_waitcnt lgkmcnt(0)
	v_add_u32_e32 v12, v16, v34
	v_lshlrev_b64 v[12:13], 2, v[12:13]
	v_add_co_u32_e64 v12, s[40:41], s68, v12
	v_addc_co_u32_e64 v13, s[40:41], v30, v13, s[40:41]
	global_store_dword v[12:13], v103, off
	s_or_b64 exec, exec, s[42:43]
	v_cmp_lt_u32_e64 s[40:41], v35, v102
	s_and_saveexec_b64 s[44:45], s[40:41]
	s_cbranch_execz .LBB634_280
.LBB634_316:                            ;   in Loop: Header=BB634_236 Depth=2
	ds_read_b32 v12, v49 offset:4096
	v_mov_b32_e32 v30, s69
	s_waitcnt lgkmcnt(0)
	v_lshrrev_b32_e32 v13, s62, v12
	v_and_b32_e32 v13, s70, v13
	v_lshlrev_b32_e32 v13, 2, v13
	ds_read_b32 v16, v13
	v_mov_b32_e32 v13, v3
	v_xor_b32_e32 v103, 0x80000000, v12
	s_waitcnt lgkmcnt(0)
	v_add_u32_e32 v12, v16, v35
	v_lshlrev_b64 v[12:13], 2, v[12:13]
	v_add_co_u32_e64 v12, s[42:43], s68, v12
	v_addc_co_u32_e64 v13, s[42:43], v30, v13, s[42:43]
	global_store_dword v[12:13], v103, off
	s_or_b64 exec, exec, s[44:45]
	v_cmp_lt_u32_e64 s[42:43], v38, v102
	s_and_saveexec_b64 s[46:47], s[42:43]
	s_cbranch_execz .LBB634_281
.LBB634_317:                            ;   in Loop: Header=BB634_236 Depth=2
	ds_read_b32 v12, v49 offset:5120
	v_mov_b32_e32 v30, s69
	s_waitcnt lgkmcnt(0)
	v_lshrrev_b32_e32 v13, s62, v12
	v_and_b32_e32 v13, s70, v13
	v_lshlrev_b32_e32 v13, 2, v13
	ds_read_b32 v16, v13
	v_mov_b32_e32 v13, v3
	v_xor_b32_e32 v103, 0x80000000, v12
	s_waitcnt lgkmcnt(0)
	v_add_u32_e32 v12, v16, v38
	v_lshlrev_b64 v[12:13], 2, v[12:13]
	v_add_co_u32_e64 v12, s[44:45], s68, v12
	v_addc_co_u32_e64 v13, s[44:45], v30, v13, s[44:45]
	global_store_dword v[12:13], v103, off
	s_or_b64 exec, exec, s[46:47]
	v_cmp_lt_u32_e64 s[44:45], v39, v102
	s_and_saveexec_b64 s[48:49], s[44:45]
	s_cbranch_execz .LBB634_282
.LBB634_318:                            ;   in Loop: Header=BB634_236 Depth=2
	ds_read_b32 v12, v49 offset:6144
	v_mov_b32_e32 v30, s69
	s_waitcnt lgkmcnt(0)
	v_lshrrev_b32_e32 v13, s62, v12
	v_and_b32_e32 v13, s70, v13
	v_lshlrev_b32_e32 v13, 2, v13
	ds_read_b32 v16, v13
	v_mov_b32_e32 v13, v3
	v_xor_b32_e32 v103, 0x80000000, v12
	s_waitcnt lgkmcnt(0)
	v_add_u32_e32 v12, v16, v39
	v_lshlrev_b64 v[12:13], 2, v[12:13]
	v_add_co_u32_e64 v12, s[46:47], s68, v12
	v_addc_co_u32_e64 v13, s[46:47], v30, v13, s[46:47]
	global_store_dword v[12:13], v103, off
	s_or_b64 exec, exec, s[48:49]
	v_cmp_lt_u32_e64 s[46:47], v40, v102
	s_and_saveexec_b64 s[52:53], s[46:47]
	s_cbranch_execz .LBB634_283
.LBB634_319:                            ;   in Loop: Header=BB634_236 Depth=2
	ds_read_b32 v12, v49 offset:7168
	v_mov_b32_e32 v30, s69
	s_waitcnt lgkmcnt(0)
	v_lshrrev_b32_e32 v13, s62, v12
	v_and_b32_e32 v13, s70, v13
	v_lshlrev_b32_e32 v13, 2, v13
	ds_read_b32 v16, v13
	v_mov_b32_e32 v13, v3
	v_xor_b32_e32 v103, 0x80000000, v12
	s_waitcnt lgkmcnt(0)
	v_add_u32_e32 v12, v16, v40
	v_lshlrev_b64 v[12:13], 2, v[12:13]
	v_add_co_u32_e64 v12, s[48:49], s68, v12
	v_addc_co_u32_e64 v13, s[48:49], v30, v13, s[48:49]
	global_store_dword v[12:13], v103, off
	s_or_b64 exec, exec, s[52:53]
	v_cmp_lt_u32_e64 s[48:49], v41, v102
	s_and_saveexec_b64 s[60:61], s[48:49]
	s_cbranch_execnz .LBB634_284
	s_branch .LBB634_285
.LBB634_320:                            ;   in Loop: Header=BB634_236 Depth=2
	global_load_dwordx2 v[28:29], v[12:13], off
	s_or_b64 exec, exec, s[52:53]
	v_cmp_lt_u32_e64 s[52:53], v81, v102
	s_and_saveexec_b64 s[60:61], s[52:53]
	s_cbranch_execz .LBB634_287
.LBB634_321:                            ;   in Loop: Header=BB634_236 Depth=2
	global_load_dwordx2 v[26:27], v[12:13], off offset:512
	s_or_b64 exec, exec, s[60:61]
	v_cmp_lt_u32_e64 s[52:53], v82, v102
	s_and_saveexec_b64 s[60:61], s[52:53]
	s_cbranch_execz .LBB634_288
.LBB634_322:                            ;   in Loop: Header=BB634_236 Depth=2
	global_load_dwordx2 v[24:25], v[12:13], off offset:1024
	s_or_b64 exec, exec, s[60:61]
	v_cmp_lt_u32_e64 s[52:53], v83, v102
	s_and_saveexec_b64 s[60:61], s[52:53]
	s_cbranch_execz .LBB634_289
.LBB634_323:                            ;   in Loop: Header=BB634_236 Depth=2
	global_load_dwordx2 v[22:23], v[12:13], off offset:1536
	s_or_b64 exec, exec, s[60:61]
	v_cmp_lt_u32_e64 s[52:53], v87, v102
	s_and_saveexec_b64 s[60:61], s[52:53]
	s_cbranch_execz .LBB634_290
.LBB634_324:                            ;   in Loop: Header=BB634_236 Depth=2
	global_load_dwordx2 v[20:21], v[12:13], off offset:2048
	s_or_b64 exec, exec, s[60:61]
	v_cmp_lt_u32_e64 s[52:53], v88, v102
	s_and_saveexec_b64 s[60:61], s[52:53]
	s_cbranch_execz .LBB634_291
.LBB634_325:                            ;   in Loop: Header=BB634_236 Depth=2
	global_load_dwordx2 v[9:10], v[12:13], off offset:2560
	s_or_b64 exec, exec, s[60:61]
	v_cmp_lt_u32_e64 s[52:53], v89, v102
	s_and_saveexec_b64 s[60:61], s[52:53]
	s_cbranch_execz .LBB634_292
.LBB634_326:                            ;   in Loop: Header=BB634_236 Depth=2
	global_load_dwordx2 v[7:8], v[12:13], off offset:3072
	s_or_b64 exec, exec, s[60:61]
	v_cmp_lt_u32_e64 s[52:53], v90, v102
	s_and_saveexec_b64 s[60:61], s[52:53]
	s_cbranch_execz .LBB634_293
.LBB634_327:                            ;   in Loop: Header=BB634_236 Depth=2
	global_load_dwordx2 v[5:6], v[12:13], off offset:3584
	s_or_b64 exec, exec, s[60:61]
	s_and_saveexec_b64 s[52:53], vcc
	s_cbranch_execz .LBB634_294
.LBB634_328:                            ;   in Loop: Header=BB634_236 Depth=2
	ds_read_b32 v12, v49 offset:1024
	s_waitcnt lgkmcnt(0)
	v_lshrrev_b32_e32 v12, s62, v12
	v_and_b32_e32 v99, s70, v12
	s_or_b64 exec, exec, s[52:53]
	s_and_saveexec_b64 s[52:53], s[36:37]
	s_cbranch_execz .LBB634_295
.LBB634_329:                            ;   in Loop: Header=BB634_236 Depth=2
	ds_read_b32 v12, v49 offset:2048
	s_waitcnt lgkmcnt(0)
	v_lshrrev_b32_e32 v12, s62, v12
	v_and_b32_e32 v97, s70, v12
	s_or_b64 exec, exec, s[52:53]
	s_and_saveexec_b64 s[52:53], s[38:39]
	s_cbranch_execz .LBB634_296
.LBB634_330:                            ;   in Loop: Header=BB634_236 Depth=2
	ds_read_b32 v12, v49 offset:3072
	s_waitcnt lgkmcnt(0)
	v_lshrrev_b32_e32 v12, s62, v12
	v_and_b32_e32 v96, s70, v12
	s_or_b64 exec, exec, s[52:53]
	s_and_saveexec_b64 s[52:53], s[40:41]
	s_cbranch_execz .LBB634_297
.LBB634_331:                            ;   in Loop: Header=BB634_236 Depth=2
	ds_read_b32 v12, v49 offset:4096
	s_waitcnt lgkmcnt(0)
	v_lshrrev_b32_e32 v12, s62, v12
	v_and_b32_e32 v95, s70, v12
	s_or_b64 exec, exec, s[52:53]
	s_and_saveexec_b64 s[52:53], s[42:43]
	s_cbranch_execz .LBB634_298
.LBB634_332:                            ;   in Loop: Header=BB634_236 Depth=2
	ds_read_b32 v12, v49 offset:5120
	s_waitcnt lgkmcnt(0)
	v_lshrrev_b32_e32 v12, s62, v12
	v_and_b32_e32 v94, s70, v12
	s_or_b64 exec, exec, s[52:53]
	s_and_saveexec_b64 s[52:53], s[44:45]
	s_cbranch_execz .LBB634_299
.LBB634_333:                            ;   in Loop: Header=BB634_236 Depth=2
	ds_read_b32 v12, v49 offset:6144
	s_waitcnt lgkmcnt(0)
	v_lshrrev_b32_e32 v12, s62, v12
	v_and_b32_e32 v93, s70, v12
	s_or_b64 exec, exec, s[52:53]
	s_and_saveexec_b64 s[52:53], s[46:47]
	s_cbranch_execz .LBB634_300
.LBB634_334:                            ;   in Loop: Header=BB634_236 Depth=2
	ds_read_b32 v12, v49 offset:7168
	s_waitcnt lgkmcnt(0)
	v_lshrrev_b32_e32 v12, s62, v12
	v_and_b32_e32 v92, s70, v12
	s_or_b64 exec, exec, s[52:53]
	s_and_saveexec_b64 s[52:53], s[48:49]
	s_cbranch_execnz .LBB634_301
	s_branch .LBB634_302
.LBB634_335:                            ;   in Loop: Header=BB634_236 Depth=2
	v_lshlrev_b32_e32 v12, 2, v99
	ds_read_b32 v14, v12
	v_add_u32_e32 v12, v49, v32
	ds_read_b64 v[12:13], v12 offset:1024
	v_mov_b32_e32 v15, v3
	v_mov_b32_e32 v16, s75
	s_waitcnt lgkmcnt(1)
	v_add_u32_e32 v14, v14, v0
	v_lshlrev_b64 v[14:15], 3, v[14:15]
	v_add_co_u32_e32 v14, vcc, s74, v14
	v_addc_co_u32_e32 v15, vcc, v16, v15, vcc
	s_waitcnt lgkmcnt(0)
	global_store_dwordx2 v[14:15], v[12:13], off
	s_or_b64 exec, exec, s[52:53]
	s_and_saveexec_b64 s[52:53], s[36:37]
	s_cbranch_execz .LBB634_304
.LBB634_336:                            ;   in Loop: Header=BB634_236 Depth=2
	v_lshlrev_b32_e32 v12, 2, v97
	ds_read_b32 v14, v12
	v_add_u32_e32 v12, v49, v32
	ds_read_b64 v[12:13], v12 offset:3072
	v_mov_b32_e32 v15, v3
	v_mov_b32_e32 v16, s75
	s_waitcnt lgkmcnt(1)
	v_add_u32_e32 v14, v14, v33
	v_lshlrev_b64 v[14:15], 3, v[14:15]
	v_add_co_u32_e32 v14, vcc, s74, v14
	v_addc_co_u32_e32 v15, vcc, v16, v15, vcc
	s_waitcnt lgkmcnt(0)
	global_store_dwordx2 v[14:15], v[12:13], off
	s_or_b64 exec, exec, s[52:53]
	s_and_saveexec_b64 s[36:37], s[38:39]
	s_cbranch_execz .LBB634_305
.LBB634_337:                            ;   in Loop: Header=BB634_236 Depth=2
	v_lshlrev_b32_e32 v12, 2, v96
	ds_read_b32 v14, v12
	v_add_u32_e32 v12, v49, v32
	ds_read_b64 v[12:13], v12 offset:5120
	v_mov_b32_e32 v15, v3
	v_mov_b32_e32 v16, s75
	s_waitcnt lgkmcnt(1)
	v_add_u32_e32 v14, v14, v34
	v_lshlrev_b64 v[14:15], 3, v[14:15]
	v_add_co_u32_e32 v14, vcc, s74, v14
	v_addc_co_u32_e32 v15, vcc, v16, v15, vcc
	s_waitcnt lgkmcnt(0)
	global_store_dwordx2 v[14:15], v[12:13], off
	s_or_b64 exec, exec, s[36:37]
	s_and_saveexec_b64 s[36:37], s[40:41]
	s_cbranch_execz .LBB634_306
.LBB634_338:                            ;   in Loop: Header=BB634_236 Depth=2
	v_lshlrev_b32_e32 v12, 2, v95
	ds_read_b32 v14, v12
	v_add_u32_e32 v12, v49, v32
	ds_read_b64 v[12:13], v12 offset:7168
	v_mov_b32_e32 v15, v3
	v_mov_b32_e32 v16, s75
	s_waitcnt lgkmcnt(1)
	v_add_u32_e32 v14, v14, v35
	v_lshlrev_b64 v[14:15], 3, v[14:15]
	v_add_co_u32_e32 v14, vcc, s74, v14
	v_addc_co_u32_e32 v15, vcc, v16, v15, vcc
	s_waitcnt lgkmcnt(0)
	global_store_dwordx2 v[14:15], v[12:13], off
	s_or_b64 exec, exec, s[36:37]
	s_and_saveexec_b64 s[36:37], s[42:43]
	s_cbranch_execz .LBB634_307
.LBB634_339:                            ;   in Loop: Header=BB634_236 Depth=2
	v_lshlrev_b32_e32 v12, 2, v94
	ds_read_b32 v14, v12
	v_add_u32_e32 v12, v49, v32
	ds_read_b64 v[12:13], v12 offset:9216
	v_mov_b32_e32 v15, v3
	v_mov_b32_e32 v16, s75
	s_waitcnt lgkmcnt(1)
	v_add_u32_e32 v14, v14, v38
	v_lshlrev_b64 v[14:15], 3, v[14:15]
	v_add_co_u32_e32 v14, vcc, s74, v14
	v_addc_co_u32_e32 v15, vcc, v16, v15, vcc
	s_waitcnt lgkmcnt(0)
	global_store_dwordx2 v[14:15], v[12:13], off
	s_or_b64 exec, exec, s[36:37]
	s_and_saveexec_b64 s[36:37], s[44:45]
	s_cbranch_execz .LBB634_308
.LBB634_340:                            ;   in Loop: Header=BB634_236 Depth=2
	v_lshlrev_b32_e32 v12, 2, v93
	ds_read_b32 v14, v12
	v_add_u32_e32 v12, v49, v32
	ds_read_b64 v[12:13], v12 offset:11264
	v_mov_b32_e32 v15, v3
	v_mov_b32_e32 v16, s75
	s_waitcnt lgkmcnt(1)
	v_add_u32_e32 v14, v14, v39
	v_lshlrev_b64 v[14:15], 3, v[14:15]
	v_add_co_u32_e32 v14, vcc, s74, v14
	v_addc_co_u32_e32 v15, vcc, v16, v15, vcc
	s_waitcnt lgkmcnt(0)
	global_store_dwordx2 v[14:15], v[12:13], off
	s_or_b64 exec, exec, s[36:37]
	s_and_saveexec_b64 s[36:37], s[46:47]
	s_cbranch_execz .LBB634_309
.LBB634_341:                            ;   in Loop: Header=BB634_236 Depth=2
	v_lshlrev_b32_e32 v12, 2, v92
	ds_read_b32 v14, v12
	v_add_u32_e32 v12, v49, v32
	ds_read_b64 v[12:13], v12 offset:13312
	v_mov_b32_e32 v15, v3
	v_mov_b32_e32 v16, s75
	s_waitcnt lgkmcnt(1)
	v_add_u32_e32 v14, v14, v40
	v_lshlrev_b64 v[14:15], 3, v[14:15]
	v_add_co_u32_e32 v14, vcc, s74, v14
	v_addc_co_u32_e32 v15, vcc, v16, v15, vcc
	s_waitcnt lgkmcnt(0)
	global_store_dwordx2 v[14:15], v[12:13], off
	s_or_b64 exec, exec, s[36:37]
	s_and_saveexec_b64 s[36:37], s[48:49]
	s_cbranch_execnz .LBB634_310
	s_branch .LBB634_311
.LBB634_342:                            ;   in Loop: Header=BB634_236 Depth=2
	global_load_dword v12, v[30:31], off
	v_mov_b32_e32 v13, v11
	v_mov_b32_e32 v14, v11
	;; [unrolled: 1-line block ×7, first 2 shown]
	s_or_b64 exec, exec, s[36:37]
	v_cmp_gt_u32_e32 vcc, s71, v81
	s_and_saveexec_b64 s[36:37], vcc
	s_cbranch_execz .LBB634_241
.LBB634_343:                            ;   in Loop: Header=BB634_236 Depth=2
	global_load_dword v13, v[30:31], off offset:256
	s_or_b64 exec, exec, s[36:37]
	v_cmp_gt_u32_e32 vcc, s71, v82
	s_and_saveexec_b64 s[36:37], vcc
	s_cbranch_execz .LBB634_242
.LBB634_344:                            ;   in Loop: Header=BB634_236 Depth=2
	global_load_dword v14, v[30:31], off offset:512
	s_or_b64 exec, exec, s[36:37]
	v_cmp_gt_u32_e32 vcc, s71, v83
	s_and_saveexec_b64 s[36:37], vcc
	s_cbranch_execz .LBB634_243
.LBB634_345:                            ;   in Loop: Header=BB634_236 Depth=2
	global_load_dword v15, v[30:31], off offset:768
	s_or_b64 exec, exec, s[36:37]
	v_cmp_gt_u32_e32 vcc, s71, v87
	s_and_saveexec_b64 s[36:37], vcc
	s_cbranch_execz .LBB634_244
.LBB634_346:                            ;   in Loop: Header=BB634_236 Depth=2
	global_load_dword v16, v[30:31], off offset:1024
	s_or_b64 exec, exec, s[36:37]
	v_cmp_gt_u32_e32 vcc, s71, v88
	s_and_saveexec_b64 s[36:37], vcc
	s_cbranch_execz .LBB634_245
.LBB634_347:                            ;   in Loop: Header=BB634_236 Depth=2
	global_load_dword v17, v[30:31], off offset:1280
	s_or_b64 exec, exec, s[36:37]
	v_cmp_gt_u32_e32 vcc, s71, v89
	s_and_saveexec_b64 s[36:37], vcc
	s_cbranch_execnz .LBB634_246
	s_branch .LBB634_247
.LBB634_348:                            ;   in Loop: Header=BB634_20 Depth=1
	s_waitcnt lgkmcnt(0)
	s_barrier
.LBB634_349:                            ;   in Loop: Header=BB634_20 Depth=1
	s_mov_b64 s[16:17], 0
.LBB634_350:                            ;   in Loop: Header=BB634_20 Depth=1
	s_andn2_b64 vcc, exec, s[16:17]
	s_cbranch_vccnz .LBB634_19
; %bb.351:                              ;   in Loop: Header=BB634_20 Depth=1
	s_mov_b64 s[16:17], -1
	s_and_b64 vcc, exec, s[54:55]
	s_cbranch_vccz .LBB634_515
; %bb.352:                              ;   in Loop: Header=BB634_20 Depth=1
	v_mov_b32_e32 v10, v3
	v_mov_b32_e32 v4, v3
	v_mov_b32_e32 v5, v3
	v_mov_b32_e32 v6, v3
	v_mov_b32_e32 v7, v3
	v_mov_b32_e32 v8, v3
	v_mov_b32_e32 v9, v3
	v_mov_b32_e32 v19, v10
	s_mov_b32 s20, s79
	s_mov_b32 s58, s51
	v_mov_b32_e32 v18, v9
	v_mov_b32_e32 v17, v8
	;; [unrolled: 1-line block ×7, first 2 shown]
	s_barrier
	s_branch .LBB634_354
.LBB634_353:                            ;   in Loop: Header=BB634_354 Depth=2
	s_or_b64 exec, exec, s[16:17]
	s_addk_i32 s20, 0xf800
	s_cmp_ge_u32 s21, s63
	s_mov_b32 s58, s21
	s_cbranch_scc1 .LBB634_390
.LBB634_354:                            ;   Parent Loop BB634_20 Depth=1
                                        ; =>  This Inner Loop Header: Depth=2
	s_add_i32 s21, s58, 0x800
	s_cmp_gt_u32 s21, s63
	s_mov_b64 s[16:17], -1
                                        ; implicit-def: $vgpr20_vgpr21_vgpr22_vgpr23_vgpr24_vgpr25_vgpr26_vgpr27
	s_cbranch_scc1 .LBB634_356
; %bb.355:                              ;   in Loop: Header=BB634_354 Depth=2
	s_lshl_b64 s[16:17], s[58:59], 2
	v_mov_b32_e32 v5, s17
	v_add_co_u32_e32 v4, vcc, s16, v60
	v_addc_co_u32_e32 v5, vcc, v61, v5, vcc
	v_add_co_u32_e32 v6, vcc, 0x1000, v4
	v_addc_co_u32_e32 v7, vcc, 0, v5, vcc
	global_load_dword v20, v[4:5], off
	global_load_dword v21, v[4:5], off offset:1024
	global_load_dword v22, v[4:5], off offset:2048
	;; [unrolled: 1-line block ×3, first 2 shown]
	global_load_dword v24, v[6:7], off
	global_load_dword v25, v[6:7], off offset:1024
	global_load_dword v26, v[6:7], off offset:2048
	;; [unrolled: 1-line block ×3, first 2 shown]
	s_mov_b64 s[16:17], 0
.LBB634_356:                            ;   in Loop: Header=BB634_354 Depth=2
	s_andn2_b64 vcc, exec, s[16:17]
	s_movk_i32 s18, 0x800
	s_cbranch_vccnz .LBB634_367
; %bb.357:                              ;   in Loop: Header=BB634_354 Depth=2
	s_lshl_b64 s[16:17], s[58:59], 2
	s_add_u32 s16, s64, s16
	s_addc_u32 s17, s65, s17
	v_cmp_gt_u32_e32 vcc, s20, v0
	s_and_saveexec_b64 s[18:19], vcc
	s_cbranch_execnz .LBB634_383
; %bb.358:                              ;   in Loop: Header=BB634_354 Depth=2
	s_or_b64 exec, exec, s[18:19]
	v_cmp_gt_u32_e32 vcc, s20, v33
	s_and_saveexec_b64 s[18:19], vcc
	s_cbranch_execnz .LBB634_384
.LBB634_359:                            ;   in Loop: Header=BB634_354 Depth=2
	s_or_b64 exec, exec, s[18:19]
	v_cmp_gt_u32_e32 vcc, s20, v34
	s_and_saveexec_b64 s[18:19], vcc
	s_cbranch_execnz .LBB634_385
.LBB634_360:                            ;   in Loop: Header=BB634_354 Depth=2
	s_or_b64 exec, exec, s[18:19]
	v_cmp_gt_u32_e32 vcc, s20, v35
	s_and_saveexec_b64 s[18:19], vcc
	s_cbranch_execnz .LBB634_386
.LBB634_361:                            ;   in Loop: Header=BB634_354 Depth=2
	s_or_b64 exec, exec, s[18:19]
	v_cmp_gt_u32_e32 vcc, s20, v38
	s_and_saveexec_b64 s[18:19], vcc
	s_cbranch_execnz .LBB634_387
.LBB634_362:                            ;   in Loop: Header=BB634_354 Depth=2
	s_or_b64 exec, exec, s[18:19]
	v_cmp_gt_u32_e32 vcc, s20, v39
	s_and_saveexec_b64 s[18:19], vcc
	s_cbranch_execnz .LBB634_388
.LBB634_363:                            ;   in Loop: Header=BB634_354 Depth=2
	s_or_b64 exec, exec, s[18:19]
	v_cmp_gt_u32_e32 vcc, s20, v40
	s_and_saveexec_b64 s[18:19], vcc
	s_cbranch_execnz .LBB634_389
.LBB634_364:                            ;   in Loop: Header=BB634_354 Depth=2
	s_or_b64 exec, exec, s[18:19]
	v_cmp_gt_u32_e32 vcc, s20, v41
	s_and_saveexec_b64 s[18:19], vcc
	s_cbranch_execz .LBB634_366
.LBB634_365:                            ;   in Loop: Header=BB634_354 Depth=2
	global_load_dword v19, v71, s[16:17]
.LBB634_366:                            ;   in Loop: Header=BB634_354 Depth=2
	s_or_b64 exec, exec, s[18:19]
	s_waitcnt vmcnt(0)
	v_mov_b32_e32 v27, v19
	s_mov_b32 s18, s20
	v_mov_b32_e32 v26, v18
	v_mov_b32_e32 v25, v17
	;; [unrolled: 1-line block ×7, first 2 shown]
.LBB634_367:                            ;   in Loop: Header=BB634_354 Depth=2
	s_waitcnt vmcnt(0)
	v_mov_b32_e32 v12, v20
	v_mov_b32_e32 v13, v21
	;; [unrolled: 1-line block ×8, first 2 shown]
	v_cmp_gt_u32_e32 vcc, s18, v0
	s_and_saveexec_b64 s[16:17], vcc
	s_cbranch_execnz .LBB634_375
; %bb.368:                              ;   in Loop: Header=BB634_354 Depth=2
	s_or_b64 exec, exec, s[16:17]
	v_cmp_gt_u32_e32 vcc, s18, v33
	s_and_saveexec_b64 s[16:17], vcc
	s_cbranch_execnz .LBB634_376
.LBB634_369:                            ;   in Loop: Header=BB634_354 Depth=2
	s_or_b64 exec, exec, s[16:17]
	v_cmp_gt_u32_e32 vcc, s18, v34
	s_and_saveexec_b64 s[16:17], vcc
	s_cbranch_execnz .LBB634_377
.LBB634_370:                            ;   in Loop: Header=BB634_354 Depth=2
	s_or_b64 exec, exec, s[16:17]
	v_cmp_gt_u32_e32 vcc, s18, v35
	s_and_saveexec_b64 s[16:17], vcc
	s_cbranch_execnz .LBB634_378
.LBB634_371:                            ;   in Loop: Header=BB634_354 Depth=2
	s_or_b64 exec, exec, s[16:17]
	v_cmp_gt_u32_e32 vcc, s18, v38
	s_and_saveexec_b64 s[16:17], vcc
	s_cbranch_execnz .LBB634_379
.LBB634_372:                            ;   in Loop: Header=BB634_354 Depth=2
	s_or_b64 exec, exec, s[16:17]
	v_cmp_gt_u32_e32 vcc, s18, v39
	s_and_saveexec_b64 s[16:17], vcc
	s_cbranch_execnz .LBB634_380
.LBB634_373:                            ;   in Loop: Header=BB634_354 Depth=2
	s_or_b64 exec, exec, s[16:17]
	v_cmp_gt_u32_e32 vcc, s18, v40
	s_and_saveexec_b64 s[16:17], vcc
	s_cbranch_execnz .LBB634_381
.LBB634_374:                            ;   in Loop: Header=BB634_354 Depth=2
	s_or_b64 exec, exec, s[16:17]
	v_cmp_gt_u32_e32 vcc, s18, v41
	s_and_saveexec_b64 s[16:17], vcc
	s_cbranch_execz .LBB634_353
	s_branch .LBB634_382
.LBB634_375:                            ;   in Loop: Header=BB634_354 Depth=2
	v_xor_b32_e32 v4, 0x80000000, v12
	v_lshrrev_b32_e32 v4, s77, v4
	v_and_b32_e32 v4, s70, v4
	v_lshl_or_b32 v4, v4, 4, v42
	ds_add_u32 v4, v66
	s_or_b64 exec, exec, s[16:17]
	v_cmp_gt_u32_e32 vcc, s18, v33
	s_and_saveexec_b64 s[16:17], vcc
	s_cbranch_execz .LBB634_369
.LBB634_376:                            ;   in Loop: Header=BB634_354 Depth=2
	v_xor_b32_e32 v4, 0x80000000, v13
	v_lshrrev_b32_e32 v4, s77, v4
	v_and_b32_e32 v4, s70, v4
	v_lshl_or_b32 v4, v4, 4, v42
	ds_add_u32 v4, v66
	s_or_b64 exec, exec, s[16:17]
	v_cmp_gt_u32_e32 vcc, s18, v34
	s_and_saveexec_b64 s[16:17], vcc
	s_cbranch_execz .LBB634_370
.LBB634_377:                            ;   in Loop: Header=BB634_354 Depth=2
	v_xor_b32_e32 v4, 0x80000000, v14
	v_lshrrev_b32_e32 v4, s77, v4
	v_and_b32_e32 v4, s70, v4
	v_lshl_or_b32 v4, v4, 4, v42
	ds_add_u32 v4, v66
	s_or_b64 exec, exec, s[16:17]
	v_cmp_gt_u32_e32 vcc, s18, v35
	s_and_saveexec_b64 s[16:17], vcc
	s_cbranch_execz .LBB634_371
.LBB634_378:                            ;   in Loop: Header=BB634_354 Depth=2
	v_xor_b32_e32 v4, 0x80000000, v15
	v_lshrrev_b32_e32 v4, s77, v4
	v_and_b32_e32 v4, s70, v4
	v_lshl_or_b32 v4, v4, 4, v42
	ds_add_u32 v4, v66
	s_or_b64 exec, exec, s[16:17]
	v_cmp_gt_u32_e32 vcc, s18, v38
	s_and_saveexec_b64 s[16:17], vcc
	s_cbranch_execz .LBB634_372
.LBB634_379:                            ;   in Loop: Header=BB634_354 Depth=2
	v_xor_b32_e32 v4, 0x80000000, v16
	v_lshrrev_b32_e32 v4, s77, v4
	v_and_b32_e32 v4, s70, v4
	v_lshl_or_b32 v4, v4, 4, v42
	ds_add_u32 v4, v66
	s_or_b64 exec, exec, s[16:17]
	v_cmp_gt_u32_e32 vcc, s18, v39
	s_and_saveexec_b64 s[16:17], vcc
	s_cbranch_execz .LBB634_373
.LBB634_380:                            ;   in Loop: Header=BB634_354 Depth=2
	v_xor_b32_e32 v4, 0x80000000, v17
	v_lshrrev_b32_e32 v4, s77, v4
	v_and_b32_e32 v4, s70, v4
	v_lshl_or_b32 v4, v4, 4, v42
	ds_add_u32 v4, v66
	s_or_b64 exec, exec, s[16:17]
	v_cmp_gt_u32_e32 vcc, s18, v40
	s_and_saveexec_b64 s[16:17], vcc
	s_cbranch_execz .LBB634_374
.LBB634_381:                            ;   in Loop: Header=BB634_354 Depth=2
	v_xor_b32_e32 v4, 0x80000000, v18
	v_lshrrev_b32_e32 v4, s77, v4
	v_and_b32_e32 v4, s70, v4
	v_lshl_or_b32 v4, v4, 4, v42
	ds_add_u32 v4, v66
	s_or_b64 exec, exec, s[16:17]
	v_cmp_gt_u32_e32 vcc, s18, v41
	s_and_saveexec_b64 s[16:17], vcc
	s_cbranch_execz .LBB634_353
.LBB634_382:                            ;   in Loop: Header=BB634_354 Depth=2
	v_xor_b32_e32 v4, 0x80000000, v19
	v_lshrrev_b32_e32 v4, s77, v4
	v_and_b32_e32 v4, s70, v4
	v_lshl_or_b32 v4, v4, 4, v42
	ds_add_u32 v4, v66
	s_branch .LBB634_353
.LBB634_383:                            ;   in Loop: Header=BB634_354 Depth=2
	global_load_dword v12, v67, s[16:17]
	s_or_b64 exec, exec, s[18:19]
	v_cmp_gt_u32_e32 vcc, s20, v33
	s_and_saveexec_b64 s[18:19], vcc
	s_cbranch_execz .LBB634_359
.LBB634_384:                            ;   in Loop: Header=BB634_354 Depth=2
	global_load_dword v13, v67, s[16:17] offset:1024
	s_or_b64 exec, exec, s[18:19]
	v_cmp_gt_u32_e32 vcc, s20, v34
	s_and_saveexec_b64 s[18:19], vcc
	s_cbranch_execz .LBB634_360
.LBB634_385:                            ;   in Loop: Header=BB634_354 Depth=2
	global_load_dword v14, v67, s[16:17] offset:2048
	s_or_b64 exec, exec, s[18:19]
	v_cmp_gt_u32_e32 vcc, s20, v35
	s_and_saveexec_b64 s[18:19], vcc
	s_cbranch_execz .LBB634_361
.LBB634_386:                            ;   in Loop: Header=BB634_354 Depth=2
	global_load_dword v15, v67, s[16:17] offset:3072
	s_or_b64 exec, exec, s[18:19]
	v_cmp_gt_u32_e32 vcc, s20, v38
	s_and_saveexec_b64 s[18:19], vcc
	s_cbranch_execz .LBB634_362
.LBB634_387:                            ;   in Loop: Header=BB634_354 Depth=2
	global_load_dword v16, v68, s[16:17]
	s_or_b64 exec, exec, s[18:19]
	v_cmp_gt_u32_e32 vcc, s20, v39
	s_and_saveexec_b64 s[18:19], vcc
	s_cbranch_execz .LBB634_363
.LBB634_388:                            ;   in Loop: Header=BB634_354 Depth=2
	global_load_dword v17, v69, s[16:17]
	s_or_b64 exec, exec, s[18:19]
	v_cmp_gt_u32_e32 vcc, s20, v40
	s_and_saveexec_b64 s[18:19], vcc
	s_cbranch_execz .LBB634_364
.LBB634_389:                            ;   in Loop: Header=BB634_354 Depth=2
	global_load_dword v18, v70, s[16:17]
	s_or_b64 exec, exec, s[18:19]
	v_cmp_gt_u32_e32 vcc, s20, v41
	s_and_saveexec_b64 s[18:19], vcc
	s_cbranch_execnz .LBB634_365
	s_branch .LBB634_366
.LBB634_390:                            ;   in Loop: Header=BB634_20 Depth=1
	v_mov_b32_e32 v4, 0
	s_waitcnt lgkmcnt(0)
	s_barrier
	s_and_saveexec_b64 s[16:17], s[4:5]
	s_cbranch_execz .LBB634_392
; %bb.391:                              ;   in Loop: Header=BB634_20 Depth=1
	ds_read2_b64 v[4:7], v43 offset1:1
	s_waitcnt lgkmcnt(0)
	v_add_u32_e32 v4, v5, v4
	v_add3_u32 v4, v4, v6, v7
.LBB634_392:                            ;   in Loop: Header=BB634_20 Depth=1
	s_or_b64 exec, exec, s[16:17]
	s_nop 0
	v_mov_b32_dpp v5, v4 row_shr:1 row_mask:0xf bank_mask:0xf
	v_cmp_eq_u32_e64 s[16:17], 0, v73
	v_cndmask_b32_e64 v5, v5, 0, s[16:17]
	v_add_u32_e32 v4, v5, v4
	v_cmp_lt_u32_e64 s[18:19], 1, v73
	v_cmp_lt_u32_e64 s[20:21], 3, v73
	v_mov_b32_dpp v5, v4 row_shr:2 row_mask:0xf bank_mask:0xf
	v_cndmask_b32_e64 v5, 0, v5, s[18:19]
	v_add_u32_e32 v4, v4, v5
	v_cmp_lt_u32_e64 s[22:23], 7, v73
	v_cmp_lt_u32_e64 s[26:27], 31, v72
	v_mov_b32_dpp v5, v4 row_shr:4 row_mask:0xf bank_mask:0xf
	v_cndmask_b32_e64 v5, 0, v5, s[20:21]
	v_add_u32_e32 v4, v4, v5
	v_cmp_eq_u32_e64 s[24:25], 0, v75
	s_nop 0
	v_mov_b32_dpp v5, v4 row_shr:8 row_mask:0xf bank_mask:0xf
	v_cndmask_b32_e64 v5, 0, v5, s[22:23]
	v_add_u32_e32 v4, v4, v5
	s_nop 1
	v_mov_b32_dpp v5, v4 row_bcast:15 row_mask:0xf bank_mask:0xf
	v_and_b32_e32 v5, v74, v5
	v_add_u32_e32 v4, v4, v5
	s_nop 1
	v_mov_b32_dpp v5, v4 row_bcast:31 row_mask:0xf bank_mask:0xf
	v_cndmask_b32_e64 v5, 0, v5, s[26:27]
	v_add_u32_e32 v4, v4, v5
	s_and_saveexec_b64 s[28:29], s[6:7]
; %bb.393:                              ;   in Loop: Header=BB634_20 Depth=1
	ds_write_b32 v45, v4
; %bb.394:                              ;   in Loop: Header=BB634_20 Depth=1
	s_or_b64 exec, exec, s[28:29]
	s_waitcnt lgkmcnt(0)
	s_barrier
	s_and_saveexec_b64 s[28:29], s[8:9]
	s_cbranch_execz .LBB634_396
; %bb.395:                              ;   in Loop: Header=BB634_20 Depth=1
	ds_read_b32 v5, v46
	v_cmp_ne_u32_e32 vcc, 0, v76
	s_waitcnt lgkmcnt(0)
	v_mov_b32_dpp v6, v5 row_shr:1 row_mask:0xf bank_mask:0xf
	v_cndmask_b32_e32 v6, 0, v6, vcc
	v_add_u32_e32 v5, v6, v5
	v_cmp_lt_u32_e32 vcc, 1, v76
	s_nop 0
	v_mov_b32_dpp v6, v5 row_shr:2 row_mask:0xf bank_mask:0xf
	v_cndmask_b32_e32 v6, 0, v6, vcc
	v_add_u32_e32 v5, v5, v6
	ds_write_b32 v46, v5
.LBB634_396:                            ;   in Loop: Header=BB634_20 Depth=1
	s_or_b64 exec, exec, s[28:29]
	v_mov_b32_e32 v5, 0
	s_waitcnt lgkmcnt(0)
	s_barrier
	s_and_saveexec_b64 s[28:29], s[10:11]
; %bb.397:                              ;   in Loop: Header=BB634_20 Depth=1
	ds_read_b32 v5, v47
; %bb.398:                              ;   in Loop: Header=BB634_20 Depth=1
	s_or_b64 exec, exec, s[28:29]
	v_subrev_co_u32_e64 v6, s[28:29], 1, v72
	v_cmp_lt_i32_e32 vcc, v6, v77
	v_cndmask_b32_e32 v6, v6, v72, vcc
	s_waitcnt lgkmcnt(0)
	v_add_u32_e32 v4, v5, v4
	v_lshlrev_b32_e32 v84, 2, v6
	ds_bpermute_b32 v4, v84, v4
	s_waitcnt lgkmcnt(0)
	s_barrier
	s_and_saveexec_b64 s[30:31], s[4:5]
; %bb.399:                              ;   in Loop: Header=BB634_20 Depth=1
	v_cndmask_b32_e64 v4, v4, v5, s[28:29]
	v_add_u32_e32 v4, s51, v4
	ds_write_b32 v32, v4
; %bb.400:                              ;   in Loop: Header=BB634_20 Depth=1
	s_or_b64 exec, exec, s[30:31]
	s_load_dwordx2 s[30:31], s[56:57], 0x0
	v_add_co_u32_e32 v85, vcc, v62, v79
	v_addc_co_u32_e32 v86, vcc, 0, v63, vcc
	s_waitcnt lgkmcnt(0)
	s_cmp_lt_u32 s33, s31
	s_cselect_b32 s31, 14, 20
	s_add_u32 s34, s56, s31
	s_addc_u32 s35, s57, 0
	s_cmp_lt_u32 s50, s30
	s_cselect_b32 s30, 12, 18
	s_add_u32 s30, s56, s30
	global_load_ushort v4, v3, s[34:35]
	s_addc_u32 s31, s57, 0
	global_load_ushort v12, v3, s[30:31]
	v_lshlrev_b32_e32 v14, 2, v78
	v_add_co_u32_e32 v98, vcc, v64, v14
	v_cmp_eq_u32_e64 s[30:31], 0, v76
	v_cmp_lt_u32_e64 s[34:35], 1, v76
	v_or_b32_e32 v87, 0x100, v80
	v_or_b32_e32 v88, 0x140, v80
	;; [unrolled: 1-line block ×4, first 2 shown]
	s_mov_b32 s71, s79
	v_addc_co_u32_e32 v100, vcc, 0, v65, vcc
	s_mov_b32 s58, s51
                                        ; implicit-def: $vgpr5_vgpr6
                                        ; implicit-def: $vgpr7_vgpr8
                                        ; implicit-def: $vgpr9_vgpr10
                                        ; implicit-def: $vgpr20_vgpr21
                                        ; implicit-def: $vgpr22_vgpr23
                                        ; implicit-def: $vgpr24_vgpr25
                                        ; implicit-def: $vgpr26_vgpr27
                                        ; implicit-def: $vgpr28_vgpr29
                                        ; implicit-def: $vgpr91
                                        ; implicit-def: $vgpr92
                                        ; implicit-def: $vgpr93
                                        ; implicit-def: $vgpr94
                                        ; implicit-def: $vgpr95
                                        ; implicit-def: $vgpr96
                                        ; implicit-def: $vgpr97
                                        ; implicit-def: $vgpr99
	s_waitcnt vmcnt(1)
	v_mad_u32_u24 v4, v2, v4, v1
	s_waitcnt vmcnt(0)
	v_mad_u64_u32 v[12:13], s[36:37], v4, v12, v[0:1]
	v_lshrrev_b32_e32 v4, 4, v12
	v_and_b32_e32 v101, 0xffffffc, v4
	s_branch .LBB634_402
.LBB634_401:                            ;   in Loop: Header=BB634_402 Depth=2
	s_or_b64 exec, exec, s[36:37]
	s_addk_i32 s71, 0xf800
	s_cmp_lt_u32 s76, s63
	s_mov_b32 s58, s76
	s_cbranch_scc0 .LBB634_514
.LBB634_402:                            ;   Parent Loop BB634_20 Depth=1
                                        ; =>  This Inner Loop Header: Depth=2
	s_add_i32 s76, s58, 0x800
	s_cmp_gt_u32 s76, s63
	s_cbranch_scc1 .LBB634_404
; %bb.403:                              ;   in Loop: Header=BB634_402 Depth=2
	s_lshl_b64 s[36:37], s[58:59], 2
	v_mov_b32_e32 v4, s37
	v_add_co_u32_e32 v18, vcc, s36, v98
	v_addc_co_u32_e32 v19, vcc, v100, v4, vcc
	global_load_dword v12, v[18:19], off
	global_load_dword v13, v[18:19], off offset:256
	global_load_dword v14, v[18:19], off offset:512
	global_load_dword v15, v[18:19], off offset:768
	global_load_dword v16, v[18:19], off offset:1024
	global_load_dword v17, v[18:19], off offset:1280
	s_nop 0
	global_load_dword v18, v[18:19], off offset:1536
	s_mov_b64 s[36:37], -1
	s_movk_i32 s40, 0x800
	s_cbranch_execz .LBB634_405
	s_branch .LBB634_414
.LBB634_404:                            ;   in Loop: Header=BB634_402 Depth=2
	s_mov_b64 s[36:37], 0
                                        ; implicit-def: $vgpr12_vgpr13_vgpr14_vgpr15_vgpr16_vgpr17_vgpr18_vgpr19
	s_movk_i32 s40, 0x800
.LBB634_405:                            ;   in Loop: Header=BB634_402 Depth=2
	s_lshl_b64 s[36:37], s[58:59], 2
	v_mov_b32_e32 v4, s37
	v_add_co_u32_e32 v30, vcc, s36, v98
	s_waitcnt vmcnt(6)
	v_mov_b32_e32 v12, v11
	s_waitcnt vmcnt(5)
	v_mov_b32_e32 v13, v11
	;; [unrolled: 2-line block ×7, first 2 shown]
	v_addc_co_u32_e32 v31, vcc, v100, v4, vcc
	v_mov_b32_e32 v19, v18
	v_cmp_gt_u32_e32 vcc, s71, v80
	v_mov_b32_e32 v18, v17
	v_mov_b32_e32 v17, v16
	v_mov_b32_e32 v16, v15
	v_mov_b32_e32 v15, v14
	v_mov_b32_e32 v14, v13
	v_mov_b32_e32 v13, v12
	v_mov_b32_e32 v12, v11
	s_and_saveexec_b64 s[36:37], vcc
	s_cbranch_execnz .LBB634_508
; %bb.406:                              ;   in Loop: Header=BB634_402 Depth=2
	s_or_b64 exec, exec, s[36:37]
	v_cmp_gt_u32_e32 vcc, s71, v81
	s_and_saveexec_b64 s[36:37], vcc
	s_cbranch_execnz .LBB634_509
.LBB634_407:                            ;   in Loop: Header=BB634_402 Depth=2
	s_or_b64 exec, exec, s[36:37]
	v_cmp_gt_u32_e32 vcc, s71, v82
	s_and_saveexec_b64 s[36:37], vcc
	s_cbranch_execnz .LBB634_510
.LBB634_408:                            ;   in Loop: Header=BB634_402 Depth=2
	s_or_b64 exec, exec, s[36:37]
	v_cmp_gt_u32_e32 vcc, s71, v83
	s_and_saveexec_b64 s[36:37], vcc
	s_cbranch_execnz .LBB634_511
.LBB634_409:                            ;   in Loop: Header=BB634_402 Depth=2
	s_or_b64 exec, exec, s[36:37]
	v_cmp_gt_u32_e32 vcc, s71, v87
	s_and_saveexec_b64 s[36:37], vcc
	s_cbranch_execnz .LBB634_512
.LBB634_410:                            ;   in Loop: Header=BB634_402 Depth=2
	s_or_b64 exec, exec, s[36:37]
	v_cmp_gt_u32_e32 vcc, s71, v88
	s_and_saveexec_b64 s[36:37], vcc
	s_cbranch_execnz .LBB634_513
.LBB634_411:                            ;   in Loop: Header=BB634_402 Depth=2
	s_or_b64 exec, exec, s[36:37]
	v_cmp_gt_u32_e32 vcc, s71, v89
	s_and_saveexec_b64 s[36:37], vcc
	s_cbranch_execz .LBB634_413
.LBB634_412:                            ;   in Loop: Header=BB634_402 Depth=2
	global_load_dword v18, v[30:31], off offset:1536
.LBB634_413:                            ;   in Loop: Header=BB634_402 Depth=2
	s_or_b64 exec, exec, s[36:37]
	s_sub_i32 s40, s63, s58
	v_cmp_gt_u32_e64 s[36:37], s71, v90
.LBB634_414:                            ;   in Loop: Header=BB634_402 Depth=2
	v_mov_b32_e32 v102, s71
	s_and_saveexec_b64 s[38:39], s[36:37]
	s_cbranch_execz .LBB634_416
; %bb.415:                              ;   in Loop: Header=BB634_402 Depth=2
	s_lshl_b64 s[36:37], s[58:59], 2
	v_mov_b32_e32 v4, s37
	v_add_co_u32_e32 v30, vcc, s36, v98
	v_addc_co_u32_e32 v31, vcc, v100, v4, vcc
	global_load_dword v19, v[30:31], off offset:1792
	v_mov_b32_e32 v102, s40
.LBB634_416:                            ;   in Loop: Header=BB634_402 Depth=2
	s_or_b64 exec, exec, s[38:39]
	s_waitcnt vmcnt(0)
	v_xor_b32_e32 v103, 0x80000000, v12
	v_lshrrev_b32_e32 v4, s77, v103
	v_and_b32_e32 v12, s70, v4
	v_and_b32_e32 v4, 1, v12
	v_add_co_u32_e32 v30, vcc, -1, v4
	v_addc_co_u32_e64 v31, s[36:37], 0, -1, vcc
	v_cmp_ne_u32_e32 vcc, 0, v4
	v_xor_b32_e32 v4, vcc_hi, v31
	v_and_b32_e32 v31, exec_hi, v4
	v_lshlrev_b32_e32 v4, 30, v12
	v_xor_b32_e32 v30, vcc_lo, v30
	v_cmp_gt_i64_e32 vcc, 0, v[3:4]
	v_not_b32_e32 v4, v4
	v_ashrrev_i32_e32 v4, 31, v4
	v_and_b32_e32 v30, exec_lo, v30
	v_xor_b32_e32 v106, vcc_hi, v4
	v_xor_b32_e32 v4, vcc_lo, v4
	v_and_b32_e32 v30, v30, v4
	v_lshlrev_b32_e32 v4, 29, v12
	v_cmp_gt_i64_e32 vcc, 0, v[3:4]
	v_not_b32_e32 v4, v4
	v_ashrrev_i32_e32 v4, 31, v4
	v_and_b32_e32 v31, v31, v106
	v_xor_b32_e32 v106, vcc_hi, v4
	v_xor_b32_e32 v4, vcc_lo, v4
	v_and_b32_e32 v30, v30, v4
	v_lshlrev_b32_e32 v4, 28, v12
	v_cmp_gt_i64_e32 vcc, 0, v[3:4]
	v_not_b32_e32 v4, v4
	v_ashrrev_i32_e32 v4, 31, v4
	v_and_b32_e32 v31, v31, v106
	;; [unrolled: 8-line block ×5, first 2 shown]
	v_xor_b32_e32 v106, vcc_hi, v4
	v_xor_b32_e32 v4, vcc_lo, v4
	v_and_b32_e32 v30, v30, v4
	v_lshlrev_b32_e32 v4, 24, v12
	v_cmp_gt_i64_e32 vcc, 0, v[3:4]
	v_not_b32_e32 v4, v4
	v_ashrrev_i32_e32 v4, 31, v4
	v_mul_u32_u24_e32 v107, 20, v12
	v_xor_b32_e32 v12, vcc_hi, v4
	v_xor_b32_e32 v4, vcc_lo, v4
	v_and_b32_e32 v31, v31, v106
	v_and_b32_e32 v30, v30, v4
	;; [unrolled: 1-line block ×3, first 2 shown]
	v_mbcnt_lo_u32_b32 v4, v30, 0
	v_mbcnt_hi_u32_b32 v106, v31, v4
	v_cmp_ne_u64_e32 vcc, 0, v[30:31]
	v_cmp_eq_u32_e64 s[36:37], 0, v106
	v_add_u32_e32 v105, 0x410, v48
	v_add_u32_e32 v104, 0x418, v48
	s_and_b64 s[38:39], vcc, s[36:37]
	v_add_u32_e32 v107, v101, v107
	ds_write2_b32 v105, v3, v3 offset1:1
	ds_write2_b32 v104, v3, v3 offset1:1
	ds_write_b32 v48, v3 offset:1056
	s_waitcnt lgkmcnt(0)
	s_barrier
	; wave barrier
	s_and_saveexec_b64 s[36:37], s[38:39]
; %bb.417:                              ;   in Loop: Header=BB634_402 Depth=2
	v_bcnt_u32_b32 v4, v30, 0
	v_bcnt_u32_b32 v4, v31, v4
	ds_write_b32 v107, v4 offset:1040
; %bb.418:                              ;   in Loop: Header=BB634_402 Depth=2
	s_or_b64 exec, exec, s[36:37]
	v_xor_b32_e32 v30, 0x80000000, v13
	v_lshrrev_b32_e32 v4, s77, v30
	v_and_b32_e32 v12, s70, v4
	v_mad_u32_u24 v4, v12, 20, v101
	; wave barrier
	ds_read_b32 v31, v4 offset:1040
	v_and_b32_e32 v4, 1, v12
	v_add_co_u32_e32 v13, vcc, -1, v4
	v_addc_co_u32_e64 v108, s[36:37], 0, -1, vcc
	v_cmp_ne_u32_e32 vcc, 0, v4
	v_xor_b32_e32 v4, vcc_hi, v108
	v_and_b32_e32 v108, exec_hi, v4
	v_lshlrev_b32_e32 v4, 30, v12
	v_xor_b32_e32 v13, vcc_lo, v13
	v_cmp_gt_i64_e32 vcc, 0, v[3:4]
	v_not_b32_e32 v4, v4
	v_ashrrev_i32_e32 v4, 31, v4
	v_and_b32_e32 v13, exec_lo, v13
	v_xor_b32_e32 v110, vcc_hi, v4
	v_xor_b32_e32 v4, vcc_lo, v4
	v_and_b32_e32 v13, v13, v4
	v_lshlrev_b32_e32 v4, 29, v12
	v_cmp_gt_i64_e32 vcc, 0, v[3:4]
	v_not_b32_e32 v4, v4
	v_ashrrev_i32_e32 v4, 31, v4
	v_and_b32_e32 v108, v108, v110
	v_xor_b32_e32 v110, vcc_hi, v4
	v_xor_b32_e32 v4, vcc_lo, v4
	v_and_b32_e32 v13, v13, v4
	v_lshlrev_b32_e32 v4, 28, v12
	v_cmp_gt_i64_e32 vcc, 0, v[3:4]
	v_not_b32_e32 v4, v4
	v_ashrrev_i32_e32 v4, 31, v4
	v_and_b32_e32 v108, v108, v110
	;; [unrolled: 8-line block ×5, first 2 shown]
	v_xor_b32_e32 v110, vcc_hi, v4
	v_xor_b32_e32 v4, vcc_lo, v4
	v_and_b32_e32 v108, v108, v110
	v_and_b32_e32 v110, v13, v4
	v_lshlrev_b32_e32 v4, 24, v12
	v_cmp_gt_i64_e32 vcc, 0, v[3:4]
	v_not_b32_e32 v4, v4
	v_ashrrev_i32_e32 v4, 31, v4
	v_mul_u32_u24_e32 v109, 20, v12
	v_xor_b32_e32 v12, vcc_hi, v4
	v_xor_b32_e32 v4, vcc_lo, v4
	v_and_b32_e32 v13, v108, v12
	v_and_b32_e32 v12, v110, v4
	v_mbcnt_lo_u32_b32 v4, v12, 0
	v_mbcnt_hi_u32_b32 v108, v13, v4
	v_cmp_ne_u64_e32 vcc, 0, v[12:13]
	v_cmp_eq_u32_e64 s[36:37], 0, v108
	s_and_b64 s[38:39], vcc, s[36:37]
	v_add_u32_e32 v111, v101, v109
	; wave barrier
	s_and_saveexec_b64 s[36:37], s[38:39]
	s_cbranch_execz .LBB634_420
; %bb.419:                              ;   in Loop: Header=BB634_402 Depth=2
	v_bcnt_u32_b32 v4, v12, 0
	v_bcnt_u32_b32 v4, v13, v4
	s_waitcnt lgkmcnt(0)
	v_add_u32_e32 v4, v31, v4
	ds_write_b32 v111, v4 offset:1040
.LBB634_420:                            ;   in Loop: Header=BB634_402 Depth=2
	s_or_b64 exec, exec, s[36:37]
	v_xor_b32_e32 v109, 0x80000000, v14
	v_lshrrev_b32_e32 v4, s77, v109
	v_and_b32_e32 v12, s70, v4
	v_mad_u32_u24 v4, v12, 20, v101
	; wave barrier
	ds_read_b32 v110, v4 offset:1040
	v_and_b32_e32 v4, 1, v12
	v_add_co_u32_e32 v13, vcc, -1, v4
	v_addc_co_u32_e64 v112, s[36:37], 0, -1, vcc
	v_cmp_ne_u32_e32 vcc, 0, v4
	v_xor_b32_e32 v4, vcc_hi, v112
	v_and_b32_e32 v112, exec_hi, v4
	v_lshlrev_b32_e32 v4, 30, v12
	v_xor_b32_e32 v13, vcc_lo, v13
	v_cmp_gt_i64_e32 vcc, 0, v[3:4]
	v_not_b32_e32 v4, v4
	v_ashrrev_i32_e32 v4, 31, v4
	v_and_b32_e32 v13, exec_lo, v13
	v_xor_b32_e32 v113, vcc_hi, v4
	v_xor_b32_e32 v4, vcc_lo, v4
	v_and_b32_e32 v13, v13, v4
	v_lshlrev_b32_e32 v4, 29, v12
	v_cmp_gt_i64_e32 vcc, 0, v[3:4]
	v_not_b32_e32 v4, v4
	v_ashrrev_i32_e32 v4, 31, v4
	v_and_b32_e32 v112, v112, v113
	v_xor_b32_e32 v113, vcc_hi, v4
	v_xor_b32_e32 v4, vcc_lo, v4
	v_and_b32_e32 v13, v13, v4
	v_lshlrev_b32_e32 v4, 28, v12
	v_cmp_gt_i64_e32 vcc, 0, v[3:4]
	v_not_b32_e32 v4, v4
	v_ashrrev_i32_e32 v4, 31, v4
	v_and_b32_e32 v112, v112, v113
	;; [unrolled: 8-line block ×5, first 2 shown]
	v_xor_b32_e32 v113, vcc_hi, v4
	v_xor_b32_e32 v4, vcc_lo, v4
	v_and_b32_e32 v112, v112, v113
	v_and_b32_e32 v113, v13, v4
	v_lshlrev_b32_e32 v4, 24, v12
	v_cmp_gt_i64_e32 vcc, 0, v[3:4]
	v_not_b32_e32 v4, v4
	v_ashrrev_i32_e32 v4, 31, v4
	v_mul_u32_u24_e32 v14, 20, v12
	v_xor_b32_e32 v12, vcc_hi, v4
	v_xor_b32_e32 v4, vcc_lo, v4
	v_and_b32_e32 v13, v112, v12
	v_and_b32_e32 v12, v113, v4
	v_mbcnt_lo_u32_b32 v4, v12, 0
	v_mbcnt_hi_u32_b32 v112, v13, v4
	v_cmp_ne_u64_e32 vcc, 0, v[12:13]
	v_cmp_eq_u32_e64 s[36:37], 0, v112
	s_and_b64 s[38:39], vcc, s[36:37]
	v_add_u32_e32 v115, v101, v14
	; wave barrier
	s_and_saveexec_b64 s[36:37], s[38:39]
	s_cbranch_execz .LBB634_422
; %bb.421:                              ;   in Loop: Header=BB634_402 Depth=2
	v_bcnt_u32_b32 v4, v12, 0
	v_bcnt_u32_b32 v4, v13, v4
	s_waitcnt lgkmcnt(0)
	v_add_u32_e32 v4, v110, v4
	ds_write_b32 v115, v4 offset:1040
.LBB634_422:                            ;   in Loop: Header=BB634_402 Depth=2
	s_or_b64 exec, exec, s[36:37]
	v_xor_b32_e32 v113, 0x80000000, v15
	v_lshrrev_b32_e32 v4, s77, v113
	v_and_b32_e32 v12, s70, v4
	v_mad_u32_u24 v4, v12, 20, v101
	; wave barrier
	ds_read_b32 v114, v4 offset:1040
	v_and_b32_e32 v4, 1, v12
	v_add_co_u32_e32 v13, vcc, -1, v4
	v_addc_co_u32_e64 v15, s[36:37], 0, -1, vcc
	v_cmp_ne_u32_e32 vcc, 0, v4
	v_xor_b32_e32 v4, vcc_hi, v15
	v_and_b32_e32 v15, exec_hi, v4
	v_lshlrev_b32_e32 v4, 30, v12
	v_xor_b32_e32 v13, vcc_lo, v13
	v_cmp_gt_i64_e32 vcc, 0, v[3:4]
	v_not_b32_e32 v4, v4
	v_ashrrev_i32_e32 v4, 31, v4
	v_and_b32_e32 v13, exec_lo, v13
	v_xor_b32_e32 v116, vcc_hi, v4
	v_xor_b32_e32 v4, vcc_lo, v4
	v_and_b32_e32 v13, v13, v4
	v_lshlrev_b32_e32 v4, 29, v12
	v_cmp_gt_i64_e32 vcc, 0, v[3:4]
	v_not_b32_e32 v4, v4
	v_ashrrev_i32_e32 v4, 31, v4
	v_and_b32_e32 v15, v15, v116
	v_xor_b32_e32 v116, vcc_hi, v4
	v_xor_b32_e32 v4, vcc_lo, v4
	v_and_b32_e32 v13, v13, v4
	v_lshlrev_b32_e32 v4, 28, v12
	v_cmp_gt_i64_e32 vcc, 0, v[3:4]
	v_not_b32_e32 v4, v4
	v_ashrrev_i32_e32 v4, 31, v4
	v_and_b32_e32 v15, v15, v116
	;; [unrolled: 8-line block ×5, first 2 shown]
	v_xor_b32_e32 v116, vcc_hi, v4
	v_xor_b32_e32 v4, vcc_lo, v4
	v_and_b32_e32 v15, v15, v116
	v_and_b32_e32 v116, v13, v4
	v_lshlrev_b32_e32 v4, 24, v12
	v_cmp_gt_i64_e32 vcc, 0, v[3:4]
	v_not_b32_e32 v4, v4
	v_ashrrev_i32_e32 v4, 31, v4
	v_mul_u32_u24_e32 v14, 20, v12
	v_xor_b32_e32 v12, vcc_hi, v4
	v_xor_b32_e32 v4, vcc_lo, v4
	v_and_b32_e32 v13, v15, v12
	v_and_b32_e32 v12, v116, v4
	v_mbcnt_lo_u32_b32 v4, v12, 0
	v_mbcnt_hi_u32_b32 v116, v13, v4
	v_cmp_ne_u64_e32 vcc, 0, v[12:13]
	v_cmp_eq_u32_e64 s[36:37], 0, v116
	s_and_b64 s[38:39], vcc, s[36:37]
	v_add_u32_e32 v118, v101, v14
	; wave barrier
	s_and_saveexec_b64 s[36:37], s[38:39]
	s_cbranch_execz .LBB634_424
; %bb.423:                              ;   in Loop: Header=BB634_402 Depth=2
	v_bcnt_u32_b32 v4, v12, 0
	v_bcnt_u32_b32 v4, v13, v4
	s_waitcnt lgkmcnt(0)
	v_add_u32_e32 v4, v114, v4
	ds_write_b32 v118, v4 offset:1040
.LBB634_424:                            ;   in Loop: Header=BB634_402 Depth=2
	s_or_b64 exec, exec, s[36:37]
	v_xor_b32_e32 v16, 0x80000000, v16
	v_lshrrev_b32_e32 v4, s77, v16
	v_and_b32_e32 v12, s70, v4
	v_mad_u32_u24 v4, v12, 20, v101
	; wave barrier
	ds_read_b32 v117, v4 offset:1040
	v_and_b32_e32 v4, 1, v12
	v_add_co_u32_e32 v13, vcc, -1, v4
	v_addc_co_u32_e64 v15, s[36:37], 0, -1, vcc
	v_cmp_ne_u32_e32 vcc, 0, v4
	v_xor_b32_e32 v4, vcc_hi, v15
	v_and_b32_e32 v15, exec_hi, v4
	v_lshlrev_b32_e32 v4, 30, v12
	v_xor_b32_e32 v13, vcc_lo, v13
	v_cmp_gt_i64_e32 vcc, 0, v[3:4]
	v_not_b32_e32 v4, v4
	v_ashrrev_i32_e32 v4, 31, v4
	v_and_b32_e32 v13, exec_lo, v13
	v_xor_b32_e32 v119, vcc_hi, v4
	v_xor_b32_e32 v4, vcc_lo, v4
	v_and_b32_e32 v13, v13, v4
	v_lshlrev_b32_e32 v4, 29, v12
	v_cmp_gt_i64_e32 vcc, 0, v[3:4]
	v_not_b32_e32 v4, v4
	v_ashrrev_i32_e32 v4, 31, v4
	v_and_b32_e32 v15, v15, v119
	v_xor_b32_e32 v119, vcc_hi, v4
	v_xor_b32_e32 v4, vcc_lo, v4
	v_and_b32_e32 v13, v13, v4
	v_lshlrev_b32_e32 v4, 28, v12
	v_cmp_gt_i64_e32 vcc, 0, v[3:4]
	v_not_b32_e32 v4, v4
	v_ashrrev_i32_e32 v4, 31, v4
	v_and_b32_e32 v15, v15, v119
	;; [unrolled: 8-line block ×5, first 2 shown]
	v_xor_b32_e32 v119, vcc_hi, v4
	v_xor_b32_e32 v4, vcc_lo, v4
	v_and_b32_e32 v15, v15, v119
	v_and_b32_e32 v119, v13, v4
	v_lshlrev_b32_e32 v4, 24, v12
	v_cmp_gt_i64_e32 vcc, 0, v[3:4]
	v_not_b32_e32 v4, v4
	v_ashrrev_i32_e32 v4, 31, v4
	v_mul_u32_u24_e32 v14, 20, v12
	v_xor_b32_e32 v12, vcc_hi, v4
	v_xor_b32_e32 v4, vcc_lo, v4
	v_and_b32_e32 v13, v15, v12
	v_and_b32_e32 v12, v119, v4
	v_mbcnt_lo_u32_b32 v4, v12, 0
	v_mbcnt_hi_u32_b32 v119, v13, v4
	v_cmp_ne_u64_e32 vcc, 0, v[12:13]
	v_cmp_eq_u32_e64 s[36:37], 0, v119
	s_and_b64 s[38:39], vcc, s[36:37]
	v_add_u32_e32 v121, v101, v14
	; wave barrier
	s_and_saveexec_b64 s[36:37], s[38:39]
	s_cbranch_execz .LBB634_426
; %bb.425:                              ;   in Loop: Header=BB634_402 Depth=2
	v_bcnt_u32_b32 v4, v12, 0
	v_bcnt_u32_b32 v4, v13, v4
	s_waitcnt lgkmcnt(0)
	v_add_u32_e32 v4, v117, v4
	ds_write_b32 v121, v4 offset:1040
.LBB634_426:                            ;   in Loop: Header=BB634_402 Depth=2
	s_or_b64 exec, exec, s[36:37]
	v_xor_b32_e32 v120, 0x80000000, v17
	v_lshrrev_b32_e32 v4, s77, v120
	v_and_b32_e32 v12, s70, v4
	v_mad_u32_u24 v4, v12, 20, v101
	; wave barrier
	ds_read_b32 v17, v4 offset:1040
	v_and_b32_e32 v4, 1, v12
	v_add_co_u32_e32 v13, vcc, -1, v4
	v_addc_co_u32_e64 v15, s[36:37], 0, -1, vcc
	v_cmp_ne_u32_e32 vcc, 0, v4
	v_xor_b32_e32 v4, vcc_hi, v15
	v_and_b32_e32 v15, exec_hi, v4
	v_lshlrev_b32_e32 v4, 30, v12
	v_xor_b32_e32 v13, vcc_lo, v13
	v_cmp_gt_i64_e32 vcc, 0, v[3:4]
	v_not_b32_e32 v4, v4
	v_ashrrev_i32_e32 v4, 31, v4
	v_and_b32_e32 v13, exec_lo, v13
	v_xor_b32_e32 v122, vcc_hi, v4
	v_xor_b32_e32 v4, vcc_lo, v4
	v_and_b32_e32 v13, v13, v4
	v_lshlrev_b32_e32 v4, 29, v12
	v_cmp_gt_i64_e32 vcc, 0, v[3:4]
	v_not_b32_e32 v4, v4
	v_ashrrev_i32_e32 v4, 31, v4
	v_and_b32_e32 v15, v15, v122
	v_xor_b32_e32 v122, vcc_hi, v4
	v_xor_b32_e32 v4, vcc_lo, v4
	v_and_b32_e32 v13, v13, v4
	v_lshlrev_b32_e32 v4, 28, v12
	v_cmp_gt_i64_e32 vcc, 0, v[3:4]
	v_not_b32_e32 v4, v4
	v_ashrrev_i32_e32 v4, 31, v4
	v_and_b32_e32 v15, v15, v122
	;; [unrolled: 8-line block ×5, first 2 shown]
	v_xor_b32_e32 v122, vcc_hi, v4
	v_xor_b32_e32 v4, vcc_lo, v4
	v_and_b32_e32 v15, v15, v122
	v_and_b32_e32 v122, v13, v4
	v_lshlrev_b32_e32 v4, 24, v12
	v_cmp_gt_i64_e32 vcc, 0, v[3:4]
	v_not_b32_e32 v4, v4
	v_ashrrev_i32_e32 v4, 31, v4
	v_mul_u32_u24_e32 v14, 20, v12
	v_xor_b32_e32 v12, vcc_hi, v4
	v_xor_b32_e32 v4, vcc_lo, v4
	v_and_b32_e32 v13, v15, v12
	v_and_b32_e32 v12, v122, v4
	v_mbcnt_lo_u32_b32 v4, v12, 0
	v_mbcnt_hi_u32_b32 v122, v13, v4
	v_cmp_ne_u64_e32 vcc, 0, v[12:13]
	v_cmp_eq_u32_e64 s[36:37], 0, v122
	s_and_b64 s[38:39], vcc, s[36:37]
	v_add_u32_e32 v125, v101, v14
	; wave barrier
	s_and_saveexec_b64 s[36:37], s[38:39]
	s_cbranch_execz .LBB634_428
; %bb.427:                              ;   in Loop: Header=BB634_402 Depth=2
	v_bcnt_u32_b32 v4, v12, 0
	v_bcnt_u32_b32 v4, v13, v4
	s_waitcnt lgkmcnt(0)
	v_add_u32_e32 v4, v17, v4
	ds_write_b32 v125, v4 offset:1040
.LBB634_428:                            ;   in Loop: Header=BB634_402 Depth=2
	s_or_b64 exec, exec, s[36:37]
	v_xor_b32_e32 v123, 0x80000000, v18
	v_lshrrev_b32_e32 v4, s77, v123
	v_and_b32_e32 v12, s70, v4
	v_mad_u32_u24 v4, v12, 20, v101
	; wave barrier
	ds_read_b32 v124, v4 offset:1040
	v_and_b32_e32 v4, 1, v12
	v_add_co_u32_e32 v13, vcc, -1, v4
	v_addc_co_u32_e64 v15, s[36:37], 0, -1, vcc
	v_cmp_ne_u32_e32 vcc, 0, v4
	v_xor_b32_e32 v4, vcc_hi, v15
	v_and_b32_e32 v15, exec_hi, v4
	v_lshlrev_b32_e32 v4, 30, v12
	v_xor_b32_e32 v13, vcc_lo, v13
	v_cmp_gt_i64_e32 vcc, 0, v[3:4]
	v_not_b32_e32 v4, v4
	v_ashrrev_i32_e32 v4, 31, v4
	v_and_b32_e32 v13, exec_lo, v13
	v_xor_b32_e32 v18, vcc_hi, v4
	v_xor_b32_e32 v4, vcc_lo, v4
	v_and_b32_e32 v13, v13, v4
	v_lshlrev_b32_e32 v4, 29, v12
	v_cmp_gt_i64_e32 vcc, 0, v[3:4]
	v_not_b32_e32 v4, v4
	v_ashrrev_i32_e32 v4, 31, v4
	v_and_b32_e32 v15, v15, v18
	v_xor_b32_e32 v18, vcc_hi, v4
	v_xor_b32_e32 v4, vcc_lo, v4
	v_and_b32_e32 v13, v13, v4
	v_lshlrev_b32_e32 v4, 28, v12
	v_cmp_gt_i64_e32 vcc, 0, v[3:4]
	v_not_b32_e32 v4, v4
	v_ashrrev_i32_e32 v4, 31, v4
	v_and_b32_e32 v15, v15, v18
	;; [unrolled: 8-line block ×5, first 2 shown]
	v_xor_b32_e32 v18, vcc_hi, v4
	v_xor_b32_e32 v4, vcc_lo, v4
	v_and_b32_e32 v15, v15, v18
	v_and_b32_e32 v18, v13, v4
	v_lshlrev_b32_e32 v4, 24, v12
	v_cmp_gt_i64_e32 vcc, 0, v[3:4]
	v_not_b32_e32 v4, v4
	v_ashrrev_i32_e32 v4, 31, v4
	v_mul_u32_u24_e32 v14, 20, v12
	v_xor_b32_e32 v12, vcc_hi, v4
	v_xor_b32_e32 v4, vcc_lo, v4
	v_and_b32_e32 v13, v15, v12
	v_and_b32_e32 v12, v18, v4
	v_mbcnt_lo_u32_b32 v4, v12, 0
	v_mbcnt_hi_u32_b32 v126, v13, v4
	v_cmp_ne_u64_e32 vcc, 0, v[12:13]
	v_cmp_eq_u32_e64 s[36:37], 0, v126
	s_and_b64 s[38:39], vcc, s[36:37]
	v_add_u32_e32 v18, v101, v14
	; wave barrier
	s_and_saveexec_b64 s[36:37], s[38:39]
	s_cbranch_execz .LBB634_430
; %bb.429:                              ;   in Loop: Header=BB634_402 Depth=2
	v_bcnt_u32_b32 v4, v12, 0
	v_bcnt_u32_b32 v4, v13, v4
	s_waitcnt lgkmcnt(0)
	v_add_u32_e32 v4, v124, v4
	ds_write_b32 v18, v4 offset:1040
.LBB634_430:                            ;   in Loop: Header=BB634_402 Depth=2
	s_or_b64 exec, exec, s[36:37]
	v_xor_b32_e32 v127, 0x80000000, v19
	v_lshrrev_b32_e32 v4, s77, v127
	v_and_b32_e32 v12, s70, v4
	v_mad_u32_u24 v4, v12, 20, v101
	; wave barrier
	ds_read_b32 v128, v4 offset:1040
	v_and_b32_e32 v4, 1, v12
	v_add_co_u32_e32 v13, vcc, -1, v4
	v_addc_co_u32_e64 v15, s[36:37], 0, -1, vcc
	v_cmp_ne_u32_e32 vcc, 0, v4
	v_xor_b32_e32 v4, vcc_hi, v15
	v_and_b32_e32 v15, exec_hi, v4
	v_lshlrev_b32_e32 v4, 30, v12
	v_xor_b32_e32 v13, vcc_lo, v13
	v_cmp_gt_i64_e32 vcc, 0, v[3:4]
	v_not_b32_e32 v4, v4
	v_ashrrev_i32_e32 v4, 31, v4
	v_and_b32_e32 v13, exec_lo, v13
	v_xor_b32_e32 v19, vcc_hi, v4
	v_xor_b32_e32 v4, vcc_lo, v4
	v_and_b32_e32 v13, v13, v4
	v_lshlrev_b32_e32 v4, 29, v12
	v_cmp_gt_i64_e32 vcc, 0, v[3:4]
	v_not_b32_e32 v4, v4
	v_ashrrev_i32_e32 v4, 31, v4
	v_and_b32_e32 v15, v15, v19
	v_xor_b32_e32 v19, vcc_hi, v4
	v_xor_b32_e32 v4, vcc_lo, v4
	v_and_b32_e32 v13, v13, v4
	v_lshlrev_b32_e32 v4, 28, v12
	v_cmp_gt_i64_e32 vcc, 0, v[3:4]
	v_not_b32_e32 v4, v4
	v_ashrrev_i32_e32 v4, 31, v4
	v_and_b32_e32 v15, v15, v19
	;; [unrolled: 8-line block ×5, first 2 shown]
	v_xor_b32_e32 v19, vcc_hi, v4
	v_xor_b32_e32 v4, vcc_lo, v4
	v_and_b32_e32 v15, v15, v19
	v_and_b32_e32 v19, v13, v4
	v_lshlrev_b32_e32 v4, 24, v12
	v_cmp_gt_i64_e32 vcc, 0, v[3:4]
	v_not_b32_e32 v4, v4
	v_ashrrev_i32_e32 v4, 31, v4
	v_mul_u32_u24_e32 v14, 20, v12
	v_xor_b32_e32 v12, vcc_hi, v4
	v_xor_b32_e32 v4, vcc_lo, v4
	v_and_b32_e32 v13, v15, v12
	v_and_b32_e32 v12, v19, v4
	v_mbcnt_lo_u32_b32 v4, v12, 0
	v_mbcnt_hi_u32_b32 v129, v13, v4
	v_cmp_ne_u64_e32 vcc, 0, v[12:13]
	v_cmp_eq_u32_e64 s[36:37], 0, v129
	s_and_b64 s[38:39], vcc, s[36:37]
	v_add_u32_e32 v4, v101, v14
	; wave barrier
	s_and_saveexec_b64 s[36:37], s[38:39]
	s_cbranch_execz .LBB634_432
; %bb.431:                              ;   in Loop: Header=BB634_402 Depth=2
	v_bcnt_u32_b32 v12, v12, 0
	v_bcnt_u32_b32 v12, v13, v12
	s_waitcnt lgkmcnt(0)
	v_add_u32_e32 v12, v128, v12
	ds_write_b32 v4, v12 offset:1040
.LBB634_432:                            ;   in Loop: Header=BB634_402 Depth=2
	s_or_b64 exec, exec, s[36:37]
	; wave barrier
	s_waitcnt lgkmcnt(0)
	s_barrier
	ds_read2_b32 v[14:15], v105 offset1:1
	ds_read2_b32 v[12:13], v104 offset1:1
	ds_read_b32 v19, v48 offset:1056
	s_waitcnt lgkmcnt(1)
	v_add3_u32 v130, v15, v14, v12
	s_waitcnt lgkmcnt(0)
	v_add3_u32 v19, v130, v13, v19
	s_nop 1
	v_mov_b32_dpp v130, v19 row_shr:1 row_mask:0xf bank_mask:0xf
	v_cndmask_b32_e64 v130, v130, 0, s[16:17]
	v_add_u32_e32 v19, v130, v19
	s_nop 1
	v_mov_b32_dpp v130, v19 row_shr:2 row_mask:0xf bank_mask:0xf
	v_cndmask_b32_e64 v130, 0, v130, s[18:19]
	v_add_u32_e32 v19, v19, v130
	;; [unrolled: 4-line block ×4, first 2 shown]
	s_nop 1
	v_mov_b32_dpp v130, v19 row_bcast:15 row_mask:0xf bank_mask:0xf
	v_cndmask_b32_e64 v130, v130, 0, s[24:25]
	v_add_u32_e32 v19, v19, v130
	s_nop 1
	v_mov_b32_dpp v130, v19 row_bcast:31 row_mask:0xf bank_mask:0xf
	v_cndmask_b32_e64 v130, 0, v130, s[26:27]
	v_add_u32_e32 v19, v19, v130
	s_and_saveexec_b64 s[36:37], s[6:7]
; %bb.433:                              ;   in Loop: Header=BB634_402 Depth=2
	ds_write_b32 v44, v19 offset:1024
; %bb.434:                              ;   in Loop: Header=BB634_402 Depth=2
	s_or_b64 exec, exec, s[36:37]
	s_waitcnt lgkmcnt(0)
	s_barrier
	s_and_saveexec_b64 s[36:37], s[8:9]
	s_cbranch_execz .LBB634_436
; %bb.435:                              ;   in Loop: Header=BB634_402 Depth=2
	ds_read_b32 v130, v49 offset:1024
	s_waitcnt lgkmcnt(0)
	s_nop 0
	v_mov_b32_dpp v131, v130 row_shr:1 row_mask:0xf bank_mask:0xf
	v_cndmask_b32_e64 v131, v131, 0, s[30:31]
	v_add_u32_e32 v130, v131, v130
	s_nop 1
	v_mov_b32_dpp v131, v130 row_shr:2 row_mask:0xf bank_mask:0xf
	v_cndmask_b32_e64 v131, 0, v131, s[34:35]
	v_add_u32_e32 v130, v130, v131
	ds_write_b32 v49, v130 offset:1024
.LBB634_436:                            ;   in Loop: Header=BB634_402 Depth=2
	s_or_b64 exec, exec, s[36:37]
	v_mov_b32_e32 v130, 0
	s_waitcnt lgkmcnt(0)
	s_barrier
	s_and_saveexec_b64 s[36:37], s[10:11]
; %bb.437:                              ;   in Loop: Header=BB634_402 Depth=2
	ds_read_b32 v130, v44 offset:1020
; %bb.438:                              ;   in Loop: Header=BB634_402 Depth=2
	s_or_b64 exec, exec, s[36:37]
	s_waitcnt lgkmcnt(0)
	v_add_u32_e32 v19, v130, v19
	ds_bpermute_b32 v19, v84, v19
	s_waitcnt lgkmcnt(0)
	v_cndmask_b32_e64 v19, v19, v130, s[28:29]
	v_cndmask_b32_e64 v19, v19, 0, s[12:13]
	v_add_u32_e32 v14, v19, v14
	v_add_u32_e32 v15, v14, v15
	;; [unrolled: 1-line block ×4, first 2 shown]
	ds_write2_b32 v105, v19, v14 offset1:1
	ds_write2_b32 v104, v15, v12 offset1:1
	ds_write_b32 v48, v13 offset:1056
	s_waitcnt lgkmcnt(0)
	s_barrier
	ds_read_b32 v12, v107 offset:1040
	ds_read_b32 v13, v111 offset:1040
	ds_read_b32 v14, v115 offset:1040
	ds_read_b32 v15, v118 offset:1040
	ds_read_b32 v107, v121 offset:1040
	ds_read_b32 v111, v125 offset:1040
	ds_read_b32 v115, v18 offset:1040
	ds_read_b32 v118, v4 offset:1040
	ds_read_b32 v18, v48 offset:1040
	v_mov_b32_e32 v4, 0x800
	s_and_saveexec_b64 s[36:37], s[14:15]
; %bb.439:                              ;   in Loop: Header=BB634_402 Depth=2
	ds_read_b32 v4, v48 offset:1060
; %bb.440:                              ;   in Loop: Header=BB634_402 Depth=2
	s_or_b64 exec, exec, s[36:37]
	s_waitcnt lgkmcnt(0)
	s_barrier
	s_and_saveexec_b64 s[36:37], s[4:5]
	s_cbranch_execz .LBB634_442
; %bb.441:                              ;   in Loop: Header=BB634_402 Depth=2
	ds_read_b32 v19, v32
	s_waitcnt lgkmcnt(0)
	v_sub_u32_e32 v18, v19, v18
	ds_write_b32 v32, v18
.LBB634_442:                            ;   in Loop: Header=BB634_402 Depth=2
	s_or_b64 exec, exec, s[36:37]
	v_add_u32_e32 v105, v12, v106
	v_add3_u32 v104, v108, v31, v13
	v_lshlrev_b32_e32 v12, 2, v105
	v_add3_u32 v31, v112, v110, v14
	ds_write_b32 v12, v103 offset:1024
	v_lshlrev_b32_e32 v12, 2, v104
	v_add3_u32 v19, v116, v114, v15
	ds_write_b32 v12, v30 offset:1024
	;; [unrolled: 3-line block ×6, first 2 shown]
	v_lshlrev_b32_e32 v12, 2, v15
	ds_write_b32 v12, v123 offset:1024
	v_lshlrev_b32_e32 v12, 2, v14
	v_cmp_lt_u32_e32 vcc, v0, v102
	ds_write_b32 v12, v127 offset:1024
	s_waitcnt lgkmcnt(0)
	s_barrier
	s_and_saveexec_b64 s[38:39], vcc
	s_cbranch_execnz .LBB634_479
; %bb.443:                              ;   in Loop: Header=BB634_402 Depth=2
	s_or_b64 exec, exec, s[38:39]
	v_cmp_lt_u32_e64 s[36:37], v33, v102
	s_and_saveexec_b64 s[40:41], s[36:37]
	s_cbranch_execnz .LBB634_480
.LBB634_444:                            ;   in Loop: Header=BB634_402 Depth=2
	s_or_b64 exec, exec, s[40:41]
	v_cmp_lt_u32_e64 s[38:39], v34, v102
	s_and_saveexec_b64 s[42:43], s[38:39]
	s_cbranch_execnz .LBB634_481
.LBB634_445:                            ;   in Loop: Header=BB634_402 Depth=2
	s_or_b64 exec, exec, s[42:43]
	v_cmp_lt_u32_e64 s[40:41], v35, v102
	s_and_saveexec_b64 s[44:45], s[40:41]
	s_cbranch_execnz .LBB634_482
.LBB634_446:                            ;   in Loop: Header=BB634_402 Depth=2
	s_or_b64 exec, exec, s[44:45]
	v_cmp_lt_u32_e64 s[42:43], v38, v102
	s_and_saveexec_b64 s[46:47], s[42:43]
	s_cbranch_execnz .LBB634_483
.LBB634_447:                            ;   in Loop: Header=BB634_402 Depth=2
	s_or_b64 exec, exec, s[46:47]
	v_cmp_lt_u32_e64 s[44:45], v39, v102
	s_and_saveexec_b64 s[48:49], s[44:45]
	s_cbranch_execnz .LBB634_484
.LBB634_448:                            ;   in Loop: Header=BB634_402 Depth=2
	s_or_b64 exec, exec, s[48:49]
	v_cmp_lt_u32_e64 s[46:47], v40, v102
	s_and_saveexec_b64 s[52:53], s[46:47]
	s_cbranch_execnz .LBB634_485
.LBB634_449:                            ;   in Loop: Header=BB634_402 Depth=2
	s_or_b64 exec, exec, s[52:53]
	v_cmp_lt_u32_e64 s[48:49], v41, v102
	s_and_saveexec_b64 s[60:61], s[48:49]
	s_cbranch_execz .LBB634_451
.LBB634_450:                            ;   in Loop: Header=BB634_402 Depth=2
	ds_read_b32 v12, v49 offset:8192
	v_mov_b32_e32 v30, s67
	s_waitcnt lgkmcnt(0)
	v_lshrrev_b32_e32 v13, s77, v12
	v_and_b32_e32 v13, s70, v13
	v_lshlrev_b32_e32 v13, 2, v13
	ds_read_b32 v16, v13
	v_mov_b32_e32 v13, v3
	v_xor_b32_e32 v103, 0x80000000, v12
	s_waitcnt lgkmcnt(0)
	v_add_u32_e32 v12, v16, v41
	v_lshlrev_b64 v[12:13], 2, v[12:13]
	v_add_co_u32_e64 v12, s[52:53], s66, v12
	v_addc_co_u32_e64 v13, s[52:53], v30, v13, s[52:53]
	global_store_dword v[12:13], v103, off
.LBB634_451:                            ;   in Loop: Header=BB634_402 Depth=2
	s_or_b64 exec, exec, s[60:61]
	s_lshl_b64 s[52:53], s[58:59], 3
	v_mov_b32_e32 v13, s53
	v_add_co_u32_e64 v12, s[52:53], s52, v85
	v_addc_co_u32_e64 v13, s[52:53], v86, v13, s[52:53]
	v_cmp_lt_u32_e64 s[52:53], v80, v102
	s_and_saveexec_b64 s[60:61], s[52:53]
	s_xor_b64 s[52:53], exec, s[60:61]
	s_cbranch_execnz .LBB634_486
; %bb.452:                              ;   in Loop: Header=BB634_402 Depth=2
	s_or_b64 exec, exec, s[52:53]
	v_cmp_lt_u32_e64 s[52:53], v81, v102
	s_and_saveexec_b64 s[60:61], s[52:53]
	s_cbranch_execnz .LBB634_487
.LBB634_453:                            ;   in Loop: Header=BB634_402 Depth=2
	s_or_b64 exec, exec, s[60:61]
	v_cmp_lt_u32_e64 s[52:53], v82, v102
	s_and_saveexec_b64 s[60:61], s[52:53]
	s_cbranch_execnz .LBB634_488
.LBB634_454:                            ;   in Loop: Header=BB634_402 Depth=2
	s_or_b64 exec, exec, s[60:61]
	v_cmp_lt_u32_e64 s[52:53], v83, v102
	s_and_saveexec_b64 s[60:61], s[52:53]
	s_cbranch_execnz .LBB634_489
.LBB634_455:                            ;   in Loop: Header=BB634_402 Depth=2
	s_or_b64 exec, exec, s[60:61]
	v_cmp_lt_u32_e64 s[52:53], v87, v102
	s_and_saveexec_b64 s[60:61], s[52:53]
	s_cbranch_execnz .LBB634_490
.LBB634_456:                            ;   in Loop: Header=BB634_402 Depth=2
	s_or_b64 exec, exec, s[60:61]
	v_cmp_lt_u32_e64 s[52:53], v88, v102
	s_and_saveexec_b64 s[60:61], s[52:53]
	s_cbranch_execnz .LBB634_491
.LBB634_457:                            ;   in Loop: Header=BB634_402 Depth=2
	s_or_b64 exec, exec, s[60:61]
	v_cmp_lt_u32_e64 s[52:53], v89, v102
	s_and_saveexec_b64 s[60:61], s[52:53]
	s_cbranch_execnz .LBB634_492
.LBB634_458:                            ;   in Loop: Header=BB634_402 Depth=2
	s_or_b64 exec, exec, s[60:61]
	v_cmp_lt_u32_e64 s[52:53], v90, v102
	s_and_saveexec_b64 s[60:61], s[52:53]
	s_cbranch_execnz .LBB634_493
.LBB634_459:                            ;   in Loop: Header=BB634_402 Depth=2
	s_or_b64 exec, exec, s[60:61]
	s_and_saveexec_b64 s[52:53], vcc
	s_cbranch_execnz .LBB634_494
.LBB634_460:                            ;   in Loop: Header=BB634_402 Depth=2
	s_or_b64 exec, exec, s[52:53]
	s_and_saveexec_b64 s[52:53], s[36:37]
	s_cbranch_execnz .LBB634_495
.LBB634_461:                            ;   in Loop: Header=BB634_402 Depth=2
	s_or_b64 exec, exec, s[52:53]
	s_and_saveexec_b64 s[52:53], s[38:39]
	s_cbranch_execnz .LBB634_496
.LBB634_462:                            ;   in Loop: Header=BB634_402 Depth=2
	s_or_b64 exec, exec, s[52:53]
	s_and_saveexec_b64 s[52:53], s[40:41]
	s_cbranch_execnz .LBB634_497
.LBB634_463:                            ;   in Loop: Header=BB634_402 Depth=2
	s_or_b64 exec, exec, s[52:53]
	s_and_saveexec_b64 s[52:53], s[42:43]
	s_cbranch_execnz .LBB634_498
.LBB634_464:                            ;   in Loop: Header=BB634_402 Depth=2
	s_or_b64 exec, exec, s[52:53]
	s_and_saveexec_b64 s[52:53], s[44:45]
	s_cbranch_execnz .LBB634_499
.LBB634_465:                            ;   in Loop: Header=BB634_402 Depth=2
	s_or_b64 exec, exec, s[52:53]
	s_and_saveexec_b64 s[52:53], s[46:47]
	s_cbranch_execnz .LBB634_500
.LBB634_466:                            ;   in Loop: Header=BB634_402 Depth=2
	s_or_b64 exec, exec, s[52:53]
	s_and_saveexec_b64 s[52:53], s[48:49]
	s_cbranch_execz .LBB634_468
.LBB634_467:                            ;   in Loop: Header=BB634_402 Depth=2
	ds_read_b32 v12, v49 offset:8192
	s_waitcnt lgkmcnt(0)
	v_lshrrev_b32_e32 v12, s77, v12
	v_and_b32_e32 v91, s70, v12
.LBB634_468:                            ;   in Loop: Header=BB634_402 Depth=2
	s_or_b64 exec, exec, s[52:53]
	v_lshlrev_b32_e32 v12, 3, v105
	s_waitcnt vmcnt(0)
	s_barrier
	ds_write_b64 v12, v[28:29] offset:1024
	v_lshlrev_b32_e32 v12, 3, v104
	ds_write_b64 v12, v[26:27] offset:1024
	v_lshlrev_b32_e32 v12, 3, v31
	;; [unrolled: 2-line block ×7, first 2 shown]
	ds_write_b64 v12, v[5:6] offset:1024
	s_waitcnt lgkmcnt(0)
	s_barrier
	s_and_saveexec_b64 s[52:53], vcc
	s_cbranch_execnz .LBB634_501
; %bb.469:                              ;   in Loop: Header=BB634_402 Depth=2
	s_or_b64 exec, exec, s[52:53]
	s_and_saveexec_b64 s[52:53], s[36:37]
	s_cbranch_execnz .LBB634_502
.LBB634_470:                            ;   in Loop: Header=BB634_402 Depth=2
	s_or_b64 exec, exec, s[52:53]
	s_and_saveexec_b64 s[36:37], s[38:39]
	s_cbranch_execnz .LBB634_503
.LBB634_471:                            ;   in Loop: Header=BB634_402 Depth=2
	s_or_b64 exec, exec, s[36:37]
	s_and_saveexec_b64 s[36:37], s[40:41]
	s_cbranch_execnz .LBB634_504
.LBB634_472:                            ;   in Loop: Header=BB634_402 Depth=2
	s_or_b64 exec, exec, s[36:37]
	s_and_saveexec_b64 s[36:37], s[42:43]
	s_cbranch_execnz .LBB634_505
.LBB634_473:                            ;   in Loop: Header=BB634_402 Depth=2
	s_or_b64 exec, exec, s[36:37]
	s_and_saveexec_b64 s[36:37], s[44:45]
	s_cbranch_execnz .LBB634_506
.LBB634_474:                            ;   in Loop: Header=BB634_402 Depth=2
	s_or_b64 exec, exec, s[36:37]
	s_and_saveexec_b64 s[36:37], s[46:47]
	s_cbranch_execnz .LBB634_507
.LBB634_475:                            ;   in Loop: Header=BB634_402 Depth=2
	s_or_b64 exec, exec, s[36:37]
	s_and_saveexec_b64 s[36:37], s[48:49]
	s_cbranch_execz .LBB634_477
.LBB634_476:                            ;   in Loop: Header=BB634_402 Depth=2
	v_lshlrev_b32_e32 v12, 2, v91
	ds_read_b32 v14, v12
	v_add_u32_e32 v12, v49, v32
	ds_read_b64 v[12:13], v12 offset:15360
	v_mov_b32_e32 v15, v3
	v_mov_b32_e32 v16, s73
	s_waitcnt lgkmcnt(1)
	v_add_u32_e32 v14, v14, v41
	v_lshlrev_b64 v[14:15], 3, v[14:15]
	v_add_co_u32_e32 v14, vcc, s72, v14
	v_addc_co_u32_e32 v15, vcc, v16, v15, vcc
	s_waitcnt lgkmcnt(0)
	global_store_dwordx2 v[14:15], v[12:13], off
.LBB634_477:                            ;   in Loop: Header=BB634_402 Depth=2
	s_or_b64 exec, exec, s[36:37]
	s_waitcnt vmcnt(0)
	s_barrier
	s_and_saveexec_b64 s[36:37], s[4:5]
	s_cbranch_execz .LBB634_401
; %bb.478:                              ;   in Loop: Header=BB634_402 Depth=2
	ds_read_b32 v12, v32
	s_waitcnt lgkmcnt(0)
	v_add_u32_e32 v4, v12, v4
	ds_write_b32 v32, v4
	s_branch .LBB634_401
.LBB634_479:                            ;   in Loop: Header=BB634_402 Depth=2
	ds_read_b32 v12, v49 offset:1024
	v_mov_b32_e32 v30, s67
	s_waitcnt lgkmcnt(0)
	v_lshrrev_b32_e32 v13, s77, v12
	v_and_b32_e32 v13, s70, v13
	v_lshlrev_b32_e32 v13, 2, v13
	ds_read_b32 v16, v13
	v_mov_b32_e32 v13, v3
	v_xor_b32_e32 v103, 0x80000000, v12
	s_waitcnt lgkmcnt(0)
	v_add_u32_e32 v12, v16, v0
	v_lshlrev_b64 v[12:13], 2, v[12:13]
	v_add_co_u32_e64 v12, s[36:37], s66, v12
	v_addc_co_u32_e64 v13, s[36:37], v30, v13, s[36:37]
	global_store_dword v[12:13], v103, off
	s_or_b64 exec, exec, s[38:39]
	v_cmp_lt_u32_e64 s[36:37], v33, v102
	s_and_saveexec_b64 s[40:41], s[36:37]
	s_cbranch_execz .LBB634_444
.LBB634_480:                            ;   in Loop: Header=BB634_402 Depth=2
	ds_read_b32 v12, v49 offset:2048
	v_mov_b32_e32 v30, s67
	s_waitcnt lgkmcnt(0)
	v_lshrrev_b32_e32 v13, s77, v12
	v_and_b32_e32 v13, s70, v13
	v_lshlrev_b32_e32 v13, 2, v13
	ds_read_b32 v16, v13
	v_mov_b32_e32 v13, v3
	v_xor_b32_e32 v103, 0x80000000, v12
	s_waitcnt lgkmcnt(0)
	v_add_u32_e32 v12, v16, v33
	v_lshlrev_b64 v[12:13], 2, v[12:13]
	v_add_co_u32_e64 v12, s[38:39], s66, v12
	v_addc_co_u32_e64 v13, s[38:39], v30, v13, s[38:39]
	global_store_dword v[12:13], v103, off
	s_or_b64 exec, exec, s[40:41]
	v_cmp_lt_u32_e64 s[38:39], v34, v102
	s_and_saveexec_b64 s[42:43], s[38:39]
	s_cbranch_execz .LBB634_445
.LBB634_481:                            ;   in Loop: Header=BB634_402 Depth=2
	ds_read_b32 v12, v49 offset:3072
	v_mov_b32_e32 v30, s67
	s_waitcnt lgkmcnt(0)
	v_lshrrev_b32_e32 v13, s77, v12
	v_and_b32_e32 v13, s70, v13
	v_lshlrev_b32_e32 v13, 2, v13
	ds_read_b32 v16, v13
	v_mov_b32_e32 v13, v3
	v_xor_b32_e32 v103, 0x80000000, v12
	s_waitcnt lgkmcnt(0)
	v_add_u32_e32 v12, v16, v34
	v_lshlrev_b64 v[12:13], 2, v[12:13]
	v_add_co_u32_e64 v12, s[40:41], s66, v12
	v_addc_co_u32_e64 v13, s[40:41], v30, v13, s[40:41]
	global_store_dword v[12:13], v103, off
	s_or_b64 exec, exec, s[42:43]
	v_cmp_lt_u32_e64 s[40:41], v35, v102
	s_and_saveexec_b64 s[44:45], s[40:41]
	s_cbranch_execz .LBB634_446
.LBB634_482:                            ;   in Loop: Header=BB634_402 Depth=2
	ds_read_b32 v12, v49 offset:4096
	v_mov_b32_e32 v30, s67
	s_waitcnt lgkmcnt(0)
	v_lshrrev_b32_e32 v13, s77, v12
	v_and_b32_e32 v13, s70, v13
	v_lshlrev_b32_e32 v13, 2, v13
	ds_read_b32 v16, v13
	v_mov_b32_e32 v13, v3
	v_xor_b32_e32 v103, 0x80000000, v12
	s_waitcnt lgkmcnt(0)
	v_add_u32_e32 v12, v16, v35
	v_lshlrev_b64 v[12:13], 2, v[12:13]
	v_add_co_u32_e64 v12, s[42:43], s66, v12
	v_addc_co_u32_e64 v13, s[42:43], v30, v13, s[42:43]
	global_store_dword v[12:13], v103, off
	s_or_b64 exec, exec, s[44:45]
	v_cmp_lt_u32_e64 s[42:43], v38, v102
	s_and_saveexec_b64 s[46:47], s[42:43]
	s_cbranch_execz .LBB634_447
.LBB634_483:                            ;   in Loop: Header=BB634_402 Depth=2
	ds_read_b32 v12, v49 offset:5120
	v_mov_b32_e32 v30, s67
	s_waitcnt lgkmcnt(0)
	v_lshrrev_b32_e32 v13, s77, v12
	v_and_b32_e32 v13, s70, v13
	v_lshlrev_b32_e32 v13, 2, v13
	ds_read_b32 v16, v13
	v_mov_b32_e32 v13, v3
	v_xor_b32_e32 v103, 0x80000000, v12
	s_waitcnt lgkmcnt(0)
	v_add_u32_e32 v12, v16, v38
	v_lshlrev_b64 v[12:13], 2, v[12:13]
	v_add_co_u32_e64 v12, s[44:45], s66, v12
	v_addc_co_u32_e64 v13, s[44:45], v30, v13, s[44:45]
	global_store_dword v[12:13], v103, off
	s_or_b64 exec, exec, s[46:47]
	v_cmp_lt_u32_e64 s[44:45], v39, v102
	s_and_saveexec_b64 s[48:49], s[44:45]
	s_cbranch_execz .LBB634_448
.LBB634_484:                            ;   in Loop: Header=BB634_402 Depth=2
	ds_read_b32 v12, v49 offset:6144
	v_mov_b32_e32 v30, s67
	s_waitcnt lgkmcnt(0)
	v_lshrrev_b32_e32 v13, s77, v12
	v_and_b32_e32 v13, s70, v13
	v_lshlrev_b32_e32 v13, 2, v13
	ds_read_b32 v16, v13
	v_mov_b32_e32 v13, v3
	v_xor_b32_e32 v103, 0x80000000, v12
	s_waitcnt lgkmcnt(0)
	v_add_u32_e32 v12, v16, v39
	v_lshlrev_b64 v[12:13], 2, v[12:13]
	v_add_co_u32_e64 v12, s[46:47], s66, v12
	v_addc_co_u32_e64 v13, s[46:47], v30, v13, s[46:47]
	global_store_dword v[12:13], v103, off
	s_or_b64 exec, exec, s[48:49]
	v_cmp_lt_u32_e64 s[46:47], v40, v102
	s_and_saveexec_b64 s[52:53], s[46:47]
	s_cbranch_execz .LBB634_449
.LBB634_485:                            ;   in Loop: Header=BB634_402 Depth=2
	ds_read_b32 v12, v49 offset:7168
	v_mov_b32_e32 v30, s67
	s_waitcnt lgkmcnt(0)
	v_lshrrev_b32_e32 v13, s77, v12
	v_and_b32_e32 v13, s70, v13
	v_lshlrev_b32_e32 v13, 2, v13
	ds_read_b32 v16, v13
	v_mov_b32_e32 v13, v3
	v_xor_b32_e32 v103, 0x80000000, v12
	s_waitcnt lgkmcnt(0)
	v_add_u32_e32 v12, v16, v40
	v_lshlrev_b64 v[12:13], 2, v[12:13]
	v_add_co_u32_e64 v12, s[48:49], s66, v12
	v_addc_co_u32_e64 v13, s[48:49], v30, v13, s[48:49]
	global_store_dword v[12:13], v103, off
	s_or_b64 exec, exec, s[52:53]
	v_cmp_lt_u32_e64 s[48:49], v41, v102
	s_and_saveexec_b64 s[60:61], s[48:49]
	s_cbranch_execnz .LBB634_450
	s_branch .LBB634_451
.LBB634_486:                            ;   in Loop: Header=BB634_402 Depth=2
	global_load_dwordx2 v[28:29], v[12:13], off
	s_or_b64 exec, exec, s[52:53]
	v_cmp_lt_u32_e64 s[52:53], v81, v102
	s_and_saveexec_b64 s[60:61], s[52:53]
	s_cbranch_execz .LBB634_453
.LBB634_487:                            ;   in Loop: Header=BB634_402 Depth=2
	global_load_dwordx2 v[26:27], v[12:13], off offset:512
	s_or_b64 exec, exec, s[60:61]
	v_cmp_lt_u32_e64 s[52:53], v82, v102
	s_and_saveexec_b64 s[60:61], s[52:53]
	s_cbranch_execz .LBB634_454
.LBB634_488:                            ;   in Loop: Header=BB634_402 Depth=2
	global_load_dwordx2 v[24:25], v[12:13], off offset:1024
	s_or_b64 exec, exec, s[60:61]
	v_cmp_lt_u32_e64 s[52:53], v83, v102
	s_and_saveexec_b64 s[60:61], s[52:53]
	s_cbranch_execz .LBB634_455
.LBB634_489:                            ;   in Loop: Header=BB634_402 Depth=2
	global_load_dwordx2 v[22:23], v[12:13], off offset:1536
	s_or_b64 exec, exec, s[60:61]
	v_cmp_lt_u32_e64 s[52:53], v87, v102
	s_and_saveexec_b64 s[60:61], s[52:53]
	s_cbranch_execz .LBB634_456
.LBB634_490:                            ;   in Loop: Header=BB634_402 Depth=2
	global_load_dwordx2 v[20:21], v[12:13], off offset:2048
	s_or_b64 exec, exec, s[60:61]
	v_cmp_lt_u32_e64 s[52:53], v88, v102
	s_and_saveexec_b64 s[60:61], s[52:53]
	s_cbranch_execz .LBB634_457
.LBB634_491:                            ;   in Loop: Header=BB634_402 Depth=2
	global_load_dwordx2 v[9:10], v[12:13], off offset:2560
	s_or_b64 exec, exec, s[60:61]
	v_cmp_lt_u32_e64 s[52:53], v89, v102
	s_and_saveexec_b64 s[60:61], s[52:53]
	s_cbranch_execz .LBB634_458
.LBB634_492:                            ;   in Loop: Header=BB634_402 Depth=2
	global_load_dwordx2 v[7:8], v[12:13], off offset:3072
	s_or_b64 exec, exec, s[60:61]
	v_cmp_lt_u32_e64 s[52:53], v90, v102
	s_and_saveexec_b64 s[60:61], s[52:53]
	s_cbranch_execz .LBB634_459
.LBB634_493:                            ;   in Loop: Header=BB634_402 Depth=2
	global_load_dwordx2 v[5:6], v[12:13], off offset:3584
	s_or_b64 exec, exec, s[60:61]
	s_and_saveexec_b64 s[52:53], vcc
	s_cbranch_execz .LBB634_460
.LBB634_494:                            ;   in Loop: Header=BB634_402 Depth=2
	ds_read_b32 v12, v49 offset:1024
	s_waitcnt lgkmcnt(0)
	v_lshrrev_b32_e32 v12, s77, v12
	v_and_b32_e32 v99, s70, v12
	s_or_b64 exec, exec, s[52:53]
	s_and_saveexec_b64 s[52:53], s[36:37]
	s_cbranch_execz .LBB634_461
.LBB634_495:                            ;   in Loop: Header=BB634_402 Depth=2
	ds_read_b32 v12, v49 offset:2048
	s_waitcnt lgkmcnt(0)
	v_lshrrev_b32_e32 v12, s77, v12
	v_and_b32_e32 v97, s70, v12
	s_or_b64 exec, exec, s[52:53]
	s_and_saveexec_b64 s[52:53], s[38:39]
	s_cbranch_execz .LBB634_462
.LBB634_496:                            ;   in Loop: Header=BB634_402 Depth=2
	ds_read_b32 v12, v49 offset:3072
	s_waitcnt lgkmcnt(0)
	v_lshrrev_b32_e32 v12, s77, v12
	v_and_b32_e32 v96, s70, v12
	s_or_b64 exec, exec, s[52:53]
	s_and_saveexec_b64 s[52:53], s[40:41]
	s_cbranch_execz .LBB634_463
.LBB634_497:                            ;   in Loop: Header=BB634_402 Depth=2
	ds_read_b32 v12, v49 offset:4096
	s_waitcnt lgkmcnt(0)
	v_lshrrev_b32_e32 v12, s77, v12
	v_and_b32_e32 v95, s70, v12
	s_or_b64 exec, exec, s[52:53]
	s_and_saveexec_b64 s[52:53], s[42:43]
	s_cbranch_execz .LBB634_464
.LBB634_498:                            ;   in Loop: Header=BB634_402 Depth=2
	ds_read_b32 v12, v49 offset:5120
	s_waitcnt lgkmcnt(0)
	v_lshrrev_b32_e32 v12, s77, v12
	v_and_b32_e32 v94, s70, v12
	s_or_b64 exec, exec, s[52:53]
	s_and_saveexec_b64 s[52:53], s[44:45]
	s_cbranch_execz .LBB634_465
.LBB634_499:                            ;   in Loop: Header=BB634_402 Depth=2
	ds_read_b32 v12, v49 offset:6144
	s_waitcnt lgkmcnt(0)
	v_lshrrev_b32_e32 v12, s77, v12
	v_and_b32_e32 v93, s70, v12
	s_or_b64 exec, exec, s[52:53]
	s_and_saveexec_b64 s[52:53], s[46:47]
	s_cbranch_execz .LBB634_466
.LBB634_500:                            ;   in Loop: Header=BB634_402 Depth=2
	ds_read_b32 v12, v49 offset:7168
	s_waitcnt lgkmcnt(0)
	v_lshrrev_b32_e32 v12, s77, v12
	v_and_b32_e32 v92, s70, v12
	s_or_b64 exec, exec, s[52:53]
	s_and_saveexec_b64 s[52:53], s[48:49]
	s_cbranch_execnz .LBB634_467
	s_branch .LBB634_468
.LBB634_501:                            ;   in Loop: Header=BB634_402 Depth=2
	v_lshlrev_b32_e32 v12, 2, v99
	ds_read_b32 v14, v12
	v_add_u32_e32 v12, v49, v32
	ds_read_b64 v[12:13], v12 offset:1024
	v_mov_b32_e32 v15, v3
	v_mov_b32_e32 v16, s73
	s_waitcnt lgkmcnt(1)
	v_add_u32_e32 v14, v14, v0
	v_lshlrev_b64 v[14:15], 3, v[14:15]
	v_add_co_u32_e32 v14, vcc, s72, v14
	v_addc_co_u32_e32 v15, vcc, v16, v15, vcc
	s_waitcnt lgkmcnt(0)
	global_store_dwordx2 v[14:15], v[12:13], off
	s_or_b64 exec, exec, s[52:53]
	s_and_saveexec_b64 s[52:53], s[36:37]
	s_cbranch_execz .LBB634_470
.LBB634_502:                            ;   in Loop: Header=BB634_402 Depth=2
	v_lshlrev_b32_e32 v12, 2, v97
	ds_read_b32 v14, v12
	v_add_u32_e32 v12, v49, v32
	ds_read_b64 v[12:13], v12 offset:3072
	v_mov_b32_e32 v15, v3
	v_mov_b32_e32 v16, s73
	s_waitcnt lgkmcnt(1)
	v_add_u32_e32 v14, v14, v33
	v_lshlrev_b64 v[14:15], 3, v[14:15]
	v_add_co_u32_e32 v14, vcc, s72, v14
	v_addc_co_u32_e32 v15, vcc, v16, v15, vcc
	s_waitcnt lgkmcnt(0)
	global_store_dwordx2 v[14:15], v[12:13], off
	s_or_b64 exec, exec, s[52:53]
	s_and_saveexec_b64 s[36:37], s[38:39]
	s_cbranch_execz .LBB634_471
.LBB634_503:                            ;   in Loop: Header=BB634_402 Depth=2
	v_lshlrev_b32_e32 v12, 2, v96
	ds_read_b32 v14, v12
	v_add_u32_e32 v12, v49, v32
	ds_read_b64 v[12:13], v12 offset:5120
	v_mov_b32_e32 v15, v3
	v_mov_b32_e32 v16, s73
	s_waitcnt lgkmcnt(1)
	v_add_u32_e32 v14, v14, v34
	v_lshlrev_b64 v[14:15], 3, v[14:15]
	v_add_co_u32_e32 v14, vcc, s72, v14
	v_addc_co_u32_e32 v15, vcc, v16, v15, vcc
	s_waitcnt lgkmcnt(0)
	global_store_dwordx2 v[14:15], v[12:13], off
	s_or_b64 exec, exec, s[36:37]
	s_and_saveexec_b64 s[36:37], s[40:41]
	s_cbranch_execz .LBB634_472
.LBB634_504:                            ;   in Loop: Header=BB634_402 Depth=2
	v_lshlrev_b32_e32 v12, 2, v95
	ds_read_b32 v14, v12
	v_add_u32_e32 v12, v49, v32
	ds_read_b64 v[12:13], v12 offset:7168
	v_mov_b32_e32 v15, v3
	v_mov_b32_e32 v16, s73
	s_waitcnt lgkmcnt(1)
	v_add_u32_e32 v14, v14, v35
	v_lshlrev_b64 v[14:15], 3, v[14:15]
	v_add_co_u32_e32 v14, vcc, s72, v14
	v_addc_co_u32_e32 v15, vcc, v16, v15, vcc
	s_waitcnt lgkmcnt(0)
	global_store_dwordx2 v[14:15], v[12:13], off
	s_or_b64 exec, exec, s[36:37]
	s_and_saveexec_b64 s[36:37], s[42:43]
	s_cbranch_execz .LBB634_473
.LBB634_505:                            ;   in Loop: Header=BB634_402 Depth=2
	v_lshlrev_b32_e32 v12, 2, v94
	ds_read_b32 v14, v12
	v_add_u32_e32 v12, v49, v32
	ds_read_b64 v[12:13], v12 offset:9216
	v_mov_b32_e32 v15, v3
	v_mov_b32_e32 v16, s73
	s_waitcnt lgkmcnt(1)
	v_add_u32_e32 v14, v14, v38
	v_lshlrev_b64 v[14:15], 3, v[14:15]
	v_add_co_u32_e32 v14, vcc, s72, v14
	v_addc_co_u32_e32 v15, vcc, v16, v15, vcc
	s_waitcnt lgkmcnt(0)
	global_store_dwordx2 v[14:15], v[12:13], off
	s_or_b64 exec, exec, s[36:37]
	s_and_saveexec_b64 s[36:37], s[44:45]
	s_cbranch_execz .LBB634_474
.LBB634_506:                            ;   in Loop: Header=BB634_402 Depth=2
	v_lshlrev_b32_e32 v12, 2, v93
	ds_read_b32 v14, v12
	v_add_u32_e32 v12, v49, v32
	ds_read_b64 v[12:13], v12 offset:11264
	v_mov_b32_e32 v15, v3
	v_mov_b32_e32 v16, s73
	s_waitcnt lgkmcnt(1)
	v_add_u32_e32 v14, v14, v39
	v_lshlrev_b64 v[14:15], 3, v[14:15]
	v_add_co_u32_e32 v14, vcc, s72, v14
	v_addc_co_u32_e32 v15, vcc, v16, v15, vcc
	s_waitcnt lgkmcnt(0)
	global_store_dwordx2 v[14:15], v[12:13], off
	s_or_b64 exec, exec, s[36:37]
	s_and_saveexec_b64 s[36:37], s[46:47]
	s_cbranch_execz .LBB634_475
.LBB634_507:                            ;   in Loop: Header=BB634_402 Depth=2
	v_lshlrev_b32_e32 v12, 2, v92
	ds_read_b32 v14, v12
	v_add_u32_e32 v12, v49, v32
	ds_read_b64 v[12:13], v12 offset:13312
	v_mov_b32_e32 v15, v3
	v_mov_b32_e32 v16, s73
	s_waitcnt lgkmcnt(1)
	v_add_u32_e32 v14, v14, v40
	v_lshlrev_b64 v[14:15], 3, v[14:15]
	v_add_co_u32_e32 v14, vcc, s72, v14
	v_addc_co_u32_e32 v15, vcc, v16, v15, vcc
	s_waitcnt lgkmcnt(0)
	global_store_dwordx2 v[14:15], v[12:13], off
	s_or_b64 exec, exec, s[36:37]
	s_and_saveexec_b64 s[36:37], s[48:49]
	s_cbranch_execnz .LBB634_476
	s_branch .LBB634_477
.LBB634_508:                            ;   in Loop: Header=BB634_402 Depth=2
	global_load_dword v12, v[30:31], off
	v_mov_b32_e32 v13, v11
	v_mov_b32_e32 v14, v11
	;; [unrolled: 1-line block ×7, first 2 shown]
	s_or_b64 exec, exec, s[36:37]
	v_cmp_gt_u32_e32 vcc, s71, v81
	s_and_saveexec_b64 s[36:37], vcc
	s_cbranch_execz .LBB634_407
.LBB634_509:                            ;   in Loop: Header=BB634_402 Depth=2
	global_load_dword v13, v[30:31], off offset:256
	s_or_b64 exec, exec, s[36:37]
	v_cmp_gt_u32_e32 vcc, s71, v82
	s_and_saveexec_b64 s[36:37], vcc
	s_cbranch_execz .LBB634_408
.LBB634_510:                            ;   in Loop: Header=BB634_402 Depth=2
	global_load_dword v14, v[30:31], off offset:512
	s_or_b64 exec, exec, s[36:37]
	v_cmp_gt_u32_e32 vcc, s71, v83
	s_and_saveexec_b64 s[36:37], vcc
	s_cbranch_execz .LBB634_409
.LBB634_511:                            ;   in Loop: Header=BB634_402 Depth=2
	global_load_dword v15, v[30:31], off offset:768
	s_or_b64 exec, exec, s[36:37]
	v_cmp_gt_u32_e32 vcc, s71, v87
	s_and_saveexec_b64 s[36:37], vcc
	s_cbranch_execz .LBB634_410
.LBB634_512:                            ;   in Loop: Header=BB634_402 Depth=2
	global_load_dword v16, v[30:31], off offset:1024
	s_or_b64 exec, exec, s[36:37]
	v_cmp_gt_u32_e32 vcc, s71, v88
	s_and_saveexec_b64 s[36:37], vcc
	s_cbranch_execz .LBB634_411
.LBB634_513:                            ;   in Loop: Header=BB634_402 Depth=2
	global_load_dword v17, v[30:31], off offset:1280
	s_or_b64 exec, exec, s[36:37]
	v_cmp_gt_u32_e32 vcc, s71, v89
	s_and_saveexec_b64 s[36:37], vcc
	s_cbranch_execnz .LBB634_412
	s_branch .LBB634_413
.LBB634_514:                            ;   in Loop: Header=BB634_20 Depth=1
	s_waitcnt lgkmcnt(0)
	s_barrier
	s_mov_b64 s[16:17], 0
.LBB634_515:                            ;   in Loop: Header=BB634_20 Depth=1
	s_and_b64 vcc, exec, s[16:17]
	s_cbranch_vccz .LBB634_19
; %bb.516:                              ;   in Loop: Header=BB634_20 Depth=1
	v_mov_b32_e32 v10, v3
	v_mov_b32_e32 v4, v3
	;; [unrolled: 1-line block ×8, first 2 shown]
	s_mov_b32 s20, s79
	s_mov_b32 s58, s51
	v_mov_b32_e32 v18, v9
	v_mov_b32_e32 v17, v8
	;; [unrolled: 1-line block ×7, first 2 shown]
	s_barrier
	s_branch .LBB634_518
.LBB634_517:                            ;   in Loop: Header=BB634_518 Depth=2
	s_or_b64 exec, exec, s[16:17]
	s_addk_i32 s20, 0xf800
	s_cmp_ge_u32 s21, s63
	s_mov_b32 s58, s21
	s_cbranch_scc1 .LBB634_554
.LBB634_518:                            ;   Parent Loop BB634_20 Depth=1
                                        ; =>  This Inner Loop Header: Depth=2
	s_add_i32 s21, s58, 0x800
	s_cmp_gt_u32 s21, s63
	s_mov_b64 s[16:17], -1
                                        ; implicit-def: $vgpr20_vgpr21_vgpr22_vgpr23_vgpr24_vgpr25_vgpr26_vgpr27
	s_cbranch_scc1 .LBB634_520
; %bb.519:                              ;   in Loop: Header=BB634_518 Depth=2
	s_lshl_b64 s[16:17], s[58:59], 2
	v_mov_b32_e32 v5, s17
	v_add_co_u32_e32 v4, vcc, s16, v60
	v_addc_co_u32_e32 v5, vcc, v61, v5, vcc
	v_add_co_u32_e32 v6, vcc, 0x1000, v4
	v_addc_co_u32_e32 v7, vcc, 0, v5, vcc
	global_load_dword v20, v[4:5], off
	global_load_dword v21, v[4:5], off offset:1024
	global_load_dword v22, v[4:5], off offset:2048
	;; [unrolled: 1-line block ×3, first 2 shown]
	global_load_dword v24, v[6:7], off
	global_load_dword v25, v[6:7], off offset:1024
	global_load_dword v26, v[6:7], off offset:2048
	;; [unrolled: 1-line block ×3, first 2 shown]
	s_mov_b64 s[16:17], 0
.LBB634_520:                            ;   in Loop: Header=BB634_518 Depth=2
	s_andn2_b64 vcc, exec, s[16:17]
	s_movk_i32 s18, 0x800
	s_cbranch_vccnz .LBB634_531
; %bb.521:                              ;   in Loop: Header=BB634_518 Depth=2
	s_lshl_b64 s[16:17], s[58:59], 2
	s_add_u32 s16, s64, s16
	s_addc_u32 s17, s65, s17
	v_cmp_gt_u32_e32 vcc, s20, v0
	s_and_saveexec_b64 s[18:19], vcc
	s_cbranch_execnz .LBB634_547
; %bb.522:                              ;   in Loop: Header=BB634_518 Depth=2
	s_or_b64 exec, exec, s[18:19]
	v_cmp_gt_u32_e32 vcc, s20, v33
	s_and_saveexec_b64 s[18:19], vcc
	s_cbranch_execnz .LBB634_548
.LBB634_523:                            ;   in Loop: Header=BB634_518 Depth=2
	s_or_b64 exec, exec, s[18:19]
	v_cmp_gt_u32_e32 vcc, s20, v34
	s_and_saveexec_b64 s[18:19], vcc
	s_cbranch_execnz .LBB634_549
.LBB634_524:                            ;   in Loop: Header=BB634_518 Depth=2
	s_or_b64 exec, exec, s[18:19]
	v_cmp_gt_u32_e32 vcc, s20, v35
	s_and_saveexec_b64 s[18:19], vcc
	s_cbranch_execnz .LBB634_550
.LBB634_525:                            ;   in Loop: Header=BB634_518 Depth=2
	s_or_b64 exec, exec, s[18:19]
	v_cmp_gt_u32_e32 vcc, s20, v38
	s_and_saveexec_b64 s[18:19], vcc
	s_cbranch_execnz .LBB634_551
.LBB634_526:                            ;   in Loop: Header=BB634_518 Depth=2
	s_or_b64 exec, exec, s[18:19]
	v_cmp_gt_u32_e32 vcc, s20, v39
	s_and_saveexec_b64 s[18:19], vcc
	s_cbranch_execnz .LBB634_552
.LBB634_527:                            ;   in Loop: Header=BB634_518 Depth=2
	s_or_b64 exec, exec, s[18:19]
	v_cmp_gt_u32_e32 vcc, s20, v40
	s_and_saveexec_b64 s[18:19], vcc
	s_cbranch_execnz .LBB634_553
.LBB634_528:                            ;   in Loop: Header=BB634_518 Depth=2
	s_or_b64 exec, exec, s[18:19]
	v_cmp_gt_u32_e32 vcc, s20, v41
	s_and_saveexec_b64 s[18:19], vcc
	s_cbranch_execz .LBB634_530
.LBB634_529:                            ;   in Loop: Header=BB634_518 Depth=2
	global_load_dword v19, v71, s[16:17]
.LBB634_530:                            ;   in Loop: Header=BB634_518 Depth=2
	s_or_b64 exec, exec, s[18:19]
	s_waitcnt vmcnt(0)
	v_mov_b32_e32 v27, v19
	s_mov_b32 s18, s20
	v_mov_b32_e32 v26, v18
	v_mov_b32_e32 v25, v17
	;; [unrolled: 1-line block ×7, first 2 shown]
.LBB634_531:                            ;   in Loop: Header=BB634_518 Depth=2
	s_waitcnt vmcnt(0)
	v_mov_b32_e32 v12, v20
	v_mov_b32_e32 v13, v21
	;; [unrolled: 1-line block ×8, first 2 shown]
	v_cmp_gt_u32_e32 vcc, s18, v0
	s_and_saveexec_b64 s[16:17], vcc
	s_cbranch_execnz .LBB634_539
; %bb.532:                              ;   in Loop: Header=BB634_518 Depth=2
	s_or_b64 exec, exec, s[16:17]
	v_cmp_gt_u32_e32 vcc, s18, v33
	s_and_saveexec_b64 s[16:17], vcc
	s_cbranch_execnz .LBB634_540
.LBB634_533:                            ;   in Loop: Header=BB634_518 Depth=2
	s_or_b64 exec, exec, s[16:17]
	v_cmp_gt_u32_e32 vcc, s18, v34
	s_and_saveexec_b64 s[16:17], vcc
	s_cbranch_execnz .LBB634_541
.LBB634_534:                            ;   in Loop: Header=BB634_518 Depth=2
	s_or_b64 exec, exec, s[16:17]
	v_cmp_gt_u32_e32 vcc, s18, v35
	s_and_saveexec_b64 s[16:17], vcc
	s_cbranch_execnz .LBB634_542
.LBB634_535:                            ;   in Loop: Header=BB634_518 Depth=2
	s_or_b64 exec, exec, s[16:17]
	v_cmp_gt_u32_e32 vcc, s18, v38
	s_and_saveexec_b64 s[16:17], vcc
	s_cbranch_execnz .LBB634_543
.LBB634_536:                            ;   in Loop: Header=BB634_518 Depth=2
	s_or_b64 exec, exec, s[16:17]
	v_cmp_gt_u32_e32 vcc, s18, v39
	s_and_saveexec_b64 s[16:17], vcc
	s_cbranch_execnz .LBB634_544
.LBB634_537:                            ;   in Loop: Header=BB634_518 Depth=2
	s_or_b64 exec, exec, s[16:17]
	v_cmp_gt_u32_e32 vcc, s18, v40
	s_and_saveexec_b64 s[16:17], vcc
	s_cbranch_execnz .LBB634_545
.LBB634_538:                            ;   in Loop: Header=BB634_518 Depth=2
	s_or_b64 exec, exec, s[16:17]
	v_cmp_gt_u32_e32 vcc, s18, v41
	s_and_saveexec_b64 s[16:17], vcc
	s_cbranch_execz .LBB634_517
	s_branch .LBB634_546
.LBB634_539:                            ;   in Loop: Header=BB634_518 Depth=2
	v_xor_b32_e32 v4, 0x80000000, v12
	v_lshrrev_b32_e32 v4, s77, v4
	v_and_b32_e32 v4, s70, v4
	v_lshl_or_b32 v4, v4, 4, v42
	ds_add_u32 v4, v66
	s_or_b64 exec, exec, s[16:17]
	v_cmp_gt_u32_e32 vcc, s18, v33
	s_and_saveexec_b64 s[16:17], vcc
	s_cbranch_execz .LBB634_533
.LBB634_540:                            ;   in Loop: Header=BB634_518 Depth=2
	v_xor_b32_e32 v4, 0x80000000, v13
	v_lshrrev_b32_e32 v4, s77, v4
	v_and_b32_e32 v4, s70, v4
	v_lshl_or_b32 v4, v4, 4, v42
	ds_add_u32 v4, v66
	s_or_b64 exec, exec, s[16:17]
	v_cmp_gt_u32_e32 vcc, s18, v34
	s_and_saveexec_b64 s[16:17], vcc
	s_cbranch_execz .LBB634_534
.LBB634_541:                            ;   in Loop: Header=BB634_518 Depth=2
	v_xor_b32_e32 v4, 0x80000000, v14
	v_lshrrev_b32_e32 v4, s77, v4
	v_and_b32_e32 v4, s70, v4
	v_lshl_or_b32 v4, v4, 4, v42
	ds_add_u32 v4, v66
	s_or_b64 exec, exec, s[16:17]
	v_cmp_gt_u32_e32 vcc, s18, v35
	s_and_saveexec_b64 s[16:17], vcc
	s_cbranch_execz .LBB634_535
.LBB634_542:                            ;   in Loop: Header=BB634_518 Depth=2
	v_xor_b32_e32 v4, 0x80000000, v15
	v_lshrrev_b32_e32 v4, s77, v4
	v_and_b32_e32 v4, s70, v4
	v_lshl_or_b32 v4, v4, 4, v42
	ds_add_u32 v4, v66
	s_or_b64 exec, exec, s[16:17]
	v_cmp_gt_u32_e32 vcc, s18, v38
	s_and_saveexec_b64 s[16:17], vcc
	s_cbranch_execz .LBB634_536
.LBB634_543:                            ;   in Loop: Header=BB634_518 Depth=2
	v_xor_b32_e32 v4, 0x80000000, v16
	v_lshrrev_b32_e32 v4, s77, v4
	v_and_b32_e32 v4, s70, v4
	v_lshl_or_b32 v4, v4, 4, v42
	ds_add_u32 v4, v66
	s_or_b64 exec, exec, s[16:17]
	v_cmp_gt_u32_e32 vcc, s18, v39
	s_and_saveexec_b64 s[16:17], vcc
	s_cbranch_execz .LBB634_537
.LBB634_544:                            ;   in Loop: Header=BB634_518 Depth=2
	v_xor_b32_e32 v4, 0x80000000, v17
	v_lshrrev_b32_e32 v4, s77, v4
	v_and_b32_e32 v4, s70, v4
	v_lshl_or_b32 v4, v4, 4, v42
	ds_add_u32 v4, v66
	s_or_b64 exec, exec, s[16:17]
	v_cmp_gt_u32_e32 vcc, s18, v40
	s_and_saveexec_b64 s[16:17], vcc
	s_cbranch_execz .LBB634_538
.LBB634_545:                            ;   in Loop: Header=BB634_518 Depth=2
	v_xor_b32_e32 v4, 0x80000000, v18
	v_lshrrev_b32_e32 v4, s77, v4
	v_and_b32_e32 v4, s70, v4
	v_lshl_or_b32 v4, v4, 4, v42
	ds_add_u32 v4, v66
	s_or_b64 exec, exec, s[16:17]
	v_cmp_gt_u32_e32 vcc, s18, v41
	s_and_saveexec_b64 s[16:17], vcc
	s_cbranch_execz .LBB634_517
.LBB634_546:                            ;   in Loop: Header=BB634_518 Depth=2
	v_xor_b32_e32 v4, 0x80000000, v19
	v_lshrrev_b32_e32 v4, s77, v4
	v_and_b32_e32 v4, s70, v4
	v_lshl_or_b32 v4, v4, 4, v42
	ds_add_u32 v4, v66
	s_branch .LBB634_517
.LBB634_547:                            ;   in Loop: Header=BB634_518 Depth=2
	global_load_dword v12, v67, s[16:17]
	s_or_b64 exec, exec, s[18:19]
	v_cmp_gt_u32_e32 vcc, s20, v33
	s_and_saveexec_b64 s[18:19], vcc
	s_cbranch_execz .LBB634_523
.LBB634_548:                            ;   in Loop: Header=BB634_518 Depth=2
	global_load_dword v13, v67, s[16:17] offset:1024
	s_or_b64 exec, exec, s[18:19]
	v_cmp_gt_u32_e32 vcc, s20, v34
	s_and_saveexec_b64 s[18:19], vcc
	s_cbranch_execz .LBB634_524
.LBB634_549:                            ;   in Loop: Header=BB634_518 Depth=2
	global_load_dword v14, v67, s[16:17] offset:2048
	s_or_b64 exec, exec, s[18:19]
	v_cmp_gt_u32_e32 vcc, s20, v35
	s_and_saveexec_b64 s[18:19], vcc
	s_cbranch_execz .LBB634_525
.LBB634_550:                            ;   in Loop: Header=BB634_518 Depth=2
	global_load_dword v15, v67, s[16:17] offset:3072
	s_or_b64 exec, exec, s[18:19]
	v_cmp_gt_u32_e32 vcc, s20, v38
	s_and_saveexec_b64 s[18:19], vcc
	s_cbranch_execz .LBB634_526
.LBB634_551:                            ;   in Loop: Header=BB634_518 Depth=2
	global_load_dword v16, v68, s[16:17]
	s_or_b64 exec, exec, s[18:19]
	v_cmp_gt_u32_e32 vcc, s20, v39
	s_and_saveexec_b64 s[18:19], vcc
	s_cbranch_execz .LBB634_527
.LBB634_552:                            ;   in Loop: Header=BB634_518 Depth=2
	global_load_dword v17, v69, s[16:17]
	s_or_b64 exec, exec, s[18:19]
	v_cmp_gt_u32_e32 vcc, s20, v40
	s_and_saveexec_b64 s[18:19], vcc
	s_cbranch_execz .LBB634_528
.LBB634_553:                            ;   in Loop: Header=BB634_518 Depth=2
	global_load_dword v18, v70, s[16:17]
	s_or_b64 exec, exec, s[18:19]
	v_cmp_gt_u32_e32 vcc, s20, v41
	s_and_saveexec_b64 s[18:19], vcc
	s_cbranch_execnz .LBB634_529
	s_branch .LBB634_530
.LBB634_554:                            ;   in Loop: Header=BB634_20 Depth=1
	v_mov_b32_e32 v4, 0
	s_waitcnt lgkmcnt(0)
	s_barrier
	s_and_saveexec_b64 s[16:17], s[4:5]
	s_cbranch_execz .LBB634_556
; %bb.555:                              ;   in Loop: Header=BB634_20 Depth=1
	ds_read2_b64 v[4:7], v43 offset1:1
	s_waitcnt lgkmcnt(0)
	v_add_u32_e32 v4, v5, v4
	v_add3_u32 v4, v4, v6, v7
.LBB634_556:                            ;   in Loop: Header=BB634_20 Depth=1
	s_or_b64 exec, exec, s[16:17]
	s_nop 0
	v_mov_b32_dpp v5, v4 row_shr:1 row_mask:0xf bank_mask:0xf
	v_cmp_eq_u32_e64 s[16:17], 0, v73
	v_cndmask_b32_e64 v5, v5, 0, s[16:17]
	v_add_u32_e32 v4, v5, v4
	v_cmp_lt_u32_e64 s[18:19], 1, v73
	v_cmp_lt_u32_e64 s[20:21], 3, v73
	v_mov_b32_dpp v5, v4 row_shr:2 row_mask:0xf bank_mask:0xf
	v_cndmask_b32_e64 v5, 0, v5, s[18:19]
	v_add_u32_e32 v4, v4, v5
	v_cmp_lt_u32_e64 s[22:23], 7, v73
	v_cmp_lt_u32_e64 s[26:27], 31, v72
	v_mov_b32_dpp v5, v4 row_shr:4 row_mask:0xf bank_mask:0xf
	v_cndmask_b32_e64 v5, 0, v5, s[20:21]
	v_add_u32_e32 v4, v4, v5
	v_cmp_eq_u32_e64 s[24:25], 0, v75
	s_nop 0
	v_mov_b32_dpp v5, v4 row_shr:8 row_mask:0xf bank_mask:0xf
	v_cndmask_b32_e64 v5, 0, v5, s[22:23]
	v_add_u32_e32 v4, v4, v5
	s_nop 1
	v_mov_b32_dpp v5, v4 row_bcast:15 row_mask:0xf bank_mask:0xf
	v_and_b32_e32 v5, v74, v5
	v_add_u32_e32 v4, v4, v5
	s_nop 1
	v_mov_b32_dpp v5, v4 row_bcast:31 row_mask:0xf bank_mask:0xf
	v_cndmask_b32_e64 v5, 0, v5, s[26:27]
	v_add_u32_e32 v4, v4, v5
	s_and_saveexec_b64 s[28:29], s[6:7]
; %bb.557:                              ;   in Loop: Header=BB634_20 Depth=1
	ds_write_b32 v45, v4
; %bb.558:                              ;   in Loop: Header=BB634_20 Depth=1
	s_or_b64 exec, exec, s[28:29]
	s_waitcnt lgkmcnt(0)
	s_barrier
	s_and_saveexec_b64 s[28:29], s[8:9]
	s_cbranch_execz .LBB634_560
; %bb.559:                              ;   in Loop: Header=BB634_20 Depth=1
	ds_read_b32 v5, v46
	v_cmp_ne_u32_e32 vcc, 0, v76
	s_waitcnt lgkmcnt(0)
	v_mov_b32_dpp v6, v5 row_shr:1 row_mask:0xf bank_mask:0xf
	v_cndmask_b32_e32 v6, 0, v6, vcc
	v_add_u32_e32 v5, v6, v5
	v_cmp_lt_u32_e32 vcc, 1, v76
	s_nop 0
	v_mov_b32_dpp v6, v5 row_shr:2 row_mask:0xf bank_mask:0xf
	v_cndmask_b32_e32 v6, 0, v6, vcc
	v_add_u32_e32 v5, v5, v6
	ds_write_b32 v46, v5
.LBB634_560:                            ;   in Loop: Header=BB634_20 Depth=1
	s_or_b64 exec, exec, s[28:29]
	v_mov_b32_e32 v5, 0
	s_waitcnt lgkmcnt(0)
	s_barrier
	s_and_saveexec_b64 s[28:29], s[10:11]
; %bb.561:                              ;   in Loop: Header=BB634_20 Depth=1
	ds_read_b32 v5, v47
; %bb.562:                              ;   in Loop: Header=BB634_20 Depth=1
	s_or_b64 exec, exec, s[28:29]
	v_subrev_co_u32_e64 v6, s[28:29], 1, v72
	v_cmp_lt_i32_e32 vcc, v6, v77
	v_cndmask_b32_e32 v6, v6, v72, vcc
	s_waitcnt lgkmcnt(0)
	v_add_u32_e32 v4, v5, v4
	v_lshlrev_b32_e32 v84, 2, v6
	ds_bpermute_b32 v4, v84, v4
	s_waitcnt lgkmcnt(0)
	s_barrier
	s_and_saveexec_b64 s[30:31], s[4:5]
; %bb.563:                              ;   in Loop: Header=BB634_20 Depth=1
	v_cndmask_b32_e64 v4, v4, v5, s[28:29]
	v_add_u32_e32 v4, s51, v4
	ds_write_b32 v32, v4
; %bb.564:                              ;   in Loop: Header=BB634_20 Depth=1
	s_or_b64 exec, exec, s[30:31]
	s_load_dwordx2 s[30:31], s[56:57], 0x0
	v_add_co_u32_e32 v85, vcc, v62, v79
	v_addc_co_u32_e32 v86, vcc, 0, v63, vcc
	s_waitcnt lgkmcnt(0)
	s_cmp_lt_u32 s33, s31
	s_cselect_b32 s31, 14, 20
	s_add_u32 s34, s56, s31
	s_addc_u32 s35, s57, 0
	s_cmp_lt_u32 s50, s30
	s_cselect_b32 s30, 12, 18
	s_add_u32 s30, s56, s30
	global_load_ushort v4, v3, s[34:35]
	s_addc_u32 s31, s57, 0
	global_load_ushort v12, v3, s[30:31]
	v_lshlrev_b32_e32 v14, 2, v78
	v_add_co_u32_e32 v98, vcc, v64, v14
	v_cmp_eq_u32_e64 s[30:31], 0, v76
	v_cmp_lt_u32_e64 s[34:35], 1, v76
	v_or_b32_e32 v87, 0x100, v80
	v_or_b32_e32 v88, 0x140, v80
	;; [unrolled: 1-line block ×4, first 2 shown]
	s_mov_b32 s71, s79
	v_addc_co_u32_e32 v100, vcc, 0, v65, vcc
	s_mov_b32 s58, s51
                                        ; implicit-def: $vgpr5_vgpr6
                                        ; implicit-def: $vgpr7_vgpr8
                                        ; implicit-def: $vgpr9_vgpr10
                                        ; implicit-def: $vgpr20_vgpr21
                                        ; implicit-def: $vgpr22_vgpr23
                                        ; implicit-def: $vgpr24_vgpr25
                                        ; implicit-def: $vgpr26_vgpr27
                                        ; implicit-def: $vgpr28_vgpr29
                                        ; implicit-def: $vgpr91
                                        ; implicit-def: $vgpr92
                                        ; implicit-def: $vgpr93
                                        ; implicit-def: $vgpr94
                                        ; implicit-def: $vgpr95
                                        ; implicit-def: $vgpr96
                                        ; implicit-def: $vgpr97
                                        ; implicit-def: $vgpr99
	s_waitcnt vmcnt(1)
	v_mad_u32_u24 v4, v2, v4, v1
	s_waitcnt vmcnt(0)
	v_mad_u64_u32 v[12:13], s[36:37], v4, v12, v[0:1]
	v_lshrrev_b32_e32 v4, 4, v12
	v_and_b32_e32 v101, 0xffffffc, v4
	s_branch .LBB634_566
.LBB634_565:                            ;   in Loop: Header=BB634_566 Depth=2
	s_or_b64 exec, exec, s[36:37]
	s_addk_i32 s71, 0xf800
	s_cmp_lt_u32 s76, s63
	s_mov_b32 s58, s76
	s_cbranch_scc0 .LBB634_18
.LBB634_566:                            ;   Parent Loop BB634_20 Depth=1
                                        ; =>  This Inner Loop Header: Depth=2
	s_add_i32 s76, s58, 0x800
	s_cmp_gt_u32 s76, s63
	s_cbranch_scc1 .LBB634_568
; %bb.567:                              ;   in Loop: Header=BB634_566 Depth=2
	s_lshl_b64 s[36:37], s[58:59], 2
	v_mov_b32_e32 v4, s37
	v_add_co_u32_e32 v18, vcc, s36, v98
	v_addc_co_u32_e32 v19, vcc, v100, v4, vcc
	global_load_dword v12, v[18:19], off
	global_load_dword v13, v[18:19], off offset:256
	global_load_dword v14, v[18:19], off offset:512
	;; [unrolled: 1-line block ×5, first 2 shown]
	s_nop 0
	global_load_dword v18, v[18:19], off offset:1536
	s_mov_b64 s[36:37], -1
	s_movk_i32 s40, 0x800
	s_cbranch_execz .LBB634_569
	s_branch .LBB634_578
.LBB634_568:                            ;   in Loop: Header=BB634_566 Depth=2
	s_mov_b64 s[36:37], 0
                                        ; implicit-def: $vgpr12_vgpr13_vgpr14_vgpr15_vgpr16_vgpr17_vgpr18_vgpr19
	s_movk_i32 s40, 0x800
.LBB634_569:                            ;   in Loop: Header=BB634_566 Depth=2
	s_lshl_b64 s[36:37], s[58:59], 2
	v_mov_b32_e32 v4, s37
	v_add_co_u32_e32 v30, vcc, s36, v98
	s_waitcnt vmcnt(6)
	v_mov_b32_e32 v12, v11
	s_waitcnt vmcnt(5)
	v_mov_b32_e32 v13, v11
	;; [unrolled: 2-line block ×7, first 2 shown]
	v_addc_co_u32_e32 v31, vcc, v100, v4, vcc
	v_mov_b32_e32 v19, v18
	v_cmp_gt_u32_e32 vcc, s71, v80
	v_mov_b32_e32 v18, v17
	v_mov_b32_e32 v17, v16
	;; [unrolled: 1-line block ×7, first 2 shown]
	s_and_saveexec_b64 s[36:37], vcc
	s_cbranch_execnz .LBB634_672
; %bb.570:                              ;   in Loop: Header=BB634_566 Depth=2
	s_or_b64 exec, exec, s[36:37]
	v_cmp_gt_u32_e32 vcc, s71, v81
	s_and_saveexec_b64 s[36:37], vcc
	s_cbranch_execnz .LBB634_673
.LBB634_571:                            ;   in Loop: Header=BB634_566 Depth=2
	s_or_b64 exec, exec, s[36:37]
	v_cmp_gt_u32_e32 vcc, s71, v82
	s_and_saveexec_b64 s[36:37], vcc
	s_cbranch_execnz .LBB634_674
.LBB634_572:                            ;   in Loop: Header=BB634_566 Depth=2
	s_or_b64 exec, exec, s[36:37]
	v_cmp_gt_u32_e32 vcc, s71, v83
	s_and_saveexec_b64 s[36:37], vcc
	s_cbranch_execnz .LBB634_675
.LBB634_573:                            ;   in Loop: Header=BB634_566 Depth=2
	s_or_b64 exec, exec, s[36:37]
	v_cmp_gt_u32_e32 vcc, s71, v87
	s_and_saveexec_b64 s[36:37], vcc
	s_cbranch_execnz .LBB634_676
.LBB634_574:                            ;   in Loop: Header=BB634_566 Depth=2
	s_or_b64 exec, exec, s[36:37]
	v_cmp_gt_u32_e32 vcc, s71, v88
	s_and_saveexec_b64 s[36:37], vcc
	s_cbranch_execnz .LBB634_677
.LBB634_575:                            ;   in Loop: Header=BB634_566 Depth=2
	s_or_b64 exec, exec, s[36:37]
	v_cmp_gt_u32_e32 vcc, s71, v89
	s_and_saveexec_b64 s[36:37], vcc
	s_cbranch_execz .LBB634_577
.LBB634_576:                            ;   in Loop: Header=BB634_566 Depth=2
	global_load_dword v18, v[30:31], off offset:1536
.LBB634_577:                            ;   in Loop: Header=BB634_566 Depth=2
	s_or_b64 exec, exec, s[36:37]
	s_sub_i32 s40, s63, s58
	v_cmp_gt_u32_e64 s[36:37], s71, v90
.LBB634_578:                            ;   in Loop: Header=BB634_566 Depth=2
	v_mov_b32_e32 v102, s71
	s_and_saveexec_b64 s[38:39], s[36:37]
	s_cbranch_execz .LBB634_580
; %bb.579:                              ;   in Loop: Header=BB634_566 Depth=2
	s_lshl_b64 s[36:37], s[58:59], 2
	v_mov_b32_e32 v4, s37
	v_add_co_u32_e32 v30, vcc, s36, v98
	v_addc_co_u32_e32 v31, vcc, v100, v4, vcc
	global_load_dword v19, v[30:31], off offset:1792
	v_mov_b32_e32 v102, s40
.LBB634_580:                            ;   in Loop: Header=BB634_566 Depth=2
	s_or_b64 exec, exec, s[38:39]
	s_waitcnt vmcnt(0)
	v_xor_b32_e32 v103, 0x80000000, v12
	v_lshrrev_b32_e32 v4, s77, v103
	v_and_b32_e32 v12, s70, v4
	v_and_b32_e32 v4, 1, v12
	v_add_co_u32_e32 v30, vcc, -1, v4
	v_addc_co_u32_e64 v31, s[36:37], 0, -1, vcc
	v_cmp_ne_u32_e32 vcc, 0, v4
	v_xor_b32_e32 v4, vcc_hi, v31
	v_and_b32_e32 v31, exec_hi, v4
	v_lshlrev_b32_e32 v4, 30, v12
	v_xor_b32_e32 v30, vcc_lo, v30
	v_cmp_gt_i64_e32 vcc, 0, v[3:4]
	v_not_b32_e32 v4, v4
	v_ashrrev_i32_e32 v4, 31, v4
	v_and_b32_e32 v30, exec_lo, v30
	v_xor_b32_e32 v106, vcc_hi, v4
	v_xor_b32_e32 v4, vcc_lo, v4
	v_and_b32_e32 v30, v30, v4
	v_lshlrev_b32_e32 v4, 29, v12
	v_cmp_gt_i64_e32 vcc, 0, v[3:4]
	v_not_b32_e32 v4, v4
	v_ashrrev_i32_e32 v4, 31, v4
	v_and_b32_e32 v31, v31, v106
	v_xor_b32_e32 v106, vcc_hi, v4
	v_xor_b32_e32 v4, vcc_lo, v4
	v_and_b32_e32 v30, v30, v4
	v_lshlrev_b32_e32 v4, 28, v12
	v_cmp_gt_i64_e32 vcc, 0, v[3:4]
	v_not_b32_e32 v4, v4
	v_ashrrev_i32_e32 v4, 31, v4
	v_and_b32_e32 v31, v31, v106
	;; [unrolled: 8-line block ×5, first 2 shown]
	v_xor_b32_e32 v106, vcc_hi, v4
	v_xor_b32_e32 v4, vcc_lo, v4
	v_and_b32_e32 v30, v30, v4
	v_lshlrev_b32_e32 v4, 24, v12
	v_cmp_gt_i64_e32 vcc, 0, v[3:4]
	v_not_b32_e32 v4, v4
	v_ashrrev_i32_e32 v4, 31, v4
	v_mul_u32_u24_e32 v107, 20, v12
	v_xor_b32_e32 v12, vcc_hi, v4
	v_xor_b32_e32 v4, vcc_lo, v4
	v_and_b32_e32 v31, v31, v106
	v_and_b32_e32 v30, v30, v4
	;; [unrolled: 1-line block ×3, first 2 shown]
	v_mbcnt_lo_u32_b32 v4, v30, 0
	v_mbcnt_hi_u32_b32 v106, v31, v4
	v_cmp_ne_u64_e32 vcc, 0, v[30:31]
	v_cmp_eq_u32_e64 s[36:37], 0, v106
	v_add_u32_e32 v105, 0x410, v48
	v_add_u32_e32 v104, 0x418, v48
	s_and_b64 s[38:39], vcc, s[36:37]
	v_add_u32_e32 v107, v101, v107
	ds_write2_b32 v105, v3, v3 offset1:1
	ds_write2_b32 v104, v3, v3 offset1:1
	ds_write_b32 v48, v3 offset:1056
	s_waitcnt lgkmcnt(0)
	s_barrier
	; wave barrier
	s_and_saveexec_b64 s[36:37], s[38:39]
; %bb.581:                              ;   in Loop: Header=BB634_566 Depth=2
	v_bcnt_u32_b32 v4, v30, 0
	v_bcnt_u32_b32 v4, v31, v4
	ds_write_b32 v107, v4 offset:1040
; %bb.582:                              ;   in Loop: Header=BB634_566 Depth=2
	s_or_b64 exec, exec, s[36:37]
	v_xor_b32_e32 v30, 0x80000000, v13
	v_lshrrev_b32_e32 v4, s77, v30
	v_and_b32_e32 v12, s70, v4
	v_mad_u32_u24 v4, v12, 20, v101
	; wave barrier
	ds_read_b32 v31, v4 offset:1040
	v_and_b32_e32 v4, 1, v12
	v_add_co_u32_e32 v13, vcc, -1, v4
	v_addc_co_u32_e64 v108, s[36:37], 0, -1, vcc
	v_cmp_ne_u32_e32 vcc, 0, v4
	v_xor_b32_e32 v4, vcc_hi, v108
	v_and_b32_e32 v108, exec_hi, v4
	v_lshlrev_b32_e32 v4, 30, v12
	v_xor_b32_e32 v13, vcc_lo, v13
	v_cmp_gt_i64_e32 vcc, 0, v[3:4]
	v_not_b32_e32 v4, v4
	v_ashrrev_i32_e32 v4, 31, v4
	v_and_b32_e32 v13, exec_lo, v13
	v_xor_b32_e32 v110, vcc_hi, v4
	v_xor_b32_e32 v4, vcc_lo, v4
	v_and_b32_e32 v13, v13, v4
	v_lshlrev_b32_e32 v4, 29, v12
	v_cmp_gt_i64_e32 vcc, 0, v[3:4]
	v_not_b32_e32 v4, v4
	v_ashrrev_i32_e32 v4, 31, v4
	v_and_b32_e32 v108, v108, v110
	v_xor_b32_e32 v110, vcc_hi, v4
	v_xor_b32_e32 v4, vcc_lo, v4
	v_and_b32_e32 v13, v13, v4
	v_lshlrev_b32_e32 v4, 28, v12
	v_cmp_gt_i64_e32 vcc, 0, v[3:4]
	v_not_b32_e32 v4, v4
	v_ashrrev_i32_e32 v4, 31, v4
	v_and_b32_e32 v108, v108, v110
	;; [unrolled: 8-line block ×5, first 2 shown]
	v_xor_b32_e32 v110, vcc_hi, v4
	v_xor_b32_e32 v4, vcc_lo, v4
	v_and_b32_e32 v108, v108, v110
	v_and_b32_e32 v110, v13, v4
	v_lshlrev_b32_e32 v4, 24, v12
	v_cmp_gt_i64_e32 vcc, 0, v[3:4]
	v_not_b32_e32 v4, v4
	v_ashrrev_i32_e32 v4, 31, v4
	v_mul_u32_u24_e32 v109, 20, v12
	v_xor_b32_e32 v12, vcc_hi, v4
	v_xor_b32_e32 v4, vcc_lo, v4
	v_and_b32_e32 v13, v108, v12
	v_and_b32_e32 v12, v110, v4
	v_mbcnt_lo_u32_b32 v4, v12, 0
	v_mbcnt_hi_u32_b32 v108, v13, v4
	v_cmp_ne_u64_e32 vcc, 0, v[12:13]
	v_cmp_eq_u32_e64 s[36:37], 0, v108
	s_and_b64 s[38:39], vcc, s[36:37]
	v_add_u32_e32 v111, v101, v109
	; wave barrier
	s_and_saveexec_b64 s[36:37], s[38:39]
	s_cbranch_execz .LBB634_584
; %bb.583:                              ;   in Loop: Header=BB634_566 Depth=2
	v_bcnt_u32_b32 v4, v12, 0
	v_bcnt_u32_b32 v4, v13, v4
	s_waitcnt lgkmcnt(0)
	v_add_u32_e32 v4, v31, v4
	ds_write_b32 v111, v4 offset:1040
.LBB634_584:                            ;   in Loop: Header=BB634_566 Depth=2
	s_or_b64 exec, exec, s[36:37]
	v_xor_b32_e32 v109, 0x80000000, v14
	v_lshrrev_b32_e32 v4, s77, v109
	v_and_b32_e32 v12, s70, v4
	v_mad_u32_u24 v4, v12, 20, v101
	; wave barrier
	ds_read_b32 v110, v4 offset:1040
	v_and_b32_e32 v4, 1, v12
	v_add_co_u32_e32 v13, vcc, -1, v4
	v_addc_co_u32_e64 v112, s[36:37], 0, -1, vcc
	v_cmp_ne_u32_e32 vcc, 0, v4
	v_xor_b32_e32 v4, vcc_hi, v112
	v_and_b32_e32 v112, exec_hi, v4
	v_lshlrev_b32_e32 v4, 30, v12
	v_xor_b32_e32 v13, vcc_lo, v13
	v_cmp_gt_i64_e32 vcc, 0, v[3:4]
	v_not_b32_e32 v4, v4
	v_ashrrev_i32_e32 v4, 31, v4
	v_and_b32_e32 v13, exec_lo, v13
	v_xor_b32_e32 v113, vcc_hi, v4
	v_xor_b32_e32 v4, vcc_lo, v4
	v_and_b32_e32 v13, v13, v4
	v_lshlrev_b32_e32 v4, 29, v12
	v_cmp_gt_i64_e32 vcc, 0, v[3:4]
	v_not_b32_e32 v4, v4
	v_ashrrev_i32_e32 v4, 31, v4
	v_and_b32_e32 v112, v112, v113
	v_xor_b32_e32 v113, vcc_hi, v4
	v_xor_b32_e32 v4, vcc_lo, v4
	v_and_b32_e32 v13, v13, v4
	v_lshlrev_b32_e32 v4, 28, v12
	v_cmp_gt_i64_e32 vcc, 0, v[3:4]
	v_not_b32_e32 v4, v4
	v_ashrrev_i32_e32 v4, 31, v4
	v_and_b32_e32 v112, v112, v113
	;; [unrolled: 8-line block ×5, first 2 shown]
	v_xor_b32_e32 v113, vcc_hi, v4
	v_xor_b32_e32 v4, vcc_lo, v4
	v_and_b32_e32 v112, v112, v113
	v_and_b32_e32 v113, v13, v4
	v_lshlrev_b32_e32 v4, 24, v12
	v_cmp_gt_i64_e32 vcc, 0, v[3:4]
	v_not_b32_e32 v4, v4
	v_ashrrev_i32_e32 v4, 31, v4
	v_mul_u32_u24_e32 v14, 20, v12
	v_xor_b32_e32 v12, vcc_hi, v4
	v_xor_b32_e32 v4, vcc_lo, v4
	v_and_b32_e32 v13, v112, v12
	v_and_b32_e32 v12, v113, v4
	v_mbcnt_lo_u32_b32 v4, v12, 0
	v_mbcnt_hi_u32_b32 v112, v13, v4
	v_cmp_ne_u64_e32 vcc, 0, v[12:13]
	v_cmp_eq_u32_e64 s[36:37], 0, v112
	s_and_b64 s[38:39], vcc, s[36:37]
	v_add_u32_e32 v115, v101, v14
	; wave barrier
	s_and_saveexec_b64 s[36:37], s[38:39]
	s_cbranch_execz .LBB634_586
; %bb.585:                              ;   in Loop: Header=BB634_566 Depth=2
	v_bcnt_u32_b32 v4, v12, 0
	v_bcnt_u32_b32 v4, v13, v4
	s_waitcnt lgkmcnt(0)
	v_add_u32_e32 v4, v110, v4
	ds_write_b32 v115, v4 offset:1040
.LBB634_586:                            ;   in Loop: Header=BB634_566 Depth=2
	s_or_b64 exec, exec, s[36:37]
	v_xor_b32_e32 v113, 0x80000000, v15
	v_lshrrev_b32_e32 v4, s77, v113
	v_and_b32_e32 v12, s70, v4
	v_mad_u32_u24 v4, v12, 20, v101
	; wave barrier
	ds_read_b32 v114, v4 offset:1040
	v_and_b32_e32 v4, 1, v12
	v_add_co_u32_e32 v13, vcc, -1, v4
	v_addc_co_u32_e64 v15, s[36:37], 0, -1, vcc
	v_cmp_ne_u32_e32 vcc, 0, v4
	v_xor_b32_e32 v4, vcc_hi, v15
	v_and_b32_e32 v15, exec_hi, v4
	v_lshlrev_b32_e32 v4, 30, v12
	v_xor_b32_e32 v13, vcc_lo, v13
	v_cmp_gt_i64_e32 vcc, 0, v[3:4]
	v_not_b32_e32 v4, v4
	v_ashrrev_i32_e32 v4, 31, v4
	v_and_b32_e32 v13, exec_lo, v13
	v_xor_b32_e32 v116, vcc_hi, v4
	v_xor_b32_e32 v4, vcc_lo, v4
	v_and_b32_e32 v13, v13, v4
	v_lshlrev_b32_e32 v4, 29, v12
	v_cmp_gt_i64_e32 vcc, 0, v[3:4]
	v_not_b32_e32 v4, v4
	v_ashrrev_i32_e32 v4, 31, v4
	v_and_b32_e32 v15, v15, v116
	v_xor_b32_e32 v116, vcc_hi, v4
	v_xor_b32_e32 v4, vcc_lo, v4
	v_and_b32_e32 v13, v13, v4
	v_lshlrev_b32_e32 v4, 28, v12
	v_cmp_gt_i64_e32 vcc, 0, v[3:4]
	v_not_b32_e32 v4, v4
	v_ashrrev_i32_e32 v4, 31, v4
	v_and_b32_e32 v15, v15, v116
	v_xor_b32_e32 v116, vcc_hi, v4
	v_xor_b32_e32 v4, vcc_lo, v4
	v_and_b32_e32 v13, v13, v4
	v_lshlrev_b32_e32 v4, 27, v12
	v_cmp_gt_i64_e32 vcc, 0, v[3:4]
	v_not_b32_e32 v4, v4
	v_ashrrev_i32_e32 v4, 31, v4
	v_and_b32_e32 v15, v15, v116
	v_xor_b32_e32 v116, vcc_hi, v4
	v_xor_b32_e32 v4, vcc_lo, v4
	v_and_b32_e32 v13, v13, v4
	v_lshlrev_b32_e32 v4, 26, v12
	v_cmp_gt_i64_e32 vcc, 0, v[3:4]
	v_not_b32_e32 v4, v4
	v_ashrrev_i32_e32 v4, 31, v4
	v_and_b32_e32 v15, v15, v116
	v_xor_b32_e32 v116, vcc_hi, v4
	v_xor_b32_e32 v4, vcc_lo, v4
	v_and_b32_e32 v13, v13, v4
	v_lshlrev_b32_e32 v4, 25, v12
	v_cmp_gt_i64_e32 vcc, 0, v[3:4]
	v_not_b32_e32 v4, v4
	v_ashrrev_i32_e32 v4, 31, v4
	v_and_b32_e32 v15, v15, v116
	v_xor_b32_e32 v116, vcc_hi, v4
	v_xor_b32_e32 v4, vcc_lo, v4
	v_and_b32_e32 v15, v15, v116
	v_and_b32_e32 v116, v13, v4
	v_lshlrev_b32_e32 v4, 24, v12
	v_cmp_gt_i64_e32 vcc, 0, v[3:4]
	v_not_b32_e32 v4, v4
	v_ashrrev_i32_e32 v4, 31, v4
	v_mul_u32_u24_e32 v14, 20, v12
	v_xor_b32_e32 v12, vcc_hi, v4
	v_xor_b32_e32 v4, vcc_lo, v4
	v_and_b32_e32 v13, v15, v12
	v_and_b32_e32 v12, v116, v4
	v_mbcnt_lo_u32_b32 v4, v12, 0
	v_mbcnt_hi_u32_b32 v116, v13, v4
	v_cmp_ne_u64_e32 vcc, 0, v[12:13]
	v_cmp_eq_u32_e64 s[36:37], 0, v116
	s_and_b64 s[38:39], vcc, s[36:37]
	v_add_u32_e32 v118, v101, v14
	; wave barrier
	s_and_saveexec_b64 s[36:37], s[38:39]
	s_cbranch_execz .LBB634_588
; %bb.587:                              ;   in Loop: Header=BB634_566 Depth=2
	v_bcnt_u32_b32 v4, v12, 0
	v_bcnt_u32_b32 v4, v13, v4
	s_waitcnt lgkmcnt(0)
	v_add_u32_e32 v4, v114, v4
	ds_write_b32 v118, v4 offset:1040
.LBB634_588:                            ;   in Loop: Header=BB634_566 Depth=2
	s_or_b64 exec, exec, s[36:37]
	v_xor_b32_e32 v16, 0x80000000, v16
	v_lshrrev_b32_e32 v4, s77, v16
	v_and_b32_e32 v12, s70, v4
	v_mad_u32_u24 v4, v12, 20, v101
	; wave barrier
	ds_read_b32 v117, v4 offset:1040
	v_and_b32_e32 v4, 1, v12
	v_add_co_u32_e32 v13, vcc, -1, v4
	v_addc_co_u32_e64 v15, s[36:37], 0, -1, vcc
	v_cmp_ne_u32_e32 vcc, 0, v4
	v_xor_b32_e32 v4, vcc_hi, v15
	v_and_b32_e32 v15, exec_hi, v4
	v_lshlrev_b32_e32 v4, 30, v12
	v_xor_b32_e32 v13, vcc_lo, v13
	v_cmp_gt_i64_e32 vcc, 0, v[3:4]
	v_not_b32_e32 v4, v4
	v_ashrrev_i32_e32 v4, 31, v4
	v_and_b32_e32 v13, exec_lo, v13
	v_xor_b32_e32 v119, vcc_hi, v4
	v_xor_b32_e32 v4, vcc_lo, v4
	v_and_b32_e32 v13, v13, v4
	v_lshlrev_b32_e32 v4, 29, v12
	v_cmp_gt_i64_e32 vcc, 0, v[3:4]
	v_not_b32_e32 v4, v4
	v_ashrrev_i32_e32 v4, 31, v4
	v_and_b32_e32 v15, v15, v119
	v_xor_b32_e32 v119, vcc_hi, v4
	v_xor_b32_e32 v4, vcc_lo, v4
	v_and_b32_e32 v13, v13, v4
	v_lshlrev_b32_e32 v4, 28, v12
	v_cmp_gt_i64_e32 vcc, 0, v[3:4]
	v_not_b32_e32 v4, v4
	v_ashrrev_i32_e32 v4, 31, v4
	v_and_b32_e32 v15, v15, v119
	;; [unrolled: 8-line block ×5, first 2 shown]
	v_xor_b32_e32 v119, vcc_hi, v4
	v_xor_b32_e32 v4, vcc_lo, v4
	v_and_b32_e32 v15, v15, v119
	v_and_b32_e32 v119, v13, v4
	v_lshlrev_b32_e32 v4, 24, v12
	v_cmp_gt_i64_e32 vcc, 0, v[3:4]
	v_not_b32_e32 v4, v4
	v_ashrrev_i32_e32 v4, 31, v4
	v_mul_u32_u24_e32 v14, 20, v12
	v_xor_b32_e32 v12, vcc_hi, v4
	v_xor_b32_e32 v4, vcc_lo, v4
	v_and_b32_e32 v13, v15, v12
	v_and_b32_e32 v12, v119, v4
	v_mbcnt_lo_u32_b32 v4, v12, 0
	v_mbcnt_hi_u32_b32 v119, v13, v4
	v_cmp_ne_u64_e32 vcc, 0, v[12:13]
	v_cmp_eq_u32_e64 s[36:37], 0, v119
	s_and_b64 s[38:39], vcc, s[36:37]
	v_add_u32_e32 v121, v101, v14
	; wave barrier
	s_and_saveexec_b64 s[36:37], s[38:39]
	s_cbranch_execz .LBB634_590
; %bb.589:                              ;   in Loop: Header=BB634_566 Depth=2
	v_bcnt_u32_b32 v4, v12, 0
	v_bcnt_u32_b32 v4, v13, v4
	s_waitcnt lgkmcnt(0)
	v_add_u32_e32 v4, v117, v4
	ds_write_b32 v121, v4 offset:1040
.LBB634_590:                            ;   in Loop: Header=BB634_566 Depth=2
	s_or_b64 exec, exec, s[36:37]
	v_xor_b32_e32 v120, 0x80000000, v17
	v_lshrrev_b32_e32 v4, s77, v120
	v_and_b32_e32 v12, s70, v4
	v_mad_u32_u24 v4, v12, 20, v101
	; wave barrier
	ds_read_b32 v17, v4 offset:1040
	v_and_b32_e32 v4, 1, v12
	v_add_co_u32_e32 v13, vcc, -1, v4
	v_addc_co_u32_e64 v15, s[36:37], 0, -1, vcc
	v_cmp_ne_u32_e32 vcc, 0, v4
	v_xor_b32_e32 v4, vcc_hi, v15
	v_and_b32_e32 v15, exec_hi, v4
	v_lshlrev_b32_e32 v4, 30, v12
	v_xor_b32_e32 v13, vcc_lo, v13
	v_cmp_gt_i64_e32 vcc, 0, v[3:4]
	v_not_b32_e32 v4, v4
	v_ashrrev_i32_e32 v4, 31, v4
	v_and_b32_e32 v13, exec_lo, v13
	v_xor_b32_e32 v122, vcc_hi, v4
	v_xor_b32_e32 v4, vcc_lo, v4
	v_and_b32_e32 v13, v13, v4
	v_lshlrev_b32_e32 v4, 29, v12
	v_cmp_gt_i64_e32 vcc, 0, v[3:4]
	v_not_b32_e32 v4, v4
	v_ashrrev_i32_e32 v4, 31, v4
	v_and_b32_e32 v15, v15, v122
	v_xor_b32_e32 v122, vcc_hi, v4
	v_xor_b32_e32 v4, vcc_lo, v4
	v_and_b32_e32 v13, v13, v4
	v_lshlrev_b32_e32 v4, 28, v12
	v_cmp_gt_i64_e32 vcc, 0, v[3:4]
	v_not_b32_e32 v4, v4
	v_ashrrev_i32_e32 v4, 31, v4
	v_and_b32_e32 v15, v15, v122
	;; [unrolled: 8-line block ×5, first 2 shown]
	v_xor_b32_e32 v122, vcc_hi, v4
	v_xor_b32_e32 v4, vcc_lo, v4
	v_and_b32_e32 v15, v15, v122
	v_and_b32_e32 v122, v13, v4
	v_lshlrev_b32_e32 v4, 24, v12
	v_cmp_gt_i64_e32 vcc, 0, v[3:4]
	v_not_b32_e32 v4, v4
	v_ashrrev_i32_e32 v4, 31, v4
	v_mul_u32_u24_e32 v14, 20, v12
	v_xor_b32_e32 v12, vcc_hi, v4
	v_xor_b32_e32 v4, vcc_lo, v4
	v_and_b32_e32 v13, v15, v12
	v_and_b32_e32 v12, v122, v4
	v_mbcnt_lo_u32_b32 v4, v12, 0
	v_mbcnt_hi_u32_b32 v122, v13, v4
	v_cmp_ne_u64_e32 vcc, 0, v[12:13]
	v_cmp_eq_u32_e64 s[36:37], 0, v122
	s_and_b64 s[38:39], vcc, s[36:37]
	v_add_u32_e32 v125, v101, v14
	; wave barrier
	s_and_saveexec_b64 s[36:37], s[38:39]
	s_cbranch_execz .LBB634_592
; %bb.591:                              ;   in Loop: Header=BB634_566 Depth=2
	v_bcnt_u32_b32 v4, v12, 0
	v_bcnt_u32_b32 v4, v13, v4
	s_waitcnt lgkmcnt(0)
	v_add_u32_e32 v4, v17, v4
	ds_write_b32 v125, v4 offset:1040
.LBB634_592:                            ;   in Loop: Header=BB634_566 Depth=2
	s_or_b64 exec, exec, s[36:37]
	v_xor_b32_e32 v123, 0x80000000, v18
	v_lshrrev_b32_e32 v4, s77, v123
	v_and_b32_e32 v12, s70, v4
	v_mad_u32_u24 v4, v12, 20, v101
	; wave barrier
	ds_read_b32 v124, v4 offset:1040
	v_and_b32_e32 v4, 1, v12
	v_add_co_u32_e32 v13, vcc, -1, v4
	v_addc_co_u32_e64 v15, s[36:37], 0, -1, vcc
	v_cmp_ne_u32_e32 vcc, 0, v4
	v_xor_b32_e32 v4, vcc_hi, v15
	v_and_b32_e32 v15, exec_hi, v4
	v_lshlrev_b32_e32 v4, 30, v12
	v_xor_b32_e32 v13, vcc_lo, v13
	v_cmp_gt_i64_e32 vcc, 0, v[3:4]
	v_not_b32_e32 v4, v4
	v_ashrrev_i32_e32 v4, 31, v4
	v_and_b32_e32 v13, exec_lo, v13
	v_xor_b32_e32 v18, vcc_hi, v4
	v_xor_b32_e32 v4, vcc_lo, v4
	v_and_b32_e32 v13, v13, v4
	v_lshlrev_b32_e32 v4, 29, v12
	v_cmp_gt_i64_e32 vcc, 0, v[3:4]
	v_not_b32_e32 v4, v4
	v_ashrrev_i32_e32 v4, 31, v4
	v_and_b32_e32 v15, v15, v18
	v_xor_b32_e32 v18, vcc_hi, v4
	v_xor_b32_e32 v4, vcc_lo, v4
	v_and_b32_e32 v13, v13, v4
	v_lshlrev_b32_e32 v4, 28, v12
	v_cmp_gt_i64_e32 vcc, 0, v[3:4]
	v_not_b32_e32 v4, v4
	v_ashrrev_i32_e32 v4, 31, v4
	v_and_b32_e32 v15, v15, v18
	;; [unrolled: 8-line block ×5, first 2 shown]
	v_xor_b32_e32 v18, vcc_hi, v4
	v_xor_b32_e32 v4, vcc_lo, v4
	v_and_b32_e32 v15, v15, v18
	v_and_b32_e32 v18, v13, v4
	v_lshlrev_b32_e32 v4, 24, v12
	v_cmp_gt_i64_e32 vcc, 0, v[3:4]
	v_not_b32_e32 v4, v4
	v_ashrrev_i32_e32 v4, 31, v4
	v_mul_u32_u24_e32 v14, 20, v12
	v_xor_b32_e32 v12, vcc_hi, v4
	v_xor_b32_e32 v4, vcc_lo, v4
	v_and_b32_e32 v13, v15, v12
	v_and_b32_e32 v12, v18, v4
	v_mbcnt_lo_u32_b32 v4, v12, 0
	v_mbcnt_hi_u32_b32 v126, v13, v4
	v_cmp_ne_u64_e32 vcc, 0, v[12:13]
	v_cmp_eq_u32_e64 s[36:37], 0, v126
	s_and_b64 s[38:39], vcc, s[36:37]
	v_add_u32_e32 v18, v101, v14
	; wave barrier
	s_and_saveexec_b64 s[36:37], s[38:39]
	s_cbranch_execz .LBB634_594
; %bb.593:                              ;   in Loop: Header=BB634_566 Depth=2
	v_bcnt_u32_b32 v4, v12, 0
	v_bcnt_u32_b32 v4, v13, v4
	s_waitcnt lgkmcnt(0)
	v_add_u32_e32 v4, v124, v4
	ds_write_b32 v18, v4 offset:1040
.LBB634_594:                            ;   in Loop: Header=BB634_566 Depth=2
	s_or_b64 exec, exec, s[36:37]
	v_xor_b32_e32 v127, 0x80000000, v19
	v_lshrrev_b32_e32 v4, s77, v127
	v_and_b32_e32 v12, s70, v4
	v_mad_u32_u24 v4, v12, 20, v101
	; wave barrier
	ds_read_b32 v128, v4 offset:1040
	v_and_b32_e32 v4, 1, v12
	v_add_co_u32_e32 v13, vcc, -1, v4
	v_addc_co_u32_e64 v15, s[36:37], 0, -1, vcc
	v_cmp_ne_u32_e32 vcc, 0, v4
	v_xor_b32_e32 v4, vcc_hi, v15
	v_and_b32_e32 v15, exec_hi, v4
	v_lshlrev_b32_e32 v4, 30, v12
	v_xor_b32_e32 v13, vcc_lo, v13
	v_cmp_gt_i64_e32 vcc, 0, v[3:4]
	v_not_b32_e32 v4, v4
	v_ashrrev_i32_e32 v4, 31, v4
	v_and_b32_e32 v13, exec_lo, v13
	v_xor_b32_e32 v19, vcc_hi, v4
	v_xor_b32_e32 v4, vcc_lo, v4
	v_and_b32_e32 v13, v13, v4
	v_lshlrev_b32_e32 v4, 29, v12
	v_cmp_gt_i64_e32 vcc, 0, v[3:4]
	v_not_b32_e32 v4, v4
	v_ashrrev_i32_e32 v4, 31, v4
	v_and_b32_e32 v15, v15, v19
	v_xor_b32_e32 v19, vcc_hi, v4
	v_xor_b32_e32 v4, vcc_lo, v4
	v_and_b32_e32 v13, v13, v4
	v_lshlrev_b32_e32 v4, 28, v12
	v_cmp_gt_i64_e32 vcc, 0, v[3:4]
	v_not_b32_e32 v4, v4
	v_ashrrev_i32_e32 v4, 31, v4
	v_and_b32_e32 v15, v15, v19
	v_xor_b32_e32 v19, vcc_hi, v4
	v_xor_b32_e32 v4, vcc_lo, v4
	v_and_b32_e32 v13, v13, v4
	v_lshlrev_b32_e32 v4, 27, v12
	v_cmp_gt_i64_e32 vcc, 0, v[3:4]
	v_not_b32_e32 v4, v4
	v_ashrrev_i32_e32 v4, 31, v4
	v_and_b32_e32 v15, v15, v19
	v_xor_b32_e32 v19, vcc_hi, v4
	v_xor_b32_e32 v4, vcc_lo, v4
	v_and_b32_e32 v13, v13, v4
	v_lshlrev_b32_e32 v4, 26, v12
	v_cmp_gt_i64_e32 vcc, 0, v[3:4]
	v_not_b32_e32 v4, v4
	v_ashrrev_i32_e32 v4, 31, v4
	v_and_b32_e32 v15, v15, v19
	v_xor_b32_e32 v19, vcc_hi, v4
	v_xor_b32_e32 v4, vcc_lo, v4
	v_and_b32_e32 v13, v13, v4
	v_lshlrev_b32_e32 v4, 25, v12
	v_cmp_gt_i64_e32 vcc, 0, v[3:4]
	v_not_b32_e32 v4, v4
	v_ashrrev_i32_e32 v4, 31, v4
	v_and_b32_e32 v15, v15, v19
	v_xor_b32_e32 v19, vcc_hi, v4
	v_xor_b32_e32 v4, vcc_lo, v4
	v_and_b32_e32 v15, v15, v19
	v_and_b32_e32 v19, v13, v4
	v_lshlrev_b32_e32 v4, 24, v12
	v_cmp_gt_i64_e32 vcc, 0, v[3:4]
	v_not_b32_e32 v4, v4
	v_ashrrev_i32_e32 v4, 31, v4
	v_mul_u32_u24_e32 v14, 20, v12
	v_xor_b32_e32 v12, vcc_hi, v4
	v_xor_b32_e32 v4, vcc_lo, v4
	v_and_b32_e32 v13, v15, v12
	v_and_b32_e32 v12, v19, v4
	v_mbcnt_lo_u32_b32 v4, v12, 0
	v_mbcnt_hi_u32_b32 v129, v13, v4
	v_cmp_ne_u64_e32 vcc, 0, v[12:13]
	v_cmp_eq_u32_e64 s[36:37], 0, v129
	s_and_b64 s[38:39], vcc, s[36:37]
	v_add_u32_e32 v4, v101, v14
	; wave barrier
	s_and_saveexec_b64 s[36:37], s[38:39]
	s_cbranch_execz .LBB634_596
; %bb.595:                              ;   in Loop: Header=BB634_566 Depth=2
	v_bcnt_u32_b32 v12, v12, 0
	v_bcnt_u32_b32 v12, v13, v12
	s_waitcnt lgkmcnt(0)
	v_add_u32_e32 v12, v128, v12
	ds_write_b32 v4, v12 offset:1040
.LBB634_596:                            ;   in Loop: Header=BB634_566 Depth=2
	s_or_b64 exec, exec, s[36:37]
	; wave barrier
	s_waitcnt lgkmcnt(0)
	s_barrier
	ds_read2_b32 v[14:15], v105 offset1:1
	ds_read2_b32 v[12:13], v104 offset1:1
	ds_read_b32 v19, v48 offset:1056
	s_waitcnt lgkmcnt(1)
	v_add3_u32 v130, v15, v14, v12
	s_waitcnt lgkmcnt(0)
	v_add3_u32 v19, v130, v13, v19
	s_nop 1
	v_mov_b32_dpp v130, v19 row_shr:1 row_mask:0xf bank_mask:0xf
	v_cndmask_b32_e64 v130, v130, 0, s[16:17]
	v_add_u32_e32 v19, v130, v19
	s_nop 1
	v_mov_b32_dpp v130, v19 row_shr:2 row_mask:0xf bank_mask:0xf
	v_cndmask_b32_e64 v130, 0, v130, s[18:19]
	v_add_u32_e32 v19, v19, v130
	;; [unrolled: 4-line block ×4, first 2 shown]
	s_nop 1
	v_mov_b32_dpp v130, v19 row_bcast:15 row_mask:0xf bank_mask:0xf
	v_cndmask_b32_e64 v130, v130, 0, s[24:25]
	v_add_u32_e32 v19, v19, v130
	s_nop 1
	v_mov_b32_dpp v130, v19 row_bcast:31 row_mask:0xf bank_mask:0xf
	v_cndmask_b32_e64 v130, 0, v130, s[26:27]
	v_add_u32_e32 v19, v19, v130
	s_and_saveexec_b64 s[36:37], s[6:7]
; %bb.597:                              ;   in Loop: Header=BB634_566 Depth=2
	ds_write_b32 v44, v19 offset:1024
; %bb.598:                              ;   in Loop: Header=BB634_566 Depth=2
	s_or_b64 exec, exec, s[36:37]
	s_waitcnt lgkmcnt(0)
	s_barrier
	s_and_saveexec_b64 s[36:37], s[8:9]
	s_cbranch_execz .LBB634_600
; %bb.599:                              ;   in Loop: Header=BB634_566 Depth=2
	ds_read_b32 v130, v49 offset:1024
	s_waitcnt lgkmcnt(0)
	s_nop 0
	v_mov_b32_dpp v131, v130 row_shr:1 row_mask:0xf bank_mask:0xf
	v_cndmask_b32_e64 v131, v131, 0, s[30:31]
	v_add_u32_e32 v130, v131, v130
	s_nop 1
	v_mov_b32_dpp v131, v130 row_shr:2 row_mask:0xf bank_mask:0xf
	v_cndmask_b32_e64 v131, 0, v131, s[34:35]
	v_add_u32_e32 v130, v130, v131
	ds_write_b32 v49, v130 offset:1024
.LBB634_600:                            ;   in Loop: Header=BB634_566 Depth=2
	s_or_b64 exec, exec, s[36:37]
	v_mov_b32_e32 v130, 0
	s_waitcnt lgkmcnt(0)
	s_barrier
	s_and_saveexec_b64 s[36:37], s[10:11]
; %bb.601:                              ;   in Loop: Header=BB634_566 Depth=2
	ds_read_b32 v130, v44 offset:1020
; %bb.602:                              ;   in Loop: Header=BB634_566 Depth=2
	s_or_b64 exec, exec, s[36:37]
	s_waitcnt lgkmcnt(0)
	v_add_u32_e32 v19, v130, v19
	ds_bpermute_b32 v19, v84, v19
	s_waitcnt lgkmcnt(0)
	v_cndmask_b32_e64 v19, v19, v130, s[28:29]
	v_cndmask_b32_e64 v19, v19, 0, s[12:13]
	v_add_u32_e32 v14, v19, v14
	v_add_u32_e32 v15, v14, v15
	;; [unrolled: 1-line block ×4, first 2 shown]
	ds_write2_b32 v105, v19, v14 offset1:1
	ds_write2_b32 v104, v15, v12 offset1:1
	ds_write_b32 v48, v13 offset:1056
	s_waitcnt lgkmcnt(0)
	s_barrier
	ds_read_b32 v12, v107 offset:1040
	ds_read_b32 v13, v111 offset:1040
	;; [unrolled: 1-line block ×9, first 2 shown]
	v_mov_b32_e32 v4, 0x800
	s_and_saveexec_b64 s[36:37], s[14:15]
; %bb.603:                              ;   in Loop: Header=BB634_566 Depth=2
	ds_read_b32 v4, v48 offset:1060
; %bb.604:                              ;   in Loop: Header=BB634_566 Depth=2
	s_or_b64 exec, exec, s[36:37]
	s_waitcnt lgkmcnt(0)
	s_barrier
	s_and_saveexec_b64 s[36:37], s[4:5]
	s_cbranch_execz .LBB634_606
; %bb.605:                              ;   in Loop: Header=BB634_566 Depth=2
	ds_read_b32 v19, v32
	s_waitcnt lgkmcnt(0)
	v_sub_u32_e32 v18, v19, v18
	ds_write_b32 v32, v18
.LBB634_606:                            ;   in Loop: Header=BB634_566 Depth=2
	s_or_b64 exec, exec, s[36:37]
	v_add_u32_e32 v105, v12, v106
	v_add3_u32 v104, v108, v31, v13
	v_lshlrev_b32_e32 v12, 2, v105
	v_add3_u32 v31, v112, v110, v14
	ds_write_b32 v12, v103 offset:1024
	v_lshlrev_b32_e32 v12, 2, v104
	v_add3_u32 v19, v116, v114, v15
	ds_write_b32 v12, v30 offset:1024
	;; [unrolled: 3-line block ×6, first 2 shown]
	v_lshlrev_b32_e32 v12, 2, v15
	ds_write_b32 v12, v123 offset:1024
	v_lshlrev_b32_e32 v12, 2, v14
	v_cmp_lt_u32_e32 vcc, v0, v102
	ds_write_b32 v12, v127 offset:1024
	s_waitcnt lgkmcnt(0)
	s_barrier
	s_and_saveexec_b64 s[38:39], vcc
	s_cbranch_execnz .LBB634_643
; %bb.607:                              ;   in Loop: Header=BB634_566 Depth=2
	s_or_b64 exec, exec, s[38:39]
	v_cmp_lt_u32_e64 s[36:37], v33, v102
	s_and_saveexec_b64 s[40:41], s[36:37]
	s_cbranch_execnz .LBB634_644
.LBB634_608:                            ;   in Loop: Header=BB634_566 Depth=2
	s_or_b64 exec, exec, s[40:41]
	v_cmp_lt_u32_e64 s[38:39], v34, v102
	s_and_saveexec_b64 s[42:43], s[38:39]
	s_cbranch_execnz .LBB634_645
.LBB634_609:                            ;   in Loop: Header=BB634_566 Depth=2
	s_or_b64 exec, exec, s[42:43]
	v_cmp_lt_u32_e64 s[40:41], v35, v102
	s_and_saveexec_b64 s[44:45], s[40:41]
	s_cbranch_execnz .LBB634_646
.LBB634_610:                            ;   in Loop: Header=BB634_566 Depth=2
	s_or_b64 exec, exec, s[44:45]
	v_cmp_lt_u32_e64 s[42:43], v38, v102
	s_and_saveexec_b64 s[46:47], s[42:43]
	s_cbranch_execnz .LBB634_647
.LBB634_611:                            ;   in Loop: Header=BB634_566 Depth=2
	s_or_b64 exec, exec, s[46:47]
	v_cmp_lt_u32_e64 s[44:45], v39, v102
	s_and_saveexec_b64 s[48:49], s[44:45]
	s_cbranch_execnz .LBB634_648
.LBB634_612:                            ;   in Loop: Header=BB634_566 Depth=2
	s_or_b64 exec, exec, s[48:49]
	v_cmp_lt_u32_e64 s[46:47], v40, v102
	s_and_saveexec_b64 s[52:53], s[46:47]
	s_cbranch_execnz .LBB634_649
.LBB634_613:                            ;   in Loop: Header=BB634_566 Depth=2
	s_or_b64 exec, exec, s[52:53]
	v_cmp_lt_u32_e64 s[48:49], v41, v102
	s_and_saveexec_b64 s[60:61], s[48:49]
	s_cbranch_execz .LBB634_615
.LBB634_614:                            ;   in Loop: Header=BB634_566 Depth=2
	ds_read_b32 v12, v49 offset:8192
	v_mov_b32_e32 v30, s69
	s_waitcnt lgkmcnt(0)
	v_lshrrev_b32_e32 v13, s77, v12
	v_and_b32_e32 v13, s70, v13
	v_lshlrev_b32_e32 v13, 2, v13
	ds_read_b32 v16, v13
	v_mov_b32_e32 v13, v3
	v_xor_b32_e32 v103, 0x80000000, v12
	s_waitcnt lgkmcnt(0)
	v_add_u32_e32 v12, v16, v41
	v_lshlrev_b64 v[12:13], 2, v[12:13]
	v_add_co_u32_e64 v12, s[52:53], s68, v12
	v_addc_co_u32_e64 v13, s[52:53], v30, v13, s[52:53]
	global_store_dword v[12:13], v103, off
.LBB634_615:                            ;   in Loop: Header=BB634_566 Depth=2
	s_or_b64 exec, exec, s[60:61]
	s_lshl_b64 s[52:53], s[58:59], 3
	v_mov_b32_e32 v13, s53
	v_add_co_u32_e64 v12, s[52:53], s52, v85
	v_addc_co_u32_e64 v13, s[52:53], v86, v13, s[52:53]
	v_cmp_lt_u32_e64 s[52:53], v80, v102
	s_and_saveexec_b64 s[60:61], s[52:53]
	s_xor_b64 s[52:53], exec, s[60:61]
	s_cbranch_execnz .LBB634_650
; %bb.616:                              ;   in Loop: Header=BB634_566 Depth=2
	s_or_b64 exec, exec, s[52:53]
	v_cmp_lt_u32_e64 s[52:53], v81, v102
	s_and_saveexec_b64 s[60:61], s[52:53]
	s_cbranch_execnz .LBB634_651
.LBB634_617:                            ;   in Loop: Header=BB634_566 Depth=2
	s_or_b64 exec, exec, s[60:61]
	v_cmp_lt_u32_e64 s[52:53], v82, v102
	s_and_saveexec_b64 s[60:61], s[52:53]
	s_cbranch_execnz .LBB634_652
.LBB634_618:                            ;   in Loop: Header=BB634_566 Depth=2
	s_or_b64 exec, exec, s[60:61]
	v_cmp_lt_u32_e64 s[52:53], v83, v102
	s_and_saveexec_b64 s[60:61], s[52:53]
	s_cbranch_execnz .LBB634_653
.LBB634_619:                            ;   in Loop: Header=BB634_566 Depth=2
	s_or_b64 exec, exec, s[60:61]
	v_cmp_lt_u32_e64 s[52:53], v87, v102
	s_and_saveexec_b64 s[60:61], s[52:53]
	s_cbranch_execnz .LBB634_654
.LBB634_620:                            ;   in Loop: Header=BB634_566 Depth=2
	s_or_b64 exec, exec, s[60:61]
	v_cmp_lt_u32_e64 s[52:53], v88, v102
	s_and_saveexec_b64 s[60:61], s[52:53]
	s_cbranch_execnz .LBB634_655
.LBB634_621:                            ;   in Loop: Header=BB634_566 Depth=2
	s_or_b64 exec, exec, s[60:61]
	v_cmp_lt_u32_e64 s[52:53], v89, v102
	s_and_saveexec_b64 s[60:61], s[52:53]
	s_cbranch_execnz .LBB634_656
.LBB634_622:                            ;   in Loop: Header=BB634_566 Depth=2
	s_or_b64 exec, exec, s[60:61]
	v_cmp_lt_u32_e64 s[52:53], v90, v102
	s_and_saveexec_b64 s[60:61], s[52:53]
	s_cbranch_execnz .LBB634_657
.LBB634_623:                            ;   in Loop: Header=BB634_566 Depth=2
	s_or_b64 exec, exec, s[60:61]
	s_and_saveexec_b64 s[52:53], vcc
	s_cbranch_execnz .LBB634_658
.LBB634_624:                            ;   in Loop: Header=BB634_566 Depth=2
	s_or_b64 exec, exec, s[52:53]
	s_and_saveexec_b64 s[52:53], s[36:37]
	s_cbranch_execnz .LBB634_659
.LBB634_625:                            ;   in Loop: Header=BB634_566 Depth=2
	s_or_b64 exec, exec, s[52:53]
	s_and_saveexec_b64 s[52:53], s[38:39]
	s_cbranch_execnz .LBB634_660
.LBB634_626:                            ;   in Loop: Header=BB634_566 Depth=2
	s_or_b64 exec, exec, s[52:53]
	s_and_saveexec_b64 s[52:53], s[40:41]
	s_cbranch_execnz .LBB634_661
.LBB634_627:                            ;   in Loop: Header=BB634_566 Depth=2
	s_or_b64 exec, exec, s[52:53]
	s_and_saveexec_b64 s[52:53], s[42:43]
	s_cbranch_execnz .LBB634_662
.LBB634_628:                            ;   in Loop: Header=BB634_566 Depth=2
	s_or_b64 exec, exec, s[52:53]
	s_and_saveexec_b64 s[52:53], s[44:45]
	s_cbranch_execnz .LBB634_663
.LBB634_629:                            ;   in Loop: Header=BB634_566 Depth=2
	s_or_b64 exec, exec, s[52:53]
	s_and_saveexec_b64 s[52:53], s[46:47]
	s_cbranch_execnz .LBB634_664
.LBB634_630:                            ;   in Loop: Header=BB634_566 Depth=2
	s_or_b64 exec, exec, s[52:53]
	s_and_saveexec_b64 s[52:53], s[48:49]
	s_cbranch_execz .LBB634_632
.LBB634_631:                            ;   in Loop: Header=BB634_566 Depth=2
	ds_read_b32 v12, v49 offset:8192
	s_waitcnt lgkmcnt(0)
	v_lshrrev_b32_e32 v12, s77, v12
	v_and_b32_e32 v91, s70, v12
.LBB634_632:                            ;   in Loop: Header=BB634_566 Depth=2
	s_or_b64 exec, exec, s[52:53]
	v_lshlrev_b32_e32 v12, 3, v105
	s_waitcnt vmcnt(0)
	s_barrier
	ds_write_b64 v12, v[28:29] offset:1024
	v_lshlrev_b32_e32 v12, 3, v104
	ds_write_b64 v12, v[26:27] offset:1024
	v_lshlrev_b32_e32 v12, 3, v31
	;; [unrolled: 2-line block ×7, first 2 shown]
	ds_write_b64 v12, v[5:6] offset:1024
	v_add_u32_e32 v12, v49, v32
	s_waitcnt lgkmcnt(0)
	s_barrier
	s_and_saveexec_b64 s[52:53], vcc
	s_cbranch_execnz .LBB634_665
; %bb.633:                              ;   in Loop: Header=BB634_566 Depth=2
	s_or_b64 exec, exec, s[52:53]
	s_and_saveexec_b64 s[52:53], s[36:37]
	s_cbranch_execnz .LBB634_666
.LBB634_634:                            ;   in Loop: Header=BB634_566 Depth=2
	s_or_b64 exec, exec, s[52:53]
	s_and_saveexec_b64 s[36:37], s[38:39]
	s_cbranch_execnz .LBB634_667
.LBB634_635:                            ;   in Loop: Header=BB634_566 Depth=2
	s_or_b64 exec, exec, s[36:37]
	s_and_saveexec_b64 s[36:37], s[40:41]
	s_cbranch_execnz .LBB634_668
.LBB634_636:                            ;   in Loop: Header=BB634_566 Depth=2
	s_or_b64 exec, exec, s[36:37]
	s_and_saveexec_b64 s[36:37], s[42:43]
	s_cbranch_execnz .LBB634_669
.LBB634_637:                            ;   in Loop: Header=BB634_566 Depth=2
	s_or_b64 exec, exec, s[36:37]
	s_and_saveexec_b64 s[36:37], s[44:45]
	s_cbranch_execnz .LBB634_670
.LBB634_638:                            ;   in Loop: Header=BB634_566 Depth=2
	s_or_b64 exec, exec, s[36:37]
	s_and_saveexec_b64 s[36:37], s[46:47]
	s_cbranch_execnz .LBB634_671
.LBB634_639:                            ;   in Loop: Header=BB634_566 Depth=2
	s_or_b64 exec, exec, s[36:37]
	s_and_saveexec_b64 s[36:37], s[48:49]
	s_cbranch_execz .LBB634_641
.LBB634_640:                            ;   in Loop: Header=BB634_566 Depth=2
	v_lshlrev_b32_e32 v13, 2, v91
	ds_read_b32 v14, v13
	ds_read_b64 v[12:13], v12 offset:15360
	v_mov_b32_e32 v15, v3
	v_mov_b32_e32 v16, s75
	s_waitcnt lgkmcnt(1)
	v_add_u32_e32 v14, v14, v41
	v_lshlrev_b64 v[14:15], 3, v[14:15]
	v_add_co_u32_e32 v14, vcc, s74, v14
	v_addc_co_u32_e32 v15, vcc, v16, v15, vcc
	s_waitcnt lgkmcnt(0)
	global_store_dwordx2 v[14:15], v[12:13], off
.LBB634_641:                            ;   in Loop: Header=BB634_566 Depth=2
	s_or_b64 exec, exec, s[36:37]
	s_waitcnt vmcnt(0)
	s_barrier
	s_and_saveexec_b64 s[36:37], s[4:5]
	s_cbranch_execz .LBB634_565
; %bb.642:                              ;   in Loop: Header=BB634_566 Depth=2
	ds_read_b32 v12, v32
	s_waitcnt lgkmcnt(0)
	v_add_u32_e32 v4, v12, v4
	ds_write_b32 v32, v4
	s_branch .LBB634_565
.LBB634_643:                            ;   in Loop: Header=BB634_566 Depth=2
	ds_read_b32 v12, v49 offset:1024
	v_mov_b32_e32 v30, s69
	s_waitcnt lgkmcnt(0)
	v_lshrrev_b32_e32 v13, s77, v12
	v_and_b32_e32 v13, s70, v13
	v_lshlrev_b32_e32 v13, 2, v13
	ds_read_b32 v16, v13
	v_mov_b32_e32 v13, v3
	v_xor_b32_e32 v103, 0x80000000, v12
	s_waitcnt lgkmcnt(0)
	v_add_u32_e32 v12, v16, v0
	v_lshlrev_b64 v[12:13], 2, v[12:13]
	v_add_co_u32_e64 v12, s[36:37], s68, v12
	v_addc_co_u32_e64 v13, s[36:37], v30, v13, s[36:37]
	global_store_dword v[12:13], v103, off
	s_or_b64 exec, exec, s[38:39]
	v_cmp_lt_u32_e64 s[36:37], v33, v102
	s_and_saveexec_b64 s[40:41], s[36:37]
	s_cbranch_execz .LBB634_608
.LBB634_644:                            ;   in Loop: Header=BB634_566 Depth=2
	ds_read_b32 v12, v49 offset:2048
	v_mov_b32_e32 v30, s69
	s_waitcnt lgkmcnt(0)
	v_lshrrev_b32_e32 v13, s77, v12
	v_and_b32_e32 v13, s70, v13
	v_lshlrev_b32_e32 v13, 2, v13
	ds_read_b32 v16, v13
	v_mov_b32_e32 v13, v3
	v_xor_b32_e32 v103, 0x80000000, v12
	s_waitcnt lgkmcnt(0)
	v_add_u32_e32 v12, v16, v33
	v_lshlrev_b64 v[12:13], 2, v[12:13]
	v_add_co_u32_e64 v12, s[38:39], s68, v12
	v_addc_co_u32_e64 v13, s[38:39], v30, v13, s[38:39]
	global_store_dword v[12:13], v103, off
	s_or_b64 exec, exec, s[40:41]
	v_cmp_lt_u32_e64 s[38:39], v34, v102
	s_and_saveexec_b64 s[42:43], s[38:39]
	s_cbranch_execz .LBB634_609
.LBB634_645:                            ;   in Loop: Header=BB634_566 Depth=2
	ds_read_b32 v12, v49 offset:3072
	v_mov_b32_e32 v30, s69
	s_waitcnt lgkmcnt(0)
	v_lshrrev_b32_e32 v13, s77, v12
	v_and_b32_e32 v13, s70, v13
	v_lshlrev_b32_e32 v13, 2, v13
	ds_read_b32 v16, v13
	v_mov_b32_e32 v13, v3
	v_xor_b32_e32 v103, 0x80000000, v12
	s_waitcnt lgkmcnt(0)
	v_add_u32_e32 v12, v16, v34
	v_lshlrev_b64 v[12:13], 2, v[12:13]
	v_add_co_u32_e64 v12, s[40:41], s68, v12
	v_addc_co_u32_e64 v13, s[40:41], v30, v13, s[40:41]
	global_store_dword v[12:13], v103, off
	s_or_b64 exec, exec, s[42:43]
	v_cmp_lt_u32_e64 s[40:41], v35, v102
	s_and_saveexec_b64 s[44:45], s[40:41]
	s_cbranch_execz .LBB634_610
.LBB634_646:                            ;   in Loop: Header=BB634_566 Depth=2
	ds_read_b32 v12, v49 offset:4096
	v_mov_b32_e32 v30, s69
	s_waitcnt lgkmcnt(0)
	v_lshrrev_b32_e32 v13, s77, v12
	v_and_b32_e32 v13, s70, v13
	v_lshlrev_b32_e32 v13, 2, v13
	ds_read_b32 v16, v13
	v_mov_b32_e32 v13, v3
	v_xor_b32_e32 v103, 0x80000000, v12
	s_waitcnt lgkmcnt(0)
	v_add_u32_e32 v12, v16, v35
	v_lshlrev_b64 v[12:13], 2, v[12:13]
	v_add_co_u32_e64 v12, s[42:43], s68, v12
	v_addc_co_u32_e64 v13, s[42:43], v30, v13, s[42:43]
	global_store_dword v[12:13], v103, off
	s_or_b64 exec, exec, s[44:45]
	v_cmp_lt_u32_e64 s[42:43], v38, v102
	s_and_saveexec_b64 s[46:47], s[42:43]
	s_cbranch_execz .LBB634_611
.LBB634_647:                            ;   in Loop: Header=BB634_566 Depth=2
	ds_read_b32 v12, v49 offset:5120
	v_mov_b32_e32 v30, s69
	s_waitcnt lgkmcnt(0)
	v_lshrrev_b32_e32 v13, s77, v12
	v_and_b32_e32 v13, s70, v13
	v_lshlrev_b32_e32 v13, 2, v13
	ds_read_b32 v16, v13
	v_mov_b32_e32 v13, v3
	v_xor_b32_e32 v103, 0x80000000, v12
	s_waitcnt lgkmcnt(0)
	v_add_u32_e32 v12, v16, v38
	v_lshlrev_b64 v[12:13], 2, v[12:13]
	v_add_co_u32_e64 v12, s[44:45], s68, v12
	v_addc_co_u32_e64 v13, s[44:45], v30, v13, s[44:45]
	global_store_dword v[12:13], v103, off
	s_or_b64 exec, exec, s[46:47]
	v_cmp_lt_u32_e64 s[44:45], v39, v102
	s_and_saveexec_b64 s[48:49], s[44:45]
	s_cbranch_execz .LBB634_612
.LBB634_648:                            ;   in Loop: Header=BB634_566 Depth=2
	ds_read_b32 v12, v49 offset:6144
	v_mov_b32_e32 v30, s69
	s_waitcnt lgkmcnt(0)
	v_lshrrev_b32_e32 v13, s77, v12
	v_and_b32_e32 v13, s70, v13
	v_lshlrev_b32_e32 v13, 2, v13
	ds_read_b32 v16, v13
	v_mov_b32_e32 v13, v3
	v_xor_b32_e32 v103, 0x80000000, v12
	s_waitcnt lgkmcnt(0)
	v_add_u32_e32 v12, v16, v39
	v_lshlrev_b64 v[12:13], 2, v[12:13]
	v_add_co_u32_e64 v12, s[46:47], s68, v12
	v_addc_co_u32_e64 v13, s[46:47], v30, v13, s[46:47]
	global_store_dword v[12:13], v103, off
	s_or_b64 exec, exec, s[48:49]
	v_cmp_lt_u32_e64 s[46:47], v40, v102
	s_and_saveexec_b64 s[52:53], s[46:47]
	s_cbranch_execz .LBB634_613
.LBB634_649:                            ;   in Loop: Header=BB634_566 Depth=2
	ds_read_b32 v12, v49 offset:7168
	v_mov_b32_e32 v30, s69
	s_waitcnt lgkmcnt(0)
	v_lshrrev_b32_e32 v13, s77, v12
	v_and_b32_e32 v13, s70, v13
	v_lshlrev_b32_e32 v13, 2, v13
	ds_read_b32 v16, v13
	v_mov_b32_e32 v13, v3
	v_xor_b32_e32 v103, 0x80000000, v12
	s_waitcnt lgkmcnt(0)
	v_add_u32_e32 v12, v16, v40
	v_lshlrev_b64 v[12:13], 2, v[12:13]
	v_add_co_u32_e64 v12, s[48:49], s68, v12
	v_addc_co_u32_e64 v13, s[48:49], v30, v13, s[48:49]
	global_store_dword v[12:13], v103, off
	s_or_b64 exec, exec, s[52:53]
	v_cmp_lt_u32_e64 s[48:49], v41, v102
	s_and_saveexec_b64 s[60:61], s[48:49]
	s_cbranch_execnz .LBB634_614
	s_branch .LBB634_615
.LBB634_650:                            ;   in Loop: Header=BB634_566 Depth=2
	global_load_dwordx2 v[28:29], v[12:13], off
	s_or_b64 exec, exec, s[52:53]
	v_cmp_lt_u32_e64 s[52:53], v81, v102
	s_and_saveexec_b64 s[60:61], s[52:53]
	s_cbranch_execz .LBB634_617
.LBB634_651:                            ;   in Loop: Header=BB634_566 Depth=2
	global_load_dwordx2 v[26:27], v[12:13], off offset:512
	s_or_b64 exec, exec, s[60:61]
	v_cmp_lt_u32_e64 s[52:53], v82, v102
	s_and_saveexec_b64 s[60:61], s[52:53]
	s_cbranch_execz .LBB634_618
.LBB634_652:                            ;   in Loop: Header=BB634_566 Depth=2
	global_load_dwordx2 v[24:25], v[12:13], off offset:1024
	s_or_b64 exec, exec, s[60:61]
	v_cmp_lt_u32_e64 s[52:53], v83, v102
	s_and_saveexec_b64 s[60:61], s[52:53]
	s_cbranch_execz .LBB634_619
.LBB634_653:                            ;   in Loop: Header=BB634_566 Depth=2
	global_load_dwordx2 v[22:23], v[12:13], off offset:1536
	s_or_b64 exec, exec, s[60:61]
	v_cmp_lt_u32_e64 s[52:53], v87, v102
	s_and_saveexec_b64 s[60:61], s[52:53]
	s_cbranch_execz .LBB634_620
.LBB634_654:                            ;   in Loop: Header=BB634_566 Depth=2
	global_load_dwordx2 v[20:21], v[12:13], off offset:2048
	s_or_b64 exec, exec, s[60:61]
	v_cmp_lt_u32_e64 s[52:53], v88, v102
	s_and_saveexec_b64 s[60:61], s[52:53]
	s_cbranch_execz .LBB634_621
.LBB634_655:                            ;   in Loop: Header=BB634_566 Depth=2
	global_load_dwordx2 v[9:10], v[12:13], off offset:2560
	s_or_b64 exec, exec, s[60:61]
	v_cmp_lt_u32_e64 s[52:53], v89, v102
	s_and_saveexec_b64 s[60:61], s[52:53]
	s_cbranch_execz .LBB634_622
.LBB634_656:                            ;   in Loop: Header=BB634_566 Depth=2
	global_load_dwordx2 v[7:8], v[12:13], off offset:3072
	s_or_b64 exec, exec, s[60:61]
	v_cmp_lt_u32_e64 s[52:53], v90, v102
	s_and_saveexec_b64 s[60:61], s[52:53]
	s_cbranch_execz .LBB634_623
.LBB634_657:                            ;   in Loop: Header=BB634_566 Depth=2
	global_load_dwordx2 v[5:6], v[12:13], off offset:3584
	s_or_b64 exec, exec, s[60:61]
	s_and_saveexec_b64 s[52:53], vcc
	s_cbranch_execz .LBB634_624
.LBB634_658:                            ;   in Loop: Header=BB634_566 Depth=2
	ds_read_b32 v12, v49 offset:1024
	s_waitcnt lgkmcnt(0)
	v_lshrrev_b32_e32 v12, s77, v12
	v_and_b32_e32 v99, s70, v12
	s_or_b64 exec, exec, s[52:53]
	s_and_saveexec_b64 s[52:53], s[36:37]
	s_cbranch_execz .LBB634_625
.LBB634_659:                            ;   in Loop: Header=BB634_566 Depth=2
	ds_read_b32 v12, v49 offset:2048
	s_waitcnt lgkmcnt(0)
	v_lshrrev_b32_e32 v12, s77, v12
	v_and_b32_e32 v97, s70, v12
	s_or_b64 exec, exec, s[52:53]
	s_and_saveexec_b64 s[52:53], s[38:39]
	s_cbranch_execz .LBB634_626
.LBB634_660:                            ;   in Loop: Header=BB634_566 Depth=2
	ds_read_b32 v12, v49 offset:3072
	s_waitcnt lgkmcnt(0)
	v_lshrrev_b32_e32 v12, s77, v12
	v_and_b32_e32 v96, s70, v12
	s_or_b64 exec, exec, s[52:53]
	s_and_saveexec_b64 s[52:53], s[40:41]
	s_cbranch_execz .LBB634_627
.LBB634_661:                            ;   in Loop: Header=BB634_566 Depth=2
	ds_read_b32 v12, v49 offset:4096
	s_waitcnt lgkmcnt(0)
	v_lshrrev_b32_e32 v12, s77, v12
	v_and_b32_e32 v95, s70, v12
	s_or_b64 exec, exec, s[52:53]
	s_and_saveexec_b64 s[52:53], s[42:43]
	s_cbranch_execz .LBB634_628
.LBB634_662:                            ;   in Loop: Header=BB634_566 Depth=2
	ds_read_b32 v12, v49 offset:5120
	s_waitcnt lgkmcnt(0)
	v_lshrrev_b32_e32 v12, s77, v12
	v_and_b32_e32 v94, s70, v12
	s_or_b64 exec, exec, s[52:53]
	s_and_saveexec_b64 s[52:53], s[44:45]
	s_cbranch_execz .LBB634_629
.LBB634_663:                            ;   in Loop: Header=BB634_566 Depth=2
	ds_read_b32 v12, v49 offset:6144
	s_waitcnt lgkmcnt(0)
	v_lshrrev_b32_e32 v12, s77, v12
	v_and_b32_e32 v93, s70, v12
	s_or_b64 exec, exec, s[52:53]
	s_and_saveexec_b64 s[52:53], s[46:47]
	s_cbranch_execz .LBB634_630
.LBB634_664:                            ;   in Loop: Header=BB634_566 Depth=2
	ds_read_b32 v12, v49 offset:7168
	s_waitcnt lgkmcnt(0)
	v_lshrrev_b32_e32 v12, s77, v12
	v_and_b32_e32 v92, s70, v12
	s_or_b64 exec, exec, s[52:53]
	s_and_saveexec_b64 s[52:53], s[48:49]
	s_cbranch_execnz .LBB634_631
	s_branch .LBB634_632
.LBB634_665:                            ;   in Loop: Header=BB634_566 Depth=2
	v_lshlrev_b32_e32 v13, 2, v99
	ds_read_b32 v15, v13
	ds_read_b64 v[13:14], v12 offset:1024
	v_mov_b32_e32 v16, v3
	v_mov_b32_e32 v17, s75
	s_waitcnt lgkmcnt(1)
	v_add_u32_e32 v15, v15, v0
	v_lshlrev_b64 v[15:16], 3, v[15:16]
	v_add_co_u32_e32 v15, vcc, s74, v15
	v_addc_co_u32_e32 v16, vcc, v17, v16, vcc
	s_waitcnt lgkmcnt(0)
	global_store_dwordx2 v[15:16], v[13:14], off
	s_or_b64 exec, exec, s[52:53]
	s_and_saveexec_b64 s[52:53], s[36:37]
	s_cbranch_execz .LBB634_634
.LBB634_666:                            ;   in Loop: Header=BB634_566 Depth=2
	v_lshlrev_b32_e32 v13, 2, v97
	ds_read_b32 v15, v13
	ds_read_b64 v[13:14], v12 offset:3072
	v_mov_b32_e32 v16, v3
	v_mov_b32_e32 v17, s75
	s_waitcnt lgkmcnt(1)
	v_add_u32_e32 v15, v15, v33
	v_lshlrev_b64 v[15:16], 3, v[15:16]
	v_add_co_u32_e32 v15, vcc, s74, v15
	v_addc_co_u32_e32 v16, vcc, v17, v16, vcc
	s_waitcnt lgkmcnt(0)
	global_store_dwordx2 v[15:16], v[13:14], off
	s_or_b64 exec, exec, s[52:53]
	s_and_saveexec_b64 s[36:37], s[38:39]
	s_cbranch_execz .LBB634_635
.LBB634_667:                            ;   in Loop: Header=BB634_566 Depth=2
	v_lshlrev_b32_e32 v13, 2, v96
	ds_read_b32 v15, v13
	ds_read_b64 v[13:14], v12 offset:5120
	v_mov_b32_e32 v16, v3
	v_mov_b32_e32 v17, s75
	s_waitcnt lgkmcnt(1)
	v_add_u32_e32 v15, v15, v34
	v_lshlrev_b64 v[15:16], 3, v[15:16]
	v_add_co_u32_e32 v15, vcc, s74, v15
	v_addc_co_u32_e32 v16, vcc, v17, v16, vcc
	s_waitcnt lgkmcnt(0)
	global_store_dwordx2 v[15:16], v[13:14], off
	s_or_b64 exec, exec, s[36:37]
	s_and_saveexec_b64 s[36:37], s[40:41]
	s_cbranch_execz .LBB634_636
.LBB634_668:                            ;   in Loop: Header=BB634_566 Depth=2
	v_lshlrev_b32_e32 v13, 2, v95
	ds_read_b32 v15, v13
	ds_read_b64 v[13:14], v12 offset:7168
	v_mov_b32_e32 v16, v3
	v_mov_b32_e32 v17, s75
	s_waitcnt lgkmcnt(1)
	v_add_u32_e32 v15, v15, v35
	v_lshlrev_b64 v[15:16], 3, v[15:16]
	v_add_co_u32_e32 v15, vcc, s74, v15
	v_addc_co_u32_e32 v16, vcc, v17, v16, vcc
	s_waitcnt lgkmcnt(0)
	global_store_dwordx2 v[15:16], v[13:14], off
	s_or_b64 exec, exec, s[36:37]
	s_and_saveexec_b64 s[36:37], s[42:43]
	s_cbranch_execz .LBB634_637
.LBB634_669:                            ;   in Loop: Header=BB634_566 Depth=2
	v_lshlrev_b32_e32 v13, 2, v94
	ds_read_b32 v15, v13
	ds_read_b64 v[13:14], v12 offset:9216
	v_mov_b32_e32 v16, v3
	v_mov_b32_e32 v17, s75
	s_waitcnt lgkmcnt(1)
	v_add_u32_e32 v15, v15, v38
	v_lshlrev_b64 v[15:16], 3, v[15:16]
	v_add_co_u32_e32 v15, vcc, s74, v15
	v_addc_co_u32_e32 v16, vcc, v17, v16, vcc
	s_waitcnt lgkmcnt(0)
	global_store_dwordx2 v[15:16], v[13:14], off
	s_or_b64 exec, exec, s[36:37]
	s_and_saveexec_b64 s[36:37], s[44:45]
	s_cbranch_execz .LBB634_638
.LBB634_670:                            ;   in Loop: Header=BB634_566 Depth=2
	v_lshlrev_b32_e32 v13, 2, v93
	ds_read_b32 v15, v13
	ds_read_b64 v[13:14], v12 offset:11264
	v_mov_b32_e32 v16, v3
	v_mov_b32_e32 v17, s75
	s_waitcnt lgkmcnt(1)
	v_add_u32_e32 v15, v15, v39
	v_lshlrev_b64 v[15:16], 3, v[15:16]
	v_add_co_u32_e32 v15, vcc, s74, v15
	v_addc_co_u32_e32 v16, vcc, v17, v16, vcc
	s_waitcnt lgkmcnt(0)
	global_store_dwordx2 v[15:16], v[13:14], off
	s_or_b64 exec, exec, s[36:37]
	s_and_saveexec_b64 s[36:37], s[46:47]
	s_cbranch_execz .LBB634_639
.LBB634_671:                            ;   in Loop: Header=BB634_566 Depth=2
	v_lshlrev_b32_e32 v13, 2, v92
	ds_read_b32 v15, v13
	ds_read_b64 v[13:14], v12 offset:13312
	v_mov_b32_e32 v16, v3
	v_mov_b32_e32 v17, s75
	s_waitcnt lgkmcnt(1)
	v_add_u32_e32 v15, v15, v40
	v_lshlrev_b64 v[15:16], 3, v[15:16]
	v_add_co_u32_e32 v15, vcc, s74, v15
	v_addc_co_u32_e32 v16, vcc, v17, v16, vcc
	s_waitcnt lgkmcnt(0)
	global_store_dwordx2 v[15:16], v[13:14], off
	s_or_b64 exec, exec, s[36:37]
	s_and_saveexec_b64 s[36:37], s[48:49]
	s_cbranch_execnz .LBB634_640
	s_branch .LBB634_641
.LBB634_672:                            ;   in Loop: Header=BB634_566 Depth=2
	global_load_dword v12, v[30:31], off
	v_mov_b32_e32 v13, v11
	v_mov_b32_e32 v14, v11
	;; [unrolled: 1-line block ×7, first 2 shown]
	s_or_b64 exec, exec, s[36:37]
	v_cmp_gt_u32_e32 vcc, s71, v81
	s_and_saveexec_b64 s[36:37], vcc
	s_cbranch_execz .LBB634_571
.LBB634_673:                            ;   in Loop: Header=BB634_566 Depth=2
	global_load_dword v13, v[30:31], off offset:256
	s_or_b64 exec, exec, s[36:37]
	v_cmp_gt_u32_e32 vcc, s71, v82
	s_and_saveexec_b64 s[36:37], vcc
	s_cbranch_execz .LBB634_572
.LBB634_674:                            ;   in Loop: Header=BB634_566 Depth=2
	global_load_dword v14, v[30:31], off offset:512
	s_or_b64 exec, exec, s[36:37]
	v_cmp_gt_u32_e32 vcc, s71, v83
	s_and_saveexec_b64 s[36:37], vcc
	s_cbranch_execz .LBB634_573
.LBB634_675:                            ;   in Loop: Header=BB634_566 Depth=2
	global_load_dword v15, v[30:31], off offset:768
	s_or_b64 exec, exec, s[36:37]
	v_cmp_gt_u32_e32 vcc, s71, v87
	s_and_saveexec_b64 s[36:37], vcc
	s_cbranch_execz .LBB634_574
.LBB634_676:                            ;   in Loop: Header=BB634_566 Depth=2
	global_load_dword v16, v[30:31], off offset:1024
	s_or_b64 exec, exec, s[36:37]
	v_cmp_gt_u32_e32 vcc, s71, v88
	s_and_saveexec_b64 s[36:37], vcc
	s_cbranch_execz .LBB634_575
.LBB634_677:                            ;   in Loop: Header=BB634_566 Depth=2
	global_load_dword v17, v[30:31], off offset:1280
	s_or_b64 exec, exec, s[36:37]
	v_cmp_gt_u32_e32 vcc, s71, v89
	s_and_saveexec_b64 s[36:37], vcc
	s_cbranch_execnz .LBB634_576
	s_branch .LBB634_577
.LBB634_678:
	s_endpgm
	.section	.rodata,"a",@progbits
	.p2align	6, 0x0
	.amdhsa_kernel _ZN7rocprim17ROCPRIM_400000_NS6detail17trampoline_kernelINS0_14default_configENS1_36segmented_radix_sort_config_selectorIilEEZNS1_25segmented_radix_sort_implIS3_Lb0EPKiPiPKlPlN2at6native12_GLOBAL__N_18offset_tEEE10hipError_tPvRmT1_PNSt15iterator_traitsISK_E10value_typeET2_T3_PNSL_ISQ_E10value_typeET4_jRbjT5_SW_jjP12ihipStream_tbEUlT_E2_NS1_11comp_targetILNS1_3genE2ELNS1_11target_archE906ELNS1_3gpuE6ELNS1_3repE0EEENS1_30default_config_static_selectorELNS0_4arch9wavefront6targetE1EEEvSK_
		.amdhsa_group_segment_fixed_size 17424
		.amdhsa_private_segment_fixed_size 0
		.amdhsa_kernarg_size 336
		.amdhsa_user_sgpr_count 6
		.amdhsa_user_sgpr_private_segment_buffer 1
		.amdhsa_user_sgpr_dispatch_ptr 0
		.amdhsa_user_sgpr_queue_ptr 0
		.amdhsa_user_sgpr_kernarg_segment_ptr 1
		.amdhsa_user_sgpr_dispatch_id 0
		.amdhsa_user_sgpr_flat_scratch_init 0
		.amdhsa_user_sgpr_private_segment_size 0
		.amdhsa_uses_dynamic_stack 0
		.amdhsa_system_sgpr_private_segment_wavefront_offset 0
		.amdhsa_system_sgpr_workgroup_id_x 1
		.amdhsa_system_sgpr_workgroup_id_y 1
		.amdhsa_system_sgpr_workgroup_id_z 0
		.amdhsa_system_sgpr_workgroup_info 0
		.amdhsa_system_vgpr_workitem_id 2
		.amdhsa_next_free_vgpr 177
		.amdhsa_next_free_sgpr 98
		.amdhsa_reserve_vcc 1
		.amdhsa_reserve_flat_scratch 0
		.amdhsa_float_round_mode_32 0
		.amdhsa_float_round_mode_16_64 0
		.amdhsa_float_denorm_mode_32 3
		.amdhsa_float_denorm_mode_16_64 3
		.amdhsa_dx10_clamp 1
		.amdhsa_ieee_mode 1
		.amdhsa_fp16_overflow 0
		.amdhsa_exception_fp_ieee_invalid_op 0
		.amdhsa_exception_fp_denorm_src 0
		.amdhsa_exception_fp_ieee_div_zero 0
		.amdhsa_exception_fp_ieee_overflow 0
		.amdhsa_exception_fp_ieee_underflow 0
		.amdhsa_exception_fp_ieee_inexact 0
		.amdhsa_exception_int_div_zero 0
	.end_amdhsa_kernel
	.section	.text._ZN7rocprim17ROCPRIM_400000_NS6detail17trampoline_kernelINS0_14default_configENS1_36segmented_radix_sort_config_selectorIilEEZNS1_25segmented_radix_sort_implIS3_Lb0EPKiPiPKlPlN2at6native12_GLOBAL__N_18offset_tEEE10hipError_tPvRmT1_PNSt15iterator_traitsISK_E10value_typeET2_T3_PNSL_ISQ_E10value_typeET4_jRbjT5_SW_jjP12ihipStream_tbEUlT_E2_NS1_11comp_targetILNS1_3genE2ELNS1_11target_archE906ELNS1_3gpuE6ELNS1_3repE0EEENS1_30default_config_static_selectorELNS0_4arch9wavefront6targetE1EEEvSK_,"axG",@progbits,_ZN7rocprim17ROCPRIM_400000_NS6detail17trampoline_kernelINS0_14default_configENS1_36segmented_radix_sort_config_selectorIilEEZNS1_25segmented_radix_sort_implIS3_Lb0EPKiPiPKlPlN2at6native12_GLOBAL__N_18offset_tEEE10hipError_tPvRmT1_PNSt15iterator_traitsISK_E10value_typeET2_T3_PNSL_ISQ_E10value_typeET4_jRbjT5_SW_jjP12ihipStream_tbEUlT_E2_NS1_11comp_targetILNS1_3genE2ELNS1_11target_archE906ELNS1_3gpuE6ELNS1_3repE0EEENS1_30default_config_static_selectorELNS0_4arch9wavefront6targetE1EEEvSK_,comdat
.Lfunc_end634:
	.size	_ZN7rocprim17ROCPRIM_400000_NS6detail17trampoline_kernelINS0_14default_configENS1_36segmented_radix_sort_config_selectorIilEEZNS1_25segmented_radix_sort_implIS3_Lb0EPKiPiPKlPlN2at6native12_GLOBAL__N_18offset_tEEE10hipError_tPvRmT1_PNSt15iterator_traitsISK_E10value_typeET2_T3_PNSL_ISQ_E10value_typeET4_jRbjT5_SW_jjP12ihipStream_tbEUlT_E2_NS1_11comp_targetILNS1_3genE2ELNS1_11target_archE906ELNS1_3gpuE6ELNS1_3repE0EEENS1_30default_config_static_selectorELNS0_4arch9wavefront6targetE1EEEvSK_, .Lfunc_end634-_ZN7rocprim17ROCPRIM_400000_NS6detail17trampoline_kernelINS0_14default_configENS1_36segmented_radix_sort_config_selectorIilEEZNS1_25segmented_radix_sort_implIS3_Lb0EPKiPiPKlPlN2at6native12_GLOBAL__N_18offset_tEEE10hipError_tPvRmT1_PNSt15iterator_traitsISK_E10value_typeET2_T3_PNSL_ISQ_E10value_typeET4_jRbjT5_SW_jjP12ihipStream_tbEUlT_E2_NS1_11comp_targetILNS1_3genE2ELNS1_11target_archE906ELNS1_3gpuE6ELNS1_3repE0EEENS1_30default_config_static_selectorELNS0_4arch9wavefront6targetE1EEEvSK_
                                        ; -- End function
	.set _ZN7rocprim17ROCPRIM_400000_NS6detail17trampoline_kernelINS0_14default_configENS1_36segmented_radix_sort_config_selectorIilEEZNS1_25segmented_radix_sort_implIS3_Lb0EPKiPiPKlPlN2at6native12_GLOBAL__N_18offset_tEEE10hipError_tPvRmT1_PNSt15iterator_traitsISK_E10value_typeET2_T3_PNSL_ISQ_E10value_typeET4_jRbjT5_SW_jjP12ihipStream_tbEUlT_E2_NS1_11comp_targetILNS1_3genE2ELNS1_11target_archE906ELNS1_3gpuE6ELNS1_3repE0EEENS1_30default_config_static_selectorELNS0_4arch9wavefront6targetE1EEEvSK_.num_vgpr, max(132, .L_ZN7rocprim17ROCPRIM_400000_NS6detail26segmented_warp_sort_helperINS1_20WarpSortHelperConfigILj8ELj4ELj256EEEilLi256ELb0EvE4sortIPKiPiPKlPlEEvT_T0_T1_T2_jjjjRNS5_12storage_typeE.num_vgpr, .L_ZN7rocprim17ROCPRIM_400000_NS6detail40segmented_radix_sort_single_block_helperIilLj256ELj8ELb0EE4sortIPKiPiPKlPlEEbT_T0_T1_T2_jjjjRNS3_12storage_typeE.num_vgpr)
	.set _ZN7rocprim17ROCPRIM_400000_NS6detail17trampoline_kernelINS0_14default_configENS1_36segmented_radix_sort_config_selectorIilEEZNS1_25segmented_radix_sort_implIS3_Lb0EPKiPiPKlPlN2at6native12_GLOBAL__N_18offset_tEEE10hipError_tPvRmT1_PNSt15iterator_traitsISK_E10value_typeET2_T3_PNSL_ISQ_E10value_typeET4_jRbjT5_SW_jjP12ihipStream_tbEUlT_E2_NS1_11comp_targetILNS1_3genE2ELNS1_11target_archE906ELNS1_3gpuE6ELNS1_3repE0EEENS1_30default_config_static_selectorELNS0_4arch9wavefront6targetE1EEEvSK_.num_agpr, max(0, .L_ZN7rocprim17ROCPRIM_400000_NS6detail26segmented_warp_sort_helperINS1_20WarpSortHelperConfigILj8ELj4ELj256EEEilLi256ELb0EvE4sortIPKiPiPKlPlEEvT_T0_T1_T2_jjjjRNS5_12storage_typeE.num_agpr, .L_ZN7rocprim17ROCPRIM_400000_NS6detail40segmented_radix_sort_single_block_helperIilLj256ELj8ELb0EE4sortIPKiPiPKlPlEEbT_T0_T1_T2_jjjjRNS3_12storage_typeE.num_agpr)
	.set _ZN7rocprim17ROCPRIM_400000_NS6detail17trampoline_kernelINS0_14default_configENS1_36segmented_radix_sort_config_selectorIilEEZNS1_25segmented_radix_sort_implIS3_Lb0EPKiPiPKlPlN2at6native12_GLOBAL__N_18offset_tEEE10hipError_tPvRmT1_PNSt15iterator_traitsISK_E10value_typeET2_T3_PNSL_ISQ_E10value_typeET4_jRbjT5_SW_jjP12ihipStream_tbEUlT_E2_NS1_11comp_targetILNS1_3genE2ELNS1_11target_archE906ELNS1_3gpuE6ELNS1_3repE0EEENS1_30default_config_static_selectorELNS0_4arch9wavefront6targetE1EEEvSK_.numbered_sgpr, max(80, .L_ZN7rocprim17ROCPRIM_400000_NS6detail26segmented_warp_sort_helperINS1_20WarpSortHelperConfigILj8ELj4ELj256EEEilLi256ELb0EvE4sortIPKiPiPKlPlEEvT_T0_T1_T2_jjjjRNS5_12storage_typeE.numbered_sgpr, .L_ZN7rocprim17ROCPRIM_400000_NS6detail40segmented_radix_sort_single_block_helperIilLj256ELj8ELb0EE4sortIPKiPiPKlPlEEbT_T0_T1_T2_jjjjRNS3_12storage_typeE.numbered_sgpr)
	.set _ZN7rocprim17ROCPRIM_400000_NS6detail17trampoline_kernelINS0_14default_configENS1_36segmented_radix_sort_config_selectorIilEEZNS1_25segmented_radix_sort_implIS3_Lb0EPKiPiPKlPlN2at6native12_GLOBAL__N_18offset_tEEE10hipError_tPvRmT1_PNSt15iterator_traitsISK_E10value_typeET2_T3_PNSL_ISQ_E10value_typeET4_jRbjT5_SW_jjP12ihipStream_tbEUlT_E2_NS1_11comp_targetILNS1_3genE2ELNS1_11target_archE906ELNS1_3gpuE6ELNS1_3repE0EEENS1_30default_config_static_selectorELNS0_4arch9wavefront6targetE1EEEvSK_.num_named_barrier, max(0, .L_ZN7rocprim17ROCPRIM_400000_NS6detail26segmented_warp_sort_helperINS1_20WarpSortHelperConfigILj8ELj4ELj256EEEilLi256ELb0EvE4sortIPKiPiPKlPlEEvT_T0_T1_T2_jjjjRNS5_12storage_typeE.num_named_barrier, .L_ZN7rocprim17ROCPRIM_400000_NS6detail40segmented_radix_sort_single_block_helperIilLj256ELj8ELb0EE4sortIPKiPiPKlPlEEbT_T0_T1_T2_jjjjRNS3_12storage_typeE.num_named_barrier)
	.set _ZN7rocprim17ROCPRIM_400000_NS6detail17trampoline_kernelINS0_14default_configENS1_36segmented_radix_sort_config_selectorIilEEZNS1_25segmented_radix_sort_implIS3_Lb0EPKiPiPKlPlN2at6native12_GLOBAL__N_18offset_tEEE10hipError_tPvRmT1_PNSt15iterator_traitsISK_E10value_typeET2_T3_PNSL_ISQ_E10value_typeET4_jRbjT5_SW_jjP12ihipStream_tbEUlT_E2_NS1_11comp_targetILNS1_3genE2ELNS1_11target_archE906ELNS1_3gpuE6ELNS1_3repE0EEENS1_30default_config_static_selectorELNS0_4arch9wavefront6targetE1EEEvSK_.private_seg_size, 0+max(.L_ZN7rocprim17ROCPRIM_400000_NS6detail26segmented_warp_sort_helperINS1_20WarpSortHelperConfigILj8ELj4ELj256EEEilLi256ELb0EvE4sortIPKiPiPKlPlEEvT_T0_T1_T2_jjjjRNS5_12storage_typeE.private_seg_size, .L_ZN7rocprim17ROCPRIM_400000_NS6detail40segmented_radix_sort_single_block_helperIilLj256ELj8ELb0EE4sortIPKiPiPKlPlEEbT_T0_T1_T2_jjjjRNS3_12storage_typeE.private_seg_size)
	.set _ZN7rocprim17ROCPRIM_400000_NS6detail17trampoline_kernelINS0_14default_configENS1_36segmented_radix_sort_config_selectorIilEEZNS1_25segmented_radix_sort_implIS3_Lb0EPKiPiPKlPlN2at6native12_GLOBAL__N_18offset_tEEE10hipError_tPvRmT1_PNSt15iterator_traitsISK_E10value_typeET2_T3_PNSL_ISQ_E10value_typeET4_jRbjT5_SW_jjP12ihipStream_tbEUlT_E2_NS1_11comp_targetILNS1_3genE2ELNS1_11target_archE906ELNS1_3gpuE6ELNS1_3repE0EEENS1_30default_config_static_selectorELNS0_4arch9wavefront6targetE1EEEvSK_.uses_vcc, or(1, .L_ZN7rocprim17ROCPRIM_400000_NS6detail26segmented_warp_sort_helperINS1_20WarpSortHelperConfigILj8ELj4ELj256EEEilLi256ELb0EvE4sortIPKiPiPKlPlEEvT_T0_T1_T2_jjjjRNS5_12storage_typeE.uses_vcc, .L_ZN7rocprim17ROCPRIM_400000_NS6detail40segmented_radix_sort_single_block_helperIilLj256ELj8ELb0EE4sortIPKiPiPKlPlEEbT_T0_T1_T2_jjjjRNS3_12storage_typeE.uses_vcc)
	.set _ZN7rocprim17ROCPRIM_400000_NS6detail17trampoline_kernelINS0_14default_configENS1_36segmented_radix_sort_config_selectorIilEEZNS1_25segmented_radix_sort_implIS3_Lb0EPKiPiPKlPlN2at6native12_GLOBAL__N_18offset_tEEE10hipError_tPvRmT1_PNSt15iterator_traitsISK_E10value_typeET2_T3_PNSL_ISQ_E10value_typeET4_jRbjT5_SW_jjP12ihipStream_tbEUlT_E2_NS1_11comp_targetILNS1_3genE2ELNS1_11target_archE906ELNS1_3gpuE6ELNS1_3repE0EEENS1_30default_config_static_selectorELNS0_4arch9wavefront6targetE1EEEvSK_.uses_flat_scratch, or(0, .L_ZN7rocprim17ROCPRIM_400000_NS6detail26segmented_warp_sort_helperINS1_20WarpSortHelperConfigILj8ELj4ELj256EEEilLi256ELb0EvE4sortIPKiPiPKlPlEEvT_T0_T1_T2_jjjjRNS5_12storage_typeE.uses_flat_scratch, .L_ZN7rocprim17ROCPRIM_400000_NS6detail40segmented_radix_sort_single_block_helperIilLj256ELj8ELb0EE4sortIPKiPiPKlPlEEbT_T0_T1_T2_jjjjRNS3_12storage_typeE.uses_flat_scratch)
	.set _ZN7rocprim17ROCPRIM_400000_NS6detail17trampoline_kernelINS0_14default_configENS1_36segmented_radix_sort_config_selectorIilEEZNS1_25segmented_radix_sort_implIS3_Lb0EPKiPiPKlPlN2at6native12_GLOBAL__N_18offset_tEEE10hipError_tPvRmT1_PNSt15iterator_traitsISK_E10value_typeET2_T3_PNSL_ISQ_E10value_typeET4_jRbjT5_SW_jjP12ihipStream_tbEUlT_E2_NS1_11comp_targetILNS1_3genE2ELNS1_11target_archE906ELNS1_3gpuE6ELNS1_3repE0EEENS1_30default_config_static_selectorELNS0_4arch9wavefront6targetE1EEEvSK_.has_dyn_sized_stack, or(0, .L_ZN7rocprim17ROCPRIM_400000_NS6detail26segmented_warp_sort_helperINS1_20WarpSortHelperConfigILj8ELj4ELj256EEEilLi256ELb0EvE4sortIPKiPiPKlPlEEvT_T0_T1_T2_jjjjRNS5_12storage_typeE.has_dyn_sized_stack, .L_ZN7rocprim17ROCPRIM_400000_NS6detail40segmented_radix_sort_single_block_helperIilLj256ELj8ELb0EE4sortIPKiPiPKlPlEEbT_T0_T1_T2_jjjjRNS3_12storage_typeE.has_dyn_sized_stack)
	.set _ZN7rocprim17ROCPRIM_400000_NS6detail17trampoline_kernelINS0_14default_configENS1_36segmented_radix_sort_config_selectorIilEEZNS1_25segmented_radix_sort_implIS3_Lb0EPKiPiPKlPlN2at6native12_GLOBAL__N_18offset_tEEE10hipError_tPvRmT1_PNSt15iterator_traitsISK_E10value_typeET2_T3_PNSL_ISQ_E10value_typeET4_jRbjT5_SW_jjP12ihipStream_tbEUlT_E2_NS1_11comp_targetILNS1_3genE2ELNS1_11target_archE906ELNS1_3gpuE6ELNS1_3repE0EEENS1_30default_config_static_selectorELNS0_4arch9wavefront6targetE1EEEvSK_.has_recursion, or(0, .L_ZN7rocprim17ROCPRIM_400000_NS6detail26segmented_warp_sort_helperINS1_20WarpSortHelperConfigILj8ELj4ELj256EEEilLi256ELb0EvE4sortIPKiPiPKlPlEEvT_T0_T1_T2_jjjjRNS5_12storage_typeE.has_recursion, .L_ZN7rocprim17ROCPRIM_400000_NS6detail40segmented_radix_sort_single_block_helperIilLj256ELj8ELb0EE4sortIPKiPiPKlPlEEbT_T0_T1_T2_jjjjRNS3_12storage_typeE.has_recursion)
	.set _ZN7rocprim17ROCPRIM_400000_NS6detail17trampoline_kernelINS0_14default_configENS1_36segmented_radix_sort_config_selectorIilEEZNS1_25segmented_radix_sort_implIS3_Lb0EPKiPiPKlPlN2at6native12_GLOBAL__N_18offset_tEEE10hipError_tPvRmT1_PNSt15iterator_traitsISK_E10value_typeET2_T3_PNSL_ISQ_E10value_typeET4_jRbjT5_SW_jjP12ihipStream_tbEUlT_E2_NS1_11comp_targetILNS1_3genE2ELNS1_11target_archE906ELNS1_3gpuE6ELNS1_3repE0EEENS1_30default_config_static_selectorELNS0_4arch9wavefront6targetE1EEEvSK_.has_indirect_call, or(0, .L_ZN7rocprim17ROCPRIM_400000_NS6detail26segmented_warp_sort_helperINS1_20WarpSortHelperConfigILj8ELj4ELj256EEEilLi256ELb0EvE4sortIPKiPiPKlPlEEvT_T0_T1_T2_jjjjRNS5_12storage_typeE.has_indirect_call, .L_ZN7rocprim17ROCPRIM_400000_NS6detail40segmented_radix_sort_single_block_helperIilLj256ELj8ELb0EE4sortIPKiPiPKlPlEEbT_T0_T1_T2_jjjjRNS3_12storage_typeE.has_indirect_call)
	.section	.AMDGPU.csdata,"",@progbits
; Kernel info:
; codeLenInByte = 36256
; TotalNumSgprs: 84
; NumVgprs: 177
; ScratchSize: 0
; MemoryBound: 0
; FloatMode: 240
; IeeeMode: 1
; LDSByteSize: 17424 bytes/workgroup (compile time only)
; SGPRBlocks: 12
; VGPRBlocks: 44
; NumSGPRsForWavesPerEU: 102
; NumVGPRsForWavesPerEU: 177
; Occupancy: 1
; WaveLimiterHint : 1
; COMPUTE_PGM_RSRC2:SCRATCH_EN: 0
; COMPUTE_PGM_RSRC2:USER_SGPR: 6
; COMPUTE_PGM_RSRC2:TRAP_HANDLER: 0
; COMPUTE_PGM_RSRC2:TGID_X_EN: 1
; COMPUTE_PGM_RSRC2:TGID_Y_EN: 1
; COMPUTE_PGM_RSRC2:TGID_Z_EN: 0
; COMPUTE_PGM_RSRC2:TIDIG_COMP_CNT: 2
	.section	.text._ZN7rocprim17ROCPRIM_400000_NS6detail17trampoline_kernelINS0_14default_configENS1_36segmented_radix_sort_config_selectorIilEEZNS1_25segmented_radix_sort_implIS3_Lb0EPKiPiPKlPlN2at6native12_GLOBAL__N_18offset_tEEE10hipError_tPvRmT1_PNSt15iterator_traitsISK_E10value_typeET2_T3_PNSL_ISQ_E10value_typeET4_jRbjT5_SW_jjP12ihipStream_tbEUlT_E2_NS1_11comp_targetILNS1_3genE10ELNS1_11target_archE1201ELNS1_3gpuE5ELNS1_3repE0EEENS1_30default_config_static_selectorELNS0_4arch9wavefront6targetE1EEEvSK_,"axG",@progbits,_ZN7rocprim17ROCPRIM_400000_NS6detail17trampoline_kernelINS0_14default_configENS1_36segmented_radix_sort_config_selectorIilEEZNS1_25segmented_radix_sort_implIS3_Lb0EPKiPiPKlPlN2at6native12_GLOBAL__N_18offset_tEEE10hipError_tPvRmT1_PNSt15iterator_traitsISK_E10value_typeET2_T3_PNSL_ISQ_E10value_typeET4_jRbjT5_SW_jjP12ihipStream_tbEUlT_E2_NS1_11comp_targetILNS1_3genE10ELNS1_11target_archE1201ELNS1_3gpuE5ELNS1_3repE0EEENS1_30default_config_static_selectorELNS0_4arch9wavefront6targetE1EEEvSK_,comdat
	.globl	_ZN7rocprim17ROCPRIM_400000_NS6detail17trampoline_kernelINS0_14default_configENS1_36segmented_radix_sort_config_selectorIilEEZNS1_25segmented_radix_sort_implIS3_Lb0EPKiPiPKlPlN2at6native12_GLOBAL__N_18offset_tEEE10hipError_tPvRmT1_PNSt15iterator_traitsISK_E10value_typeET2_T3_PNSL_ISQ_E10value_typeET4_jRbjT5_SW_jjP12ihipStream_tbEUlT_E2_NS1_11comp_targetILNS1_3genE10ELNS1_11target_archE1201ELNS1_3gpuE5ELNS1_3repE0EEENS1_30default_config_static_selectorELNS0_4arch9wavefront6targetE1EEEvSK_ ; -- Begin function _ZN7rocprim17ROCPRIM_400000_NS6detail17trampoline_kernelINS0_14default_configENS1_36segmented_radix_sort_config_selectorIilEEZNS1_25segmented_radix_sort_implIS3_Lb0EPKiPiPKlPlN2at6native12_GLOBAL__N_18offset_tEEE10hipError_tPvRmT1_PNSt15iterator_traitsISK_E10value_typeET2_T3_PNSL_ISQ_E10value_typeET4_jRbjT5_SW_jjP12ihipStream_tbEUlT_E2_NS1_11comp_targetILNS1_3genE10ELNS1_11target_archE1201ELNS1_3gpuE5ELNS1_3repE0EEENS1_30default_config_static_selectorELNS0_4arch9wavefront6targetE1EEEvSK_
	.p2align	8
	.type	_ZN7rocprim17ROCPRIM_400000_NS6detail17trampoline_kernelINS0_14default_configENS1_36segmented_radix_sort_config_selectorIilEEZNS1_25segmented_radix_sort_implIS3_Lb0EPKiPiPKlPlN2at6native12_GLOBAL__N_18offset_tEEE10hipError_tPvRmT1_PNSt15iterator_traitsISK_E10value_typeET2_T3_PNSL_ISQ_E10value_typeET4_jRbjT5_SW_jjP12ihipStream_tbEUlT_E2_NS1_11comp_targetILNS1_3genE10ELNS1_11target_archE1201ELNS1_3gpuE5ELNS1_3repE0EEENS1_30default_config_static_selectorELNS0_4arch9wavefront6targetE1EEEvSK_,@function
_ZN7rocprim17ROCPRIM_400000_NS6detail17trampoline_kernelINS0_14default_configENS1_36segmented_radix_sort_config_selectorIilEEZNS1_25segmented_radix_sort_implIS3_Lb0EPKiPiPKlPlN2at6native12_GLOBAL__N_18offset_tEEE10hipError_tPvRmT1_PNSt15iterator_traitsISK_E10value_typeET2_T3_PNSL_ISQ_E10value_typeET4_jRbjT5_SW_jjP12ihipStream_tbEUlT_E2_NS1_11comp_targetILNS1_3genE10ELNS1_11target_archE1201ELNS1_3gpuE5ELNS1_3repE0EEENS1_30default_config_static_selectorELNS0_4arch9wavefront6targetE1EEEvSK_: ; @_ZN7rocprim17ROCPRIM_400000_NS6detail17trampoline_kernelINS0_14default_configENS1_36segmented_radix_sort_config_selectorIilEEZNS1_25segmented_radix_sort_implIS3_Lb0EPKiPiPKlPlN2at6native12_GLOBAL__N_18offset_tEEE10hipError_tPvRmT1_PNSt15iterator_traitsISK_E10value_typeET2_T3_PNSL_ISQ_E10value_typeET4_jRbjT5_SW_jjP12ihipStream_tbEUlT_E2_NS1_11comp_targetILNS1_3genE10ELNS1_11target_archE1201ELNS1_3gpuE5ELNS1_3repE0EEENS1_30default_config_static_selectorELNS0_4arch9wavefront6targetE1EEEvSK_
; %bb.0:
	.section	.rodata,"a",@progbits
	.p2align	6, 0x0
	.amdhsa_kernel _ZN7rocprim17ROCPRIM_400000_NS6detail17trampoline_kernelINS0_14default_configENS1_36segmented_radix_sort_config_selectorIilEEZNS1_25segmented_radix_sort_implIS3_Lb0EPKiPiPKlPlN2at6native12_GLOBAL__N_18offset_tEEE10hipError_tPvRmT1_PNSt15iterator_traitsISK_E10value_typeET2_T3_PNSL_ISQ_E10value_typeET4_jRbjT5_SW_jjP12ihipStream_tbEUlT_E2_NS1_11comp_targetILNS1_3genE10ELNS1_11target_archE1201ELNS1_3gpuE5ELNS1_3repE0EEENS1_30default_config_static_selectorELNS0_4arch9wavefront6targetE1EEEvSK_
		.amdhsa_group_segment_fixed_size 0
		.amdhsa_private_segment_fixed_size 0
		.amdhsa_kernarg_size 80
		.amdhsa_user_sgpr_count 6
		.amdhsa_user_sgpr_private_segment_buffer 1
		.amdhsa_user_sgpr_dispatch_ptr 0
		.amdhsa_user_sgpr_queue_ptr 0
		.amdhsa_user_sgpr_kernarg_segment_ptr 1
		.amdhsa_user_sgpr_dispatch_id 0
		.amdhsa_user_sgpr_flat_scratch_init 0
		.amdhsa_user_sgpr_private_segment_size 0
		.amdhsa_uses_dynamic_stack 0
		.amdhsa_system_sgpr_private_segment_wavefront_offset 0
		.amdhsa_system_sgpr_workgroup_id_x 1
		.amdhsa_system_sgpr_workgroup_id_y 0
		.amdhsa_system_sgpr_workgroup_id_z 0
		.amdhsa_system_sgpr_workgroup_info 0
		.amdhsa_system_vgpr_workitem_id 0
		.amdhsa_next_free_vgpr 1
		.amdhsa_next_free_sgpr 0
		.amdhsa_reserve_vcc 0
		.amdhsa_reserve_flat_scratch 0
		.amdhsa_float_round_mode_32 0
		.amdhsa_float_round_mode_16_64 0
		.amdhsa_float_denorm_mode_32 3
		.amdhsa_float_denorm_mode_16_64 3
		.amdhsa_dx10_clamp 1
		.amdhsa_ieee_mode 1
		.amdhsa_fp16_overflow 0
		.amdhsa_exception_fp_ieee_invalid_op 0
		.amdhsa_exception_fp_denorm_src 0
		.amdhsa_exception_fp_ieee_div_zero 0
		.amdhsa_exception_fp_ieee_overflow 0
		.amdhsa_exception_fp_ieee_underflow 0
		.amdhsa_exception_fp_ieee_inexact 0
		.amdhsa_exception_int_div_zero 0
	.end_amdhsa_kernel
	.section	.text._ZN7rocprim17ROCPRIM_400000_NS6detail17trampoline_kernelINS0_14default_configENS1_36segmented_radix_sort_config_selectorIilEEZNS1_25segmented_radix_sort_implIS3_Lb0EPKiPiPKlPlN2at6native12_GLOBAL__N_18offset_tEEE10hipError_tPvRmT1_PNSt15iterator_traitsISK_E10value_typeET2_T3_PNSL_ISQ_E10value_typeET4_jRbjT5_SW_jjP12ihipStream_tbEUlT_E2_NS1_11comp_targetILNS1_3genE10ELNS1_11target_archE1201ELNS1_3gpuE5ELNS1_3repE0EEENS1_30default_config_static_selectorELNS0_4arch9wavefront6targetE1EEEvSK_,"axG",@progbits,_ZN7rocprim17ROCPRIM_400000_NS6detail17trampoline_kernelINS0_14default_configENS1_36segmented_radix_sort_config_selectorIilEEZNS1_25segmented_radix_sort_implIS3_Lb0EPKiPiPKlPlN2at6native12_GLOBAL__N_18offset_tEEE10hipError_tPvRmT1_PNSt15iterator_traitsISK_E10value_typeET2_T3_PNSL_ISQ_E10value_typeET4_jRbjT5_SW_jjP12ihipStream_tbEUlT_E2_NS1_11comp_targetILNS1_3genE10ELNS1_11target_archE1201ELNS1_3gpuE5ELNS1_3repE0EEENS1_30default_config_static_selectorELNS0_4arch9wavefront6targetE1EEEvSK_,comdat
.Lfunc_end635:
	.size	_ZN7rocprim17ROCPRIM_400000_NS6detail17trampoline_kernelINS0_14default_configENS1_36segmented_radix_sort_config_selectorIilEEZNS1_25segmented_radix_sort_implIS3_Lb0EPKiPiPKlPlN2at6native12_GLOBAL__N_18offset_tEEE10hipError_tPvRmT1_PNSt15iterator_traitsISK_E10value_typeET2_T3_PNSL_ISQ_E10value_typeET4_jRbjT5_SW_jjP12ihipStream_tbEUlT_E2_NS1_11comp_targetILNS1_3genE10ELNS1_11target_archE1201ELNS1_3gpuE5ELNS1_3repE0EEENS1_30default_config_static_selectorELNS0_4arch9wavefront6targetE1EEEvSK_, .Lfunc_end635-_ZN7rocprim17ROCPRIM_400000_NS6detail17trampoline_kernelINS0_14default_configENS1_36segmented_radix_sort_config_selectorIilEEZNS1_25segmented_radix_sort_implIS3_Lb0EPKiPiPKlPlN2at6native12_GLOBAL__N_18offset_tEEE10hipError_tPvRmT1_PNSt15iterator_traitsISK_E10value_typeET2_T3_PNSL_ISQ_E10value_typeET4_jRbjT5_SW_jjP12ihipStream_tbEUlT_E2_NS1_11comp_targetILNS1_3genE10ELNS1_11target_archE1201ELNS1_3gpuE5ELNS1_3repE0EEENS1_30default_config_static_selectorELNS0_4arch9wavefront6targetE1EEEvSK_
                                        ; -- End function
	.set _ZN7rocprim17ROCPRIM_400000_NS6detail17trampoline_kernelINS0_14default_configENS1_36segmented_radix_sort_config_selectorIilEEZNS1_25segmented_radix_sort_implIS3_Lb0EPKiPiPKlPlN2at6native12_GLOBAL__N_18offset_tEEE10hipError_tPvRmT1_PNSt15iterator_traitsISK_E10value_typeET2_T3_PNSL_ISQ_E10value_typeET4_jRbjT5_SW_jjP12ihipStream_tbEUlT_E2_NS1_11comp_targetILNS1_3genE10ELNS1_11target_archE1201ELNS1_3gpuE5ELNS1_3repE0EEENS1_30default_config_static_selectorELNS0_4arch9wavefront6targetE1EEEvSK_.num_vgpr, 0
	.set _ZN7rocprim17ROCPRIM_400000_NS6detail17trampoline_kernelINS0_14default_configENS1_36segmented_radix_sort_config_selectorIilEEZNS1_25segmented_radix_sort_implIS3_Lb0EPKiPiPKlPlN2at6native12_GLOBAL__N_18offset_tEEE10hipError_tPvRmT1_PNSt15iterator_traitsISK_E10value_typeET2_T3_PNSL_ISQ_E10value_typeET4_jRbjT5_SW_jjP12ihipStream_tbEUlT_E2_NS1_11comp_targetILNS1_3genE10ELNS1_11target_archE1201ELNS1_3gpuE5ELNS1_3repE0EEENS1_30default_config_static_selectorELNS0_4arch9wavefront6targetE1EEEvSK_.num_agpr, 0
	.set _ZN7rocprim17ROCPRIM_400000_NS6detail17trampoline_kernelINS0_14default_configENS1_36segmented_radix_sort_config_selectorIilEEZNS1_25segmented_radix_sort_implIS3_Lb0EPKiPiPKlPlN2at6native12_GLOBAL__N_18offset_tEEE10hipError_tPvRmT1_PNSt15iterator_traitsISK_E10value_typeET2_T3_PNSL_ISQ_E10value_typeET4_jRbjT5_SW_jjP12ihipStream_tbEUlT_E2_NS1_11comp_targetILNS1_3genE10ELNS1_11target_archE1201ELNS1_3gpuE5ELNS1_3repE0EEENS1_30default_config_static_selectorELNS0_4arch9wavefront6targetE1EEEvSK_.numbered_sgpr, 0
	.set _ZN7rocprim17ROCPRIM_400000_NS6detail17trampoline_kernelINS0_14default_configENS1_36segmented_radix_sort_config_selectorIilEEZNS1_25segmented_radix_sort_implIS3_Lb0EPKiPiPKlPlN2at6native12_GLOBAL__N_18offset_tEEE10hipError_tPvRmT1_PNSt15iterator_traitsISK_E10value_typeET2_T3_PNSL_ISQ_E10value_typeET4_jRbjT5_SW_jjP12ihipStream_tbEUlT_E2_NS1_11comp_targetILNS1_3genE10ELNS1_11target_archE1201ELNS1_3gpuE5ELNS1_3repE0EEENS1_30default_config_static_selectorELNS0_4arch9wavefront6targetE1EEEvSK_.num_named_barrier, 0
	.set _ZN7rocprim17ROCPRIM_400000_NS6detail17trampoline_kernelINS0_14default_configENS1_36segmented_radix_sort_config_selectorIilEEZNS1_25segmented_radix_sort_implIS3_Lb0EPKiPiPKlPlN2at6native12_GLOBAL__N_18offset_tEEE10hipError_tPvRmT1_PNSt15iterator_traitsISK_E10value_typeET2_T3_PNSL_ISQ_E10value_typeET4_jRbjT5_SW_jjP12ihipStream_tbEUlT_E2_NS1_11comp_targetILNS1_3genE10ELNS1_11target_archE1201ELNS1_3gpuE5ELNS1_3repE0EEENS1_30default_config_static_selectorELNS0_4arch9wavefront6targetE1EEEvSK_.private_seg_size, 0
	.set _ZN7rocprim17ROCPRIM_400000_NS6detail17trampoline_kernelINS0_14default_configENS1_36segmented_radix_sort_config_selectorIilEEZNS1_25segmented_radix_sort_implIS3_Lb0EPKiPiPKlPlN2at6native12_GLOBAL__N_18offset_tEEE10hipError_tPvRmT1_PNSt15iterator_traitsISK_E10value_typeET2_T3_PNSL_ISQ_E10value_typeET4_jRbjT5_SW_jjP12ihipStream_tbEUlT_E2_NS1_11comp_targetILNS1_3genE10ELNS1_11target_archE1201ELNS1_3gpuE5ELNS1_3repE0EEENS1_30default_config_static_selectorELNS0_4arch9wavefront6targetE1EEEvSK_.uses_vcc, 0
	.set _ZN7rocprim17ROCPRIM_400000_NS6detail17trampoline_kernelINS0_14default_configENS1_36segmented_radix_sort_config_selectorIilEEZNS1_25segmented_radix_sort_implIS3_Lb0EPKiPiPKlPlN2at6native12_GLOBAL__N_18offset_tEEE10hipError_tPvRmT1_PNSt15iterator_traitsISK_E10value_typeET2_T3_PNSL_ISQ_E10value_typeET4_jRbjT5_SW_jjP12ihipStream_tbEUlT_E2_NS1_11comp_targetILNS1_3genE10ELNS1_11target_archE1201ELNS1_3gpuE5ELNS1_3repE0EEENS1_30default_config_static_selectorELNS0_4arch9wavefront6targetE1EEEvSK_.uses_flat_scratch, 0
	.set _ZN7rocprim17ROCPRIM_400000_NS6detail17trampoline_kernelINS0_14default_configENS1_36segmented_radix_sort_config_selectorIilEEZNS1_25segmented_radix_sort_implIS3_Lb0EPKiPiPKlPlN2at6native12_GLOBAL__N_18offset_tEEE10hipError_tPvRmT1_PNSt15iterator_traitsISK_E10value_typeET2_T3_PNSL_ISQ_E10value_typeET4_jRbjT5_SW_jjP12ihipStream_tbEUlT_E2_NS1_11comp_targetILNS1_3genE10ELNS1_11target_archE1201ELNS1_3gpuE5ELNS1_3repE0EEENS1_30default_config_static_selectorELNS0_4arch9wavefront6targetE1EEEvSK_.has_dyn_sized_stack, 0
	.set _ZN7rocprim17ROCPRIM_400000_NS6detail17trampoline_kernelINS0_14default_configENS1_36segmented_radix_sort_config_selectorIilEEZNS1_25segmented_radix_sort_implIS3_Lb0EPKiPiPKlPlN2at6native12_GLOBAL__N_18offset_tEEE10hipError_tPvRmT1_PNSt15iterator_traitsISK_E10value_typeET2_T3_PNSL_ISQ_E10value_typeET4_jRbjT5_SW_jjP12ihipStream_tbEUlT_E2_NS1_11comp_targetILNS1_3genE10ELNS1_11target_archE1201ELNS1_3gpuE5ELNS1_3repE0EEENS1_30default_config_static_selectorELNS0_4arch9wavefront6targetE1EEEvSK_.has_recursion, 0
	.set _ZN7rocprim17ROCPRIM_400000_NS6detail17trampoline_kernelINS0_14default_configENS1_36segmented_radix_sort_config_selectorIilEEZNS1_25segmented_radix_sort_implIS3_Lb0EPKiPiPKlPlN2at6native12_GLOBAL__N_18offset_tEEE10hipError_tPvRmT1_PNSt15iterator_traitsISK_E10value_typeET2_T3_PNSL_ISQ_E10value_typeET4_jRbjT5_SW_jjP12ihipStream_tbEUlT_E2_NS1_11comp_targetILNS1_3genE10ELNS1_11target_archE1201ELNS1_3gpuE5ELNS1_3repE0EEENS1_30default_config_static_selectorELNS0_4arch9wavefront6targetE1EEEvSK_.has_indirect_call, 0
	.section	.AMDGPU.csdata,"",@progbits
; Kernel info:
; codeLenInByte = 0
; TotalNumSgprs: 4
; NumVgprs: 0
; ScratchSize: 0
; MemoryBound: 0
; FloatMode: 240
; IeeeMode: 1
; LDSByteSize: 0 bytes/workgroup (compile time only)
; SGPRBlocks: 0
; VGPRBlocks: 0
; NumSGPRsForWavesPerEU: 4
; NumVGPRsForWavesPerEU: 1
; Occupancy: 10
; WaveLimiterHint : 0
; COMPUTE_PGM_RSRC2:SCRATCH_EN: 0
; COMPUTE_PGM_RSRC2:USER_SGPR: 6
; COMPUTE_PGM_RSRC2:TRAP_HANDLER: 0
; COMPUTE_PGM_RSRC2:TGID_X_EN: 1
; COMPUTE_PGM_RSRC2:TGID_Y_EN: 0
; COMPUTE_PGM_RSRC2:TGID_Z_EN: 0
; COMPUTE_PGM_RSRC2:TIDIG_COMP_CNT: 0
	.section	.text._ZN7rocprim17ROCPRIM_400000_NS6detail17trampoline_kernelINS0_14default_configENS1_36segmented_radix_sort_config_selectorIilEEZNS1_25segmented_radix_sort_implIS3_Lb0EPKiPiPKlPlN2at6native12_GLOBAL__N_18offset_tEEE10hipError_tPvRmT1_PNSt15iterator_traitsISK_E10value_typeET2_T3_PNSL_ISQ_E10value_typeET4_jRbjT5_SW_jjP12ihipStream_tbEUlT_E2_NS1_11comp_targetILNS1_3genE10ELNS1_11target_archE1200ELNS1_3gpuE4ELNS1_3repE0EEENS1_30default_config_static_selectorELNS0_4arch9wavefront6targetE1EEEvSK_,"axG",@progbits,_ZN7rocprim17ROCPRIM_400000_NS6detail17trampoline_kernelINS0_14default_configENS1_36segmented_radix_sort_config_selectorIilEEZNS1_25segmented_radix_sort_implIS3_Lb0EPKiPiPKlPlN2at6native12_GLOBAL__N_18offset_tEEE10hipError_tPvRmT1_PNSt15iterator_traitsISK_E10value_typeET2_T3_PNSL_ISQ_E10value_typeET4_jRbjT5_SW_jjP12ihipStream_tbEUlT_E2_NS1_11comp_targetILNS1_3genE10ELNS1_11target_archE1200ELNS1_3gpuE4ELNS1_3repE0EEENS1_30default_config_static_selectorELNS0_4arch9wavefront6targetE1EEEvSK_,comdat
	.globl	_ZN7rocprim17ROCPRIM_400000_NS6detail17trampoline_kernelINS0_14default_configENS1_36segmented_radix_sort_config_selectorIilEEZNS1_25segmented_radix_sort_implIS3_Lb0EPKiPiPKlPlN2at6native12_GLOBAL__N_18offset_tEEE10hipError_tPvRmT1_PNSt15iterator_traitsISK_E10value_typeET2_T3_PNSL_ISQ_E10value_typeET4_jRbjT5_SW_jjP12ihipStream_tbEUlT_E2_NS1_11comp_targetILNS1_3genE10ELNS1_11target_archE1200ELNS1_3gpuE4ELNS1_3repE0EEENS1_30default_config_static_selectorELNS0_4arch9wavefront6targetE1EEEvSK_ ; -- Begin function _ZN7rocprim17ROCPRIM_400000_NS6detail17trampoline_kernelINS0_14default_configENS1_36segmented_radix_sort_config_selectorIilEEZNS1_25segmented_radix_sort_implIS3_Lb0EPKiPiPKlPlN2at6native12_GLOBAL__N_18offset_tEEE10hipError_tPvRmT1_PNSt15iterator_traitsISK_E10value_typeET2_T3_PNSL_ISQ_E10value_typeET4_jRbjT5_SW_jjP12ihipStream_tbEUlT_E2_NS1_11comp_targetILNS1_3genE10ELNS1_11target_archE1200ELNS1_3gpuE4ELNS1_3repE0EEENS1_30default_config_static_selectorELNS0_4arch9wavefront6targetE1EEEvSK_
	.p2align	8
	.type	_ZN7rocprim17ROCPRIM_400000_NS6detail17trampoline_kernelINS0_14default_configENS1_36segmented_radix_sort_config_selectorIilEEZNS1_25segmented_radix_sort_implIS3_Lb0EPKiPiPKlPlN2at6native12_GLOBAL__N_18offset_tEEE10hipError_tPvRmT1_PNSt15iterator_traitsISK_E10value_typeET2_T3_PNSL_ISQ_E10value_typeET4_jRbjT5_SW_jjP12ihipStream_tbEUlT_E2_NS1_11comp_targetILNS1_3genE10ELNS1_11target_archE1200ELNS1_3gpuE4ELNS1_3repE0EEENS1_30default_config_static_selectorELNS0_4arch9wavefront6targetE1EEEvSK_,@function
_ZN7rocprim17ROCPRIM_400000_NS6detail17trampoline_kernelINS0_14default_configENS1_36segmented_radix_sort_config_selectorIilEEZNS1_25segmented_radix_sort_implIS3_Lb0EPKiPiPKlPlN2at6native12_GLOBAL__N_18offset_tEEE10hipError_tPvRmT1_PNSt15iterator_traitsISK_E10value_typeET2_T3_PNSL_ISQ_E10value_typeET4_jRbjT5_SW_jjP12ihipStream_tbEUlT_E2_NS1_11comp_targetILNS1_3genE10ELNS1_11target_archE1200ELNS1_3gpuE4ELNS1_3repE0EEENS1_30default_config_static_selectorELNS0_4arch9wavefront6targetE1EEEvSK_: ; @_ZN7rocprim17ROCPRIM_400000_NS6detail17trampoline_kernelINS0_14default_configENS1_36segmented_radix_sort_config_selectorIilEEZNS1_25segmented_radix_sort_implIS3_Lb0EPKiPiPKlPlN2at6native12_GLOBAL__N_18offset_tEEE10hipError_tPvRmT1_PNSt15iterator_traitsISK_E10value_typeET2_T3_PNSL_ISQ_E10value_typeET4_jRbjT5_SW_jjP12ihipStream_tbEUlT_E2_NS1_11comp_targetILNS1_3genE10ELNS1_11target_archE1200ELNS1_3gpuE4ELNS1_3repE0EEENS1_30default_config_static_selectorELNS0_4arch9wavefront6targetE1EEEvSK_
; %bb.0:
	.section	.rodata,"a",@progbits
	.p2align	6, 0x0
	.amdhsa_kernel _ZN7rocprim17ROCPRIM_400000_NS6detail17trampoline_kernelINS0_14default_configENS1_36segmented_radix_sort_config_selectorIilEEZNS1_25segmented_radix_sort_implIS3_Lb0EPKiPiPKlPlN2at6native12_GLOBAL__N_18offset_tEEE10hipError_tPvRmT1_PNSt15iterator_traitsISK_E10value_typeET2_T3_PNSL_ISQ_E10value_typeET4_jRbjT5_SW_jjP12ihipStream_tbEUlT_E2_NS1_11comp_targetILNS1_3genE10ELNS1_11target_archE1200ELNS1_3gpuE4ELNS1_3repE0EEENS1_30default_config_static_selectorELNS0_4arch9wavefront6targetE1EEEvSK_
		.amdhsa_group_segment_fixed_size 0
		.amdhsa_private_segment_fixed_size 0
		.amdhsa_kernarg_size 80
		.amdhsa_user_sgpr_count 6
		.amdhsa_user_sgpr_private_segment_buffer 1
		.amdhsa_user_sgpr_dispatch_ptr 0
		.amdhsa_user_sgpr_queue_ptr 0
		.amdhsa_user_sgpr_kernarg_segment_ptr 1
		.amdhsa_user_sgpr_dispatch_id 0
		.amdhsa_user_sgpr_flat_scratch_init 0
		.amdhsa_user_sgpr_private_segment_size 0
		.amdhsa_uses_dynamic_stack 0
		.amdhsa_system_sgpr_private_segment_wavefront_offset 0
		.amdhsa_system_sgpr_workgroup_id_x 1
		.amdhsa_system_sgpr_workgroup_id_y 0
		.amdhsa_system_sgpr_workgroup_id_z 0
		.amdhsa_system_sgpr_workgroup_info 0
		.amdhsa_system_vgpr_workitem_id 0
		.amdhsa_next_free_vgpr 1
		.amdhsa_next_free_sgpr 0
		.amdhsa_reserve_vcc 0
		.amdhsa_reserve_flat_scratch 0
		.amdhsa_float_round_mode_32 0
		.amdhsa_float_round_mode_16_64 0
		.amdhsa_float_denorm_mode_32 3
		.amdhsa_float_denorm_mode_16_64 3
		.amdhsa_dx10_clamp 1
		.amdhsa_ieee_mode 1
		.amdhsa_fp16_overflow 0
		.amdhsa_exception_fp_ieee_invalid_op 0
		.amdhsa_exception_fp_denorm_src 0
		.amdhsa_exception_fp_ieee_div_zero 0
		.amdhsa_exception_fp_ieee_overflow 0
		.amdhsa_exception_fp_ieee_underflow 0
		.amdhsa_exception_fp_ieee_inexact 0
		.amdhsa_exception_int_div_zero 0
	.end_amdhsa_kernel
	.section	.text._ZN7rocprim17ROCPRIM_400000_NS6detail17trampoline_kernelINS0_14default_configENS1_36segmented_radix_sort_config_selectorIilEEZNS1_25segmented_radix_sort_implIS3_Lb0EPKiPiPKlPlN2at6native12_GLOBAL__N_18offset_tEEE10hipError_tPvRmT1_PNSt15iterator_traitsISK_E10value_typeET2_T3_PNSL_ISQ_E10value_typeET4_jRbjT5_SW_jjP12ihipStream_tbEUlT_E2_NS1_11comp_targetILNS1_3genE10ELNS1_11target_archE1200ELNS1_3gpuE4ELNS1_3repE0EEENS1_30default_config_static_selectorELNS0_4arch9wavefront6targetE1EEEvSK_,"axG",@progbits,_ZN7rocprim17ROCPRIM_400000_NS6detail17trampoline_kernelINS0_14default_configENS1_36segmented_radix_sort_config_selectorIilEEZNS1_25segmented_radix_sort_implIS3_Lb0EPKiPiPKlPlN2at6native12_GLOBAL__N_18offset_tEEE10hipError_tPvRmT1_PNSt15iterator_traitsISK_E10value_typeET2_T3_PNSL_ISQ_E10value_typeET4_jRbjT5_SW_jjP12ihipStream_tbEUlT_E2_NS1_11comp_targetILNS1_3genE10ELNS1_11target_archE1200ELNS1_3gpuE4ELNS1_3repE0EEENS1_30default_config_static_selectorELNS0_4arch9wavefront6targetE1EEEvSK_,comdat
.Lfunc_end636:
	.size	_ZN7rocprim17ROCPRIM_400000_NS6detail17trampoline_kernelINS0_14default_configENS1_36segmented_radix_sort_config_selectorIilEEZNS1_25segmented_radix_sort_implIS3_Lb0EPKiPiPKlPlN2at6native12_GLOBAL__N_18offset_tEEE10hipError_tPvRmT1_PNSt15iterator_traitsISK_E10value_typeET2_T3_PNSL_ISQ_E10value_typeET4_jRbjT5_SW_jjP12ihipStream_tbEUlT_E2_NS1_11comp_targetILNS1_3genE10ELNS1_11target_archE1200ELNS1_3gpuE4ELNS1_3repE0EEENS1_30default_config_static_selectorELNS0_4arch9wavefront6targetE1EEEvSK_, .Lfunc_end636-_ZN7rocprim17ROCPRIM_400000_NS6detail17trampoline_kernelINS0_14default_configENS1_36segmented_radix_sort_config_selectorIilEEZNS1_25segmented_radix_sort_implIS3_Lb0EPKiPiPKlPlN2at6native12_GLOBAL__N_18offset_tEEE10hipError_tPvRmT1_PNSt15iterator_traitsISK_E10value_typeET2_T3_PNSL_ISQ_E10value_typeET4_jRbjT5_SW_jjP12ihipStream_tbEUlT_E2_NS1_11comp_targetILNS1_3genE10ELNS1_11target_archE1200ELNS1_3gpuE4ELNS1_3repE0EEENS1_30default_config_static_selectorELNS0_4arch9wavefront6targetE1EEEvSK_
                                        ; -- End function
	.set _ZN7rocprim17ROCPRIM_400000_NS6detail17trampoline_kernelINS0_14default_configENS1_36segmented_radix_sort_config_selectorIilEEZNS1_25segmented_radix_sort_implIS3_Lb0EPKiPiPKlPlN2at6native12_GLOBAL__N_18offset_tEEE10hipError_tPvRmT1_PNSt15iterator_traitsISK_E10value_typeET2_T3_PNSL_ISQ_E10value_typeET4_jRbjT5_SW_jjP12ihipStream_tbEUlT_E2_NS1_11comp_targetILNS1_3genE10ELNS1_11target_archE1200ELNS1_3gpuE4ELNS1_3repE0EEENS1_30default_config_static_selectorELNS0_4arch9wavefront6targetE1EEEvSK_.num_vgpr, 0
	.set _ZN7rocprim17ROCPRIM_400000_NS6detail17trampoline_kernelINS0_14default_configENS1_36segmented_radix_sort_config_selectorIilEEZNS1_25segmented_radix_sort_implIS3_Lb0EPKiPiPKlPlN2at6native12_GLOBAL__N_18offset_tEEE10hipError_tPvRmT1_PNSt15iterator_traitsISK_E10value_typeET2_T3_PNSL_ISQ_E10value_typeET4_jRbjT5_SW_jjP12ihipStream_tbEUlT_E2_NS1_11comp_targetILNS1_3genE10ELNS1_11target_archE1200ELNS1_3gpuE4ELNS1_3repE0EEENS1_30default_config_static_selectorELNS0_4arch9wavefront6targetE1EEEvSK_.num_agpr, 0
	.set _ZN7rocprim17ROCPRIM_400000_NS6detail17trampoline_kernelINS0_14default_configENS1_36segmented_radix_sort_config_selectorIilEEZNS1_25segmented_radix_sort_implIS3_Lb0EPKiPiPKlPlN2at6native12_GLOBAL__N_18offset_tEEE10hipError_tPvRmT1_PNSt15iterator_traitsISK_E10value_typeET2_T3_PNSL_ISQ_E10value_typeET4_jRbjT5_SW_jjP12ihipStream_tbEUlT_E2_NS1_11comp_targetILNS1_3genE10ELNS1_11target_archE1200ELNS1_3gpuE4ELNS1_3repE0EEENS1_30default_config_static_selectorELNS0_4arch9wavefront6targetE1EEEvSK_.numbered_sgpr, 0
	.set _ZN7rocprim17ROCPRIM_400000_NS6detail17trampoline_kernelINS0_14default_configENS1_36segmented_radix_sort_config_selectorIilEEZNS1_25segmented_radix_sort_implIS3_Lb0EPKiPiPKlPlN2at6native12_GLOBAL__N_18offset_tEEE10hipError_tPvRmT1_PNSt15iterator_traitsISK_E10value_typeET2_T3_PNSL_ISQ_E10value_typeET4_jRbjT5_SW_jjP12ihipStream_tbEUlT_E2_NS1_11comp_targetILNS1_3genE10ELNS1_11target_archE1200ELNS1_3gpuE4ELNS1_3repE0EEENS1_30default_config_static_selectorELNS0_4arch9wavefront6targetE1EEEvSK_.num_named_barrier, 0
	.set _ZN7rocprim17ROCPRIM_400000_NS6detail17trampoline_kernelINS0_14default_configENS1_36segmented_radix_sort_config_selectorIilEEZNS1_25segmented_radix_sort_implIS3_Lb0EPKiPiPKlPlN2at6native12_GLOBAL__N_18offset_tEEE10hipError_tPvRmT1_PNSt15iterator_traitsISK_E10value_typeET2_T3_PNSL_ISQ_E10value_typeET4_jRbjT5_SW_jjP12ihipStream_tbEUlT_E2_NS1_11comp_targetILNS1_3genE10ELNS1_11target_archE1200ELNS1_3gpuE4ELNS1_3repE0EEENS1_30default_config_static_selectorELNS0_4arch9wavefront6targetE1EEEvSK_.private_seg_size, 0
	.set _ZN7rocprim17ROCPRIM_400000_NS6detail17trampoline_kernelINS0_14default_configENS1_36segmented_radix_sort_config_selectorIilEEZNS1_25segmented_radix_sort_implIS3_Lb0EPKiPiPKlPlN2at6native12_GLOBAL__N_18offset_tEEE10hipError_tPvRmT1_PNSt15iterator_traitsISK_E10value_typeET2_T3_PNSL_ISQ_E10value_typeET4_jRbjT5_SW_jjP12ihipStream_tbEUlT_E2_NS1_11comp_targetILNS1_3genE10ELNS1_11target_archE1200ELNS1_3gpuE4ELNS1_3repE0EEENS1_30default_config_static_selectorELNS0_4arch9wavefront6targetE1EEEvSK_.uses_vcc, 0
	.set _ZN7rocprim17ROCPRIM_400000_NS6detail17trampoline_kernelINS0_14default_configENS1_36segmented_radix_sort_config_selectorIilEEZNS1_25segmented_radix_sort_implIS3_Lb0EPKiPiPKlPlN2at6native12_GLOBAL__N_18offset_tEEE10hipError_tPvRmT1_PNSt15iterator_traitsISK_E10value_typeET2_T3_PNSL_ISQ_E10value_typeET4_jRbjT5_SW_jjP12ihipStream_tbEUlT_E2_NS1_11comp_targetILNS1_3genE10ELNS1_11target_archE1200ELNS1_3gpuE4ELNS1_3repE0EEENS1_30default_config_static_selectorELNS0_4arch9wavefront6targetE1EEEvSK_.uses_flat_scratch, 0
	.set _ZN7rocprim17ROCPRIM_400000_NS6detail17trampoline_kernelINS0_14default_configENS1_36segmented_radix_sort_config_selectorIilEEZNS1_25segmented_radix_sort_implIS3_Lb0EPKiPiPKlPlN2at6native12_GLOBAL__N_18offset_tEEE10hipError_tPvRmT1_PNSt15iterator_traitsISK_E10value_typeET2_T3_PNSL_ISQ_E10value_typeET4_jRbjT5_SW_jjP12ihipStream_tbEUlT_E2_NS1_11comp_targetILNS1_3genE10ELNS1_11target_archE1200ELNS1_3gpuE4ELNS1_3repE0EEENS1_30default_config_static_selectorELNS0_4arch9wavefront6targetE1EEEvSK_.has_dyn_sized_stack, 0
	.set _ZN7rocprim17ROCPRIM_400000_NS6detail17trampoline_kernelINS0_14default_configENS1_36segmented_radix_sort_config_selectorIilEEZNS1_25segmented_radix_sort_implIS3_Lb0EPKiPiPKlPlN2at6native12_GLOBAL__N_18offset_tEEE10hipError_tPvRmT1_PNSt15iterator_traitsISK_E10value_typeET2_T3_PNSL_ISQ_E10value_typeET4_jRbjT5_SW_jjP12ihipStream_tbEUlT_E2_NS1_11comp_targetILNS1_3genE10ELNS1_11target_archE1200ELNS1_3gpuE4ELNS1_3repE0EEENS1_30default_config_static_selectorELNS0_4arch9wavefront6targetE1EEEvSK_.has_recursion, 0
	.set _ZN7rocprim17ROCPRIM_400000_NS6detail17trampoline_kernelINS0_14default_configENS1_36segmented_radix_sort_config_selectorIilEEZNS1_25segmented_radix_sort_implIS3_Lb0EPKiPiPKlPlN2at6native12_GLOBAL__N_18offset_tEEE10hipError_tPvRmT1_PNSt15iterator_traitsISK_E10value_typeET2_T3_PNSL_ISQ_E10value_typeET4_jRbjT5_SW_jjP12ihipStream_tbEUlT_E2_NS1_11comp_targetILNS1_3genE10ELNS1_11target_archE1200ELNS1_3gpuE4ELNS1_3repE0EEENS1_30default_config_static_selectorELNS0_4arch9wavefront6targetE1EEEvSK_.has_indirect_call, 0
	.section	.AMDGPU.csdata,"",@progbits
; Kernel info:
; codeLenInByte = 0
; TotalNumSgprs: 4
; NumVgprs: 0
; ScratchSize: 0
; MemoryBound: 0
; FloatMode: 240
; IeeeMode: 1
; LDSByteSize: 0 bytes/workgroup (compile time only)
; SGPRBlocks: 0
; VGPRBlocks: 0
; NumSGPRsForWavesPerEU: 4
; NumVGPRsForWavesPerEU: 1
; Occupancy: 10
; WaveLimiterHint : 0
; COMPUTE_PGM_RSRC2:SCRATCH_EN: 0
; COMPUTE_PGM_RSRC2:USER_SGPR: 6
; COMPUTE_PGM_RSRC2:TRAP_HANDLER: 0
; COMPUTE_PGM_RSRC2:TGID_X_EN: 1
; COMPUTE_PGM_RSRC2:TGID_Y_EN: 0
; COMPUTE_PGM_RSRC2:TGID_Z_EN: 0
; COMPUTE_PGM_RSRC2:TIDIG_COMP_CNT: 0
	.section	.text._ZN7rocprim17ROCPRIM_400000_NS6detail17trampoline_kernelINS0_14default_configENS1_36segmented_radix_sort_config_selectorIilEEZNS1_25segmented_radix_sort_implIS3_Lb0EPKiPiPKlPlN2at6native12_GLOBAL__N_18offset_tEEE10hipError_tPvRmT1_PNSt15iterator_traitsISK_E10value_typeET2_T3_PNSL_ISQ_E10value_typeET4_jRbjT5_SW_jjP12ihipStream_tbEUlT_E2_NS1_11comp_targetILNS1_3genE9ELNS1_11target_archE1100ELNS1_3gpuE3ELNS1_3repE0EEENS1_30default_config_static_selectorELNS0_4arch9wavefront6targetE1EEEvSK_,"axG",@progbits,_ZN7rocprim17ROCPRIM_400000_NS6detail17trampoline_kernelINS0_14default_configENS1_36segmented_radix_sort_config_selectorIilEEZNS1_25segmented_radix_sort_implIS3_Lb0EPKiPiPKlPlN2at6native12_GLOBAL__N_18offset_tEEE10hipError_tPvRmT1_PNSt15iterator_traitsISK_E10value_typeET2_T3_PNSL_ISQ_E10value_typeET4_jRbjT5_SW_jjP12ihipStream_tbEUlT_E2_NS1_11comp_targetILNS1_3genE9ELNS1_11target_archE1100ELNS1_3gpuE3ELNS1_3repE0EEENS1_30default_config_static_selectorELNS0_4arch9wavefront6targetE1EEEvSK_,comdat
	.globl	_ZN7rocprim17ROCPRIM_400000_NS6detail17trampoline_kernelINS0_14default_configENS1_36segmented_radix_sort_config_selectorIilEEZNS1_25segmented_radix_sort_implIS3_Lb0EPKiPiPKlPlN2at6native12_GLOBAL__N_18offset_tEEE10hipError_tPvRmT1_PNSt15iterator_traitsISK_E10value_typeET2_T3_PNSL_ISQ_E10value_typeET4_jRbjT5_SW_jjP12ihipStream_tbEUlT_E2_NS1_11comp_targetILNS1_3genE9ELNS1_11target_archE1100ELNS1_3gpuE3ELNS1_3repE0EEENS1_30default_config_static_selectorELNS0_4arch9wavefront6targetE1EEEvSK_ ; -- Begin function _ZN7rocprim17ROCPRIM_400000_NS6detail17trampoline_kernelINS0_14default_configENS1_36segmented_radix_sort_config_selectorIilEEZNS1_25segmented_radix_sort_implIS3_Lb0EPKiPiPKlPlN2at6native12_GLOBAL__N_18offset_tEEE10hipError_tPvRmT1_PNSt15iterator_traitsISK_E10value_typeET2_T3_PNSL_ISQ_E10value_typeET4_jRbjT5_SW_jjP12ihipStream_tbEUlT_E2_NS1_11comp_targetILNS1_3genE9ELNS1_11target_archE1100ELNS1_3gpuE3ELNS1_3repE0EEENS1_30default_config_static_selectorELNS0_4arch9wavefront6targetE1EEEvSK_
	.p2align	8
	.type	_ZN7rocprim17ROCPRIM_400000_NS6detail17trampoline_kernelINS0_14default_configENS1_36segmented_radix_sort_config_selectorIilEEZNS1_25segmented_radix_sort_implIS3_Lb0EPKiPiPKlPlN2at6native12_GLOBAL__N_18offset_tEEE10hipError_tPvRmT1_PNSt15iterator_traitsISK_E10value_typeET2_T3_PNSL_ISQ_E10value_typeET4_jRbjT5_SW_jjP12ihipStream_tbEUlT_E2_NS1_11comp_targetILNS1_3genE9ELNS1_11target_archE1100ELNS1_3gpuE3ELNS1_3repE0EEENS1_30default_config_static_selectorELNS0_4arch9wavefront6targetE1EEEvSK_,@function
_ZN7rocprim17ROCPRIM_400000_NS6detail17trampoline_kernelINS0_14default_configENS1_36segmented_radix_sort_config_selectorIilEEZNS1_25segmented_radix_sort_implIS3_Lb0EPKiPiPKlPlN2at6native12_GLOBAL__N_18offset_tEEE10hipError_tPvRmT1_PNSt15iterator_traitsISK_E10value_typeET2_T3_PNSL_ISQ_E10value_typeET4_jRbjT5_SW_jjP12ihipStream_tbEUlT_E2_NS1_11comp_targetILNS1_3genE9ELNS1_11target_archE1100ELNS1_3gpuE3ELNS1_3repE0EEENS1_30default_config_static_selectorELNS0_4arch9wavefront6targetE1EEEvSK_: ; @_ZN7rocprim17ROCPRIM_400000_NS6detail17trampoline_kernelINS0_14default_configENS1_36segmented_radix_sort_config_selectorIilEEZNS1_25segmented_radix_sort_implIS3_Lb0EPKiPiPKlPlN2at6native12_GLOBAL__N_18offset_tEEE10hipError_tPvRmT1_PNSt15iterator_traitsISK_E10value_typeET2_T3_PNSL_ISQ_E10value_typeET4_jRbjT5_SW_jjP12ihipStream_tbEUlT_E2_NS1_11comp_targetILNS1_3genE9ELNS1_11target_archE1100ELNS1_3gpuE3ELNS1_3repE0EEENS1_30default_config_static_selectorELNS0_4arch9wavefront6targetE1EEEvSK_
; %bb.0:
	.section	.rodata,"a",@progbits
	.p2align	6, 0x0
	.amdhsa_kernel _ZN7rocprim17ROCPRIM_400000_NS6detail17trampoline_kernelINS0_14default_configENS1_36segmented_radix_sort_config_selectorIilEEZNS1_25segmented_radix_sort_implIS3_Lb0EPKiPiPKlPlN2at6native12_GLOBAL__N_18offset_tEEE10hipError_tPvRmT1_PNSt15iterator_traitsISK_E10value_typeET2_T3_PNSL_ISQ_E10value_typeET4_jRbjT5_SW_jjP12ihipStream_tbEUlT_E2_NS1_11comp_targetILNS1_3genE9ELNS1_11target_archE1100ELNS1_3gpuE3ELNS1_3repE0EEENS1_30default_config_static_selectorELNS0_4arch9wavefront6targetE1EEEvSK_
		.amdhsa_group_segment_fixed_size 0
		.amdhsa_private_segment_fixed_size 0
		.amdhsa_kernarg_size 80
		.amdhsa_user_sgpr_count 6
		.amdhsa_user_sgpr_private_segment_buffer 1
		.amdhsa_user_sgpr_dispatch_ptr 0
		.amdhsa_user_sgpr_queue_ptr 0
		.amdhsa_user_sgpr_kernarg_segment_ptr 1
		.amdhsa_user_sgpr_dispatch_id 0
		.amdhsa_user_sgpr_flat_scratch_init 0
		.amdhsa_user_sgpr_private_segment_size 0
		.amdhsa_uses_dynamic_stack 0
		.amdhsa_system_sgpr_private_segment_wavefront_offset 0
		.amdhsa_system_sgpr_workgroup_id_x 1
		.amdhsa_system_sgpr_workgroup_id_y 0
		.amdhsa_system_sgpr_workgroup_id_z 0
		.amdhsa_system_sgpr_workgroup_info 0
		.amdhsa_system_vgpr_workitem_id 0
		.amdhsa_next_free_vgpr 1
		.amdhsa_next_free_sgpr 0
		.amdhsa_reserve_vcc 0
		.amdhsa_reserve_flat_scratch 0
		.amdhsa_float_round_mode_32 0
		.amdhsa_float_round_mode_16_64 0
		.amdhsa_float_denorm_mode_32 3
		.amdhsa_float_denorm_mode_16_64 3
		.amdhsa_dx10_clamp 1
		.amdhsa_ieee_mode 1
		.amdhsa_fp16_overflow 0
		.amdhsa_exception_fp_ieee_invalid_op 0
		.amdhsa_exception_fp_denorm_src 0
		.amdhsa_exception_fp_ieee_div_zero 0
		.amdhsa_exception_fp_ieee_overflow 0
		.amdhsa_exception_fp_ieee_underflow 0
		.amdhsa_exception_fp_ieee_inexact 0
		.amdhsa_exception_int_div_zero 0
	.end_amdhsa_kernel
	.section	.text._ZN7rocprim17ROCPRIM_400000_NS6detail17trampoline_kernelINS0_14default_configENS1_36segmented_radix_sort_config_selectorIilEEZNS1_25segmented_radix_sort_implIS3_Lb0EPKiPiPKlPlN2at6native12_GLOBAL__N_18offset_tEEE10hipError_tPvRmT1_PNSt15iterator_traitsISK_E10value_typeET2_T3_PNSL_ISQ_E10value_typeET4_jRbjT5_SW_jjP12ihipStream_tbEUlT_E2_NS1_11comp_targetILNS1_3genE9ELNS1_11target_archE1100ELNS1_3gpuE3ELNS1_3repE0EEENS1_30default_config_static_selectorELNS0_4arch9wavefront6targetE1EEEvSK_,"axG",@progbits,_ZN7rocprim17ROCPRIM_400000_NS6detail17trampoline_kernelINS0_14default_configENS1_36segmented_radix_sort_config_selectorIilEEZNS1_25segmented_radix_sort_implIS3_Lb0EPKiPiPKlPlN2at6native12_GLOBAL__N_18offset_tEEE10hipError_tPvRmT1_PNSt15iterator_traitsISK_E10value_typeET2_T3_PNSL_ISQ_E10value_typeET4_jRbjT5_SW_jjP12ihipStream_tbEUlT_E2_NS1_11comp_targetILNS1_3genE9ELNS1_11target_archE1100ELNS1_3gpuE3ELNS1_3repE0EEENS1_30default_config_static_selectorELNS0_4arch9wavefront6targetE1EEEvSK_,comdat
.Lfunc_end637:
	.size	_ZN7rocprim17ROCPRIM_400000_NS6detail17trampoline_kernelINS0_14default_configENS1_36segmented_radix_sort_config_selectorIilEEZNS1_25segmented_radix_sort_implIS3_Lb0EPKiPiPKlPlN2at6native12_GLOBAL__N_18offset_tEEE10hipError_tPvRmT1_PNSt15iterator_traitsISK_E10value_typeET2_T3_PNSL_ISQ_E10value_typeET4_jRbjT5_SW_jjP12ihipStream_tbEUlT_E2_NS1_11comp_targetILNS1_3genE9ELNS1_11target_archE1100ELNS1_3gpuE3ELNS1_3repE0EEENS1_30default_config_static_selectorELNS0_4arch9wavefront6targetE1EEEvSK_, .Lfunc_end637-_ZN7rocprim17ROCPRIM_400000_NS6detail17trampoline_kernelINS0_14default_configENS1_36segmented_radix_sort_config_selectorIilEEZNS1_25segmented_radix_sort_implIS3_Lb0EPKiPiPKlPlN2at6native12_GLOBAL__N_18offset_tEEE10hipError_tPvRmT1_PNSt15iterator_traitsISK_E10value_typeET2_T3_PNSL_ISQ_E10value_typeET4_jRbjT5_SW_jjP12ihipStream_tbEUlT_E2_NS1_11comp_targetILNS1_3genE9ELNS1_11target_archE1100ELNS1_3gpuE3ELNS1_3repE0EEENS1_30default_config_static_selectorELNS0_4arch9wavefront6targetE1EEEvSK_
                                        ; -- End function
	.set _ZN7rocprim17ROCPRIM_400000_NS6detail17trampoline_kernelINS0_14default_configENS1_36segmented_radix_sort_config_selectorIilEEZNS1_25segmented_radix_sort_implIS3_Lb0EPKiPiPKlPlN2at6native12_GLOBAL__N_18offset_tEEE10hipError_tPvRmT1_PNSt15iterator_traitsISK_E10value_typeET2_T3_PNSL_ISQ_E10value_typeET4_jRbjT5_SW_jjP12ihipStream_tbEUlT_E2_NS1_11comp_targetILNS1_3genE9ELNS1_11target_archE1100ELNS1_3gpuE3ELNS1_3repE0EEENS1_30default_config_static_selectorELNS0_4arch9wavefront6targetE1EEEvSK_.num_vgpr, 0
	.set _ZN7rocprim17ROCPRIM_400000_NS6detail17trampoline_kernelINS0_14default_configENS1_36segmented_radix_sort_config_selectorIilEEZNS1_25segmented_radix_sort_implIS3_Lb0EPKiPiPKlPlN2at6native12_GLOBAL__N_18offset_tEEE10hipError_tPvRmT1_PNSt15iterator_traitsISK_E10value_typeET2_T3_PNSL_ISQ_E10value_typeET4_jRbjT5_SW_jjP12ihipStream_tbEUlT_E2_NS1_11comp_targetILNS1_3genE9ELNS1_11target_archE1100ELNS1_3gpuE3ELNS1_3repE0EEENS1_30default_config_static_selectorELNS0_4arch9wavefront6targetE1EEEvSK_.num_agpr, 0
	.set _ZN7rocprim17ROCPRIM_400000_NS6detail17trampoline_kernelINS0_14default_configENS1_36segmented_radix_sort_config_selectorIilEEZNS1_25segmented_radix_sort_implIS3_Lb0EPKiPiPKlPlN2at6native12_GLOBAL__N_18offset_tEEE10hipError_tPvRmT1_PNSt15iterator_traitsISK_E10value_typeET2_T3_PNSL_ISQ_E10value_typeET4_jRbjT5_SW_jjP12ihipStream_tbEUlT_E2_NS1_11comp_targetILNS1_3genE9ELNS1_11target_archE1100ELNS1_3gpuE3ELNS1_3repE0EEENS1_30default_config_static_selectorELNS0_4arch9wavefront6targetE1EEEvSK_.numbered_sgpr, 0
	.set _ZN7rocprim17ROCPRIM_400000_NS6detail17trampoline_kernelINS0_14default_configENS1_36segmented_radix_sort_config_selectorIilEEZNS1_25segmented_radix_sort_implIS3_Lb0EPKiPiPKlPlN2at6native12_GLOBAL__N_18offset_tEEE10hipError_tPvRmT1_PNSt15iterator_traitsISK_E10value_typeET2_T3_PNSL_ISQ_E10value_typeET4_jRbjT5_SW_jjP12ihipStream_tbEUlT_E2_NS1_11comp_targetILNS1_3genE9ELNS1_11target_archE1100ELNS1_3gpuE3ELNS1_3repE0EEENS1_30default_config_static_selectorELNS0_4arch9wavefront6targetE1EEEvSK_.num_named_barrier, 0
	.set _ZN7rocprim17ROCPRIM_400000_NS6detail17trampoline_kernelINS0_14default_configENS1_36segmented_radix_sort_config_selectorIilEEZNS1_25segmented_radix_sort_implIS3_Lb0EPKiPiPKlPlN2at6native12_GLOBAL__N_18offset_tEEE10hipError_tPvRmT1_PNSt15iterator_traitsISK_E10value_typeET2_T3_PNSL_ISQ_E10value_typeET4_jRbjT5_SW_jjP12ihipStream_tbEUlT_E2_NS1_11comp_targetILNS1_3genE9ELNS1_11target_archE1100ELNS1_3gpuE3ELNS1_3repE0EEENS1_30default_config_static_selectorELNS0_4arch9wavefront6targetE1EEEvSK_.private_seg_size, 0
	.set _ZN7rocprim17ROCPRIM_400000_NS6detail17trampoline_kernelINS0_14default_configENS1_36segmented_radix_sort_config_selectorIilEEZNS1_25segmented_radix_sort_implIS3_Lb0EPKiPiPKlPlN2at6native12_GLOBAL__N_18offset_tEEE10hipError_tPvRmT1_PNSt15iterator_traitsISK_E10value_typeET2_T3_PNSL_ISQ_E10value_typeET4_jRbjT5_SW_jjP12ihipStream_tbEUlT_E2_NS1_11comp_targetILNS1_3genE9ELNS1_11target_archE1100ELNS1_3gpuE3ELNS1_3repE0EEENS1_30default_config_static_selectorELNS0_4arch9wavefront6targetE1EEEvSK_.uses_vcc, 0
	.set _ZN7rocprim17ROCPRIM_400000_NS6detail17trampoline_kernelINS0_14default_configENS1_36segmented_radix_sort_config_selectorIilEEZNS1_25segmented_radix_sort_implIS3_Lb0EPKiPiPKlPlN2at6native12_GLOBAL__N_18offset_tEEE10hipError_tPvRmT1_PNSt15iterator_traitsISK_E10value_typeET2_T3_PNSL_ISQ_E10value_typeET4_jRbjT5_SW_jjP12ihipStream_tbEUlT_E2_NS1_11comp_targetILNS1_3genE9ELNS1_11target_archE1100ELNS1_3gpuE3ELNS1_3repE0EEENS1_30default_config_static_selectorELNS0_4arch9wavefront6targetE1EEEvSK_.uses_flat_scratch, 0
	.set _ZN7rocprim17ROCPRIM_400000_NS6detail17trampoline_kernelINS0_14default_configENS1_36segmented_radix_sort_config_selectorIilEEZNS1_25segmented_radix_sort_implIS3_Lb0EPKiPiPKlPlN2at6native12_GLOBAL__N_18offset_tEEE10hipError_tPvRmT1_PNSt15iterator_traitsISK_E10value_typeET2_T3_PNSL_ISQ_E10value_typeET4_jRbjT5_SW_jjP12ihipStream_tbEUlT_E2_NS1_11comp_targetILNS1_3genE9ELNS1_11target_archE1100ELNS1_3gpuE3ELNS1_3repE0EEENS1_30default_config_static_selectorELNS0_4arch9wavefront6targetE1EEEvSK_.has_dyn_sized_stack, 0
	.set _ZN7rocprim17ROCPRIM_400000_NS6detail17trampoline_kernelINS0_14default_configENS1_36segmented_radix_sort_config_selectorIilEEZNS1_25segmented_radix_sort_implIS3_Lb0EPKiPiPKlPlN2at6native12_GLOBAL__N_18offset_tEEE10hipError_tPvRmT1_PNSt15iterator_traitsISK_E10value_typeET2_T3_PNSL_ISQ_E10value_typeET4_jRbjT5_SW_jjP12ihipStream_tbEUlT_E2_NS1_11comp_targetILNS1_3genE9ELNS1_11target_archE1100ELNS1_3gpuE3ELNS1_3repE0EEENS1_30default_config_static_selectorELNS0_4arch9wavefront6targetE1EEEvSK_.has_recursion, 0
	.set _ZN7rocprim17ROCPRIM_400000_NS6detail17trampoline_kernelINS0_14default_configENS1_36segmented_radix_sort_config_selectorIilEEZNS1_25segmented_radix_sort_implIS3_Lb0EPKiPiPKlPlN2at6native12_GLOBAL__N_18offset_tEEE10hipError_tPvRmT1_PNSt15iterator_traitsISK_E10value_typeET2_T3_PNSL_ISQ_E10value_typeET4_jRbjT5_SW_jjP12ihipStream_tbEUlT_E2_NS1_11comp_targetILNS1_3genE9ELNS1_11target_archE1100ELNS1_3gpuE3ELNS1_3repE0EEENS1_30default_config_static_selectorELNS0_4arch9wavefront6targetE1EEEvSK_.has_indirect_call, 0
	.section	.AMDGPU.csdata,"",@progbits
; Kernel info:
; codeLenInByte = 0
; TotalNumSgprs: 4
; NumVgprs: 0
; ScratchSize: 0
; MemoryBound: 0
; FloatMode: 240
; IeeeMode: 1
; LDSByteSize: 0 bytes/workgroup (compile time only)
; SGPRBlocks: 0
; VGPRBlocks: 0
; NumSGPRsForWavesPerEU: 4
; NumVGPRsForWavesPerEU: 1
; Occupancy: 10
; WaveLimiterHint : 0
; COMPUTE_PGM_RSRC2:SCRATCH_EN: 0
; COMPUTE_PGM_RSRC2:USER_SGPR: 6
; COMPUTE_PGM_RSRC2:TRAP_HANDLER: 0
; COMPUTE_PGM_RSRC2:TGID_X_EN: 1
; COMPUTE_PGM_RSRC2:TGID_Y_EN: 0
; COMPUTE_PGM_RSRC2:TGID_Z_EN: 0
; COMPUTE_PGM_RSRC2:TIDIG_COMP_CNT: 0
	.section	.text._ZN7rocprim17ROCPRIM_400000_NS6detail17trampoline_kernelINS0_14default_configENS1_36segmented_radix_sort_config_selectorIilEEZNS1_25segmented_radix_sort_implIS3_Lb0EPKiPiPKlPlN2at6native12_GLOBAL__N_18offset_tEEE10hipError_tPvRmT1_PNSt15iterator_traitsISK_E10value_typeET2_T3_PNSL_ISQ_E10value_typeET4_jRbjT5_SW_jjP12ihipStream_tbEUlT_E2_NS1_11comp_targetILNS1_3genE8ELNS1_11target_archE1030ELNS1_3gpuE2ELNS1_3repE0EEENS1_30default_config_static_selectorELNS0_4arch9wavefront6targetE1EEEvSK_,"axG",@progbits,_ZN7rocprim17ROCPRIM_400000_NS6detail17trampoline_kernelINS0_14default_configENS1_36segmented_radix_sort_config_selectorIilEEZNS1_25segmented_radix_sort_implIS3_Lb0EPKiPiPKlPlN2at6native12_GLOBAL__N_18offset_tEEE10hipError_tPvRmT1_PNSt15iterator_traitsISK_E10value_typeET2_T3_PNSL_ISQ_E10value_typeET4_jRbjT5_SW_jjP12ihipStream_tbEUlT_E2_NS1_11comp_targetILNS1_3genE8ELNS1_11target_archE1030ELNS1_3gpuE2ELNS1_3repE0EEENS1_30default_config_static_selectorELNS0_4arch9wavefront6targetE1EEEvSK_,comdat
	.globl	_ZN7rocprim17ROCPRIM_400000_NS6detail17trampoline_kernelINS0_14default_configENS1_36segmented_radix_sort_config_selectorIilEEZNS1_25segmented_radix_sort_implIS3_Lb0EPKiPiPKlPlN2at6native12_GLOBAL__N_18offset_tEEE10hipError_tPvRmT1_PNSt15iterator_traitsISK_E10value_typeET2_T3_PNSL_ISQ_E10value_typeET4_jRbjT5_SW_jjP12ihipStream_tbEUlT_E2_NS1_11comp_targetILNS1_3genE8ELNS1_11target_archE1030ELNS1_3gpuE2ELNS1_3repE0EEENS1_30default_config_static_selectorELNS0_4arch9wavefront6targetE1EEEvSK_ ; -- Begin function _ZN7rocprim17ROCPRIM_400000_NS6detail17trampoline_kernelINS0_14default_configENS1_36segmented_radix_sort_config_selectorIilEEZNS1_25segmented_radix_sort_implIS3_Lb0EPKiPiPKlPlN2at6native12_GLOBAL__N_18offset_tEEE10hipError_tPvRmT1_PNSt15iterator_traitsISK_E10value_typeET2_T3_PNSL_ISQ_E10value_typeET4_jRbjT5_SW_jjP12ihipStream_tbEUlT_E2_NS1_11comp_targetILNS1_3genE8ELNS1_11target_archE1030ELNS1_3gpuE2ELNS1_3repE0EEENS1_30default_config_static_selectorELNS0_4arch9wavefront6targetE1EEEvSK_
	.p2align	8
	.type	_ZN7rocprim17ROCPRIM_400000_NS6detail17trampoline_kernelINS0_14default_configENS1_36segmented_radix_sort_config_selectorIilEEZNS1_25segmented_radix_sort_implIS3_Lb0EPKiPiPKlPlN2at6native12_GLOBAL__N_18offset_tEEE10hipError_tPvRmT1_PNSt15iterator_traitsISK_E10value_typeET2_T3_PNSL_ISQ_E10value_typeET4_jRbjT5_SW_jjP12ihipStream_tbEUlT_E2_NS1_11comp_targetILNS1_3genE8ELNS1_11target_archE1030ELNS1_3gpuE2ELNS1_3repE0EEENS1_30default_config_static_selectorELNS0_4arch9wavefront6targetE1EEEvSK_,@function
_ZN7rocprim17ROCPRIM_400000_NS6detail17trampoline_kernelINS0_14default_configENS1_36segmented_radix_sort_config_selectorIilEEZNS1_25segmented_radix_sort_implIS3_Lb0EPKiPiPKlPlN2at6native12_GLOBAL__N_18offset_tEEE10hipError_tPvRmT1_PNSt15iterator_traitsISK_E10value_typeET2_T3_PNSL_ISQ_E10value_typeET4_jRbjT5_SW_jjP12ihipStream_tbEUlT_E2_NS1_11comp_targetILNS1_3genE8ELNS1_11target_archE1030ELNS1_3gpuE2ELNS1_3repE0EEENS1_30default_config_static_selectorELNS0_4arch9wavefront6targetE1EEEvSK_: ; @_ZN7rocprim17ROCPRIM_400000_NS6detail17trampoline_kernelINS0_14default_configENS1_36segmented_radix_sort_config_selectorIilEEZNS1_25segmented_radix_sort_implIS3_Lb0EPKiPiPKlPlN2at6native12_GLOBAL__N_18offset_tEEE10hipError_tPvRmT1_PNSt15iterator_traitsISK_E10value_typeET2_T3_PNSL_ISQ_E10value_typeET4_jRbjT5_SW_jjP12ihipStream_tbEUlT_E2_NS1_11comp_targetILNS1_3genE8ELNS1_11target_archE1030ELNS1_3gpuE2ELNS1_3repE0EEENS1_30default_config_static_selectorELNS0_4arch9wavefront6targetE1EEEvSK_
; %bb.0:
	.section	.rodata,"a",@progbits
	.p2align	6, 0x0
	.amdhsa_kernel _ZN7rocprim17ROCPRIM_400000_NS6detail17trampoline_kernelINS0_14default_configENS1_36segmented_radix_sort_config_selectorIilEEZNS1_25segmented_radix_sort_implIS3_Lb0EPKiPiPKlPlN2at6native12_GLOBAL__N_18offset_tEEE10hipError_tPvRmT1_PNSt15iterator_traitsISK_E10value_typeET2_T3_PNSL_ISQ_E10value_typeET4_jRbjT5_SW_jjP12ihipStream_tbEUlT_E2_NS1_11comp_targetILNS1_3genE8ELNS1_11target_archE1030ELNS1_3gpuE2ELNS1_3repE0EEENS1_30default_config_static_selectorELNS0_4arch9wavefront6targetE1EEEvSK_
		.amdhsa_group_segment_fixed_size 0
		.amdhsa_private_segment_fixed_size 0
		.amdhsa_kernarg_size 80
		.amdhsa_user_sgpr_count 6
		.amdhsa_user_sgpr_private_segment_buffer 1
		.amdhsa_user_sgpr_dispatch_ptr 0
		.amdhsa_user_sgpr_queue_ptr 0
		.amdhsa_user_sgpr_kernarg_segment_ptr 1
		.amdhsa_user_sgpr_dispatch_id 0
		.amdhsa_user_sgpr_flat_scratch_init 0
		.amdhsa_user_sgpr_private_segment_size 0
		.amdhsa_uses_dynamic_stack 0
		.amdhsa_system_sgpr_private_segment_wavefront_offset 0
		.amdhsa_system_sgpr_workgroup_id_x 1
		.amdhsa_system_sgpr_workgroup_id_y 0
		.amdhsa_system_sgpr_workgroup_id_z 0
		.amdhsa_system_sgpr_workgroup_info 0
		.amdhsa_system_vgpr_workitem_id 0
		.amdhsa_next_free_vgpr 1
		.amdhsa_next_free_sgpr 0
		.amdhsa_reserve_vcc 0
		.amdhsa_reserve_flat_scratch 0
		.amdhsa_float_round_mode_32 0
		.amdhsa_float_round_mode_16_64 0
		.amdhsa_float_denorm_mode_32 3
		.amdhsa_float_denorm_mode_16_64 3
		.amdhsa_dx10_clamp 1
		.amdhsa_ieee_mode 1
		.amdhsa_fp16_overflow 0
		.amdhsa_exception_fp_ieee_invalid_op 0
		.amdhsa_exception_fp_denorm_src 0
		.amdhsa_exception_fp_ieee_div_zero 0
		.amdhsa_exception_fp_ieee_overflow 0
		.amdhsa_exception_fp_ieee_underflow 0
		.amdhsa_exception_fp_ieee_inexact 0
		.amdhsa_exception_int_div_zero 0
	.end_amdhsa_kernel
	.section	.text._ZN7rocprim17ROCPRIM_400000_NS6detail17trampoline_kernelINS0_14default_configENS1_36segmented_radix_sort_config_selectorIilEEZNS1_25segmented_radix_sort_implIS3_Lb0EPKiPiPKlPlN2at6native12_GLOBAL__N_18offset_tEEE10hipError_tPvRmT1_PNSt15iterator_traitsISK_E10value_typeET2_T3_PNSL_ISQ_E10value_typeET4_jRbjT5_SW_jjP12ihipStream_tbEUlT_E2_NS1_11comp_targetILNS1_3genE8ELNS1_11target_archE1030ELNS1_3gpuE2ELNS1_3repE0EEENS1_30default_config_static_selectorELNS0_4arch9wavefront6targetE1EEEvSK_,"axG",@progbits,_ZN7rocprim17ROCPRIM_400000_NS6detail17trampoline_kernelINS0_14default_configENS1_36segmented_radix_sort_config_selectorIilEEZNS1_25segmented_radix_sort_implIS3_Lb0EPKiPiPKlPlN2at6native12_GLOBAL__N_18offset_tEEE10hipError_tPvRmT1_PNSt15iterator_traitsISK_E10value_typeET2_T3_PNSL_ISQ_E10value_typeET4_jRbjT5_SW_jjP12ihipStream_tbEUlT_E2_NS1_11comp_targetILNS1_3genE8ELNS1_11target_archE1030ELNS1_3gpuE2ELNS1_3repE0EEENS1_30default_config_static_selectorELNS0_4arch9wavefront6targetE1EEEvSK_,comdat
.Lfunc_end638:
	.size	_ZN7rocprim17ROCPRIM_400000_NS6detail17trampoline_kernelINS0_14default_configENS1_36segmented_radix_sort_config_selectorIilEEZNS1_25segmented_radix_sort_implIS3_Lb0EPKiPiPKlPlN2at6native12_GLOBAL__N_18offset_tEEE10hipError_tPvRmT1_PNSt15iterator_traitsISK_E10value_typeET2_T3_PNSL_ISQ_E10value_typeET4_jRbjT5_SW_jjP12ihipStream_tbEUlT_E2_NS1_11comp_targetILNS1_3genE8ELNS1_11target_archE1030ELNS1_3gpuE2ELNS1_3repE0EEENS1_30default_config_static_selectorELNS0_4arch9wavefront6targetE1EEEvSK_, .Lfunc_end638-_ZN7rocprim17ROCPRIM_400000_NS6detail17trampoline_kernelINS0_14default_configENS1_36segmented_radix_sort_config_selectorIilEEZNS1_25segmented_radix_sort_implIS3_Lb0EPKiPiPKlPlN2at6native12_GLOBAL__N_18offset_tEEE10hipError_tPvRmT1_PNSt15iterator_traitsISK_E10value_typeET2_T3_PNSL_ISQ_E10value_typeET4_jRbjT5_SW_jjP12ihipStream_tbEUlT_E2_NS1_11comp_targetILNS1_3genE8ELNS1_11target_archE1030ELNS1_3gpuE2ELNS1_3repE0EEENS1_30default_config_static_selectorELNS0_4arch9wavefront6targetE1EEEvSK_
                                        ; -- End function
	.set _ZN7rocprim17ROCPRIM_400000_NS6detail17trampoline_kernelINS0_14default_configENS1_36segmented_radix_sort_config_selectorIilEEZNS1_25segmented_radix_sort_implIS3_Lb0EPKiPiPKlPlN2at6native12_GLOBAL__N_18offset_tEEE10hipError_tPvRmT1_PNSt15iterator_traitsISK_E10value_typeET2_T3_PNSL_ISQ_E10value_typeET4_jRbjT5_SW_jjP12ihipStream_tbEUlT_E2_NS1_11comp_targetILNS1_3genE8ELNS1_11target_archE1030ELNS1_3gpuE2ELNS1_3repE0EEENS1_30default_config_static_selectorELNS0_4arch9wavefront6targetE1EEEvSK_.num_vgpr, 0
	.set _ZN7rocprim17ROCPRIM_400000_NS6detail17trampoline_kernelINS0_14default_configENS1_36segmented_radix_sort_config_selectorIilEEZNS1_25segmented_radix_sort_implIS3_Lb0EPKiPiPKlPlN2at6native12_GLOBAL__N_18offset_tEEE10hipError_tPvRmT1_PNSt15iterator_traitsISK_E10value_typeET2_T3_PNSL_ISQ_E10value_typeET4_jRbjT5_SW_jjP12ihipStream_tbEUlT_E2_NS1_11comp_targetILNS1_3genE8ELNS1_11target_archE1030ELNS1_3gpuE2ELNS1_3repE0EEENS1_30default_config_static_selectorELNS0_4arch9wavefront6targetE1EEEvSK_.num_agpr, 0
	.set _ZN7rocprim17ROCPRIM_400000_NS6detail17trampoline_kernelINS0_14default_configENS1_36segmented_radix_sort_config_selectorIilEEZNS1_25segmented_radix_sort_implIS3_Lb0EPKiPiPKlPlN2at6native12_GLOBAL__N_18offset_tEEE10hipError_tPvRmT1_PNSt15iterator_traitsISK_E10value_typeET2_T3_PNSL_ISQ_E10value_typeET4_jRbjT5_SW_jjP12ihipStream_tbEUlT_E2_NS1_11comp_targetILNS1_3genE8ELNS1_11target_archE1030ELNS1_3gpuE2ELNS1_3repE0EEENS1_30default_config_static_selectorELNS0_4arch9wavefront6targetE1EEEvSK_.numbered_sgpr, 0
	.set _ZN7rocprim17ROCPRIM_400000_NS6detail17trampoline_kernelINS0_14default_configENS1_36segmented_radix_sort_config_selectorIilEEZNS1_25segmented_radix_sort_implIS3_Lb0EPKiPiPKlPlN2at6native12_GLOBAL__N_18offset_tEEE10hipError_tPvRmT1_PNSt15iterator_traitsISK_E10value_typeET2_T3_PNSL_ISQ_E10value_typeET4_jRbjT5_SW_jjP12ihipStream_tbEUlT_E2_NS1_11comp_targetILNS1_3genE8ELNS1_11target_archE1030ELNS1_3gpuE2ELNS1_3repE0EEENS1_30default_config_static_selectorELNS0_4arch9wavefront6targetE1EEEvSK_.num_named_barrier, 0
	.set _ZN7rocprim17ROCPRIM_400000_NS6detail17trampoline_kernelINS0_14default_configENS1_36segmented_radix_sort_config_selectorIilEEZNS1_25segmented_radix_sort_implIS3_Lb0EPKiPiPKlPlN2at6native12_GLOBAL__N_18offset_tEEE10hipError_tPvRmT1_PNSt15iterator_traitsISK_E10value_typeET2_T3_PNSL_ISQ_E10value_typeET4_jRbjT5_SW_jjP12ihipStream_tbEUlT_E2_NS1_11comp_targetILNS1_3genE8ELNS1_11target_archE1030ELNS1_3gpuE2ELNS1_3repE0EEENS1_30default_config_static_selectorELNS0_4arch9wavefront6targetE1EEEvSK_.private_seg_size, 0
	.set _ZN7rocprim17ROCPRIM_400000_NS6detail17trampoline_kernelINS0_14default_configENS1_36segmented_radix_sort_config_selectorIilEEZNS1_25segmented_radix_sort_implIS3_Lb0EPKiPiPKlPlN2at6native12_GLOBAL__N_18offset_tEEE10hipError_tPvRmT1_PNSt15iterator_traitsISK_E10value_typeET2_T3_PNSL_ISQ_E10value_typeET4_jRbjT5_SW_jjP12ihipStream_tbEUlT_E2_NS1_11comp_targetILNS1_3genE8ELNS1_11target_archE1030ELNS1_3gpuE2ELNS1_3repE0EEENS1_30default_config_static_selectorELNS0_4arch9wavefront6targetE1EEEvSK_.uses_vcc, 0
	.set _ZN7rocprim17ROCPRIM_400000_NS6detail17trampoline_kernelINS0_14default_configENS1_36segmented_radix_sort_config_selectorIilEEZNS1_25segmented_radix_sort_implIS3_Lb0EPKiPiPKlPlN2at6native12_GLOBAL__N_18offset_tEEE10hipError_tPvRmT1_PNSt15iterator_traitsISK_E10value_typeET2_T3_PNSL_ISQ_E10value_typeET4_jRbjT5_SW_jjP12ihipStream_tbEUlT_E2_NS1_11comp_targetILNS1_3genE8ELNS1_11target_archE1030ELNS1_3gpuE2ELNS1_3repE0EEENS1_30default_config_static_selectorELNS0_4arch9wavefront6targetE1EEEvSK_.uses_flat_scratch, 0
	.set _ZN7rocprim17ROCPRIM_400000_NS6detail17trampoline_kernelINS0_14default_configENS1_36segmented_radix_sort_config_selectorIilEEZNS1_25segmented_radix_sort_implIS3_Lb0EPKiPiPKlPlN2at6native12_GLOBAL__N_18offset_tEEE10hipError_tPvRmT1_PNSt15iterator_traitsISK_E10value_typeET2_T3_PNSL_ISQ_E10value_typeET4_jRbjT5_SW_jjP12ihipStream_tbEUlT_E2_NS1_11comp_targetILNS1_3genE8ELNS1_11target_archE1030ELNS1_3gpuE2ELNS1_3repE0EEENS1_30default_config_static_selectorELNS0_4arch9wavefront6targetE1EEEvSK_.has_dyn_sized_stack, 0
	.set _ZN7rocprim17ROCPRIM_400000_NS6detail17trampoline_kernelINS0_14default_configENS1_36segmented_radix_sort_config_selectorIilEEZNS1_25segmented_radix_sort_implIS3_Lb0EPKiPiPKlPlN2at6native12_GLOBAL__N_18offset_tEEE10hipError_tPvRmT1_PNSt15iterator_traitsISK_E10value_typeET2_T3_PNSL_ISQ_E10value_typeET4_jRbjT5_SW_jjP12ihipStream_tbEUlT_E2_NS1_11comp_targetILNS1_3genE8ELNS1_11target_archE1030ELNS1_3gpuE2ELNS1_3repE0EEENS1_30default_config_static_selectorELNS0_4arch9wavefront6targetE1EEEvSK_.has_recursion, 0
	.set _ZN7rocprim17ROCPRIM_400000_NS6detail17trampoline_kernelINS0_14default_configENS1_36segmented_radix_sort_config_selectorIilEEZNS1_25segmented_radix_sort_implIS3_Lb0EPKiPiPKlPlN2at6native12_GLOBAL__N_18offset_tEEE10hipError_tPvRmT1_PNSt15iterator_traitsISK_E10value_typeET2_T3_PNSL_ISQ_E10value_typeET4_jRbjT5_SW_jjP12ihipStream_tbEUlT_E2_NS1_11comp_targetILNS1_3genE8ELNS1_11target_archE1030ELNS1_3gpuE2ELNS1_3repE0EEENS1_30default_config_static_selectorELNS0_4arch9wavefront6targetE1EEEvSK_.has_indirect_call, 0
	.section	.AMDGPU.csdata,"",@progbits
; Kernel info:
; codeLenInByte = 0
; TotalNumSgprs: 4
; NumVgprs: 0
; ScratchSize: 0
; MemoryBound: 0
; FloatMode: 240
; IeeeMode: 1
; LDSByteSize: 0 bytes/workgroup (compile time only)
; SGPRBlocks: 0
; VGPRBlocks: 0
; NumSGPRsForWavesPerEU: 4
; NumVGPRsForWavesPerEU: 1
; Occupancy: 10
; WaveLimiterHint : 0
; COMPUTE_PGM_RSRC2:SCRATCH_EN: 0
; COMPUTE_PGM_RSRC2:USER_SGPR: 6
; COMPUTE_PGM_RSRC2:TRAP_HANDLER: 0
; COMPUTE_PGM_RSRC2:TGID_X_EN: 1
; COMPUTE_PGM_RSRC2:TGID_Y_EN: 0
; COMPUTE_PGM_RSRC2:TGID_Z_EN: 0
; COMPUTE_PGM_RSRC2:TIDIG_COMP_CNT: 0
	.section	.text._ZN2at6native12_GLOBAL__N_123sort_postprocess_kernelIlEEvPKT_PS3_PlPK15HIP_vector_typeIiLj2EEii,"axG",@progbits,_ZN2at6native12_GLOBAL__N_123sort_postprocess_kernelIlEEvPKT_PS3_PlPK15HIP_vector_typeIiLj2EEii,comdat
	.globl	_ZN2at6native12_GLOBAL__N_123sort_postprocess_kernelIlEEvPKT_PS3_PlPK15HIP_vector_typeIiLj2EEii ; -- Begin function _ZN2at6native12_GLOBAL__N_123sort_postprocess_kernelIlEEvPKT_PS3_PlPK15HIP_vector_typeIiLj2EEii
	.p2align	8
	.type	_ZN2at6native12_GLOBAL__N_123sort_postprocess_kernelIlEEvPKT_PS3_PlPK15HIP_vector_typeIiLj2EEii,@function
_ZN2at6native12_GLOBAL__N_123sort_postprocess_kernelIlEEvPKT_PS3_PlPK15HIP_vector_typeIiLj2EEii: ; @_ZN2at6native12_GLOBAL__N_123sort_postprocess_kernelIlEEvPKT_PS3_PlPK15HIP_vector_typeIiLj2EEii
; %bb.0:
	s_load_dword s0, s[4:5], 0x34
	s_load_dwordx2 s[8:9], s[4:5], 0x20
	s_add_u32 s2, s4, 40
	s_addc_u32 s3, s5, 0
	s_waitcnt lgkmcnt(0)
	s_and_b32 s17, s0, 0xffff
	s_mul_hi_u32 s16, s17, s6
	s_mul_i32 s6, s17, s6
	v_mov_b32_e32 v2, s16
	v_add_co_u32_e32 v1, vcc, s6, v0
	s_mul_i32 s0, s9, s8
	v_addc_co_u32_e32 v2, vcc, 0, v2, vcc
	s_ashr_i32 s1, s0, 31
	v_cmp_gt_i64_e32 vcc, s[0:1], v[1:2]
	v_mov_b32_e32 v1, 0
	s_and_saveexec_b64 s[10:11], vcc
	s_cbranch_execz .LBB639_3
; %bb.1:
	s_abs_i32 s7, s9
	v_cvt_f32_u32_e32 v2, s7
	s_load_dword s18, s[2:3], 0x0
	s_load_dwordx8 s[8:15], s[4:5], 0x0
	s_sub_i32 s2, 0, s7
	v_rcp_iflag_f32_e32 v2, v2
	s_waitcnt lgkmcnt(0)
	s_mul_i32 s4, s18, s17
	v_mov_b32_e32 v4, s13
	v_mov_b32_e32 v5, s15
	v_mul_f32_e32 v2, 0x4f7ffffe, v2
	v_cvt_u32_f32_e32 v6, v2
	v_mov_b32_e32 v2, s9
	v_mul_lo_u32 v3, s2, v6
	s_mov_b64 s[2:3], 0
	v_mul_hi_u32 v7, v6, v3
	v_mov_b32_e32 v3, s11
	v_add_u32_e32 v6, v6, v7
	v_mov_b32_e32 v7, s16
.LBB639_2:                              ; =>This Inner Loop Header: Depth=1
	v_add_u32_e32 v8, s6, v0
	v_ashrrev_i32_e32 v9, 31, v8
	v_sub_u32_e32 v10, 0, v8
	v_add_u32_e32 v11, v8, v9
	v_max_i32_e32 v8, v8, v10
	v_mul_hi_u32 v10, v8, v6
	v_mul_lo_u32 v10, v10, s7
	v_sub_u32_e32 v8, v8, v10
	v_subrev_u32_e32 v10, s7, v8
	v_cmp_le_u32_e32 vcc, s7, v8
	v_cndmask_b32_e32 v8, v8, v10, vcc
	v_subrev_u32_e32 v10, s7, v8
	v_cmp_le_u32_e32 vcc, s7, v8
	v_cndmask_b32_e32 v8, v8, v10, vcc
	v_xor_b32_e32 v10, v8, v9
	v_sub_u32_e32 v8, v10, v9
	v_sub_u32_e32 v10, v11, v10
	v_ashrrev_i32_e32 v11, 31, v10
	v_lshlrev_b64 v[10:11], 3, v[10:11]
	v_ashrrev_i32_e32 v9, 31, v8
	v_lshlrev_b64 v[8:9], 3, v[8:9]
	v_add_co_u32_e32 v12, vcc, s14, v10
	v_addc_co_u32_e32 v13, vcc, v5, v11, vcc
	v_add_co_u32_e32 v12, vcc, v12, v8
	v_addc_co_u32_e32 v13, vcc, v13, v9, vcc
	global_load_dword v12, v[12:13], off offset:4
	v_add_co_u32_e32 v16, vcc, s8, v10
	v_addc_co_u32_e32 v17, vcc, v2, v11, vcc
	v_add_co_u32_e32 v13, vcc, s12, v10
	v_addc_co_u32_e32 v15, vcc, v4, v11, vcc
	;; [unrolled: 2-line block ×3, first 2 shown]
	s_waitcnt vmcnt(0)
	v_ashrrev_i32_e32 v13, 31, v12
	global_store_dwordx2 v[14:15], v[12:13], off
	v_lshlrev_b64 v[12:13], 3, v[12:13]
	v_add_co_u32_e32 v12, vcc, v16, v12
	v_addc_co_u32_e32 v13, vcc, v17, v13, vcc
	global_load_dwordx2 v[12:13], v[12:13], off
	v_add_co_u32_e32 v0, vcc, s4, v0
	v_addc_co_u32_e32 v1, vcc, 0, v1, vcc
	v_add_co_u32_e32 v14, vcc, s6, v0
	v_addc_co_u32_e32 v15, vcc, v7, v1, vcc
	v_cmp_le_i64_e32 vcc, s[0:1], v[14:15]
	s_or_b64 s[2:3], vcc, s[2:3]
	v_add_co_u32_e32 v10, vcc, s10, v10
	v_addc_co_u32_e32 v11, vcc, v3, v11, vcc
	v_add_co_u32_e32 v8, vcc, v10, v8
	v_addc_co_u32_e32 v9, vcc, v11, v9, vcc
	s_waitcnt vmcnt(0)
	global_store_dwordx2 v[8:9], v[12:13], off
	s_andn2_b64 exec, exec, s[2:3]
	s_cbranch_execnz .LBB639_2
.LBB639_3:
	s_endpgm
	.section	.rodata,"a",@progbits
	.p2align	6, 0x0
	.amdhsa_kernel _ZN2at6native12_GLOBAL__N_123sort_postprocess_kernelIlEEvPKT_PS3_PlPK15HIP_vector_typeIiLj2EEii
		.amdhsa_group_segment_fixed_size 0
		.amdhsa_private_segment_fixed_size 0
		.amdhsa_kernarg_size 296
		.amdhsa_user_sgpr_count 6
		.amdhsa_user_sgpr_private_segment_buffer 1
		.amdhsa_user_sgpr_dispatch_ptr 0
		.amdhsa_user_sgpr_queue_ptr 0
		.amdhsa_user_sgpr_kernarg_segment_ptr 1
		.amdhsa_user_sgpr_dispatch_id 0
		.amdhsa_user_sgpr_flat_scratch_init 0
		.amdhsa_user_sgpr_private_segment_size 0
		.amdhsa_uses_dynamic_stack 0
		.amdhsa_system_sgpr_private_segment_wavefront_offset 0
		.amdhsa_system_sgpr_workgroup_id_x 1
		.amdhsa_system_sgpr_workgroup_id_y 0
		.amdhsa_system_sgpr_workgroup_id_z 0
		.amdhsa_system_sgpr_workgroup_info 0
		.amdhsa_system_vgpr_workitem_id 0
		.amdhsa_next_free_vgpr 18
		.amdhsa_next_free_sgpr 19
		.amdhsa_reserve_vcc 1
		.amdhsa_reserve_flat_scratch 0
		.amdhsa_float_round_mode_32 0
		.amdhsa_float_round_mode_16_64 0
		.amdhsa_float_denorm_mode_32 3
		.amdhsa_float_denorm_mode_16_64 3
		.amdhsa_dx10_clamp 1
		.amdhsa_ieee_mode 1
		.amdhsa_fp16_overflow 0
		.amdhsa_exception_fp_ieee_invalid_op 0
		.amdhsa_exception_fp_denorm_src 0
		.amdhsa_exception_fp_ieee_div_zero 0
		.amdhsa_exception_fp_ieee_overflow 0
		.amdhsa_exception_fp_ieee_underflow 0
		.amdhsa_exception_fp_ieee_inexact 0
		.amdhsa_exception_int_div_zero 0
	.end_amdhsa_kernel
	.section	.text._ZN2at6native12_GLOBAL__N_123sort_postprocess_kernelIlEEvPKT_PS3_PlPK15HIP_vector_typeIiLj2EEii,"axG",@progbits,_ZN2at6native12_GLOBAL__N_123sort_postprocess_kernelIlEEvPKT_PS3_PlPK15HIP_vector_typeIiLj2EEii,comdat
.Lfunc_end639:
	.size	_ZN2at6native12_GLOBAL__N_123sort_postprocess_kernelIlEEvPKT_PS3_PlPK15HIP_vector_typeIiLj2EEii, .Lfunc_end639-_ZN2at6native12_GLOBAL__N_123sort_postprocess_kernelIlEEvPKT_PS3_PlPK15HIP_vector_typeIiLj2EEii
                                        ; -- End function
	.set _ZN2at6native12_GLOBAL__N_123sort_postprocess_kernelIlEEvPKT_PS3_PlPK15HIP_vector_typeIiLj2EEii.num_vgpr, 18
	.set _ZN2at6native12_GLOBAL__N_123sort_postprocess_kernelIlEEvPKT_PS3_PlPK15HIP_vector_typeIiLj2EEii.num_agpr, 0
	.set _ZN2at6native12_GLOBAL__N_123sort_postprocess_kernelIlEEvPKT_PS3_PlPK15HIP_vector_typeIiLj2EEii.numbered_sgpr, 19
	.set _ZN2at6native12_GLOBAL__N_123sort_postprocess_kernelIlEEvPKT_PS3_PlPK15HIP_vector_typeIiLj2EEii.num_named_barrier, 0
	.set _ZN2at6native12_GLOBAL__N_123sort_postprocess_kernelIlEEvPKT_PS3_PlPK15HIP_vector_typeIiLj2EEii.private_seg_size, 0
	.set _ZN2at6native12_GLOBAL__N_123sort_postprocess_kernelIlEEvPKT_PS3_PlPK15HIP_vector_typeIiLj2EEii.uses_vcc, 1
	.set _ZN2at6native12_GLOBAL__N_123sort_postprocess_kernelIlEEvPKT_PS3_PlPK15HIP_vector_typeIiLj2EEii.uses_flat_scratch, 0
	.set _ZN2at6native12_GLOBAL__N_123sort_postprocess_kernelIlEEvPKT_PS3_PlPK15HIP_vector_typeIiLj2EEii.has_dyn_sized_stack, 0
	.set _ZN2at6native12_GLOBAL__N_123sort_postprocess_kernelIlEEvPKT_PS3_PlPK15HIP_vector_typeIiLj2EEii.has_recursion, 0
	.set _ZN2at6native12_GLOBAL__N_123sort_postprocess_kernelIlEEvPKT_PS3_PlPK15HIP_vector_typeIiLj2EEii.has_indirect_call, 0
	.section	.AMDGPU.csdata,"",@progbits
; Kernel info:
; codeLenInByte = 428
; TotalNumSgprs: 23
; NumVgprs: 18
; ScratchSize: 0
; MemoryBound: 0
; FloatMode: 240
; IeeeMode: 1
; LDSByteSize: 0 bytes/workgroup (compile time only)
; SGPRBlocks: 2
; VGPRBlocks: 4
; NumSGPRsForWavesPerEU: 23
; NumVGPRsForWavesPerEU: 18
; Occupancy: 10
; WaveLimiterHint : 1
; COMPUTE_PGM_RSRC2:SCRATCH_EN: 0
; COMPUTE_PGM_RSRC2:USER_SGPR: 6
; COMPUTE_PGM_RSRC2:TRAP_HANDLER: 0
; COMPUTE_PGM_RSRC2:TGID_X_EN: 1
; COMPUTE_PGM_RSRC2:TGID_Y_EN: 0
; COMPUTE_PGM_RSRC2:TGID_Z_EN: 0
; COMPUTE_PGM_RSRC2:TIDIG_COMP_CNT: 0
	.section	.text._ZN7rocprim17ROCPRIM_400000_NS6detail17trampoline_kernelINS0_13select_configILj256ELj13ELNS0_17block_load_methodE3ELS4_3ELS4_3ELNS0_20block_scan_algorithmE0ELj4294967295EEENS1_25partition_config_selectorILNS1_17partition_subalgoE4EjNS0_10empty_typeEbEEZZNS1_14partition_implILS8_4ELb0ES6_15HIP_vector_typeIjLj2EENS0_17counting_iteratorIjlEEPS9_SG_NS0_5tupleIJPjSI_NS0_16reverse_iteratorISI_EEEEENSH_IJSG_SG_SG_EEES9_SI_JZNS1_25segmented_radix_sort_implINS0_14default_configELb1EPKlPlSQ_SR_N2at6native12_GLOBAL__N_18offset_tEEE10hipError_tPvRmT1_PNSt15iterator_traitsISZ_E10value_typeET2_T3_PNS10_IS15_E10value_typeET4_jRbjT5_S1B_jjP12ihipStream_tbEUljE_ZNSN_ISO_Lb1ESQ_SR_SQ_SR_SV_EESW_SX_SY_SZ_S13_S14_S15_S18_S19_jS1A_jS1B_S1B_jjS1D_bEUljE0_EEESW_SX_SY_S15_S19_S1B_T6_T7_T9_mT8_S1D_bDpT10_ENKUlT_T0_E_clISt17integral_constantIbLb0EES1R_EEDaS1M_S1N_EUlS1M_E_NS1_11comp_targetILNS1_3genE0ELNS1_11target_archE4294967295ELNS1_3gpuE0ELNS1_3repE0EEENS1_30default_config_static_selectorELNS0_4arch9wavefront6targetE1EEEvSZ_,"axG",@progbits,_ZN7rocprim17ROCPRIM_400000_NS6detail17trampoline_kernelINS0_13select_configILj256ELj13ELNS0_17block_load_methodE3ELS4_3ELS4_3ELNS0_20block_scan_algorithmE0ELj4294967295EEENS1_25partition_config_selectorILNS1_17partition_subalgoE4EjNS0_10empty_typeEbEEZZNS1_14partition_implILS8_4ELb0ES6_15HIP_vector_typeIjLj2EENS0_17counting_iteratorIjlEEPS9_SG_NS0_5tupleIJPjSI_NS0_16reverse_iteratorISI_EEEEENSH_IJSG_SG_SG_EEES9_SI_JZNS1_25segmented_radix_sort_implINS0_14default_configELb1EPKlPlSQ_SR_N2at6native12_GLOBAL__N_18offset_tEEE10hipError_tPvRmT1_PNSt15iterator_traitsISZ_E10value_typeET2_T3_PNS10_IS15_E10value_typeET4_jRbjT5_S1B_jjP12ihipStream_tbEUljE_ZNSN_ISO_Lb1ESQ_SR_SQ_SR_SV_EESW_SX_SY_SZ_S13_S14_S15_S18_S19_jS1A_jS1B_S1B_jjS1D_bEUljE0_EEESW_SX_SY_S15_S19_S1B_T6_T7_T9_mT8_S1D_bDpT10_ENKUlT_T0_E_clISt17integral_constantIbLb0EES1R_EEDaS1M_S1N_EUlS1M_E_NS1_11comp_targetILNS1_3genE0ELNS1_11target_archE4294967295ELNS1_3gpuE0ELNS1_3repE0EEENS1_30default_config_static_selectorELNS0_4arch9wavefront6targetE1EEEvSZ_,comdat
	.globl	_ZN7rocprim17ROCPRIM_400000_NS6detail17trampoline_kernelINS0_13select_configILj256ELj13ELNS0_17block_load_methodE3ELS4_3ELS4_3ELNS0_20block_scan_algorithmE0ELj4294967295EEENS1_25partition_config_selectorILNS1_17partition_subalgoE4EjNS0_10empty_typeEbEEZZNS1_14partition_implILS8_4ELb0ES6_15HIP_vector_typeIjLj2EENS0_17counting_iteratorIjlEEPS9_SG_NS0_5tupleIJPjSI_NS0_16reverse_iteratorISI_EEEEENSH_IJSG_SG_SG_EEES9_SI_JZNS1_25segmented_radix_sort_implINS0_14default_configELb1EPKlPlSQ_SR_N2at6native12_GLOBAL__N_18offset_tEEE10hipError_tPvRmT1_PNSt15iterator_traitsISZ_E10value_typeET2_T3_PNS10_IS15_E10value_typeET4_jRbjT5_S1B_jjP12ihipStream_tbEUljE_ZNSN_ISO_Lb1ESQ_SR_SQ_SR_SV_EESW_SX_SY_SZ_S13_S14_S15_S18_S19_jS1A_jS1B_S1B_jjS1D_bEUljE0_EEESW_SX_SY_S15_S19_S1B_T6_T7_T9_mT8_S1D_bDpT10_ENKUlT_T0_E_clISt17integral_constantIbLb0EES1R_EEDaS1M_S1N_EUlS1M_E_NS1_11comp_targetILNS1_3genE0ELNS1_11target_archE4294967295ELNS1_3gpuE0ELNS1_3repE0EEENS1_30default_config_static_selectorELNS0_4arch9wavefront6targetE1EEEvSZ_ ; -- Begin function _ZN7rocprim17ROCPRIM_400000_NS6detail17trampoline_kernelINS0_13select_configILj256ELj13ELNS0_17block_load_methodE3ELS4_3ELS4_3ELNS0_20block_scan_algorithmE0ELj4294967295EEENS1_25partition_config_selectorILNS1_17partition_subalgoE4EjNS0_10empty_typeEbEEZZNS1_14partition_implILS8_4ELb0ES6_15HIP_vector_typeIjLj2EENS0_17counting_iteratorIjlEEPS9_SG_NS0_5tupleIJPjSI_NS0_16reverse_iteratorISI_EEEEENSH_IJSG_SG_SG_EEES9_SI_JZNS1_25segmented_radix_sort_implINS0_14default_configELb1EPKlPlSQ_SR_N2at6native12_GLOBAL__N_18offset_tEEE10hipError_tPvRmT1_PNSt15iterator_traitsISZ_E10value_typeET2_T3_PNS10_IS15_E10value_typeET4_jRbjT5_S1B_jjP12ihipStream_tbEUljE_ZNSN_ISO_Lb1ESQ_SR_SQ_SR_SV_EESW_SX_SY_SZ_S13_S14_S15_S18_S19_jS1A_jS1B_S1B_jjS1D_bEUljE0_EEESW_SX_SY_S15_S19_S1B_T6_T7_T9_mT8_S1D_bDpT10_ENKUlT_T0_E_clISt17integral_constantIbLb0EES1R_EEDaS1M_S1N_EUlS1M_E_NS1_11comp_targetILNS1_3genE0ELNS1_11target_archE4294967295ELNS1_3gpuE0ELNS1_3repE0EEENS1_30default_config_static_selectorELNS0_4arch9wavefront6targetE1EEEvSZ_
	.p2align	8
	.type	_ZN7rocprim17ROCPRIM_400000_NS6detail17trampoline_kernelINS0_13select_configILj256ELj13ELNS0_17block_load_methodE3ELS4_3ELS4_3ELNS0_20block_scan_algorithmE0ELj4294967295EEENS1_25partition_config_selectorILNS1_17partition_subalgoE4EjNS0_10empty_typeEbEEZZNS1_14partition_implILS8_4ELb0ES6_15HIP_vector_typeIjLj2EENS0_17counting_iteratorIjlEEPS9_SG_NS0_5tupleIJPjSI_NS0_16reverse_iteratorISI_EEEEENSH_IJSG_SG_SG_EEES9_SI_JZNS1_25segmented_radix_sort_implINS0_14default_configELb1EPKlPlSQ_SR_N2at6native12_GLOBAL__N_18offset_tEEE10hipError_tPvRmT1_PNSt15iterator_traitsISZ_E10value_typeET2_T3_PNS10_IS15_E10value_typeET4_jRbjT5_S1B_jjP12ihipStream_tbEUljE_ZNSN_ISO_Lb1ESQ_SR_SQ_SR_SV_EESW_SX_SY_SZ_S13_S14_S15_S18_S19_jS1A_jS1B_S1B_jjS1D_bEUljE0_EEESW_SX_SY_S15_S19_S1B_T6_T7_T9_mT8_S1D_bDpT10_ENKUlT_T0_E_clISt17integral_constantIbLb0EES1R_EEDaS1M_S1N_EUlS1M_E_NS1_11comp_targetILNS1_3genE0ELNS1_11target_archE4294967295ELNS1_3gpuE0ELNS1_3repE0EEENS1_30default_config_static_selectorELNS0_4arch9wavefront6targetE1EEEvSZ_,@function
_ZN7rocprim17ROCPRIM_400000_NS6detail17trampoline_kernelINS0_13select_configILj256ELj13ELNS0_17block_load_methodE3ELS4_3ELS4_3ELNS0_20block_scan_algorithmE0ELj4294967295EEENS1_25partition_config_selectorILNS1_17partition_subalgoE4EjNS0_10empty_typeEbEEZZNS1_14partition_implILS8_4ELb0ES6_15HIP_vector_typeIjLj2EENS0_17counting_iteratorIjlEEPS9_SG_NS0_5tupleIJPjSI_NS0_16reverse_iteratorISI_EEEEENSH_IJSG_SG_SG_EEES9_SI_JZNS1_25segmented_radix_sort_implINS0_14default_configELb1EPKlPlSQ_SR_N2at6native12_GLOBAL__N_18offset_tEEE10hipError_tPvRmT1_PNSt15iterator_traitsISZ_E10value_typeET2_T3_PNS10_IS15_E10value_typeET4_jRbjT5_S1B_jjP12ihipStream_tbEUljE_ZNSN_ISO_Lb1ESQ_SR_SQ_SR_SV_EESW_SX_SY_SZ_S13_S14_S15_S18_S19_jS1A_jS1B_S1B_jjS1D_bEUljE0_EEESW_SX_SY_S15_S19_S1B_T6_T7_T9_mT8_S1D_bDpT10_ENKUlT_T0_E_clISt17integral_constantIbLb0EES1R_EEDaS1M_S1N_EUlS1M_E_NS1_11comp_targetILNS1_3genE0ELNS1_11target_archE4294967295ELNS1_3gpuE0ELNS1_3repE0EEENS1_30default_config_static_selectorELNS0_4arch9wavefront6targetE1EEEvSZ_: ; @_ZN7rocprim17ROCPRIM_400000_NS6detail17trampoline_kernelINS0_13select_configILj256ELj13ELNS0_17block_load_methodE3ELS4_3ELS4_3ELNS0_20block_scan_algorithmE0ELj4294967295EEENS1_25partition_config_selectorILNS1_17partition_subalgoE4EjNS0_10empty_typeEbEEZZNS1_14partition_implILS8_4ELb0ES6_15HIP_vector_typeIjLj2EENS0_17counting_iteratorIjlEEPS9_SG_NS0_5tupleIJPjSI_NS0_16reverse_iteratorISI_EEEEENSH_IJSG_SG_SG_EEES9_SI_JZNS1_25segmented_radix_sort_implINS0_14default_configELb1EPKlPlSQ_SR_N2at6native12_GLOBAL__N_18offset_tEEE10hipError_tPvRmT1_PNSt15iterator_traitsISZ_E10value_typeET2_T3_PNS10_IS15_E10value_typeET4_jRbjT5_S1B_jjP12ihipStream_tbEUljE_ZNSN_ISO_Lb1ESQ_SR_SQ_SR_SV_EESW_SX_SY_SZ_S13_S14_S15_S18_S19_jS1A_jS1B_S1B_jjS1D_bEUljE0_EEESW_SX_SY_S15_S19_S1B_T6_T7_T9_mT8_S1D_bDpT10_ENKUlT_T0_E_clISt17integral_constantIbLb0EES1R_EEDaS1M_S1N_EUlS1M_E_NS1_11comp_targetILNS1_3genE0ELNS1_11target_archE4294967295ELNS1_3gpuE0ELNS1_3repE0EEENS1_30default_config_static_selectorELNS0_4arch9wavefront6targetE1EEEvSZ_
; %bb.0:
	.section	.rodata,"a",@progbits
	.p2align	6, 0x0
	.amdhsa_kernel _ZN7rocprim17ROCPRIM_400000_NS6detail17trampoline_kernelINS0_13select_configILj256ELj13ELNS0_17block_load_methodE3ELS4_3ELS4_3ELNS0_20block_scan_algorithmE0ELj4294967295EEENS1_25partition_config_selectorILNS1_17partition_subalgoE4EjNS0_10empty_typeEbEEZZNS1_14partition_implILS8_4ELb0ES6_15HIP_vector_typeIjLj2EENS0_17counting_iteratorIjlEEPS9_SG_NS0_5tupleIJPjSI_NS0_16reverse_iteratorISI_EEEEENSH_IJSG_SG_SG_EEES9_SI_JZNS1_25segmented_radix_sort_implINS0_14default_configELb1EPKlPlSQ_SR_N2at6native12_GLOBAL__N_18offset_tEEE10hipError_tPvRmT1_PNSt15iterator_traitsISZ_E10value_typeET2_T3_PNS10_IS15_E10value_typeET4_jRbjT5_S1B_jjP12ihipStream_tbEUljE_ZNSN_ISO_Lb1ESQ_SR_SQ_SR_SV_EESW_SX_SY_SZ_S13_S14_S15_S18_S19_jS1A_jS1B_S1B_jjS1D_bEUljE0_EEESW_SX_SY_S15_S19_S1B_T6_T7_T9_mT8_S1D_bDpT10_ENKUlT_T0_E_clISt17integral_constantIbLb0EES1R_EEDaS1M_S1N_EUlS1M_E_NS1_11comp_targetILNS1_3genE0ELNS1_11target_archE4294967295ELNS1_3gpuE0ELNS1_3repE0EEENS1_30default_config_static_selectorELNS0_4arch9wavefront6targetE1EEEvSZ_
		.amdhsa_group_segment_fixed_size 0
		.amdhsa_private_segment_fixed_size 0
		.amdhsa_kernarg_size 176
		.amdhsa_user_sgpr_count 6
		.amdhsa_user_sgpr_private_segment_buffer 1
		.amdhsa_user_sgpr_dispatch_ptr 0
		.amdhsa_user_sgpr_queue_ptr 0
		.amdhsa_user_sgpr_kernarg_segment_ptr 1
		.amdhsa_user_sgpr_dispatch_id 0
		.amdhsa_user_sgpr_flat_scratch_init 0
		.amdhsa_user_sgpr_private_segment_size 0
		.amdhsa_uses_dynamic_stack 0
		.amdhsa_system_sgpr_private_segment_wavefront_offset 0
		.amdhsa_system_sgpr_workgroup_id_x 1
		.amdhsa_system_sgpr_workgroup_id_y 0
		.amdhsa_system_sgpr_workgroup_id_z 0
		.amdhsa_system_sgpr_workgroup_info 0
		.amdhsa_system_vgpr_workitem_id 0
		.amdhsa_next_free_vgpr 1
		.amdhsa_next_free_sgpr 0
		.amdhsa_reserve_vcc 0
		.amdhsa_reserve_flat_scratch 0
		.amdhsa_float_round_mode_32 0
		.amdhsa_float_round_mode_16_64 0
		.amdhsa_float_denorm_mode_32 3
		.amdhsa_float_denorm_mode_16_64 3
		.amdhsa_dx10_clamp 1
		.amdhsa_ieee_mode 1
		.amdhsa_fp16_overflow 0
		.amdhsa_exception_fp_ieee_invalid_op 0
		.amdhsa_exception_fp_denorm_src 0
		.amdhsa_exception_fp_ieee_div_zero 0
		.amdhsa_exception_fp_ieee_overflow 0
		.amdhsa_exception_fp_ieee_underflow 0
		.amdhsa_exception_fp_ieee_inexact 0
		.amdhsa_exception_int_div_zero 0
	.end_amdhsa_kernel
	.section	.text._ZN7rocprim17ROCPRIM_400000_NS6detail17trampoline_kernelINS0_13select_configILj256ELj13ELNS0_17block_load_methodE3ELS4_3ELS4_3ELNS0_20block_scan_algorithmE0ELj4294967295EEENS1_25partition_config_selectorILNS1_17partition_subalgoE4EjNS0_10empty_typeEbEEZZNS1_14partition_implILS8_4ELb0ES6_15HIP_vector_typeIjLj2EENS0_17counting_iteratorIjlEEPS9_SG_NS0_5tupleIJPjSI_NS0_16reverse_iteratorISI_EEEEENSH_IJSG_SG_SG_EEES9_SI_JZNS1_25segmented_radix_sort_implINS0_14default_configELb1EPKlPlSQ_SR_N2at6native12_GLOBAL__N_18offset_tEEE10hipError_tPvRmT1_PNSt15iterator_traitsISZ_E10value_typeET2_T3_PNS10_IS15_E10value_typeET4_jRbjT5_S1B_jjP12ihipStream_tbEUljE_ZNSN_ISO_Lb1ESQ_SR_SQ_SR_SV_EESW_SX_SY_SZ_S13_S14_S15_S18_S19_jS1A_jS1B_S1B_jjS1D_bEUljE0_EEESW_SX_SY_S15_S19_S1B_T6_T7_T9_mT8_S1D_bDpT10_ENKUlT_T0_E_clISt17integral_constantIbLb0EES1R_EEDaS1M_S1N_EUlS1M_E_NS1_11comp_targetILNS1_3genE0ELNS1_11target_archE4294967295ELNS1_3gpuE0ELNS1_3repE0EEENS1_30default_config_static_selectorELNS0_4arch9wavefront6targetE1EEEvSZ_,"axG",@progbits,_ZN7rocprim17ROCPRIM_400000_NS6detail17trampoline_kernelINS0_13select_configILj256ELj13ELNS0_17block_load_methodE3ELS4_3ELS4_3ELNS0_20block_scan_algorithmE0ELj4294967295EEENS1_25partition_config_selectorILNS1_17partition_subalgoE4EjNS0_10empty_typeEbEEZZNS1_14partition_implILS8_4ELb0ES6_15HIP_vector_typeIjLj2EENS0_17counting_iteratorIjlEEPS9_SG_NS0_5tupleIJPjSI_NS0_16reverse_iteratorISI_EEEEENSH_IJSG_SG_SG_EEES9_SI_JZNS1_25segmented_radix_sort_implINS0_14default_configELb1EPKlPlSQ_SR_N2at6native12_GLOBAL__N_18offset_tEEE10hipError_tPvRmT1_PNSt15iterator_traitsISZ_E10value_typeET2_T3_PNS10_IS15_E10value_typeET4_jRbjT5_S1B_jjP12ihipStream_tbEUljE_ZNSN_ISO_Lb1ESQ_SR_SQ_SR_SV_EESW_SX_SY_SZ_S13_S14_S15_S18_S19_jS1A_jS1B_S1B_jjS1D_bEUljE0_EEESW_SX_SY_S15_S19_S1B_T6_T7_T9_mT8_S1D_bDpT10_ENKUlT_T0_E_clISt17integral_constantIbLb0EES1R_EEDaS1M_S1N_EUlS1M_E_NS1_11comp_targetILNS1_3genE0ELNS1_11target_archE4294967295ELNS1_3gpuE0ELNS1_3repE0EEENS1_30default_config_static_selectorELNS0_4arch9wavefront6targetE1EEEvSZ_,comdat
.Lfunc_end640:
	.size	_ZN7rocprim17ROCPRIM_400000_NS6detail17trampoline_kernelINS0_13select_configILj256ELj13ELNS0_17block_load_methodE3ELS4_3ELS4_3ELNS0_20block_scan_algorithmE0ELj4294967295EEENS1_25partition_config_selectorILNS1_17partition_subalgoE4EjNS0_10empty_typeEbEEZZNS1_14partition_implILS8_4ELb0ES6_15HIP_vector_typeIjLj2EENS0_17counting_iteratorIjlEEPS9_SG_NS0_5tupleIJPjSI_NS0_16reverse_iteratorISI_EEEEENSH_IJSG_SG_SG_EEES9_SI_JZNS1_25segmented_radix_sort_implINS0_14default_configELb1EPKlPlSQ_SR_N2at6native12_GLOBAL__N_18offset_tEEE10hipError_tPvRmT1_PNSt15iterator_traitsISZ_E10value_typeET2_T3_PNS10_IS15_E10value_typeET4_jRbjT5_S1B_jjP12ihipStream_tbEUljE_ZNSN_ISO_Lb1ESQ_SR_SQ_SR_SV_EESW_SX_SY_SZ_S13_S14_S15_S18_S19_jS1A_jS1B_S1B_jjS1D_bEUljE0_EEESW_SX_SY_S15_S19_S1B_T6_T7_T9_mT8_S1D_bDpT10_ENKUlT_T0_E_clISt17integral_constantIbLb0EES1R_EEDaS1M_S1N_EUlS1M_E_NS1_11comp_targetILNS1_3genE0ELNS1_11target_archE4294967295ELNS1_3gpuE0ELNS1_3repE0EEENS1_30default_config_static_selectorELNS0_4arch9wavefront6targetE1EEEvSZ_, .Lfunc_end640-_ZN7rocprim17ROCPRIM_400000_NS6detail17trampoline_kernelINS0_13select_configILj256ELj13ELNS0_17block_load_methodE3ELS4_3ELS4_3ELNS0_20block_scan_algorithmE0ELj4294967295EEENS1_25partition_config_selectorILNS1_17partition_subalgoE4EjNS0_10empty_typeEbEEZZNS1_14partition_implILS8_4ELb0ES6_15HIP_vector_typeIjLj2EENS0_17counting_iteratorIjlEEPS9_SG_NS0_5tupleIJPjSI_NS0_16reverse_iteratorISI_EEEEENSH_IJSG_SG_SG_EEES9_SI_JZNS1_25segmented_radix_sort_implINS0_14default_configELb1EPKlPlSQ_SR_N2at6native12_GLOBAL__N_18offset_tEEE10hipError_tPvRmT1_PNSt15iterator_traitsISZ_E10value_typeET2_T3_PNS10_IS15_E10value_typeET4_jRbjT5_S1B_jjP12ihipStream_tbEUljE_ZNSN_ISO_Lb1ESQ_SR_SQ_SR_SV_EESW_SX_SY_SZ_S13_S14_S15_S18_S19_jS1A_jS1B_S1B_jjS1D_bEUljE0_EEESW_SX_SY_S15_S19_S1B_T6_T7_T9_mT8_S1D_bDpT10_ENKUlT_T0_E_clISt17integral_constantIbLb0EES1R_EEDaS1M_S1N_EUlS1M_E_NS1_11comp_targetILNS1_3genE0ELNS1_11target_archE4294967295ELNS1_3gpuE0ELNS1_3repE0EEENS1_30default_config_static_selectorELNS0_4arch9wavefront6targetE1EEEvSZ_
                                        ; -- End function
	.set _ZN7rocprim17ROCPRIM_400000_NS6detail17trampoline_kernelINS0_13select_configILj256ELj13ELNS0_17block_load_methodE3ELS4_3ELS4_3ELNS0_20block_scan_algorithmE0ELj4294967295EEENS1_25partition_config_selectorILNS1_17partition_subalgoE4EjNS0_10empty_typeEbEEZZNS1_14partition_implILS8_4ELb0ES6_15HIP_vector_typeIjLj2EENS0_17counting_iteratorIjlEEPS9_SG_NS0_5tupleIJPjSI_NS0_16reverse_iteratorISI_EEEEENSH_IJSG_SG_SG_EEES9_SI_JZNS1_25segmented_radix_sort_implINS0_14default_configELb1EPKlPlSQ_SR_N2at6native12_GLOBAL__N_18offset_tEEE10hipError_tPvRmT1_PNSt15iterator_traitsISZ_E10value_typeET2_T3_PNS10_IS15_E10value_typeET4_jRbjT5_S1B_jjP12ihipStream_tbEUljE_ZNSN_ISO_Lb1ESQ_SR_SQ_SR_SV_EESW_SX_SY_SZ_S13_S14_S15_S18_S19_jS1A_jS1B_S1B_jjS1D_bEUljE0_EEESW_SX_SY_S15_S19_S1B_T6_T7_T9_mT8_S1D_bDpT10_ENKUlT_T0_E_clISt17integral_constantIbLb0EES1R_EEDaS1M_S1N_EUlS1M_E_NS1_11comp_targetILNS1_3genE0ELNS1_11target_archE4294967295ELNS1_3gpuE0ELNS1_3repE0EEENS1_30default_config_static_selectorELNS0_4arch9wavefront6targetE1EEEvSZ_.num_vgpr, 0
	.set _ZN7rocprim17ROCPRIM_400000_NS6detail17trampoline_kernelINS0_13select_configILj256ELj13ELNS0_17block_load_methodE3ELS4_3ELS4_3ELNS0_20block_scan_algorithmE0ELj4294967295EEENS1_25partition_config_selectorILNS1_17partition_subalgoE4EjNS0_10empty_typeEbEEZZNS1_14partition_implILS8_4ELb0ES6_15HIP_vector_typeIjLj2EENS0_17counting_iteratorIjlEEPS9_SG_NS0_5tupleIJPjSI_NS0_16reverse_iteratorISI_EEEEENSH_IJSG_SG_SG_EEES9_SI_JZNS1_25segmented_radix_sort_implINS0_14default_configELb1EPKlPlSQ_SR_N2at6native12_GLOBAL__N_18offset_tEEE10hipError_tPvRmT1_PNSt15iterator_traitsISZ_E10value_typeET2_T3_PNS10_IS15_E10value_typeET4_jRbjT5_S1B_jjP12ihipStream_tbEUljE_ZNSN_ISO_Lb1ESQ_SR_SQ_SR_SV_EESW_SX_SY_SZ_S13_S14_S15_S18_S19_jS1A_jS1B_S1B_jjS1D_bEUljE0_EEESW_SX_SY_S15_S19_S1B_T6_T7_T9_mT8_S1D_bDpT10_ENKUlT_T0_E_clISt17integral_constantIbLb0EES1R_EEDaS1M_S1N_EUlS1M_E_NS1_11comp_targetILNS1_3genE0ELNS1_11target_archE4294967295ELNS1_3gpuE0ELNS1_3repE0EEENS1_30default_config_static_selectorELNS0_4arch9wavefront6targetE1EEEvSZ_.num_agpr, 0
	.set _ZN7rocprim17ROCPRIM_400000_NS6detail17trampoline_kernelINS0_13select_configILj256ELj13ELNS0_17block_load_methodE3ELS4_3ELS4_3ELNS0_20block_scan_algorithmE0ELj4294967295EEENS1_25partition_config_selectorILNS1_17partition_subalgoE4EjNS0_10empty_typeEbEEZZNS1_14partition_implILS8_4ELb0ES6_15HIP_vector_typeIjLj2EENS0_17counting_iteratorIjlEEPS9_SG_NS0_5tupleIJPjSI_NS0_16reverse_iteratorISI_EEEEENSH_IJSG_SG_SG_EEES9_SI_JZNS1_25segmented_radix_sort_implINS0_14default_configELb1EPKlPlSQ_SR_N2at6native12_GLOBAL__N_18offset_tEEE10hipError_tPvRmT1_PNSt15iterator_traitsISZ_E10value_typeET2_T3_PNS10_IS15_E10value_typeET4_jRbjT5_S1B_jjP12ihipStream_tbEUljE_ZNSN_ISO_Lb1ESQ_SR_SQ_SR_SV_EESW_SX_SY_SZ_S13_S14_S15_S18_S19_jS1A_jS1B_S1B_jjS1D_bEUljE0_EEESW_SX_SY_S15_S19_S1B_T6_T7_T9_mT8_S1D_bDpT10_ENKUlT_T0_E_clISt17integral_constantIbLb0EES1R_EEDaS1M_S1N_EUlS1M_E_NS1_11comp_targetILNS1_3genE0ELNS1_11target_archE4294967295ELNS1_3gpuE0ELNS1_3repE0EEENS1_30default_config_static_selectorELNS0_4arch9wavefront6targetE1EEEvSZ_.numbered_sgpr, 0
	.set _ZN7rocprim17ROCPRIM_400000_NS6detail17trampoline_kernelINS0_13select_configILj256ELj13ELNS0_17block_load_methodE3ELS4_3ELS4_3ELNS0_20block_scan_algorithmE0ELj4294967295EEENS1_25partition_config_selectorILNS1_17partition_subalgoE4EjNS0_10empty_typeEbEEZZNS1_14partition_implILS8_4ELb0ES6_15HIP_vector_typeIjLj2EENS0_17counting_iteratorIjlEEPS9_SG_NS0_5tupleIJPjSI_NS0_16reverse_iteratorISI_EEEEENSH_IJSG_SG_SG_EEES9_SI_JZNS1_25segmented_radix_sort_implINS0_14default_configELb1EPKlPlSQ_SR_N2at6native12_GLOBAL__N_18offset_tEEE10hipError_tPvRmT1_PNSt15iterator_traitsISZ_E10value_typeET2_T3_PNS10_IS15_E10value_typeET4_jRbjT5_S1B_jjP12ihipStream_tbEUljE_ZNSN_ISO_Lb1ESQ_SR_SQ_SR_SV_EESW_SX_SY_SZ_S13_S14_S15_S18_S19_jS1A_jS1B_S1B_jjS1D_bEUljE0_EEESW_SX_SY_S15_S19_S1B_T6_T7_T9_mT8_S1D_bDpT10_ENKUlT_T0_E_clISt17integral_constantIbLb0EES1R_EEDaS1M_S1N_EUlS1M_E_NS1_11comp_targetILNS1_3genE0ELNS1_11target_archE4294967295ELNS1_3gpuE0ELNS1_3repE0EEENS1_30default_config_static_selectorELNS0_4arch9wavefront6targetE1EEEvSZ_.num_named_barrier, 0
	.set _ZN7rocprim17ROCPRIM_400000_NS6detail17trampoline_kernelINS0_13select_configILj256ELj13ELNS0_17block_load_methodE3ELS4_3ELS4_3ELNS0_20block_scan_algorithmE0ELj4294967295EEENS1_25partition_config_selectorILNS1_17partition_subalgoE4EjNS0_10empty_typeEbEEZZNS1_14partition_implILS8_4ELb0ES6_15HIP_vector_typeIjLj2EENS0_17counting_iteratorIjlEEPS9_SG_NS0_5tupleIJPjSI_NS0_16reverse_iteratorISI_EEEEENSH_IJSG_SG_SG_EEES9_SI_JZNS1_25segmented_radix_sort_implINS0_14default_configELb1EPKlPlSQ_SR_N2at6native12_GLOBAL__N_18offset_tEEE10hipError_tPvRmT1_PNSt15iterator_traitsISZ_E10value_typeET2_T3_PNS10_IS15_E10value_typeET4_jRbjT5_S1B_jjP12ihipStream_tbEUljE_ZNSN_ISO_Lb1ESQ_SR_SQ_SR_SV_EESW_SX_SY_SZ_S13_S14_S15_S18_S19_jS1A_jS1B_S1B_jjS1D_bEUljE0_EEESW_SX_SY_S15_S19_S1B_T6_T7_T9_mT8_S1D_bDpT10_ENKUlT_T0_E_clISt17integral_constantIbLb0EES1R_EEDaS1M_S1N_EUlS1M_E_NS1_11comp_targetILNS1_3genE0ELNS1_11target_archE4294967295ELNS1_3gpuE0ELNS1_3repE0EEENS1_30default_config_static_selectorELNS0_4arch9wavefront6targetE1EEEvSZ_.private_seg_size, 0
	.set _ZN7rocprim17ROCPRIM_400000_NS6detail17trampoline_kernelINS0_13select_configILj256ELj13ELNS0_17block_load_methodE3ELS4_3ELS4_3ELNS0_20block_scan_algorithmE0ELj4294967295EEENS1_25partition_config_selectorILNS1_17partition_subalgoE4EjNS0_10empty_typeEbEEZZNS1_14partition_implILS8_4ELb0ES6_15HIP_vector_typeIjLj2EENS0_17counting_iteratorIjlEEPS9_SG_NS0_5tupleIJPjSI_NS0_16reverse_iteratorISI_EEEEENSH_IJSG_SG_SG_EEES9_SI_JZNS1_25segmented_radix_sort_implINS0_14default_configELb1EPKlPlSQ_SR_N2at6native12_GLOBAL__N_18offset_tEEE10hipError_tPvRmT1_PNSt15iterator_traitsISZ_E10value_typeET2_T3_PNS10_IS15_E10value_typeET4_jRbjT5_S1B_jjP12ihipStream_tbEUljE_ZNSN_ISO_Lb1ESQ_SR_SQ_SR_SV_EESW_SX_SY_SZ_S13_S14_S15_S18_S19_jS1A_jS1B_S1B_jjS1D_bEUljE0_EEESW_SX_SY_S15_S19_S1B_T6_T7_T9_mT8_S1D_bDpT10_ENKUlT_T0_E_clISt17integral_constantIbLb0EES1R_EEDaS1M_S1N_EUlS1M_E_NS1_11comp_targetILNS1_3genE0ELNS1_11target_archE4294967295ELNS1_3gpuE0ELNS1_3repE0EEENS1_30default_config_static_selectorELNS0_4arch9wavefront6targetE1EEEvSZ_.uses_vcc, 0
	.set _ZN7rocprim17ROCPRIM_400000_NS6detail17trampoline_kernelINS0_13select_configILj256ELj13ELNS0_17block_load_methodE3ELS4_3ELS4_3ELNS0_20block_scan_algorithmE0ELj4294967295EEENS1_25partition_config_selectorILNS1_17partition_subalgoE4EjNS0_10empty_typeEbEEZZNS1_14partition_implILS8_4ELb0ES6_15HIP_vector_typeIjLj2EENS0_17counting_iteratorIjlEEPS9_SG_NS0_5tupleIJPjSI_NS0_16reverse_iteratorISI_EEEEENSH_IJSG_SG_SG_EEES9_SI_JZNS1_25segmented_radix_sort_implINS0_14default_configELb1EPKlPlSQ_SR_N2at6native12_GLOBAL__N_18offset_tEEE10hipError_tPvRmT1_PNSt15iterator_traitsISZ_E10value_typeET2_T3_PNS10_IS15_E10value_typeET4_jRbjT5_S1B_jjP12ihipStream_tbEUljE_ZNSN_ISO_Lb1ESQ_SR_SQ_SR_SV_EESW_SX_SY_SZ_S13_S14_S15_S18_S19_jS1A_jS1B_S1B_jjS1D_bEUljE0_EEESW_SX_SY_S15_S19_S1B_T6_T7_T9_mT8_S1D_bDpT10_ENKUlT_T0_E_clISt17integral_constantIbLb0EES1R_EEDaS1M_S1N_EUlS1M_E_NS1_11comp_targetILNS1_3genE0ELNS1_11target_archE4294967295ELNS1_3gpuE0ELNS1_3repE0EEENS1_30default_config_static_selectorELNS0_4arch9wavefront6targetE1EEEvSZ_.uses_flat_scratch, 0
	.set _ZN7rocprim17ROCPRIM_400000_NS6detail17trampoline_kernelINS0_13select_configILj256ELj13ELNS0_17block_load_methodE3ELS4_3ELS4_3ELNS0_20block_scan_algorithmE0ELj4294967295EEENS1_25partition_config_selectorILNS1_17partition_subalgoE4EjNS0_10empty_typeEbEEZZNS1_14partition_implILS8_4ELb0ES6_15HIP_vector_typeIjLj2EENS0_17counting_iteratorIjlEEPS9_SG_NS0_5tupleIJPjSI_NS0_16reverse_iteratorISI_EEEEENSH_IJSG_SG_SG_EEES9_SI_JZNS1_25segmented_radix_sort_implINS0_14default_configELb1EPKlPlSQ_SR_N2at6native12_GLOBAL__N_18offset_tEEE10hipError_tPvRmT1_PNSt15iterator_traitsISZ_E10value_typeET2_T3_PNS10_IS15_E10value_typeET4_jRbjT5_S1B_jjP12ihipStream_tbEUljE_ZNSN_ISO_Lb1ESQ_SR_SQ_SR_SV_EESW_SX_SY_SZ_S13_S14_S15_S18_S19_jS1A_jS1B_S1B_jjS1D_bEUljE0_EEESW_SX_SY_S15_S19_S1B_T6_T7_T9_mT8_S1D_bDpT10_ENKUlT_T0_E_clISt17integral_constantIbLb0EES1R_EEDaS1M_S1N_EUlS1M_E_NS1_11comp_targetILNS1_3genE0ELNS1_11target_archE4294967295ELNS1_3gpuE0ELNS1_3repE0EEENS1_30default_config_static_selectorELNS0_4arch9wavefront6targetE1EEEvSZ_.has_dyn_sized_stack, 0
	.set _ZN7rocprim17ROCPRIM_400000_NS6detail17trampoline_kernelINS0_13select_configILj256ELj13ELNS0_17block_load_methodE3ELS4_3ELS4_3ELNS0_20block_scan_algorithmE0ELj4294967295EEENS1_25partition_config_selectorILNS1_17partition_subalgoE4EjNS0_10empty_typeEbEEZZNS1_14partition_implILS8_4ELb0ES6_15HIP_vector_typeIjLj2EENS0_17counting_iteratorIjlEEPS9_SG_NS0_5tupleIJPjSI_NS0_16reverse_iteratorISI_EEEEENSH_IJSG_SG_SG_EEES9_SI_JZNS1_25segmented_radix_sort_implINS0_14default_configELb1EPKlPlSQ_SR_N2at6native12_GLOBAL__N_18offset_tEEE10hipError_tPvRmT1_PNSt15iterator_traitsISZ_E10value_typeET2_T3_PNS10_IS15_E10value_typeET4_jRbjT5_S1B_jjP12ihipStream_tbEUljE_ZNSN_ISO_Lb1ESQ_SR_SQ_SR_SV_EESW_SX_SY_SZ_S13_S14_S15_S18_S19_jS1A_jS1B_S1B_jjS1D_bEUljE0_EEESW_SX_SY_S15_S19_S1B_T6_T7_T9_mT8_S1D_bDpT10_ENKUlT_T0_E_clISt17integral_constantIbLb0EES1R_EEDaS1M_S1N_EUlS1M_E_NS1_11comp_targetILNS1_3genE0ELNS1_11target_archE4294967295ELNS1_3gpuE0ELNS1_3repE0EEENS1_30default_config_static_selectorELNS0_4arch9wavefront6targetE1EEEvSZ_.has_recursion, 0
	.set _ZN7rocprim17ROCPRIM_400000_NS6detail17trampoline_kernelINS0_13select_configILj256ELj13ELNS0_17block_load_methodE3ELS4_3ELS4_3ELNS0_20block_scan_algorithmE0ELj4294967295EEENS1_25partition_config_selectorILNS1_17partition_subalgoE4EjNS0_10empty_typeEbEEZZNS1_14partition_implILS8_4ELb0ES6_15HIP_vector_typeIjLj2EENS0_17counting_iteratorIjlEEPS9_SG_NS0_5tupleIJPjSI_NS0_16reverse_iteratorISI_EEEEENSH_IJSG_SG_SG_EEES9_SI_JZNS1_25segmented_radix_sort_implINS0_14default_configELb1EPKlPlSQ_SR_N2at6native12_GLOBAL__N_18offset_tEEE10hipError_tPvRmT1_PNSt15iterator_traitsISZ_E10value_typeET2_T3_PNS10_IS15_E10value_typeET4_jRbjT5_S1B_jjP12ihipStream_tbEUljE_ZNSN_ISO_Lb1ESQ_SR_SQ_SR_SV_EESW_SX_SY_SZ_S13_S14_S15_S18_S19_jS1A_jS1B_S1B_jjS1D_bEUljE0_EEESW_SX_SY_S15_S19_S1B_T6_T7_T9_mT8_S1D_bDpT10_ENKUlT_T0_E_clISt17integral_constantIbLb0EES1R_EEDaS1M_S1N_EUlS1M_E_NS1_11comp_targetILNS1_3genE0ELNS1_11target_archE4294967295ELNS1_3gpuE0ELNS1_3repE0EEENS1_30default_config_static_selectorELNS0_4arch9wavefront6targetE1EEEvSZ_.has_indirect_call, 0
	.section	.AMDGPU.csdata,"",@progbits
; Kernel info:
; codeLenInByte = 0
; TotalNumSgprs: 4
; NumVgprs: 0
; ScratchSize: 0
; MemoryBound: 0
; FloatMode: 240
; IeeeMode: 1
; LDSByteSize: 0 bytes/workgroup (compile time only)
; SGPRBlocks: 0
; VGPRBlocks: 0
; NumSGPRsForWavesPerEU: 4
; NumVGPRsForWavesPerEU: 1
; Occupancy: 10
; WaveLimiterHint : 0
; COMPUTE_PGM_RSRC2:SCRATCH_EN: 0
; COMPUTE_PGM_RSRC2:USER_SGPR: 6
; COMPUTE_PGM_RSRC2:TRAP_HANDLER: 0
; COMPUTE_PGM_RSRC2:TGID_X_EN: 1
; COMPUTE_PGM_RSRC2:TGID_Y_EN: 0
; COMPUTE_PGM_RSRC2:TGID_Z_EN: 0
; COMPUTE_PGM_RSRC2:TIDIG_COMP_CNT: 0
	.section	.text._ZN7rocprim17ROCPRIM_400000_NS6detail17trampoline_kernelINS0_13select_configILj256ELj13ELNS0_17block_load_methodE3ELS4_3ELS4_3ELNS0_20block_scan_algorithmE0ELj4294967295EEENS1_25partition_config_selectorILNS1_17partition_subalgoE4EjNS0_10empty_typeEbEEZZNS1_14partition_implILS8_4ELb0ES6_15HIP_vector_typeIjLj2EENS0_17counting_iteratorIjlEEPS9_SG_NS0_5tupleIJPjSI_NS0_16reverse_iteratorISI_EEEEENSH_IJSG_SG_SG_EEES9_SI_JZNS1_25segmented_radix_sort_implINS0_14default_configELb1EPKlPlSQ_SR_N2at6native12_GLOBAL__N_18offset_tEEE10hipError_tPvRmT1_PNSt15iterator_traitsISZ_E10value_typeET2_T3_PNS10_IS15_E10value_typeET4_jRbjT5_S1B_jjP12ihipStream_tbEUljE_ZNSN_ISO_Lb1ESQ_SR_SQ_SR_SV_EESW_SX_SY_SZ_S13_S14_S15_S18_S19_jS1A_jS1B_S1B_jjS1D_bEUljE0_EEESW_SX_SY_S15_S19_S1B_T6_T7_T9_mT8_S1D_bDpT10_ENKUlT_T0_E_clISt17integral_constantIbLb0EES1R_EEDaS1M_S1N_EUlS1M_E_NS1_11comp_targetILNS1_3genE5ELNS1_11target_archE942ELNS1_3gpuE9ELNS1_3repE0EEENS1_30default_config_static_selectorELNS0_4arch9wavefront6targetE1EEEvSZ_,"axG",@progbits,_ZN7rocprim17ROCPRIM_400000_NS6detail17trampoline_kernelINS0_13select_configILj256ELj13ELNS0_17block_load_methodE3ELS4_3ELS4_3ELNS0_20block_scan_algorithmE0ELj4294967295EEENS1_25partition_config_selectorILNS1_17partition_subalgoE4EjNS0_10empty_typeEbEEZZNS1_14partition_implILS8_4ELb0ES6_15HIP_vector_typeIjLj2EENS0_17counting_iteratorIjlEEPS9_SG_NS0_5tupleIJPjSI_NS0_16reverse_iteratorISI_EEEEENSH_IJSG_SG_SG_EEES9_SI_JZNS1_25segmented_radix_sort_implINS0_14default_configELb1EPKlPlSQ_SR_N2at6native12_GLOBAL__N_18offset_tEEE10hipError_tPvRmT1_PNSt15iterator_traitsISZ_E10value_typeET2_T3_PNS10_IS15_E10value_typeET4_jRbjT5_S1B_jjP12ihipStream_tbEUljE_ZNSN_ISO_Lb1ESQ_SR_SQ_SR_SV_EESW_SX_SY_SZ_S13_S14_S15_S18_S19_jS1A_jS1B_S1B_jjS1D_bEUljE0_EEESW_SX_SY_S15_S19_S1B_T6_T7_T9_mT8_S1D_bDpT10_ENKUlT_T0_E_clISt17integral_constantIbLb0EES1R_EEDaS1M_S1N_EUlS1M_E_NS1_11comp_targetILNS1_3genE5ELNS1_11target_archE942ELNS1_3gpuE9ELNS1_3repE0EEENS1_30default_config_static_selectorELNS0_4arch9wavefront6targetE1EEEvSZ_,comdat
	.globl	_ZN7rocprim17ROCPRIM_400000_NS6detail17trampoline_kernelINS0_13select_configILj256ELj13ELNS0_17block_load_methodE3ELS4_3ELS4_3ELNS0_20block_scan_algorithmE0ELj4294967295EEENS1_25partition_config_selectorILNS1_17partition_subalgoE4EjNS0_10empty_typeEbEEZZNS1_14partition_implILS8_4ELb0ES6_15HIP_vector_typeIjLj2EENS0_17counting_iteratorIjlEEPS9_SG_NS0_5tupleIJPjSI_NS0_16reverse_iteratorISI_EEEEENSH_IJSG_SG_SG_EEES9_SI_JZNS1_25segmented_radix_sort_implINS0_14default_configELb1EPKlPlSQ_SR_N2at6native12_GLOBAL__N_18offset_tEEE10hipError_tPvRmT1_PNSt15iterator_traitsISZ_E10value_typeET2_T3_PNS10_IS15_E10value_typeET4_jRbjT5_S1B_jjP12ihipStream_tbEUljE_ZNSN_ISO_Lb1ESQ_SR_SQ_SR_SV_EESW_SX_SY_SZ_S13_S14_S15_S18_S19_jS1A_jS1B_S1B_jjS1D_bEUljE0_EEESW_SX_SY_S15_S19_S1B_T6_T7_T9_mT8_S1D_bDpT10_ENKUlT_T0_E_clISt17integral_constantIbLb0EES1R_EEDaS1M_S1N_EUlS1M_E_NS1_11comp_targetILNS1_3genE5ELNS1_11target_archE942ELNS1_3gpuE9ELNS1_3repE0EEENS1_30default_config_static_selectorELNS0_4arch9wavefront6targetE1EEEvSZ_ ; -- Begin function _ZN7rocprim17ROCPRIM_400000_NS6detail17trampoline_kernelINS0_13select_configILj256ELj13ELNS0_17block_load_methodE3ELS4_3ELS4_3ELNS0_20block_scan_algorithmE0ELj4294967295EEENS1_25partition_config_selectorILNS1_17partition_subalgoE4EjNS0_10empty_typeEbEEZZNS1_14partition_implILS8_4ELb0ES6_15HIP_vector_typeIjLj2EENS0_17counting_iteratorIjlEEPS9_SG_NS0_5tupleIJPjSI_NS0_16reverse_iteratorISI_EEEEENSH_IJSG_SG_SG_EEES9_SI_JZNS1_25segmented_radix_sort_implINS0_14default_configELb1EPKlPlSQ_SR_N2at6native12_GLOBAL__N_18offset_tEEE10hipError_tPvRmT1_PNSt15iterator_traitsISZ_E10value_typeET2_T3_PNS10_IS15_E10value_typeET4_jRbjT5_S1B_jjP12ihipStream_tbEUljE_ZNSN_ISO_Lb1ESQ_SR_SQ_SR_SV_EESW_SX_SY_SZ_S13_S14_S15_S18_S19_jS1A_jS1B_S1B_jjS1D_bEUljE0_EEESW_SX_SY_S15_S19_S1B_T6_T7_T9_mT8_S1D_bDpT10_ENKUlT_T0_E_clISt17integral_constantIbLb0EES1R_EEDaS1M_S1N_EUlS1M_E_NS1_11comp_targetILNS1_3genE5ELNS1_11target_archE942ELNS1_3gpuE9ELNS1_3repE0EEENS1_30default_config_static_selectorELNS0_4arch9wavefront6targetE1EEEvSZ_
	.p2align	8
	.type	_ZN7rocprim17ROCPRIM_400000_NS6detail17trampoline_kernelINS0_13select_configILj256ELj13ELNS0_17block_load_methodE3ELS4_3ELS4_3ELNS0_20block_scan_algorithmE0ELj4294967295EEENS1_25partition_config_selectorILNS1_17partition_subalgoE4EjNS0_10empty_typeEbEEZZNS1_14partition_implILS8_4ELb0ES6_15HIP_vector_typeIjLj2EENS0_17counting_iteratorIjlEEPS9_SG_NS0_5tupleIJPjSI_NS0_16reverse_iteratorISI_EEEEENSH_IJSG_SG_SG_EEES9_SI_JZNS1_25segmented_radix_sort_implINS0_14default_configELb1EPKlPlSQ_SR_N2at6native12_GLOBAL__N_18offset_tEEE10hipError_tPvRmT1_PNSt15iterator_traitsISZ_E10value_typeET2_T3_PNS10_IS15_E10value_typeET4_jRbjT5_S1B_jjP12ihipStream_tbEUljE_ZNSN_ISO_Lb1ESQ_SR_SQ_SR_SV_EESW_SX_SY_SZ_S13_S14_S15_S18_S19_jS1A_jS1B_S1B_jjS1D_bEUljE0_EEESW_SX_SY_S15_S19_S1B_T6_T7_T9_mT8_S1D_bDpT10_ENKUlT_T0_E_clISt17integral_constantIbLb0EES1R_EEDaS1M_S1N_EUlS1M_E_NS1_11comp_targetILNS1_3genE5ELNS1_11target_archE942ELNS1_3gpuE9ELNS1_3repE0EEENS1_30default_config_static_selectorELNS0_4arch9wavefront6targetE1EEEvSZ_,@function
_ZN7rocprim17ROCPRIM_400000_NS6detail17trampoline_kernelINS0_13select_configILj256ELj13ELNS0_17block_load_methodE3ELS4_3ELS4_3ELNS0_20block_scan_algorithmE0ELj4294967295EEENS1_25partition_config_selectorILNS1_17partition_subalgoE4EjNS0_10empty_typeEbEEZZNS1_14partition_implILS8_4ELb0ES6_15HIP_vector_typeIjLj2EENS0_17counting_iteratorIjlEEPS9_SG_NS0_5tupleIJPjSI_NS0_16reverse_iteratorISI_EEEEENSH_IJSG_SG_SG_EEES9_SI_JZNS1_25segmented_radix_sort_implINS0_14default_configELb1EPKlPlSQ_SR_N2at6native12_GLOBAL__N_18offset_tEEE10hipError_tPvRmT1_PNSt15iterator_traitsISZ_E10value_typeET2_T3_PNS10_IS15_E10value_typeET4_jRbjT5_S1B_jjP12ihipStream_tbEUljE_ZNSN_ISO_Lb1ESQ_SR_SQ_SR_SV_EESW_SX_SY_SZ_S13_S14_S15_S18_S19_jS1A_jS1B_S1B_jjS1D_bEUljE0_EEESW_SX_SY_S15_S19_S1B_T6_T7_T9_mT8_S1D_bDpT10_ENKUlT_T0_E_clISt17integral_constantIbLb0EES1R_EEDaS1M_S1N_EUlS1M_E_NS1_11comp_targetILNS1_3genE5ELNS1_11target_archE942ELNS1_3gpuE9ELNS1_3repE0EEENS1_30default_config_static_selectorELNS0_4arch9wavefront6targetE1EEEvSZ_: ; @_ZN7rocprim17ROCPRIM_400000_NS6detail17trampoline_kernelINS0_13select_configILj256ELj13ELNS0_17block_load_methodE3ELS4_3ELS4_3ELNS0_20block_scan_algorithmE0ELj4294967295EEENS1_25partition_config_selectorILNS1_17partition_subalgoE4EjNS0_10empty_typeEbEEZZNS1_14partition_implILS8_4ELb0ES6_15HIP_vector_typeIjLj2EENS0_17counting_iteratorIjlEEPS9_SG_NS0_5tupleIJPjSI_NS0_16reverse_iteratorISI_EEEEENSH_IJSG_SG_SG_EEES9_SI_JZNS1_25segmented_radix_sort_implINS0_14default_configELb1EPKlPlSQ_SR_N2at6native12_GLOBAL__N_18offset_tEEE10hipError_tPvRmT1_PNSt15iterator_traitsISZ_E10value_typeET2_T3_PNS10_IS15_E10value_typeET4_jRbjT5_S1B_jjP12ihipStream_tbEUljE_ZNSN_ISO_Lb1ESQ_SR_SQ_SR_SV_EESW_SX_SY_SZ_S13_S14_S15_S18_S19_jS1A_jS1B_S1B_jjS1D_bEUljE0_EEESW_SX_SY_S15_S19_S1B_T6_T7_T9_mT8_S1D_bDpT10_ENKUlT_T0_E_clISt17integral_constantIbLb0EES1R_EEDaS1M_S1N_EUlS1M_E_NS1_11comp_targetILNS1_3genE5ELNS1_11target_archE942ELNS1_3gpuE9ELNS1_3repE0EEENS1_30default_config_static_selectorELNS0_4arch9wavefront6targetE1EEEvSZ_
; %bb.0:
	.section	.rodata,"a",@progbits
	.p2align	6, 0x0
	.amdhsa_kernel _ZN7rocprim17ROCPRIM_400000_NS6detail17trampoline_kernelINS0_13select_configILj256ELj13ELNS0_17block_load_methodE3ELS4_3ELS4_3ELNS0_20block_scan_algorithmE0ELj4294967295EEENS1_25partition_config_selectorILNS1_17partition_subalgoE4EjNS0_10empty_typeEbEEZZNS1_14partition_implILS8_4ELb0ES6_15HIP_vector_typeIjLj2EENS0_17counting_iteratorIjlEEPS9_SG_NS0_5tupleIJPjSI_NS0_16reverse_iteratorISI_EEEEENSH_IJSG_SG_SG_EEES9_SI_JZNS1_25segmented_radix_sort_implINS0_14default_configELb1EPKlPlSQ_SR_N2at6native12_GLOBAL__N_18offset_tEEE10hipError_tPvRmT1_PNSt15iterator_traitsISZ_E10value_typeET2_T3_PNS10_IS15_E10value_typeET4_jRbjT5_S1B_jjP12ihipStream_tbEUljE_ZNSN_ISO_Lb1ESQ_SR_SQ_SR_SV_EESW_SX_SY_SZ_S13_S14_S15_S18_S19_jS1A_jS1B_S1B_jjS1D_bEUljE0_EEESW_SX_SY_S15_S19_S1B_T6_T7_T9_mT8_S1D_bDpT10_ENKUlT_T0_E_clISt17integral_constantIbLb0EES1R_EEDaS1M_S1N_EUlS1M_E_NS1_11comp_targetILNS1_3genE5ELNS1_11target_archE942ELNS1_3gpuE9ELNS1_3repE0EEENS1_30default_config_static_selectorELNS0_4arch9wavefront6targetE1EEEvSZ_
		.amdhsa_group_segment_fixed_size 0
		.amdhsa_private_segment_fixed_size 0
		.amdhsa_kernarg_size 176
		.amdhsa_user_sgpr_count 6
		.amdhsa_user_sgpr_private_segment_buffer 1
		.amdhsa_user_sgpr_dispatch_ptr 0
		.amdhsa_user_sgpr_queue_ptr 0
		.amdhsa_user_sgpr_kernarg_segment_ptr 1
		.amdhsa_user_sgpr_dispatch_id 0
		.amdhsa_user_sgpr_flat_scratch_init 0
		.amdhsa_user_sgpr_private_segment_size 0
		.amdhsa_uses_dynamic_stack 0
		.amdhsa_system_sgpr_private_segment_wavefront_offset 0
		.amdhsa_system_sgpr_workgroup_id_x 1
		.amdhsa_system_sgpr_workgroup_id_y 0
		.amdhsa_system_sgpr_workgroup_id_z 0
		.amdhsa_system_sgpr_workgroup_info 0
		.amdhsa_system_vgpr_workitem_id 0
		.amdhsa_next_free_vgpr 1
		.amdhsa_next_free_sgpr 0
		.amdhsa_reserve_vcc 0
		.amdhsa_reserve_flat_scratch 0
		.amdhsa_float_round_mode_32 0
		.amdhsa_float_round_mode_16_64 0
		.amdhsa_float_denorm_mode_32 3
		.amdhsa_float_denorm_mode_16_64 3
		.amdhsa_dx10_clamp 1
		.amdhsa_ieee_mode 1
		.amdhsa_fp16_overflow 0
		.amdhsa_exception_fp_ieee_invalid_op 0
		.amdhsa_exception_fp_denorm_src 0
		.amdhsa_exception_fp_ieee_div_zero 0
		.amdhsa_exception_fp_ieee_overflow 0
		.amdhsa_exception_fp_ieee_underflow 0
		.amdhsa_exception_fp_ieee_inexact 0
		.amdhsa_exception_int_div_zero 0
	.end_amdhsa_kernel
	.section	.text._ZN7rocprim17ROCPRIM_400000_NS6detail17trampoline_kernelINS0_13select_configILj256ELj13ELNS0_17block_load_methodE3ELS4_3ELS4_3ELNS0_20block_scan_algorithmE0ELj4294967295EEENS1_25partition_config_selectorILNS1_17partition_subalgoE4EjNS0_10empty_typeEbEEZZNS1_14partition_implILS8_4ELb0ES6_15HIP_vector_typeIjLj2EENS0_17counting_iteratorIjlEEPS9_SG_NS0_5tupleIJPjSI_NS0_16reverse_iteratorISI_EEEEENSH_IJSG_SG_SG_EEES9_SI_JZNS1_25segmented_radix_sort_implINS0_14default_configELb1EPKlPlSQ_SR_N2at6native12_GLOBAL__N_18offset_tEEE10hipError_tPvRmT1_PNSt15iterator_traitsISZ_E10value_typeET2_T3_PNS10_IS15_E10value_typeET4_jRbjT5_S1B_jjP12ihipStream_tbEUljE_ZNSN_ISO_Lb1ESQ_SR_SQ_SR_SV_EESW_SX_SY_SZ_S13_S14_S15_S18_S19_jS1A_jS1B_S1B_jjS1D_bEUljE0_EEESW_SX_SY_S15_S19_S1B_T6_T7_T9_mT8_S1D_bDpT10_ENKUlT_T0_E_clISt17integral_constantIbLb0EES1R_EEDaS1M_S1N_EUlS1M_E_NS1_11comp_targetILNS1_3genE5ELNS1_11target_archE942ELNS1_3gpuE9ELNS1_3repE0EEENS1_30default_config_static_selectorELNS0_4arch9wavefront6targetE1EEEvSZ_,"axG",@progbits,_ZN7rocprim17ROCPRIM_400000_NS6detail17trampoline_kernelINS0_13select_configILj256ELj13ELNS0_17block_load_methodE3ELS4_3ELS4_3ELNS0_20block_scan_algorithmE0ELj4294967295EEENS1_25partition_config_selectorILNS1_17partition_subalgoE4EjNS0_10empty_typeEbEEZZNS1_14partition_implILS8_4ELb0ES6_15HIP_vector_typeIjLj2EENS0_17counting_iteratorIjlEEPS9_SG_NS0_5tupleIJPjSI_NS0_16reverse_iteratorISI_EEEEENSH_IJSG_SG_SG_EEES9_SI_JZNS1_25segmented_radix_sort_implINS0_14default_configELb1EPKlPlSQ_SR_N2at6native12_GLOBAL__N_18offset_tEEE10hipError_tPvRmT1_PNSt15iterator_traitsISZ_E10value_typeET2_T3_PNS10_IS15_E10value_typeET4_jRbjT5_S1B_jjP12ihipStream_tbEUljE_ZNSN_ISO_Lb1ESQ_SR_SQ_SR_SV_EESW_SX_SY_SZ_S13_S14_S15_S18_S19_jS1A_jS1B_S1B_jjS1D_bEUljE0_EEESW_SX_SY_S15_S19_S1B_T6_T7_T9_mT8_S1D_bDpT10_ENKUlT_T0_E_clISt17integral_constantIbLb0EES1R_EEDaS1M_S1N_EUlS1M_E_NS1_11comp_targetILNS1_3genE5ELNS1_11target_archE942ELNS1_3gpuE9ELNS1_3repE0EEENS1_30default_config_static_selectorELNS0_4arch9wavefront6targetE1EEEvSZ_,comdat
.Lfunc_end641:
	.size	_ZN7rocprim17ROCPRIM_400000_NS6detail17trampoline_kernelINS0_13select_configILj256ELj13ELNS0_17block_load_methodE3ELS4_3ELS4_3ELNS0_20block_scan_algorithmE0ELj4294967295EEENS1_25partition_config_selectorILNS1_17partition_subalgoE4EjNS0_10empty_typeEbEEZZNS1_14partition_implILS8_4ELb0ES6_15HIP_vector_typeIjLj2EENS0_17counting_iteratorIjlEEPS9_SG_NS0_5tupleIJPjSI_NS0_16reverse_iteratorISI_EEEEENSH_IJSG_SG_SG_EEES9_SI_JZNS1_25segmented_radix_sort_implINS0_14default_configELb1EPKlPlSQ_SR_N2at6native12_GLOBAL__N_18offset_tEEE10hipError_tPvRmT1_PNSt15iterator_traitsISZ_E10value_typeET2_T3_PNS10_IS15_E10value_typeET4_jRbjT5_S1B_jjP12ihipStream_tbEUljE_ZNSN_ISO_Lb1ESQ_SR_SQ_SR_SV_EESW_SX_SY_SZ_S13_S14_S15_S18_S19_jS1A_jS1B_S1B_jjS1D_bEUljE0_EEESW_SX_SY_S15_S19_S1B_T6_T7_T9_mT8_S1D_bDpT10_ENKUlT_T0_E_clISt17integral_constantIbLb0EES1R_EEDaS1M_S1N_EUlS1M_E_NS1_11comp_targetILNS1_3genE5ELNS1_11target_archE942ELNS1_3gpuE9ELNS1_3repE0EEENS1_30default_config_static_selectorELNS0_4arch9wavefront6targetE1EEEvSZ_, .Lfunc_end641-_ZN7rocprim17ROCPRIM_400000_NS6detail17trampoline_kernelINS0_13select_configILj256ELj13ELNS0_17block_load_methodE3ELS4_3ELS4_3ELNS0_20block_scan_algorithmE0ELj4294967295EEENS1_25partition_config_selectorILNS1_17partition_subalgoE4EjNS0_10empty_typeEbEEZZNS1_14partition_implILS8_4ELb0ES6_15HIP_vector_typeIjLj2EENS0_17counting_iteratorIjlEEPS9_SG_NS0_5tupleIJPjSI_NS0_16reverse_iteratorISI_EEEEENSH_IJSG_SG_SG_EEES9_SI_JZNS1_25segmented_radix_sort_implINS0_14default_configELb1EPKlPlSQ_SR_N2at6native12_GLOBAL__N_18offset_tEEE10hipError_tPvRmT1_PNSt15iterator_traitsISZ_E10value_typeET2_T3_PNS10_IS15_E10value_typeET4_jRbjT5_S1B_jjP12ihipStream_tbEUljE_ZNSN_ISO_Lb1ESQ_SR_SQ_SR_SV_EESW_SX_SY_SZ_S13_S14_S15_S18_S19_jS1A_jS1B_S1B_jjS1D_bEUljE0_EEESW_SX_SY_S15_S19_S1B_T6_T7_T9_mT8_S1D_bDpT10_ENKUlT_T0_E_clISt17integral_constantIbLb0EES1R_EEDaS1M_S1N_EUlS1M_E_NS1_11comp_targetILNS1_3genE5ELNS1_11target_archE942ELNS1_3gpuE9ELNS1_3repE0EEENS1_30default_config_static_selectorELNS0_4arch9wavefront6targetE1EEEvSZ_
                                        ; -- End function
	.set _ZN7rocprim17ROCPRIM_400000_NS6detail17trampoline_kernelINS0_13select_configILj256ELj13ELNS0_17block_load_methodE3ELS4_3ELS4_3ELNS0_20block_scan_algorithmE0ELj4294967295EEENS1_25partition_config_selectorILNS1_17partition_subalgoE4EjNS0_10empty_typeEbEEZZNS1_14partition_implILS8_4ELb0ES6_15HIP_vector_typeIjLj2EENS0_17counting_iteratorIjlEEPS9_SG_NS0_5tupleIJPjSI_NS0_16reverse_iteratorISI_EEEEENSH_IJSG_SG_SG_EEES9_SI_JZNS1_25segmented_radix_sort_implINS0_14default_configELb1EPKlPlSQ_SR_N2at6native12_GLOBAL__N_18offset_tEEE10hipError_tPvRmT1_PNSt15iterator_traitsISZ_E10value_typeET2_T3_PNS10_IS15_E10value_typeET4_jRbjT5_S1B_jjP12ihipStream_tbEUljE_ZNSN_ISO_Lb1ESQ_SR_SQ_SR_SV_EESW_SX_SY_SZ_S13_S14_S15_S18_S19_jS1A_jS1B_S1B_jjS1D_bEUljE0_EEESW_SX_SY_S15_S19_S1B_T6_T7_T9_mT8_S1D_bDpT10_ENKUlT_T0_E_clISt17integral_constantIbLb0EES1R_EEDaS1M_S1N_EUlS1M_E_NS1_11comp_targetILNS1_3genE5ELNS1_11target_archE942ELNS1_3gpuE9ELNS1_3repE0EEENS1_30default_config_static_selectorELNS0_4arch9wavefront6targetE1EEEvSZ_.num_vgpr, 0
	.set _ZN7rocprim17ROCPRIM_400000_NS6detail17trampoline_kernelINS0_13select_configILj256ELj13ELNS0_17block_load_methodE3ELS4_3ELS4_3ELNS0_20block_scan_algorithmE0ELj4294967295EEENS1_25partition_config_selectorILNS1_17partition_subalgoE4EjNS0_10empty_typeEbEEZZNS1_14partition_implILS8_4ELb0ES6_15HIP_vector_typeIjLj2EENS0_17counting_iteratorIjlEEPS9_SG_NS0_5tupleIJPjSI_NS0_16reverse_iteratorISI_EEEEENSH_IJSG_SG_SG_EEES9_SI_JZNS1_25segmented_radix_sort_implINS0_14default_configELb1EPKlPlSQ_SR_N2at6native12_GLOBAL__N_18offset_tEEE10hipError_tPvRmT1_PNSt15iterator_traitsISZ_E10value_typeET2_T3_PNS10_IS15_E10value_typeET4_jRbjT5_S1B_jjP12ihipStream_tbEUljE_ZNSN_ISO_Lb1ESQ_SR_SQ_SR_SV_EESW_SX_SY_SZ_S13_S14_S15_S18_S19_jS1A_jS1B_S1B_jjS1D_bEUljE0_EEESW_SX_SY_S15_S19_S1B_T6_T7_T9_mT8_S1D_bDpT10_ENKUlT_T0_E_clISt17integral_constantIbLb0EES1R_EEDaS1M_S1N_EUlS1M_E_NS1_11comp_targetILNS1_3genE5ELNS1_11target_archE942ELNS1_3gpuE9ELNS1_3repE0EEENS1_30default_config_static_selectorELNS0_4arch9wavefront6targetE1EEEvSZ_.num_agpr, 0
	.set _ZN7rocprim17ROCPRIM_400000_NS6detail17trampoline_kernelINS0_13select_configILj256ELj13ELNS0_17block_load_methodE3ELS4_3ELS4_3ELNS0_20block_scan_algorithmE0ELj4294967295EEENS1_25partition_config_selectorILNS1_17partition_subalgoE4EjNS0_10empty_typeEbEEZZNS1_14partition_implILS8_4ELb0ES6_15HIP_vector_typeIjLj2EENS0_17counting_iteratorIjlEEPS9_SG_NS0_5tupleIJPjSI_NS0_16reverse_iteratorISI_EEEEENSH_IJSG_SG_SG_EEES9_SI_JZNS1_25segmented_radix_sort_implINS0_14default_configELb1EPKlPlSQ_SR_N2at6native12_GLOBAL__N_18offset_tEEE10hipError_tPvRmT1_PNSt15iterator_traitsISZ_E10value_typeET2_T3_PNS10_IS15_E10value_typeET4_jRbjT5_S1B_jjP12ihipStream_tbEUljE_ZNSN_ISO_Lb1ESQ_SR_SQ_SR_SV_EESW_SX_SY_SZ_S13_S14_S15_S18_S19_jS1A_jS1B_S1B_jjS1D_bEUljE0_EEESW_SX_SY_S15_S19_S1B_T6_T7_T9_mT8_S1D_bDpT10_ENKUlT_T0_E_clISt17integral_constantIbLb0EES1R_EEDaS1M_S1N_EUlS1M_E_NS1_11comp_targetILNS1_3genE5ELNS1_11target_archE942ELNS1_3gpuE9ELNS1_3repE0EEENS1_30default_config_static_selectorELNS0_4arch9wavefront6targetE1EEEvSZ_.numbered_sgpr, 0
	.set _ZN7rocprim17ROCPRIM_400000_NS6detail17trampoline_kernelINS0_13select_configILj256ELj13ELNS0_17block_load_methodE3ELS4_3ELS4_3ELNS0_20block_scan_algorithmE0ELj4294967295EEENS1_25partition_config_selectorILNS1_17partition_subalgoE4EjNS0_10empty_typeEbEEZZNS1_14partition_implILS8_4ELb0ES6_15HIP_vector_typeIjLj2EENS0_17counting_iteratorIjlEEPS9_SG_NS0_5tupleIJPjSI_NS0_16reverse_iteratorISI_EEEEENSH_IJSG_SG_SG_EEES9_SI_JZNS1_25segmented_radix_sort_implINS0_14default_configELb1EPKlPlSQ_SR_N2at6native12_GLOBAL__N_18offset_tEEE10hipError_tPvRmT1_PNSt15iterator_traitsISZ_E10value_typeET2_T3_PNS10_IS15_E10value_typeET4_jRbjT5_S1B_jjP12ihipStream_tbEUljE_ZNSN_ISO_Lb1ESQ_SR_SQ_SR_SV_EESW_SX_SY_SZ_S13_S14_S15_S18_S19_jS1A_jS1B_S1B_jjS1D_bEUljE0_EEESW_SX_SY_S15_S19_S1B_T6_T7_T9_mT8_S1D_bDpT10_ENKUlT_T0_E_clISt17integral_constantIbLb0EES1R_EEDaS1M_S1N_EUlS1M_E_NS1_11comp_targetILNS1_3genE5ELNS1_11target_archE942ELNS1_3gpuE9ELNS1_3repE0EEENS1_30default_config_static_selectorELNS0_4arch9wavefront6targetE1EEEvSZ_.num_named_barrier, 0
	.set _ZN7rocprim17ROCPRIM_400000_NS6detail17trampoline_kernelINS0_13select_configILj256ELj13ELNS0_17block_load_methodE3ELS4_3ELS4_3ELNS0_20block_scan_algorithmE0ELj4294967295EEENS1_25partition_config_selectorILNS1_17partition_subalgoE4EjNS0_10empty_typeEbEEZZNS1_14partition_implILS8_4ELb0ES6_15HIP_vector_typeIjLj2EENS0_17counting_iteratorIjlEEPS9_SG_NS0_5tupleIJPjSI_NS0_16reverse_iteratorISI_EEEEENSH_IJSG_SG_SG_EEES9_SI_JZNS1_25segmented_radix_sort_implINS0_14default_configELb1EPKlPlSQ_SR_N2at6native12_GLOBAL__N_18offset_tEEE10hipError_tPvRmT1_PNSt15iterator_traitsISZ_E10value_typeET2_T3_PNS10_IS15_E10value_typeET4_jRbjT5_S1B_jjP12ihipStream_tbEUljE_ZNSN_ISO_Lb1ESQ_SR_SQ_SR_SV_EESW_SX_SY_SZ_S13_S14_S15_S18_S19_jS1A_jS1B_S1B_jjS1D_bEUljE0_EEESW_SX_SY_S15_S19_S1B_T6_T7_T9_mT8_S1D_bDpT10_ENKUlT_T0_E_clISt17integral_constantIbLb0EES1R_EEDaS1M_S1N_EUlS1M_E_NS1_11comp_targetILNS1_3genE5ELNS1_11target_archE942ELNS1_3gpuE9ELNS1_3repE0EEENS1_30default_config_static_selectorELNS0_4arch9wavefront6targetE1EEEvSZ_.private_seg_size, 0
	.set _ZN7rocprim17ROCPRIM_400000_NS6detail17trampoline_kernelINS0_13select_configILj256ELj13ELNS0_17block_load_methodE3ELS4_3ELS4_3ELNS0_20block_scan_algorithmE0ELj4294967295EEENS1_25partition_config_selectorILNS1_17partition_subalgoE4EjNS0_10empty_typeEbEEZZNS1_14partition_implILS8_4ELb0ES6_15HIP_vector_typeIjLj2EENS0_17counting_iteratorIjlEEPS9_SG_NS0_5tupleIJPjSI_NS0_16reverse_iteratorISI_EEEEENSH_IJSG_SG_SG_EEES9_SI_JZNS1_25segmented_radix_sort_implINS0_14default_configELb1EPKlPlSQ_SR_N2at6native12_GLOBAL__N_18offset_tEEE10hipError_tPvRmT1_PNSt15iterator_traitsISZ_E10value_typeET2_T3_PNS10_IS15_E10value_typeET4_jRbjT5_S1B_jjP12ihipStream_tbEUljE_ZNSN_ISO_Lb1ESQ_SR_SQ_SR_SV_EESW_SX_SY_SZ_S13_S14_S15_S18_S19_jS1A_jS1B_S1B_jjS1D_bEUljE0_EEESW_SX_SY_S15_S19_S1B_T6_T7_T9_mT8_S1D_bDpT10_ENKUlT_T0_E_clISt17integral_constantIbLb0EES1R_EEDaS1M_S1N_EUlS1M_E_NS1_11comp_targetILNS1_3genE5ELNS1_11target_archE942ELNS1_3gpuE9ELNS1_3repE0EEENS1_30default_config_static_selectorELNS0_4arch9wavefront6targetE1EEEvSZ_.uses_vcc, 0
	.set _ZN7rocprim17ROCPRIM_400000_NS6detail17trampoline_kernelINS0_13select_configILj256ELj13ELNS0_17block_load_methodE3ELS4_3ELS4_3ELNS0_20block_scan_algorithmE0ELj4294967295EEENS1_25partition_config_selectorILNS1_17partition_subalgoE4EjNS0_10empty_typeEbEEZZNS1_14partition_implILS8_4ELb0ES6_15HIP_vector_typeIjLj2EENS0_17counting_iteratorIjlEEPS9_SG_NS0_5tupleIJPjSI_NS0_16reverse_iteratorISI_EEEEENSH_IJSG_SG_SG_EEES9_SI_JZNS1_25segmented_radix_sort_implINS0_14default_configELb1EPKlPlSQ_SR_N2at6native12_GLOBAL__N_18offset_tEEE10hipError_tPvRmT1_PNSt15iterator_traitsISZ_E10value_typeET2_T3_PNS10_IS15_E10value_typeET4_jRbjT5_S1B_jjP12ihipStream_tbEUljE_ZNSN_ISO_Lb1ESQ_SR_SQ_SR_SV_EESW_SX_SY_SZ_S13_S14_S15_S18_S19_jS1A_jS1B_S1B_jjS1D_bEUljE0_EEESW_SX_SY_S15_S19_S1B_T6_T7_T9_mT8_S1D_bDpT10_ENKUlT_T0_E_clISt17integral_constantIbLb0EES1R_EEDaS1M_S1N_EUlS1M_E_NS1_11comp_targetILNS1_3genE5ELNS1_11target_archE942ELNS1_3gpuE9ELNS1_3repE0EEENS1_30default_config_static_selectorELNS0_4arch9wavefront6targetE1EEEvSZ_.uses_flat_scratch, 0
	.set _ZN7rocprim17ROCPRIM_400000_NS6detail17trampoline_kernelINS0_13select_configILj256ELj13ELNS0_17block_load_methodE3ELS4_3ELS4_3ELNS0_20block_scan_algorithmE0ELj4294967295EEENS1_25partition_config_selectorILNS1_17partition_subalgoE4EjNS0_10empty_typeEbEEZZNS1_14partition_implILS8_4ELb0ES6_15HIP_vector_typeIjLj2EENS0_17counting_iteratorIjlEEPS9_SG_NS0_5tupleIJPjSI_NS0_16reverse_iteratorISI_EEEEENSH_IJSG_SG_SG_EEES9_SI_JZNS1_25segmented_radix_sort_implINS0_14default_configELb1EPKlPlSQ_SR_N2at6native12_GLOBAL__N_18offset_tEEE10hipError_tPvRmT1_PNSt15iterator_traitsISZ_E10value_typeET2_T3_PNS10_IS15_E10value_typeET4_jRbjT5_S1B_jjP12ihipStream_tbEUljE_ZNSN_ISO_Lb1ESQ_SR_SQ_SR_SV_EESW_SX_SY_SZ_S13_S14_S15_S18_S19_jS1A_jS1B_S1B_jjS1D_bEUljE0_EEESW_SX_SY_S15_S19_S1B_T6_T7_T9_mT8_S1D_bDpT10_ENKUlT_T0_E_clISt17integral_constantIbLb0EES1R_EEDaS1M_S1N_EUlS1M_E_NS1_11comp_targetILNS1_3genE5ELNS1_11target_archE942ELNS1_3gpuE9ELNS1_3repE0EEENS1_30default_config_static_selectorELNS0_4arch9wavefront6targetE1EEEvSZ_.has_dyn_sized_stack, 0
	.set _ZN7rocprim17ROCPRIM_400000_NS6detail17trampoline_kernelINS0_13select_configILj256ELj13ELNS0_17block_load_methodE3ELS4_3ELS4_3ELNS0_20block_scan_algorithmE0ELj4294967295EEENS1_25partition_config_selectorILNS1_17partition_subalgoE4EjNS0_10empty_typeEbEEZZNS1_14partition_implILS8_4ELb0ES6_15HIP_vector_typeIjLj2EENS0_17counting_iteratorIjlEEPS9_SG_NS0_5tupleIJPjSI_NS0_16reverse_iteratorISI_EEEEENSH_IJSG_SG_SG_EEES9_SI_JZNS1_25segmented_radix_sort_implINS0_14default_configELb1EPKlPlSQ_SR_N2at6native12_GLOBAL__N_18offset_tEEE10hipError_tPvRmT1_PNSt15iterator_traitsISZ_E10value_typeET2_T3_PNS10_IS15_E10value_typeET4_jRbjT5_S1B_jjP12ihipStream_tbEUljE_ZNSN_ISO_Lb1ESQ_SR_SQ_SR_SV_EESW_SX_SY_SZ_S13_S14_S15_S18_S19_jS1A_jS1B_S1B_jjS1D_bEUljE0_EEESW_SX_SY_S15_S19_S1B_T6_T7_T9_mT8_S1D_bDpT10_ENKUlT_T0_E_clISt17integral_constantIbLb0EES1R_EEDaS1M_S1N_EUlS1M_E_NS1_11comp_targetILNS1_3genE5ELNS1_11target_archE942ELNS1_3gpuE9ELNS1_3repE0EEENS1_30default_config_static_selectorELNS0_4arch9wavefront6targetE1EEEvSZ_.has_recursion, 0
	.set _ZN7rocprim17ROCPRIM_400000_NS6detail17trampoline_kernelINS0_13select_configILj256ELj13ELNS0_17block_load_methodE3ELS4_3ELS4_3ELNS0_20block_scan_algorithmE0ELj4294967295EEENS1_25partition_config_selectorILNS1_17partition_subalgoE4EjNS0_10empty_typeEbEEZZNS1_14partition_implILS8_4ELb0ES6_15HIP_vector_typeIjLj2EENS0_17counting_iteratorIjlEEPS9_SG_NS0_5tupleIJPjSI_NS0_16reverse_iteratorISI_EEEEENSH_IJSG_SG_SG_EEES9_SI_JZNS1_25segmented_radix_sort_implINS0_14default_configELb1EPKlPlSQ_SR_N2at6native12_GLOBAL__N_18offset_tEEE10hipError_tPvRmT1_PNSt15iterator_traitsISZ_E10value_typeET2_T3_PNS10_IS15_E10value_typeET4_jRbjT5_S1B_jjP12ihipStream_tbEUljE_ZNSN_ISO_Lb1ESQ_SR_SQ_SR_SV_EESW_SX_SY_SZ_S13_S14_S15_S18_S19_jS1A_jS1B_S1B_jjS1D_bEUljE0_EEESW_SX_SY_S15_S19_S1B_T6_T7_T9_mT8_S1D_bDpT10_ENKUlT_T0_E_clISt17integral_constantIbLb0EES1R_EEDaS1M_S1N_EUlS1M_E_NS1_11comp_targetILNS1_3genE5ELNS1_11target_archE942ELNS1_3gpuE9ELNS1_3repE0EEENS1_30default_config_static_selectorELNS0_4arch9wavefront6targetE1EEEvSZ_.has_indirect_call, 0
	.section	.AMDGPU.csdata,"",@progbits
; Kernel info:
; codeLenInByte = 0
; TotalNumSgprs: 4
; NumVgprs: 0
; ScratchSize: 0
; MemoryBound: 0
; FloatMode: 240
; IeeeMode: 1
; LDSByteSize: 0 bytes/workgroup (compile time only)
; SGPRBlocks: 0
; VGPRBlocks: 0
; NumSGPRsForWavesPerEU: 4
; NumVGPRsForWavesPerEU: 1
; Occupancy: 10
; WaveLimiterHint : 0
; COMPUTE_PGM_RSRC2:SCRATCH_EN: 0
; COMPUTE_PGM_RSRC2:USER_SGPR: 6
; COMPUTE_PGM_RSRC2:TRAP_HANDLER: 0
; COMPUTE_PGM_RSRC2:TGID_X_EN: 1
; COMPUTE_PGM_RSRC2:TGID_Y_EN: 0
; COMPUTE_PGM_RSRC2:TGID_Z_EN: 0
; COMPUTE_PGM_RSRC2:TIDIG_COMP_CNT: 0
	.section	.text._ZN7rocprim17ROCPRIM_400000_NS6detail17trampoline_kernelINS0_13select_configILj256ELj13ELNS0_17block_load_methodE3ELS4_3ELS4_3ELNS0_20block_scan_algorithmE0ELj4294967295EEENS1_25partition_config_selectorILNS1_17partition_subalgoE4EjNS0_10empty_typeEbEEZZNS1_14partition_implILS8_4ELb0ES6_15HIP_vector_typeIjLj2EENS0_17counting_iteratorIjlEEPS9_SG_NS0_5tupleIJPjSI_NS0_16reverse_iteratorISI_EEEEENSH_IJSG_SG_SG_EEES9_SI_JZNS1_25segmented_radix_sort_implINS0_14default_configELb1EPKlPlSQ_SR_N2at6native12_GLOBAL__N_18offset_tEEE10hipError_tPvRmT1_PNSt15iterator_traitsISZ_E10value_typeET2_T3_PNS10_IS15_E10value_typeET4_jRbjT5_S1B_jjP12ihipStream_tbEUljE_ZNSN_ISO_Lb1ESQ_SR_SQ_SR_SV_EESW_SX_SY_SZ_S13_S14_S15_S18_S19_jS1A_jS1B_S1B_jjS1D_bEUljE0_EEESW_SX_SY_S15_S19_S1B_T6_T7_T9_mT8_S1D_bDpT10_ENKUlT_T0_E_clISt17integral_constantIbLb0EES1R_EEDaS1M_S1N_EUlS1M_E_NS1_11comp_targetILNS1_3genE4ELNS1_11target_archE910ELNS1_3gpuE8ELNS1_3repE0EEENS1_30default_config_static_selectorELNS0_4arch9wavefront6targetE1EEEvSZ_,"axG",@progbits,_ZN7rocprim17ROCPRIM_400000_NS6detail17trampoline_kernelINS0_13select_configILj256ELj13ELNS0_17block_load_methodE3ELS4_3ELS4_3ELNS0_20block_scan_algorithmE0ELj4294967295EEENS1_25partition_config_selectorILNS1_17partition_subalgoE4EjNS0_10empty_typeEbEEZZNS1_14partition_implILS8_4ELb0ES6_15HIP_vector_typeIjLj2EENS0_17counting_iteratorIjlEEPS9_SG_NS0_5tupleIJPjSI_NS0_16reverse_iteratorISI_EEEEENSH_IJSG_SG_SG_EEES9_SI_JZNS1_25segmented_radix_sort_implINS0_14default_configELb1EPKlPlSQ_SR_N2at6native12_GLOBAL__N_18offset_tEEE10hipError_tPvRmT1_PNSt15iterator_traitsISZ_E10value_typeET2_T3_PNS10_IS15_E10value_typeET4_jRbjT5_S1B_jjP12ihipStream_tbEUljE_ZNSN_ISO_Lb1ESQ_SR_SQ_SR_SV_EESW_SX_SY_SZ_S13_S14_S15_S18_S19_jS1A_jS1B_S1B_jjS1D_bEUljE0_EEESW_SX_SY_S15_S19_S1B_T6_T7_T9_mT8_S1D_bDpT10_ENKUlT_T0_E_clISt17integral_constantIbLb0EES1R_EEDaS1M_S1N_EUlS1M_E_NS1_11comp_targetILNS1_3genE4ELNS1_11target_archE910ELNS1_3gpuE8ELNS1_3repE0EEENS1_30default_config_static_selectorELNS0_4arch9wavefront6targetE1EEEvSZ_,comdat
	.globl	_ZN7rocprim17ROCPRIM_400000_NS6detail17trampoline_kernelINS0_13select_configILj256ELj13ELNS0_17block_load_methodE3ELS4_3ELS4_3ELNS0_20block_scan_algorithmE0ELj4294967295EEENS1_25partition_config_selectorILNS1_17partition_subalgoE4EjNS0_10empty_typeEbEEZZNS1_14partition_implILS8_4ELb0ES6_15HIP_vector_typeIjLj2EENS0_17counting_iteratorIjlEEPS9_SG_NS0_5tupleIJPjSI_NS0_16reverse_iteratorISI_EEEEENSH_IJSG_SG_SG_EEES9_SI_JZNS1_25segmented_radix_sort_implINS0_14default_configELb1EPKlPlSQ_SR_N2at6native12_GLOBAL__N_18offset_tEEE10hipError_tPvRmT1_PNSt15iterator_traitsISZ_E10value_typeET2_T3_PNS10_IS15_E10value_typeET4_jRbjT5_S1B_jjP12ihipStream_tbEUljE_ZNSN_ISO_Lb1ESQ_SR_SQ_SR_SV_EESW_SX_SY_SZ_S13_S14_S15_S18_S19_jS1A_jS1B_S1B_jjS1D_bEUljE0_EEESW_SX_SY_S15_S19_S1B_T6_T7_T9_mT8_S1D_bDpT10_ENKUlT_T0_E_clISt17integral_constantIbLb0EES1R_EEDaS1M_S1N_EUlS1M_E_NS1_11comp_targetILNS1_3genE4ELNS1_11target_archE910ELNS1_3gpuE8ELNS1_3repE0EEENS1_30default_config_static_selectorELNS0_4arch9wavefront6targetE1EEEvSZ_ ; -- Begin function _ZN7rocprim17ROCPRIM_400000_NS6detail17trampoline_kernelINS0_13select_configILj256ELj13ELNS0_17block_load_methodE3ELS4_3ELS4_3ELNS0_20block_scan_algorithmE0ELj4294967295EEENS1_25partition_config_selectorILNS1_17partition_subalgoE4EjNS0_10empty_typeEbEEZZNS1_14partition_implILS8_4ELb0ES6_15HIP_vector_typeIjLj2EENS0_17counting_iteratorIjlEEPS9_SG_NS0_5tupleIJPjSI_NS0_16reverse_iteratorISI_EEEEENSH_IJSG_SG_SG_EEES9_SI_JZNS1_25segmented_radix_sort_implINS0_14default_configELb1EPKlPlSQ_SR_N2at6native12_GLOBAL__N_18offset_tEEE10hipError_tPvRmT1_PNSt15iterator_traitsISZ_E10value_typeET2_T3_PNS10_IS15_E10value_typeET4_jRbjT5_S1B_jjP12ihipStream_tbEUljE_ZNSN_ISO_Lb1ESQ_SR_SQ_SR_SV_EESW_SX_SY_SZ_S13_S14_S15_S18_S19_jS1A_jS1B_S1B_jjS1D_bEUljE0_EEESW_SX_SY_S15_S19_S1B_T6_T7_T9_mT8_S1D_bDpT10_ENKUlT_T0_E_clISt17integral_constantIbLb0EES1R_EEDaS1M_S1N_EUlS1M_E_NS1_11comp_targetILNS1_3genE4ELNS1_11target_archE910ELNS1_3gpuE8ELNS1_3repE0EEENS1_30default_config_static_selectorELNS0_4arch9wavefront6targetE1EEEvSZ_
	.p2align	8
	.type	_ZN7rocprim17ROCPRIM_400000_NS6detail17trampoline_kernelINS0_13select_configILj256ELj13ELNS0_17block_load_methodE3ELS4_3ELS4_3ELNS0_20block_scan_algorithmE0ELj4294967295EEENS1_25partition_config_selectorILNS1_17partition_subalgoE4EjNS0_10empty_typeEbEEZZNS1_14partition_implILS8_4ELb0ES6_15HIP_vector_typeIjLj2EENS0_17counting_iteratorIjlEEPS9_SG_NS0_5tupleIJPjSI_NS0_16reverse_iteratorISI_EEEEENSH_IJSG_SG_SG_EEES9_SI_JZNS1_25segmented_radix_sort_implINS0_14default_configELb1EPKlPlSQ_SR_N2at6native12_GLOBAL__N_18offset_tEEE10hipError_tPvRmT1_PNSt15iterator_traitsISZ_E10value_typeET2_T3_PNS10_IS15_E10value_typeET4_jRbjT5_S1B_jjP12ihipStream_tbEUljE_ZNSN_ISO_Lb1ESQ_SR_SQ_SR_SV_EESW_SX_SY_SZ_S13_S14_S15_S18_S19_jS1A_jS1B_S1B_jjS1D_bEUljE0_EEESW_SX_SY_S15_S19_S1B_T6_T7_T9_mT8_S1D_bDpT10_ENKUlT_T0_E_clISt17integral_constantIbLb0EES1R_EEDaS1M_S1N_EUlS1M_E_NS1_11comp_targetILNS1_3genE4ELNS1_11target_archE910ELNS1_3gpuE8ELNS1_3repE0EEENS1_30default_config_static_selectorELNS0_4arch9wavefront6targetE1EEEvSZ_,@function
_ZN7rocprim17ROCPRIM_400000_NS6detail17trampoline_kernelINS0_13select_configILj256ELj13ELNS0_17block_load_methodE3ELS4_3ELS4_3ELNS0_20block_scan_algorithmE0ELj4294967295EEENS1_25partition_config_selectorILNS1_17partition_subalgoE4EjNS0_10empty_typeEbEEZZNS1_14partition_implILS8_4ELb0ES6_15HIP_vector_typeIjLj2EENS0_17counting_iteratorIjlEEPS9_SG_NS0_5tupleIJPjSI_NS0_16reverse_iteratorISI_EEEEENSH_IJSG_SG_SG_EEES9_SI_JZNS1_25segmented_radix_sort_implINS0_14default_configELb1EPKlPlSQ_SR_N2at6native12_GLOBAL__N_18offset_tEEE10hipError_tPvRmT1_PNSt15iterator_traitsISZ_E10value_typeET2_T3_PNS10_IS15_E10value_typeET4_jRbjT5_S1B_jjP12ihipStream_tbEUljE_ZNSN_ISO_Lb1ESQ_SR_SQ_SR_SV_EESW_SX_SY_SZ_S13_S14_S15_S18_S19_jS1A_jS1B_S1B_jjS1D_bEUljE0_EEESW_SX_SY_S15_S19_S1B_T6_T7_T9_mT8_S1D_bDpT10_ENKUlT_T0_E_clISt17integral_constantIbLb0EES1R_EEDaS1M_S1N_EUlS1M_E_NS1_11comp_targetILNS1_3genE4ELNS1_11target_archE910ELNS1_3gpuE8ELNS1_3repE0EEENS1_30default_config_static_selectorELNS0_4arch9wavefront6targetE1EEEvSZ_: ; @_ZN7rocprim17ROCPRIM_400000_NS6detail17trampoline_kernelINS0_13select_configILj256ELj13ELNS0_17block_load_methodE3ELS4_3ELS4_3ELNS0_20block_scan_algorithmE0ELj4294967295EEENS1_25partition_config_selectorILNS1_17partition_subalgoE4EjNS0_10empty_typeEbEEZZNS1_14partition_implILS8_4ELb0ES6_15HIP_vector_typeIjLj2EENS0_17counting_iteratorIjlEEPS9_SG_NS0_5tupleIJPjSI_NS0_16reverse_iteratorISI_EEEEENSH_IJSG_SG_SG_EEES9_SI_JZNS1_25segmented_radix_sort_implINS0_14default_configELb1EPKlPlSQ_SR_N2at6native12_GLOBAL__N_18offset_tEEE10hipError_tPvRmT1_PNSt15iterator_traitsISZ_E10value_typeET2_T3_PNS10_IS15_E10value_typeET4_jRbjT5_S1B_jjP12ihipStream_tbEUljE_ZNSN_ISO_Lb1ESQ_SR_SQ_SR_SV_EESW_SX_SY_SZ_S13_S14_S15_S18_S19_jS1A_jS1B_S1B_jjS1D_bEUljE0_EEESW_SX_SY_S15_S19_S1B_T6_T7_T9_mT8_S1D_bDpT10_ENKUlT_T0_E_clISt17integral_constantIbLb0EES1R_EEDaS1M_S1N_EUlS1M_E_NS1_11comp_targetILNS1_3genE4ELNS1_11target_archE910ELNS1_3gpuE8ELNS1_3repE0EEENS1_30default_config_static_selectorELNS0_4arch9wavefront6targetE1EEEvSZ_
; %bb.0:
	.section	.rodata,"a",@progbits
	.p2align	6, 0x0
	.amdhsa_kernel _ZN7rocprim17ROCPRIM_400000_NS6detail17trampoline_kernelINS0_13select_configILj256ELj13ELNS0_17block_load_methodE3ELS4_3ELS4_3ELNS0_20block_scan_algorithmE0ELj4294967295EEENS1_25partition_config_selectorILNS1_17partition_subalgoE4EjNS0_10empty_typeEbEEZZNS1_14partition_implILS8_4ELb0ES6_15HIP_vector_typeIjLj2EENS0_17counting_iteratorIjlEEPS9_SG_NS0_5tupleIJPjSI_NS0_16reverse_iteratorISI_EEEEENSH_IJSG_SG_SG_EEES9_SI_JZNS1_25segmented_radix_sort_implINS0_14default_configELb1EPKlPlSQ_SR_N2at6native12_GLOBAL__N_18offset_tEEE10hipError_tPvRmT1_PNSt15iterator_traitsISZ_E10value_typeET2_T3_PNS10_IS15_E10value_typeET4_jRbjT5_S1B_jjP12ihipStream_tbEUljE_ZNSN_ISO_Lb1ESQ_SR_SQ_SR_SV_EESW_SX_SY_SZ_S13_S14_S15_S18_S19_jS1A_jS1B_S1B_jjS1D_bEUljE0_EEESW_SX_SY_S15_S19_S1B_T6_T7_T9_mT8_S1D_bDpT10_ENKUlT_T0_E_clISt17integral_constantIbLb0EES1R_EEDaS1M_S1N_EUlS1M_E_NS1_11comp_targetILNS1_3genE4ELNS1_11target_archE910ELNS1_3gpuE8ELNS1_3repE0EEENS1_30default_config_static_selectorELNS0_4arch9wavefront6targetE1EEEvSZ_
		.amdhsa_group_segment_fixed_size 0
		.amdhsa_private_segment_fixed_size 0
		.amdhsa_kernarg_size 176
		.amdhsa_user_sgpr_count 6
		.amdhsa_user_sgpr_private_segment_buffer 1
		.amdhsa_user_sgpr_dispatch_ptr 0
		.amdhsa_user_sgpr_queue_ptr 0
		.amdhsa_user_sgpr_kernarg_segment_ptr 1
		.amdhsa_user_sgpr_dispatch_id 0
		.amdhsa_user_sgpr_flat_scratch_init 0
		.amdhsa_user_sgpr_private_segment_size 0
		.amdhsa_uses_dynamic_stack 0
		.amdhsa_system_sgpr_private_segment_wavefront_offset 0
		.amdhsa_system_sgpr_workgroup_id_x 1
		.amdhsa_system_sgpr_workgroup_id_y 0
		.amdhsa_system_sgpr_workgroup_id_z 0
		.amdhsa_system_sgpr_workgroup_info 0
		.amdhsa_system_vgpr_workitem_id 0
		.amdhsa_next_free_vgpr 1
		.amdhsa_next_free_sgpr 0
		.amdhsa_reserve_vcc 0
		.amdhsa_reserve_flat_scratch 0
		.amdhsa_float_round_mode_32 0
		.amdhsa_float_round_mode_16_64 0
		.amdhsa_float_denorm_mode_32 3
		.amdhsa_float_denorm_mode_16_64 3
		.amdhsa_dx10_clamp 1
		.amdhsa_ieee_mode 1
		.amdhsa_fp16_overflow 0
		.amdhsa_exception_fp_ieee_invalid_op 0
		.amdhsa_exception_fp_denorm_src 0
		.amdhsa_exception_fp_ieee_div_zero 0
		.amdhsa_exception_fp_ieee_overflow 0
		.amdhsa_exception_fp_ieee_underflow 0
		.amdhsa_exception_fp_ieee_inexact 0
		.amdhsa_exception_int_div_zero 0
	.end_amdhsa_kernel
	.section	.text._ZN7rocprim17ROCPRIM_400000_NS6detail17trampoline_kernelINS0_13select_configILj256ELj13ELNS0_17block_load_methodE3ELS4_3ELS4_3ELNS0_20block_scan_algorithmE0ELj4294967295EEENS1_25partition_config_selectorILNS1_17partition_subalgoE4EjNS0_10empty_typeEbEEZZNS1_14partition_implILS8_4ELb0ES6_15HIP_vector_typeIjLj2EENS0_17counting_iteratorIjlEEPS9_SG_NS0_5tupleIJPjSI_NS0_16reverse_iteratorISI_EEEEENSH_IJSG_SG_SG_EEES9_SI_JZNS1_25segmented_radix_sort_implINS0_14default_configELb1EPKlPlSQ_SR_N2at6native12_GLOBAL__N_18offset_tEEE10hipError_tPvRmT1_PNSt15iterator_traitsISZ_E10value_typeET2_T3_PNS10_IS15_E10value_typeET4_jRbjT5_S1B_jjP12ihipStream_tbEUljE_ZNSN_ISO_Lb1ESQ_SR_SQ_SR_SV_EESW_SX_SY_SZ_S13_S14_S15_S18_S19_jS1A_jS1B_S1B_jjS1D_bEUljE0_EEESW_SX_SY_S15_S19_S1B_T6_T7_T9_mT8_S1D_bDpT10_ENKUlT_T0_E_clISt17integral_constantIbLb0EES1R_EEDaS1M_S1N_EUlS1M_E_NS1_11comp_targetILNS1_3genE4ELNS1_11target_archE910ELNS1_3gpuE8ELNS1_3repE0EEENS1_30default_config_static_selectorELNS0_4arch9wavefront6targetE1EEEvSZ_,"axG",@progbits,_ZN7rocprim17ROCPRIM_400000_NS6detail17trampoline_kernelINS0_13select_configILj256ELj13ELNS0_17block_load_methodE3ELS4_3ELS4_3ELNS0_20block_scan_algorithmE0ELj4294967295EEENS1_25partition_config_selectorILNS1_17partition_subalgoE4EjNS0_10empty_typeEbEEZZNS1_14partition_implILS8_4ELb0ES6_15HIP_vector_typeIjLj2EENS0_17counting_iteratorIjlEEPS9_SG_NS0_5tupleIJPjSI_NS0_16reverse_iteratorISI_EEEEENSH_IJSG_SG_SG_EEES9_SI_JZNS1_25segmented_radix_sort_implINS0_14default_configELb1EPKlPlSQ_SR_N2at6native12_GLOBAL__N_18offset_tEEE10hipError_tPvRmT1_PNSt15iterator_traitsISZ_E10value_typeET2_T3_PNS10_IS15_E10value_typeET4_jRbjT5_S1B_jjP12ihipStream_tbEUljE_ZNSN_ISO_Lb1ESQ_SR_SQ_SR_SV_EESW_SX_SY_SZ_S13_S14_S15_S18_S19_jS1A_jS1B_S1B_jjS1D_bEUljE0_EEESW_SX_SY_S15_S19_S1B_T6_T7_T9_mT8_S1D_bDpT10_ENKUlT_T0_E_clISt17integral_constantIbLb0EES1R_EEDaS1M_S1N_EUlS1M_E_NS1_11comp_targetILNS1_3genE4ELNS1_11target_archE910ELNS1_3gpuE8ELNS1_3repE0EEENS1_30default_config_static_selectorELNS0_4arch9wavefront6targetE1EEEvSZ_,comdat
.Lfunc_end642:
	.size	_ZN7rocprim17ROCPRIM_400000_NS6detail17trampoline_kernelINS0_13select_configILj256ELj13ELNS0_17block_load_methodE3ELS4_3ELS4_3ELNS0_20block_scan_algorithmE0ELj4294967295EEENS1_25partition_config_selectorILNS1_17partition_subalgoE4EjNS0_10empty_typeEbEEZZNS1_14partition_implILS8_4ELb0ES6_15HIP_vector_typeIjLj2EENS0_17counting_iteratorIjlEEPS9_SG_NS0_5tupleIJPjSI_NS0_16reverse_iteratorISI_EEEEENSH_IJSG_SG_SG_EEES9_SI_JZNS1_25segmented_radix_sort_implINS0_14default_configELb1EPKlPlSQ_SR_N2at6native12_GLOBAL__N_18offset_tEEE10hipError_tPvRmT1_PNSt15iterator_traitsISZ_E10value_typeET2_T3_PNS10_IS15_E10value_typeET4_jRbjT5_S1B_jjP12ihipStream_tbEUljE_ZNSN_ISO_Lb1ESQ_SR_SQ_SR_SV_EESW_SX_SY_SZ_S13_S14_S15_S18_S19_jS1A_jS1B_S1B_jjS1D_bEUljE0_EEESW_SX_SY_S15_S19_S1B_T6_T7_T9_mT8_S1D_bDpT10_ENKUlT_T0_E_clISt17integral_constantIbLb0EES1R_EEDaS1M_S1N_EUlS1M_E_NS1_11comp_targetILNS1_3genE4ELNS1_11target_archE910ELNS1_3gpuE8ELNS1_3repE0EEENS1_30default_config_static_selectorELNS0_4arch9wavefront6targetE1EEEvSZ_, .Lfunc_end642-_ZN7rocprim17ROCPRIM_400000_NS6detail17trampoline_kernelINS0_13select_configILj256ELj13ELNS0_17block_load_methodE3ELS4_3ELS4_3ELNS0_20block_scan_algorithmE0ELj4294967295EEENS1_25partition_config_selectorILNS1_17partition_subalgoE4EjNS0_10empty_typeEbEEZZNS1_14partition_implILS8_4ELb0ES6_15HIP_vector_typeIjLj2EENS0_17counting_iteratorIjlEEPS9_SG_NS0_5tupleIJPjSI_NS0_16reverse_iteratorISI_EEEEENSH_IJSG_SG_SG_EEES9_SI_JZNS1_25segmented_radix_sort_implINS0_14default_configELb1EPKlPlSQ_SR_N2at6native12_GLOBAL__N_18offset_tEEE10hipError_tPvRmT1_PNSt15iterator_traitsISZ_E10value_typeET2_T3_PNS10_IS15_E10value_typeET4_jRbjT5_S1B_jjP12ihipStream_tbEUljE_ZNSN_ISO_Lb1ESQ_SR_SQ_SR_SV_EESW_SX_SY_SZ_S13_S14_S15_S18_S19_jS1A_jS1B_S1B_jjS1D_bEUljE0_EEESW_SX_SY_S15_S19_S1B_T6_T7_T9_mT8_S1D_bDpT10_ENKUlT_T0_E_clISt17integral_constantIbLb0EES1R_EEDaS1M_S1N_EUlS1M_E_NS1_11comp_targetILNS1_3genE4ELNS1_11target_archE910ELNS1_3gpuE8ELNS1_3repE0EEENS1_30default_config_static_selectorELNS0_4arch9wavefront6targetE1EEEvSZ_
                                        ; -- End function
	.set _ZN7rocprim17ROCPRIM_400000_NS6detail17trampoline_kernelINS0_13select_configILj256ELj13ELNS0_17block_load_methodE3ELS4_3ELS4_3ELNS0_20block_scan_algorithmE0ELj4294967295EEENS1_25partition_config_selectorILNS1_17partition_subalgoE4EjNS0_10empty_typeEbEEZZNS1_14partition_implILS8_4ELb0ES6_15HIP_vector_typeIjLj2EENS0_17counting_iteratorIjlEEPS9_SG_NS0_5tupleIJPjSI_NS0_16reverse_iteratorISI_EEEEENSH_IJSG_SG_SG_EEES9_SI_JZNS1_25segmented_radix_sort_implINS0_14default_configELb1EPKlPlSQ_SR_N2at6native12_GLOBAL__N_18offset_tEEE10hipError_tPvRmT1_PNSt15iterator_traitsISZ_E10value_typeET2_T3_PNS10_IS15_E10value_typeET4_jRbjT5_S1B_jjP12ihipStream_tbEUljE_ZNSN_ISO_Lb1ESQ_SR_SQ_SR_SV_EESW_SX_SY_SZ_S13_S14_S15_S18_S19_jS1A_jS1B_S1B_jjS1D_bEUljE0_EEESW_SX_SY_S15_S19_S1B_T6_T7_T9_mT8_S1D_bDpT10_ENKUlT_T0_E_clISt17integral_constantIbLb0EES1R_EEDaS1M_S1N_EUlS1M_E_NS1_11comp_targetILNS1_3genE4ELNS1_11target_archE910ELNS1_3gpuE8ELNS1_3repE0EEENS1_30default_config_static_selectorELNS0_4arch9wavefront6targetE1EEEvSZ_.num_vgpr, 0
	.set _ZN7rocprim17ROCPRIM_400000_NS6detail17trampoline_kernelINS0_13select_configILj256ELj13ELNS0_17block_load_methodE3ELS4_3ELS4_3ELNS0_20block_scan_algorithmE0ELj4294967295EEENS1_25partition_config_selectorILNS1_17partition_subalgoE4EjNS0_10empty_typeEbEEZZNS1_14partition_implILS8_4ELb0ES6_15HIP_vector_typeIjLj2EENS0_17counting_iteratorIjlEEPS9_SG_NS0_5tupleIJPjSI_NS0_16reverse_iteratorISI_EEEEENSH_IJSG_SG_SG_EEES9_SI_JZNS1_25segmented_radix_sort_implINS0_14default_configELb1EPKlPlSQ_SR_N2at6native12_GLOBAL__N_18offset_tEEE10hipError_tPvRmT1_PNSt15iterator_traitsISZ_E10value_typeET2_T3_PNS10_IS15_E10value_typeET4_jRbjT5_S1B_jjP12ihipStream_tbEUljE_ZNSN_ISO_Lb1ESQ_SR_SQ_SR_SV_EESW_SX_SY_SZ_S13_S14_S15_S18_S19_jS1A_jS1B_S1B_jjS1D_bEUljE0_EEESW_SX_SY_S15_S19_S1B_T6_T7_T9_mT8_S1D_bDpT10_ENKUlT_T0_E_clISt17integral_constantIbLb0EES1R_EEDaS1M_S1N_EUlS1M_E_NS1_11comp_targetILNS1_3genE4ELNS1_11target_archE910ELNS1_3gpuE8ELNS1_3repE0EEENS1_30default_config_static_selectorELNS0_4arch9wavefront6targetE1EEEvSZ_.num_agpr, 0
	.set _ZN7rocprim17ROCPRIM_400000_NS6detail17trampoline_kernelINS0_13select_configILj256ELj13ELNS0_17block_load_methodE3ELS4_3ELS4_3ELNS0_20block_scan_algorithmE0ELj4294967295EEENS1_25partition_config_selectorILNS1_17partition_subalgoE4EjNS0_10empty_typeEbEEZZNS1_14partition_implILS8_4ELb0ES6_15HIP_vector_typeIjLj2EENS0_17counting_iteratorIjlEEPS9_SG_NS0_5tupleIJPjSI_NS0_16reverse_iteratorISI_EEEEENSH_IJSG_SG_SG_EEES9_SI_JZNS1_25segmented_radix_sort_implINS0_14default_configELb1EPKlPlSQ_SR_N2at6native12_GLOBAL__N_18offset_tEEE10hipError_tPvRmT1_PNSt15iterator_traitsISZ_E10value_typeET2_T3_PNS10_IS15_E10value_typeET4_jRbjT5_S1B_jjP12ihipStream_tbEUljE_ZNSN_ISO_Lb1ESQ_SR_SQ_SR_SV_EESW_SX_SY_SZ_S13_S14_S15_S18_S19_jS1A_jS1B_S1B_jjS1D_bEUljE0_EEESW_SX_SY_S15_S19_S1B_T6_T7_T9_mT8_S1D_bDpT10_ENKUlT_T0_E_clISt17integral_constantIbLb0EES1R_EEDaS1M_S1N_EUlS1M_E_NS1_11comp_targetILNS1_3genE4ELNS1_11target_archE910ELNS1_3gpuE8ELNS1_3repE0EEENS1_30default_config_static_selectorELNS0_4arch9wavefront6targetE1EEEvSZ_.numbered_sgpr, 0
	.set _ZN7rocprim17ROCPRIM_400000_NS6detail17trampoline_kernelINS0_13select_configILj256ELj13ELNS0_17block_load_methodE3ELS4_3ELS4_3ELNS0_20block_scan_algorithmE0ELj4294967295EEENS1_25partition_config_selectorILNS1_17partition_subalgoE4EjNS0_10empty_typeEbEEZZNS1_14partition_implILS8_4ELb0ES6_15HIP_vector_typeIjLj2EENS0_17counting_iteratorIjlEEPS9_SG_NS0_5tupleIJPjSI_NS0_16reverse_iteratorISI_EEEEENSH_IJSG_SG_SG_EEES9_SI_JZNS1_25segmented_radix_sort_implINS0_14default_configELb1EPKlPlSQ_SR_N2at6native12_GLOBAL__N_18offset_tEEE10hipError_tPvRmT1_PNSt15iterator_traitsISZ_E10value_typeET2_T3_PNS10_IS15_E10value_typeET4_jRbjT5_S1B_jjP12ihipStream_tbEUljE_ZNSN_ISO_Lb1ESQ_SR_SQ_SR_SV_EESW_SX_SY_SZ_S13_S14_S15_S18_S19_jS1A_jS1B_S1B_jjS1D_bEUljE0_EEESW_SX_SY_S15_S19_S1B_T6_T7_T9_mT8_S1D_bDpT10_ENKUlT_T0_E_clISt17integral_constantIbLb0EES1R_EEDaS1M_S1N_EUlS1M_E_NS1_11comp_targetILNS1_3genE4ELNS1_11target_archE910ELNS1_3gpuE8ELNS1_3repE0EEENS1_30default_config_static_selectorELNS0_4arch9wavefront6targetE1EEEvSZ_.num_named_barrier, 0
	.set _ZN7rocprim17ROCPRIM_400000_NS6detail17trampoline_kernelINS0_13select_configILj256ELj13ELNS0_17block_load_methodE3ELS4_3ELS4_3ELNS0_20block_scan_algorithmE0ELj4294967295EEENS1_25partition_config_selectorILNS1_17partition_subalgoE4EjNS0_10empty_typeEbEEZZNS1_14partition_implILS8_4ELb0ES6_15HIP_vector_typeIjLj2EENS0_17counting_iteratorIjlEEPS9_SG_NS0_5tupleIJPjSI_NS0_16reverse_iteratorISI_EEEEENSH_IJSG_SG_SG_EEES9_SI_JZNS1_25segmented_radix_sort_implINS0_14default_configELb1EPKlPlSQ_SR_N2at6native12_GLOBAL__N_18offset_tEEE10hipError_tPvRmT1_PNSt15iterator_traitsISZ_E10value_typeET2_T3_PNS10_IS15_E10value_typeET4_jRbjT5_S1B_jjP12ihipStream_tbEUljE_ZNSN_ISO_Lb1ESQ_SR_SQ_SR_SV_EESW_SX_SY_SZ_S13_S14_S15_S18_S19_jS1A_jS1B_S1B_jjS1D_bEUljE0_EEESW_SX_SY_S15_S19_S1B_T6_T7_T9_mT8_S1D_bDpT10_ENKUlT_T0_E_clISt17integral_constantIbLb0EES1R_EEDaS1M_S1N_EUlS1M_E_NS1_11comp_targetILNS1_3genE4ELNS1_11target_archE910ELNS1_3gpuE8ELNS1_3repE0EEENS1_30default_config_static_selectorELNS0_4arch9wavefront6targetE1EEEvSZ_.private_seg_size, 0
	.set _ZN7rocprim17ROCPRIM_400000_NS6detail17trampoline_kernelINS0_13select_configILj256ELj13ELNS0_17block_load_methodE3ELS4_3ELS4_3ELNS0_20block_scan_algorithmE0ELj4294967295EEENS1_25partition_config_selectorILNS1_17partition_subalgoE4EjNS0_10empty_typeEbEEZZNS1_14partition_implILS8_4ELb0ES6_15HIP_vector_typeIjLj2EENS0_17counting_iteratorIjlEEPS9_SG_NS0_5tupleIJPjSI_NS0_16reverse_iteratorISI_EEEEENSH_IJSG_SG_SG_EEES9_SI_JZNS1_25segmented_radix_sort_implINS0_14default_configELb1EPKlPlSQ_SR_N2at6native12_GLOBAL__N_18offset_tEEE10hipError_tPvRmT1_PNSt15iterator_traitsISZ_E10value_typeET2_T3_PNS10_IS15_E10value_typeET4_jRbjT5_S1B_jjP12ihipStream_tbEUljE_ZNSN_ISO_Lb1ESQ_SR_SQ_SR_SV_EESW_SX_SY_SZ_S13_S14_S15_S18_S19_jS1A_jS1B_S1B_jjS1D_bEUljE0_EEESW_SX_SY_S15_S19_S1B_T6_T7_T9_mT8_S1D_bDpT10_ENKUlT_T0_E_clISt17integral_constantIbLb0EES1R_EEDaS1M_S1N_EUlS1M_E_NS1_11comp_targetILNS1_3genE4ELNS1_11target_archE910ELNS1_3gpuE8ELNS1_3repE0EEENS1_30default_config_static_selectorELNS0_4arch9wavefront6targetE1EEEvSZ_.uses_vcc, 0
	.set _ZN7rocprim17ROCPRIM_400000_NS6detail17trampoline_kernelINS0_13select_configILj256ELj13ELNS0_17block_load_methodE3ELS4_3ELS4_3ELNS0_20block_scan_algorithmE0ELj4294967295EEENS1_25partition_config_selectorILNS1_17partition_subalgoE4EjNS0_10empty_typeEbEEZZNS1_14partition_implILS8_4ELb0ES6_15HIP_vector_typeIjLj2EENS0_17counting_iteratorIjlEEPS9_SG_NS0_5tupleIJPjSI_NS0_16reverse_iteratorISI_EEEEENSH_IJSG_SG_SG_EEES9_SI_JZNS1_25segmented_radix_sort_implINS0_14default_configELb1EPKlPlSQ_SR_N2at6native12_GLOBAL__N_18offset_tEEE10hipError_tPvRmT1_PNSt15iterator_traitsISZ_E10value_typeET2_T3_PNS10_IS15_E10value_typeET4_jRbjT5_S1B_jjP12ihipStream_tbEUljE_ZNSN_ISO_Lb1ESQ_SR_SQ_SR_SV_EESW_SX_SY_SZ_S13_S14_S15_S18_S19_jS1A_jS1B_S1B_jjS1D_bEUljE0_EEESW_SX_SY_S15_S19_S1B_T6_T7_T9_mT8_S1D_bDpT10_ENKUlT_T0_E_clISt17integral_constantIbLb0EES1R_EEDaS1M_S1N_EUlS1M_E_NS1_11comp_targetILNS1_3genE4ELNS1_11target_archE910ELNS1_3gpuE8ELNS1_3repE0EEENS1_30default_config_static_selectorELNS0_4arch9wavefront6targetE1EEEvSZ_.uses_flat_scratch, 0
	.set _ZN7rocprim17ROCPRIM_400000_NS6detail17trampoline_kernelINS0_13select_configILj256ELj13ELNS0_17block_load_methodE3ELS4_3ELS4_3ELNS0_20block_scan_algorithmE0ELj4294967295EEENS1_25partition_config_selectorILNS1_17partition_subalgoE4EjNS0_10empty_typeEbEEZZNS1_14partition_implILS8_4ELb0ES6_15HIP_vector_typeIjLj2EENS0_17counting_iteratorIjlEEPS9_SG_NS0_5tupleIJPjSI_NS0_16reverse_iteratorISI_EEEEENSH_IJSG_SG_SG_EEES9_SI_JZNS1_25segmented_radix_sort_implINS0_14default_configELb1EPKlPlSQ_SR_N2at6native12_GLOBAL__N_18offset_tEEE10hipError_tPvRmT1_PNSt15iterator_traitsISZ_E10value_typeET2_T3_PNS10_IS15_E10value_typeET4_jRbjT5_S1B_jjP12ihipStream_tbEUljE_ZNSN_ISO_Lb1ESQ_SR_SQ_SR_SV_EESW_SX_SY_SZ_S13_S14_S15_S18_S19_jS1A_jS1B_S1B_jjS1D_bEUljE0_EEESW_SX_SY_S15_S19_S1B_T6_T7_T9_mT8_S1D_bDpT10_ENKUlT_T0_E_clISt17integral_constantIbLb0EES1R_EEDaS1M_S1N_EUlS1M_E_NS1_11comp_targetILNS1_3genE4ELNS1_11target_archE910ELNS1_3gpuE8ELNS1_3repE0EEENS1_30default_config_static_selectorELNS0_4arch9wavefront6targetE1EEEvSZ_.has_dyn_sized_stack, 0
	.set _ZN7rocprim17ROCPRIM_400000_NS6detail17trampoline_kernelINS0_13select_configILj256ELj13ELNS0_17block_load_methodE3ELS4_3ELS4_3ELNS0_20block_scan_algorithmE0ELj4294967295EEENS1_25partition_config_selectorILNS1_17partition_subalgoE4EjNS0_10empty_typeEbEEZZNS1_14partition_implILS8_4ELb0ES6_15HIP_vector_typeIjLj2EENS0_17counting_iteratorIjlEEPS9_SG_NS0_5tupleIJPjSI_NS0_16reverse_iteratorISI_EEEEENSH_IJSG_SG_SG_EEES9_SI_JZNS1_25segmented_radix_sort_implINS0_14default_configELb1EPKlPlSQ_SR_N2at6native12_GLOBAL__N_18offset_tEEE10hipError_tPvRmT1_PNSt15iterator_traitsISZ_E10value_typeET2_T3_PNS10_IS15_E10value_typeET4_jRbjT5_S1B_jjP12ihipStream_tbEUljE_ZNSN_ISO_Lb1ESQ_SR_SQ_SR_SV_EESW_SX_SY_SZ_S13_S14_S15_S18_S19_jS1A_jS1B_S1B_jjS1D_bEUljE0_EEESW_SX_SY_S15_S19_S1B_T6_T7_T9_mT8_S1D_bDpT10_ENKUlT_T0_E_clISt17integral_constantIbLb0EES1R_EEDaS1M_S1N_EUlS1M_E_NS1_11comp_targetILNS1_3genE4ELNS1_11target_archE910ELNS1_3gpuE8ELNS1_3repE0EEENS1_30default_config_static_selectorELNS0_4arch9wavefront6targetE1EEEvSZ_.has_recursion, 0
	.set _ZN7rocprim17ROCPRIM_400000_NS6detail17trampoline_kernelINS0_13select_configILj256ELj13ELNS0_17block_load_methodE3ELS4_3ELS4_3ELNS0_20block_scan_algorithmE0ELj4294967295EEENS1_25partition_config_selectorILNS1_17partition_subalgoE4EjNS0_10empty_typeEbEEZZNS1_14partition_implILS8_4ELb0ES6_15HIP_vector_typeIjLj2EENS0_17counting_iteratorIjlEEPS9_SG_NS0_5tupleIJPjSI_NS0_16reverse_iteratorISI_EEEEENSH_IJSG_SG_SG_EEES9_SI_JZNS1_25segmented_radix_sort_implINS0_14default_configELb1EPKlPlSQ_SR_N2at6native12_GLOBAL__N_18offset_tEEE10hipError_tPvRmT1_PNSt15iterator_traitsISZ_E10value_typeET2_T3_PNS10_IS15_E10value_typeET4_jRbjT5_S1B_jjP12ihipStream_tbEUljE_ZNSN_ISO_Lb1ESQ_SR_SQ_SR_SV_EESW_SX_SY_SZ_S13_S14_S15_S18_S19_jS1A_jS1B_S1B_jjS1D_bEUljE0_EEESW_SX_SY_S15_S19_S1B_T6_T7_T9_mT8_S1D_bDpT10_ENKUlT_T0_E_clISt17integral_constantIbLb0EES1R_EEDaS1M_S1N_EUlS1M_E_NS1_11comp_targetILNS1_3genE4ELNS1_11target_archE910ELNS1_3gpuE8ELNS1_3repE0EEENS1_30default_config_static_selectorELNS0_4arch9wavefront6targetE1EEEvSZ_.has_indirect_call, 0
	.section	.AMDGPU.csdata,"",@progbits
; Kernel info:
; codeLenInByte = 0
; TotalNumSgprs: 4
; NumVgprs: 0
; ScratchSize: 0
; MemoryBound: 0
; FloatMode: 240
; IeeeMode: 1
; LDSByteSize: 0 bytes/workgroup (compile time only)
; SGPRBlocks: 0
; VGPRBlocks: 0
; NumSGPRsForWavesPerEU: 4
; NumVGPRsForWavesPerEU: 1
; Occupancy: 10
; WaveLimiterHint : 0
; COMPUTE_PGM_RSRC2:SCRATCH_EN: 0
; COMPUTE_PGM_RSRC2:USER_SGPR: 6
; COMPUTE_PGM_RSRC2:TRAP_HANDLER: 0
; COMPUTE_PGM_RSRC2:TGID_X_EN: 1
; COMPUTE_PGM_RSRC2:TGID_Y_EN: 0
; COMPUTE_PGM_RSRC2:TGID_Z_EN: 0
; COMPUTE_PGM_RSRC2:TIDIG_COMP_CNT: 0
	.section	.text._ZN7rocprim17ROCPRIM_400000_NS6detail17trampoline_kernelINS0_13select_configILj256ELj13ELNS0_17block_load_methodE3ELS4_3ELS4_3ELNS0_20block_scan_algorithmE0ELj4294967295EEENS1_25partition_config_selectorILNS1_17partition_subalgoE4EjNS0_10empty_typeEbEEZZNS1_14partition_implILS8_4ELb0ES6_15HIP_vector_typeIjLj2EENS0_17counting_iteratorIjlEEPS9_SG_NS0_5tupleIJPjSI_NS0_16reverse_iteratorISI_EEEEENSH_IJSG_SG_SG_EEES9_SI_JZNS1_25segmented_radix_sort_implINS0_14default_configELb1EPKlPlSQ_SR_N2at6native12_GLOBAL__N_18offset_tEEE10hipError_tPvRmT1_PNSt15iterator_traitsISZ_E10value_typeET2_T3_PNS10_IS15_E10value_typeET4_jRbjT5_S1B_jjP12ihipStream_tbEUljE_ZNSN_ISO_Lb1ESQ_SR_SQ_SR_SV_EESW_SX_SY_SZ_S13_S14_S15_S18_S19_jS1A_jS1B_S1B_jjS1D_bEUljE0_EEESW_SX_SY_S15_S19_S1B_T6_T7_T9_mT8_S1D_bDpT10_ENKUlT_T0_E_clISt17integral_constantIbLb0EES1R_EEDaS1M_S1N_EUlS1M_E_NS1_11comp_targetILNS1_3genE3ELNS1_11target_archE908ELNS1_3gpuE7ELNS1_3repE0EEENS1_30default_config_static_selectorELNS0_4arch9wavefront6targetE1EEEvSZ_,"axG",@progbits,_ZN7rocprim17ROCPRIM_400000_NS6detail17trampoline_kernelINS0_13select_configILj256ELj13ELNS0_17block_load_methodE3ELS4_3ELS4_3ELNS0_20block_scan_algorithmE0ELj4294967295EEENS1_25partition_config_selectorILNS1_17partition_subalgoE4EjNS0_10empty_typeEbEEZZNS1_14partition_implILS8_4ELb0ES6_15HIP_vector_typeIjLj2EENS0_17counting_iteratorIjlEEPS9_SG_NS0_5tupleIJPjSI_NS0_16reverse_iteratorISI_EEEEENSH_IJSG_SG_SG_EEES9_SI_JZNS1_25segmented_radix_sort_implINS0_14default_configELb1EPKlPlSQ_SR_N2at6native12_GLOBAL__N_18offset_tEEE10hipError_tPvRmT1_PNSt15iterator_traitsISZ_E10value_typeET2_T3_PNS10_IS15_E10value_typeET4_jRbjT5_S1B_jjP12ihipStream_tbEUljE_ZNSN_ISO_Lb1ESQ_SR_SQ_SR_SV_EESW_SX_SY_SZ_S13_S14_S15_S18_S19_jS1A_jS1B_S1B_jjS1D_bEUljE0_EEESW_SX_SY_S15_S19_S1B_T6_T7_T9_mT8_S1D_bDpT10_ENKUlT_T0_E_clISt17integral_constantIbLb0EES1R_EEDaS1M_S1N_EUlS1M_E_NS1_11comp_targetILNS1_3genE3ELNS1_11target_archE908ELNS1_3gpuE7ELNS1_3repE0EEENS1_30default_config_static_selectorELNS0_4arch9wavefront6targetE1EEEvSZ_,comdat
	.globl	_ZN7rocprim17ROCPRIM_400000_NS6detail17trampoline_kernelINS0_13select_configILj256ELj13ELNS0_17block_load_methodE3ELS4_3ELS4_3ELNS0_20block_scan_algorithmE0ELj4294967295EEENS1_25partition_config_selectorILNS1_17partition_subalgoE4EjNS0_10empty_typeEbEEZZNS1_14partition_implILS8_4ELb0ES6_15HIP_vector_typeIjLj2EENS0_17counting_iteratorIjlEEPS9_SG_NS0_5tupleIJPjSI_NS0_16reverse_iteratorISI_EEEEENSH_IJSG_SG_SG_EEES9_SI_JZNS1_25segmented_radix_sort_implINS0_14default_configELb1EPKlPlSQ_SR_N2at6native12_GLOBAL__N_18offset_tEEE10hipError_tPvRmT1_PNSt15iterator_traitsISZ_E10value_typeET2_T3_PNS10_IS15_E10value_typeET4_jRbjT5_S1B_jjP12ihipStream_tbEUljE_ZNSN_ISO_Lb1ESQ_SR_SQ_SR_SV_EESW_SX_SY_SZ_S13_S14_S15_S18_S19_jS1A_jS1B_S1B_jjS1D_bEUljE0_EEESW_SX_SY_S15_S19_S1B_T6_T7_T9_mT8_S1D_bDpT10_ENKUlT_T0_E_clISt17integral_constantIbLb0EES1R_EEDaS1M_S1N_EUlS1M_E_NS1_11comp_targetILNS1_3genE3ELNS1_11target_archE908ELNS1_3gpuE7ELNS1_3repE0EEENS1_30default_config_static_selectorELNS0_4arch9wavefront6targetE1EEEvSZ_ ; -- Begin function _ZN7rocprim17ROCPRIM_400000_NS6detail17trampoline_kernelINS0_13select_configILj256ELj13ELNS0_17block_load_methodE3ELS4_3ELS4_3ELNS0_20block_scan_algorithmE0ELj4294967295EEENS1_25partition_config_selectorILNS1_17partition_subalgoE4EjNS0_10empty_typeEbEEZZNS1_14partition_implILS8_4ELb0ES6_15HIP_vector_typeIjLj2EENS0_17counting_iteratorIjlEEPS9_SG_NS0_5tupleIJPjSI_NS0_16reverse_iteratorISI_EEEEENSH_IJSG_SG_SG_EEES9_SI_JZNS1_25segmented_radix_sort_implINS0_14default_configELb1EPKlPlSQ_SR_N2at6native12_GLOBAL__N_18offset_tEEE10hipError_tPvRmT1_PNSt15iterator_traitsISZ_E10value_typeET2_T3_PNS10_IS15_E10value_typeET4_jRbjT5_S1B_jjP12ihipStream_tbEUljE_ZNSN_ISO_Lb1ESQ_SR_SQ_SR_SV_EESW_SX_SY_SZ_S13_S14_S15_S18_S19_jS1A_jS1B_S1B_jjS1D_bEUljE0_EEESW_SX_SY_S15_S19_S1B_T6_T7_T9_mT8_S1D_bDpT10_ENKUlT_T0_E_clISt17integral_constantIbLb0EES1R_EEDaS1M_S1N_EUlS1M_E_NS1_11comp_targetILNS1_3genE3ELNS1_11target_archE908ELNS1_3gpuE7ELNS1_3repE0EEENS1_30default_config_static_selectorELNS0_4arch9wavefront6targetE1EEEvSZ_
	.p2align	8
	.type	_ZN7rocprim17ROCPRIM_400000_NS6detail17trampoline_kernelINS0_13select_configILj256ELj13ELNS0_17block_load_methodE3ELS4_3ELS4_3ELNS0_20block_scan_algorithmE0ELj4294967295EEENS1_25partition_config_selectorILNS1_17partition_subalgoE4EjNS0_10empty_typeEbEEZZNS1_14partition_implILS8_4ELb0ES6_15HIP_vector_typeIjLj2EENS0_17counting_iteratorIjlEEPS9_SG_NS0_5tupleIJPjSI_NS0_16reverse_iteratorISI_EEEEENSH_IJSG_SG_SG_EEES9_SI_JZNS1_25segmented_radix_sort_implINS0_14default_configELb1EPKlPlSQ_SR_N2at6native12_GLOBAL__N_18offset_tEEE10hipError_tPvRmT1_PNSt15iterator_traitsISZ_E10value_typeET2_T3_PNS10_IS15_E10value_typeET4_jRbjT5_S1B_jjP12ihipStream_tbEUljE_ZNSN_ISO_Lb1ESQ_SR_SQ_SR_SV_EESW_SX_SY_SZ_S13_S14_S15_S18_S19_jS1A_jS1B_S1B_jjS1D_bEUljE0_EEESW_SX_SY_S15_S19_S1B_T6_T7_T9_mT8_S1D_bDpT10_ENKUlT_T0_E_clISt17integral_constantIbLb0EES1R_EEDaS1M_S1N_EUlS1M_E_NS1_11comp_targetILNS1_3genE3ELNS1_11target_archE908ELNS1_3gpuE7ELNS1_3repE0EEENS1_30default_config_static_selectorELNS0_4arch9wavefront6targetE1EEEvSZ_,@function
_ZN7rocprim17ROCPRIM_400000_NS6detail17trampoline_kernelINS0_13select_configILj256ELj13ELNS0_17block_load_methodE3ELS4_3ELS4_3ELNS0_20block_scan_algorithmE0ELj4294967295EEENS1_25partition_config_selectorILNS1_17partition_subalgoE4EjNS0_10empty_typeEbEEZZNS1_14partition_implILS8_4ELb0ES6_15HIP_vector_typeIjLj2EENS0_17counting_iteratorIjlEEPS9_SG_NS0_5tupleIJPjSI_NS0_16reverse_iteratorISI_EEEEENSH_IJSG_SG_SG_EEES9_SI_JZNS1_25segmented_radix_sort_implINS0_14default_configELb1EPKlPlSQ_SR_N2at6native12_GLOBAL__N_18offset_tEEE10hipError_tPvRmT1_PNSt15iterator_traitsISZ_E10value_typeET2_T3_PNS10_IS15_E10value_typeET4_jRbjT5_S1B_jjP12ihipStream_tbEUljE_ZNSN_ISO_Lb1ESQ_SR_SQ_SR_SV_EESW_SX_SY_SZ_S13_S14_S15_S18_S19_jS1A_jS1B_S1B_jjS1D_bEUljE0_EEESW_SX_SY_S15_S19_S1B_T6_T7_T9_mT8_S1D_bDpT10_ENKUlT_T0_E_clISt17integral_constantIbLb0EES1R_EEDaS1M_S1N_EUlS1M_E_NS1_11comp_targetILNS1_3genE3ELNS1_11target_archE908ELNS1_3gpuE7ELNS1_3repE0EEENS1_30default_config_static_selectorELNS0_4arch9wavefront6targetE1EEEvSZ_: ; @_ZN7rocprim17ROCPRIM_400000_NS6detail17trampoline_kernelINS0_13select_configILj256ELj13ELNS0_17block_load_methodE3ELS4_3ELS4_3ELNS0_20block_scan_algorithmE0ELj4294967295EEENS1_25partition_config_selectorILNS1_17partition_subalgoE4EjNS0_10empty_typeEbEEZZNS1_14partition_implILS8_4ELb0ES6_15HIP_vector_typeIjLj2EENS0_17counting_iteratorIjlEEPS9_SG_NS0_5tupleIJPjSI_NS0_16reverse_iteratorISI_EEEEENSH_IJSG_SG_SG_EEES9_SI_JZNS1_25segmented_radix_sort_implINS0_14default_configELb1EPKlPlSQ_SR_N2at6native12_GLOBAL__N_18offset_tEEE10hipError_tPvRmT1_PNSt15iterator_traitsISZ_E10value_typeET2_T3_PNS10_IS15_E10value_typeET4_jRbjT5_S1B_jjP12ihipStream_tbEUljE_ZNSN_ISO_Lb1ESQ_SR_SQ_SR_SV_EESW_SX_SY_SZ_S13_S14_S15_S18_S19_jS1A_jS1B_S1B_jjS1D_bEUljE0_EEESW_SX_SY_S15_S19_S1B_T6_T7_T9_mT8_S1D_bDpT10_ENKUlT_T0_E_clISt17integral_constantIbLb0EES1R_EEDaS1M_S1N_EUlS1M_E_NS1_11comp_targetILNS1_3genE3ELNS1_11target_archE908ELNS1_3gpuE7ELNS1_3repE0EEENS1_30default_config_static_selectorELNS0_4arch9wavefront6targetE1EEEvSZ_
; %bb.0:
	.section	.rodata,"a",@progbits
	.p2align	6, 0x0
	.amdhsa_kernel _ZN7rocprim17ROCPRIM_400000_NS6detail17trampoline_kernelINS0_13select_configILj256ELj13ELNS0_17block_load_methodE3ELS4_3ELS4_3ELNS0_20block_scan_algorithmE0ELj4294967295EEENS1_25partition_config_selectorILNS1_17partition_subalgoE4EjNS0_10empty_typeEbEEZZNS1_14partition_implILS8_4ELb0ES6_15HIP_vector_typeIjLj2EENS0_17counting_iteratorIjlEEPS9_SG_NS0_5tupleIJPjSI_NS0_16reverse_iteratorISI_EEEEENSH_IJSG_SG_SG_EEES9_SI_JZNS1_25segmented_radix_sort_implINS0_14default_configELb1EPKlPlSQ_SR_N2at6native12_GLOBAL__N_18offset_tEEE10hipError_tPvRmT1_PNSt15iterator_traitsISZ_E10value_typeET2_T3_PNS10_IS15_E10value_typeET4_jRbjT5_S1B_jjP12ihipStream_tbEUljE_ZNSN_ISO_Lb1ESQ_SR_SQ_SR_SV_EESW_SX_SY_SZ_S13_S14_S15_S18_S19_jS1A_jS1B_S1B_jjS1D_bEUljE0_EEESW_SX_SY_S15_S19_S1B_T6_T7_T9_mT8_S1D_bDpT10_ENKUlT_T0_E_clISt17integral_constantIbLb0EES1R_EEDaS1M_S1N_EUlS1M_E_NS1_11comp_targetILNS1_3genE3ELNS1_11target_archE908ELNS1_3gpuE7ELNS1_3repE0EEENS1_30default_config_static_selectorELNS0_4arch9wavefront6targetE1EEEvSZ_
		.amdhsa_group_segment_fixed_size 0
		.amdhsa_private_segment_fixed_size 0
		.amdhsa_kernarg_size 176
		.amdhsa_user_sgpr_count 6
		.amdhsa_user_sgpr_private_segment_buffer 1
		.amdhsa_user_sgpr_dispatch_ptr 0
		.amdhsa_user_sgpr_queue_ptr 0
		.amdhsa_user_sgpr_kernarg_segment_ptr 1
		.amdhsa_user_sgpr_dispatch_id 0
		.amdhsa_user_sgpr_flat_scratch_init 0
		.amdhsa_user_sgpr_private_segment_size 0
		.amdhsa_uses_dynamic_stack 0
		.amdhsa_system_sgpr_private_segment_wavefront_offset 0
		.amdhsa_system_sgpr_workgroup_id_x 1
		.amdhsa_system_sgpr_workgroup_id_y 0
		.amdhsa_system_sgpr_workgroup_id_z 0
		.amdhsa_system_sgpr_workgroup_info 0
		.amdhsa_system_vgpr_workitem_id 0
		.amdhsa_next_free_vgpr 1
		.amdhsa_next_free_sgpr 0
		.amdhsa_reserve_vcc 0
		.amdhsa_reserve_flat_scratch 0
		.amdhsa_float_round_mode_32 0
		.amdhsa_float_round_mode_16_64 0
		.amdhsa_float_denorm_mode_32 3
		.amdhsa_float_denorm_mode_16_64 3
		.amdhsa_dx10_clamp 1
		.amdhsa_ieee_mode 1
		.amdhsa_fp16_overflow 0
		.amdhsa_exception_fp_ieee_invalid_op 0
		.amdhsa_exception_fp_denorm_src 0
		.amdhsa_exception_fp_ieee_div_zero 0
		.amdhsa_exception_fp_ieee_overflow 0
		.amdhsa_exception_fp_ieee_underflow 0
		.amdhsa_exception_fp_ieee_inexact 0
		.amdhsa_exception_int_div_zero 0
	.end_amdhsa_kernel
	.section	.text._ZN7rocprim17ROCPRIM_400000_NS6detail17trampoline_kernelINS0_13select_configILj256ELj13ELNS0_17block_load_methodE3ELS4_3ELS4_3ELNS0_20block_scan_algorithmE0ELj4294967295EEENS1_25partition_config_selectorILNS1_17partition_subalgoE4EjNS0_10empty_typeEbEEZZNS1_14partition_implILS8_4ELb0ES6_15HIP_vector_typeIjLj2EENS0_17counting_iteratorIjlEEPS9_SG_NS0_5tupleIJPjSI_NS0_16reverse_iteratorISI_EEEEENSH_IJSG_SG_SG_EEES9_SI_JZNS1_25segmented_radix_sort_implINS0_14default_configELb1EPKlPlSQ_SR_N2at6native12_GLOBAL__N_18offset_tEEE10hipError_tPvRmT1_PNSt15iterator_traitsISZ_E10value_typeET2_T3_PNS10_IS15_E10value_typeET4_jRbjT5_S1B_jjP12ihipStream_tbEUljE_ZNSN_ISO_Lb1ESQ_SR_SQ_SR_SV_EESW_SX_SY_SZ_S13_S14_S15_S18_S19_jS1A_jS1B_S1B_jjS1D_bEUljE0_EEESW_SX_SY_S15_S19_S1B_T6_T7_T9_mT8_S1D_bDpT10_ENKUlT_T0_E_clISt17integral_constantIbLb0EES1R_EEDaS1M_S1N_EUlS1M_E_NS1_11comp_targetILNS1_3genE3ELNS1_11target_archE908ELNS1_3gpuE7ELNS1_3repE0EEENS1_30default_config_static_selectorELNS0_4arch9wavefront6targetE1EEEvSZ_,"axG",@progbits,_ZN7rocprim17ROCPRIM_400000_NS6detail17trampoline_kernelINS0_13select_configILj256ELj13ELNS0_17block_load_methodE3ELS4_3ELS4_3ELNS0_20block_scan_algorithmE0ELj4294967295EEENS1_25partition_config_selectorILNS1_17partition_subalgoE4EjNS0_10empty_typeEbEEZZNS1_14partition_implILS8_4ELb0ES6_15HIP_vector_typeIjLj2EENS0_17counting_iteratorIjlEEPS9_SG_NS0_5tupleIJPjSI_NS0_16reverse_iteratorISI_EEEEENSH_IJSG_SG_SG_EEES9_SI_JZNS1_25segmented_radix_sort_implINS0_14default_configELb1EPKlPlSQ_SR_N2at6native12_GLOBAL__N_18offset_tEEE10hipError_tPvRmT1_PNSt15iterator_traitsISZ_E10value_typeET2_T3_PNS10_IS15_E10value_typeET4_jRbjT5_S1B_jjP12ihipStream_tbEUljE_ZNSN_ISO_Lb1ESQ_SR_SQ_SR_SV_EESW_SX_SY_SZ_S13_S14_S15_S18_S19_jS1A_jS1B_S1B_jjS1D_bEUljE0_EEESW_SX_SY_S15_S19_S1B_T6_T7_T9_mT8_S1D_bDpT10_ENKUlT_T0_E_clISt17integral_constantIbLb0EES1R_EEDaS1M_S1N_EUlS1M_E_NS1_11comp_targetILNS1_3genE3ELNS1_11target_archE908ELNS1_3gpuE7ELNS1_3repE0EEENS1_30default_config_static_selectorELNS0_4arch9wavefront6targetE1EEEvSZ_,comdat
.Lfunc_end643:
	.size	_ZN7rocprim17ROCPRIM_400000_NS6detail17trampoline_kernelINS0_13select_configILj256ELj13ELNS0_17block_load_methodE3ELS4_3ELS4_3ELNS0_20block_scan_algorithmE0ELj4294967295EEENS1_25partition_config_selectorILNS1_17partition_subalgoE4EjNS0_10empty_typeEbEEZZNS1_14partition_implILS8_4ELb0ES6_15HIP_vector_typeIjLj2EENS0_17counting_iteratorIjlEEPS9_SG_NS0_5tupleIJPjSI_NS0_16reverse_iteratorISI_EEEEENSH_IJSG_SG_SG_EEES9_SI_JZNS1_25segmented_radix_sort_implINS0_14default_configELb1EPKlPlSQ_SR_N2at6native12_GLOBAL__N_18offset_tEEE10hipError_tPvRmT1_PNSt15iterator_traitsISZ_E10value_typeET2_T3_PNS10_IS15_E10value_typeET4_jRbjT5_S1B_jjP12ihipStream_tbEUljE_ZNSN_ISO_Lb1ESQ_SR_SQ_SR_SV_EESW_SX_SY_SZ_S13_S14_S15_S18_S19_jS1A_jS1B_S1B_jjS1D_bEUljE0_EEESW_SX_SY_S15_S19_S1B_T6_T7_T9_mT8_S1D_bDpT10_ENKUlT_T0_E_clISt17integral_constantIbLb0EES1R_EEDaS1M_S1N_EUlS1M_E_NS1_11comp_targetILNS1_3genE3ELNS1_11target_archE908ELNS1_3gpuE7ELNS1_3repE0EEENS1_30default_config_static_selectorELNS0_4arch9wavefront6targetE1EEEvSZ_, .Lfunc_end643-_ZN7rocprim17ROCPRIM_400000_NS6detail17trampoline_kernelINS0_13select_configILj256ELj13ELNS0_17block_load_methodE3ELS4_3ELS4_3ELNS0_20block_scan_algorithmE0ELj4294967295EEENS1_25partition_config_selectorILNS1_17partition_subalgoE4EjNS0_10empty_typeEbEEZZNS1_14partition_implILS8_4ELb0ES6_15HIP_vector_typeIjLj2EENS0_17counting_iteratorIjlEEPS9_SG_NS0_5tupleIJPjSI_NS0_16reverse_iteratorISI_EEEEENSH_IJSG_SG_SG_EEES9_SI_JZNS1_25segmented_radix_sort_implINS0_14default_configELb1EPKlPlSQ_SR_N2at6native12_GLOBAL__N_18offset_tEEE10hipError_tPvRmT1_PNSt15iterator_traitsISZ_E10value_typeET2_T3_PNS10_IS15_E10value_typeET4_jRbjT5_S1B_jjP12ihipStream_tbEUljE_ZNSN_ISO_Lb1ESQ_SR_SQ_SR_SV_EESW_SX_SY_SZ_S13_S14_S15_S18_S19_jS1A_jS1B_S1B_jjS1D_bEUljE0_EEESW_SX_SY_S15_S19_S1B_T6_T7_T9_mT8_S1D_bDpT10_ENKUlT_T0_E_clISt17integral_constantIbLb0EES1R_EEDaS1M_S1N_EUlS1M_E_NS1_11comp_targetILNS1_3genE3ELNS1_11target_archE908ELNS1_3gpuE7ELNS1_3repE0EEENS1_30default_config_static_selectorELNS0_4arch9wavefront6targetE1EEEvSZ_
                                        ; -- End function
	.set _ZN7rocprim17ROCPRIM_400000_NS6detail17trampoline_kernelINS0_13select_configILj256ELj13ELNS0_17block_load_methodE3ELS4_3ELS4_3ELNS0_20block_scan_algorithmE0ELj4294967295EEENS1_25partition_config_selectorILNS1_17partition_subalgoE4EjNS0_10empty_typeEbEEZZNS1_14partition_implILS8_4ELb0ES6_15HIP_vector_typeIjLj2EENS0_17counting_iteratorIjlEEPS9_SG_NS0_5tupleIJPjSI_NS0_16reverse_iteratorISI_EEEEENSH_IJSG_SG_SG_EEES9_SI_JZNS1_25segmented_radix_sort_implINS0_14default_configELb1EPKlPlSQ_SR_N2at6native12_GLOBAL__N_18offset_tEEE10hipError_tPvRmT1_PNSt15iterator_traitsISZ_E10value_typeET2_T3_PNS10_IS15_E10value_typeET4_jRbjT5_S1B_jjP12ihipStream_tbEUljE_ZNSN_ISO_Lb1ESQ_SR_SQ_SR_SV_EESW_SX_SY_SZ_S13_S14_S15_S18_S19_jS1A_jS1B_S1B_jjS1D_bEUljE0_EEESW_SX_SY_S15_S19_S1B_T6_T7_T9_mT8_S1D_bDpT10_ENKUlT_T0_E_clISt17integral_constantIbLb0EES1R_EEDaS1M_S1N_EUlS1M_E_NS1_11comp_targetILNS1_3genE3ELNS1_11target_archE908ELNS1_3gpuE7ELNS1_3repE0EEENS1_30default_config_static_selectorELNS0_4arch9wavefront6targetE1EEEvSZ_.num_vgpr, 0
	.set _ZN7rocprim17ROCPRIM_400000_NS6detail17trampoline_kernelINS0_13select_configILj256ELj13ELNS0_17block_load_methodE3ELS4_3ELS4_3ELNS0_20block_scan_algorithmE0ELj4294967295EEENS1_25partition_config_selectorILNS1_17partition_subalgoE4EjNS0_10empty_typeEbEEZZNS1_14partition_implILS8_4ELb0ES6_15HIP_vector_typeIjLj2EENS0_17counting_iteratorIjlEEPS9_SG_NS0_5tupleIJPjSI_NS0_16reverse_iteratorISI_EEEEENSH_IJSG_SG_SG_EEES9_SI_JZNS1_25segmented_radix_sort_implINS0_14default_configELb1EPKlPlSQ_SR_N2at6native12_GLOBAL__N_18offset_tEEE10hipError_tPvRmT1_PNSt15iterator_traitsISZ_E10value_typeET2_T3_PNS10_IS15_E10value_typeET4_jRbjT5_S1B_jjP12ihipStream_tbEUljE_ZNSN_ISO_Lb1ESQ_SR_SQ_SR_SV_EESW_SX_SY_SZ_S13_S14_S15_S18_S19_jS1A_jS1B_S1B_jjS1D_bEUljE0_EEESW_SX_SY_S15_S19_S1B_T6_T7_T9_mT8_S1D_bDpT10_ENKUlT_T0_E_clISt17integral_constantIbLb0EES1R_EEDaS1M_S1N_EUlS1M_E_NS1_11comp_targetILNS1_3genE3ELNS1_11target_archE908ELNS1_3gpuE7ELNS1_3repE0EEENS1_30default_config_static_selectorELNS0_4arch9wavefront6targetE1EEEvSZ_.num_agpr, 0
	.set _ZN7rocprim17ROCPRIM_400000_NS6detail17trampoline_kernelINS0_13select_configILj256ELj13ELNS0_17block_load_methodE3ELS4_3ELS4_3ELNS0_20block_scan_algorithmE0ELj4294967295EEENS1_25partition_config_selectorILNS1_17partition_subalgoE4EjNS0_10empty_typeEbEEZZNS1_14partition_implILS8_4ELb0ES6_15HIP_vector_typeIjLj2EENS0_17counting_iteratorIjlEEPS9_SG_NS0_5tupleIJPjSI_NS0_16reverse_iteratorISI_EEEEENSH_IJSG_SG_SG_EEES9_SI_JZNS1_25segmented_radix_sort_implINS0_14default_configELb1EPKlPlSQ_SR_N2at6native12_GLOBAL__N_18offset_tEEE10hipError_tPvRmT1_PNSt15iterator_traitsISZ_E10value_typeET2_T3_PNS10_IS15_E10value_typeET4_jRbjT5_S1B_jjP12ihipStream_tbEUljE_ZNSN_ISO_Lb1ESQ_SR_SQ_SR_SV_EESW_SX_SY_SZ_S13_S14_S15_S18_S19_jS1A_jS1B_S1B_jjS1D_bEUljE0_EEESW_SX_SY_S15_S19_S1B_T6_T7_T9_mT8_S1D_bDpT10_ENKUlT_T0_E_clISt17integral_constantIbLb0EES1R_EEDaS1M_S1N_EUlS1M_E_NS1_11comp_targetILNS1_3genE3ELNS1_11target_archE908ELNS1_3gpuE7ELNS1_3repE0EEENS1_30default_config_static_selectorELNS0_4arch9wavefront6targetE1EEEvSZ_.numbered_sgpr, 0
	.set _ZN7rocprim17ROCPRIM_400000_NS6detail17trampoline_kernelINS0_13select_configILj256ELj13ELNS0_17block_load_methodE3ELS4_3ELS4_3ELNS0_20block_scan_algorithmE0ELj4294967295EEENS1_25partition_config_selectorILNS1_17partition_subalgoE4EjNS0_10empty_typeEbEEZZNS1_14partition_implILS8_4ELb0ES6_15HIP_vector_typeIjLj2EENS0_17counting_iteratorIjlEEPS9_SG_NS0_5tupleIJPjSI_NS0_16reverse_iteratorISI_EEEEENSH_IJSG_SG_SG_EEES9_SI_JZNS1_25segmented_radix_sort_implINS0_14default_configELb1EPKlPlSQ_SR_N2at6native12_GLOBAL__N_18offset_tEEE10hipError_tPvRmT1_PNSt15iterator_traitsISZ_E10value_typeET2_T3_PNS10_IS15_E10value_typeET4_jRbjT5_S1B_jjP12ihipStream_tbEUljE_ZNSN_ISO_Lb1ESQ_SR_SQ_SR_SV_EESW_SX_SY_SZ_S13_S14_S15_S18_S19_jS1A_jS1B_S1B_jjS1D_bEUljE0_EEESW_SX_SY_S15_S19_S1B_T6_T7_T9_mT8_S1D_bDpT10_ENKUlT_T0_E_clISt17integral_constantIbLb0EES1R_EEDaS1M_S1N_EUlS1M_E_NS1_11comp_targetILNS1_3genE3ELNS1_11target_archE908ELNS1_3gpuE7ELNS1_3repE0EEENS1_30default_config_static_selectorELNS0_4arch9wavefront6targetE1EEEvSZ_.num_named_barrier, 0
	.set _ZN7rocprim17ROCPRIM_400000_NS6detail17trampoline_kernelINS0_13select_configILj256ELj13ELNS0_17block_load_methodE3ELS4_3ELS4_3ELNS0_20block_scan_algorithmE0ELj4294967295EEENS1_25partition_config_selectorILNS1_17partition_subalgoE4EjNS0_10empty_typeEbEEZZNS1_14partition_implILS8_4ELb0ES6_15HIP_vector_typeIjLj2EENS0_17counting_iteratorIjlEEPS9_SG_NS0_5tupleIJPjSI_NS0_16reverse_iteratorISI_EEEEENSH_IJSG_SG_SG_EEES9_SI_JZNS1_25segmented_radix_sort_implINS0_14default_configELb1EPKlPlSQ_SR_N2at6native12_GLOBAL__N_18offset_tEEE10hipError_tPvRmT1_PNSt15iterator_traitsISZ_E10value_typeET2_T3_PNS10_IS15_E10value_typeET4_jRbjT5_S1B_jjP12ihipStream_tbEUljE_ZNSN_ISO_Lb1ESQ_SR_SQ_SR_SV_EESW_SX_SY_SZ_S13_S14_S15_S18_S19_jS1A_jS1B_S1B_jjS1D_bEUljE0_EEESW_SX_SY_S15_S19_S1B_T6_T7_T9_mT8_S1D_bDpT10_ENKUlT_T0_E_clISt17integral_constantIbLb0EES1R_EEDaS1M_S1N_EUlS1M_E_NS1_11comp_targetILNS1_3genE3ELNS1_11target_archE908ELNS1_3gpuE7ELNS1_3repE0EEENS1_30default_config_static_selectorELNS0_4arch9wavefront6targetE1EEEvSZ_.private_seg_size, 0
	.set _ZN7rocprim17ROCPRIM_400000_NS6detail17trampoline_kernelINS0_13select_configILj256ELj13ELNS0_17block_load_methodE3ELS4_3ELS4_3ELNS0_20block_scan_algorithmE0ELj4294967295EEENS1_25partition_config_selectorILNS1_17partition_subalgoE4EjNS0_10empty_typeEbEEZZNS1_14partition_implILS8_4ELb0ES6_15HIP_vector_typeIjLj2EENS0_17counting_iteratorIjlEEPS9_SG_NS0_5tupleIJPjSI_NS0_16reverse_iteratorISI_EEEEENSH_IJSG_SG_SG_EEES9_SI_JZNS1_25segmented_radix_sort_implINS0_14default_configELb1EPKlPlSQ_SR_N2at6native12_GLOBAL__N_18offset_tEEE10hipError_tPvRmT1_PNSt15iterator_traitsISZ_E10value_typeET2_T3_PNS10_IS15_E10value_typeET4_jRbjT5_S1B_jjP12ihipStream_tbEUljE_ZNSN_ISO_Lb1ESQ_SR_SQ_SR_SV_EESW_SX_SY_SZ_S13_S14_S15_S18_S19_jS1A_jS1B_S1B_jjS1D_bEUljE0_EEESW_SX_SY_S15_S19_S1B_T6_T7_T9_mT8_S1D_bDpT10_ENKUlT_T0_E_clISt17integral_constantIbLb0EES1R_EEDaS1M_S1N_EUlS1M_E_NS1_11comp_targetILNS1_3genE3ELNS1_11target_archE908ELNS1_3gpuE7ELNS1_3repE0EEENS1_30default_config_static_selectorELNS0_4arch9wavefront6targetE1EEEvSZ_.uses_vcc, 0
	.set _ZN7rocprim17ROCPRIM_400000_NS6detail17trampoline_kernelINS0_13select_configILj256ELj13ELNS0_17block_load_methodE3ELS4_3ELS4_3ELNS0_20block_scan_algorithmE0ELj4294967295EEENS1_25partition_config_selectorILNS1_17partition_subalgoE4EjNS0_10empty_typeEbEEZZNS1_14partition_implILS8_4ELb0ES6_15HIP_vector_typeIjLj2EENS0_17counting_iteratorIjlEEPS9_SG_NS0_5tupleIJPjSI_NS0_16reverse_iteratorISI_EEEEENSH_IJSG_SG_SG_EEES9_SI_JZNS1_25segmented_radix_sort_implINS0_14default_configELb1EPKlPlSQ_SR_N2at6native12_GLOBAL__N_18offset_tEEE10hipError_tPvRmT1_PNSt15iterator_traitsISZ_E10value_typeET2_T3_PNS10_IS15_E10value_typeET4_jRbjT5_S1B_jjP12ihipStream_tbEUljE_ZNSN_ISO_Lb1ESQ_SR_SQ_SR_SV_EESW_SX_SY_SZ_S13_S14_S15_S18_S19_jS1A_jS1B_S1B_jjS1D_bEUljE0_EEESW_SX_SY_S15_S19_S1B_T6_T7_T9_mT8_S1D_bDpT10_ENKUlT_T0_E_clISt17integral_constantIbLb0EES1R_EEDaS1M_S1N_EUlS1M_E_NS1_11comp_targetILNS1_3genE3ELNS1_11target_archE908ELNS1_3gpuE7ELNS1_3repE0EEENS1_30default_config_static_selectorELNS0_4arch9wavefront6targetE1EEEvSZ_.uses_flat_scratch, 0
	.set _ZN7rocprim17ROCPRIM_400000_NS6detail17trampoline_kernelINS0_13select_configILj256ELj13ELNS0_17block_load_methodE3ELS4_3ELS4_3ELNS0_20block_scan_algorithmE0ELj4294967295EEENS1_25partition_config_selectorILNS1_17partition_subalgoE4EjNS0_10empty_typeEbEEZZNS1_14partition_implILS8_4ELb0ES6_15HIP_vector_typeIjLj2EENS0_17counting_iteratorIjlEEPS9_SG_NS0_5tupleIJPjSI_NS0_16reverse_iteratorISI_EEEEENSH_IJSG_SG_SG_EEES9_SI_JZNS1_25segmented_radix_sort_implINS0_14default_configELb1EPKlPlSQ_SR_N2at6native12_GLOBAL__N_18offset_tEEE10hipError_tPvRmT1_PNSt15iterator_traitsISZ_E10value_typeET2_T3_PNS10_IS15_E10value_typeET4_jRbjT5_S1B_jjP12ihipStream_tbEUljE_ZNSN_ISO_Lb1ESQ_SR_SQ_SR_SV_EESW_SX_SY_SZ_S13_S14_S15_S18_S19_jS1A_jS1B_S1B_jjS1D_bEUljE0_EEESW_SX_SY_S15_S19_S1B_T6_T7_T9_mT8_S1D_bDpT10_ENKUlT_T0_E_clISt17integral_constantIbLb0EES1R_EEDaS1M_S1N_EUlS1M_E_NS1_11comp_targetILNS1_3genE3ELNS1_11target_archE908ELNS1_3gpuE7ELNS1_3repE0EEENS1_30default_config_static_selectorELNS0_4arch9wavefront6targetE1EEEvSZ_.has_dyn_sized_stack, 0
	.set _ZN7rocprim17ROCPRIM_400000_NS6detail17trampoline_kernelINS0_13select_configILj256ELj13ELNS0_17block_load_methodE3ELS4_3ELS4_3ELNS0_20block_scan_algorithmE0ELj4294967295EEENS1_25partition_config_selectorILNS1_17partition_subalgoE4EjNS0_10empty_typeEbEEZZNS1_14partition_implILS8_4ELb0ES6_15HIP_vector_typeIjLj2EENS0_17counting_iteratorIjlEEPS9_SG_NS0_5tupleIJPjSI_NS0_16reverse_iteratorISI_EEEEENSH_IJSG_SG_SG_EEES9_SI_JZNS1_25segmented_radix_sort_implINS0_14default_configELb1EPKlPlSQ_SR_N2at6native12_GLOBAL__N_18offset_tEEE10hipError_tPvRmT1_PNSt15iterator_traitsISZ_E10value_typeET2_T3_PNS10_IS15_E10value_typeET4_jRbjT5_S1B_jjP12ihipStream_tbEUljE_ZNSN_ISO_Lb1ESQ_SR_SQ_SR_SV_EESW_SX_SY_SZ_S13_S14_S15_S18_S19_jS1A_jS1B_S1B_jjS1D_bEUljE0_EEESW_SX_SY_S15_S19_S1B_T6_T7_T9_mT8_S1D_bDpT10_ENKUlT_T0_E_clISt17integral_constantIbLb0EES1R_EEDaS1M_S1N_EUlS1M_E_NS1_11comp_targetILNS1_3genE3ELNS1_11target_archE908ELNS1_3gpuE7ELNS1_3repE0EEENS1_30default_config_static_selectorELNS0_4arch9wavefront6targetE1EEEvSZ_.has_recursion, 0
	.set _ZN7rocprim17ROCPRIM_400000_NS6detail17trampoline_kernelINS0_13select_configILj256ELj13ELNS0_17block_load_methodE3ELS4_3ELS4_3ELNS0_20block_scan_algorithmE0ELj4294967295EEENS1_25partition_config_selectorILNS1_17partition_subalgoE4EjNS0_10empty_typeEbEEZZNS1_14partition_implILS8_4ELb0ES6_15HIP_vector_typeIjLj2EENS0_17counting_iteratorIjlEEPS9_SG_NS0_5tupleIJPjSI_NS0_16reverse_iteratorISI_EEEEENSH_IJSG_SG_SG_EEES9_SI_JZNS1_25segmented_radix_sort_implINS0_14default_configELb1EPKlPlSQ_SR_N2at6native12_GLOBAL__N_18offset_tEEE10hipError_tPvRmT1_PNSt15iterator_traitsISZ_E10value_typeET2_T3_PNS10_IS15_E10value_typeET4_jRbjT5_S1B_jjP12ihipStream_tbEUljE_ZNSN_ISO_Lb1ESQ_SR_SQ_SR_SV_EESW_SX_SY_SZ_S13_S14_S15_S18_S19_jS1A_jS1B_S1B_jjS1D_bEUljE0_EEESW_SX_SY_S15_S19_S1B_T6_T7_T9_mT8_S1D_bDpT10_ENKUlT_T0_E_clISt17integral_constantIbLb0EES1R_EEDaS1M_S1N_EUlS1M_E_NS1_11comp_targetILNS1_3genE3ELNS1_11target_archE908ELNS1_3gpuE7ELNS1_3repE0EEENS1_30default_config_static_selectorELNS0_4arch9wavefront6targetE1EEEvSZ_.has_indirect_call, 0
	.section	.AMDGPU.csdata,"",@progbits
; Kernel info:
; codeLenInByte = 0
; TotalNumSgprs: 4
; NumVgprs: 0
; ScratchSize: 0
; MemoryBound: 0
; FloatMode: 240
; IeeeMode: 1
; LDSByteSize: 0 bytes/workgroup (compile time only)
; SGPRBlocks: 0
; VGPRBlocks: 0
; NumSGPRsForWavesPerEU: 4
; NumVGPRsForWavesPerEU: 1
; Occupancy: 10
; WaveLimiterHint : 0
; COMPUTE_PGM_RSRC2:SCRATCH_EN: 0
; COMPUTE_PGM_RSRC2:USER_SGPR: 6
; COMPUTE_PGM_RSRC2:TRAP_HANDLER: 0
; COMPUTE_PGM_RSRC2:TGID_X_EN: 1
; COMPUTE_PGM_RSRC2:TGID_Y_EN: 0
; COMPUTE_PGM_RSRC2:TGID_Z_EN: 0
; COMPUTE_PGM_RSRC2:TIDIG_COMP_CNT: 0
	.section	.text._ZN7rocprim17ROCPRIM_400000_NS6detail17trampoline_kernelINS0_13select_configILj256ELj13ELNS0_17block_load_methodE3ELS4_3ELS4_3ELNS0_20block_scan_algorithmE0ELj4294967295EEENS1_25partition_config_selectorILNS1_17partition_subalgoE4EjNS0_10empty_typeEbEEZZNS1_14partition_implILS8_4ELb0ES6_15HIP_vector_typeIjLj2EENS0_17counting_iteratorIjlEEPS9_SG_NS0_5tupleIJPjSI_NS0_16reverse_iteratorISI_EEEEENSH_IJSG_SG_SG_EEES9_SI_JZNS1_25segmented_radix_sort_implINS0_14default_configELb1EPKlPlSQ_SR_N2at6native12_GLOBAL__N_18offset_tEEE10hipError_tPvRmT1_PNSt15iterator_traitsISZ_E10value_typeET2_T3_PNS10_IS15_E10value_typeET4_jRbjT5_S1B_jjP12ihipStream_tbEUljE_ZNSN_ISO_Lb1ESQ_SR_SQ_SR_SV_EESW_SX_SY_SZ_S13_S14_S15_S18_S19_jS1A_jS1B_S1B_jjS1D_bEUljE0_EEESW_SX_SY_S15_S19_S1B_T6_T7_T9_mT8_S1D_bDpT10_ENKUlT_T0_E_clISt17integral_constantIbLb0EES1R_EEDaS1M_S1N_EUlS1M_E_NS1_11comp_targetILNS1_3genE2ELNS1_11target_archE906ELNS1_3gpuE6ELNS1_3repE0EEENS1_30default_config_static_selectorELNS0_4arch9wavefront6targetE1EEEvSZ_,"axG",@progbits,_ZN7rocprim17ROCPRIM_400000_NS6detail17trampoline_kernelINS0_13select_configILj256ELj13ELNS0_17block_load_methodE3ELS4_3ELS4_3ELNS0_20block_scan_algorithmE0ELj4294967295EEENS1_25partition_config_selectorILNS1_17partition_subalgoE4EjNS0_10empty_typeEbEEZZNS1_14partition_implILS8_4ELb0ES6_15HIP_vector_typeIjLj2EENS0_17counting_iteratorIjlEEPS9_SG_NS0_5tupleIJPjSI_NS0_16reverse_iteratorISI_EEEEENSH_IJSG_SG_SG_EEES9_SI_JZNS1_25segmented_radix_sort_implINS0_14default_configELb1EPKlPlSQ_SR_N2at6native12_GLOBAL__N_18offset_tEEE10hipError_tPvRmT1_PNSt15iterator_traitsISZ_E10value_typeET2_T3_PNS10_IS15_E10value_typeET4_jRbjT5_S1B_jjP12ihipStream_tbEUljE_ZNSN_ISO_Lb1ESQ_SR_SQ_SR_SV_EESW_SX_SY_SZ_S13_S14_S15_S18_S19_jS1A_jS1B_S1B_jjS1D_bEUljE0_EEESW_SX_SY_S15_S19_S1B_T6_T7_T9_mT8_S1D_bDpT10_ENKUlT_T0_E_clISt17integral_constantIbLb0EES1R_EEDaS1M_S1N_EUlS1M_E_NS1_11comp_targetILNS1_3genE2ELNS1_11target_archE906ELNS1_3gpuE6ELNS1_3repE0EEENS1_30default_config_static_selectorELNS0_4arch9wavefront6targetE1EEEvSZ_,comdat
	.globl	_ZN7rocprim17ROCPRIM_400000_NS6detail17trampoline_kernelINS0_13select_configILj256ELj13ELNS0_17block_load_methodE3ELS4_3ELS4_3ELNS0_20block_scan_algorithmE0ELj4294967295EEENS1_25partition_config_selectorILNS1_17partition_subalgoE4EjNS0_10empty_typeEbEEZZNS1_14partition_implILS8_4ELb0ES6_15HIP_vector_typeIjLj2EENS0_17counting_iteratorIjlEEPS9_SG_NS0_5tupleIJPjSI_NS0_16reverse_iteratorISI_EEEEENSH_IJSG_SG_SG_EEES9_SI_JZNS1_25segmented_radix_sort_implINS0_14default_configELb1EPKlPlSQ_SR_N2at6native12_GLOBAL__N_18offset_tEEE10hipError_tPvRmT1_PNSt15iterator_traitsISZ_E10value_typeET2_T3_PNS10_IS15_E10value_typeET4_jRbjT5_S1B_jjP12ihipStream_tbEUljE_ZNSN_ISO_Lb1ESQ_SR_SQ_SR_SV_EESW_SX_SY_SZ_S13_S14_S15_S18_S19_jS1A_jS1B_S1B_jjS1D_bEUljE0_EEESW_SX_SY_S15_S19_S1B_T6_T7_T9_mT8_S1D_bDpT10_ENKUlT_T0_E_clISt17integral_constantIbLb0EES1R_EEDaS1M_S1N_EUlS1M_E_NS1_11comp_targetILNS1_3genE2ELNS1_11target_archE906ELNS1_3gpuE6ELNS1_3repE0EEENS1_30default_config_static_selectorELNS0_4arch9wavefront6targetE1EEEvSZ_ ; -- Begin function _ZN7rocprim17ROCPRIM_400000_NS6detail17trampoline_kernelINS0_13select_configILj256ELj13ELNS0_17block_load_methodE3ELS4_3ELS4_3ELNS0_20block_scan_algorithmE0ELj4294967295EEENS1_25partition_config_selectorILNS1_17partition_subalgoE4EjNS0_10empty_typeEbEEZZNS1_14partition_implILS8_4ELb0ES6_15HIP_vector_typeIjLj2EENS0_17counting_iteratorIjlEEPS9_SG_NS0_5tupleIJPjSI_NS0_16reverse_iteratorISI_EEEEENSH_IJSG_SG_SG_EEES9_SI_JZNS1_25segmented_radix_sort_implINS0_14default_configELb1EPKlPlSQ_SR_N2at6native12_GLOBAL__N_18offset_tEEE10hipError_tPvRmT1_PNSt15iterator_traitsISZ_E10value_typeET2_T3_PNS10_IS15_E10value_typeET4_jRbjT5_S1B_jjP12ihipStream_tbEUljE_ZNSN_ISO_Lb1ESQ_SR_SQ_SR_SV_EESW_SX_SY_SZ_S13_S14_S15_S18_S19_jS1A_jS1B_S1B_jjS1D_bEUljE0_EEESW_SX_SY_S15_S19_S1B_T6_T7_T9_mT8_S1D_bDpT10_ENKUlT_T0_E_clISt17integral_constantIbLb0EES1R_EEDaS1M_S1N_EUlS1M_E_NS1_11comp_targetILNS1_3genE2ELNS1_11target_archE906ELNS1_3gpuE6ELNS1_3repE0EEENS1_30default_config_static_selectorELNS0_4arch9wavefront6targetE1EEEvSZ_
	.p2align	8
	.type	_ZN7rocprim17ROCPRIM_400000_NS6detail17trampoline_kernelINS0_13select_configILj256ELj13ELNS0_17block_load_methodE3ELS4_3ELS4_3ELNS0_20block_scan_algorithmE0ELj4294967295EEENS1_25partition_config_selectorILNS1_17partition_subalgoE4EjNS0_10empty_typeEbEEZZNS1_14partition_implILS8_4ELb0ES6_15HIP_vector_typeIjLj2EENS0_17counting_iteratorIjlEEPS9_SG_NS0_5tupleIJPjSI_NS0_16reverse_iteratorISI_EEEEENSH_IJSG_SG_SG_EEES9_SI_JZNS1_25segmented_radix_sort_implINS0_14default_configELb1EPKlPlSQ_SR_N2at6native12_GLOBAL__N_18offset_tEEE10hipError_tPvRmT1_PNSt15iterator_traitsISZ_E10value_typeET2_T3_PNS10_IS15_E10value_typeET4_jRbjT5_S1B_jjP12ihipStream_tbEUljE_ZNSN_ISO_Lb1ESQ_SR_SQ_SR_SV_EESW_SX_SY_SZ_S13_S14_S15_S18_S19_jS1A_jS1B_S1B_jjS1D_bEUljE0_EEESW_SX_SY_S15_S19_S1B_T6_T7_T9_mT8_S1D_bDpT10_ENKUlT_T0_E_clISt17integral_constantIbLb0EES1R_EEDaS1M_S1N_EUlS1M_E_NS1_11comp_targetILNS1_3genE2ELNS1_11target_archE906ELNS1_3gpuE6ELNS1_3repE0EEENS1_30default_config_static_selectorELNS0_4arch9wavefront6targetE1EEEvSZ_,@function
_ZN7rocprim17ROCPRIM_400000_NS6detail17trampoline_kernelINS0_13select_configILj256ELj13ELNS0_17block_load_methodE3ELS4_3ELS4_3ELNS0_20block_scan_algorithmE0ELj4294967295EEENS1_25partition_config_selectorILNS1_17partition_subalgoE4EjNS0_10empty_typeEbEEZZNS1_14partition_implILS8_4ELb0ES6_15HIP_vector_typeIjLj2EENS0_17counting_iteratorIjlEEPS9_SG_NS0_5tupleIJPjSI_NS0_16reverse_iteratorISI_EEEEENSH_IJSG_SG_SG_EEES9_SI_JZNS1_25segmented_radix_sort_implINS0_14default_configELb1EPKlPlSQ_SR_N2at6native12_GLOBAL__N_18offset_tEEE10hipError_tPvRmT1_PNSt15iterator_traitsISZ_E10value_typeET2_T3_PNS10_IS15_E10value_typeET4_jRbjT5_S1B_jjP12ihipStream_tbEUljE_ZNSN_ISO_Lb1ESQ_SR_SQ_SR_SV_EESW_SX_SY_SZ_S13_S14_S15_S18_S19_jS1A_jS1B_S1B_jjS1D_bEUljE0_EEESW_SX_SY_S15_S19_S1B_T6_T7_T9_mT8_S1D_bDpT10_ENKUlT_T0_E_clISt17integral_constantIbLb0EES1R_EEDaS1M_S1N_EUlS1M_E_NS1_11comp_targetILNS1_3genE2ELNS1_11target_archE906ELNS1_3gpuE6ELNS1_3repE0EEENS1_30default_config_static_selectorELNS0_4arch9wavefront6targetE1EEEvSZ_: ; @_ZN7rocprim17ROCPRIM_400000_NS6detail17trampoline_kernelINS0_13select_configILj256ELj13ELNS0_17block_load_methodE3ELS4_3ELS4_3ELNS0_20block_scan_algorithmE0ELj4294967295EEENS1_25partition_config_selectorILNS1_17partition_subalgoE4EjNS0_10empty_typeEbEEZZNS1_14partition_implILS8_4ELb0ES6_15HIP_vector_typeIjLj2EENS0_17counting_iteratorIjlEEPS9_SG_NS0_5tupleIJPjSI_NS0_16reverse_iteratorISI_EEEEENSH_IJSG_SG_SG_EEES9_SI_JZNS1_25segmented_radix_sort_implINS0_14default_configELb1EPKlPlSQ_SR_N2at6native12_GLOBAL__N_18offset_tEEE10hipError_tPvRmT1_PNSt15iterator_traitsISZ_E10value_typeET2_T3_PNS10_IS15_E10value_typeET4_jRbjT5_S1B_jjP12ihipStream_tbEUljE_ZNSN_ISO_Lb1ESQ_SR_SQ_SR_SV_EESW_SX_SY_SZ_S13_S14_S15_S18_S19_jS1A_jS1B_S1B_jjS1D_bEUljE0_EEESW_SX_SY_S15_S19_S1B_T6_T7_T9_mT8_S1D_bDpT10_ENKUlT_T0_E_clISt17integral_constantIbLb0EES1R_EEDaS1M_S1N_EUlS1M_E_NS1_11comp_targetILNS1_3genE2ELNS1_11target_archE906ELNS1_3gpuE6ELNS1_3repE0EEENS1_30default_config_static_selectorELNS0_4arch9wavefront6targetE1EEEvSZ_
; %bb.0:
	s_load_dwordx2 s[0:1], s[4:5], 0x68
	s_load_dwordx4 s[44:47], s[4:5], 0x58
	s_load_dword s8, s[4:5], 0x8
	s_load_dwordx2 s[56:57], s[4:5], 0x10
	s_load_dword s7, s[4:5], 0x80
	s_load_dwordx2 s[58:59], s[4:5], 0xa8
	s_load_dwordx8 s[36:43], s[4:5], 0x88
	s_waitcnt lgkmcnt(0)
	s_load_dwordx4 s[48:51], s[46:47], 0x0
	s_mul_i32 s33, s6, 0xd00
	s_add_i32 s9, s7, -1
	s_mulk_i32 s7, 0xd00
	s_add_u32 s2, s56, s7
	s_addc_u32 s3, s57, 0
	v_mov_b32_e32 v1, s2
	v_mov_b32_e32 v2, s3
	s_cmp_eq_u32 s6, s9
	v_cmp_gt_u64_e32 vcc, s[0:1], v[1:2]
	s_cselect_b64 s[34:35], -1, 0
	s_cmp_lg_u32 s6, s9
	s_cselect_b64 s[2:3], -1, 0
	s_add_i32 s1, s8, s33
	s_or_b64 s[2:3], s[2:3], vcc
	s_add_i32 s1, s1, s56
	s_mov_b64 s[8:9], -1
	s_and_b64 vcc, exec, s[2:3]
	v_add_u32_e32 v1, s1, v0
	s_cbranch_vccz .LBB644_2
; %bb.1:
	v_add_u32_e32 v2, 0x100, v1
	v_lshlrev_b32_e32 v14, 2, v0
	v_add_u32_e32 v3, 0x200, v1
	v_add_u32_e32 v4, 0x300, v1
	;; [unrolled: 1-line block ×11, first 2 shown]
	ds_write2st64_b32 v14, v1, v2 offset1:4
	ds_write2st64_b32 v14, v3, v4 offset0:8 offset1:12
	ds_write2st64_b32 v14, v5, v6 offset0:16 offset1:20
	;; [unrolled: 1-line block ×5, first 2 shown]
	ds_write_b32 v14, v13 offset:12288
	s_waitcnt lgkmcnt(0)
	s_barrier
	s_mov_b64 s[8:9], 0
.LBB644_2:
	s_andn2_b64 vcc, exec, s[8:9]
	s_add_i32 s7, s7, s56
	s_cbranch_vccnz .LBB644_4
; %bb.3:
	v_add_u32_e32 v2, 0x100, v1
	v_lshlrev_b32_e32 v14, 2, v0
	v_add_u32_e32 v3, 0x200, v1
	v_add_u32_e32 v4, 0x300, v1
	;; [unrolled: 1-line block ×11, first 2 shown]
	ds_write2st64_b32 v14, v1, v2 offset1:4
	ds_write2st64_b32 v14, v3, v4 offset0:8 offset1:12
	ds_write2st64_b32 v14, v5, v6 offset0:16 offset1:20
	;; [unrolled: 1-line block ×5, first 2 shown]
	ds_write_b32 v14, v13 offset:12288
	s_waitcnt lgkmcnt(0)
	s_barrier
.LBB644_4:
	v_mul_u32_u24_e32 v30, 13, v0
	v_lshlrev_b32_e32 v1, 2, v30
	s_load_dwordx4 s[52:55], s[4:5], 0x28
	s_load_dwordx2 s[46:47], s[4:5], 0x38
	s_waitcnt lgkmcnt(0)
	ds_read_b32 v29, v1 offset:48
	ds_read2_b32 v[9:10], v1 offset0:10 offset1:11
	ds_read2_b32 v[11:12], v1 offset0:8 offset1:9
	;; [unrolled: 1-line block ×4, first 2 shown]
	ds_read2_b32 v[19:20], v1 offset1:1
	ds_read2_b32 v[17:18], v1 offset0:2 offset1:3
	v_cndmask_b32_e64 v1, 0, 1, s[2:3]
	s_sub_i32 s7, s0, s7
	v_cmp_ne_u32_e64 s[0:1], 1, v1
	s_andn2_b64 vcc, exec, s[2:3]
	s_waitcnt lgkmcnt(0)
	s_barrier
	s_cbranch_vccnz .LBB644_32
; %bb.5:
	v_add_u32_e32 v1, s37, v19
	v_add_u32_e32 v2, s39, v19
	v_mul_lo_u32 v1, v1, s36
	v_mul_lo_u32 v2, v2, s38
	s_mov_b64 s[62:63], 0
	s_mov_b64 s[60:61], 0
	v_sub_u32_e32 v1, v1, v2
	v_cmp_lt_u32_e32 vcc, s40, v1
	v_cmp_ge_u32_e64 s[2:3], s40, v1
	s_and_saveexec_b64 s[8:9], s[2:3]
	s_cbranch_execz .LBB644_7
; %bb.6:
	v_add_u32_e32 v1, s42, v19
	v_add_u32_e32 v2, s58, v19
	v_mul_lo_u32 v1, v1, s41
	v_mul_lo_u32 v2, v2, s43
	v_sub_u32_e32 v1, v1, v2
	v_cmp_lt_u32_e64 s[2:3], s59, v1
	s_and_b64 s[60:61], s[2:3], exec
.LBB644_7:
	s_or_b64 exec, exec, s[8:9]
	v_add_u32_e32 v1, s37, v20
	v_add_u32_e32 v2, s39, v20
	v_mul_lo_u32 v1, v1, s36
	v_mul_lo_u32 v2, v2, s38
	v_sub_u32_e32 v1, v1, v2
	v_cmp_lt_u32_e64 s[2:3], s40, v1
	v_cmp_ge_u32_e64 s[8:9], s40, v1
	s_and_saveexec_b64 s[10:11], s[8:9]
	s_cbranch_execz .LBB644_9
; %bb.8:
	v_add_u32_e32 v1, s42, v20
	v_add_u32_e32 v2, s58, v20
	v_mul_lo_u32 v1, v1, s41
	v_mul_lo_u32 v2, v2, s43
	v_sub_u32_e32 v1, v1, v2
	v_cmp_lt_u32_e64 s[8:9], s59, v1
	s_and_b64 s[62:63], s[8:9], exec
.LBB644_9:
	s_or_b64 exec, exec, s[10:11]
	v_add_u32_e32 v1, s37, v17
	v_add_u32_e32 v2, s39, v17
	v_mul_lo_u32 v1, v1, s36
	v_mul_lo_u32 v2, v2, s38
	s_mov_b64 s[66:67], 0
	s_mov_b64 s[64:65], 0
	v_sub_u32_e32 v1, v1, v2
	v_cmp_lt_u32_e64 s[28:29], s40, v1
	v_cmp_ge_u32_e64 s[8:9], s40, v1
	s_and_saveexec_b64 s[10:11], s[8:9]
	s_cbranch_execz .LBB644_11
; %bb.10:
	v_add_u32_e32 v1, s42, v17
	v_add_u32_e32 v2, s58, v17
	v_mul_lo_u32 v1, v1, s41
	v_mul_lo_u32 v2, v2, s43
	v_sub_u32_e32 v1, v1, v2
	v_cmp_lt_u32_e64 s[8:9], s59, v1
	s_and_b64 s[64:65], s[8:9], exec
.LBB644_11:
	s_or_b64 exec, exec, s[10:11]
	v_add_u32_e32 v1, s37, v18
	v_add_u32_e32 v2, s39, v18
	v_mul_lo_u32 v1, v1, s36
	v_mul_lo_u32 v2, v2, s38
	v_sub_u32_e32 v1, v1, v2
	v_cmp_lt_u32_e64 s[8:9], s40, v1
	v_cmp_ge_u32_e64 s[10:11], s40, v1
	s_and_saveexec_b64 s[12:13], s[10:11]
	s_cbranch_execz .LBB644_13
; %bb.12:
	v_add_u32_e32 v1, s42, v18
	v_add_u32_e32 v2, s58, v18
	v_mul_lo_u32 v1, v1, s41
	v_mul_lo_u32 v2, v2, s43
	v_sub_u32_e32 v1, v1, v2
	v_cmp_lt_u32_e64 s[10:11], s59, v1
	s_and_b64 s[66:67], s[10:11], exec
.LBB644_13:
	s_or_b64 exec, exec, s[12:13]
	v_add_u32_e32 v1, s37, v15
	v_add_u32_e32 v2, s39, v15
	v_mul_lo_u32 v1, v1, s36
	v_mul_lo_u32 v2, v2, s38
	s_mov_b64 s[70:71], 0
	s_mov_b64 s[68:69], 0
	v_sub_u32_e32 v1, v1, v2
	v_cmp_lt_u32_e64 s[10:11], s40, v1
	;; [unrolled: 40-line block ×6, first 2 shown]
	v_cmp_ge_u32_e64 s[30:31], s40, v1
	s_and_saveexec_b64 s[88:89], s[30:31]
	s_cbranch_execz .LBB644_31
; %bb.30:
	v_add_u32_e32 v1, s42, v29
	v_add_u32_e32 v2, s58, v29
	v_mul_lo_u32 v1, v1, s41
	v_mul_lo_u32 v2, v2, s43
	v_sub_u32_e32 v1, v1, v2
	v_cmp_lt_u32_e64 s[30:31], s59, v1
	s_and_b64 s[86:87], s[30:31], exec
.LBB644_31:
	s_or_b64 exec, exec, s[88:89]
	v_cndmask_b32_e64 v2, 0, 1, s[2:3]
	v_cndmask_b32_e64 v1, 0, 1, vcc
	v_cndmask_b32_e64 v4, 0, 1, s[8:9]
	v_lshlrev_b16_e32 v2, 8, v2
	v_cndmask_b32_e64 v3, 0, 1, s[28:29]
	v_or_b32_e32 v1, v1, v2
	v_lshlrev_b16_e32 v2, 8, v4
	v_cndmask_b32_e64 v6, 0, 1, s[12:13]
	v_cndmask_b32_e64 v8, 0, 1, s[16:17]
	v_or_b32_sdwa v2, v3, v2 dst_sel:WORD_1 dst_unused:UNUSED_PAD src0_sel:DWORD src1_sel:DWORD
	v_cndmask_b32_e64 v5, 0, 1, s[10:11]
	v_cndmask_b32_e64 v7, 0, 1, s[14:15]
	v_or_b32_sdwa v31, v1, v2 dst_sel:DWORD dst_unused:UNUSED_PAD src0_sel:WORD_0 src1_sel:DWORD
	v_lshlrev_b16_e32 v1, 8, v6
	v_lshlrev_b16_e32 v2, 8, v8
	v_cndmask_b32_e64 v22, 0, 1, s[20:21]
	v_cndmask_b32_e64 v25, 0, 1, s[24:25]
	v_or_b32_e32 v1, v5, v1
	v_or_b32_sdwa v2, v7, v2 dst_sel:WORD_1 dst_unused:UNUSED_PAD src0_sel:DWORD src1_sel:DWORD
	v_cndmask_b32_e64 v21, 0, 1, s[18:19]
	v_cndmask_b32_e64 v23, 0, 1, s[22:23]
	v_or_b32_sdwa v33, v1, v2 dst_sel:DWORD dst_unused:UNUSED_PAD src0_sel:WORD_0 src1_sel:DWORD
	v_lshlrev_b16_e32 v1, 8, v22
	v_lshlrev_b16_e32 v2, 8, v25
	v_cndmask_b32_e64 v37, 0, 1, s[64:65]
	v_cndmask_b32_e64 v42, 0, 1, s[60:61]
	v_or_b32_e32 v1, v21, v1
	;; [unrolled: 9-line block ×4, first 2 shown]
	v_or_b32_sdwa v2, v34, v2 dst_sel:WORD_1 dst_unused:UNUSED_PAD src0_sel:DWORD src1_sel:DWORD
	v_cndmask_b32_e64 v26, 0, 1, s[78:79]
	v_cndmask_b32_e64 v28, 0, 1, s[74:75]
	v_or_b32_sdwa v32, v1, v2 dst_sel:DWORD dst_unused:UNUSED_PAD src0_sel:WORD_0 src1_sel:DWORD
	v_lshlrev_b16_e32 v1, 8, v27
	v_lshlrev_b16_e32 v2, 8, v24
	v_or_b32_e32 v1, v28, v1
	v_or_b32_sdwa v2, v26, v2 dst_sel:WORD_1 dst_unused:UNUSED_PAD src0_sel:DWORD src1_sel:DWORD
	v_cndmask_b32_e64 v35, 0, 1, s[82:83]
	v_cndmask_b32_e64 v38, 0, 1, s[86:87]
	v_or_b32_sdwa v34, v1, v2 dst_sel:DWORD dst_unused:UNUSED_PAD src0_sel:WORD_0 src1_sel:DWORD
	s_load_dwordx2 s[12:13], s[4:5], 0x78
	s_add_i32 s18, s7, 0xd00
	s_and_b64 vcc, exec, s[80:81]
	s_cbranch_vccnz .LBB644_33
	s_branch .LBB644_110
.LBB644_32:
                                        ; implicit-def: $vgpr38
                                        ; implicit-def: $vgpr35
                                        ; implicit-def: $vgpr34
                                        ; implicit-def: $vgpr32
                                        ; implicit-def: $vgpr37
                                        ; implicit-def: $vgpr36
                                        ; implicit-def: $vgpr33
                                        ; implicit-def: $vgpr31
	s_load_dwordx2 s[12:13], s[4:5], 0x78
	s_add_i32 s18, s7, 0xd00
	s_cbranch_execz .LBB644_110
.LBB644_33:
	v_cmp_gt_u32_e32 vcc, s18, v30
	v_mov_b32_e32 v2, 0
	v_mov_b32_e32 v1, 0
	s_and_saveexec_b64 s[4:5], vcc
	s_cbranch_execz .LBB644_37
; %bb.34:
	v_add_u32_e32 v1, s37, v19
	v_add_u32_e32 v2, s39, v19
	v_mul_lo_u32 v1, v1, s36
	v_mul_lo_u32 v2, v2, s38
	s_mov_b64 s[10:11], 0
	v_sub_u32_e32 v1, v1, v2
	v_cmp_lt_u32_e32 vcc, s40, v1
	v_cmp_ge_u32_e64 s[2:3], s40, v1
	s_and_saveexec_b64 s[8:9], s[2:3]
	s_cbranch_execz .LBB644_36
; %bb.35:
	v_add_u32_e32 v1, s42, v19
	v_add_u32_e32 v2, s58, v19
	v_mul_lo_u32 v1, v1, s41
	v_mul_lo_u32 v2, v2, s43
	v_sub_u32_e32 v1, v1, v2
	v_cmp_lt_u32_e64 s[2:3], s59, v1
	s_and_b64 s[10:11], s[2:3], exec
.LBB644_36:
	s_or_b64 exec, exec, s[8:9]
	v_cndmask_b32_e64 v2, 0, 1, s[10:11]
	v_cndmask_b32_e64 v1, 0, 1, vcc
.LBB644_37:
	s_or_b64 exec, exec, s[4:5]
	v_lshlrev_b16_e32 v7, 8, v2
	v_add_u32_e32 v2, 1, v30
	v_cmp_le_u32_e32 vcc, s18, v2
	v_lshlrev_b16_e64 v4, 8, 0
                                        ; implicit-def: $vgpr3
                                        ; implicit-def: $vgpr5
                                        ; implicit-def: $vgpr6
                                        ; implicit-def: $vgpr2
                                        ; implicit-def: $vgpr8
	s_and_saveexec_b64 s[2:3], vcc
	s_xor_b64 s[2:3], exec, s[2:3]
; %bb.38:
	v_mov_b32_e32 v2, 8
	v_lshrrev_b32_sdwa v3, v2, v7 dst_sel:BYTE_1 dst_unused:UNUSED_PAD src0_sel:DWORD src1_sel:DWORD
	v_and_b32_e32 v8, 0xff, v1
	v_or_b32_sdwa v1, v7, v3 dst_sel:DWORD dst_unused:UNUSED_PAD src0_sel:BYTE_0 src1_sel:DWORD
	v_mov_b32_e32 v5, 0
	v_lshlrev_b16_e64 v4, 8, 0
	v_lshlrev_b16_e64 v2, 8, 0
	v_and_b32_e32 v6, 0xffff, v1
	v_lshlrev_b16_e64 v3, 8, 0
                                        ; implicit-def: $vgpr1
                                        ; implicit-def: $vgpr7
; %bb.39:
	s_andn2_saveexec_b64 s[4:5], s[2:3]
	s_cbranch_execz .LBB644_43
; %bb.40:
	v_add_u32_e32 v2, s37, v20
	v_add_u32_e32 v3, s39, v20
	v_mul_lo_u32 v2, v2, s36
	v_mul_lo_u32 v3, v3, s38
	s_mov_b64 s[8:9], 0
	v_sub_u32_e32 v2, v2, v3
	v_cmp_lt_u32_e32 vcc, s40, v2
	v_cmp_ge_u32_e64 s[2:3], s40, v2
	s_and_saveexec_b64 s[10:11], s[2:3]
	s_cbranch_execz .LBB644_42
; %bb.41:
	v_add_u32_e32 v2, s42, v20
	v_add_u32_e32 v3, s58, v20
	v_mul_lo_u32 v2, v2, s41
	v_mul_lo_u32 v3, v3, s43
	v_sub_u32_e32 v2, v2, v3
	v_cmp_lt_u32_e64 s[2:3], s59, v2
	s_and_b64 s[8:9], s[2:3], exec
.LBB644_42:
	s_or_b64 exec, exec, s[10:11]
	v_cndmask_b32_e64 v3, 0, 1, vcc
	v_lshlrev_b16_e32 v3, 8, v3
	v_or_b32_sdwa v1, v1, v3 dst_sel:DWORD dst_unused:UNUSED_PAD src0_sel:BYTE_0 src1_sel:DWORD
	v_and_b32_e32 v8, 0xffff, v1
	v_mov_b32_e32 v1, 8
	v_lshrrev_b32_sdwa v1, v1, v7 dst_sel:BYTE_1 dst_unused:UNUSED_PAD src0_sel:DWORD src1_sel:DWORD
	v_or_b32_sdwa v1, v7, v1 dst_sel:DWORD dst_unused:UNUSED_PAD src0_sel:BYTE_0 src1_sel:DWORD
	v_and_b32_e32 v1, 0xffff, v1
	v_cndmask_b32_e64 v3, 0, 1, s[8:9]
	v_mov_b32_e32 v2, 0
	v_mov_b32_e32 v5, 0
	v_lshl_or_b32 v6, v3, 16, v1
	v_lshlrev_b16_e64 v3, 8, 0
.LBB644_43:
	s_or_b64 exec, exec, s[4:5]
	v_add_u32_e32 v1, 2, v30
	v_cmp_le_u32_e32 vcc, s18, v1
	v_lshrrev_b32_e32 v21, 24, v8
                                        ; implicit-def: $vgpr1
                                        ; implicit-def: $vgpr7
	s_and_saveexec_b64 s[2:3], vcc
	s_xor_b64 s[2:3], exec, s[2:3]
	s_cbranch_execz .LBB644_45
; %bb.44:
	s_mov_b32 s4, 0x40c0100
	v_perm_b32 v7, v21, v8, s4
	v_mov_b32_e32 v8, 8
	v_lshrrev_b32_sdwa v8, v8, v7 dst_sel:BYTE_1 dst_unused:UNUSED_PAD src0_sel:DWORD src1_sel:DWORD
	v_or_b32_sdwa v8, v7, v8 dst_sel:DWORD dst_unused:UNUSED_PAD src0_sel:BYTE_0 src1_sel:DWORD
	v_and_b32_e32 v8, 0xffff, v8
	s_mov_b32 s4, 0xff000000
	v_and_or_b32 v7, v7, s4, v8
	s_mov_b32 s4, 0x3060504
	v_and_b32_e32 v1, 0xff0000, v6
	v_perm_b32 v4, v4, v4, s4
	s_mov_b32 s4, 0x3020504
	v_perm_b32 v1, v6, v1, s4
                                        ; implicit-def: $vgpr8
                                        ; implicit-def: $vgpr21
                                        ; implicit-def: $vgpr6
.LBB644_45:
	s_andn2_saveexec_b64 s[4:5], s[2:3]
	s_cbranch_execz .LBB644_49
; %bb.46:
	v_add_u32_e32 v1, s37, v17
	v_add_u32_e32 v7, s39, v17
	v_mul_lo_u32 v1, v1, s36
	v_mul_lo_u32 v7, v7, s38
	s_mov_b64 s[8:9], 0
	v_sub_u32_e32 v1, v1, v7
	v_cmp_lt_u32_e32 vcc, s40, v1
	v_cmp_ge_u32_e64 s[2:3], s40, v1
	s_and_saveexec_b64 s[10:11], s[2:3]
	s_cbranch_execz .LBB644_48
; %bb.47:
	v_add_u32_e32 v1, s42, v17
	v_add_u32_e32 v7, s58, v17
	v_mul_lo_u32 v1, v1, s41
	v_mul_lo_u32 v7, v7, s43
	v_sub_u32_e32 v1, v1, v7
	v_cmp_lt_u32_e64 s[2:3], s59, v1
	s_and_b64 s[8:9], s[2:3], exec
.LBB644_48:
	s_or_b64 exec, exec, s[10:11]
	v_mov_b32_e32 v23, 8
	v_lshrrev_b32_sdwa v7, v23, v8 dst_sel:BYTE_1 dst_unused:UNUSED_PAD src0_sel:DWORD src1_sel:DWORD
	v_cndmask_b32_e64 v1, 0, 1, vcc
	v_or_b32_sdwa v7, v8, v7 dst_sel:DWORD dst_unused:UNUSED_PAD src0_sel:BYTE_0 src1_sel:DWORD
	v_lshlrev_b16_e32 v8, 8, v21
	v_or_b32_sdwa v1, v1, v8 dst_sel:WORD_1 dst_unused:UNUSED_PAD src0_sel:DWORD src1_sel:DWORD
	v_cndmask_b32_e64 v22, 0, 1, s[8:9]
	s_movk_i32 s2, 0xff
	v_or_b32_sdwa v7, v7, v1 dst_sel:DWORD dst_unused:UNUSED_PAD src0_sel:WORD_0 src1_sel:DWORD
	v_lshrrev_b32_sdwa v1, v23, v6 dst_sel:BYTE_1 dst_unused:UNUSED_PAD src0_sel:DWORD src1_sel:DWORD
	v_or_b32_sdwa v1, v6, v1 dst_sel:DWORD dst_unused:UNUSED_PAD src0_sel:BYTE_0 src1_sel:DWORD
	v_lshlrev_b16_e32 v8, 8, v22
	v_and_b32_sdwa v6, v6, s2 dst_sel:DWORD dst_unused:UNUSED_PAD src0_sel:WORD_1 src1_sel:DWORD
	v_or_b32_sdwa v6, v6, v8 dst_sel:WORD_1 dst_unused:UNUSED_PAD src0_sel:DWORD src1_sel:DWORD
	v_or_b32_sdwa v1, v1, v6 dst_sel:DWORD dst_unused:UNUSED_PAD src0_sel:WORD_0 src1_sel:DWORD
.LBB644_49:
	s_or_b64 exec, exec, s[4:5]
	v_add_u32_e32 v6, 3, v30
	v_cmp_le_u32_e32 vcc, s18, v6
	v_lshrrev_b32_e32 v8, 24, v5
                                        ; implicit-def: $vgpr6
                                        ; implicit-def: $vgpr31
	s_and_saveexec_b64 s[2:3], vcc
	s_xor_b64 s[2:3], exec, s[2:3]
	s_cbranch_execz .LBB644_51
; %bb.50:
	v_and_b32_e32 v6, 0xff0000, v7
	s_mov_b32 s4, 0x3020504
	s_movk_i32 s5, 0xff
	v_perm_b32 v31, v7, v6, s4
	v_lshlrev_b16_e32 v6, 8, v8
	v_and_b32_sdwa v7, v5, s5 dst_sel:DWORD dst_unused:UNUSED_PAD src0_sel:WORD_1 src1_sel:DWORD
	s_mov_b32 s4, 0x3060504
	v_or_b32_sdwa v6, v7, v6 dst_sel:WORD_1 dst_unused:UNUSED_PAD src0_sel:DWORD src1_sel:DWORD
	v_mov_b32_e32 v7, 8
	v_perm_b32 v4, v4, v4, s4
	v_lshrrev_b32_sdwa v6, v7, v5 dst_sel:BYTE_1 dst_unused:UNUSED_PRESERVE src0_sel:DWORD src1_sel:DWORD
	v_perm_b32 v3, v3, v3, s4
                                        ; implicit-def: $vgpr7
                                        ; implicit-def: $vgpr8
                                        ; implicit-def: $vgpr5
.LBB644_51:
	s_andn2_saveexec_b64 s[4:5], s[2:3]
	s_cbranch_execz .LBB644_55
; %bb.52:
	v_add_u32_e32 v6, s37, v18
	v_add_u32_e32 v21, s39, v18
	v_mul_lo_u32 v6, v6, s36
	v_mul_lo_u32 v21, v21, s38
	s_mov_b64 s[8:9], 0
	v_sub_u32_e32 v6, v6, v21
	v_cmp_lt_u32_e32 vcc, s40, v6
	v_cmp_ge_u32_e64 s[2:3], s40, v6
	s_and_saveexec_b64 s[10:11], s[2:3]
	s_cbranch_execz .LBB644_54
; %bb.53:
	v_add_u32_e32 v6, s42, v18
	v_add_u32_e32 v21, s58, v18
	v_mul_lo_u32 v6, v6, s41
	v_mul_lo_u32 v21, v21, s43
	v_sub_u32_e32 v6, v6, v21
	v_cmp_lt_u32_e64 s[2:3], s59, v6
	s_and_b64 s[8:9], s[2:3], exec
.LBB644_54:
	s_or_b64 exec, exec, s[10:11]
	v_mov_b32_e32 v22, 8
	v_cndmask_b32_e64 v6, 0, 1, vcc
	s_movk_i32 s2, 0xff
	v_lshrrev_b32_sdwa v23, v22, v7 dst_sel:BYTE_1 dst_unused:UNUSED_PAD src0_sel:DWORD src1_sel:DWORD
	v_or_b32_sdwa v23, v7, v23 dst_sel:DWORD dst_unused:UNUSED_PAD src0_sel:BYTE_0 src1_sel:DWORD
	v_lshlrev_b16_e32 v6, 8, v6
	v_and_b32_sdwa v7, v7, s2 dst_sel:DWORD dst_unused:UNUSED_PAD src0_sel:WORD_1 src1_sel:DWORD
	v_or_b32_sdwa v6, v7, v6 dst_sel:WORD_1 dst_unused:UNUSED_PAD src0_sel:DWORD src1_sel:DWORD
	v_cndmask_b32_e64 v21, 0, 1, s[8:9]
	v_or_b32_sdwa v31, v23, v6 dst_sel:DWORD dst_unused:UNUSED_PAD src0_sel:WORD_0 src1_sel:DWORD
	v_lshlrev_b16_e32 v6, 8, v8
	v_and_b32_sdwa v7, v5, s2 dst_sel:DWORD dst_unused:UNUSED_PAD src0_sel:WORD_1 src1_sel:DWORD
	v_lshrrev_b32_sdwa v5, v22, v5 dst_sel:BYTE_1 dst_unused:UNUSED_PAD src0_sel:DWORD src1_sel:DWORD
	v_or_b32_sdwa v6, v7, v6 dst_sel:WORD_1 dst_unused:UNUSED_PAD src0_sel:DWORD src1_sel:DWORD
	v_or_b32_e32 v5, v21, v5
	v_or_b32_sdwa v6, v5, v6 dst_sel:DWORD dst_unused:UNUSED_PAD src0_sel:WORD_0 src1_sel:DWORD
.LBB644_55:
	s_or_b64 exec, exec, s[4:5]
	v_add_u32_e32 v5, 4, v30
	v_cmp_le_u32_e32 vcc, s18, v5
	v_lshrrev_b32_e32 v21, 24, v4
	v_lshrrev_b32_e32 v8, 24, v6
                                        ; implicit-def: $vgpr7
                                        ; implicit-def: $vgpr5
	s_and_saveexec_b64 s[2:3], vcc
	s_xor_b64 s[2:3], exec, s[2:3]
	s_cbranch_execz .LBB644_57
; %bb.56:
	s_movk_i32 s4, 0xff
	v_lshlrev_b16_e32 v5, 8, v21
	v_and_b32_sdwa v21, v4, s4 dst_sel:DWORD dst_unused:UNUSED_PAD src0_sel:WORD_1 src1_sel:DWORD
	v_mov_b32_e32 v7, 8
	v_or_b32_sdwa v5, v21, v5 dst_sel:WORD_1 dst_unused:UNUSED_PAD src0_sel:DWORD src1_sel:DWORD
	v_lshrrev_b32_sdwa v5, v7, v4 dst_sel:BYTE_1 dst_unused:UNUSED_PRESERVE src0_sel:DWORD src1_sel:DWORD
	v_lshlrev_b16_e32 v4, 8, v8
	v_and_b32_sdwa v7, v6, s4 dst_sel:DWORD dst_unused:UNUSED_PAD src0_sel:WORD_1 src1_sel:DWORD
	v_or_b32_e32 v4, v7, v4
	s_mov_b32 s4, 0x5040c00
	v_perm_b32 v7, v4, v6, s4
	s_mov_b32 s4, 0x3060504
	v_perm_b32 v3, v3, v3, s4
                                        ; implicit-def: $vgpr21
                                        ; implicit-def: $vgpr4
                                        ; implicit-def: $vgpr6
                                        ; implicit-def: $vgpr8
.LBB644_57:
	s_andn2_saveexec_b64 s[4:5], s[2:3]
	s_cbranch_execz .LBB644_61
; %bb.58:
	v_add_u32_e32 v5, s37, v15
	v_add_u32_e32 v7, s39, v15
	v_mul_lo_u32 v5, v5, s36
	v_mul_lo_u32 v7, v7, s38
	s_mov_b64 s[8:9], 0
	v_sub_u32_e32 v5, v5, v7
	v_cmp_lt_u32_e32 vcc, s40, v5
	v_cmp_ge_u32_e64 s[2:3], s40, v5
	s_and_saveexec_b64 s[10:11], s[2:3]
	s_cbranch_execz .LBB644_60
; %bb.59:
	v_add_u32_e32 v5, s42, v15
	v_add_u32_e32 v7, s58, v15
	v_mul_lo_u32 v5, v5, s41
	v_mul_lo_u32 v7, v7, s43
	v_sub_u32_e32 v5, v5, v7
	v_cmp_lt_u32_e64 s[2:3], s59, v5
	s_and_b64 s[8:9], s[2:3], exec
.LBB644_60:
	s_or_b64 exec, exec, s[10:11]
	s_movk_i32 s2, 0xff
	v_lshlrev_b16_e32 v21, 8, v21
	v_and_b32_sdwa v22, v4, s2 dst_sel:DWORD dst_unused:UNUSED_PAD src0_sel:WORD_1 src1_sel:DWORD
	v_or_b32_sdwa v21, v22, v21 dst_sel:WORD_1 dst_unused:UNUSED_PAD src0_sel:DWORD src1_sel:DWORD
	v_mov_b32_e32 v22, 8
	v_cndmask_b32_e64 v5, 0, 1, vcc
	v_lshrrev_b32_sdwa v4, v22, v4 dst_sel:BYTE_1 dst_unused:UNUSED_PAD src0_sel:DWORD src1_sel:DWORD
	v_cndmask_b32_e64 v7, 0, 1, s[8:9]
	v_or_b32_e32 v4, v5, v4
	v_or_b32_sdwa v5, v4, v21 dst_sel:DWORD dst_unused:UNUSED_PAD src0_sel:WORD_0 src1_sel:DWORD
	v_lshlrev_b16_e32 v4, 8, v7
	v_or_b32_sdwa v4, v6, v4 dst_sel:DWORD dst_unused:UNUSED_PAD src0_sel:BYTE_0 src1_sel:DWORD
	v_lshlrev_b16_e32 v7, 8, v8
	v_and_b32_sdwa v6, v6, s2 dst_sel:DWORD dst_unused:UNUSED_PAD src0_sel:WORD_1 src1_sel:DWORD
	v_or_b32_sdwa v6, v6, v7 dst_sel:WORD_1 dst_unused:UNUSED_PAD src0_sel:DWORD src1_sel:DWORD
	v_or_b32_sdwa v7, v4, v6 dst_sel:DWORD dst_unused:UNUSED_PAD src0_sel:WORD_0 src1_sel:DWORD
.LBB644_61:
	s_or_b64 exec, exec, s[4:5]
	v_add_u32_e32 v4, 5, v30
	v_cmp_le_u32_e32 vcc, s18, v4
	v_lshrrev_b32_e32 v8, 24, v7
	v_lshrrev_b32_e32 v21, 24, v5
                                        ; implicit-def: $vgpr4
                                        ; implicit-def: $vgpr6
	s_and_saveexec_b64 s[2:3], vcc
	s_xor_b64 s[2:3], exec, s[2:3]
	s_cbranch_execz .LBB644_63
; %bb.62:
	s_mov_b32 s4, 0x40c0100
	v_perm_b32 v4, v8, v7, s4
	s_movk_i32 s4, 0xff
	v_lshlrev_b16_e32 v6, 8, v21
	v_and_b32_sdwa v7, v5, s4 dst_sel:DWORD dst_unused:UNUSED_PAD src0_sel:WORD_1 src1_sel:DWORD
	v_or_b32_e32 v6, v7, v6
	s_mov_b32 s4, 0x5040c00
	v_perm_b32 v6, v6, v5, s4
	v_mov_b32_e32 v5, 8
	v_lshrrev_b32_sdwa v5, v5, v4 dst_sel:BYTE_1 dst_unused:UNUSED_PAD src0_sel:DWORD src1_sel:DWORD
	v_or_b32_sdwa v5, v4, v5 dst_sel:DWORD dst_unused:UNUSED_PAD src0_sel:BYTE_0 src1_sel:DWORD
	v_and_b32_e32 v5, 0xffff, v5
	s_mov_b32 s4, 0xff000000
	v_and_or_b32 v4, v4, s4, v5
	s_mov_b32 s4, 0x3060504
	v_perm_b32 v3, v3, v3, s4
                                        ; implicit-def: $vgpr5
                                        ; implicit-def: $vgpr21
                                        ; implicit-def: $vgpr7
                                        ; implicit-def: $vgpr8
.LBB644_63:
	s_andn2_saveexec_b64 s[4:5], s[2:3]
	s_cbranch_execz .LBB644_67
; %bb.64:
	v_add_u32_e32 v4, s37, v16
	v_add_u32_e32 v6, s39, v16
	v_mul_lo_u32 v4, v4, s36
	v_mul_lo_u32 v6, v6, s38
	s_mov_b64 s[8:9], 0
	v_sub_u32_e32 v4, v4, v6
	v_cmp_lt_u32_e32 vcc, s40, v4
	v_cmp_ge_u32_e64 s[2:3], s40, v4
	s_and_saveexec_b64 s[10:11], s[2:3]
	s_cbranch_execz .LBB644_66
; %bb.65:
	v_add_u32_e32 v4, s42, v16
	v_add_u32_e32 v6, s58, v16
	v_mul_lo_u32 v4, v4, s41
	v_mul_lo_u32 v6, v6, s43
	v_sub_u32_e32 v4, v4, v6
	v_cmp_lt_u32_e64 s[2:3], s59, v4
	s_and_b64 s[8:9], s[2:3], exec
.LBB644_66:
	s_or_b64 exec, exec, s[10:11]
	v_cndmask_b32_e64 v4, 0, 1, vcc
	v_lshlrev_b16_e32 v4, 8, v4
	s_movk_i32 s2, 0xff
	v_or_b32_sdwa v4, v5, v4 dst_sel:DWORD dst_unused:UNUSED_PAD src0_sel:BYTE_0 src1_sel:DWORD
	v_lshlrev_b16_e32 v6, 8, v21
	v_and_b32_sdwa v5, v5, s2 dst_sel:DWORD dst_unused:UNUSED_PAD src0_sel:WORD_1 src1_sel:DWORD
	v_or_b32_sdwa v5, v5, v6 dst_sel:WORD_1 dst_unused:UNUSED_PAD src0_sel:DWORD src1_sel:DWORD
	v_or_b32_sdwa v6, v4, v5 dst_sel:DWORD dst_unused:UNUSED_PAD src0_sel:WORD_0 src1_sel:DWORD
	v_mov_b32_e32 v4, 8
	v_cndmask_b32_e64 v22, 0, 1, s[8:9]
	v_lshrrev_b32_sdwa v4, v4, v7 dst_sel:BYTE_1 dst_unused:UNUSED_PAD src0_sel:DWORD src1_sel:DWORD
	v_lshlrev_b16_e32 v5, 8, v8
	v_or_b32_sdwa v4, v7, v4 dst_sel:DWORD dst_unused:UNUSED_PAD src0_sel:BYTE_0 src1_sel:DWORD
	v_or_b32_sdwa v5, v22, v5 dst_sel:WORD_1 dst_unused:UNUSED_PAD src0_sel:DWORD src1_sel:DWORD
	v_or_b32_sdwa v4, v4, v5 dst_sel:DWORD dst_unused:UNUSED_PAD src0_sel:WORD_0 src1_sel:DWORD
.LBB644_67:
	s_or_b64 exec, exec, s[4:5]
	v_add_u32_e32 v5, 6, v30
	v_cmp_le_u32_e32 vcc, s18, v5
	v_lshrrev_b32_e32 v7, 24, v6
                                        ; implicit-def: $vgpr32
                                        ; implicit-def: $vgpr5
	s_and_saveexec_b64 s[2:3], vcc
	s_xor_b64 s[2:3], exec, s[2:3]
	s_cbranch_execz .LBB644_69
; %bb.68:
	s_mov_b32 s4, 0x40c0100
	v_perm_b32 v5, v7, v6, s4
	v_mov_b32_e32 v6, 8
	v_lshrrev_b32_sdwa v6, v6, v5 dst_sel:BYTE_1 dst_unused:UNUSED_PAD src0_sel:DWORD src1_sel:DWORD
	v_or_b32_sdwa v6, v5, v6 dst_sel:DWORD dst_unused:UNUSED_PAD src0_sel:BYTE_0 src1_sel:DWORD
	v_and_b32_e32 v6, 0xffff, v6
	s_mov_b32 s4, 0xff000000
	v_and_b32_e32 v8, 0xff0000, v4
	v_and_or_b32 v5, v5, s4, v6
	s_mov_b32 s4, 0x3020504
	v_perm_b32 v32, v4, v8, s4
	s_mov_b32 s4, 0x3060504
	v_perm_b32 v3, v3, v3, s4
                                        ; implicit-def: $vgpr6
                                        ; implicit-def: $vgpr7
                                        ; implicit-def: $vgpr4
.LBB644_69:
	s_andn2_saveexec_b64 s[4:5], s[2:3]
	s_cbranch_execz .LBB644_73
; %bb.70:
	v_add_u32_e32 v5, s37, v13
	v_add_u32_e32 v8, s39, v13
	v_mul_lo_u32 v5, v5, s36
	v_mul_lo_u32 v8, v8, s38
	s_mov_b64 s[8:9], 0
	v_sub_u32_e32 v5, v5, v8
	v_cmp_lt_u32_e32 vcc, s40, v5
	v_cmp_ge_u32_e64 s[2:3], s40, v5
	s_and_saveexec_b64 s[10:11], s[2:3]
	s_cbranch_execz .LBB644_72
; %bb.71:
	v_add_u32_e32 v5, s42, v13
	v_add_u32_e32 v8, s58, v13
	v_mul_lo_u32 v5, v5, s41
	v_mul_lo_u32 v8, v8, s43
	v_sub_u32_e32 v5, v5, v8
	v_cmp_lt_u32_e64 s[2:3], s59, v5
	s_and_b64 s[8:9], s[2:3], exec
.LBB644_72:
	s_or_b64 exec, exec, s[10:11]
	v_mov_b32_e32 v21, 8
	v_cndmask_b32_e64 v5, 0, 1, vcc
	v_lshrrev_b32_sdwa v22, v21, v6 dst_sel:BYTE_1 dst_unused:UNUSED_PAD src0_sel:DWORD src1_sel:DWORD
	v_lshlrev_b16_e32 v7, 8, v7
	v_or_b32_sdwa v6, v6, v22 dst_sel:DWORD dst_unused:UNUSED_PAD src0_sel:BYTE_0 src1_sel:DWORD
	v_or_b32_sdwa v5, v5, v7 dst_sel:WORD_1 dst_unused:UNUSED_PAD src0_sel:DWORD src1_sel:DWORD
	v_cndmask_b32_e64 v8, 0, 1, s[8:9]
	s_movk_i32 s2, 0xff
	v_or_b32_sdwa v5, v6, v5 dst_sel:DWORD dst_unused:UNUSED_PAD src0_sel:WORD_0 src1_sel:DWORD
	v_lshrrev_b32_sdwa v6, v21, v4 dst_sel:BYTE_1 dst_unused:UNUSED_PAD src0_sel:DWORD src1_sel:DWORD
	v_or_b32_sdwa v6, v4, v6 dst_sel:DWORD dst_unused:UNUSED_PAD src0_sel:BYTE_0 src1_sel:DWORD
	v_lshlrev_b16_e32 v7, 8, v8
	v_and_b32_sdwa v4, v4, s2 dst_sel:DWORD dst_unused:UNUSED_PAD src0_sel:WORD_1 src1_sel:DWORD
	v_or_b32_sdwa v4, v4, v7 dst_sel:WORD_1 dst_unused:UNUSED_PAD src0_sel:DWORD src1_sel:DWORD
	v_or_b32_sdwa v32, v6, v4 dst_sel:DWORD dst_unused:UNUSED_PAD src0_sel:WORD_0 src1_sel:DWORD
.LBB644_73:
	s_or_b64 exec, exec, s[4:5]
	v_add_u32_e32 v4, 7, v30
	v_cmp_le_u32_e32 vcc, s18, v4
	v_lshrrev_b32_e32 v6, 24, v3
                                        ; implicit-def: $vgpr4
                                        ; implicit-def: $vgpr33
	s_and_saveexec_b64 s[2:3], vcc
	s_xor_b64 s[2:3], exec, s[2:3]
; %bb.74:
	v_and_b32_e32 v4, 0xff0000, v5
	s_mov_b32 s4, 0x3020504
	v_perm_b32 v33, v5, v4, s4
	s_movk_i32 s4, 0xff
	v_lshlrev_b16_e32 v4, 8, v6
	v_and_b32_sdwa v5, v3, s4 dst_sel:DWORD dst_unused:UNUSED_PAD src0_sel:WORD_1 src1_sel:DWORD
	v_mov_b32_e32 v7, 8
	v_or_b32_sdwa v4, v5, v4 dst_sel:WORD_1 dst_unused:UNUSED_PAD src0_sel:DWORD src1_sel:DWORD
	v_lshrrev_b32_sdwa v4, v7, v3 dst_sel:BYTE_1 dst_unused:UNUSED_PRESERVE src0_sel:DWORD src1_sel:DWORD
                                        ; implicit-def: $vgpr5
                                        ; implicit-def: $vgpr6
                                        ; implicit-def: $vgpr3
; %bb.75:
	s_andn2_saveexec_b64 s[4:5], s[2:3]
	s_cbranch_execz .LBB644_79
; %bb.76:
	v_add_u32_e32 v4, s37, v14
	v_add_u32_e32 v7, s39, v14
	v_mul_lo_u32 v4, v4, s36
	v_mul_lo_u32 v7, v7, s38
	s_mov_b64 s[8:9], 0
	v_sub_u32_e32 v4, v4, v7
	v_cmp_lt_u32_e32 vcc, s40, v4
	v_cmp_ge_u32_e64 s[2:3], s40, v4
	s_and_saveexec_b64 s[10:11], s[2:3]
	s_cbranch_execz .LBB644_78
; %bb.77:
	v_add_u32_e32 v4, s42, v14
	v_add_u32_e32 v7, s58, v14
	v_mul_lo_u32 v4, v4, s41
	v_mul_lo_u32 v7, v7, s43
	v_sub_u32_e32 v4, v4, v7
	v_cmp_lt_u32_e64 s[2:3], s59, v4
	s_and_b64 s[8:9], s[2:3], exec
.LBB644_78:
	s_or_b64 exec, exec, s[10:11]
	v_mov_b32_e32 v8, 8
	v_cndmask_b32_e64 v4, 0, 1, vcc
	s_movk_i32 s2, 0xff
	v_lshrrev_b32_sdwa v21, v8, v5 dst_sel:BYTE_1 dst_unused:UNUSED_PAD src0_sel:DWORD src1_sel:DWORD
	v_or_b32_sdwa v21, v5, v21 dst_sel:DWORD dst_unused:UNUSED_PAD src0_sel:BYTE_0 src1_sel:DWORD
	v_lshlrev_b16_e32 v4, 8, v4
	v_and_b32_sdwa v5, v5, s2 dst_sel:DWORD dst_unused:UNUSED_PAD src0_sel:WORD_1 src1_sel:DWORD
	v_or_b32_sdwa v4, v5, v4 dst_sel:WORD_1 dst_unused:UNUSED_PAD src0_sel:DWORD src1_sel:DWORD
	v_cndmask_b32_e64 v7, 0, 1, s[8:9]
	v_or_b32_sdwa v33, v21, v4 dst_sel:DWORD dst_unused:UNUSED_PAD src0_sel:WORD_0 src1_sel:DWORD
	v_lshlrev_b16_e32 v4, 8, v6
	v_and_b32_sdwa v5, v3, s2 dst_sel:DWORD dst_unused:UNUSED_PAD src0_sel:WORD_1 src1_sel:DWORD
	v_lshrrev_b32_sdwa v3, v8, v3 dst_sel:BYTE_1 dst_unused:UNUSED_PAD src0_sel:DWORD src1_sel:DWORD
	v_or_b32_sdwa v4, v5, v4 dst_sel:WORD_1 dst_unused:UNUSED_PAD src0_sel:DWORD src1_sel:DWORD
	v_or_b32_e32 v3, v7, v3
	v_or_b32_sdwa v4, v3, v4 dst_sel:DWORD dst_unused:UNUSED_PAD src0_sel:WORD_0 src1_sel:DWORD
.LBB644_79:
	s_or_b64 exec, exec, s[4:5]
	v_add_u32_e32 v3, 8, v30
	v_cmp_le_u32_e32 vcc, s18, v3
	v_lshrrev_b32_e32 v6, 24, v4
	v_lshrrev_b32_e32 v7, 24, v2
                                        ; implicit-def: $vgpr5
                                        ; implicit-def: $vgpr3
	s_and_saveexec_b64 s[2:3], vcc
	s_xor_b64 s[2:3], exec, s[2:3]
	s_cbranch_execz .LBB644_81
; %bb.80:
	s_movk_i32 s4, 0xff
	v_lshlrev_b16_e32 v3, 8, v7
	v_and_b32_sdwa v5, v2, s4 dst_sel:DWORD dst_unused:UNUSED_PAD src0_sel:WORD_1 src1_sel:DWORD
	v_or_b32_sdwa v3, v5, v3 dst_sel:WORD_1 dst_unused:UNUSED_PAD src0_sel:DWORD src1_sel:DWORD
	v_mov_b32_e32 v5, 8
	v_lshrrev_b32_sdwa v3, v5, v2 dst_sel:BYTE_1 dst_unused:UNUSED_PRESERVE src0_sel:DWORD src1_sel:DWORD
	v_lshlrev_b16_e32 v2, 8, v6
	v_and_b32_sdwa v5, v4, s4 dst_sel:DWORD dst_unused:UNUSED_PAD src0_sel:WORD_1 src1_sel:DWORD
	s_mov_b32 s5, 0x3060504
	v_or_b32_e32 v2, v5, v2
	s_mov_b32 s4, 0x5040c00
	v_perm_b32 v1, v1, v1, s5
	v_perm_b32 v5, v2, v4, s4
                                        ; implicit-def: $vgpr7
                                        ; implicit-def: $vgpr2
                                        ; implicit-def: $vgpr4
                                        ; implicit-def: $vgpr6
.LBB644_81:
	s_andn2_saveexec_b64 s[4:5], s[2:3]
	s_cbranch_execz .LBB644_85
; %bb.82:
	v_add_u32_e32 v3, s37, v11
	v_add_u32_e32 v5, s39, v11
	v_mul_lo_u32 v3, v3, s36
	v_mul_lo_u32 v5, v5, s38
	s_mov_b64 s[8:9], 0
	v_sub_u32_e32 v3, v3, v5
	v_cmp_lt_u32_e32 vcc, s40, v3
	v_cmp_ge_u32_e64 s[2:3], s40, v3
	s_and_saveexec_b64 s[10:11], s[2:3]
	s_cbranch_execz .LBB644_84
; %bb.83:
	v_add_u32_e32 v3, s42, v11
	v_add_u32_e32 v5, s58, v11
	v_mul_lo_u32 v3, v3, s41
	v_mul_lo_u32 v5, v5, s43
	v_sub_u32_e32 v3, v3, v5
	v_cmp_lt_u32_e64 s[2:3], s59, v3
	s_and_b64 s[8:9], s[2:3], exec
.LBB644_84:
	s_or_b64 exec, exec, s[10:11]
	s_movk_i32 s2, 0xff
	v_lshlrev_b16_e32 v7, 8, v7
	v_and_b32_sdwa v8, v2, s2 dst_sel:DWORD dst_unused:UNUSED_PAD src0_sel:WORD_1 src1_sel:DWORD
	v_or_b32_sdwa v7, v8, v7 dst_sel:WORD_1 dst_unused:UNUSED_PAD src0_sel:DWORD src1_sel:DWORD
	v_mov_b32_e32 v8, 8
	v_cndmask_b32_e64 v3, 0, 1, vcc
	v_lshrrev_b32_sdwa v2, v8, v2 dst_sel:BYTE_1 dst_unused:UNUSED_PAD src0_sel:DWORD src1_sel:DWORD
	v_cndmask_b32_e64 v5, 0, 1, s[8:9]
	v_or_b32_e32 v2, v3, v2
	v_or_b32_sdwa v3, v2, v7 dst_sel:DWORD dst_unused:UNUSED_PAD src0_sel:WORD_0 src1_sel:DWORD
	v_lshlrev_b16_e32 v2, 8, v5
	v_or_b32_sdwa v2, v4, v2 dst_sel:DWORD dst_unused:UNUSED_PAD src0_sel:BYTE_0 src1_sel:DWORD
	v_lshlrev_b16_e32 v5, 8, v6
	v_and_b32_sdwa v4, v4, s2 dst_sel:DWORD dst_unused:UNUSED_PAD src0_sel:WORD_1 src1_sel:DWORD
	v_or_b32_sdwa v4, v4, v5 dst_sel:WORD_1 dst_unused:UNUSED_PAD src0_sel:DWORD src1_sel:DWORD
	v_or_b32_sdwa v5, v2, v4 dst_sel:DWORD dst_unused:UNUSED_PAD src0_sel:WORD_0 src1_sel:DWORD
.LBB644_85:
	s_or_b64 exec, exec, s[4:5]
	v_add_u32_e32 v2, 9, v30
	v_cmp_le_u32_e32 vcc, s18, v2
	v_lshrrev_b32_e32 v6, 24, v5
	v_lshrrev_b32_e32 v7, 24, v3
                                        ; implicit-def: $vgpr2
                                        ; implicit-def: $vgpr4
	s_and_saveexec_b64 s[2:3], vcc
	s_xor_b64 s[2:3], exec, s[2:3]
	s_cbranch_execz .LBB644_87
; %bb.86:
	s_mov_b32 s4, 0x40c0100
	v_perm_b32 v2, v6, v5, s4
	v_mov_b32_e32 v4, 8
	s_movk_i32 s4, 0xff
	v_lshrrev_b32_sdwa v5, v4, v2 dst_sel:BYTE_1 dst_unused:UNUSED_PAD src0_sel:DWORD src1_sel:DWORD
	v_lshlrev_b16_e32 v4, 8, v7
	v_and_b32_sdwa v6, v3, s4 dst_sel:DWORD dst_unused:UNUSED_PAD src0_sel:WORD_1 src1_sel:DWORD
	v_or_b32_e32 v4, v6, v4
	s_mov_b32 s4, 0x5040c00
	v_perm_b32 v4, v4, v3, s4
	s_mov_b32 s4, 0x3060504
	v_or_b32_sdwa v3, v2, v5 dst_sel:DWORD dst_unused:UNUSED_PAD src0_sel:BYTE_0 src1_sel:DWORD
	v_perm_b32 v1, v1, v1, s4
	v_and_b32_e32 v3, 0xffff, v3
	s_mov_b32 s4, 0xff000000
	v_and_or_b32 v2, v2, s4, v3
                                        ; implicit-def: $vgpr3
                                        ; implicit-def: $vgpr7
                                        ; implicit-def: $vgpr5
                                        ; implicit-def: $vgpr6
.LBB644_87:
	s_andn2_saveexec_b64 s[4:5], s[2:3]
	s_cbranch_execz .LBB644_91
; %bb.88:
	v_add_u32_e32 v2, s37, v12
	v_add_u32_e32 v4, s39, v12
	v_mul_lo_u32 v2, v2, s36
	v_mul_lo_u32 v4, v4, s38
	s_mov_b64 s[8:9], 0
	v_sub_u32_e32 v2, v2, v4
	v_cmp_lt_u32_e32 vcc, s40, v2
	v_cmp_ge_u32_e64 s[2:3], s40, v2
	s_and_saveexec_b64 s[10:11], s[2:3]
	s_cbranch_execz .LBB644_90
; %bb.89:
	v_add_u32_e32 v2, s42, v12
	v_add_u32_e32 v4, s58, v12
	v_mul_lo_u32 v2, v2, s41
	v_mul_lo_u32 v4, v4, s43
	v_sub_u32_e32 v2, v2, v4
	v_cmp_lt_u32_e64 s[2:3], s59, v2
	s_and_b64 s[8:9], s[2:3], exec
.LBB644_90:
	s_or_b64 exec, exec, s[10:11]
	v_cndmask_b32_e64 v2, 0, 1, vcc
	v_lshlrev_b16_e32 v2, 8, v2
	s_movk_i32 s2, 0xff
	v_or_b32_sdwa v2, v3, v2 dst_sel:DWORD dst_unused:UNUSED_PAD src0_sel:BYTE_0 src1_sel:DWORD
	v_lshlrev_b16_e32 v4, 8, v7
	v_and_b32_sdwa v3, v3, s2 dst_sel:DWORD dst_unused:UNUSED_PAD src0_sel:WORD_1 src1_sel:DWORD
	v_or_b32_sdwa v3, v3, v4 dst_sel:WORD_1 dst_unused:UNUSED_PAD src0_sel:DWORD src1_sel:DWORD
	v_or_b32_sdwa v4, v2, v3 dst_sel:DWORD dst_unused:UNUSED_PAD src0_sel:WORD_0 src1_sel:DWORD
	v_mov_b32_e32 v2, 8
	v_cndmask_b32_e64 v8, 0, 1, s[8:9]
	v_lshrrev_b32_sdwa v2, v2, v5 dst_sel:BYTE_1 dst_unused:UNUSED_PAD src0_sel:DWORD src1_sel:DWORD
	v_lshlrev_b16_e32 v3, 8, v6
	v_or_b32_sdwa v2, v5, v2 dst_sel:DWORD dst_unused:UNUSED_PAD src0_sel:BYTE_0 src1_sel:DWORD
	v_or_b32_sdwa v3, v8, v3 dst_sel:WORD_1 dst_unused:UNUSED_PAD src0_sel:DWORD src1_sel:DWORD
	v_or_b32_sdwa v2, v2, v3 dst_sel:DWORD dst_unused:UNUSED_PAD src0_sel:WORD_0 src1_sel:DWORD
.LBB644_91:
	s_or_b64 exec, exec, s[4:5]
	v_add_u32_e32 v3, 10, v30
	v_cmp_le_u32_e32 vcc, s18, v3
	v_lshrrev_b32_e32 v5, 24, v4
                                        ; implicit-def: $vgpr34
                                        ; implicit-def: $vgpr3
	s_and_saveexec_b64 s[2:3], vcc
	s_xor_b64 s[2:3], exec, s[2:3]
	s_cbranch_execz .LBB644_93
; %bb.92:
	s_mov_b32 s4, 0x40c0100
	v_perm_b32 v3, v5, v4, s4
	v_mov_b32_e32 v4, 8
	v_lshrrev_b32_sdwa v4, v4, v3 dst_sel:BYTE_1 dst_unused:UNUSED_PAD src0_sel:DWORD src1_sel:DWORD
	v_or_b32_sdwa v4, v3, v4 dst_sel:DWORD dst_unused:UNUSED_PAD src0_sel:BYTE_0 src1_sel:DWORD
	v_and_b32_e32 v4, 0xffff, v4
	s_mov_b32 s4, 0xff000000
	v_and_or_b32 v3, v3, s4, v4
	s_mov_b32 s4, 0x3060504
	v_and_b32_e32 v6, 0xff0000, v2
	v_perm_b32 v1, v1, v1, s4
	s_mov_b32 s4, 0x3020504
	v_perm_b32 v34, v2, v6, s4
                                        ; implicit-def: $vgpr4
                                        ; implicit-def: $vgpr5
                                        ; implicit-def: $vgpr2
.LBB644_93:
	s_andn2_saveexec_b64 s[4:5], s[2:3]
	s_cbranch_execz .LBB644_97
; %bb.94:
	v_add_u32_e32 v3, s37, v9
	v_add_u32_e32 v6, s39, v9
	v_mul_lo_u32 v3, v3, s36
	v_mul_lo_u32 v6, v6, s38
	s_mov_b64 s[8:9], 0
	v_sub_u32_e32 v3, v3, v6
	v_cmp_lt_u32_e32 vcc, s40, v3
	v_cmp_ge_u32_e64 s[2:3], s40, v3
	s_and_saveexec_b64 s[10:11], s[2:3]
	s_cbranch_execz .LBB644_96
; %bb.95:
	v_add_u32_e32 v3, s42, v9
	v_add_u32_e32 v6, s58, v9
	v_mul_lo_u32 v3, v3, s41
	v_mul_lo_u32 v6, v6, s43
	v_sub_u32_e32 v3, v3, v6
	v_cmp_lt_u32_e64 s[2:3], s59, v3
	s_and_b64 s[8:9], s[2:3], exec
.LBB644_96:
	s_or_b64 exec, exec, s[10:11]
	v_mov_b32_e32 v7, 8
	v_cndmask_b32_e64 v3, 0, 1, vcc
	v_lshrrev_b32_sdwa v8, v7, v4 dst_sel:BYTE_1 dst_unused:UNUSED_PAD src0_sel:DWORD src1_sel:DWORD
	v_lshlrev_b16_e32 v5, 8, v5
	v_or_b32_sdwa v4, v4, v8 dst_sel:DWORD dst_unused:UNUSED_PAD src0_sel:BYTE_0 src1_sel:DWORD
	v_or_b32_sdwa v3, v3, v5 dst_sel:WORD_1 dst_unused:UNUSED_PAD src0_sel:DWORD src1_sel:DWORD
	v_cndmask_b32_e64 v6, 0, 1, s[8:9]
	s_movk_i32 s2, 0xff
	v_or_b32_sdwa v3, v4, v3 dst_sel:DWORD dst_unused:UNUSED_PAD src0_sel:WORD_0 src1_sel:DWORD
	v_lshrrev_b32_sdwa v4, v7, v2 dst_sel:BYTE_1 dst_unused:UNUSED_PAD src0_sel:DWORD src1_sel:DWORD
	v_or_b32_sdwa v4, v2, v4 dst_sel:DWORD dst_unused:UNUSED_PAD src0_sel:BYTE_0 src1_sel:DWORD
	v_lshlrev_b16_e32 v5, 8, v6
	v_and_b32_sdwa v2, v2, s2 dst_sel:DWORD dst_unused:UNUSED_PAD src0_sel:WORD_1 src1_sel:DWORD
	v_or_b32_sdwa v2, v2, v5 dst_sel:WORD_1 dst_unused:UNUSED_PAD src0_sel:DWORD src1_sel:DWORD
	v_or_b32_sdwa v34, v4, v2 dst_sel:DWORD dst_unused:UNUSED_PAD src0_sel:WORD_0 src1_sel:DWORD
.LBB644_97:
	s_or_b64 exec, exec, s[4:5]
	v_add_u32_e32 v2, 11, v30
	v_mov_b32_e32 v35, 0
	v_cmp_le_u32_e32 vcc, s18, v2
                                        ; implicit-def: $vgpr36
	s_and_saveexec_b64 s[2:3], vcc
	s_xor_b64 s[2:3], exec, s[2:3]
; %bb.98:
	v_and_b32_e32 v2, 0xff0000, v3
	s_mov_b32 s4, 0x3020504
	v_perm_b32 v36, v3, v2, s4
	s_mov_b32 s4, 0x3060504
	v_perm_b32 v1, v1, v1, s4
                                        ; implicit-def: $vgpr3
; %bb.99:
	s_andn2_saveexec_b64 s[4:5], s[2:3]
	s_cbranch_execz .LBB644_103
; %bb.100:
	v_add_u32_e32 v2, s37, v10
	v_add_u32_e32 v4, s39, v10
	v_mul_lo_u32 v2, v2, s36
	v_mul_lo_u32 v4, v4, s38
	s_mov_b64 s[8:9], 0
	v_sub_u32_e32 v2, v2, v4
	v_cmp_lt_u32_e32 vcc, s40, v2
	v_cmp_ge_u32_e64 s[2:3], s40, v2
	s_and_saveexec_b64 s[10:11], s[2:3]
	s_cbranch_execz .LBB644_102
; %bb.101:
	v_add_u32_e32 v2, s42, v10
	v_add_u32_e32 v4, s58, v10
	v_mul_lo_u32 v2, v2, s41
	v_mul_lo_u32 v4, v4, s43
	v_sub_u32_e32 v2, v2, v4
	v_cmp_lt_u32_e64 s[2:3], s59, v2
	s_and_b64 s[8:9], s[2:3], exec
.LBB644_102:
	s_or_b64 exec, exec, s[10:11]
	v_mov_b32_e32 v4, 8
	v_cndmask_b32_e64 v2, 0, 1, vcc
	s_movk_i32 s2, 0xff
	v_lshrrev_b32_sdwa v4, v4, v3 dst_sel:BYTE_1 dst_unused:UNUSED_PAD src0_sel:DWORD src1_sel:DWORD
	v_or_b32_sdwa v4, v3, v4 dst_sel:DWORD dst_unused:UNUSED_PAD src0_sel:BYTE_0 src1_sel:DWORD
	v_lshlrev_b16_e32 v2, 8, v2
	v_and_b32_sdwa v3, v3, s2 dst_sel:DWORD dst_unused:UNUSED_PAD src0_sel:WORD_1 src1_sel:DWORD
	v_or_b32_sdwa v2, v3, v2 dst_sel:WORD_1 dst_unused:UNUSED_PAD src0_sel:DWORD src1_sel:DWORD
	v_cndmask_b32_e64 v35, 0, 1, s[8:9]
	v_or_b32_sdwa v36, v4, v2 dst_sel:DWORD dst_unused:UNUSED_PAD src0_sel:WORD_0 src1_sel:DWORD
.LBB644_103:
	s_or_b64 exec, exec, s[4:5]
	v_add_u32_e32 v2, 12, v30
	v_cmp_le_u32_e32 vcc, s18, v2
	v_lshrrev_b32_e32 v2, 24, v1
                                        ; implicit-def: $vgpr37
	s_and_saveexec_b64 s[2:3], vcc
	s_xor_b64 s[2:3], exec, s[2:3]
; %bb.104:
	s_movk_i32 s4, 0xff
	v_lshlrev_b16_e32 v2, 8, v2
	v_and_b32_sdwa v4, v1, s4 dst_sel:DWORD dst_unused:UNUSED_PAD src0_sel:WORD_1 src1_sel:DWORD
	v_mov_b32_e32 v3, 8
	v_or_b32_sdwa v37, v4, v2 dst_sel:WORD_1 dst_unused:UNUSED_PAD src0_sel:DWORD src1_sel:DWORD
	v_lshrrev_b32_sdwa v37, v3, v1 dst_sel:BYTE_1 dst_unused:UNUSED_PRESERVE src0_sel:DWORD src1_sel:DWORD
                                        ; implicit-def: $vgpr2
                                        ; implicit-def: $vgpr1
; %bb.105:
	s_or_saveexec_b64 s[4:5], s[2:3]
	v_mov_b32_e32 v38, 0
	s_xor_b64 exec, exec, s[4:5]
	s_cbranch_execz .LBB644_109
; %bb.106:
	v_add_u32_e32 v3, s37, v29
	v_add_u32_e32 v4, s39, v29
	v_mul_lo_u32 v3, v3, s36
	v_mul_lo_u32 v4, v4, s38
	s_mov_b64 s[8:9], 0
	v_sub_u32_e32 v3, v3, v4
	v_cmp_lt_u32_e32 vcc, s40, v3
	v_cmp_ge_u32_e64 s[2:3], s40, v3
	s_and_saveexec_b64 s[10:11], s[2:3]
	s_cbranch_execz .LBB644_108
; %bb.107:
	v_add_u32_e32 v3, s42, v29
	v_add_u32_e32 v4, s58, v29
	v_mul_lo_u32 v3, v3, s41
	v_mul_lo_u32 v4, v4, s43
	v_sub_u32_e32 v3, v3, v4
	v_cmp_lt_u32_e64 s[2:3], s59, v3
	s_and_b64 s[8:9], s[2:3], exec
.LBB644_108:
	s_or_b64 exec, exec, s[10:11]
	s_movk_i32 s2, 0xff
	v_lshlrev_b16_e32 v2, 8, v2
	v_and_b32_sdwa v4, v1, s2 dst_sel:DWORD dst_unused:UNUSED_PAD src0_sel:WORD_1 src1_sel:DWORD
	v_or_b32_sdwa v2, v4, v2 dst_sel:WORD_1 dst_unused:UNUSED_PAD src0_sel:DWORD src1_sel:DWORD
	v_mov_b32_e32 v4, 8
	v_cndmask_b32_e64 v3, 0, 1, vcc
	v_lshrrev_b32_sdwa v1, v4, v1 dst_sel:BYTE_1 dst_unused:UNUSED_PAD src0_sel:DWORD src1_sel:DWORD
	v_or_b32_e32 v1, v3, v1
	v_cndmask_b32_e64 v38, 0, 1, s[8:9]
	v_or_b32_sdwa v37, v1, v2 dst_sel:DWORD dst_unused:UNUSED_PAD src0_sel:WORD_0 src1_sel:DWORD
.LBB644_109:
	s_or_b64 exec, exec, s[4:5]
.LBB644_110:
	v_and_b32_e32 v48, 0xff, v31
	v_bfe_u32 v45, v31, 8, 8
	v_bfe_u32 v50, v31, 16, 8
	v_lshrrev_b32_e32 v43, 24, v31
	v_and_b32_e32 v51, 0xff, v33
	v_add3_u32 v4, v45, v48, v50
	v_bfe_u32 v46, v33, 8, 8
	v_bfe_u32 v53, v33, 16, 8
	v_add3_u32 v4, v4, v43, v51
	v_bfe_u32 v49, v37, 8, 8
	v_bfe_u32 v57, v37, 16, 8
	v_lshrrev_b32_e32 v44, 24, v37
	v_lshrrev_b32_e32 v41, 24, v33
	v_and_b32_e32 v54, 0xff, v36
	v_add3_u32 v4, v4, v46, v53
	v_and_b32_e32 v58, 0xff, v32
	v_bfe_u32 v52, v32, 8, 8
	v_bfe_u32 v47, v36, 8, 8
	;; [unrolled: 1-line block ×3, first 2 shown]
	v_add3_u32 v3, v57, v49, v44
	v_add3_u32 v4, v4, v41, v54
	v_bfe_u32 v59, v32, 16, 8
	v_lshrrev_b32_e32 v42, 24, v32
	v_lshrrev_b32_e32 v39, 24, v36
	v_and_b32_e32 v1, 0xff, v37
	v_add3_u32 v3, v3, v58, v52
	v_add3_u32 v4, v4, v47, v56
	v_and_b32_e32 v60, 0xff, v34
	v_bfe_u32 v55, v34, 8, 8
	v_add3_u32 v3, v3, v59, v42
	v_add3_u32 v68, v4, v39, v1
	v_mbcnt_lo_u32_b32 v1, -1, 0
	v_bfe_u32 v61, v34, 16, 8
	v_lshrrev_b32_e32 v40, 24, v34
	v_add3_u32 v3, v3, v60, v55
	v_mbcnt_hi_u32_b32 v63, -1, v1
	v_and_b32_e32 v62, 0xff, v35
	v_and_b32_e32 v2, 0xff, v38
	v_add3_u32 v3, v3, v61, v40
	v_and_b32_e32 v67, 15, v63
	s_cmp_lg_u32 s6, 0
	v_add3_u32 v69, v3, v62, v2
	v_cmp_eq_u32_e64 s[4:5], 0, v67
	v_cmp_lt_u32_e64 s[2:3], 1, v67
	v_cmp_lt_u32_e64 s[8:9], 3, v67
	;; [unrolled: 1-line block ×3, first 2 shown]
	v_and_b32_e32 v66, 16, v63
	v_cmp_lt_u32_e32 vcc, 31, v63
	v_lshrrev_b32_e32 v64, 6, v0
	v_or_b32_e32 v65, 63, v0
	s_cbranch_scc0 .LBB644_132
; %bb.111:
	v_mov_b32_dpp v1, v68 row_shr:1 row_mask:0xf bank_mask:0xf
	v_mov_b32_dpp v2, v69 row_shr:1 row_mask:0xf bank_mask:0xf
	v_add_u32_e32 v1, v1, v68
	v_add_u32_e32 v2, v2, v69
	v_cndmask_b32_e64 v2, v2, v69, s[4:5]
	v_cndmask_b32_e64 v1, v1, v68, s[4:5]
	s_nop 0
	v_mov_b32_dpp v4, v2 row_shr:2 row_mask:0xf bank_mask:0xf
	v_mov_b32_dpp v3, v1 row_shr:2 row_mask:0xf bank_mask:0xf
	v_add_u32_e32 v3, v1, v3
	v_add_u32_e32 v4, v2, v4
	v_cndmask_b32_e64 v2, v2, v4, s[2:3]
	v_cndmask_b32_e64 v1, v1, v3, s[2:3]
	s_nop 0
	v_mov_b32_dpp v4, v2 row_shr:4 row_mask:0xf bank_mask:0xf
	v_mov_b32_dpp v3, v1 row_shr:4 row_mask:0xf bank_mask:0xf
	v_add_u32_e32 v3, v1, v3
	v_add_u32_e32 v4, v2, v4
	v_cndmask_b32_e64 v2, v2, v4, s[8:9]
	v_cndmask_b32_e64 v1, v1, v3, s[8:9]
	v_cmp_eq_u32_e64 s[8:9], 0, v66
	v_mov_b32_dpp v4, v2 row_shr:8 row_mask:0xf bank_mask:0xf
	v_mov_b32_dpp v3, v1 row_shr:8 row_mask:0xf bank_mask:0xf
	v_add_u32_e32 v3, v1, v3
	v_add_u32_e32 v4, v2, v4
	v_cndmask_b32_e64 v2, v2, v4, s[10:11]
	v_cndmask_b32_e64 v3, v1, v3, s[10:11]
	s_nop 0
	v_mov_b32_dpp v4, v2 row_bcast:15 row_mask:0xf bank_mask:0xf
	v_mov_b32_dpp v1, v3 row_bcast:15 row_mask:0xf bank_mask:0xf
	v_add_u32_e32 v5, v3, v1
	v_add_u32_e32 v1, v2, v4
	v_cndmask_b32_e64 v1, v1, v2, s[8:9]
	v_cndmask_b32_e64 v2, v5, v3, s[8:9]
	v_cmp_eq_u32_e64 s[8:9], v0, v65
	v_mov_b32_dpp v3, v1 row_bcast:31 row_mask:0xf bank_mask:0xf
	v_mov_b32_dpp v4, v2 row_bcast:31 row_mask:0xf bank_mask:0xf
	v_add_u32_e32 v3, v1, v3
	v_add_u32_e32 v4, v2, v4
	s_and_saveexec_b64 s[10:11], s[8:9]
; %bb.112:
	v_lshlrev_b32_e32 v7, 3, v64
	v_cndmask_b32_e32 v6, v1, v3, vcc
	v_cndmask_b32_e32 v5, v2, v4, vcc
	ds_write_b64 v7, v[5:6]
; %bb.113:
	s_or_b64 exec, exec, s[10:11]
	v_cmp_gt_u32_e64 s[8:9], 4, v0
	s_waitcnt lgkmcnt(0)
	s_barrier
	s_and_saveexec_b64 s[10:11], s[8:9]
	s_cbranch_execz .LBB644_115
; %bb.114:
	v_lshlrev_b32_e32 v7, 3, v0
	ds_read_b64 v[5:6], v7
	v_and_b32_e32 v8, 3, v63
	v_cmp_eq_u32_e64 s[8:9], 0, v8
	s_waitcnt lgkmcnt(0)
	v_mov_b32_dpp v21, v5 row_shr:1 row_mask:0xf bank_mask:0xf
	v_mov_b32_dpp v22, v6 row_shr:1 row_mask:0xf bank_mask:0xf
	v_add_u32_e32 v21, v21, v5
	v_add_u32_e32 v22, v22, v6
	v_cndmask_b32_e64 v6, v22, v6, s[8:9]
	v_cndmask_b32_e64 v5, v21, v5, s[8:9]
	v_cmp_lt_u32_e64 s[8:9], 1, v8
	v_mov_b32_dpp v22, v6 row_shr:2 row_mask:0xf bank_mask:0xf
	v_mov_b32_dpp v21, v5 row_shr:2 row_mask:0xf bank_mask:0xf
	v_cndmask_b32_e64 v8, 0, v21, s[8:9]
	v_cndmask_b32_e64 v21, 0, v22, s[8:9]
	v_add_u32_e32 v6, v21, v6
	v_add_u32_e32 v5, v8, v5
	ds_write_b64 v7, v[5:6]
.LBB644_115:
	s_or_b64 exec, exec, s[10:11]
	v_cndmask_b32_e32 v1, v1, v3, vcc
	v_cndmask_b32_e32 v2, v2, v4, vcc
	v_cmp_gt_u32_e32 vcc, 64, v0
	v_cmp_lt_u32_e64 s[8:9], 63, v0
	s_waitcnt lgkmcnt(0)
	s_barrier
                                        ; implicit-def: $vgpr21
	s_and_saveexec_b64 s[10:11], s[8:9]
	s_cbranch_execz .LBB644_117
; %bb.116:
	v_lshl_add_u32 v3, v64, 3, -8
	ds_read_b64 v[21:22], v3
	s_waitcnt lgkmcnt(0)
	v_add_u32_e32 v1, v22, v1
	v_add_u32_e32 v2, v21, v2
.LBB644_117:
	s_or_b64 exec, exec, s[10:11]
	v_subrev_co_u32_e64 v3, s[8:9], 1, v63
	v_and_b32_e32 v4, 64, v63
	v_cmp_lt_i32_e64 s[10:11], v3, v4
	v_cndmask_b32_e64 v3, v3, v63, s[10:11]
	v_lshlrev_b32_e32 v3, 2, v3
	ds_bpermute_b32 v70, v3, v2
	ds_bpermute_b32 v71, v3, v1
	s_and_saveexec_b64 s[10:11], vcc
	s_cbranch_execz .LBB644_137
; %bb.118:
	v_mov_b32_e32 v4, 0
	ds_read_b64 v[1:2], v4 offset:24
	s_and_saveexec_b64 s[14:15], s[8:9]
	s_cbranch_execz .LBB644_120
; %bb.119:
	s_add_i32 s16, s6, 64
	s_mov_b32 s17, 0
	s_lshl_b64 s[16:17], s[16:17], 4
	s_add_u32 s16, s12, s16
	s_addc_u32 s17, s13, s17
	v_mov_b32_e32 v5, s16
	v_mov_b32_e32 v3, 1
	;; [unrolled: 1-line block ×3, first 2 shown]
	s_waitcnt lgkmcnt(0)
	;;#ASMSTART
	global_store_dwordx4 v[5:6], v[1:4] off	
s_waitcnt vmcnt(0)
	;;#ASMEND
.LBB644_120:
	s_or_b64 exec, exec, s[14:15]
	v_xad_u32 v23, v63, -1, s6
	v_add_u32_e32 v3, 64, v23
	v_lshlrev_b64 v[5:6], 4, v[3:4]
	v_mov_b32_e32 v3, s13
	v_add_co_u32_e32 v24, vcc, s12, v5
	v_addc_co_u32_e32 v25, vcc, v3, v6, vcc
	;;#ASMSTART
	global_load_dwordx4 v[5:8], v[24:25] off glc	
s_waitcnt vmcnt(0)
	;;#ASMEND
	v_cmp_eq_u16_sdwa s[16:17], v7, v4 src0_sel:BYTE_0 src1_sel:DWORD
	s_and_saveexec_b64 s[14:15], s[16:17]
	s_cbranch_execz .LBB644_124
; %bb.121:
	s_mov_b64 s[16:17], 0
	v_mov_b32_e32 v3, 0
.LBB644_122:                            ; =>This Inner Loop Header: Depth=1
	;;#ASMSTART
	global_load_dwordx4 v[5:8], v[24:25] off glc	
s_waitcnt vmcnt(0)
	;;#ASMEND
	v_cmp_ne_u16_sdwa s[20:21], v7, v3 src0_sel:BYTE_0 src1_sel:DWORD
	s_or_b64 s[16:17], s[20:21], s[16:17]
	s_andn2_b64 exec, exec, s[16:17]
	s_cbranch_execnz .LBB644_122
; %bb.123:
	s_or_b64 exec, exec, s[16:17]
.LBB644_124:
	s_or_b64 exec, exec, s[14:15]
	v_and_b32_e32 v73, 63, v63
	v_cmp_ne_u32_e32 vcc, 63, v73
	v_mov_b32_e32 v72, 2
	v_lshlrev_b64 v[25:26], v63, -1
	v_addc_co_u32_e32 v8, vcc, 0, v63, vcc
	v_cmp_eq_u16_sdwa s[14:15], v7, v72 src0_sel:BYTE_0 src1_sel:DWORD
	v_lshlrev_b32_e32 v74, 2, v8
	v_and_b32_e32 v3, s15, v26
	ds_bpermute_b32 v8, v74, v5
	ds_bpermute_b32 v24, v74, v6
	v_or_b32_e32 v3, 0x80000000, v3
	v_and_b32_e32 v4, s14, v25
	v_ffbl_b32_e32 v3, v3
	v_add_u32_e32 v3, 32, v3
	v_ffbl_b32_e32 v4, v4
	v_min_u32_e32 v3, v4, v3
	s_waitcnt lgkmcnt(1)
	v_add_u32_e32 v4, v8, v5
	s_waitcnt lgkmcnt(0)
	v_add_u32_e32 v8, v24, v6
	v_cmp_lt_u32_e32 vcc, v73, v3
	v_cndmask_b32_e32 v6, v6, v8, vcc
	v_cndmask_b32_e32 v4, v5, v4, vcc
	v_cmp_gt_u32_e32 vcc, 62, v73
	v_cndmask_b32_e64 v5, 0, 2, vcc
	v_add_lshl_u32 v75, v5, v63, 2
	ds_bpermute_b32 v5, v75, v4
	ds_bpermute_b32 v8, v75, v6
	v_add_u32_e32 v76, 2, v73
	v_cmp_gt_u32_e32 vcc, v76, v3
	v_add_u32_e32 v78, 4, v73
	s_waitcnt lgkmcnt(1)
	v_add_u32_e32 v5, v4, v5
	s_waitcnt lgkmcnt(0)
	v_add_u32_e32 v8, v6, v8
	v_cndmask_b32_e32 v6, v8, v6, vcc
	v_cndmask_b32_e32 v4, v5, v4, vcc
	v_cmp_gt_u32_e32 vcc, 60, v73
	v_cndmask_b32_e64 v5, 0, 4, vcc
	v_add_lshl_u32 v77, v5, v63, 2
	ds_bpermute_b32 v5, v77, v4
	ds_bpermute_b32 v8, v77, v6
	v_cmp_gt_u32_e32 vcc, v78, v3
	v_add_u32_e32 v80, 8, v73
	v_add_u32_e32 v82, 16, v73
	s_waitcnt lgkmcnt(1)
	v_add_u32_e32 v5, v4, v5
	s_waitcnt lgkmcnt(0)
	v_add_u32_e32 v8, v6, v8
	v_cndmask_b32_e32 v6, v8, v6, vcc
	v_cndmask_b32_e32 v4, v5, v4, vcc
	v_cmp_gt_u32_e32 vcc, 56, v73
	v_cndmask_b32_e64 v5, 0, 8, vcc
	v_add_lshl_u32 v79, v5, v63, 2
	ds_bpermute_b32 v5, v79, v4
	ds_bpermute_b32 v8, v79, v6
	v_cmp_gt_u32_e32 vcc, v80, v3
	v_add_u32_e32 v84, 32, v73
	v_mov_b32_e32 v24, 0
	s_waitcnt lgkmcnt(1)
	v_add_u32_e32 v5, v4, v5
	s_waitcnt lgkmcnt(0)
	v_add_u32_e32 v8, v6, v8
	v_cndmask_b32_e32 v6, v8, v6, vcc
	v_cndmask_b32_e32 v4, v5, v4, vcc
	v_cmp_gt_u32_e32 vcc, 48, v73
	v_cndmask_b32_e64 v5, 0, 16, vcc
	v_add_lshl_u32 v81, v5, v63, 2
	ds_bpermute_b32 v5, v81, v4
	ds_bpermute_b32 v8, v81, v6
	v_cmp_gt_u32_e32 vcc, v82, v3
	s_waitcnt lgkmcnt(1)
	v_add_u32_e32 v5, v4, v5
	s_waitcnt lgkmcnt(0)
	v_add_u32_e32 v8, v6, v8
	v_cndmask_b32_e32 v4, v5, v4, vcc
	v_mov_b32_e32 v5, 0x80
	v_cndmask_b32_e32 v6, v8, v6, vcc
	v_lshl_or_b32 v83, v63, 2, v5
	ds_bpermute_b32 v5, v83, v4
	ds_bpermute_b32 v8, v83, v6
	v_cmp_le_u32_e32 vcc, v84, v3
	s_waitcnt lgkmcnt(1)
	v_cndmask_b32_e32 v3, 0, v5, vcc
	s_waitcnt lgkmcnt(0)
	v_cndmask_b32_e32 v5, 0, v8, vcc
	v_add_u32_e32 v6, v6, v5
	v_add_u32_e32 v5, v4, v3
	s_branch .LBB644_128
.LBB644_125:                            ;   in Loop: Header=BB644_128 Depth=1
	s_or_b64 exec, exec, s[16:17]
.LBB644_126:                            ;   in Loop: Header=BB644_128 Depth=1
	s_or_b64 exec, exec, s[14:15]
	v_cmp_eq_u16_sdwa s[14:15], v7, v72 src0_sel:BYTE_0 src1_sel:DWORD
	v_and_b32_e32 v8, s15, v26
	ds_bpermute_b32 v28, v74, v5
	ds_bpermute_b32 v85, v74, v6
	v_or_b32_e32 v8, 0x80000000, v8
	v_and_b32_e32 v27, s14, v25
	v_ffbl_b32_e32 v8, v8
	v_add_u32_e32 v8, 32, v8
	v_ffbl_b32_e32 v27, v27
	v_min_u32_e32 v8, v27, v8
	s_waitcnt lgkmcnt(1)
	v_add_u32_e32 v27, v28, v5
	s_waitcnt lgkmcnt(0)
	v_add_u32_e32 v28, v85, v6
	v_cmp_lt_u32_e32 vcc, v73, v8
	v_cndmask_b32_e32 v6, v6, v28, vcc
	v_cndmask_b32_e32 v5, v5, v27, vcc
	ds_bpermute_b32 v27, v75, v5
	ds_bpermute_b32 v28, v75, v6
	v_cmp_gt_u32_e32 vcc, v76, v8
	v_subrev_u32_e32 v23, 64, v23
	s_mov_b64 s[14:15], 0
	s_waitcnt lgkmcnt(1)
	v_add_u32_e32 v27, v5, v27
	s_waitcnt lgkmcnt(0)
	v_add_u32_e32 v28, v6, v28
	v_cndmask_b32_e32 v6, v28, v6, vcc
	v_cndmask_b32_e32 v5, v27, v5, vcc
	ds_bpermute_b32 v27, v77, v5
	ds_bpermute_b32 v28, v77, v6
	v_cmp_gt_u32_e32 vcc, v78, v8
	s_waitcnt lgkmcnt(1)
	v_add_u32_e32 v27, v5, v27
	s_waitcnt lgkmcnt(0)
	v_add_u32_e32 v28, v6, v28
	v_cndmask_b32_e32 v6, v28, v6, vcc
	v_cndmask_b32_e32 v5, v27, v5, vcc
	ds_bpermute_b32 v27, v79, v5
	ds_bpermute_b32 v28, v79, v6
	v_cmp_gt_u32_e32 vcc, v80, v8
	;; [unrolled: 9-line block ×3, first 2 shown]
	s_waitcnt lgkmcnt(1)
	v_add_u32_e32 v27, v5, v27
	s_waitcnt lgkmcnt(0)
	v_add_u32_e32 v28, v6, v28
	v_cndmask_b32_e32 v6, v28, v6, vcc
	v_cndmask_b32_e32 v5, v27, v5, vcc
	ds_bpermute_b32 v27, v83, v5
	ds_bpermute_b32 v28, v83, v6
	v_cmp_le_u32_e32 vcc, v84, v8
	s_waitcnt lgkmcnt(1)
	v_cndmask_b32_e32 v8, 0, v27, vcc
	s_waitcnt lgkmcnt(0)
	v_cndmask_b32_e32 v27, 0, v28, vcc
	v_add3_u32 v6, v27, v4, v6
	v_add3_u32 v5, v8, v3, v5
.LBB644_127:                            ;   in Loop: Header=BB644_128 Depth=1
	s_and_b64 vcc, exec, s[14:15]
	s_cbranch_vccnz .LBB644_133
.LBB644_128:                            ; =>This Loop Header: Depth=1
                                        ;     Child Loop BB644_131 Depth 2
	v_mov_b32_e32 v3, v5
	v_cmp_ne_u16_sdwa s[14:15], v7, v72 src0_sel:BYTE_0 src1_sel:DWORD
	v_mov_b32_e32 v4, v6
	s_cmp_lg_u64 s[14:15], exec
	s_mov_b64 s[14:15], -1
                                        ; implicit-def: $vgpr7
                                        ; implicit-def: $vgpr5_vgpr6
	s_cbranch_scc1 .LBB644_127
; %bb.129:                              ;   in Loop: Header=BB644_128 Depth=1
	v_lshlrev_b64 v[5:6], 4, v[23:24]
	v_mov_b32_e32 v7, s13
	v_add_co_u32_e32 v27, vcc, s12, v5
	v_addc_co_u32_e32 v28, vcc, v7, v6, vcc
	;;#ASMSTART
	global_load_dwordx4 v[5:8], v[27:28] off glc	
s_waitcnt vmcnt(0)
	;;#ASMEND
	v_cmp_eq_u16_sdwa s[16:17], v7, v24 src0_sel:BYTE_0 src1_sel:DWORD
	s_and_saveexec_b64 s[14:15], s[16:17]
	s_cbranch_execz .LBB644_126
; %bb.130:                              ;   in Loop: Header=BB644_128 Depth=1
	s_mov_b64 s[16:17], 0
.LBB644_131:                            ;   Parent Loop BB644_128 Depth=1
                                        ; =>  This Inner Loop Header: Depth=2
	;;#ASMSTART
	global_load_dwordx4 v[5:8], v[27:28] off glc	
s_waitcnt vmcnt(0)
	;;#ASMEND
	v_cmp_ne_u16_sdwa s[20:21], v7, v24 src0_sel:BYTE_0 src1_sel:DWORD
	s_or_b64 s[16:17], s[20:21], s[16:17]
	s_andn2_b64 exec, exec, s[16:17]
	s_cbranch_execnz .LBB644_131
	s_branch .LBB644_125
.LBB644_132:
                                        ; implicit-def: $vgpr22
                                        ; implicit-def: $vgpr3
                                        ; implicit-def: $vgpr23
	s_cbranch_execnz .LBB644_138
	s_branch .LBB644_147
.LBB644_133:
	s_and_saveexec_b64 s[14:15], s[8:9]
	s_cbranch_execnz .LBB644_375
; %bb.134:
	s_or_b64 exec, exec, s[14:15]
	s_and_saveexec_b64 s[6:7], s[8:9]
	s_cbranch_execnz .LBB644_376
.LBB644_135:
	s_or_b64 exec, exec, s[6:7]
	v_cmp_eq_u32_e32 vcc, 0, v0
	s_and_b64 exec, exec, vcc
.LBB644_136:
	v_mov_b32_e32 v1, 0
	ds_write_b64 v1, v[3:4] offset:24
.LBB644_137:
	s_or_b64 exec, exec, s[10:11]
	v_mov_b32_e32 v1, 0
	s_waitcnt lgkmcnt(0)
	s_barrier
	ds_read_b64 v[5:6], v1 offset:24
	v_cndmask_b32_e64 v2, v71, v22, s[8:9]
	v_cndmask_b32_e64 v3, v70, v21, s[8:9]
	s_waitcnt lgkmcnt(0)
	s_barrier
	v_add_u32_e32 v7, v5, v3
	v_add_u32_e32 v8, v6, v2
	ds_read_b128 v[1:4], v1 offset:13312
	v_cmp_eq_u32_e32 vcc, 0, v0
	v_cndmask_b32_e32 v22, v8, v6, vcc
	v_cndmask_b32_e32 v23, v7, v5, vcc
	s_branch .LBB644_147
.LBB644_138:
	s_waitcnt lgkmcnt(0)
	v_mov_b32_dpp v1, v68 row_shr:1 row_mask:0xf bank_mask:0xf
	v_mov_b32_dpp v2, v69 row_shr:1 row_mask:0xf bank_mask:0xf
	v_add_u32_e32 v1, v1, v68
	v_add_u32_e32 v2, v2, v69
	v_cndmask_b32_e64 v2, v2, v69, s[4:5]
	v_cndmask_b32_e64 v1, v1, v68, s[4:5]
	v_cmp_lt_u32_e32 vcc, 3, v67
	v_mov_b32_dpp v4, v2 row_shr:2 row_mask:0xf bank_mask:0xf
	v_mov_b32_dpp v3, v1 row_shr:2 row_mask:0xf bank_mask:0xf
	v_add_u32_e32 v3, v1, v3
	v_add_u32_e32 v4, v2, v4
	v_cndmask_b32_e64 v2, v2, v4, s[2:3]
	v_cndmask_b32_e64 v1, v1, v3, s[2:3]
	v_cmp_eq_u32_e64 s[2:3], v0, v65
	v_mov_b32_dpp v4, v2 row_shr:4 row_mask:0xf bank_mask:0xf
	v_mov_b32_dpp v3, v1 row_shr:4 row_mask:0xf bank_mask:0xf
	v_add_u32_e32 v3, v1, v3
	v_add_u32_e32 v4, v2, v4
	v_cndmask_b32_e32 v2, v2, v4, vcc
	v_cndmask_b32_e32 v1, v1, v3, vcc
	v_cmp_lt_u32_e32 vcc, 7, v67
	v_mov_b32_dpp v4, v2 row_shr:8 row_mask:0xf bank_mask:0xf
	v_mov_b32_dpp v3, v1 row_shr:8 row_mask:0xf bank_mask:0xf
	v_add_u32_e32 v3, v1, v3
	v_add_u32_e32 v4, v2, v4
	v_cndmask_b32_e32 v2, v2, v4, vcc
	v_cndmask_b32_e32 v3, v1, v3, vcc
	v_cmp_eq_u32_e32 vcc, 0, v66
	v_mov_b32_dpp v4, v2 row_bcast:15 row_mask:0xf bank_mask:0xf
	v_mov_b32_dpp v1, v3 row_bcast:15 row_mask:0xf bank_mask:0xf
	v_add_u32_e32 v5, v3, v1
	v_add_u32_e32 v1, v2, v4
	v_cndmask_b32_e32 v1, v1, v2, vcc
	v_cndmask_b32_e32 v2, v5, v3, vcc
	v_cmp_lt_u32_e32 vcc, 31, v63
	v_mov_b32_dpp v3, v1 row_bcast:31 row_mask:0xf bank_mask:0xf
	v_mov_b32_dpp v4, v2 row_bcast:31 row_mask:0xf bank_mask:0xf
	v_add_u32_e32 v3, v1, v3
	v_add_u32_e32 v4, v2, v4
	s_and_saveexec_b64 s[4:5], s[2:3]
; %bb.139:
	v_cndmask_b32_e32 v5, v2, v4, vcc
	v_cndmask_b32_e32 v6, v1, v3, vcc
	v_lshlrev_b32_e32 v7, 3, v64
	ds_write_b64 v7, v[5:6]
; %bb.140:
	s_or_b64 exec, exec, s[4:5]
	v_cmp_gt_u32_e64 s[2:3], 4, v0
	s_waitcnt lgkmcnt(0)
	s_barrier
	s_and_saveexec_b64 s[4:5], s[2:3]
	s_cbranch_execz .LBB644_142
; %bb.141:
	v_lshlrev_b32_e32 v7, 3, v0
	ds_read_b64 v[5:6], v7
	v_and_b32_e32 v8, 3, v63
	v_cmp_eq_u32_e64 s[2:3], 0, v8
	s_waitcnt lgkmcnt(0)
	v_mov_b32_dpp v21, v5 row_shr:1 row_mask:0xf bank_mask:0xf
	v_mov_b32_dpp v22, v6 row_shr:1 row_mask:0xf bank_mask:0xf
	v_add_u32_e32 v21, v21, v5
	v_add_u32_e32 v22, v22, v6
	v_cndmask_b32_e64 v6, v22, v6, s[2:3]
	v_cndmask_b32_e64 v5, v21, v5, s[2:3]
	v_cmp_lt_u32_e64 s[2:3], 1, v8
	v_mov_b32_dpp v22, v6 row_shr:2 row_mask:0xf bank_mask:0xf
	v_mov_b32_dpp v21, v5 row_shr:2 row_mask:0xf bank_mask:0xf
	v_cndmask_b32_e64 v8, 0, v21, s[2:3]
	v_cndmask_b32_e64 v21, 0, v22, s[2:3]
	v_add_u32_e32 v6, v21, v6
	v_add_u32_e32 v5, v8, v5
	ds_write_b64 v7, v[5:6]
.LBB644_142:
	s_or_b64 exec, exec, s[4:5]
	v_cmp_lt_u32_e64 s[2:3], 63, v0
	v_mov_b32_e32 v7, 0
	v_mov_b32_e32 v5, 0
	;; [unrolled: 1-line block ×3, first 2 shown]
	s_waitcnt lgkmcnt(0)
	s_barrier
	s_and_saveexec_b64 s[4:5], s[2:3]
; %bb.143:
	v_lshl_add_u32 v5, v64, 3, -8
	ds_read_b64 v[5:6], v5
; %bb.144:
	s_or_b64 exec, exec, s[4:5]
	v_cndmask_b32_e32 v2, v2, v4, vcc
	v_cndmask_b32_e32 v1, v1, v3, vcc
	v_subrev_co_u32_e32 v3, vcc, 1, v63
	v_and_b32_e32 v4, 64, v63
	v_cmp_lt_i32_e64 s[2:3], v3, v4
	v_cndmask_b32_e64 v3, v3, v63, s[2:3]
	s_waitcnt lgkmcnt(0)
	v_add_u32_e32 v1, v6, v1
	v_add_u32_e32 v2, v5, v2
	v_lshlrev_b32_e32 v3, 2, v3
	ds_bpermute_b32 v8, v3, v2
	ds_bpermute_b32 v21, v3, v1
	ds_read_b64 v[1:2], v7 offset:24
	v_cmp_eq_u32_e64 s[2:3], 0, v0
	s_and_saveexec_b64 s[4:5], s[2:3]
	s_cbranch_execz .LBB644_146
; %bb.145:
	s_add_u32 s6, s12, 0x400
	s_addc_u32 s7, s13, 0
	v_mov_b32_e32 v23, s7
	v_mov_b32_e32 v3, 2
	;; [unrolled: 1-line block ×4, first 2 shown]
	s_waitcnt lgkmcnt(0)
	;;#ASMSTART
	global_store_dwordx4 v[22:23], v[1:4] off	
s_waitcnt vmcnt(0)
	;;#ASMEND
.LBB644_146:
	s_or_b64 exec, exec, s[4:5]
	s_waitcnt lgkmcnt(2)
	v_cndmask_b32_e32 v3, v8, v5, vcc
	s_waitcnt lgkmcnt(1)
	v_cndmask_b32_e32 v4, v21, v6, vcc
	v_cndmask_b32_e64 v22, v4, 0, s[2:3]
	v_cndmask_b32_e64 v23, v3, 0, s[2:3]
	v_mov_b32_e32 v4, 0
	v_mov_b32_e32 v3, 0
	s_waitcnt lgkmcnt(0)
	s_barrier
.LBB644_147:
	v_mov_b32_e32 v6, s49
	s_waitcnt lgkmcnt(0)
	v_add_co_u32_e32 v5, vcc, s48, v3
	v_addc_co_u32_e32 v6, vcc, 0, v6, vcc
	v_mov_b32_e32 v27, s51
	v_sub_co_u32_e32 v28, vcc, s50, v1
	v_subbrev_co_u32_e32 v69, vcc, 0, v27, vcc
	v_add_co_u32_e32 v27, vcc, v28, v4
	v_add_u32_e32 v49, v22, v49
	v_addc_co_u32_e32 v28, vcc, 0, v69, vcc
	v_lshlrev_b32_e32 v69, 1, v1
	v_sub_u32_e32 v22, v22, v4
	v_lshrrev_b32_e32 v26, 8, v37
	v_add_u32_e32 v48, v23, v48
	v_add_u32_e32 v70, v69, v2
	v_sub_u32_e32 v23, v23, v3
	v_add_u32_e32 v22, v22, v1
	v_add_u32_e32 v30, v70, v30
	v_and_b32_e32 v26, 1, v26
	v_add_u32_e32 v71, v23, v22
	v_and_b32_e32 v70, 1, v31
	v_sub_u32_e32 v71, v30, v71
	v_cmp_eq_u32_e32 vcc, 1, v26
	v_cndmask_b32_e32 v22, v71, v22, vcc
	v_cmp_eq_u32_e32 vcc, 1, v70
	v_cndmask_b32_e32 v22, v22, v23, vcc
	v_lshlrev_b32_e32 v22, 2, v22
	v_sub_u32_e32 v23, v49, v4
	v_lshrrev_b32_e32 v25, 8, v31
	ds_write_b32 v22, v19
	v_sub_u32_e32 v19, v48, v3
	v_add_u32_e32 v23, v23, v1
	v_add_u32_e32 v45, v48, v45
	v_and_b32_e32 v22, 1, v25
	v_mov_b32_e32 v25, 1
	v_add_u32_e32 v48, v23, v19
	v_and_b32_sdwa v26, v25, v37 dst_sel:DWORD dst_unused:UNUSED_PAD src0_sel:DWORD src1_sel:WORD_1
	v_sub_u32_e32 v48, v30, v48
	v_add_u32_e32 v48, 1, v48
	v_cmp_eq_u32_e32 vcc, 1, v26
	v_cndmask_b32_e32 v23, v48, v23, vcc
	v_cmp_eq_u32_e32 vcc, 1, v22
	v_add_u32_e32 v57, v49, v57
	v_cndmask_b32_e32 v19, v23, v19, vcc
	v_lshlrev_b32_e32 v19, 2, v19
	v_sub_u32_e32 v22, v57, v4
	ds_write_b32 v19, v20
	v_sub_u32_e32 v19, v45, v3
	v_add_u32_e32 v22, v22, v1
	v_add_u32_e32 v26, v22, v19
	v_and_b32_e32 v23, 1, v44
	v_sub_u32_e32 v26, v30, v26
	v_and_b32_sdwa v20, v25, v31 dst_sel:DWORD dst_unused:UNUSED_PAD src0_sel:DWORD src1_sel:WORD_1
	v_add_u32_e32 v26, 2, v26
	v_cmp_eq_u32_e32 vcc, 1, v23
	v_cndmask_b32_e32 v22, v26, v22, vcc
	v_cmp_eq_u32_e32 vcc, 1, v20
	v_add_u32_e32 v63, v57, v44
	v_cndmask_b32_e32 v19, v22, v19, vcc
	v_add_u32_e32 v50, v45, v50
	v_lshlrev_b32_e32 v19, 2, v19
	v_sub_u32_e32 v20, v63, v4
	ds_write_b32 v19, v17
	v_sub_u32_e32 v17, v50, v3
	v_add_u32_e32 v20, v20, v1
	v_add_u32_e32 v23, v17, v20
	v_and_b32_e32 v22, 1, v32
	v_sub_u32_e32 v23, v30, v23
	v_and_b32_e32 v19, 1, v43
	v_add_u32_e32 v23, 3, v23
	v_cmp_eq_u32_e32 vcc, 1, v22
	v_cndmask_b32_e32 v20, v23, v20, vcc
	v_cmp_eq_u32_e32 vcc, 1, v19
	v_add_u32_e32 v58, v63, v58
	v_cndmask_b32_e32 v17, v20, v17, vcc
	v_add_u32_e32 v64, v50, v43
	v_lshlrev_b32_e32 v17, 2, v17
	v_sub_u32_e32 v19, v58, v4
	ds_write_b32 v17, v18
	v_sub_u32_e32 v17, v64, v3
	v_add_u32_e32 v19, v19, v1
	v_lshrrev_b32_e32 v24, 8, v32
	v_add_u32_e32 v22, v17, v19
	v_and_b32_e32 v20, 1, v24
	v_sub_u32_e32 v22, v30, v22
	v_and_b32_e32 v18, 1, v33
	v_add_u32_e32 v22, 4, v22
	v_cmp_eq_u32_e32 vcc, 1, v20
	v_cndmask_b32_e32 v19, v22, v19, vcc
	v_cmp_eq_u32_e32 vcc, 1, v18
	v_add_u32_e32 v52, v58, v52
	v_cndmask_b32_e32 v17, v19, v17, vcc
	v_add_u32_e32 v51, v64, v51
	v_lshlrev_b32_e32 v17, 2, v17
	v_sub_u32_e32 v18, v52, v4
	ds_write_b32 v17, v15
	v_sub_u32_e32 v15, v51, v3
	v_add_u32_e32 v18, v18, v1
	v_add_u32_e32 v20, v15, v18
	v_lshrrev_b32_e32 v21, 8, v33
	v_and_b32_sdwa v19, v25, v32 dst_sel:DWORD dst_unused:UNUSED_PAD src0_sel:DWORD src1_sel:WORD_1
	v_sub_u32_e32 v20, v30, v20
	v_and_b32_e32 v17, 1, v21
	v_add_u32_e32 v20, 5, v20
	v_cmp_eq_u32_e32 vcc, 1, v19
	v_cndmask_b32_e32 v18, v20, v18, vcc
	v_cmp_eq_u32_e32 vcc, 1, v17
	v_add_u32_e32 v59, v52, v59
	v_cndmask_b32_e32 v15, v18, v15, vcc
	v_add_u32_e32 v46, v51, v46
	v_lshlrev_b32_e32 v15, 2, v15
	v_sub_u32_e32 v17, v59, v4
	ds_write_b32 v15, v16
	v_sub_u32_e32 v15, v46, v3
	v_add_u32_e32 v17, v17, v1
	v_add_u32_e32 v19, v15, v17
	v_and_b32_e32 v18, 1, v42
	v_sub_u32_e32 v19, v30, v19
	v_and_b32_sdwa v16, v25, v33 dst_sel:DWORD dst_unused:UNUSED_PAD src0_sel:DWORD src1_sel:WORD_1
	v_add_u32_e32 v19, 6, v19
	v_cmp_eq_u32_e32 vcc, 1, v18
	v_cndmask_b32_e32 v17, v19, v17, vcc
	v_cmp_eq_u32_e32 vcc, 1, v16
	v_add_u32_e32 v65, v59, v42
	v_cndmask_b32_e32 v15, v17, v15, vcc
	v_add_u32_e32 v53, v46, v53
	v_lshlrev_b32_e32 v15, 2, v15
	v_sub_u32_e32 v16, v65, v4
	ds_write_b32 v15, v13
	v_sub_u32_e32 v13, v53, v3
	v_add_u32_e32 v16, v16, v1
	v_add_u32_e32 v18, v13, v16
	v_and_b32_e32 v17, 1, v34
	v_sub_u32_e32 v18, v30, v18
	v_and_b32_e32 v15, 1, v41
	v_add_u32_e32 v18, 7, v18
	v_cmp_eq_u32_e32 vcc, 1, v17
	v_cndmask_b32_e32 v16, v18, v16, vcc
	v_cmp_eq_u32_e32 vcc, 1, v15
	v_add_u32_e32 v60, v65, v60
	v_cndmask_b32_e32 v13, v16, v13, vcc
	v_add_u32_e32 v66, v53, v41
	v_lshlrev_b32_e32 v13, 2, v13
	v_sub_u32_e32 v15, v60, v4
	ds_write_b32 v13, v14
	v_sub_u32_e32 v13, v66, v3
	v_add_u32_e32 v15, v15, v1
	v_lshrrev_b32_e32 v8, 8, v34
	v_add_u32_e32 v16, v13, v15
	v_and_b32_e32 v8, 1, v8
	v_sub_u32_e32 v16, v30, v16
	v_and_b32_e32 v14, 1, v36
	v_add_u32_e32 v16, 8, v16
	v_cmp_eq_u32_e32 vcc, 1, v8
	v_cndmask_b32_e32 v8, v16, v15, vcc
	v_cmp_eq_u32_e32 vcc, 1, v14
	v_cndmask_b32_e32 v8, v8, v13, vcc
	v_add_u32_e32 v55, v60, v55
	v_lshlrev_b32_e32 v8, 2, v8
	v_add_u32_e32 v54, v66, v54
	ds_write_b32 v8, v11
	v_sub_u32_e32 v11, v55, v4
	v_sub_u32_e32 v8, v54, v3
	v_add_u32_e32 v11, v11, v1
	v_add_u32_e32 v14, v8, v11
	v_lshrrev_b32_e32 v7, 8, v36
	v_and_b32_sdwa v13, v25, v34 dst_sel:DWORD dst_unused:UNUSED_PAD src0_sel:DWORD src1_sel:WORD_1
	v_sub_u32_e32 v14, v30, v14
	v_and_b32_e32 v7, 1, v7
	v_add_u32_e32 v14, 9, v14
	v_cmp_eq_u32_e32 vcc, 1, v13
	v_cndmask_b32_e32 v11, v14, v11, vcc
	v_cmp_eq_u32_e32 vcc, 1, v7
	v_add_u32_e32 v61, v55, v61
	v_cndmask_b32_e32 v7, v11, v8, vcc
	v_add_u32_e32 v47, v54, v47
	v_lshlrev_b32_e32 v7, 2, v7
	v_sub_u32_e32 v11, v61, v4
	ds_write_b32 v7, v12
	v_sub_u32_e32 v7, v47, v3
	v_add_u32_e32 v11, v11, v1
	v_add_u32_e32 v13, v7, v11
	v_and_b32_e32 v12, 1, v40
	v_sub_u32_e32 v13, v30, v13
	v_and_b32_sdwa v8, v25, v36 dst_sel:DWORD dst_unused:UNUSED_PAD src0_sel:DWORD src1_sel:WORD_1
	v_add_u32_e32 v13, 10, v13
	v_cmp_eq_u32_e32 vcc, 1, v12
	v_cndmask_b32_e32 v11, v13, v11, vcc
	v_cmp_eq_u32_e32 vcc, 1, v8
	v_cndmask_b32_e32 v7, v11, v7, vcc
	v_add_u32_e32 v67, v61, v40
	v_lshlrev_b32_e32 v7, 2, v7
	v_add_u32_e32 v56, v47, v56
	ds_write_b32 v7, v9
	v_sub_u32_e32 v9, v67, v4
	v_sub_u32_e32 v7, v56, v3
	v_add_u32_e32 v9, v9, v1
	v_add_u32_e32 v12, v7, v9
	v_and_b32_e32 v11, 1, v35
	v_sub_u32_e32 v12, v30, v12
	v_and_b32_e32 v8, 1, v39
	v_add_u32_e32 v12, 11, v12
	v_cmp_eq_u32_e32 vcc, 1, v11
	v_add_u32_e32 v62, v67, v62
	v_cndmask_b32_e32 v9, v12, v9, vcc
	v_cmp_eq_u32_e32 vcc, 1, v8
	v_add_u32_e32 v68, v56, v39
	v_cndmask_b32_e32 v7, v9, v7, vcc
	v_sub_u32_e32 v8, v62, v4
	v_lshlrev_b32_e32 v7, 2, v7
	v_sub_u32_e32 v3, v68, v3
	v_add_u32_e32 v8, v8, v1
	ds_write_b32 v7, v10
	v_add_u32_e32 v10, v3, v8
	v_and_b32_e32 v9, 1, v38
	v_sub_u32_e32 v10, v30, v10
	v_and_b32_e32 v7, 1, v37
	v_add_u32_e32 v10, 12, v10
	v_cmp_eq_u32_e32 vcc, 1, v9
	v_cndmask_b32_e32 v8, v10, v8, vcc
	v_cmp_eq_u32_e32 vcc, 1, v7
	v_cndmask_b32_e32 v3, v8, v3, vcc
	v_lshlrev_b32_e32 v3, 2, v3
	ds_write_b32 v3, v29
	v_add_co_u32_e32 v3, vcc, v2, v69
	v_addc_co_u32_e64 v7, s[2:3], 0, 0, vcc
	v_add_co_u32_e32 v3, vcc, v3, v27
	v_addc_co_u32_e32 v7, vcc, v7, v28, vcc
	s_add_u32 s4, s56, s33
	v_add_co_u32_e32 v3, vcc, v3, v5
	s_addc_u32 s5, s57, 0
	v_addc_co_u32_e32 v7, vcc, v7, v6, vcc
	v_mov_b32_e32 v8, s5
	v_sub_co_u32_e32 v3, vcc, s4, v3
	v_subb_co_u32_e32 v11, vcc, v8, v7, vcc
	v_lshlrev_b64 v[7:8], 2, v[27:28]
	v_mov_b32_e32 v9, s55
	v_add_co_u32_e32 v7, vcc, s54, v7
	v_addc_co_u32_e32 v8, vcc, v9, v8, vcc
	v_lshlrev_b64 v[9:10], 2, v[5:6]
	v_mov_b32_e32 v13, s53
	v_add_co_u32_e32 v9, vcc, s52, v9
	v_addc_co_u32_e32 v10, vcc, v13, v10, vcc
	v_add_u32_e32 v12, v1, v2
	s_and_b64 vcc, exec, s[0:1]
	s_mov_b64 s[0:1], -1
	s_waitcnt lgkmcnt(0)
	s_barrier
	s_cbranch_vccz .LBB644_151
; %bb.148:
	s_and_b64 vcc, exec, s[0:1]
	s_cbranch_vccnz .LBB644_256
.LBB644_149:
	v_cmp_eq_u32_e32 vcc, 0, v0
	s_and_b64 s[0:1], vcc, s[34:35]
	s_and_saveexec_b64 s[2:3], s[0:1]
	s_cbranch_execnz .LBB644_374
.LBB644_150:
	s_endpgm
.LBB644_151:
	v_cmp_ge_u32_e32 vcc, v0, v1
	s_and_saveexec_b64 s[0:1], vcc
	s_xor_b64 s[0:1], exec, s[0:1]
	s_cbranch_execz .LBB644_157
; %bb.152:
	v_cmp_ge_u32_e32 vcc, v0, v12
	s_and_saveexec_b64 s[2:3], vcc
	s_xor_b64 s[2:3], exec, s[2:3]
	s_cbranch_execz .LBB644_154
; %bb.153:
	v_add_co_u32_e32 v13, vcc, v3, v0
	v_lshlrev_b32_e32 v15, 2, v0
	v_addc_co_u32_e32 v14, vcc, 0, v11, vcc
	ds_read_b32 v15, v15
	v_lshlrev_b64 v[13:14], 2, v[13:14]
	v_mov_b32_e32 v16, s47
	v_sub_co_u32_e32 v13, vcc, s46, v13
	v_subb_co_u32_e32 v14, vcc, v16, v14, vcc
	s_waitcnt lgkmcnt(0)
	global_store_dword v[13:14], v15, off offset:-4
.LBB644_154:
	s_andn2_saveexec_b64 s[2:3], s[2:3]
	s_cbranch_execz .LBB644_156
; %bb.155:
	v_lshlrev_b32_e32 v13, 2, v0
	ds_read_b32 v14, v13
	v_readfirstlane_b32 s4, v7
	v_readfirstlane_b32 s5, v8
	s_waitcnt lgkmcnt(0)
	s_nop 3
	global_store_dword v13, v14, s[4:5]
.LBB644_156:
	s_or_b64 exec, exec, s[2:3]
.LBB644_157:
	s_andn2_saveexec_b64 s[0:1], s[0:1]
	s_cbranch_execz .LBB644_159
; %bb.158:
	v_lshlrev_b32_e32 v13, 2, v0
	ds_read_b32 v14, v13
	v_readfirstlane_b32 s2, v9
	v_readfirstlane_b32 s3, v10
	s_waitcnt lgkmcnt(0)
	s_nop 3
	global_store_dword v13, v14, s[2:3]
.LBB644_159:
	s_or_b64 exec, exec, s[0:1]
	v_or_b32_e32 v13, 0x100, v0
	v_cmp_ge_u32_e32 vcc, v13, v1
	s_and_saveexec_b64 s[0:1], vcc
	s_xor_b64 s[0:1], exec, s[0:1]
	s_cbranch_execz .LBB644_165
; %bb.160:
	v_cmp_ge_u32_e32 vcc, v13, v12
	s_and_saveexec_b64 s[2:3], vcc
	s_xor_b64 s[2:3], exec, s[2:3]
	s_cbranch_execz .LBB644_162
; %bb.161:
	v_lshlrev_b32_e32 v13, 2, v0
	ds_read_b32 v15, v13 offset:1024
	v_add_co_u32_e32 v13, vcc, v3, v0
	v_addc_co_u32_e32 v14, vcc, 0, v11, vcc
	v_lshlrev_b64 v[13:14], 2, v[13:14]
	v_mov_b32_e32 v16, s47
	v_sub_co_u32_e32 v13, vcc, s46, v13
	v_subb_co_u32_e32 v14, vcc, v16, v14, vcc
	s_waitcnt lgkmcnt(0)
	global_store_dword v[13:14], v15, off offset:-1028
.LBB644_162:
	s_andn2_saveexec_b64 s[2:3], s[2:3]
	s_cbranch_execz .LBB644_164
; %bb.163:
	v_lshlrev_b32_e32 v13, 2, v0
	ds_read_b32 v14, v13 offset:1024
	v_readfirstlane_b32 s4, v7
	v_readfirstlane_b32 s5, v8
	s_waitcnt lgkmcnt(0)
	s_nop 3
	global_store_dword v13, v14, s[4:5] offset:1024
.LBB644_164:
	s_or_b64 exec, exec, s[2:3]
.LBB644_165:
	s_andn2_saveexec_b64 s[0:1], s[0:1]
	s_cbranch_execz .LBB644_167
; %bb.166:
	v_lshlrev_b32_e32 v13, 2, v0
	ds_read_b32 v14, v13 offset:1024
	v_readfirstlane_b32 s2, v9
	v_readfirstlane_b32 s3, v10
	s_waitcnt lgkmcnt(0)
	s_nop 3
	global_store_dword v13, v14, s[2:3] offset:1024
.LBB644_167:
	s_or_b64 exec, exec, s[0:1]
	v_or_b32_e32 v13, 0x200, v0
	v_cmp_ge_u32_e32 vcc, v13, v1
	s_and_saveexec_b64 s[0:1], vcc
	s_xor_b64 s[0:1], exec, s[0:1]
	s_cbranch_execz .LBB644_173
; %bb.168:
	v_cmp_ge_u32_e32 vcc, v13, v12
	s_and_saveexec_b64 s[2:3], vcc
	s_xor_b64 s[2:3], exec, s[2:3]
	s_cbranch_execz .LBB644_170
; %bb.169:
	v_lshlrev_b32_e32 v13, 2, v0
	ds_read_b32 v15, v13 offset:2048
	v_add_co_u32_e32 v13, vcc, v3, v0
	v_addc_co_u32_e32 v14, vcc, 0, v11, vcc
	v_lshlrev_b64 v[13:14], 2, v[13:14]
	v_mov_b32_e32 v16, s47
	v_sub_co_u32_e32 v13, vcc, s46, v13
	v_subb_co_u32_e32 v14, vcc, v16, v14, vcc
	s_waitcnt lgkmcnt(0)
	global_store_dword v[13:14], v15, off offset:-2052
.LBB644_170:
	s_andn2_saveexec_b64 s[2:3], s[2:3]
	s_cbranch_execz .LBB644_172
; %bb.171:
	v_lshlrev_b32_e32 v13, 2, v0
	ds_read_b32 v14, v13 offset:2048
	v_readfirstlane_b32 s4, v7
	v_readfirstlane_b32 s5, v8
	s_waitcnt lgkmcnt(0)
	s_nop 3
	global_store_dword v13, v14, s[4:5] offset:2048
.LBB644_172:
	s_or_b64 exec, exec, s[2:3]
.LBB644_173:
	s_andn2_saveexec_b64 s[0:1], s[0:1]
	s_cbranch_execz .LBB644_175
; %bb.174:
	v_lshlrev_b32_e32 v13, 2, v0
	ds_read_b32 v14, v13 offset:2048
	v_readfirstlane_b32 s2, v9
	v_readfirstlane_b32 s3, v10
	s_waitcnt lgkmcnt(0)
	s_nop 3
	global_store_dword v13, v14, s[2:3] offset:2048
.LBB644_175:
	;; [unrolled: 47-line block ×3, first 2 shown]
	s_or_b64 exec, exec, s[0:1]
	v_or_b32_e32 v13, 0x400, v0
	v_cmp_ge_u32_e32 vcc, v13, v1
	s_and_saveexec_b64 s[0:1], vcc
	s_xor_b64 s[0:1], exec, s[0:1]
	s_cbranch_execz .LBB644_189
; %bb.184:
	v_cmp_ge_u32_e32 vcc, v13, v12
	s_and_saveexec_b64 s[2:3], vcc
	s_xor_b64 s[2:3], exec, s[2:3]
	s_cbranch_execz .LBB644_186
; %bb.185:
	v_lshlrev_b32_e32 v13, 2, v0
	ds_read_b32 v15, v13 offset:4096
	v_add_co_u32_e32 v13, vcc, v3, v0
	v_addc_co_u32_e32 v14, vcc, 0, v11, vcc
	v_lshlrev_b64 v[13:14], 2, v[13:14]
	v_mov_b32_e32 v16, s47
	v_sub_co_u32_e32 v13, vcc, s46, v13
	v_subb_co_u32_e32 v14, vcc, v16, v14, vcc
	v_add_co_u32_e32 v13, vcc, 0xfffff000, v13
	v_addc_co_u32_e32 v14, vcc, -1, v14, vcc
	s_waitcnt lgkmcnt(0)
	global_store_dword v[13:14], v15, off offset:-4
                                        ; implicit-def: $vgpr13
.LBB644_186:
	s_andn2_saveexec_b64 s[2:3], s[2:3]
	s_cbranch_execz .LBB644_188
; %bb.187:
	v_lshlrev_b32_e32 v14, 2, v0
	ds_read_b32 v14, v14 offset:4096
	v_lshlrev_b32_e32 v13, 2, v13
	v_readfirstlane_b32 s4, v7
	v_readfirstlane_b32 s5, v8
	s_waitcnt lgkmcnt(0)
	s_nop 3
	global_store_dword v13, v14, s[4:5]
.LBB644_188:
	s_or_b64 exec, exec, s[2:3]
                                        ; implicit-def: $vgpr13
.LBB644_189:
	s_andn2_saveexec_b64 s[0:1], s[0:1]
	s_cbranch_execz .LBB644_191
; %bb.190:
	v_lshlrev_b32_e32 v14, 2, v0
	ds_read_b32 v14, v14 offset:4096
	v_lshlrev_b32_e32 v13, 2, v13
	v_readfirstlane_b32 s2, v9
	v_readfirstlane_b32 s3, v10
	s_waitcnt lgkmcnt(0)
	s_nop 3
	global_store_dword v13, v14, s[2:3]
.LBB644_191:
	s_or_b64 exec, exec, s[0:1]
	v_or_b32_e32 v13, 0x500, v0
	v_cmp_ge_u32_e32 vcc, v13, v1
	s_and_saveexec_b64 s[0:1], vcc
	s_xor_b64 s[0:1], exec, s[0:1]
	s_cbranch_execz .LBB644_197
; %bb.192:
	v_cmp_ge_u32_e32 vcc, v13, v12
	s_and_saveexec_b64 s[2:3], vcc
	s_xor_b64 s[2:3], exec, s[2:3]
	s_cbranch_execz .LBB644_194
; %bb.193:
	v_add_co_u32_e32 v13, vcc, v3, v13
	v_lshlrev_b32_e32 v15, 2, v0
	v_addc_co_u32_e32 v14, vcc, 0, v11, vcc
	ds_read_b32 v15, v15 offset:5120
	v_lshlrev_b64 v[13:14], 2, v[13:14]
	v_mov_b32_e32 v16, s47
	v_sub_co_u32_e32 v13, vcc, s46, v13
	v_subb_co_u32_e32 v14, vcc, v16, v14, vcc
	s_waitcnt lgkmcnt(0)
	global_store_dword v[13:14], v15, off offset:-4
                                        ; implicit-def: $vgpr13
.LBB644_194:
	s_andn2_saveexec_b64 s[2:3], s[2:3]
	s_cbranch_execz .LBB644_196
; %bb.195:
	v_lshlrev_b32_e32 v14, 2, v0
	ds_read_b32 v14, v14 offset:5120
	v_lshlrev_b32_e32 v13, 2, v13
	v_readfirstlane_b32 s4, v7
	v_readfirstlane_b32 s5, v8
	s_waitcnt lgkmcnt(0)
	s_nop 3
	global_store_dword v13, v14, s[4:5]
.LBB644_196:
	s_or_b64 exec, exec, s[2:3]
                                        ; implicit-def: $vgpr13
.LBB644_197:
	s_andn2_saveexec_b64 s[0:1], s[0:1]
	s_cbranch_execz .LBB644_199
; %bb.198:
	v_lshlrev_b32_e32 v14, 2, v0
	ds_read_b32 v14, v14 offset:5120
	v_lshlrev_b32_e32 v13, 2, v13
	v_readfirstlane_b32 s2, v9
	v_readfirstlane_b32 s3, v10
	s_waitcnt lgkmcnt(0)
	s_nop 3
	global_store_dword v13, v14, s[2:3]
.LBB644_199:
	s_or_b64 exec, exec, s[0:1]
	v_or_b32_e32 v13, 0x600, v0
	v_cmp_ge_u32_e32 vcc, v13, v1
	s_and_saveexec_b64 s[0:1], vcc
	s_xor_b64 s[0:1], exec, s[0:1]
	s_cbranch_execz .LBB644_205
; %bb.200:
	v_cmp_ge_u32_e32 vcc, v13, v12
	s_and_saveexec_b64 s[2:3], vcc
	s_xor_b64 s[2:3], exec, s[2:3]
	s_cbranch_execz .LBB644_202
; %bb.201:
	v_add_co_u32_e32 v13, vcc, v3, v13
	v_lshlrev_b32_e32 v15, 2, v0
	v_addc_co_u32_e32 v14, vcc, 0, v11, vcc
	ds_read_b32 v15, v15 offset:6144
	v_lshlrev_b64 v[13:14], 2, v[13:14]
	v_mov_b32_e32 v16, s47
	v_sub_co_u32_e32 v13, vcc, s46, v13
	v_subb_co_u32_e32 v14, vcc, v16, v14, vcc
	s_waitcnt lgkmcnt(0)
	global_store_dword v[13:14], v15, off offset:-4
                                        ; implicit-def: $vgpr13
.LBB644_202:
	s_andn2_saveexec_b64 s[2:3], s[2:3]
	s_cbranch_execz .LBB644_204
; %bb.203:
	v_lshlrev_b32_e32 v14, 2, v0
	ds_read_b32 v14, v14 offset:6144
	v_lshlrev_b32_e32 v13, 2, v13
	v_readfirstlane_b32 s4, v7
	v_readfirstlane_b32 s5, v8
	s_waitcnt lgkmcnt(0)
	s_nop 3
	global_store_dword v13, v14, s[4:5]
.LBB644_204:
	s_or_b64 exec, exec, s[2:3]
                                        ; implicit-def: $vgpr13
.LBB644_205:
	;; [unrolled: 51-line block ×8, first 2 shown]
	s_andn2_saveexec_b64 s[0:1], s[0:1]
	s_cbranch_execz .LBB644_255
; %bb.254:
	v_lshlrev_b32_e32 v14, 2, v0
	ds_read_b32 v14, v14 offset:12288
	v_lshlrev_b32_e32 v13, 2, v13
	v_readfirstlane_b32 s2, v9
	v_readfirstlane_b32 s3, v10
	s_waitcnt lgkmcnt(0)
	s_nop 3
	global_store_dword v13, v14, s[2:3]
.LBB644_255:
	s_or_b64 exec, exec, s[0:1]
	s_branch .LBB644_149
.LBB644_256:
	v_cmp_gt_u32_e32 vcc, s18, v0
	s_and_saveexec_b64 s[0:1], vcc
	s_cbranch_execz .LBB644_265
; %bb.257:
	v_cmp_ge_u32_e32 vcc, v0, v1
	s_and_saveexec_b64 s[2:3], vcc
	s_xor_b64 s[2:3], exec, s[2:3]
	s_cbranch_execz .LBB644_263
; %bb.258:
	v_cmp_ge_u32_e32 vcc, v0, v12
	s_and_saveexec_b64 s[4:5], vcc
	s_xor_b64 s[4:5], exec, s[4:5]
	s_cbranch_execz .LBB644_260
; %bb.259:
	v_add_co_u32_e32 v13, vcc, v3, v0
	v_lshlrev_b32_e32 v15, 2, v0
	v_addc_co_u32_e32 v14, vcc, 0, v11, vcc
	ds_read_b32 v15, v15
	v_lshlrev_b64 v[13:14], 2, v[13:14]
	v_mov_b32_e32 v16, s47
	v_sub_co_u32_e32 v13, vcc, s46, v13
	v_subb_co_u32_e32 v14, vcc, v16, v14, vcc
	s_waitcnt lgkmcnt(0)
	global_store_dword v[13:14], v15, off offset:-4
.LBB644_260:
	s_andn2_saveexec_b64 s[4:5], s[4:5]
	s_cbranch_execz .LBB644_262
; %bb.261:
	v_lshlrev_b32_e32 v13, 2, v0
	ds_read_b32 v14, v13
	v_readfirstlane_b32 s6, v7
	v_readfirstlane_b32 s7, v8
	s_waitcnt lgkmcnt(0)
	s_nop 3
	global_store_dword v13, v14, s[6:7]
.LBB644_262:
	s_or_b64 exec, exec, s[4:5]
.LBB644_263:
	s_andn2_saveexec_b64 s[2:3], s[2:3]
	s_cbranch_execz .LBB644_265
; %bb.264:
	v_lshlrev_b32_e32 v13, 2, v0
	ds_read_b32 v14, v13
	v_readfirstlane_b32 s2, v9
	v_readfirstlane_b32 s3, v10
	s_waitcnt lgkmcnt(0)
	s_nop 3
	global_store_dword v13, v14, s[2:3]
.LBB644_265:
	s_or_b64 exec, exec, s[0:1]
	v_or_b32_e32 v13, 0x100, v0
	v_cmp_gt_u32_e32 vcc, s18, v13
	s_and_saveexec_b64 s[0:1], vcc
	s_cbranch_execz .LBB644_274
; %bb.266:
	v_cmp_ge_u32_e32 vcc, v13, v1
	s_and_saveexec_b64 s[2:3], vcc
	s_xor_b64 s[2:3], exec, s[2:3]
	s_cbranch_execz .LBB644_272
; %bb.267:
	v_cmp_ge_u32_e32 vcc, v13, v12
	s_and_saveexec_b64 s[4:5], vcc
	s_xor_b64 s[4:5], exec, s[4:5]
	s_cbranch_execz .LBB644_269
; %bb.268:
	v_lshlrev_b32_e32 v13, 2, v0
	ds_read_b32 v15, v13 offset:1024
	v_add_co_u32_e32 v13, vcc, v3, v0
	v_addc_co_u32_e32 v14, vcc, 0, v11, vcc
	v_lshlrev_b64 v[13:14], 2, v[13:14]
	v_mov_b32_e32 v16, s47
	v_sub_co_u32_e32 v13, vcc, s46, v13
	v_subb_co_u32_e32 v14, vcc, v16, v14, vcc
	s_waitcnt lgkmcnt(0)
	global_store_dword v[13:14], v15, off offset:-1028
.LBB644_269:
	s_andn2_saveexec_b64 s[4:5], s[4:5]
	s_cbranch_execz .LBB644_271
; %bb.270:
	v_lshlrev_b32_e32 v13, 2, v0
	ds_read_b32 v14, v13 offset:1024
	v_readfirstlane_b32 s6, v7
	v_readfirstlane_b32 s7, v8
	s_waitcnt lgkmcnt(0)
	s_nop 3
	global_store_dword v13, v14, s[6:7] offset:1024
.LBB644_271:
	s_or_b64 exec, exec, s[4:5]
.LBB644_272:
	s_andn2_saveexec_b64 s[2:3], s[2:3]
	s_cbranch_execz .LBB644_274
; %bb.273:
	v_lshlrev_b32_e32 v13, 2, v0
	ds_read_b32 v14, v13 offset:1024
	v_readfirstlane_b32 s2, v9
	v_readfirstlane_b32 s3, v10
	s_waitcnt lgkmcnt(0)
	s_nop 3
	global_store_dword v13, v14, s[2:3] offset:1024
.LBB644_274:
	s_or_b64 exec, exec, s[0:1]
	v_or_b32_e32 v13, 0x200, v0
	v_cmp_gt_u32_e32 vcc, s18, v13
	s_and_saveexec_b64 s[0:1], vcc
	s_cbranch_execz .LBB644_283
; %bb.275:
	v_cmp_ge_u32_e32 vcc, v13, v1
	s_and_saveexec_b64 s[2:3], vcc
	s_xor_b64 s[2:3], exec, s[2:3]
	s_cbranch_execz .LBB644_281
; %bb.276:
	v_cmp_ge_u32_e32 vcc, v13, v12
	s_and_saveexec_b64 s[4:5], vcc
	s_xor_b64 s[4:5], exec, s[4:5]
	s_cbranch_execz .LBB644_278
; %bb.277:
	v_lshlrev_b32_e32 v13, 2, v0
	ds_read_b32 v15, v13 offset:2048
	v_add_co_u32_e32 v13, vcc, v3, v0
	v_addc_co_u32_e32 v14, vcc, 0, v11, vcc
	v_lshlrev_b64 v[13:14], 2, v[13:14]
	v_mov_b32_e32 v16, s47
	v_sub_co_u32_e32 v13, vcc, s46, v13
	v_subb_co_u32_e32 v14, vcc, v16, v14, vcc
	s_waitcnt lgkmcnt(0)
	global_store_dword v[13:14], v15, off offset:-2052
.LBB644_278:
	s_andn2_saveexec_b64 s[4:5], s[4:5]
	s_cbranch_execz .LBB644_280
; %bb.279:
	v_lshlrev_b32_e32 v13, 2, v0
	ds_read_b32 v14, v13 offset:2048
	v_readfirstlane_b32 s6, v7
	v_readfirstlane_b32 s7, v8
	s_waitcnt lgkmcnt(0)
	s_nop 3
	global_store_dword v13, v14, s[6:7] offset:2048
.LBB644_280:
	s_or_b64 exec, exec, s[4:5]
.LBB644_281:
	s_andn2_saveexec_b64 s[2:3], s[2:3]
	s_cbranch_execz .LBB644_283
; %bb.282:
	v_lshlrev_b32_e32 v13, 2, v0
	ds_read_b32 v14, v13 offset:2048
	v_readfirstlane_b32 s2, v9
	v_readfirstlane_b32 s3, v10
	s_waitcnt lgkmcnt(0)
	s_nop 3
	global_store_dword v13, v14, s[2:3] offset:2048
.LBB644_283:
	;; [unrolled: 51-line block ×3, first 2 shown]
	s_or_b64 exec, exec, s[0:1]
	v_or_b32_e32 v13, 0x400, v0
	v_cmp_gt_u32_e32 vcc, s18, v13
	s_and_saveexec_b64 s[0:1], vcc
	s_cbranch_execz .LBB644_301
; %bb.293:
	v_cmp_ge_u32_e32 vcc, v13, v1
	s_and_saveexec_b64 s[2:3], vcc
	s_xor_b64 s[2:3], exec, s[2:3]
	s_cbranch_execz .LBB644_299
; %bb.294:
	v_cmp_ge_u32_e32 vcc, v13, v12
	s_and_saveexec_b64 s[4:5], vcc
	s_xor_b64 s[4:5], exec, s[4:5]
	s_cbranch_execz .LBB644_296
; %bb.295:
	v_lshlrev_b32_e32 v13, 2, v0
	ds_read_b32 v15, v13 offset:4096
	v_add_co_u32_e32 v13, vcc, v3, v0
	v_addc_co_u32_e32 v14, vcc, 0, v11, vcc
	v_lshlrev_b64 v[13:14], 2, v[13:14]
	v_mov_b32_e32 v16, s47
	v_sub_co_u32_e32 v13, vcc, s46, v13
	v_subb_co_u32_e32 v14, vcc, v16, v14, vcc
	v_add_co_u32_e32 v13, vcc, 0xfffff000, v13
	v_addc_co_u32_e32 v14, vcc, -1, v14, vcc
	s_waitcnt lgkmcnt(0)
	global_store_dword v[13:14], v15, off offset:-4
                                        ; implicit-def: $vgpr13
.LBB644_296:
	s_andn2_saveexec_b64 s[4:5], s[4:5]
	s_cbranch_execz .LBB644_298
; %bb.297:
	v_lshlrev_b32_e32 v14, 2, v0
	ds_read_b32 v14, v14 offset:4096
	v_lshlrev_b32_e32 v13, 2, v13
	v_readfirstlane_b32 s6, v7
	v_readfirstlane_b32 s7, v8
	s_waitcnt lgkmcnt(0)
	s_nop 3
	global_store_dword v13, v14, s[6:7]
.LBB644_298:
	s_or_b64 exec, exec, s[4:5]
                                        ; implicit-def: $vgpr13
.LBB644_299:
	s_andn2_saveexec_b64 s[2:3], s[2:3]
	s_cbranch_execz .LBB644_301
; %bb.300:
	v_lshlrev_b32_e32 v14, 2, v0
	ds_read_b32 v14, v14 offset:4096
	v_lshlrev_b32_e32 v13, 2, v13
	v_readfirstlane_b32 s2, v9
	v_readfirstlane_b32 s3, v10
	s_waitcnt lgkmcnt(0)
	s_nop 3
	global_store_dword v13, v14, s[2:3]
.LBB644_301:
	s_or_b64 exec, exec, s[0:1]
	v_or_b32_e32 v13, 0x500, v0
	v_cmp_gt_u32_e32 vcc, s18, v13
	s_and_saveexec_b64 s[0:1], vcc
	s_cbranch_execz .LBB644_310
; %bb.302:
	v_cmp_ge_u32_e32 vcc, v13, v1
	s_and_saveexec_b64 s[2:3], vcc
	s_xor_b64 s[2:3], exec, s[2:3]
	s_cbranch_execz .LBB644_308
; %bb.303:
	v_cmp_ge_u32_e32 vcc, v13, v12
	s_and_saveexec_b64 s[4:5], vcc
	s_xor_b64 s[4:5], exec, s[4:5]
	s_cbranch_execz .LBB644_305
; %bb.304:
	v_add_co_u32_e32 v13, vcc, v3, v13
	v_lshlrev_b32_e32 v15, 2, v0
	v_addc_co_u32_e32 v14, vcc, 0, v11, vcc
	ds_read_b32 v15, v15 offset:5120
	v_lshlrev_b64 v[13:14], 2, v[13:14]
	v_mov_b32_e32 v16, s47
	v_sub_co_u32_e32 v13, vcc, s46, v13
	v_subb_co_u32_e32 v14, vcc, v16, v14, vcc
	s_waitcnt lgkmcnt(0)
	global_store_dword v[13:14], v15, off offset:-4
                                        ; implicit-def: $vgpr13
.LBB644_305:
	s_andn2_saveexec_b64 s[4:5], s[4:5]
	s_cbranch_execz .LBB644_307
; %bb.306:
	v_lshlrev_b32_e32 v14, 2, v0
	ds_read_b32 v14, v14 offset:5120
	v_lshlrev_b32_e32 v13, 2, v13
	v_readfirstlane_b32 s6, v7
	v_readfirstlane_b32 s7, v8
	s_waitcnt lgkmcnt(0)
	s_nop 3
	global_store_dword v13, v14, s[6:7]
.LBB644_307:
	s_or_b64 exec, exec, s[4:5]
                                        ; implicit-def: $vgpr13
.LBB644_308:
	s_andn2_saveexec_b64 s[2:3], s[2:3]
	s_cbranch_execz .LBB644_310
; %bb.309:
	v_lshlrev_b32_e32 v14, 2, v0
	ds_read_b32 v14, v14 offset:5120
	v_lshlrev_b32_e32 v13, 2, v13
	v_readfirstlane_b32 s2, v9
	v_readfirstlane_b32 s3, v10
	s_waitcnt lgkmcnt(0)
	s_nop 3
	global_store_dword v13, v14, s[2:3]
.LBB644_310:
	s_or_b64 exec, exec, s[0:1]
	v_or_b32_e32 v13, 0x600, v0
	v_cmp_gt_u32_e32 vcc, s18, v13
	s_and_saveexec_b64 s[0:1], vcc
	s_cbranch_execz .LBB644_319
; %bb.311:
	v_cmp_ge_u32_e32 vcc, v13, v1
	s_and_saveexec_b64 s[2:3], vcc
	s_xor_b64 s[2:3], exec, s[2:3]
	s_cbranch_execz .LBB644_317
; %bb.312:
	v_cmp_ge_u32_e32 vcc, v13, v12
	s_and_saveexec_b64 s[4:5], vcc
	s_xor_b64 s[4:5], exec, s[4:5]
	s_cbranch_execz .LBB644_314
; %bb.313:
	v_add_co_u32_e32 v13, vcc, v3, v13
	v_lshlrev_b32_e32 v15, 2, v0
	v_addc_co_u32_e32 v14, vcc, 0, v11, vcc
	ds_read_b32 v15, v15 offset:6144
	v_lshlrev_b64 v[13:14], 2, v[13:14]
	v_mov_b32_e32 v16, s47
	v_sub_co_u32_e32 v13, vcc, s46, v13
	v_subb_co_u32_e32 v14, vcc, v16, v14, vcc
	s_waitcnt lgkmcnt(0)
	global_store_dword v[13:14], v15, off offset:-4
                                        ; implicit-def: $vgpr13
.LBB644_314:
	s_andn2_saveexec_b64 s[4:5], s[4:5]
	s_cbranch_execz .LBB644_316
; %bb.315:
	v_lshlrev_b32_e32 v14, 2, v0
	ds_read_b32 v14, v14 offset:6144
	v_lshlrev_b32_e32 v13, 2, v13
	v_readfirstlane_b32 s6, v7
	v_readfirstlane_b32 s7, v8
	s_waitcnt lgkmcnt(0)
	s_nop 3
	global_store_dword v13, v14, s[6:7]
.LBB644_316:
	s_or_b64 exec, exec, s[4:5]
                                        ; implicit-def: $vgpr13
.LBB644_317:
	s_andn2_saveexec_b64 s[2:3], s[2:3]
	s_cbranch_execz .LBB644_319
; %bb.318:
	v_lshlrev_b32_e32 v14, 2, v0
	ds_read_b32 v14, v14 offset:6144
	v_lshlrev_b32_e32 v13, 2, v13
	v_readfirstlane_b32 s2, v9
	v_readfirstlane_b32 s3, v10
	s_waitcnt lgkmcnt(0)
	s_nop 3
	global_store_dword v13, v14, s[2:3]
.LBB644_319:
	;; [unrolled: 55-line block ×7, first 2 shown]
	s_or_b64 exec, exec, s[0:1]
	v_or_b32_e32 v13, 0xc00, v0
	v_cmp_gt_u32_e32 vcc, s18, v13
	s_and_saveexec_b64 s[0:1], vcc
	s_cbranch_execz .LBB644_373
; %bb.365:
	v_cmp_ge_u32_e32 vcc, v13, v1
	s_and_saveexec_b64 s[2:3], vcc
	s_xor_b64 s[2:3], exec, s[2:3]
	s_cbranch_execz .LBB644_371
; %bb.366:
	v_cmp_ge_u32_e32 vcc, v13, v12
	s_and_saveexec_b64 s[4:5], vcc
	s_xor_b64 s[4:5], exec, s[4:5]
	s_cbranch_execz .LBB644_368
; %bb.367:
	v_add_co_u32_e32 v7, vcc, v3, v13
	v_lshlrev_b32_e32 v3, 2, v0
	v_addc_co_u32_e32 v8, vcc, 0, v11, vcc
	ds_read_b32 v3, v3 offset:12288
	v_lshlrev_b64 v[7:8], 2, v[7:8]
	v_mov_b32_e32 v9, s47
	v_sub_co_u32_e32 v7, vcc, s46, v7
	v_subb_co_u32_e32 v8, vcc, v9, v8, vcc
	s_waitcnt lgkmcnt(0)
	global_store_dword v[7:8], v3, off offset:-4
                                        ; implicit-def: $vgpr13
                                        ; implicit-def: $vgpr7_vgpr8
.LBB644_368:
	s_andn2_saveexec_b64 s[4:5], s[4:5]
	s_cbranch_execz .LBB644_370
; %bb.369:
	v_lshlrev_b32_e32 v3, 2, v0
	ds_read_b32 v3, v3 offset:12288
	v_lshlrev_b32_e32 v9, 2, v13
	v_readfirstlane_b32 s6, v7
	v_readfirstlane_b32 s7, v8
	s_waitcnt lgkmcnt(0)
	s_nop 3
	global_store_dword v9, v3, s[6:7]
.LBB644_370:
	s_or_b64 exec, exec, s[4:5]
                                        ; implicit-def: $vgpr13
                                        ; implicit-def: $vgpr9_vgpr10
.LBB644_371:
	s_andn2_saveexec_b64 s[2:3], s[2:3]
	s_cbranch_execz .LBB644_373
; %bb.372:
	v_lshlrev_b32_e32 v3, 2, v0
	ds_read_b32 v3, v3 offset:12288
	v_lshlrev_b32_e32 v7, 2, v13
	v_readfirstlane_b32 s2, v9
	v_readfirstlane_b32 s3, v10
	s_waitcnt lgkmcnt(0)
	s_nop 3
	global_store_dword v7, v3, s[2:3]
.LBB644_373:
	s_or_b64 exec, exec, s[0:1]
	v_cmp_eq_u32_e32 vcc, 0, v0
	s_and_b64 s[0:1], vcc, s[34:35]
	s_and_saveexec_b64 s[2:3], s[0:1]
	s_cbranch_execz .LBB644_150
.LBB644_374:
	v_mov_b32_e32 v0, s51
	v_add_co_u32_e32 v2, vcc, s50, v2
	v_addc_co_u32_e32 v0, vcc, 0, v0, vcc
	v_add_co_u32_e32 v2, vcc, v2, v4
	v_addc_co_u32_e32 v3, vcc, 0, v0, vcc
	v_add_co_u32_e32 v0, vcc, v5, v1
	v_mov_b32_e32 v7, 0
	v_addc_co_u32_e32 v1, vcc, 0, v6, vcc
	global_store_dwordx4 v7, v[0:3], s[44:45]
	s_endpgm
.LBB644_375:
	s_add_i32 s6, s6, 64
	s_mov_b32 s7, 0
	s_lshl_b64 s[6:7], s[6:7], 4
	s_add_u32 s6, s12, s6
	s_addc_u32 s7, s13, s7
	v_mov_b32_e32 v24, s7
	v_add_u32_e32 v6, v4, v2
	v_add_u32_e32 v5, v3, v1
	v_mov_b32_e32 v7, 2
	v_mov_b32_e32 v8, 0
	;; [unrolled: 1-line block ×3, first 2 shown]
	;;#ASMSTART
	global_store_dwordx4 v[23:24], v[5:8] off	
s_waitcnt vmcnt(0)
	;;#ASMEND
	s_or_b64 exec, exec, s[14:15]
	s_and_saveexec_b64 s[6:7], s[8:9]
	s_cbranch_execz .LBB644_135
.LBB644_376:
	v_mov_b32_e32 v5, 0
	ds_write_b128 v5, v[1:4] offset:13312
	s_or_b64 exec, exec, s[6:7]
	v_cmp_eq_u32_e32 vcc, 0, v0
	s_and_b64 exec, exec, vcc
	s_cbranch_execnz .LBB644_136
	s_branch .LBB644_137
	.section	.rodata,"a",@progbits
	.p2align	6, 0x0
	.amdhsa_kernel _ZN7rocprim17ROCPRIM_400000_NS6detail17trampoline_kernelINS0_13select_configILj256ELj13ELNS0_17block_load_methodE3ELS4_3ELS4_3ELNS0_20block_scan_algorithmE0ELj4294967295EEENS1_25partition_config_selectorILNS1_17partition_subalgoE4EjNS0_10empty_typeEbEEZZNS1_14partition_implILS8_4ELb0ES6_15HIP_vector_typeIjLj2EENS0_17counting_iteratorIjlEEPS9_SG_NS0_5tupleIJPjSI_NS0_16reverse_iteratorISI_EEEEENSH_IJSG_SG_SG_EEES9_SI_JZNS1_25segmented_radix_sort_implINS0_14default_configELb1EPKlPlSQ_SR_N2at6native12_GLOBAL__N_18offset_tEEE10hipError_tPvRmT1_PNSt15iterator_traitsISZ_E10value_typeET2_T3_PNS10_IS15_E10value_typeET4_jRbjT5_S1B_jjP12ihipStream_tbEUljE_ZNSN_ISO_Lb1ESQ_SR_SQ_SR_SV_EESW_SX_SY_SZ_S13_S14_S15_S18_S19_jS1A_jS1B_S1B_jjS1D_bEUljE0_EEESW_SX_SY_S15_S19_S1B_T6_T7_T9_mT8_S1D_bDpT10_ENKUlT_T0_E_clISt17integral_constantIbLb0EES1R_EEDaS1M_S1N_EUlS1M_E_NS1_11comp_targetILNS1_3genE2ELNS1_11target_archE906ELNS1_3gpuE6ELNS1_3repE0EEENS1_30default_config_static_selectorELNS0_4arch9wavefront6targetE1EEEvSZ_
		.amdhsa_group_segment_fixed_size 13328
		.amdhsa_private_segment_fixed_size 0
		.amdhsa_kernarg_size 176
		.amdhsa_user_sgpr_count 6
		.amdhsa_user_sgpr_private_segment_buffer 1
		.amdhsa_user_sgpr_dispatch_ptr 0
		.amdhsa_user_sgpr_queue_ptr 0
		.amdhsa_user_sgpr_kernarg_segment_ptr 1
		.amdhsa_user_sgpr_dispatch_id 0
		.amdhsa_user_sgpr_flat_scratch_init 0
		.amdhsa_user_sgpr_private_segment_size 0
		.amdhsa_uses_dynamic_stack 0
		.amdhsa_system_sgpr_private_segment_wavefront_offset 0
		.amdhsa_system_sgpr_workgroup_id_x 1
		.amdhsa_system_sgpr_workgroup_id_y 0
		.amdhsa_system_sgpr_workgroup_id_z 0
		.amdhsa_system_sgpr_workgroup_info 0
		.amdhsa_system_vgpr_workitem_id 0
		.amdhsa_next_free_vgpr 86
		.amdhsa_next_free_sgpr 98
		.amdhsa_reserve_vcc 1
		.amdhsa_reserve_flat_scratch 0
		.amdhsa_float_round_mode_32 0
		.amdhsa_float_round_mode_16_64 0
		.amdhsa_float_denorm_mode_32 3
		.amdhsa_float_denorm_mode_16_64 3
		.amdhsa_dx10_clamp 1
		.amdhsa_ieee_mode 1
		.amdhsa_fp16_overflow 0
		.amdhsa_exception_fp_ieee_invalid_op 0
		.amdhsa_exception_fp_denorm_src 0
		.amdhsa_exception_fp_ieee_div_zero 0
		.amdhsa_exception_fp_ieee_overflow 0
		.amdhsa_exception_fp_ieee_underflow 0
		.amdhsa_exception_fp_ieee_inexact 0
		.amdhsa_exception_int_div_zero 0
	.end_amdhsa_kernel
	.section	.text._ZN7rocprim17ROCPRIM_400000_NS6detail17trampoline_kernelINS0_13select_configILj256ELj13ELNS0_17block_load_methodE3ELS4_3ELS4_3ELNS0_20block_scan_algorithmE0ELj4294967295EEENS1_25partition_config_selectorILNS1_17partition_subalgoE4EjNS0_10empty_typeEbEEZZNS1_14partition_implILS8_4ELb0ES6_15HIP_vector_typeIjLj2EENS0_17counting_iteratorIjlEEPS9_SG_NS0_5tupleIJPjSI_NS0_16reverse_iteratorISI_EEEEENSH_IJSG_SG_SG_EEES9_SI_JZNS1_25segmented_radix_sort_implINS0_14default_configELb1EPKlPlSQ_SR_N2at6native12_GLOBAL__N_18offset_tEEE10hipError_tPvRmT1_PNSt15iterator_traitsISZ_E10value_typeET2_T3_PNS10_IS15_E10value_typeET4_jRbjT5_S1B_jjP12ihipStream_tbEUljE_ZNSN_ISO_Lb1ESQ_SR_SQ_SR_SV_EESW_SX_SY_SZ_S13_S14_S15_S18_S19_jS1A_jS1B_S1B_jjS1D_bEUljE0_EEESW_SX_SY_S15_S19_S1B_T6_T7_T9_mT8_S1D_bDpT10_ENKUlT_T0_E_clISt17integral_constantIbLb0EES1R_EEDaS1M_S1N_EUlS1M_E_NS1_11comp_targetILNS1_3genE2ELNS1_11target_archE906ELNS1_3gpuE6ELNS1_3repE0EEENS1_30default_config_static_selectorELNS0_4arch9wavefront6targetE1EEEvSZ_,"axG",@progbits,_ZN7rocprim17ROCPRIM_400000_NS6detail17trampoline_kernelINS0_13select_configILj256ELj13ELNS0_17block_load_methodE3ELS4_3ELS4_3ELNS0_20block_scan_algorithmE0ELj4294967295EEENS1_25partition_config_selectorILNS1_17partition_subalgoE4EjNS0_10empty_typeEbEEZZNS1_14partition_implILS8_4ELb0ES6_15HIP_vector_typeIjLj2EENS0_17counting_iteratorIjlEEPS9_SG_NS0_5tupleIJPjSI_NS0_16reverse_iteratorISI_EEEEENSH_IJSG_SG_SG_EEES9_SI_JZNS1_25segmented_radix_sort_implINS0_14default_configELb1EPKlPlSQ_SR_N2at6native12_GLOBAL__N_18offset_tEEE10hipError_tPvRmT1_PNSt15iterator_traitsISZ_E10value_typeET2_T3_PNS10_IS15_E10value_typeET4_jRbjT5_S1B_jjP12ihipStream_tbEUljE_ZNSN_ISO_Lb1ESQ_SR_SQ_SR_SV_EESW_SX_SY_SZ_S13_S14_S15_S18_S19_jS1A_jS1B_S1B_jjS1D_bEUljE0_EEESW_SX_SY_S15_S19_S1B_T6_T7_T9_mT8_S1D_bDpT10_ENKUlT_T0_E_clISt17integral_constantIbLb0EES1R_EEDaS1M_S1N_EUlS1M_E_NS1_11comp_targetILNS1_3genE2ELNS1_11target_archE906ELNS1_3gpuE6ELNS1_3repE0EEENS1_30default_config_static_selectorELNS0_4arch9wavefront6targetE1EEEvSZ_,comdat
.Lfunc_end644:
	.size	_ZN7rocprim17ROCPRIM_400000_NS6detail17trampoline_kernelINS0_13select_configILj256ELj13ELNS0_17block_load_methodE3ELS4_3ELS4_3ELNS0_20block_scan_algorithmE0ELj4294967295EEENS1_25partition_config_selectorILNS1_17partition_subalgoE4EjNS0_10empty_typeEbEEZZNS1_14partition_implILS8_4ELb0ES6_15HIP_vector_typeIjLj2EENS0_17counting_iteratorIjlEEPS9_SG_NS0_5tupleIJPjSI_NS0_16reverse_iteratorISI_EEEEENSH_IJSG_SG_SG_EEES9_SI_JZNS1_25segmented_radix_sort_implINS0_14default_configELb1EPKlPlSQ_SR_N2at6native12_GLOBAL__N_18offset_tEEE10hipError_tPvRmT1_PNSt15iterator_traitsISZ_E10value_typeET2_T3_PNS10_IS15_E10value_typeET4_jRbjT5_S1B_jjP12ihipStream_tbEUljE_ZNSN_ISO_Lb1ESQ_SR_SQ_SR_SV_EESW_SX_SY_SZ_S13_S14_S15_S18_S19_jS1A_jS1B_S1B_jjS1D_bEUljE0_EEESW_SX_SY_S15_S19_S1B_T6_T7_T9_mT8_S1D_bDpT10_ENKUlT_T0_E_clISt17integral_constantIbLb0EES1R_EEDaS1M_S1N_EUlS1M_E_NS1_11comp_targetILNS1_3genE2ELNS1_11target_archE906ELNS1_3gpuE6ELNS1_3repE0EEENS1_30default_config_static_selectorELNS0_4arch9wavefront6targetE1EEEvSZ_, .Lfunc_end644-_ZN7rocprim17ROCPRIM_400000_NS6detail17trampoline_kernelINS0_13select_configILj256ELj13ELNS0_17block_load_methodE3ELS4_3ELS4_3ELNS0_20block_scan_algorithmE0ELj4294967295EEENS1_25partition_config_selectorILNS1_17partition_subalgoE4EjNS0_10empty_typeEbEEZZNS1_14partition_implILS8_4ELb0ES6_15HIP_vector_typeIjLj2EENS0_17counting_iteratorIjlEEPS9_SG_NS0_5tupleIJPjSI_NS0_16reverse_iteratorISI_EEEEENSH_IJSG_SG_SG_EEES9_SI_JZNS1_25segmented_radix_sort_implINS0_14default_configELb1EPKlPlSQ_SR_N2at6native12_GLOBAL__N_18offset_tEEE10hipError_tPvRmT1_PNSt15iterator_traitsISZ_E10value_typeET2_T3_PNS10_IS15_E10value_typeET4_jRbjT5_S1B_jjP12ihipStream_tbEUljE_ZNSN_ISO_Lb1ESQ_SR_SQ_SR_SV_EESW_SX_SY_SZ_S13_S14_S15_S18_S19_jS1A_jS1B_S1B_jjS1D_bEUljE0_EEESW_SX_SY_S15_S19_S1B_T6_T7_T9_mT8_S1D_bDpT10_ENKUlT_T0_E_clISt17integral_constantIbLb0EES1R_EEDaS1M_S1N_EUlS1M_E_NS1_11comp_targetILNS1_3genE2ELNS1_11target_archE906ELNS1_3gpuE6ELNS1_3repE0EEENS1_30default_config_static_selectorELNS0_4arch9wavefront6targetE1EEEvSZ_
                                        ; -- End function
	.set _ZN7rocprim17ROCPRIM_400000_NS6detail17trampoline_kernelINS0_13select_configILj256ELj13ELNS0_17block_load_methodE3ELS4_3ELS4_3ELNS0_20block_scan_algorithmE0ELj4294967295EEENS1_25partition_config_selectorILNS1_17partition_subalgoE4EjNS0_10empty_typeEbEEZZNS1_14partition_implILS8_4ELb0ES6_15HIP_vector_typeIjLj2EENS0_17counting_iteratorIjlEEPS9_SG_NS0_5tupleIJPjSI_NS0_16reverse_iteratorISI_EEEEENSH_IJSG_SG_SG_EEES9_SI_JZNS1_25segmented_radix_sort_implINS0_14default_configELb1EPKlPlSQ_SR_N2at6native12_GLOBAL__N_18offset_tEEE10hipError_tPvRmT1_PNSt15iterator_traitsISZ_E10value_typeET2_T3_PNS10_IS15_E10value_typeET4_jRbjT5_S1B_jjP12ihipStream_tbEUljE_ZNSN_ISO_Lb1ESQ_SR_SQ_SR_SV_EESW_SX_SY_SZ_S13_S14_S15_S18_S19_jS1A_jS1B_S1B_jjS1D_bEUljE0_EEESW_SX_SY_S15_S19_S1B_T6_T7_T9_mT8_S1D_bDpT10_ENKUlT_T0_E_clISt17integral_constantIbLb0EES1R_EEDaS1M_S1N_EUlS1M_E_NS1_11comp_targetILNS1_3genE2ELNS1_11target_archE906ELNS1_3gpuE6ELNS1_3repE0EEENS1_30default_config_static_selectorELNS0_4arch9wavefront6targetE1EEEvSZ_.num_vgpr, 86
	.set _ZN7rocprim17ROCPRIM_400000_NS6detail17trampoline_kernelINS0_13select_configILj256ELj13ELNS0_17block_load_methodE3ELS4_3ELS4_3ELNS0_20block_scan_algorithmE0ELj4294967295EEENS1_25partition_config_selectorILNS1_17partition_subalgoE4EjNS0_10empty_typeEbEEZZNS1_14partition_implILS8_4ELb0ES6_15HIP_vector_typeIjLj2EENS0_17counting_iteratorIjlEEPS9_SG_NS0_5tupleIJPjSI_NS0_16reverse_iteratorISI_EEEEENSH_IJSG_SG_SG_EEES9_SI_JZNS1_25segmented_radix_sort_implINS0_14default_configELb1EPKlPlSQ_SR_N2at6native12_GLOBAL__N_18offset_tEEE10hipError_tPvRmT1_PNSt15iterator_traitsISZ_E10value_typeET2_T3_PNS10_IS15_E10value_typeET4_jRbjT5_S1B_jjP12ihipStream_tbEUljE_ZNSN_ISO_Lb1ESQ_SR_SQ_SR_SV_EESW_SX_SY_SZ_S13_S14_S15_S18_S19_jS1A_jS1B_S1B_jjS1D_bEUljE0_EEESW_SX_SY_S15_S19_S1B_T6_T7_T9_mT8_S1D_bDpT10_ENKUlT_T0_E_clISt17integral_constantIbLb0EES1R_EEDaS1M_S1N_EUlS1M_E_NS1_11comp_targetILNS1_3genE2ELNS1_11target_archE906ELNS1_3gpuE6ELNS1_3repE0EEENS1_30default_config_static_selectorELNS0_4arch9wavefront6targetE1EEEvSZ_.num_agpr, 0
	.set _ZN7rocprim17ROCPRIM_400000_NS6detail17trampoline_kernelINS0_13select_configILj256ELj13ELNS0_17block_load_methodE3ELS4_3ELS4_3ELNS0_20block_scan_algorithmE0ELj4294967295EEENS1_25partition_config_selectorILNS1_17partition_subalgoE4EjNS0_10empty_typeEbEEZZNS1_14partition_implILS8_4ELb0ES6_15HIP_vector_typeIjLj2EENS0_17counting_iteratorIjlEEPS9_SG_NS0_5tupleIJPjSI_NS0_16reverse_iteratorISI_EEEEENSH_IJSG_SG_SG_EEES9_SI_JZNS1_25segmented_radix_sort_implINS0_14default_configELb1EPKlPlSQ_SR_N2at6native12_GLOBAL__N_18offset_tEEE10hipError_tPvRmT1_PNSt15iterator_traitsISZ_E10value_typeET2_T3_PNS10_IS15_E10value_typeET4_jRbjT5_S1B_jjP12ihipStream_tbEUljE_ZNSN_ISO_Lb1ESQ_SR_SQ_SR_SV_EESW_SX_SY_SZ_S13_S14_S15_S18_S19_jS1A_jS1B_S1B_jjS1D_bEUljE0_EEESW_SX_SY_S15_S19_S1B_T6_T7_T9_mT8_S1D_bDpT10_ENKUlT_T0_E_clISt17integral_constantIbLb0EES1R_EEDaS1M_S1N_EUlS1M_E_NS1_11comp_targetILNS1_3genE2ELNS1_11target_archE906ELNS1_3gpuE6ELNS1_3repE0EEENS1_30default_config_static_selectorELNS0_4arch9wavefront6targetE1EEEvSZ_.numbered_sgpr, 90
	.set _ZN7rocprim17ROCPRIM_400000_NS6detail17trampoline_kernelINS0_13select_configILj256ELj13ELNS0_17block_load_methodE3ELS4_3ELS4_3ELNS0_20block_scan_algorithmE0ELj4294967295EEENS1_25partition_config_selectorILNS1_17partition_subalgoE4EjNS0_10empty_typeEbEEZZNS1_14partition_implILS8_4ELb0ES6_15HIP_vector_typeIjLj2EENS0_17counting_iteratorIjlEEPS9_SG_NS0_5tupleIJPjSI_NS0_16reverse_iteratorISI_EEEEENSH_IJSG_SG_SG_EEES9_SI_JZNS1_25segmented_radix_sort_implINS0_14default_configELb1EPKlPlSQ_SR_N2at6native12_GLOBAL__N_18offset_tEEE10hipError_tPvRmT1_PNSt15iterator_traitsISZ_E10value_typeET2_T3_PNS10_IS15_E10value_typeET4_jRbjT5_S1B_jjP12ihipStream_tbEUljE_ZNSN_ISO_Lb1ESQ_SR_SQ_SR_SV_EESW_SX_SY_SZ_S13_S14_S15_S18_S19_jS1A_jS1B_S1B_jjS1D_bEUljE0_EEESW_SX_SY_S15_S19_S1B_T6_T7_T9_mT8_S1D_bDpT10_ENKUlT_T0_E_clISt17integral_constantIbLb0EES1R_EEDaS1M_S1N_EUlS1M_E_NS1_11comp_targetILNS1_3genE2ELNS1_11target_archE906ELNS1_3gpuE6ELNS1_3repE0EEENS1_30default_config_static_selectorELNS0_4arch9wavefront6targetE1EEEvSZ_.num_named_barrier, 0
	.set _ZN7rocprim17ROCPRIM_400000_NS6detail17trampoline_kernelINS0_13select_configILj256ELj13ELNS0_17block_load_methodE3ELS4_3ELS4_3ELNS0_20block_scan_algorithmE0ELj4294967295EEENS1_25partition_config_selectorILNS1_17partition_subalgoE4EjNS0_10empty_typeEbEEZZNS1_14partition_implILS8_4ELb0ES6_15HIP_vector_typeIjLj2EENS0_17counting_iteratorIjlEEPS9_SG_NS0_5tupleIJPjSI_NS0_16reverse_iteratorISI_EEEEENSH_IJSG_SG_SG_EEES9_SI_JZNS1_25segmented_radix_sort_implINS0_14default_configELb1EPKlPlSQ_SR_N2at6native12_GLOBAL__N_18offset_tEEE10hipError_tPvRmT1_PNSt15iterator_traitsISZ_E10value_typeET2_T3_PNS10_IS15_E10value_typeET4_jRbjT5_S1B_jjP12ihipStream_tbEUljE_ZNSN_ISO_Lb1ESQ_SR_SQ_SR_SV_EESW_SX_SY_SZ_S13_S14_S15_S18_S19_jS1A_jS1B_S1B_jjS1D_bEUljE0_EEESW_SX_SY_S15_S19_S1B_T6_T7_T9_mT8_S1D_bDpT10_ENKUlT_T0_E_clISt17integral_constantIbLb0EES1R_EEDaS1M_S1N_EUlS1M_E_NS1_11comp_targetILNS1_3genE2ELNS1_11target_archE906ELNS1_3gpuE6ELNS1_3repE0EEENS1_30default_config_static_selectorELNS0_4arch9wavefront6targetE1EEEvSZ_.private_seg_size, 0
	.set _ZN7rocprim17ROCPRIM_400000_NS6detail17trampoline_kernelINS0_13select_configILj256ELj13ELNS0_17block_load_methodE3ELS4_3ELS4_3ELNS0_20block_scan_algorithmE0ELj4294967295EEENS1_25partition_config_selectorILNS1_17partition_subalgoE4EjNS0_10empty_typeEbEEZZNS1_14partition_implILS8_4ELb0ES6_15HIP_vector_typeIjLj2EENS0_17counting_iteratorIjlEEPS9_SG_NS0_5tupleIJPjSI_NS0_16reverse_iteratorISI_EEEEENSH_IJSG_SG_SG_EEES9_SI_JZNS1_25segmented_radix_sort_implINS0_14default_configELb1EPKlPlSQ_SR_N2at6native12_GLOBAL__N_18offset_tEEE10hipError_tPvRmT1_PNSt15iterator_traitsISZ_E10value_typeET2_T3_PNS10_IS15_E10value_typeET4_jRbjT5_S1B_jjP12ihipStream_tbEUljE_ZNSN_ISO_Lb1ESQ_SR_SQ_SR_SV_EESW_SX_SY_SZ_S13_S14_S15_S18_S19_jS1A_jS1B_S1B_jjS1D_bEUljE0_EEESW_SX_SY_S15_S19_S1B_T6_T7_T9_mT8_S1D_bDpT10_ENKUlT_T0_E_clISt17integral_constantIbLb0EES1R_EEDaS1M_S1N_EUlS1M_E_NS1_11comp_targetILNS1_3genE2ELNS1_11target_archE906ELNS1_3gpuE6ELNS1_3repE0EEENS1_30default_config_static_selectorELNS0_4arch9wavefront6targetE1EEEvSZ_.uses_vcc, 1
	.set _ZN7rocprim17ROCPRIM_400000_NS6detail17trampoline_kernelINS0_13select_configILj256ELj13ELNS0_17block_load_methodE3ELS4_3ELS4_3ELNS0_20block_scan_algorithmE0ELj4294967295EEENS1_25partition_config_selectorILNS1_17partition_subalgoE4EjNS0_10empty_typeEbEEZZNS1_14partition_implILS8_4ELb0ES6_15HIP_vector_typeIjLj2EENS0_17counting_iteratorIjlEEPS9_SG_NS0_5tupleIJPjSI_NS0_16reverse_iteratorISI_EEEEENSH_IJSG_SG_SG_EEES9_SI_JZNS1_25segmented_radix_sort_implINS0_14default_configELb1EPKlPlSQ_SR_N2at6native12_GLOBAL__N_18offset_tEEE10hipError_tPvRmT1_PNSt15iterator_traitsISZ_E10value_typeET2_T3_PNS10_IS15_E10value_typeET4_jRbjT5_S1B_jjP12ihipStream_tbEUljE_ZNSN_ISO_Lb1ESQ_SR_SQ_SR_SV_EESW_SX_SY_SZ_S13_S14_S15_S18_S19_jS1A_jS1B_S1B_jjS1D_bEUljE0_EEESW_SX_SY_S15_S19_S1B_T6_T7_T9_mT8_S1D_bDpT10_ENKUlT_T0_E_clISt17integral_constantIbLb0EES1R_EEDaS1M_S1N_EUlS1M_E_NS1_11comp_targetILNS1_3genE2ELNS1_11target_archE906ELNS1_3gpuE6ELNS1_3repE0EEENS1_30default_config_static_selectorELNS0_4arch9wavefront6targetE1EEEvSZ_.uses_flat_scratch, 0
	.set _ZN7rocprim17ROCPRIM_400000_NS6detail17trampoline_kernelINS0_13select_configILj256ELj13ELNS0_17block_load_methodE3ELS4_3ELS4_3ELNS0_20block_scan_algorithmE0ELj4294967295EEENS1_25partition_config_selectorILNS1_17partition_subalgoE4EjNS0_10empty_typeEbEEZZNS1_14partition_implILS8_4ELb0ES6_15HIP_vector_typeIjLj2EENS0_17counting_iteratorIjlEEPS9_SG_NS0_5tupleIJPjSI_NS0_16reverse_iteratorISI_EEEEENSH_IJSG_SG_SG_EEES9_SI_JZNS1_25segmented_radix_sort_implINS0_14default_configELb1EPKlPlSQ_SR_N2at6native12_GLOBAL__N_18offset_tEEE10hipError_tPvRmT1_PNSt15iterator_traitsISZ_E10value_typeET2_T3_PNS10_IS15_E10value_typeET4_jRbjT5_S1B_jjP12ihipStream_tbEUljE_ZNSN_ISO_Lb1ESQ_SR_SQ_SR_SV_EESW_SX_SY_SZ_S13_S14_S15_S18_S19_jS1A_jS1B_S1B_jjS1D_bEUljE0_EEESW_SX_SY_S15_S19_S1B_T6_T7_T9_mT8_S1D_bDpT10_ENKUlT_T0_E_clISt17integral_constantIbLb0EES1R_EEDaS1M_S1N_EUlS1M_E_NS1_11comp_targetILNS1_3genE2ELNS1_11target_archE906ELNS1_3gpuE6ELNS1_3repE0EEENS1_30default_config_static_selectorELNS0_4arch9wavefront6targetE1EEEvSZ_.has_dyn_sized_stack, 0
	.set _ZN7rocprim17ROCPRIM_400000_NS6detail17trampoline_kernelINS0_13select_configILj256ELj13ELNS0_17block_load_methodE3ELS4_3ELS4_3ELNS0_20block_scan_algorithmE0ELj4294967295EEENS1_25partition_config_selectorILNS1_17partition_subalgoE4EjNS0_10empty_typeEbEEZZNS1_14partition_implILS8_4ELb0ES6_15HIP_vector_typeIjLj2EENS0_17counting_iteratorIjlEEPS9_SG_NS0_5tupleIJPjSI_NS0_16reverse_iteratorISI_EEEEENSH_IJSG_SG_SG_EEES9_SI_JZNS1_25segmented_radix_sort_implINS0_14default_configELb1EPKlPlSQ_SR_N2at6native12_GLOBAL__N_18offset_tEEE10hipError_tPvRmT1_PNSt15iterator_traitsISZ_E10value_typeET2_T3_PNS10_IS15_E10value_typeET4_jRbjT5_S1B_jjP12ihipStream_tbEUljE_ZNSN_ISO_Lb1ESQ_SR_SQ_SR_SV_EESW_SX_SY_SZ_S13_S14_S15_S18_S19_jS1A_jS1B_S1B_jjS1D_bEUljE0_EEESW_SX_SY_S15_S19_S1B_T6_T7_T9_mT8_S1D_bDpT10_ENKUlT_T0_E_clISt17integral_constantIbLb0EES1R_EEDaS1M_S1N_EUlS1M_E_NS1_11comp_targetILNS1_3genE2ELNS1_11target_archE906ELNS1_3gpuE6ELNS1_3repE0EEENS1_30default_config_static_selectorELNS0_4arch9wavefront6targetE1EEEvSZ_.has_recursion, 0
	.set _ZN7rocprim17ROCPRIM_400000_NS6detail17trampoline_kernelINS0_13select_configILj256ELj13ELNS0_17block_load_methodE3ELS4_3ELS4_3ELNS0_20block_scan_algorithmE0ELj4294967295EEENS1_25partition_config_selectorILNS1_17partition_subalgoE4EjNS0_10empty_typeEbEEZZNS1_14partition_implILS8_4ELb0ES6_15HIP_vector_typeIjLj2EENS0_17counting_iteratorIjlEEPS9_SG_NS0_5tupleIJPjSI_NS0_16reverse_iteratorISI_EEEEENSH_IJSG_SG_SG_EEES9_SI_JZNS1_25segmented_radix_sort_implINS0_14default_configELb1EPKlPlSQ_SR_N2at6native12_GLOBAL__N_18offset_tEEE10hipError_tPvRmT1_PNSt15iterator_traitsISZ_E10value_typeET2_T3_PNS10_IS15_E10value_typeET4_jRbjT5_S1B_jjP12ihipStream_tbEUljE_ZNSN_ISO_Lb1ESQ_SR_SQ_SR_SV_EESW_SX_SY_SZ_S13_S14_S15_S18_S19_jS1A_jS1B_S1B_jjS1D_bEUljE0_EEESW_SX_SY_S15_S19_S1B_T6_T7_T9_mT8_S1D_bDpT10_ENKUlT_T0_E_clISt17integral_constantIbLb0EES1R_EEDaS1M_S1N_EUlS1M_E_NS1_11comp_targetILNS1_3genE2ELNS1_11target_archE906ELNS1_3gpuE6ELNS1_3repE0EEENS1_30default_config_static_selectorELNS0_4arch9wavefront6targetE1EEEvSZ_.has_indirect_call, 0
	.section	.AMDGPU.csdata,"",@progbits
; Kernel info:
; codeLenInByte = 15480
; TotalNumSgprs: 94
; NumVgprs: 86
; ScratchSize: 0
; MemoryBound: 0
; FloatMode: 240
; IeeeMode: 1
; LDSByteSize: 13328 bytes/workgroup (compile time only)
; SGPRBlocks: 12
; VGPRBlocks: 21
; NumSGPRsForWavesPerEU: 102
; NumVGPRsForWavesPerEU: 86
; Occupancy: 2
; WaveLimiterHint : 1
; COMPUTE_PGM_RSRC2:SCRATCH_EN: 0
; COMPUTE_PGM_RSRC2:USER_SGPR: 6
; COMPUTE_PGM_RSRC2:TRAP_HANDLER: 0
; COMPUTE_PGM_RSRC2:TGID_X_EN: 1
; COMPUTE_PGM_RSRC2:TGID_Y_EN: 0
; COMPUTE_PGM_RSRC2:TGID_Z_EN: 0
; COMPUTE_PGM_RSRC2:TIDIG_COMP_CNT: 0
	.section	.text._ZN7rocprim17ROCPRIM_400000_NS6detail17trampoline_kernelINS0_13select_configILj256ELj13ELNS0_17block_load_methodE3ELS4_3ELS4_3ELNS0_20block_scan_algorithmE0ELj4294967295EEENS1_25partition_config_selectorILNS1_17partition_subalgoE4EjNS0_10empty_typeEbEEZZNS1_14partition_implILS8_4ELb0ES6_15HIP_vector_typeIjLj2EENS0_17counting_iteratorIjlEEPS9_SG_NS0_5tupleIJPjSI_NS0_16reverse_iteratorISI_EEEEENSH_IJSG_SG_SG_EEES9_SI_JZNS1_25segmented_radix_sort_implINS0_14default_configELb1EPKlPlSQ_SR_N2at6native12_GLOBAL__N_18offset_tEEE10hipError_tPvRmT1_PNSt15iterator_traitsISZ_E10value_typeET2_T3_PNS10_IS15_E10value_typeET4_jRbjT5_S1B_jjP12ihipStream_tbEUljE_ZNSN_ISO_Lb1ESQ_SR_SQ_SR_SV_EESW_SX_SY_SZ_S13_S14_S15_S18_S19_jS1A_jS1B_S1B_jjS1D_bEUljE0_EEESW_SX_SY_S15_S19_S1B_T6_T7_T9_mT8_S1D_bDpT10_ENKUlT_T0_E_clISt17integral_constantIbLb0EES1R_EEDaS1M_S1N_EUlS1M_E_NS1_11comp_targetILNS1_3genE10ELNS1_11target_archE1200ELNS1_3gpuE4ELNS1_3repE0EEENS1_30default_config_static_selectorELNS0_4arch9wavefront6targetE1EEEvSZ_,"axG",@progbits,_ZN7rocprim17ROCPRIM_400000_NS6detail17trampoline_kernelINS0_13select_configILj256ELj13ELNS0_17block_load_methodE3ELS4_3ELS4_3ELNS0_20block_scan_algorithmE0ELj4294967295EEENS1_25partition_config_selectorILNS1_17partition_subalgoE4EjNS0_10empty_typeEbEEZZNS1_14partition_implILS8_4ELb0ES6_15HIP_vector_typeIjLj2EENS0_17counting_iteratorIjlEEPS9_SG_NS0_5tupleIJPjSI_NS0_16reverse_iteratorISI_EEEEENSH_IJSG_SG_SG_EEES9_SI_JZNS1_25segmented_radix_sort_implINS0_14default_configELb1EPKlPlSQ_SR_N2at6native12_GLOBAL__N_18offset_tEEE10hipError_tPvRmT1_PNSt15iterator_traitsISZ_E10value_typeET2_T3_PNS10_IS15_E10value_typeET4_jRbjT5_S1B_jjP12ihipStream_tbEUljE_ZNSN_ISO_Lb1ESQ_SR_SQ_SR_SV_EESW_SX_SY_SZ_S13_S14_S15_S18_S19_jS1A_jS1B_S1B_jjS1D_bEUljE0_EEESW_SX_SY_S15_S19_S1B_T6_T7_T9_mT8_S1D_bDpT10_ENKUlT_T0_E_clISt17integral_constantIbLb0EES1R_EEDaS1M_S1N_EUlS1M_E_NS1_11comp_targetILNS1_3genE10ELNS1_11target_archE1200ELNS1_3gpuE4ELNS1_3repE0EEENS1_30default_config_static_selectorELNS0_4arch9wavefront6targetE1EEEvSZ_,comdat
	.globl	_ZN7rocprim17ROCPRIM_400000_NS6detail17trampoline_kernelINS0_13select_configILj256ELj13ELNS0_17block_load_methodE3ELS4_3ELS4_3ELNS0_20block_scan_algorithmE0ELj4294967295EEENS1_25partition_config_selectorILNS1_17partition_subalgoE4EjNS0_10empty_typeEbEEZZNS1_14partition_implILS8_4ELb0ES6_15HIP_vector_typeIjLj2EENS0_17counting_iteratorIjlEEPS9_SG_NS0_5tupleIJPjSI_NS0_16reverse_iteratorISI_EEEEENSH_IJSG_SG_SG_EEES9_SI_JZNS1_25segmented_radix_sort_implINS0_14default_configELb1EPKlPlSQ_SR_N2at6native12_GLOBAL__N_18offset_tEEE10hipError_tPvRmT1_PNSt15iterator_traitsISZ_E10value_typeET2_T3_PNS10_IS15_E10value_typeET4_jRbjT5_S1B_jjP12ihipStream_tbEUljE_ZNSN_ISO_Lb1ESQ_SR_SQ_SR_SV_EESW_SX_SY_SZ_S13_S14_S15_S18_S19_jS1A_jS1B_S1B_jjS1D_bEUljE0_EEESW_SX_SY_S15_S19_S1B_T6_T7_T9_mT8_S1D_bDpT10_ENKUlT_T0_E_clISt17integral_constantIbLb0EES1R_EEDaS1M_S1N_EUlS1M_E_NS1_11comp_targetILNS1_3genE10ELNS1_11target_archE1200ELNS1_3gpuE4ELNS1_3repE0EEENS1_30default_config_static_selectorELNS0_4arch9wavefront6targetE1EEEvSZ_ ; -- Begin function _ZN7rocprim17ROCPRIM_400000_NS6detail17trampoline_kernelINS0_13select_configILj256ELj13ELNS0_17block_load_methodE3ELS4_3ELS4_3ELNS0_20block_scan_algorithmE0ELj4294967295EEENS1_25partition_config_selectorILNS1_17partition_subalgoE4EjNS0_10empty_typeEbEEZZNS1_14partition_implILS8_4ELb0ES6_15HIP_vector_typeIjLj2EENS0_17counting_iteratorIjlEEPS9_SG_NS0_5tupleIJPjSI_NS0_16reverse_iteratorISI_EEEEENSH_IJSG_SG_SG_EEES9_SI_JZNS1_25segmented_radix_sort_implINS0_14default_configELb1EPKlPlSQ_SR_N2at6native12_GLOBAL__N_18offset_tEEE10hipError_tPvRmT1_PNSt15iterator_traitsISZ_E10value_typeET2_T3_PNS10_IS15_E10value_typeET4_jRbjT5_S1B_jjP12ihipStream_tbEUljE_ZNSN_ISO_Lb1ESQ_SR_SQ_SR_SV_EESW_SX_SY_SZ_S13_S14_S15_S18_S19_jS1A_jS1B_S1B_jjS1D_bEUljE0_EEESW_SX_SY_S15_S19_S1B_T6_T7_T9_mT8_S1D_bDpT10_ENKUlT_T0_E_clISt17integral_constantIbLb0EES1R_EEDaS1M_S1N_EUlS1M_E_NS1_11comp_targetILNS1_3genE10ELNS1_11target_archE1200ELNS1_3gpuE4ELNS1_3repE0EEENS1_30default_config_static_selectorELNS0_4arch9wavefront6targetE1EEEvSZ_
	.p2align	8
	.type	_ZN7rocprim17ROCPRIM_400000_NS6detail17trampoline_kernelINS0_13select_configILj256ELj13ELNS0_17block_load_methodE3ELS4_3ELS4_3ELNS0_20block_scan_algorithmE0ELj4294967295EEENS1_25partition_config_selectorILNS1_17partition_subalgoE4EjNS0_10empty_typeEbEEZZNS1_14partition_implILS8_4ELb0ES6_15HIP_vector_typeIjLj2EENS0_17counting_iteratorIjlEEPS9_SG_NS0_5tupleIJPjSI_NS0_16reverse_iteratorISI_EEEEENSH_IJSG_SG_SG_EEES9_SI_JZNS1_25segmented_radix_sort_implINS0_14default_configELb1EPKlPlSQ_SR_N2at6native12_GLOBAL__N_18offset_tEEE10hipError_tPvRmT1_PNSt15iterator_traitsISZ_E10value_typeET2_T3_PNS10_IS15_E10value_typeET4_jRbjT5_S1B_jjP12ihipStream_tbEUljE_ZNSN_ISO_Lb1ESQ_SR_SQ_SR_SV_EESW_SX_SY_SZ_S13_S14_S15_S18_S19_jS1A_jS1B_S1B_jjS1D_bEUljE0_EEESW_SX_SY_S15_S19_S1B_T6_T7_T9_mT8_S1D_bDpT10_ENKUlT_T0_E_clISt17integral_constantIbLb0EES1R_EEDaS1M_S1N_EUlS1M_E_NS1_11comp_targetILNS1_3genE10ELNS1_11target_archE1200ELNS1_3gpuE4ELNS1_3repE0EEENS1_30default_config_static_selectorELNS0_4arch9wavefront6targetE1EEEvSZ_,@function
_ZN7rocprim17ROCPRIM_400000_NS6detail17trampoline_kernelINS0_13select_configILj256ELj13ELNS0_17block_load_methodE3ELS4_3ELS4_3ELNS0_20block_scan_algorithmE0ELj4294967295EEENS1_25partition_config_selectorILNS1_17partition_subalgoE4EjNS0_10empty_typeEbEEZZNS1_14partition_implILS8_4ELb0ES6_15HIP_vector_typeIjLj2EENS0_17counting_iteratorIjlEEPS9_SG_NS0_5tupleIJPjSI_NS0_16reverse_iteratorISI_EEEEENSH_IJSG_SG_SG_EEES9_SI_JZNS1_25segmented_radix_sort_implINS0_14default_configELb1EPKlPlSQ_SR_N2at6native12_GLOBAL__N_18offset_tEEE10hipError_tPvRmT1_PNSt15iterator_traitsISZ_E10value_typeET2_T3_PNS10_IS15_E10value_typeET4_jRbjT5_S1B_jjP12ihipStream_tbEUljE_ZNSN_ISO_Lb1ESQ_SR_SQ_SR_SV_EESW_SX_SY_SZ_S13_S14_S15_S18_S19_jS1A_jS1B_S1B_jjS1D_bEUljE0_EEESW_SX_SY_S15_S19_S1B_T6_T7_T9_mT8_S1D_bDpT10_ENKUlT_T0_E_clISt17integral_constantIbLb0EES1R_EEDaS1M_S1N_EUlS1M_E_NS1_11comp_targetILNS1_3genE10ELNS1_11target_archE1200ELNS1_3gpuE4ELNS1_3repE0EEENS1_30default_config_static_selectorELNS0_4arch9wavefront6targetE1EEEvSZ_: ; @_ZN7rocprim17ROCPRIM_400000_NS6detail17trampoline_kernelINS0_13select_configILj256ELj13ELNS0_17block_load_methodE3ELS4_3ELS4_3ELNS0_20block_scan_algorithmE0ELj4294967295EEENS1_25partition_config_selectorILNS1_17partition_subalgoE4EjNS0_10empty_typeEbEEZZNS1_14partition_implILS8_4ELb0ES6_15HIP_vector_typeIjLj2EENS0_17counting_iteratorIjlEEPS9_SG_NS0_5tupleIJPjSI_NS0_16reverse_iteratorISI_EEEEENSH_IJSG_SG_SG_EEES9_SI_JZNS1_25segmented_radix_sort_implINS0_14default_configELb1EPKlPlSQ_SR_N2at6native12_GLOBAL__N_18offset_tEEE10hipError_tPvRmT1_PNSt15iterator_traitsISZ_E10value_typeET2_T3_PNS10_IS15_E10value_typeET4_jRbjT5_S1B_jjP12ihipStream_tbEUljE_ZNSN_ISO_Lb1ESQ_SR_SQ_SR_SV_EESW_SX_SY_SZ_S13_S14_S15_S18_S19_jS1A_jS1B_S1B_jjS1D_bEUljE0_EEESW_SX_SY_S15_S19_S1B_T6_T7_T9_mT8_S1D_bDpT10_ENKUlT_T0_E_clISt17integral_constantIbLb0EES1R_EEDaS1M_S1N_EUlS1M_E_NS1_11comp_targetILNS1_3genE10ELNS1_11target_archE1200ELNS1_3gpuE4ELNS1_3repE0EEENS1_30default_config_static_selectorELNS0_4arch9wavefront6targetE1EEEvSZ_
; %bb.0:
	.section	.rodata,"a",@progbits
	.p2align	6, 0x0
	.amdhsa_kernel _ZN7rocprim17ROCPRIM_400000_NS6detail17trampoline_kernelINS0_13select_configILj256ELj13ELNS0_17block_load_methodE3ELS4_3ELS4_3ELNS0_20block_scan_algorithmE0ELj4294967295EEENS1_25partition_config_selectorILNS1_17partition_subalgoE4EjNS0_10empty_typeEbEEZZNS1_14partition_implILS8_4ELb0ES6_15HIP_vector_typeIjLj2EENS0_17counting_iteratorIjlEEPS9_SG_NS0_5tupleIJPjSI_NS0_16reverse_iteratorISI_EEEEENSH_IJSG_SG_SG_EEES9_SI_JZNS1_25segmented_radix_sort_implINS0_14default_configELb1EPKlPlSQ_SR_N2at6native12_GLOBAL__N_18offset_tEEE10hipError_tPvRmT1_PNSt15iterator_traitsISZ_E10value_typeET2_T3_PNS10_IS15_E10value_typeET4_jRbjT5_S1B_jjP12ihipStream_tbEUljE_ZNSN_ISO_Lb1ESQ_SR_SQ_SR_SV_EESW_SX_SY_SZ_S13_S14_S15_S18_S19_jS1A_jS1B_S1B_jjS1D_bEUljE0_EEESW_SX_SY_S15_S19_S1B_T6_T7_T9_mT8_S1D_bDpT10_ENKUlT_T0_E_clISt17integral_constantIbLb0EES1R_EEDaS1M_S1N_EUlS1M_E_NS1_11comp_targetILNS1_3genE10ELNS1_11target_archE1200ELNS1_3gpuE4ELNS1_3repE0EEENS1_30default_config_static_selectorELNS0_4arch9wavefront6targetE1EEEvSZ_
		.amdhsa_group_segment_fixed_size 0
		.amdhsa_private_segment_fixed_size 0
		.amdhsa_kernarg_size 176
		.amdhsa_user_sgpr_count 6
		.amdhsa_user_sgpr_private_segment_buffer 1
		.amdhsa_user_sgpr_dispatch_ptr 0
		.amdhsa_user_sgpr_queue_ptr 0
		.amdhsa_user_sgpr_kernarg_segment_ptr 1
		.amdhsa_user_sgpr_dispatch_id 0
		.amdhsa_user_sgpr_flat_scratch_init 0
		.amdhsa_user_sgpr_private_segment_size 0
		.amdhsa_uses_dynamic_stack 0
		.amdhsa_system_sgpr_private_segment_wavefront_offset 0
		.amdhsa_system_sgpr_workgroup_id_x 1
		.amdhsa_system_sgpr_workgroup_id_y 0
		.amdhsa_system_sgpr_workgroup_id_z 0
		.amdhsa_system_sgpr_workgroup_info 0
		.amdhsa_system_vgpr_workitem_id 0
		.amdhsa_next_free_vgpr 1
		.amdhsa_next_free_sgpr 0
		.amdhsa_reserve_vcc 0
		.amdhsa_reserve_flat_scratch 0
		.amdhsa_float_round_mode_32 0
		.amdhsa_float_round_mode_16_64 0
		.amdhsa_float_denorm_mode_32 3
		.amdhsa_float_denorm_mode_16_64 3
		.amdhsa_dx10_clamp 1
		.amdhsa_ieee_mode 1
		.amdhsa_fp16_overflow 0
		.amdhsa_exception_fp_ieee_invalid_op 0
		.amdhsa_exception_fp_denorm_src 0
		.amdhsa_exception_fp_ieee_div_zero 0
		.amdhsa_exception_fp_ieee_overflow 0
		.amdhsa_exception_fp_ieee_underflow 0
		.amdhsa_exception_fp_ieee_inexact 0
		.amdhsa_exception_int_div_zero 0
	.end_amdhsa_kernel
	.section	.text._ZN7rocprim17ROCPRIM_400000_NS6detail17trampoline_kernelINS0_13select_configILj256ELj13ELNS0_17block_load_methodE3ELS4_3ELS4_3ELNS0_20block_scan_algorithmE0ELj4294967295EEENS1_25partition_config_selectorILNS1_17partition_subalgoE4EjNS0_10empty_typeEbEEZZNS1_14partition_implILS8_4ELb0ES6_15HIP_vector_typeIjLj2EENS0_17counting_iteratorIjlEEPS9_SG_NS0_5tupleIJPjSI_NS0_16reverse_iteratorISI_EEEEENSH_IJSG_SG_SG_EEES9_SI_JZNS1_25segmented_radix_sort_implINS0_14default_configELb1EPKlPlSQ_SR_N2at6native12_GLOBAL__N_18offset_tEEE10hipError_tPvRmT1_PNSt15iterator_traitsISZ_E10value_typeET2_T3_PNS10_IS15_E10value_typeET4_jRbjT5_S1B_jjP12ihipStream_tbEUljE_ZNSN_ISO_Lb1ESQ_SR_SQ_SR_SV_EESW_SX_SY_SZ_S13_S14_S15_S18_S19_jS1A_jS1B_S1B_jjS1D_bEUljE0_EEESW_SX_SY_S15_S19_S1B_T6_T7_T9_mT8_S1D_bDpT10_ENKUlT_T0_E_clISt17integral_constantIbLb0EES1R_EEDaS1M_S1N_EUlS1M_E_NS1_11comp_targetILNS1_3genE10ELNS1_11target_archE1200ELNS1_3gpuE4ELNS1_3repE0EEENS1_30default_config_static_selectorELNS0_4arch9wavefront6targetE1EEEvSZ_,"axG",@progbits,_ZN7rocprim17ROCPRIM_400000_NS6detail17trampoline_kernelINS0_13select_configILj256ELj13ELNS0_17block_load_methodE3ELS4_3ELS4_3ELNS0_20block_scan_algorithmE0ELj4294967295EEENS1_25partition_config_selectorILNS1_17partition_subalgoE4EjNS0_10empty_typeEbEEZZNS1_14partition_implILS8_4ELb0ES6_15HIP_vector_typeIjLj2EENS0_17counting_iteratorIjlEEPS9_SG_NS0_5tupleIJPjSI_NS0_16reverse_iteratorISI_EEEEENSH_IJSG_SG_SG_EEES9_SI_JZNS1_25segmented_radix_sort_implINS0_14default_configELb1EPKlPlSQ_SR_N2at6native12_GLOBAL__N_18offset_tEEE10hipError_tPvRmT1_PNSt15iterator_traitsISZ_E10value_typeET2_T3_PNS10_IS15_E10value_typeET4_jRbjT5_S1B_jjP12ihipStream_tbEUljE_ZNSN_ISO_Lb1ESQ_SR_SQ_SR_SV_EESW_SX_SY_SZ_S13_S14_S15_S18_S19_jS1A_jS1B_S1B_jjS1D_bEUljE0_EEESW_SX_SY_S15_S19_S1B_T6_T7_T9_mT8_S1D_bDpT10_ENKUlT_T0_E_clISt17integral_constantIbLb0EES1R_EEDaS1M_S1N_EUlS1M_E_NS1_11comp_targetILNS1_3genE10ELNS1_11target_archE1200ELNS1_3gpuE4ELNS1_3repE0EEENS1_30default_config_static_selectorELNS0_4arch9wavefront6targetE1EEEvSZ_,comdat
.Lfunc_end645:
	.size	_ZN7rocprim17ROCPRIM_400000_NS6detail17trampoline_kernelINS0_13select_configILj256ELj13ELNS0_17block_load_methodE3ELS4_3ELS4_3ELNS0_20block_scan_algorithmE0ELj4294967295EEENS1_25partition_config_selectorILNS1_17partition_subalgoE4EjNS0_10empty_typeEbEEZZNS1_14partition_implILS8_4ELb0ES6_15HIP_vector_typeIjLj2EENS0_17counting_iteratorIjlEEPS9_SG_NS0_5tupleIJPjSI_NS0_16reverse_iteratorISI_EEEEENSH_IJSG_SG_SG_EEES9_SI_JZNS1_25segmented_radix_sort_implINS0_14default_configELb1EPKlPlSQ_SR_N2at6native12_GLOBAL__N_18offset_tEEE10hipError_tPvRmT1_PNSt15iterator_traitsISZ_E10value_typeET2_T3_PNS10_IS15_E10value_typeET4_jRbjT5_S1B_jjP12ihipStream_tbEUljE_ZNSN_ISO_Lb1ESQ_SR_SQ_SR_SV_EESW_SX_SY_SZ_S13_S14_S15_S18_S19_jS1A_jS1B_S1B_jjS1D_bEUljE0_EEESW_SX_SY_S15_S19_S1B_T6_T7_T9_mT8_S1D_bDpT10_ENKUlT_T0_E_clISt17integral_constantIbLb0EES1R_EEDaS1M_S1N_EUlS1M_E_NS1_11comp_targetILNS1_3genE10ELNS1_11target_archE1200ELNS1_3gpuE4ELNS1_3repE0EEENS1_30default_config_static_selectorELNS0_4arch9wavefront6targetE1EEEvSZ_, .Lfunc_end645-_ZN7rocprim17ROCPRIM_400000_NS6detail17trampoline_kernelINS0_13select_configILj256ELj13ELNS0_17block_load_methodE3ELS4_3ELS4_3ELNS0_20block_scan_algorithmE0ELj4294967295EEENS1_25partition_config_selectorILNS1_17partition_subalgoE4EjNS0_10empty_typeEbEEZZNS1_14partition_implILS8_4ELb0ES6_15HIP_vector_typeIjLj2EENS0_17counting_iteratorIjlEEPS9_SG_NS0_5tupleIJPjSI_NS0_16reverse_iteratorISI_EEEEENSH_IJSG_SG_SG_EEES9_SI_JZNS1_25segmented_radix_sort_implINS0_14default_configELb1EPKlPlSQ_SR_N2at6native12_GLOBAL__N_18offset_tEEE10hipError_tPvRmT1_PNSt15iterator_traitsISZ_E10value_typeET2_T3_PNS10_IS15_E10value_typeET4_jRbjT5_S1B_jjP12ihipStream_tbEUljE_ZNSN_ISO_Lb1ESQ_SR_SQ_SR_SV_EESW_SX_SY_SZ_S13_S14_S15_S18_S19_jS1A_jS1B_S1B_jjS1D_bEUljE0_EEESW_SX_SY_S15_S19_S1B_T6_T7_T9_mT8_S1D_bDpT10_ENKUlT_T0_E_clISt17integral_constantIbLb0EES1R_EEDaS1M_S1N_EUlS1M_E_NS1_11comp_targetILNS1_3genE10ELNS1_11target_archE1200ELNS1_3gpuE4ELNS1_3repE0EEENS1_30default_config_static_selectorELNS0_4arch9wavefront6targetE1EEEvSZ_
                                        ; -- End function
	.set _ZN7rocprim17ROCPRIM_400000_NS6detail17trampoline_kernelINS0_13select_configILj256ELj13ELNS0_17block_load_methodE3ELS4_3ELS4_3ELNS0_20block_scan_algorithmE0ELj4294967295EEENS1_25partition_config_selectorILNS1_17partition_subalgoE4EjNS0_10empty_typeEbEEZZNS1_14partition_implILS8_4ELb0ES6_15HIP_vector_typeIjLj2EENS0_17counting_iteratorIjlEEPS9_SG_NS0_5tupleIJPjSI_NS0_16reverse_iteratorISI_EEEEENSH_IJSG_SG_SG_EEES9_SI_JZNS1_25segmented_radix_sort_implINS0_14default_configELb1EPKlPlSQ_SR_N2at6native12_GLOBAL__N_18offset_tEEE10hipError_tPvRmT1_PNSt15iterator_traitsISZ_E10value_typeET2_T3_PNS10_IS15_E10value_typeET4_jRbjT5_S1B_jjP12ihipStream_tbEUljE_ZNSN_ISO_Lb1ESQ_SR_SQ_SR_SV_EESW_SX_SY_SZ_S13_S14_S15_S18_S19_jS1A_jS1B_S1B_jjS1D_bEUljE0_EEESW_SX_SY_S15_S19_S1B_T6_T7_T9_mT8_S1D_bDpT10_ENKUlT_T0_E_clISt17integral_constantIbLb0EES1R_EEDaS1M_S1N_EUlS1M_E_NS1_11comp_targetILNS1_3genE10ELNS1_11target_archE1200ELNS1_3gpuE4ELNS1_3repE0EEENS1_30default_config_static_selectorELNS0_4arch9wavefront6targetE1EEEvSZ_.num_vgpr, 0
	.set _ZN7rocprim17ROCPRIM_400000_NS6detail17trampoline_kernelINS0_13select_configILj256ELj13ELNS0_17block_load_methodE3ELS4_3ELS4_3ELNS0_20block_scan_algorithmE0ELj4294967295EEENS1_25partition_config_selectorILNS1_17partition_subalgoE4EjNS0_10empty_typeEbEEZZNS1_14partition_implILS8_4ELb0ES6_15HIP_vector_typeIjLj2EENS0_17counting_iteratorIjlEEPS9_SG_NS0_5tupleIJPjSI_NS0_16reverse_iteratorISI_EEEEENSH_IJSG_SG_SG_EEES9_SI_JZNS1_25segmented_radix_sort_implINS0_14default_configELb1EPKlPlSQ_SR_N2at6native12_GLOBAL__N_18offset_tEEE10hipError_tPvRmT1_PNSt15iterator_traitsISZ_E10value_typeET2_T3_PNS10_IS15_E10value_typeET4_jRbjT5_S1B_jjP12ihipStream_tbEUljE_ZNSN_ISO_Lb1ESQ_SR_SQ_SR_SV_EESW_SX_SY_SZ_S13_S14_S15_S18_S19_jS1A_jS1B_S1B_jjS1D_bEUljE0_EEESW_SX_SY_S15_S19_S1B_T6_T7_T9_mT8_S1D_bDpT10_ENKUlT_T0_E_clISt17integral_constantIbLb0EES1R_EEDaS1M_S1N_EUlS1M_E_NS1_11comp_targetILNS1_3genE10ELNS1_11target_archE1200ELNS1_3gpuE4ELNS1_3repE0EEENS1_30default_config_static_selectorELNS0_4arch9wavefront6targetE1EEEvSZ_.num_agpr, 0
	.set _ZN7rocprim17ROCPRIM_400000_NS6detail17trampoline_kernelINS0_13select_configILj256ELj13ELNS0_17block_load_methodE3ELS4_3ELS4_3ELNS0_20block_scan_algorithmE0ELj4294967295EEENS1_25partition_config_selectorILNS1_17partition_subalgoE4EjNS0_10empty_typeEbEEZZNS1_14partition_implILS8_4ELb0ES6_15HIP_vector_typeIjLj2EENS0_17counting_iteratorIjlEEPS9_SG_NS0_5tupleIJPjSI_NS0_16reverse_iteratorISI_EEEEENSH_IJSG_SG_SG_EEES9_SI_JZNS1_25segmented_radix_sort_implINS0_14default_configELb1EPKlPlSQ_SR_N2at6native12_GLOBAL__N_18offset_tEEE10hipError_tPvRmT1_PNSt15iterator_traitsISZ_E10value_typeET2_T3_PNS10_IS15_E10value_typeET4_jRbjT5_S1B_jjP12ihipStream_tbEUljE_ZNSN_ISO_Lb1ESQ_SR_SQ_SR_SV_EESW_SX_SY_SZ_S13_S14_S15_S18_S19_jS1A_jS1B_S1B_jjS1D_bEUljE0_EEESW_SX_SY_S15_S19_S1B_T6_T7_T9_mT8_S1D_bDpT10_ENKUlT_T0_E_clISt17integral_constantIbLb0EES1R_EEDaS1M_S1N_EUlS1M_E_NS1_11comp_targetILNS1_3genE10ELNS1_11target_archE1200ELNS1_3gpuE4ELNS1_3repE0EEENS1_30default_config_static_selectorELNS0_4arch9wavefront6targetE1EEEvSZ_.numbered_sgpr, 0
	.set _ZN7rocprim17ROCPRIM_400000_NS6detail17trampoline_kernelINS0_13select_configILj256ELj13ELNS0_17block_load_methodE3ELS4_3ELS4_3ELNS0_20block_scan_algorithmE0ELj4294967295EEENS1_25partition_config_selectorILNS1_17partition_subalgoE4EjNS0_10empty_typeEbEEZZNS1_14partition_implILS8_4ELb0ES6_15HIP_vector_typeIjLj2EENS0_17counting_iteratorIjlEEPS9_SG_NS0_5tupleIJPjSI_NS0_16reverse_iteratorISI_EEEEENSH_IJSG_SG_SG_EEES9_SI_JZNS1_25segmented_radix_sort_implINS0_14default_configELb1EPKlPlSQ_SR_N2at6native12_GLOBAL__N_18offset_tEEE10hipError_tPvRmT1_PNSt15iterator_traitsISZ_E10value_typeET2_T3_PNS10_IS15_E10value_typeET4_jRbjT5_S1B_jjP12ihipStream_tbEUljE_ZNSN_ISO_Lb1ESQ_SR_SQ_SR_SV_EESW_SX_SY_SZ_S13_S14_S15_S18_S19_jS1A_jS1B_S1B_jjS1D_bEUljE0_EEESW_SX_SY_S15_S19_S1B_T6_T7_T9_mT8_S1D_bDpT10_ENKUlT_T0_E_clISt17integral_constantIbLb0EES1R_EEDaS1M_S1N_EUlS1M_E_NS1_11comp_targetILNS1_3genE10ELNS1_11target_archE1200ELNS1_3gpuE4ELNS1_3repE0EEENS1_30default_config_static_selectorELNS0_4arch9wavefront6targetE1EEEvSZ_.num_named_barrier, 0
	.set _ZN7rocprim17ROCPRIM_400000_NS6detail17trampoline_kernelINS0_13select_configILj256ELj13ELNS0_17block_load_methodE3ELS4_3ELS4_3ELNS0_20block_scan_algorithmE0ELj4294967295EEENS1_25partition_config_selectorILNS1_17partition_subalgoE4EjNS0_10empty_typeEbEEZZNS1_14partition_implILS8_4ELb0ES6_15HIP_vector_typeIjLj2EENS0_17counting_iteratorIjlEEPS9_SG_NS0_5tupleIJPjSI_NS0_16reverse_iteratorISI_EEEEENSH_IJSG_SG_SG_EEES9_SI_JZNS1_25segmented_radix_sort_implINS0_14default_configELb1EPKlPlSQ_SR_N2at6native12_GLOBAL__N_18offset_tEEE10hipError_tPvRmT1_PNSt15iterator_traitsISZ_E10value_typeET2_T3_PNS10_IS15_E10value_typeET4_jRbjT5_S1B_jjP12ihipStream_tbEUljE_ZNSN_ISO_Lb1ESQ_SR_SQ_SR_SV_EESW_SX_SY_SZ_S13_S14_S15_S18_S19_jS1A_jS1B_S1B_jjS1D_bEUljE0_EEESW_SX_SY_S15_S19_S1B_T6_T7_T9_mT8_S1D_bDpT10_ENKUlT_T0_E_clISt17integral_constantIbLb0EES1R_EEDaS1M_S1N_EUlS1M_E_NS1_11comp_targetILNS1_3genE10ELNS1_11target_archE1200ELNS1_3gpuE4ELNS1_3repE0EEENS1_30default_config_static_selectorELNS0_4arch9wavefront6targetE1EEEvSZ_.private_seg_size, 0
	.set _ZN7rocprim17ROCPRIM_400000_NS6detail17trampoline_kernelINS0_13select_configILj256ELj13ELNS0_17block_load_methodE3ELS4_3ELS4_3ELNS0_20block_scan_algorithmE0ELj4294967295EEENS1_25partition_config_selectorILNS1_17partition_subalgoE4EjNS0_10empty_typeEbEEZZNS1_14partition_implILS8_4ELb0ES6_15HIP_vector_typeIjLj2EENS0_17counting_iteratorIjlEEPS9_SG_NS0_5tupleIJPjSI_NS0_16reverse_iteratorISI_EEEEENSH_IJSG_SG_SG_EEES9_SI_JZNS1_25segmented_radix_sort_implINS0_14default_configELb1EPKlPlSQ_SR_N2at6native12_GLOBAL__N_18offset_tEEE10hipError_tPvRmT1_PNSt15iterator_traitsISZ_E10value_typeET2_T3_PNS10_IS15_E10value_typeET4_jRbjT5_S1B_jjP12ihipStream_tbEUljE_ZNSN_ISO_Lb1ESQ_SR_SQ_SR_SV_EESW_SX_SY_SZ_S13_S14_S15_S18_S19_jS1A_jS1B_S1B_jjS1D_bEUljE0_EEESW_SX_SY_S15_S19_S1B_T6_T7_T9_mT8_S1D_bDpT10_ENKUlT_T0_E_clISt17integral_constantIbLb0EES1R_EEDaS1M_S1N_EUlS1M_E_NS1_11comp_targetILNS1_3genE10ELNS1_11target_archE1200ELNS1_3gpuE4ELNS1_3repE0EEENS1_30default_config_static_selectorELNS0_4arch9wavefront6targetE1EEEvSZ_.uses_vcc, 0
	.set _ZN7rocprim17ROCPRIM_400000_NS6detail17trampoline_kernelINS0_13select_configILj256ELj13ELNS0_17block_load_methodE3ELS4_3ELS4_3ELNS0_20block_scan_algorithmE0ELj4294967295EEENS1_25partition_config_selectorILNS1_17partition_subalgoE4EjNS0_10empty_typeEbEEZZNS1_14partition_implILS8_4ELb0ES6_15HIP_vector_typeIjLj2EENS0_17counting_iteratorIjlEEPS9_SG_NS0_5tupleIJPjSI_NS0_16reverse_iteratorISI_EEEEENSH_IJSG_SG_SG_EEES9_SI_JZNS1_25segmented_radix_sort_implINS0_14default_configELb1EPKlPlSQ_SR_N2at6native12_GLOBAL__N_18offset_tEEE10hipError_tPvRmT1_PNSt15iterator_traitsISZ_E10value_typeET2_T3_PNS10_IS15_E10value_typeET4_jRbjT5_S1B_jjP12ihipStream_tbEUljE_ZNSN_ISO_Lb1ESQ_SR_SQ_SR_SV_EESW_SX_SY_SZ_S13_S14_S15_S18_S19_jS1A_jS1B_S1B_jjS1D_bEUljE0_EEESW_SX_SY_S15_S19_S1B_T6_T7_T9_mT8_S1D_bDpT10_ENKUlT_T0_E_clISt17integral_constantIbLb0EES1R_EEDaS1M_S1N_EUlS1M_E_NS1_11comp_targetILNS1_3genE10ELNS1_11target_archE1200ELNS1_3gpuE4ELNS1_3repE0EEENS1_30default_config_static_selectorELNS0_4arch9wavefront6targetE1EEEvSZ_.uses_flat_scratch, 0
	.set _ZN7rocprim17ROCPRIM_400000_NS6detail17trampoline_kernelINS0_13select_configILj256ELj13ELNS0_17block_load_methodE3ELS4_3ELS4_3ELNS0_20block_scan_algorithmE0ELj4294967295EEENS1_25partition_config_selectorILNS1_17partition_subalgoE4EjNS0_10empty_typeEbEEZZNS1_14partition_implILS8_4ELb0ES6_15HIP_vector_typeIjLj2EENS0_17counting_iteratorIjlEEPS9_SG_NS0_5tupleIJPjSI_NS0_16reverse_iteratorISI_EEEEENSH_IJSG_SG_SG_EEES9_SI_JZNS1_25segmented_radix_sort_implINS0_14default_configELb1EPKlPlSQ_SR_N2at6native12_GLOBAL__N_18offset_tEEE10hipError_tPvRmT1_PNSt15iterator_traitsISZ_E10value_typeET2_T3_PNS10_IS15_E10value_typeET4_jRbjT5_S1B_jjP12ihipStream_tbEUljE_ZNSN_ISO_Lb1ESQ_SR_SQ_SR_SV_EESW_SX_SY_SZ_S13_S14_S15_S18_S19_jS1A_jS1B_S1B_jjS1D_bEUljE0_EEESW_SX_SY_S15_S19_S1B_T6_T7_T9_mT8_S1D_bDpT10_ENKUlT_T0_E_clISt17integral_constantIbLb0EES1R_EEDaS1M_S1N_EUlS1M_E_NS1_11comp_targetILNS1_3genE10ELNS1_11target_archE1200ELNS1_3gpuE4ELNS1_3repE0EEENS1_30default_config_static_selectorELNS0_4arch9wavefront6targetE1EEEvSZ_.has_dyn_sized_stack, 0
	.set _ZN7rocprim17ROCPRIM_400000_NS6detail17trampoline_kernelINS0_13select_configILj256ELj13ELNS0_17block_load_methodE3ELS4_3ELS4_3ELNS0_20block_scan_algorithmE0ELj4294967295EEENS1_25partition_config_selectorILNS1_17partition_subalgoE4EjNS0_10empty_typeEbEEZZNS1_14partition_implILS8_4ELb0ES6_15HIP_vector_typeIjLj2EENS0_17counting_iteratorIjlEEPS9_SG_NS0_5tupleIJPjSI_NS0_16reverse_iteratorISI_EEEEENSH_IJSG_SG_SG_EEES9_SI_JZNS1_25segmented_radix_sort_implINS0_14default_configELb1EPKlPlSQ_SR_N2at6native12_GLOBAL__N_18offset_tEEE10hipError_tPvRmT1_PNSt15iterator_traitsISZ_E10value_typeET2_T3_PNS10_IS15_E10value_typeET4_jRbjT5_S1B_jjP12ihipStream_tbEUljE_ZNSN_ISO_Lb1ESQ_SR_SQ_SR_SV_EESW_SX_SY_SZ_S13_S14_S15_S18_S19_jS1A_jS1B_S1B_jjS1D_bEUljE0_EEESW_SX_SY_S15_S19_S1B_T6_T7_T9_mT8_S1D_bDpT10_ENKUlT_T0_E_clISt17integral_constantIbLb0EES1R_EEDaS1M_S1N_EUlS1M_E_NS1_11comp_targetILNS1_3genE10ELNS1_11target_archE1200ELNS1_3gpuE4ELNS1_3repE0EEENS1_30default_config_static_selectorELNS0_4arch9wavefront6targetE1EEEvSZ_.has_recursion, 0
	.set _ZN7rocprim17ROCPRIM_400000_NS6detail17trampoline_kernelINS0_13select_configILj256ELj13ELNS0_17block_load_methodE3ELS4_3ELS4_3ELNS0_20block_scan_algorithmE0ELj4294967295EEENS1_25partition_config_selectorILNS1_17partition_subalgoE4EjNS0_10empty_typeEbEEZZNS1_14partition_implILS8_4ELb0ES6_15HIP_vector_typeIjLj2EENS0_17counting_iteratorIjlEEPS9_SG_NS0_5tupleIJPjSI_NS0_16reverse_iteratorISI_EEEEENSH_IJSG_SG_SG_EEES9_SI_JZNS1_25segmented_radix_sort_implINS0_14default_configELb1EPKlPlSQ_SR_N2at6native12_GLOBAL__N_18offset_tEEE10hipError_tPvRmT1_PNSt15iterator_traitsISZ_E10value_typeET2_T3_PNS10_IS15_E10value_typeET4_jRbjT5_S1B_jjP12ihipStream_tbEUljE_ZNSN_ISO_Lb1ESQ_SR_SQ_SR_SV_EESW_SX_SY_SZ_S13_S14_S15_S18_S19_jS1A_jS1B_S1B_jjS1D_bEUljE0_EEESW_SX_SY_S15_S19_S1B_T6_T7_T9_mT8_S1D_bDpT10_ENKUlT_T0_E_clISt17integral_constantIbLb0EES1R_EEDaS1M_S1N_EUlS1M_E_NS1_11comp_targetILNS1_3genE10ELNS1_11target_archE1200ELNS1_3gpuE4ELNS1_3repE0EEENS1_30default_config_static_selectorELNS0_4arch9wavefront6targetE1EEEvSZ_.has_indirect_call, 0
	.section	.AMDGPU.csdata,"",@progbits
; Kernel info:
; codeLenInByte = 0
; TotalNumSgprs: 4
; NumVgprs: 0
; ScratchSize: 0
; MemoryBound: 0
; FloatMode: 240
; IeeeMode: 1
; LDSByteSize: 0 bytes/workgroup (compile time only)
; SGPRBlocks: 0
; VGPRBlocks: 0
; NumSGPRsForWavesPerEU: 4
; NumVGPRsForWavesPerEU: 1
; Occupancy: 10
; WaveLimiterHint : 0
; COMPUTE_PGM_RSRC2:SCRATCH_EN: 0
; COMPUTE_PGM_RSRC2:USER_SGPR: 6
; COMPUTE_PGM_RSRC2:TRAP_HANDLER: 0
; COMPUTE_PGM_RSRC2:TGID_X_EN: 1
; COMPUTE_PGM_RSRC2:TGID_Y_EN: 0
; COMPUTE_PGM_RSRC2:TGID_Z_EN: 0
; COMPUTE_PGM_RSRC2:TIDIG_COMP_CNT: 0
	.section	.text._ZN7rocprim17ROCPRIM_400000_NS6detail17trampoline_kernelINS0_13select_configILj256ELj13ELNS0_17block_load_methodE3ELS4_3ELS4_3ELNS0_20block_scan_algorithmE0ELj4294967295EEENS1_25partition_config_selectorILNS1_17partition_subalgoE4EjNS0_10empty_typeEbEEZZNS1_14partition_implILS8_4ELb0ES6_15HIP_vector_typeIjLj2EENS0_17counting_iteratorIjlEEPS9_SG_NS0_5tupleIJPjSI_NS0_16reverse_iteratorISI_EEEEENSH_IJSG_SG_SG_EEES9_SI_JZNS1_25segmented_radix_sort_implINS0_14default_configELb1EPKlPlSQ_SR_N2at6native12_GLOBAL__N_18offset_tEEE10hipError_tPvRmT1_PNSt15iterator_traitsISZ_E10value_typeET2_T3_PNS10_IS15_E10value_typeET4_jRbjT5_S1B_jjP12ihipStream_tbEUljE_ZNSN_ISO_Lb1ESQ_SR_SQ_SR_SV_EESW_SX_SY_SZ_S13_S14_S15_S18_S19_jS1A_jS1B_S1B_jjS1D_bEUljE0_EEESW_SX_SY_S15_S19_S1B_T6_T7_T9_mT8_S1D_bDpT10_ENKUlT_T0_E_clISt17integral_constantIbLb0EES1R_EEDaS1M_S1N_EUlS1M_E_NS1_11comp_targetILNS1_3genE9ELNS1_11target_archE1100ELNS1_3gpuE3ELNS1_3repE0EEENS1_30default_config_static_selectorELNS0_4arch9wavefront6targetE1EEEvSZ_,"axG",@progbits,_ZN7rocprim17ROCPRIM_400000_NS6detail17trampoline_kernelINS0_13select_configILj256ELj13ELNS0_17block_load_methodE3ELS4_3ELS4_3ELNS0_20block_scan_algorithmE0ELj4294967295EEENS1_25partition_config_selectorILNS1_17partition_subalgoE4EjNS0_10empty_typeEbEEZZNS1_14partition_implILS8_4ELb0ES6_15HIP_vector_typeIjLj2EENS0_17counting_iteratorIjlEEPS9_SG_NS0_5tupleIJPjSI_NS0_16reverse_iteratorISI_EEEEENSH_IJSG_SG_SG_EEES9_SI_JZNS1_25segmented_radix_sort_implINS0_14default_configELb1EPKlPlSQ_SR_N2at6native12_GLOBAL__N_18offset_tEEE10hipError_tPvRmT1_PNSt15iterator_traitsISZ_E10value_typeET2_T3_PNS10_IS15_E10value_typeET4_jRbjT5_S1B_jjP12ihipStream_tbEUljE_ZNSN_ISO_Lb1ESQ_SR_SQ_SR_SV_EESW_SX_SY_SZ_S13_S14_S15_S18_S19_jS1A_jS1B_S1B_jjS1D_bEUljE0_EEESW_SX_SY_S15_S19_S1B_T6_T7_T9_mT8_S1D_bDpT10_ENKUlT_T0_E_clISt17integral_constantIbLb0EES1R_EEDaS1M_S1N_EUlS1M_E_NS1_11comp_targetILNS1_3genE9ELNS1_11target_archE1100ELNS1_3gpuE3ELNS1_3repE0EEENS1_30default_config_static_selectorELNS0_4arch9wavefront6targetE1EEEvSZ_,comdat
	.globl	_ZN7rocprim17ROCPRIM_400000_NS6detail17trampoline_kernelINS0_13select_configILj256ELj13ELNS0_17block_load_methodE3ELS4_3ELS4_3ELNS0_20block_scan_algorithmE0ELj4294967295EEENS1_25partition_config_selectorILNS1_17partition_subalgoE4EjNS0_10empty_typeEbEEZZNS1_14partition_implILS8_4ELb0ES6_15HIP_vector_typeIjLj2EENS0_17counting_iteratorIjlEEPS9_SG_NS0_5tupleIJPjSI_NS0_16reverse_iteratorISI_EEEEENSH_IJSG_SG_SG_EEES9_SI_JZNS1_25segmented_radix_sort_implINS0_14default_configELb1EPKlPlSQ_SR_N2at6native12_GLOBAL__N_18offset_tEEE10hipError_tPvRmT1_PNSt15iterator_traitsISZ_E10value_typeET2_T3_PNS10_IS15_E10value_typeET4_jRbjT5_S1B_jjP12ihipStream_tbEUljE_ZNSN_ISO_Lb1ESQ_SR_SQ_SR_SV_EESW_SX_SY_SZ_S13_S14_S15_S18_S19_jS1A_jS1B_S1B_jjS1D_bEUljE0_EEESW_SX_SY_S15_S19_S1B_T6_T7_T9_mT8_S1D_bDpT10_ENKUlT_T0_E_clISt17integral_constantIbLb0EES1R_EEDaS1M_S1N_EUlS1M_E_NS1_11comp_targetILNS1_3genE9ELNS1_11target_archE1100ELNS1_3gpuE3ELNS1_3repE0EEENS1_30default_config_static_selectorELNS0_4arch9wavefront6targetE1EEEvSZ_ ; -- Begin function _ZN7rocprim17ROCPRIM_400000_NS6detail17trampoline_kernelINS0_13select_configILj256ELj13ELNS0_17block_load_methodE3ELS4_3ELS4_3ELNS0_20block_scan_algorithmE0ELj4294967295EEENS1_25partition_config_selectorILNS1_17partition_subalgoE4EjNS0_10empty_typeEbEEZZNS1_14partition_implILS8_4ELb0ES6_15HIP_vector_typeIjLj2EENS0_17counting_iteratorIjlEEPS9_SG_NS0_5tupleIJPjSI_NS0_16reverse_iteratorISI_EEEEENSH_IJSG_SG_SG_EEES9_SI_JZNS1_25segmented_radix_sort_implINS0_14default_configELb1EPKlPlSQ_SR_N2at6native12_GLOBAL__N_18offset_tEEE10hipError_tPvRmT1_PNSt15iterator_traitsISZ_E10value_typeET2_T3_PNS10_IS15_E10value_typeET4_jRbjT5_S1B_jjP12ihipStream_tbEUljE_ZNSN_ISO_Lb1ESQ_SR_SQ_SR_SV_EESW_SX_SY_SZ_S13_S14_S15_S18_S19_jS1A_jS1B_S1B_jjS1D_bEUljE0_EEESW_SX_SY_S15_S19_S1B_T6_T7_T9_mT8_S1D_bDpT10_ENKUlT_T0_E_clISt17integral_constantIbLb0EES1R_EEDaS1M_S1N_EUlS1M_E_NS1_11comp_targetILNS1_3genE9ELNS1_11target_archE1100ELNS1_3gpuE3ELNS1_3repE0EEENS1_30default_config_static_selectorELNS0_4arch9wavefront6targetE1EEEvSZ_
	.p2align	8
	.type	_ZN7rocprim17ROCPRIM_400000_NS6detail17trampoline_kernelINS0_13select_configILj256ELj13ELNS0_17block_load_methodE3ELS4_3ELS4_3ELNS0_20block_scan_algorithmE0ELj4294967295EEENS1_25partition_config_selectorILNS1_17partition_subalgoE4EjNS0_10empty_typeEbEEZZNS1_14partition_implILS8_4ELb0ES6_15HIP_vector_typeIjLj2EENS0_17counting_iteratorIjlEEPS9_SG_NS0_5tupleIJPjSI_NS0_16reverse_iteratorISI_EEEEENSH_IJSG_SG_SG_EEES9_SI_JZNS1_25segmented_radix_sort_implINS0_14default_configELb1EPKlPlSQ_SR_N2at6native12_GLOBAL__N_18offset_tEEE10hipError_tPvRmT1_PNSt15iterator_traitsISZ_E10value_typeET2_T3_PNS10_IS15_E10value_typeET4_jRbjT5_S1B_jjP12ihipStream_tbEUljE_ZNSN_ISO_Lb1ESQ_SR_SQ_SR_SV_EESW_SX_SY_SZ_S13_S14_S15_S18_S19_jS1A_jS1B_S1B_jjS1D_bEUljE0_EEESW_SX_SY_S15_S19_S1B_T6_T7_T9_mT8_S1D_bDpT10_ENKUlT_T0_E_clISt17integral_constantIbLb0EES1R_EEDaS1M_S1N_EUlS1M_E_NS1_11comp_targetILNS1_3genE9ELNS1_11target_archE1100ELNS1_3gpuE3ELNS1_3repE0EEENS1_30default_config_static_selectorELNS0_4arch9wavefront6targetE1EEEvSZ_,@function
_ZN7rocprim17ROCPRIM_400000_NS6detail17trampoline_kernelINS0_13select_configILj256ELj13ELNS0_17block_load_methodE3ELS4_3ELS4_3ELNS0_20block_scan_algorithmE0ELj4294967295EEENS1_25partition_config_selectorILNS1_17partition_subalgoE4EjNS0_10empty_typeEbEEZZNS1_14partition_implILS8_4ELb0ES6_15HIP_vector_typeIjLj2EENS0_17counting_iteratorIjlEEPS9_SG_NS0_5tupleIJPjSI_NS0_16reverse_iteratorISI_EEEEENSH_IJSG_SG_SG_EEES9_SI_JZNS1_25segmented_radix_sort_implINS0_14default_configELb1EPKlPlSQ_SR_N2at6native12_GLOBAL__N_18offset_tEEE10hipError_tPvRmT1_PNSt15iterator_traitsISZ_E10value_typeET2_T3_PNS10_IS15_E10value_typeET4_jRbjT5_S1B_jjP12ihipStream_tbEUljE_ZNSN_ISO_Lb1ESQ_SR_SQ_SR_SV_EESW_SX_SY_SZ_S13_S14_S15_S18_S19_jS1A_jS1B_S1B_jjS1D_bEUljE0_EEESW_SX_SY_S15_S19_S1B_T6_T7_T9_mT8_S1D_bDpT10_ENKUlT_T0_E_clISt17integral_constantIbLb0EES1R_EEDaS1M_S1N_EUlS1M_E_NS1_11comp_targetILNS1_3genE9ELNS1_11target_archE1100ELNS1_3gpuE3ELNS1_3repE0EEENS1_30default_config_static_selectorELNS0_4arch9wavefront6targetE1EEEvSZ_: ; @_ZN7rocprim17ROCPRIM_400000_NS6detail17trampoline_kernelINS0_13select_configILj256ELj13ELNS0_17block_load_methodE3ELS4_3ELS4_3ELNS0_20block_scan_algorithmE0ELj4294967295EEENS1_25partition_config_selectorILNS1_17partition_subalgoE4EjNS0_10empty_typeEbEEZZNS1_14partition_implILS8_4ELb0ES6_15HIP_vector_typeIjLj2EENS0_17counting_iteratorIjlEEPS9_SG_NS0_5tupleIJPjSI_NS0_16reverse_iteratorISI_EEEEENSH_IJSG_SG_SG_EEES9_SI_JZNS1_25segmented_radix_sort_implINS0_14default_configELb1EPKlPlSQ_SR_N2at6native12_GLOBAL__N_18offset_tEEE10hipError_tPvRmT1_PNSt15iterator_traitsISZ_E10value_typeET2_T3_PNS10_IS15_E10value_typeET4_jRbjT5_S1B_jjP12ihipStream_tbEUljE_ZNSN_ISO_Lb1ESQ_SR_SQ_SR_SV_EESW_SX_SY_SZ_S13_S14_S15_S18_S19_jS1A_jS1B_S1B_jjS1D_bEUljE0_EEESW_SX_SY_S15_S19_S1B_T6_T7_T9_mT8_S1D_bDpT10_ENKUlT_T0_E_clISt17integral_constantIbLb0EES1R_EEDaS1M_S1N_EUlS1M_E_NS1_11comp_targetILNS1_3genE9ELNS1_11target_archE1100ELNS1_3gpuE3ELNS1_3repE0EEENS1_30default_config_static_selectorELNS0_4arch9wavefront6targetE1EEEvSZ_
; %bb.0:
	.section	.rodata,"a",@progbits
	.p2align	6, 0x0
	.amdhsa_kernel _ZN7rocprim17ROCPRIM_400000_NS6detail17trampoline_kernelINS0_13select_configILj256ELj13ELNS0_17block_load_methodE3ELS4_3ELS4_3ELNS0_20block_scan_algorithmE0ELj4294967295EEENS1_25partition_config_selectorILNS1_17partition_subalgoE4EjNS0_10empty_typeEbEEZZNS1_14partition_implILS8_4ELb0ES6_15HIP_vector_typeIjLj2EENS0_17counting_iteratorIjlEEPS9_SG_NS0_5tupleIJPjSI_NS0_16reverse_iteratorISI_EEEEENSH_IJSG_SG_SG_EEES9_SI_JZNS1_25segmented_radix_sort_implINS0_14default_configELb1EPKlPlSQ_SR_N2at6native12_GLOBAL__N_18offset_tEEE10hipError_tPvRmT1_PNSt15iterator_traitsISZ_E10value_typeET2_T3_PNS10_IS15_E10value_typeET4_jRbjT5_S1B_jjP12ihipStream_tbEUljE_ZNSN_ISO_Lb1ESQ_SR_SQ_SR_SV_EESW_SX_SY_SZ_S13_S14_S15_S18_S19_jS1A_jS1B_S1B_jjS1D_bEUljE0_EEESW_SX_SY_S15_S19_S1B_T6_T7_T9_mT8_S1D_bDpT10_ENKUlT_T0_E_clISt17integral_constantIbLb0EES1R_EEDaS1M_S1N_EUlS1M_E_NS1_11comp_targetILNS1_3genE9ELNS1_11target_archE1100ELNS1_3gpuE3ELNS1_3repE0EEENS1_30default_config_static_selectorELNS0_4arch9wavefront6targetE1EEEvSZ_
		.amdhsa_group_segment_fixed_size 0
		.amdhsa_private_segment_fixed_size 0
		.amdhsa_kernarg_size 176
		.amdhsa_user_sgpr_count 6
		.amdhsa_user_sgpr_private_segment_buffer 1
		.amdhsa_user_sgpr_dispatch_ptr 0
		.amdhsa_user_sgpr_queue_ptr 0
		.amdhsa_user_sgpr_kernarg_segment_ptr 1
		.amdhsa_user_sgpr_dispatch_id 0
		.amdhsa_user_sgpr_flat_scratch_init 0
		.amdhsa_user_sgpr_private_segment_size 0
		.amdhsa_uses_dynamic_stack 0
		.amdhsa_system_sgpr_private_segment_wavefront_offset 0
		.amdhsa_system_sgpr_workgroup_id_x 1
		.amdhsa_system_sgpr_workgroup_id_y 0
		.amdhsa_system_sgpr_workgroup_id_z 0
		.amdhsa_system_sgpr_workgroup_info 0
		.amdhsa_system_vgpr_workitem_id 0
		.amdhsa_next_free_vgpr 1
		.amdhsa_next_free_sgpr 0
		.amdhsa_reserve_vcc 0
		.amdhsa_reserve_flat_scratch 0
		.amdhsa_float_round_mode_32 0
		.amdhsa_float_round_mode_16_64 0
		.amdhsa_float_denorm_mode_32 3
		.amdhsa_float_denorm_mode_16_64 3
		.amdhsa_dx10_clamp 1
		.amdhsa_ieee_mode 1
		.amdhsa_fp16_overflow 0
		.amdhsa_exception_fp_ieee_invalid_op 0
		.amdhsa_exception_fp_denorm_src 0
		.amdhsa_exception_fp_ieee_div_zero 0
		.amdhsa_exception_fp_ieee_overflow 0
		.amdhsa_exception_fp_ieee_underflow 0
		.amdhsa_exception_fp_ieee_inexact 0
		.amdhsa_exception_int_div_zero 0
	.end_amdhsa_kernel
	.section	.text._ZN7rocprim17ROCPRIM_400000_NS6detail17trampoline_kernelINS0_13select_configILj256ELj13ELNS0_17block_load_methodE3ELS4_3ELS4_3ELNS0_20block_scan_algorithmE0ELj4294967295EEENS1_25partition_config_selectorILNS1_17partition_subalgoE4EjNS0_10empty_typeEbEEZZNS1_14partition_implILS8_4ELb0ES6_15HIP_vector_typeIjLj2EENS0_17counting_iteratorIjlEEPS9_SG_NS0_5tupleIJPjSI_NS0_16reverse_iteratorISI_EEEEENSH_IJSG_SG_SG_EEES9_SI_JZNS1_25segmented_radix_sort_implINS0_14default_configELb1EPKlPlSQ_SR_N2at6native12_GLOBAL__N_18offset_tEEE10hipError_tPvRmT1_PNSt15iterator_traitsISZ_E10value_typeET2_T3_PNS10_IS15_E10value_typeET4_jRbjT5_S1B_jjP12ihipStream_tbEUljE_ZNSN_ISO_Lb1ESQ_SR_SQ_SR_SV_EESW_SX_SY_SZ_S13_S14_S15_S18_S19_jS1A_jS1B_S1B_jjS1D_bEUljE0_EEESW_SX_SY_S15_S19_S1B_T6_T7_T9_mT8_S1D_bDpT10_ENKUlT_T0_E_clISt17integral_constantIbLb0EES1R_EEDaS1M_S1N_EUlS1M_E_NS1_11comp_targetILNS1_3genE9ELNS1_11target_archE1100ELNS1_3gpuE3ELNS1_3repE0EEENS1_30default_config_static_selectorELNS0_4arch9wavefront6targetE1EEEvSZ_,"axG",@progbits,_ZN7rocprim17ROCPRIM_400000_NS6detail17trampoline_kernelINS0_13select_configILj256ELj13ELNS0_17block_load_methodE3ELS4_3ELS4_3ELNS0_20block_scan_algorithmE0ELj4294967295EEENS1_25partition_config_selectorILNS1_17partition_subalgoE4EjNS0_10empty_typeEbEEZZNS1_14partition_implILS8_4ELb0ES6_15HIP_vector_typeIjLj2EENS0_17counting_iteratorIjlEEPS9_SG_NS0_5tupleIJPjSI_NS0_16reverse_iteratorISI_EEEEENSH_IJSG_SG_SG_EEES9_SI_JZNS1_25segmented_radix_sort_implINS0_14default_configELb1EPKlPlSQ_SR_N2at6native12_GLOBAL__N_18offset_tEEE10hipError_tPvRmT1_PNSt15iterator_traitsISZ_E10value_typeET2_T3_PNS10_IS15_E10value_typeET4_jRbjT5_S1B_jjP12ihipStream_tbEUljE_ZNSN_ISO_Lb1ESQ_SR_SQ_SR_SV_EESW_SX_SY_SZ_S13_S14_S15_S18_S19_jS1A_jS1B_S1B_jjS1D_bEUljE0_EEESW_SX_SY_S15_S19_S1B_T6_T7_T9_mT8_S1D_bDpT10_ENKUlT_T0_E_clISt17integral_constantIbLb0EES1R_EEDaS1M_S1N_EUlS1M_E_NS1_11comp_targetILNS1_3genE9ELNS1_11target_archE1100ELNS1_3gpuE3ELNS1_3repE0EEENS1_30default_config_static_selectorELNS0_4arch9wavefront6targetE1EEEvSZ_,comdat
.Lfunc_end646:
	.size	_ZN7rocprim17ROCPRIM_400000_NS6detail17trampoline_kernelINS0_13select_configILj256ELj13ELNS0_17block_load_methodE3ELS4_3ELS4_3ELNS0_20block_scan_algorithmE0ELj4294967295EEENS1_25partition_config_selectorILNS1_17partition_subalgoE4EjNS0_10empty_typeEbEEZZNS1_14partition_implILS8_4ELb0ES6_15HIP_vector_typeIjLj2EENS0_17counting_iteratorIjlEEPS9_SG_NS0_5tupleIJPjSI_NS0_16reverse_iteratorISI_EEEEENSH_IJSG_SG_SG_EEES9_SI_JZNS1_25segmented_radix_sort_implINS0_14default_configELb1EPKlPlSQ_SR_N2at6native12_GLOBAL__N_18offset_tEEE10hipError_tPvRmT1_PNSt15iterator_traitsISZ_E10value_typeET2_T3_PNS10_IS15_E10value_typeET4_jRbjT5_S1B_jjP12ihipStream_tbEUljE_ZNSN_ISO_Lb1ESQ_SR_SQ_SR_SV_EESW_SX_SY_SZ_S13_S14_S15_S18_S19_jS1A_jS1B_S1B_jjS1D_bEUljE0_EEESW_SX_SY_S15_S19_S1B_T6_T7_T9_mT8_S1D_bDpT10_ENKUlT_T0_E_clISt17integral_constantIbLb0EES1R_EEDaS1M_S1N_EUlS1M_E_NS1_11comp_targetILNS1_3genE9ELNS1_11target_archE1100ELNS1_3gpuE3ELNS1_3repE0EEENS1_30default_config_static_selectorELNS0_4arch9wavefront6targetE1EEEvSZ_, .Lfunc_end646-_ZN7rocprim17ROCPRIM_400000_NS6detail17trampoline_kernelINS0_13select_configILj256ELj13ELNS0_17block_load_methodE3ELS4_3ELS4_3ELNS0_20block_scan_algorithmE0ELj4294967295EEENS1_25partition_config_selectorILNS1_17partition_subalgoE4EjNS0_10empty_typeEbEEZZNS1_14partition_implILS8_4ELb0ES6_15HIP_vector_typeIjLj2EENS0_17counting_iteratorIjlEEPS9_SG_NS0_5tupleIJPjSI_NS0_16reverse_iteratorISI_EEEEENSH_IJSG_SG_SG_EEES9_SI_JZNS1_25segmented_radix_sort_implINS0_14default_configELb1EPKlPlSQ_SR_N2at6native12_GLOBAL__N_18offset_tEEE10hipError_tPvRmT1_PNSt15iterator_traitsISZ_E10value_typeET2_T3_PNS10_IS15_E10value_typeET4_jRbjT5_S1B_jjP12ihipStream_tbEUljE_ZNSN_ISO_Lb1ESQ_SR_SQ_SR_SV_EESW_SX_SY_SZ_S13_S14_S15_S18_S19_jS1A_jS1B_S1B_jjS1D_bEUljE0_EEESW_SX_SY_S15_S19_S1B_T6_T7_T9_mT8_S1D_bDpT10_ENKUlT_T0_E_clISt17integral_constantIbLb0EES1R_EEDaS1M_S1N_EUlS1M_E_NS1_11comp_targetILNS1_3genE9ELNS1_11target_archE1100ELNS1_3gpuE3ELNS1_3repE0EEENS1_30default_config_static_selectorELNS0_4arch9wavefront6targetE1EEEvSZ_
                                        ; -- End function
	.set _ZN7rocprim17ROCPRIM_400000_NS6detail17trampoline_kernelINS0_13select_configILj256ELj13ELNS0_17block_load_methodE3ELS4_3ELS4_3ELNS0_20block_scan_algorithmE0ELj4294967295EEENS1_25partition_config_selectorILNS1_17partition_subalgoE4EjNS0_10empty_typeEbEEZZNS1_14partition_implILS8_4ELb0ES6_15HIP_vector_typeIjLj2EENS0_17counting_iteratorIjlEEPS9_SG_NS0_5tupleIJPjSI_NS0_16reverse_iteratorISI_EEEEENSH_IJSG_SG_SG_EEES9_SI_JZNS1_25segmented_radix_sort_implINS0_14default_configELb1EPKlPlSQ_SR_N2at6native12_GLOBAL__N_18offset_tEEE10hipError_tPvRmT1_PNSt15iterator_traitsISZ_E10value_typeET2_T3_PNS10_IS15_E10value_typeET4_jRbjT5_S1B_jjP12ihipStream_tbEUljE_ZNSN_ISO_Lb1ESQ_SR_SQ_SR_SV_EESW_SX_SY_SZ_S13_S14_S15_S18_S19_jS1A_jS1B_S1B_jjS1D_bEUljE0_EEESW_SX_SY_S15_S19_S1B_T6_T7_T9_mT8_S1D_bDpT10_ENKUlT_T0_E_clISt17integral_constantIbLb0EES1R_EEDaS1M_S1N_EUlS1M_E_NS1_11comp_targetILNS1_3genE9ELNS1_11target_archE1100ELNS1_3gpuE3ELNS1_3repE0EEENS1_30default_config_static_selectorELNS0_4arch9wavefront6targetE1EEEvSZ_.num_vgpr, 0
	.set _ZN7rocprim17ROCPRIM_400000_NS6detail17trampoline_kernelINS0_13select_configILj256ELj13ELNS0_17block_load_methodE3ELS4_3ELS4_3ELNS0_20block_scan_algorithmE0ELj4294967295EEENS1_25partition_config_selectorILNS1_17partition_subalgoE4EjNS0_10empty_typeEbEEZZNS1_14partition_implILS8_4ELb0ES6_15HIP_vector_typeIjLj2EENS0_17counting_iteratorIjlEEPS9_SG_NS0_5tupleIJPjSI_NS0_16reverse_iteratorISI_EEEEENSH_IJSG_SG_SG_EEES9_SI_JZNS1_25segmented_radix_sort_implINS0_14default_configELb1EPKlPlSQ_SR_N2at6native12_GLOBAL__N_18offset_tEEE10hipError_tPvRmT1_PNSt15iterator_traitsISZ_E10value_typeET2_T3_PNS10_IS15_E10value_typeET4_jRbjT5_S1B_jjP12ihipStream_tbEUljE_ZNSN_ISO_Lb1ESQ_SR_SQ_SR_SV_EESW_SX_SY_SZ_S13_S14_S15_S18_S19_jS1A_jS1B_S1B_jjS1D_bEUljE0_EEESW_SX_SY_S15_S19_S1B_T6_T7_T9_mT8_S1D_bDpT10_ENKUlT_T0_E_clISt17integral_constantIbLb0EES1R_EEDaS1M_S1N_EUlS1M_E_NS1_11comp_targetILNS1_3genE9ELNS1_11target_archE1100ELNS1_3gpuE3ELNS1_3repE0EEENS1_30default_config_static_selectorELNS0_4arch9wavefront6targetE1EEEvSZ_.num_agpr, 0
	.set _ZN7rocprim17ROCPRIM_400000_NS6detail17trampoline_kernelINS0_13select_configILj256ELj13ELNS0_17block_load_methodE3ELS4_3ELS4_3ELNS0_20block_scan_algorithmE0ELj4294967295EEENS1_25partition_config_selectorILNS1_17partition_subalgoE4EjNS0_10empty_typeEbEEZZNS1_14partition_implILS8_4ELb0ES6_15HIP_vector_typeIjLj2EENS0_17counting_iteratorIjlEEPS9_SG_NS0_5tupleIJPjSI_NS0_16reverse_iteratorISI_EEEEENSH_IJSG_SG_SG_EEES9_SI_JZNS1_25segmented_radix_sort_implINS0_14default_configELb1EPKlPlSQ_SR_N2at6native12_GLOBAL__N_18offset_tEEE10hipError_tPvRmT1_PNSt15iterator_traitsISZ_E10value_typeET2_T3_PNS10_IS15_E10value_typeET4_jRbjT5_S1B_jjP12ihipStream_tbEUljE_ZNSN_ISO_Lb1ESQ_SR_SQ_SR_SV_EESW_SX_SY_SZ_S13_S14_S15_S18_S19_jS1A_jS1B_S1B_jjS1D_bEUljE0_EEESW_SX_SY_S15_S19_S1B_T6_T7_T9_mT8_S1D_bDpT10_ENKUlT_T0_E_clISt17integral_constantIbLb0EES1R_EEDaS1M_S1N_EUlS1M_E_NS1_11comp_targetILNS1_3genE9ELNS1_11target_archE1100ELNS1_3gpuE3ELNS1_3repE0EEENS1_30default_config_static_selectorELNS0_4arch9wavefront6targetE1EEEvSZ_.numbered_sgpr, 0
	.set _ZN7rocprim17ROCPRIM_400000_NS6detail17trampoline_kernelINS0_13select_configILj256ELj13ELNS0_17block_load_methodE3ELS4_3ELS4_3ELNS0_20block_scan_algorithmE0ELj4294967295EEENS1_25partition_config_selectorILNS1_17partition_subalgoE4EjNS0_10empty_typeEbEEZZNS1_14partition_implILS8_4ELb0ES6_15HIP_vector_typeIjLj2EENS0_17counting_iteratorIjlEEPS9_SG_NS0_5tupleIJPjSI_NS0_16reverse_iteratorISI_EEEEENSH_IJSG_SG_SG_EEES9_SI_JZNS1_25segmented_radix_sort_implINS0_14default_configELb1EPKlPlSQ_SR_N2at6native12_GLOBAL__N_18offset_tEEE10hipError_tPvRmT1_PNSt15iterator_traitsISZ_E10value_typeET2_T3_PNS10_IS15_E10value_typeET4_jRbjT5_S1B_jjP12ihipStream_tbEUljE_ZNSN_ISO_Lb1ESQ_SR_SQ_SR_SV_EESW_SX_SY_SZ_S13_S14_S15_S18_S19_jS1A_jS1B_S1B_jjS1D_bEUljE0_EEESW_SX_SY_S15_S19_S1B_T6_T7_T9_mT8_S1D_bDpT10_ENKUlT_T0_E_clISt17integral_constantIbLb0EES1R_EEDaS1M_S1N_EUlS1M_E_NS1_11comp_targetILNS1_3genE9ELNS1_11target_archE1100ELNS1_3gpuE3ELNS1_3repE0EEENS1_30default_config_static_selectorELNS0_4arch9wavefront6targetE1EEEvSZ_.num_named_barrier, 0
	.set _ZN7rocprim17ROCPRIM_400000_NS6detail17trampoline_kernelINS0_13select_configILj256ELj13ELNS0_17block_load_methodE3ELS4_3ELS4_3ELNS0_20block_scan_algorithmE0ELj4294967295EEENS1_25partition_config_selectorILNS1_17partition_subalgoE4EjNS0_10empty_typeEbEEZZNS1_14partition_implILS8_4ELb0ES6_15HIP_vector_typeIjLj2EENS0_17counting_iteratorIjlEEPS9_SG_NS0_5tupleIJPjSI_NS0_16reverse_iteratorISI_EEEEENSH_IJSG_SG_SG_EEES9_SI_JZNS1_25segmented_radix_sort_implINS0_14default_configELb1EPKlPlSQ_SR_N2at6native12_GLOBAL__N_18offset_tEEE10hipError_tPvRmT1_PNSt15iterator_traitsISZ_E10value_typeET2_T3_PNS10_IS15_E10value_typeET4_jRbjT5_S1B_jjP12ihipStream_tbEUljE_ZNSN_ISO_Lb1ESQ_SR_SQ_SR_SV_EESW_SX_SY_SZ_S13_S14_S15_S18_S19_jS1A_jS1B_S1B_jjS1D_bEUljE0_EEESW_SX_SY_S15_S19_S1B_T6_T7_T9_mT8_S1D_bDpT10_ENKUlT_T0_E_clISt17integral_constantIbLb0EES1R_EEDaS1M_S1N_EUlS1M_E_NS1_11comp_targetILNS1_3genE9ELNS1_11target_archE1100ELNS1_3gpuE3ELNS1_3repE0EEENS1_30default_config_static_selectorELNS0_4arch9wavefront6targetE1EEEvSZ_.private_seg_size, 0
	.set _ZN7rocprim17ROCPRIM_400000_NS6detail17trampoline_kernelINS0_13select_configILj256ELj13ELNS0_17block_load_methodE3ELS4_3ELS4_3ELNS0_20block_scan_algorithmE0ELj4294967295EEENS1_25partition_config_selectorILNS1_17partition_subalgoE4EjNS0_10empty_typeEbEEZZNS1_14partition_implILS8_4ELb0ES6_15HIP_vector_typeIjLj2EENS0_17counting_iteratorIjlEEPS9_SG_NS0_5tupleIJPjSI_NS0_16reverse_iteratorISI_EEEEENSH_IJSG_SG_SG_EEES9_SI_JZNS1_25segmented_radix_sort_implINS0_14default_configELb1EPKlPlSQ_SR_N2at6native12_GLOBAL__N_18offset_tEEE10hipError_tPvRmT1_PNSt15iterator_traitsISZ_E10value_typeET2_T3_PNS10_IS15_E10value_typeET4_jRbjT5_S1B_jjP12ihipStream_tbEUljE_ZNSN_ISO_Lb1ESQ_SR_SQ_SR_SV_EESW_SX_SY_SZ_S13_S14_S15_S18_S19_jS1A_jS1B_S1B_jjS1D_bEUljE0_EEESW_SX_SY_S15_S19_S1B_T6_T7_T9_mT8_S1D_bDpT10_ENKUlT_T0_E_clISt17integral_constantIbLb0EES1R_EEDaS1M_S1N_EUlS1M_E_NS1_11comp_targetILNS1_3genE9ELNS1_11target_archE1100ELNS1_3gpuE3ELNS1_3repE0EEENS1_30default_config_static_selectorELNS0_4arch9wavefront6targetE1EEEvSZ_.uses_vcc, 0
	.set _ZN7rocprim17ROCPRIM_400000_NS6detail17trampoline_kernelINS0_13select_configILj256ELj13ELNS0_17block_load_methodE3ELS4_3ELS4_3ELNS0_20block_scan_algorithmE0ELj4294967295EEENS1_25partition_config_selectorILNS1_17partition_subalgoE4EjNS0_10empty_typeEbEEZZNS1_14partition_implILS8_4ELb0ES6_15HIP_vector_typeIjLj2EENS0_17counting_iteratorIjlEEPS9_SG_NS0_5tupleIJPjSI_NS0_16reverse_iteratorISI_EEEEENSH_IJSG_SG_SG_EEES9_SI_JZNS1_25segmented_radix_sort_implINS0_14default_configELb1EPKlPlSQ_SR_N2at6native12_GLOBAL__N_18offset_tEEE10hipError_tPvRmT1_PNSt15iterator_traitsISZ_E10value_typeET2_T3_PNS10_IS15_E10value_typeET4_jRbjT5_S1B_jjP12ihipStream_tbEUljE_ZNSN_ISO_Lb1ESQ_SR_SQ_SR_SV_EESW_SX_SY_SZ_S13_S14_S15_S18_S19_jS1A_jS1B_S1B_jjS1D_bEUljE0_EEESW_SX_SY_S15_S19_S1B_T6_T7_T9_mT8_S1D_bDpT10_ENKUlT_T0_E_clISt17integral_constantIbLb0EES1R_EEDaS1M_S1N_EUlS1M_E_NS1_11comp_targetILNS1_3genE9ELNS1_11target_archE1100ELNS1_3gpuE3ELNS1_3repE0EEENS1_30default_config_static_selectorELNS0_4arch9wavefront6targetE1EEEvSZ_.uses_flat_scratch, 0
	.set _ZN7rocprim17ROCPRIM_400000_NS6detail17trampoline_kernelINS0_13select_configILj256ELj13ELNS0_17block_load_methodE3ELS4_3ELS4_3ELNS0_20block_scan_algorithmE0ELj4294967295EEENS1_25partition_config_selectorILNS1_17partition_subalgoE4EjNS0_10empty_typeEbEEZZNS1_14partition_implILS8_4ELb0ES6_15HIP_vector_typeIjLj2EENS0_17counting_iteratorIjlEEPS9_SG_NS0_5tupleIJPjSI_NS0_16reverse_iteratorISI_EEEEENSH_IJSG_SG_SG_EEES9_SI_JZNS1_25segmented_radix_sort_implINS0_14default_configELb1EPKlPlSQ_SR_N2at6native12_GLOBAL__N_18offset_tEEE10hipError_tPvRmT1_PNSt15iterator_traitsISZ_E10value_typeET2_T3_PNS10_IS15_E10value_typeET4_jRbjT5_S1B_jjP12ihipStream_tbEUljE_ZNSN_ISO_Lb1ESQ_SR_SQ_SR_SV_EESW_SX_SY_SZ_S13_S14_S15_S18_S19_jS1A_jS1B_S1B_jjS1D_bEUljE0_EEESW_SX_SY_S15_S19_S1B_T6_T7_T9_mT8_S1D_bDpT10_ENKUlT_T0_E_clISt17integral_constantIbLb0EES1R_EEDaS1M_S1N_EUlS1M_E_NS1_11comp_targetILNS1_3genE9ELNS1_11target_archE1100ELNS1_3gpuE3ELNS1_3repE0EEENS1_30default_config_static_selectorELNS0_4arch9wavefront6targetE1EEEvSZ_.has_dyn_sized_stack, 0
	.set _ZN7rocprim17ROCPRIM_400000_NS6detail17trampoline_kernelINS0_13select_configILj256ELj13ELNS0_17block_load_methodE3ELS4_3ELS4_3ELNS0_20block_scan_algorithmE0ELj4294967295EEENS1_25partition_config_selectorILNS1_17partition_subalgoE4EjNS0_10empty_typeEbEEZZNS1_14partition_implILS8_4ELb0ES6_15HIP_vector_typeIjLj2EENS0_17counting_iteratorIjlEEPS9_SG_NS0_5tupleIJPjSI_NS0_16reverse_iteratorISI_EEEEENSH_IJSG_SG_SG_EEES9_SI_JZNS1_25segmented_radix_sort_implINS0_14default_configELb1EPKlPlSQ_SR_N2at6native12_GLOBAL__N_18offset_tEEE10hipError_tPvRmT1_PNSt15iterator_traitsISZ_E10value_typeET2_T3_PNS10_IS15_E10value_typeET4_jRbjT5_S1B_jjP12ihipStream_tbEUljE_ZNSN_ISO_Lb1ESQ_SR_SQ_SR_SV_EESW_SX_SY_SZ_S13_S14_S15_S18_S19_jS1A_jS1B_S1B_jjS1D_bEUljE0_EEESW_SX_SY_S15_S19_S1B_T6_T7_T9_mT8_S1D_bDpT10_ENKUlT_T0_E_clISt17integral_constantIbLb0EES1R_EEDaS1M_S1N_EUlS1M_E_NS1_11comp_targetILNS1_3genE9ELNS1_11target_archE1100ELNS1_3gpuE3ELNS1_3repE0EEENS1_30default_config_static_selectorELNS0_4arch9wavefront6targetE1EEEvSZ_.has_recursion, 0
	.set _ZN7rocprim17ROCPRIM_400000_NS6detail17trampoline_kernelINS0_13select_configILj256ELj13ELNS0_17block_load_methodE3ELS4_3ELS4_3ELNS0_20block_scan_algorithmE0ELj4294967295EEENS1_25partition_config_selectorILNS1_17partition_subalgoE4EjNS0_10empty_typeEbEEZZNS1_14partition_implILS8_4ELb0ES6_15HIP_vector_typeIjLj2EENS0_17counting_iteratorIjlEEPS9_SG_NS0_5tupleIJPjSI_NS0_16reverse_iteratorISI_EEEEENSH_IJSG_SG_SG_EEES9_SI_JZNS1_25segmented_radix_sort_implINS0_14default_configELb1EPKlPlSQ_SR_N2at6native12_GLOBAL__N_18offset_tEEE10hipError_tPvRmT1_PNSt15iterator_traitsISZ_E10value_typeET2_T3_PNS10_IS15_E10value_typeET4_jRbjT5_S1B_jjP12ihipStream_tbEUljE_ZNSN_ISO_Lb1ESQ_SR_SQ_SR_SV_EESW_SX_SY_SZ_S13_S14_S15_S18_S19_jS1A_jS1B_S1B_jjS1D_bEUljE0_EEESW_SX_SY_S15_S19_S1B_T6_T7_T9_mT8_S1D_bDpT10_ENKUlT_T0_E_clISt17integral_constantIbLb0EES1R_EEDaS1M_S1N_EUlS1M_E_NS1_11comp_targetILNS1_3genE9ELNS1_11target_archE1100ELNS1_3gpuE3ELNS1_3repE0EEENS1_30default_config_static_selectorELNS0_4arch9wavefront6targetE1EEEvSZ_.has_indirect_call, 0
	.section	.AMDGPU.csdata,"",@progbits
; Kernel info:
; codeLenInByte = 0
; TotalNumSgprs: 4
; NumVgprs: 0
; ScratchSize: 0
; MemoryBound: 0
; FloatMode: 240
; IeeeMode: 1
; LDSByteSize: 0 bytes/workgroup (compile time only)
; SGPRBlocks: 0
; VGPRBlocks: 0
; NumSGPRsForWavesPerEU: 4
; NumVGPRsForWavesPerEU: 1
; Occupancy: 10
; WaveLimiterHint : 0
; COMPUTE_PGM_RSRC2:SCRATCH_EN: 0
; COMPUTE_PGM_RSRC2:USER_SGPR: 6
; COMPUTE_PGM_RSRC2:TRAP_HANDLER: 0
; COMPUTE_PGM_RSRC2:TGID_X_EN: 1
; COMPUTE_PGM_RSRC2:TGID_Y_EN: 0
; COMPUTE_PGM_RSRC2:TGID_Z_EN: 0
; COMPUTE_PGM_RSRC2:TIDIG_COMP_CNT: 0
	.section	.text._ZN7rocprim17ROCPRIM_400000_NS6detail17trampoline_kernelINS0_13select_configILj256ELj13ELNS0_17block_load_methodE3ELS4_3ELS4_3ELNS0_20block_scan_algorithmE0ELj4294967295EEENS1_25partition_config_selectorILNS1_17partition_subalgoE4EjNS0_10empty_typeEbEEZZNS1_14partition_implILS8_4ELb0ES6_15HIP_vector_typeIjLj2EENS0_17counting_iteratorIjlEEPS9_SG_NS0_5tupleIJPjSI_NS0_16reverse_iteratorISI_EEEEENSH_IJSG_SG_SG_EEES9_SI_JZNS1_25segmented_radix_sort_implINS0_14default_configELb1EPKlPlSQ_SR_N2at6native12_GLOBAL__N_18offset_tEEE10hipError_tPvRmT1_PNSt15iterator_traitsISZ_E10value_typeET2_T3_PNS10_IS15_E10value_typeET4_jRbjT5_S1B_jjP12ihipStream_tbEUljE_ZNSN_ISO_Lb1ESQ_SR_SQ_SR_SV_EESW_SX_SY_SZ_S13_S14_S15_S18_S19_jS1A_jS1B_S1B_jjS1D_bEUljE0_EEESW_SX_SY_S15_S19_S1B_T6_T7_T9_mT8_S1D_bDpT10_ENKUlT_T0_E_clISt17integral_constantIbLb0EES1R_EEDaS1M_S1N_EUlS1M_E_NS1_11comp_targetILNS1_3genE8ELNS1_11target_archE1030ELNS1_3gpuE2ELNS1_3repE0EEENS1_30default_config_static_selectorELNS0_4arch9wavefront6targetE1EEEvSZ_,"axG",@progbits,_ZN7rocprim17ROCPRIM_400000_NS6detail17trampoline_kernelINS0_13select_configILj256ELj13ELNS0_17block_load_methodE3ELS4_3ELS4_3ELNS0_20block_scan_algorithmE0ELj4294967295EEENS1_25partition_config_selectorILNS1_17partition_subalgoE4EjNS0_10empty_typeEbEEZZNS1_14partition_implILS8_4ELb0ES6_15HIP_vector_typeIjLj2EENS0_17counting_iteratorIjlEEPS9_SG_NS0_5tupleIJPjSI_NS0_16reverse_iteratorISI_EEEEENSH_IJSG_SG_SG_EEES9_SI_JZNS1_25segmented_radix_sort_implINS0_14default_configELb1EPKlPlSQ_SR_N2at6native12_GLOBAL__N_18offset_tEEE10hipError_tPvRmT1_PNSt15iterator_traitsISZ_E10value_typeET2_T3_PNS10_IS15_E10value_typeET4_jRbjT5_S1B_jjP12ihipStream_tbEUljE_ZNSN_ISO_Lb1ESQ_SR_SQ_SR_SV_EESW_SX_SY_SZ_S13_S14_S15_S18_S19_jS1A_jS1B_S1B_jjS1D_bEUljE0_EEESW_SX_SY_S15_S19_S1B_T6_T7_T9_mT8_S1D_bDpT10_ENKUlT_T0_E_clISt17integral_constantIbLb0EES1R_EEDaS1M_S1N_EUlS1M_E_NS1_11comp_targetILNS1_3genE8ELNS1_11target_archE1030ELNS1_3gpuE2ELNS1_3repE0EEENS1_30default_config_static_selectorELNS0_4arch9wavefront6targetE1EEEvSZ_,comdat
	.globl	_ZN7rocprim17ROCPRIM_400000_NS6detail17trampoline_kernelINS0_13select_configILj256ELj13ELNS0_17block_load_methodE3ELS4_3ELS4_3ELNS0_20block_scan_algorithmE0ELj4294967295EEENS1_25partition_config_selectorILNS1_17partition_subalgoE4EjNS0_10empty_typeEbEEZZNS1_14partition_implILS8_4ELb0ES6_15HIP_vector_typeIjLj2EENS0_17counting_iteratorIjlEEPS9_SG_NS0_5tupleIJPjSI_NS0_16reverse_iteratorISI_EEEEENSH_IJSG_SG_SG_EEES9_SI_JZNS1_25segmented_radix_sort_implINS0_14default_configELb1EPKlPlSQ_SR_N2at6native12_GLOBAL__N_18offset_tEEE10hipError_tPvRmT1_PNSt15iterator_traitsISZ_E10value_typeET2_T3_PNS10_IS15_E10value_typeET4_jRbjT5_S1B_jjP12ihipStream_tbEUljE_ZNSN_ISO_Lb1ESQ_SR_SQ_SR_SV_EESW_SX_SY_SZ_S13_S14_S15_S18_S19_jS1A_jS1B_S1B_jjS1D_bEUljE0_EEESW_SX_SY_S15_S19_S1B_T6_T7_T9_mT8_S1D_bDpT10_ENKUlT_T0_E_clISt17integral_constantIbLb0EES1R_EEDaS1M_S1N_EUlS1M_E_NS1_11comp_targetILNS1_3genE8ELNS1_11target_archE1030ELNS1_3gpuE2ELNS1_3repE0EEENS1_30default_config_static_selectorELNS0_4arch9wavefront6targetE1EEEvSZ_ ; -- Begin function _ZN7rocprim17ROCPRIM_400000_NS6detail17trampoline_kernelINS0_13select_configILj256ELj13ELNS0_17block_load_methodE3ELS4_3ELS4_3ELNS0_20block_scan_algorithmE0ELj4294967295EEENS1_25partition_config_selectorILNS1_17partition_subalgoE4EjNS0_10empty_typeEbEEZZNS1_14partition_implILS8_4ELb0ES6_15HIP_vector_typeIjLj2EENS0_17counting_iteratorIjlEEPS9_SG_NS0_5tupleIJPjSI_NS0_16reverse_iteratorISI_EEEEENSH_IJSG_SG_SG_EEES9_SI_JZNS1_25segmented_radix_sort_implINS0_14default_configELb1EPKlPlSQ_SR_N2at6native12_GLOBAL__N_18offset_tEEE10hipError_tPvRmT1_PNSt15iterator_traitsISZ_E10value_typeET2_T3_PNS10_IS15_E10value_typeET4_jRbjT5_S1B_jjP12ihipStream_tbEUljE_ZNSN_ISO_Lb1ESQ_SR_SQ_SR_SV_EESW_SX_SY_SZ_S13_S14_S15_S18_S19_jS1A_jS1B_S1B_jjS1D_bEUljE0_EEESW_SX_SY_S15_S19_S1B_T6_T7_T9_mT8_S1D_bDpT10_ENKUlT_T0_E_clISt17integral_constantIbLb0EES1R_EEDaS1M_S1N_EUlS1M_E_NS1_11comp_targetILNS1_3genE8ELNS1_11target_archE1030ELNS1_3gpuE2ELNS1_3repE0EEENS1_30default_config_static_selectorELNS0_4arch9wavefront6targetE1EEEvSZ_
	.p2align	8
	.type	_ZN7rocprim17ROCPRIM_400000_NS6detail17trampoline_kernelINS0_13select_configILj256ELj13ELNS0_17block_load_methodE3ELS4_3ELS4_3ELNS0_20block_scan_algorithmE0ELj4294967295EEENS1_25partition_config_selectorILNS1_17partition_subalgoE4EjNS0_10empty_typeEbEEZZNS1_14partition_implILS8_4ELb0ES6_15HIP_vector_typeIjLj2EENS0_17counting_iteratorIjlEEPS9_SG_NS0_5tupleIJPjSI_NS0_16reverse_iteratorISI_EEEEENSH_IJSG_SG_SG_EEES9_SI_JZNS1_25segmented_radix_sort_implINS0_14default_configELb1EPKlPlSQ_SR_N2at6native12_GLOBAL__N_18offset_tEEE10hipError_tPvRmT1_PNSt15iterator_traitsISZ_E10value_typeET2_T3_PNS10_IS15_E10value_typeET4_jRbjT5_S1B_jjP12ihipStream_tbEUljE_ZNSN_ISO_Lb1ESQ_SR_SQ_SR_SV_EESW_SX_SY_SZ_S13_S14_S15_S18_S19_jS1A_jS1B_S1B_jjS1D_bEUljE0_EEESW_SX_SY_S15_S19_S1B_T6_T7_T9_mT8_S1D_bDpT10_ENKUlT_T0_E_clISt17integral_constantIbLb0EES1R_EEDaS1M_S1N_EUlS1M_E_NS1_11comp_targetILNS1_3genE8ELNS1_11target_archE1030ELNS1_3gpuE2ELNS1_3repE0EEENS1_30default_config_static_selectorELNS0_4arch9wavefront6targetE1EEEvSZ_,@function
_ZN7rocprim17ROCPRIM_400000_NS6detail17trampoline_kernelINS0_13select_configILj256ELj13ELNS0_17block_load_methodE3ELS4_3ELS4_3ELNS0_20block_scan_algorithmE0ELj4294967295EEENS1_25partition_config_selectorILNS1_17partition_subalgoE4EjNS0_10empty_typeEbEEZZNS1_14partition_implILS8_4ELb0ES6_15HIP_vector_typeIjLj2EENS0_17counting_iteratorIjlEEPS9_SG_NS0_5tupleIJPjSI_NS0_16reverse_iteratorISI_EEEEENSH_IJSG_SG_SG_EEES9_SI_JZNS1_25segmented_radix_sort_implINS0_14default_configELb1EPKlPlSQ_SR_N2at6native12_GLOBAL__N_18offset_tEEE10hipError_tPvRmT1_PNSt15iterator_traitsISZ_E10value_typeET2_T3_PNS10_IS15_E10value_typeET4_jRbjT5_S1B_jjP12ihipStream_tbEUljE_ZNSN_ISO_Lb1ESQ_SR_SQ_SR_SV_EESW_SX_SY_SZ_S13_S14_S15_S18_S19_jS1A_jS1B_S1B_jjS1D_bEUljE0_EEESW_SX_SY_S15_S19_S1B_T6_T7_T9_mT8_S1D_bDpT10_ENKUlT_T0_E_clISt17integral_constantIbLb0EES1R_EEDaS1M_S1N_EUlS1M_E_NS1_11comp_targetILNS1_3genE8ELNS1_11target_archE1030ELNS1_3gpuE2ELNS1_3repE0EEENS1_30default_config_static_selectorELNS0_4arch9wavefront6targetE1EEEvSZ_: ; @_ZN7rocprim17ROCPRIM_400000_NS6detail17trampoline_kernelINS0_13select_configILj256ELj13ELNS0_17block_load_methodE3ELS4_3ELS4_3ELNS0_20block_scan_algorithmE0ELj4294967295EEENS1_25partition_config_selectorILNS1_17partition_subalgoE4EjNS0_10empty_typeEbEEZZNS1_14partition_implILS8_4ELb0ES6_15HIP_vector_typeIjLj2EENS0_17counting_iteratorIjlEEPS9_SG_NS0_5tupleIJPjSI_NS0_16reverse_iteratorISI_EEEEENSH_IJSG_SG_SG_EEES9_SI_JZNS1_25segmented_radix_sort_implINS0_14default_configELb1EPKlPlSQ_SR_N2at6native12_GLOBAL__N_18offset_tEEE10hipError_tPvRmT1_PNSt15iterator_traitsISZ_E10value_typeET2_T3_PNS10_IS15_E10value_typeET4_jRbjT5_S1B_jjP12ihipStream_tbEUljE_ZNSN_ISO_Lb1ESQ_SR_SQ_SR_SV_EESW_SX_SY_SZ_S13_S14_S15_S18_S19_jS1A_jS1B_S1B_jjS1D_bEUljE0_EEESW_SX_SY_S15_S19_S1B_T6_T7_T9_mT8_S1D_bDpT10_ENKUlT_T0_E_clISt17integral_constantIbLb0EES1R_EEDaS1M_S1N_EUlS1M_E_NS1_11comp_targetILNS1_3genE8ELNS1_11target_archE1030ELNS1_3gpuE2ELNS1_3repE0EEENS1_30default_config_static_selectorELNS0_4arch9wavefront6targetE1EEEvSZ_
; %bb.0:
	.section	.rodata,"a",@progbits
	.p2align	6, 0x0
	.amdhsa_kernel _ZN7rocprim17ROCPRIM_400000_NS6detail17trampoline_kernelINS0_13select_configILj256ELj13ELNS0_17block_load_methodE3ELS4_3ELS4_3ELNS0_20block_scan_algorithmE0ELj4294967295EEENS1_25partition_config_selectorILNS1_17partition_subalgoE4EjNS0_10empty_typeEbEEZZNS1_14partition_implILS8_4ELb0ES6_15HIP_vector_typeIjLj2EENS0_17counting_iteratorIjlEEPS9_SG_NS0_5tupleIJPjSI_NS0_16reverse_iteratorISI_EEEEENSH_IJSG_SG_SG_EEES9_SI_JZNS1_25segmented_radix_sort_implINS0_14default_configELb1EPKlPlSQ_SR_N2at6native12_GLOBAL__N_18offset_tEEE10hipError_tPvRmT1_PNSt15iterator_traitsISZ_E10value_typeET2_T3_PNS10_IS15_E10value_typeET4_jRbjT5_S1B_jjP12ihipStream_tbEUljE_ZNSN_ISO_Lb1ESQ_SR_SQ_SR_SV_EESW_SX_SY_SZ_S13_S14_S15_S18_S19_jS1A_jS1B_S1B_jjS1D_bEUljE0_EEESW_SX_SY_S15_S19_S1B_T6_T7_T9_mT8_S1D_bDpT10_ENKUlT_T0_E_clISt17integral_constantIbLb0EES1R_EEDaS1M_S1N_EUlS1M_E_NS1_11comp_targetILNS1_3genE8ELNS1_11target_archE1030ELNS1_3gpuE2ELNS1_3repE0EEENS1_30default_config_static_selectorELNS0_4arch9wavefront6targetE1EEEvSZ_
		.amdhsa_group_segment_fixed_size 0
		.amdhsa_private_segment_fixed_size 0
		.amdhsa_kernarg_size 176
		.amdhsa_user_sgpr_count 6
		.amdhsa_user_sgpr_private_segment_buffer 1
		.amdhsa_user_sgpr_dispatch_ptr 0
		.amdhsa_user_sgpr_queue_ptr 0
		.amdhsa_user_sgpr_kernarg_segment_ptr 1
		.amdhsa_user_sgpr_dispatch_id 0
		.amdhsa_user_sgpr_flat_scratch_init 0
		.amdhsa_user_sgpr_private_segment_size 0
		.amdhsa_uses_dynamic_stack 0
		.amdhsa_system_sgpr_private_segment_wavefront_offset 0
		.amdhsa_system_sgpr_workgroup_id_x 1
		.amdhsa_system_sgpr_workgroup_id_y 0
		.amdhsa_system_sgpr_workgroup_id_z 0
		.amdhsa_system_sgpr_workgroup_info 0
		.amdhsa_system_vgpr_workitem_id 0
		.amdhsa_next_free_vgpr 1
		.amdhsa_next_free_sgpr 0
		.amdhsa_reserve_vcc 0
		.amdhsa_reserve_flat_scratch 0
		.amdhsa_float_round_mode_32 0
		.amdhsa_float_round_mode_16_64 0
		.amdhsa_float_denorm_mode_32 3
		.amdhsa_float_denorm_mode_16_64 3
		.amdhsa_dx10_clamp 1
		.amdhsa_ieee_mode 1
		.amdhsa_fp16_overflow 0
		.amdhsa_exception_fp_ieee_invalid_op 0
		.amdhsa_exception_fp_denorm_src 0
		.amdhsa_exception_fp_ieee_div_zero 0
		.amdhsa_exception_fp_ieee_overflow 0
		.amdhsa_exception_fp_ieee_underflow 0
		.amdhsa_exception_fp_ieee_inexact 0
		.amdhsa_exception_int_div_zero 0
	.end_amdhsa_kernel
	.section	.text._ZN7rocprim17ROCPRIM_400000_NS6detail17trampoline_kernelINS0_13select_configILj256ELj13ELNS0_17block_load_methodE3ELS4_3ELS4_3ELNS0_20block_scan_algorithmE0ELj4294967295EEENS1_25partition_config_selectorILNS1_17partition_subalgoE4EjNS0_10empty_typeEbEEZZNS1_14partition_implILS8_4ELb0ES6_15HIP_vector_typeIjLj2EENS0_17counting_iteratorIjlEEPS9_SG_NS0_5tupleIJPjSI_NS0_16reverse_iteratorISI_EEEEENSH_IJSG_SG_SG_EEES9_SI_JZNS1_25segmented_radix_sort_implINS0_14default_configELb1EPKlPlSQ_SR_N2at6native12_GLOBAL__N_18offset_tEEE10hipError_tPvRmT1_PNSt15iterator_traitsISZ_E10value_typeET2_T3_PNS10_IS15_E10value_typeET4_jRbjT5_S1B_jjP12ihipStream_tbEUljE_ZNSN_ISO_Lb1ESQ_SR_SQ_SR_SV_EESW_SX_SY_SZ_S13_S14_S15_S18_S19_jS1A_jS1B_S1B_jjS1D_bEUljE0_EEESW_SX_SY_S15_S19_S1B_T6_T7_T9_mT8_S1D_bDpT10_ENKUlT_T0_E_clISt17integral_constantIbLb0EES1R_EEDaS1M_S1N_EUlS1M_E_NS1_11comp_targetILNS1_3genE8ELNS1_11target_archE1030ELNS1_3gpuE2ELNS1_3repE0EEENS1_30default_config_static_selectorELNS0_4arch9wavefront6targetE1EEEvSZ_,"axG",@progbits,_ZN7rocprim17ROCPRIM_400000_NS6detail17trampoline_kernelINS0_13select_configILj256ELj13ELNS0_17block_load_methodE3ELS4_3ELS4_3ELNS0_20block_scan_algorithmE0ELj4294967295EEENS1_25partition_config_selectorILNS1_17partition_subalgoE4EjNS0_10empty_typeEbEEZZNS1_14partition_implILS8_4ELb0ES6_15HIP_vector_typeIjLj2EENS0_17counting_iteratorIjlEEPS9_SG_NS0_5tupleIJPjSI_NS0_16reverse_iteratorISI_EEEEENSH_IJSG_SG_SG_EEES9_SI_JZNS1_25segmented_radix_sort_implINS0_14default_configELb1EPKlPlSQ_SR_N2at6native12_GLOBAL__N_18offset_tEEE10hipError_tPvRmT1_PNSt15iterator_traitsISZ_E10value_typeET2_T3_PNS10_IS15_E10value_typeET4_jRbjT5_S1B_jjP12ihipStream_tbEUljE_ZNSN_ISO_Lb1ESQ_SR_SQ_SR_SV_EESW_SX_SY_SZ_S13_S14_S15_S18_S19_jS1A_jS1B_S1B_jjS1D_bEUljE0_EEESW_SX_SY_S15_S19_S1B_T6_T7_T9_mT8_S1D_bDpT10_ENKUlT_T0_E_clISt17integral_constantIbLb0EES1R_EEDaS1M_S1N_EUlS1M_E_NS1_11comp_targetILNS1_3genE8ELNS1_11target_archE1030ELNS1_3gpuE2ELNS1_3repE0EEENS1_30default_config_static_selectorELNS0_4arch9wavefront6targetE1EEEvSZ_,comdat
.Lfunc_end647:
	.size	_ZN7rocprim17ROCPRIM_400000_NS6detail17trampoline_kernelINS0_13select_configILj256ELj13ELNS0_17block_load_methodE3ELS4_3ELS4_3ELNS0_20block_scan_algorithmE0ELj4294967295EEENS1_25partition_config_selectorILNS1_17partition_subalgoE4EjNS0_10empty_typeEbEEZZNS1_14partition_implILS8_4ELb0ES6_15HIP_vector_typeIjLj2EENS0_17counting_iteratorIjlEEPS9_SG_NS0_5tupleIJPjSI_NS0_16reverse_iteratorISI_EEEEENSH_IJSG_SG_SG_EEES9_SI_JZNS1_25segmented_radix_sort_implINS0_14default_configELb1EPKlPlSQ_SR_N2at6native12_GLOBAL__N_18offset_tEEE10hipError_tPvRmT1_PNSt15iterator_traitsISZ_E10value_typeET2_T3_PNS10_IS15_E10value_typeET4_jRbjT5_S1B_jjP12ihipStream_tbEUljE_ZNSN_ISO_Lb1ESQ_SR_SQ_SR_SV_EESW_SX_SY_SZ_S13_S14_S15_S18_S19_jS1A_jS1B_S1B_jjS1D_bEUljE0_EEESW_SX_SY_S15_S19_S1B_T6_T7_T9_mT8_S1D_bDpT10_ENKUlT_T0_E_clISt17integral_constantIbLb0EES1R_EEDaS1M_S1N_EUlS1M_E_NS1_11comp_targetILNS1_3genE8ELNS1_11target_archE1030ELNS1_3gpuE2ELNS1_3repE0EEENS1_30default_config_static_selectorELNS0_4arch9wavefront6targetE1EEEvSZ_, .Lfunc_end647-_ZN7rocprim17ROCPRIM_400000_NS6detail17trampoline_kernelINS0_13select_configILj256ELj13ELNS0_17block_load_methodE3ELS4_3ELS4_3ELNS0_20block_scan_algorithmE0ELj4294967295EEENS1_25partition_config_selectorILNS1_17partition_subalgoE4EjNS0_10empty_typeEbEEZZNS1_14partition_implILS8_4ELb0ES6_15HIP_vector_typeIjLj2EENS0_17counting_iteratorIjlEEPS9_SG_NS0_5tupleIJPjSI_NS0_16reverse_iteratorISI_EEEEENSH_IJSG_SG_SG_EEES9_SI_JZNS1_25segmented_radix_sort_implINS0_14default_configELb1EPKlPlSQ_SR_N2at6native12_GLOBAL__N_18offset_tEEE10hipError_tPvRmT1_PNSt15iterator_traitsISZ_E10value_typeET2_T3_PNS10_IS15_E10value_typeET4_jRbjT5_S1B_jjP12ihipStream_tbEUljE_ZNSN_ISO_Lb1ESQ_SR_SQ_SR_SV_EESW_SX_SY_SZ_S13_S14_S15_S18_S19_jS1A_jS1B_S1B_jjS1D_bEUljE0_EEESW_SX_SY_S15_S19_S1B_T6_T7_T9_mT8_S1D_bDpT10_ENKUlT_T0_E_clISt17integral_constantIbLb0EES1R_EEDaS1M_S1N_EUlS1M_E_NS1_11comp_targetILNS1_3genE8ELNS1_11target_archE1030ELNS1_3gpuE2ELNS1_3repE0EEENS1_30default_config_static_selectorELNS0_4arch9wavefront6targetE1EEEvSZ_
                                        ; -- End function
	.set _ZN7rocprim17ROCPRIM_400000_NS6detail17trampoline_kernelINS0_13select_configILj256ELj13ELNS0_17block_load_methodE3ELS4_3ELS4_3ELNS0_20block_scan_algorithmE0ELj4294967295EEENS1_25partition_config_selectorILNS1_17partition_subalgoE4EjNS0_10empty_typeEbEEZZNS1_14partition_implILS8_4ELb0ES6_15HIP_vector_typeIjLj2EENS0_17counting_iteratorIjlEEPS9_SG_NS0_5tupleIJPjSI_NS0_16reverse_iteratorISI_EEEEENSH_IJSG_SG_SG_EEES9_SI_JZNS1_25segmented_radix_sort_implINS0_14default_configELb1EPKlPlSQ_SR_N2at6native12_GLOBAL__N_18offset_tEEE10hipError_tPvRmT1_PNSt15iterator_traitsISZ_E10value_typeET2_T3_PNS10_IS15_E10value_typeET4_jRbjT5_S1B_jjP12ihipStream_tbEUljE_ZNSN_ISO_Lb1ESQ_SR_SQ_SR_SV_EESW_SX_SY_SZ_S13_S14_S15_S18_S19_jS1A_jS1B_S1B_jjS1D_bEUljE0_EEESW_SX_SY_S15_S19_S1B_T6_T7_T9_mT8_S1D_bDpT10_ENKUlT_T0_E_clISt17integral_constantIbLb0EES1R_EEDaS1M_S1N_EUlS1M_E_NS1_11comp_targetILNS1_3genE8ELNS1_11target_archE1030ELNS1_3gpuE2ELNS1_3repE0EEENS1_30default_config_static_selectorELNS0_4arch9wavefront6targetE1EEEvSZ_.num_vgpr, 0
	.set _ZN7rocprim17ROCPRIM_400000_NS6detail17trampoline_kernelINS0_13select_configILj256ELj13ELNS0_17block_load_methodE3ELS4_3ELS4_3ELNS0_20block_scan_algorithmE0ELj4294967295EEENS1_25partition_config_selectorILNS1_17partition_subalgoE4EjNS0_10empty_typeEbEEZZNS1_14partition_implILS8_4ELb0ES6_15HIP_vector_typeIjLj2EENS0_17counting_iteratorIjlEEPS9_SG_NS0_5tupleIJPjSI_NS0_16reverse_iteratorISI_EEEEENSH_IJSG_SG_SG_EEES9_SI_JZNS1_25segmented_radix_sort_implINS0_14default_configELb1EPKlPlSQ_SR_N2at6native12_GLOBAL__N_18offset_tEEE10hipError_tPvRmT1_PNSt15iterator_traitsISZ_E10value_typeET2_T3_PNS10_IS15_E10value_typeET4_jRbjT5_S1B_jjP12ihipStream_tbEUljE_ZNSN_ISO_Lb1ESQ_SR_SQ_SR_SV_EESW_SX_SY_SZ_S13_S14_S15_S18_S19_jS1A_jS1B_S1B_jjS1D_bEUljE0_EEESW_SX_SY_S15_S19_S1B_T6_T7_T9_mT8_S1D_bDpT10_ENKUlT_T0_E_clISt17integral_constantIbLb0EES1R_EEDaS1M_S1N_EUlS1M_E_NS1_11comp_targetILNS1_3genE8ELNS1_11target_archE1030ELNS1_3gpuE2ELNS1_3repE0EEENS1_30default_config_static_selectorELNS0_4arch9wavefront6targetE1EEEvSZ_.num_agpr, 0
	.set _ZN7rocprim17ROCPRIM_400000_NS6detail17trampoline_kernelINS0_13select_configILj256ELj13ELNS0_17block_load_methodE3ELS4_3ELS4_3ELNS0_20block_scan_algorithmE0ELj4294967295EEENS1_25partition_config_selectorILNS1_17partition_subalgoE4EjNS0_10empty_typeEbEEZZNS1_14partition_implILS8_4ELb0ES6_15HIP_vector_typeIjLj2EENS0_17counting_iteratorIjlEEPS9_SG_NS0_5tupleIJPjSI_NS0_16reverse_iteratorISI_EEEEENSH_IJSG_SG_SG_EEES9_SI_JZNS1_25segmented_radix_sort_implINS0_14default_configELb1EPKlPlSQ_SR_N2at6native12_GLOBAL__N_18offset_tEEE10hipError_tPvRmT1_PNSt15iterator_traitsISZ_E10value_typeET2_T3_PNS10_IS15_E10value_typeET4_jRbjT5_S1B_jjP12ihipStream_tbEUljE_ZNSN_ISO_Lb1ESQ_SR_SQ_SR_SV_EESW_SX_SY_SZ_S13_S14_S15_S18_S19_jS1A_jS1B_S1B_jjS1D_bEUljE0_EEESW_SX_SY_S15_S19_S1B_T6_T7_T9_mT8_S1D_bDpT10_ENKUlT_T0_E_clISt17integral_constantIbLb0EES1R_EEDaS1M_S1N_EUlS1M_E_NS1_11comp_targetILNS1_3genE8ELNS1_11target_archE1030ELNS1_3gpuE2ELNS1_3repE0EEENS1_30default_config_static_selectorELNS0_4arch9wavefront6targetE1EEEvSZ_.numbered_sgpr, 0
	.set _ZN7rocprim17ROCPRIM_400000_NS6detail17trampoline_kernelINS0_13select_configILj256ELj13ELNS0_17block_load_methodE3ELS4_3ELS4_3ELNS0_20block_scan_algorithmE0ELj4294967295EEENS1_25partition_config_selectorILNS1_17partition_subalgoE4EjNS0_10empty_typeEbEEZZNS1_14partition_implILS8_4ELb0ES6_15HIP_vector_typeIjLj2EENS0_17counting_iteratorIjlEEPS9_SG_NS0_5tupleIJPjSI_NS0_16reverse_iteratorISI_EEEEENSH_IJSG_SG_SG_EEES9_SI_JZNS1_25segmented_radix_sort_implINS0_14default_configELb1EPKlPlSQ_SR_N2at6native12_GLOBAL__N_18offset_tEEE10hipError_tPvRmT1_PNSt15iterator_traitsISZ_E10value_typeET2_T3_PNS10_IS15_E10value_typeET4_jRbjT5_S1B_jjP12ihipStream_tbEUljE_ZNSN_ISO_Lb1ESQ_SR_SQ_SR_SV_EESW_SX_SY_SZ_S13_S14_S15_S18_S19_jS1A_jS1B_S1B_jjS1D_bEUljE0_EEESW_SX_SY_S15_S19_S1B_T6_T7_T9_mT8_S1D_bDpT10_ENKUlT_T0_E_clISt17integral_constantIbLb0EES1R_EEDaS1M_S1N_EUlS1M_E_NS1_11comp_targetILNS1_3genE8ELNS1_11target_archE1030ELNS1_3gpuE2ELNS1_3repE0EEENS1_30default_config_static_selectorELNS0_4arch9wavefront6targetE1EEEvSZ_.num_named_barrier, 0
	.set _ZN7rocprim17ROCPRIM_400000_NS6detail17trampoline_kernelINS0_13select_configILj256ELj13ELNS0_17block_load_methodE3ELS4_3ELS4_3ELNS0_20block_scan_algorithmE0ELj4294967295EEENS1_25partition_config_selectorILNS1_17partition_subalgoE4EjNS0_10empty_typeEbEEZZNS1_14partition_implILS8_4ELb0ES6_15HIP_vector_typeIjLj2EENS0_17counting_iteratorIjlEEPS9_SG_NS0_5tupleIJPjSI_NS0_16reverse_iteratorISI_EEEEENSH_IJSG_SG_SG_EEES9_SI_JZNS1_25segmented_radix_sort_implINS0_14default_configELb1EPKlPlSQ_SR_N2at6native12_GLOBAL__N_18offset_tEEE10hipError_tPvRmT1_PNSt15iterator_traitsISZ_E10value_typeET2_T3_PNS10_IS15_E10value_typeET4_jRbjT5_S1B_jjP12ihipStream_tbEUljE_ZNSN_ISO_Lb1ESQ_SR_SQ_SR_SV_EESW_SX_SY_SZ_S13_S14_S15_S18_S19_jS1A_jS1B_S1B_jjS1D_bEUljE0_EEESW_SX_SY_S15_S19_S1B_T6_T7_T9_mT8_S1D_bDpT10_ENKUlT_T0_E_clISt17integral_constantIbLb0EES1R_EEDaS1M_S1N_EUlS1M_E_NS1_11comp_targetILNS1_3genE8ELNS1_11target_archE1030ELNS1_3gpuE2ELNS1_3repE0EEENS1_30default_config_static_selectorELNS0_4arch9wavefront6targetE1EEEvSZ_.private_seg_size, 0
	.set _ZN7rocprim17ROCPRIM_400000_NS6detail17trampoline_kernelINS0_13select_configILj256ELj13ELNS0_17block_load_methodE3ELS4_3ELS4_3ELNS0_20block_scan_algorithmE0ELj4294967295EEENS1_25partition_config_selectorILNS1_17partition_subalgoE4EjNS0_10empty_typeEbEEZZNS1_14partition_implILS8_4ELb0ES6_15HIP_vector_typeIjLj2EENS0_17counting_iteratorIjlEEPS9_SG_NS0_5tupleIJPjSI_NS0_16reverse_iteratorISI_EEEEENSH_IJSG_SG_SG_EEES9_SI_JZNS1_25segmented_radix_sort_implINS0_14default_configELb1EPKlPlSQ_SR_N2at6native12_GLOBAL__N_18offset_tEEE10hipError_tPvRmT1_PNSt15iterator_traitsISZ_E10value_typeET2_T3_PNS10_IS15_E10value_typeET4_jRbjT5_S1B_jjP12ihipStream_tbEUljE_ZNSN_ISO_Lb1ESQ_SR_SQ_SR_SV_EESW_SX_SY_SZ_S13_S14_S15_S18_S19_jS1A_jS1B_S1B_jjS1D_bEUljE0_EEESW_SX_SY_S15_S19_S1B_T6_T7_T9_mT8_S1D_bDpT10_ENKUlT_T0_E_clISt17integral_constantIbLb0EES1R_EEDaS1M_S1N_EUlS1M_E_NS1_11comp_targetILNS1_3genE8ELNS1_11target_archE1030ELNS1_3gpuE2ELNS1_3repE0EEENS1_30default_config_static_selectorELNS0_4arch9wavefront6targetE1EEEvSZ_.uses_vcc, 0
	.set _ZN7rocprim17ROCPRIM_400000_NS6detail17trampoline_kernelINS0_13select_configILj256ELj13ELNS0_17block_load_methodE3ELS4_3ELS4_3ELNS0_20block_scan_algorithmE0ELj4294967295EEENS1_25partition_config_selectorILNS1_17partition_subalgoE4EjNS0_10empty_typeEbEEZZNS1_14partition_implILS8_4ELb0ES6_15HIP_vector_typeIjLj2EENS0_17counting_iteratorIjlEEPS9_SG_NS0_5tupleIJPjSI_NS0_16reverse_iteratorISI_EEEEENSH_IJSG_SG_SG_EEES9_SI_JZNS1_25segmented_radix_sort_implINS0_14default_configELb1EPKlPlSQ_SR_N2at6native12_GLOBAL__N_18offset_tEEE10hipError_tPvRmT1_PNSt15iterator_traitsISZ_E10value_typeET2_T3_PNS10_IS15_E10value_typeET4_jRbjT5_S1B_jjP12ihipStream_tbEUljE_ZNSN_ISO_Lb1ESQ_SR_SQ_SR_SV_EESW_SX_SY_SZ_S13_S14_S15_S18_S19_jS1A_jS1B_S1B_jjS1D_bEUljE0_EEESW_SX_SY_S15_S19_S1B_T6_T7_T9_mT8_S1D_bDpT10_ENKUlT_T0_E_clISt17integral_constantIbLb0EES1R_EEDaS1M_S1N_EUlS1M_E_NS1_11comp_targetILNS1_3genE8ELNS1_11target_archE1030ELNS1_3gpuE2ELNS1_3repE0EEENS1_30default_config_static_selectorELNS0_4arch9wavefront6targetE1EEEvSZ_.uses_flat_scratch, 0
	.set _ZN7rocprim17ROCPRIM_400000_NS6detail17trampoline_kernelINS0_13select_configILj256ELj13ELNS0_17block_load_methodE3ELS4_3ELS4_3ELNS0_20block_scan_algorithmE0ELj4294967295EEENS1_25partition_config_selectorILNS1_17partition_subalgoE4EjNS0_10empty_typeEbEEZZNS1_14partition_implILS8_4ELb0ES6_15HIP_vector_typeIjLj2EENS0_17counting_iteratorIjlEEPS9_SG_NS0_5tupleIJPjSI_NS0_16reverse_iteratorISI_EEEEENSH_IJSG_SG_SG_EEES9_SI_JZNS1_25segmented_radix_sort_implINS0_14default_configELb1EPKlPlSQ_SR_N2at6native12_GLOBAL__N_18offset_tEEE10hipError_tPvRmT1_PNSt15iterator_traitsISZ_E10value_typeET2_T3_PNS10_IS15_E10value_typeET4_jRbjT5_S1B_jjP12ihipStream_tbEUljE_ZNSN_ISO_Lb1ESQ_SR_SQ_SR_SV_EESW_SX_SY_SZ_S13_S14_S15_S18_S19_jS1A_jS1B_S1B_jjS1D_bEUljE0_EEESW_SX_SY_S15_S19_S1B_T6_T7_T9_mT8_S1D_bDpT10_ENKUlT_T0_E_clISt17integral_constantIbLb0EES1R_EEDaS1M_S1N_EUlS1M_E_NS1_11comp_targetILNS1_3genE8ELNS1_11target_archE1030ELNS1_3gpuE2ELNS1_3repE0EEENS1_30default_config_static_selectorELNS0_4arch9wavefront6targetE1EEEvSZ_.has_dyn_sized_stack, 0
	.set _ZN7rocprim17ROCPRIM_400000_NS6detail17trampoline_kernelINS0_13select_configILj256ELj13ELNS0_17block_load_methodE3ELS4_3ELS4_3ELNS0_20block_scan_algorithmE0ELj4294967295EEENS1_25partition_config_selectorILNS1_17partition_subalgoE4EjNS0_10empty_typeEbEEZZNS1_14partition_implILS8_4ELb0ES6_15HIP_vector_typeIjLj2EENS0_17counting_iteratorIjlEEPS9_SG_NS0_5tupleIJPjSI_NS0_16reverse_iteratorISI_EEEEENSH_IJSG_SG_SG_EEES9_SI_JZNS1_25segmented_radix_sort_implINS0_14default_configELb1EPKlPlSQ_SR_N2at6native12_GLOBAL__N_18offset_tEEE10hipError_tPvRmT1_PNSt15iterator_traitsISZ_E10value_typeET2_T3_PNS10_IS15_E10value_typeET4_jRbjT5_S1B_jjP12ihipStream_tbEUljE_ZNSN_ISO_Lb1ESQ_SR_SQ_SR_SV_EESW_SX_SY_SZ_S13_S14_S15_S18_S19_jS1A_jS1B_S1B_jjS1D_bEUljE0_EEESW_SX_SY_S15_S19_S1B_T6_T7_T9_mT8_S1D_bDpT10_ENKUlT_T0_E_clISt17integral_constantIbLb0EES1R_EEDaS1M_S1N_EUlS1M_E_NS1_11comp_targetILNS1_3genE8ELNS1_11target_archE1030ELNS1_3gpuE2ELNS1_3repE0EEENS1_30default_config_static_selectorELNS0_4arch9wavefront6targetE1EEEvSZ_.has_recursion, 0
	.set _ZN7rocprim17ROCPRIM_400000_NS6detail17trampoline_kernelINS0_13select_configILj256ELj13ELNS0_17block_load_methodE3ELS4_3ELS4_3ELNS0_20block_scan_algorithmE0ELj4294967295EEENS1_25partition_config_selectorILNS1_17partition_subalgoE4EjNS0_10empty_typeEbEEZZNS1_14partition_implILS8_4ELb0ES6_15HIP_vector_typeIjLj2EENS0_17counting_iteratorIjlEEPS9_SG_NS0_5tupleIJPjSI_NS0_16reverse_iteratorISI_EEEEENSH_IJSG_SG_SG_EEES9_SI_JZNS1_25segmented_radix_sort_implINS0_14default_configELb1EPKlPlSQ_SR_N2at6native12_GLOBAL__N_18offset_tEEE10hipError_tPvRmT1_PNSt15iterator_traitsISZ_E10value_typeET2_T3_PNS10_IS15_E10value_typeET4_jRbjT5_S1B_jjP12ihipStream_tbEUljE_ZNSN_ISO_Lb1ESQ_SR_SQ_SR_SV_EESW_SX_SY_SZ_S13_S14_S15_S18_S19_jS1A_jS1B_S1B_jjS1D_bEUljE0_EEESW_SX_SY_S15_S19_S1B_T6_T7_T9_mT8_S1D_bDpT10_ENKUlT_T0_E_clISt17integral_constantIbLb0EES1R_EEDaS1M_S1N_EUlS1M_E_NS1_11comp_targetILNS1_3genE8ELNS1_11target_archE1030ELNS1_3gpuE2ELNS1_3repE0EEENS1_30default_config_static_selectorELNS0_4arch9wavefront6targetE1EEEvSZ_.has_indirect_call, 0
	.section	.AMDGPU.csdata,"",@progbits
; Kernel info:
; codeLenInByte = 0
; TotalNumSgprs: 4
; NumVgprs: 0
; ScratchSize: 0
; MemoryBound: 0
; FloatMode: 240
; IeeeMode: 1
; LDSByteSize: 0 bytes/workgroup (compile time only)
; SGPRBlocks: 0
; VGPRBlocks: 0
; NumSGPRsForWavesPerEU: 4
; NumVGPRsForWavesPerEU: 1
; Occupancy: 10
; WaveLimiterHint : 0
; COMPUTE_PGM_RSRC2:SCRATCH_EN: 0
; COMPUTE_PGM_RSRC2:USER_SGPR: 6
; COMPUTE_PGM_RSRC2:TRAP_HANDLER: 0
; COMPUTE_PGM_RSRC2:TGID_X_EN: 1
; COMPUTE_PGM_RSRC2:TGID_Y_EN: 0
; COMPUTE_PGM_RSRC2:TGID_Z_EN: 0
; COMPUTE_PGM_RSRC2:TIDIG_COMP_CNT: 0
	.section	.text._ZN7rocprim17ROCPRIM_400000_NS6detail17trampoline_kernelINS0_13select_configILj256ELj13ELNS0_17block_load_methodE3ELS4_3ELS4_3ELNS0_20block_scan_algorithmE0ELj4294967295EEENS1_25partition_config_selectorILNS1_17partition_subalgoE4EjNS0_10empty_typeEbEEZZNS1_14partition_implILS8_4ELb0ES6_15HIP_vector_typeIjLj2EENS0_17counting_iteratorIjlEEPS9_SG_NS0_5tupleIJPjSI_NS0_16reverse_iteratorISI_EEEEENSH_IJSG_SG_SG_EEES9_SI_JZNS1_25segmented_radix_sort_implINS0_14default_configELb1EPKlPlSQ_SR_N2at6native12_GLOBAL__N_18offset_tEEE10hipError_tPvRmT1_PNSt15iterator_traitsISZ_E10value_typeET2_T3_PNS10_IS15_E10value_typeET4_jRbjT5_S1B_jjP12ihipStream_tbEUljE_ZNSN_ISO_Lb1ESQ_SR_SQ_SR_SV_EESW_SX_SY_SZ_S13_S14_S15_S18_S19_jS1A_jS1B_S1B_jjS1D_bEUljE0_EEESW_SX_SY_S15_S19_S1B_T6_T7_T9_mT8_S1D_bDpT10_ENKUlT_T0_E_clISt17integral_constantIbLb1EES1R_EEDaS1M_S1N_EUlS1M_E_NS1_11comp_targetILNS1_3genE0ELNS1_11target_archE4294967295ELNS1_3gpuE0ELNS1_3repE0EEENS1_30default_config_static_selectorELNS0_4arch9wavefront6targetE1EEEvSZ_,"axG",@progbits,_ZN7rocprim17ROCPRIM_400000_NS6detail17trampoline_kernelINS0_13select_configILj256ELj13ELNS0_17block_load_methodE3ELS4_3ELS4_3ELNS0_20block_scan_algorithmE0ELj4294967295EEENS1_25partition_config_selectorILNS1_17partition_subalgoE4EjNS0_10empty_typeEbEEZZNS1_14partition_implILS8_4ELb0ES6_15HIP_vector_typeIjLj2EENS0_17counting_iteratorIjlEEPS9_SG_NS0_5tupleIJPjSI_NS0_16reverse_iteratorISI_EEEEENSH_IJSG_SG_SG_EEES9_SI_JZNS1_25segmented_radix_sort_implINS0_14default_configELb1EPKlPlSQ_SR_N2at6native12_GLOBAL__N_18offset_tEEE10hipError_tPvRmT1_PNSt15iterator_traitsISZ_E10value_typeET2_T3_PNS10_IS15_E10value_typeET4_jRbjT5_S1B_jjP12ihipStream_tbEUljE_ZNSN_ISO_Lb1ESQ_SR_SQ_SR_SV_EESW_SX_SY_SZ_S13_S14_S15_S18_S19_jS1A_jS1B_S1B_jjS1D_bEUljE0_EEESW_SX_SY_S15_S19_S1B_T6_T7_T9_mT8_S1D_bDpT10_ENKUlT_T0_E_clISt17integral_constantIbLb1EES1R_EEDaS1M_S1N_EUlS1M_E_NS1_11comp_targetILNS1_3genE0ELNS1_11target_archE4294967295ELNS1_3gpuE0ELNS1_3repE0EEENS1_30default_config_static_selectorELNS0_4arch9wavefront6targetE1EEEvSZ_,comdat
	.globl	_ZN7rocprim17ROCPRIM_400000_NS6detail17trampoline_kernelINS0_13select_configILj256ELj13ELNS0_17block_load_methodE3ELS4_3ELS4_3ELNS0_20block_scan_algorithmE0ELj4294967295EEENS1_25partition_config_selectorILNS1_17partition_subalgoE4EjNS0_10empty_typeEbEEZZNS1_14partition_implILS8_4ELb0ES6_15HIP_vector_typeIjLj2EENS0_17counting_iteratorIjlEEPS9_SG_NS0_5tupleIJPjSI_NS0_16reverse_iteratorISI_EEEEENSH_IJSG_SG_SG_EEES9_SI_JZNS1_25segmented_radix_sort_implINS0_14default_configELb1EPKlPlSQ_SR_N2at6native12_GLOBAL__N_18offset_tEEE10hipError_tPvRmT1_PNSt15iterator_traitsISZ_E10value_typeET2_T3_PNS10_IS15_E10value_typeET4_jRbjT5_S1B_jjP12ihipStream_tbEUljE_ZNSN_ISO_Lb1ESQ_SR_SQ_SR_SV_EESW_SX_SY_SZ_S13_S14_S15_S18_S19_jS1A_jS1B_S1B_jjS1D_bEUljE0_EEESW_SX_SY_S15_S19_S1B_T6_T7_T9_mT8_S1D_bDpT10_ENKUlT_T0_E_clISt17integral_constantIbLb1EES1R_EEDaS1M_S1N_EUlS1M_E_NS1_11comp_targetILNS1_3genE0ELNS1_11target_archE4294967295ELNS1_3gpuE0ELNS1_3repE0EEENS1_30default_config_static_selectorELNS0_4arch9wavefront6targetE1EEEvSZ_ ; -- Begin function _ZN7rocprim17ROCPRIM_400000_NS6detail17trampoline_kernelINS0_13select_configILj256ELj13ELNS0_17block_load_methodE3ELS4_3ELS4_3ELNS0_20block_scan_algorithmE0ELj4294967295EEENS1_25partition_config_selectorILNS1_17partition_subalgoE4EjNS0_10empty_typeEbEEZZNS1_14partition_implILS8_4ELb0ES6_15HIP_vector_typeIjLj2EENS0_17counting_iteratorIjlEEPS9_SG_NS0_5tupleIJPjSI_NS0_16reverse_iteratorISI_EEEEENSH_IJSG_SG_SG_EEES9_SI_JZNS1_25segmented_radix_sort_implINS0_14default_configELb1EPKlPlSQ_SR_N2at6native12_GLOBAL__N_18offset_tEEE10hipError_tPvRmT1_PNSt15iterator_traitsISZ_E10value_typeET2_T3_PNS10_IS15_E10value_typeET4_jRbjT5_S1B_jjP12ihipStream_tbEUljE_ZNSN_ISO_Lb1ESQ_SR_SQ_SR_SV_EESW_SX_SY_SZ_S13_S14_S15_S18_S19_jS1A_jS1B_S1B_jjS1D_bEUljE0_EEESW_SX_SY_S15_S19_S1B_T6_T7_T9_mT8_S1D_bDpT10_ENKUlT_T0_E_clISt17integral_constantIbLb1EES1R_EEDaS1M_S1N_EUlS1M_E_NS1_11comp_targetILNS1_3genE0ELNS1_11target_archE4294967295ELNS1_3gpuE0ELNS1_3repE0EEENS1_30default_config_static_selectorELNS0_4arch9wavefront6targetE1EEEvSZ_
	.p2align	8
	.type	_ZN7rocprim17ROCPRIM_400000_NS6detail17trampoline_kernelINS0_13select_configILj256ELj13ELNS0_17block_load_methodE3ELS4_3ELS4_3ELNS0_20block_scan_algorithmE0ELj4294967295EEENS1_25partition_config_selectorILNS1_17partition_subalgoE4EjNS0_10empty_typeEbEEZZNS1_14partition_implILS8_4ELb0ES6_15HIP_vector_typeIjLj2EENS0_17counting_iteratorIjlEEPS9_SG_NS0_5tupleIJPjSI_NS0_16reverse_iteratorISI_EEEEENSH_IJSG_SG_SG_EEES9_SI_JZNS1_25segmented_radix_sort_implINS0_14default_configELb1EPKlPlSQ_SR_N2at6native12_GLOBAL__N_18offset_tEEE10hipError_tPvRmT1_PNSt15iterator_traitsISZ_E10value_typeET2_T3_PNS10_IS15_E10value_typeET4_jRbjT5_S1B_jjP12ihipStream_tbEUljE_ZNSN_ISO_Lb1ESQ_SR_SQ_SR_SV_EESW_SX_SY_SZ_S13_S14_S15_S18_S19_jS1A_jS1B_S1B_jjS1D_bEUljE0_EEESW_SX_SY_S15_S19_S1B_T6_T7_T9_mT8_S1D_bDpT10_ENKUlT_T0_E_clISt17integral_constantIbLb1EES1R_EEDaS1M_S1N_EUlS1M_E_NS1_11comp_targetILNS1_3genE0ELNS1_11target_archE4294967295ELNS1_3gpuE0ELNS1_3repE0EEENS1_30default_config_static_selectorELNS0_4arch9wavefront6targetE1EEEvSZ_,@function
_ZN7rocprim17ROCPRIM_400000_NS6detail17trampoline_kernelINS0_13select_configILj256ELj13ELNS0_17block_load_methodE3ELS4_3ELS4_3ELNS0_20block_scan_algorithmE0ELj4294967295EEENS1_25partition_config_selectorILNS1_17partition_subalgoE4EjNS0_10empty_typeEbEEZZNS1_14partition_implILS8_4ELb0ES6_15HIP_vector_typeIjLj2EENS0_17counting_iteratorIjlEEPS9_SG_NS0_5tupleIJPjSI_NS0_16reverse_iteratorISI_EEEEENSH_IJSG_SG_SG_EEES9_SI_JZNS1_25segmented_radix_sort_implINS0_14default_configELb1EPKlPlSQ_SR_N2at6native12_GLOBAL__N_18offset_tEEE10hipError_tPvRmT1_PNSt15iterator_traitsISZ_E10value_typeET2_T3_PNS10_IS15_E10value_typeET4_jRbjT5_S1B_jjP12ihipStream_tbEUljE_ZNSN_ISO_Lb1ESQ_SR_SQ_SR_SV_EESW_SX_SY_SZ_S13_S14_S15_S18_S19_jS1A_jS1B_S1B_jjS1D_bEUljE0_EEESW_SX_SY_S15_S19_S1B_T6_T7_T9_mT8_S1D_bDpT10_ENKUlT_T0_E_clISt17integral_constantIbLb1EES1R_EEDaS1M_S1N_EUlS1M_E_NS1_11comp_targetILNS1_3genE0ELNS1_11target_archE4294967295ELNS1_3gpuE0ELNS1_3repE0EEENS1_30default_config_static_selectorELNS0_4arch9wavefront6targetE1EEEvSZ_: ; @_ZN7rocprim17ROCPRIM_400000_NS6detail17trampoline_kernelINS0_13select_configILj256ELj13ELNS0_17block_load_methodE3ELS4_3ELS4_3ELNS0_20block_scan_algorithmE0ELj4294967295EEENS1_25partition_config_selectorILNS1_17partition_subalgoE4EjNS0_10empty_typeEbEEZZNS1_14partition_implILS8_4ELb0ES6_15HIP_vector_typeIjLj2EENS0_17counting_iteratorIjlEEPS9_SG_NS0_5tupleIJPjSI_NS0_16reverse_iteratorISI_EEEEENSH_IJSG_SG_SG_EEES9_SI_JZNS1_25segmented_radix_sort_implINS0_14default_configELb1EPKlPlSQ_SR_N2at6native12_GLOBAL__N_18offset_tEEE10hipError_tPvRmT1_PNSt15iterator_traitsISZ_E10value_typeET2_T3_PNS10_IS15_E10value_typeET4_jRbjT5_S1B_jjP12ihipStream_tbEUljE_ZNSN_ISO_Lb1ESQ_SR_SQ_SR_SV_EESW_SX_SY_SZ_S13_S14_S15_S18_S19_jS1A_jS1B_S1B_jjS1D_bEUljE0_EEESW_SX_SY_S15_S19_S1B_T6_T7_T9_mT8_S1D_bDpT10_ENKUlT_T0_E_clISt17integral_constantIbLb1EES1R_EEDaS1M_S1N_EUlS1M_E_NS1_11comp_targetILNS1_3genE0ELNS1_11target_archE4294967295ELNS1_3gpuE0ELNS1_3repE0EEENS1_30default_config_static_selectorELNS0_4arch9wavefront6targetE1EEEvSZ_
; %bb.0:
	.section	.rodata,"a",@progbits
	.p2align	6, 0x0
	.amdhsa_kernel _ZN7rocprim17ROCPRIM_400000_NS6detail17trampoline_kernelINS0_13select_configILj256ELj13ELNS0_17block_load_methodE3ELS4_3ELS4_3ELNS0_20block_scan_algorithmE0ELj4294967295EEENS1_25partition_config_selectorILNS1_17partition_subalgoE4EjNS0_10empty_typeEbEEZZNS1_14partition_implILS8_4ELb0ES6_15HIP_vector_typeIjLj2EENS0_17counting_iteratorIjlEEPS9_SG_NS0_5tupleIJPjSI_NS0_16reverse_iteratorISI_EEEEENSH_IJSG_SG_SG_EEES9_SI_JZNS1_25segmented_radix_sort_implINS0_14default_configELb1EPKlPlSQ_SR_N2at6native12_GLOBAL__N_18offset_tEEE10hipError_tPvRmT1_PNSt15iterator_traitsISZ_E10value_typeET2_T3_PNS10_IS15_E10value_typeET4_jRbjT5_S1B_jjP12ihipStream_tbEUljE_ZNSN_ISO_Lb1ESQ_SR_SQ_SR_SV_EESW_SX_SY_SZ_S13_S14_S15_S18_S19_jS1A_jS1B_S1B_jjS1D_bEUljE0_EEESW_SX_SY_S15_S19_S1B_T6_T7_T9_mT8_S1D_bDpT10_ENKUlT_T0_E_clISt17integral_constantIbLb1EES1R_EEDaS1M_S1N_EUlS1M_E_NS1_11comp_targetILNS1_3genE0ELNS1_11target_archE4294967295ELNS1_3gpuE0ELNS1_3repE0EEENS1_30default_config_static_selectorELNS0_4arch9wavefront6targetE1EEEvSZ_
		.amdhsa_group_segment_fixed_size 0
		.amdhsa_private_segment_fixed_size 0
		.amdhsa_kernarg_size 184
		.amdhsa_user_sgpr_count 6
		.amdhsa_user_sgpr_private_segment_buffer 1
		.amdhsa_user_sgpr_dispatch_ptr 0
		.amdhsa_user_sgpr_queue_ptr 0
		.amdhsa_user_sgpr_kernarg_segment_ptr 1
		.amdhsa_user_sgpr_dispatch_id 0
		.amdhsa_user_sgpr_flat_scratch_init 0
		.amdhsa_user_sgpr_private_segment_size 0
		.amdhsa_uses_dynamic_stack 0
		.amdhsa_system_sgpr_private_segment_wavefront_offset 0
		.amdhsa_system_sgpr_workgroup_id_x 1
		.amdhsa_system_sgpr_workgroup_id_y 0
		.amdhsa_system_sgpr_workgroup_id_z 0
		.amdhsa_system_sgpr_workgroup_info 0
		.amdhsa_system_vgpr_workitem_id 0
		.amdhsa_next_free_vgpr 1
		.amdhsa_next_free_sgpr 0
		.amdhsa_reserve_vcc 0
		.amdhsa_reserve_flat_scratch 0
		.amdhsa_float_round_mode_32 0
		.amdhsa_float_round_mode_16_64 0
		.amdhsa_float_denorm_mode_32 3
		.amdhsa_float_denorm_mode_16_64 3
		.amdhsa_dx10_clamp 1
		.amdhsa_ieee_mode 1
		.amdhsa_fp16_overflow 0
		.amdhsa_exception_fp_ieee_invalid_op 0
		.amdhsa_exception_fp_denorm_src 0
		.amdhsa_exception_fp_ieee_div_zero 0
		.amdhsa_exception_fp_ieee_overflow 0
		.amdhsa_exception_fp_ieee_underflow 0
		.amdhsa_exception_fp_ieee_inexact 0
		.amdhsa_exception_int_div_zero 0
	.end_amdhsa_kernel
	.section	.text._ZN7rocprim17ROCPRIM_400000_NS6detail17trampoline_kernelINS0_13select_configILj256ELj13ELNS0_17block_load_methodE3ELS4_3ELS4_3ELNS0_20block_scan_algorithmE0ELj4294967295EEENS1_25partition_config_selectorILNS1_17partition_subalgoE4EjNS0_10empty_typeEbEEZZNS1_14partition_implILS8_4ELb0ES6_15HIP_vector_typeIjLj2EENS0_17counting_iteratorIjlEEPS9_SG_NS0_5tupleIJPjSI_NS0_16reverse_iteratorISI_EEEEENSH_IJSG_SG_SG_EEES9_SI_JZNS1_25segmented_radix_sort_implINS0_14default_configELb1EPKlPlSQ_SR_N2at6native12_GLOBAL__N_18offset_tEEE10hipError_tPvRmT1_PNSt15iterator_traitsISZ_E10value_typeET2_T3_PNS10_IS15_E10value_typeET4_jRbjT5_S1B_jjP12ihipStream_tbEUljE_ZNSN_ISO_Lb1ESQ_SR_SQ_SR_SV_EESW_SX_SY_SZ_S13_S14_S15_S18_S19_jS1A_jS1B_S1B_jjS1D_bEUljE0_EEESW_SX_SY_S15_S19_S1B_T6_T7_T9_mT8_S1D_bDpT10_ENKUlT_T0_E_clISt17integral_constantIbLb1EES1R_EEDaS1M_S1N_EUlS1M_E_NS1_11comp_targetILNS1_3genE0ELNS1_11target_archE4294967295ELNS1_3gpuE0ELNS1_3repE0EEENS1_30default_config_static_selectorELNS0_4arch9wavefront6targetE1EEEvSZ_,"axG",@progbits,_ZN7rocprim17ROCPRIM_400000_NS6detail17trampoline_kernelINS0_13select_configILj256ELj13ELNS0_17block_load_methodE3ELS4_3ELS4_3ELNS0_20block_scan_algorithmE0ELj4294967295EEENS1_25partition_config_selectorILNS1_17partition_subalgoE4EjNS0_10empty_typeEbEEZZNS1_14partition_implILS8_4ELb0ES6_15HIP_vector_typeIjLj2EENS0_17counting_iteratorIjlEEPS9_SG_NS0_5tupleIJPjSI_NS0_16reverse_iteratorISI_EEEEENSH_IJSG_SG_SG_EEES9_SI_JZNS1_25segmented_radix_sort_implINS0_14default_configELb1EPKlPlSQ_SR_N2at6native12_GLOBAL__N_18offset_tEEE10hipError_tPvRmT1_PNSt15iterator_traitsISZ_E10value_typeET2_T3_PNS10_IS15_E10value_typeET4_jRbjT5_S1B_jjP12ihipStream_tbEUljE_ZNSN_ISO_Lb1ESQ_SR_SQ_SR_SV_EESW_SX_SY_SZ_S13_S14_S15_S18_S19_jS1A_jS1B_S1B_jjS1D_bEUljE0_EEESW_SX_SY_S15_S19_S1B_T6_T7_T9_mT8_S1D_bDpT10_ENKUlT_T0_E_clISt17integral_constantIbLb1EES1R_EEDaS1M_S1N_EUlS1M_E_NS1_11comp_targetILNS1_3genE0ELNS1_11target_archE4294967295ELNS1_3gpuE0ELNS1_3repE0EEENS1_30default_config_static_selectorELNS0_4arch9wavefront6targetE1EEEvSZ_,comdat
.Lfunc_end648:
	.size	_ZN7rocprim17ROCPRIM_400000_NS6detail17trampoline_kernelINS0_13select_configILj256ELj13ELNS0_17block_load_methodE3ELS4_3ELS4_3ELNS0_20block_scan_algorithmE0ELj4294967295EEENS1_25partition_config_selectorILNS1_17partition_subalgoE4EjNS0_10empty_typeEbEEZZNS1_14partition_implILS8_4ELb0ES6_15HIP_vector_typeIjLj2EENS0_17counting_iteratorIjlEEPS9_SG_NS0_5tupleIJPjSI_NS0_16reverse_iteratorISI_EEEEENSH_IJSG_SG_SG_EEES9_SI_JZNS1_25segmented_radix_sort_implINS0_14default_configELb1EPKlPlSQ_SR_N2at6native12_GLOBAL__N_18offset_tEEE10hipError_tPvRmT1_PNSt15iterator_traitsISZ_E10value_typeET2_T3_PNS10_IS15_E10value_typeET4_jRbjT5_S1B_jjP12ihipStream_tbEUljE_ZNSN_ISO_Lb1ESQ_SR_SQ_SR_SV_EESW_SX_SY_SZ_S13_S14_S15_S18_S19_jS1A_jS1B_S1B_jjS1D_bEUljE0_EEESW_SX_SY_S15_S19_S1B_T6_T7_T9_mT8_S1D_bDpT10_ENKUlT_T0_E_clISt17integral_constantIbLb1EES1R_EEDaS1M_S1N_EUlS1M_E_NS1_11comp_targetILNS1_3genE0ELNS1_11target_archE4294967295ELNS1_3gpuE0ELNS1_3repE0EEENS1_30default_config_static_selectorELNS0_4arch9wavefront6targetE1EEEvSZ_, .Lfunc_end648-_ZN7rocprim17ROCPRIM_400000_NS6detail17trampoline_kernelINS0_13select_configILj256ELj13ELNS0_17block_load_methodE3ELS4_3ELS4_3ELNS0_20block_scan_algorithmE0ELj4294967295EEENS1_25partition_config_selectorILNS1_17partition_subalgoE4EjNS0_10empty_typeEbEEZZNS1_14partition_implILS8_4ELb0ES6_15HIP_vector_typeIjLj2EENS0_17counting_iteratorIjlEEPS9_SG_NS0_5tupleIJPjSI_NS0_16reverse_iteratorISI_EEEEENSH_IJSG_SG_SG_EEES9_SI_JZNS1_25segmented_radix_sort_implINS0_14default_configELb1EPKlPlSQ_SR_N2at6native12_GLOBAL__N_18offset_tEEE10hipError_tPvRmT1_PNSt15iterator_traitsISZ_E10value_typeET2_T3_PNS10_IS15_E10value_typeET4_jRbjT5_S1B_jjP12ihipStream_tbEUljE_ZNSN_ISO_Lb1ESQ_SR_SQ_SR_SV_EESW_SX_SY_SZ_S13_S14_S15_S18_S19_jS1A_jS1B_S1B_jjS1D_bEUljE0_EEESW_SX_SY_S15_S19_S1B_T6_T7_T9_mT8_S1D_bDpT10_ENKUlT_T0_E_clISt17integral_constantIbLb1EES1R_EEDaS1M_S1N_EUlS1M_E_NS1_11comp_targetILNS1_3genE0ELNS1_11target_archE4294967295ELNS1_3gpuE0ELNS1_3repE0EEENS1_30default_config_static_selectorELNS0_4arch9wavefront6targetE1EEEvSZ_
                                        ; -- End function
	.set _ZN7rocprim17ROCPRIM_400000_NS6detail17trampoline_kernelINS0_13select_configILj256ELj13ELNS0_17block_load_methodE3ELS4_3ELS4_3ELNS0_20block_scan_algorithmE0ELj4294967295EEENS1_25partition_config_selectorILNS1_17partition_subalgoE4EjNS0_10empty_typeEbEEZZNS1_14partition_implILS8_4ELb0ES6_15HIP_vector_typeIjLj2EENS0_17counting_iteratorIjlEEPS9_SG_NS0_5tupleIJPjSI_NS0_16reverse_iteratorISI_EEEEENSH_IJSG_SG_SG_EEES9_SI_JZNS1_25segmented_radix_sort_implINS0_14default_configELb1EPKlPlSQ_SR_N2at6native12_GLOBAL__N_18offset_tEEE10hipError_tPvRmT1_PNSt15iterator_traitsISZ_E10value_typeET2_T3_PNS10_IS15_E10value_typeET4_jRbjT5_S1B_jjP12ihipStream_tbEUljE_ZNSN_ISO_Lb1ESQ_SR_SQ_SR_SV_EESW_SX_SY_SZ_S13_S14_S15_S18_S19_jS1A_jS1B_S1B_jjS1D_bEUljE0_EEESW_SX_SY_S15_S19_S1B_T6_T7_T9_mT8_S1D_bDpT10_ENKUlT_T0_E_clISt17integral_constantIbLb1EES1R_EEDaS1M_S1N_EUlS1M_E_NS1_11comp_targetILNS1_3genE0ELNS1_11target_archE4294967295ELNS1_3gpuE0ELNS1_3repE0EEENS1_30default_config_static_selectorELNS0_4arch9wavefront6targetE1EEEvSZ_.num_vgpr, 0
	.set _ZN7rocprim17ROCPRIM_400000_NS6detail17trampoline_kernelINS0_13select_configILj256ELj13ELNS0_17block_load_methodE3ELS4_3ELS4_3ELNS0_20block_scan_algorithmE0ELj4294967295EEENS1_25partition_config_selectorILNS1_17partition_subalgoE4EjNS0_10empty_typeEbEEZZNS1_14partition_implILS8_4ELb0ES6_15HIP_vector_typeIjLj2EENS0_17counting_iteratorIjlEEPS9_SG_NS0_5tupleIJPjSI_NS0_16reverse_iteratorISI_EEEEENSH_IJSG_SG_SG_EEES9_SI_JZNS1_25segmented_radix_sort_implINS0_14default_configELb1EPKlPlSQ_SR_N2at6native12_GLOBAL__N_18offset_tEEE10hipError_tPvRmT1_PNSt15iterator_traitsISZ_E10value_typeET2_T3_PNS10_IS15_E10value_typeET4_jRbjT5_S1B_jjP12ihipStream_tbEUljE_ZNSN_ISO_Lb1ESQ_SR_SQ_SR_SV_EESW_SX_SY_SZ_S13_S14_S15_S18_S19_jS1A_jS1B_S1B_jjS1D_bEUljE0_EEESW_SX_SY_S15_S19_S1B_T6_T7_T9_mT8_S1D_bDpT10_ENKUlT_T0_E_clISt17integral_constantIbLb1EES1R_EEDaS1M_S1N_EUlS1M_E_NS1_11comp_targetILNS1_3genE0ELNS1_11target_archE4294967295ELNS1_3gpuE0ELNS1_3repE0EEENS1_30default_config_static_selectorELNS0_4arch9wavefront6targetE1EEEvSZ_.num_agpr, 0
	.set _ZN7rocprim17ROCPRIM_400000_NS6detail17trampoline_kernelINS0_13select_configILj256ELj13ELNS0_17block_load_methodE3ELS4_3ELS4_3ELNS0_20block_scan_algorithmE0ELj4294967295EEENS1_25partition_config_selectorILNS1_17partition_subalgoE4EjNS0_10empty_typeEbEEZZNS1_14partition_implILS8_4ELb0ES6_15HIP_vector_typeIjLj2EENS0_17counting_iteratorIjlEEPS9_SG_NS0_5tupleIJPjSI_NS0_16reverse_iteratorISI_EEEEENSH_IJSG_SG_SG_EEES9_SI_JZNS1_25segmented_radix_sort_implINS0_14default_configELb1EPKlPlSQ_SR_N2at6native12_GLOBAL__N_18offset_tEEE10hipError_tPvRmT1_PNSt15iterator_traitsISZ_E10value_typeET2_T3_PNS10_IS15_E10value_typeET4_jRbjT5_S1B_jjP12ihipStream_tbEUljE_ZNSN_ISO_Lb1ESQ_SR_SQ_SR_SV_EESW_SX_SY_SZ_S13_S14_S15_S18_S19_jS1A_jS1B_S1B_jjS1D_bEUljE0_EEESW_SX_SY_S15_S19_S1B_T6_T7_T9_mT8_S1D_bDpT10_ENKUlT_T0_E_clISt17integral_constantIbLb1EES1R_EEDaS1M_S1N_EUlS1M_E_NS1_11comp_targetILNS1_3genE0ELNS1_11target_archE4294967295ELNS1_3gpuE0ELNS1_3repE0EEENS1_30default_config_static_selectorELNS0_4arch9wavefront6targetE1EEEvSZ_.numbered_sgpr, 0
	.set _ZN7rocprim17ROCPRIM_400000_NS6detail17trampoline_kernelINS0_13select_configILj256ELj13ELNS0_17block_load_methodE3ELS4_3ELS4_3ELNS0_20block_scan_algorithmE0ELj4294967295EEENS1_25partition_config_selectorILNS1_17partition_subalgoE4EjNS0_10empty_typeEbEEZZNS1_14partition_implILS8_4ELb0ES6_15HIP_vector_typeIjLj2EENS0_17counting_iteratorIjlEEPS9_SG_NS0_5tupleIJPjSI_NS0_16reverse_iteratorISI_EEEEENSH_IJSG_SG_SG_EEES9_SI_JZNS1_25segmented_radix_sort_implINS0_14default_configELb1EPKlPlSQ_SR_N2at6native12_GLOBAL__N_18offset_tEEE10hipError_tPvRmT1_PNSt15iterator_traitsISZ_E10value_typeET2_T3_PNS10_IS15_E10value_typeET4_jRbjT5_S1B_jjP12ihipStream_tbEUljE_ZNSN_ISO_Lb1ESQ_SR_SQ_SR_SV_EESW_SX_SY_SZ_S13_S14_S15_S18_S19_jS1A_jS1B_S1B_jjS1D_bEUljE0_EEESW_SX_SY_S15_S19_S1B_T6_T7_T9_mT8_S1D_bDpT10_ENKUlT_T0_E_clISt17integral_constantIbLb1EES1R_EEDaS1M_S1N_EUlS1M_E_NS1_11comp_targetILNS1_3genE0ELNS1_11target_archE4294967295ELNS1_3gpuE0ELNS1_3repE0EEENS1_30default_config_static_selectorELNS0_4arch9wavefront6targetE1EEEvSZ_.num_named_barrier, 0
	.set _ZN7rocprim17ROCPRIM_400000_NS6detail17trampoline_kernelINS0_13select_configILj256ELj13ELNS0_17block_load_methodE3ELS4_3ELS4_3ELNS0_20block_scan_algorithmE0ELj4294967295EEENS1_25partition_config_selectorILNS1_17partition_subalgoE4EjNS0_10empty_typeEbEEZZNS1_14partition_implILS8_4ELb0ES6_15HIP_vector_typeIjLj2EENS0_17counting_iteratorIjlEEPS9_SG_NS0_5tupleIJPjSI_NS0_16reverse_iteratorISI_EEEEENSH_IJSG_SG_SG_EEES9_SI_JZNS1_25segmented_radix_sort_implINS0_14default_configELb1EPKlPlSQ_SR_N2at6native12_GLOBAL__N_18offset_tEEE10hipError_tPvRmT1_PNSt15iterator_traitsISZ_E10value_typeET2_T3_PNS10_IS15_E10value_typeET4_jRbjT5_S1B_jjP12ihipStream_tbEUljE_ZNSN_ISO_Lb1ESQ_SR_SQ_SR_SV_EESW_SX_SY_SZ_S13_S14_S15_S18_S19_jS1A_jS1B_S1B_jjS1D_bEUljE0_EEESW_SX_SY_S15_S19_S1B_T6_T7_T9_mT8_S1D_bDpT10_ENKUlT_T0_E_clISt17integral_constantIbLb1EES1R_EEDaS1M_S1N_EUlS1M_E_NS1_11comp_targetILNS1_3genE0ELNS1_11target_archE4294967295ELNS1_3gpuE0ELNS1_3repE0EEENS1_30default_config_static_selectorELNS0_4arch9wavefront6targetE1EEEvSZ_.private_seg_size, 0
	.set _ZN7rocprim17ROCPRIM_400000_NS6detail17trampoline_kernelINS0_13select_configILj256ELj13ELNS0_17block_load_methodE3ELS4_3ELS4_3ELNS0_20block_scan_algorithmE0ELj4294967295EEENS1_25partition_config_selectorILNS1_17partition_subalgoE4EjNS0_10empty_typeEbEEZZNS1_14partition_implILS8_4ELb0ES6_15HIP_vector_typeIjLj2EENS0_17counting_iteratorIjlEEPS9_SG_NS0_5tupleIJPjSI_NS0_16reverse_iteratorISI_EEEEENSH_IJSG_SG_SG_EEES9_SI_JZNS1_25segmented_radix_sort_implINS0_14default_configELb1EPKlPlSQ_SR_N2at6native12_GLOBAL__N_18offset_tEEE10hipError_tPvRmT1_PNSt15iterator_traitsISZ_E10value_typeET2_T3_PNS10_IS15_E10value_typeET4_jRbjT5_S1B_jjP12ihipStream_tbEUljE_ZNSN_ISO_Lb1ESQ_SR_SQ_SR_SV_EESW_SX_SY_SZ_S13_S14_S15_S18_S19_jS1A_jS1B_S1B_jjS1D_bEUljE0_EEESW_SX_SY_S15_S19_S1B_T6_T7_T9_mT8_S1D_bDpT10_ENKUlT_T0_E_clISt17integral_constantIbLb1EES1R_EEDaS1M_S1N_EUlS1M_E_NS1_11comp_targetILNS1_3genE0ELNS1_11target_archE4294967295ELNS1_3gpuE0ELNS1_3repE0EEENS1_30default_config_static_selectorELNS0_4arch9wavefront6targetE1EEEvSZ_.uses_vcc, 0
	.set _ZN7rocprim17ROCPRIM_400000_NS6detail17trampoline_kernelINS0_13select_configILj256ELj13ELNS0_17block_load_methodE3ELS4_3ELS4_3ELNS0_20block_scan_algorithmE0ELj4294967295EEENS1_25partition_config_selectorILNS1_17partition_subalgoE4EjNS0_10empty_typeEbEEZZNS1_14partition_implILS8_4ELb0ES6_15HIP_vector_typeIjLj2EENS0_17counting_iteratorIjlEEPS9_SG_NS0_5tupleIJPjSI_NS0_16reverse_iteratorISI_EEEEENSH_IJSG_SG_SG_EEES9_SI_JZNS1_25segmented_radix_sort_implINS0_14default_configELb1EPKlPlSQ_SR_N2at6native12_GLOBAL__N_18offset_tEEE10hipError_tPvRmT1_PNSt15iterator_traitsISZ_E10value_typeET2_T3_PNS10_IS15_E10value_typeET4_jRbjT5_S1B_jjP12ihipStream_tbEUljE_ZNSN_ISO_Lb1ESQ_SR_SQ_SR_SV_EESW_SX_SY_SZ_S13_S14_S15_S18_S19_jS1A_jS1B_S1B_jjS1D_bEUljE0_EEESW_SX_SY_S15_S19_S1B_T6_T7_T9_mT8_S1D_bDpT10_ENKUlT_T0_E_clISt17integral_constantIbLb1EES1R_EEDaS1M_S1N_EUlS1M_E_NS1_11comp_targetILNS1_3genE0ELNS1_11target_archE4294967295ELNS1_3gpuE0ELNS1_3repE0EEENS1_30default_config_static_selectorELNS0_4arch9wavefront6targetE1EEEvSZ_.uses_flat_scratch, 0
	.set _ZN7rocprim17ROCPRIM_400000_NS6detail17trampoline_kernelINS0_13select_configILj256ELj13ELNS0_17block_load_methodE3ELS4_3ELS4_3ELNS0_20block_scan_algorithmE0ELj4294967295EEENS1_25partition_config_selectorILNS1_17partition_subalgoE4EjNS0_10empty_typeEbEEZZNS1_14partition_implILS8_4ELb0ES6_15HIP_vector_typeIjLj2EENS0_17counting_iteratorIjlEEPS9_SG_NS0_5tupleIJPjSI_NS0_16reverse_iteratorISI_EEEEENSH_IJSG_SG_SG_EEES9_SI_JZNS1_25segmented_radix_sort_implINS0_14default_configELb1EPKlPlSQ_SR_N2at6native12_GLOBAL__N_18offset_tEEE10hipError_tPvRmT1_PNSt15iterator_traitsISZ_E10value_typeET2_T3_PNS10_IS15_E10value_typeET4_jRbjT5_S1B_jjP12ihipStream_tbEUljE_ZNSN_ISO_Lb1ESQ_SR_SQ_SR_SV_EESW_SX_SY_SZ_S13_S14_S15_S18_S19_jS1A_jS1B_S1B_jjS1D_bEUljE0_EEESW_SX_SY_S15_S19_S1B_T6_T7_T9_mT8_S1D_bDpT10_ENKUlT_T0_E_clISt17integral_constantIbLb1EES1R_EEDaS1M_S1N_EUlS1M_E_NS1_11comp_targetILNS1_3genE0ELNS1_11target_archE4294967295ELNS1_3gpuE0ELNS1_3repE0EEENS1_30default_config_static_selectorELNS0_4arch9wavefront6targetE1EEEvSZ_.has_dyn_sized_stack, 0
	.set _ZN7rocprim17ROCPRIM_400000_NS6detail17trampoline_kernelINS0_13select_configILj256ELj13ELNS0_17block_load_methodE3ELS4_3ELS4_3ELNS0_20block_scan_algorithmE0ELj4294967295EEENS1_25partition_config_selectorILNS1_17partition_subalgoE4EjNS0_10empty_typeEbEEZZNS1_14partition_implILS8_4ELb0ES6_15HIP_vector_typeIjLj2EENS0_17counting_iteratorIjlEEPS9_SG_NS0_5tupleIJPjSI_NS0_16reverse_iteratorISI_EEEEENSH_IJSG_SG_SG_EEES9_SI_JZNS1_25segmented_radix_sort_implINS0_14default_configELb1EPKlPlSQ_SR_N2at6native12_GLOBAL__N_18offset_tEEE10hipError_tPvRmT1_PNSt15iterator_traitsISZ_E10value_typeET2_T3_PNS10_IS15_E10value_typeET4_jRbjT5_S1B_jjP12ihipStream_tbEUljE_ZNSN_ISO_Lb1ESQ_SR_SQ_SR_SV_EESW_SX_SY_SZ_S13_S14_S15_S18_S19_jS1A_jS1B_S1B_jjS1D_bEUljE0_EEESW_SX_SY_S15_S19_S1B_T6_T7_T9_mT8_S1D_bDpT10_ENKUlT_T0_E_clISt17integral_constantIbLb1EES1R_EEDaS1M_S1N_EUlS1M_E_NS1_11comp_targetILNS1_3genE0ELNS1_11target_archE4294967295ELNS1_3gpuE0ELNS1_3repE0EEENS1_30default_config_static_selectorELNS0_4arch9wavefront6targetE1EEEvSZ_.has_recursion, 0
	.set _ZN7rocprim17ROCPRIM_400000_NS6detail17trampoline_kernelINS0_13select_configILj256ELj13ELNS0_17block_load_methodE3ELS4_3ELS4_3ELNS0_20block_scan_algorithmE0ELj4294967295EEENS1_25partition_config_selectorILNS1_17partition_subalgoE4EjNS0_10empty_typeEbEEZZNS1_14partition_implILS8_4ELb0ES6_15HIP_vector_typeIjLj2EENS0_17counting_iteratorIjlEEPS9_SG_NS0_5tupleIJPjSI_NS0_16reverse_iteratorISI_EEEEENSH_IJSG_SG_SG_EEES9_SI_JZNS1_25segmented_radix_sort_implINS0_14default_configELb1EPKlPlSQ_SR_N2at6native12_GLOBAL__N_18offset_tEEE10hipError_tPvRmT1_PNSt15iterator_traitsISZ_E10value_typeET2_T3_PNS10_IS15_E10value_typeET4_jRbjT5_S1B_jjP12ihipStream_tbEUljE_ZNSN_ISO_Lb1ESQ_SR_SQ_SR_SV_EESW_SX_SY_SZ_S13_S14_S15_S18_S19_jS1A_jS1B_S1B_jjS1D_bEUljE0_EEESW_SX_SY_S15_S19_S1B_T6_T7_T9_mT8_S1D_bDpT10_ENKUlT_T0_E_clISt17integral_constantIbLb1EES1R_EEDaS1M_S1N_EUlS1M_E_NS1_11comp_targetILNS1_3genE0ELNS1_11target_archE4294967295ELNS1_3gpuE0ELNS1_3repE0EEENS1_30default_config_static_selectorELNS0_4arch9wavefront6targetE1EEEvSZ_.has_indirect_call, 0
	.section	.AMDGPU.csdata,"",@progbits
; Kernel info:
; codeLenInByte = 0
; TotalNumSgprs: 4
; NumVgprs: 0
; ScratchSize: 0
; MemoryBound: 0
; FloatMode: 240
; IeeeMode: 1
; LDSByteSize: 0 bytes/workgroup (compile time only)
; SGPRBlocks: 0
; VGPRBlocks: 0
; NumSGPRsForWavesPerEU: 4
; NumVGPRsForWavesPerEU: 1
; Occupancy: 10
; WaveLimiterHint : 0
; COMPUTE_PGM_RSRC2:SCRATCH_EN: 0
; COMPUTE_PGM_RSRC2:USER_SGPR: 6
; COMPUTE_PGM_RSRC2:TRAP_HANDLER: 0
; COMPUTE_PGM_RSRC2:TGID_X_EN: 1
; COMPUTE_PGM_RSRC2:TGID_Y_EN: 0
; COMPUTE_PGM_RSRC2:TGID_Z_EN: 0
; COMPUTE_PGM_RSRC2:TIDIG_COMP_CNT: 0
	.section	.text._ZN7rocprim17ROCPRIM_400000_NS6detail17trampoline_kernelINS0_13select_configILj256ELj13ELNS0_17block_load_methodE3ELS4_3ELS4_3ELNS0_20block_scan_algorithmE0ELj4294967295EEENS1_25partition_config_selectorILNS1_17partition_subalgoE4EjNS0_10empty_typeEbEEZZNS1_14partition_implILS8_4ELb0ES6_15HIP_vector_typeIjLj2EENS0_17counting_iteratorIjlEEPS9_SG_NS0_5tupleIJPjSI_NS0_16reverse_iteratorISI_EEEEENSH_IJSG_SG_SG_EEES9_SI_JZNS1_25segmented_radix_sort_implINS0_14default_configELb1EPKlPlSQ_SR_N2at6native12_GLOBAL__N_18offset_tEEE10hipError_tPvRmT1_PNSt15iterator_traitsISZ_E10value_typeET2_T3_PNS10_IS15_E10value_typeET4_jRbjT5_S1B_jjP12ihipStream_tbEUljE_ZNSN_ISO_Lb1ESQ_SR_SQ_SR_SV_EESW_SX_SY_SZ_S13_S14_S15_S18_S19_jS1A_jS1B_S1B_jjS1D_bEUljE0_EEESW_SX_SY_S15_S19_S1B_T6_T7_T9_mT8_S1D_bDpT10_ENKUlT_T0_E_clISt17integral_constantIbLb1EES1R_EEDaS1M_S1N_EUlS1M_E_NS1_11comp_targetILNS1_3genE5ELNS1_11target_archE942ELNS1_3gpuE9ELNS1_3repE0EEENS1_30default_config_static_selectorELNS0_4arch9wavefront6targetE1EEEvSZ_,"axG",@progbits,_ZN7rocprim17ROCPRIM_400000_NS6detail17trampoline_kernelINS0_13select_configILj256ELj13ELNS0_17block_load_methodE3ELS4_3ELS4_3ELNS0_20block_scan_algorithmE0ELj4294967295EEENS1_25partition_config_selectorILNS1_17partition_subalgoE4EjNS0_10empty_typeEbEEZZNS1_14partition_implILS8_4ELb0ES6_15HIP_vector_typeIjLj2EENS0_17counting_iteratorIjlEEPS9_SG_NS0_5tupleIJPjSI_NS0_16reverse_iteratorISI_EEEEENSH_IJSG_SG_SG_EEES9_SI_JZNS1_25segmented_radix_sort_implINS0_14default_configELb1EPKlPlSQ_SR_N2at6native12_GLOBAL__N_18offset_tEEE10hipError_tPvRmT1_PNSt15iterator_traitsISZ_E10value_typeET2_T3_PNS10_IS15_E10value_typeET4_jRbjT5_S1B_jjP12ihipStream_tbEUljE_ZNSN_ISO_Lb1ESQ_SR_SQ_SR_SV_EESW_SX_SY_SZ_S13_S14_S15_S18_S19_jS1A_jS1B_S1B_jjS1D_bEUljE0_EEESW_SX_SY_S15_S19_S1B_T6_T7_T9_mT8_S1D_bDpT10_ENKUlT_T0_E_clISt17integral_constantIbLb1EES1R_EEDaS1M_S1N_EUlS1M_E_NS1_11comp_targetILNS1_3genE5ELNS1_11target_archE942ELNS1_3gpuE9ELNS1_3repE0EEENS1_30default_config_static_selectorELNS0_4arch9wavefront6targetE1EEEvSZ_,comdat
	.globl	_ZN7rocprim17ROCPRIM_400000_NS6detail17trampoline_kernelINS0_13select_configILj256ELj13ELNS0_17block_load_methodE3ELS4_3ELS4_3ELNS0_20block_scan_algorithmE0ELj4294967295EEENS1_25partition_config_selectorILNS1_17partition_subalgoE4EjNS0_10empty_typeEbEEZZNS1_14partition_implILS8_4ELb0ES6_15HIP_vector_typeIjLj2EENS0_17counting_iteratorIjlEEPS9_SG_NS0_5tupleIJPjSI_NS0_16reverse_iteratorISI_EEEEENSH_IJSG_SG_SG_EEES9_SI_JZNS1_25segmented_radix_sort_implINS0_14default_configELb1EPKlPlSQ_SR_N2at6native12_GLOBAL__N_18offset_tEEE10hipError_tPvRmT1_PNSt15iterator_traitsISZ_E10value_typeET2_T3_PNS10_IS15_E10value_typeET4_jRbjT5_S1B_jjP12ihipStream_tbEUljE_ZNSN_ISO_Lb1ESQ_SR_SQ_SR_SV_EESW_SX_SY_SZ_S13_S14_S15_S18_S19_jS1A_jS1B_S1B_jjS1D_bEUljE0_EEESW_SX_SY_S15_S19_S1B_T6_T7_T9_mT8_S1D_bDpT10_ENKUlT_T0_E_clISt17integral_constantIbLb1EES1R_EEDaS1M_S1N_EUlS1M_E_NS1_11comp_targetILNS1_3genE5ELNS1_11target_archE942ELNS1_3gpuE9ELNS1_3repE0EEENS1_30default_config_static_selectorELNS0_4arch9wavefront6targetE1EEEvSZ_ ; -- Begin function _ZN7rocprim17ROCPRIM_400000_NS6detail17trampoline_kernelINS0_13select_configILj256ELj13ELNS0_17block_load_methodE3ELS4_3ELS4_3ELNS0_20block_scan_algorithmE0ELj4294967295EEENS1_25partition_config_selectorILNS1_17partition_subalgoE4EjNS0_10empty_typeEbEEZZNS1_14partition_implILS8_4ELb0ES6_15HIP_vector_typeIjLj2EENS0_17counting_iteratorIjlEEPS9_SG_NS0_5tupleIJPjSI_NS0_16reverse_iteratorISI_EEEEENSH_IJSG_SG_SG_EEES9_SI_JZNS1_25segmented_radix_sort_implINS0_14default_configELb1EPKlPlSQ_SR_N2at6native12_GLOBAL__N_18offset_tEEE10hipError_tPvRmT1_PNSt15iterator_traitsISZ_E10value_typeET2_T3_PNS10_IS15_E10value_typeET4_jRbjT5_S1B_jjP12ihipStream_tbEUljE_ZNSN_ISO_Lb1ESQ_SR_SQ_SR_SV_EESW_SX_SY_SZ_S13_S14_S15_S18_S19_jS1A_jS1B_S1B_jjS1D_bEUljE0_EEESW_SX_SY_S15_S19_S1B_T6_T7_T9_mT8_S1D_bDpT10_ENKUlT_T0_E_clISt17integral_constantIbLb1EES1R_EEDaS1M_S1N_EUlS1M_E_NS1_11comp_targetILNS1_3genE5ELNS1_11target_archE942ELNS1_3gpuE9ELNS1_3repE0EEENS1_30default_config_static_selectorELNS0_4arch9wavefront6targetE1EEEvSZ_
	.p2align	8
	.type	_ZN7rocprim17ROCPRIM_400000_NS6detail17trampoline_kernelINS0_13select_configILj256ELj13ELNS0_17block_load_methodE3ELS4_3ELS4_3ELNS0_20block_scan_algorithmE0ELj4294967295EEENS1_25partition_config_selectorILNS1_17partition_subalgoE4EjNS0_10empty_typeEbEEZZNS1_14partition_implILS8_4ELb0ES6_15HIP_vector_typeIjLj2EENS0_17counting_iteratorIjlEEPS9_SG_NS0_5tupleIJPjSI_NS0_16reverse_iteratorISI_EEEEENSH_IJSG_SG_SG_EEES9_SI_JZNS1_25segmented_radix_sort_implINS0_14default_configELb1EPKlPlSQ_SR_N2at6native12_GLOBAL__N_18offset_tEEE10hipError_tPvRmT1_PNSt15iterator_traitsISZ_E10value_typeET2_T3_PNS10_IS15_E10value_typeET4_jRbjT5_S1B_jjP12ihipStream_tbEUljE_ZNSN_ISO_Lb1ESQ_SR_SQ_SR_SV_EESW_SX_SY_SZ_S13_S14_S15_S18_S19_jS1A_jS1B_S1B_jjS1D_bEUljE0_EEESW_SX_SY_S15_S19_S1B_T6_T7_T9_mT8_S1D_bDpT10_ENKUlT_T0_E_clISt17integral_constantIbLb1EES1R_EEDaS1M_S1N_EUlS1M_E_NS1_11comp_targetILNS1_3genE5ELNS1_11target_archE942ELNS1_3gpuE9ELNS1_3repE0EEENS1_30default_config_static_selectorELNS0_4arch9wavefront6targetE1EEEvSZ_,@function
_ZN7rocprim17ROCPRIM_400000_NS6detail17trampoline_kernelINS0_13select_configILj256ELj13ELNS0_17block_load_methodE3ELS4_3ELS4_3ELNS0_20block_scan_algorithmE0ELj4294967295EEENS1_25partition_config_selectorILNS1_17partition_subalgoE4EjNS0_10empty_typeEbEEZZNS1_14partition_implILS8_4ELb0ES6_15HIP_vector_typeIjLj2EENS0_17counting_iteratorIjlEEPS9_SG_NS0_5tupleIJPjSI_NS0_16reverse_iteratorISI_EEEEENSH_IJSG_SG_SG_EEES9_SI_JZNS1_25segmented_radix_sort_implINS0_14default_configELb1EPKlPlSQ_SR_N2at6native12_GLOBAL__N_18offset_tEEE10hipError_tPvRmT1_PNSt15iterator_traitsISZ_E10value_typeET2_T3_PNS10_IS15_E10value_typeET4_jRbjT5_S1B_jjP12ihipStream_tbEUljE_ZNSN_ISO_Lb1ESQ_SR_SQ_SR_SV_EESW_SX_SY_SZ_S13_S14_S15_S18_S19_jS1A_jS1B_S1B_jjS1D_bEUljE0_EEESW_SX_SY_S15_S19_S1B_T6_T7_T9_mT8_S1D_bDpT10_ENKUlT_T0_E_clISt17integral_constantIbLb1EES1R_EEDaS1M_S1N_EUlS1M_E_NS1_11comp_targetILNS1_3genE5ELNS1_11target_archE942ELNS1_3gpuE9ELNS1_3repE0EEENS1_30default_config_static_selectorELNS0_4arch9wavefront6targetE1EEEvSZ_: ; @_ZN7rocprim17ROCPRIM_400000_NS6detail17trampoline_kernelINS0_13select_configILj256ELj13ELNS0_17block_load_methodE3ELS4_3ELS4_3ELNS0_20block_scan_algorithmE0ELj4294967295EEENS1_25partition_config_selectorILNS1_17partition_subalgoE4EjNS0_10empty_typeEbEEZZNS1_14partition_implILS8_4ELb0ES6_15HIP_vector_typeIjLj2EENS0_17counting_iteratorIjlEEPS9_SG_NS0_5tupleIJPjSI_NS0_16reverse_iteratorISI_EEEEENSH_IJSG_SG_SG_EEES9_SI_JZNS1_25segmented_radix_sort_implINS0_14default_configELb1EPKlPlSQ_SR_N2at6native12_GLOBAL__N_18offset_tEEE10hipError_tPvRmT1_PNSt15iterator_traitsISZ_E10value_typeET2_T3_PNS10_IS15_E10value_typeET4_jRbjT5_S1B_jjP12ihipStream_tbEUljE_ZNSN_ISO_Lb1ESQ_SR_SQ_SR_SV_EESW_SX_SY_SZ_S13_S14_S15_S18_S19_jS1A_jS1B_S1B_jjS1D_bEUljE0_EEESW_SX_SY_S15_S19_S1B_T6_T7_T9_mT8_S1D_bDpT10_ENKUlT_T0_E_clISt17integral_constantIbLb1EES1R_EEDaS1M_S1N_EUlS1M_E_NS1_11comp_targetILNS1_3genE5ELNS1_11target_archE942ELNS1_3gpuE9ELNS1_3repE0EEENS1_30default_config_static_selectorELNS0_4arch9wavefront6targetE1EEEvSZ_
; %bb.0:
	.section	.rodata,"a",@progbits
	.p2align	6, 0x0
	.amdhsa_kernel _ZN7rocprim17ROCPRIM_400000_NS6detail17trampoline_kernelINS0_13select_configILj256ELj13ELNS0_17block_load_methodE3ELS4_3ELS4_3ELNS0_20block_scan_algorithmE0ELj4294967295EEENS1_25partition_config_selectorILNS1_17partition_subalgoE4EjNS0_10empty_typeEbEEZZNS1_14partition_implILS8_4ELb0ES6_15HIP_vector_typeIjLj2EENS0_17counting_iteratorIjlEEPS9_SG_NS0_5tupleIJPjSI_NS0_16reverse_iteratorISI_EEEEENSH_IJSG_SG_SG_EEES9_SI_JZNS1_25segmented_radix_sort_implINS0_14default_configELb1EPKlPlSQ_SR_N2at6native12_GLOBAL__N_18offset_tEEE10hipError_tPvRmT1_PNSt15iterator_traitsISZ_E10value_typeET2_T3_PNS10_IS15_E10value_typeET4_jRbjT5_S1B_jjP12ihipStream_tbEUljE_ZNSN_ISO_Lb1ESQ_SR_SQ_SR_SV_EESW_SX_SY_SZ_S13_S14_S15_S18_S19_jS1A_jS1B_S1B_jjS1D_bEUljE0_EEESW_SX_SY_S15_S19_S1B_T6_T7_T9_mT8_S1D_bDpT10_ENKUlT_T0_E_clISt17integral_constantIbLb1EES1R_EEDaS1M_S1N_EUlS1M_E_NS1_11comp_targetILNS1_3genE5ELNS1_11target_archE942ELNS1_3gpuE9ELNS1_3repE0EEENS1_30default_config_static_selectorELNS0_4arch9wavefront6targetE1EEEvSZ_
		.amdhsa_group_segment_fixed_size 0
		.amdhsa_private_segment_fixed_size 0
		.amdhsa_kernarg_size 184
		.amdhsa_user_sgpr_count 6
		.amdhsa_user_sgpr_private_segment_buffer 1
		.amdhsa_user_sgpr_dispatch_ptr 0
		.amdhsa_user_sgpr_queue_ptr 0
		.amdhsa_user_sgpr_kernarg_segment_ptr 1
		.amdhsa_user_sgpr_dispatch_id 0
		.amdhsa_user_sgpr_flat_scratch_init 0
		.amdhsa_user_sgpr_private_segment_size 0
		.amdhsa_uses_dynamic_stack 0
		.amdhsa_system_sgpr_private_segment_wavefront_offset 0
		.amdhsa_system_sgpr_workgroup_id_x 1
		.amdhsa_system_sgpr_workgroup_id_y 0
		.amdhsa_system_sgpr_workgroup_id_z 0
		.amdhsa_system_sgpr_workgroup_info 0
		.amdhsa_system_vgpr_workitem_id 0
		.amdhsa_next_free_vgpr 1
		.amdhsa_next_free_sgpr 0
		.amdhsa_reserve_vcc 0
		.amdhsa_reserve_flat_scratch 0
		.amdhsa_float_round_mode_32 0
		.amdhsa_float_round_mode_16_64 0
		.amdhsa_float_denorm_mode_32 3
		.amdhsa_float_denorm_mode_16_64 3
		.amdhsa_dx10_clamp 1
		.amdhsa_ieee_mode 1
		.amdhsa_fp16_overflow 0
		.amdhsa_exception_fp_ieee_invalid_op 0
		.amdhsa_exception_fp_denorm_src 0
		.amdhsa_exception_fp_ieee_div_zero 0
		.amdhsa_exception_fp_ieee_overflow 0
		.amdhsa_exception_fp_ieee_underflow 0
		.amdhsa_exception_fp_ieee_inexact 0
		.amdhsa_exception_int_div_zero 0
	.end_amdhsa_kernel
	.section	.text._ZN7rocprim17ROCPRIM_400000_NS6detail17trampoline_kernelINS0_13select_configILj256ELj13ELNS0_17block_load_methodE3ELS4_3ELS4_3ELNS0_20block_scan_algorithmE0ELj4294967295EEENS1_25partition_config_selectorILNS1_17partition_subalgoE4EjNS0_10empty_typeEbEEZZNS1_14partition_implILS8_4ELb0ES6_15HIP_vector_typeIjLj2EENS0_17counting_iteratorIjlEEPS9_SG_NS0_5tupleIJPjSI_NS0_16reverse_iteratorISI_EEEEENSH_IJSG_SG_SG_EEES9_SI_JZNS1_25segmented_radix_sort_implINS0_14default_configELb1EPKlPlSQ_SR_N2at6native12_GLOBAL__N_18offset_tEEE10hipError_tPvRmT1_PNSt15iterator_traitsISZ_E10value_typeET2_T3_PNS10_IS15_E10value_typeET4_jRbjT5_S1B_jjP12ihipStream_tbEUljE_ZNSN_ISO_Lb1ESQ_SR_SQ_SR_SV_EESW_SX_SY_SZ_S13_S14_S15_S18_S19_jS1A_jS1B_S1B_jjS1D_bEUljE0_EEESW_SX_SY_S15_S19_S1B_T6_T7_T9_mT8_S1D_bDpT10_ENKUlT_T0_E_clISt17integral_constantIbLb1EES1R_EEDaS1M_S1N_EUlS1M_E_NS1_11comp_targetILNS1_3genE5ELNS1_11target_archE942ELNS1_3gpuE9ELNS1_3repE0EEENS1_30default_config_static_selectorELNS0_4arch9wavefront6targetE1EEEvSZ_,"axG",@progbits,_ZN7rocprim17ROCPRIM_400000_NS6detail17trampoline_kernelINS0_13select_configILj256ELj13ELNS0_17block_load_methodE3ELS4_3ELS4_3ELNS0_20block_scan_algorithmE0ELj4294967295EEENS1_25partition_config_selectorILNS1_17partition_subalgoE4EjNS0_10empty_typeEbEEZZNS1_14partition_implILS8_4ELb0ES6_15HIP_vector_typeIjLj2EENS0_17counting_iteratorIjlEEPS9_SG_NS0_5tupleIJPjSI_NS0_16reverse_iteratorISI_EEEEENSH_IJSG_SG_SG_EEES9_SI_JZNS1_25segmented_radix_sort_implINS0_14default_configELb1EPKlPlSQ_SR_N2at6native12_GLOBAL__N_18offset_tEEE10hipError_tPvRmT1_PNSt15iterator_traitsISZ_E10value_typeET2_T3_PNS10_IS15_E10value_typeET4_jRbjT5_S1B_jjP12ihipStream_tbEUljE_ZNSN_ISO_Lb1ESQ_SR_SQ_SR_SV_EESW_SX_SY_SZ_S13_S14_S15_S18_S19_jS1A_jS1B_S1B_jjS1D_bEUljE0_EEESW_SX_SY_S15_S19_S1B_T6_T7_T9_mT8_S1D_bDpT10_ENKUlT_T0_E_clISt17integral_constantIbLb1EES1R_EEDaS1M_S1N_EUlS1M_E_NS1_11comp_targetILNS1_3genE5ELNS1_11target_archE942ELNS1_3gpuE9ELNS1_3repE0EEENS1_30default_config_static_selectorELNS0_4arch9wavefront6targetE1EEEvSZ_,comdat
.Lfunc_end649:
	.size	_ZN7rocprim17ROCPRIM_400000_NS6detail17trampoline_kernelINS0_13select_configILj256ELj13ELNS0_17block_load_methodE3ELS4_3ELS4_3ELNS0_20block_scan_algorithmE0ELj4294967295EEENS1_25partition_config_selectorILNS1_17partition_subalgoE4EjNS0_10empty_typeEbEEZZNS1_14partition_implILS8_4ELb0ES6_15HIP_vector_typeIjLj2EENS0_17counting_iteratorIjlEEPS9_SG_NS0_5tupleIJPjSI_NS0_16reverse_iteratorISI_EEEEENSH_IJSG_SG_SG_EEES9_SI_JZNS1_25segmented_radix_sort_implINS0_14default_configELb1EPKlPlSQ_SR_N2at6native12_GLOBAL__N_18offset_tEEE10hipError_tPvRmT1_PNSt15iterator_traitsISZ_E10value_typeET2_T3_PNS10_IS15_E10value_typeET4_jRbjT5_S1B_jjP12ihipStream_tbEUljE_ZNSN_ISO_Lb1ESQ_SR_SQ_SR_SV_EESW_SX_SY_SZ_S13_S14_S15_S18_S19_jS1A_jS1B_S1B_jjS1D_bEUljE0_EEESW_SX_SY_S15_S19_S1B_T6_T7_T9_mT8_S1D_bDpT10_ENKUlT_T0_E_clISt17integral_constantIbLb1EES1R_EEDaS1M_S1N_EUlS1M_E_NS1_11comp_targetILNS1_3genE5ELNS1_11target_archE942ELNS1_3gpuE9ELNS1_3repE0EEENS1_30default_config_static_selectorELNS0_4arch9wavefront6targetE1EEEvSZ_, .Lfunc_end649-_ZN7rocprim17ROCPRIM_400000_NS6detail17trampoline_kernelINS0_13select_configILj256ELj13ELNS0_17block_load_methodE3ELS4_3ELS4_3ELNS0_20block_scan_algorithmE0ELj4294967295EEENS1_25partition_config_selectorILNS1_17partition_subalgoE4EjNS0_10empty_typeEbEEZZNS1_14partition_implILS8_4ELb0ES6_15HIP_vector_typeIjLj2EENS0_17counting_iteratorIjlEEPS9_SG_NS0_5tupleIJPjSI_NS0_16reverse_iteratorISI_EEEEENSH_IJSG_SG_SG_EEES9_SI_JZNS1_25segmented_radix_sort_implINS0_14default_configELb1EPKlPlSQ_SR_N2at6native12_GLOBAL__N_18offset_tEEE10hipError_tPvRmT1_PNSt15iterator_traitsISZ_E10value_typeET2_T3_PNS10_IS15_E10value_typeET4_jRbjT5_S1B_jjP12ihipStream_tbEUljE_ZNSN_ISO_Lb1ESQ_SR_SQ_SR_SV_EESW_SX_SY_SZ_S13_S14_S15_S18_S19_jS1A_jS1B_S1B_jjS1D_bEUljE0_EEESW_SX_SY_S15_S19_S1B_T6_T7_T9_mT8_S1D_bDpT10_ENKUlT_T0_E_clISt17integral_constantIbLb1EES1R_EEDaS1M_S1N_EUlS1M_E_NS1_11comp_targetILNS1_3genE5ELNS1_11target_archE942ELNS1_3gpuE9ELNS1_3repE0EEENS1_30default_config_static_selectorELNS0_4arch9wavefront6targetE1EEEvSZ_
                                        ; -- End function
	.set _ZN7rocprim17ROCPRIM_400000_NS6detail17trampoline_kernelINS0_13select_configILj256ELj13ELNS0_17block_load_methodE3ELS4_3ELS4_3ELNS0_20block_scan_algorithmE0ELj4294967295EEENS1_25partition_config_selectorILNS1_17partition_subalgoE4EjNS0_10empty_typeEbEEZZNS1_14partition_implILS8_4ELb0ES6_15HIP_vector_typeIjLj2EENS0_17counting_iteratorIjlEEPS9_SG_NS0_5tupleIJPjSI_NS0_16reverse_iteratorISI_EEEEENSH_IJSG_SG_SG_EEES9_SI_JZNS1_25segmented_radix_sort_implINS0_14default_configELb1EPKlPlSQ_SR_N2at6native12_GLOBAL__N_18offset_tEEE10hipError_tPvRmT1_PNSt15iterator_traitsISZ_E10value_typeET2_T3_PNS10_IS15_E10value_typeET4_jRbjT5_S1B_jjP12ihipStream_tbEUljE_ZNSN_ISO_Lb1ESQ_SR_SQ_SR_SV_EESW_SX_SY_SZ_S13_S14_S15_S18_S19_jS1A_jS1B_S1B_jjS1D_bEUljE0_EEESW_SX_SY_S15_S19_S1B_T6_T7_T9_mT8_S1D_bDpT10_ENKUlT_T0_E_clISt17integral_constantIbLb1EES1R_EEDaS1M_S1N_EUlS1M_E_NS1_11comp_targetILNS1_3genE5ELNS1_11target_archE942ELNS1_3gpuE9ELNS1_3repE0EEENS1_30default_config_static_selectorELNS0_4arch9wavefront6targetE1EEEvSZ_.num_vgpr, 0
	.set _ZN7rocprim17ROCPRIM_400000_NS6detail17trampoline_kernelINS0_13select_configILj256ELj13ELNS0_17block_load_methodE3ELS4_3ELS4_3ELNS0_20block_scan_algorithmE0ELj4294967295EEENS1_25partition_config_selectorILNS1_17partition_subalgoE4EjNS0_10empty_typeEbEEZZNS1_14partition_implILS8_4ELb0ES6_15HIP_vector_typeIjLj2EENS0_17counting_iteratorIjlEEPS9_SG_NS0_5tupleIJPjSI_NS0_16reverse_iteratorISI_EEEEENSH_IJSG_SG_SG_EEES9_SI_JZNS1_25segmented_radix_sort_implINS0_14default_configELb1EPKlPlSQ_SR_N2at6native12_GLOBAL__N_18offset_tEEE10hipError_tPvRmT1_PNSt15iterator_traitsISZ_E10value_typeET2_T3_PNS10_IS15_E10value_typeET4_jRbjT5_S1B_jjP12ihipStream_tbEUljE_ZNSN_ISO_Lb1ESQ_SR_SQ_SR_SV_EESW_SX_SY_SZ_S13_S14_S15_S18_S19_jS1A_jS1B_S1B_jjS1D_bEUljE0_EEESW_SX_SY_S15_S19_S1B_T6_T7_T9_mT8_S1D_bDpT10_ENKUlT_T0_E_clISt17integral_constantIbLb1EES1R_EEDaS1M_S1N_EUlS1M_E_NS1_11comp_targetILNS1_3genE5ELNS1_11target_archE942ELNS1_3gpuE9ELNS1_3repE0EEENS1_30default_config_static_selectorELNS0_4arch9wavefront6targetE1EEEvSZ_.num_agpr, 0
	.set _ZN7rocprim17ROCPRIM_400000_NS6detail17trampoline_kernelINS0_13select_configILj256ELj13ELNS0_17block_load_methodE3ELS4_3ELS4_3ELNS0_20block_scan_algorithmE0ELj4294967295EEENS1_25partition_config_selectorILNS1_17partition_subalgoE4EjNS0_10empty_typeEbEEZZNS1_14partition_implILS8_4ELb0ES6_15HIP_vector_typeIjLj2EENS0_17counting_iteratorIjlEEPS9_SG_NS0_5tupleIJPjSI_NS0_16reverse_iteratorISI_EEEEENSH_IJSG_SG_SG_EEES9_SI_JZNS1_25segmented_radix_sort_implINS0_14default_configELb1EPKlPlSQ_SR_N2at6native12_GLOBAL__N_18offset_tEEE10hipError_tPvRmT1_PNSt15iterator_traitsISZ_E10value_typeET2_T3_PNS10_IS15_E10value_typeET4_jRbjT5_S1B_jjP12ihipStream_tbEUljE_ZNSN_ISO_Lb1ESQ_SR_SQ_SR_SV_EESW_SX_SY_SZ_S13_S14_S15_S18_S19_jS1A_jS1B_S1B_jjS1D_bEUljE0_EEESW_SX_SY_S15_S19_S1B_T6_T7_T9_mT8_S1D_bDpT10_ENKUlT_T0_E_clISt17integral_constantIbLb1EES1R_EEDaS1M_S1N_EUlS1M_E_NS1_11comp_targetILNS1_3genE5ELNS1_11target_archE942ELNS1_3gpuE9ELNS1_3repE0EEENS1_30default_config_static_selectorELNS0_4arch9wavefront6targetE1EEEvSZ_.numbered_sgpr, 0
	.set _ZN7rocprim17ROCPRIM_400000_NS6detail17trampoline_kernelINS0_13select_configILj256ELj13ELNS0_17block_load_methodE3ELS4_3ELS4_3ELNS0_20block_scan_algorithmE0ELj4294967295EEENS1_25partition_config_selectorILNS1_17partition_subalgoE4EjNS0_10empty_typeEbEEZZNS1_14partition_implILS8_4ELb0ES6_15HIP_vector_typeIjLj2EENS0_17counting_iteratorIjlEEPS9_SG_NS0_5tupleIJPjSI_NS0_16reverse_iteratorISI_EEEEENSH_IJSG_SG_SG_EEES9_SI_JZNS1_25segmented_radix_sort_implINS0_14default_configELb1EPKlPlSQ_SR_N2at6native12_GLOBAL__N_18offset_tEEE10hipError_tPvRmT1_PNSt15iterator_traitsISZ_E10value_typeET2_T3_PNS10_IS15_E10value_typeET4_jRbjT5_S1B_jjP12ihipStream_tbEUljE_ZNSN_ISO_Lb1ESQ_SR_SQ_SR_SV_EESW_SX_SY_SZ_S13_S14_S15_S18_S19_jS1A_jS1B_S1B_jjS1D_bEUljE0_EEESW_SX_SY_S15_S19_S1B_T6_T7_T9_mT8_S1D_bDpT10_ENKUlT_T0_E_clISt17integral_constantIbLb1EES1R_EEDaS1M_S1N_EUlS1M_E_NS1_11comp_targetILNS1_3genE5ELNS1_11target_archE942ELNS1_3gpuE9ELNS1_3repE0EEENS1_30default_config_static_selectorELNS0_4arch9wavefront6targetE1EEEvSZ_.num_named_barrier, 0
	.set _ZN7rocprim17ROCPRIM_400000_NS6detail17trampoline_kernelINS0_13select_configILj256ELj13ELNS0_17block_load_methodE3ELS4_3ELS4_3ELNS0_20block_scan_algorithmE0ELj4294967295EEENS1_25partition_config_selectorILNS1_17partition_subalgoE4EjNS0_10empty_typeEbEEZZNS1_14partition_implILS8_4ELb0ES6_15HIP_vector_typeIjLj2EENS0_17counting_iteratorIjlEEPS9_SG_NS0_5tupleIJPjSI_NS0_16reverse_iteratorISI_EEEEENSH_IJSG_SG_SG_EEES9_SI_JZNS1_25segmented_radix_sort_implINS0_14default_configELb1EPKlPlSQ_SR_N2at6native12_GLOBAL__N_18offset_tEEE10hipError_tPvRmT1_PNSt15iterator_traitsISZ_E10value_typeET2_T3_PNS10_IS15_E10value_typeET4_jRbjT5_S1B_jjP12ihipStream_tbEUljE_ZNSN_ISO_Lb1ESQ_SR_SQ_SR_SV_EESW_SX_SY_SZ_S13_S14_S15_S18_S19_jS1A_jS1B_S1B_jjS1D_bEUljE0_EEESW_SX_SY_S15_S19_S1B_T6_T7_T9_mT8_S1D_bDpT10_ENKUlT_T0_E_clISt17integral_constantIbLb1EES1R_EEDaS1M_S1N_EUlS1M_E_NS1_11comp_targetILNS1_3genE5ELNS1_11target_archE942ELNS1_3gpuE9ELNS1_3repE0EEENS1_30default_config_static_selectorELNS0_4arch9wavefront6targetE1EEEvSZ_.private_seg_size, 0
	.set _ZN7rocprim17ROCPRIM_400000_NS6detail17trampoline_kernelINS0_13select_configILj256ELj13ELNS0_17block_load_methodE3ELS4_3ELS4_3ELNS0_20block_scan_algorithmE0ELj4294967295EEENS1_25partition_config_selectorILNS1_17partition_subalgoE4EjNS0_10empty_typeEbEEZZNS1_14partition_implILS8_4ELb0ES6_15HIP_vector_typeIjLj2EENS0_17counting_iteratorIjlEEPS9_SG_NS0_5tupleIJPjSI_NS0_16reverse_iteratorISI_EEEEENSH_IJSG_SG_SG_EEES9_SI_JZNS1_25segmented_radix_sort_implINS0_14default_configELb1EPKlPlSQ_SR_N2at6native12_GLOBAL__N_18offset_tEEE10hipError_tPvRmT1_PNSt15iterator_traitsISZ_E10value_typeET2_T3_PNS10_IS15_E10value_typeET4_jRbjT5_S1B_jjP12ihipStream_tbEUljE_ZNSN_ISO_Lb1ESQ_SR_SQ_SR_SV_EESW_SX_SY_SZ_S13_S14_S15_S18_S19_jS1A_jS1B_S1B_jjS1D_bEUljE0_EEESW_SX_SY_S15_S19_S1B_T6_T7_T9_mT8_S1D_bDpT10_ENKUlT_T0_E_clISt17integral_constantIbLb1EES1R_EEDaS1M_S1N_EUlS1M_E_NS1_11comp_targetILNS1_3genE5ELNS1_11target_archE942ELNS1_3gpuE9ELNS1_3repE0EEENS1_30default_config_static_selectorELNS0_4arch9wavefront6targetE1EEEvSZ_.uses_vcc, 0
	.set _ZN7rocprim17ROCPRIM_400000_NS6detail17trampoline_kernelINS0_13select_configILj256ELj13ELNS0_17block_load_methodE3ELS4_3ELS4_3ELNS0_20block_scan_algorithmE0ELj4294967295EEENS1_25partition_config_selectorILNS1_17partition_subalgoE4EjNS0_10empty_typeEbEEZZNS1_14partition_implILS8_4ELb0ES6_15HIP_vector_typeIjLj2EENS0_17counting_iteratorIjlEEPS9_SG_NS0_5tupleIJPjSI_NS0_16reverse_iteratorISI_EEEEENSH_IJSG_SG_SG_EEES9_SI_JZNS1_25segmented_radix_sort_implINS0_14default_configELb1EPKlPlSQ_SR_N2at6native12_GLOBAL__N_18offset_tEEE10hipError_tPvRmT1_PNSt15iterator_traitsISZ_E10value_typeET2_T3_PNS10_IS15_E10value_typeET4_jRbjT5_S1B_jjP12ihipStream_tbEUljE_ZNSN_ISO_Lb1ESQ_SR_SQ_SR_SV_EESW_SX_SY_SZ_S13_S14_S15_S18_S19_jS1A_jS1B_S1B_jjS1D_bEUljE0_EEESW_SX_SY_S15_S19_S1B_T6_T7_T9_mT8_S1D_bDpT10_ENKUlT_T0_E_clISt17integral_constantIbLb1EES1R_EEDaS1M_S1N_EUlS1M_E_NS1_11comp_targetILNS1_3genE5ELNS1_11target_archE942ELNS1_3gpuE9ELNS1_3repE0EEENS1_30default_config_static_selectorELNS0_4arch9wavefront6targetE1EEEvSZ_.uses_flat_scratch, 0
	.set _ZN7rocprim17ROCPRIM_400000_NS6detail17trampoline_kernelINS0_13select_configILj256ELj13ELNS0_17block_load_methodE3ELS4_3ELS4_3ELNS0_20block_scan_algorithmE0ELj4294967295EEENS1_25partition_config_selectorILNS1_17partition_subalgoE4EjNS0_10empty_typeEbEEZZNS1_14partition_implILS8_4ELb0ES6_15HIP_vector_typeIjLj2EENS0_17counting_iteratorIjlEEPS9_SG_NS0_5tupleIJPjSI_NS0_16reverse_iteratorISI_EEEEENSH_IJSG_SG_SG_EEES9_SI_JZNS1_25segmented_radix_sort_implINS0_14default_configELb1EPKlPlSQ_SR_N2at6native12_GLOBAL__N_18offset_tEEE10hipError_tPvRmT1_PNSt15iterator_traitsISZ_E10value_typeET2_T3_PNS10_IS15_E10value_typeET4_jRbjT5_S1B_jjP12ihipStream_tbEUljE_ZNSN_ISO_Lb1ESQ_SR_SQ_SR_SV_EESW_SX_SY_SZ_S13_S14_S15_S18_S19_jS1A_jS1B_S1B_jjS1D_bEUljE0_EEESW_SX_SY_S15_S19_S1B_T6_T7_T9_mT8_S1D_bDpT10_ENKUlT_T0_E_clISt17integral_constantIbLb1EES1R_EEDaS1M_S1N_EUlS1M_E_NS1_11comp_targetILNS1_3genE5ELNS1_11target_archE942ELNS1_3gpuE9ELNS1_3repE0EEENS1_30default_config_static_selectorELNS0_4arch9wavefront6targetE1EEEvSZ_.has_dyn_sized_stack, 0
	.set _ZN7rocprim17ROCPRIM_400000_NS6detail17trampoline_kernelINS0_13select_configILj256ELj13ELNS0_17block_load_methodE3ELS4_3ELS4_3ELNS0_20block_scan_algorithmE0ELj4294967295EEENS1_25partition_config_selectorILNS1_17partition_subalgoE4EjNS0_10empty_typeEbEEZZNS1_14partition_implILS8_4ELb0ES6_15HIP_vector_typeIjLj2EENS0_17counting_iteratorIjlEEPS9_SG_NS0_5tupleIJPjSI_NS0_16reverse_iteratorISI_EEEEENSH_IJSG_SG_SG_EEES9_SI_JZNS1_25segmented_radix_sort_implINS0_14default_configELb1EPKlPlSQ_SR_N2at6native12_GLOBAL__N_18offset_tEEE10hipError_tPvRmT1_PNSt15iterator_traitsISZ_E10value_typeET2_T3_PNS10_IS15_E10value_typeET4_jRbjT5_S1B_jjP12ihipStream_tbEUljE_ZNSN_ISO_Lb1ESQ_SR_SQ_SR_SV_EESW_SX_SY_SZ_S13_S14_S15_S18_S19_jS1A_jS1B_S1B_jjS1D_bEUljE0_EEESW_SX_SY_S15_S19_S1B_T6_T7_T9_mT8_S1D_bDpT10_ENKUlT_T0_E_clISt17integral_constantIbLb1EES1R_EEDaS1M_S1N_EUlS1M_E_NS1_11comp_targetILNS1_3genE5ELNS1_11target_archE942ELNS1_3gpuE9ELNS1_3repE0EEENS1_30default_config_static_selectorELNS0_4arch9wavefront6targetE1EEEvSZ_.has_recursion, 0
	.set _ZN7rocprim17ROCPRIM_400000_NS6detail17trampoline_kernelINS0_13select_configILj256ELj13ELNS0_17block_load_methodE3ELS4_3ELS4_3ELNS0_20block_scan_algorithmE0ELj4294967295EEENS1_25partition_config_selectorILNS1_17partition_subalgoE4EjNS0_10empty_typeEbEEZZNS1_14partition_implILS8_4ELb0ES6_15HIP_vector_typeIjLj2EENS0_17counting_iteratorIjlEEPS9_SG_NS0_5tupleIJPjSI_NS0_16reverse_iteratorISI_EEEEENSH_IJSG_SG_SG_EEES9_SI_JZNS1_25segmented_radix_sort_implINS0_14default_configELb1EPKlPlSQ_SR_N2at6native12_GLOBAL__N_18offset_tEEE10hipError_tPvRmT1_PNSt15iterator_traitsISZ_E10value_typeET2_T3_PNS10_IS15_E10value_typeET4_jRbjT5_S1B_jjP12ihipStream_tbEUljE_ZNSN_ISO_Lb1ESQ_SR_SQ_SR_SV_EESW_SX_SY_SZ_S13_S14_S15_S18_S19_jS1A_jS1B_S1B_jjS1D_bEUljE0_EEESW_SX_SY_S15_S19_S1B_T6_T7_T9_mT8_S1D_bDpT10_ENKUlT_T0_E_clISt17integral_constantIbLb1EES1R_EEDaS1M_S1N_EUlS1M_E_NS1_11comp_targetILNS1_3genE5ELNS1_11target_archE942ELNS1_3gpuE9ELNS1_3repE0EEENS1_30default_config_static_selectorELNS0_4arch9wavefront6targetE1EEEvSZ_.has_indirect_call, 0
	.section	.AMDGPU.csdata,"",@progbits
; Kernel info:
; codeLenInByte = 0
; TotalNumSgprs: 4
; NumVgprs: 0
; ScratchSize: 0
; MemoryBound: 0
; FloatMode: 240
; IeeeMode: 1
; LDSByteSize: 0 bytes/workgroup (compile time only)
; SGPRBlocks: 0
; VGPRBlocks: 0
; NumSGPRsForWavesPerEU: 4
; NumVGPRsForWavesPerEU: 1
; Occupancy: 10
; WaveLimiterHint : 0
; COMPUTE_PGM_RSRC2:SCRATCH_EN: 0
; COMPUTE_PGM_RSRC2:USER_SGPR: 6
; COMPUTE_PGM_RSRC2:TRAP_HANDLER: 0
; COMPUTE_PGM_RSRC2:TGID_X_EN: 1
; COMPUTE_PGM_RSRC2:TGID_Y_EN: 0
; COMPUTE_PGM_RSRC2:TGID_Z_EN: 0
; COMPUTE_PGM_RSRC2:TIDIG_COMP_CNT: 0
	.section	.text._ZN7rocprim17ROCPRIM_400000_NS6detail17trampoline_kernelINS0_13select_configILj256ELj13ELNS0_17block_load_methodE3ELS4_3ELS4_3ELNS0_20block_scan_algorithmE0ELj4294967295EEENS1_25partition_config_selectorILNS1_17partition_subalgoE4EjNS0_10empty_typeEbEEZZNS1_14partition_implILS8_4ELb0ES6_15HIP_vector_typeIjLj2EENS0_17counting_iteratorIjlEEPS9_SG_NS0_5tupleIJPjSI_NS0_16reverse_iteratorISI_EEEEENSH_IJSG_SG_SG_EEES9_SI_JZNS1_25segmented_radix_sort_implINS0_14default_configELb1EPKlPlSQ_SR_N2at6native12_GLOBAL__N_18offset_tEEE10hipError_tPvRmT1_PNSt15iterator_traitsISZ_E10value_typeET2_T3_PNS10_IS15_E10value_typeET4_jRbjT5_S1B_jjP12ihipStream_tbEUljE_ZNSN_ISO_Lb1ESQ_SR_SQ_SR_SV_EESW_SX_SY_SZ_S13_S14_S15_S18_S19_jS1A_jS1B_S1B_jjS1D_bEUljE0_EEESW_SX_SY_S15_S19_S1B_T6_T7_T9_mT8_S1D_bDpT10_ENKUlT_T0_E_clISt17integral_constantIbLb1EES1R_EEDaS1M_S1N_EUlS1M_E_NS1_11comp_targetILNS1_3genE4ELNS1_11target_archE910ELNS1_3gpuE8ELNS1_3repE0EEENS1_30default_config_static_selectorELNS0_4arch9wavefront6targetE1EEEvSZ_,"axG",@progbits,_ZN7rocprim17ROCPRIM_400000_NS6detail17trampoline_kernelINS0_13select_configILj256ELj13ELNS0_17block_load_methodE3ELS4_3ELS4_3ELNS0_20block_scan_algorithmE0ELj4294967295EEENS1_25partition_config_selectorILNS1_17partition_subalgoE4EjNS0_10empty_typeEbEEZZNS1_14partition_implILS8_4ELb0ES6_15HIP_vector_typeIjLj2EENS0_17counting_iteratorIjlEEPS9_SG_NS0_5tupleIJPjSI_NS0_16reverse_iteratorISI_EEEEENSH_IJSG_SG_SG_EEES9_SI_JZNS1_25segmented_radix_sort_implINS0_14default_configELb1EPKlPlSQ_SR_N2at6native12_GLOBAL__N_18offset_tEEE10hipError_tPvRmT1_PNSt15iterator_traitsISZ_E10value_typeET2_T3_PNS10_IS15_E10value_typeET4_jRbjT5_S1B_jjP12ihipStream_tbEUljE_ZNSN_ISO_Lb1ESQ_SR_SQ_SR_SV_EESW_SX_SY_SZ_S13_S14_S15_S18_S19_jS1A_jS1B_S1B_jjS1D_bEUljE0_EEESW_SX_SY_S15_S19_S1B_T6_T7_T9_mT8_S1D_bDpT10_ENKUlT_T0_E_clISt17integral_constantIbLb1EES1R_EEDaS1M_S1N_EUlS1M_E_NS1_11comp_targetILNS1_3genE4ELNS1_11target_archE910ELNS1_3gpuE8ELNS1_3repE0EEENS1_30default_config_static_selectorELNS0_4arch9wavefront6targetE1EEEvSZ_,comdat
	.globl	_ZN7rocprim17ROCPRIM_400000_NS6detail17trampoline_kernelINS0_13select_configILj256ELj13ELNS0_17block_load_methodE3ELS4_3ELS4_3ELNS0_20block_scan_algorithmE0ELj4294967295EEENS1_25partition_config_selectorILNS1_17partition_subalgoE4EjNS0_10empty_typeEbEEZZNS1_14partition_implILS8_4ELb0ES6_15HIP_vector_typeIjLj2EENS0_17counting_iteratorIjlEEPS9_SG_NS0_5tupleIJPjSI_NS0_16reverse_iteratorISI_EEEEENSH_IJSG_SG_SG_EEES9_SI_JZNS1_25segmented_radix_sort_implINS0_14default_configELb1EPKlPlSQ_SR_N2at6native12_GLOBAL__N_18offset_tEEE10hipError_tPvRmT1_PNSt15iterator_traitsISZ_E10value_typeET2_T3_PNS10_IS15_E10value_typeET4_jRbjT5_S1B_jjP12ihipStream_tbEUljE_ZNSN_ISO_Lb1ESQ_SR_SQ_SR_SV_EESW_SX_SY_SZ_S13_S14_S15_S18_S19_jS1A_jS1B_S1B_jjS1D_bEUljE0_EEESW_SX_SY_S15_S19_S1B_T6_T7_T9_mT8_S1D_bDpT10_ENKUlT_T0_E_clISt17integral_constantIbLb1EES1R_EEDaS1M_S1N_EUlS1M_E_NS1_11comp_targetILNS1_3genE4ELNS1_11target_archE910ELNS1_3gpuE8ELNS1_3repE0EEENS1_30default_config_static_selectorELNS0_4arch9wavefront6targetE1EEEvSZ_ ; -- Begin function _ZN7rocprim17ROCPRIM_400000_NS6detail17trampoline_kernelINS0_13select_configILj256ELj13ELNS0_17block_load_methodE3ELS4_3ELS4_3ELNS0_20block_scan_algorithmE0ELj4294967295EEENS1_25partition_config_selectorILNS1_17partition_subalgoE4EjNS0_10empty_typeEbEEZZNS1_14partition_implILS8_4ELb0ES6_15HIP_vector_typeIjLj2EENS0_17counting_iteratorIjlEEPS9_SG_NS0_5tupleIJPjSI_NS0_16reverse_iteratorISI_EEEEENSH_IJSG_SG_SG_EEES9_SI_JZNS1_25segmented_radix_sort_implINS0_14default_configELb1EPKlPlSQ_SR_N2at6native12_GLOBAL__N_18offset_tEEE10hipError_tPvRmT1_PNSt15iterator_traitsISZ_E10value_typeET2_T3_PNS10_IS15_E10value_typeET4_jRbjT5_S1B_jjP12ihipStream_tbEUljE_ZNSN_ISO_Lb1ESQ_SR_SQ_SR_SV_EESW_SX_SY_SZ_S13_S14_S15_S18_S19_jS1A_jS1B_S1B_jjS1D_bEUljE0_EEESW_SX_SY_S15_S19_S1B_T6_T7_T9_mT8_S1D_bDpT10_ENKUlT_T0_E_clISt17integral_constantIbLb1EES1R_EEDaS1M_S1N_EUlS1M_E_NS1_11comp_targetILNS1_3genE4ELNS1_11target_archE910ELNS1_3gpuE8ELNS1_3repE0EEENS1_30default_config_static_selectorELNS0_4arch9wavefront6targetE1EEEvSZ_
	.p2align	8
	.type	_ZN7rocprim17ROCPRIM_400000_NS6detail17trampoline_kernelINS0_13select_configILj256ELj13ELNS0_17block_load_methodE3ELS4_3ELS4_3ELNS0_20block_scan_algorithmE0ELj4294967295EEENS1_25partition_config_selectorILNS1_17partition_subalgoE4EjNS0_10empty_typeEbEEZZNS1_14partition_implILS8_4ELb0ES6_15HIP_vector_typeIjLj2EENS0_17counting_iteratorIjlEEPS9_SG_NS0_5tupleIJPjSI_NS0_16reverse_iteratorISI_EEEEENSH_IJSG_SG_SG_EEES9_SI_JZNS1_25segmented_radix_sort_implINS0_14default_configELb1EPKlPlSQ_SR_N2at6native12_GLOBAL__N_18offset_tEEE10hipError_tPvRmT1_PNSt15iterator_traitsISZ_E10value_typeET2_T3_PNS10_IS15_E10value_typeET4_jRbjT5_S1B_jjP12ihipStream_tbEUljE_ZNSN_ISO_Lb1ESQ_SR_SQ_SR_SV_EESW_SX_SY_SZ_S13_S14_S15_S18_S19_jS1A_jS1B_S1B_jjS1D_bEUljE0_EEESW_SX_SY_S15_S19_S1B_T6_T7_T9_mT8_S1D_bDpT10_ENKUlT_T0_E_clISt17integral_constantIbLb1EES1R_EEDaS1M_S1N_EUlS1M_E_NS1_11comp_targetILNS1_3genE4ELNS1_11target_archE910ELNS1_3gpuE8ELNS1_3repE0EEENS1_30default_config_static_selectorELNS0_4arch9wavefront6targetE1EEEvSZ_,@function
_ZN7rocprim17ROCPRIM_400000_NS6detail17trampoline_kernelINS0_13select_configILj256ELj13ELNS0_17block_load_methodE3ELS4_3ELS4_3ELNS0_20block_scan_algorithmE0ELj4294967295EEENS1_25partition_config_selectorILNS1_17partition_subalgoE4EjNS0_10empty_typeEbEEZZNS1_14partition_implILS8_4ELb0ES6_15HIP_vector_typeIjLj2EENS0_17counting_iteratorIjlEEPS9_SG_NS0_5tupleIJPjSI_NS0_16reverse_iteratorISI_EEEEENSH_IJSG_SG_SG_EEES9_SI_JZNS1_25segmented_radix_sort_implINS0_14default_configELb1EPKlPlSQ_SR_N2at6native12_GLOBAL__N_18offset_tEEE10hipError_tPvRmT1_PNSt15iterator_traitsISZ_E10value_typeET2_T3_PNS10_IS15_E10value_typeET4_jRbjT5_S1B_jjP12ihipStream_tbEUljE_ZNSN_ISO_Lb1ESQ_SR_SQ_SR_SV_EESW_SX_SY_SZ_S13_S14_S15_S18_S19_jS1A_jS1B_S1B_jjS1D_bEUljE0_EEESW_SX_SY_S15_S19_S1B_T6_T7_T9_mT8_S1D_bDpT10_ENKUlT_T0_E_clISt17integral_constantIbLb1EES1R_EEDaS1M_S1N_EUlS1M_E_NS1_11comp_targetILNS1_3genE4ELNS1_11target_archE910ELNS1_3gpuE8ELNS1_3repE0EEENS1_30default_config_static_selectorELNS0_4arch9wavefront6targetE1EEEvSZ_: ; @_ZN7rocprim17ROCPRIM_400000_NS6detail17trampoline_kernelINS0_13select_configILj256ELj13ELNS0_17block_load_methodE3ELS4_3ELS4_3ELNS0_20block_scan_algorithmE0ELj4294967295EEENS1_25partition_config_selectorILNS1_17partition_subalgoE4EjNS0_10empty_typeEbEEZZNS1_14partition_implILS8_4ELb0ES6_15HIP_vector_typeIjLj2EENS0_17counting_iteratorIjlEEPS9_SG_NS0_5tupleIJPjSI_NS0_16reverse_iteratorISI_EEEEENSH_IJSG_SG_SG_EEES9_SI_JZNS1_25segmented_radix_sort_implINS0_14default_configELb1EPKlPlSQ_SR_N2at6native12_GLOBAL__N_18offset_tEEE10hipError_tPvRmT1_PNSt15iterator_traitsISZ_E10value_typeET2_T3_PNS10_IS15_E10value_typeET4_jRbjT5_S1B_jjP12ihipStream_tbEUljE_ZNSN_ISO_Lb1ESQ_SR_SQ_SR_SV_EESW_SX_SY_SZ_S13_S14_S15_S18_S19_jS1A_jS1B_S1B_jjS1D_bEUljE0_EEESW_SX_SY_S15_S19_S1B_T6_T7_T9_mT8_S1D_bDpT10_ENKUlT_T0_E_clISt17integral_constantIbLb1EES1R_EEDaS1M_S1N_EUlS1M_E_NS1_11comp_targetILNS1_3genE4ELNS1_11target_archE910ELNS1_3gpuE8ELNS1_3repE0EEENS1_30default_config_static_selectorELNS0_4arch9wavefront6targetE1EEEvSZ_
; %bb.0:
	.section	.rodata,"a",@progbits
	.p2align	6, 0x0
	.amdhsa_kernel _ZN7rocprim17ROCPRIM_400000_NS6detail17trampoline_kernelINS0_13select_configILj256ELj13ELNS0_17block_load_methodE3ELS4_3ELS4_3ELNS0_20block_scan_algorithmE0ELj4294967295EEENS1_25partition_config_selectorILNS1_17partition_subalgoE4EjNS0_10empty_typeEbEEZZNS1_14partition_implILS8_4ELb0ES6_15HIP_vector_typeIjLj2EENS0_17counting_iteratorIjlEEPS9_SG_NS0_5tupleIJPjSI_NS0_16reverse_iteratorISI_EEEEENSH_IJSG_SG_SG_EEES9_SI_JZNS1_25segmented_radix_sort_implINS0_14default_configELb1EPKlPlSQ_SR_N2at6native12_GLOBAL__N_18offset_tEEE10hipError_tPvRmT1_PNSt15iterator_traitsISZ_E10value_typeET2_T3_PNS10_IS15_E10value_typeET4_jRbjT5_S1B_jjP12ihipStream_tbEUljE_ZNSN_ISO_Lb1ESQ_SR_SQ_SR_SV_EESW_SX_SY_SZ_S13_S14_S15_S18_S19_jS1A_jS1B_S1B_jjS1D_bEUljE0_EEESW_SX_SY_S15_S19_S1B_T6_T7_T9_mT8_S1D_bDpT10_ENKUlT_T0_E_clISt17integral_constantIbLb1EES1R_EEDaS1M_S1N_EUlS1M_E_NS1_11comp_targetILNS1_3genE4ELNS1_11target_archE910ELNS1_3gpuE8ELNS1_3repE0EEENS1_30default_config_static_selectorELNS0_4arch9wavefront6targetE1EEEvSZ_
		.amdhsa_group_segment_fixed_size 0
		.amdhsa_private_segment_fixed_size 0
		.amdhsa_kernarg_size 184
		.amdhsa_user_sgpr_count 6
		.amdhsa_user_sgpr_private_segment_buffer 1
		.amdhsa_user_sgpr_dispatch_ptr 0
		.amdhsa_user_sgpr_queue_ptr 0
		.amdhsa_user_sgpr_kernarg_segment_ptr 1
		.amdhsa_user_sgpr_dispatch_id 0
		.amdhsa_user_sgpr_flat_scratch_init 0
		.amdhsa_user_sgpr_private_segment_size 0
		.amdhsa_uses_dynamic_stack 0
		.amdhsa_system_sgpr_private_segment_wavefront_offset 0
		.amdhsa_system_sgpr_workgroup_id_x 1
		.amdhsa_system_sgpr_workgroup_id_y 0
		.amdhsa_system_sgpr_workgroup_id_z 0
		.amdhsa_system_sgpr_workgroup_info 0
		.amdhsa_system_vgpr_workitem_id 0
		.amdhsa_next_free_vgpr 1
		.amdhsa_next_free_sgpr 0
		.amdhsa_reserve_vcc 0
		.amdhsa_reserve_flat_scratch 0
		.amdhsa_float_round_mode_32 0
		.amdhsa_float_round_mode_16_64 0
		.amdhsa_float_denorm_mode_32 3
		.amdhsa_float_denorm_mode_16_64 3
		.amdhsa_dx10_clamp 1
		.amdhsa_ieee_mode 1
		.amdhsa_fp16_overflow 0
		.amdhsa_exception_fp_ieee_invalid_op 0
		.amdhsa_exception_fp_denorm_src 0
		.amdhsa_exception_fp_ieee_div_zero 0
		.amdhsa_exception_fp_ieee_overflow 0
		.amdhsa_exception_fp_ieee_underflow 0
		.amdhsa_exception_fp_ieee_inexact 0
		.amdhsa_exception_int_div_zero 0
	.end_amdhsa_kernel
	.section	.text._ZN7rocprim17ROCPRIM_400000_NS6detail17trampoline_kernelINS0_13select_configILj256ELj13ELNS0_17block_load_methodE3ELS4_3ELS4_3ELNS0_20block_scan_algorithmE0ELj4294967295EEENS1_25partition_config_selectorILNS1_17partition_subalgoE4EjNS0_10empty_typeEbEEZZNS1_14partition_implILS8_4ELb0ES6_15HIP_vector_typeIjLj2EENS0_17counting_iteratorIjlEEPS9_SG_NS0_5tupleIJPjSI_NS0_16reverse_iteratorISI_EEEEENSH_IJSG_SG_SG_EEES9_SI_JZNS1_25segmented_radix_sort_implINS0_14default_configELb1EPKlPlSQ_SR_N2at6native12_GLOBAL__N_18offset_tEEE10hipError_tPvRmT1_PNSt15iterator_traitsISZ_E10value_typeET2_T3_PNS10_IS15_E10value_typeET4_jRbjT5_S1B_jjP12ihipStream_tbEUljE_ZNSN_ISO_Lb1ESQ_SR_SQ_SR_SV_EESW_SX_SY_SZ_S13_S14_S15_S18_S19_jS1A_jS1B_S1B_jjS1D_bEUljE0_EEESW_SX_SY_S15_S19_S1B_T6_T7_T9_mT8_S1D_bDpT10_ENKUlT_T0_E_clISt17integral_constantIbLb1EES1R_EEDaS1M_S1N_EUlS1M_E_NS1_11comp_targetILNS1_3genE4ELNS1_11target_archE910ELNS1_3gpuE8ELNS1_3repE0EEENS1_30default_config_static_selectorELNS0_4arch9wavefront6targetE1EEEvSZ_,"axG",@progbits,_ZN7rocprim17ROCPRIM_400000_NS6detail17trampoline_kernelINS0_13select_configILj256ELj13ELNS0_17block_load_methodE3ELS4_3ELS4_3ELNS0_20block_scan_algorithmE0ELj4294967295EEENS1_25partition_config_selectorILNS1_17partition_subalgoE4EjNS0_10empty_typeEbEEZZNS1_14partition_implILS8_4ELb0ES6_15HIP_vector_typeIjLj2EENS0_17counting_iteratorIjlEEPS9_SG_NS0_5tupleIJPjSI_NS0_16reverse_iteratorISI_EEEEENSH_IJSG_SG_SG_EEES9_SI_JZNS1_25segmented_radix_sort_implINS0_14default_configELb1EPKlPlSQ_SR_N2at6native12_GLOBAL__N_18offset_tEEE10hipError_tPvRmT1_PNSt15iterator_traitsISZ_E10value_typeET2_T3_PNS10_IS15_E10value_typeET4_jRbjT5_S1B_jjP12ihipStream_tbEUljE_ZNSN_ISO_Lb1ESQ_SR_SQ_SR_SV_EESW_SX_SY_SZ_S13_S14_S15_S18_S19_jS1A_jS1B_S1B_jjS1D_bEUljE0_EEESW_SX_SY_S15_S19_S1B_T6_T7_T9_mT8_S1D_bDpT10_ENKUlT_T0_E_clISt17integral_constantIbLb1EES1R_EEDaS1M_S1N_EUlS1M_E_NS1_11comp_targetILNS1_3genE4ELNS1_11target_archE910ELNS1_3gpuE8ELNS1_3repE0EEENS1_30default_config_static_selectorELNS0_4arch9wavefront6targetE1EEEvSZ_,comdat
.Lfunc_end650:
	.size	_ZN7rocprim17ROCPRIM_400000_NS6detail17trampoline_kernelINS0_13select_configILj256ELj13ELNS0_17block_load_methodE3ELS4_3ELS4_3ELNS0_20block_scan_algorithmE0ELj4294967295EEENS1_25partition_config_selectorILNS1_17partition_subalgoE4EjNS0_10empty_typeEbEEZZNS1_14partition_implILS8_4ELb0ES6_15HIP_vector_typeIjLj2EENS0_17counting_iteratorIjlEEPS9_SG_NS0_5tupleIJPjSI_NS0_16reverse_iteratorISI_EEEEENSH_IJSG_SG_SG_EEES9_SI_JZNS1_25segmented_radix_sort_implINS0_14default_configELb1EPKlPlSQ_SR_N2at6native12_GLOBAL__N_18offset_tEEE10hipError_tPvRmT1_PNSt15iterator_traitsISZ_E10value_typeET2_T3_PNS10_IS15_E10value_typeET4_jRbjT5_S1B_jjP12ihipStream_tbEUljE_ZNSN_ISO_Lb1ESQ_SR_SQ_SR_SV_EESW_SX_SY_SZ_S13_S14_S15_S18_S19_jS1A_jS1B_S1B_jjS1D_bEUljE0_EEESW_SX_SY_S15_S19_S1B_T6_T7_T9_mT8_S1D_bDpT10_ENKUlT_T0_E_clISt17integral_constantIbLb1EES1R_EEDaS1M_S1N_EUlS1M_E_NS1_11comp_targetILNS1_3genE4ELNS1_11target_archE910ELNS1_3gpuE8ELNS1_3repE0EEENS1_30default_config_static_selectorELNS0_4arch9wavefront6targetE1EEEvSZ_, .Lfunc_end650-_ZN7rocprim17ROCPRIM_400000_NS6detail17trampoline_kernelINS0_13select_configILj256ELj13ELNS0_17block_load_methodE3ELS4_3ELS4_3ELNS0_20block_scan_algorithmE0ELj4294967295EEENS1_25partition_config_selectorILNS1_17partition_subalgoE4EjNS0_10empty_typeEbEEZZNS1_14partition_implILS8_4ELb0ES6_15HIP_vector_typeIjLj2EENS0_17counting_iteratorIjlEEPS9_SG_NS0_5tupleIJPjSI_NS0_16reverse_iteratorISI_EEEEENSH_IJSG_SG_SG_EEES9_SI_JZNS1_25segmented_radix_sort_implINS0_14default_configELb1EPKlPlSQ_SR_N2at6native12_GLOBAL__N_18offset_tEEE10hipError_tPvRmT1_PNSt15iterator_traitsISZ_E10value_typeET2_T3_PNS10_IS15_E10value_typeET4_jRbjT5_S1B_jjP12ihipStream_tbEUljE_ZNSN_ISO_Lb1ESQ_SR_SQ_SR_SV_EESW_SX_SY_SZ_S13_S14_S15_S18_S19_jS1A_jS1B_S1B_jjS1D_bEUljE0_EEESW_SX_SY_S15_S19_S1B_T6_T7_T9_mT8_S1D_bDpT10_ENKUlT_T0_E_clISt17integral_constantIbLb1EES1R_EEDaS1M_S1N_EUlS1M_E_NS1_11comp_targetILNS1_3genE4ELNS1_11target_archE910ELNS1_3gpuE8ELNS1_3repE0EEENS1_30default_config_static_selectorELNS0_4arch9wavefront6targetE1EEEvSZ_
                                        ; -- End function
	.set _ZN7rocprim17ROCPRIM_400000_NS6detail17trampoline_kernelINS0_13select_configILj256ELj13ELNS0_17block_load_methodE3ELS4_3ELS4_3ELNS0_20block_scan_algorithmE0ELj4294967295EEENS1_25partition_config_selectorILNS1_17partition_subalgoE4EjNS0_10empty_typeEbEEZZNS1_14partition_implILS8_4ELb0ES6_15HIP_vector_typeIjLj2EENS0_17counting_iteratorIjlEEPS9_SG_NS0_5tupleIJPjSI_NS0_16reverse_iteratorISI_EEEEENSH_IJSG_SG_SG_EEES9_SI_JZNS1_25segmented_radix_sort_implINS0_14default_configELb1EPKlPlSQ_SR_N2at6native12_GLOBAL__N_18offset_tEEE10hipError_tPvRmT1_PNSt15iterator_traitsISZ_E10value_typeET2_T3_PNS10_IS15_E10value_typeET4_jRbjT5_S1B_jjP12ihipStream_tbEUljE_ZNSN_ISO_Lb1ESQ_SR_SQ_SR_SV_EESW_SX_SY_SZ_S13_S14_S15_S18_S19_jS1A_jS1B_S1B_jjS1D_bEUljE0_EEESW_SX_SY_S15_S19_S1B_T6_T7_T9_mT8_S1D_bDpT10_ENKUlT_T0_E_clISt17integral_constantIbLb1EES1R_EEDaS1M_S1N_EUlS1M_E_NS1_11comp_targetILNS1_3genE4ELNS1_11target_archE910ELNS1_3gpuE8ELNS1_3repE0EEENS1_30default_config_static_selectorELNS0_4arch9wavefront6targetE1EEEvSZ_.num_vgpr, 0
	.set _ZN7rocprim17ROCPRIM_400000_NS6detail17trampoline_kernelINS0_13select_configILj256ELj13ELNS0_17block_load_methodE3ELS4_3ELS4_3ELNS0_20block_scan_algorithmE0ELj4294967295EEENS1_25partition_config_selectorILNS1_17partition_subalgoE4EjNS0_10empty_typeEbEEZZNS1_14partition_implILS8_4ELb0ES6_15HIP_vector_typeIjLj2EENS0_17counting_iteratorIjlEEPS9_SG_NS0_5tupleIJPjSI_NS0_16reverse_iteratorISI_EEEEENSH_IJSG_SG_SG_EEES9_SI_JZNS1_25segmented_radix_sort_implINS0_14default_configELb1EPKlPlSQ_SR_N2at6native12_GLOBAL__N_18offset_tEEE10hipError_tPvRmT1_PNSt15iterator_traitsISZ_E10value_typeET2_T3_PNS10_IS15_E10value_typeET4_jRbjT5_S1B_jjP12ihipStream_tbEUljE_ZNSN_ISO_Lb1ESQ_SR_SQ_SR_SV_EESW_SX_SY_SZ_S13_S14_S15_S18_S19_jS1A_jS1B_S1B_jjS1D_bEUljE0_EEESW_SX_SY_S15_S19_S1B_T6_T7_T9_mT8_S1D_bDpT10_ENKUlT_T0_E_clISt17integral_constantIbLb1EES1R_EEDaS1M_S1N_EUlS1M_E_NS1_11comp_targetILNS1_3genE4ELNS1_11target_archE910ELNS1_3gpuE8ELNS1_3repE0EEENS1_30default_config_static_selectorELNS0_4arch9wavefront6targetE1EEEvSZ_.num_agpr, 0
	.set _ZN7rocprim17ROCPRIM_400000_NS6detail17trampoline_kernelINS0_13select_configILj256ELj13ELNS0_17block_load_methodE3ELS4_3ELS4_3ELNS0_20block_scan_algorithmE0ELj4294967295EEENS1_25partition_config_selectorILNS1_17partition_subalgoE4EjNS0_10empty_typeEbEEZZNS1_14partition_implILS8_4ELb0ES6_15HIP_vector_typeIjLj2EENS0_17counting_iteratorIjlEEPS9_SG_NS0_5tupleIJPjSI_NS0_16reverse_iteratorISI_EEEEENSH_IJSG_SG_SG_EEES9_SI_JZNS1_25segmented_radix_sort_implINS0_14default_configELb1EPKlPlSQ_SR_N2at6native12_GLOBAL__N_18offset_tEEE10hipError_tPvRmT1_PNSt15iterator_traitsISZ_E10value_typeET2_T3_PNS10_IS15_E10value_typeET4_jRbjT5_S1B_jjP12ihipStream_tbEUljE_ZNSN_ISO_Lb1ESQ_SR_SQ_SR_SV_EESW_SX_SY_SZ_S13_S14_S15_S18_S19_jS1A_jS1B_S1B_jjS1D_bEUljE0_EEESW_SX_SY_S15_S19_S1B_T6_T7_T9_mT8_S1D_bDpT10_ENKUlT_T0_E_clISt17integral_constantIbLb1EES1R_EEDaS1M_S1N_EUlS1M_E_NS1_11comp_targetILNS1_3genE4ELNS1_11target_archE910ELNS1_3gpuE8ELNS1_3repE0EEENS1_30default_config_static_selectorELNS0_4arch9wavefront6targetE1EEEvSZ_.numbered_sgpr, 0
	.set _ZN7rocprim17ROCPRIM_400000_NS6detail17trampoline_kernelINS0_13select_configILj256ELj13ELNS0_17block_load_methodE3ELS4_3ELS4_3ELNS0_20block_scan_algorithmE0ELj4294967295EEENS1_25partition_config_selectorILNS1_17partition_subalgoE4EjNS0_10empty_typeEbEEZZNS1_14partition_implILS8_4ELb0ES6_15HIP_vector_typeIjLj2EENS0_17counting_iteratorIjlEEPS9_SG_NS0_5tupleIJPjSI_NS0_16reverse_iteratorISI_EEEEENSH_IJSG_SG_SG_EEES9_SI_JZNS1_25segmented_radix_sort_implINS0_14default_configELb1EPKlPlSQ_SR_N2at6native12_GLOBAL__N_18offset_tEEE10hipError_tPvRmT1_PNSt15iterator_traitsISZ_E10value_typeET2_T3_PNS10_IS15_E10value_typeET4_jRbjT5_S1B_jjP12ihipStream_tbEUljE_ZNSN_ISO_Lb1ESQ_SR_SQ_SR_SV_EESW_SX_SY_SZ_S13_S14_S15_S18_S19_jS1A_jS1B_S1B_jjS1D_bEUljE0_EEESW_SX_SY_S15_S19_S1B_T6_T7_T9_mT8_S1D_bDpT10_ENKUlT_T0_E_clISt17integral_constantIbLb1EES1R_EEDaS1M_S1N_EUlS1M_E_NS1_11comp_targetILNS1_3genE4ELNS1_11target_archE910ELNS1_3gpuE8ELNS1_3repE0EEENS1_30default_config_static_selectorELNS0_4arch9wavefront6targetE1EEEvSZ_.num_named_barrier, 0
	.set _ZN7rocprim17ROCPRIM_400000_NS6detail17trampoline_kernelINS0_13select_configILj256ELj13ELNS0_17block_load_methodE3ELS4_3ELS4_3ELNS0_20block_scan_algorithmE0ELj4294967295EEENS1_25partition_config_selectorILNS1_17partition_subalgoE4EjNS0_10empty_typeEbEEZZNS1_14partition_implILS8_4ELb0ES6_15HIP_vector_typeIjLj2EENS0_17counting_iteratorIjlEEPS9_SG_NS0_5tupleIJPjSI_NS0_16reverse_iteratorISI_EEEEENSH_IJSG_SG_SG_EEES9_SI_JZNS1_25segmented_radix_sort_implINS0_14default_configELb1EPKlPlSQ_SR_N2at6native12_GLOBAL__N_18offset_tEEE10hipError_tPvRmT1_PNSt15iterator_traitsISZ_E10value_typeET2_T3_PNS10_IS15_E10value_typeET4_jRbjT5_S1B_jjP12ihipStream_tbEUljE_ZNSN_ISO_Lb1ESQ_SR_SQ_SR_SV_EESW_SX_SY_SZ_S13_S14_S15_S18_S19_jS1A_jS1B_S1B_jjS1D_bEUljE0_EEESW_SX_SY_S15_S19_S1B_T6_T7_T9_mT8_S1D_bDpT10_ENKUlT_T0_E_clISt17integral_constantIbLb1EES1R_EEDaS1M_S1N_EUlS1M_E_NS1_11comp_targetILNS1_3genE4ELNS1_11target_archE910ELNS1_3gpuE8ELNS1_3repE0EEENS1_30default_config_static_selectorELNS0_4arch9wavefront6targetE1EEEvSZ_.private_seg_size, 0
	.set _ZN7rocprim17ROCPRIM_400000_NS6detail17trampoline_kernelINS0_13select_configILj256ELj13ELNS0_17block_load_methodE3ELS4_3ELS4_3ELNS0_20block_scan_algorithmE0ELj4294967295EEENS1_25partition_config_selectorILNS1_17partition_subalgoE4EjNS0_10empty_typeEbEEZZNS1_14partition_implILS8_4ELb0ES6_15HIP_vector_typeIjLj2EENS0_17counting_iteratorIjlEEPS9_SG_NS0_5tupleIJPjSI_NS0_16reverse_iteratorISI_EEEEENSH_IJSG_SG_SG_EEES9_SI_JZNS1_25segmented_radix_sort_implINS0_14default_configELb1EPKlPlSQ_SR_N2at6native12_GLOBAL__N_18offset_tEEE10hipError_tPvRmT1_PNSt15iterator_traitsISZ_E10value_typeET2_T3_PNS10_IS15_E10value_typeET4_jRbjT5_S1B_jjP12ihipStream_tbEUljE_ZNSN_ISO_Lb1ESQ_SR_SQ_SR_SV_EESW_SX_SY_SZ_S13_S14_S15_S18_S19_jS1A_jS1B_S1B_jjS1D_bEUljE0_EEESW_SX_SY_S15_S19_S1B_T6_T7_T9_mT8_S1D_bDpT10_ENKUlT_T0_E_clISt17integral_constantIbLb1EES1R_EEDaS1M_S1N_EUlS1M_E_NS1_11comp_targetILNS1_3genE4ELNS1_11target_archE910ELNS1_3gpuE8ELNS1_3repE0EEENS1_30default_config_static_selectorELNS0_4arch9wavefront6targetE1EEEvSZ_.uses_vcc, 0
	.set _ZN7rocprim17ROCPRIM_400000_NS6detail17trampoline_kernelINS0_13select_configILj256ELj13ELNS0_17block_load_methodE3ELS4_3ELS4_3ELNS0_20block_scan_algorithmE0ELj4294967295EEENS1_25partition_config_selectorILNS1_17partition_subalgoE4EjNS0_10empty_typeEbEEZZNS1_14partition_implILS8_4ELb0ES6_15HIP_vector_typeIjLj2EENS0_17counting_iteratorIjlEEPS9_SG_NS0_5tupleIJPjSI_NS0_16reverse_iteratorISI_EEEEENSH_IJSG_SG_SG_EEES9_SI_JZNS1_25segmented_radix_sort_implINS0_14default_configELb1EPKlPlSQ_SR_N2at6native12_GLOBAL__N_18offset_tEEE10hipError_tPvRmT1_PNSt15iterator_traitsISZ_E10value_typeET2_T3_PNS10_IS15_E10value_typeET4_jRbjT5_S1B_jjP12ihipStream_tbEUljE_ZNSN_ISO_Lb1ESQ_SR_SQ_SR_SV_EESW_SX_SY_SZ_S13_S14_S15_S18_S19_jS1A_jS1B_S1B_jjS1D_bEUljE0_EEESW_SX_SY_S15_S19_S1B_T6_T7_T9_mT8_S1D_bDpT10_ENKUlT_T0_E_clISt17integral_constantIbLb1EES1R_EEDaS1M_S1N_EUlS1M_E_NS1_11comp_targetILNS1_3genE4ELNS1_11target_archE910ELNS1_3gpuE8ELNS1_3repE0EEENS1_30default_config_static_selectorELNS0_4arch9wavefront6targetE1EEEvSZ_.uses_flat_scratch, 0
	.set _ZN7rocprim17ROCPRIM_400000_NS6detail17trampoline_kernelINS0_13select_configILj256ELj13ELNS0_17block_load_methodE3ELS4_3ELS4_3ELNS0_20block_scan_algorithmE0ELj4294967295EEENS1_25partition_config_selectorILNS1_17partition_subalgoE4EjNS0_10empty_typeEbEEZZNS1_14partition_implILS8_4ELb0ES6_15HIP_vector_typeIjLj2EENS0_17counting_iteratorIjlEEPS9_SG_NS0_5tupleIJPjSI_NS0_16reverse_iteratorISI_EEEEENSH_IJSG_SG_SG_EEES9_SI_JZNS1_25segmented_radix_sort_implINS0_14default_configELb1EPKlPlSQ_SR_N2at6native12_GLOBAL__N_18offset_tEEE10hipError_tPvRmT1_PNSt15iterator_traitsISZ_E10value_typeET2_T3_PNS10_IS15_E10value_typeET4_jRbjT5_S1B_jjP12ihipStream_tbEUljE_ZNSN_ISO_Lb1ESQ_SR_SQ_SR_SV_EESW_SX_SY_SZ_S13_S14_S15_S18_S19_jS1A_jS1B_S1B_jjS1D_bEUljE0_EEESW_SX_SY_S15_S19_S1B_T6_T7_T9_mT8_S1D_bDpT10_ENKUlT_T0_E_clISt17integral_constantIbLb1EES1R_EEDaS1M_S1N_EUlS1M_E_NS1_11comp_targetILNS1_3genE4ELNS1_11target_archE910ELNS1_3gpuE8ELNS1_3repE0EEENS1_30default_config_static_selectorELNS0_4arch9wavefront6targetE1EEEvSZ_.has_dyn_sized_stack, 0
	.set _ZN7rocprim17ROCPRIM_400000_NS6detail17trampoline_kernelINS0_13select_configILj256ELj13ELNS0_17block_load_methodE3ELS4_3ELS4_3ELNS0_20block_scan_algorithmE0ELj4294967295EEENS1_25partition_config_selectorILNS1_17partition_subalgoE4EjNS0_10empty_typeEbEEZZNS1_14partition_implILS8_4ELb0ES6_15HIP_vector_typeIjLj2EENS0_17counting_iteratorIjlEEPS9_SG_NS0_5tupleIJPjSI_NS0_16reverse_iteratorISI_EEEEENSH_IJSG_SG_SG_EEES9_SI_JZNS1_25segmented_radix_sort_implINS0_14default_configELb1EPKlPlSQ_SR_N2at6native12_GLOBAL__N_18offset_tEEE10hipError_tPvRmT1_PNSt15iterator_traitsISZ_E10value_typeET2_T3_PNS10_IS15_E10value_typeET4_jRbjT5_S1B_jjP12ihipStream_tbEUljE_ZNSN_ISO_Lb1ESQ_SR_SQ_SR_SV_EESW_SX_SY_SZ_S13_S14_S15_S18_S19_jS1A_jS1B_S1B_jjS1D_bEUljE0_EEESW_SX_SY_S15_S19_S1B_T6_T7_T9_mT8_S1D_bDpT10_ENKUlT_T0_E_clISt17integral_constantIbLb1EES1R_EEDaS1M_S1N_EUlS1M_E_NS1_11comp_targetILNS1_3genE4ELNS1_11target_archE910ELNS1_3gpuE8ELNS1_3repE0EEENS1_30default_config_static_selectorELNS0_4arch9wavefront6targetE1EEEvSZ_.has_recursion, 0
	.set _ZN7rocprim17ROCPRIM_400000_NS6detail17trampoline_kernelINS0_13select_configILj256ELj13ELNS0_17block_load_methodE3ELS4_3ELS4_3ELNS0_20block_scan_algorithmE0ELj4294967295EEENS1_25partition_config_selectorILNS1_17partition_subalgoE4EjNS0_10empty_typeEbEEZZNS1_14partition_implILS8_4ELb0ES6_15HIP_vector_typeIjLj2EENS0_17counting_iteratorIjlEEPS9_SG_NS0_5tupleIJPjSI_NS0_16reverse_iteratorISI_EEEEENSH_IJSG_SG_SG_EEES9_SI_JZNS1_25segmented_radix_sort_implINS0_14default_configELb1EPKlPlSQ_SR_N2at6native12_GLOBAL__N_18offset_tEEE10hipError_tPvRmT1_PNSt15iterator_traitsISZ_E10value_typeET2_T3_PNS10_IS15_E10value_typeET4_jRbjT5_S1B_jjP12ihipStream_tbEUljE_ZNSN_ISO_Lb1ESQ_SR_SQ_SR_SV_EESW_SX_SY_SZ_S13_S14_S15_S18_S19_jS1A_jS1B_S1B_jjS1D_bEUljE0_EEESW_SX_SY_S15_S19_S1B_T6_T7_T9_mT8_S1D_bDpT10_ENKUlT_T0_E_clISt17integral_constantIbLb1EES1R_EEDaS1M_S1N_EUlS1M_E_NS1_11comp_targetILNS1_3genE4ELNS1_11target_archE910ELNS1_3gpuE8ELNS1_3repE0EEENS1_30default_config_static_selectorELNS0_4arch9wavefront6targetE1EEEvSZ_.has_indirect_call, 0
	.section	.AMDGPU.csdata,"",@progbits
; Kernel info:
; codeLenInByte = 0
; TotalNumSgprs: 4
; NumVgprs: 0
; ScratchSize: 0
; MemoryBound: 0
; FloatMode: 240
; IeeeMode: 1
; LDSByteSize: 0 bytes/workgroup (compile time only)
; SGPRBlocks: 0
; VGPRBlocks: 0
; NumSGPRsForWavesPerEU: 4
; NumVGPRsForWavesPerEU: 1
; Occupancy: 10
; WaveLimiterHint : 0
; COMPUTE_PGM_RSRC2:SCRATCH_EN: 0
; COMPUTE_PGM_RSRC2:USER_SGPR: 6
; COMPUTE_PGM_RSRC2:TRAP_HANDLER: 0
; COMPUTE_PGM_RSRC2:TGID_X_EN: 1
; COMPUTE_PGM_RSRC2:TGID_Y_EN: 0
; COMPUTE_PGM_RSRC2:TGID_Z_EN: 0
; COMPUTE_PGM_RSRC2:TIDIG_COMP_CNT: 0
	.section	.text._ZN7rocprim17ROCPRIM_400000_NS6detail17trampoline_kernelINS0_13select_configILj256ELj13ELNS0_17block_load_methodE3ELS4_3ELS4_3ELNS0_20block_scan_algorithmE0ELj4294967295EEENS1_25partition_config_selectorILNS1_17partition_subalgoE4EjNS0_10empty_typeEbEEZZNS1_14partition_implILS8_4ELb0ES6_15HIP_vector_typeIjLj2EENS0_17counting_iteratorIjlEEPS9_SG_NS0_5tupleIJPjSI_NS0_16reverse_iteratorISI_EEEEENSH_IJSG_SG_SG_EEES9_SI_JZNS1_25segmented_radix_sort_implINS0_14default_configELb1EPKlPlSQ_SR_N2at6native12_GLOBAL__N_18offset_tEEE10hipError_tPvRmT1_PNSt15iterator_traitsISZ_E10value_typeET2_T3_PNS10_IS15_E10value_typeET4_jRbjT5_S1B_jjP12ihipStream_tbEUljE_ZNSN_ISO_Lb1ESQ_SR_SQ_SR_SV_EESW_SX_SY_SZ_S13_S14_S15_S18_S19_jS1A_jS1B_S1B_jjS1D_bEUljE0_EEESW_SX_SY_S15_S19_S1B_T6_T7_T9_mT8_S1D_bDpT10_ENKUlT_T0_E_clISt17integral_constantIbLb1EES1R_EEDaS1M_S1N_EUlS1M_E_NS1_11comp_targetILNS1_3genE3ELNS1_11target_archE908ELNS1_3gpuE7ELNS1_3repE0EEENS1_30default_config_static_selectorELNS0_4arch9wavefront6targetE1EEEvSZ_,"axG",@progbits,_ZN7rocprim17ROCPRIM_400000_NS6detail17trampoline_kernelINS0_13select_configILj256ELj13ELNS0_17block_load_methodE3ELS4_3ELS4_3ELNS0_20block_scan_algorithmE0ELj4294967295EEENS1_25partition_config_selectorILNS1_17partition_subalgoE4EjNS0_10empty_typeEbEEZZNS1_14partition_implILS8_4ELb0ES6_15HIP_vector_typeIjLj2EENS0_17counting_iteratorIjlEEPS9_SG_NS0_5tupleIJPjSI_NS0_16reverse_iteratorISI_EEEEENSH_IJSG_SG_SG_EEES9_SI_JZNS1_25segmented_radix_sort_implINS0_14default_configELb1EPKlPlSQ_SR_N2at6native12_GLOBAL__N_18offset_tEEE10hipError_tPvRmT1_PNSt15iterator_traitsISZ_E10value_typeET2_T3_PNS10_IS15_E10value_typeET4_jRbjT5_S1B_jjP12ihipStream_tbEUljE_ZNSN_ISO_Lb1ESQ_SR_SQ_SR_SV_EESW_SX_SY_SZ_S13_S14_S15_S18_S19_jS1A_jS1B_S1B_jjS1D_bEUljE0_EEESW_SX_SY_S15_S19_S1B_T6_T7_T9_mT8_S1D_bDpT10_ENKUlT_T0_E_clISt17integral_constantIbLb1EES1R_EEDaS1M_S1N_EUlS1M_E_NS1_11comp_targetILNS1_3genE3ELNS1_11target_archE908ELNS1_3gpuE7ELNS1_3repE0EEENS1_30default_config_static_selectorELNS0_4arch9wavefront6targetE1EEEvSZ_,comdat
	.globl	_ZN7rocprim17ROCPRIM_400000_NS6detail17trampoline_kernelINS0_13select_configILj256ELj13ELNS0_17block_load_methodE3ELS4_3ELS4_3ELNS0_20block_scan_algorithmE0ELj4294967295EEENS1_25partition_config_selectorILNS1_17partition_subalgoE4EjNS0_10empty_typeEbEEZZNS1_14partition_implILS8_4ELb0ES6_15HIP_vector_typeIjLj2EENS0_17counting_iteratorIjlEEPS9_SG_NS0_5tupleIJPjSI_NS0_16reverse_iteratorISI_EEEEENSH_IJSG_SG_SG_EEES9_SI_JZNS1_25segmented_radix_sort_implINS0_14default_configELb1EPKlPlSQ_SR_N2at6native12_GLOBAL__N_18offset_tEEE10hipError_tPvRmT1_PNSt15iterator_traitsISZ_E10value_typeET2_T3_PNS10_IS15_E10value_typeET4_jRbjT5_S1B_jjP12ihipStream_tbEUljE_ZNSN_ISO_Lb1ESQ_SR_SQ_SR_SV_EESW_SX_SY_SZ_S13_S14_S15_S18_S19_jS1A_jS1B_S1B_jjS1D_bEUljE0_EEESW_SX_SY_S15_S19_S1B_T6_T7_T9_mT8_S1D_bDpT10_ENKUlT_T0_E_clISt17integral_constantIbLb1EES1R_EEDaS1M_S1N_EUlS1M_E_NS1_11comp_targetILNS1_3genE3ELNS1_11target_archE908ELNS1_3gpuE7ELNS1_3repE0EEENS1_30default_config_static_selectorELNS0_4arch9wavefront6targetE1EEEvSZ_ ; -- Begin function _ZN7rocprim17ROCPRIM_400000_NS6detail17trampoline_kernelINS0_13select_configILj256ELj13ELNS0_17block_load_methodE3ELS4_3ELS4_3ELNS0_20block_scan_algorithmE0ELj4294967295EEENS1_25partition_config_selectorILNS1_17partition_subalgoE4EjNS0_10empty_typeEbEEZZNS1_14partition_implILS8_4ELb0ES6_15HIP_vector_typeIjLj2EENS0_17counting_iteratorIjlEEPS9_SG_NS0_5tupleIJPjSI_NS0_16reverse_iteratorISI_EEEEENSH_IJSG_SG_SG_EEES9_SI_JZNS1_25segmented_radix_sort_implINS0_14default_configELb1EPKlPlSQ_SR_N2at6native12_GLOBAL__N_18offset_tEEE10hipError_tPvRmT1_PNSt15iterator_traitsISZ_E10value_typeET2_T3_PNS10_IS15_E10value_typeET4_jRbjT5_S1B_jjP12ihipStream_tbEUljE_ZNSN_ISO_Lb1ESQ_SR_SQ_SR_SV_EESW_SX_SY_SZ_S13_S14_S15_S18_S19_jS1A_jS1B_S1B_jjS1D_bEUljE0_EEESW_SX_SY_S15_S19_S1B_T6_T7_T9_mT8_S1D_bDpT10_ENKUlT_T0_E_clISt17integral_constantIbLb1EES1R_EEDaS1M_S1N_EUlS1M_E_NS1_11comp_targetILNS1_3genE3ELNS1_11target_archE908ELNS1_3gpuE7ELNS1_3repE0EEENS1_30default_config_static_selectorELNS0_4arch9wavefront6targetE1EEEvSZ_
	.p2align	8
	.type	_ZN7rocprim17ROCPRIM_400000_NS6detail17trampoline_kernelINS0_13select_configILj256ELj13ELNS0_17block_load_methodE3ELS4_3ELS4_3ELNS0_20block_scan_algorithmE0ELj4294967295EEENS1_25partition_config_selectorILNS1_17partition_subalgoE4EjNS0_10empty_typeEbEEZZNS1_14partition_implILS8_4ELb0ES6_15HIP_vector_typeIjLj2EENS0_17counting_iteratorIjlEEPS9_SG_NS0_5tupleIJPjSI_NS0_16reverse_iteratorISI_EEEEENSH_IJSG_SG_SG_EEES9_SI_JZNS1_25segmented_radix_sort_implINS0_14default_configELb1EPKlPlSQ_SR_N2at6native12_GLOBAL__N_18offset_tEEE10hipError_tPvRmT1_PNSt15iterator_traitsISZ_E10value_typeET2_T3_PNS10_IS15_E10value_typeET4_jRbjT5_S1B_jjP12ihipStream_tbEUljE_ZNSN_ISO_Lb1ESQ_SR_SQ_SR_SV_EESW_SX_SY_SZ_S13_S14_S15_S18_S19_jS1A_jS1B_S1B_jjS1D_bEUljE0_EEESW_SX_SY_S15_S19_S1B_T6_T7_T9_mT8_S1D_bDpT10_ENKUlT_T0_E_clISt17integral_constantIbLb1EES1R_EEDaS1M_S1N_EUlS1M_E_NS1_11comp_targetILNS1_3genE3ELNS1_11target_archE908ELNS1_3gpuE7ELNS1_3repE0EEENS1_30default_config_static_selectorELNS0_4arch9wavefront6targetE1EEEvSZ_,@function
_ZN7rocprim17ROCPRIM_400000_NS6detail17trampoline_kernelINS0_13select_configILj256ELj13ELNS0_17block_load_methodE3ELS4_3ELS4_3ELNS0_20block_scan_algorithmE0ELj4294967295EEENS1_25partition_config_selectorILNS1_17partition_subalgoE4EjNS0_10empty_typeEbEEZZNS1_14partition_implILS8_4ELb0ES6_15HIP_vector_typeIjLj2EENS0_17counting_iteratorIjlEEPS9_SG_NS0_5tupleIJPjSI_NS0_16reverse_iteratorISI_EEEEENSH_IJSG_SG_SG_EEES9_SI_JZNS1_25segmented_radix_sort_implINS0_14default_configELb1EPKlPlSQ_SR_N2at6native12_GLOBAL__N_18offset_tEEE10hipError_tPvRmT1_PNSt15iterator_traitsISZ_E10value_typeET2_T3_PNS10_IS15_E10value_typeET4_jRbjT5_S1B_jjP12ihipStream_tbEUljE_ZNSN_ISO_Lb1ESQ_SR_SQ_SR_SV_EESW_SX_SY_SZ_S13_S14_S15_S18_S19_jS1A_jS1B_S1B_jjS1D_bEUljE0_EEESW_SX_SY_S15_S19_S1B_T6_T7_T9_mT8_S1D_bDpT10_ENKUlT_T0_E_clISt17integral_constantIbLb1EES1R_EEDaS1M_S1N_EUlS1M_E_NS1_11comp_targetILNS1_3genE3ELNS1_11target_archE908ELNS1_3gpuE7ELNS1_3repE0EEENS1_30default_config_static_selectorELNS0_4arch9wavefront6targetE1EEEvSZ_: ; @_ZN7rocprim17ROCPRIM_400000_NS6detail17trampoline_kernelINS0_13select_configILj256ELj13ELNS0_17block_load_methodE3ELS4_3ELS4_3ELNS0_20block_scan_algorithmE0ELj4294967295EEENS1_25partition_config_selectorILNS1_17partition_subalgoE4EjNS0_10empty_typeEbEEZZNS1_14partition_implILS8_4ELb0ES6_15HIP_vector_typeIjLj2EENS0_17counting_iteratorIjlEEPS9_SG_NS0_5tupleIJPjSI_NS0_16reverse_iteratorISI_EEEEENSH_IJSG_SG_SG_EEES9_SI_JZNS1_25segmented_radix_sort_implINS0_14default_configELb1EPKlPlSQ_SR_N2at6native12_GLOBAL__N_18offset_tEEE10hipError_tPvRmT1_PNSt15iterator_traitsISZ_E10value_typeET2_T3_PNS10_IS15_E10value_typeET4_jRbjT5_S1B_jjP12ihipStream_tbEUljE_ZNSN_ISO_Lb1ESQ_SR_SQ_SR_SV_EESW_SX_SY_SZ_S13_S14_S15_S18_S19_jS1A_jS1B_S1B_jjS1D_bEUljE0_EEESW_SX_SY_S15_S19_S1B_T6_T7_T9_mT8_S1D_bDpT10_ENKUlT_T0_E_clISt17integral_constantIbLb1EES1R_EEDaS1M_S1N_EUlS1M_E_NS1_11comp_targetILNS1_3genE3ELNS1_11target_archE908ELNS1_3gpuE7ELNS1_3repE0EEENS1_30default_config_static_selectorELNS0_4arch9wavefront6targetE1EEEvSZ_
; %bb.0:
	.section	.rodata,"a",@progbits
	.p2align	6, 0x0
	.amdhsa_kernel _ZN7rocprim17ROCPRIM_400000_NS6detail17trampoline_kernelINS0_13select_configILj256ELj13ELNS0_17block_load_methodE3ELS4_3ELS4_3ELNS0_20block_scan_algorithmE0ELj4294967295EEENS1_25partition_config_selectorILNS1_17partition_subalgoE4EjNS0_10empty_typeEbEEZZNS1_14partition_implILS8_4ELb0ES6_15HIP_vector_typeIjLj2EENS0_17counting_iteratorIjlEEPS9_SG_NS0_5tupleIJPjSI_NS0_16reverse_iteratorISI_EEEEENSH_IJSG_SG_SG_EEES9_SI_JZNS1_25segmented_radix_sort_implINS0_14default_configELb1EPKlPlSQ_SR_N2at6native12_GLOBAL__N_18offset_tEEE10hipError_tPvRmT1_PNSt15iterator_traitsISZ_E10value_typeET2_T3_PNS10_IS15_E10value_typeET4_jRbjT5_S1B_jjP12ihipStream_tbEUljE_ZNSN_ISO_Lb1ESQ_SR_SQ_SR_SV_EESW_SX_SY_SZ_S13_S14_S15_S18_S19_jS1A_jS1B_S1B_jjS1D_bEUljE0_EEESW_SX_SY_S15_S19_S1B_T6_T7_T9_mT8_S1D_bDpT10_ENKUlT_T0_E_clISt17integral_constantIbLb1EES1R_EEDaS1M_S1N_EUlS1M_E_NS1_11comp_targetILNS1_3genE3ELNS1_11target_archE908ELNS1_3gpuE7ELNS1_3repE0EEENS1_30default_config_static_selectorELNS0_4arch9wavefront6targetE1EEEvSZ_
		.amdhsa_group_segment_fixed_size 0
		.amdhsa_private_segment_fixed_size 0
		.amdhsa_kernarg_size 184
		.amdhsa_user_sgpr_count 6
		.amdhsa_user_sgpr_private_segment_buffer 1
		.amdhsa_user_sgpr_dispatch_ptr 0
		.amdhsa_user_sgpr_queue_ptr 0
		.amdhsa_user_sgpr_kernarg_segment_ptr 1
		.amdhsa_user_sgpr_dispatch_id 0
		.amdhsa_user_sgpr_flat_scratch_init 0
		.amdhsa_user_sgpr_private_segment_size 0
		.amdhsa_uses_dynamic_stack 0
		.amdhsa_system_sgpr_private_segment_wavefront_offset 0
		.amdhsa_system_sgpr_workgroup_id_x 1
		.amdhsa_system_sgpr_workgroup_id_y 0
		.amdhsa_system_sgpr_workgroup_id_z 0
		.amdhsa_system_sgpr_workgroup_info 0
		.amdhsa_system_vgpr_workitem_id 0
		.amdhsa_next_free_vgpr 1
		.amdhsa_next_free_sgpr 0
		.amdhsa_reserve_vcc 0
		.amdhsa_reserve_flat_scratch 0
		.amdhsa_float_round_mode_32 0
		.amdhsa_float_round_mode_16_64 0
		.amdhsa_float_denorm_mode_32 3
		.amdhsa_float_denorm_mode_16_64 3
		.amdhsa_dx10_clamp 1
		.amdhsa_ieee_mode 1
		.amdhsa_fp16_overflow 0
		.amdhsa_exception_fp_ieee_invalid_op 0
		.amdhsa_exception_fp_denorm_src 0
		.amdhsa_exception_fp_ieee_div_zero 0
		.amdhsa_exception_fp_ieee_overflow 0
		.amdhsa_exception_fp_ieee_underflow 0
		.amdhsa_exception_fp_ieee_inexact 0
		.amdhsa_exception_int_div_zero 0
	.end_amdhsa_kernel
	.section	.text._ZN7rocprim17ROCPRIM_400000_NS6detail17trampoline_kernelINS0_13select_configILj256ELj13ELNS0_17block_load_methodE3ELS4_3ELS4_3ELNS0_20block_scan_algorithmE0ELj4294967295EEENS1_25partition_config_selectorILNS1_17partition_subalgoE4EjNS0_10empty_typeEbEEZZNS1_14partition_implILS8_4ELb0ES6_15HIP_vector_typeIjLj2EENS0_17counting_iteratorIjlEEPS9_SG_NS0_5tupleIJPjSI_NS0_16reverse_iteratorISI_EEEEENSH_IJSG_SG_SG_EEES9_SI_JZNS1_25segmented_radix_sort_implINS0_14default_configELb1EPKlPlSQ_SR_N2at6native12_GLOBAL__N_18offset_tEEE10hipError_tPvRmT1_PNSt15iterator_traitsISZ_E10value_typeET2_T3_PNS10_IS15_E10value_typeET4_jRbjT5_S1B_jjP12ihipStream_tbEUljE_ZNSN_ISO_Lb1ESQ_SR_SQ_SR_SV_EESW_SX_SY_SZ_S13_S14_S15_S18_S19_jS1A_jS1B_S1B_jjS1D_bEUljE0_EEESW_SX_SY_S15_S19_S1B_T6_T7_T9_mT8_S1D_bDpT10_ENKUlT_T0_E_clISt17integral_constantIbLb1EES1R_EEDaS1M_S1N_EUlS1M_E_NS1_11comp_targetILNS1_3genE3ELNS1_11target_archE908ELNS1_3gpuE7ELNS1_3repE0EEENS1_30default_config_static_selectorELNS0_4arch9wavefront6targetE1EEEvSZ_,"axG",@progbits,_ZN7rocprim17ROCPRIM_400000_NS6detail17trampoline_kernelINS0_13select_configILj256ELj13ELNS0_17block_load_methodE3ELS4_3ELS4_3ELNS0_20block_scan_algorithmE0ELj4294967295EEENS1_25partition_config_selectorILNS1_17partition_subalgoE4EjNS0_10empty_typeEbEEZZNS1_14partition_implILS8_4ELb0ES6_15HIP_vector_typeIjLj2EENS0_17counting_iteratorIjlEEPS9_SG_NS0_5tupleIJPjSI_NS0_16reverse_iteratorISI_EEEEENSH_IJSG_SG_SG_EEES9_SI_JZNS1_25segmented_radix_sort_implINS0_14default_configELb1EPKlPlSQ_SR_N2at6native12_GLOBAL__N_18offset_tEEE10hipError_tPvRmT1_PNSt15iterator_traitsISZ_E10value_typeET2_T3_PNS10_IS15_E10value_typeET4_jRbjT5_S1B_jjP12ihipStream_tbEUljE_ZNSN_ISO_Lb1ESQ_SR_SQ_SR_SV_EESW_SX_SY_SZ_S13_S14_S15_S18_S19_jS1A_jS1B_S1B_jjS1D_bEUljE0_EEESW_SX_SY_S15_S19_S1B_T6_T7_T9_mT8_S1D_bDpT10_ENKUlT_T0_E_clISt17integral_constantIbLb1EES1R_EEDaS1M_S1N_EUlS1M_E_NS1_11comp_targetILNS1_3genE3ELNS1_11target_archE908ELNS1_3gpuE7ELNS1_3repE0EEENS1_30default_config_static_selectorELNS0_4arch9wavefront6targetE1EEEvSZ_,comdat
.Lfunc_end651:
	.size	_ZN7rocprim17ROCPRIM_400000_NS6detail17trampoline_kernelINS0_13select_configILj256ELj13ELNS0_17block_load_methodE3ELS4_3ELS4_3ELNS0_20block_scan_algorithmE0ELj4294967295EEENS1_25partition_config_selectorILNS1_17partition_subalgoE4EjNS0_10empty_typeEbEEZZNS1_14partition_implILS8_4ELb0ES6_15HIP_vector_typeIjLj2EENS0_17counting_iteratorIjlEEPS9_SG_NS0_5tupleIJPjSI_NS0_16reverse_iteratorISI_EEEEENSH_IJSG_SG_SG_EEES9_SI_JZNS1_25segmented_radix_sort_implINS0_14default_configELb1EPKlPlSQ_SR_N2at6native12_GLOBAL__N_18offset_tEEE10hipError_tPvRmT1_PNSt15iterator_traitsISZ_E10value_typeET2_T3_PNS10_IS15_E10value_typeET4_jRbjT5_S1B_jjP12ihipStream_tbEUljE_ZNSN_ISO_Lb1ESQ_SR_SQ_SR_SV_EESW_SX_SY_SZ_S13_S14_S15_S18_S19_jS1A_jS1B_S1B_jjS1D_bEUljE0_EEESW_SX_SY_S15_S19_S1B_T6_T7_T9_mT8_S1D_bDpT10_ENKUlT_T0_E_clISt17integral_constantIbLb1EES1R_EEDaS1M_S1N_EUlS1M_E_NS1_11comp_targetILNS1_3genE3ELNS1_11target_archE908ELNS1_3gpuE7ELNS1_3repE0EEENS1_30default_config_static_selectorELNS0_4arch9wavefront6targetE1EEEvSZ_, .Lfunc_end651-_ZN7rocprim17ROCPRIM_400000_NS6detail17trampoline_kernelINS0_13select_configILj256ELj13ELNS0_17block_load_methodE3ELS4_3ELS4_3ELNS0_20block_scan_algorithmE0ELj4294967295EEENS1_25partition_config_selectorILNS1_17partition_subalgoE4EjNS0_10empty_typeEbEEZZNS1_14partition_implILS8_4ELb0ES6_15HIP_vector_typeIjLj2EENS0_17counting_iteratorIjlEEPS9_SG_NS0_5tupleIJPjSI_NS0_16reverse_iteratorISI_EEEEENSH_IJSG_SG_SG_EEES9_SI_JZNS1_25segmented_radix_sort_implINS0_14default_configELb1EPKlPlSQ_SR_N2at6native12_GLOBAL__N_18offset_tEEE10hipError_tPvRmT1_PNSt15iterator_traitsISZ_E10value_typeET2_T3_PNS10_IS15_E10value_typeET4_jRbjT5_S1B_jjP12ihipStream_tbEUljE_ZNSN_ISO_Lb1ESQ_SR_SQ_SR_SV_EESW_SX_SY_SZ_S13_S14_S15_S18_S19_jS1A_jS1B_S1B_jjS1D_bEUljE0_EEESW_SX_SY_S15_S19_S1B_T6_T7_T9_mT8_S1D_bDpT10_ENKUlT_T0_E_clISt17integral_constantIbLb1EES1R_EEDaS1M_S1N_EUlS1M_E_NS1_11comp_targetILNS1_3genE3ELNS1_11target_archE908ELNS1_3gpuE7ELNS1_3repE0EEENS1_30default_config_static_selectorELNS0_4arch9wavefront6targetE1EEEvSZ_
                                        ; -- End function
	.set _ZN7rocprim17ROCPRIM_400000_NS6detail17trampoline_kernelINS0_13select_configILj256ELj13ELNS0_17block_load_methodE3ELS4_3ELS4_3ELNS0_20block_scan_algorithmE0ELj4294967295EEENS1_25partition_config_selectorILNS1_17partition_subalgoE4EjNS0_10empty_typeEbEEZZNS1_14partition_implILS8_4ELb0ES6_15HIP_vector_typeIjLj2EENS0_17counting_iteratorIjlEEPS9_SG_NS0_5tupleIJPjSI_NS0_16reverse_iteratorISI_EEEEENSH_IJSG_SG_SG_EEES9_SI_JZNS1_25segmented_radix_sort_implINS0_14default_configELb1EPKlPlSQ_SR_N2at6native12_GLOBAL__N_18offset_tEEE10hipError_tPvRmT1_PNSt15iterator_traitsISZ_E10value_typeET2_T3_PNS10_IS15_E10value_typeET4_jRbjT5_S1B_jjP12ihipStream_tbEUljE_ZNSN_ISO_Lb1ESQ_SR_SQ_SR_SV_EESW_SX_SY_SZ_S13_S14_S15_S18_S19_jS1A_jS1B_S1B_jjS1D_bEUljE0_EEESW_SX_SY_S15_S19_S1B_T6_T7_T9_mT8_S1D_bDpT10_ENKUlT_T0_E_clISt17integral_constantIbLb1EES1R_EEDaS1M_S1N_EUlS1M_E_NS1_11comp_targetILNS1_3genE3ELNS1_11target_archE908ELNS1_3gpuE7ELNS1_3repE0EEENS1_30default_config_static_selectorELNS0_4arch9wavefront6targetE1EEEvSZ_.num_vgpr, 0
	.set _ZN7rocprim17ROCPRIM_400000_NS6detail17trampoline_kernelINS0_13select_configILj256ELj13ELNS0_17block_load_methodE3ELS4_3ELS4_3ELNS0_20block_scan_algorithmE0ELj4294967295EEENS1_25partition_config_selectorILNS1_17partition_subalgoE4EjNS0_10empty_typeEbEEZZNS1_14partition_implILS8_4ELb0ES6_15HIP_vector_typeIjLj2EENS0_17counting_iteratorIjlEEPS9_SG_NS0_5tupleIJPjSI_NS0_16reverse_iteratorISI_EEEEENSH_IJSG_SG_SG_EEES9_SI_JZNS1_25segmented_radix_sort_implINS0_14default_configELb1EPKlPlSQ_SR_N2at6native12_GLOBAL__N_18offset_tEEE10hipError_tPvRmT1_PNSt15iterator_traitsISZ_E10value_typeET2_T3_PNS10_IS15_E10value_typeET4_jRbjT5_S1B_jjP12ihipStream_tbEUljE_ZNSN_ISO_Lb1ESQ_SR_SQ_SR_SV_EESW_SX_SY_SZ_S13_S14_S15_S18_S19_jS1A_jS1B_S1B_jjS1D_bEUljE0_EEESW_SX_SY_S15_S19_S1B_T6_T7_T9_mT8_S1D_bDpT10_ENKUlT_T0_E_clISt17integral_constantIbLb1EES1R_EEDaS1M_S1N_EUlS1M_E_NS1_11comp_targetILNS1_3genE3ELNS1_11target_archE908ELNS1_3gpuE7ELNS1_3repE0EEENS1_30default_config_static_selectorELNS0_4arch9wavefront6targetE1EEEvSZ_.num_agpr, 0
	.set _ZN7rocprim17ROCPRIM_400000_NS6detail17trampoline_kernelINS0_13select_configILj256ELj13ELNS0_17block_load_methodE3ELS4_3ELS4_3ELNS0_20block_scan_algorithmE0ELj4294967295EEENS1_25partition_config_selectorILNS1_17partition_subalgoE4EjNS0_10empty_typeEbEEZZNS1_14partition_implILS8_4ELb0ES6_15HIP_vector_typeIjLj2EENS0_17counting_iteratorIjlEEPS9_SG_NS0_5tupleIJPjSI_NS0_16reverse_iteratorISI_EEEEENSH_IJSG_SG_SG_EEES9_SI_JZNS1_25segmented_radix_sort_implINS0_14default_configELb1EPKlPlSQ_SR_N2at6native12_GLOBAL__N_18offset_tEEE10hipError_tPvRmT1_PNSt15iterator_traitsISZ_E10value_typeET2_T3_PNS10_IS15_E10value_typeET4_jRbjT5_S1B_jjP12ihipStream_tbEUljE_ZNSN_ISO_Lb1ESQ_SR_SQ_SR_SV_EESW_SX_SY_SZ_S13_S14_S15_S18_S19_jS1A_jS1B_S1B_jjS1D_bEUljE0_EEESW_SX_SY_S15_S19_S1B_T6_T7_T9_mT8_S1D_bDpT10_ENKUlT_T0_E_clISt17integral_constantIbLb1EES1R_EEDaS1M_S1N_EUlS1M_E_NS1_11comp_targetILNS1_3genE3ELNS1_11target_archE908ELNS1_3gpuE7ELNS1_3repE0EEENS1_30default_config_static_selectorELNS0_4arch9wavefront6targetE1EEEvSZ_.numbered_sgpr, 0
	.set _ZN7rocprim17ROCPRIM_400000_NS6detail17trampoline_kernelINS0_13select_configILj256ELj13ELNS0_17block_load_methodE3ELS4_3ELS4_3ELNS0_20block_scan_algorithmE0ELj4294967295EEENS1_25partition_config_selectorILNS1_17partition_subalgoE4EjNS0_10empty_typeEbEEZZNS1_14partition_implILS8_4ELb0ES6_15HIP_vector_typeIjLj2EENS0_17counting_iteratorIjlEEPS9_SG_NS0_5tupleIJPjSI_NS0_16reverse_iteratorISI_EEEEENSH_IJSG_SG_SG_EEES9_SI_JZNS1_25segmented_radix_sort_implINS0_14default_configELb1EPKlPlSQ_SR_N2at6native12_GLOBAL__N_18offset_tEEE10hipError_tPvRmT1_PNSt15iterator_traitsISZ_E10value_typeET2_T3_PNS10_IS15_E10value_typeET4_jRbjT5_S1B_jjP12ihipStream_tbEUljE_ZNSN_ISO_Lb1ESQ_SR_SQ_SR_SV_EESW_SX_SY_SZ_S13_S14_S15_S18_S19_jS1A_jS1B_S1B_jjS1D_bEUljE0_EEESW_SX_SY_S15_S19_S1B_T6_T7_T9_mT8_S1D_bDpT10_ENKUlT_T0_E_clISt17integral_constantIbLb1EES1R_EEDaS1M_S1N_EUlS1M_E_NS1_11comp_targetILNS1_3genE3ELNS1_11target_archE908ELNS1_3gpuE7ELNS1_3repE0EEENS1_30default_config_static_selectorELNS0_4arch9wavefront6targetE1EEEvSZ_.num_named_barrier, 0
	.set _ZN7rocprim17ROCPRIM_400000_NS6detail17trampoline_kernelINS0_13select_configILj256ELj13ELNS0_17block_load_methodE3ELS4_3ELS4_3ELNS0_20block_scan_algorithmE0ELj4294967295EEENS1_25partition_config_selectorILNS1_17partition_subalgoE4EjNS0_10empty_typeEbEEZZNS1_14partition_implILS8_4ELb0ES6_15HIP_vector_typeIjLj2EENS0_17counting_iteratorIjlEEPS9_SG_NS0_5tupleIJPjSI_NS0_16reverse_iteratorISI_EEEEENSH_IJSG_SG_SG_EEES9_SI_JZNS1_25segmented_radix_sort_implINS0_14default_configELb1EPKlPlSQ_SR_N2at6native12_GLOBAL__N_18offset_tEEE10hipError_tPvRmT1_PNSt15iterator_traitsISZ_E10value_typeET2_T3_PNS10_IS15_E10value_typeET4_jRbjT5_S1B_jjP12ihipStream_tbEUljE_ZNSN_ISO_Lb1ESQ_SR_SQ_SR_SV_EESW_SX_SY_SZ_S13_S14_S15_S18_S19_jS1A_jS1B_S1B_jjS1D_bEUljE0_EEESW_SX_SY_S15_S19_S1B_T6_T7_T9_mT8_S1D_bDpT10_ENKUlT_T0_E_clISt17integral_constantIbLb1EES1R_EEDaS1M_S1N_EUlS1M_E_NS1_11comp_targetILNS1_3genE3ELNS1_11target_archE908ELNS1_3gpuE7ELNS1_3repE0EEENS1_30default_config_static_selectorELNS0_4arch9wavefront6targetE1EEEvSZ_.private_seg_size, 0
	.set _ZN7rocprim17ROCPRIM_400000_NS6detail17trampoline_kernelINS0_13select_configILj256ELj13ELNS0_17block_load_methodE3ELS4_3ELS4_3ELNS0_20block_scan_algorithmE0ELj4294967295EEENS1_25partition_config_selectorILNS1_17partition_subalgoE4EjNS0_10empty_typeEbEEZZNS1_14partition_implILS8_4ELb0ES6_15HIP_vector_typeIjLj2EENS0_17counting_iteratorIjlEEPS9_SG_NS0_5tupleIJPjSI_NS0_16reverse_iteratorISI_EEEEENSH_IJSG_SG_SG_EEES9_SI_JZNS1_25segmented_radix_sort_implINS0_14default_configELb1EPKlPlSQ_SR_N2at6native12_GLOBAL__N_18offset_tEEE10hipError_tPvRmT1_PNSt15iterator_traitsISZ_E10value_typeET2_T3_PNS10_IS15_E10value_typeET4_jRbjT5_S1B_jjP12ihipStream_tbEUljE_ZNSN_ISO_Lb1ESQ_SR_SQ_SR_SV_EESW_SX_SY_SZ_S13_S14_S15_S18_S19_jS1A_jS1B_S1B_jjS1D_bEUljE0_EEESW_SX_SY_S15_S19_S1B_T6_T7_T9_mT8_S1D_bDpT10_ENKUlT_T0_E_clISt17integral_constantIbLb1EES1R_EEDaS1M_S1N_EUlS1M_E_NS1_11comp_targetILNS1_3genE3ELNS1_11target_archE908ELNS1_3gpuE7ELNS1_3repE0EEENS1_30default_config_static_selectorELNS0_4arch9wavefront6targetE1EEEvSZ_.uses_vcc, 0
	.set _ZN7rocprim17ROCPRIM_400000_NS6detail17trampoline_kernelINS0_13select_configILj256ELj13ELNS0_17block_load_methodE3ELS4_3ELS4_3ELNS0_20block_scan_algorithmE0ELj4294967295EEENS1_25partition_config_selectorILNS1_17partition_subalgoE4EjNS0_10empty_typeEbEEZZNS1_14partition_implILS8_4ELb0ES6_15HIP_vector_typeIjLj2EENS0_17counting_iteratorIjlEEPS9_SG_NS0_5tupleIJPjSI_NS0_16reverse_iteratorISI_EEEEENSH_IJSG_SG_SG_EEES9_SI_JZNS1_25segmented_radix_sort_implINS0_14default_configELb1EPKlPlSQ_SR_N2at6native12_GLOBAL__N_18offset_tEEE10hipError_tPvRmT1_PNSt15iterator_traitsISZ_E10value_typeET2_T3_PNS10_IS15_E10value_typeET4_jRbjT5_S1B_jjP12ihipStream_tbEUljE_ZNSN_ISO_Lb1ESQ_SR_SQ_SR_SV_EESW_SX_SY_SZ_S13_S14_S15_S18_S19_jS1A_jS1B_S1B_jjS1D_bEUljE0_EEESW_SX_SY_S15_S19_S1B_T6_T7_T9_mT8_S1D_bDpT10_ENKUlT_T0_E_clISt17integral_constantIbLb1EES1R_EEDaS1M_S1N_EUlS1M_E_NS1_11comp_targetILNS1_3genE3ELNS1_11target_archE908ELNS1_3gpuE7ELNS1_3repE0EEENS1_30default_config_static_selectorELNS0_4arch9wavefront6targetE1EEEvSZ_.uses_flat_scratch, 0
	.set _ZN7rocprim17ROCPRIM_400000_NS6detail17trampoline_kernelINS0_13select_configILj256ELj13ELNS0_17block_load_methodE3ELS4_3ELS4_3ELNS0_20block_scan_algorithmE0ELj4294967295EEENS1_25partition_config_selectorILNS1_17partition_subalgoE4EjNS0_10empty_typeEbEEZZNS1_14partition_implILS8_4ELb0ES6_15HIP_vector_typeIjLj2EENS0_17counting_iteratorIjlEEPS9_SG_NS0_5tupleIJPjSI_NS0_16reverse_iteratorISI_EEEEENSH_IJSG_SG_SG_EEES9_SI_JZNS1_25segmented_radix_sort_implINS0_14default_configELb1EPKlPlSQ_SR_N2at6native12_GLOBAL__N_18offset_tEEE10hipError_tPvRmT1_PNSt15iterator_traitsISZ_E10value_typeET2_T3_PNS10_IS15_E10value_typeET4_jRbjT5_S1B_jjP12ihipStream_tbEUljE_ZNSN_ISO_Lb1ESQ_SR_SQ_SR_SV_EESW_SX_SY_SZ_S13_S14_S15_S18_S19_jS1A_jS1B_S1B_jjS1D_bEUljE0_EEESW_SX_SY_S15_S19_S1B_T6_T7_T9_mT8_S1D_bDpT10_ENKUlT_T0_E_clISt17integral_constantIbLb1EES1R_EEDaS1M_S1N_EUlS1M_E_NS1_11comp_targetILNS1_3genE3ELNS1_11target_archE908ELNS1_3gpuE7ELNS1_3repE0EEENS1_30default_config_static_selectorELNS0_4arch9wavefront6targetE1EEEvSZ_.has_dyn_sized_stack, 0
	.set _ZN7rocprim17ROCPRIM_400000_NS6detail17trampoline_kernelINS0_13select_configILj256ELj13ELNS0_17block_load_methodE3ELS4_3ELS4_3ELNS0_20block_scan_algorithmE0ELj4294967295EEENS1_25partition_config_selectorILNS1_17partition_subalgoE4EjNS0_10empty_typeEbEEZZNS1_14partition_implILS8_4ELb0ES6_15HIP_vector_typeIjLj2EENS0_17counting_iteratorIjlEEPS9_SG_NS0_5tupleIJPjSI_NS0_16reverse_iteratorISI_EEEEENSH_IJSG_SG_SG_EEES9_SI_JZNS1_25segmented_radix_sort_implINS0_14default_configELb1EPKlPlSQ_SR_N2at6native12_GLOBAL__N_18offset_tEEE10hipError_tPvRmT1_PNSt15iterator_traitsISZ_E10value_typeET2_T3_PNS10_IS15_E10value_typeET4_jRbjT5_S1B_jjP12ihipStream_tbEUljE_ZNSN_ISO_Lb1ESQ_SR_SQ_SR_SV_EESW_SX_SY_SZ_S13_S14_S15_S18_S19_jS1A_jS1B_S1B_jjS1D_bEUljE0_EEESW_SX_SY_S15_S19_S1B_T6_T7_T9_mT8_S1D_bDpT10_ENKUlT_T0_E_clISt17integral_constantIbLb1EES1R_EEDaS1M_S1N_EUlS1M_E_NS1_11comp_targetILNS1_3genE3ELNS1_11target_archE908ELNS1_3gpuE7ELNS1_3repE0EEENS1_30default_config_static_selectorELNS0_4arch9wavefront6targetE1EEEvSZ_.has_recursion, 0
	.set _ZN7rocprim17ROCPRIM_400000_NS6detail17trampoline_kernelINS0_13select_configILj256ELj13ELNS0_17block_load_methodE3ELS4_3ELS4_3ELNS0_20block_scan_algorithmE0ELj4294967295EEENS1_25partition_config_selectorILNS1_17partition_subalgoE4EjNS0_10empty_typeEbEEZZNS1_14partition_implILS8_4ELb0ES6_15HIP_vector_typeIjLj2EENS0_17counting_iteratorIjlEEPS9_SG_NS0_5tupleIJPjSI_NS0_16reverse_iteratorISI_EEEEENSH_IJSG_SG_SG_EEES9_SI_JZNS1_25segmented_radix_sort_implINS0_14default_configELb1EPKlPlSQ_SR_N2at6native12_GLOBAL__N_18offset_tEEE10hipError_tPvRmT1_PNSt15iterator_traitsISZ_E10value_typeET2_T3_PNS10_IS15_E10value_typeET4_jRbjT5_S1B_jjP12ihipStream_tbEUljE_ZNSN_ISO_Lb1ESQ_SR_SQ_SR_SV_EESW_SX_SY_SZ_S13_S14_S15_S18_S19_jS1A_jS1B_S1B_jjS1D_bEUljE0_EEESW_SX_SY_S15_S19_S1B_T6_T7_T9_mT8_S1D_bDpT10_ENKUlT_T0_E_clISt17integral_constantIbLb1EES1R_EEDaS1M_S1N_EUlS1M_E_NS1_11comp_targetILNS1_3genE3ELNS1_11target_archE908ELNS1_3gpuE7ELNS1_3repE0EEENS1_30default_config_static_selectorELNS0_4arch9wavefront6targetE1EEEvSZ_.has_indirect_call, 0
	.section	.AMDGPU.csdata,"",@progbits
; Kernel info:
; codeLenInByte = 0
; TotalNumSgprs: 4
; NumVgprs: 0
; ScratchSize: 0
; MemoryBound: 0
; FloatMode: 240
; IeeeMode: 1
; LDSByteSize: 0 bytes/workgroup (compile time only)
; SGPRBlocks: 0
; VGPRBlocks: 0
; NumSGPRsForWavesPerEU: 4
; NumVGPRsForWavesPerEU: 1
; Occupancy: 10
; WaveLimiterHint : 0
; COMPUTE_PGM_RSRC2:SCRATCH_EN: 0
; COMPUTE_PGM_RSRC2:USER_SGPR: 6
; COMPUTE_PGM_RSRC2:TRAP_HANDLER: 0
; COMPUTE_PGM_RSRC2:TGID_X_EN: 1
; COMPUTE_PGM_RSRC2:TGID_Y_EN: 0
; COMPUTE_PGM_RSRC2:TGID_Z_EN: 0
; COMPUTE_PGM_RSRC2:TIDIG_COMP_CNT: 0
	.section	.text._ZN7rocprim17ROCPRIM_400000_NS6detail17trampoline_kernelINS0_13select_configILj256ELj13ELNS0_17block_load_methodE3ELS4_3ELS4_3ELNS0_20block_scan_algorithmE0ELj4294967295EEENS1_25partition_config_selectorILNS1_17partition_subalgoE4EjNS0_10empty_typeEbEEZZNS1_14partition_implILS8_4ELb0ES6_15HIP_vector_typeIjLj2EENS0_17counting_iteratorIjlEEPS9_SG_NS0_5tupleIJPjSI_NS0_16reverse_iteratorISI_EEEEENSH_IJSG_SG_SG_EEES9_SI_JZNS1_25segmented_radix_sort_implINS0_14default_configELb1EPKlPlSQ_SR_N2at6native12_GLOBAL__N_18offset_tEEE10hipError_tPvRmT1_PNSt15iterator_traitsISZ_E10value_typeET2_T3_PNS10_IS15_E10value_typeET4_jRbjT5_S1B_jjP12ihipStream_tbEUljE_ZNSN_ISO_Lb1ESQ_SR_SQ_SR_SV_EESW_SX_SY_SZ_S13_S14_S15_S18_S19_jS1A_jS1B_S1B_jjS1D_bEUljE0_EEESW_SX_SY_S15_S19_S1B_T6_T7_T9_mT8_S1D_bDpT10_ENKUlT_T0_E_clISt17integral_constantIbLb1EES1R_EEDaS1M_S1N_EUlS1M_E_NS1_11comp_targetILNS1_3genE2ELNS1_11target_archE906ELNS1_3gpuE6ELNS1_3repE0EEENS1_30default_config_static_selectorELNS0_4arch9wavefront6targetE1EEEvSZ_,"axG",@progbits,_ZN7rocprim17ROCPRIM_400000_NS6detail17trampoline_kernelINS0_13select_configILj256ELj13ELNS0_17block_load_methodE3ELS4_3ELS4_3ELNS0_20block_scan_algorithmE0ELj4294967295EEENS1_25partition_config_selectorILNS1_17partition_subalgoE4EjNS0_10empty_typeEbEEZZNS1_14partition_implILS8_4ELb0ES6_15HIP_vector_typeIjLj2EENS0_17counting_iteratorIjlEEPS9_SG_NS0_5tupleIJPjSI_NS0_16reverse_iteratorISI_EEEEENSH_IJSG_SG_SG_EEES9_SI_JZNS1_25segmented_radix_sort_implINS0_14default_configELb1EPKlPlSQ_SR_N2at6native12_GLOBAL__N_18offset_tEEE10hipError_tPvRmT1_PNSt15iterator_traitsISZ_E10value_typeET2_T3_PNS10_IS15_E10value_typeET4_jRbjT5_S1B_jjP12ihipStream_tbEUljE_ZNSN_ISO_Lb1ESQ_SR_SQ_SR_SV_EESW_SX_SY_SZ_S13_S14_S15_S18_S19_jS1A_jS1B_S1B_jjS1D_bEUljE0_EEESW_SX_SY_S15_S19_S1B_T6_T7_T9_mT8_S1D_bDpT10_ENKUlT_T0_E_clISt17integral_constantIbLb1EES1R_EEDaS1M_S1N_EUlS1M_E_NS1_11comp_targetILNS1_3genE2ELNS1_11target_archE906ELNS1_3gpuE6ELNS1_3repE0EEENS1_30default_config_static_selectorELNS0_4arch9wavefront6targetE1EEEvSZ_,comdat
	.globl	_ZN7rocprim17ROCPRIM_400000_NS6detail17trampoline_kernelINS0_13select_configILj256ELj13ELNS0_17block_load_methodE3ELS4_3ELS4_3ELNS0_20block_scan_algorithmE0ELj4294967295EEENS1_25partition_config_selectorILNS1_17partition_subalgoE4EjNS0_10empty_typeEbEEZZNS1_14partition_implILS8_4ELb0ES6_15HIP_vector_typeIjLj2EENS0_17counting_iteratorIjlEEPS9_SG_NS0_5tupleIJPjSI_NS0_16reverse_iteratorISI_EEEEENSH_IJSG_SG_SG_EEES9_SI_JZNS1_25segmented_radix_sort_implINS0_14default_configELb1EPKlPlSQ_SR_N2at6native12_GLOBAL__N_18offset_tEEE10hipError_tPvRmT1_PNSt15iterator_traitsISZ_E10value_typeET2_T3_PNS10_IS15_E10value_typeET4_jRbjT5_S1B_jjP12ihipStream_tbEUljE_ZNSN_ISO_Lb1ESQ_SR_SQ_SR_SV_EESW_SX_SY_SZ_S13_S14_S15_S18_S19_jS1A_jS1B_S1B_jjS1D_bEUljE0_EEESW_SX_SY_S15_S19_S1B_T6_T7_T9_mT8_S1D_bDpT10_ENKUlT_T0_E_clISt17integral_constantIbLb1EES1R_EEDaS1M_S1N_EUlS1M_E_NS1_11comp_targetILNS1_3genE2ELNS1_11target_archE906ELNS1_3gpuE6ELNS1_3repE0EEENS1_30default_config_static_selectorELNS0_4arch9wavefront6targetE1EEEvSZ_ ; -- Begin function _ZN7rocprim17ROCPRIM_400000_NS6detail17trampoline_kernelINS0_13select_configILj256ELj13ELNS0_17block_load_methodE3ELS4_3ELS4_3ELNS0_20block_scan_algorithmE0ELj4294967295EEENS1_25partition_config_selectorILNS1_17partition_subalgoE4EjNS0_10empty_typeEbEEZZNS1_14partition_implILS8_4ELb0ES6_15HIP_vector_typeIjLj2EENS0_17counting_iteratorIjlEEPS9_SG_NS0_5tupleIJPjSI_NS0_16reverse_iteratorISI_EEEEENSH_IJSG_SG_SG_EEES9_SI_JZNS1_25segmented_radix_sort_implINS0_14default_configELb1EPKlPlSQ_SR_N2at6native12_GLOBAL__N_18offset_tEEE10hipError_tPvRmT1_PNSt15iterator_traitsISZ_E10value_typeET2_T3_PNS10_IS15_E10value_typeET4_jRbjT5_S1B_jjP12ihipStream_tbEUljE_ZNSN_ISO_Lb1ESQ_SR_SQ_SR_SV_EESW_SX_SY_SZ_S13_S14_S15_S18_S19_jS1A_jS1B_S1B_jjS1D_bEUljE0_EEESW_SX_SY_S15_S19_S1B_T6_T7_T9_mT8_S1D_bDpT10_ENKUlT_T0_E_clISt17integral_constantIbLb1EES1R_EEDaS1M_S1N_EUlS1M_E_NS1_11comp_targetILNS1_3genE2ELNS1_11target_archE906ELNS1_3gpuE6ELNS1_3repE0EEENS1_30default_config_static_selectorELNS0_4arch9wavefront6targetE1EEEvSZ_
	.p2align	8
	.type	_ZN7rocprim17ROCPRIM_400000_NS6detail17trampoline_kernelINS0_13select_configILj256ELj13ELNS0_17block_load_methodE3ELS4_3ELS4_3ELNS0_20block_scan_algorithmE0ELj4294967295EEENS1_25partition_config_selectorILNS1_17partition_subalgoE4EjNS0_10empty_typeEbEEZZNS1_14partition_implILS8_4ELb0ES6_15HIP_vector_typeIjLj2EENS0_17counting_iteratorIjlEEPS9_SG_NS0_5tupleIJPjSI_NS0_16reverse_iteratorISI_EEEEENSH_IJSG_SG_SG_EEES9_SI_JZNS1_25segmented_radix_sort_implINS0_14default_configELb1EPKlPlSQ_SR_N2at6native12_GLOBAL__N_18offset_tEEE10hipError_tPvRmT1_PNSt15iterator_traitsISZ_E10value_typeET2_T3_PNS10_IS15_E10value_typeET4_jRbjT5_S1B_jjP12ihipStream_tbEUljE_ZNSN_ISO_Lb1ESQ_SR_SQ_SR_SV_EESW_SX_SY_SZ_S13_S14_S15_S18_S19_jS1A_jS1B_S1B_jjS1D_bEUljE0_EEESW_SX_SY_S15_S19_S1B_T6_T7_T9_mT8_S1D_bDpT10_ENKUlT_T0_E_clISt17integral_constantIbLb1EES1R_EEDaS1M_S1N_EUlS1M_E_NS1_11comp_targetILNS1_3genE2ELNS1_11target_archE906ELNS1_3gpuE6ELNS1_3repE0EEENS1_30default_config_static_selectorELNS0_4arch9wavefront6targetE1EEEvSZ_,@function
_ZN7rocprim17ROCPRIM_400000_NS6detail17trampoline_kernelINS0_13select_configILj256ELj13ELNS0_17block_load_methodE3ELS4_3ELS4_3ELNS0_20block_scan_algorithmE0ELj4294967295EEENS1_25partition_config_selectorILNS1_17partition_subalgoE4EjNS0_10empty_typeEbEEZZNS1_14partition_implILS8_4ELb0ES6_15HIP_vector_typeIjLj2EENS0_17counting_iteratorIjlEEPS9_SG_NS0_5tupleIJPjSI_NS0_16reverse_iteratorISI_EEEEENSH_IJSG_SG_SG_EEES9_SI_JZNS1_25segmented_radix_sort_implINS0_14default_configELb1EPKlPlSQ_SR_N2at6native12_GLOBAL__N_18offset_tEEE10hipError_tPvRmT1_PNSt15iterator_traitsISZ_E10value_typeET2_T3_PNS10_IS15_E10value_typeET4_jRbjT5_S1B_jjP12ihipStream_tbEUljE_ZNSN_ISO_Lb1ESQ_SR_SQ_SR_SV_EESW_SX_SY_SZ_S13_S14_S15_S18_S19_jS1A_jS1B_S1B_jjS1D_bEUljE0_EEESW_SX_SY_S15_S19_S1B_T6_T7_T9_mT8_S1D_bDpT10_ENKUlT_T0_E_clISt17integral_constantIbLb1EES1R_EEDaS1M_S1N_EUlS1M_E_NS1_11comp_targetILNS1_3genE2ELNS1_11target_archE906ELNS1_3gpuE6ELNS1_3repE0EEENS1_30default_config_static_selectorELNS0_4arch9wavefront6targetE1EEEvSZ_: ; @_ZN7rocprim17ROCPRIM_400000_NS6detail17trampoline_kernelINS0_13select_configILj256ELj13ELNS0_17block_load_methodE3ELS4_3ELS4_3ELNS0_20block_scan_algorithmE0ELj4294967295EEENS1_25partition_config_selectorILNS1_17partition_subalgoE4EjNS0_10empty_typeEbEEZZNS1_14partition_implILS8_4ELb0ES6_15HIP_vector_typeIjLj2EENS0_17counting_iteratorIjlEEPS9_SG_NS0_5tupleIJPjSI_NS0_16reverse_iteratorISI_EEEEENSH_IJSG_SG_SG_EEES9_SI_JZNS1_25segmented_radix_sort_implINS0_14default_configELb1EPKlPlSQ_SR_N2at6native12_GLOBAL__N_18offset_tEEE10hipError_tPvRmT1_PNSt15iterator_traitsISZ_E10value_typeET2_T3_PNS10_IS15_E10value_typeET4_jRbjT5_S1B_jjP12ihipStream_tbEUljE_ZNSN_ISO_Lb1ESQ_SR_SQ_SR_SV_EESW_SX_SY_SZ_S13_S14_S15_S18_S19_jS1A_jS1B_S1B_jjS1D_bEUljE0_EEESW_SX_SY_S15_S19_S1B_T6_T7_T9_mT8_S1D_bDpT10_ENKUlT_T0_E_clISt17integral_constantIbLb1EES1R_EEDaS1M_S1N_EUlS1M_E_NS1_11comp_targetILNS1_3genE2ELNS1_11target_archE906ELNS1_3gpuE6ELNS1_3repE0EEENS1_30default_config_static_selectorELNS0_4arch9wavefront6targetE1EEEvSZ_
; %bb.0:
	s_endpgm
	.section	.rodata,"a",@progbits
	.p2align	6, 0x0
	.amdhsa_kernel _ZN7rocprim17ROCPRIM_400000_NS6detail17trampoline_kernelINS0_13select_configILj256ELj13ELNS0_17block_load_methodE3ELS4_3ELS4_3ELNS0_20block_scan_algorithmE0ELj4294967295EEENS1_25partition_config_selectorILNS1_17partition_subalgoE4EjNS0_10empty_typeEbEEZZNS1_14partition_implILS8_4ELb0ES6_15HIP_vector_typeIjLj2EENS0_17counting_iteratorIjlEEPS9_SG_NS0_5tupleIJPjSI_NS0_16reverse_iteratorISI_EEEEENSH_IJSG_SG_SG_EEES9_SI_JZNS1_25segmented_radix_sort_implINS0_14default_configELb1EPKlPlSQ_SR_N2at6native12_GLOBAL__N_18offset_tEEE10hipError_tPvRmT1_PNSt15iterator_traitsISZ_E10value_typeET2_T3_PNS10_IS15_E10value_typeET4_jRbjT5_S1B_jjP12ihipStream_tbEUljE_ZNSN_ISO_Lb1ESQ_SR_SQ_SR_SV_EESW_SX_SY_SZ_S13_S14_S15_S18_S19_jS1A_jS1B_S1B_jjS1D_bEUljE0_EEESW_SX_SY_S15_S19_S1B_T6_T7_T9_mT8_S1D_bDpT10_ENKUlT_T0_E_clISt17integral_constantIbLb1EES1R_EEDaS1M_S1N_EUlS1M_E_NS1_11comp_targetILNS1_3genE2ELNS1_11target_archE906ELNS1_3gpuE6ELNS1_3repE0EEENS1_30default_config_static_selectorELNS0_4arch9wavefront6targetE1EEEvSZ_
		.amdhsa_group_segment_fixed_size 0
		.amdhsa_private_segment_fixed_size 0
		.amdhsa_kernarg_size 184
		.amdhsa_user_sgpr_count 6
		.amdhsa_user_sgpr_private_segment_buffer 1
		.amdhsa_user_sgpr_dispatch_ptr 0
		.amdhsa_user_sgpr_queue_ptr 0
		.amdhsa_user_sgpr_kernarg_segment_ptr 1
		.amdhsa_user_sgpr_dispatch_id 0
		.amdhsa_user_sgpr_flat_scratch_init 0
		.amdhsa_user_sgpr_private_segment_size 0
		.amdhsa_uses_dynamic_stack 0
		.amdhsa_system_sgpr_private_segment_wavefront_offset 0
		.amdhsa_system_sgpr_workgroup_id_x 1
		.amdhsa_system_sgpr_workgroup_id_y 0
		.amdhsa_system_sgpr_workgroup_id_z 0
		.amdhsa_system_sgpr_workgroup_info 0
		.amdhsa_system_vgpr_workitem_id 0
		.amdhsa_next_free_vgpr 1
		.amdhsa_next_free_sgpr 0
		.amdhsa_reserve_vcc 0
		.amdhsa_reserve_flat_scratch 0
		.amdhsa_float_round_mode_32 0
		.amdhsa_float_round_mode_16_64 0
		.amdhsa_float_denorm_mode_32 3
		.amdhsa_float_denorm_mode_16_64 3
		.amdhsa_dx10_clamp 1
		.amdhsa_ieee_mode 1
		.amdhsa_fp16_overflow 0
		.amdhsa_exception_fp_ieee_invalid_op 0
		.amdhsa_exception_fp_denorm_src 0
		.amdhsa_exception_fp_ieee_div_zero 0
		.amdhsa_exception_fp_ieee_overflow 0
		.amdhsa_exception_fp_ieee_underflow 0
		.amdhsa_exception_fp_ieee_inexact 0
		.amdhsa_exception_int_div_zero 0
	.end_amdhsa_kernel
	.section	.text._ZN7rocprim17ROCPRIM_400000_NS6detail17trampoline_kernelINS0_13select_configILj256ELj13ELNS0_17block_load_methodE3ELS4_3ELS4_3ELNS0_20block_scan_algorithmE0ELj4294967295EEENS1_25partition_config_selectorILNS1_17partition_subalgoE4EjNS0_10empty_typeEbEEZZNS1_14partition_implILS8_4ELb0ES6_15HIP_vector_typeIjLj2EENS0_17counting_iteratorIjlEEPS9_SG_NS0_5tupleIJPjSI_NS0_16reverse_iteratorISI_EEEEENSH_IJSG_SG_SG_EEES9_SI_JZNS1_25segmented_radix_sort_implINS0_14default_configELb1EPKlPlSQ_SR_N2at6native12_GLOBAL__N_18offset_tEEE10hipError_tPvRmT1_PNSt15iterator_traitsISZ_E10value_typeET2_T3_PNS10_IS15_E10value_typeET4_jRbjT5_S1B_jjP12ihipStream_tbEUljE_ZNSN_ISO_Lb1ESQ_SR_SQ_SR_SV_EESW_SX_SY_SZ_S13_S14_S15_S18_S19_jS1A_jS1B_S1B_jjS1D_bEUljE0_EEESW_SX_SY_S15_S19_S1B_T6_T7_T9_mT8_S1D_bDpT10_ENKUlT_T0_E_clISt17integral_constantIbLb1EES1R_EEDaS1M_S1N_EUlS1M_E_NS1_11comp_targetILNS1_3genE2ELNS1_11target_archE906ELNS1_3gpuE6ELNS1_3repE0EEENS1_30default_config_static_selectorELNS0_4arch9wavefront6targetE1EEEvSZ_,"axG",@progbits,_ZN7rocprim17ROCPRIM_400000_NS6detail17trampoline_kernelINS0_13select_configILj256ELj13ELNS0_17block_load_methodE3ELS4_3ELS4_3ELNS0_20block_scan_algorithmE0ELj4294967295EEENS1_25partition_config_selectorILNS1_17partition_subalgoE4EjNS0_10empty_typeEbEEZZNS1_14partition_implILS8_4ELb0ES6_15HIP_vector_typeIjLj2EENS0_17counting_iteratorIjlEEPS9_SG_NS0_5tupleIJPjSI_NS0_16reverse_iteratorISI_EEEEENSH_IJSG_SG_SG_EEES9_SI_JZNS1_25segmented_radix_sort_implINS0_14default_configELb1EPKlPlSQ_SR_N2at6native12_GLOBAL__N_18offset_tEEE10hipError_tPvRmT1_PNSt15iterator_traitsISZ_E10value_typeET2_T3_PNS10_IS15_E10value_typeET4_jRbjT5_S1B_jjP12ihipStream_tbEUljE_ZNSN_ISO_Lb1ESQ_SR_SQ_SR_SV_EESW_SX_SY_SZ_S13_S14_S15_S18_S19_jS1A_jS1B_S1B_jjS1D_bEUljE0_EEESW_SX_SY_S15_S19_S1B_T6_T7_T9_mT8_S1D_bDpT10_ENKUlT_T0_E_clISt17integral_constantIbLb1EES1R_EEDaS1M_S1N_EUlS1M_E_NS1_11comp_targetILNS1_3genE2ELNS1_11target_archE906ELNS1_3gpuE6ELNS1_3repE0EEENS1_30default_config_static_selectorELNS0_4arch9wavefront6targetE1EEEvSZ_,comdat
.Lfunc_end652:
	.size	_ZN7rocprim17ROCPRIM_400000_NS6detail17trampoline_kernelINS0_13select_configILj256ELj13ELNS0_17block_load_methodE3ELS4_3ELS4_3ELNS0_20block_scan_algorithmE0ELj4294967295EEENS1_25partition_config_selectorILNS1_17partition_subalgoE4EjNS0_10empty_typeEbEEZZNS1_14partition_implILS8_4ELb0ES6_15HIP_vector_typeIjLj2EENS0_17counting_iteratorIjlEEPS9_SG_NS0_5tupleIJPjSI_NS0_16reverse_iteratorISI_EEEEENSH_IJSG_SG_SG_EEES9_SI_JZNS1_25segmented_radix_sort_implINS0_14default_configELb1EPKlPlSQ_SR_N2at6native12_GLOBAL__N_18offset_tEEE10hipError_tPvRmT1_PNSt15iterator_traitsISZ_E10value_typeET2_T3_PNS10_IS15_E10value_typeET4_jRbjT5_S1B_jjP12ihipStream_tbEUljE_ZNSN_ISO_Lb1ESQ_SR_SQ_SR_SV_EESW_SX_SY_SZ_S13_S14_S15_S18_S19_jS1A_jS1B_S1B_jjS1D_bEUljE0_EEESW_SX_SY_S15_S19_S1B_T6_T7_T9_mT8_S1D_bDpT10_ENKUlT_T0_E_clISt17integral_constantIbLb1EES1R_EEDaS1M_S1N_EUlS1M_E_NS1_11comp_targetILNS1_3genE2ELNS1_11target_archE906ELNS1_3gpuE6ELNS1_3repE0EEENS1_30default_config_static_selectorELNS0_4arch9wavefront6targetE1EEEvSZ_, .Lfunc_end652-_ZN7rocprim17ROCPRIM_400000_NS6detail17trampoline_kernelINS0_13select_configILj256ELj13ELNS0_17block_load_methodE3ELS4_3ELS4_3ELNS0_20block_scan_algorithmE0ELj4294967295EEENS1_25partition_config_selectorILNS1_17partition_subalgoE4EjNS0_10empty_typeEbEEZZNS1_14partition_implILS8_4ELb0ES6_15HIP_vector_typeIjLj2EENS0_17counting_iteratorIjlEEPS9_SG_NS0_5tupleIJPjSI_NS0_16reverse_iteratorISI_EEEEENSH_IJSG_SG_SG_EEES9_SI_JZNS1_25segmented_radix_sort_implINS0_14default_configELb1EPKlPlSQ_SR_N2at6native12_GLOBAL__N_18offset_tEEE10hipError_tPvRmT1_PNSt15iterator_traitsISZ_E10value_typeET2_T3_PNS10_IS15_E10value_typeET4_jRbjT5_S1B_jjP12ihipStream_tbEUljE_ZNSN_ISO_Lb1ESQ_SR_SQ_SR_SV_EESW_SX_SY_SZ_S13_S14_S15_S18_S19_jS1A_jS1B_S1B_jjS1D_bEUljE0_EEESW_SX_SY_S15_S19_S1B_T6_T7_T9_mT8_S1D_bDpT10_ENKUlT_T0_E_clISt17integral_constantIbLb1EES1R_EEDaS1M_S1N_EUlS1M_E_NS1_11comp_targetILNS1_3genE2ELNS1_11target_archE906ELNS1_3gpuE6ELNS1_3repE0EEENS1_30default_config_static_selectorELNS0_4arch9wavefront6targetE1EEEvSZ_
                                        ; -- End function
	.set _ZN7rocprim17ROCPRIM_400000_NS6detail17trampoline_kernelINS0_13select_configILj256ELj13ELNS0_17block_load_methodE3ELS4_3ELS4_3ELNS0_20block_scan_algorithmE0ELj4294967295EEENS1_25partition_config_selectorILNS1_17partition_subalgoE4EjNS0_10empty_typeEbEEZZNS1_14partition_implILS8_4ELb0ES6_15HIP_vector_typeIjLj2EENS0_17counting_iteratorIjlEEPS9_SG_NS0_5tupleIJPjSI_NS0_16reverse_iteratorISI_EEEEENSH_IJSG_SG_SG_EEES9_SI_JZNS1_25segmented_radix_sort_implINS0_14default_configELb1EPKlPlSQ_SR_N2at6native12_GLOBAL__N_18offset_tEEE10hipError_tPvRmT1_PNSt15iterator_traitsISZ_E10value_typeET2_T3_PNS10_IS15_E10value_typeET4_jRbjT5_S1B_jjP12ihipStream_tbEUljE_ZNSN_ISO_Lb1ESQ_SR_SQ_SR_SV_EESW_SX_SY_SZ_S13_S14_S15_S18_S19_jS1A_jS1B_S1B_jjS1D_bEUljE0_EEESW_SX_SY_S15_S19_S1B_T6_T7_T9_mT8_S1D_bDpT10_ENKUlT_T0_E_clISt17integral_constantIbLb1EES1R_EEDaS1M_S1N_EUlS1M_E_NS1_11comp_targetILNS1_3genE2ELNS1_11target_archE906ELNS1_3gpuE6ELNS1_3repE0EEENS1_30default_config_static_selectorELNS0_4arch9wavefront6targetE1EEEvSZ_.num_vgpr, 0
	.set _ZN7rocprim17ROCPRIM_400000_NS6detail17trampoline_kernelINS0_13select_configILj256ELj13ELNS0_17block_load_methodE3ELS4_3ELS4_3ELNS0_20block_scan_algorithmE0ELj4294967295EEENS1_25partition_config_selectorILNS1_17partition_subalgoE4EjNS0_10empty_typeEbEEZZNS1_14partition_implILS8_4ELb0ES6_15HIP_vector_typeIjLj2EENS0_17counting_iteratorIjlEEPS9_SG_NS0_5tupleIJPjSI_NS0_16reverse_iteratorISI_EEEEENSH_IJSG_SG_SG_EEES9_SI_JZNS1_25segmented_radix_sort_implINS0_14default_configELb1EPKlPlSQ_SR_N2at6native12_GLOBAL__N_18offset_tEEE10hipError_tPvRmT1_PNSt15iterator_traitsISZ_E10value_typeET2_T3_PNS10_IS15_E10value_typeET4_jRbjT5_S1B_jjP12ihipStream_tbEUljE_ZNSN_ISO_Lb1ESQ_SR_SQ_SR_SV_EESW_SX_SY_SZ_S13_S14_S15_S18_S19_jS1A_jS1B_S1B_jjS1D_bEUljE0_EEESW_SX_SY_S15_S19_S1B_T6_T7_T9_mT8_S1D_bDpT10_ENKUlT_T0_E_clISt17integral_constantIbLb1EES1R_EEDaS1M_S1N_EUlS1M_E_NS1_11comp_targetILNS1_3genE2ELNS1_11target_archE906ELNS1_3gpuE6ELNS1_3repE0EEENS1_30default_config_static_selectorELNS0_4arch9wavefront6targetE1EEEvSZ_.num_agpr, 0
	.set _ZN7rocprim17ROCPRIM_400000_NS6detail17trampoline_kernelINS0_13select_configILj256ELj13ELNS0_17block_load_methodE3ELS4_3ELS4_3ELNS0_20block_scan_algorithmE0ELj4294967295EEENS1_25partition_config_selectorILNS1_17partition_subalgoE4EjNS0_10empty_typeEbEEZZNS1_14partition_implILS8_4ELb0ES6_15HIP_vector_typeIjLj2EENS0_17counting_iteratorIjlEEPS9_SG_NS0_5tupleIJPjSI_NS0_16reverse_iteratorISI_EEEEENSH_IJSG_SG_SG_EEES9_SI_JZNS1_25segmented_radix_sort_implINS0_14default_configELb1EPKlPlSQ_SR_N2at6native12_GLOBAL__N_18offset_tEEE10hipError_tPvRmT1_PNSt15iterator_traitsISZ_E10value_typeET2_T3_PNS10_IS15_E10value_typeET4_jRbjT5_S1B_jjP12ihipStream_tbEUljE_ZNSN_ISO_Lb1ESQ_SR_SQ_SR_SV_EESW_SX_SY_SZ_S13_S14_S15_S18_S19_jS1A_jS1B_S1B_jjS1D_bEUljE0_EEESW_SX_SY_S15_S19_S1B_T6_T7_T9_mT8_S1D_bDpT10_ENKUlT_T0_E_clISt17integral_constantIbLb1EES1R_EEDaS1M_S1N_EUlS1M_E_NS1_11comp_targetILNS1_3genE2ELNS1_11target_archE906ELNS1_3gpuE6ELNS1_3repE0EEENS1_30default_config_static_selectorELNS0_4arch9wavefront6targetE1EEEvSZ_.numbered_sgpr, 0
	.set _ZN7rocprim17ROCPRIM_400000_NS6detail17trampoline_kernelINS0_13select_configILj256ELj13ELNS0_17block_load_methodE3ELS4_3ELS4_3ELNS0_20block_scan_algorithmE0ELj4294967295EEENS1_25partition_config_selectorILNS1_17partition_subalgoE4EjNS0_10empty_typeEbEEZZNS1_14partition_implILS8_4ELb0ES6_15HIP_vector_typeIjLj2EENS0_17counting_iteratorIjlEEPS9_SG_NS0_5tupleIJPjSI_NS0_16reverse_iteratorISI_EEEEENSH_IJSG_SG_SG_EEES9_SI_JZNS1_25segmented_radix_sort_implINS0_14default_configELb1EPKlPlSQ_SR_N2at6native12_GLOBAL__N_18offset_tEEE10hipError_tPvRmT1_PNSt15iterator_traitsISZ_E10value_typeET2_T3_PNS10_IS15_E10value_typeET4_jRbjT5_S1B_jjP12ihipStream_tbEUljE_ZNSN_ISO_Lb1ESQ_SR_SQ_SR_SV_EESW_SX_SY_SZ_S13_S14_S15_S18_S19_jS1A_jS1B_S1B_jjS1D_bEUljE0_EEESW_SX_SY_S15_S19_S1B_T6_T7_T9_mT8_S1D_bDpT10_ENKUlT_T0_E_clISt17integral_constantIbLb1EES1R_EEDaS1M_S1N_EUlS1M_E_NS1_11comp_targetILNS1_3genE2ELNS1_11target_archE906ELNS1_3gpuE6ELNS1_3repE0EEENS1_30default_config_static_selectorELNS0_4arch9wavefront6targetE1EEEvSZ_.num_named_barrier, 0
	.set _ZN7rocprim17ROCPRIM_400000_NS6detail17trampoline_kernelINS0_13select_configILj256ELj13ELNS0_17block_load_methodE3ELS4_3ELS4_3ELNS0_20block_scan_algorithmE0ELj4294967295EEENS1_25partition_config_selectorILNS1_17partition_subalgoE4EjNS0_10empty_typeEbEEZZNS1_14partition_implILS8_4ELb0ES6_15HIP_vector_typeIjLj2EENS0_17counting_iteratorIjlEEPS9_SG_NS0_5tupleIJPjSI_NS0_16reverse_iteratorISI_EEEEENSH_IJSG_SG_SG_EEES9_SI_JZNS1_25segmented_radix_sort_implINS0_14default_configELb1EPKlPlSQ_SR_N2at6native12_GLOBAL__N_18offset_tEEE10hipError_tPvRmT1_PNSt15iterator_traitsISZ_E10value_typeET2_T3_PNS10_IS15_E10value_typeET4_jRbjT5_S1B_jjP12ihipStream_tbEUljE_ZNSN_ISO_Lb1ESQ_SR_SQ_SR_SV_EESW_SX_SY_SZ_S13_S14_S15_S18_S19_jS1A_jS1B_S1B_jjS1D_bEUljE0_EEESW_SX_SY_S15_S19_S1B_T6_T7_T9_mT8_S1D_bDpT10_ENKUlT_T0_E_clISt17integral_constantIbLb1EES1R_EEDaS1M_S1N_EUlS1M_E_NS1_11comp_targetILNS1_3genE2ELNS1_11target_archE906ELNS1_3gpuE6ELNS1_3repE0EEENS1_30default_config_static_selectorELNS0_4arch9wavefront6targetE1EEEvSZ_.private_seg_size, 0
	.set _ZN7rocprim17ROCPRIM_400000_NS6detail17trampoline_kernelINS0_13select_configILj256ELj13ELNS0_17block_load_methodE3ELS4_3ELS4_3ELNS0_20block_scan_algorithmE0ELj4294967295EEENS1_25partition_config_selectorILNS1_17partition_subalgoE4EjNS0_10empty_typeEbEEZZNS1_14partition_implILS8_4ELb0ES6_15HIP_vector_typeIjLj2EENS0_17counting_iteratorIjlEEPS9_SG_NS0_5tupleIJPjSI_NS0_16reverse_iteratorISI_EEEEENSH_IJSG_SG_SG_EEES9_SI_JZNS1_25segmented_radix_sort_implINS0_14default_configELb1EPKlPlSQ_SR_N2at6native12_GLOBAL__N_18offset_tEEE10hipError_tPvRmT1_PNSt15iterator_traitsISZ_E10value_typeET2_T3_PNS10_IS15_E10value_typeET4_jRbjT5_S1B_jjP12ihipStream_tbEUljE_ZNSN_ISO_Lb1ESQ_SR_SQ_SR_SV_EESW_SX_SY_SZ_S13_S14_S15_S18_S19_jS1A_jS1B_S1B_jjS1D_bEUljE0_EEESW_SX_SY_S15_S19_S1B_T6_T7_T9_mT8_S1D_bDpT10_ENKUlT_T0_E_clISt17integral_constantIbLb1EES1R_EEDaS1M_S1N_EUlS1M_E_NS1_11comp_targetILNS1_3genE2ELNS1_11target_archE906ELNS1_3gpuE6ELNS1_3repE0EEENS1_30default_config_static_selectorELNS0_4arch9wavefront6targetE1EEEvSZ_.uses_vcc, 0
	.set _ZN7rocprim17ROCPRIM_400000_NS6detail17trampoline_kernelINS0_13select_configILj256ELj13ELNS0_17block_load_methodE3ELS4_3ELS4_3ELNS0_20block_scan_algorithmE0ELj4294967295EEENS1_25partition_config_selectorILNS1_17partition_subalgoE4EjNS0_10empty_typeEbEEZZNS1_14partition_implILS8_4ELb0ES6_15HIP_vector_typeIjLj2EENS0_17counting_iteratorIjlEEPS9_SG_NS0_5tupleIJPjSI_NS0_16reverse_iteratorISI_EEEEENSH_IJSG_SG_SG_EEES9_SI_JZNS1_25segmented_radix_sort_implINS0_14default_configELb1EPKlPlSQ_SR_N2at6native12_GLOBAL__N_18offset_tEEE10hipError_tPvRmT1_PNSt15iterator_traitsISZ_E10value_typeET2_T3_PNS10_IS15_E10value_typeET4_jRbjT5_S1B_jjP12ihipStream_tbEUljE_ZNSN_ISO_Lb1ESQ_SR_SQ_SR_SV_EESW_SX_SY_SZ_S13_S14_S15_S18_S19_jS1A_jS1B_S1B_jjS1D_bEUljE0_EEESW_SX_SY_S15_S19_S1B_T6_T7_T9_mT8_S1D_bDpT10_ENKUlT_T0_E_clISt17integral_constantIbLb1EES1R_EEDaS1M_S1N_EUlS1M_E_NS1_11comp_targetILNS1_3genE2ELNS1_11target_archE906ELNS1_3gpuE6ELNS1_3repE0EEENS1_30default_config_static_selectorELNS0_4arch9wavefront6targetE1EEEvSZ_.uses_flat_scratch, 0
	.set _ZN7rocprim17ROCPRIM_400000_NS6detail17trampoline_kernelINS0_13select_configILj256ELj13ELNS0_17block_load_methodE3ELS4_3ELS4_3ELNS0_20block_scan_algorithmE0ELj4294967295EEENS1_25partition_config_selectorILNS1_17partition_subalgoE4EjNS0_10empty_typeEbEEZZNS1_14partition_implILS8_4ELb0ES6_15HIP_vector_typeIjLj2EENS0_17counting_iteratorIjlEEPS9_SG_NS0_5tupleIJPjSI_NS0_16reverse_iteratorISI_EEEEENSH_IJSG_SG_SG_EEES9_SI_JZNS1_25segmented_radix_sort_implINS0_14default_configELb1EPKlPlSQ_SR_N2at6native12_GLOBAL__N_18offset_tEEE10hipError_tPvRmT1_PNSt15iterator_traitsISZ_E10value_typeET2_T3_PNS10_IS15_E10value_typeET4_jRbjT5_S1B_jjP12ihipStream_tbEUljE_ZNSN_ISO_Lb1ESQ_SR_SQ_SR_SV_EESW_SX_SY_SZ_S13_S14_S15_S18_S19_jS1A_jS1B_S1B_jjS1D_bEUljE0_EEESW_SX_SY_S15_S19_S1B_T6_T7_T9_mT8_S1D_bDpT10_ENKUlT_T0_E_clISt17integral_constantIbLb1EES1R_EEDaS1M_S1N_EUlS1M_E_NS1_11comp_targetILNS1_3genE2ELNS1_11target_archE906ELNS1_3gpuE6ELNS1_3repE0EEENS1_30default_config_static_selectorELNS0_4arch9wavefront6targetE1EEEvSZ_.has_dyn_sized_stack, 0
	.set _ZN7rocprim17ROCPRIM_400000_NS6detail17trampoline_kernelINS0_13select_configILj256ELj13ELNS0_17block_load_methodE3ELS4_3ELS4_3ELNS0_20block_scan_algorithmE0ELj4294967295EEENS1_25partition_config_selectorILNS1_17partition_subalgoE4EjNS0_10empty_typeEbEEZZNS1_14partition_implILS8_4ELb0ES6_15HIP_vector_typeIjLj2EENS0_17counting_iteratorIjlEEPS9_SG_NS0_5tupleIJPjSI_NS0_16reverse_iteratorISI_EEEEENSH_IJSG_SG_SG_EEES9_SI_JZNS1_25segmented_radix_sort_implINS0_14default_configELb1EPKlPlSQ_SR_N2at6native12_GLOBAL__N_18offset_tEEE10hipError_tPvRmT1_PNSt15iterator_traitsISZ_E10value_typeET2_T3_PNS10_IS15_E10value_typeET4_jRbjT5_S1B_jjP12ihipStream_tbEUljE_ZNSN_ISO_Lb1ESQ_SR_SQ_SR_SV_EESW_SX_SY_SZ_S13_S14_S15_S18_S19_jS1A_jS1B_S1B_jjS1D_bEUljE0_EEESW_SX_SY_S15_S19_S1B_T6_T7_T9_mT8_S1D_bDpT10_ENKUlT_T0_E_clISt17integral_constantIbLb1EES1R_EEDaS1M_S1N_EUlS1M_E_NS1_11comp_targetILNS1_3genE2ELNS1_11target_archE906ELNS1_3gpuE6ELNS1_3repE0EEENS1_30default_config_static_selectorELNS0_4arch9wavefront6targetE1EEEvSZ_.has_recursion, 0
	.set _ZN7rocprim17ROCPRIM_400000_NS6detail17trampoline_kernelINS0_13select_configILj256ELj13ELNS0_17block_load_methodE3ELS4_3ELS4_3ELNS0_20block_scan_algorithmE0ELj4294967295EEENS1_25partition_config_selectorILNS1_17partition_subalgoE4EjNS0_10empty_typeEbEEZZNS1_14partition_implILS8_4ELb0ES6_15HIP_vector_typeIjLj2EENS0_17counting_iteratorIjlEEPS9_SG_NS0_5tupleIJPjSI_NS0_16reverse_iteratorISI_EEEEENSH_IJSG_SG_SG_EEES9_SI_JZNS1_25segmented_radix_sort_implINS0_14default_configELb1EPKlPlSQ_SR_N2at6native12_GLOBAL__N_18offset_tEEE10hipError_tPvRmT1_PNSt15iterator_traitsISZ_E10value_typeET2_T3_PNS10_IS15_E10value_typeET4_jRbjT5_S1B_jjP12ihipStream_tbEUljE_ZNSN_ISO_Lb1ESQ_SR_SQ_SR_SV_EESW_SX_SY_SZ_S13_S14_S15_S18_S19_jS1A_jS1B_S1B_jjS1D_bEUljE0_EEESW_SX_SY_S15_S19_S1B_T6_T7_T9_mT8_S1D_bDpT10_ENKUlT_T0_E_clISt17integral_constantIbLb1EES1R_EEDaS1M_S1N_EUlS1M_E_NS1_11comp_targetILNS1_3genE2ELNS1_11target_archE906ELNS1_3gpuE6ELNS1_3repE0EEENS1_30default_config_static_selectorELNS0_4arch9wavefront6targetE1EEEvSZ_.has_indirect_call, 0
	.section	.AMDGPU.csdata,"",@progbits
; Kernel info:
; codeLenInByte = 4
; TotalNumSgprs: 4
; NumVgprs: 0
; ScratchSize: 0
; MemoryBound: 0
; FloatMode: 240
; IeeeMode: 1
; LDSByteSize: 0 bytes/workgroup (compile time only)
; SGPRBlocks: 0
; VGPRBlocks: 0
; NumSGPRsForWavesPerEU: 4
; NumVGPRsForWavesPerEU: 1
; Occupancy: 10
; WaveLimiterHint : 0
; COMPUTE_PGM_RSRC2:SCRATCH_EN: 0
; COMPUTE_PGM_RSRC2:USER_SGPR: 6
; COMPUTE_PGM_RSRC2:TRAP_HANDLER: 0
; COMPUTE_PGM_RSRC2:TGID_X_EN: 1
; COMPUTE_PGM_RSRC2:TGID_Y_EN: 0
; COMPUTE_PGM_RSRC2:TGID_Z_EN: 0
; COMPUTE_PGM_RSRC2:TIDIG_COMP_CNT: 0
	.section	.text._ZN7rocprim17ROCPRIM_400000_NS6detail17trampoline_kernelINS0_13select_configILj256ELj13ELNS0_17block_load_methodE3ELS4_3ELS4_3ELNS0_20block_scan_algorithmE0ELj4294967295EEENS1_25partition_config_selectorILNS1_17partition_subalgoE4EjNS0_10empty_typeEbEEZZNS1_14partition_implILS8_4ELb0ES6_15HIP_vector_typeIjLj2EENS0_17counting_iteratorIjlEEPS9_SG_NS0_5tupleIJPjSI_NS0_16reverse_iteratorISI_EEEEENSH_IJSG_SG_SG_EEES9_SI_JZNS1_25segmented_radix_sort_implINS0_14default_configELb1EPKlPlSQ_SR_N2at6native12_GLOBAL__N_18offset_tEEE10hipError_tPvRmT1_PNSt15iterator_traitsISZ_E10value_typeET2_T3_PNS10_IS15_E10value_typeET4_jRbjT5_S1B_jjP12ihipStream_tbEUljE_ZNSN_ISO_Lb1ESQ_SR_SQ_SR_SV_EESW_SX_SY_SZ_S13_S14_S15_S18_S19_jS1A_jS1B_S1B_jjS1D_bEUljE0_EEESW_SX_SY_S15_S19_S1B_T6_T7_T9_mT8_S1D_bDpT10_ENKUlT_T0_E_clISt17integral_constantIbLb1EES1R_EEDaS1M_S1N_EUlS1M_E_NS1_11comp_targetILNS1_3genE10ELNS1_11target_archE1200ELNS1_3gpuE4ELNS1_3repE0EEENS1_30default_config_static_selectorELNS0_4arch9wavefront6targetE1EEEvSZ_,"axG",@progbits,_ZN7rocprim17ROCPRIM_400000_NS6detail17trampoline_kernelINS0_13select_configILj256ELj13ELNS0_17block_load_methodE3ELS4_3ELS4_3ELNS0_20block_scan_algorithmE0ELj4294967295EEENS1_25partition_config_selectorILNS1_17partition_subalgoE4EjNS0_10empty_typeEbEEZZNS1_14partition_implILS8_4ELb0ES6_15HIP_vector_typeIjLj2EENS0_17counting_iteratorIjlEEPS9_SG_NS0_5tupleIJPjSI_NS0_16reverse_iteratorISI_EEEEENSH_IJSG_SG_SG_EEES9_SI_JZNS1_25segmented_radix_sort_implINS0_14default_configELb1EPKlPlSQ_SR_N2at6native12_GLOBAL__N_18offset_tEEE10hipError_tPvRmT1_PNSt15iterator_traitsISZ_E10value_typeET2_T3_PNS10_IS15_E10value_typeET4_jRbjT5_S1B_jjP12ihipStream_tbEUljE_ZNSN_ISO_Lb1ESQ_SR_SQ_SR_SV_EESW_SX_SY_SZ_S13_S14_S15_S18_S19_jS1A_jS1B_S1B_jjS1D_bEUljE0_EEESW_SX_SY_S15_S19_S1B_T6_T7_T9_mT8_S1D_bDpT10_ENKUlT_T0_E_clISt17integral_constantIbLb1EES1R_EEDaS1M_S1N_EUlS1M_E_NS1_11comp_targetILNS1_3genE10ELNS1_11target_archE1200ELNS1_3gpuE4ELNS1_3repE0EEENS1_30default_config_static_selectorELNS0_4arch9wavefront6targetE1EEEvSZ_,comdat
	.globl	_ZN7rocprim17ROCPRIM_400000_NS6detail17trampoline_kernelINS0_13select_configILj256ELj13ELNS0_17block_load_methodE3ELS4_3ELS4_3ELNS0_20block_scan_algorithmE0ELj4294967295EEENS1_25partition_config_selectorILNS1_17partition_subalgoE4EjNS0_10empty_typeEbEEZZNS1_14partition_implILS8_4ELb0ES6_15HIP_vector_typeIjLj2EENS0_17counting_iteratorIjlEEPS9_SG_NS0_5tupleIJPjSI_NS0_16reverse_iteratorISI_EEEEENSH_IJSG_SG_SG_EEES9_SI_JZNS1_25segmented_radix_sort_implINS0_14default_configELb1EPKlPlSQ_SR_N2at6native12_GLOBAL__N_18offset_tEEE10hipError_tPvRmT1_PNSt15iterator_traitsISZ_E10value_typeET2_T3_PNS10_IS15_E10value_typeET4_jRbjT5_S1B_jjP12ihipStream_tbEUljE_ZNSN_ISO_Lb1ESQ_SR_SQ_SR_SV_EESW_SX_SY_SZ_S13_S14_S15_S18_S19_jS1A_jS1B_S1B_jjS1D_bEUljE0_EEESW_SX_SY_S15_S19_S1B_T6_T7_T9_mT8_S1D_bDpT10_ENKUlT_T0_E_clISt17integral_constantIbLb1EES1R_EEDaS1M_S1N_EUlS1M_E_NS1_11comp_targetILNS1_3genE10ELNS1_11target_archE1200ELNS1_3gpuE4ELNS1_3repE0EEENS1_30default_config_static_selectorELNS0_4arch9wavefront6targetE1EEEvSZ_ ; -- Begin function _ZN7rocprim17ROCPRIM_400000_NS6detail17trampoline_kernelINS0_13select_configILj256ELj13ELNS0_17block_load_methodE3ELS4_3ELS4_3ELNS0_20block_scan_algorithmE0ELj4294967295EEENS1_25partition_config_selectorILNS1_17partition_subalgoE4EjNS0_10empty_typeEbEEZZNS1_14partition_implILS8_4ELb0ES6_15HIP_vector_typeIjLj2EENS0_17counting_iteratorIjlEEPS9_SG_NS0_5tupleIJPjSI_NS0_16reverse_iteratorISI_EEEEENSH_IJSG_SG_SG_EEES9_SI_JZNS1_25segmented_radix_sort_implINS0_14default_configELb1EPKlPlSQ_SR_N2at6native12_GLOBAL__N_18offset_tEEE10hipError_tPvRmT1_PNSt15iterator_traitsISZ_E10value_typeET2_T3_PNS10_IS15_E10value_typeET4_jRbjT5_S1B_jjP12ihipStream_tbEUljE_ZNSN_ISO_Lb1ESQ_SR_SQ_SR_SV_EESW_SX_SY_SZ_S13_S14_S15_S18_S19_jS1A_jS1B_S1B_jjS1D_bEUljE0_EEESW_SX_SY_S15_S19_S1B_T6_T7_T9_mT8_S1D_bDpT10_ENKUlT_T0_E_clISt17integral_constantIbLb1EES1R_EEDaS1M_S1N_EUlS1M_E_NS1_11comp_targetILNS1_3genE10ELNS1_11target_archE1200ELNS1_3gpuE4ELNS1_3repE0EEENS1_30default_config_static_selectorELNS0_4arch9wavefront6targetE1EEEvSZ_
	.p2align	8
	.type	_ZN7rocprim17ROCPRIM_400000_NS6detail17trampoline_kernelINS0_13select_configILj256ELj13ELNS0_17block_load_methodE3ELS4_3ELS4_3ELNS0_20block_scan_algorithmE0ELj4294967295EEENS1_25partition_config_selectorILNS1_17partition_subalgoE4EjNS0_10empty_typeEbEEZZNS1_14partition_implILS8_4ELb0ES6_15HIP_vector_typeIjLj2EENS0_17counting_iteratorIjlEEPS9_SG_NS0_5tupleIJPjSI_NS0_16reverse_iteratorISI_EEEEENSH_IJSG_SG_SG_EEES9_SI_JZNS1_25segmented_radix_sort_implINS0_14default_configELb1EPKlPlSQ_SR_N2at6native12_GLOBAL__N_18offset_tEEE10hipError_tPvRmT1_PNSt15iterator_traitsISZ_E10value_typeET2_T3_PNS10_IS15_E10value_typeET4_jRbjT5_S1B_jjP12ihipStream_tbEUljE_ZNSN_ISO_Lb1ESQ_SR_SQ_SR_SV_EESW_SX_SY_SZ_S13_S14_S15_S18_S19_jS1A_jS1B_S1B_jjS1D_bEUljE0_EEESW_SX_SY_S15_S19_S1B_T6_T7_T9_mT8_S1D_bDpT10_ENKUlT_T0_E_clISt17integral_constantIbLb1EES1R_EEDaS1M_S1N_EUlS1M_E_NS1_11comp_targetILNS1_3genE10ELNS1_11target_archE1200ELNS1_3gpuE4ELNS1_3repE0EEENS1_30default_config_static_selectorELNS0_4arch9wavefront6targetE1EEEvSZ_,@function
_ZN7rocprim17ROCPRIM_400000_NS6detail17trampoline_kernelINS0_13select_configILj256ELj13ELNS0_17block_load_methodE3ELS4_3ELS4_3ELNS0_20block_scan_algorithmE0ELj4294967295EEENS1_25partition_config_selectorILNS1_17partition_subalgoE4EjNS0_10empty_typeEbEEZZNS1_14partition_implILS8_4ELb0ES6_15HIP_vector_typeIjLj2EENS0_17counting_iteratorIjlEEPS9_SG_NS0_5tupleIJPjSI_NS0_16reverse_iteratorISI_EEEEENSH_IJSG_SG_SG_EEES9_SI_JZNS1_25segmented_radix_sort_implINS0_14default_configELb1EPKlPlSQ_SR_N2at6native12_GLOBAL__N_18offset_tEEE10hipError_tPvRmT1_PNSt15iterator_traitsISZ_E10value_typeET2_T3_PNS10_IS15_E10value_typeET4_jRbjT5_S1B_jjP12ihipStream_tbEUljE_ZNSN_ISO_Lb1ESQ_SR_SQ_SR_SV_EESW_SX_SY_SZ_S13_S14_S15_S18_S19_jS1A_jS1B_S1B_jjS1D_bEUljE0_EEESW_SX_SY_S15_S19_S1B_T6_T7_T9_mT8_S1D_bDpT10_ENKUlT_T0_E_clISt17integral_constantIbLb1EES1R_EEDaS1M_S1N_EUlS1M_E_NS1_11comp_targetILNS1_3genE10ELNS1_11target_archE1200ELNS1_3gpuE4ELNS1_3repE0EEENS1_30default_config_static_selectorELNS0_4arch9wavefront6targetE1EEEvSZ_: ; @_ZN7rocprim17ROCPRIM_400000_NS6detail17trampoline_kernelINS0_13select_configILj256ELj13ELNS0_17block_load_methodE3ELS4_3ELS4_3ELNS0_20block_scan_algorithmE0ELj4294967295EEENS1_25partition_config_selectorILNS1_17partition_subalgoE4EjNS0_10empty_typeEbEEZZNS1_14partition_implILS8_4ELb0ES6_15HIP_vector_typeIjLj2EENS0_17counting_iteratorIjlEEPS9_SG_NS0_5tupleIJPjSI_NS0_16reverse_iteratorISI_EEEEENSH_IJSG_SG_SG_EEES9_SI_JZNS1_25segmented_radix_sort_implINS0_14default_configELb1EPKlPlSQ_SR_N2at6native12_GLOBAL__N_18offset_tEEE10hipError_tPvRmT1_PNSt15iterator_traitsISZ_E10value_typeET2_T3_PNS10_IS15_E10value_typeET4_jRbjT5_S1B_jjP12ihipStream_tbEUljE_ZNSN_ISO_Lb1ESQ_SR_SQ_SR_SV_EESW_SX_SY_SZ_S13_S14_S15_S18_S19_jS1A_jS1B_S1B_jjS1D_bEUljE0_EEESW_SX_SY_S15_S19_S1B_T6_T7_T9_mT8_S1D_bDpT10_ENKUlT_T0_E_clISt17integral_constantIbLb1EES1R_EEDaS1M_S1N_EUlS1M_E_NS1_11comp_targetILNS1_3genE10ELNS1_11target_archE1200ELNS1_3gpuE4ELNS1_3repE0EEENS1_30default_config_static_selectorELNS0_4arch9wavefront6targetE1EEEvSZ_
; %bb.0:
	.section	.rodata,"a",@progbits
	.p2align	6, 0x0
	.amdhsa_kernel _ZN7rocprim17ROCPRIM_400000_NS6detail17trampoline_kernelINS0_13select_configILj256ELj13ELNS0_17block_load_methodE3ELS4_3ELS4_3ELNS0_20block_scan_algorithmE0ELj4294967295EEENS1_25partition_config_selectorILNS1_17partition_subalgoE4EjNS0_10empty_typeEbEEZZNS1_14partition_implILS8_4ELb0ES6_15HIP_vector_typeIjLj2EENS0_17counting_iteratorIjlEEPS9_SG_NS0_5tupleIJPjSI_NS0_16reverse_iteratorISI_EEEEENSH_IJSG_SG_SG_EEES9_SI_JZNS1_25segmented_radix_sort_implINS0_14default_configELb1EPKlPlSQ_SR_N2at6native12_GLOBAL__N_18offset_tEEE10hipError_tPvRmT1_PNSt15iterator_traitsISZ_E10value_typeET2_T3_PNS10_IS15_E10value_typeET4_jRbjT5_S1B_jjP12ihipStream_tbEUljE_ZNSN_ISO_Lb1ESQ_SR_SQ_SR_SV_EESW_SX_SY_SZ_S13_S14_S15_S18_S19_jS1A_jS1B_S1B_jjS1D_bEUljE0_EEESW_SX_SY_S15_S19_S1B_T6_T7_T9_mT8_S1D_bDpT10_ENKUlT_T0_E_clISt17integral_constantIbLb1EES1R_EEDaS1M_S1N_EUlS1M_E_NS1_11comp_targetILNS1_3genE10ELNS1_11target_archE1200ELNS1_3gpuE4ELNS1_3repE0EEENS1_30default_config_static_selectorELNS0_4arch9wavefront6targetE1EEEvSZ_
		.amdhsa_group_segment_fixed_size 0
		.amdhsa_private_segment_fixed_size 0
		.amdhsa_kernarg_size 184
		.amdhsa_user_sgpr_count 6
		.amdhsa_user_sgpr_private_segment_buffer 1
		.amdhsa_user_sgpr_dispatch_ptr 0
		.amdhsa_user_sgpr_queue_ptr 0
		.amdhsa_user_sgpr_kernarg_segment_ptr 1
		.amdhsa_user_sgpr_dispatch_id 0
		.amdhsa_user_sgpr_flat_scratch_init 0
		.amdhsa_user_sgpr_private_segment_size 0
		.amdhsa_uses_dynamic_stack 0
		.amdhsa_system_sgpr_private_segment_wavefront_offset 0
		.amdhsa_system_sgpr_workgroup_id_x 1
		.amdhsa_system_sgpr_workgroup_id_y 0
		.amdhsa_system_sgpr_workgroup_id_z 0
		.amdhsa_system_sgpr_workgroup_info 0
		.amdhsa_system_vgpr_workitem_id 0
		.amdhsa_next_free_vgpr 1
		.amdhsa_next_free_sgpr 0
		.amdhsa_reserve_vcc 0
		.amdhsa_reserve_flat_scratch 0
		.amdhsa_float_round_mode_32 0
		.amdhsa_float_round_mode_16_64 0
		.amdhsa_float_denorm_mode_32 3
		.amdhsa_float_denorm_mode_16_64 3
		.amdhsa_dx10_clamp 1
		.amdhsa_ieee_mode 1
		.amdhsa_fp16_overflow 0
		.amdhsa_exception_fp_ieee_invalid_op 0
		.amdhsa_exception_fp_denorm_src 0
		.amdhsa_exception_fp_ieee_div_zero 0
		.amdhsa_exception_fp_ieee_overflow 0
		.amdhsa_exception_fp_ieee_underflow 0
		.amdhsa_exception_fp_ieee_inexact 0
		.amdhsa_exception_int_div_zero 0
	.end_amdhsa_kernel
	.section	.text._ZN7rocprim17ROCPRIM_400000_NS6detail17trampoline_kernelINS0_13select_configILj256ELj13ELNS0_17block_load_methodE3ELS4_3ELS4_3ELNS0_20block_scan_algorithmE0ELj4294967295EEENS1_25partition_config_selectorILNS1_17partition_subalgoE4EjNS0_10empty_typeEbEEZZNS1_14partition_implILS8_4ELb0ES6_15HIP_vector_typeIjLj2EENS0_17counting_iteratorIjlEEPS9_SG_NS0_5tupleIJPjSI_NS0_16reverse_iteratorISI_EEEEENSH_IJSG_SG_SG_EEES9_SI_JZNS1_25segmented_radix_sort_implINS0_14default_configELb1EPKlPlSQ_SR_N2at6native12_GLOBAL__N_18offset_tEEE10hipError_tPvRmT1_PNSt15iterator_traitsISZ_E10value_typeET2_T3_PNS10_IS15_E10value_typeET4_jRbjT5_S1B_jjP12ihipStream_tbEUljE_ZNSN_ISO_Lb1ESQ_SR_SQ_SR_SV_EESW_SX_SY_SZ_S13_S14_S15_S18_S19_jS1A_jS1B_S1B_jjS1D_bEUljE0_EEESW_SX_SY_S15_S19_S1B_T6_T7_T9_mT8_S1D_bDpT10_ENKUlT_T0_E_clISt17integral_constantIbLb1EES1R_EEDaS1M_S1N_EUlS1M_E_NS1_11comp_targetILNS1_3genE10ELNS1_11target_archE1200ELNS1_3gpuE4ELNS1_3repE0EEENS1_30default_config_static_selectorELNS0_4arch9wavefront6targetE1EEEvSZ_,"axG",@progbits,_ZN7rocprim17ROCPRIM_400000_NS6detail17trampoline_kernelINS0_13select_configILj256ELj13ELNS0_17block_load_methodE3ELS4_3ELS4_3ELNS0_20block_scan_algorithmE0ELj4294967295EEENS1_25partition_config_selectorILNS1_17partition_subalgoE4EjNS0_10empty_typeEbEEZZNS1_14partition_implILS8_4ELb0ES6_15HIP_vector_typeIjLj2EENS0_17counting_iteratorIjlEEPS9_SG_NS0_5tupleIJPjSI_NS0_16reverse_iteratorISI_EEEEENSH_IJSG_SG_SG_EEES9_SI_JZNS1_25segmented_radix_sort_implINS0_14default_configELb1EPKlPlSQ_SR_N2at6native12_GLOBAL__N_18offset_tEEE10hipError_tPvRmT1_PNSt15iterator_traitsISZ_E10value_typeET2_T3_PNS10_IS15_E10value_typeET4_jRbjT5_S1B_jjP12ihipStream_tbEUljE_ZNSN_ISO_Lb1ESQ_SR_SQ_SR_SV_EESW_SX_SY_SZ_S13_S14_S15_S18_S19_jS1A_jS1B_S1B_jjS1D_bEUljE0_EEESW_SX_SY_S15_S19_S1B_T6_T7_T9_mT8_S1D_bDpT10_ENKUlT_T0_E_clISt17integral_constantIbLb1EES1R_EEDaS1M_S1N_EUlS1M_E_NS1_11comp_targetILNS1_3genE10ELNS1_11target_archE1200ELNS1_3gpuE4ELNS1_3repE0EEENS1_30default_config_static_selectorELNS0_4arch9wavefront6targetE1EEEvSZ_,comdat
.Lfunc_end653:
	.size	_ZN7rocprim17ROCPRIM_400000_NS6detail17trampoline_kernelINS0_13select_configILj256ELj13ELNS0_17block_load_methodE3ELS4_3ELS4_3ELNS0_20block_scan_algorithmE0ELj4294967295EEENS1_25partition_config_selectorILNS1_17partition_subalgoE4EjNS0_10empty_typeEbEEZZNS1_14partition_implILS8_4ELb0ES6_15HIP_vector_typeIjLj2EENS0_17counting_iteratorIjlEEPS9_SG_NS0_5tupleIJPjSI_NS0_16reverse_iteratorISI_EEEEENSH_IJSG_SG_SG_EEES9_SI_JZNS1_25segmented_radix_sort_implINS0_14default_configELb1EPKlPlSQ_SR_N2at6native12_GLOBAL__N_18offset_tEEE10hipError_tPvRmT1_PNSt15iterator_traitsISZ_E10value_typeET2_T3_PNS10_IS15_E10value_typeET4_jRbjT5_S1B_jjP12ihipStream_tbEUljE_ZNSN_ISO_Lb1ESQ_SR_SQ_SR_SV_EESW_SX_SY_SZ_S13_S14_S15_S18_S19_jS1A_jS1B_S1B_jjS1D_bEUljE0_EEESW_SX_SY_S15_S19_S1B_T6_T7_T9_mT8_S1D_bDpT10_ENKUlT_T0_E_clISt17integral_constantIbLb1EES1R_EEDaS1M_S1N_EUlS1M_E_NS1_11comp_targetILNS1_3genE10ELNS1_11target_archE1200ELNS1_3gpuE4ELNS1_3repE0EEENS1_30default_config_static_selectorELNS0_4arch9wavefront6targetE1EEEvSZ_, .Lfunc_end653-_ZN7rocprim17ROCPRIM_400000_NS6detail17trampoline_kernelINS0_13select_configILj256ELj13ELNS0_17block_load_methodE3ELS4_3ELS4_3ELNS0_20block_scan_algorithmE0ELj4294967295EEENS1_25partition_config_selectorILNS1_17partition_subalgoE4EjNS0_10empty_typeEbEEZZNS1_14partition_implILS8_4ELb0ES6_15HIP_vector_typeIjLj2EENS0_17counting_iteratorIjlEEPS9_SG_NS0_5tupleIJPjSI_NS0_16reverse_iteratorISI_EEEEENSH_IJSG_SG_SG_EEES9_SI_JZNS1_25segmented_radix_sort_implINS0_14default_configELb1EPKlPlSQ_SR_N2at6native12_GLOBAL__N_18offset_tEEE10hipError_tPvRmT1_PNSt15iterator_traitsISZ_E10value_typeET2_T3_PNS10_IS15_E10value_typeET4_jRbjT5_S1B_jjP12ihipStream_tbEUljE_ZNSN_ISO_Lb1ESQ_SR_SQ_SR_SV_EESW_SX_SY_SZ_S13_S14_S15_S18_S19_jS1A_jS1B_S1B_jjS1D_bEUljE0_EEESW_SX_SY_S15_S19_S1B_T6_T7_T9_mT8_S1D_bDpT10_ENKUlT_T0_E_clISt17integral_constantIbLb1EES1R_EEDaS1M_S1N_EUlS1M_E_NS1_11comp_targetILNS1_3genE10ELNS1_11target_archE1200ELNS1_3gpuE4ELNS1_3repE0EEENS1_30default_config_static_selectorELNS0_4arch9wavefront6targetE1EEEvSZ_
                                        ; -- End function
	.set _ZN7rocprim17ROCPRIM_400000_NS6detail17trampoline_kernelINS0_13select_configILj256ELj13ELNS0_17block_load_methodE3ELS4_3ELS4_3ELNS0_20block_scan_algorithmE0ELj4294967295EEENS1_25partition_config_selectorILNS1_17partition_subalgoE4EjNS0_10empty_typeEbEEZZNS1_14partition_implILS8_4ELb0ES6_15HIP_vector_typeIjLj2EENS0_17counting_iteratorIjlEEPS9_SG_NS0_5tupleIJPjSI_NS0_16reverse_iteratorISI_EEEEENSH_IJSG_SG_SG_EEES9_SI_JZNS1_25segmented_radix_sort_implINS0_14default_configELb1EPKlPlSQ_SR_N2at6native12_GLOBAL__N_18offset_tEEE10hipError_tPvRmT1_PNSt15iterator_traitsISZ_E10value_typeET2_T3_PNS10_IS15_E10value_typeET4_jRbjT5_S1B_jjP12ihipStream_tbEUljE_ZNSN_ISO_Lb1ESQ_SR_SQ_SR_SV_EESW_SX_SY_SZ_S13_S14_S15_S18_S19_jS1A_jS1B_S1B_jjS1D_bEUljE0_EEESW_SX_SY_S15_S19_S1B_T6_T7_T9_mT8_S1D_bDpT10_ENKUlT_T0_E_clISt17integral_constantIbLb1EES1R_EEDaS1M_S1N_EUlS1M_E_NS1_11comp_targetILNS1_3genE10ELNS1_11target_archE1200ELNS1_3gpuE4ELNS1_3repE0EEENS1_30default_config_static_selectorELNS0_4arch9wavefront6targetE1EEEvSZ_.num_vgpr, 0
	.set _ZN7rocprim17ROCPRIM_400000_NS6detail17trampoline_kernelINS0_13select_configILj256ELj13ELNS0_17block_load_methodE3ELS4_3ELS4_3ELNS0_20block_scan_algorithmE0ELj4294967295EEENS1_25partition_config_selectorILNS1_17partition_subalgoE4EjNS0_10empty_typeEbEEZZNS1_14partition_implILS8_4ELb0ES6_15HIP_vector_typeIjLj2EENS0_17counting_iteratorIjlEEPS9_SG_NS0_5tupleIJPjSI_NS0_16reverse_iteratorISI_EEEEENSH_IJSG_SG_SG_EEES9_SI_JZNS1_25segmented_radix_sort_implINS0_14default_configELb1EPKlPlSQ_SR_N2at6native12_GLOBAL__N_18offset_tEEE10hipError_tPvRmT1_PNSt15iterator_traitsISZ_E10value_typeET2_T3_PNS10_IS15_E10value_typeET4_jRbjT5_S1B_jjP12ihipStream_tbEUljE_ZNSN_ISO_Lb1ESQ_SR_SQ_SR_SV_EESW_SX_SY_SZ_S13_S14_S15_S18_S19_jS1A_jS1B_S1B_jjS1D_bEUljE0_EEESW_SX_SY_S15_S19_S1B_T6_T7_T9_mT8_S1D_bDpT10_ENKUlT_T0_E_clISt17integral_constantIbLb1EES1R_EEDaS1M_S1N_EUlS1M_E_NS1_11comp_targetILNS1_3genE10ELNS1_11target_archE1200ELNS1_3gpuE4ELNS1_3repE0EEENS1_30default_config_static_selectorELNS0_4arch9wavefront6targetE1EEEvSZ_.num_agpr, 0
	.set _ZN7rocprim17ROCPRIM_400000_NS6detail17trampoline_kernelINS0_13select_configILj256ELj13ELNS0_17block_load_methodE3ELS4_3ELS4_3ELNS0_20block_scan_algorithmE0ELj4294967295EEENS1_25partition_config_selectorILNS1_17partition_subalgoE4EjNS0_10empty_typeEbEEZZNS1_14partition_implILS8_4ELb0ES6_15HIP_vector_typeIjLj2EENS0_17counting_iteratorIjlEEPS9_SG_NS0_5tupleIJPjSI_NS0_16reverse_iteratorISI_EEEEENSH_IJSG_SG_SG_EEES9_SI_JZNS1_25segmented_radix_sort_implINS0_14default_configELb1EPKlPlSQ_SR_N2at6native12_GLOBAL__N_18offset_tEEE10hipError_tPvRmT1_PNSt15iterator_traitsISZ_E10value_typeET2_T3_PNS10_IS15_E10value_typeET4_jRbjT5_S1B_jjP12ihipStream_tbEUljE_ZNSN_ISO_Lb1ESQ_SR_SQ_SR_SV_EESW_SX_SY_SZ_S13_S14_S15_S18_S19_jS1A_jS1B_S1B_jjS1D_bEUljE0_EEESW_SX_SY_S15_S19_S1B_T6_T7_T9_mT8_S1D_bDpT10_ENKUlT_T0_E_clISt17integral_constantIbLb1EES1R_EEDaS1M_S1N_EUlS1M_E_NS1_11comp_targetILNS1_3genE10ELNS1_11target_archE1200ELNS1_3gpuE4ELNS1_3repE0EEENS1_30default_config_static_selectorELNS0_4arch9wavefront6targetE1EEEvSZ_.numbered_sgpr, 0
	.set _ZN7rocprim17ROCPRIM_400000_NS6detail17trampoline_kernelINS0_13select_configILj256ELj13ELNS0_17block_load_methodE3ELS4_3ELS4_3ELNS0_20block_scan_algorithmE0ELj4294967295EEENS1_25partition_config_selectorILNS1_17partition_subalgoE4EjNS0_10empty_typeEbEEZZNS1_14partition_implILS8_4ELb0ES6_15HIP_vector_typeIjLj2EENS0_17counting_iteratorIjlEEPS9_SG_NS0_5tupleIJPjSI_NS0_16reverse_iteratorISI_EEEEENSH_IJSG_SG_SG_EEES9_SI_JZNS1_25segmented_radix_sort_implINS0_14default_configELb1EPKlPlSQ_SR_N2at6native12_GLOBAL__N_18offset_tEEE10hipError_tPvRmT1_PNSt15iterator_traitsISZ_E10value_typeET2_T3_PNS10_IS15_E10value_typeET4_jRbjT5_S1B_jjP12ihipStream_tbEUljE_ZNSN_ISO_Lb1ESQ_SR_SQ_SR_SV_EESW_SX_SY_SZ_S13_S14_S15_S18_S19_jS1A_jS1B_S1B_jjS1D_bEUljE0_EEESW_SX_SY_S15_S19_S1B_T6_T7_T9_mT8_S1D_bDpT10_ENKUlT_T0_E_clISt17integral_constantIbLb1EES1R_EEDaS1M_S1N_EUlS1M_E_NS1_11comp_targetILNS1_3genE10ELNS1_11target_archE1200ELNS1_3gpuE4ELNS1_3repE0EEENS1_30default_config_static_selectorELNS0_4arch9wavefront6targetE1EEEvSZ_.num_named_barrier, 0
	.set _ZN7rocprim17ROCPRIM_400000_NS6detail17trampoline_kernelINS0_13select_configILj256ELj13ELNS0_17block_load_methodE3ELS4_3ELS4_3ELNS0_20block_scan_algorithmE0ELj4294967295EEENS1_25partition_config_selectorILNS1_17partition_subalgoE4EjNS0_10empty_typeEbEEZZNS1_14partition_implILS8_4ELb0ES6_15HIP_vector_typeIjLj2EENS0_17counting_iteratorIjlEEPS9_SG_NS0_5tupleIJPjSI_NS0_16reverse_iteratorISI_EEEEENSH_IJSG_SG_SG_EEES9_SI_JZNS1_25segmented_radix_sort_implINS0_14default_configELb1EPKlPlSQ_SR_N2at6native12_GLOBAL__N_18offset_tEEE10hipError_tPvRmT1_PNSt15iterator_traitsISZ_E10value_typeET2_T3_PNS10_IS15_E10value_typeET4_jRbjT5_S1B_jjP12ihipStream_tbEUljE_ZNSN_ISO_Lb1ESQ_SR_SQ_SR_SV_EESW_SX_SY_SZ_S13_S14_S15_S18_S19_jS1A_jS1B_S1B_jjS1D_bEUljE0_EEESW_SX_SY_S15_S19_S1B_T6_T7_T9_mT8_S1D_bDpT10_ENKUlT_T0_E_clISt17integral_constantIbLb1EES1R_EEDaS1M_S1N_EUlS1M_E_NS1_11comp_targetILNS1_3genE10ELNS1_11target_archE1200ELNS1_3gpuE4ELNS1_3repE0EEENS1_30default_config_static_selectorELNS0_4arch9wavefront6targetE1EEEvSZ_.private_seg_size, 0
	.set _ZN7rocprim17ROCPRIM_400000_NS6detail17trampoline_kernelINS0_13select_configILj256ELj13ELNS0_17block_load_methodE3ELS4_3ELS4_3ELNS0_20block_scan_algorithmE0ELj4294967295EEENS1_25partition_config_selectorILNS1_17partition_subalgoE4EjNS0_10empty_typeEbEEZZNS1_14partition_implILS8_4ELb0ES6_15HIP_vector_typeIjLj2EENS0_17counting_iteratorIjlEEPS9_SG_NS0_5tupleIJPjSI_NS0_16reverse_iteratorISI_EEEEENSH_IJSG_SG_SG_EEES9_SI_JZNS1_25segmented_radix_sort_implINS0_14default_configELb1EPKlPlSQ_SR_N2at6native12_GLOBAL__N_18offset_tEEE10hipError_tPvRmT1_PNSt15iterator_traitsISZ_E10value_typeET2_T3_PNS10_IS15_E10value_typeET4_jRbjT5_S1B_jjP12ihipStream_tbEUljE_ZNSN_ISO_Lb1ESQ_SR_SQ_SR_SV_EESW_SX_SY_SZ_S13_S14_S15_S18_S19_jS1A_jS1B_S1B_jjS1D_bEUljE0_EEESW_SX_SY_S15_S19_S1B_T6_T7_T9_mT8_S1D_bDpT10_ENKUlT_T0_E_clISt17integral_constantIbLb1EES1R_EEDaS1M_S1N_EUlS1M_E_NS1_11comp_targetILNS1_3genE10ELNS1_11target_archE1200ELNS1_3gpuE4ELNS1_3repE0EEENS1_30default_config_static_selectorELNS0_4arch9wavefront6targetE1EEEvSZ_.uses_vcc, 0
	.set _ZN7rocprim17ROCPRIM_400000_NS6detail17trampoline_kernelINS0_13select_configILj256ELj13ELNS0_17block_load_methodE3ELS4_3ELS4_3ELNS0_20block_scan_algorithmE0ELj4294967295EEENS1_25partition_config_selectorILNS1_17partition_subalgoE4EjNS0_10empty_typeEbEEZZNS1_14partition_implILS8_4ELb0ES6_15HIP_vector_typeIjLj2EENS0_17counting_iteratorIjlEEPS9_SG_NS0_5tupleIJPjSI_NS0_16reverse_iteratorISI_EEEEENSH_IJSG_SG_SG_EEES9_SI_JZNS1_25segmented_radix_sort_implINS0_14default_configELb1EPKlPlSQ_SR_N2at6native12_GLOBAL__N_18offset_tEEE10hipError_tPvRmT1_PNSt15iterator_traitsISZ_E10value_typeET2_T3_PNS10_IS15_E10value_typeET4_jRbjT5_S1B_jjP12ihipStream_tbEUljE_ZNSN_ISO_Lb1ESQ_SR_SQ_SR_SV_EESW_SX_SY_SZ_S13_S14_S15_S18_S19_jS1A_jS1B_S1B_jjS1D_bEUljE0_EEESW_SX_SY_S15_S19_S1B_T6_T7_T9_mT8_S1D_bDpT10_ENKUlT_T0_E_clISt17integral_constantIbLb1EES1R_EEDaS1M_S1N_EUlS1M_E_NS1_11comp_targetILNS1_3genE10ELNS1_11target_archE1200ELNS1_3gpuE4ELNS1_3repE0EEENS1_30default_config_static_selectorELNS0_4arch9wavefront6targetE1EEEvSZ_.uses_flat_scratch, 0
	.set _ZN7rocprim17ROCPRIM_400000_NS6detail17trampoline_kernelINS0_13select_configILj256ELj13ELNS0_17block_load_methodE3ELS4_3ELS4_3ELNS0_20block_scan_algorithmE0ELj4294967295EEENS1_25partition_config_selectorILNS1_17partition_subalgoE4EjNS0_10empty_typeEbEEZZNS1_14partition_implILS8_4ELb0ES6_15HIP_vector_typeIjLj2EENS0_17counting_iteratorIjlEEPS9_SG_NS0_5tupleIJPjSI_NS0_16reverse_iteratorISI_EEEEENSH_IJSG_SG_SG_EEES9_SI_JZNS1_25segmented_radix_sort_implINS0_14default_configELb1EPKlPlSQ_SR_N2at6native12_GLOBAL__N_18offset_tEEE10hipError_tPvRmT1_PNSt15iterator_traitsISZ_E10value_typeET2_T3_PNS10_IS15_E10value_typeET4_jRbjT5_S1B_jjP12ihipStream_tbEUljE_ZNSN_ISO_Lb1ESQ_SR_SQ_SR_SV_EESW_SX_SY_SZ_S13_S14_S15_S18_S19_jS1A_jS1B_S1B_jjS1D_bEUljE0_EEESW_SX_SY_S15_S19_S1B_T6_T7_T9_mT8_S1D_bDpT10_ENKUlT_T0_E_clISt17integral_constantIbLb1EES1R_EEDaS1M_S1N_EUlS1M_E_NS1_11comp_targetILNS1_3genE10ELNS1_11target_archE1200ELNS1_3gpuE4ELNS1_3repE0EEENS1_30default_config_static_selectorELNS0_4arch9wavefront6targetE1EEEvSZ_.has_dyn_sized_stack, 0
	.set _ZN7rocprim17ROCPRIM_400000_NS6detail17trampoline_kernelINS0_13select_configILj256ELj13ELNS0_17block_load_methodE3ELS4_3ELS4_3ELNS0_20block_scan_algorithmE0ELj4294967295EEENS1_25partition_config_selectorILNS1_17partition_subalgoE4EjNS0_10empty_typeEbEEZZNS1_14partition_implILS8_4ELb0ES6_15HIP_vector_typeIjLj2EENS0_17counting_iteratorIjlEEPS9_SG_NS0_5tupleIJPjSI_NS0_16reverse_iteratorISI_EEEEENSH_IJSG_SG_SG_EEES9_SI_JZNS1_25segmented_radix_sort_implINS0_14default_configELb1EPKlPlSQ_SR_N2at6native12_GLOBAL__N_18offset_tEEE10hipError_tPvRmT1_PNSt15iterator_traitsISZ_E10value_typeET2_T3_PNS10_IS15_E10value_typeET4_jRbjT5_S1B_jjP12ihipStream_tbEUljE_ZNSN_ISO_Lb1ESQ_SR_SQ_SR_SV_EESW_SX_SY_SZ_S13_S14_S15_S18_S19_jS1A_jS1B_S1B_jjS1D_bEUljE0_EEESW_SX_SY_S15_S19_S1B_T6_T7_T9_mT8_S1D_bDpT10_ENKUlT_T0_E_clISt17integral_constantIbLb1EES1R_EEDaS1M_S1N_EUlS1M_E_NS1_11comp_targetILNS1_3genE10ELNS1_11target_archE1200ELNS1_3gpuE4ELNS1_3repE0EEENS1_30default_config_static_selectorELNS0_4arch9wavefront6targetE1EEEvSZ_.has_recursion, 0
	.set _ZN7rocprim17ROCPRIM_400000_NS6detail17trampoline_kernelINS0_13select_configILj256ELj13ELNS0_17block_load_methodE3ELS4_3ELS4_3ELNS0_20block_scan_algorithmE0ELj4294967295EEENS1_25partition_config_selectorILNS1_17partition_subalgoE4EjNS0_10empty_typeEbEEZZNS1_14partition_implILS8_4ELb0ES6_15HIP_vector_typeIjLj2EENS0_17counting_iteratorIjlEEPS9_SG_NS0_5tupleIJPjSI_NS0_16reverse_iteratorISI_EEEEENSH_IJSG_SG_SG_EEES9_SI_JZNS1_25segmented_radix_sort_implINS0_14default_configELb1EPKlPlSQ_SR_N2at6native12_GLOBAL__N_18offset_tEEE10hipError_tPvRmT1_PNSt15iterator_traitsISZ_E10value_typeET2_T3_PNS10_IS15_E10value_typeET4_jRbjT5_S1B_jjP12ihipStream_tbEUljE_ZNSN_ISO_Lb1ESQ_SR_SQ_SR_SV_EESW_SX_SY_SZ_S13_S14_S15_S18_S19_jS1A_jS1B_S1B_jjS1D_bEUljE0_EEESW_SX_SY_S15_S19_S1B_T6_T7_T9_mT8_S1D_bDpT10_ENKUlT_T0_E_clISt17integral_constantIbLb1EES1R_EEDaS1M_S1N_EUlS1M_E_NS1_11comp_targetILNS1_3genE10ELNS1_11target_archE1200ELNS1_3gpuE4ELNS1_3repE0EEENS1_30default_config_static_selectorELNS0_4arch9wavefront6targetE1EEEvSZ_.has_indirect_call, 0
	.section	.AMDGPU.csdata,"",@progbits
; Kernel info:
; codeLenInByte = 0
; TotalNumSgprs: 4
; NumVgprs: 0
; ScratchSize: 0
; MemoryBound: 0
; FloatMode: 240
; IeeeMode: 1
; LDSByteSize: 0 bytes/workgroup (compile time only)
; SGPRBlocks: 0
; VGPRBlocks: 0
; NumSGPRsForWavesPerEU: 4
; NumVGPRsForWavesPerEU: 1
; Occupancy: 10
; WaveLimiterHint : 0
; COMPUTE_PGM_RSRC2:SCRATCH_EN: 0
; COMPUTE_PGM_RSRC2:USER_SGPR: 6
; COMPUTE_PGM_RSRC2:TRAP_HANDLER: 0
; COMPUTE_PGM_RSRC2:TGID_X_EN: 1
; COMPUTE_PGM_RSRC2:TGID_Y_EN: 0
; COMPUTE_PGM_RSRC2:TGID_Z_EN: 0
; COMPUTE_PGM_RSRC2:TIDIG_COMP_CNT: 0
	.section	.text._ZN7rocprim17ROCPRIM_400000_NS6detail17trampoline_kernelINS0_13select_configILj256ELj13ELNS0_17block_load_methodE3ELS4_3ELS4_3ELNS0_20block_scan_algorithmE0ELj4294967295EEENS1_25partition_config_selectorILNS1_17partition_subalgoE4EjNS0_10empty_typeEbEEZZNS1_14partition_implILS8_4ELb0ES6_15HIP_vector_typeIjLj2EENS0_17counting_iteratorIjlEEPS9_SG_NS0_5tupleIJPjSI_NS0_16reverse_iteratorISI_EEEEENSH_IJSG_SG_SG_EEES9_SI_JZNS1_25segmented_radix_sort_implINS0_14default_configELb1EPKlPlSQ_SR_N2at6native12_GLOBAL__N_18offset_tEEE10hipError_tPvRmT1_PNSt15iterator_traitsISZ_E10value_typeET2_T3_PNS10_IS15_E10value_typeET4_jRbjT5_S1B_jjP12ihipStream_tbEUljE_ZNSN_ISO_Lb1ESQ_SR_SQ_SR_SV_EESW_SX_SY_SZ_S13_S14_S15_S18_S19_jS1A_jS1B_S1B_jjS1D_bEUljE0_EEESW_SX_SY_S15_S19_S1B_T6_T7_T9_mT8_S1D_bDpT10_ENKUlT_T0_E_clISt17integral_constantIbLb1EES1R_EEDaS1M_S1N_EUlS1M_E_NS1_11comp_targetILNS1_3genE9ELNS1_11target_archE1100ELNS1_3gpuE3ELNS1_3repE0EEENS1_30default_config_static_selectorELNS0_4arch9wavefront6targetE1EEEvSZ_,"axG",@progbits,_ZN7rocprim17ROCPRIM_400000_NS6detail17trampoline_kernelINS0_13select_configILj256ELj13ELNS0_17block_load_methodE3ELS4_3ELS4_3ELNS0_20block_scan_algorithmE0ELj4294967295EEENS1_25partition_config_selectorILNS1_17partition_subalgoE4EjNS0_10empty_typeEbEEZZNS1_14partition_implILS8_4ELb0ES6_15HIP_vector_typeIjLj2EENS0_17counting_iteratorIjlEEPS9_SG_NS0_5tupleIJPjSI_NS0_16reverse_iteratorISI_EEEEENSH_IJSG_SG_SG_EEES9_SI_JZNS1_25segmented_radix_sort_implINS0_14default_configELb1EPKlPlSQ_SR_N2at6native12_GLOBAL__N_18offset_tEEE10hipError_tPvRmT1_PNSt15iterator_traitsISZ_E10value_typeET2_T3_PNS10_IS15_E10value_typeET4_jRbjT5_S1B_jjP12ihipStream_tbEUljE_ZNSN_ISO_Lb1ESQ_SR_SQ_SR_SV_EESW_SX_SY_SZ_S13_S14_S15_S18_S19_jS1A_jS1B_S1B_jjS1D_bEUljE0_EEESW_SX_SY_S15_S19_S1B_T6_T7_T9_mT8_S1D_bDpT10_ENKUlT_T0_E_clISt17integral_constantIbLb1EES1R_EEDaS1M_S1N_EUlS1M_E_NS1_11comp_targetILNS1_3genE9ELNS1_11target_archE1100ELNS1_3gpuE3ELNS1_3repE0EEENS1_30default_config_static_selectorELNS0_4arch9wavefront6targetE1EEEvSZ_,comdat
	.globl	_ZN7rocprim17ROCPRIM_400000_NS6detail17trampoline_kernelINS0_13select_configILj256ELj13ELNS0_17block_load_methodE3ELS4_3ELS4_3ELNS0_20block_scan_algorithmE0ELj4294967295EEENS1_25partition_config_selectorILNS1_17partition_subalgoE4EjNS0_10empty_typeEbEEZZNS1_14partition_implILS8_4ELb0ES6_15HIP_vector_typeIjLj2EENS0_17counting_iteratorIjlEEPS9_SG_NS0_5tupleIJPjSI_NS0_16reverse_iteratorISI_EEEEENSH_IJSG_SG_SG_EEES9_SI_JZNS1_25segmented_radix_sort_implINS0_14default_configELb1EPKlPlSQ_SR_N2at6native12_GLOBAL__N_18offset_tEEE10hipError_tPvRmT1_PNSt15iterator_traitsISZ_E10value_typeET2_T3_PNS10_IS15_E10value_typeET4_jRbjT5_S1B_jjP12ihipStream_tbEUljE_ZNSN_ISO_Lb1ESQ_SR_SQ_SR_SV_EESW_SX_SY_SZ_S13_S14_S15_S18_S19_jS1A_jS1B_S1B_jjS1D_bEUljE0_EEESW_SX_SY_S15_S19_S1B_T6_T7_T9_mT8_S1D_bDpT10_ENKUlT_T0_E_clISt17integral_constantIbLb1EES1R_EEDaS1M_S1N_EUlS1M_E_NS1_11comp_targetILNS1_3genE9ELNS1_11target_archE1100ELNS1_3gpuE3ELNS1_3repE0EEENS1_30default_config_static_selectorELNS0_4arch9wavefront6targetE1EEEvSZ_ ; -- Begin function _ZN7rocprim17ROCPRIM_400000_NS6detail17trampoline_kernelINS0_13select_configILj256ELj13ELNS0_17block_load_methodE3ELS4_3ELS4_3ELNS0_20block_scan_algorithmE0ELj4294967295EEENS1_25partition_config_selectorILNS1_17partition_subalgoE4EjNS0_10empty_typeEbEEZZNS1_14partition_implILS8_4ELb0ES6_15HIP_vector_typeIjLj2EENS0_17counting_iteratorIjlEEPS9_SG_NS0_5tupleIJPjSI_NS0_16reverse_iteratorISI_EEEEENSH_IJSG_SG_SG_EEES9_SI_JZNS1_25segmented_radix_sort_implINS0_14default_configELb1EPKlPlSQ_SR_N2at6native12_GLOBAL__N_18offset_tEEE10hipError_tPvRmT1_PNSt15iterator_traitsISZ_E10value_typeET2_T3_PNS10_IS15_E10value_typeET4_jRbjT5_S1B_jjP12ihipStream_tbEUljE_ZNSN_ISO_Lb1ESQ_SR_SQ_SR_SV_EESW_SX_SY_SZ_S13_S14_S15_S18_S19_jS1A_jS1B_S1B_jjS1D_bEUljE0_EEESW_SX_SY_S15_S19_S1B_T6_T7_T9_mT8_S1D_bDpT10_ENKUlT_T0_E_clISt17integral_constantIbLb1EES1R_EEDaS1M_S1N_EUlS1M_E_NS1_11comp_targetILNS1_3genE9ELNS1_11target_archE1100ELNS1_3gpuE3ELNS1_3repE0EEENS1_30default_config_static_selectorELNS0_4arch9wavefront6targetE1EEEvSZ_
	.p2align	8
	.type	_ZN7rocprim17ROCPRIM_400000_NS6detail17trampoline_kernelINS0_13select_configILj256ELj13ELNS0_17block_load_methodE3ELS4_3ELS4_3ELNS0_20block_scan_algorithmE0ELj4294967295EEENS1_25partition_config_selectorILNS1_17partition_subalgoE4EjNS0_10empty_typeEbEEZZNS1_14partition_implILS8_4ELb0ES6_15HIP_vector_typeIjLj2EENS0_17counting_iteratorIjlEEPS9_SG_NS0_5tupleIJPjSI_NS0_16reverse_iteratorISI_EEEEENSH_IJSG_SG_SG_EEES9_SI_JZNS1_25segmented_radix_sort_implINS0_14default_configELb1EPKlPlSQ_SR_N2at6native12_GLOBAL__N_18offset_tEEE10hipError_tPvRmT1_PNSt15iterator_traitsISZ_E10value_typeET2_T3_PNS10_IS15_E10value_typeET4_jRbjT5_S1B_jjP12ihipStream_tbEUljE_ZNSN_ISO_Lb1ESQ_SR_SQ_SR_SV_EESW_SX_SY_SZ_S13_S14_S15_S18_S19_jS1A_jS1B_S1B_jjS1D_bEUljE0_EEESW_SX_SY_S15_S19_S1B_T6_T7_T9_mT8_S1D_bDpT10_ENKUlT_T0_E_clISt17integral_constantIbLb1EES1R_EEDaS1M_S1N_EUlS1M_E_NS1_11comp_targetILNS1_3genE9ELNS1_11target_archE1100ELNS1_3gpuE3ELNS1_3repE0EEENS1_30default_config_static_selectorELNS0_4arch9wavefront6targetE1EEEvSZ_,@function
_ZN7rocprim17ROCPRIM_400000_NS6detail17trampoline_kernelINS0_13select_configILj256ELj13ELNS0_17block_load_methodE3ELS4_3ELS4_3ELNS0_20block_scan_algorithmE0ELj4294967295EEENS1_25partition_config_selectorILNS1_17partition_subalgoE4EjNS0_10empty_typeEbEEZZNS1_14partition_implILS8_4ELb0ES6_15HIP_vector_typeIjLj2EENS0_17counting_iteratorIjlEEPS9_SG_NS0_5tupleIJPjSI_NS0_16reverse_iteratorISI_EEEEENSH_IJSG_SG_SG_EEES9_SI_JZNS1_25segmented_radix_sort_implINS0_14default_configELb1EPKlPlSQ_SR_N2at6native12_GLOBAL__N_18offset_tEEE10hipError_tPvRmT1_PNSt15iterator_traitsISZ_E10value_typeET2_T3_PNS10_IS15_E10value_typeET4_jRbjT5_S1B_jjP12ihipStream_tbEUljE_ZNSN_ISO_Lb1ESQ_SR_SQ_SR_SV_EESW_SX_SY_SZ_S13_S14_S15_S18_S19_jS1A_jS1B_S1B_jjS1D_bEUljE0_EEESW_SX_SY_S15_S19_S1B_T6_T7_T9_mT8_S1D_bDpT10_ENKUlT_T0_E_clISt17integral_constantIbLb1EES1R_EEDaS1M_S1N_EUlS1M_E_NS1_11comp_targetILNS1_3genE9ELNS1_11target_archE1100ELNS1_3gpuE3ELNS1_3repE0EEENS1_30default_config_static_selectorELNS0_4arch9wavefront6targetE1EEEvSZ_: ; @_ZN7rocprim17ROCPRIM_400000_NS6detail17trampoline_kernelINS0_13select_configILj256ELj13ELNS0_17block_load_methodE3ELS4_3ELS4_3ELNS0_20block_scan_algorithmE0ELj4294967295EEENS1_25partition_config_selectorILNS1_17partition_subalgoE4EjNS0_10empty_typeEbEEZZNS1_14partition_implILS8_4ELb0ES6_15HIP_vector_typeIjLj2EENS0_17counting_iteratorIjlEEPS9_SG_NS0_5tupleIJPjSI_NS0_16reverse_iteratorISI_EEEEENSH_IJSG_SG_SG_EEES9_SI_JZNS1_25segmented_radix_sort_implINS0_14default_configELb1EPKlPlSQ_SR_N2at6native12_GLOBAL__N_18offset_tEEE10hipError_tPvRmT1_PNSt15iterator_traitsISZ_E10value_typeET2_T3_PNS10_IS15_E10value_typeET4_jRbjT5_S1B_jjP12ihipStream_tbEUljE_ZNSN_ISO_Lb1ESQ_SR_SQ_SR_SV_EESW_SX_SY_SZ_S13_S14_S15_S18_S19_jS1A_jS1B_S1B_jjS1D_bEUljE0_EEESW_SX_SY_S15_S19_S1B_T6_T7_T9_mT8_S1D_bDpT10_ENKUlT_T0_E_clISt17integral_constantIbLb1EES1R_EEDaS1M_S1N_EUlS1M_E_NS1_11comp_targetILNS1_3genE9ELNS1_11target_archE1100ELNS1_3gpuE3ELNS1_3repE0EEENS1_30default_config_static_selectorELNS0_4arch9wavefront6targetE1EEEvSZ_
; %bb.0:
	.section	.rodata,"a",@progbits
	.p2align	6, 0x0
	.amdhsa_kernel _ZN7rocprim17ROCPRIM_400000_NS6detail17trampoline_kernelINS0_13select_configILj256ELj13ELNS0_17block_load_methodE3ELS4_3ELS4_3ELNS0_20block_scan_algorithmE0ELj4294967295EEENS1_25partition_config_selectorILNS1_17partition_subalgoE4EjNS0_10empty_typeEbEEZZNS1_14partition_implILS8_4ELb0ES6_15HIP_vector_typeIjLj2EENS0_17counting_iteratorIjlEEPS9_SG_NS0_5tupleIJPjSI_NS0_16reverse_iteratorISI_EEEEENSH_IJSG_SG_SG_EEES9_SI_JZNS1_25segmented_radix_sort_implINS0_14default_configELb1EPKlPlSQ_SR_N2at6native12_GLOBAL__N_18offset_tEEE10hipError_tPvRmT1_PNSt15iterator_traitsISZ_E10value_typeET2_T3_PNS10_IS15_E10value_typeET4_jRbjT5_S1B_jjP12ihipStream_tbEUljE_ZNSN_ISO_Lb1ESQ_SR_SQ_SR_SV_EESW_SX_SY_SZ_S13_S14_S15_S18_S19_jS1A_jS1B_S1B_jjS1D_bEUljE0_EEESW_SX_SY_S15_S19_S1B_T6_T7_T9_mT8_S1D_bDpT10_ENKUlT_T0_E_clISt17integral_constantIbLb1EES1R_EEDaS1M_S1N_EUlS1M_E_NS1_11comp_targetILNS1_3genE9ELNS1_11target_archE1100ELNS1_3gpuE3ELNS1_3repE0EEENS1_30default_config_static_selectorELNS0_4arch9wavefront6targetE1EEEvSZ_
		.amdhsa_group_segment_fixed_size 0
		.amdhsa_private_segment_fixed_size 0
		.amdhsa_kernarg_size 184
		.amdhsa_user_sgpr_count 6
		.amdhsa_user_sgpr_private_segment_buffer 1
		.amdhsa_user_sgpr_dispatch_ptr 0
		.amdhsa_user_sgpr_queue_ptr 0
		.amdhsa_user_sgpr_kernarg_segment_ptr 1
		.amdhsa_user_sgpr_dispatch_id 0
		.amdhsa_user_sgpr_flat_scratch_init 0
		.amdhsa_user_sgpr_private_segment_size 0
		.amdhsa_uses_dynamic_stack 0
		.amdhsa_system_sgpr_private_segment_wavefront_offset 0
		.amdhsa_system_sgpr_workgroup_id_x 1
		.amdhsa_system_sgpr_workgroup_id_y 0
		.amdhsa_system_sgpr_workgroup_id_z 0
		.amdhsa_system_sgpr_workgroup_info 0
		.amdhsa_system_vgpr_workitem_id 0
		.amdhsa_next_free_vgpr 1
		.amdhsa_next_free_sgpr 0
		.amdhsa_reserve_vcc 0
		.amdhsa_reserve_flat_scratch 0
		.amdhsa_float_round_mode_32 0
		.amdhsa_float_round_mode_16_64 0
		.amdhsa_float_denorm_mode_32 3
		.amdhsa_float_denorm_mode_16_64 3
		.amdhsa_dx10_clamp 1
		.amdhsa_ieee_mode 1
		.amdhsa_fp16_overflow 0
		.amdhsa_exception_fp_ieee_invalid_op 0
		.amdhsa_exception_fp_denorm_src 0
		.amdhsa_exception_fp_ieee_div_zero 0
		.amdhsa_exception_fp_ieee_overflow 0
		.amdhsa_exception_fp_ieee_underflow 0
		.amdhsa_exception_fp_ieee_inexact 0
		.amdhsa_exception_int_div_zero 0
	.end_amdhsa_kernel
	.section	.text._ZN7rocprim17ROCPRIM_400000_NS6detail17trampoline_kernelINS0_13select_configILj256ELj13ELNS0_17block_load_methodE3ELS4_3ELS4_3ELNS0_20block_scan_algorithmE0ELj4294967295EEENS1_25partition_config_selectorILNS1_17partition_subalgoE4EjNS0_10empty_typeEbEEZZNS1_14partition_implILS8_4ELb0ES6_15HIP_vector_typeIjLj2EENS0_17counting_iteratorIjlEEPS9_SG_NS0_5tupleIJPjSI_NS0_16reverse_iteratorISI_EEEEENSH_IJSG_SG_SG_EEES9_SI_JZNS1_25segmented_radix_sort_implINS0_14default_configELb1EPKlPlSQ_SR_N2at6native12_GLOBAL__N_18offset_tEEE10hipError_tPvRmT1_PNSt15iterator_traitsISZ_E10value_typeET2_T3_PNS10_IS15_E10value_typeET4_jRbjT5_S1B_jjP12ihipStream_tbEUljE_ZNSN_ISO_Lb1ESQ_SR_SQ_SR_SV_EESW_SX_SY_SZ_S13_S14_S15_S18_S19_jS1A_jS1B_S1B_jjS1D_bEUljE0_EEESW_SX_SY_S15_S19_S1B_T6_T7_T9_mT8_S1D_bDpT10_ENKUlT_T0_E_clISt17integral_constantIbLb1EES1R_EEDaS1M_S1N_EUlS1M_E_NS1_11comp_targetILNS1_3genE9ELNS1_11target_archE1100ELNS1_3gpuE3ELNS1_3repE0EEENS1_30default_config_static_selectorELNS0_4arch9wavefront6targetE1EEEvSZ_,"axG",@progbits,_ZN7rocprim17ROCPRIM_400000_NS6detail17trampoline_kernelINS0_13select_configILj256ELj13ELNS0_17block_load_methodE3ELS4_3ELS4_3ELNS0_20block_scan_algorithmE0ELj4294967295EEENS1_25partition_config_selectorILNS1_17partition_subalgoE4EjNS0_10empty_typeEbEEZZNS1_14partition_implILS8_4ELb0ES6_15HIP_vector_typeIjLj2EENS0_17counting_iteratorIjlEEPS9_SG_NS0_5tupleIJPjSI_NS0_16reverse_iteratorISI_EEEEENSH_IJSG_SG_SG_EEES9_SI_JZNS1_25segmented_radix_sort_implINS0_14default_configELb1EPKlPlSQ_SR_N2at6native12_GLOBAL__N_18offset_tEEE10hipError_tPvRmT1_PNSt15iterator_traitsISZ_E10value_typeET2_T3_PNS10_IS15_E10value_typeET4_jRbjT5_S1B_jjP12ihipStream_tbEUljE_ZNSN_ISO_Lb1ESQ_SR_SQ_SR_SV_EESW_SX_SY_SZ_S13_S14_S15_S18_S19_jS1A_jS1B_S1B_jjS1D_bEUljE0_EEESW_SX_SY_S15_S19_S1B_T6_T7_T9_mT8_S1D_bDpT10_ENKUlT_T0_E_clISt17integral_constantIbLb1EES1R_EEDaS1M_S1N_EUlS1M_E_NS1_11comp_targetILNS1_3genE9ELNS1_11target_archE1100ELNS1_3gpuE3ELNS1_3repE0EEENS1_30default_config_static_selectorELNS0_4arch9wavefront6targetE1EEEvSZ_,comdat
.Lfunc_end654:
	.size	_ZN7rocprim17ROCPRIM_400000_NS6detail17trampoline_kernelINS0_13select_configILj256ELj13ELNS0_17block_load_methodE3ELS4_3ELS4_3ELNS0_20block_scan_algorithmE0ELj4294967295EEENS1_25partition_config_selectorILNS1_17partition_subalgoE4EjNS0_10empty_typeEbEEZZNS1_14partition_implILS8_4ELb0ES6_15HIP_vector_typeIjLj2EENS0_17counting_iteratorIjlEEPS9_SG_NS0_5tupleIJPjSI_NS0_16reverse_iteratorISI_EEEEENSH_IJSG_SG_SG_EEES9_SI_JZNS1_25segmented_radix_sort_implINS0_14default_configELb1EPKlPlSQ_SR_N2at6native12_GLOBAL__N_18offset_tEEE10hipError_tPvRmT1_PNSt15iterator_traitsISZ_E10value_typeET2_T3_PNS10_IS15_E10value_typeET4_jRbjT5_S1B_jjP12ihipStream_tbEUljE_ZNSN_ISO_Lb1ESQ_SR_SQ_SR_SV_EESW_SX_SY_SZ_S13_S14_S15_S18_S19_jS1A_jS1B_S1B_jjS1D_bEUljE0_EEESW_SX_SY_S15_S19_S1B_T6_T7_T9_mT8_S1D_bDpT10_ENKUlT_T0_E_clISt17integral_constantIbLb1EES1R_EEDaS1M_S1N_EUlS1M_E_NS1_11comp_targetILNS1_3genE9ELNS1_11target_archE1100ELNS1_3gpuE3ELNS1_3repE0EEENS1_30default_config_static_selectorELNS0_4arch9wavefront6targetE1EEEvSZ_, .Lfunc_end654-_ZN7rocprim17ROCPRIM_400000_NS6detail17trampoline_kernelINS0_13select_configILj256ELj13ELNS0_17block_load_methodE3ELS4_3ELS4_3ELNS0_20block_scan_algorithmE0ELj4294967295EEENS1_25partition_config_selectorILNS1_17partition_subalgoE4EjNS0_10empty_typeEbEEZZNS1_14partition_implILS8_4ELb0ES6_15HIP_vector_typeIjLj2EENS0_17counting_iteratorIjlEEPS9_SG_NS0_5tupleIJPjSI_NS0_16reverse_iteratorISI_EEEEENSH_IJSG_SG_SG_EEES9_SI_JZNS1_25segmented_radix_sort_implINS0_14default_configELb1EPKlPlSQ_SR_N2at6native12_GLOBAL__N_18offset_tEEE10hipError_tPvRmT1_PNSt15iterator_traitsISZ_E10value_typeET2_T3_PNS10_IS15_E10value_typeET4_jRbjT5_S1B_jjP12ihipStream_tbEUljE_ZNSN_ISO_Lb1ESQ_SR_SQ_SR_SV_EESW_SX_SY_SZ_S13_S14_S15_S18_S19_jS1A_jS1B_S1B_jjS1D_bEUljE0_EEESW_SX_SY_S15_S19_S1B_T6_T7_T9_mT8_S1D_bDpT10_ENKUlT_T0_E_clISt17integral_constantIbLb1EES1R_EEDaS1M_S1N_EUlS1M_E_NS1_11comp_targetILNS1_3genE9ELNS1_11target_archE1100ELNS1_3gpuE3ELNS1_3repE0EEENS1_30default_config_static_selectorELNS0_4arch9wavefront6targetE1EEEvSZ_
                                        ; -- End function
	.set _ZN7rocprim17ROCPRIM_400000_NS6detail17trampoline_kernelINS0_13select_configILj256ELj13ELNS0_17block_load_methodE3ELS4_3ELS4_3ELNS0_20block_scan_algorithmE0ELj4294967295EEENS1_25partition_config_selectorILNS1_17partition_subalgoE4EjNS0_10empty_typeEbEEZZNS1_14partition_implILS8_4ELb0ES6_15HIP_vector_typeIjLj2EENS0_17counting_iteratorIjlEEPS9_SG_NS0_5tupleIJPjSI_NS0_16reverse_iteratorISI_EEEEENSH_IJSG_SG_SG_EEES9_SI_JZNS1_25segmented_radix_sort_implINS0_14default_configELb1EPKlPlSQ_SR_N2at6native12_GLOBAL__N_18offset_tEEE10hipError_tPvRmT1_PNSt15iterator_traitsISZ_E10value_typeET2_T3_PNS10_IS15_E10value_typeET4_jRbjT5_S1B_jjP12ihipStream_tbEUljE_ZNSN_ISO_Lb1ESQ_SR_SQ_SR_SV_EESW_SX_SY_SZ_S13_S14_S15_S18_S19_jS1A_jS1B_S1B_jjS1D_bEUljE0_EEESW_SX_SY_S15_S19_S1B_T6_T7_T9_mT8_S1D_bDpT10_ENKUlT_T0_E_clISt17integral_constantIbLb1EES1R_EEDaS1M_S1N_EUlS1M_E_NS1_11comp_targetILNS1_3genE9ELNS1_11target_archE1100ELNS1_3gpuE3ELNS1_3repE0EEENS1_30default_config_static_selectorELNS0_4arch9wavefront6targetE1EEEvSZ_.num_vgpr, 0
	.set _ZN7rocprim17ROCPRIM_400000_NS6detail17trampoline_kernelINS0_13select_configILj256ELj13ELNS0_17block_load_methodE3ELS4_3ELS4_3ELNS0_20block_scan_algorithmE0ELj4294967295EEENS1_25partition_config_selectorILNS1_17partition_subalgoE4EjNS0_10empty_typeEbEEZZNS1_14partition_implILS8_4ELb0ES6_15HIP_vector_typeIjLj2EENS0_17counting_iteratorIjlEEPS9_SG_NS0_5tupleIJPjSI_NS0_16reverse_iteratorISI_EEEEENSH_IJSG_SG_SG_EEES9_SI_JZNS1_25segmented_radix_sort_implINS0_14default_configELb1EPKlPlSQ_SR_N2at6native12_GLOBAL__N_18offset_tEEE10hipError_tPvRmT1_PNSt15iterator_traitsISZ_E10value_typeET2_T3_PNS10_IS15_E10value_typeET4_jRbjT5_S1B_jjP12ihipStream_tbEUljE_ZNSN_ISO_Lb1ESQ_SR_SQ_SR_SV_EESW_SX_SY_SZ_S13_S14_S15_S18_S19_jS1A_jS1B_S1B_jjS1D_bEUljE0_EEESW_SX_SY_S15_S19_S1B_T6_T7_T9_mT8_S1D_bDpT10_ENKUlT_T0_E_clISt17integral_constantIbLb1EES1R_EEDaS1M_S1N_EUlS1M_E_NS1_11comp_targetILNS1_3genE9ELNS1_11target_archE1100ELNS1_3gpuE3ELNS1_3repE0EEENS1_30default_config_static_selectorELNS0_4arch9wavefront6targetE1EEEvSZ_.num_agpr, 0
	.set _ZN7rocprim17ROCPRIM_400000_NS6detail17trampoline_kernelINS0_13select_configILj256ELj13ELNS0_17block_load_methodE3ELS4_3ELS4_3ELNS0_20block_scan_algorithmE0ELj4294967295EEENS1_25partition_config_selectorILNS1_17partition_subalgoE4EjNS0_10empty_typeEbEEZZNS1_14partition_implILS8_4ELb0ES6_15HIP_vector_typeIjLj2EENS0_17counting_iteratorIjlEEPS9_SG_NS0_5tupleIJPjSI_NS0_16reverse_iteratorISI_EEEEENSH_IJSG_SG_SG_EEES9_SI_JZNS1_25segmented_radix_sort_implINS0_14default_configELb1EPKlPlSQ_SR_N2at6native12_GLOBAL__N_18offset_tEEE10hipError_tPvRmT1_PNSt15iterator_traitsISZ_E10value_typeET2_T3_PNS10_IS15_E10value_typeET4_jRbjT5_S1B_jjP12ihipStream_tbEUljE_ZNSN_ISO_Lb1ESQ_SR_SQ_SR_SV_EESW_SX_SY_SZ_S13_S14_S15_S18_S19_jS1A_jS1B_S1B_jjS1D_bEUljE0_EEESW_SX_SY_S15_S19_S1B_T6_T7_T9_mT8_S1D_bDpT10_ENKUlT_T0_E_clISt17integral_constantIbLb1EES1R_EEDaS1M_S1N_EUlS1M_E_NS1_11comp_targetILNS1_3genE9ELNS1_11target_archE1100ELNS1_3gpuE3ELNS1_3repE0EEENS1_30default_config_static_selectorELNS0_4arch9wavefront6targetE1EEEvSZ_.numbered_sgpr, 0
	.set _ZN7rocprim17ROCPRIM_400000_NS6detail17trampoline_kernelINS0_13select_configILj256ELj13ELNS0_17block_load_methodE3ELS4_3ELS4_3ELNS0_20block_scan_algorithmE0ELj4294967295EEENS1_25partition_config_selectorILNS1_17partition_subalgoE4EjNS0_10empty_typeEbEEZZNS1_14partition_implILS8_4ELb0ES6_15HIP_vector_typeIjLj2EENS0_17counting_iteratorIjlEEPS9_SG_NS0_5tupleIJPjSI_NS0_16reverse_iteratorISI_EEEEENSH_IJSG_SG_SG_EEES9_SI_JZNS1_25segmented_radix_sort_implINS0_14default_configELb1EPKlPlSQ_SR_N2at6native12_GLOBAL__N_18offset_tEEE10hipError_tPvRmT1_PNSt15iterator_traitsISZ_E10value_typeET2_T3_PNS10_IS15_E10value_typeET4_jRbjT5_S1B_jjP12ihipStream_tbEUljE_ZNSN_ISO_Lb1ESQ_SR_SQ_SR_SV_EESW_SX_SY_SZ_S13_S14_S15_S18_S19_jS1A_jS1B_S1B_jjS1D_bEUljE0_EEESW_SX_SY_S15_S19_S1B_T6_T7_T9_mT8_S1D_bDpT10_ENKUlT_T0_E_clISt17integral_constantIbLb1EES1R_EEDaS1M_S1N_EUlS1M_E_NS1_11comp_targetILNS1_3genE9ELNS1_11target_archE1100ELNS1_3gpuE3ELNS1_3repE0EEENS1_30default_config_static_selectorELNS0_4arch9wavefront6targetE1EEEvSZ_.num_named_barrier, 0
	.set _ZN7rocprim17ROCPRIM_400000_NS6detail17trampoline_kernelINS0_13select_configILj256ELj13ELNS0_17block_load_methodE3ELS4_3ELS4_3ELNS0_20block_scan_algorithmE0ELj4294967295EEENS1_25partition_config_selectorILNS1_17partition_subalgoE4EjNS0_10empty_typeEbEEZZNS1_14partition_implILS8_4ELb0ES6_15HIP_vector_typeIjLj2EENS0_17counting_iteratorIjlEEPS9_SG_NS0_5tupleIJPjSI_NS0_16reverse_iteratorISI_EEEEENSH_IJSG_SG_SG_EEES9_SI_JZNS1_25segmented_radix_sort_implINS0_14default_configELb1EPKlPlSQ_SR_N2at6native12_GLOBAL__N_18offset_tEEE10hipError_tPvRmT1_PNSt15iterator_traitsISZ_E10value_typeET2_T3_PNS10_IS15_E10value_typeET4_jRbjT5_S1B_jjP12ihipStream_tbEUljE_ZNSN_ISO_Lb1ESQ_SR_SQ_SR_SV_EESW_SX_SY_SZ_S13_S14_S15_S18_S19_jS1A_jS1B_S1B_jjS1D_bEUljE0_EEESW_SX_SY_S15_S19_S1B_T6_T7_T9_mT8_S1D_bDpT10_ENKUlT_T0_E_clISt17integral_constantIbLb1EES1R_EEDaS1M_S1N_EUlS1M_E_NS1_11comp_targetILNS1_3genE9ELNS1_11target_archE1100ELNS1_3gpuE3ELNS1_3repE0EEENS1_30default_config_static_selectorELNS0_4arch9wavefront6targetE1EEEvSZ_.private_seg_size, 0
	.set _ZN7rocprim17ROCPRIM_400000_NS6detail17trampoline_kernelINS0_13select_configILj256ELj13ELNS0_17block_load_methodE3ELS4_3ELS4_3ELNS0_20block_scan_algorithmE0ELj4294967295EEENS1_25partition_config_selectorILNS1_17partition_subalgoE4EjNS0_10empty_typeEbEEZZNS1_14partition_implILS8_4ELb0ES6_15HIP_vector_typeIjLj2EENS0_17counting_iteratorIjlEEPS9_SG_NS0_5tupleIJPjSI_NS0_16reverse_iteratorISI_EEEEENSH_IJSG_SG_SG_EEES9_SI_JZNS1_25segmented_radix_sort_implINS0_14default_configELb1EPKlPlSQ_SR_N2at6native12_GLOBAL__N_18offset_tEEE10hipError_tPvRmT1_PNSt15iterator_traitsISZ_E10value_typeET2_T3_PNS10_IS15_E10value_typeET4_jRbjT5_S1B_jjP12ihipStream_tbEUljE_ZNSN_ISO_Lb1ESQ_SR_SQ_SR_SV_EESW_SX_SY_SZ_S13_S14_S15_S18_S19_jS1A_jS1B_S1B_jjS1D_bEUljE0_EEESW_SX_SY_S15_S19_S1B_T6_T7_T9_mT8_S1D_bDpT10_ENKUlT_T0_E_clISt17integral_constantIbLb1EES1R_EEDaS1M_S1N_EUlS1M_E_NS1_11comp_targetILNS1_3genE9ELNS1_11target_archE1100ELNS1_3gpuE3ELNS1_3repE0EEENS1_30default_config_static_selectorELNS0_4arch9wavefront6targetE1EEEvSZ_.uses_vcc, 0
	.set _ZN7rocprim17ROCPRIM_400000_NS6detail17trampoline_kernelINS0_13select_configILj256ELj13ELNS0_17block_load_methodE3ELS4_3ELS4_3ELNS0_20block_scan_algorithmE0ELj4294967295EEENS1_25partition_config_selectorILNS1_17partition_subalgoE4EjNS0_10empty_typeEbEEZZNS1_14partition_implILS8_4ELb0ES6_15HIP_vector_typeIjLj2EENS0_17counting_iteratorIjlEEPS9_SG_NS0_5tupleIJPjSI_NS0_16reverse_iteratorISI_EEEEENSH_IJSG_SG_SG_EEES9_SI_JZNS1_25segmented_radix_sort_implINS0_14default_configELb1EPKlPlSQ_SR_N2at6native12_GLOBAL__N_18offset_tEEE10hipError_tPvRmT1_PNSt15iterator_traitsISZ_E10value_typeET2_T3_PNS10_IS15_E10value_typeET4_jRbjT5_S1B_jjP12ihipStream_tbEUljE_ZNSN_ISO_Lb1ESQ_SR_SQ_SR_SV_EESW_SX_SY_SZ_S13_S14_S15_S18_S19_jS1A_jS1B_S1B_jjS1D_bEUljE0_EEESW_SX_SY_S15_S19_S1B_T6_T7_T9_mT8_S1D_bDpT10_ENKUlT_T0_E_clISt17integral_constantIbLb1EES1R_EEDaS1M_S1N_EUlS1M_E_NS1_11comp_targetILNS1_3genE9ELNS1_11target_archE1100ELNS1_3gpuE3ELNS1_3repE0EEENS1_30default_config_static_selectorELNS0_4arch9wavefront6targetE1EEEvSZ_.uses_flat_scratch, 0
	.set _ZN7rocprim17ROCPRIM_400000_NS6detail17trampoline_kernelINS0_13select_configILj256ELj13ELNS0_17block_load_methodE3ELS4_3ELS4_3ELNS0_20block_scan_algorithmE0ELj4294967295EEENS1_25partition_config_selectorILNS1_17partition_subalgoE4EjNS0_10empty_typeEbEEZZNS1_14partition_implILS8_4ELb0ES6_15HIP_vector_typeIjLj2EENS0_17counting_iteratorIjlEEPS9_SG_NS0_5tupleIJPjSI_NS0_16reverse_iteratorISI_EEEEENSH_IJSG_SG_SG_EEES9_SI_JZNS1_25segmented_radix_sort_implINS0_14default_configELb1EPKlPlSQ_SR_N2at6native12_GLOBAL__N_18offset_tEEE10hipError_tPvRmT1_PNSt15iterator_traitsISZ_E10value_typeET2_T3_PNS10_IS15_E10value_typeET4_jRbjT5_S1B_jjP12ihipStream_tbEUljE_ZNSN_ISO_Lb1ESQ_SR_SQ_SR_SV_EESW_SX_SY_SZ_S13_S14_S15_S18_S19_jS1A_jS1B_S1B_jjS1D_bEUljE0_EEESW_SX_SY_S15_S19_S1B_T6_T7_T9_mT8_S1D_bDpT10_ENKUlT_T0_E_clISt17integral_constantIbLb1EES1R_EEDaS1M_S1N_EUlS1M_E_NS1_11comp_targetILNS1_3genE9ELNS1_11target_archE1100ELNS1_3gpuE3ELNS1_3repE0EEENS1_30default_config_static_selectorELNS0_4arch9wavefront6targetE1EEEvSZ_.has_dyn_sized_stack, 0
	.set _ZN7rocprim17ROCPRIM_400000_NS6detail17trampoline_kernelINS0_13select_configILj256ELj13ELNS0_17block_load_methodE3ELS4_3ELS4_3ELNS0_20block_scan_algorithmE0ELj4294967295EEENS1_25partition_config_selectorILNS1_17partition_subalgoE4EjNS0_10empty_typeEbEEZZNS1_14partition_implILS8_4ELb0ES6_15HIP_vector_typeIjLj2EENS0_17counting_iteratorIjlEEPS9_SG_NS0_5tupleIJPjSI_NS0_16reverse_iteratorISI_EEEEENSH_IJSG_SG_SG_EEES9_SI_JZNS1_25segmented_radix_sort_implINS0_14default_configELb1EPKlPlSQ_SR_N2at6native12_GLOBAL__N_18offset_tEEE10hipError_tPvRmT1_PNSt15iterator_traitsISZ_E10value_typeET2_T3_PNS10_IS15_E10value_typeET4_jRbjT5_S1B_jjP12ihipStream_tbEUljE_ZNSN_ISO_Lb1ESQ_SR_SQ_SR_SV_EESW_SX_SY_SZ_S13_S14_S15_S18_S19_jS1A_jS1B_S1B_jjS1D_bEUljE0_EEESW_SX_SY_S15_S19_S1B_T6_T7_T9_mT8_S1D_bDpT10_ENKUlT_T0_E_clISt17integral_constantIbLb1EES1R_EEDaS1M_S1N_EUlS1M_E_NS1_11comp_targetILNS1_3genE9ELNS1_11target_archE1100ELNS1_3gpuE3ELNS1_3repE0EEENS1_30default_config_static_selectorELNS0_4arch9wavefront6targetE1EEEvSZ_.has_recursion, 0
	.set _ZN7rocprim17ROCPRIM_400000_NS6detail17trampoline_kernelINS0_13select_configILj256ELj13ELNS0_17block_load_methodE3ELS4_3ELS4_3ELNS0_20block_scan_algorithmE0ELj4294967295EEENS1_25partition_config_selectorILNS1_17partition_subalgoE4EjNS0_10empty_typeEbEEZZNS1_14partition_implILS8_4ELb0ES6_15HIP_vector_typeIjLj2EENS0_17counting_iteratorIjlEEPS9_SG_NS0_5tupleIJPjSI_NS0_16reverse_iteratorISI_EEEEENSH_IJSG_SG_SG_EEES9_SI_JZNS1_25segmented_radix_sort_implINS0_14default_configELb1EPKlPlSQ_SR_N2at6native12_GLOBAL__N_18offset_tEEE10hipError_tPvRmT1_PNSt15iterator_traitsISZ_E10value_typeET2_T3_PNS10_IS15_E10value_typeET4_jRbjT5_S1B_jjP12ihipStream_tbEUljE_ZNSN_ISO_Lb1ESQ_SR_SQ_SR_SV_EESW_SX_SY_SZ_S13_S14_S15_S18_S19_jS1A_jS1B_S1B_jjS1D_bEUljE0_EEESW_SX_SY_S15_S19_S1B_T6_T7_T9_mT8_S1D_bDpT10_ENKUlT_T0_E_clISt17integral_constantIbLb1EES1R_EEDaS1M_S1N_EUlS1M_E_NS1_11comp_targetILNS1_3genE9ELNS1_11target_archE1100ELNS1_3gpuE3ELNS1_3repE0EEENS1_30default_config_static_selectorELNS0_4arch9wavefront6targetE1EEEvSZ_.has_indirect_call, 0
	.section	.AMDGPU.csdata,"",@progbits
; Kernel info:
; codeLenInByte = 0
; TotalNumSgprs: 4
; NumVgprs: 0
; ScratchSize: 0
; MemoryBound: 0
; FloatMode: 240
; IeeeMode: 1
; LDSByteSize: 0 bytes/workgroup (compile time only)
; SGPRBlocks: 0
; VGPRBlocks: 0
; NumSGPRsForWavesPerEU: 4
; NumVGPRsForWavesPerEU: 1
; Occupancy: 10
; WaveLimiterHint : 0
; COMPUTE_PGM_RSRC2:SCRATCH_EN: 0
; COMPUTE_PGM_RSRC2:USER_SGPR: 6
; COMPUTE_PGM_RSRC2:TRAP_HANDLER: 0
; COMPUTE_PGM_RSRC2:TGID_X_EN: 1
; COMPUTE_PGM_RSRC2:TGID_Y_EN: 0
; COMPUTE_PGM_RSRC2:TGID_Z_EN: 0
; COMPUTE_PGM_RSRC2:TIDIG_COMP_CNT: 0
	.section	.text._ZN7rocprim17ROCPRIM_400000_NS6detail17trampoline_kernelINS0_13select_configILj256ELj13ELNS0_17block_load_methodE3ELS4_3ELS4_3ELNS0_20block_scan_algorithmE0ELj4294967295EEENS1_25partition_config_selectorILNS1_17partition_subalgoE4EjNS0_10empty_typeEbEEZZNS1_14partition_implILS8_4ELb0ES6_15HIP_vector_typeIjLj2EENS0_17counting_iteratorIjlEEPS9_SG_NS0_5tupleIJPjSI_NS0_16reverse_iteratorISI_EEEEENSH_IJSG_SG_SG_EEES9_SI_JZNS1_25segmented_radix_sort_implINS0_14default_configELb1EPKlPlSQ_SR_N2at6native12_GLOBAL__N_18offset_tEEE10hipError_tPvRmT1_PNSt15iterator_traitsISZ_E10value_typeET2_T3_PNS10_IS15_E10value_typeET4_jRbjT5_S1B_jjP12ihipStream_tbEUljE_ZNSN_ISO_Lb1ESQ_SR_SQ_SR_SV_EESW_SX_SY_SZ_S13_S14_S15_S18_S19_jS1A_jS1B_S1B_jjS1D_bEUljE0_EEESW_SX_SY_S15_S19_S1B_T6_T7_T9_mT8_S1D_bDpT10_ENKUlT_T0_E_clISt17integral_constantIbLb1EES1R_EEDaS1M_S1N_EUlS1M_E_NS1_11comp_targetILNS1_3genE8ELNS1_11target_archE1030ELNS1_3gpuE2ELNS1_3repE0EEENS1_30default_config_static_selectorELNS0_4arch9wavefront6targetE1EEEvSZ_,"axG",@progbits,_ZN7rocprim17ROCPRIM_400000_NS6detail17trampoline_kernelINS0_13select_configILj256ELj13ELNS0_17block_load_methodE3ELS4_3ELS4_3ELNS0_20block_scan_algorithmE0ELj4294967295EEENS1_25partition_config_selectorILNS1_17partition_subalgoE4EjNS0_10empty_typeEbEEZZNS1_14partition_implILS8_4ELb0ES6_15HIP_vector_typeIjLj2EENS0_17counting_iteratorIjlEEPS9_SG_NS0_5tupleIJPjSI_NS0_16reverse_iteratorISI_EEEEENSH_IJSG_SG_SG_EEES9_SI_JZNS1_25segmented_radix_sort_implINS0_14default_configELb1EPKlPlSQ_SR_N2at6native12_GLOBAL__N_18offset_tEEE10hipError_tPvRmT1_PNSt15iterator_traitsISZ_E10value_typeET2_T3_PNS10_IS15_E10value_typeET4_jRbjT5_S1B_jjP12ihipStream_tbEUljE_ZNSN_ISO_Lb1ESQ_SR_SQ_SR_SV_EESW_SX_SY_SZ_S13_S14_S15_S18_S19_jS1A_jS1B_S1B_jjS1D_bEUljE0_EEESW_SX_SY_S15_S19_S1B_T6_T7_T9_mT8_S1D_bDpT10_ENKUlT_T0_E_clISt17integral_constantIbLb1EES1R_EEDaS1M_S1N_EUlS1M_E_NS1_11comp_targetILNS1_3genE8ELNS1_11target_archE1030ELNS1_3gpuE2ELNS1_3repE0EEENS1_30default_config_static_selectorELNS0_4arch9wavefront6targetE1EEEvSZ_,comdat
	.globl	_ZN7rocprim17ROCPRIM_400000_NS6detail17trampoline_kernelINS0_13select_configILj256ELj13ELNS0_17block_load_methodE3ELS4_3ELS4_3ELNS0_20block_scan_algorithmE0ELj4294967295EEENS1_25partition_config_selectorILNS1_17partition_subalgoE4EjNS0_10empty_typeEbEEZZNS1_14partition_implILS8_4ELb0ES6_15HIP_vector_typeIjLj2EENS0_17counting_iteratorIjlEEPS9_SG_NS0_5tupleIJPjSI_NS0_16reverse_iteratorISI_EEEEENSH_IJSG_SG_SG_EEES9_SI_JZNS1_25segmented_radix_sort_implINS0_14default_configELb1EPKlPlSQ_SR_N2at6native12_GLOBAL__N_18offset_tEEE10hipError_tPvRmT1_PNSt15iterator_traitsISZ_E10value_typeET2_T3_PNS10_IS15_E10value_typeET4_jRbjT5_S1B_jjP12ihipStream_tbEUljE_ZNSN_ISO_Lb1ESQ_SR_SQ_SR_SV_EESW_SX_SY_SZ_S13_S14_S15_S18_S19_jS1A_jS1B_S1B_jjS1D_bEUljE0_EEESW_SX_SY_S15_S19_S1B_T6_T7_T9_mT8_S1D_bDpT10_ENKUlT_T0_E_clISt17integral_constantIbLb1EES1R_EEDaS1M_S1N_EUlS1M_E_NS1_11comp_targetILNS1_3genE8ELNS1_11target_archE1030ELNS1_3gpuE2ELNS1_3repE0EEENS1_30default_config_static_selectorELNS0_4arch9wavefront6targetE1EEEvSZ_ ; -- Begin function _ZN7rocprim17ROCPRIM_400000_NS6detail17trampoline_kernelINS0_13select_configILj256ELj13ELNS0_17block_load_methodE3ELS4_3ELS4_3ELNS0_20block_scan_algorithmE0ELj4294967295EEENS1_25partition_config_selectorILNS1_17partition_subalgoE4EjNS0_10empty_typeEbEEZZNS1_14partition_implILS8_4ELb0ES6_15HIP_vector_typeIjLj2EENS0_17counting_iteratorIjlEEPS9_SG_NS0_5tupleIJPjSI_NS0_16reverse_iteratorISI_EEEEENSH_IJSG_SG_SG_EEES9_SI_JZNS1_25segmented_radix_sort_implINS0_14default_configELb1EPKlPlSQ_SR_N2at6native12_GLOBAL__N_18offset_tEEE10hipError_tPvRmT1_PNSt15iterator_traitsISZ_E10value_typeET2_T3_PNS10_IS15_E10value_typeET4_jRbjT5_S1B_jjP12ihipStream_tbEUljE_ZNSN_ISO_Lb1ESQ_SR_SQ_SR_SV_EESW_SX_SY_SZ_S13_S14_S15_S18_S19_jS1A_jS1B_S1B_jjS1D_bEUljE0_EEESW_SX_SY_S15_S19_S1B_T6_T7_T9_mT8_S1D_bDpT10_ENKUlT_T0_E_clISt17integral_constantIbLb1EES1R_EEDaS1M_S1N_EUlS1M_E_NS1_11comp_targetILNS1_3genE8ELNS1_11target_archE1030ELNS1_3gpuE2ELNS1_3repE0EEENS1_30default_config_static_selectorELNS0_4arch9wavefront6targetE1EEEvSZ_
	.p2align	8
	.type	_ZN7rocprim17ROCPRIM_400000_NS6detail17trampoline_kernelINS0_13select_configILj256ELj13ELNS0_17block_load_methodE3ELS4_3ELS4_3ELNS0_20block_scan_algorithmE0ELj4294967295EEENS1_25partition_config_selectorILNS1_17partition_subalgoE4EjNS0_10empty_typeEbEEZZNS1_14partition_implILS8_4ELb0ES6_15HIP_vector_typeIjLj2EENS0_17counting_iteratorIjlEEPS9_SG_NS0_5tupleIJPjSI_NS0_16reverse_iteratorISI_EEEEENSH_IJSG_SG_SG_EEES9_SI_JZNS1_25segmented_radix_sort_implINS0_14default_configELb1EPKlPlSQ_SR_N2at6native12_GLOBAL__N_18offset_tEEE10hipError_tPvRmT1_PNSt15iterator_traitsISZ_E10value_typeET2_T3_PNS10_IS15_E10value_typeET4_jRbjT5_S1B_jjP12ihipStream_tbEUljE_ZNSN_ISO_Lb1ESQ_SR_SQ_SR_SV_EESW_SX_SY_SZ_S13_S14_S15_S18_S19_jS1A_jS1B_S1B_jjS1D_bEUljE0_EEESW_SX_SY_S15_S19_S1B_T6_T7_T9_mT8_S1D_bDpT10_ENKUlT_T0_E_clISt17integral_constantIbLb1EES1R_EEDaS1M_S1N_EUlS1M_E_NS1_11comp_targetILNS1_3genE8ELNS1_11target_archE1030ELNS1_3gpuE2ELNS1_3repE0EEENS1_30default_config_static_selectorELNS0_4arch9wavefront6targetE1EEEvSZ_,@function
_ZN7rocprim17ROCPRIM_400000_NS6detail17trampoline_kernelINS0_13select_configILj256ELj13ELNS0_17block_load_methodE3ELS4_3ELS4_3ELNS0_20block_scan_algorithmE0ELj4294967295EEENS1_25partition_config_selectorILNS1_17partition_subalgoE4EjNS0_10empty_typeEbEEZZNS1_14partition_implILS8_4ELb0ES6_15HIP_vector_typeIjLj2EENS0_17counting_iteratorIjlEEPS9_SG_NS0_5tupleIJPjSI_NS0_16reverse_iteratorISI_EEEEENSH_IJSG_SG_SG_EEES9_SI_JZNS1_25segmented_radix_sort_implINS0_14default_configELb1EPKlPlSQ_SR_N2at6native12_GLOBAL__N_18offset_tEEE10hipError_tPvRmT1_PNSt15iterator_traitsISZ_E10value_typeET2_T3_PNS10_IS15_E10value_typeET4_jRbjT5_S1B_jjP12ihipStream_tbEUljE_ZNSN_ISO_Lb1ESQ_SR_SQ_SR_SV_EESW_SX_SY_SZ_S13_S14_S15_S18_S19_jS1A_jS1B_S1B_jjS1D_bEUljE0_EEESW_SX_SY_S15_S19_S1B_T6_T7_T9_mT8_S1D_bDpT10_ENKUlT_T0_E_clISt17integral_constantIbLb1EES1R_EEDaS1M_S1N_EUlS1M_E_NS1_11comp_targetILNS1_3genE8ELNS1_11target_archE1030ELNS1_3gpuE2ELNS1_3repE0EEENS1_30default_config_static_selectorELNS0_4arch9wavefront6targetE1EEEvSZ_: ; @_ZN7rocprim17ROCPRIM_400000_NS6detail17trampoline_kernelINS0_13select_configILj256ELj13ELNS0_17block_load_methodE3ELS4_3ELS4_3ELNS0_20block_scan_algorithmE0ELj4294967295EEENS1_25partition_config_selectorILNS1_17partition_subalgoE4EjNS0_10empty_typeEbEEZZNS1_14partition_implILS8_4ELb0ES6_15HIP_vector_typeIjLj2EENS0_17counting_iteratorIjlEEPS9_SG_NS0_5tupleIJPjSI_NS0_16reverse_iteratorISI_EEEEENSH_IJSG_SG_SG_EEES9_SI_JZNS1_25segmented_radix_sort_implINS0_14default_configELb1EPKlPlSQ_SR_N2at6native12_GLOBAL__N_18offset_tEEE10hipError_tPvRmT1_PNSt15iterator_traitsISZ_E10value_typeET2_T3_PNS10_IS15_E10value_typeET4_jRbjT5_S1B_jjP12ihipStream_tbEUljE_ZNSN_ISO_Lb1ESQ_SR_SQ_SR_SV_EESW_SX_SY_SZ_S13_S14_S15_S18_S19_jS1A_jS1B_S1B_jjS1D_bEUljE0_EEESW_SX_SY_S15_S19_S1B_T6_T7_T9_mT8_S1D_bDpT10_ENKUlT_T0_E_clISt17integral_constantIbLb1EES1R_EEDaS1M_S1N_EUlS1M_E_NS1_11comp_targetILNS1_3genE8ELNS1_11target_archE1030ELNS1_3gpuE2ELNS1_3repE0EEENS1_30default_config_static_selectorELNS0_4arch9wavefront6targetE1EEEvSZ_
; %bb.0:
	.section	.rodata,"a",@progbits
	.p2align	6, 0x0
	.amdhsa_kernel _ZN7rocprim17ROCPRIM_400000_NS6detail17trampoline_kernelINS0_13select_configILj256ELj13ELNS0_17block_load_methodE3ELS4_3ELS4_3ELNS0_20block_scan_algorithmE0ELj4294967295EEENS1_25partition_config_selectorILNS1_17partition_subalgoE4EjNS0_10empty_typeEbEEZZNS1_14partition_implILS8_4ELb0ES6_15HIP_vector_typeIjLj2EENS0_17counting_iteratorIjlEEPS9_SG_NS0_5tupleIJPjSI_NS0_16reverse_iteratorISI_EEEEENSH_IJSG_SG_SG_EEES9_SI_JZNS1_25segmented_radix_sort_implINS0_14default_configELb1EPKlPlSQ_SR_N2at6native12_GLOBAL__N_18offset_tEEE10hipError_tPvRmT1_PNSt15iterator_traitsISZ_E10value_typeET2_T3_PNS10_IS15_E10value_typeET4_jRbjT5_S1B_jjP12ihipStream_tbEUljE_ZNSN_ISO_Lb1ESQ_SR_SQ_SR_SV_EESW_SX_SY_SZ_S13_S14_S15_S18_S19_jS1A_jS1B_S1B_jjS1D_bEUljE0_EEESW_SX_SY_S15_S19_S1B_T6_T7_T9_mT8_S1D_bDpT10_ENKUlT_T0_E_clISt17integral_constantIbLb1EES1R_EEDaS1M_S1N_EUlS1M_E_NS1_11comp_targetILNS1_3genE8ELNS1_11target_archE1030ELNS1_3gpuE2ELNS1_3repE0EEENS1_30default_config_static_selectorELNS0_4arch9wavefront6targetE1EEEvSZ_
		.amdhsa_group_segment_fixed_size 0
		.amdhsa_private_segment_fixed_size 0
		.amdhsa_kernarg_size 184
		.amdhsa_user_sgpr_count 6
		.amdhsa_user_sgpr_private_segment_buffer 1
		.amdhsa_user_sgpr_dispatch_ptr 0
		.amdhsa_user_sgpr_queue_ptr 0
		.amdhsa_user_sgpr_kernarg_segment_ptr 1
		.amdhsa_user_sgpr_dispatch_id 0
		.amdhsa_user_sgpr_flat_scratch_init 0
		.amdhsa_user_sgpr_private_segment_size 0
		.amdhsa_uses_dynamic_stack 0
		.amdhsa_system_sgpr_private_segment_wavefront_offset 0
		.amdhsa_system_sgpr_workgroup_id_x 1
		.amdhsa_system_sgpr_workgroup_id_y 0
		.amdhsa_system_sgpr_workgroup_id_z 0
		.amdhsa_system_sgpr_workgroup_info 0
		.amdhsa_system_vgpr_workitem_id 0
		.amdhsa_next_free_vgpr 1
		.amdhsa_next_free_sgpr 0
		.amdhsa_reserve_vcc 0
		.amdhsa_reserve_flat_scratch 0
		.amdhsa_float_round_mode_32 0
		.amdhsa_float_round_mode_16_64 0
		.amdhsa_float_denorm_mode_32 3
		.amdhsa_float_denorm_mode_16_64 3
		.amdhsa_dx10_clamp 1
		.amdhsa_ieee_mode 1
		.amdhsa_fp16_overflow 0
		.amdhsa_exception_fp_ieee_invalid_op 0
		.amdhsa_exception_fp_denorm_src 0
		.amdhsa_exception_fp_ieee_div_zero 0
		.amdhsa_exception_fp_ieee_overflow 0
		.amdhsa_exception_fp_ieee_underflow 0
		.amdhsa_exception_fp_ieee_inexact 0
		.amdhsa_exception_int_div_zero 0
	.end_amdhsa_kernel
	.section	.text._ZN7rocprim17ROCPRIM_400000_NS6detail17trampoline_kernelINS0_13select_configILj256ELj13ELNS0_17block_load_methodE3ELS4_3ELS4_3ELNS0_20block_scan_algorithmE0ELj4294967295EEENS1_25partition_config_selectorILNS1_17partition_subalgoE4EjNS0_10empty_typeEbEEZZNS1_14partition_implILS8_4ELb0ES6_15HIP_vector_typeIjLj2EENS0_17counting_iteratorIjlEEPS9_SG_NS0_5tupleIJPjSI_NS0_16reverse_iteratorISI_EEEEENSH_IJSG_SG_SG_EEES9_SI_JZNS1_25segmented_radix_sort_implINS0_14default_configELb1EPKlPlSQ_SR_N2at6native12_GLOBAL__N_18offset_tEEE10hipError_tPvRmT1_PNSt15iterator_traitsISZ_E10value_typeET2_T3_PNS10_IS15_E10value_typeET4_jRbjT5_S1B_jjP12ihipStream_tbEUljE_ZNSN_ISO_Lb1ESQ_SR_SQ_SR_SV_EESW_SX_SY_SZ_S13_S14_S15_S18_S19_jS1A_jS1B_S1B_jjS1D_bEUljE0_EEESW_SX_SY_S15_S19_S1B_T6_T7_T9_mT8_S1D_bDpT10_ENKUlT_T0_E_clISt17integral_constantIbLb1EES1R_EEDaS1M_S1N_EUlS1M_E_NS1_11comp_targetILNS1_3genE8ELNS1_11target_archE1030ELNS1_3gpuE2ELNS1_3repE0EEENS1_30default_config_static_selectorELNS0_4arch9wavefront6targetE1EEEvSZ_,"axG",@progbits,_ZN7rocprim17ROCPRIM_400000_NS6detail17trampoline_kernelINS0_13select_configILj256ELj13ELNS0_17block_load_methodE3ELS4_3ELS4_3ELNS0_20block_scan_algorithmE0ELj4294967295EEENS1_25partition_config_selectorILNS1_17partition_subalgoE4EjNS0_10empty_typeEbEEZZNS1_14partition_implILS8_4ELb0ES6_15HIP_vector_typeIjLj2EENS0_17counting_iteratorIjlEEPS9_SG_NS0_5tupleIJPjSI_NS0_16reverse_iteratorISI_EEEEENSH_IJSG_SG_SG_EEES9_SI_JZNS1_25segmented_radix_sort_implINS0_14default_configELb1EPKlPlSQ_SR_N2at6native12_GLOBAL__N_18offset_tEEE10hipError_tPvRmT1_PNSt15iterator_traitsISZ_E10value_typeET2_T3_PNS10_IS15_E10value_typeET4_jRbjT5_S1B_jjP12ihipStream_tbEUljE_ZNSN_ISO_Lb1ESQ_SR_SQ_SR_SV_EESW_SX_SY_SZ_S13_S14_S15_S18_S19_jS1A_jS1B_S1B_jjS1D_bEUljE0_EEESW_SX_SY_S15_S19_S1B_T6_T7_T9_mT8_S1D_bDpT10_ENKUlT_T0_E_clISt17integral_constantIbLb1EES1R_EEDaS1M_S1N_EUlS1M_E_NS1_11comp_targetILNS1_3genE8ELNS1_11target_archE1030ELNS1_3gpuE2ELNS1_3repE0EEENS1_30default_config_static_selectorELNS0_4arch9wavefront6targetE1EEEvSZ_,comdat
.Lfunc_end655:
	.size	_ZN7rocprim17ROCPRIM_400000_NS6detail17trampoline_kernelINS0_13select_configILj256ELj13ELNS0_17block_load_methodE3ELS4_3ELS4_3ELNS0_20block_scan_algorithmE0ELj4294967295EEENS1_25partition_config_selectorILNS1_17partition_subalgoE4EjNS0_10empty_typeEbEEZZNS1_14partition_implILS8_4ELb0ES6_15HIP_vector_typeIjLj2EENS0_17counting_iteratorIjlEEPS9_SG_NS0_5tupleIJPjSI_NS0_16reverse_iteratorISI_EEEEENSH_IJSG_SG_SG_EEES9_SI_JZNS1_25segmented_radix_sort_implINS0_14default_configELb1EPKlPlSQ_SR_N2at6native12_GLOBAL__N_18offset_tEEE10hipError_tPvRmT1_PNSt15iterator_traitsISZ_E10value_typeET2_T3_PNS10_IS15_E10value_typeET4_jRbjT5_S1B_jjP12ihipStream_tbEUljE_ZNSN_ISO_Lb1ESQ_SR_SQ_SR_SV_EESW_SX_SY_SZ_S13_S14_S15_S18_S19_jS1A_jS1B_S1B_jjS1D_bEUljE0_EEESW_SX_SY_S15_S19_S1B_T6_T7_T9_mT8_S1D_bDpT10_ENKUlT_T0_E_clISt17integral_constantIbLb1EES1R_EEDaS1M_S1N_EUlS1M_E_NS1_11comp_targetILNS1_3genE8ELNS1_11target_archE1030ELNS1_3gpuE2ELNS1_3repE0EEENS1_30default_config_static_selectorELNS0_4arch9wavefront6targetE1EEEvSZ_, .Lfunc_end655-_ZN7rocprim17ROCPRIM_400000_NS6detail17trampoline_kernelINS0_13select_configILj256ELj13ELNS0_17block_load_methodE3ELS4_3ELS4_3ELNS0_20block_scan_algorithmE0ELj4294967295EEENS1_25partition_config_selectorILNS1_17partition_subalgoE4EjNS0_10empty_typeEbEEZZNS1_14partition_implILS8_4ELb0ES6_15HIP_vector_typeIjLj2EENS0_17counting_iteratorIjlEEPS9_SG_NS0_5tupleIJPjSI_NS0_16reverse_iteratorISI_EEEEENSH_IJSG_SG_SG_EEES9_SI_JZNS1_25segmented_radix_sort_implINS0_14default_configELb1EPKlPlSQ_SR_N2at6native12_GLOBAL__N_18offset_tEEE10hipError_tPvRmT1_PNSt15iterator_traitsISZ_E10value_typeET2_T3_PNS10_IS15_E10value_typeET4_jRbjT5_S1B_jjP12ihipStream_tbEUljE_ZNSN_ISO_Lb1ESQ_SR_SQ_SR_SV_EESW_SX_SY_SZ_S13_S14_S15_S18_S19_jS1A_jS1B_S1B_jjS1D_bEUljE0_EEESW_SX_SY_S15_S19_S1B_T6_T7_T9_mT8_S1D_bDpT10_ENKUlT_T0_E_clISt17integral_constantIbLb1EES1R_EEDaS1M_S1N_EUlS1M_E_NS1_11comp_targetILNS1_3genE8ELNS1_11target_archE1030ELNS1_3gpuE2ELNS1_3repE0EEENS1_30default_config_static_selectorELNS0_4arch9wavefront6targetE1EEEvSZ_
                                        ; -- End function
	.set _ZN7rocprim17ROCPRIM_400000_NS6detail17trampoline_kernelINS0_13select_configILj256ELj13ELNS0_17block_load_methodE3ELS4_3ELS4_3ELNS0_20block_scan_algorithmE0ELj4294967295EEENS1_25partition_config_selectorILNS1_17partition_subalgoE4EjNS0_10empty_typeEbEEZZNS1_14partition_implILS8_4ELb0ES6_15HIP_vector_typeIjLj2EENS0_17counting_iteratorIjlEEPS9_SG_NS0_5tupleIJPjSI_NS0_16reverse_iteratorISI_EEEEENSH_IJSG_SG_SG_EEES9_SI_JZNS1_25segmented_radix_sort_implINS0_14default_configELb1EPKlPlSQ_SR_N2at6native12_GLOBAL__N_18offset_tEEE10hipError_tPvRmT1_PNSt15iterator_traitsISZ_E10value_typeET2_T3_PNS10_IS15_E10value_typeET4_jRbjT5_S1B_jjP12ihipStream_tbEUljE_ZNSN_ISO_Lb1ESQ_SR_SQ_SR_SV_EESW_SX_SY_SZ_S13_S14_S15_S18_S19_jS1A_jS1B_S1B_jjS1D_bEUljE0_EEESW_SX_SY_S15_S19_S1B_T6_T7_T9_mT8_S1D_bDpT10_ENKUlT_T0_E_clISt17integral_constantIbLb1EES1R_EEDaS1M_S1N_EUlS1M_E_NS1_11comp_targetILNS1_3genE8ELNS1_11target_archE1030ELNS1_3gpuE2ELNS1_3repE0EEENS1_30default_config_static_selectorELNS0_4arch9wavefront6targetE1EEEvSZ_.num_vgpr, 0
	.set _ZN7rocprim17ROCPRIM_400000_NS6detail17trampoline_kernelINS0_13select_configILj256ELj13ELNS0_17block_load_methodE3ELS4_3ELS4_3ELNS0_20block_scan_algorithmE0ELj4294967295EEENS1_25partition_config_selectorILNS1_17partition_subalgoE4EjNS0_10empty_typeEbEEZZNS1_14partition_implILS8_4ELb0ES6_15HIP_vector_typeIjLj2EENS0_17counting_iteratorIjlEEPS9_SG_NS0_5tupleIJPjSI_NS0_16reverse_iteratorISI_EEEEENSH_IJSG_SG_SG_EEES9_SI_JZNS1_25segmented_radix_sort_implINS0_14default_configELb1EPKlPlSQ_SR_N2at6native12_GLOBAL__N_18offset_tEEE10hipError_tPvRmT1_PNSt15iterator_traitsISZ_E10value_typeET2_T3_PNS10_IS15_E10value_typeET4_jRbjT5_S1B_jjP12ihipStream_tbEUljE_ZNSN_ISO_Lb1ESQ_SR_SQ_SR_SV_EESW_SX_SY_SZ_S13_S14_S15_S18_S19_jS1A_jS1B_S1B_jjS1D_bEUljE0_EEESW_SX_SY_S15_S19_S1B_T6_T7_T9_mT8_S1D_bDpT10_ENKUlT_T0_E_clISt17integral_constantIbLb1EES1R_EEDaS1M_S1N_EUlS1M_E_NS1_11comp_targetILNS1_3genE8ELNS1_11target_archE1030ELNS1_3gpuE2ELNS1_3repE0EEENS1_30default_config_static_selectorELNS0_4arch9wavefront6targetE1EEEvSZ_.num_agpr, 0
	.set _ZN7rocprim17ROCPRIM_400000_NS6detail17trampoline_kernelINS0_13select_configILj256ELj13ELNS0_17block_load_methodE3ELS4_3ELS4_3ELNS0_20block_scan_algorithmE0ELj4294967295EEENS1_25partition_config_selectorILNS1_17partition_subalgoE4EjNS0_10empty_typeEbEEZZNS1_14partition_implILS8_4ELb0ES6_15HIP_vector_typeIjLj2EENS0_17counting_iteratorIjlEEPS9_SG_NS0_5tupleIJPjSI_NS0_16reverse_iteratorISI_EEEEENSH_IJSG_SG_SG_EEES9_SI_JZNS1_25segmented_radix_sort_implINS0_14default_configELb1EPKlPlSQ_SR_N2at6native12_GLOBAL__N_18offset_tEEE10hipError_tPvRmT1_PNSt15iterator_traitsISZ_E10value_typeET2_T3_PNS10_IS15_E10value_typeET4_jRbjT5_S1B_jjP12ihipStream_tbEUljE_ZNSN_ISO_Lb1ESQ_SR_SQ_SR_SV_EESW_SX_SY_SZ_S13_S14_S15_S18_S19_jS1A_jS1B_S1B_jjS1D_bEUljE0_EEESW_SX_SY_S15_S19_S1B_T6_T7_T9_mT8_S1D_bDpT10_ENKUlT_T0_E_clISt17integral_constantIbLb1EES1R_EEDaS1M_S1N_EUlS1M_E_NS1_11comp_targetILNS1_3genE8ELNS1_11target_archE1030ELNS1_3gpuE2ELNS1_3repE0EEENS1_30default_config_static_selectorELNS0_4arch9wavefront6targetE1EEEvSZ_.numbered_sgpr, 0
	.set _ZN7rocprim17ROCPRIM_400000_NS6detail17trampoline_kernelINS0_13select_configILj256ELj13ELNS0_17block_load_methodE3ELS4_3ELS4_3ELNS0_20block_scan_algorithmE0ELj4294967295EEENS1_25partition_config_selectorILNS1_17partition_subalgoE4EjNS0_10empty_typeEbEEZZNS1_14partition_implILS8_4ELb0ES6_15HIP_vector_typeIjLj2EENS0_17counting_iteratorIjlEEPS9_SG_NS0_5tupleIJPjSI_NS0_16reverse_iteratorISI_EEEEENSH_IJSG_SG_SG_EEES9_SI_JZNS1_25segmented_radix_sort_implINS0_14default_configELb1EPKlPlSQ_SR_N2at6native12_GLOBAL__N_18offset_tEEE10hipError_tPvRmT1_PNSt15iterator_traitsISZ_E10value_typeET2_T3_PNS10_IS15_E10value_typeET4_jRbjT5_S1B_jjP12ihipStream_tbEUljE_ZNSN_ISO_Lb1ESQ_SR_SQ_SR_SV_EESW_SX_SY_SZ_S13_S14_S15_S18_S19_jS1A_jS1B_S1B_jjS1D_bEUljE0_EEESW_SX_SY_S15_S19_S1B_T6_T7_T9_mT8_S1D_bDpT10_ENKUlT_T0_E_clISt17integral_constantIbLb1EES1R_EEDaS1M_S1N_EUlS1M_E_NS1_11comp_targetILNS1_3genE8ELNS1_11target_archE1030ELNS1_3gpuE2ELNS1_3repE0EEENS1_30default_config_static_selectorELNS0_4arch9wavefront6targetE1EEEvSZ_.num_named_barrier, 0
	.set _ZN7rocprim17ROCPRIM_400000_NS6detail17trampoline_kernelINS0_13select_configILj256ELj13ELNS0_17block_load_methodE3ELS4_3ELS4_3ELNS0_20block_scan_algorithmE0ELj4294967295EEENS1_25partition_config_selectorILNS1_17partition_subalgoE4EjNS0_10empty_typeEbEEZZNS1_14partition_implILS8_4ELb0ES6_15HIP_vector_typeIjLj2EENS0_17counting_iteratorIjlEEPS9_SG_NS0_5tupleIJPjSI_NS0_16reverse_iteratorISI_EEEEENSH_IJSG_SG_SG_EEES9_SI_JZNS1_25segmented_radix_sort_implINS0_14default_configELb1EPKlPlSQ_SR_N2at6native12_GLOBAL__N_18offset_tEEE10hipError_tPvRmT1_PNSt15iterator_traitsISZ_E10value_typeET2_T3_PNS10_IS15_E10value_typeET4_jRbjT5_S1B_jjP12ihipStream_tbEUljE_ZNSN_ISO_Lb1ESQ_SR_SQ_SR_SV_EESW_SX_SY_SZ_S13_S14_S15_S18_S19_jS1A_jS1B_S1B_jjS1D_bEUljE0_EEESW_SX_SY_S15_S19_S1B_T6_T7_T9_mT8_S1D_bDpT10_ENKUlT_T0_E_clISt17integral_constantIbLb1EES1R_EEDaS1M_S1N_EUlS1M_E_NS1_11comp_targetILNS1_3genE8ELNS1_11target_archE1030ELNS1_3gpuE2ELNS1_3repE0EEENS1_30default_config_static_selectorELNS0_4arch9wavefront6targetE1EEEvSZ_.private_seg_size, 0
	.set _ZN7rocprim17ROCPRIM_400000_NS6detail17trampoline_kernelINS0_13select_configILj256ELj13ELNS0_17block_load_methodE3ELS4_3ELS4_3ELNS0_20block_scan_algorithmE0ELj4294967295EEENS1_25partition_config_selectorILNS1_17partition_subalgoE4EjNS0_10empty_typeEbEEZZNS1_14partition_implILS8_4ELb0ES6_15HIP_vector_typeIjLj2EENS0_17counting_iteratorIjlEEPS9_SG_NS0_5tupleIJPjSI_NS0_16reverse_iteratorISI_EEEEENSH_IJSG_SG_SG_EEES9_SI_JZNS1_25segmented_radix_sort_implINS0_14default_configELb1EPKlPlSQ_SR_N2at6native12_GLOBAL__N_18offset_tEEE10hipError_tPvRmT1_PNSt15iterator_traitsISZ_E10value_typeET2_T3_PNS10_IS15_E10value_typeET4_jRbjT5_S1B_jjP12ihipStream_tbEUljE_ZNSN_ISO_Lb1ESQ_SR_SQ_SR_SV_EESW_SX_SY_SZ_S13_S14_S15_S18_S19_jS1A_jS1B_S1B_jjS1D_bEUljE0_EEESW_SX_SY_S15_S19_S1B_T6_T7_T9_mT8_S1D_bDpT10_ENKUlT_T0_E_clISt17integral_constantIbLb1EES1R_EEDaS1M_S1N_EUlS1M_E_NS1_11comp_targetILNS1_3genE8ELNS1_11target_archE1030ELNS1_3gpuE2ELNS1_3repE0EEENS1_30default_config_static_selectorELNS0_4arch9wavefront6targetE1EEEvSZ_.uses_vcc, 0
	.set _ZN7rocprim17ROCPRIM_400000_NS6detail17trampoline_kernelINS0_13select_configILj256ELj13ELNS0_17block_load_methodE3ELS4_3ELS4_3ELNS0_20block_scan_algorithmE0ELj4294967295EEENS1_25partition_config_selectorILNS1_17partition_subalgoE4EjNS0_10empty_typeEbEEZZNS1_14partition_implILS8_4ELb0ES6_15HIP_vector_typeIjLj2EENS0_17counting_iteratorIjlEEPS9_SG_NS0_5tupleIJPjSI_NS0_16reverse_iteratorISI_EEEEENSH_IJSG_SG_SG_EEES9_SI_JZNS1_25segmented_radix_sort_implINS0_14default_configELb1EPKlPlSQ_SR_N2at6native12_GLOBAL__N_18offset_tEEE10hipError_tPvRmT1_PNSt15iterator_traitsISZ_E10value_typeET2_T3_PNS10_IS15_E10value_typeET4_jRbjT5_S1B_jjP12ihipStream_tbEUljE_ZNSN_ISO_Lb1ESQ_SR_SQ_SR_SV_EESW_SX_SY_SZ_S13_S14_S15_S18_S19_jS1A_jS1B_S1B_jjS1D_bEUljE0_EEESW_SX_SY_S15_S19_S1B_T6_T7_T9_mT8_S1D_bDpT10_ENKUlT_T0_E_clISt17integral_constantIbLb1EES1R_EEDaS1M_S1N_EUlS1M_E_NS1_11comp_targetILNS1_3genE8ELNS1_11target_archE1030ELNS1_3gpuE2ELNS1_3repE0EEENS1_30default_config_static_selectorELNS0_4arch9wavefront6targetE1EEEvSZ_.uses_flat_scratch, 0
	.set _ZN7rocprim17ROCPRIM_400000_NS6detail17trampoline_kernelINS0_13select_configILj256ELj13ELNS0_17block_load_methodE3ELS4_3ELS4_3ELNS0_20block_scan_algorithmE0ELj4294967295EEENS1_25partition_config_selectorILNS1_17partition_subalgoE4EjNS0_10empty_typeEbEEZZNS1_14partition_implILS8_4ELb0ES6_15HIP_vector_typeIjLj2EENS0_17counting_iteratorIjlEEPS9_SG_NS0_5tupleIJPjSI_NS0_16reverse_iteratorISI_EEEEENSH_IJSG_SG_SG_EEES9_SI_JZNS1_25segmented_radix_sort_implINS0_14default_configELb1EPKlPlSQ_SR_N2at6native12_GLOBAL__N_18offset_tEEE10hipError_tPvRmT1_PNSt15iterator_traitsISZ_E10value_typeET2_T3_PNS10_IS15_E10value_typeET4_jRbjT5_S1B_jjP12ihipStream_tbEUljE_ZNSN_ISO_Lb1ESQ_SR_SQ_SR_SV_EESW_SX_SY_SZ_S13_S14_S15_S18_S19_jS1A_jS1B_S1B_jjS1D_bEUljE0_EEESW_SX_SY_S15_S19_S1B_T6_T7_T9_mT8_S1D_bDpT10_ENKUlT_T0_E_clISt17integral_constantIbLb1EES1R_EEDaS1M_S1N_EUlS1M_E_NS1_11comp_targetILNS1_3genE8ELNS1_11target_archE1030ELNS1_3gpuE2ELNS1_3repE0EEENS1_30default_config_static_selectorELNS0_4arch9wavefront6targetE1EEEvSZ_.has_dyn_sized_stack, 0
	.set _ZN7rocprim17ROCPRIM_400000_NS6detail17trampoline_kernelINS0_13select_configILj256ELj13ELNS0_17block_load_methodE3ELS4_3ELS4_3ELNS0_20block_scan_algorithmE0ELj4294967295EEENS1_25partition_config_selectorILNS1_17partition_subalgoE4EjNS0_10empty_typeEbEEZZNS1_14partition_implILS8_4ELb0ES6_15HIP_vector_typeIjLj2EENS0_17counting_iteratorIjlEEPS9_SG_NS0_5tupleIJPjSI_NS0_16reverse_iteratorISI_EEEEENSH_IJSG_SG_SG_EEES9_SI_JZNS1_25segmented_radix_sort_implINS0_14default_configELb1EPKlPlSQ_SR_N2at6native12_GLOBAL__N_18offset_tEEE10hipError_tPvRmT1_PNSt15iterator_traitsISZ_E10value_typeET2_T3_PNS10_IS15_E10value_typeET4_jRbjT5_S1B_jjP12ihipStream_tbEUljE_ZNSN_ISO_Lb1ESQ_SR_SQ_SR_SV_EESW_SX_SY_SZ_S13_S14_S15_S18_S19_jS1A_jS1B_S1B_jjS1D_bEUljE0_EEESW_SX_SY_S15_S19_S1B_T6_T7_T9_mT8_S1D_bDpT10_ENKUlT_T0_E_clISt17integral_constantIbLb1EES1R_EEDaS1M_S1N_EUlS1M_E_NS1_11comp_targetILNS1_3genE8ELNS1_11target_archE1030ELNS1_3gpuE2ELNS1_3repE0EEENS1_30default_config_static_selectorELNS0_4arch9wavefront6targetE1EEEvSZ_.has_recursion, 0
	.set _ZN7rocprim17ROCPRIM_400000_NS6detail17trampoline_kernelINS0_13select_configILj256ELj13ELNS0_17block_load_methodE3ELS4_3ELS4_3ELNS0_20block_scan_algorithmE0ELj4294967295EEENS1_25partition_config_selectorILNS1_17partition_subalgoE4EjNS0_10empty_typeEbEEZZNS1_14partition_implILS8_4ELb0ES6_15HIP_vector_typeIjLj2EENS0_17counting_iteratorIjlEEPS9_SG_NS0_5tupleIJPjSI_NS0_16reverse_iteratorISI_EEEEENSH_IJSG_SG_SG_EEES9_SI_JZNS1_25segmented_radix_sort_implINS0_14default_configELb1EPKlPlSQ_SR_N2at6native12_GLOBAL__N_18offset_tEEE10hipError_tPvRmT1_PNSt15iterator_traitsISZ_E10value_typeET2_T3_PNS10_IS15_E10value_typeET4_jRbjT5_S1B_jjP12ihipStream_tbEUljE_ZNSN_ISO_Lb1ESQ_SR_SQ_SR_SV_EESW_SX_SY_SZ_S13_S14_S15_S18_S19_jS1A_jS1B_S1B_jjS1D_bEUljE0_EEESW_SX_SY_S15_S19_S1B_T6_T7_T9_mT8_S1D_bDpT10_ENKUlT_T0_E_clISt17integral_constantIbLb1EES1R_EEDaS1M_S1N_EUlS1M_E_NS1_11comp_targetILNS1_3genE8ELNS1_11target_archE1030ELNS1_3gpuE2ELNS1_3repE0EEENS1_30default_config_static_selectorELNS0_4arch9wavefront6targetE1EEEvSZ_.has_indirect_call, 0
	.section	.AMDGPU.csdata,"",@progbits
; Kernel info:
; codeLenInByte = 0
; TotalNumSgprs: 4
; NumVgprs: 0
; ScratchSize: 0
; MemoryBound: 0
; FloatMode: 240
; IeeeMode: 1
; LDSByteSize: 0 bytes/workgroup (compile time only)
; SGPRBlocks: 0
; VGPRBlocks: 0
; NumSGPRsForWavesPerEU: 4
; NumVGPRsForWavesPerEU: 1
; Occupancy: 10
; WaveLimiterHint : 0
; COMPUTE_PGM_RSRC2:SCRATCH_EN: 0
; COMPUTE_PGM_RSRC2:USER_SGPR: 6
; COMPUTE_PGM_RSRC2:TRAP_HANDLER: 0
; COMPUTE_PGM_RSRC2:TGID_X_EN: 1
; COMPUTE_PGM_RSRC2:TGID_Y_EN: 0
; COMPUTE_PGM_RSRC2:TGID_Z_EN: 0
; COMPUTE_PGM_RSRC2:TIDIG_COMP_CNT: 0
	.section	.text._ZN7rocprim17ROCPRIM_400000_NS6detail17trampoline_kernelINS0_13select_configILj256ELj13ELNS0_17block_load_methodE3ELS4_3ELS4_3ELNS0_20block_scan_algorithmE0ELj4294967295EEENS1_25partition_config_selectorILNS1_17partition_subalgoE4EjNS0_10empty_typeEbEEZZNS1_14partition_implILS8_4ELb0ES6_15HIP_vector_typeIjLj2EENS0_17counting_iteratorIjlEEPS9_SG_NS0_5tupleIJPjSI_NS0_16reverse_iteratorISI_EEEEENSH_IJSG_SG_SG_EEES9_SI_JZNS1_25segmented_radix_sort_implINS0_14default_configELb1EPKlPlSQ_SR_N2at6native12_GLOBAL__N_18offset_tEEE10hipError_tPvRmT1_PNSt15iterator_traitsISZ_E10value_typeET2_T3_PNS10_IS15_E10value_typeET4_jRbjT5_S1B_jjP12ihipStream_tbEUljE_ZNSN_ISO_Lb1ESQ_SR_SQ_SR_SV_EESW_SX_SY_SZ_S13_S14_S15_S18_S19_jS1A_jS1B_S1B_jjS1D_bEUljE0_EEESW_SX_SY_S15_S19_S1B_T6_T7_T9_mT8_S1D_bDpT10_ENKUlT_T0_E_clISt17integral_constantIbLb1EES1Q_IbLb0EEEEDaS1M_S1N_EUlS1M_E_NS1_11comp_targetILNS1_3genE0ELNS1_11target_archE4294967295ELNS1_3gpuE0ELNS1_3repE0EEENS1_30default_config_static_selectorELNS0_4arch9wavefront6targetE1EEEvSZ_,"axG",@progbits,_ZN7rocprim17ROCPRIM_400000_NS6detail17trampoline_kernelINS0_13select_configILj256ELj13ELNS0_17block_load_methodE3ELS4_3ELS4_3ELNS0_20block_scan_algorithmE0ELj4294967295EEENS1_25partition_config_selectorILNS1_17partition_subalgoE4EjNS0_10empty_typeEbEEZZNS1_14partition_implILS8_4ELb0ES6_15HIP_vector_typeIjLj2EENS0_17counting_iteratorIjlEEPS9_SG_NS0_5tupleIJPjSI_NS0_16reverse_iteratorISI_EEEEENSH_IJSG_SG_SG_EEES9_SI_JZNS1_25segmented_radix_sort_implINS0_14default_configELb1EPKlPlSQ_SR_N2at6native12_GLOBAL__N_18offset_tEEE10hipError_tPvRmT1_PNSt15iterator_traitsISZ_E10value_typeET2_T3_PNS10_IS15_E10value_typeET4_jRbjT5_S1B_jjP12ihipStream_tbEUljE_ZNSN_ISO_Lb1ESQ_SR_SQ_SR_SV_EESW_SX_SY_SZ_S13_S14_S15_S18_S19_jS1A_jS1B_S1B_jjS1D_bEUljE0_EEESW_SX_SY_S15_S19_S1B_T6_T7_T9_mT8_S1D_bDpT10_ENKUlT_T0_E_clISt17integral_constantIbLb1EES1Q_IbLb0EEEEDaS1M_S1N_EUlS1M_E_NS1_11comp_targetILNS1_3genE0ELNS1_11target_archE4294967295ELNS1_3gpuE0ELNS1_3repE0EEENS1_30default_config_static_selectorELNS0_4arch9wavefront6targetE1EEEvSZ_,comdat
	.globl	_ZN7rocprim17ROCPRIM_400000_NS6detail17trampoline_kernelINS0_13select_configILj256ELj13ELNS0_17block_load_methodE3ELS4_3ELS4_3ELNS0_20block_scan_algorithmE0ELj4294967295EEENS1_25partition_config_selectorILNS1_17partition_subalgoE4EjNS0_10empty_typeEbEEZZNS1_14partition_implILS8_4ELb0ES6_15HIP_vector_typeIjLj2EENS0_17counting_iteratorIjlEEPS9_SG_NS0_5tupleIJPjSI_NS0_16reverse_iteratorISI_EEEEENSH_IJSG_SG_SG_EEES9_SI_JZNS1_25segmented_radix_sort_implINS0_14default_configELb1EPKlPlSQ_SR_N2at6native12_GLOBAL__N_18offset_tEEE10hipError_tPvRmT1_PNSt15iterator_traitsISZ_E10value_typeET2_T3_PNS10_IS15_E10value_typeET4_jRbjT5_S1B_jjP12ihipStream_tbEUljE_ZNSN_ISO_Lb1ESQ_SR_SQ_SR_SV_EESW_SX_SY_SZ_S13_S14_S15_S18_S19_jS1A_jS1B_S1B_jjS1D_bEUljE0_EEESW_SX_SY_S15_S19_S1B_T6_T7_T9_mT8_S1D_bDpT10_ENKUlT_T0_E_clISt17integral_constantIbLb1EES1Q_IbLb0EEEEDaS1M_S1N_EUlS1M_E_NS1_11comp_targetILNS1_3genE0ELNS1_11target_archE4294967295ELNS1_3gpuE0ELNS1_3repE0EEENS1_30default_config_static_selectorELNS0_4arch9wavefront6targetE1EEEvSZ_ ; -- Begin function _ZN7rocprim17ROCPRIM_400000_NS6detail17trampoline_kernelINS0_13select_configILj256ELj13ELNS0_17block_load_methodE3ELS4_3ELS4_3ELNS0_20block_scan_algorithmE0ELj4294967295EEENS1_25partition_config_selectorILNS1_17partition_subalgoE4EjNS0_10empty_typeEbEEZZNS1_14partition_implILS8_4ELb0ES6_15HIP_vector_typeIjLj2EENS0_17counting_iteratorIjlEEPS9_SG_NS0_5tupleIJPjSI_NS0_16reverse_iteratorISI_EEEEENSH_IJSG_SG_SG_EEES9_SI_JZNS1_25segmented_radix_sort_implINS0_14default_configELb1EPKlPlSQ_SR_N2at6native12_GLOBAL__N_18offset_tEEE10hipError_tPvRmT1_PNSt15iterator_traitsISZ_E10value_typeET2_T3_PNS10_IS15_E10value_typeET4_jRbjT5_S1B_jjP12ihipStream_tbEUljE_ZNSN_ISO_Lb1ESQ_SR_SQ_SR_SV_EESW_SX_SY_SZ_S13_S14_S15_S18_S19_jS1A_jS1B_S1B_jjS1D_bEUljE0_EEESW_SX_SY_S15_S19_S1B_T6_T7_T9_mT8_S1D_bDpT10_ENKUlT_T0_E_clISt17integral_constantIbLb1EES1Q_IbLb0EEEEDaS1M_S1N_EUlS1M_E_NS1_11comp_targetILNS1_3genE0ELNS1_11target_archE4294967295ELNS1_3gpuE0ELNS1_3repE0EEENS1_30default_config_static_selectorELNS0_4arch9wavefront6targetE1EEEvSZ_
	.p2align	8
	.type	_ZN7rocprim17ROCPRIM_400000_NS6detail17trampoline_kernelINS0_13select_configILj256ELj13ELNS0_17block_load_methodE3ELS4_3ELS4_3ELNS0_20block_scan_algorithmE0ELj4294967295EEENS1_25partition_config_selectorILNS1_17partition_subalgoE4EjNS0_10empty_typeEbEEZZNS1_14partition_implILS8_4ELb0ES6_15HIP_vector_typeIjLj2EENS0_17counting_iteratorIjlEEPS9_SG_NS0_5tupleIJPjSI_NS0_16reverse_iteratorISI_EEEEENSH_IJSG_SG_SG_EEES9_SI_JZNS1_25segmented_radix_sort_implINS0_14default_configELb1EPKlPlSQ_SR_N2at6native12_GLOBAL__N_18offset_tEEE10hipError_tPvRmT1_PNSt15iterator_traitsISZ_E10value_typeET2_T3_PNS10_IS15_E10value_typeET4_jRbjT5_S1B_jjP12ihipStream_tbEUljE_ZNSN_ISO_Lb1ESQ_SR_SQ_SR_SV_EESW_SX_SY_SZ_S13_S14_S15_S18_S19_jS1A_jS1B_S1B_jjS1D_bEUljE0_EEESW_SX_SY_S15_S19_S1B_T6_T7_T9_mT8_S1D_bDpT10_ENKUlT_T0_E_clISt17integral_constantIbLb1EES1Q_IbLb0EEEEDaS1M_S1N_EUlS1M_E_NS1_11comp_targetILNS1_3genE0ELNS1_11target_archE4294967295ELNS1_3gpuE0ELNS1_3repE0EEENS1_30default_config_static_selectorELNS0_4arch9wavefront6targetE1EEEvSZ_,@function
_ZN7rocprim17ROCPRIM_400000_NS6detail17trampoline_kernelINS0_13select_configILj256ELj13ELNS0_17block_load_methodE3ELS4_3ELS4_3ELNS0_20block_scan_algorithmE0ELj4294967295EEENS1_25partition_config_selectorILNS1_17partition_subalgoE4EjNS0_10empty_typeEbEEZZNS1_14partition_implILS8_4ELb0ES6_15HIP_vector_typeIjLj2EENS0_17counting_iteratorIjlEEPS9_SG_NS0_5tupleIJPjSI_NS0_16reverse_iteratorISI_EEEEENSH_IJSG_SG_SG_EEES9_SI_JZNS1_25segmented_radix_sort_implINS0_14default_configELb1EPKlPlSQ_SR_N2at6native12_GLOBAL__N_18offset_tEEE10hipError_tPvRmT1_PNSt15iterator_traitsISZ_E10value_typeET2_T3_PNS10_IS15_E10value_typeET4_jRbjT5_S1B_jjP12ihipStream_tbEUljE_ZNSN_ISO_Lb1ESQ_SR_SQ_SR_SV_EESW_SX_SY_SZ_S13_S14_S15_S18_S19_jS1A_jS1B_S1B_jjS1D_bEUljE0_EEESW_SX_SY_S15_S19_S1B_T6_T7_T9_mT8_S1D_bDpT10_ENKUlT_T0_E_clISt17integral_constantIbLb1EES1Q_IbLb0EEEEDaS1M_S1N_EUlS1M_E_NS1_11comp_targetILNS1_3genE0ELNS1_11target_archE4294967295ELNS1_3gpuE0ELNS1_3repE0EEENS1_30default_config_static_selectorELNS0_4arch9wavefront6targetE1EEEvSZ_: ; @_ZN7rocprim17ROCPRIM_400000_NS6detail17trampoline_kernelINS0_13select_configILj256ELj13ELNS0_17block_load_methodE3ELS4_3ELS4_3ELNS0_20block_scan_algorithmE0ELj4294967295EEENS1_25partition_config_selectorILNS1_17partition_subalgoE4EjNS0_10empty_typeEbEEZZNS1_14partition_implILS8_4ELb0ES6_15HIP_vector_typeIjLj2EENS0_17counting_iteratorIjlEEPS9_SG_NS0_5tupleIJPjSI_NS0_16reverse_iteratorISI_EEEEENSH_IJSG_SG_SG_EEES9_SI_JZNS1_25segmented_radix_sort_implINS0_14default_configELb1EPKlPlSQ_SR_N2at6native12_GLOBAL__N_18offset_tEEE10hipError_tPvRmT1_PNSt15iterator_traitsISZ_E10value_typeET2_T3_PNS10_IS15_E10value_typeET4_jRbjT5_S1B_jjP12ihipStream_tbEUljE_ZNSN_ISO_Lb1ESQ_SR_SQ_SR_SV_EESW_SX_SY_SZ_S13_S14_S15_S18_S19_jS1A_jS1B_S1B_jjS1D_bEUljE0_EEESW_SX_SY_S15_S19_S1B_T6_T7_T9_mT8_S1D_bDpT10_ENKUlT_T0_E_clISt17integral_constantIbLb1EES1Q_IbLb0EEEEDaS1M_S1N_EUlS1M_E_NS1_11comp_targetILNS1_3genE0ELNS1_11target_archE4294967295ELNS1_3gpuE0ELNS1_3repE0EEENS1_30default_config_static_selectorELNS0_4arch9wavefront6targetE1EEEvSZ_
; %bb.0:
	.section	.rodata,"a",@progbits
	.p2align	6, 0x0
	.amdhsa_kernel _ZN7rocprim17ROCPRIM_400000_NS6detail17trampoline_kernelINS0_13select_configILj256ELj13ELNS0_17block_load_methodE3ELS4_3ELS4_3ELNS0_20block_scan_algorithmE0ELj4294967295EEENS1_25partition_config_selectorILNS1_17partition_subalgoE4EjNS0_10empty_typeEbEEZZNS1_14partition_implILS8_4ELb0ES6_15HIP_vector_typeIjLj2EENS0_17counting_iteratorIjlEEPS9_SG_NS0_5tupleIJPjSI_NS0_16reverse_iteratorISI_EEEEENSH_IJSG_SG_SG_EEES9_SI_JZNS1_25segmented_radix_sort_implINS0_14default_configELb1EPKlPlSQ_SR_N2at6native12_GLOBAL__N_18offset_tEEE10hipError_tPvRmT1_PNSt15iterator_traitsISZ_E10value_typeET2_T3_PNS10_IS15_E10value_typeET4_jRbjT5_S1B_jjP12ihipStream_tbEUljE_ZNSN_ISO_Lb1ESQ_SR_SQ_SR_SV_EESW_SX_SY_SZ_S13_S14_S15_S18_S19_jS1A_jS1B_S1B_jjS1D_bEUljE0_EEESW_SX_SY_S15_S19_S1B_T6_T7_T9_mT8_S1D_bDpT10_ENKUlT_T0_E_clISt17integral_constantIbLb1EES1Q_IbLb0EEEEDaS1M_S1N_EUlS1M_E_NS1_11comp_targetILNS1_3genE0ELNS1_11target_archE4294967295ELNS1_3gpuE0ELNS1_3repE0EEENS1_30default_config_static_selectorELNS0_4arch9wavefront6targetE1EEEvSZ_
		.amdhsa_group_segment_fixed_size 0
		.amdhsa_private_segment_fixed_size 0
		.amdhsa_kernarg_size 176
		.amdhsa_user_sgpr_count 6
		.amdhsa_user_sgpr_private_segment_buffer 1
		.amdhsa_user_sgpr_dispatch_ptr 0
		.amdhsa_user_sgpr_queue_ptr 0
		.amdhsa_user_sgpr_kernarg_segment_ptr 1
		.amdhsa_user_sgpr_dispatch_id 0
		.amdhsa_user_sgpr_flat_scratch_init 0
		.amdhsa_user_sgpr_private_segment_size 0
		.amdhsa_uses_dynamic_stack 0
		.amdhsa_system_sgpr_private_segment_wavefront_offset 0
		.amdhsa_system_sgpr_workgroup_id_x 1
		.amdhsa_system_sgpr_workgroup_id_y 0
		.amdhsa_system_sgpr_workgroup_id_z 0
		.amdhsa_system_sgpr_workgroup_info 0
		.amdhsa_system_vgpr_workitem_id 0
		.amdhsa_next_free_vgpr 1
		.amdhsa_next_free_sgpr 0
		.amdhsa_reserve_vcc 0
		.amdhsa_reserve_flat_scratch 0
		.amdhsa_float_round_mode_32 0
		.amdhsa_float_round_mode_16_64 0
		.amdhsa_float_denorm_mode_32 3
		.amdhsa_float_denorm_mode_16_64 3
		.amdhsa_dx10_clamp 1
		.amdhsa_ieee_mode 1
		.amdhsa_fp16_overflow 0
		.amdhsa_exception_fp_ieee_invalid_op 0
		.amdhsa_exception_fp_denorm_src 0
		.amdhsa_exception_fp_ieee_div_zero 0
		.amdhsa_exception_fp_ieee_overflow 0
		.amdhsa_exception_fp_ieee_underflow 0
		.amdhsa_exception_fp_ieee_inexact 0
		.amdhsa_exception_int_div_zero 0
	.end_amdhsa_kernel
	.section	.text._ZN7rocprim17ROCPRIM_400000_NS6detail17trampoline_kernelINS0_13select_configILj256ELj13ELNS0_17block_load_methodE3ELS4_3ELS4_3ELNS0_20block_scan_algorithmE0ELj4294967295EEENS1_25partition_config_selectorILNS1_17partition_subalgoE4EjNS0_10empty_typeEbEEZZNS1_14partition_implILS8_4ELb0ES6_15HIP_vector_typeIjLj2EENS0_17counting_iteratorIjlEEPS9_SG_NS0_5tupleIJPjSI_NS0_16reverse_iteratorISI_EEEEENSH_IJSG_SG_SG_EEES9_SI_JZNS1_25segmented_radix_sort_implINS0_14default_configELb1EPKlPlSQ_SR_N2at6native12_GLOBAL__N_18offset_tEEE10hipError_tPvRmT1_PNSt15iterator_traitsISZ_E10value_typeET2_T3_PNS10_IS15_E10value_typeET4_jRbjT5_S1B_jjP12ihipStream_tbEUljE_ZNSN_ISO_Lb1ESQ_SR_SQ_SR_SV_EESW_SX_SY_SZ_S13_S14_S15_S18_S19_jS1A_jS1B_S1B_jjS1D_bEUljE0_EEESW_SX_SY_S15_S19_S1B_T6_T7_T9_mT8_S1D_bDpT10_ENKUlT_T0_E_clISt17integral_constantIbLb1EES1Q_IbLb0EEEEDaS1M_S1N_EUlS1M_E_NS1_11comp_targetILNS1_3genE0ELNS1_11target_archE4294967295ELNS1_3gpuE0ELNS1_3repE0EEENS1_30default_config_static_selectorELNS0_4arch9wavefront6targetE1EEEvSZ_,"axG",@progbits,_ZN7rocprim17ROCPRIM_400000_NS6detail17trampoline_kernelINS0_13select_configILj256ELj13ELNS0_17block_load_methodE3ELS4_3ELS4_3ELNS0_20block_scan_algorithmE0ELj4294967295EEENS1_25partition_config_selectorILNS1_17partition_subalgoE4EjNS0_10empty_typeEbEEZZNS1_14partition_implILS8_4ELb0ES6_15HIP_vector_typeIjLj2EENS0_17counting_iteratorIjlEEPS9_SG_NS0_5tupleIJPjSI_NS0_16reverse_iteratorISI_EEEEENSH_IJSG_SG_SG_EEES9_SI_JZNS1_25segmented_radix_sort_implINS0_14default_configELb1EPKlPlSQ_SR_N2at6native12_GLOBAL__N_18offset_tEEE10hipError_tPvRmT1_PNSt15iterator_traitsISZ_E10value_typeET2_T3_PNS10_IS15_E10value_typeET4_jRbjT5_S1B_jjP12ihipStream_tbEUljE_ZNSN_ISO_Lb1ESQ_SR_SQ_SR_SV_EESW_SX_SY_SZ_S13_S14_S15_S18_S19_jS1A_jS1B_S1B_jjS1D_bEUljE0_EEESW_SX_SY_S15_S19_S1B_T6_T7_T9_mT8_S1D_bDpT10_ENKUlT_T0_E_clISt17integral_constantIbLb1EES1Q_IbLb0EEEEDaS1M_S1N_EUlS1M_E_NS1_11comp_targetILNS1_3genE0ELNS1_11target_archE4294967295ELNS1_3gpuE0ELNS1_3repE0EEENS1_30default_config_static_selectorELNS0_4arch9wavefront6targetE1EEEvSZ_,comdat
.Lfunc_end656:
	.size	_ZN7rocprim17ROCPRIM_400000_NS6detail17trampoline_kernelINS0_13select_configILj256ELj13ELNS0_17block_load_methodE3ELS4_3ELS4_3ELNS0_20block_scan_algorithmE0ELj4294967295EEENS1_25partition_config_selectorILNS1_17partition_subalgoE4EjNS0_10empty_typeEbEEZZNS1_14partition_implILS8_4ELb0ES6_15HIP_vector_typeIjLj2EENS0_17counting_iteratorIjlEEPS9_SG_NS0_5tupleIJPjSI_NS0_16reverse_iteratorISI_EEEEENSH_IJSG_SG_SG_EEES9_SI_JZNS1_25segmented_radix_sort_implINS0_14default_configELb1EPKlPlSQ_SR_N2at6native12_GLOBAL__N_18offset_tEEE10hipError_tPvRmT1_PNSt15iterator_traitsISZ_E10value_typeET2_T3_PNS10_IS15_E10value_typeET4_jRbjT5_S1B_jjP12ihipStream_tbEUljE_ZNSN_ISO_Lb1ESQ_SR_SQ_SR_SV_EESW_SX_SY_SZ_S13_S14_S15_S18_S19_jS1A_jS1B_S1B_jjS1D_bEUljE0_EEESW_SX_SY_S15_S19_S1B_T6_T7_T9_mT8_S1D_bDpT10_ENKUlT_T0_E_clISt17integral_constantIbLb1EES1Q_IbLb0EEEEDaS1M_S1N_EUlS1M_E_NS1_11comp_targetILNS1_3genE0ELNS1_11target_archE4294967295ELNS1_3gpuE0ELNS1_3repE0EEENS1_30default_config_static_selectorELNS0_4arch9wavefront6targetE1EEEvSZ_, .Lfunc_end656-_ZN7rocprim17ROCPRIM_400000_NS6detail17trampoline_kernelINS0_13select_configILj256ELj13ELNS0_17block_load_methodE3ELS4_3ELS4_3ELNS0_20block_scan_algorithmE0ELj4294967295EEENS1_25partition_config_selectorILNS1_17partition_subalgoE4EjNS0_10empty_typeEbEEZZNS1_14partition_implILS8_4ELb0ES6_15HIP_vector_typeIjLj2EENS0_17counting_iteratorIjlEEPS9_SG_NS0_5tupleIJPjSI_NS0_16reverse_iteratorISI_EEEEENSH_IJSG_SG_SG_EEES9_SI_JZNS1_25segmented_radix_sort_implINS0_14default_configELb1EPKlPlSQ_SR_N2at6native12_GLOBAL__N_18offset_tEEE10hipError_tPvRmT1_PNSt15iterator_traitsISZ_E10value_typeET2_T3_PNS10_IS15_E10value_typeET4_jRbjT5_S1B_jjP12ihipStream_tbEUljE_ZNSN_ISO_Lb1ESQ_SR_SQ_SR_SV_EESW_SX_SY_SZ_S13_S14_S15_S18_S19_jS1A_jS1B_S1B_jjS1D_bEUljE0_EEESW_SX_SY_S15_S19_S1B_T6_T7_T9_mT8_S1D_bDpT10_ENKUlT_T0_E_clISt17integral_constantIbLb1EES1Q_IbLb0EEEEDaS1M_S1N_EUlS1M_E_NS1_11comp_targetILNS1_3genE0ELNS1_11target_archE4294967295ELNS1_3gpuE0ELNS1_3repE0EEENS1_30default_config_static_selectorELNS0_4arch9wavefront6targetE1EEEvSZ_
                                        ; -- End function
	.set _ZN7rocprim17ROCPRIM_400000_NS6detail17trampoline_kernelINS0_13select_configILj256ELj13ELNS0_17block_load_methodE3ELS4_3ELS4_3ELNS0_20block_scan_algorithmE0ELj4294967295EEENS1_25partition_config_selectorILNS1_17partition_subalgoE4EjNS0_10empty_typeEbEEZZNS1_14partition_implILS8_4ELb0ES6_15HIP_vector_typeIjLj2EENS0_17counting_iteratorIjlEEPS9_SG_NS0_5tupleIJPjSI_NS0_16reverse_iteratorISI_EEEEENSH_IJSG_SG_SG_EEES9_SI_JZNS1_25segmented_radix_sort_implINS0_14default_configELb1EPKlPlSQ_SR_N2at6native12_GLOBAL__N_18offset_tEEE10hipError_tPvRmT1_PNSt15iterator_traitsISZ_E10value_typeET2_T3_PNS10_IS15_E10value_typeET4_jRbjT5_S1B_jjP12ihipStream_tbEUljE_ZNSN_ISO_Lb1ESQ_SR_SQ_SR_SV_EESW_SX_SY_SZ_S13_S14_S15_S18_S19_jS1A_jS1B_S1B_jjS1D_bEUljE0_EEESW_SX_SY_S15_S19_S1B_T6_T7_T9_mT8_S1D_bDpT10_ENKUlT_T0_E_clISt17integral_constantIbLb1EES1Q_IbLb0EEEEDaS1M_S1N_EUlS1M_E_NS1_11comp_targetILNS1_3genE0ELNS1_11target_archE4294967295ELNS1_3gpuE0ELNS1_3repE0EEENS1_30default_config_static_selectorELNS0_4arch9wavefront6targetE1EEEvSZ_.num_vgpr, 0
	.set _ZN7rocprim17ROCPRIM_400000_NS6detail17trampoline_kernelINS0_13select_configILj256ELj13ELNS0_17block_load_methodE3ELS4_3ELS4_3ELNS0_20block_scan_algorithmE0ELj4294967295EEENS1_25partition_config_selectorILNS1_17partition_subalgoE4EjNS0_10empty_typeEbEEZZNS1_14partition_implILS8_4ELb0ES6_15HIP_vector_typeIjLj2EENS0_17counting_iteratorIjlEEPS9_SG_NS0_5tupleIJPjSI_NS0_16reverse_iteratorISI_EEEEENSH_IJSG_SG_SG_EEES9_SI_JZNS1_25segmented_radix_sort_implINS0_14default_configELb1EPKlPlSQ_SR_N2at6native12_GLOBAL__N_18offset_tEEE10hipError_tPvRmT1_PNSt15iterator_traitsISZ_E10value_typeET2_T3_PNS10_IS15_E10value_typeET4_jRbjT5_S1B_jjP12ihipStream_tbEUljE_ZNSN_ISO_Lb1ESQ_SR_SQ_SR_SV_EESW_SX_SY_SZ_S13_S14_S15_S18_S19_jS1A_jS1B_S1B_jjS1D_bEUljE0_EEESW_SX_SY_S15_S19_S1B_T6_T7_T9_mT8_S1D_bDpT10_ENKUlT_T0_E_clISt17integral_constantIbLb1EES1Q_IbLb0EEEEDaS1M_S1N_EUlS1M_E_NS1_11comp_targetILNS1_3genE0ELNS1_11target_archE4294967295ELNS1_3gpuE0ELNS1_3repE0EEENS1_30default_config_static_selectorELNS0_4arch9wavefront6targetE1EEEvSZ_.num_agpr, 0
	.set _ZN7rocprim17ROCPRIM_400000_NS6detail17trampoline_kernelINS0_13select_configILj256ELj13ELNS0_17block_load_methodE3ELS4_3ELS4_3ELNS0_20block_scan_algorithmE0ELj4294967295EEENS1_25partition_config_selectorILNS1_17partition_subalgoE4EjNS0_10empty_typeEbEEZZNS1_14partition_implILS8_4ELb0ES6_15HIP_vector_typeIjLj2EENS0_17counting_iteratorIjlEEPS9_SG_NS0_5tupleIJPjSI_NS0_16reverse_iteratorISI_EEEEENSH_IJSG_SG_SG_EEES9_SI_JZNS1_25segmented_radix_sort_implINS0_14default_configELb1EPKlPlSQ_SR_N2at6native12_GLOBAL__N_18offset_tEEE10hipError_tPvRmT1_PNSt15iterator_traitsISZ_E10value_typeET2_T3_PNS10_IS15_E10value_typeET4_jRbjT5_S1B_jjP12ihipStream_tbEUljE_ZNSN_ISO_Lb1ESQ_SR_SQ_SR_SV_EESW_SX_SY_SZ_S13_S14_S15_S18_S19_jS1A_jS1B_S1B_jjS1D_bEUljE0_EEESW_SX_SY_S15_S19_S1B_T6_T7_T9_mT8_S1D_bDpT10_ENKUlT_T0_E_clISt17integral_constantIbLb1EES1Q_IbLb0EEEEDaS1M_S1N_EUlS1M_E_NS1_11comp_targetILNS1_3genE0ELNS1_11target_archE4294967295ELNS1_3gpuE0ELNS1_3repE0EEENS1_30default_config_static_selectorELNS0_4arch9wavefront6targetE1EEEvSZ_.numbered_sgpr, 0
	.set _ZN7rocprim17ROCPRIM_400000_NS6detail17trampoline_kernelINS0_13select_configILj256ELj13ELNS0_17block_load_methodE3ELS4_3ELS4_3ELNS0_20block_scan_algorithmE0ELj4294967295EEENS1_25partition_config_selectorILNS1_17partition_subalgoE4EjNS0_10empty_typeEbEEZZNS1_14partition_implILS8_4ELb0ES6_15HIP_vector_typeIjLj2EENS0_17counting_iteratorIjlEEPS9_SG_NS0_5tupleIJPjSI_NS0_16reverse_iteratorISI_EEEEENSH_IJSG_SG_SG_EEES9_SI_JZNS1_25segmented_radix_sort_implINS0_14default_configELb1EPKlPlSQ_SR_N2at6native12_GLOBAL__N_18offset_tEEE10hipError_tPvRmT1_PNSt15iterator_traitsISZ_E10value_typeET2_T3_PNS10_IS15_E10value_typeET4_jRbjT5_S1B_jjP12ihipStream_tbEUljE_ZNSN_ISO_Lb1ESQ_SR_SQ_SR_SV_EESW_SX_SY_SZ_S13_S14_S15_S18_S19_jS1A_jS1B_S1B_jjS1D_bEUljE0_EEESW_SX_SY_S15_S19_S1B_T6_T7_T9_mT8_S1D_bDpT10_ENKUlT_T0_E_clISt17integral_constantIbLb1EES1Q_IbLb0EEEEDaS1M_S1N_EUlS1M_E_NS1_11comp_targetILNS1_3genE0ELNS1_11target_archE4294967295ELNS1_3gpuE0ELNS1_3repE0EEENS1_30default_config_static_selectorELNS0_4arch9wavefront6targetE1EEEvSZ_.num_named_barrier, 0
	.set _ZN7rocprim17ROCPRIM_400000_NS6detail17trampoline_kernelINS0_13select_configILj256ELj13ELNS0_17block_load_methodE3ELS4_3ELS4_3ELNS0_20block_scan_algorithmE0ELj4294967295EEENS1_25partition_config_selectorILNS1_17partition_subalgoE4EjNS0_10empty_typeEbEEZZNS1_14partition_implILS8_4ELb0ES6_15HIP_vector_typeIjLj2EENS0_17counting_iteratorIjlEEPS9_SG_NS0_5tupleIJPjSI_NS0_16reverse_iteratorISI_EEEEENSH_IJSG_SG_SG_EEES9_SI_JZNS1_25segmented_radix_sort_implINS0_14default_configELb1EPKlPlSQ_SR_N2at6native12_GLOBAL__N_18offset_tEEE10hipError_tPvRmT1_PNSt15iterator_traitsISZ_E10value_typeET2_T3_PNS10_IS15_E10value_typeET4_jRbjT5_S1B_jjP12ihipStream_tbEUljE_ZNSN_ISO_Lb1ESQ_SR_SQ_SR_SV_EESW_SX_SY_SZ_S13_S14_S15_S18_S19_jS1A_jS1B_S1B_jjS1D_bEUljE0_EEESW_SX_SY_S15_S19_S1B_T6_T7_T9_mT8_S1D_bDpT10_ENKUlT_T0_E_clISt17integral_constantIbLb1EES1Q_IbLb0EEEEDaS1M_S1N_EUlS1M_E_NS1_11comp_targetILNS1_3genE0ELNS1_11target_archE4294967295ELNS1_3gpuE0ELNS1_3repE0EEENS1_30default_config_static_selectorELNS0_4arch9wavefront6targetE1EEEvSZ_.private_seg_size, 0
	.set _ZN7rocprim17ROCPRIM_400000_NS6detail17trampoline_kernelINS0_13select_configILj256ELj13ELNS0_17block_load_methodE3ELS4_3ELS4_3ELNS0_20block_scan_algorithmE0ELj4294967295EEENS1_25partition_config_selectorILNS1_17partition_subalgoE4EjNS0_10empty_typeEbEEZZNS1_14partition_implILS8_4ELb0ES6_15HIP_vector_typeIjLj2EENS0_17counting_iteratorIjlEEPS9_SG_NS0_5tupleIJPjSI_NS0_16reverse_iteratorISI_EEEEENSH_IJSG_SG_SG_EEES9_SI_JZNS1_25segmented_radix_sort_implINS0_14default_configELb1EPKlPlSQ_SR_N2at6native12_GLOBAL__N_18offset_tEEE10hipError_tPvRmT1_PNSt15iterator_traitsISZ_E10value_typeET2_T3_PNS10_IS15_E10value_typeET4_jRbjT5_S1B_jjP12ihipStream_tbEUljE_ZNSN_ISO_Lb1ESQ_SR_SQ_SR_SV_EESW_SX_SY_SZ_S13_S14_S15_S18_S19_jS1A_jS1B_S1B_jjS1D_bEUljE0_EEESW_SX_SY_S15_S19_S1B_T6_T7_T9_mT8_S1D_bDpT10_ENKUlT_T0_E_clISt17integral_constantIbLb1EES1Q_IbLb0EEEEDaS1M_S1N_EUlS1M_E_NS1_11comp_targetILNS1_3genE0ELNS1_11target_archE4294967295ELNS1_3gpuE0ELNS1_3repE0EEENS1_30default_config_static_selectorELNS0_4arch9wavefront6targetE1EEEvSZ_.uses_vcc, 0
	.set _ZN7rocprim17ROCPRIM_400000_NS6detail17trampoline_kernelINS0_13select_configILj256ELj13ELNS0_17block_load_methodE3ELS4_3ELS4_3ELNS0_20block_scan_algorithmE0ELj4294967295EEENS1_25partition_config_selectorILNS1_17partition_subalgoE4EjNS0_10empty_typeEbEEZZNS1_14partition_implILS8_4ELb0ES6_15HIP_vector_typeIjLj2EENS0_17counting_iteratorIjlEEPS9_SG_NS0_5tupleIJPjSI_NS0_16reverse_iteratorISI_EEEEENSH_IJSG_SG_SG_EEES9_SI_JZNS1_25segmented_radix_sort_implINS0_14default_configELb1EPKlPlSQ_SR_N2at6native12_GLOBAL__N_18offset_tEEE10hipError_tPvRmT1_PNSt15iterator_traitsISZ_E10value_typeET2_T3_PNS10_IS15_E10value_typeET4_jRbjT5_S1B_jjP12ihipStream_tbEUljE_ZNSN_ISO_Lb1ESQ_SR_SQ_SR_SV_EESW_SX_SY_SZ_S13_S14_S15_S18_S19_jS1A_jS1B_S1B_jjS1D_bEUljE0_EEESW_SX_SY_S15_S19_S1B_T6_T7_T9_mT8_S1D_bDpT10_ENKUlT_T0_E_clISt17integral_constantIbLb1EES1Q_IbLb0EEEEDaS1M_S1N_EUlS1M_E_NS1_11comp_targetILNS1_3genE0ELNS1_11target_archE4294967295ELNS1_3gpuE0ELNS1_3repE0EEENS1_30default_config_static_selectorELNS0_4arch9wavefront6targetE1EEEvSZ_.uses_flat_scratch, 0
	.set _ZN7rocprim17ROCPRIM_400000_NS6detail17trampoline_kernelINS0_13select_configILj256ELj13ELNS0_17block_load_methodE3ELS4_3ELS4_3ELNS0_20block_scan_algorithmE0ELj4294967295EEENS1_25partition_config_selectorILNS1_17partition_subalgoE4EjNS0_10empty_typeEbEEZZNS1_14partition_implILS8_4ELb0ES6_15HIP_vector_typeIjLj2EENS0_17counting_iteratorIjlEEPS9_SG_NS0_5tupleIJPjSI_NS0_16reverse_iteratorISI_EEEEENSH_IJSG_SG_SG_EEES9_SI_JZNS1_25segmented_radix_sort_implINS0_14default_configELb1EPKlPlSQ_SR_N2at6native12_GLOBAL__N_18offset_tEEE10hipError_tPvRmT1_PNSt15iterator_traitsISZ_E10value_typeET2_T3_PNS10_IS15_E10value_typeET4_jRbjT5_S1B_jjP12ihipStream_tbEUljE_ZNSN_ISO_Lb1ESQ_SR_SQ_SR_SV_EESW_SX_SY_SZ_S13_S14_S15_S18_S19_jS1A_jS1B_S1B_jjS1D_bEUljE0_EEESW_SX_SY_S15_S19_S1B_T6_T7_T9_mT8_S1D_bDpT10_ENKUlT_T0_E_clISt17integral_constantIbLb1EES1Q_IbLb0EEEEDaS1M_S1N_EUlS1M_E_NS1_11comp_targetILNS1_3genE0ELNS1_11target_archE4294967295ELNS1_3gpuE0ELNS1_3repE0EEENS1_30default_config_static_selectorELNS0_4arch9wavefront6targetE1EEEvSZ_.has_dyn_sized_stack, 0
	.set _ZN7rocprim17ROCPRIM_400000_NS6detail17trampoline_kernelINS0_13select_configILj256ELj13ELNS0_17block_load_methodE3ELS4_3ELS4_3ELNS0_20block_scan_algorithmE0ELj4294967295EEENS1_25partition_config_selectorILNS1_17partition_subalgoE4EjNS0_10empty_typeEbEEZZNS1_14partition_implILS8_4ELb0ES6_15HIP_vector_typeIjLj2EENS0_17counting_iteratorIjlEEPS9_SG_NS0_5tupleIJPjSI_NS0_16reverse_iteratorISI_EEEEENSH_IJSG_SG_SG_EEES9_SI_JZNS1_25segmented_radix_sort_implINS0_14default_configELb1EPKlPlSQ_SR_N2at6native12_GLOBAL__N_18offset_tEEE10hipError_tPvRmT1_PNSt15iterator_traitsISZ_E10value_typeET2_T3_PNS10_IS15_E10value_typeET4_jRbjT5_S1B_jjP12ihipStream_tbEUljE_ZNSN_ISO_Lb1ESQ_SR_SQ_SR_SV_EESW_SX_SY_SZ_S13_S14_S15_S18_S19_jS1A_jS1B_S1B_jjS1D_bEUljE0_EEESW_SX_SY_S15_S19_S1B_T6_T7_T9_mT8_S1D_bDpT10_ENKUlT_T0_E_clISt17integral_constantIbLb1EES1Q_IbLb0EEEEDaS1M_S1N_EUlS1M_E_NS1_11comp_targetILNS1_3genE0ELNS1_11target_archE4294967295ELNS1_3gpuE0ELNS1_3repE0EEENS1_30default_config_static_selectorELNS0_4arch9wavefront6targetE1EEEvSZ_.has_recursion, 0
	.set _ZN7rocprim17ROCPRIM_400000_NS6detail17trampoline_kernelINS0_13select_configILj256ELj13ELNS0_17block_load_methodE3ELS4_3ELS4_3ELNS0_20block_scan_algorithmE0ELj4294967295EEENS1_25partition_config_selectorILNS1_17partition_subalgoE4EjNS0_10empty_typeEbEEZZNS1_14partition_implILS8_4ELb0ES6_15HIP_vector_typeIjLj2EENS0_17counting_iteratorIjlEEPS9_SG_NS0_5tupleIJPjSI_NS0_16reverse_iteratorISI_EEEEENSH_IJSG_SG_SG_EEES9_SI_JZNS1_25segmented_radix_sort_implINS0_14default_configELb1EPKlPlSQ_SR_N2at6native12_GLOBAL__N_18offset_tEEE10hipError_tPvRmT1_PNSt15iterator_traitsISZ_E10value_typeET2_T3_PNS10_IS15_E10value_typeET4_jRbjT5_S1B_jjP12ihipStream_tbEUljE_ZNSN_ISO_Lb1ESQ_SR_SQ_SR_SV_EESW_SX_SY_SZ_S13_S14_S15_S18_S19_jS1A_jS1B_S1B_jjS1D_bEUljE0_EEESW_SX_SY_S15_S19_S1B_T6_T7_T9_mT8_S1D_bDpT10_ENKUlT_T0_E_clISt17integral_constantIbLb1EES1Q_IbLb0EEEEDaS1M_S1N_EUlS1M_E_NS1_11comp_targetILNS1_3genE0ELNS1_11target_archE4294967295ELNS1_3gpuE0ELNS1_3repE0EEENS1_30default_config_static_selectorELNS0_4arch9wavefront6targetE1EEEvSZ_.has_indirect_call, 0
	.section	.AMDGPU.csdata,"",@progbits
; Kernel info:
; codeLenInByte = 0
; TotalNumSgprs: 4
; NumVgprs: 0
; ScratchSize: 0
; MemoryBound: 0
; FloatMode: 240
; IeeeMode: 1
; LDSByteSize: 0 bytes/workgroup (compile time only)
; SGPRBlocks: 0
; VGPRBlocks: 0
; NumSGPRsForWavesPerEU: 4
; NumVGPRsForWavesPerEU: 1
; Occupancy: 10
; WaveLimiterHint : 0
; COMPUTE_PGM_RSRC2:SCRATCH_EN: 0
; COMPUTE_PGM_RSRC2:USER_SGPR: 6
; COMPUTE_PGM_RSRC2:TRAP_HANDLER: 0
; COMPUTE_PGM_RSRC2:TGID_X_EN: 1
; COMPUTE_PGM_RSRC2:TGID_Y_EN: 0
; COMPUTE_PGM_RSRC2:TGID_Z_EN: 0
; COMPUTE_PGM_RSRC2:TIDIG_COMP_CNT: 0
	.section	.text._ZN7rocprim17ROCPRIM_400000_NS6detail17trampoline_kernelINS0_13select_configILj256ELj13ELNS0_17block_load_methodE3ELS4_3ELS4_3ELNS0_20block_scan_algorithmE0ELj4294967295EEENS1_25partition_config_selectorILNS1_17partition_subalgoE4EjNS0_10empty_typeEbEEZZNS1_14partition_implILS8_4ELb0ES6_15HIP_vector_typeIjLj2EENS0_17counting_iteratorIjlEEPS9_SG_NS0_5tupleIJPjSI_NS0_16reverse_iteratorISI_EEEEENSH_IJSG_SG_SG_EEES9_SI_JZNS1_25segmented_radix_sort_implINS0_14default_configELb1EPKlPlSQ_SR_N2at6native12_GLOBAL__N_18offset_tEEE10hipError_tPvRmT1_PNSt15iterator_traitsISZ_E10value_typeET2_T3_PNS10_IS15_E10value_typeET4_jRbjT5_S1B_jjP12ihipStream_tbEUljE_ZNSN_ISO_Lb1ESQ_SR_SQ_SR_SV_EESW_SX_SY_SZ_S13_S14_S15_S18_S19_jS1A_jS1B_S1B_jjS1D_bEUljE0_EEESW_SX_SY_S15_S19_S1B_T6_T7_T9_mT8_S1D_bDpT10_ENKUlT_T0_E_clISt17integral_constantIbLb1EES1Q_IbLb0EEEEDaS1M_S1N_EUlS1M_E_NS1_11comp_targetILNS1_3genE5ELNS1_11target_archE942ELNS1_3gpuE9ELNS1_3repE0EEENS1_30default_config_static_selectorELNS0_4arch9wavefront6targetE1EEEvSZ_,"axG",@progbits,_ZN7rocprim17ROCPRIM_400000_NS6detail17trampoline_kernelINS0_13select_configILj256ELj13ELNS0_17block_load_methodE3ELS4_3ELS4_3ELNS0_20block_scan_algorithmE0ELj4294967295EEENS1_25partition_config_selectorILNS1_17partition_subalgoE4EjNS0_10empty_typeEbEEZZNS1_14partition_implILS8_4ELb0ES6_15HIP_vector_typeIjLj2EENS0_17counting_iteratorIjlEEPS9_SG_NS0_5tupleIJPjSI_NS0_16reverse_iteratorISI_EEEEENSH_IJSG_SG_SG_EEES9_SI_JZNS1_25segmented_radix_sort_implINS0_14default_configELb1EPKlPlSQ_SR_N2at6native12_GLOBAL__N_18offset_tEEE10hipError_tPvRmT1_PNSt15iterator_traitsISZ_E10value_typeET2_T3_PNS10_IS15_E10value_typeET4_jRbjT5_S1B_jjP12ihipStream_tbEUljE_ZNSN_ISO_Lb1ESQ_SR_SQ_SR_SV_EESW_SX_SY_SZ_S13_S14_S15_S18_S19_jS1A_jS1B_S1B_jjS1D_bEUljE0_EEESW_SX_SY_S15_S19_S1B_T6_T7_T9_mT8_S1D_bDpT10_ENKUlT_T0_E_clISt17integral_constantIbLb1EES1Q_IbLb0EEEEDaS1M_S1N_EUlS1M_E_NS1_11comp_targetILNS1_3genE5ELNS1_11target_archE942ELNS1_3gpuE9ELNS1_3repE0EEENS1_30default_config_static_selectorELNS0_4arch9wavefront6targetE1EEEvSZ_,comdat
	.globl	_ZN7rocprim17ROCPRIM_400000_NS6detail17trampoline_kernelINS0_13select_configILj256ELj13ELNS0_17block_load_methodE3ELS4_3ELS4_3ELNS0_20block_scan_algorithmE0ELj4294967295EEENS1_25partition_config_selectorILNS1_17partition_subalgoE4EjNS0_10empty_typeEbEEZZNS1_14partition_implILS8_4ELb0ES6_15HIP_vector_typeIjLj2EENS0_17counting_iteratorIjlEEPS9_SG_NS0_5tupleIJPjSI_NS0_16reverse_iteratorISI_EEEEENSH_IJSG_SG_SG_EEES9_SI_JZNS1_25segmented_radix_sort_implINS0_14default_configELb1EPKlPlSQ_SR_N2at6native12_GLOBAL__N_18offset_tEEE10hipError_tPvRmT1_PNSt15iterator_traitsISZ_E10value_typeET2_T3_PNS10_IS15_E10value_typeET4_jRbjT5_S1B_jjP12ihipStream_tbEUljE_ZNSN_ISO_Lb1ESQ_SR_SQ_SR_SV_EESW_SX_SY_SZ_S13_S14_S15_S18_S19_jS1A_jS1B_S1B_jjS1D_bEUljE0_EEESW_SX_SY_S15_S19_S1B_T6_T7_T9_mT8_S1D_bDpT10_ENKUlT_T0_E_clISt17integral_constantIbLb1EES1Q_IbLb0EEEEDaS1M_S1N_EUlS1M_E_NS1_11comp_targetILNS1_3genE5ELNS1_11target_archE942ELNS1_3gpuE9ELNS1_3repE0EEENS1_30default_config_static_selectorELNS0_4arch9wavefront6targetE1EEEvSZ_ ; -- Begin function _ZN7rocprim17ROCPRIM_400000_NS6detail17trampoline_kernelINS0_13select_configILj256ELj13ELNS0_17block_load_methodE3ELS4_3ELS4_3ELNS0_20block_scan_algorithmE0ELj4294967295EEENS1_25partition_config_selectorILNS1_17partition_subalgoE4EjNS0_10empty_typeEbEEZZNS1_14partition_implILS8_4ELb0ES6_15HIP_vector_typeIjLj2EENS0_17counting_iteratorIjlEEPS9_SG_NS0_5tupleIJPjSI_NS0_16reverse_iteratorISI_EEEEENSH_IJSG_SG_SG_EEES9_SI_JZNS1_25segmented_radix_sort_implINS0_14default_configELb1EPKlPlSQ_SR_N2at6native12_GLOBAL__N_18offset_tEEE10hipError_tPvRmT1_PNSt15iterator_traitsISZ_E10value_typeET2_T3_PNS10_IS15_E10value_typeET4_jRbjT5_S1B_jjP12ihipStream_tbEUljE_ZNSN_ISO_Lb1ESQ_SR_SQ_SR_SV_EESW_SX_SY_SZ_S13_S14_S15_S18_S19_jS1A_jS1B_S1B_jjS1D_bEUljE0_EEESW_SX_SY_S15_S19_S1B_T6_T7_T9_mT8_S1D_bDpT10_ENKUlT_T0_E_clISt17integral_constantIbLb1EES1Q_IbLb0EEEEDaS1M_S1N_EUlS1M_E_NS1_11comp_targetILNS1_3genE5ELNS1_11target_archE942ELNS1_3gpuE9ELNS1_3repE0EEENS1_30default_config_static_selectorELNS0_4arch9wavefront6targetE1EEEvSZ_
	.p2align	8
	.type	_ZN7rocprim17ROCPRIM_400000_NS6detail17trampoline_kernelINS0_13select_configILj256ELj13ELNS0_17block_load_methodE3ELS4_3ELS4_3ELNS0_20block_scan_algorithmE0ELj4294967295EEENS1_25partition_config_selectorILNS1_17partition_subalgoE4EjNS0_10empty_typeEbEEZZNS1_14partition_implILS8_4ELb0ES6_15HIP_vector_typeIjLj2EENS0_17counting_iteratorIjlEEPS9_SG_NS0_5tupleIJPjSI_NS0_16reverse_iteratorISI_EEEEENSH_IJSG_SG_SG_EEES9_SI_JZNS1_25segmented_radix_sort_implINS0_14default_configELb1EPKlPlSQ_SR_N2at6native12_GLOBAL__N_18offset_tEEE10hipError_tPvRmT1_PNSt15iterator_traitsISZ_E10value_typeET2_T3_PNS10_IS15_E10value_typeET4_jRbjT5_S1B_jjP12ihipStream_tbEUljE_ZNSN_ISO_Lb1ESQ_SR_SQ_SR_SV_EESW_SX_SY_SZ_S13_S14_S15_S18_S19_jS1A_jS1B_S1B_jjS1D_bEUljE0_EEESW_SX_SY_S15_S19_S1B_T6_T7_T9_mT8_S1D_bDpT10_ENKUlT_T0_E_clISt17integral_constantIbLb1EES1Q_IbLb0EEEEDaS1M_S1N_EUlS1M_E_NS1_11comp_targetILNS1_3genE5ELNS1_11target_archE942ELNS1_3gpuE9ELNS1_3repE0EEENS1_30default_config_static_selectorELNS0_4arch9wavefront6targetE1EEEvSZ_,@function
_ZN7rocprim17ROCPRIM_400000_NS6detail17trampoline_kernelINS0_13select_configILj256ELj13ELNS0_17block_load_methodE3ELS4_3ELS4_3ELNS0_20block_scan_algorithmE0ELj4294967295EEENS1_25partition_config_selectorILNS1_17partition_subalgoE4EjNS0_10empty_typeEbEEZZNS1_14partition_implILS8_4ELb0ES6_15HIP_vector_typeIjLj2EENS0_17counting_iteratorIjlEEPS9_SG_NS0_5tupleIJPjSI_NS0_16reverse_iteratorISI_EEEEENSH_IJSG_SG_SG_EEES9_SI_JZNS1_25segmented_radix_sort_implINS0_14default_configELb1EPKlPlSQ_SR_N2at6native12_GLOBAL__N_18offset_tEEE10hipError_tPvRmT1_PNSt15iterator_traitsISZ_E10value_typeET2_T3_PNS10_IS15_E10value_typeET4_jRbjT5_S1B_jjP12ihipStream_tbEUljE_ZNSN_ISO_Lb1ESQ_SR_SQ_SR_SV_EESW_SX_SY_SZ_S13_S14_S15_S18_S19_jS1A_jS1B_S1B_jjS1D_bEUljE0_EEESW_SX_SY_S15_S19_S1B_T6_T7_T9_mT8_S1D_bDpT10_ENKUlT_T0_E_clISt17integral_constantIbLb1EES1Q_IbLb0EEEEDaS1M_S1N_EUlS1M_E_NS1_11comp_targetILNS1_3genE5ELNS1_11target_archE942ELNS1_3gpuE9ELNS1_3repE0EEENS1_30default_config_static_selectorELNS0_4arch9wavefront6targetE1EEEvSZ_: ; @_ZN7rocprim17ROCPRIM_400000_NS6detail17trampoline_kernelINS0_13select_configILj256ELj13ELNS0_17block_load_methodE3ELS4_3ELS4_3ELNS0_20block_scan_algorithmE0ELj4294967295EEENS1_25partition_config_selectorILNS1_17partition_subalgoE4EjNS0_10empty_typeEbEEZZNS1_14partition_implILS8_4ELb0ES6_15HIP_vector_typeIjLj2EENS0_17counting_iteratorIjlEEPS9_SG_NS0_5tupleIJPjSI_NS0_16reverse_iteratorISI_EEEEENSH_IJSG_SG_SG_EEES9_SI_JZNS1_25segmented_radix_sort_implINS0_14default_configELb1EPKlPlSQ_SR_N2at6native12_GLOBAL__N_18offset_tEEE10hipError_tPvRmT1_PNSt15iterator_traitsISZ_E10value_typeET2_T3_PNS10_IS15_E10value_typeET4_jRbjT5_S1B_jjP12ihipStream_tbEUljE_ZNSN_ISO_Lb1ESQ_SR_SQ_SR_SV_EESW_SX_SY_SZ_S13_S14_S15_S18_S19_jS1A_jS1B_S1B_jjS1D_bEUljE0_EEESW_SX_SY_S15_S19_S1B_T6_T7_T9_mT8_S1D_bDpT10_ENKUlT_T0_E_clISt17integral_constantIbLb1EES1Q_IbLb0EEEEDaS1M_S1N_EUlS1M_E_NS1_11comp_targetILNS1_3genE5ELNS1_11target_archE942ELNS1_3gpuE9ELNS1_3repE0EEENS1_30default_config_static_selectorELNS0_4arch9wavefront6targetE1EEEvSZ_
; %bb.0:
	.section	.rodata,"a",@progbits
	.p2align	6, 0x0
	.amdhsa_kernel _ZN7rocprim17ROCPRIM_400000_NS6detail17trampoline_kernelINS0_13select_configILj256ELj13ELNS0_17block_load_methodE3ELS4_3ELS4_3ELNS0_20block_scan_algorithmE0ELj4294967295EEENS1_25partition_config_selectorILNS1_17partition_subalgoE4EjNS0_10empty_typeEbEEZZNS1_14partition_implILS8_4ELb0ES6_15HIP_vector_typeIjLj2EENS0_17counting_iteratorIjlEEPS9_SG_NS0_5tupleIJPjSI_NS0_16reverse_iteratorISI_EEEEENSH_IJSG_SG_SG_EEES9_SI_JZNS1_25segmented_radix_sort_implINS0_14default_configELb1EPKlPlSQ_SR_N2at6native12_GLOBAL__N_18offset_tEEE10hipError_tPvRmT1_PNSt15iterator_traitsISZ_E10value_typeET2_T3_PNS10_IS15_E10value_typeET4_jRbjT5_S1B_jjP12ihipStream_tbEUljE_ZNSN_ISO_Lb1ESQ_SR_SQ_SR_SV_EESW_SX_SY_SZ_S13_S14_S15_S18_S19_jS1A_jS1B_S1B_jjS1D_bEUljE0_EEESW_SX_SY_S15_S19_S1B_T6_T7_T9_mT8_S1D_bDpT10_ENKUlT_T0_E_clISt17integral_constantIbLb1EES1Q_IbLb0EEEEDaS1M_S1N_EUlS1M_E_NS1_11comp_targetILNS1_3genE5ELNS1_11target_archE942ELNS1_3gpuE9ELNS1_3repE0EEENS1_30default_config_static_selectorELNS0_4arch9wavefront6targetE1EEEvSZ_
		.amdhsa_group_segment_fixed_size 0
		.amdhsa_private_segment_fixed_size 0
		.amdhsa_kernarg_size 176
		.amdhsa_user_sgpr_count 6
		.amdhsa_user_sgpr_private_segment_buffer 1
		.amdhsa_user_sgpr_dispatch_ptr 0
		.amdhsa_user_sgpr_queue_ptr 0
		.amdhsa_user_sgpr_kernarg_segment_ptr 1
		.amdhsa_user_sgpr_dispatch_id 0
		.amdhsa_user_sgpr_flat_scratch_init 0
		.amdhsa_user_sgpr_private_segment_size 0
		.amdhsa_uses_dynamic_stack 0
		.amdhsa_system_sgpr_private_segment_wavefront_offset 0
		.amdhsa_system_sgpr_workgroup_id_x 1
		.amdhsa_system_sgpr_workgroup_id_y 0
		.amdhsa_system_sgpr_workgroup_id_z 0
		.amdhsa_system_sgpr_workgroup_info 0
		.amdhsa_system_vgpr_workitem_id 0
		.amdhsa_next_free_vgpr 1
		.amdhsa_next_free_sgpr 0
		.amdhsa_reserve_vcc 0
		.amdhsa_reserve_flat_scratch 0
		.amdhsa_float_round_mode_32 0
		.amdhsa_float_round_mode_16_64 0
		.amdhsa_float_denorm_mode_32 3
		.amdhsa_float_denorm_mode_16_64 3
		.amdhsa_dx10_clamp 1
		.amdhsa_ieee_mode 1
		.amdhsa_fp16_overflow 0
		.amdhsa_exception_fp_ieee_invalid_op 0
		.amdhsa_exception_fp_denorm_src 0
		.amdhsa_exception_fp_ieee_div_zero 0
		.amdhsa_exception_fp_ieee_overflow 0
		.amdhsa_exception_fp_ieee_underflow 0
		.amdhsa_exception_fp_ieee_inexact 0
		.amdhsa_exception_int_div_zero 0
	.end_amdhsa_kernel
	.section	.text._ZN7rocprim17ROCPRIM_400000_NS6detail17trampoline_kernelINS0_13select_configILj256ELj13ELNS0_17block_load_methodE3ELS4_3ELS4_3ELNS0_20block_scan_algorithmE0ELj4294967295EEENS1_25partition_config_selectorILNS1_17partition_subalgoE4EjNS0_10empty_typeEbEEZZNS1_14partition_implILS8_4ELb0ES6_15HIP_vector_typeIjLj2EENS0_17counting_iteratorIjlEEPS9_SG_NS0_5tupleIJPjSI_NS0_16reverse_iteratorISI_EEEEENSH_IJSG_SG_SG_EEES9_SI_JZNS1_25segmented_radix_sort_implINS0_14default_configELb1EPKlPlSQ_SR_N2at6native12_GLOBAL__N_18offset_tEEE10hipError_tPvRmT1_PNSt15iterator_traitsISZ_E10value_typeET2_T3_PNS10_IS15_E10value_typeET4_jRbjT5_S1B_jjP12ihipStream_tbEUljE_ZNSN_ISO_Lb1ESQ_SR_SQ_SR_SV_EESW_SX_SY_SZ_S13_S14_S15_S18_S19_jS1A_jS1B_S1B_jjS1D_bEUljE0_EEESW_SX_SY_S15_S19_S1B_T6_T7_T9_mT8_S1D_bDpT10_ENKUlT_T0_E_clISt17integral_constantIbLb1EES1Q_IbLb0EEEEDaS1M_S1N_EUlS1M_E_NS1_11comp_targetILNS1_3genE5ELNS1_11target_archE942ELNS1_3gpuE9ELNS1_3repE0EEENS1_30default_config_static_selectorELNS0_4arch9wavefront6targetE1EEEvSZ_,"axG",@progbits,_ZN7rocprim17ROCPRIM_400000_NS6detail17trampoline_kernelINS0_13select_configILj256ELj13ELNS0_17block_load_methodE3ELS4_3ELS4_3ELNS0_20block_scan_algorithmE0ELj4294967295EEENS1_25partition_config_selectorILNS1_17partition_subalgoE4EjNS0_10empty_typeEbEEZZNS1_14partition_implILS8_4ELb0ES6_15HIP_vector_typeIjLj2EENS0_17counting_iteratorIjlEEPS9_SG_NS0_5tupleIJPjSI_NS0_16reverse_iteratorISI_EEEEENSH_IJSG_SG_SG_EEES9_SI_JZNS1_25segmented_radix_sort_implINS0_14default_configELb1EPKlPlSQ_SR_N2at6native12_GLOBAL__N_18offset_tEEE10hipError_tPvRmT1_PNSt15iterator_traitsISZ_E10value_typeET2_T3_PNS10_IS15_E10value_typeET4_jRbjT5_S1B_jjP12ihipStream_tbEUljE_ZNSN_ISO_Lb1ESQ_SR_SQ_SR_SV_EESW_SX_SY_SZ_S13_S14_S15_S18_S19_jS1A_jS1B_S1B_jjS1D_bEUljE0_EEESW_SX_SY_S15_S19_S1B_T6_T7_T9_mT8_S1D_bDpT10_ENKUlT_T0_E_clISt17integral_constantIbLb1EES1Q_IbLb0EEEEDaS1M_S1N_EUlS1M_E_NS1_11comp_targetILNS1_3genE5ELNS1_11target_archE942ELNS1_3gpuE9ELNS1_3repE0EEENS1_30default_config_static_selectorELNS0_4arch9wavefront6targetE1EEEvSZ_,comdat
.Lfunc_end657:
	.size	_ZN7rocprim17ROCPRIM_400000_NS6detail17trampoline_kernelINS0_13select_configILj256ELj13ELNS0_17block_load_methodE3ELS4_3ELS4_3ELNS0_20block_scan_algorithmE0ELj4294967295EEENS1_25partition_config_selectorILNS1_17partition_subalgoE4EjNS0_10empty_typeEbEEZZNS1_14partition_implILS8_4ELb0ES6_15HIP_vector_typeIjLj2EENS0_17counting_iteratorIjlEEPS9_SG_NS0_5tupleIJPjSI_NS0_16reverse_iteratorISI_EEEEENSH_IJSG_SG_SG_EEES9_SI_JZNS1_25segmented_radix_sort_implINS0_14default_configELb1EPKlPlSQ_SR_N2at6native12_GLOBAL__N_18offset_tEEE10hipError_tPvRmT1_PNSt15iterator_traitsISZ_E10value_typeET2_T3_PNS10_IS15_E10value_typeET4_jRbjT5_S1B_jjP12ihipStream_tbEUljE_ZNSN_ISO_Lb1ESQ_SR_SQ_SR_SV_EESW_SX_SY_SZ_S13_S14_S15_S18_S19_jS1A_jS1B_S1B_jjS1D_bEUljE0_EEESW_SX_SY_S15_S19_S1B_T6_T7_T9_mT8_S1D_bDpT10_ENKUlT_T0_E_clISt17integral_constantIbLb1EES1Q_IbLb0EEEEDaS1M_S1N_EUlS1M_E_NS1_11comp_targetILNS1_3genE5ELNS1_11target_archE942ELNS1_3gpuE9ELNS1_3repE0EEENS1_30default_config_static_selectorELNS0_4arch9wavefront6targetE1EEEvSZ_, .Lfunc_end657-_ZN7rocprim17ROCPRIM_400000_NS6detail17trampoline_kernelINS0_13select_configILj256ELj13ELNS0_17block_load_methodE3ELS4_3ELS4_3ELNS0_20block_scan_algorithmE0ELj4294967295EEENS1_25partition_config_selectorILNS1_17partition_subalgoE4EjNS0_10empty_typeEbEEZZNS1_14partition_implILS8_4ELb0ES6_15HIP_vector_typeIjLj2EENS0_17counting_iteratorIjlEEPS9_SG_NS0_5tupleIJPjSI_NS0_16reverse_iteratorISI_EEEEENSH_IJSG_SG_SG_EEES9_SI_JZNS1_25segmented_radix_sort_implINS0_14default_configELb1EPKlPlSQ_SR_N2at6native12_GLOBAL__N_18offset_tEEE10hipError_tPvRmT1_PNSt15iterator_traitsISZ_E10value_typeET2_T3_PNS10_IS15_E10value_typeET4_jRbjT5_S1B_jjP12ihipStream_tbEUljE_ZNSN_ISO_Lb1ESQ_SR_SQ_SR_SV_EESW_SX_SY_SZ_S13_S14_S15_S18_S19_jS1A_jS1B_S1B_jjS1D_bEUljE0_EEESW_SX_SY_S15_S19_S1B_T6_T7_T9_mT8_S1D_bDpT10_ENKUlT_T0_E_clISt17integral_constantIbLb1EES1Q_IbLb0EEEEDaS1M_S1N_EUlS1M_E_NS1_11comp_targetILNS1_3genE5ELNS1_11target_archE942ELNS1_3gpuE9ELNS1_3repE0EEENS1_30default_config_static_selectorELNS0_4arch9wavefront6targetE1EEEvSZ_
                                        ; -- End function
	.set _ZN7rocprim17ROCPRIM_400000_NS6detail17trampoline_kernelINS0_13select_configILj256ELj13ELNS0_17block_load_methodE3ELS4_3ELS4_3ELNS0_20block_scan_algorithmE0ELj4294967295EEENS1_25partition_config_selectorILNS1_17partition_subalgoE4EjNS0_10empty_typeEbEEZZNS1_14partition_implILS8_4ELb0ES6_15HIP_vector_typeIjLj2EENS0_17counting_iteratorIjlEEPS9_SG_NS0_5tupleIJPjSI_NS0_16reverse_iteratorISI_EEEEENSH_IJSG_SG_SG_EEES9_SI_JZNS1_25segmented_radix_sort_implINS0_14default_configELb1EPKlPlSQ_SR_N2at6native12_GLOBAL__N_18offset_tEEE10hipError_tPvRmT1_PNSt15iterator_traitsISZ_E10value_typeET2_T3_PNS10_IS15_E10value_typeET4_jRbjT5_S1B_jjP12ihipStream_tbEUljE_ZNSN_ISO_Lb1ESQ_SR_SQ_SR_SV_EESW_SX_SY_SZ_S13_S14_S15_S18_S19_jS1A_jS1B_S1B_jjS1D_bEUljE0_EEESW_SX_SY_S15_S19_S1B_T6_T7_T9_mT8_S1D_bDpT10_ENKUlT_T0_E_clISt17integral_constantIbLb1EES1Q_IbLb0EEEEDaS1M_S1N_EUlS1M_E_NS1_11comp_targetILNS1_3genE5ELNS1_11target_archE942ELNS1_3gpuE9ELNS1_3repE0EEENS1_30default_config_static_selectorELNS0_4arch9wavefront6targetE1EEEvSZ_.num_vgpr, 0
	.set _ZN7rocprim17ROCPRIM_400000_NS6detail17trampoline_kernelINS0_13select_configILj256ELj13ELNS0_17block_load_methodE3ELS4_3ELS4_3ELNS0_20block_scan_algorithmE0ELj4294967295EEENS1_25partition_config_selectorILNS1_17partition_subalgoE4EjNS0_10empty_typeEbEEZZNS1_14partition_implILS8_4ELb0ES6_15HIP_vector_typeIjLj2EENS0_17counting_iteratorIjlEEPS9_SG_NS0_5tupleIJPjSI_NS0_16reverse_iteratorISI_EEEEENSH_IJSG_SG_SG_EEES9_SI_JZNS1_25segmented_radix_sort_implINS0_14default_configELb1EPKlPlSQ_SR_N2at6native12_GLOBAL__N_18offset_tEEE10hipError_tPvRmT1_PNSt15iterator_traitsISZ_E10value_typeET2_T3_PNS10_IS15_E10value_typeET4_jRbjT5_S1B_jjP12ihipStream_tbEUljE_ZNSN_ISO_Lb1ESQ_SR_SQ_SR_SV_EESW_SX_SY_SZ_S13_S14_S15_S18_S19_jS1A_jS1B_S1B_jjS1D_bEUljE0_EEESW_SX_SY_S15_S19_S1B_T6_T7_T9_mT8_S1D_bDpT10_ENKUlT_T0_E_clISt17integral_constantIbLb1EES1Q_IbLb0EEEEDaS1M_S1N_EUlS1M_E_NS1_11comp_targetILNS1_3genE5ELNS1_11target_archE942ELNS1_3gpuE9ELNS1_3repE0EEENS1_30default_config_static_selectorELNS0_4arch9wavefront6targetE1EEEvSZ_.num_agpr, 0
	.set _ZN7rocprim17ROCPRIM_400000_NS6detail17trampoline_kernelINS0_13select_configILj256ELj13ELNS0_17block_load_methodE3ELS4_3ELS4_3ELNS0_20block_scan_algorithmE0ELj4294967295EEENS1_25partition_config_selectorILNS1_17partition_subalgoE4EjNS0_10empty_typeEbEEZZNS1_14partition_implILS8_4ELb0ES6_15HIP_vector_typeIjLj2EENS0_17counting_iteratorIjlEEPS9_SG_NS0_5tupleIJPjSI_NS0_16reverse_iteratorISI_EEEEENSH_IJSG_SG_SG_EEES9_SI_JZNS1_25segmented_radix_sort_implINS0_14default_configELb1EPKlPlSQ_SR_N2at6native12_GLOBAL__N_18offset_tEEE10hipError_tPvRmT1_PNSt15iterator_traitsISZ_E10value_typeET2_T3_PNS10_IS15_E10value_typeET4_jRbjT5_S1B_jjP12ihipStream_tbEUljE_ZNSN_ISO_Lb1ESQ_SR_SQ_SR_SV_EESW_SX_SY_SZ_S13_S14_S15_S18_S19_jS1A_jS1B_S1B_jjS1D_bEUljE0_EEESW_SX_SY_S15_S19_S1B_T6_T7_T9_mT8_S1D_bDpT10_ENKUlT_T0_E_clISt17integral_constantIbLb1EES1Q_IbLb0EEEEDaS1M_S1N_EUlS1M_E_NS1_11comp_targetILNS1_3genE5ELNS1_11target_archE942ELNS1_3gpuE9ELNS1_3repE0EEENS1_30default_config_static_selectorELNS0_4arch9wavefront6targetE1EEEvSZ_.numbered_sgpr, 0
	.set _ZN7rocprim17ROCPRIM_400000_NS6detail17trampoline_kernelINS0_13select_configILj256ELj13ELNS0_17block_load_methodE3ELS4_3ELS4_3ELNS0_20block_scan_algorithmE0ELj4294967295EEENS1_25partition_config_selectorILNS1_17partition_subalgoE4EjNS0_10empty_typeEbEEZZNS1_14partition_implILS8_4ELb0ES6_15HIP_vector_typeIjLj2EENS0_17counting_iteratorIjlEEPS9_SG_NS0_5tupleIJPjSI_NS0_16reverse_iteratorISI_EEEEENSH_IJSG_SG_SG_EEES9_SI_JZNS1_25segmented_radix_sort_implINS0_14default_configELb1EPKlPlSQ_SR_N2at6native12_GLOBAL__N_18offset_tEEE10hipError_tPvRmT1_PNSt15iterator_traitsISZ_E10value_typeET2_T3_PNS10_IS15_E10value_typeET4_jRbjT5_S1B_jjP12ihipStream_tbEUljE_ZNSN_ISO_Lb1ESQ_SR_SQ_SR_SV_EESW_SX_SY_SZ_S13_S14_S15_S18_S19_jS1A_jS1B_S1B_jjS1D_bEUljE0_EEESW_SX_SY_S15_S19_S1B_T6_T7_T9_mT8_S1D_bDpT10_ENKUlT_T0_E_clISt17integral_constantIbLb1EES1Q_IbLb0EEEEDaS1M_S1N_EUlS1M_E_NS1_11comp_targetILNS1_3genE5ELNS1_11target_archE942ELNS1_3gpuE9ELNS1_3repE0EEENS1_30default_config_static_selectorELNS0_4arch9wavefront6targetE1EEEvSZ_.num_named_barrier, 0
	.set _ZN7rocprim17ROCPRIM_400000_NS6detail17trampoline_kernelINS0_13select_configILj256ELj13ELNS0_17block_load_methodE3ELS4_3ELS4_3ELNS0_20block_scan_algorithmE0ELj4294967295EEENS1_25partition_config_selectorILNS1_17partition_subalgoE4EjNS0_10empty_typeEbEEZZNS1_14partition_implILS8_4ELb0ES6_15HIP_vector_typeIjLj2EENS0_17counting_iteratorIjlEEPS9_SG_NS0_5tupleIJPjSI_NS0_16reverse_iteratorISI_EEEEENSH_IJSG_SG_SG_EEES9_SI_JZNS1_25segmented_radix_sort_implINS0_14default_configELb1EPKlPlSQ_SR_N2at6native12_GLOBAL__N_18offset_tEEE10hipError_tPvRmT1_PNSt15iterator_traitsISZ_E10value_typeET2_T3_PNS10_IS15_E10value_typeET4_jRbjT5_S1B_jjP12ihipStream_tbEUljE_ZNSN_ISO_Lb1ESQ_SR_SQ_SR_SV_EESW_SX_SY_SZ_S13_S14_S15_S18_S19_jS1A_jS1B_S1B_jjS1D_bEUljE0_EEESW_SX_SY_S15_S19_S1B_T6_T7_T9_mT8_S1D_bDpT10_ENKUlT_T0_E_clISt17integral_constantIbLb1EES1Q_IbLb0EEEEDaS1M_S1N_EUlS1M_E_NS1_11comp_targetILNS1_3genE5ELNS1_11target_archE942ELNS1_3gpuE9ELNS1_3repE0EEENS1_30default_config_static_selectorELNS0_4arch9wavefront6targetE1EEEvSZ_.private_seg_size, 0
	.set _ZN7rocprim17ROCPRIM_400000_NS6detail17trampoline_kernelINS0_13select_configILj256ELj13ELNS0_17block_load_methodE3ELS4_3ELS4_3ELNS0_20block_scan_algorithmE0ELj4294967295EEENS1_25partition_config_selectorILNS1_17partition_subalgoE4EjNS0_10empty_typeEbEEZZNS1_14partition_implILS8_4ELb0ES6_15HIP_vector_typeIjLj2EENS0_17counting_iteratorIjlEEPS9_SG_NS0_5tupleIJPjSI_NS0_16reverse_iteratorISI_EEEEENSH_IJSG_SG_SG_EEES9_SI_JZNS1_25segmented_radix_sort_implINS0_14default_configELb1EPKlPlSQ_SR_N2at6native12_GLOBAL__N_18offset_tEEE10hipError_tPvRmT1_PNSt15iterator_traitsISZ_E10value_typeET2_T3_PNS10_IS15_E10value_typeET4_jRbjT5_S1B_jjP12ihipStream_tbEUljE_ZNSN_ISO_Lb1ESQ_SR_SQ_SR_SV_EESW_SX_SY_SZ_S13_S14_S15_S18_S19_jS1A_jS1B_S1B_jjS1D_bEUljE0_EEESW_SX_SY_S15_S19_S1B_T6_T7_T9_mT8_S1D_bDpT10_ENKUlT_T0_E_clISt17integral_constantIbLb1EES1Q_IbLb0EEEEDaS1M_S1N_EUlS1M_E_NS1_11comp_targetILNS1_3genE5ELNS1_11target_archE942ELNS1_3gpuE9ELNS1_3repE0EEENS1_30default_config_static_selectorELNS0_4arch9wavefront6targetE1EEEvSZ_.uses_vcc, 0
	.set _ZN7rocprim17ROCPRIM_400000_NS6detail17trampoline_kernelINS0_13select_configILj256ELj13ELNS0_17block_load_methodE3ELS4_3ELS4_3ELNS0_20block_scan_algorithmE0ELj4294967295EEENS1_25partition_config_selectorILNS1_17partition_subalgoE4EjNS0_10empty_typeEbEEZZNS1_14partition_implILS8_4ELb0ES6_15HIP_vector_typeIjLj2EENS0_17counting_iteratorIjlEEPS9_SG_NS0_5tupleIJPjSI_NS0_16reverse_iteratorISI_EEEEENSH_IJSG_SG_SG_EEES9_SI_JZNS1_25segmented_radix_sort_implINS0_14default_configELb1EPKlPlSQ_SR_N2at6native12_GLOBAL__N_18offset_tEEE10hipError_tPvRmT1_PNSt15iterator_traitsISZ_E10value_typeET2_T3_PNS10_IS15_E10value_typeET4_jRbjT5_S1B_jjP12ihipStream_tbEUljE_ZNSN_ISO_Lb1ESQ_SR_SQ_SR_SV_EESW_SX_SY_SZ_S13_S14_S15_S18_S19_jS1A_jS1B_S1B_jjS1D_bEUljE0_EEESW_SX_SY_S15_S19_S1B_T6_T7_T9_mT8_S1D_bDpT10_ENKUlT_T0_E_clISt17integral_constantIbLb1EES1Q_IbLb0EEEEDaS1M_S1N_EUlS1M_E_NS1_11comp_targetILNS1_3genE5ELNS1_11target_archE942ELNS1_3gpuE9ELNS1_3repE0EEENS1_30default_config_static_selectorELNS0_4arch9wavefront6targetE1EEEvSZ_.uses_flat_scratch, 0
	.set _ZN7rocprim17ROCPRIM_400000_NS6detail17trampoline_kernelINS0_13select_configILj256ELj13ELNS0_17block_load_methodE3ELS4_3ELS4_3ELNS0_20block_scan_algorithmE0ELj4294967295EEENS1_25partition_config_selectorILNS1_17partition_subalgoE4EjNS0_10empty_typeEbEEZZNS1_14partition_implILS8_4ELb0ES6_15HIP_vector_typeIjLj2EENS0_17counting_iteratorIjlEEPS9_SG_NS0_5tupleIJPjSI_NS0_16reverse_iteratorISI_EEEEENSH_IJSG_SG_SG_EEES9_SI_JZNS1_25segmented_radix_sort_implINS0_14default_configELb1EPKlPlSQ_SR_N2at6native12_GLOBAL__N_18offset_tEEE10hipError_tPvRmT1_PNSt15iterator_traitsISZ_E10value_typeET2_T3_PNS10_IS15_E10value_typeET4_jRbjT5_S1B_jjP12ihipStream_tbEUljE_ZNSN_ISO_Lb1ESQ_SR_SQ_SR_SV_EESW_SX_SY_SZ_S13_S14_S15_S18_S19_jS1A_jS1B_S1B_jjS1D_bEUljE0_EEESW_SX_SY_S15_S19_S1B_T6_T7_T9_mT8_S1D_bDpT10_ENKUlT_T0_E_clISt17integral_constantIbLb1EES1Q_IbLb0EEEEDaS1M_S1N_EUlS1M_E_NS1_11comp_targetILNS1_3genE5ELNS1_11target_archE942ELNS1_3gpuE9ELNS1_3repE0EEENS1_30default_config_static_selectorELNS0_4arch9wavefront6targetE1EEEvSZ_.has_dyn_sized_stack, 0
	.set _ZN7rocprim17ROCPRIM_400000_NS6detail17trampoline_kernelINS0_13select_configILj256ELj13ELNS0_17block_load_methodE3ELS4_3ELS4_3ELNS0_20block_scan_algorithmE0ELj4294967295EEENS1_25partition_config_selectorILNS1_17partition_subalgoE4EjNS0_10empty_typeEbEEZZNS1_14partition_implILS8_4ELb0ES6_15HIP_vector_typeIjLj2EENS0_17counting_iteratorIjlEEPS9_SG_NS0_5tupleIJPjSI_NS0_16reverse_iteratorISI_EEEEENSH_IJSG_SG_SG_EEES9_SI_JZNS1_25segmented_radix_sort_implINS0_14default_configELb1EPKlPlSQ_SR_N2at6native12_GLOBAL__N_18offset_tEEE10hipError_tPvRmT1_PNSt15iterator_traitsISZ_E10value_typeET2_T3_PNS10_IS15_E10value_typeET4_jRbjT5_S1B_jjP12ihipStream_tbEUljE_ZNSN_ISO_Lb1ESQ_SR_SQ_SR_SV_EESW_SX_SY_SZ_S13_S14_S15_S18_S19_jS1A_jS1B_S1B_jjS1D_bEUljE0_EEESW_SX_SY_S15_S19_S1B_T6_T7_T9_mT8_S1D_bDpT10_ENKUlT_T0_E_clISt17integral_constantIbLb1EES1Q_IbLb0EEEEDaS1M_S1N_EUlS1M_E_NS1_11comp_targetILNS1_3genE5ELNS1_11target_archE942ELNS1_3gpuE9ELNS1_3repE0EEENS1_30default_config_static_selectorELNS0_4arch9wavefront6targetE1EEEvSZ_.has_recursion, 0
	.set _ZN7rocprim17ROCPRIM_400000_NS6detail17trampoline_kernelINS0_13select_configILj256ELj13ELNS0_17block_load_methodE3ELS4_3ELS4_3ELNS0_20block_scan_algorithmE0ELj4294967295EEENS1_25partition_config_selectorILNS1_17partition_subalgoE4EjNS0_10empty_typeEbEEZZNS1_14partition_implILS8_4ELb0ES6_15HIP_vector_typeIjLj2EENS0_17counting_iteratorIjlEEPS9_SG_NS0_5tupleIJPjSI_NS0_16reverse_iteratorISI_EEEEENSH_IJSG_SG_SG_EEES9_SI_JZNS1_25segmented_radix_sort_implINS0_14default_configELb1EPKlPlSQ_SR_N2at6native12_GLOBAL__N_18offset_tEEE10hipError_tPvRmT1_PNSt15iterator_traitsISZ_E10value_typeET2_T3_PNS10_IS15_E10value_typeET4_jRbjT5_S1B_jjP12ihipStream_tbEUljE_ZNSN_ISO_Lb1ESQ_SR_SQ_SR_SV_EESW_SX_SY_SZ_S13_S14_S15_S18_S19_jS1A_jS1B_S1B_jjS1D_bEUljE0_EEESW_SX_SY_S15_S19_S1B_T6_T7_T9_mT8_S1D_bDpT10_ENKUlT_T0_E_clISt17integral_constantIbLb1EES1Q_IbLb0EEEEDaS1M_S1N_EUlS1M_E_NS1_11comp_targetILNS1_3genE5ELNS1_11target_archE942ELNS1_3gpuE9ELNS1_3repE0EEENS1_30default_config_static_selectorELNS0_4arch9wavefront6targetE1EEEvSZ_.has_indirect_call, 0
	.section	.AMDGPU.csdata,"",@progbits
; Kernel info:
; codeLenInByte = 0
; TotalNumSgprs: 4
; NumVgprs: 0
; ScratchSize: 0
; MemoryBound: 0
; FloatMode: 240
; IeeeMode: 1
; LDSByteSize: 0 bytes/workgroup (compile time only)
; SGPRBlocks: 0
; VGPRBlocks: 0
; NumSGPRsForWavesPerEU: 4
; NumVGPRsForWavesPerEU: 1
; Occupancy: 10
; WaveLimiterHint : 0
; COMPUTE_PGM_RSRC2:SCRATCH_EN: 0
; COMPUTE_PGM_RSRC2:USER_SGPR: 6
; COMPUTE_PGM_RSRC2:TRAP_HANDLER: 0
; COMPUTE_PGM_RSRC2:TGID_X_EN: 1
; COMPUTE_PGM_RSRC2:TGID_Y_EN: 0
; COMPUTE_PGM_RSRC2:TGID_Z_EN: 0
; COMPUTE_PGM_RSRC2:TIDIG_COMP_CNT: 0
	.section	.text._ZN7rocprim17ROCPRIM_400000_NS6detail17trampoline_kernelINS0_13select_configILj256ELj13ELNS0_17block_load_methodE3ELS4_3ELS4_3ELNS0_20block_scan_algorithmE0ELj4294967295EEENS1_25partition_config_selectorILNS1_17partition_subalgoE4EjNS0_10empty_typeEbEEZZNS1_14partition_implILS8_4ELb0ES6_15HIP_vector_typeIjLj2EENS0_17counting_iteratorIjlEEPS9_SG_NS0_5tupleIJPjSI_NS0_16reverse_iteratorISI_EEEEENSH_IJSG_SG_SG_EEES9_SI_JZNS1_25segmented_radix_sort_implINS0_14default_configELb1EPKlPlSQ_SR_N2at6native12_GLOBAL__N_18offset_tEEE10hipError_tPvRmT1_PNSt15iterator_traitsISZ_E10value_typeET2_T3_PNS10_IS15_E10value_typeET4_jRbjT5_S1B_jjP12ihipStream_tbEUljE_ZNSN_ISO_Lb1ESQ_SR_SQ_SR_SV_EESW_SX_SY_SZ_S13_S14_S15_S18_S19_jS1A_jS1B_S1B_jjS1D_bEUljE0_EEESW_SX_SY_S15_S19_S1B_T6_T7_T9_mT8_S1D_bDpT10_ENKUlT_T0_E_clISt17integral_constantIbLb1EES1Q_IbLb0EEEEDaS1M_S1N_EUlS1M_E_NS1_11comp_targetILNS1_3genE4ELNS1_11target_archE910ELNS1_3gpuE8ELNS1_3repE0EEENS1_30default_config_static_selectorELNS0_4arch9wavefront6targetE1EEEvSZ_,"axG",@progbits,_ZN7rocprim17ROCPRIM_400000_NS6detail17trampoline_kernelINS0_13select_configILj256ELj13ELNS0_17block_load_methodE3ELS4_3ELS4_3ELNS0_20block_scan_algorithmE0ELj4294967295EEENS1_25partition_config_selectorILNS1_17partition_subalgoE4EjNS0_10empty_typeEbEEZZNS1_14partition_implILS8_4ELb0ES6_15HIP_vector_typeIjLj2EENS0_17counting_iteratorIjlEEPS9_SG_NS0_5tupleIJPjSI_NS0_16reverse_iteratorISI_EEEEENSH_IJSG_SG_SG_EEES9_SI_JZNS1_25segmented_radix_sort_implINS0_14default_configELb1EPKlPlSQ_SR_N2at6native12_GLOBAL__N_18offset_tEEE10hipError_tPvRmT1_PNSt15iterator_traitsISZ_E10value_typeET2_T3_PNS10_IS15_E10value_typeET4_jRbjT5_S1B_jjP12ihipStream_tbEUljE_ZNSN_ISO_Lb1ESQ_SR_SQ_SR_SV_EESW_SX_SY_SZ_S13_S14_S15_S18_S19_jS1A_jS1B_S1B_jjS1D_bEUljE0_EEESW_SX_SY_S15_S19_S1B_T6_T7_T9_mT8_S1D_bDpT10_ENKUlT_T0_E_clISt17integral_constantIbLb1EES1Q_IbLb0EEEEDaS1M_S1N_EUlS1M_E_NS1_11comp_targetILNS1_3genE4ELNS1_11target_archE910ELNS1_3gpuE8ELNS1_3repE0EEENS1_30default_config_static_selectorELNS0_4arch9wavefront6targetE1EEEvSZ_,comdat
	.globl	_ZN7rocprim17ROCPRIM_400000_NS6detail17trampoline_kernelINS0_13select_configILj256ELj13ELNS0_17block_load_methodE3ELS4_3ELS4_3ELNS0_20block_scan_algorithmE0ELj4294967295EEENS1_25partition_config_selectorILNS1_17partition_subalgoE4EjNS0_10empty_typeEbEEZZNS1_14partition_implILS8_4ELb0ES6_15HIP_vector_typeIjLj2EENS0_17counting_iteratorIjlEEPS9_SG_NS0_5tupleIJPjSI_NS0_16reverse_iteratorISI_EEEEENSH_IJSG_SG_SG_EEES9_SI_JZNS1_25segmented_radix_sort_implINS0_14default_configELb1EPKlPlSQ_SR_N2at6native12_GLOBAL__N_18offset_tEEE10hipError_tPvRmT1_PNSt15iterator_traitsISZ_E10value_typeET2_T3_PNS10_IS15_E10value_typeET4_jRbjT5_S1B_jjP12ihipStream_tbEUljE_ZNSN_ISO_Lb1ESQ_SR_SQ_SR_SV_EESW_SX_SY_SZ_S13_S14_S15_S18_S19_jS1A_jS1B_S1B_jjS1D_bEUljE0_EEESW_SX_SY_S15_S19_S1B_T6_T7_T9_mT8_S1D_bDpT10_ENKUlT_T0_E_clISt17integral_constantIbLb1EES1Q_IbLb0EEEEDaS1M_S1N_EUlS1M_E_NS1_11comp_targetILNS1_3genE4ELNS1_11target_archE910ELNS1_3gpuE8ELNS1_3repE0EEENS1_30default_config_static_selectorELNS0_4arch9wavefront6targetE1EEEvSZ_ ; -- Begin function _ZN7rocprim17ROCPRIM_400000_NS6detail17trampoline_kernelINS0_13select_configILj256ELj13ELNS0_17block_load_methodE3ELS4_3ELS4_3ELNS0_20block_scan_algorithmE0ELj4294967295EEENS1_25partition_config_selectorILNS1_17partition_subalgoE4EjNS0_10empty_typeEbEEZZNS1_14partition_implILS8_4ELb0ES6_15HIP_vector_typeIjLj2EENS0_17counting_iteratorIjlEEPS9_SG_NS0_5tupleIJPjSI_NS0_16reverse_iteratorISI_EEEEENSH_IJSG_SG_SG_EEES9_SI_JZNS1_25segmented_radix_sort_implINS0_14default_configELb1EPKlPlSQ_SR_N2at6native12_GLOBAL__N_18offset_tEEE10hipError_tPvRmT1_PNSt15iterator_traitsISZ_E10value_typeET2_T3_PNS10_IS15_E10value_typeET4_jRbjT5_S1B_jjP12ihipStream_tbEUljE_ZNSN_ISO_Lb1ESQ_SR_SQ_SR_SV_EESW_SX_SY_SZ_S13_S14_S15_S18_S19_jS1A_jS1B_S1B_jjS1D_bEUljE0_EEESW_SX_SY_S15_S19_S1B_T6_T7_T9_mT8_S1D_bDpT10_ENKUlT_T0_E_clISt17integral_constantIbLb1EES1Q_IbLb0EEEEDaS1M_S1N_EUlS1M_E_NS1_11comp_targetILNS1_3genE4ELNS1_11target_archE910ELNS1_3gpuE8ELNS1_3repE0EEENS1_30default_config_static_selectorELNS0_4arch9wavefront6targetE1EEEvSZ_
	.p2align	8
	.type	_ZN7rocprim17ROCPRIM_400000_NS6detail17trampoline_kernelINS0_13select_configILj256ELj13ELNS0_17block_load_methodE3ELS4_3ELS4_3ELNS0_20block_scan_algorithmE0ELj4294967295EEENS1_25partition_config_selectorILNS1_17partition_subalgoE4EjNS0_10empty_typeEbEEZZNS1_14partition_implILS8_4ELb0ES6_15HIP_vector_typeIjLj2EENS0_17counting_iteratorIjlEEPS9_SG_NS0_5tupleIJPjSI_NS0_16reverse_iteratorISI_EEEEENSH_IJSG_SG_SG_EEES9_SI_JZNS1_25segmented_radix_sort_implINS0_14default_configELb1EPKlPlSQ_SR_N2at6native12_GLOBAL__N_18offset_tEEE10hipError_tPvRmT1_PNSt15iterator_traitsISZ_E10value_typeET2_T3_PNS10_IS15_E10value_typeET4_jRbjT5_S1B_jjP12ihipStream_tbEUljE_ZNSN_ISO_Lb1ESQ_SR_SQ_SR_SV_EESW_SX_SY_SZ_S13_S14_S15_S18_S19_jS1A_jS1B_S1B_jjS1D_bEUljE0_EEESW_SX_SY_S15_S19_S1B_T6_T7_T9_mT8_S1D_bDpT10_ENKUlT_T0_E_clISt17integral_constantIbLb1EES1Q_IbLb0EEEEDaS1M_S1N_EUlS1M_E_NS1_11comp_targetILNS1_3genE4ELNS1_11target_archE910ELNS1_3gpuE8ELNS1_3repE0EEENS1_30default_config_static_selectorELNS0_4arch9wavefront6targetE1EEEvSZ_,@function
_ZN7rocprim17ROCPRIM_400000_NS6detail17trampoline_kernelINS0_13select_configILj256ELj13ELNS0_17block_load_methodE3ELS4_3ELS4_3ELNS0_20block_scan_algorithmE0ELj4294967295EEENS1_25partition_config_selectorILNS1_17partition_subalgoE4EjNS0_10empty_typeEbEEZZNS1_14partition_implILS8_4ELb0ES6_15HIP_vector_typeIjLj2EENS0_17counting_iteratorIjlEEPS9_SG_NS0_5tupleIJPjSI_NS0_16reverse_iteratorISI_EEEEENSH_IJSG_SG_SG_EEES9_SI_JZNS1_25segmented_radix_sort_implINS0_14default_configELb1EPKlPlSQ_SR_N2at6native12_GLOBAL__N_18offset_tEEE10hipError_tPvRmT1_PNSt15iterator_traitsISZ_E10value_typeET2_T3_PNS10_IS15_E10value_typeET4_jRbjT5_S1B_jjP12ihipStream_tbEUljE_ZNSN_ISO_Lb1ESQ_SR_SQ_SR_SV_EESW_SX_SY_SZ_S13_S14_S15_S18_S19_jS1A_jS1B_S1B_jjS1D_bEUljE0_EEESW_SX_SY_S15_S19_S1B_T6_T7_T9_mT8_S1D_bDpT10_ENKUlT_T0_E_clISt17integral_constantIbLb1EES1Q_IbLb0EEEEDaS1M_S1N_EUlS1M_E_NS1_11comp_targetILNS1_3genE4ELNS1_11target_archE910ELNS1_3gpuE8ELNS1_3repE0EEENS1_30default_config_static_selectorELNS0_4arch9wavefront6targetE1EEEvSZ_: ; @_ZN7rocprim17ROCPRIM_400000_NS6detail17trampoline_kernelINS0_13select_configILj256ELj13ELNS0_17block_load_methodE3ELS4_3ELS4_3ELNS0_20block_scan_algorithmE0ELj4294967295EEENS1_25partition_config_selectorILNS1_17partition_subalgoE4EjNS0_10empty_typeEbEEZZNS1_14partition_implILS8_4ELb0ES6_15HIP_vector_typeIjLj2EENS0_17counting_iteratorIjlEEPS9_SG_NS0_5tupleIJPjSI_NS0_16reverse_iteratorISI_EEEEENSH_IJSG_SG_SG_EEES9_SI_JZNS1_25segmented_radix_sort_implINS0_14default_configELb1EPKlPlSQ_SR_N2at6native12_GLOBAL__N_18offset_tEEE10hipError_tPvRmT1_PNSt15iterator_traitsISZ_E10value_typeET2_T3_PNS10_IS15_E10value_typeET4_jRbjT5_S1B_jjP12ihipStream_tbEUljE_ZNSN_ISO_Lb1ESQ_SR_SQ_SR_SV_EESW_SX_SY_SZ_S13_S14_S15_S18_S19_jS1A_jS1B_S1B_jjS1D_bEUljE0_EEESW_SX_SY_S15_S19_S1B_T6_T7_T9_mT8_S1D_bDpT10_ENKUlT_T0_E_clISt17integral_constantIbLb1EES1Q_IbLb0EEEEDaS1M_S1N_EUlS1M_E_NS1_11comp_targetILNS1_3genE4ELNS1_11target_archE910ELNS1_3gpuE8ELNS1_3repE0EEENS1_30default_config_static_selectorELNS0_4arch9wavefront6targetE1EEEvSZ_
; %bb.0:
	.section	.rodata,"a",@progbits
	.p2align	6, 0x0
	.amdhsa_kernel _ZN7rocprim17ROCPRIM_400000_NS6detail17trampoline_kernelINS0_13select_configILj256ELj13ELNS0_17block_load_methodE3ELS4_3ELS4_3ELNS0_20block_scan_algorithmE0ELj4294967295EEENS1_25partition_config_selectorILNS1_17partition_subalgoE4EjNS0_10empty_typeEbEEZZNS1_14partition_implILS8_4ELb0ES6_15HIP_vector_typeIjLj2EENS0_17counting_iteratorIjlEEPS9_SG_NS0_5tupleIJPjSI_NS0_16reverse_iteratorISI_EEEEENSH_IJSG_SG_SG_EEES9_SI_JZNS1_25segmented_radix_sort_implINS0_14default_configELb1EPKlPlSQ_SR_N2at6native12_GLOBAL__N_18offset_tEEE10hipError_tPvRmT1_PNSt15iterator_traitsISZ_E10value_typeET2_T3_PNS10_IS15_E10value_typeET4_jRbjT5_S1B_jjP12ihipStream_tbEUljE_ZNSN_ISO_Lb1ESQ_SR_SQ_SR_SV_EESW_SX_SY_SZ_S13_S14_S15_S18_S19_jS1A_jS1B_S1B_jjS1D_bEUljE0_EEESW_SX_SY_S15_S19_S1B_T6_T7_T9_mT8_S1D_bDpT10_ENKUlT_T0_E_clISt17integral_constantIbLb1EES1Q_IbLb0EEEEDaS1M_S1N_EUlS1M_E_NS1_11comp_targetILNS1_3genE4ELNS1_11target_archE910ELNS1_3gpuE8ELNS1_3repE0EEENS1_30default_config_static_selectorELNS0_4arch9wavefront6targetE1EEEvSZ_
		.amdhsa_group_segment_fixed_size 0
		.amdhsa_private_segment_fixed_size 0
		.amdhsa_kernarg_size 176
		.amdhsa_user_sgpr_count 6
		.amdhsa_user_sgpr_private_segment_buffer 1
		.amdhsa_user_sgpr_dispatch_ptr 0
		.amdhsa_user_sgpr_queue_ptr 0
		.amdhsa_user_sgpr_kernarg_segment_ptr 1
		.amdhsa_user_sgpr_dispatch_id 0
		.amdhsa_user_sgpr_flat_scratch_init 0
		.amdhsa_user_sgpr_private_segment_size 0
		.amdhsa_uses_dynamic_stack 0
		.amdhsa_system_sgpr_private_segment_wavefront_offset 0
		.amdhsa_system_sgpr_workgroup_id_x 1
		.amdhsa_system_sgpr_workgroup_id_y 0
		.amdhsa_system_sgpr_workgroup_id_z 0
		.amdhsa_system_sgpr_workgroup_info 0
		.amdhsa_system_vgpr_workitem_id 0
		.amdhsa_next_free_vgpr 1
		.amdhsa_next_free_sgpr 0
		.amdhsa_reserve_vcc 0
		.amdhsa_reserve_flat_scratch 0
		.amdhsa_float_round_mode_32 0
		.amdhsa_float_round_mode_16_64 0
		.amdhsa_float_denorm_mode_32 3
		.amdhsa_float_denorm_mode_16_64 3
		.amdhsa_dx10_clamp 1
		.amdhsa_ieee_mode 1
		.amdhsa_fp16_overflow 0
		.amdhsa_exception_fp_ieee_invalid_op 0
		.amdhsa_exception_fp_denorm_src 0
		.amdhsa_exception_fp_ieee_div_zero 0
		.amdhsa_exception_fp_ieee_overflow 0
		.amdhsa_exception_fp_ieee_underflow 0
		.amdhsa_exception_fp_ieee_inexact 0
		.amdhsa_exception_int_div_zero 0
	.end_amdhsa_kernel
	.section	.text._ZN7rocprim17ROCPRIM_400000_NS6detail17trampoline_kernelINS0_13select_configILj256ELj13ELNS0_17block_load_methodE3ELS4_3ELS4_3ELNS0_20block_scan_algorithmE0ELj4294967295EEENS1_25partition_config_selectorILNS1_17partition_subalgoE4EjNS0_10empty_typeEbEEZZNS1_14partition_implILS8_4ELb0ES6_15HIP_vector_typeIjLj2EENS0_17counting_iteratorIjlEEPS9_SG_NS0_5tupleIJPjSI_NS0_16reverse_iteratorISI_EEEEENSH_IJSG_SG_SG_EEES9_SI_JZNS1_25segmented_radix_sort_implINS0_14default_configELb1EPKlPlSQ_SR_N2at6native12_GLOBAL__N_18offset_tEEE10hipError_tPvRmT1_PNSt15iterator_traitsISZ_E10value_typeET2_T3_PNS10_IS15_E10value_typeET4_jRbjT5_S1B_jjP12ihipStream_tbEUljE_ZNSN_ISO_Lb1ESQ_SR_SQ_SR_SV_EESW_SX_SY_SZ_S13_S14_S15_S18_S19_jS1A_jS1B_S1B_jjS1D_bEUljE0_EEESW_SX_SY_S15_S19_S1B_T6_T7_T9_mT8_S1D_bDpT10_ENKUlT_T0_E_clISt17integral_constantIbLb1EES1Q_IbLb0EEEEDaS1M_S1N_EUlS1M_E_NS1_11comp_targetILNS1_3genE4ELNS1_11target_archE910ELNS1_3gpuE8ELNS1_3repE0EEENS1_30default_config_static_selectorELNS0_4arch9wavefront6targetE1EEEvSZ_,"axG",@progbits,_ZN7rocprim17ROCPRIM_400000_NS6detail17trampoline_kernelINS0_13select_configILj256ELj13ELNS0_17block_load_methodE3ELS4_3ELS4_3ELNS0_20block_scan_algorithmE0ELj4294967295EEENS1_25partition_config_selectorILNS1_17partition_subalgoE4EjNS0_10empty_typeEbEEZZNS1_14partition_implILS8_4ELb0ES6_15HIP_vector_typeIjLj2EENS0_17counting_iteratorIjlEEPS9_SG_NS0_5tupleIJPjSI_NS0_16reverse_iteratorISI_EEEEENSH_IJSG_SG_SG_EEES9_SI_JZNS1_25segmented_radix_sort_implINS0_14default_configELb1EPKlPlSQ_SR_N2at6native12_GLOBAL__N_18offset_tEEE10hipError_tPvRmT1_PNSt15iterator_traitsISZ_E10value_typeET2_T3_PNS10_IS15_E10value_typeET4_jRbjT5_S1B_jjP12ihipStream_tbEUljE_ZNSN_ISO_Lb1ESQ_SR_SQ_SR_SV_EESW_SX_SY_SZ_S13_S14_S15_S18_S19_jS1A_jS1B_S1B_jjS1D_bEUljE0_EEESW_SX_SY_S15_S19_S1B_T6_T7_T9_mT8_S1D_bDpT10_ENKUlT_T0_E_clISt17integral_constantIbLb1EES1Q_IbLb0EEEEDaS1M_S1N_EUlS1M_E_NS1_11comp_targetILNS1_3genE4ELNS1_11target_archE910ELNS1_3gpuE8ELNS1_3repE0EEENS1_30default_config_static_selectorELNS0_4arch9wavefront6targetE1EEEvSZ_,comdat
.Lfunc_end658:
	.size	_ZN7rocprim17ROCPRIM_400000_NS6detail17trampoline_kernelINS0_13select_configILj256ELj13ELNS0_17block_load_methodE3ELS4_3ELS4_3ELNS0_20block_scan_algorithmE0ELj4294967295EEENS1_25partition_config_selectorILNS1_17partition_subalgoE4EjNS0_10empty_typeEbEEZZNS1_14partition_implILS8_4ELb0ES6_15HIP_vector_typeIjLj2EENS0_17counting_iteratorIjlEEPS9_SG_NS0_5tupleIJPjSI_NS0_16reverse_iteratorISI_EEEEENSH_IJSG_SG_SG_EEES9_SI_JZNS1_25segmented_radix_sort_implINS0_14default_configELb1EPKlPlSQ_SR_N2at6native12_GLOBAL__N_18offset_tEEE10hipError_tPvRmT1_PNSt15iterator_traitsISZ_E10value_typeET2_T3_PNS10_IS15_E10value_typeET4_jRbjT5_S1B_jjP12ihipStream_tbEUljE_ZNSN_ISO_Lb1ESQ_SR_SQ_SR_SV_EESW_SX_SY_SZ_S13_S14_S15_S18_S19_jS1A_jS1B_S1B_jjS1D_bEUljE0_EEESW_SX_SY_S15_S19_S1B_T6_T7_T9_mT8_S1D_bDpT10_ENKUlT_T0_E_clISt17integral_constantIbLb1EES1Q_IbLb0EEEEDaS1M_S1N_EUlS1M_E_NS1_11comp_targetILNS1_3genE4ELNS1_11target_archE910ELNS1_3gpuE8ELNS1_3repE0EEENS1_30default_config_static_selectorELNS0_4arch9wavefront6targetE1EEEvSZ_, .Lfunc_end658-_ZN7rocprim17ROCPRIM_400000_NS6detail17trampoline_kernelINS0_13select_configILj256ELj13ELNS0_17block_load_methodE3ELS4_3ELS4_3ELNS0_20block_scan_algorithmE0ELj4294967295EEENS1_25partition_config_selectorILNS1_17partition_subalgoE4EjNS0_10empty_typeEbEEZZNS1_14partition_implILS8_4ELb0ES6_15HIP_vector_typeIjLj2EENS0_17counting_iteratorIjlEEPS9_SG_NS0_5tupleIJPjSI_NS0_16reverse_iteratorISI_EEEEENSH_IJSG_SG_SG_EEES9_SI_JZNS1_25segmented_radix_sort_implINS0_14default_configELb1EPKlPlSQ_SR_N2at6native12_GLOBAL__N_18offset_tEEE10hipError_tPvRmT1_PNSt15iterator_traitsISZ_E10value_typeET2_T3_PNS10_IS15_E10value_typeET4_jRbjT5_S1B_jjP12ihipStream_tbEUljE_ZNSN_ISO_Lb1ESQ_SR_SQ_SR_SV_EESW_SX_SY_SZ_S13_S14_S15_S18_S19_jS1A_jS1B_S1B_jjS1D_bEUljE0_EEESW_SX_SY_S15_S19_S1B_T6_T7_T9_mT8_S1D_bDpT10_ENKUlT_T0_E_clISt17integral_constantIbLb1EES1Q_IbLb0EEEEDaS1M_S1N_EUlS1M_E_NS1_11comp_targetILNS1_3genE4ELNS1_11target_archE910ELNS1_3gpuE8ELNS1_3repE0EEENS1_30default_config_static_selectorELNS0_4arch9wavefront6targetE1EEEvSZ_
                                        ; -- End function
	.set _ZN7rocprim17ROCPRIM_400000_NS6detail17trampoline_kernelINS0_13select_configILj256ELj13ELNS0_17block_load_methodE3ELS4_3ELS4_3ELNS0_20block_scan_algorithmE0ELj4294967295EEENS1_25partition_config_selectorILNS1_17partition_subalgoE4EjNS0_10empty_typeEbEEZZNS1_14partition_implILS8_4ELb0ES6_15HIP_vector_typeIjLj2EENS0_17counting_iteratorIjlEEPS9_SG_NS0_5tupleIJPjSI_NS0_16reverse_iteratorISI_EEEEENSH_IJSG_SG_SG_EEES9_SI_JZNS1_25segmented_radix_sort_implINS0_14default_configELb1EPKlPlSQ_SR_N2at6native12_GLOBAL__N_18offset_tEEE10hipError_tPvRmT1_PNSt15iterator_traitsISZ_E10value_typeET2_T3_PNS10_IS15_E10value_typeET4_jRbjT5_S1B_jjP12ihipStream_tbEUljE_ZNSN_ISO_Lb1ESQ_SR_SQ_SR_SV_EESW_SX_SY_SZ_S13_S14_S15_S18_S19_jS1A_jS1B_S1B_jjS1D_bEUljE0_EEESW_SX_SY_S15_S19_S1B_T6_T7_T9_mT8_S1D_bDpT10_ENKUlT_T0_E_clISt17integral_constantIbLb1EES1Q_IbLb0EEEEDaS1M_S1N_EUlS1M_E_NS1_11comp_targetILNS1_3genE4ELNS1_11target_archE910ELNS1_3gpuE8ELNS1_3repE0EEENS1_30default_config_static_selectorELNS0_4arch9wavefront6targetE1EEEvSZ_.num_vgpr, 0
	.set _ZN7rocprim17ROCPRIM_400000_NS6detail17trampoline_kernelINS0_13select_configILj256ELj13ELNS0_17block_load_methodE3ELS4_3ELS4_3ELNS0_20block_scan_algorithmE0ELj4294967295EEENS1_25partition_config_selectorILNS1_17partition_subalgoE4EjNS0_10empty_typeEbEEZZNS1_14partition_implILS8_4ELb0ES6_15HIP_vector_typeIjLj2EENS0_17counting_iteratorIjlEEPS9_SG_NS0_5tupleIJPjSI_NS0_16reverse_iteratorISI_EEEEENSH_IJSG_SG_SG_EEES9_SI_JZNS1_25segmented_radix_sort_implINS0_14default_configELb1EPKlPlSQ_SR_N2at6native12_GLOBAL__N_18offset_tEEE10hipError_tPvRmT1_PNSt15iterator_traitsISZ_E10value_typeET2_T3_PNS10_IS15_E10value_typeET4_jRbjT5_S1B_jjP12ihipStream_tbEUljE_ZNSN_ISO_Lb1ESQ_SR_SQ_SR_SV_EESW_SX_SY_SZ_S13_S14_S15_S18_S19_jS1A_jS1B_S1B_jjS1D_bEUljE0_EEESW_SX_SY_S15_S19_S1B_T6_T7_T9_mT8_S1D_bDpT10_ENKUlT_T0_E_clISt17integral_constantIbLb1EES1Q_IbLb0EEEEDaS1M_S1N_EUlS1M_E_NS1_11comp_targetILNS1_3genE4ELNS1_11target_archE910ELNS1_3gpuE8ELNS1_3repE0EEENS1_30default_config_static_selectorELNS0_4arch9wavefront6targetE1EEEvSZ_.num_agpr, 0
	.set _ZN7rocprim17ROCPRIM_400000_NS6detail17trampoline_kernelINS0_13select_configILj256ELj13ELNS0_17block_load_methodE3ELS4_3ELS4_3ELNS0_20block_scan_algorithmE0ELj4294967295EEENS1_25partition_config_selectorILNS1_17partition_subalgoE4EjNS0_10empty_typeEbEEZZNS1_14partition_implILS8_4ELb0ES6_15HIP_vector_typeIjLj2EENS0_17counting_iteratorIjlEEPS9_SG_NS0_5tupleIJPjSI_NS0_16reverse_iteratorISI_EEEEENSH_IJSG_SG_SG_EEES9_SI_JZNS1_25segmented_radix_sort_implINS0_14default_configELb1EPKlPlSQ_SR_N2at6native12_GLOBAL__N_18offset_tEEE10hipError_tPvRmT1_PNSt15iterator_traitsISZ_E10value_typeET2_T3_PNS10_IS15_E10value_typeET4_jRbjT5_S1B_jjP12ihipStream_tbEUljE_ZNSN_ISO_Lb1ESQ_SR_SQ_SR_SV_EESW_SX_SY_SZ_S13_S14_S15_S18_S19_jS1A_jS1B_S1B_jjS1D_bEUljE0_EEESW_SX_SY_S15_S19_S1B_T6_T7_T9_mT8_S1D_bDpT10_ENKUlT_T0_E_clISt17integral_constantIbLb1EES1Q_IbLb0EEEEDaS1M_S1N_EUlS1M_E_NS1_11comp_targetILNS1_3genE4ELNS1_11target_archE910ELNS1_3gpuE8ELNS1_3repE0EEENS1_30default_config_static_selectorELNS0_4arch9wavefront6targetE1EEEvSZ_.numbered_sgpr, 0
	.set _ZN7rocprim17ROCPRIM_400000_NS6detail17trampoline_kernelINS0_13select_configILj256ELj13ELNS0_17block_load_methodE3ELS4_3ELS4_3ELNS0_20block_scan_algorithmE0ELj4294967295EEENS1_25partition_config_selectorILNS1_17partition_subalgoE4EjNS0_10empty_typeEbEEZZNS1_14partition_implILS8_4ELb0ES6_15HIP_vector_typeIjLj2EENS0_17counting_iteratorIjlEEPS9_SG_NS0_5tupleIJPjSI_NS0_16reverse_iteratorISI_EEEEENSH_IJSG_SG_SG_EEES9_SI_JZNS1_25segmented_radix_sort_implINS0_14default_configELb1EPKlPlSQ_SR_N2at6native12_GLOBAL__N_18offset_tEEE10hipError_tPvRmT1_PNSt15iterator_traitsISZ_E10value_typeET2_T3_PNS10_IS15_E10value_typeET4_jRbjT5_S1B_jjP12ihipStream_tbEUljE_ZNSN_ISO_Lb1ESQ_SR_SQ_SR_SV_EESW_SX_SY_SZ_S13_S14_S15_S18_S19_jS1A_jS1B_S1B_jjS1D_bEUljE0_EEESW_SX_SY_S15_S19_S1B_T6_T7_T9_mT8_S1D_bDpT10_ENKUlT_T0_E_clISt17integral_constantIbLb1EES1Q_IbLb0EEEEDaS1M_S1N_EUlS1M_E_NS1_11comp_targetILNS1_3genE4ELNS1_11target_archE910ELNS1_3gpuE8ELNS1_3repE0EEENS1_30default_config_static_selectorELNS0_4arch9wavefront6targetE1EEEvSZ_.num_named_barrier, 0
	.set _ZN7rocprim17ROCPRIM_400000_NS6detail17trampoline_kernelINS0_13select_configILj256ELj13ELNS0_17block_load_methodE3ELS4_3ELS4_3ELNS0_20block_scan_algorithmE0ELj4294967295EEENS1_25partition_config_selectorILNS1_17partition_subalgoE4EjNS0_10empty_typeEbEEZZNS1_14partition_implILS8_4ELb0ES6_15HIP_vector_typeIjLj2EENS0_17counting_iteratorIjlEEPS9_SG_NS0_5tupleIJPjSI_NS0_16reverse_iteratorISI_EEEEENSH_IJSG_SG_SG_EEES9_SI_JZNS1_25segmented_radix_sort_implINS0_14default_configELb1EPKlPlSQ_SR_N2at6native12_GLOBAL__N_18offset_tEEE10hipError_tPvRmT1_PNSt15iterator_traitsISZ_E10value_typeET2_T3_PNS10_IS15_E10value_typeET4_jRbjT5_S1B_jjP12ihipStream_tbEUljE_ZNSN_ISO_Lb1ESQ_SR_SQ_SR_SV_EESW_SX_SY_SZ_S13_S14_S15_S18_S19_jS1A_jS1B_S1B_jjS1D_bEUljE0_EEESW_SX_SY_S15_S19_S1B_T6_T7_T9_mT8_S1D_bDpT10_ENKUlT_T0_E_clISt17integral_constantIbLb1EES1Q_IbLb0EEEEDaS1M_S1N_EUlS1M_E_NS1_11comp_targetILNS1_3genE4ELNS1_11target_archE910ELNS1_3gpuE8ELNS1_3repE0EEENS1_30default_config_static_selectorELNS0_4arch9wavefront6targetE1EEEvSZ_.private_seg_size, 0
	.set _ZN7rocprim17ROCPRIM_400000_NS6detail17trampoline_kernelINS0_13select_configILj256ELj13ELNS0_17block_load_methodE3ELS4_3ELS4_3ELNS0_20block_scan_algorithmE0ELj4294967295EEENS1_25partition_config_selectorILNS1_17partition_subalgoE4EjNS0_10empty_typeEbEEZZNS1_14partition_implILS8_4ELb0ES6_15HIP_vector_typeIjLj2EENS0_17counting_iteratorIjlEEPS9_SG_NS0_5tupleIJPjSI_NS0_16reverse_iteratorISI_EEEEENSH_IJSG_SG_SG_EEES9_SI_JZNS1_25segmented_radix_sort_implINS0_14default_configELb1EPKlPlSQ_SR_N2at6native12_GLOBAL__N_18offset_tEEE10hipError_tPvRmT1_PNSt15iterator_traitsISZ_E10value_typeET2_T3_PNS10_IS15_E10value_typeET4_jRbjT5_S1B_jjP12ihipStream_tbEUljE_ZNSN_ISO_Lb1ESQ_SR_SQ_SR_SV_EESW_SX_SY_SZ_S13_S14_S15_S18_S19_jS1A_jS1B_S1B_jjS1D_bEUljE0_EEESW_SX_SY_S15_S19_S1B_T6_T7_T9_mT8_S1D_bDpT10_ENKUlT_T0_E_clISt17integral_constantIbLb1EES1Q_IbLb0EEEEDaS1M_S1N_EUlS1M_E_NS1_11comp_targetILNS1_3genE4ELNS1_11target_archE910ELNS1_3gpuE8ELNS1_3repE0EEENS1_30default_config_static_selectorELNS0_4arch9wavefront6targetE1EEEvSZ_.uses_vcc, 0
	.set _ZN7rocprim17ROCPRIM_400000_NS6detail17trampoline_kernelINS0_13select_configILj256ELj13ELNS0_17block_load_methodE3ELS4_3ELS4_3ELNS0_20block_scan_algorithmE0ELj4294967295EEENS1_25partition_config_selectorILNS1_17partition_subalgoE4EjNS0_10empty_typeEbEEZZNS1_14partition_implILS8_4ELb0ES6_15HIP_vector_typeIjLj2EENS0_17counting_iteratorIjlEEPS9_SG_NS0_5tupleIJPjSI_NS0_16reverse_iteratorISI_EEEEENSH_IJSG_SG_SG_EEES9_SI_JZNS1_25segmented_radix_sort_implINS0_14default_configELb1EPKlPlSQ_SR_N2at6native12_GLOBAL__N_18offset_tEEE10hipError_tPvRmT1_PNSt15iterator_traitsISZ_E10value_typeET2_T3_PNS10_IS15_E10value_typeET4_jRbjT5_S1B_jjP12ihipStream_tbEUljE_ZNSN_ISO_Lb1ESQ_SR_SQ_SR_SV_EESW_SX_SY_SZ_S13_S14_S15_S18_S19_jS1A_jS1B_S1B_jjS1D_bEUljE0_EEESW_SX_SY_S15_S19_S1B_T6_T7_T9_mT8_S1D_bDpT10_ENKUlT_T0_E_clISt17integral_constantIbLb1EES1Q_IbLb0EEEEDaS1M_S1N_EUlS1M_E_NS1_11comp_targetILNS1_3genE4ELNS1_11target_archE910ELNS1_3gpuE8ELNS1_3repE0EEENS1_30default_config_static_selectorELNS0_4arch9wavefront6targetE1EEEvSZ_.uses_flat_scratch, 0
	.set _ZN7rocprim17ROCPRIM_400000_NS6detail17trampoline_kernelINS0_13select_configILj256ELj13ELNS0_17block_load_methodE3ELS4_3ELS4_3ELNS0_20block_scan_algorithmE0ELj4294967295EEENS1_25partition_config_selectorILNS1_17partition_subalgoE4EjNS0_10empty_typeEbEEZZNS1_14partition_implILS8_4ELb0ES6_15HIP_vector_typeIjLj2EENS0_17counting_iteratorIjlEEPS9_SG_NS0_5tupleIJPjSI_NS0_16reverse_iteratorISI_EEEEENSH_IJSG_SG_SG_EEES9_SI_JZNS1_25segmented_radix_sort_implINS0_14default_configELb1EPKlPlSQ_SR_N2at6native12_GLOBAL__N_18offset_tEEE10hipError_tPvRmT1_PNSt15iterator_traitsISZ_E10value_typeET2_T3_PNS10_IS15_E10value_typeET4_jRbjT5_S1B_jjP12ihipStream_tbEUljE_ZNSN_ISO_Lb1ESQ_SR_SQ_SR_SV_EESW_SX_SY_SZ_S13_S14_S15_S18_S19_jS1A_jS1B_S1B_jjS1D_bEUljE0_EEESW_SX_SY_S15_S19_S1B_T6_T7_T9_mT8_S1D_bDpT10_ENKUlT_T0_E_clISt17integral_constantIbLb1EES1Q_IbLb0EEEEDaS1M_S1N_EUlS1M_E_NS1_11comp_targetILNS1_3genE4ELNS1_11target_archE910ELNS1_3gpuE8ELNS1_3repE0EEENS1_30default_config_static_selectorELNS0_4arch9wavefront6targetE1EEEvSZ_.has_dyn_sized_stack, 0
	.set _ZN7rocprim17ROCPRIM_400000_NS6detail17trampoline_kernelINS0_13select_configILj256ELj13ELNS0_17block_load_methodE3ELS4_3ELS4_3ELNS0_20block_scan_algorithmE0ELj4294967295EEENS1_25partition_config_selectorILNS1_17partition_subalgoE4EjNS0_10empty_typeEbEEZZNS1_14partition_implILS8_4ELb0ES6_15HIP_vector_typeIjLj2EENS0_17counting_iteratorIjlEEPS9_SG_NS0_5tupleIJPjSI_NS0_16reverse_iteratorISI_EEEEENSH_IJSG_SG_SG_EEES9_SI_JZNS1_25segmented_radix_sort_implINS0_14default_configELb1EPKlPlSQ_SR_N2at6native12_GLOBAL__N_18offset_tEEE10hipError_tPvRmT1_PNSt15iterator_traitsISZ_E10value_typeET2_T3_PNS10_IS15_E10value_typeET4_jRbjT5_S1B_jjP12ihipStream_tbEUljE_ZNSN_ISO_Lb1ESQ_SR_SQ_SR_SV_EESW_SX_SY_SZ_S13_S14_S15_S18_S19_jS1A_jS1B_S1B_jjS1D_bEUljE0_EEESW_SX_SY_S15_S19_S1B_T6_T7_T9_mT8_S1D_bDpT10_ENKUlT_T0_E_clISt17integral_constantIbLb1EES1Q_IbLb0EEEEDaS1M_S1N_EUlS1M_E_NS1_11comp_targetILNS1_3genE4ELNS1_11target_archE910ELNS1_3gpuE8ELNS1_3repE0EEENS1_30default_config_static_selectorELNS0_4arch9wavefront6targetE1EEEvSZ_.has_recursion, 0
	.set _ZN7rocprim17ROCPRIM_400000_NS6detail17trampoline_kernelINS0_13select_configILj256ELj13ELNS0_17block_load_methodE3ELS4_3ELS4_3ELNS0_20block_scan_algorithmE0ELj4294967295EEENS1_25partition_config_selectorILNS1_17partition_subalgoE4EjNS0_10empty_typeEbEEZZNS1_14partition_implILS8_4ELb0ES6_15HIP_vector_typeIjLj2EENS0_17counting_iteratorIjlEEPS9_SG_NS0_5tupleIJPjSI_NS0_16reverse_iteratorISI_EEEEENSH_IJSG_SG_SG_EEES9_SI_JZNS1_25segmented_radix_sort_implINS0_14default_configELb1EPKlPlSQ_SR_N2at6native12_GLOBAL__N_18offset_tEEE10hipError_tPvRmT1_PNSt15iterator_traitsISZ_E10value_typeET2_T3_PNS10_IS15_E10value_typeET4_jRbjT5_S1B_jjP12ihipStream_tbEUljE_ZNSN_ISO_Lb1ESQ_SR_SQ_SR_SV_EESW_SX_SY_SZ_S13_S14_S15_S18_S19_jS1A_jS1B_S1B_jjS1D_bEUljE0_EEESW_SX_SY_S15_S19_S1B_T6_T7_T9_mT8_S1D_bDpT10_ENKUlT_T0_E_clISt17integral_constantIbLb1EES1Q_IbLb0EEEEDaS1M_S1N_EUlS1M_E_NS1_11comp_targetILNS1_3genE4ELNS1_11target_archE910ELNS1_3gpuE8ELNS1_3repE0EEENS1_30default_config_static_selectorELNS0_4arch9wavefront6targetE1EEEvSZ_.has_indirect_call, 0
	.section	.AMDGPU.csdata,"",@progbits
; Kernel info:
; codeLenInByte = 0
; TotalNumSgprs: 4
; NumVgprs: 0
; ScratchSize: 0
; MemoryBound: 0
; FloatMode: 240
; IeeeMode: 1
; LDSByteSize: 0 bytes/workgroup (compile time only)
; SGPRBlocks: 0
; VGPRBlocks: 0
; NumSGPRsForWavesPerEU: 4
; NumVGPRsForWavesPerEU: 1
; Occupancy: 10
; WaveLimiterHint : 0
; COMPUTE_PGM_RSRC2:SCRATCH_EN: 0
; COMPUTE_PGM_RSRC2:USER_SGPR: 6
; COMPUTE_PGM_RSRC2:TRAP_HANDLER: 0
; COMPUTE_PGM_RSRC2:TGID_X_EN: 1
; COMPUTE_PGM_RSRC2:TGID_Y_EN: 0
; COMPUTE_PGM_RSRC2:TGID_Z_EN: 0
; COMPUTE_PGM_RSRC2:TIDIG_COMP_CNT: 0
	.section	.text._ZN7rocprim17ROCPRIM_400000_NS6detail17trampoline_kernelINS0_13select_configILj256ELj13ELNS0_17block_load_methodE3ELS4_3ELS4_3ELNS0_20block_scan_algorithmE0ELj4294967295EEENS1_25partition_config_selectorILNS1_17partition_subalgoE4EjNS0_10empty_typeEbEEZZNS1_14partition_implILS8_4ELb0ES6_15HIP_vector_typeIjLj2EENS0_17counting_iteratorIjlEEPS9_SG_NS0_5tupleIJPjSI_NS0_16reverse_iteratorISI_EEEEENSH_IJSG_SG_SG_EEES9_SI_JZNS1_25segmented_radix_sort_implINS0_14default_configELb1EPKlPlSQ_SR_N2at6native12_GLOBAL__N_18offset_tEEE10hipError_tPvRmT1_PNSt15iterator_traitsISZ_E10value_typeET2_T3_PNS10_IS15_E10value_typeET4_jRbjT5_S1B_jjP12ihipStream_tbEUljE_ZNSN_ISO_Lb1ESQ_SR_SQ_SR_SV_EESW_SX_SY_SZ_S13_S14_S15_S18_S19_jS1A_jS1B_S1B_jjS1D_bEUljE0_EEESW_SX_SY_S15_S19_S1B_T6_T7_T9_mT8_S1D_bDpT10_ENKUlT_T0_E_clISt17integral_constantIbLb1EES1Q_IbLb0EEEEDaS1M_S1N_EUlS1M_E_NS1_11comp_targetILNS1_3genE3ELNS1_11target_archE908ELNS1_3gpuE7ELNS1_3repE0EEENS1_30default_config_static_selectorELNS0_4arch9wavefront6targetE1EEEvSZ_,"axG",@progbits,_ZN7rocprim17ROCPRIM_400000_NS6detail17trampoline_kernelINS0_13select_configILj256ELj13ELNS0_17block_load_methodE3ELS4_3ELS4_3ELNS0_20block_scan_algorithmE0ELj4294967295EEENS1_25partition_config_selectorILNS1_17partition_subalgoE4EjNS0_10empty_typeEbEEZZNS1_14partition_implILS8_4ELb0ES6_15HIP_vector_typeIjLj2EENS0_17counting_iteratorIjlEEPS9_SG_NS0_5tupleIJPjSI_NS0_16reverse_iteratorISI_EEEEENSH_IJSG_SG_SG_EEES9_SI_JZNS1_25segmented_radix_sort_implINS0_14default_configELb1EPKlPlSQ_SR_N2at6native12_GLOBAL__N_18offset_tEEE10hipError_tPvRmT1_PNSt15iterator_traitsISZ_E10value_typeET2_T3_PNS10_IS15_E10value_typeET4_jRbjT5_S1B_jjP12ihipStream_tbEUljE_ZNSN_ISO_Lb1ESQ_SR_SQ_SR_SV_EESW_SX_SY_SZ_S13_S14_S15_S18_S19_jS1A_jS1B_S1B_jjS1D_bEUljE0_EEESW_SX_SY_S15_S19_S1B_T6_T7_T9_mT8_S1D_bDpT10_ENKUlT_T0_E_clISt17integral_constantIbLb1EES1Q_IbLb0EEEEDaS1M_S1N_EUlS1M_E_NS1_11comp_targetILNS1_3genE3ELNS1_11target_archE908ELNS1_3gpuE7ELNS1_3repE0EEENS1_30default_config_static_selectorELNS0_4arch9wavefront6targetE1EEEvSZ_,comdat
	.globl	_ZN7rocprim17ROCPRIM_400000_NS6detail17trampoline_kernelINS0_13select_configILj256ELj13ELNS0_17block_load_methodE3ELS4_3ELS4_3ELNS0_20block_scan_algorithmE0ELj4294967295EEENS1_25partition_config_selectorILNS1_17partition_subalgoE4EjNS0_10empty_typeEbEEZZNS1_14partition_implILS8_4ELb0ES6_15HIP_vector_typeIjLj2EENS0_17counting_iteratorIjlEEPS9_SG_NS0_5tupleIJPjSI_NS0_16reverse_iteratorISI_EEEEENSH_IJSG_SG_SG_EEES9_SI_JZNS1_25segmented_radix_sort_implINS0_14default_configELb1EPKlPlSQ_SR_N2at6native12_GLOBAL__N_18offset_tEEE10hipError_tPvRmT1_PNSt15iterator_traitsISZ_E10value_typeET2_T3_PNS10_IS15_E10value_typeET4_jRbjT5_S1B_jjP12ihipStream_tbEUljE_ZNSN_ISO_Lb1ESQ_SR_SQ_SR_SV_EESW_SX_SY_SZ_S13_S14_S15_S18_S19_jS1A_jS1B_S1B_jjS1D_bEUljE0_EEESW_SX_SY_S15_S19_S1B_T6_T7_T9_mT8_S1D_bDpT10_ENKUlT_T0_E_clISt17integral_constantIbLb1EES1Q_IbLb0EEEEDaS1M_S1N_EUlS1M_E_NS1_11comp_targetILNS1_3genE3ELNS1_11target_archE908ELNS1_3gpuE7ELNS1_3repE0EEENS1_30default_config_static_selectorELNS0_4arch9wavefront6targetE1EEEvSZ_ ; -- Begin function _ZN7rocprim17ROCPRIM_400000_NS6detail17trampoline_kernelINS0_13select_configILj256ELj13ELNS0_17block_load_methodE3ELS4_3ELS4_3ELNS0_20block_scan_algorithmE0ELj4294967295EEENS1_25partition_config_selectorILNS1_17partition_subalgoE4EjNS0_10empty_typeEbEEZZNS1_14partition_implILS8_4ELb0ES6_15HIP_vector_typeIjLj2EENS0_17counting_iteratorIjlEEPS9_SG_NS0_5tupleIJPjSI_NS0_16reverse_iteratorISI_EEEEENSH_IJSG_SG_SG_EEES9_SI_JZNS1_25segmented_radix_sort_implINS0_14default_configELb1EPKlPlSQ_SR_N2at6native12_GLOBAL__N_18offset_tEEE10hipError_tPvRmT1_PNSt15iterator_traitsISZ_E10value_typeET2_T3_PNS10_IS15_E10value_typeET4_jRbjT5_S1B_jjP12ihipStream_tbEUljE_ZNSN_ISO_Lb1ESQ_SR_SQ_SR_SV_EESW_SX_SY_SZ_S13_S14_S15_S18_S19_jS1A_jS1B_S1B_jjS1D_bEUljE0_EEESW_SX_SY_S15_S19_S1B_T6_T7_T9_mT8_S1D_bDpT10_ENKUlT_T0_E_clISt17integral_constantIbLb1EES1Q_IbLb0EEEEDaS1M_S1N_EUlS1M_E_NS1_11comp_targetILNS1_3genE3ELNS1_11target_archE908ELNS1_3gpuE7ELNS1_3repE0EEENS1_30default_config_static_selectorELNS0_4arch9wavefront6targetE1EEEvSZ_
	.p2align	8
	.type	_ZN7rocprim17ROCPRIM_400000_NS6detail17trampoline_kernelINS0_13select_configILj256ELj13ELNS0_17block_load_methodE3ELS4_3ELS4_3ELNS0_20block_scan_algorithmE0ELj4294967295EEENS1_25partition_config_selectorILNS1_17partition_subalgoE4EjNS0_10empty_typeEbEEZZNS1_14partition_implILS8_4ELb0ES6_15HIP_vector_typeIjLj2EENS0_17counting_iteratorIjlEEPS9_SG_NS0_5tupleIJPjSI_NS0_16reverse_iteratorISI_EEEEENSH_IJSG_SG_SG_EEES9_SI_JZNS1_25segmented_radix_sort_implINS0_14default_configELb1EPKlPlSQ_SR_N2at6native12_GLOBAL__N_18offset_tEEE10hipError_tPvRmT1_PNSt15iterator_traitsISZ_E10value_typeET2_T3_PNS10_IS15_E10value_typeET4_jRbjT5_S1B_jjP12ihipStream_tbEUljE_ZNSN_ISO_Lb1ESQ_SR_SQ_SR_SV_EESW_SX_SY_SZ_S13_S14_S15_S18_S19_jS1A_jS1B_S1B_jjS1D_bEUljE0_EEESW_SX_SY_S15_S19_S1B_T6_T7_T9_mT8_S1D_bDpT10_ENKUlT_T0_E_clISt17integral_constantIbLb1EES1Q_IbLb0EEEEDaS1M_S1N_EUlS1M_E_NS1_11comp_targetILNS1_3genE3ELNS1_11target_archE908ELNS1_3gpuE7ELNS1_3repE0EEENS1_30default_config_static_selectorELNS0_4arch9wavefront6targetE1EEEvSZ_,@function
_ZN7rocprim17ROCPRIM_400000_NS6detail17trampoline_kernelINS0_13select_configILj256ELj13ELNS0_17block_load_methodE3ELS4_3ELS4_3ELNS0_20block_scan_algorithmE0ELj4294967295EEENS1_25partition_config_selectorILNS1_17partition_subalgoE4EjNS0_10empty_typeEbEEZZNS1_14partition_implILS8_4ELb0ES6_15HIP_vector_typeIjLj2EENS0_17counting_iteratorIjlEEPS9_SG_NS0_5tupleIJPjSI_NS0_16reverse_iteratorISI_EEEEENSH_IJSG_SG_SG_EEES9_SI_JZNS1_25segmented_radix_sort_implINS0_14default_configELb1EPKlPlSQ_SR_N2at6native12_GLOBAL__N_18offset_tEEE10hipError_tPvRmT1_PNSt15iterator_traitsISZ_E10value_typeET2_T3_PNS10_IS15_E10value_typeET4_jRbjT5_S1B_jjP12ihipStream_tbEUljE_ZNSN_ISO_Lb1ESQ_SR_SQ_SR_SV_EESW_SX_SY_SZ_S13_S14_S15_S18_S19_jS1A_jS1B_S1B_jjS1D_bEUljE0_EEESW_SX_SY_S15_S19_S1B_T6_T7_T9_mT8_S1D_bDpT10_ENKUlT_T0_E_clISt17integral_constantIbLb1EES1Q_IbLb0EEEEDaS1M_S1N_EUlS1M_E_NS1_11comp_targetILNS1_3genE3ELNS1_11target_archE908ELNS1_3gpuE7ELNS1_3repE0EEENS1_30default_config_static_selectorELNS0_4arch9wavefront6targetE1EEEvSZ_: ; @_ZN7rocprim17ROCPRIM_400000_NS6detail17trampoline_kernelINS0_13select_configILj256ELj13ELNS0_17block_load_methodE3ELS4_3ELS4_3ELNS0_20block_scan_algorithmE0ELj4294967295EEENS1_25partition_config_selectorILNS1_17partition_subalgoE4EjNS0_10empty_typeEbEEZZNS1_14partition_implILS8_4ELb0ES6_15HIP_vector_typeIjLj2EENS0_17counting_iteratorIjlEEPS9_SG_NS0_5tupleIJPjSI_NS0_16reverse_iteratorISI_EEEEENSH_IJSG_SG_SG_EEES9_SI_JZNS1_25segmented_radix_sort_implINS0_14default_configELb1EPKlPlSQ_SR_N2at6native12_GLOBAL__N_18offset_tEEE10hipError_tPvRmT1_PNSt15iterator_traitsISZ_E10value_typeET2_T3_PNS10_IS15_E10value_typeET4_jRbjT5_S1B_jjP12ihipStream_tbEUljE_ZNSN_ISO_Lb1ESQ_SR_SQ_SR_SV_EESW_SX_SY_SZ_S13_S14_S15_S18_S19_jS1A_jS1B_S1B_jjS1D_bEUljE0_EEESW_SX_SY_S15_S19_S1B_T6_T7_T9_mT8_S1D_bDpT10_ENKUlT_T0_E_clISt17integral_constantIbLb1EES1Q_IbLb0EEEEDaS1M_S1N_EUlS1M_E_NS1_11comp_targetILNS1_3genE3ELNS1_11target_archE908ELNS1_3gpuE7ELNS1_3repE0EEENS1_30default_config_static_selectorELNS0_4arch9wavefront6targetE1EEEvSZ_
; %bb.0:
	.section	.rodata,"a",@progbits
	.p2align	6, 0x0
	.amdhsa_kernel _ZN7rocprim17ROCPRIM_400000_NS6detail17trampoline_kernelINS0_13select_configILj256ELj13ELNS0_17block_load_methodE3ELS4_3ELS4_3ELNS0_20block_scan_algorithmE0ELj4294967295EEENS1_25partition_config_selectorILNS1_17partition_subalgoE4EjNS0_10empty_typeEbEEZZNS1_14partition_implILS8_4ELb0ES6_15HIP_vector_typeIjLj2EENS0_17counting_iteratorIjlEEPS9_SG_NS0_5tupleIJPjSI_NS0_16reverse_iteratorISI_EEEEENSH_IJSG_SG_SG_EEES9_SI_JZNS1_25segmented_radix_sort_implINS0_14default_configELb1EPKlPlSQ_SR_N2at6native12_GLOBAL__N_18offset_tEEE10hipError_tPvRmT1_PNSt15iterator_traitsISZ_E10value_typeET2_T3_PNS10_IS15_E10value_typeET4_jRbjT5_S1B_jjP12ihipStream_tbEUljE_ZNSN_ISO_Lb1ESQ_SR_SQ_SR_SV_EESW_SX_SY_SZ_S13_S14_S15_S18_S19_jS1A_jS1B_S1B_jjS1D_bEUljE0_EEESW_SX_SY_S15_S19_S1B_T6_T7_T9_mT8_S1D_bDpT10_ENKUlT_T0_E_clISt17integral_constantIbLb1EES1Q_IbLb0EEEEDaS1M_S1N_EUlS1M_E_NS1_11comp_targetILNS1_3genE3ELNS1_11target_archE908ELNS1_3gpuE7ELNS1_3repE0EEENS1_30default_config_static_selectorELNS0_4arch9wavefront6targetE1EEEvSZ_
		.amdhsa_group_segment_fixed_size 0
		.amdhsa_private_segment_fixed_size 0
		.amdhsa_kernarg_size 176
		.amdhsa_user_sgpr_count 6
		.amdhsa_user_sgpr_private_segment_buffer 1
		.amdhsa_user_sgpr_dispatch_ptr 0
		.amdhsa_user_sgpr_queue_ptr 0
		.amdhsa_user_sgpr_kernarg_segment_ptr 1
		.amdhsa_user_sgpr_dispatch_id 0
		.amdhsa_user_sgpr_flat_scratch_init 0
		.amdhsa_user_sgpr_private_segment_size 0
		.amdhsa_uses_dynamic_stack 0
		.amdhsa_system_sgpr_private_segment_wavefront_offset 0
		.amdhsa_system_sgpr_workgroup_id_x 1
		.amdhsa_system_sgpr_workgroup_id_y 0
		.amdhsa_system_sgpr_workgroup_id_z 0
		.amdhsa_system_sgpr_workgroup_info 0
		.amdhsa_system_vgpr_workitem_id 0
		.amdhsa_next_free_vgpr 1
		.amdhsa_next_free_sgpr 0
		.amdhsa_reserve_vcc 0
		.amdhsa_reserve_flat_scratch 0
		.amdhsa_float_round_mode_32 0
		.amdhsa_float_round_mode_16_64 0
		.amdhsa_float_denorm_mode_32 3
		.amdhsa_float_denorm_mode_16_64 3
		.amdhsa_dx10_clamp 1
		.amdhsa_ieee_mode 1
		.amdhsa_fp16_overflow 0
		.amdhsa_exception_fp_ieee_invalid_op 0
		.amdhsa_exception_fp_denorm_src 0
		.amdhsa_exception_fp_ieee_div_zero 0
		.amdhsa_exception_fp_ieee_overflow 0
		.amdhsa_exception_fp_ieee_underflow 0
		.amdhsa_exception_fp_ieee_inexact 0
		.amdhsa_exception_int_div_zero 0
	.end_amdhsa_kernel
	.section	.text._ZN7rocprim17ROCPRIM_400000_NS6detail17trampoline_kernelINS0_13select_configILj256ELj13ELNS0_17block_load_methodE3ELS4_3ELS4_3ELNS0_20block_scan_algorithmE0ELj4294967295EEENS1_25partition_config_selectorILNS1_17partition_subalgoE4EjNS0_10empty_typeEbEEZZNS1_14partition_implILS8_4ELb0ES6_15HIP_vector_typeIjLj2EENS0_17counting_iteratorIjlEEPS9_SG_NS0_5tupleIJPjSI_NS0_16reverse_iteratorISI_EEEEENSH_IJSG_SG_SG_EEES9_SI_JZNS1_25segmented_radix_sort_implINS0_14default_configELb1EPKlPlSQ_SR_N2at6native12_GLOBAL__N_18offset_tEEE10hipError_tPvRmT1_PNSt15iterator_traitsISZ_E10value_typeET2_T3_PNS10_IS15_E10value_typeET4_jRbjT5_S1B_jjP12ihipStream_tbEUljE_ZNSN_ISO_Lb1ESQ_SR_SQ_SR_SV_EESW_SX_SY_SZ_S13_S14_S15_S18_S19_jS1A_jS1B_S1B_jjS1D_bEUljE0_EEESW_SX_SY_S15_S19_S1B_T6_T7_T9_mT8_S1D_bDpT10_ENKUlT_T0_E_clISt17integral_constantIbLb1EES1Q_IbLb0EEEEDaS1M_S1N_EUlS1M_E_NS1_11comp_targetILNS1_3genE3ELNS1_11target_archE908ELNS1_3gpuE7ELNS1_3repE0EEENS1_30default_config_static_selectorELNS0_4arch9wavefront6targetE1EEEvSZ_,"axG",@progbits,_ZN7rocprim17ROCPRIM_400000_NS6detail17trampoline_kernelINS0_13select_configILj256ELj13ELNS0_17block_load_methodE3ELS4_3ELS4_3ELNS0_20block_scan_algorithmE0ELj4294967295EEENS1_25partition_config_selectorILNS1_17partition_subalgoE4EjNS0_10empty_typeEbEEZZNS1_14partition_implILS8_4ELb0ES6_15HIP_vector_typeIjLj2EENS0_17counting_iteratorIjlEEPS9_SG_NS0_5tupleIJPjSI_NS0_16reverse_iteratorISI_EEEEENSH_IJSG_SG_SG_EEES9_SI_JZNS1_25segmented_radix_sort_implINS0_14default_configELb1EPKlPlSQ_SR_N2at6native12_GLOBAL__N_18offset_tEEE10hipError_tPvRmT1_PNSt15iterator_traitsISZ_E10value_typeET2_T3_PNS10_IS15_E10value_typeET4_jRbjT5_S1B_jjP12ihipStream_tbEUljE_ZNSN_ISO_Lb1ESQ_SR_SQ_SR_SV_EESW_SX_SY_SZ_S13_S14_S15_S18_S19_jS1A_jS1B_S1B_jjS1D_bEUljE0_EEESW_SX_SY_S15_S19_S1B_T6_T7_T9_mT8_S1D_bDpT10_ENKUlT_T0_E_clISt17integral_constantIbLb1EES1Q_IbLb0EEEEDaS1M_S1N_EUlS1M_E_NS1_11comp_targetILNS1_3genE3ELNS1_11target_archE908ELNS1_3gpuE7ELNS1_3repE0EEENS1_30default_config_static_selectorELNS0_4arch9wavefront6targetE1EEEvSZ_,comdat
.Lfunc_end659:
	.size	_ZN7rocprim17ROCPRIM_400000_NS6detail17trampoline_kernelINS0_13select_configILj256ELj13ELNS0_17block_load_methodE3ELS4_3ELS4_3ELNS0_20block_scan_algorithmE0ELj4294967295EEENS1_25partition_config_selectorILNS1_17partition_subalgoE4EjNS0_10empty_typeEbEEZZNS1_14partition_implILS8_4ELb0ES6_15HIP_vector_typeIjLj2EENS0_17counting_iteratorIjlEEPS9_SG_NS0_5tupleIJPjSI_NS0_16reverse_iteratorISI_EEEEENSH_IJSG_SG_SG_EEES9_SI_JZNS1_25segmented_radix_sort_implINS0_14default_configELb1EPKlPlSQ_SR_N2at6native12_GLOBAL__N_18offset_tEEE10hipError_tPvRmT1_PNSt15iterator_traitsISZ_E10value_typeET2_T3_PNS10_IS15_E10value_typeET4_jRbjT5_S1B_jjP12ihipStream_tbEUljE_ZNSN_ISO_Lb1ESQ_SR_SQ_SR_SV_EESW_SX_SY_SZ_S13_S14_S15_S18_S19_jS1A_jS1B_S1B_jjS1D_bEUljE0_EEESW_SX_SY_S15_S19_S1B_T6_T7_T9_mT8_S1D_bDpT10_ENKUlT_T0_E_clISt17integral_constantIbLb1EES1Q_IbLb0EEEEDaS1M_S1N_EUlS1M_E_NS1_11comp_targetILNS1_3genE3ELNS1_11target_archE908ELNS1_3gpuE7ELNS1_3repE0EEENS1_30default_config_static_selectorELNS0_4arch9wavefront6targetE1EEEvSZ_, .Lfunc_end659-_ZN7rocprim17ROCPRIM_400000_NS6detail17trampoline_kernelINS0_13select_configILj256ELj13ELNS0_17block_load_methodE3ELS4_3ELS4_3ELNS0_20block_scan_algorithmE0ELj4294967295EEENS1_25partition_config_selectorILNS1_17partition_subalgoE4EjNS0_10empty_typeEbEEZZNS1_14partition_implILS8_4ELb0ES6_15HIP_vector_typeIjLj2EENS0_17counting_iteratorIjlEEPS9_SG_NS0_5tupleIJPjSI_NS0_16reverse_iteratorISI_EEEEENSH_IJSG_SG_SG_EEES9_SI_JZNS1_25segmented_radix_sort_implINS0_14default_configELb1EPKlPlSQ_SR_N2at6native12_GLOBAL__N_18offset_tEEE10hipError_tPvRmT1_PNSt15iterator_traitsISZ_E10value_typeET2_T3_PNS10_IS15_E10value_typeET4_jRbjT5_S1B_jjP12ihipStream_tbEUljE_ZNSN_ISO_Lb1ESQ_SR_SQ_SR_SV_EESW_SX_SY_SZ_S13_S14_S15_S18_S19_jS1A_jS1B_S1B_jjS1D_bEUljE0_EEESW_SX_SY_S15_S19_S1B_T6_T7_T9_mT8_S1D_bDpT10_ENKUlT_T0_E_clISt17integral_constantIbLb1EES1Q_IbLb0EEEEDaS1M_S1N_EUlS1M_E_NS1_11comp_targetILNS1_3genE3ELNS1_11target_archE908ELNS1_3gpuE7ELNS1_3repE0EEENS1_30default_config_static_selectorELNS0_4arch9wavefront6targetE1EEEvSZ_
                                        ; -- End function
	.set _ZN7rocprim17ROCPRIM_400000_NS6detail17trampoline_kernelINS0_13select_configILj256ELj13ELNS0_17block_load_methodE3ELS4_3ELS4_3ELNS0_20block_scan_algorithmE0ELj4294967295EEENS1_25partition_config_selectorILNS1_17partition_subalgoE4EjNS0_10empty_typeEbEEZZNS1_14partition_implILS8_4ELb0ES6_15HIP_vector_typeIjLj2EENS0_17counting_iteratorIjlEEPS9_SG_NS0_5tupleIJPjSI_NS0_16reverse_iteratorISI_EEEEENSH_IJSG_SG_SG_EEES9_SI_JZNS1_25segmented_radix_sort_implINS0_14default_configELb1EPKlPlSQ_SR_N2at6native12_GLOBAL__N_18offset_tEEE10hipError_tPvRmT1_PNSt15iterator_traitsISZ_E10value_typeET2_T3_PNS10_IS15_E10value_typeET4_jRbjT5_S1B_jjP12ihipStream_tbEUljE_ZNSN_ISO_Lb1ESQ_SR_SQ_SR_SV_EESW_SX_SY_SZ_S13_S14_S15_S18_S19_jS1A_jS1B_S1B_jjS1D_bEUljE0_EEESW_SX_SY_S15_S19_S1B_T6_T7_T9_mT8_S1D_bDpT10_ENKUlT_T0_E_clISt17integral_constantIbLb1EES1Q_IbLb0EEEEDaS1M_S1N_EUlS1M_E_NS1_11comp_targetILNS1_3genE3ELNS1_11target_archE908ELNS1_3gpuE7ELNS1_3repE0EEENS1_30default_config_static_selectorELNS0_4arch9wavefront6targetE1EEEvSZ_.num_vgpr, 0
	.set _ZN7rocprim17ROCPRIM_400000_NS6detail17trampoline_kernelINS0_13select_configILj256ELj13ELNS0_17block_load_methodE3ELS4_3ELS4_3ELNS0_20block_scan_algorithmE0ELj4294967295EEENS1_25partition_config_selectorILNS1_17partition_subalgoE4EjNS0_10empty_typeEbEEZZNS1_14partition_implILS8_4ELb0ES6_15HIP_vector_typeIjLj2EENS0_17counting_iteratorIjlEEPS9_SG_NS0_5tupleIJPjSI_NS0_16reverse_iteratorISI_EEEEENSH_IJSG_SG_SG_EEES9_SI_JZNS1_25segmented_radix_sort_implINS0_14default_configELb1EPKlPlSQ_SR_N2at6native12_GLOBAL__N_18offset_tEEE10hipError_tPvRmT1_PNSt15iterator_traitsISZ_E10value_typeET2_T3_PNS10_IS15_E10value_typeET4_jRbjT5_S1B_jjP12ihipStream_tbEUljE_ZNSN_ISO_Lb1ESQ_SR_SQ_SR_SV_EESW_SX_SY_SZ_S13_S14_S15_S18_S19_jS1A_jS1B_S1B_jjS1D_bEUljE0_EEESW_SX_SY_S15_S19_S1B_T6_T7_T9_mT8_S1D_bDpT10_ENKUlT_T0_E_clISt17integral_constantIbLb1EES1Q_IbLb0EEEEDaS1M_S1N_EUlS1M_E_NS1_11comp_targetILNS1_3genE3ELNS1_11target_archE908ELNS1_3gpuE7ELNS1_3repE0EEENS1_30default_config_static_selectorELNS0_4arch9wavefront6targetE1EEEvSZ_.num_agpr, 0
	.set _ZN7rocprim17ROCPRIM_400000_NS6detail17trampoline_kernelINS0_13select_configILj256ELj13ELNS0_17block_load_methodE3ELS4_3ELS4_3ELNS0_20block_scan_algorithmE0ELj4294967295EEENS1_25partition_config_selectorILNS1_17partition_subalgoE4EjNS0_10empty_typeEbEEZZNS1_14partition_implILS8_4ELb0ES6_15HIP_vector_typeIjLj2EENS0_17counting_iteratorIjlEEPS9_SG_NS0_5tupleIJPjSI_NS0_16reverse_iteratorISI_EEEEENSH_IJSG_SG_SG_EEES9_SI_JZNS1_25segmented_radix_sort_implINS0_14default_configELb1EPKlPlSQ_SR_N2at6native12_GLOBAL__N_18offset_tEEE10hipError_tPvRmT1_PNSt15iterator_traitsISZ_E10value_typeET2_T3_PNS10_IS15_E10value_typeET4_jRbjT5_S1B_jjP12ihipStream_tbEUljE_ZNSN_ISO_Lb1ESQ_SR_SQ_SR_SV_EESW_SX_SY_SZ_S13_S14_S15_S18_S19_jS1A_jS1B_S1B_jjS1D_bEUljE0_EEESW_SX_SY_S15_S19_S1B_T6_T7_T9_mT8_S1D_bDpT10_ENKUlT_T0_E_clISt17integral_constantIbLb1EES1Q_IbLb0EEEEDaS1M_S1N_EUlS1M_E_NS1_11comp_targetILNS1_3genE3ELNS1_11target_archE908ELNS1_3gpuE7ELNS1_3repE0EEENS1_30default_config_static_selectorELNS0_4arch9wavefront6targetE1EEEvSZ_.numbered_sgpr, 0
	.set _ZN7rocprim17ROCPRIM_400000_NS6detail17trampoline_kernelINS0_13select_configILj256ELj13ELNS0_17block_load_methodE3ELS4_3ELS4_3ELNS0_20block_scan_algorithmE0ELj4294967295EEENS1_25partition_config_selectorILNS1_17partition_subalgoE4EjNS0_10empty_typeEbEEZZNS1_14partition_implILS8_4ELb0ES6_15HIP_vector_typeIjLj2EENS0_17counting_iteratorIjlEEPS9_SG_NS0_5tupleIJPjSI_NS0_16reverse_iteratorISI_EEEEENSH_IJSG_SG_SG_EEES9_SI_JZNS1_25segmented_radix_sort_implINS0_14default_configELb1EPKlPlSQ_SR_N2at6native12_GLOBAL__N_18offset_tEEE10hipError_tPvRmT1_PNSt15iterator_traitsISZ_E10value_typeET2_T3_PNS10_IS15_E10value_typeET4_jRbjT5_S1B_jjP12ihipStream_tbEUljE_ZNSN_ISO_Lb1ESQ_SR_SQ_SR_SV_EESW_SX_SY_SZ_S13_S14_S15_S18_S19_jS1A_jS1B_S1B_jjS1D_bEUljE0_EEESW_SX_SY_S15_S19_S1B_T6_T7_T9_mT8_S1D_bDpT10_ENKUlT_T0_E_clISt17integral_constantIbLb1EES1Q_IbLb0EEEEDaS1M_S1N_EUlS1M_E_NS1_11comp_targetILNS1_3genE3ELNS1_11target_archE908ELNS1_3gpuE7ELNS1_3repE0EEENS1_30default_config_static_selectorELNS0_4arch9wavefront6targetE1EEEvSZ_.num_named_barrier, 0
	.set _ZN7rocprim17ROCPRIM_400000_NS6detail17trampoline_kernelINS0_13select_configILj256ELj13ELNS0_17block_load_methodE3ELS4_3ELS4_3ELNS0_20block_scan_algorithmE0ELj4294967295EEENS1_25partition_config_selectorILNS1_17partition_subalgoE4EjNS0_10empty_typeEbEEZZNS1_14partition_implILS8_4ELb0ES6_15HIP_vector_typeIjLj2EENS0_17counting_iteratorIjlEEPS9_SG_NS0_5tupleIJPjSI_NS0_16reverse_iteratorISI_EEEEENSH_IJSG_SG_SG_EEES9_SI_JZNS1_25segmented_radix_sort_implINS0_14default_configELb1EPKlPlSQ_SR_N2at6native12_GLOBAL__N_18offset_tEEE10hipError_tPvRmT1_PNSt15iterator_traitsISZ_E10value_typeET2_T3_PNS10_IS15_E10value_typeET4_jRbjT5_S1B_jjP12ihipStream_tbEUljE_ZNSN_ISO_Lb1ESQ_SR_SQ_SR_SV_EESW_SX_SY_SZ_S13_S14_S15_S18_S19_jS1A_jS1B_S1B_jjS1D_bEUljE0_EEESW_SX_SY_S15_S19_S1B_T6_T7_T9_mT8_S1D_bDpT10_ENKUlT_T0_E_clISt17integral_constantIbLb1EES1Q_IbLb0EEEEDaS1M_S1N_EUlS1M_E_NS1_11comp_targetILNS1_3genE3ELNS1_11target_archE908ELNS1_3gpuE7ELNS1_3repE0EEENS1_30default_config_static_selectorELNS0_4arch9wavefront6targetE1EEEvSZ_.private_seg_size, 0
	.set _ZN7rocprim17ROCPRIM_400000_NS6detail17trampoline_kernelINS0_13select_configILj256ELj13ELNS0_17block_load_methodE3ELS4_3ELS4_3ELNS0_20block_scan_algorithmE0ELj4294967295EEENS1_25partition_config_selectorILNS1_17partition_subalgoE4EjNS0_10empty_typeEbEEZZNS1_14partition_implILS8_4ELb0ES6_15HIP_vector_typeIjLj2EENS0_17counting_iteratorIjlEEPS9_SG_NS0_5tupleIJPjSI_NS0_16reverse_iteratorISI_EEEEENSH_IJSG_SG_SG_EEES9_SI_JZNS1_25segmented_radix_sort_implINS0_14default_configELb1EPKlPlSQ_SR_N2at6native12_GLOBAL__N_18offset_tEEE10hipError_tPvRmT1_PNSt15iterator_traitsISZ_E10value_typeET2_T3_PNS10_IS15_E10value_typeET4_jRbjT5_S1B_jjP12ihipStream_tbEUljE_ZNSN_ISO_Lb1ESQ_SR_SQ_SR_SV_EESW_SX_SY_SZ_S13_S14_S15_S18_S19_jS1A_jS1B_S1B_jjS1D_bEUljE0_EEESW_SX_SY_S15_S19_S1B_T6_T7_T9_mT8_S1D_bDpT10_ENKUlT_T0_E_clISt17integral_constantIbLb1EES1Q_IbLb0EEEEDaS1M_S1N_EUlS1M_E_NS1_11comp_targetILNS1_3genE3ELNS1_11target_archE908ELNS1_3gpuE7ELNS1_3repE0EEENS1_30default_config_static_selectorELNS0_4arch9wavefront6targetE1EEEvSZ_.uses_vcc, 0
	.set _ZN7rocprim17ROCPRIM_400000_NS6detail17trampoline_kernelINS0_13select_configILj256ELj13ELNS0_17block_load_methodE3ELS4_3ELS4_3ELNS0_20block_scan_algorithmE0ELj4294967295EEENS1_25partition_config_selectorILNS1_17partition_subalgoE4EjNS0_10empty_typeEbEEZZNS1_14partition_implILS8_4ELb0ES6_15HIP_vector_typeIjLj2EENS0_17counting_iteratorIjlEEPS9_SG_NS0_5tupleIJPjSI_NS0_16reverse_iteratorISI_EEEEENSH_IJSG_SG_SG_EEES9_SI_JZNS1_25segmented_radix_sort_implINS0_14default_configELb1EPKlPlSQ_SR_N2at6native12_GLOBAL__N_18offset_tEEE10hipError_tPvRmT1_PNSt15iterator_traitsISZ_E10value_typeET2_T3_PNS10_IS15_E10value_typeET4_jRbjT5_S1B_jjP12ihipStream_tbEUljE_ZNSN_ISO_Lb1ESQ_SR_SQ_SR_SV_EESW_SX_SY_SZ_S13_S14_S15_S18_S19_jS1A_jS1B_S1B_jjS1D_bEUljE0_EEESW_SX_SY_S15_S19_S1B_T6_T7_T9_mT8_S1D_bDpT10_ENKUlT_T0_E_clISt17integral_constantIbLb1EES1Q_IbLb0EEEEDaS1M_S1N_EUlS1M_E_NS1_11comp_targetILNS1_3genE3ELNS1_11target_archE908ELNS1_3gpuE7ELNS1_3repE0EEENS1_30default_config_static_selectorELNS0_4arch9wavefront6targetE1EEEvSZ_.uses_flat_scratch, 0
	.set _ZN7rocprim17ROCPRIM_400000_NS6detail17trampoline_kernelINS0_13select_configILj256ELj13ELNS0_17block_load_methodE3ELS4_3ELS4_3ELNS0_20block_scan_algorithmE0ELj4294967295EEENS1_25partition_config_selectorILNS1_17partition_subalgoE4EjNS0_10empty_typeEbEEZZNS1_14partition_implILS8_4ELb0ES6_15HIP_vector_typeIjLj2EENS0_17counting_iteratorIjlEEPS9_SG_NS0_5tupleIJPjSI_NS0_16reverse_iteratorISI_EEEEENSH_IJSG_SG_SG_EEES9_SI_JZNS1_25segmented_radix_sort_implINS0_14default_configELb1EPKlPlSQ_SR_N2at6native12_GLOBAL__N_18offset_tEEE10hipError_tPvRmT1_PNSt15iterator_traitsISZ_E10value_typeET2_T3_PNS10_IS15_E10value_typeET4_jRbjT5_S1B_jjP12ihipStream_tbEUljE_ZNSN_ISO_Lb1ESQ_SR_SQ_SR_SV_EESW_SX_SY_SZ_S13_S14_S15_S18_S19_jS1A_jS1B_S1B_jjS1D_bEUljE0_EEESW_SX_SY_S15_S19_S1B_T6_T7_T9_mT8_S1D_bDpT10_ENKUlT_T0_E_clISt17integral_constantIbLb1EES1Q_IbLb0EEEEDaS1M_S1N_EUlS1M_E_NS1_11comp_targetILNS1_3genE3ELNS1_11target_archE908ELNS1_3gpuE7ELNS1_3repE0EEENS1_30default_config_static_selectorELNS0_4arch9wavefront6targetE1EEEvSZ_.has_dyn_sized_stack, 0
	.set _ZN7rocprim17ROCPRIM_400000_NS6detail17trampoline_kernelINS0_13select_configILj256ELj13ELNS0_17block_load_methodE3ELS4_3ELS4_3ELNS0_20block_scan_algorithmE0ELj4294967295EEENS1_25partition_config_selectorILNS1_17partition_subalgoE4EjNS0_10empty_typeEbEEZZNS1_14partition_implILS8_4ELb0ES6_15HIP_vector_typeIjLj2EENS0_17counting_iteratorIjlEEPS9_SG_NS0_5tupleIJPjSI_NS0_16reverse_iteratorISI_EEEEENSH_IJSG_SG_SG_EEES9_SI_JZNS1_25segmented_radix_sort_implINS0_14default_configELb1EPKlPlSQ_SR_N2at6native12_GLOBAL__N_18offset_tEEE10hipError_tPvRmT1_PNSt15iterator_traitsISZ_E10value_typeET2_T3_PNS10_IS15_E10value_typeET4_jRbjT5_S1B_jjP12ihipStream_tbEUljE_ZNSN_ISO_Lb1ESQ_SR_SQ_SR_SV_EESW_SX_SY_SZ_S13_S14_S15_S18_S19_jS1A_jS1B_S1B_jjS1D_bEUljE0_EEESW_SX_SY_S15_S19_S1B_T6_T7_T9_mT8_S1D_bDpT10_ENKUlT_T0_E_clISt17integral_constantIbLb1EES1Q_IbLb0EEEEDaS1M_S1N_EUlS1M_E_NS1_11comp_targetILNS1_3genE3ELNS1_11target_archE908ELNS1_3gpuE7ELNS1_3repE0EEENS1_30default_config_static_selectorELNS0_4arch9wavefront6targetE1EEEvSZ_.has_recursion, 0
	.set _ZN7rocprim17ROCPRIM_400000_NS6detail17trampoline_kernelINS0_13select_configILj256ELj13ELNS0_17block_load_methodE3ELS4_3ELS4_3ELNS0_20block_scan_algorithmE0ELj4294967295EEENS1_25partition_config_selectorILNS1_17partition_subalgoE4EjNS0_10empty_typeEbEEZZNS1_14partition_implILS8_4ELb0ES6_15HIP_vector_typeIjLj2EENS0_17counting_iteratorIjlEEPS9_SG_NS0_5tupleIJPjSI_NS0_16reverse_iteratorISI_EEEEENSH_IJSG_SG_SG_EEES9_SI_JZNS1_25segmented_radix_sort_implINS0_14default_configELb1EPKlPlSQ_SR_N2at6native12_GLOBAL__N_18offset_tEEE10hipError_tPvRmT1_PNSt15iterator_traitsISZ_E10value_typeET2_T3_PNS10_IS15_E10value_typeET4_jRbjT5_S1B_jjP12ihipStream_tbEUljE_ZNSN_ISO_Lb1ESQ_SR_SQ_SR_SV_EESW_SX_SY_SZ_S13_S14_S15_S18_S19_jS1A_jS1B_S1B_jjS1D_bEUljE0_EEESW_SX_SY_S15_S19_S1B_T6_T7_T9_mT8_S1D_bDpT10_ENKUlT_T0_E_clISt17integral_constantIbLb1EES1Q_IbLb0EEEEDaS1M_S1N_EUlS1M_E_NS1_11comp_targetILNS1_3genE3ELNS1_11target_archE908ELNS1_3gpuE7ELNS1_3repE0EEENS1_30default_config_static_selectorELNS0_4arch9wavefront6targetE1EEEvSZ_.has_indirect_call, 0
	.section	.AMDGPU.csdata,"",@progbits
; Kernel info:
; codeLenInByte = 0
; TotalNumSgprs: 4
; NumVgprs: 0
; ScratchSize: 0
; MemoryBound: 0
; FloatMode: 240
; IeeeMode: 1
; LDSByteSize: 0 bytes/workgroup (compile time only)
; SGPRBlocks: 0
; VGPRBlocks: 0
; NumSGPRsForWavesPerEU: 4
; NumVGPRsForWavesPerEU: 1
; Occupancy: 10
; WaveLimiterHint : 0
; COMPUTE_PGM_RSRC2:SCRATCH_EN: 0
; COMPUTE_PGM_RSRC2:USER_SGPR: 6
; COMPUTE_PGM_RSRC2:TRAP_HANDLER: 0
; COMPUTE_PGM_RSRC2:TGID_X_EN: 1
; COMPUTE_PGM_RSRC2:TGID_Y_EN: 0
; COMPUTE_PGM_RSRC2:TGID_Z_EN: 0
; COMPUTE_PGM_RSRC2:TIDIG_COMP_CNT: 0
	.section	.text._ZN7rocprim17ROCPRIM_400000_NS6detail17trampoline_kernelINS0_13select_configILj256ELj13ELNS0_17block_load_methodE3ELS4_3ELS4_3ELNS0_20block_scan_algorithmE0ELj4294967295EEENS1_25partition_config_selectorILNS1_17partition_subalgoE4EjNS0_10empty_typeEbEEZZNS1_14partition_implILS8_4ELb0ES6_15HIP_vector_typeIjLj2EENS0_17counting_iteratorIjlEEPS9_SG_NS0_5tupleIJPjSI_NS0_16reverse_iteratorISI_EEEEENSH_IJSG_SG_SG_EEES9_SI_JZNS1_25segmented_radix_sort_implINS0_14default_configELb1EPKlPlSQ_SR_N2at6native12_GLOBAL__N_18offset_tEEE10hipError_tPvRmT1_PNSt15iterator_traitsISZ_E10value_typeET2_T3_PNS10_IS15_E10value_typeET4_jRbjT5_S1B_jjP12ihipStream_tbEUljE_ZNSN_ISO_Lb1ESQ_SR_SQ_SR_SV_EESW_SX_SY_SZ_S13_S14_S15_S18_S19_jS1A_jS1B_S1B_jjS1D_bEUljE0_EEESW_SX_SY_S15_S19_S1B_T6_T7_T9_mT8_S1D_bDpT10_ENKUlT_T0_E_clISt17integral_constantIbLb1EES1Q_IbLb0EEEEDaS1M_S1N_EUlS1M_E_NS1_11comp_targetILNS1_3genE2ELNS1_11target_archE906ELNS1_3gpuE6ELNS1_3repE0EEENS1_30default_config_static_selectorELNS0_4arch9wavefront6targetE1EEEvSZ_,"axG",@progbits,_ZN7rocprim17ROCPRIM_400000_NS6detail17trampoline_kernelINS0_13select_configILj256ELj13ELNS0_17block_load_methodE3ELS4_3ELS4_3ELNS0_20block_scan_algorithmE0ELj4294967295EEENS1_25partition_config_selectorILNS1_17partition_subalgoE4EjNS0_10empty_typeEbEEZZNS1_14partition_implILS8_4ELb0ES6_15HIP_vector_typeIjLj2EENS0_17counting_iteratorIjlEEPS9_SG_NS0_5tupleIJPjSI_NS0_16reverse_iteratorISI_EEEEENSH_IJSG_SG_SG_EEES9_SI_JZNS1_25segmented_radix_sort_implINS0_14default_configELb1EPKlPlSQ_SR_N2at6native12_GLOBAL__N_18offset_tEEE10hipError_tPvRmT1_PNSt15iterator_traitsISZ_E10value_typeET2_T3_PNS10_IS15_E10value_typeET4_jRbjT5_S1B_jjP12ihipStream_tbEUljE_ZNSN_ISO_Lb1ESQ_SR_SQ_SR_SV_EESW_SX_SY_SZ_S13_S14_S15_S18_S19_jS1A_jS1B_S1B_jjS1D_bEUljE0_EEESW_SX_SY_S15_S19_S1B_T6_T7_T9_mT8_S1D_bDpT10_ENKUlT_T0_E_clISt17integral_constantIbLb1EES1Q_IbLb0EEEEDaS1M_S1N_EUlS1M_E_NS1_11comp_targetILNS1_3genE2ELNS1_11target_archE906ELNS1_3gpuE6ELNS1_3repE0EEENS1_30default_config_static_selectorELNS0_4arch9wavefront6targetE1EEEvSZ_,comdat
	.globl	_ZN7rocprim17ROCPRIM_400000_NS6detail17trampoline_kernelINS0_13select_configILj256ELj13ELNS0_17block_load_methodE3ELS4_3ELS4_3ELNS0_20block_scan_algorithmE0ELj4294967295EEENS1_25partition_config_selectorILNS1_17partition_subalgoE4EjNS0_10empty_typeEbEEZZNS1_14partition_implILS8_4ELb0ES6_15HIP_vector_typeIjLj2EENS0_17counting_iteratorIjlEEPS9_SG_NS0_5tupleIJPjSI_NS0_16reverse_iteratorISI_EEEEENSH_IJSG_SG_SG_EEES9_SI_JZNS1_25segmented_radix_sort_implINS0_14default_configELb1EPKlPlSQ_SR_N2at6native12_GLOBAL__N_18offset_tEEE10hipError_tPvRmT1_PNSt15iterator_traitsISZ_E10value_typeET2_T3_PNS10_IS15_E10value_typeET4_jRbjT5_S1B_jjP12ihipStream_tbEUljE_ZNSN_ISO_Lb1ESQ_SR_SQ_SR_SV_EESW_SX_SY_SZ_S13_S14_S15_S18_S19_jS1A_jS1B_S1B_jjS1D_bEUljE0_EEESW_SX_SY_S15_S19_S1B_T6_T7_T9_mT8_S1D_bDpT10_ENKUlT_T0_E_clISt17integral_constantIbLb1EES1Q_IbLb0EEEEDaS1M_S1N_EUlS1M_E_NS1_11comp_targetILNS1_3genE2ELNS1_11target_archE906ELNS1_3gpuE6ELNS1_3repE0EEENS1_30default_config_static_selectorELNS0_4arch9wavefront6targetE1EEEvSZ_ ; -- Begin function _ZN7rocprim17ROCPRIM_400000_NS6detail17trampoline_kernelINS0_13select_configILj256ELj13ELNS0_17block_load_methodE3ELS4_3ELS4_3ELNS0_20block_scan_algorithmE0ELj4294967295EEENS1_25partition_config_selectorILNS1_17partition_subalgoE4EjNS0_10empty_typeEbEEZZNS1_14partition_implILS8_4ELb0ES6_15HIP_vector_typeIjLj2EENS0_17counting_iteratorIjlEEPS9_SG_NS0_5tupleIJPjSI_NS0_16reverse_iteratorISI_EEEEENSH_IJSG_SG_SG_EEES9_SI_JZNS1_25segmented_radix_sort_implINS0_14default_configELb1EPKlPlSQ_SR_N2at6native12_GLOBAL__N_18offset_tEEE10hipError_tPvRmT1_PNSt15iterator_traitsISZ_E10value_typeET2_T3_PNS10_IS15_E10value_typeET4_jRbjT5_S1B_jjP12ihipStream_tbEUljE_ZNSN_ISO_Lb1ESQ_SR_SQ_SR_SV_EESW_SX_SY_SZ_S13_S14_S15_S18_S19_jS1A_jS1B_S1B_jjS1D_bEUljE0_EEESW_SX_SY_S15_S19_S1B_T6_T7_T9_mT8_S1D_bDpT10_ENKUlT_T0_E_clISt17integral_constantIbLb1EES1Q_IbLb0EEEEDaS1M_S1N_EUlS1M_E_NS1_11comp_targetILNS1_3genE2ELNS1_11target_archE906ELNS1_3gpuE6ELNS1_3repE0EEENS1_30default_config_static_selectorELNS0_4arch9wavefront6targetE1EEEvSZ_
	.p2align	8
	.type	_ZN7rocprim17ROCPRIM_400000_NS6detail17trampoline_kernelINS0_13select_configILj256ELj13ELNS0_17block_load_methodE3ELS4_3ELS4_3ELNS0_20block_scan_algorithmE0ELj4294967295EEENS1_25partition_config_selectorILNS1_17partition_subalgoE4EjNS0_10empty_typeEbEEZZNS1_14partition_implILS8_4ELb0ES6_15HIP_vector_typeIjLj2EENS0_17counting_iteratorIjlEEPS9_SG_NS0_5tupleIJPjSI_NS0_16reverse_iteratorISI_EEEEENSH_IJSG_SG_SG_EEES9_SI_JZNS1_25segmented_radix_sort_implINS0_14default_configELb1EPKlPlSQ_SR_N2at6native12_GLOBAL__N_18offset_tEEE10hipError_tPvRmT1_PNSt15iterator_traitsISZ_E10value_typeET2_T3_PNS10_IS15_E10value_typeET4_jRbjT5_S1B_jjP12ihipStream_tbEUljE_ZNSN_ISO_Lb1ESQ_SR_SQ_SR_SV_EESW_SX_SY_SZ_S13_S14_S15_S18_S19_jS1A_jS1B_S1B_jjS1D_bEUljE0_EEESW_SX_SY_S15_S19_S1B_T6_T7_T9_mT8_S1D_bDpT10_ENKUlT_T0_E_clISt17integral_constantIbLb1EES1Q_IbLb0EEEEDaS1M_S1N_EUlS1M_E_NS1_11comp_targetILNS1_3genE2ELNS1_11target_archE906ELNS1_3gpuE6ELNS1_3repE0EEENS1_30default_config_static_selectorELNS0_4arch9wavefront6targetE1EEEvSZ_,@function
_ZN7rocprim17ROCPRIM_400000_NS6detail17trampoline_kernelINS0_13select_configILj256ELj13ELNS0_17block_load_methodE3ELS4_3ELS4_3ELNS0_20block_scan_algorithmE0ELj4294967295EEENS1_25partition_config_selectorILNS1_17partition_subalgoE4EjNS0_10empty_typeEbEEZZNS1_14partition_implILS8_4ELb0ES6_15HIP_vector_typeIjLj2EENS0_17counting_iteratorIjlEEPS9_SG_NS0_5tupleIJPjSI_NS0_16reverse_iteratorISI_EEEEENSH_IJSG_SG_SG_EEES9_SI_JZNS1_25segmented_radix_sort_implINS0_14default_configELb1EPKlPlSQ_SR_N2at6native12_GLOBAL__N_18offset_tEEE10hipError_tPvRmT1_PNSt15iterator_traitsISZ_E10value_typeET2_T3_PNS10_IS15_E10value_typeET4_jRbjT5_S1B_jjP12ihipStream_tbEUljE_ZNSN_ISO_Lb1ESQ_SR_SQ_SR_SV_EESW_SX_SY_SZ_S13_S14_S15_S18_S19_jS1A_jS1B_S1B_jjS1D_bEUljE0_EEESW_SX_SY_S15_S19_S1B_T6_T7_T9_mT8_S1D_bDpT10_ENKUlT_T0_E_clISt17integral_constantIbLb1EES1Q_IbLb0EEEEDaS1M_S1N_EUlS1M_E_NS1_11comp_targetILNS1_3genE2ELNS1_11target_archE906ELNS1_3gpuE6ELNS1_3repE0EEENS1_30default_config_static_selectorELNS0_4arch9wavefront6targetE1EEEvSZ_: ; @_ZN7rocprim17ROCPRIM_400000_NS6detail17trampoline_kernelINS0_13select_configILj256ELj13ELNS0_17block_load_methodE3ELS4_3ELS4_3ELNS0_20block_scan_algorithmE0ELj4294967295EEENS1_25partition_config_selectorILNS1_17partition_subalgoE4EjNS0_10empty_typeEbEEZZNS1_14partition_implILS8_4ELb0ES6_15HIP_vector_typeIjLj2EENS0_17counting_iteratorIjlEEPS9_SG_NS0_5tupleIJPjSI_NS0_16reverse_iteratorISI_EEEEENSH_IJSG_SG_SG_EEES9_SI_JZNS1_25segmented_radix_sort_implINS0_14default_configELb1EPKlPlSQ_SR_N2at6native12_GLOBAL__N_18offset_tEEE10hipError_tPvRmT1_PNSt15iterator_traitsISZ_E10value_typeET2_T3_PNS10_IS15_E10value_typeET4_jRbjT5_S1B_jjP12ihipStream_tbEUljE_ZNSN_ISO_Lb1ESQ_SR_SQ_SR_SV_EESW_SX_SY_SZ_S13_S14_S15_S18_S19_jS1A_jS1B_S1B_jjS1D_bEUljE0_EEESW_SX_SY_S15_S19_S1B_T6_T7_T9_mT8_S1D_bDpT10_ENKUlT_T0_E_clISt17integral_constantIbLb1EES1Q_IbLb0EEEEDaS1M_S1N_EUlS1M_E_NS1_11comp_targetILNS1_3genE2ELNS1_11target_archE906ELNS1_3gpuE6ELNS1_3repE0EEENS1_30default_config_static_selectorELNS0_4arch9wavefront6targetE1EEEvSZ_
; %bb.0:
	s_endpgm
	.section	.rodata,"a",@progbits
	.p2align	6, 0x0
	.amdhsa_kernel _ZN7rocprim17ROCPRIM_400000_NS6detail17trampoline_kernelINS0_13select_configILj256ELj13ELNS0_17block_load_methodE3ELS4_3ELS4_3ELNS0_20block_scan_algorithmE0ELj4294967295EEENS1_25partition_config_selectorILNS1_17partition_subalgoE4EjNS0_10empty_typeEbEEZZNS1_14partition_implILS8_4ELb0ES6_15HIP_vector_typeIjLj2EENS0_17counting_iteratorIjlEEPS9_SG_NS0_5tupleIJPjSI_NS0_16reverse_iteratorISI_EEEEENSH_IJSG_SG_SG_EEES9_SI_JZNS1_25segmented_radix_sort_implINS0_14default_configELb1EPKlPlSQ_SR_N2at6native12_GLOBAL__N_18offset_tEEE10hipError_tPvRmT1_PNSt15iterator_traitsISZ_E10value_typeET2_T3_PNS10_IS15_E10value_typeET4_jRbjT5_S1B_jjP12ihipStream_tbEUljE_ZNSN_ISO_Lb1ESQ_SR_SQ_SR_SV_EESW_SX_SY_SZ_S13_S14_S15_S18_S19_jS1A_jS1B_S1B_jjS1D_bEUljE0_EEESW_SX_SY_S15_S19_S1B_T6_T7_T9_mT8_S1D_bDpT10_ENKUlT_T0_E_clISt17integral_constantIbLb1EES1Q_IbLb0EEEEDaS1M_S1N_EUlS1M_E_NS1_11comp_targetILNS1_3genE2ELNS1_11target_archE906ELNS1_3gpuE6ELNS1_3repE0EEENS1_30default_config_static_selectorELNS0_4arch9wavefront6targetE1EEEvSZ_
		.amdhsa_group_segment_fixed_size 0
		.amdhsa_private_segment_fixed_size 0
		.amdhsa_kernarg_size 176
		.amdhsa_user_sgpr_count 6
		.amdhsa_user_sgpr_private_segment_buffer 1
		.amdhsa_user_sgpr_dispatch_ptr 0
		.amdhsa_user_sgpr_queue_ptr 0
		.amdhsa_user_sgpr_kernarg_segment_ptr 1
		.amdhsa_user_sgpr_dispatch_id 0
		.amdhsa_user_sgpr_flat_scratch_init 0
		.amdhsa_user_sgpr_private_segment_size 0
		.amdhsa_uses_dynamic_stack 0
		.amdhsa_system_sgpr_private_segment_wavefront_offset 0
		.amdhsa_system_sgpr_workgroup_id_x 1
		.amdhsa_system_sgpr_workgroup_id_y 0
		.amdhsa_system_sgpr_workgroup_id_z 0
		.amdhsa_system_sgpr_workgroup_info 0
		.amdhsa_system_vgpr_workitem_id 0
		.amdhsa_next_free_vgpr 1
		.amdhsa_next_free_sgpr 0
		.amdhsa_reserve_vcc 0
		.amdhsa_reserve_flat_scratch 0
		.amdhsa_float_round_mode_32 0
		.amdhsa_float_round_mode_16_64 0
		.amdhsa_float_denorm_mode_32 3
		.amdhsa_float_denorm_mode_16_64 3
		.amdhsa_dx10_clamp 1
		.amdhsa_ieee_mode 1
		.amdhsa_fp16_overflow 0
		.amdhsa_exception_fp_ieee_invalid_op 0
		.amdhsa_exception_fp_denorm_src 0
		.amdhsa_exception_fp_ieee_div_zero 0
		.amdhsa_exception_fp_ieee_overflow 0
		.amdhsa_exception_fp_ieee_underflow 0
		.amdhsa_exception_fp_ieee_inexact 0
		.amdhsa_exception_int_div_zero 0
	.end_amdhsa_kernel
	.section	.text._ZN7rocprim17ROCPRIM_400000_NS6detail17trampoline_kernelINS0_13select_configILj256ELj13ELNS0_17block_load_methodE3ELS4_3ELS4_3ELNS0_20block_scan_algorithmE0ELj4294967295EEENS1_25partition_config_selectorILNS1_17partition_subalgoE4EjNS0_10empty_typeEbEEZZNS1_14partition_implILS8_4ELb0ES6_15HIP_vector_typeIjLj2EENS0_17counting_iteratorIjlEEPS9_SG_NS0_5tupleIJPjSI_NS0_16reverse_iteratorISI_EEEEENSH_IJSG_SG_SG_EEES9_SI_JZNS1_25segmented_radix_sort_implINS0_14default_configELb1EPKlPlSQ_SR_N2at6native12_GLOBAL__N_18offset_tEEE10hipError_tPvRmT1_PNSt15iterator_traitsISZ_E10value_typeET2_T3_PNS10_IS15_E10value_typeET4_jRbjT5_S1B_jjP12ihipStream_tbEUljE_ZNSN_ISO_Lb1ESQ_SR_SQ_SR_SV_EESW_SX_SY_SZ_S13_S14_S15_S18_S19_jS1A_jS1B_S1B_jjS1D_bEUljE0_EEESW_SX_SY_S15_S19_S1B_T6_T7_T9_mT8_S1D_bDpT10_ENKUlT_T0_E_clISt17integral_constantIbLb1EES1Q_IbLb0EEEEDaS1M_S1N_EUlS1M_E_NS1_11comp_targetILNS1_3genE2ELNS1_11target_archE906ELNS1_3gpuE6ELNS1_3repE0EEENS1_30default_config_static_selectorELNS0_4arch9wavefront6targetE1EEEvSZ_,"axG",@progbits,_ZN7rocprim17ROCPRIM_400000_NS6detail17trampoline_kernelINS0_13select_configILj256ELj13ELNS0_17block_load_methodE3ELS4_3ELS4_3ELNS0_20block_scan_algorithmE0ELj4294967295EEENS1_25partition_config_selectorILNS1_17partition_subalgoE4EjNS0_10empty_typeEbEEZZNS1_14partition_implILS8_4ELb0ES6_15HIP_vector_typeIjLj2EENS0_17counting_iteratorIjlEEPS9_SG_NS0_5tupleIJPjSI_NS0_16reverse_iteratorISI_EEEEENSH_IJSG_SG_SG_EEES9_SI_JZNS1_25segmented_radix_sort_implINS0_14default_configELb1EPKlPlSQ_SR_N2at6native12_GLOBAL__N_18offset_tEEE10hipError_tPvRmT1_PNSt15iterator_traitsISZ_E10value_typeET2_T3_PNS10_IS15_E10value_typeET4_jRbjT5_S1B_jjP12ihipStream_tbEUljE_ZNSN_ISO_Lb1ESQ_SR_SQ_SR_SV_EESW_SX_SY_SZ_S13_S14_S15_S18_S19_jS1A_jS1B_S1B_jjS1D_bEUljE0_EEESW_SX_SY_S15_S19_S1B_T6_T7_T9_mT8_S1D_bDpT10_ENKUlT_T0_E_clISt17integral_constantIbLb1EES1Q_IbLb0EEEEDaS1M_S1N_EUlS1M_E_NS1_11comp_targetILNS1_3genE2ELNS1_11target_archE906ELNS1_3gpuE6ELNS1_3repE0EEENS1_30default_config_static_selectorELNS0_4arch9wavefront6targetE1EEEvSZ_,comdat
.Lfunc_end660:
	.size	_ZN7rocprim17ROCPRIM_400000_NS6detail17trampoline_kernelINS0_13select_configILj256ELj13ELNS0_17block_load_methodE3ELS4_3ELS4_3ELNS0_20block_scan_algorithmE0ELj4294967295EEENS1_25partition_config_selectorILNS1_17partition_subalgoE4EjNS0_10empty_typeEbEEZZNS1_14partition_implILS8_4ELb0ES6_15HIP_vector_typeIjLj2EENS0_17counting_iteratorIjlEEPS9_SG_NS0_5tupleIJPjSI_NS0_16reverse_iteratorISI_EEEEENSH_IJSG_SG_SG_EEES9_SI_JZNS1_25segmented_radix_sort_implINS0_14default_configELb1EPKlPlSQ_SR_N2at6native12_GLOBAL__N_18offset_tEEE10hipError_tPvRmT1_PNSt15iterator_traitsISZ_E10value_typeET2_T3_PNS10_IS15_E10value_typeET4_jRbjT5_S1B_jjP12ihipStream_tbEUljE_ZNSN_ISO_Lb1ESQ_SR_SQ_SR_SV_EESW_SX_SY_SZ_S13_S14_S15_S18_S19_jS1A_jS1B_S1B_jjS1D_bEUljE0_EEESW_SX_SY_S15_S19_S1B_T6_T7_T9_mT8_S1D_bDpT10_ENKUlT_T0_E_clISt17integral_constantIbLb1EES1Q_IbLb0EEEEDaS1M_S1N_EUlS1M_E_NS1_11comp_targetILNS1_3genE2ELNS1_11target_archE906ELNS1_3gpuE6ELNS1_3repE0EEENS1_30default_config_static_selectorELNS0_4arch9wavefront6targetE1EEEvSZ_, .Lfunc_end660-_ZN7rocprim17ROCPRIM_400000_NS6detail17trampoline_kernelINS0_13select_configILj256ELj13ELNS0_17block_load_methodE3ELS4_3ELS4_3ELNS0_20block_scan_algorithmE0ELj4294967295EEENS1_25partition_config_selectorILNS1_17partition_subalgoE4EjNS0_10empty_typeEbEEZZNS1_14partition_implILS8_4ELb0ES6_15HIP_vector_typeIjLj2EENS0_17counting_iteratorIjlEEPS9_SG_NS0_5tupleIJPjSI_NS0_16reverse_iteratorISI_EEEEENSH_IJSG_SG_SG_EEES9_SI_JZNS1_25segmented_radix_sort_implINS0_14default_configELb1EPKlPlSQ_SR_N2at6native12_GLOBAL__N_18offset_tEEE10hipError_tPvRmT1_PNSt15iterator_traitsISZ_E10value_typeET2_T3_PNS10_IS15_E10value_typeET4_jRbjT5_S1B_jjP12ihipStream_tbEUljE_ZNSN_ISO_Lb1ESQ_SR_SQ_SR_SV_EESW_SX_SY_SZ_S13_S14_S15_S18_S19_jS1A_jS1B_S1B_jjS1D_bEUljE0_EEESW_SX_SY_S15_S19_S1B_T6_T7_T9_mT8_S1D_bDpT10_ENKUlT_T0_E_clISt17integral_constantIbLb1EES1Q_IbLb0EEEEDaS1M_S1N_EUlS1M_E_NS1_11comp_targetILNS1_3genE2ELNS1_11target_archE906ELNS1_3gpuE6ELNS1_3repE0EEENS1_30default_config_static_selectorELNS0_4arch9wavefront6targetE1EEEvSZ_
                                        ; -- End function
	.set _ZN7rocprim17ROCPRIM_400000_NS6detail17trampoline_kernelINS0_13select_configILj256ELj13ELNS0_17block_load_methodE3ELS4_3ELS4_3ELNS0_20block_scan_algorithmE0ELj4294967295EEENS1_25partition_config_selectorILNS1_17partition_subalgoE4EjNS0_10empty_typeEbEEZZNS1_14partition_implILS8_4ELb0ES6_15HIP_vector_typeIjLj2EENS0_17counting_iteratorIjlEEPS9_SG_NS0_5tupleIJPjSI_NS0_16reverse_iteratorISI_EEEEENSH_IJSG_SG_SG_EEES9_SI_JZNS1_25segmented_radix_sort_implINS0_14default_configELb1EPKlPlSQ_SR_N2at6native12_GLOBAL__N_18offset_tEEE10hipError_tPvRmT1_PNSt15iterator_traitsISZ_E10value_typeET2_T3_PNS10_IS15_E10value_typeET4_jRbjT5_S1B_jjP12ihipStream_tbEUljE_ZNSN_ISO_Lb1ESQ_SR_SQ_SR_SV_EESW_SX_SY_SZ_S13_S14_S15_S18_S19_jS1A_jS1B_S1B_jjS1D_bEUljE0_EEESW_SX_SY_S15_S19_S1B_T6_T7_T9_mT8_S1D_bDpT10_ENKUlT_T0_E_clISt17integral_constantIbLb1EES1Q_IbLb0EEEEDaS1M_S1N_EUlS1M_E_NS1_11comp_targetILNS1_3genE2ELNS1_11target_archE906ELNS1_3gpuE6ELNS1_3repE0EEENS1_30default_config_static_selectorELNS0_4arch9wavefront6targetE1EEEvSZ_.num_vgpr, 0
	.set _ZN7rocprim17ROCPRIM_400000_NS6detail17trampoline_kernelINS0_13select_configILj256ELj13ELNS0_17block_load_methodE3ELS4_3ELS4_3ELNS0_20block_scan_algorithmE0ELj4294967295EEENS1_25partition_config_selectorILNS1_17partition_subalgoE4EjNS0_10empty_typeEbEEZZNS1_14partition_implILS8_4ELb0ES6_15HIP_vector_typeIjLj2EENS0_17counting_iteratorIjlEEPS9_SG_NS0_5tupleIJPjSI_NS0_16reverse_iteratorISI_EEEEENSH_IJSG_SG_SG_EEES9_SI_JZNS1_25segmented_radix_sort_implINS0_14default_configELb1EPKlPlSQ_SR_N2at6native12_GLOBAL__N_18offset_tEEE10hipError_tPvRmT1_PNSt15iterator_traitsISZ_E10value_typeET2_T3_PNS10_IS15_E10value_typeET4_jRbjT5_S1B_jjP12ihipStream_tbEUljE_ZNSN_ISO_Lb1ESQ_SR_SQ_SR_SV_EESW_SX_SY_SZ_S13_S14_S15_S18_S19_jS1A_jS1B_S1B_jjS1D_bEUljE0_EEESW_SX_SY_S15_S19_S1B_T6_T7_T9_mT8_S1D_bDpT10_ENKUlT_T0_E_clISt17integral_constantIbLb1EES1Q_IbLb0EEEEDaS1M_S1N_EUlS1M_E_NS1_11comp_targetILNS1_3genE2ELNS1_11target_archE906ELNS1_3gpuE6ELNS1_3repE0EEENS1_30default_config_static_selectorELNS0_4arch9wavefront6targetE1EEEvSZ_.num_agpr, 0
	.set _ZN7rocprim17ROCPRIM_400000_NS6detail17trampoline_kernelINS0_13select_configILj256ELj13ELNS0_17block_load_methodE3ELS4_3ELS4_3ELNS0_20block_scan_algorithmE0ELj4294967295EEENS1_25partition_config_selectorILNS1_17partition_subalgoE4EjNS0_10empty_typeEbEEZZNS1_14partition_implILS8_4ELb0ES6_15HIP_vector_typeIjLj2EENS0_17counting_iteratorIjlEEPS9_SG_NS0_5tupleIJPjSI_NS0_16reverse_iteratorISI_EEEEENSH_IJSG_SG_SG_EEES9_SI_JZNS1_25segmented_radix_sort_implINS0_14default_configELb1EPKlPlSQ_SR_N2at6native12_GLOBAL__N_18offset_tEEE10hipError_tPvRmT1_PNSt15iterator_traitsISZ_E10value_typeET2_T3_PNS10_IS15_E10value_typeET4_jRbjT5_S1B_jjP12ihipStream_tbEUljE_ZNSN_ISO_Lb1ESQ_SR_SQ_SR_SV_EESW_SX_SY_SZ_S13_S14_S15_S18_S19_jS1A_jS1B_S1B_jjS1D_bEUljE0_EEESW_SX_SY_S15_S19_S1B_T6_T7_T9_mT8_S1D_bDpT10_ENKUlT_T0_E_clISt17integral_constantIbLb1EES1Q_IbLb0EEEEDaS1M_S1N_EUlS1M_E_NS1_11comp_targetILNS1_3genE2ELNS1_11target_archE906ELNS1_3gpuE6ELNS1_3repE0EEENS1_30default_config_static_selectorELNS0_4arch9wavefront6targetE1EEEvSZ_.numbered_sgpr, 0
	.set _ZN7rocprim17ROCPRIM_400000_NS6detail17trampoline_kernelINS0_13select_configILj256ELj13ELNS0_17block_load_methodE3ELS4_3ELS4_3ELNS0_20block_scan_algorithmE0ELj4294967295EEENS1_25partition_config_selectorILNS1_17partition_subalgoE4EjNS0_10empty_typeEbEEZZNS1_14partition_implILS8_4ELb0ES6_15HIP_vector_typeIjLj2EENS0_17counting_iteratorIjlEEPS9_SG_NS0_5tupleIJPjSI_NS0_16reverse_iteratorISI_EEEEENSH_IJSG_SG_SG_EEES9_SI_JZNS1_25segmented_radix_sort_implINS0_14default_configELb1EPKlPlSQ_SR_N2at6native12_GLOBAL__N_18offset_tEEE10hipError_tPvRmT1_PNSt15iterator_traitsISZ_E10value_typeET2_T3_PNS10_IS15_E10value_typeET4_jRbjT5_S1B_jjP12ihipStream_tbEUljE_ZNSN_ISO_Lb1ESQ_SR_SQ_SR_SV_EESW_SX_SY_SZ_S13_S14_S15_S18_S19_jS1A_jS1B_S1B_jjS1D_bEUljE0_EEESW_SX_SY_S15_S19_S1B_T6_T7_T9_mT8_S1D_bDpT10_ENKUlT_T0_E_clISt17integral_constantIbLb1EES1Q_IbLb0EEEEDaS1M_S1N_EUlS1M_E_NS1_11comp_targetILNS1_3genE2ELNS1_11target_archE906ELNS1_3gpuE6ELNS1_3repE0EEENS1_30default_config_static_selectorELNS0_4arch9wavefront6targetE1EEEvSZ_.num_named_barrier, 0
	.set _ZN7rocprim17ROCPRIM_400000_NS6detail17trampoline_kernelINS0_13select_configILj256ELj13ELNS0_17block_load_methodE3ELS4_3ELS4_3ELNS0_20block_scan_algorithmE0ELj4294967295EEENS1_25partition_config_selectorILNS1_17partition_subalgoE4EjNS0_10empty_typeEbEEZZNS1_14partition_implILS8_4ELb0ES6_15HIP_vector_typeIjLj2EENS0_17counting_iteratorIjlEEPS9_SG_NS0_5tupleIJPjSI_NS0_16reverse_iteratorISI_EEEEENSH_IJSG_SG_SG_EEES9_SI_JZNS1_25segmented_radix_sort_implINS0_14default_configELb1EPKlPlSQ_SR_N2at6native12_GLOBAL__N_18offset_tEEE10hipError_tPvRmT1_PNSt15iterator_traitsISZ_E10value_typeET2_T3_PNS10_IS15_E10value_typeET4_jRbjT5_S1B_jjP12ihipStream_tbEUljE_ZNSN_ISO_Lb1ESQ_SR_SQ_SR_SV_EESW_SX_SY_SZ_S13_S14_S15_S18_S19_jS1A_jS1B_S1B_jjS1D_bEUljE0_EEESW_SX_SY_S15_S19_S1B_T6_T7_T9_mT8_S1D_bDpT10_ENKUlT_T0_E_clISt17integral_constantIbLb1EES1Q_IbLb0EEEEDaS1M_S1N_EUlS1M_E_NS1_11comp_targetILNS1_3genE2ELNS1_11target_archE906ELNS1_3gpuE6ELNS1_3repE0EEENS1_30default_config_static_selectorELNS0_4arch9wavefront6targetE1EEEvSZ_.private_seg_size, 0
	.set _ZN7rocprim17ROCPRIM_400000_NS6detail17trampoline_kernelINS0_13select_configILj256ELj13ELNS0_17block_load_methodE3ELS4_3ELS4_3ELNS0_20block_scan_algorithmE0ELj4294967295EEENS1_25partition_config_selectorILNS1_17partition_subalgoE4EjNS0_10empty_typeEbEEZZNS1_14partition_implILS8_4ELb0ES6_15HIP_vector_typeIjLj2EENS0_17counting_iteratorIjlEEPS9_SG_NS0_5tupleIJPjSI_NS0_16reverse_iteratorISI_EEEEENSH_IJSG_SG_SG_EEES9_SI_JZNS1_25segmented_radix_sort_implINS0_14default_configELb1EPKlPlSQ_SR_N2at6native12_GLOBAL__N_18offset_tEEE10hipError_tPvRmT1_PNSt15iterator_traitsISZ_E10value_typeET2_T3_PNS10_IS15_E10value_typeET4_jRbjT5_S1B_jjP12ihipStream_tbEUljE_ZNSN_ISO_Lb1ESQ_SR_SQ_SR_SV_EESW_SX_SY_SZ_S13_S14_S15_S18_S19_jS1A_jS1B_S1B_jjS1D_bEUljE0_EEESW_SX_SY_S15_S19_S1B_T6_T7_T9_mT8_S1D_bDpT10_ENKUlT_T0_E_clISt17integral_constantIbLb1EES1Q_IbLb0EEEEDaS1M_S1N_EUlS1M_E_NS1_11comp_targetILNS1_3genE2ELNS1_11target_archE906ELNS1_3gpuE6ELNS1_3repE0EEENS1_30default_config_static_selectorELNS0_4arch9wavefront6targetE1EEEvSZ_.uses_vcc, 0
	.set _ZN7rocprim17ROCPRIM_400000_NS6detail17trampoline_kernelINS0_13select_configILj256ELj13ELNS0_17block_load_methodE3ELS4_3ELS4_3ELNS0_20block_scan_algorithmE0ELj4294967295EEENS1_25partition_config_selectorILNS1_17partition_subalgoE4EjNS0_10empty_typeEbEEZZNS1_14partition_implILS8_4ELb0ES6_15HIP_vector_typeIjLj2EENS0_17counting_iteratorIjlEEPS9_SG_NS0_5tupleIJPjSI_NS0_16reverse_iteratorISI_EEEEENSH_IJSG_SG_SG_EEES9_SI_JZNS1_25segmented_radix_sort_implINS0_14default_configELb1EPKlPlSQ_SR_N2at6native12_GLOBAL__N_18offset_tEEE10hipError_tPvRmT1_PNSt15iterator_traitsISZ_E10value_typeET2_T3_PNS10_IS15_E10value_typeET4_jRbjT5_S1B_jjP12ihipStream_tbEUljE_ZNSN_ISO_Lb1ESQ_SR_SQ_SR_SV_EESW_SX_SY_SZ_S13_S14_S15_S18_S19_jS1A_jS1B_S1B_jjS1D_bEUljE0_EEESW_SX_SY_S15_S19_S1B_T6_T7_T9_mT8_S1D_bDpT10_ENKUlT_T0_E_clISt17integral_constantIbLb1EES1Q_IbLb0EEEEDaS1M_S1N_EUlS1M_E_NS1_11comp_targetILNS1_3genE2ELNS1_11target_archE906ELNS1_3gpuE6ELNS1_3repE0EEENS1_30default_config_static_selectorELNS0_4arch9wavefront6targetE1EEEvSZ_.uses_flat_scratch, 0
	.set _ZN7rocprim17ROCPRIM_400000_NS6detail17trampoline_kernelINS0_13select_configILj256ELj13ELNS0_17block_load_methodE3ELS4_3ELS4_3ELNS0_20block_scan_algorithmE0ELj4294967295EEENS1_25partition_config_selectorILNS1_17partition_subalgoE4EjNS0_10empty_typeEbEEZZNS1_14partition_implILS8_4ELb0ES6_15HIP_vector_typeIjLj2EENS0_17counting_iteratorIjlEEPS9_SG_NS0_5tupleIJPjSI_NS0_16reverse_iteratorISI_EEEEENSH_IJSG_SG_SG_EEES9_SI_JZNS1_25segmented_radix_sort_implINS0_14default_configELb1EPKlPlSQ_SR_N2at6native12_GLOBAL__N_18offset_tEEE10hipError_tPvRmT1_PNSt15iterator_traitsISZ_E10value_typeET2_T3_PNS10_IS15_E10value_typeET4_jRbjT5_S1B_jjP12ihipStream_tbEUljE_ZNSN_ISO_Lb1ESQ_SR_SQ_SR_SV_EESW_SX_SY_SZ_S13_S14_S15_S18_S19_jS1A_jS1B_S1B_jjS1D_bEUljE0_EEESW_SX_SY_S15_S19_S1B_T6_T7_T9_mT8_S1D_bDpT10_ENKUlT_T0_E_clISt17integral_constantIbLb1EES1Q_IbLb0EEEEDaS1M_S1N_EUlS1M_E_NS1_11comp_targetILNS1_3genE2ELNS1_11target_archE906ELNS1_3gpuE6ELNS1_3repE0EEENS1_30default_config_static_selectorELNS0_4arch9wavefront6targetE1EEEvSZ_.has_dyn_sized_stack, 0
	.set _ZN7rocprim17ROCPRIM_400000_NS6detail17trampoline_kernelINS0_13select_configILj256ELj13ELNS0_17block_load_methodE3ELS4_3ELS4_3ELNS0_20block_scan_algorithmE0ELj4294967295EEENS1_25partition_config_selectorILNS1_17partition_subalgoE4EjNS0_10empty_typeEbEEZZNS1_14partition_implILS8_4ELb0ES6_15HIP_vector_typeIjLj2EENS0_17counting_iteratorIjlEEPS9_SG_NS0_5tupleIJPjSI_NS0_16reverse_iteratorISI_EEEEENSH_IJSG_SG_SG_EEES9_SI_JZNS1_25segmented_radix_sort_implINS0_14default_configELb1EPKlPlSQ_SR_N2at6native12_GLOBAL__N_18offset_tEEE10hipError_tPvRmT1_PNSt15iterator_traitsISZ_E10value_typeET2_T3_PNS10_IS15_E10value_typeET4_jRbjT5_S1B_jjP12ihipStream_tbEUljE_ZNSN_ISO_Lb1ESQ_SR_SQ_SR_SV_EESW_SX_SY_SZ_S13_S14_S15_S18_S19_jS1A_jS1B_S1B_jjS1D_bEUljE0_EEESW_SX_SY_S15_S19_S1B_T6_T7_T9_mT8_S1D_bDpT10_ENKUlT_T0_E_clISt17integral_constantIbLb1EES1Q_IbLb0EEEEDaS1M_S1N_EUlS1M_E_NS1_11comp_targetILNS1_3genE2ELNS1_11target_archE906ELNS1_3gpuE6ELNS1_3repE0EEENS1_30default_config_static_selectorELNS0_4arch9wavefront6targetE1EEEvSZ_.has_recursion, 0
	.set _ZN7rocprim17ROCPRIM_400000_NS6detail17trampoline_kernelINS0_13select_configILj256ELj13ELNS0_17block_load_methodE3ELS4_3ELS4_3ELNS0_20block_scan_algorithmE0ELj4294967295EEENS1_25partition_config_selectorILNS1_17partition_subalgoE4EjNS0_10empty_typeEbEEZZNS1_14partition_implILS8_4ELb0ES6_15HIP_vector_typeIjLj2EENS0_17counting_iteratorIjlEEPS9_SG_NS0_5tupleIJPjSI_NS0_16reverse_iteratorISI_EEEEENSH_IJSG_SG_SG_EEES9_SI_JZNS1_25segmented_radix_sort_implINS0_14default_configELb1EPKlPlSQ_SR_N2at6native12_GLOBAL__N_18offset_tEEE10hipError_tPvRmT1_PNSt15iterator_traitsISZ_E10value_typeET2_T3_PNS10_IS15_E10value_typeET4_jRbjT5_S1B_jjP12ihipStream_tbEUljE_ZNSN_ISO_Lb1ESQ_SR_SQ_SR_SV_EESW_SX_SY_SZ_S13_S14_S15_S18_S19_jS1A_jS1B_S1B_jjS1D_bEUljE0_EEESW_SX_SY_S15_S19_S1B_T6_T7_T9_mT8_S1D_bDpT10_ENKUlT_T0_E_clISt17integral_constantIbLb1EES1Q_IbLb0EEEEDaS1M_S1N_EUlS1M_E_NS1_11comp_targetILNS1_3genE2ELNS1_11target_archE906ELNS1_3gpuE6ELNS1_3repE0EEENS1_30default_config_static_selectorELNS0_4arch9wavefront6targetE1EEEvSZ_.has_indirect_call, 0
	.section	.AMDGPU.csdata,"",@progbits
; Kernel info:
; codeLenInByte = 4
; TotalNumSgprs: 4
; NumVgprs: 0
; ScratchSize: 0
; MemoryBound: 0
; FloatMode: 240
; IeeeMode: 1
; LDSByteSize: 0 bytes/workgroup (compile time only)
; SGPRBlocks: 0
; VGPRBlocks: 0
; NumSGPRsForWavesPerEU: 4
; NumVGPRsForWavesPerEU: 1
; Occupancy: 10
; WaveLimiterHint : 0
; COMPUTE_PGM_RSRC2:SCRATCH_EN: 0
; COMPUTE_PGM_RSRC2:USER_SGPR: 6
; COMPUTE_PGM_RSRC2:TRAP_HANDLER: 0
; COMPUTE_PGM_RSRC2:TGID_X_EN: 1
; COMPUTE_PGM_RSRC2:TGID_Y_EN: 0
; COMPUTE_PGM_RSRC2:TGID_Z_EN: 0
; COMPUTE_PGM_RSRC2:TIDIG_COMP_CNT: 0
	.section	.text._ZN7rocprim17ROCPRIM_400000_NS6detail17trampoline_kernelINS0_13select_configILj256ELj13ELNS0_17block_load_methodE3ELS4_3ELS4_3ELNS0_20block_scan_algorithmE0ELj4294967295EEENS1_25partition_config_selectorILNS1_17partition_subalgoE4EjNS0_10empty_typeEbEEZZNS1_14partition_implILS8_4ELb0ES6_15HIP_vector_typeIjLj2EENS0_17counting_iteratorIjlEEPS9_SG_NS0_5tupleIJPjSI_NS0_16reverse_iteratorISI_EEEEENSH_IJSG_SG_SG_EEES9_SI_JZNS1_25segmented_radix_sort_implINS0_14default_configELb1EPKlPlSQ_SR_N2at6native12_GLOBAL__N_18offset_tEEE10hipError_tPvRmT1_PNSt15iterator_traitsISZ_E10value_typeET2_T3_PNS10_IS15_E10value_typeET4_jRbjT5_S1B_jjP12ihipStream_tbEUljE_ZNSN_ISO_Lb1ESQ_SR_SQ_SR_SV_EESW_SX_SY_SZ_S13_S14_S15_S18_S19_jS1A_jS1B_S1B_jjS1D_bEUljE0_EEESW_SX_SY_S15_S19_S1B_T6_T7_T9_mT8_S1D_bDpT10_ENKUlT_T0_E_clISt17integral_constantIbLb1EES1Q_IbLb0EEEEDaS1M_S1N_EUlS1M_E_NS1_11comp_targetILNS1_3genE10ELNS1_11target_archE1200ELNS1_3gpuE4ELNS1_3repE0EEENS1_30default_config_static_selectorELNS0_4arch9wavefront6targetE1EEEvSZ_,"axG",@progbits,_ZN7rocprim17ROCPRIM_400000_NS6detail17trampoline_kernelINS0_13select_configILj256ELj13ELNS0_17block_load_methodE3ELS4_3ELS4_3ELNS0_20block_scan_algorithmE0ELj4294967295EEENS1_25partition_config_selectorILNS1_17partition_subalgoE4EjNS0_10empty_typeEbEEZZNS1_14partition_implILS8_4ELb0ES6_15HIP_vector_typeIjLj2EENS0_17counting_iteratorIjlEEPS9_SG_NS0_5tupleIJPjSI_NS0_16reverse_iteratorISI_EEEEENSH_IJSG_SG_SG_EEES9_SI_JZNS1_25segmented_radix_sort_implINS0_14default_configELb1EPKlPlSQ_SR_N2at6native12_GLOBAL__N_18offset_tEEE10hipError_tPvRmT1_PNSt15iterator_traitsISZ_E10value_typeET2_T3_PNS10_IS15_E10value_typeET4_jRbjT5_S1B_jjP12ihipStream_tbEUljE_ZNSN_ISO_Lb1ESQ_SR_SQ_SR_SV_EESW_SX_SY_SZ_S13_S14_S15_S18_S19_jS1A_jS1B_S1B_jjS1D_bEUljE0_EEESW_SX_SY_S15_S19_S1B_T6_T7_T9_mT8_S1D_bDpT10_ENKUlT_T0_E_clISt17integral_constantIbLb1EES1Q_IbLb0EEEEDaS1M_S1N_EUlS1M_E_NS1_11comp_targetILNS1_3genE10ELNS1_11target_archE1200ELNS1_3gpuE4ELNS1_3repE0EEENS1_30default_config_static_selectorELNS0_4arch9wavefront6targetE1EEEvSZ_,comdat
	.globl	_ZN7rocprim17ROCPRIM_400000_NS6detail17trampoline_kernelINS0_13select_configILj256ELj13ELNS0_17block_load_methodE3ELS4_3ELS4_3ELNS0_20block_scan_algorithmE0ELj4294967295EEENS1_25partition_config_selectorILNS1_17partition_subalgoE4EjNS0_10empty_typeEbEEZZNS1_14partition_implILS8_4ELb0ES6_15HIP_vector_typeIjLj2EENS0_17counting_iteratorIjlEEPS9_SG_NS0_5tupleIJPjSI_NS0_16reverse_iteratorISI_EEEEENSH_IJSG_SG_SG_EEES9_SI_JZNS1_25segmented_radix_sort_implINS0_14default_configELb1EPKlPlSQ_SR_N2at6native12_GLOBAL__N_18offset_tEEE10hipError_tPvRmT1_PNSt15iterator_traitsISZ_E10value_typeET2_T3_PNS10_IS15_E10value_typeET4_jRbjT5_S1B_jjP12ihipStream_tbEUljE_ZNSN_ISO_Lb1ESQ_SR_SQ_SR_SV_EESW_SX_SY_SZ_S13_S14_S15_S18_S19_jS1A_jS1B_S1B_jjS1D_bEUljE0_EEESW_SX_SY_S15_S19_S1B_T6_T7_T9_mT8_S1D_bDpT10_ENKUlT_T0_E_clISt17integral_constantIbLb1EES1Q_IbLb0EEEEDaS1M_S1N_EUlS1M_E_NS1_11comp_targetILNS1_3genE10ELNS1_11target_archE1200ELNS1_3gpuE4ELNS1_3repE0EEENS1_30default_config_static_selectorELNS0_4arch9wavefront6targetE1EEEvSZ_ ; -- Begin function _ZN7rocprim17ROCPRIM_400000_NS6detail17trampoline_kernelINS0_13select_configILj256ELj13ELNS0_17block_load_methodE3ELS4_3ELS4_3ELNS0_20block_scan_algorithmE0ELj4294967295EEENS1_25partition_config_selectorILNS1_17partition_subalgoE4EjNS0_10empty_typeEbEEZZNS1_14partition_implILS8_4ELb0ES6_15HIP_vector_typeIjLj2EENS0_17counting_iteratorIjlEEPS9_SG_NS0_5tupleIJPjSI_NS0_16reverse_iteratorISI_EEEEENSH_IJSG_SG_SG_EEES9_SI_JZNS1_25segmented_radix_sort_implINS0_14default_configELb1EPKlPlSQ_SR_N2at6native12_GLOBAL__N_18offset_tEEE10hipError_tPvRmT1_PNSt15iterator_traitsISZ_E10value_typeET2_T3_PNS10_IS15_E10value_typeET4_jRbjT5_S1B_jjP12ihipStream_tbEUljE_ZNSN_ISO_Lb1ESQ_SR_SQ_SR_SV_EESW_SX_SY_SZ_S13_S14_S15_S18_S19_jS1A_jS1B_S1B_jjS1D_bEUljE0_EEESW_SX_SY_S15_S19_S1B_T6_T7_T9_mT8_S1D_bDpT10_ENKUlT_T0_E_clISt17integral_constantIbLb1EES1Q_IbLb0EEEEDaS1M_S1N_EUlS1M_E_NS1_11comp_targetILNS1_3genE10ELNS1_11target_archE1200ELNS1_3gpuE4ELNS1_3repE0EEENS1_30default_config_static_selectorELNS0_4arch9wavefront6targetE1EEEvSZ_
	.p2align	8
	.type	_ZN7rocprim17ROCPRIM_400000_NS6detail17trampoline_kernelINS0_13select_configILj256ELj13ELNS0_17block_load_methodE3ELS4_3ELS4_3ELNS0_20block_scan_algorithmE0ELj4294967295EEENS1_25partition_config_selectorILNS1_17partition_subalgoE4EjNS0_10empty_typeEbEEZZNS1_14partition_implILS8_4ELb0ES6_15HIP_vector_typeIjLj2EENS0_17counting_iteratorIjlEEPS9_SG_NS0_5tupleIJPjSI_NS0_16reverse_iteratorISI_EEEEENSH_IJSG_SG_SG_EEES9_SI_JZNS1_25segmented_radix_sort_implINS0_14default_configELb1EPKlPlSQ_SR_N2at6native12_GLOBAL__N_18offset_tEEE10hipError_tPvRmT1_PNSt15iterator_traitsISZ_E10value_typeET2_T3_PNS10_IS15_E10value_typeET4_jRbjT5_S1B_jjP12ihipStream_tbEUljE_ZNSN_ISO_Lb1ESQ_SR_SQ_SR_SV_EESW_SX_SY_SZ_S13_S14_S15_S18_S19_jS1A_jS1B_S1B_jjS1D_bEUljE0_EEESW_SX_SY_S15_S19_S1B_T6_T7_T9_mT8_S1D_bDpT10_ENKUlT_T0_E_clISt17integral_constantIbLb1EES1Q_IbLb0EEEEDaS1M_S1N_EUlS1M_E_NS1_11comp_targetILNS1_3genE10ELNS1_11target_archE1200ELNS1_3gpuE4ELNS1_3repE0EEENS1_30default_config_static_selectorELNS0_4arch9wavefront6targetE1EEEvSZ_,@function
_ZN7rocprim17ROCPRIM_400000_NS6detail17trampoline_kernelINS0_13select_configILj256ELj13ELNS0_17block_load_methodE3ELS4_3ELS4_3ELNS0_20block_scan_algorithmE0ELj4294967295EEENS1_25partition_config_selectorILNS1_17partition_subalgoE4EjNS0_10empty_typeEbEEZZNS1_14partition_implILS8_4ELb0ES6_15HIP_vector_typeIjLj2EENS0_17counting_iteratorIjlEEPS9_SG_NS0_5tupleIJPjSI_NS0_16reverse_iteratorISI_EEEEENSH_IJSG_SG_SG_EEES9_SI_JZNS1_25segmented_radix_sort_implINS0_14default_configELb1EPKlPlSQ_SR_N2at6native12_GLOBAL__N_18offset_tEEE10hipError_tPvRmT1_PNSt15iterator_traitsISZ_E10value_typeET2_T3_PNS10_IS15_E10value_typeET4_jRbjT5_S1B_jjP12ihipStream_tbEUljE_ZNSN_ISO_Lb1ESQ_SR_SQ_SR_SV_EESW_SX_SY_SZ_S13_S14_S15_S18_S19_jS1A_jS1B_S1B_jjS1D_bEUljE0_EEESW_SX_SY_S15_S19_S1B_T6_T7_T9_mT8_S1D_bDpT10_ENKUlT_T0_E_clISt17integral_constantIbLb1EES1Q_IbLb0EEEEDaS1M_S1N_EUlS1M_E_NS1_11comp_targetILNS1_3genE10ELNS1_11target_archE1200ELNS1_3gpuE4ELNS1_3repE0EEENS1_30default_config_static_selectorELNS0_4arch9wavefront6targetE1EEEvSZ_: ; @_ZN7rocprim17ROCPRIM_400000_NS6detail17trampoline_kernelINS0_13select_configILj256ELj13ELNS0_17block_load_methodE3ELS4_3ELS4_3ELNS0_20block_scan_algorithmE0ELj4294967295EEENS1_25partition_config_selectorILNS1_17partition_subalgoE4EjNS0_10empty_typeEbEEZZNS1_14partition_implILS8_4ELb0ES6_15HIP_vector_typeIjLj2EENS0_17counting_iteratorIjlEEPS9_SG_NS0_5tupleIJPjSI_NS0_16reverse_iteratorISI_EEEEENSH_IJSG_SG_SG_EEES9_SI_JZNS1_25segmented_radix_sort_implINS0_14default_configELb1EPKlPlSQ_SR_N2at6native12_GLOBAL__N_18offset_tEEE10hipError_tPvRmT1_PNSt15iterator_traitsISZ_E10value_typeET2_T3_PNS10_IS15_E10value_typeET4_jRbjT5_S1B_jjP12ihipStream_tbEUljE_ZNSN_ISO_Lb1ESQ_SR_SQ_SR_SV_EESW_SX_SY_SZ_S13_S14_S15_S18_S19_jS1A_jS1B_S1B_jjS1D_bEUljE0_EEESW_SX_SY_S15_S19_S1B_T6_T7_T9_mT8_S1D_bDpT10_ENKUlT_T0_E_clISt17integral_constantIbLb1EES1Q_IbLb0EEEEDaS1M_S1N_EUlS1M_E_NS1_11comp_targetILNS1_3genE10ELNS1_11target_archE1200ELNS1_3gpuE4ELNS1_3repE0EEENS1_30default_config_static_selectorELNS0_4arch9wavefront6targetE1EEEvSZ_
; %bb.0:
	.section	.rodata,"a",@progbits
	.p2align	6, 0x0
	.amdhsa_kernel _ZN7rocprim17ROCPRIM_400000_NS6detail17trampoline_kernelINS0_13select_configILj256ELj13ELNS0_17block_load_methodE3ELS4_3ELS4_3ELNS0_20block_scan_algorithmE0ELj4294967295EEENS1_25partition_config_selectorILNS1_17partition_subalgoE4EjNS0_10empty_typeEbEEZZNS1_14partition_implILS8_4ELb0ES6_15HIP_vector_typeIjLj2EENS0_17counting_iteratorIjlEEPS9_SG_NS0_5tupleIJPjSI_NS0_16reverse_iteratorISI_EEEEENSH_IJSG_SG_SG_EEES9_SI_JZNS1_25segmented_radix_sort_implINS0_14default_configELb1EPKlPlSQ_SR_N2at6native12_GLOBAL__N_18offset_tEEE10hipError_tPvRmT1_PNSt15iterator_traitsISZ_E10value_typeET2_T3_PNS10_IS15_E10value_typeET4_jRbjT5_S1B_jjP12ihipStream_tbEUljE_ZNSN_ISO_Lb1ESQ_SR_SQ_SR_SV_EESW_SX_SY_SZ_S13_S14_S15_S18_S19_jS1A_jS1B_S1B_jjS1D_bEUljE0_EEESW_SX_SY_S15_S19_S1B_T6_T7_T9_mT8_S1D_bDpT10_ENKUlT_T0_E_clISt17integral_constantIbLb1EES1Q_IbLb0EEEEDaS1M_S1N_EUlS1M_E_NS1_11comp_targetILNS1_3genE10ELNS1_11target_archE1200ELNS1_3gpuE4ELNS1_3repE0EEENS1_30default_config_static_selectorELNS0_4arch9wavefront6targetE1EEEvSZ_
		.amdhsa_group_segment_fixed_size 0
		.amdhsa_private_segment_fixed_size 0
		.amdhsa_kernarg_size 176
		.amdhsa_user_sgpr_count 6
		.amdhsa_user_sgpr_private_segment_buffer 1
		.amdhsa_user_sgpr_dispatch_ptr 0
		.amdhsa_user_sgpr_queue_ptr 0
		.amdhsa_user_sgpr_kernarg_segment_ptr 1
		.amdhsa_user_sgpr_dispatch_id 0
		.amdhsa_user_sgpr_flat_scratch_init 0
		.amdhsa_user_sgpr_private_segment_size 0
		.amdhsa_uses_dynamic_stack 0
		.amdhsa_system_sgpr_private_segment_wavefront_offset 0
		.amdhsa_system_sgpr_workgroup_id_x 1
		.amdhsa_system_sgpr_workgroup_id_y 0
		.amdhsa_system_sgpr_workgroup_id_z 0
		.amdhsa_system_sgpr_workgroup_info 0
		.amdhsa_system_vgpr_workitem_id 0
		.amdhsa_next_free_vgpr 1
		.amdhsa_next_free_sgpr 0
		.amdhsa_reserve_vcc 0
		.amdhsa_reserve_flat_scratch 0
		.amdhsa_float_round_mode_32 0
		.amdhsa_float_round_mode_16_64 0
		.amdhsa_float_denorm_mode_32 3
		.amdhsa_float_denorm_mode_16_64 3
		.amdhsa_dx10_clamp 1
		.amdhsa_ieee_mode 1
		.amdhsa_fp16_overflow 0
		.amdhsa_exception_fp_ieee_invalid_op 0
		.amdhsa_exception_fp_denorm_src 0
		.amdhsa_exception_fp_ieee_div_zero 0
		.amdhsa_exception_fp_ieee_overflow 0
		.amdhsa_exception_fp_ieee_underflow 0
		.amdhsa_exception_fp_ieee_inexact 0
		.amdhsa_exception_int_div_zero 0
	.end_amdhsa_kernel
	.section	.text._ZN7rocprim17ROCPRIM_400000_NS6detail17trampoline_kernelINS0_13select_configILj256ELj13ELNS0_17block_load_methodE3ELS4_3ELS4_3ELNS0_20block_scan_algorithmE0ELj4294967295EEENS1_25partition_config_selectorILNS1_17partition_subalgoE4EjNS0_10empty_typeEbEEZZNS1_14partition_implILS8_4ELb0ES6_15HIP_vector_typeIjLj2EENS0_17counting_iteratorIjlEEPS9_SG_NS0_5tupleIJPjSI_NS0_16reverse_iteratorISI_EEEEENSH_IJSG_SG_SG_EEES9_SI_JZNS1_25segmented_radix_sort_implINS0_14default_configELb1EPKlPlSQ_SR_N2at6native12_GLOBAL__N_18offset_tEEE10hipError_tPvRmT1_PNSt15iterator_traitsISZ_E10value_typeET2_T3_PNS10_IS15_E10value_typeET4_jRbjT5_S1B_jjP12ihipStream_tbEUljE_ZNSN_ISO_Lb1ESQ_SR_SQ_SR_SV_EESW_SX_SY_SZ_S13_S14_S15_S18_S19_jS1A_jS1B_S1B_jjS1D_bEUljE0_EEESW_SX_SY_S15_S19_S1B_T6_T7_T9_mT8_S1D_bDpT10_ENKUlT_T0_E_clISt17integral_constantIbLb1EES1Q_IbLb0EEEEDaS1M_S1N_EUlS1M_E_NS1_11comp_targetILNS1_3genE10ELNS1_11target_archE1200ELNS1_3gpuE4ELNS1_3repE0EEENS1_30default_config_static_selectorELNS0_4arch9wavefront6targetE1EEEvSZ_,"axG",@progbits,_ZN7rocprim17ROCPRIM_400000_NS6detail17trampoline_kernelINS0_13select_configILj256ELj13ELNS0_17block_load_methodE3ELS4_3ELS4_3ELNS0_20block_scan_algorithmE0ELj4294967295EEENS1_25partition_config_selectorILNS1_17partition_subalgoE4EjNS0_10empty_typeEbEEZZNS1_14partition_implILS8_4ELb0ES6_15HIP_vector_typeIjLj2EENS0_17counting_iteratorIjlEEPS9_SG_NS0_5tupleIJPjSI_NS0_16reverse_iteratorISI_EEEEENSH_IJSG_SG_SG_EEES9_SI_JZNS1_25segmented_radix_sort_implINS0_14default_configELb1EPKlPlSQ_SR_N2at6native12_GLOBAL__N_18offset_tEEE10hipError_tPvRmT1_PNSt15iterator_traitsISZ_E10value_typeET2_T3_PNS10_IS15_E10value_typeET4_jRbjT5_S1B_jjP12ihipStream_tbEUljE_ZNSN_ISO_Lb1ESQ_SR_SQ_SR_SV_EESW_SX_SY_SZ_S13_S14_S15_S18_S19_jS1A_jS1B_S1B_jjS1D_bEUljE0_EEESW_SX_SY_S15_S19_S1B_T6_T7_T9_mT8_S1D_bDpT10_ENKUlT_T0_E_clISt17integral_constantIbLb1EES1Q_IbLb0EEEEDaS1M_S1N_EUlS1M_E_NS1_11comp_targetILNS1_3genE10ELNS1_11target_archE1200ELNS1_3gpuE4ELNS1_3repE0EEENS1_30default_config_static_selectorELNS0_4arch9wavefront6targetE1EEEvSZ_,comdat
.Lfunc_end661:
	.size	_ZN7rocprim17ROCPRIM_400000_NS6detail17trampoline_kernelINS0_13select_configILj256ELj13ELNS0_17block_load_methodE3ELS4_3ELS4_3ELNS0_20block_scan_algorithmE0ELj4294967295EEENS1_25partition_config_selectorILNS1_17partition_subalgoE4EjNS0_10empty_typeEbEEZZNS1_14partition_implILS8_4ELb0ES6_15HIP_vector_typeIjLj2EENS0_17counting_iteratorIjlEEPS9_SG_NS0_5tupleIJPjSI_NS0_16reverse_iteratorISI_EEEEENSH_IJSG_SG_SG_EEES9_SI_JZNS1_25segmented_radix_sort_implINS0_14default_configELb1EPKlPlSQ_SR_N2at6native12_GLOBAL__N_18offset_tEEE10hipError_tPvRmT1_PNSt15iterator_traitsISZ_E10value_typeET2_T3_PNS10_IS15_E10value_typeET4_jRbjT5_S1B_jjP12ihipStream_tbEUljE_ZNSN_ISO_Lb1ESQ_SR_SQ_SR_SV_EESW_SX_SY_SZ_S13_S14_S15_S18_S19_jS1A_jS1B_S1B_jjS1D_bEUljE0_EEESW_SX_SY_S15_S19_S1B_T6_T7_T9_mT8_S1D_bDpT10_ENKUlT_T0_E_clISt17integral_constantIbLb1EES1Q_IbLb0EEEEDaS1M_S1N_EUlS1M_E_NS1_11comp_targetILNS1_3genE10ELNS1_11target_archE1200ELNS1_3gpuE4ELNS1_3repE0EEENS1_30default_config_static_selectorELNS0_4arch9wavefront6targetE1EEEvSZ_, .Lfunc_end661-_ZN7rocprim17ROCPRIM_400000_NS6detail17trampoline_kernelINS0_13select_configILj256ELj13ELNS0_17block_load_methodE3ELS4_3ELS4_3ELNS0_20block_scan_algorithmE0ELj4294967295EEENS1_25partition_config_selectorILNS1_17partition_subalgoE4EjNS0_10empty_typeEbEEZZNS1_14partition_implILS8_4ELb0ES6_15HIP_vector_typeIjLj2EENS0_17counting_iteratorIjlEEPS9_SG_NS0_5tupleIJPjSI_NS0_16reverse_iteratorISI_EEEEENSH_IJSG_SG_SG_EEES9_SI_JZNS1_25segmented_radix_sort_implINS0_14default_configELb1EPKlPlSQ_SR_N2at6native12_GLOBAL__N_18offset_tEEE10hipError_tPvRmT1_PNSt15iterator_traitsISZ_E10value_typeET2_T3_PNS10_IS15_E10value_typeET4_jRbjT5_S1B_jjP12ihipStream_tbEUljE_ZNSN_ISO_Lb1ESQ_SR_SQ_SR_SV_EESW_SX_SY_SZ_S13_S14_S15_S18_S19_jS1A_jS1B_S1B_jjS1D_bEUljE0_EEESW_SX_SY_S15_S19_S1B_T6_T7_T9_mT8_S1D_bDpT10_ENKUlT_T0_E_clISt17integral_constantIbLb1EES1Q_IbLb0EEEEDaS1M_S1N_EUlS1M_E_NS1_11comp_targetILNS1_3genE10ELNS1_11target_archE1200ELNS1_3gpuE4ELNS1_3repE0EEENS1_30default_config_static_selectorELNS0_4arch9wavefront6targetE1EEEvSZ_
                                        ; -- End function
	.set _ZN7rocprim17ROCPRIM_400000_NS6detail17trampoline_kernelINS0_13select_configILj256ELj13ELNS0_17block_load_methodE3ELS4_3ELS4_3ELNS0_20block_scan_algorithmE0ELj4294967295EEENS1_25partition_config_selectorILNS1_17partition_subalgoE4EjNS0_10empty_typeEbEEZZNS1_14partition_implILS8_4ELb0ES6_15HIP_vector_typeIjLj2EENS0_17counting_iteratorIjlEEPS9_SG_NS0_5tupleIJPjSI_NS0_16reverse_iteratorISI_EEEEENSH_IJSG_SG_SG_EEES9_SI_JZNS1_25segmented_radix_sort_implINS0_14default_configELb1EPKlPlSQ_SR_N2at6native12_GLOBAL__N_18offset_tEEE10hipError_tPvRmT1_PNSt15iterator_traitsISZ_E10value_typeET2_T3_PNS10_IS15_E10value_typeET4_jRbjT5_S1B_jjP12ihipStream_tbEUljE_ZNSN_ISO_Lb1ESQ_SR_SQ_SR_SV_EESW_SX_SY_SZ_S13_S14_S15_S18_S19_jS1A_jS1B_S1B_jjS1D_bEUljE0_EEESW_SX_SY_S15_S19_S1B_T6_T7_T9_mT8_S1D_bDpT10_ENKUlT_T0_E_clISt17integral_constantIbLb1EES1Q_IbLb0EEEEDaS1M_S1N_EUlS1M_E_NS1_11comp_targetILNS1_3genE10ELNS1_11target_archE1200ELNS1_3gpuE4ELNS1_3repE0EEENS1_30default_config_static_selectorELNS0_4arch9wavefront6targetE1EEEvSZ_.num_vgpr, 0
	.set _ZN7rocprim17ROCPRIM_400000_NS6detail17trampoline_kernelINS0_13select_configILj256ELj13ELNS0_17block_load_methodE3ELS4_3ELS4_3ELNS0_20block_scan_algorithmE0ELj4294967295EEENS1_25partition_config_selectorILNS1_17partition_subalgoE4EjNS0_10empty_typeEbEEZZNS1_14partition_implILS8_4ELb0ES6_15HIP_vector_typeIjLj2EENS0_17counting_iteratorIjlEEPS9_SG_NS0_5tupleIJPjSI_NS0_16reverse_iteratorISI_EEEEENSH_IJSG_SG_SG_EEES9_SI_JZNS1_25segmented_radix_sort_implINS0_14default_configELb1EPKlPlSQ_SR_N2at6native12_GLOBAL__N_18offset_tEEE10hipError_tPvRmT1_PNSt15iterator_traitsISZ_E10value_typeET2_T3_PNS10_IS15_E10value_typeET4_jRbjT5_S1B_jjP12ihipStream_tbEUljE_ZNSN_ISO_Lb1ESQ_SR_SQ_SR_SV_EESW_SX_SY_SZ_S13_S14_S15_S18_S19_jS1A_jS1B_S1B_jjS1D_bEUljE0_EEESW_SX_SY_S15_S19_S1B_T6_T7_T9_mT8_S1D_bDpT10_ENKUlT_T0_E_clISt17integral_constantIbLb1EES1Q_IbLb0EEEEDaS1M_S1N_EUlS1M_E_NS1_11comp_targetILNS1_3genE10ELNS1_11target_archE1200ELNS1_3gpuE4ELNS1_3repE0EEENS1_30default_config_static_selectorELNS0_4arch9wavefront6targetE1EEEvSZ_.num_agpr, 0
	.set _ZN7rocprim17ROCPRIM_400000_NS6detail17trampoline_kernelINS0_13select_configILj256ELj13ELNS0_17block_load_methodE3ELS4_3ELS4_3ELNS0_20block_scan_algorithmE0ELj4294967295EEENS1_25partition_config_selectorILNS1_17partition_subalgoE4EjNS0_10empty_typeEbEEZZNS1_14partition_implILS8_4ELb0ES6_15HIP_vector_typeIjLj2EENS0_17counting_iteratorIjlEEPS9_SG_NS0_5tupleIJPjSI_NS0_16reverse_iteratorISI_EEEEENSH_IJSG_SG_SG_EEES9_SI_JZNS1_25segmented_radix_sort_implINS0_14default_configELb1EPKlPlSQ_SR_N2at6native12_GLOBAL__N_18offset_tEEE10hipError_tPvRmT1_PNSt15iterator_traitsISZ_E10value_typeET2_T3_PNS10_IS15_E10value_typeET4_jRbjT5_S1B_jjP12ihipStream_tbEUljE_ZNSN_ISO_Lb1ESQ_SR_SQ_SR_SV_EESW_SX_SY_SZ_S13_S14_S15_S18_S19_jS1A_jS1B_S1B_jjS1D_bEUljE0_EEESW_SX_SY_S15_S19_S1B_T6_T7_T9_mT8_S1D_bDpT10_ENKUlT_T0_E_clISt17integral_constantIbLb1EES1Q_IbLb0EEEEDaS1M_S1N_EUlS1M_E_NS1_11comp_targetILNS1_3genE10ELNS1_11target_archE1200ELNS1_3gpuE4ELNS1_3repE0EEENS1_30default_config_static_selectorELNS0_4arch9wavefront6targetE1EEEvSZ_.numbered_sgpr, 0
	.set _ZN7rocprim17ROCPRIM_400000_NS6detail17trampoline_kernelINS0_13select_configILj256ELj13ELNS0_17block_load_methodE3ELS4_3ELS4_3ELNS0_20block_scan_algorithmE0ELj4294967295EEENS1_25partition_config_selectorILNS1_17partition_subalgoE4EjNS0_10empty_typeEbEEZZNS1_14partition_implILS8_4ELb0ES6_15HIP_vector_typeIjLj2EENS0_17counting_iteratorIjlEEPS9_SG_NS0_5tupleIJPjSI_NS0_16reverse_iteratorISI_EEEEENSH_IJSG_SG_SG_EEES9_SI_JZNS1_25segmented_radix_sort_implINS0_14default_configELb1EPKlPlSQ_SR_N2at6native12_GLOBAL__N_18offset_tEEE10hipError_tPvRmT1_PNSt15iterator_traitsISZ_E10value_typeET2_T3_PNS10_IS15_E10value_typeET4_jRbjT5_S1B_jjP12ihipStream_tbEUljE_ZNSN_ISO_Lb1ESQ_SR_SQ_SR_SV_EESW_SX_SY_SZ_S13_S14_S15_S18_S19_jS1A_jS1B_S1B_jjS1D_bEUljE0_EEESW_SX_SY_S15_S19_S1B_T6_T7_T9_mT8_S1D_bDpT10_ENKUlT_T0_E_clISt17integral_constantIbLb1EES1Q_IbLb0EEEEDaS1M_S1N_EUlS1M_E_NS1_11comp_targetILNS1_3genE10ELNS1_11target_archE1200ELNS1_3gpuE4ELNS1_3repE0EEENS1_30default_config_static_selectorELNS0_4arch9wavefront6targetE1EEEvSZ_.num_named_barrier, 0
	.set _ZN7rocprim17ROCPRIM_400000_NS6detail17trampoline_kernelINS0_13select_configILj256ELj13ELNS0_17block_load_methodE3ELS4_3ELS4_3ELNS0_20block_scan_algorithmE0ELj4294967295EEENS1_25partition_config_selectorILNS1_17partition_subalgoE4EjNS0_10empty_typeEbEEZZNS1_14partition_implILS8_4ELb0ES6_15HIP_vector_typeIjLj2EENS0_17counting_iteratorIjlEEPS9_SG_NS0_5tupleIJPjSI_NS0_16reverse_iteratorISI_EEEEENSH_IJSG_SG_SG_EEES9_SI_JZNS1_25segmented_radix_sort_implINS0_14default_configELb1EPKlPlSQ_SR_N2at6native12_GLOBAL__N_18offset_tEEE10hipError_tPvRmT1_PNSt15iterator_traitsISZ_E10value_typeET2_T3_PNS10_IS15_E10value_typeET4_jRbjT5_S1B_jjP12ihipStream_tbEUljE_ZNSN_ISO_Lb1ESQ_SR_SQ_SR_SV_EESW_SX_SY_SZ_S13_S14_S15_S18_S19_jS1A_jS1B_S1B_jjS1D_bEUljE0_EEESW_SX_SY_S15_S19_S1B_T6_T7_T9_mT8_S1D_bDpT10_ENKUlT_T0_E_clISt17integral_constantIbLb1EES1Q_IbLb0EEEEDaS1M_S1N_EUlS1M_E_NS1_11comp_targetILNS1_3genE10ELNS1_11target_archE1200ELNS1_3gpuE4ELNS1_3repE0EEENS1_30default_config_static_selectorELNS0_4arch9wavefront6targetE1EEEvSZ_.private_seg_size, 0
	.set _ZN7rocprim17ROCPRIM_400000_NS6detail17trampoline_kernelINS0_13select_configILj256ELj13ELNS0_17block_load_methodE3ELS4_3ELS4_3ELNS0_20block_scan_algorithmE0ELj4294967295EEENS1_25partition_config_selectorILNS1_17partition_subalgoE4EjNS0_10empty_typeEbEEZZNS1_14partition_implILS8_4ELb0ES6_15HIP_vector_typeIjLj2EENS0_17counting_iteratorIjlEEPS9_SG_NS0_5tupleIJPjSI_NS0_16reverse_iteratorISI_EEEEENSH_IJSG_SG_SG_EEES9_SI_JZNS1_25segmented_radix_sort_implINS0_14default_configELb1EPKlPlSQ_SR_N2at6native12_GLOBAL__N_18offset_tEEE10hipError_tPvRmT1_PNSt15iterator_traitsISZ_E10value_typeET2_T3_PNS10_IS15_E10value_typeET4_jRbjT5_S1B_jjP12ihipStream_tbEUljE_ZNSN_ISO_Lb1ESQ_SR_SQ_SR_SV_EESW_SX_SY_SZ_S13_S14_S15_S18_S19_jS1A_jS1B_S1B_jjS1D_bEUljE0_EEESW_SX_SY_S15_S19_S1B_T6_T7_T9_mT8_S1D_bDpT10_ENKUlT_T0_E_clISt17integral_constantIbLb1EES1Q_IbLb0EEEEDaS1M_S1N_EUlS1M_E_NS1_11comp_targetILNS1_3genE10ELNS1_11target_archE1200ELNS1_3gpuE4ELNS1_3repE0EEENS1_30default_config_static_selectorELNS0_4arch9wavefront6targetE1EEEvSZ_.uses_vcc, 0
	.set _ZN7rocprim17ROCPRIM_400000_NS6detail17trampoline_kernelINS0_13select_configILj256ELj13ELNS0_17block_load_methodE3ELS4_3ELS4_3ELNS0_20block_scan_algorithmE0ELj4294967295EEENS1_25partition_config_selectorILNS1_17partition_subalgoE4EjNS0_10empty_typeEbEEZZNS1_14partition_implILS8_4ELb0ES6_15HIP_vector_typeIjLj2EENS0_17counting_iteratorIjlEEPS9_SG_NS0_5tupleIJPjSI_NS0_16reverse_iteratorISI_EEEEENSH_IJSG_SG_SG_EEES9_SI_JZNS1_25segmented_radix_sort_implINS0_14default_configELb1EPKlPlSQ_SR_N2at6native12_GLOBAL__N_18offset_tEEE10hipError_tPvRmT1_PNSt15iterator_traitsISZ_E10value_typeET2_T3_PNS10_IS15_E10value_typeET4_jRbjT5_S1B_jjP12ihipStream_tbEUljE_ZNSN_ISO_Lb1ESQ_SR_SQ_SR_SV_EESW_SX_SY_SZ_S13_S14_S15_S18_S19_jS1A_jS1B_S1B_jjS1D_bEUljE0_EEESW_SX_SY_S15_S19_S1B_T6_T7_T9_mT8_S1D_bDpT10_ENKUlT_T0_E_clISt17integral_constantIbLb1EES1Q_IbLb0EEEEDaS1M_S1N_EUlS1M_E_NS1_11comp_targetILNS1_3genE10ELNS1_11target_archE1200ELNS1_3gpuE4ELNS1_3repE0EEENS1_30default_config_static_selectorELNS0_4arch9wavefront6targetE1EEEvSZ_.uses_flat_scratch, 0
	.set _ZN7rocprim17ROCPRIM_400000_NS6detail17trampoline_kernelINS0_13select_configILj256ELj13ELNS0_17block_load_methodE3ELS4_3ELS4_3ELNS0_20block_scan_algorithmE0ELj4294967295EEENS1_25partition_config_selectorILNS1_17partition_subalgoE4EjNS0_10empty_typeEbEEZZNS1_14partition_implILS8_4ELb0ES6_15HIP_vector_typeIjLj2EENS0_17counting_iteratorIjlEEPS9_SG_NS0_5tupleIJPjSI_NS0_16reverse_iteratorISI_EEEEENSH_IJSG_SG_SG_EEES9_SI_JZNS1_25segmented_radix_sort_implINS0_14default_configELb1EPKlPlSQ_SR_N2at6native12_GLOBAL__N_18offset_tEEE10hipError_tPvRmT1_PNSt15iterator_traitsISZ_E10value_typeET2_T3_PNS10_IS15_E10value_typeET4_jRbjT5_S1B_jjP12ihipStream_tbEUljE_ZNSN_ISO_Lb1ESQ_SR_SQ_SR_SV_EESW_SX_SY_SZ_S13_S14_S15_S18_S19_jS1A_jS1B_S1B_jjS1D_bEUljE0_EEESW_SX_SY_S15_S19_S1B_T6_T7_T9_mT8_S1D_bDpT10_ENKUlT_T0_E_clISt17integral_constantIbLb1EES1Q_IbLb0EEEEDaS1M_S1N_EUlS1M_E_NS1_11comp_targetILNS1_3genE10ELNS1_11target_archE1200ELNS1_3gpuE4ELNS1_3repE0EEENS1_30default_config_static_selectorELNS0_4arch9wavefront6targetE1EEEvSZ_.has_dyn_sized_stack, 0
	.set _ZN7rocprim17ROCPRIM_400000_NS6detail17trampoline_kernelINS0_13select_configILj256ELj13ELNS0_17block_load_methodE3ELS4_3ELS4_3ELNS0_20block_scan_algorithmE0ELj4294967295EEENS1_25partition_config_selectorILNS1_17partition_subalgoE4EjNS0_10empty_typeEbEEZZNS1_14partition_implILS8_4ELb0ES6_15HIP_vector_typeIjLj2EENS0_17counting_iteratorIjlEEPS9_SG_NS0_5tupleIJPjSI_NS0_16reverse_iteratorISI_EEEEENSH_IJSG_SG_SG_EEES9_SI_JZNS1_25segmented_radix_sort_implINS0_14default_configELb1EPKlPlSQ_SR_N2at6native12_GLOBAL__N_18offset_tEEE10hipError_tPvRmT1_PNSt15iterator_traitsISZ_E10value_typeET2_T3_PNS10_IS15_E10value_typeET4_jRbjT5_S1B_jjP12ihipStream_tbEUljE_ZNSN_ISO_Lb1ESQ_SR_SQ_SR_SV_EESW_SX_SY_SZ_S13_S14_S15_S18_S19_jS1A_jS1B_S1B_jjS1D_bEUljE0_EEESW_SX_SY_S15_S19_S1B_T6_T7_T9_mT8_S1D_bDpT10_ENKUlT_T0_E_clISt17integral_constantIbLb1EES1Q_IbLb0EEEEDaS1M_S1N_EUlS1M_E_NS1_11comp_targetILNS1_3genE10ELNS1_11target_archE1200ELNS1_3gpuE4ELNS1_3repE0EEENS1_30default_config_static_selectorELNS0_4arch9wavefront6targetE1EEEvSZ_.has_recursion, 0
	.set _ZN7rocprim17ROCPRIM_400000_NS6detail17trampoline_kernelINS0_13select_configILj256ELj13ELNS0_17block_load_methodE3ELS4_3ELS4_3ELNS0_20block_scan_algorithmE0ELj4294967295EEENS1_25partition_config_selectorILNS1_17partition_subalgoE4EjNS0_10empty_typeEbEEZZNS1_14partition_implILS8_4ELb0ES6_15HIP_vector_typeIjLj2EENS0_17counting_iteratorIjlEEPS9_SG_NS0_5tupleIJPjSI_NS0_16reverse_iteratorISI_EEEEENSH_IJSG_SG_SG_EEES9_SI_JZNS1_25segmented_radix_sort_implINS0_14default_configELb1EPKlPlSQ_SR_N2at6native12_GLOBAL__N_18offset_tEEE10hipError_tPvRmT1_PNSt15iterator_traitsISZ_E10value_typeET2_T3_PNS10_IS15_E10value_typeET4_jRbjT5_S1B_jjP12ihipStream_tbEUljE_ZNSN_ISO_Lb1ESQ_SR_SQ_SR_SV_EESW_SX_SY_SZ_S13_S14_S15_S18_S19_jS1A_jS1B_S1B_jjS1D_bEUljE0_EEESW_SX_SY_S15_S19_S1B_T6_T7_T9_mT8_S1D_bDpT10_ENKUlT_T0_E_clISt17integral_constantIbLb1EES1Q_IbLb0EEEEDaS1M_S1N_EUlS1M_E_NS1_11comp_targetILNS1_3genE10ELNS1_11target_archE1200ELNS1_3gpuE4ELNS1_3repE0EEENS1_30default_config_static_selectorELNS0_4arch9wavefront6targetE1EEEvSZ_.has_indirect_call, 0
	.section	.AMDGPU.csdata,"",@progbits
; Kernel info:
; codeLenInByte = 0
; TotalNumSgprs: 4
; NumVgprs: 0
; ScratchSize: 0
; MemoryBound: 0
; FloatMode: 240
; IeeeMode: 1
; LDSByteSize: 0 bytes/workgroup (compile time only)
; SGPRBlocks: 0
; VGPRBlocks: 0
; NumSGPRsForWavesPerEU: 4
; NumVGPRsForWavesPerEU: 1
; Occupancy: 10
; WaveLimiterHint : 0
; COMPUTE_PGM_RSRC2:SCRATCH_EN: 0
; COMPUTE_PGM_RSRC2:USER_SGPR: 6
; COMPUTE_PGM_RSRC2:TRAP_HANDLER: 0
; COMPUTE_PGM_RSRC2:TGID_X_EN: 1
; COMPUTE_PGM_RSRC2:TGID_Y_EN: 0
; COMPUTE_PGM_RSRC2:TGID_Z_EN: 0
; COMPUTE_PGM_RSRC2:TIDIG_COMP_CNT: 0
	.section	.text._ZN7rocprim17ROCPRIM_400000_NS6detail17trampoline_kernelINS0_13select_configILj256ELj13ELNS0_17block_load_methodE3ELS4_3ELS4_3ELNS0_20block_scan_algorithmE0ELj4294967295EEENS1_25partition_config_selectorILNS1_17partition_subalgoE4EjNS0_10empty_typeEbEEZZNS1_14partition_implILS8_4ELb0ES6_15HIP_vector_typeIjLj2EENS0_17counting_iteratorIjlEEPS9_SG_NS0_5tupleIJPjSI_NS0_16reverse_iteratorISI_EEEEENSH_IJSG_SG_SG_EEES9_SI_JZNS1_25segmented_radix_sort_implINS0_14default_configELb1EPKlPlSQ_SR_N2at6native12_GLOBAL__N_18offset_tEEE10hipError_tPvRmT1_PNSt15iterator_traitsISZ_E10value_typeET2_T3_PNS10_IS15_E10value_typeET4_jRbjT5_S1B_jjP12ihipStream_tbEUljE_ZNSN_ISO_Lb1ESQ_SR_SQ_SR_SV_EESW_SX_SY_SZ_S13_S14_S15_S18_S19_jS1A_jS1B_S1B_jjS1D_bEUljE0_EEESW_SX_SY_S15_S19_S1B_T6_T7_T9_mT8_S1D_bDpT10_ENKUlT_T0_E_clISt17integral_constantIbLb1EES1Q_IbLb0EEEEDaS1M_S1N_EUlS1M_E_NS1_11comp_targetILNS1_3genE9ELNS1_11target_archE1100ELNS1_3gpuE3ELNS1_3repE0EEENS1_30default_config_static_selectorELNS0_4arch9wavefront6targetE1EEEvSZ_,"axG",@progbits,_ZN7rocprim17ROCPRIM_400000_NS6detail17trampoline_kernelINS0_13select_configILj256ELj13ELNS0_17block_load_methodE3ELS4_3ELS4_3ELNS0_20block_scan_algorithmE0ELj4294967295EEENS1_25partition_config_selectorILNS1_17partition_subalgoE4EjNS0_10empty_typeEbEEZZNS1_14partition_implILS8_4ELb0ES6_15HIP_vector_typeIjLj2EENS0_17counting_iteratorIjlEEPS9_SG_NS0_5tupleIJPjSI_NS0_16reverse_iteratorISI_EEEEENSH_IJSG_SG_SG_EEES9_SI_JZNS1_25segmented_radix_sort_implINS0_14default_configELb1EPKlPlSQ_SR_N2at6native12_GLOBAL__N_18offset_tEEE10hipError_tPvRmT1_PNSt15iterator_traitsISZ_E10value_typeET2_T3_PNS10_IS15_E10value_typeET4_jRbjT5_S1B_jjP12ihipStream_tbEUljE_ZNSN_ISO_Lb1ESQ_SR_SQ_SR_SV_EESW_SX_SY_SZ_S13_S14_S15_S18_S19_jS1A_jS1B_S1B_jjS1D_bEUljE0_EEESW_SX_SY_S15_S19_S1B_T6_T7_T9_mT8_S1D_bDpT10_ENKUlT_T0_E_clISt17integral_constantIbLb1EES1Q_IbLb0EEEEDaS1M_S1N_EUlS1M_E_NS1_11comp_targetILNS1_3genE9ELNS1_11target_archE1100ELNS1_3gpuE3ELNS1_3repE0EEENS1_30default_config_static_selectorELNS0_4arch9wavefront6targetE1EEEvSZ_,comdat
	.globl	_ZN7rocprim17ROCPRIM_400000_NS6detail17trampoline_kernelINS0_13select_configILj256ELj13ELNS0_17block_load_methodE3ELS4_3ELS4_3ELNS0_20block_scan_algorithmE0ELj4294967295EEENS1_25partition_config_selectorILNS1_17partition_subalgoE4EjNS0_10empty_typeEbEEZZNS1_14partition_implILS8_4ELb0ES6_15HIP_vector_typeIjLj2EENS0_17counting_iteratorIjlEEPS9_SG_NS0_5tupleIJPjSI_NS0_16reverse_iteratorISI_EEEEENSH_IJSG_SG_SG_EEES9_SI_JZNS1_25segmented_radix_sort_implINS0_14default_configELb1EPKlPlSQ_SR_N2at6native12_GLOBAL__N_18offset_tEEE10hipError_tPvRmT1_PNSt15iterator_traitsISZ_E10value_typeET2_T3_PNS10_IS15_E10value_typeET4_jRbjT5_S1B_jjP12ihipStream_tbEUljE_ZNSN_ISO_Lb1ESQ_SR_SQ_SR_SV_EESW_SX_SY_SZ_S13_S14_S15_S18_S19_jS1A_jS1B_S1B_jjS1D_bEUljE0_EEESW_SX_SY_S15_S19_S1B_T6_T7_T9_mT8_S1D_bDpT10_ENKUlT_T0_E_clISt17integral_constantIbLb1EES1Q_IbLb0EEEEDaS1M_S1N_EUlS1M_E_NS1_11comp_targetILNS1_3genE9ELNS1_11target_archE1100ELNS1_3gpuE3ELNS1_3repE0EEENS1_30default_config_static_selectorELNS0_4arch9wavefront6targetE1EEEvSZ_ ; -- Begin function _ZN7rocprim17ROCPRIM_400000_NS6detail17trampoline_kernelINS0_13select_configILj256ELj13ELNS0_17block_load_methodE3ELS4_3ELS4_3ELNS0_20block_scan_algorithmE0ELj4294967295EEENS1_25partition_config_selectorILNS1_17partition_subalgoE4EjNS0_10empty_typeEbEEZZNS1_14partition_implILS8_4ELb0ES6_15HIP_vector_typeIjLj2EENS0_17counting_iteratorIjlEEPS9_SG_NS0_5tupleIJPjSI_NS0_16reverse_iteratorISI_EEEEENSH_IJSG_SG_SG_EEES9_SI_JZNS1_25segmented_radix_sort_implINS0_14default_configELb1EPKlPlSQ_SR_N2at6native12_GLOBAL__N_18offset_tEEE10hipError_tPvRmT1_PNSt15iterator_traitsISZ_E10value_typeET2_T3_PNS10_IS15_E10value_typeET4_jRbjT5_S1B_jjP12ihipStream_tbEUljE_ZNSN_ISO_Lb1ESQ_SR_SQ_SR_SV_EESW_SX_SY_SZ_S13_S14_S15_S18_S19_jS1A_jS1B_S1B_jjS1D_bEUljE0_EEESW_SX_SY_S15_S19_S1B_T6_T7_T9_mT8_S1D_bDpT10_ENKUlT_T0_E_clISt17integral_constantIbLb1EES1Q_IbLb0EEEEDaS1M_S1N_EUlS1M_E_NS1_11comp_targetILNS1_3genE9ELNS1_11target_archE1100ELNS1_3gpuE3ELNS1_3repE0EEENS1_30default_config_static_selectorELNS0_4arch9wavefront6targetE1EEEvSZ_
	.p2align	8
	.type	_ZN7rocprim17ROCPRIM_400000_NS6detail17trampoline_kernelINS0_13select_configILj256ELj13ELNS0_17block_load_methodE3ELS4_3ELS4_3ELNS0_20block_scan_algorithmE0ELj4294967295EEENS1_25partition_config_selectorILNS1_17partition_subalgoE4EjNS0_10empty_typeEbEEZZNS1_14partition_implILS8_4ELb0ES6_15HIP_vector_typeIjLj2EENS0_17counting_iteratorIjlEEPS9_SG_NS0_5tupleIJPjSI_NS0_16reverse_iteratorISI_EEEEENSH_IJSG_SG_SG_EEES9_SI_JZNS1_25segmented_radix_sort_implINS0_14default_configELb1EPKlPlSQ_SR_N2at6native12_GLOBAL__N_18offset_tEEE10hipError_tPvRmT1_PNSt15iterator_traitsISZ_E10value_typeET2_T3_PNS10_IS15_E10value_typeET4_jRbjT5_S1B_jjP12ihipStream_tbEUljE_ZNSN_ISO_Lb1ESQ_SR_SQ_SR_SV_EESW_SX_SY_SZ_S13_S14_S15_S18_S19_jS1A_jS1B_S1B_jjS1D_bEUljE0_EEESW_SX_SY_S15_S19_S1B_T6_T7_T9_mT8_S1D_bDpT10_ENKUlT_T0_E_clISt17integral_constantIbLb1EES1Q_IbLb0EEEEDaS1M_S1N_EUlS1M_E_NS1_11comp_targetILNS1_3genE9ELNS1_11target_archE1100ELNS1_3gpuE3ELNS1_3repE0EEENS1_30default_config_static_selectorELNS0_4arch9wavefront6targetE1EEEvSZ_,@function
_ZN7rocprim17ROCPRIM_400000_NS6detail17trampoline_kernelINS0_13select_configILj256ELj13ELNS0_17block_load_methodE3ELS4_3ELS4_3ELNS0_20block_scan_algorithmE0ELj4294967295EEENS1_25partition_config_selectorILNS1_17partition_subalgoE4EjNS0_10empty_typeEbEEZZNS1_14partition_implILS8_4ELb0ES6_15HIP_vector_typeIjLj2EENS0_17counting_iteratorIjlEEPS9_SG_NS0_5tupleIJPjSI_NS0_16reverse_iteratorISI_EEEEENSH_IJSG_SG_SG_EEES9_SI_JZNS1_25segmented_radix_sort_implINS0_14default_configELb1EPKlPlSQ_SR_N2at6native12_GLOBAL__N_18offset_tEEE10hipError_tPvRmT1_PNSt15iterator_traitsISZ_E10value_typeET2_T3_PNS10_IS15_E10value_typeET4_jRbjT5_S1B_jjP12ihipStream_tbEUljE_ZNSN_ISO_Lb1ESQ_SR_SQ_SR_SV_EESW_SX_SY_SZ_S13_S14_S15_S18_S19_jS1A_jS1B_S1B_jjS1D_bEUljE0_EEESW_SX_SY_S15_S19_S1B_T6_T7_T9_mT8_S1D_bDpT10_ENKUlT_T0_E_clISt17integral_constantIbLb1EES1Q_IbLb0EEEEDaS1M_S1N_EUlS1M_E_NS1_11comp_targetILNS1_3genE9ELNS1_11target_archE1100ELNS1_3gpuE3ELNS1_3repE0EEENS1_30default_config_static_selectorELNS0_4arch9wavefront6targetE1EEEvSZ_: ; @_ZN7rocprim17ROCPRIM_400000_NS6detail17trampoline_kernelINS0_13select_configILj256ELj13ELNS0_17block_load_methodE3ELS4_3ELS4_3ELNS0_20block_scan_algorithmE0ELj4294967295EEENS1_25partition_config_selectorILNS1_17partition_subalgoE4EjNS0_10empty_typeEbEEZZNS1_14partition_implILS8_4ELb0ES6_15HIP_vector_typeIjLj2EENS0_17counting_iteratorIjlEEPS9_SG_NS0_5tupleIJPjSI_NS0_16reverse_iteratorISI_EEEEENSH_IJSG_SG_SG_EEES9_SI_JZNS1_25segmented_radix_sort_implINS0_14default_configELb1EPKlPlSQ_SR_N2at6native12_GLOBAL__N_18offset_tEEE10hipError_tPvRmT1_PNSt15iterator_traitsISZ_E10value_typeET2_T3_PNS10_IS15_E10value_typeET4_jRbjT5_S1B_jjP12ihipStream_tbEUljE_ZNSN_ISO_Lb1ESQ_SR_SQ_SR_SV_EESW_SX_SY_SZ_S13_S14_S15_S18_S19_jS1A_jS1B_S1B_jjS1D_bEUljE0_EEESW_SX_SY_S15_S19_S1B_T6_T7_T9_mT8_S1D_bDpT10_ENKUlT_T0_E_clISt17integral_constantIbLb1EES1Q_IbLb0EEEEDaS1M_S1N_EUlS1M_E_NS1_11comp_targetILNS1_3genE9ELNS1_11target_archE1100ELNS1_3gpuE3ELNS1_3repE0EEENS1_30default_config_static_selectorELNS0_4arch9wavefront6targetE1EEEvSZ_
; %bb.0:
	.section	.rodata,"a",@progbits
	.p2align	6, 0x0
	.amdhsa_kernel _ZN7rocprim17ROCPRIM_400000_NS6detail17trampoline_kernelINS0_13select_configILj256ELj13ELNS0_17block_load_methodE3ELS4_3ELS4_3ELNS0_20block_scan_algorithmE0ELj4294967295EEENS1_25partition_config_selectorILNS1_17partition_subalgoE4EjNS0_10empty_typeEbEEZZNS1_14partition_implILS8_4ELb0ES6_15HIP_vector_typeIjLj2EENS0_17counting_iteratorIjlEEPS9_SG_NS0_5tupleIJPjSI_NS0_16reverse_iteratorISI_EEEEENSH_IJSG_SG_SG_EEES9_SI_JZNS1_25segmented_radix_sort_implINS0_14default_configELb1EPKlPlSQ_SR_N2at6native12_GLOBAL__N_18offset_tEEE10hipError_tPvRmT1_PNSt15iterator_traitsISZ_E10value_typeET2_T3_PNS10_IS15_E10value_typeET4_jRbjT5_S1B_jjP12ihipStream_tbEUljE_ZNSN_ISO_Lb1ESQ_SR_SQ_SR_SV_EESW_SX_SY_SZ_S13_S14_S15_S18_S19_jS1A_jS1B_S1B_jjS1D_bEUljE0_EEESW_SX_SY_S15_S19_S1B_T6_T7_T9_mT8_S1D_bDpT10_ENKUlT_T0_E_clISt17integral_constantIbLb1EES1Q_IbLb0EEEEDaS1M_S1N_EUlS1M_E_NS1_11comp_targetILNS1_3genE9ELNS1_11target_archE1100ELNS1_3gpuE3ELNS1_3repE0EEENS1_30default_config_static_selectorELNS0_4arch9wavefront6targetE1EEEvSZ_
		.amdhsa_group_segment_fixed_size 0
		.amdhsa_private_segment_fixed_size 0
		.amdhsa_kernarg_size 176
		.amdhsa_user_sgpr_count 6
		.amdhsa_user_sgpr_private_segment_buffer 1
		.amdhsa_user_sgpr_dispatch_ptr 0
		.amdhsa_user_sgpr_queue_ptr 0
		.amdhsa_user_sgpr_kernarg_segment_ptr 1
		.amdhsa_user_sgpr_dispatch_id 0
		.amdhsa_user_sgpr_flat_scratch_init 0
		.amdhsa_user_sgpr_private_segment_size 0
		.amdhsa_uses_dynamic_stack 0
		.amdhsa_system_sgpr_private_segment_wavefront_offset 0
		.amdhsa_system_sgpr_workgroup_id_x 1
		.amdhsa_system_sgpr_workgroup_id_y 0
		.amdhsa_system_sgpr_workgroup_id_z 0
		.amdhsa_system_sgpr_workgroup_info 0
		.amdhsa_system_vgpr_workitem_id 0
		.amdhsa_next_free_vgpr 1
		.amdhsa_next_free_sgpr 0
		.amdhsa_reserve_vcc 0
		.amdhsa_reserve_flat_scratch 0
		.amdhsa_float_round_mode_32 0
		.amdhsa_float_round_mode_16_64 0
		.amdhsa_float_denorm_mode_32 3
		.amdhsa_float_denorm_mode_16_64 3
		.amdhsa_dx10_clamp 1
		.amdhsa_ieee_mode 1
		.amdhsa_fp16_overflow 0
		.amdhsa_exception_fp_ieee_invalid_op 0
		.amdhsa_exception_fp_denorm_src 0
		.amdhsa_exception_fp_ieee_div_zero 0
		.amdhsa_exception_fp_ieee_overflow 0
		.amdhsa_exception_fp_ieee_underflow 0
		.amdhsa_exception_fp_ieee_inexact 0
		.amdhsa_exception_int_div_zero 0
	.end_amdhsa_kernel
	.section	.text._ZN7rocprim17ROCPRIM_400000_NS6detail17trampoline_kernelINS0_13select_configILj256ELj13ELNS0_17block_load_methodE3ELS4_3ELS4_3ELNS0_20block_scan_algorithmE0ELj4294967295EEENS1_25partition_config_selectorILNS1_17partition_subalgoE4EjNS0_10empty_typeEbEEZZNS1_14partition_implILS8_4ELb0ES6_15HIP_vector_typeIjLj2EENS0_17counting_iteratorIjlEEPS9_SG_NS0_5tupleIJPjSI_NS0_16reverse_iteratorISI_EEEEENSH_IJSG_SG_SG_EEES9_SI_JZNS1_25segmented_radix_sort_implINS0_14default_configELb1EPKlPlSQ_SR_N2at6native12_GLOBAL__N_18offset_tEEE10hipError_tPvRmT1_PNSt15iterator_traitsISZ_E10value_typeET2_T3_PNS10_IS15_E10value_typeET4_jRbjT5_S1B_jjP12ihipStream_tbEUljE_ZNSN_ISO_Lb1ESQ_SR_SQ_SR_SV_EESW_SX_SY_SZ_S13_S14_S15_S18_S19_jS1A_jS1B_S1B_jjS1D_bEUljE0_EEESW_SX_SY_S15_S19_S1B_T6_T7_T9_mT8_S1D_bDpT10_ENKUlT_T0_E_clISt17integral_constantIbLb1EES1Q_IbLb0EEEEDaS1M_S1N_EUlS1M_E_NS1_11comp_targetILNS1_3genE9ELNS1_11target_archE1100ELNS1_3gpuE3ELNS1_3repE0EEENS1_30default_config_static_selectorELNS0_4arch9wavefront6targetE1EEEvSZ_,"axG",@progbits,_ZN7rocprim17ROCPRIM_400000_NS6detail17trampoline_kernelINS0_13select_configILj256ELj13ELNS0_17block_load_methodE3ELS4_3ELS4_3ELNS0_20block_scan_algorithmE0ELj4294967295EEENS1_25partition_config_selectorILNS1_17partition_subalgoE4EjNS0_10empty_typeEbEEZZNS1_14partition_implILS8_4ELb0ES6_15HIP_vector_typeIjLj2EENS0_17counting_iteratorIjlEEPS9_SG_NS0_5tupleIJPjSI_NS0_16reverse_iteratorISI_EEEEENSH_IJSG_SG_SG_EEES9_SI_JZNS1_25segmented_radix_sort_implINS0_14default_configELb1EPKlPlSQ_SR_N2at6native12_GLOBAL__N_18offset_tEEE10hipError_tPvRmT1_PNSt15iterator_traitsISZ_E10value_typeET2_T3_PNS10_IS15_E10value_typeET4_jRbjT5_S1B_jjP12ihipStream_tbEUljE_ZNSN_ISO_Lb1ESQ_SR_SQ_SR_SV_EESW_SX_SY_SZ_S13_S14_S15_S18_S19_jS1A_jS1B_S1B_jjS1D_bEUljE0_EEESW_SX_SY_S15_S19_S1B_T6_T7_T9_mT8_S1D_bDpT10_ENKUlT_T0_E_clISt17integral_constantIbLb1EES1Q_IbLb0EEEEDaS1M_S1N_EUlS1M_E_NS1_11comp_targetILNS1_3genE9ELNS1_11target_archE1100ELNS1_3gpuE3ELNS1_3repE0EEENS1_30default_config_static_selectorELNS0_4arch9wavefront6targetE1EEEvSZ_,comdat
.Lfunc_end662:
	.size	_ZN7rocprim17ROCPRIM_400000_NS6detail17trampoline_kernelINS0_13select_configILj256ELj13ELNS0_17block_load_methodE3ELS4_3ELS4_3ELNS0_20block_scan_algorithmE0ELj4294967295EEENS1_25partition_config_selectorILNS1_17partition_subalgoE4EjNS0_10empty_typeEbEEZZNS1_14partition_implILS8_4ELb0ES6_15HIP_vector_typeIjLj2EENS0_17counting_iteratorIjlEEPS9_SG_NS0_5tupleIJPjSI_NS0_16reverse_iteratorISI_EEEEENSH_IJSG_SG_SG_EEES9_SI_JZNS1_25segmented_radix_sort_implINS0_14default_configELb1EPKlPlSQ_SR_N2at6native12_GLOBAL__N_18offset_tEEE10hipError_tPvRmT1_PNSt15iterator_traitsISZ_E10value_typeET2_T3_PNS10_IS15_E10value_typeET4_jRbjT5_S1B_jjP12ihipStream_tbEUljE_ZNSN_ISO_Lb1ESQ_SR_SQ_SR_SV_EESW_SX_SY_SZ_S13_S14_S15_S18_S19_jS1A_jS1B_S1B_jjS1D_bEUljE0_EEESW_SX_SY_S15_S19_S1B_T6_T7_T9_mT8_S1D_bDpT10_ENKUlT_T0_E_clISt17integral_constantIbLb1EES1Q_IbLb0EEEEDaS1M_S1N_EUlS1M_E_NS1_11comp_targetILNS1_3genE9ELNS1_11target_archE1100ELNS1_3gpuE3ELNS1_3repE0EEENS1_30default_config_static_selectorELNS0_4arch9wavefront6targetE1EEEvSZ_, .Lfunc_end662-_ZN7rocprim17ROCPRIM_400000_NS6detail17trampoline_kernelINS0_13select_configILj256ELj13ELNS0_17block_load_methodE3ELS4_3ELS4_3ELNS0_20block_scan_algorithmE0ELj4294967295EEENS1_25partition_config_selectorILNS1_17partition_subalgoE4EjNS0_10empty_typeEbEEZZNS1_14partition_implILS8_4ELb0ES6_15HIP_vector_typeIjLj2EENS0_17counting_iteratorIjlEEPS9_SG_NS0_5tupleIJPjSI_NS0_16reverse_iteratorISI_EEEEENSH_IJSG_SG_SG_EEES9_SI_JZNS1_25segmented_radix_sort_implINS0_14default_configELb1EPKlPlSQ_SR_N2at6native12_GLOBAL__N_18offset_tEEE10hipError_tPvRmT1_PNSt15iterator_traitsISZ_E10value_typeET2_T3_PNS10_IS15_E10value_typeET4_jRbjT5_S1B_jjP12ihipStream_tbEUljE_ZNSN_ISO_Lb1ESQ_SR_SQ_SR_SV_EESW_SX_SY_SZ_S13_S14_S15_S18_S19_jS1A_jS1B_S1B_jjS1D_bEUljE0_EEESW_SX_SY_S15_S19_S1B_T6_T7_T9_mT8_S1D_bDpT10_ENKUlT_T0_E_clISt17integral_constantIbLb1EES1Q_IbLb0EEEEDaS1M_S1N_EUlS1M_E_NS1_11comp_targetILNS1_3genE9ELNS1_11target_archE1100ELNS1_3gpuE3ELNS1_3repE0EEENS1_30default_config_static_selectorELNS0_4arch9wavefront6targetE1EEEvSZ_
                                        ; -- End function
	.set _ZN7rocprim17ROCPRIM_400000_NS6detail17trampoline_kernelINS0_13select_configILj256ELj13ELNS0_17block_load_methodE3ELS4_3ELS4_3ELNS0_20block_scan_algorithmE0ELj4294967295EEENS1_25partition_config_selectorILNS1_17partition_subalgoE4EjNS0_10empty_typeEbEEZZNS1_14partition_implILS8_4ELb0ES6_15HIP_vector_typeIjLj2EENS0_17counting_iteratorIjlEEPS9_SG_NS0_5tupleIJPjSI_NS0_16reverse_iteratorISI_EEEEENSH_IJSG_SG_SG_EEES9_SI_JZNS1_25segmented_radix_sort_implINS0_14default_configELb1EPKlPlSQ_SR_N2at6native12_GLOBAL__N_18offset_tEEE10hipError_tPvRmT1_PNSt15iterator_traitsISZ_E10value_typeET2_T3_PNS10_IS15_E10value_typeET4_jRbjT5_S1B_jjP12ihipStream_tbEUljE_ZNSN_ISO_Lb1ESQ_SR_SQ_SR_SV_EESW_SX_SY_SZ_S13_S14_S15_S18_S19_jS1A_jS1B_S1B_jjS1D_bEUljE0_EEESW_SX_SY_S15_S19_S1B_T6_T7_T9_mT8_S1D_bDpT10_ENKUlT_T0_E_clISt17integral_constantIbLb1EES1Q_IbLb0EEEEDaS1M_S1N_EUlS1M_E_NS1_11comp_targetILNS1_3genE9ELNS1_11target_archE1100ELNS1_3gpuE3ELNS1_3repE0EEENS1_30default_config_static_selectorELNS0_4arch9wavefront6targetE1EEEvSZ_.num_vgpr, 0
	.set _ZN7rocprim17ROCPRIM_400000_NS6detail17trampoline_kernelINS0_13select_configILj256ELj13ELNS0_17block_load_methodE3ELS4_3ELS4_3ELNS0_20block_scan_algorithmE0ELj4294967295EEENS1_25partition_config_selectorILNS1_17partition_subalgoE4EjNS0_10empty_typeEbEEZZNS1_14partition_implILS8_4ELb0ES6_15HIP_vector_typeIjLj2EENS0_17counting_iteratorIjlEEPS9_SG_NS0_5tupleIJPjSI_NS0_16reverse_iteratorISI_EEEEENSH_IJSG_SG_SG_EEES9_SI_JZNS1_25segmented_radix_sort_implINS0_14default_configELb1EPKlPlSQ_SR_N2at6native12_GLOBAL__N_18offset_tEEE10hipError_tPvRmT1_PNSt15iterator_traitsISZ_E10value_typeET2_T3_PNS10_IS15_E10value_typeET4_jRbjT5_S1B_jjP12ihipStream_tbEUljE_ZNSN_ISO_Lb1ESQ_SR_SQ_SR_SV_EESW_SX_SY_SZ_S13_S14_S15_S18_S19_jS1A_jS1B_S1B_jjS1D_bEUljE0_EEESW_SX_SY_S15_S19_S1B_T6_T7_T9_mT8_S1D_bDpT10_ENKUlT_T0_E_clISt17integral_constantIbLb1EES1Q_IbLb0EEEEDaS1M_S1N_EUlS1M_E_NS1_11comp_targetILNS1_3genE9ELNS1_11target_archE1100ELNS1_3gpuE3ELNS1_3repE0EEENS1_30default_config_static_selectorELNS0_4arch9wavefront6targetE1EEEvSZ_.num_agpr, 0
	.set _ZN7rocprim17ROCPRIM_400000_NS6detail17trampoline_kernelINS0_13select_configILj256ELj13ELNS0_17block_load_methodE3ELS4_3ELS4_3ELNS0_20block_scan_algorithmE0ELj4294967295EEENS1_25partition_config_selectorILNS1_17partition_subalgoE4EjNS0_10empty_typeEbEEZZNS1_14partition_implILS8_4ELb0ES6_15HIP_vector_typeIjLj2EENS0_17counting_iteratorIjlEEPS9_SG_NS0_5tupleIJPjSI_NS0_16reverse_iteratorISI_EEEEENSH_IJSG_SG_SG_EEES9_SI_JZNS1_25segmented_radix_sort_implINS0_14default_configELb1EPKlPlSQ_SR_N2at6native12_GLOBAL__N_18offset_tEEE10hipError_tPvRmT1_PNSt15iterator_traitsISZ_E10value_typeET2_T3_PNS10_IS15_E10value_typeET4_jRbjT5_S1B_jjP12ihipStream_tbEUljE_ZNSN_ISO_Lb1ESQ_SR_SQ_SR_SV_EESW_SX_SY_SZ_S13_S14_S15_S18_S19_jS1A_jS1B_S1B_jjS1D_bEUljE0_EEESW_SX_SY_S15_S19_S1B_T6_T7_T9_mT8_S1D_bDpT10_ENKUlT_T0_E_clISt17integral_constantIbLb1EES1Q_IbLb0EEEEDaS1M_S1N_EUlS1M_E_NS1_11comp_targetILNS1_3genE9ELNS1_11target_archE1100ELNS1_3gpuE3ELNS1_3repE0EEENS1_30default_config_static_selectorELNS0_4arch9wavefront6targetE1EEEvSZ_.numbered_sgpr, 0
	.set _ZN7rocprim17ROCPRIM_400000_NS6detail17trampoline_kernelINS0_13select_configILj256ELj13ELNS0_17block_load_methodE3ELS4_3ELS4_3ELNS0_20block_scan_algorithmE0ELj4294967295EEENS1_25partition_config_selectorILNS1_17partition_subalgoE4EjNS0_10empty_typeEbEEZZNS1_14partition_implILS8_4ELb0ES6_15HIP_vector_typeIjLj2EENS0_17counting_iteratorIjlEEPS9_SG_NS0_5tupleIJPjSI_NS0_16reverse_iteratorISI_EEEEENSH_IJSG_SG_SG_EEES9_SI_JZNS1_25segmented_radix_sort_implINS0_14default_configELb1EPKlPlSQ_SR_N2at6native12_GLOBAL__N_18offset_tEEE10hipError_tPvRmT1_PNSt15iterator_traitsISZ_E10value_typeET2_T3_PNS10_IS15_E10value_typeET4_jRbjT5_S1B_jjP12ihipStream_tbEUljE_ZNSN_ISO_Lb1ESQ_SR_SQ_SR_SV_EESW_SX_SY_SZ_S13_S14_S15_S18_S19_jS1A_jS1B_S1B_jjS1D_bEUljE0_EEESW_SX_SY_S15_S19_S1B_T6_T7_T9_mT8_S1D_bDpT10_ENKUlT_T0_E_clISt17integral_constantIbLb1EES1Q_IbLb0EEEEDaS1M_S1N_EUlS1M_E_NS1_11comp_targetILNS1_3genE9ELNS1_11target_archE1100ELNS1_3gpuE3ELNS1_3repE0EEENS1_30default_config_static_selectorELNS0_4arch9wavefront6targetE1EEEvSZ_.num_named_barrier, 0
	.set _ZN7rocprim17ROCPRIM_400000_NS6detail17trampoline_kernelINS0_13select_configILj256ELj13ELNS0_17block_load_methodE3ELS4_3ELS4_3ELNS0_20block_scan_algorithmE0ELj4294967295EEENS1_25partition_config_selectorILNS1_17partition_subalgoE4EjNS0_10empty_typeEbEEZZNS1_14partition_implILS8_4ELb0ES6_15HIP_vector_typeIjLj2EENS0_17counting_iteratorIjlEEPS9_SG_NS0_5tupleIJPjSI_NS0_16reverse_iteratorISI_EEEEENSH_IJSG_SG_SG_EEES9_SI_JZNS1_25segmented_radix_sort_implINS0_14default_configELb1EPKlPlSQ_SR_N2at6native12_GLOBAL__N_18offset_tEEE10hipError_tPvRmT1_PNSt15iterator_traitsISZ_E10value_typeET2_T3_PNS10_IS15_E10value_typeET4_jRbjT5_S1B_jjP12ihipStream_tbEUljE_ZNSN_ISO_Lb1ESQ_SR_SQ_SR_SV_EESW_SX_SY_SZ_S13_S14_S15_S18_S19_jS1A_jS1B_S1B_jjS1D_bEUljE0_EEESW_SX_SY_S15_S19_S1B_T6_T7_T9_mT8_S1D_bDpT10_ENKUlT_T0_E_clISt17integral_constantIbLb1EES1Q_IbLb0EEEEDaS1M_S1N_EUlS1M_E_NS1_11comp_targetILNS1_3genE9ELNS1_11target_archE1100ELNS1_3gpuE3ELNS1_3repE0EEENS1_30default_config_static_selectorELNS0_4arch9wavefront6targetE1EEEvSZ_.private_seg_size, 0
	.set _ZN7rocprim17ROCPRIM_400000_NS6detail17trampoline_kernelINS0_13select_configILj256ELj13ELNS0_17block_load_methodE3ELS4_3ELS4_3ELNS0_20block_scan_algorithmE0ELj4294967295EEENS1_25partition_config_selectorILNS1_17partition_subalgoE4EjNS0_10empty_typeEbEEZZNS1_14partition_implILS8_4ELb0ES6_15HIP_vector_typeIjLj2EENS0_17counting_iteratorIjlEEPS9_SG_NS0_5tupleIJPjSI_NS0_16reverse_iteratorISI_EEEEENSH_IJSG_SG_SG_EEES9_SI_JZNS1_25segmented_radix_sort_implINS0_14default_configELb1EPKlPlSQ_SR_N2at6native12_GLOBAL__N_18offset_tEEE10hipError_tPvRmT1_PNSt15iterator_traitsISZ_E10value_typeET2_T3_PNS10_IS15_E10value_typeET4_jRbjT5_S1B_jjP12ihipStream_tbEUljE_ZNSN_ISO_Lb1ESQ_SR_SQ_SR_SV_EESW_SX_SY_SZ_S13_S14_S15_S18_S19_jS1A_jS1B_S1B_jjS1D_bEUljE0_EEESW_SX_SY_S15_S19_S1B_T6_T7_T9_mT8_S1D_bDpT10_ENKUlT_T0_E_clISt17integral_constantIbLb1EES1Q_IbLb0EEEEDaS1M_S1N_EUlS1M_E_NS1_11comp_targetILNS1_3genE9ELNS1_11target_archE1100ELNS1_3gpuE3ELNS1_3repE0EEENS1_30default_config_static_selectorELNS0_4arch9wavefront6targetE1EEEvSZ_.uses_vcc, 0
	.set _ZN7rocprim17ROCPRIM_400000_NS6detail17trampoline_kernelINS0_13select_configILj256ELj13ELNS0_17block_load_methodE3ELS4_3ELS4_3ELNS0_20block_scan_algorithmE0ELj4294967295EEENS1_25partition_config_selectorILNS1_17partition_subalgoE4EjNS0_10empty_typeEbEEZZNS1_14partition_implILS8_4ELb0ES6_15HIP_vector_typeIjLj2EENS0_17counting_iteratorIjlEEPS9_SG_NS0_5tupleIJPjSI_NS0_16reverse_iteratorISI_EEEEENSH_IJSG_SG_SG_EEES9_SI_JZNS1_25segmented_radix_sort_implINS0_14default_configELb1EPKlPlSQ_SR_N2at6native12_GLOBAL__N_18offset_tEEE10hipError_tPvRmT1_PNSt15iterator_traitsISZ_E10value_typeET2_T3_PNS10_IS15_E10value_typeET4_jRbjT5_S1B_jjP12ihipStream_tbEUljE_ZNSN_ISO_Lb1ESQ_SR_SQ_SR_SV_EESW_SX_SY_SZ_S13_S14_S15_S18_S19_jS1A_jS1B_S1B_jjS1D_bEUljE0_EEESW_SX_SY_S15_S19_S1B_T6_T7_T9_mT8_S1D_bDpT10_ENKUlT_T0_E_clISt17integral_constantIbLb1EES1Q_IbLb0EEEEDaS1M_S1N_EUlS1M_E_NS1_11comp_targetILNS1_3genE9ELNS1_11target_archE1100ELNS1_3gpuE3ELNS1_3repE0EEENS1_30default_config_static_selectorELNS0_4arch9wavefront6targetE1EEEvSZ_.uses_flat_scratch, 0
	.set _ZN7rocprim17ROCPRIM_400000_NS6detail17trampoline_kernelINS0_13select_configILj256ELj13ELNS0_17block_load_methodE3ELS4_3ELS4_3ELNS0_20block_scan_algorithmE0ELj4294967295EEENS1_25partition_config_selectorILNS1_17partition_subalgoE4EjNS0_10empty_typeEbEEZZNS1_14partition_implILS8_4ELb0ES6_15HIP_vector_typeIjLj2EENS0_17counting_iteratorIjlEEPS9_SG_NS0_5tupleIJPjSI_NS0_16reverse_iteratorISI_EEEEENSH_IJSG_SG_SG_EEES9_SI_JZNS1_25segmented_radix_sort_implINS0_14default_configELb1EPKlPlSQ_SR_N2at6native12_GLOBAL__N_18offset_tEEE10hipError_tPvRmT1_PNSt15iterator_traitsISZ_E10value_typeET2_T3_PNS10_IS15_E10value_typeET4_jRbjT5_S1B_jjP12ihipStream_tbEUljE_ZNSN_ISO_Lb1ESQ_SR_SQ_SR_SV_EESW_SX_SY_SZ_S13_S14_S15_S18_S19_jS1A_jS1B_S1B_jjS1D_bEUljE0_EEESW_SX_SY_S15_S19_S1B_T6_T7_T9_mT8_S1D_bDpT10_ENKUlT_T0_E_clISt17integral_constantIbLb1EES1Q_IbLb0EEEEDaS1M_S1N_EUlS1M_E_NS1_11comp_targetILNS1_3genE9ELNS1_11target_archE1100ELNS1_3gpuE3ELNS1_3repE0EEENS1_30default_config_static_selectorELNS0_4arch9wavefront6targetE1EEEvSZ_.has_dyn_sized_stack, 0
	.set _ZN7rocprim17ROCPRIM_400000_NS6detail17trampoline_kernelINS0_13select_configILj256ELj13ELNS0_17block_load_methodE3ELS4_3ELS4_3ELNS0_20block_scan_algorithmE0ELj4294967295EEENS1_25partition_config_selectorILNS1_17partition_subalgoE4EjNS0_10empty_typeEbEEZZNS1_14partition_implILS8_4ELb0ES6_15HIP_vector_typeIjLj2EENS0_17counting_iteratorIjlEEPS9_SG_NS0_5tupleIJPjSI_NS0_16reverse_iteratorISI_EEEEENSH_IJSG_SG_SG_EEES9_SI_JZNS1_25segmented_radix_sort_implINS0_14default_configELb1EPKlPlSQ_SR_N2at6native12_GLOBAL__N_18offset_tEEE10hipError_tPvRmT1_PNSt15iterator_traitsISZ_E10value_typeET2_T3_PNS10_IS15_E10value_typeET4_jRbjT5_S1B_jjP12ihipStream_tbEUljE_ZNSN_ISO_Lb1ESQ_SR_SQ_SR_SV_EESW_SX_SY_SZ_S13_S14_S15_S18_S19_jS1A_jS1B_S1B_jjS1D_bEUljE0_EEESW_SX_SY_S15_S19_S1B_T6_T7_T9_mT8_S1D_bDpT10_ENKUlT_T0_E_clISt17integral_constantIbLb1EES1Q_IbLb0EEEEDaS1M_S1N_EUlS1M_E_NS1_11comp_targetILNS1_3genE9ELNS1_11target_archE1100ELNS1_3gpuE3ELNS1_3repE0EEENS1_30default_config_static_selectorELNS0_4arch9wavefront6targetE1EEEvSZ_.has_recursion, 0
	.set _ZN7rocprim17ROCPRIM_400000_NS6detail17trampoline_kernelINS0_13select_configILj256ELj13ELNS0_17block_load_methodE3ELS4_3ELS4_3ELNS0_20block_scan_algorithmE0ELj4294967295EEENS1_25partition_config_selectorILNS1_17partition_subalgoE4EjNS0_10empty_typeEbEEZZNS1_14partition_implILS8_4ELb0ES6_15HIP_vector_typeIjLj2EENS0_17counting_iteratorIjlEEPS9_SG_NS0_5tupleIJPjSI_NS0_16reverse_iteratorISI_EEEEENSH_IJSG_SG_SG_EEES9_SI_JZNS1_25segmented_radix_sort_implINS0_14default_configELb1EPKlPlSQ_SR_N2at6native12_GLOBAL__N_18offset_tEEE10hipError_tPvRmT1_PNSt15iterator_traitsISZ_E10value_typeET2_T3_PNS10_IS15_E10value_typeET4_jRbjT5_S1B_jjP12ihipStream_tbEUljE_ZNSN_ISO_Lb1ESQ_SR_SQ_SR_SV_EESW_SX_SY_SZ_S13_S14_S15_S18_S19_jS1A_jS1B_S1B_jjS1D_bEUljE0_EEESW_SX_SY_S15_S19_S1B_T6_T7_T9_mT8_S1D_bDpT10_ENKUlT_T0_E_clISt17integral_constantIbLb1EES1Q_IbLb0EEEEDaS1M_S1N_EUlS1M_E_NS1_11comp_targetILNS1_3genE9ELNS1_11target_archE1100ELNS1_3gpuE3ELNS1_3repE0EEENS1_30default_config_static_selectorELNS0_4arch9wavefront6targetE1EEEvSZ_.has_indirect_call, 0
	.section	.AMDGPU.csdata,"",@progbits
; Kernel info:
; codeLenInByte = 0
; TotalNumSgprs: 4
; NumVgprs: 0
; ScratchSize: 0
; MemoryBound: 0
; FloatMode: 240
; IeeeMode: 1
; LDSByteSize: 0 bytes/workgroup (compile time only)
; SGPRBlocks: 0
; VGPRBlocks: 0
; NumSGPRsForWavesPerEU: 4
; NumVGPRsForWavesPerEU: 1
; Occupancy: 10
; WaveLimiterHint : 0
; COMPUTE_PGM_RSRC2:SCRATCH_EN: 0
; COMPUTE_PGM_RSRC2:USER_SGPR: 6
; COMPUTE_PGM_RSRC2:TRAP_HANDLER: 0
; COMPUTE_PGM_RSRC2:TGID_X_EN: 1
; COMPUTE_PGM_RSRC2:TGID_Y_EN: 0
; COMPUTE_PGM_RSRC2:TGID_Z_EN: 0
; COMPUTE_PGM_RSRC2:TIDIG_COMP_CNT: 0
	.section	.text._ZN7rocprim17ROCPRIM_400000_NS6detail17trampoline_kernelINS0_13select_configILj256ELj13ELNS0_17block_load_methodE3ELS4_3ELS4_3ELNS0_20block_scan_algorithmE0ELj4294967295EEENS1_25partition_config_selectorILNS1_17partition_subalgoE4EjNS0_10empty_typeEbEEZZNS1_14partition_implILS8_4ELb0ES6_15HIP_vector_typeIjLj2EENS0_17counting_iteratorIjlEEPS9_SG_NS0_5tupleIJPjSI_NS0_16reverse_iteratorISI_EEEEENSH_IJSG_SG_SG_EEES9_SI_JZNS1_25segmented_radix_sort_implINS0_14default_configELb1EPKlPlSQ_SR_N2at6native12_GLOBAL__N_18offset_tEEE10hipError_tPvRmT1_PNSt15iterator_traitsISZ_E10value_typeET2_T3_PNS10_IS15_E10value_typeET4_jRbjT5_S1B_jjP12ihipStream_tbEUljE_ZNSN_ISO_Lb1ESQ_SR_SQ_SR_SV_EESW_SX_SY_SZ_S13_S14_S15_S18_S19_jS1A_jS1B_S1B_jjS1D_bEUljE0_EEESW_SX_SY_S15_S19_S1B_T6_T7_T9_mT8_S1D_bDpT10_ENKUlT_T0_E_clISt17integral_constantIbLb1EES1Q_IbLb0EEEEDaS1M_S1N_EUlS1M_E_NS1_11comp_targetILNS1_3genE8ELNS1_11target_archE1030ELNS1_3gpuE2ELNS1_3repE0EEENS1_30default_config_static_selectorELNS0_4arch9wavefront6targetE1EEEvSZ_,"axG",@progbits,_ZN7rocprim17ROCPRIM_400000_NS6detail17trampoline_kernelINS0_13select_configILj256ELj13ELNS0_17block_load_methodE3ELS4_3ELS4_3ELNS0_20block_scan_algorithmE0ELj4294967295EEENS1_25partition_config_selectorILNS1_17partition_subalgoE4EjNS0_10empty_typeEbEEZZNS1_14partition_implILS8_4ELb0ES6_15HIP_vector_typeIjLj2EENS0_17counting_iteratorIjlEEPS9_SG_NS0_5tupleIJPjSI_NS0_16reverse_iteratorISI_EEEEENSH_IJSG_SG_SG_EEES9_SI_JZNS1_25segmented_radix_sort_implINS0_14default_configELb1EPKlPlSQ_SR_N2at6native12_GLOBAL__N_18offset_tEEE10hipError_tPvRmT1_PNSt15iterator_traitsISZ_E10value_typeET2_T3_PNS10_IS15_E10value_typeET4_jRbjT5_S1B_jjP12ihipStream_tbEUljE_ZNSN_ISO_Lb1ESQ_SR_SQ_SR_SV_EESW_SX_SY_SZ_S13_S14_S15_S18_S19_jS1A_jS1B_S1B_jjS1D_bEUljE0_EEESW_SX_SY_S15_S19_S1B_T6_T7_T9_mT8_S1D_bDpT10_ENKUlT_T0_E_clISt17integral_constantIbLb1EES1Q_IbLb0EEEEDaS1M_S1N_EUlS1M_E_NS1_11comp_targetILNS1_3genE8ELNS1_11target_archE1030ELNS1_3gpuE2ELNS1_3repE0EEENS1_30default_config_static_selectorELNS0_4arch9wavefront6targetE1EEEvSZ_,comdat
	.globl	_ZN7rocprim17ROCPRIM_400000_NS6detail17trampoline_kernelINS0_13select_configILj256ELj13ELNS0_17block_load_methodE3ELS4_3ELS4_3ELNS0_20block_scan_algorithmE0ELj4294967295EEENS1_25partition_config_selectorILNS1_17partition_subalgoE4EjNS0_10empty_typeEbEEZZNS1_14partition_implILS8_4ELb0ES6_15HIP_vector_typeIjLj2EENS0_17counting_iteratorIjlEEPS9_SG_NS0_5tupleIJPjSI_NS0_16reverse_iteratorISI_EEEEENSH_IJSG_SG_SG_EEES9_SI_JZNS1_25segmented_radix_sort_implINS0_14default_configELb1EPKlPlSQ_SR_N2at6native12_GLOBAL__N_18offset_tEEE10hipError_tPvRmT1_PNSt15iterator_traitsISZ_E10value_typeET2_T3_PNS10_IS15_E10value_typeET4_jRbjT5_S1B_jjP12ihipStream_tbEUljE_ZNSN_ISO_Lb1ESQ_SR_SQ_SR_SV_EESW_SX_SY_SZ_S13_S14_S15_S18_S19_jS1A_jS1B_S1B_jjS1D_bEUljE0_EEESW_SX_SY_S15_S19_S1B_T6_T7_T9_mT8_S1D_bDpT10_ENKUlT_T0_E_clISt17integral_constantIbLb1EES1Q_IbLb0EEEEDaS1M_S1N_EUlS1M_E_NS1_11comp_targetILNS1_3genE8ELNS1_11target_archE1030ELNS1_3gpuE2ELNS1_3repE0EEENS1_30default_config_static_selectorELNS0_4arch9wavefront6targetE1EEEvSZ_ ; -- Begin function _ZN7rocprim17ROCPRIM_400000_NS6detail17trampoline_kernelINS0_13select_configILj256ELj13ELNS0_17block_load_methodE3ELS4_3ELS4_3ELNS0_20block_scan_algorithmE0ELj4294967295EEENS1_25partition_config_selectorILNS1_17partition_subalgoE4EjNS0_10empty_typeEbEEZZNS1_14partition_implILS8_4ELb0ES6_15HIP_vector_typeIjLj2EENS0_17counting_iteratorIjlEEPS9_SG_NS0_5tupleIJPjSI_NS0_16reverse_iteratorISI_EEEEENSH_IJSG_SG_SG_EEES9_SI_JZNS1_25segmented_radix_sort_implINS0_14default_configELb1EPKlPlSQ_SR_N2at6native12_GLOBAL__N_18offset_tEEE10hipError_tPvRmT1_PNSt15iterator_traitsISZ_E10value_typeET2_T3_PNS10_IS15_E10value_typeET4_jRbjT5_S1B_jjP12ihipStream_tbEUljE_ZNSN_ISO_Lb1ESQ_SR_SQ_SR_SV_EESW_SX_SY_SZ_S13_S14_S15_S18_S19_jS1A_jS1B_S1B_jjS1D_bEUljE0_EEESW_SX_SY_S15_S19_S1B_T6_T7_T9_mT8_S1D_bDpT10_ENKUlT_T0_E_clISt17integral_constantIbLb1EES1Q_IbLb0EEEEDaS1M_S1N_EUlS1M_E_NS1_11comp_targetILNS1_3genE8ELNS1_11target_archE1030ELNS1_3gpuE2ELNS1_3repE0EEENS1_30default_config_static_selectorELNS0_4arch9wavefront6targetE1EEEvSZ_
	.p2align	8
	.type	_ZN7rocprim17ROCPRIM_400000_NS6detail17trampoline_kernelINS0_13select_configILj256ELj13ELNS0_17block_load_methodE3ELS4_3ELS4_3ELNS0_20block_scan_algorithmE0ELj4294967295EEENS1_25partition_config_selectorILNS1_17partition_subalgoE4EjNS0_10empty_typeEbEEZZNS1_14partition_implILS8_4ELb0ES6_15HIP_vector_typeIjLj2EENS0_17counting_iteratorIjlEEPS9_SG_NS0_5tupleIJPjSI_NS0_16reverse_iteratorISI_EEEEENSH_IJSG_SG_SG_EEES9_SI_JZNS1_25segmented_radix_sort_implINS0_14default_configELb1EPKlPlSQ_SR_N2at6native12_GLOBAL__N_18offset_tEEE10hipError_tPvRmT1_PNSt15iterator_traitsISZ_E10value_typeET2_T3_PNS10_IS15_E10value_typeET4_jRbjT5_S1B_jjP12ihipStream_tbEUljE_ZNSN_ISO_Lb1ESQ_SR_SQ_SR_SV_EESW_SX_SY_SZ_S13_S14_S15_S18_S19_jS1A_jS1B_S1B_jjS1D_bEUljE0_EEESW_SX_SY_S15_S19_S1B_T6_T7_T9_mT8_S1D_bDpT10_ENKUlT_T0_E_clISt17integral_constantIbLb1EES1Q_IbLb0EEEEDaS1M_S1N_EUlS1M_E_NS1_11comp_targetILNS1_3genE8ELNS1_11target_archE1030ELNS1_3gpuE2ELNS1_3repE0EEENS1_30default_config_static_selectorELNS0_4arch9wavefront6targetE1EEEvSZ_,@function
_ZN7rocprim17ROCPRIM_400000_NS6detail17trampoline_kernelINS0_13select_configILj256ELj13ELNS0_17block_load_methodE3ELS4_3ELS4_3ELNS0_20block_scan_algorithmE0ELj4294967295EEENS1_25partition_config_selectorILNS1_17partition_subalgoE4EjNS0_10empty_typeEbEEZZNS1_14partition_implILS8_4ELb0ES6_15HIP_vector_typeIjLj2EENS0_17counting_iteratorIjlEEPS9_SG_NS0_5tupleIJPjSI_NS0_16reverse_iteratorISI_EEEEENSH_IJSG_SG_SG_EEES9_SI_JZNS1_25segmented_radix_sort_implINS0_14default_configELb1EPKlPlSQ_SR_N2at6native12_GLOBAL__N_18offset_tEEE10hipError_tPvRmT1_PNSt15iterator_traitsISZ_E10value_typeET2_T3_PNS10_IS15_E10value_typeET4_jRbjT5_S1B_jjP12ihipStream_tbEUljE_ZNSN_ISO_Lb1ESQ_SR_SQ_SR_SV_EESW_SX_SY_SZ_S13_S14_S15_S18_S19_jS1A_jS1B_S1B_jjS1D_bEUljE0_EEESW_SX_SY_S15_S19_S1B_T6_T7_T9_mT8_S1D_bDpT10_ENKUlT_T0_E_clISt17integral_constantIbLb1EES1Q_IbLb0EEEEDaS1M_S1N_EUlS1M_E_NS1_11comp_targetILNS1_3genE8ELNS1_11target_archE1030ELNS1_3gpuE2ELNS1_3repE0EEENS1_30default_config_static_selectorELNS0_4arch9wavefront6targetE1EEEvSZ_: ; @_ZN7rocprim17ROCPRIM_400000_NS6detail17trampoline_kernelINS0_13select_configILj256ELj13ELNS0_17block_load_methodE3ELS4_3ELS4_3ELNS0_20block_scan_algorithmE0ELj4294967295EEENS1_25partition_config_selectorILNS1_17partition_subalgoE4EjNS0_10empty_typeEbEEZZNS1_14partition_implILS8_4ELb0ES6_15HIP_vector_typeIjLj2EENS0_17counting_iteratorIjlEEPS9_SG_NS0_5tupleIJPjSI_NS0_16reverse_iteratorISI_EEEEENSH_IJSG_SG_SG_EEES9_SI_JZNS1_25segmented_radix_sort_implINS0_14default_configELb1EPKlPlSQ_SR_N2at6native12_GLOBAL__N_18offset_tEEE10hipError_tPvRmT1_PNSt15iterator_traitsISZ_E10value_typeET2_T3_PNS10_IS15_E10value_typeET4_jRbjT5_S1B_jjP12ihipStream_tbEUljE_ZNSN_ISO_Lb1ESQ_SR_SQ_SR_SV_EESW_SX_SY_SZ_S13_S14_S15_S18_S19_jS1A_jS1B_S1B_jjS1D_bEUljE0_EEESW_SX_SY_S15_S19_S1B_T6_T7_T9_mT8_S1D_bDpT10_ENKUlT_T0_E_clISt17integral_constantIbLb1EES1Q_IbLb0EEEEDaS1M_S1N_EUlS1M_E_NS1_11comp_targetILNS1_3genE8ELNS1_11target_archE1030ELNS1_3gpuE2ELNS1_3repE0EEENS1_30default_config_static_selectorELNS0_4arch9wavefront6targetE1EEEvSZ_
; %bb.0:
	.section	.rodata,"a",@progbits
	.p2align	6, 0x0
	.amdhsa_kernel _ZN7rocprim17ROCPRIM_400000_NS6detail17trampoline_kernelINS0_13select_configILj256ELj13ELNS0_17block_load_methodE3ELS4_3ELS4_3ELNS0_20block_scan_algorithmE0ELj4294967295EEENS1_25partition_config_selectorILNS1_17partition_subalgoE4EjNS0_10empty_typeEbEEZZNS1_14partition_implILS8_4ELb0ES6_15HIP_vector_typeIjLj2EENS0_17counting_iteratorIjlEEPS9_SG_NS0_5tupleIJPjSI_NS0_16reverse_iteratorISI_EEEEENSH_IJSG_SG_SG_EEES9_SI_JZNS1_25segmented_radix_sort_implINS0_14default_configELb1EPKlPlSQ_SR_N2at6native12_GLOBAL__N_18offset_tEEE10hipError_tPvRmT1_PNSt15iterator_traitsISZ_E10value_typeET2_T3_PNS10_IS15_E10value_typeET4_jRbjT5_S1B_jjP12ihipStream_tbEUljE_ZNSN_ISO_Lb1ESQ_SR_SQ_SR_SV_EESW_SX_SY_SZ_S13_S14_S15_S18_S19_jS1A_jS1B_S1B_jjS1D_bEUljE0_EEESW_SX_SY_S15_S19_S1B_T6_T7_T9_mT8_S1D_bDpT10_ENKUlT_T0_E_clISt17integral_constantIbLb1EES1Q_IbLb0EEEEDaS1M_S1N_EUlS1M_E_NS1_11comp_targetILNS1_3genE8ELNS1_11target_archE1030ELNS1_3gpuE2ELNS1_3repE0EEENS1_30default_config_static_selectorELNS0_4arch9wavefront6targetE1EEEvSZ_
		.amdhsa_group_segment_fixed_size 0
		.amdhsa_private_segment_fixed_size 0
		.amdhsa_kernarg_size 176
		.amdhsa_user_sgpr_count 6
		.amdhsa_user_sgpr_private_segment_buffer 1
		.amdhsa_user_sgpr_dispatch_ptr 0
		.amdhsa_user_sgpr_queue_ptr 0
		.amdhsa_user_sgpr_kernarg_segment_ptr 1
		.amdhsa_user_sgpr_dispatch_id 0
		.amdhsa_user_sgpr_flat_scratch_init 0
		.amdhsa_user_sgpr_private_segment_size 0
		.amdhsa_uses_dynamic_stack 0
		.amdhsa_system_sgpr_private_segment_wavefront_offset 0
		.amdhsa_system_sgpr_workgroup_id_x 1
		.amdhsa_system_sgpr_workgroup_id_y 0
		.amdhsa_system_sgpr_workgroup_id_z 0
		.amdhsa_system_sgpr_workgroup_info 0
		.amdhsa_system_vgpr_workitem_id 0
		.amdhsa_next_free_vgpr 1
		.amdhsa_next_free_sgpr 0
		.amdhsa_reserve_vcc 0
		.amdhsa_reserve_flat_scratch 0
		.amdhsa_float_round_mode_32 0
		.amdhsa_float_round_mode_16_64 0
		.amdhsa_float_denorm_mode_32 3
		.amdhsa_float_denorm_mode_16_64 3
		.amdhsa_dx10_clamp 1
		.amdhsa_ieee_mode 1
		.amdhsa_fp16_overflow 0
		.amdhsa_exception_fp_ieee_invalid_op 0
		.amdhsa_exception_fp_denorm_src 0
		.amdhsa_exception_fp_ieee_div_zero 0
		.amdhsa_exception_fp_ieee_overflow 0
		.amdhsa_exception_fp_ieee_underflow 0
		.amdhsa_exception_fp_ieee_inexact 0
		.amdhsa_exception_int_div_zero 0
	.end_amdhsa_kernel
	.section	.text._ZN7rocprim17ROCPRIM_400000_NS6detail17trampoline_kernelINS0_13select_configILj256ELj13ELNS0_17block_load_methodE3ELS4_3ELS4_3ELNS0_20block_scan_algorithmE0ELj4294967295EEENS1_25partition_config_selectorILNS1_17partition_subalgoE4EjNS0_10empty_typeEbEEZZNS1_14partition_implILS8_4ELb0ES6_15HIP_vector_typeIjLj2EENS0_17counting_iteratorIjlEEPS9_SG_NS0_5tupleIJPjSI_NS0_16reverse_iteratorISI_EEEEENSH_IJSG_SG_SG_EEES9_SI_JZNS1_25segmented_radix_sort_implINS0_14default_configELb1EPKlPlSQ_SR_N2at6native12_GLOBAL__N_18offset_tEEE10hipError_tPvRmT1_PNSt15iterator_traitsISZ_E10value_typeET2_T3_PNS10_IS15_E10value_typeET4_jRbjT5_S1B_jjP12ihipStream_tbEUljE_ZNSN_ISO_Lb1ESQ_SR_SQ_SR_SV_EESW_SX_SY_SZ_S13_S14_S15_S18_S19_jS1A_jS1B_S1B_jjS1D_bEUljE0_EEESW_SX_SY_S15_S19_S1B_T6_T7_T9_mT8_S1D_bDpT10_ENKUlT_T0_E_clISt17integral_constantIbLb1EES1Q_IbLb0EEEEDaS1M_S1N_EUlS1M_E_NS1_11comp_targetILNS1_3genE8ELNS1_11target_archE1030ELNS1_3gpuE2ELNS1_3repE0EEENS1_30default_config_static_selectorELNS0_4arch9wavefront6targetE1EEEvSZ_,"axG",@progbits,_ZN7rocprim17ROCPRIM_400000_NS6detail17trampoline_kernelINS0_13select_configILj256ELj13ELNS0_17block_load_methodE3ELS4_3ELS4_3ELNS0_20block_scan_algorithmE0ELj4294967295EEENS1_25partition_config_selectorILNS1_17partition_subalgoE4EjNS0_10empty_typeEbEEZZNS1_14partition_implILS8_4ELb0ES6_15HIP_vector_typeIjLj2EENS0_17counting_iteratorIjlEEPS9_SG_NS0_5tupleIJPjSI_NS0_16reverse_iteratorISI_EEEEENSH_IJSG_SG_SG_EEES9_SI_JZNS1_25segmented_radix_sort_implINS0_14default_configELb1EPKlPlSQ_SR_N2at6native12_GLOBAL__N_18offset_tEEE10hipError_tPvRmT1_PNSt15iterator_traitsISZ_E10value_typeET2_T3_PNS10_IS15_E10value_typeET4_jRbjT5_S1B_jjP12ihipStream_tbEUljE_ZNSN_ISO_Lb1ESQ_SR_SQ_SR_SV_EESW_SX_SY_SZ_S13_S14_S15_S18_S19_jS1A_jS1B_S1B_jjS1D_bEUljE0_EEESW_SX_SY_S15_S19_S1B_T6_T7_T9_mT8_S1D_bDpT10_ENKUlT_T0_E_clISt17integral_constantIbLb1EES1Q_IbLb0EEEEDaS1M_S1N_EUlS1M_E_NS1_11comp_targetILNS1_3genE8ELNS1_11target_archE1030ELNS1_3gpuE2ELNS1_3repE0EEENS1_30default_config_static_selectorELNS0_4arch9wavefront6targetE1EEEvSZ_,comdat
.Lfunc_end663:
	.size	_ZN7rocprim17ROCPRIM_400000_NS6detail17trampoline_kernelINS0_13select_configILj256ELj13ELNS0_17block_load_methodE3ELS4_3ELS4_3ELNS0_20block_scan_algorithmE0ELj4294967295EEENS1_25partition_config_selectorILNS1_17partition_subalgoE4EjNS0_10empty_typeEbEEZZNS1_14partition_implILS8_4ELb0ES6_15HIP_vector_typeIjLj2EENS0_17counting_iteratorIjlEEPS9_SG_NS0_5tupleIJPjSI_NS0_16reverse_iteratorISI_EEEEENSH_IJSG_SG_SG_EEES9_SI_JZNS1_25segmented_radix_sort_implINS0_14default_configELb1EPKlPlSQ_SR_N2at6native12_GLOBAL__N_18offset_tEEE10hipError_tPvRmT1_PNSt15iterator_traitsISZ_E10value_typeET2_T3_PNS10_IS15_E10value_typeET4_jRbjT5_S1B_jjP12ihipStream_tbEUljE_ZNSN_ISO_Lb1ESQ_SR_SQ_SR_SV_EESW_SX_SY_SZ_S13_S14_S15_S18_S19_jS1A_jS1B_S1B_jjS1D_bEUljE0_EEESW_SX_SY_S15_S19_S1B_T6_T7_T9_mT8_S1D_bDpT10_ENKUlT_T0_E_clISt17integral_constantIbLb1EES1Q_IbLb0EEEEDaS1M_S1N_EUlS1M_E_NS1_11comp_targetILNS1_3genE8ELNS1_11target_archE1030ELNS1_3gpuE2ELNS1_3repE0EEENS1_30default_config_static_selectorELNS0_4arch9wavefront6targetE1EEEvSZ_, .Lfunc_end663-_ZN7rocprim17ROCPRIM_400000_NS6detail17trampoline_kernelINS0_13select_configILj256ELj13ELNS0_17block_load_methodE3ELS4_3ELS4_3ELNS0_20block_scan_algorithmE0ELj4294967295EEENS1_25partition_config_selectorILNS1_17partition_subalgoE4EjNS0_10empty_typeEbEEZZNS1_14partition_implILS8_4ELb0ES6_15HIP_vector_typeIjLj2EENS0_17counting_iteratorIjlEEPS9_SG_NS0_5tupleIJPjSI_NS0_16reverse_iteratorISI_EEEEENSH_IJSG_SG_SG_EEES9_SI_JZNS1_25segmented_radix_sort_implINS0_14default_configELb1EPKlPlSQ_SR_N2at6native12_GLOBAL__N_18offset_tEEE10hipError_tPvRmT1_PNSt15iterator_traitsISZ_E10value_typeET2_T3_PNS10_IS15_E10value_typeET4_jRbjT5_S1B_jjP12ihipStream_tbEUljE_ZNSN_ISO_Lb1ESQ_SR_SQ_SR_SV_EESW_SX_SY_SZ_S13_S14_S15_S18_S19_jS1A_jS1B_S1B_jjS1D_bEUljE0_EEESW_SX_SY_S15_S19_S1B_T6_T7_T9_mT8_S1D_bDpT10_ENKUlT_T0_E_clISt17integral_constantIbLb1EES1Q_IbLb0EEEEDaS1M_S1N_EUlS1M_E_NS1_11comp_targetILNS1_3genE8ELNS1_11target_archE1030ELNS1_3gpuE2ELNS1_3repE0EEENS1_30default_config_static_selectorELNS0_4arch9wavefront6targetE1EEEvSZ_
                                        ; -- End function
	.set _ZN7rocprim17ROCPRIM_400000_NS6detail17trampoline_kernelINS0_13select_configILj256ELj13ELNS0_17block_load_methodE3ELS4_3ELS4_3ELNS0_20block_scan_algorithmE0ELj4294967295EEENS1_25partition_config_selectorILNS1_17partition_subalgoE4EjNS0_10empty_typeEbEEZZNS1_14partition_implILS8_4ELb0ES6_15HIP_vector_typeIjLj2EENS0_17counting_iteratorIjlEEPS9_SG_NS0_5tupleIJPjSI_NS0_16reverse_iteratorISI_EEEEENSH_IJSG_SG_SG_EEES9_SI_JZNS1_25segmented_radix_sort_implINS0_14default_configELb1EPKlPlSQ_SR_N2at6native12_GLOBAL__N_18offset_tEEE10hipError_tPvRmT1_PNSt15iterator_traitsISZ_E10value_typeET2_T3_PNS10_IS15_E10value_typeET4_jRbjT5_S1B_jjP12ihipStream_tbEUljE_ZNSN_ISO_Lb1ESQ_SR_SQ_SR_SV_EESW_SX_SY_SZ_S13_S14_S15_S18_S19_jS1A_jS1B_S1B_jjS1D_bEUljE0_EEESW_SX_SY_S15_S19_S1B_T6_T7_T9_mT8_S1D_bDpT10_ENKUlT_T0_E_clISt17integral_constantIbLb1EES1Q_IbLb0EEEEDaS1M_S1N_EUlS1M_E_NS1_11comp_targetILNS1_3genE8ELNS1_11target_archE1030ELNS1_3gpuE2ELNS1_3repE0EEENS1_30default_config_static_selectorELNS0_4arch9wavefront6targetE1EEEvSZ_.num_vgpr, 0
	.set _ZN7rocprim17ROCPRIM_400000_NS6detail17trampoline_kernelINS0_13select_configILj256ELj13ELNS0_17block_load_methodE3ELS4_3ELS4_3ELNS0_20block_scan_algorithmE0ELj4294967295EEENS1_25partition_config_selectorILNS1_17partition_subalgoE4EjNS0_10empty_typeEbEEZZNS1_14partition_implILS8_4ELb0ES6_15HIP_vector_typeIjLj2EENS0_17counting_iteratorIjlEEPS9_SG_NS0_5tupleIJPjSI_NS0_16reverse_iteratorISI_EEEEENSH_IJSG_SG_SG_EEES9_SI_JZNS1_25segmented_radix_sort_implINS0_14default_configELb1EPKlPlSQ_SR_N2at6native12_GLOBAL__N_18offset_tEEE10hipError_tPvRmT1_PNSt15iterator_traitsISZ_E10value_typeET2_T3_PNS10_IS15_E10value_typeET4_jRbjT5_S1B_jjP12ihipStream_tbEUljE_ZNSN_ISO_Lb1ESQ_SR_SQ_SR_SV_EESW_SX_SY_SZ_S13_S14_S15_S18_S19_jS1A_jS1B_S1B_jjS1D_bEUljE0_EEESW_SX_SY_S15_S19_S1B_T6_T7_T9_mT8_S1D_bDpT10_ENKUlT_T0_E_clISt17integral_constantIbLb1EES1Q_IbLb0EEEEDaS1M_S1N_EUlS1M_E_NS1_11comp_targetILNS1_3genE8ELNS1_11target_archE1030ELNS1_3gpuE2ELNS1_3repE0EEENS1_30default_config_static_selectorELNS0_4arch9wavefront6targetE1EEEvSZ_.num_agpr, 0
	.set _ZN7rocprim17ROCPRIM_400000_NS6detail17trampoline_kernelINS0_13select_configILj256ELj13ELNS0_17block_load_methodE3ELS4_3ELS4_3ELNS0_20block_scan_algorithmE0ELj4294967295EEENS1_25partition_config_selectorILNS1_17partition_subalgoE4EjNS0_10empty_typeEbEEZZNS1_14partition_implILS8_4ELb0ES6_15HIP_vector_typeIjLj2EENS0_17counting_iteratorIjlEEPS9_SG_NS0_5tupleIJPjSI_NS0_16reverse_iteratorISI_EEEEENSH_IJSG_SG_SG_EEES9_SI_JZNS1_25segmented_radix_sort_implINS0_14default_configELb1EPKlPlSQ_SR_N2at6native12_GLOBAL__N_18offset_tEEE10hipError_tPvRmT1_PNSt15iterator_traitsISZ_E10value_typeET2_T3_PNS10_IS15_E10value_typeET4_jRbjT5_S1B_jjP12ihipStream_tbEUljE_ZNSN_ISO_Lb1ESQ_SR_SQ_SR_SV_EESW_SX_SY_SZ_S13_S14_S15_S18_S19_jS1A_jS1B_S1B_jjS1D_bEUljE0_EEESW_SX_SY_S15_S19_S1B_T6_T7_T9_mT8_S1D_bDpT10_ENKUlT_T0_E_clISt17integral_constantIbLb1EES1Q_IbLb0EEEEDaS1M_S1N_EUlS1M_E_NS1_11comp_targetILNS1_3genE8ELNS1_11target_archE1030ELNS1_3gpuE2ELNS1_3repE0EEENS1_30default_config_static_selectorELNS0_4arch9wavefront6targetE1EEEvSZ_.numbered_sgpr, 0
	.set _ZN7rocprim17ROCPRIM_400000_NS6detail17trampoline_kernelINS0_13select_configILj256ELj13ELNS0_17block_load_methodE3ELS4_3ELS4_3ELNS0_20block_scan_algorithmE0ELj4294967295EEENS1_25partition_config_selectorILNS1_17partition_subalgoE4EjNS0_10empty_typeEbEEZZNS1_14partition_implILS8_4ELb0ES6_15HIP_vector_typeIjLj2EENS0_17counting_iteratorIjlEEPS9_SG_NS0_5tupleIJPjSI_NS0_16reverse_iteratorISI_EEEEENSH_IJSG_SG_SG_EEES9_SI_JZNS1_25segmented_radix_sort_implINS0_14default_configELb1EPKlPlSQ_SR_N2at6native12_GLOBAL__N_18offset_tEEE10hipError_tPvRmT1_PNSt15iterator_traitsISZ_E10value_typeET2_T3_PNS10_IS15_E10value_typeET4_jRbjT5_S1B_jjP12ihipStream_tbEUljE_ZNSN_ISO_Lb1ESQ_SR_SQ_SR_SV_EESW_SX_SY_SZ_S13_S14_S15_S18_S19_jS1A_jS1B_S1B_jjS1D_bEUljE0_EEESW_SX_SY_S15_S19_S1B_T6_T7_T9_mT8_S1D_bDpT10_ENKUlT_T0_E_clISt17integral_constantIbLb1EES1Q_IbLb0EEEEDaS1M_S1N_EUlS1M_E_NS1_11comp_targetILNS1_3genE8ELNS1_11target_archE1030ELNS1_3gpuE2ELNS1_3repE0EEENS1_30default_config_static_selectorELNS0_4arch9wavefront6targetE1EEEvSZ_.num_named_barrier, 0
	.set _ZN7rocprim17ROCPRIM_400000_NS6detail17trampoline_kernelINS0_13select_configILj256ELj13ELNS0_17block_load_methodE3ELS4_3ELS4_3ELNS0_20block_scan_algorithmE0ELj4294967295EEENS1_25partition_config_selectorILNS1_17partition_subalgoE4EjNS0_10empty_typeEbEEZZNS1_14partition_implILS8_4ELb0ES6_15HIP_vector_typeIjLj2EENS0_17counting_iteratorIjlEEPS9_SG_NS0_5tupleIJPjSI_NS0_16reverse_iteratorISI_EEEEENSH_IJSG_SG_SG_EEES9_SI_JZNS1_25segmented_radix_sort_implINS0_14default_configELb1EPKlPlSQ_SR_N2at6native12_GLOBAL__N_18offset_tEEE10hipError_tPvRmT1_PNSt15iterator_traitsISZ_E10value_typeET2_T3_PNS10_IS15_E10value_typeET4_jRbjT5_S1B_jjP12ihipStream_tbEUljE_ZNSN_ISO_Lb1ESQ_SR_SQ_SR_SV_EESW_SX_SY_SZ_S13_S14_S15_S18_S19_jS1A_jS1B_S1B_jjS1D_bEUljE0_EEESW_SX_SY_S15_S19_S1B_T6_T7_T9_mT8_S1D_bDpT10_ENKUlT_T0_E_clISt17integral_constantIbLb1EES1Q_IbLb0EEEEDaS1M_S1N_EUlS1M_E_NS1_11comp_targetILNS1_3genE8ELNS1_11target_archE1030ELNS1_3gpuE2ELNS1_3repE0EEENS1_30default_config_static_selectorELNS0_4arch9wavefront6targetE1EEEvSZ_.private_seg_size, 0
	.set _ZN7rocprim17ROCPRIM_400000_NS6detail17trampoline_kernelINS0_13select_configILj256ELj13ELNS0_17block_load_methodE3ELS4_3ELS4_3ELNS0_20block_scan_algorithmE0ELj4294967295EEENS1_25partition_config_selectorILNS1_17partition_subalgoE4EjNS0_10empty_typeEbEEZZNS1_14partition_implILS8_4ELb0ES6_15HIP_vector_typeIjLj2EENS0_17counting_iteratorIjlEEPS9_SG_NS0_5tupleIJPjSI_NS0_16reverse_iteratorISI_EEEEENSH_IJSG_SG_SG_EEES9_SI_JZNS1_25segmented_radix_sort_implINS0_14default_configELb1EPKlPlSQ_SR_N2at6native12_GLOBAL__N_18offset_tEEE10hipError_tPvRmT1_PNSt15iterator_traitsISZ_E10value_typeET2_T3_PNS10_IS15_E10value_typeET4_jRbjT5_S1B_jjP12ihipStream_tbEUljE_ZNSN_ISO_Lb1ESQ_SR_SQ_SR_SV_EESW_SX_SY_SZ_S13_S14_S15_S18_S19_jS1A_jS1B_S1B_jjS1D_bEUljE0_EEESW_SX_SY_S15_S19_S1B_T6_T7_T9_mT8_S1D_bDpT10_ENKUlT_T0_E_clISt17integral_constantIbLb1EES1Q_IbLb0EEEEDaS1M_S1N_EUlS1M_E_NS1_11comp_targetILNS1_3genE8ELNS1_11target_archE1030ELNS1_3gpuE2ELNS1_3repE0EEENS1_30default_config_static_selectorELNS0_4arch9wavefront6targetE1EEEvSZ_.uses_vcc, 0
	.set _ZN7rocprim17ROCPRIM_400000_NS6detail17trampoline_kernelINS0_13select_configILj256ELj13ELNS0_17block_load_methodE3ELS4_3ELS4_3ELNS0_20block_scan_algorithmE0ELj4294967295EEENS1_25partition_config_selectorILNS1_17partition_subalgoE4EjNS0_10empty_typeEbEEZZNS1_14partition_implILS8_4ELb0ES6_15HIP_vector_typeIjLj2EENS0_17counting_iteratorIjlEEPS9_SG_NS0_5tupleIJPjSI_NS0_16reverse_iteratorISI_EEEEENSH_IJSG_SG_SG_EEES9_SI_JZNS1_25segmented_radix_sort_implINS0_14default_configELb1EPKlPlSQ_SR_N2at6native12_GLOBAL__N_18offset_tEEE10hipError_tPvRmT1_PNSt15iterator_traitsISZ_E10value_typeET2_T3_PNS10_IS15_E10value_typeET4_jRbjT5_S1B_jjP12ihipStream_tbEUljE_ZNSN_ISO_Lb1ESQ_SR_SQ_SR_SV_EESW_SX_SY_SZ_S13_S14_S15_S18_S19_jS1A_jS1B_S1B_jjS1D_bEUljE0_EEESW_SX_SY_S15_S19_S1B_T6_T7_T9_mT8_S1D_bDpT10_ENKUlT_T0_E_clISt17integral_constantIbLb1EES1Q_IbLb0EEEEDaS1M_S1N_EUlS1M_E_NS1_11comp_targetILNS1_3genE8ELNS1_11target_archE1030ELNS1_3gpuE2ELNS1_3repE0EEENS1_30default_config_static_selectorELNS0_4arch9wavefront6targetE1EEEvSZ_.uses_flat_scratch, 0
	.set _ZN7rocprim17ROCPRIM_400000_NS6detail17trampoline_kernelINS0_13select_configILj256ELj13ELNS0_17block_load_methodE3ELS4_3ELS4_3ELNS0_20block_scan_algorithmE0ELj4294967295EEENS1_25partition_config_selectorILNS1_17partition_subalgoE4EjNS0_10empty_typeEbEEZZNS1_14partition_implILS8_4ELb0ES6_15HIP_vector_typeIjLj2EENS0_17counting_iteratorIjlEEPS9_SG_NS0_5tupleIJPjSI_NS0_16reverse_iteratorISI_EEEEENSH_IJSG_SG_SG_EEES9_SI_JZNS1_25segmented_radix_sort_implINS0_14default_configELb1EPKlPlSQ_SR_N2at6native12_GLOBAL__N_18offset_tEEE10hipError_tPvRmT1_PNSt15iterator_traitsISZ_E10value_typeET2_T3_PNS10_IS15_E10value_typeET4_jRbjT5_S1B_jjP12ihipStream_tbEUljE_ZNSN_ISO_Lb1ESQ_SR_SQ_SR_SV_EESW_SX_SY_SZ_S13_S14_S15_S18_S19_jS1A_jS1B_S1B_jjS1D_bEUljE0_EEESW_SX_SY_S15_S19_S1B_T6_T7_T9_mT8_S1D_bDpT10_ENKUlT_T0_E_clISt17integral_constantIbLb1EES1Q_IbLb0EEEEDaS1M_S1N_EUlS1M_E_NS1_11comp_targetILNS1_3genE8ELNS1_11target_archE1030ELNS1_3gpuE2ELNS1_3repE0EEENS1_30default_config_static_selectorELNS0_4arch9wavefront6targetE1EEEvSZ_.has_dyn_sized_stack, 0
	.set _ZN7rocprim17ROCPRIM_400000_NS6detail17trampoline_kernelINS0_13select_configILj256ELj13ELNS0_17block_load_methodE3ELS4_3ELS4_3ELNS0_20block_scan_algorithmE0ELj4294967295EEENS1_25partition_config_selectorILNS1_17partition_subalgoE4EjNS0_10empty_typeEbEEZZNS1_14partition_implILS8_4ELb0ES6_15HIP_vector_typeIjLj2EENS0_17counting_iteratorIjlEEPS9_SG_NS0_5tupleIJPjSI_NS0_16reverse_iteratorISI_EEEEENSH_IJSG_SG_SG_EEES9_SI_JZNS1_25segmented_radix_sort_implINS0_14default_configELb1EPKlPlSQ_SR_N2at6native12_GLOBAL__N_18offset_tEEE10hipError_tPvRmT1_PNSt15iterator_traitsISZ_E10value_typeET2_T3_PNS10_IS15_E10value_typeET4_jRbjT5_S1B_jjP12ihipStream_tbEUljE_ZNSN_ISO_Lb1ESQ_SR_SQ_SR_SV_EESW_SX_SY_SZ_S13_S14_S15_S18_S19_jS1A_jS1B_S1B_jjS1D_bEUljE0_EEESW_SX_SY_S15_S19_S1B_T6_T7_T9_mT8_S1D_bDpT10_ENKUlT_T0_E_clISt17integral_constantIbLb1EES1Q_IbLb0EEEEDaS1M_S1N_EUlS1M_E_NS1_11comp_targetILNS1_3genE8ELNS1_11target_archE1030ELNS1_3gpuE2ELNS1_3repE0EEENS1_30default_config_static_selectorELNS0_4arch9wavefront6targetE1EEEvSZ_.has_recursion, 0
	.set _ZN7rocprim17ROCPRIM_400000_NS6detail17trampoline_kernelINS0_13select_configILj256ELj13ELNS0_17block_load_methodE3ELS4_3ELS4_3ELNS0_20block_scan_algorithmE0ELj4294967295EEENS1_25partition_config_selectorILNS1_17partition_subalgoE4EjNS0_10empty_typeEbEEZZNS1_14partition_implILS8_4ELb0ES6_15HIP_vector_typeIjLj2EENS0_17counting_iteratorIjlEEPS9_SG_NS0_5tupleIJPjSI_NS0_16reverse_iteratorISI_EEEEENSH_IJSG_SG_SG_EEES9_SI_JZNS1_25segmented_radix_sort_implINS0_14default_configELb1EPKlPlSQ_SR_N2at6native12_GLOBAL__N_18offset_tEEE10hipError_tPvRmT1_PNSt15iterator_traitsISZ_E10value_typeET2_T3_PNS10_IS15_E10value_typeET4_jRbjT5_S1B_jjP12ihipStream_tbEUljE_ZNSN_ISO_Lb1ESQ_SR_SQ_SR_SV_EESW_SX_SY_SZ_S13_S14_S15_S18_S19_jS1A_jS1B_S1B_jjS1D_bEUljE0_EEESW_SX_SY_S15_S19_S1B_T6_T7_T9_mT8_S1D_bDpT10_ENKUlT_T0_E_clISt17integral_constantIbLb1EES1Q_IbLb0EEEEDaS1M_S1N_EUlS1M_E_NS1_11comp_targetILNS1_3genE8ELNS1_11target_archE1030ELNS1_3gpuE2ELNS1_3repE0EEENS1_30default_config_static_selectorELNS0_4arch9wavefront6targetE1EEEvSZ_.has_indirect_call, 0
	.section	.AMDGPU.csdata,"",@progbits
; Kernel info:
; codeLenInByte = 0
; TotalNumSgprs: 4
; NumVgprs: 0
; ScratchSize: 0
; MemoryBound: 0
; FloatMode: 240
; IeeeMode: 1
; LDSByteSize: 0 bytes/workgroup (compile time only)
; SGPRBlocks: 0
; VGPRBlocks: 0
; NumSGPRsForWavesPerEU: 4
; NumVGPRsForWavesPerEU: 1
; Occupancy: 10
; WaveLimiterHint : 0
; COMPUTE_PGM_RSRC2:SCRATCH_EN: 0
; COMPUTE_PGM_RSRC2:USER_SGPR: 6
; COMPUTE_PGM_RSRC2:TRAP_HANDLER: 0
; COMPUTE_PGM_RSRC2:TGID_X_EN: 1
; COMPUTE_PGM_RSRC2:TGID_Y_EN: 0
; COMPUTE_PGM_RSRC2:TGID_Z_EN: 0
; COMPUTE_PGM_RSRC2:TIDIG_COMP_CNT: 0
	.section	.text._ZN7rocprim17ROCPRIM_400000_NS6detail17trampoline_kernelINS0_13select_configILj256ELj13ELNS0_17block_load_methodE3ELS4_3ELS4_3ELNS0_20block_scan_algorithmE0ELj4294967295EEENS1_25partition_config_selectorILNS1_17partition_subalgoE4EjNS0_10empty_typeEbEEZZNS1_14partition_implILS8_4ELb0ES6_15HIP_vector_typeIjLj2EENS0_17counting_iteratorIjlEEPS9_SG_NS0_5tupleIJPjSI_NS0_16reverse_iteratorISI_EEEEENSH_IJSG_SG_SG_EEES9_SI_JZNS1_25segmented_radix_sort_implINS0_14default_configELb1EPKlPlSQ_SR_N2at6native12_GLOBAL__N_18offset_tEEE10hipError_tPvRmT1_PNSt15iterator_traitsISZ_E10value_typeET2_T3_PNS10_IS15_E10value_typeET4_jRbjT5_S1B_jjP12ihipStream_tbEUljE_ZNSN_ISO_Lb1ESQ_SR_SQ_SR_SV_EESW_SX_SY_SZ_S13_S14_S15_S18_S19_jS1A_jS1B_S1B_jjS1D_bEUljE0_EEESW_SX_SY_S15_S19_S1B_T6_T7_T9_mT8_S1D_bDpT10_ENKUlT_T0_E_clISt17integral_constantIbLb0EES1Q_IbLb1EEEEDaS1M_S1N_EUlS1M_E_NS1_11comp_targetILNS1_3genE0ELNS1_11target_archE4294967295ELNS1_3gpuE0ELNS1_3repE0EEENS1_30default_config_static_selectorELNS0_4arch9wavefront6targetE1EEEvSZ_,"axG",@progbits,_ZN7rocprim17ROCPRIM_400000_NS6detail17trampoline_kernelINS0_13select_configILj256ELj13ELNS0_17block_load_methodE3ELS4_3ELS4_3ELNS0_20block_scan_algorithmE0ELj4294967295EEENS1_25partition_config_selectorILNS1_17partition_subalgoE4EjNS0_10empty_typeEbEEZZNS1_14partition_implILS8_4ELb0ES6_15HIP_vector_typeIjLj2EENS0_17counting_iteratorIjlEEPS9_SG_NS0_5tupleIJPjSI_NS0_16reverse_iteratorISI_EEEEENSH_IJSG_SG_SG_EEES9_SI_JZNS1_25segmented_radix_sort_implINS0_14default_configELb1EPKlPlSQ_SR_N2at6native12_GLOBAL__N_18offset_tEEE10hipError_tPvRmT1_PNSt15iterator_traitsISZ_E10value_typeET2_T3_PNS10_IS15_E10value_typeET4_jRbjT5_S1B_jjP12ihipStream_tbEUljE_ZNSN_ISO_Lb1ESQ_SR_SQ_SR_SV_EESW_SX_SY_SZ_S13_S14_S15_S18_S19_jS1A_jS1B_S1B_jjS1D_bEUljE0_EEESW_SX_SY_S15_S19_S1B_T6_T7_T9_mT8_S1D_bDpT10_ENKUlT_T0_E_clISt17integral_constantIbLb0EES1Q_IbLb1EEEEDaS1M_S1N_EUlS1M_E_NS1_11comp_targetILNS1_3genE0ELNS1_11target_archE4294967295ELNS1_3gpuE0ELNS1_3repE0EEENS1_30default_config_static_selectorELNS0_4arch9wavefront6targetE1EEEvSZ_,comdat
	.globl	_ZN7rocprim17ROCPRIM_400000_NS6detail17trampoline_kernelINS0_13select_configILj256ELj13ELNS0_17block_load_methodE3ELS4_3ELS4_3ELNS0_20block_scan_algorithmE0ELj4294967295EEENS1_25partition_config_selectorILNS1_17partition_subalgoE4EjNS0_10empty_typeEbEEZZNS1_14partition_implILS8_4ELb0ES6_15HIP_vector_typeIjLj2EENS0_17counting_iteratorIjlEEPS9_SG_NS0_5tupleIJPjSI_NS0_16reverse_iteratorISI_EEEEENSH_IJSG_SG_SG_EEES9_SI_JZNS1_25segmented_radix_sort_implINS0_14default_configELb1EPKlPlSQ_SR_N2at6native12_GLOBAL__N_18offset_tEEE10hipError_tPvRmT1_PNSt15iterator_traitsISZ_E10value_typeET2_T3_PNS10_IS15_E10value_typeET4_jRbjT5_S1B_jjP12ihipStream_tbEUljE_ZNSN_ISO_Lb1ESQ_SR_SQ_SR_SV_EESW_SX_SY_SZ_S13_S14_S15_S18_S19_jS1A_jS1B_S1B_jjS1D_bEUljE0_EEESW_SX_SY_S15_S19_S1B_T6_T7_T9_mT8_S1D_bDpT10_ENKUlT_T0_E_clISt17integral_constantIbLb0EES1Q_IbLb1EEEEDaS1M_S1N_EUlS1M_E_NS1_11comp_targetILNS1_3genE0ELNS1_11target_archE4294967295ELNS1_3gpuE0ELNS1_3repE0EEENS1_30default_config_static_selectorELNS0_4arch9wavefront6targetE1EEEvSZ_ ; -- Begin function _ZN7rocprim17ROCPRIM_400000_NS6detail17trampoline_kernelINS0_13select_configILj256ELj13ELNS0_17block_load_methodE3ELS4_3ELS4_3ELNS0_20block_scan_algorithmE0ELj4294967295EEENS1_25partition_config_selectorILNS1_17partition_subalgoE4EjNS0_10empty_typeEbEEZZNS1_14partition_implILS8_4ELb0ES6_15HIP_vector_typeIjLj2EENS0_17counting_iteratorIjlEEPS9_SG_NS0_5tupleIJPjSI_NS0_16reverse_iteratorISI_EEEEENSH_IJSG_SG_SG_EEES9_SI_JZNS1_25segmented_radix_sort_implINS0_14default_configELb1EPKlPlSQ_SR_N2at6native12_GLOBAL__N_18offset_tEEE10hipError_tPvRmT1_PNSt15iterator_traitsISZ_E10value_typeET2_T3_PNS10_IS15_E10value_typeET4_jRbjT5_S1B_jjP12ihipStream_tbEUljE_ZNSN_ISO_Lb1ESQ_SR_SQ_SR_SV_EESW_SX_SY_SZ_S13_S14_S15_S18_S19_jS1A_jS1B_S1B_jjS1D_bEUljE0_EEESW_SX_SY_S15_S19_S1B_T6_T7_T9_mT8_S1D_bDpT10_ENKUlT_T0_E_clISt17integral_constantIbLb0EES1Q_IbLb1EEEEDaS1M_S1N_EUlS1M_E_NS1_11comp_targetILNS1_3genE0ELNS1_11target_archE4294967295ELNS1_3gpuE0ELNS1_3repE0EEENS1_30default_config_static_selectorELNS0_4arch9wavefront6targetE1EEEvSZ_
	.p2align	8
	.type	_ZN7rocprim17ROCPRIM_400000_NS6detail17trampoline_kernelINS0_13select_configILj256ELj13ELNS0_17block_load_methodE3ELS4_3ELS4_3ELNS0_20block_scan_algorithmE0ELj4294967295EEENS1_25partition_config_selectorILNS1_17partition_subalgoE4EjNS0_10empty_typeEbEEZZNS1_14partition_implILS8_4ELb0ES6_15HIP_vector_typeIjLj2EENS0_17counting_iteratorIjlEEPS9_SG_NS0_5tupleIJPjSI_NS0_16reverse_iteratorISI_EEEEENSH_IJSG_SG_SG_EEES9_SI_JZNS1_25segmented_radix_sort_implINS0_14default_configELb1EPKlPlSQ_SR_N2at6native12_GLOBAL__N_18offset_tEEE10hipError_tPvRmT1_PNSt15iterator_traitsISZ_E10value_typeET2_T3_PNS10_IS15_E10value_typeET4_jRbjT5_S1B_jjP12ihipStream_tbEUljE_ZNSN_ISO_Lb1ESQ_SR_SQ_SR_SV_EESW_SX_SY_SZ_S13_S14_S15_S18_S19_jS1A_jS1B_S1B_jjS1D_bEUljE0_EEESW_SX_SY_S15_S19_S1B_T6_T7_T9_mT8_S1D_bDpT10_ENKUlT_T0_E_clISt17integral_constantIbLb0EES1Q_IbLb1EEEEDaS1M_S1N_EUlS1M_E_NS1_11comp_targetILNS1_3genE0ELNS1_11target_archE4294967295ELNS1_3gpuE0ELNS1_3repE0EEENS1_30default_config_static_selectorELNS0_4arch9wavefront6targetE1EEEvSZ_,@function
_ZN7rocprim17ROCPRIM_400000_NS6detail17trampoline_kernelINS0_13select_configILj256ELj13ELNS0_17block_load_methodE3ELS4_3ELS4_3ELNS0_20block_scan_algorithmE0ELj4294967295EEENS1_25partition_config_selectorILNS1_17partition_subalgoE4EjNS0_10empty_typeEbEEZZNS1_14partition_implILS8_4ELb0ES6_15HIP_vector_typeIjLj2EENS0_17counting_iteratorIjlEEPS9_SG_NS0_5tupleIJPjSI_NS0_16reverse_iteratorISI_EEEEENSH_IJSG_SG_SG_EEES9_SI_JZNS1_25segmented_radix_sort_implINS0_14default_configELb1EPKlPlSQ_SR_N2at6native12_GLOBAL__N_18offset_tEEE10hipError_tPvRmT1_PNSt15iterator_traitsISZ_E10value_typeET2_T3_PNS10_IS15_E10value_typeET4_jRbjT5_S1B_jjP12ihipStream_tbEUljE_ZNSN_ISO_Lb1ESQ_SR_SQ_SR_SV_EESW_SX_SY_SZ_S13_S14_S15_S18_S19_jS1A_jS1B_S1B_jjS1D_bEUljE0_EEESW_SX_SY_S15_S19_S1B_T6_T7_T9_mT8_S1D_bDpT10_ENKUlT_T0_E_clISt17integral_constantIbLb0EES1Q_IbLb1EEEEDaS1M_S1N_EUlS1M_E_NS1_11comp_targetILNS1_3genE0ELNS1_11target_archE4294967295ELNS1_3gpuE0ELNS1_3repE0EEENS1_30default_config_static_selectorELNS0_4arch9wavefront6targetE1EEEvSZ_: ; @_ZN7rocprim17ROCPRIM_400000_NS6detail17trampoline_kernelINS0_13select_configILj256ELj13ELNS0_17block_load_methodE3ELS4_3ELS4_3ELNS0_20block_scan_algorithmE0ELj4294967295EEENS1_25partition_config_selectorILNS1_17partition_subalgoE4EjNS0_10empty_typeEbEEZZNS1_14partition_implILS8_4ELb0ES6_15HIP_vector_typeIjLj2EENS0_17counting_iteratorIjlEEPS9_SG_NS0_5tupleIJPjSI_NS0_16reverse_iteratorISI_EEEEENSH_IJSG_SG_SG_EEES9_SI_JZNS1_25segmented_radix_sort_implINS0_14default_configELb1EPKlPlSQ_SR_N2at6native12_GLOBAL__N_18offset_tEEE10hipError_tPvRmT1_PNSt15iterator_traitsISZ_E10value_typeET2_T3_PNS10_IS15_E10value_typeET4_jRbjT5_S1B_jjP12ihipStream_tbEUljE_ZNSN_ISO_Lb1ESQ_SR_SQ_SR_SV_EESW_SX_SY_SZ_S13_S14_S15_S18_S19_jS1A_jS1B_S1B_jjS1D_bEUljE0_EEESW_SX_SY_S15_S19_S1B_T6_T7_T9_mT8_S1D_bDpT10_ENKUlT_T0_E_clISt17integral_constantIbLb0EES1Q_IbLb1EEEEDaS1M_S1N_EUlS1M_E_NS1_11comp_targetILNS1_3genE0ELNS1_11target_archE4294967295ELNS1_3gpuE0ELNS1_3repE0EEENS1_30default_config_static_selectorELNS0_4arch9wavefront6targetE1EEEvSZ_
; %bb.0:
	.section	.rodata,"a",@progbits
	.p2align	6, 0x0
	.amdhsa_kernel _ZN7rocprim17ROCPRIM_400000_NS6detail17trampoline_kernelINS0_13select_configILj256ELj13ELNS0_17block_load_methodE3ELS4_3ELS4_3ELNS0_20block_scan_algorithmE0ELj4294967295EEENS1_25partition_config_selectorILNS1_17partition_subalgoE4EjNS0_10empty_typeEbEEZZNS1_14partition_implILS8_4ELb0ES6_15HIP_vector_typeIjLj2EENS0_17counting_iteratorIjlEEPS9_SG_NS0_5tupleIJPjSI_NS0_16reverse_iteratorISI_EEEEENSH_IJSG_SG_SG_EEES9_SI_JZNS1_25segmented_radix_sort_implINS0_14default_configELb1EPKlPlSQ_SR_N2at6native12_GLOBAL__N_18offset_tEEE10hipError_tPvRmT1_PNSt15iterator_traitsISZ_E10value_typeET2_T3_PNS10_IS15_E10value_typeET4_jRbjT5_S1B_jjP12ihipStream_tbEUljE_ZNSN_ISO_Lb1ESQ_SR_SQ_SR_SV_EESW_SX_SY_SZ_S13_S14_S15_S18_S19_jS1A_jS1B_S1B_jjS1D_bEUljE0_EEESW_SX_SY_S15_S19_S1B_T6_T7_T9_mT8_S1D_bDpT10_ENKUlT_T0_E_clISt17integral_constantIbLb0EES1Q_IbLb1EEEEDaS1M_S1N_EUlS1M_E_NS1_11comp_targetILNS1_3genE0ELNS1_11target_archE4294967295ELNS1_3gpuE0ELNS1_3repE0EEENS1_30default_config_static_selectorELNS0_4arch9wavefront6targetE1EEEvSZ_
		.amdhsa_group_segment_fixed_size 0
		.amdhsa_private_segment_fixed_size 0
		.amdhsa_kernarg_size 184
		.amdhsa_user_sgpr_count 6
		.amdhsa_user_sgpr_private_segment_buffer 1
		.amdhsa_user_sgpr_dispatch_ptr 0
		.amdhsa_user_sgpr_queue_ptr 0
		.amdhsa_user_sgpr_kernarg_segment_ptr 1
		.amdhsa_user_sgpr_dispatch_id 0
		.amdhsa_user_sgpr_flat_scratch_init 0
		.amdhsa_user_sgpr_private_segment_size 0
		.amdhsa_uses_dynamic_stack 0
		.amdhsa_system_sgpr_private_segment_wavefront_offset 0
		.amdhsa_system_sgpr_workgroup_id_x 1
		.amdhsa_system_sgpr_workgroup_id_y 0
		.amdhsa_system_sgpr_workgroup_id_z 0
		.amdhsa_system_sgpr_workgroup_info 0
		.amdhsa_system_vgpr_workitem_id 0
		.amdhsa_next_free_vgpr 1
		.amdhsa_next_free_sgpr 0
		.amdhsa_reserve_vcc 0
		.amdhsa_reserve_flat_scratch 0
		.amdhsa_float_round_mode_32 0
		.amdhsa_float_round_mode_16_64 0
		.amdhsa_float_denorm_mode_32 3
		.amdhsa_float_denorm_mode_16_64 3
		.amdhsa_dx10_clamp 1
		.amdhsa_ieee_mode 1
		.amdhsa_fp16_overflow 0
		.amdhsa_exception_fp_ieee_invalid_op 0
		.amdhsa_exception_fp_denorm_src 0
		.amdhsa_exception_fp_ieee_div_zero 0
		.amdhsa_exception_fp_ieee_overflow 0
		.amdhsa_exception_fp_ieee_underflow 0
		.amdhsa_exception_fp_ieee_inexact 0
		.amdhsa_exception_int_div_zero 0
	.end_amdhsa_kernel
	.section	.text._ZN7rocprim17ROCPRIM_400000_NS6detail17trampoline_kernelINS0_13select_configILj256ELj13ELNS0_17block_load_methodE3ELS4_3ELS4_3ELNS0_20block_scan_algorithmE0ELj4294967295EEENS1_25partition_config_selectorILNS1_17partition_subalgoE4EjNS0_10empty_typeEbEEZZNS1_14partition_implILS8_4ELb0ES6_15HIP_vector_typeIjLj2EENS0_17counting_iteratorIjlEEPS9_SG_NS0_5tupleIJPjSI_NS0_16reverse_iteratorISI_EEEEENSH_IJSG_SG_SG_EEES9_SI_JZNS1_25segmented_radix_sort_implINS0_14default_configELb1EPKlPlSQ_SR_N2at6native12_GLOBAL__N_18offset_tEEE10hipError_tPvRmT1_PNSt15iterator_traitsISZ_E10value_typeET2_T3_PNS10_IS15_E10value_typeET4_jRbjT5_S1B_jjP12ihipStream_tbEUljE_ZNSN_ISO_Lb1ESQ_SR_SQ_SR_SV_EESW_SX_SY_SZ_S13_S14_S15_S18_S19_jS1A_jS1B_S1B_jjS1D_bEUljE0_EEESW_SX_SY_S15_S19_S1B_T6_T7_T9_mT8_S1D_bDpT10_ENKUlT_T0_E_clISt17integral_constantIbLb0EES1Q_IbLb1EEEEDaS1M_S1N_EUlS1M_E_NS1_11comp_targetILNS1_3genE0ELNS1_11target_archE4294967295ELNS1_3gpuE0ELNS1_3repE0EEENS1_30default_config_static_selectorELNS0_4arch9wavefront6targetE1EEEvSZ_,"axG",@progbits,_ZN7rocprim17ROCPRIM_400000_NS6detail17trampoline_kernelINS0_13select_configILj256ELj13ELNS0_17block_load_methodE3ELS4_3ELS4_3ELNS0_20block_scan_algorithmE0ELj4294967295EEENS1_25partition_config_selectorILNS1_17partition_subalgoE4EjNS0_10empty_typeEbEEZZNS1_14partition_implILS8_4ELb0ES6_15HIP_vector_typeIjLj2EENS0_17counting_iteratorIjlEEPS9_SG_NS0_5tupleIJPjSI_NS0_16reverse_iteratorISI_EEEEENSH_IJSG_SG_SG_EEES9_SI_JZNS1_25segmented_radix_sort_implINS0_14default_configELb1EPKlPlSQ_SR_N2at6native12_GLOBAL__N_18offset_tEEE10hipError_tPvRmT1_PNSt15iterator_traitsISZ_E10value_typeET2_T3_PNS10_IS15_E10value_typeET4_jRbjT5_S1B_jjP12ihipStream_tbEUljE_ZNSN_ISO_Lb1ESQ_SR_SQ_SR_SV_EESW_SX_SY_SZ_S13_S14_S15_S18_S19_jS1A_jS1B_S1B_jjS1D_bEUljE0_EEESW_SX_SY_S15_S19_S1B_T6_T7_T9_mT8_S1D_bDpT10_ENKUlT_T0_E_clISt17integral_constantIbLb0EES1Q_IbLb1EEEEDaS1M_S1N_EUlS1M_E_NS1_11comp_targetILNS1_3genE0ELNS1_11target_archE4294967295ELNS1_3gpuE0ELNS1_3repE0EEENS1_30default_config_static_selectorELNS0_4arch9wavefront6targetE1EEEvSZ_,comdat
.Lfunc_end664:
	.size	_ZN7rocprim17ROCPRIM_400000_NS6detail17trampoline_kernelINS0_13select_configILj256ELj13ELNS0_17block_load_methodE3ELS4_3ELS4_3ELNS0_20block_scan_algorithmE0ELj4294967295EEENS1_25partition_config_selectorILNS1_17partition_subalgoE4EjNS0_10empty_typeEbEEZZNS1_14partition_implILS8_4ELb0ES6_15HIP_vector_typeIjLj2EENS0_17counting_iteratorIjlEEPS9_SG_NS0_5tupleIJPjSI_NS0_16reverse_iteratorISI_EEEEENSH_IJSG_SG_SG_EEES9_SI_JZNS1_25segmented_radix_sort_implINS0_14default_configELb1EPKlPlSQ_SR_N2at6native12_GLOBAL__N_18offset_tEEE10hipError_tPvRmT1_PNSt15iterator_traitsISZ_E10value_typeET2_T3_PNS10_IS15_E10value_typeET4_jRbjT5_S1B_jjP12ihipStream_tbEUljE_ZNSN_ISO_Lb1ESQ_SR_SQ_SR_SV_EESW_SX_SY_SZ_S13_S14_S15_S18_S19_jS1A_jS1B_S1B_jjS1D_bEUljE0_EEESW_SX_SY_S15_S19_S1B_T6_T7_T9_mT8_S1D_bDpT10_ENKUlT_T0_E_clISt17integral_constantIbLb0EES1Q_IbLb1EEEEDaS1M_S1N_EUlS1M_E_NS1_11comp_targetILNS1_3genE0ELNS1_11target_archE4294967295ELNS1_3gpuE0ELNS1_3repE0EEENS1_30default_config_static_selectorELNS0_4arch9wavefront6targetE1EEEvSZ_, .Lfunc_end664-_ZN7rocprim17ROCPRIM_400000_NS6detail17trampoline_kernelINS0_13select_configILj256ELj13ELNS0_17block_load_methodE3ELS4_3ELS4_3ELNS0_20block_scan_algorithmE0ELj4294967295EEENS1_25partition_config_selectorILNS1_17partition_subalgoE4EjNS0_10empty_typeEbEEZZNS1_14partition_implILS8_4ELb0ES6_15HIP_vector_typeIjLj2EENS0_17counting_iteratorIjlEEPS9_SG_NS0_5tupleIJPjSI_NS0_16reverse_iteratorISI_EEEEENSH_IJSG_SG_SG_EEES9_SI_JZNS1_25segmented_radix_sort_implINS0_14default_configELb1EPKlPlSQ_SR_N2at6native12_GLOBAL__N_18offset_tEEE10hipError_tPvRmT1_PNSt15iterator_traitsISZ_E10value_typeET2_T3_PNS10_IS15_E10value_typeET4_jRbjT5_S1B_jjP12ihipStream_tbEUljE_ZNSN_ISO_Lb1ESQ_SR_SQ_SR_SV_EESW_SX_SY_SZ_S13_S14_S15_S18_S19_jS1A_jS1B_S1B_jjS1D_bEUljE0_EEESW_SX_SY_S15_S19_S1B_T6_T7_T9_mT8_S1D_bDpT10_ENKUlT_T0_E_clISt17integral_constantIbLb0EES1Q_IbLb1EEEEDaS1M_S1N_EUlS1M_E_NS1_11comp_targetILNS1_3genE0ELNS1_11target_archE4294967295ELNS1_3gpuE0ELNS1_3repE0EEENS1_30default_config_static_selectorELNS0_4arch9wavefront6targetE1EEEvSZ_
                                        ; -- End function
	.set _ZN7rocprim17ROCPRIM_400000_NS6detail17trampoline_kernelINS0_13select_configILj256ELj13ELNS0_17block_load_methodE3ELS4_3ELS4_3ELNS0_20block_scan_algorithmE0ELj4294967295EEENS1_25partition_config_selectorILNS1_17partition_subalgoE4EjNS0_10empty_typeEbEEZZNS1_14partition_implILS8_4ELb0ES6_15HIP_vector_typeIjLj2EENS0_17counting_iteratorIjlEEPS9_SG_NS0_5tupleIJPjSI_NS0_16reverse_iteratorISI_EEEEENSH_IJSG_SG_SG_EEES9_SI_JZNS1_25segmented_radix_sort_implINS0_14default_configELb1EPKlPlSQ_SR_N2at6native12_GLOBAL__N_18offset_tEEE10hipError_tPvRmT1_PNSt15iterator_traitsISZ_E10value_typeET2_T3_PNS10_IS15_E10value_typeET4_jRbjT5_S1B_jjP12ihipStream_tbEUljE_ZNSN_ISO_Lb1ESQ_SR_SQ_SR_SV_EESW_SX_SY_SZ_S13_S14_S15_S18_S19_jS1A_jS1B_S1B_jjS1D_bEUljE0_EEESW_SX_SY_S15_S19_S1B_T6_T7_T9_mT8_S1D_bDpT10_ENKUlT_T0_E_clISt17integral_constantIbLb0EES1Q_IbLb1EEEEDaS1M_S1N_EUlS1M_E_NS1_11comp_targetILNS1_3genE0ELNS1_11target_archE4294967295ELNS1_3gpuE0ELNS1_3repE0EEENS1_30default_config_static_selectorELNS0_4arch9wavefront6targetE1EEEvSZ_.num_vgpr, 0
	.set _ZN7rocprim17ROCPRIM_400000_NS6detail17trampoline_kernelINS0_13select_configILj256ELj13ELNS0_17block_load_methodE3ELS4_3ELS4_3ELNS0_20block_scan_algorithmE0ELj4294967295EEENS1_25partition_config_selectorILNS1_17partition_subalgoE4EjNS0_10empty_typeEbEEZZNS1_14partition_implILS8_4ELb0ES6_15HIP_vector_typeIjLj2EENS0_17counting_iteratorIjlEEPS9_SG_NS0_5tupleIJPjSI_NS0_16reverse_iteratorISI_EEEEENSH_IJSG_SG_SG_EEES9_SI_JZNS1_25segmented_radix_sort_implINS0_14default_configELb1EPKlPlSQ_SR_N2at6native12_GLOBAL__N_18offset_tEEE10hipError_tPvRmT1_PNSt15iterator_traitsISZ_E10value_typeET2_T3_PNS10_IS15_E10value_typeET4_jRbjT5_S1B_jjP12ihipStream_tbEUljE_ZNSN_ISO_Lb1ESQ_SR_SQ_SR_SV_EESW_SX_SY_SZ_S13_S14_S15_S18_S19_jS1A_jS1B_S1B_jjS1D_bEUljE0_EEESW_SX_SY_S15_S19_S1B_T6_T7_T9_mT8_S1D_bDpT10_ENKUlT_T0_E_clISt17integral_constantIbLb0EES1Q_IbLb1EEEEDaS1M_S1N_EUlS1M_E_NS1_11comp_targetILNS1_3genE0ELNS1_11target_archE4294967295ELNS1_3gpuE0ELNS1_3repE0EEENS1_30default_config_static_selectorELNS0_4arch9wavefront6targetE1EEEvSZ_.num_agpr, 0
	.set _ZN7rocprim17ROCPRIM_400000_NS6detail17trampoline_kernelINS0_13select_configILj256ELj13ELNS0_17block_load_methodE3ELS4_3ELS4_3ELNS0_20block_scan_algorithmE0ELj4294967295EEENS1_25partition_config_selectorILNS1_17partition_subalgoE4EjNS0_10empty_typeEbEEZZNS1_14partition_implILS8_4ELb0ES6_15HIP_vector_typeIjLj2EENS0_17counting_iteratorIjlEEPS9_SG_NS0_5tupleIJPjSI_NS0_16reverse_iteratorISI_EEEEENSH_IJSG_SG_SG_EEES9_SI_JZNS1_25segmented_radix_sort_implINS0_14default_configELb1EPKlPlSQ_SR_N2at6native12_GLOBAL__N_18offset_tEEE10hipError_tPvRmT1_PNSt15iterator_traitsISZ_E10value_typeET2_T3_PNS10_IS15_E10value_typeET4_jRbjT5_S1B_jjP12ihipStream_tbEUljE_ZNSN_ISO_Lb1ESQ_SR_SQ_SR_SV_EESW_SX_SY_SZ_S13_S14_S15_S18_S19_jS1A_jS1B_S1B_jjS1D_bEUljE0_EEESW_SX_SY_S15_S19_S1B_T6_T7_T9_mT8_S1D_bDpT10_ENKUlT_T0_E_clISt17integral_constantIbLb0EES1Q_IbLb1EEEEDaS1M_S1N_EUlS1M_E_NS1_11comp_targetILNS1_3genE0ELNS1_11target_archE4294967295ELNS1_3gpuE0ELNS1_3repE0EEENS1_30default_config_static_selectorELNS0_4arch9wavefront6targetE1EEEvSZ_.numbered_sgpr, 0
	.set _ZN7rocprim17ROCPRIM_400000_NS6detail17trampoline_kernelINS0_13select_configILj256ELj13ELNS0_17block_load_methodE3ELS4_3ELS4_3ELNS0_20block_scan_algorithmE0ELj4294967295EEENS1_25partition_config_selectorILNS1_17partition_subalgoE4EjNS0_10empty_typeEbEEZZNS1_14partition_implILS8_4ELb0ES6_15HIP_vector_typeIjLj2EENS0_17counting_iteratorIjlEEPS9_SG_NS0_5tupleIJPjSI_NS0_16reverse_iteratorISI_EEEEENSH_IJSG_SG_SG_EEES9_SI_JZNS1_25segmented_radix_sort_implINS0_14default_configELb1EPKlPlSQ_SR_N2at6native12_GLOBAL__N_18offset_tEEE10hipError_tPvRmT1_PNSt15iterator_traitsISZ_E10value_typeET2_T3_PNS10_IS15_E10value_typeET4_jRbjT5_S1B_jjP12ihipStream_tbEUljE_ZNSN_ISO_Lb1ESQ_SR_SQ_SR_SV_EESW_SX_SY_SZ_S13_S14_S15_S18_S19_jS1A_jS1B_S1B_jjS1D_bEUljE0_EEESW_SX_SY_S15_S19_S1B_T6_T7_T9_mT8_S1D_bDpT10_ENKUlT_T0_E_clISt17integral_constantIbLb0EES1Q_IbLb1EEEEDaS1M_S1N_EUlS1M_E_NS1_11comp_targetILNS1_3genE0ELNS1_11target_archE4294967295ELNS1_3gpuE0ELNS1_3repE0EEENS1_30default_config_static_selectorELNS0_4arch9wavefront6targetE1EEEvSZ_.num_named_barrier, 0
	.set _ZN7rocprim17ROCPRIM_400000_NS6detail17trampoline_kernelINS0_13select_configILj256ELj13ELNS0_17block_load_methodE3ELS4_3ELS4_3ELNS0_20block_scan_algorithmE0ELj4294967295EEENS1_25partition_config_selectorILNS1_17partition_subalgoE4EjNS0_10empty_typeEbEEZZNS1_14partition_implILS8_4ELb0ES6_15HIP_vector_typeIjLj2EENS0_17counting_iteratorIjlEEPS9_SG_NS0_5tupleIJPjSI_NS0_16reverse_iteratorISI_EEEEENSH_IJSG_SG_SG_EEES9_SI_JZNS1_25segmented_radix_sort_implINS0_14default_configELb1EPKlPlSQ_SR_N2at6native12_GLOBAL__N_18offset_tEEE10hipError_tPvRmT1_PNSt15iterator_traitsISZ_E10value_typeET2_T3_PNS10_IS15_E10value_typeET4_jRbjT5_S1B_jjP12ihipStream_tbEUljE_ZNSN_ISO_Lb1ESQ_SR_SQ_SR_SV_EESW_SX_SY_SZ_S13_S14_S15_S18_S19_jS1A_jS1B_S1B_jjS1D_bEUljE0_EEESW_SX_SY_S15_S19_S1B_T6_T7_T9_mT8_S1D_bDpT10_ENKUlT_T0_E_clISt17integral_constantIbLb0EES1Q_IbLb1EEEEDaS1M_S1N_EUlS1M_E_NS1_11comp_targetILNS1_3genE0ELNS1_11target_archE4294967295ELNS1_3gpuE0ELNS1_3repE0EEENS1_30default_config_static_selectorELNS0_4arch9wavefront6targetE1EEEvSZ_.private_seg_size, 0
	.set _ZN7rocprim17ROCPRIM_400000_NS6detail17trampoline_kernelINS0_13select_configILj256ELj13ELNS0_17block_load_methodE3ELS4_3ELS4_3ELNS0_20block_scan_algorithmE0ELj4294967295EEENS1_25partition_config_selectorILNS1_17partition_subalgoE4EjNS0_10empty_typeEbEEZZNS1_14partition_implILS8_4ELb0ES6_15HIP_vector_typeIjLj2EENS0_17counting_iteratorIjlEEPS9_SG_NS0_5tupleIJPjSI_NS0_16reverse_iteratorISI_EEEEENSH_IJSG_SG_SG_EEES9_SI_JZNS1_25segmented_radix_sort_implINS0_14default_configELb1EPKlPlSQ_SR_N2at6native12_GLOBAL__N_18offset_tEEE10hipError_tPvRmT1_PNSt15iterator_traitsISZ_E10value_typeET2_T3_PNS10_IS15_E10value_typeET4_jRbjT5_S1B_jjP12ihipStream_tbEUljE_ZNSN_ISO_Lb1ESQ_SR_SQ_SR_SV_EESW_SX_SY_SZ_S13_S14_S15_S18_S19_jS1A_jS1B_S1B_jjS1D_bEUljE0_EEESW_SX_SY_S15_S19_S1B_T6_T7_T9_mT8_S1D_bDpT10_ENKUlT_T0_E_clISt17integral_constantIbLb0EES1Q_IbLb1EEEEDaS1M_S1N_EUlS1M_E_NS1_11comp_targetILNS1_3genE0ELNS1_11target_archE4294967295ELNS1_3gpuE0ELNS1_3repE0EEENS1_30default_config_static_selectorELNS0_4arch9wavefront6targetE1EEEvSZ_.uses_vcc, 0
	.set _ZN7rocprim17ROCPRIM_400000_NS6detail17trampoline_kernelINS0_13select_configILj256ELj13ELNS0_17block_load_methodE3ELS4_3ELS4_3ELNS0_20block_scan_algorithmE0ELj4294967295EEENS1_25partition_config_selectorILNS1_17partition_subalgoE4EjNS0_10empty_typeEbEEZZNS1_14partition_implILS8_4ELb0ES6_15HIP_vector_typeIjLj2EENS0_17counting_iteratorIjlEEPS9_SG_NS0_5tupleIJPjSI_NS0_16reverse_iteratorISI_EEEEENSH_IJSG_SG_SG_EEES9_SI_JZNS1_25segmented_radix_sort_implINS0_14default_configELb1EPKlPlSQ_SR_N2at6native12_GLOBAL__N_18offset_tEEE10hipError_tPvRmT1_PNSt15iterator_traitsISZ_E10value_typeET2_T3_PNS10_IS15_E10value_typeET4_jRbjT5_S1B_jjP12ihipStream_tbEUljE_ZNSN_ISO_Lb1ESQ_SR_SQ_SR_SV_EESW_SX_SY_SZ_S13_S14_S15_S18_S19_jS1A_jS1B_S1B_jjS1D_bEUljE0_EEESW_SX_SY_S15_S19_S1B_T6_T7_T9_mT8_S1D_bDpT10_ENKUlT_T0_E_clISt17integral_constantIbLb0EES1Q_IbLb1EEEEDaS1M_S1N_EUlS1M_E_NS1_11comp_targetILNS1_3genE0ELNS1_11target_archE4294967295ELNS1_3gpuE0ELNS1_3repE0EEENS1_30default_config_static_selectorELNS0_4arch9wavefront6targetE1EEEvSZ_.uses_flat_scratch, 0
	.set _ZN7rocprim17ROCPRIM_400000_NS6detail17trampoline_kernelINS0_13select_configILj256ELj13ELNS0_17block_load_methodE3ELS4_3ELS4_3ELNS0_20block_scan_algorithmE0ELj4294967295EEENS1_25partition_config_selectorILNS1_17partition_subalgoE4EjNS0_10empty_typeEbEEZZNS1_14partition_implILS8_4ELb0ES6_15HIP_vector_typeIjLj2EENS0_17counting_iteratorIjlEEPS9_SG_NS0_5tupleIJPjSI_NS0_16reverse_iteratorISI_EEEEENSH_IJSG_SG_SG_EEES9_SI_JZNS1_25segmented_radix_sort_implINS0_14default_configELb1EPKlPlSQ_SR_N2at6native12_GLOBAL__N_18offset_tEEE10hipError_tPvRmT1_PNSt15iterator_traitsISZ_E10value_typeET2_T3_PNS10_IS15_E10value_typeET4_jRbjT5_S1B_jjP12ihipStream_tbEUljE_ZNSN_ISO_Lb1ESQ_SR_SQ_SR_SV_EESW_SX_SY_SZ_S13_S14_S15_S18_S19_jS1A_jS1B_S1B_jjS1D_bEUljE0_EEESW_SX_SY_S15_S19_S1B_T6_T7_T9_mT8_S1D_bDpT10_ENKUlT_T0_E_clISt17integral_constantIbLb0EES1Q_IbLb1EEEEDaS1M_S1N_EUlS1M_E_NS1_11comp_targetILNS1_3genE0ELNS1_11target_archE4294967295ELNS1_3gpuE0ELNS1_3repE0EEENS1_30default_config_static_selectorELNS0_4arch9wavefront6targetE1EEEvSZ_.has_dyn_sized_stack, 0
	.set _ZN7rocprim17ROCPRIM_400000_NS6detail17trampoline_kernelINS0_13select_configILj256ELj13ELNS0_17block_load_methodE3ELS4_3ELS4_3ELNS0_20block_scan_algorithmE0ELj4294967295EEENS1_25partition_config_selectorILNS1_17partition_subalgoE4EjNS0_10empty_typeEbEEZZNS1_14partition_implILS8_4ELb0ES6_15HIP_vector_typeIjLj2EENS0_17counting_iteratorIjlEEPS9_SG_NS0_5tupleIJPjSI_NS0_16reverse_iteratorISI_EEEEENSH_IJSG_SG_SG_EEES9_SI_JZNS1_25segmented_radix_sort_implINS0_14default_configELb1EPKlPlSQ_SR_N2at6native12_GLOBAL__N_18offset_tEEE10hipError_tPvRmT1_PNSt15iterator_traitsISZ_E10value_typeET2_T3_PNS10_IS15_E10value_typeET4_jRbjT5_S1B_jjP12ihipStream_tbEUljE_ZNSN_ISO_Lb1ESQ_SR_SQ_SR_SV_EESW_SX_SY_SZ_S13_S14_S15_S18_S19_jS1A_jS1B_S1B_jjS1D_bEUljE0_EEESW_SX_SY_S15_S19_S1B_T6_T7_T9_mT8_S1D_bDpT10_ENKUlT_T0_E_clISt17integral_constantIbLb0EES1Q_IbLb1EEEEDaS1M_S1N_EUlS1M_E_NS1_11comp_targetILNS1_3genE0ELNS1_11target_archE4294967295ELNS1_3gpuE0ELNS1_3repE0EEENS1_30default_config_static_selectorELNS0_4arch9wavefront6targetE1EEEvSZ_.has_recursion, 0
	.set _ZN7rocprim17ROCPRIM_400000_NS6detail17trampoline_kernelINS0_13select_configILj256ELj13ELNS0_17block_load_methodE3ELS4_3ELS4_3ELNS0_20block_scan_algorithmE0ELj4294967295EEENS1_25partition_config_selectorILNS1_17partition_subalgoE4EjNS0_10empty_typeEbEEZZNS1_14partition_implILS8_4ELb0ES6_15HIP_vector_typeIjLj2EENS0_17counting_iteratorIjlEEPS9_SG_NS0_5tupleIJPjSI_NS0_16reverse_iteratorISI_EEEEENSH_IJSG_SG_SG_EEES9_SI_JZNS1_25segmented_radix_sort_implINS0_14default_configELb1EPKlPlSQ_SR_N2at6native12_GLOBAL__N_18offset_tEEE10hipError_tPvRmT1_PNSt15iterator_traitsISZ_E10value_typeET2_T3_PNS10_IS15_E10value_typeET4_jRbjT5_S1B_jjP12ihipStream_tbEUljE_ZNSN_ISO_Lb1ESQ_SR_SQ_SR_SV_EESW_SX_SY_SZ_S13_S14_S15_S18_S19_jS1A_jS1B_S1B_jjS1D_bEUljE0_EEESW_SX_SY_S15_S19_S1B_T6_T7_T9_mT8_S1D_bDpT10_ENKUlT_T0_E_clISt17integral_constantIbLb0EES1Q_IbLb1EEEEDaS1M_S1N_EUlS1M_E_NS1_11comp_targetILNS1_3genE0ELNS1_11target_archE4294967295ELNS1_3gpuE0ELNS1_3repE0EEENS1_30default_config_static_selectorELNS0_4arch9wavefront6targetE1EEEvSZ_.has_indirect_call, 0
	.section	.AMDGPU.csdata,"",@progbits
; Kernel info:
; codeLenInByte = 0
; TotalNumSgprs: 4
; NumVgprs: 0
; ScratchSize: 0
; MemoryBound: 0
; FloatMode: 240
; IeeeMode: 1
; LDSByteSize: 0 bytes/workgroup (compile time only)
; SGPRBlocks: 0
; VGPRBlocks: 0
; NumSGPRsForWavesPerEU: 4
; NumVGPRsForWavesPerEU: 1
; Occupancy: 10
; WaveLimiterHint : 0
; COMPUTE_PGM_RSRC2:SCRATCH_EN: 0
; COMPUTE_PGM_RSRC2:USER_SGPR: 6
; COMPUTE_PGM_RSRC2:TRAP_HANDLER: 0
; COMPUTE_PGM_RSRC2:TGID_X_EN: 1
; COMPUTE_PGM_RSRC2:TGID_Y_EN: 0
; COMPUTE_PGM_RSRC2:TGID_Z_EN: 0
; COMPUTE_PGM_RSRC2:TIDIG_COMP_CNT: 0
	.section	.text._ZN7rocprim17ROCPRIM_400000_NS6detail17trampoline_kernelINS0_13select_configILj256ELj13ELNS0_17block_load_methodE3ELS4_3ELS4_3ELNS0_20block_scan_algorithmE0ELj4294967295EEENS1_25partition_config_selectorILNS1_17partition_subalgoE4EjNS0_10empty_typeEbEEZZNS1_14partition_implILS8_4ELb0ES6_15HIP_vector_typeIjLj2EENS0_17counting_iteratorIjlEEPS9_SG_NS0_5tupleIJPjSI_NS0_16reverse_iteratorISI_EEEEENSH_IJSG_SG_SG_EEES9_SI_JZNS1_25segmented_radix_sort_implINS0_14default_configELb1EPKlPlSQ_SR_N2at6native12_GLOBAL__N_18offset_tEEE10hipError_tPvRmT1_PNSt15iterator_traitsISZ_E10value_typeET2_T3_PNS10_IS15_E10value_typeET4_jRbjT5_S1B_jjP12ihipStream_tbEUljE_ZNSN_ISO_Lb1ESQ_SR_SQ_SR_SV_EESW_SX_SY_SZ_S13_S14_S15_S18_S19_jS1A_jS1B_S1B_jjS1D_bEUljE0_EEESW_SX_SY_S15_S19_S1B_T6_T7_T9_mT8_S1D_bDpT10_ENKUlT_T0_E_clISt17integral_constantIbLb0EES1Q_IbLb1EEEEDaS1M_S1N_EUlS1M_E_NS1_11comp_targetILNS1_3genE5ELNS1_11target_archE942ELNS1_3gpuE9ELNS1_3repE0EEENS1_30default_config_static_selectorELNS0_4arch9wavefront6targetE1EEEvSZ_,"axG",@progbits,_ZN7rocprim17ROCPRIM_400000_NS6detail17trampoline_kernelINS0_13select_configILj256ELj13ELNS0_17block_load_methodE3ELS4_3ELS4_3ELNS0_20block_scan_algorithmE0ELj4294967295EEENS1_25partition_config_selectorILNS1_17partition_subalgoE4EjNS0_10empty_typeEbEEZZNS1_14partition_implILS8_4ELb0ES6_15HIP_vector_typeIjLj2EENS0_17counting_iteratorIjlEEPS9_SG_NS0_5tupleIJPjSI_NS0_16reverse_iteratorISI_EEEEENSH_IJSG_SG_SG_EEES9_SI_JZNS1_25segmented_radix_sort_implINS0_14default_configELb1EPKlPlSQ_SR_N2at6native12_GLOBAL__N_18offset_tEEE10hipError_tPvRmT1_PNSt15iterator_traitsISZ_E10value_typeET2_T3_PNS10_IS15_E10value_typeET4_jRbjT5_S1B_jjP12ihipStream_tbEUljE_ZNSN_ISO_Lb1ESQ_SR_SQ_SR_SV_EESW_SX_SY_SZ_S13_S14_S15_S18_S19_jS1A_jS1B_S1B_jjS1D_bEUljE0_EEESW_SX_SY_S15_S19_S1B_T6_T7_T9_mT8_S1D_bDpT10_ENKUlT_T0_E_clISt17integral_constantIbLb0EES1Q_IbLb1EEEEDaS1M_S1N_EUlS1M_E_NS1_11comp_targetILNS1_3genE5ELNS1_11target_archE942ELNS1_3gpuE9ELNS1_3repE0EEENS1_30default_config_static_selectorELNS0_4arch9wavefront6targetE1EEEvSZ_,comdat
	.globl	_ZN7rocprim17ROCPRIM_400000_NS6detail17trampoline_kernelINS0_13select_configILj256ELj13ELNS0_17block_load_methodE3ELS4_3ELS4_3ELNS0_20block_scan_algorithmE0ELj4294967295EEENS1_25partition_config_selectorILNS1_17partition_subalgoE4EjNS0_10empty_typeEbEEZZNS1_14partition_implILS8_4ELb0ES6_15HIP_vector_typeIjLj2EENS0_17counting_iteratorIjlEEPS9_SG_NS0_5tupleIJPjSI_NS0_16reverse_iteratorISI_EEEEENSH_IJSG_SG_SG_EEES9_SI_JZNS1_25segmented_radix_sort_implINS0_14default_configELb1EPKlPlSQ_SR_N2at6native12_GLOBAL__N_18offset_tEEE10hipError_tPvRmT1_PNSt15iterator_traitsISZ_E10value_typeET2_T3_PNS10_IS15_E10value_typeET4_jRbjT5_S1B_jjP12ihipStream_tbEUljE_ZNSN_ISO_Lb1ESQ_SR_SQ_SR_SV_EESW_SX_SY_SZ_S13_S14_S15_S18_S19_jS1A_jS1B_S1B_jjS1D_bEUljE0_EEESW_SX_SY_S15_S19_S1B_T6_T7_T9_mT8_S1D_bDpT10_ENKUlT_T0_E_clISt17integral_constantIbLb0EES1Q_IbLb1EEEEDaS1M_S1N_EUlS1M_E_NS1_11comp_targetILNS1_3genE5ELNS1_11target_archE942ELNS1_3gpuE9ELNS1_3repE0EEENS1_30default_config_static_selectorELNS0_4arch9wavefront6targetE1EEEvSZ_ ; -- Begin function _ZN7rocprim17ROCPRIM_400000_NS6detail17trampoline_kernelINS0_13select_configILj256ELj13ELNS0_17block_load_methodE3ELS4_3ELS4_3ELNS0_20block_scan_algorithmE0ELj4294967295EEENS1_25partition_config_selectorILNS1_17partition_subalgoE4EjNS0_10empty_typeEbEEZZNS1_14partition_implILS8_4ELb0ES6_15HIP_vector_typeIjLj2EENS0_17counting_iteratorIjlEEPS9_SG_NS0_5tupleIJPjSI_NS0_16reverse_iteratorISI_EEEEENSH_IJSG_SG_SG_EEES9_SI_JZNS1_25segmented_radix_sort_implINS0_14default_configELb1EPKlPlSQ_SR_N2at6native12_GLOBAL__N_18offset_tEEE10hipError_tPvRmT1_PNSt15iterator_traitsISZ_E10value_typeET2_T3_PNS10_IS15_E10value_typeET4_jRbjT5_S1B_jjP12ihipStream_tbEUljE_ZNSN_ISO_Lb1ESQ_SR_SQ_SR_SV_EESW_SX_SY_SZ_S13_S14_S15_S18_S19_jS1A_jS1B_S1B_jjS1D_bEUljE0_EEESW_SX_SY_S15_S19_S1B_T6_T7_T9_mT8_S1D_bDpT10_ENKUlT_T0_E_clISt17integral_constantIbLb0EES1Q_IbLb1EEEEDaS1M_S1N_EUlS1M_E_NS1_11comp_targetILNS1_3genE5ELNS1_11target_archE942ELNS1_3gpuE9ELNS1_3repE0EEENS1_30default_config_static_selectorELNS0_4arch9wavefront6targetE1EEEvSZ_
	.p2align	8
	.type	_ZN7rocprim17ROCPRIM_400000_NS6detail17trampoline_kernelINS0_13select_configILj256ELj13ELNS0_17block_load_methodE3ELS4_3ELS4_3ELNS0_20block_scan_algorithmE0ELj4294967295EEENS1_25partition_config_selectorILNS1_17partition_subalgoE4EjNS0_10empty_typeEbEEZZNS1_14partition_implILS8_4ELb0ES6_15HIP_vector_typeIjLj2EENS0_17counting_iteratorIjlEEPS9_SG_NS0_5tupleIJPjSI_NS0_16reverse_iteratorISI_EEEEENSH_IJSG_SG_SG_EEES9_SI_JZNS1_25segmented_radix_sort_implINS0_14default_configELb1EPKlPlSQ_SR_N2at6native12_GLOBAL__N_18offset_tEEE10hipError_tPvRmT1_PNSt15iterator_traitsISZ_E10value_typeET2_T3_PNS10_IS15_E10value_typeET4_jRbjT5_S1B_jjP12ihipStream_tbEUljE_ZNSN_ISO_Lb1ESQ_SR_SQ_SR_SV_EESW_SX_SY_SZ_S13_S14_S15_S18_S19_jS1A_jS1B_S1B_jjS1D_bEUljE0_EEESW_SX_SY_S15_S19_S1B_T6_T7_T9_mT8_S1D_bDpT10_ENKUlT_T0_E_clISt17integral_constantIbLb0EES1Q_IbLb1EEEEDaS1M_S1N_EUlS1M_E_NS1_11comp_targetILNS1_3genE5ELNS1_11target_archE942ELNS1_3gpuE9ELNS1_3repE0EEENS1_30default_config_static_selectorELNS0_4arch9wavefront6targetE1EEEvSZ_,@function
_ZN7rocprim17ROCPRIM_400000_NS6detail17trampoline_kernelINS0_13select_configILj256ELj13ELNS0_17block_load_methodE3ELS4_3ELS4_3ELNS0_20block_scan_algorithmE0ELj4294967295EEENS1_25partition_config_selectorILNS1_17partition_subalgoE4EjNS0_10empty_typeEbEEZZNS1_14partition_implILS8_4ELb0ES6_15HIP_vector_typeIjLj2EENS0_17counting_iteratorIjlEEPS9_SG_NS0_5tupleIJPjSI_NS0_16reverse_iteratorISI_EEEEENSH_IJSG_SG_SG_EEES9_SI_JZNS1_25segmented_radix_sort_implINS0_14default_configELb1EPKlPlSQ_SR_N2at6native12_GLOBAL__N_18offset_tEEE10hipError_tPvRmT1_PNSt15iterator_traitsISZ_E10value_typeET2_T3_PNS10_IS15_E10value_typeET4_jRbjT5_S1B_jjP12ihipStream_tbEUljE_ZNSN_ISO_Lb1ESQ_SR_SQ_SR_SV_EESW_SX_SY_SZ_S13_S14_S15_S18_S19_jS1A_jS1B_S1B_jjS1D_bEUljE0_EEESW_SX_SY_S15_S19_S1B_T6_T7_T9_mT8_S1D_bDpT10_ENKUlT_T0_E_clISt17integral_constantIbLb0EES1Q_IbLb1EEEEDaS1M_S1N_EUlS1M_E_NS1_11comp_targetILNS1_3genE5ELNS1_11target_archE942ELNS1_3gpuE9ELNS1_3repE0EEENS1_30default_config_static_selectorELNS0_4arch9wavefront6targetE1EEEvSZ_: ; @_ZN7rocprim17ROCPRIM_400000_NS6detail17trampoline_kernelINS0_13select_configILj256ELj13ELNS0_17block_load_methodE3ELS4_3ELS4_3ELNS0_20block_scan_algorithmE0ELj4294967295EEENS1_25partition_config_selectorILNS1_17partition_subalgoE4EjNS0_10empty_typeEbEEZZNS1_14partition_implILS8_4ELb0ES6_15HIP_vector_typeIjLj2EENS0_17counting_iteratorIjlEEPS9_SG_NS0_5tupleIJPjSI_NS0_16reverse_iteratorISI_EEEEENSH_IJSG_SG_SG_EEES9_SI_JZNS1_25segmented_radix_sort_implINS0_14default_configELb1EPKlPlSQ_SR_N2at6native12_GLOBAL__N_18offset_tEEE10hipError_tPvRmT1_PNSt15iterator_traitsISZ_E10value_typeET2_T3_PNS10_IS15_E10value_typeET4_jRbjT5_S1B_jjP12ihipStream_tbEUljE_ZNSN_ISO_Lb1ESQ_SR_SQ_SR_SV_EESW_SX_SY_SZ_S13_S14_S15_S18_S19_jS1A_jS1B_S1B_jjS1D_bEUljE0_EEESW_SX_SY_S15_S19_S1B_T6_T7_T9_mT8_S1D_bDpT10_ENKUlT_T0_E_clISt17integral_constantIbLb0EES1Q_IbLb1EEEEDaS1M_S1N_EUlS1M_E_NS1_11comp_targetILNS1_3genE5ELNS1_11target_archE942ELNS1_3gpuE9ELNS1_3repE0EEENS1_30default_config_static_selectorELNS0_4arch9wavefront6targetE1EEEvSZ_
; %bb.0:
	.section	.rodata,"a",@progbits
	.p2align	6, 0x0
	.amdhsa_kernel _ZN7rocprim17ROCPRIM_400000_NS6detail17trampoline_kernelINS0_13select_configILj256ELj13ELNS0_17block_load_methodE3ELS4_3ELS4_3ELNS0_20block_scan_algorithmE0ELj4294967295EEENS1_25partition_config_selectorILNS1_17partition_subalgoE4EjNS0_10empty_typeEbEEZZNS1_14partition_implILS8_4ELb0ES6_15HIP_vector_typeIjLj2EENS0_17counting_iteratorIjlEEPS9_SG_NS0_5tupleIJPjSI_NS0_16reverse_iteratorISI_EEEEENSH_IJSG_SG_SG_EEES9_SI_JZNS1_25segmented_radix_sort_implINS0_14default_configELb1EPKlPlSQ_SR_N2at6native12_GLOBAL__N_18offset_tEEE10hipError_tPvRmT1_PNSt15iterator_traitsISZ_E10value_typeET2_T3_PNS10_IS15_E10value_typeET4_jRbjT5_S1B_jjP12ihipStream_tbEUljE_ZNSN_ISO_Lb1ESQ_SR_SQ_SR_SV_EESW_SX_SY_SZ_S13_S14_S15_S18_S19_jS1A_jS1B_S1B_jjS1D_bEUljE0_EEESW_SX_SY_S15_S19_S1B_T6_T7_T9_mT8_S1D_bDpT10_ENKUlT_T0_E_clISt17integral_constantIbLb0EES1Q_IbLb1EEEEDaS1M_S1N_EUlS1M_E_NS1_11comp_targetILNS1_3genE5ELNS1_11target_archE942ELNS1_3gpuE9ELNS1_3repE0EEENS1_30default_config_static_selectorELNS0_4arch9wavefront6targetE1EEEvSZ_
		.amdhsa_group_segment_fixed_size 0
		.amdhsa_private_segment_fixed_size 0
		.amdhsa_kernarg_size 184
		.amdhsa_user_sgpr_count 6
		.amdhsa_user_sgpr_private_segment_buffer 1
		.amdhsa_user_sgpr_dispatch_ptr 0
		.amdhsa_user_sgpr_queue_ptr 0
		.amdhsa_user_sgpr_kernarg_segment_ptr 1
		.amdhsa_user_sgpr_dispatch_id 0
		.amdhsa_user_sgpr_flat_scratch_init 0
		.amdhsa_user_sgpr_private_segment_size 0
		.amdhsa_uses_dynamic_stack 0
		.amdhsa_system_sgpr_private_segment_wavefront_offset 0
		.amdhsa_system_sgpr_workgroup_id_x 1
		.amdhsa_system_sgpr_workgroup_id_y 0
		.amdhsa_system_sgpr_workgroup_id_z 0
		.amdhsa_system_sgpr_workgroup_info 0
		.amdhsa_system_vgpr_workitem_id 0
		.amdhsa_next_free_vgpr 1
		.amdhsa_next_free_sgpr 0
		.amdhsa_reserve_vcc 0
		.amdhsa_reserve_flat_scratch 0
		.amdhsa_float_round_mode_32 0
		.amdhsa_float_round_mode_16_64 0
		.amdhsa_float_denorm_mode_32 3
		.amdhsa_float_denorm_mode_16_64 3
		.amdhsa_dx10_clamp 1
		.amdhsa_ieee_mode 1
		.amdhsa_fp16_overflow 0
		.amdhsa_exception_fp_ieee_invalid_op 0
		.amdhsa_exception_fp_denorm_src 0
		.amdhsa_exception_fp_ieee_div_zero 0
		.amdhsa_exception_fp_ieee_overflow 0
		.amdhsa_exception_fp_ieee_underflow 0
		.amdhsa_exception_fp_ieee_inexact 0
		.amdhsa_exception_int_div_zero 0
	.end_amdhsa_kernel
	.section	.text._ZN7rocprim17ROCPRIM_400000_NS6detail17trampoline_kernelINS0_13select_configILj256ELj13ELNS0_17block_load_methodE3ELS4_3ELS4_3ELNS0_20block_scan_algorithmE0ELj4294967295EEENS1_25partition_config_selectorILNS1_17partition_subalgoE4EjNS0_10empty_typeEbEEZZNS1_14partition_implILS8_4ELb0ES6_15HIP_vector_typeIjLj2EENS0_17counting_iteratorIjlEEPS9_SG_NS0_5tupleIJPjSI_NS0_16reverse_iteratorISI_EEEEENSH_IJSG_SG_SG_EEES9_SI_JZNS1_25segmented_radix_sort_implINS0_14default_configELb1EPKlPlSQ_SR_N2at6native12_GLOBAL__N_18offset_tEEE10hipError_tPvRmT1_PNSt15iterator_traitsISZ_E10value_typeET2_T3_PNS10_IS15_E10value_typeET4_jRbjT5_S1B_jjP12ihipStream_tbEUljE_ZNSN_ISO_Lb1ESQ_SR_SQ_SR_SV_EESW_SX_SY_SZ_S13_S14_S15_S18_S19_jS1A_jS1B_S1B_jjS1D_bEUljE0_EEESW_SX_SY_S15_S19_S1B_T6_T7_T9_mT8_S1D_bDpT10_ENKUlT_T0_E_clISt17integral_constantIbLb0EES1Q_IbLb1EEEEDaS1M_S1N_EUlS1M_E_NS1_11comp_targetILNS1_3genE5ELNS1_11target_archE942ELNS1_3gpuE9ELNS1_3repE0EEENS1_30default_config_static_selectorELNS0_4arch9wavefront6targetE1EEEvSZ_,"axG",@progbits,_ZN7rocprim17ROCPRIM_400000_NS6detail17trampoline_kernelINS0_13select_configILj256ELj13ELNS0_17block_load_methodE3ELS4_3ELS4_3ELNS0_20block_scan_algorithmE0ELj4294967295EEENS1_25partition_config_selectorILNS1_17partition_subalgoE4EjNS0_10empty_typeEbEEZZNS1_14partition_implILS8_4ELb0ES6_15HIP_vector_typeIjLj2EENS0_17counting_iteratorIjlEEPS9_SG_NS0_5tupleIJPjSI_NS0_16reverse_iteratorISI_EEEEENSH_IJSG_SG_SG_EEES9_SI_JZNS1_25segmented_radix_sort_implINS0_14default_configELb1EPKlPlSQ_SR_N2at6native12_GLOBAL__N_18offset_tEEE10hipError_tPvRmT1_PNSt15iterator_traitsISZ_E10value_typeET2_T3_PNS10_IS15_E10value_typeET4_jRbjT5_S1B_jjP12ihipStream_tbEUljE_ZNSN_ISO_Lb1ESQ_SR_SQ_SR_SV_EESW_SX_SY_SZ_S13_S14_S15_S18_S19_jS1A_jS1B_S1B_jjS1D_bEUljE0_EEESW_SX_SY_S15_S19_S1B_T6_T7_T9_mT8_S1D_bDpT10_ENKUlT_T0_E_clISt17integral_constantIbLb0EES1Q_IbLb1EEEEDaS1M_S1N_EUlS1M_E_NS1_11comp_targetILNS1_3genE5ELNS1_11target_archE942ELNS1_3gpuE9ELNS1_3repE0EEENS1_30default_config_static_selectorELNS0_4arch9wavefront6targetE1EEEvSZ_,comdat
.Lfunc_end665:
	.size	_ZN7rocprim17ROCPRIM_400000_NS6detail17trampoline_kernelINS0_13select_configILj256ELj13ELNS0_17block_load_methodE3ELS4_3ELS4_3ELNS0_20block_scan_algorithmE0ELj4294967295EEENS1_25partition_config_selectorILNS1_17partition_subalgoE4EjNS0_10empty_typeEbEEZZNS1_14partition_implILS8_4ELb0ES6_15HIP_vector_typeIjLj2EENS0_17counting_iteratorIjlEEPS9_SG_NS0_5tupleIJPjSI_NS0_16reverse_iteratorISI_EEEEENSH_IJSG_SG_SG_EEES9_SI_JZNS1_25segmented_radix_sort_implINS0_14default_configELb1EPKlPlSQ_SR_N2at6native12_GLOBAL__N_18offset_tEEE10hipError_tPvRmT1_PNSt15iterator_traitsISZ_E10value_typeET2_T3_PNS10_IS15_E10value_typeET4_jRbjT5_S1B_jjP12ihipStream_tbEUljE_ZNSN_ISO_Lb1ESQ_SR_SQ_SR_SV_EESW_SX_SY_SZ_S13_S14_S15_S18_S19_jS1A_jS1B_S1B_jjS1D_bEUljE0_EEESW_SX_SY_S15_S19_S1B_T6_T7_T9_mT8_S1D_bDpT10_ENKUlT_T0_E_clISt17integral_constantIbLb0EES1Q_IbLb1EEEEDaS1M_S1N_EUlS1M_E_NS1_11comp_targetILNS1_3genE5ELNS1_11target_archE942ELNS1_3gpuE9ELNS1_3repE0EEENS1_30default_config_static_selectorELNS0_4arch9wavefront6targetE1EEEvSZ_, .Lfunc_end665-_ZN7rocprim17ROCPRIM_400000_NS6detail17trampoline_kernelINS0_13select_configILj256ELj13ELNS0_17block_load_methodE3ELS4_3ELS4_3ELNS0_20block_scan_algorithmE0ELj4294967295EEENS1_25partition_config_selectorILNS1_17partition_subalgoE4EjNS0_10empty_typeEbEEZZNS1_14partition_implILS8_4ELb0ES6_15HIP_vector_typeIjLj2EENS0_17counting_iteratorIjlEEPS9_SG_NS0_5tupleIJPjSI_NS0_16reverse_iteratorISI_EEEEENSH_IJSG_SG_SG_EEES9_SI_JZNS1_25segmented_radix_sort_implINS0_14default_configELb1EPKlPlSQ_SR_N2at6native12_GLOBAL__N_18offset_tEEE10hipError_tPvRmT1_PNSt15iterator_traitsISZ_E10value_typeET2_T3_PNS10_IS15_E10value_typeET4_jRbjT5_S1B_jjP12ihipStream_tbEUljE_ZNSN_ISO_Lb1ESQ_SR_SQ_SR_SV_EESW_SX_SY_SZ_S13_S14_S15_S18_S19_jS1A_jS1B_S1B_jjS1D_bEUljE0_EEESW_SX_SY_S15_S19_S1B_T6_T7_T9_mT8_S1D_bDpT10_ENKUlT_T0_E_clISt17integral_constantIbLb0EES1Q_IbLb1EEEEDaS1M_S1N_EUlS1M_E_NS1_11comp_targetILNS1_3genE5ELNS1_11target_archE942ELNS1_3gpuE9ELNS1_3repE0EEENS1_30default_config_static_selectorELNS0_4arch9wavefront6targetE1EEEvSZ_
                                        ; -- End function
	.set _ZN7rocprim17ROCPRIM_400000_NS6detail17trampoline_kernelINS0_13select_configILj256ELj13ELNS0_17block_load_methodE3ELS4_3ELS4_3ELNS0_20block_scan_algorithmE0ELj4294967295EEENS1_25partition_config_selectorILNS1_17partition_subalgoE4EjNS0_10empty_typeEbEEZZNS1_14partition_implILS8_4ELb0ES6_15HIP_vector_typeIjLj2EENS0_17counting_iteratorIjlEEPS9_SG_NS0_5tupleIJPjSI_NS0_16reverse_iteratorISI_EEEEENSH_IJSG_SG_SG_EEES9_SI_JZNS1_25segmented_radix_sort_implINS0_14default_configELb1EPKlPlSQ_SR_N2at6native12_GLOBAL__N_18offset_tEEE10hipError_tPvRmT1_PNSt15iterator_traitsISZ_E10value_typeET2_T3_PNS10_IS15_E10value_typeET4_jRbjT5_S1B_jjP12ihipStream_tbEUljE_ZNSN_ISO_Lb1ESQ_SR_SQ_SR_SV_EESW_SX_SY_SZ_S13_S14_S15_S18_S19_jS1A_jS1B_S1B_jjS1D_bEUljE0_EEESW_SX_SY_S15_S19_S1B_T6_T7_T9_mT8_S1D_bDpT10_ENKUlT_T0_E_clISt17integral_constantIbLb0EES1Q_IbLb1EEEEDaS1M_S1N_EUlS1M_E_NS1_11comp_targetILNS1_3genE5ELNS1_11target_archE942ELNS1_3gpuE9ELNS1_3repE0EEENS1_30default_config_static_selectorELNS0_4arch9wavefront6targetE1EEEvSZ_.num_vgpr, 0
	.set _ZN7rocprim17ROCPRIM_400000_NS6detail17trampoline_kernelINS0_13select_configILj256ELj13ELNS0_17block_load_methodE3ELS4_3ELS4_3ELNS0_20block_scan_algorithmE0ELj4294967295EEENS1_25partition_config_selectorILNS1_17partition_subalgoE4EjNS0_10empty_typeEbEEZZNS1_14partition_implILS8_4ELb0ES6_15HIP_vector_typeIjLj2EENS0_17counting_iteratorIjlEEPS9_SG_NS0_5tupleIJPjSI_NS0_16reverse_iteratorISI_EEEEENSH_IJSG_SG_SG_EEES9_SI_JZNS1_25segmented_radix_sort_implINS0_14default_configELb1EPKlPlSQ_SR_N2at6native12_GLOBAL__N_18offset_tEEE10hipError_tPvRmT1_PNSt15iterator_traitsISZ_E10value_typeET2_T3_PNS10_IS15_E10value_typeET4_jRbjT5_S1B_jjP12ihipStream_tbEUljE_ZNSN_ISO_Lb1ESQ_SR_SQ_SR_SV_EESW_SX_SY_SZ_S13_S14_S15_S18_S19_jS1A_jS1B_S1B_jjS1D_bEUljE0_EEESW_SX_SY_S15_S19_S1B_T6_T7_T9_mT8_S1D_bDpT10_ENKUlT_T0_E_clISt17integral_constantIbLb0EES1Q_IbLb1EEEEDaS1M_S1N_EUlS1M_E_NS1_11comp_targetILNS1_3genE5ELNS1_11target_archE942ELNS1_3gpuE9ELNS1_3repE0EEENS1_30default_config_static_selectorELNS0_4arch9wavefront6targetE1EEEvSZ_.num_agpr, 0
	.set _ZN7rocprim17ROCPRIM_400000_NS6detail17trampoline_kernelINS0_13select_configILj256ELj13ELNS0_17block_load_methodE3ELS4_3ELS4_3ELNS0_20block_scan_algorithmE0ELj4294967295EEENS1_25partition_config_selectorILNS1_17partition_subalgoE4EjNS0_10empty_typeEbEEZZNS1_14partition_implILS8_4ELb0ES6_15HIP_vector_typeIjLj2EENS0_17counting_iteratorIjlEEPS9_SG_NS0_5tupleIJPjSI_NS0_16reverse_iteratorISI_EEEEENSH_IJSG_SG_SG_EEES9_SI_JZNS1_25segmented_radix_sort_implINS0_14default_configELb1EPKlPlSQ_SR_N2at6native12_GLOBAL__N_18offset_tEEE10hipError_tPvRmT1_PNSt15iterator_traitsISZ_E10value_typeET2_T3_PNS10_IS15_E10value_typeET4_jRbjT5_S1B_jjP12ihipStream_tbEUljE_ZNSN_ISO_Lb1ESQ_SR_SQ_SR_SV_EESW_SX_SY_SZ_S13_S14_S15_S18_S19_jS1A_jS1B_S1B_jjS1D_bEUljE0_EEESW_SX_SY_S15_S19_S1B_T6_T7_T9_mT8_S1D_bDpT10_ENKUlT_T0_E_clISt17integral_constantIbLb0EES1Q_IbLb1EEEEDaS1M_S1N_EUlS1M_E_NS1_11comp_targetILNS1_3genE5ELNS1_11target_archE942ELNS1_3gpuE9ELNS1_3repE0EEENS1_30default_config_static_selectorELNS0_4arch9wavefront6targetE1EEEvSZ_.numbered_sgpr, 0
	.set _ZN7rocprim17ROCPRIM_400000_NS6detail17trampoline_kernelINS0_13select_configILj256ELj13ELNS0_17block_load_methodE3ELS4_3ELS4_3ELNS0_20block_scan_algorithmE0ELj4294967295EEENS1_25partition_config_selectorILNS1_17partition_subalgoE4EjNS0_10empty_typeEbEEZZNS1_14partition_implILS8_4ELb0ES6_15HIP_vector_typeIjLj2EENS0_17counting_iteratorIjlEEPS9_SG_NS0_5tupleIJPjSI_NS0_16reverse_iteratorISI_EEEEENSH_IJSG_SG_SG_EEES9_SI_JZNS1_25segmented_radix_sort_implINS0_14default_configELb1EPKlPlSQ_SR_N2at6native12_GLOBAL__N_18offset_tEEE10hipError_tPvRmT1_PNSt15iterator_traitsISZ_E10value_typeET2_T3_PNS10_IS15_E10value_typeET4_jRbjT5_S1B_jjP12ihipStream_tbEUljE_ZNSN_ISO_Lb1ESQ_SR_SQ_SR_SV_EESW_SX_SY_SZ_S13_S14_S15_S18_S19_jS1A_jS1B_S1B_jjS1D_bEUljE0_EEESW_SX_SY_S15_S19_S1B_T6_T7_T9_mT8_S1D_bDpT10_ENKUlT_T0_E_clISt17integral_constantIbLb0EES1Q_IbLb1EEEEDaS1M_S1N_EUlS1M_E_NS1_11comp_targetILNS1_3genE5ELNS1_11target_archE942ELNS1_3gpuE9ELNS1_3repE0EEENS1_30default_config_static_selectorELNS0_4arch9wavefront6targetE1EEEvSZ_.num_named_barrier, 0
	.set _ZN7rocprim17ROCPRIM_400000_NS6detail17trampoline_kernelINS0_13select_configILj256ELj13ELNS0_17block_load_methodE3ELS4_3ELS4_3ELNS0_20block_scan_algorithmE0ELj4294967295EEENS1_25partition_config_selectorILNS1_17partition_subalgoE4EjNS0_10empty_typeEbEEZZNS1_14partition_implILS8_4ELb0ES6_15HIP_vector_typeIjLj2EENS0_17counting_iteratorIjlEEPS9_SG_NS0_5tupleIJPjSI_NS0_16reverse_iteratorISI_EEEEENSH_IJSG_SG_SG_EEES9_SI_JZNS1_25segmented_radix_sort_implINS0_14default_configELb1EPKlPlSQ_SR_N2at6native12_GLOBAL__N_18offset_tEEE10hipError_tPvRmT1_PNSt15iterator_traitsISZ_E10value_typeET2_T3_PNS10_IS15_E10value_typeET4_jRbjT5_S1B_jjP12ihipStream_tbEUljE_ZNSN_ISO_Lb1ESQ_SR_SQ_SR_SV_EESW_SX_SY_SZ_S13_S14_S15_S18_S19_jS1A_jS1B_S1B_jjS1D_bEUljE0_EEESW_SX_SY_S15_S19_S1B_T6_T7_T9_mT8_S1D_bDpT10_ENKUlT_T0_E_clISt17integral_constantIbLb0EES1Q_IbLb1EEEEDaS1M_S1N_EUlS1M_E_NS1_11comp_targetILNS1_3genE5ELNS1_11target_archE942ELNS1_3gpuE9ELNS1_3repE0EEENS1_30default_config_static_selectorELNS0_4arch9wavefront6targetE1EEEvSZ_.private_seg_size, 0
	.set _ZN7rocprim17ROCPRIM_400000_NS6detail17trampoline_kernelINS0_13select_configILj256ELj13ELNS0_17block_load_methodE3ELS4_3ELS4_3ELNS0_20block_scan_algorithmE0ELj4294967295EEENS1_25partition_config_selectorILNS1_17partition_subalgoE4EjNS0_10empty_typeEbEEZZNS1_14partition_implILS8_4ELb0ES6_15HIP_vector_typeIjLj2EENS0_17counting_iteratorIjlEEPS9_SG_NS0_5tupleIJPjSI_NS0_16reverse_iteratorISI_EEEEENSH_IJSG_SG_SG_EEES9_SI_JZNS1_25segmented_radix_sort_implINS0_14default_configELb1EPKlPlSQ_SR_N2at6native12_GLOBAL__N_18offset_tEEE10hipError_tPvRmT1_PNSt15iterator_traitsISZ_E10value_typeET2_T3_PNS10_IS15_E10value_typeET4_jRbjT5_S1B_jjP12ihipStream_tbEUljE_ZNSN_ISO_Lb1ESQ_SR_SQ_SR_SV_EESW_SX_SY_SZ_S13_S14_S15_S18_S19_jS1A_jS1B_S1B_jjS1D_bEUljE0_EEESW_SX_SY_S15_S19_S1B_T6_T7_T9_mT8_S1D_bDpT10_ENKUlT_T0_E_clISt17integral_constantIbLb0EES1Q_IbLb1EEEEDaS1M_S1N_EUlS1M_E_NS1_11comp_targetILNS1_3genE5ELNS1_11target_archE942ELNS1_3gpuE9ELNS1_3repE0EEENS1_30default_config_static_selectorELNS0_4arch9wavefront6targetE1EEEvSZ_.uses_vcc, 0
	.set _ZN7rocprim17ROCPRIM_400000_NS6detail17trampoline_kernelINS0_13select_configILj256ELj13ELNS0_17block_load_methodE3ELS4_3ELS4_3ELNS0_20block_scan_algorithmE0ELj4294967295EEENS1_25partition_config_selectorILNS1_17partition_subalgoE4EjNS0_10empty_typeEbEEZZNS1_14partition_implILS8_4ELb0ES6_15HIP_vector_typeIjLj2EENS0_17counting_iteratorIjlEEPS9_SG_NS0_5tupleIJPjSI_NS0_16reverse_iteratorISI_EEEEENSH_IJSG_SG_SG_EEES9_SI_JZNS1_25segmented_radix_sort_implINS0_14default_configELb1EPKlPlSQ_SR_N2at6native12_GLOBAL__N_18offset_tEEE10hipError_tPvRmT1_PNSt15iterator_traitsISZ_E10value_typeET2_T3_PNS10_IS15_E10value_typeET4_jRbjT5_S1B_jjP12ihipStream_tbEUljE_ZNSN_ISO_Lb1ESQ_SR_SQ_SR_SV_EESW_SX_SY_SZ_S13_S14_S15_S18_S19_jS1A_jS1B_S1B_jjS1D_bEUljE0_EEESW_SX_SY_S15_S19_S1B_T6_T7_T9_mT8_S1D_bDpT10_ENKUlT_T0_E_clISt17integral_constantIbLb0EES1Q_IbLb1EEEEDaS1M_S1N_EUlS1M_E_NS1_11comp_targetILNS1_3genE5ELNS1_11target_archE942ELNS1_3gpuE9ELNS1_3repE0EEENS1_30default_config_static_selectorELNS0_4arch9wavefront6targetE1EEEvSZ_.uses_flat_scratch, 0
	.set _ZN7rocprim17ROCPRIM_400000_NS6detail17trampoline_kernelINS0_13select_configILj256ELj13ELNS0_17block_load_methodE3ELS4_3ELS4_3ELNS0_20block_scan_algorithmE0ELj4294967295EEENS1_25partition_config_selectorILNS1_17partition_subalgoE4EjNS0_10empty_typeEbEEZZNS1_14partition_implILS8_4ELb0ES6_15HIP_vector_typeIjLj2EENS0_17counting_iteratorIjlEEPS9_SG_NS0_5tupleIJPjSI_NS0_16reverse_iteratorISI_EEEEENSH_IJSG_SG_SG_EEES9_SI_JZNS1_25segmented_radix_sort_implINS0_14default_configELb1EPKlPlSQ_SR_N2at6native12_GLOBAL__N_18offset_tEEE10hipError_tPvRmT1_PNSt15iterator_traitsISZ_E10value_typeET2_T3_PNS10_IS15_E10value_typeET4_jRbjT5_S1B_jjP12ihipStream_tbEUljE_ZNSN_ISO_Lb1ESQ_SR_SQ_SR_SV_EESW_SX_SY_SZ_S13_S14_S15_S18_S19_jS1A_jS1B_S1B_jjS1D_bEUljE0_EEESW_SX_SY_S15_S19_S1B_T6_T7_T9_mT8_S1D_bDpT10_ENKUlT_T0_E_clISt17integral_constantIbLb0EES1Q_IbLb1EEEEDaS1M_S1N_EUlS1M_E_NS1_11comp_targetILNS1_3genE5ELNS1_11target_archE942ELNS1_3gpuE9ELNS1_3repE0EEENS1_30default_config_static_selectorELNS0_4arch9wavefront6targetE1EEEvSZ_.has_dyn_sized_stack, 0
	.set _ZN7rocprim17ROCPRIM_400000_NS6detail17trampoline_kernelINS0_13select_configILj256ELj13ELNS0_17block_load_methodE3ELS4_3ELS4_3ELNS0_20block_scan_algorithmE0ELj4294967295EEENS1_25partition_config_selectorILNS1_17partition_subalgoE4EjNS0_10empty_typeEbEEZZNS1_14partition_implILS8_4ELb0ES6_15HIP_vector_typeIjLj2EENS0_17counting_iteratorIjlEEPS9_SG_NS0_5tupleIJPjSI_NS0_16reverse_iteratorISI_EEEEENSH_IJSG_SG_SG_EEES9_SI_JZNS1_25segmented_radix_sort_implINS0_14default_configELb1EPKlPlSQ_SR_N2at6native12_GLOBAL__N_18offset_tEEE10hipError_tPvRmT1_PNSt15iterator_traitsISZ_E10value_typeET2_T3_PNS10_IS15_E10value_typeET4_jRbjT5_S1B_jjP12ihipStream_tbEUljE_ZNSN_ISO_Lb1ESQ_SR_SQ_SR_SV_EESW_SX_SY_SZ_S13_S14_S15_S18_S19_jS1A_jS1B_S1B_jjS1D_bEUljE0_EEESW_SX_SY_S15_S19_S1B_T6_T7_T9_mT8_S1D_bDpT10_ENKUlT_T0_E_clISt17integral_constantIbLb0EES1Q_IbLb1EEEEDaS1M_S1N_EUlS1M_E_NS1_11comp_targetILNS1_3genE5ELNS1_11target_archE942ELNS1_3gpuE9ELNS1_3repE0EEENS1_30default_config_static_selectorELNS0_4arch9wavefront6targetE1EEEvSZ_.has_recursion, 0
	.set _ZN7rocprim17ROCPRIM_400000_NS6detail17trampoline_kernelINS0_13select_configILj256ELj13ELNS0_17block_load_methodE3ELS4_3ELS4_3ELNS0_20block_scan_algorithmE0ELj4294967295EEENS1_25partition_config_selectorILNS1_17partition_subalgoE4EjNS0_10empty_typeEbEEZZNS1_14partition_implILS8_4ELb0ES6_15HIP_vector_typeIjLj2EENS0_17counting_iteratorIjlEEPS9_SG_NS0_5tupleIJPjSI_NS0_16reverse_iteratorISI_EEEEENSH_IJSG_SG_SG_EEES9_SI_JZNS1_25segmented_radix_sort_implINS0_14default_configELb1EPKlPlSQ_SR_N2at6native12_GLOBAL__N_18offset_tEEE10hipError_tPvRmT1_PNSt15iterator_traitsISZ_E10value_typeET2_T3_PNS10_IS15_E10value_typeET4_jRbjT5_S1B_jjP12ihipStream_tbEUljE_ZNSN_ISO_Lb1ESQ_SR_SQ_SR_SV_EESW_SX_SY_SZ_S13_S14_S15_S18_S19_jS1A_jS1B_S1B_jjS1D_bEUljE0_EEESW_SX_SY_S15_S19_S1B_T6_T7_T9_mT8_S1D_bDpT10_ENKUlT_T0_E_clISt17integral_constantIbLb0EES1Q_IbLb1EEEEDaS1M_S1N_EUlS1M_E_NS1_11comp_targetILNS1_3genE5ELNS1_11target_archE942ELNS1_3gpuE9ELNS1_3repE0EEENS1_30default_config_static_selectorELNS0_4arch9wavefront6targetE1EEEvSZ_.has_indirect_call, 0
	.section	.AMDGPU.csdata,"",@progbits
; Kernel info:
; codeLenInByte = 0
; TotalNumSgprs: 4
; NumVgprs: 0
; ScratchSize: 0
; MemoryBound: 0
; FloatMode: 240
; IeeeMode: 1
; LDSByteSize: 0 bytes/workgroup (compile time only)
; SGPRBlocks: 0
; VGPRBlocks: 0
; NumSGPRsForWavesPerEU: 4
; NumVGPRsForWavesPerEU: 1
; Occupancy: 10
; WaveLimiterHint : 0
; COMPUTE_PGM_RSRC2:SCRATCH_EN: 0
; COMPUTE_PGM_RSRC2:USER_SGPR: 6
; COMPUTE_PGM_RSRC2:TRAP_HANDLER: 0
; COMPUTE_PGM_RSRC2:TGID_X_EN: 1
; COMPUTE_PGM_RSRC2:TGID_Y_EN: 0
; COMPUTE_PGM_RSRC2:TGID_Z_EN: 0
; COMPUTE_PGM_RSRC2:TIDIG_COMP_CNT: 0
	.section	.text._ZN7rocprim17ROCPRIM_400000_NS6detail17trampoline_kernelINS0_13select_configILj256ELj13ELNS0_17block_load_methodE3ELS4_3ELS4_3ELNS0_20block_scan_algorithmE0ELj4294967295EEENS1_25partition_config_selectorILNS1_17partition_subalgoE4EjNS0_10empty_typeEbEEZZNS1_14partition_implILS8_4ELb0ES6_15HIP_vector_typeIjLj2EENS0_17counting_iteratorIjlEEPS9_SG_NS0_5tupleIJPjSI_NS0_16reverse_iteratorISI_EEEEENSH_IJSG_SG_SG_EEES9_SI_JZNS1_25segmented_radix_sort_implINS0_14default_configELb1EPKlPlSQ_SR_N2at6native12_GLOBAL__N_18offset_tEEE10hipError_tPvRmT1_PNSt15iterator_traitsISZ_E10value_typeET2_T3_PNS10_IS15_E10value_typeET4_jRbjT5_S1B_jjP12ihipStream_tbEUljE_ZNSN_ISO_Lb1ESQ_SR_SQ_SR_SV_EESW_SX_SY_SZ_S13_S14_S15_S18_S19_jS1A_jS1B_S1B_jjS1D_bEUljE0_EEESW_SX_SY_S15_S19_S1B_T6_T7_T9_mT8_S1D_bDpT10_ENKUlT_T0_E_clISt17integral_constantIbLb0EES1Q_IbLb1EEEEDaS1M_S1N_EUlS1M_E_NS1_11comp_targetILNS1_3genE4ELNS1_11target_archE910ELNS1_3gpuE8ELNS1_3repE0EEENS1_30default_config_static_selectorELNS0_4arch9wavefront6targetE1EEEvSZ_,"axG",@progbits,_ZN7rocprim17ROCPRIM_400000_NS6detail17trampoline_kernelINS0_13select_configILj256ELj13ELNS0_17block_load_methodE3ELS4_3ELS4_3ELNS0_20block_scan_algorithmE0ELj4294967295EEENS1_25partition_config_selectorILNS1_17partition_subalgoE4EjNS0_10empty_typeEbEEZZNS1_14partition_implILS8_4ELb0ES6_15HIP_vector_typeIjLj2EENS0_17counting_iteratorIjlEEPS9_SG_NS0_5tupleIJPjSI_NS0_16reverse_iteratorISI_EEEEENSH_IJSG_SG_SG_EEES9_SI_JZNS1_25segmented_radix_sort_implINS0_14default_configELb1EPKlPlSQ_SR_N2at6native12_GLOBAL__N_18offset_tEEE10hipError_tPvRmT1_PNSt15iterator_traitsISZ_E10value_typeET2_T3_PNS10_IS15_E10value_typeET4_jRbjT5_S1B_jjP12ihipStream_tbEUljE_ZNSN_ISO_Lb1ESQ_SR_SQ_SR_SV_EESW_SX_SY_SZ_S13_S14_S15_S18_S19_jS1A_jS1B_S1B_jjS1D_bEUljE0_EEESW_SX_SY_S15_S19_S1B_T6_T7_T9_mT8_S1D_bDpT10_ENKUlT_T0_E_clISt17integral_constantIbLb0EES1Q_IbLb1EEEEDaS1M_S1N_EUlS1M_E_NS1_11comp_targetILNS1_3genE4ELNS1_11target_archE910ELNS1_3gpuE8ELNS1_3repE0EEENS1_30default_config_static_selectorELNS0_4arch9wavefront6targetE1EEEvSZ_,comdat
	.globl	_ZN7rocprim17ROCPRIM_400000_NS6detail17trampoline_kernelINS0_13select_configILj256ELj13ELNS0_17block_load_methodE3ELS4_3ELS4_3ELNS0_20block_scan_algorithmE0ELj4294967295EEENS1_25partition_config_selectorILNS1_17partition_subalgoE4EjNS0_10empty_typeEbEEZZNS1_14partition_implILS8_4ELb0ES6_15HIP_vector_typeIjLj2EENS0_17counting_iteratorIjlEEPS9_SG_NS0_5tupleIJPjSI_NS0_16reverse_iteratorISI_EEEEENSH_IJSG_SG_SG_EEES9_SI_JZNS1_25segmented_radix_sort_implINS0_14default_configELb1EPKlPlSQ_SR_N2at6native12_GLOBAL__N_18offset_tEEE10hipError_tPvRmT1_PNSt15iterator_traitsISZ_E10value_typeET2_T3_PNS10_IS15_E10value_typeET4_jRbjT5_S1B_jjP12ihipStream_tbEUljE_ZNSN_ISO_Lb1ESQ_SR_SQ_SR_SV_EESW_SX_SY_SZ_S13_S14_S15_S18_S19_jS1A_jS1B_S1B_jjS1D_bEUljE0_EEESW_SX_SY_S15_S19_S1B_T6_T7_T9_mT8_S1D_bDpT10_ENKUlT_T0_E_clISt17integral_constantIbLb0EES1Q_IbLb1EEEEDaS1M_S1N_EUlS1M_E_NS1_11comp_targetILNS1_3genE4ELNS1_11target_archE910ELNS1_3gpuE8ELNS1_3repE0EEENS1_30default_config_static_selectorELNS0_4arch9wavefront6targetE1EEEvSZ_ ; -- Begin function _ZN7rocprim17ROCPRIM_400000_NS6detail17trampoline_kernelINS0_13select_configILj256ELj13ELNS0_17block_load_methodE3ELS4_3ELS4_3ELNS0_20block_scan_algorithmE0ELj4294967295EEENS1_25partition_config_selectorILNS1_17partition_subalgoE4EjNS0_10empty_typeEbEEZZNS1_14partition_implILS8_4ELb0ES6_15HIP_vector_typeIjLj2EENS0_17counting_iteratorIjlEEPS9_SG_NS0_5tupleIJPjSI_NS0_16reverse_iteratorISI_EEEEENSH_IJSG_SG_SG_EEES9_SI_JZNS1_25segmented_radix_sort_implINS0_14default_configELb1EPKlPlSQ_SR_N2at6native12_GLOBAL__N_18offset_tEEE10hipError_tPvRmT1_PNSt15iterator_traitsISZ_E10value_typeET2_T3_PNS10_IS15_E10value_typeET4_jRbjT5_S1B_jjP12ihipStream_tbEUljE_ZNSN_ISO_Lb1ESQ_SR_SQ_SR_SV_EESW_SX_SY_SZ_S13_S14_S15_S18_S19_jS1A_jS1B_S1B_jjS1D_bEUljE0_EEESW_SX_SY_S15_S19_S1B_T6_T7_T9_mT8_S1D_bDpT10_ENKUlT_T0_E_clISt17integral_constantIbLb0EES1Q_IbLb1EEEEDaS1M_S1N_EUlS1M_E_NS1_11comp_targetILNS1_3genE4ELNS1_11target_archE910ELNS1_3gpuE8ELNS1_3repE0EEENS1_30default_config_static_selectorELNS0_4arch9wavefront6targetE1EEEvSZ_
	.p2align	8
	.type	_ZN7rocprim17ROCPRIM_400000_NS6detail17trampoline_kernelINS0_13select_configILj256ELj13ELNS0_17block_load_methodE3ELS4_3ELS4_3ELNS0_20block_scan_algorithmE0ELj4294967295EEENS1_25partition_config_selectorILNS1_17partition_subalgoE4EjNS0_10empty_typeEbEEZZNS1_14partition_implILS8_4ELb0ES6_15HIP_vector_typeIjLj2EENS0_17counting_iteratorIjlEEPS9_SG_NS0_5tupleIJPjSI_NS0_16reverse_iteratorISI_EEEEENSH_IJSG_SG_SG_EEES9_SI_JZNS1_25segmented_radix_sort_implINS0_14default_configELb1EPKlPlSQ_SR_N2at6native12_GLOBAL__N_18offset_tEEE10hipError_tPvRmT1_PNSt15iterator_traitsISZ_E10value_typeET2_T3_PNS10_IS15_E10value_typeET4_jRbjT5_S1B_jjP12ihipStream_tbEUljE_ZNSN_ISO_Lb1ESQ_SR_SQ_SR_SV_EESW_SX_SY_SZ_S13_S14_S15_S18_S19_jS1A_jS1B_S1B_jjS1D_bEUljE0_EEESW_SX_SY_S15_S19_S1B_T6_T7_T9_mT8_S1D_bDpT10_ENKUlT_T0_E_clISt17integral_constantIbLb0EES1Q_IbLb1EEEEDaS1M_S1N_EUlS1M_E_NS1_11comp_targetILNS1_3genE4ELNS1_11target_archE910ELNS1_3gpuE8ELNS1_3repE0EEENS1_30default_config_static_selectorELNS0_4arch9wavefront6targetE1EEEvSZ_,@function
_ZN7rocprim17ROCPRIM_400000_NS6detail17trampoline_kernelINS0_13select_configILj256ELj13ELNS0_17block_load_methodE3ELS4_3ELS4_3ELNS0_20block_scan_algorithmE0ELj4294967295EEENS1_25partition_config_selectorILNS1_17partition_subalgoE4EjNS0_10empty_typeEbEEZZNS1_14partition_implILS8_4ELb0ES6_15HIP_vector_typeIjLj2EENS0_17counting_iteratorIjlEEPS9_SG_NS0_5tupleIJPjSI_NS0_16reverse_iteratorISI_EEEEENSH_IJSG_SG_SG_EEES9_SI_JZNS1_25segmented_radix_sort_implINS0_14default_configELb1EPKlPlSQ_SR_N2at6native12_GLOBAL__N_18offset_tEEE10hipError_tPvRmT1_PNSt15iterator_traitsISZ_E10value_typeET2_T3_PNS10_IS15_E10value_typeET4_jRbjT5_S1B_jjP12ihipStream_tbEUljE_ZNSN_ISO_Lb1ESQ_SR_SQ_SR_SV_EESW_SX_SY_SZ_S13_S14_S15_S18_S19_jS1A_jS1B_S1B_jjS1D_bEUljE0_EEESW_SX_SY_S15_S19_S1B_T6_T7_T9_mT8_S1D_bDpT10_ENKUlT_T0_E_clISt17integral_constantIbLb0EES1Q_IbLb1EEEEDaS1M_S1N_EUlS1M_E_NS1_11comp_targetILNS1_3genE4ELNS1_11target_archE910ELNS1_3gpuE8ELNS1_3repE0EEENS1_30default_config_static_selectorELNS0_4arch9wavefront6targetE1EEEvSZ_: ; @_ZN7rocprim17ROCPRIM_400000_NS6detail17trampoline_kernelINS0_13select_configILj256ELj13ELNS0_17block_load_methodE3ELS4_3ELS4_3ELNS0_20block_scan_algorithmE0ELj4294967295EEENS1_25partition_config_selectorILNS1_17partition_subalgoE4EjNS0_10empty_typeEbEEZZNS1_14partition_implILS8_4ELb0ES6_15HIP_vector_typeIjLj2EENS0_17counting_iteratorIjlEEPS9_SG_NS0_5tupleIJPjSI_NS0_16reverse_iteratorISI_EEEEENSH_IJSG_SG_SG_EEES9_SI_JZNS1_25segmented_radix_sort_implINS0_14default_configELb1EPKlPlSQ_SR_N2at6native12_GLOBAL__N_18offset_tEEE10hipError_tPvRmT1_PNSt15iterator_traitsISZ_E10value_typeET2_T3_PNS10_IS15_E10value_typeET4_jRbjT5_S1B_jjP12ihipStream_tbEUljE_ZNSN_ISO_Lb1ESQ_SR_SQ_SR_SV_EESW_SX_SY_SZ_S13_S14_S15_S18_S19_jS1A_jS1B_S1B_jjS1D_bEUljE0_EEESW_SX_SY_S15_S19_S1B_T6_T7_T9_mT8_S1D_bDpT10_ENKUlT_T0_E_clISt17integral_constantIbLb0EES1Q_IbLb1EEEEDaS1M_S1N_EUlS1M_E_NS1_11comp_targetILNS1_3genE4ELNS1_11target_archE910ELNS1_3gpuE8ELNS1_3repE0EEENS1_30default_config_static_selectorELNS0_4arch9wavefront6targetE1EEEvSZ_
; %bb.0:
	.section	.rodata,"a",@progbits
	.p2align	6, 0x0
	.amdhsa_kernel _ZN7rocprim17ROCPRIM_400000_NS6detail17trampoline_kernelINS0_13select_configILj256ELj13ELNS0_17block_load_methodE3ELS4_3ELS4_3ELNS0_20block_scan_algorithmE0ELj4294967295EEENS1_25partition_config_selectorILNS1_17partition_subalgoE4EjNS0_10empty_typeEbEEZZNS1_14partition_implILS8_4ELb0ES6_15HIP_vector_typeIjLj2EENS0_17counting_iteratorIjlEEPS9_SG_NS0_5tupleIJPjSI_NS0_16reverse_iteratorISI_EEEEENSH_IJSG_SG_SG_EEES9_SI_JZNS1_25segmented_radix_sort_implINS0_14default_configELb1EPKlPlSQ_SR_N2at6native12_GLOBAL__N_18offset_tEEE10hipError_tPvRmT1_PNSt15iterator_traitsISZ_E10value_typeET2_T3_PNS10_IS15_E10value_typeET4_jRbjT5_S1B_jjP12ihipStream_tbEUljE_ZNSN_ISO_Lb1ESQ_SR_SQ_SR_SV_EESW_SX_SY_SZ_S13_S14_S15_S18_S19_jS1A_jS1B_S1B_jjS1D_bEUljE0_EEESW_SX_SY_S15_S19_S1B_T6_T7_T9_mT8_S1D_bDpT10_ENKUlT_T0_E_clISt17integral_constantIbLb0EES1Q_IbLb1EEEEDaS1M_S1N_EUlS1M_E_NS1_11comp_targetILNS1_3genE4ELNS1_11target_archE910ELNS1_3gpuE8ELNS1_3repE0EEENS1_30default_config_static_selectorELNS0_4arch9wavefront6targetE1EEEvSZ_
		.amdhsa_group_segment_fixed_size 0
		.amdhsa_private_segment_fixed_size 0
		.amdhsa_kernarg_size 184
		.amdhsa_user_sgpr_count 6
		.amdhsa_user_sgpr_private_segment_buffer 1
		.amdhsa_user_sgpr_dispatch_ptr 0
		.amdhsa_user_sgpr_queue_ptr 0
		.amdhsa_user_sgpr_kernarg_segment_ptr 1
		.amdhsa_user_sgpr_dispatch_id 0
		.amdhsa_user_sgpr_flat_scratch_init 0
		.amdhsa_user_sgpr_private_segment_size 0
		.amdhsa_uses_dynamic_stack 0
		.amdhsa_system_sgpr_private_segment_wavefront_offset 0
		.amdhsa_system_sgpr_workgroup_id_x 1
		.amdhsa_system_sgpr_workgroup_id_y 0
		.amdhsa_system_sgpr_workgroup_id_z 0
		.amdhsa_system_sgpr_workgroup_info 0
		.amdhsa_system_vgpr_workitem_id 0
		.amdhsa_next_free_vgpr 1
		.amdhsa_next_free_sgpr 0
		.amdhsa_reserve_vcc 0
		.amdhsa_reserve_flat_scratch 0
		.amdhsa_float_round_mode_32 0
		.amdhsa_float_round_mode_16_64 0
		.amdhsa_float_denorm_mode_32 3
		.amdhsa_float_denorm_mode_16_64 3
		.amdhsa_dx10_clamp 1
		.amdhsa_ieee_mode 1
		.amdhsa_fp16_overflow 0
		.amdhsa_exception_fp_ieee_invalid_op 0
		.amdhsa_exception_fp_denorm_src 0
		.amdhsa_exception_fp_ieee_div_zero 0
		.amdhsa_exception_fp_ieee_overflow 0
		.amdhsa_exception_fp_ieee_underflow 0
		.amdhsa_exception_fp_ieee_inexact 0
		.amdhsa_exception_int_div_zero 0
	.end_amdhsa_kernel
	.section	.text._ZN7rocprim17ROCPRIM_400000_NS6detail17trampoline_kernelINS0_13select_configILj256ELj13ELNS0_17block_load_methodE3ELS4_3ELS4_3ELNS0_20block_scan_algorithmE0ELj4294967295EEENS1_25partition_config_selectorILNS1_17partition_subalgoE4EjNS0_10empty_typeEbEEZZNS1_14partition_implILS8_4ELb0ES6_15HIP_vector_typeIjLj2EENS0_17counting_iteratorIjlEEPS9_SG_NS0_5tupleIJPjSI_NS0_16reverse_iteratorISI_EEEEENSH_IJSG_SG_SG_EEES9_SI_JZNS1_25segmented_radix_sort_implINS0_14default_configELb1EPKlPlSQ_SR_N2at6native12_GLOBAL__N_18offset_tEEE10hipError_tPvRmT1_PNSt15iterator_traitsISZ_E10value_typeET2_T3_PNS10_IS15_E10value_typeET4_jRbjT5_S1B_jjP12ihipStream_tbEUljE_ZNSN_ISO_Lb1ESQ_SR_SQ_SR_SV_EESW_SX_SY_SZ_S13_S14_S15_S18_S19_jS1A_jS1B_S1B_jjS1D_bEUljE0_EEESW_SX_SY_S15_S19_S1B_T6_T7_T9_mT8_S1D_bDpT10_ENKUlT_T0_E_clISt17integral_constantIbLb0EES1Q_IbLb1EEEEDaS1M_S1N_EUlS1M_E_NS1_11comp_targetILNS1_3genE4ELNS1_11target_archE910ELNS1_3gpuE8ELNS1_3repE0EEENS1_30default_config_static_selectorELNS0_4arch9wavefront6targetE1EEEvSZ_,"axG",@progbits,_ZN7rocprim17ROCPRIM_400000_NS6detail17trampoline_kernelINS0_13select_configILj256ELj13ELNS0_17block_load_methodE3ELS4_3ELS4_3ELNS0_20block_scan_algorithmE0ELj4294967295EEENS1_25partition_config_selectorILNS1_17partition_subalgoE4EjNS0_10empty_typeEbEEZZNS1_14partition_implILS8_4ELb0ES6_15HIP_vector_typeIjLj2EENS0_17counting_iteratorIjlEEPS9_SG_NS0_5tupleIJPjSI_NS0_16reverse_iteratorISI_EEEEENSH_IJSG_SG_SG_EEES9_SI_JZNS1_25segmented_radix_sort_implINS0_14default_configELb1EPKlPlSQ_SR_N2at6native12_GLOBAL__N_18offset_tEEE10hipError_tPvRmT1_PNSt15iterator_traitsISZ_E10value_typeET2_T3_PNS10_IS15_E10value_typeET4_jRbjT5_S1B_jjP12ihipStream_tbEUljE_ZNSN_ISO_Lb1ESQ_SR_SQ_SR_SV_EESW_SX_SY_SZ_S13_S14_S15_S18_S19_jS1A_jS1B_S1B_jjS1D_bEUljE0_EEESW_SX_SY_S15_S19_S1B_T6_T7_T9_mT8_S1D_bDpT10_ENKUlT_T0_E_clISt17integral_constantIbLb0EES1Q_IbLb1EEEEDaS1M_S1N_EUlS1M_E_NS1_11comp_targetILNS1_3genE4ELNS1_11target_archE910ELNS1_3gpuE8ELNS1_3repE0EEENS1_30default_config_static_selectorELNS0_4arch9wavefront6targetE1EEEvSZ_,comdat
.Lfunc_end666:
	.size	_ZN7rocprim17ROCPRIM_400000_NS6detail17trampoline_kernelINS0_13select_configILj256ELj13ELNS0_17block_load_methodE3ELS4_3ELS4_3ELNS0_20block_scan_algorithmE0ELj4294967295EEENS1_25partition_config_selectorILNS1_17partition_subalgoE4EjNS0_10empty_typeEbEEZZNS1_14partition_implILS8_4ELb0ES6_15HIP_vector_typeIjLj2EENS0_17counting_iteratorIjlEEPS9_SG_NS0_5tupleIJPjSI_NS0_16reverse_iteratorISI_EEEEENSH_IJSG_SG_SG_EEES9_SI_JZNS1_25segmented_radix_sort_implINS0_14default_configELb1EPKlPlSQ_SR_N2at6native12_GLOBAL__N_18offset_tEEE10hipError_tPvRmT1_PNSt15iterator_traitsISZ_E10value_typeET2_T3_PNS10_IS15_E10value_typeET4_jRbjT5_S1B_jjP12ihipStream_tbEUljE_ZNSN_ISO_Lb1ESQ_SR_SQ_SR_SV_EESW_SX_SY_SZ_S13_S14_S15_S18_S19_jS1A_jS1B_S1B_jjS1D_bEUljE0_EEESW_SX_SY_S15_S19_S1B_T6_T7_T9_mT8_S1D_bDpT10_ENKUlT_T0_E_clISt17integral_constantIbLb0EES1Q_IbLb1EEEEDaS1M_S1N_EUlS1M_E_NS1_11comp_targetILNS1_3genE4ELNS1_11target_archE910ELNS1_3gpuE8ELNS1_3repE0EEENS1_30default_config_static_selectorELNS0_4arch9wavefront6targetE1EEEvSZ_, .Lfunc_end666-_ZN7rocprim17ROCPRIM_400000_NS6detail17trampoline_kernelINS0_13select_configILj256ELj13ELNS0_17block_load_methodE3ELS4_3ELS4_3ELNS0_20block_scan_algorithmE0ELj4294967295EEENS1_25partition_config_selectorILNS1_17partition_subalgoE4EjNS0_10empty_typeEbEEZZNS1_14partition_implILS8_4ELb0ES6_15HIP_vector_typeIjLj2EENS0_17counting_iteratorIjlEEPS9_SG_NS0_5tupleIJPjSI_NS0_16reverse_iteratorISI_EEEEENSH_IJSG_SG_SG_EEES9_SI_JZNS1_25segmented_radix_sort_implINS0_14default_configELb1EPKlPlSQ_SR_N2at6native12_GLOBAL__N_18offset_tEEE10hipError_tPvRmT1_PNSt15iterator_traitsISZ_E10value_typeET2_T3_PNS10_IS15_E10value_typeET4_jRbjT5_S1B_jjP12ihipStream_tbEUljE_ZNSN_ISO_Lb1ESQ_SR_SQ_SR_SV_EESW_SX_SY_SZ_S13_S14_S15_S18_S19_jS1A_jS1B_S1B_jjS1D_bEUljE0_EEESW_SX_SY_S15_S19_S1B_T6_T7_T9_mT8_S1D_bDpT10_ENKUlT_T0_E_clISt17integral_constantIbLb0EES1Q_IbLb1EEEEDaS1M_S1N_EUlS1M_E_NS1_11comp_targetILNS1_3genE4ELNS1_11target_archE910ELNS1_3gpuE8ELNS1_3repE0EEENS1_30default_config_static_selectorELNS0_4arch9wavefront6targetE1EEEvSZ_
                                        ; -- End function
	.set _ZN7rocprim17ROCPRIM_400000_NS6detail17trampoline_kernelINS0_13select_configILj256ELj13ELNS0_17block_load_methodE3ELS4_3ELS4_3ELNS0_20block_scan_algorithmE0ELj4294967295EEENS1_25partition_config_selectorILNS1_17partition_subalgoE4EjNS0_10empty_typeEbEEZZNS1_14partition_implILS8_4ELb0ES6_15HIP_vector_typeIjLj2EENS0_17counting_iteratorIjlEEPS9_SG_NS0_5tupleIJPjSI_NS0_16reverse_iteratorISI_EEEEENSH_IJSG_SG_SG_EEES9_SI_JZNS1_25segmented_radix_sort_implINS0_14default_configELb1EPKlPlSQ_SR_N2at6native12_GLOBAL__N_18offset_tEEE10hipError_tPvRmT1_PNSt15iterator_traitsISZ_E10value_typeET2_T3_PNS10_IS15_E10value_typeET4_jRbjT5_S1B_jjP12ihipStream_tbEUljE_ZNSN_ISO_Lb1ESQ_SR_SQ_SR_SV_EESW_SX_SY_SZ_S13_S14_S15_S18_S19_jS1A_jS1B_S1B_jjS1D_bEUljE0_EEESW_SX_SY_S15_S19_S1B_T6_T7_T9_mT8_S1D_bDpT10_ENKUlT_T0_E_clISt17integral_constantIbLb0EES1Q_IbLb1EEEEDaS1M_S1N_EUlS1M_E_NS1_11comp_targetILNS1_3genE4ELNS1_11target_archE910ELNS1_3gpuE8ELNS1_3repE0EEENS1_30default_config_static_selectorELNS0_4arch9wavefront6targetE1EEEvSZ_.num_vgpr, 0
	.set _ZN7rocprim17ROCPRIM_400000_NS6detail17trampoline_kernelINS0_13select_configILj256ELj13ELNS0_17block_load_methodE3ELS4_3ELS4_3ELNS0_20block_scan_algorithmE0ELj4294967295EEENS1_25partition_config_selectorILNS1_17partition_subalgoE4EjNS0_10empty_typeEbEEZZNS1_14partition_implILS8_4ELb0ES6_15HIP_vector_typeIjLj2EENS0_17counting_iteratorIjlEEPS9_SG_NS0_5tupleIJPjSI_NS0_16reverse_iteratorISI_EEEEENSH_IJSG_SG_SG_EEES9_SI_JZNS1_25segmented_radix_sort_implINS0_14default_configELb1EPKlPlSQ_SR_N2at6native12_GLOBAL__N_18offset_tEEE10hipError_tPvRmT1_PNSt15iterator_traitsISZ_E10value_typeET2_T3_PNS10_IS15_E10value_typeET4_jRbjT5_S1B_jjP12ihipStream_tbEUljE_ZNSN_ISO_Lb1ESQ_SR_SQ_SR_SV_EESW_SX_SY_SZ_S13_S14_S15_S18_S19_jS1A_jS1B_S1B_jjS1D_bEUljE0_EEESW_SX_SY_S15_S19_S1B_T6_T7_T9_mT8_S1D_bDpT10_ENKUlT_T0_E_clISt17integral_constantIbLb0EES1Q_IbLb1EEEEDaS1M_S1N_EUlS1M_E_NS1_11comp_targetILNS1_3genE4ELNS1_11target_archE910ELNS1_3gpuE8ELNS1_3repE0EEENS1_30default_config_static_selectorELNS0_4arch9wavefront6targetE1EEEvSZ_.num_agpr, 0
	.set _ZN7rocprim17ROCPRIM_400000_NS6detail17trampoline_kernelINS0_13select_configILj256ELj13ELNS0_17block_load_methodE3ELS4_3ELS4_3ELNS0_20block_scan_algorithmE0ELj4294967295EEENS1_25partition_config_selectorILNS1_17partition_subalgoE4EjNS0_10empty_typeEbEEZZNS1_14partition_implILS8_4ELb0ES6_15HIP_vector_typeIjLj2EENS0_17counting_iteratorIjlEEPS9_SG_NS0_5tupleIJPjSI_NS0_16reverse_iteratorISI_EEEEENSH_IJSG_SG_SG_EEES9_SI_JZNS1_25segmented_radix_sort_implINS0_14default_configELb1EPKlPlSQ_SR_N2at6native12_GLOBAL__N_18offset_tEEE10hipError_tPvRmT1_PNSt15iterator_traitsISZ_E10value_typeET2_T3_PNS10_IS15_E10value_typeET4_jRbjT5_S1B_jjP12ihipStream_tbEUljE_ZNSN_ISO_Lb1ESQ_SR_SQ_SR_SV_EESW_SX_SY_SZ_S13_S14_S15_S18_S19_jS1A_jS1B_S1B_jjS1D_bEUljE0_EEESW_SX_SY_S15_S19_S1B_T6_T7_T9_mT8_S1D_bDpT10_ENKUlT_T0_E_clISt17integral_constantIbLb0EES1Q_IbLb1EEEEDaS1M_S1N_EUlS1M_E_NS1_11comp_targetILNS1_3genE4ELNS1_11target_archE910ELNS1_3gpuE8ELNS1_3repE0EEENS1_30default_config_static_selectorELNS0_4arch9wavefront6targetE1EEEvSZ_.numbered_sgpr, 0
	.set _ZN7rocprim17ROCPRIM_400000_NS6detail17trampoline_kernelINS0_13select_configILj256ELj13ELNS0_17block_load_methodE3ELS4_3ELS4_3ELNS0_20block_scan_algorithmE0ELj4294967295EEENS1_25partition_config_selectorILNS1_17partition_subalgoE4EjNS0_10empty_typeEbEEZZNS1_14partition_implILS8_4ELb0ES6_15HIP_vector_typeIjLj2EENS0_17counting_iteratorIjlEEPS9_SG_NS0_5tupleIJPjSI_NS0_16reverse_iteratorISI_EEEEENSH_IJSG_SG_SG_EEES9_SI_JZNS1_25segmented_radix_sort_implINS0_14default_configELb1EPKlPlSQ_SR_N2at6native12_GLOBAL__N_18offset_tEEE10hipError_tPvRmT1_PNSt15iterator_traitsISZ_E10value_typeET2_T3_PNS10_IS15_E10value_typeET4_jRbjT5_S1B_jjP12ihipStream_tbEUljE_ZNSN_ISO_Lb1ESQ_SR_SQ_SR_SV_EESW_SX_SY_SZ_S13_S14_S15_S18_S19_jS1A_jS1B_S1B_jjS1D_bEUljE0_EEESW_SX_SY_S15_S19_S1B_T6_T7_T9_mT8_S1D_bDpT10_ENKUlT_T0_E_clISt17integral_constantIbLb0EES1Q_IbLb1EEEEDaS1M_S1N_EUlS1M_E_NS1_11comp_targetILNS1_3genE4ELNS1_11target_archE910ELNS1_3gpuE8ELNS1_3repE0EEENS1_30default_config_static_selectorELNS0_4arch9wavefront6targetE1EEEvSZ_.num_named_barrier, 0
	.set _ZN7rocprim17ROCPRIM_400000_NS6detail17trampoline_kernelINS0_13select_configILj256ELj13ELNS0_17block_load_methodE3ELS4_3ELS4_3ELNS0_20block_scan_algorithmE0ELj4294967295EEENS1_25partition_config_selectorILNS1_17partition_subalgoE4EjNS0_10empty_typeEbEEZZNS1_14partition_implILS8_4ELb0ES6_15HIP_vector_typeIjLj2EENS0_17counting_iteratorIjlEEPS9_SG_NS0_5tupleIJPjSI_NS0_16reverse_iteratorISI_EEEEENSH_IJSG_SG_SG_EEES9_SI_JZNS1_25segmented_radix_sort_implINS0_14default_configELb1EPKlPlSQ_SR_N2at6native12_GLOBAL__N_18offset_tEEE10hipError_tPvRmT1_PNSt15iterator_traitsISZ_E10value_typeET2_T3_PNS10_IS15_E10value_typeET4_jRbjT5_S1B_jjP12ihipStream_tbEUljE_ZNSN_ISO_Lb1ESQ_SR_SQ_SR_SV_EESW_SX_SY_SZ_S13_S14_S15_S18_S19_jS1A_jS1B_S1B_jjS1D_bEUljE0_EEESW_SX_SY_S15_S19_S1B_T6_T7_T9_mT8_S1D_bDpT10_ENKUlT_T0_E_clISt17integral_constantIbLb0EES1Q_IbLb1EEEEDaS1M_S1N_EUlS1M_E_NS1_11comp_targetILNS1_3genE4ELNS1_11target_archE910ELNS1_3gpuE8ELNS1_3repE0EEENS1_30default_config_static_selectorELNS0_4arch9wavefront6targetE1EEEvSZ_.private_seg_size, 0
	.set _ZN7rocprim17ROCPRIM_400000_NS6detail17trampoline_kernelINS0_13select_configILj256ELj13ELNS0_17block_load_methodE3ELS4_3ELS4_3ELNS0_20block_scan_algorithmE0ELj4294967295EEENS1_25partition_config_selectorILNS1_17partition_subalgoE4EjNS0_10empty_typeEbEEZZNS1_14partition_implILS8_4ELb0ES6_15HIP_vector_typeIjLj2EENS0_17counting_iteratorIjlEEPS9_SG_NS0_5tupleIJPjSI_NS0_16reverse_iteratorISI_EEEEENSH_IJSG_SG_SG_EEES9_SI_JZNS1_25segmented_radix_sort_implINS0_14default_configELb1EPKlPlSQ_SR_N2at6native12_GLOBAL__N_18offset_tEEE10hipError_tPvRmT1_PNSt15iterator_traitsISZ_E10value_typeET2_T3_PNS10_IS15_E10value_typeET4_jRbjT5_S1B_jjP12ihipStream_tbEUljE_ZNSN_ISO_Lb1ESQ_SR_SQ_SR_SV_EESW_SX_SY_SZ_S13_S14_S15_S18_S19_jS1A_jS1B_S1B_jjS1D_bEUljE0_EEESW_SX_SY_S15_S19_S1B_T6_T7_T9_mT8_S1D_bDpT10_ENKUlT_T0_E_clISt17integral_constantIbLb0EES1Q_IbLb1EEEEDaS1M_S1N_EUlS1M_E_NS1_11comp_targetILNS1_3genE4ELNS1_11target_archE910ELNS1_3gpuE8ELNS1_3repE0EEENS1_30default_config_static_selectorELNS0_4arch9wavefront6targetE1EEEvSZ_.uses_vcc, 0
	.set _ZN7rocprim17ROCPRIM_400000_NS6detail17trampoline_kernelINS0_13select_configILj256ELj13ELNS0_17block_load_methodE3ELS4_3ELS4_3ELNS0_20block_scan_algorithmE0ELj4294967295EEENS1_25partition_config_selectorILNS1_17partition_subalgoE4EjNS0_10empty_typeEbEEZZNS1_14partition_implILS8_4ELb0ES6_15HIP_vector_typeIjLj2EENS0_17counting_iteratorIjlEEPS9_SG_NS0_5tupleIJPjSI_NS0_16reverse_iteratorISI_EEEEENSH_IJSG_SG_SG_EEES9_SI_JZNS1_25segmented_radix_sort_implINS0_14default_configELb1EPKlPlSQ_SR_N2at6native12_GLOBAL__N_18offset_tEEE10hipError_tPvRmT1_PNSt15iterator_traitsISZ_E10value_typeET2_T3_PNS10_IS15_E10value_typeET4_jRbjT5_S1B_jjP12ihipStream_tbEUljE_ZNSN_ISO_Lb1ESQ_SR_SQ_SR_SV_EESW_SX_SY_SZ_S13_S14_S15_S18_S19_jS1A_jS1B_S1B_jjS1D_bEUljE0_EEESW_SX_SY_S15_S19_S1B_T6_T7_T9_mT8_S1D_bDpT10_ENKUlT_T0_E_clISt17integral_constantIbLb0EES1Q_IbLb1EEEEDaS1M_S1N_EUlS1M_E_NS1_11comp_targetILNS1_3genE4ELNS1_11target_archE910ELNS1_3gpuE8ELNS1_3repE0EEENS1_30default_config_static_selectorELNS0_4arch9wavefront6targetE1EEEvSZ_.uses_flat_scratch, 0
	.set _ZN7rocprim17ROCPRIM_400000_NS6detail17trampoline_kernelINS0_13select_configILj256ELj13ELNS0_17block_load_methodE3ELS4_3ELS4_3ELNS0_20block_scan_algorithmE0ELj4294967295EEENS1_25partition_config_selectorILNS1_17partition_subalgoE4EjNS0_10empty_typeEbEEZZNS1_14partition_implILS8_4ELb0ES6_15HIP_vector_typeIjLj2EENS0_17counting_iteratorIjlEEPS9_SG_NS0_5tupleIJPjSI_NS0_16reverse_iteratorISI_EEEEENSH_IJSG_SG_SG_EEES9_SI_JZNS1_25segmented_radix_sort_implINS0_14default_configELb1EPKlPlSQ_SR_N2at6native12_GLOBAL__N_18offset_tEEE10hipError_tPvRmT1_PNSt15iterator_traitsISZ_E10value_typeET2_T3_PNS10_IS15_E10value_typeET4_jRbjT5_S1B_jjP12ihipStream_tbEUljE_ZNSN_ISO_Lb1ESQ_SR_SQ_SR_SV_EESW_SX_SY_SZ_S13_S14_S15_S18_S19_jS1A_jS1B_S1B_jjS1D_bEUljE0_EEESW_SX_SY_S15_S19_S1B_T6_T7_T9_mT8_S1D_bDpT10_ENKUlT_T0_E_clISt17integral_constantIbLb0EES1Q_IbLb1EEEEDaS1M_S1N_EUlS1M_E_NS1_11comp_targetILNS1_3genE4ELNS1_11target_archE910ELNS1_3gpuE8ELNS1_3repE0EEENS1_30default_config_static_selectorELNS0_4arch9wavefront6targetE1EEEvSZ_.has_dyn_sized_stack, 0
	.set _ZN7rocprim17ROCPRIM_400000_NS6detail17trampoline_kernelINS0_13select_configILj256ELj13ELNS0_17block_load_methodE3ELS4_3ELS4_3ELNS0_20block_scan_algorithmE0ELj4294967295EEENS1_25partition_config_selectorILNS1_17partition_subalgoE4EjNS0_10empty_typeEbEEZZNS1_14partition_implILS8_4ELb0ES6_15HIP_vector_typeIjLj2EENS0_17counting_iteratorIjlEEPS9_SG_NS0_5tupleIJPjSI_NS0_16reverse_iteratorISI_EEEEENSH_IJSG_SG_SG_EEES9_SI_JZNS1_25segmented_radix_sort_implINS0_14default_configELb1EPKlPlSQ_SR_N2at6native12_GLOBAL__N_18offset_tEEE10hipError_tPvRmT1_PNSt15iterator_traitsISZ_E10value_typeET2_T3_PNS10_IS15_E10value_typeET4_jRbjT5_S1B_jjP12ihipStream_tbEUljE_ZNSN_ISO_Lb1ESQ_SR_SQ_SR_SV_EESW_SX_SY_SZ_S13_S14_S15_S18_S19_jS1A_jS1B_S1B_jjS1D_bEUljE0_EEESW_SX_SY_S15_S19_S1B_T6_T7_T9_mT8_S1D_bDpT10_ENKUlT_T0_E_clISt17integral_constantIbLb0EES1Q_IbLb1EEEEDaS1M_S1N_EUlS1M_E_NS1_11comp_targetILNS1_3genE4ELNS1_11target_archE910ELNS1_3gpuE8ELNS1_3repE0EEENS1_30default_config_static_selectorELNS0_4arch9wavefront6targetE1EEEvSZ_.has_recursion, 0
	.set _ZN7rocprim17ROCPRIM_400000_NS6detail17trampoline_kernelINS0_13select_configILj256ELj13ELNS0_17block_load_methodE3ELS4_3ELS4_3ELNS0_20block_scan_algorithmE0ELj4294967295EEENS1_25partition_config_selectorILNS1_17partition_subalgoE4EjNS0_10empty_typeEbEEZZNS1_14partition_implILS8_4ELb0ES6_15HIP_vector_typeIjLj2EENS0_17counting_iteratorIjlEEPS9_SG_NS0_5tupleIJPjSI_NS0_16reverse_iteratorISI_EEEEENSH_IJSG_SG_SG_EEES9_SI_JZNS1_25segmented_radix_sort_implINS0_14default_configELb1EPKlPlSQ_SR_N2at6native12_GLOBAL__N_18offset_tEEE10hipError_tPvRmT1_PNSt15iterator_traitsISZ_E10value_typeET2_T3_PNS10_IS15_E10value_typeET4_jRbjT5_S1B_jjP12ihipStream_tbEUljE_ZNSN_ISO_Lb1ESQ_SR_SQ_SR_SV_EESW_SX_SY_SZ_S13_S14_S15_S18_S19_jS1A_jS1B_S1B_jjS1D_bEUljE0_EEESW_SX_SY_S15_S19_S1B_T6_T7_T9_mT8_S1D_bDpT10_ENKUlT_T0_E_clISt17integral_constantIbLb0EES1Q_IbLb1EEEEDaS1M_S1N_EUlS1M_E_NS1_11comp_targetILNS1_3genE4ELNS1_11target_archE910ELNS1_3gpuE8ELNS1_3repE0EEENS1_30default_config_static_selectorELNS0_4arch9wavefront6targetE1EEEvSZ_.has_indirect_call, 0
	.section	.AMDGPU.csdata,"",@progbits
; Kernel info:
; codeLenInByte = 0
; TotalNumSgprs: 4
; NumVgprs: 0
; ScratchSize: 0
; MemoryBound: 0
; FloatMode: 240
; IeeeMode: 1
; LDSByteSize: 0 bytes/workgroup (compile time only)
; SGPRBlocks: 0
; VGPRBlocks: 0
; NumSGPRsForWavesPerEU: 4
; NumVGPRsForWavesPerEU: 1
; Occupancy: 10
; WaveLimiterHint : 0
; COMPUTE_PGM_RSRC2:SCRATCH_EN: 0
; COMPUTE_PGM_RSRC2:USER_SGPR: 6
; COMPUTE_PGM_RSRC2:TRAP_HANDLER: 0
; COMPUTE_PGM_RSRC2:TGID_X_EN: 1
; COMPUTE_PGM_RSRC2:TGID_Y_EN: 0
; COMPUTE_PGM_RSRC2:TGID_Z_EN: 0
; COMPUTE_PGM_RSRC2:TIDIG_COMP_CNT: 0
	.section	.text._ZN7rocprim17ROCPRIM_400000_NS6detail17trampoline_kernelINS0_13select_configILj256ELj13ELNS0_17block_load_methodE3ELS4_3ELS4_3ELNS0_20block_scan_algorithmE0ELj4294967295EEENS1_25partition_config_selectorILNS1_17partition_subalgoE4EjNS0_10empty_typeEbEEZZNS1_14partition_implILS8_4ELb0ES6_15HIP_vector_typeIjLj2EENS0_17counting_iteratorIjlEEPS9_SG_NS0_5tupleIJPjSI_NS0_16reverse_iteratorISI_EEEEENSH_IJSG_SG_SG_EEES9_SI_JZNS1_25segmented_radix_sort_implINS0_14default_configELb1EPKlPlSQ_SR_N2at6native12_GLOBAL__N_18offset_tEEE10hipError_tPvRmT1_PNSt15iterator_traitsISZ_E10value_typeET2_T3_PNS10_IS15_E10value_typeET4_jRbjT5_S1B_jjP12ihipStream_tbEUljE_ZNSN_ISO_Lb1ESQ_SR_SQ_SR_SV_EESW_SX_SY_SZ_S13_S14_S15_S18_S19_jS1A_jS1B_S1B_jjS1D_bEUljE0_EEESW_SX_SY_S15_S19_S1B_T6_T7_T9_mT8_S1D_bDpT10_ENKUlT_T0_E_clISt17integral_constantIbLb0EES1Q_IbLb1EEEEDaS1M_S1N_EUlS1M_E_NS1_11comp_targetILNS1_3genE3ELNS1_11target_archE908ELNS1_3gpuE7ELNS1_3repE0EEENS1_30default_config_static_selectorELNS0_4arch9wavefront6targetE1EEEvSZ_,"axG",@progbits,_ZN7rocprim17ROCPRIM_400000_NS6detail17trampoline_kernelINS0_13select_configILj256ELj13ELNS0_17block_load_methodE3ELS4_3ELS4_3ELNS0_20block_scan_algorithmE0ELj4294967295EEENS1_25partition_config_selectorILNS1_17partition_subalgoE4EjNS0_10empty_typeEbEEZZNS1_14partition_implILS8_4ELb0ES6_15HIP_vector_typeIjLj2EENS0_17counting_iteratorIjlEEPS9_SG_NS0_5tupleIJPjSI_NS0_16reverse_iteratorISI_EEEEENSH_IJSG_SG_SG_EEES9_SI_JZNS1_25segmented_radix_sort_implINS0_14default_configELb1EPKlPlSQ_SR_N2at6native12_GLOBAL__N_18offset_tEEE10hipError_tPvRmT1_PNSt15iterator_traitsISZ_E10value_typeET2_T3_PNS10_IS15_E10value_typeET4_jRbjT5_S1B_jjP12ihipStream_tbEUljE_ZNSN_ISO_Lb1ESQ_SR_SQ_SR_SV_EESW_SX_SY_SZ_S13_S14_S15_S18_S19_jS1A_jS1B_S1B_jjS1D_bEUljE0_EEESW_SX_SY_S15_S19_S1B_T6_T7_T9_mT8_S1D_bDpT10_ENKUlT_T0_E_clISt17integral_constantIbLb0EES1Q_IbLb1EEEEDaS1M_S1N_EUlS1M_E_NS1_11comp_targetILNS1_3genE3ELNS1_11target_archE908ELNS1_3gpuE7ELNS1_3repE0EEENS1_30default_config_static_selectorELNS0_4arch9wavefront6targetE1EEEvSZ_,comdat
	.globl	_ZN7rocprim17ROCPRIM_400000_NS6detail17trampoline_kernelINS0_13select_configILj256ELj13ELNS0_17block_load_methodE3ELS4_3ELS4_3ELNS0_20block_scan_algorithmE0ELj4294967295EEENS1_25partition_config_selectorILNS1_17partition_subalgoE4EjNS0_10empty_typeEbEEZZNS1_14partition_implILS8_4ELb0ES6_15HIP_vector_typeIjLj2EENS0_17counting_iteratorIjlEEPS9_SG_NS0_5tupleIJPjSI_NS0_16reverse_iteratorISI_EEEEENSH_IJSG_SG_SG_EEES9_SI_JZNS1_25segmented_radix_sort_implINS0_14default_configELb1EPKlPlSQ_SR_N2at6native12_GLOBAL__N_18offset_tEEE10hipError_tPvRmT1_PNSt15iterator_traitsISZ_E10value_typeET2_T3_PNS10_IS15_E10value_typeET4_jRbjT5_S1B_jjP12ihipStream_tbEUljE_ZNSN_ISO_Lb1ESQ_SR_SQ_SR_SV_EESW_SX_SY_SZ_S13_S14_S15_S18_S19_jS1A_jS1B_S1B_jjS1D_bEUljE0_EEESW_SX_SY_S15_S19_S1B_T6_T7_T9_mT8_S1D_bDpT10_ENKUlT_T0_E_clISt17integral_constantIbLb0EES1Q_IbLb1EEEEDaS1M_S1N_EUlS1M_E_NS1_11comp_targetILNS1_3genE3ELNS1_11target_archE908ELNS1_3gpuE7ELNS1_3repE0EEENS1_30default_config_static_selectorELNS0_4arch9wavefront6targetE1EEEvSZ_ ; -- Begin function _ZN7rocprim17ROCPRIM_400000_NS6detail17trampoline_kernelINS0_13select_configILj256ELj13ELNS0_17block_load_methodE3ELS4_3ELS4_3ELNS0_20block_scan_algorithmE0ELj4294967295EEENS1_25partition_config_selectorILNS1_17partition_subalgoE4EjNS0_10empty_typeEbEEZZNS1_14partition_implILS8_4ELb0ES6_15HIP_vector_typeIjLj2EENS0_17counting_iteratorIjlEEPS9_SG_NS0_5tupleIJPjSI_NS0_16reverse_iteratorISI_EEEEENSH_IJSG_SG_SG_EEES9_SI_JZNS1_25segmented_radix_sort_implINS0_14default_configELb1EPKlPlSQ_SR_N2at6native12_GLOBAL__N_18offset_tEEE10hipError_tPvRmT1_PNSt15iterator_traitsISZ_E10value_typeET2_T3_PNS10_IS15_E10value_typeET4_jRbjT5_S1B_jjP12ihipStream_tbEUljE_ZNSN_ISO_Lb1ESQ_SR_SQ_SR_SV_EESW_SX_SY_SZ_S13_S14_S15_S18_S19_jS1A_jS1B_S1B_jjS1D_bEUljE0_EEESW_SX_SY_S15_S19_S1B_T6_T7_T9_mT8_S1D_bDpT10_ENKUlT_T0_E_clISt17integral_constantIbLb0EES1Q_IbLb1EEEEDaS1M_S1N_EUlS1M_E_NS1_11comp_targetILNS1_3genE3ELNS1_11target_archE908ELNS1_3gpuE7ELNS1_3repE0EEENS1_30default_config_static_selectorELNS0_4arch9wavefront6targetE1EEEvSZ_
	.p2align	8
	.type	_ZN7rocprim17ROCPRIM_400000_NS6detail17trampoline_kernelINS0_13select_configILj256ELj13ELNS0_17block_load_methodE3ELS4_3ELS4_3ELNS0_20block_scan_algorithmE0ELj4294967295EEENS1_25partition_config_selectorILNS1_17partition_subalgoE4EjNS0_10empty_typeEbEEZZNS1_14partition_implILS8_4ELb0ES6_15HIP_vector_typeIjLj2EENS0_17counting_iteratorIjlEEPS9_SG_NS0_5tupleIJPjSI_NS0_16reverse_iteratorISI_EEEEENSH_IJSG_SG_SG_EEES9_SI_JZNS1_25segmented_radix_sort_implINS0_14default_configELb1EPKlPlSQ_SR_N2at6native12_GLOBAL__N_18offset_tEEE10hipError_tPvRmT1_PNSt15iterator_traitsISZ_E10value_typeET2_T3_PNS10_IS15_E10value_typeET4_jRbjT5_S1B_jjP12ihipStream_tbEUljE_ZNSN_ISO_Lb1ESQ_SR_SQ_SR_SV_EESW_SX_SY_SZ_S13_S14_S15_S18_S19_jS1A_jS1B_S1B_jjS1D_bEUljE0_EEESW_SX_SY_S15_S19_S1B_T6_T7_T9_mT8_S1D_bDpT10_ENKUlT_T0_E_clISt17integral_constantIbLb0EES1Q_IbLb1EEEEDaS1M_S1N_EUlS1M_E_NS1_11comp_targetILNS1_3genE3ELNS1_11target_archE908ELNS1_3gpuE7ELNS1_3repE0EEENS1_30default_config_static_selectorELNS0_4arch9wavefront6targetE1EEEvSZ_,@function
_ZN7rocprim17ROCPRIM_400000_NS6detail17trampoline_kernelINS0_13select_configILj256ELj13ELNS0_17block_load_methodE3ELS4_3ELS4_3ELNS0_20block_scan_algorithmE0ELj4294967295EEENS1_25partition_config_selectorILNS1_17partition_subalgoE4EjNS0_10empty_typeEbEEZZNS1_14partition_implILS8_4ELb0ES6_15HIP_vector_typeIjLj2EENS0_17counting_iteratorIjlEEPS9_SG_NS0_5tupleIJPjSI_NS0_16reverse_iteratorISI_EEEEENSH_IJSG_SG_SG_EEES9_SI_JZNS1_25segmented_radix_sort_implINS0_14default_configELb1EPKlPlSQ_SR_N2at6native12_GLOBAL__N_18offset_tEEE10hipError_tPvRmT1_PNSt15iterator_traitsISZ_E10value_typeET2_T3_PNS10_IS15_E10value_typeET4_jRbjT5_S1B_jjP12ihipStream_tbEUljE_ZNSN_ISO_Lb1ESQ_SR_SQ_SR_SV_EESW_SX_SY_SZ_S13_S14_S15_S18_S19_jS1A_jS1B_S1B_jjS1D_bEUljE0_EEESW_SX_SY_S15_S19_S1B_T6_T7_T9_mT8_S1D_bDpT10_ENKUlT_T0_E_clISt17integral_constantIbLb0EES1Q_IbLb1EEEEDaS1M_S1N_EUlS1M_E_NS1_11comp_targetILNS1_3genE3ELNS1_11target_archE908ELNS1_3gpuE7ELNS1_3repE0EEENS1_30default_config_static_selectorELNS0_4arch9wavefront6targetE1EEEvSZ_: ; @_ZN7rocprim17ROCPRIM_400000_NS6detail17trampoline_kernelINS0_13select_configILj256ELj13ELNS0_17block_load_methodE3ELS4_3ELS4_3ELNS0_20block_scan_algorithmE0ELj4294967295EEENS1_25partition_config_selectorILNS1_17partition_subalgoE4EjNS0_10empty_typeEbEEZZNS1_14partition_implILS8_4ELb0ES6_15HIP_vector_typeIjLj2EENS0_17counting_iteratorIjlEEPS9_SG_NS0_5tupleIJPjSI_NS0_16reverse_iteratorISI_EEEEENSH_IJSG_SG_SG_EEES9_SI_JZNS1_25segmented_radix_sort_implINS0_14default_configELb1EPKlPlSQ_SR_N2at6native12_GLOBAL__N_18offset_tEEE10hipError_tPvRmT1_PNSt15iterator_traitsISZ_E10value_typeET2_T3_PNS10_IS15_E10value_typeET4_jRbjT5_S1B_jjP12ihipStream_tbEUljE_ZNSN_ISO_Lb1ESQ_SR_SQ_SR_SV_EESW_SX_SY_SZ_S13_S14_S15_S18_S19_jS1A_jS1B_S1B_jjS1D_bEUljE0_EEESW_SX_SY_S15_S19_S1B_T6_T7_T9_mT8_S1D_bDpT10_ENKUlT_T0_E_clISt17integral_constantIbLb0EES1Q_IbLb1EEEEDaS1M_S1N_EUlS1M_E_NS1_11comp_targetILNS1_3genE3ELNS1_11target_archE908ELNS1_3gpuE7ELNS1_3repE0EEENS1_30default_config_static_selectorELNS0_4arch9wavefront6targetE1EEEvSZ_
; %bb.0:
	.section	.rodata,"a",@progbits
	.p2align	6, 0x0
	.amdhsa_kernel _ZN7rocprim17ROCPRIM_400000_NS6detail17trampoline_kernelINS0_13select_configILj256ELj13ELNS0_17block_load_methodE3ELS4_3ELS4_3ELNS0_20block_scan_algorithmE0ELj4294967295EEENS1_25partition_config_selectorILNS1_17partition_subalgoE4EjNS0_10empty_typeEbEEZZNS1_14partition_implILS8_4ELb0ES6_15HIP_vector_typeIjLj2EENS0_17counting_iteratorIjlEEPS9_SG_NS0_5tupleIJPjSI_NS0_16reverse_iteratorISI_EEEEENSH_IJSG_SG_SG_EEES9_SI_JZNS1_25segmented_radix_sort_implINS0_14default_configELb1EPKlPlSQ_SR_N2at6native12_GLOBAL__N_18offset_tEEE10hipError_tPvRmT1_PNSt15iterator_traitsISZ_E10value_typeET2_T3_PNS10_IS15_E10value_typeET4_jRbjT5_S1B_jjP12ihipStream_tbEUljE_ZNSN_ISO_Lb1ESQ_SR_SQ_SR_SV_EESW_SX_SY_SZ_S13_S14_S15_S18_S19_jS1A_jS1B_S1B_jjS1D_bEUljE0_EEESW_SX_SY_S15_S19_S1B_T6_T7_T9_mT8_S1D_bDpT10_ENKUlT_T0_E_clISt17integral_constantIbLb0EES1Q_IbLb1EEEEDaS1M_S1N_EUlS1M_E_NS1_11comp_targetILNS1_3genE3ELNS1_11target_archE908ELNS1_3gpuE7ELNS1_3repE0EEENS1_30default_config_static_selectorELNS0_4arch9wavefront6targetE1EEEvSZ_
		.amdhsa_group_segment_fixed_size 0
		.amdhsa_private_segment_fixed_size 0
		.amdhsa_kernarg_size 184
		.amdhsa_user_sgpr_count 6
		.amdhsa_user_sgpr_private_segment_buffer 1
		.amdhsa_user_sgpr_dispatch_ptr 0
		.amdhsa_user_sgpr_queue_ptr 0
		.amdhsa_user_sgpr_kernarg_segment_ptr 1
		.amdhsa_user_sgpr_dispatch_id 0
		.amdhsa_user_sgpr_flat_scratch_init 0
		.amdhsa_user_sgpr_private_segment_size 0
		.amdhsa_uses_dynamic_stack 0
		.amdhsa_system_sgpr_private_segment_wavefront_offset 0
		.amdhsa_system_sgpr_workgroup_id_x 1
		.amdhsa_system_sgpr_workgroup_id_y 0
		.amdhsa_system_sgpr_workgroup_id_z 0
		.amdhsa_system_sgpr_workgroup_info 0
		.amdhsa_system_vgpr_workitem_id 0
		.amdhsa_next_free_vgpr 1
		.amdhsa_next_free_sgpr 0
		.amdhsa_reserve_vcc 0
		.amdhsa_reserve_flat_scratch 0
		.amdhsa_float_round_mode_32 0
		.amdhsa_float_round_mode_16_64 0
		.amdhsa_float_denorm_mode_32 3
		.amdhsa_float_denorm_mode_16_64 3
		.amdhsa_dx10_clamp 1
		.amdhsa_ieee_mode 1
		.amdhsa_fp16_overflow 0
		.amdhsa_exception_fp_ieee_invalid_op 0
		.amdhsa_exception_fp_denorm_src 0
		.amdhsa_exception_fp_ieee_div_zero 0
		.amdhsa_exception_fp_ieee_overflow 0
		.amdhsa_exception_fp_ieee_underflow 0
		.amdhsa_exception_fp_ieee_inexact 0
		.amdhsa_exception_int_div_zero 0
	.end_amdhsa_kernel
	.section	.text._ZN7rocprim17ROCPRIM_400000_NS6detail17trampoline_kernelINS0_13select_configILj256ELj13ELNS0_17block_load_methodE3ELS4_3ELS4_3ELNS0_20block_scan_algorithmE0ELj4294967295EEENS1_25partition_config_selectorILNS1_17partition_subalgoE4EjNS0_10empty_typeEbEEZZNS1_14partition_implILS8_4ELb0ES6_15HIP_vector_typeIjLj2EENS0_17counting_iteratorIjlEEPS9_SG_NS0_5tupleIJPjSI_NS0_16reverse_iteratorISI_EEEEENSH_IJSG_SG_SG_EEES9_SI_JZNS1_25segmented_radix_sort_implINS0_14default_configELb1EPKlPlSQ_SR_N2at6native12_GLOBAL__N_18offset_tEEE10hipError_tPvRmT1_PNSt15iterator_traitsISZ_E10value_typeET2_T3_PNS10_IS15_E10value_typeET4_jRbjT5_S1B_jjP12ihipStream_tbEUljE_ZNSN_ISO_Lb1ESQ_SR_SQ_SR_SV_EESW_SX_SY_SZ_S13_S14_S15_S18_S19_jS1A_jS1B_S1B_jjS1D_bEUljE0_EEESW_SX_SY_S15_S19_S1B_T6_T7_T9_mT8_S1D_bDpT10_ENKUlT_T0_E_clISt17integral_constantIbLb0EES1Q_IbLb1EEEEDaS1M_S1N_EUlS1M_E_NS1_11comp_targetILNS1_3genE3ELNS1_11target_archE908ELNS1_3gpuE7ELNS1_3repE0EEENS1_30default_config_static_selectorELNS0_4arch9wavefront6targetE1EEEvSZ_,"axG",@progbits,_ZN7rocprim17ROCPRIM_400000_NS6detail17trampoline_kernelINS0_13select_configILj256ELj13ELNS0_17block_load_methodE3ELS4_3ELS4_3ELNS0_20block_scan_algorithmE0ELj4294967295EEENS1_25partition_config_selectorILNS1_17partition_subalgoE4EjNS0_10empty_typeEbEEZZNS1_14partition_implILS8_4ELb0ES6_15HIP_vector_typeIjLj2EENS0_17counting_iteratorIjlEEPS9_SG_NS0_5tupleIJPjSI_NS0_16reverse_iteratorISI_EEEEENSH_IJSG_SG_SG_EEES9_SI_JZNS1_25segmented_radix_sort_implINS0_14default_configELb1EPKlPlSQ_SR_N2at6native12_GLOBAL__N_18offset_tEEE10hipError_tPvRmT1_PNSt15iterator_traitsISZ_E10value_typeET2_T3_PNS10_IS15_E10value_typeET4_jRbjT5_S1B_jjP12ihipStream_tbEUljE_ZNSN_ISO_Lb1ESQ_SR_SQ_SR_SV_EESW_SX_SY_SZ_S13_S14_S15_S18_S19_jS1A_jS1B_S1B_jjS1D_bEUljE0_EEESW_SX_SY_S15_S19_S1B_T6_T7_T9_mT8_S1D_bDpT10_ENKUlT_T0_E_clISt17integral_constantIbLb0EES1Q_IbLb1EEEEDaS1M_S1N_EUlS1M_E_NS1_11comp_targetILNS1_3genE3ELNS1_11target_archE908ELNS1_3gpuE7ELNS1_3repE0EEENS1_30default_config_static_selectorELNS0_4arch9wavefront6targetE1EEEvSZ_,comdat
.Lfunc_end667:
	.size	_ZN7rocprim17ROCPRIM_400000_NS6detail17trampoline_kernelINS0_13select_configILj256ELj13ELNS0_17block_load_methodE3ELS4_3ELS4_3ELNS0_20block_scan_algorithmE0ELj4294967295EEENS1_25partition_config_selectorILNS1_17partition_subalgoE4EjNS0_10empty_typeEbEEZZNS1_14partition_implILS8_4ELb0ES6_15HIP_vector_typeIjLj2EENS0_17counting_iteratorIjlEEPS9_SG_NS0_5tupleIJPjSI_NS0_16reverse_iteratorISI_EEEEENSH_IJSG_SG_SG_EEES9_SI_JZNS1_25segmented_radix_sort_implINS0_14default_configELb1EPKlPlSQ_SR_N2at6native12_GLOBAL__N_18offset_tEEE10hipError_tPvRmT1_PNSt15iterator_traitsISZ_E10value_typeET2_T3_PNS10_IS15_E10value_typeET4_jRbjT5_S1B_jjP12ihipStream_tbEUljE_ZNSN_ISO_Lb1ESQ_SR_SQ_SR_SV_EESW_SX_SY_SZ_S13_S14_S15_S18_S19_jS1A_jS1B_S1B_jjS1D_bEUljE0_EEESW_SX_SY_S15_S19_S1B_T6_T7_T9_mT8_S1D_bDpT10_ENKUlT_T0_E_clISt17integral_constantIbLb0EES1Q_IbLb1EEEEDaS1M_S1N_EUlS1M_E_NS1_11comp_targetILNS1_3genE3ELNS1_11target_archE908ELNS1_3gpuE7ELNS1_3repE0EEENS1_30default_config_static_selectorELNS0_4arch9wavefront6targetE1EEEvSZ_, .Lfunc_end667-_ZN7rocprim17ROCPRIM_400000_NS6detail17trampoline_kernelINS0_13select_configILj256ELj13ELNS0_17block_load_methodE3ELS4_3ELS4_3ELNS0_20block_scan_algorithmE0ELj4294967295EEENS1_25partition_config_selectorILNS1_17partition_subalgoE4EjNS0_10empty_typeEbEEZZNS1_14partition_implILS8_4ELb0ES6_15HIP_vector_typeIjLj2EENS0_17counting_iteratorIjlEEPS9_SG_NS0_5tupleIJPjSI_NS0_16reverse_iteratorISI_EEEEENSH_IJSG_SG_SG_EEES9_SI_JZNS1_25segmented_radix_sort_implINS0_14default_configELb1EPKlPlSQ_SR_N2at6native12_GLOBAL__N_18offset_tEEE10hipError_tPvRmT1_PNSt15iterator_traitsISZ_E10value_typeET2_T3_PNS10_IS15_E10value_typeET4_jRbjT5_S1B_jjP12ihipStream_tbEUljE_ZNSN_ISO_Lb1ESQ_SR_SQ_SR_SV_EESW_SX_SY_SZ_S13_S14_S15_S18_S19_jS1A_jS1B_S1B_jjS1D_bEUljE0_EEESW_SX_SY_S15_S19_S1B_T6_T7_T9_mT8_S1D_bDpT10_ENKUlT_T0_E_clISt17integral_constantIbLb0EES1Q_IbLb1EEEEDaS1M_S1N_EUlS1M_E_NS1_11comp_targetILNS1_3genE3ELNS1_11target_archE908ELNS1_3gpuE7ELNS1_3repE0EEENS1_30default_config_static_selectorELNS0_4arch9wavefront6targetE1EEEvSZ_
                                        ; -- End function
	.set _ZN7rocprim17ROCPRIM_400000_NS6detail17trampoline_kernelINS0_13select_configILj256ELj13ELNS0_17block_load_methodE3ELS4_3ELS4_3ELNS0_20block_scan_algorithmE0ELj4294967295EEENS1_25partition_config_selectorILNS1_17partition_subalgoE4EjNS0_10empty_typeEbEEZZNS1_14partition_implILS8_4ELb0ES6_15HIP_vector_typeIjLj2EENS0_17counting_iteratorIjlEEPS9_SG_NS0_5tupleIJPjSI_NS0_16reverse_iteratorISI_EEEEENSH_IJSG_SG_SG_EEES9_SI_JZNS1_25segmented_radix_sort_implINS0_14default_configELb1EPKlPlSQ_SR_N2at6native12_GLOBAL__N_18offset_tEEE10hipError_tPvRmT1_PNSt15iterator_traitsISZ_E10value_typeET2_T3_PNS10_IS15_E10value_typeET4_jRbjT5_S1B_jjP12ihipStream_tbEUljE_ZNSN_ISO_Lb1ESQ_SR_SQ_SR_SV_EESW_SX_SY_SZ_S13_S14_S15_S18_S19_jS1A_jS1B_S1B_jjS1D_bEUljE0_EEESW_SX_SY_S15_S19_S1B_T6_T7_T9_mT8_S1D_bDpT10_ENKUlT_T0_E_clISt17integral_constantIbLb0EES1Q_IbLb1EEEEDaS1M_S1N_EUlS1M_E_NS1_11comp_targetILNS1_3genE3ELNS1_11target_archE908ELNS1_3gpuE7ELNS1_3repE0EEENS1_30default_config_static_selectorELNS0_4arch9wavefront6targetE1EEEvSZ_.num_vgpr, 0
	.set _ZN7rocprim17ROCPRIM_400000_NS6detail17trampoline_kernelINS0_13select_configILj256ELj13ELNS0_17block_load_methodE3ELS4_3ELS4_3ELNS0_20block_scan_algorithmE0ELj4294967295EEENS1_25partition_config_selectorILNS1_17partition_subalgoE4EjNS0_10empty_typeEbEEZZNS1_14partition_implILS8_4ELb0ES6_15HIP_vector_typeIjLj2EENS0_17counting_iteratorIjlEEPS9_SG_NS0_5tupleIJPjSI_NS0_16reverse_iteratorISI_EEEEENSH_IJSG_SG_SG_EEES9_SI_JZNS1_25segmented_radix_sort_implINS0_14default_configELb1EPKlPlSQ_SR_N2at6native12_GLOBAL__N_18offset_tEEE10hipError_tPvRmT1_PNSt15iterator_traitsISZ_E10value_typeET2_T3_PNS10_IS15_E10value_typeET4_jRbjT5_S1B_jjP12ihipStream_tbEUljE_ZNSN_ISO_Lb1ESQ_SR_SQ_SR_SV_EESW_SX_SY_SZ_S13_S14_S15_S18_S19_jS1A_jS1B_S1B_jjS1D_bEUljE0_EEESW_SX_SY_S15_S19_S1B_T6_T7_T9_mT8_S1D_bDpT10_ENKUlT_T0_E_clISt17integral_constantIbLb0EES1Q_IbLb1EEEEDaS1M_S1N_EUlS1M_E_NS1_11comp_targetILNS1_3genE3ELNS1_11target_archE908ELNS1_3gpuE7ELNS1_3repE0EEENS1_30default_config_static_selectorELNS0_4arch9wavefront6targetE1EEEvSZ_.num_agpr, 0
	.set _ZN7rocprim17ROCPRIM_400000_NS6detail17trampoline_kernelINS0_13select_configILj256ELj13ELNS0_17block_load_methodE3ELS4_3ELS4_3ELNS0_20block_scan_algorithmE0ELj4294967295EEENS1_25partition_config_selectorILNS1_17partition_subalgoE4EjNS0_10empty_typeEbEEZZNS1_14partition_implILS8_4ELb0ES6_15HIP_vector_typeIjLj2EENS0_17counting_iteratorIjlEEPS9_SG_NS0_5tupleIJPjSI_NS0_16reverse_iteratorISI_EEEEENSH_IJSG_SG_SG_EEES9_SI_JZNS1_25segmented_radix_sort_implINS0_14default_configELb1EPKlPlSQ_SR_N2at6native12_GLOBAL__N_18offset_tEEE10hipError_tPvRmT1_PNSt15iterator_traitsISZ_E10value_typeET2_T3_PNS10_IS15_E10value_typeET4_jRbjT5_S1B_jjP12ihipStream_tbEUljE_ZNSN_ISO_Lb1ESQ_SR_SQ_SR_SV_EESW_SX_SY_SZ_S13_S14_S15_S18_S19_jS1A_jS1B_S1B_jjS1D_bEUljE0_EEESW_SX_SY_S15_S19_S1B_T6_T7_T9_mT8_S1D_bDpT10_ENKUlT_T0_E_clISt17integral_constantIbLb0EES1Q_IbLb1EEEEDaS1M_S1N_EUlS1M_E_NS1_11comp_targetILNS1_3genE3ELNS1_11target_archE908ELNS1_3gpuE7ELNS1_3repE0EEENS1_30default_config_static_selectorELNS0_4arch9wavefront6targetE1EEEvSZ_.numbered_sgpr, 0
	.set _ZN7rocprim17ROCPRIM_400000_NS6detail17trampoline_kernelINS0_13select_configILj256ELj13ELNS0_17block_load_methodE3ELS4_3ELS4_3ELNS0_20block_scan_algorithmE0ELj4294967295EEENS1_25partition_config_selectorILNS1_17partition_subalgoE4EjNS0_10empty_typeEbEEZZNS1_14partition_implILS8_4ELb0ES6_15HIP_vector_typeIjLj2EENS0_17counting_iteratorIjlEEPS9_SG_NS0_5tupleIJPjSI_NS0_16reverse_iteratorISI_EEEEENSH_IJSG_SG_SG_EEES9_SI_JZNS1_25segmented_radix_sort_implINS0_14default_configELb1EPKlPlSQ_SR_N2at6native12_GLOBAL__N_18offset_tEEE10hipError_tPvRmT1_PNSt15iterator_traitsISZ_E10value_typeET2_T3_PNS10_IS15_E10value_typeET4_jRbjT5_S1B_jjP12ihipStream_tbEUljE_ZNSN_ISO_Lb1ESQ_SR_SQ_SR_SV_EESW_SX_SY_SZ_S13_S14_S15_S18_S19_jS1A_jS1B_S1B_jjS1D_bEUljE0_EEESW_SX_SY_S15_S19_S1B_T6_T7_T9_mT8_S1D_bDpT10_ENKUlT_T0_E_clISt17integral_constantIbLb0EES1Q_IbLb1EEEEDaS1M_S1N_EUlS1M_E_NS1_11comp_targetILNS1_3genE3ELNS1_11target_archE908ELNS1_3gpuE7ELNS1_3repE0EEENS1_30default_config_static_selectorELNS0_4arch9wavefront6targetE1EEEvSZ_.num_named_barrier, 0
	.set _ZN7rocprim17ROCPRIM_400000_NS6detail17trampoline_kernelINS0_13select_configILj256ELj13ELNS0_17block_load_methodE3ELS4_3ELS4_3ELNS0_20block_scan_algorithmE0ELj4294967295EEENS1_25partition_config_selectorILNS1_17partition_subalgoE4EjNS0_10empty_typeEbEEZZNS1_14partition_implILS8_4ELb0ES6_15HIP_vector_typeIjLj2EENS0_17counting_iteratorIjlEEPS9_SG_NS0_5tupleIJPjSI_NS0_16reverse_iteratorISI_EEEEENSH_IJSG_SG_SG_EEES9_SI_JZNS1_25segmented_radix_sort_implINS0_14default_configELb1EPKlPlSQ_SR_N2at6native12_GLOBAL__N_18offset_tEEE10hipError_tPvRmT1_PNSt15iterator_traitsISZ_E10value_typeET2_T3_PNS10_IS15_E10value_typeET4_jRbjT5_S1B_jjP12ihipStream_tbEUljE_ZNSN_ISO_Lb1ESQ_SR_SQ_SR_SV_EESW_SX_SY_SZ_S13_S14_S15_S18_S19_jS1A_jS1B_S1B_jjS1D_bEUljE0_EEESW_SX_SY_S15_S19_S1B_T6_T7_T9_mT8_S1D_bDpT10_ENKUlT_T0_E_clISt17integral_constantIbLb0EES1Q_IbLb1EEEEDaS1M_S1N_EUlS1M_E_NS1_11comp_targetILNS1_3genE3ELNS1_11target_archE908ELNS1_3gpuE7ELNS1_3repE0EEENS1_30default_config_static_selectorELNS0_4arch9wavefront6targetE1EEEvSZ_.private_seg_size, 0
	.set _ZN7rocprim17ROCPRIM_400000_NS6detail17trampoline_kernelINS0_13select_configILj256ELj13ELNS0_17block_load_methodE3ELS4_3ELS4_3ELNS0_20block_scan_algorithmE0ELj4294967295EEENS1_25partition_config_selectorILNS1_17partition_subalgoE4EjNS0_10empty_typeEbEEZZNS1_14partition_implILS8_4ELb0ES6_15HIP_vector_typeIjLj2EENS0_17counting_iteratorIjlEEPS9_SG_NS0_5tupleIJPjSI_NS0_16reverse_iteratorISI_EEEEENSH_IJSG_SG_SG_EEES9_SI_JZNS1_25segmented_radix_sort_implINS0_14default_configELb1EPKlPlSQ_SR_N2at6native12_GLOBAL__N_18offset_tEEE10hipError_tPvRmT1_PNSt15iterator_traitsISZ_E10value_typeET2_T3_PNS10_IS15_E10value_typeET4_jRbjT5_S1B_jjP12ihipStream_tbEUljE_ZNSN_ISO_Lb1ESQ_SR_SQ_SR_SV_EESW_SX_SY_SZ_S13_S14_S15_S18_S19_jS1A_jS1B_S1B_jjS1D_bEUljE0_EEESW_SX_SY_S15_S19_S1B_T6_T7_T9_mT8_S1D_bDpT10_ENKUlT_T0_E_clISt17integral_constantIbLb0EES1Q_IbLb1EEEEDaS1M_S1N_EUlS1M_E_NS1_11comp_targetILNS1_3genE3ELNS1_11target_archE908ELNS1_3gpuE7ELNS1_3repE0EEENS1_30default_config_static_selectorELNS0_4arch9wavefront6targetE1EEEvSZ_.uses_vcc, 0
	.set _ZN7rocprim17ROCPRIM_400000_NS6detail17trampoline_kernelINS0_13select_configILj256ELj13ELNS0_17block_load_methodE3ELS4_3ELS4_3ELNS0_20block_scan_algorithmE0ELj4294967295EEENS1_25partition_config_selectorILNS1_17partition_subalgoE4EjNS0_10empty_typeEbEEZZNS1_14partition_implILS8_4ELb0ES6_15HIP_vector_typeIjLj2EENS0_17counting_iteratorIjlEEPS9_SG_NS0_5tupleIJPjSI_NS0_16reverse_iteratorISI_EEEEENSH_IJSG_SG_SG_EEES9_SI_JZNS1_25segmented_radix_sort_implINS0_14default_configELb1EPKlPlSQ_SR_N2at6native12_GLOBAL__N_18offset_tEEE10hipError_tPvRmT1_PNSt15iterator_traitsISZ_E10value_typeET2_T3_PNS10_IS15_E10value_typeET4_jRbjT5_S1B_jjP12ihipStream_tbEUljE_ZNSN_ISO_Lb1ESQ_SR_SQ_SR_SV_EESW_SX_SY_SZ_S13_S14_S15_S18_S19_jS1A_jS1B_S1B_jjS1D_bEUljE0_EEESW_SX_SY_S15_S19_S1B_T6_T7_T9_mT8_S1D_bDpT10_ENKUlT_T0_E_clISt17integral_constantIbLb0EES1Q_IbLb1EEEEDaS1M_S1N_EUlS1M_E_NS1_11comp_targetILNS1_3genE3ELNS1_11target_archE908ELNS1_3gpuE7ELNS1_3repE0EEENS1_30default_config_static_selectorELNS0_4arch9wavefront6targetE1EEEvSZ_.uses_flat_scratch, 0
	.set _ZN7rocprim17ROCPRIM_400000_NS6detail17trampoline_kernelINS0_13select_configILj256ELj13ELNS0_17block_load_methodE3ELS4_3ELS4_3ELNS0_20block_scan_algorithmE0ELj4294967295EEENS1_25partition_config_selectorILNS1_17partition_subalgoE4EjNS0_10empty_typeEbEEZZNS1_14partition_implILS8_4ELb0ES6_15HIP_vector_typeIjLj2EENS0_17counting_iteratorIjlEEPS9_SG_NS0_5tupleIJPjSI_NS0_16reverse_iteratorISI_EEEEENSH_IJSG_SG_SG_EEES9_SI_JZNS1_25segmented_radix_sort_implINS0_14default_configELb1EPKlPlSQ_SR_N2at6native12_GLOBAL__N_18offset_tEEE10hipError_tPvRmT1_PNSt15iterator_traitsISZ_E10value_typeET2_T3_PNS10_IS15_E10value_typeET4_jRbjT5_S1B_jjP12ihipStream_tbEUljE_ZNSN_ISO_Lb1ESQ_SR_SQ_SR_SV_EESW_SX_SY_SZ_S13_S14_S15_S18_S19_jS1A_jS1B_S1B_jjS1D_bEUljE0_EEESW_SX_SY_S15_S19_S1B_T6_T7_T9_mT8_S1D_bDpT10_ENKUlT_T0_E_clISt17integral_constantIbLb0EES1Q_IbLb1EEEEDaS1M_S1N_EUlS1M_E_NS1_11comp_targetILNS1_3genE3ELNS1_11target_archE908ELNS1_3gpuE7ELNS1_3repE0EEENS1_30default_config_static_selectorELNS0_4arch9wavefront6targetE1EEEvSZ_.has_dyn_sized_stack, 0
	.set _ZN7rocprim17ROCPRIM_400000_NS6detail17trampoline_kernelINS0_13select_configILj256ELj13ELNS0_17block_load_methodE3ELS4_3ELS4_3ELNS0_20block_scan_algorithmE0ELj4294967295EEENS1_25partition_config_selectorILNS1_17partition_subalgoE4EjNS0_10empty_typeEbEEZZNS1_14partition_implILS8_4ELb0ES6_15HIP_vector_typeIjLj2EENS0_17counting_iteratorIjlEEPS9_SG_NS0_5tupleIJPjSI_NS0_16reverse_iteratorISI_EEEEENSH_IJSG_SG_SG_EEES9_SI_JZNS1_25segmented_radix_sort_implINS0_14default_configELb1EPKlPlSQ_SR_N2at6native12_GLOBAL__N_18offset_tEEE10hipError_tPvRmT1_PNSt15iterator_traitsISZ_E10value_typeET2_T3_PNS10_IS15_E10value_typeET4_jRbjT5_S1B_jjP12ihipStream_tbEUljE_ZNSN_ISO_Lb1ESQ_SR_SQ_SR_SV_EESW_SX_SY_SZ_S13_S14_S15_S18_S19_jS1A_jS1B_S1B_jjS1D_bEUljE0_EEESW_SX_SY_S15_S19_S1B_T6_T7_T9_mT8_S1D_bDpT10_ENKUlT_T0_E_clISt17integral_constantIbLb0EES1Q_IbLb1EEEEDaS1M_S1N_EUlS1M_E_NS1_11comp_targetILNS1_3genE3ELNS1_11target_archE908ELNS1_3gpuE7ELNS1_3repE0EEENS1_30default_config_static_selectorELNS0_4arch9wavefront6targetE1EEEvSZ_.has_recursion, 0
	.set _ZN7rocprim17ROCPRIM_400000_NS6detail17trampoline_kernelINS0_13select_configILj256ELj13ELNS0_17block_load_methodE3ELS4_3ELS4_3ELNS0_20block_scan_algorithmE0ELj4294967295EEENS1_25partition_config_selectorILNS1_17partition_subalgoE4EjNS0_10empty_typeEbEEZZNS1_14partition_implILS8_4ELb0ES6_15HIP_vector_typeIjLj2EENS0_17counting_iteratorIjlEEPS9_SG_NS0_5tupleIJPjSI_NS0_16reverse_iteratorISI_EEEEENSH_IJSG_SG_SG_EEES9_SI_JZNS1_25segmented_radix_sort_implINS0_14default_configELb1EPKlPlSQ_SR_N2at6native12_GLOBAL__N_18offset_tEEE10hipError_tPvRmT1_PNSt15iterator_traitsISZ_E10value_typeET2_T3_PNS10_IS15_E10value_typeET4_jRbjT5_S1B_jjP12ihipStream_tbEUljE_ZNSN_ISO_Lb1ESQ_SR_SQ_SR_SV_EESW_SX_SY_SZ_S13_S14_S15_S18_S19_jS1A_jS1B_S1B_jjS1D_bEUljE0_EEESW_SX_SY_S15_S19_S1B_T6_T7_T9_mT8_S1D_bDpT10_ENKUlT_T0_E_clISt17integral_constantIbLb0EES1Q_IbLb1EEEEDaS1M_S1N_EUlS1M_E_NS1_11comp_targetILNS1_3genE3ELNS1_11target_archE908ELNS1_3gpuE7ELNS1_3repE0EEENS1_30default_config_static_selectorELNS0_4arch9wavefront6targetE1EEEvSZ_.has_indirect_call, 0
	.section	.AMDGPU.csdata,"",@progbits
; Kernel info:
; codeLenInByte = 0
; TotalNumSgprs: 4
; NumVgprs: 0
; ScratchSize: 0
; MemoryBound: 0
; FloatMode: 240
; IeeeMode: 1
; LDSByteSize: 0 bytes/workgroup (compile time only)
; SGPRBlocks: 0
; VGPRBlocks: 0
; NumSGPRsForWavesPerEU: 4
; NumVGPRsForWavesPerEU: 1
; Occupancy: 10
; WaveLimiterHint : 0
; COMPUTE_PGM_RSRC2:SCRATCH_EN: 0
; COMPUTE_PGM_RSRC2:USER_SGPR: 6
; COMPUTE_PGM_RSRC2:TRAP_HANDLER: 0
; COMPUTE_PGM_RSRC2:TGID_X_EN: 1
; COMPUTE_PGM_RSRC2:TGID_Y_EN: 0
; COMPUTE_PGM_RSRC2:TGID_Z_EN: 0
; COMPUTE_PGM_RSRC2:TIDIG_COMP_CNT: 0
	.section	.text._ZN7rocprim17ROCPRIM_400000_NS6detail17trampoline_kernelINS0_13select_configILj256ELj13ELNS0_17block_load_methodE3ELS4_3ELS4_3ELNS0_20block_scan_algorithmE0ELj4294967295EEENS1_25partition_config_selectorILNS1_17partition_subalgoE4EjNS0_10empty_typeEbEEZZNS1_14partition_implILS8_4ELb0ES6_15HIP_vector_typeIjLj2EENS0_17counting_iteratorIjlEEPS9_SG_NS0_5tupleIJPjSI_NS0_16reverse_iteratorISI_EEEEENSH_IJSG_SG_SG_EEES9_SI_JZNS1_25segmented_radix_sort_implINS0_14default_configELb1EPKlPlSQ_SR_N2at6native12_GLOBAL__N_18offset_tEEE10hipError_tPvRmT1_PNSt15iterator_traitsISZ_E10value_typeET2_T3_PNS10_IS15_E10value_typeET4_jRbjT5_S1B_jjP12ihipStream_tbEUljE_ZNSN_ISO_Lb1ESQ_SR_SQ_SR_SV_EESW_SX_SY_SZ_S13_S14_S15_S18_S19_jS1A_jS1B_S1B_jjS1D_bEUljE0_EEESW_SX_SY_S15_S19_S1B_T6_T7_T9_mT8_S1D_bDpT10_ENKUlT_T0_E_clISt17integral_constantIbLb0EES1Q_IbLb1EEEEDaS1M_S1N_EUlS1M_E_NS1_11comp_targetILNS1_3genE2ELNS1_11target_archE906ELNS1_3gpuE6ELNS1_3repE0EEENS1_30default_config_static_selectorELNS0_4arch9wavefront6targetE1EEEvSZ_,"axG",@progbits,_ZN7rocprim17ROCPRIM_400000_NS6detail17trampoline_kernelINS0_13select_configILj256ELj13ELNS0_17block_load_methodE3ELS4_3ELS4_3ELNS0_20block_scan_algorithmE0ELj4294967295EEENS1_25partition_config_selectorILNS1_17partition_subalgoE4EjNS0_10empty_typeEbEEZZNS1_14partition_implILS8_4ELb0ES6_15HIP_vector_typeIjLj2EENS0_17counting_iteratorIjlEEPS9_SG_NS0_5tupleIJPjSI_NS0_16reverse_iteratorISI_EEEEENSH_IJSG_SG_SG_EEES9_SI_JZNS1_25segmented_radix_sort_implINS0_14default_configELb1EPKlPlSQ_SR_N2at6native12_GLOBAL__N_18offset_tEEE10hipError_tPvRmT1_PNSt15iterator_traitsISZ_E10value_typeET2_T3_PNS10_IS15_E10value_typeET4_jRbjT5_S1B_jjP12ihipStream_tbEUljE_ZNSN_ISO_Lb1ESQ_SR_SQ_SR_SV_EESW_SX_SY_SZ_S13_S14_S15_S18_S19_jS1A_jS1B_S1B_jjS1D_bEUljE0_EEESW_SX_SY_S15_S19_S1B_T6_T7_T9_mT8_S1D_bDpT10_ENKUlT_T0_E_clISt17integral_constantIbLb0EES1Q_IbLb1EEEEDaS1M_S1N_EUlS1M_E_NS1_11comp_targetILNS1_3genE2ELNS1_11target_archE906ELNS1_3gpuE6ELNS1_3repE0EEENS1_30default_config_static_selectorELNS0_4arch9wavefront6targetE1EEEvSZ_,comdat
	.globl	_ZN7rocprim17ROCPRIM_400000_NS6detail17trampoline_kernelINS0_13select_configILj256ELj13ELNS0_17block_load_methodE3ELS4_3ELS4_3ELNS0_20block_scan_algorithmE0ELj4294967295EEENS1_25partition_config_selectorILNS1_17partition_subalgoE4EjNS0_10empty_typeEbEEZZNS1_14partition_implILS8_4ELb0ES6_15HIP_vector_typeIjLj2EENS0_17counting_iteratorIjlEEPS9_SG_NS0_5tupleIJPjSI_NS0_16reverse_iteratorISI_EEEEENSH_IJSG_SG_SG_EEES9_SI_JZNS1_25segmented_radix_sort_implINS0_14default_configELb1EPKlPlSQ_SR_N2at6native12_GLOBAL__N_18offset_tEEE10hipError_tPvRmT1_PNSt15iterator_traitsISZ_E10value_typeET2_T3_PNS10_IS15_E10value_typeET4_jRbjT5_S1B_jjP12ihipStream_tbEUljE_ZNSN_ISO_Lb1ESQ_SR_SQ_SR_SV_EESW_SX_SY_SZ_S13_S14_S15_S18_S19_jS1A_jS1B_S1B_jjS1D_bEUljE0_EEESW_SX_SY_S15_S19_S1B_T6_T7_T9_mT8_S1D_bDpT10_ENKUlT_T0_E_clISt17integral_constantIbLb0EES1Q_IbLb1EEEEDaS1M_S1N_EUlS1M_E_NS1_11comp_targetILNS1_3genE2ELNS1_11target_archE906ELNS1_3gpuE6ELNS1_3repE0EEENS1_30default_config_static_selectorELNS0_4arch9wavefront6targetE1EEEvSZ_ ; -- Begin function _ZN7rocprim17ROCPRIM_400000_NS6detail17trampoline_kernelINS0_13select_configILj256ELj13ELNS0_17block_load_methodE3ELS4_3ELS4_3ELNS0_20block_scan_algorithmE0ELj4294967295EEENS1_25partition_config_selectorILNS1_17partition_subalgoE4EjNS0_10empty_typeEbEEZZNS1_14partition_implILS8_4ELb0ES6_15HIP_vector_typeIjLj2EENS0_17counting_iteratorIjlEEPS9_SG_NS0_5tupleIJPjSI_NS0_16reverse_iteratorISI_EEEEENSH_IJSG_SG_SG_EEES9_SI_JZNS1_25segmented_radix_sort_implINS0_14default_configELb1EPKlPlSQ_SR_N2at6native12_GLOBAL__N_18offset_tEEE10hipError_tPvRmT1_PNSt15iterator_traitsISZ_E10value_typeET2_T3_PNS10_IS15_E10value_typeET4_jRbjT5_S1B_jjP12ihipStream_tbEUljE_ZNSN_ISO_Lb1ESQ_SR_SQ_SR_SV_EESW_SX_SY_SZ_S13_S14_S15_S18_S19_jS1A_jS1B_S1B_jjS1D_bEUljE0_EEESW_SX_SY_S15_S19_S1B_T6_T7_T9_mT8_S1D_bDpT10_ENKUlT_T0_E_clISt17integral_constantIbLb0EES1Q_IbLb1EEEEDaS1M_S1N_EUlS1M_E_NS1_11comp_targetILNS1_3genE2ELNS1_11target_archE906ELNS1_3gpuE6ELNS1_3repE0EEENS1_30default_config_static_selectorELNS0_4arch9wavefront6targetE1EEEvSZ_
	.p2align	8
	.type	_ZN7rocprim17ROCPRIM_400000_NS6detail17trampoline_kernelINS0_13select_configILj256ELj13ELNS0_17block_load_methodE3ELS4_3ELS4_3ELNS0_20block_scan_algorithmE0ELj4294967295EEENS1_25partition_config_selectorILNS1_17partition_subalgoE4EjNS0_10empty_typeEbEEZZNS1_14partition_implILS8_4ELb0ES6_15HIP_vector_typeIjLj2EENS0_17counting_iteratorIjlEEPS9_SG_NS0_5tupleIJPjSI_NS0_16reverse_iteratorISI_EEEEENSH_IJSG_SG_SG_EEES9_SI_JZNS1_25segmented_radix_sort_implINS0_14default_configELb1EPKlPlSQ_SR_N2at6native12_GLOBAL__N_18offset_tEEE10hipError_tPvRmT1_PNSt15iterator_traitsISZ_E10value_typeET2_T3_PNS10_IS15_E10value_typeET4_jRbjT5_S1B_jjP12ihipStream_tbEUljE_ZNSN_ISO_Lb1ESQ_SR_SQ_SR_SV_EESW_SX_SY_SZ_S13_S14_S15_S18_S19_jS1A_jS1B_S1B_jjS1D_bEUljE0_EEESW_SX_SY_S15_S19_S1B_T6_T7_T9_mT8_S1D_bDpT10_ENKUlT_T0_E_clISt17integral_constantIbLb0EES1Q_IbLb1EEEEDaS1M_S1N_EUlS1M_E_NS1_11comp_targetILNS1_3genE2ELNS1_11target_archE906ELNS1_3gpuE6ELNS1_3repE0EEENS1_30default_config_static_selectorELNS0_4arch9wavefront6targetE1EEEvSZ_,@function
_ZN7rocprim17ROCPRIM_400000_NS6detail17trampoline_kernelINS0_13select_configILj256ELj13ELNS0_17block_load_methodE3ELS4_3ELS4_3ELNS0_20block_scan_algorithmE0ELj4294967295EEENS1_25partition_config_selectorILNS1_17partition_subalgoE4EjNS0_10empty_typeEbEEZZNS1_14partition_implILS8_4ELb0ES6_15HIP_vector_typeIjLj2EENS0_17counting_iteratorIjlEEPS9_SG_NS0_5tupleIJPjSI_NS0_16reverse_iteratorISI_EEEEENSH_IJSG_SG_SG_EEES9_SI_JZNS1_25segmented_radix_sort_implINS0_14default_configELb1EPKlPlSQ_SR_N2at6native12_GLOBAL__N_18offset_tEEE10hipError_tPvRmT1_PNSt15iterator_traitsISZ_E10value_typeET2_T3_PNS10_IS15_E10value_typeET4_jRbjT5_S1B_jjP12ihipStream_tbEUljE_ZNSN_ISO_Lb1ESQ_SR_SQ_SR_SV_EESW_SX_SY_SZ_S13_S14_S15_S18_S19_jS1A_jS1B_S1B_jjS1D_bEUljE0_EEESW_SX_SY_S15_S19_S1B_T6_T7_T9_mT8_S1D_bDpT10_ENKUlT_T0_E_clISt17integral_constantIbLb0EES1Q_IbLb1EEEEDaS1M_S1N_EUlS1M_E_NS1_11comp_targetILNS1_3genE2ELNS1_11target_archE906ELNS1_3gpuE6ELNS1_3repE0EEENS1_30default_config_static_selectorELNS0_4arch9wavefront6targetE1EEEvSZ_: ; @_ZN7rocprim17ROCPRIM_400000_NS6detail17trampoline_kernelINS0_13select_configILj256ELj13ELNS0_17block_load_methodE3ELS4_3ELS4_3ELNS0_20block_scan_algorithmE0ELj4294967295EEENS1_25partition_config_selectorILNS1_17partition_subalgoE4EjNS0_10empty_typeEbEEZZNS1_14partition_implILS8_4ELb0ES6_15HIP_vector_typeIjLj2EENS0_17counting_iteratorIjlEEPS9_SG_NS0_5tupleIJPjSI_NS0_16reverse_iteratorISI_EEEEENSH_IJSG_SG_SG_EEES9_SI_JZNS1_25segmented_radix_sort_implINS0_14default_configELb1EPKlPlSQ_SR_N2at6native12_GLOBAL__N_18offset_tEEE10hipError_tPvRmT1_PNSt15iterator_traitsISZ_E10value_typeET2_T3_PNS10_IS15_E10value_typeET4_jRbjT5_S1B_jjP12ihipStream_tbEUljE_ZNSN_ISO_Lb1ESQ_SR_SQ_SR_SV_EESW_SX_SY_SZ_S13_S14_S15_S18_S19_jS1A_jS1B_S1B_jjS1D_bEUljE0_EEESW_SX_SY_S15_S19_S1B_T6_T7_T9_mT8_S1D_bDpT10_ENKUlT_T0_E_clISt17integral_constantIbLb0EES1Q_IbLb1EEEEDaS1M_S1N_EUlS1M_E_NS1_11comp_targetILNS1_3genE2ELNS1_11target_archE906ELNS1_3gpuE6ELNS1_3repE0EEENS1_30default_config_static_selectorELNS0_4arch9wavefront6targetE1EEEvSZ_
; %bb.0:
	s_load_dwordx2 s[52:53], s[4:5], 0x10
	s_load_dwordx4 s[48:51], s[4:5], 0x28
	s_load_dwordx2 s[30:31], s[4:5], 0x38
	s_load_dwordx4 s[44:47], s[4:5], 0x58
	s_load_dwordx2 s[6:7], s[4:5], 0x68
	s_load_dwordx2 s[54:55], s[4:5], 0x78
	;; [unrolled: 1-line block ×3, first 2 shown]
	s_load_dwordx8 s[36:43], s[4:5], 0x90
	v_cmp_eq_u32_e64 s[0:1], 0, v0
	s_and_saveexec_b64 s[2:3], s[0:1]
	s_cbranch_execz .LBB668_4
; %bb.1:
	s_mov_b64 s[10:11], exec
	v_mbcnt_lo_u32_b32 v1, s10, 0
	v_mbcnt_hi_u32_b32 v1, s11, v1
	v_cmp_eq_u32_e32 vcc, 0, v1
                                        ; implicit-def: $vgpr2
	s_and_saveexec_b64 s[8:9], vcc
	s_cbranch_execz .LBB668_3
; %bb.2:
	s_load_dwordx2 s[12:13], s[4:5], 0x88
	s_bcnt1_i32_b64 s10, s[10:11]
	v_mov_b32_e32 v2, 0
	v_mov_b32_e32 v3, s10
	s_waitcnt lgkmcnt(0)
	global_atomic_add v2, v2, v3, s[12:13] glc
.LBB668_3:
	s_or_b64 exec, exec, s[8:9]
	s_waitcnt vmcnt(0)
	v_readfirstlane_b32 s8, v2
	v_add_u32_e32 v1, s8, v1
	v_mov_b32_e32 v2, 0
	ds_write_b32 v2, v1
.LBB668_4:
	s_or_b64 exec, exec, s[2:3]
	v_mov_b32_e32 v1, 0
	s_load_dword s2, s[4:5], 0x8
	s_load_dword s8, s[4:5], 0x80
	s_waitcnt lgkmcnt(0)
	s_barrier
	ds_read_b32 v7, v1
	s_waitcnt lgkmcnt(0)
	s_barrier
	global_load_dwordx4 v[1:4], v1, s[46:47]
	s_add_i32 s9, s2, s52
	s_movk_i32 s2, 0xd00
	s_add_i32 s4, s8, -1
	s_mulk_i32 s8, 0xd00
	v_mul_lo_u32 v33, v7, s2
	s_add_u32 s2, s52, s8
	s_addc_u32 s3, s53, 0
	v_mov_b32_e32 v6, s3
	v_mov_b32_e32 v5, s2
	v_readfirstlane_b32 s33, v7
	v_cmp_gt_u64_e32 vcc, s[6:7], v[5:6]
	s_cmp_eq_u32 s33, s4
	v_cmp_ne_u32_e64 s[2:3], s4, v7
	s_cselect_b64 s[34:35], -1, 0
	s_or_b64 s[4:5], vcc, s[2:3]
	v_add_u32_e32 v5, s9, v33
	s_mov_b64 s[2:3], -1
	s_and_b64 vcc, exec, s[4:5]
	v_add_u32_e32 v5, v5, v0
	s_cbranch_vccz .LBB668_6
; %bb.5:
	v_add_u32_e32 v6, 0x100, v5
	v_lshlrev_b32_e32 v18, 2, v0
	v_add_u32_e32 v7, 0x200, v5
	v_add_u32_e32 v8, 0x300, v5
	;; [unrolled: 1-line block ×11, first 2 shown]
	ds_write2st64_b32 v18, v5, v6 offset1:4
	ds_write2st64_b32 v18, v7, v8 offset0:8 offset1:12
	ds_write2st64_b32 v18, v9, v10 offset0:16 offset1:20
	;; [unrolled: 1-line block ×5, first 2 shown]
	ds_write_b32 v18, v17 offset:12288
	s_waitcnt vmcnt(0) lgkmcnt(0)
	s_barrier
	s_mov_b64 s[2:3], 0
.LBB668_6:
	s_andn2_b64 vcc, exec, s[2:3]
	s_add_i32 s8, s8, s52
	s_cbranch_vccnz .LBB668_8
; %bb.7:
	v_add_u32_e32 v6, 0x100, v5
	v_lshlrev_b32_e32 v18, 2, v0
	v_add_u32_e32 v7, 0x200, v5
	v_add_u32_e32 v8, 0x300, v5
	;; [unrolled: 1-line block ×11, first 2 shown]
	ds_write2st64_b32 v18, v5, v6 offset1:4
	ds_write2st64_b32 v18, v7, v8 offset0:8 offset1:12
	ds_write2st64_b32 v18, v9, v10 offset0:16 offset1:20
	;; [unrolled: 1-line block ×5, first 2 shown]
	ds_write_b32 v18, v17 offset:12288
	s_waitcnt vmcnt(0) lgkmcnt(0)
	s_barrier
.LBB668_8:
	v_mul_u32_u24_e32 v35, 13, v0
	v_lshlrev_b32_e32 v5, 2, v35
	ds_read_b32 v34, v5 offset:48
	ds_read2_b32 v[13:14], v5 offset0:10 offset1:11
	ds_read2_b32 v[15:16], v5 offset0:8 offset1:9
	;; [unrolled: 1-line block ×4, first 2 shown]
	ds_read2_b32 v[23:24], v5 offset1:1
	ds_read2_b32 v[21:22], v5 offset0:2 offset1:3
	v_cndmask_b32_e64 v5, 0, 1, s[4:5]
	s_sub_i32 s86, s6, s8
	v_cmp_ne_u32_e64 s[2:3], 1, v5
	s_andn2_b64 vcc, exec, s[4:5]
	s_waitcnt vmcnt(0) lgkmcnt(0)
	s_barrier
	s_cbranch_vccnz .LBB668_36
; %bb.9:
	v_add_u32_e32 v5, s37, v23
	v_add_u32_e32 v6, s39, v23
	v_mul_lo_u32 v5, v5, s36
	v_mul_lo_u32 v6, v6, s38
	s_mov_b64 s[58:59], 0
	s_mov_b64 s[46:47], 0
	v_sub_u32_e32 v5, v5, v6
	v_cmp_lt_u32_e32 vcc, s40, v5
	v_cmp_ge_u32_e64 s[4:5], s40, v5
	s_and_saveexec_b64 s[6:7], s[4:5]
	s_cbranch_execz .LBB668_11
; %bb.10:
	v_add_u32_e32 v5, s42, v23
	v_add_u32_e32 v6, s56, v23
	v_mul_lo_u32 v5, v5, s41
	v_mul_lo_u32 v6, v6, s43
	v_sub_u32_e32 v5, v5, v6
	v_cmp_lt_u32_e64 s[4:5], s57, v5
	s_and_b64 s[46:47], s[4:5], exec
.LBB668_11:
	s_or_b64 exec, exec, s[6:7]
	v_add_u32_e32 v5, s37, v24
	v_add_u32_e32 v6, s39, v24
	v_mul_lo_u32 v5, v5, s36
	v_mul_lo_u32 v6, v6, s38
	v_sub_u32_e32 v5, v5, v6
	v_cmp_lt_u32_e64 s[4:5], s40, v5
	v_cmp_ge_u32_e64 s[6:7], s40, v5
	s_and_saveexec_b64 s[8:9], s[6:7]
	s_cbranch_execz .LBB668_13
; %bb.12:
	v_add_u32_e32 v5, s42, v24
	v_add_u32_e32 v6, s56, v24
	v_mul_lo_u32 v5, v5, s41
	v_mul_lo_u32 v6, v6, s43
	v_sub_u32_e32 v5, v5, v6
	v_cmp_lt_u32_e64 s[6:7], s57, v5
	s_and_b64 s[58:59], s[6:7], exec
.LBB668_13:
	s_or_b64 exec, exec, s[8:9]
	v_add_u32_e32 v5, s37, v21
	v_add_u32_e32 v6, s39, v21
	v_mul_lo_u32 v5, v5, s36
	v_mul_lo_u32 v6, v6, s38
	s_mov_b64 s[62:63], 0
	s_mov_b64 s[60:61], 0
	v_sub_u32_e32 v5, v5, v6
	v_cmp_lt_u32_e64 s[6:7], s40, v5
	v_cmp_ge_u32_e64 s[8:9], s40, v5
	s_and_saveexec_b64 s[10:11], s[8:9]
	s_cbranch_execz .LBB668_15
; %bb.14:
	v_add_u32_e32 v5, s42, v21
	v_add_u32_e32 v6, s56, v21
	v_mul_lo_u32 v5, v5, s41
	v_mul_lo_u32 v6, v6, s43
	v_sub_u32_e32 v5, v5, v6
	v_cmp_lt_u32_e64 s[8:9], s57, v5
	s_and_b64 s[60:61], s[8:9], exec
.LBB668_15:
	s_or_b64 exec, exec, s[10:11]
	v_add_u32_e32 v5, s37, v22
	v_add_u32_e32 v6, s39, v22
	v_mul_lo_u32 v5, v5, s36
	v_mul_lo_u32 v6, v6, s38
	v_sub_u32_e32 v5, v5, v6
	v_cmp_lt_u32_e64 s[8:9], s40, v5
	v_cmp_ge_u32_e64 s[10:11], s40, v5
	s_and_saveexec_b64 s[12:13], s[10:11]
	s_cbranch_execz .LBB668_17
; %bb.16:
	v_add_u32_e32 v5, s42, v22
	v_add_u32_e32 v6, s56, v22
	v_mul_lo_u32 v5, v5, s41
	v_mul_lo_u32 v6, v6, s43
	v_sub_u32_e32 v5, v5, v6
	v_cmp_lt_u32_e64 s[10:11], s57, v5
	s_and_b64 s[62:63], s[10:11], exec
.LBB668_17:
	s_or_b64 exec, exec, s[12:13]
	v_add_u32_e32 v5, s37, v19
	v_add_u32_e32 v6, s39, v19
	v_mul_lo_u32 v5, v5, s36
	v_mul_lo_u32 v6, v6, s38
	s_mov_b64 s[66:67], 0
	s_mov_b64 s[64:65], 0
	v_sub_u32_e32 v5, v5, v6
	v_cmp_lt_u32_e64 s[10:11], s40, v5
	;; [unrolled: 40-line block ×6, first 2 shown]
	v_cmp_ge_u32_e64 s[28:29], s40, v5
	s_and_saveexec_b64 s[84:85], s[28:29]
	s_cbranch_execz .LBB668_35
; %bb.34:
	v_add_u32_e32 v5, s42, v34
	v_add_u32_e32 v6, s56, v34
	v_mul_lo_u32 v5, v5, s41
	v_mul_lo_u32 v6, v6, s43
	v_sub_u32_e32 v5, v5, v6
	v_cmp_lt_u32_e64 s[28:29], s57, v5
	s_and_b64 s[82:83], s[28:29], exec
.LBB668_35:
	s_or_b64 exec, exec, s[84:85]
	v_cndmask_b32_e64 v6, 0, 1, s[4:5]
	v_cndmask_b32_e64 v5, 0, 1, vcc
	v_cndmask_b32_e64 v8, 0, 1, s[8:9]
	v_lshlrev_b16_e32 v6, 8, v6
	v_cndmask_b32_e64 v7, 0, 1, s[6:7]
	v_or_b32_e32 v5, v5, v6
	v_lshlrev_b16_e32 v6, 8, v8
	v_cndmask_b32_e64 v10, 0, 1, s[12:13]
	v_cndmask_b32_e64 v12, 0, 1, s[16:17]
	v_or_b32_sdwa v6, v7, v6 dst_sel:WORD_1 dst_unused:UNUSED_PAD src0_sel:DWORD src1_sel:DWORD
	v_cndmask_b32_e64 v9, 0, 1, s[10:11]
	v_cndmask_b32_e64 v11, 0, 1, s[14:15]
	v_or_b32_sdwa v36, v5, v6 dst_sel:DWORD dst_unused:UNUSED_PAD src0_sel:WORD_0 src1_sel:DWORD
	v_lshlrev_b16_e32 v5, 8, v10
	v_lshlrev_b16_e32 v6, 8, v12
	v_cndmask_b32_e64 v26, 0, 1, s[20:21]
	v_cndmask_b32_e64 v29, 0, 1, s[24:25]
	v_or_b32_e32 v5, v9, v5
	v_or_b32_sdwa v6, v11, v6 dst_sel:WORD_1 dst_unused:UNUSED_PAD src0_sel:DWORD src1_sel:DWORD
	v_cndmask_b32_e64 v25, 0, 1, s[18:19]
	v_cndmask_b32_e64 v27, 0, 1, s[22:23]
	v_or_b32_sdwa v38, v5, v6 dst_sel:DWORD dst_unused:UNUSED_PAD src0_sel:WORD_0 src1_sel:DWORD
	v_lshlrev_b16_e32 v5, 8, v26
	v_lshlrev_b16_e32 v6, 8, v29
	v_cndmask_b32_e64 v42, 0, 1, s[60:61]
	v_cndmask_b32_e64 v47, 0, 1, s[46:47]
	v_or_b32_e32 v5, v25, v5
	v_or_b32_sdwa v6, v27, v6 dst_sel:WORD_1 dst_unused:UNUSED_PAD src0_sel:DWORD src1_sel:DWORD
	v_cndmask_b32_e64 v46, 0, 1, s[58:59]
	v_cndmask_b32_e64 v48, 0, 1, s[26:27]
	v_or_b32_sdwa v41, v5, v6 dst_sel:DWORD dst_unused:UNUSED_PAD src0_sel:WORD_0 src1_sel:DWORD
	v_lshlrev_b16_e32 v5, 8, v47
	v_lshlrev_b16_e32 v6, 8, v42
	v_cndmask_b32_e64 v37, 0, 1, s[68:69]
	v_cndmask_b32_e64 v44, 0, 1, s[64:65]
	v_or_b32_e32 v5, v48, v5
	v_or_b32_sdwa v6, v46, v6 dst_sel:WORD_1 dst_unused:UNUSED_PAD src0_sel:DWORD src1_sel:DWORD
	v_cndmask_b32_e64 v39, 0, 1, s[66:67]
	v_cndmask_b32_e64 v45, 0, 1, s[62:63]
	v_or_b32_sdwa v42, v5, v6 dst_sel:DWORD dst_unused:UNUSED_PAD src0_sel:WORD_0 src1_sel:DWORD
	v_lshlrev_b16_e32 v5, 8, v44
	v_lshlrev_b16_e32 v6, 8, v37
	v_cndmask_b32_e64 v28, 0, 1, s[80:81]
	v_cndmask_b32_e64 v31, 0, 1, s[72:73]
	v_or_b32_e32 v5, v45, v5
	v_or_b32_sdwa v6, v39, v6 dst_sel:WORD_1 dst_unused:UNUSED_PAD src0_sel:DWORD src1_sel:DWORD
	v_cndmask_b32_e64 v30, 0, 1, s[74:75]
	v_cndmask_b32_e64 v32, 0, 1, s[70:71]
	v_or_b32_sdwa v37, v5, v6 dst_sel:DWORD dst_unused:UNUSED_PAD src0_sel:WORD_0 src1_sel:DWORD
	v_lshlrev_b16_e32 v5, 8, v31
	v_lshlrev_b16_e32 v6, 8, v28
	v_or_b32_e32 v5, v32, v5
	v_or_b32_sdwa v6, v30, v6 dst_sel:WORD_1 dst_unused:UNUSED_PAD src0_sel:DWORD src1_sel:DWORD
	v_cndmask_b32_e64 v40, 0, 1, s[78:79]
	v_cndmask_b32_e64 v43, 0, 1, s[82:83]
	v_or_b32_sdwa v39, v5, v6 dst_sel:DWORD dst_unused:UNUSED_PAD src0_sel:WORD_0 src1_sel:DWORD
	s_add_i32 s16, s86, 0xd00
	s_and_b64 vcc, exec, s[76:77]
	s_cbranch_vccnz .LBB668_37
	s_branch .LBB668_114
.LBB668_36:
                                        ; implicit-def: $vgpr43
                                        ; implicit-def: $vgpr40
                                        ; implicit-def: $vgpr39
                                        ; implicit-def: $vgpr37
                                        ; implicit-def: $vgpr42
                                        ; implicit-def: $vgpr41
                                        ; implicit-def: $vgpr38
                                        ; implicit-def: $vgpr36
	s_add_i32 s16, s86, 0xd00
	s_cbranch_execz .LBB668_114
.LBB668_37:
	v_cmp_gt_u32_e32 vcc, s16, v35
	v_mov_b32_e32 v6, 0
	v_mov_b32_e32 v5, 0
	s_and_saveexec_b64 s[6:7], vcc
	s_cbranch_execz .LBB668_41
; %bb.38:
	v_add_u32_e32 v5, s37, v23
	v_add_u32_e32 v6, s39, v23
	v_mul_lo_u32 v5, v5, s36
	v_mul_lo_u32 v6, v6, s38
	s_mov_b64 s[10:11], 0
	v_sub_u32_e32 v5, v5, v6
	v_cmp_lt_u32_e32 vcc, s40, v5
	v_cmp_ge_u32_e64 s[4:5], s40, v5
	s_and_saveexec_b64 s[8:9], s[4:5]
	s_cbranch_execz .LBB668_40
; %bb.39:
	v_add_u32_e32 v5, s42, v23
	v_add_u32_e32 v6, s56, v23
	v_mul_lo_u32 v5, v5, s41
	v_mul_lo_u32 v6, v6, s43
	v_sub_u32_e32 v5, v5, v6
	v_cmp_lt_u32_e64 s[4:5], s57, v5
	s_and_b64 s[10:11], s[4:5], exec
.LBB668_40:
	s_or_b64 exec, exec, s[8:9]
	v_cndmask_b32_e64 v6, 0, 1, s[10:11]
	v_cndmask_b32_e64 v5, 0, 1, vcc
.LBB668_41:
	s_or_b64 exec, exec, s[6:7]
	v_lshlrev_b16_e32 v11, 8, v6
	v_add_u32_e32 v6, 1, v35
	v_cmp_le_u32_e32 vcc, s16, v6
	v_lshlrev_b16_e64 v8, 8, 0
                                        ; implicit-def: $vgpr7
                                        ; implicit-def: $vgpr9
                                        ; implicit-def: $vgpr10
                                        ; implicit-def: $vgpr6
                                        ; implicit-def: $vgpr12
	s_and_saveexec_b64 s[4:5], vcc
	s_xor_b64 s[4:5], exec, s[4:5]
; %bb.42:
	v_mov_b32_e32 v6, 8
	v_lshrrev_b32_sdwa v7, v6, v11 dst_sel:BYTE_1 dst_unused:UNUSED_PAD src0_sel:DWORD src1_sel:DWORD
	v_and_b32_e32 v12, 0xff, v5
	v_or_b32_sdwa v5, v11, v7 dst_sel:DWORD dst_unused:UNUSED_PAD src0_sel:BYTE_0 src1_sel:DWORD
	v_mov_b32_e32 v9, 0
	v_lshlrev_b16_e64 v8, 8, 0
	v_lshlrev_b16_e64 v6, 8, 0
	v_and_b32_e32 v10, 0xffff, v5
	v_lshlrev_b16_e64 v7, 8, 0
                                        ; implicit-def: $vgpr5
                                        ; implicit-def: $vgpr11
; %bb.43:
	s_andn2_saveexec_b64 s[6:7], s[4:5]
	s_cbranch_execz .LBB668_47
; %bb.44:
	v_add_u32_e32 v6, s37, v24
	v_add_u32_e32 v7, s39, v24
	v_mul_lo_u32 v6, v6, s36
	v_mul_lo_u32 v7, v7, s38
	s_mov_b64 s[8:9], 0
	v_sub_u32_e32 v6, v6, v7
	v_cmp_lt_u32_e32 vcc, s40, v6
	v_cmp_ge_u32_e64 s[4:5], s40, v6
	s_and_saveexec_b64 s[10:11], s[4:5]
	s_cbranch_execz .LBB668_46
; %bb.45:
	v_add_u32_e32 v6, s42, v24
	v_add_u32_e32 v7, s56, v24
	v_mul_lo_u32 v6, v6, s41
	v_mul_lo_u32 v7, v7, s43
	v_sub_u32_e32 v6, v6, v7
	v_cmp_lt_u32_e64 s[4:5], s57, v6
	s_and_b64 s[8:9], s[4:5], exec
.LBB668_46:
	s_or_b64 exec, exec, s[10:11]
	v_cndmask_b32_e64 v7, 0, 1, vcc
	v_lshlrev_b16_e32 v7, 8, v7
	v_or_b32_sdwa v5, v5, v7 dst_sel:DWORD dst_unused:UNUSED_PAD src0_sel:BYTE_0 src1_sel:DWORD
	v_and_b32_e32 v12, 0xffff, v5
	v_mov_b32_e32 v5, 8
	v_lshrrev_b32_sdwa v5, v5, v11 dst_sel:BYTE_1 dst_unused:UNUSED_PAD src0_sel:DWORD src1_sel:DWORD
	v_or_b32_sdwa v5, v11, v5 dst_sel:DWORD dst_unused:UNUSED_PAD src0_sel:BYTE_0 src1_sel:DWORD
	v_and_b32_e32 v5, 0xffff, v5
	v_cndmask_b32_e64 v7, 0, 1, s[8:9]
	v_mov_b32_e32 v6, 0
	v_mov_b32_e32 v9, 0
	v_lshl_or_b32 v10, v7, 16, v5
	v_lshlrev_b16_e64 v7, 8, 0
.LBB668_47:
	s_or_b64 exec, exec, s[6:7]
	v_add_u32_e32 v5, 2, v35
	v_cmp_le_u32_e32 vcc, s16, v5
	v_lshrrev_b32_e32 v25, 24, v12
                                        ; implicit-def: $vgpr5
                                        ; implicit-def: $vgpr11
	s_and_saveexec_b64 s[4:5], vcc
	s_xor_b64 s[4:5], exec, s[4:5]
	s_cbranch_execz .LBB668_49
; %bb.48:
	s_mov_b32 s6, 0x40c0100
	v_perm_b32 v11, v25, v12, s6
	v_mov_b32_e32 v12, 8
	v_lshrrev_b32_sdwa v12, v12, v11 dst_sel:BYTE_1 dst_unused:UNUSED_PAD src0_sel:DWORD src1_sel:DWORD
	v_or_b32_sdwa v12, v11, v12 dst_sel:DWORD dst_unused:UNUSED_PAD src0_sel:BYTE_0 src1_sel:DWORD
	v_and_b32_e32 v12, 0xffff, v12
	s_mov_b32 s6, 0xff000000
	v_and_or_b32 v11, v11, s6, v12
	s_mov_b32 s6, 0x3060504
	v_and_b32_e32 v5, 0xff0000, v10
	v_perm_b32 v8, v8, v8, s6
	s_mov_b32 s6, 0x3020504
	v_perm_b32 v5, v10, v5, s6
                                        ; implicit-def: $vgpr12
                                        ; implicit-def: $vgpr25
                                        ; implicit-def: $vgpr10
.LBB668_49:
	s_andn2_saveexec_b64 s[6:7], s[4:5]
	s_cbranch_execz .LBB668_53
; %bb.50:
	v_add_u32_e32 v5, s37, v21
	v_add_u32_e32 v11, s39, v21
	v_mul_lo_u32 v5, v5, s36
	v_mul_lo_u32 v11, v11, s38
	s_mov_b64 s[8:9], 0
	v_sub_u32_e32 v5, v5, v11
	v_cmp_lt_u32_e32 vcc, s40, v5
	v_cmp_ge_u32_e64 s[4:5], s40, v5
	s_and_saveexec_b64 s[10:11], s[4:5]
	s_cbranch_execz .LBB668_52
; %bb.51:
	v_add_u32_e32 v5, s42, v21
	v_add_u32_e32 v11, s56, v21
	v_mul_lo_u32 v5, v5, s41
	v_mul_lo_u32 v11, v11, s43
	v_sub_u32_e32 v5, v5, v11
	v_cmp_lt_u32_e64 s[4:5], s57, v5
	s_and_b64 s[8:9], s[4:5], exec
.LBB668_52:
	s_or_b64 exec, exec, s[10:11]
	v_mov_b32_e32 v27, 8
	v_lshrrev_b32_sdwa v11, v27, v12 dst_sel:BYTE_1 dst_unused:UNUSED_PAD src0_sel:DWORD src1_sel:DWORD
	v_cndmask_b32_e64 v5, 0, 1, vcc
	v_or_b32_sdwa v11, v12, v11 dst_sel:DWORD dst_unused:UNUSED_PAD src0_sel:BYTE_0 src1_sel:DWORD
	v_lshlrev_b16_e32 v12, 8, v25
	v_or_b32_sdwa v5, v5, v12 dst_sel:WORD_1 dst_unused:UNUSED_PAD src0_sel:DWORD src1_sel:DWORD
	v_cndmask_b32_e64 v26, 0, 1, s[8:9]
	s_movk_i32 s4, 0xff
	v_or_b32_sdwa v11, v11, v5 dst_sel:DWORD dst_unused:UNUSED_PAD src0_sel:WORD_0 src1_sel:DWORD
	v_lshrrev_b32_sdwa v5, v27, v10 dst_sel:BYTE_1 dst_unused:UNUSED_PAD src0_sel:DWORD src1_sel:DWORD
	v_or_b32_sdwa v5, v10, v5 dst_sel:DWORD dst_unused:UNUSED_PAD src0_sel:BYTE_0 src1_sel:DWORD
	v_lshlrev_b16_e32 v12, 8, v26
	v_and_b32_sdwa v10, v10, s4 dst_sel:DWORD dst_unused:UNUSED_PAD src0_sel:WORD_1 src1_sel:DWORD
	v_or_b32_sdwa v10, v10, v12 dst_sel:WORD_1 dst_unused:UNUSED_PAD src0_sel:DWORD src1_sel:DWORD
	v_or_b32_sdwa v5, v5, v10 dst_sel:DWORD dst_unused:UNUSED_PAD src0_sel:WORD_0 src1_sel:DWORD
.LBB668_53:
	s_or_b64 exec, exec, s[6:7]
	v_add_u32_e32 v10, 3, v35
	v_cmp_le_u32_e32 vcc, s16, v10
	v_lshrrev_b32_e32 v12, 24, v9
                                        ; implicit-def: $vgpr10
                                        ; implicit-def: $vgpr36
	s_and_saveexec_b64 s[4:5], vcc
	s_xor_b64 s[4:5], exec, s[4:5]
	s_cbranch_execz .LBB668_55
; %bb.54:
	v_and_b32_e32 v10, 0xff0000, v11
	s_mov_b32 s6, 0x3020504
	s_movk_i32 s7, 0xff
	v_perm_b32 v36, v11, v10, s6
	v_lshlrev_b16_e32 v10, 8, v12
	v_and_b32_sdwa v11, v9, s7 dst_sel:DWORD dst_unused:UNUSED_PAD src0_sel:WORD_1 src1_sel:DWORD
	s_mov_b32 s6, 0x3060504
	v_or_b32_sdwa v10, v11, v10 dst_sel:WORD_1 dst_unused:UNUSED_PAD src0_sel:DWORD src1_sel:DWORD
	v_mov_b32_e32 v11, 8
	v_perm_b32 v8, v8, v8, s6
	v_lshrrev_b32_sdwa v10, v11, v9 dst_sel:BYTE_1 dst_unused:UNUSED_PRESERVE src0_sel:DWORD src1_sel:DWORD
	v_perm_b32 v7, v7, v7, s6
                                        ; implicit-def: $vgpr11
                                        ; implicit-def: $vgpr12
                                        ; implicit-def: $vgpr9
.LBB668_55:
	s_andn2_saveexec_b64 s[6:7], s[4:5]
	s_cbranch_execz .LBB668_59
; %bb.56:
	v_add_u32_e32 v10, s37, v22
	v_add_u32_e32 v25, s39, v22
	v_mul_lo_u32 v10, v10, s36
	v_mul_lo_u32 v25, v25, s38
	s_mov_b64 s[8:9], 0
	v_sub_u32_e32 v10, v10, v25
	v_cmp_lt_u32_e32 vcc, s40, v10
	v_cmp_ge_u32_e64 s[4:5], s40, v10
	s_and_saveexec_b64 s[10:11], s[4:5]
	s_cbranch_execz .LBB668_58
; %bb.57:
	v_add_u32_e32 v10, s42, v22
	v_add_u32_e32 v25, s56, v22
	v_mul_lo_u32 v10, v10, s41
	v_mul_lo_u32 v25, v25, s43
	v_sub_u32_e32 v10, v10, v25
	v_cmp_lt_u32_e64 s[4:5], s57, v10
	s_and_b64 s[8:9], s[4:5], exec
.LBB668_58:
	s_or_b64 exec, exec, s[10:11]
	v_mov_b32_e32 v26, 8
	v_cndmask_b32_e64 v10, 0, 1, vcc
	s_movk_i32 s4, 0xff
	v_lshrrev_b32_sdwa v27, v26, v11 dst_sel:BYTE_1 dst_unused:UNUSED_PAD src0_sel:DWORD src1_sel:DWORD
	v_or_b32_sdwa v27, v11, v27 dst_sel:DWORD dst_unused:UNUSED_PAD src0_sel:BYTE_0 src1_sel:DWORD
	v_lshlrev_b16_e32 v10, 8, v10
	v_and_b32_sdwa v11, v11, s4 dst_sel:DWORD dst_unused:UNUSED_PAD src0_sel:WORD_1 src1_sel:DWORD
	v_or_b32_sdwa v10, v11, v10 dst_sel:WORD_1 dst_unused:UNUSED_PAD src0_sel:DWORD src1_sel:DWORD
	v_cndmask_b32_e64 v25, 0, 1, s[8:9]
	v_or_b32_sdwa v36, v27, v10 dst_sel:DWORD dst_unused:UNUSED_PAD src0_sel:WORD_0 src1_sel:DWORD
	v_lshlrev_b16_e32 v10, 8, v12
	v_and_b32_sdwa v11, v9, s4 dst_sel:DWORD dst_unused:UNUSED_PAD src0_sel:WORD_1 src1_sel:DWORD
	v_lshrrev_b32_sdwa v9, v26, v9 dst_sel:BYTE_1 dst_unused:UNUSED_PAD src0_sel:DWORD src1_sel:DWORD
	v_or_b32_sdwa v10, v11, v10 dst_sel:WORD_1 dst_unused:UNUSED_PAD src0_sel:DWORD src1_sel:DWORD
	v_or_b32_e32 v9, v25, v9
	v_or_b32_sdwa v10, v9, v10 dst_sel:DWORD dst_unused:UNUSED_PAD src0_sel:WORD_0 src1_sel:DWORD
.LBB668_59:
	s_or_b64 exec, exec, s[6:7]
	v_add_u32_e32 v9, 4, v35
	v_cmp_le_u32_e32 vcc, s16, v9
	v_lshrrev_b32_e32 v25, 24, v8
	v_lshrrev_b32_e32 v12, 24, v10
                                        ; implicit-def: $vgpr11
                                        ; implicit-def: $vgpr9
	s_and_saveexec_b64 s[4:5], vcc
	s_xor_b64 s[4:5], exec, s[4:5]
	s_cbranch_execz .LBB668_61
; %bb.60:
	s_movk_i32 s6, 0xff
	v_lshlrev_b16_e32 v9, 8, v25
	v_and_b32_sdwa v25, v8, s6 dst_sel:DWORD dst_unused:UNUSED_PAD src0_sel:WORD_1 src1_sel:DWORD
	v_mov_b32_e32 v11, 8
	v_or_b32_sdwa v9, v25, v9 dst_sel:WORD_1 dst_unused:UNUSED_PAD src0_sel:DWORD src1_sel:DWORD
	v_lshrrev_b32_sdwa v9, v11, v8 dst_sel:BYTE_1 dst_unused:UNUSED_PRESERVE src0_sel:DWORD src1_sel:DWORD
	v_lshlrev_b16_e32 v8, 8, v12
	v_and_b32_sdwa v11, v10, s6 dst_sel:DWORD dst_unused:UNUSED_PAD src0_sel:WORD_1 src1_sel:DWORD
	v_or_b32_e32 v8, v11, v8
	s_mov_b32 s6, 0x5040c00
	v_perm_b32 v11, v8, v10, s6
	s_mov_b32 s6, 0x3060504
	v_perm_b32 v7, v7, v7, s6
                                        ; implicit-def: $vgpr25
                                        ; implicit-def: $vgpr8
                                        ; implicit-def: $vgpr10
                                        ; implicit-def: $vgpr12
.LBB668_61:
	s_andn2_saveexec_b64 s[6:7], s[4:5]
	s_cbranch_execz .LBB668_65
; %bb.62:
	v_add_u32_e32 v9, s37, v19
	v_add_u32_e32 v11, s39, v19
	v_mul_lo_u32 v9, v9, s36
	v_mul_lo_u32 v11, v11, s38
	s_mov_b64 s[8:9], 0
	v_sub_u32_e32 v9, v9, v11
	v_cmp_lt_u32_e32 vcc, s40, v9
	v_cmp_ge_u32_e64 s[4:5], s40, v9
	s_and_saveexec_b64 s[10:11], s[4:5]
	s_cbranch_execz .LBB668_64
; %bb.63:
	v_add_u32_e32 v9, s42, v19
	v_add_u32_e32 v11, s56, v19
	v_mul_lo_u32 v9, v9, s41
	v_mul_lo_u32 v11, v11, s43
	v_sub_u32_e32 v9, v9, v11
	v_cmp_lt_u32_e64 s[4:5], s57, v9
	s_and_b64 s[8:9], s[4:5], exec
.LBB668_64:
	s_or_b64 exec, exec, s[10:11]
	s_movk_i32 s4, 0xff
	v_lshlrev_b16_e32 v25, 8, v25
	v_and_b32_sdwa v26, v8, s4 dst_sel:DWORD dst_unused:UNUSED_PAD src0_sel:WORD_1 src1_sel:DWORD
	v_or_b32_sdwa v25, v26, v25 dst_sel:WORD_1 dst_unused:UNUSED_PAD src0_sel:DWORD src1_sel:DWORD
	v_mov_b32_e32 v26, 8
	v_cndmask_b32_e64 v9, 0, 1, vcc
	v_lshrrev_b32_sdwa v8, v26, v8 dst_sel:BYTE_1 dst_unused:UNUSED_PAD src0_sel:DWORD src1_sel:DWORD
	v_cndmask_b32_e64 v11, 0, 1, s[8:9]
	v_or_b32_e32 v8, v9, v8
	v_or_b32_sdwa v9, v8, v25 dst_sel:DWORD dst_unused:UNUSED_PAD src0_sel:WORD_0 src1_sel:DWORD
	v_lshlrev_b16_e32 v8, 8, v11
	v_or_b32_sdwa v8, v10, v8 dst_sel:DWORD dst_unused:UNUSED_PAD src0_sel:BYTE_0 src1_sel:DWORD
	v_lshlrev_b16_e32 v11, 8, v12
	v_and_b32_sdwa v10, v10, s4 dst_sel:DWORD dst_unused:UNUSED_PAD src0_sel:WORD_1 src1_sel:DWORD
	v_or_b32_sdwa v10, v10, v11 dst_sel:WORD_1 dst_unused:UNUSED_PAD src0_sel:DWORD src1_sel:DWORD
	v_or_b32_sdwa v11, v8, v10 dst_sel:DWORD dst_unused:UNUSED_PAD src0_sel:WORD_0 src1_sel:DWORD
.LBB668_65:
	s_or_b64 exec, exec, s[6:7]
	v_add_u32_e32 v8, 5, v35
	v_cmp_le_u32_e32 vcc, s16, v8
	v_lshrrev_b32_e32 v12, 24, v11
	v_lshrrev_b32_e32 v25, 24, v9
                                        ; implicit-def: $vgpr8
                                        ; implicit-def: $vgpr10
	s_and_saveexec_b64 s[4:5], vcc
	s_xor_b64 s[4:5], exec, s[4:5]
	s_cbranch_execz .LBB668_67
; %bb.66:
	s_mov_b32 s6, 0x40c0100
	v_perm_b32 v8, v12, v11, s6
	s_movk_i32 s6, 0xff
	v_lshlrev_b16_e32 v10, 8, v25
	v_and_b32_sdwa v11, v9, s6 dst_sel:DWORD dst_unused:UNUSED_PAD src0_sel:WORD_1 src1_sel:DWORD
	v_or_b32_e32 v10, v11, v10
	s_mov_b32 s6, 0x5040c00
	v_perm_b32 v10, v10, v9, s6
	v_mov_b32_e32 v9, 8
	v_lshrrev_b32_sdwa v9, v9, v8 dst_sel:BYTE_1 dst_unused:UNUSED_PAD src0_sel:DWORD src1_sel:DWORD
	v_or_b32_sdwa v9, v8, v9 dst_sel:DWORD dst_unused:UNUSED_PAD src0_sel:BYTE_0 src1_sel:DWORD
	v_and_b32_e32 v9, 0xffff, v9
	s_mov_b32 s6, 0xff000000
	v_and_or_b32 v8, v8, s6, v9
	s_mov_b32 s6, 0x3060504
	v_perm_b32 v7, v7, v7, s6
                                        ; implicit-def: $vgpr9
                                        ; implicit-def: $vgpr25
                                        ; implicit-def: $vgpr11
                                        ; implicit-def: $vgpr12
.LBB668_67:
	s_andn2_saveexec_b64 s[6:7], s[4:5]
	s_cbranch_execz .LBB668_71
; %bb.68:
	v_add_u32_e32 v8, s37, v20
	v_add_u32_e32 v10, s39, v20
	v_mul_lo_u32 v8, v8, s36
	v_mul_lo_u32 v10, v10, s38
	s_mov_b64 s[8:9], 0
	v_sub_u32_e32 v8, v8, v10
	v_cmp_lt_u32_e32 vcc, s40, v8
	v_cmp_ge_u32_e64 s[4:5], s40, v8
	s_and_saveexec_b64 s[10:11], s[4:5]
	s_cbranch_execz .LBB668_70
; %bb.69:
	v_add_u32_e32 v8, s42, v20
	v_add_u32_e32 v10, s56, v20
	v_mul_lo_u32 v8, v8, s41
	v_mul_lo_u32 v10, v10, s43
	v_sub_u32_e32 v8, v8, v10
	v_cmp_lt_u32_e64 s[4:5], s57, v8
	s_and_b64 s[8:9], s[4:5], exec
.LBB668_70:
	s_or_b64 exec, exec, s[10:11]
	v_cndmask_b32_e64 v8, 0, 1, vcc
	v_lshlrev_b16_e32 v8, 8, v8
	s_movk_i32 s4, 0xff
	v_or_b32_sdwa v8, v9, v8 dst_sel:DWORD dst_unused:UNUSED_PAD src0_sel:BYTE_0 src1_sel:DWORD
	v_lshlrev_b16_e32 v10, 8, v25
	v_and_b32_sdwa v9, v9, s4 dst_sel:DWORD dst_unused:UNUSED_PAD src0_sel:WORD_1 src1_sel:DWORD
	v_or_b32_sdwa v9, v9, v10 dst_sel:WORD_1 dst_unused:UNUSED_PAD src0_sel:DWORD src1_sel:DWORD
	v_or_b32_sdwa v10, v8, v9 dst_sel:DWORD dst_unused:UNUSED_PAD src0_sel:WORD_0 src1_sel:DWORD
	v_mov_b32_e32 v8, 8
	v_cndmask_b32_e64 v26, 0, 1, s[8:9]
	v_lshrrev_b32_sdwa v8, v8, v11 dst_sel:BYTE_1 dst_unused:UNUSED_PAD src0_sel:DWORD src1_sel:DWORD
	v_lshlrev_b16_e32 v9, 8, v12
	v_or_b32_sdwa v8, v11, v8 dst_sel:DWORD dst_unused:UNUSED_PAD src0_sel:BYTE_0 src1_sel:DWORD
	v_or_b32_sdwa v9, v26, v9 dst_sel:WORD_1 dst_unused:UNUSED_PAD src0_sel:DWORD src1_sel:DWORD
	v_or_b32_sdwa v8, v8, v9 dst_sel:DWORD dst_unused:UNUSED_PAD src0_sel:WORD_0 src1_sel:DWORD
.LBB668_71:
	s_or_b64 exec, exec, s[6:7]
	v_add_u32_e32 v9, 6, v35
	v_cmp_le_u32_e32 vcc, s16, v9
	v_lshrrev_b32_e32 v11, 24, v10
                                        ; implicit-def: $vgpr37
                                        ; implicit-def: $vgpr9
	s_and_saveexec_b64 s[4:5], vcc
	s_xor_b64 s[4:5], exec, s[4:5]
	s_cbranch_execz .LBB668_73
; %bb.72:
	s_mov_b32 s6, 0x40c0100
	v_perm_b32 v9, v11, v10, s6
	v_mov_b32_e32 v10, 8
	v_lshrrev_b32_sdwa v10, v10, v9 dst_sel:BYTE_1 dst_unused:UNUSED_PAD src0_sel:DWORD src1_sel:DWORD
	v_or_b32_sdwa v10, v9, v10 dst_sel:DWORD dst_unused:UNUSED_PAD src0_sel:BYTE_0 src1_sel:DWORD
	v_and_b32_e32 v10, 0xffff, v10
	s_mov_b32 s6, 0xff000000
	v_and_b32_e32 v12, 0xff0000, v8
	v_and_or_b32 v9, v9, s6, v10
	s_mov_b32 s6, 0x3020504
	v_perm_b32 v37, v8, v12, s6
	s_mov_b32 s6, 0x3060504
	v_perm_b32 v7, v7, v7, s6
                                        ; implicit-def: $vgpr10
                                        ; implicit-def: $vgpr11
                                        ; implicit-def: $vgpr8
.LBB668_73:
	s_andn2_saveexec_b64 s[6:7], s[4:5]
	s_cbranch_execz .LBB668_77
; %bb.74:
	v_add_u32_e32 v9, s37, v17
	v_add_u32_e32 v12, s39, v17
	v_mul_lo_u32 v9, v9, s36
	v_mul_lo_u32 v12, v12, s38
	s_mov_b64 s[8:9], 0
	v_sub_u32_e32 v9, v9, v12
	v_cmp_lt_u32_e32 vcc, s40, v9
	v_cmp_ge_u32_e64 s[4:5], s40, v9
	s_and_saveexec_b64 s[10:11], s[4:5]
	s_cbranch_execz .LBB668_76
; %bb.75:
	v_add_u32_e32 v9, s42, v17
	v_add_u32_e32 v12, s56, v17
	v_mul_lo_u32 v9, v9, s41
	v_mul_lo_u32 v12, v12, s43
	v_sub_u32_e32 v9, v9, v12
	v_cmp_lt_u32_e64 s[4:5], s57, v9
	s_and_b64 s[8:9], s[4:5], exec
.LBB668_76:
	s_or_b64 exec, exec, s[10:11]
	v_mov_b32_e32 v25, 8
	v_cndmask_b32_e64 v9, 0, 1, vcc
	v_lshrrev_b32_sdwa v26, v25, v10 dst_sel:BYTE_1 dst_unused:UNUSED_PAD src0_sel:DWORD src1_sel:DWORD
	v_lshlrev_b16_e32 v11, 8, v11
	v_or_b32_sdwa v10, v10, v26 dst_sel:DWORD dst_unused:UNUSED_PAD src0_sel:BYTE_0 src1_sel:DWORD
	v_or_b32_sdwa v9, v9, v11 dst_sel:WORD_1 dst_unused:UNUSED_PAD src0_sel:DWORD src1_sel:DWORD
	v_cndmask_b32_e64 v12, 0, 1, s[8:9]
	s_movk_i32 s4, 0xff
	v_or_b32_sdwa v9, v10, v9 dst_sel:DWORD dst_unused:UNUSED_PAD src0_sel:WORD_0 src1_sel:DWORD
	v_lshrrev_b32_sdwa v10, v25, v8 dst_sel:BYTE_1 dst_unused:UNUSED_PAD src0_sel:DWORD src1_sel:DWORD
	v_or_b32_sdwa v10, v8, v10 dst_sel:DWORD dst_unused:UNUSED_PAD src0_sel:BYTE_0 src1_sel:DWORD
	v_lshlrev_b16_e32 v11, 8, v12
	v_and_b32_sdwa v8, v8, s4 dst_sel:DWORD dst_unused:UNUSED_PAD src0_sel:WORD_1 src1_sel:DWORD
	v_or_b32_sdwa v8, v8, v11 dst_sel:WORD_1 dst_unused:UNUSED_PAD src0_sel:DWORD src1_sel:DWORD
	v_or_b32_sdwa v37, v10, v8 dst_sel:DWORD dst_unused:UNUSED_PAD src0_sel:WORD_0 src1_sel:DWORD
.LBB668_77:
	s_or_b64 exec, exec, s[6:7]
	v_add_u32_e32 v8, 7, v35
	v_cmp_le_u32_e32 vcc, s16, v8
	v_lshrrev_b32_e32 v10, 24, v7
                                        ; implicit-def: $vgpr8
                                        ; implicit-def: $vgpr38
	s_and_saveexec_b64 s[4:5], vcc
	s_xor_b64 s[4:5], exec, s[4:5]
; %bb.78:
	v_and_b32_e32 v8, 0xff0000, v9
	s_mov_b32 s6, 0x3020504
	v_perm_b32 v38, v9, v8, s6
	s_movk_i32 s6, 0xff
	v_lshlrev_b16_e32 v8, 8, v10
	v_and_b32_sdwa v9, v7, s6 dst_sel:DWORD dst_unused:UNUSED_PAD src0_sel:WORD_1 src1_sel:DWORD
	v_mov_b32_e32 v11, 8
	v_or_b32_sdwa v8, v9, v8 dst_sel:WORD_1 dst_unused:UNUSED_PAD src0_sel:DWORD src1_sel:DWORD
	v_lshrrev_b32_sdwa v8, v11, v7 dst_sel:BYTE_1 dst_unused:UNUSED_PRESERVE src0_sel:DWORD src1_sel:DWORD
                                        ; implicit-def: $vgpr9
                                        ; implicit-def: $vgpr10
                                        ; implicit-def: $vgpr7
; %bb.79:
	s_andn2_saveexec_b64 s[6:7], s[4:5]
	s_cbranch_execz .LBB668_83
; %bb.80:
	v_add_u32_e32 v8, s37, v18
	v_add_u32_e32 v11, s39, v18
	v_mul_lo_u32 v8, v8, s36
	v_mul_lo_u32 v11, v11, s38
	s_mov_b64 s[8:9], 0
	v_sub_u32_e32 v8, v8, v11
	v_cmp_lt_u32_e32 vcc, s40, v8
	v_cmp_ge_u32_e64 s[4:5], s40, v8
	s_and_saveexec_b64 s[10:11], s[4:5]
	s_cbranch_execz .LBB668_82
; %bb.81:
	v_add_u32_e32 v8, s42, v18
	v_add_u32_e32 v11, s56, v18
	v_mul_lo_u32 v8, v8, s41
	v_mul_lo_u32 v11, v11, s43
	v_sub_u32_e32 v8, v8, v11
	v_cmp_lt_u32_e64 s[4:5], s57, v8
	s_and_b64 s[8:9], s[4:5], exec
.LBB668_82:
	s_or_b64 exec, exec, s[10:11]
	v_mov_b32_e32 v12, 8
	v_cndmask_b32_e64 v8, 0, 1, vcc
	s_movk_i32 s4, 0xff
	v_lshrrev_b32_sdwa v25, v12, v9 dst_sel:BYTE_1 dst_unused:UNUSED_PAD src0_sel:DWORD src1_sel:DWORD
	v_or_b32_sdwa v25, v9, v25 dst_sel:DWORD dst_unused:UNUSED_PAD src0_sel:BYTE_0 src1_sel:DWORD
	v_lshlrev_b16_e32 v8, 8, v8
	v_and_b32_sdwa v9, v9, s4 dst_sel:DWORD dst_unused:UNUSED_PAD src0_sel:WORD_1 src1_sel:DWORD
	v_or_b32_sdwa v8, v9, v8 dst_sel:WORD_1 dst_unused:UNUSED_PAD src0_sel:DWORD src1_sel:DWORD
	v_cndmask_b32_e64 v11, 0, 1, s[8:9]
	v_or_b32_sdwa v38, v25, v8 dst_sel:DWORD dst_unused:UNUSED_PAD src0_sel:WORD_0 src1_sel:DWORD
	v_lshlrev_b16_e32 v8, 8, v10
	v_and_b32_sdwa v9, v7, s4 dst_sel:DWORD dst_unused:UNUSED_PAD src0_sel:WORD_1 src1_sel:DWORD
	v_lshrrev_b32_sdwa v7, v12, v7 dst_sel:BYTE_1 dst_unused:UNUSED_PAD src0_sel:DWORD src1_sel:DWORD
	v_or_b32_sdwa v8, v9, v8 dst_sel:WORD_1 dst_unused:UNUSED_PAD src0_sel:DWORD src1_sel:DWORD
	v_or_b32_e32 v7, v11, v7
	v_or_b32_sdwa v8, v7, v8 dst_sel:DWORD dst_unused:UNUSED_PAD src0_sel:WORD_0 src1_sel:DWORD
.LBB668_83:
	s_or_b64 exec, exec, s[6:7]
	v_add_u32_e32 v7, 8, v35
	v_cmp_le_u32_e32 vcc, s16, v7
	v_lshrrev_b32_e32 v10, 24, v8
	v_lshrrev_b32_e32 v11, 24, v6
                                        ; implicit-def: $vgpr9
                                        ; implicit-def: $vgpr7
	s_and_saveexec_b64 s[4:5], vcc
	s_xor_b64 s[4:5], exec, s[4:5]
	s_cbranch_execz .LBB668_85
; %bb.84:
	s_movk_i32 s6, 0xff
	v_lshlrev_b16_e32 v7, 8, v11
	v_and_b32_sdwa v9, v6, s6 dst_sel:DWORD dst_unused:UNUSED_PAD src0_sel:WORD_1 src1_sel:DWORD
	v_or_b32_sdwa v7, v9, v7 dst_sel:WORD_1 dst_unused:UNUSED_PAD src0_sel:DWORD src1_sel:DWORD
	v_mov_b32_e32 v9, 8
	v_lshrrev_b32_sdwa v7, v9, v6 dst_sel:BYTE_1 dst_unused:UNUSED_PRESERVE src0_sel:DWORD src1_sel:DWORD
	v_lshlrev_b16_e32 v6, 8, v10
	v_and_b32_sdwa v9, v8, s6 dst_sel:DWORD dst_unused:UNUSED_PAD src0_sel:WORD_1 src1_sel:DWORD
	s_mov_b32 s7, 0x3060504
	v_or_b32_e32 v6, v9, v6
	s_mov_b32 s6, 0x5040c00
	v_perm_b32 v5, v5, v5, s7
	v_perm_b32 v9, v6, v8, s6
                                        ; implicit-def: $vgpr11
                                        ; implicit-def: $vgpr6
                                        ; implicit-def: $vgpr8
                                        ; implicit-def: $vgpr10
.LBB668_85:
	s_andn2_saveexec_b64 s[6:7], s[4:5]
	s_cbranch_execz .LBB668_89
; %bb.86:
	v_add_u32_e32 v7, s37, v15
	v_add_u32_e32 v9, s39, v15
	v_mul_lo_u32 v7, v7, s36
	v_mul_lo_u32 v9, v9, s38
	s_mov_b64 s[8:9], 0
	v_sub_u32_e32 v7, v7, v9
	v_cmp_lt_u32_e32 vcc, s40, v7
	v_cmp_ge_u32_e64 s[4:5], s40, v7
	s_and_saveexec_b64 s[10:11], s[4:5]
	s_cbranch_execz .LBB668_88
; %bb.87:
	v_add_u32_e32 v7, s42, v15
	v_add_u32_e32 v9, s56, v15
	v_mul_lo_u32 v7, v7, s41
	v_mul_lo_u32 v9, v9, s43
	v_sub_u32_e32 v7, v7, v9
	v_cmp_lt_u32_e64 s[4:5], s57, v7
	s_and_b64 s[8:9], s[4:5], exec
.LBB668_88:
	s_or_b64 exec, exec, s[10:11]
	s_movk_i32 s4, 0xff
	v_lshlrev_b16_e32 v11, 8, v11
	v_and_b32_sdwa v12, v6, s4 dst_sel:DWORD dst_unused:UNUSED_PAD src0_sel:WORD_1 src1_sel:DWORD
	v_or_b32_sdwa v11, v12, v11 dst_sel:WORD_1 dst_unused:UNUSED_PAD src0_sel:DWORD src1_sel:DWORD
	v_mov_b32_e32 v12, 8
	v_cndmask_b32_e64 v7, 0, 1, vcc
	v_lshrrev_b32_sdwa v6, v12, v6 dst_sel:BYTE_1 dst_unused:UNUSED_PAD src0_sel:DWORD src1_sel:DWORD
	v_cndmask_b32_e64 v9, 0, 1, s[8:9]
	v_or_b32_e32 v6, v7, v6
	v_or_b32_sdwa v7, v6, v11 dst_sel:DWORD dst_unused:UNUSED_PAD src0_sel:WORD_0 src1_sel:DWORD
	v_lshlrev_b16_e32 v6, 8, v9
	v_or_b32_sdwa v6, v8, v6 dst_sel:DWORD dst_unused:UNUSED_PAD src0_sel:BYTE_0 src1_sel:DWORD
	v_lshlrev_b16_e32 v9, 8, v10
	v_and_b32_sdwa v8, v8, s4 dst_sel:DWORD dst_unused:UNUSED_PAD src0_sel:WORD_1 src1_sel:DWORD
	v_or_b32_sdwa v8, v8, v9 dst_sel:WORD_1 dst_unused:UNUSED_PAD src0_sel:DWORD src1_sel:DWORD
	v_or_b32_sdwa v9, v6, v8 dst_sel:DWORD dst_unused:UNUSED_PAD src0_sel:WORD_0 src1_sel:DWORD
.LBB668_89:
	s_or_b64 exec, exec, s[6:7]
	v_add_u32_e32 v6, 9, v35
	v_cmp_le_u32_e32 vcc, s16, v6
	v_lshrrev_b32_e32 v10, 24, v9
	v_lshrrev_b32_e32 v11, 24, v7
                                        ; implicit-def: $vgpr6
                                        ; implicit-def: $vgpr8
	s_and_saveexec_b64 s[4:5], vcc
	s_xor_b64 s[4:5], exec, s[4:5]
	s_cbranch_execz .LBB668_91
; %bb.90:
	s_mov_b32 s6, 0x40c0100
	v_perm_b32 v6, v10, v9, s6
	v_mov_b32_e32 v8, 8
	s_movk_i32 s6, 0xff
	v_lshrrev_b32_sdwa v9, v8, v6 dst_sel:BYTE_1 dst_unused:UNUSED_PAD src0_sel:DWORD src1_sel:DWORD
	v_lshlrev_b16_e32 v8, 8, v11
	v_and_b32_sdwa v10, v7, s6 dst_sel:DWORD dst_unused:UNUSED_PAD src0_sel:WORD_1 src1_sel:DWORD
	v_or_b32_e32 v8, v10, v8
	s_mov_b32 s6, 0x5040c00
	v_perm_b32 v8, v8, v7, s6
	s_mov_b32 s6, 0x3060504
	v_or_b32_sdwa v7, v6, v9 dst_sel:DWORD dst_unused:UNUSED_PAD src0_sel:BYTE_0 src1_sel:DWORD
	v_perm_b32 v5, v5, v5, s6
	v_and_b32_e32 v7, 0xffff, v7
	s_mov_b32 s6, 0xff000000
	v_and_or_b32 v6, v6, s6, v7
                                        ; implicit-def: $vgpr7
                                        ; implicit-def: $vgpr11
                                        ; implicit-def: $vgpr9
                                        ; implicit-def: $vgpr10
.LBB668_91:
	s_andn2_saveexec_b64 s[6:7], s[4:5]
	s_cbranch_execz .LBB668_95
; %bb.92:
	v_add_u32_e32 v6, s37, v16
	v_add_u32_e32 v8, s39, v16
	v_mul_lo_u32 v6, v6, s36
	v_mul_lo_u32 v8, v8, s38
	s_mov_b64 s[8:9], 0
	v_sub_u32_e32 v6, v6, v8
	v_cmp_lt_u32_e32 vcc, s40, v6
	v_cmp_ge_u32_e64 s[4:5], s40, v6
	s_and_saveexec_b64 s[10:11], s[4:5]
	s_cbranch_execz .LBB668_94
; %bb.93:
	v_add_u32_e32 v6, s42, v16
	v_add_u32_e32 v8, s56, v16
	v_mul_lo_u32 v6, v6, s41
	v_mul_lo_u32 v8, v8, s43
	v_sub_u32_e32 v6, v6, v8
	v_cmp_lt_u32_e64 s[4:5], s57, v6
	s_and_b64 s[8:9], s[4:5], exec
.LBB668_94:
	s_or_b64 exec, exec, s[10:11]
	v_cndmask_b32_e64 v6, 0, 1, vcc
	v_lshlrev_b16_e32 v6, 8, v6
	s_movk_i32 s4, 0xff
	v_or_b32_sdwa v6, v7, v6 dst_sel:DWORD dst_unused:UNUSED_PAD src0_sel:BYTE_0 src1_sel:DWORD
	v_lshlrev_b16_e32 v8, 8, v11
	v_and_b32_sdwa v7, v7, s4 dst_sel:DWORD dst_unused:UNUSED_PAD src0_sel:WORD_1 src1_sel:DWORD
	v_or_b32_sdwa v7, v7, v8 dst_sel:WORD_1 dst_unused:UNUSED_PAD src0_sel:DWORD src1_sel:DWORD
	v_or_b32_sdwa v8, v6, v7 dst_sel:DWORD dst_unused:UNUSED_PAD src0_sel:WORD_0 src1_sel:DWORD
	v_mov_b32_e32 v6, 8
	v_cndmask_b32_e64 v12, 0, 1, s[8:9]
	v_lshrrev_b32_sdwa v6, v6, v9 dst_sel:BYTE_1 dst_unused:UNUSED_PAD src0_sel:DWORD src1_sel:DWORD
	v_lshlrev_b16_e32 v7, 8, v10
	v_or_b32_sdwa v6, v9, v6 dst_sel:DWORD dst_unused:UNUSED_PAD src0_sel:BYTE_0 src1_sel:DWORD
	v_or_b32_sdwa v7, v12, v7 dst_sel:WORD_1 dst_unused:UNUSED_PAD src0_sel:DWORD src1_sel:DWORD
	v_or_b32_sdwa v6, v6, v7 dst_sel:DWORD dst_unused:UNUSED_PAD src0_sel:WORD_0 src1_sel:DWORD
.LBB668_95:
	s_or_b64 exec, exec, s[6:7]
	v_add_u32_e32 v7, 10, v35
	v_cmp_le_u32_e32 vcc, s16, v7
	v_lshrrev_b32_e32 v9, 24, v8
                                        ; implicit-def: $vgpr39
                                        ; implicit-def: $vgpr7
	s_and_saveexec_b64 s[4:5], vcc
	s_xor_b64 s[4:5], exec, s[4:5]
	s_cbranch_execz .LBB668_97
; %bb.96:
	s_mov_b32 s6, 0x40c0100
	v_perm_b32 v7, v9, v8, s6
	v_mov_b32_e32 v8, 8
	v_lshrrev_b32_sdwa v8, v8, v7 dst_sel:BYTE_1 dst_unused:UNUSED_PAD src0_sel:DWORD src1_sel:DWORD
	v_or_b32_sdwa v8, v7, v8 dst_sel:DWORD dst_unused:UNUSED_PAD src0_sel:BYTE_0 src1_sel:DWORD
	v_and_b32_e32 v8, 0xffff, v8
	s_mov_b32 s6, 0xff000000
	v_and_or_b32 v7, v7, s6, v8
	s_mov_b32 s6, 0x3060504
	v_and_b32_e32 v10, 0xff0000, v6
	v_perm_b32 v5, v5, v5, s6
	s_mov_b32 s6, 0x3020504
	v_perm_b32 v39, v6, v10, s6
                                        ; implicit-def: $vgpr8
                                        ; implicit-def: $vgpr9
                                        ; implicit-def: $vgpr6
.LBB668_97:
	s_andn2_saveexec_b64 s[6:7], s[4:5]
	s_cbranch_execz .LBB668_101
; %bb.98:
	v_add_u32_e32 v7, s37, v13
	v_add_u32_e32 v10, s39, v13
	v_mul_lo_u32 v7, v7, s36
	v_mul_lo_u32 v10, v10, s38
	s_mov_b64 s[8:9], 0
	v_sub_u32_e32 v7, v7, v10
	v_cmp_lt_u32_e32 vcc, s40, v7
	v_cmp_ge_u32_e64 s[4:5], s40, v7
	s_and_saveexec_b64 s[10:11], s[4:5]
	s_cbranch_execz .LBB668_100
; %bb.99:
	v_add_u32_e32 v7, s42, v13
	v_add_u32_e32 v10, s56, v13
	v_mul_lo_u32 v7, v7, s41
	v_mul_lo_u32 v10, v10, s43
	v_sub_u32_e32 v7, v7, v10
	v_cmp_lt_u32_e64 s[4:5], s57, v7
	s_and_b64 s[8:9], s[4:5], exec
.LBB668_100:
	s_or_b64 exec, exec, s[10:11]
	v_mov_b32_e32 v11, 8
	v_cndmask_b32_e64 v7, 0, 1, vcc
	v_lshrrev_b32_sdwa v12, v11, v8 dst_sel:BYTE_1 dst_unused:UNUSED_PAD src0_sel:DWORD src1_sel:DWORD
	v_lshlrev_b16_e32 v9, 8, v9
	v_or_b32_sdwa v8, v8, v12 dst_sel:DWORD dst_unused:UNUSED_PAD src0_sel:BYTE_0 src1_sel:DWORD
	v_or_b32_sdwa v7, v7, v9 dst_sel:WORD_1 dst_unused:UNUSED_PAD src0_sel:DWORD src1_sel:DWORD
	v_cndmask_b32_e64 v10, 0, 1, s[8:9]
	s_movk_i32 s4, 0xff
	v_or_b32_sdwa v7, v8, v7 dst_sel:DWORD dst_unused:UNUSED_PAD src0_sel:WORD_0 src1_sel:DWORD
	v_lshrrev_b32_sdwa v8, v11, v6 dst_sel:BYTE_1 dst_unused:UNUSED_PAD src0_sel:DWORD src1_sel:DWORD
	v_or_b32_sdwa v8, v6, v8 dst_sel:DWORD dst_unused:UNUSED_PAD src0_sel:BYTE_0 src1_sel:DWORD
	v_lshlrev_b16_e32 v9, 8, v10
	v_and_b32_sdwa v6, v6, s4 dst_sel:DWORD dst_unused:UNUSED_PAD src0_sel:WORD_1 src1_sel:DWORD
	v_or_b32_sdwa v6, v6, v9 dst_sel:WORD_1 dst_unused:UNUSED_PAD src0_sel:DWORD src1_sel:DWORD
	v_or_b32_sdwa v39, v8, v6 dst_sel:DWORD dst_unused:UNUSED_PAD src0_sel:WORD_0 src1_sel:DWORD
.LBB668_101:
	s_or_b64 exec, exec, s[6:7]
	v_add_u32_e32 v6, 11, v35
	v_mov_b32_e32 v40, 0
	v_cmp_le_u32_e32 vcc, s16, v6
                                        ; implicit-def: $vgpr41
	s_and_saveexec_b64 s[4:5], vcc
	s_xor_b64 s[4:5], exec, s[4:5]
; %bb.102:
	v_and_b32_e32 v6, 0xff0000, v7
	s_mov_b32 s6, 0x3020504
	v_perm_b32 v41, v7, v6, s6
	s_mov_b32 s6, 0x3060504
	v_perm_b32 v5, v5, v5, s6
                                        ; implicit-def: $vgpr7
; %bb.103:
	s_andn2_saveexec_b64 s[6:7], s[4:5]
	s_cbranch_execz .LBB668_107
; %bb.104:
	v_add_u32_e32 v6, s37, v14
	v_add_u32_e32 v8, s39, v14
	v_mul_lo_u32 v6, v6, s36
	v_mul_lo_u32 v8, v8, s38
	s_mov_b64 s[8:9], 0
	v_sub_u32_e32 v6, v6, v8
	v_cmp_lt_u32_e32 vcc, s40, v6
	v_cmp_ge_u32_e64 s[4:5], s40, v6
	s_and_saveexec_b64 s[10:11], s[4:5]
	s_cbranch_execz .LBB668_106
; %bb.105:
	v_add_u32_e32 v6, s42, v14
	v_add_u32_e32 v8, s56, v14
	v_mul_lo_u32 v6, v6, s41
	v_mul_lo_u32 v8, v8, s43
	v_sub_u32_e32 v6, v6, v8
	v_cmp_lt_u32_e64 s[4:5], s57, v6
	s_and_b64 s[8:9], s[4:5], exec
.LBB668_106:
	s_or_b64 exec, exec, s[10:11]
	v_mov_b32_e32 v8, 8
	v_cndmask_b32_e64 v6, 0, 1, vcc
	s_movk_i32 s4, 0xff
	v_lshrrev_b32_sdwa v8, v8, v7 dst_sel:BYTE_1 dst_unused:UNUSED_PAD src0_sel:DWORD src1_sel:DWORD
	v_or_b32_sdwa v8, v7, v8 dst_sel:DWORD dst_unused:UNUSED_PAD src0_sel:BYTE_0 src1_sel:DWORD
	v_lshlrev_b16_e32 v6, 8, v6
	v_and_b32_sdwa v7, v7, s4 dst_sel:DWORD dst_unused:UNUSED_PAD src0_sel:WORD_1 src1_sel:DWORD
	v_or_b32_sdwa v6, v7, v6 dst_sel:WORD_1 dst_unused:UNUSED_PAD src0_sel:DWORD src1_sel:DWORD
	v_cndmask_b32_e64 v40, 0, 1, s[8:9]
	v_or_b32_sdwa v41, v8, v6 dst_sel:DWORD dst_unused:UNUSED_PAD src0_sel:WORD_0 src1_sel:DWORD
.LBB668_107:
	s_or_b64 exec, exec, s[6:7]
	v_add_u32_e32 v6, 12, v35
	v_cmp_le_u32_e32 vcc, s16, v6
	v_lshrrev_b32_e32 v6, 24, v5
                                        ; implicit-def: $vgpr42
	s_and_saveexec_b64 s[4:5], vcc
	s_xor_b64 s[4:5], exec, s[4:5]
; %bb.108:
	s_movk_i32 s6, 0xff
	v_lshlrev_b16_e32 v6, 8, v6
	v_and_b32_sdwa v8, v5, s6 dst_sel:DWORD dst_unused:UNUSED_PAD src0_sel:WORD_1 src1_sel:DWORD
	v_mov_b32_e32 v7, 8
	v_or_b32_sdwa v42, v8, v6 dst_sel:WORD_1 dst_unused:UNUSED_PAD src0_sel:DWORD src1_sel:DWORD
	v_lshrrev_b32_sdwa v42, v7, v5 dst_sel:BYTE_1 dst_unused:UNUSED_PRESERVE src0_sel:DWORD src1_sel:DWORD
                                        ; implicit-def: $vgpr6
                                        ; implicit-def: $vgpr5
; %bb.109:
	s_or_saveexec_b64 s[6:7], s[4:5]
	v_mov_b32_e32 v43, 0
	s_xor_b64 exec, exec, s[6:7]
	s_cbranch_execz .LBB668_113
; %bb.110:
	v_add_u32_e32 v7, s37, v34
	v_add_u32_e32 v8, s39, v34
	v_mul_lo_u32 v7, v7, s36
	v_mul_lo_u32 v8, v8, s38
	s_mov_b64 s[8:9], 0
	v_sub_u32_e32 v7, v7, v8
	v_cmp_lt_u32_e32 vcc, s40, v7
	v_cmp_ge_u32_e64 s[4:5], s40, v7
	s_and_saveexec_b64 s[10:11], s[4:5]
	s_cbranch_execz .LBB668_112
; %bb.111:
	v_add_u32_e32 v7, s42, v34
	v_add_u32_e32 v8, s56, v34
	v_mul_lo_u32 v7, v7, s41
	v_mul_lo_u32 v8, v8, s43
	v_sub_u32_e32 v7, v7, v8
	v_cmp_lt_u32_e64 s[4:5], s57, v7
	s_and_b64 s[8:9], s[4:5], exec
.LBB668_112:
	s_or_b64 exec, exec, s[10:11]
	s_movk_i32 s4, 0xff
	v_lshlrev_b16_e32 v6, 8, v6
	v_and_b32_sdwa v8, v5, s4 dst_sel:DWORD dst_unused:UNUSED_PAD src0_sel:WORD_1 src1_sel:DWORD
	v_or_b32_sdwa v6, v8, v6 dst_sel:WORD_1 dst_unused:UNUSED_PAD src0_sel:DWORD src1_sel:DWORD
	v_mov_b32_e32 v8, 8
	v_cndmask_b32_e64 v7, 0, 1, vcc
	v_lshrrev_b32_sdwa v5, v8, v5 dst_sel:BYTE_1 dst_unused:UNUSED_PAD src0_sel:DWORD src1_sel:DWORD
	v_or_b32_e32 v5, v7, v5
	v_cndmask_b32_e64 v43, 0, 1, s[8:9]
	v_or_b32_sdwa v42, v5, v6 dst_sel:DWORD dst_unused:UNUSED_PAD src0_sel:WORD_0 src1_sel:DWORD
.LBB668_113:
	s_or_b64 exec, exec, s[6:7]
.LBB668_114:
	v_and_b32_e32 v53, 0xff, v36
	v_bfe_u32 v50, v36, 8, 8
	v_bfe_u32 v55, v36, 16, 8
	v_lshrrev_b32_e32 v48, 24, v36
	v_and_b32_e32 v56, 0xff, v38
	v_add3_u32 v8, v50, v53, v55
	v_bfe_u32 v51, v38, 8, 8
	v_bfe_u32 v58, v38, 16, 8
	v_add3_u32 v8, v8, v48, v56
	v_bfe_u32 v54, v42, 8, 8
	v_bfe_u32 v62, v42, 16, 8
	v_lshrrev_b32_e32 v49, 24, v42
	v_lshrrev_b32_e32 v46, 24, v38
	v_and_b32_e32 v59, 0xff, v41
	v_add3_u32 v8, v8, v51, v58
	v_and_b32_e32 v63, 0xff, v37
	v_bfe_u32 v57, v37, 8, 8
	v_bfe_u32 v52, v41, 8, 8
	;; [unrolled: 1-line block ×3, first 2 shown]
	v_add3_u32 v7, v62, v54, v49
	v_add3_u32 v8, v8, v46, v59
	v_bfe_u32 v64, v37, 16, 8
	v_lshrrev_b32_e32 v47, 24, v37
	v_lshrrev_b32_e32 v44, 24, v41
	v_and_b32_e32 v5, 0xff, v42
	v_add3_u32 v7, v7, v63, v57
	v_add3_u32 v8, v8, v52, v61
	v_and_b32_e32 v65, 0xff, v39
	v_bfe_u32 v60, v39, 8, 8
	v_add3_u32 v7, v7, v64, v47
	v_add3_u32 v73, v8, v44, v5
	v_mbcnt_lo_u32_b32 v5, -1, 0
	v_bfe_u32 v66, v39, 16, 8
	v_lshrrev_b32_e32 v45, 24, v39
	v_add3_u32 v7, v7, v65, v60
	v_mbcnt_hi_u32_b32 v68, -1, v5
	v_and_b32_e32 v67, 0xff, v40
	v_and_b32_e32 v6, 0xff, v43
	v_add3_u32 v7, v7, v66, v45
	v_and_b32_e32 v72, 15, v68
	s_cmp_lg_u32 s33, 0
	v_add3_u32 v74, v7, v67, v6
	v_cmp_eq_u32_e64 s[6:7], 0, v72
	v_cmp_lt_u32_e64 s[4:5], 1, v72
	v_cmp_lt_u32_e64 s[10:11], 3, v72
	;; [unrolled: 1-line block ×3, first 2 shown]
	v_and_b32_e32 v71, 16, v68
	v_cmp_lt_u32_e32 vcc, 31, v68
	v_lshrrev_b32_e32 v69, 6, v0
	v_or_b32_e32 v70, 63, v0
	s_cbranch_scc0 .LBB668_136
; %bb.115:
	v_mov_b32_dpp v5, v73 row_shr:1 row_mask:0xf bank_mask:0xf
	v_mov_b32_dpp v6, v74 row_shr:1 row_mask:0xf bank_mask:0xf
	v_add_u32_e32 v5, v5, v73
	v_add_u32_e32 v6, v6, v74
	v_cndmask_b32_e64 v6, v6, v74, s[6:7]
	v_cndmask_b32_e64 v5, v5, v73, s[6:7]
	s_nop 0
	v_mov_b32_dpp v8, v6 row_shr:2 row_mask:0xf bank_mask:0xf
	v_mov_b32_dpp v7, v5 row_shr:2 row_mask:0xf bank_mask:0xf
	v_add_u32_e32 v7, v5, v7
	v_add_u32_e32 v8, v6, v8
	v_cndmask_b32_e64 v6, v6, v8, s[4:5]
	v_cndmask_b32_e64 v5, v5, v7, s[4:5]
	s_nop 0
	;; [unrolled: 7-line block ×3, first 2 shown]
	v_mov_b32_dpp v8, v6 row_shr:8 row_mask:0xf bank_mask:0xf
	v_mov_b32_dpp v7, v5 row_shr:8 row_mask:0xf bank_mask:0xf
	v_add_u32_e32 v7, v5, v7
	v_add_u32_e32 v8, v6, v8
	v_cndmask_b32_e64 v6, v6, v8, s[8:9]
	v_cndmask_b32_e64 v7, v5, v7, s[8:9]
	v_cmp_eq_u32_e64 s[8:9], 0, v71
	v_mov_b32_dpp v8, v6 row_bcast:15 row_mask:0xf bank_mask:0xf
	v_mov_b32_dpp v5, v7 row_bcast:15 row_mask:0xf bank_mask:0xf
	v_add_u32_e32 v9, v7, v5
	v_add_u32_e32 v5, v6, v8
	v_cndmask_b32_e64 v5, v5, v6, s[8:9]
	v_cndmask_b32_e64 v6, v9, v7, s[8:9]
	v_cmp_eq_u32_e64 s[8:9], v0, v70
	v_mov_b32_dpp v7, v5 row_bcast:31 row_mask:0xf bank_mask:0xf
	v_mov_b32_dpp v8, v6 row_bcast:31 row_mask:0xf bank_mask:0xf
	v_add_u32_e32 v7, v5, v7
	v_add_u32_e32 v8, v6, v8
	s_and_saveexec_b64 s[10:11], s[8:9]
; %bb.116:
	v_lshlrev_b32_e32 v11, 3, v69
	v_cndmask_b32_e32 v10, v5, v7, vcc
	v_cndmask_b32_e32 v9, v6, v8, vcc
	ds_write_b64 v11, v[9:10]
; %bb.117:
	s_or_b64 exec, exec, s[10:11]
	v_cmp_gt_u32_e64 s[8:9], 4, v0
	s_waitcnt lgkmcnt(0)
	s_barrier
	s_and_saveexec_b64 s[10:11], s[8:9]
	s_cbranch_execz .LBB668_119
; %bb.118:
	v_lshlrev_b32_e32 v11, 3, v0
	ds_read_b64 v[9:10], v11
	v_and_b32_e32 v12, 3, v68
	v_cmp_eq_u32_e64 s[8:9], 0, v12
	s_waitcnt lgkmcnt(0)
	v_mov_b32_dpp v25, v9 row_shr:1 row_mask:0xf bank_mask:0xf
	v_mov_b32_dpp v26, v10 row_shr:1 row_mask:0xf bank_mask:0xf
	v_add_u32_e32 v25, v25, v9
	v_add_u32_e32 v26, v26, v10
	v_cndmask_b32_e64 v10, v26, v10, s[8:9]
	v_cndmask_b32_e64 v9, v25, v9, s[8:9]
	v_cmp_lt_u32_e64 s[8:9], 1, v12
	v_mov_b32_dpp v26, v10 row_shr:2 row_mask:0xf bank_mask:0xf
	v_mov_b32_dpp v25, v9 row_shr:2 row_mask:0xf bank_mask:0xf
	v_cndmask_b32_e64 v12, 0, v25, s[8:9]
	v_cndmask_b32_e64 v25, 0, v26, s[8:9]
	v_add_u32_e32 v10, v25, v10
	v_add_u32_e32 v9, v12, v9
	ds_write_b64 v11, v[9:10]
.LBB668_119:
	s_or_b64 exec, exec, s[10:11]
	v_cndmask_b32_e32 v5, v5, v7, vcc
	v_cndmask_b32_e32 v6, v6, v8, vcc
	v_cmp_gt_u32_e32 vcc, 64, v0
	v_cmp_lt_u32_e64 s[8:9], 63, v0
	s_waitcnt lgkmcnt(0)
	s_barrier
                                        ; implicit-def: $vgpr25
	s_and_saveexec_b64 s[10:11], s[8:9]
	s_cbranch_execz .LBB668_121
; %bb.120:
	v_lshl_add_u32 v7, v69, 3, -8
	ds_read_b64 v[25:26], v7
	s_waitcnt lgkmcnt(0)
	v_add_u32_e32 v5, v26, v5
	v_add_u32_e32 v6, v25, v6
.LBB668_121:
	s_or_b64 exec, exec, s[10:11]
	v_subrev_co_u32_e64 v7, s[8:9], 1, v68
	v_and_b32_e32 v8, 64, v68
	v_cmp_lt_i32_e64 s[10:11], v7, v8
	v_cndmask_b32_e64 v7, v7, v68, s[10:11]
	v_lshlrev_b32_e32 v7, 2, v7
	ds_bpermute_b32 v75, v7, v6
	ds_bpermute_b32 v76, v7, v5
	s_and_saveexec_b64 s[10:11], vcc
	s_cbranch_execz .LBB668_141
; %bb.122:
	v_mov_b32_e32 v8, 0
	ds_read_b64 v[5:6], v8 offset:24
	s_and_saveexec_b64 s[12:13], s[8:9]
	s_cbranch_execz .LBB668_124
; %bb.123:
	s_add_i32 s14, s33, 64
	s_mov_b32 s15, 0
	s_lshl_b64 s[14:15], s[14:15], 4
	s_add_u32 s14, s54, s14
	s_addc_u32 s15, s55, s15
	v_mov_b32_e32 v9, s14
	v_mov_b32_e32 v7, 1
	v_mov_b32_e32 v10, s15
	s_waitcnt lgkmcnt(0)
	;;#ASMSTART
	global_store_dwordx4 v[9:10], v[5:8] off	
s_waitcnt vmcnt(0)
	;;#ASMEND
.LBB668_124:
	s_or_b64 exec, exec, s[12:13]
	v_xad_u32 v27, v68, -1, s33
	v_add_u32_e32 v7, 64, v27
	v_lshlrev_b64 v[9:10], 4, v[7:8]
	v_mov_b32_e32 v7, s55
	v_add_co_u32_e32 v28, vcc, s54, v9
	v_addc_co_u32_e32 v29, vcc, v7, v10, vcc
	;;#ASMSTART
	global_load_dwordx4 v[9:12], v[28:29] off glc	
s_waitcnt vmcnt(0)
	;;#ASMEND
	v_cmp_eq_u16_sdwa s[14:15], v11, v8 src0_sel:BYTE_0 src1_sel:DWORD
	s_and_saveexec_b64 s[12:13], s[14:15]
	s_cbranch_execz .LBB668_128
; %bb.125:
	s_mov_b64 s[14:15], 0
	v_mov_b32_e32 v7, 0
.LBB668_126:                            ; =>This Inner Loop Header: Depth=1
	;;#ASMSTART
	global_load_dwordx4 v[9:12], v[28:29] off glc	
s_waitcnt vmcnt(0)
	;;#ASMEND
	v_cmp_ne_u16_sdwa s[18:19], v11, v7 src0_sel:BYTE_0 src1_sel:DWORD
	s_or_b64 s[14:15], s[18:19], s[14:15]
	s_andn2_b64 exec, exec, s[14:15]
	s_cbranch_execnz .LBB668_126
; %bb.127:
	s_or_b64 exec, exec, s[14:15]
.LBB668_128:
	s_or_b64 exec, exec, s[12:13]
	v_and_b32_e32 v78, 63, v68
	v_cmp_ne_u32_e32 vcc, 63, v78
	v_mov_b32_e32 v77, 2
	v_lshlrev_b64 v[29:30], v68, -1
	v_addc_co_u32_e32 v12, vcc, 0, v68, vcc
	v_cmp_eq_u16_sdwa s[12:13], v11, v77 src0_sel:BYTE_0 src1_sel:DWORD
	v_lshlrev_b32_e32 v79, 2, v12
	v_and_b32_e32 v7, s13, v30
	ds_bpermute_b32 v12, v79, v9
	ds_bpermute_b32 v28, v79, v10
	v_or_b32_e32 v7, 0x80000000, v7
	v_and_b32_e32 v8, s12, v29
	v_ffbl_b32_e32 v7, v7
	v_add_u32_e32 v7, 32, v7
	v_ffbl_b32_e32 v8, v8
	v_min_u32_e32 v7, v8, v7
	s_waitcnt lgkmcnt(1)
	v_add_u32_e32 v8, v12, v9
	s_waitcnt lgkmcnt(0)
	v_add_u32_e32 v12, v28, v10
	v_cmp_lt_u32_e32 vcc, v78, v7
	v_cndmask_b32_e32 v10, v10, v12, vcc
	v_cndmask_b32_e32 v8, v9, v8, vcc
	v_cmp_gt_u32_e32 vcc, 62, v78
	v_cndmask_b32_e64 v9, 0, 2, vcc
	v_add_lshl_u32 v80, v9, v68, 2
	ds_bpermute_b32 v9, v80, v8
	ds_bpermute_b32 v12, v80, v10
	v_add_u32_e32 v81, 2, v78
	v_cmp_gt_u32_e32 vcc, v81, v7
	v_add_u32_e32 v83, 4, v78
	s_waitcnt lgkmcnt(1)
	v_add_u32_e32 v9, v8, v9
	s_waitcnt lgkmcnt(0)
	v_add_u32_e32 v12, v10, v12
	v_cndmask_b32_e32 v10, v12, v10, vcc
	v_cndmask_b32_e32 v8, v9, v8, vcc
	v_cmp_gt_u32_e32 vcc, 60, v78
	v_cndmask_b32_e64 v9, 0, 4, vcc
	v_add_lshl_u32 v82, v9, v68, 2
	ds_bpermute_b32 v9, v82, v8
	ds_bpermute_b32 v12, v82, v10
	v_cmp_gt_u32_e32 vcc, v83, v7
	v_add_u32_e32 v85, 8, v78
	v_add_u32_e32 v87, 16, v78
	s_waitcnt lgkmcnt(1)
	v_add_u32_e32 v9, v8, v9
	s_waitcnt lgkmcnt(0)
	v_add_u32_e32 v12, v10, v12
	v_cndmask_b32_e32 v10, v12, v10, vcc
	v_cndmask_b32_e32 v8, v9, v8, vcc
	v_cmp_gt_u32_e32 vcc, 56, v78
	v_cndmask_b32_e64 v9, 0, 8, vcc
	v_add_lshl_u32 v84, v9, v68, 2
	ds_bpermute_b32 v9, v84, v8
	ds_bpermute_b32 v12, v84, v10
	v_cmp_gt_u32_e32 vcc, v85, v7
	v_add_u32_e32 v89, 32, v78
	v_mov_b32_e32 v28, 0
	s_waitcnt lgkmcnt(1)
	v_add_u32_e32 v9, v8, v9
	s_waitcnt lgkmcnt(0)
	v_add_u32_e32 v12, v10, v12
	v_cndmask_b32_e32 v10, v12, v10, vcc
	v_cndmask_b32_e32 v8, v9, v8, vcc
	v_cmp_gt_u32_e32 vcc, 48, v78
	v_cndmask_b32_e64 v9, 0, 16, vcc
	v_add_lshl_u32 v86, v9, v68, 2
	ds_bpermute_b32 v9, v86, v8
	ds_bpermute_b32 v12, v86, v10
	v_cmp_gt_u32_e32 vcc, v87, v7
	s_waitcnt lgkmcnt(1)
	v_add_u32_e32 v9, v8, v9
	s_waitcnt lgkmcnt(0)
	v_add_u32_e32 v12, v10, v12
	v_cndmask_b32_e32 v8, v9, v8, vcc
	v_mov_b32_e32 v9, 0x80
	v_cndmask_b32_e32 v10, v12, v10, vcc
	v_lshl_or_b32 v88, v68, 2, v9
	ds_bpermute_b32 v9, v88, v8
	ds_bpermute_b32 v12, v88, v10
	v_cmp_le_u32_e32 vcc, v89, v7
	s_waitcnt lgkmcnt(1)
	v_cndmask_b32_e32 v7, 0, v9, vcc
	s_waitcnt lgkmcnt(0)
	v_cndmask_b32_e32 v9, 0, v12, vcc
	v_add_u32_e32 v10, v10, v9
	v_add_u32_e32 v9, v8, v7
	s_branch .LBB668_132
.LBB668_129:                            ;   in Loop: Header=BB668_132 Depth=1
	s_or_b64 exec, exec, s[14:15]
.LBB668_130:                            ;   in Loop: Header=BB668_132 Depth=1
	s_or_b64 exec, exec, s[12:13]
	v_cmp_eq_u16_sdwa s[12:13], v11, v77 src0_sel:BYTE_0 src1_sel:DWORD
	v_and_b32_e32 v12, s13, v30
	ds_bpermute_b32 v32, v79, v9
	ds_bpermute_b32 v90, v79, v10
	v_or_b32_e32 v12, 0x80000000, v12
	v_and_b32_e32 v31, s12, v29
	v_ffbl_b32_e32 v12, v12
	v_add_u32_e32 v12, 32, v12
	v_ffbl_b32_e32 v31, v31
	v_min_u32_e32 v12, v31, v12
	s_waitcnt lgkmcnt(1)
	v_add_u32_e32 v31, v32, v9
	s_waitcnt lgkmcnt(0)
	v_add_u32_e32 v32, v90, v10
	v_cmp_lt_u32_e32 vcc, v78, v12
	v_cndmask_b32_e32 v10, v10, v32, vcc
	v_cndmask_b32_e32 v9, v9, v31, vcc
	ds_bpermute_b32 v31, v80, v9
	ds_bpermute_b32 v32, v80, v10
	v_cmp_gt_u32_e32 vcc, v81, v12
	v_subrev_u32_e32 v27, 64, v27
	s_mov_b64 s[12:13], 0
	s_waitcnt lgkmcnt(1)
	v_add_u32_e32 v31, v9, v31
	s_waitcnt lgkmcnt(0)
	v_add_u32_e32 v32, v10, v32
	v_cndmask_b32_e32 v10, v32, v10, vcc
	v_cndmask_b32_e32 v9, v31, v9, vcc
	ds_bpermute_b32 v31, v82, v9
	ds_bpermute_b32 v32, v82, v10
	v_cmp_gt_u32_e32 vcc, v83, v12
	s_waitcnt lgkmcnt(1)
	v_add_u32_e32 v31, v9, v31
	s_waitcnt lgkmcnt(0)
	v_add_u32_e32 v32, v10, v32
	v_cndmask_b32_e32 v10, v32, v10, vcc
	v_cndmask_b32_e32 v9, v31, v9, vcc
	ds_bpermute_b32 v31, v84, v9
	ds_bpermute_b32 v32, v84, v10
	v_cmp_gt_u32_e32 vcc, v85, v12
	;; [unrolled: 9-line block ×3, first 2 shown]
	s_waitcnt lgkmcnt(1)
	v_add_u32_e32 v31, v9, v31
	s_waitcnt lgkmcnt(0)
	v_add_u32_e32 v32, v10, v32
	v_cndmask_b32_e32 v10, v32, v10, vcc
	v_cndmask_b32_e32 v9, v31, v9, vcc
	ds_bpermute_b32 v31, v88, v9
	ds_bpermute_b32 v32, v88, v10
	v_cmp_le_u32_e32 vcc, v89, v12
	s_waitcnt lgkmcnt(1)
	v_cndmask_b32_e32 v12, 0, v31, vcc
	s_waitcnt lgkmcnt(0)
	v_cndmask_b32_e32 v31, 0, v32, vcc
	v_add3_u32 v10, v31, v8, v10
	v_add3_u32 v9, v12, v7, v9
.LBB668_131:                            ;   in Loop: Header=BB668_132 Depth=1
	s_and_b64 vcc, exec, s[12:13]
	s_cbranch_vccnz .LBB668_137
.LBB668_132:                            ; =>This Loop Header: Depth=1
                                        ;     Child Loop BB668_135 Depth 2
	v_mov_b32_e32 v7, v9
	v_cmp_ne_u16_sdwa s[12:13], v11, v77 src0_sel:BYTE_0 src1_sel:DWORD
	v_mov_b32_e32 v8, v10
	s_cmp_lg_u64 s[12:13], exec
	s_mov_b64 s[12:13], -1
                                        ; implicit-def: $vgpr11
                                        ; implicit-def: $vgpr9_vgpr10
	s_cbranch_scc1 .LBB668_131
; %bb.133:                              ;   in Loop: Header=BB668_132 Depth=1
	v_lshlrev_b64 v[9:10], 4, v[27:28]
	v_mov_b32_e32 v11, s55
	v_add_co_u32_e32 v31, vcc, s54, v9
	v_addc_co_u32_e32 v32, vcc, v11, v10, vcc
	;;#ASMSTART
	global_load_dwordx4 v[9:12], v[31:32] off glc	
s_waitcnt vmcnt(0)
	;;#ASMEND
	v_cmp_eq_u16_sdwa s[14:15], v11, v28 src0_sel:BYTE_0 src1_sel:DWORD
	s_and_saveexec_b64 s[12:13], s[14:15]
	s_cbranch_execz .LBB668_130
; %bb.134:                              ;   in Loop: Header=BB668_132 Depth=1
	s_mov_b64 s[14:15], 0
.LBB668_135:                            ;   Parent Loop BB668_132 Depth=1
                                        ; =>  This Inner Loop Header: Depth=2
	;;#ASMSTART
	global_load_dwordx4 v[9:12], v[31:32] off glc	
s_waitcnt vmcnt(0)
	;;#ASMEND
	v_cmp_ne_u16_sdwa s[18:19], v11, v28 src0_sel:BYTE_0 src1_sel:DWORD
	s_or_b64 s[14:15], s[18:19], s[14:15]
	s_andn2_b64 exec, exec, s[14:15]
	s_cbranch_execnz .LBB668_135
	s_branch .LBB668_129
.LBB668_136:
                                        ; implicit-def: $vgpr12
                                        ; implicit-def: $vgpr7
                                        ; implicit-def: $vgpr25
	s_cbranch_execnz .LBB668_142
	s_branch .LBB668_151
.LBB668_137:
	s_and_saveexec_b64 s[12:13], s[8:9]
	s_cbranch_execnz .LBB668_379
; %bb.138:
	s_or_b64 exec, exec, s[12:13]
	s_and_saveexec_b64 s[12:13], s[8:9]
	s_cbranch_execnz .LBB668_380
.LBB668_139:
	s_or_b64 exec, exec, s[12:13]
	s_and_b64 exec, exec, s[0:1]
.LBB668_140:
	v_mov_b32_e32 v5, 0
	ds_write_b64 v5, v[7:8] offset:24
.LBB668_141:
	s_or_b64 exec, exec, s[10:11]
	v_mov_b32_e32 v5, 0
	s_waitcnt lgkmcnt(0)
	s_barrier
	ds_read_b64 v[9:10], v5 offset:24
	v_cndmask_b32_e64 v6, v75, v25, s[8:9]
	s_waitcnt lgkmcnt(0)
	s_barrier
	v_add_u32_e32 v25, v9, v6
	ds_read_b128 v[5:8], v5 offset:13312
	v_cndmask_b32_e64 v11, v76, v26, s[8:9]
	v_add_u32_e32 v11, v10, v11
	v_cndmask_b32_e64 v12, v11, v10, s[0:1]
	v_cndmask_b32_e64 v25, v25, v9, s[0:1]
	s_branch .LBB668_151
.LBB668_142:
	s_waitcnt lgkmcnt(0)
	v_mov_b32_dpp v5, v73 row_shr:1 row_mask:0xf bank_mask:0xf
	v_mov_b32_dpp v6, v74 row_shr:1 row_mask:0xf bank_mask:0xf
	v_add_u32_e32 v5, v5, v73
	v_add_u32_e32 v6, v6, v74
	v_cndmask_b32_e64 v6, v6, v74, s[6:7]
	v_cndmask_b32_e64 v5, v5, v73, s[6:7]
	v_cmp_lt_u32_e32 vcc, 3, v72
	v_mov_b32_dpp v8, v6 row_shr:2 row_mask:0xf bank_mask:0xf
	v_mov_b32_dpp v7, v5 row_shr:2 row_mask:0xf bank_mask:0xf
	v_add_u32_e32 v7, v5, v7
	v_add_u32_e32 v8, v6, v8
	v_cndmask_b32_e64 v6, v6, v8, s[4:5]
	v_cndmask_b32_e64 v5, v5, v7, s[4:5]
	v_cmp_eq_u32_e64 s[4:5], v0, v70
	v_mov_b32_dpp v8, v6 row_shr:4 row_mask:0xf bank_mask:0xf
	v_mov_b32_dpp v7, v5 row_shr:4 row_mask:0xf bank_mask:0xf
	v_add_u32_e32 v7, v5, v7
	v_add_u32_e32 v8, v6, v8
	v_cndmask_b32_e32 v6, v6, v8, vcc
	v_cndmask_b32_e32 v5, v5, v7, vcc
	v_cmp_lt_u32_e32 vcc, 7, v72
	v_mov_b32_dpp v8, v6 row_shr:8 row_mask:0xf bank_mask:0xf
	v_mov_b32_dpp v7, v5 row_shr:8 row_mask:0xf bank_mask:0xf
	v_add_u32_e32 v7, v5, v7
	v_add_u32_e32 v8, v6, v8
	v_cndmask_b32_e32 v6, v6, v8, vcc
	v_cndmask_b32_e32 v7, v5, v7, vcc
	v_cmp_eq_u32_e32 vcc, 0, v71
	v_mov_b32_dpp v8, v6 row_bcast:15 row_mask:0xf bank_mask:0xf
	v_mov_b32_dpp v5, v7 row_bcast:15 row_mask:0xf bank_mask:0xf
	v_add_u32_e32 v9, v7, v5
	v_add_u32_e32 v5, v6, v8
	v_cndmask_b32_e32 v5, v5, v6, vcc
	v_cndmask_b32_e32 v6, v9, v7, vcc
	v_cmp_lt_u32_e32 vcc, 31, v68
	v_mov_b32_dpp v7, v5 row_bcast:31 row_mask:0xf bank_mask:0xf
	v_mov_b32_dpp v8, v6 row_bcast:31 row_mask:0xf bank_mask:0xf
	v_add_u32_e32 v7, v5, v7
	v_add_u32_e32 v8, v6, v8
	s_and_saveexec_b64 s[6:7], s[4:5]
; %bb.143:
	v_cndmask_b32_e32 v9, v6, v8, vcc
	v_cndmask_b32_e32 v10, v5, v7, vcc
	v_lshlrev_b32_e32 v11, 3, v69
	ds_write_b64 v11, v[9:10]
; %bb.144:
	s_or_b64 exec, exec, s[6:7]
	v_cmp_gt_u32_e64 s[4:5], 4, v0
	s_waitcnt lgkmcnt(0)
	s_barrier
	s_and_saveexec_b64 s[6:7], s[4:5]
	s_cbranch_execz .LBB668_146
; %bb.145:
	v_lshlrev_b32_e32 v11, 3, v0
	ds_read_b64 v[9:10], v11
	v_and_b32_e32 v12, 3, v68
	v_cmp_eq_u32_e64 s[4:5], 0, v12
	s_waitcnt lgkmcnt(0)
	v_mov_b32_dpp v25, v9 row_shr:1 row_mask:0xf bank_mask:0xf
	v_mov_b32_dpp v26, v10 row_shr:1 row_mask:0xf bank_mask:0xf
	v_add_u32_e32 v25, v25, v9
	v_add_u32_e32 v26, v26, v10
	v_cndmask_b32_e64 v10, v26, v10, s[4:5]
	v_cndmask_b32_e64 v9, v25, v9, s[4:5]
	v_cmp_lt_u32_e64 s[4:5], 1, v12
	v_mov_b32_dpp v26, v10 row_shr:2 row_mask:0xf bank_mask:0xf
	v_mov_b32_dpp v25, v9 row_shr:2 row_mask:0xf bank_mask:0xf
	v_cndmask_b32_e64 v12, 0, v25, s[4:5]
	v_cndmask_b32_e64 v25, 0, v26, s[4:5]
	v_add_u32_e32 v10, v25, v10
	v_add_u32_e32 v9, v12, v9
	ds_write_b64 v11, v[9:10]
.LBB668_146:
	s_or_b64 exec, exec, s[6:7]
	v_cmp_lt_u32_e64 s[4:5], 63, v0
	v_mov_b32_e32 v11, 0
	v_mov_b32_e32 v9, 0
	v_mov_b32_e32 v10, 0
	s_waitcnt lgkmcnt(0)
	s_barrier
	s_and_saveexec_b64 s[6:7], s[4:5]
; %bb.147:
	v_lshl_add_u32 v9, v69, 3, -8
	ds_read_b64 v[9:10], v9
; %bb.148:
	s_or_b64 exec, exec, s[6:7]
	v_cndmask_b32_e32 v6, v6, v8, vcc
	v_cndmask_b32_e32 v5, v5, v7, vcc
	v_subrev_co_u32_e32 v7, vcc, 1, v68
	v_and_b32_e32 v8, 64, v68
	v_cmp_lt_i32_e64 s[4:5], v7, v8
	v_cndmask_b32_e64 v7, v7, v68, s[4:5]
	s_waitcnt lgkmcnt(0)
	v_add_u32_e32 v5, v10, v5
	v_add_u32_e32 v6, v9, v6
	v_lshlrev_b32_e32 v7, 2, v7
	ds_bpermute_b32 v12, v7, v6
	ds_bpermute_b32 v25, v7, v5
	ds_read_b64 v[5:6], v11 offset:24
	s_and_saveexec_b64 s[4:5], s[0:1]
	s_cbranch_execz .LBB668_150
; %bb.149:
	s_add_u32 s6, s54, 0x400
	s_addc_u32 s7, s55, 0
	v_mov_b32_e32 v27, s7
	v_mov_b32_e32 v7, 2
	;; [unrolled: 1-line block ×4, first 2 shown]
	s_waitcnt lgkmcnt(0)
	;;#ASMSTART
	global_store_dwordx4 v[26:27], v[5:8] off	
s_waitcnt vmcnt(0)
	;;#ASMEND
.LBB668_150:
	s_or_b64 exec, exec, s[4:5]
	s_waitcnt lgkmcnt(2)
	v_cndmask_b32_e32 v7, v12, v9, vcc
	s_waitcnt lgkmcnt(1)
	v_cndmask_b32_e32 v8, v25, v10, vcc
	v_cndmask_b32_e64 v12, v8, 0, s[0:1]
	v_cndmask_b32_e64 v25, v7, 0, s[0:1]
	v_mov_b32_e32 v8, 0
	v_mov_b32_e32 v7, 0
	s_waitcnt lgkmcnt(0)
	s_barrier
.LBB668_151:
	s_waitcnt lgkmcnt(0)
	v_add_co_u32_e32 v1, vcc, v1, v7
	v_addc_co_u32_e32 v2, vcc, 0, v2, vcc
	v_sub_co_u32_e32 v29, vcc, v3, v5
	v_add_u32_e32 v32, v12, v54
	v_subbrev_co_u32_e32 v30, vcc, 0, v4, vcc
	v_lshlrev_b32_e32 v72, 1, v5
	v_sub_u32_e32 v12, v12, v8
	v_lshrrev_b32_e32 v28, 8, v42
	v_add_u32_e32 v31, v25, v53
	v_add_co_u32_e32 v29, vcc, v29, v8
	v_add_u32_e32 v73, v72, v6
	v_sub_u32_e32 v25, v25, v7
	v_add_u32_e32 v12, v12, v5
	v_addc_co_u32_e32 v30, vcc, 0, v30, vcc
	v_add_u32_e32 v35, v73, v35
	v_and_b32_e32 v28, 1, v28
	v_add_u32_e32 v74, v25, v12
	v_and_b32_e32 v73, 1, v36
	v_sub_u32_e32 v74, v35, v74
	v_cmp_eq_u32_e32 vcc, 1, v28
	v_cndmask_b32_e32 v12, v74, v12, vcc
	v_cmp_eq_u32_e32 vcc, 1, v73
	v_cndmask_b32_e32 v12, v12, v25, vcc
	v_lshlrev_b32_e32 v12, 2, v12
	v_sub_u32_e32 v25, v32, v8
	v_lshrrev_b32_e32 v27, 8, v36
	ds_write_b32 v12, v23
	v_sub_u32_e32 v12, v31, v7
	v_add_u32_e32 v25, v25, v5
	v_add_u32_e32 v50, v31, v50
	v_and_b32_e32 v23, 1, v27
	v_mov_b32_e32 v27, 1
	v_add_u32_e32 v31, v25, v12
	v_and_b32_sdwa v28, v27, v42 dst_sel:DWORD dst_unused:UNUSED_PAD src0_sel:DWORD src1_sel:WORD_1
	v_sub_u32_e32 v31, v35, v31
	v_add_u32_e32 v31, 1, v31
	v_cmp_eq_u32_e32 vcc, 1, v28
	v_cndmask_b32_e32 v25, v31, v25, vcc
	v_cmp_eq_u32_e32 vcc, 1, v23
	v_cndmask_b32_e32 v12, v25, v12, vcc
	v_add_u32_e32 v53, v32, v62
	v_lshlrev_b32_e32 v12, 2, v12
	ds_write_b32 v12, v24
	v_sub_u32_e32 v24, v53, v8
	v_sub_u32_e32 v12, v50, v7
	v_add_u32_e32 v24, v24, v5
	v_add_u32_e32 v28, v24, v12
	v_and_b32_e32 v25, 1, v49
	v_sub_u32_e32 v28, v35, v28
	v_and_b32_sdwa v23, v27, v36 dst_sel:DWORD dst_unused:UNUSED_PAD src0_sel:DWORD src1_sel:WORD_1
	v_add_u32_e32 v28, 2, v28
	v_cmp_eq_u32_e32 vcc, 1, v25
	v_cndmask_b32_e32 v24, v28, v24, vcc
	v_cmp_eq_u32_e32 vcc, 1, v23
	v_add_u32_e32 v54, v50, v55
	v_add_u32_e32 v55, v53, v49
	v_cndmask_b32_e32 v12, v24, v12, vcc
	v_lshlrev_b32_e32 v12, 2, v12
	v_sub_u32_e32 v23, v55, v8
	ds_write_b32 v12, v21
	v_sub_u32_e32 v12, v54, v7
	v_add_u32_e32 v23, v23, v5
	v_add_u32_e32 v25, v12, v23
	v_and_b32_e32 v24, 1, v37
	v_sub_u32_e32 v25, v35, v25
	v_and_b32_e32 v21, 1, v48
	v_add_u32_e32 v25, 3, v25
	v_cmp_eq_u32_e32 vcc, 1, v24
	v_cndmask_b32_e32 v23, v25, v23, vcc
	v_cmp_eq_u32_e32 vcc, 1, v21
	v_cndmask_b32_e32 v12, v23, v12, vcc
	v_add_u32_e32 v62, v55, v63
	v_lshlrev_b32_e32 v12, 2, v12
	v_add_u32_e32 v63, v54, v48
	ds_write_b32 v12, v22
	v_sub_u32_e32 v22, v62, v8
	v_sub_u32_e32 v12, v63, v7
	v_add_u32_e32 v22, v22, v5
	v_lshrrev_b32_e32 v26, 8, v37
	v_add_u32_e32 v24, v12, v22
	v_and_b32_e32 v23, 1, v26
	v_sub_u32_e32 v24, v35, v24
	v_and_b32_e32 v21, 1, v38
	v_add_u32_e32 v24, 4, v24
	v_cmp_eq_u32_e32 vcc, 1, v23
	v_cndmask_b32_e32 v22, v24, v22, vcc
	v_cmp_eq_u32_e32 vcc, 1, v21
	v_cndmask_b32_e32 v12, v22, v12, vcc
	v_add_u32_e32 v57, v62, v57
	v_lshlrev_b32_e32 v12, 2, v12
	v_add_u32_e32 v56, v63, v56
	ds_write_b32 v12, v19
	v_sub_u32_e32 v19, v57, v8
	v_sub_u32_e32 v12, v56, v7
	v_add_u32_e32 v19, v19, v5
	v_add_u32_e32 v22, v12, v19
	v_lshrrev_b32_e32 v11, 8, v38
	v_and_b32_sdwa v21, v27, v37 dst_sel:DWORD dst_unused:UNUSED_PAD src0_sel:DWORD src1_sel:WORD_1
	v_sub_u32_e32 v22, v35, v22
	v_and_b32_e32 v11, 1, v11
	v_add_u32_e32 v22, 5, v22
	v_cmp_eq_u32_e32 vcc, 1, v21
	v_cndmask_b32_e32 v19, v22, v19, vcc
	v_cmp_eq_u32_e32 vcc, 1, v11
	v_add_u32_e32 v64, v57, v64
	v_cndmask_b32_e32 v11, v19, v12, vcc
	v_add_u32_e32 v51, v56, v51
	v_lshlrev_b32_e32 v11, 2, v11
	v_sub_u32_e32 v19, v64, v8
	ds_write_b32 v11, v20
	v_sub_u32_e32 v11, v51, v7
	v_add_u32_e32 v19, v19, v5
	v_add_u32_e32 v21, v11, v19
	v_and_b32_e32 v20, 1, v47
	v_sub_u32_e32 v21, v35, v21
	v_and_b32_sdwa v12, v27, v38 dst_sel:DWORD dst_unused:UNUSED_PAD src0_sel:DWORD src1_sel:WORD_1
	v_add_u32_e32 v21, 6, v21
	v_cmp_eq_u32_e32 vcc, 1, v20
	v_cndmask_b32_e32 v19, v21, v19, vcc
	v_cmp_eq_u32_e32 vcc, 1, v12
	v_cndmask_b32_e32 v11, v19, v11, vcc
	v_add_u32_e32 v68, v64, v47
	v_lshlrev_b32_e32 v11, 2, v11
	v_add_u32_e32 v58, v51, v58
	ds_write_b32 v11, v17
	v_sub_u32_e32 v17, v68, v8
	v_sub_u32_e32 v11, v58, v7
	v_add_u32_e32 v17, v17, v5
	v_add_u32_e32 v20, v11, v17
	v_and_b32_e32 v19, 1, v39
	v_sub_u32_e32 v20, v35, v20
	v_and_b32_e32 v12, 1, v46
	v_add_u32_e32 v20, 7, v20
	v_cmp_eq_u32_e32 vcc, 1, v19
	v_cndmask_b32_e32 v17, v20, v17, vcc
	v_cmp_eq_u32_e32 vcc, 1, v12
	v_add_u32_e32 v65, v68, v65
	v_cndmask_b32_e32 v11, v17, v11, vcc
	v_add_u32_e32 v69, v58, v46
	v_lshlrev_b32_e32 v11, 2, v11
	v_sub_u32_e32 v17, v65, v8
	ds_write_b32 v11, v18
	v_sub_u32_e32 v11, v69, v7
	v_add_u32_e32 v17, v17, v5
	v_lshrrev_b32_e32 v10, 8, v39
	v_add_u32_e32 v18, v11, v17
	v_and_b32_e32 v10, 1, v10
	v_sub_u32_e32 v18, v35, v18
	v_and_b32_e32 v12, 1, v41
	v_add_u32_e32 v18, 8, v18
	v_cmp_eq_u32_e32 vcc, 1, v10
	v_cndmask_b32_e32 v10, v18, v17, vcc
	v_cmp_eq_u32_e32 vcc, 1, v12
	v_add_u32_e32 v60, v65, v60
	v_cndmask_b32_e32 v10, v10, v11, vcc
	v_add_u32_e32 v59, v69, v59
	v_lshlrev_b32_e32 v10, 2, v10
	v_sub_u32_e32 v11, v60, v8
	ds_write_b32 v10, v15
	v_sub_u32_e32 v10, v59, v7
	v_add_u32_e32 v11, v11, v5
	v_add_u32_e32 v15, v10, v11
	v_lshrrev_b32_e32 v9, 8, v41
	v_and_b32_sdwa v12, v27, v39 dst_sel:DWORD dst_unused:UNUSED_PAD src0_sel:DWORD src1_sel:WORD_1
	v_sub_u32_e32 v15, v35, v15
	v_and_b32_e32 v9, 1, v9
	v_add_u32_e32 v15, 9, v15
	v_cmp_eq_u32_e32 vcc, 1, v12
	v_cndmask_b32_e32 v11, v15, v11, vcc
	v_cmp_eq_u32_e32 vcc, 1, v9
	v_add_u32_e32 v66, v60, v66
	v_cndmask_b32_e32 v9, v11, v10, vcc
	v_add_u32_e32 v52, v59, v52
	v_lshlrev_b32_e32 v9, 2, v9
	v_sub_u32_e32 v11, v66, v8
	ds_write_b32 v9, v16
	v_sub_u32_e32 v9, v52, v7
	v_add_u32_e32 v11, v11, v5
	v_add_u32_e32 v15, v9, v11
	v_and_b32_e32 v12, 1, v45
	v_sub_u32_e32 v15, v35, v15
	v_and_b32_sdwa v10, v27, v41 dst_sel:DWORD dst_unused:UNUSED_PAD src0_sel:DWORD src1_sel:WORD_1
	v_add_u32_e32 v15, 10, v15
	v_cmp_eq_u32_e32 vcc, 1, v12
	v_cndmask_b32_e32 v11, v15, v11, vcc
	v_cmp_eq_u32_e32 vcc, 1, v10
	v_add_u32_e32 v70, v66, v45
	v_cndmask_b32_e32 v9, v11, v9, vcc
	v_add_u32_e32 v61, v52, v61
	v_lshlrev_b32_e32 v9, 2, v9
	v_sub_u32_e32 v11, v70, v8
	ds_write_b32 v9, v13
	v_sub_u32_e32 v9, v61, v7
	v_add_u32_e32 v11, v11, v5
	v_add_u32_e32 v13, v9, v11
	v_and_b32_e32 v12, 1, v40
	v_sub_u32_e32 v13, v35, v13
	v_add_u32_e32 v67, v70, v67
	v_and_b32_e32 v10, 1, v44
	v_add_u32_e32 v13, 11, v13
	v_cmp_eq_u32_e32 vcc, 1, v12
	v_add_u32_e32 v71, v61, v44
	v_cndmask_b32_e32 v11, v13, v11, vcc
	v_cmp_eq_u32_e32 vcc, 1, v10
	v_sub_u32_e32 v10, v67, v8
	v_sub_u32_e32 v7, v71, v7
	v_add_u32_e32 v10, v10, v5
	v_cndmask_b32_e32 v9, v11, v9, vcc
	v_add_u32_e32 v12, v7, v10
	v_lshlrev_b32_e32 v9, 2, v9
	v_and_b32_e32 v11, 1, v43
	v_sub_u32_e32 v12, v35, v12
	ds_write_b32 v9, v14
	v_and_b32_e32 v9, 1, v42
	v_add_u32_e32 v12, 12, v12
	v_cmp_eq_u32_e32 vcc, 1, v11
	v_cndmask_b32_e32 v10, v12, v10, vcc
	v_cmp_eq_u32_e32 vcc, 1, v9
	v_cndmask_b32_e32 v7, v10, v7, vcc
	v_lshlrev_b32_e32 v7, 2, v7
	ds_write_b32 v7, v34
	v_mov_b32_e32 v7, s53
	v_add_co_u32_e32 v9, vcc, s52, v33
	v_addc_co_u32_e32 v10, vcc, 0, v7, vcc
	v_add_co_u32_e32 v7, vcc, v6, v72
	v_addc_co_u32_e64 v11, s[4:5], 0, 0, vcc
	v_add_co_u32_e32 v7, vcc, v7, v29
	v_addc_co_u32_e32 v11, vcc, v11, v30, vcc
	v_add_co_u32_e32 v7, vcc, v7, v1
	v_addc_co_u32_e32 v11, vcc, v11, v2, vcc
	v_sub_co_u32_e32 v7, vcc, v9, v7
	v_subb_co_u32_e32 v13, vcc, v10, v11, vcc
	v_lshlrev_b64 v[9:10], 2, v[29:30]
	v_mov_b32_e32 v11, s51
	v_add_co_u32_e32 v9, vcc, s50, v9
	v_addc_co_u32_e32 v10, vcc, v11, v10, vcc
	v_lshlrev_b64 v[11:12], 2, v[1:2]
	v_mov_b32_e32 v15, s49
	v_add_co_u32_e32 v11, vcc, s48, v11
	v_addc_co_u32_e32 v12, vcc, v15, v12, vcc
	v_add_u32_e32 v14, v5, v6
	s_and_b64 vcc, exec, s[2:3]
	s_mov_b64 s[2:3], -1
	s_waitcnt lgkmcnt(0)
	s_barrier
	s_cbranch_vccz .LBB668_155
; %bb.152:
	s_and_b64 vcc, exec, s[2:3]
	s_cbranch_vccnz .LBB668_260
.LBB668_153:
	s_and_b64 s[0:1], s[0:1], s[34:35]
	s_and_saveexec_b64 s[2:3], s[0:1]
	s_cbranch_execnz .LBB668_378
.LBB668_154:
	s_endpgm
.LBB668_155:
	v_cmp_ge_u32_e32 vcc, v0, v5
	s_and_saveexec_b64 s[2:3], vcc
	s_xor_b64 s[2:3], exec, s[2:3]
	s_cbranch_execz .LBB668_161
; %bb.156:
	v_cmp_ge_u32_e32 vcc, v0, v14
	s_and_saveexec_b64 s[4:5], vcc
	s_xor_b64 s[4:5], exec, s[4:5]
	s_cbranch_execz .LBB668_158
; %bb.157:
	v_add_co_u32_e32 v15, vcc, v7, v0
	v_lshlrev_b32_e32 v17, 2, v0
	v_addc_co_u32_e32 v16, vcc, 0, v13, vcc
	ds_read_b32 v17, v17
	v_lshlrev_b64 v[15:16], 2, v[15:16]
	v_mov_b32_e32 v18, s31
	v_sub_co_u32_e32 v15, vcc, s30, v15
	v_subb_co_u32_e32 v16, vcc, v18, v16, vcc
	s_waitcnt lgkmcnt(0)
	global_store_dword v[15:16], v17, off offset:-4
.LBB668_158:
	s_andn2_saveexec_b64 s[4:5], s[4:5]
	s_cbranch_execz .LBB668_160
; %bb.159:
	v_lshlrev_b32_e32 v15, 2, v0
	ds_read_b32 v16, v15
	v_readfirstlane_b32 s6, v9
	v_readfirstlane_b32 s7, v10
	s_waitcnt lgkmcnt(0)
	s_nop 3
	global_store_dword v15, v16, s[6:7]
.LBB668_160:
	s_or_b64 exec, exec, s[4:5]
.LBB668_161:
	s_andn2_saveexec_b64 s[2:3], s[2:3]
	s_cbranch_execz .LBB668_163
; %bb.162:
	v_lshlrev_b32_e32 v15, 2, v0
	ds_read_b32 v16, v15
	v_readfirstlane_b32 s4, v11
	v_readfirstlane_b32 s5, v12
	s_waitcnt lgkmcnt(0)
	s_nop 3
	global_store_dword v15, v16, s[4:5]
.LBB668_163:
	s_or_b64 exec, exec, s[2:3]
	v_or_b32_e32 v15, 0x100, v0
	v_cmp_ge_u32_e32 vcc, v15, v5
	s_and_saveexec_b64 s[2:3], vcc
	s_xor_b64 s[2:3], exec, s[2:3]
	s_cbranch_execz .LBB668_169
; %bb.164:
	v_cmp_ge_u32_e32 vcc, v15, v14
	s_and_saveexec_b64 s[4:5], vcc
	s_xor_b64 s[4:5], exec, s[4:5]
	s_cbranch_execz .LBB668_166
; %bb.165:
	v_lshlrev_b32_e32 v15, 2, v0
	ds_read_b32 v17, v15 offset:1024
	v_add_co_u32_e32 v15, vcc, v7, v0
	v_addc_co_u32_e32 v16, vcc, 0, v13, vcc
	v_lshlrev_b64 v[15:16], 2, v[15:16]
	v_mov_b32_e32 v18, s31
	v_sub_co_u32_e32 v15, vcc, s30, v15
	v_subb_co_u32_e32 v16, vcc, v18, v16, vcc
	s_waitcnt lgkmcnt(0)
	global_store_dword v[15:16], v17, off offset:-1028
.LBB668_166:
	s_andn2_saveexec_b64 s[4:5], s[4:5]
	s_cbranch_execz .LBB668_168
; %bb.167:
	v_lshlrev_b32_e32 v15, 2, v0
	ds_read_b32 v16, v15 offset:1024
	v_readfirstlane_b32 s6, v9
	v_readfirstlane_b32 s7, v10
	s_waitcnt lgkmcnt(0)
	s_nop 3
	global_store_dword v15, v16, s[6:7] offset:1024
.LBB668_168:
	s_or_b64 exec, exec, s[4:5]
.LBB668_169:
	s_andn2_saveexec_b64 s[2:3], s[2:3]
	s_cbranch_execz .LBB668_171
; %bb.170:
	v_lshlrev_b32_e32 v15, 2, v0
	ds_read_b32 v16, v15 offset:1024
	v_readfirstlane_b32 s4, v11
	v_readfirstlane_b32 s5, v12
	s_waitcnt lgkmcnt(0)
	s_nop 3
	global_store_dword v15, v16, s[4:5] offset:1024
.LBB668_171:
	s_or_b64 exec, exec, s[2:3]
	v_or_b32_e32 v15, 0x200, v0
	v_cmp_ge_u32_e32 vcc, v15, v5
	s_and_saveexec_b64 s[2:3], vcc
	s_xor_b64 s[2:3], exec, s[2:3]
	s_cbranch_execz .LBB668_177
; %bb.172:
	v_cmp_ge_u32_e32 vcc, v15, v14
	s_and_saveexec_b64 s[4:5], vcc
	s_xor_b64 s[4:5], exec, s[4:5]
	s_cbranch_execz .LBB668_174
; %bb.173:
	v_lshlrev_b32_e32 v15, 2, v0
	ds_read_b32 v17, v15 offset:2048
	v_add_co_u32_e32 v15, vcc, v7, v0
	v_addc_co_u32_e32 v16, vcc, 0, v13, vcc
	v_lshlrev_b64 v[15:16], 2, v[15:16]
	v_mov_b32_e32 v18, s31
	v_sub_co_u32_e32 v15, vcc, s30, v15
	v_subb_co_u32_e32 v16, vcc, v18, v16, vcc
	s_waitcnt lgkmcnt(0)
	global_store_dword v[15:16], v17, off offset:-2052
.LBB668_174:
	s_andn2_saveexec_b64 s[4:5], s[4:5]
	s_cbranch_execz .LBB668_176
; %bb.175:
	v_lshlrev_b32_e32 v15, 2, v0
	ds_read_b32 v16, v15 offset:2048
	v_readfirstlane_b32 s6, v9
	v_readfirstlane_b32 s7, v10
	s_waitcnt lgkmcnt(0)
	s_nop 3
	global_store_dword v15, v16, s[6:7] offset:2048
.LBB668_176:
	s_or_b64 exec, exec, s[4:5]
.LBB668_177:
	s_andn2_saveexec_b64 s[2:3], s[2:3]
	s_cbranch_execz .LBB668_179
; %bb.178:
	v_lshlrev_b32_e32 v15, 2, v0
	ds_read_b32 v16, v15 offset:2048
	v_readfirstlane_b32 s4, v11
	v_readfirstlane_b32 s5, v12
	s_waitcnt lgkmcnt(0)
	s_nop 3
	global_store_dword v15, v16, s[4:5] offset:2048
.LBB668_179:
	;; [unrolled: 47-line block ×3, first 2 shown]
	s_or_b64 exec, exec, s[2:3]
	v_or_b32_e32 v15, 0x400, v0
	v_cmp_ge_u32_e32 vcc, v15, v5
	s_and_saveexec_b64 s[2:3], vcc
	s_xor_b64 s[2:3], exec, s[2:3]
	s_cbranch_execz .LBB668_193
; %bb.188:
	v_cmp_ge_u32_e32 vcc, v15, v14
	s_and_saveexec_b64 s[4:5], vcc
	s_xor_b64 s[4:5], exec, s[4:5]
	s_cbranch_execz .LBB668_190
; %bb.189:
	v_lshlrev_b32_e32 v15, 2, v0
	ds_read_b32 v17, v15 offset:4096
	v_add_co_u32_e32 v15, vcc, v7, v0
	v_addc_co_u32_e32 v16, vcc, 0, v13, vcc
	v_lshlrev_b64 v[15:16], 2, v[15:16]
	v_mov_b32_e32 v18, s31
	v_sub_co_u32_e32 v15, vcc, s30, v15
	v_subb_co_u32_e32 v16, vcc, v18, v16, vcc
	v_add_co_u32_e32 v15, vcc, 0xfffff000, v15
	v_addc_co_u32_e32 v16, vcc, -1, v16, vcc
	s_waitcnt lgkmcnt(0)
	global_store_dword v[15:16], v17, off offset:-4
                                        ; implicit-def: $vgpr15
.LBB668_190:
	s_andn2_saveexec_b64 s[4:5], s[4:5]
	s_cbranch_execz .LBB668_192
; %bb.191:
	v_lshlrev_b32_e32 v16, 2, v0
	ds_read_b32 v16, v16 offset:4096
	v_lshlrev_b32_e32 v15, 2, v15
	v_readfirstlane_b32 s6, v9
	v_readfirstlane_b32 s7, v10
	s_waitcnt lgkmcnt(0)
	s_nop 3
	global_store_dword v15, v16, s[6:7]
.LBB668_192:
	s_or_b64 exec, exec, s[4:5]
                                        ; implicit-def: $vgpr15
.LBB668_193:
	s_andn2_saveexec_b64 s[2:3], s[2:3]
	s_cbranch_execz .LBB668_195
; %bb.194:
	v_lshlrev_b32_e32 v16, 2, v0
	ds_read_b32 v16, v16 offset:4096
	v_lshlrev_b32_e32 v15, 2, v15
	v_readfirstlane_b32 s4, v11
	v_readfirstlane_b32 s5, v12
	s_waitcnt lgkmcnt(0)
	s_nop 3
	global_store_dword v15, v16, s[4:5]
.LBB668_195:
	s_or_b64 exec, exec, s[2:3]
	v_or_b32_e32 v15, 0x500, v0
	v_cmp_ge_u32_e32 vcc, v15, v5
	s_and_saveexec_b64 s[2:3], vcc
	s_xor_b64 s[2:3], exec, s[2:3]
	s_cbranch_execz .LBB668_201
; %bb.196:
	v_cmp_ge_u32_e32 vcc, v15, v14
	s_and_saveexec_b64 s[4:5], vcc
	s_xor_b64 s[4:5], exec, s[4:5]
	s_cbranch_execz .LBB668_198
; %bb.197:
	v_add_co_u32_e32 v15, vcc, v7, v15
	v_lshlrev_b32_e32 v17, 2, v0
	v_addc_co_u32_e32 v16, vcc, 0, v13, vcc
	ds_read_b32 v17, v17 offset:5120
	v_lshlrev_b64 v[15:16], 2, v[15:16]
	v_mov_b32_e32 v18, s31
	v_sub_co_u32_e32 v15, vcc, s30, v15
	v_subb_co_u32_e32 v16, vcc, v18, v16, vcc
	s_waitcnt lgkmcnt(0)
	global_store_dword v[15:16], v17, off offset:-4
                                        ; implicit-def: $vgpr15
.LBB668_198:
	s_andn2_saveexec_b64 s[4:5], s[4:5]
	s_cbranch_execz .LBB668_200
; %bb.199:
	v_lshlrev_b32_e32 v16, 2, v0
	ds_read_b32 v16, v16 offset:5120
	v_lshlrev_b32_e32 v15, 2, v15
	v_readfirstlane_b32 s6, v9
	v_readfirstlane_b32 s7, v10
	s_waitcnt lgkmcnt(0)
	s_nop 3
	global_store_dword v15, v16, s[6:7]
.LBB668_200:
	s_or_b64 exec, exec, s[4:5]
                                        ; implicit-def: $vgpr15
.LBB668_201:
	s_andn2_saveexec_b64 s[2:3], s[2:3]
	s_cbranch_execz .LBB668_203
; %bb.202:
	v_lshlrev_b32_e32 v16, 2, v0
	ds_read_b32 v16, v16 offset:5120
	v_lshlrev_b32_e32 v15, 2, v15
	v_readfirstlane_b32 s4, v11
	v_readfirstlane_b32 s5, v12
	s_waitcnt lgkmcnt(0)
	s_nop 3
	global_store_dword v15, v16, s[4:5]
.LBB668_203:
	s_or_b64 exec, exec, s[2:3]
	v_or_b32_e32 v15, 0x600, v0
	v_cmp_ge_u32_e32 vcc, v15, v5
	s_and_saveexec_b64 s[2:3], vcc
	s_xor_b64 s[2:3], exec, s[2:3]
	s_cbranch_execz .LBB668_209
; %bb.204:
	v_cmp_ge_u32_e32 vcc, v15, v14
	s_and_saveexec_b64 s[4:5], vcc
	s_xor_b64 s[4:5], exec, s[4:5]
	s_cbranch_execz .LBB668_206
; %bb.205:
	v_add_co_u32_e32 v15, vcc, v7, v15
	v_lshlrev_b32_e32 v17, 2, v0
	v_addc_co_u32_e32 v16, vcc, 0, v13, vcc
	ds_read_b32 v17, v17 offset:6144
	v_lshlrev_b64 v[15:16], 2, v[15:16]
	v_mov_b32_e32 v18, s31
	v_sub_co_u32_e32 v15, vcc, s30, v15
	v_subb_co_u32_e32 v16, vcc, v18, v16, vcc
	s_waitcnt lgkmcnt(0)
	global_store_dword v[15:16], v17, off offset:-4
                                        ; implicit-def: $vgpr15
.LBB668_206:
	s_andn2_saveexec_b64 s[4:5], s[4:5]
	s_cbranch_execz .LBB668_208
; %bb.207:
	v_lshlrev_b32_e32 v16, 2, v0
	ds_read_b32 v16, v16 offset:6144
	v_lshlrev_b32_e32 v15, 2, v15
	v_readfirstlane_b32 s6, v9
	v_readfirstlane_b32 s7, v10
	s_waitcnt lgkmcnt(0)
	s_nop 3
	global_store_dword v15, v16, s[6:7]
.LBB668_208:
	s_or_b64 exec, exec, s[4:5]
                                        ; implicit-def: $vgpr15
.LBB668_209:
	;; [unrolled: 51-line block ×8, first 2 shown]
	s_andn2_saveexec_b64 s[2:3], s[2:3]
	s_cbranch_execz .LBB668_259
; %bb.258:
	v_lshlrev_b32_e32 v16, 2, v0
	ds_read_b32 v16, v16 offset:12288
	v_lshlrev_b32_e32 v15, 2, v15
	v_readfirstlane_b32 s4, v11
	v_readfirstlane_b32 s5, v12
	s_waitcnt lgkmcnt(0)
	s_nop 3
	global_store_dword v15, v16, s[4:5]
.LBB668_259:
	s_or_b64 exec, exec, s[2:3]
	s_branch .LBB668_153
.LBB668_260:
	v_cmp_gt_u32_e32 vcc, s16, v0
	s_and_saveexec_b64 s[2:3], vcc
	s_cbranch_execz .LBB668_269
; %bb.261:
	v_cmp_ge_u32_e32 vcc, v0, v5
	s_and_saveexec_b64 s[4:5], vcc
	s_xor_b64 s[4:5], exec, s[4:5]
	s_cbranch_execz .LBB668_267
; %bb.262:
	v_cmp_ge_u32_e32 vcc, v0, v14
	s_and_saveexec_b64 s[6:7], vcc
	s_xor_b64 s[6:7], exec, s[6:7]
	s_cbranch_execz .LBB668_264
; %bb.263:
	v_add_co_u32_e32 v15, vcc, v7, v0
	v_lshlrev_b32_e32 v17, 2, v0
	v_addc_co_u32_e32 v16, vcc, 0, v13, vcc
	ds_read_b32 v17, v17
	v_lshlrev_b64 v[15:16], 2, v[15:16]
	v_mov_b32_e32 v18, s31
	v_sub_co_u32_e32 v15, vcc, s30, v15
	v_subb_co_u32_e32 v16, vcc, v18, v16, vcc
	s_waitcnt lgkmcnt(0)
	global_store_dword v[15:16], v17, off offset:-4
.LBB668_264:
	s_andn2_saveexec_b64 s[6:7], s[6:7]
	s_cbranch_execz .LBB668_266
; %bb.265:
	v_lshlrev_b32_e32 v15, 2, v0
	ds_read_b32 v16, v15
	v_readfirstlane_b32 s8, v9
	v_readfirstlane_b32 s9, v10
	s_waitcnt lgkmcnt(0)
	s_nop 3
	global_store_dword v15, v16, s[8:9]
.LBB668_266:
	s_or_b64 exec, exec, s[6:7]
.LBB668_267:
	s_andn2_saveexec_b64 s[4:5], s[4:5]
	s_cbranch_execz .LBB668_269
; %bb.268:
	v_lshlrev_b32_e32 v15, 2, v0
	ds_read_b32 v16, v15
	v_readfirstlane_b32 s4, v11
	v_readfirstlane_b32 s5, v12
	s_waitcnt lgkmcnt(0)
	s_nop 3
	global_store_dword v15, v16, s[4:5]
.LBB668_269:
	s_or_b64 exec, exec, s[2:3]
	v_or_b32_e32 v15, 0x100, v0
	v_cmp_gt_u32_e32 vcc, s16, v15
	s_and_saveexec_b64 s[2:3], vcc
	s_cbranch_execz .LBB668_278
; %bb.270:
	v_cmp_ge_u32_e32 vcc, v15, v5
	s_and_saveexec_b64 s[4:5], vcc
	s_xor_b64 s[4:5], exec, s[4:5]
	s_cbranch_execz .LBB668_276
; %bb.271:
	v_cmp_ge_u32_e32 vcc, v15, v14
	s_and_saveexec_b64 s[6:7], vcc
	s_xor_b64 s[6:7], exec, s[6:7]
	s_cbranch_execz .LBB668_273
; %bb.272:
	v_lshlrev_b32_e32 v15, 2, v0
	ds_read_b32 v17, v15 offset:1024
	v_add_co_u32_e32 v15, vcc, v7, v0
	v_addc_co_u32_e32 v16, vcc, 0, v13, vcc
	v_lshlrev_b64 v[15:16], 2, v[15:16]
	v_mov_b32_e32 v18, s31
	v_sub_co_u32_e32 v15, vcc, s30, v15
	v_subb_co_u32_e32 v16, vcc, v18, v16, vcc
	s_waitcnt lgkmcnt(0)
	global_store_dword v[15:16], v17, off offset:-1028
.LBB668_273:
	s_andn2_saveexec_b64 s[6:7], s[6:7]
	s_cbranch_execz .LBB668_275
; %bb.274:
	v_lshlrev_b32_e32 v15, 2, v0
	ds_read_b32 v16, v15 offset:1024
	v_readfirstlane_b32 s8, v9
	v_readfirstlane_b32 s9, v10
	s_waitcnt lgkmcnt(0)
	s_nop 3
	global_store_dword v15, v16, s[8:9] offset:1024
.LBB668_275:
	s_or_b64 exec, exec, s[6:7]
.LBB668_276:
	s_andn2_saveexec_b64 s[4:5], s[4:5]
	s_cbranch_execz .LBB668_278
; %bb.277:
	v_lshlrev_b32_e32 v15, 2, v0
	ds_read_b32 v16, v15 offset:1024
	v_readfirstlane_b32 s4, v11
	v_readfirstlane_b32 s5, v12
	s_waitcnt lgkmcnt(0)
	s_nop 3
	global_store_dword v15, v16, s[4:5] offset:1024
.LBB668_278:
	s_or_b64 exec, exec, s[2:3]
	v_or_b32_e32 v15, 0x200, v0
	v_cmp_gt_u32_e32 vcc, s16, v15
	s_and_saveexec_b64 s[2:3], vcc
	s_cbranch_execz .LBB668_287
; %bb.279:
	v_cmp_ge_u32_e32 vcc, v15, v5
	s_and_saveexec_b64 s[4:5], vcc
	s_xor_b64 s[4:5], exec, s[4:5]
	s_cbranch_execz .LBB668_285
; %bb.280:
	v_cmp_ge_u32_e32 vcc, v15, v14
	s_and_saveexec_b64 s[6:7], vcc
	s_xor_b64 s[6:7], exec, s[6:7]
	s_cbranch_execz .LBB668_282
; %bb.281:
	v_lshlrev_b32_e32 v15, 2, v0
	ds_read_b32 v17, v15 offset:2048
	v_add_co_u32_e32 v15, vcc, v7, v0
	v_addc_co_u32_e32 v16, vcc, 0, v13, vcc
	v_lshlrev_b64 v[15:16], 2, v[15:16]
	v_mov_b32_e32 v18, s31
	v_sub_co_u32_e32 v15, vcc, s30, v15
	v_subb_co_u32_e32 v16, vcc, v18, v16, vcc
	s_waitcnt lgkmcnt(0)
	global_store_dword v[15:16], v17, off offset:-2052
.LBB668_282:
	s_andn2_saveexec_b64 s[6:7], s[6:7]
	s_cbranch_execz .LBB668_284
; %bb.283:
	v_lshlrev_b32_e32 v15, 2, v0
	ds_read_b32 v16, v15 offset:2048
	v_readfirstlane_b32 s8, v9
	v_readfirstlane_b32 s9, v10
	s_waitcnt lgkmcnt(0)
	s_nop 3
	global_store_dword v15, v16, s[8:9] offset:2048
.LBB668_284:
	s_or_b64 exec, exec, s[6:7]
.LBB668_285:
	s_andn2_saveexec_b64 s[4:5], s[4:5]
	s_cbranch_execz .LBB668_287
; %bb.286:
	v_lshlrev_b32_e32 v15, 2, v0
	ds_read_b32 v16, v15 offset:2048
	v_readfirstlane_b32 s4, v11
	v_readfirstlane_b32 s5, v12
	s_waitcnt lgkmcnt(0)
	s_nop 3
	global_store_dword v15, v16, s[4:5] offset:2048
.LBB668_287:
	;; [unrolled: 51-line block ×3, first 2 shown]
	s_or_b64 exec, exec, s[2:3]
	v_or_b32_e32 v15, 0x400, v0
	v_cmp_gt_u32_e32 vcc, s16, v15
	s_and_saveexec_b64 s[2:3], vcc
	s_cbranch_execz .LBB668_305
; %bb.297:
	v_cmp_ge_u32_e32 vcc, v15, v5
	s_and_saveexec_b64 s[4:5], vcc
	s_xor_b64 s[4:5], exec, s[4:5]
	s_cbranch_execz .LBB668_303
; %bb.298:
	v_cmp_ge_u32_e32 vcc, v15, v14
	s_and_saveexec_b64 s[6:7], vcc
	s_xor_b64 s[6:7], exec, s[6:7]
	s_cbranch_execz .LBB668_300
; %bb.299:
	v_lshlrev_b32_e32 v15, 2, v0
	ds_read_b32 v17, v15 offset:4096
	v_add_co_u32_e32 v15, vcc, v7, v0
	v_addc_co_u32_e32 v16, vcc, 0, v13, vcc
	v_lshlrev_b64 v[15:16], 2, v[15:16]
	v_mov_b32_e32 v18, s31
	v_sub_co_u32_e32 v15, vcc, s30, v15
	v_subb_co_u32_e32 v16, vcc, v18, v16, vcc
	v_add_co_u32_e32 v15, vcc, 0xfffff000, v15
	v_addc_co_u32_e32 v16, vcc, -1, v16, vcc
	s_waitcnt lgkmcnt(0)
	global_store_dword v[15:16], v17, off offset:-4
                                        ; implicit-def: $vgpr15
.LBB668_300:
	s_andn2_saveexec_b64 s[6:7], s[6:7]
	s_cbranch_execz .LBB668_302
; %bb.301:
	v_lshlrev_b32_e32 v16, 2, v0
	ds_read_b32 v16, v16 offset:4096
	v_lshlrev_b32_e32 v15, 2, v15
	v_readfirstlane_b32 s8, v9
	v_readfirstlane_b32 s9, v10
	s_waitcnt lgkmcnt(0)
	s_nop 3
	global_store_dword v15, v16, s[8:9]
.LBB668_302:
	s_or_b64 exec, exec, s[6:7]
                                        ; implicit-def: $vgpr15
.LBB668_303:
	s_andn2_saveexec_b64 s[4:5], s[4:5]
	s_cbranch_execz .LBB668_305
; %bb.304:
	v_lshlrev_b32_e32 v16, 2, v0
	ds_read_b32 v16, v16 offset:4096
	v_lshlrev_b32_e32 v15, 2, v15
	v_readfirstlane_b32 s4, v11
	v_readfirstlane_b32 s5, v12
	s_waitcnt lgkmcnt(0)
	s_nop 3
	global_store_dword v15, v16, s[4:5]
.LBB668_305:
	s_or_b64 exec, exec, s[2:3]
	v_or_b32_e32 v15, 0x500, v0
	v_cmp_gt_u32_e32 vcc, s16, v15
	s_and_saveexec_b64 s[2:3], vcc
	s_cbranch_execz .LBB668_314
; %bb.306:
	v_cmp_ge_u32_e32 vcc, v15, v5
	s_and_saveexec_b64 s[4:5], vcc
	s_xor_b64 s[4:5], exec, s[4:5]
	s_cbranch_execz .LBB668_312
; %bb.307:
	v_cmp_ge_u32_e32 vcc, v15, v14
	s_and_saveexec_b64 s[6:7], vcc
	s_xor_b64 s[6:7], exec, s[6:7]
	s_cbranch_execz .LBB668_309
; %bb.308:
	v_add_co_u32_e32 v15, vcc, v7, v15
	v_lshlrev_b32_e32 v17, 2, v0
	v_addc_co_u32_e32 v16, vcc, 0, v13, vcc
	ds_read_b32 v17, v17 offset:5120
	v_lshlrev_b64 v[15:16], 2, v[15:16]
	v_mov_b32_e32 v18, s31
	v_sub_co_u32_e32 v15, vcc, s30, v15
	v_subb_co_u32_e32 v16, vcc, v18, v16, vcc
	s_waitcnt lgkmcnt(0)
	global_store_dword v[15:16], v17, off offset:-4
                                        ; implicit-def: $vgpr15
.LBB668_309:
	s_andn2_saveexec_b64 s[6:7], s[6:7]
	s_cbranch_execz .LBB668_311
; %bb.310:
	v_lshlrev_b32_e32 v16, 2, v0
	ds_read_b32 v16, v16 offset:5120
	v_lshlrev_b32_e32 v15, 2, v15
	v_readfirstlane_b32 s8, v9
	v_readfirstlane_b32 s9, v10
	s_waitcnt lgkmcnt(0)
	s_nop 3
	global_store_dword v15, v16, s[8:9]
.LBB668_311:
	s_or_b64 exec, exec, s[6:7]
                                        ; implicit-def: $vgpr15
.LBB668_312:
	s_andn2_saveexec_b64 s[4:5], s[4:5]
	s_cbranch_execz .LBB668_314
; %bb.313:
	v_lshlrev_b32_e32 v16, 2, v0
	ds_read_b32 v16, v16 offset:5120
	v_lshlrev_b32_e32 v15, 2, v15
	v_readfirstlane_b32 s4, v11
	v_readfirstlane_b32 s5, v12
	s_waitcnt lgkmcnt(0)
	s_nop 3
	global_store_dword v15, v16, s[4:5]
.LBB668_314:
	s_or_b64 exec, exec, s[2:3]
	v_or_b32_e32 v15, 0x600, v0
	v_cmp_gt_u32_e32 vcc, s16, v15
	s_and_saveexec_b64 s[2:3], vcc
	s_cbranch_execz .LBB668_323
; %bb.315:
	v_cmp_ge_u32_e32 vcc, v15, v5
	s_and_saveexec_b64 s[4:5], vcc
	s_xor_b64 s[4:5], exec, s[4:5]
	s_cbranch_execz .LBB668_321
; %bb.316:
	v_cmp_ge_u32_e32 vcc, v15, v14
	s_and_saveexec_b64 s[6:7], vcc
	s_xor_b64 s[6:7], exec, s[6:7]
	s_cbranch_execz .LBB668_318
; %bb.317:
	v_add_co_u32_e32 v15, vcc, v7, v15
	v_lshlrev_b32_e32 v17, 2, v0
	v_addc_co_u32_e32 v16, vcc, 0, v13, vcc
	ds_read_b32 v17, v17 offset:6144
	v_lshlrev_b64 v[15:16], 2, v[15:16]
	v_mov_b32_e32 v18, s31
	v_sub_co_u32_e32 v15, vcc, s30, v15
	v_subb_co_u32_e32 v16, vcc, v18, v16, vcc
	s_waitcnt lgkmcnt(0)
	global_store_dword v[15:16], v17, off offset:-4
                                        ; implicit-def: $vgpr15
.LBB668_318:
	s_andn2_saveexec_b64 s[6:7], s[6:7]
	s_cbranch_execz .LBB668_320
; %bb.319:
	v_lshlrev_b32_e32 v16, 2, v0
	ds_read_b32 v16, v16 offset:6144
	v_lshlrev_b32_e32 v15, 2, v15
	v_readfirstlane_b32 s8, v9
	v_readfirstlane_b32 s9, v10
	s_waitcnt lgkmcnt(0)
	s_nop 3
	global_store_dword v15, v16, s[8:9]
.LBB668_320:
	s_or_b64 exec, exec, s[6:7]
                                        ; implicit-def: $vgpr15
.LBB668_321:
	s_andn2_saveexec_b64 s[4:5], s[4:5]
	s_cbranch_execz .LBB668_323
; %bb.322:
	v_lshlrev_b32_e32 v16, 2, v0
	ds_read_b32 v16, v16 offset:6144
	v_lshlrev_b32_e32 v15, 2, v15
	v_readfirstlane_b32 s4, v11
	v_readfirstlane_b32 s5, v12
	s_waitcnt lgkmcnt(0)
	s_nop 3
	global_store_dword v15, v16, s[4:5]
.LBB668_323:
	;; [unrolled: 55-line block ×7, first 2 shown]
	s_or_b64 exec, exec, s[2:3]
	v_or_b32_e32 v15, 0xc00, v0
	v_cmp_gt_u32_e32 vcc, s16, v15
	s_and_saveexec_b64 s[2:3], vcc
	s_cbranch_execz .LBB668_377
; %bb.369:
	v_cmp_ge_u32_e32 vcc, v15, v5
	s_and_saveexec_b64 s[4:5], vcc
	s_xor_b64 s[4:5], exec, s[4:5]
	s_cbranch_execz .LBB668_375
; %bb.370:
	v_cmp_ge_u32_e32 vcc, v15, v14
	s_and_saveexec_b64 s[6:7], vcc
	s_xor_b64 s[6:7], exec, s[6:7]
	s_cbranch_execz .LBB668_372
; %bb.371:
	v_add_co_u32_e32 v9, vcc, v7, v15
	v_lshlrev_b32_e32 v0, 2, v0
	v_addc_co_u32_e32 v10, vcc, 0, v13, vcc
	ds_read_b32 v0, v0 offset:12288
	v_lshlrev_b64 v[9:10], 2, v[9:10]
	v_mov_b32_e32 v7, s31
	v_sub_co_u32_e32 v9, vcc, s30, v9
	v_subb_co_u32_e32 v10, vcc, v7, v10, vcc
	s_waitcnt lgkmcnt(0)
	global_store_dword v[9:10], v0, off offset:-4
                                        ; implicit-def: $vgpr0
                                        ; implicit-def: $vgpr15
                                        ; implicit-def: $vgpr9_vgpr10
.LBB668_372:
	s_andn2_saveexec_b64 s[6:7], s[6:7]
	s_cbranch_execz .LBB668_374
; %bb.373:
	v_lshlrev_b32_e32 v0, 2, v0
	ds_read_b32 v0, v0 offset:12288
	v_lshlrev_b32_e32 v7, 2, v15
	v_readfirstlane_b32 s8, v9
	v_readfirstlane_b32 s9, v10
	s_waitcnt lgkmcnt(0)
	s_nop 3
	global_store_dword v7, v0, s[8:9]
.LBB668_374:
	s_or_b64 exec, exec, s[6:7]
                                        ; implicit-def: $vgpr0
                                        ; implicit-def: $vgpr15
                                        ; implicit-def: $vgpr11_vgpr12
.LBB668_375:
	s_andn2_saveexec_b64 s[4:5], s[4:5]
	s_cbranch_execz .LBB668_377
; %bb.376:
	v_lshlrev_b32_e32 v0, 2, v0
	ds_read_b32 v0, v0 offset:12288
	v_lshlrev_b32_e32 v7, 2, v15
	v_readfirstlane_b32 s4, v11
	v_readfirstlane_b32 s5, v12
	s_waitcnt lgkmcnt(0)
	s_nop 3
	global_store_dword v7, v0, s[4:5]
.LBB668_377:
	s_or_b64 exec, exec, s[2:3]
	s_and_b64 s[0:1], s[0:1], s[34:35]
	s_and_saveexec_b64 s[2:3], s[0:1]
	s_cbranch_execz .LBB668_154
.LBB668_378:
	v_add_co_u32_e32 v3, vcc, v3, v6
	v_addc_co_u32_e32 v4, vcc, 0, v4, vcc
	v_add_co_u32_e32 v3, vcc, v3, v8
	v_addc_co_u32_e32 v4, vcc, 0, v4, vcc
	v_add_co_u32_e32 v1, vcc, v1, v5
	v_mov_b32_e32 v0, 0
	v_addc_co_u32_e32 v2, vcc, 0, v2, vcc
	global_store_dwordx4 v0, v[1:4], s[44:45]
	s_endpgm
.LBB668_379:
	s_add_i32 s14, s33, 64
	s_mov_b32 s15, 0
	s_lshl_b64 s[14:15], s[14:15], 4
	s_add_u32 s14, s54, s14
	s_addc_u32 s15, s55, s15
	v_mov_b32_e32 v28, s15
	v_add_u32_e32 v10, v8, v6
	v_add_u32_e32 v9, v7, v5
	v_mov_b32_e32 v11, 2
	v_mov_b32_e32 v12, 0
	;; [unrolled: 1-line block ×3, first 2 shown]
	;;#ASMSTART
	global_store_dwordx4 v[27:28], v[9:12] off	
s_waitcnt vmcnt(0)
	;;#ASMEND
	s_or_b64 exec, exec, s[12:13]
	s_and_saveexec_b64 s[12:13], s[8:9]
	s_cbranch_execz .LBB668_139
.LBB668_380:
	v_mov_b32_e32 v9, 0
	ds_write_b128 v9, v[5:8] offset:13312
	s_or_b64 exec, exec, s[12:13]
	s_and_b64 exec, exec, s[0:1]
	s_cbranch_execnz .LBB668_140
	s_branch .LBB668_141
	.section	.rodata,"a",@progbits
	.p2align	6, 0x0
	.amdhsa_kernel _ZN7rocprim17ROCPRIM_400000_NS6detail17trampoline_kernelINS0_13select_configILj256ELj13ELNS0_17block_load_methodE3ELS4_3ELS4_3ELNS0_20block_scan_algorithmE0ELj4294967295EEENS1_25partition_config_selectorILNS1_17partition_subalgoE4EjNS0_10empty_typeEbEEZZNS1_14partition_implILS8_4ELb0ES6_15HIP_vector_typeIjLj2EENS0_17counting_iteratorIjlEEPS9_SG_NS0_5tupleIJPjSI_NS0_16reverse_iteratorISI_EEEEENSH_IJSG_SG_SG_EEES9_SI_JZNS1_25segmented_radix_sort_implINS0_14default_configELb1EPKlPlSQ_SR_N2at6native12_GLOBAL__N_18offset_tEEE10hipError_tPvRmT1_PNSt15iterator_traitsISZ_E10value_typeET2_T3_PNS10_IS15_E10value_typeET4_jRbjT5_S1B_jjP12ihipStream_tbEUljE_ZNSN_ISO_Lb1ESQ_SR_SQ_SR_SV_EESW_SX_SY_SZ_S13_S14_S15_S18_S19_jS1A_jS1B_S1B_jjS1D_bEUljE0_EEESW_SX_SY_S15_S19_S1B_T6_T7_T9_mT8_S1D_bDpT10_ENKUlT_T0_E_clISt17integral_constantIbLb0EES1Q_IbLb1EEEEDaS1M_S1N_EUlS1M_E_NS1_11comp_targetILNS1_3genE2ELNS1_11target_archE906ELNS1_3gpuE6ELNS1_3repE0EEENS1_30default_config_static_selectorELNS0_4arch9wavefront6targetE1EEEvSZ_
		.amdhsa_group_segment_fixed_size 13328
		.amdhsa_private_segment_fixed_size 0
		.amdhsa_kernarg_size 184
		.amdhsa_user_sgpr_count 6
		.amdhsa_user_sgpr_private_segment_buffer 1
		.amdhsa_user_sgpr_dispatch_ptr 0
		.amdhsa_user_sgpr_queue_ptr 0
		.amdhsa_user_sgpr_kernarg_segment_ptr 1
		.amdhsa_user_sgpr_dispatch_id 0
		.amdhsa_user_sgpr_flat_scratch_init 0
		.amdhsa_user_sgpr_private_segment_size 0
		.amdhsa_uses_dynamic_stack 0
		.amdhsa_system_sgpr_private_segment_wavefront_offset 0
		.amdhsa_system_sgpr_workgroup_id_x 1
		.amdhsa_system_sgpr_workgroup_id_y 0
		.amdhsa_system_sgpr_workgroup_id_z 0
		.amdhsa_system_sgpr_workgroup_info 0
		.amdhsa_system_vgpr_workitem_id 0
		.amdhsa_next_free_vgpr 91
		.amdhsa_next_free_sgpr 98
		.amdhsa_reserve_vcc 1
		.amdhsa_reserve_flat_scratch 0
		.amdhsa_float_round_mode_32 0
		.amdhsa_float_round_mode_16_64 0
		.amdhsa_float_denorm_mode_32 3
		.amdhsa_float_denorm_mode_16_64 3
		.amdhsa_dx10_clamp 1
		.amdhsa_ieee_mode 1
		.amdhsa_fp16_overflow 0
		.amdhsa_exception_fp_ieee_invalid_op 0
		.amdhsa_exception_fp_denorm_src 0
		.amdhsa_exception_fp_ieee_div_zero 0
		.amdhsa_exception_fp_ieee_overflow 0
		.amdhsa_exception_fp_ieee_underflow 0
		.amdhsa_exception_fp_ieee_inexact 0
		.amdhsa_exception_int_div_zero 0
	.end_amdhsa_kernel
	.section	.text._ZN7rocprim17ROCPRIM_400000_NS6detail17trampoline_kernelINS0_13select_configILj256ELj13ELNS0_17block_load_methodE3ELS4_3ELS4_3ELNS0_20block_scan_algorithmE0ELj4294967295EEENS1_25partition_config_selectorILNS1_17partition_subalgoE4EjNS0_10empty_typeEbEEZZNS1_14partition_implILS8_4ELb0ES6_15HIP_vector_typeIjLj2EENS0_17counting_iteratorIjlEEPS9_SG_NS0_5tupleIJPjSI_NS0_16reverse_iteratorISI_EEEEENSH_IJSG_SG_SG_EEES9_SI_JZNS1_25segmented_radix_sort_implINS0_14default_configELb1EPKlPlSQ_SR_N2at6native12_GLOBAL__N_18offset_tEEE10hipError_tPvRmT1_PNSt15iterator_traitsISZ_E10value_typeET2_T3_PNS10_IS15_E10value_typeET4_jRbjT5_S1B_jjP12ihipStream_tbEUljE_ZNSN_ISO_Lb1ESQ_SR_SQ_SR_SV_EESW_SX_SY_SZ_S13_S14_S15_S18_S19_jS1A_jS1B_S1B_jjS1D_bEUljE0_EEESW_SX_SY_S15_S19_S1B_T6_T7_T9_mT8_S1D_bDpT10_ENKUlT_T0_E_clISt17integral_constantIbLb0EES1Q_IbLb1EEEEDaS1M_S1N_EUlS1M_E_NS1_11comp_targetILNS1_3genE2ELNS1_11target_archE906ELNS1_3gpuE6ELNS1_3repE0EEENS1_30default_config_static_selectorELNS0_4arch9wavefront6targetE1EEEvSZ_,"axG",@progbits,_ZN7rocprim17ROCPRIM_400000_NS6detail17trampoline_kernelINS0_13select_configILj256ELj13ELNS0_17block_load_methodE3ELS4_3ELS4_3ELNS0_20block_scan_algorithmE0ELj4294967295EEENS1_25partition_config_selectorILNS1_17partition_subalgoE4EjNS0_10empty_typeEbEEZZNS1_14partition_implILS8_4ELb0ES6_15HIP_vector_typeIjLj2EENS0_17counting_iteratorIjlEEPS9_SG_NS0_5tupleIJPjSI_NS0_16reverse_iteratorISI_EEEEENSH_IJSG_SG_SG_EEES9_SI_JZNS1_25segmented_radix_sort_implINS0_14default_configELb1EPKlPlSQ_SR_N2at6native12_GLOBAL__N_18offset_tEEE10hipError_tPvRmT1_PNSt15iterator_traitsISZ_E10value_typeET2_T3_PNS10_IS15_E10value_typeET4_jRbjT5_S1B_jjP12ihipStream_tbEUljE_ZNSN_ISO_Lb1ESQ_SR_SQ_SR_SV_EESW_SX_SY_SZ_S13_S14_S15_S18_S19_jS1A_jS1B_S1B_jjS1D_bEUljE0_EEESW_SX_SY_S15_S19_S1B_T6_T7_T9_mT8_S1D_bDpT10_ENKUlT_T0_E_clISt17integral_constantIbLb0EES1Q_IbLb1EEEEDaS1M_S1N_EUlS1M_E_NS1_11comp_targetILNS1_3genE2ELNS1_11target_archE906ELNS1_3gpuE6ELNS1_3repE0EEENS1_30default_config_static_selectorELNS0_4arch9wavefront6targetE1EEEvSZ_,comdat
.Lfunc_end668:
	.size	_ZN7rocprim17ROCPRIM_400000_NS6detail17trampoline_kernelINS0_13select_configILj256ELj13ELNS0_17block_load_methodE3ELS4_3ELS4_3ELNS0_20block_scan_algorithmE0ELj4294967295EEENS1_25partition_config_selectorILNS1_17partition_subalgoE4EjNS0_10empty_typeEbEEZZNS1_14partition_implILS8_4ELb0ES6_15HIP_vector_typeIjLj2EENS0_17counting_iteratorIjlEEPS9_SG_NS0_5tupleIJPjSI_NS0_16reverse_iteratorISI_EEEEENSH_IJSG_SG_SG_EEES9_SI_JZNS1_25segmented_radix_sort_implINS0_14default_configELb1EPKlPlSQ_SR_N2at6native12_GLOBAL__N_18offset_tEEE10hipError_tPvRmT1_PNSt15iterator_traitsISZ_E10value_typeET2_T3_PNS10_IS15_E10value_typeET4_jRbjT5_S1B_jjP12ihipStream_tbEUljE_ZNSN_ISO_Lb1ESQ_SR_SQ_SR_SV_EESW_SX_SY_SZ_S13_S14_S15_S18_S19_jS1A_jS1B_S1B_jjS1D_bEUljE0_EEESW_SX_SY_S15_S19_S1B_T6_T7_T9_mT8_S1D_bDpT10_ENKUlT_T0_E_clISt17integral_constantIbLb0EES1Q_IbLb1EEEEDaS1M_S1N_EUlS1M_E_NS1_11comp_targetILNS1_3genE2ELNS1_11target_archE906ELNS1_3gpuE6ELNS1_3repE0EEENS1_30default_config_static_selectorELNS0_4arch9wavefront6targetE1EEEvSZ_, .Lfunc_end668-_ZN7rocprim17ROCPRIM_400000_NS6detail17trampoline_kernelINS0_13select_configILj256ELj13ELNS0_17block_load_methodE3ELS4_3ELS4_3ELNS0_20block_scan_algorithmE0ELj4294967295EEENS1_25partition_config_selectorILNS1_17partition_subalgoE4EjNS0_10empty_typeEbEEZZNS1_14partition_implILS8_4ELb0ES6_15HIP_vector_typeIjLj2EENS0_17counting_iteratorIjlEEPS9_SG_NS0_5tupleIJPjSI_NS0_16reverse_iteratorISI_EEEEENSH_IJSG_SG_SG_EEES9_SI_JZNS1_25segmented_radix_sort_implINS0_14default_configELb1EPKlPlSQ_SR_N2at6native12_GLOBAL__N_18offset_tEEE10hipError_tPvRmT1_PNSt15iterator_traitsISZ_E10value_typeET2_T3_PNS10_IS15_E10value_typeET4_jRbjT5_S1B_jjP12ihipStream_tbEUljE_ZNSN_ISO_Lb1ESQ_SR_SQ_SR_SV_EESW_SX_SY_SZ_S13_S14_S15_S18_S19_jS1A_jS1B_S1B_jjS1D_bEUljE0_EEESW_SX_SY_S15_S19_S1B_T6_T7_T9_mT8_S1D_bDpT10_ENKUlT_T0_E_clISt17integral_constantIbLb0EES1Q_IbLb1EEEEDaS1M_S1N_EUlS1M_E_NS1_11comp_targetILNS1_3genE2ELNS1_11target_archE906ELNS1_3gpuE6ELNS1_3repE0EEENS1_30default_config_static_selectorELNS0_4arch9wavefront6targetE1EEEvSZ_
                                        ; -- End function
	.set _ZN7rocprim17ROCPRIM_400000_NS6detail17trampoline_kernelINS0_13select_configILj256ELj13ELNS0_17block_load_methodE3ELS4_3ELS4_3ELNS0_20block_scan_algorithmE0ELj4294967295EEENS1_25partition_config_selectorILNS1_17partition_subalgoE4EjNS0_10empty_typeEbEEZZNS1_14partition_implILS8_4ELb0ES6_15HIP_vector_typeIjLj2EENS0_17counting_iteratorIjlEEPS9_SG_NS0_5tupleIJPjSI_NS0_16reverse_iteratorISI_EEEEENSH_IJSG_SG_SG_EEES9_SI_JZNS1_25segmented_radix_sort_implINS0_14default_configELb1EPKlPlSQ_SR_N2at6native12_GLOBAL__N_18offset_tEEE10hipError_tPvRmT1_PNSt15iterator_traitsISZ_E10value_typeET2_T3_PNS10_IS15_E10value_typeET4_jRbjT5_S1B_jjP12ihipStream_tbEUljE_ZNSN_ISO_Lb1ESQ_SR_SQ_SR_SV_EESW_SX_SY_SZ_S13_S14_S15_S18_S19_jS1A_jS1B_S1B_jjS1D_bEUljE0_EEESW_SX_SY_S15_S19_S1B_T6_T7_T9_mT8_S1D_bDpT10_ENKUlT_T0_E_clISt17integral_constantIbLb0EES1Q_IbLb1EEEEDaS1M_S1N_EUlS1M_E_NS1_11comp_targetILNS1_3genE2ELNS1_11target_archE906ELNS1_3gpuE6ELNS1_3repE0EEENS1_30default_config_static_selectorELNS0_4arch9wavefront6targetE1EEEvSZ_.num_vgpr, 91
	.set _ZN7rocprim17ROCPRIM_400000_NS6detail17trampoline_kernelINS0_13select_configILj256ELj13ELNS0_17block_load_methodE3ELS4_3ELS4_3ELNS0_20block_scan_algorithmE0ELj4294967295EEENS1_25partition_config_selectorILNS1_17partition_subalgoE4EjNS0_10empty_typeEbEEZZNS1_14partition_implILS8_4ELb0ES6_15HIP_vector_typeIjLj2EENS0_17counting_iteratorIjlEEPS9_SG_NS0_5tupleIJPjSI_NS0_16reverse_iteratorISI_EEEEENSH_IJSG_SG_SG_EEES9_SI_JZNS1_25segmented_radix_sort_implINS0_14default_configELb1EPKlPlSQ_SR_N2at6native12_GLOBAL__N_18offset_tEEE10hipError_tPvRmT1_PNSt15iterator_traitsISZ_E10value_typeET2_T3_PNS10_IS15_E10value_typeET4_jRbjT5_S1B_jjP12ihipStream_tbEUljE_ZNSN_ISO_Lb1ESQ_SR_SQ_SR_SV_EESW_SX_SY_SZ_S13_S14_S15_S18_S19_jS1A_jS1B_S1B_jjS1D_bEUljE0_EEESW_SX_SY_S15_S19_S1B_T6_T7_T9_mT8_S1D_bDpT10_ENKUlT_T0_E_clISt17integral_constantIbLb0EES1Q_IbLb1EEEEDaS1M_S1N_EUlS1M_E_NS1_11comp_targetILNS1_3genE2ELNS1_11target_archE906ELNS1_3gpuE6ELNS1_3repE0EEENS1_30default_config_static_selectorELNS0_4arch9wavefront6targetE1EEEvSZ_.num_agpr, 0
	.set _ZN7rocprim17ROCPRIM_400000_NS6detail17trampoline_kernelINS0_13select_configILj256ELj13ELNS0_17block_load_methodE3ELS4_3ELS4_3ELNS0_20block_scan_algorithmE0ELj4294967295EEENS1_25partition_config_selectorILNS1_17partition_subalgoE4EjNS0_10empty_typeEbEEZZNS1_14partition_implILS8_4ELb0ES6_15HIP_vector_typeIjLj2EENS0_17counting_iteratorIjlEEPS9_SG_NS0_5tupleIJPjSI_NS0_16reverse_iteratorISI_EEEEENSH_IJSG_SG_SG_EEES9_SI_JZNS1_25segmented_radix_sort_implINS0_14default_configELb1EPKlPlSQ_SR_N2at6native12_GLOBAL__N_18offset_tEEE10hipError_tPvRmT1_PNSt15iterator_traitsISZ_E10value_typeET2_T3_PNS10_IS15_E10value_typeET4_jRbjT5_S1B_jjP12ihipStream_tbEUljE_ZNSN_ISO_Lb1ESQ_SR_SQ_SR_SV_EESW_SX_SY_SZ_S13_S14_S15_S18_S19_jS1A_jS1B_S1B_jjS1D_bEUljE0_EEESW_SX_SY_S15_S19_S1B_T6_T7_T9_mT8_S1D_bDpT10_ENKUlT_T0_E_clISt17integral_constantIbLb0EES1Q_IbLb1EEEEDaS1M_S1N_EUlS1M_E_NS1_11comp_targetILNS1_3genE2ELNS1_11target_archE906ELNS1_3gpuE6ELNS1_3repE0EEENS1_30default_config_static_selectorELNS0_4arch9wavefront6targetE1EEEvSZ_.numbered_sgpr, 87
	.set _ZN7rocprim17ROCPRIM_400000_NS6detail17trampoline_kernelINS0_13select_configILj256ELj13ELNS0_17block_load_methodE3ELS4_3ELS4_3ELNS0_20block_scan_algorithmE0ELj4294967295EEENS1_25partition_config_selectorILNS1_17partition_subalgoE4EjNS0_10empty_typeEbEEZZNS1_14partition_implILS8_4ELb0ES6_15HIP_vector_typeIjLj2EENS0_17counting_iteratorIjlEEPS9_SG_NS0_5tupleIJPjSI_NS0_16reverse_iteratorISI_EEEEENSH_IJSG_SG_SG_EEES9_SI_JZNS1_25segmented_radix_sort_implINS0_14default_configELb1EPKlPlSQ_SR_N2at6native12_GLOBAL__N_18offset_tEEE10hipError_tPvRmT1_PNSt15iterator_traitsISZ_E10value_typeET2_T3_PNS10_IS15_E10value_typeET4_jRbjT5_S1B_jjP12ihipStream_tbEUljE_ZNSN_ISO_Lb1ESQ_SR_SQ_SR_SV_EESW_SX_SY_SZ_S13_S14_S15_S18_S19_jS1A_jS1B_S1B_jjS1D_bEUljE0_EEESW_SX_SY_S15_S19_S1B_T6_T7_T9_mT8_S1D_bDpT10_ENKUlT_T0_E_clISt17integral_constantIbLb0EES1Q_IbLb1EEEEDaS1M_S1N_EUlS1M_E_NS1_11comp_targetILNS1_3genE2ELNS1_11target_archE906ELNS1_3gpuE6ELNS1_3repE0EEENS1_30default_config_static_selectorELNS0_4arch9wavefront6targetE1EEEvSZ_.num_named_barrier, 0
	.set _ZN7rocprim17ROCPRIM_400000_NS6detail17trampoline_kernelINS0_13select_configILj256ELj13ELNS0_17block_load_methodE3ELS4_3ELS4_3ELNS0_20block_scan_algorithmE0ELj4294967295EEENS1_25partition_config_selectorILNS1_17partition_subalgoE4EjNS0_10empty_typeEbEEZZNS1_14partition_implILS8_4ELb0ES6_15HIP_vector_typeIjLj2EENS0_17counting_iteratorIjlEEPS9_SG_NS0_5tupleIJPjSI_NS0_16reverse_iteratorISI_EEEEENSH_IJSG_SG_SG_EEES9_SI_JZNS1_25segmented_radix_sort_implINS0_14default_configELb1EPKlPlSQ_SR_N2at6native12_GLOBAL__N_18offset_tEEE10hipError_tPvRmT1_PNSt15iterator_traitsISZ_E10value_typeET2_T3_PNS10_IS15_E10value_typeET4_jRbjT5_S1B_jjP12ihipStream_tbEUljE_ZNSN_ISO_Lb1ESQ_SR_SQ_SR_SV_EESW_SX_SY_SZ_S13_S14_S15_S18_S19_jS1A_jS1B_S1B_jjS1D_bEUljE0_EEESW_SX_SY_S15_S19_S1B_T6_T7_T9_mT8_S1D_bDpT10_ENKUlT_T0_E_clISt17integral_constantIbLb0EES1Q_IbLb1EEEEDaS1M_S1N_EUlS1M_E_NS1_11comp_targetILNS1_3genE2ELNS1_11target_archE906ELNS1_3gpuE6ELNS1_3repE0EEENS1_30default_config_static_selectorELNS0_4arch9wavefront6targetE1EEEvSZ_.private_seg_size, 0
	.set _ZN7rocprim17ROCPRIM_400000_NS6detail17trampoline_kernelINS0_13select_configILj256ELj13ELNS0_17block_load_methodE3ELS4_3ELS4_3ELNS0_20block_scan_algorithmE0ELj4294967295EEENS1_25partition_config_selectorILNS1_17partition_subalgoE4EjNS0_10empty_typeEbEEZZNS1_14partition_implILS8_4ELb0ES6_15HIP_vector_typeIjLj2EENS0_17counting_iteratorIjlEEPS9_SG_NS0_5tupleIJPjSI_NS0_16reverse_iteratorISI_EEEEENSH_IJSG_SG_SG_EEES9_SI_JZNS1_25segmented_radix_sort_implINS0_14default_configELb1EPKlPlSQ_SR_N2at6native12_GLOBAL__N_18offset_tEEE10hipError_tPvRmT1_PNSt15iterator_traitsISZ_E10value_typeET2_T3_PNS10_IS15_E10value_typeET4_jRbjT5_S1B_jjP12ihipStream_tbEUljE_ZNSN_ISO_Lb1ESQ_SR_SQ_SR_SV_EESW_SX_SY_SZ_S13_S14_S15_S18_S19_jS1A_jS1B_S1B_jjS1D_bEUljE0_EEESW_SX_SY_S15_S19_S1B_T6_T7_T9_mT8_S1D_bDpT10_ENKUlT_T0_E_clISt17integral_constantIbLb0EES1Q_IbLb1EEEEDaS1M_S1N_EUlS1M_E_NS1_11comp_targetILNS1_3genE2ELNS1_11target_archE906ELNS1_3gpuE6ELNS1_3repE0EEENS1_30default_config_static_selectorELNS0_4arch9wavefront6targetE1EEEvSZ_.uses_vcc, 1
	.set _ZN7rocprim17ROCPRIM_400000_NS6detail17trampoline_kernelINS0_13select_configILj256ELj13ELNS0_17block_load_methodE3ELS4_3ELS4_3ELNS0_20block_scan_algorithmE0ELj4294967295EEENS1_25partition_config_selectorILNS1_17partition_subalgoE4EjNS0_10empty_typeEbEEZZNS1_14partition_implILS8_4ELb0ES6_15HIP_vector_typeIjLj2EENS0_17counting_iteratorIjlEEPS9_SG_NS0_5tupleIJPjSI_NS0_16reverse_iteratorISI_EEEEENSH_IJSG_SG_SG_EEES9_SI_JZNS1_25segmented_radix_sort_implINS0_14default_configELb1EPKlPlSQ_SR_N2at6native12_GLOBAL__N_18offset_tEEE10hipError_tPvRmT1_PNSt15iterator_traitsISZ_E10value_typeET2_T3_PNS10_IS15_E10value_typeET4_jRbjT5_S1B_jjP12ihipStream_tbEUljE_ZNSN_ISO_Lb1ESQ_SR_SQ_SR_SV_EESW_SX_SY_SZ_S13_S14_S15_S18_S19_jS1A_jS1B_S1B_jjS1D_bEUljE0_EEESW_SX_SY_S15_S19_S1B_T6_T7_T9_mT8_S1D_bDpT10_ENKUlT_T0_E_clISt17integral_constantIbLb0EES1Q_IbLb1EEEEDaS1M_S1N_EUlS1M_E_NS1_11comp_targetILNS1_3genE2ELNS1_11target_archE906ELNS1_3gpuE6ELNS1_3repE0EEENS1_30default_config_static_selectorELNS0_4arch9wavefront6targetE1EEEvSZ_.uses_flat_scratch, 0
	.set _ZN7rocprim17ROCPRIM_400000_NS6detail17trampoline_kernelINS0_13select_configILj256ELj13ELNS0_17block_load_methodE3ELS4_3ELS4_3ELNS0_20block_scan_algorithmE0ELj4294967295EEENS1_25partition_config_selectorILNS1_17partition_subalgoE4EjNS0_10empty_typeEbEEZZNS1_14partition_implILS8_4ELb0ES6_15HIP_vector_typeIjLj2EENS0_17counting_iteratorIjlEEPS9_SG_NS0_5tupleIJPjSI_NS0_16reverse_iteratorISI_EEEEENSH_IJSG_SG_SG_EEES9_SI_JZNS1_25segmented_radix_sort_implINS0_14default_configELb1EPKlPlSQ_SR_N2at6native12_GLOBAL__N_18offset_tEEE10hipError_tPvRmT1_PNSt15iterator_traitsISZ_E10value_typeET2_T3_PNS10_IS15_E10value_typeET4_jRbjT5_S1B_jjP12ihipStream_tbEUljE_ZNSN_ISO_Lb1ESQ_SR_SQ_SR_SV_EESW_SX_SY_SZ_S13_S14_S15_S18_S19_jS1A_jS1B_S1B_jjS1D_bEUljE0_EEESW_SX_SY_S15_S19_S1B_T6_T7_T9_mT8_S1D_bDpT10_ENKUlT_T0_E_clISt17integral_constantIbLb0EES1Q_IbLb1EEEEDaS1M_S1N_EUlS1M_E_NS1_11comp_targetILNS1_3genE2ELNS1_11target_archE906ELNS1_3gpuE6ELNS1_3repE0EEENS1_30default_config_static_selectorELNS0_4arch9wavefront6targetE1EEEvSZ_.has_dyn_sized_stack, 0
	.set _ZN7rocprim17ROCPRIM_400000_NS6detail17trampoline_kernelINS0_13select_configILj256ELj13ELNS0_17block_load_methodE3ELS4_3ELS4_3ELNS0_20block_scan_algorithmE0ELj4294967295EEENS1_25partition_config_selectorILNS1_17partition_subalgoE4EjNS0_10empty_typeEbEEZZNS1_14partition_implILS8_4ELb0ES6_15HIP_vector_typeIjLj2EENS0_17counting_iteratorIjlEEPS9_SG_NS0_5tupleIJPjSI_NS0_16reverse_iteratorISI_EEEEENSH_IJSG_SG_SG_EEES9_SI_JZNS1_25segmented_radix_sort_implINS0_14default_configELb1EPKlPlSQ_SR_N2at6native12_GLOBAL__N_18offset_tEEE10hipError_tPvRmT1_PNSt15iterator_traitsISZ_E10value_typeET2_T3_PNS10_IS15_E10value_typeET4_jRbjT5_S1B_jjP12ihipStream_tbEUljE_ZNSN_ISO_Lb1ESQ_SR_SQ_SR_SV_EESW_SX_SY_SZ_S13_S14_S15_S18_S19_jS1A_jS1B_S1B_jjS1D_bEUljE0_EEESW_SX_SY_S15_S19_S1B_T6_T7_T9_mT8_S1D_bDpT10_ENKUlT_T0_E_clISt17integral_constantIbLb0EES1Q_IbLb1EEEEDaS1M_S1N_EUlS1M_E_NS1_11comp_targetILNS1_3genE2ELNS1_11target_archE906ELNS1_3gpuE6ELNS1_3repE0EEENS1_30default_config_static_selectorELNS0_4arch9wavefront6targetE1EEEvSZ_.has_recursion, 0
	.set _ZN7rocprim17ROCPRIM_400000_NS6detail17trampoline_kernelINS0_13select_configILj256ELj13ELNS0_17block_load_methodE3ELS4_3ELS4_3ELNS0_20block_scan_algorithmE0ELj4294967295EEENS1_25partition_config_selectorILNS1_17partition_subalgoE4EjNS0_10empty_typeEbEEZZNS1_14partition_implILS8_4ELb0ES6_15HIP_vector_typeIjLj2EENS0_17counting_iteratorIjlEEPS9_SG_NS0_5tupleIJPjSI_NS0_16reverse_iteratorISI_EEEEENSH_IJSG_SG_SG_EEES9_SI_JZNS1_25segmented_radix_sort_implINS0_14default_configELb1EPKlPlSQ_SR_N2at6native12_GLOBAL__N_18offset_tEEE10hipError_tPvRmT1_PNSt15iterator_traitsISZ_E10value_typeET2_T3_PNS10_IS15_E10value_typeET4_jRbjT5_S1B_jjP12ihipStream_tbEUljE_ZNSN_ISO_Lb1ESQ_SR_SQ_SR_SV_EESW_SX_SY_SZ_S13_S14_S15_S18_S19_jS1A_jS1B_S1B_jjS1D_bEUljE0_EEESW_SX_SY_S15_S19_S1B_T6_T7_T9_mT8_S1D_bDpT10_ENKUlT_T0_E_clISt17integral_constantIbLb0EES1Q_IbLb1EEEEDaS1M_S1N_EUlS1M_E_NS1_11comp_targetILNS1_3genE2ELNS1_11target_archE906ELNS1_3gpuE6ELNS1_3repE0EEENS1_30default_config_static_selectorELNS0_4arch9wavefront6targetE1EEEvSZ_.has_indirect_call, 0
	.section	.AMDGPU.csdata,"",@progbits
; Kernel info:
; codeLenInByte = 15580
; TotalNumSgprs: 91
; NumVgprs: 91
; ScratchSize: 0
; MemoryBound: 0
; FloatMode: 240
; IeeeMode: 1
; LDSByteSize: 13328 bytes/workgroup (compile time only)
; SGPRBlocks: 12
; VGPRBlocks: 22
; NumSGPRsForWavesPerEU: 102
; NumVGPRsForWavesPerEU: 91
; Occupancy: 2
; WaveLimiterHint : 1
; COMPUTE_PGM_RSRC2:SCRATCH_EN: 0
; COMPUTE_PGM_RSRC2:USER_SGPR: 6
; COMPUTE_PGM_RSRC2:TRAP_HANDLER: 0
; COMPUTE_PGM_RSRC2:TGID_X_EN: 1
; COMPUTE_PGM_RSRC2:TGID_Y_EN: 0
; COMPUTE_PGM_RSRC2:TGID_Z_EN: 0
; COMPUTE_PGM_RSRC2:TIDIG_COMP_CNT: 0
	.section	.text._ZN7rocprim17ROCPRIM_400000_NS6detail17trampoline_kernelINS0_13select_configILj256ELj13ELNS0_17block_load_methodE3ELS4_3ELS4_3ELNS0_20block_scan_algorithmE0ELj4294967295EEENS1_25partition_config_selectorILNS1_17partition_subalgoE4EjNS0_10empty_typeEbEEZZNS1_14partition_implILS8_4ELb0ES6_15HIP_vector_typeIjLj2EENS0_17counting_iteratorIjlEEPS9_SG_NS0_5tupleIJPjSI_NS0_16reverse_iteratorISI_EEEEENSH_IJSG_SG_SG_EEES9_SI_JZNS1_25segmented_radix_sort_implINS0_14default_configELb1EPKlPlSQ_SR_N2at6native12_GLOBAL__N_18offset_tEEE10hipError_tPvRmT1_PNSt15iterator_traitsISZ_E10value_typeET2_T3_PNS10_IS15_E10value_typeET4_jRbjT5_S1B_jjP12ihipStream_tbEUljE_ZNSN_ISO_Lb1ESQ_SR_SQ_SR_SV_EESW_SX_SY_SZ_S13_S14_S15_S18_S19_jS1A_jS1B_S1B_jjS1D_bEUljE0_EEESW_SX_SY_S15_S19_S1B_T6_T7_T9_mT8_S1D_bDpT10_ENKUlT_T0_E_clISt17integral_constantIbLb0EES1Q_IbLb1EEEEDaS1M_S1N_EUlS1M_E_NS1_11comp_targetILNS1_3genE10ELNS1_11target_archE1200ELNS1_3gpuE4ELNS1_3repE0EEENS1_30default_config_static_selectorELNS0_4arch9wavefront6targetE1EEEvSZ_,"axG",@progbits,_ZN7rocprim17ROCPRIM_400000_NS6detail17trampoline_kernelINS0_13select_configILj256ELj13ELNS0_17block_load_methodE3ELS4_3ELS4_3ELNS0_20block_scan_algorithmE0ELj4294967295EEENS1_25partition_config_selectorILNS1_17partition_subalgoE4EjNS0_10empty_typeEbEEZZNS1_14partition_implILS8_4ELb0ES6_15HIP_vector_typeIjLj2EENS0_17counting_iteratorIjlEEPS9_SG_NS0_5tupleIJPjSI_NS0_16reverse_iteratorISI_EEEEENSH_IJSG_SG_SG_EEES9_SI_JZNS1_25segmented_radix_sort_implINS0_14default_configELb1EPKlPlSQ_SR_N2at6native12_GLOBAL__N_18offset_tEEE10hipError_tPvRmT1_PNSt15iterator_traitsISZ_E10value_typeET2_T3_PNS10_IS15_E10value_typeET4_jRbjT5_S1B_jjP12ihipStream_tbEUljE_ZNSN_ISO_Lb1ESQ_SR_SQ_SR_SV_EESW_SX_SY_SZ_S13_S14_S15_S18_S19_jS1A_jS1B_S1B_jjS1D_bEUljE0_EEESW_SX_SY_S15_S19_S1B_T6_T7_T9_mT8_S1D_bDpT10_ENKUlT_T0_E_clISt17integral_constantIbLb0EES1Q_IbLb1EEEEDaS1M_S1N_EUlS1M_E_NS1_11comp_targetILNS1_3genE10ELNS1_11target_archE1200ELNS1_3gpuE4ELNS1_3repE0EEENS1_30default_config_static_selectorELNS0_4arch9wavefront6targetE1EEEvSZ_,comdat
	.globl	_ZN7rocprim17ROCPRIM_400000_NS6detail17trampoline_kernelINS0_13select_configILj256ELj13ELNS0_17block_load_methodE3ELS4_3ELS4_3ELNS0_20block_scan_algorithmE0ELj4294967295EEENS1_25partition_config_selectorILNS1_17partition_subalgoE4EjNS0_10empty_typeEbEEZZNS1_14partition_implILS8_4ELb0ES6_15HIP_vector_typeIjLj2EENS0_17counting_iteratorIjlEEPS9_SG_NS0_5tupleIJPjSI_NS0_16reverse_iteratorISI_EEEEENSH_IJSG_SG_SG_EEES9_SI_JZNS1_25segmented_radix_sort_implINS0_14default_configELb1EPKlPlSQ_SR_N2at6native12_GLOBAL__N_18offset_tEEE10hipError_tPvRmT1_PNSt15iterator_traitsISZ_E10value_typeET2_T3_PNS10_IS15_E10value_typeET4_jRbjT5_S1B_jjP12ihipStream_tbEUljE_ZNSN_ISO_Lb1ESQ_SR_SQ_SR_SV_EESW_SX_SY_SZ_S13_S14_S15_S18_S19_jS1A_jS1B_S1B_jjS1D_bEUljE0_EEESW_SX_SY_S15_S19_S1B_T6_T7_T9_mT8_S1D_bDpT10_ENKUlT_T0_E_clISt17integral_constantIbLb0EES1Q_IbLb1EEEEDaS1M_S1N_EUlS1M_E_NS1_11comp_targetILNS1_3genE10ELNS1_11target_archE1200ELNS1_3gpuE4ELNS1_3repE0EEENS1_30default_config_static_selectorELNS0_4arch9wavefront6targetE1EEEvSZ_ ; -- Begin function _ZN7rocprim17ROCPRIM_400000_NS6detail17trampoline_kernelINS0_13select_configILj256ELj13ELNS0_17block_load_methodE3ELS4_3ELS4_3ELNS0_20block_scan_algorithmE0ELj4294967295EEENS1_25partition_config_selectorILNS1_17partition_subalgoE4EjNS0_10empty_typeEbEEZZNS1_14partition_implILS8_4ELb0ES6_15HIP_vector_typeIjLj2EENS0_17counting_iteratorIjlEEPS9_SG_NS0_5tupleIJPjSI_NS0_16reverse_iteratorISI_EEEEENSH_IJSG_SG_SG_EEES9_SI_JZNS1_25segmented_radix_sort_implINS0_14default_configELb1EPKlPlSQ_SR_N2at6native12_GLOBAL__N_18offset_tEEE10hipError_tPvRmT1_PNSt15iterator_traitsISZ_E10value_typeET2_T3_PNS10_IS15_E10value_typeET4_jRbjT5_S1B_jjP12ihipStream_tbEUljE_ZNSN_ISO_Lb1ESQ_SR_SQ_SR_SV_EESW_SX_SY_SZ_S13_S14_S15_S18_S19_jS1A_jS1B_S1B_jjS1D_bEUljE0_EEESW_SX_SY_S15_S19_S1B_T6_T7_T9_mT8_S1D_bDpT10_ENKUlT_T0_E_clISt17integral_constantIbLb0EES1Q_IbLb1EEEEDaS1M_S1N_EUlS1M_E_NS1_11comp_targetILNS1_3genE10ELNS1_11target_archE1200ELNS1_3gpuE4ELNS1_3repE0EEENS1_30default_config_static_selectorELNS0_4arch9wavefront6targetE1EEEvSZ_
	.p2align	8
	.type	_ZN7rocprim17ROCPRIM_400000_NS6detail17trampoline_kernelINS0_13select_configILj256ELj13ELNS0_17block_load_methodE3ELS4_3ELS4_3ELNS0_20block_scan_algorithmE0ELj4294967295EEENS1_25partition_config_selectorILNS1_17partition_subalgoE4EjNS0_10empty_typeEbEEZZNS1_14partition_implILS8_4ELb0ES6_15HIP_vector_typeIjLj2EENS0_17counting_iteratorIjlEEPS9_SG_NS0_5tupleIJPjSI_NS0_16reverse_iteratorISI_EEEEENSH_IJSG_SG_SG_EEES9_SI_JZNS1_25segmented_radix_sort_implINS0_14default_configELb1EPKlPlSQ_SR_N2at6native12_GLOBAL__N_18offset_tEEE10hipError_tPvRmT1_PNSt15iterator_traitsISZ_E10value_typeET2_T3_PNS10_IS15_E10value_typeET4_jRbjT5_S1B_jjP12ihipStream_tbEUljE_ZNSN_ISO_Lb1ESQ_SR_SQ_SR_SV_EESW_SX_SY_SZ_S13_S14_S15_S18_S19_jS1A_jS1B_S1B_jjS1D_bEUljE0_EEESW_SX_SY_S15_S19_S1B_T6_T7_T9_mT8_S1D_bDpT10_ENKUlT_T0_E_clISt17integral_constantIbLb0EES1Q_IbLb1EEEEDaS1M_S1N_EUlS1M_E_NS1_11comp_targetILNS1_3genE10ELNS1_11target_archE1200ELNS1_3gpuE4ELNS1_3repE0EEENS1_30default_config_static_selectorELNS0_4arch9wavefront6targetE1EEEvSZ_,@function
_ZN7rocprim17ROCPRIM_400000_NS6detail17trampoline_kernelINS0_13select_configILj256ELj13ELNS0_17block_load_methodE3ELS4_3ELS4_3ELNS0_20block_scan_algorithmE0ELj4294967295EEENS1_25partition_config_selectorILNS1_17partition_subalgoE4EjNS0_10empty_typeEbEEZZNS1_14partition_implILS8_4ELb0ES6_15HIP_vector_typeIjLj2EENS0_17counting_iteratorIjlEEPS9_SG_NS0_5tupleIJPjSI_NS0_16reverse_iteratorISI_EEEEENSH_IJSG_SG_SG_EEES9_SI_JZNS1_25segmented_radix_sort_implINS0_14default_configELb1EPKlPlSQ_SR_N2at6native12_GLOBAL__N_18offset_tEEE10hipError_tPvRmT1_PNSt15iterator_traitsISZ_E10value_typeET2_T3_PNS10_IS15_E10value_typeET4_jRbjT5_S1B_jjP12ihipStream_tbEUljE_ZNSN_ISO_Lb1ESQ_SR_SQ_SR_SV_EESW_SX_SY_SZ_S13_S14_S15_S18_S19_jS1A_jS1B_S1B_jjS1D_bEUljE0_EEESW_SX_SY_S15_S19_S1B_T6_T7_T9_mT8_S1D_bDpT10_ENKUlT_T0_E_clISt17integral_constantIbLb0EES1Q_IbLb1EEEEDaS1M_S1N_EUlS1M_E_NS1_11comp_targetILNS1_3genE10ELNS1_11target_archE1200ELNS1_3gpuE4ELNS1_3repE0EEENS1_30default_config_static_selectorELNS0_4arch9wavefront6targetE1EEEvSZ_: ; @_ZN7rocprim17ROCPRIM_400000_NS6detail17trampoline_kernelINS0_13select_configILj256ELj13ELNS0_17block_load_methodE3ELS4_3ELS4_3ELNS0_20block_scan_algorithmE0ELj4294967295EEENS1_25partition_config_selectorILNS1_17partition_subalgoE4EjNS0_10empty_typeEbEEZZNS1_14partition_implILS8_4ELb0ES6_15HIP_vector_typeIjLj2EENS0_17counting_iteratorIjlEEPS9_SG_NS0_5tupleIJPjSI_NS0_16reverse_iteratorISI_EEEEENSH_IJSG_SG_SG_EEES9_SI_JZNS1_25segmented_radix_sort_implINS0_14default_configELb1EPKlPlSQ_SR_N2at6native12_GLOBAL__N_18offset_tEEE10hipError_tPvRmT1_PNSt15iterator_traitsISZ_E10value_typeET2_T3_PNS10_IS15_E10value_typeET4_jRbjT5_S1B_jjP12ihipStream_tbEUljE_ZNSN_ISO_Lb1ESQ_SR_SQ_SR_SV_EESW_SX_SY_SZ_S13_S14_S15_S18_S19_jS1A_jS1B_S1B_jjS1D_bEUljE0_EEESW_SX_SY_S15_S19_S1B_T6_T7_T9_mT8_S1D_bDpT10_ENKUlT_T0_E_clISt17integral_constantIbLb0EES1Q_IbLb1EEEEDaS1M_S1N_EUlS1M_E_NS1_11comp_targetILNS1_3genE10ELNS1_11target_archE1200ELNS1_3gpuE4ELNS1_3repE0EEENS1_30default_config_static_selectorELNS0_4arch9wavefront6targetE1EEEvSZ_
; %bb.0:
	.section	.rodata,"a",@progbits
	.p2align	6, 0x0
	.amdhsa_kernel _ZN7rocprim17ROCPRIM_400000_NS6detail17trampoline_kernelINS0_13select_configILj256ELj13ELNS0_17block_load_methodE3ELS4_3ELS4_3ELNS0_20block_scan_algorithmE0ELj4294967295EEENS1_25partition_config_selectorILNS1_17partition_subalgoE4EjNS0_10empty_typeEbEEZZNS1_14partition_implILS8_4ELb0ES6_15HIP_vector_typeIjLj2EENS0_17counting_iteratorIjlEEPS9_SG_NS0_5tupleIJPjSI_NS0_16reverse_iteratorISI_EEEEENSH_IJSG_SG_SG_EEES9_SI_JZNS1_25segmented_radix_sort_implINS0_14default_configELb1EPKlPlSQ_SR_N2at6native12_GLOBAL__N_18offset_tEEE10hipError_tPvRmT1_PNSt15iterator_traitsISZ_E10value_typeET2_T3_PNS10_IS15_E10value_typeET4_jRbjT5_S1B_jjP12ihipStream_tbEUljE_ZNSN_ISO_Lb1ESQ_SR_SQ_SR_SV_EESW_SX_SY_SZ_S13_S14_S15_S18_S19_jS1A_jS1B_S1B_jjS1D_bEUljE0_EEESW_SX_SY_S15_S19_S1B_T6_T7_T9_mT8_S1D_bDpT10_ENKUlT_T0_E_clISt17integral_constantIbLb0EES1Q_IbLb1EEEEDaS1M_S1N_EUlS1M_E_NS1_11comp_targetILNS1_3genE10ELNS1_11target_archE1200ELNS1_3gpuE4ELNS1_3repE0EEENS1_30default_config_static_selectorELNS0_4arch9wavefront6targetE1EEEvSZ_
		.amdhsa_group_segment_fixed_size 0
		.amdhsa_private_segment_fixed_size 0
		.amdhsa_kernarg_size 184
		.amdhsa_user_sgpr_count 6
		.amdhsa_user_sgpr_private_segment_buffer 1
		.amdhsa_user_sgpr_dispatch_ptr 0
		.amdhsa_user_sgpr_queue_ptr 0
		.amdhsa_user_sgpr_kernarg_segment_ptr 1
		.amdhsa_user_sgpr_dispatch_id 0
		.amdhsa_user_sgpr_flat_scratch_init 0
		.amdhsa_user_sgpr_private_segment_size 0
		.amdhsa_uses_dynamic_stack 0
		.amdhsa_system_sgpr_private_segment_wavefront_offset 0
		.amdhsa_system_sgpr_workgroup_id_x 1
		.amdhsa_system_sgpr_workgroup_id_y 0
		.amdhsa_system_sgpr_workgroup_id_z 0
		.amdhsa_system_sgpr_workgroup_info 0
		.amdhsa_system_vgpr_workitem_id 0
		.amdhsa_next_free_vgpr 1
		.amdhsa_next_free_sgpr 0
		.amdhsa_reserve_vcc 0
		.amdhsa_reserve_flat_scratch 0
		.amdhsa_float_round_mode_32 0
		.amdhsa_float_round_mode_16_64 0
		.amdhsa_float_denorm_mode_32 3
		.amdhsa_float_denorm_mode_16_64 3
		.amdhsa_dx10_clamp 1
		.amdhsa_ieee_mode 1
		.amdhsa_fp16_overflow 0
		.amdhsa_exception_fp_ieee_invalid_op 0
		.amdhsa_exception_fp_denorm_src 0
		.amdhsa_exception_fp_ieee_div_zero 0
		.amdhsa_exception_fp_ieee_overflow 0
		.amdhsa_exception_fp_ieee_underflow 0
		.amdhsa_exception_fp_ieee_inexact 0
		.amdhsa_exception_int_div_zero 0
	.end_amdhsa_kernel
	.section	.text._ZN7rocprim17ROCPRIM_400000_NS6detail17trampoline_kernelINS0_13select_configILj256ELj13ELNS0_17block_load_methodE3ELS4_3ELS4_3ELNS0_20block_scan_algorithmE0ELj4294967295EEENS1_25partition_config_selectorILNS1_17partition_subalgoE4EjNS0_10empty_typeEbEEZZNS1_14partition_implILS8_4ELb0ES6_15HIP_vector_typeIjLj2EENS0_17counting_iteratorIjlEEPS9_SG_NS0_5tupleIJPjSI_NS0_16reverse_iteratorISI_EEEEENSH_IJSG_SG_SG_EEES9_SI_JZNS1_25segmented_radix_sort_implINS0_14default_configELb1EPKlPlSQ_SR_N2at6native12_GLOBAL__N_18offset_tEEE10hipError_tPvRmT1_PNSt15iterator_traitsISZ_E10value_typeET2_T3_PNS10_IS15_E10value_typeET4_jRbjT5_S1B_jjP12ihipStream_tbEUljE_ZNSN_ISO_Lb1ESQ_SR_SQ_SR_SV_EESW_SX_SY_SZ_S13_S14_S15_S18_S19_jS1A_jS1B_S1B_jjS1D_bEUljE0_EEESW_SX_SY_S15_S19_S1B_T6_T7_T9_mT8_S1D_bDpT10_ENKUlT_T0_E_clISt17integral_constantIbLb0EES1Q_IbLb1EEEEDaS1M_S1N_EUlS1M_E_NS1_11comp_targetILNS1_3genE10ELNS1_11target_archE1200ELNS1_3gpuE4ELNS1_3repE0EEENS1_30default_config_static_selectorELNS0_4arch9wavefront6targetE1EEEvSZ_,"axG",@progbits,_ZN7rocprim17ROCPRIM_400000_NS6detail17trampoline_kernelINS0_13select_configILj256ELj13ELNS0_17block_load_methodE3ELS4_3ELS4_3ELNS0_20block_scan_algorithmE0ELj4294967295EEENS1_25partition_config_selectorILNS1_17partition_subalgoE4EjNS0_10empty_typeEbEEZZNS1_14partition_implILS8_4ELb0ES6_15HIP_vector_typeIjLj2EENS0_17counting_iteratorIjlEEPS9_SG_NS0_5tupleIJPjSI_NS0_16reverse_iteratorISI_EEEEENSH_IJSG_SG_SG_EEES9_SI_JZNS1_25segmented_radix_sort_implINS0_14default_configELb1EPKlPlSQ_SR_N2at6native12_GLOBAL__N_18offset_tEEE10hipError_tPvRmT1_PNSt15iterator_traitsISZ_E10value_typeET2_T3_PNS10_IS15_E10value_typeET4_jRbjT5_S1B_jjP12ihipStream_tbEUljE_ZNSN_ISO_Lb1ESQ_SR_SQ_SR_SV_EESW_SX_SY_SZ_S13_S14_S15_S18_S19_jS1A_jS1B_S1B_jjS1D_bEUljE0_EEESW_SX_SY_S15_S19_S1B_T6_T7_T9_mT8_S1D_bDpT10_ENKUlT_T0_E_clISt17integral_constantIbLb0EES1Q_IbLb1EEEEDaS1M_S1N_EUlS1M_E_NS1_11comp_targetILNS1_3genE10ELNS1_11target_archE1200ELNS1_3gpuE4ELNS1_3repE0EEENS1_30default_config_static_selectorELNS0_4arch9wavefront6targetE1EEEvSZ_,comdat
.Lfunc_end669:
	.size	_ZN7rocprim17ROCPRIM_400000_NS6detail17trampoline_kernelINS0_13select_configILj256ELj13ELNS0_17block_load_methodE3ELS4_3ELS4_3ELNS0_20block_scan_algorithmE0ELj4294967295EEENS1_25partition_config_selectorILNS1_17partition_subalgoE4EjNS0_10empty_typeEbEEZZNS1_14partition_implILS8_4ELb0ES6_15HIP_vector_typeIjLj2EENS0_17counting_iteratorIjlEEPS9_SG_NS0_5tupleIJPjSI_NS0_16reverse_iteratorISI_EEEEENSH_IJSG_SG_SG_EEES9_SI_JZNS1_25segmented_radix_sort_implINS0_14default_configELb1EPKlPlSQ_SR_N2at6native12_GLOBAL__N_18offset_tEEE10hipError_tPvRmT1_PNSt15iterator_traitsISZ_E10value_typeET2_T3_PNS10_IS15_E10value_typeET4_jRbjT5_S1B_jjP12ihipStream_tbEUljE_ZNSN_ISO_Lb1ESQ_SR_SQ_SR_SV_EESW_SX_SY_SZ_S13_S14_S15_S18_S19_jS1A_jS1B_S1B_jjS1D_bEUljE0_EEESW_SX_SY_S15_S19_S1B_T6_T7_T9_mT8_S1D_bDpT10_ENKUlT_T0_E_clISt17integral_constantIbLb0EES1Q_IbLb1EEEEDaS1M_S1N_EUlS1M_E_NS1_11comp_targetILNS1_3genE10ELNS1_11target_archE1200ELNS1_3gpuE4ELNS1_3repE0EEENS1_30default_config_static_selectorELNS0_4arch9wavefront6targetE1EEEvSZ_, .Lfunc_end669-_ZN7rocprim17ROCPRIM_400000_NS6detail17trampoline_kernelINS0_13select_configILj256ELj13ELNS0_17block_load_methodE3ELS4_3ELS4_3ELNS0_20block_scan_algorithmE0ELj4294967295EEENS1_25partition_config_selectorILNS1_17partition_subalgoE4EjNS0_10empty_typeEbEEZZNS1_14partition_implILS8_4ELb0ES6_15HIP_vector_typeIjLj2EENS0_17counting_iteratorIjlEEPS9_SG_NS0_5tupleIJPjSI_NS0_16reverse_iteratorISI_EEEEENSH_IJSG_SG_SG_EEES9_SI_JZNS1_25segmented_radix_sort_implINS0_14default_configELb1EPKlPlSQ_SR_N2at6native12_GLOBAL__N_18offset_tEEE10hipError_tPvRmT1_PNSt15iterator_traitsISZ_E10value_typeET2_T3_PNS10_IS15_E10value_typeET4_jRbjT5_S1B_jjP12ihipStream_tbEUljE_ZNSN_ISO_Lb1ESQ_SR_SQ_SR_SV_EESW_SX_SY_SZ_S13_S14_S15_S18_S19_jS1A_jS1B_S1B_jjS1D_bEUljE0_EEESW_SX_SY_S15_S19_S1B_T6_T7_T9_mT8_S1D_bDpT10_ENKUlT_T0_E_clISt17integral_constantIbLb0EES1Q_IbLb1EEEEDaS1M_S1N_EUlS1M_E_NS1_11comp_targetILNS1_3genE10ELNS1_11target_archE1200ELNS1_3gpuE4ELNS1_3repE0EEENS1_30default_config_static_selectorELNS0_4arch9wavefront6targetE1EEEvSZ_
                                        ; -- End function
	.set _ZN7rocprim17ROCPRIM_400000_NS6detail17trampoline_kernelINS0_13select_configILj256ELj13ELNS0_17block_load_methodE3ELS4_3ELS4_3ELNS0_20block_scan_algorithmE0ELj4294967295EEENS1_25partition_config_selectorILNS1_17partition_subalgoE4EjNS0_10empty_typeEbEEZZNS1_14partition_implILS8_4ELb0ES6_15HIP_vector_typeIjLj2EENS0_17counting_iteratorIjlEEPS9_SG_NS0_5tupleIJPjSI_NS0_16reverse_iteratorISI_EEEEENSH_IJSG_SG_SG_EEES9_SI_JZNS1_25segmented_radix_sort_implINS0_14default_configELb1EPKlPlSQ_SR_N2at6native12_GLOBAL__N_18offset_tEEE10hipError_tPvRmT1_PNSt15iterator_traitsISZ_E10value_typeET2_T3_PNS10_IS15_E10value_typeET4_jRbjT5_S1B_jjP12ihipStream_tbEUljE_ZNSN_ISO_Lb1ESQ_SR_SQ_SR_SV_EESW_SX_SY_SZ_S13_S14_S15_S18_S19_jS1A_jS1B_S1B_jjS1D_bEUljE0_EEESW_SX_SY_S15_S19_S1B_T6_T7_T9_mT8_S1D_bDpT10_ENKUlT_T0_E_clISt17integral_constantIbLb0EES1Q_IbLb1EEEEDaS1M_S1N_EUlS1M_E_NS1_11comp_targetILNS1_3genE10ELNS1_11target_archE1200ELNS1_3gpuE4ELNS1_3repE0EEENS1_30default_config_static_selectorELNS0_4arch9wavefront6targetE1EEEvSZ_.num_vgpr, 0
	.set _ZN7rocprim17ROCPRIM_400000_NS6detail17trampoline_kernelINS0_13select_configILj256ELj13ELNS0_17block_load_methodE3ELS4_3ELS4_3ELNS0_20block_scan_algorithmE0ELj4294967295EEENS1_25partition_config_selectorILNS1_17partition_subalgoE4EjNS0_10empty_typeEbEEZZNS1_14partition_implILS8_4ELb0ES6_15HIP_vector_typeIjLj2EENS0_17counting_iteratorIjlEEPS9_SG_NS0_5tupleIJPjSI_NS0_16reverse_iteratorISI_EEEEENSH_IJSG_SG_SG_EEES9_SI_JZNS1_25segmented_radix_sort_implINS0_14default_configELb1EPKlPlSQ_SR_N2at6native12_GLOBAL__N_18offset_tEEE10hipError_tPvRmT1_PNSt15iterator_traitsISZ_E10value_typeET2_T3_PNS10_IS15_E10value_typeET4_jRbjT5_S1B_jjP12ihipStream_tbEUljE_ZNSN_ISO_Lb1ESQ_SR_SQ_SR_SV_EESW_SX_SY_SZ_S13_S14_S15_S18_S19_jS1A_jS1B_S1B_jjS1D_bEUljE0_EEESW_SX_SY_S15_S19_S1B_T6_T7_T9_mT8_S1D_bDpT10_ENKUlT_T0_E_clISt17integral_constantIbLb0EES1Q_IbLb1EEEEDaS1M_S1N_EUlS1M_E_NS1_11comp_targetILNS1_3genE10ELNS1_11target_archE1200ELNS1_3gpuE4ELNS1_3repE0EEENS1_30default_config_static_selectorELNS0_4arch9wavefront6targetE1EEEvSZ_.num_agpr, 0
	.set _ZN7rocprim17ROCPRIM_400000_NS6detail17trampoline_kernelINS0_13select_configILj256ELj13ELNS0_17block_load_methodE3ELS4_3ELS4_3ELNS0_20block_scan_algorithmE0ELj4294967295EEENS1_25partition_config_selectorILNS1_17partition_subalgoE4EjNS0_10empty_typeEbEEZZNS1_14partition_implILS8_4ELb0ES6_15HIP_vector_typeIjLj2EENS0_17counting_iteratorIjlEEPS9_SG_NS0_5tupleIJPjSI_NS0_16reverse_iteratorISI_EEEEENSH_IJSG_SG_SG_EEES9_SI_JZNS1_25segmented_radix_sort_implINS0_14default_configELb1EPKlPlSQ_SR_N2at6native12_GLOBAL__N_18offset_tEEE10hipError_tPvRmT1_PNSt15iterator_traitsISZ_E10value_typeET2_T3_PNS10_IS15_E10value_typeET4_jRbjT5_S1B_jjP12ihipStream_tbEUljE_ZNSN_ISO_Lb1ESQ_SR_SQ_SR_SV_EESW_SX_SY_SZ_S13_S14_S15_S18_S19_jS1A_jS1B_S1B_jjS1D_bEUljE0_EEESW_SX_SY_S15_S19_S1B_T6_T7_T9_mT8_S1D_bDpT10_ENKUlT_T0_E_clISt17integral_constantIbLb0EES1Q_IbLb1EEEEDaS1M_S1N_EUlS1M_E_NS1_11comp_targetILNS1_3genE10ELNS1_11target_archE1200ELNS1_3gpuE4ELNS1_3repE0EEENS1_30default_config_static_selectorELNS0_4arch9wavefront6targetE1EEEvSZ_.numbered_sgpr, 0
	.set _ZN7rocprim17ROCPRIM_400000_NS6detail17trampoline_kernelINS0_13select_configILj256ELj13ELNS0_17block_load_methodE3ELS4_3ELS4_3ELNS0_20block_scan_algorithmE0ELj4294967295EEENS1_25partition_config_selectorILNS1_17partition_subalgoE4EjNS0_10empty_typeEbEEZZNS1_14partition_implILS8_4ELb0ES6_15HIP_vector_typeIjLj2EENS0_17counting_iteratorIjlEEPS9_SG_NS0_5tupleIJPjSI_NS0_16reverse_iteratorISI_EEEEENSH_IJSG_SG_SG_EEES9_SI_JZNS1_25segmented_radix_sort_implINS0_14default_configELb1EPKlPlSQ_SR_N2at6native12_GLOBAL__N_18offset_tEEE10hipError_tPvRmT1_PNSt15iterator_traitsISZ_E10value_typeET2_T3_PNS10_IS15_E10value_typeET4_jRbjT5_S1B_jjP12ihipStream_tbEUljE_ZNSN_ISO_Lb1ESQ_SR_SQ_SR_SV_EESW_SX_SY_SZ_S13_S14_S15_S18_S19_jS1A_jS1B_S1B_jjS1D_bEUljE0_EEESW_SX_SY_S15_S19_S1B_T6_T7_T9_mT8_S1D_bDpT10_ENKUlT_T0_E_clISt17integral_constantIbLb0EES1Q_IbLb1EEEEDaS1M_S1N_EUlS1M_E_NS1_11comp_targetILNS1_3genE10ELNS1_11target_archE1200ELNS1_3gpuE4ELNS1_3repE0EEENS1_30default_config_static_selectorELNS0_4arch9wavefront6targetE1EEEvSZ_.num_named_barrier, 0
	.set _ZN7rocprim17ROCPRIM_400000_NS6detail17trampoline_kernelINS0_13select_configILj256ELj13ELNS0_17block_load_methodE3ELS4_3ELS4_3ELNS0_20block_scan_algorithmE0ELj4294967295EEENS1_25partition_config_selectorILNS1_17partition_subalgoE4EjNS0_10empty_typeEbEEZZNS1_14partition_implILS8_4ELb0ES6_15HIP_vector_typeIjLj2EENS0_17counting_iteratorIjlEEPS9_SG_NS0_5tupleIJPjSI_NS0_16reverse_iteratorISI_EEEEENSH_IJSG_SG_SG_EEES9_SI_JZNS1_25segmented_radix_sort_implINS0_14default_configELb1EPKlPlSQ_SR_N2at6native12_GLOBAL__N_18offset_tEEE10hipError_tPvRmT1_PNSt15iterator_traitsISZ_E10value_typeET2_T3_PNS10_IS15_E10value_typeET4_jRbjT5_S1B_jjP12ihipStream_tbEUljE_ZNSN_ISO_Lb1ESQ_SR_SQ_SR_SV_EESW_SX_SY_SZ_S13_S14_S15_S18_S19_jS1A_jS1B_S1B_jjS1D_bEUljE0_EEESW_SX_SY_S15_S19_S1B_T6_T7_T9_mT8_S1D_bDpT10_ENKUlT_T0_E_clISt17integral_constantIbLb0EES1Q_IbLb1EEEEDaS1M_S1N_EUlS1M_E_NS1_11comp_targetILNS1_3genE10ELNS1_11target_archE1200ELNS1_3gpuE4ELNS1_3repE0EEENS1_30default_config_static_selectorELNS0_4arch9wavefront6targetE1EEEvSZ_.private_seg_size, 0
	.set _ZN7rocprim17ROCPRIM_400000_NS6detail17trampoline_kernelINS0_13select_configILj256ELj13ELNS0_17block_load_methodE3ELS4_3ELS4_3ELNS0_20block_scan_algorithmE0ELj4294967295EEENS1_25partition_config_selectorILNS1_17partition_subalgoE4EjNS0_10empty_typeEbEEZZNS1_14partition_implILS8_4ELb0ES6_15HIP_vector_typeIjLj2EENS0_17counting_iteratorIjlEEPS9_SG_NS0_5tupleIJPjSI_NS0_16reverse_iteratorISI_EEEEENSH_IJSG_SG_SG_EEES9_SI_JZNS1_25segmented_radix_sort_implINS0_14default_configELb1EPKlPlSQ_SR_N2at6native12_GLOBAL__N_18offset_tEEE10hipError_tPvRmT1_PNSt15iterator_traitsISZ_E10value_typeET2_T3_PNS10_IS15_E10value_typeET4_jRbjT5_S1B_jjP12ihipStream_tbEUljE_ZNSN_ISO_Lb1ESQ_SR_SQ_SR_SV_EESW_SX_SY_SZ_S13_S14_S15_S18_S19_jS1A_jS1B_S1B_jjS1D_bEUljE0_EEESW_SX_SY_S15_S19_S1B_T6_T7_T9_mT8_S1D_bDpT10_ENKUlT_T0_E_clISt17integral_constantIbLb0EES1Q_IbLb1EEEEDaS1M_S1N_EUlS1M_E_NS1_11comp_targetILNS1_3genE10ELNS1_11target_archE1200ELNS1_3gpuE4ELNS1_3repE0EEENS1_30default_config_static_selectorELNS0_4arch9wavefront6targetE1EEEvSZ_.uses_vcc, 0
	.set _ZN7rocprim17ROCPRIM_400000_NS6detail17trampoline_kernelINS0_13select_configILj256ELj13ELNS0_17block_load_methodE3ELS4_3ELS4_3ELNS0_20block_scan_algorithmE0ELj4294967295EEENS1_25partition_config_selectorILNS1_17partition_subalgoE4EjNS0_10empty_typeEbEEZZNS1_14partition_implILS8_4ELb0ES6_15HIP_vector_typeIjLj2EENS0_17counting_iteratorIjlEEPS9_SG_NS0_5tupleIJPjSI_NS0_16reverse_iteratorISI_EEEEENSH_IJSG_SG_SG_EEES9_SI_JZNS1_25segmented_radix_sort_implINS0_14default_configELb1EPKlPlSQ_SR_N2at6native12_GLOBAL__N_18offset_tEEE10hipError_tPvRmT1_PNSt15iterator_traitsISZ_E10value_typeET2_T3_PNS10_IS15_E10value_typeET4_jRbjT5_S1B_jjP12ihipStream_tbEUljE_ZNSN_ISO_Lb1ESQ_SR_SQ_SR_SV_EESW_SX_SY_SZ_S13_S14_S15_S18_S19_jS1A_jS1B_S1B_jjS1D_bEUljE0_EEESW_SX_SY_S15_S19_S1B_T6_T7_T9_mT8_S1D_bDpT10_ENKUlT_T0_E_clISt17integral_constantIbLb0EES1Q_IbLb1EEEEDaS1M_S1N_EUlS1M_E_NS1_11comp_targetILNS1_3genE10ELNS1_11target_archE1200ELNS1_3gpuE4ELNS1_3repE0EEENS1_30default_config_static_selectorELNS0_4arch9wavefront6targetE1EEEvSZ_.uses_flat_scratch, 0
	.set _ZN7rocprim17ROCPRIM_400000_NS6detail17trampoline_kernelINS0_13select_configILj256ELj13ELNS0_17block_load_methodE3ELS4_3ELS4_3ELNS0_20block_scan_algorithmE0ELj4294967295EEENS1_25partition_config_selectorILNS1_17partition_subalgoE4EjNS0_10empty_typeEbEEZZNS1_14partition_implILS8_4ELb0ES6_15HIP_vector_typeIjLj2EENS0_17counting_iteratorIjlEEPS9_SG_NS0_5tupleIJPjSI_NS0_16reverse_iteratorISI_EEEEENSH_IJSG_SG_SG_EEES9_SI_JZNS1_25segmented_radix_sort_implINS0_14default_configELb1EPKlPlSQ_SR_N2at6native12_GLOBAL__N_18offset_tEEE10hipError_tPvRmT1_PNSt15iterator_traitsISZ_E10value_typeET2_T3_PNS10_IS15_E10value_typeET4_jRbjT5_S1B_jjP12ihipStream_tbEUljE_ZNSN_ISO_Lb1ESQ_SR_SQ_SR_SV_EESW_SX_SY_SZ_S13_S14_S15_S18_S19_jS1A_jS1B_S1B_jjS1D_bEUljE0_EEESW_SX_SY_S15_S19_S1B_T6_T7_T9_mT8_S1D_bDpT10_ENKUlT_T0_E_clISt17integral_constantIbLb0EES1Q_IbLb1EEEEDaS1M_S1N_EUlS1M_E_NS1_11comp_targetILNS1_3genE10ELNS1_11target_archE1200ELNS1_3gpuE4ELNS1_3repE0EEENS1_30default_config_static_selectorELNS0_4arch9wavefront6targetE1EEEvSZ_.has_dyn_sized_stack, 0
	.set _ZN7rocprim17ROCPRIM_400000_NS6detail17trampoline_kernelINS0_13select_configILj256ELj13ELNS0_17block_load_methodE3ELS4_3ELS4_3ELNS0_20block_scan_algorithmE0ELj4294967295EEENS1_25partition_config_selectorILNS1_17partition_subalgoE4EjNS0_10empty_typeEbEEZZNS1_14partition_implILS8_4ELb0ES6_15HIP_vector_typeIjLj2EENS0_17counting_iteratorIjlEEPS9_SG_NS0_5tupleIJPjSI_NS0_16reverse_iteratorISI_EEEEENSH_IJSG_SG_SG_EEES9_SI_JZNS1_25segmented_radix_sort_implINS0_14default_configELb1EPKlPlSQ_SR_N2at6native12_GLOBAL__N_18offset_tEEE10hipError_tPvRmT1_PNSt15iterator_traitsISZ_E10value_typeET2_T3_PNS10_IS15_E10value_typeET4_jRbjT5_S1B_jjP12ihipStream_tbEUljE_ZNSN_ISO_Lb1ESQ_SR_SQ_SR_SV_EESW_SX_SY_SZ_S13_S14_S15_S18_S19_jS1A_jS1B_S1B_jjS1D_bEUljE0_EEESW_SX_SY_S15_S19_S1B_T6_T7_T9_mT8_S1D_bDpT10_ENKUlT_T0_E_clISt17integral_constantIbLb0EES1Q_IbLb1EEEEDaS1M_S1N_EUlS1M_E_NS1_11comp_targetILNS1_3genE10ELNS1_11target_archE1200ELNS1_3gpuE4ELNS1_3repE0EEENS1_30default_config_static_selectorELNS0_4arch9wavefront6targetE1EEEvSZ_.has_recursion, 0
	.set _ZN7rocprim17ROCPRIM_400000_NS6detail17trampoline_kernelINS0_13select_configILj256ELj13ELNS0_17block_load_methodE3ELS4_3ELS4_3ELNS0_20block_scan_algorithmE0ELj4294967295EEENS1_25partition_config_selectorILNS1_17partition_subalgoE4EjNS0_10empty_typeEbEEZZNS1_14partition_implILS8_4ELb0ES6_15HIP_vector_typeIjLj2EENS0_17counting_iteratorIjlEEPS9_SG_NS0_5tupleIJPjSI_NS0_16reverse_iteratorISI_EEEEENSH_IJSG_SG_SG_EEES9_SI_JZNS1_25segmented_radix_sort_implINS0_14default_configELb1EPKlPlSQ_SR_N2at6native12_GLOBAL__N_18offset_tEEE10hipError_tPvRmT1_PNSt15iterator_traitsISZ_E10value_typeET2_T3_PNS10_IS15_E10value_typeET4_jRbjT5_S1B_jjP12ihipStream_tbEUljE_ZNSN_ISO_Lb1ESQ_SR_SQ_SR_SV_EESW_SX_SY_SZ_S13_S14_S15_S18_S19_jS1A_jS1B_S1B_jjS1D_bEUljE0_EEESW_SX_SY_S15_S19_S1B_T6_T7_T9_mT8_S1D_bDpT10_ENKUlT_T0_E_clISt17integral_constantIbLb0EES1Q_IbLb1EEEEDaS1M_S1N_EUlS1M_E_NS1_11comp_targetILNS1_3genE10ELNS1_11target_archE1200ELNS1_3gpuE4ELNS1_3repE0EEENS1_30default_config_static_selectorELNS0_4arch9wavefront6targetE1EEEvSZ_.has_indirect_call, 0
	.section	.AMDGPU.csdata,"",@progbits
; Kernel info:
; codeLenInByte = 0
; TotalNumSgprs: 4
; NumVgprs: 0
; ScratchSize: 0
; MemoryBound: 0
; FloatMode: 240
; IeeeMode: 1
; LDSByteSize: 0 bytes/workgroup (compile time only)
; SGPRBlocks: 0
; VGPRBlocks: 0
; NumSGPRsForWavesPerEU: 4
; NumVGPRsForWavesPerEU: 1
; Occupancy: 10
; WaveLimiterHint : 0
; COMPUTE_PGM_RSRC2:SCRATCH_EN: 0
; COMPUTE_PGM_RSRC2:USER_SGPR: 6
; COMPUTE_PGM_RSRC2:TRAP_HANDLER: 0
; COMPUTE_PGM_RSRC2:TGID_X_EN: 1
; COMPUTE_PGM_RSRC2:TGID_Y_EN: 0
; COMPUTE_PGM_RSRC2:TGID_Z_EN: 0
; COMPUTE_PGM_RSRC2:TIDIG_COMP_CNT: 0
	.section	.text._ZN7rocprim17ROCPRIM_400000_NS6detail17trampoline_kernelINS0_13select_configILj256ELj13ELNS0_17block_load_methodE3ELS4_3ELS4_3ELNS0_20block_scan_algorithmE0ELj4294967295EEENS1_25partition_config_selectorILNS1_17partition_subalgoE4EjNS0_10empty_typeEbEEZZNS1_14partition_implILS8_4ELb0ES6_15HIP_vector_typeIjLj2EENS0_17counting_iteratorIjlEEPS9_SG_NS0_5tupleIJPjSI_NS0_16reverse_iteratorISI_EEEEENSH_IJSG_SG_SG_EEES9_SI_JZNS1_25segmented_radix_sort_implINS0_14default_configELb1EPKlPlSQ_SR_N2at6native12_GLOBAL__N_18offset_tEEE10hipError_tPvRmT1_PNSt15iterator_traitsISZ_E10value_typeET2_T3_PNS10_IS15_E10value_typeET4_jRbjT5_S1B_jjP12ihipStream_tbEUljE_ZNSN_ISO_Lb1ESQ_SR_SQ_SR_SV_EESW_SX_SY_SZ_S13_S14_S15_S18_S19_jS1A_jS1B_S1B_jjS1D_bEUljE0_EEESW_SX_SY_S15_S19_S1B_T6_T7_T9_mT8_S1D_bDpT10_ENKUlT_T0_E_clISt17integral_constantIbLb0EES1Q_IbLb1EEEEDaS1M_S1N_EUlS1M_E_NS1_11comp_targetILNS1_3genE9ELNS1_11target_archE1100ELNS1_3gpuE3ELNS1_3repE0EEENS1_30default_config_static_selectorELNS0_4arch9wavefront6targetE1EEEvSZ_,"axG",@progbits,_ZN7rocprim17ROCPRIM_400000_NS6detail17trampoline_kernelINS0_13select_configILj256ELj13ELNS0_17block_load_methodE3ELS4_3ELS4_3ELNS0_20block_scan_algorithmE0ELj4294967295EEENS1_25partition_config_selectorILNS1_17partition_subalgoE4EjNS0_10empty_typeEbEEZZNS1_14partition_implILS8_4ELb0ES6_15HIP_vector_typeIjLj2EENS0_17counting_iteratorIjlEEPS9_SG_NS0_5tupleIJPjSI_NS0_16reverse_iteratorISI_EEEEENSH_IJSG_SG_SG_EEES9_SI_JZNS1_25segmented_radix_sort_implINS0_14default_configELb1EPKlPlSQ_SR_N2at6native12_GLOBAL__N_18offset_tEEE10hipError_tPvRmT1_PNSt15iterator_traitsISZ_E10value_typeET2_T3_PNS10_IS15_E10value_typeET4_jRbjT5_S1B_jjP12ihipStream_tbEUljE_ZNSN_ISO_Lb1ESQ_SR_SQ_SR_SV_EESW_SX_SY_SZ_S13_S14_S15_S18_S19_jS1A_jS1B_S1B_jjS1D_bEUljE0_EEESW_SX_SY_S15_S19_S1B_T6_T7_T9_mT8_S1D_bDpT10_ENKUlT_T0_E_clISt17integral_constantIbLb0EES1Q_IbLb1EEEEDaS1M_S1N_EUlS1M_E_NS1_11comp_targetILNS1_3genE9ELNS1_11target_archE1100ELNS1_3gpuE3ELNS1_3repE0EEENS1_30default_config_static_selectorELNS0_4arch9wavefront6targetE1EEEvSZ_,comdat
	.globl	_ZN7rocprim17ROCPRIM_400000_NS6detail17trampoline_kernelINS0_13select_configILj256ELj13ELNS0_17block_load_methodE3ELS4_3ELS4_3ELNS0_20block_scan_algorithmE0ELj4294967295EEENS1_25partition_config_selectorILNS1_17partition_subalgoE4EjNS0_10empty_typeEbEEZZNS1_14partition_implILS8_4ELb0ES6_15HIP_vector_typeIjLj2EENS0_17counting_iteratorIjlEEPS9_SG_NS0_5tupleIJPjSI_NS0_16reverse_iteratorISI_EEEEENSH_IJSG_SG_SG_EEES9_SI_JZNS1_25segmented_radix_sort_implINS0_14default_configELb1EPKlPlSQ_SR_N2at6native12_GLOBAL__N_18offset_tEEE10hipError_tPvRmT1_PNSt15iterator_traitsISZ_E10value_typeET2_T3_PNS10_IS15_E10value_typeET4_jRbjT5_S1B_jjP12ihipStream_tbEUljE_ZNSN_ISO_Lb1ESQ_SR_SQ_SR_SV_EESW_SX_SY_SZ_S13_S14_S15_S18_S19_jS1A_jS1B_S1B_jjS1D_bEUljE0_EEESW_SX_SY_S15_S19_S1B_T6_T7_T9_mT8_S1D_bDpT10_ENKUlT_T0_E_clISt17integral_constantIbLb0EES1Q_IbLb1EEEEDaS1M_S1N_EUlS1M_E_NS1_11comp_targetILNS1_3genE9ELNS1_11target_archE1100ELNS1_3gpuE3ELNS1_3repE0EEENS1_30default_config_static_selectorELNS0_4arch9wavefront6targetE1EEEvSZ_ ; -- Begin function _ZN7rocprim17ROCPRIM_400000_NS6detail17trampoline_kernelINS0_13select_configILj256ELj13ELNS0_17block_load_methodE3ELS4_3ELS4_3ELNS0_20block_scan_algorithmE0ELj4294967295EEENS1_25partition_config_selectorILNS1_17partition_subalgoE4EjNS0_10empty_typeEbEEZZNS1_14partition_implILS8_4ELb0ES6_15HIP_vector_typeIjLj2EENS0_17counting_iteratorIjlEEPS9_SG_NS0_5tupleIJPjSI_NS0_16reverse_iteratorISI_EEEEENSH_IJSG_SG_SG_EEES9_SI_JZNS1_25segmented_radix_sort_implINS0_14default_configELb1EPKlPlSQ_SR_N2at6native12_GLOBAL__N_18offset_tEEE10hipError_tPvRmT1_PNSt15iterator_traitsISZ_E10value_typeET2_T3_PNS10_IS15_E10value_typeET4_jRbjT5_S1B_jjP12ihipStream_tbEUljE_ZNSN_ISO_Lb1ESQ_SR_SQ_SR_SV_EESW_SX_SY_SZ_S13_S14_S15_S18_S19_jS1A_jS1B_S1B_jjS1D_bEUljE0_EEESW_SX_SY_S15_S19_S1B_T6_T7_T9_mT8_S1D_bDpT10_ENKUlT_T0_E_clISt17integral_constantIbLb0EES1Q_IbLb1EEEEDaS1M_S1N_EUlS1M_E_NS1_11comp_targetILNS1_3genE9ELNS1_11target_archE1100ELNS1_3gpuE3ELNS1_3repE0EEENS1_30default_config_static_selectorELNS0_4arch9wavefront6targetE1EEEvSZ_
	.p2align	8
	.type	_ZN7rocprim17ROCPRIM_400000_NS6detail17trampoline_kernelINS0_13select_configILj256ELj13ELNS0_17block_load_methodE3ELS4_3ELS4_3ELNS0_20block_scan_algorithmE0ELj4294967295EEENS1_25partition_config_selectorILNS1_17partition_subalgoE4EjNS0_10empty_typeEbEEZZNS1_14partition_implILS8_4ELb0ES6_15HIP_vector_typeIjLj2EENS0_17counting_iteratorIjlEEPS9_SG_NS0_5tupleIJPjSI_NS0_16reverse_iteratorISI_EEEEENSH_IJSG_SG_SG_EEES9_SI_JZNS1_25segmented_radix_sort_implINS0_14default_configELb1EPKlPlSQ_SR_N2at6native12_GLOBAL__N_18offset_tEEE10hipError_tPvRmT1_PNSt15iterator_traitsISZ_E10value_typeET2_T3_PNS10_IS15_E10value_typeET4_jRbjT5_S1B_jjP12ihipStream_tbEUljE_ZNSN_ISO_Lb1ESQ_SR_SQ_SR_SV_EESW_SX_SY_SZ_S13_S14_S15_S18_S19_jS1A_jS1B_S1B_jjS1D_bEUljE0_EEESW_SX_SY_S15_S19_S1B_T6_T7_T9_mT8_S1D_bDpT10_ENKUlT_T0_E_clISt17integral_constantIbLb0EES1Q_IbLb1EEEEDaS1M_S1N_EUlS1M_E_NS1_11comp_targetILNS1_3genE9ELNS1_11target_archE1100ELNS1_3gpuE3ELNS1_3repE0EEENS1_30default_config_static_selectorELNS0_4arch9wavefront6targetE1EEEvSZ_,@function
_ZN7rocprim17ROCPRIM_400000_NS6detail17trampoline_kernelINS0_13select_configILj256ELj13ELNS0_17block_load_methodE3ELS4_3ELS4_3ELNS0_20block_scan_algorithmE0ELj4294967295EEENS1_25partition_config_selectorILNS1_17partition_subalgoE4EjNS0_10empty_typeEbEEZZNS1_14partition_implILS8_4ELb0ES6_15HIP_vector_typeIjLj2EENS0_17counting_iteratorIjlEEPS9_SG_NS0_5tupleIJPjSI_NS0_16reverse_iteratorISI_EEEEENSH_IJSG_SG_SG_EEES9_SI_JZNS1_25segmented_radix_sort_implINS0_14default_configELb1EPKlPlSQ_SR_N2at6native12_GLOBAL__N_18offset_tEEE10hipError_tPvRmT1_PNSt15iterator_traitsISZ_E10value_typeET2_T3_PNS10_IS15_E10value_typeET4_jRbjT5_S1B_jjP12ihipStream_tbEUljE_ZNSN_ISO_Lb1ESQ_SR_SQ_SR_SV_EESW_SX_SY_SZ_S13_S14_S15_S18_S19_jS1A_jS1B_S1B_jjS1D_bEUljE0_EEESW_SX_SY_S15_S19_S1B_T6_T7_T9_mT8_S1D_bDpT10_ENKUlT_T0_E_clISt17integral_constantIbLb0EES1Q_IbLb1EEEEDaS1M_S1N_EUlS1M_E_NS1_11comp_targetILNS1_3genE9ELNS1_11target_archE1100ELNS1_3gpuE3ELNS1_3repE0EEENS1_30default_config_static_selectorELNS0_4arch9wavefront6targetE1EEEvSZ_: ; @_ZN7rocprim17ROCPRIM_400000_NS6detail17trampoline_kernelINS0_13select_configILj256ELj13ELNS0_17block_load_methodE3ELS4_3ELS4_3ELNS0_20block_scan_algorithmE0ELj4294967295EEENS1_25partition_config_selectorILNS1_17partition_subalgoE4EjNS0_10empty_typeEbEEZZNS1_14partition_implILS8_4ELb0ES6_15HIP_vector_typeIjLj2EENS0_17counting_iteratorIjlEEPS9_SG_NS0_5tupleIJPjSI_NS0_16reverse_iteratorISI_EEEEENSH_IJSG_SG_SG_EEES9_SI_JZNS1_25segmented_radix_sort_implINS0_14default_configELb1EPKlPlSQ_SR_N2at6native12_GLOBAL__N_18offset_tEEE10hipError_tPvRmT1_PNSt15iterator_traitsISZ_E10value_typeET2_T3_PNS10_IS15_E10value_typeET4_jRbjT5_S1B_jjP12ihipStream_tbEUljE_ZNSN_ISO_Lb1ESQ_SR_SQ_SR_SV_EESW_SX_SY_SZ_S13_S14_S15_S18_S19_jS1A_jS1B_S1B_jjS1D_bEUljE0_EEESW_SX_SY_S15_S19_S1B_T6_T7_T9_mT8_S1D_bDpT10_ENKUlT_T0_E_clISt17integral_constantIbLb0EES1Q_IbLb1EEEEDaS1M_S1N_EUlS1M_E_NS1_11comp_targetILNS1_3genE9ELNS1_11target_archE1100ELNS1_3gpuE3ELNS1_3repE0EEENS1_30default_config_static_selectorELNS0_4arch9wavefront6targetE1EEEvSZ_
; %bb.0:
	.section	.rodata,"a",@progbits
	.p2align	6, 0x0
	.amdhsa_kernel _ZN7rocprim17ROCPRIM_400000_NS6detail17trampoline_kernelINS0_13select_configILj256ELj13ELNS0_17block_load_methodE3ELS4_3ELS4_3ELNS0_20block_scan_algorithmE0ELj4294967295EEENS1_25partition_config_selectorILNS1_17partition_subalgoE4EjNS0_10empty_typeEbEEZZNS1_14partition_implILS8_4ELb0ES6_15HIP_vector_typeIjLj2EENS0_17counting_iteratorIjlEEPS9_SG_NS0_5tupleIJPjSI_NS0_16reverse_iteratorISI_EEEEENSH_IJSG_SG_SG_EEES9_SI_JZNS1_25segmented_radix_sort_implINS0_14default_configELb1EPKlPlSQ_SR_N2at6native12_GLOBAL__N_18offset_tEEE10hipError_tPvRmT1_PNSt15iterator_traitsISZ_E10value_typeET2_T3_PNS10_IS15_E10value_typeET4_jRbjT5_S1B_jjP12ihipStream_tbEUljE_ZNSN_ISO_Lb1ESQ_SR_SQ_SR_SV_EESW_SX_SY_SZ_S13_S14_S15_S18_S19_jS1A_jS1B_S1B_jjS1D_bEUljE0_EEESW_SX_SY_S15_S19_S1B_T6_T7_T9_mT8_S1D_bDpT10_ENKUlT_T0_E_clISt17integral_constantIbLb0EES1Q_IbLb1EEEEDaS1M_S1N_EUlS1M_E_NS1_11comp_targetILNS1_3genE9ELNS1_11target_archE1100ELNS1_3gpuE3ELNS1_3repE0EEENS1_30default_config_static_selectorELNS0_4arch9wavefront6targetE1EEEvSZ_
		.amdhsa_group_segment_fixed_size 0
		.amdhsa_private_segment_fixed_size 0
		.amdhsa_kernarg_size 184
		.amdhsa_user_sgpr_count 6
		.amdhsa_user_sgpr_private_segment_buffer 1
		.amdhsa_user_sgpr_dispatch_ptr 0
		.amdhsa_user_sgpr_queue_ptr 0
		.amdhsa_user_sgpr_kernarg_segment_ptr 1
		.amdhsa_user_sgpr_dispatch_id 0
		.amdhsa_user_sgpr_flat_scratch_init 0
		.amdhsa_user_sgpr_private_segment_size 0
		.amdhsa_uses_dynamic_stack 0
		.amdhsa_system_sgpr_private_segment_wavefront_offset 0
		.amdhsa_system_sgpr_workgroup_id_x 1
		.amdhsa_system_sgpr_workgroup_id_y 0
		.amdhsa_system_sgpr_workgroup_id_z 0
		.amdhsa_system_sgpr_workgroup_info 0
		.amdhsa_system_vgpr_workitem_id 0
		.amdhsa_next_free_vgpr 1
		.amdhsa_next_free_sgpr 0
		.amdhsa_reserve_vcc 0
		.amdhsa_reserve_flat_scratch 0
		.amdhsa_float_round_mode_32 0
		.amdhsa_float_round_mode_16_64 0
		.amdhsa_float_denorm_mode_32 3
		.amdhsa_float_denorm_mode_16_64 3
		.amdhsa_dx10_clamp 1
		.amdhsa_ieee_mode 1
		.amdhsa_fp16_overflow 0
		.amdhsa_exception_fp_ieee_invalid_op 0
		.amdhsa_exception_fp_denorm_src 0
		.amdhsa_exception_fp_ieee_div_zero 0
		.amdhsa_exception_fp_ieee_overflow 0
		.amdhsa_exception_fp_ieee_underflow 0
		.amdhsa_exception_fp_ieee_inexact 0
		.amdhsa_exception_int_div_zero 0
	.end_amdhsa_kernel
	.section	.text._ZN7rocprim17ROCPRIM_400000_NS6detail17trampoline_kernelINS0_13select_configILj256ELj13ELNS0_17block_load_methodE3ELS4_3ELS4_3ELNS0_20block_scan_algorithmE0ELj4294967295EEENS1_25partition_config_selectorILNS1_17partition_subalgoE4EjNS0_10empty_typeEbEEZZNS1_14partition_implILS8_4ELb0ES6_15HIP_vector_typeIjLj2EENS0_17counting_iteratorIjlEEPS9_SG_NS0_5tupleIJPjSI_NS0_16reverse_iteratorISI_EEEEENSH_IJSG_SG_SG_EEES9_SI_JZNS1_25segmented_radix_sort_implINS0_14default_configELb1EPKlPlSQ_SR_N2at6native12_GLOBAL__N_18offset_tEEE10hipError_tPvRmT1_PNSt15iterator_traitsISZ_E10value_typeET2_T3_PNS10_IS15_E10value_typeET4_jRbjT5_S1B_jjP12ihipStream_tbEUljE_ZNSN_ISO_Lb1ESQ_SR_SQ_SR_SV_EESW_SX_SY_SZ_S13_S14_S15_S18_S19_jS1A_jS1B_S1B_jjS1D_bEUljE0_EEESW_SX_SY_S15_S19_S1B_T6_T7_T9_mT8_S1D_bDpT10_ENKUlT_T0_E_clISt17integral_constantIbLb0EES1Q_IbLb1EEEEDaS1M_S1N_EUlS1M_E_NS1_11comp_targetILNS1_3genE9ELNS1_11target_archE1100ELNS1_3gpuE3ELNS1_3repE0EEENS1_30default_config_static_selectorELNS0_4arch9wavefront6targetE1EEEvSZ_,"axG",@progbits,_ZN7rocprim17ROCPRIM_400000_NS6detail17trampoline_kernelINS0_13select_configILj256ELj13ELNS0_17block_load_methodE3ELS4_3ELS4_3ELNS0_20block_scan_algorithmE0ELj4294967295EEENS1_25partition_config_selectorILNS1_17partition_subalgoE4EjNS0_10empty_typeEbEEZZNS1_14partition_implILS8_4ELb0ES6_15HIP_vector_typeIjLj2EENS0_17counting_iteratorIjlEEPS9_SG_NS0_5tupleIJPjSI_NS0_16reverse_iteratorISI_EEEEENSH_IJSG_SG_SG_EEES9_SI_JZNS1_25segmented_radix_sort_implINS0_14default_configELb1EPKlPlSQ_SR_N2at6native12_GLOBAL__N_18offset_tEEE10hipError_tPvRmT1_PNSt15iterator_traitsISZ_E10value_typeET2_T3_PNS10_IS15_E10value_typeET4_jRbjT5_S1B_jjP12ihipStream_tbEUljE_ZNSN_ISO_Lb1ESQ_SR_SQ_SR_SV_EESW_SX_SY_SZ_S13_S14_S15_S18_S19_jS1A_jS1B_S1B_jjS1D_bEUljE0_EEESW_SX_SY_S15_S19_S1B_T6_T7_T9_mT8_S1D_bDpT10_ENKUlT_T0_E_clISt17integral_constantIbLb0EES1Q_IbLb1EEEEDaS1M_S1N_EUlS1M_E_NS1_11comp_targetILNS1_3genE9ELNS1_11target_archE1100ELNS1_3gpuE3ELNS1_3repE0EEENS1_30default_config_static_selectorELNS0_4arch9wavefront6targetE1EEEvSZ_,comdat
.Lfunc_end670:
	.size	_ZN7rocprim17ROCPRIM_400000_NS6detail17trampoline_kernelINS0_13select_configILj256ELj13ELNS0_17block_load_methodE3ELS4_3ELS4_3ELNS0_20block_scan_algorithmE0ELj4294967295EEENS1_25partition_config_selectorILNS1_17partition_subalgoE4EjNS0_10empty_typeEbEEZZNS1_14partition_implILS8_4ELb0ES6_15HIP_vector_typeIjLj2EENS0_17counting_iteratorIjlEEPS9_SG_NS0_5tupleIJPjSI_NS0_16reverse_iteratorISI_EEEEENSH_IJSG_SG_SG_EEES9_SI_JZNS1_25segmented_radix_sort_implINS0_14default_configELb1EPKlPlSQ_SR_N2at6native12_GLOBAL__N_18offset_tEEE10hipError_tPvRmT1_PNSt15iterator_traitsISZ_E10value_typeET2_T3_PNS10_IS15_E10value_typeET4_jRbjT5_S1B_jjP12ihipStream_tbEUljE_ZNSN_ISO_Lb1ESQ_SR_SQ_SR_SV_EESW_SX_SY_SZ_S13_S14_S15_S18_S19_jS1A_jS1B_S1B_jjS1D_bEUljE0_EEESW_SX_SY_S15_S19_S1B_T6_T7_T9_mT8_S1D_bDpT10_ENKUlT_T0_E_clISt17integral_constantIbLb0EES1Q_IbLb1EEEEDaS1M_S1N_EUlS1M_E_NS1_11comp_targetILNS1_3genE9ELNS1_11target_archE1100ELNS1_3gpuE3ELNS1_3repE0EEENS1_30default_config_static_selectorELNS0_4arch9wavefront6targetE1EEEvSZ_, .Lfunc_end670-_ZN7rocprim17ROCPRIM_400000_NS6detail17trampoline_kernelINS0_13select_configILj256ELj13ELNS0_17block_load_methodE3ELS4_3ELS4_3ELNS0_20block_scan_algorithmE0ELj4294967295EEENS1_25partition_config_selectorILNS1_17partition_subalgoE4EjNS0_10empty_typeEbEEZZNS1_14partition_implILS8_4ELb0ES6_15HIP_vector_typeIjLj2EENS0_17counting_iteratorIjlEEPS9_SG_NS0_5tupleIJPjSI_NS0_16reverse_iteratorISI_EEEEENSH_IJSG_SG_SG_EEES9_SI_JZNS1_25segmented_radix_sort_implINS0_14default_configELb1EPKlPlSQ_SR_N2at6native12_GLOBAL__N_18offset_tEEE10hipError_tPvRmT1_PNSt15iterator_traitsISZ_E10value_typeET2_T3_PNS10_IS15_E10value_typeET4_jRbjT5_S1B_jjP12ihipStream_tbEUljE_ZNSN_ISO_Lb1ESQ_SR_SQ_SR_SV_EESW_SX_SY_SZ_S13_S14_S15_S18_S19_jS1A_jS1B_S1B_jjS1D_bEUljE0_EEESW_SX_SY_S15_S19_S1B_T6_T7_T9_mT8_S1D_bDpT10_ENKUlT_T0_E_clISt17integral_constantIbLb0EES1Q_IbLb1EEEEDaS1M_S1N_EUlS1M_E_NS1_11comp_targetILNS1_3genE9ELNS1_11target_archE1100ELNS1_3gpuE3ELNS1_3repE0EEENS1_30default_config_static_selectorELNS0_4arch9wavefront6targetE1EEEvSZ_
                                        ; -- End function
	.set _ZN7rocprim17ROCPRIM_400000_NS6detail17trampoline_kernelINS0_13select_configILj256ELj13ELNS0_17block_load_methodE3ELS4_3ELS4_3ELNS0_20block_scan_algorithmE0ELj4294967295EEENS1_25partition_config_selectorILNS1_17partition_subalgoE4EjNS0_10empty_typeEbEEZZNS1_14partition_implILS8_4ELb0ES6_15HIP_vector_typeIjLj2EENS0_17counting_iteratorIjlEEPS9_SG_NS0_5tupleIJPjSI_NS0_16reverse_iteratorISI_EEEEENSH_IJSG_SG_SG_EEES9_SI_JZNS1_25segmented_radix_sort_implINS0_14default_configELb1EPKlPlSQ_SR_N2at6native12_GLOBAL__N_18offset_tEEE10hipError_tPvRmT1_PNSt15iterator_traitsISZ_E10value_typeET2_T3_PNS10_IS15_E10value_typeET4_jRbjT5_S1B_jjP12ihipStream_tbEUljE_ZNSN_ISO_Lb1ESQ_SR_SQ_SR_SV_EESW_SX_SY_SZ_S13_S14_S15_S18_S19_jS1A_jS1B_S1B_jjS1D_bEUljE0_EEESW_SX_SY_S15_S19_S1B_T6_T7_T9_mT8_S1D_bDpT10_ENKUlT_T0_E_clISt17integral_constantIbLb0EES1Q_IbLb1EEEEDaS1M_S1N_EUlS1M_E_NS1_11comp_targetILNS1_3genE9ELNS1_11target_archE1100ELNS1_3gpuE3ELNS1_3repE0EEENS1_30default_config_static_selectorELNS0_4arch9wavefront6targetE1EEEvSZ_.num_vgpr, 0
	.set _ZN7rocprim17ROCPRIM_400000_NS6detail17trampoline_kernelINS0_13select_configILj256ELj13ELNS0_17block_load_methodE3ELS4_3ELS4_3ELNS0_20block_scan_algorithmE0ELj4294967295EEENS1_25partition_config_selectorILNS1_17partition_subalgoE4EjNS0_10empty_typeEbEEZZNS1_14partition_implILS8_4ELb0ES6_15HIP_vector_typeIjLj2EENS0_17counting_iteratorIjlEEPS9_SG_NS0_5tupleIJPjSI_NS0_16reverse_iteratorISI_EEEEENSH_IJSG_SG_SG_EEES9_SI_JZNS1_25segmented_radix_sort_implINS0_14default_configELb1EPKlPlSQ_SR_N2at6native12_GLOBAL__N_18offset_tEEE10hipError_tPvRmT1_PNSt15iterator_traitsISZ_E10value_typeET2_T3_PNS10_IS15_E10value_typeET4_jRbjT5_S1B_jjP12ihipStream_tbEUljE_ZNSN_ISO_Lb1ESQ_SR_SQ_SR_SV_EESW_SX_SY_SZ_S13_S14_S15_S18_S19_jS1A_jS1B_S1B_jjS1D_bEUljE0_EEESW_SX_SY_S15_S19_S1B_T6_T7_T9_mT8_S1D_bDpT10_ENKUlT_T0_E_clISt17integral_constantIbLb0EES1Q_IbLb1EEEEDaS1M_S1N_EUlS1M_E_NS1_11comp_targetILNS1_3genE9ELNS1_11target_archE1100ELNS1_3gpuE3ELNS1_3repE0EEENS1_30default_config_static_selectorELNS0_4arch9wavefront6targetE1EEEvSZ_.num_agpr, 0
	.set _ZN7rocprim17ROCPRIM_400000_NS6detail17trampoline_kernelINS0_13select_configILj256ELj13ELNS0_17block_load_methodE3ELS4_3ELS4_3ELNS0_20block_scan_algorithmE0ELj4294967295EEENS1_25partition_config_selectorILNS1_17partition_subalgoE4EjNS0_10empty_typeEbEEZZNS1_14partition_implILS8_4ELb0ES6_15HIP_vector_typeIjLj2EENS0_17counting_iteratorIjlEEPS9_SG_NS0_5tupleIJPjSI_NS0_16reverse_iteratorISI_EEEEENSH_IJSG_SG_SG_EEES9_SI_JZNS1_25segmented_radix_sort_implINS0_14default_configELb1EPKlPlSQ_SR_N2at6native12_GLOBAL__N_18offset_tEEE10hipError_tPvRmT1_PNSt15iterator_traitsISZ_E10value_typeET2_T3_PNS10_IS15_E10value_typeET4_jRbjT5_S1B_jjP12ihipStream_tbEUljE_ZNSN_ISO_Lb1ESQ_SR_SQ_SR_SV_EESW_SX_SY_SZ_S13_S14_S15_S18_S19_jS1A_jS1B_S1B_jjS1D_bEUljE0_EEESW_SX_SY_S15_S19_S1B_T6_T7_T9_mT8_S1D_bDpT10_ENKUlT_T0_E_clISt17integral_constantIbLb0EES1Q_IbLb1EEEEDaS1M_S1N_EUlS1M_E_NS1_11comp_targetILNS1_3genE9ELNS1_11target_archE1100ELNS1_3gpuE3ELNS1_3repE0EEENS1_30default_config_static_selectorELNS0_4arch9wavefront6targetE1EEEvSZ_.numbered_sgpr, 0
	.set _ZN7rocprim17ROCPRIM_400000_NS6detail17trampoline_kernelINS0_13select_configILj256ELj13ELNS0_17block_load_methodE3ELS4_3ELS4_3ELNS0_20block_scan_algorithmE0ELj4294967295EEENS1_25partition_config_selectorILNS1_17partition_subalgoE4EjNS0_10empty_typeEbEEZZNS1_14partition_implILS8_4ELb0ES6_15HIP_vector_typeIjLj2EENS0_17counting_iteratorIjlEEPS9_SG_NS0_5tupleIJPjSI_NS0_16reverse_iteratorISI_EEEEENSH_IJSG_SG_SG_EEES9_SI_JZNS1_25segmented_radix_sort_implINS0_14default_configELb1EPKlPlSQ_SR_N2at6native12_GLOBAL__N_18offset_tEEE10hipError_tPvRmT1_PNSt15iterator_traitsISZ_E10value_typeET2_T3_PNS10_IS15_E10value_typeET4_jRbjT5_S1B_jjP12ihipStream_tbEUljE_ZNSN_ISO_Lb1ESQ_SR_SQ_SR_SV_EESW_SX_SY_SZ_S13_S14_S15_S18_S19_jS1A_jS1B_S1B_jjS1D_bEUljE0_EEESW_SX_SY_S15_S19_S1B_T6_T7_T9_mT8_S1D_bDpT10_ENKUlT_T0_E_clISt17integral_constantIbLb0EES1Q_IbLb1EEEEDaS1M_S1N_EUlS1M_E_NS1_11comp_targetILNS1_3genE9ELNS1_11target_archE1100ELNS1_3gpuE3ELNS1_3repE0EEENS1_30default_config_static_selectorELNS0_4arch9wavefront6targetE1EEEvSZ_.num_named_barrier, 0
	.set _ZN7rocprim17ROCPRIM_400000_NS6detail17trampoline_kernelINS0_13select_configILj256ELj13ELNS0_17block_load_methodE3ELS4_3ELS4_3ELNS0_20block_scan_algorithmE0ELj4294967295EEENS1_25partition_config_selectorILNS1_17partition_subalgoE4EjNS0_10empty_typeEbEEZZNS1_14partition_implILS8_4ELb0ES6_15HIP_vector_typeIjLj2EENS0_17counting_iteratorIjlEEPS9_SG_NS0_5tupleIJPjSI_NS0_16reverse_iteratorISI_EEEEENSH_IJSG_SG_SG_EEES9_SI_JZNS1_25segmented_radix_sort_implINS0_14default_configELb1EPKlPlSQ_SR_N2at6native12_GLOBAL__N_18offset_tEEE10hipError_tPvRmT1_PNSt15iterator_traitsISZ_E10value_typeET2_T3_PNS10_IS15_E10value_typeET4_jRbjT5_S1B_jjP12ihipStream_tbEUljE_ZNSN_ISO_Lb1ESQ_SR_SQ_SR_SV_EESW_SX_SY_SZ_S13_S14_S15_S18_S19_jS1A_jS1B_S1B_jjS1D_bEUljE0_EEESW_SX_SY_S15_S19_S1B_T6_T7_T9_mT8_S1D_bDpT10_ENKUlT_T0_E_clISt17integral_constantIbLb0EES1Q_IbLb1EEEEDaS1M_S1N_EUlS1M_E_NS1_11comp_targetILNS1_3genE9ELNS1_11target_archE1100ELNS1_3gpuE3ELNS1_3repE0EEENS1_30default_config_static_selectorELNS0_4arch9wavefront6targetE1EEEvSZ_.private_seg_size, 0
	.set _ZN7rocprim17ROCPRIM_400000_NS6detail17trampoline_kernelINS0_13select_configILj256ELj13ELNS0_17block_load_methodE3ELS4_3ELS4_3ELNS0_20block_scan_algorithmE0ELj4294967295EEENS1_25partition_config_selectorILNS1_17partition_subalgoE4EjNS0_10empty_typeEbEEZZNS1_14partition_implILS8_4ELb0ES6_15HIP_vector_typeIjLj2EENS0_17counting_iteratorIjlEEPS9_SG_NS0_5tupleIJPjSI_NS0_16reverse_iteratorISI_EEEEENSH_IJSG_SG_SG_EEES9_SI_JZNS1_25segmented_radix_sort_implINS0_14default_configELb1EPKlPlSQ_SR_N2at6native12_GLOBAL__N_18offset_tEEE10hipError_tPvRmT1_PNSt15iterator_traitsISZ_E10value_typeET2_T3_PNS10_IS15_E10value_typeET4_jRbjT5_S1B_jjP12ihipStream_tbEUljE_ZNSN_ISO_Lb1ESQ_SR_SQ_SR_SV_EESW_SX_SY_SZ_S13_S14_S15_S18_S19_jS1A_jS1B_S1B_jjS1D_bEUljE0_EEESW_SX_SY_S15_S19_S1B_T6_T7_T9_mT8_S1D_bDpT10_ENKUlT_T0_E_clISt17integral_constantIbLb0EES1Q_IbLb1EEEEDaS1M_S1N_EUlS1M_E_NS1_11comp_targetILNS1_3genE9ELNS1_11target_archE1100ELNS1_3gpuE3ELNS1_3repE0EEENS1_30default_config_static_selectorELNS0_4arch9wavefront6targetE1EEEvSZ_.uses_vcc, 0
	.set _ZN7rocprim17ROCPRIM_400000_NS6detail17trampoline_kernelINS0_13select_configILj256ELj13ELNS0_17block_load_methodE3ELS4_3ELS4_3ELNS0_20block_scan_algorithmE0ELj4294967295EEENS1_25partition_config_selectorILNS1_17partition_subalgoE4EjNS0_10empty_typeEbEEZZNS1_14partition_implILS8_4ELb0ES6_15HIP_vector_typeIjLj2EENS0_17counting_iteratorIjlEEPS9_SG_NS0_5tupleIJPjSI_NS0_16reverse_iteratorISI_EEEEENSH_IJSG_SG_SG_EEES9_SI_JZNS1_25segmented_radix_sort_implINS0_14default_configELb1EPKlPlSQ_SR_N2at6native12_GLOBAL__N_18offset_tEEE10hipError_tPvRmT1_PNSt15iterator_traitsISZ_E10value_typeET2_T3_PNS10_IS15_E10value_typeET4_jRbjT5_S1B_jjP12ihipStream_tbEUljE_ZNSN_ISO_Lb1ESQ_SR_SQ_SR_SV_EESW_SX_SY_SZ_S13_S14_S15_S18_S19_jS1A_jS1B_S1B_jjS1D_bEUljE0_EEESW_SX_SY_S15_S19_S1B_T6_T7_T9_mT8_S1D_bDpT10_ENKUlT_T0_E_clISt17integral_constantIbLb0EES1Q_IbLb1EEEEDaS1M_S1N_EUlS1M_E_NS1_11comp_targetILNS1_3genE9ELNS1_11target_archE1100ELNS1_3gpuE3ELNS1_3repE0EEENS1_30default_config_static_selectorELNS0_4arch9wavefront6targetE1EEEvSZ_.uses_flat_scratch, 0
	.set _ZN7rocprim17ROCPRIM_400000_NS6detail17trampoline_kernelINS0_13select_configILj256ELj13ELNS0_17block_load_methodE3ELS4_3ELS4_3ELNS0_20block_scan_algorithmE0ELj4294967295EEENS1_25partition_config_selectorILNS1_17partition_subalgoE4EjNS0_10empty_typeEbEEZZNS1_14partition_implILS8_4ELb0ES6_15HIP_vector_typeIjLj2EENS0_17counting_iteratorIjlEEPS9_SG_NS0_5tupleIJPjSI_NS0_16reverse_iteratorISI_EEEEENSH_IJSG_SG_SG_EEES9_SI_JZNS1_25segmented_radix_sort_implINS0_14default_configELb1EPKlPlSQ_SR_N2at6native12_GLOBAL__N_18offset_tEEE10hipError_tPvRmT1_PNSt15iterator_traitsISZ_E10value_typeET2_T3_PNS10_IS15_E10value_typeET4_jRbjT5_S1B_jjP12ihipStream_tbEUljE_ZNSN_ISO_Lb1ESQ_SR_SQ_SR_SV_EESW_SX_SY_SZ_S13_S14_S15_S18_S19_jS1A_jS1B_S1B_jjS1D_bEUljE0_EEESW_SX_SY_S15_S19_S1B_T6_T7_T9_mT8_S1D_bDpT10_ENKUlT_T0_E_clISt17integral_constantIbLb0EES1Q_IbLb1EEEEDaS1M_S1N_EUlS1M_E_NS1_11comp_targetILNS1_3genE9ELNS1_11target_archE1100ELNS1_3gpuE3ELNS1_3repE0EEENS1_30default_config_static_selectorELNS0_4arch9wavefront6targetE1EEEvSZ_.has_dyn_sized_stack, 0
	.set _ZN7rocprim17ROCPRIM_400000_NS6detail17trampoline_kernelINS0_13select_configILj256ELj13ELNS0_17block_load_methodE3ELS4_3ELS4_3ELNS0_20block_scan_algorithmE0ELj4294967295EEENS1_25partition_config_selectorILNS1_17partition_subalgoE4EjNS0_10empty_typeEbEEZZNS1_14partition_implILS8_4ELb0ES6_15HIP_vector_typeIjLj2EENS0_17counting_iteratorIjlEEPS9_SG_NS0_5tupleIJPjSI_NS0_16reverse_iteratorISI_EEEEENSH_IJSG_SG_SG_EEES9_SI_JZNS1_25segmented_radix_sort_implINS0_14default_configELb1EPKlPlSQ_SR_N2at6native12_GLOBAL__N_18offset_tEEE10hipError_tPvRmT1_PNSt15iterator_traitsISZ_E10value_typeET2_T3_PNS10_IS15_E10value_typeET4_jRbjT5_S1B_jjP12ihipStream_tbEUljE_ZNSN_ISO_Lb1ESQ_SR_SQ_SR_SV_EESW_SX_SY_SZ_S13_S14_S15_S18_S19_jS1A_jS1B_S1B_jjS1D_bEUljE0_EEESW_SX_SY_S15_S19_S1B_T6_T7_T9_mT8_S1D_bDpT10_ENKUlT_T0_E_clISt17integral_constantIbLb0EES1Q_IbLb1EEEEDaS1M_S1N_EUlS1M_E_NS1_11comp_targetILNS1_3genE9ELNS1_11target_archE1100ELNS1_3gpuE3ELNS1_3repE0EEENS1_30default_config_static_selectorELNS0_4arch9wavefront6targetE1EEEvSZ_.has_recursion, 0
	.set _ZN7rocprim17ROCPRIM_400000_NS6detail17trampoline_kernelINS0_13select_configILj256ELj13ELNS0_17block_load_methodE3ELS4_3ELS4_3ELNS0_20block_scan_algorithmE0ELj4294967295EEENS1_25partition_config_selectorILNS1_17partition_subalgoE4EjNS0_10empty_typeEbEEZZNS1_14partition_implILS8_4ELb0ES6_15HIP_vector_typeIjLj2EENS0_17counting_iteratorIjlEEPS9_SG_NS0_5tupleIJPjSI_NS0_16reverse_iteratorISI_EEEEENSH_IJSG_SG_SG_EEES9_SI_JZNS1_25segmented_radix_sort_implINS0_14default_configELb1EPKlPlSQ_SR_N2at6native12_GLOBAL__N_18offset_tEEE10hipError_tPvRmT1_PNSt15iterator_traitsISZ_E10value_typeET2_T3_PNS10_IS15_E10value_typeET4_jRbjT5_S1B_jjP12ihipStream_tbEUljE_ZNSN_ISO_Lb1ESQ_SR_SQ_SR_SV_EESW_SX_SY_SZ_S13_S14_S15_S18_S19_jS1A_jS1B_S1B_jjS1D_bEUljE0_EEESW_SX_SY_S15_S19_S1B_T6_T7_T9_mT8_S1D_bDpT10_ENKUlT_T0_E_clISt17integral_constantIbLb0EES1Q_IbLb1EEEEDaS1M_S1N_EUlS1M_E_NS1_11comp_targetILNS1_3genE9ELNS1_11target_archE1100ELNS1_3gpuE3ELNS1_3repE0EEENS1_30default_config_static_selectorELNS0_4arch9wavefront6targetE1EEEvSZ_.has_indirect_call, 0
	.section	.AMDGPU.csdata,"",@progbits
; Kernel info:
; codeLenInByte = 0
; TotalNumSgprs: 4
; NumVgprs: 0
; ScratchSize: 0
; MemoryBound: 0
; FloatMode: 240
; IeeeMode: 1
; LDSByteSize: 0 bytes/workgroup (compile time only)
; SGPRBlocks: 0
; VGPRBlocks: 0
; NumSGPRsForWavesPerEU: 4
; NumVGPRsForWavesPerEU: 1
; Occupancy: 10
; WaveLimiterHint : 0
; COMPUTE_PGM_RSRC2:SCRATCH_EN: 0
; COMPUTE_PGM_RSRC2:USER_SGPR: 6
; COMPUTE_PGM_RSRC2:TRAP_HANDLER: 0
; COMPUTE_PGM_RSRC2:TGID_X_EN: 1
; COMPUTE_PGM_RSRC2:TGID_Y_EN: 0
; COMPUTE_PGM_RSRC2:TGID_Z_EN: 0
; COMPUTE_PGM_RSRC2:TIDIG_COMP_CNT: 0
	.section	.text._ZN7rocprim17ROCPRIM_400000_NS6detail17trampoline_kernelINS0_13select_configILj256ELj13ELNS0_17block_load_methodE3ELS4_3ELS4_3ELNS0_20block_scan_algorithmE0ELj4294967295EEENS1_25partition_config_selectorILNS1_17partition_subalgoE4EjNS0_10empty_typeEbEEZZNS1_14partition_implILS8_4ELb0ES6_15HIP_vector_typeIjLj2EENS0_17counting_iteratorIjlEEPS9_SG_NS0_5tupleIJPjSI_NS0_16reverse_iteratorISI_EEEEENSH_IJSG_SG_SG_EEES9_SI_JZNS1_25segmented_radix_sort_implINS0_14default_configELb1EPKlPlSQ_SR_N2at6native12_GLOBAL__N_18offset_tEEE10hipError_tPvRmT1_PNSt15iterator_traitsISZ_E10value_typeET2_T3_PNS10_IS15_E10value_typeET4_jRbjT5_S1B_jjP12ihipStream_tbEUljE_ZNSN_ISO_Lb1ESQ_SR_SQ_SR_SV_EESW_SX_SY_SZ_S13_S14_S15_S18_S19_jS1A_jS1B_S1B_jjS1D_bEUljE0_EEESW_SX_SY_S15_S19_S1B_T6_T7_T9_mT8_S1D_bDpT10_ENKUlT_T0_E_clISt17integral_constantIbLb0EES1Q_IbLb1EEEEDaS1M_S1N_EUlS1M_E_NS1_11comp_targetILNS1_3genE8ELNS1_11target_archE1030ELNS1_3gpuE2ELNS1_3repE0EEENS1_30default_config_static_selectorELNS0_4arch9wavefront6targetE1EEEvSZ_,"axG",@progbits,_ZN7rocprim17ROCPRIM_400000_NS6detail17trampoline_kernelINS0_13select_configILj256ELj13ELNS0_17block_load_methodE3ELS4_3ELS4_3ELNS0_20block_scan_algorithmE0ELj4294967295EEENS1_25partition_config_selectorILNS1_17partition_subalgoE4EjNS0_10empty_typeEbEEZZNS1_14partition_implILS8_4ELb0ES6_15HIP_vector_typeIjLj2EENS0_17counting_iteratorIjlEEPS9_SG_NS0_5tupleIJPjSI_NS0_16reverse_iteratorISI_EEEEENSH_IJSG_SG_SG_EEES9_SI_JZNS1_25segmented_radix_sort_implINS0_14default_configELb1EPKlPlSQ_SR_N2at6native12_GLOBAL__N_18offset_tEEE10hipError_tPvRmT1_PNSt15iterator_traitsISZ_E10value_typeET2_T3_PNS10_IS15_E10value_typeET4_jRbjT5_S1B_jjP12ihipStream_tbEUljE_ZNSN_ISO_Lb1ESQ_SR_SQ_SR_SV_EESW_SX_SY_SZ_S13_S14_S15_S18_S19_jS1A_jS1B_S1B_jjS1D_bEUljE0_EEESW_SX_SY_S15_S19_S1B_T6_T7_T9_mT8_S1D_bDpT10_ENKUlT_T0_E_clISt17integral_constantIbLb0EES1Q_IbLb1EEEEDaS1M_S1N_EUlS1M_E_NS1_11comp_targetILNS1_3genE8ELNS1_11target_archE1030ELNS1_3gpuE2ELNS1_3repE0EEENS1_30default_config_static_selectorELNS0_4arch9wavefront6targetE1EEEvSZ_,comdat
	.globl	_ZN7rocprim17ROCPRIM_400000_NS6detail17trampoline_kernelINS0_13select_configILj256ELj13ELNS0_17block_load_methodE3ELS4_3ELS4_3ELNS0_20block_scan_algorithmE0ELj4294967295EEENS1_25partition_config_selectorILNS1_17partition_subalgoE4EjNS0_10empty_typeEbEEZZNS1_14partition_implILS8_4ELb0ES6_15HIP_vector_typeIjLj2EENS0_17counting_iteratorIjlEEPS9_SG_NS0_5tupleIJPjSI_NS0_16reverse_iteratorISI_EEEEENSH_IJSG_SG_SG_EEES9_SI_JZNS1_25segmented_radix_sort_implINS0_14default_configELb1EPKlPlSQ_SR_N2at6native12_GLOBAL__N_18offset_tEEE10hipError_tPvRmT1_PNSt15iterator_traitsISZ_E10value_typeET2_T3_PNS10_IS15_E10value_typeET4_jRbjT5_S1B_jjP12ihipStream_tbEUljE_ZNSN_ISO_Lb1ESQ_SR_SQ_SR_SV_EESW_SX_SY_SZ_S13_S14_S15_S18_S19_jS1A_jS1B_S1B_jjS1D_bEUljE0_EEESW_SX_SY_S15_S19_S1B_T6_T7_T9_mT8_S1D_bDpT10_ENKUlT_T0_E_clISt17integral_constantIbLb0EES1Q_IbLb1EEEEDaS1M_S1N_EUlS1M_E_NS1_11comp_targetILNS1_3genE8ELNS1_11target_archE1030ELNS1_3gpuE2ELNS1_3repE0EEENS1_30default_config_static_selectorELNS0_4arch9wavefront6targetE1EEEvSZ_ ; -- Begin function _ZN7rocprim17ROCPRIM_400000_NS6detail17trampoline_kernelINS0_13select_configILj256ELj13ELNS0_17block_load_methodE3ELS4_3ELS4_3ELNS0_20block_scan_algorithmE0ELj4294967295EEENS1_25partition_config_selectorILNS1_17partition_subalgoE4EjNS0_10empty_typeEbEEZZNS1_14partition_implILS8_4ELb0ES6_15HIP_vector_typeIjLj2EENS0_17counting_iteratorIjlEEPS9_SG_NS0_5tupleIJPjSI_NS0_16reverse_iteratorISI_EEEEENSH_IJSG_SG_SG_EEES9_SI_JZNS1_25segmented_radix_sort_implINS0_14default_configELb1EPKlPlSQ_SR_N2at6native12_GLOBAL__N_18offset_tEEE10hipError_tPvRmT1_PNSt15iterator_traitsISZ_E10value_typeET2_T3_PNS10_IS15_E10value_typeET4_jRbjT5_S1B_jjP12ihipStream_tbEUljE_ZNSN_ISO_Lb1ESQ_SR_SQ_SR_SV_EESW_SX_SY_SZ_S13_S14_S15_S18_S19_jS1A_jS1B_S1B_jjS1D_bEUljE0_EEESW_SX_SY_S15_S19_S1B_T6_T7_T9_mT8_S1D_bDpT10_ENKUlT_T0_E_clISt17integral_constantIbLb0EES1Q_IbLb1EEEEDaS1M_S1N_EUlS1M_E_NS1_11comp_targetILNS1_3genE8ELNS1_11target_archE1030ELNS1_3gpuE2ELNS1_3repE0EEENS1_30default_config_static_selectorELNS0_4arch9wavefront6targetE1EEEvSZ_
	.p2align	8
	.type	_ZN7rocprim17ROCPRIM_400000_NS6detail17trampoline_kernelINS0_13select_configILj256ELj13ELNS0_17block_load_methodE3ELS4_3ELS4_3ELNS0_20block_scan_algorithmE0ELj4294967295EEENS1_25partition_config_selectorILNS1_17partition_subalgoE4EjNS0_10empty_typeEbEEZZNS1_14partition_implILS8_4ELb0ES6_15HIP_vector_typeIjLj2EENS0_17counting_iteratorIjlEEPS9_SG_NS0_5tupleIJPjSI_NS0_16reverse_iteratorISI_EEEEENSH_IJSG_SG_SG_EEES9_SI_JZNS1_25segmented_radix_sort_implINS0_14default_configELb1EPKlPlSQ_SR_N2at6native12_GLOBAL__N_18offset_tEEE10hipError_tPvRmT1_PNSt15iterator_traitsISZ_E10value_typeET2_T3_PNS10_IS15_E10value_typeET4_jRbjT5_S1B_jjP12ihipStream_tbEUljE_ZNSN_ISO_Lb1ESQ_SR_SQ_SR_SV_EESW_SX_SY_SZ_S13_S14_S15_S18_S19_jS1A_jS1B_S1B_jjS1D_bEUljE0_EEESW_SX_SY_S15_S19_S1B_T6_T7_T9_mT8_S1D_bDpT10_ENKUlT_T0_E_clISt17integral_constantIbLb0EES1Q_IbLb1EEEEDaS1M_S1N_EUlS1M_E_NS1_11comp_targetILNS1_3genE8ELNS1_11target_archE1030ELNS1_3gpuE2ELNS1_3repE0EEENS1_30default_config_static_selectorELNS0_4arch9wavefront6targetE1EEEvSZ_,@function
_ZN7rocprim17ROCPRIM_400000_NS6detail17trampoline_kernelINS0_13select_configILj256ELj13ELNS0_17block_load_methodE3ELS4_3ELS4_3ELNS0_20block_scan_algorithmE0ELj4294967295EEENS1_25partition_config_selectorILNS1_17partition_subalgoE4EjNS0_10empty_typeEbEEZZNS1_14partition_implILS8_4ELb0ES6_15HIP_vector_typeIjLj2EENS0_17counting_iteratorIjlEEPS9_SG_NS0_5tupleIJPjSI_NS0_16reverse_iteratorISI_EEEEENSH_IJSG_SG_SG_EEES9_SI_JZNS1_25segmented_radix_sort_implINS0_14default_configELb1EPKlPlSQ_SR_N2at6native12_GLOBAL__N_18offset_tEEE10hipError_tPvRmT1_PNSt15iterator_traitsISZ_E10value_typeET2_T3_PNS10_IS15_E10value_typeET4_jRbjT5_S1B_jjP12ihipStream_tbEUljE_ZNSN_ISO_Lb1ESQ_SR_SQ_SR_SV_EESW_SX_SY_SZ_S13_S14_S15_S18_S19_jS1A_jS1B_S1B_jjS1D_bEUljE0_EEESW_SX_SY_S15_S19_S1B_T6_T7_T9_mT8_S1D_bDpT10_ENKUlT_T0_E_clISt17integral_constantIbLb0EES1Q_IbLb1EEEEDaS1M_S1N_EUlS1M_E_NS1_11comp_targetILNS1_3genE8ELNS1_11target_archE1030ELNS1_3gpuE2ELNS1_3repE0EEENS1_30default_config_static_selectorELNS0_4arch9wavefront6targetE1EEEvSZ_: ; @_ZN7rocprim17ROCPRIM_400000_NS6detail17trampoline_kernelINS0_13select_configILj256ELj13ELNS0_17block_load_methodE3ELS4_3ELS4_3ELNS0_20block_scan_algorithmE0ELj4294967295EEENS1_25partition_config_selectorILNS1_17partition_subalgoE4EjNS0_10empty_typeEbEEZZNS1_14partition_implILS8_4ELb0ES6_15HIP_vector_typeIjLj2EENS0_17counting_iteratorIjlEEPS9_SG_NS0_5tupleIJPjSI_NS0_16reverse_iteratorISI_EEEEENSH_IJSG_SG_SG_EEES9_SI_JZNS1_25segmented_radix_sort_implINS0_14default_configELb1EPKlPlSQ_SR_N2at6native12_GLOBAL__N_18offset_tEEE10hipError_tPvRmT1_PNSt15iterator_traitsISZ_E10value_typeET2_T3_PNS10_IS15_E10value_typeET4_jRbjT5_S1B_jjP12ihipStream_tbEUljE_ZNSN_ISO_Lb1ESQ_SR_SQ_SR_SV_EESW_SX_SY_SZ_S13_S14_S15_S18_S19_jS1A_jS1B_S1B_jjS1D_bEUljE0_EEESW_SX_SY_S15_S19_S1B_T6_T7_T9_mT8_S1D_bDpT10_ENKUlT_T0_E_clISt17integral_constantIbLb0EES1Q_IbLb1EEEEDaS1M_S1N_EUlS1M_E_NS1_11comp_targetILNS1_3genE8ELNS1_11target_archE1030ELNS1_3gpuE2ELNS1_3repE0EEENS1_30default_config_static_selectorELNS0_4arch9wavefront6targetE1EEEvSZ_
; %bb.0:
	.section	.rodata,"a",@progbits
	.p2align	6, 0x0
	.amdhsa_kernel _ZN7rocprim17ROCPRIM_400000_NS6detail17trampoline_kernelINS0_13select_configILj256ELj13ELNS0_17block_load_methodE3ELS4_3ELS4_3ELNS0_20block_scan_algorithmE0ELj4294967295EEENS1_25partition_config_selectorILNS1_17partition_subalgoE4EjNS0_10empty_typeEbEEZZNS1_14partition_implILS8_4ELb0ES6_15HIP_vector_typeIjLj2EENS0_17counting_iteratorIjlEEPS9_SG_NS0_5tupleIJPjSI_NS0_16reverse_iteratorISI_EEEEENSH_IJSG_SG_SG_EEES9_SI_JZNS1_25segmented_radix_sort_implINS0_14default_configELb1EPKlPlSQ_SR_N2at6native12_GLOBAL__N_18offset_tEEE10hipError_tPvRmT1_PNSt15iterator_traitsISZ_E10value_typeET2_T3_PNS10_IS15_E10value_typeET4_jRbjT5_S1B_jjP12ihipStream_tbEUljE_ZNSN_ISO_Lb1ESQ_SR_SQ_SR_SV_EESW_SX_SY_SZ_S13_S14_S15_S18_S19_jS1A_jS1B_S1B_jjS1D_bEUljE0_EEESW_SX_SY_S15_S19_S1B_T6_T7_T9_mT8_S1D_bDpT10_ENKUlT_T0_E_clISt17integral_constantIbLb0EES1Q_IbLb1EEEEDaS1M_S1N_EUlS1M_E_NS1_11comp_targetILNS1_3genE8ELNS1_11target_archE1030ELNS1_3gpuE2ELNS1_3repE0EEENS1_30default_config_static_selectorELNS0_4arch9wavefront6targetE1EEEvSZ_
		.amdhsa_group_segment_fixed_size 0
		.amdhsa_private_segment_fixed_size 0
		.amdhsa_kernarg_size 184
		.amdhsa_user_sgpr_count 6
		.amdhsa_user_sgpr_private_segment_buffer 1
		.amdhsa_user_sgpr_dispatch_ptr 0
		.amdhsa_user_sgpr_queue_ptr 0
		.amdhsa_user_sgpr_kernarg_segment_ptr 1
		.amdhsa_user_sgpr_dispatch_id 0
		.amdhsa_user_sgpr_flat_scratch_init 0
		.amdhsa_user_sgpr_private_segment_size 0
		.amdhsa_uses_dynamic_stack 0
		.amdhsa_system_sgpr_private_segment_wavefront_offset 0
		.amdhsa_system_sgpr_workgroup_id_x 1
		.amdhsa_system_sgpr_workgroup_id_y 0
		.amdhsa_system_sgpr_workgroup_id_z 0
		.amdhsa_system_sgpr_workgroup_info 0
		.amdhsa_system_vgpr_workitem_id 0
		.amdhsa_next_free_vgpr 1
		.amdhsa_next_free_sgpr 0
		.amdhsa_reserve_vcc 0
		.amdhsa_reserve_flat_scratch 0
		.amdhsa_float_round_mode_32 0
		.amdhsa_float_round_mode_16_64 0
		.amdhsa_float_denorm_mode_32 3
		.amdhsa_float_denorm_mode_16_64 3
		.amdhsa_dx10_clamp 1
		.amdhsa_ieee_mode 1
		.amdhsa_fp16_overflow 0
		.amdhsa_exception_fp_ieee_invalid_op 0
		.amdhsa_exception_fp_denorm_src 0
		.amdhsa_exception_fp_ieee_div_zero 0
		.amdhsa_exception_fp_ieee_overflow 0
		.amdhsa_exception_fp_ieee_underflow 0
		.amdhsa_exception_fp_ieee_inexact 0
		.amdhsa_exception_int_div_zero 0
	.end_amdhsa_kernel
	.section	.text._ZN7rocprim17ROCPRIM_400000_NS6detail17trampoline_kernelINS0_13select_configILj256ELj13ELNS0_17block_load_methodE3ELS4_3ELS4_3ELNS0_20block_scan_algorithmE0ELj4294967295EEENS1_25partition_config_selectorILNS1_17partition_subalgoE4EjNS0_10empty_typeEbEEZZNS1_14partition_implILS8_4ELb0ES6_15HIP_vector_typeIjLj2EENS0_17counting_iteratorIjlEEPS9_SG_NS0_5tupleIJPjSI_NS0_16reverse_iteratorISI_EEEEENSH_IJSG_SG_SG_EEES9_SI_JZNS1_25segmented_radix_sort_implINS0_14default_configELb1EPKlPlSQ_SR_N2at6native12_GLOBAL__N_18offset_tEEE10hipError_tPvRmT1_PNSt15iterator_traitsISZ_E10value_typeET2_T3_PNS10_IS15_E10value_typeET4_jRbjT5_S1B_jjP12ihipStream_tbEUljE_ZNSN_ISO_Lb1ESQ_SR_SQ_SR_SV_EESW_SX_SY_SZ_S13_S14_S15_S18_S19_jS1A_jS1B_S1B_jjS1D_bEUljE0_EEESW_SX_SY_S15_S19_S1B_T6_T7_T9_mT8_S1D_bDpT10_ENKUlT_T0_E_clISt17integral_constantIbLb0EES1Q_IbLb1EEEEDaS1M_S1N_EUlS1M_E_NS1_11comp_targetILNS1_3genE8ELNS1_11target_archE1030ELNS1_3gpuE2ELNS1_3repE0EEENS1_30default_config_static_selectorELNS0_4arch9wavefront6targetE1EEEvSZ_,"axG",@progbits,_ZN7rocprim17ROCPRIM_400000_NS6detail17trampoline_kernelINS0_13select_configILj256ELj13ELNS0_17block_load_methodE3ELS4_3ELS4_3ELNS0_20block_scan_algorithmE0ELj4294967295EEENS1_25partition_config_selectorILNS1_17partition_subalgoE4EjNS0_10empty_typeEbEEZZNS1_14partition_implILS8_4ELb0ES6_15HIP_vector_typeIjLj2EENS0_17counting_iteratorIjlEEPS9_SG_NS0_5tupleIJPjSI_NS0_16reverse_iteratorISI_EEEEENSH_IJSG_SG_SG_EEES9_SI_JZNS1_25segmented_radix_sort_implINS0_14default_configELb1EPKlPlSQ_SR_N2at6native12_GLOBAL__N_18offset_tEEE10hipError_tPvRmT1_PNSt15iterator_traitsISZ_E10value_typeET2_T3_PNS10_IS15_E10value_typeET4_jRbjT5_S1B_jjP12ihipStream_tbEUljE_ZNSN_ISO_Lb1ESQ_SR_SQ_SR_SV_EESW_SX_SY_SZ_S13_S14_S15_S18_S19_jS1A_jS1B_S1B_jjS1D_bEUljE0_EEESW_SX_SY_S15_S19_S1B_T6_T7_T9_mT8_S1D_bDpT10_ENKUlT_T0_E_clISt17integral_constantIbLb0EES1Q_IbLb1EEEEDaS1M_S1N_EUlS1M_E_NS1_11comp_targetILNS1_3genE8ELNS1_11target_archE1030ELNS1_3gpuE2ELNS1_3repE0EEENS1_30default_config_static_selectorELNS0_4arch9wavefront6targetE1EEEvSZ_,comdat
.Lfunc_end671:
	.size	_ZN7rocprim17ROCPRIM_400000_NS6detail17trampoline_kernelINS0_13select_configILj256ELj13ELNS0_17block_load_methodE3ELS4_3ELS4_3ELNS0_20block_scan_algorithmE0ELj4294967295EEENS1_25partition_config_selectorILNS1_17partition_subalgoE4EjNS0_10empty_typeEbEEZZNS1_14partition_implILS8_4ELb0ES6_15HIP_vector_typeIjLj2EENS0_17counting_iteratorIjlEEPS9_SG_NS0_5tupleIJPjSI_NS0_16reverse_iteratorISI_EEEEENSH_IJSG_SG_SG_EEES9_SI_JZNS1_25segmented_radix_sort_implINS0_14default_configELb1EPKlPlSQ_SR_N2at6native12_GLOBAL__N_18offset_tEEE10hipError_tPvRmT1_PNSt15iterator_traitsISZ_E10value_typeET2_T3_PNS10_IS15_E10value_typeET4_jRbjT5_S1B_jjP12ihipStream_tbEUljE_ZNSN_ISO_Lb1ESQ_SR_SQ_SR_SV_EESW_SX_SY_SZ_S13_S14_S15_S18_S19_jS1A_jS1B_S1B_jjS1D_bEUljE0_EEESW_SX_SY_S15_S19_S1B_T6_T7_T9_mT8_S1D_bDpT10_ENKUlT_T0_E_clISt17integral_constantIbLb0EES1Q_IbLb1EEEEDaS1M_S1N_EUlS1M_E_NS1_11comp_targetILNS1_3genE8ELNS1_11target_archE1030ELNS1_3gpuE2ELNS1_3repE0EEENS1_30default_config_static_selectorELNS0_4arch9wavefront6targetE1EEEvSZ_, .Lfunc_end671-_ZN7rocprim17ROCPRIM_400000_NS6detail17trampoline_kernelINS0_13select_configILj256ELj13ELNS0_17block_load_methodE3ELS4_3ELS4_3ELNS0_20block_scan_algorithmE0ELj4294967295EEENS1_25partition_config_selectorILNS1_17partition_subalgoE4EjNS0_10empty_typeEbEEZZNS1_14partition_implILS8_4ELb0ES6_15HIP_vector_typeIjLj2EENS0_17counting_iteratorIjlEEPS9_SG_NS0_5tupleIJPjSI_NS0_16reverse_iteratorISI_EEEEENSH_IJSG_SG_SG_EEES9_SI_JZNS1_25segmented_radix_sort_implINS0_14default_configELb1EPKlPlSQ_SR_N2at6native12_GLOBAL__N_18offset_tEEE10hipError_tPvRmT1_PNSt15iterator_traitsISZ_E10value_typeET2_T3_PNS10_IS15_E10value_typeET4_jRbjT5_S1B_jjP12ihipStream_tbEUljE_ZNSN_ISO_Lb1ESQ_SR_SQ_SR_SV_EESW_SX_SY_SZ_S13_S14_S15_S18_S19_jS1A_jS1B_S1B_jjS1D_bEUljE0_EEESW_SX_SY_S15_S19_S1B_T6_T7_T9_mT8_S1D_bDpT10_ENKUlT_T0_E_clISt17integral_constantIbLb0EES1Q_IbLb1EEEEDaS1M_S1N_EUlS1M_E_NS1_11comp_targetILNS1_3genE8ELNS1_11target_archE1030ELNS1_3gpuE2ELNS1_3repE0EEENS1_30default_config_static_selectorELNS0_4arch9wavefront6targetE1EEEvSZ_
                                        ; -- End function
	.set _ZN7rocprim17ROCPRIM_400000_NS6detail17trampoline_kernelINS0_13select_configILj256ELj13ELNS0_17block_load_methodE3ELS4_3ELS4_3ELNS0_20block_scan_algorithmE0ELj4294967295EEENS1_25partition_config_selectorILNS1_17partition_subalgoE4EjNS0_10empty_typeEbEEZZNS1_14partition_implILS8_4ELb0ES6_15HIP_vector_typeIjLj2EENS0_17counting_iteratorIjlEEPS9_SG_NS0_5tupleIJPjSI_NS0_16reverse_iteratorISI_EEEEENSH_IJSG_SG_SG_EEES9_SI_JZNS1_25segmented_radix_sort_implINS0_14default_configELb1EPKlPlSQ_SR_N2at6native12_GLOBAL__N_18offset_tEEE10hipError_tPvRmT1_PNSt15iterator_traitsISZ_E10value_typeET2_T3_PNS10_IS15_E10value_typeET4_jRbjT5_S1B_jjP12ihipStream_tbEUljE_ZNSN_ISO_Lb1ESQ_SR_SQ_SR_SV_EESW_SX_SY_SZ_S13_S14_S15_S18_S19_jS1A_jS1B_S1B_jjS1D_bEUljE0_EEESW_SX_SY_S15_S19_S1B_T6_T7_T9_mT8_S1D_bDpT10_ENKUlT_T0_E_clISt17integral_constantIbLb0EES1Q_IbLb1EEEEDaS1M_S1N_EUlS1M_E_NS1_11comp_targetILNS1_3genE8ELNS1_11target_archE1030ELNS1_3gpuE2ELNS1_3repE0EEENS1_30default_config_static_selectorELNS0_4arch9wavefront6targetE1EEEvSZ_.num_vgpr, 0
	.set _ZN7rocprim17ROCPRIM_400000_NS6detail17trampoline_kernelINS0_13select_configILj256ELj13ELNS0_17block_load_methodE3ELS4_3ELS4_3ELNS0_20block_scan_algorithmE0ELj4294967295EEENS1_25partition_config_selectorILNS1_17partition_subalgoE4EjNS0_10empty_typeEbEEZZNS1_14partition_implILS8_4ELb0ES6_15HIP_vector_typeIjLj2EENS0_17counting_iteratorIjlEEPS9_SG_NS0_5tupleIJPjSI_NS0_16reverse_iteratorISI_EEEEENSH_IJSG_SG_SG_EEES9_SI_JZNS1_25segmented_radix_sort_implINS0_14default_configELb1EPKlPlSQ_SR_N2at6native12_GLOBAL__N_18offset_tEEE10hipError_tPvRmT1_PNSt15iterator_traitsISZ_E10value_typeET2_T3_PNS10_IS15_E10value_typeET4_jRbjT5_S1B_jjP12ihipStream_tbEUljE_ZNSN_ISO_Lb1ESQ_SR_SQ_SR_SV_EESW_SX_SY_SZ_S13_S14_S15_S18_S19_jS1A_jS1B_S1B_jjS1D_bEUljE0_EEESW_SX_SY_S15_S19_S1B_T6_T7_T9_mT8_S1D_bDpT10_ENKUlT_T0_E_clISt17integral_constantIbLb0EES1Q_IbLb1EEEEDaS1M_S1N_EUlS1M_E_NS1_11comp_targetILNS1_3genE8ELNS1_11target_archE1030ELNS1_3gpuE2ELNS1_3repE0EEENS1_30default_config_static_selectorELNS0_4arch9wavefront6targetE1EEEvSZ_.num_agpr, 0
	.set _ZN7rocprim17ROCPRIM_400000_NS6detail17trampoline_kernelINS0_13select_configILj256ELj13ELNS0_17block_load_methodE3ELS4_3ELS4_3ELNS0_20block_scan_algorithmE0ELj4294967295EEENS1_25partition_config_selectorILNS1_17partition_subalgoE4EjNS0_10empty_typeEbEEZZNS1_14partition_implILS8_4ELb0ES6_15HIP_vector_typeIjLj2EENS0_17counting_iteratorIjlEEPS9_SG_NS0_5tupleIJPjSI_NS0_16reverse_iteratorISI_EEEEENSH_IJSG_SG_SG_EEES9_SI_JZNS1_25segmented_radix_sort_implINS0_14default_configELb1EPKlPlSQ_SR_N2at6native12_GLOBAL__N_18offset_tEEE10hipError_tPvRmT1_PNSt15iterator_traitsISZ_E10value_typeET2_T3_PNS10_IS15_E10value_typeET4_jRbjT5_S1B_jjP12ihipStream_tbEUljE_ZNSN_ISO_Lb1ESQ_SR_SQ_SR_SV_EESW_SX_SY_SZ_S13_S14_S15_S18_S19_jS1A_jS1B_S1B_jjS1D_bEUljE0_EEESW_SX_SY_S15_S19_S1B_T6_T7_T9_mT8_S1D_bDpT10_ENKUlT_T0_E_clISt17integral_constantIbLb0EES1Q_IbLb1EEEEDaS1M_S1N_EUlS1M_E_NS1_11comp_targetILNS1_3genE8ELNS1_11target_archE1030ELNS1_3gpuE2ELNS1_3repE0EEENS1_30default_config_static_selectorELNS0_4arch9wavefront6targetE1EEEvSZ_.numbered_sgpr, 0
	.set _ZN7rocprim17ROCPRIM_400000_NS6detail17trampoline_kernelINS0_13select_configILj256ELj13ELNS0_17block_load_methodE3ELS4_3ELS4_3ELNS0_20block_scan_algorithmE0ELj4294967295EEENS1_25partition_config_selectorILNS1_17partition_subalgoE4EjNS0_10empty_typeEbEEZZNS1_14partition_implILS8_4ELb0ES6_15HIP_vector_typeIjLj2EENS0_17counting_iteratorIjlEEPS9_SG_NS0_5tupleIJPjSI_NS0_16reverse_iteratorISI_EEEEENSH_IJSG_SG_SG_EEES9_SI_JZNS1_25segmented_radix_sort_implINS0_14default_configELb1EPKlPlSQ_SR_N2at6native12_GLOBAL__N_18offset_tEEE10hipError_tPvRmT1_PNSt15iterator_traitsISZ_E10value_typeET2_T3_PNS10_IS15_E10value_typeET4_jRbjT5_S1B_jjP12ihipStream_tbEUljE_ZNSN_ISO_Lb1ESQ_SR_SQ_SR_SV_EESW_SX_SY_SZ_S13_S14_S15_S18_S19_jS1A_jS1B_S1B_jjS1D_bEUljE0_EEESW_SX_SY_S15_S19_S1B_T6_T7_T9_mT8_S1D_bDpT10_ENKUlT_T0_E_clISt17integral_constantIbLb0EES1Q_IbLb1EEEEDaS1M_S1N_EUlS1M_E_NS1_11comp_targetILNS1_3genE8ELNS1_11target_archE1030ELNS1_3gpuE2ELNS1_3repE0EEENS1_30default_config_static_selectorELNS0_4arch9wavefront6targetE1EEEvSZ_.num_named_barrier, 0
	.set _ZN7rocprim17ROCPRIM_400000_NS6detail17trampoline_kernelINS0_13select_configILj256ELj13ELNS0_17block_load_methodE3ELS4_3ELS4_3ELNS0_20block_scan_algorithmE0ELj4294967295EEENS1_25partition_config_selectorILNS1_17partition_subalgoE4EjNS0_10empty_typeEbEEZZNS1_14partition_implILS8_4ELb0ES6_15HIP_vector_typeIjLj2EENS0_17counting_iteratorIjlEEPS9_SG_NS0_5tupleIJPjSI_NS0_16reverse_iteratorISI_EEEEENSH_IJSG_SG_SG_EEES9_SI_JZNS1_25segmented_radix_sort_implINS0_14default_configELb1EPKlPlSQ_SR_N2at6native12_GLOBAL__N_18offset_tEEE10hipError_tPvRmT1_PNSt15iterator_traitsISZ_E10value_typeET2_T3_PNS10_IS15_E10value_typeET4_jRbjT5_S1B_jjP12ihipStream_tbEUljE_ZNSN_ISO_Lb1ESQ_SR_SQ_SR_SV_EESW_SX_SY_SZ_S13_S14_S15_S18_S19_jS1A_jS1B_S1B_jjS1D_bEUljE0_EEESW_SX_SY_S15_S19_S1B_T6_T7_T9_mT8_S1D_bDpT10_ENKUlT_T0_E_clISt17integral_constantIbLb0EES1Q_IbLb1EEEEDaS1M_S1N_EUlS1M_E_NS1_11comp_targetILNS1_3genE8ELNS1_11target_archE1030ELNS1_3gpuE2ELNS1_3repE0EEENS1_30default_config_static_selectorELNS0_4arch9wavefront6targetE1EEEvSZ_.private_seg_size, 0
	.set _ZN7rocprim17ROCPRIM_400000_NS6detail17trampoline_kernelINS0_13select_configILj256ELj13ELNS0_17block_load_methodE3ELS4_3ELS4_3ELNS0_20block_scan_algorithmE0ELj4294967295EEENS1_25partition_config_selectorILNS1_17partition_subalgoE4EjNS0_10empty_typeEbEEZZNS1_14partition_implILS8_4ELb0ES6_15HIP_vector_typeIjLj2EENS0_17counting_iteratorIjlEEPS9_SG_NS0_5tupleIJPjSI_NS0_16reverse_iteratorISI_EEEEENSH_IJSG_SG_SG_EEES9_SI_JZNS1_25segmented_radix_sort_implINS0_14default_configELb1EPKlPlSQ_SR_N2at6native12_GLOBAL__N_18offset_tEEE10hipError_tPvRmT1_PNSt15iterator_traitsISZ_E10value_typeET2_T3_PNS10_IS15_E10value_typeET4_jRbjT5_S1B_jjP12ihipStream_tbEUljE_ZNSN_ISO_Lb1ESQ_SR_SQ_SR_SV_EESW_SX_SY_SZ_S13_S14_S15_S18_S19_jS1A_jS1B_S1B_jjS1D_bEUljE0_EEESW_SX_SY_S15_S19_S1B_T6_T7_T9_mT8_S1D_bDpT10_ENKUlT_T0_E_clISt17integral_constantIbLb0EES1Q_IbLb1EEEEDaS1M_S1N_EUlS1M_E_NS1_11comp_targetILNS1_3genE8ELNS1_11target_archE1030ELNS1_3gpuE2ELNS1_3repE0EEENS1_30default_config_static_selectorELNS0_4arch9wavefront6targetE1EEEvSZ_.uses_vcc, 0
	.set _ZN7rocprim17ROCPRIM_400000_NS6detail17trampoline_kernelINS0_13select_configILj256ELj13ELNS0_17block_load_methodE3ELS4_3ELS4_3ELNS0_20block_scan_algorithmE0ELj4294967295EEENS1_25partition_config_selectorILNS1_17partition_subalgoE4EjNS0_10empty_typeEbEEZZNS1_14partition_implILS8_4ELb0ES6_15HIP_vector_typeIjLj2EENS0_17counting_iteratorIjlEEPS9_SG_NS0_5tupleIJPjSI_NS0_16reverse_iteratorISI_EEEEENSH_IJSG_SG_SG_EEES9_SI_JZNS1_25segmented_radix_sort_implINS0_14default_configELb1EPKlPlSQ_SR_N2at6native12_GLOBAL__N_18offset_tEEE10hipError_tPvRmT1_PNSt15iterator_traitsISZ_E10value_typeET2_T3_PNS10_IS15_E10value_typeET4_jRbjT5_S1B_jjP12ihipStream_tbEUljE_ZNSN_ISO_Lb1ESQ_SR_SQ_SR_SV_EESW_SX_SY_SZ_S13_S14_S15_S18_S19_jS1A_jS1B_S1B_jjS1D_bEUljE0_EEESW_SX_SY_S15_S19_S1B_T6_T7_T9_mT8_S1D_bDpT10_ENKUlT_T0_E_clISt17integral_constantIbLb0EES1Q_IbLb1EEEEDaS1M_S1N_EUlS1M_E_NS1_11comp_targetILNS1_3genE8ELNS1_11target_archE1030ELNS1_3gpuE2ELNS1_3repE0EEENS1_30default_config_static_selectorELNS0_4arch9wavefront6targetE1EEEvSZ_.uses_flat_scratch, 0
	.set _ZN7rocprim17ROCPRIM_400000_NS6detail17trampoline_kernelINS0_13select_configILj256ELj13ELNS0_17block_load_methodE3ELS4_3ELS4_3ELNS0_20block_scan_algorithmE0ELj4294967295EEENS1_25partition_config_selectorILNS1_17partition_subalgoE4EjNS0_10empty_typeEbEEZZNS1_14partition_implILS8_4ELb0ES6_15HIP_vector_typeIjLj2EENS0_17counting_iteratorIjlEEPS9_SG_NS0_5tupleIJPjSI_NS0_16reverse_iteratorISI_EEEEENSH_IJSG_SG_SG_EEES9_SI_JZNS1_25segmented_radix_sort_implINS0_14default_configELb1EPKlPlSQ_SR_N2at6native12_GLOBAL__N_18offset_tEEE10hipError_tPvRmT1_PNSt15iterator_traitsISZ_E10value_typeET2_T3_PNS10_IS15_E10value_typeET4_jRbjT5_S1B_jjP12ihipStream_tbEUljE_ZNSN_ISO_Lb1ESQ_SR_SQ_SR_SV_EESW_SX_SY_SZ_S13_S14_S15_S18_S19_jS1A_jS1B_S1B_jjS1D_bEUljE0_EEESW_SX_SY_S15_S19_S1B_T6_T7_T9_mT8_S1D_bDpT10_ENKUlT_T0_E_clISt17integral_constantIbLb0EES1Q_IbLb1EEEEDaS1M_S1N_EUlS1M_E_NS1_11comp_targetILNS1_3genE8ELNS1_11target_archE1030ELNS1_3gpuE2ELNS1_3repE0EEENS1_30default_config_static_selectorELNS0_4arch9wavefront6targetE1EEEvSZ_.has_dyn_sized_stack, 0
	.set _ZN7rocprim17ROCPRIM_400000_NS6detail17trampoline_kernelINS0_13select_configILj256ELj13ELNS0_17block_load_methodE3ELS4_3ELS4_3ELNS0_20block_scan_algorithmE0ELj4294967295EEENS1_25partition_config_selectorILNS1_17partition_subalgoE4EjNS0_10empty_typeEbEEZZNS1_14partition_implILS8_4ELb0ES6_15HIP_vector_typeIjLj2EENS0_17counting_iteratorIjlEEPS9_SG_NS0_5tupleIJPjSI_NS0_16reverse_iteratorISI_EEEEENSH_IJSG_SG_SG_EEES9_SI_JZNS1_25segmented_radix_sort_implINS0_14default_configELb1EPKlPlSQ_SR_N2at6native12_GLOBAL__N_18offset_tEEE10hipError_tPvRmT1_PNSt15iterator_traitsISZ_E10value_typeET2_T3_PNS10_IS15_E10value_typeET4_jRbjT5_S1B_jjP12ihipStream_tbEUljE_ZNSN_ISO_Lb1ESQ_SR_SQ_SR_SV_EESW_SX_SY_SZ_S13_S14_S15_S18_S19_jS1A_jS1B_S1B_jjS1D_bEUljE0_EEESW_SX_SY_S15_S19_S1B_T6_T7_T9_mT8_S1D_bDpT10_ENKUlT_T0_E_clISt17integral_constantIbLb0EES1Q_IbLb1EEEEDaS1M_S1N_EUlS1M_E_NS1_11comp_targetILNS1_3genE8ELNS1_11target_archE1030ELNS1_3gpuE2ELNS1_3repE0EEENS1_30default_config_static_selectorELNS0_4arch9wavefront6targetE1EEEvSZ_.has_recursion, 0
	.set _ZN7rocprim17ROCPRIM_400000_NS6detail17trampoline_kernelINS0_13select_configILj256ELj13ELNS0_17block_load_methodE3ELS4_3ELS4_3ELNS0_20block_scan_algorithmE0ELj4294967295EEENS1_25partition_config_selectorILNS1_17partition_subalgoE4EjNS0_10empty_typeEbEEZZNS1_14partition_implILS8_4ELb0ES6_15HIP_vector_typeIjLj2EENS0_17counting_iteratorIjlEEPS9_SG_NS0_5tupleIJPjSI_NS0_16reverse_iteratorISI_EEEEENSH_IJSG_SG_SG_EEES9_SI_JZNS1_25segmented_radix_sort_implINS0_14default_configELb1EPKlPlSQ_SR_N2at6native12_GLOBAL__N_18offset_tEEE10hipError_tPvRmT1_PNSt15iterator_traitsISZ_E10value_typeET2_T3_PNS10_IS15_E10value_typeET4_jRbjT5_S1B_jjP12ihipStream_tbEUljE_ZNSN_ISO_Lb1ESQ_SR_SQ_SR_SV_EESW_SX_SY_SZ_S13_S14_S15_S18_S19_jS1A_jS1B_S1B_jjS1D_bEUljE0_EEESW_SX_SY_S15_S19_S1B_T6_T7_T9_mT8_S1D_bDpT10_ENKUlT_T0_E_clISt17integral_constantIbLb0EES1Q_IbLb1EEEEDaS1M_S1N_EUlS1M_E_NS1_11comp_targetILNS1_3genE8ELNS1_11target_archE1030ELNS1_3gpuE2ELNS1_3repE0EEENS1_30default_config_static_selectorELNS0_4arch9wavefront6targetE1EEEvSZ_.has_indirect_call, 0
	.section	.AMDGPU.csdata,"",@progbits
; Kernel info:
; codeLenInByte = 0
; TotalNumSgprs: 4
; NumVgprs: 0
; ScratchSize: 0
; MemoryBound: 0
; FloatMode: 240
; IeeeMode: 1
; LDSByteSize: 0 bytes/workgroup (compile time only)
; SGPRBlocks: 0
; VGPRBlocks: 0
; NumSGPRsForWavesPerEU: 4
; NumVGPRsForWavesPerEU: 1
; Occupancy: 10
; WaveLimiterHint : 0
; COMPUTE_PGM_RSRC2:SCRATCH_EN: 0
; COMPUTE_PGM_RSRC2:USER_SGPR: 6
; COMPUTE_PGM_RSRC2:TRAP_HANDLER: 0
; COMPUTE_PGM_RSRC2:TGID_X_EN: 1
; COMPUTE_PGM_RSRC2:TGID_Y_EN: 0
; COMPUTE_PGM_RSRC2:TGID_Z_EN: 0
; COMPUTE_PGM_RSRC2:TIDIG_COMP_CNT: 0
	.section	.text._ZN7rocprim17ROCPRIM_400000_NS6detail17trampoline_kernelINS0_13select_configILj256ELj13ELNS0_17block_load_methodE3ELS4_3ELS4_3ELNS0_20block_scan_algorithmE0ELj4294967295EEENS1_25partition_config_selectorILNS1_17partition_subalgoE3EjNS0_10empty_typeEbEEZZNS1_14partition_implILS8_3ELb0ES6_jNS0_17counting_iteratorIjlEEPS9_SE_NS0_5tupleIJPjSE_EEENSF_IJSE_SE_EEES9_SG_JZNS1_25segmented_radix_sort_implINS0_14default_configELb1EPKlPlSM_SN_N2at6native12_GLOBAL__N_18offset_tEEE10hipError_tPvRmT1_PNSt15iterator_traitsISV_E10value_typeET2_T3_PNSW_IS11_E10value_typeET4_jRbjT5_S17_jjP12ihipStream_tbEUljE_EEESS_ST_SU_S11_S15_S17_T6_T7_T9_mT8_S19_bDpT10_ENKUlT_T0_E_clISt17integral_constantIbLb0EES1M_EEDaS1H_S1I_EUlS1H_E_NS1_11comp_targetILNS1_3genE0ELNS1_11target_archE4294967295ELNS1_3gpuE0ELNS1_3repE0EEENS1_30default_config_static_selectorELNS0_4arch9wavefront6targetE1EEEvSV_,"axG",@progbits,_ZN7rocprim17ROCPRIM_400000_NS6detail17trampoline_kernelINS0_13select_configILj256ELj13ELNS0_17block_load_methodE3ELS4_3ELS4_3ELNS0_20block_scan_algorithmE0ELj4294967295EEENS1_25partition_config_selectorILNS1_17partition_subalgoE3EjNS0_10empty_typeEbEEZZNS1_14partition_implILS8_3ELb0ES6_jNS0_17counting_iteratorIjlEEPS9_SE_NS0_5tupleIJPjSE_EEENSF_IJSE_SE_EEES9_SG_JZNS1_25segmented_radix_sort_implINS0_14default_configELb1EPKlPlSM_SN_N2at6native12_GLOBAL__N_18offset_tEEE10hipError_tPvRmT1_PNSt15iterator_traitsISV_E10value_typeET2_T3_PNSW_IS11_E10value_typeET4_jRbjT5_S17_jjP12ihipStream_tbEUljE_EEESS_ST_SU_S11_S15_S17_T6_T7_T9_mT8_S19_bDpT10_ENKUlT_T0_E_clISt17integral_constantIbLb0EES1M_EEDaS1H_S1I_EUlS1H_E_NS1_11comp_targetILNS1_3genE0ELNS1_11target_archE4294967295ELNS1_3gpuE0ELNS1_3repE0EEENS1_30default_config_static_selectorELNS0_4arch9wavefront6targetE1EEEvSV_,comdat
	.globl	_ZN7rocprim17ROCPRIM_400000_NS6detail17trampoline_kernelINS0_13select_configILj256ELj13ELNS0_17block_load_methodE3ELS4_3ELS4_3ELNS0_20block_scan_algorithmE0ELj4294967295EEENS1_25partition_config_selectorILNS1_17partition_subalgoE3EjNS0_10empty_typeEbEEZZNS1_14partition_implILS8_3ELb0ES6_jNS0_17counting_iteratorIjlEEPS9_SE_NS0_5tupleIJPjSE_EEENSF_IJSE_SE_EEES9_SG_JZNS1_25segmented_radix_sort_implINS0_14default_configELb1EPKlPlSM_SN_N2at6native12_GLOBAL__N_18offset_tEEE10hipError_tPvRmT1_PNSt15iterator_traitsISV_E10value_typeET2_T3_PNSW_IS11_E10value_typeET4_jRbjT5_S17_jjP12ihipStream_tbEUljE_EEESS_ST_SU_S11_S15_S17_T6_T7_T9_mT8_S19_bDpT10_ENKUlT_T0_E_clISt17integral_constantIbLb0EES1M_EEDaS1H_S1I_EUlS1H_E_NS1_11comp_targetILNS1_3genE0ELNS1_11target_archE4294967295ELNS1_3gpuE0ELNS1_3repE0EEENS1_30default_config_static_selectorELNS0_4arch9wavefront6targetE1EEEvSV_ ; -- Begin function _ZN7rocprim17ROCPRIM_400000_NS6detail17trampoline_kernelINS0_13select_configILj256ELj13ELNS0_17block_load_methodE3ELS4_3ELS4_3ELNS0_20block_scan_algorithmE0ELj4294967295EEENS1_25partition_config_selectorILNS1_17partition_subalgoE3EjNS0_10empty_typeEbEEZZNS1_14partition_implILS8_3ELb0ES6_jNS0_17counting_iteratorIjlEEPS9_SE_NS0_5tupleIJPjSE_EEENSF_IJSE_SE_EEES9_SG_JZNS1_25segmented_radix_sort_implINS0_14default_configELb1EPKlPlSM_SN_N2at6native12_GLOBAL__N_18offset_tEEE10hipError_tPvRmT1_PNSt15iterator_traitsISV_E10value_typeET2_T3_PNSW_IS11_E10value_typeET4_jRbjT5_S17_jjP12ihipStream_tbEUljE_EEESS_ST_SU_S11_S15_S17_T6_T7_T9_mT8_S19_bDpT10_ENKUlT_T0_E_clISt17integral_constantIbLb0EES1M_EEDaS1H_S1I_EUlS1H_E_NS1_11comp_targetILNS1_3genE0ELNS1_11target_archE4294967295ELNS1_3gpuE0ELNS1_3repE0EEENS1_30default_config_static_selectorELNS0_4arch9wavefront6targetE1EEEvSV_
	.p2align	8
	.type	_ZN7rocprim17ROCPRIM_400000_NS6detail17trampoline_kernelINS0_13select_configILj256ELj13ELNS0_17block_load_methodE3ELS4_3ELS4_3ELNS0_20block_scan_algorithmE0ELj4294967295EEENS1_25partition_config_selectorILNS1_17partition_subalgoE3EjNS0_10empty_typeEbEEZZNS1_14partition_implILS8_3ELb0ES6_jNS0_17counting_iteratorIjlEEPS9_SE_NS0_5tupleIJPjSE_EEENSF_IJSE_SE_EEES9_SG_JZNS1_25segmented_radix_sort_implINS0_14default_configELb1EPKlPlSM_SN_N2at6native12_GLOBAL__N_18offset_tEEE10hipError_tPvRmT1_PNSt15iterator_traitsISV_E10value_typeET2_T3_PNSW_IS11_E10value_typeET4_jRbjT5_S17_jjP12ihipStream_tbEUljE_EEESS_ST_SU_S11_S15_S17_T6_T7_T9_mT8_S19_bDpT10_ENKUlT_T0_E_clISt17integral_constantIbLb0EES1M_EEDaS1H_S1I_EUlS1H_E_NS1_11comp_targetILNS1_3genE0ELNS1_11target_archE4294967295ELNS1_3gpuE0ELNS1_3repE0EEENS1_30default_config_static_selectorELNS0_4arch9wavefront6targetE1EEEvSV_,@function
_ZN7rocprim17ROCPRIM_400000_NS6detail17trampoline_kernelINS0_13select_configILj256ELj13ELNS0_17block_load_methodE3ELS4_3ELS4_3ELNS0_20block_scan_algorithmE0ELj4294967295EEENS1_25partition_config_selectorILNS1_17partition_subalgoE3EjNS0_10empty_typeEbEEZZNS1_14partition_implILS8_3ELb0ES6_jNS0_17counting_iteratorIjlEEPS9_SE_NS0_5tupleIJPjSE_EEENSF_IJSE_SE_EEES9_SG_JZNS1_25segmented_radix_sort_implINS0_14default_configELb1EPKlPlSM_SN_N2at6native12_GLOBAL__N_18offset_tEEE10hipError_tPvRmT1_PNSt15iterator_traitsISV_E10value_typeET2_T3_PNSW_IS11_E10value_typeET4_jRbjT5_S17_jjP12ihipStream_tbEUljE_EEESS_ST_SU_S11_S15_S17_T6_T7_T9_mT8_S19_bDpT10_ENKUlT_T0_E_clISt17integral_constantIbLb0EES1M_EEDaS1H_S1I_EUlS1H_E_NS1_11comp_targetILNS1_3genE0ELNS1_11target_archE4294967295ELNS1_3gpuE0ELNS1_3repE0EEENS1_30default_config_static_selectorELNS0_4arch9wavefront6targetE1EEEvSV_: ; @_ZN7rocprim17ROCPRIM_400000_NS6detail17trampoline_kernelINS0_13select_configILj256ELj13ELNS0_17block_load_methodE3ELS4_3ELS4_3ELNS0_20block_scan_algorithmE0ELj4294967295EEENS1_25partition_config_selectorILNS1_17partition_subalgoE3EjNS0_10empty_typeEbEEZZNS1_14partition_implILS8_3ELb0ES6_jNS0_17counting_iteratorIjlEEPS9_SE_NS0_5tupleIJPjSE_EEENSF_IJSE_SE_EEES9_SG_JZNS1_25segmented_radix_sort_implINS0_14default_configELb1EPKlPlSM_SN_N2at6native12_GLOBAL__N_18offset_tEEE10hipError_tPvRmT1_PNSt15iterator_traitsISV_E10value_typeET2_T3_PNSW_IS11_E10value_typeET4_jRbjT5_S17_jjP12ihipStream_tbEUljE_EEESS_ST_SU_S11_S15_S17_T6_T7_T9_mT8_S19_bDpT10_ENKUlT_T0_E_clISt17integral_constantIbLb0EES1M_EEDaS1H_S1I_EUlS1H_E_NS1_11comp_targetILNS1_3genE0ELNS1_11target_archE4294967295ELNS1_3gpuE0ELNS1_3repE0EEENS1_30default_config_static_selectorELNS0_4arch9wavefront6targetE1EEEvSV_
; %bb.0:
	.section	.rodata,"a",@progbits
	.p2align	6, 0x0
	.amdhsa_kernel _ZN7rocprim17ROCPRIM_400000_NS6detail17trampoline_kernelINS0_13select_configILj256ELj13ELNS0_17block_load_methodE3ELS4_3ELS4_3ELNS0_20block_scan_algorithmE0ELj4294967295EEENS1_25partition_config_selectorILNS1_17partition_subalgoE3EjNS0_10empty_typeEbEEZZNS1_14partition_implILS8_3ELb0ES6_jNS0_17counting_iteratorIjlEEPS9_SE_NS0_5tupleIJPjSE_EEENSF_IJSE_SE_EEES9_SG_JZNS1_25segmented_radix_sort_implINS0_14default_configELb1EPKlPlSM_SN_N2at6native12_GLOBAL__N_18offset_tEEE10hipError_tPvRmT1_PNSt15iterator_traitsISV_E10value_typeET2_T3_PNSW_IS11_E10value_typeET4_jRbjT5_S17_jjP12ihipStream_tbEUljE_EEESS_ST_SU_S11_S15_S17_T6_T7_T9_mT8_S19_bDpT10_ENKUlT_T0_E_clISt17integral_constantIbLb0EES1M_EEDaS1H_S1I_EUlS1H_E_NS1_11comp_targetILNS1_3genE0ELNS1_11target_archE4294967295ELNS1_3gpuE0ELNS1_3repE0EEENS1_30default_config_static_selectorELNS0_4arch9wavefront6targetE1EEEvSV_
		.amdhsa_group_segment_fixed_size 0
		.amdhsa_private_segment_fixed_size 0
		.amdhsa_kernarg_size 144
		.amdhsa_user_sgpr_count 6
		.amdhsa_user_sgpr_private_segment_buffer 1
		.amdhsa_user_sgpr_dispatch_ptr 0
		.amdhsa_user_sgpr_queue_ptr 0
		.amdhsa_user_sgpr_kernarg_segment_ptr 1
		.amdhsa_user_sgpr_dispatch_id 0
		.amdhsa_user_sgpr_flat_scratch_init 0
		.amdhsa_user_sgpr_private_segment_size 0
		.amdhsa_uses_dynamic_stack 0
		.amdhsa_system_sgpr_private_segment_wavefront_offset 0
		.amdhsa_system_sgpr_workgroup_id_x 1
		.amdhsa_system_sgpr_workgroup_id_y 0
		.amdhsa_system_sgpr_workgroup_id_z 0
		.amdhsa_system_sgpr_workgroup_info 0
		.amdhsa_system_vgpr_workitem_id 0
		.amdhsa_next_free_vgpr 1
		.amdhsa_next_free_sgpr 0
		.amdhsa_reserve_vcc 0
		.amdhsa_reserve_flat_scratch 0
		.amdhsa_float_round_mode_32 0
		.amdhsa_float_round_mode_16_64 0
		.amdhsa_float_denorm_mode_32 3
		.amdhsa_float_denorm_mode_16_64 3
		.amdhsa_dx10_clamp 1
		.amdhsa_ieee_mode 1
		.amdhsa_fp16_overflow 0
		.amdhsa_exception_fp_ieee_invalid_op 0
		.amdhsa_exception_fp_denorm_src 0
		.amdhsa_exception_fp_ieee_div_zero 0
		.amdhsa_exception_fp_ieee_overflow 0
		.amdhsa_exception_fp_ieee_underflow 0
		.amdhsa_exception_fp_ieee_inexact 0
		.amdhsa_exception_int_div_zero 0
	.end_amdhsa_kernel
	.section	.text._ZN7rocprim17ROCPRIM_400000_NS6detail17trampoline_kernelINS0_13select_configILj256ELj13ELNS0_17block_load_methodE3ELS4_3ELS4_3ELNS0_20block_scan_algorithmE0ELj4294967295EEENS1_25partition_config_selectorILNS1_17partition_subalgoE3EjNS0_10empty_typeEbEEZZNS1_14partition_implILS8_3ELb0ES6_jNS0_17counting_iteratorIjlEEPS9_SE_NS0_5tupleIJPjSE_EEENSF_IJSE_SE_EEES9_SG_JZNS1_25segmented_radix_sort_implINS0_14default_configELb1EPKlPlSM_SN_N2at6native12_GLOBAL__N_18offset_tEEE10hipError_tPvRmT1_PNSt15iterator_traitsISV_E10value_typeET2_T3_PNSW_IS11_E10value_typeET4_jRbjT5_S17_jjP12ihipStream_tbEUljE_EEESS_ST_SU_S11_S15_S17_T6_T7_T9_mT8_S19_bDpT10_ENKUlT_T0_E_clISt17integral_constantIbLb0EES1M_EEDaS1H_S1I_EUlS1H_E_NS1_11comp_targetILNS1_3genE0ELNS1_11target_archE4294967295ELNS1_3gpuE0ELNS1_3repE0EEENS1_30default_config_static_selectorELNS0_4arch9wavefront6targetE1EEEvSV_,"axG",@progbits,_ZN7rocprim17ROCPRIM_400000_NS6detail17trampoline_kernelINS0_13select_configILj256ELj13ELNS0_17block_load_methodE3ELS4_3ELS4_3ELNS0_20block_scan_algorithmE0ELj4294967295EEENS1_25partition_config_selectorILNS1_17partition_subalgoE3EjNS0_10empty_typeEbEEZZNS1_14partition_implILS8_3ELb0ES6_jNS0_17counting_iteratorIjlEEPS9_SE_NS0_5tupleIJPjSE_EEENSF_IJSE_SE_EEES9_SG_JZNS1_25segmented_radix_sort_implINS0_14default_configELb1EPKlPlSM_SN_N2at6native12_GLOBAL__N_18offset_tEEE10hipError_tPvRmT1_PNSt15iterator_traitsISV_E10value_typeET2_T3_PNSW_IS11_E10value_typeET4_jRbjT5_S17_jjP12ihipStream_tbEUljE_EEESS_ST_SU_S11_S15_S17_T6_T7_T9_mT8_S19_bDpT10_ENKUlT_T0_E_clISt17integral_constantIbLb0EES1M_EEDaS1H_S1I_EUlS1H_E_NS1_11comp_targetILNS1_3genE0ELNS1_11target_archE4294967295ELNS1_3gpuE0ELNS1_3repE0EEENS1_30default_config_static_selectorELNS0_4arch9wavefront6targetE1EEEvSV_,comdat
.Lfunc_end672:
	.size	_ZN7rocprim17ROCPRIM_400000_NS6detail17trampoline_kernelINS0_13select_configILj256ELj13ELNS0_17block_load_methodE3ELS4_3ELS4_3ELNS0_20block_scan_algorithmE0ELj4294967295EEENS1_25partition_config_selectorILNS1_17partition_subalgoE3EjNS0_10empty_typeEbEEZZNS1_14partition_implILS8_3ELb0ES6_jNS0_17counting_iteratorIjlEEPS9_SE_NS0_5tupleIJPjSE_EEENSF_IJSE_SE_EEES9_SG_JZNS1_25segmented_radix_sort_implINS0_14default_configELb1EPKlPlSM_SN_N2at6native12_GLOBAL__N_18offset_tEEE10hipError_tPvRmT1_PNSt15iterator_traitsISV_E10value_typeET2_T3_PNSW_IS11_E10value_typeET4_jRbjT5_S17_jjP12ihipStream_tbEUljE_EEESS_ST_SU_S11_S15_S17_T6_T7_T9_mT8_S19_bDpT10_ENKUlT_T0_E_clISt17integral_constantIbLb0EES1M_EEDaS1H_S1I_EUlS1H_E_NS1_11comp_targetILNS1_3genE0ELNS1_11target_archE4294967295ELNS1_3gpuE0ELNS1_3repE0EEENS1_30default_config_static_selectorELNS0_4arch9wavefront6targetE1EEEvSV_, .Lfunc_end672-_ZN7rocprim17ROCPRIM_400000_NS6detail17trampoline_kernelINS0_13select_configILj256ELj13ELNS0_17block_load_methodE3ELS4_3ELS4_3ELNS0_20block_scan_algorithmE0ELj4294967295EEENS1_25partition_config_selectorILNS1_17partition_subalgoE3EjNS0_10empty_typeEbEEZZNS1_14partition_implILS8_3ELb0ES6_jNS0_17counting_iteratorIjlEEPS9_SE_NS0_5tupleIJPjSE_EEENSF_IJSE_SE_EEES9_SG_JZNS1_25segmented_radix_sort_implINS0_14default_configELb1EPKlPlSM_SN_N2at6native12_GLOBAL__N_18offset_tEEE10hipError_tPvRmT1_PNSt15iterator_traitsISV_E10value_typeET2_T3_PNSW_IS11_E10value_typeET4_jRbjT5_S17_jjP12ihipStream_tbEUljE_EEESS_ST_SU_S11_S15_S17_T6_T7_T9_mT8_S19_bDpT10_ENKUlT_T0_E_clISt17integral_constantIbLb0EES1M_EEDaS1H_S1I_EUlS1H_E_NS1_11comp_targetILNS1_3genE0ELNS1_11target_archE4294967295ELNS1_3gpuE0ELNS1_3repE0EEENS1_30default_config_static_selectorELNS0_4arch9wavefront6targetE1EEEvSV_
                                        ; -- End function
	.set _ZN7rocprim17ROCPRIM_400000_NS6detail17trampoline_kernelINS0_13select_configILj256ELj13ELNS0_17block_load_methodE3ELS4_3ELS4_3ELNS0_20block_scan_algorithmE0ELj4294967295EEENS1_25partition_config_selectorILNS1_17partition_subalgoE3EjNS0_10empty_typeEbEEZZNS1_14partition_implILS8_3ELb0ES6_jNS0_17counting_iteratorIjlEEPS9_SE_NS0_5tupleIJPjSE_EEENSF_IJSE_SE_EEES9_SG_JZNS1_25segmented_radix_sort_implINS0_14default_configELb1EPKlPlSM_SN_N2at6native12_GLOBAL__N_18offset_tEEE10hipError_tPvRmT1_PNSt15iterator_traitsISV_E10value_typeET2_T3_PNSW_IS11_E10value_typeET4_jRbjT5_S17_jjP12ihipStream_tbEUljE_EEESS_ST_SU_S11_S15_S17_T6_T7_T9_mT8_S19_bDpT10_ENKUlT_T0_E_clISt17integral_constantIbLb0EES1M_EEDaS1H_S1I_EUlS1H_E_NS1_11comp_targetILNS1_3genE0ELNS1_11target_archE4294967295ELNS1_3gpuE0ELNS1_3repE0EEENS1_30default_config_static_selectorELNS0_4arch9wavefront6targetE1EEEvSV_.num_vgpr, 0
	.set _ZN7rocprim17ROCPRIM_400000_NS6detail17trampoline_kernelINS0_13select_configILj256ELj13ELNS0_17block_load_methodE3ELS4_3ELS4_3ELNS0_20block_scan_algorithmE0ELj4294967295EEENS1_25partition_config_selectorILNS1_17partition_subalgoE3EjNS0_10empty_typeEbEEZZNS1_14partition_implILS8_3ELb0ES6_jNS0_17counting_iteratorIjlEEPS9_SE_NS0_5tupleIJPjSE_EEENSF_IJSE_SE_EEES9_SG_JZNS1_25segmented_radix_sort_implINS0_14default_configELb1EPKlPlSM_SN_N2at6native12_GLOBAL__N_18offset_tEEE10hipError_tPvRmT1_PNSt15iterator_traitsISV_E10value_typeET2_T3_PNSW_IS11_E10value_typeET4_jRbjT5_S17_jjP12ihipStream_tbEUljE_EEESS_ST_SU_S11_S15_S17_T6_T7_T9_mT8_S19_bDpT10_ENKUlT_T0_E_clISt17integral_constantIbLb0EES1M_EEDaS1H_S1I_EUlS1H_E_NS1_11comp_targetILNS1_3genE0ELNS1_11target_archE4294967295ELNS1_3gpuE0ELNS1_3repE0EEENS1_30default_config_static_selectorELNS0_4arch9wavefront6targetE1EEEvSV_.num_agpr, 0
	.set _ZN7rocprim17ROCPRIM_400000_NS6detail17trampoline_kernelINS0_13select_configILj256ELj13ELNS0_17block_load_methodE3ELS4_3ELS4_3ELNS0_20block_scan_algorithmE0ELj4294967295EEENS1_25partition_config_selectorILNS1_17partition_subalgoE3EjNS0_10empty_typeEbEEZZNS1_14partition_implILS8_3ELb0ES6_jNS0_17counting_iteratorIjlEEPS9_SE_NS0_5tupleIJPjSE_EEENSF_IJSE_SE_EEES9_SG_JZNS1_25segmented_radix_sort_implINS0_14default_configELb1EPKlPlSM_SN_N2at6native12_GLOBAL__N_18offset_tEEE10hipError_tPvRmT1_PNSt15iterator_traitsISV_E10value_typeET2_T3_PNSW_IS11_E10value_typeET4_jRbjT5_S17_jjP12ihipStream_tbEUljE_EEESS_ST_SU_S11_S15_S17_T6_T7_T9_mT8_S19_bDpT10_ENKUlT_T0_E_clISt17integral_constantIbLb0EES1M_EEDaS1H_S1I_EUlS1H_E_NS1_11comp_targetILNS1_3genE0ELNS1_11target_archE4294967295ELNS1_3gpuE0ELNS1_3repE0EEENS1_30default_config_static_selectorELNS0_4arch9wavefront6targetE1EEEvSV_.numbered_sgpr, 0
	.set _ZN7rocprim17ROCPRIM_400000_NS6detail17trampoline_kernelINS0_13select_configILj256ELj13ELNS0_17block_load_methodE3ELS4_3ELS4_3ELNS0_20block_scan_algorithmE0ELj4294967295EEENS1_25partition_config_selectorILNS1_17partition_subalgoE3EjNS0_10empty_typeEbEEZZNS1_14partition_implILS8_3ELb0ES6_jNS0_17counting_iteratorIjlEEPS9_SE_NS0_5tupleIJPjSE_EEENSF_IJSE_SE_EEES9_SG_JZNS1_25segmented_radix_sort_implINS0_14default_configELb1EPKlPlSM_SN_N2at6native12_GLOBAL__N_18offset_tEEE10hipError_tPvRmT1_PNSt15iterator_traitsISV_E10value_typeET2_T3_PNSW_IS11_E10value_typeET4_jRbjT5_S17_jjP12ihipStream_tbEUljE_EEESS_ST_SU_S11_S15_S17_T6_T7_T9_mT8_S19_bDpT10_ENKUlT_T0_E_clISt17integral_constantIbLb0EES1M_EEDaS1H_S1I_EUlS1H_E_NS1_11comp_targetILNS1_3genE0ELNS1_11target_archE4294967295ELNS1_3gpuE0ELNS1_3repE0EEENS1_30default_config_static_selectorELNS0_4arch9wavefront6targetE1EEEvSV_.num_named_barrier, 0
	.set _ZN7rocprim17ROCPRIM_400000_NS6detail17trampoline_kernelINS0_13select_configILj256ELj13ELNS0_17block_load_methodE3ELS4_3ELS4_3ELNS0_20block_scan_algorithmE0ELj4294967295EEENS1_25partition_config_selectorILNS1_17partition_subalgoE3EjNS0_10empty_typeEbEEZZNS1_14partition_implILS8_3ELb0ES6_jNS0_17counting_iteratorIjlEEPS9_SE_NS0_5tupleIJPjSE_EEENSF_IJSE_SE_EEES9_SG_JZNS1_25segmented_radix_sort_implINS0_14default_configELb1EPKlPlSM_SN_N2at6native12_GLOBAL__N_18offset_tEEE10hipError_tPvRmT1_PNSt15iterator_traitsISV_E10value_typeET2_T3_PNSW_IS11_E10value_typeET4_jRbjT5_S17_jjP12ihipStream_tbEUljE_EEESS_ST_SU_S11_S15_S17_T6_T7_T9_mT8_S19_bDpT10_ENKUlT_T0_E_clISt17integral_constantIbLb0EES1M_EEDaS1H_S1I_EUlS1H_E_NS1_11comp_targetILNS1_3genE0ELNS1_11target_archE4294967295ELNS1_3gpuE0ELNS1_3repE0EEENS1_30default_config_static_selectorELNS0_4arch9wavefront6targetE1EEEvSV_.private_seg_size, 0
	.set _ZN7rocprim17ROCPRIM_400000_NS6detail17trampoline_kernelINS0_13select_configILj256ELj13ELNS0_17block_load_methodE3ELS4_3ELS4_3ELNS0_20block_scan_algorithmE0ELj4294967295EEENS1_25partition_config_selectorILNS1_17partition_subalgoE3EjNS0_10empty_typeEbEEZZNS1_14partition_implILS8_3ELb0ES6_jNS0_17counting_iteratorIjlEEPS9_SE_NS0_5tupleIJPjSE_EEENSF_IJSE_SE_EEES9_SG_JZNS1_25segmented_radix_sort_implINS0_14default_configELb1EPKlPlSM_SN_N2at6native12_GLOBAL__N_18offset_tEEE10hipError_tPvRmT1_PNSt15iterator_traitsISV_E10value_typeET2_T3_PNSW_IS11_E10value_typeET4_jRbjT5_S17_jjP12ihipStream_tbEUljE_EEESS_ST_SU_S11_S15_S17_T6_T7_T9_mT8_S19_bDpT10_ENKUlT_T0_E_clISt17integral_constantIbLb0EES1M_EEDaS1H_S1I_EUlS1H_E_NS1_11comp_targetILNS1_3genE0ELNS1_11target_archE4294967295ELNS1_3gpuE0ELNS1_3repE0EEENS1_30default_config_static_selectorELNS0_4arch9wavefront6targetE1EEEvSV_.uses_vcc, 0
	.set _ZN7rocprim17ROCPRIM_400000_NS6detail17trampoline_kernelINS0_13select_configILj256ELj13ELNS0_17block_load_methodE3ELS4_3ELS4_3ELNS0_20block_scan_algorithmE0ELj4294967295EEENS1_25partition_config_selectorILNS1_17partition_subalgoE3EjNS0_10empty_typeEbEEZZNS1_14partition_implILS8_3ELb0ES6_jNS0_17counting_iteratorIjlEEPS9_SE_NS0_5tupleIJPjSE_EEENSF_IJSE_SE_EEES9_SG_JZNS1_25segmented_radix_sort_implINS0_14default_configELb1EPKlPlSM_SN_N2at6native12_GLOBAL__N_18offset_tEEE10hipError_tPvRmT1_PNSt15iterator_traitsISV_E10value_typeET2_T3_PNSW_IS11_E10value_typeET4_jRbjT5_S17_jjP12ihipStream_tbEUljE_EEESS_ST_SU_S11_S15_S17_T6_T7_T9_mT8_S19_bDpT10_ENKUlT_T0_E_clISt17integral_constantIbLb0EES1M_EEDaS1H_S1I_EUlS1H_E_NS1_11comp_targetILNS1_3genE0ELNS1_11target_archE4294967295ELNS1_3gpuE0ELNS1_3repE0EEENS1_30default_config_static_selectorELNS0_4arch9wavefront6targetE1EEEvSV_.uses_flat_scratch, 0
	.set _ZN7rocprim17ROCPRIM_400000_NS6detail17trampoline_kernelINS0_13select_configILj256ELj13ELNS0_17block_load_methodE3ELS4_3ELS4_3ELNS0_20block_scan_algorithmE0ELj4294967295EEENS1_25partition_config_selectorILNS1_17partition_subalgoE3EjNS0_10empty_typeEbEEZZNS1_14partition_implILS8_3ELb0ES6_jNS0_17counting_iteratorIjlEEPS9_SE_NS0_5tupleIJPjSE_EEENSF_IJSE_SE_EEES9_SG_JZNS1_25segmented_radix_sort_implINS0_14default_configELb1EPKlPlSM_SN_N2at6native12_GLOBAL__N_18offset_tEEE10hipError_tPvRmT1_PNSt15iterator_traitsISV_E10value_typeET2_T3_PNSW_IS11_E10value_typeET4_jRbjT5_S17_jjP12ihipStream_tbEUljE_EEESS_ST_SU_S11_S15_S17_T6_T7_T9_mT8_S19_bDpT10_ENKUlT_T0_E_clISt17integral_constantIbLb0EES1M_EEDaS1H_S1I_EUlS1H_E_NS1_11comp_targetILNS1_3genE0ELNS1_11target_archE4294967295ELNS1_3gpuE0ELNS1_3repE0EEENS1_30default_config_static_selectorELNS0_4arch9wavefront6targetE1EEEvSV_.has_dyn_sized_stack, 0
	.set _ZN7rocprim17ROCPRIM_400000_NS6detail17trampoline_kernelINS0_13select_configILj256ELj13ELNS0_17block_load_methodE3ELS4_3ELS4_3ELNS0_20block_scan_algorithmE0ELj4294967295EEENS1_25partition_config_selectorILNS1_17partition_subalgoE3EjNS0_10empty_typeEbEEZZNS1_14partition_implILS8_3ELb0ES6_jNS0_17counting_iteratorIjlEEPS9_SE_NS0_5tupleIJPjSE_EEENSF_IJSE_SE_EEES9_SG_JZNS1_25segmented_radix_sort_implINS0_14default_configELb1EPKlPlSM_SN_N2at6native12_GLOBAL__N_18offset_tEEE10hipError_tPvRmT1_PNSt15iterator_traitsISV_E10value_typeET2_T3_PNSW_IS11_E10value_typeET4_jRbjT5_S17_jjP12ihipStream_tbEUljE_EEESS_ST_SU_S11_S15_S17_T6_T7_T9_mT8_S19_bDpT10_ENKUlT_T0_E_clISt17integral_constantIbLb0EES1M_EEDaS1H_S1I_EUlS1H_E_NS1_11comp_targetILNS1_3genE0ELNS1_11target_archE4294967295ELNS1_3gpuE0ELNS1_3repE0EEENS1_30default_config_static_selectorELNS0_4arch9wavefront6targetE1EEEvSV_.has_recursion, 0
	.set _ZN7rocprim17ROCPRIM_400000_NS6detail17trampoline_kernelINS0_13select_configILj256ELj13ELNS0_17block_load_methodE3ELS4_3ELS4_3ELNS0_20block_scan_algorithmE0ELj4294967295EEENS1_25partition_config_selectorILNS1_17partition_subalgoE3EjNS0_10empty_typeEbEEZZNS1_14partition_implILS8_3ELb0ES6_jNS0_17counting_iteratorIjlEEPS9_SE_NS0_5tupleIJPjSE_EEENSF_IJSE_SE_EEES9_SG_JZNS1_25segmented_radix_sort_implINS0_14default_configELb1EPKlPlSM_SN_N2at6native12_GLOBAL__N_18offset_tEEE10hipError_tPvRmT1_PNSt15iterator_traitsISV_E10value_typeET2_T3_PNSW_IS11_E10value_typeET4_jRbjT5_S17_jjP12ihipStream_tbEUljE_EEESS_ST_SU_S11_S15_S17_T6_T7_T9_mT8_S19_bDpT10_ENKUlT_T0_E_clISt17integral_constantIbLb0EES1M_EEDaS1H_S1I_EUlS1H_E_NS1_11comp_targetILNS1_3genE0ELNS1_11target_archE4294967295ELNS1_3gpuE0ELNS1_3repE0EEENS1_30default_config_static_selectorELNS0_4arch9wavefront6targetE1EEEvSV_.has_indirect_call, 0
	.section	.AMDGPU.csdata,"",@progbits
; Kernel info:
; codeLenInByte = 0
; TotalNumSgprs: 4
; NumVgprs: 0
; ScratchSize: 0
; MemoryBound: 0
; FloatMode: 240
; IeeeMode: 1
; LDSByteSize: 0 bytes/workgroup (compile time only)
; SGPRBlocks: 0
; VGPRBlocks: 0
; NumSGPRsForWavesPerEU: 4
; NumVGPRsForWavesPerEU: 1
; Occupancy: 10
; WaveLimiterHint : 0
; COMPUTE_PGM_RSRC2:SCRATCH_EN: 0
; COMPUTE_PGM_RSRC2:USER_SGPR: 6
; COMPUTE_PGM_RSRC2:TRAP_HANDLER: 0
; COMPUTE_PGM_RSRC2:TGID_X_EN: 1
; COMPUTE_PGM_RSRC2:TGID_Y_EN: 0
; COMPUTE_PGM_RSRC2:TGID_Z_EN: 0
; COMPUTE_PGM_RSRC2:TIDIG_COMP_CNT: 0
	.section	.text._ZN7rocprim17ROCPRIM_400000_NS6detail17trampoline_kernelINS0_13select_configILj256ELj13ELNS0_17block_load_methodE3ELS4_3ELS4_3ELNS0_20block_scan_algorithmE0ELj4294967295EEENS1_25partition_config_selectorILNS1_17partition_subalgoE3EjNS0_10empty_typeEbEEZZNS1_14partition_implILS8_3ELb0ES6_jNS0_17counting_iteratorIjlEEPS9_SE_NS0_5tupleIJPjSE_EEENSF_IJSE_SE_EEES9_SG_JZNS1_25segmented_radix_sort_implINS0_14default_configELb1EPKlPlSM_SN_N2at6native12_GLOBAL__N_18offset_tEEE10hipError_tPvRmT1_PNSt15iterator_traitsISV_E10value_typeET2_T3_PNSW_IS11_E10value_typeET4_jRbjT5_S17_jjP12ihipStream_tbEUljE_EEESS_ST_SU_S11_S15_S17_T6_T7_T9_mT8_S19_bDpT10_ENKUlT_T0_E_clISt17integral_constantIbLb0EES1M_EEDaS1H_S1I_EUlS1H_E_NS1_11comp_targetILNS1_3genE5ELNS1_11target_archE942ELNS1_3gpuE9ELNS1_3repE0EEENS1_30default_config_static_selectorELNS0_4arch9wavefront6targetE1EEEvSV_,"axG",@progbits,_ZN7rocprim17ROCPRIM_400000_NS6detail17trampoline_kernelINS0_13select_configILj256ELj13ELNS0_17block_load_methodE3ELS4_3ELS4_3ELNS0_20block_scan_algorithmE0ELj4294967295EEENS1_25partition_config_selectorILNS1_17partition_subalgoE3EjNS0_10empty_typeEbEEZZNS1_14partition_implILS8_3ELb0ES6_jNS0_17counting_iteratorIjlEEPS9_SE_NS0_5tupleIJPjSE_EEENSF_IJSE_SE_EEES9_SG_JZNS1_25segmented_radix_sort_implINS0_14default_configELb1EPKlPlSM_SN_N2at6native12_GLOBAL__N_18offset_tEEE10hipError_tPvRmT1_PNSt15iterator_traitsISV_E10value_typeET2_T3_PNSW_IS11_E10value_typeET4_jRbjT5_S17_jjP12ihipStream_tbEUljE_EEESS_ST_SU_S11_S15_S17_T6_T7_T9_mT8_S19_bDpT10_ENKUlT_T0_E_clISt17integral_constantIbLb0EES1M_EEDaS1H_S1I_EUlS1H_E_NS1_11comp_targetILNS1_3genE5ELNS1_11target_archE942ELNS1_3gpuE9ELNS1_3repE0EEENS1_30default_config_static_selectorELNS0_4arch9wavefront6targetE1EEEvSV_,comdat
	.globl	_ZN7rocprim17ROCPRIM_400000_NS6detail17trampoline_kernelINS0_13select_configILj256ELj13ELNS0_17block_load_methodE3ELS4_3ELS4_3ELNS0_20block_scan_algorithmE0ELj4294967295EEENS1_25partition_config_selectorILNS1_17partition_subalgoE3EjNS0_10empty_typeEbEEZZNS1_14partition_implILS8_3ELb0ES6_jNS0_17counting_iteratorIjlEEPS9_SE_NS0_5tupleIJPjSE_EEENSF_IJSE_SE_EEES9_SG_JZNS1_25segmented_radix_sort_implINS0_14default_configELb1EPKlPlSM_SN_N2at6native12_GLOBAL__N_18offset_tEEE10hipError_tPvRmT1_PNSt15iterator_traitsISV_E10value_typeET2_T3_PNSW_IS11_E10value_typeET4_jRbjT5_S17_jjP12ihipStream_tbEUljE_EEESS_ST_SU_S11_S15_S17_T6_T7_T9_mT8_S19_bDpT10_ENKUlT_T0_E_clISt17integral_constantIbLb0EES1M_EEDaS1H_S1I_EUlS1H_E_NS1_11comp_targetILNS1_3genE5ELNS1_11target_archE942ELNS1_3gpuE9ELNS1_3repE0EEENS1_30default_config_static_selectorELNS0_4arch9wavefront6targetE1EEEvSV_ ; -- Begin function _ZN7rocprim17ROCPRIM_400000_NS6detail17trampoline_kernelINS0_13select_configILj256ELj13ELNS0_17block_load_methodE3ELS4_3ELS4_3ELNS0_20block_scan_algorithmE0ELj4294967295EEENS1_25partition_config_selectorILNS1_17partition_subalgoE3EjNS0_10empty_typeEbEEZZNS1_14partition_implILS8_3ELb0ES6_jNS0_17counting_iteratorIjlEEPS9_SE_NS0_5tupleIJPjSE_EEENSF_IJSE_SE_EEES9_SG_JZNS1_25segmented_radix_sort_implINS0_14default_configELb1EPKlPlSM_SN_N2at6native12_GLOBAL__N_18offset_tEEE10hipError_tPvRmT1_PNSt15iterator_traitsISV_E10value_typeET2_T3_PNSW_IS11_E10value_typeET4_jRbjT5_S17_jjP12ihipStream_tbEUljE_EEESS_ST_SU_S11_S15_S17_T6_T7_T9_mT8_S19_bDpT10_ENKUlT_T0_E_clISt17integral_constantIbLb0EES1M_EEDaS1H_S1I_EUlS1H_E_NS1_11comp_targetILNS1_3genE5ELNS1_11target_archE942ELNS1_3gpuE9ELNS1_3repE0EEENS1_30default_config_static_selectorELNS0_4arch9wavefront6targetE1EEEvSV_
	.p2align	8
	.type	_ZN7rocprim17ROCPRIM_400000_NS6detail17trampoline_kernelINS0_13select_configILj256ELj13ELNS0_17block_load_methodE3ELS4_3ELS4_3ELNS0_20block_scan_algorithmE0ELj4294967295EEENS1_25partition_config_selectorILNS1_17partition_subalgoE3EjNS0_10empty_typeEbEEZZNS1_14partition_implILS8_3ELb0ES6_jNS0_17counting_iteratorIjlEEPS9_SE_NS0_5tupleIJPjSE_EEENSF_IJSE_SE_EEES9_SG_JZNS1_25segmented_radix_sort_implINS0_14default_configELb1EPKlPlSM_SN_N2at6native12_GLOBAL__N_18offset_tEEE10hipError_tPvRmT1_PNSt15iterator_traitsISV_E10value_typeET2_T3_PNSW_IS11_E10value_typeET4_jRbjT5_S17_jjP12ihipStream_tbEUljE_EEESS_ST_SU_S11_S15_S17_T6_T7_T9_mT8_S19_bDpT10_ENKUlT_T0_E_clISt17integral_constantIbLb0EES1M_EEDaS1H_S1I_EUlS1H_E_NS1_11comp_targetILNS1_3genE5ELNS1_11target_archE942ELNS1_3gpuE9ELNS1_3repE0EEENS1_30default_config_static_selectorELNS0_4arch9wavefront6targetE1EEEvSV_,@function
_ZN7rocprim17ROCPRIM_400000_NS6detail17trampoline_kernelINS0_13select_configILj256ELj13ELNS0_17block_load_methodE3ELS4_3ELS4_3ELNS0_20block_scan_algorithmE0ELj4294967295EEENS1_25partition_config_selectorILNS1_17partition_subalgoE3EjNS0_10empty_typeEbEEZZNS1_14partition_implILS8_3ELb0ES6_jNS0_17counting_iteratorIjlEEPS9_SE_NS0_5tupleIJPjSE_EEENSF_IJSE_SE_EEES9_SG_JZNS1_25segmented_radix_sort_implINS0_14default_configELb1EPKlPlSM_SN_N2at6native12_GLOBAL__N_18offset_tEEE10hipError_tPvRmT1_PNSt15iterator_traitsISV_E10value_typeET2_T3_PNSW_IS11_E10value_typeET4_jRbjT5_S17_jjP12ihipStream_tbEUljE_EEESS_ST_SU_S11_S15_S17_T6_T7_T9_mT8_S19_bDpT10_ENKUlT_T0_E_clISt17integral_constantIbLb0EES1M_EEDaS1H_S1I_EUlS1H_E_NS1_11comp_targetILNS1_3genE5ELNS1_11target_archE942ELNS1_3gpuE9ELNS1_3repE0EEENS1_30default_config_static_selectorELNS0_4arch9wavefront6targetE1EEEvSV_: ; @_ZN7rocprim17ROCPRIM_400000_NS6detail17trampoline_kernelINS0_13select_configILj256ELj13ELNS0_17block_load_methodE3ELS4_3ELS4_3ELNS0_20block_scan_algorithmE0ELj4294967295EEENS1_25partition_config_selectorILNS1_17partition_subalgoE3EjNS0_10empty_typeEbEEZZNS1_14partition_implILS8_3ELb0ES6_jNS0_17counting_iteratorIjlEEPS9_SE_NS0_5tupleIJPjSE_EEENSF_IJSE_SE_EEES9_SG_JZNS1_25segmented_radix_sort_implINS0_14default_configELb1EPKlPlSM_SN_N2at6native12_GLOBAL__N_18offset_tEEE10hipError_tPvRmT1_PNSt15iterator_traitsISV_E10value_typeET2_T3_PNSW_IS11_E10value_typeET4_jRbjT5_S17_jjP12ihipStream_tbEUljE_EEESS_ST_SU_S11_S15_S17_T6_T7_T9_mT8_S19_bDpT10_ENKUlT_T0_E_clISt17integral_constantIbLb0EES1M_EEDaS1H_S1I_EUlS1H_E_NS1_11comp_targetILNS1_3genE5ELNS1_11target_archE942ELNS1_3gpuE9ELNS1_3repE0EEENS1_30default_config_static_selectorELNS0_4arch9wavefront6targetE1EEEvSV_
; %bb.0:
	.section	.rodata,"a",@progbits
	.p2align	6, 0x0
	.amdhsa_kernel _ZN7rocprim17ROCPRIM_400000_NS6detail17trampoline_kernelINS0_13select_configILj256ELj13ELNS0_17block_load_methodE3ELS4_3ELS4_3ELNS0_20block_scan_algorithmE0ELj4294967295EEENS1_25partition_config_selectorILNS1_17partition_subalgoE3EjNS0_10empty_typeEbEEZZNS1_14partition_implILS8_3ELb0ES6_jNS0_17counting_iteratorIjlEEPS9_SE_NS0_5tupleIJPjSE_EEENSF_IJSE_SE_EEES9_SG_JZNS1_25segmented_radix_sort_implINS0_14default_configELb1EPKlPlSM_SN_N2at6native12_GLOBAL__N_18offset_tEEE10hipError_tPvRmT1_PNSt15iterator_traitsISV_E10value_typeET2_T3_PNSW_IS11_E10value_typeET4_jRbjT5_S17_jjP12ihipStream_tbEUljE_EEESS_ST_SU_S11_S15_S17_T6_T7_T9_mT8_S19_bDpT10_ENKUlT_T0_E_clISt17integral_constantIbLb0EES1M_EEDaS1H_S1I_EUlS1H_E_NS1_11comp_targetILNS1_3genE5ELNS1_11target_archE942ELNS1_3gpuE9ELNS1_3repE0EEENS1_30default_config_static_selectorELNS0_4arch9wavefront6targetE1EEEvSV_
		.amdhsa_group_segment_fixed_size 0
		.amdhsa_private_segment_fixed_size 0
		.amdhsa_kernarg_size 144
		.amdhsa_user_sgpr_count 6
		.amdhsa_user_sgpr_private_segment_buffer 1
		.amdhsa_user_sgpr_dispatch_ptr 0
		.amdhsa_user_sgpr_queue_ptr 0
		.amdhsa_user_sgpr_kernarg_segment_ptr 1
		.amdhsa_user_sgpr_dispatch_id 0
		.amdhsa_user_sgpr_flat_scratch_init 0
		.amdhsa_user_sgpr_private_segment_size 0
		.amdhsa_uses_dynamic_stack 0
		.amdhsa_system_sgpr_private_segment_wavefront_offset 0
		.amdhsa_system_sgpr_workgroup_id_x 1
		.amdhsa_system_sgpr_workgroup_id_y 0
		.amdhsa_system_sgpr_workgroup_id_z 0
		.amdhsa_system_sgpr_workgroup_info 0
		.amdhsa_system_vgpr_workitem_id 0
		.amdhsa_next_free_vgpr 1
		.amdhsa_next_free_sgpr 0
		.amdhsa_reserve_vcc 0
		.amdhsa_reserve_flat_scratch 0
		.amdhsa_float_round_mode_32 0
		.amdhsa_float_round_mode_16_64 0
		.amdhsa_float_denorm_mode_32 3
		.amdhsa_float_denorm_mode_16_64 3
		.amdhsa_dx10_clamp 1
		.amdhsa_ieee_mode 1
		.amdhsa_fp16_overflow 0
		.amdhsa_exception_fp_ieee_invalid_op 0
		.amdhsa_exception_fp_denorm_src 0
		.amdhsa_exception_fp_ieee_div_zero 0
		.amdhsa_exception_fp_ieee_overflow 0
		.amdhsa_exception_fp_ieee_underflow 0
		.amdhsa_exception_fp_ieee_inexact 0
		.amdhsa_exception_int_div_zero 0
	.end_amdhsa_kernel
	.section	.text._ZN7rocprim17ROCPRIM_400000_NS6detail17trampoline_kernelINS0_13select_configILj256ELj13ELNS0_17block_load_methodE3ELS4_3ELS4_3ELNS0_20block_scan_algorithmE0ELj4294967295EEENS1_25partition_config_selectorILNS1_17partition_subalgoE3EjNS0_10empty_typeEbEEZZNS1_14partition_implILS8_3ELb0ES6_jNS0_17counting_iteratorIjlEEPS9_SE_NS0_5tupleIJPjSE_EEENSF_IJSE_SE_EEES9_SG_JZNS1_25segmented_radix_sort_implINS0_14default_configELb1EPKlPlSM_SN_N2at6native12_GLOBAL__N_18offset_tEEE10hipError_tPvRmT1_PNSt15iterator_traitsISV_E10value_typeET2_T3_PNSW_IS11_E10value_typeET4_jRbjT5_S17_jjP12ihipStream_tbEUljE_EEESS_ST_SU_S11_S15_S17_T6_T7_T9_mT8_S19_bDpT10_ENKUlT_T0_E_clISt17integral_constantIbLb0EES1M_EEDaS1H_S1I_EUlS1H_E_NS1_11comp_targetILNS1_3genE5ELNS1_11target_archE942ELNS1_3gpuE9ELNS1_3repE0EEENS1_30default_config_static_selectorELNS0_4arch9wavefront6targetE1EEEvSV_,"axG",@progbits,_ZN7rocprim17ROCPRIM_400000_NS6detail17trampoline_kernelINS0_13select_configILj256ELj13ELNS0_17block_load_methodE3ELS4_3ELS4_3ELNS0_20block_scan_algorithmE0ELj4294967295EEENS1_25partition_config_selectorILNS1_17partition_subalgoE3EjNS0_10empty_typeEbEEZZNS1_14partition_implILS8_3ELb0ES6_jNS0_17counting_iteratorIjlEEPS9_SE_NS0_5tupleIJPjSE_EEENSF_IJSE_SE_EEES9_SG_JZNS1_25segmented_radix_sort_implINS0_14default_configELb1EPKlPlSM_SN_N2at6native12_GLOBAL__N_18offset_tEEE10hipError_tPvRmT1_PNSt15iterator_traitsISV_E10value_typeET2_T3_PNSW_IS11_E10value_typeET4_jRbjT5_S17_jjP12ihipStream_tbEUljE_EEESS_ST_SU_S11_S15_S17_T6_T7_T9_mT8_S19_bDpT10_ENKUlT_T0_E_clISt17integral_constantIbLb0EES1M_EEDaS1H_S1I_EUlS1H_E_NS1_11comp_targetILNS1_3genE5ELNS1_11target_archE942ELNS1_3gpuE9ELNS1_3repE0EEENS1_30default_config_static_selectorELNS0_4arch9wavefront6targetE1EEEvSV_,comdat
.Lfunc_end673:
	.size	_ZN7rocprim17ROCPRIM_400000_NS6detail17trampoline_kernelINS0_13select_configILj256ELj13ELNS0_17block_load_methodE3ELS4_3ELS4_3ELNS0_20block_scan_algorithmE0ELj4294967295EEENS1_25partition_config_selectorILNS1_17partition_subalgoE3EjNS0_10empty_typeEbEEZZNS1_14partition_implILS8_3ELb0ES6_jNS0_17counting_iteratorIjlEEPS9_SE_NS0_5tupleIJPjSE_EEENSF_IJSE_SE_EEES9_SG_JZNS1_25segmented_radix_sort_implINS0_14default_configELb1EPKlPlSM_SN_N2at6native12_GLOBAL__N_18offset_tEEE10hipError_tPvRmT1_PNSt15iterator_traitsISV_E10value_typeET2_T3_PNSW_IS11_E10value_typeET4_jRbjT5_S17_jjP12ihipStream_tbEUljE_EEESS_ST_SU_S11_S15_S17_T6_T7_T9_mT8_S19_bDpT10_ENKUlT_T0_E_clISt17integral_constantIbLb0EES1M_EEDaS1H_S1I_EUlS1H_E_NS1_11comp_targetILNS1_3genE5ELNS1_11target_archE942ELNS1_3gpuE9ELNS1_3repE0EEENS1_30default_config_static_selectorELNS0_4arch9wavefront6targetE1EEEvSV_, .Lfunc_end673-_ZN7rocprim17ROCPRIM_400000_NS6detail17trampoline_kernelINS0_13select_configILj256ELj13ELNS0_17block_load_methodE3ELS4_3ELS4_3ELNS0_20block_scan_algorithmE0ELj4294967295EEENS1_25partition_config_selectorILNS1_17partition_subalgoE3EjNS0_10empty_typeEbEEZZNS1_14partition_implILS8_3ELb0ES6_jNS0_17counting_iteratorIjlEEPS9_SE_NS0_5tupleIJPjSE_EEENSF_IJSE_SE_EEES9_SG_JZNS1_25segmented_radix_sort_implINS0_14default_configELb1EPKlPlSM_SN_N2at6native12_GLOBAL__N_18offset_tEEE10hipError_tPvRmT1_PNSt15iterator_traitsISV_E10value_typeET2_T3_PNSW_IS11_E10value_typeET4_jRbjT5_S17_jjP12ihipStream_tbEUljE_EEESS_ST_SU_S11_S15_S17_T6_T7_T9_mT8_S19_bDpT10_ENKUlT_T0_E_clISt17integral_constantIbLb0EES1M_EEDaS1H_S1I_EUlS1H_E_NS1_11comp_targetILNS1_3genE5ELNS1_11target_archE942ELNS1_3gpuE9ELNS1_3repE0EEENS1_30default_config_static_selectorELNS0_4arch9wavefront6targetE1EEEvSV_
                                        ; -- End function
	.set _ZN7rocprim17ROCPRIM_400000_NS6detail17trampoline_kernelINS0_13select_configILj256ELj13ELNS0_17block_load_methodE3ELS4_3ELS4_3ELNS0_20block_scan_algorithmE0ELj4294967295EEENS1_25partition_config_selectorILNS1_17partition_subalgoE3EjNS0_10empty_typeEbEEZZNS1_14partition_implILS8_3ELb0ES6_jNS0_17counting_iteratorIjlEEPS9_SE_NS0_5tupleIJPjSE_EEENSF_IJSE_SE_EEES9_SG_JZNS1_25segmented_radix_sort_implINS0_14default_configELb1EPKlPlSM_SN_N2at6native12_GLOBAL__N_18offset_tEEE10hipError_tPvRmT1_PNSt15iterator_traitsISV_E10value_typeET2_T3_PNSW_IS11_E10value_typeET4_jRbjT5_S17_jjP12ihipStream_tbEUljE_EEESS_ST_SU_S11_S15_S17_T6_T7_T9_mT8_S19_bDpT10_ENKUlT_T0_E_clISt17integral_constantIbLb0EES1M_EEDaS1H_S1I_EUlS1H_E_NS1_11comp_targetILNS1_3genE5ELNS1_11target_archE942ELNS1_3gpuE9ELNS1_3repE0EEENS1_30default_config_static_selectorELNS0_4arch9wavefront6targetE1EEEvSV_.num_vgpr, 0
	.set _ZN7rocprim17ROCPRIM_400000_NS6detail17trampoline_kernelINS0_13select_configILj256ELj13ELNS0_17block_load_methodE3ELS4_3ELS4_3ELNS0_20block_scan_algorithmE0ELj4294967295EEENS1_25partition_config_selectorILNS1_17partition_subalgoE3EjNS0_10empty_typeEbEEZZNS1_14partition_implILS8_3ELb0ES6_jNS0_17counting_iteratorIjlEEPS9_SE_NS0_5tupleIJPjSE_EEENSF_IJSE_SE_EEES9_SG_JZNS1_25segmented_radix_sort_implINS0_14default_configELb1EPKlPlSM_SN_N2at6native12_GLOBAL__N_18offset_tEEE10hipError_tPvRmT1_PNSt15iterator_traitsISV_E10value_typeET2_T3_PNSW_IS11_E10value_typeET4_jRbjT5_S17_jjP12ihipStream_tbEUljE_EEESS_ST_SU_S11_S15_S17_T6_T7_T9_mT8_S19_bDpT10_ENKUlT_T0_E_clISt17integral_constantIbLb0EES1M_EEDaS1H_S1I_EUlS1H_E_NS1_11comp_targetILNS1_3genE5ELNS1_11target_archE942ELNS1_3gpuE9ELNS1_3repE0EEENS1_30default_config_static_selectorELNS0_4arch9wavefront6targetE1EEEvSV_.num_agpr, 0
	.set _ZN7rocprim17ROCPRIM_400000_NS6detail17trampoline_kernelINS0_13select_configILj256ELj13ELNS0_17block_load_methodE3ELS4_3ELS4_3ELNS0_20block_scan_algorithmE0ELj4294967295EEENS1_25partition_config_selectorILNS1_17partition_subalgoE3EjNS0_10empty_typeEbEEZZNS1_14partition_implILS8_3ELb0ES6_jNS0_17counting_iteratorIjlEEPS9_SE_NS0_5tupleIJPjSE_EEENSF_IJSE_SE_EEES9_SG_JZNS1_25segmented_radix_sort_implINS0_14default_configELb1EPKlPlSM_SN_N2at6native12_GLOBAL__N_18offset_tEEE10hipError_tPvRmT1_PNSt15iterator_traitsISV_E10value_typeET2_T3_PNSW_IS11_E10value_typeET4_jRbjT5_S17_jjP12ihipStream_tbEUljE_EEESS_ST_SU_S11_S15_S17_T6_T7_T9_mT8_S19_bDpT10_ENKUlT_T0_E_clISt17integral_constantIbLb0EES1M_EEDaS1H_S1I_EUlS1H_E_NS1_11comp_targetILNS1_3genE5ELNS1_11target_archE942ELNS1_3gpuE9ELNS1_3repE0EEENS1_30default_config_static_selectorELNS0_4arch9wavefront6targetE1EEEvSV_.numbered_sgpr, 0
	.set _ZN7rocprim17ROCPRIM_400000_NS6detail17trampoline_kernelINS0_13select_configILj256ELj13ELNS0_17block_load_methodE3ELS4_3ELS4_3ELNS0_20block_scan_algorithmE0ELj4294967295EEENS1_25partition_config_selectorILNS1_17partition_subalgoE3EjNS0_10empty_typeEbEEZZNS1_14partition_implILS8_3ELb0ES6_jNS0_17counting_iteratorIjlEEPS9_SE_NS0_5tupleIJPjSE_EEENSF_IJSE_SE_EEES9_SG_JZNS1_25segmented_radix_sort_implINS0_14default_configELb1EPKlPlSM_SN_N2at6native12_GLOBAL__N_18offset_tEEE10hipError_tPvRmT1_PNSt15iterator_traitsISV_E10value_typeET2_T3_PNSW_IS11_E10value_typeET4_jRbjT5_S17_jjP12ihipStream_tbEUljE_EEESS_ST_SU_S11_S15_S17_T6_T7_T9_mT8_S19_bDpT10_ENKUlT_T0_E_clISt17integral_constantIbLb0EES1M_EEDaS1H_S1I_EUlS1H_E_NS1_11comp_targetILNS1_3genE5ELNS1_11target_archE942ELNS1_3gpuE9ELNS1_3repE0EEENS1_30default_config_static_selectorELNS0_4arch9wavefront6targetE1EEEvSV_.num_named_barrier, 0
	.set _ZN7rocprim17ROCPRIM_400000_NS6detail17trampoline_kernelINS0_13select_configILj256ELj13ELNS0_17block_load_methodE3ELS4_3ELS4_3ELNS0_20block_scan_algorithmE0ELj4294967295EEENS1_25partition_config_selectorILNS1_17partition_subalgoE3EjNS0_10empty_typeEbEEZZNS1_14partition_implILS8_3ELb0ES6_jNS0_17counting_iteratorIjlEEPS9_SE_NS0_5tupleIJPjSE_EEENSF_IJSE_SE_EEES9_SG_JZNS1_25segmented_radix_sort_implINS0_14default_configELb1EPKlPlSM_SN_N2at6native12_GLOBAL__N_18offset_tEEE10hipError_tPvRmT1_PNSt15iterator_traitsISV_E10value_typeET2_T3_PNSW_IS11_E10value_typeET4_jRbjT5_S17_jjP12ihipStream_tbEUljE_EEESS_ST_SU_S11_S15_S17_T6_T7_T9_mT8_S19_bDpT10_ENKUlT_T0_E_clISt17integral_constantIbLb0EES1M_EEDaS1H_S1I_EUlS1H_E_NS1_11comp_targetILNS1_3genE5ELNS1_11target_archE942ELNS1_3gpuE9ELNS1_3repE0EEENS1_30default_config_static_selectorELNS0_4arch9wavefront6targetE1EEEvSV_.private_seg_size, 0
	.set _ZN7rocprim17ROCPRIM_400000_NS6detail17trampoline_kernelINS0_13select_configILj256ELj13ELNS0_17block_load_methodE3ELS4_3ELS4_3ELNS0_20block_scan_algorithmE0ELj4294967295EEENS1_25partition_config_selectorILNS1_17partition_subalgoE3EjNS0_10empty_typeEbEEZZNS1_14partition_implILS8_3ELb0ES6_jNS0_17counting_iteratorIjlEEPS9_SE_NS0_5tupleIJPjSE_EEENSF_IJSE_SE_EEES9_SG_JZNS1_25segmented_radix_sort_implINS0_14default_configELb1EPKlPlSM_SN_N2at6native12_GLOBAL__N_18offset_tEEE10hipError_tPvRmT1_PNSt15iterator_traitsISV_E10value_typeET2_T3_PNSW_IS11_E10value_typeET4_jRbjT5_S17_jjP12ihipStream_tbEUljE_EEESS_ST_SU_S11_S15_S17_T6_T7_T9_mT8_S19_bDpT10_ENKUlT_T0_E_clISt17integral_constantIbLb0EES1M_EEDaS1H_S1I_EUlS1H_E_NS1_11comp_targetILNS1_3genE5ELNS1_11target_archE942ELNS1_3gpuE9ELNS1_3repE0EEENS1_30default_config_static_selectorELNS0_4arch9wavefront6targetE1EEEvSV_.uses_vcc, 0
	.set _ZN7rocprim17ROCPRIM_400000_NS6detail17trampoline_kernelINS0_13select_configILj256ELj13ELNS0_17block_load_methodE3ELS4_3ELS4_3ELNS0_20block_scan_algorithmE0ELj4294967295EEENS1_25partition_config_selectorILNS1_17partition_subalgoE3EjNS0_10empty_typeEbEEZZNS1_14partition_implILS8_3ELb0ES6_jNS0_17counting_iteratorIjlEEPS9_SE_NS0_5tupleIJPjSE_EEENSF_IJSE_SE_EEES9_SG_JZNS1_25segmented_radix_sort_implINS0_14default_configELb1EPKlPlSM_SN_N2at6native12_GLOBAL__N_18offset_tEEE10hipError_tPvRmT1_PNSt15iterator_traitsISV_E10value_typeET2_T3_PNSW_IS11_E10value_typeET4_jRbjT5_S17_jjP12ihipStream_tbEUljE_EEESS_ST_SU_S11_S15_S17_T6_T7_T9_mT8_S19_bDpT10_ENKUlT_T0_E_clISt17integral_constantIbLb0EES1M_EEDaS1H_S1I_EUlS1H_E_NS1_11comp_targetILNS1_3genE5ELNS1_11target_archE942ELNS1_3gpuE9ELNS1_3repE0EEENS1_30default_config_static_selectorELNS0_4arch9wavefront6targetE1EEEvSV_.uses_flat_scratch, 0
	.set _ZN7rocprim17ROCPRIM_400000_NS6detail17trampoline_kernelINS0_13select_configILj256ELj13ELNS0_17block_load_methodE3ELS4_3ELS4_3ELNS0_20block_scan_algorithmE0ELj4294967295EEENS1_25partition_config_selectorILNS1_17partition_subalgoE3EjNS0_10empty_typeEbEEZZNS1_14partition_implILS8_3ELb0ES6_jNS0_17counting_iteratorIjlEEPS9_SE_NS0_5tupleIJPjSE_EEENSF_IJSE_SE_EEES9_SG_JZNS1_25segmented_radix_sort_implINS0_14default_configELb1EPKlPlSM_SN_N2at6native12_GLOBAL__N_18offset_tEEE10hipError_tPvRmT1_PNSt15iterator_traitsISV_E10value_typeET2_T3_PNSW_IS11_E10value_typeET4_jRbjT5_S17_jjP12ihipStream_tbEUljE_EEESS_ST_SU_S11_S15_S17_T6_T7_T9_mT8_S19_bDpT10_ENKUlT_T0_E_clISt17integral_constantIbLb0EES1M_EEDaS1H_S1I_EUlS1H_E_NS1_11comp_targetILNS1_3genE5ELNS1_11target_archE942ELNS1_3gpuE9ELNS1_3repE0EEENS1_30default_config_static_selectorELNS0_4arch9wavefront6targetE1EEEvSV_.has_dyn_sized_stack, 0
	.set _ZN7rocprim17ROCPRIM_400000_NS6detail17trampoline_kernelINS0_13select_configILj256ELj13ELNS0_17block_load_methodE3ELS4_3ELS4_3ELNS0_20block_scan_algorithmE0ELj4294967295EEENS1_25partition_config_selectorILNS1_17partition_subalgoE3EjNS0_10empty_typeEbEEZZNS1_14partition_implILS8_3ELb0ES6_jNS0_17counting_iteratorIjlEEPS9_SE_NS0_5tupleIJPjSE_EEENSF_IJSE_SE_EEES9_SG_JZNS1_25segmented_radix_sort_implINS0_14default_configELb1EPKlPlSM_SN_N2at6native12_GLOBAL__N_18offset_tEEE10hipError_tPvRmT1_PNSt15iterator_traitsISV_E10value_typeET2_T3_PNSW_IS11_E10value_typeET4_jRbjT5_S17_jjP12ihipStream_tbEUljE_EEESS_ST_SU_S11_S15_S17_T6_T7_T9_mT8_S19_bDpT10_ENKUlT_T0_E_clISt17integral_constantIbLb0EES1M_EEDaS1H_S1I_EUlS1H_E_NS1_11comp_targetILNS1_3genE5ELNS1_11target_archE942ELNS1_3gpuE9ELNS1_3repE0EEENS1_30default_config_static_selectorELNS0_4arch9wavefront6targetE1EEEvSV_.has_recursion, 0
	.set _ZN7rocprim17ROCPRIM_400000_NS6detail17trampoline_kernelINS0_13select_configILj256ELj13ELNS0_17block_load_methodE3ELS4_3ELS4_3ELNS0_20block_scan_algorithmE0ELj4294967295EEENS1_25partition_config_selectorILNS1_17partition_subalgoE3EjNS0_10empty_typeEbEEZZNS1_14partition_implILS8_3ELb0ES6_jNS0_17counting_iteratorIjlEEPS9_SE_NS0_5tupleIJPjSE_EEENSF_IJSE_SE_EEES9_SG_JZNS1_25segmented_radix_sort_implINS0_14default_configELb1EPKlPlSM_SN_N2at6native12_GLOBAL__N_18offset_tEEE10hipError_tPvRmT1_PNSt15iterator_traitsISV_E10value_typeET2_T3_PNSW_IS11_E10value_typeET4_jRbjT5_S17_jjP12ihipStream_tbEUljE_EEESS_ST_SU_S11_S15_S17_T6_T7_T9_mT8_S19_bDpT10_ENKUlT_T0_E_clISt17integral_constantIbLb0EES1M_EEDaS1H_S1I_EUlS1H_E_NS1_11comp_targetILNS1_3genE5ELNS1_11target_archE942ELNS1_3gpuE9ELNS1_3repE0EEENS1_30default_config_static_selectorELNS0_4arch9wavefront6targetE1EEEvSV_.has_indirect_call, 0
	.section	.AMDGPU.csdata,"",@progbits
; Kernel info:
; codeLenInByte = 0
; TotalNumSgprs: 4
; NumVgprs: 0
; ScratchSize: 0
; MemoryBound: 0
; FloatMode: 240
; IeeeMode: 1
; LDSByteSize: 0 bytes/workgroup (compile time only)
; SGPRBlocks: 0
; VGPRBlocks: 0
; NumSGPRsForWavesPerEU: 4
; NumVGPRsForWavesPerEU: 1
; Occupancy: 10
; WaveLimiterHint : 0
; COMPUTE_PGM_RSRC2:SCRATCH_EN: 0
; COMPUTE_PGM_RSRC2:USER_SGPR: 6
; COMPUTE_PGM_RSRC2:TRAP_HANDLER: 0
; COMPUTE_PGM_RSRC2:TGID_X_EN: 1
; COMPUTE_PGM_RSRC2:TGID_Y_EN: 0
; COMPUTE_PGM_RSRC2:TGID_Z_EN: 0
; COMPUTE_PGM_RSRC2:TIDIG_COMP_CNT: 0
	.section	.text._ZN7rocprim17ROCPRIM_400000_NS6detail17trampoline_kernelINS0_13select_configILj256ELj13ELNS0_17block_load_methodE3ELS4_3ELS4_3ELNS0_20block_scan_algorithmE0ELj4294967295EEENS1_25partition_config_selectorILNS1_17partition_subalgoE3EjNS0_10empty_typeEbEEZZNS1_14partition_implILS8_3ELb0ES6_jNS0_17counting_iteratorIjlEEPS9_SE_NS0_5tupleIJPjSE_EEENSF_IJSE_SE_EEES9_SG_JZNS1_25segmented_radix_sort_implINS0_14default_configELb1EPKlPlSM_SN_N2at6native12_GLOBAL__N_18offset_tEEE10hipError_tPvRmT1_PNSt15iterator_traitsISV_E10value_typeET2_T3_PNSW_IS11_E10value_typeET4_jRbjT5_S17_jjP12ihipStream_tbEUljE_EEESS_ST_SU_S11_S15_S17_T6_T7_T9_mT8_S19_bDpT10_ENKUlT_T0_E_clISt17integral_constantIbLb0EES1M_EEDaS1H_S1I_EUlS1H_E_NS1_11comp_targetILNS1_3genE4ELNS1_11target_archE910ELNS1_3gpuE8ELNS1_3repE0EEENS1_30default_config_static_selectorELNS0_4arch9wavefront6targetE1EEEvSV_,"axG",@progbits,_ZN7rocprim17ROCPRIM_400000_NS6detail17trampoline_kernelINS0_13select_configILj256ELj13ELNS0_17block_load_methodE3ELS4_3ELS4_3ELNS0_20block_scan_algorithmE0ELj4294967295EEENS1_25partition_config_selectorILNS1_17partition_subalgoE3EjNS0_10empty_typeEbEEZZNS1_14partition_implILS8_3ELb0ES6_jNS0_17counting_iteratorIjlEEPS9_SE_NS0_5tupleIJPjSE_EEENSF_IJSE_SE_EEES9_SG_JZNS1_25segmented_radix_sort_implINS0_14default_configELb1EPKlPlSM_SN_N2at6native12_GLOBAL__N_18offset_tEEE10hipError_tPvRmT1_PNSt15iterator_traitsISV_E10value_typeET2_T3_PNSW_IS11_E10value_typeET4_jRbjT5_S17_jjP12ihipStream_tbEUljE_EEESS_ST_SU_S11_S15_S17_T6_T7_T9_mT8_S19_bDpT10_ENKUlT_T0_E_clISt17integral_constantIbLb0EES1M_EEDaS1H_S1I_EUlS1H_E_NS1_11comp_targetILNS1_3genE4ELNS1_11target_archE910ELNS1_3gpuE8ELNS1_3repE0EEENS1_30default_config_static_selectorELNS0_4arch9wavefront6targetE1EEEvSV_,comdat
	.globl	_ZN7rocprim17ROCPRIM_400000_NS6detail17trampoline_kernelINS0_13select_configILj256ELj13ELNS0_17block_load_methodE3ELS4_3ELS4_3ELNS0_20block_scan_algorithmE0ELj4294967295EEENS1_25partition_config_selectorILNS1_17partition_subalgoE3EjNS0_10empty_typeEbEEZZNS1_14partition_implILS8_3ELb0ES6_jNS0_17counting_iteratorIjlEEPS9_SE_NS0_5tupleIJPjSE_EEENSF_IJSE_SE_EEES9_SG_JZNS1_25segmented_radix_sort_implINS0_14default_configELb1EPKlPlSM_SN_N2at6native12_GLOBAL__N_18offset_tEEE10hipError_tPvRmT1_PNSt15iterator_traitsISV_E10value_typeET2_T3_PNSW_IS11_E10value_typeET4_jRbjT5_S17_jjP12ihipStream_tbEUljE_EEESS_ST_SU_S11_S15_S17_T6_T7_T9_mT8_S19_bDpT10_ENKUlT_T0_E_clISt17integral_constantIbLb0EES1M_EEDaS1H_S1I_EUlS1H_E_NS1_11comp_targetILNS1_3genE4ELNS1_11target_archE910ELNS1_3gpuE8ELNS1_3repE0EEENS1_30default_config_static_selectorELNS0_4arch9wavefront6targetE1EEEvSV_ ; -- Begin function _ZN7rocprim17ROCPRIM_400000_NS6detail17trampoline_kernelINS0_13select_configILj256ELj13ELNS0_17block_load_methodE3ELS4_3ELS4_3ELNS0_20block_scan_algorithmE0ELj4294967295EEENS1_25partition_config_selectorILNS1_17partition_subalgoE3EjNS0_10empty_typeEbEEZZNS1_14partition_implILS8_3ELb0ES6_jNS0_17counting_iteratorIjlEEPS9_SE_NS0_5tupleIJPjSE_EEENSF_IJSE_SE_EEES9_SG_JZNS1_25segmented_radix_sort_implINS0_14default_configELb1EPKlPlSM_SN_N2at6native12_GLOBAL__N_18offset_tEEE10hipError_tPvRmT1_PNSt15iterator_traitsISV_E10value_typeET2_T3_PNSW_IS11_E10value_typeET4_jRbjT5_S17_jjP12ihipStream_tbEUljE_EEESS_ST_SU_S11_S15_S17_T6_T7_T9_mT8_S19_bDpT10_ENKUlT_T0_E_clISt17integral_constantIbLb0EES1M_EEDaS1H_S1I_EUlS1H_E_NS1_11comp_targetILNS1_3genE4ELNS1_11target_archE910ELNS1_3gpuE8ELNS1_3repE0EEENS1_30default_config_static_selectorELNS0_4arch9wavefront6targetE1EEEvSV_
	.p2align	8
	.type	_ZN7rocprim17ROCPRIM_400000_NS6detail17trampoline_kernelINS0_13select_configILj256ELj13ELNS0_17block_load_methodE3ELS4_3ELS4_3ELNS0_20block_scan_algorithmE0ELj4294967295EEENS1_25partition_config_selectorILNS1_17partition_subalgoE3EjNS0_10empty_typeEbEEZZNS1_14partition_implILS8_3ELb0ES6_jNS0_17counting_iteratorIjlEEPS9_SE_NS0_5tupleIJPjSE_EEENSF_IJSE_SE_EEES9_SG_JZNS1_25segmented_radix_sort_implINS0_14default_configELb1EPKlPlSM_SN_N2at6native12_GLOBAL__N_18offset_tEEE10hipError_tPvRmT1_PNSt15iterator_traitsISV_E10value_typeET2_T3_PNSW_IS11_E10value_typeET4_jRbjT5_S17_jjP12ihipStream_tbEUljE_EEESS_ST_SU_S11_S15_S17_T6_T7_T9_mT8_S19_bDpT10_ENKUlT_T0_E_clISt17integral_constantIbLb0EES1M_EEDaS1H_S1I_EUlS1H_E_NS1_11comp_targetILNS1_3genE4ELNS1_11target_archE910ELNS1_3gpuE8ELNS1_3repE0EEENS1_30default_config_static_selectorELNS0_4arch9wavefront6targetE1EEEvSV_,@function
_ZN7rocprim17ROCPRIM_400000_NS6detail17trampoline_kernelINS0_13select_configILj256ELj13ELNS0_17block_load_methodE3ELS4_3ELS4_3ELNS0_20block_scan_algorithmE0ELj4294967295EEENS1_25partition_config_selectorILNS1_17partition_subalgoE3EjNS0_10empty_typeEbEEZZNS1_14partition_implILS8_3ELb0ES6_jNS0_17counting_iteratorIjlEEPS9_SE_NS0_5tupleIJPjSE_EEENSF_IJSE_SE_EEES9_SG_JZNS1_25segmented_radix_sort_implINS0_14default_configELb1EPKlPlSM_SN_N2at6native12_GLOBAL__N_18offset_tEEE10hipError_tPvRmT1_PNSt15iterator_traitsISV_E10value_typeET2_T3_PNSW_IS11_E10value_typeET4_jRbjT5_S17_jjP12ihipStream_tbEUljE_EEESS_ST_SU_S11_S15_S17_T6_T7_T9_mT8_S19_bDpT10_ENKUlT_T0_E_clISt17integral_constantIbLb0EES1M_EEDaS1H_S1I_EUlS1H_E_NS1_11comp_targetILNS1_3genE4ELNS1_11target_archE910ELNS1_3gpuE8ELNS1_3repE0EEENS1_30default_config_static_selectorELNS0_4arch9wavefront6targetE1EEEvSV_: ; @_ZN7rocprim17ROCPRIM_400000_NS6detail17trampoline_kernelINS0_13select_configILj256ELj13ELNS0_17block_load_methodE3ELS4_3ELS4_3ELNS0_20block_scan_algorithmE0ELj4294967295EEENS1_25partition_config_selectorILNS1_17partition_subalgoE3EjNS0_10empty_typeEbEEZZNS1_14partition_implILS8_3ELb0ES6_jNS0_17counting_iteratorIjlEEPS9_SE_NS0_5tupleIJPjSE_EEENSF_IJSE_SE_EEES9_SG_JZNS1_25segmented_radix_sort_implINS0_14default_configELb1EPKlPlSM_SN_N2at6native12_GLOBAL__N_18offset_tEEE10hipError_tPvRmT1_PNSt15iterator_traitsISV_E10value_typeET2_T3_PNSW_IS11_E10value_typeET4_jRbjT5_S17_jjP12ihipStream_tbEUljE_EEESS_ST_SU_S11_S15_S17_T6_T7_T9_mT8_S19_bDpT10_ENKUlT_T0_E_clISt17integral_constantIbLb0EES1M_EEDaS1H_S1I_EUlS1H_E_NS1_11comp_targetILNS1_3genE4ELNS1_11target_archE910ELNS1_3gpuE8ELNS1_3repE0EEENS1_30default_config_static_selectorELNS0_4arch9wavefront6targetE1EEEvSV_
; %bb.0:
	.section	.rodata,"a",@progbits
	.p2align	6, 0x0
	.amdhsa_kernel _ZN7rocprim17ROCPRIM_400000_NS6detail17trampoline_kernelINS0_13select_configILj256ELj13ELNS0_17block_load_methodE3ELS4_3ELS4_3ELNS0_20block_scan_algorithmE0ELj4294967295EEENS1_25partition_config_selectorILNS1_17partition_subalgoE3EjNS0_10empty_typeEbEEZZNS1_14partition_implILS8_3ELb0ES6_jNS0_17counting_iteratorIjlEEPS9_SE_NS0_5tupleIJPjSE_EEENSF_IJSE_SE_EEES9_SG_JZNS1_25segmented_radix_sort_implINS0_14default_configELb1EPKlPlSM_SN_N2at6native12_GLOBAL__N_18offset_tEEE10hipError_tPvRmT1_PNSt15iterator_traitsISV_E10value_typeET2_T3_PNSW_IS11_E10value_typeET4_jRbjT5_S17_jjP12ihipStream_tbEUljE_EEESS_ST_SU_S11_S15_S17_T6_T7_T9_mT8_S19_bDpT10_ENKUlT_T0_E_clISt17integral_constantIbLb0EES1M_EEDaS1H_S1I_EUlS1H_E_NS1_11comp_targetILNS1_3genE4ELNS1_11target_archE910ELNS1_3gpuE8ELNS1_3repE0EEENS1_30default_config_static_selectorELNS0_4arch9wavefront6targetE1EEEvSV_
		.amdhsa_group_segment_fixed_size 0
		.amdhsa_private_segment_fixed_size 0
		.amdhsa_kernarg_size 144
		.amdhsa_user_sgpr_count 6
		.amdhsa_user_sgpr_private_segment_buffer 1
		.amdhsa_user_sgpr_dispatch_ptr 0
		.amdhsa_user_sgpr_queue_ptr 0
		.amdhsa_user_sgpr_kernarg_segment_ptr 1
		.amdhsa_user_sgpr_dispatch_id 0
		.amdhsa_user_sgpr_flat_scratch_init 0
		.amdhsa_user_sgpr_private_segment_size 0
		.amdhsa_uses_dynamic_stack 0
		.amdhsa_system_sgpr_private_segment_wavefront_offset 0
		.amdhsa_system_sgpr_workgroup_id_x 1
		.amdhsa_system_sgpr_workgroup_id_y 0
		.amdhsa_system_sgpr_workgroup_id_z 0
		.amdhsa_system_sgpr_workgroup_info 0
		.amdhsa_system_vgpr_workitem_id 0
		.amdhsa_next_free_vgpr 1
		.amdhsa_next_free_sgpr 0
		.amdhsa_reserve_vcc 0
		.amdhsa_reserve_flat_scratch 0
		.amdhsa_float_round_mode_32 0
		.amdhsa_float_round_mode_16_64 0
		.amdhsa_float_denorm_mode_32 3
		.amdhsa_float_denorm_mode_16_64 3
		.amdhsa_dx10_clamp 1
		.amdhsa_ieee_mode 1
		.amdhsa_fp16_overflow 0
		.amdhsa_exception_fp_ieee_invalid_op 0
		.amdhsa_exception_fp_denorm_src 0
		.amdhsa_exception_fp_ieee_div_zero 0
		.amdhsa_exception_fp_ieee_overflow 0
		.amdhsa_exception_fp_ieee_underflow 0
		.amdhsa_exception_fp_ieee_inexact 0
		.amdhsa_exception_int_div_zero 0
	.end_amdhsa_kernel
	.section	.text._ZN7rocprim17ROCPRIM_400000_NS6detail17trampoline_kernelINS0_13select_configILj256ELj13ELNS0_17block_load_methodE3ELS4_3ELS4_3ELNS0_20block_scan_algorithmE0ELj4294967295EEENS1_25partition_config_selectorILNS1_17partition_subalgoE3EjNS0_10empty_typeEbEEZZNS1_14partition_implILS8_3ELb0ES6_jNS0_17counting_iteratorIjlEEPS9_SE_NS0_5tupleIJPjSE_EEENSF_IJSE_SE_EEES9_SG_JZNS1_25segmented_radix_sort_implINS0_14default_configELb1EPKlPlSM_SN_N2at6native12_GLOBAL__N_18offset_tEEE10hipError_tPvRmT1_PNSt15iterator_traitsISV_E10value_typeET2_T3_PNSW_IS11_E10value_typeET4_jRbjT5_S17_jjP12ihipStream_tbEUljE_EEESS_ST_SU_S11_S15_S17_T6_T7_T9_mT8_S19_bDpT10_ENKUlT_T0_E_clISt17integral_constantIbLb0EES1M_EEDaS1H_S1I_EUlS1H_E_NS1_11comp_targetILNS1_3genE4ELNS1_11target_archE910ELNS1_3gpuE8ELNS1_3repE0EEENS1_30default_config_static_selectorELNS0_4arch9wavefront6targetE1EEEvSV_,"axG",@progbits,_ZN7rocprim17ROCPRIM_400000_NS6detail17trampoline_kernelINS0_13select_configILj256ELj13ELNS0_17block_load_methodE3ELS4_3ELS4_3ELNS0_20block_scan_algorithmE0ELj4294967295EEENS1_25partition_config_selectorILNS1_17partition_subalgoE3EjNS0_10empty_typeEbEEZZNS1_14partition_implILS8_3ELb0ES6_jNS0_17counting_iteratorIjlEEPS9_SE_NS0_5tupleIJPjSE_EEENSF_IJSE_SE_EEES9_SG_JZNS1_25segmented_radix_sort_implINS0_14default_configELb1EPKlPlSM_SN_N2at6native12_GLOBAL__N_18offset_tEEE10hipError_tPvRmT1_PNSt15iterator_traitsISV_E10value_typeET2_T3_PNSW_IS11_E10value_typeET4_jRbjT5_S17_jjP12ihipStream_tbEUljE_EEESS_ST_SU_S11_S15_S17_T6_T7_T9_mT8_S19_bDpT10_ENKUlT_T0_E_clISt17integral_constantIbLb0EES1M_EEDaS1H_S1I_EUlS1H_E_NS1_11comp_targetILNS1_3genE4ELNS1_11target_archE910ELNS1_3gpuE8ELNS1_3repE0EEENS1_30default_config_static_selectorELNS0_4arch9wavefront6targetE1EEEvSV_,comdat
.Lfunc_end674:
	.size	_ZN7rocprim17ROCPRIM_400000_NS6detail17trampoline_kernelINS0_13select_configILj256ELj13ELNS0_17block_load_methodE3ELS4_3ELS4_3ELNS0_20block_scan_algorithmE0ELj4294967295EEENS1_25partition_config_selectorILNS1_17partition_subalgoE3EjNS0_10empty_typeEbEEZZNS1_14partition_implILS8_3ELb0ES6_jNS0_17counting_iteratorIjlEEPS9_SE_NS0_5tupleIJPjSE_EEENSF_IJSE_SE_EEES9_SG_JZNS1_25segmented_radix_sort_implINS0_14default_configELb1EPKlPlSM_SN_N2at6native12_GLOBAL__N_18offset_tEEE10hipError_tPvRmT1_PNSt15iterator_traitsISV_E10value_typeET2_T3_PNSW_IS11_E10value_typeET4_jRbjT5_S17_jjP12ihipStream_tbEUljE_EEESS_ST_SU_S11_S15_S17_T6_T7_T9_mT8_S19_bDpT10_ENKUlT_T0_E_clISt17integral_constantIbLb0EES1M_EEDaS1H_S1I_EUlS1H_E_NS1_11comp_targetILNS1_3genE4ELNS1_11target_archE910ELNS1_3gpuE8ELNS1_3repE0EEENS1_30default_config_static_selectorELNS0_4arch9wavefront6targetE1EEEvSV_, .Lfunc_end674-_ZN7rocprim17ROCPRIM_400000_NS6detail17trampoline_kernelINS0_13select_configILj256ELj13ELNS0_17block_load_methodE3ELS4_3ELS4_3ELNS0_20block_scan_algorithmE0ELj4294967295EEENS1_25partition_config_selectorILNS1_17partition_subalgoE3EjNS0_10empty_typeEbEEZZNS1_14partition_implILS8_3ELb0ES6_jNS0_17counting_iteratorIjlEEPS9_SE_NS0_5tupleIJPjSE_EEENSF_IJSE_SE_EEES9_SG_JZNS1_25segmented_radix_sort_implINS0_14default_configELb1EPKlPlSM_SN_N2at6native12_GLOBAL__N_18offset_tEEE10hipError_tPvRmT1_PNSt15iterator_traitsISV_E10value_typeET2_T3_PNSW_IS11_E10value_typeET4_jRbjT5_S17_jjP12ihipStream_tbEUljE_EEESS_ST_SU_S11_S15_S17_T6_T7_T9_mT8_S19_bDpT10_ENKUlT_T0_E_clISt17integral_constantIbLb0EES1M_EEDaS1H_S1I_EUlS1H_E_NS1_11comp_targetILNS1_3genE4ELNS1_11target_archE910ELNS1_3gpuE8ELNS1_3repE0EEENS1_30default_config_static_selectorELNS0_4arch9wavefront6targetE1EEEvSV_
                                        ; -- End function
	.set _ZN7rocprim17ROCPRIM_400000_NS6detail17trampoline_kernelINS0_13select_configILj256ELj13ELNS0_17block_load_methodE3ELS4_3ELS4_3ELNS0_20block_scan_algorithmE0ELj4294967295EEENS1_25partition_config_selectorILNS1_17partition_subalgoE3EjNS0_10empty_typeEbEEZZNS1_14partition_implILS8_3ELb0ES6_jNS0_17counting_iteratorIjlEEPS9_SE_NS0_5tupleIJPjSE_EEENSF_IJSE_SE_EEES9_SG_JZNS1_25segmented_radix_sort_implINS0_14default_configELb1EPKlPlSM_SN_N2at6native12_GLOBAL__N_18offset_tEEE10hipError_tPvRmT1_PNSt15iterator_traitsISV_E10value_typeET2_T3_PNSW_IS11_E10value_typeET4_jRbjT5_S17_jjP12ihipStream_tbEUljE_EEESS_ST_SU_S11_S15_S17_T6_T7_T9_mT8_S19_bDpT10_ENKUlT_T0_E_clISt17integral_constantIbLb0EES1M_EEDaS1H_S1I_EUlS1H_E_NS1_11comp_targetILNS1_3genE4ELNS1_11target_archE910ELNS1_3gpuE8ELNS1_3repE0EEENS1_30default_config_static_selectorELNS0_4arch9wavefront6targetE1EEEvSV_.num_vgpr, 0
	.set _ZN7rocprim17ROCPRIM_400000_NS6detail17trampoline_kernelINS0_13select_configILj256ELj13ELNS0_17block_load_methodE3ELS4_3ELS4_3ELNS0_20block_scan_algorithmE0ELj4294967295EEENS1_25partition_config_selectorILNS1_17partition_subalgoE3EjNS0_10empty_typeEbEEZZNS1_14partition_implILS8_3ELb0ES6_jNS0_17counting_iteratorIjlEEPS9_SE_NS0_5tupleIJPjSE_EEENSF_IJSE_SE_EEES9_SG_JZNS1_25segmented_radix_sort_implINS0_14default_configELb1EPKlPlSM_SN_N2at6native12_GLOBAL__N_18offset_tEEE10hipError_tPvRmT1_PNSt15iterator_traitsISV_E10value_typeET2_T3_PNSW_IS11_E10value_typeET4_jRbjT5_S17_jjP12ihipStream_tbEUljE_EEESS_ST_SU_S11_S15_S17_T6_T7_T9_mT8_S19_bDpT10_ENKUlT_T0_E_clISt17integral_constantIbLb0EES1M_EEDaS1H_S1I_EUlS1H_E_NS1_11comp_targetILNS1_3genE4ELNS1_11target_archE910ELNS1_3gpuE8ELNS1_3repE0EEENS1_30default_config_static_selectorELNS0_4arch9wavefront6targetE1EEEvSV_.num_agpr, 0
	.set _ZN7rocprim17ROCPRIM_400000_NS6detail17trampoline_kernelINS0_13select_configILj256ELj13ELNS0_17block_load_methodE3ELS4_3ELS4_3ELNS0_20block_scan_algorithmE0ELj4294967295EEENS1_25partition_config_selectorILNS1_17partition_subalgoE3EjNS0_10empty_typeEbEEZZNS1_14partition_implILS8_3ELb0ES6_jNS0_17counting_iteratorIjlEEPS9_SE_NS0_5tupleIJPjSE_EEENSF_IJSE_SE_EEES9_SG_JZNS1_25segmented_radix_sort_implINS0_14default_configELb1EPKlPlSM_SN_N2at6native12_GLOBAL__N_18offset_tEEE10hipError_tPvRmT1_PNSt15iterator_traitsISV_E10value_typeET2_T3_PNSW_IS11_E10value_typeET4_jRbjT5_S17_jjP12ihipStream_tbEUljE_EEESS_ST_SU_S11_S15_S17_T6_T7_T9_mT8_S19_bDpT10_ENKUlT_T0_E_clISt17integral_constantIbLb0EES1M_EEDaS1H_S1I_EUlS1H_E_NS1_11comp_targetILNS1_3genE4ELNS1_11target_archE910ELNS1_3gpuE8ELNS1_3repE0EEENS1_30default_config_static_selectorELNS0_4arch9wavefront6targetE1EEEvSV_.numbered_sgpr, 0
	.set _ZN7rocprim17ROCPRIM_400000_NS6detail17trampoline_kernelINS0_13select_configILj256ELj13ELNS0_17block_load_methodE3ELS4_3ELS4_3ELNS0_20block_scan_algorithmE0ELj4294967295EEENS1_25partition_config_selectorILNS1_17partition_subalgoE3EjNS0_10empty_typeEbEEZZNS1_14partition_implILS8_3ELb0ES6_jNS0_17counting_iteratorIjlEEPS9_SE_NS0_5tupleIJPjSE_EEENSF_IJSE_SE_EEES9_SG_JZNS1_25segmented_radix_sort_implINS0_14default_configELb1EPKlPlSM_SN_N2at6native12_GLOBAL__N_18offset_tEEE10hipError_tPvRmT1_PNSt15iterator_traitsISV_E10value_typeET2_T3_PNSW_IS11_E10value_typeET4_jRbjT5_S17_jjP12ihipStream_tbEUljE_EEESS_ST_SU_S11_S15_S17_T6_T7_T9_mT8_S19_bDpT10_ENKUlT_T0_E_clISt17integral_constantIbLb0EES1M_EEDaS1H_S1I_EUlS1H_E_NS1_11comp_targetILNS1_3genE4ELNS1_11target_archE910ELNS1_3gpuE8ELNS1_3repE0EEENS1_30default_config_static_selectorELNS0_4arch9wavefront6targetE1EEEvSV_.num_named_barrier, 0
	.set _ZN7rocprim17ROCPRIM_400000_NS6detail17trampoline_kernelINS0_13select_configILj256ELj13ELNS0_17block_load_methodE3ELS4_3ELS4_3ELNS0_20block_scan_algorithmE0ELj4294967295EEENS1_25partition_config_selectorILNS1_17partition_subalgoE3EjNS0_10empty_typeEbEEZZNS1_14partition_implILS8_3ELb0ES6_jNS0_17counting_iteratorIjlEEPS9_SE_NS0_5tupleIJPjSE_EEENSF_IJSE_SE_EEES9_SG_JZNS1_25segmented_radix_sort_implINS0_14default_configELb1EPKlPlSM_SN_N2at6native12_GLOBAL__N_18offset_tEEE10hipError_tPvRmT1_PNSt15iterator_traitsISV_E10value_typeET2_T3_PNSW_IS11_E10value_typeET4_jRbjT5_S17_jjP12ihipStream_tbEUljE_EEESS_ST_SU_S11_S15_S17_T6_T7_T9_mT8_S19_bDpT10_ENKUlT_T0_E_clISt17integral_constantIbLb0EES1M_EEDaS1H_S1I_EUlS1H_E_NS1_11comp_targetILNS1_3genE4ELNS1_11target_archE910ELNS1_3gpuE8ELNS1_3repE0EEENS1_30default_config_static_selectorELNS0_4arch9wavefront6targetE1EEEvSV_.private_seg_size, 0
	.set _ZN7rocprim17ROCPRIM_400000_NS6detail17trampoline_kernelINS0_13select_configILj256ELj13ELNS0_17block_load_methodE3ELS4_3ELS4_3ELNS0_20block_scan_algorithmE0ELj4294967295EEENS1_25partition_config_selectorILNS1_17partition_subalgoE3EjNS0_10empty_typeEbEEZZNS1_14partition_implILS8_3ELb0ES6_jNS0_17counting_iteratorIjlEEPS9_SE_NS0_5tupleIJPjSE_EEENSF_IJSE_SE_EEES9_SG_JZNS1_25segmented_radix_sort_implINS0_14default_configELb1EPKlPlSM_SN_N2at6native12_GLOBAL__N_18offset_tEEE10hipError_tPvRmT1_PNSt15iterator_traitsISV_E10value_typeET2_T3_PNSW_IS11_E10value_typeET4_jRbjT5_S17_jjP12ihipStream_tbEUljE_EEESS_ST_SU_S11_S15_S17_T6_T7_T9_mT8_S19_bDpT10_ENKUlT_T0_E_clISt17integral_constantIbLb0EES1M_EEDaS1H_S1I_EUlS1H_E_NS1_11comp_targetILNS1_3genE4ELNS1_11target_archE910ELNS1_3gpuE8ELNS1_3repE0EEENS1_30default_config_static_selectorELNS0_4arch9wavefront6targetE1EEEvSV_.uses_vcc, 0
	.set _ZN7rocprim17ROCPRIM_400000_NS6detail17trampoline_kernelINS0_13select_configILj256ELj13ELNS0_17block_load_methodE3ELS4_3ELS4_3ELNS0_20block_scan_algorithmE0ELj4294967295EEENS1_25partition_config_selectorILNS1_17partition_subalgoE3EjNS0_10empty_typeEbEEZZNS1_14partition_implILS8_3ELb0ES6_jNS0_17counting_iteratorIjlEEPS9_SE_NS0_5tupleIJPjSE_EEENSF_IJSE_SE_EEES9_SG_JZNS1_25segmented_radix_sort_implINS0_14default_configELb1EPKlPlSM_SN_N2at6native12_GLOBAL__N_18offset_tEEE10hipError_tPvRmT1_PNSt15iterator_traitsISV_E10value_typeET2_T3_PNSW_IS11_E10value_typeET4_jRbjT5_S17_jjP12ihipStream_tbEUljE_EEESS_ST_SU_S11_S15_S17_T6_T7_T9_mT8_S19_bDpT10_ENKUlT_T0_E_clISt17integral_constantIbLb0EES1M_EEDaS1H_S1I_EUlS1H_E_NS1_11comp_targetILNS1_3genE4ELNS1_11target_archE910ELNS1_3gpuE8ELNS1_3repE0EEENS1_30default_config_static_selectorELNS0_4arch9wavefront6targetE1EEEvSV_.uses_flat_scratch, 0
	.set _ZN7rocprim17ROCPRIM_400000_NS6detail17trampoline_kernelINS0_13select_configILj256ELj13ELNS0_17block_load_methodE3ELS4_3ELS4_3ELNS0_20block_scan_algorithmE0ELj4294967295EEENS1_25partition_config_selectorILNS1_17partition_subalgoE3EjNS0_10empty_typeEbEEZZNS1_14partition_implILS8_3ELb0ES6_jNS0_17counting_iteratorIjlEEPS9_SE_NS0_5tupleIJPjSE_EEENSF_IJSE_SE_EEES9_SG_JZNS1_25segmented_radix_sort_implINS0_14default_configELb1EPKlPlSM_SN_N2at6native12_GLOBAL__N_18offset_tEEE10hipError_tPvRmT1_PNSt15iterator_traitsISV_E10value_typeET2_T3_PNSW_IS11_E10value_typeET4_jRbjT5_S17_jjP12ihipStream_tbEUljE_EEESS_ST_SU_S11_S15_S17_T6_T7_T9_mT8_S19_bDpT10_ENKUlT_T0_E_clISt17integral_constantIbLb0EES1M_EEDaS1H_S1I_EUlS1H_E_NS1_11comp_targetILNS1_3genE4ELNS1_11target_archE910ELNS1_3gpuE8ELNS1_3repE0EEENS1_30default_config_static_selectorELNS0_4arch9wavefront6targetE1EEEvSV_.has_dyn_sized_stack, 0
	.set _ZN7rocprim17ROCPRIM_400000_NS6detail17trampoline_kernelINS0_13select_configILj256ELj13ELNS0_17block_load_methodE3ELS4_3ELS4_3ELNS0_20block_scan_algorithmE0ELj4294967295EEENS1_25partition_config_selectorILNS1_17partition_subalgoE3EjNS0_10empty_typeEbEEZZNS1_14partition_implILS8_3ELb0ES6_jNS0_17counting_iteratorIjlEEPS9_SE_NS0_5tupleIJPjSE_EEENSF_IJSE_SE_EEES9_SG_JZNS1_25segmented_radix_sort_implINS0_14default_configELb1EPKlPlSM_SN_N2at6native12_GLOBAL__N_18offset_tEEE10hipError_tPvRmT1_PNSt15iterator_traitsISV_E10value_typeET2_T3_PNSW_IS11_E10value_typeET4_jRbjT5_S17_jjP12ihipStream_tbEUljE_EEESS_ST_SU_S11_S15_S17_T6_T7_T9_mT8_S19_bDpT10_ENKUlT_T0_E_clISt17integral_constantIbLb0EES1M_EEDaS1H_S1I_EUlS1H_E_NS1_11comp_targetILNS1_3genE4ELNS1_11target_archE910ELNS1_3gpuE8ELNS1_3repE0EEENS1_30default_config_static_selectorELNS0_4arch9wavefront6targetE1EEEvSV_.has_recursion, 0
	.set _ZN7rocprim17ROCPRIM_400000_NS6detail17trampoline_kernelINS0_13select_configILj256ELj13ELNS0_17block_load_methodE3ELS4_3ELS4_3ELNS0_20block_scan_algorithmE0ELj4294967295EEENS1_25partition_config_selectorILNS1_17partition_subalgoE3EjNS0_10empty_typeEbEEZZNS1_14partition_implILS8_3ELb0ES6_jNS0_17counting_iteratorIjlEEPS9_SE_NS0_5tupleIJPjSE_EEENSF_IJSE_SE_EEES9_SG_JZNS1_25segmented_radix_sort_implINS0_14default_configELb1EPKlPlSM_SN_N2at6native12_GLOBAL__N_18offset_tEEE10hipError_tPvRmT1_PNSt15iterator_traitsISV_E10value_typeET2_T3_PNSW_IS11_E10value_typeET4_jRbjT5_S17_jjP12ihipStream_tbEUljE_EEESS_ST_SU_S11_S15_S17_T6_T7_T9_mT8_S19_bDpT10_ENKUlT_T0_E_clISt17integral_constantIbLb0EES1M_EEDaS1H_S1I_EUlS1H_E_NS1_11comp_targetILNS1_3genE4ELNS1_11target_archE910ELNS1_3gpuE8ELNS1_3repE0EEENS1_30default_config_static_selectorELNS0_4arch9wavefront6targetE1EEEvSV_.has_indirect_call, 0
	.section	.AMDGPU.csdata,"",@progbits
; Kernel info:
; codeLenInByte = 0
; TotalNumSgprs: 4
; NumVgprs: 0
; ScratchSize: 0
; MemoryBound: 0
; FloatMode: 240
; IeeeMode: 1
; LDSByteSize: 0 bytes/workgroup (compile time only)
; SGPRBlocks: 0
; VGPRBlocks: 0
; NumSGPRsForWavesPerEU: 4
; NumVGPRsForWavesPerEU: 1
; Occupancy: 10
; WaveLimiterHint : 0
; COMPUTE_PGM_RSRC2:SCRATCH_EN: 0
; COMPUTE_PGM_RSRC2:USER_SGPR: 6
; COMPUTE_PGM_RSRC2:TRAP_HANDLER: 0
; COMPUTE_PGM_RSRC2:TGID_X_EN: 1
; COMPUTE_PGM_RSRC2:TGID_Y_EN: 0
; COMPUTE_PGM_RSRC2:TGID_Z_EN: 0
; COMPUTE_PGM_RSRC2:TIDIG_COMP_CNT: 0
	.section	.text._ZN7rocprim17ROCPRIM_400000_NS6detail17trampoline_kernelINS0_13select_configILj256ELj13ELNS0_17block_load_methodE3ELS4_3ELS4_3ELNS0_20block_scan_algorithmE0ELj4294967295EEENS1_25partition_config_selectorILNS1_17partition_subalgoE3EjNS0_10empty_typeEbEEZZNS1_14partition_implILS8_3ELb0ES6_jNS0_17counting_iteratorIjlEEPS9_SE_NS0_5tupleIJPjSE_EEENSF_IJSE_SE_EEES9_SG_JZNS1_25segmented_radix_sort_implINS0_14default_configELb1EPKlPlSM_SN_N2at6native12_GLOBAL__N_18offset_tEEE10hipError_tPvRmT1_PNSt15iterator_traitsISV_E10value_typeET2_T3_PNSW_IS11_E10value_typeET4_jRbjT5_S17_jjP12ihipStream_tbEUljE_EEESS_ST_SU_S11_S15_S17_T6_T7_T9_mT8_S19_bDpT10_ENKUlT_T0_E_clISt17integral_constantIbLb0EES1M_EEDaS1H_S1I_EUlS1H_E_NS1_11comp_targetILNS1_3genE3ELNS1_11target_archE908ELNS1_3gpuE7ELNS1_3repE0EEENS1_30default_config_static_selectorELNS0_4arch9wavefront6targetE1EEEvSV_,"axG",@progbits,_ZN7rocprim17ROCPRIM_400000_NS6detail17trampoline_kernelINS0_13select_configILj256ELj13ELNS0_17block_load_methodE3ELS4_3ELS4_3ELNS0_20block_scan_algorithmE0ELj4294967295EEENS1_25partition_config_selectorILNS1_17partition_subalgoE3EjNS0_10empty_typeEbEEZZNS1_14partition_implILS8_3ELb0ES6_jNS0_17counting_iteratorIjlEEPS9_SE_NS0_5tupleIJPjSE_EEENSF_IJSE_SE_EEES9_SG_JZNS1_25segmented_radix_sort_implINS0_14default_configELb1EPKlPlSM_SN_N2at6native12_GLOBAL__N_18offset_tEEE10hipError_tPvRmT1_PNSt15iterator_traitsISV_E10value_typeET2_T3_PNSW_IS11_E10value_typeET4_jRbjT5_S17_jjP12ihipStream_tbEUljE_EEESS_ST_SU_S11_S15_S17_T6_T7_T9_mT8_S19_bDpT10_ENKUlT_T0_E_clISt17integral_constantIbLb0EES1M_EEDaS1H_S1I_EUlS1H_E_NS1_11comp_targetILNS1_3genE3ELNS1_11target_archE908ELNS1_3gpuE7ELNS1_3repE0EEENS1_30default_config_static_selectorELNS0_4arch9wavefront6targetE1EEEvSV_,comdat
	.globl	_ZN7rocprim17ROCPRIM_400000_NS6detail17trampoline_kernelINS0_13select_configILj256ELj13ELNS0_17block_load_methodE3ELS4_3ELS4_3ELNS0_20block_scan_algorithmE0ELj4294967295EEENS1_25partition_config_selectorILNS1_17partition_subalgoE3EjNS0_10empty_typeEbEEZZNS1_14partition_implILS8_3ELb0ES6_jNS0_17counting_iteratorIjlEEPS9_SE_NS0_5tupleIJPjSE_EEENSF_IJSE_SE_EEES9_SG_JZNS1_25segmented_radix_sort_implINS0_14default_configELb1EPKlPlSM_SN_N2at6native12_GLOBAL__N_18offset_tEEE10hipError_tPvRmT1_PNSt15iterator_traitsISV_E10value_typeET2_T3_PNSW_IS11_E10value_typeET4_jRbjT5_S17_jjP12ihipStream_tbEUljE_EEESS_ST_SU_S11_S15_S17_T6_T7_T9_mT8_S19_bDpT10_ENKUlT_T0_E_clISt17integral_constantIbLb0EES1M_EEDaS1H_S1I_EUlS1H_E_NS1_11comp_targetILNS1_3genE3ELNS1_11target_archE908ELNS1_3gpuE7ELNS1_3repE0EEENS1_30default_config_static_selectorELNS0_4arch9wavefront6targetE1EEEvSV_ ; -- Begin function _ZN7rocprim17ROCPRIM_400000_NS6detail17trampoline_kernelINS0_13select_configILj256ELj13ELNS0_17block_load_methodE3ELS4_3ELS4_3ELNS0_20block_scan_algorithmE0ELj4294967295EEENS1_25partition_config_selectorILNS1_17partition_subalgoE3EjNS0_10empty_typeEbEEZZNS1_14partition_implILS8_3ELb0ES6_jNS0_17counting_iteratorIjlEEPS9_SE_NS0_5tupleIJPjSE_EEENSF_IJSE_SE_EEES9_SG_JZNS1_25segmented_radix_sort_implINS0_14default_configELb1EPKlPlSM_SN_N2at6native12_GLOBAL__N_18offset_tEEE10hipError_tPvRmT1_PNSt15iterator_traitsISV_E10value_typeET2_T3_PNSW_IS11_E10value_typeET4_jRbjT5_S17_jjP12ihipStream_tbEUljE_EEESS_ST_SU_S11_S15_S17_T6_T7_T9_mT8_S19_bDpT10_ENKUlT_T0_E_clISt17integral_constantIbLb0EES1M_EEDaS1H_S1I_EUlS1H_E_NS1_11comp_targetILNS1_3genE3ELNS1_11target_archE908ELNS1_3gpuE7ELNS1_3repE0EEENS1_30default_config_static_selectorELNS0_4arch9wavefront6targetE1EEEvSV_
	.p2align	8
	.type	_ZN7rocprim17ROCPRIM_400000_NS6detail17trampoline_kernelINS0_13select_configILj256ELj13ELNS0_17block_load_methodE3ELS4_3ELS4_3ELNS0_20block_scan_algorithmE0ELj4294967295EEENS1_25partition_config_selectorILNS1_17partition_subalgoE3EjNS0_10empty_typeEbEEZZNS1_14partition_implILS8_3ELb0ES6_jNS0_17counting_iteratorIjlEEPS9_SE_NS0_5tupleIJPjSE_EEENSF_IJSE_SE_EEES9_SG_JZNS1_25segmented_radix_sort_implINS0_14default_configELb1EPKlPlSM_SN_N2at6native12_GLOBAL__N_18offset_tEEE10hipError_tPvRmT1_PNSt15iterator_traitsISV_E10value_typeET2_T3_PNSW_IS11_E10value_typeET4_jRbjT5_S17_jjP12ihipStream_tbEUljE_EEESS_ST_SU_S11_S15_S17_T6_T7_T9_mT8_S19_bDpT10_ENKUlT_T0_E_clISt17integral_constantIbLb0EES1M_EEDaS1H_S1I_EUlS1H_E_NS1_11comp_targetILNS1_3genE3ELNS1_11target_archE908ELNS1_3gpuE7ELNS1_3repE0EEENS1_30default_config_static_selectorELNS0_4arch9wavefront6targetE1EEEvSV_,@function
_ZN7rocprim17ROCPRIM_400000_NS6detail17trampoline_kernelINS0_13select_configILj256ELj13ELNS0_17block_load_methodE3ELS4_3ELS4_3ELNS0_20block_scan_algorithmE0ELj4294967295EEENS1_25partition_config_selectorILNS1_17partition_subalgoE3EjNS0_10empty_typeEbEEZZNS1_14partition_implILS8_3ELb0ES6_jNS0_17counting_iteratorIjlEEPS9_SE_NS0_5tupleIJPjSE_EEENSF_IJSE_SE_EEES9_SG_JZNS1_25segmented_radix_sort_implINS0_14default_configELb1EPKlPlSM_SN_N2at6native12_GLOBAL__N_18offset_tEEE10hipError_tPvRmT1_PNSt15iterator_traitsISV_E10value_typeET2_T3_PNSW_IS11_E10value_typeET4_jRbjT5_S17_jjP12ihipStream_tbEUljE_EEESS_ST_SU_S11_S15_S17_T6_T7_T9_mT8_S19_bDpT10_ENKUlT_T0_E_clISt17integral_constantIbLb0EES1M_EEDaS1H_S1I_EUlS1H_E_NS1_11comp_targetILNS1_3genE3ELNS1_11target_archE908ELNS1_3gpuE7ELNS1_3repE0EEENS1_30default_config_static_selectorELNS0_4arch9wavefront6targetE1EEEvSV_: ; @_ZN7rocprim17ROCPRIM_400000_NS6detail17trampoline_kernelINS0_13select_configILj256ELj13ELNS0_17block_load_methodE3ELS4_3ELS4_3ELNS0_20block_scan_algorithmE0ELj4294967295EEENS1_25partition_config_selectorILNS1_17partition_subalgoE3EjNS0_10empty_typeEbEEZZNS1_14partition_implILS8_3ELb0ES6_jNS0_17counting_iteratorIjlEEPS9_SE_NS0_5tupleIJPjSE_EEENSF_IJSE_SE_EEES9_SG_JZNS1_25segmented_radix_sort_implINS0_14default_configELb1EPKlPlSM_SN_N2at6native12_GLOBAL__N_18offset_tEEE10hipError_tPvRmT1_PNSt15iterator_traitsISV_E10value_typeET2_T3_PNSW_IS11_E10value_typeET4_jRbjT5_S17_jjP12ihipStream_tbEUljE_EEESS_ST_SU_S11_S15_S17_T6_T7_T9_mT8_S19_bDpT10_ENKUlT_T0_E_clISt17integral_constantIbLb0EES1M_EEDaS1H_S1I_EUlS1H_E_NS1_11comp_targetILNS1_3genE3ELNS1_11target_archE908ELNS1_3gpuE7ELNS1_3repE0EEENS1_30default_config_static_selectorELNS0_4arch9wavefront6targetE1EEEvSV_
; %bb.0:
	.section	.rodata,"a",@progbits
	.p2align	6, 0x0
	.amdhsa_kernel _ZN7rocprim17ROCPRIM_400000_NS6detail17trampoline_kernelINS0_13select_configILj256ELj13ELNS0_17block_load_methodE3ELS4_3ELS4_3ELNS0_20block_scan_algorithmE0ELj4294967295EEENS1_25partition_config_selectorILNS1_17partition_subalgoE3EjNS0_10empty_typeEbEEZZNS1_14partition_implILS8_3ELb0ES6_jNS0_17counting_iteratorIjlEEPS9_SE_NS0_5tupleIJPjSE_EEENSF_IJSE_SE_EEES9_SG_JZNS1_25segmented_radix_sort_implINS0_14default_configELb1EPKlPlSM_SN_N2at6native12_GLOBAL__N_18offset_tEEE10hipError_tPvRmT1_PNSt15iterator_traitsISV_E10value_typeET2_T3_PNSW_IS11_E10value_typeET4_jRbjT5_S17_jjP12ihipStream_tbEUljE_EEESS_ST_SU_S11_S15_S17_T6_T7_T9_mT8_S19_bDpT10_ENKUlT_T0_E_clISt17integral_constantIbLb0EES1M_EEDaS1H_S1I_EUlS1H_E_NS1_11comp_targetILNS1_3genE3ELNS1_11target_archE908ELNS1_3gpuE7ELNS1_3repE0EEENS1_30default_config_static_selectorELNS0_4arch9wavefront6targetE1EEEvSV_
		.amdhsa_group_segment_fixed_size 0
		.amdhsa_private_segment_fixed_size 0
		.amdhsa_kernarg_size 144
		.amdhsa_user_sgpr_count 6
		.amdhsa_user_sgpr_private_segment_buffer 1
		.amdhsa_user_sgpr_dispatch_ptr 0
		.amdhsa_user_sgpr_queue_ptr 0
		.amdhsa_user_sgpr_kernarg_segment_ptr 1
		.amdhsa_user_sgpr_dispatch_id 0
		.amdhsa_user_sgpr_flat_scratch_init 0
		.amdhsa_user_sgpr_private_segment_size 0
		.amdhsa_uses_dynamic_stack 0
		.amdhsa_system_sgpr_private_segment_wavefront_offset 0
		.amdhsa_system_sgpr_workgroup_id_x 1
		.amdhsa_system_sgpr_workgroup_id_y 0
		.amdhsa_system_sgpr_workgroup_id_z 0
		.amdhsa_system_sgpr_workgroup_info 0
		.amdhsa_system_vgpr_workitem_id 0
		.amdhsa_next_free_vgpr 1
		.amdhsa_next_free_sgpr 0
		.amdhsa_reserve_vcc 0
		.amdhsa_reserve_flat_scratch 0
		.amdhsa_float_round_mode_32 0
		.amdhsa_float_round_mode_16_64 0
		.amdhsa_float_denorm_mode_32 3
		.amdhsa_float_denorm_mode_16_64 3
		.amdhsa_dx10_clamp 1
		.amdhsa_ieee_mode 1
		.amdhsa_fp16_overflow 0
		.amdhsa_exception_fp_ieee_invalid_op 0
		.amdhsa_exception_fp_denorm_src 0
		.amdhsa_exception_fp_ieee_div_zero 0
		.amdhsa_exception_fp_ieee_overflow 0
		.amdhsa_exception_fp_ieee_underflow 0
		.amdhsa_exception_fp_ieee_inexact 0
		.amdhsa_exception_int_div_zero 0
	.end_amdhsa_kernel
	.section	.text._ZN7rocprim17ROCPRIM_400000_NS6detail17trampoline_kernelINS0_13select_configILj256ELj13ELNS0_17block_load_methodE3ELS4_3ELS4_3ELNS0_20block_scan_algorithmE0ELj4294967295EEENS1_25partition_config_selectorILNS1_17partition_subalgoE3EjNS0_10empty_typeEbEEZZNS1_14partition_implILS8_3ELb0ES6_jNS0_17counting_iteratorIjlEEPS9_SE_NS0_5tupleIJPjSE_EEENSF_IJSE_SE_EEES9_SG_JZNS1_25segmented_radix_sort_implINS0_14default_configELb1EPKlPlSM_SN_N2at6native12_GLOBAL__N_18offset_tEEE10hipError_tPvRmT1_PNSt15iterator_traitsISV_E10value_typeET2_T3_PNSW_IS11_E10value_typeET4_jRbjT5_S17_jjP12ihipStream_tbEUljE_EEESS_ST_SU_S11_S15_S17_T6_T7_T9_mT8_S19_bDpT10_ENKUlT_T0_E_clISt17integral_constantIbLb0EES1M_EEDaS1H_S1I_EUlS1H_E_NS1_11comp_targetILNS1_3genE3ELNS1_11target_archE908ELNS1_3gpuE7ELNS1_3repE0EEENS1_30default_config_static_selectorELNS0_4arch9wavefront6targetE1EEEvSV_,"axG",@progbits,_ZN7rocprim17ROCPRIM_400000_NS6detail17trampoline_kernelINS0_13select_configILj256ELj13ELNS0_17block_load_methodE3ELS4_3ELS4_3ELNS0_20block_scan_algorithmE0ELj4294967295EEENS1_25partition_config_selectorILNS1_17partition_subalgoE3EjNS0_10empty_typeEbEEZZNS1_14partition_implILS8_3ELb0ES6_jNS0_17counting_iteratorIjlEEPS9_SE_NS0_5tupleIJPjSE_EEENSF_IJSE_SE_EEES9_SG_JZNS1_25segmented_radix_sort_implINS0_14default_configELb1EPKlPlSM_SN_N2at6native12_GLOBAL__N_18offset_tEEE10hipError_tPvRmT1_PNSt15iterator_traitsISV_E10value_typeET2_T3_PNSW_IS11_E10value_typeET4_jRbjT5_S17_jjP12ihipStream_tbEUljE_EEESS_ST_SU_S11_S15_S17_T6_T7_T9_mT8_S19_bDpT10_ENKUlT_T0_E_clISt17integral_constantIbLb0EES1M_EEDaS1H_S1I_EUlS1H_E_NS1_11comp_targetILNS1_3genE3ELNS1_11target_archE908ELNS1_3gpuE7ELNS1_3repE0EEENS1_30default_config_static_selectorELNS0_4arch9wavefront6targetE1EEEvSV_,comdat
.Lfunc_end675:
	.size	_ZN7rocprim17ROCPRIM_400000_NS6detail17trampoline_kernelINS0_13select_configILj256ELj13ELNS0_17block_load_methodE3ELS4_3ELS4_3ELNS0_20block_scan_algorithmE0ELj4294967295EEENS1_25partition_config_selectorILNS1_17partition_subalgoE3EjNS0_10empty_typeEbEEZZNS1_14partition_implILS8_3ELb0ES6_jNS0_17counting_iteratorIjlEEPS9_SE_NS0_5tupleIJPjSE_EEENSF_IJSE_SE_EEES9_SG_JZNS1_25segmented_radix_sort_implINS0_14default_configELb1EPKlPlSM_SN_N2at6native12_GLOBAL__N_18offset_tEEE10hipError_tPvRmT1_PNSt15iterator_traitsISV_E10value_typeET2_T3_PNSW_IS11_E10value_typeET4_jRbjT5_S17_jjP12ihipStream_tbEUljE_EEESS_ST_SU_S11_S15_S17_T6_T7_T9_mT8_S19_bDpT10_ENKUlT_T0_E_clISt17integral_constantIbLb0EES1M_EEDaS1H_S1I_EUlS1H_E_NS1_11comp_targetILNS1_3genE3ELNS1_11target_archE908ELNS1_3gpuE7ELNS1_3repE0EEENS1_30default_config_static_selectorELNS0_4arch9wavefront6targetE1EEEvSV_, .Lfunc_end675-_ZN7rocprim17ROCPRIM_400000_NS6detail17trampoline_kernelINS0_13select_configILj256ELj13ELNS0_17block_load_methodE3ELS4_3ELS4_3ELNS0_20block_scan_algorithmE0ELj4294967295EEENS1_25partition_config_selectorILNS1_17partition_subalgoE3EjNS0_10empty_typeEbEEZZNS1_14partition_implILS8_3ELb0ES6_jNS0_17counting_iteratorIjlEEPS9_SE_NS0_5tupleIJPjSE_EEENSF_IJSE_SE_EEES9_SG_JZNS1_25segmented_radix_sort_implINS0_14default_configELb1EPKlPlSM_SN_N2at6native12_GLOBAL__N_18offset_tEEE10hipError_tPvRmT1_PNSt15iterator_traitsISV_E10value_typeET2_T3_PNSW_IS11_E10value_typeET4_jRbjT5_S17_jjP12ihipStream_tbEUljE_EEESS_ST_SU_S11_S15_S17_T6_T7_T9_mT8_S19_bDpT10_ENKUlT_T0_E_clISt17integral_constantIbLb0EES1M_EEDaS1H_S1I_EUlS1H_E_NS1_11comp_targetILNS1_3genE3ELNS1_11target_archE908ELNS1_3gpuE7ELNS1_3repE0EEENS1_30default_config_static_selectorELNS0_4arch9wavefront6targetE1EEEvSV_
                                        ; -- End function
	.set _ZN7rocprim17ROCPRIM_400000_NS6detail17trampoline_kernelINS0_13select_configILj256ELj13ELNS0_17block_load_methodE3ELS4_3ELS4_3ELNS0_20block_scan_algorithmE0ELj4294967295EEENS1_25partition_config_selectorILNS1_17partition_subalgoE3EjNS0_10empty_typeEbEEZZNS1_14partition_implILS8_3ELb0ES6_jNS0_17counting_iteratorIjlEEPS9_SE_NS0_5tupleIJPjSE_EEENSF_IJSE_SE_EEES9_SG_JZNS1_25segmented_radix_sort_implINS0_14default_configELb1EPKlPlSM_SN_N2at6native12_GLOBAL__N_18offset_tEEE10hipError_tPvRmT1_PNSt15iterator_traitsISV_E10value_typeET2_T3_PNSW_IS11_E10value_typeET4_jRbjT5_S17_jjP12ihipStream_tbEUljE_EEESS_ST_SU_S11_S15_S17_T6_T7_T9_mT8_S19_bDpT10_ENKUlT_T0_E_clISt17integral_constantIbLb0EES1M_EEDaS1H_S1I_EUlS1H_E_NS1_11comp_targetILNS1_3genE3ELNS1_11target_archE908ELNS1_3gpuE7ELNS1_3repE0EEENS1_30default_config_static_selectorELNS0_4arch9wavefront6targetE1EEEvSV_.num_vgpr, 0
	.set _ZN7rocprim17ROCPRIM_400000_NS6detail17trampoline_kernelINS0_13select_configILj256ELj13ELNS0_17block_load_methodE3ELS4_3ELS4_3ELNS0_20block_scan_algorithmE0ELj4294967295EEENS1_25partition_config_selectorILNS1_17partition_subalgoE3EjNS0_10empty_typeEbEEZZNS1_14partition_implILS8_3ELb0ES6_jNS0_17counting_iteratorIjlEEPS9_SE_NS0_5tupleIJPjSE_EEENSF_IJSE_SE_EEES9_SG_JZNS1_25segmented_radix_sort_implINS0_14default_configELb1EPKlPlSM_SN_N2at6native12_GLOBAL__N_18offset_tEEE10hipError_tPvRmT1_PNSt15iterator_traitsISV_E10value_typeET2_T3_PNSW_IS11_E10value_typeET4_jRbjT5_S17_jjP12ihipStream_tbEUljE_EEESS_ST_SU_S11_S15_S17_T6_T7_T9_mT8_S19_bDpT10_ENKUlT_T0_E_clISt17integral_constantIbLb0EES1M_EEDaS1H_S1I_EUlS1H_E_NS1_11comp_targetILNS1_3genE3ELNS1_11target_archE908ELNS1_3gpuE7ELNS1_3repE0EEENS1_30default_config_static_selectorELNS0_4arch9wavefront6targetE1EEEvSV_.num_agpr, 0
	.set _ZN7rocprim17ROCPRIM_400000_NS6detail17trampoline_kernelINS0_13select_configILj256ELj13ELNS0_17block_load_methodE3ELS4_3ELS4_3ELNS0_20block_scan_algorithmE0ELj4294967295EEENS1_25partition_config_selectorILNS1_17partition_subalgoE3EjNS0_10empty_typeEbEEZZNS1_14partition_implILS8_3ELb0ES6_jNS0_17counting_iteratorIjlEEPS9_SE_NS0_5tupleIJPjSE_EEENSF_IJSE_SE_EEES9_SG_JZNS1_25segmented_radix_sort_implINS0_14default_configELb1EPKlPlSM_SN_N2at6native12_GLOBAL__N_18offset_tEEE10hipError_tPvRmT1_PNSt15iterator_traitsISV_E10value_typeET2_T3_PNSW_IS11_E10value_typeET4_jRbjT5_S17_jjP12ihipStream_tbEUljE_EEESS_ST_SU_S11_S15_S17_T6_T7_T9_mT8_S19_bDpT10_ENKUlT_T0_E_clISt17integral_constantIbLb0EES1M_EEDaS1H_S1I_EUlS1H_E_NS1_11comp_targetILNS1_3genE3ELNS1_11target_archE908ELNS1_3gpuE7ELNS1_3repE0EEENS1_30default_config_static_selectorELNS0_4arch9wavefront6targetE1EEEvSV_.numbered_sgpr, 0
	.set _ZN7rocprim17ROCPRIM_400000_NS6detail17trampoline_kernelINS0_13select_configILj256ELj13ELNS0_17block_load_methodE3ELS4_3ELS4_3ELNS0_20block_scan_algorithmE0ELj4294967295EEENS1_25partition_config_selectorILNS1_17partition_subalgoE3EjNS0_10empty_typeEbEEZZNS1_14partition_implILS8_3ELb0ES6_jNS0_17counting_iteratorIjlEEPS9_SE_NS0_5tupleIJPjSE_EEENSF_IJSE_SE_EEES9_SG_JZNS1_25segmented_radix_sort_implINS0_14default_configELb1EPKlPlSM_SN_N2at6native12_GLOBAL__N_18offset_tEEE10hipError_tPvRmT1_PNSt15iterator_traitsISV_E10value_typeET2_T3_PNSW_IS11_E10value_typeET4_jRbjT5_S17_jjP12ihipStream_tbEUljE_EEESS_ST_SU_S11_S15_S17_T6_T7_T9_mT8_S19_bDpT10_ENKUlT_T0_E_clISt17integral_constantIbLb0EES1M_EEDaS1H_S1I_EUlS1H_E_NS1_11comp_targetILNS1_3genE3ELNS1_11target_archE908ELNS1_3gpuE7ELNS1_3repE0EEENS1_30default_config_static_selectorELNS0_4arch9wavefront6targetE1EEEvSV_.num_named_barrier, 0
	.set _ZN7rocprim17ROCPRIM_400000_NS6detail17trampoline_kernelINS0_13select_configILj256ELj13ELNS0_17block_load_methodE3ELS4_3ELS4_3ELNS0_20block_scan_algorithmE0ELj4294967295EEENS1_25partition_config_selectorILNS1_17partition_subalgoE3EjNS0_10empty_typeEbEEZZNS1_14partition_implILS8_3ELb0ES6_jNS0_17counting_iteratorIjlEEPS9_SE_NS0_5tupleIJPjSE_EEENSF_IJSE_SE_EEES9_SG_JZNS1_25segmented_radix_sort_implINS0_14default_configELb1EPKlPlSM_SN_N2at6native12_GLOBAL__N_18offset_tEEE10hipError_tPvRmT1_PNSt15iterator_traitsISV_E10value_typeET2_T3_PNSW_IS11_E10value_typeET4_jRbjT5_S17_jjP12ihipStream_tbEUljE_EEESS_ST_SU_S11_S15_S17_T6_T7_T9_mT8_S19_bDpT10_ENKUlT_T0_E_clISt17integral_constantIbLb0EES1M_EEDaS1H_S1I_EUlS1H_E_NS1_11comp_targetILNS1_3genE3ELNS1_11target_archE908ELNS1_3gpuE7ELNS1_3repE0EEENS1_30default_config_static_selectorELNS0_4arch9wavefront6targetE1EEEvSV_.private_seg_size, 0
	.set _ZN7rocprim17ROCPRIM_400000_NS6detail17trampoline_kernelINS0_13select_configILj256ELj13ELNS0_17block_load_methodE3ELS4_3ELS4_3ELNS0_20block_scan_algorithmE0ELj4294967295EEENS1_25partition_config_selectorILNS1_17partition_subalgoE3EjNS0_10empty_typeEbEEZZNS1_14partition_implILS8_3ELb0ES6_jNS0_17counting_iteratorIjlEEPS9_SE_NS0_5tupleIJPjSE_EEENSF_IJSE_SE_EEES9_SG_JZNS1_25segmented_radix_sort_implINS0_14default_configELb1EPKlPlSM_SN_N2at6native12_GLOBAL__N_18offset_tEEE10hipError_tPvRmT1_PNSt15iterator_traitsISV_E10value_typeET2_T3_PNSW_IS11_E10value_typeET4_jRbjT5_S17_jjP12ihipStream_tbEUljE_EEESS_ST_SU_S11_S15_S17_T6_T7_T9_mT8_S19_bDpT10_ENKUlT_T0_E_clISt17integral_constantIbLb0EES1M_EEDaS1H_S1I_EUlS1H_E_NS1_11comp_targetILNS1_3genE3ELNS1_11target_archE908ELNS1_3gpuE7ELNS1_3repE0EEENS1_30default_config_static_selectorELNS0_4arch9wavefront6targetE1EEEvSV_.uses_vcc, 0
	.set _ZN7rocprim17ROCPRIM_400000_NS6detail17trampoline_kernelINS0_13select_configILj256ELj13ELNS0_17block_load_methodE3ELS4_3ELS4_3ELNS0_20block_scan_algorithmE0ELj4294967295EEENS1_25partition_config_selectorILNS1_17partition_subalgoE3EjNS0_10empty_typeEbEEZZNS1_14partition_implILS8_3ELb0ES6_jNS0_17counting_iteratorIjlEEPS9_SE_NS0_5tupleIJPjSE_EEENSF_IJSE_SE_EEES9_SG_JZNS1_25segmented_radix_sort_implINS0_14default_configELb1EPKlPlSM_SN_N2at6native12_GLOBAL__N_18offset_tEEE10hipError_tPvRmT1_PNSt15iterator_traitsISV_E10value_typeET2_T3_PNSW_IS11_E10value_typeET4_jRbjT5_S17_jjP12ihipStream_tbEUljE_EEESS_ST_SU_S11_S15_S17_T6_T7_T9_mT8_S19_bDpT10_ENKUlT_T0_E_clISt17integral_constantIbLb0EES1M_EEDaS1H_S1I_EUlS1H_E_NS1_11comp_targetILNS1_3genE3ELNS1_11target_archE908ELNS1_3gpuE7ELNS1_3repE0EEENS1_30default_config_static_selectorELNS0_4arch9wavefront6targetE1EEEvSV_.uses_flat_scratch, 0
	.set _ZN7rocprim17ROCPRIM_400000_NS6detail17trampoline_kernelINS0_13select_configILj256ELj13ELNS0_17block_load_methodE3ELS4_3ELS4_3ELNS0_20block_scan_algorithmE0ELj4294967295EEENS1_25partition_config_selectorILNS1_17partition_subalgoE3EjNS0_10empty_typeEbEEZZNS1_14partition_implILS8_3ELb0ES6_jNS0_17counting_iteratorIjlEEPS9_SE_NS0_5tupleIJPjSE_EEENSF_IJSE_SE_EEES9_SG_JZNS1_25segmented_radix_sort_implINS0_14default_configELb1EPKlPlSM_SN_N2at6native12_GLOBAL__N_18offset_tEEE10hipError_tPvRmT1_PNSt15iterator_traitsISV_E10value_typeET2_T3_PNSW_IS11_E10value_typeET4_jRbjT5_S17_jjP12ihipStream_tbEUljE_EEESS_ST_SU_S11_S15_S17_T6_T7_T9_mT8_S19_bDpT10_ENKUlT_T0_E_clISt17integral_constantIbLb0EES1M_EEDaS1H_S1I_EUlS1H_E_NS1_11comp_targetILNS1_3genE3ELNS1_11target_archE908ELNS1_3gpuE7ELNS1_3repE0EEENS1_30default_config_static_selectorELNS0_4arch9wavefront6targetE1EEEvSV_.has_dyn_sized_stack, 0
	.set _ZN7rocprim17ROCPRIM_400000_NS6detail17trampoline_kernelINS0_13select_configILj256ELj13ELNS0_17block_load_methodE3ELS4_3ELS4_3ELNS0_20block_scan_algorithmE0ELj4294967295EEENS1_25partition_config_selectorILNS1_17partition_subalgoE3EjNS0_10empty_typeEbEEZZNS1_14partition_implILS8_3ELb0ES6_jNS0_17counting_iteratorIjlEEPS9_SE_NS0_5tupleIJPjSE_EEENSF_IJSE_SE_EEES9_SG_JZNS1_25segmented_radix_sort_implINS0_14default_configELb1EPKlPlSM_SN_N2at6native12_GLOBAL__N_18offset_tEEE10hipError_tPvRmT1_PNSt15iterator_traitsISV_E10value_typeET2_T3_PNSW_IS11_E10value_typeET4_jRbjT5_S17_jjP12ihipStream_tbEUljE_EEESS_ST_SU_S11_S15_S17_T6_T7_T9_mT8_S19_bDpT10_ENKUlT_T0_E_clISt17integral_constantIbLb0EES1M_EEDaS1H_S1I_EUlS1H_E_NS1_11comp_targetILNS1_3genE3ELNS1_11target_archE908ELNS1_3gpuE7ELNS1_3repE0EEENS1_30default_config_static_selectorELNS0_4arch9wavefront6targetE1EEEvSV_.has_recursion, 0
	.set _ZN7rocprim17ROCPRIM_400000_NS6detail17trampoline_kernelINS0_13select_configILj256ELj13ELNS0_17block_load_methodE3ELS4_3ELS4_3ELNS0_20block_scan_algorithmE0ELj4294967295EEENS1_25partition_config_selectorILNS1_17partition_subalgoE3EjNS0_10empty_typeEbEEZZNS1_14partition_implILS8_3ELb0ES6_jNS0_17counting_iteratorIjlEEPS9_SE_NS0_5tupleIJPjSE_EEENSF_IJSE_SE_EEES9_SG_JZNS1_25segmented_radix_sort_implINS0_14default_configELb1EPKlPlSM_SN_N2at6native12_GLOBAL__N_18offset_tEEE10hipError_tPvRmT1_PNSt15iterator_traitsISV_E10value_typeET2_T3_PNSW_IS11_E10value_typeET4_jRbjT5_S17_jjP12ihipStream_tbEUljE_EEESS_ST_SU_S11_S15_S17_T6_T7_T9_mT8_S19_bDpT10_ENKUlT_T0_E_clISt17integral_constantIbLb0EES1M_EEDaS1H_S1I_EUlS1H_E_NS1_11comp_targetILNS1_3genE3ELNS1_11target_archE908ELNS1_3gpuE7ELNS1_3repE0EEENS1_30default_config_static_selectorELNS0_4arch9wavefront6targetE1EEEvSV_.has_indirect_call, 0
	.section	.AMDGPU.csdata,"",@progbits
; Kernel info:
; codeLenInByte = 0
; TotalNumSgprs: 4
; NumVgprs: 0
; ScratchSize: 0
; MemoryBound: 0
; FloatMode: 240
; IeeeMode: 1
; LDSByteSize: 0 bytes/workgroup (compile time only)
; SGPRBlocks: 0
; VGPRBlocks: 0
; NumSGPRsForWavesPerEU: 4
; NumVGPRsForWavesPerEU: 1
; Occupancy: 10
; WaveLimiterHint : 0
; COMPUTE_PGM_RSRC2:SCRATCH_EN: 0
; COMPUTE_PGM_RSRC2:USER_SGPR: 6
; COMPUTE_PGM_RSRC2:TRAP_HANDLER: 0
; COMPUTE_PGM_RSRC2:TGID_X_EN: 1
; COMPUTE_PGM_RSRC2:TGID_Y_EN: 0
; COMPUTE_PGM_RSRC2:TGID_Z_EN: 0
; COMPUTE_PGM_RSRC2:TIDIG_COMP_CNT: 0
	.section	.text._ZN7rocprim17ROCPRIM_400000_NS6detail17trampoline_kernelINS0_13select_configILj256ELj13ELNS0_17block_load_methodE3ELS4_3ELS4_3ELNS0_20block_scan_algorithmE0ELj4294967295EEENS1_25partition_config_selectorILNS1_17partition_subalgoE3EjNS0_10empty_typeEbEEZZNS1_14partition_implILS8_3ELb0ES6_jNS0_17counting_iteratorIjlEEPS9_SE_NS0_5tupleIJPjSE_EEENSF_IJSE_SE_EEES9_SG_JZNS1_25segmented_radix_sort_implINS0_14default_configELb1EPKlPlSM_SN_N2at6native12_GLOBAL__N_18offset_tEEE10hipError_tPvRmT1_PNSt15iterator_traitsISV_E10value_typeET2_T3_PNSW_IS11_E10value_typeET4_jRbjT5_S17_jjP12ihipStream_tbEUljE_EEESS_ST_SU_S11_S15_S17_T6_T7_T9_mT8_S19_bDpT10_ENKUlT_T0_E_clISt17integral_constantIbLb0EES1M_EEDaS1H_S1I_EUlS1H_E_NS1_11comp_targetILNS1_3genE2ELNS1_11target_archE906ELNS1_3gpuE6ELNS1_3repE0EEENS1_30default_config_static_selectorELNS0_4arch9wavefront6targetE1EEEvSV_,"axG",@progbits,_ZN7rocprim17ROCPRIM_400000_NS6detail17trampoline_kernelINS0_13select_configILj256ELj13ELNS0_17block_load_methodE3ELS4_3ELS4_3ELNS0_20block_scan_algorithmE0ELj4294967295EEENS1_25partition_config_selectorILNS1_17partition_subalgoE3EjNS0_10empty_typeEbEEZZNS1_14partition_implILS8_3ELb0ES6_jNS0_17counting_iteratorIjlEEPS9_SE_NS0_5tupleIJPjSE_EEENSF_IJSE_SE_EEES9_SG_JZNS1_25segmented_radix_sort_implINS0_14default_configELb1EPKlPlSM_SN_N2at6native12_GLOBAL__N_18offset_tEEE10hipError_tPvRmT1_PNSt15iterator_traitsISV_E10value_typeET2_T3_PNSW_IS11_E10value_typeET4_jRbjT5_S17_jjP12ihipStream_tbEUljE_EEESS_ST_SU_S11_S15_S17_T6_T7_T9_mT8_S19_bDpT10_ENKUlT_T0_E_clISt17integral_constantIbLb0EES1M_EEDaS1H_S1I_EUlS1H_E_NS1_11comp_targetILNS1_3genE2ELNS1_11target_archE906ELNS1_3gpuE6ELNS1_3repE0EEENS1_30default_config_static_selectorELNS0_4arch9wavefront6targetE1EEEvSV_,comdat
	.globl	_ZN7rocprim17ROCPRIM_400000_NS6detail17trampoline_kernelINS0_13select_configILj256ELj13ELNS0_17block_load_methodE3ELS4_3ELS4_3ELNS0_20block_scan_algorithmE0ELj4294967295EEENS1_25partition_config_selectorILNS1_17partition_subalgoE3EjNS0_10empty_typeEbEEZZNS1_14partition_implILS8_3ELb0ES6_jNS0_17counting_iteratorIjlEEPS9_SE_NS0_5tupleIJPjSE_EEENSF_IJSE_SE_EEES9_SG_JZNS1_25segmented_radix_sort_implINS0_14default_configELb1EPKlPlSM_SN_N2at6native12_GLOBAL__N_18offset_tEEE10hipError_tPvRmT1_PNSt15iterator_traitsISV_E10value_typeET2_T3_PNSW_IS11_E10value_typeET4_jRbjT5_S17_jjP12ihipStream_tbEUljE_EEESS_ST_SU_S11_S15_S17_T6_T7_T9_mT8_S19_bDpT10_ENKUlT_T0_E_clISt17integral_constantIbLb0EES1M_EEDaS1H_S1I_EUlS1H_E_NS1_11comp_targetILNS1_3genE2ELNS1_11target_archE906ELNS1_3gpuE6ELNS1_3repE0EEENS1_30default_config_static_selectorELNS0_4arch9wavefront6targetE1EEEvSV_ ; -- Begin function _ZN7rocprim17ROCPRIM_400000_NS6detail17trampoline_kernelINS0_13select_configILj256ELj13ELNS0_17block_load_methodE3ELS4_3ELS4_3ELNS0_20block_scan_algorithmE0ELj4294967295EEENS1_25partition_config_selectorILNS1_17partition_subalgoE3EjNS0_10empty_typeEbEEZZNS1_14partition_implILS8_3ELb0ES6_jNS0_17counting_iteratorIjlEEPS9_SE_NS0_5tupleIJPjSE_EEENSF_IJSE_SE_EEES9_SG_JZNS1_25segmented_radix_sort_implINS0_14default_configELb1EPKlPlSM_SN_N2at6native12_GLOBAL__N_18offset_tEEE10hipError_tPvRmT1_PNSt15iterator_traitsISV_E10value_typeET2_T3_PNSW_IS11_E10value_typeET4_jRbjT5_S17_jjP12ihipStream_tbEUljE_EEESS_ST_SU_S11_S15_S17_T6_T7_T9_mT8_S19_bDpT10_ENKUlT_T0_E_clISt17integral_constantIbLb0EES1M_EEDaS1H_S1I_EUlS1H_E_NS1_11comp_targetILNS1_3genE2ELNS1_11target_archE906ELNS1_3gpuE6ELNS1_3repE0EEENS1_30default_config_static_selectorELNS0_4arch9wavefront6targetE1EEEvSV_
	.p2align	8
	.type	_ZN7rocprim17ROCPRIM_400000_NS6detail17trampoline_kernelINS0_13select_configILj256ELj13ELNS0_17block_load_methodE3ELS4_3ELS4_3ELNS0_20block_scan_algorithmE0ELj4294967295EEENS1_25partition_config_selectorILNS1_17partition_subalgoE3EjNS0_10empty_typeEbEEZZNS1_14partition_implILS8_3ELb0ES6_jNS0_17counting_iteratorIjlEEPS9_SE_NS0_5tupleIJPjSE_EEENSF_IJSE_SE_EEES9_SG_JZNS1_25segmented_radix_sort_implINS0_14default_configELb1EPKlPlSM_SN_N2at6native12_GLOBAL__N_18offset_tEEE10hipError_tPvRmT1_PNSt15iterator_traitsISV_E10value_typeET2_T3_PNSW_IS11_E10value_typeET4_jRbjT5_S17_jjP12ihipStream_tbEUljE_EEESS_ST_SU_S11_S15_S17_T6_T7_T9_mT8_S19_bDpT10_ENKUlT_T0_E_clISt17integral_constantIbLb0EES1M_EEDaS1H_S1I_EUlS1H_E_NS1_11comp_targetILNS1_3genE2ELNS1_11target_archE906ELNS1_3gpuE6ELNS1_3repE0EEENS1_30default_config_static_selectorELNS0_4arch9wavefront6targetE1EEEvSV_,@function
_ZN7rocprim17ROCPRIM_400000_NS6detail17trampoline_kernelINS0_13select_configILj256ELj13ELNS0_17block_load_methodE3ELS4_3ELS4_3ELNS0_20block_scan_algorithmE0ELj4294967295EEENS1_25partition_config_selectorILNS1_17partition_subalgoE3EjNS0_10empty_typeEbEEZZNS1_14partition_implILS8_3ELb0ES6_jNS0_17counting_iteratorIjlEEPS9_SE_NS0_5tupleIJPjSE_EEENSF_IJSE_SE_EEES9_SG_JZNS1_25segmented_radix_sort_implINS0_14default_configELb1EPKlPlSM_SN_N2at6native12_GLOBAL__N_18offset_tEEE10hipError_tPvRmT1_PNSt15iterator_traitsISV_E10value_typeET2_T3_PNSW_IS11_E10value_typeET4_jRbjT5_S17_jjP12ihipStream_tbEUljE_EEESS_ST_SU_S11_S15_S17_T6_T7_T9_mT8_S19_bDpT10_ENKUlT_T0_E_clISt17integral_constantIbLb0EES1M_EEDaS1H_S1I_EUlS1H_E_NS1_11comp_targetILNS1_3genE2ELNS1_11target_archE906ELNS1_3gpuE6ELNS1_3repE0EEENS1_30default_config_static_selectorELNS0_4arch9wavefront6targetE1EEEvSV_: ; @_ZN7rocprim17ROCPRIM_400000_NS6detail17trampoline_kernelINS0_13select_configILj256ELj13ELNS0_17block_load_methodE3ELS4_3ELS4_3ELNS0_20block_scan_algorithmE0ELj4294967295EEENS1_25partition_config_selectorILNS1_17partition_subalgoE3EjNS0_10empty_typeEbEEZZNS1_14partition_implILS8_3ELb0ES6_jNS0_17counting_iteratorIjlEEPS9_SE_NS0_5tupleIJPjSE_EEENSF_IJSE_SE_EEES9_SG_JZNS1_25segmented_radix_sort_implINS0_14default_configELb1EPKlPlSM_SN_N2at6native12_GLOBAL__N_18offset_tEEE10hipError_tPvRmT1_PNSt15iterator_traitsISV_E10value_typeET2_T3_PNSW_IS11_E10value_typeET4_jRbjT5_S17_jjP12ihipStream_tbEUljE_EEESS_ST_SU_S11_S15_S17_T6_T7_T9_mT8_S19_bDpT10_ENKUlT_T0_E_clISt17integral_constantIbLb0EES1M_EEDaS1H_S1I_EUlS1H_E_NS1_11comp_targetILNS1_3genE2ELNS1_11target_archE906ELNS1_3gpuE6ELNS1_3repE0EEENS1_30default_config_static_selectorELNS0_4arch9wavefront6targetE1EEEvSV_
; %bb.0:
	s_load_dwordx2 s[28:29], s[4:5], 0x58
	s_load_dwordx4 s[24:27], s[4:5], 0x48
	s_load_dword s12, s[4:5], 0x8
	s_load_dwordx2 s[30:31], s[4:5], 0x10
	s_load_dword s0, s[4:5], 0x70
	s_load_dword s7, s[4:5], 0x88
	s_load_dwordx4 s[8:11], s[4:5], 0x78
	s_waitcnt lgkmcnt(0)
	s_load_dwordx2 s[34:35], s[26:27], 0x0
	s_mul_i32 s44, s6, 0xd00
	s_add_i32 s2, s0, -1
	s_mulk_i32 s0, 0xd00
	s_add_i32 s1, s0, s30
	s_sub_i32 s33, s28, s1
	s_addk_i32 s33, 0xd00
	s_add_u32 s0, s30, s0
	s_addc_u32 s1, s31, 0
	v_mov_b32_e32 v2, s1
	v_mov_b32_e32 v1, s0
	s_cmp_eq_u32 s6, s2
	v_cmp_gt_u64_e32 vcc, s[28:29], v[1:2]
	s_cselect_b64 s[22:23], -1, 0
	s_cmp_lg_u32 s6, s2
	s_cselect_b64 s[0:1], -1, 0
	s_add_i32 s12, s12, s44
	s_or_b64 s[2:3], s[0:1], vcc
	s_add_i32 s12, s12, s30
	s_mov_b64 s[0:1], -1
	s_and_b64 vcc, exec, s[2:3]
	v_add_u32_e32 v1, s12, v0
	v_lshlrev_b32_e32 v23, 2, v0
	s_cbranch_vccz .LBB676_2
; %bb.1:
	v_add_u32_e32 v2, 0x100, v1
	v_add_u32_e32 v3, 0x200, v1
	;; [unrolled: 1-line block ×12, first 2 shown]
	ds_write2st64_b32 v23, v1, v2 offset1:4
	ds_write2st64_b32 v23, v3, v4 offset0:8 offset1:12
	ds_write2st64_b32 v23, v5, v6 offset0:16 offset1:20
	;; [unrolled: 1-line block ×5, first 2 shown]
	ds_write_b32 v23, v13 offset:12288
	s_waitcnt lgkmcnt(0)
	s_barrier
	s_mov_b64 s[0:1], 0
.LBB676_2:
	s_andn2_b64 vcc, exec, s[0:1]
	v_cmp_gt_u32_e64 s[0:1], s33, v0
	s_cbranch_vccnz .LBB676_4
; %bb.3:
	v_or_b32_e32 v2, 0x100, v0
	v_add_u32_e32 v3, s12, v2
	v_cmp_gt_u32_e32 vcc, s33, v2
	v_cndmask_b32_e32 v2, 0, v3, vcc
	v_or_b32_e32 v3, 0x200, v0
	v_add_u32_e32 v4, s12, v3
	v_cmp_gt_u32_e32 vcc, s33, v3
	v_cndmask_b32_e32 v3, 0, v4, vcc
	;; [unrolled: 4-line block ×11, first 2 shown]
	v_or_b32_e32 v13, 0xc00, v0
	v_cndmask_b32_e64 v1, 0, v1, s[0:1]
	v_add_u32_e32 v14, s12, v13
	v_cmp_gt_u32_e32 vcc, s33, v13
	v_cndmask_b32_e32 v13, 0, v14, vcc
	ds_write2st64_b32 v23, v1, v2 offset1:4
	ds_write2st64_b32 v23, v3, v4 offset0:8 offset1:12
	ds_write2st64_b32 v23, v5, v6 offset0:16 offset1:20
	;; [unrolled: 1-line block ×5, first 2 shown]
	ds_write_b32 v23, v13 offset:12288
	s_waitcnt lgkmcnt(0)
	s_barrier
.LBB676_4:
	v_mul_u32_u24_e32 v25, 13, v0
	v_lshlrev_b32_e32 v1, 2, v25
	s_waitcnt lgkmcnt(0)
	ds_read2_b32 v[13:14], v1 offset1:1
	ds_read2_b32 v[11:12], v1 offset0:2 offset1:3
	ds_read2_b32 v[9:10], v1 offset0:4 offset1:5
	ds_read2_b32 v[7:8], v1 offset0:6 offset1:7
	ds_read2_b32 v[5:6], v1 offset0:8 offset1:9
	ds_read2_b32 v[3:4], v1 offset0:10 offset1:11
	ds_read_b32 v24, v1 offset:48
	v_cndmask_b32_e64 v1, 0, 1, s[2:3]
	v_cmp_ne_u32_e64 s[0:1], 1, v1
	s_andn2_b64 vcc, exec, s[2:3]
	s_waitcnt lgkmcnt(0)
	s_barrier
	s_cbranch_vccnz .LBB676_6
; %bb.5:
	v_add_u32_e32 v1, s9, v13
	v_add_u32_e32 v2, s11, v13
	v_mul_lo_u32 v1, v1, s8
	v_mul_lo_u32 v2, v2, s10
	v_add_u32_e32 v15, s9, v11
	v_add_u32_e32 v16, s11, v11
	v_mul_lo_u32 v15, v15, s8
	v_sub_u32_e32 v1, v1, v2
	v_cmp_lt_u32_e32 vcc, s7, v1
	v_add_u32_e32 v1, s9, v14
	v_add_u32_e32 v2, s11, v14
	v_mul_lo_u32 v1, v1, s8
	v_mul_lo_u32 v2, v2, s10
	;; [unrolled: 1-line block ×3, first 2 shown]
	v_cndmask_b32_e64 v26, 0, 1, vcc
	v_sub_u32_e32 v1, v1, v2
	v_cmp_lt_u32_e32 vcc, s7, v1
	v_sub_u32_e32 v1, v15, v16
	v_cndmask_b32_e64 v27, 0, 1, vcc
	v_cmp_lt_u32_e32 vcc, s7, v1
	v_add_u32_e32 v1, s9, v12
	v_add_u32_e32 v2, s11, v12
	v_mul_lo_u32 v1, v1, s8
	v_mul_lo_u32 v2, v2, s10
	v_add_u32_e32 v15, s9, v9
	v_add_u32_e32 v16, s11, v9
	v_mul_lo_u32 v15, v15, s8
	v_mul_lo_u32 v16, v16, s10
	v_sub_u32_e32 v1, v1, v2
	v_cndmask_b32_e64 v28, 0, 1, vcc
	v_cmp_lt_u32_e32 vcc, s7, v1
	v_sub_u32_e32 v1, v15, v16
	v_cndmask_b32_e64 v29, 0, 1, vcc
	v_cmp_lt_u32_e32 vcc, s7, v1
	v_add_u32_e32 v1, s9, v10
	v_add_u32_e32 v2, s11, v10
	v_mul_lo_u32 v1, v1, s8
	v_mul_lo_u32 v2, v2, s10
	v_add_u32_e32 v15, s9, v7
	v_add_u32_e32 v16, s11, v7
	v_mul_lo_u32 v15, v15, s8
	v_mul_lo_u32 v16, v16, s10
	v_sub_u32_e32 v1, v1, v2
	v_cndmask_b32_e64 v30, 0, 1, vcc
	;; [unrolled: 14-line block ×5, first 2 shown]
	v_cmp_lt_u32_e32 vcc, s7, v1
	v_sub_u32_e32 v1, v15, v16
	v_cndmask_b32_e64 v37, 0, 1, vcc
	v_cmp_lt_u32_e64 s[38:39], s7, v1
	s_load_dwordx2 s[26:27], s[4:5], 0x28
	s_load_dwordx2 s[36:37], s[4:5], 0x68
	s_cbranch_execz .LBB676_7
	s_branch .LBB676_34
.LBB676_6:
                                        ; implicit-def: $sgpr38_sgpr39
                                        ; implicit-def: $vgpr37
                                        ; implicit-def: $vgpr36
                                        ; implicit-def: $vgpr35
                                        ; implicit-def: $vgpr34
                                        ; implicit-def: $vgpr33
                                        ; implicit-def: $vgpr32
                                        ; implicit-def: $vgpr31
                                        ; implicit-def: $vgpr30
                                        ; implicit-def: $vgpr26
                                        ; implicit-def: $vgpr27
                                        ; implicit-def: $vgpr28
                                        ; implicit-def: $vgpr29
	s_load_dwordx2 s[26:27], s[4:5], 0x28
	s_load_dwordx2 s[36:37], s[4:5], 0x68
.LBB676_7:
	v_cmp_gt_u32_e32 vcc, s33, v25
	v_mov_b32_e32 v27, 0
	v_mov_b32_e32 v26, 0
	s_and_saveexec_b64 s[2:3], vcc
	s_cbranch_execz .LBB676_9
; %bb.8:
	v_add_u32_e32 v1, s9, v13
	v_add_u32_e32 v2, s11, v13
	v_mul_lo_u32 v1, v1, s8
	v_mul_lo_u32 v2, v2, s10
	v_sub_u32_e32 v1, v1, v2
	v_cmp_lt_u32_e32 vcc, s7, v1
	v_cndmask_b32_e64 v26, 0, 1, vcc
.LBB676_9:
	s_or_b64 exec, exec, s[2:3]
	v_add_u32_e32 v1, 1, v25
	v_cmp_gt_u32_e32 vcc, s33, v1
	s_and_saveexec_b64 s[2:3], vcc
	s_cbranch_execz .LBB676_11
; %bb.10:
	v_add_u32_e32 v1, s9, v14
	v_add_u32_e32 v2, s11, v14
	v_mul_lo_u32 v1, v1, s8
	v_mul_lo_u32 v2, v2, s10
	v_sub_u32_e32 v1, v1, v2
	v_cmp_lt_u32_e32 vcc, s7, v1
	v_cndmask_b32_e64 v27, 0, 1, vcc
.LBB676_11:
	s_or_b64 exec, exec, s[2:3]
	v_add_u32_e32 v1, 2, v25
	v_cmp_gt_u32_e32 vcc, s33, v1
	v_mov_b32_e32 v29, 0
	v_mov_b32_e32 v28, 0
	s_and_saveexec_b64 s[2:3], vcc
	s_cbranch_execz .LBB676_13
; %bb.12:
	v_add_u32_e32 v1, s9, v11
	v_add_u32_e32 v2, s11, v11
	v_mul_lo_u32 v1, v1, s8
	v_mul_lo_u32 v2, v2, s10
	v_sub_u32_e32 v1, v1, v2
	v_cmp_lt_u32_e32 vcc, s7, v1
	v_cndmask_b32_e64 v28, 0, 1, vcc
.LBB676_13:
	s_or_b64 exec, exec, s[2:3]
	v_add_u32_e32 v1, 3, v25
	v_cmp_gt_u32_e32 vcc, s33, v1
	s_and_saveexec_b64 s[2:3], vcc
	s_cbranch_execz .LBB676_15
; %bb.14:
	v_add_u32_e32 v1, s9, v12
	v_add_u32_e32 v2, s11, v12
	v_mul_lo_u32 v1, v1, s8
	v_mul_lo_u32 v2, v2, s10
	v_sub_u32_e32 v1, v1, v2
	v_cmp_lt_u32_e32 vcc, s7, v1
	v_cndmask_b32_e64 v29, 0, 1, vcc
.LBB676_15:
	s_or_b64 exec, exec, s[2:3]
	v_add_u32_e32 v1, 4, v25
	;; [unrolled: 30-line block ×6, first 2 shown]
	v_cmp_gt_u32_e32 vcc, s33, v1
	s_mov_b64 s[38:39], 0
	s_and_saveexec_b64 s[2:3], vcc
	s_cbranch_execz .LBB676_33
; %bb.32:
	v_add_u32_e32 v1, s9, v24
	v_add_u32_e32 v2, s11, v24
	v_mul_lo_u32 v1, v1, s8
	v_mul_lo_u32 v2, v2, s10
	v_sub_u32_e32 v1, v1, v2
	v_cmp_lt_u32_e32 vcc, s7, v1
	s_and_b64 s[38:39], vcc, exec
.LBB676_33:
	s_or_b64 exec, exec, s[2:3]
.LBB676_34:
	v_and_b32_e32 v40, 0xff, v27
	v_and_b32_e32 v41, 0xff, v28
	;; [unrolled: 1-line block ×5, first 2 shown]
	v_add3_u32 v2, v41, v42, v40
	v_and_b32_e32 v44, 0xff, v31
	v_and_b32_e32 v45, 0xff, v32
	v_add3_u32 v2, v2, v39, v43
	v_and_b32_e32 v46, 0xff, v33
	v_and_b32_e32 v47, 0xff, v34
	;; [unrolled: 3-line block ×3, first 2 shown]
	v_add3_u32 v2, v2, v46, v47
	v_and_b32_e32 v38, 0xff, v37
	v_cndmask_b32_e64 v1, 0, 1, s[38:39]
	v_add3_u32 v2, v2, v48, v49
	v_add3_u32 v52, v2, v38, v1
	v_mbcnt_lo_u32_b32 v1, -1, 0
	v_mbcnt_hi_u32_b32 v50, -1, v1
	v_and_b32_e32 v1, 15, v50
	v_cmp_eq_u32_e64 s[14:15], 0, v1
	v_cmp_lt_u32_e64 s[12:13], 1, v1
	v_cmp_lt_u32_e64 s[10:11], 3, v1
	;; [unrolled: 1-line block ×3, first 2 shown]
	v_and_b32_e32 v1, 16, v50
	v_cmp_eq_u32_e64 s[18:19], 0, v1
	v_or_b32_e32 v1, 63, v0
	s_cmp_lg_u32 s6, 0
	v_cmp_lt_u32_e64 s[2:3], 31, v50
	v_lshrrev_b32_e32 v51, 6, v0
	v_cmp_eq_u32_e64 s[4:5], v0, v1
	s_cbranch_scc0 .LBB676_56
; %bb.35:
	v_mov_b32_dpp v1, v52 row_shr:1 row_mask:0xf bank_mask:0xf
	v_cndmask_b32_e64 v1, v1, 0, s[14:15]
	v_add_u32_e32 v1, v1, v52
	s_nop 1
	v_mov_b32_dpp v2, v1 row_shr:2 row_mask:0xf bank_mask:0xf
	v_cndmask_b32_e64 v2, 0, v2, s[12:13]
	v_add_u32_e32 v1, v1, v2
	s_nop 1
	v_mov_b32_dpp v2, v1 row_shr:4 row_mask:0xf bank_mask:0xf
	v_cndmask_b32_e64 v2, 0, v2, s[10:11]
	v_add_u32_e32 v1, v1, v2
	s_nop 1
	v_mov_b32_dpp v2, v1 row_shr:8 row_mask:0xf bank_mask:0xf
	v_cndmask_b32_e64 v2, 0, v2, s[8:9]
	v_add_u32_e32 v1, v1, v2
	s_nop 1
	v_mov_b32_dpp v2, v1 row_bcast:15 row_mask:0xf bank_mask:0xf
	v_cndmask_b32_e64 v2, v2, 0, s[18:19]
	v_add_u32_e32 v1, v1, v2
	s_nop 1
	v_mov_b32_dpp v2, v1 row_bcast:31 row_mask:0xf bank_mask:0xf
	v_cndmask_b32_e64 v2, 0, v2, s[2:3]
	v_add_u32_e32 v1, v1, v2
	s_and_saveexec_b64 s[16:17], s[4:5]
; %bb.36:
	v_lshlrev_b32_e32 v2, 2, v51
	ds_write_b32 v2, v1
; %bb.37:
	s_or_b64 exec, exec, s[16:17]
	v_cmp_gt_u32_e32 vcc, 4, v0
	s_waitcnt lgkmcnt(0)
	s_barrier
	s_and_saveexec_b64 s[16:17], vcc
	s_cbranch_execz .LBB676_39
; %bb.38:
	ds_read_b32 v2, v23
	v_and_b32_e32 v15, 3, v50
	v_cmp_ne_u32_e32 vcc, 0, v15
	s_waitcnt lgkmcnt(0)
	v_mov_b32_dpp v16, v2 row_shr:1 row_mask:0xf bank_mask:0xf
	v_cndmask_b32_e32 v16, 0, v16, vcc
	v_add_u32_e32 v2, v16, v2
	v_cmp_lt_u32_e32 vcc, 1, v15
	s_nop 0
	v_mov_b32_dpp v16, v2 row_shr:2 row_mask:0xf bank_mask:0xf
	v_cndmask_b32_e32 v15, 0, v16, vcc
	v_add_u32_e32 v2, v2, v15
	ds_write_b32 v23, v2
.LBB676_39:
	s_or_b64 exec, exec, s[16:17]
	v_cmp_gt_u32_e32 vcc, 64, v0
	v_cmp_lt_u32_e64 s[16:17], 63, v0
	s_waitcnt lgkmcnt(0)
	s_barrier
                                        ; implicit-def: $vgpr53
	s_and_saveexec_b64 s[20:21], s[16:17]
	s_cbranch_execz .LBB676_41
; %bb.40:
	v_lshl_add_u32 v2, v51, 2, -4
	ds_read_b32 v53, v2
	s_waitcnt lgkmcnt(0)
	v_add_u32_e32 v1, v53, v1
.LBB676_41:
	s_or_b64 exec, exec, s[20:21]
	v_subrev_co_u32_e64 v2, s[16:17], 1, v50
	v_and_b32_e32 v15, 64, v50
	v_cmp_lt_i32_e64 s[20:21], v2, v15
	v_cndmask_b32_e64 v2, v2, v50, s[20:21]
	v_lshlrev_b32_e32 v2, 2, v2
	ds_bpermute_b32 v54, v2, v1
	s_and_saveexec_b64 s[20:21], vcc
	s_cbranch_execz .LBB676_61
; %bb.42:
	v_mov_b32_e32 v19, 0
	ds_read_b32 v1, v19 offset:12
	s_and_saveexec_b64 s[40:41], s[16:17]
	s_cbranch_execz .LBB676_44
; %bb.43:
	s_add_i32 s42, s6, 64
	s_mov_b32 s43, 0
	s_lshl_b64 s[42:43], s[42:43], 3
	s_add_u32 s42, s36, s42
	v_mov_b32_e32 v2, 1
	s_addc_u32 s43, s37, s43
	s_waitcnt lgkmcnt(0)
	global_store_dwordx2 v19, v[1:2], s[42:43]
.LBB676_44:
	s_or_b64 exec, exec, s[40:41]
	v_xad_u32 v15, v50, -1, s6
	v_add_u32_e32 v18, 64, v15
	v_lshlrev_b64 v[16:17], 3, v[18:19]
	v_mov_b32_e32 v2, s37
	v_add_co_u32_e32 v20, vcc, s36, v16
	v_addc_co_u32_e32 v21, vcc, v2, v17, vcc
	global_load_dwordx2 v[17:18], v[20:21], off glc
	s_waitcnt vmcnt(0)
	v_cmp_eq_u16_sdwa s[42:43], v18, v19 src0_sel:BYTE_0 src1_sel:DWORD
	s_and_saveexec_b64 s[40:41], s[42:43]
	s_cbranch_execz .LBB676_48
; %bb.45:
	s_mov_b64 s[42:43], 0
	v_mov_b32_e32 v2, 0
.LBB676_46:                             ; =>This Inner Loop Header: Depth=1
	global_load_dwordx2 v[17:18], v[20:21], off glc
	s_waitcnt vmcnt(0)
	v_cmp_ne_u16_sdwa s[46:47], v18, v2 src0_sel:BYTE_0 src1_sel:DWORD
	s_or_b64 s[42:43], s[46:47], s[42:43]
	s_andn2_b64 exec, exec, s[42:43]
	s_cbranch_execnz .LBB676_46
; %bb.47:
	s_or_b64 exec, exec, s[42:43]
.LBB676_48:
	s_or_b64 exec, exec, s[40:41]
	v_and_b32_e32 v56, 63, v50
	v_mov_b32_e32 v55, 2
	v_lshlrev_b64 v[19:20], v50, -1
	v_cmp_ne_u32_e32 vcc, 63, v56
	v_cmp_eq_u16_sdwa s[40:41], v18, v55 src0_sel:BYTE_0 src1_sel:DWORD
	v_addc_co_u32_e32 v21, vcc, 0, v50, vcc
	v_and_b32_e32 v2, s41, v20
	v_lshlrev_b32_e32 v57, 2, v21
	v_or_b32_e32 v2, 0x80000000, v2
	ds_bpermute_b32 v21, v57, v17
	v_and_b32_e32 v16, s40, v19
	v_ffbl_b32_e32 v2, v2
	v_add_u32_e32 v2, 32, v2
	v_ffbl_b32_e32 v16, v16
	v_min_u32_e32 v2, v16, v2
	v_cmp_lt_u32_e32 vcc, v56, v2
	s_waitcnt lgkmcnt(0)
	v_cndmask_b32_e32 v16, 0, v21, vcc
	v_cmp_gt_u32_e32 vcc, 62, v56
	v_add_u32_e32 v16, v16, v17
	v_cndmask_b32_e64 v17, 0, 2, vcc
	v_add_lshl_u32 v58, v17, v50, 2
	ds_bpermute_b32 v17, v58, v16
	v_add_u32_e32 v59, 2, v56
	v_cmp_le_u32_e32 vcc, v59, v2
	v_add_u32_e32 v61, 4, v56
	v_add_u32_e32 v63, 8, v56
	s_waitcnt lgkmcnt(0)
	v_cndmask_b32_e32 v17, 0, v17, vcc
	v_cmp_gt_u32_e32 vcc, 60, v56
	v_add_u32_e32 v16, v16, v17
	v_cndmask_b32_e64 v17, 0, 4, vcc
	v_add_lshl_u32 v60, v17, v50, 2
	ds_bpermute_b32 v17, v60, v16
	v_cmp_le_u32_e32 vcc, v61, v2
	v_add_u32_e32 v65, 16, v56
	v_add_u32_e32 v67, 32, v56
	s_waitcnt lgkmcnt(0)
	v_cndmask_b32_e32 v17, 0, v17, vcc
	v_cmp_gt_u32_e32 vcc, 56, v56
	v_add_u32_e32 v16, v16, v17
	v_cndmask_b32_e64 v17, 0, 8, vcc
	v_add_lshl_u32 v62, v17, v50, 2
	ds_bpermute_b32 v17, v62, v16
	v_cmp_le_u32_e32 vcc, v63, v2
	s_waitcnt lgkmcnt(0)
	v_cndmask_b32_e32 v17, 0, v17, vcc
	v_cmp_gt_u32_e32 vcc, 48, v56
	v_add_u32_e32 v16, v16, v17
	v_cndmask_b32_e64 v17, 0, 16, vcc
	v_add_lshl_u32 v64, v17, v50, 2
	ds_bpermute_b32 v17, v64, v16
	v_cmp_le_u32_e32 vcc, v65, v2
	s_waitcnt lgkmcnt(0)
	v_cndmask_b32_e32 v17, 0, v17, vcc
	v_add_u32_e32 v16, v16, v17
	v_mov_b32_e32 v17, 0x80
	v_lshl_or_b32 v66, v50, 2, v17
	ds_bpermute_b32 v17, v66, v16
	v_cmp_le_u32_e32 vcc, v67, v2
	s_waitcnt lgkmcnt(0)
	v_cndmask_b32_e32 v2, 0, v17, vcc
	v_add_u32_e32 v17, v16, v2
	v_mov_b32_e32 v16, 0
	s_branch .LBB676_52
.LBB676_49:                             ;   in Loop: Header=BB676_52 Depth=1
	s_or_b64 exec, exec, s[42:43]
.LBB676_50:                             ;   in Loop: Header=BB676_52 Depth=1
	s_or_b64 exec, exec, s[40:41]
	v_cmp_eq_u16_sdwa s[40:41], v18, v55 src0_sel:BYTE_0 src1_sel:DWORD
	v_and_b32_e32 v21, s41, v20
	v_or_b32_e32 v21, 0x80000000, v21
	ds_bpermute_b32 v68, v57, v17
	v_and_b32_e32 v22, s40, v19
	v_ffbl_b32_e32 v21, v21
	v_add_u32_e32 v21, 32, v21
	v_ffbl_b32_e32 v22, v22
	v_min_u32_e32 v21, v22, v21
	v_cmp_lt_u32_e32 vcc, v56, v21
	s_waitcnt lgkmcnt(0)
	v_cndmask_b32_e32 v22, 0, v68, vcc
	v_add_u32_e32 v17, v22, v17
	ds_bpermute_b32 v22, v58, v17
	v_cmp_le_u32_e32 vcc, v59, v21
	v_subrev_u32_e32 v15, 64, v15
	s_mov_b64 s[40:41], 0
	s_waitcnt lgkmcnt(0)
	v_cndmask_b32_e32 v22, 0, v22, vcc
	v_add_u32_e32 v17, v17, v22
	ds_bpermute_b32 v22, v60, v17
	v_cmp_le_u32_e32 vcc, v61, v21
	s_waitcnt lgkmcnt(0)
	v_cndmask_b32_e32 v22, 0, v22, vcc
	v_add_u32_e32 v17, v17, v22
	ds_bpermute_b32 v22, v62, v17
	v_cmp_le_u32_e32 vcc, v63, v21
	;; [unrolled: 5-line block ×4, first 2 shown]
	s_waitcnt lgkmcnt(0)
	v_cndmask_b32_e32 v21, 0, v22, vcc
	v_add3_u32 v17, v21, v2, v17
.LBB676_51:                             ;   in Loop: Header=BB676_52 Depth=1
	s_and_b64 vcc, exec, s[40:41]
	s_cbranch_vccnz .LBB676_57
.LBB676_52:                             ; =>This Loop Header: Depth=1
                                        ;     Child Loop BB676_55 Depth 2
	v_cmp_ne_u16_sdwa s[40:41], v18, v55 src0_sel:BYTE_0 src1_sel:DWORD
	v_mov_b32_e32 v2, v17
	s_cmp_lg_u64 s[40:41], exec
	s_mov_b64 s[40:41], -1
                                        ; implicit-def: $vgpr17
                                        ; implicit-def: $vgpr18
	s_cbranch_scc1 .LBB676_51
; %bb.53:                               ;   in Loop: Header=BB676_52 Depth=1
	v_lshlrev_b64 v[17:18], 3, v[15:16]
	v_mov_b32_e32 v22, s37
	v_add_co_u32_e32 v21, vcc, s36, v17
	v_addc_co_u32_e32 v22, vcc, v22, v18, vcc
	global_load_dwordx2 v[17:18], v[21:22], off glc
	s_waitcnt vmcnt(0)
	v_cmp_eq_u16_sdwa s[42:43], v18, v16 src0_sel:BYTE_0 src1_sel:DWORD
	s_and_saveexec_b64 s[40:41], s[42:43]
	s_cbranch_execz .LBB676_50
; %bb.54:                               ;   in Loop: Header=BB676_52 Depth=1
	s_mov_b64 s[42:43], 0
.LBB676_55:                             ;   Parent Loop BB676_52 Depth=1
                                        ; =>  This Inner Loop Header: Depth=2
	global_load_dwordx2 v[17:18], v[21:22], off glc
	s_waitcnt vmcnt(0)
	v_cmp_ne_u16_sdwa s[46:47], v18, v16 src0_sel:BYTE_0 src1_sel:DWORD
	s_or_b64 s[42:43], s[46:47], s[42:43]
	s_andn2_b64 exec, exec, s[42:43]
	s_cbranch_execnz .LBB676_55
	s_branch .LBB676_49
.LBB676_56:
                                        ; implicit-def: $vgpr2
                                        ; implicit-def: $vgpr15
	s_cbranch_execnz .LBB676_62
	s_branch .LBB676_71
.LBB676_57:
	s_and_saveexec_b64 s[40:41], s[16:17]
	s_cbranch_execz .LBB676_59
; %bb.58:
	s_add_i32 s6, s6, 64
	s_mov_b32 s7, 0
	s_lshl_b64 s[6:7], s[6:7], 3
	s_add_u32 s6, s36, s6
	v_add_u32_e32 v15, v2, v1
	v_mov_b32_e32 v16, 2
	s_addc_u32 s7, s37, s7
	v_mov_b32_e32 v17, 0
	global_store_dwordx2 v17, v[15:16], s[6:7]
	ds_write_b64 v17, v[1:2] offset:13312
.LBB676_59:
	s_or_b64 exec, exec, s[40:41]
	v_cmp_eq_u32_e32 vcc, 0, v0
	s_and_b64 exec, exec, vcc
; %bb.60:
	v_mov_b32_e32 v1, 0
	ds_write_b32 v1, v2 offset:12
.LBB676_61:
	s_or_b64 exec, exec, s[20:21]
	v_mov_b32_e32 v1, 0
	s_waitcnt vmcnt(0) lgkmcnt(0)
	s_barrier
	ds_read_b32 v16, v1 offset:12
	s_waitcnt lgkmcnt(0)
	s_barrier
	ds_read_b64 v[1:2], v1 offset:13312
	v_cndmask_b32_e64 v15, v54, v53, s[16:17]
	v_cmp_ne_u32_e32 vcc, 0, v0
	v_cndmask_b32_e32 v15, 0, v15, vcc
	v_add_u32_e32 v15, v16, v15
	s_branch .LBB676_71
.LBB676_62:
	s_waitcnt lgkmcnt(0)
	v_mov_b32_dpp v1, v52 row_shr:1 row_mask:0xf bank_mask:0xf
	v_cndmask_b32_e64 v1, v1, 0, s[14:15]
	v_add_u32_e32 v1, v1, v52
	s_nop 1
	v_mov_b32_dpp v2, v1 row_shr:2 row_mask:0xf bank_mask:0xf
	v_cndmask_b32_e64 v2, 0, v2, s[12:13]
	v_add_u32_e32 v1, v1, v2
	s_nop 1
	;; [unrolled: 4-line block ×4, first 2 shown]
	v_mov_b32_dpp v2, v1 row_bcast:15 row_mask:0xf bank_mask:0xf
	v_cndmask_b32_e64 v2, v2, 0, s[18:19]
	v_add_u32_e32 v1, v1, v2
	s_nop 1
	v_mov_b32_dpp v2, v1 row_bcast:31 row_mask:0xf bank_mask:0xf
	v_cndmask_b32_e64 v2, 0, v2, s[2:3]
	v_add_u32_e32 v1, v1, v2
	s_and_saveexec_b64 s[2:3], s[4:5]
; %bb.63:
	v_lshlrev_b32_e32 v2, 2, v51
	ds_write_b32 v2, v1
; %bb.64:
	s_or_b64 exec, exec, s[2:3]
	v_cmp_gt_u32_e32 vcc, 4, v0
	s_waitcnt lgkmcnt(0)
	s_barrier
	s_and_saveexec_b64 s[2:3], vcc
	s_cbranch_execz .LBB676_66
; %bb.65:
	ds_read_b32 v2, v23
	v_and_b32_e32 v15, 3, v50
	v_cmp_ne_u32_e32 vcc, 0, v15
	s_waitcnt lgkmcnt(0)
	v_mov_b32_dpp v16, v2 row_shr:1 row_mask:0xf bank_mask:0xf
	v_cndmask_b32_e32 v16, 0, v16, vcc
	v_add_u32_e32 v2, v16, v2
	v_cmp_lt_u32_e32 vcc, 1, v15
	s_nop 0
	v_mov_b32_dpp v16, v2 row_shr:2 row_mask:0xf bank_mask:0xf
	v_cndmask_b32_e32 v15, 0, v16, vcc
	v_add_u32_e32 v2, v2, v15
	ds_write_b32 v23, v2
.LBB676_66:
	s_or_b64 exec, exec, s[2:3]
	v_cmp_lt_u32_e32 vcc, 63, v0
	v_mov_b32_e32 v2, 0
	v_mov_b32_e32 v15, 0
	s_waitcnt lgkmcnt(0)
	s_barrier
	s_and_saveexec_b64 s[2:3], vcc
; %bb.67:
	v_lshl_add_u32 v15, v51, 2, -4
	ds_read_b32 v15, v15
; %bb.68:
	s_or_b64 exec, exec, s[2:3]
	v_subrev_co_u32_e32 v16, vcc, 1, v50
	v_and_b32_e32 v17, 64, v50
	v_cmp_lt_i32_e64 s[2:3], v16, v17
	v_cndmask_b32_e64 v16, v16, v50, s[2:3]
	s_waitcnt lgkmcnt(0)
	v_add_u32_e32 v1, v15, v1
	v_lshlrev_b32_e32 v16, 2, v16
	ds_bpermute_b32 v16, v16, v1
	ds_read_b32 v1, v2 offset:12
	v_cmp_eq_u32_e64 s[2:3], 0, v0
	s_and_saveexec_b64 s[4:5], s[2:3]
	s_cbranch_execz .LBB676_70
; %bb.69:
	v_mov_b32_e32 v17, 0
	v_mov_b32_e32 v2, 2
	s_waitcnt lgkmcnt(0)
	global_store_dwordx2 v17, v[1:2], s[36:37] offset:512
.LBB676_70:
	s_or_b64 exec, exec, s[4:5]
	s_waitcnt lgkmcnt(1)
	v_cndmask_b32_e32 v2, v16, v15, vcc
	v_cndmask_b32_e64 v15, v2, 0, s[2:3]
	s_waitcnt vmcnt(0) lgkmcnt(0)
	s_barrier
	v_mov_b32_e32 v2, 0
.LBB676_71:
	v_add_u32_e32 v16, v15, v39
	v_add_u32_e32 v17, v16, v40
	;; [unrolled: 1-line block ×4, first 2 shown]
	s_waitcnt lgkmcnt(0)
	v_add_u32_e32 v25, v1, v25
	v_sub_u32_e32 v15, v15, v2
	v_and_b32_e32 v26, 1, v26
	v_add_u32_e32 v20, v19, v43
	v_sub_u32_e32 v43, v25, v15
	v_cmp_eq_u32_e32 vcc, 1, v26
	v_cndmask_b32_e32 v15, v43, v15, vcc
	v_lshlrev_b32_e32 v15, 2, v15
	ds_write_b32 v15, v13
	v_sub_u32_e32 v13, v16, v2
	v_sub_u32_e32 v15, v25, v13
	v_and_b32_e32 v16, 1, v27
	v_add_u32_e32 v15, 1, v15
	v_cmp_eq_u32_e32 vcc, 1, v16
	v_cndmask_b32_e32 v13, v15, v13, vcc
	v_lshlrev_b32_e32 v13, 2, v13
	ds_write_b32 v13, v14
	v_sub_u32_e32 v13, v17, v2
	v_sub_u32_e32 v14, v25, v13
	v_and_b32_e32 v15, 1, v28
	v_add_u32_e32 v14, 2, v14
	;; [unrolled: 8-line block ×5, first 2 shown]
	v_cmp_eq_u32_e32 vcc, 1, v12
	v_cndmask_b32_e32 v9, v11, v9, vcc
	v_add_u32_e32 v21, v20, v44
	v_lshlrev_b32_e32 v9, 2, v9
	ds_write_b32 v9, v10
	v_sub_u32_e32 v9, v21, v2
	v_sub_u32_e32 v10, v25, v9
	v_and_b32_e32 v11, 1, v32
	v_add_u32_e32 v10, 6, v10
	v_cmp_eq_u32_e32 vcc, 1, v11
	v_cndmask_b32_e32 v9, v10, v9, vcc
	v_add_u32_e32 v22, v21, v45
	v_lshlrev_b32_e32 v9, 2, v9
	ds_write_b32 v9, v7
	v_sub_u32_e32 v7, v22, v2
	v_sub_u32_e32 v9, v25, v7
	v_and_b32_e32 v10, 1, v33
	v_add_u32_e32 v9, 7, v9
	;; [unrolled: 9-line block ×6, first 2 shown]
	v_cmp_eq_u32_e32 vcc, 1, v6
	v_cndmask_b32_e32 v3, v5, v3, vcc
	v_lshlrev_b32_e32 v3, 2, v3
	ds_write_b32 v3, v4
	v_sub_u32_e32 v3, v38, v2
	v_add_u32_e32 v3, v42, v3
	v_sub_u32_e32 v4, v25, v3
	v_add_u32_e32 v4, 12, v4
	v_cndmask_b32_e64 v3, v4, v3, s[38:39]
	v_lshlrev_b32_e32 v3, 2, v3
	ds_write_b32 v3, v24
	s_waitcnt lgkmcnt(0)
	s_barrier
	ds_read2st64_b32 v[13:14], v23 offset1:4
	ds_read2st64_b32 v[11:12], v23 offset0:8 offset1:12
	ds_read2st64_b32 v[9:10], v23 offset0:16 offset1:20
	;; [unrolled: 1-line block ×5, first 2 shown]
	ds_read_b32 v19, v23 offset:12288
	v_mov_b32_e32 v15, s35
	s_and_b64 vcc, exec, s[0:1]
	v_add_co_u32_e64 v17, s[0:1], s34, v2
	v_or_b32_e32 v33, 0x100, v0
	v_or_b32_e32 v31, 0x200, v0
	;; [unrolled: 1-line block ×12, first 2 shown]
	v_addc_co_u32_e64 v18, s[0:1], 0, v15, s[0:1]
	s_cbranch_vccnz .LBB676_125
; %bb.72:
	v_mov_b32_e32 v2, s31
	v_subrev_co_u32_e32 v15, vcc, s30, v17
	s_sub_u32 s0, s28, s44
	v_subb_co_u32_e32 v16, vcc, v18, v2, vcc
	s_subb_u32 s1, s29, 0
	v_mov_b32_e32 v2, s1
	v_add_co_u32_e32 v23, vcc, s0, v1
	v_addc_co_u32_e32 v32, vcc, 0, v2, vcc
	v_add_co_u32_e32 v2, vcc, v23, v15
	v_addc_co_u32_e32 v23, vcc, v32, v16, vcc
	v_cmp_ge_u32_e32 vcc, v0, v1
                                        ; implicit-def: $vgpr15_vgpr16
	s_and_saveexec_b64 s[0:1], vcc
	s_xor_b64 s[0:1], exec, s[0:1]
; %bb.73:
	v_not_b32_e32 v15, v0
	v_ashrrev_i32_e32 v16, 31, v15
	v_add_co_u32_e32 v15, vcc, v2, v15
	v_addc_co_u32_e32 v16, vcc, v23, v16, vcc
; %bb.74:
	s_andn2_saveexec_b64 s[0:1], s[0:1]
; %bb.75:
	v_add_co_u32_e32 v15, vcc, v17, v0
	v_addc_co_u32_e32 v16, vcc, 0, v18, vcc
; %bb.76:
	s_or_b64 exec, exec, s[0:1]
	v_lshlrev_b64 v[15:16], 2, v[15:16]
	v_mov_b32_e32 v32, s27
	v_add_co_u32_e32 v15, vcc, s26, v15
	v_addc_co_u32_e32 v16, vcc, v32, v16, vcc
	v_cmp_ge_u32_e32 vcc, v33, v1
	s_waitcnt lgkmcnt(6)
	global_store_dword v[15:16], v13, off
                                        ; implicit-def: $vgpr15_vgpr16
	s_and_saveexec_b64 s[0:1], vcc
	s_xor_b64 s[0:1], exec, s[0:1]
; %bb.77:
	v_xor_b32_e32 v15, 0xfffffeff, v0
	v_ashrrev_i32_e32 v16, 31, v15
	v_add_co_u32_e32 v15, vcc, v2, v15
	v_addc_co_u32_e32 v16, vcc, v23, v16, vcc
; %bb.78:
	s_andn2_saveexec_b64 s[0:1], s[0:1]
; %bb.79:
	v_add_co_u32_e32 v15, vcc, v17, v33
	v_addc_co_u32_e32 v16, vcc, 0, v18, vcc
; %bb.80:
	s_or_b64 exec, exec, s[0:1]
	v_lshlrev_b64 v[15:16], 2, v[15:16]
	v_mov_b32_e32 v32, s27
	v_add_co_u32_e32 v15, vcc, s26, v15
	v_addc_co_u32_e32 v16, vcc, v32, v16, vcc
	v_cmp_ge_u32_e32 vcc, v31, v1
	global_store_dword v[15:16], v14, off
                                        ; implicit-def: $vgpr15_vgpr16
	s_and_saveexec_b64 s[0:1], vcc
	s_xor_b64 s[0:1], exec, s[0:1]
; %bb.81:
	v_xor_b32_e32 v15, 0xfffffdff, v0
	v_ashrrev_i32_e32 v16, 31, v15
	v_add_co_u32_e32 v15, vcc, v2, v15
	v_addc_co_u32_e32 v16, vcc, v23, v16, vcc
; %bb.82:
	s_andn2_saveexec_b64 s[0:1], s[0:1]
; %bb.83:
	v_add_co_u32_e32 v15, vcc, v17, v31
	v_addc_co_u32_e32 v16, vcc, 0, v18, vcc
; %bb.84:
	s_or_b64 exec, exec, s[0:1]
	v_lshlrev_b64 v[15:16], 2, v[15:16]
	v_mov_b32_e32 v32, s27
	v_add_co_u32_e32 v15, vcc, s26, v15
	v_addc_co_u32_e32 v16, vcc, v32, v16, vcc
	v_cmp_ge_u32_e32 vcc, v30, v1
	s_waitcnt lgkmcnt(5)
	global_store_dword v[15:16], v11, off
                                        ; implicit-def: $vgpr15_vgpr16
	s_and_saveexec_b64 s[0:1], vcc
	s_xor_b64 s[0:1], exec, s[0:1]
; %bb.85:
	v_xor_b32_e32 v15, 0xfffffcff, v0
	v_ashrrev_i32_e32 v16, 31, v15
	v_add_co_u32_e32 v15, vcc, v2, v15
	v_addc_co_u32_e32 v16, vcc, v23, v16, vcc
; %bb.86:
	s_andn2_saveexec_b64 s[0:1], s[0:1]
; %bb.87:
	v_add_co_u32_e32 v15, vcc, v17, v30
	v_addc_co_u32_e32 v16, vcc, 0, v18, vcc
; %bb.88:
	s_or_b64 exec, exec, s[0:1]
	v_lshlrev_b64 v[15:16], 2, v[15:16]
	v_mov_b32_e32 v32, s27
	v_add_co_u32_e32 v15, vcc, s26, v15
	v_addc_co_u32_e32 v16, vcc, v32, v16, vcc
	v_cmp_ge_u32_e32 vcc, v29, v1
	global_store_dword v[15:16], v12, off
                                        ; implicit-def: $vgpr15_vgpr16
	s_and_saveexec_b64 s[0:1], vcc
	s_xor_b64 s[0:1], exec, s[0:1]
; %bb.89:
	v_xor_b32_e32 v15, 0xfffffbff, v0
	;; [unrolled: 43-line block ×6, first 2 shown]
	v_ashrrev_i32_e32 v16, 31, v15
	v_add_co_u32_e32 v15, vcc, v2, v15
	v_addc_co_u32_e32 v16, vcc, v23, v16, vcc
; %bb.122:
	s_andn2_saveexec_b64 s[0:1], s[0:1]
; %bb.123:
	v_add_co_u32_e32 v15, vcc, v17, v20
	v_addc_co_u32_e32 v16, vcc, 0, v18, vcc
; %bb.124:
	s_or_b64 exec, exec, s[0:1]
	s_mov_b64 s[0:1], -1
	s_branch .LBB676_205
.LBB676_125:
	s_mov_b64 s[0:1], 0
                                        ; implicit-def: $vgpr15_vgpr16
	s_cbranch_execz .LBB676_205
; %bb.126:
	s_add_u32 s2, s30, s44
	s_addc_u32 s3, s31, 0
	s_sub_u32 s2, s28, s2
	s_subb_u32 s3, s29, s3
	v_mov_b32_e32 v2, s3
	v_add_co_u32_e32 v15, vcc, s2, v1
	v_addc_co_u32_e32 v2, vcc, 0, v2, vcc
	v_add_co_u32_e32 v23, vcc, v15, v17
	v_addc_co_u32_e32 v32, vcc, v2, v18, vcc
	v_cmp_gt_u32_e32 vcc, s33, v0
	s_and_saveexec_b64 s[2:3], vcc
	s_cbranch_execz .LBB676_162
; %bb.127:
	v_cmp_ge_u32_e32 vcc, v0, v1
                                        ; implicit-def: $vgpr15_vgpr16
	s_and_saveexec_b64 s[4:5], vcc
	s_xor_b64 s[4:5], exec, s[4:5]
; %bb.128:
	v_not_b32_e32 v2, v0
	v_ashrrev_i32_e32 v16, 31, v2
	v_add_co_u32_e32 v15, vcc, v23, v2
	v_addc_co_u32_e32 v16, vcc, v32, v16, vcc
; %bb.129:
	s_andn2_saveexec_b64 s[4:5], s[4:5]
; %bb.130:
	v_add_co_u32_e32 v15, vcc, v17, v0
	v_addc_co_u32_e32 v16, vcc, 0, v18, vcc
; %bb.131:
	s_or_b64 exec, exec, s[4:5]
	v_lshlrev_b64 v[15:16], 2, v[15:16]
	v_mov_b32_e32 v2, s27
	v_add_co_u32_e32 v15, vcc, s26, v15
	v_addc_co_u32_e32 v16, vcc, v2, v16, vcc
	s_waitcnt lgkmcnt(6)
	global_store_dword v[15:16], v13, off
	s_or_b64 exec, exec, s[2:3]
	v_cmp_gt_u32_e32 vcc, s33, v33
	s_and_saveexec_b64 s[2:3], vcc
	s_cbranch_execnz .LBB676_163
.LBB676_132:
	s_or_b64 exec, exec, s[2:3]
	v_cmp_gt_u32_e32 vcc, s33, v31
	s_and_saveexec_b64 s[2:3], vcc
	s_cbranch_execz .LBB676_168
.LBB676_133:
	v_cmp_ge_u32_e32 vcc, v31, v1
                                        ; implicit-def: $vgpr13_vgpr14
	s_and_saveexec_b64 s[4:5], vcc
	s_xor_b64 s[4:5], exec, s[4:5]
	s_cbranch_execz .LBB676_135
; %bb.134:
	v_xor_b32_e32 v2, 0xfffffdff, v0
	s_waitcnt lgkmcnt(6)
	v_ashrrev_i32_e32 v14, 31, v2
	v_add_co_u32_e32 v13, vcc, v23, v2
	v_addc_co_u32_e32 v14, vcc, v32, v14, vcc
                                        ; implicit-def: $vgpr31
.LBB676_135:
	s_andn2_saveexec_b64 s[4:5], s[4:5]
	s_cbranch_execz .LBB676_137
; %bb.136:
	s_waitcnt lgkmcnt(6)
	v_add_co_u32_e32 v13, vcc, v17, v31
	v_addc_co_u32_e32 v14, vcc, 0, v18, vcc
.LBB676_137:
	s_or_b64 exec, exec, s[4:5]
	s_waitcnt lgkmcnt(6)
	v_lshlrev_b64 v[13:14], 2, v[13:14]
	v_mov_b32_e32 v2, s27
	v_add_co_u32_e32 v13, vcc, s26, v13
	v_addc_co_u32_e32 v14, vcc, v2, v14, vcc
	s_waitcnt lgkmcnt(5)
	global_store_dword v[13:14], v11, off
	s_or_b64 exec, exec, s[2:3]
	v_cmp_gt_u32_e32 vcc, s33, v30
	s_and_saveexec_b64 s[2:3], vcc
	s_cbranch_execnz .LBB676_169
.LBB676_138:
	s_or_b64 exec, exec, s[2:3]
	v_cmp_gt_u32_e32 vcc, s33, v29
	s_and_saveexec_b64 s[2:3], vcc
	s_cbranch_execz .LBB676_174
.LBB676_139:
	v_cmp_ge_u32_e32 vcc, v29, v1
                                        ; implicit-def: $vgpr11_vgpr12
	s_and_saveexec_b64 s[4:5], vcc
	s_xor_b64 s[4:5], exec, s[4:5]
	s_cbranch_execz .LBB676_141
; %bb.140:
	v_xor_b32_e32 v2, 0xfffffbff, v0
	s_waitcnt lgkmcnt(5)
	v_ashrrev_i32_e32 v12, 31, v2
	v_add_co_u32_e32 v11, vcc, v23, v2
	v_addc_co_u32_e32 v12, vcc, v32, v12, vcc
                                        ; implicit-def: $vgpr29
.LBB676_141:
	s_andn2_saveexec_b64 s[4:5], s[4:5]
	s_cbranch_execz .LBB676_143
; %bb.142:
	s_waitcnt lgkmcnt(5)
	v_add_co_u32_e32 v11, vcc, v17, v29
	v_addc_co_u32_e32 v12, vcc, 0, v18, vcc
.LBB676_143:
	s_or_b64 exec, exec, s[4:5]
	s_waitcnt lgkmcnt(5)
	v_lshlrev_b64 v[11:12], 2, v[11:12]
	v_mov_b32_e32 v2, s27
	v_add_co_u32_e32 v11, vcc, s26, v11
	v_addc_co_u32_e32 v12, vcc, v2, v12, vcc
	s_waitcnt lgkmcnt(4)
	global_store_dword v[11:12], v9, off
	s_or_b64 exec, exec, s[2:3]
	v_cmp_gt_u32_e32 vcc, s33, v28
	s_and_saveexec_b64 s[2:3], vcc
	s_cbranch_execnz .LBB676_175
.LBB676_144:
	s_or_b64 exec, exec, s[2:3]
	v_cmp_gt_u32_e32 vcc, s33, v27
	s_and_saveexec_b64 s[2:3], vcc
	s_cbranch_execz .LBB676_180
.LBB676_145:
	v_cmp_ge_u32_e32 vcc, v27, v1
                                        ; implicit-def: $vgpr9_vgpr10
	s_and_saveexec_b64 s[4:5], vcc
	s_xor_b64 s[4:5], exec, s[4:5]
	s_cbranch_execz .LBB676_147
; %bb.146:
	v_xor_b32_e32 v2, 0xfffff9ff, v0
	s_waitcnt lgkmcnt(4)
	v_ashrrev_i32_e32 v10, 31, v2
	v_add_co_u32_e32 v9, vcc, v23, v2
	v_addc_co_u32_e32 v10, vcc, v32, v10, vcc
                                        ; implicit-def: $vgpr27
.LBB676_147:
	s_andn2_saveexec_b64 s[4:5], s[4:5]
	s_cbranch_execz .LBB676_149
; %bb.148:
	s_waitcnt lgkmcnt(4)
	v_add_co_u32_e32 v9, vcc, v17, v27
	v_addc_co_u32_e32 v10, vcc, 0, v18, vcc
.LBB676_149:
	s_or_b64 exec, exec, s[4:5]
	s_waitcnt lgkmcnt(4)
	v_lshlrev_b64 v[9:10], 2, v[9:10]
	v_mov_b32_e32 v2, s27
	v_add_co_u32_e32 v9, vcc, s26, v9
	v_addc_co_u32_e32 v10, vcc, v2, v10, vcc
	s_waitcnt lgkmcnt(3)
	global_store_dword v[9:10], v7, off
	s_or_b64 exec, exec, s[2:3]
	v_cmp_gt_u32_e32 vcc, s33, v26
	s_and_saveexec_b64 s[2:3], vcc
	s_cbranch_execnz .LBB676_181
.LBB676_150:
	s_or_b64 exec, exec, s[2:3]
	v_cmp_gt_u32_e32 vcc, s33, v25
	s_and_saveexec_b64 s[2:3], vcc
	s_cbranch_execz .LBB676_186
.LBB676_151:
	v_cmp_ge_u32_e32 vcc, v25, v1
                                        ; implicit-def: $vgpr7_vgpr8
	s_and_saveexec_b64 s[4:5], vcc
	s_xor_b64 s[4:5], exec, s[4:5]
	s_cbranch_execz .LBB676_153
; %bb.152:
	v_xor_b32_e32 v2, 0xfffff7ff, v0
	s_waitcnt lgkmcnt(3)
	v_ashrrev_i32_e32 v8, 31, v2
	v_add_co_u32_e32 v7, vcc, v23, v2
	v_addc_co_u32_e32 v8, vcc, v32, v8, vcc
                                        ; implicit-def: $vgpr25
.LBB676_153:
	s_andn2_saveexec_b64 s[4:5], s[4:5]
	s_cbranch_execz .LBB676_155
; %bb.154:
	s_waitcnt lgkmcnt(3)
	v_add_co_u32_e32 v7, vcc, v17, v25
	v_addc_co_u32_e32 v8, vcc, 0, v18, vcc
.LBB676_155:
	s_or_b64 exec, exec, s[4:5]
	s_waitcnt lgkmcnt(3)
	v_lshlrev_b64 v[7:8], 2, v[7:8]
	v_mov_b32_e32 v2, s27
	v_add_co_u32_e32 v7, vcc, s26, v7
	v_addc_co_u32_e32 v8, vcc, v2, v8, vcc
	s_waitcnt lgkmcnt(2)
	global_store_dword v[7:8], v5, off
	s_or_b64 exec, exec, s[2:3]
	v_cmp_gt_u32_e32 vcc, s33, v24
	s_and_saveexec_b64 s[2:3], vcc
	s_cbranch_execnz .LBB676_187
.LBB676_156:
	s_or_b64 exec, exec, s[2:3]
	v_cmp_gt_u32_e32 vcc, s33, v22
	s_and_saveexec_b64 s[2:3], vcc
	s_cbranch_execz .LBB676_192
.LBB676_157:
	v_cmp_ge_u32_e32 vcc, v22, v1
                                        ; implicit-def: $vgpr5_vgpr6
	s_and_saveexec_b64 s[4:5], vcc
	s_xor_b64 s[4:5], exec, s[4:5]
	s_cbranch_execz .LBB676_159
; %bb.158:
	v_xor_b32_e32 v2, 0xfffff5ff, v0
	s_waitcnt lgkmcnt(2)
	v_ashrrev_i32_e32 v6, 31, v2
	v_add_co_u32_e32 v5, vcc, v23, v2
	v_addc_co_u32_e32 v6, vcc, v32, v6, vcc
                                        ; implicit-def: $vgpr22
.LBB676_159:
	s_andn2_saveexec_b64 s[4:5], s[4:5]
	s_cbranch_execz .LBB676_161
; %bb.160:
	s_waitcnt lgkmcnt(2)
	v_add_co_u32_e32 v5, vcc, v17, v22
	v_addc_co_u32_e32 v6, vcc, 0, v18, vcc
.LBB676_161:
	s_or_b64 exec, exec, s[4:5]
	s_waitcnt lgkmcnt(2)
	v_lshlrev_b64 v[5:6], 2, v[5:6]
	v_mov_b32_e32 v2, s27
	v_add_co_u32_e32 v5, vcc, s26, v5
	v_addc_co_u32_e32 v6, vcc, v2, v6, vcc
	s_waitcnt lgkmcnt(1)
	global_store_dword v[5:6], v3, off
	s_or_b64 exec, exec, s[2:3]
	v_cmp_gt_u32_e32 vcc, s33, v21
	s_and_saveexec_b64 s[2:3], vcc
	s_cbranch_execz .LBB676_198
	s_branch .LBB676_193
.LBB676_162:
	s_or_b64 exec, exec, s[2:3]
	v_cmp_gt_u32_e32 vcc, s33, v33
	s_and_saveexec_b64 s[2:3], vcc
	s_cbranch_execz .LBB676_132
.LBB676_163:
	v_cmp_ge_u32_e32 vcc, v33, v1
                                        ; implicit-def: $vgpr15_vgpr16
	s_and_saveexec_b64 s[4:5], vcc
	s_xor_b64 s[4:5], exec, s[4:5]
	s_cbranch_execz .LBB676_165
; %bb.164:
	v_xor_b32_e32 v2, 0xfffffeff, v0
	s_waitcnt lgkmcnt(6)
	v_ashrrev_i32_e32 v13, 31, v2
	v_add_co_u32_e32 v15, vcc, v23, v2
	v_addc_co_u32_e32 v16, vcc, v32, v13, vcc
                                        ; implicit-def: $vgpr33
.LBB676_165:
	s_andn2_saveexec_b64 s[4:5], s[4:5]
; %bb.166:
	v_add_co_u32_e32 v15, vcc, v17, v33
	v_addc_co_u32_e32 v16, vcc, 0, v18, vcc
; %bb.167:
	s_or_b64 exec, exec, s[4:5]
	v_lshlrev_b64 v[15:16], 2, v[15:16]
	v_mov_b32_e32 v2, s27
	v_add_co_u32_e32 v15, vcc, s26, v15
	v_addc_co_u32_e32 v16, vcc, v2, v16, vcc
	s_waitcnt lgkmcnt(6)
	global_store_dword v[15:16], v14, off
	s_or_b64 exec, exec, s[2:3]
	v_cmp_gt_u32_e32 vcc, s33, v31
	s_and_saveexec_b64 s[2:3], vcc
	s_cbranch_execnz .LBB676_133
.LBB676_168:
	s_or_b64 exec, exec, s[2:3]
	v_cmp_gt_u32_e32 vcc, s33, v30
	s_and_saveexec_b64 s[2:3], vcc
	s_cbranch_execz .LBB676_138
.LBB676_169:
	v_cmp_ge_u32_e32 vcc, v30, v1
                                        ; implicit-def: $vgpr13_vgpr14
	s_and_saveexec_b64 s[4:5], vcc
	s_xor_b64 s[4:5], exec, s[4:5]
	s_cbranch_execz .LBB676_171
; %bb.170:
	v_xor_b32_e32 v2, 0xfffffcff, v0
	s_waitcnt lgkmcnt(5)
	v_ashrrev_i32_e32 v11, 31, v2
	v_add_co_u32_e32 v13, vcc, v23, v2
	v_addc_co_u32_e32 v14, vcc, v32, v11, vcc
                                        ; implicit-def: $vgpr30
.LBB676_171:
	s_andn2_saveexec_b64 s[4:5], s[4:5]
	s_cbranch_execz .LBB676_173
; %bb.172:
	s_waitcnt lgkmcnt(6)
	v_add_co_u32_e32 v13, vcc, v17, v30
	v_addc_co_u32_e32 v14, vcc, 0, v18, vcc
.LBB676_173:
	s_or_b64 exec, exec, s[4:5]
	s_waitcnt lgkmcnt(6)
	v_lshlrev_b64 v[13:14], 2, v[13:14]
	v_mov_b32_e32 v2, s27
	v_add_co_u32_e32 v13, vcc, s26, v13
	v_addc_co_u32_e32 v14, vcc, v2, v14, vcc
	s_waitcnt lgkmcnt(5)
	global_store_dword v[13:14], v12, off
	s_or_b64 exec, exec, s[2:3]
	v_cmp_gt_u32_e32 vcc, s33, v29
	s_and_saveexec_b64 s[2:3], vcc
	s_cbranch_execnz .LBB676_139
.LBB676_174:
	s_or_b64 exec, exec, s[2:3]
	v_cmp_gt_u32_e32 vcc, s33, v28
	s_and_saveexec_b64 s[2:3], vcc
	s_cbranch_execz .LBB676_144
.LBB676_175:
	v_cmp_ge_u32_e32 vcc, v28, v1
                                        ; implicit-def: $vgpr11_vgpr12
	s_and_saveexec_b64 s[4:5], vcc
	s_xor_b64 s[4:5], exec, s[4:5]
	s_cbranch_execz .LBB676_177
; %bb.176:
	v_xor_b32_e32 v2, 0xfffffaff, v0
	s_waitcnt lgkmcnt(4)
	v_ashrrev_i32_e32 v9, 31, v2
	v_add_co_u32_e32 v11, vcc, v23, v2
	v_addc_co_u32_e32 v12, vcc, v32, v9, vcc
                                        ; implicit-def: $vgpr28
.LBB676_177:
	s_andn2_saveexec_b64 s[4:5], s[4:5]
	s_cbranch_execz .LBB676_179
; %bb.178:
	s_waitcnt lgkmcnt(5)
	v_add_co_u32_e32 v11, vcc, v17, v28
	v_addc_co_u32_e32 v12, vcc, 0, v18, vcc
.LBB676_179:
	s_or_b64 exec, exec, s[4:5]
	s_waitcnt lgkmcnt(5)
	v_lshlrev_b64 v[11:12], 2, v[11:12]
	v_mov_b32_e32 v2, s27
	v_add_co_u32_e32 v11, vcc, s26, v11
	v_addc_co_u32_e32 v12, vcc, v2, v12, vcc
	s_waitcnt lgkmcnt(4)
	global_store_dword v[11:12], v10, off
	s_or_b64 exec, exec, s[2:3]
	v_cmp_gt_u32_e32 vcc, s33, v27
	s_and_saveexec_b64 s[2:3], vcc
	s_cbranch_execnz .LBB676_145
.LBB676_180:
	s_or_b64 exec, exec, s[2:3]
	v_cmp_gt_u32_e32 vcc, s33, v26
	s_and_saveexec_b64 s[2:3], vcc
	s_cbranch_execz .LBB676_150
.LBB676_181:
	v_cmp_ge_u32_e32 vcc, v26, v1
                                        ; implicit-def: $vgpr9_vgpr10
	s_and_saveexec_b64 s[4:5], vcc
	s_xor_b64 s[4:5], exec, s[4:5]
	s_cbranch_execz .LBB676_183
; %bb.182:
	v_xor_b32_e32 v2, 0xfffff8ff, v0
	s_waitcnt lgkmcnt(3)
	v_ashrrev_i32_e32 v7, 31, v2
	v_add_co_u32_e32 v9, vcc, v23, v2
	v_addc_co_u32_e32 v10, vcc, v32, v7, vcc
                                        ; implicit-def: $vgpr26
.LBB676_183:
	s_andn2_saveexec_b64 s[4:5], s[4:5]
	s_cbranch_execz .LBB676_185
; %bb.184:
	s_waitcnt lgkmcnt(4)
	v_add_co_u32_e32 v9, vcc, v17, v26
	v_addc_co_u32_e32 v10, vcc, 0, v18, vcc
.LBB676_185:
	s_or_b64 exec, exec, s[4:5]
	s_waitcnt lgkmcnt(4)
	v_lshlrev_b64 v[9:10], 2, v[9:10]
	v_mov_b32_e32 v2, s27
	v_add_co_u32_e32 v9, vcc, s26, v9
	v_addc_co_u32_e32 v10, vcc, v2, v10, vcc
	s_waitcnt lgkmcnt(3)
	global_store_dword v[9:10], v8, off
	s_or_b64 exec, exec, s[2:3]
	v_cmp_gt_u32_e32 vcc, s33, v25
	s_and_saveexec_b64 s[2:3], vcc
	s_cbranch_execnz .LBB676_151
.LBB676_186:
	s_or_b64 exec, exec, s[2:3]
	v_cmp_gt_u32_e32 vcc, s33, v24
	s_and_saveexec_b64 s[2:3], vcc
	s_cbranch_execz .LBB676_156
.LBB676_187:
	v_cmp_ge_u32_e32 vcc, v24, v1
                                        ; implicit-def: $vgpr7_vgpr8
	s_and_saveexec_b64 s[4:5], vcc
	s_xor_b64 s[4:5], exec, s[4:5]
	s_cbranch_execz .LBB676_189
; %bb.188:
	v_xor_b32_e32 v2, 0xfffff6ff, v0
	s_waitcnt lgkmcnt(2)
	v_ashrrev_i32_e32 v5, 31, v2
	v_add_co_u32_e32 v7, vcc, v23, v2
	v_addc_co_u32_e32 v8, vcc, v32, v5, vcc
                                        ; implicit-def: $vgpr24
.LBB676_189:
	s_andn2_saveexec_b64 s[4:5], s[4:5]
	s_cbranch_execz .LBB676_191
; %bb.190:
	s_waitcnt lgkmcnt(3)
	v_add_co_u32_e32 v7, vcc, v17, v24
	v_addc_co_u32_e32 v8, vcc, 0, v18, vcc
.LBB676_191:
	s_or_b64 exec, exec, s[4:5]
	s_waitcnt lgkmcnt(3)
	v_lshlrev_b64 v[7:8], 2, v[7:8]
	v_mov_b32_e32 v2, s27
	v_add_co_u32_e32 v7, vcc, s26, v7
	v_addc_co_u32_e32 v8, vcc, v2, v8, vcc
	s_waitcnt lgkmcnt(2)
	global_store_dword v[7:8], v6, off
	s_or_b64 exec, exec, s[2:3]
	v_cmp_gt_u32_e32 vcc, s33, v22
	s_and_saveexec_b64 s[2:3], vcc
	s_cbranch_execnz .LBB676_157
.LBB676_192:
	s_or_b64 exec, exec, s[2:3]
	v_cmp_gt_u32_e32 vcc, s33, v21
	s_and_saveexec_b64 s[2:3], vcc
	s_cbranch_execz .LBB676_198
.LBB676_193:
	v_cmp_ge_u32_e32 vcc, v21, v1
                                        ; implicit-def: $vgpr2_vgpr3
	s_and_saveexec_b64 s[4:5], vcc
	s_xor_b64 s[4:5], exec, s[4:5]
	s_cbranch_execz .LBB676_195
; %bb.194:
	v_xor_b32_e32 v2, 0xfffff4ff, v0
	s_waitcnt lgkmcnt(1)
	v_ashrrev_i32_e32 v3, 31, v2
	v_add_co_u32_e32 v2, vcc, v23, v2
	v_addc_co_u32_e32 v3, vcc, v32, v3, vcc
                                        ; implicit-def: $vgpr21
.LBB676_195:
	s_andn2_saveexec_b64 s[4:5], s[4:5]
	s_cbranch_execz .LBB676_197
; %bb.196:
	v_add_co_u32_e32 v2, vcc, v17, v21
	s_waitcnt lgkmcnt(1)
	v_addc_co_u32_e32 v3, vcc, 0, v18, vcc
.LBB676_197:
	s_or_b64 exec, exec, s[4:5]
	s_waitcnt lgkmcnt(1)
	v_lshlrev_b64 v[2:3], 2, v[2:3]
	v_mov_b32_e32 v5, s27
	v_add_co_u32_e32 v2, vcc, s26, v2
	v_addc_co_u32_e32 v3, vcc, v5, v3, vcc
	global_store_dword v[2:3], v4, off
.LBB676_198:
	s_or_b64 exec, exec, s[2:3]
	v_cmp_gt_u32_e32 vcc, s33, v20
                                        ; implicit-def: $vgpr15_vgpr16
	s_and_saveexec_b64 s[2:3], vcc
	s_cbranch_execz .LBB676_204
; %bb.199:
	v_cmp_ge_u32_e32 vcc, v20, v1
                                        ; implicit-def: $vgpr15_vgpr16
	s_and_saveexec_b64 s[4:5], vcc
	s_xor_b64 s[4:5], exec, s[4:5]
	s_cbranch_execz .LBB676_201
; %bb.200:
	v_xor_b32_e32 v2, 0xfffff3ff, v0
	s_waitcnt lgkmcnt(1)
	v_ashrrev_i32_e32 v3, 31, v2
	v_add_co_u32_e32 v15, vcc, v23, v2
	v_addc_co_u32_e32 v16, vcc, v32, v3, vcc
                                        ; implicit-def: $vgpr20
.LBB676_201:
	s_andn2_saveexec_b64 s[4:5], s[4:5]
; %bb.202:
	v_add_co_u32_e32 v15, vcc, v17, v20
	v_addc_co_u32_e32 v16, vcc, 0, v18, vcc
; %bb.203:
	s_or_b64 exec, exec, s[4:5]
	s_or_b64 s[0:1], s[0:1], exec
.LBB676_204:
	s_or_b64 exec, exec, s[2:3]
.LBB676_205:
	s_and_saveexec_b64 s[2:3], s[0:1]
	s_cbranch_execz .LBB676_207
; %bb.206:
	s_waitcnt lgkmcnt(1)
	v_lshlrev_b64 v[2:3], 2, v[15:16]
	v_mov_b32_e32 v4, s27
	v_add_co_u32_e32 v2, vcc, s26, v2
	v_addc_co_u32_e32 v3, vcc, v4, v3, vcc
	s_waitcnt lgkmcnt(0)
	global_store_dword v[2:3], v19, off
.LBB676_207:
	s_or_b64 exec, exec, s[2:3]
	v_cmp_eq_u32_e32 vcc, 0, v0
	s_and_b64 s[0:1], vcc, s[22:23]
	s_and_saveexec_b64 s[2:3], s[0:1]
	s_cbranch_execz .LBB676_209
; %bb.208:
	v_add_co_u32_e32 v0, vcc, v17, v1
	v_mov_b32_e32 v2, 0
	v_addc_co_u32_e32 v1, vcc, 0, v18, vcc
	global_store_dwordx2 v2, v[0:1], s[24:25]
.LBB676_209:
	s_endpgm
	.section	.rodata,"a",@progbits
	.p2align	6, 0x0
	.amdhsa_kernel _ZN7rocprim17ROCPRIM_400000_NS6detail17trampoline_kernelINS0_13select_configILj256ELj13ELNS0_17block_load_methodE3ELS4_3ELS4_3ELNS0_20block_scan_algorithmE0ELj4294967295EEENS1_25partition_config_selectorILNS1_17partition_subalgoE3EjNS0_10empty_typeEbEEZZNS1_14partition_implILS8_3ELb0ES6_jNS0_17counting_iteratorIjlEEPS9_SE_NS0_5tupleIJPjSE_EEENSF_IJSE_SE_EEES9_SG_JZNS1_25segmented_radix_sort_implINS0_14default_configELb1EPKlPlSM_SN_N2at6native12_GLOBAL__N_18offset_tEEE10hipError_tPvRmT1_PNSt15iterator_traitsISV_E10value_typeET2_T3_PNSW_IS11_E10value_typeET4_jRbjT5_S17_jjP12ihipStream_tbEUljE_EEESS_ST_SU_S11_S15_S17_T6_T7_T9_mT8_S19_bDpT10_ENKUlT_T0_E_clISt17integral_constantIbLb0EES1M_EEDaS1H_S1I_EUlS1H_E_NS1_11comp_targetILNS1_3genE2ELNS1_11target_archE906ELNS1_3gpuE6ELNS1_3repE0EEENS1_30default_config_static_selectorELNS0_4arch9wavefront6targetE1EEEvSV_
		.amdhsa_group_segment_fixed_size 13320
		.amdhsa_private_segment_fixed_size 0
		.amdhsa_kernarg_size 144
		.amdhsa_user_sgpr_count 6
		.amdhsa_user_sgpr_private_segment_buffer 1
		.amdhsa_user_sgpr_dispatch_ptr 0
		.amdhsa_user_sgpr_queue_ptr 0
		.amdhsa_user_sgpr_kernarg_segment_ptr 1
		.amdhsa_user_sgpr_dispatch_id 0
		.amdhsa_user_sgpr_flat_scratch_init 0
		.amdhsa_user_sgpr_private_segment_size 0
		.amdhsa_uses_dynamic_stack 0
		.amdhsa_system_sgpr_private_segment_wavefront_offset 0
		.amdhsa_system_sgpr_workgroup_id_x 1
		.amdhsa_system_sgpr_workgroup_id_y 0
		.amdhsa_system_sgpr_workgroup_id_z 0
		.amdhsa_system_sgpr_workgroup_info 0
		.amdhsa_system_vgpr_workitem_id 0
		.amdhsa_next_free_vgpr 69
		.amdhsa_next_free_sgpr 98
		.amdhsa_reserve_vcc 1
		.amdhsa_reserve_flat_scratch 0
		.amdhsa_float_round_mode_32 0
		.amdhsa_float_round_mode_16_64 0
		.amdhsa_float_denorm_mode_32 3
		.amdhsa_float_denorm_mode_16_64 3
		.amdhsa_dx10_clamp 1
		.amdhsa_ieee_mode 1
		.amdhsa_fp16_overflow 0
		.amdhsa_exception_fp_ieee_invalid_op 0
		.amdhsa_exception_fp_denorm_src 0
		.amdhsa_exception_fp_ieee_div_zero 0
		.amdhsa_exception_fp_ieee_overflow 0
		.amdhsa_exception_fp_ieee_underflow 0
		.amdhsa_exception_fp_ieee_inexact 0
		.amdhsa_exception_int_div_zero 0
	.end_amdhsa_kernel
	.section	.text._ZN7rocprim17ROCPRIM_400000_NS6detail17trampoline_kernelINS0_13select_configILj256ELj13ELNS0_17block_load_methodE3ELS4_3ELS4_3ELNS0_20block_scan_algorithmE0ELj4294967295EEENS1_25partition_config_selectorILNS1_17partition_subalgoE3EjNS0_10empty_typeEbEEZZNS1_14partition_implILS8_3ELb0ES6_jNS0_17counting_iteratorIjlEEPS9_SE_NS0_5tupleIJPjSE_EEENSF_IJSE_SE_EEES9_SG_JZNS1_25segmented_radix_sort_implINS0_14default_configELb1EPKlPlSM_SN_N2at6native12_GLOBAL__N_18offset_tEEE10hipError_tPvRmT1_PNSt15iterator_traitsISV_E10value_typeET2_T3_PNSW_IS11_E10value_typeET4_jRbjT5_S17_jjP12ihipStream_tbEUljE_EEESS_ST_SU_S11_S15_S17_T6_T7_T9_mT8_S19_bDpT10_ENKUlT_T0_E_clISt17integral_constantIbLb0EES1M_EEDaS1H_S1I_EUlS1H_E_NS1_11comp_targetILNS1_3genE2ELNS1_11target_archE906ELNS1_3gpuE6ELNS1_3repE0EEENS1_30default_config_static_selectorELNS0_4arch9wavefront6targetE1EEEvSV_,"axG",@progbits,_ZN7rocprim17ROCPRIM_400000_NS6detail17trampoline_kernelINS0_13select_configILj256ELj13ELNS0_17block_load_methodE3ELS4_3ELS4_3ELNS0_20block_scan_algorithmE0ELj4294967295EEENS1_25partition_config_selectorILNS1_17partition_subalgoE3EjNS0_10empty_typeEbEEZZNS1_14partition_implILS8_3ELb0ES6_jNS0_17counting_iteratorIjlEEPS9_SE_NS0_5tupleIJPjSE_EEENSF_IJSE_SE_EEES9_SG_JZNS1_25segmented_radix_sort_implINS0_14default_configELb1EPKlPlSM_SN_N2at6native12_GLOBAL__N_18offset_tEEE10hipError_tPvRmT1_PNSt15iterator_traitsISV_E10value_typeET2_T3_PNSW_IS11_E10value_typeET4_jRbjT5_S17_jjP12ihipStream_tbEUljE_EEESS_ST_SU_S11_S15_S17_T6_T7_T9_mT8_S19_bDpT10_ENKUlT_T0_E_clISt17integral_constantIbLb0EES1M_EEDaS1H_S1I_EUlS1H_E_NS1_11comp_targetILNS1_3genE2ELNS1_11target_archE906ELNS1_3gpuE6ELNS1_3repE0EEENS1_30default_config_static_selectorELNS0_4arch9wavefront6targetE1EEEvSV_,comdat
.Lfunc_end676:
	.size	_ZN7rocprim17ROCPRIM_400000_NS6detail17trampoline_kernelINS0_13select_configILj256ELj13ELNS0_17block_load_methodE3ELS4_3ELS4_3ELNS0_20block_scan_algorithmE0ELj4294967295EEENS1_25partition_config_selectorILNS1_17partition_subalgoE3EjNS0_10empty_typeEbEEZZNS1_14partition_implILS8_3ELb0ES6_jNS0_17counting_iteratorIjlEEPS9_SE_NS0_5tupleIJPjSE_EEENSF_IJSE_SE_EEES9_SG_JZNS1_25segmented_radix_sort_implINS0_14default_configELb1EPKlPlSM_SN_N2at6native12_GLOBAL__N_18offset_tEEE10hipError_tPvRmT1_PNSt15iterator_traitsISV_E10value_typeET2_T3_PNSW_IS11_E10value_typeET4_jRbjT5_S17_jjP12ihipStream_tbEUljE_EEESS_ST_SU_S11_S15_S17_T6_T7_T9_mT8_S19_bDpT10_ENKUlT_T0_E_clISt17integral_constantIbLb0EES1M_EEDaS1H_S1I_EUlS1H_E_NS1_11comp_targetILNS1_3genE2ELNS1_11target_archE906ELNS1_3gpuE6ELNS1_3repE0EEENS1_30default_config_static_selectorELNS0_4arch9wavefront6targetE1EEEvSV_, .Lfunc_end676-_ZN7rocprim17ROCPRIM_400000_NS6detail17trampoline_kernelINS0_13select_configILj256ELj13ELNS0_17block_load_methodE3ELS4_3ELS4_3ELNS0_20block_scan_algorithmE0ELj4294967295EEENS1_25partition_config_selectorILNS1_17partition_subalgoE3EjNS0_10empty_typeEbEEZZNS1_14partition_implILS8_3ELb0ES6_jNS0_17counting_iteratorIjlEEPS9_SE_NS0_5tupleIJPjSE_EEENSF_IJSE_SE_EEES9_SG_JZNS1_25segmented_radix_sort_implINS0_14default_configELb1EPKlPlSM_SN_N2at6native12_GLOBAL__N_18offset_tEEE10hipError_tPvRmT1_PNSt15iterator_traitsISV_E10value_typeET2_T3_PNSW_IS11_E10value_typeET4_jRbjT5_S17_jjP12ihipStream_tbEUljE_EEESS_ST_SU_S11_S15_S17_T6_T7_T9_mT8_S19_bDpT10_ENKUlT_T0_E_clISt17integral_constantIbLb0EES1M_EEDaS1H_S1I_EUlS1H_E_NS1_11comp_targetILNS1_3genE2ELNS1_11target_archE906ELNS1_3gpuE6ELNS1_3repE0EEENS1_30default_config_static_selectorELNS0_4arch9wavefront6targetE1EEEvSV_
                                        ; -- End function
	.set _ZN7rocprim17ROCPRIM_400000_NS6detail17trampoline_kernelINS0_13select_configILj256ELj13ELNS0_17block_load_methodE3ELS4_3ELS4_3ELNS0_20block_scan_algorithmE0ELj4294967295EEENS1_25partition_config_selectorILNS1_17partition_subalgoE3EjNS0_10empty_typeEbEEZZNS1_14partition_implILS8_3ELb0ES6_jNS0_17counting_iteratorIjlEEPS9_SE_NS0_5tupleIJPjSE_EEENSF_IJSE_SE_EEES9_SG_JZNS1_25segmented_radix_sort_implINS0_14default_configELb1EPKlPlSM_SN_N2at6native12_GLOBAL__N_18offset_tEEE10hipError_tPvRmT1_PNSt15iterator_traitsISV_E10value_typeET2_T3_PNSW_IS11_E10value_typeET4_jRbjT5_S17_jjP12ihipStream_tbEUljE_EEESS_ST_SU_S11_S15_S17_T6_T7_T9_mT8_S19_bDpT10_ENKUlT_T0_E_clISt17integral_constantIbLb0EES1M_EEDaS1H_S1I_EUlS1H_E_NS1_11comp_targetILNS1_3genE2ELNS1_11target_archE906ELNS1_3gpuE6ELNS1_3repE0EEENS1_30default_config_static_selectorELNS0_4arch9wavefront6targetE1EEEvSV_.num_vgpr, 69
	.set _ZN7rocprim17ROCPRIM_400000_NS6detail17trampoline_kernelINS0_13select_configILj256ELj13ELNS0_17block_load_methodE3ELS4_3ELS4_3ELNS0_20block_scan_algorithmE0ELj4294967295EEENS1_25partition_config_selectorILNS1_17partition_subalgoE3EjNS0_10empty_typeEbEEZZNS1_14partition_implILS8_3ELb0ES6_jNS0_17counting_iteratorIjlEEPS9_SE_NS0_5tupleIJPjSE_EEENSF_IJSE_SE_EEES9_SG_JZNS1_25segmented_radix_sort_implINS0_14default_configELb1EPKlPlSM_SN_N2at6native12_GLOBAL__N_18offset_tEEE10hipError_tPvRmT1_PNSt15iterator_traitsISV_E10value_typeET2_T3_PNSW_IS11_E10value_typeET4_jRbjT5_S17_jjP12ihipStream_tbEUljE_EEESS_ST_SU_S11_S15_S17_T6_T7_T9_mT8_S19_bDpT10_ENKUlT_T0_E_clISt17integral_constantIbLb0EES1M_EEDaS1H_S1I_EUlS1H_E_NS1_11comp_targetILNS1_3genE2ELNS1_11target_archE906ELNS1_3gpuE6ELNS1_3repE0EEENS1_30default_config_static_selectorELNS0_4arch9wavefront6targetE1EEEvSV_.num_agpr, 0
	.set _ZN7rocprim17ROCPRIM_400000_NS6detail17trampoline_kernelINS0_13select_configILj256ELj13ELNS0_17block_load_methodE3ELS4_3ELS4_3ELNS0_20block_scan_algorithmE0ELj4294967295EEENS1_25partition_config_selectorILNS1_17partition_subalgoE3EjNS0_10empty_typeEbEEZZNS1_14partition_implILS8_3ELb0ES6_jNS0_17counting_iteratorIjlEEPS9_SE_NS0_5tupleIJPjSE_EEENSF_IJSE_SE_EEES9_SG_JZNS1_25segmented_radix_sort_implINS0_14default_configELb1EPKlPlSM_SN_N2at6native12_GLOBAL__N_18offset_tEEE10hipError_tPvRmT1_PNSt15iterator_traitsISV_E10value_typeET2_T3_PNSW_IS11_E10value_typeET4_jRbjT5_S17_jjP12ihipStream_tbEUljE_EEESS_ST_SU_S11_S15_S17_T6_T7_T9_mT8_S19_bDpT10_ENKUlT_T0_E_clISt17integral_constantIbLb0EES1M_EEDaS1H_S1I_EUlS1H_E_NS1_11comp_targetILNS1_3genE2ELNS1_11target_archE906ELNS1_3gpuE6ELNS1_3repE0EEENS1_30default_config_static_selectorELNS0_4arch9wavefront6targetE1EEEvSV_.numbered_sgpr, 48
	.set _ZN7rocprim17ROCPRIM_400000_NS6detail17trampoline_kernelINS0_13select_configILj256ELj13ELNS0_17block_load_methodE3ELS4_3ELS4_3ELNS0_20block_scan_algorithmE0ELj4294967295EEENS1_25partition_config_selectorILNS1_17partition_subalgoE3EjNS0_10empty_typeEbEEZZNS1_14partition_implILS8_3ELb0ES6_jNS0_17counting_iteratorIjlEEPS9_SE_NS0_5tupleIJPjSE_EEENSF_IJSE_SE_EEES9_SG_JZNS1_25segmented_radix_sort_implINS0_14default_configELb1EPKlPlSM_SN_N2at6native12_GLOBAL__N_18offset_tEEE10hipError_tPvRmT1_PNSt15iterator_traitsISV_E10value_typeET2_T3_PNSW_IS11_E10value_typeET4_jRbjT5_S17_jjP12ihipStream_tbEUljE_EEESS_ST_SU_S11_S15_S17_T6_T7_T9_mT8_S19_bDpT10_ENKUlT_T0_E_clISt17integral_constantIbLb0EES1M_EEDaS1H_S1I_EUlS1H_E_NS1_11comp_targetILNS1_3genE2ELNS1_11target_archE906ELNS1_3gpuE6ELNS1_3repE0EEENS1_30default_config_static_selectorELNS0_4arch9wavefront6targetE1EEEvSV_.num_named_barrier, 0
	.set _ZN7rocprim17ROCPRIM_400000_NS6detail17trampoline_kernelINS0_13select_configILj256ELj13ELNS0_17block_load_methodE3ELS4_3ELS4_3ELNS0_20block_scan_algorithmE0ELj4294967295EEENS1_25partition_config_selectorILNS1_17partition_subalgoE3EjNS0_10empty_typeEbEEZZNS1_14partition_implILS8_3ELb0ES6_jNS0_17counting_iteratorIjlEEPS9_SE_NS0_5tupleIJPjSE_EEENSF_IJSE_SE_EEES9_SG_JZNS1_25segmented_radix_sort_implINS0_14default_configELb1EPKlPlSM_SN_N2at6native12_GLOBAL__N_18offset_tEEE10hipError_tPvRmT1_PNSt15iterator_traitsISV_E10value_typeET2_T3_PNSW_IS11_E10value_typeET4_jRbjT5_S17_jjP12ihipStream_tbEUljE_EEESS_ST_SU_S11_S15_S17_T6_T7_T9_mT8_S19_bDpT10_ENKUlT_T0_E_clISt17integral_constantIbLb0EES1M_EEDaS1H_S1I_EUlS1H_E_NS1_11comp_targetILNS1_3genE2ELNS1_11target_archE906ELNS1_3gpuE6ELNS1_3repE0EEENS1_30default_config_static_selectorELNS0_4arch9wavefront6targetE1EEEvSV_.private_seg_size, 0
	.set _ZN7rocprim17ROCPRIM_400000_NS6detail17trampoline_kernelINS0_13select_configILj256ELj13ELNS0_17block_load_methodE3ELS4_3ELS4_3ELNS0_20block_scan_algorithmE0ELj4294967295EEENS1_25partition_config_selectorILNS1_17partition_subalgoE3EjNS0_10empty_typeEbEEZZNS1_14partition_implILS8_3ELb0ES6_jNS0_17counting_iteratorIjlEEPS9_SE_NS0_5tupleIJPjSE_EEENSF_IJSE_SE_EEES9_SG_JZNS1_25segmented_radix_sort_implINS0_14default_configELb1EPKlPlSM_SN_N2at6native12_GLOBAL__N_18offset_tEEE10hipError_tPvRmT1_PNSt15iterator_traitsISV_E10value_typeET2_T3_PNSW_IS11_E10value_typeET4_jRbjT5_S17_jjP12ihipStream_tbEUljE_EEESS_ST_SU_S11_S15_S17_T6_T7_T9_mT8_S19_bDpT10_ENKUlT_T0_E_clISt17integral_constantIbLb0EES1M_EEDaS1H_S1I_EUlS1H_E_NS1_11comp_targetILNS1_3genE2ELNS1_11target_archE906ELNS1_3gpuE6ELNS1_3repE0EEENS1_30default_config_static_selectorELNS0_4arch9wavefront6targetE1EEEvSV_.uses_vcc, 1
	.set _ZN7rocprim17ROCPRIM_400000_NS6detail17trampoline_kernelINS0_13select_configILj256ELj13ELNS0_17block_load_methodE3ELS4_3ELS4_3ELNS0_20block_scan_algorithmE0ELj4294967295EEENS1_25partition_config_selectorILNS1_17partition_subalgoE3EjNS0_10empty_typeEbEEZZNS1_14partition_implILS8_3ELb0ES6_jNS0_17counting_iteratorIjlEEPS9_SE_NS0_5tupleIJPjSE_EEENSF_IJSE_SE_EEES9_SG_JZNS1_25segmented_radix_sort_implINS0_14default_configELb1EPKlPlSM_SN_N2at6native12_GLOBAL__N_18offset_tEEE10hipError_tPvRmT1_PNSt15iterator_traitsISV_E10value_typeET2_T3_PNSW_IS11_E10value_typeET4_jRbjT5_S17_jjP12ihipStream_tbEUljE_EEESS_ST_SU_S11_S15_S17_T6_T7_T9_mT8_S19_bDpT10_ENKUlT_T0_E_clISt17integral_constantIbLb0EES1M_EEDaS1H_S1I_EUlS1H_E_NS1_11comp_targetILNS1_3genE2ELNS1_11target_archE906ELNS1_3gpuE6ELNS1_3repE0EEENS1_30default_config_static_selectorELNS0_4arch9wavefront6targetE1EEEvSV_.uses_flat_scratch, 0
	.set _ZN7rocprim17ROCPRIM_400000_NS6detail17trampoline_kernelINS0_13select_configILj256ELj13ELNS0_17block_load_methodE3ELS4_3ELS4_3ELNS0_20block_scan_algorithmE0ELj4294967295EEENS1_25partition_config_selectorILNS1_17partition_subalgoE3EjNS0_10empty_typeEbEEZZNS1_14partition_implILS8_3ELb0ES6_jNS0_17counting_iteratorIjlEEPS9_SE_NS0_5tupleIJPjSE_EEENSF_IJSE_SE_EEES9_SG_JZNS1_25segmented_radix_sort_implINS0_14default_configELb1EPKlPlSM_SN_N2at6native12_GLOBAL__N_18offset_tEEE10hipError_tPvRmT1_PNSt15iterator_traitsISV_E10value_typeET2_T3_PNSW_IS11_E10value_typeET4_jRbjT5_S17_jjP12ihipStream_tbEUljE_EEESS_ST_SU_S11_S15_S17_T6_T7_T9_mT8_S19_bDpT10_ENKUlT_T0_E_clISt17integral_constantIbLb0EES1M_EEDaS1H_S1I_EUlS1H_E_NS1_11comp_targetILNS1_3genE2ELNS1_11target_archE906ELNS1_3gpuE6ELNS1_3repE0EEENS1_30default_config_static_selectorELNS0_4arch9wavefront6targetE1EEEvSV_.has_dyn_sized_stack, 0
	.set _ZN7rocprim17ROCPRIM_400000_NS6detail17trampoline_kernelINS0_13select_configILj256ELj13ELNS0_17block_load_methodE3ELS4_3ELS4_3ELNS0_20block_scan_algorithmE0ELj4294967295EEENS1_25partition_config_selectorILNS1_17partition_subalgoE3EjNS0_10empty_typeEbEEZZNS1_14partition_implILS8_3ELb0ES6_jNS0_17counting_iteratorIjlEEPS9_SE_NS0_5tupleIJPjSE_EEENSF_IJSE_SE_EEES9_SG_JZNS1_25segmented_radix_sort_implINS0_14default_configELb1EPKlPlSM_SN_N2at6native12_GLOBAL__N_18offset_tEEE10hipError_tPvRmT1_PNSt15iterator_traitsISV_E10value_typeET2_T3_PNSW_IS11_E10value_typeET4_jRbjT5_S17_jjP12ihipStream_tbEUljE_EEESS_ST_SU_S11_S15_S17_T6_T7_T9_mT8_S19_bDpT10_ENKUlT_T0_E_clISt17integral_constantIbLb0EES1M_EEDaS1H_S1I_EUlS1H_E_NS1_11comp_targetILNS1_3genE2ELNS1_11target_archE906ELNS1_3gpuE6ELNS1_3repE0EEENS1_30default_config_static_selectorELNS0_4arch9wavefront6targetE1EEEvSV_.has_recursion, 0
	.set _ZN7rocprim17ROCPRIM_400000_NS6detail17trampoline_kernelINS0_13select_configILj256ELj13ELNS0_17block_load_methodE3ELS4_3ELS4_3ELNS0_20block_scan_algorithmE0ELj4294967295EEENS1_25partition_config_selectorILNS1_17partition_subalgoE3EjNS0_10empty_typeEbEEZZNS1_14partition_implILS8_3ELb0ES6_jNS0_17counting_iteratorIjlEEPS9_SE_NS0_5tupleIJPjSE_EEENSF_IJSE_SE_EEES9_SG_JZNS1_25segmented_radix_sort_implINS0_14default_configELb1EPKlPlSM_SN_N2at6native12_GLOBAL__N_18offset_tEEE10hipError_tPvRmT1_PNSt15iterator_traitsISV_E10value_typeET2_T3_PNSW_IS11_E10value_typeET4_jRbjT5_S17_jjP12ihipStream_tbEUljE_EEESS_ST_SU_S11_S15_S17_T6_T7_T9_mT8_S19_bDpT10_ENKUlT_T0_E_clISt17integral_constantIbLb0EES1M_EEDaS1H_S1I_EUlS1H_E_NS1_11comp_targetILNS1_3genE2ELNS1_11target_archE906ELNS1_3gpuE6ELNS1_3repE0EEENS1_30default_config_static_selectorELNS0_4arch9wavefront6targetE1EEEvSV_.has_indirect_call, 0
	.section	.AMDGPU.csdata,"",@progbits
; Kernel info:
; codeLenInByte = 7612
; TotalNumSgprs: 52
; NumVgprs: 69
; ScratchSize: 0
; MemoryBound: 0
; FloatMode: 240
; IeeeMode: 1
; LDSByteSize: 13320 bytes/workgroup (compile time only)
; SGPRBlocks: 12
; VGPRBlocks: 17
; NumSGPRsForWavesPerEU: 102
; NumVGPRsForWavesPerEU: 69
; Occupancy: 3
; WaveLimiterHint : 0
; COMPUTE_PGM_RSRC2:SCRATCH_EN: 0
; COMPUTE_PGM_RSRC2:USER_SGPR: 6
; COMPUTE_PGM_RSRC2:TRAP_HANDLER: 0
; COMPUTE_PGM_RSRC2:TGID_X_EN: 1
; COMPUTE_PGM_RSRC2:TGID_Y_EN: 0
; COMPUTE_PGM_RSRC2:TGID_Z_EN: 0
; COMPUTE_PGM_RSRC2:TIDIG_COMP_CNT: 0
	.section	.text._ZN7rocprim17ROCPRIM_400000_NS6detail17trampoline_kernelINS0_13select_configILj256ELj13ELNS0_17block_load_methodE3ELS4_3ELS4_3ELNS0_20block_scan_algorithmE0ELj4294967295EEENS1_25partition_config_selectorILNS1_17partition_subalgoE3EjNS0_10empty_typeEbEEZZNS1_14partition_implILS8_3ELb0ES6_jNS0_17counting_iteratorIjlEEPS9_SE_NS0_5tupleIJPjSE_EEENSF_IJSE_SE_EEES9_SG_JZNS1_25segmented_radix_sort_implINS0_14default_configELb1EPKlPlSM_SN_N2at6native12_GLOBAL__N_18offset_tEEE10hipError_tPvRmT1_PNSt15iterator_traitsISV_E10value_typeET2_T3_PNSW_IS11_E10value_typeET4_jRbjT5_S17_jjP12ihipStream_tbEUljE_EEESS_ST_SU_S11_S15_S17_T6_T7_T9_mT8_S19_bDpT10_ENKUlT_T0_E_clISt17integral_constantIbLb0EES1M_EEDaS1H_S1I_EUlS1H_E_NS1_11comp_targetILNS1_3genE10ELNS1_11target_archE1200ELNS1_3gpuE4ELNS1_3repE0EEENS1_30default_config_static_selectorELNS0_4arch9wavefront6targetE1EEEvSV_,"axG",@progbits,_ZN7rocprim17ROCPRIM_400000_NS6detail17trampoline_kernelINS0_13select_configILj256ELj13ELNS0_17block_load_methodE3ELS4_3ELS4_3ELNS0_20block_scan_algorithmE0ELj4294967295EEENS1_25partition_config_selectorILNS1_17partition_subalgoE3EjNS0_10empty_typeEbEEZZNS1_14partition_implILS8_3ELb0ES6_jNS0_17counting_iteratorIjlEEPS9_SE_NS0_5tupleIJPjSE_EEENSF_IJSE_SE_EEES9_SG_JZNS1_25segmented_radix_sort_implINS0_14default_configELb1EPKlPlSM_SN_N2at6native12_GLOBAL__N_18offset_tEEE10hipError_tPvRmT1_PNSt15iterator_traitsISV_E10value_typeET2_T3_PNSW_IS11_E10value_typeET4_jRbjT5_S17_jjP12ihipStream_tbEUljE_EEESS_ST_SU_S11_S15_S17_T6_T7_T9_mT8_S19_bDpT10_ENKUlT_T0_E_clISt17integral_constantIbLb0EES1M_EEDaS1H_S1I_EUlS1H_E_NS1_11comp_targetILNS1_3genE10ELNS1_11target_archE1200ELNS1_3gpuE4ELNS1_3repE0EEENS1_30default_config_static_selectorELNS0_4arch9wavefront6targetE1EEEvSV_,comdat
	.globl	_ZN7rocprim17ROCPRIM_400000_NS6detail17trampoline_kernelINS0_13select_configILj256ELj13ELNS0_17block_load_methodE3ELS4_3ELS4_3ELNS0_20block_scan_algorithmE0ELj4294967295EEENS1_25partition_config_selectorILNS1_17partition_subalgoE3EjNS0_10empty_typeEbEEZZNS1_14partition_implILS8_3ELb0ES6_jNS0_17counting_iteratorIjlEEPS9_SE_NS0_5tupleIJPjSE_EEENSF_IJSE_SE_EEES9_SG_JZNS1_25segmented_radix_sort_implINS0_14default_configELb1EPKlPlSM_SN_N2at6native12_GLOBAL__N_18offset_tEEE10hipError_tPvRmT1_PNSt15iterator_traitsISV_E10value_typeET2_T3_PNSW_IS11_E10value_typeET4_jRbjT5_S17_jjP12ihipStream_tbEUljE_EEESS_ST_SU_S11_S15_S17_T6_T7_T9_mT8_S19_bDpT10_ENKUlT_T0_E_clISt17integral_constantIbLb0EES1M_EEDaS1H_S1I_EUlS1H_E_NS1_11comp_targetILNS1_3genE10ELNS1_11target_archE1200ELNS1_3gpuE4ELNS1_3repE0EEENS1_30default_config_static_selectorELNS0_4arch9wavefront6targetE1EEEvSV_ ; -- Begin function _ZN7rocprim17ROCPRIM_400000_NS6detail17trampoline_kernelINS0_13select_configILj256ELj13ELNS0_17block_load_methodE3ELS4_3ELS4_3ELNS0_20block_scan_algorithmE0ELj4294967295EEENS1_25partition_config_selectorILNS1_17partition_subalgoE3EjNS0_10empty_typeEbEEZZNS1_14partition_implILS8_3ELb0ES6_jNS0_17counting_iteratorIjlEEPS9_SE_NS0_5tupleIJPjSE_EEENSF_IJSE_SE_EEES9_SG_JZNS1_25segmented_radix_sort_implINS0_14default_configELb1EPKlPlSM_SN_N2at6native12_GLOBAL__N_18offset_tEEE10hipError_tPvRmT1_PNSt15iterator_traitsISV_E10value_typeET2_T3_PNSW_IS11_E10value_typeET4_jRbjT5_S17_jjP12ihipStream_tbEUljE_EEESS_ST_SU_S11_S15_S17_T6_T7_T9_mT8_S19_bDpT10_ENKUlT_T0_E_clISt17integral_constantIbLb0EES1M_EEDaS1H_S1I_EUlS1H_E_NS1_11comp_targetILNS1_3genE10ELNS1_11target_archE1200ELNS1_3gpuE4ELNS1_3repE0EEENS1_30default_config_static_selectorELNS0_4arch9wavefront6targetE1EEEvSV_
	.p2align	8
	.type	_ZN7rocprim17ROCPRIM_400000_NS6detail17trampoline_kernelINS0_13select_configILj256ELj13ELNS0_17block_load_methodE3ELS4_3ELS4_3ELNS0_20block_scan_algorithmE0ELj4294967295EEENS1_25partition_config_selectorILNS1_17partition_subalgoE3EjNS0_10empty_typeEbEEZZNS1_14partition_implILS8_3ELb0ES6_jNS0_17counting_iteratorIjlEEPS9_SE_NS0_5tupleIJPjSE_EEENSF_IJSE_SE_EEES9_SG_JZNS1_25segmented_radix_sort_implINS0_14default_configELb1EPKlPlSM_SN_N2at6native12_GLOBAL__N_18offset_tEEE10hipError_tPvRmT1_PNSt15iterator_traitsISV_E10value_typeET2_T3_PNSW_IS11_E10value_typeET4_jRbjT5_S17_jjP12ihipStream_tbEUljE_EEESS_ST_SU_S11_S15_S17_T6_T7_T9_mT8_S19_bDpT10_ENKUlT_T0_E_clISt17integral_constantIbLb0EES1M_EEDaS1H_S1I_EUlS1H_E_NS1_11comp_targetILNS1_3genE10ELNS1_11target_archE1200ELNS1_3gpuE4ELNS1_3repE0EEENS1_30default_config_static_selectorELNS0_4arch9wavefront6targetE1EEEvSV_,@function
_ZN7rocprim17ROCPRIM_400000_NS6detail17trampoline_kernelINS0_13select_configILj256ELj13ELNS0_17block_load_methodE3ELS4_3ELS4_3ELNS0_20block_scan_algorithmE0ELj4294967295EEENS1_25partition_config_selectorILNS1_17partition_subalgoE3EjNS0_10empty_typeEbEEZZNS1_14partition_implILS8_3ELb0ES6_jNS0_17counting_iteratorIjlEEPS9_SE_NS0_5tupleIJPjSE_EEENSF_IJSE_SE_EEES9_SG_JZNS1_25segmented_radix_sort_implINS0_14default_configELb1EPKlPlSM_SN_N2at6native12_GLOBAL__N_18offset_tEEE10hipError_tPvRmT1_PNSt15iterator_traitsISV_E10value_typeET2_T3_PNSW_IS11_E10value_typeET4_jRbjT5_S17_jjP12ihipStream_tbEUljE_EEESS_ST_SU_S11_S15_S17_T6_T7_T9_mT8_S19_bDpT10_ENKUlT_T0_E_clISt17integral_constantIbLb0EES1M_EEDaS1H_S1I_EUlS1H_E_NS1_11comp_targetILNS1_3genE10ELNS1_11target_archE1200ELNS1_3gpuE4ELNS1_3repE0EEENS1_30default_config_static_selectorELNS0_4arch9wavefront6targetE1EEEvSV_: ; @_ZN7rocprim17ROCPRIM_400000_NS6detail17trampoline_kernelINS0_13select_configILj256ELj13ELNS0_17block_load_methodE3ELS4_3ELS4_3ELNS0_20block_scan_algorithmE0ELj4294967295EEENS1_25partition_config_selectorILNS1_17partition_subalgoE3EjNS0_10empty_typeEbEEZZNS1_14partition_implILS8_3ELb0ES6_jNS0_17counting_iteratorIjlEEPS9_SE_NS0_5tupleIJPjSE_EEENSF_IJSE_SE_EEES9_SG_JZNS1_25segmented_radix_sort_implINS0_14default_configELb1EPKlPlSM_SN_N2at6native12_GLOBAL__N_18offset_tEEE10hipError_tPvRmT1_PNSt15iterator_traitsISV_E10value_typeET2_T3_PNSW_IS11_E10value_typeET4_jRbjT5_S17_jjP12ihipStream_tbEUljE_EEESS_ST_SU_S11_S15_S17_T6_T7_T9_mT8_S19_bDpT10_ENKUlT_T0_E_clISt17integral_constantIbLb0EES1M_EEDaS1H_S1I_EUlS1H_E_NS1_11comp_targetILNS1_3genE10ELNS1_11target_archE1200ELNS1_3gpuE4ELNS1_3repE0EEENS1_30default_config_static_selectorELNS0_4arch9wavefront6targetE1EEEvSV_
; %bb.0:
	.section	.rodata,"a",@progbits
	.p2align	6, 0x0
	.amdhsa_kernel _ZN7rocprim17ROCPRIM_400000_NS6detail17trampoline_kernelINS0_13select_configILj256ELj13ELNS0_17block_load_methodE3ELS4_3ELS4_3ELNS0_20block_scan_algorithmE0ELj4294967295EEENS1_25partition_config_selectorILNS1_17partition_subalgoE3EjNS0_10empty_typeEbEEZZNS1_14partition_implILS8_3ELb0ES6_jNS0_17counting_iteratorIjlEEPS9_SE_NS0_5tupleIJPjSE_EEENSF_IJSE_SE_EEES9_SG_JZNS1_25segmented_radix_sort_implINS0_14default_configELb1EPKlPlSM_SN_N2at6native12_GLOBAL__N_18offset_tEEE10hipError_tPvRmT1_PNSt15iterator_traitsISV_E10value_typeET2_T3_PNSW_IS11_E10value_typeET4_jRbjT5_S17_jjP12ihipStream_tbEUljE_EEESS_ST_SU_S11_S15_S17_T6_T7_T9_mT8_S19_bDpT10_ENKUlT_T0_E_clISt17integral_constantIbLb0EES1M_EEDaS1H_S1I_EUlS1H_E_NS1_11comp_targetILNS1_3genE10ELNS1_11target_archE1200ELNS1_3gpuE4ELNS1_3repE0EEENS1_30default_config_static_selectorELNS0_4arch9wavefront6targetE1EEEvSV_
		.amdhsa_group_segment_fixed_size 0
		.amdhsa_private_segment_fixed_size 0
		.amdhsa_kernarg_size 144
		.amdhsa_user_sgpr_count 6
		.amdhsa_user_sgpr_private_segment_buffer 1
		.amdhsa_user_sgpr_dispatch_ptr 0
		.amdhsa_user_sgpr_queue_ptr 0
		.amdhsa_user_sgpr_kernarg_segment_ptr 1
		.amdhsa_user_sgpr_dispatch_id 0
		.amdhsa_user_sgpr_flat_scratch_init 0
		.amdhsa_user_sgpr_private_segment_size 0
		.amdhsa_uses_dynamic_stack 0
		.amdhsa_system_sgpr_private_segment_wavefront_offset 0
		.amdhsa_system_sgpr_workgroup_id_x 1
		.amdhsa_system_sgpr_workgroup_id_y 0
		.amdhsa_system_sgpr_workgroup_id_z 0
		.amdhsa_system_sgpr_workgroup_info 0
		.amdhsa_system_vgpr_workitem_id 0
		.amdhsa_next_free_vgpr 1
		.amdhsa_next_free_sgpr 0
		.amdhsa_reserve_vcc 0
		.amdhsa_reserve_flat_scratch 0
		.amdhsa_float_round_mode_32 0
		.amdhsa_float_round_mode_16_64 0
		.amdhsa_float_denorm_mode_32 3
		.amdhsa_float_denorm_mode_16_64 3
		.amdhsa_dx10_clamp 1
		.amdhsa_ieee_mode 1
		.amdhsa_fp16_overflow 0
		.amdhsa_exception_fp_ieee_invalid_op 0
		.amdhsa_exception_fp_denorm_src 0
		.amdhsa_exception_fp_ieee_div_zero 0
		.amdhsa_exception_fp_ieee_overflow 0
		.amdhsa_exception_fp_ieee_underflow 0
		.amdhsa_exception_fp_ieee_inexact 0
		.amdhsa_exception_int_div_zero 0
	.end_amdhsa_kernel
	.section	.text._ZN7rocprim17ROCPRIM_400000_NS6detail17trampoline_kernelINS0_13select_configILj256ELj13ELNS0_17block_load_methodE3ELS4_3ELS4_3ELNS0_20block_scan_algorithmE0ELj4294967295EEENS1_25partition_config_selectorILNS1_17partition_subalgoE3EjNS0_10empty_typeEbEEZZNS1_14partition_implILS8_3ELb0ES6_jNS0_17counting_iteratorIjlEEPS9_SE_NS0_5tupleIJPjSE_EEENSF_IJSE_SE_EEES9_SG_JZNS1_25segmented_radix_sort_implINS0_14default_configELb1EPKlPlSM_SN_N2at6native12_GLOBAL__N_18offset_tEEE10hipError_tPvRmT1_PNSt15iterator_traitsISV_E10value_typeET2_T3_PNSW_IS11_E10value_typeET4_jRbjT5_S17_jjP12ihipStream_tbEUljE_EEESS_ST_SU_S11_S15_S17_T6_T7_T9_mT8_S19_bDpT10_ENKUlT_T0_E_clISt17integral_constantIbLb0EES1M_EEDaS1H_S1I_EUlS1H_E_NS1_11comp_targetILNS1_3genE10ELNS1_11target_archE1200ELNS1_3gpuE4ELNS1_3repE0EEENS1_30default_config_static_selectorELNS0_4arch9wavefront6targetE1EEEvSV_,"axG",@progbits,_ZN7rocprim17ROCPRIM_400000_NS6detail17trampoline_kernelINS0_13select_configILj256ELj13ELNS0_17block_load_methodE3ELS4_3ELS4_3ELNS0_20block_scan_algorithmE0ELj4294967295EEENS1_25partition_config_selectorILNS1_17partition_subalgoE3EjNS0_10empty_typeEbEEZZNS1_14partition_implILS8_3ELb0ES6_jNS0_17counting_iteratorIjlEEPS9_SE_NS0_5tupleIJPjSE_EEENSF_IJSE_SE_EEES9_SG_JZNS1_25segmented_radix_sort_implINS0_14default_configELb1EPKlPlSM_SN_N2at6native12_GLOBAL__N_18offset_tEEE10hipError_tPvRmT1_PNSt15iterator_traitsISV_E10value_typeET2_T3_PNSW_IS11_E10value_typeET4_jRbjT5_S17_jjP12ihipStream_tbEUljE_EEESS_ST_SU_S11_S15_S17_T6_T7_T9_mT8_S19_bDpT10_ENKUlT_T0_E_clISt17integral_constantIbLb0EES1M_EEDaS1H_S1I_EUlS1H_E_NS1_11comp_targetILNS1_3genE10ELNS1_11target_archE1200ELNS1_3gpuE4ELNS1_3repE0EEENS1_30default_config_static_selectorELNS0_4arch9wavefront6targetE1EEEvSV_,comdat
.Lfunc_end677:
	.size	_ZN7rocprim17ROCPRIM_400000_NS6detail17trampoline_kernelINS0_13select_configILj256ELj13ELNS0_17block_load_methodE3ELS4_3ELS4_3ELNS0_20block_scan_algorithmE0ELj4294967295EEENS1_25partition_config_selectorILNS1_17partition_subalgoE3EjNS0_10empty_typeEbEEZZNS1_14partition_implILS8_3ELb0ES6_jNS0_17counting_iteratorIjlEEPS9_SE_NS0_5tupleIJPjSE_EEENSF_IJSE_SE_EEES9_SG_JZNS1_25segmented_radix_sort_implINS0_14default_configELb1EPKlPlSM_SN_N2at6native12_GLOBAL__N_18offset_tEEE10hipError_tPvRmT1_PNSt15iterator_traitsISV_E10value_typeET2_T3_PNSW_IS11_E10value_typeET4_jRbjT5_S17_jjP12ihipStream_tbEUljE_EEESS_ST_SU_S11_S15_S17_T6_T7_T9_mT8_S19_bDpT10_ENKUlT_T0_E_clISt17integral_constantIbLb0EES1M_EEDaS1H_S1I_EUlS1H_E_NS1_11comp_targetILNS1_3genE10ELNS1_11target_archE1200ELNS1_3gpuE4ELNS1_3repE0EEENS1_30default_config_static_selectorELNS0_4arch9wavefront6targetE1EEEvSV_, .Lfunc_end677-_ZN7rocprim17ROCPRIM_400000_NS6detail17trampoline_kernelINS0_13select_configILj256ELj13ELNS0_17block_load_methodE3ELS4_3ELS4_3ELNS0_20block_scan_algorithmE0ELj4294967295EEENS1_25partition_config_selectorILNS1_17partition_subalgoE3EjNS0_10empty_typeEbEEZZNS1_14partition_implILS8_3ELb0ES6_jNS0_17counting_iteratorIjlEEPS9_SE_NS0_5tupleIJPjSE_EEENSF_IJSE_SE_EEES9_SG_JZNS1_25segmented_radix_sort_implINS0_14default_configELb1EPKlPlSM_SN_N2at6native12_GLOBAL__N_18offset_tEEE10hipError_tPvRmT1_PNSt15iterator_traitsISV_E10value_typeET2_T3_PNSW_IS11_E10value_typeET4_jRbjT5_S17_jjP12ihipStream_tbEUljE_EEESS_ST_SU_S11_S15_S17_T6_T7_T9_mT8_S19_bDpT10_ENKUlT_T0_E_clISt17integral_constantIbLb0EES1M_EEDaS1H_S1I_EUlS1H_E_NS1_11comp_targetILNS1_3genE10ELNS1_11target_archE1200ELNS1_3gpuE4ELNS1_3repE0EEENS1_30default_config_static_selectorELNS0_4arch9wavefront6targetE1EEEvSV_
                                        ; -- End function
	.set _ZN7rocprim17ROCPRIM_400000_NS6detail17trampoline_kernelINS0_13select_configILj256ELj13ELNS0_17block_load_methodE3ELS4_3ELS4_3ELNS0_20block_scan_algorithmE0ELj4294967295EEENS1_25partition_config_selectorILNS1_17partition_subalgoE3EjNS0_10empty_typeEbEEZZNS1_14partition_implILS8_3ELb0ES6_jNS0_17counting_iteratorIjlEEPS9_SE_NS0_5tupleIJPjSE_EEENSF_IJSE_SE_EEES9_SG_JZNS1_25segmented_radix_sort_implINS0_14default_configELb1EPKlPlSM_SN_N2at6native12_GLOBAL__N_18offset_tEEE10hipError_tPvRmT1_PNSt15iterator_traitsISV_E10value_typeET2_T3_PNSW_IS11_E10value_typeET4_jRbjT5_S17_jjP12ihipStream_tbEUljE_EEESS_ST_SU_S11_S15_S17_T6_T7_T9_mT8_S19_bDpT10_ENKUlT_T0_E_clISt17integral_constantIbLb0EES1M_EEDaS1H_S1I_EUlS1H_E_NS1_11comp_targetILNS1_3genE10ELNS1_11target_archE1200ELNS1_3gpuE4ELNS1_3repE0EEENS1_30default_config_static_selectorELNS0_4arch9wavefront6targetE1EEEvSV_.num_vgpr, 0
	.set _ZN7rocprim17ROCPRIM_400000_NS6detail17trampoline_kernelINS0_13select_configILj256ELj13ELNS0_17block_load_methodE3ELS4_3ELS4_3ELNS0_20block_scan_algorithmE0ELj4294967295EEENS1_25partition_config_selectorILNS1_17partition_subalgoE3EjNS0_10empty_typeEbEEZZNS1_14partition_implILS8_3ELb0ES6_jNS0_17counting_iteratorIjlEEPS9_SE_NS0_5tupleIJPjSE_EEENSF_IJSE_SE_EEES9_SG_JZNS1_25segmented_radix_sort_implINS0_14default_configELb1EPKlPlSM_SN_N2at6native12_GLOBAL__N_18offset_tEEE10hipError_tPvRmT1_PNSt15iterator_traitsISV_E10value_typeET2_T3_PNSW_IS11_E10value_typeET4_jRbjT5_S17_jjP12ihipStream_tbEUljE_EEESS_ST_SU_S11_S15_S17_T6_T7_T9_mT8_S19_bDpT10_ENKUlT_T0_E_clISt17integral_constantIbLb0EES1M_EEDaS1H_S1I_EUlS1H_E_NS1_11comp_targetILNS1_3genE10ELNS1_11target_archE1200ELNS1_3gpuE4ELNS1_3repE0EEENS1_30default_config_static_selectorELNS0_4arch9wavefront6targetE1EEEvSV_.num_agpr, 0
	.set _ZN7rocprim17ROCPRIM_400000_NS6detail17trampoline_kernelINS0_13select_configILj256ELj13ELNS0_17block_load_methodE3ELS4_3ELS4_3ELNS0_20block_scan_algorithmE0ELj4294967295EEENS1_25partition_config_selectorILNS1_17partition_subalgoE3EjNS0_10empty_typeEbEEZZNS1_14partition_implILS8_3ELb0ES6_jNS0_17counting_iteratorIjlEEPS9_SE_NS0_5tupleIJPjSE_EEENSF_IJSE_SE_EEES9_SG_JZNS1_25segmented_radix_sort_implINS0_14default_configELb1EPKlPlSM_SN_N2at6native12_GLOBAL__N_18offset_tEEE10hipError_tPvRmT1_PNSt15iterator_traitsISV_E10value_typeET2_T3_PNSW_IS11_E10value_typeET4_jRbjT5_S17_jjP12ihipStream_tbEUljE_EEESS_ST_SU_S11_S15_S17_T6_T7_T9_mT8_S19_bDpT10_ENKUlT_T0_E_clISt17integral_constantIbLb0EES1M_EEDaS1H_S1I_EUlS1H_E_NS1_11comp_targetILNS1_3genE10ELNS1_11target_archE1200ELNS1_3gpuE4ELNS1_3repE0EEENS1_30default_config_static_selectorELNS0_4arch9wavefront6targetE1EEEvSV_.numbered_sgpr, 0
	.set _ZN7rocprim17ROCPRIM_400000_NS6detail17trampoline_kernelINS0_13select_configILj256ELj13ELNS0_17block_load_methodE3ELS4_3ELS4_3ELNS0_20block_scan_algorithmE0ELj4294967295EEENS1_25partition_config_selectorILNS1_17partition_subalgoE3EjNS0_10empty_typeEbEEZZNS1_14partition_implILS8_3ELb0ES6_jNS0_17counting_iteratorIjlEEPS9_SE_NS0_5tupleIJPjSE_EEENSF_IJSE_SE_EEES9_SG_JZNS1_25segmented_radix_sort_implINS0_14default_configELb1EPKlPlSM_SN_N2at6native12_GLOBAL__N_18offset_tEEE10hipError_tPvRmT1_PNSt15iterator_traitsISV_E10value_typeET2_T3_PNSW_IS11_E10value_typeET4_jRbjT5_S17_jjP12ihipStream_tbEUljE_EEESS_ST_SU_S11_S15_S17_T6_T7_T9_mT8_S19_bDpT10_ENKUlT_T0_E_clISt17integral_constantIbLb0EES1M_EEDaS1H_S1I_EUlS1H_E_NS1_11comp_targetILNS1_3genE10ELNS1_11target_archE1200ELNS1_3gpuE4ELNS1_3repE0EEENS1_30default_config_static_selectorELNS0_4arch9wavefront6targetE1EEEvSV_.num_named_barrier, 0
	.set _ZN7rocprim17ROCPRIM_400000_NS6detail17trampoline_kernelINS0_13select_configILj256ELj13ELNS0_17block_load_methodE3ELS4_3ELS4_3ELNS0_20block_scan_algorithmE0ELj4294967295EEENS1_25partition_config_selectorILNS1_17partition_subalgoE3EjNS0_10empty_typeEbEEZZNS1_14partition_implILS8_3ELb0ES6_jNS0_17counting_iteratorIjlEEPS9_SE_NS0_5tupleIJPjSE_EEENSF_IJSE_SE_EEES9_SG_JZNS1_25segmented_radix_sort_implINS0_14default_configELb1EPKlPlSM_SN_N2at6native12_GLOBAL__N_18offset_tEEE10hipError_tPvRmT1_PNSt15iterator_traitsISV_E10value_typeET2_T3_PNSW_IS11_E10value_typeET4_jRbjT5_S17_jjP12ihipStream_tbEUljE_EEESS_ST_SU_S11_S15_S17_T6_T7_T9_mT8_S19_bDpT10_ENKUlT_T0_E_clISt17integral_constantIbLb0EES1M_EEDaS1H_S1I_EUlS1H_E_NS1_11comp_targetILNS1_3genE10ELNS1_11target_archE1200ELNS1_3gpuE4ELNS1_3repE0EEENS1_30default_config_static_selectorELNS0_4arch9wavefront6targetE1EEEvSV_.private_seg_size, 0
	.set _ZN7rocprim17ROCPRIM_400000_NS6detail17trampoline_kernelINS0_13select_configILj256ELj13ELNS0_17block_load_methodE3ELS4_3ELS4_3ELNS0_20block_scan_algorithmE0ELj4294967295EEENS1_25partition_config_selectorILNS1_17partition_subalgoE3EjNS0_10empty_typeEbEEZZNS1_14partition_implILS8_3ELb0ES6_jNS0_17counting_iteratorIjlEEPS9_SE_NS0_5tupleIJPjSE_EEENSF_IJSE_SE_EEES9_SG_JZNS1_25segmented_radix_sort_implINS0_14default_configELb1EPKlPlSM_SN_N2at6native12_GLOBAL__N_18offset_tEEE10hipError_tPvRmT1_PNSt15iterator_traitsISV_E10value_typeET2_T3_PNSW_IS11_E10value_typeET4_jRbjT5_S17_jjP12ihipStream_tbEUljE_EEESS_ST_SU_S11_S15_S17_T6_T7_T9_mT8_S19_bDpT10_ENKUlT_T0_E_clISt17integral_constantIbLb0EES1M_EEDaS1H_S1I_EUlS1H_E_NS1_11comp_targetILNS1_3genE10ELNS1_11target_archE1200ELNS1_3gpuE4ELNS1_3repE0EEENS1_30default_config_static_selectorELNS0_4arch9wavefront6targetE1EEEvSV_.uses_vcc, 0
	.set _ZN7rocprim17ROCPRIM_400000_NS6detail17trampoline_kernelINS0_13select_configILj256ELj13ELNS0_17block_load_methodE3ELS4_3ELS4_3ELNS0_20block_scan_algorithmE0ELj4294967295EEENS1_25partition_config_selectorILNS1_17partition_subalgoE3EjNS0_10empty_typeEbEEZZNS1_14partition_implILS8_3ELb0ES6_jNS0_17counting_iteratorIjlEEPS9_SE_NS0_5tupleIJPjSE_EEENSF_IJSE_SE_EEES9_SG_JZNS1_25segmented_radix_sort_implINS0_14default_configELb1EPKlPlSM_SN_N2at6native12_GLOBAL__N_18offset_tEEE10hipError_tPvRmT1_PNSt15iterator_traitsISV_E10value_typeET2_T3_PNSW_IS11_E10value_typeET4_jRbjT5_S17_jjP12ihipStream_tbEUljE_EEESS_ST_SU_S11_S15_S17_T6_T7_T9_mT8_S19_bDpT10_ENKUlT_T0_E_clISt17integral_constantIbLb0EES1M_EEDaS1H_S1I_EUlS1H_E_NS1_11comp_targetILNS1_3genE10ELNS1_11target_archE1200ELNS1_3gpuE4ELNS1_3repE0EEENS1_30default_config_static_selectorELNS0_4arch9wavefront6targetE1EEEvSV_.uses_flat_scratch, 0
	.set _ZN7rocprim17ROCPRIM_400000_NS6detail17trampoline_kernelINS0_13select_configILj256ELj13ELNS0_17block_load_methodE3ELS4_3ELS4_3ELNS0_20block_scan_algorithmE0ELj4294967295EEENS1_25partition_config_selectorILNS1_17partition_subalgoE3EjNS0_10empty_typeEbEEZZNS1_14partition_implILS8_3ELb0ES6_jNS0_17counting_iteratorIjlEEPS9_SE_NS0_5tupleIJPjSE_EEENSF_IJSE_SE_EEES9_SG_JZNS1_25segmented_radix_sort_implINS0_14default_configELb1EPKlPlSM_SN_N2at6native12_GLOBAL__N_18offset_tEEE10hipError_tPvRmT1_PNSt15iterator_traitsISV_E10value_typeET2_T3_PNSW_IS11_E10value_typeET4_jRbjT5_S17_jjP12ihipStream_tbEUljE_EEESS_ST_SU_S11_S15_S17_T6_T7_T9_mT8_S19_bDpT10_ENKUlT_T0_E_clISt17integral_constantIbLb0EES1M_EEDaS1H_S1I_EUlS1H_E_NS1_11comp_targetILNS1_3genE10ELNS1_11target_archE1200ELNS1_3gpuE4ELNS1_3repE0EEENS1_30default_config_static_selectorELNS0_4arch9wavefront6targetE1EEEvSV_.has_dyn_sized_stack, 0
	.set _ZN7rocprim17ROCPRIM_400000_NS6detail17trampoline_kernelINS0_13select_configILj256ELj13ELNS0_17block_load_methodE3ELS4_3ELS4_3ELNS0_20block_scan_algorithmE0ELj4294967295EEENS1_25partition_config_selectorILNS1_17partition_subalgoE3EjNS0_10empty_typeEbEEZZNS1_14partition_implILS8_3ELb0ES6_jNS0_17counting_iteratorIjlEEPS9_SE_NS0_5tupleIJPjSE_EEENSF_IJSE_SE_EEES9_SG_JZNS1_25segmented_radix_sort_implINS0_14default_configELb1EPKlPlSM_SN_N2at6native12_GLOBAL__N_18offset_tEEE10hipError_tPvRmT1_PNSt15iterator_traitsISV_E10value_typeET2_T3_PNSW_IS11_E10value_typeET4_jRbjT5_S17_jjP12ihipStream_tbEUljE_EEESS_ST_SU_S11_S15_S17_T6_T7_T9_mT8_S19_bDpT10_ENKUlT_T0_E_clISt17integral_constantIbLb0EES1M_EEDaS1H_S1I_EUlS1H_E_NS1_11comp_targetILNS1_3genE10ELNS1_11target_archE1200ELNS1_3gpuE4ELNS1_3repE0EEENS1_30default_config_static_selectorELNS0_4arch9wavefront6targetE1EEEvSV_.has_recursion, 0
	.set _ZN7rocprim17ROCPRIM_400000_NS6detail17trampoline_kernelINS0_13select_configILj256ELj13ELNS0_17block_load_methodE3ELS4_3ELS4_3ELNS0_20block_scan_algorithmE0ELj4294967295EEENS1_25partition_config_selectorILNS1_17partition_subalgoE3EjNS0_10empty_typeEbEEZZNS1_14partition_implILS8_3ELb0ES6_jNS0_17counting_iteratorIjlEEPS9_SE_NS0_5tupleIJPjSE_EEENSF_IJSE_SE_EEES9_SG_JZNS1_25segmented_radix_sort_implINS0_14default_configELb1EPKlPlSM_SN_N2at6native12_GLOBAL__N_18offset_tEEE10hipError_tPvRmT1_PNSt15iterator_traitsISV_E10value_typeET2_T3_PNSW_IS11_E10value_typeET4_jRbjT5_S17_jjP12ihipStream_tbEUljE_EEESS_ST_SU_S11_S15_S17_T6_T7_T9_mT8_S19_bDpT10_ENKUlT_T0_E_clISt17integral_constantIbLb0EES1M_EEDaS1H_S1I_EUlS1H_E_NS1_11comp_targetILNS1_3genE10ELNS1_11target_archE1200ELNS1_3gpuE4ELNS1_3repE0EEENS1_30default_config_static_selectorELNS0_4arch9wavefront6targetE1EEEvSV_.has_indirect_call, 0
	.section	.AMDGPU.csdata,"",@progbits
; Kernel info:
; codeLenInByte = 0
; TotalNumSgprs: 4
; NumVgprs: 0
; ScratchSize: 0
; MemoryBound: 0
; FloatMode: 240
; IeeeMode: 1
; LDSByteSize: 0 bytes/workgroup (compile time only)
; SGPRBlocks: 0
; VGPRBlocks: 0
; NumSGPRsForWavesPerEU: 4
; NumVGPRsForWavesPerEU: 1
; Occupancy: 10
; WaveLimiterHint : 0
; COMPUTE_PGM_RSRC2:SCRATCH_EN: 0
; COMPUTE_PGM_RSRC2:USER_SGPR: 6
; COMPUTE_PGM_RSRC2:TRAP_HANDLER: 0
; COMPUTE_PGM_RSRC2:TGID_X_EN: 1
; COMPUTE_PGM_RSRC2:TGID_Y_EN: 0
; COMPUTE_PGM_RSRC2:TGID_Z_EN: 0
; COMPUTE_PGM_RSRC2:TIDIG_COMP_CNT: 0
	.section	.text._ZN7rocprim17ROCPRIM_400000_NS6detail17trampoline_kernelINS0_13select_configILj256ELj13ELNS0_17block_load_methodE3ELS4_3ELS4_3ELNS0_20block_scan_algorithmE0ELj4294967295EEENS1_25partition_config_selectorILNS1_17partition_subalgoE3EjNS0_10empty_typeEbEEZZNS1_14partition_implILS8_3ELb0ES6_jNS0_17counting_iteratorIjlEEPS9_SE_NS0_5tupleIJPjSE_EEENSF_IJSE_SE_EEES9_SG_JZNS1_25segmented_radix_sort_implINS0_14default_configELb1EPKlPlSM_SN_N2at6native12_GLOBAL__N_18offset_tEEE10hipError_tPvRmT1_PNSt15iterator_traitsISV_E10value_typeET2_T3_PNSW_IS11_E10value_typeET4_jRbjT5_S17_jjP12ihipStream_tbEUljE_EEESS_ST_SU_S11_S15_S17_T6_T7_T9_mT8_S19_bDpT10_ENKUlT_T0_E_clISt17integral_constantIbLb0EES1M_EEDaS1H_S1I_EUlS1H_E_NS1_11comp_targetILNS1_3genE9ELNS1_11target_archE1100ELNS1_3gpuE3ELNS1_3repE0EEENS1_30default_config_static_selectorELNS0_4arch9wavefront6targetE1EEEvSV_,"axG",@progbits,_ZN7rocprim17ROCPRIM_400000_NS6detail17trampoline_kernelINS0_13select_configILj256ELj13ELNS0_17block_load_methodE3ELS4_3ELS4_3ELNS0_20block_scan_algorithmE0ELj4294967295EEENS1_25partition_config_selectorILNS1_17partition_subalgoE3EjNS0_10empty_typeEbEEZZNS1_14partition_implILS8_3ELb0ES6_jNS0_17counting_iteratorIjlEEPS9_SE_NS0_5tupleIJPjSE_EEENSF_IJSE_SE_EEES9_SG_JZNS1_25segmented_radix_sort_implINS0_14default_configELb1EPKlPlSM_SN_N2at6native12_GLOBAL__N_18offset_tEEE10hipError_tPvRmT1_PNSt15iterator_traitsISV_E10value_typeET2_T3_PNSW_IS11_E10value_typeET4_jRbjT5_S17_jjP12ihipStream_tbEUljE_EEESS_ST_SU_S11_S15_S17_T6_T7_T9_mT8_S19_bDpT10_ENKUlT_T0_E_clISt17integral_constantIbLb0EES1M_EEDaS1H_S1I_EUlS1H_E_NS1_11comp_targetILNS1_3genE9ELNS1_11target_archE1100ELNS1_3gpuE3ELNS1_3repE0EEENS1_30default_config_static_selectorELNS0_4arch9wavefront6targetE1EEEvSV_,comdat
	.globl	_ZN7rocprim17ROCPRIM_400000_NS6detail17trampoline_kernelINS0_13select_configILj256ELj13ELNS0_17block_load_methodE3ELS4_3ELS4_3ELNS0_20block_scan_algorithmE0ELj4294967295EEENS1_25partition_config_selectorILNS1_17partition_subalgoE3EjNS0_10empty_typeEbEEZZNS1_14partition_implILS8_3ELb0ES6_jNS0_17counting_iteratorIjlEEPS9_SE_NS0_5tupleIJPjSE_EEENSF_IJSE_SE_EEES9_SG_JZNS1_25segmented_radix_sort_implINS0_14default_configELb1EPKlPlSM_SN_N2at6native12_GLOBAL__N_18offset_tEEE10hipError_tPvRmT1_PNSt15iterator_traitsISV_E10value_typeET2_T3_PNSW_IS11_E10value_typeET4_jRbjT5_S17_jjP12ihipStream_tbEUljE_EEESS_ST_SU_S11_S15_S17_T6_T7_T9_mT8_S19_bDpT10_ENKUlT_T0_E_clISt17integral_constantIbLb0EES1M_EEDaS1H_S1I_EUlS1H_E_NS1_11comp_targetILNS1_3genE9ELNS1_11target_archE1100ELNS1_3gpuE3ELNS1_3repE0EEENS1_30default_config_static_selectorELNS0_4arch9wavefront6targetE1EEEvSV_ ; -- Begin function _ZN7rocprim17ROCPRIM_400000_NS6detail17trampoline_kernelINS0_13select_configILj256ELj13ELNS0_17block_load_methodE3ELS4_3ELS4_3ELNS0_20block_scan_algorithmE0ELj4294967295EEENS1_25partition_config_selectorILNS1_17partition_subalgoE3EjNS0_10empty_typeEbEEZZNS1_14partition_implILS8_3ELb0ES6_jNS0_17counting_iteratorIjlEEPS9_SE_NS0_5tupleIJPjSE_EEENSF_IJSE_SE_EEES9_SG_JZNS1_25segmented_radix_sort_implINS0_14default_configELb1EPKlPlSM_SN_N2at6native12_GLOBAL__N_18offset_tEEE10hipError_tPvRmT1_PNSt15iterator_traitsISV_E10value_typeET2_T3_PNSW_IS11_E10value_typeET4_jRbjT5_S17_jjP12ihipStream_tbEUljE_EEESS_ST_SU_S11_S15_S17_T6_T7_T9_mT8_S19_bDpT10_ENKUlT_T0_E_clISt17integral_constantIbLb0EES1M_EEDaS1H_S1I_EUlS1H_E_NS1_11comp_targetILNS1_3genE9ELNS1_11target_archE1100ELNS1_3gpuE3ELNS1_3repE0EEENS1_30default_config_static_selectorELNS0_4arch9wavefront6targetE1EEEvSV_
	.p2align	8
	.type	_ZN7rocprim17ROCPRIM_400000_NS6detail17trampoline_kernelINS0_13select_configILj256ELj13ELNS0_17block_load_methodE3ELS4_3ELS4_3ELNS0_20block_scan_algorithmE0ELj4294967295EEENS1_25partition_config_selectorILNS1_17partition_subalgoE3EjNS0_10empty_typeEbEEZZNS1_14partition_implILS8_3ELb0ES6_jNS0_17counting_iteratorIjlEEPS9_SE_NS0_5tupleIJPjSE_EEENSF_IJSE_SE_EEES9_SG_JZNS1_25segmented_radix_sort_implINS0_14default_configELb1EPKlPlSM_SN_N2at6native12_GLOBAL__N_18offset_tEEE10hipError_tPvRmT1_PNSt15iterator_traitsISV_E10value_typeET2_T3_PNSW_IS11_E10value_typeET4_jRbjT5_S17_jjP12ihipStream_tbEUljE_EEESS_ST_SU_S11_S15_S17_T6_T7_T9_mT8_S19_bDpT10_ENKUlT_T0_E_clISt17integral_constantIbLb0EES1M_EEDaS1H_S1I_EUlS1H_E_NS1_11comp_targetILNS1_3genE9ELNS1_11target_archE1100ELNS1_3gpuE3ELNS1_3repE0EEENS1_30default_config_static_selectorELNS0_4arch9wavefront6targetE1EEEvSV_,@function
_ZN7rocprim17ROCPRIM_400000_NS6detail17trampoline_kernelINS0_13select_configILj256ELj13ELNS0_17block_load_methodE3ELS4_3ELS4_3ELNS0_20block_scan_algorithmE0ELj4294967295EEENS1_25partition_config_selectorILNS1_17partition_subalgoE3EjNS0_10empty_typeEbEEZZNS1_14partition_implILS8_3ELb0ES6_jNS0_17counting_iteratorIjlEEPS9_SE_NS0_5tupleIJPjSE_EEENSF_IJSE_SE_EEES9_SG_JZNS1_25segmented_radix_sort_implINS0_14default_configELb1EPKlPlSM_SN_N2at6native12_GLOBAL__N_18offset_tEEE10hipError_tPvRmT1_PNSt15iterator_traitsISV_E10value_typeET2_T3_PNSW_IS11_E10value_typeET4_jRbjT5_S17_jjP12ihipStream_tbEUljE_EEESS_ST_SU_S11_S15_S17_T6_T7_T9_mT8_S19_bDpT10_ENKUlT_T0_E_clISt17integral_constantIbLb0EES1M_EEDaS1H_S1I_EUlS1H_E_NS1_11comp_targetILNS1_3genE9ELNS1_11target_archE1100ELNS1_3gpuE3ELNS1_3repE0EEENS1_30default_config_static_selectorELNS0_4arch9wavefront6targetE1EEEvSV_: ; @_ZN7rocprim17ROCPRIM_400000_NS6detail17trampoline_kernelINS0_13select_configILj256ELj13ELNS0_17block_load_methodE3ELS4_3ELS4_3ELNS0_20block_scan_algorithmE0ELj4294967295EEENS1_25partition_config_selectorILNS1_17partition_subalgoE3EjNS0_10empty_typeEbEEZZNS1_14partition_implILS8_3ELb0ES6_jNS0_17counting_iteratorIjlEEPS9_SE_NS0_5tupleIJPjSE_EEENSF_IJSE_SE_EEES9_SG_JZNS1_25segmented_radix_sort_implINS0_14default_configELb1EPKlPlSM_SN_N2at6native12_GLOBAL__N_18offset_tEEE10hipError_tPvRmT1_PNSt15iterator_traitsISV_E10value_typeET2_T3_PNSW_IS11_E10value_typeET4_jRbjT5_S17_jjP12ihipStream_tbEUljE_EEESS_ST_SU_S11_S15_S17_T6_T7_T9_mT8_S19_bDpT10_ENKUlT_T0_E_clISt17integral_constantIbLb0EES1M_EEDaS1H_S1I_EUlS1H_E_NS1_11comp_targetILNS1_3genE9ELNS1_11target_archE1100ELNS1_3gpuE3ELNS1_3repE0EEENS1_30default_config_static_selectorELNS0_4arch9wavefront6targetE1EEEvSV_
; %bb.0:
	.section	.rodata,"a",@progbits
	.p2align	6, 0x0
	.amdhsa_kernel _ZN7rocprim17ROCPRIM_400000_NS6detail17trampoline_kernelINS0_13select_configILj256ELj13ELNS0_17block_load_methodE3ELS4_3ELS4_3ELNS0_20block_scan_algorithmE0ELj4294967295EEENS1_25partition_config_selectorILNS1_17partition_subalgoE3EjNS0_10empty_typeEbEEZZNS1_14partition_implILS8_3ELb0ES6_jNS0_17counting_iteratorIjlEEPS9_SE_NS0_5tupleIJPjSE_EEENSF_IJSE_SE_EEES9_SG_JZNS1_25segmented_radix_sort_implINS0_14default_configELb1EPKlPlSM_SN_N2at6native12_GLOBAL__N_18offset_tEEE10hipError_tPvRmT1_PNSt15iterator_traitsISV_E10value_typeET2_T3_PNSW_IS11_E10value_typeET4_jRbjT5_S17_jjP12ihipStream_tbEUljE_EEESS_ST_SU_S11_S15_S17_T6_T7_T9_mT8_S19_bDpT10_ENKUlT_T0_E_clISt17integral_constantIbLb0EES1M_EEDaS1H_S1I_EUlS1H_E_NS1_11comp_targetILNS1_3genE9ELNS1_11target_archE1100ELNS1_3gpuE3ELNS1_3repE0EEENS1_30default_config_static_selectorELNS0_4arch9wavefront6targetE1EEEvSV_
		.amdhsa_group_segment_fixed_size 0
		.amdhsa_private_segment_fixed_size 0
		.amdhsa_kernarg_size 144
		.amdhsa_user_sgpr_count 6
		.amdhsa_user_sgpr_private_segment_buffer 1
		.amdhsa_user_sgpr_dispatch_ptr 0
		.amdhsa_user_sgpr_queue_ptr 0
		.amdhsa_user_sgpr_kernarg_segment_ptr 1
		.amdhsa_user_sgpr_dispatch_id 0
		.amdhsa_user_sgpr_flat_scratch_init 0
		.amdhsa_user_sgpr_private_segment_size 0
		.amdhsa_uses_dynamic_stack 0
		.amdhsa_system_sgpr_private_segment_wavefront_offset 0
		.amdhsa_system_sgpr_workgroup_id_x 1
		.amdhsa_system_sgpr_workgroup_id_y 0
		.amdhsa_system_sgpr_workgroup_id_z 0
		.amdhsa_system_sgpr_workgroup_info 0
		.amdhsa_system_vgpr_workitem_id 0
		.amdhsa_next_free_vgpr 1
		.amdhsa_next_free_sgpr 0
		.amdhsa_reserve_vcc 0
		.amdhsa_reserve_flat_scratch 0
		.amdhsa_float_round_mode_32 0
		.amdhsa_float_round_mode_16_64 0
		.amdhsa_float_denorm_mode_32 3
		.amdhsa_float_denorm_mode_16_64 3
		.amdhsa_dx10_clamp 1
		.amdhsa_ieee_mode 1
		.amdhsa_fp16_overflow 0
		.amdhsa_exception_fp_ieee_invalid_op 0
		.amdhsa_exception_fp_denorm_src 0
		.amdhsa_exception_fp_ieee_div_zero 0
		.amdhsa_exception_fp_ieee_overflow 0
		.amdhsa_exception_fp_ieee_underflow 0
		.amdhsa_exception_fp_ieee_inexact 0
		.amdhsa_exception_int_div_zero 0
	.end_amdhsa_kernel
	.section	.text._ZN7rocprim17ROCPRIM_400000_NS6detail17trampoline_kernelINS0_13select_configILj256ELj13ELNS0_17block_load_methodE3ELS4_3ELS4_3ELNS0_20block_scan_algorithmE0ELj4294967295EEENS1_25partition_config_selectorILNS1_17partition_subalgoE3EjNS0_10empty_typeEbEEZZNS1_14partition_implILS8_3ELb0ES6_jNS0_17counting_iteratorIjlEEPS9_SE_NS0_5tupleIJPjSE_EEENSF_IJSE_SE_EEES9_SG_JZNS1_25segmented_radix_sort_implINS0_14default_configELb1EPKlPlSM_SN_N2at6native12_GLOBAL__N_18offset_tEEE10hipError_tPvRmT1_PNSt15iterator_traitsISV_E10value_typeET2_T3_PNSW_IS11_E10value_typeET4_jRbjT5_S17_jjP12ihipStream_tbEUljE_EEESS_ST_SU_S11_S15_S17_T6_T7_T9_mT8_S19_bDpT10_ENKUlT_T0_E_clISt17integral_constantIbLb0EES1M_EEDaS1H_S1I_EUlS1H_E_NS1_11comp_targetILNS1_3genE9ELNS1_11target_archE1100ELNS1_3gpuE3ELNS1_3repE0EEENS1_30default_config_static_selectorELNS0_4arch9wavefront6targetE1EEEvSV_,"axG",@progbits,_ZN7rocprim17ROCPRIM_400000_NS6detail17trampoline_kernelINS0_13select_configILj256ELj13ELNS0_17block_load_methodE3ELS4_3ELS4_3ELNS0_20block_scan_algorithmE0ELj4294967295EEENS1_25partition_config_selectorILNS1_17partition_subalgoE3EjNS0_10empty_typeEbEEZZNS1_14partition_implILS8_3ELb0ES6_jNS0_17counting_iteratorIjlEEPS9_SE_NS0_5tupleIJPjSE_EEENSF_IJSE_SE_EEES9_SG_JZNS1_25segmented_radix_sort_implINS0_14default_configELb1EPKlPlSM_SN_N2at6native12_GLOBAL__N_18offset_tEEE10hipError_tPvRmT1_PNSt15iterator_traitsISV_E10value_typeET2_T3_PNSW_IS11_E10value_typeET4_jRbjT5_S17_jjP12ihipStream_tbEUljE_EEESS_ST_SU_S11_S15_S17_T6_T7_T9_mT8_S19_bDpT10_ENKUlT_T0_E_clISt17integral_constantIbLb0EES1M_EEDaS1H_S1I_EUlS1H_E_NS1_11comp_targetILNS1_3genE9ELNS1_11target_archE1100ELNS1_3gpuE3ELNS1_3repE0EEENS1_30default_config_static_selectorELNS0_4arch9wavefront6targetE1EEEvSV_,comdat
.Lfunc_end678:
	.size	_ZN7rocprim17ROCPRIM_400000_NS6detail17trampoline_kernelINS0_13select_configILj256ELj13ELNS0_17block_load_methodE3ELS4_3ELS4_3ELNS0_20block_scan_algorithmE0ELj4294967295EEENS1_25partition_config_selectorILNS1_17partition_subalgoE3EjNS0_10empty_typeEbEEZZNS1_14partition_implILS8_3ELb0ES6_jNS0_17counting_iteratorIjlEEPS9_SE_NS0_5tupleIJPjSE_EEENSF_IJSE_SE_EEES9_SG_JZNS1_25segmented_radix_sort_implINS0_14default_configELb1EPKlPlSM_SN_N2at6native12_GLOBAL__N_18offset_tEEE10hipError_tPvRmT1_PNSt15iterator_traitsISV_E10value_typeET2_T3_PNSW_IS11_E10value_typeET4_jRbjT5_S17_jjP12ihipStream_tbEUljE_EEESS_ST_SU_S11_S15_S17_T6_T7_T9_mT8_S19_bDpT10_ENKUlT_T0_E_clISt17integral_constantIbLb0EES1M_EEDaS1H_S1I_EUlS1H_E_NS1_11comp_targetILNS1_3genE9ELNS1_11target_archE1100ELNS1_3gpuE3ELNS1_3repE0EEENS1_30default_config_static_selectorELNS0_4arch9wavefront6targetE1EEEvSV_, .Lfunc_end678-_ZN7rocprim17ROCPRIM_400000_NS6detail17trampoline_kernelINS0_13select_configILj256ELj13ELNS0_17block_load_methodE3ELS4_3ELS4_3ELNS0_20block_scan_algorithmE0ELj4294967295EEENS1_25partition_config_selectorILNS1_17partition_subalgoE3EjNS0_10empty_typeEbEEZZNS1_14partition_implILS8_3ELb0ES6_jNS0_17counting_iteratorIjlEEPS9_SE_NS0_5tupleIJPjSE_EEENSF_IJSE_SE_EEES9_SG_JZNS1_25segmented_radix_sort_implINS0_14default_configELb1EPKlPlSM_SN_N2at6native12_GLOBAL__N_18offset_tEEE10hipError_tPvRmT1_PNSt15iterator_traitsISV_E10value_typeET2_T3_PNSW_IS11_E10value_typeET4_jRbjT5_S17_jjP12ihipStream_tbEUljE_EEESS_ST_SU_S11_S15_S17_T6_T7_T9_mT8_S19_bDpT10_ENKUlT_T0_E_clISt17integral_constantIbLb0EES1M_EEDaS1H_S1I_EUlS1H_E_NS1_11comp_targetILNS1_3genE9ELNS1_11target_archE1100ELNS1_3gpuE3ELNS1_3repE0EEENS1_30default_config_static_selectorELNS0_4arch9wavefront6targetE1EEEvSV_
                                        ; -- End function
	.set _ZN7rocprim17ROCPRIM_400000_NS6detail17trampoline_kernelINS0_13select_configILj256ELj13ELNS0_17block_load_methodE3ELS4_3ELS4_3ELNS0_20block_scan_algorithmE0ELj4294967295EEENS1_25partition_config_selectorILNS1_17partition_subalgoE3EjNS0_10empty_typeEbEEZZNS1_14partition_implILS8_3ELb0ES6_jNS0_17counting_iteratorIjlEEPS9_SE_NS0_5tupleIJPjSE_EEENSF_IJSE_SE_EEES9_SG_JZNS1_25segmented_radix_sort_implINS0_14default_configELb1EPKlPlSM_SN_N2at6native12_GLOBAL__N_18offset_tEEE10hipError_tPvRmT1_PNSt15iterator_traitsISV_E10value_typeET2_T3_PNSW_IS11_E10value_typeET4_jRbjT5_S17_jjP12ihipStream_tbEUljE_EEESS_ST_SU_S11_S15_S17_T6_T7_T9_mT8_S19_bDpT10_ENKUlT_T0_E_clISt17integral_constantIbLb0EES1M_EEDaS1H_S1I_EUlS1H_E_NS1_11comp_targetILNS1_3genE9ELNS1_11target_archE1100ELNS1_3gpuE3ELNS1_3repE0EEENS1_30default_config_static_selectorELNS0_4arch9wavefront6targetE1EEEvSV_.num_vgpr, 0
	.set _ZN7rocprim17ROCPRIM_400000_NS6detail17trampoline_kernelINS0_13select_configILj256ELj13ELNS0_17block_load_methodE3ELS4_3ELS4_3ELNS0_20block_scan_algorithmE0ELj4294967295EEENS1_25partition_config_selectorILNS1_17partition_subalgoE3EjNS0_10empty_typeEbEEZZNS1_14partition_implILS8_3ELb0ES6_jNS0_17counting_iteratorIjlEEPS9_SE_NS0_5tupleIJPjSE_EEENSF_IJSE_SE_EEES9_SG_JZNS1_25segmented_radix_sort_implINS0_14default_configELb1EPKlPlSM_SN_N2at6native12_GLOBAL__N_18offset_tEEE10hipError_tPvRmT1_PNSt15iterator_traitsISV_E10value_typeET2_T3_PNSW_IS11_E10value_typeET4_jRbjT5_S17_jjP12ihipStream_tbEUljE_EEESS_ST_SU_S11_S15_S17_T6_T7_T9_mT8_S19_bDpT10_ENKUlT_T0_E_clISt17integral_constantIbLb0EES1M_EEDaS1H_S1I_EUlS1H_E_NS1_11comp_targetILNS1_3genE9ELNS1_11target_archE1100ELNS1_3gpuE3ELNS1_3repE0EEENS1_30default_config_static_selectorELNS0_4arch9wavefront6targetE1EEEvSV_.num_agpr, 0
	.set _ZN7rocprim17ROCPRIM_400000_NS6detail17trampoline_kernelINS0_13select_configILj256ELj13ELNS0_17block_load_methodE3ELS4_3ELS4_3ELNS0_20block_scan_algorithmE0ELj4294967295EEENS1_25partition_config_selectorILNS1_17partition_subalgoE3EjNS0_10empty_typeEbEEZZNS1_14partition_implILS8_3ELb0ES6_jNS0_17counting_iteratorIjlEEPS9_SE_NS0_5tupleIJPjSE_EEENSF_IJSE_SE_EEES9_SG_JZNS1_25segmented_radix_sort_implINS0_14default_configELb1EPKlPlSM_SN_N2at6native12_GLOBAL__N_18offset_tEEE10hipError_tPvRmT1_PNSt15iterator_traitsISV_E10value_typeET2_T3_PNSW_IS11_E10value_typeET4_jRbjT5_S17_jjP12ihipStream_tbEUljE_EEESS_ST_SU_S11_S15_S17_T6_T7_T9_mT8_S19_bDpT10_ENKUlT_T0_E_clISt17integral_constantIbLb0EES1M_EEDaS1H_S1I_EUlS1H_E_NS1_11comp_targetILNS1_3genE9ELNS1_11target_archE1100ELNS1_3gpuE3ELNS1_3repE0EEENS1_30default_config_static_selectorELNS0_4arch9wavefront6targetE1EEEvSV_.numbered_sgpr, 0
	.set _ZN7rocprim17ROCPRIM_400000_NS6detail17trampoline_kernelINS0_13select_configILj256ELj13ELNS0_17block_load_methodE3ELS4_3ELS4_3ELNS0_20block_scan_algorithmE0ELj4294967295EEENS1_25partition_config_selectorILNS1_17partition_subalgoE3EjNS0_10empty_typeEbEEZZNS1_14partition_implILS8_3ELb0ES6_jNS0_17counting_iteratorIjlEEPS9_SE_NS0_5tupleIJPjSE_EEENSF_IJSE_SE_EEES9_SG_JZNS1_25segmented_radix_sort_implINS0_14default_configELb1EPKlPlSM_SN_N2at6native12_GLOBAL__N_18offset_tEEE10hipError_tPvRmT1_PNSt15iterator_traitsISV_E10value_typeET2_T3_PNSW_IS11_E10value_typeET4_jRbjT5_S17_jjP12ihipStream_tbEUljE_EEESS_ST_SU_S11_S15_S17_T6_T7_T9_mT8_S19_bDpT10_ENKUlT_T0_E_clISt17integral_constantIbLb0EES1M_EEDaS1H_S1I_EUlS1H_E_NS1_11comp_targetILNS1_3genE9ELNS1_11target_archE1100ELNS1_3gpuE3ELNS1_3repE0EEENS1_30default_config_static_selectorELNS0_4arch9wavefront6targetE1EEEvSV_.num_named_barrier, 0
	.set _ZN7rocprim17ROCPRIM_400000_NS6detail17trampoline_kernelINS0_13select_configILj256ELj13ELNS0_17block_load_methodE3ELS4_3ELS4_3ELNS0_20block_scan_algorithmE0ELj4294967295EEENS1_25partition_config_selectorILNS1_17partition_subalgoE3EjNS0_10empty_typeEbEEZZNS1_14partition_implILS8_3ELb0ES6_jNS0_17counting_iteratorIjlEEPS9_SE_NS0_5tupleIJPjSE_EEENSF_IJSE_SE_EEES9_SG_JZNS1_25segmented_radix_sort_implINS0_14default_configELb1EPKlPlSM_SN_N2at6native12_GLOBAL__N_18offset_tEEE10hipError_tPvRmT1_PNSt15iterator_traitsISV_E10value_typeET2_T3_PNSW_IS11_E10value_typeET4_jRbjT5_S17_jjP12ihipStream_tbEUljE_EEESS_ST_SU_S11_S15_S17_T6_T7_T9_mT8_S19_bDpT10_ENKUlT_T0_E_clISt17integral_constantIbLb0EES1M_EEDaS1H_S1I_EUlS1H_E_NS1_11comp_targetILNS1_3genE9ELNS1_11target_archE1100ELNS1_3gpuE3ELNS1_3repE0EEENS1_30default_config_static_selectorELNS0_4arch9wavefront6targetE1EEEvSV_.private_seg_size, 0
	.set _ZN7rocprim17ROCPRIM_400000_NS6detail17trampoline_kernelINS0_13select_configILj256ELj13ELNS0_17block_load_methodE3ELS4_3ELS4_3ELNS0_20block_scan_algorithmE0ELj4294967295EEENS1_25partition_config_selectorILNS1_17partition_subalgoE3EjNS0_10empty_typeEbEEZZNS1_14partition_implILS8_3ELb0ES6_jNS0_17counting_iteratorIjlEEPS9_SE_NS0_5tupleIJPjSE_EEENSF_IJSE_SE_EEES9_SG_JZNS1_25segmented_radix_sort_implINS0_14default_configELb1EPKlPlSM_SN_N2at6native12_GLOBAL__N_18offset_tEEE10hipError_tPvRmT1_PNSt15iterator_traitsISV_E10value_typeET2_T3_PNSW_IS11_E10value_typeET4_jRbjT5_S17_jjP12ihipStream_tbEUljE_EEESS_ST_SU_S11_S15_S17_T6_T7_T9_mT8_S19_bDpT10_ENKUlT_T0_E_clISt17integral_constantIbLb0EES1M_EEDaS1H_S1I_EUlS1H_E_NS1_11comp_targetILNS1_3genE9ELNS1_11target_archE1100ELNS1_3gpuE3ELNS1_3repE0EEENS1_30default_config_static_selectorELNS0_4arch9wavefront6targetE1EEEvSV_.uses_vcc, 0
	.set _ZN7rocprim17ROCPRIM_400000_NS6detail17trampoline_kernelINS0_13select_configILj256ELj13ELNS0_17block_load_methodE3ELS4_3ELS4_3ELNS0_20block_scan_algorithmE0ELj4294967295EEENS1_25partition_config_selectorILNS1_17partition_subalgoE3EjNS0_10empty_typeEbEEZZNS1_14partition_implILS8_3ELb0ES6_jNS0_17counting_iteratorIjlEEPS9_SE_NS0_5tupleIJPjSE_EEENSF_IJSE_SE_EEES9_SG_JZNS1_25segmented_radix_sort_implINS0_14default_configELb1EPKlPlSM_SN_N2at6native12_GLOBAL__N_18offset_tEEE10hipError_tPvRmT1_PNSt15iterator_traitsISV_E10value_typeET2_T3_PNSW_IS11_E10value_typeET4_jRbjT5_S17_jjP12ihipStream_tbEUljE_EEESS_ST_SU_S11_S15_S17_T6_T7_T9_mT8_S19_bDpT10_ENKUlT_T0_E_clISt17integral_constantIbLb0EES1M_EEDaS1H_S1I_EUlS1H_E_NS1_11comp_targetILNS1_3genE9ELNS1_11target_archE1100ELNS1_3gpuE3ELNS1_3repE0EEENS1_30default_config_static_selectorELNS0_4arch9wavefront6targetE1EEEvSV_.uses_flat_scratch, 0
	.set _ZN7rocprim17ROCPRIM_400000_NS6detail17trampoline_kernelINS0_13select_configILj256ELj13ELNS0_17block_load_methodE3ELS4_3ELS4_3ELNS0_20block_scan_algorithmE0ELj4294967295EEENS1_25partition_config_selectorILNS1_17partition_subalgoE3EjNS0_10empty_typeEbEEZZNS1_14partition_implILS8_3ELb0ES6_jNS0_17counting_iteratorIjlEEPS9_SE_NS0_5tupleIJPjSE_EEENSF_IJSE_SE_EEES9_SG_JZNS1_25segmented_radix_sort_implINS0_14default_configELb1EPKlPlSM_SN_N2at6native12_GLOBAL__N_18offset_tEEE10hipError_tPvRmT1_PNSt15iterator_traitsISV_E10value_typeET2_T3_PNSW_IS11_E10value_typeET4_jRbjT5_S17_jjP12ihipStream_tbEUljE_EEESS_ST_SU_S11_S15_S17_T6_T7_T9_mT8_S19_bDpT10_ENKUlT_T0_E_clISt17integral_constantIbLb0EES1M_EEDaS1H_S1I_EUlS1H_E_NS1_11comp_targetILNS1_3genE9ELNS1_11target_archE1100ELNS1_3gpuE3ELNS1_3repE0EEENS1_30default_config_static_selectorELNS0_4arch9wavefront6targetE1EEEvSV_.has_dyn_sized_stack, 0
	.set _ZN7rocprim17ROCPRIM_400000_NS6detail17trampoline_kernelINS0_13select_configILj256ELj13ELNS0_17block_load_methodE3ELS4_3ELS4_3ELNS0_20block_scan_algorithmE0ELj4294967295EEENS1_25partition_config_selectorILNS1_17partition_subalgoE3EjNS0_10empty_typeEbEEZZNS1_14partition_implILS8_3ELb0ES6_jNS0_17counting_iteratorIjlEEPS9_SE_NS0_5tupleIJPjSE_EEENSF_IJSE_SE_EEES9_SG_JZNS1_25segmented_radix_sort_implINS0_14default_configELb1EPKlPlSM_SN_N2at6native12_GLOBAL__N_18offset_tEEE10hipError_tPvRmT1_PNSt15iterator_traitsISV_E10value_typeET2_T3_PNSW_IS11_E10value_typeET4_jRbjT5_S17_jjP12ihipStream_tbEUljE_EEESS_ST_SU_S11_S15_S17_T6_T7_T9_mT8_S19_bDpT10_ENKUlT_T0_E_clISt17integral_constantIbLb0EES1M_EEDaS1H_S1I_EUlS1H_E_NS1_11comp_targetILNS1_3genE9ELNS1_11target_archE1100ELNS1_3gpuE3ELNS1_3repE0EEENS1_30default_config_static_selectorELNS0_4arch9wavefront6targetE1EEEvSV_.has_recursion, 0
	.set _ZN7rocprim17ROCPRIM_400000_NS6detail17trampoline_kernelINS0_13select_configILj256ELj13ELNS0_17block_load_methodE3ELS4_3ELS4_3ELNS0_20block_scan_algorithmE0ELj4294967295EEENS1_25partition_config_selectorILNS1_17partition_subalgoE3EjNS0_10empty_typeEbEEZZNS1_14partition_implILS8_3ELb0ES6_jNS0_17counting_iteratorIjlEEPS9_SE_NS0_5tupleIJPjSE_EEENSF_IJSE_SE_EEES9_SG_JZNS1_25segmented_radix_sort_implINS0_14default_configELb1EPKlPlSM_SN_N2at6native12_GLOBAL__N_18offset_tEEE10hipError_tPvRmT1_PNSt15iterator_traitsISV_E10value_typeET2_T3_PNSW_IS11_E10value_typeET4_jRbjT5_S17_jjP12ihipStream_tbEUljE_EEESS_ST_SU_S11_S15_S17_T6_T7_T9_mT8_S19_bDpT10_ENKUlT_T0_E_clISt17integral_constantIbLb0EES1M_EEDaS1H_S1I_EUlS1H_E_NS1_11comp_targetILNS1_3genE9ELNS1_11target_archE1100ELNS1_3gpuE3ELNS1_3repE0EEENS1_30default_config_static_selectorELNS0_4arch9wavefront6targetE1EEEvSV_.has_indirect_call, 0
	.section	.AMDGPU.csdata,"",@progbits
; Kernel info:
; codeLenInByte = 0
; TotalNumSgprs: 4
; NumVgprs: 0
; ScratchSize: 0
; MemoryBound: 0
; FloatMode: 240
; IeeeMode: 1
; LDSByteSize: 0 bytes/workgroup (compile time only)
; SGPRBlocks: 0
; VGPRBlocks: 0
; NumSGPRsForWavesPerEU: 4
; NumVGPRsForWavesPerEU: 1
; Occupancy: 10
; WaveLimiterHint : 0
; COMPUTE_PGM_RSRC2:SCRATCH_EN: 0
; COMPUTE_PGM_RSRC2:USER_SGPR: 6
; COMPUTE_PGM_RSRC2:TRAP_HANDLER: 0
; COMPUTE_PGM_RSRC2:TGID_X_EN: 1
; COMPUTE_PGM_RSRC2:TGID_Y_EN: 0
; COMPUTE_PGM_RSRC2:TGID_Z_EN: 0
; COMPUTE_PGM_RSRC2:TIDIG_COMP_CNT: 0
	.section	.text._ZN7rocprim17ROCPRIM_400000_NS6detail17trampoline_kernelINS0_13select_configILj256ELj13ELNS0_17block_load_methodE3ELS4_3ELS4_3ELNS0_20block_scan_algorithmE0ELj4294967295EEENS1_25partition_config_selectorILNS1_17partition_subalgoE3EjNS0_10empty_typeEbEEZZNS1_14partition_implILS8_3ELb0ES6_jNS0_17counting_iteratorIjlEEPS9_SE_NS0_5tupleIJPjSE_EEENSF_IJSE_SE_EEES9_SG_JZNS1_25segmented_radix_sort_implINS0_14default_configELb1EPKlPlSM_SN_N2at6native12_GLOBAL__N_18offset_tEEE10hipError_tPvRmT1_PNSt15iterator_traitsISV_E10value_typeET2_T3_PNSW_IS11_E10value_typeET4_jRbjT5_S17_jjP12ihipStream_tbEUljE_EEESS_ST_SU_S11_S15_S17_T6_T7_T9_mT8_S19_bDpT10_ENKUlT_T0_E_clISt17integral_constantIbLb0EES1M_EEDaS1H_S1I_EUlS1H_E_NS1_11comp_targetILNS1_3genE8ELNS1_11target_archE1030ELNS1_3gpuE2ELNS1_3repE0EEENS1_30default_config_static_selectorELNS0_4arch9wavefront6targetE1EEEvSV_,"axG",@progbits,_ZN7rocprim17ROCPRIM_400000_NS6detail17trampoline_kernelINS0_13select_configILj256ELj13ELNS0_17block_load_methodE3ELS4_3ELS4_3ELNS0_20block_scan_algorithmE0ELj4294967295EEENS1_25partition_config_selectorILNS1_17partition_subalgoE3EjNS0_10empty_typeEbEEZZNS1_14partition_implILS8_3ELb0ES6_jNS0_17counting_iteratorIjlEEPS9_SE_NS0_5tupleIJPjSE_EEENSF_IJSE_SE_EEES9_SG_JZNS1_25segmented_radix_sort_implINS0_14default_configELb1EPKlPlSM_SN_N2at6native12_GLOBAL__N_18offset_tEEE10hipError_tPvRmT1_PNSt15iterator_traitsISV_E10value_typeET2_T3_PNSW_IS11_E10value_typeET4_jRbjT5_S17_jjP12ihipStream_tbEUljE_EEESS_ST_SU_S11_S15_S17_T6_T7_T9_mT8_S19_bDpT10_ENKUlT_T0_E_clISt17integral_constantIbLb0EES1M_EEDaS1H_S1I_EUlS1H_E_NS1_11comp_targetILNS1_3genE8ELNS1_11target_archE1030ELNS1_3gpuE2ELNS1_3repE0EEENS1_30default_config_static_selectorELNS0_4arch9wavefront6targetE1EEEvSV_,comdat
	.globl	_ZN7rocprim17ROCPRIM_400000_NS6detail17trampoline_kernelINS0_13select_configILj256ELj13ELNS0_17block_load_methodE3ELS4_3ELS4_3ELNS0_20block_scan_algorithmE0ELj4294967295EEENS1_25partition_config_selectorILNS1_17partition_subalgoE3EjNS0_10empty_typeEbEEZZNS1_14partition_implILS8_3ELb0ES6_jNS0_17counting_iteratorIjlEEPS9_SE_NS0_5tupleIJPjSE_EEENSF_IJSE_SE_EEES9_SG_JZNS1_25segmented_radix_sort_implINS0_14default_configELb1EPKlPlSM_SN_N2at6native12_GLOBAL__N_18offset_tEEE10hipError_tPvRmT1_PNSt15iterator_traitsISV_E10value_typeET2_T3_PNSW_IS11_E10value_typeET4_jRbjT5_S17_jjP12ihipStream_tbEUljE_EEESS_ST_SU_S11_S15_S17_T6_T7_T9_mT8_S19_bDpT10_ENKUlT_T0_E_clISt17integral_constantIbLb0EES1M_EEDaS1H_S1I_EUlS1H_E_NS1_11comp_targetILNS1_3genE8ELNS1_11target_archE1030ELNS1_3gpuE2ELNS1_3repE0EEENS1_30default_config_static_selectorELNS0_4arch9wavefront6targetE1EEEvSV_ ; -- Begin function _ZN7rocprim17ROCPRIM_400000_NS6detail17trampoline_kernelINS0_13select_configILj256ELj13ELNS0_17block_load_methodE3ELS4_3ELS4_3ELNS0_20block_scan_algorithmE0ELj4294967295EEENS1_25partition_config_selectorILNS1_17partition_subalgoE3EjNS0_10empty_typeEbEEZZNS1_14partition_implILS8_3ELb0ES6_jNS0_17counting_iteratorIjlEEPS9_SE_NS0_5tupleIJPjSE_EEENSF_IJSE_SE_EEES9_SG_JZNS1_25segmented_radix_sort_implINS0_14default_configELb1EPKlPlSM_SN_N2at6native12_GLOBAL__N_18offset_tEEE10hipError_tPvRmT1_PNSt15iterator_traitsISV_E10value_typeET2_T3_PNSW_IS11_E10value_typeET4_jRbjT5_S17_jjP12ihipStream_tbEUljE_EEESS_ST_SU_S11_S15_S17_T6_T7_T9_mT8_S19_bDpT10_ENKUlT_T0_E_clISt17integral_constantIbLb0EES1M_EEDaS1H_S1I_EUlS1H_E_NS1_11comp_targetILNS1_3genE8ELNS1_11target_archE1030ELNS1_3gpuE2ELNS1_3repE0EEENS1_30default_config_static_selectorELNS0_4arch9wavefront6targetE1EEEvSV_
	.p2align	8
	.type	_ZN7rocprim17ROCPRIM_400000_NS6detail17trampoline_kernelINS0_13select_configILj256ELj13ELNS0_17block_load_methodE3ELS4_3ELS4_3ELNS0_20block_scan_algorithmE0ELj4294967295EEENS1_25partition_config_selectorILNS1_17partition_subalgoE3EjNS0_10empty_typeEbEEZZNS1_14partition_implILS8_3ELb0ES6_jNS0_17counting_iteratorIjlEEPS9_SE_NS0_5tupleIJPjSE_EEENSF_IJSE_SE_EEES9_SG_JZNS1_25segmented_radix_sort_implINS0_14default_configELb1EPKlPlSM_SN_N2at6native12_GLOBAL__N_18offset_tEEE10hipError_tPvRmT1_PNSt15iterator_traitsISV_E10value_typeET2_T3_PNSW_IS11_E10value_typeET4_jRbjT5_S17_jjP12ihipStream_tbEUljE_EEESS_ST_SU_S11_S15_S17_T6_T7_T9_mT8_S19_bDpT10_ENKUlT_T0_E_clISt17integral_constantIbLb0EES1M_EEDaS1H_S1I_EUlS1H_E_NS1_11comp_targetILNS1_3genE8ELNS1_11target_archE1030ELNS1_3gpuE2ELNS1_3repE0EEENS1_30default_config_static_selectorELNS0_4arch9wavefront6targetE1EEEvSV_,@function
_ZN7rocprim17ROCPRIM_400000_NS6detail17trampoline_kernelINS0_13select_configILj256ELj13ELNS0_17block_load_methodE3ELS4_3ELS4_3ELNS0_20block_scan_algorithmE0ELj4294967295EEENS1_25partition_config_selectorILNS1_17partition_subalgoE3EjNS0_10empty_typeEbEEZZNS1_14partition_implILS8_3ELb0ES6_jNS0_17counting_iteratorIjlEEPS9_SE_NS0_5tupleIJPjSE_EEENSF_IJSE_SE_EEES9_SG_JZNS1_25segmented_radix_sort_implINS0_14default_configELb1EPKlPlSM_SN_N2at6native12_GLOBAL__N_18offset_tEEE10hipError_tPvRmT1_PNSt15iterator_traitsISV_E10value_typeET2_T3_PNSW_IS11_E10value_typeET4_jRbjT5_S17_jjP12ihipStream_tbEUljE_EEESS_ST_SU_S11_S15_S17_T6_T7_T9_mT8_S19_bDpT10_ENKUlT_T0_E_clISt17integral_constantIbLb0EES1M_EEDaS1H_S1I_EUlS1H_E_NS1_11comp_targetILNS1_3genE8ELNS1_11target_archE1030ELNS1_3gpuE2ELNS1_3repE0EEENS1_30default_config_static_selectorELNS0_4arch9wavefront6targetE1EEEvSV_: ; @_ZN7rocprim17ROCPRIM_400000_NS6detail17trampoline_kernelINS0_13select_configILj256ELj13ELNS0_17block_load_methodE3ELS4_3ELS4_3ELNS0_20block_scan_algorithmE0ELj4294967295EEENS1_25partition_config_selectorILNS1_17partition_subalgoE3EjNS0_10empty_typeEbEEZZNS1_14partition_implILS8_3ELb0ES6_jNS0_17counting_iteratorIjlEEPS9_SE_NS0_5tupleIJPjSE_EEENSF_IJSE_SE_EEES9_SG_JZNS1_25segmented_radix_sort_implINS0_14default_configELb1EPKlPlSM_SN_N2at6native12_GLOBAL__N_18offset_tEEE10hipError_tPvRmT1_PNSt15iterator_traitsISV_E10value_typeET2_T3_PNSW_IS11_E10value_typeET4_jRbjT5_S17_jjP12ihipStream_tbEUljE_EEESS_ST_SU_S11_S15_S17_T6_T7_T9_mT8_S19_bDpT10_ENKUlT_T0_E_clISt17integral_constantIbLb0EES1M_EEDaS1H_S1I_EUlS1H_E_NS1_11comp_targetILNS1_3genE8ELNS1_11target_archE1030ELNS1_3gpuE2ELNS1_3repE0EEENS1_30default_config_static_selectorELNS0_4arch9wavefront6targetE1EEEvSV_
; %bb.0:
	.section	.rodata,"a",@progbits
	.p2align	6, 0x0
	.amdhsa_kernel _ZN7rocprim17ROCPRIM_400000_NS6detail17trampoline_kernelINS0_13select_configILj256ELj13ELNS0_17block_load_methodE3ELS4_3ELS4_3ELNS0_20block_scan_algorithmE0ELj4294967295EEENS1_25partition_config_selectorILNS1_17partition_subalgoE3EjNS0_10empty_typeEbEEZZNS1_14partition_implILS8_3ELb0ES6_jNS0_17counting_iteratorIjlEEPS9_SE_NS0_5tupleIJPjSE_EEENSF_IJSE_SE_EEES9_SG_JZNS1_25segmented_radix_sort_implINS0_14default_configELb1EPKlPlSM_SN_N2at6native12_GLOBAL__N_18offset_tEEE10hipError_tPvRmT1_PNSt15iterator_traitsISV_E10value_typeET2_T3_PNSW_IS11_E10value_typeET4_jRbjT5_S17_jjP12ihipStream_tbEUljE_EEESS_ST_SU_S11_S15_S17_T6_T7_T9_mT8_S19_bDpT10_ENKUlT_T0_E_clISt17integral_constantIbLb0EES1M_EEDaS1H_S1I_EUlS1H_E_NS1_11comp_targetILNS1_3genE8ELNS1_11target_archE1030ELNS1_3gpuE2ELNS1_3repE0EEENS1_30default_config_static_selectorELNS0_4arch9wavefront6targetE1EEEvSV_
		.amdhsa_group_segment_fixed_size 0
		.amdhsa_private_segment_fixed_size 0
		.amdhsa_kernarg_size 144
		.amdhsa_user_sgpr_count 6
		.amdhsa_user_sgpr_private_segment_buffer 1
		.amdhsa_user_sgpr_dispatch_ptr 0
		.amdhsa_user_sgpr_queue_ptr 0
		.amdhsa_user_sgpr_kernarg_segment_ptr 1
		.amdhsa_user_sgpr_dispatch_id 0
		.amdhsa_user_sgpr_flat_scratch_init 0
		.amdhsa_user_sgpr_private_segment_size 0
		.amdhsa_uses_dynamic_stack 0
		.amdhsa_system_sgpr_private_segment_wavefront_offset 0
		.amdhsa_system_sgpr_workgroup_id_x 1
		.amdhsa_system_sgpr_workgroup_id_y 0
		.amdhsa_system_sgpr_workgroup_id_z 0
		.amdhsa_system_sgpr_workgroup_info 0
		.amdhsa_system_vgpr_workitem_id 0
		.amdhsa_next_free_vgpr 1
		.amdhsa_next_free_sgpr 0
		.amdhsa_reserve_vcc 0
		.amdhsa_reserve_flat_scratch 0
		.amdhsa_float_round_mode_32 0
		.amdhsa_float_round_mode_16_64 0
		.amdhsa_float_denorm_mode_32 3
		.amdhsa_float_denorm_mode_16_64 3
		.amdhsa_dx10_clamp 1
		.amdhsa_ieee_mode 1
		.amdhsa_fp16_overflow 0
		.amdhsa_exception_fp_ieee_invalid_op 0
		.amdhsa_exception_fp_denorm_src 0
		.amdhsa_exception_fp_ieee_div_zero 0
		.amdhsa_exception_fp_ieee_overflow 0
		.amdhsa_exception_fp_ieee_underflow 0
		.amdhsa_exception_fp_ieee_inexact 0
		.amdhsa_exception_int_div_zero 0
	.end_amdhsa_kernel
	.section	.text._ZN7rocprim17ROCPRIM_400000_NS6detail17trampoline_kernelINS0_13select_configILj256ELj13ELNS0_17block_load_methodE3ELS4_3ELS4_3ELNS0_20block_scan_algorithmE0ELj4294967295EEENS1_25partition_config_selectorILNS1_17partition_subalgoE3EjNS0_10empty_typeEbEEZZNS1_14partition_implILS8_3ELb0ES6_jNS0_17counting_iteratorIjlEEPS9_SE_NS0_5tupleIJPjSE_EEENSF_IJSE_SE_EEES9_SG_JZNS1_25segmented_radix_sort_implINS0_14default_configELb1EPKlPlSM_SN_N2at6native12_GLOBAL__N_18offset_tEEE10hipError_tPvRmT1_PNSt15iterator_traitsISV_E10value_typeET2_T3_PNSW_IS11_E10value_typeET4_jRbjT5_S17_jjP12ihipStream_tbEUljE_EEESS_ST_SU_S11_S15_S17_T6_T7_T9_mT8_S19_bDpT10_ENKUlT_T0_E_clISt17integral_constantIbLb0EES1M_EEDaS1H_S1I_EUlS1H_E_NS1_11comp_targetILNS1_3genE8ELNS1_11target_archE1030ELNS1_3gpuE2ELNS1_3repE0EEENS1_30default_config_static_selectorELNS0_4arch9wavefront6targetE1EEEvSV_,"axG",@progbits,_ZN7rocprim17ROCPRIM_400000_NS6detail17trampoline_kernelINS0_13select_configILj256ELj13ELNS0_17block_load_methodE3ELS4_3ELS4_3ELNS0_20block_scan_algorithmE0ELj4294967295EEENS1_25partition_config_selectorILNS1_17partition_subalgoE3EjNS0_10empty_typeEbEEZZNS1_14partition_implILS8_3ELb0ES6_jNS0_17counting_iteratorIjlEEPS9_SE_NS0_5tupleIJPjSE_EEENSF_IJSE_SE_EEES9_SG_JZNS1_25segmented_radix_sort_implINS0_14default_configELb1EPKlPlSM_SN_N2at6native12_GLOBAL__N_18offset_tEEE10hipError_tPvRmT1_PNSt15iterator_traitsISV_E10value_typeET2_T3_PNSW_IS11_E10value_typeET4_jRbjT5_S17_jjP12ihipStream_tbEUljE_EEESS_ST_SU_S11_S15_S17_T6_T7_T9_mT8_S19_bDpT10_ENKUlT_T0_E_clISt17integral_constantIbLb0EES1M_EEDaS1H_S1I_EUlS1H_E_NS1_11comp_targetILNS1_3genE8ELNS1_11target_archE1030ELNS1_3gpuE2ELNS1_3repE0EEENS1_30default_config_static_selectorELNS0_4arch9wavefront6targetE1EEEvSV_,comdat
.Lfunc_end679:
	.size	_ZN7rocprim17ROCPRIM_400000_NS6detail17trampoline_kernelINS0_13select_configILj256ELj13ELNS0_17block_load_methodE3ELS4_3ELS4_3ELNS0_20block_scan_algorithmE0ELj4294967295EEENS1_25partition_config_selectorILNS1_17partition_subalgoE3EjNS0_10empty_typeEbEEZZNS1_14partition_implILS8_3ELb0ES6_jNS0_17counting_iteratorIjlEEPS9_SE_NS0_5tupleIJPjSE_EEENSF_IJSE_SE_EEES9_SG_JZNS1_25segmented_radix_sort_implINS0_14default_configELb1EPKlPlSM_SN_N2at6native12_GLOBAL__N_18offset_tEEE10hipError_tPvRmT1_PNSt15iterator_traitsISV_E10value_typeET2_T3_PNSW_IS11_E10value_typeET4_jRbjT5_S17_jjP12ihipStream_tbEUljE_EEESS_ST_SU_S11_S15_S17_T6_T7_T9_mT8_S19_bDpT10_ENKUlT_T0_E_clISt17integral_constantIbLb0EES1M_EEDaS1H_S1I_EUlS1H_E_NS1_11comp_targetILNS1_3genE8ELNS1_11target_archE1030ELNS1_3gpuE2ELNS1_3repE0EEENS1_30default_config_static_selectorELNS0_4arch9wavefront6targetE1EEEvSV_, .Lfunc_end679-_ZN7rocprim17ROCPRIM_400000_NS6detail17trampoline_kernelINS0_13select_configILj256ELj13ELNS0_17block_load_methodE3ELS4_3ELS4_3ELNS0_20block_scan_algorithmE0ELj4294967295EEENS1_25partition_config_selectorILNS1_17partition_subalgoE3EjNS0_10empty_typeEbEEZZNS1_14partition_implILS8_3ELb0ES6_jNS0_17counting_iteratorIjlEEPS9_SE_NS0_5tupleIJPjSE_EEENSF_IJSE_SE_EEES9_SG_JZNS1_25segmented_radix_sort_implINS0_14default_configELb1EPKlPlSM_SN_N2at6native12_GLOBAL__N_18offset_tEEE10hipError_tPvRmT1_PNSt15iterator_traitsISV_E10value_typeET2_T3_PNSW_IS11_E10value_typeET4_jRbjT5_S17_jjP12ihipStream_tbEUljE_EEESS_ST_SU_S11_S15_S17_T6_T7_T9_mT8_S19_bDpT10_ENKUlT_T0_E_clISt17integral_constantIbLb0EES1M_EEDaS1H_S1I_EUlS1H_E_NS1_11comp_targetILNS1_3genE8ELNS1_11target_archE1030ELNS1_3gpuE2ELNS1_3repE0EEENS1_30default_config_static_selectorELNS0_4arch9wavefront6targetE1EEEvSV_
                                        ; -- End function
	.set _ZN7rocprim17ROCPRIM_400000_NS6detail17trampoline_kernelINS0_13select_configILj256ELj13ELNS0_17block_load_methodE3ELS4_3ELS4_3ELNS0_20block_scan_algorithmE0ELj4294967295EEENS1_25partition_config_selectorILNS1_17partition_subalgoE3EjNS0_10empty_typeEbEEZZNS1_14partition_implILS8_3ELb0ES6_jNS0_17counting_iteratorIjlEEPS9_SE_NS0_5tupleIJPjSE_EEENSF_IJSE_SE_EEES9_SG_JZNS1_25segmented_radix_sort_implINS0_14default_configELb1EPKlPlSM_SN_N2at6native12_GLOBAL__N_18offset_tEEE10hipError_tPvRmT1_PNSt15iterator_traitsISV_E10value_typeET2_T3_PNSW_IS11_E10value_typeET4_jRbjT5_S17_jjP12ihipStream_tbEUljE_EEESS_ST_SU_S11_S15_S17_T6_T7_T9_mT8_S19_bDpT10_ENKUlT_T0_E_clISt17integral_constantIbLb0EES1M_EEDaS1H_S1I_EUlS1H_E_NS1_11comp_targetILNS1_3genE8ELNS1_11target_archE1030ELNS1_3gpuE2ELNS1_3repE0EEENS1_30default_config_static_selectorELNS0_4arch9wavefront6targetE1EEEvSV_.num_vgpr, 0
	.set _ZN7rocprim17ROCPRIM_400000_NS6detail17trampoline_kernelINS0_13select_configILj256ELj13ELNS0_17block_load_methodE3ELS4_3ELS4_3ELNS0_20block_scan_algorithmE0ELj4294967295EEENS1_25partition_config_selectorILNS1_17partition_subalgoE3EjNS0_10empty_typeEbEEZZNS1_14partition_implILS8_3ELb0ES6_jNS0_17counting_iteratorIjlEEPS9_SE_NS0_5tupleIJPjSE_EEENSF_IJSE_SE_EEES9_SG_JZNS1_25segmented_radix_sort_implINS0_14default_configELb1EPKlPlSM_SN_N2at6native12_GLOBAL__N_18offset_tEEE10hipError_tPvRmT1_PNSt15iterator_traitsISV_E10value_typeET2_T3_PNSW_IS11_E10value_typeET4_jRbjT5_S17_jjP12ihipStream_tbEUljE_EEESS_ST_SU_S11_S15_S17_T6_T7_T9_mT8_S19_bDpT10_ENKUlT_T0_E_clISt17integral_constantIbLb0EES1M_EEDaS1H_S1I_EUlS1H_E_NS1_11comp_targetILNS1_3genE8ELNS1_11target_archE1030ELNS1_3gpuE2ELNS1_3repE0EEENS1_30default_config_static_selectorELNS0_4arch9wavefront6targetE1EEEvSV_.num_agpr, 0
	.set _ZN7rocprim17ROCPRIM_400000_NS6detail17trampoline_kernelINS0_13select_configILj256ELj13ELNS0_17block_load_methodE3ELS4_3ELS4_3ELNS0_20block_scan_algorithmE0ELj4294967295EEENS1_25partition_config_selectorILNS1_17partition_subalgoE3EjNS0_10empty_typeEbEEZZNS1_14partition_implILS8_3ELb0ES6_jNS0_17counting_iteratorIjlEEPS9_SE_NS0_5tupleIJPjSE_EEENSF_IJSE_SE_EEES9_SG_JZNS1_25segmented_radix_sort_implINS0_14default_configELb1EPKlPlSM_SN_N2at6native12_GLOBAL__N_18offset_tEEE10hipError_tPvRmT1_PNSt15iterator_traitsISV_E10value_typeET2_T3_PNSW_IS11_E10value_typeET4_jRbjT5_S17_jjP12ihipStream_tbEUljE_EEESS_ST_SU_S11_S15_S17_T6_T7_T9_mT8_S19_bDpT10_ENKUlT_T0_E_clISt17integral_constantIbLb0EES1M_EEDaS1H_S1I_EUlS1H_E_NS1_11comp_targetILNS1_3genE8ELNS1_11target_archE1030ELNS1_3gpuE2ELNS1_3repE0EEENS1_30default_config_static_selectorELNS0_4arch9wavefront6targetE1EEEvSV_.numbered_sgpr, 0
	.set _ZN7rocprim17ROCPRIM_400000_NS6detail17trampoline_kernelINS0_13select_configILj256ELj13ELNS0_17block_load_methodE3ELS4_3ELS4_3ELNS0_20block_scan_algorithmE0ELj4294967295EEENS1_25partition_config_selectorILNS1_17partition_subalgoE3EjNS0_10empty_typeEbEEZZNS1_14partition_implILS8_3ELb0ES6_jNS0_17counting_iteratorIjlEEPS9_SE_NS0_5tupleIJPjSE_EEENSF_IJSE_SE_EEES9_SG_JZNS1_25segmented_radix_sort_implINS0_14default_configELb1EPKlPlSM_SN_N2at6native12_GLOBAL__N_18offset_tEEE10hipError_tPvRmT1_PNSt15iterator_traitsISV_E10value_typeET2_T3_PNSW_IS11_E10value_typeET4_jRbjT5_S17_jjP12ihipStream_tbEUljE_EEESS_ST_SU_S11_S15_S17_T6_T7_T9_mT8_S19_bDpT10_ENKUlT_T0_E_clISt17integral_constantIbLb0EES1M_EEDaS1H_S1I_EUlS1H_E_NS1_11comp_targetILNS1_3genE8ELNS1_11target_archE1030ELNS1_3gpuE2ELNS1_3repE0EEENS1_30default_config_static_selectorELNS0_4arch9wavefront6targetE1EEEvSV_.num_named_barrier, 0
	.set _ZN7rocprim17ROCPRIM_400000_NS6detail17trampoline_kernelINS0_13select_configILj256ELj13ELNS0_17block_load_methodE3ELS4_3ELS4_3ELNS0_20block_scan_algorithmE0ELj4294967295EEENS1_25partition_config_selectorILNS1_17partition_subalgoE3EjNS0_10empty_typeEbEEZZNS1_14partition_implILS8_3ELb0ES6_jNS0_17counting_iteratorIjlEEPS9_SE_NS0_5tupleIJPjSE_EEENSF_IJSE_SE_EEES9_SG_JZNS1_25segmented_radix_sort_implINS0_14default_configELb1EPKlPlSM_SN_N2at6native12_GLOBAL__N_18offset_tEEE10hipError_tPvRmT1_PNSt15iterator_traitsISV_E10value_typeET2_T3_PNSW_IS11_E10value_typeET4_jRbjT5_S17_jjP12ihipStream_tbEUljE_EEESS_ST_SU_S11_S15_S17_T6_T7_T9_mT8_S19_bDpT10_ENKUlT_T0_E_clISt17integral_constantIbLb0EES1M_EEDaS1H_S1I_EUlS1H_E_NS1_11comp_targetILNS1_3genE8ELNS1_11target_archE1030ELNS1_3gpuE2ELNS1_3repE0EEENS1_30default_config_static_selectorELNS0_4arch9wavefront6targetE1EEEvSV_.private_seg_size, 0
	.set _ZN7rocprim17ROCPRIM_400000_NS6detail17trampoline_kernelINS0_13select_configILj256ELj13ELNS0_17block_load_methodE3ELS4_3ELS4_3ELNS0_20block_scan_algorithmE0ELj4294967295EEENS1_25partition_config_selectorILNS1_17partition_subalgoE3EjNS0_10empty_typeEbEEZZNS1_14partition_implILS8_3ELb0ES6_jNS0_17counting_iteratorIjlEEPS9_SE_NS0_5tupleIJPjSE_EEENSF_IJSE_SE_EEES9_SG_JZNS1_25segmented_radix_sort_implINS0_14default_configELb1EPKlPlSM_SN_N2at6native12_GLOBAL__N_18offset_tEEE10hipError_tPvRmT1_PNSt15iterator_traitsISV_E10value_typeET2_T3_PNSW_IS11_E10value_typeET4_jRbjT5_S17_jjP12ihipStream_tbEUljE_EEESS_ST_SU_S11_S15_S17_T6_T7_T9_mT8_S19_bDpT10_ENKUlT_T0_E_clISt17integral_constantIbLb0EES1M_EEDaS1H_S1I_EUlS1H_E_NS1_11comp_targetILNS1_3genE8ELNS1_11target_archE1030ELNS1_3gpuE2ELNS1_3repE0EEENS1_30default_config_static_selectorELNS0_4arch9wavefront6targetE1EEEvSV_.uses_vcc, 0
	.set _ZN7rocprim17ROCPRIM_400000_NS6detail17trampoline_kernelINS0_13select_configILj256ELj13ELNS0_17block_load_methodE3ELS4_3ELS4_3ELNS0_20block_scan_algorithmE0ELj4294967295EEENS1_25partition_config_selectorILNS1_17partition_subalgoE3EjNS0_10empty_typeEbEEZZNS1_14partition_implILS8_3ELb0ES6_jNS0_17counting_iteratorIjlEEPS9_SE_NS0_5tupleIJPjSE_EEENSF_IJSE_SE_EEES9_SG_JZNS1_25segmented_radix_sort_implINS0_14default_configELb1EPKlPlSM_SN_N2at6native12_GLOBAL__N_18offset_tEEE10hipError_tPvRmT1_PNSt15iterator_traitsISV_E10value_typeET2_T3_PNSW_IS11_E10value_typeET4_jRbjT5_S17_jjP12ihipStream_tbEUljE_EEESS_ST_SU_S11_S15_S17_T6_T7_T9_mT8_S19_bDpT10_ENKUlT_T0_E_clISt17integral_constantIbLb0EES1M_EEDaS1H_S1I_EUlS1H_E_NS1_11comp_targetILNS1_3genE8ELNS1_11target_archE1030ELNS1_3gpuE2ELNS1_3repE0EEENS1_30default_config_static_selectorELNS0_4arch9wavefront6targetE1EEEvSV_.uses_flat_scratch, 0
	.set _ZN7rocprim17ROCPRIM_400000_NS6detail17trampoline_kernelINS0_13select_configILj256ELj13ELNS0_17block_load_methodE3ELS4_3ELS4_3ELNS0_20block_scan_algorithmE0ELj4294967295EEENS1_25partition_config_selectorILNS1_17partition_subalgoE3EjNS0_10empty_typeEbEEZZNS1_14partition_implILS8_3ELb0ES6_jNS0_17counting_iteratorIjlEEPS9_SE_NS0_5tupleIJPjSE_EEENSF_IJSE_SE_EEES9_SG_JZNS1_25segmented_radix_sort_implINS0_14default_configELb1EPKlPlSM_SN_N2at6native12_GLOBAL__N_18offset_tEEE10hipError_tPvRmT1_PNSt15iterator_traitsISV_E10value_typeET2_T3_PNSW_IS11_E10value_typeET4_jRbjT5_S17_jjP12ihipStream_tbEUljE_EEESS_ST_SU_S11_S15_S17_T6_T7_T9_mT8_S19_bDpT10_ENKUlT_T0_E_clISt17integral_constantIbLb0EES1M_EEDaS1H_S1I_EUlS1H_E_NS1_11comp_targetILNS1_3genE8ELNS1_11target_archE1030ELNS1_3gpuE2ELNS1_3repE0EEENS1_30default_config_static_selectorELNS0_4arch9wavefront6targetE1EEEvSV_.has_dyn_sized_stack, 0
	.set _ZN7rocprim17ROCPRIM_400000_NS6detail17trampoline_kernelINS0_13select_configILj256ELj13ELNS0_17block_load_methodE3ELS4_3ELS4_3ELNS0_20block_scan_algorithmE0ELj4294967295EEENS1_25partition_config_selectorILNS1_17partition_subalgoE3EjNS0_10empty_typeEbEEZZNS1_14partition_implILS8_3ELb0ES6_jNS0_17counting_iteratorIjlEEPS9_SE_NS0_5tupleIJPjSE_EEENSF_IJSE_SE_EEES9_SG_JZNS1_25segmented_radix_sort_implINS0_14default_configELb1EPKlPlSM_SN_N2at6native12_GLOBAL__N_18offset_tEEE10hipError_tPvRmT1_PNSt15iterator_traitsISV_E10value_typeET2_T3_PNSW_IS11_E10value_typeET4_jRbjT5_S17_jjP12ihipStream_tbEUljE_EEESS_ST_SU_S11_S15_S17_T6_T7_T9_mT8_S19_bDpT10_ENKUlT_T0_E_clISt17integral_constantIbLb0EES1M_EEDaS1H_S1I_EUlS1H_E_NS1_11comp_targetILNS1_3genE8ELNS1_11target_archE1030ELNS1_3gpuE2ELNS1_3repE0EEENS1_30default_config_static_selectorELNS0_4arch9wavefront6targetE1EEEvSV_.has_recursion, 0
	.set _ZN7rocprim17ROCPRIM_400000_NS6detail17trampoline_kernelINS0_13select_configILj256ELj13ELNS0_17block_load_methodE3ELS4_3ELS4_3ELNS0_20block_scan_algorithmE0ELj4294967295EEENS1_25partition_config_selectorILNS1_17partition_subalgoE3EjNS0_10empty_typeEbEEZZNS1_14partition_implILS8_3ELb0ES6_jNS0_17counting_iteratorIjlEEPS9_SE_NS0_5tupleIJPjSE_EEENSF_IJSE_SE_EEES9_SG_JZNS1_25segmented_radix_sort_implINS0_14default_configELb1EPKlPlSM_SN_N2at6native12_GLOBAL__N_18offset_tEEE10hipError_tPvRmT1_PNSt15iterator_traitsISV_E10value_typeET2_T3_PNSW_IS11_E10value_typeET4_jRbjT5_S17_jjP12ihipStream_tbEUljE_EEESS_ST_SU_S11_S15_S17_T6_T7_T9_mT8_S19_bDpT10_ENKUlT_T0_E_clISt17integral_constantIbLb0EES1M_EEDaS1H_S1I_EUlS1H_E_NS1_11comp_targetILNS1_3genE8ELNS1_11target_archE1030ELNS1_3gpuE2ELNS1_3repE0EEENS1_30default_config_static_selectorELNS0_4arch9wavefront6targetE1EEEvSV_.has_indirect_call, 0
	.section	.AMDGPU.csdata,"",@progbits
; Kernel info:
; codeLenInByte = 0
; TotalNumSgprs: 4
; NumVgprs: 0
; ScratchSize: 0
; MemoryBound: 0
; FloatMode: 240
; IeeeMode: 1
; LDSByteSize: 0 bytes/workgroup (compile time only)
; SGPRBlocks: 0
; VGPRBlocks: 0
; NumSGPRsForWavesPerEU: 4
; NumVGPRsForWavesPerEU: 1
; Occupancy: 10
; WaveLimiterHint : 0
; COMPUTE_PGM_RSRC2:SCRATCH_EN: 0
; COMPUTE_PGM_RSRC2:USER_SGPR: 6
; COMPUTE_PGM_RSRC2:TRAP_HANDLER: 0
; COMPUTE_PGM_RSRC2:TGID_X_EN: 1
; COMPUTE_PGM_RSRC2:TGID_Y_EN: 0
; COMPUTE_PGM_RSRC2:TGID_Z_EN: 0
; COMPUTE_PGM_RSRC2:TIDIG_COMP_CNT: 0
	.section	.text._ZN7rocprim17ROCPRIM_400000_NS6detail17trampoline_kernelINS0_13select_configILj256ELj13ELNS0_17block_load_methodE3ELS4_3ELS4_3ELNS0_20block_scan_algorithmE0ELj4294967295EEENS1_25partition_config_selectorILNS1_17partition_subalgoE3EjNS0_10empty_typeEbEEZZNS1_14partition_implILS8_3ELb0ES6_jNS0_17counting_iteratorIjlEEPS9_SE_NS0_5tupleIJPjSE_EEENSF_IJSE_SE_EEES9_SG_JZNS1_25segmented_radix_sort_implINS0_14default_configELb1EPKlPlSM_SN_N2at6native12_GLOBAL__N_18offset_tEEE10hipError_tPvRmT1_PNSt15iterator_traitsISV_E10value_typeET2_T3_PNSW_IS11_E10value_typeET4_jRbjT5_S17_jjP12ihipStream_tbEUljE_EEESS_ST_SU_S11_S15_S17_T6_T7_T9_mT8_S19_bDpT10_ENKUlT_T0_E_clISt17integral_constantIbLb1EES1M_EEDaS1H_S1I_EUlS1H_E_NS1_11comp_targetILNS1_3genE0ELNS1_11target_archE4294967295ELNS1_3gpuE0ELNS1_3repE0EEENS1_30default_config_static_selectorELNS0_4arch9wavefront6targetE1EEEvSV_,"axG",@progbits,_ZN7rocprim17ROCPRIM_400000_NS6detail17trampoline_kernelINS0_13select_configILj256ELj13ELNS0_17block_load_methodE3ELS4_3ELS4_3ELNS0_20block_scan_algorithmE0ELj4294967295EEENS1_25partition_config_selectorILNS1_17partition_subalgoE3EjNS0_10empty_typeEbEEZZNS1_14partition_implILS8_3ELb0ES6_jNS0_17counting_iteratorIjlEEPS9_SE_NS0_5tupleIJPjSE_EEENSF_IJSE_SE_EEES9_SG_JZNS1_25segmented_radix_sort_implINS0_14default_configELb1EPKlPlSM_SN_N2at6native12_GLOBAL__N_18offset_tEEE10hipError_tPvRmT1_PNSt15iterator_traitsISV_E10value_typeET2_T3_PNSW_IS11_E10value_typeET4_jRbjT5_S17_jjP12ihipStream_tbEUljE_EEESS_ST_SU_S11_S15_S17_T6_T7_T9_mT8_S19_bDpT10_ENKUlT_T0_E_clISt17integral_constantIbLb1EES1M_EEDaS1H_S1I_EUlS1H_E_NS1_11comp_targetILNS1_3genE0ELNS1_11target_archE4294967295ELNS1_3gpuE0ELNS1_3repE0EEENS1_30default_config_static_selectorELNS0_4arch9wavefront6targetE1EEEvSV_,comdat
	.globl	_ZN7rocprim17ROCPRIM_400000_NS6detail17trampoline_kernelINS0_13select_configILj256ELj13ELNS0_17block_load_methodE3ELS4_3ELS4_3ELNS0_20block_scan_algorithmE0ELj4294967295EEENS1_25partition_config_selectorILNS1_17partition_subalgoE3EjNS0_10empty_typeEbEEZZNS1_14partition_implILS8_3ELb0ES6_jNS0_17counting_iteratorIjlEEPS9_SE_NS0_5tupleIJPjSE_EEENSF_IJSE_SE_EEES9_SG_JZNS1_25segmented_radix_sort_implINS0_14default_configELb1EPKlPlSM_SN_N2at6native12_GLOBAL__N_18offset_tEEE10hipError_tPvRmT1_PNSt15iterator_traitsISV_E10value_typeET2_T3_PNSW_IS11_E10value_typeET4_jRbjT5_S17_jjP12ihipStream_tbEUljE_EEESS_ST_SU_S11_S15_S17_T6_T7_T9_mT8_S19_bDpT10_ENKUlT_T0_E_clISt17integral_constantIbLb1EES1M_EEDaS1H_S1I_EUlS1H_E_NS1_11comp_targetILNS1_3genE0ELNS1_11target_archE4294967295ELNS1_3gpuE0ELNS1_3repE0EEENS1_30default_config_static_selectorELNS0_4arch9wavefront6targetE1EEEvSV_ ; -- Begin function _ZN7rocprim17ROCPRIM_400000_NS6detail17trampoline_kernelINS0_13select_configILj256ELj13ELNS0_17block_load_methodE3ELS4_3ELS4_3ELNS0_20block_scan_algorithmE0ELj4294967295EEENS1_25partition_config_selectorILNS1_17partition_subalgoE3EjNS0_10empty_typeEbEEZZNS1_14partition_implILS8_3ELb0ES6_jNS0_17counting_iteratorIjlEEPS9_SE_NS0_5tupleIJPjSE_EEENSF_IJSE_SE_EEES9_SG_JZNS1_25segmented_radix_sort_implINS0_14default_configELb1EPKlPlSM_SN_N2at6native12_GLOBAL__N_18offset_tEEE10hipError_tPvRmT1_PNSt15iterator_traitsISV_E10value_typeET2_T3_PNSW_IS11_E10value_typeET4_jRbjT5_S17_jjP12ihipStream_tbEUljE_EEESS_ST_SU_S11_S15_S17_T6_T7_T9_mT8_S19_bDpT10_ENKUlT_T0_E_clISt17integral_constantIbLb1EES1M_EEDaS1H_S1I_EUlS1H_E_NS1_11comp_targetILNS1_3genE0ELNS1_11target_archE4294967295ELNS1_3gpuE0ELNS1_3repE0EEENS1_30default_config_static_selectorELNS0_4arch9wavefront6targetE1EEEvSV_
	.p2align	8
	.type	_ZN7rocprim17ROCPRIM_400000_NS6detail17trampoline_kernelINS0_13select_configILj256ELj13ELNS0_17block_load_methodE3ELS4_3ELS4_3ELNS0_20block_scan_algorithmE0ELj4294967295EEENS1_25partition_config_selectorILNS1_17partition_subalgoE3EjNS0_10empty_typeEbEEZZNS1_14partition_implILS8_3ELb0ES6_jNS0_17counting_iteratorIjlEEPS9_SE_NS0_5tupleIJPjSE_EEENSF_IJSE_SE_EEES9_SG_JZNS1_25segmented_radix_sort_implINS0_14default_configELb1EPKlPlSM_SN_N2at6native12_GLOBAL__N_18offset_tEEE10hipError_tPvRmT1_PNSt15iterator_traitsISV_E10value_typeET2_T3_PNSW_IS11_E10value_typeET4_jRbjT5_S17_jjP12ihipStream_tbEUljE_EEESS_ST_SU_S11_S15_S17_T6_T7_T9_mT8_S19_bDpT10_ENKUlT_T0_E_clISt17integral_constantIbLb1EES1M_EEDaS1H_S1I_EUlS1H_E_NS1_11comp_targetILNS1_3genE0ELNS1_11target_archE4294967295ELNS1_3gpuE0ELNS1_3repE0EEENS1_30default_config_static_selectorELNS0_4arch9wavefront6targetE1EEEvSV_,@function
_ZN7rocprim17ROCPRIM_400000_NS6detail17trampoline_kernelINS0_13select_configILj256ELj13ELNS0_17block_load_methodE3ELS4_3ELS4_3ELNS0_20block_scan_algorithmE0ELj4294967295EEENS1_25partition_config_selectorILNS1_17partition_subalgoE3EjNS0_10empty_typeEbEEZZNS1_14partition_implILS8_3ELb0ES6_jNS0_17counting_iteratorIjlEEPS9_SE_NS0_5tupleIJPjSE_EEENSF_IJSE_SE_EEES9_SG_JZNS1_25segmented_radix_sort_implINS0_14default_configELb1EPKlPlSM_SN_N2at6native12_GLOBAL__N_18offset_tEEE10hipError_tPvRmT1_PNSt15iterator_traitsISV_E10value_typeET2_T3_PNSW_IS11_E10value_typeET4_jRbjT5_S17_jjP12ihipStream_tbEUljE_EEESS_ST_SU_S11_S15_S17_T6_T7_T9_mT8_S19_bDpT10_ENKUlT_T0_E_clISt17integral_constantIbLb1EES1M_EEDaS1H_S1I_EUlS1H_E_NS1_11comp_targetILNS1_3genE0ELNS1_11target_archE4294967295ELNS1_3gpuE0ELNS1_3repE0EEENS1_30default_config_static_selectorELNS0_4arch9wavefront6targetE1EEEvSV_: ; @_ZN7rocprim17ROCPRIM_400000_NS6detail17trampoline_kernelINS0_13select_configILj256ELj13ELNS0_17block_load_methodE3ELS4_3ELS4_3ELNS0_20block_scan_algorithmE0ELj4294967295EEENS1_25partition_config_selectorILNS1_17partition_subalgoE3EjNS0_10empty_typeEbEEZZNS1_14partition_implILS8_3ELb0ES6_jNS0_17counting_iteratorIjlEEPS9_SE_NS0_5tupleIJPjSE_EEENSF_IJSE_SE_EEES9_SG_JZNS1_25segmented_radix_sort_implINS0_14default_configELb1EPKlPlSM_SN_N2at6native12_GLOBAL__N_18offset_tEEE10hipError_tPvRmT1_PNSt15iterator_traitsISV_E10value_typeET2_T3_PNSW_IS11_E10value_typeET4_jRbjT5_S17_jjP12ihipStream_tbEUljE_EEESS_ST_SU_S11_S15_S17_T6_T7_T9_mT8_S19_bDpT10_ENKUlT_T0_E_clISt17integral_constantIbLb1EES1M_EEDaS1H_S1I_EUlS1H_E_NS1_11comp_targetILNS1_3genE0ELNS1_11target_archE4294967295ELNS1_3gpuE0ELNS1_3repE0EEENS1_30default_config_static_selectorELNS0_4arch9wavefront6targetE1EEEvSV_
; %bb.0:
	.section	.rodata,"a",@progbits
	.p2align	6, 0x0
	.amdhsa_kernel _ZN7rocprim17ROCPRIM_400000_NS6detail17trampoline_kernelINS0_13select_configILj256ELj13ELNS0_17block_load_methodE3ELS4_3ELS4_3ELNS0_20block_scan_algorithmE0ELj4294967295EEENS1_25partition_config_selectorILNS1_17partition_subalgoE3EjNS0_10empty_typeEbEEZZNS1_14partition_implILS8_3ELb0ES6_jNS0_17counting_iteratorIjlEEPS9_SE_NS0_5tupleIJPjSE_EEENSF_IJSE_SE_EEES9_SG_JZNS1_25segmented_radix_sort_implINS0_14default_configELb1EPKlPlSM_SN_N2at6native12_GLOBAL__N_18offset_tEEE10hipError_tPvRmT1_PNSt15iterator_traitsISV_E10value_typeET2_T3_PNSW_IS11_E10value_typeET4_jRbjT5_S17_jjP12ihipStream_tbEUljE_EEESS_ST_SU_S11_S15_S17_T6_T7_T9_mT8_S19_bDpT10_ENKUlT_T0_E_clISt17integral_constantIbLb1EES1M_EEDaS1H_S1I_EUlS1H_E_NS1_11comp_targetILNS1_3genE0ELNS1_11target_archE4294967295ELNS1_3gpuE0ELNS1_3repE0EEENS1_30default_config_static_selectorELNS0_4arch9wavefront6targetE1EEEvSV_
		.amdhsa_group_segment_fixed_size 0
		.amdhsa_private_segment_fixed_size 0
		.amdhsa_kernarg_size 152
		.amdhsa_user_sgpr_count 6
		.amdhsa_user_sgpr_private_segment_buffer 1
		.amdhsa_user_sgpr_dispatch_ptr 0
		.amdhsa_user_sgpr_queue_ptr 0
		.amdhsa_user_sgpr_kernarg_segment_ptr 1
		.amdhsa_user_sgpr_dispatch_id 0
		.amdhsa_user_sgpr_flat_scratch_init 0
		.amdhsa_user_sgpr_private_segment_size 0
		.amdhsa_uses_dynamic_stack 0
		.amdhsa_system_sgpr_private_segment_wavefront_offset 0
		.amdhsa_system_sgpr_workgroup_id_x 1
		.amdhsa_system_sgpr_workgroup_id_y 0
		.amdhsa_system_sgpr_workgroup_id_z 0
		.amdhsa_system_sgpr_workgroup_info 0
		.amdhsa_system_vgpr_workitem_id 0
		.amdhsa_next_free_vgpr 1
		.amdhsa_next_free_sgpr 0
		.amdhsa_reserve_vcc 0
		.amdhsa_reserve_flat_scratch 0
		.amdhsa_float_round_mode_32 0
		.amdhsa_float_round_mode_16_64 0
		.amdhsa_float_denorm_mode_32 3
		.amdhsa_float_denorm_mode_16_64 3
		.amdhsa_dx10_clamp 1
		.amdhsa_ieee_mode 1
		.amdhsa_fp16_overflow 0
		.amdhsa_exception_fp_ieee_invalid_op 0
		.amdhsa_exception_fp_denorm_src 0
		.amdhsa_exception_fp_ieee_div_zero 0
		.amdhsa_exception_fp_ieee_overflow 0
		.amdhsa_exception_fp_ieee_underflow 0
		.amdhsa_exception_fp_ieee_inexact 0
		.amdhsa_exception_int_div_zero 0
	.end_amdhsa_kernel
	.section	.text._ZN7rocprim17ROCPRIM_400000_NS6detail17trampoline_kernelINS0_13select_configILj256ELj13ELNS0_17block_load_methodE3ELS4_3ELS4_3ELNS0_20block_scan_algorithmE0ELj4294967295EEENS1_25partition_config_selectorILNS1_17partition_subalgoE3EjNS0_10empty_typeEbEEZZNS1_14partition_implILS8_3ELb0ES6_jNS0_17counting_iteratorIjlEEPS9_SE_NS0_5tupleIJPjSE_EEENSF_IJSE_SE_EEES9_SG_JZNS1_25segmented_radix_sort_implINS0_14default_configELb1EPKlPlSM_SN_N2at6native12_GLOBAL__N_18offset_tEEE10hipError_tPvRmT1_PNSt15iterator_traitsISV_E10value_typeET2_T3_PNSW_IS11_E10value_typeET4_jRbjT5_S17_jjP12ihipStream_tbEUljE_EEESS_ST_SU_S11_S15_S17_T6_T7_T9_mT8_S19_bDpT10_ENKUlT_T0_E_clISt17integral_constantIbLb1EES1M_EEDaS1H_S1I_EUlS1H_E_NS1_11comp_targetILNS1_3genE0ELNS1_11target_archE4294967295ELNS1_3gpuE0ELNS1_3repE0EEENS1_30default_config_static_selectorELNS0_4arch9wavefront6targetE1EEEvSV_,"axG",@progbits,_ZN7rocprim17ROCPRIM_400000_NS6detail17trampoline_kernelINS0_13select_configILj256ELj13ELNS0_17block_load_methodE3ELS4_3ELS4_3ELNS0_20block_scan_algorithmE0ELj4294967295EEENS1_25partition_config_selectorILNS1_17partition_subalgoE3EjNS0_10empty_typeEbEEZZNS1_14partition_implILS8_3ELb0ES6_jNS0_17counting_iteratorIjlEEPS9_SE_NS0_5tupleIJPjSE_EEENSF_IJSE_SE_EEES9_SG_JZNS1_25segmented_radix_sort_implINS0_14default_configELb1EPKlPlSM_SN_N2at6native12_GLOBAL__N_18offset_tEEE10hipError_tPvRmT1_PNSt15iterator_traitsISV_E10value_typeET2_T3_PNSW_IS11_E10value_typeET4_jRbjT5_S17_jjP12ihipStream_tbEUljE_EEESS_ST_SU_S11_S15_S17_T6_T7_T9_mT8_S19_bDpT10_ENKUlT_T0_E_clISt17integral_constantIbLb1EES1M_EEDaS1H_S1I_EUlS1H_E_NS1_11comp_targetILNS1_3genE0ELNS1_11target_archE4294967295ELNS1_3gpuE0ELNS1_3repE0EEENS1_30default_config_static_selectorELNS0_4arch9wavefront6targetE1EEEvSV_,comdat
.Lfunc_end680:
	.size	_ZN7rocprim17ROCPRIM_400000_NS6detail17trampoline_kernelINS0_13select_configILj256ELj13ELNS0_17block_load_methodE3ELS4_3ELS4_3ELNS0_20block_scan_algorithmE0ELj4294967295EEENS1_25partition_config_selectorILNS1_17partition_subalgoE3EjNS0_10empty_typeEbEEZZNS1_14partition_implILS8_3ELb0ES6_jNS0_17counting_iteratorIjlEEPS9_SE_NS0_5tupleIJPjSE_EEENSF_IJSE_SE_EEES9_SG_JZNS1_25segmented_radix_sort_implINS0_14default_configELb1EPKlPlSM_SN_N2at6native12_GLOBAL__N_18offset_tEEE10hipError_tPvRmT1_PNSt15iterator_traitsISV_E10value_typeET2_T3_PNSW_IS11_E10value_typeET4_jRbjT5_S17_jjP12ihipStream_tbEUljE_EEESS_ST_SU_S11_S15_S17_T6_T7_T9_mT8_S19_bDpT10_ENKUlT_T0_E_clISt17integral_constantIbLb1EES1M_EEDaS1H_S1I_EUlS1H_E_NS1_11comp_targetILNS1_3genE0ELNS1_11target_archE4294967295ELNS1_3gpuE0ELNS1_3repE0EEENS1_30default_config_static_selectorELNS0_4arch9wavefront6targetE1EEEvSV_, .Lfunc_end680-_ZN7rocprim17ROCPRIM_400000_NS6detail17trampoline_kernelINS0_13select_configILj256ELj13ELNS0_17block_load_methodE3ELS4_3ELS4_3ELNS0_20block_scan_algorithmE0ELj4294967295EEENS1_25partition_config_selectorILNS1_17partition_subalgoE3EjNS0_10empty_typeEbEEZZNS1_14partition_implILS8_3ELb0ES6_jNS0_17counting_iteratorIjlEEPS9_SE_NS0_5tupleIJPjSE_EEENSF_IJSE_SE_EEES9_SG_JZNS1_25segmented_radix_sort_implINS0_14default_configELb1EPKlPlSM_SN_N2at6native12_GLOBAL__N_18offset_tEEE10hipError_tPvRmT1_PNSt15iterator_traitsISV_E10value_typeET2_T3_PNSW_IS11_E10value_typeET4_jRbjT5_S17_jjP12ihipStream_tbEUljE_EEESS_ST_SU_S11_S15_S17_T6_T7_T9_mT8_S19_bDpT10_ENKUlT_T0_E_clISt17integral_constantIbLb1EES1M_EEDaS1H_S1I_EUlS1H_E_NS1_11comp_targetILNS1_3genE0ELNS1_11target_archE4294967295ELNS1_3gpuE0ELNS1_3repE0EEENS1_30default_config_static_selectorELNS0_4arch9wavefront6targetE1EEEvSV_
                                        ; -- End function
	.set _ZN7rocprim17ROCPRIM_400000_NS6detail17trampoline_kernelINS0_13select_configILj256ELj13ELNS0_17block_load_methodE3ELS4_3ELS4_3ELNS0_20block_scan_algorithmE0ELj4294967295EEENS1_25partition_config_selectorILNS1_17partition_subalgoE3EjNS0_10empty_typeEbEEZZNS1_14partition_implILS8_3ELb0ES6_jNS0_17counting_iteratorIjlEEPS9_SE_NS0_5tupleIJPjSE_EEENSF_IJSE_SE_EEES9_SG_JZNS1_25segmented_radix_sort_implINS0_14default_configELb1EPKlPlSM_SN_N2at6native12_GLOBAL__N_18offset_tEEE10hipError_tPvRmT1_PNSt15iterator_traitsISV_E10value_typeET2_T3_PNSW_IS11_E10value_typeET4_jRbjT5_S17_jjP12ihipStream_tbEUljE_EEESS_ST_SU_S11_S15_S17_T6_T7_T9_mT8_S19_bDpT10_ENKUlT_T0_E_clISt17integral_constantIbLb1EES1M_EEDaS1H_S1I_EUlS1H_E_NS1_11comp_targetILNS1_3genE0ELNS1_11target_archE4294967295ELNS1_3gpuE0ELNS1_3repE0EEENS1_30default_config_static_selectorELNS0_4arch9wavefront6targetE1EEEvSV_.num_vgpr, 0
	.set _ZN7rocprim17ROCPRIM_400000_NS6detail17trampoline_kernelINS0_13select_configILj256ELj13ELNS0_17block_load_methodE3ELS4_3ELS4_3ELNS0_20block_scan_algorithmE0ELj4294967295EEENS1_25partition_config_selectorILNS1_17partition_subalgoE3EjNS0_10empty_typeEbEEZZNS1_14partition_implILS8_3ELb0ES6_jNS0_17counting_iteratorIjlEEPS9_SE_NS0_5tupleIJPjSE_EEENSF_IJSE_SE_EEES9_SG_JZNS1_25segmented_radix_sort_implINS0_14default_configELb1EPKlPlSM_SN_N2at6native12_GLOBAL__N_18offset_tEEE10hipError_tPvRmT1_PNSt15iterator_traitsISV_E10value_typeET2_T3_PNSW_IS11_E10value_typeET4_jRbjT5_S17_jjP12ihipStream_tbEUljE_EEESS_ST_SU_S11_S15_S17_T6_T7_T9_mT8_S19_bDpT10_ENKUlT_T0_E_clISt17integral_constantIbLb1EES1M_EEDaS1H_S1I_EUlS1H_E_NS1_11comp_targetILNS1_3genE0ELNS1_11target_archE4294967295ELNS1_3gpuE0ELNS1_3repE0EEENS1_30default_config_static_selectorELNS0_4arch9wavefront6targetE1EEEvSV_.num_agpr, 0
	.set _ZN7rocprim17ROCPRIM_400000_NS6detail17trampoline_kernelINS0_13select_configILj256ELj13ELNS0_17block_load_methodE3ELS4_3ELS4_3ELNS0_20block_scan_algorithmE0ELj4294967295EEENS1_25partition_config_selectorILNS1_17partition_subalgoE3EjNS0_10empty_typeEbEEZZNS1_14partition_implILS8_3ELb0ES6_jNS0_17counting_iteratorIjlEEPS9_SE_NS0_5tupleIJPjSE_EEENSF_IJSE_SE_EEES9_SG_JZNS1_25segmented_radix_sort_implINS0_14default_configELb1EPKlPlSM_SN_N2at6native12_GLOBAL__N_18offset_tEEE10hipError_tPvRmT1_PNSt15iterator_traitsISV_E10value_typeET2_T3_PNSW_IS11_E10value_typeET4_jRbjT5_S17_jjP12ihipStream_tbEUljE_EEESS_ST_SU_S11_S15_S17_T6_T7_T9_mT8_S19_bDpT10_ENKUlT_T0_E_clISt17integral_constantIbLb1EES1M_EEDaS1H_S1I_EUlS1H_E_NS1_11comp_targetILNS1_3genE0ELNS1_11target_archE4294967295ELNS1_3gpuE0ELNS1_3repE0EEENS1_30default_config_static_selectorELNS0_4arch9wavefront6targetE1EEEvSV_.numbered_sgpr, 0
	.set _ZN7rocprim17ROCPRIM_400000_NS6detail17trampoline_kernelINS0_13select_configILj256ELj13ELNS0_17block_load_methodE3ELS4_3ELS4_3ELNS0_20block_scan_algorithmE0ELj4294967295EEENS1_25partition_config_selectorILNS1_17partition_subalgoE3EjNS0_10empty_typeEbEEZZNS1_14partition_implILS8_3ELb0ES6_jNS0_17counting_iteratorIjlEEPS9_SE_NS0_5tupleIJPjSE_EEENSF_IJSE_SE_EEES9_SG_JZNS1_25segmented_radix_sort_implINS0_14default_configELb1EPKlPlSM_SN_N2at6native12_GLOBAL__N_18offset_tEEE10hipError_tPvRmT1_PNSt15iterator_traitsISV_E10value_typeET2_T3_PNSW_IS11_E10value_typeET4_jRbjT5_S17_jjP12ihipStream_tbEUljE_EEESS_ST_SU_S11_S15_S17_T6_T7_T9_mT8_S19_bDpT10_ENKUlT_T0_E_clISt17integral_constantIbLb1EES1M_EEDaS1H_S1I_EUlS1H_E_NS1_11comp_targetILNS1_3genE0ELNS1_11target_archE4294967295ELNS1_3gpuE0ELNS1_3repE0EEENS1_30default_config_static_selectorELNS0_4arch9wavefront6targetE1EEEvSV_.num_named_barrier, 0
	.set _ZN7rocprim17ROCPRIM_400000_NS6detail17trampoline_kernelINS0_13select_configILj256ELj13ELNS0_17block_load_methodE3ELS4_3ELS4_3ELNS0_20block_scan_algorithmE0ELj4294967295EEENS1_25partition_config_selectorILNS1_17partition_subalgoE3EjNS0_10empty_typeEbEEZZNS1_14partition_implILS8_3ELb0ES6_jNS0_17counting_iteratorIjlEEPS9_SE_NS0_5tupleIJPjSE_EEENSF_IJSE_SE_EEES9_SG_JZNS1_25segmented_radix_sort_implINS0_14default_configELb1EPKlPlSM_SN_N2at6native12_GLOBAL__N_18offset_tEEE10hipError_tPvRmT1_PNSt15iterator_traitsISV_E10value_typeET2_T3_PNSW_IS11_E10value_typeET4_jRbjT5_S17_jjP12ihipStream_tbEUljE_EEESS_ST_SU_S11_S15_S17_T6_T7_T9_mT8_S19_bDpT10_ENKUlT_T0_E_clISt17integral_constantIbLb1EES1M_EEDaS1H_S1I_EUlS1H_E_NS1_11comp_targetILNS1_3genE0ELNS1_11target_archE4294967295ELNS1_3gpuE0ELNS1_3repE0EEENS1_30default_config_static_selectorELNS0_4arch9wavefront6targetE1EEEvSV_.private_seg_size, 0
	.set _ZN7rocprim17ROCPRIM_400000_NS6detail17trampoline_kernelINS0_13select_configILj256ELj13ELNS0_17block_load_methodE3ELS4_3ELS4_3ELNS0_20block_scan_algorithmE0ELj4294967295EEENS1_25partition_config_selectorILNS1_17partition_subalgoE3EjNS0_10empty_typeEbEEZZNS1_14partition_implILS8_3ELb0ES6_jNS0_17counting_iteratorIjlEEPS9_SE_NS0_5tupleIJPjSE_EEENSF_IJSE_SE_EEES9_SG_JZNS1_25segmented_radix_sort_implINS0_14default_configELb1EPKlPlSM_SN_N2at6native12_GLOBAL__N_18offset_tEEE10hipError_tPvRmT1_PNSt15iterator_traitsISV_E10value_typeET2_T3_PNSW_IS11_E10value_typeET4_jRbjT5_S17_jjP12ihipStream_tbEUljE_EEESS_ST_SU_S11_S15_S17_T6_T7_T9_mT8_S19_bDpT10_ENKUlT_T0_E_clISt17integral_constantIbLb1EES1M_EEDaS1H_S1I_EUlS1H_E_NS1_11comp_targetILNS1_3genE0ELNS1_11target_archE4294967295ELNS1_3gpuE0ELNS1_3repE0EEENS1_30default_config_static_selectorELNS0_4arch9wavefront6targetE1EEEvSV_.uses_vcc, 0
	.set _ZN7rocprim17ROCPRIM_400000_NS6detail17trampoline_kernelINS0_13select_configILj256ELj13ELNS0_17block_load_methodE3ELS4_3ELS4_3ELNS0_20block_scan_algorithmE0ELj4294967295EEENS1_25partition_config_selectorILNS1_17partition_subalgoE3EjNS0_10empty_typeEbEEZZNS1_14partition_implILS8_3ELb0ES6_jNS0_17counting_iteratorIjlEEPS9_SE_NS0_5tupleIJPjSE_EEENSF_IJSE_SE_EEES9_SG_JZNS1_25segmented_radix_sort_implINS0_14default_configELb1EPKlPlSM_SN_N2at6native12_GLOBAL__N_18offset_tEEE10hipError_tPvRmT1_PNSt15iterator_traitsISV_E10value_typeET2_T3_PNSW_IS11_E10value_typeET4_jRbjT5_S17_jjP12ihipStream_tbEUljE_EEESS_ST_SU_S11_S15_S17_T6_T7_T9_mT8_S19_bDpT10_ENKUlT_T0_E_clISt17integral_constantIbLb1EES1M_EEDaS1H_S1I_EUlS1H_E_NS1_11comp_targetILNS1_3genE0ELNS1_11target_archE4294967295ELNS1_3gpuE0ELNS1_3repE0EEENS1_30default_config_static_selectorELNS0_4arch9wavefront6targetE1EEEvSV_.uses_flat_scratch, 0
	.set _ZN7rocprim17ROCPRIM_400000_NS6detail17trampoline_kernelINS0_13select_configILj256ELj13ELNS0_17block_load_methodE3ELS4_3ELS4_3ELNS0_20block_scan_algorithmE0ELj4294967295EEENS1_25partition_config_selectorILNS1_17partition_subalgoE3EjNS0_10empty_typeEbEEZZNS1_14partition_implILS8_3ELb0ES6_jNS0_17counting_iteratorIjlEEPS9_SE_NS0_5tupleIJPjSE_EEENSF_IJSE_SE_EEES9_SG_JZNS1_25segmented_radix_sort_implINS0_14default_configELb1EPKlPlSM_SN_N2at6native12_GLOBAL__N_18offset_tEEE10hipError_tPvRmT1_PNSt15iterator_traitsISV_E10value_typeET2_T3_PNSW_IS11_E10value_typeET4_jRbjT5_S17_jjP12ihipStream_tbEUljE_EEESS_ST_SU_S11_S15_S17_T6_T7_T9_mT8_S19_bDpT10_ENKUlT_T0_E_clISt17integral_constantIbLb1EES1M_EEDaS1H_S1I_EUlS1H_E_NS1_11comp_targetILNS1_3genE0ELNS1_11target_archE4294967295ELNS1_3gpuE0ELNS1_3repE0EEENS1_30default_config_static_selectorELNS0_4arch9wavefront6targetE1EEEvSV_.has_dyn_sized_stack, 0
	.set _ZN7rocprim17ROCPRIM_400000_NS6detail17trampoline_kernelINS0_13select_configILj256ELj13ELNS0_17block_load_methodE3ELS4_3ELS4_3ELNS0_20block_scan_algorithmE0ELj4294967295EEENS1_25partition_config_selectorILNS1_17partition_subalgoE3EjNS0_10empty_typeEbEEZZNS1_14partition_implILS8_3ELb0ES6_jNS0_17counting_iteratorIjlEEPS9_SE_NS0_5tupleIJPjSE_EEENSF_IJSE_SE_EEES9_SG_JZNS1_25segmented_radix_sort_implINS0_14default_configELb1EPKlPlSM_SN_N2at6native12_GLOBAL__N_18offset_tEEE10hipError_tPvRmT1_PNSt15iterator_traitsISV_E10value_typeET2_T3_PNSW_IS11_E10value_typeET4_jRbjT5_S17_jjP12ihipStream_tbEUljE_EEESS_ST_SU_S11_S15_S17_T6_T7_T9_mT8_S19_bDpT10_ENKUlT_T0_E_clISt17integral_constantIbLb1EES1M_EEDaS1H_S1I_EUlS1H_E_NS1_11comp_targetILNS1_3genE0ELNS1_11target_archE4294967295ELNS1_3gpuE0ELNS1_3repE0EEENS1_30default_config_static_selectorELNS0_4arch9wavefront6targetE1EEEvSV_.has_recursion, 0
	.set _ZN7rocprim17ROCPRIM_400000_NS6detail17trampoline_kernelINS0_13select_configILj256ELj13ELNS0_17block_load_methodE3ELS4_3ELS4_3ELNS0_20block_scan_algorithmE0ELj4294967295EEENS1_25partition_config_selectorILNS1_17partition_subalgoE3EjNS0_10empty_typeEbEEZZNS1_14partition_implILS8_3ELb0ES6_jNS0_17counting_iteratorIjlEEPS9_SE_NS0_5tupleIJPjSE_EEENSF_IJSE_SE_EEES9_SG_JZNS1_25segmented_radix_sort_implINS0_14default_configELb1EPKlPlSM_SN_N2at6native12_GLOBAL__N_18offset_tEEE10hipError_tPvRmT1_PNSt15iterator_traitsISV_E10value_typeET2_T3_PNSW_IS11_E10value_typeET4_jRbjT5_S17_jjP12ihipStream_tbEUljE_EEESS_ST_SU_S11_S15_S17_T6_T7_T9_mT8_S19_bDpT10_ENKUlT_T0_E_clISt17integral_constantIbLb1EES1M_EEDaS1H_S1I_EUlS1H_E_NS1_11comp_targetILNS1_3genE0ELNS1_11target_archE4294967295ELNS1_3gpuE0ELNS1_3repE0EEENS1_30default_config_static_selectorELNS0_4arch9wavefront6targetE1EEEvSV_.has_indirect_call, 0
	.section	.AMDGPU.csdata,"",@progbits
; Kernel info:
; codeLenInByte = 0
; TotalNumSgprs: 4
; NumVgprs: 0
; ScratchSize: 0
; MemoryBound: 0
; FloatMode: 240
; IeeeMode: 1
; LDSByteSize: 0 bytes/workgroup (compile time only)
; SGPRBlocks: 0
; VGPRBlocks: 0
; NumSGPRsForWavesPerEU: 4
; NumVGPRsForWavesPerEU: 1
; Occupancy: 10
; WaveLimiterHint : 0
; COMPUTE_PGM_RSRC2:SCRATCH_EN: 0
; COMPUTE_PGM_RSRC2:USER_SGPR: 6
; COMPUTE_PGM_RSRC2:TRAP_HANDLER: 0
; COMPUTE_PGM_RSRC2:TGID_X_EN: 1
; COMPUTE_PGM_RSRC2:TGID_Y_EN: 0
; COMPUTE_PGM_RSRC2:TGID_Z_EN: 0
; COMPUTE_PGM_RSRC2:TIDIG_COMP_CNT: 0
	.section	.text._ZN7rocprim17ROCPRIM_400000_NS6detail17trampoline_kernelINS0_13select_configILj256ELj13ELNS0_17block_load_methodE3ELS4_3ELS4_3ELNS0_20block_scan_algorithmE0ELj4294967295EEENS1_25partition_config_selectorILNS1_17partition_subalgoE3EjNS0_10empty_typeEbEEZZNS1_14partition_implILS8_3ELb0ES6_jNS0_17counting_iteratorIjlEEPS9_SE_NS0_5tupleIJPjSE_EEENSF_IJSE_SE_EEES9_SG_JZNS1_25segmented_radix_sort_implINS0_14default_configELb1EPKlPlSM_SN_N2at6native12_GLOBAL__N_18offset_tEEE10hipError_tPvRmT1_PNSt15iterator_traitsISV_E10value_typeET2_T3_PNSW_IS11_E10value_typeET4_jRbjT5_S17_jjP12ihipStream_tbEUljE_EEESS_ST_SU_S11_S15_S17_T6_T7_T9_mT8_S19_bDpT10_ENKUlT_T0_E_clISt17integral_constantIbLb1EES1M_EEDaS1H_S1I_EUlS1H_E_NS1_11comp_targetILNS1_3genE5ELNS1_11target_archE942ELNS1_3gpuE9ELNS1_3repE0EEENS1_30default_config_static_selectorELNS0_4arch9wavefront6targetE1EEEvSV_,"axG",@progbits,_ZN7rocprim17ROCPRIM_400000_NS6detail17trampoline_kernelINS0_13select_configILj256ELj13ELNS0_17block_load_methodE3ELS4_3ELS4_3ELNS0_20block_scan_algorithmE0ELj4294967295EEENS1_25partition_config_selectorILNS1_17partition_subalgoE3EjNS0_10empty_typeEbEEZZNS1_14partition_implILS8_3ELb0ES6_jNS0_17counting_iteratorIjlEEPS9_SE_NS0_5tupleIJPjSE_EEENSF_IJSE_SE_EEES9_SG_JZNS1_25segmented_radix_sort_implINS0_14default_configELb1EPKlPlSM_SN_N2at6native12_GLOBAL__N_18offset_tEEE10hipError_tPvRmT1_PNSt15iterator_traitsISV_E10value_typeET2_T3_PNSW_IS11_E10value_typeET4_jRbjT5_S17_jjP12ihipStream_tbEUljE_EEESS_ST_SU_S11_S15_S17_T6_T7_T9_mT8_S19_bDpT10_ENKUlT_T0_E_clISt17integral_constantIbLb1EES1M_EEDaS1H_S1I_EUlS1H_E_NS1_11comp_targetILNS1_3genE5ELNS1_11target_archE942ELNS1_3gpuE9ELNS1_3repE0EEENS1_30default_config_static_selectorELNS0_4arch9wavefront6targetE1EEEvSV_,comdat
	.globl	_ZN7rocprim17ROCPRIM_400000_NS6detail17trampoline_kernelINS0_13select_configILj256ELj13ELNS0_17block_load_methodE3ELS4_3ELS4_3ELNS0_20block_scan_algorithmE0ELj4294967295EEENS1_25partition_config_selectorILNS1_17partition_subalgoE3EjNS0_10empty_typeEbEEZZNS1_14partition_implILS8_3ELb0ES6_jNS0_17counting_iteratorIjlEEPS9_SE_NS0_5tupleIJPjSE_EEENSF_IJSE_SE_EEES9_SG_JZNS1_25segmented_radix_sort_implINS0_14default_configELb1EPKlPlSM_SN_N2at6native12_GLOBAL__N_18offset_tEEE10hipError_tPvRmT1_PNSt15iterator_traitsISV_E10value_typeET2_T3_PNSW_IS11_E10value_typeET4_jRbjT5_S17_jjP12ihipStream_tbEUljE_EEESS_ST_SU_S11_S15_S17_T6_T7_T9_mT8_S19_bDpT10_ENKUlT_T0_E_clISt17integral_constantIbLb1EES1M_EEDaS1H_S1I_EUlS1H_E_NS1_11comp_targetILNS1_3genE5ELNS1_11target_archE942ELNS1_3gpuE9ELNS1_3repE0EEENS1_30default_config_static_selectorELNS0_4arch9wavefront6targetE1EEEvSV_ ; -- Begin function _ZN7rocprim17ROCPRIM_400000_NS6detail17trampoline_kernelINS0_13select_configILj256ELj13ELNS0_17block_load_methodE3ELS4_3ELS4_3ELNS0_20block_scan_algorithmE0ELj4294967295EEENS1_25partition_config_selectorILNS1_17partition_subalgoE3EjNS0_10empty_typeEbEEZZNS1_14partition_implILS8_3ELb0ES6_jNS0_17counting_iteratorIjlEEPS9_SE_NS0_5tupleIJPjSE_EEENSF_IJSE_SE_EEES9_SG_JZNS1_25segmented_radix_sort_implINS0_14default_configELb1EPKlPlSM_SN_N2at6native12_GLOBAL__N_18offset_tEEE10hipError_tPvRmT1_PNSt15iterator_traitsISV_E10value_typeET2_T3_PNSW_IS11_E10value_typeET4_jRbjT5_S17_jjP12ihipStream_tbEUljE_EEESS_ST_SU_S11_S15_S17_T6_T7_T9_mT8_S19_bDpT10_ENKUlT_T0_E_clISt17integral_constantIbLb1EES1M_EEDaS1H_S1I_EUlS1H_E_NS1_11comp_targetILNS1_3genE5ELNS1_11target_archE942ELNS1_3gpuE9ELNS1_3repE0EEENS1_30default_config_static_selectorELNS0_4arch9wavefront6targetE1EEEvSV_
	.p2align	8
	.type	_ZN7rocprim17ROCPRIM_400000_NS6detail17trampoline_kernelINS0_13select_configILj256ELj13ELNS0_17block_load_methodE3ELS4_3ELS4_3ELNS0_20block_scan_algorithmE0ELj4294967295EEENS1_25partition_config_selectorILNS1_17partition_subalgoE3EjNS0_10empty_typeEbEEZZNS1_14partition_implILS8_3ELb0ES6_jNS0_17counting_iteratorIjlEEPS9_SE_NS0_5tupleIJPjSE_EEENSF_IJSE_SE_EEES9_SG_JZNS1_25segmented_radix_sort_implINS0_14default_configELb1EPKlPlSM_SN_N2at6native12_GLOBAL__N_18offset_tEEE10hipError_tPvRmT1_PNSt15iterator_traitsISV_E10value_typeET2_T3_PNSW_IS11_E10value_typeET4_jRbjT5_S17_jjP12ihipStream_tbEUljE_EEESS_ST_SU_S11_S15_S17_T6_T7_T9_mT8_S19_bDpT10_ENKUlT_T0_E_clISt17integral_constantIbLb1EES1M_EEDaS1H_S1I_EUlS1H_E_NS1_11comp_targetILNS1_3genE5ELNS1_11target_archE942ELNS1_3gpuE9ELNS1_3repE0EEENS1_30default_config_static_selectorELNS0_4arch9wavefront6targetE1EEEvSV_,@function
_ZN7rocprim17ROCPRIM_400000_NS6detail17trampoline_kernelINS0_13select_configILj256ELj13ELNS0_17block_load_methodE3ELS4_3ELS4_3ELNS0_20block_scan_algorithmE0ELj4294967295EEENS1_25partition_config_selectorILNS1_17partition_subalgoE3EjNS0_10empty_typeEbEEZZNS1_14partition_implILS8_3ELb0ES6_jNS0_17counting_iteratorIjlEEPS9_SE_NS0_5tupleIJPjSE_EEENSF_IJSE_SE_EEES9_SG_JZNS1_25segmented_radix_sort_implINS0_14default_configELb1EPKlPlSM_SN_N2at6native12_GLOBAL__N_18offset_tEEE10hipError_tPvRmT1_PNSt15iterator_traitsISV_E10value_typeET2_T3_PNSW_IS11_E10value_typeET4_jRbjT5_S17_jjP12ihipStream_tbEUljE_EEESS_ST_SU_S11_S15_S17_T6_T7_T9_mT8_S19_bDpT10_ENKUlT_T0_E_clISt17integral_constantIbLb1EES1M_EEDaS1H_S1I_EUlS1H_E_NS1_11comp_targetILNS1_3genE5ELNS1_11target_archE942ELNS1_3gpuE9ELNS1_3repE0EEENS1_30default_config_static_selectorELNS0_4arch9wavefront6targetE1EEEvSV_: ; @_ZN7rocprim17ROCPRIM_400000_NS6detail17trampoline_kernelINS0_13select_configILj256ELj13ELNS0_17block_load_methodE3ELS4_3ELS4_3ELNS0_20block_scan_algorithmE0ELj4294967295EEENS1_25partition_config_selectorILNS1_17partition_subalgoE3EjNS0_10empty_typeEbEEZZNS1_14partition_implILS8_3ELb0ES6_jNS0_17counting_iteratorIjlEEPS9_SE_NS0_5tupleIJPjSE_EEENSF_IJSE_SE_EEES9_SG_JZNS1_25segmented_radix_sort_implINS0_14default_configELb1EPKlPlSM_SN_N2at6native12_GLOBAL__N_18offset_tEEE10hipError_tPvRmT1_PNSt15iterator_traitsISV_E10value_typeET2_T3_PNSW_IS11_E10value_typeET4_jRbjT5_S17_jjP12ihipStream_tbEUljE_EEESS_ST_SU_S11_S15_S17_T6_T7_T9_mT8_S19_bDpT10_ENKUlT_T0_E_clISt17integral_constantIbLb1EES1M_EEDaS1H_S1I_EUlS1H_E_NS1_11comp_targetILNS1_3genE5ELNS1_11target_archE942ELNS1_3gpuE9ELNS1_3repE0EEENS1_30default_config_static_selectorELNS0_4arch9wavefront6targetE1EEEvSV_
; %bb.0:
	.section	.rodata,"a",@progbits
	.p2align	6, 0x0
	.amdhsa_kernel _ZN7rocprim17ROCPRIM_400000_NS6detail17trampoline_kernelINS0_13select_configILj256ELj13ELNS0_17block_load_methodE3ELS4_3ELS4_3ELNS0_20block_scan_algorithmE0ELj4294967295EEENS1_25partition_config_selectorILNS1_17partition_subalgoE3EjNS0_10empty_typeEbEEZZNS1_14partition_implILS8_3ELb0ES6_jNS0_17counting_iteratorIjlEEPS9_SE_NS0_5tupleIJPjSE_EEENSF_IJSE_SE_EEES9_SG_JZNS1_25segmented_radix_sort_implINS0_14default_configELb1EPKlPlSM_SN_N2at6native12_GLOBAL__N_18offset_tEEE10hipError_tPvRmT1_PNSt15iterator_traitsISV_E10value_typeET2_T3_PNSW_IS11_E10value_typeET4_jRbjT5_S17_jjP12ihipStream_tbEUljE_EEESS_ST_SU_S11_S15_S17_T6_T7_T9_mT8_S19_bDpT10_ENKUlT_T0_E_clISt17integral_constantIbLb1EES1M_EEDaS1H_S1I_EUlS1H_E_NS1_11comp_targetILNS1_3genE5ELNS1_11target_archE942ELNS1_3gpuE9ELNS1_3repE0EEENS1_30default_config_static_selectorELNS0_4arch9wavefront6targetE1EEEvSV_
		.amdhsa_group_segment_fixed_size 0
		.amdhsa_private_segment_fixed_size 0
		.amdhsa_kernarg_size 152
		.amdhsa_user_sgpr_count 6
		.amdhsa_user_sgpr_private_segment_buffer 1
		.amdhsa_user_sgpr_dispatch_ptr 0
		.amdhsa_user_sgpr_queue_ptr 0
		.amdhsa_user_sgpr_kernarg_segment_ptr 1
		.amdhsa_user_sgpr_dispatch_id 0
		.amdhsa_user_sgpr_flat_scratch_init 0
		.amdhsa_user_sgpr_private_segment_size 0
		.amdhsa_uses_dynamic_stack 0
		.amdhsa_system_sgpr_private_segment_wavefront_offset 0
		.amdhsa_system_sgpr_workgroup_id_x 1
		.amdhsa_system_sgpr_workgroup_id_y 0
		.amdhsa_system_sgpr_workgroup_id_z 0
		.amdhsa_system_sgpr_workgroup_info 0
		.amdhsa_system_vgpr_workitem_id 0
		.amdhsa_next_free_vgpr 1
		.amdhsa_next_free_sgpr 0
		.amdhsa_reserve_vcc 0
		.amdhsa_reserve_flat_scratch 0
		.amdhsa_float_round_mode_32 0
		.amdhsa_float_round_mode_16_64 0
		.amdhsa_float_denorm_mode_32 3
		.amdhsa_float_denorm_mode_16_64 3
		.amdhsa_dx10_clamp 1
		.amdhsa_ieee_mode 1
		.amdhsa_fp16_overflow 0
		.amdhsa_exception_fp_ieee_invalid_op 0
		.amdhsa_exception_fp_denorm_src 0
		.amdhsa_exception_fp_ieee_div_zero 0
		.amdhsa_exception_fp_ieee_overflow 0
		.amdhsa_exception_fp_ieee_underflow 0
		.amdhsa_exception_fp_ieee_inexact 0
		.amdhsa_exception_int_div_zero 0
	.end_amdhsa_kernel
	.section	.text._ZN7rocprim17ROCPRIM_400000_NS6detail17trampoline_kernelINS0_13select_configILj256ELj13ELNS0_17block_load_methodE3ELS4_3ELS4_3ELNS0_20block_scan_algorithmE0ELj4294967295EEENS1_25partition_config_selectorILNS1_17partition_subalgoE3EjNS0_10empty_typeEbEEZZNS1_14partition_implILS8_3ELb0ES6_jNS0_17counting_iteratorIjlEEPS9_SE_NS0_5tupleIJPjSE_EEENSF_IJSE_SE_EEES9_SG_JZNS1_25segmented_radix_sort_implINS0_14default_configELb1EPKlPlSM_SN_N2at6native12_GLOBAL__N_18offset_tEEE10hipError_tPvRmT1_PNSt15iterator_traitsISV_E10value_typeET2_T3_PNSW_IS11_E10value_typeET4_jRbjT5_S17_jjP12ihipStream_tbEUljE_EEESS_ST_SU_S11_S15_S17_T6_T7_T9_mT8_S19_bDpT10_ENKUlT_T0_E_clISt17integral_constantIbLb1EES1M_EEDaS1H_S1I_EUlS1H_E_NS1_11comp_targetILNS1_3genE5ELNS1_11target_archE942ELNS1_3gpuE9ELNS1_3repE0EEENS1_30default_config_static_selectorELNS0_4arch9wavefront6targetE1EEEvSV_,"axG",@progbits,_ZN7rocprim17ROCPRIM_400000_NS6detail17trampoline_kernelINS0_13select_configILj256ELj13ELNS0_17block_load_methodE3ELS4_3ELS4_3ELNS0_20block_scan_algorithmE0ELj4294967295EEENS1_25partition_config_selectorILNS1_17partition_subalgoE3EjNS0_10empty_typeEbEEZZNS1_14partition_implILS8_3ELb0ES6_jNS0_17counting_iteratorIjlEEPS9_SE_NS0_5tupleIJPjSE_EEENSF_IJSE_SE_EEES9_SG_JZNS1_25segmented_radix_sort_implINS0_14default_configELb1EPKlPlSM_SN_N2at6native12_GLOBAL__N_18offset_tEEE10hipError_tPvRmT1_PNSt15iterator_traitsISV_E10value_typeET2_T3_PNSW_IS11_E10value_typeET4_jRbjT5_S17_jjP12ihipStream_tbEUljE_EEESS_ST_SU_S11_S15_S17_T6_T7_T9_mT8_S19_bDpT10_ENKUlT_T0_E_clISt17integral_constantIbLb1EES1M_EEDaS1H_S1I_EUlS1H_E_NS1_11comp_targetILNS1_3genE5ELNS1_11target_archE942ELNS1_3gpuE9ELNS1_3repE0EEENS1_30default_config_static_selectorELNS0_4arch9wavefront6targetE1EEEvSV_,comdat
.Lfunc_end681:
	.size	_ZN7rocprim17ROCPRIM_400000_NS6detail17trampoline_kernelINS0_13select_configILj256ELj13ELNS0_17block_load_methodE3ELS4_3ELS4_3ELNS0_20block_scan_algorithmE0ELj4294967295EEENS1_25partition_config_selectorILNS1_17partition_subalgoE3EjNS0_10empty_typeEbEEZZNS1_14partition_implILS8_3ELb0ES6_jNS0_17counting_iteratorIjlEEPS9_SE_NS0_5tupleIJPjSE_EEENSF_IJSE_SE_EEES9_SG_JZNS1_25segmented_radix_sort_implINS0_14default_configELb1EPKlPlSM_SN_N2at6native12_GLOBAL__N_18offset_tEEE10hipError_tPvRmT1_PNSt15iterator_traitsISV_E10value_typeET2_T3_PNSW_IS11_E10value_typeET4_jRbjT5_S17_jjP12ihipStream_tbEUljE_EEESS_ST_SU_S11_S15_S17_T6_T7_T9_mT8_S19_bDpT10_ENKUlT_T0_E_clISt17integral_constantIbLb1EES1M_EEDaS1H_S1I_EUlS1H_E_NS1_11comp_targetILNS1_3genE5ELNS1_11target_archE942ELNS1_3gpuE9ELNS1_3repE0EEENS1_30default_config_static_selectorELNS0_4arch9wavefront6targetE1EEEvSV_, .Lfunc_end681-_ZN7rocprim17ROCPRIM_400000_NS6detail17trampoline_kernelINS0_13select_configILj256ELj13ELNS0_17block_load_methodE3ELS4_3ELS4_3ELNS0_20block_scan_algorithmE0ELj4294967295EEENS1_25partition_config_selectorILNS1_17partition_subalgoE3EjNS0_10empty_typeEbEEZZNS1_14partition_implILS8_3ELb0ES6_jNS0_17counting_iteratorIjlEEPS9_SE_NS0_5tupleIJPjSE_EEENSF_IJSE_SE_EEES9_SG_JZNS1_25segmented_radix_sort_implINS0_14default_configELb1EPKlPlSM_SN_N2at6native12_GLOBAL__N_18offset_tEEE10hipError_tPvRmT1_PNSt15iterator_traitsISV_E10value_typeET2_T3_PNSW_IS11_E10value_typeET4_jRbjT5_S17_jjP12ihipStream_tbEUljE_EEESS_ST_SU_S11_S15_S17_T6_T7_T9_mT8_S19_bDpT10_ENKUlT_T0_E_clISt17integral_constantIbLb1EES1M_EEDaS1H_S1I_EUlS1H_E_NS1_11comp_targetILNS1_3genE5ELNS1_11target_archE942ELNS1_3gpuE9ELNS1_3repE0EEENS1_30default_config_static_selectorELNS0_4arch9wavefront6targetE1EEEvSV_
                                        ; -- End function
	.set _ZN7rocprim17ROCPRIM_400000_NS6detail17trampoline_kernelINS0_13select_configILj256ELj13ELNS0_17block_load_methodE3ELS4_3ELS4_3ELNS0_20block_scan_algorithmE0ELj4294967295EEENS1_25partition_config_selectorILNS1_17partition_subalgoE3EjNS0_10empty_typeEbEEZZNS1_14partition_implILS8_3ELb0ES6_jNS0_17counting_iteratorIjlEEPS9_SE_NS0_5tupleIJPjSE_EEENSF_IJSE_SE_EEES9_SG_JZNS1_25segmented_radix_sort_implINS0_14default_configELb1EPKlPlSM_SN_N2at6native12_GLOBAL__N_18offset_tEEE10hipError_tPvRmT1_PNSt15iterator_traitsISV_E10value_typeET2_T3_PNSW_IS11_E10value_typeET4_jRbjT5_S17_jjP12ihipStream_tbEUljE_EEESS_ST_SU_S11_S15_S17_T6_T7_T9_mT8_S19_bDpT10_ENKUlT_T0_E_clISt17integral_constantIbLb1EES1M_EEDaS1H_S1I_EUlS1H_E_NS1_11comp_targetILNS1_3genE5ELNS1_11target_archE942ELNS1_3gpuE9ELNS1_3repE0EEENS1_30default_config_static_selectorELNS0_4arch9wavefront6targetE1EEEvSV_.num_vgpr, 0
	.set _ZN7rocprim17ROCPRIM_400000_NS6detail17trampoline_kernelINS0_13select_configILj256ELj13ELNS0_17block_load_methodE3ELS4_3ELS4_3ELNS0_20block_scan_algorithmE0ELj4294967295EEENS1_25partition_config_selectorILNS1_17partition_subalgoE3EjNS0_10empty_typeEbEEZZNS1_14partition_implILS8_3ELb0ES6_jNS0_17counting_iteratorIjlEEPS9_SE_NS0_5tupleIJPjSE_EEENSF_IJSE_SE_EEES9_SG_JZNS1_25segmented_radix_sort_implINS0_14default_configELb1EPKlPlSM_SN_N2at6native12_GLOBAL__N_18offset_tEEE10hipError_tPvRmT1_PNSt15iterator_traitsISV_E10value_typeET2_T3_PNSW_IS11_E10value_typeET4_jRbjT5_S17_jjP12ihipStream_tbEUljE_EEESS_ST_SU_S11_S15_S17_T6_T7_T9_mT8_S19_bDpT10_ENKUlT_T0_E_clISt17integral_constantIbLb1EES1M_EEDaS1H_S1I_EUlS1H_E_NS1_11comp_targetILNS1_3genE5ELNS1_11target_archE942ELNS1_3gpuE9ELNS1_3repE0EEENS1_30default_config_static_selectorELNS0_4arch9wavefront6targetE1EEEvSV_.num_agpr, 0
	.set _ZN7rocprim17ROCPRIM_400000_NS6detail17trampoline_kernelINS0_13select_configILj256ELj13ELNS0_17block_load_methodE3ELS4_3ELS4_3ELNS0_20block_scan_algorithmE0ELj4294967295EEENS1_25partition_config_selectorILNS1_17partition_subalgoE3EjNS0_10empty_typeEbEEZZNS1_14partition_implILS8_3ELb0ES6_jNS0_17counting_iteratorIjlEEPS9_SE_NS0_5tupleIJPjSE_EEENSF_IJSE_SE_EEES9_SG_JZNS1_25segmented_radix_sort_implINS0_14default_configELb1EPKlPlSM_SN_N2at6native12_GLOBAL__N_18offset_tEEE10hipError_tPvRmT1_PNSt15iterator_traitsISV_E10value_typeET2_T3_PNSW_IS11_E10value_typeET4_jRbjT5_S17_jjP12ihipStream_tbEUljE_EEESS_ST_SU_S11_S15_S17_T6_T7_T9_mT8_S19_bDpT10_ENKUlT_T0_E_clISt17integral_constantIbLb1EES1M_EEDaS1H_S1I_EUlS1H_E_NS1_11comp_targetILNS1_3genE5ELNS1_11target_archE942ELNS1_3gpuE9ELNS1_3repE0EEENS1_30default_config_static_selectorELNS0_4arch9wavefront6targetE1EEEvSV_.numbered_sgpr, 0
	.set _ZN7rocprim17ROCPRIM_400000_NS6detail17trampoline_kernelINS0_13select_configILj256ELj13ELNS0_17block_load_methodE3ELS4_3ELS4_3ELNS0_20block_scan_algorithmE0ELj4294967295EEENS1_25partition_config_selectorILNS1_17partition_subalgoE3EjNS0_10empty_typeEbEEZZNS1_14partition_implILS8_3ELb0ES6_jNS0_17counting_iteratorIjlEEPS9_SE_NS0_5tupleIJPjSE_EEENSF_IJSE_SE_EEES9_SG_JZNS1_25segmented_radix_sort_implINS0_14default_configELb1EPKlPlSM_SN_N2at6native12_GLOBAL__N_18offset_tEEE10hipError_tPvRmT1_PNSt15iterator_traitsISV_E10value_typeET2_T3_PNSW_IS11_E10value_typeET4_jRbjT5_S17_jjP12ihipStream_tbEUljE_EEESS_ST_SU_S11_S15_S17_T6_T7_T9_mT8_S19_bDpT10_ENKUlT_T0_E_clISt17integral_constantIbLb1EES1M_EEDaS1H_S1I_EUlS1H_E_NS1_11comp_targetILNS1_3genE5ELNS1_11target_archE942ELNS1_3gpuE9ELNS1_3repE0EEENS1_30default_config_static_selectorELNS0_4arch9wavefront6targetE1EEEvSV_.num_named_barrier, 0
	.set _ZN7rocprim17ROCPRIM_400000_NS6detail17trampoline_kernelINS0_13select_configILj256ELj13ELNS0_17block_load_methodE3ELS4_3ELS4_3ELNS0_20block_scan_algorithmE0ELj4294967295EEENS1_25partition_config_selectorILNS1_17partition_subalgoE3EjNS0_10empty_typeEbEEZZNS1_14partition_implILS8_3ELb0ES6_jNS0_17counting_iteratorIjlEEPS9_SE_NS0_5tupleIJPjSE_EEENSF_IJSE_SE_EEES9_SG_JZNS1_25segmented_radix_sort_implINS0_14default_configELb1EPKlPlSM_SN_N2at6native12_GLOBAL__N_18offset_tEEE10hipError_tPvRmT1_PNSt15iterator_traitsISV_E10value_typeET2_T3_PNSW_IS11_E10value_typeET4_jRbjT5_S17_jjP12ihipStream_tbEUljE_EEESS_ST_SU_S11_S15_S17_T6_T7_T9_mT8_S19_bDpT10_ENKUlT_T0_E_clISt17integral_constantIbLb1EES1M_EEDaS1H_S1I_EUlS1H_E_NS1_11comp_targetILNS1_3genE5ELNS1_11target_archE942ELNS1_3gpuE9ELNS1_3repE0EEENS1_30default_config_static_selectorELNS0_4arch9wavefront6targetE1EEEvSV_.private_seg_size, 0
	.set _ZN7rocprim17ROCPRIM_400000_NS6detail17trampoline_kernelINS0_13select_configILj256ELj13ELNS0_17block_load_methodE3ELS4_3ELS4_3ELNS0_20block_scan_algorithmE0ELj4294967295EEENS1_25partition_config_selectorILNS1_17partition_subalgoE3EjNS0_10empty_typeEbEEZZNS1_14partition_implILS8_3ELb0ES6_jNS0_17counting_iteratorIjlEEPS9_SE_NS0_5tupleIJPjSE_EEENSF_IJSE_SE_EEES9_SG_JZNS1_25segmented_radix_sort_implINS0_14default_configELb1EPKlPlSM_SN_N2at6native12_GLOBAL__N_18offset_tEEE10hipError_tPvRmT1_PNSt15iterator_traitsISV_E10value_typeET2_T3_PNSW_IS11_E10value_typeET4_jRbjT5_S17_jjP12ihipStream_tbEUljE_EEESS_ST_SU_S11_S15_S17_T6_T7_T9_mT8_S19_bDpT10_ENKUlT_T0_E_clISt17integral_constantIbLb1EES1M_EEDaS1H_S1I_EUlS1H_E_NS1_11comp_targetILNS1_3genE5ELNS1_11target_archE942ELNS1_3gpuE9ELNS1_3repE0EEENS1_30default_config_static_selectorELNS0_4arch9wavefront6targetE1EEEvSV_.uses_vcc, 0
	.set _ZN7rocprim17ROCPRIM_400000_NS6detail17trampoline_kernelINS0_13select_configILj256ELj13ELNS0_17block_load_methodE3ELS4_3ELS4_3ELNS0_20block_scan_algorithmE0ELj4294967295EEENS1_25partition_config_selectorILNS1_17partition_subalgoE3EjNS0_10empty_typeEbEEZZNS1_14partition_implILS8_3ELb0ES6_jNS0_17counting_iteratorIjlEEPS9_SE_NS0_5tupleIJPjSE_EEENSF_IJSE_SE_EEES9_SG_JZNS1_25segmented_radix_sort_implINS0_14default_configELb1EPKlPlSM_SN_N2at6native12_GLOBAL__N_18offset_tEEE10hipError_tPvRmT1_PNSt15iterator_traitsISV_E10value_typeET2_T3_PNSW_IS11_E10value_typeET4_jRbjT5_S17_jjP12ihipStream_tbEUljE_EEESS_ST_SU_S11_S15_S17_T6_T7_T9_mT8_S19_bDpT10_ENKUlT_T0_E_clISt17integral_constantIbLb1EES1M_EEDaS1H_S1I_EUlS1H_E_NS1_11comp_targetILNS1_3genE5ELNS1_11target_archE942ELNS1_3gpuE9ELNS1_3repE0EEENS1_30default_config_static_selectorELNS0_4arch9wavefront6targetE1EEEvSV_.uses_flat_scratch, 0
	.set _ZN7rocprim17ROCPRIM_400000_NS6detail17trampoline_kernelINS0_13select_configILj256ELj13ELNS0_17block_load_methodE3ELS4_3ELS4_3ELNS0_20block_scan_algorithmE0ELj4294967295EEENS1_25partition_config_selectorILNS1_17partition_subalgoE3EjNS0_10empty_typeEbEEZZNS1_14partition_implILS8_3ELb0ES6_jNS0_17counting_iteratorIjlEEPS9_SE_NS0_5tupleIJPjSE_EEENSF_IJSE_SE_EEES9_SG_JZNS1_25segmented_radix_sort_implINS0_14default_configELb1EPKlPlSM_SN_N2at6native12_GLOBAL__N_18offset_tEEE10hipError_tPvRmT1_PNSt15iterator_traitsISV_E10value_typeET2_T3_PNSW_IS11_E10value_typeET4_jRbjT5_S17_jjP12ihipStream_tbEUljE_EEESS_ST_SU_S11_S15_S17_T6_T7_T9_mT8_S19_bDpT10_ENKUlT_T0_E_clISt17integral_constantIbLb1EES1M_EEDaS1H_S1I_EUlS1H_E_NS1_11comp_targetILNS1_3genE5ELNS1_11target_archE942ELNS1_3gpuE9ELNS1_3repE0EEENS1_30default_config_static_selectorELNS0_4arch9wavefront6targetE1EEEvSV_.has_dyn_sized_stack, 0
	.set _ZN7rocprim17ROCPRIM_400000_NS6detail17trampoline_kernelINS0_13select_configILj256ELj13ELNS0_17block_load_methodE3ELS4_3ELS4_3ELNS0_20block_scan_algorithmE0ELj4294967295EEENS1_25partition_config_selectorILNS1_17partition_subalgoE3EjNS0_10empty_typeEbEEZZNS1_14partition_implILS8_3ELb0ES6_jNS0_17counting_iteratorIjlEEPS9_SE_NS0_5tupleIJPjSE_EEENSF_IJSE_SE_EEES9_SG_JZNS1_25segmented_radix_sort_implINS0_14default_configELb1EPKlPlSM_SN_N2at6native12_GLOBAL__N_18offset_tEEE10hipError_tPvRmT1_PNSt15iterator_traitsISV_E10value_typeET2_T3_PNSW_IS11_E10value_typeET4_jRbjT5_S17_jjP12ihipStream_tbEUljE_EEESS_ST_SU_S11_S15_S17_T6_T7_T9_mT8_S19_bDpT10_ENKUlT_T0_E_clISt17integral_constantIbLb1EES1M_EEDaS1H_S1I_EUlS1H_E_NS1_11comp_targetILNS1_3genE5ELNS1_11target_archE942ELNS1_3gpuE9ELNS1_3repE0EEENS1_30default_config_static_selectorELNS0_4arch9wavefront6targetE1EEEvSV_.has_recursion, 0
	.set _ZN7rocprim17ROCPRIM_400000_NS6detail17trampoline_kernelINS0_13select_configILj256ELj13ELNS0_17block_load_methodE3ELS4_3ELS4_3ELNS0_20block_scan_algorithmE0ELj4294967295EEENS1_25partition_config_selectorILNS1_17partition_subalgoE3EjNS0_10empty_typeEbEEZZNS1_14partition_implILS8_3ELb0ES6_jNS0_17counting_iteratorIjlEEPS9_SE_NS0_5tupleIJPjSE_EEENSF_IJSE_SE_EEES9_SG_JZNS1_25segmented_radix_sort_implINS0_14default_configELb1EPKlPlSM_SN_N2at6native12_GLOBAL__N_18offset_tEEE10hipError_tPvRmT1_PNSt15iterator_traitsISV_E10value_typeET2_T3_PNSW_IS11_E10value_typeET4_jRbjT5_S17_jjP12ihipStream_tbEUljE_EEESS_ST_SU_S11_S15_S17_T6_T7_T9_mT8_S19_bDpT10_ENKUlT_T0_E_clISt17integral_constantIbLb1EES1M_EEDaS1H_S1I_EUlS1H_E_NS1_11comp_targetILNS1_3genE5ELNS1_11target_archE942ELNS1_3gpuE9ELNS1_3repE0EEENS1_30default_config_static_selectorELNS0_4arch9wavefront6targetE1EEEvSV_.has_indirect_call, 0
	.section	.AMDGPU.csdata,"",@progbits
; Kernel info:
; codeLenInByte = 0
; TotalNumSgprs: 4
; NumVgprs: 0
; ScratchSize: 0
; MemoryBound: 0
; FloatMode: 240
; IeeeMode: 1
; LDSByteSize: 0 bytes/workgroup (compile time only)
; SGPRBlocks: 0
; VGPRBlocks: 0
; NumSGPRsForWavesPerEU: 4
; NumVGPRsForWavesPerEU: 1
; Occupancy: 10
; WaveLimiterHint : 0
; COMPUTE_PGM_RSRC2:SCRATCH_EN: 0
; COMPUTE_PGM_RSRC2:USER_SGPR: 6
; COMPUTE_PGM_RSRC2:TRAP_HANDLER: 0
; COMPUTE_PGM_RSRC2:TGID_X_EN: 1
; COMPUTE_PGM_RSRC2:TGID_Y_EN: 0
; COMPUTE_PGM_RSRC2:TGID_Z_EN: 0
; COMPUTE_PGM_RSRC2:TIDIG_COMP_CNT: 0
	.section	.text._ZN7rocprim17ROCPRIM_400000_NS6detail17trampoline_kernelINS0_13select_configILj256ELj13ELNS0_17block_load_methodE3ELS4_3ELS4_3ELNS0_20block_scan_algorithmE0ELj4294967295EEENS1_25partition_config_selectorILNS1_17partition_subalgoE3EjNS0_10empty_typeEbEEZZNS1_14partition_implILS8_3ELb0ES6_jNS0_17counting_iteratorIjlEEPS9_SE_NS0_5tupleIJPjSE_EEENSF_IJSE_SE_EEES9_SG_JZNS1_25segmented_radix_sort_implINS0_14default_configELb1EPKlPlSM_SN_N2at6native12_GLOBAL__N_18offset_tEEE10hipError_tPvRmT1_PNSt15iterator_traitsISV_E10value_typeET2_T3_PNSW_IS11_E10value_typeET4_jRbjT5_S17_jjP12ihipStream_tbEUljE_EEESS_ST_SU_S11_S15_S17_T6_T7_T9_mT8_S19_bDpT10_ENKUlT_T0_E_clISt17integral_constantIbLb1EES1M_EEDaS1H_S1I_EUlS1H_E_NS1_11comp_targetILNS1_3genE4ELNS1_11target_archE910ELNS1_3gpuE8ELNS1_3repE0EEENS1_30default_config_static_selectorELNS0_4arch9wavefront6targetE1EEEvSV_,"axG",@progbits,_ZN7rocprim17ROCPRIM_400000_NS6detail17trampoline_kernelINS0_13select_configILj256ELj13ELNS0_17block_load_methodE3ELS4_3ELS4_3ELNS0_20block_scan_algorithmE0ELj4294967295EEENS1_25partition_config_selectorILNS1_17partition_subalgoE3EjNS0_10empty_typeEbEEZZNS1_14partition_implILS8_3ELb0ES6_jNS0_17counting_iteratorIjlEEPS9_SE_NS0_5tupleIJPjSE_EEENSF_IJSE_SE_EEES9_SG_JZNS1_25segmented_radix_sort_implINS0_14default_configELb1EPKlPlSM_SN_N2at6native12_GLOBAL__N_18offset_tEEE10hipError_tPvRmT1_PNSt15iterator_traitsISV_E10value_typeET2_T3_PNSW_IS11_E10value_typeET4_jRbjT5_S17_jjP12ihipStream_tbEUljE_EEESS_ST_SU_S11_S15_S17_T6_T7_T9_mT8_S19_bDpT10_ENKUlT_T0_E_clISt17integral_constantIbLb1EES1M_EEDaS1H_S1I_EUlS1H_E_NS1_11comp_targetILNS1_3genE4ELNS1_11target_archE910ELNS1_3gpuE8ELNS1_3repE0EEENS1_30default_config_static_selectorELNS0_4arch9wavefront6targetE1EEEvSV_,comdat
	.globl	_ZN7rocprim17ROCPRIM_400000_NS6detail17trampoline_kernelINS0_13select_configILj256ELj13ELNS0_17block_load_methodE3ELS4_3ELS4_3ELNS0_20block_scan_algorithmE0ELj4294967295EEENS1_25partition_config_selectorILNS1_17partition_subalgoE3EjNS0_10empty_typeEbEEZZNS1_14partition_implILS8_3ELb0ES6_jNS0_17counting_iteratorIjlEEPS9_SE_NS0_5tupleIJPjSE_EEENSF_IJSE_SE_EEES9_SG_JZNS1_25segmented_radix_sort_implINS0_14default_configELb1EPKlPlSM_SN_N2at6native12_GLOBAL__N_18offset_tEEE10hipError_tPvRmT1_PNSt15iterator_traitsISV_E10value_typeET2_T3_PNSW_IS11_E10value_typeET4_jRbjT5_S17_jjP12ihipStream_tbEUljE_EEESS_ST_SU_S11_S15_S17_T6_T7_T9_mT8_S19_bDpT10_ENKUlT_T0_E_clISt17integral_constantIbLb1EES1M_EEDaS1H_S1I_EUlS1H_E_NS1_11comp_targetILNS1_3genE4ELNS1_11target_archE910ELNS1_3gpuE8ELNS1_3repE0EEENS1_30default_config_static_selectorELNS0_4arch9wavefront6targetE1EEEvSV_ ; -- Begin function _ZN7rocprim17ROCPRIM_400000_NS6detail17trampoline_kernelINS0_13select_configILj256ELj13ELNS0_17block_load_methodE3ELS4_3ELS4_3ELNS0_20block_scan_algorithmE0ELj4294967295EEENS1_25partition_config_selectorILNS1_17partition_subalgoE3EjNS0_10empty_typeEbEEZZNS1_14partition_implILS8_3ELb0ES6_jNS0_17counting_iteratorIjlEEPS9_SE_NS0_5tupleIJPjSE_EEENSF_IJSE_SE_EEES9_SG_JZNS1_25segmented_radix_sort_implINS0_14default_configELb1EPKlPlSM_SN_N2at6native12_GLOBAL__N_18offset_tEEE10hipError_tPvRmT1_PNSt15iterator_traitsISV_E10value_typeET2_T3_PNSW_IS11_E10value_typeET4_jRbjT5_S17_jjP12ihipStream_tbEUljE_EEESS_ST_SU_S11_S15_S17_T6_T7_T9_mT8_S19_bDpT10_ENKUlT_T0_E_clISt17integral_constantIbLb1EES1M_EEDaS1H_S1I_EUlS1H_E_NS1_11comp_targetILNS1_3genE4ELNS1_11target_archE910ELNS1_3gpuE8ELNS1_3repE0EEENS1_30default_config_static_selectorELNS0_4arch9wavefront6targetE1EEEvSV_
	.p2align	8
	.type	_ZN7rocprim17ROCPRIM_400000_NS6detail17trampoline_kernelINS0_13select_configILj256ELj13ELNS0_17block_load_methodE3ELS4_3ELS4_3ELNS0_20block_scan_algorithmE0ELj4294967295EEENS1_25partition_config_selectorILNS1_17partition_subalgoE3EjNS0_10empty_typeEbEEZZNS1_14partition_implILS8_3ELb0ES6_jNS0_17counting_iteratorIjlEEPS9_SE_NS0_5tupleIJPjSE_EEENSF_IJSE_SE_EEES9_SG_JZNS1_25segmented_radix_sort_implINS0_14default_configELb1EPKlPlSM_SN_N2at6native12_GLOBAL__N_18offset_tEEE10hipError_tPvRmT1_PNSt15iterator_traitsISV_E10value_typeET2_T3_PNSW_IS11_E10value_typeET4_jRbjT5_S17_jjP12ihipStream_tbEUljE_EEESS_ST_SU_S11_S15_S17_T6_T7_T9_mT8_S19_bDpT10_ENKUlT_T0_E_clISt17integral_constantIbLb1EES1M_EEDaS1H_S1I_EUlS1H_E_NS1_11comp_targetILNS1_3genE4ELNS1_11target_archE910ELNS1_3gpuE8ELNS1_3repE0EEENS1_30default_config_static_selectorELNS0_4arch9wavefront6targetE1EEEvSV_,@function
_ZN7rocprim17ROCPRIM_400000_NS6detail17trampoline_kernelINS0_13select_configILj256ELj13ELNS0_17block_load_methodE3ELS4_3ELS4_3ELNS0_20block_scan_algorithmE0ELj4294967295EEENS1_25partition_config_selectorILNS1_17partition_subalgoE3EjNS0_10empty_typeEbEEZZNS1_14partition_implILS8_3ELb0ES6_jNS0_17counting_iteratorIjlEEPS9_SE_NS0_5tupleIJPjSE_EEENSF_IJSE_SE_EEES9_SG_JZNS1_25segmented_radix_sort_implINS0_14default_configELb1EPKlPlSM_SN_N2at6native12_GLOBAL__N_18offset_tEEE10hipError_tPvRmT1_PNSt15iterator_traitsISV_E10value_typeET2_T3_PNSW_IS11_E10value_typeET4_jRbjT5_S17_jjP12ihipStream_tbEUljE_EEESS_ST_SU_S11_S15_S17_T6_T7_T9_mT8_S19_bDpT10_ENKUlT_T0_E_clISt17integral_constantIbLb1EES1M_EEDaS1H_S1I_EUlS1H_E_NS1_11comp_targetILNS1_3genE4ELNS1_11target_archE910ELNS1_3gpuE8ELNS1_3repE0EEENS1_30default_config_static_selectorELNS0_4arch9wavefront6targetE1EEEvSV_: ; @_ZN7rocprim17ROCPRIM_400000_NS6detail17trampoline_kernelINS0_13select_configILj256ELj13ELNS0_17block_load_methodE3ELS4_3ELS4_3ELNS0_20block_scan_algorithmE0ELj4294967295EEENS1_25partition_config_selectorILNS1_17partition_subalgoE3EjNS0_10empty_typeEbEEZZNS1_14partition_implILS8_3ELb0ES6_jNS0_17counting_iteratorIjlEEPS9_SE_NS0_5tupleIJPjSE_EEENSF_IJSE_SE_EEES9_SG_JZNS1_25segmented_radix_sort_implINS0_14default_configELb1EPKlPlSM_SN_N2at6native12_GLOBAL__N_18offset_tEEE10hipError_tPvRmT1_PNSt15iterator_traitsISV_E10value_typeET2_T3_PNSW_IS11_E10value_typeET4_jRbjT5_S17_jjP12ihipStream_tbEUljE_EEESS_ST_SU_S11_S15_S17_T6_T7_T9_mT8_S19_bDpT10_ENKUlT_T0_E_clISt17integral_constantIbLb1EES1M_EEDaS1H_S1I_EUlS1H_E_NS1_11comp_targetILNS1_3genE4ELNS1_11target_archE910ELNS1_3gpuE8ELNS1_3repE0EEENS1_30default_config_static_selectorELNS0_4arch9wavefront6targetE1EEEvSV_
; %bb.0:
	.section	.rodata,"a",@progbits
	.p2align	6, 0x0
	.amdhsa_kernel _ZN7rocprim17ROCPRIM_400000_NS6detail17trampoline_kernelINS0_13select_configILj256ELj13ELNS0_17block_load_methodE3ELS4_3ELS4_3ELNS0_20block_scan_algorithmE0ELj4294967295EEENS1_25partition_config_selectorILNS1_17partition_subalgoE3EjNS0_10empty_typeEbEEZZNS1_14partition_implILS8_3ELb0ES6_jNS0_17counting_iteratorIjlEEPS9_SE_NS0_5tupleIJPjSE_EEENSF_IJSE_SE_EEES9_SG_JZNS1_25segmented_radix_sort_implINS0_14default_configELb1EPKlPlSM_SN_N2at6native12_GLOBAL__N_18offset_tEEE10hipError_tPvRmT1_PNSt15iterator_traitsISV_E10value_typeET2_T3_PNSW_IS11_E10value_typeET4_jRbjT5_S17_jjP12ihipStream_tbEUljE_EEESS_ST_SU_S11_S15_S17_T6_T7_T9_mT8_S19_bDpT10_ENKUlT_T0_E_clISt17integral_constantIbLb1EES1M_EEDaS1H_S1I_EUlS1H_E_NS1_11comp_targetILNS1_3genE4ELNS1_11target_archE910ELNS1_3gpuE8ELNS1_3repE0EEENS1_30default_config_static_selectorELNS0_4arch9wavefront6targetE1EEEvSV_
		.amdhsa_group_segment_fixed_size 0
		.amdhsa_private_segment_fixed_size 0
		.amdhsa_kernarg_size 152
		.amdhsa_user_sgpr_count 6
		.amdhsa_user_sgpr_private_segment_buffer 1
		.amdhsa_user_sgpr_dispatch_ptr 0
		.amdhsa_user_sgpr_queue_ptr 0
		.amdhsa_user_sgpr_kernarg_segment_ptr 1
		.amdhsa_user_sgpr_dispatch_id 0
		.amdhsa_user_sgpr_flat_scratch_init 0
		.amdhsa_user_sgpr_private_segment_size 0
		.amdhsa_uses_dynamic_stack 0
		.amdhsa_system_sgpr_private_segment_wavefront_offset 0
		.amdhsa_system_sgpr_workgroup_id_x 1
		.amdhsa_system_sgpr_workgroup_id_y 0
		.amdhsa_system_sgpr_workgroup_id_z 0
		.amdhsa_system_sgpr_workgroup_info 0
		.amdhsa_system_vgpr_workitem_id 0
		.amdhsa_next_free_vgpr 1
		.amdhsa_next_free_sgpr 0
		.amdhsa_reserve_vcc 0
		.amdhsa_reserve_flat_scratch 0
		.amdhsa_float_round_mode_32 0
		.amdhsa_float_round_mode_16_64 0
		.amdhsa_float_denorm_mode_32 3
		.amdhsa_float_denorm_mode_16_64 3
		.amdhsa_dx10_clamp 1
		.amdhsa_ieee_mode 1
		.amdhsa_fp16_overflow 0
		.amdhsa_exception_fp_ieee_invalid_op 0
		.amdhsa_exception_fp_denorm_src 0
		.amdhsa_exception_fp_ieee_div_zero 0
		.amdhsa_exception_fp_ieee_overflow 0
		.amdhsa_exception_fp_ieee_underflow 0
		.amdhsa_exception_fp_ieee_inexact 0
		.amdhsa_exception_int_div_zero 0
	.end_amdhsa_kernel
	.section	.text._ZN7rocprim17ROCPRIM_400000_NS6detail17trampoline_kernelINS0_13select_configILj256ELj13ELNS0_17block_load_methodE3ELS4_3ELS4_3ELNS0_20block_scan_algorithmE0ELj4294967295EEENS1_25partition_config_selectorILNS1_17partition_subalgoE3EjNS0_10empty_typeEbEEZZNS1_14partition_implILS8_3ELb0ES6_jNS0_17counting_iteratorIjlEEPS9_SE_NS0_5tupleIJPjSE_EEENSF_IJSE_SE_EEES9_SG_JZNS1_25segmented_radix_sort_implINS0_14default_configELb1EPKlPlSM_SN_N2at6native12_GLOBAL__N_18offset_tEEE10hipError_tPvRmT1_PNSt15iterator_traitsISV_E10value_typeET2_T3_PNSW_IS11_E10value_typeET4_jRbjT5_S17_jjP12ihipStream_tbEUljE_EEESS_ST_SU_S11_S15_S17_T6_T7_T9_mT8_S19_bDpT10_ENKUlT_T0_E_clISt17integral_constantIbLb1EES1M_EEDaS1H_S1I_EUlS1H_E_NS1_11comp_targetILNS1_3genE4ELNS1_11target_archE910ELNS1_3gpuE8ELNS1_3repE0EEENS1_30default_config_static_selectorELNS0_4arch9wavefront6targetE1EEEvSV_,"axG",@progbits,_ZN7rocprim17ROCPRIM_400000_NS6detail17trampoline_kernelINS0_13select_configILj256ELj13ELNS0_17block_load_methodE3ELS4_3ELS4_3ELNS0_20block_scan_algorithmE0ELj4294967295EEENS1_25partition_config_selectorILNS1_17partition_subalgoE3EjNS0_10empty_typeEbEEZZNS1_14partition_implILS8_3ELb0ES6_jNS0_17counting_iteratorIjlEEPS9_SE_NS0_5tupleIJPjSE_EEENSF_IJSE_SE_EEES9_SG_JZNS1_25segmented_radix_sort_implINS0_14default_configELb1EPKlPlSM_SN_N2at6native12_GLOBAL__N_18offset_tEEE10hipError_tPvRmT1_PNSt15iterator_traitsISV_E10value_typeET2_T3_PNSW_IS11_E10value_typeET4_jRbjT5_S17_jjP12ihipStream_tbEUljE_EEESS_ST_SU_S11_S15_S17_T6_T7_T9_mT8_S19_bDpT10_ENKUlT_T0_E_clISt17integral_constantIbLb1EES1M_EEDaS1H_S1I_EUlS1H_E_NS1_11comp_targetILNS1_3genE4ELNS1_11target_archE910ELNS1_3gpuE8ELNS1_3repE0EEENS1_30default_config_static_selectorELNS0_4arch9wavefront6targetE1EEEvSV_,comdat
.Lfunc_end682:
	.size	_ZN7rocprim17ROCPRIM_400000_NS6detail17trampoline_kernelINS0_13select_configILj256ELj13ELNS0_17block_load_methodE3ELS4_3ELS4_3ELNS0_20block_scan_algorithmE0ELj4294967295EEENS1_25partition_config_selectorILNS1_17partition_subalgoE3EjNS0_10empty_typeEbEEZZNS1_14partition_implILS8_3ELb0ES6_jNS0_17counting_iteratorIjlEEPS9_SE_NS0_5tupleIJPjSE_EEENSF_IJSE_SE_EEES9_SG_JZNS1_25segmented_radix_sort_implINS0_14default_configELb1EPKlPlSM_SN_N2at6native12_GLOBAL__N_18offset_tEEE10hipError_tPvRmT1_PNSt15iterator_traitsISV_E10value_typeET2_T3_PNSW_IS11_E10value_typeET4_jRbjT5_S17_jjP12ihipStream_tbEUljE_EEESS_ST_SU_S11_S15_S17_T6_T7_T9_mT8_S19_bDpT10_ENKUlT_T0_E_clISt17integral_constantIbLb1EES1M_EEDaS1H_S1I_EUlS1H_E_NS1_11comp_targetILNS1_3genE4ELNS1_11target_archE910ELNS1_3gpuE8ELNS1_3repE0EEENS1_30default_config_static_selectorELNS0_4arch9wavefront6targetE1EEEvSV_, .Lfunc_end682-_ZN7rocprim17ROCPRIM_400000_NS6detail17trampoline_kernelINS0_13select_configILj256ELj13ELNS0_17block_load_methodE3ELS4_3ELS4_3ELNS0_20block_scan_algorithmE0ELj4294967295EEENS1_25partition_config_selectorILNS1_17partition_subalgoE3EjNS0_10empty_typeEbEEZZNS1_14partition_implILS8_3ELb0ES6_jNS0_17counting_iteratorIjlEEPS9_SE_NS0_5tupleIJPjSE_EEENSF_IJSE_SE_EEES9_SG_JZNS1_25segmented_radix_sort_implINS0_14default_configELb1EPKlPlSM_SN_N2at6native12_GLOBAL__N_18offset_tEEE10hipError_tPvRmT1_PNSt15iterator_traitsISV_E10value_typeET2_T3_PNSW_IS11_E10value_typeET4_jRbjT5_S17_jjP12ihipStream_tbEUljE_EEESS_ST_SU_S11_S15_S17_T6_T7_T9_mT8_S19_bDpT10_ENKUlT_T0_E_clISt17integral_constantIbLb1EES1M_EEDaS1H_S1I_EUlS1H_E_NS1_11comp_targetILNS1_3genE4ELNS1_11target_archE910ELNS1_3gpuE8ELNS1_3repE0EEENS1_30default_config_static_selectorELNS0_4arch9wavefront6targetE1EEEvSV_
                                        ; -- End function
	.set _ZN7rocprim17ROCPRIM_400000_NS6detail17trampoline_kernelINS0_13select_configILj256ELj13ELNS0_17block_load_methodE3ELS4_3ELS4_3ELNS0_20block_scan_algorithmE0ELj4294967295EEENS1_25partition_config_selectorILNS1_17partition_subalgoE3EjNS0_10empty_typeEbEEZZNS1_14partition_implILS8_3ELb0ES6_jNS0_17counting_iteratorIjlEEPS9_SE_NS0_5tupleIJPjSE_EEENSF_IJSE_SE_EEES9_SG_JZNS1_25segmented_radix_sort_implINS0_14default_configELb1EPKlPlSM_SN_N2at6native12_GLOBAL__N_18offset_tEEE10hipError_tPvRmT1_PNSt15iterator_traitsISV_E10value_typeET2_T3_PNSW_IS11_E10value_typeET4_jRbjT5_S17_jjP12ihipStream_tbEUljE_EEESS_ST_SU_S11_S15_S17_T6_T7_T9_mT8_S19_bDpT10_ENKUlT_T0_E_clISt17integral_constantIbLb1EES1M_EEDaS1H_S1I_EUlS1H_E_NS1_11comp_targetILNS1_3genE4ELNS1_11target_archE910ELNS1_3gpuE8ELNS1_3repE0EEENS1_30default_config_static_selectorELNS0_4arch9wavefront6targetE1EEEvSV_.num_vgpr, 0
	.set _ZN7rocprim17ROCPRIM_400000_NS6detail17trampoline_kernelINS0_13select_configILj256ELj13ELNS0_17block_load_methodE3ELS4_3ELS4_3ELNS0_20block_scan_algorithmE0ELj4294967295EEENS1_25partition_config_selectorILNS1_17partition_subalgoE3EjNS0_10empty_typeEbEEZZNS1_14partition_implILS8_3ELb0ES6_jNS0_17counting_iteratorIjlEEPS9_SE_NS0_5tupleIJPjSE_EEENSF_IJSE_SE_EEES9_SG_JZNS1_25segmented_radix_sort_implINS0_14default_configELb1EPKlPlSM_SN_N2at6native12_GLOBAL__N_18offset_tEEE10hipError_tPvRmT1_PNSt15iterator_traitsISV_E10value_typeET2_T3_PNSW_IS11_E10value_typeET4_jRbjT5_S17_jjP12ihipStream_tbEUljE_EEESS_ST_SU_S11_S15_S17_T6_T7_T9_mT8_S19_bDpT10_ENKUlT_T0_E_clISt17integral_constantIbLb1EES1M_EEDaS1H_S1I_EUlS1H_E_NS1_11comp_targetILNS1_3genE4ELNS1_11target_archE910ELNS1_3gpuE8ELNS1_3repE0EEENS1_30default_config_static_selectorELNS0_4arch9wavefront6targetE1EEEvSV_.num_agpr, 0
	.set _ZN7rocprim17ROCPRIM_400000_NS6detail17trampoline_kernelINS0_13select_configILj256ELj13ELNS0_17block_load_methodE3ELS4_3ELS4_3ELNS0_20block_scan_algorithmE0ELj4294967295EEENS1_25partition_config_selectorILNS1_17partition_subalgoE3EjNS0_10empty_typeEbEEZZNS1_14partition_implILS8_3ELb0ES6_jNS0_17counting_iteratorIjlEEPS9_SE_NS0_5tupleIJPjSE_EEENSF_IJSE_SE_EEES9_SG_JZNS1_25segmented_radix_sort_implINS0_14default_configELb1EPKlPlSM_SN_N2at6native12_GLOBAL__N_18offset_tEEE10hipError_tPvRmT1_PNSt15iterator_traitsISV_E10value_typeET2_T3_PNSW_IS11_E10value_typeET4_jRbjT5_S17_jjP12ihipStream_tbEUljE_EEESS_ST_SU_S11_S15_S17_T6_T7_T9_mT8_S19_bDpT10_ENKUlT_T0_E_clISt17integral_constantIbLb1EES1M_EEDaS1H_S1I_EUlS1H_E_NS1_11comp_targetILNS1_3genE4ELNS1_11target_archE910ELNS1_3gpuE8ELNS1_3repE0EEENS1_30default_config_static_selectorELNS0_4arch9wavefront6targetE1EEEvSV_.numbered_sgpr, 0
	.set _ZN7rocprim17ROCPRIM_400000_NS6detail17trampoline_kernelINS0_13select_configILj256ELj13ELNS0_17block_load_methodE3ELS4_3ELS4_3ELNS0_20block_scan_algorithmE0ELj4294967295EEENS1_25partition_config_selectorILNS1_17partition_subalgoE3EjNS0_10empty_typeEbEEZZNS1_14partition_implILS8_3ELb0ES6_jNS0_17counting_iteratorIjlEEPS9_SE_NS0_5tupleIJPjSE_EEENSF_IJSE_SE_EEES9_SG_JZNS1_25segmented_radix_sort_implINS0_14default_configELb1EPKlPlSM_SN_N2at6native12_GLOBAL__N_18offset_tEEE10hipError_tPvRmT1_PNSt15iterator_traitsISV_E10value_typeET2_T3_PNSW_IS11_E10value_typeET4_jRbjT5_S17_jjP12ihipStream_tbEUljE_EEESS_ST_SU_S11_S15_S17_T6_T7_T9_mT8_S19_bDpT10_ENKUlT_T0_E_clISt17integral_constantIbLb1EES1M_EEDaS1H_S1I_EUlS1H_E_NS1_11comp_targetILNS1_3genE4ELNS1_11target_archE910ELNS1_3gpuE8ELNS1_3repE0EEENS1_30default_config_static_selectorELNS0_4arch9wavefront6targetE1EEEvSV_.num_named_barrier, 0
	.set _ZN7rocprim17ROCPRIM_400000_NS6detail17trampoline_kernelINS0_13select_configILj256ELj13ELNS0_17block_load_methodE3ELS4_3ELS4_3ELNS0_20block_scan_algorithmE0ELj4294967295EEENS1_25partition_config_selectorILNS1_17partition_subalgoE3EjNS0_10empty_typeEbEEZZNS1_14partition_implILS8_3ELb0ES6_jNS0_17counting_iteratorIjlEEPS9_SE_NS0_5tupleIJPjSE_EEENSF_IJSE_SE_EEES9_SG_JZNS1_25segmented_radix_sort_implINS0_14default_configELb1EPKlPlSM_SN_N2at6native12_GLOBAL__N_18offset_tEEE10hipError_tPvRmT1_PNSt15iterator_traitsISV_E10value_typeET2_T3_PNSW_IS11_E10value_typeET4_jRbjT5_S17_jjP12ihipStream_tbEUljE_EEESS_ST_SU_S11_S15_S17_T6_T7_T9_mT8_S19_bDpT10_ENKUlT_T0_E_clISt17integral_constantIbLb1EES1M_EEDaS1H_S1I_EUlS1H_E_NS1_11comp_targetILNS1_3genE4ELNS1_11target_archE910ELNS1_3gpuE8ELNS1_3repE0EEENS1_30default_config_static_selectorELNS0_4arch9wavefront6targetE1EEEvSV_.private_seg_size, 0
	.set _ZN7rocprim17ROCPRIM_400000_NS6detail17trampoline_kernelINS0_13select_configILj256ELj13ELNS0_17block_load_methodE3ELS4_3ELS4_3ELNS0_20block_scan_algorithmE0ELj4294967295EEENS1_25partition_config_selectorILNS1_17partition_subalgoE3EjNS0_10empty_typeEbEEZZNS1_14partition_implILS8_3ELb0ES6_jNS0_17counting_iteratorIjlEEPS9_SE_NS0_5tupleIJPjSE_EEENSF_IJSE_SE_EEES9_SG_JZNS1_25segmented_radix_sort_implINS0_14default_configELb1EPKlPlSM_SN_N2at6native12_GLOBAL__N_18offset_tEEE10hipError_tPvRmT1_PNSt15iterator_traitsISV_E10value_typeET2_T3_PNSW_IS11_E10value_typeET4_jRbjT5_S17_jjP12ihipStream_tbEUljE_EEESS_ST_SU_S11_S15_S17_T6_T7_T9_mT8_S19_bDpT10_ENKUlT_T0_E_clISt17integral_constantIbLb1EES1M_EEDaS1H_S1I_EUlS1H_E_NS1_11comp_targetILNS1_3genE4ELNS1_11target_archE910ELNS1_3gpuE8ELNS1_3repE0EEENS1_30default_config_static_selectorELNS0_4arch9wavefront6targetE1EEEvSV_.uses_vcc, 0
	.set _ZN7rocprim17ROCPRIM_400000_NS6detail17trampoline_kernelINS0_13select_configILj256ELj13ELNS0_17block_load_methodE3ELS4_3ELS4_3ELNS0_20block_scan_algorithmE0ELj4294967295EEENS1_25partition_config_selectorILNS1_17partition_subalgoE3EjNS0_10empty_typeEbEEZZNS1_14partition_implILS8_3ELb0ES6_jNS0_17counting_iteratorIjlEEPS9_SE_NS0_5tupleIJPjSE_EEENSF_IJSE_SE_EEES9_SG_JZNS1_25segmented_radix_sort_implINS0_14default_configELb1EPKlPlSM_SN_N2at6native12_GLOBAL__N_18offset_tEEE10hipError_tPvRmT1_PNSt15iterator_traitsISV_E10value_typeET2_T3_PNSW_IS11_E10value_typeET4_jRbjT5_S17_jjP12ihipStream_tbEUljE_EEESS_ST_SU_S11_S15_S17_T6_T7_T9_mT8_S19_bDpT10_ENKUlT_T0_E_clISt17integral_constantIbLb1EES1M_EEDaS1H_S1I_EUlS1H_E_NS1_11comp_targetILNS1_3genE4ELNS1_11target_archE910ELNS1_3gpuE8ELNS1_3repE0EEENS1_30default_config_static_selectorELNS0_4arch9wavefront6targetE1EEEvSV_.uses_flat_scratch, 0
	.set _ZN7rocprim17ROCPRIM_400000_NS6detail17trampoline_kernelINS0_13select_configILj256ELj13ELNS0_17block_load_methodE3ELS4_3ELS4_3ELNS0_20block_scan_algorithmE0ELj4294967295EEENS1_25partition_config_selectorILNS1_17partition_subalgoE3EjNS0_10empty_typeEbEEZZNS1_14partition_implILS8_3ELb0ES6_jNS0_17counting_iteratorIjlEEPS9_SE_NS0_5tupleIJPjSE_EEENSF_IJSE_SE_EEES9_SG_JZNS1_25segmented_radix_sort_implINS0_14default_configELb1EPKlPlSM_SN_N2at6native12_GLOBAL__N_18offset_tEEE10hipError_tPvRmT1_PNSt15iterator_traitsISV_E10value_typeET2_T3_PNSW_IS11_E10value_typeET4_jRbjT5_S17_jjP12ihipStream_tbEUljE_EEESS_ST_SU_S11_S15_S17_T6_T7_T9_mT8_S19_bDpT10_ENKUlT_T0_E_clISt17integral_constantIbLb1EES1M_EEDaS1H_S1I_EUlS1H_E_NS1_11comp_targetILNS1_3genE4ELNS1_11target_archE910ELNS1_3gpuE8ELNS1_3repE0EEENS1_30default_config_static_selectorELNS0_4arch9wavefront6targetE1EEEvSV_.has_dyn_sized_stack, 0
	.set _ZN7rocprim17ROCPRIM_400000_NS6detail17trampoline_kernelINS0_13select_configILj256ELj13ELNS0_17block_load_methodE3ELS4_3ELS4_3ELNS0_20block_scan_algorithmE0ELj4294967295EEENS1_25partition_config_selectorILNS1_17partition_subalgoE3EjNS0_10empty_typeEbEEZZNS1_14partition_implILS8_3ELb0ES6_jNS0_17counting_iteratorIjlEEPS9_SE_NS0_5tupleIJPjSE_EEENSF_IJSE_SE_EEES9_SG_JZNS1_25segmented_radix_sort_implINS0_14default_configELb1EPKlPlSM_SN_N2at6native12_GLOBAL__N_18offset_tEEE10hipError_tPvRmT1_PNSt15iterator_traitsISV_E10value_typeET2_T3_PNSW_IS11_E10value_typeET4_jRbjT5_S17_jjP12ihipStream_tbEUljE_EEESS_ST_SU_S11_S15_S17_T6_T7_T9_mT8_S19_bDpT10_ENKUlT_T0_E_clISt17integral_constantIbLb1EES1M_EEDaS1H_S1I_EUlS1H_E_NS1_11comp_targetILNS1_3genE4ELNS1_11target_archE910ELNS1_3gpuE8ELNS1_3repE0EEENS1_30default_config_static_selectorELNS0_4arch9wavefront6targetE1EEEvSV_.has_recursion, 0
	.set _ZN7rocprim17ROCPRIM_400000_NS6detail17trampoline_kernelINS0_13select_configILj256ELj13ELNS0_17block_load_methodE3ELS4_3ELS4_3ELNS0_20block_scan_algorithmE0ELj4294967295EEENS1_25partition_config_selectorILNS1_17partition_subalgoE3EjNS0_10empty_typeEbEEZZNS1_14partition_implILS8_3ELb0ES6_jNS0_17counting_iteratorIjlEEPS9_SE_NS0_5tupleIJPjSE_EEENSF_IJSE_SE_EEES9_SG_JZNS1_25segmented_radix_sort_implINS0_14default_configELb1EPKlPlSM_SN_N2at6native12_GLOBAL__N_18offset_tEEE10hipError_tPvRmT1_PNSt15iterator_traitsISV_E10value_typeET2_T3_PNSW_IS11_E10value_typeET4_jRbjT5_S17_jjP12ihipStream_tbEUljE_EEESS_ST_SU_S11_S15_S17_T6_T7_T9_mT8_S19_bDpT10_ENKUlT_T0_E_clISt17integral_constantIbLb1EES1M_EEDaS1H_S1I_EUlS1H_E_NS1_11comp_targetILNS1_3genE4ELNS1_11target_archE910ELNS1_3gpuE8ELNS1_3repE0EEENS1_30default_config_static_selectorELNS0_4arch9wavefront6targetE1EEEvSV_.has_indirect_call, 0
	.section	.AMDGPU.csdata,"",@progbits
; Kernel info:
; codeLenInByte = 0
; TotalNumSgprs: 4
; NumVgprs: 0
; ScratchSize: 0
; MemoryBound: 0
; FloatMode: 240
; IeeeMode: 1
; LDSByteSize: 0 bytes/workgroup (compile time only)
; SGPRBlocks: 0
; VGPRBlocks: 0
; NumSGPRsForWavesPerEU: 4
; NumVGPRsForWavesPerEU: 1
; Occupancy: 10
; WaveLimiterHint : 0
; COMPUTE_PGM_RSRC2:SCRATCH_EN: 0
; COMPUTE_PGM_RSRC2:USER_SGPR: 6
; COMPUTE_PGM_RSRC2:TRAP_HANDLER: 0
; COMPUTE_PGM_RSRC2:TGID_X_EN: 1
; COMPUTE_PGM_RSRC2:TGID_Y_EN: 0
; COMPUTE_PGM_RSRC2:TGID_Z_EN: 0
; COMPUTE_PGM_RSRC2:TIDIG_COMP_CNT: 0
	.section	.text._ZN7rocprim17ROCPRIM_400000_NS6detail17trampoline_kernelINS0_13select_configILj256ELj13ELNS0_17block_load_methodE3ELS4_3ELS4_3ELNS0_20block_scan_algorithmE0ELj4294967295EEENS1_25partition_config_selectorILNS1_17partition_subalgoE3EjNS0_10empty_typeEbEEZZNS1_14partition_implILS8_3ELb0ES6_jNS0_17counting_iteratorIjlEEPS9_SE_NS0_5tupleIJPjSE_EEENSF_IJSE_SE_EEES9_SG_JZNS1_25segmented_radix_sort_implINS0_14default_configELb1EPKlPlSM_SN_N2at6native12_GLOBAL__N_18offset_tEEE10hipError_tPvRmT1_PNSt15iterator_traitsISV_E10value_typeET2_T3_PNSW_IS11_E10value_typeET4_jRbjT5_S17_jjP12ihipStream_tbEUljE_EEESS_ST_SU_S11_S15_S17_T6_T7_T9_mT8_S19_bDpT10_ENKUlT_T0_E_clISt17integral_constantIbLb1EES1M_EEDaS1H_S1I_EUlS1H_E_NS1_11comp_targetILNS1_3genE3ELNS1_11target_archE908ELNS1_3gpuE7ELNS1_3repE0EEENS1_30default_config_static_selectorELNS0_4arch9wavefront6targetE1EEEvSV_,"axG",@progbits,_ZN7rocprim17ROCPRIM_400000_NS6detail17trampoline_kernelINS0_13select_configILj256ELj13ELNS0_17block_load_methodE3ELS4_3ELS4_3ELNS0_20block_scan_algorithmE0ELj4294967295EEENS1_25partition_config_selectorILNS1_17partition_subalgoE3EjNS0_10empty_typeEbEEZZNS1_14partition_implILS8_3ELb0ES6_jNS0_17counting_iteratorIjlEEPS9_SE_NS0_5tupleIJPjSE_EEENSF_IJSE_SE_EEES9_SG_JZNS1_25segmented_radix_sort_implINS0_14default_configELb1EPKlPlSM_SN_N2at6native12_GLOBAL__N_18offset_tEEE10hipError_tPvRmT1_PNSt15iterator_traitsISV_E10value_typeET2_T3_PNSW_IS11_E10value_typeET4_jRbjT5_S17_jjP12ihipStream_tbEUljE_EEESS_ST_SU_S11_S15_S17_T6_T7_T9_mT8_S19_bDpT10_ENKUlT_T0_E_clISt17integral_constantIbLb1EES1M_EEDaS1H_S1I_EUlS1H_E_NS1_11comp_targetILNS1_3genE3ELNS1_11target_archE908ELNS1_3gpuE7ELNS1_3repE0EEENS1_30default_config_static_selectorELNS0_4arch9wavefront6targetE1EEEvSV_,comdat
	.globl	_ZN7rocprim17ROCPRIM_400000_NS6detail17trampoline_kernelINS0_13select_configILj256ELj13ELNS0_17block_load_methodE3ELS4_3ELS4_3ELNS0_20block_scan_algorithmE0ELj4294967295EEENS1_25partition_config_selectorILNS1_17partition_subalgoE3EjNS0_10empty_typeEbEEZZNS1_14partition_implILS8_3ELb0ES6_jNS0_17counting_iteratorIjlEEPS9_SE_NS0_5tupleIJPjSE_EEENSF_IJSE_SE_EEES9_SG_JZNS1_25segmented_radix_sort_implINS0_14default_configELb1EPKlPlSM_SN_N2at6native12_GLOBAL__N_18offset_tEEE10hipError_tPvRmT1_PNSt15iterator_traitsISV_E10value_typeET2_T3_PNSW_IS11_E10value_typeET4_jRbjT5_S17_jjP12ihipStream_tbEUljE_EEESS_ST_SU_S11_S15_S17_T6_T7_T9_mT8_S19_bDpT10_ENKUlT_T0_E_clISt17integral_constantIbLb1EES1M_EEDaS1H_S1I_EUlS1H_E_NS1_11comp_targetILNS1_3genE3ELNS1_11target_archE908ELNS1_3gpuE7ELNS1_3repE0EEENS1_30default_config_static_selectorELNS0_4arch9wavefront6targetE1EEEvSV_ ; -- Begin function _ZN7rocprim17ROCPRIM_400000_NS6detail17trampoline_kernelINS0_13select_configILj256ELj13ELNS0_17block_load_methodE3ELS4_3ELS4_3ELNS0_20block_scan_algorithmE0ELj4294967295EEENS1_25partition_config_selectorILNS1_17partition_subalgoE3EjNS0_10empty_typeEbEEZZNS1_14partition_implILS8_3ELb0ES6_jNS0_17counting_iteratorIjlEEPS9_SE_NS0_5tupleIJPjSE_EEENSF_IJSE_SE_EEES9_SG_JZNS1_25segmented_radix_sort_implINS0_14default_configELb1EPKlPlSM_SN_N2at6native12_GLOBAL__N_18offset_tEEE10hipError_tPvRmT1_PNSt15iterator_traitsISV_E10value_typeET2_T3_PNSW_IS11_E10value_typeET4_jRbjT5_S17_jjP12ihipStream_tbEUljE_EEESS_ST_SU_S11_S15_S17_T6_T7_T9_mT8_S19_bDpT10_ENKUlT_T0_E_clISt17integral_constantIbLb1EES1M_EEDaS1H_S1I_EUlS1H_E_NS1_11comp_targetILNS1_3genE3ELNS1_11target_archE908ELNS1_3gpuE7ELNS1_3repE0EEENS1_30default_config_static_selectorELNS0_4arch9wavefront6targetE1EEEvSV_
	.p2align	8
	.type	_ZN7rocprim17ROCPRIM_400000_NS6detail17trampoline_kernelINS0_13select_configILj256ELj13ELNS0_17block_load_methodE3ELS4_3ELS4_3ELNS0_20block_scan_algorithmE0ELj4294967295EEENS1_25partition_config_selectorILNS1_17partition_subalgoE3EjNS0_10empty_typeEbEEZZNS1_14partition_implILS8_3ELb0ES6_jNS0_17counting_iteratorIjlEEPS9_SE_NS0_5tupleIJPjSE_EEENSF_IJSE_SE_EEES9_SG_JZNS1_25segmented_radix_sort_implINS0_14default_configELb1EPKlPlSM_SN_N2at6native12_GLOBAL__N_18offset_tEEE10hipError_tPvRmT1_PNSt15iterator_traitsISV_E10value_typeET2_T3_PNSW_IS11_E10value_typeET4_jRbjT5_S17_jjP12ihipStream_tbEUljE_EEESS_ST_SU_S11_S15_S17_T6_T7_T9_mT8_S19_bDpT10_ENKUlT_T0_E_clISt17integral_constantIbLb1EES1M_EEDaS1H_S1I_EUlS1H_E_NS1_11comp_targetILNS1_3genE3ELNS1_11target_archE908ELNS1_3gpuE7ELNS1_3repE0EEENS1_30default_config_static_selectorELNS0_4arch9wavefront6targetE1EEEvSV_,@function
_ZN7rocprim17ROCPRIM_400000_NS6detail17trampoline_kernelINS0_13select_configILj256ELj13ELNS0_17block_load_methodE3ELS4_3ELS4_3ELNS0_20block_scan_algorithmE0ELj4294967295EEENS1_25partition_config_selectorILNS1_17partition_subalgoE3EjNS0_10empty_typeEbEEZZNS1_14partition_implILS8_3ELb0ES6_jNS0_17counting_iteratorIjlEEPS9_SE_NS0_5tupleIJPjSE_EEENSF_IJSE_SE_EEES9_SG_JZNS1_25segmented_radix_sort_implINS0_14default_configELb1EPKlPlSM_SN_N2at6native12_GLOBAL__N_18offset_tEEE10hipError_tPvRmT1_PNSt15iterator_traitsISV_E10value_typeET2_T3_PNSW_IS11_E10value_typeET4_jRbjT5_S17_jjP12ihipStream_tbEUljE_EEESS_ST_SU_S11_S15_S17_T6_T7_T9_mT8_S19_bDpT10_ENKUlT_T0_E_clISt17integral_constantIbLb1EES1M_EEDaS1H_S1I_EUlS1H_E_NS1_11comp_targetILNS1_3genE3ELNS1_11target_archE908ELNS1_3gpuE7ELNS1_3repE0EEENS1_30default_config_static_selectorELNS0_4arch9wavefront6targetE1EEEvSV_: ; @_ZN7rocprim17ROCPRIM_400000_NS6detail17trampoline_kernelINS0_13select_configILj256ELj13ELNS0_17block_load_methodE3ELS4_3ELS4_3ELNS0_20block_scan_algorithmE0ELj4294967295EEENS1_25partition_config_selectorILNS1_17partition_subalgoE3EjNS0_10empty_typeEbEEZZNS1_14partition_implILS8_3ELb0ES6_jNS0_17counting_iteratorIjlEEPS9_SE_NS0_5tupleIJPjSE_EEENSF_IJSE_SE_EEES9_SG_JZNS1_25segmented_radix_sort_implINS0_14default_configELb1EPKlPlSM_SN_N2at6native12_GLOBAL__N_18offset_tEEE10hipError_tPvRmT1_PNSt15iterator_traitsISV_E10value_typeET2_T3_PNSW_IS11_E10value_typeET4_jRbjT5_S17_jjP12ihipStream_tbEUljE_EEESS_ST_SU_S11_S15_S17_T6_T7_T9_mT8_S19_bDpT10_ENKUlT_T0_E_clISt17integral_constantIbLb1EES1M_EEDaS1H_S1I_EUlS1H_E_NS1_11comp_targetILNS1_3genE3ELNS1_11target_archE908ELNS1_3gpuE7ELNS1_3repE0EEENS1_30default_config_static_selectorELNS0_4arch9wavefront6targetE1EEEvSV_
; %bb.0:
	.section	.rodata,"a",@progbits
	.p2align	6, 0x0
	.amdhsa_kernel _ZN7rocprim17ROCPRIM_400000_NS6detail17trampoline_kernelINS0_13select_configILj256ELj13ELNS0_17block_load_methodE3ELS4_3ELS4_3ELNS0_20block_scan_algorithmE0ELj4294967295EEENS1_25partition_config_selectorILNS1_17partition_subalgoE3EjNS0_10empty_typeEbEEZZNS1_14partition_implILS8_3ELb0ES6_jNS0_17counting_iteratorIjlEEPS9_SE_NS0_5tupleIJPjSE_EEENSF_IJSE_SE_EEES9_SG_JZNS1_25segmented_radix_sort_implINS0_14default_configELb1EPKlPlSM_SN_N2at6native12_GLOBAL__N_18offset_tEEE10hipError_tPvRmT1_PNSt15iterator_traitsISV_E10value_typeET2_T3_PNSW_IS11_E10value_typeET4_jRbjT5_S17_jjP12ihipStream_tbEUljE_EEESS_ST_SU_S11_S15_S17_T6_T7_T9_mT8_S19_bDpT10_ENKUlT_T0_E_clISt17integral_constantIbLb1EES1M_EEDaS1H_S1I_EUlS1H_E_NS1_11comp_targetILNS1_3genE3ELNS1_11target_archE908ELNS1_3gpuE7ELNS1_3repE0EEENS1_30default_config_static_selectorELNS0_4arch9wavefront6targetE1EEEvSV_
		.amdhsa_group_segment_fixed_size 0
		.amdhsa_private_segment_fixed_size 0
		.amdhsa_kernarg_size 152
		.amdhsa_user_sgpr_count 6
		.amdhsa_user_sgpr_private_segment_buffer 1
		.amdhsa_user_sgpr_dispatch_ptr 0
		.amdhsa_user_sgpr_queue_ptr 0
		.amdhsa_user_sgpr_kernarg_segment_ptr 1
		.amdhsa_user_sgpr_dispatch_id 0
		.amdhsa_user_sgpr_flat_scratch_init 0
		.amdhsa_user_sgpr_private_segment_size 0
		.amdhsa_uses_dynamic_stack 0
		.amdhsa_system_sgpr_private_segment_wavefront_offset 0
		.amdhsa_system_sgpr_workgroup_id_x 1
		.amdhsa_system_sgpr_workgroup_id_y 0
		.amdhsa_system_sgpr_workgroup_id_z 0
		.amdhsa_system_sgpr_workgroup_info 0
		.amdhsa_system_vgpr_workitem_id 0
		.amdhsa_next_free_vgpr 1
		.amdhsa_next_free_sgpr 0
		.amdhsa_reserve_vcc 0
		.amdhsa_reserve_flat_scratch 0
		.amdhsa_float_round_mode_32 0
		.amdhsa_float_round_mode_16_64 0
		.amdhsa_float_denorm_mode_32 3
		.amdhsa_float_denorm_mode_16_64 3
		.amdhsa_dx10_clamp 1
		.amdhsa_ieee_mode 1
		.amdhsa_fp16_overflow 0
		.amdhsa_exception_fp_ieee_invalid_op 0
		.amdhsa_exception_fp_denorm_src 0
		.amdhsa_exception_fp_ieee_div_zero 0
		.amdhsa_exception_fp_ieee_overflow 0
		.amdhsa_exception_fp_ieee_underflow 0
		.amdhsa_exception_fp_ieee_inexact 0
		.amdhsa_exception_int_div_zero 0
	.end_amdhsa_kernel
	.section	.text._ZN7rocprim17ROCPRIM_400000_NS6detail17trampoline_kernelINS0_13select_configILj256ELj13ELNS0_17block_load_methodE3ELS4_3ELS4_3ELNS0_20block_scan_algorithmE0ELj4294967295EEENS1_25partition_config_selectorILNS1_17partition_subalgoE3EjNS0_10empty_typeEbEEZZNS1_14partition_implILS8_3ELb0ES6_jNS0_17counting_iteratorIjlEEPS9_SE_NS0_5tupleIJPjSE_EEENSF_IJSE_SE_EEES9_SG_JZNS1_25segmented_radix_sort_implINS0_14default_configELb1EPKlPlSM_SN_N2at6native12_GLOBAL__N_18offset_tEEE10hipError_tPvRmT1_PNSt15iterator_traitsISV_E10value_typeET2_T3_PNSW_IS11_E10value_typeET4_jRbjT5_S17_jjP12ihipStream_tbEUljE_EEESS_ST_SU_S11_S15_S17_T6_T7_T9_mT8_S19_bDpT10_ENKUlT_T0_E_clISt17integral_constantIbLb1EES1M_EEDaS1H_S1I_EUlS1H_E_NS1_11comp_targetILNS1_3genE3ELNS1_11target_archE908ELNS1_3gpuE7ELNS1_3repE0EEENS1_30default_config_static_selectorELNS0_4arch9wavefront6targetE1EEEvSV_,"axG",@progbits,_ZN7rocprim17ROCPRIM_400000_NS6detail17trampoline_kernelINS0_13select_configILj256ELj13ELNS0_17block_load_methodE3ELS4_3ELS4_3ELNS0_20block_scan_algorithmE0ELj4294967295EEENS1_25partition_config_selectorILNS1_17partition_subalgoE3EjNS0_10empty_typeEbEEZZNS1_14partition_implILS8_3ELb0ES6_jNS0_17counting_iteratorIjlEEPS9_SE_NS0_5tupleIJPjSE_EEENSF_IJSE_SE_EEES9_SG_JZNS1_25segmented_radix_sort_implINS0_14default_configELb1EPKlPlSM_SN_N2at6native12_GLOBAL__N_18offset_tEEE10hipError_tPvRmT1_PNSt15iterator_traitsISV_E10value_typeET2_T3_PNSW_IS11_E10value_typeET4_jRbjT5_S17_jjP12ihipStream_tbEUljE_EEESS_ST_SU_S11_S15_S17_T6_T7_T9_mT8_S19_bDpT10_ENKUlT_T0_E_clISt17integral_constantIbLb1EES1M_EEDaS1H_S1I_EUlS1H_E_NS1_11comp_targetILNS1_3genE3ELNS1_11target_archE908ELNS1_3gpuE7ELNS1_3repE0EEENS1_30default_config_static_selectorELNS0_4arch9wavefront6targetE1EEEvSV_,comdat
.Lfunc_end683:
	.size	_ZN7rocprim17ROCPRIM_400000_NS6detail17trampoline_kernelINS0_13select_configILj256ELj13ELNS0_17block_load_methodE3ELS4_3ELS4_3ELNS0_20block_scan_algorithmE0ELj4294967295EEENS1_25partition_config_selectorILNS1_17partition_subalgoE3EjNS0_10empty_typeEbEEZZNS1_14partition_implILS8_3ELb0ES6_jNS0_17counting_iteratorIjlEEPS9_SE_NS0_5tupleIJPjSE_EEENSF_IJSE_SE_EEES9_SG_JZNS1_25segmented_radix_sort_implINS0_14default_configELb1EPKlPlSM_SN_N2at6native12_GLOBAL__N_18offset_tEEE10hipError_tPvRmT1_PNSt15iterator_traitsISV_E10value_typeET2_T3_PNSW_IS11_E10value_typeET4_jRbjT5_S17_jjP12ihipStream_tbEUljE_EEESS_ST_SU_S11_S15_S17_T6_T7_T9_mT8_S19_bDpT10_ENKUlT_T0_E_clISt17integral_constantIbLb1EES1M_EEDaS1H_S1I_EUlS1H_E_NS1_11comp_targetILNS1_3genE3ELNS1_11target_archE908ELNS1_3gpuE7ELNS1_3repE0EEENS1_30default_config_static_selectorELNS0_4arch9wavefront6targetE1EEEvSV_, .Lfunc_end683-_ZN7rocprim17ROCPRIM_400000_NS6detail17trampoline_kernelINS0_13select_configILj256ELj13ELNS0_17block_load_methodE3ELS4_3ELS4_3ELNS0_20block_scan_algorithmE0ELj4294967295EEENS1_25partition_config_selectorILNS1_17partition_subalgoE3EjNS0_10empty_typeEbEEZZNS1_14partition_implILS8_3ELb0ES6_jNS0_17counting_iteratorIjlEEPS9_SE_NS0_5tupleIJPjSE_EEENSF_IJSE_SE_EEES9_SG_JZNS1_25segmented_radix_sort_implINS0_14default_configELb1EPKlPlSM_SN_N2at6native12_GLOBAL__N_18offset_tEEE10hipError_tPvRmT1_PNSt15iterator_traitsISV_E10value_typeET2_T3_PNSW_IS11_E10value_typeET4_jRbjT5_S17_jjP12ihipStream_tbEUljE_EEESS_ST_SU_S11_S15_S17_T6_T7_T9_mT8_S19_bDpT10_ENKUlT_T0_E_clISt17integral_constantIbLb1EES1M_EEDaS1H_S1I_EUlS1H_E_NS1_11comp_targetILNS1_3genE3ELNS1_11target_archE908ELNS1_3gpuE7ELNS1_3repE0EEENS1_30default_config_static_selectorELNS0_4arch9wavefront6targetE1EEEvSV_
                                        ; -- End function
	.set _ZN7rocprim17ROCPRIM_400000_NS6detail17trampoline_kernelINS0_13select_configILj256ELj13ELNS0_17block_load_methodE3ELS4_3ELS4_3ELNS0_20block_scan_algorithmE0ELj4294967295EEENS1_25partition_config_selectorILNS1_17partition_subalgoE3EjNS0_10empty_typeEbEEZZNS1_14partition_implILS8_3ELb0ES6_jNS0_17counting_iteratorIjlEEPS9_SE_NS0_5tupleIJPjSE_EEENSF_IJSE_SE_EEES9_SG_JZNS1_25segmented_radix_sort_implINS0_14default_configELb1EPKlPlSM_SN_N2at6native12_GLOBAL__N_18offset_tEEE10hipError_tPvRmT1_PNSt15iterator_traitsISV_E10value_typeET2_T3_PNSW_IS11_E10value_typeET4_jRbjT5_S17_jjP12ihipStream_tbEUljE_EEESS_ST_SU_S11_S15_S17_T6_T7_T9_mT8_S19_bDpT10_ENKUlT_T0_E_clISt17integral_constantIbLb1EES1M_EEDaS1H_S1I_EUlS1H_E_NS1_11comp_targetILNS1_3genE3ELNS1_11target_archE908ELNS1_3gpuE7ELNS1_3repE0EEENS1_30default_config_static_selectorELNS0_4arch9wavefront6targetE1EEEvSV_.num_vgpr, 0
	.set _ZN7rocprim17ROCPRIM_400000_NS6detail17trampoline_kernelINS0_13select_configILj256ELj13ELNS0_17block_load_methodE3ELS4_3ELS4_3ELNS0_20block_scan_algorithmE0ELj4294967295EEENS1_25partition_config_selectorILNS1_17partition_subalgoE3EjNS0_10empty_typeEbEEZZNS1_14partition_implILS8_3ELb0ES6_jNS0_17counting_iteratorIjlEEPS9_SE_NS0_5tupleIJPjSE_EEENSF_IJSE_SE_EEES9_SG_JZNS1_25segmented_radix_sort_implINS0_14default_configELb1EPKlPlSM_SN_N2at6native12_GLOBAL__N_18offset_tEEE10hipError_tPvRmT1_PNSt15iterator_traitsISV_E10value_typeET2_T3_PNSW_IS11_E10value_typeET4_jRbjT5_S17_jjP12ihipStream_tbEUljE_EEESS_ST_SU_S11_S15_S17_T6_T7_T9_mT8_S19_bDpT10_ENKUlT_T0_E_clISt17integral_constantIbLb1EES1M_EEDaS1H_S1I_EUlS1H_E_NS1_11comp_targetILNS1_3genE3ELNS1_11target_archE908ELNS1_3gpuE7ELNS1_3repE0EEENS1_30default_config_static_selectorELNS0_4arch9wavefront6targetE1EEEvSV_.num_agpr, 0
	.set _ZN7rocprim17ROCPRIM_400000_NS6detail17trampoline_kernelINS0_13select_configILj256ELj13ELNS0_17block_load_methodE3ELS4_3ELS4_3ELNS0_20block_scan_algorithmE0ELj4294967295EEENS1_25partition_config_selectorILNS1_17partition_subalgoE3EjNS0_10empty_typeEbEEZZNS1_14partition_implILS8_3ELb0ES6_jNS0_17counting_iteratorIjlEEPS9_SE_NS0_5tupleIJPjSE_EEENSF_IJSE_SE_EEES9_SG_JZNS1_25segmented_radix_sort_implINS0_14default_configELb1EPKlPlSM_SN_N2at6native12_GLOBAL__N_18offset_tEEE10hipError_tPvRmT1_PNSt15iterator_traitsISV_E10value_typeET2_T3_PNSW_IS11_E10value_typeET4_jRbjT5_S17_jjP12ihipStream_tbEUljE_EEESS_ST_SU_S11_S15_S17_T6_T7_T9_mT8_S19_bDpT10_ENKUlT_T0_E_clISt17integral_constantIbLb1EES1M_EEDaS1H_S1I_EUlS1H_E_NS1_11comp_targetILNS1_3genE3ELNS1_11target_archE908ELNS1_3gpuE7ELNS1_3repE0EEENS1_30default_config_static_selectorELNS0_4arch9wavefront6targetE1EEEvSV_.numbered_sgpr, 0
	.set _ZN7rocprim17ROCPRIM_400000_NS6detail17trampoline_kernelINS0_13select_configILj256ELj13ELNS0_17block_load_methodE3ELS4_3ELS4_3ELNS0_20block_scan_algorithmE0ELj4294967295EEENS1_25partition_config_selectorILNS1_17partition_subalgoE3EjNS0_10empty_typeEbEEZZNS1_14partition_implILS8_3ELb0ES6_jNS0_17counting_iteratorIjlEEPS9_SE_NS0_5tupleIJPjSE_EEENSF_IJSE_SE_EEES9_SG_JZNS1_25segmented_radix_sort_implINS0_14default_configELb1EPKlPlSM_SN_N2at6native12_GLOBAL__N_18offset_tEEE10hipError_tPvRmT1_PNSt15iterator_traitsISV_E10value_typeET2_T3_PNSW_IS11_E10value_typeET4_jRbjT5_S17_jjP12ihipStream_tbEUljE_EEESS_ST_SU_S11_S15_S17_T6_T7_T9_mT8_S19_bDpT10_ENKUlT_T0_E_clISt17integral_constantIbLb1EES1M_EEDaS1H_S1I_EUlS1H_E_NS1_11comp_targetILNS1_3genE3ELNS1_11target_archE908ELNS1_3gpuE7ELNS1_3repE0EEENS1_30default_config_static_selectorELNS0_4arch9wavefront6targetE1EEEvSV_.num_named_barrier, 0
	.set _ZN7rocprim17ROCPRIM_400000_NS6detail17trampoline_kernelINS0_13select_configILj256ELj13ELNS0_17block_load_methodE3ELS4_3ELS4_3ELNS0_20block_scan_algorithmE0ELj4294967295EEENS1_25partition_config_selectorILNS1_17partition_subalgoE3EjNS0_10empty_typeEbEEZZNS1_14partition_implILS8_3ELb0ES6_jNS0_17counting_iteratorIjlEEPS9_SE_NS0_5tupleIJPjSE_EEENSF_IJSE_SE_EEES9_SG_JZNS1_25segmented_radix_sort_implINS0_14default_configELb1EPKlPlSM_SN_N2at6native12_GLOBAL__N_18offset_tEEE10hipError_tPvRmT1_PNSt15iterator_traitsISV_E10value_typeET2_T3_PNSW_IS11_E10value_typeET4_jRbjT5_S17_jjP12ihipStream_tbEUljE_EEESS_ST_SU_S11_S15_S17_T6_T7_T9_mT8_S19_bDpT10_ENKUlT_T0_E_clISt17integral_constantIbLb1EES1M_EEDaS1H_S1I_EUlS1H_E_NS1_11comp_targetILNS1_3genE3ELNS1_11target_archE908ELNS1_3gpuE7ELNS1_3repE0EEENS1_30default_config_static_selectorELNS0_4arch9wavefront6targetE1EEEvSV_.private_seg_size, 0
	.set _ZN7rocprim17ROCPRIM_400000_NS6detail17trampoline_kernelINS0_13select_configILj256ELj13ELNS0_17block_load_methodE3ELS4_3ELS4_3ELNS0_20block_scan_algorithmE0ELj4294967295EEENS1_25partition_config_selectorILNS1_17partition_subalgoE3EjNS0_10empty_typeEbEEZZNS1_14partition_implILS8_3ELb0ES6_jNS0_17counting_iteratorIjlEEPS9_SE_NS0_5tupleIJPjSE_EEENSF_IJSE_SE_EEES9_SG_JZNS1_25segmented_radix_sort_implINS0_14default_configELb1EPKlPlSM_SN_N2at6native12_GLOBAL__N_18offset_tEEE10hipError_tPvRmT1_PNSt15iterator_traitsISV_E10value_typeET2_T3_PNSW_IS11_E10value_typeET4_jRbjT5_S17_jjP12ihipStream_tbEUljE_EEESS_ST_SU_S11_S15_S17_T6_T7_T9_mT8_S19_bDpT10_ENKUlT_T0_E_clISt17integral_constantIbLb1EES1M_EEDaS1H_S1I_EUlS1H_E_NS1_11comp_targetILNS1_3genE3ELNS1_11target_archE908ELNS1_3gpuE7ELNS1_3repE0EEENS1_30default_config_static_selectorELNS0_4arch9wavefront6targetE1EEEvSV_.uses_vcc, 0
	.set _ZN7rocprim17ROCPRIM_400000_NS6detail17trampoline_kernelINS0_13select_configILj256ELj13ELNS0_17block_load_methodE3ELS4_3ELS4_3ELNS0_20block_scan_algorithmE0ELj4294967295EEENS1_25partition_config_selectorILNS1_17partition_subalgoE3EjNS0_10empty_typeEbEEZZNS1_14partition_implILS8_3ELb0ES6_jNS0_17counting_iteratorIjlEEPS9_SE_NS0_5tupleIJPjSE_EEENSF_IJSE_SE_EEES9_SG_JZNS1_25segmented_radix_sort_implINS0_14default_configELb1EPKlPlSM_SN_N2at6native12_GLOBAL__N_18offset_tEEE10hipError_tPvRmT1_PNSt15iterator_traitsISV_E10value_typeET2_T3_PNSW_IS11_E10value_typeET4_jRbjT5_S17_jjP12ihipStream_tbEUljE_EEESS_ST_SU_S11_S15_S17_T6_T7_T9_mT8_S19_bDpT10_ENKUlT_T0_E_clISt17integral_constantIbLb1EES1M_EEDaS1H_S1I_EUlS1H_E_NS1_11comp_targetILNS1_3genE3ELNS1_11target_archE908ELNS1_3gpuE7ELNS1_3repE0EEENS1_30default_config_static_selectorELNS0_4arch9wavefront6targetE1EEEvSV_.uses_flat_scratch, 0
	.set _ZN7rocprim17ROCPRIM_400000_NS6detail17trampoline_kernelINS0_13select_configILj256ELj13ELNS0_17block_load_methodE3ELS4_3ELS4_3ELNS0_20block_scan_algorithmE0ELj4294967295EEENS1_25partition_config_selectorILNS1_17partition_subalgoE3EjNS0_10empty_typeEbEEZZNS1_14partition_implILS8_3ELb0ES6_jNS0_17counting_iteratorIjlEEPS9_SE_NS0_5tupleIJPjSE_EEENSF_IJSE_SE_EEES9_SG_JZNS1_25segmented_radix_sort_implINS0_14default_configELb1EPKlPlSM_SN_N2at6native12_GLOBAL__N_18offset_tEEE10hipError_tPvRmT1_PNSt15iterator_traitsISV_E10value_typeET2_T3_PNSW_IS11_E10value_typeET4_jRbjT5_S17_jjP12ihipStream_tbEUljE_EEESS_ST_SU_S11_S15_S17_T6_T7_T9_mT8_S19_bDpT10_ENKUlT_T0_E_clISt17integral_constantIbLb1EES1M_EEDaS1H_S1I_EUlS1H_E_NS1_11comp_targetILNS1_3genE3ELNS1_11target_archE908ELNS1_3gpuE7ELNS1_3repE0EEENS1_30default_config_static_selectorELNS0_4arch9wavefront6targetE1EEEvSV_.has_dyn_sized_stack, 0
	.set _ZN7rocprim17ROCPRIM_400000_NS6detail17trampoline_kernelINS0_13select_configILj256ELj13ELNS0_17block_load_methodE3ELS4_3ELS4_3ELNS0_20block_scan_algorithmE0ELj4294967295EEENS1_25partition_config_selectorILNS1_17partition_subalgoE3EjNS0_10empty_typeEbEEZZNS1_14partition_implILS8_3ELb0ES6_jNS0_17counting_iteratorIjlEEPS9_SE_NS0_5tupleIJPjSE_EEENSF_IJSE_SE_EEES9_SG_JZNS1_25segmented_radix_sort_implINS0_14default_configELb1EPKlPlSM_SN_N2at6native12_GLOBAL__N_18offset_tEEE10hipError_tPvRmT1_PNSt15iterator_traitsISV_E10value_typeET2_T3_PNSW_IS11_E10value_typeET4_jRbjT5_S17_jjP12ihipStream_tbEUljE_EEESS_ST_SU_S11_S15_S17_T6_T7_T9_mT8_S19_bDpT10_ENKUlT_T0_E_clISt17integral_constantIbLb1EES1M_EEDaS1H_S1I_EUlS1H_E_NS1_11comp_targetILNS1_3genE3ELNS1_11target_archE908ELNS1_3gpuE7ELNS1_3repE0EEENS1_30default_config_static_selectorELNS0_4arch9wavefront6targetE1EEEvSV_.has_recursion, 0
	.set _ZN7rocprim17ROCPRIM_400000_NS6detail17trampoline_kernelINS0_13select_configILj256ELj13ELNS0_17block_load_methodE3ELS4_3ELS4_3ELNS0_20block_scan_algorithmE0ELj4294967295EEENS1_25partition_config_selectorILNS1_17partition_subalgoE3EjNS0_10empty_typeEbEEZZNS1_14partition_implILS8_3ELb0ES6_jNS0_17counting_iteratorIjlEEPS9_SE_NS0_5tupleIJPjSE_EEENSF_IJSE_SE_EEES9_SG_JZNS1_25segmented_radix_sort_implINS0_14default_configELb1EPKlPlSM_SN_N2at6native12_GLOBAL__N_18offset_tEEE10hipError_tPvRmT1_PNSt15iterator_traitsISV_E10value_typeET2_T3_PNSW_IS11_E10value_typeET4_jRbjT5_S17_jjP12ihipStream_tbEUljE_EEESS_ST_SU_S11_S15_S17_T6_T7_T9_mT8_S19_bDpT10_ENKUlT_T0_E_clISt17integral_constantIbLb1EES1M_EEDaS1H_S1I_EUlS1H_E_NS1_11comp_targetILNS1_3genE3ELNS1_11target_archE908ELNS1_3gpuE7ELNS1_3repE0EEENS1_30default_config_static_selectorELNS0_4arch9wavefront6targetE1EEEvSV_.has_indirect_call, 0
	.section	.AMDGPU.csdata,"",@progbits
; Kernel info:
; codeLenInByte = 0
; TotalNumSgprs: 4
; NumVgprs: 0
; ScratchSize: 0
; MemoryBound: 0
; FloatMode: 240
; IeeeMode: 1
; LDSByteSize: 0 bytes/workgroup (compile time only)
; SGPRBlocks: 0
; VGPRBlocks: 0
; NumSGPRsForWavesPerEU: 4
; NumVGPRsForWavesPerEU: 1
; Occupancy: 10
; WaveLimiterHint : 0
; COMPUTE_PGM_RSRC2:SCRATCH_EN: 0
; COMPUTE_PGM_RSRC2:USER_SGPR: 6
; COMPUTE_PGM_RSRC2:TRAP_HANDLER: 0
; COMPUTE_PGM_RSRC2:TGID_X_EN: 1
; COMPUTE_PGM_RSRC2:TGID_Y_EN: 0
; COMPUTE_PGM_RSRC2:TGID_Z_EN: 0
; COMPUTE_PGM_RSRC2:TIDIG_COMP_CNT: 0
	.section	.text._ZN7rocprim17ROCPRIM_400000_NS6detail17trampoline_kernelINS0_13select_configILj256ELj13ELNS0_17block_load_methodE3ELS4_3ELS4_3ELNS0_20block_scan_algorithmE0ELj4294967295EEENS1_25partition_config_selectorILNS1_17partition_subalgoE3EjNS0_10empty_typeEbEEZZNS1_14partition_implILS8_3ELb0ES6_jNS0_17counting_iteratorIjlEEPS9_SE_NS0_5tupleIJPjSE_EEENSF_IJSE_SE_EEES9_SG_JZNS1_25segmented_radix_sort_implINS0_14default_configELb1EPKlPlSM_SN_N2at6native12_GLOBAL__N_18offset_tEEE10hipError_tPvRmT1_PNSt15iterator_traitsISV_E10value_typeET2_T3_PNSW_IS11_E10value_typeET4_jRbjT5_S17_jjP12ihipStream_tbEUljE_EEESS_ST_SU_S11_S15_S17_T6_T7_T9_mT8_S19_bDpT10_ENKUlT_T0_E_clISt17integral_constantIbLb1EES1M_EEDaS1H_S1I_EUlS1H_E_NS1_11comp_targetILNS1_3genE2ELNS1_11target_archE906ELNS1_3gpuE6ELNS1_3repE0EEENS1_30default_config_static_selectorELNS0_4arch9wavefront6targetE1EEEvSV_,"axG",@progbits,_ZN7rocprim17ROCPRIM_400000_NS6detail17trampoline_kernelINS0_13select_configILj256ELj13ELNS0_17block_load_methodE3ELS4_3ELS4_3ELNS0_20block_scan_algorithmE0ELj4294967295EEENS1_25partition_config_selectorILNS1_17partition_subalgoE3EjNS0_10empty_typeEbEEZZNS1_14partition_implILS8_3ELb0ES6_jNS0_17counting_iteratorIjlEEPS9_SE_NS0_5tupleIJPjSE_EEENSF_IJSE_SE_EEES9_SG_JZNS1_25segmented_radix_sort_implINS0_14default_configELb1EPKlPlSM_SN_N2at6native12_GLOBAL__N_18offset_tEEE10hipError_tPvRmT1_PNSt15iterator_traitsISV_E10value_typeET2_T3_PNSW_IS11_E10value_typeET4_jRbjT5_S17_jjP12ihipStream_tbEUljE_EEESS_ST_SU_S11_S15_S17_T6_T7_T9_mT8_S19_bDpT10_ENKUlT_T0_E_clISt17integral_constantIbLb1EES1M_EEDaS1H_S1I_EUlS1H_E_NS1_11comp_targetILNS1_3genE2ELNS1_11target_archE906ELNS1_3gpuE6ELNS1_3repE0EEENS1_30default_config_static_selectorELNS0_4arch9wavefront6targetE1EEEvSV_,comdat
	.globl	_ZN7rocprim17ROCPRIM_400000_NS6detail17trampoline_kernelINS0_13select_configILj256ELj13ELNS0_17block_load_methodE3ELS4_3ELS4_3ELNS0_20block_scan_algorithmE0ELj4294967295EEENS1_25partition_config_selectorILNS1_17partition_subalgoE3EjNS0_10empty_typeEbEEZZNS1_14partition_implILS8_3ELb0ES6_jNS0_17counting_iteratorIjlEEPS9_SE_NS0_5tupleIJPjSE_EEENSF_IJSE_SE_EEES9_SG_JZNS1_25segmented_radix_sort_implINS0_14default_configELb1EPKlPlSM_SN_N2at6native12_GLOBAL__N_18offset_tEEE10hipError_tPvRmT1_PNSt15iterator_traitsISV_E10value_typeET2_T3_PNSW_IS11_E10value_typeET4_jRbjT5_S17_jjP12ihipStream_tbEUljE_EEESS_ST_SU_S11_S15_S17_T6_T7_T9_mT8_S19_bDpT10_ENKUlT_T0_E_clISt17integral_constantIbLb1EES1M_EEDaS1H_S1I_EUlS1H_E_NS1_11comp_targetILNS1_3genE2ELNS1_11target_archE906ELNS1_3gpuE6ELNS1_3repE0EEENS1_30default_config_static_selectorELNS0_4arch9wavefront6targetE1EEEvSV_ ; -- Begin function _ZN7rocprim17ROCPRIM_400000_NS6detail17trampoline_kernelINS0_13select_configILj256ELj13ELNS0_17block_load_methodE3ELS4_3ELS4_3ELNS0_20block_scan_algorithmE0ELj4294967295EEENS1_25partition_config_selectorILNS1_17partition_subalgoE3EjNS0_10empty_typeEbEEZZNS1_14partition_implILS8_3ELb0ES6_jNS0_17counting_iteratorIjlEEPS9_SE_NS0_5tupleIJPjSE_EEENSF_IJSE_SE_EEES9_SG_JZNS1_25segmented_radix_sort_implINS0_14default_configELb1EPKlPlSM_SN_N2at6native12_GLOBAL__N_18offset_tEEE10hipError_tPvRmT1_PNSt15iterator_traitsISV_E10value_typeET2_T3_PNSW_IS11_E10value_typeET4_jRbjT5_S17_jjP12ihipStream_tbEUljE_EEESS_ST_SU_S11_S15_S17_T6_T7_T9_mT8_S19_bDpT10_ENKUlT_T0_E_clISt17integral_constantIbLb1EES1M_EEDaS1H_S1I_EUlS1H_E_NS1_11comp_targetILNS1_3genE2ELNS1_11target_archE906ELNS1_3gpuE6ELNS1_3repE0EEENS1_30default_config_static_selectorELNS0_4arch9wavefront6targetE1EEEvSV_
	.p2align	8
	.type	_ZN7rocprim17ROCPRIM_400000_NS6detail17trampoline_kernelINS0_13select_configILj256ELj13ELNS0_17block_load_methodE3ELS4_3ELS4_3ELNS0_20block_scan_algorithmE0ELj4294967295EEENS1_25partition_config_selectorILNS1_17partition_subalgoE3EjNS0_10empty_typeEbEEZZNS1_14partition_implILS8_3ELb0ES6_jNS0_17counting_iteratorIjlEEPS9_SE_NS0_5tupleIJPjSE_EEENSF_IJSE_SE_EEES9_SG_JZNS1_25segmented_radix_sort_implINS0_14default_configELb1EPKlPlSM_SN_N2at6native12_GLOBAL__N_18offset_tEEE10hipError_tPvRmT1_PNSt15iterator_traitsISV_E10value_typeET2_T3_PNSW_IS11_E10value_typeET4_jRbjT5_S17_jjP12ihipStream_tbEUljE_EEESS_ST_SU_S11_S15_S17_T6_T7_T9_mT8_S19_bDpT10_ENKUlT_T0_E_clISt17integral_constantIbLb1EES1M_EEDaS1H_S1I_EUlS1H_E_NS1_11comp_targetILNS1_3genE2ELNS1_11target_archE906ELNS1_3gpuE6ELNS1_3repE0EEENS1_30default_config_static_selectorELNS0_4arch9wavefront6targetE1EEEvSV_,@function
_ZN7rocprim17ROCPRIM_400000_NS6detail17trampoline_kernelINS0_13select_configILj256ELj13ELNS0_17block_load_methodE3ELS4_3ELS4_3ELNS0_20block_scan_algorithmE0ELj4294967295EEENS1_25partition_config_selectorILNS1_17partition_subalgoE3EjNS0_10empty_typeEbEEZZNS1_14partition_implILS8_3ELb0ES6_jNS0_17counting_iteratorIjlEEPS9_SE_NS0_5tupleIJPjSE_EEENSF_IJSE_SE_EEES9_SG_JZNS1_25segmented_radix_sort_implINS0_14default_configELb1EPKlPlSM_SN_N2at6native12_GLOBAL__N_18offset_tEEE10hipError_tPvRmT1_PNSt15iterator_traitsISV_E10value_typeET2_T3_PNSW_IS11_E10value_typeET4_jRbjT5_S17_jjP12ihipStream_tbEUljE_EEESS_ST_SU_S11_S15_S17_T6_T7_T9_mT8_S19_bDpT10_ENKUlT_T0_E_clISt17integral_constantIbLb1EES1M_EEDaS1H_S1I_EUlS1H_E_NS1_11comp_targetILNS1_3genE2ELNS1_11target_archE906ELNS1_3gpuE6ELNS1_3repE0EEENS1_30default_config_static_selectorELNS0_4arch9wavefront6targetE1EEEvSV_: ; @_ZN7rocprim17ROCPRIM_400000_NS6detail17trampoline_kernelINS0_13select_configILj256ELj13ELNS0_17block_load_methodE3ELS4_3ELS4_3ELNS0_20block_scan_algorithmE0ELj4294967295EEENS1_25partition_config_selectorILNS1_17partition_subalgoE3EjNS0_10empty_typeEbEEZZNS1_14partition_implILS8_3ELb0ES6_jNS0_17counting_iteratorIjlEEPS9_SE_NS0_5tupleIJPjSE_EEENSF_IJSE_SE_EEES9_SG_JZNS1_25segmented_radix_sort_implINS0_14default_configELb1EPKlPlSM_SN_N2at6native12_GLOBAL__N_18offset_tEEE10hipError_tPvRmT1_PNSt15iterator_traitsISV_E10value_typeET2_T3_PNSW_IS11_E10value_typeET4_jRbjT5_S17_jjP12ihipStream_tbEUljE_EEESS_ST_SU_S11_S15_S17_T6_T7_T9_mT8_S19_bDpT10_ENKUlT_T0_E_clISt17integral_constantIbLb1EES1M_EEDaS1H_S1I_EUlS1H_E_NS1_11comp_targetILNS1_3genE2ELNS1_11target_archE906ELNS1_3gpuE6ELNS1_3repE0EEENS1_30default_config_static_selectorELNS0_4arch9wavefront6targetE1EEEvSV_
; %bb.0:
	s_endpgm
	.section	.rodata,"a",@progbits
	.p2align	6, 0x0
	.amdhsa_kernel _ZN7rocprim17ROCPRIM_400000_NS6detail17trampoline_kernelINS0_13select_configILj256ELj13ELNS0_17block_load_methodE3ELS4_3ELS4_3ELNS0_20block_scan_algorithmE0ELj4294967295EEENS1_25partition_config_selectorILNS1_17partition_subalgoE3EjNS0_10empty_typeEbEEZZNS1_14partition_implILS8_3ELb0ES6_jNS0_17counting_iteratorIjlEEPS9_SE_NS0_5tupleIJPjSE_EEENSF_IJSE_SE_EEES9_SG_JZNS1_25segmented_radix_sort_implINS0_14default_configELb1EPKlPlSM_SN_N2at6native12_GLOBAL__N_18offset_tEEE10hipError_tPvRmT1_PNSt15iterator_traitsISV_E10value_typeET2_T3_PNSW_IS11_E10value_typeET4_jRbjT5_S17_jjP12ihipStream_tbEUljE_EEESS_ST_SU_S11_S15_S17_T6_T7_T9_mT8_S19_bDpT10_ENKUlT_T0_E_clISt17integral_constantIbLb1EES1M_EEDaS1H_S1I_EUlS1H_E_NS1_11comp_targetILNS1_3genE2ELNS1_11target_archE906ELNS1_3gpuE6ELNS1_3repE0EEENS1_30default_config_static_selectorELNS0_4arch9wavefront6targetE1EEEvSV_
		.amdhsa_group_segment_fixed_size 0
		.amdhsa_private_segment_fixed_size 0
		.amdhsa_kernarg_size 152
		.amdhsa_user_sgpr_count 6
		.amdhsa_user_sgpr_private_segment_buffer 1
		.amdhsa_user_sgpr_dispatch_ptr 0
		.amdhsa_user_sgpr_queue_ptr 0
		.amdhsa_user_sgpr_kernarg_segment_ptr 1
		.amdhsa_user_sgpr_dispatch_id 0
		.amdhsa_user_sgpr_flat_scratch_init 0
		.amdhsa_user_sgpr_private_segment_size 0
		.amdhsa_uses_dynamic_stack 0
		.amdhsa_system_sgpr_private_segment_wavefront_offset 0
		.amdhsa_system_sgpr_workgroup_id_x 1
		.amdhsa_system_sgpr_workgroup_id_y 0
		.amdhsa_system_sgpr_workgroup_id_z 0
		.amdhsa_system_sgpr_workgroup_info 0
		.amdhsa_system_vgpr_workitem_id 0
		.amdhsa_next_free_vgpr 1
		.amdhsa_next_free_sgpr 0
		.amdhsa_reserve_vcc 0
		.amdhsa_reserve_flat_scratch 0
		.amdhsa_float_round_mode_32 0
		.amdhsa_float_round_mode_16_64 0
		.amdhsa_float_denorm_mode_32 3
		.amdhsa_float_denorm_mode_16_64 3
		.amdhsa_dx10_clamp 1
		.amdhsa_ieee_mode 1
		.amdhsa_fp16_overflow 0
		.amdhsa_exception_fp_ieee_invalid_op 0
		.amdhsa_exception_fp_denorm_src 0
		.amdhsa_exception_fp_ieee_div_zero 0
		.amdhsa_exception_fp_ieee_overflow 0
		.amdhsa_exception_fp_ieee_underflow 0
		.amdhsa_exception_fp_ieee_inexact 0
		.amdhsa_exception_int_div_zero 0
	.end_amdhsa_kernel
	.section	.text._ZN7rocprim17ROCPRIM_400000_NS6detail17trampoline_kernelINS0_13select_configILj256ELj13ELNS0_17block_load_methodE3ELS4_3ELS4_3ELNS0_20block_scan_algorithmE0ELj4294967295EEENS1_25partition_config_selectorILNS1_17partition_subalgoE3EjNS0_10empty_typeEbEEZZNS1_14partition_implILS8_3ELb0ES6_jNS0_17counting_iteratorIjlEEPS9_SE_NS0_5tupleIJPjSE_EEENSF_IJSE_SE_EEES9_SG_JZNS1_25segmented_radix_sort_implINS0_14default_configELb1EPKlPlSM_SN_N2at6native12_GLOBAL__N_18offset_tEEE10hipError_tPvRmT1_PNSt15iterator_traitsISV_E10value_typeET2_T3_PNSW_IS11_E10value_typeET4_jRbjT5_S17_jjP12ihipStream_tbEUljE_EEESS_ST_SU_S11_S15_S17_T6_T7_T9_mT8_S19_bDpT10_ENKUlT_T0_E_clISt17integral_constantIbLb1EES1M_EEDaS1H_S1I_EUlS1H_E_NS1_11comp_targetILNS1_3genE2ELNS1_11target_archE906ELNS1_3gpuE6ELNS1_3repE0EEENS1_30default_config_static_selectorELNS0_4arch9wavefront6targetE1EEEvSV_,"axG",@progbits,_ZN7rocprim17ROCPRIM_400000_NS6detail17trampoline_kernelINS0_13select_configILj256ELj13ELNS0_17block_load_methodE3ELS4_3ELS4_3ELNS0_20block_scan_algorithmE0ELj4294967295EEENS1_25partition_config_selectorILNS1_17partition_subalgoE3EjNS0_10empty_typeEbEEZZNS1_14partition_implILS8_3ELb0ES6_jNS0_17counting_iteratorIjlEEPS9_SE_NS0_5tupleIJPjSE_EEENSF_IJSE_SE_EEES9_SG_JZNS1_25segmented_radix_sort_implINS0_14default_configELb1EPKlPlSM_SN_N2at6native12_GLOBAL__N_18offset_tEEE10hipError_tPvRmT1_PNSt15iterator_traitsISV_E10value_typeET2_T3_PNSW_IS11_E10value_typeET4_jRbjT5_S17_jjP12ihipStream_tbEUljE_EEESS_ST_SU_S11_S15_S17_T6_T7_T9_mT8_S19_bDpT10_ENKUlT_T0_E_clISt17integral_constantIbLb1EES1M_EEDaS1H_S1I_EUlS1H_E_NS1_11comp_targetILNS1_3genE2ELNS1_11target_archE906ELNS1_3gpuE6ELNS1_3repE0EEENS1_30default_config_static_selectorELNS0_4arch9wavefront6targetE1EEEvSV_,comdat
.Lfunc_end684:
	.size	_ZN7rocprim17ROCPRIM_400000_NS6detail17trampoline_kernelINS0_13select_configILj256ELj13ELNS0_17block_load_methodE3ELS4_3ELS4_3ELNS0_20block_scan_algorithmE0ELj4294967295EEENS1_25partition_config_selectorILNS1_17partition_subalgoE3EjNS0_10empty_typeEbEEZZNS1_14partition_implILS8_3ELb0ES6_jNS0_17counting_iteratorIjlEEPS9_SE_NS0_5tupleIJPjSE_EEENSF_IJSE_SE_EEES9_SG_JZNS1_25segmented_radix_sort_implINS0_14default_configELb1EPKlPlSM_SN_N2at6native12_GLOBAL__N_18offset_tEEE10hipError_tPvRmT1_PNSt15iterator_traitsISV_E10value_typeET2_T3_PNSW_IS11_E10value_typeET4_jRbjT5_S17_jjP12ihipStream_tbEUljE_EEESS_ST_SU_S11_S15_S17_T6_T7_T9_mT8_S19_bDpT10_ENKUlT_T0_E_clISt17integral_constantIbLb1EES1M_EEDaS1H_S1I_EUlS1H_E_NS1_11comp_targetILNS1_3genE2ELNS1_11target_archE906ELNS1_3gpuE6ELNS1_3repE0EEENS1_30default_config_static_selectorELNS0_4arch9wavefront6targetE1EEEvSV_, .Lfunc_end684-_ZN7rocprim17ROCPRIM_400000_NS6detail17trampoline_kernelINS0_13select_configILj256ELj13ELNS0_17block_load_methodE3ELS4_3ELS4_3ELNS0_20block_scan_algorithmE0ELj4294967295EEENS1_25partition_config_selectorILNS1_17partition_subalgoE3EjNS0_10empty_typeEbEEZZNS1_14partition_implILS8_3ELb0ES6_jNS0_17counting_iteratorIjlEEPS9_SE_NS0_5tupleIJPjSE_EEENSF_IJSE_SE_EEES9_SG_JZNS1_25segmented_radix_sort_implINS0_14default_configELb1EPKlPlSM_SN_N2at6native12_GLOBAL__N_18offset_tEEE10hipError_tPvRmT1_PNSt15iterator_traitsISV_E10value_typeET2_T3_PNSW_IS11_E10value_typeET4_jRbjT5_S17_jjP12ihipStream_tbEUljE_EEESS_ST_SU_S11_S15_S17_T6_T7_T9_mT8_S19_bDpT10_ENKUlT_T0_E_clISt17integral_constantIbLb1EES1M_EEDaS1H_S1I_EUlS1H_E_NS1_11comp_targetILNS1_3genE2ELNS1_11target_archE906ELNS1_3gpuE6ELNS1_3repE0EEENS1_30default_config_static_selectorELNS0_4arch9wavefront6targetE1EEEvSV_
                                        ; -- End function
	.set _ZN7rocprim17ROCPRIM_400000_NS6detail17trampoline_kernelINS0_13select_configILj256ELj13ELNS0_17block_load_methodE3ELS4_3ELS4_3ELNS0_20block_scan_algorithmE0ELj4294967295EEENS1_25partition_config_selectorILNS1_17partition_subalgoE3EjNS0_10empty_typeEbEEZZNS1_14partition_implILS8_3ELb0ES6_jNS0_17counting_iteratorIjlEEPS9_SE_NS0_5tupleIJPjSE_EEENSF_IJSE_SE_EEES9_SG_JZNS1_25segmented_radix_sort_implINS0_14default_configELb1EPKlPlSM_SN_N2at6native12_GLOBAL__N_18offset_tEEE10hipError_tPvRmT1_PNSt15iterator_traitsISV_E10value_typeET2_T3_PNSW_IS11_E10value_typeET4_jRbjT5_S17_jjP12ihipStream_tbEUljE_EEESS_ST_SU_S11_S15_S17_T6_T7_T9_mT8_S19_bDpT10_ENKUlT_T0_E_clISt17integral_constantIbLb1EES1M_EEDaS1H_S1I_EUlS1H_E_NS1_11comp_targetILNS1_3genE2ELNS1_11target_archE906ELNS1_3gpuE6ELNS1_3repE0EEENS1_30default_config_static_selectorELNS0_4arch9wavefront6targetE1EEEvSV_.num_vgpr, 0
	.set _ZN7rocprim17ROCPRIM_400000_NS6detail17trampoline_kernelINS0_13select_configILj256ELj13ELNS0_17block_load_methodE3ELS4_3ELS4_3ELNS0_20block_scan_algorithmE0ELj4294967295EEENS1_25partition_config_selectorILNS1_17partition_subalgoE3EjNS0_10empty_typeEbEEZZNS1_14partition_implILS8_3ELb0ES6_jNS0_17counting_iteratorIjlEEPS9_SE_NS0_5tupleIJPjSE_EEENSF_IJSE_SE_EEES9_SG_JZNS1_25segmented_radix_sort_implINS0_14default_configELb1EPKlPlSM_SN_N2at6native12_GLOBAL__N_18offset_tEEE10hipError_tPvRmT1_PNSt15iterator_traitsISV_E10value_typeET2_T3_PNSW_IS11_E10value_typeET4_jRbjT5_S17_jjP12ihipStream_tbEUljE_EEESS_ST_SU_S11_S15_S17_T6_T7_T9_mT8_S19_bDpT10_ENKUlT_T0_E_clISt17integral_constantIbLb1EES1M_EEDaS1H_S1I_EUlS1H_E_NS1_11comp_targetILNS1_3genE2ELNS1_11target_archE906ELNS1_3gpuE6ELNS1_3repE0EEENS1_30default_config_static_selectorELNS0_4arch9wavefront6targetE1EEEvSV_.num_agpr, 0
	.set _ZN7rocprim17ROCPRIM_400000_NS6detail17trampoline_kernelINS0_13select_configILj256ELj13ELNS0_17block_load_methodE3ELS4_3ELS4_3ELNS0_20block_scan_algorithmE0ELj4294967295EEENS1_25partition_config_selectorILNS1_17partition_subalgoE3EjNS0_10empty_typeEbEEZZNS1_14partition_implILS8_3ELb0ES6_jNS0_17counting_iteratorIjlEEPS9_SE_NS0_5tupleIJPjSE_EEENSF_IJSE_SE_EEES9_SG_JZNS1_25segmented_radix_sort_implINS0_14default_configELb1EPKlPlSM_SN_N2at6native12_GLOBAL__N_18offset_tEEE10hipError_tPvRmT1_PNSt15iterator_traitsISV_E10value_typeET2_T3_PNSW_IS11_E10value_typeET4_jRbjT5_S17_jjP12ihipStream_tbEUljE_EEESS_ST_SU_S11_S15_S17_T6_T7_T9_mT8_S19_bDpT10_ENKUlT_T0_E_clISt17integral_constantIbLb1EES1M_EEDaS1H_S1I_EUlS1H_E_NS1_11comp_targetILNS1_3genE2ELNS1_11target_archE906ELNS1_3gpuE6ELNS1_3repE0EEENS1_30default_config_static_selectorELNS0_4arch9wavefront6targetE1EEEvSV_.numbered_sgpr, 0
	.set _ZN7rocprim17ROCPRIM_400000_NS6detail17trampoline_kernelINS0_13select_configILj256ELj13ELNS0_17block_load_methodE3ELS4_3ELS4_3ELNS0_20block_scan_algorithmE0ELj4294967295EEENS1_25partition_config_selectorILNS1_17partition_subalgoE3EjNS0_10empty_typeEbEEZZNS1_14partition_implILS8_3ELb0ES6_jNS0_17counting_iteratorIjlEEPS9_SE_NS0_5tupleIJPjSE_EEENSF_IJSE_SE_EEES9_SG_JZNS1_25segmented_radix_sort_implINS0_14default_configELb1EPKlPlSM_SN_N2at6native12_GLOBAL__N_18offset_tEEE10hipError_tPvRmT1_PNSt15iterator_traitsISV_E10value_typeET2_T3_PNSW_IS11_E10value_typeET4_jRbjT5_S17_jjP12ihipStream_tbEUljE_EEESS_ST_SU_S11_S15_S17_T6_T7_T9_mT8_S19_bDpT10_ENKUlT_T0_E_clISt17integral_constantIbLb1EES1M_EEDaS1H_S1I_EUlS1H_E_NS1_11comp_targetILNS1_3genE2ELNS1_11target_archE906ELNS1_3gpuE6ELNS1_3repE0EEENS1_30default_config_static_selectorELNS0_4arch9wavefront6targetE1EEEvSV_.num_named_barrier, 0
	.set _ZN7rocprim17ROCPRIM_400000_NS6detail17trampoline_kernelINS0_13select_configILj256ELj13ELNS0_17block_load_methodE3ELS4_3ELS4_3ELNS0_20block_scan_algorithmE0ELj4294967295EEENS1_25partition_config_selectorILNS1_17partition_subalgoE3EjNS0_10empty_typeEbEEZZNS1_14partition_implILS8_3ELb0ES6_jNS0_17counting_iteratorIjlEEPS9_SE_NS0_5tupleIJPjSE_EEENSF_IJSE_SE_EEES9_SG_JZNS1_25segmented_radix_sort_implINS0_14default_configELb1EPKlPlSM_SN_N2at6native12_GLOBAL__N_18offset_tEEE10hipError_tPvRmT1_PNSt15iterator_traitsISV_E10value_typeET2_T3_PNSW_IS11_E10value_typeET4_jRbjT5_S17_jjP12ihipStream_tbEUljE_EEESS_ST_SU_S11_S15_S17_T6_T7_T9_mT8_S19_bDpT10_ENKUlT_T0_E_clISt17integral_constantIbLb1EES1M_EEDaS1H_S1I_EUlS1H_E_NS1_11comp_targetILNS1_3genE2ELNS1_11target_archE906ELNS1_3gpuE6ELNS1_3repE0EEENS1_30default_config_static_selectorELNS0_4arch9wavefront6targetE1EEEvSV_.private_seg_size, 0
	.set _ZN7rocprim17ROCPRIM_400000_NS6detail17trampoline_kernelINS0_13select_configILj256ELj13ELNS0_17block_load_methodE3ELS4_3ELS4_3ELNS0_20block_scan_algorithmE0ELj4294967295EEENS1_25partition_config_selectorILNS1_17partition_subalgoE3EjNS0_10empty_typeEbEEZZNS1_14partition_implILS8_3ELb0ES6_jNS0_17counting_iteratorIjlEEPS9_SE_NS0_5tupleIJPjSE_EEENSF_IJSE_SE_EEES9_SG_JZNS1_25segmented_radix_sort_implINS0_14default_configELb1EPKlPlSM_SN_N2at6native12_GLOBAL__N_18offset_tEEE10hipError_tPvRmT1_PNSt15iterator_traitsISV_E10value_typeET2_T3_PNSW_IS11_E10value_typeET4_jRbjT5_S17_jjP12ihipStream_tbEUljE_EEESS_ST_SU_S11_S15_S17_T6_T7_T9_mT8_S19_bDpT10_ENKUlT_T0_E_clISt17integral_constantIbLb1EES1M_EEDaS1H_S1I_EUlS1H_E_NS1_11comp_targetILNS1_3genE2ELNS1_11target_archE906ELNS1_3gpuE6ELNS1_3repE0EEENS1_30default_config_static_selectorELNS0_4arch9wavefront6targetE1EEEvSV_.uses_vcc, 0
	.set _ZN7rocprim17ROCPRIM_400000_NS6detail17trampoline_kernelINS0_13select_configILj256ELj13ELNS0_17block_load_methodE3ELS4_3ELS4_3ELNS0_20block_scan_algorithmE0ELj4294967295EEENS1_25partition_config_selectorILNS1_17partition_subalgoE3EjNS0_10empty_typeEbEEZZNS1_14partition_implILS8_3ELb0ES6_jNS0_17counting_iteratorIjlEEPS9_SE_NS0_5tupleIJPjSE_EEENSF_IJSE_SE_EEES9_SG_JZNS1_25segmented_radix_sort_implINS0_14default_configELb1EPKlPlSM_SN_N2at6native12_GLOBAL__N_18offset_tEEE10hipError_tPvRmT1_PNSt15iterator_traitsISV_E10value_typeET2_T3_PNSW_IS11_E10value_typeET4_jRbjT5_S17_jjP12ihipStream_tbEUljE_EEESS_ST_SU_S11_S15_S17_T6_T7_T9_mT8_S19_bDpT10_ENKUlT_T0_E_clISt17integral_constantIbLb1EES1M_EEDaS1H_S1I_EUlS1H_E_NS1_11comp_targetILNS1_3genE2ELNS1_11target_archE906ELNS1_3gpuE6ELNS1_3repE0EEENS1_30default_config_static_selectorELNS0_4arch9wavefront6targetE1EEEvSV_.uses_flat_scratch, 0
	.set _ZN7rocprim17ROCPRIM_400000_NS6detail17trampoline_kernelINS0_13select_configILj256ELj13ELNS0_17block_load_methodE3ELS4_3ELS4_3ELNS0_20block_scan_algorithmE0ELj4294967295EEENS1_25partition_config_selectorILNS1_17partition_subalgoE3EjNS0_10empty_typeEbEEZZNS1_14partition_implILS8_3ELb0ES6_jNS0_17counting_iteratorIjlEEPS9_SE_NS0_5tupleIJPjSE_EEENSF_IJSE_SE_EEES9_SG_JZNS1_25segmented_radix_sort_implINS0_14default_configELb1EPKlPlSM_SN_N2at6native12_GLOBAL__N_18offset_tEEE10hipError_tPvRmT1_PNSt15iterator_traitsISV_E10value_typeET2_T3_PNSW_IS11_E10value_typeET4_jRbjT5_S17_jjP12ihipStream_tbEUljE_EEESS_ST_SU_S11_S15_S17_T6_T7_T9_mT8_S19_bDpT10_ENKUlT_T0_E_clISt17integral_constantIbLb1EES1M_EEDaS1H_S1I_EUlS1H_E_NS1_11comp_targetILNS1_3genE2ELNS1_11target_archE906ELNS1_3gpuE6ELNS1_3repE0EEENS1_30default_config_static_selectorELNS0_4arch9wavefront6targetE1EEEvSV_.has_dyn_sized_stack, 0
	.set _ZN7rocprim17ROCPRIM_400000_NS6detail17trampoline_kernelINS0_13select_configILj256ELj13ELNS0_17block_load_methodE3ELS4_3ELS4_3ELNS0_20block_scan_algorithmE0ELj4294967295EEENS1_25partition_config_selectorILNS1_17partition_subalgoE3EjNS0_10empty_typeEbEEZZNS1_14partition_implILS8_3ELb0ES6_jNS0_17counting_iteratorIjlEEPS9_SE_NS0_5tupleIJPjSE_EEENSF_IJSE_SE_EEES9_SG_JZNS1_25segmented_radix_sort_implINS0_14default_configELb1EPKlPlSM_SN_N2at6native12_GLOBAL__N_18offset_tEEE10hipError_tPvRmT1_PNSt15iterator_traitsISV_E10value_typeET2_T3_PNSW_IS11_E10value_typeET4_jRbjT5_S17_jjP12ihipStream_tbEUljE_EEESS_ST_SU_S11_S15_S17_T6_T7_T9_mT8_S19_bDpT10_ENKUlT_T0_E_clISt17integral_constantIbLb1EES1M_EEDaS1H_S1I_EUlS1H_E_NS1_11comp_targetILNS1_3genE2ELNS1_11target_archE906ELNS1_3gpuE6ELNS1_3repE0EEENS1_30default_config_static_selectorELNS0_4arch9wavefront6targetE1EEEvSV_.has_recursion, 0
	.set _ZN7rocprim17ROCPRIM_400000_NS6detail17trampoline_kernelINS0_13select_configILj256ELj13ELNS0_17block_load_methodE3ELS4_3ELS4_3ELNS0_20block_scan_algorithmE0ELj4294967295EEENS1_25partition_config_selectorILNS1_17partition_subalgoE3EjNS0_10empty_typeEbEEZZNS1_14partition_implILS8_3ELb0ES6_jNS0_17counting_iteratorIjlEEPS9_SE_NS0_5tupleIJPjSE_EEENSF_IJSE_SE_EEES9_SG_JZNS1_25segmented_radix_sort_implINS0_14default_configELb1EPKlPlSM_SN_N2at6native12_GLOBAL__N_18offset_tEEE10hipError_tPvRmT1_PNSt15iterator_traitsISV_E10value_typeET2_T3_PNSW_IS11_E10value_typeET4_jRbjT5_S17_jjP12ihipStream_tbEUljE_EEESS_ST_SU_S11_S15_S17_T6_T7_T9_mT8_S19_bDpT10_ENKUlT_T0_E_clISt17integral_constantIbLb1EES1M_EEDaS1H_S1I_EUlS1H_E_NS1_11comp_targetILNS1_3genE2ELNS1_11target_archE906ELNS1_3gpuE6ELNS1_3repE0EEENS1_30default_config_static_selectorELNS0_4arch9wavefront6targetE1EEEvSV_.has_indirect_call, 0
	.section	.AMDGPU.csdata,"",@progbits
; Kernel info:
; codeLenInByte = 4
; TotalNumSgprs: 4
; NumVgprs: 0
; ScratchSize: 0
; MemoryBound: 0
; FloatMode: 240
; IeeeMode: 1
; LDSByteSize: 0 bytes/workgroup (compile time only)
; SGPRBlocks: 0
; VGPRBlocks: 0
; NumSGPRsForWavesPerEU: 4
; NumVGPRsForWavesPerEU: 1
; Occupancy: 10
; WaveLimiterHint : 0
; COMPUTE_PGM_RSRC2:SCRATCH_EN: 0
; COMPUTE_PGM_RSRC2:USER_SGPR: 6
; COMPUTE_PGM_RSRC2:TRAP_HANDLER: 0
; COMPUTE_PGM_RSRC2:TGID_X_EN: 1
; COMPUTE_PGM_RSRC2:TGID_Y_EN: 0
; COMPUTE_PGM_RSRC2:TGID_Z_EN: 0
; COMPUTE_PGM_RSRC2:TIDIG_COMP_CNT: 0
	.section	.text._ZN7rocprim17ROCPRIM_400000_NS6detail17trampoline_kernelINS0_13select_configILj256ELj13ELNS0_17block_load_methodE3ELS4_3ELS4_3ELNS0_20block_scan_algorithmE0ELj4294967295EEENS1_25partition_config_selectorILNS1_17partition_subalgoE3EjNS0_10empty_typeEbEEZZNS1_14partition_implILS8_3ELb0ES6_jNS0_17counting_iteratorIjlEEPS9_SE_NS0_5tupleIJPjSE_EEENSF_IJSE_SE_EEES9_SG_JZNS1_25segmented_radix_sort_implINS0_14default_configELb1EPKlPlSM_SN_N2at6native12_GLOBAL__N_18offset_tEEE10hipError_tPvRmT1_PNSt15iterator_traitsISV_E10value_typeET2_T3_PNSW_IS11_E10value_typeET4_jRbjT5_S17_jjP12ihipStream_tbEUljE_EEESS_ST_SU_S11_S15_S17_T6_T7_T9_mT8_S19_bDpT10_ENKUlT_T0_E_clISt17integral_constantIbLb1EES1M_EEDaS1H_S1I_EUlS1H_E_NS1_11comp_targetILNS1_3genE10ELNS1_11target_archE1200ELNS1_3gpuE4ELNS1_3repE0EEENS1_30default_config_static_selectorELNS0_4arch9wavefront6targetE1EEEvSV_,"axG",@progbits,_ZN7rocprim17ROCPRIM_400000_NS6detail17trampoline_kernelINS0_13select_configILj256ELj13ELNS0_17block_load_methodE3ELS4_3ELS4_3ELNS0_20block_scan_algorithmE0ELj4294967295EEENS1_25partition_config_selectorILNS1_17partition_subalgoE3EjNS0_10empty_typeEbEEZZNS1_14partition_implILS8_3ELb0ES6_jNS0_17counting_iteratorIjlEEPS9_SE_NS0_5tupleIJPjSE_EEENSF_IJSE_SE_EEES9_SG_JZNS1_25segmented_radix_sort_implINS0_14default_configELb1EPKlPlSM_SN_N2at6native12_GLOBAL__N_18offset_tEEE10hipError_tPvRmT1_PNSt15iterator_traitsISV_E10value_typeET2_T3_PNSW_IS11_E10value_typeET4_jRbjT5_S17_jjP12ihipStream_tbEUljE_EEESS_ST_SU_S11_S15_S17_T6_T7_T9_mT8_S19_bDpT10_ENKUlT_T0_E_clISt17integral_constantIbLb1EES1M_EEDaS1H_S1I_EUlS1H_E_NS1_11comp_targetILNS1_3genE10ELNS1_11target_archE1200ELNS1_3gpuE4ELNS1_3repE0EEENS1_30default_config_static_selectorELNS0_4arch9wavefront6targetE1EEEvSV_,comdat
	.globl	_ZN7rocprim17ROCPRIM_400000_NS6detail17trampoline_kernelINS0_13select_configILj256ELj13ELNS0_17block_load_methodE3ELS4_3ELS4_3ELNS0_20block_scan_algorithmE0ELj4294967295EEENS1_25partition_config_selectorILNS1_17partition_subalgoE3EjNS0_10empty_typeEbEEZZNS1_14partition_implILS8_3ELb0ES6_jNS0_17counting_iteratorIjlEEPS9_SE_NS0_5tupleIJPjSE_EEENSF_IJSE_SE_EEES9_SG_JZNS1_25segmented_radix_sort_implINS0_14default_configELb1EPKlPlSM_SN_N2at6native12_GLOBAL__N_18offset_tEEE10hipError_tPvRmT1_PNSt15iterator_traitsISV_E10value_typeET2_T3_PNSW_IS11_E10value_typeET4_jRbjT5_S17_jjP12ihipStream_tbEUljE_EEESS_ST_SU_S11_S15_S17_T6_T7_T9_mT8_S19_bDpT10_ENKUlT_T0_E_clISt17integral_constantIbLb1EES1M_EEDaS1H_S1I_EUlS1H_E_NS1_11comp_targetILNS1_3genE10ELNS1_11target_archE1200ELNS1_3gpuE4ELNS1_3repE0EEENS1_30default_config_static_selectorELNS0_4arch9wavefront6targetE1EEEvSV_ ; -- Begin function _ZN7rocprim17ROCPRIM_400000_NS6detail17trampoline_kernelINS0_13select_configILj256ELj13ELNS0_17block_load_methodE3ELS4_3ELS4_3ELNS0_20block_scan_algorithmE0ELj4294967295EEENS1_25partition_config_selectorILNS1_17partition_subalgoE3EjNS0_10empty_typeEbEEZZNS1_14partition_implILS8_3ELb0ES6_jNS0_17counting_iteratorIjlEEPS9_SE_NS0_5tupleIJPjSE_EEENSF_IJSE_SE_EEES9_SG_JZNS1_25segmented_radix_sort_implINS0_14default_configELb1EPKlPlSM_SN_N2at6native12_GLOBAL__N_18offset_tEEE10hipError_tPvRmT1_PNSt15iterator_traitsISV_E10value_typeET2_T3_PNSW_IS11_E10value_typeET4_jRbjT5_S17_jjP12ihipStream_tbEUljE_EEESS_ST_SU_S11_S15_S17_T6_T7_T9_mT8_S19_bDpT10_ENKUlT_T0_E_clISt17integral_constantIbLb1EES1M_EEDaS1H_S1I_EUlS1H_E_NS1_11comp_targetILNS1_3genE10ELNS1_11target_archE1200ELNS1_3gpuE4ELNS1_3repE0EEENS1_30default_config_static_selectorELNS0_4arch9wavefront6targetE1EEEvSV_
	.p2align	8
	.type	_ZN7rocprim17ROCPRIM_400000_NS6detail17trampoline_kernelINS0_13select_configILj256ELj13ELNS0_17block_load_methodE3ELS4_3ELS4_3ELNS0_20block_scan_algorithmE0ELj4294967295EEENS1_25partition_config_selectorILNS1_17partition_subalgoE3EjNS0_10empty_typeEbEEZZNS1_14partition_implILS8_3ELb0ES6_jNS0_17counting_iteratorIjlEEPS9_SE_NS0_5tupleIJPjSE_EEENSF_IJSE_SE_EEES9_SG_JZNS1_25segmented_radix_sort_implINS0_14default_configELb1EPKlPlSM_SN_N2at6native12_GLOBAL__N_18offset_tEEE10hipError_tPvRmT1_PNSt15iterator_traitsISV_E10value_typeET2_T3_PNSW_IS11_E10value_typeET4_jRbjT5_S17_jjP12ihipStream_tbEUljE_EEESS_ST_SU_S11_S15_S17_T6_T7_T9_mT8_S19_bDpT10_ENKUlT_T0_E_clISt17integral_constantIbLb1EES1M_EEDaS1H_S1I_EUlS1H_E_NS1_11comp_targetILNS1_3genE10ELNS1_11target_archE1200ELNS1_3gpuE4ELNS1_3repE0EEENS1_30default_config_static_selectorELNS0_4arch9wavefront6targetE1EEEvSV_,@function
_ZN7rocprim17ROCPRIM_400000_NS6detail17trampoline_kernelINS0_13select_configILj256ELj13ELNS0_17block_load_methodE3ELS4_3ELS4_3ELNS0_20block_scan_algorithmE0ELj4294967295EEENS1_25partition_config_selectorILNS1_17partition_subalgoE3EjNS0_10empty_typeEbEEZZNS1_14partition_implILS8_3ELb0ES6_jNS0_17counting_iteratorIjlEEPS9_SE_NS0_5tupleIJPjSE_EEENSF_IJSE_SE_EEES9_SG_JZNS1_25segmented_radix_sort_implINS0_14default_configELb1EPKlPlSM_SN_N2at6native12_GLOBAL__N_18offset_tEEE10hipError_tPvRmT1_PNSt15iterator_traitsISV_E10value_typeET2_T3_PNSW_IS11_E10value_typeET4_jRbjT5_S17_jjP12ihipStream_tbEUljE_EEESS_ST_SU_S11_S15_S17_T6_T7_T9_mT8_S19_bDpT10_ENKUlT_T0_E_clISt17integral_constantIbLb1EES1M_EEDaS1H_S1I_EUlS1H_E_NS1_11comp_targetILNS1_3genE10ELNS1_11target_archE1200ELNS1_3gpuE4ELNS1_3repE0EEENS1_30default_config_static_selectorELNS0_4arch9wavefront6targetE1EEEvSV_: ; @_ZN7rocprim17ROCPRIM_400000_NS6detail17trampoline_kernelINS0_13select_configILj256ELj13ELNS0_17block_load_methodE3ELS4_3ELS4_3ELNS0_20block_scan_algorithmE0ELj4294967295EEENS1_25partition_config_selectorILNS1_17partition_subalgoE3EjNS0_10empty_typeEbEEZZNS1_14partition_implILS8_3ELb0ES6_jNS0_17counting_iteratorIjlEEPS9_SE_NS0_5tupleIJPjSE_EEENSF_IJSE_SE_EEES9_SG_JZNS1_25segmented_radix_sort_implINS0_14default_configELb1EPKlPlSM_SN_N2at6native12_GLOBAL__N_18offset_tEEE10hipError_tPvRmT1_PNSt15iterator_traitsISV_E10value_typeET2_T3_PNSW_IS11_E10value_typeET4_jRbjT5_S17_jjP12ihipStream_tbEUljE_EEESS_ST_SU_S11_S15_S17_T6_T7_T9_mT8_S19_bDpT10_ENKUlT_T0_E_clISt17integral_constantIbLb1EES1M_EEDaS1H_S1I_EUlS1H_E_NS1_11comp_targetILNS1_3genE10ELNS1_11target_archE1200ELNS1_3gpuE4ELNS1_3repE0EEENS1_30default_config_static_selectorELNS0_4arch9wavefront6targetE1EEEvSV_
; %bb.0:
	.section	.rodata,"a",@progbits
	.p2align	6, 0x0
	.amdhsa_kernel _ZN7rocprim17ROCPRIM_400000_NS6detail17trampoline_kernelINS0_13select_configILj256ELj13ELNS0_17block_load_methodE3ELS4_3ELS4_3ELNS0_20block_scan_algorithmE0ELj4294967295EEENS1_25partition_config_selectorILNS1_17partition_subalgoE3EjNS0_10empty_typeEbEEZZNS1_14partition_implILS8_3ELb0ES6_jNS0_17counting_iteratorIjlEEPS9_SE_NS0_5tupleIJPjSE_EEENSF_IJSE_SE_EEES9_SG_JZNS1_25segmented_radix_sort_implINS0_14default_configELb1EPKlPlSM_SN_N2at6native12_GLOBAL__N_18offset_tEEE10hipError_tPvRmT1_PNSt15iterator_traitsISV_E10value_typeET2_T3_PNSW_IS11_E10value_typeET4_jRbjT5_S17_jjP12ihipStream_tbEUljE_EEESS_ST_SU_S11_S15_S17_T6_T7_T9_mT8_S19_bDpT10_ENKUlT_T0_E_clISt17integral_constantIbLb1EES1M_EEDaS1H_S1I_EUlS1H_E_NS1_11comp_targetILNS1_3genE10ELNS1_11target_archE1200ELNS1_3gpuE4ELNS1_3repE0EEENS1_30default_config_static_selectorELNS0_4arch9wavefront6targetE1EEEvSV_
		.amdhsa_group_segment_fixed_size 0
		.amdhsa_private_segment_fixed_size 0
		.amdhsa_kernarg_size 152
		.amdhsa_user_sgpr_count 6
		.amdhsa_user_sgpr_private_segment_buffer 1
		.amdhsa_user_sgpr_dispatch_ptr 0
		.amdhsa_user_sgpr_queue_ptr 0
		.amdhsa_user_sgpr_kernarg_segment_ptr 1
		.amdhsa_user_sgpr_dispatch_id 0
		.amdhsa_user_sgpr_flat_scratch_init 0
		.amdhsa_user_sgpr_private_segment_size 0
		.amdhsa_uses_dynamic_stack 0
		.amdhsa_system_sgpr_private_segment_wavefront_offset 0
		.amdhsa_system_sgpr_workgroup_id_x 1
		.amdhsa_system_sgpr_workgroup_id_y 0
		.amdhsa_system_sgpr_workgroup_id_z 0
		.amdhsa_system_sgpr_workgroup_info 0
		.amdhsa_system_vgpr_workitem_id 0
		.amdhsa_next_free_vgpr 1
		.amdhsa_next_free_sgpr 0
		.amdhsa_reserve_vcc 0
		.amdhsa_reserve_flat_scratch 0
		.amdhsa_float_round_mode_32 0
		.amdhsa_float_round_mode_16_64 0
		.amdhsa_float_denorm_mode_32 3
		.amdhsa_float_denorm_mode_16_64 3
		.amdhsa_dx10_clamp 1
		.amdhsa_ieee_mode 1
		.amdhsa_fp16_overflow 0
		.amdhsa_exception_fp_ieee_invalid_op 0
		.amdhsa_exception_fp_denorm_src 0
		.amdhsa_exception_fp_ieee_div_zero 0
		.amdhsa_exception_fp_ieee_overflow 0
		.amdhsa_exception_fp_ieee_underflow 0
		.amdhsa_exception_fp_ieee_inexact 0
		.amdhsa_exception_int_div_zero 0
	.end_amdhsa_kernel
	.section	.text._ZN7rocprim17ROCPRIM_400000_NS6detail17trampoline_kernelINS0_13select_configILj256ELj13ELNS0_17block_load_methodE3ELS4_3ELS4_3ELNS0_20block_scan_algorithmE0ELj4294967295EEENS1_25partition_config_selectorILNS1_17partition_subalgoE3EjNS0_10empty_typeEbEEZZNS1_14partition_implILS8_3ELb0ES6_jNS0_17counting_iteratorIjlEEPS9_SE_NS0_5tupleIJPjSE_EEENSF_IJSE_SE_EEES9_SG_JZNS1_25segmented_radix_sort_implINS0_14default_configELb1EPKlPlSM_SN_N2at6native12_GLOBAL__N_18offset_tEEE10hipError_tPvRmT1_PNSt15iterator_traitsISV_E10value_typeET2_T3_PNSW_IS11_E10value_typeET4_jRbjT5_S17_jjP12ihipStream_tbEUljE_EEESS_ST_SU_S11_S15_S17_T6_T7_T9_mT8_S19_bDpT10_ENKUlT_T0_E_clISt17integral_constantIbLb1EES1M_EEDaS1H_S1I_EUlS1H_E_NS1_11comp_targetILNS1_3genE10ELNS1_11target_archE1200ELNS1_3gpuE4ELNS1_3repE0EEENS1_30default_config_static_selectorELNS0_4arch9wavefront6targetE1EEEvSV_,"axG",@progbits,_ZN7rocprim17ROCPRIM_400000_NS6detail17trampoline_kernelINS0_13select_configILj256ELj13ELNS0_17block_load_methodE3ELS4_3ELS4_3ELNS0_20block_scan_algorithmE0ELj4294967295EEENS1_25partition_config_selectorILNS1_17partition_subalgoE3EjNS0_10empty_typeEbEEZZNS1_14partition_implILS8_3ELb0ES6_jNS0_17counting_iteratorIjlEEPS9_SE_NS0_5tupleIJPjSE_EEENSF_IJSE_SE_EEES9_SG_JZNS1_25segmented_radix_sort_implINS0_14default_configELb1EPKlPlSM_SN_N2at6native12_GLOBAL__N_18offset_tEEE10hipError_tPvRmT1_PNSt15iterator_traitsISV_E10value_typeET2_T3_PNSW_IS11_E10value_typeET4_jRbjT5_S17_jjP12ihipStream_tbEUljE_EEESS_ST_SU_S11_S15_S17_T6_T7_T9_mT8_S19_bDpT10_ENKUlT_T0_E_clISt17integral_constantIbLb1EES1M_EEDaS1H_S1I_EUlS1H_E_NS1_11comp_targetILNS1_3genE10ELNS1_11target_archE1200ELNS1_3gpuE4ELNS1_3repE0EEENS1_30default_config_static_selectorELNS0_4arch9wavefront6targetE1EEEvSV_,comdat
.Lfunc_end685:
	.size	_ZN7rocprim17ROCPRIM_400000_NS6detail17trampoline_kernelINS0_13select_configILj256ELj13ELNS0_17block_load_methodE3ELS4_3ELS4_3ELNS0_20block_scan_algorithmE0ELj4294967295EEENS1_25partition_config_selectorILNS1_17partition_subalgoE3EjNS0_10empty_typeEbEEZZNS1_14partition_implILS8_3ELb0ES6_jNS0_17counting_iteratorIjlEEPS9_SE_NS0_5tupleIJPjSE_EEENSF_IJSE_SE_EEES9_SG_JZNS1_25segmented_radix_sort_implINS0_14default_configELb1EPKlPlSM_SN_N2at6native12_GLOBAL__N_18offset_tEEE10hipError_tPvRmT1_PNSt15iterator_traitsISV_E10value_typeET2_T3_PNSW_IS11_E10value_typeET4_jRbjT5_S17_jjP12ihipStream_tbEUljE_EEESS_ST_SU_S11_S15_S17_T6_T7_T9_mT8_S19_bDpT10_ENKUlT_T0_E_clISt17integral_constantIbLb1EES1M_EEDaS1H_S1I_EUlS1H_E_NS1_11comp_targetILNS1_3genE10ELNS1_11target_archE1200ELNS1_3gpuE4ELNS1_3repE0EEENS1_30default_config_static_selectorELNS0_4arch9wavefront6targetE1EEEvSV_, .Lfunc_end685-_ZN7rocprim17ROCPRIM_400000_NS6detail17trampoline_kernelINS0_13select_configILj256ELj13ELNS0_17block_load_methodE3ELS4_3ELS4_3ELNS0_20block_scan_algorithmE0ELj4294967295EEENS1_25partition_config_selectorILNS1_17partition_subalgoE3EjNS0_10empty_typeEbEEZZNS1_14partition_implILS8_3ELb0ES6_jNS0_17counting_iteratorIjlEEPS9_SE_NS0_5tupleIJPjSE_EEENSF_IJSE_SE_EEES9_SG_JZNS1_25segmented_radix_sort_implINS0_14default_configELb1EPKlPlSM_SN_N2at6native12_GLOBAL__N_18offset_tEEE10hipError_tPvRmT1_PNSt15iterator_traitsISV_E10value_typeET2_T3_PNSW_IS11_E10value_typeET4_jRbjT5_S17_jjP12ihipStream_tbEUljE_EEESS_ST_SU_S11_S15_S17_T6_T7_T9_mT8_S19_bDpT10_ENKUlT_T0_E_clISt17integral_constantIbLb1EES1M_EEDaS1H_S1I_EUlS1H_E_NS1_11comp_targetILNS1_3genE10ELNS1_11target_archE1200ELNS1_3gpuE4ELNS1_3repE0EEENS1_30default_config_static_selectorELNS0_4arch9wavefront6targetE1EEEvSV_
                                        ; -- End function
	.set _ZN7rocprim17ROCPRIM_400000_NS6detail17trampoline_kernelINS0_13select_configILj256ELj13ELNS0_17block_load_methodE3ELS4_3ELS4_3ELNS0_20block_scan_algorithmE0ELj4294967295EEENS1_25partition_config_selectorILNS1_17partition_subalgoE3EjNS0_10empty_typeEbEEZZNS1_14partition_implILS8_3ELb0ES6_jNS0_17counting_iteratorIjlEEPS9_SE_NS0_5tupleIJPjSE_EEENSF_IJSE_SE_EEES9_SG_JZNS1_25segmented_radix_sort_implINS0_14default_configELb1EPKlPlSM_SN_N2at6native12_GLOBAL__N_18offset_tEEE10hipError_tPvRmT1_PNSt15iterator_traitsISV_E10value_typeET2_T3_PNSW_IS11_E10value_typeET4_jRbjT5_S17_jjP12ihipStream_tbEUljE_EEESS_ST_SU_S11_S15_S17_T6_T7_T9_mT8_S19_bDpT10_ENKUlT_T0_E_clISt17integral_constantIbLb1EES1M_EEDaS1H_S1I_EUlS1H_E_NS1_11comp_targetILNS1_3genE10ELNS1_11target_archE1200ELNS1_3gpuE4ELNS1_3repE0EEENS1_30default_config_static_selectorELNS0_4arch9wavefront6targetE1EEEvSV_.num_vgpr, 0
	.set _ZN7rocprim17ROCPRIM_400000_NS6detail17trampoline_kernelINS0_13select_configILj256ELj13ELNS0_17block_load_methodE3ELS4_3ELS4_3ELNS0_20block_scan_algorithmE0ELj4294967295EEENS1_25partition_config_selectorILNS1_17partition_subalgoE3EjNS0_10empty_typeEbEEZZNS1_14partition_implILS8_3ELb0ES6_jNS0_17counting_iteratorIjlEEPS9_SE_NS0_5tupleIJPjSE_EEENSF_IJSE_SE_EEES9_SG_JZNS1_25segmented_radix_sort_implINS0_14default_configELb1EPKlPlSM_SN_N2at6native12_GLOBAL__N_18offset_tEEE10hipError_tPvRmT1_PNSt15iterator_traitsISV_E10value_typeET2_T3_PNSW_IS11_E10value_typeET4_jRbjT5_S17_jjP12ihipStream_tbEUljE_EEESS_ST_SU_S11_S15_S17_T6_T7_T9_mT8_S19_bDpT10_ENKUlT_T0_E_clISt17integral_constantIbLb1EES1M_EEDaS1H_S1I_EUlS1H_E_NS1_11comp_targetILNS1_3genE10ELNS1_11target_archE1200ELNS1_3gpuE4ELNS1_3repE0EEENS1_30default_config_static_selectorELNS0_4arch9wavefront6targetE1EEEvSV_.num_agpr, 0
	.set _ZN7rocprim17ROCPRIM_400000_NS6detail17trampoline_kernelINS0_13select_configILj256ELj13ELNS0_17block_load_methodE3ELS4_3ELS4_3ELNS0_20block_scan_algorithmE0ELj4294967295EEENS1_25partition_config_selectorILNS1_17partition_subalgoE3EjNS0_10empty_typeEbEEZZNS1_14partition_implILS8_3ELb0ES6_jNS0_17counting_iteratorIjlEEPS9_SE_NS0_5tupleIJPjSE_EEENSF_IJSE_SE_EEES9_SG_JZNS1_25segmented_radix_sort_implINS0_14default_configELb1EPKlPlSM_SN_N2at6native12_GLOBAL__N_18offset_tEEE10hipError_tPvRmT1_PNSt15iterator_traitsISV_E10value_typeET2_T3_PNSW_IS11_E10value_typeET4_jRbjT5_S17_jjP12ihipStream_tbEUljE_EEESS_ST_SU_S11_S15_S17_T6_T7_T9_mT8_S19_bDpT10_ENKUlT_T0_E_clISt17integral_constantIbLb1EES1M_EEDaS1H_S1I_EUlS1H_E_NS1_11comp_targetILNS1_3genE10ELNS1_11target_archE1200ELNS1_3gpuE4ELNS1_3repE0EEENS1_30default_config_static_selectorELNS0_4arch9wavefront6targetE1EEEvSV_.numbered_sgpr, 0
	.set _ZN7rocprim17ROCPRIM_400000_NS6detail17trampoline_kernelINS0_13select_configILj256ELj13ELNS0_17block_load_methodE3ELS4_3ELS4_3ELNS0_20block_scan_algorithmE0ELj4294967295EEENS1_25partition_config_selectorILNS1_17partition_subalgoE3EjNS0_10empty_typeEbEEZZNS1_14partition_implILS8_3ELb0ES6_jNS0_17counting_iteratorIjlEEPS9_SE_NS0_5tupleIJPjSE_EEENSF_IJSE_SE_EEES9_SG_JZNS1_25segmented_radix_sort_implINS0_14default_configELb1EPKlPlSM_SN_N2at6native12_GLOBAL__N_18offset_tEEE10hipError_tPvRmT1_PNSt15iterator_traitsISV_E10value_typeET2_T3_PNSW_IS11_E10value_typeET4_jRbjT5_S17_jjP12ihipStream_tbEUljE_EEESS_ST_SU_S11_S15_S17_T6_T7_T9_mT8_S19_bDpT10_ENKUlT_T0_E_clISt17integral_constantIbLb1EES1M_EEDaS1H_S1I_EUlS1H_E_NS1_11comp_targetILNS1_3genE10ELNS1_11target_archE1200ELNS1_3gpuE4ELNS1_3repE0EEENS1_30default_config_static_selectorELNS0_4arch9wavefront6targetE1EEEvSV_.num_named_barrier, 0
	.set _ZN7rocprim17ROCPRIM_400000_NS6detail17trampoline_kernelINS0_13select_configILj256ELj13ELNS0_17block_load_methodE3ELS4_3ELS4_3ELNS0_20block_scan_algorithmE0ELj4294967295EEENS1_25partition_config_selectorILNS1_17partition_subalgoE3EjNS0_10empty_typeEbEEZZNS1_14partition_implILS8_3ELb0ES6_jNS0_17counting_iteratorIjlEEPS9_SE_NS0_5tupleIJPjSE_EEENSF_IJSE_SE_EEES9_SG_JZNS1_25segmented_radix_sort_implINS0_14default_configELb1EPKlPlSM_SN_N2at6native12_GLOBAL__N_18offset_tEEE10hipError_tPvRmT1_PNSt15iterator_traitsISV_E10value_typeET2_T3_PNSW_IS11_E10value_typeET4_jRbjT5_S17_jjP12ihipStream_tbEUljE_EEESS_ST_SU_S11_S15_S17_T6_T7_T9_mT8_S19_bDpT10_ENKUlT_T0_E_clISt17integral_constantIbLb1EES1M_EEDaS1H_S1I_EUlS1H_E_NS1_11comp_targetILNS1_3genE10ELNS1_11target_archE1200ELNS1_3gpuE4ELNS1_3repE0EEENS1_30default_config_static_selectorELNS0_4arch9wavefront6targetE1EEEvSV_.private_seg_size, 0
	.set _ZN7rocprim17ROCPRIM_400000_NS6detail17trampoline_kernelINS0_13select_configILj256ELj13ELNS0_17block_load_methodE3ELS4_3ELS4_3ELNS0_20block_scan_algorithmE0ELj4294967295EEENS1_25partition_config_selectorILNS1_17partition_subalgoE3EjNS0_10empty_typeEbEEZZNS1_14partition_implILS8_3ELb0ES6_jNS0_17counting_iteratorIjlEEPS9_SE_NS0_5tupleIJPjSE_EEENSF_IJSE_SE_EEES9_SG_JZNS1_25segmented_radix_sort_implINS0_14default_configELb1EPKlPlSM_SN_N2at6native12_GLOBAL__N_18offset_tEEE10hipError_tPvRmT1_PNSt15iterator_traitsISV_E10value_typeET2_T3_PNSW_IS11_E10value_typeET4_jRbjT5_S17_jjP12ihipStream_tbEUljE_EEESS_ST_SU_S11_S15_S17_T6_T7_T9_mT8_S19_bDpT10_ENKUlT_T0_E_clISt17integral_constantIbLb1EES1M_EEDaS1H_S1I_EUlS1H_E_NS1_11comp_targetILNS1_3genE10ELNS1_11target_archE1200ELNS1_3gpuE4ELNS1_3repE0EEENS1_30default_config_static_selectorELNS0_4arch9wavefront6targetE1EEEvSV_.uses_vcc, 0
	.set _ZN7rocprim17ROCPRIM_400000_NS6detail17trampoline_kernelINS0_13select_configILj256ELj13ELNS0_17block_load_methodE3ELS4_3ELS4_3ELNS0_20block_scan_algorithmE0ELj4294967295EEENS1_25partition_config_selectorILNS1_17partition_subalgoE3EjNS0_10empty_typeEbEEZZNS1_14partition_implILS8_3ELb0ES6_jNS0_17counting_iteratorIjlEEPS9_SE_NS0_5tupleIJPjSE_EEENSF_IJSE_SE_EEES9_SG_JZNS1_25segmented_radix_sort_implINS0_14default_configELb1EPKlPlSM_SN_N2at6native12_GLOBAL__N_18offset_tEEE10hipError_tPvRmT1_PNSt15iterator_traitsISV_E10value_typeET2_T3_PNSW_IS11_E10value_typeET4_jRbjT5_S17_jjP12ihipStream_tbEUljE_EEESS_ST_SU_S11_S15_S17_T6_T7_T9_mT8_S19_bDpT10_ENKUlT_T0_E_clISt17integral_constantIbLb1EES1M_EEDaS1H_S1I_EUlS1H_E_NS1_11comp_targetILNS1_3genE10ELNS1_11target_archE1200ELNS1_3gpuE4ELNS1_3repE0EEENS1_30default_config_static_selectorELNS0_4arch9wavefront6targetE1EEEvSV_.uses_flat_scratch, 0
	.set _ZN7rocprim17ROCPRIM_400000_NS6detail17trampoline_kernelINS0_13select_configILj256ELj13ELNS0_17block_load_methodE3ELS4_3ELS4_3ELNS0_20block_scan_algorithmE0ELj4294967295EEENS1_25partition_config_selectorILNS1_17partition_subalgoE3EjNS0_10empty_typeEbEEZZNS1_14partition_implILS8_3ELb0ES6_jNS0_17counting_iteratorIjlEEPS9_SE_NS0_5tupleIJPjSE_EEENSF_IJSE_SE_EEES9_SG_JZNS1_25segmented_radix_sort_implINS0_14default_configELb1EPKlPlSM_SN_N2at6native12_GLOBAL__N_18offset_tEEE10hipError_tPvRmT1_PNSt15iterator_traitsISV_E10value_typeET2_T3_PNSW_IS11_E10value_typeET4_jRbjT5_S17_jjP12ihipStream_tbEUljE_EEESS_ST_SU_S11_S15_S17_T6_T7_T9_mT8_S19_bDpT10_ENKUlT_T0_E_clISt17integral_constantIbLb1EES1M_EEDaS1H_S1I_EUlS1H_E_NS1_11comp_targetILNS1_3genE10ELNS1_11target_archE1200ELNS1_3gpuE4ELNS1_3repE0EEENS1_30default_config_static_selectorELNS0_4arch9wavefront6targetE1EEEvSV_.has_dyn_sized_stack, 0
	.set _ZN7rocprim17ROCPRIM_400000_NS6detail17trampoline_kernelINS0_13select_configILj256ELj13ELNS0_17block_load_methodE3ELS4_3ELS4_3ELNS0_20block_scan_algorithmE0ELj4294967295EEENS1_25partition_config_selectorILNS1_17partition_subalgoE3EjNS0_10empty_typeEbEEZZNS1_14partition_implILS8_3ELb0ES6_jNS0_17counting_iteratorIjlEEPS9_SE_NS0_5tupleIJPjSE_EEENSF_IJSE_SE_EEES9_SG_JZNS1_25segmented_radix_sort_implINS0_14default_configELb1EPKlPlSM_SN_N2at6native12_GLOBAL__N_18offset_tEEE10hipError_tPvRmT1_PNSt15iterator_traitsISV_E10value_typeET2_T3_PNSW_IS11_E10value_typeET4_jRbjT5_S17_jjP12ihipStream_tbEUljE_EEESS_ST_SU_S11_S15_S17_T6_T7_T9_mT8_S19_bDpT10_ENKUlT_T0_E_clISt17integral_constantIbLb1EES1M_EEDaS1H_S1I_EUlS1H_E_NS1_11comp_targetILNS1_3genE10ELNS1_11target_archE1200ELNS1_3gpuE4ELNS1_3repE0EEENS1_30default_config_static_selectorELNS0_4arch9wavefront6targetE1EEEvSV_.has_recursion, 0
	.set _ZN7rocprim17ROCPRIM_400000_NS6detail17trampoline_kernelINS0_13select_configILj256ELj13ELNS0_17block_load_methodE3ELS4_3ELS4_3ELNS0_20block_scan_algorithmE0ELj4294967295EEENS1_25partition_config_selectorILNS1_17partition_subalgoE3EjNS0_10empty_typeEbEEZZNS1_14partition_implILS8_3ELb0ES6_jNS0_17counting_iteratorIjlEEPS9_SE_NS0_5tupleIJPjSE_EEENSF_IJSE_SE_EEES9_SG_JZNS1_25segmented_radix_sort_implINS0_14default_configELb1EPKlPlSM_SN_N2at6native12_GLOBAL__N_18offset_tEEE10hipError_tPvRmT1_PNSt15iterator_traitsISV_E10value_typeET2_T3_PNSW_IS11_E10value_typeET4_jRbjT5_S17_jjP12ihipStream_tbEUljE_EEESS_ST_SU_S11_S15_S17_T6_T7_T9_mT8_S19_bDpT10_ENKUlT_T0_E_clISt17integral_constantIbLb1EES1M_EEDaS1H_S1I_EUlS1H_E_NS1_11comp_targetILNS1_3genE10ELNS1_11target_archE1200ELNS1_3gpuE4ELNS1_3repE0EEENS1_30default_config_static_selectorELNS0_4arch9wavefront6targetE1EEEvSV_.has_indirect_call, 0
	.section	.AMDGPU.csdata,"",@progbits
; Kernel info:
; codeLenInByte = 0
; TotalNumSgprs: 4
; NumVgprs: 0
; ScratchSize: 0
; MemoryBound: 0
; FloatMode: 240
; IeeeMode: 1
; LDSByteSize: 0 bytes/workgroup (compile time only)
; SGPRBlocks: 0
; VGPRBlocks: 0
; NumSGPRsForWavesPerEU: 4
; NumVGPRsForWavesPerEU: 1
; Occupancy: 10
; WaveLimiterHint : 0
; COMPUTE_PGM_RSRC2:SCRATCH_EN: 0
; COMPUTE_PGM_RSRC2:USER_SGPR: 6
; COMPUTE_PGM_RSRC2:TRAP_HANDLER: 0
; COMPUTE_PGM_RSRC2:TGID_X_EN: 1
; COMPUTE_PGM_RSRC2:TGID_Y_EN: 0
; COMPUTE_PGM_RSRC2:TGID_Z_EN: 0
; COMPUTE_PGM_RSRC2:TIDIG_COMP_CNT: 0
	.section	.text._ZN7rocprim17ROCPRIM_400000_NS6detail17trampoline_kernelINS0_13select_configILj256ELj13ELNS0_17block_load_methodE3ELS4_3ELS4_3ELNS0_20block_scan_algorithmE0ELj4294967295EEENS1_25partition_config_selectorILNS1_17partition_subalgoE3EjNS0_10empty_typeEbEEZZNS1_14partition_implILS8_3ELb0ES6_jNS0_17counting_iteratorIjlEEPS9_SE_NS0_5tupleIJPjSE_EEENSF_IJSE_SE_EEES9_SG_JZNS1_25segmented_radix_sort_implINS0_14default_configELb1EPKlPlSM_SN_N2at6native12_GLOBAL__N_18offset_tEEE10hipError_tPvRmT1_PNSt15iterator_traitsISV_E10value_typeET2_T3_PNSW_IS11_E10value_typeET4_jRbjT5_S17_jjP12ihipStream_tbEUljE_EEESS_ST_SU_S11_S15_S17_T6_T7_T9_mT8_S19_bDpT10_ENKUlT_T0_E_clISt17integral_constantIbLb1EES1M_EEDaS1H_S1I_EUlS1H_E_NS1_11comp_targetILNS1_3genE9ELNS1_11target_archE1100ELNS1_3gpuE3ELNS1_3repE0EEENS1_30default_config_static_selectorELNS0_4arch9wavefront6targetE1EEEvSV_,"axG",@progbits,_ZN7rocprim17ROCPRIM_400000_NS6detail17trampoline_kernelINS0_13select_configILj256ELj13ELNS0_17block_load_methodE3ELS4_3ELS4_3ELNS0_20block_scan_algorithmE0ELj4294967295EEENS1_25partition_config_selectorILNS1_17partition_subalgoE3EjNS0_10empty_typeEbEEZZNS1_14partition_implILS8_3ELb0ES6_jNS0_17counting_iteratorIjlEEPS9_SE_NS0_5tupleIJPjSE_EEENSF_IJSE_SE_EEES9_SG_JZNS1_25segmented_radix_sort_implINS0_14default_configELb1EPKlPlSM_SN_N2at6native12_GLOBAL__N_18offset_tEEE10hipError_tPvRmT1_PNSt15iterator_traitsISV_E10value_typeET2_T3_PNSW_IS11_E10value_typeET4_jRbjT5_S17_jjP12ihipStream_tbEUljE_EEESS_ST_SU_S11_S15_S17_T6_T7_T9_mT8_S19_bDpT10_ENKUlT_T0_E_clISt17integral_constantIbLb1EES1M_EEDaS1H_S1I_EUlS1H_E_NS1_11comp_targetILNS1_3genE9ELNS1_11target_archE1100ELNS1_3gpuE3ELNS1_3repE0EEENS1_30default_config_static_selectorELNS0_4arch9wavefront6targetE1EEEvSV_,comdat
	.globl	_ZN7rocprim17ROCPRIM_400000_NS6detail17trampoline_kernelINS0_13select_configILj256ELj13ELNS0_17block_load_methodE3ELS4_3ELS4_3ELNS0_20block_scan_algorithmE0ELj4294967295EEENS1_25partition_config_selectorILNS1_17partition_subalgoE3EjNS0_10empty_typeEbEEZZNS1_14partition_implILS8_3ELb0ES6_jNS0_17counting_iteratorIjlEEPS9_SE_NS0_5tupleIJPjSE_EEENSF_IJSE_SE_EEES9_SG_JZNS1_25segmented_radix_sort_implINS0_14default_configELb1EPKlPlSM_SN_N2at6native12_GLOBAL__N_18offset_tEEE10hipError_tPvRmT1_PNSt15iterator_traitsISV_E10value_typeET2_T3_PNSW_IS11_E10value_typeET4_jRbjT5_S17_jjP12ihipStream_tbEUljE_EEESS_ST_SU_S11_S15_S17_T6_T7_T9_mT8_S19_bDpT10_ENKUlT_T0_E_clISt17integral_constantIbLb1EES1M_EEDaS1H_S1I_EUlS1H_E_NS1_11comp_targetILNS1_3genE9ELNS1_11target_archE1100ELNS1_3gpuE3ELNS1_3repE0EEENS1_30default_config_static_selectorELNS0_4arch9wavefront6targetE1EEEvSV_ ; -- Begin function _ZN7rocprim17ROCPRIM_400000_NS6detail17trampoline_kernelINS0_13select_configILj256ELj13ELNS0_17block_load_methodE3ELS4_3ELS4_3ELNS0_20block_scan_algorithmE0ELj4294967295EEENS1_25partition_config_selectorILNS1_17partition_subalgoE3EjNS0_10empty_typeEbEEZZNS1_14partition_implILS8_3ELb0ES6_jNS0_17counting_iteratorIjlEEPS9_SE_NS0_5tupleIJPjSE_EEENSF_IJSE_SE_EEES9_SG_JZNS1_25segmented_radix_sort_implINS0_14default_configELb1EPKlPlSM_SN_N2at6native12_GLOBAL__N_18offset_tEEE10hipError_tPvRmT1_PNSt15iterator_traitsISV_E10value_typeET2_T3_PNSW_IS11_E10value_typeET4_jRbjT5_S17_jjP12ihipStream_tbEUljE_EEESS_ST_SU_S11_S15_S17_T6_T7_T9_mT8_S19_bDpT10_ENKUlT_T0_E_clISt17integral_constantIbLb1EES1M_EEDaS1H_S1I_EUlS1H_E_NS1_11comp_targetILNS1_3genE9ELNS1_11target_archE1100ELNS1_3gpuE3ELNS1_3repE0EEENS1_30default_config_static_selectorELNS0_4arch9wavefront6targetE1EEEvSV_
	.p2align	8
	.type	_ZN7rocprim17ROCPRIM_400000_NS6detail17trampoline_kernelINS0_13select_configILj256ELj13ELNS0_17block_load_methodE3ELS4_3ELS4_3ELNS0_20block_scan_algorithmE0ELj4294967295EEENS1_25partition_config_selectorILNS1_17partition_subalgoE3EjNS0_10empty_typeEbEEZZNS1_14partition_implILS8_3ELb0ES6_jNS0_17counting_iteratorIjlEEPS9_SE_NS0_5tupleIJPjSE_EEENSF_IJSE_SE_EEES9_SG_JZNS1_25segmented_radix_sort_implINS0_14default_configELb1EPKlPlSM_SN_N2at6native12_GLOBAL__N_18offset_tEEE10hipError_tPvRmT1_PNSt15iterator_traitsISV_E10value_typeET2_T3_PNSW_IS11_E10value_typeET4_jRbjT5_S17_jjP12ihipStream_tbEUljE_EEESS_ST_SU_S11_S15_S17_T6_T7_T9_mT8_S19_bDpT10_ENKUlT_T0_E_clISt17integral_constantIbLb1EES1M_EEDaS1H_S1I_EUlS1H_E_NS1_11comp_targetILNS1_3genE9ELNS1_11target_archE1100ELNS1_3gpuE3ELNS1_3repE0EEENS1_30default_config_static_selectorELNS0_4arch9wavefront6targetE1EEEvSV_,@function
_ZN7rocprim17ROCPRIM_400000_NS6detail17trampoline_kernelINS0_13select_configILj256ELj13ELNS0_17block_load_methodE3ELS4_3ELS4_3ELNS0_20block_scan_algorithmE0ELj4294967295EEENS1_25partition_config_selectorILNS1_17partition_subalgoE3EjNS0_10empty_typeEbEEZZNS1_14partition_implILS8_3ELb0ES6_jNS0_17counting_iteratorIjlEEPS9_SE_NS0_5tupleIJPjSE_EEENSF_IJSE_SE_EEES9_SG_JZNS1_25segmented_radix_sort_implINS0_14default_configELb1EPKlPlSM_SN_N2at6native12_GLOBAL__N_18offset_tEEE10hipError_tPvRmT1_PNSt15iterator_traitsISV_E10value_typeET2_T3_PNSW_IS11_E10value_typeET4_jRbjT5_S17_jjP12ihipStream_tbEUljE_EEESS_ST_SU_S11_S15_S17_T6_T7_T9_mT8_S19_bDpT10_ENKUlT_T0_E_clISt17integral_constantIbLb1EES1M_EEDaS1H_S1I_EUlS1H_E_NS1_11comp_targetILNS1_3genE9ELNS1_11target_archE1100ELNS1_3gpuE3ELNS1_3repE0EEENS1_30default_config_static_selectorELNS0_4arch9wavefront6targetE1EEEvSV_: ; @_ZN7rocprim17ROCPRIM_400000_NS6detail17trampoline_kernelINS0_13select_configILj256ELj13ELNS0_17block_load_methodE3ELS4_3ELS4_3ELNS0_20block_scan_algorithmE0ELj4294967295EEENS1_25partition_config_selectorILNS1_17partition_subalgoE3EjNS0_10empty_typeEbEEZZNS1_14partition_implILS8_3ELb0ES6_jNS0_17counting_iteratorIjlEEPS9_SE_NS0_5tupleIJPjSE_EEENSF_IJSE_SE_EEES9_SG_JZNS1_25segmented_radix_sort_implINS0_14default_configELb1EPKlPlSM_SN_N2at6native12_GLOBAL__N_18offset_tEEE10hipError_tPvRmT1_PNSt15iterator_traitsISV_E10value_typeET2_T3_PNSW_IS11_E10value_typeET4_jRbjT5_S17_jjP12ihipStream_tbEUljE_EEESS_ST_SU_S11_S15_S17_T6_T7_T9_mT8_S19_bDpT10_ENKUlT_T0_E_clISt17integral_constantIbLb1EES1M_EEDaS1H_S1I_EUlS1H_E_NS1_11comp_targetILNS1_3genE9ELNS1_11target_archE1100ELNS1_3gpuE3ELNS1_3repE0EEENS1_30default_config_static_selectorELNS0_4arch9wavefront6targetE1EEEvSV_
; %bb.0:
	.section	.rodata,"a",@progbits
	.p2align	6, 0x0
	.amdhsa_kernel _ZN7rocprim17ROCPRIM_400000_NS6detail17trampoline_kernelINS0_13select_configILj256ELj13ELNS0_17block_load_methodE3ELS4_3ELS4_3ELNS0_20block_scan_algorithmE0ELj4294967295EEENS1_25partition_config_selectorILNS1_17partition_subalgoE3EjNS0_10empty_typeEbEEZZNS1_14partition_implILS8_3ELb0ES6_jNS0_17counting_iteratorIjlEEPS9_SE_NS0_5tupleIJPjSE_EEENSF_IJSE_SE_EEES9_SG_JZNS1_25segmented_radix_sort_implINS0_14default_configELb1EPKlPlSM_SN_N2at6native12_GLOBAL__N_18offset_tEEE10hipError_tPvRmT1_PNSt15iterator_traitsISV_E10value_typeET2_T3_PNSW_IS11_E10value_typeET4_jRbjT5_S17_jjP12ihipStream_tbEUljE_EEESS_ST_SU_S11_S15_S17_T6_T7_T9_mT8_S19_bDpT10_ENKUlT_T0_E_clISt17integral_constantIbLb1EES1M_EEDaS1H_S1I_EUlS1H_E_NS1_11comp_targetILNS1_3genE9ELNS1_11target_archE1100ELNS1_3gpuE3ELNS1_3repE0EEENS1_30default_config_static_selectorELNS0_4arch9wavefront6targetE1EEEvSV_
		.amdhsa_group_segment_fixed_size 0
		.amdhsa_private_segment_fixed_size 0
		.amdhsa_kernarg_size 152
		.amdhsa_user_sgpr_count 6
		.amdhsa_user_sgpr_private_segment_buffer 1
		.amdhsa_user_sgpr_dispatch_ptr 0
		.amdhsa_user_sgpr_queue_ptr 0
		.amdhsa_user_sgpr_kernarg_segment_ptr 1
		.amdhsa_user_sgpr_dispatch_id 0
		.amdhsa_user_sgpr_flat_scratch_init 0
		.amdhsa_user_sgpr_private_segment_size 0
		.amdhsa_uses_dynamic_stack 0
		.amdhsa_system_sgpr_private_segment_wavefront_offset 0
		.amdhsa_system_sgpr_workgroup_id_x 1
		.amdhsa_system_sgpr_workgroup_id_y 0
		.amdhsa_system_sgpr_workgroup_id_z 0
		.amdhsa_system_sgpr_workgroup_info 0
		.amdhsa_system_vgpr_workitem_id 0
		.amdhsa_next_free_vgpr 1
		.amdhsa_next_free_sgpr 0
		.amdhsa_reserve_vcc 0
		.amdhsa_reserve_flat_scratch 0
		.amdhsa_float_round_mode_32 0
		.amdhsa_float_round_mode_16_64 0
		.amdhsa_float_denorm_mode_32 3
		.amdhsa_float_denorm_mode_16_64 3
		.amdhsa_dx10_clamp 1
		.amdhsa_ieee_mode 1
		.amdhsa_fp16_overflow 0
		.amdhsa_exception_fp_ieee_invalid_op 0
		.amdhsa_exception_fp_denorm_src 0
		.amdhsa_exception_fp_ieee_div_zero 0
		.amdhsa_exception_fp_ieee_overflow 0
		.amdhsa_exception_fp_ieee_underflow 0
		.amdhsa_exception_fp_ieee_inexact 0
		.amdhsa_exception_int_div_zero 0
	.end_amdhsa_kernel
	.section	.text._ZN7rocprim17ROCPRIM_400000_NS6detail17trampoline_kernelINS0_13select_configILj256ELj13ELNS0_17block_load_methodE3ELS4_3ELS4_3ELNS0_20block_scan_algorithmE0ELj4294967295EEENS1_25partition_config_selectorILNS1_17partition_subalgoE3EjNS0_10empty_typeEbEEZZNS1_14partition_implILS8_3ELb0ES6_jNS0_17counting_iteratorIjlEEPS9_SE_NS0_5tupleIJPjSE_EEENSF_IJSE_SE_EEES9_SG_JZNS1_25segmented_radix_sort_implINS0_14default_configELb1EPKlPlSM_SN_N2at6native12_GLOBAL__N_18offset_tEEE10hipError_tPvRmT1_PNSt15iterator_traitsISV_E10value_typeET2_T3_PNSW_IS11_E10value_typeET4_jRbjT5_S17_jjP12ihipStream_tbEUljE_EEESS_ST_SU_S11_S15_S17_T6_T7_T9_mT8_S19_bDpT10_ENKUlT_T0_E_clISt17integral_constantIbLb1EES1M_EEDaS1H_S1I_EUlS1H_E_NS1_11comp_targetILNS1_3genE9ELNS1_11target_archE1100ELNS1_3gpuE3ELNS1_3repE0EEENS1_30default_config_static_selectorELNS0_4arch9wavefront6targetE1EEEvSV_,"axG",@progbits,_ZN7rocprim17ROCPRIM_400000_NS6detail17trampoline_kernelINS0_13select_configILj256ELj13ELNS0_17block_load_methodE3ELS4_3ELS4_3ELNS0_20block_scan_algorithmE0ELj4294967295EEENS1_25partition_config_selectorILNS1_17partition_subalgoE3EjNS0_10empty_typeEbEEZZNS1_14partition_implILS8_3ELb0ES6_jNS0_17counting_iteratorIjlEEPS9_SE_NS0_5tupleIJPjSE_EEENSF_IJSE_SE_EEES9_SG_JZNS1_25segmented_radix_sort_implINS0_14default_configELb1EPKlPlSM_SN_N2at6native12_GLOBAL__N_18offset_tEEE10hipError_tPvRmT1_PNSt15iterator_traitsISV_E10value_typeET2_T3_PNSW_IS11_E10value_typeET4_jRbjT5_S17_jjP12ihipStream_tbEUljE_EEESS_ST_SU_S11_S15_S17_T6_T7_T9_mT8_S19_bDpT10_ENKUlT_T0_E_clISt17integral_constantIbLb1EES1M_EEDaS1H_S1I_EUlS1H_E_NS1_11comp_targetILNS1_3genE9ELNS1_11target_archE1100ELNS1_3gpuE3ELNS1_3repE0EEENS1_30default_config_static_selectorELNS0_4arch9wavefront6targetE1EEEvSV_,comdat
.Lfunc_end686:
	.size	_ZN7rocprim17ROCPRIM_400000_NS6detail17trampoline_kernelINS0_13select_configILj256ELj13ELNS0_17block_load_methodE3ELS4_3ELS4_3ELNS0_20block_scan_algorithmE0ELj4294967295EEENS1_25partition_config_selectorILNS1_17partition_subalgoE3EjNS0_10empty_typeEbEEZZNS1_14partition_implILS8_3ELb0ES6_jNS0_17counting_iteratorIjlEEPS9_SE_NS0_5tupleIJPjSE_EEENSF_IJSE_SE_EEES9_SG_JZNS1_25segmented_radix_sort_implINS0_14default_configELb1EPKlPlSM_SN_N2at6native12_GLOBAL__N_18offset_tEEE10hipError_tPvRmT1_PNSt15iterator_traitsISV_E10value_typeET2_T3_PNSW_IS11_E10value_typeET4_jRbjT5_S17_jjP12ihipStream_tbEUljE_EEESS_ST_SU_S11_S15_S17_T6_T7_T9_mT8_S19_bDpT10_ENKUlT_T0_E_clISt17integral_constantIbLb1EES1M_EEDaS1H_S1I_EUlS1H_E_NS1_11comp_targetILNS1_3genE9ELNS1_11target_archE1100ELNS1_3gpuE3ELNS1_3repE0EEENS1_30default_config_static_selectorELNS0_4arch9wavefront6targetE1EEEvSV_, .Lfunc_end686-_ZN7rocprim17ROCPRIM_400000_NS6detail17trampoline_kernelINS0_13select_configILj256ELj13ELNS0_17block_load_methodE3ELS4_3ELS4_3ELNS0_20block_scan_algorithmE0ELj4294967295EEENS1_25partition_config_selectorILNS1_17partition_subalgoE3EjNS0_10empty_typeEbEEZZNS1_14partition_implILS8_3ELb0ES6_jNS0_17counting_iteratorIjlEEPS9_SE_NS0_5tupleIJPjSE_EEENSF_IJSE_SE_EEES9_SG_JZNS1_25segmented_radix_sort_implINS0_14default_configELb1EPKlPlSM_SN_N2at6native12_GLOBAL__N_18offset_tEEE10hipError_tPvRmT1_PNSt15iterator_traitsISV_E10value_typeET2_T3_PNSW_IS11_E10value_typeET4_jRbjT5_S17_jjP12ihipStream_tbEUljE_EEESS_ST_SU_S11_S15_S17_T6_T7_T9_mT8_S19_bDpT10_ENKUlT_T0_E_clISt17integral_constantIbLb1EES1M_EEDaS1H_S1I_EUlS1H_E_NS1_11comp_targetILNS1_3genE9ELNS1_11target_archE1100ELNS1_3gpuE3ELNS1_3repE0EEENS1_30default_config_static_selectorELNS0_4arch9wavefront6targetE1EEEvSV_
                                        ; -- End function
	.set _ZN7rocprim17ROCPRIM_400000_NS6detail17trampoline_kernelINS0_13select_configILj256ELj13ELNS0_17block_load_methodE3ELS4_3ELS4_3ELNS0_20block_scan_algorithmE0ELj4294967295EEENS1_25partition_config_selectorILNS1_17partition_subalgoE3EjNS0_10empty_typeEbEEZZNS1_14partition_implILS8_3ELb0ES6_jNS0_17counting_iteratorIjlEEPS9_SE_NS0_5tupleIJPjSE_EEENSF_IJSE_SE_EEES9_SG_JZNS1_25segmented_radix_sort_implINS0_14default_configELb1EPKlPlSM_SN_N2at6native12_GLOBAL__N_18offset_tEEE10hipError_tPvRmT1_PNSt15iterator_traitsISV_E10value_typeET2_T3_PNSW_IS11_E10value_typeET4_jRbjT5_S17_jjP12ihipStream_tbEUljE_EEESS_ST_SU_S11_S15_S17_T6_T7_T9_mT8_S19_bDpT10_ENKUlT_T0_E_clISt17integral_constantIbLb1EES1M_EEDaS1H_S1I_EUlS1H_E_NS1_11comp_targetILNS1_3genE9ELNS1_11target_archE1100ELNS1_3gpuE3ELNS1_3repE0EEENS1_30default_config_static_selectorELNS0_4arch9wavefront6targetE1EEEvSV_.num_vgpr, 0
	.set _ZN7rocprim17ROCPRIM_400000_NS6detail17trampoline_kernelINS0_13select_configILj256ELj13ELNS0_17block_load_methodE3ELS4_3ELS4_3ELNS0_20block_scan_algorithmE0ELj4294967295EEENS1_25partition_config_selectorILNS1_17partition_subalgoE3EjNS0_10empty_typeEbEEZZNS1_14partition_implILS8_3ELb0ES6_jNS0_17counting_iteratorIjlEEPS9_SE_NS0_5tupleIJPjSE_EEENSF_IJSE_SE_EEES9_SG_JZNS1_25segmented_radix_sort_implINS0_14default_configELb1EPKlPlSM_SN_N2at6native12_GLOBAL__N_18offset_tEEE10hipError_tPvRmT1_PNSt15iterator_traitsISV_E10value_typeET2_T3_PNSW_IS11_E10value_typeET4_jRbjT5_S17_jjP12ihipStream_tbEUljE_EEESS_ST_SU_S11_S15_S17_T6_T7_T9_mT8_S19_bDpT10_ENKUlT_T0_E_clISt17integral_constantIbLb1EES1M_EEDaS1H_S1I_EUlS1H_E_NS1_11comp_targetILNS1_3genE9ELNS1_11target_archE1100ELNS1_3gpuE3ELNS1_3repE0EEENS1_30default_config_static_selectorELNS0_4arch9wavefront6targetE1EEEvSV_.num_agpr, 0
	.set _ZN7rocprim17ROCPRIM_400000_NS6detail17trampoline_kernelINS0_13select_configILj256ELj13ELNS0_17block_load_methodE3ELS4_3ELS4_3ELNS0_20block_scan_algorithmE0ELj4294967295EEENS1_25partition_config_selectorILNS1_17partition_subalgoE3EjNS0_10empty_typeEbEEZZNS1_14partition_implILS8_3ELb0ES6_jNS0_17counting_iteratorIjlEEPS9_SE_NS0_5tupleIJPjSE_EEENSF_IJSE_SE_EEES9_SG_JZNS1_25segmented_radix_sort_implINS0_14default_configELb1EPKlPlSM_SN_N2at6native12_GLOBAL__N_18offset_tEEE10hipError_tPvRmT1_PNSt15iterator_traitsISV_E10value_typeET2_T3_PNSW_IS11_E10value_typeET4_jRbjT5_S17_jjP12ihipStream_tbEUljE_EEESS_ST_SU_S11_S15_S17_T6_T7_T9_mT8_S19_bDpT10_ENKUlT_T0_E_clISt17integral_constantIbLb1EES1M_EEDaS1H_S1I_EUlS1H_E_NS1_11comp_targetILNS1_3genE9ELNS1_11target_archE1100ELNS1_3gpuE3ELNS1_3repE0EEENS1_30default_config_static_selectorELNS0_4arch9wavefront6targetE1EEEvSV_.numbered_sgpr, 0
	.set _ZN7rocprim17ROCPRIM_400000_NS6detail17trampoline_kernelINS0_13select_configILj256ELj13ELNS0_17block_load_methodE3ELS4_3ELS4_3ELNS0_20block_scan_algorithmE0ELj4294967295EEENS1_25partition_config_selectorILNS1_17partition_subalgoE3EjNS0_10empty_typeEbEEZZNS1_14partition_implILS8_3ELb0ES6_jNS0_17counting_iteratorIjlEEPS9_SE_NS0_5tupleIJPjSE_EEENSF_IJSE_SE_EEES9_SG_JZNS1_25segmented_radix_sort_implINS0_14default_configELb1EPKlPlSM_SN_N2at6native12_GLOBAL__N_18offset_tEEE10hipError_tPvRmT1_PNSt15iterator_traitsISV_E10value_typeET2_T3_PNSW_IS11_E10value_typeET4_jRbjT5_S17_jjP12ihipStream_tbEUljE_EEESS_ST_SU_S11_S15_S17_T6_T7_T9_mT8_S19_bDpT10_ENKUlT_T0_E_clISt17integral_constantIbLb1EES1M_EEDaS1H_S1I_EUlS1H_E_NS1_11comp_targetILNS1_3genE9ELNS1_11target_archE1100ELNS1_3gpuE3ELNS1_3repE0EEENS1_30default_config_static_selectorELNS0_4arch9wavefront6targetE1EEEvSV_.num_named_barrier, 0
	.set _ZN7rocprim17ROCPRIM_400000_NS6detail17trampoline_kernelINS0_13select_configILj256ELj13ELNS0_17block_load_methodE3ELS4_3ELS4_3ELNS0_20block_scan_algorithmE0ELj4294967295EEENS1_25partition_config_selectorILNS1_17partition_subalgoE3EjNS0_10empty_typeEbEEZZNS1_14partition_implILS8_3ELb0ES6_jNS0_17counting_iteratorIjlEEPS9_SE_NS0_5tupleIJPjSE_EEENSF_IJSE_SE_EEES9_SG_JZNS1_25segmented_radix_sort_implINS0_14default_configELb1EPKlPlSM_SN_N2at6native12_GLOBAL__N_18offset_tEEE10hipError_tPvRmT1_PNSt15iterator_traitsISV_E10value_typeET2_T3_PNSW_IS11_E10value_typeET4_jRbjT5_S17_jjP12ihipStream_tbEUljE_EEESS_ST_SU_S11_S15_S17_T6_T7_T9_mT8_S19_bDpT10_ENKUlT_T0_E_clISt17integral_constantIbLb1EES1M_EEDaS1H_S1I_EUlS1H_E_NS1_11comp_targetILNS1_3genE9ELNS1_11target_archE1100ELNS1_3gpuE3ELNS1_3repE0EEENS1_30default_config_static_selectorELNS0_4arch9wavefront6targetE1EEEvSV_.private_seg_size, 0
	.set _ZN7rocprim17ROCPRIM_400000_NS6detail17trampoline_kernelINS0_13select_configILj256ELj13ELNS0_17block_load_methodE3ELS4_3ELS4_3ELNS0_20block_scan_algorithmE0ELj4294967295EEENS1_25partition_config_selectorILNS1_17partition_subalgoE3EjNS0_10empty_typeEbEEZZNS1_14partition_implILS8_3ELb0ES6_jNS0_17counting_iteratorIjlEEPS9_SE_NS0_5tupleIJPjSE_EEENSF_IJSE_SE_EEES9_SG_JZNS1_25segmented_radix_sort_implINS0_14default_configELb1EPKlPlSM_SN_N2at6native12_GLOBAL__N_18offset_tEEE10hipError_tPvRmT1_PNSt15iterator_traitsISV_E10value_typeET2_T3_PNSW_IS11_E10value_typeET4_jRbjT5_S17_jjP12ihipStream_tbEUljE_EEESS_ST_SU_S11_S15_S17_T6_T7_T9_mT8_S19_bDpT10_ENKUlT_T0_E_clISt17integral_constantIbLb1EES1M_EEDaS1H_S1I_EUlS1H_E_NS1_11comp_targetILNS1_3genE9ELNS1_11target_archE1100ELNS1_3gpuE3ELNS1_3repE0EEENS1_30default_config_static_selectorELNS0_4arch9wavefront6targetE1EEEvSV_.uses_vcc, 0
	.set _ZN7rocprim17ROCPRIM_400000_NS6detail17trampoline_kernelINS0_13select_configILj256ELj13ELNS0_17block_load_methodE3ELS4_3ELS4_3ELNS0_20block_scan_algorithmE0ELj4294967295EEENS1_25partition_config_selectorILNS1_17partition_subalgoE3EjNS0_10empty_typeEbEEZZNS1_14partition_implILS8_3ELb0ES6_jNS0_17counting_iteratorIjlEEPS9_SE_NS0_5tupleIJPjSE_EEENSF_IJSE_SE_EEES9_SG_JZNS1_25segmented_radix_sort_implINS0_14default_configELb1EPKlPlSM_SN_N2at6native12_GLOBAL__N_18offset_tEEE10hipError_tPvRmT1_PNSt15iterator_traitsISV_E10value_typeET2_T3_PNSW_IS11_E10value_typeET4_jRbjT5_S17_jjP12ihipStream_tbEUljE_EEESS_ST_SU_S11_S15_S17_T6_T7_T9_mT8_S19_bDpT10_ENKUlT_T0_E_clISt17integral_constantIbLb1EES1M_EEDaS1H_S1I_EUlS1H_E_NS1_11comp_targetILNS1_3genE9ELNS1_11target_archE1100ELNS1_3gpuE3ELNS1_3repE0EEENS1_30default_config_static_selectorELNS0_4arch9wavefront6targetE1EEEvSV_.uses_flat_scratch, 0
	.set _ZN7rocprim17ROCPRIM_400000_NS6detail17trampoline_kernelINS0_13select_configILj256ELj13ELNS0_17block_load_methodE3ELS4_3ELS4_3ELNS0_20block_scan_algorithmE0ELj4294967295EEENS1_25partition_config_selectorILNS1_17partition_subalgoE3EjNS0_10empty_typeEbEEZZNS1_14partition_implILS8_3ELb0ES6_jNS0_17counting_iteratorIjlEEPS9_SE_NS0_5tupleIJPjSE_EEENSF_IJSE_SE_EEES9_SG_JZNS1_25segmented_radix_sort_implINS0_14default_configELb1EPKlPlSM_SN_N2at6native12_GLOBAL__N_18offset_tEEE10hipError_tPvRmT1_PNSt15iterator_traitsISV_E10value_typeET2_T3_PNSW_IS11_E10value_typeET4_jRbjT5_S17_jjP12ihipStream_tbEUljE_EEESS_ST_SU_S11_S15_S17_T6_T7_T9_mT8_S19_bDpT10_ENKUlT_T0_E_clISt17integral_constantIbLb1EES1M_EEDaS1H_S1I_EUlS1H_E_NS1_11comp_targetILNS1_3genE9ELNS1_11target_archE1100ELNS1_3gpuE3ELNS1_3repE0EEENS1_30default_config_static_selectorELNS0_4arch9wavefront6targetE1EEEvSV_.has_dyn_sized_stack, 0
	.set _ZN7rocprim17ROCPRIM_400000_NS6detail17trampoline_kernelINS0_13select_configILj256ELj13ELNS0_17block_load_methodE3ELS4_3ELS4_3ELNS0_20block_scan_algorithmE0ELj4294967295EEENS1_25partition_config_selectorILNS1_17partition_subalgoE3EjNS0_10empty_typeEbEEZZNS1_14partition_implILS8_3ELb0ES6_jNS0_17counting_iteratorIjlEEPS9_SE_NS0_5tupleIJPjSE_EEENSF_IJSE_SE_EEES9_SG_JZNS1_25segmented_radix_sort_implINS0_14default_configELb1EPKlPlSM_SN_N2at6native12_GLOBAL__N_18offset_tEEE10hipError_tPvRmT1_PNSt15iterator_traitsISV_E10value_typeET2_T3_PNSW_IS11_E10value_typeET4_jRbjT5_S17_jjP12ihipStream_tbEUljE_EEESS_ST_SU_S11_S15_S17_T6_T7_T9_mT8_S19_bDpT10_ENKUlT_T0_E_clISt17integral_constantIbLb1EES1M_EEDaS1H_S1I_EUlS1H_E_NS1_11comp_targetILNS1_3genE9ELNS1_11target_archE1100ELNS1_3gpuE3ELNS1_3repE0EEENS1_30default_config_static_selectorELNS0_4arch9wavefront6targetE1EEEvSV_.has_recursion, 0
	.set _ZN7rocprim17ROCPRIM_400000_NS6detail17trampoline_kernelINS0_13select_configILj256ELj13ELNS0_17block_load_methodE3ELS4_3ELS4_3ELNS0_20block_scan_algorithmE0ELj4294967295EEENS1_25partition_config_selectorILNS1_17partition_subalgoE3EjNS0_10empty_typeEbEEZZNS1_14partition_implILS8_3ELb0ES6_jNS0_17counting_iteratorIjlEEPS9_SE_NS0_5tupleIJPjSE_EEENSF_IJSE_SE_EEES9_SG_JZNS1_25segmented_radix_sort_implINS0_14default_configELb1EPKlPlSM_SN_N2at6native12_GLOBAL__N_18offset_tEEE10hipError_tPvRmT1_PNSt15iterator_traitsISV_E10value_typeET2_T3_PNSW_IS11_E10value_typeET4_jRbjT5_S17_jjP12ihipStream_tbEUljE_EEESS_ST_SU_S11_S15_S17_T6_T7_T9_mT8_S19_bDpT10_ENKUlT_T0_E_clISt17integral_constantIbLb1EES1M_EEDaS1H_S1I_EUlS1H_E_NS1_11comp_targetILNS1_3genE9ELNS1_11target_archE1100ELNS1_3gpuE3ELNS1_3repE0EEENS1_30default_config_static_selectorELNS0_4arch9wavefront6targetE1EEEvSV_.has_indirect_call, 0
	.section	.AMDGPU.csdata,"",@progbits
; Kernel info:
; codeLenInByte = 0
; TotalNumSgprs: 4
; NumVgprs: 0
; ScratchSize: 0
; MemoryBound: 0
; FloatMode: 240
; IeeeMode: 1
; LDSByteSize: 0 bytes/workgroup (compile time only)
; SGPRBlocks: 0
; VGPRBlocks: 0
; NumSGPRsForWavesPerEU: 4
; NumVGPRsForWavesPerEU: 1
; Occupancy: 10
; WaveLimiterHint : 0
; COMPUTE_PGM_RSRC2:SCRATCH_EN: 0
; COMPUTE_PGM_RSRC2:USER_SGPR: 6
; COMPUTE_PGM_RSRC2:TRAP_HANDLER: 0
; COMPUTE_PGM_RSRC2:TGID_X_EN: 1
; COMPUTE_PGM_RSRC2:TGID_Y_EN: 0
; COMPUTE_PGM_RSRC2:TGID_Z_EN: 0
; COMPUTE_PGM_RSRC2:TIDIG_COMP_CNT: 0
	.section	.text._ZN7rocprim17ROCPRIM_400000_NS6detail17trampoline_kernelINS0_13select_configILj256ELj13ELNS0_17block_load_methodE3ELS4_3ELS4_3ELNS0_20block_scan_algorithmE0ELj4294967295EEENS1_25partition_config_selectorILNS1_17partition_subalgoE3EjNS0_10empty_typeEbEEZZNS1_14partition_implILS8_3ELb0ES6_jNS0_17counting_iteratorIjlEEPS9_SE_NS0_5tupleIJPjSE_EEENSF_IJSE_SE_EEES9_SG_JZNS1_25segmented_radix_sort_implINS0_14default_configELb1EPKlPlSM_SN_N2at6native12_GLOBAL__N_18offset_tEEE10hipError_tPvRmT1_PNSt15iterator_traitsISV_E10value_typeET2_T3_PNSW_IS11_E10value_typeET4_jRbjT5_S17_jjP12ihipStream_tbEUljE_EEESS_ST_SU_S11_S15_S17_T6_T7_T9_mT8_S19_bDpT10_ENKUlT_T0_E_clISt17integral_constantIbLb1EES1M_EEDaS1H_S1I_EUlS1H_E_NS1_11comp_targetILNS1_3genE8ELNS1_11target_archE1030ELNS1_3gpuE2ELNS1_3repE0EEENS1_30default_config_static_selectorELNS0_4arch9wavefront6targetE1EEEvSV_,"axG",@progbits,_ZN7rocprim17ROCPRIM_400000_NS6detail17trampoline_kernelINS0_13select_configILj256ELj13ELNS0_17block_load_methodE3ELS4_3ELS4_3ELNS0_20block_scan_algorithmE0ELj4294967295EEENS1_25partition_config_selectorILNS1_17partition_subalgoE3EjNS0_10empty_typeEbEEZZNS1_14partition_implILS8_3ELb0ES6_jNS0_17counting_iteratorIjlEEPS9_SE_NS0_5tupleIJPjSE_EEENSF_IJSE_SE_EEES9_SG_JZNS1_25segmented_radix_sort_implINS0_14default_configELb1EPKlPlSM_SN_N2at6native12_GLOBAL__N_18offset_tEEE10hipError_tPvRmT1_PNSt15iterator_traitsISV_E10value_typeET2_T3_PNSW_IS11_E10value_typeET4_jRbjT5_S17_jjP12ihipStream_tbEUljE_EEESS_ST_SU_S11_S15_S17_T6_T7_T9_mT8_S19_bDpT10_ENKUlT_T0_E_clISt17integral_constantIbLb1EES1M_EEDaS1H_S1I_EUlS1H_E_NS1_11comp_targetILNS1_3genE8ELNS1_11target_archE1030ELNS1_3gpuE2ELNS1_3repE0EEENS1_30default_config_static_selectorELNS0_4arch9wavefront6targetE1EEEvSV_,comdat
	.globl	_ZN7rocprim17ROCPRIM_400000_NS6detail17trampoline_kernelINS0_13select_configILj256ELj13ELNS0_17block_load_methodE3ELS4_3ELS4_3ELNS0_20block_scan_algorithmE0ELj4294967295EEENS1_25partition_config_selectorILNS1_17partition_subalgoE3EjNS0_10empty_typeEbEEZZNS1_14partition_implILS8_3ELb0ES6_jNS0_17counting_iteratorIjlEEPS9_SE_NS0_5tupleIJPjSE_EEENSF_IJSE_SE_EEES9_SG_JZNS1_25segmented_radix_sort_implINS0_14default_configELb1EPKlPlSM_SN_N2at6native12_GLOBAL__N_18offset_tEEE10hipError_tPvRmT1_PNSt15iterator_traitsISV_E10value_typeET2_T3_PNSW_IS11_E10value_typeET4_jRbjT5_S17_jjP12ihipStream_tbEUljE_EEESS_ST_SU_S11_S15_S17_T6_T7_T9_mT8_S19_bDpT10_ENKUlT_T0_E_clISt17integral_constantIbLb1EES1M_EEDaS1H_S1I_EUlS1H_E_NS1_11comp_targetILNS1_3genE8ELNS1_11target_archE1030ELNS1_3gpuE2ELNS1_3repE0EEENS1_30default_config_static_selectorELNS0_4arch9wavefront6targetE1EEEvSV_ ; -- Begin function _ZN7rocprim17ROCPRIM_400000_NS6detail17trampoline_kernelINS0_13select_configILj256ELj13ELNS0_17block_load_methodE3ELS4_3ELS4_3ELNS0_20block_scan_algorithmE0ELj4294967295EEENS1_25partition_config_selectorILNS1_17partition_subalgoE3EjNS0_10empty_typeEbEEZZNS1_14partition_implILS8_3ELb0ES6_jNS0_17counting_iteratorIjlEEPS9_SE_NS0_5tupleIJPjSE_EEENSF_IJSE_SE_EEES9_SG_JZNS1_25segmented_radix_sort_implINS0_14default_configELb1EPKlPlSM_SN_N2at6native12_GLOBAL__N_18offset_tEEE10hipError_tPvRmT1_PNSt15iterator_traitsISV_E10value_typeET2_T3_PNSW_IS11_E10value_typeET4_jRbjT5_S17_jjP12ihipStream_tbEUljE_EEESS_ST_SU_S11_S15_S17_T6_T7_T9_mT8_S19_bDpT10_ENKUlT_T0_E_clISt17integral_constantIbLb1EES1M_EEDaS1H_S1I_EUlS1H_E_NS1_11comp_targetILNS1_3genE8ELNS1_11target_archE1030ELNS1_3gpuE2ELNS1_3repE0EEENS1_30default_config_static_selectorELNS0_4arch9wavefront6targetE1EEEvSV_
	.p2align	8
	.type	_ZN7rocprim17ROCPRIM_400000_NS6detail17trampoline_kernelINS0_13select_configILj256ELj13ELNS0_17block_load_methodE3ELS4_3ELS4_3ELNS0_20block_scan_algorithmE0ELj4294967295EEENS1_25partition_config_selectorILNS1_17partition_subalgoE3EjNS0_10empty_typeEbEEZZNS1_14partition_implILS8_3ELb0ES6_jNS0_17counting_iteratorIjlEEPS9_SE_NS0_5tupleIJPjSE_EEENSF_IJSE_SE_EEES9_SG_JZNS1_25segmented_radix_sort_implINS0_14default_configELb1EPKlPlSM_SN_N2at6native12_GLOBAL__N_18offset_tEEE10hipError_tPvRmT1_PNSt15iterator_traitsISV_E10value_typeET2_T3_PNSW_IS11_E10value_typeET4_jRbjT5_S17_jjP12ihipStream_tbEUljE_EEESS_ST_SU_S11_S15_S17_T6_T7_T9_mT8_S19_bDpT10_ENKUlT_T0_E_clISt17integral_constantIbLb1EES1M_EEDaS1H_S1I_EUlS1H_E_NS1_11comp_targetILNS1_3genE8ELNS1_11target_archE1030ELNS1_3gpuE2ELNS1_3repE0EEENS1_30default_config_static_selectorELNS0_4arch9wavefront6targetE1EEEvSV_,@function
_ZN7rocprim17ROCPRIM_400000_NS6detail17trampoline_kernelINS0_13select_configILj256ELj13ELNS0_17block_load_methodE3ELS4_3ELS4_3ELNS0_20block_scan_algorithmE0ELj4294967295EEENS1_25partition_config_selectorILNS1_17partition_subalgoE3EjNS0_10empty_typeEbEEZZNS1_14partition_implILS8_3ELb0ES6_jNS0_17counting_iteratorIjlEEPS9_SE_NS0_5tupleIJPjSE_EEENSF_IJSE_SE_EEES9_SG_JZNS1_25segmented_radix_sort_implINS0_14default_configELb1EPKlPlSM_SN_N2at6native12_GLOBAL__N_18offset_tEEE10hipError_tPvRmT1_PNSt15iterator_traitsISV_E10value_typeET2_T3_PNSW_IS11_E10value_typeET4_jRbjT5_S17_jjP12ihipStream_tbEUljE_EEESS_ST_SU_S11_S15_S17_T6_T7_T9_mT8_S19_bDpT10_ENKUlT_T0_E_clISt17integral_constantIbLb1EES1M_EEDaS1H_S1I_EUlS1H_E_NS1_11comp_targetILNS1_3genE8ELNS1_11target_archE1030ELNS1_3gpuE2ELNS1_3repE0EEENS1_30default_config_static_selectorELNS0_4arch9wavefront6targetE1EEEvSV_: ; @_ZN7rocprim17ROCPRIM_400000_NS6detail17trampoline_kernelINS0_13select_configILj256ELj13ELNS0_17block_load_methodE3ELS4_3ELS4_3ELNS0_20block_scan_algorithmE0ELj4294967295EEENS1_25partition_config_selectorILNS1_17partition_subalgoE3EjNS0_10empty_typeEbEEZZNS1_14partition_implILS8_3ELb0ES6_jNS0_17counting_iteratorIjlEEPS9_SE_NS0_5tupleIJPjSE_EEENSF_IJSE_SE_EEES9_SG_JZNS1_25segmented_radix_sort_implINS0_14default_configELb1EPKlPlSM_SN_N2at6native12_GLOBAL__N_18offset_tEEE10hipError_tPvRmT1_PNSt15iterator_traitsISV_E10value_typeET2_T3_PNSW_IS11_E10value_typeET4_jRbjT5_S17_jjP12ihipStream_tbEUljE_EEESS_ST_SU_S11_S15_S17_T6_T7_T9_mT8_S19_bDpT10_ENKUlT_T0_E_clISt17integral_constantIbLb1EES1M_EEDaS1H_S1I_EUlS1H_E_NS1_11comp_targetILNS1_3genE8ELNS1_11target_archE1030ELNS1_3gpuE2ELNS1_3repE0EEENS1_30default_config_static_selectorELNS0_4arch9wavefront6targetE1EEEvSV_
; %bb.0:
	.section	.rodata,"a",@progbits
	.p2align	6, 0x0
	.amdhsa_kernel _ZN7rocprim17ROCPRIM_400000_NS6detail17trampoline_kernelINS0_13select_configILj256ELj13ELNS0_17block_load_methodE3ELS4_3ELS4_3ELNS0_20block_scan_algorithmE0ELj4294967295EEENS1_25partition_config_selectorILNS1_17partition_subalgoE3EjNS0_10empty_typeEbEEZZNS1_14partition_implILS8_3ELb0ES6_jNS0_17counting_iteratorIjlEEPS9_SE_NS0_5tupleIJPjSE_EEENSF_IJSE_SE_EEES9_SG_JZNS1_25segmented_radix_sort_implINS0_14default_configELb1EPKlPlSM_SN_N2at6native12_GLOBAL__N_18offset_tEEE10hipError_tPvRmT1_PNSt15iterator_traitsISV_E10value_typeET2_T3_PNSW_IS11_E10value_typeET4_jRbjT5_S17_jjP12ihipStream_tbEUljE_EEESS_ST_SU_S11_S15_S17_T6_T7_T9_mT8_S19_bDpT10_ENKUlT_T0_E_clISt17integral_constantIbLb1EES1M_EEDaS1H_S1I_EUlS1H_E_NS1_11comp_targetILNS1_3genE8ELNS1_11target_archE1030ELNS1_3gpuE2ELNS1_3repE0EEENS1_30default_config_static_selectorELNS0_4arch9wavefront6targetE1EEEvSV_
		.amdhsa_group_segment_fixed_size 0
		.amdhsa_private_segment_fixed_size 0
		.amdhsa_kernarg_size 152
		.amdhsa_user_sgpr_count 6
		.amdhsa_user_sgpr_private_segment_buffer 1
		.amdhsa_user_sgpr_dispatch_ptr 0
		.amdhsa_user_sgpr_queue_ptr 0
		.amdhsa_user_sgpr_kernarg_segment_ptr 1
		.amdhsa_user_sgpr_dispatch_id 0
		.amdhsa_user_sgpr_flat_scratch_init 0
		.amdhsa_user_sgpr_private_segment_size 0
		.amdhsa_uses_dynamic_stack 0
		.amdhsa_system_sgpr_private_segment_wavefront_offset 0
		.amdhsa_system_sgpr_workgroup_id_x 1
		.amdhsa_system_sgpr_workgroup_id_y 0
		.amdhsa_system_sgpr_workgroup_id_z 0
		.amdhsa_system_sgpr_workgroup_info 0
		.amdhsa_system_vgpr_workitem_id 0
		.amdhsa_next_free_vgpr 1
		.amdhsa_next_free_sgpr 0
		.amdhsa_reserve_vcc 0
		.amdhsa_reserve_flat_scratch 0
		.amdhsa_float_round_mode_32 0
		.amdhsa_float_round_mode_16_64 0
		.amdhsa_float_denorm_mode_32 3
		.amdhsa_float_denorm_mode_16_64 3
		.amdhsa_dx10_clamp 1
		.amdhsa_ieee_mode 1
		.amdhsa_fp16_overflow 0
		.amdhsa_exception_fp_ieee_invalid_op 0
		.amdhsa_exception_fp_denorm_src 0
		.amdhsa_exception_fp_ieee_div_zero 0
		.amdhsa_exception_fp_ieee_overflow 0
		.amdhsa_exception_fp_ieee_underflow 0
		.amdhsa_exception_fp_ieee_inexact 0
		.amdhsa_exception_int_div_zero 0
	.end_amdhsa_kernel
	.section	.text._ZN7rocprim17ROCPRIM_400000_NS6detail17trampoline_kernelINS0_13select_configILj256ELj13ELNS0_17block_load_methodE3ELS4_3ELS4_3ELNS0_20block_scan_algorithmE0ELj4294967295EEENS1_25partition_config_selectorILNS1_17partition_subalgoE3EjNS0_10empty_typeEbEEZZNS1_14partition_implILS8_3ELb0ES6_jNS0_17counting_iteratorIjlEEPS9_SE_NS0_5tupleIJPjSE_EEENSF_IJSE_SE_EEES9_SG_JZNS1_25segmented_radix_sort_implINS0_14default_configELb1EPKlPlSM_SN_N2at6native12_GLOBAL__N_18offset_tEEE10hipError_tPvRmT1_PNSt15iterator_traitsISV_E10value_typeET2_T3_PNSW_IS11_E10value_typeET4_jRbjT5_S17_jjP12ihipStream_tbEUljE_EEESS_ST_SU_S11_S15_S17_T6_T7_T9_mT8_S19_bDpT10_ENKUlT_T0_E_clISt17integral_constantIbLb1EES1M_EEDaS1H_S1I_EUlS1H_E_NS1_11comp_targetILNS1_3genE8ELNS1_11target_archE1030ELNS1_3gpuE2ELNS1_3repE0EEENS1_30default_config_static_selectorELNS0_4arch9wavefront6targetE1EEEvSV_,"axG",@progbits,_ZN7rocprim17ROCPRIM_400000_NS6detail17trampoline_kernelINS0_13select_configILj256ELj13ELNS0_17block_load_methodE3ELS4_3ELS4_3ELNS0_20block_scan_algorithmE0ELj4294967295EEENS1_25partition_config_selectorILNS1_17partition_subalgoE3EjNS0_10empty_typeEbEEZZNS1_14partition_implILS8_3ELb0ES6_jNS0_17counting_iteratorIjlEEPS9_SE_NS0_5tupleIJPjSE_EEENSF_IJSE_SE_EEES9_SG_JZNS1_25segmented_radix_sort_implINS0_14default_configELb1EPKlPlSM_SN_N2at6native12_GLOBAL__N_18offset_tEEE10hipError_tPvRmT1_PNSt15iterator_traitsISV_E10value_typeET2_T3_PNSW_IS11_E10value_typeET4_jRbjT5_S17_jjP12ihipStream_tbEUljE_EEESS_ST_SU_S11_S15_S17_T6_T7_T9_mT8_S19_bDpT10_ENKUlT_T0_E_clISt17integral_constantIbLb1EES1M_EEDaS1H_S1I_EUlS1H_E_NS1_11comp_targetILNS1_3genE8ELNS1_11target_archE1030ELNS1_3gpuE2ELNS1_3repE0EEENS1_30default_config_static_selectorELNS0_4arch9wavefront6targetE1EEEvSV_,comdat
.Lfunc_end687:
	.size	_ZN7rocprim17ROCPRIM_400000_NS6detail17trampoline_kernelINS0_13select_configILj256ELj13ELNS0_17block_load_methodE3ELS4_3ELS4_3ELNS0_20block_scan_algorithmE0ELj4294967295EEENS1_25partition_config_selectorILNS1_17partition_subalgoE3EjNS0_10empty_typeEbEEZZNS1_14partition_implILS8_3ELb0ES6_jNS0_17counting_iteratorIjlEEPS9_SE_NS0_5tupleIJPjSE_EEENSF_IJSE_SE_EEES9_SG_JZNS1_25segmented_radix_sort_implINS0_14default_configELb1EPKlPlSM_SN_N2at6native12_GLOBAL__N_18offset_tEEE10hipError_tPvRmT1_PNSt15iterator_traitsISV_E10value_typeET2_T3_PNSW_IS11_E10value_typeET4_jRbjT5_S17_jjP12ihipStream_tbEUljE_EEESS_ST_SU_S11_S15_S17_T6_T7_T9_mT8_S19_bDpT10_ENKUlT_T0_E_clISt17integral_constantIbLb1EES1M_EEDaS1H_S1I_EUlS1H_E_NS1_11comp_targetILNS1_3genE8ELNS1_11target_archE1030ELNS1_3gpuE2ELNS1_3repE0EEENS1_30default_config_static_selectorELNS0_4arch9wavefront6targetE1EEEvSV_, .Lfunc_end687-_ZN7rocprim17ROCPRIM_400000_NS6detail17trampoline_kernelINS0_13select_configILj256ELj13ELNS0_17block_load_methodE3ELS4_3ELS4_3ELNS0_20block_scan_algorithmE0ELj4294967295EEENS1_25partition_config_selectorILNS1_17partition_subalgoE3EjNS0_10empty_typeEbEEZZNS1_14partition_implILS8_3ELb0ES6_jNS0_17counting_iteratorIjlEEPS9_SE_NS0_5tupleIJPjSE_EEENSF_IJSE_SE_EEES9_SG_JZNS1_25segmented_radix_sort_implINS0_14default_configELb1EPKlPlSM_SN_N2at6native12_GLOBAL__N_18offset_tEEE10hipError_tPvRmT1_PNSt15iterator_traitsISV_E10value_typeET2_T3_PNSW_IS11_E10value_typeET4_jRbjT5_S17_jjP12ihipStream_tbEUljE_EEESS_ST_SU_S11_S15_S17_T6_T7_T9_mT8_S19_bDpT10_ENKUlT_T0_E_clISt17integral_constantIbLb1EES1M_EEDaS1H_S1I_EUlS1H_E_NS1_11comp_targetILNS1_3genE8ELNS1_11target_archE1030ELNS1_3gpuE2ELNS1_3repE0EEENS1_30default_config_static_selectorELNS0_4arch9wavefront6targetE1EEEvSV_
                                        ; -- End function
	.set _ZN7rocprim17ROCPRIM_400000_NS6detail17trampoline_kernelINS0_13select_configILj256ELj13ELNS0_17block_load_methodE3ELS4_3ELS4_3ELNS0_20block_scan_algorithmE0ELj4294967295EEENS1_25partition_config_selectorILNS1_17partition_subalgoE3EjNS0_10empty_typeEbEEZZNS1_14partition_implILS8_3ELb0ES6_jNS0_17counting_iteratorIjlEEPS9_SE_NS0_5tupleIJPjSE_EEENSF_IJSE_SE_EEES9_SG_JZNS1_25segmented_radix_sort_implINS0_14default_configELb1EPKlPlSM_SN_N2at6native12_GLOBAL__N_18offset_tEEE10hipError_tPvRmT1_PNSt15iterator_traitsISV_E10value_typeET2_T3_PNSW_IS11_E10value_typeET4_jRbjT5_S17_jjP12ihipStream_tbEUljE_EEESS_ST_SU_S11_S15_S17_T6_T7_T9_mT8_S19_bDpT10_ENKUlT_T0_E_clISt17integral_constantIbLb1EES1M_EEDaS1H_S1I_EUlS1H_E_NS1_11comp_targetILNS1_3genE8ELNS1_11target_archE1030ELNS1_3gpuE2ELNS1_3repE0EEENS1_30default_config_static_selectorELNS0_4arch9wavefront6targetE1EEEvSV_.num_vgpr, 0
	.set _ZN7rocprim17ROCPRIM_400000_NS6detail17trampoline_kernelINS0_13select_configILj256ELj13ELNS0_17block_load_methodE3ELS4_3ELS4_3ELNS0_20block_scan_algorithmE0ELj4294967295EEENS1_25partition_config_selectorILNS1_17partition_subalgoE3EjNS0_10empty_typeEbEEZZNS1_14partition_implILS8_3ELb0ES6_jNS0_17counting_iteratorIjlEEPS9_SE_NS0_5tupleIJPjSE_EEENSF_IJSE_SE_EEES9_SG_JZNS1_25segmented_radix_sort_implINS0_14default_configELb1EPKlPlSM_SN_N2at6native12_GLOBAL__N_18offset_tEEE10hipError_tPvRmT1_PNSt15iterator_traitsISV_E10value_typeET2_T3_PNSW_IS11_E10value_typeET4_jRbjT5_S17_jjP12ihipStream_tbEUljE_EEESS_ST_SU_S11_S15_S17_T6_T7_T9_mT8_S19_bDpT10_ENKUlT_T0_E_clISt17integral_constantIbLb1EES1M_EEDaS1H_S1I_EUlS1H_E_NS1_11comp_targetILNS1_3genE8ELNS1_11target_archE1030ELNS1_3gpuE2ELNS1_3repE0EEENS1_30default_config_static_selectorELNS0_4arch9wavefront6targetE1EEEvSV_.num_agpr, 0
	.set _ZN7rocprim17ROCPRIM_400000_NS6detail17trampoline_kernelINS0_13select_configILj256ELj13ELNS0_17block_load_methodE3ELS4_3ELS4_3ELNS0_20block_scan_algorithmE0ELj4294967295EEENS1_25partition_config_selectorILNS1_17partition_subalgoE3EjNS0_10empty_typeEbEEZZNS1_14partition_implILS8_3ELb0ES6_jNS0_17counting_iteratorIjlEEPS9_SE_NS0_5tupleIJPjSE_EEENSF_IJSE_SE_EEES9_SG_JZNS1_25segmented_radix_sort_implINS0_14default_configELb1EPKlPlSM_SN_N2at6native12_GLOBAL__N_18offset_tEEE10hipError_tPvRmT1_PNSt15iterator_traitsISV_E10value_typeET2_T3_PNSW_IS11_E10value_typeET4_jRbjT5_S17_jjP12ihipStream_tbEUljE_EEESS_ST_SU_S11_S15_S17_T6_T7_T9_mT8_S19_bDpT10_ENKUlT_T0_E_clISt17integral_constantIbLb1EES1M_EEDaS1H_S1I_EUlS1H_E_NS1_11comp_targetILNS1_3genE8ELNS1_11target_archE1030ELNS1_3gpuE2ELNS1_3repE0EEENS1_30default_config_static_selectorELNS0_4arch9wavefront6targetE1EEEvSV_.numbered_sgpr, 0
	.set _ZN7rocprim17ROCPRIM_400000_NS6detail17trampoline_kernelINS0_13select_configILj256ELj13ELNS0_17block_load_methodE3ELS4_3ELS4_3ELNS0_20block_scan_algorithmE0ELj4294967295EEENS1_25partition_config_selectorILNS1_17partition_subalgoE3EjNS0_10empty_typeEbEEZZNS1_14partition_implILS8_3ELb0ES6_jNS0_17counting_iteratorIjlEEPS9_SE_NS0_5tupleIJPjSE_EEENSF_IJSE_SE_EEES9_SG_JZNS1_25segmented_radix_sort_implINS0_14default_configELb1EPKlPlSM_SN_N2at6native12_GLOBAL__N_18offset_tEEE10hipError_tPvRmT1_PNSt15iterator_traitsISV_E10value_typeET2_T3_PNSW_IS11_E10value_typeET4_jRbjT5_S17_jjP12ihipStream_tbEUljE_EEESS_ST_SU_S11_S15_S17_T6_T7_T9_mT8_S19_bDpT10_ENKUlT_T0_E_clISt17integral_constantIbLb1EES1M_EEDaS1H_S1I_EUlS1H_E_NS1_11comp_targetILNS1_3genE8ELNS1_11target_archE1030ELNS1_3gpuE2ELNS1_3repE0EEENS1_30default_config_static_selectorELNS0_4arch9wavefront6targetE1EEEvSV_.num_named_barrier, 0
	.set _ZN7rocprim17ROCPRIM_400000_NS6detail17trampoline_kernelINS0_13select_configILj256ELj13ELNS0_17block_load_methodE3ELS4_3ELS4_3ELNS0_20block_scan_algorithmE0ELj4294967295EEENS1_25partition_config_selectorILNS1_17partition_subalgoE3EjNS0_10empty_typeEbEEZZNS1_14partition_implILS8_3ELb0ES6_jNS0_17counting_iteratorIjlEEPS9_SE_NS0_5tupleIJPjSE_EEENSF_IJSE_SE_EEES9_SG_JZNS1_25segmented_radix_sort_implINS0_14default_configELb1EPKlPlSM_SN_N2at6native12_GLOBAL__N_18offset_tEEE10hipError_tPvRmT1_PNSt15iterator_traitsISV_E10value_typeET2_T3_PNSW_IS11_E10value_typeET4_jRbjT5_S17_jjP12ihipStream_tbEUljE_EEESS_ST_SU_S11_S15_S17_T6_T7_T9_mT8_S19_bDpT10_ENKUlT_T0_E_clISt17integral_constantIbLb1EES1M_EEDaS1H_S1I_EUlS1H_E_NS1_11comp_targetILNS1_3genE8ELNS1_11target_archE1030ELNS1_3gpuE2ELNS1_3repE0EEENS1_30default_config_static_selectorELNS0_4arch9wavefront6targetE1EEEvSV_.private_seg_size, 0
	.set _ZN7rocprim17ROCPRIM_400000_NS6detail17trampoline_kernelINS0_13select_configILj256ELj13ELNS0_17block_load_methodE3ELS4_3ELS4_3ELNS0_20block_scan_algorithmE0ELj4294967295EEENS1_25partition_config_selectorILNS1_17partition_subalgoE3EjNS0_10empty_typeEbEEZZNS1_14partition_implILS8_3ELb0ES6_jNS0_17counting_iteratorIjlEEPS9_SE_NS0_5tupleIJPjSE_EEENSF_IJSE_SE_EEES9_SG_JZNS1_25segmented_radix_sort_implINS0_14default_configELb1EPKlPlSM_SN_N2at6native12_GLOBAL__N_18offset_tEEE10hipError_tPvRmT1_PNSt15iterator_traitsISV_E10value_typeET2_T3_PNSW_IS11_E10value_typeET4_jRbjT5_S17_jjP12ihipStream_tbEUljE_EEESS_ST_SU_S11_S15_S17_T6_T7_T9_mT8_S19_bDpT10_ENKUlT_T0_E_clISt17integral_constantIbLb1EES1M_EEDaS1H_S1I_EUlS1H_E_NS1_11comp_targetILNS1_3genE8ELNS1_11target_archE1030ELNS1_3gpuE2ELNS1_3repE0EEENS1_30default_config_static_selectorELNS0_4arch9wavefront6targetE1EEEvSV_.uses_vcc, 0
	.set _ZN7rocprim17ROCPRIM_400000_NS6detail17trampoline_kernelINS0_13select_configILj256ELj13ELNS0_17block_load_methodE3ELS4_3ELS4_3ELNS0_20block_scan_algorithmE0ELj4294967295EEENS1_25partition_config_selectorILNS1_17partition_subalgoE3EjNS0_10empty_typeEbEEZZNS1_14partition_implILS8_3ELb0ES6_jNS0_17counting_iteratorIjlEEPS9_SE_NS0_5tupleIJPjSE_EEENSF_IJSE_SE_EEES9_SG_JZNS1_25segmented_radix_sort_implINS0_14default_configELb1EPKlPlSM_SN_N2at6native12_GLOBAL__N_18offset_tEEE10hipError_tPvRmT1_PNSt15iterator_traitsISV_E10value_typeET2_T3_PNSW_IS11_E10value_typeET4_jRbjT5_S17_jjP12ihipStream_tbEUljE_EEESS_ST_SU_S11_S15_S17_T6_T7_T9_mT8_S19_bDpT10_ENKUlT_T0_E_clISt17integral_constantIbLb1EES1M_EEDaS1H_S1I_EUlS1H_E_NS1_11comp_targetILNS1_3genE8ELNS1_11target_archE1030ELNS1_3gpuE2ELNS1_3repE0EEENS1_30default_config_static_selectorELNS0_4arch9wavefront6targetE1EEEvSV_.uses_flat_scratch, 0
	.set _ZN7rocprim17ROCPRIM_400000_NS6detail17trampoline_kernelINS0_13select_configILj256ELj13ELNS0_17block_load_methodE3ELS4_3ELS4_3ELNS0_20block_scan_algorithmE0ELj4294967295EEENS1_25partition_config_selectorILNS1_17partition_subalgoE3EjNS0_10empty_typeEbEEZZNS1_14partition_implILS8_3ELb0ES6_jNS0_17counting_iteratorIjlEEPS9_SE_NS0_5tupleIJPjSE_EEENSF_IJSE_SE_EEES9_SG_JZNS1_25segmented_radix_sort_implINS0_14default_configELb1EPKlPlSM_SN_N2at6native12_GLOBAL__N_18offset_tEEE10hipError_tPvRmT1_PNSt15iterator_traitsISV_E10value_typeET2_T3_PNSW_IS11_E10value_typeET4_jRbjT5_S17_jjP12ihipStream_tbEUljE_EEESS_ST_SU_S11_S15_S17_T6_T7_T9_mT8_S19_bDpT10_ENKUlT_T0_E_clISt17integral_constantIbLb1EES1M_EEDaS1H_S1I_EUlS1H_E_NS1_11comp_targetILNS1_3genE8ELNS1_11target_archE1030ELNS1_3gpuE2ELNS1_3repE0EEENS1_30default_config_static_selectorELNS0_4arch9wavefront6targetE1EEEvSV_.has_dyn_sized_stack, 0
	.set _ZN7rocprim17ROCPRIM_400000_NS6detail17trampoline_kernelINS0_13select_configILj256ELj13ELNS0_17block_load_methodE3ELS4_3ELS4_3ELNS0_20block_scan_algorithmE0ELj4294967295EEENS1_25partition_config_selectorILNS1_17partition_subalgoE3EjNS0_10empty_typeEbEEZZNS1_14partition_implILS8_3ELb0ES6_jNS0_17counting_iteratorIjlEEPS9_SE_NS0_5tupleIJPjSE_EEENSF_IJSE_SE_EEES9_SG_JZNS1_25segmented_radix_sort_implINS0_14default_configELb1EPKlPlSM_SN_N2at6native12_GLOBAL__N_18offset_tEEE10hipError_tPvRmT1_PNSt15iterator_traitsISV_E10value_typeET2_T3_PNSW_IS11_E10value_typeET4_jRbjT5_S17_jjP12ihipStream_tbEUljE_EEESS_ST_SU_S11_S15_S17_T6_T7_T9_mT8_S19_bDpT10_ENKUlT_T0_E_clISt17integral_constantIbLb1EES1M_EEDaS1H_S1I_EUlS1H_E_NS1_11comp_targetILNS1_3genE8ELNS1_11target_archE1030ELNS1_3gpuE2ELNS1_3repE0EEENS1_30default_config_static_selectorELNS0_4arch9wavefront6targetE1EEEvSV_.has_recursion, 0
	.set _ZN7rocprim17ROCPRIM_400000_NS6detail17trampoline_kernelINS0_13select_configILj256ELj13ELNS0_17block_load_methodE3ELS4_3ELS4_3ELNS0_20block_scan_algorithmE0ELj4294967295EEENS1_25partition_config_selectorILNS1_17partition_subalgoE3EjNS0_10empty_typeEbEEZZNS1_14partition_implILS8_3ELb0ES6_jNS0_17counting_iteratorIjlEEPS9_SE_NS0_5tupleIJPjSE_EEENSF_IJSE_SE_EEES9_SG_JZNS1_25segmented_radix_sort_implINS0_14default_configELb1EPKlPlSM_SN_N2at6native12_GLOBAL__N_18offset_tEEE10hipError_tPvRmT1_PNSt15iterator_traitsISV_E10value_typeET2_T3_PNSW_IS11_E10value_typeET4_jRbjT5_S17_jjP12ihipStream_tbEUljE_EEESS_ST_SU_S11_S15_S17_T6_T7_T9_mT8_S19_bDpT10_ENKUlT_T0_E_clISt17integral_constantIbLb1EES1M_EEDaS1H_S1I_EUlS1H_E_NS1_11comp_targetILNS1_3genE8ELNS1_11target_archE1030ELNS1_3gpuE2ELNS1_3repE0EEENS1_30default_config_static_selectorELNS0_4arch9wavefront6targetE1EEEvSV_.has_indirect_call, 0
	.section	.AMDGPU.csdata,"",@progbits
; Kernel info:
; codeLenInByte = 0
; TotalNumSgprs: 4
; NumVgprs: 0
; ScratchSize: 0
; MemoryBound: 0
; FloatMode: 240
; IeeeMode: 1
; LDSByteSize: 0 bytes/workgroup (compile time only)
; SGPRBlocks: 0
; VGPRBlocks: 0
; NumSGPRsForWavesPerEU: 4
; NumVGPRsForWavesPerEU: 1
; Occupancy: 10
; WaveLimiterHint : 0
; COMPUTE_PGM_RSRC2:SCRATCH_EN: 0
; COMPUTE_PGM_RSRC2:USER_SGPR: 6
; COMPUTE_PGM_RSRC2:TRAP_HANDLER: 0
; COMPUTE_PGM_RSRC2:TGID_X_EN: 1
; COMPUTE_PGM_RSRC2:TGID_Y_EN: 0
; COMPUTE_PGM_RSRC2:TGID_Z_EN: 0
; COMPUTE_PGM_RSRC2:TIDIG_COMP_CNT: 0
	.section	.text._ZN7rocprim17ROCPRIM_400000_NS6detail17trampoline_kernelINS0_13select_configILj256ELj13ELNS0_17block_load_methodE3ELS4_3ELS4_3ELNS0_20block_scan_algorithmE0ELj4294967295EEENS1_25partition_config_selectorILNS1_17partition_subalgoE3EjNS0_10empty_typeEbEEZZNS1_14partition_implILS8_3ELb0ES6_jNS0_17counting_iteratorIjlEEPS9_SE_NS0_5tupleIJPjSE_EEENSF_IJSE_SE_EEES9_SG_JZNS1_25segmented_radix_sort_implINS0_14default_configELb1EPKlPlSM_SN_N2at6native12_GLOBAL__N_18offset_tEEE10hipError_tPvRmT1_PNSt15iterator_traitsISV_E10value_typeET2_T3_PNSW_IS11_E10value_typeET4_jRbjT5_S17_jjP12ihipStream_tbEUljE_EEESS_ST_SU_S11_S15_S17_T6_T7_T9_mT8_S19_bDpT10_ENKUlT_T0_E_clISt17integral_constantIbLb1EES1L_IbLb0EEEEDaS1H_S1I_EUlS1H_E_NS1_11comp_targetILNS1_3genE0ELNS1_11target_archE4294967295ELNS1_3gpuE0ELNS1_3repE0EEENS1_30default_config_static_selectorELNS0_4arch9wavefront6targetE1EEEvSV_,"axG",@progbits,_ZN7rocprim17ROCPRIM_400000_NS6detail17trampoline_kernelINS0_13select_configILj256ELj13ELNS0_17block_load_methodE3ELS4_3ELS4_3ELNS0_20block_scan_algorithmE0ELj4294967295EEENS1_25partition_config_selectorILNS1_17partition_subalgoE3EjNS0_10empty_typeEbEEZZNS1_14partition_implILS8_3ELb0ES6_jNS0_17counting_iteratorIjlEEPS9_SE_NS0_5tupleIJPjSE_EEENSF_IJSE_SE_EEES9_SG_JZNS1_25segmented_radix_sort_implINS0_14default_configELb1EPKlPlSM_SN_N2at6native12_GLOBAL__N_18offset_tEEE10hipError_tPvRmT1_PNSt15iterator_traitsISV_E10value_typeET2_T3_PNSW_IS11_E10value_typeET4_jRbjT5_S17_jjP12ihipStream_tbEUljE_EEESS_ST_SU_S11_S15_S17_T6_T7_T9_mT8_S19_bDpT10_ENKUlT_T0_E_clISt17integral_constantIbLb1EES1L_IbLb0EEEEDaS1H_S1I_EUlS1H_E_NS1_11comp_targetILNS1_3genE0ELNS1_11target_archE4294967295ELNS1_3gpuE0ELNS1_3repE0EEENS1_30default_config_static_selectorELNS0_4arch9wavefront6targetE1EEEvSV_,comdat
	.globl	_ZN7rocprim17ROCPRIM_400000_NS6detail17trampoline_kernelINS0_13select_configILj256ELj13ELNS0_17block_load_methodE3ELS4_3ELS4_3ELNS0_20block_scan_algorithmE0ELj4294967295EEENS1_25partition_config_selectorILNS1_17partition_subalgoE3EjNS0_10empty_typeEbEEZZNS1_14partition_implILS8_3ELb0ES6_jNS0_17counting_iteratorIjlEEPS9_SE_NS0_5tupleIJPjSE_EEENSF_IJSE_SE_EEES9_SG_JZNS1_25segmented_radix_sort_implINS0_14default_configELb1EPKlPlSM_SN_N2at6native12_GLOBAL__N_18offset_tEEE10hipError_tPvRmT1_PNSt15iterator_traitsISV_E10value_typeET2_T3_PNSW_IS11_E10value_typeET4_jRbjT5_S17_jjP12ihipStream_tbEUljE_EEESS_ST_SU_S11_S15_S17_T6_T7_T9_mT8_S19_bDpT10_ENKUlT_T0_E_clISt17integral_constantIbLb1EES1L_IbLb0EEEEDaS1H_S1I_EUlS1H_E_NS1_11comp_targetILNS1_3genE0ELNS1_11target_archE4294967295ELNS1_3gpuE0ELNS1_3repE0EEENS1_30default_config_static_selectorELNS0_4arch9wavefront6targetE1EEEvSV_ ; -- Begin function _ZN7rocprim17ROCPRIM_400000_NS6detail17trampoline_kernelINS0_13select_configILj256ELj13ELNS0_17block_load_methodE3ELS4_3ELS4_3ELNS0_20block_scan_algorithmE0ELj4294967295EEENS1_25partition_config_selectorILNS1_17partition_subalgoE3EjNS0_10empty_typeEbEEZZNS1_14partition_implILS8_3ELb0ES6_jNS0_17counting_iteratorIjlEEPS9_SE_NS0_5tupleIJPjSE_EEENSF_IJSE_SE_EEES9_SG_JZNS1_25segmented_radix_sort_implINS0_14default_configELb1EPKlPlSM_SN_N2at6native12_GLOBAL__N_18offset_tEEE10hipError_tPvRmT1_PNSt15iterator_traitsISV_E10value_typeET2_T3_PNSW_IS11_E10value_typeET4_jRbjT5_S17_jjP12ihipStream_tbEUljE_EEESS_ST_SU_S11_S15_S17_T6_T7_T9_mT8_S19_bDpT10_ENKUlT_T0_E_clISt17integral_constantIbLb1EES1L_IbLb0EEEEDaS1H_S1I_EUlS1H_E_NS1_11comp_targetILNS1_3genE0ELNS1_11target_archE4294967295ELNS1_3gpuE0ELNS1_3repE0EEENS1_30default_config_static_selectorELNS0_4arch9wavefront6targetE1EEEvSV_
	.p2align	8
	.type	_ZN7rocprim17ROCPRIM_400000_NS6detail17trampoline_kernelINS0_13select_configILj256ELj13ELNS0_17block_load_methodE3ELS4_3ELS4_3ELNS0_20block_scan_algorithmE0ELj4294967295EEENS1_25partition_config_selectorILNS1_17partition_subalgoE3EjNS0_10empty_typeEbEEZZNS1_14partition_implILS8_3ELb0ES6_jNS0_17counting_iteratorIjlEEPS9_SE_NS0_5tupleIJPjSE_EEENSF_IJSE_SE_EEES9_SG_JZNS1_25segmented_radix_sort_implINS0_14default_configELb1EPKlPlSM_SN_N2at6native12_GLOBAL__N_18offset_tEEE10hipError_tPvRmT1_PNSt15iterator_traitsISV_E10value_typeET2_T3_PNSW_IS11_E10value_typeET4_jRbjT5_S17_jjP12ihipStream_tbEUljE_EEESS_ST_SU_S11_S15_S17_T6_T7_T9_mT8_S19_bDpT10_ENKUlT_T0_E_clISt17integral_constantIbLb1EES1L_IbLb0EEEEDaS1H_S1I_EUlS1H_E_NS1_11comp_targetILNS1_3genE0ELNS1_11target_archE4294967295ELNS1_3gpuE0ELNS1_3repE0EEENS1_30default_config_static_selectorELNS0_4arch9wavefront6targetE1EEEvSV_,@function
_ZN7rocprim17ROCPRIM_400000_NS6detail17trampoline_kernelINS0_13select_configILj256ELj13ELNS0_17block_load_methodE3ELS4_3ELS4_3ELNS0_20block_scan_algorithmE0ELj4294967295EEENS1_25partition_config_selectorILNS1_17partition_subalgoE3EjNS0_10empty_typeEbEEZZNS1_14partition_implILS8_3ELb0ES6_jNS0_17counting_iteratorIjlEEPS9_SE_NS0_5tupleIJPjSE_EEENSF_IJSE_SE_EEES9_SG_JZNS1_25segmented_radix_sort_implINS0_14default_configELb1EPKlPlSM_SN_N2at6native12_GLOBAL__N_18offset_tEEE10hipError_tPvRmT1_PNSt15iterator_traitsISV_E10value_typeET2_T3_PNSW_IS11_E10value_typeET4_jRbjT5_S17_jjP12ihipStream_tbEUljE_EEESS_ST_SU_S11_S15_S17_T6_T7_T9_mT8_S19_bDpT10_ENKUlT_T0_E_clISt17integral_constantIbLb1EES1L_IbLb0EEEEDaS1H_S1I_EUlS1H_E_NS1_11comp_targetILNS1_3genE0ELNS1_11target_archE4294967295ELNS1_3gpuE0ELNS1_3repE0EEENS1_30default_config_static_selectorELNS0_4arch9wavefront6targetE1EEEvSV_: ; @_ZN7rocprim17ROCPRIM_400000_NS6detail17trampoline_kernelINS0_13select_configILj256ELj13ELNS0_17block_load_methodE3ELS4_3ELS4_3ELNS0_20block_scan_algorithmE0ELj4294967295EEENS1_25partition_config_selectorILNS1_17partition_subalgoE3EjNS0_10empty_typeEbEEZZNS1_14partition_implILS8_3ELb0ES6_jNS0_17counting_iteratorIjlEEPS9_SE_NS0_5tupleIJPjSE_EEENSF_IJSE_SE_EEES9_SG_JZNS1_25segmented_radix_sort_implINS0_14default_configELb1EPKlPlSM_SN_N2at6native12_GLOBAL__N_18offset_tEEE10hipError_tPvRmT1_PNSt15iterator_traitsISV_E10value_typeET2_T3_PNSW_IS11_E10value_typeET4_jRbjT5_S17_jjP12ihipStream_tbEUljE_EEESS_ST_SU_S11_S15_S17_T6_T7_T9_mT8_S19_bDpT10_ENKUlT_T0_E_clISt17integral_constantIbLb1EES1L_IbLb0EEEEDaS1H_S1I_EUlS1H_E_NS1_11comp_targetILNS1_3genE0ELNS1_11target_archE4294967295ELNS1_3gpuE0ELNS1_3repE0EEENS1_30default_config_static_selectorELNS0_4arch9wavefront6targetE1EEEvSV_
; %bb.0:
	.section	.rodata,"a",@progbits
	.p2align	6, 0x0
	.amdhsa_kernel _ZN7rocprim17ROCPRIM_400000_NS6detail17trampoline_kernelINS0_13select_configILj256ELj13ELNS0_17block_load_methodE3ELS4_3ELS4_3ELNS0_20block_scan_algorithmE0ELj4294967295EEENS1_25partition_config_selectorILNS1_17partition_subalgoE3EjNS0_10empty_typeEbEEZZNS1_14partition_implILS8_3ELb0ES6_jNS0_17counting_iteratorIjlEEPS9_SE_NS0_5tupleIJPjSE_EEENSF_IJSE_SE_EEES9_SG_JZNS1_25segmented_radix_sort_implINS0_14default_configELb1EPKlPlSM_SN_N2at6native12_GLOBAL__N_18offset_tEEE10hipError_tPvRmT1_PNSt15iterator_traitsISV_E10value_typeET2_T3_PNSW_IS11_E10value_typeET4_jRbjT5_S17_jjP12ihipStream_tbEUljE_EEESS_ST_SU_S11_S15_S17_T6_T7_T9_mT8_S19_bDpT10_ENKUlT_T0_E_clISt17integral_constantIbLb1EES1L_IbLb0EEEEDaS1H_S1I_EUlS1H_E_NS1_11comp_targetILNS1_3genE0ELNS1_11target_archE4294967295ELNS1_3gpuE0ELNS1_3repE0EEENS1_30default_config_static_selectorELNS0_4arch9wavefront6targetE1EEEvSV_
		.amdhsa_group_segment_fixed_size 0
		.amdhsa_private_segment_fixed_size 0
		.amdhsa_kernarg_size 144
		.amdhsa_user_sgpr_count 6
		.amdhsa_user_sgpr_private_segment_buffer 1
		.amdhsa_user_sgpr_dispatch_ptr 0
		.amdhsa_user_sgpr_queue_ptr 0
		.amdhsa_user_sgpr_kernarg_segment_ptr 1
		.amdhsa_user_sgpr_dispatch_id 0
		.amdhsa_user_sgpr_flat_scratch_init 0
		.amdhsa_user_sgpr_private_segment_size 0
		.amdhsa_uses_dynamic_stack 0
		.amdhsa_system_sgpr_private_segment_wavefront_offset 0
		.amdhsa_system_sgpr_workgroup_id_x 1
		.amdhsa_system_sgpr_workgroup_id_y 0
		.amdhsa_system_sgpr_workgroup_id_z 0
		.amdhsa_system_sgpr_workgroup_info 0
		.amdhsa_system_vgpr_workitem_id 0
		.amdhsa_next_free_vgpr 1
		.amdhsa_next_free_sgpr 0
		.amdhsa_reserve_vcc 0
		.amdhsa_reserve_flat_scratch 0
		.amdhsa_float_round_mode_32 0
		.amdhsa_float_round_mode_16_64 0
		.amdhsa_float_denorm_mode_32 3
		.amdhsa_float_denorm_mode_16_64 3
		.amdhsa_dx10_clamp 1
		.amdhsa_ieee_mode 1
		.amdhsa_fp16_overflow 0
		.amdhsa_exception_fp_ieee_invalid_op 0
		.amdhsa_exception_fp_denorm_src 0
		.amdhsa_exception_fp_ieee_div_zero 0
		.amdhsa_exception_fp_ieee_overflow 0
		.amdhsa_exception_fp_ieee_underflow 0
		.amdhsa_exception_fp_ieee_inexact 0
		.amdhsa_exception_int_div_zero 0
	.end_amdhsa_kernel
	.section	.text._ZN7rocprim17ROCPRIM_400000_NS6detail17trampoline_kernelINS0_13select_configILj256ELj13ELNS0_17block_load_methodE3ELS4_3ELS4_3ELNS0_20block_scan_algorithmE0ELj4294967295EEENS1_25partition_config_selectorILNS1_17partition_subalgoE3EjNS0_10empty_typeEbEEZZNS1_14partition_implILS8_3ELb0ES6_jNS0_17counting_iteratorIjlEEPS9_SE_NS0_5tupleIJPjSE_EEENSF_IJSE_SE_EEES9_SG_JZNS1_25segmented_radix_sort_implINS0_14default_configELb1EPKlPlSM_SN_N2at6native12_GLOBAL__N_18offset_tEEE10hipError_tPvRmT1_PNSt15iterator_traitsISV_E10value_typeET2_T3_PNSW_IS11_E10value_typeET4_jRbjT5_S17_jjP12ihipStream_tbEUljE_EEESS_ST_SU_S11_S15_S17_T6_T7_T9_mT8_S19_bDpT10_ENKUlT_T0_E_clISt17integral_constantIbLb1EES1L_IbLb0EEEEDaS1H_S1I_EUlS1H_E_NS1_11comp_targetILNS1_3genE0ELNS1_11target_archE4294967295ELNS1_3gpuE0ELNS1_3repE0EEENS1_30default_config_static_selectorELNS0_4arch9wavefront6targetE1EEEvSV_,"axG",@progbits,_ZN7rocprim17ROCPRIM_400000_NS6detail17trampoline_kernelINS0_13select_configILj256ELj13ELNS0_17block_load_methodE3ELS4_3ELS4_3ELNS0_20block_scan_algorithmE0ELj4294967295EEENS1_25partition_config_selectorILNS1_17partition_subalgoE3EjNS0_10empty_typeEbEEZZNS1_14partition_implILS8_3ELb0ES6_jNS0_17counting_iteratorIjlEEPS9_SE_NS0_5tupleIJPjSE_EEENSF_IJSE_SE_EEES9_SG_JZNS1_25segmented_radix_sort_implINS0_14default_configELb1EPKlPlSM_SN_N2at6native12_GLOBAL__N_18offset_tEEE10hipError_tPvRmT1_PNSt15iterator_traitsISV_E10value_typeET2_T3_PNSW_IS11_E10value_typeET4_jRbjT5_S17_jjP12ihipStream_tbEUljE_EEESS_ST_SU_S11_S15_S17_T6_T7_T9_mT8_S19_bDpT10_ENKUlT_T0_E_clISt17integral_constantIbLb1EES1L_IbLb0EEEEDaS1H_S1I_EUlS1H_E_NS1_11comp_targetILNS1_3genE0ELNS1_11target_archE4294967295ELNS1_3gpuE0ELNS1_3repE0EEENS1_30default_config_static_selectorELNS0_4arch9wavefront6targetE1EEEvSV_,comdat
.Lfunc_end688:
	.size	_ZN7rocprim17ROCPRIM_400000_NS6detail17trampoline_kernelINS0_13select_configILj256ELj13ELNS0_17block_load_methodE3ELS4_3ELS4_3ELNS0_20block_scan_algorithmE0ELj4294967295EEENS1_25partition_config_selectorILNS1_17partition_subalgoE3EjNS0_10empty_typeEbEEZZNS1_14partition_implILS8_3ELb0ES6_jNS0_17counting_iteratorIjlEEPS9_SE_NS0_5tupleIJPjSE_EEENSF_IJSE_SE_EEES9_SG_JZNS1_25segmented_radix_sort_implINS0_14default_configELb1EPKlPlSM_SN_N2at6native12_GLOBAL__N_18offset_tEEE10hipError_tPvRmT1_PNSt15iterator_traitsISV_E10value_typeET2_T3_PNSW_IS11_E10value_typeET4_jRbjT5_S17_jjP12ihipStream_tbEUljE_EEESS_ST_SU_S11_S15_S17_T6_T7_T9_mT8_S19_bDpT10_ENKUlT_T0_E_clISt17integral_constantIbLb1EES1L_IbLb0EEEEDaS1H_S1I_EUlS1H_E_NS1_11comp_targetILNS1_3genE0ELNS1_11target_archE4294967295ELNS1_3gpuE0ELNS1_3repE0EEENS1_30default_config_static_selectorELNS0_4arch9wavefront6targetE1EEEvSV_, .Lfunc_end688-_ZN7rocprim17ROCPRIM_400000_NS6detail17trampoline_kernelINS0_13select_configILj256ELj13ELNS0_17block_load_methodE3ELS4_3ELS4_3ELNS0_20block_scan_algorithmE0ELj4294967295EEENS1_25partition_config_selectorILNS1_17partition_subalgoE3EjNS0_10empty_typeEbEEZZNS1_14partition_implILS8_3ELb0ES6_jNS0_17counting_iteratorIjlEEPS9_SE_NS0_5tupleIJPjSE_EEENSF_IJSE_SE_EEES9_SG_JZNS1_25segmented_radix_sort_implINS0_14default_configELb1EPKlPlSM_SN_N2at6native12_GLOBAL__N_18offset_tEEE10hipError_tPvRmT1_PNSt15iterator_traitsISV_E10value_typeET2_T3_PNSW_IS11_E10value_typeET4_jRbjT5_S17_jjP12ihipStream_tbEUljE_EEESS_ST_SU_S11_S15_S17_T6_T7_T9_mT8_S19_bDpT10_ENKUlT_T0_E_clISt17integral_constantIbLb1EES1L_IbLb0EEEEDaS1H_S1I_EUlS1H_E_NS1_11comp_targetILNS1_3genE0ELNS1_11target_archE4294967295ELNS1_3gpuE0ELNS1_3repE0EEENS1_30default_config_static_selectorELNS0_4arch9wavefront6targetE1EEEvSV_
                                        ; -- End function
	.set _ZN7rocprim17ROCPRIM_400000_NS6detail17trampoline_kernelINS0_13select_configILj256ELj13ELNS0_17block_load_methodE3ELS4_3ELS4_3ELNS0_20block_scan_algorithmE0ELj4294967295EEENS1_25partition_config_selectorILNS1_17partition_subalgoE3EjNS0_10empty_typeEbEEZZNS1_14partition_implILS8_3ELb0ES6_jNS0_17counting_iteratorIjlEEPS9_SE_NS0_5tupleIJPjSE_EEENSF_IJSE_SE_EEES9_SG_JZNS1_25segmented_radix_sort_implINS0_14default_configELb1EPKlPlSM_SN_N2at6native12_GLOBAL__N_18offset_tEEE10hipError_tPvRmT1_PNSt15iterator_traitsISV_E10value_typeET2_T3_PNSW_IS11_E10value_typeET4_jRbjT5_S17_jjP12ihipStream_tbEUljE_EEESS_ST_SU_S11_S15_S17_T6_T7_T9_mT8_S19_bDpT10_ENKUlT_T0_E_clISt17integral_constantIbLb1EES1L_IbLb0EEEEDaS1H_S1I_EUlS1H_E_NS1_11comp_targetILNS1_3genE0ELNS1_11target_archE4294967295ELNS1_3gpuE0ELNS1_3repE0EEENS1_30default_config_static_selectorELNS0_4arch9wavefront6targetE1EEEvSV_.num_vgpr, 0
	.set _ZN7rocprim17ROCPRIM_400000_NS6detail17trampoline_kernelINS0_13select_configILj256ELj13ELNS0_17block_load_methodE3ELS4_3ELS4_3ELNS0_20block_scan_algorithmE0ELj4294967295EEENS1_25partition_config_selectorILNS1_17partition_subalgoE3EjNS0_10empty_typeEbEEZZNS1_14partition_implILS8_3ELb0ES6_jNS0_17counting_iteratorIjlEEPS9_SE_NS0_5tupleIJPjSE_EEENSF_IJSE_SE_EEES9_SG_JZNS1_25segmented_radix_sort_implINS0_14default_configELb1EPKlPlSM_SN_N2at6native12_GLOBAL__N_18offset_tEEE10hipError_tPvRmT1_PNSt15iterator_traitsISV_E10value_typeET2_T3_PNSW_IS11_E10value_typeET4_jRbjT5_S17_jjP12ihipStream_tbEUljE_EEESS_ST_SU_S11_S15_S17_T6_T7_T9_mT8_S19_bDpT10_ENKUlT_T0_E_clISt17integral_constantIbLb1EES1L_IbLb0EEEEDaS1H_S1I_EUlS1H_E_NS1_11comp_targetILNS1_3genE0ELNS1_11target_archE4294967295ELNS1_3gpuE0ELNS1_3repE0EEENS1_30default_config_static_selectorELNS0_4arch9wavefront6targetE1EEEvSV_.num_agpr, 0
	.set _ZN7rocprim17ROCPRIM_400000_NS6detail17trampoline_kernelINS0_13select_configILj256ELj13ELNS0_17block_load_methodE3ELS4_3ELS4_3ELNS0_20block_scan_algorithmE0ELj4294967295EEENS1_25partition_config_selectorILNS1_17partition_subalgoE3EjNS0_10empty_typeEbEEZZNS1_14partition_implILS8_3ELb0ES6_jNS0_17counting_iteratorIjlEEPS9_SE_NS0_5tupleIJPjSE_EEENSF_IJSE_SE_EEES9_SG_JZNS1_25segmented_radix_sort_implINS0_14default_configELb1EPKlPlSM_SN_N2at6native12_GLOBAL__N_18offset_tEEE10hipError_tPvRmT1_PNSt15iterator_traitsISV_E10value_typeET2_T3_PNSW_IS11_E10value_typeET4_jRbjT5_S17_jjP12ihipStream_tbEUljE_EEESS_ST_SU_S11_S15_S17_T6_T7_T9_mT8_S19_bDpT10_ENKUlT_T0_E_clISt17integral_constantIbLb1EES1L_IbLb0EEEEDaS1H_S1I_EUlS1H_E_NS1_11comp_targetILNS1_3genE0ELNS1_11target_archE4294967295ELNS1_3gpuE0ELNS1_3repE0EEENS1_30default_config_static_selectorELNS0_4arch9wavefront6targetE1EEEvSV_.numbered_sgpr, 0
	.set _ZN7rocprim17ROCPRIM_400000_NS6detail17trampoline_kernelINS0_13select_configILj256ELj13ELNS0_17block_load_methodE3ELS4_3ELS4_3ELNS0_20block_scan_algorithmE0ELj4294967295EEENS1_25partition_config_selectorILNS1_17partition_subalgoE3EjNS0_10empty_typeEbEEZZNS1_14partition_implILS8_3ELb0ES6_jNS0_17counting_iteratorIjlEEPS9_SE_NS0_5tupleIJPjSE_EEENSF_IJSE_SE_EEES9_SG_JZNS1_25segmented_radix_sort_implINS0_14default_configELb1EPKlPlSM_SN_N2at6native12_GLOBAL__N_18offset_tEEE10hipError_tPvRmT1_PNSt15iterator_traitsISV_E10value_typeET2_T3_PNSW_IS11_E10value_typeET4_jRbjT5_S17_jjP12ihipStream_tbEUljE_EEESS_ST_SU_S11_S15_S17_T6_T7_T9_mT8_S19_bDpT10_ENKUlT_T0_E_clISt17integral_constantIbLb1EES1L_IbLb0EEEEDaS1H_S1I_EUlS1H_E_NS1_11comp_targetILNS1_3genE0ELNS1_11target_archE4294967295ELNS1_3gpuE0ELNS1_3repE0EEENS1_30default_config_static_selectorELNS0_4arch9wavefront6targetE1EEEvSV_.num_named_barrier, 0
	.set _ZN7rocprim17ROCPRIM_400000_NS6detail17trampoline_kernelINS0_13select_configILj256ELj13ELNS0_17block_load_methodE3ELS4_3ELS4_3ELNS0_20block_scan_algorithmE0ELj4294967295EEENS1_25partition_config_selectorILNS1_17partition_subalgoE3EjNS0_10empty_typeEbEEZZNS1_14partition_implILS8_3ELb0ES6_jNS0_17counting_iteratorIjlEEPS9_SE_NS0_5tupleIJPjSE_EEENSF_IJSE_SE_EEES9_SG_JZNS1_25segmented_radix_sort_implINS0_14default_configELb1EPKlPlSM_SN_N2at6native12_GLOBAL__N_18offset_tEEE10hipError_tPvRmT1_PNSt15iterator_traitsISV_E10value_typeET2_T3_PNSW_IS11_E10value_typeET4_jRbjT5_S17_jjP12ihipStream_tbEUljE_EEESS_ST_SU_S11_S15_S17_T6_T7_T9_mT8_S19_bDpT10_ENKUlT_T0_E_clISt17integral_constantIbLb1EES1L_IbLb0EEEEDaS1H_S1I_EUlS1H_E_NS1_11comp_targetILNS1_3genE0ELNS1_11target_archE4294967295ELNS1_3gpuE0ELNS1_3repE0EEENS1_30default_config_static_selectorELNS0_4arch9wavefront6targetE1EEEvSV_.private_seg_size, 0
	.set _ZN7rocprim17ROCPRIM_400000_NS6detail17trampoline_kernelINS0_13select_configILj256ELj13ELNS0_17block_load_methodE3ELS4_3ELS4_3ELNS0_20block_scan_algorithmE0ELj4294967295EEENS1_25partition_config_selectorILNS1_17partition_subalgoE3EjNS0_10empty_typeEbEEZZNS1_14partition_implILS8_3ELb0ES6_jNS0_17counting_iteratorIjlEEPS9_SE_NS0_5tupleIJPjSE_EEENSF_IJSE_SE_EEES9_SG_JZNS1_25segmented_radix_sort_implINS0_14default_configELb1EPKlPlSM_SN_N2at6native12_GLOBAL__N_18offset_tEEE10hipError_tPvRmT1_PNSt15iterator_traitsISV_E10value_typeET2_T3_PNSW_IS11_E10value_typeET4_jRbjT5_S17_jjP12ihipStream_tbEUljE_EEESS_ST_SU_S11_S15_S17_T6_T7_T9_mT8_S19_bDpT10_ENKUlT_T0_E_clISt17integral_constantIbLb1EES1L_IbLb0EEEEDaS1H_S1I_EUlS1H_E_NS1_11comp_targetILNS1_3genE0ELNS1_11target_archE4294967295ELNS1_3gpuE0ELNS1_3repE0EEENS1_30default_config_static_selectorELNS0_4arch9wavefront6targetE1EEEvSV_.uses_vcc, 0
	.set _ZN7rocprim17ROCPRIM_400000_NS6detail17trampoline_kernelINS0_13select_configILj256ELj13ELNS0_17block_load_methodE3ELS4_3ELS4_3ELNS0_20block_scan_algorithmE0ELj4294967295EEENS1_25partition_config_selectorILNS1_17partition_subalgoE3EjNS0_10empty_typeEbEEZZNS1_14partition_implILS8_3ELb0ES6_jNS0_17counting_iteratorIjlEEPS9_SE_NS0_5tupleIJPjSE_EEENSF_IJSE_SE_EEES9_SG_JZNS1_25segmented_radix_sort_implINS0_14default_configELb1EPKlPlSM_SN_N2at6native12_GLOBAL__N_18offset_tEEE10hipError_tPvRmT1_PNSt15iterator_traitsISV_E10value_typeET2_T3_PNSW_IS11_E10value_typeET4_jRbjT5_S17_jjP12ihipStream_tbEUljE_EEESS_ST_SU_S11_S15_S17_T6_T7_T9_mT8_S19_bDpT10_ENKUlT_T0_E_clISt17integral_constantIbLb1EES1L_IbLb0EEEEDaS1H_S1I_EUlS1H_E_NS1_11comp_targetILNS1_3genE0ELNS1_11target_archE4294967295ELNS1_3gpuE0ELNS1_3repE0EEENS1_30default_config_static_selectorELNS0_4arch9wavefront6targetE1EEEvSV_.uses_flat_scratch, 0
	.set _ZN7rocprim17ROCPRIM_400000_NS6detail17trampoline_kernelINS0_13select_configILj256ELj13ELNS0_17block_load_methodE3ELS4_3ELS4_3ELNS0_20block_scan_algorithmE0ELj4294967295EEENS1_25partition_config_selectorILNS1_17partition_subalgoE3EjNS0_10empty_typeEbEEZZNS1_14partition_implILS8_3ELb0ES6_jNS0_17counting_iteratorIjlEEPS9_SE_NS0_5tupleIJPjSE_EEENSF_IJSE_SE_EEES9_SG_JZNS1_25segmented_radix_sort_implINS0_14default_configELb1EPKlPlSM_SN_N2at6native12_GLOBAL__N_18offset_tEEE10hipError_tPvRmT1_PNSt15iterator_traitsISV_E10value_typeET2_T3_PNSW_IS11_E10value_typeET4_jRbjT5_S17_jjP12ihipStream_tbEUljE_EEESS_ST_SU_S11_S15_S17_T6_T7_T9_mT8_S19_bDpT10_ENKUlT_T0_E_clISt17integral_constantIbLb1EES1L_IbLb0EEEEDaS1H_S1I_EUlS1H_E_NS1_11comp_targetILNS1_3genE0ELNS1_11target_archE4294967295ELNS1_3gpuE0ELNS1_3repE0EEENS1_30default_config_static_selectorELNS0_4arch9wavefront6targetE1EEEvSV_.has_dyn_sized_stack, 0
	.set _ZN7rocprim17ROCPRIM_400000_NS6detail17trampoline_kernelINS0_13select_configILj256ELj13ELNS0_17block_load_methodE3ELS4_3ELS4_3ELNS0_20block_scan_algorithmE0ELj4294967295EEENS1_25partition_config_selectorILNS1_17partition_subalgoE3EjNS0_10empty_typeEbEEZZNS1_14partition_implILS8_3ELb0ES6_jNS0_17counting_iteratorIjlEEPS9_SE_NS0_5tupleIJPjSE_EEENSF_IJSE_SE_EEES9_SG_JZNS1_25segmented_radix_sort_implINS0_14default_configELb1EPKlPlSM_SN_N2at6native12_GLOBAL__N_18offset_tEEE10hipError_tPvRmT1_PNSt15iterator_traitsISV_E10value_typeET2_T3_PNSW_IS11_E10value_typeET4_jRbjT5_S17_jjP12ihipStream_tbEUljE_EEESS_ST_SU_S11_S15_S17_T6_T7_T9_mT8_S19_bDpT10_ENKUlT_T0_E_clISt17integral_constantIbLb1EES1L_IbLb0EEEEDaS1H_S1I_EUlS1H_E_NS1_11comp_targetILNS1_3genE0ELNS1_11target_archE4294967295ELNS1_3gpuE0ELNS1_3repE0EEENS1_30default_config_static_selectorELNS0_4arch9wavefront6targetE1EEEvSV_.has_recursion, 0
	.set _ZN7rocprim17ROCPRIM_400000_NS6detail17trampoline_kernelINS0_13select_configILj256ELj13ELNS0_17block_load_methodE3ELS4_3ELS4_3ELNS0_20block_scan_algorithmE0ELj4294967295EEENS1_25partition_config_selectorILNS1_17partition_subalgoE3EjNS0_10empty_typeEbEEZZNS1_14partition_implILS8_3ELb0ES6_jNS0_17counting_iteratorIjlEEPS9_SE_NS0_5tupleIJPjSE_EEENSF_IJSE_SE_EEES9_SG_JZNS1_25segmented_radix_sort_implINS0_14default_configELb1EPKlPlSM_SN_N2at6native12_GLOBAL__N_18offset_tEEE10hipError_tPvRmT1_PNSt15iterator_traitsISV_E10value_typeET2_T3_PNSW_IS11_E10value_typeET4_jRbjT5_S17_jjP12ihipStream_tbEUljE_EEESS_ST_SU_S11_S15_S17_T6_T7_T9_mT8_S19_bDpT10_ENKUlT_T0_E_clISt17integral_constantIbLb1EES1L_IbLb0EEEEDaS1H_S1I_EUlS1H_E_NS1_11comp_targetILNS1_3genE0ELNS1_11target_archE4294967295ELNS1_3gpuE0ELNS1_3repE0EEENS1_30default_config_static_selectorELNS0_4arch9wavefront6targetE1EEEvSV_.has_indirect_call, 0
	.section	.AMDGPU.csdata,"",@progbits
; Kernel info:
; codeLenInByte = 0
; TotalNumSgprs: 4
; NumVgprs: 0
; ScratchSize: 0
; MemoryBound: 0
; FloatMode: 240
; IeeeMode: 1
; LDSByteSize: 0 bytes/workgroup (compile time only)
; SGPRBlocks: 0
; VGPRBlocks: 0
; NumSGPRsForWavesPerEU: 4
; NumVGPRsForWavesPerEU: 1
; Occupancy: 10
; WaveLimiterHint : 0
; COMPUTE_PGM_RSRC2:SCRATCH_EN: 0
; COMPUTE_PGM_RSRC2:USER_SGPR: 6
; COMPUTE_PGM_RSRC2:TRAP_HANDLER: 0
; COMPUTE_PGM_RSRC2:TGID_X_EN: 1
; COMPUTE_PGM_RSRC2:TGID_Y_EN: 0
; COMPUTE_PGM_RSRC2:TGID_Z_EN: 0
; COMPUTE_PGM_RSRC2:TIDIG_COMP_CNT: 0
	.section	.text._ZN7rocprim17ROCPRIM_400000_NS6detail17trampoline_kernelINS0_13select_configILj256ELj13ELNS0_17block_load_methodE3ELS4_3ELS4_3ELNS0_20block_scan_algorithmE0ELj4294967295EEENS1_25partition_config_selectorILNS1_17partition_subalgoE3EjNS0_10empty_typeEbEEZZNS1_14partition_implILS8_3ELb0ES6_jNS0_17counting_iteratorIjlEEPS9_SE_NS0_5tupleIJPjSE_EEENSF_IJSE_SE_EEES9_SG_JZNS1_25segmented_radix_sort_implINS0_14default_configELb1EPKlPlSM_SN_N2at6native12_GLOBAL__N_18offset_tEEE10hipError_tPvRmT1_PNSt15iterator_traitsISV_E10value_typeET2_T3_PNSW_IS11_E10value_typeET4_jRbjT5_S17_jjP12ihipStream_tbEUljE_EEESS_ST_SU_S11_S15_S17_T6_T7_T9_mT8_S19_bDpT10_ENKUlT_T0_E_clISt17integral_constantIbLb1EES1L_IbLb0EEEEDaS1H_S1I_EUlS1H_E_NS1_11comp_targetILNS1_3genE5ELNS1_11target_archE942ELNS1_3gpuE9ELNS1_3repE0EEENS1_30default_config_static_selectorELNS0_4arch9wavefront6targetE1EEEvSV_,"axG",@progbits,_ZN7rocprim17ROCPRIM_400000_NS6detail17trampoline_kernelINS0_13select_configILj256ELj13ELNS0_17block_load_methodE3ELS4_3ELS4_3ELNS0_20block_scan_algorithmE0ELj4294967295EEENS1_25partition_config_selectorILNS1_17partition_subalgoE3EjNS0_10empty_typeEbEEZZNS1_14partition_implILS8_3ELb0ES6_jNS0_17counting_iteratorIjlEEPS9_SE_NS0_5tupleIJPjSE_EEENSF_IJSE_SE_EEES9_SG_JZNS1_25segmented_radix_sort_implINS0_14default_configELb1EPKlPlSM_SN_N2at6native12_GLOBAL__N_18offset_tEEE10hipError_tPvRmT1_PNSt15iterator_traitsISV_E10value_typeET2_T3_PNSW_IS11_E10value_typeET4_jRbjT5_S17_jjP12ihipStream_tbEUljE_EEESS_ST_SU_S11_S15_S17_T6_T7_T9_mT8_S19_bDpT10_ENKUlT_T0_E_clISt17integral_constantIbLb1EES1L_IbLb0EEEEDaS1H_S1I_EUlS1H_E_NS1_11comp_targetILNS1_3genE5ELNS1_11target_archE942ELNS1_3gpuE9ELNS1_3repE0EEENS1_30default_config_static_selectorELNS0_4arch9wavefront6targetE1EEEvSV_,comdat
	.globl	_ZN7rocprim17ROCPRIM_400000_NS6detail17trampoline_kernelINS0_13select_configILj256ELj13ELNS0_17block_load_methodE3ELS4_3ELS4_3ELNS0_20block_scan_algorithmE0ELj4294967295EEENS1_25partition_config_selectorILNS1_17partition_subalgoE3EjNS0_10empty_typeEbEEZZNS1_14partition_implILS8_3ELb0ES6_jNS0_17counting_iteratorIjlEEPS9_SE_NS0_5tupleIJPjSE_EEENSF_IJSE_SE_EEES9_SG_JZNS1_25segmented_radix_sort_implINS0_14default_configELb1EPKlPlSM_SN_N2at6native12_GLOBAL__N_18offset_tEEE10hipError_tPvRmT1_PNSt15iterator_traitsISV_E10value_typeET2_T3_PNSW_IS11_E10value_typeET4_jRbjT5_S17_jjP12ihipStream_tbEUljE_EEESS_ST_SU_S11_S15_S17_T6_T7_T9_mT8_S19_bDpT10_ENKUlT_T0_E_clISt17integral_constantIbLb1EES1L_IbLb0EEEEDaS1H_S1I_EUlS1H_E_NS1_11comp_targetILNS1_3genE5ELNS1_11target_archE942ELNS1_3gpuE9ELNS1_3repE0EEENS1_30default_config_static_selectorELNS0_4arch9wavefront6targetE1EEEvSV_ ; -- Begin function _ZN7rocprim17ROCPRIM_400000_NS6detail17trampoline_kernelINS0_13select_configILj256ELj13ELNS0_17block_load_methodE3ELS4_3ELS4_3ELNS0_20block_scan_algorithmE0ELj4294967295EEENS1_25partition_config_selectorILNS1_17partition_subalgoE3EjNS0_10empty_typeEbEEZZNS1_14partition_implILS8_3ELb0ES6_jNS0_17counting_iteratorIjlEEPS9_SE_NS0_5tupleIJPjSE_EEENSF_IJSE_SE_EEES9_SG_JZNS1_25segmented_radix_sort_implINS0_14default_configELb1EPKlPlSM_SN_N2at6native12_GLOBAL__N_18offset_tEEE10hipError_tPvRmT1_PNSt15iterator_traitsISV_E10value_typeET2_T3_PNSW_IS11_E10value_typeET4_jRbjT5_S17_jjP12ihipStream_tbEUljE_EEESS_ST_SU_S11_S15_S17_T6_T7_T9_mT8_S19_bDpT10_ENKUlT_T0_E_clISt17integral_constantIbLb1EES1L_IbLb0EEEEDaS1H_S1I_EUlS1H_E_NS1_11comp_targetILNS1_3genE5ELNS1_11target_archE942ELNS1_3gpuE9ELNS1_3repE0EEENS1_30default_config_static_selectorELNS0_4arch9wavefront6targetE1EEEvSV_
	.p2align	8
	.type	_ZN7rocprim17ROCPRIM_400000_NS6detail17trampoline_kernelINS0_13select_configILj256ELj13ELNS0_17block_load_methodE3ELS4_3ELS4_3ELNS0_20block_scan_algorithmE0ELj4294967295EEENS1_25partition_config_selectorILNS1_17partition_subalgoE3EjNS0_10empty_typeEbEEZZNS1_14partition_implILS8_3ELb0ES6_jNS0_17counting_iteratorIjlEEPS9_SE_NS0_5tupleIJPjSE_EEENSF_IJSE_SE_EEES9_SG_JZNS1_25segmented_radix_sort_implINS0_14default_configELb1EPKlPlSM_SN_N2at6native12_GLOBAL__N_18offset_tEEE10hipError_tPvRmT1_PNSt15iterator_traitsISV_E10value_typeET2_T3_PNSW_IS11_E10value_typeET4_jRbjT5_S17_jjP12ihipStream_tbEUljE_EEESS_ST_SU_S11_S15_S17_T6_T7_T9_mT8_S19_bDpT10_ENKUlT_T0_E_clISt17integral_constantIbLb1EES1L_IbLb0EEEEDaS1H_S1I_EUlS1H_E_NS1_11comp_targetILNS1_3genE5ELNS1_11target_archE942ELNS1_3gpuE9ELNS1_3repE0EEENS1_30default_config_static_selectorELNS0_4arch9wavefront6targetE1EEEvSV_,@function
_ZN7rocprim17ROCPRIM_400000_NS6detail17trampoline_kernelINS0_13select_configILj256ELj13ELNS0_17block_load_methodE3ELS4_3ELS4_3ELNS0_20block_scan_algorithmE0ELj4294967295EEENS1_25partition_config_selectorILNS1_17partition_subalgoE3EjNS0_10empty_typeEbEEZZNS1_14partition_implILS8_3ELb0ES6_jNS0_17counting_iteratorIjlEEPS9_SE_NS0_5tupleIJPjSE_EEENSF_IJSE_SE_EEES9_SG_JZNS1_25segmented_radix_sort_implINS0_14default_configELb1EPKlPlSM_SN_N2at6native12_GLOBAL__N_18offset_tEEE10hipError_tPvRmT1_PNSt15iterator_traitsISV_E10value_typeET2_T3_PNSW_IS11_E10value_typeET4_jRbjT5_S17_jjP12ihipStream_tbEUljE_EEESS_ST_SU_S11_S15_S17_T6_T7_T9_mT8_S19_bDpT10_ENKUlT_T0_E_clISt17integral_constantIbLb1EES1L_IbLb0EEEEDaS1H_S1I_EUlS1H_E_NS1_11comp_targetILNS1_3genE5ELNS1_11target_archE942ELNS1_3gpuE9ELNS1_3repE0EEENS1_30default_config_static_selectorELNS0_4arch9wavefront6targetE1EEEvSV_: ; @_ZN7rocprim17ROCPRIM_400000_NS6detail17trampoline_kernelINS0_13select_configILj256ELj13ELNS0_17block_load_methodE3ELS4_3ELS4_3ELNS0_20block_scan_algorithmE0ELj4294967295EEENS1_25partition_config_selectorILNS1_17partition_subalgoE3EjNS0_10empty_typeEbEEZZNS1_14partition_implILS8_3ELb0ES6_jNS0_17counting_iteratorIjlEEPS9_SE_NS0_5tupleIJPjSE_EEENSF_IJSE_SE_EEES9_SG_JZNS1_25segmented_radix_sort_implINS0_14default_configELb1EPKlPlSM_SN_N2at6native12_GLOBAL__N_18offset_tEEE10hipError_tPvRmT1_PNSt15iterator_traitsISV_E10value_typeET2_T3_PNSW_IS11_E10value_typeET4_jRbjT5_S17_jjP12ihipStream_tbEUljE_EEESS_ST_SU_S11_S15_S17_T6_T7_T9_mT8_S19_bDpT10_ENKUlT_T0_E_clISt17integral_constantIbLb1EES1L_IbLb0EEEEDaS1H_S1I_EUlS1H_E_NS1_11comp_targetILNS1_3genE5ELNS1_11target_archE942ELNS1_3gpuE9ELNS1_3repE0EEENS1_30default_config_static_selectorELNS0_4arch9wavefront6targetE1EEEvSV_
; %bb.0:
	.section	.rodata,"a",@progbits
	.p2align	6, 0x0
	.amdhsa_kernel _ZN7rocprim17ROCPRIM_400000_NS6detail17trampoline_kernelINS0_13select_configILj256ELj13ELNS0_17block_load_methodE3ELS4_3ELS4_3ELNS0_20block_scan_algorithmE0ELj4294967295EEENS1_25partition_config_selectorILNS1_17partition_subalgoE3EjNS0_10empty_typeEbEEZZNS1_14partition_implILS8_3ELb0ES6_jNS0_17counting_iteratorIjlEEPS9_SE_NS0_5tupleIJPjSE_EEENSF_IJSE_SE_EEES9_SG_JZNS1_25segmented_radix_sort_implINS0_14default_configELb1EPKlPlSM_SN_N2at6native12_GLOBAL__N_18offset_tEEE10hipError_tPvRmT1_PNSt15iterator_traitsISV_E10value_typeET2_T3_PNSW_IS11_E10value_typeET4_jRbjT5_S17_jjP12ihipStream_tbEUljE_EEESS_ST_SU_S11_S15_S17_T6_T7_T9_mT8_S19_bDpT10_ENKUlT_T0_E_clISt17integral_constantIbLb1EES1L_IbLb0EEEEDaS1H_S1I_EUlS1H_E_NS1_11comp_targetILNS1_3genE5ELNS1_11target_archE942ELNS1_3gpuE9ELNS1_3repE0EEENS1_30default_config_static_selectorELNS0_4arch9wavefront6targetE1EEEvSV_
		.amdhsa_group_segment_fixed_size 0
		.amdhsa_private_segment_fixed_size 0
		.amdhsa_kernarg_size 144
		.amdhsa_user_sgpr_count 6
		.amdhsa_user_sgpr_private_segment_buffer 1
		.amdhsa_user_sgpr_dispatch_ptr 0
		.amdhsa_user_sgpr_queue_ptr 0
		.amdhsa_user_sgpr_kernarg_segment_ptr 1
		.amdhsa_user_sgpr_dispatch_id 0
		.amdhsa_user_sgpr_flat_scratch_init 0
		.amdhsa_user_sgpr_private_segment_size 0
		.amdhsa_uses_dynamic_stack 0
		.amdhsa_system_sgpr_private_segment_wavefront_offset 0
		.amdhsa_system_sgpr_workgroup_id_x 1
		.amdhsa_system_sgpr_workgroup_id_y 0
		.amdhsa_system_sgpr_workgroup_id_z 0
		.amdhsa_system_sgpr_workgroup_info 0
		.amdhsa_system_vgpr_workitem_id 0
		.amdhsa_next_free_vgpr 1
		.amdhsa_next_free_sgpr 0
		.amdhsa_reserve_vcc 0
		.amdhsa_reserve_flat_scratch 0
		.amdhsa_float_round_mode_32 0
		.amdhsa_float_round_mode_16_64 0
		.amdhsa_float_denorm_mode_32 3
		.amdhsa_float_denorm_mode_16_64 3
		.amdhsa_dx10_clamp 1
		.amdhsa_ieee_mode 1
		.amdhsa_fp16_overflow 0
		.amdhsa_exception_fp_ieee_invalid_op 0
		.amdhsa_exception_fp_denorm_src 0
		.amdhsa_exception_fp_ieee_div_zero 0
		.amdhsa_exception_fp_ieee_overflow 0
		.amdhsa_exception_fp_ieee_underflow 0
		.amdhsa_exception_fp_ieee_inexact 0
		.amdhsa_exception_int_div_zero 0
	.end_amdhsa_kernel
	.section	.text._ZN7rocprim17ROCPRIM_400000_NS6detail17trampoline_kernelINS0_13select_configILj256ELj13ELNS0_17block_load_methodE3ELS4_3ELS4_3ELNS0_20block_scan_algorithmE0ELj4294967295EEENS1_25partition_config_selectorILNS1_17partition_subalgoE3EjNS0_10empty_typeEbEEZZNS1_14partition_implILS8_3ELb0ES6_jNS0_17counting_iteratorIjlEEPS9_SE_NS0_5tupleIJPjSE_EEENSF_IJSE_SE_EEES9_SG_JZNS1_25segmented_radix_sort_implINS0_14default_configELb1EPKlPlSM_SN_N2at6native12_GLOBAL__N_18offset_tEEE10hipError_tPvRmT1_PNSt15iterator_traitsISV_E10value_typeET2_T3_PNSW_IS11_E10value_typeET4_jRbjT5_S17_jjP12ihipStream_tbEUljE_EEESS_ST_SU_S11_S15_S17_T6_T7_T9_mT8_S19_bDpT10_ENKUlT_T0_E_clISt17integral_constantIbLb1EES1L_IbLb0EEEEDaS1H_S1I_EUlS1H_E_NS1_11comp_targetILNS1_3genE5ELNS1_11target_archE942ELNS1_3gpuE9ELNS1_3repE0EEENS1_30default_config_static_selectorELNS0_4arch9wavefront6targetE1EEEvSV_,"axG",@progbits,_ZN7rocprim17ROCPRIM_400000_NS6detail17trampoline_kernelINS0_13select_configILj256ELj13ELNS0_17block_load_methodE3ELS4_3ELS4_3ELNS0_20block_scan_algorithmE0ELj4294967295EEENS1_25partition_config_selectorILNS1_17partition_subalgoE3EjNS0_10empty_typeEbEEZZNS1_14partition_implILS8_3ELb0ES6_jNS0_17counting_iteratorIjlEEPS9_SE_NS0_5tupleIJPjSE_EEENSF_IJSE_SE_EEES9_SG_JZNS1_25segmented_radix_sort_implINS0_14default_configELb1EPKlPlSM_SN_N2at6native12_GLOBAL__N_18offset_tEEE10hipError_tPvRmT1_PNSt15iterator_traitsISV_E10value_typeET2_T3_PNSW_IS11_E10value_typeET4_jRbjT5_S17_jjP12ihipStream_tbEUljE_EEESS_ST_SU_S11_S15_S17_T6_T7_T9_mT8_S19_bDpT10_ENKUlT_T0_E_clISt17integral_constantIbLb1EES1L_IbLb0EEEEDaS1H_S1I_EUlS1H_E_NS1_11comp_targetILNS1_3genE5ELNS1_11target_archE942ELNS1_3gpuE9ELNS1_3repE0EEENS1_30default_config_static_selectorELNS0_4arch9wavefront6targetE1EEEvSV_,comdat
.Lfunc_end689:
	.size	_ZN7rocprim17ROCPRIM_400000_NS6detail17trampoline_kernelINS0_13select_configILj256ELj13ELNS0_17block_load_methodE3ELS4_3ELS4_3ELNS0_20block_scan_algorithmE0ELj4294967295EEENS1_25partition_config_selectorILNS1_17partition_subalgoE3EjNS0_10empty_typeEbEEZZNS1_14partition_implILS8_3ELb0ES6_jNS0_17counting_iteratorIjlEEPS9_SE_NS0_5tupleIJPjSE_EEENSF_IJSE_SE_EEES9_SG_JZNS1_25segmented_radix_sort_implINS0_14default_configELb1EPKlPlSM_SN_N2at6native12_GLOBAL__N_18offset_tEEE10hipError_tPvRmT1_PNSt15iterator_traitsISV_E10value_typeET2_T3_PNSW_IS11_E10value_typeET4_jRbjT5_S17_jjP12ihipStream_tbEUljE_EEESS_ST_SU_S11_S15_S17_T6_T7_T9_mT8_S19_bDpT10_ENKUlT_T0_E_clISt17integral_constantIbLb1EES1L_IbLb0EEEEDaS1H_S1I_EUlS1H_E_NS1_11comp_targetILNS1_3genE5ELNS1_11target_archE942ELNS1_3gpuE9ELNS1_3repE0EEENS1_30default_config_static_selectorELNS0_4arch9wavefront6targetE1EEEvSV_, .Lfunc_end689-_ZN7rocprim17ROCPRIM_400000_NS6detail17trampoline_kernelINS0_13select_configILj256ELj13ELNS0_17block_load_methodE3ELS4_3ELS4_3ELNS0_20block_scan_algorithmE0ELj4294967295EEENS1_25partition_config_selectorILNS1_17partition_subalgoE3EjNS0_10empty_typeEbEEZZNS1_14partition_implILS8_3ELb0ES6_jNS0_17counting_iteratorIjlEEPS9_SE_NS0_5tupleIJPjSE_EEENSF_IJSE_SE_EEES9_SG_JZNS1_25segmented_radix_sort_implINS0_14default_configELb1EPKlPlSM_SN_N2at6native12_GLOBAL__N_18offset_tEEE10hipError_tPvRmT1_PNSt15iterator_traitsISV_E10value_typeET2_T3_PNSW_IS11_E10value_typeET4_jRbjT5_S17_jjP12ihipStream_tbEUljE_EEESS_ST_SU_S11_S15_S17_T6_T7_T9_mT8_S19_bDpT10_ENKUlT_T0_E_clISt17integral_constantIbLb1EES1L_IbLb0EEEEDaS1H_S1I_EUlS1H_E_NS1_11comp_targetILNS1_3genE5ELNS1_11target_archE942ELNS1_3gpuE9ELNS1_3repE0EEENS1_30default_config_static_selectorELNS0_4arch9wavefront6targetE1EEEvSV_
                                        ; -- End function
	.set _ZN7rocprim17ROCPRIM_400000_NS6detail17trampoline_kernelINS0_13select_configILj256ELj13ELNS0_17block_load_methodE3ELS4_3ELS4_3ELNS0_20block_scan_algorithmE0ELj4294967295EEENS1_25partition_config_selectorILNS1_17partition_subalgoE3EjNS0_10empty_typeEbEEZZNS1_14partition_implILS8_3ELb0ES6_jNS0_17counting_iteratorIjlEEPS9_SE_NS0_5tupleIJPjSE_EEENSF_IJSE_SE_EEES9_SG_JZNS1_25segmented_radix_sort_implINS0_14default_configELb1EPKlPlSM_SN_N2at6native12_GLOBAL__N_18offset_tEEE10hipError_tPvRmT1_PNSt15iterator_traitsISV_E10value_typeET2_T3_PNSW_IS11_E10value_typeET4_jRbjT5_S17_jjP12ihipStream_tbEUljE_EEESS_ST_SU_S11_S15_S17_T6_T7_T9_mT8_S19_bDpT10_ENKUlT_T0_E_clISt17integral_constantIbLb1EES1L_IbLb0EEEEDaS1H_S1I_EUlS1H_E_NS1_11comp_targetILNS1_3genE5ELNS1_11target_archE942ELNS1_3gpuE9ELNS1_3repE0EEENS1_30default_config_static_selectorELNS0_4arch9wavefront6targetE1EEEvSV_.num_vgpr, 0
	.set _ZN7rocprim17ROCPRIM_400000_NS6detail17trampoline_kernelINS0_13select_configILj256ELj13ELNS0_17block_load_methodE3ELS4_3ELS4_3ELNS0_20block_scan_algorithmE0ELj4294967295EEENS1_25partition_config_selectorILNS1_17partition_subalgoE3EjNS0_10empty_typeEbEEZZNS1_14partition_implILS8_3ELb0ES6_jNS0_17counting_iteratorIjlEEPS9_SE_NS0_5tupleIJPjSE_EEENSF_IJSE_SE_EEES9_SG_JZNS1_25segmented_radix_sort_implINS0_14default_configELb1EPKlPlSM_SN_N2at6native12_GLOBAL__N_18offset_tEEE10hipError_tPvRmT1_PNSt15iterator_traitsISV_E10value_typeET2_T3_PNSW_IS11_E10value_typeET4_jRbjT5_S17_jjP12ihipStream_tbEUljE_EEESS_ST_SU_S11_S15_S17_T6_T7_T9_mT8_S19_bDpT10_ENKUlT_T0_E_clISt17integral_constantIbLb1EES1L_IbLb0EEEEDaS1H_S1I_EUlS1H_E_NS1_11comp_targetILNS1_3genE5ELNS1_11target_archE942ELNS1_3gpuE9ELNS1_3repE0EEENS1_30default_config_static_selectorELNS0_4arch9wavefront6targetE1EEEvSV_.num_agpr, 0
	.set _ZN7rocprim17ROCPRIM_400000_NS6detail17trampoline_kernelINS0_13select_configILj256ELj13ELNS0_17block_load_methodE3ELS4_3ELS4_3ELNS0_20block_scan_algorithmE0ELj4294967295EEENS1_25partition_config_selectorILNS1_17partition_subalgoE3EjNS0_10empty_typeEbEEZZNS1_14partition_implILS8_3ELb0ES6_jNS0_17counting_iteratorIjlEEPS9_SE_NS0_5tupleIJPjSE_EEENSF_IJSE_SE_EEES9_SG_JZNS1_25segmented_radix_sort_implINS0_14default_configELb1EPKlPlSM_SN_N2at6native12_GLOBAL__N_18offset_tEEE10hipError_tPvRmT1_PNSt15iterator_traitsISV_E10value_typeET2_T3_PNSW_IS11_E10value_typeET4_jRbjT5_S17_jjP12ihipStream_tbEUljE_EEESS_ST_SU_S11_S15_S17_T6_T7_T9_mT8_S19_bDpT10_ENKUlT_T0_E_clISt17integral_constantIbLb1EES1L_IbLb0EEEEDaS1H_S1I_EUlS1H_E_NS1_11comp_targetILNS1_3genE5ELNS1_11target_archE942ELNS1_3gpuE9ELNS1_3repE0EEENS1_30default_config_static_selectorELNS0_4arch9wavefront6targetE1EEEvSV_.numbered_sgpr, 0
	.set _ZN7rocprim17ROCPRIM_400000_NS6detail17trampoline_kernelINS0_13select_configILj256ELj13ELNS0_17block_load_methodE3ELS4_3ELS4_3ELNS0_20block_scan_algorithmE0ELj4294967295EEENS1_25partition_config_selectorILNS1_17partition_subalgoE3EjNS0_10empty_typeEbEEZZNS1_14partition_implILS8_3ELb0ES6_jNS0_17counting_iteratorIjlEEPS9_SE_NS0_5tupleIJPjSE_EEENSF_IJSE_SE_EEES9_SG_JZNS1_25segmented_radix_sort_implINS0_14default_configELb1EPKlPlSM_SN_N2at6native12_GLOBAL__N_18offset_tEEE10hipError_tPvRmT1_PNSt15iterator_traitsISV_E10value_typeET2_T3_PNSW_IS11_E10value_typeET4_jRbjT5_S17_jjP12ihipStream_tbEUljE_EEESS_ST_SU_S11_S15_S17_T6_T7_T9_mT8_S19_bDpT10_ENKUlT_T0_E_clISt17integral_constantIbLb1EES1L_IbLb0EEEEDaS1H_S1I_EUlS1H_E_NS1_11comp_targetILNS1_3genE5ELNS1_11target_archE942ELNS1_3gpuE9ELNS1_3repE0EEENS1_30default_config_static_selectorELNS0_4arch9wavefront6targetE1EEEvSV_.num_named_barrier, 0
	.set _ZN7rocprim17ROCPRIM_400000_NS6detail17trampoline_kernelINS0_13select_configILj256ELj13ELNS0_17block_load_methodE3ELS4_3ELS4_3ELNS0_20block_scan_algorithmE0ELj4294967295EEENS1_25partition_config_selectorILNS1_17partition_subalgoE3EjNS0_10empty_typeEbEEZZNS1_14partition_implILS8_3ELb0ES6_jNS0_17counting_iteratorIjlEEPS9_SE_NS0_5tupleIJPjSE_EEENSF_IJSE_SE_EEES9_SG_JZNS1_25segmented_radix_sort_implINS0_14default_configELb1EPKlPlSM_SN_N2at6native12_GLOBAL__N_18offset_tEEE10hipError_tPvRmT1_PNSt15iterator_traitsISV_E10value_typeET2_T3_PNSW_IS11_E10value_typeET4_jRbjT5_S17_jjP12ihipStream_tbEUljE_EEESS_ST_SU_S11_S15_S17_T6_T7_T9_mT8_S19_bDpT10_ENKUlT_T0_E_clISt17integral_constantIbLb1EES1L_IbLb0EEEEDaS1H_S1I_EUlS1H_E_NS1_11comp_targetILNS1_3genE5ELNS1_11target_archE942ELNS1_3gpuE9ELNS1_3repE0EEENS1_30default_config_static_selectorELNS0_4arch9wavefront6targetE1EEEvSV_.private_seg_size, 0
	.set _ZN7rocprim17ROCPRIM_400000_NS6detail17trampoline_kernelINS0_13select_configILj256ELj13ELNS0_17block_load_methodE3ELS4_3ELS4_3ELNS0_20block_scan_algorithmE0ELj4294967295EEENS1_25partition_config_selectorILNS1_17partition_subalgoE3EjNS0_10empty_typeEbEEZZNS1_14partition_implILS8_3ELb0ES6_jNS0_17counting_iteratorIjlEEPS9_SE_NS0_5tupleIJPjSE_EEENSF_IJSE_SE_EEES9_SG_JZNS1_25segmented_radix_sort_implINS0_14default_configELb1EPKlPlSM_SN_N2at6native12_GLOBAL__N_18offset_tEEE10hipError_tPvRmT1_PNSt15iterator_traitsISV_E10value_typeET2_T3_PNSW_IS11_E10value_typeET4_jRbjT5_S17_jjP12ihipStream_tbEUljE_EEESS_ST_SU_S11_S15_S17_T6_T7_T9_mT8_S19_bDpT10_ENKUlT_T0_E_clISt17integral_constantIbLb1EES1L_IbLb0EEEEDaS1H_S1I_EUlS1H_E_NS1_11comp_targetILNS1_3genE5ELNS1_11target_archE942ELNS1_3gpuE9ELNS1_3repE0EEENS1_30default_config_static_selectorELNS0_4arch9wavefront6targetE1EEEvSV_.uses_vcc, 0
	.set _ZN7rocprim17ROCPRIM_400000_NS6detail17trampoline_kernelINS0_13select_configILj256ELj13ELNS0_17block_load_methodE3ELS4_3ELS4_3ELNS0_20block_scan_algorithmE0ELj4294967295EEENS1_25partition_config_selectorILNS1_17partition_subalgoE3EjNS0_10empty_typeEbEEZZNS1_14partition_implILS8_3ELb0ES6_jNS0_17counting_iteratorIjlEEPS9_SE_NS0_5tupleIJPjSE_EEENSF_IJSE_SE_EEES9_SG_JZNS1_25segmented_radix_sort_implINS0_14default_configELb1EPKlPlSM_SN_N2at6native12_GLOBAL__N_18offset_tEEE10hipError_tPvRmT1_PNSt15iterator_traitsISV_E10value_typeET2_T3_PNSW_IS11_E10value_typeET4_jRbjT5_S17_jjP12ihipStream_tbEUljE_EEESS_ST_SU_S11_S15_S17_T6_T7_T9_mT8_S19_bDpT10_ENKUlT_T0_E_clISt17integral_constantIbLb1EES1L_IbLb0EEEEDaS1H_S1I_EUlS1H_E_NS1_11comp_targetILNS1_3genE5ELNS1_11target_archE942ELNS1_3gpuE9ELNS1_3repE0EEENS1_30default_config_static_selectorELNS0_4arch9wavefront6targetE1EEEvSV_.uses_flat_scratch, 0
	.set _ZN7rocprim17ROCPRIM_400000_NS6detail17trampoline_kernelINS0_13select_configILj256ELj13ELNS0_17block_load_methodE3ELS4_3ELS4_3ELNS0_20block_scan_algorithmE0ELj4294967295EEENS1_25partition_config_selectorILNS1_17partition_subalgoE3EjNS0_10empty_typeEbEEZZNS1_14partition_implILS8_3ELb0ES6_jNS0_17counting_iteratorIjlEEPS9_SE_NS0_5tupleIJPjSE_EEENSF_IJSE_SE_EEES9_SG_JZNS1_25segmented_radix_sort_implINS0_14default_configELb1EPKlPlSM_SN_N2at6native12_GLOBAL__N_18offset_tEEE10hipError_tPvRmT1_PNSt15iterator_traitsISV_E10value_typeET2_T3_PNSW_IS11_E10value_typeET4_jRbjT5_S17_jjP12ihipStream_tbEUljE_EEESS_ST_SU_S11_S15_S17_T6_T7_T9_mT8_S19_bDpT10_ENKUlT_T0_E_clISt17integral_constantIbLb1EES1L_IbLb0EEEEDaS1H_S1I_EUlS1H_E_NS1_11comp_targetILNS1_3genE5ELNS1_11target_archE942ELNS1_3gpuE9ELNS1_3repE0EEENS1_30default_config_static_selectorELNS0_4arch9wavefront6targetE1EEEvSV_.has_dyn_sized_stack, 0
	.set _ZN7rocprim17ROCPRIM_400000_NS6detail17trampoline_kernelINS0_13select_configILj256ELj13ELNS0_17block_load_methodE3ELS4_3ELS4_3ELNS0_20block_scan_algorithmE0ELj4294967295EEENS1_25partition_config_selectorILNS1_17partition_subalgoE3EjNS0_10empty_typeEbEEZZNS1_14partition_implILS8_3ELb0ES6_jNS0_17counting_iteratorIjlEEPS9_SE_NS0_5tupleIJPjSE_EEENSF_IJSE_SE_EEES9_SG_JZNS1_25segmented_radix_sort_implINS0_14default_configELb1EPKlPlSM_SN_N2at6native12_GLOBAL__N_18offset_tEEE10hipError_tPvRmT1_PNSt15iterator_traitsISV_E10value_typeET2_T3_PNSW_IS11_E10value_typeET4_jRbjT5_S17_jjP12ihipStream_tbEUljE_EEESS_ST_SU_S11_S15_S17_T6_T7_T9_mT8_S19_bDpT10_ENKUlT_T0_E_clISt17integral_constantIbLb1EES1L_IbLb0EEEEDaS1H_S1I_EUlS1H_E_NS1_11comp_targetILNS1_3genE5ELNS1_11target_archE942ELNS1_3gpuE9ELNS1_3repE0EEENS1_30default_config_static_selectorELNS0_4arch9wavefront6targetE1EEEvSV_.has_recursion, 0
	.set _ZN7rocprim17ROCPRIM_400000_NS6detail17trampoline_kernelINS0_13select_configILj256ELj13ELNS0_17block_load_methodE3ELS4_3ELS4_3ELNS0_20block_scan_algorithmE0ELj4294967295EEENS1_25partition_config_selectorILNS1_17partition_subalgoE3EjNS0_10empty_typeEbEEZZNS1_14partition_implILS8_3ELb0ES6_jNS0_17counting_iteratorIjlEEPS9_SE_NS0_5tupleIJPjSE_EEENSF_IJSE_SE_EEES9_SG_JZNS1_25segmented_radix_sort_implINS0_14default_configELb1EPKlPlSM_SN_N2at6native12_GLOBAL__N_18offset_tEEE10hipError_tPvRmT1_PNSt15iterator_traitsISV_E10value_typeET2_T3_PNSW_IS11_E10value_typeET4_jRbjT5_S17_jjP12ihipStream_tbEUljE_EEESS_ST_SU_S11_S15_S17_T6_T7_T9_mT8_S19_bDpT10_ENKUlT_T0_E_clISt17integral_constantIbLb1EES1L_IbLb0EEEEDaS1H_S1I_EUlS1H_E_NS1_11comp_targetILNS1_3genE5ELNS1_11target_archE942ELNS1_3gpuE9ELNS1_3repE0EEENS1_30default_config_static_selectorELNS0_4arch9wavefront6targetE1EEEvSV_.has_indirect_call, 0
	.section	.AMDGPU.csdata,"",@progbits
; Kernel info:
; codeLenInByte = 0
; TotalNumSgprs: 4
; NumVgprs: 0
; ScratchSize: 0
; MemoryBound: 0
; FloatMode: 240
; IeeeMode: 1
; LDSByteSize: 0 bytes/workgroup (compile time only)
; SGPRBlocks: 0
; VGPRBlocks: 0
; NumSGPRsForWavesPerEU: 4
; NumVGPRsForWavesPerEU: 1
; Occupancy: 10
; WaveLimiterHint : 0
; COMPUTE_PGM_RSRC2:SCRATCH_EN: 0
; COMPUTE_PGM_RSRC2:USER_SGPR: 6
; COMPUTE_PGM_RSRC2:TRAP_HANDLER: 0
; COMPUTE_PGM_RSRC2:TGID_X_EN: 1
; COMPUTE_PGM_RSRC2:TGID_Y_EN: 0
; COMPUTE_PGM_RSRC2:TGID_Z_EN: 0
; COMPUTE_PGM_RSRC2:TIDIG_COMP_CNT: 0
	.section	.text._ZN7rocprim17ROCPRIM_400000_NS6detail17trampoline_kernelINS0_13select_configILj256ELj13ELNS0_17block_load_methodE3ELS4_3ELS4_3ELNS0_20block_scan_algorithmE0ELj4294967295EEENS1_25partition_config_selectorILNS1_17partition_subalgoE3EjNS0_10empty_typeEbEEZZNS1_14partition_implILS8_3ELb0ES6_jNS0_17counting_iteratorIjlEEPS9_SE_NS0_5tupleIJPjSE_EEENSF_IJSE_SE_EEES9_SG_JZNS1_25segmented_radix_sort_implINS0_14default_configELb1EPKlPlSM_SN_N2at6native12_GLOBAL__N_18offset_tEEE10hipError_tPvRmT1_PNSt15iterator_traitsISV_E10value_typeET2_T3_PNSW_IS11_E10value_typeET4_jRbjT5_S17_jjP12ihipStream_tbEUljE_EEESS_ST_SU_S11_S15_S17_T6_T7_T9_mT8_S19_bDpT10_ENKUlT_T0_E_clISt17integral_constantIbLb1EES1L_IbLb0EEEEDaS1H_S1I_EUlS1H_E_NS1_11comp_targetILNS1_3genE4ELNS1_11target_archE910ELNS1_3gpuE8ELNS1_3repE0EEENS1_30default_config_static_selectorELNS0_4arch9wavefront6targetE1EEEvSV_,"axG",@progbits,_ZN7rocprim17ROCPRIM_400000_NS6detail17trampoline_kernelINS0_13select_configILj256ELj13ELNS0_17block_load_methodE3ELS4_3ELS4_3ELNS0_20block_scan_algorithmE0ELj4294967295EEENS1_25partition_config_selectorILNS1_17partition_subalgoE3EjNS0_10empty_typeEbEEZZNS1_14partition_implILS8_3ELb0ES6_jNS0_17counting_iteratorIjlEEPS9_SE_NS0_5tupleIJPjSE_EEENSF_IJSE_SE_EEES9_SG_JZNS1_25segmented_radix_sort_implINS0_14default_configELb1EPKlPlSM_SN_N2at6native12_GLOBAL__N_18offset_tEEE10hipError_tPvRmT1_PNSt15iterator_traitsISV_E10value_typeET2_T3_PNSW_IS11_E10value_typeET4_jRbjT5_S17_jjP12ihipStream_tbEUljE_EEESS_ST_SU_S11_S15_S17_T6_T7_T9_mT8_S19_bDpT10_ENKUlT_T0_E_clISt17integral_constantIbLb1EES1L_IbLb0EEEEDaS1H_S1I_EUlS1H_E_NS1_11comp_targetILNS1_3genE4ELNS1_11target_archE910ELNS1_3gpuE8ELNS1_3repE0EEENS1_30default_config_static_selectorELNS0_4arch9wavefront6targetE1EEEvSV_,comdat
	.globl	_ZN7rocprim17ROCPRIM_400000_NS6detail17trampoline_kernelINS0_13select_configILj256ELj13ELNS0_17block_load_methodE3ELS4_3ELS4_3ELNS0_20block_scan_algorithmE0ELj4294967295EEENS1_25partition_config_selectorILNS1_17partition_subalgoE3EjNS0_10empty_typeEbEEZZNS1_14partition_implILS8_3ELb0ES6_jNS0_17counting_iteratorIjlEEPS9_SE_NS0_5tupleIJPjSE_EEENSF_IJSE_SE_EEES9_SG_JZNS1_25segmented_radix_sort_implINS0_14default_configELb1EPKlPlSM_SN_N2at6native12_GLOBAL__N_18offset_tEEE10hipError_tPvRmT1_PNSt15iterator_traitsISV_E10value_typeET2_T3_PNSW_IS11_E10value_typeET4_jRbjT5_S17_jjP12ihipStream_tbEUljE_EEESS_ST_SU_S11_S15_S17_T6_T7_T9_mT8_S19_bDpT10_ENKUlT_T0_E_clISt17integral_constantIbLb1EES1L_IbLb0EEEEDaS1H_S1I_EUlS1H_E_NS1_11comp_targetILNS1_3genE4ELNS1_11target_archE910ELNS1_3gpuE8ELNS1_3repE0EEENS1_30default_config_static_selectorELNS0_4arch9wavefront6targetE1EEEvSV_ ; -- Begin function _ZN7rocprim17ROCPRIM_400000_NS6detail17trampoline_kernelINS0_13select_configILj256ELj13ELNS0_17block_load_methodE3ELS4_3ELS4_3ELNS0_20block_scan_algorithmE0ELj4294967295EEENS1_25partition_config_selectorILNS1_17partition_subalgoE3EjNS0_10empty_typeEbEEZZNS1_14partition_implILS8_3ELb0ES6_jNS0_17counting_iteratorIjlEEPS9_SE_NS0_5tupleIJPjSE_EEENSF_IJSE_SE_EEES9_SG_JZNS1_25segmented_radix_sort_implINS0_14default_configELb1EPKlPlSM_SN_N2at6native12_GLOBAL__N_18offset_tEEE10hipError_tPvRmT1_PNSt15iterator_traitsISV_E10value_typeET2_T3_PNSW_IS11_E10value_typeET4_jRbjT5_S17_jjP12ihipStream_tbEUljE_EEESS_ST_SU_S11_S15_S17_T6_T7_T9_mT8_S19_bDpT10_ENKUlT_T0_E_clISt17integral_constantIbLb1EES1L_IbLb0EEEEDaS1H_S1I_EUlS1H_E_NS1_11comp_targetILNS1_3genE4ELNS1_11target_archE910ELNS1_3gpuE8ELNS1_3repE0EEENS1_30default_config_static_selectorELNS0_4arch9wavefront6targetE1EEEvSV_
	.p2align	8
	.type	_ZN7rocprim17ROCPRIM_400000_NS6detail17trampoline_kernelINS0_13select_configILj256ELj13ELNS0_17block_load_methodE3ELS4_3ELS4_3ELNS0_20block_scan_algorithmE0ELj4294967295EEENS1_25partition_config_selectorILNS1_17partition_subalgoE3EjNS0_10empty_typeEbEEZZNS1_14partition_implILS8_3ELb0ES6_jNS0_17counting_iteratorIjlEEPS9_SE_NS0_5tupleIJPjSE_EEENSF_IJSE_SE_EEES9_SG_JZNS1_25segmented_radix_sort_implINS0_14default_configELb1EPKlPlSM_SN_N2at6native12_GLOBAL__N_18offset_tEEE10hipError_tPvRmT1_PNSt15iterator_traitsISV_E10value_typeET2_T3_PNSW_IS11_E10value_typeET4_jRbjT5_S17_jjP12ihipStream_tbEUljE_EEESS_ST_SU_S11_S15_S17_T6_T7_T9_mT8_S19_bDpT10_ENKUlT_T0_E_clISt17integral_constantIbLb1EES1L_IbLb0EEEEDaS1H_S1I_EUlS1H_E_NS1_11comp_targetILNS1_3genE4ELNS1_11target_archE910ELNS1_3gpuE8ELNS1_3repE0EEENS1_30default_config_static_selectorELNS0_4arch9wavefront6targetE1EEEvSV_,@function
_ZN7rocprim17ROCPRIM_400000_NS6detail17trampoline_kernelINS0_13select_configILj256ELj13ELNS0_17block_load_methodE3ELS4_3ELS4_3ELNS0_20block_scan_algorithmE0ELj4294967295EEENS1_25partition_config_selectorILNS1_17partition_subalgoE3EjNS0_10empty_typeEbEEZZNS1_14partition_implILS8_3ELb0ES6_jNS0_17counting_iteratorIjlEEPS9_SE_NS0_5tupleIJPjSE_EEENSF_IJSE_SE_EEES9_SG_JZNS1_25segmented_radix_sort_implINS0_14default_configELb1EPKlPlSM_SN_N2at6native12_GLOBAL__N_18offset_tEEE10hipError_tPvRmT1_PNSt15iterator_traitsISV_E10value_typeET2_T3_PNSW_IS11_E10value_typeET4_jRbjT5_S17_jjP12ihipStream_tbEUljE_EEESS_ST_SU_S11_S15_S17_T6_T7_T9_mT8_S19_bDpT10_ENKUlT_T0_E_clISt17integral_constantIbLb1EES1L_IbLb0EEEEDaS1H_S1I_EUlS1H_E_NS1_11comp_targetILNS1_3genE4ELNS1_11target_archE910ELNS1_3gpuE8ELNS1_3repE0EEENS1_30default_config_static_selectorELNS0_4arch9wavefront6targetE1EEEvSV_: ; @_ZN7rocprim17ROCPRIM_400000_NS6detail17trampoline_kernelINS0_13select_configILj256ELj13ELNS0_17block_load_methodE3ELS4_3ELS4_3ELNS0_20block_scan_algorithmE0ELj4294967295EEENS1_25partition_config_selectorILNS1_17partition_subalgoE3EjNS0_10empty_typeEbEEZZNS1_14partition_implILS8_3ELb0ES6_jNS0_17counting_iteratorIjlEEPS9_SE_NS0_5tupleIJPjSE_EEENSF_IJSE_SE_EEES9_SG_JZNS1_25segmented_radix_sort_implINS0_14default_configELb1EPKlPlSM_SN_N2at6native12_GLOBAL__N_18offset_tEEE10hipError_tPvRmT1_PNSt15iterator_traitsISV_E10value_typeET2_T3_PNSW_IS11_E10value_typeET4_jRbjT5_S17_jjP12ihipStream_tbEUljE_EEESS_ST_SU_S11_S15_S17_T6_T7_T9_mT8_S19_bDpT10_ENKUlT_T0_E_clISt17integral_constantIbLb1EES1L_IbLb0EEEEDaS1H_S1I_EUlS1H_E_NS1_11comp_targetILNS1_3genE4ELNS1_11target_archE910ELNS1_3gpuE8ELNS1_3repE0EEENS1_30default_config_static_selectorELNS0_4arch9wavefront6targetE1EEEvSV_
; %bb.0:
	.section	.rodata,"a",@progbits
	.p2align	6, 0x0
	.amdhsa_kernel _ZN7rocprim17ROCPRIM_400000_NS6detail17trampoline_kernelINS0_13select_configILj256ELj13ELNS0_17block_load_methodE3ELS4_3ELS4_3ELNS0_20block_scan_algorithmE0ELj4294967295EEENS1_25partition_config_selectorILNS1_17partition_subalgoE3EjNS0_10empty_typeEbEEZZNS1_14partition_implILS8_3ELb0ES6_jNS0_17counting_iteratorIjlEEPS9_SE_NS0_5tupleIJPjSE_EEENSF_IJSE_SE_EEES9_SG_JZNS1_25segmented_radix_sort_implINS0_14default_configELb1EPKlPlSM_SN_N2at6native12_GLOBAL__N_18offset_tEEE10hipError_tPvRmT1_PNSt15iterator_traitsISV_E10value_typeET2_T3_PNSW_IS11_E10value_typeET4_jRbjT5_S17_jjP12ihipStream_tbEUljE_EEESS_ST_SU_S11_S15_S17_T6_T7_T9_mT8_S19_bDpT10_ENKUlT_T0_E_clISt17integral_constantIbLb1EES1L_IbLb0EEEEDaS1H_S1I_EUlS1H_E_NS1_11comp_targetILNS1_3genE4ELNS1_11target_archE910ELNS1_3gpuE8ELNS1_3repE0EEENS1_30default_config_static_selectorELNS0_4arch9wavefront6targetE1EEEvSV_
		.amdhsa_group_segment_fixed_size 0
		.amdhsa_private_segment_fixed_size 0
		.amdhsa_kernarg_size 144
		.amdhsa_user_sgpr_count 6
		.amdhsa_user_sgpr_private_segment_buffer 1
		.amdhsa_user_sgpr_dispatch_ptr 0
		.amdhsa_user_sgpr_queue_ptr 0
		.amdhsa_user_sgpr_kernarg_segment_ptr 1
		.amdhsa_user_sgpr_dispatch_id 0
		.amdhsa_user_sgpr_flat_scratch_init 0
		.amdhsa_user_sgpr_private_segment_size 0
		.amdhsa_uses_dynamic_stack 0
		.amdhsa_system_sgpr_private_segment_wavefront_offset 0
		.amdhsa_system_sgpr_workgroup_id_x 1
		.amdhsa_system_sgpr_workgroup_id_y 0
		.amdhsa_system_sgpr_workgroup_id_z 0
		.amdhsa_system_sgpr_workgroup_info 0
		.amdhsa_system_vgpr_workitem_id 0
		.amdhsa_next_free_vgpr 1
		.amdhsa_next_free_sgpr 0
		.amdhsa_reserve_vcc 0
		.amdhsa_reserve_flat_scratch 0
		.amdhsa_float_round_mode_32 0
		.amdhsa_float_round_mode_16_64 0
		.amdhsa_float_denorm_mode_32 3
		.amdhsa_float_denorm_mode_16_64 3
		.amdhsa_dx10_clamp 1
		.amdhsa_ieee_mode 1
		.amdhsa_fp16_overflow 0
		.amdhsa_exception_fp_ieee_invalid_op 0
		.amdhsa_exception_fp_denorm_src 0
		.amdhsa_exception_fp_ieee_div_zero 0
		.amdhsa_exception_fp_ieee_overflow 0
		.amdhsa_exception_fp_ieee_underflow 0
		.amdhsa_exception_fp_ieee_inexact 0
		.amdhsa_exception_int_div_zero 0
	.end_amdhsa_kernel
	.section	.text._ZN7rocprim17ROCPRIM_400000_NS6detail17trampoline_kernelINS0_13select_configILj256ELj13ELNS0_17block_load_methodE3ELS4_3ELS4_3ELNS0_20block_scan_algorithmE0ELj4294967295EEENS1_25partition_config_selectorILNS1_17partition_subalgoE3EjNS0_10empty_typeEbEEZZNS1_14partition_implILS8_3ELb0ES6_jNS0_17counting_iteratorIjlEEPS9_SE_NS0_5tupleIJPjSE_EEENSF_IJSE_SE_EEES9_SG_JZNS1_25segmented_radix_sort_implINS0_14default_configELb1EPKlPlSM_SN_N2at6native12_GLOBAL__N_18offset_tEEE10hipError_tPvRmT1_PNSt15iterator_traitsISV_E10value_typeET2_T3_PNSW_IS11_E10value_typeET4_jRbjT5_S17_jjP12ihipStream_tbEUljE_EEESS_ST_SU_S11_S15_S17_T6_T7_T9_mT8_S19_bDpT10_ENKUlT_T0_E_clISt17integral_constantIbLb1EES1L_IbLb0EEEEDaS1H_S1I_EUlS1H_E_NS1_11comp_targetILNS1_3genE4ELNS1_11target_archE910ELNS1_3gpuE8ELNS1_3repE0EEENS1_30default_config_static_selectorELNS0_4arch9wavefront6targetE1EEEvSV_,"axG",@progbits,_ZN7rocprim17ROCPRIM_400000_NS6detail17trampoline_kernelINS0_13select_configILj256ELj13ELNS0_17block_load_methodE3ELS4_3ELS4_3ELNS0_20block_scan_algorithmE0ELj4294967295EEENS1_25partition_config_selectorILNS1_17partition_subalgoE3EjNS0_10empty_typeEbEEZZNS1_14partition_implILS8_3ELb0ES6_jNS0_17counting_iteratorIjlEEPS9_SE_NS0_5tupleIJPjSE_EEENSF_IJSE_SE_EEES9_SG_JZNS1_25segmented_radix_sort_implINS0_14default_configELb1EPKlPlSM_SN_N2at6native12_GLOBAL__N_18offset_tEEE10hipError_tPvRmT1_PNSt15iterator_traitsISV_E10value_typeET2_T3_PNSW_IS11_E10value_typeET4_jRbjT5_S17_jjP12ihipStream_tbEUljE_EEESS_ST_SU_S11_S15_S17_T6_T7_T9_mT8_S19_bDpT10_ENKUlT_T0_E_clISt17integral_constantIbLb1EES1L_IbLb0EEEEDaS1H_S1I_EUlS1H_E_NS1_11comp_targetILNS1_3genE4ELNS1_11target_archE910ELNS1_3gpuE8ELNS1_3repE0EEENS1_30default_config_static_selectorELNS0_4arch9wavefront6targetE1EEEvSV_,comdat
.Lfunc_end690:
	.size	_ZN7rocprim17ROCPRIM_400000_NS6detail17trampoline_kernelINS0_13select_configILj256ELj13ELNS0_17block_load_methodE3ELS4_3ELS4_3ELNS0_20block_scan_algorithmE0ELj4294967295EEENS1_25partition_config_selectorILNS1_17partition_subalgoE3EjNS0_10empty_typeEbEEZZNS1_14partition_implILS8_3ELb0ES6_jNS0_17counting_iteratorIjlEEPS9_SE_NS0_5tupleIJPjSE_EEENSF_IJSE_SE_EEES9_SG_JZNS1_25segmented_radix_sort_implINS0_14default_configELb1EPKlPlSM_SN_N2at6native12_GLOBAL__N_18offset_tEEE10hipError_tPvRmT1_PNSt15iterator_traitsISV_E10value_typeET2_T3_PNSW_IS11_E10value_typeET4_jRbjT5_S17_jjP12ihipStream_tbEUljE_EEESS_ST_SU_S11_S15_S17_T6_T7_T9_mT8_S19_bDpT10_ENKUlT_T0_E_clISt17integral_constantIbLb1EES1L_IbLb0EEEEDaS1H_S1I_EUlS1H_E_NS1_11comp_targetILNS1_3genE4ELNS1_11target_archE910ELNS1_3gpuE8ELNS1_3repE0EEENS1_30default_config_static_selectorELNS0_4arch9wavefront6targetE1EEEvSV_, .Lfunc_end690-_ZN7rocprim17ROCPRIM_400000_NS6detail17trampoline_kernelINS0_13select_configILj256ELj13ELNS0_17block_load_methodE3ELS4_3ELS4_3ELNS0_20block_scan_algorithmE0ELj4294967295EEENS1_25partition_config_selectorILNS1_17partition_subalgoE3EjNS0_10empty_typeEbEEZZNS1_14partition_implILS8_3ELb0ES6_jNS0_17counting_iteratorIjlEEPS9_SE_NS0_5tupleIJPjSE_EEENSF_IJSE_SE_EEES9_SG_JZNS1_25segmented_radix_sort_implINS0_14default_configELb1EPKlPlSM_SN_N2at6native12_GLOBAL__N_18offset_tEEE10hipError_tPvRmT1_PNSt15iterator_traitsISV_E10value_typeET2_T3_PNSW_IS11_E10value_typeET4_jRbjT5_S17_jjP12ihipStream_tbEUljE_EEESS_ST_SU_S11_S15_S17_T6_T7_T9_mT8_S19_bDpT10_ENKUlT_T0_E_clISt17integral_constantIbLb1EES1L_IbLb0EEEEDaS1H_S1I_EUlS1H_E_NS1_11comp_targetILNS1_3genE4ELNS1_11target_archE910ELNS1_3gpuE8ELNS1_3repE0EEENS1_30default_config_static_selectorELNS0_4arch9wavefront6targetE1EEEvSV_
                                        ; -- End function
	.set _ZN7rocprim17ROCPRIM_400000_NS6detail17trampoline_kernelINS0_13select_configILj256ELj13ELNS0_17block_load_methodE3ELS4_3ELS4_3ELNS0_20block_scan_algorithmE0ELj4294967295EEENS1_25partition_config_selectorILNS1_17partition_subalgoE3EjNS0_10empty_typeEbEEZZNS1_14partition_implILS8_3ELb0ES6_jNS0_17counting_iteratorIjlEEPS9_SE_NS0_5tupleIJPjSE_EEENSF_IJSE_SE_EEES9_SG_JZNS1_25segmented_radix_sort_implINS0_14default_configELb1EPKlPlSM_SN_N2at6native12_GLOBAL__N_18offset_tEEE10hipError_tPvRmT1_PNSt15iterator_traitsISV_E10value_typeET2_T3_PNSW_IS11_E10value_typeET4_jRbjT5_S17_jjP12ihipStream_tbEUljE_EEESS_ST_SU_S11_S15_S17_T6_T7_T9_mT8_S19_bDpT10_ENKUlT_T0_E_clISt17integral_constantIbLb1EES1L_IbLb0EEEEDaS1H_S1I_EUlS1H_E_NS1_11comp_targetILNS1_3genE4ELNS1_11target_archE910ELNS1_3gpuE8ELNS1_3repE0EEENS1_30default_config_static_selectorELNS0_4arch9wavefront6targetE1EEEvSV_.num_vgpr, 0
	.set _ZN7rocprim17ROCPRIM_400000_NS6detail17trampoline_kernelINS0_13select_configILj256ELj13ELNS0_17block_load_methodE3ELS4_3ELS4_3ELNS0_20block_scan_algorithmE0ELj4294967295EEENS1_25partition_config_selectorILNS1_17partition_subalgoE3EjNS0_10empty_typeEbEEZZNS1_14partition_implILS8_3ELb0ES6_jNS0_17counting_iteratorIjlEEPS9_SE_NS0_5tupleIJPjSE_EEENSF_IJSE_SE_EEES9_SG_JZNS1_25segmented_radix_sort_implINS0_14default_configELb1EPKlPlSM_SN_N2at6native12_GLOBAL__N_18offset_tEEE10hipError_tPvRmT1_PNSt15iterator_traitsISV_E10value_typeET2_T3_PNSW_IS11_E10value_typeET4_jRbjT5_S17_jjP12ihipStream_tbEUljE_EEESS_ST_SU_S11_S15_S17_T6_T7_T9_mT8_S19_bDpT10_ENKUlT_T0_E_clISt17integral_constantIbLb1EES1L_IbLb0EEEEDaS1H_S1I_EUlS1H_E_NS1_11comp_targetILNS1_3genE4ELNS1_11target_archE910ELNS1_3gpuE8ELNS1_3repE0EEENS1_30default_config_static_selectorELNS0_4arch9wavefront6targetE1EEEvSV_.num_agpr, 0
	.set _ZN7rocprim17ROCPRIM_400000_NS6detail17trampoline_kernelINS0_13select_configILj256ELj13ELNS0_17block_load_methodE3ELS4_3ELS4_3ELNS0_20block_scan_algorithmE0ELj4294967295EEENS1_25partition_config_selectorILNS1_17partition_subalgoE3EjNS0_10empty_typeEbEEZZNS1_14partition_implILS8_3ELb0ES6_jNS0_17counting_iteratorIjlEEPS9_SE_NS0_5tupleIJPjSE_EEENSF_IJSE_SE_EEES9_SG_JZNS1_25segmented_radix_sort_implINS0_14default_configELb1EPKlPlSM_SN_N2at6native12_GLOBAL__N_18offset_tEEE10hipError_tPvRmT1_PNSt15iterator_traitsISV_E10value_typeET2_T3_PNSW_IS11_E10value_typeET4_jRbjT5_S17_jjP12ihipStream_tbEUljE_EEESS_ST_SU_S11_S15_S17_T6_T7_T9_mT8_S19_bDpT10_ENKUlT_T0_E_clISt17integral_constantIbLb1EES1L_IbLb0EEEEDaS1H_S1I_EUlS1H_E_NS1_11comp_targetILNS1_3genE4ELNS1_11target_archE910ELNS1_3gpuE8ELNS1_3repE0EEENS1_30default_config_static_selectorELNS0_4arch9wavefront6targetE1EEEvSV_.numbered_sgpr, 0
	.set _ZN7rocprim17ROCPRIM_400000_NS6detail17trampoline_kernelINS0_13select_configILj256ELj13ELNS0_17block_load_methodE3ELS4_3ELS4_3ELNS0_20block_scan_algorithmE0ELj4294967295EEENS1_25partition_config_selectorILNS1_17partition_subalgoE3EjNS0_10empty_typeEbEEZZNS1_14partition_implILS8_3ELb0ES6_jNS0_17counting_iteratorIjlEEPS9_SE_NS0_5tupleIJPjSE_EEENSF_IJSE_SE_EEES9_SG_JZNS1_25segmented_radix_sort_implINS0_14default_configELb1EPKlPlSM_SN_N2at6native12_GLOBAL__N_18offset_tEEE10hipError_tPvRmT1_PNSt15iterator_traitsISV_E10value_typeET2_T3_PNSW_IS11_E10value_typeET4_jRbjT5_S17_jjP12ihipStream_tbEUljE_EEESS_ST_SU_S11_S15_S17_T6_T7_T9_mT8_S19_bDpT10_ENKUlT_T0_E_clISt17integral_constantIbLb1EES1L_IbLb0EEEEDaS1H_S1I_EUlS1H_E_NS1_11comp_targetILNS1_3genE4ELNS1_11target_archE910ELNS1_3gpuE8ELNS1_3repE0EEENS1_30default_config_static_selectorELNS0_4arch9wavefront6targetE1EEEvSV_.num_named_barrier, 0
	.set _ZN7rocprim17ROCPRIM_400000_NS6detail17trampoline_kernelINS0_13select_configILj256ELj13ELNS0_17block_load_methodE3ELS4_3ELS4_3ELNS0_20block_scan_algorithmE0ELj4294967295EEENS1_25partition_config_selectorILNS1_17partition_subalgoE3EjNS0_10empty_typeEbEEZZNS1_14partition_implILS8_3ELb0ES6_jNS0_17counting_iteratorIjlEEPS9_SE_NS0_5tupleIJPjSE_EEENSF_IJSE_SE_EEES9_SG_JZNS1_25segmented_radix_sort_implINS0_14default_configELb1EPKlPlSM_SN_N2at6native12_GLOBAL__N_18offset_tEEE10hipError_tPvRmT1_PNSt15iterator_traitsISV_E10value_typeET2_T3_PNSW_IS11_E10value_typeET4_jRbjT5_S17_jjP12ihipStream_tbEUljE_EEESS_ST_SU_S11_S15_S17_T6_T7_T9_mT8_S19_bDpT10_ENKUlT_T0_E_clISt17integral_constantIbLb1EES1L_IbLb0EEEEDaS1H_S1I_EUlS1H_E_NS1_11comp_targetILNS1_3genE4ELNS1_11target_archE910ELNS1_3gpuE8ELNS1_3repE0EEENS1_30default_config_static_selectorELNS0_4arch9wavefront6targetE1EEEvSV_.private_seg_size, 0
	.set _ZN7rocprim17ROCPRIM_400000_NS6detail17trampoline_kernelINS0_13select_configILj256ELj13ELNS0_17block_load_methodE3ELS4_3ELS4_3ELNS0_20block_scan_algorithmE0ELj4294967295EEENS1_25partition_config_selectorILNS1_17partition_subalgoE3EjNS0_10empty_typeEbEEZZNS1_14partition_implILS8_3ELb0ES6_jNS0_17counting_iteratorIjlEEPS9_SE_NS0_5tupleIJPjSE_EEENSF_IJSE_SE_EEES9_SG_JZNS1_25segmented_radix_sort_implINS0_14default_configELb1EPKlPlSM_SN_N2at6native12_GLOBAL__N_18offset_tEEE10hipError_tPvRmT1_PNSt15iterator_traitsISV_E10value_typeET2_T3_PNSW_IS11_E10value_typeET4_jRbjT5_S17_jjP12ihipStream_tbEUljE_EEESS_ST_SU_S11_S15_S17_T6_T7_T9_mT8_S19_bDpT10_ENKUlT_T0_E_clISt17integral_constantIbLb1EES1L_IbLb0EEEEDaS1H_S1I_EUlS1H_E_NS1_11comp_targetILNS1_3genE4ELNS1_11target_archE910ELNS1_3gpuE8ELNS1_3repE0EEENS1_30default_config_static_selectorELNS0_4arch9wavefront6targetE1EEEvSV_.uses_vcc, 0
	.set _ZN7rocprim17ROCPRIM_400000_NS6detail17trampoline_kernelINS0_13select_configILj256ELj13ELNS0_17block_load_methodE3ELS4_3ELS4_3ELNS0_20block_scan_algorithmE0ELj4294967295EEENS1_25partition_config_selectorILNS1_17partition_subalgoE3EjNS0_10empty_typeEbEEZZNS1_14partition_implILS8_3ELb0ES6_jNS0_17counting_iteratorIjlEEPS9_SE_NS0_5tupleIJPjSE_EEENSF_IJSE_SE_EEES9_SG_JZNS1_25segmented_radix_sort_implINS0_14default_configELb1EPKlPlSM_SN_N2at6native12_GLOBAL__N_18offset_tEEE10hipError_tPvRmT1_PNSt15iterator_traitsISV_E10value_typeET2_T3_PNSW_IS11_E10value_typeET4_jRbjT5_S17_jjP12ihipStream_tbEUljE_EEESS_ST_SU_S11_S15_S17_T6_T7_T9_mT8_S19_bDpT10_ENKUlT_T0_E_clISt17integral_constantIbLb1EES1L_IbLb0EEEEDaS1H_S1I_EUlS1H_E_NS1_11comp_targetILNS1_3genE4ELNS1_11target_archE910ELNS1_3gpuE8ELNS1_3repE0EEENS1_30default_config_static_selectorELNS0_4arch9wavefront6targetE1EEEvSV_.uses_flat_scratch, 0
	.set _ZN7rocprim17ROCPRIM_400000_NS6detail17trampoline_kernelINS0_13select_configILj256ELj13ELNS0_17block_load_methodE3ELS4_3ELS4_3ELNS0_20block_scan_algorithmE0ELj4294967295EEENS1_25partition_config_selectorILNS1_17partition_subalgoE3EjNS0_10empty_typeEbEEZZNS1_14partition_implILS8_3ELb0ES6_jNS0_17counting_iteratorIjlEEPS9_SE_NS0_5tupleIJPjSE_EEENSF_IJSE_SE_EEES9_SG_JZNS1_25segmented_radix_sort_implINS0_14default_configELb1EPKlPlSM_SN_N2at6native12_GLOBAL__N_18offset_tEEE10hipError_tPvRmT1_PNSt15iterator_traitsISV_E10value_typeET2_T3_PNSW_IS11_E10value_typeET4_jRbjT5_S17_jjP12ihipStream_tbEUljE_EEESS_ST_SU_S11_S15_S17_T6_T7_T9_mT8_S19_bDpT10_ENKUlT_T0_E_clISt17integral_constantIbLb1EES1L_IbLb0EEEEDaS1H_S1I_EUlS1H_E_NS1_11comp_targetILNS1_3genE4ELNS1_11target_archE910ELNS1_3gpuE8ELNS1_3repE0EEENS1_30default_config_static_selectorELNS0_4arch9wavefront6targetE1EEEvSV_.has_dyn_sized_stack, 0
	.set _ZN7rocprim17ROCPRIM_400000_NS6detail17trampoline_kernelINS0_13select_configILj256ELj13ELNS0_17block_load_methodE3ELS4_3ELS4_3ELNS0_20block_scan_algorithmE0ELj4294967295EEENS1_25partition_config_selectorILNS1_17partition_subalgoE3EjNS0_10empty_typeEbEEZZNS1_14partition_implILS8_3ELb0ES6_jNS0_17counting_iteratorIjlEEPS9_SE_NS0_5tupleIJPjSE_EEENSF_IJSE_SE_EEES9_SG_JZNS1_25segmented_radix_sort_implINS0_14default_configELb1EPKlPlSM_SN_N2at6native12_GLOBAL__N_18offset_tEEE10hipError_tPvRmT1_PNSt15iterator_traitsISV_E10value_typeET2_T3_PNSW_IS11_E10value_typeET4_jRbjT5_S17_jjP12ihipStream_tbEUljE_EEESS_ST_SU_S11_S15_S17_T6_T7_T9_mT8_S19_bDpT10_ENKUlT_T0_E_clISt17integral_constantIbLb1EES1L_IbLb0EEEEDaS1H_S1I_EUlS1H_E_NS1_11comp_targetILNS1_3genE4ELNS1_11target_archE910ELNS1_3gpuE8ELNS1_3repE0EEENS1_30default_config_static_selectorELNS0_4arch9wavefront6targetE1EEEvSV_.has_recursion, 0
	.set _ZN7rocprim17ROCPRIM_400000_NS6detail17trampoline_kernelINS0_13select_configILj256ELj13ELNS0_17block_load_methodE3ELS4_3ELS4_3ELNS0_20block_scan_algorithmE0ELj4294967295EEENS1_25partition_config_selectorILNS1_17partition_subalgoE3EjNS0_10empty_typeEbEEZZNS1_14partition_implILS8_3ELb0ES6_jNS0_17counting_iteratorIjlEEPS9_SE_NS0_5tupleIJPjSE_EEENSF_IJSE_SE_EEES9_SG_JZNS1_25segmented_radix_sort_implINS0_14default_configELb1EPKlPlSM_SN_N2at6native12_GLOBAL__N_18offset_tEEE10hipError_tPvRmT1_PNSt15iterator_traitsISV_E10value_typeET2_T3_PNSW_IS11_E10value_typeET4_jRbjT5_S17_jjP12ihipStream_tbEUljE_EEESS_ST_SU_S11_S15_S17_T6_T7_T9_mT8_S19_bDpT10_ENKUlT_T0_E_clISt17integral_constantIbLb1EES1L_IbLb0EEEEDaS1H_S1I_EUlS1H_E_NS1_11comp_targetILNS1_3genE4ELNS1_11target_archE910ELNS1_3gpuE8ELNS1_3repE0EEENS1_30default_config_static_selectorELNS0_4arch9wavefront6targetE1EEEvSV_.has_indirect_call, 0
	.section	.AMDGPU.csdata,"",@progbits
; Kernel info:
; codeLenInByte = 0
; TotalNumSgprs: 4
; NumVgprs: 0
; ScratchSize: 0
; MemoryBound: 0
; FloatMode: 240
; IeeeMode: 1
; LDSByteSize: 0 bytes/workgroup (compile time only)
; SGPRBlocks: 0
; VGPRBlocks: 0
; NumSGPRsForWavesPerEU: 4
; NumVGPRsForWavesPerEU: 1
; Occupancy: 10
; WaveLimiterHint : 0
; COMPUTE_PGM_RSRC2:SCRATCH_EN: 0
; COMPUTE_PGM_RSRC2:USER_SGPR: 6
; COMPUTE_PGM_RSRC2:TRAP_HANDLER: 0
; COMPUTE_PGM_RSRC2:TGID_X_EN: 1
; COMPUTE_PGM_RSRC2:TGID_Y_EN: 0
; COMPUTE_PGM_RSRC2:TGID_Z_EN: 0
; COMPUTE_PGM_RSRC2:TIDIG_COMP_CNT: 0
	.section	.text._ZN7rocprim17ROCPRIM_400000_NS6detail17trampoline_kernelINS0_13select_configILj256ELj13ELNS0_17block_load_methodE3ELS4_3ELS4_3ELNS0_20block_scan_algorithmE0ELj4294967295EEENS1_25partition_config_selectorILNS1_17partition_subalgoE3EjNS0_10empty_typeEbEEZZNS1_14partition_implILS8_3ELb0ES6_jNS0_17counting_iteratorIjlEEPS9_SE_NS0_5tupleIJPjSE_EEENSF_IJSE_SE_EEES9_SG_JZNS1_25segmented_radix_sort_implINS0_14default_configELb1EPKlPlSM_SN_N2at6native12_GLOBAL__N_18offset_tEEE10hipError_tPvRmT1_PNSt15iterator_traitsISV_E10value_typeET2_T3_PNSW_IS11_E10value_typeET4_jRbjT5_S17_jjP12ihipStream_tbEUljE_EEESS_ST_SU_S11_S15_S17_T6_T7_T9_mT8_S19_bDpT10_ENKUlT_T0_E_clISt17integral_constantIbLb1EES1L_IbLb0EEEEDaS1H_S1I_EUlS1H_E_NS1_11comp_targetILNS1_3genE3ELNS1_11target_archE908ELNS1_3gpuE7ELNS1_3repE0EEENS1_30default_config_static_selectorELNS0_4arch9wavefront6targetE1EEEvSV_,"axG",@progbits,_ZN7rocprim17ROCPRIM_400000_NS6detail17trampoline_kernelINS0_13select_configILj256ELj13ELNS0_17block_load_methodE3ELS4_3ELS4_3ELNS0_20block_scan_algorithmE0ELj4294967295EEENS1_25partition_config_selectorILNS1_17partition_subalgoE3EjNS0_10empty_typeEbEEZZNS1_14partition_implILS8_3ELb0ES6_jNS0_17counting_iteratorIjlEEPS9_SE_NS0_5tupleIJPjSE_EEENSF_IJSE_SE_EEES9_SG_JZNS1_25segmented_radix_sort_implINS0_14default_configELb1EPKlPlSM_SN_N2at6native12_GLOBAL__N_18offset_tEEE10hipError_tPvRmT1_PNSt15iterator_traitsISV_E10value_typeET2_T3_PNSW_IS11_E10value_typeET4_jRbjT5_S17_jjP12ihipStream_tbEUljE_EEESS_ST_SU_S11_S15_S17_T6_T7_T9_mT8_S19_bDpT10_ENKUlT_T0_E_clISt17integral_constantIbLb1EES1L_IbLb0EEEEDaS1H_S1I_EUlS1H_E_NS1_11comp_targetILNS1_3genE3ELNS1_11target_archE908ELNS1_3gpuE7ELNS1_3repE0EEENS1_30default_config_static_selectorELNS0_4arch9wavefront6targetE1EEEvSV_,comdat
	.globl	_ZN7rocprim17ROCPRIM_400000_NS6detail17trampoline_kernelINS0_13select_configILj256ELj13ELNS0_17block_load_methodE3ELS4_3ELS4_3ELNS0_20block_scan_algorithmE0ELj4294967295EEENS1_25partition_config_selectorILNS1_17partition_subalgoE3EjNS0_10empty_typeEbEEZZNS1_14partition_implILS8_3ELb0ES6_jNS0_17counting_iteratorIjlEEPS9_SE_NS0_5tupleIJPjSE_EEENSF_IJSE_SE_EEES9_SG_JZNS1_25segmented_radix_sort_implINS0_14default_configELb1EPKlPlSM_SN_N2at6native12_GLOBAL__N_18offset_tEEE10hipError_tPvRmT1_PNSt15iterator_traitsISV_E10value_typeET2_T3_PNSW_IS11_E10value_typeET4_jRbjT5_S17_jjP12ihipStream_tbEUljE_EEESS_ST_SU_S11_S15_S17_T6_T7_T9_mT8_S19_bDpT10_ENKUlT_T0_E_clISt17integral_constantIbLb1EES1L_IbLb0EEEEDaS1H_S1I_EUlS1H_E_NS1_11comp_targetILNS1_3genE3ELNS1_11target_archE908ELNS1_3gpuE7ELNS1_3repE0EEENS1_30default_config_static_selectorELNS0_4arch9wavefront6targetE1EEEvSV_ ; -- Begin function _ZN7rocprim17ROCPRIM_400000_NS6detail17trampoline_kernelINS0_13select_configILj256ELj13ELNS0_17block_load_methodE3ELS4_3ELS4_3ELNS0_20block_scan_algorithmE0ELj4294967295EEENS1_25partition_config_selectorILNS1_17partition_subalgoE3EjNS0_10empty_typeEbEEZZNS1_14partition_implILS8_3ELb0ES6_jNS0_17counting_iteratorIjlEEPS9_SE_NS0_5tupleIJPjSE_EEENSF_IJSE_SE_EEES9_SG_JZNS1_25segmented_radix_sort_implINS0_14default_configELb1EPKlPlSM_SN_N2at6native12_GLOBAL__N_18offset_tEEE10hipError_tPvRmT1_PNSt15iterator_traitsISV_E10value_typeET2_T3_PNSW_IS11_E10value_typeET4_jRbjT5_S17_jjP12ihipStream_tbEUljE_EEESS_ST_SU_S11_S15_S17_T6_T7_T9_mT8_S19_bDpT10_ENKUlT_T0_E_clISt17integral_constantIbLb1EES1L_IbLb0EEEEDaS1H_S1I_EUlS1H_E_NS1_11comp_targetILNS1_3genE3ELNS1_11target_archE908ELNS1_3gpuE7ELNS1_3repE0EEENS1_30default_config_static_selectorELNS0_4arch9wavefront6targetE1EEEvSV_
	.p2align	8
	.type	_ZN7rocprim17ROCPRIM_400000_NS6detail17trampoline_kernelINS0_13select_configILj256ELj13ELNS0_17block_load_methodE3ELS4_3ELS4_3ELNS0_20block_scan_algorithmE0ELj4294967295EEENS1_25partition_config_selectorILNS1_17partition_subalgoE3EjNS0_10empty_typeEbEEZZNS1_14partition_implILS8_3ELb0ES6_jNS0_17counting_iteratorIjlEEPS9_SE_NS0_5tupleIJPjSE_EEENSF_IJSE_SE_EEES9_SG_JZNS1_25segmented_radix_sort_implINS0_14default_configELb1EPKlPlSM_SN_N2at6native12_GLOBAL__N_18offset_tEEE10hipError_tPvRmT1_PNSt15iterator_traitsISV_E10value_typeET2_T3_PNSW_IS11_E10value_typeET4_jRbjT5_S17_jjP12ihipStream_tbEUljE_EEESS_ST_SU_S11_S15_S17_T6_T7_T9_mT8_S19_bDpT10_ENKUlT_T0_E_clISt17integral_constantIbLb1EES1L_IbLb0EEEEDaS1H_S1I_EUlS1H_E_NS1_11comp_targetILNS1_3genE3ELNS1_11target_archE908ELNS1_3gpuE7ELNS1_3repE0EEENS1_30default_config_static_selectorELNS0_4arch9wavefront6targetE1EEEvSV_,@function
_ZN7rocprim17ROCPRIM_400000_NS6detail17trampoline_kernelINS0_13select_configILj256ELj13ELNS0_17block_load_methodE3ELS4_3ELS4_3ELNS0_20block_scan_algorithmE0ELj4294967295EEENS1_25partition_config_selectorILNS1_17partition_subalgoE3EjNS0_10empty_typeEbEEZZNS1_14partition_implILS8_3ELb0ES6_jNS0_17counting_iteratorIjlEEPS9_SE_NS0_5tupleIJPjSE_EEENSF_IJSE_SE_EEES9_SG_JZNS1_25segmented_radix_sort_implINS0_14default_configELb1EPKlPlSM_SN_N2at6native12_GLOBAL__N_18offset_tEEE10hipError_tPvRmT1_PNSt15iterator_traitsISV_E10value_typeET2_T3_PNSW_IS11_E10value_typeET4_jRbjT5_S17_jjP12ihipStream_tbEUljE_EEESS_ST_SU_S11_S15_S17_T6_T7_T9_mT8_S19_bDpT10_ENKUlT_T0_E_clISt17integral_constantIbLb1EES1L_IbLb0EEEEDaS1H_S1I_EUlS1H_E_NS1_11comp_targetILNS1_3genE3ELNS1_11target_archE908ELNS1_3gpuE7ELNS1_3repE0EEENS1_30default_config_static_selectorELNS0_4arch9wavefront6targetE1EEEvSV_: ; @_ZN7rocprim17ROCPRIM_400000_NS6detail17trampoline_kernelINS0_13select_configILj256ELj13ELNS0_17block_load_methodE3ELS4_3ELS4_3ELNS0_20block_scan_algorithmE0ELj4294967295EEENS1_25partition_config_selectorILNS1_17partition_subalgoE3EjNS0_10empty_typeEbEEZZNS1_14partition_implILS8_3ELb0ES6_jNS0_17counting_iteratorIjlEEPS9_SE_NS0_5tupleIJPjSE_EEENSF_IJSE_SE_EEES9_SG_JZNS1_25segmented_radix_sort_implINS0_14default_configELb1EPKlPlSM_SN_N2at6native12_GLOBAL__N_18offset_tEEE10hipError_tPvRmT1_PNSt15iterator_traitsISV_E10value_typeET2_T3_PNSW_IS11_E10value_typeET4_jRbjT5_S17_jjP12ihipStream_tbEUljE_EEESS_ST_SU_S11_S15_S17_T6_T7_T9_mT8_S19_bDpT10_ENKUlT_T0_E_clISt17integral_constantIbLb1EES1L_IbLb0EEEEDaS1H_S1I_EUlS1H_E_NS1_11comp_targetILNS1_3genE3ELNS1_11target_archE908ELNS1_3gpuE7ELNS1_3repE0EEENS1_30default_config_static_selectorELNS0_4arch9wavefront6targetE1EEEvSV_
; %bb.0:
	.section	.rodata,"a",@progbits
	.p2align	6, 0x0
	.amdhsa_kernel _ZN7rocprim17ROCPRIM_400000_NS6detail17trampoline_kernelINS0_13select_configILj256ELj13ELNS0_17block_load_methodE3ELS4_3ELS4_3ELNS0_20block_scan_algorithmE0ELj4294967295EEENS1_25partition_config_selectorILNS1_17partition_subalgoE3EjNS0_10empty_typeEbEEZZNS1_14partition_implILS8_3ELb0ES6_jNS0_17counting_iteratorIjlEEPS9_SE_NS0_5tupleIJPjSE_EEENSF_IJSE_SE_EEES9_SG_JZNS1_25segmented_radix_sort_implINS0_14default_configELb1EPKlPlSM_SN_N2at6native12_GLOBAL__N_18offset_tEEE10hipError_tPvRmT1_PNSt15iterator_traitsISV_E10value_typeET2_T3_PNSW_IS11_E10value_typeET4_jRbjT5_S17_jjP12ihipStream_tbEUljE_EEESS_ST_SU_S11_S15_S17_T6_T7_T9_mT8_S19_bDpT10_ENKUlT_T0_E_clISt17integral_constantIbLb1EES1L_IbLb0EEEEDaS1H_S1I_EUlS1H_E_NS1_11comp_targetILNS1_3genE3ELNS1_11target_archE908ELNS1_3gpuE7ELNS1_3repE0EEENS1_30default_config_static_selectorELNS0_4arch9wavefront6targetE1EEEvSV_
		.amdhsa_group_segment_fixed_size 0
		.amdhsa_private_segment_fixed_size 0
		.amdhsa_kernarg_size 144
		.amdhsa_user_sgpr_count 6
		.amdhsa_user_sgpr_private_segment_buffer 1
		.amdhsa_user_sgpr_dispatch_ptr 0
		.amdhsa_user_sgpr_queue_ptr 0
		.amdhsa_user_sgpr_kernarg_segment_ptr 1
		.amdhsa_user_sgpr_dispatch_id 0
		.amdhsa_user_sgpr_flat_scratch_init 0
		.amdhsa_user_sgpr_private_segment_size 0
		.amdhsa_uses_dynamic_stack 0
		.amdhsa_system_sgpr_private_segment_wavefront_offset 0
		.amdhsa_system_sgpr_workgroup_id_x 1
		.amdhsa_system_sgpr_workgroup_id_y 0
		.amdhsa_system_sgpr_workgroup_id_z 0
		.amdhsa_system_sgpr_workgroup_info 0
		.amdhsa_system_vgpr_workitem_id 0
		.amdhsa_next_free_vgpr 1
		.amdhsa_next_free_sgpr 0
		.amdhsa_reserve_vcc 0
		.amdhsa_reserve_flat_scratch 0
		.amdhsa_float_round_mode_32 0
		.amdhsa_float_round_mode_16_64 0
		.amdhsa_float_denorm_mode_32 3
		.amdhsa_float_denorm_mode_16_64 3
		.amdhsa_dx10_clamp 1
		.amdhsa_ieee_mode 1
		.amdhsa_fp16_overflow 0
		.amdhsa_exception_fp_ieee_invalid_op 0
		.amdhsa_exception_fp_denorm_src 0
		.amdhsa_exception_fp_ieee_div_zero 0
		.amdhsa_exception_fp_ieee_overflow 0
		.amdhsa_exception_fp_ieee_underflow 0
		.amdhsa_exception_fp_ieee_inexact 0
		.amdhsa_exception_int_div_zero 0
	.end_amdhsa_kernel
	.section	.text._ZN7rocprim17ROCPRIM_400000_NS6detail17trampoline_kernelINS0_13select_configILj256ELj13ELNS0_17block_load_methodE3ELS4_3ELS4_3ELNS0_20block_scan_algorithmE0ELj4294967295EEENS1_25partition_config_selectorILNS1_17partition_subalgoE3EjNS0_10empty_typeEbEEZZNS1_14partition_implILS8_3ELb0ES6_jNS0_17counting_iteratorIjlEEPS9_SE_NS0_5tupleIJPjSE_EEENSF_IJSE_SE_EEES9_SG_JZNS1_25segmented_radix_sort_implINS0_14default_configELb1EPKlPlSM_SN_N2at6native12_GLOBAL__N_18offset_tEEE10hipError_tPvRmT1_PNSt15iterator_traitsISV_E10value_typeET2_T3_PNSW_IS11_E10value_typeET4_jRbjT5_S17_jjP12ihipStream_tbEUljE_EEESS_ST_SU_S11_S15_S17_T6_T7_T9_mT8_S19_bDpT10_ENKUlT_T0_E_clISt17integral_constantIbLb1EES1L_IbLb0EEEEDaS1H_S1I_EUlS1H_E_NS1_11comp_targetILNS1_3genE3ELNS1_11target_archE908ELNS1_3gpuE7ELNS1_3repE0EEENS1_30default_config_static_selectorELNS0_4arch9wavefront6targetE1EEEvSV_,"axG",@progbits,_ZN7rocprim17ROCPRIM_400000_NS6detail17trampoline_kernelINS0_13select_configILj256ELj13ELNS0_17block_load_methodE3ELS4_3ELS4_3ELNS0_20block_scan_algorithmE0ELj4294967295EEENS1_25partition_config_selectorILNS1_17partition_subalgoE3EjNS0_10empty_typeEbEEZZNS1_14partition_implILS8_3ELb0ES6_jNS0_17counting_iteratorIjlEEPS9_SE_NS0_5tupleIJPjSE_EEENSF_IJSE_SE_EEES9_SG_JZNS1_25segmented_radix_sort_implINS0_14default_configELb1EPKlPlSM_SN_N2at6native12_GLOBAL__N_18offset_tEEE10hipError_tPvRmT1_PNSt15iterator_traitsISV_E10value_typeET2_T3_PNSW_IS11_E10value_typeET4_jRbjT5_S17_jjP12ihipStream_tbEUljE_EEESS_ST_SU_S11_S15_S17_T6_T7_T9_mT8_S19_bDpT10_ENKUlT_T0_E_clISt17integral_constantIbLb1EES1L_IbLb0EEEEDaS1H_S1I_EUlS1H_E_NS1_11comp_targetILNS1_3genE3ELNS1_11target_archE908ELNS1_3gpuE7ELNS1_3repE0EEENS1_30default_config_static_selectorELNS0_4arch9wavefront6targetE1EEEvSV_,comdat
.Lfunc_end691:
	.size	_ZN7rocprim17ROCPRIM_400000_NS6detail17trampoline_kernelINS0_13select_configILj256ELj13ELNS0_17block_load_methodE3ELS4_3ELS4_3ELNS0_20block_scan_algorithmE0ELj4294967295EEENS1_25partition_config_selectorILNS1_17partition_subalgoE3EjNS0_10empty_typeEbEEZZNS1_14partition_implILS8_3ELb0ES6_jNS0_17counting_iteratorIjlEEPS9_SE_NS0_5tupleIJPjSE_EEENSF_IJSE_SE_EEES9_SG_JZNS1_25segmented_radix_sort_implINS0_14default_configELb1EPKlPlSM_SN_N2at6native12_GLOBAL__N_18offset_tEEE10hipError_tPvRmT1_PNSt15iterator_traitsISV_E10value_typeET2_T3_PNSW_IS11_E10value_typeET4_jRbjT5_S17_jjP12ihipStream_tbEUljE_EEESS_ST_SU_S11_S15_S17_T6_T7_T9_mT8_S19_bDpT10_ENKUlT_T0_E_clISt17integral_constantIbLb1EES1L_IbLb0EEEEDaS1H_S1I_EUlS1H_E_NS1_11comp_targetILNS1_3genE3ELNS1_11target_archE908ELNS1_3gpuE7ELNS1_3repE0EEENS1_30default_config_static_selectorELNS0_4arch9wavefront6targetE1EEEvSV_, .Lfunc_end691-_ZN7rocprim17ROCPRIM_400000_NS6detail17trampoline_kernelINS0_13select_configILj256ELj13ELNS0_17block_load_methodE3ELS4_3ELS4_3ELNS0_20block_scan_algorithmE0ELj4294967295EEENS1_25partition_config_selectorILNS1_17partition_subalgoE3EjNS0_10empty_typeEbEEZZNS1_14partition_implILS8_3ELb0ES6_jNS0_17counting_iteratorIjlEEPS9_SE_NS0_5tupleIJPjSE_EEENSF_IJSE_SE_EEES9_SG_JZNS1_25segmented_radix_sort_implINS0_14default_configELb1EPKlPlSM_SN_N2at6native12_GLOBAL__N_18offset_tEEE10hipError_tPvRmT1_PNSt15iterator_traitsISV_E10value_typeET2_T3_PNSW_IS11_E10value_typeET4_jRbjT5_S17_jjP12ihipStream_tbEUljE_EEESS_ST_SU_S11_S15_S17_T6_T7_T9_mT8_S19_bDpT10_ENKUlT_T0_E_clISt17integral_constantIbLb1EES1L_IbLb0EEEEDaS1H_S1I_EUlS1H_E_NS1_11comp_targetILNS1_3genE3ELNS1_11target_archE908ELNS1_3gpuE7ELNS1_3repE0EEENS1_30default_config_static_selectorELNS0_4arch9wavefront6targetE1EEEvSV_
                                        ; -- End function
	.set _ZN7rocprim17ROCPRIM_400000_NS6detail17trampoline_kernelINS0_13select_configILj256ELj13ELNS0_17block_load_methodE3ELS4_3ELS4_3ELNS0_20block_scan_algorithmE0ELj4294967295EEENS1_25partition_config_selectorILNS1_17partition_subalgoE3EjNS0_10empty_typeEbEEZZNS1_14partition_implILS8_3ELb0ES6_jNS0_17counting_iteratorIjlEEPS9_SE_NS0_5tupleIJPjSE_EEENSF_IJSE_SE_EEES9_SG_JZNS1_25segmented_radix_sort_implINS0_14default_configELb1EPKlPlSM_SN_N2at6native12_GLOBAL__N_18offset_tEEE10hipError_tPvRmT1_PNSt15iterator_traitsISV_E10value_typeET2_T3_PNSW_IS11_E10value_typeET4_jRbjT5_S17_jjP12ihipStream_tbEUljE_EEESS_ST_SU_S11_S15_S17_T6_T7_T9_mT8_S19_bDpT10_ENKUlT_T0_E_clISt17integral_constantIbLb1EES1L_IbLb0EEEEDaS1H_S1I_EUlS1H_E_NS1_11comp_targetILNS1_3genE3ELNS1_11target_archE908ELNS1_3gpuE7ELNS1_3repE0EEENS1_30default_config_static_selectorELNS0_4arch9wavefront6targetE1EEEvSV_.num_vgpr, 0
	.set _ZN7rocprim17ROCPRIM_400000_NS6detail17trampoline_kernelINS0_13select_configILj256ELj13ELNS0_17block_load_methodE3ELS4_3ELS4_3ELNS0_20block_scan_algorithmE0ELj4294967295EEENS1_25partition_config_selectorILNS1_17partition_subalgoE3EjNS0_10empty_typeEbEEZZNS1_14partition_implILS8_3ELb0ES6_jNS0_17counting_iteratorIjlEEPS9_SE_NS0_5tupleIJPjSE_EEENSF_IJSE_SE_EEES9_SG_JZNS1_25segmented_radix_sort_implINS0_14default_configELb1EPKlPlSM_SN_N2at6native12_GLOBAL__N_18offset_tEEE10hipError_tPvRmT1_PNSt15iterator_traitsISV_E10value_typeET2_T3_PNSW_IS11_E10value_typeET4_jRbjT5_S17_jjP12ihipStream_tbEUljE_EEESS_ST_SU_S11_S15_S17_T6_T7_T9_mT8_S19_bDpT10_ENKUlT_T0_E_clISt17integral_constantIbLb1EES1L_IbLb0EEEEDaS1H_S1I_EUlS1H_E_NS1_11comp_targetILNS1_3genE3ELNS1_11target_archE908ELNS1_3gpuE7ELNS1_3repE0EEENS1_30default_config_static_selectorELNS0_4arch9wavefront6targetE1EEEvSV_.num_agpr, 0
	.set _ZN7rocprim17ROCPRIM_400000_NS6detail17trampoline_kernelINS0_13select_configILj256ELj13ELNS0_17block_load_methodE3ELS4_3ELS4_3ELNS0_20block_scan_algorithmE0ELj4294967295EEENS1_25partition_config_selectorILNS1_17partition_subalgoE3EjNS0_10empty_typeEbEEZZNS1_14partition_implILS8_3ELb0ES6_jNS0_17counting_iteratorIjlEEPS9_SE_NS0_5tupleIJPjSE_EEENSF_IJSE_SE_EEES9_SG_JZNS1_25segmented_radix_sort_implINS0_14default_configELb1EPKlPlSM_SN_N2at6native12_GLOBAL__N_18offset_tEEE10hipError_tPvRmT1_PNSt15iterator_traitsISV_E10value_typeET2_T3_PNSW_IS11_E10value_typeET4_jRbjT5_S17_jjP12ihipStream_tbEUljE_EEESS_ST_SU_S11_S15_S17_T6_T7_T9_mT8_S19_bDpT10_ENKUlT_T0_E_clISt17integral_constantIbLb1EES1L_IbLb0EEEEDaS1H_S1I_EUlS1H_E_NS1_11comp_targetILNS1_3genE3ELNS1_11target_archE908ELNS1_3gpuE7ELNS1_3repE0EEENS1_30default_config_static_selectorELNS0_4arch9wavefront6targetE1EEEvSV_.numbered_sgpr, 0
	.set _ZN7rocprim17ROCPRIM_400000_NS6detail17trampoline_kernelINS0_13select_configILj256ELj13ELNS0_17block_load_methodE3ELS4_3ELS4_3ELNS0_20block_scan_algorithmE0ELj4294967295EEENS1_25partition_config_selectorILNS1_17partition_subalgoE3EjNS0_10empty_typeEbEEZZNS1_14partition_implILS8_3ELb0ES6_jNS0_17counting_iteratorIjlEEPS9_SE_NS0_5tupleIJPjSE_EEENSF_IJSE_SE_EEES9_SG_JZNS1_25segmented_radix_sort_implINS0_14default_configELb1EPKlPlSM_SN_N2at6native12_GLOBAL__N_18offset_tEEE10hipError_tPvRmT1_PNSt15iterator_traitsISV_E10value_typeET2_T3_PNSW_IS11_E10value_typeET4_jRbjT5_S17_jjP12ihipStream_tbEUljE_EEESS_ST_SU_S11_S15_S17_T6_T7_T9_mT8_S19_bDpT10_ENKUlT_T0_E_clISt17integral_constantIbLb1EES1L_IbLb0EEEEDaS1H_S1I_EUlS1H_E_NS1_11comp_targetILNS1_3genE3ELNS1_11target_archE908ELNS1_3gpuE7ELNS1_3repE0EEENS1_30default_config_static_selectorELNS0_4arch9wavefront6targetE1EEEvSV_.num_named_barrier, 0
	.set _ZN7rocprim17ROCPRIM_400000_NS6detail17trampoline_kernelINS0_13select_configILj256ELj13ELNS0_17block_load_methodE3ELS4_3ELS4_3ELNS0_20block_scan_algorithmE0ELj4294967295EEENS1_25partition_config_selectorILNS1_17partition_subalgoE3EjNS0_10empty_typeEbEEZZNS1_14partition_implILS8_3ELb0ES6_jNS0_17counting_iteratorIjlEEPS9_SE_NS0_5tupleIJPjSE_EEENSF_IJSE_SE_EEES9_SG_JZNS1_25segmented_radix_sort_implINS0_14default_configELb1EPKlPlSM_SN_N2at6native12_GLOBAL__N_18offset_tEEE10hipError_tPvRmT1_PNSt15iterator_traitsISV_E10value_typeET2_T3_PNSW_IS11_E10value_typeET4_jRbjT5_S17_jjP12ihipStream_tbEUljE_EEESS_ST_SU_S11_S15_S17_T6_T7_T9_mT8_S19_bDpT10_ENKUlT_T0_E_clISt17integral_constantIbLb1EES1L_IbLb0EEEEDaS1H_S1I_EUlS1H_E_NS1_11comp_targetILNS1_3genE3ELNS1_11target_archE908ELNS1_3gpuE7ELNS1_3repE0EEENS1_30default_config_static_selectorELNS0_4arch9wavefront6targetE1EEEvSV_.private_seg_size, 0
	.set _ZN7rocprim17ROCPRIM_400000_NS6detail17trampoline_kernelINS0_13select_configILj256ELj13ELNS0_17block_load_methodE3ELS4_3ELS4_3ELNS0_20block_scan_algorithmE0ELj4294967295EEENS1_25partition_config_selectorILNS1_17partition_subalgoE3EjNS0_10empty_typeEbEEZZNS1_14partition_implILS8_3ELb0ES6_jNS0_17counting_iteratorIjlEEPS9_SE_NS0_5tupleIJPjSE_EEENSF_IJSE_SE_EEES9_SG_JZNS1_25segmented_radix_sort_implINS0_14default_configELb1EPKlPlSM_SN_N2at6native12_GLOBAL__N_18offset_tEEE10hipError_tPvRmT1_PNSt15iterator_traitsISV_E10value_typeET2_T3_PNSW_IS11_E10value_typeET4_jRbjT5_S17_jjP12ihipStream_tbEUljE_EEESS_ST_SU_S11_S15_S17_T6_T7_T9_mT8_S19_bDpT10_ENKUlT_T0_E_clISt17integral_constantIbLb1EES1L_IbLb0EEEEDaS1H_S1I_EUlS1H_E_NS1_11comp_targetILNS1_3genE3ELNS1_11target_archE908ELNS1_3gpuE7ELNS1_3repE0EEENS1_30default_config_static_selectorELNS0_4arch9wavefront6targetE1EEEvSV_.uses_vcc, 0
	.set _ZN7rocprim17ROCPRIM_400000_NS6detail17trampoline_kernelINS0_13select_configILj256ELj13ELNS0_17block_load_methodE3ELS4_3ELS4_3ELNS0_20block_scan_algorithmE0ELj4294967295EEENS1_25partition_config_selectorILNS1_17partition_subalgoE3EjNS0_10empty_typeEbEEZZNS1_14partition_implILS8_3ELb0ES6_jNS0_17counting_iteratorIjlEEPS9_SE_NS0_5tupleIJPjSE_EEENSF_IJSE_SE_EEES9_SG_JZNS1_25segmented_radix_sort_implINS0_14default_configELb1EPKlPlSM_SN_N2at6native12_GLOBAL__N_18offset_tEEE10hipError_tPvRmT1_PNSt15iterator_traitsISV_E10value_typeET2_T3_PNSW_IS11_E10value_typeET4_jRbjT5_S17_jjP12ihipStream_tbEUljE_EEESS_ST_SU_S11_S15_S17_T6_T7_T9_mT8_S19_bDpT10_ENKUlT_T0_E_clISt17integral_constantIbLb1EES1L_IbLb0EEEEDaS1H_S1I_EUlS1H_E_NS1_11comp_targetILNS1_3genE3ELNS1_11target_archE908ELNS1_3gpuE7ELNS1_3repE0EEENS1_30default_config_static_selectorELNS0_4arch9wavefront6targetE1EEEvSV_.uses_flat_scratch, 0
	.set _ZN7rocprim17ROCPRIM_400000_NS6detail17trampoline_kernelINS0_13select_configILj256ELj13ELNS0_17block_load_methodE3ELS4_3ELS4_3ELNS0_20block_scan_algorithmE0ELj4294967295EEENS1_25partition_config_selectorILNS1_17partition_subalgoE3EjNS0_10empty_typeEbEEZZNS1_14partition_implILS8_3ELb0ES6_jNS0_17counting_iteratorIjlEEPS9_SE_NS0_5tupleIJPjSE_EEENSF_IJSE_SE_EEES9_SG_JZNS1_25segmented_radix_sort_implINS0_14default_configELb1EPKlPlSM_SN_N2at6native12_GLOBAL__N_18offset_tEEE10hipError_tPvRmT1_PNSt15iterator_traitsISV_E10value_typeET2_T3_PNSW_IS11_E10value_typeET4_jRbjT5_S17_jjP12ihipStream_tbEUljE_EEESS_ST_SU_S11_S15_S17_T6_T7_T9_mT8_S19_bDpT10_ENKUlT_T0_E_clISt17integral_constantIbLb1EES1L_IbLb0EEEEDaS1H_S1I_EUlS1H_E_NS1_11comp_targetILNS1_3genE3ELNS1_11target_archE908ELNS1_3gpuE7ELNS1_3repE0EEENS1_30default_config_static_selectorELNS0_4arch9wavefront6targetE1EEEvSV_.has_dyn_sized_stack, 0
	.set _ZN7rocprim17ROCPRIM_400000_NS6detail17trampoline_kernelINS0_13select_configILj256ELj13ELNS0_17block_load_methodE3ELS4_3ELS4_3ELNS0_20block_scan_algorithmE0ELj4294967295EEENS1_25partition_config_selectorILNS1_17partition_subalgoE3EjNS0_10empty_typeEbEEZZNS1_14partition_implILS8_3ELb0ES6_jNS0_17counting_iteratorIjlEEPS9_SE_NS0_5tupleIJPjSE_EEENSF_IJSE_SE_EEES9_SG_JZNS1_25segmented_radix_sort_implINS0_14default_configELb1EPKlPlSM_SN_N2at6native12_GLOBAL__N_18offset_tEEE10hipError_tPvRmT1_PNSt15iterator_traitsISV_E10value_typeET2_T3_PNSW_IS11_E10value_typeET4_jRbjT5_S17_jjP12ihipStream_tbEUljE_EEESS_ST_SU_S11_S15_S17_T6_T7_T9_mT8_S19_bDpT10_ENKUlT_T0_E_clISt17integral_constantIbLb1EES1L_IbLb0EEEEDaS1H_S1I_EUlS1H_E_NS1_11comp_targetILNS1_3genE3ELNS1_11target_archE908ELNS1_3gpuE7ELNS1_3repE0EEENS1_30default_config_static_selectorELNS0_4arch9wavefront6targetE1EEEvSV_.has_recursion, 0
	.set _ZN7rocprim17ROCPRIM_400000_NS6detail17trampoline_kernelINS0_13select_configILj256ELj13ELNS0_17block_load_methodE3ELS4_3ELS4_3ELNS0_20block_scan_algorithmE0ELj4294967295EEENS1_25partition_config_selectorILNS1_17partition_subalgoE3EjNS0_10empty_typeEbEEZZNS1_14partition_implILS8_3ELb0ES6_jNS0_17counting_iteratorIjlEEPS9_SE_NS0_5tupleIJPjSE_EEENSF_IJSE_SE_EEES9_SG_JZNS1_25segmented_radix_sort_implINS0_14default_configELb1EPKlPlSM_SN_N2at6native12_GLOBAL__N_18offset_tEEE10hipError_tPvRmT1_PNSt15iterator_traitsISV_E10value_typeET2_T3_PNSW_IS11_E10value_typeET4_jRbjT5_S17_jjP12ihipStream_tbEUljE_EEESS_ST_SU_S11_S15_S17_T6_T7_T9_mT8_S19_bDpT10_ENKUlT_T0_E_clISt17integral_constantIbLb1EES1L_IbLb0EEEEDaS1H_S1I_EUlS1H_E_NS1_11comp_targetILNS1_3genE3ELNS1_11target_archE908ELNS1_3gpuE7ELNS1_3repE0EEENS1_30default_config_static_selectorELNS0_4arch9wavefront6targetE1EEEvSV_.has_indirect_call, 0
	.section	.AMDGPU.csdata,"",@progbits
; Kernel info:
; codeLenInByte = 0
; TotalNumSgprs: 4
; NumVgprs: 0
; ScratchSize: 0
; MemoryBound: 0
; FloatMode: 240
; IeeeMode: 1
; LDSByteSize: 0 bytes/workgroup (compile time only)
; SGPRBlocks: 0
; VGPRBlocks: 0
; NumSGPRsForWavesPerEU: 4
; NumVGPRsForWavesPerEU: 1
; Occupancy: 10
; WaveLimiterHint : 0
; COMPUTE_PGM_RSRC2:SCRATCH_EN: 0
; COMPUTE_PGM_RSRC2:USER_SGPR: 6
; COMPUTE_PGM_RSRC2:TRAP_HANDLER: 0
; COMPUTE_PGM_RSRC2:TGID_X_EN: 1
; COMPUTE_PGM_RSRC2:TGID_Y_EN: 0
; COMPUTE_PGM_RSRC2:TGID_Z_EN: 0
; COMPUTE_PGM_RSRC2:TIDIG_COMP_CNT: 0
	.section	.text._ZN7rocprim17ROCPRIM_400000_NS6detail17trampoline_kernelINS0_13select_configILj256ELj13ELNS0_17block_load_methodE3ELS4_3ELS4_3ELNS0_20block_scan_algorithmE0ELj4294967295EEENS1_25partition_config_selectorILNS1_17partition_subalgoE3EjNS0_10empty_typeEbEEZZNS1_14partition_implILS8_3ELb0ES6_jNS0_17counting_iteratorIjlEEPS9_SE_NS0_5tupleIJPjSE_EEENSF_IJSE_SE_EEES9_SG_JZNS1_25segmented_radix_sort_implINS0_14default_configELb1EPKlPlSM_SN_N2at6native12_GLOBAL__N_18offset_tEEE10hipError_tPvRmT1_PNSt15iterator_traitsISV_E10value_typeET2_T3_PNSW_IS11_E10value_typeET4_jRbjT5_S17_jjP12ihipStream_tbEUljE_EEESS_ST_SU_S11_S15_S17_T6_T7_T9_mT8_S19_bDpT10_ENKUlT_T0_E_clISt17integral_constantIbLb1EES1L_IbLb0EEEEDaS1H_S1I_EUlS1H_E_NS1_11comp_targetILNS1_3genE2ELNS1_11target_archE906ELNS1_3gpuE6ELNS1_3repE0EEENS1_30default_config_static_selectorELNS0_4arch9wavefront6targetE1EEEvSV_,"axG",@progbits,_ZN7rocprim17ROCPRIM_400000_NS6detail17trampoline_kernelINS0_13select_configILj256ELj13ELNS0_17block_load_methodE3ELS4_3ELS4_3ELNS0_20block_scan_algorithmE0ELj4294967295EEENS1_25partition_config_selectorILNS1_17partition_subalgoE3EjNS0_10empty_typeEbEEZZNS1_14partition_implILS8_3ELb0ES6_jNS0_17counting_iteratorIjlEEPS9_SE_NS0_5tupleIJPjSE_EEENSF_IJSE_SE_EEES9_SG_JZNS1_25segmented_radix_sort_implINS0_14default_configELb1EPKlPlSM_SN_N2at6native12_GLOBAL__N_18offset_tEEE10hipError_tPvRmT1_PNSt15iterator_traitsISV_E10value_typeET2_T3_PNSW_IS11_E10value_typeET4_jRbjT5_S17_jjP12ihipStream_tbEUljE_EEESS_ST_SU_S11_S15_S17_T6_T7_T9_mT8_S19_bDpT10_ENKUlT_T0_E_clISt17integral_constantIbLb1EES1L_IbLb0EEEEDaS1H_S1I_EUlS1H_E_NS1_11comp_targetILNS1_3genE2ELNS1_11target_archE906ELNS1_3gpuE6ELNS1_3repE0EEENS1_30default_config_static_selectorELNS0_4arch9wavefront6targetE1EEEvSV_,comdat
	.globl	_ZN7rocprim17ROCPRIM_400000_NS6detail17trampoline_kernelINS0_13select_configILj256ELj13ELNS0_17block_load_methodE3ELS4_3ELS4_3ELNS0_20block_scan_algorithmE0ELj4294967295EEENS1_25partition_config_selectorILNS1_17partition_subalgoE3EjNS0_10empty_typeEbEEZZNS1_14partition_implILS8_3ELb0ES6_jNS0_17counting_iteratorIjlEEPS9_SE_NS0_5tupleIJPjSE_EEENSF_IJSE_SE_EEES9_SG_JZNS1_25segmented_radix_sort_implINS0_14default_configELb1EPKlPlSM_SN_N2at6native12_GLOBAL__N_18offset_tEEE10hipError_tPvRmT1_PNSt15iterator_traitsISV_E10value_typeET2_T3_PNSW_IS11_E10value_typeET4_jRbjT5_S17_jjP12ihipStream_tbEUljE_EEESS_ST_SU_S11_S15_S17_T6_T7_T9_mT8_S19_bDpT10_ENKUlT_T0_E_clISt17integral_constantIbLb1EES1L_IbLb0EEEEDaS1H_S1I_EUlS1H_E_NS1_11comp_targetILNS1_3genE2ELNS1_11target_archE906ELNS1_3gpuE6ELNS1_3repE0EEENS1_30default_config_static_selectorELNS0_4arch9wavefront6targetE1EEEvSV_ ; -- Begin function _ZN7rocprim17ROCPRIM_400000_NS6detail17trampoline_kernelINS0_13select_configILj256ELj13ELNS0_17block_load_methodE3ELS4_3ELS4_3ELNS0_20block_scan_algorithmE0ELj4294967295EEENS1_25partition_config_selectorILNS1_17partition_subalgoE3EjNS0_10empty_typeEbEEZZNS1_14partition_implILS8_3ELb0ES6_jNS0_17counting_iteratorIjlEEPS9_SE_NS0_5tupleIJPjSE_EEENSF_IJSE_SE_EEES9_SG_JZNS1_25segmented_radix_sort_implINS0_14default_configELb1EPKlPlSM_SN_N2at6native12_GLOBAL__N_18offset_tEEE10hipError_tPvRmT1_PNSt15iterator_traitsISV_E10value_typeET2_T3_PNSW_IS11_E10value_typeET4_jRbjT5_S17_jjP12ihipStream_tbEUljE_EEESS_ST_SU_S11_S15_S17_T6_T7_T9_mT8_S19_bDpT10_ENKUlT_T0_E_clISt17integral_constantIbLb1EES1L_IbLb0EEEEDaS1H_S1I_EUlS1H_E_NS1_11comp_targetILNS1_3genE2ELNS1_11target_archE906ELNS1_3gpuE6ELNS1_3repE0EEENS1_30default_config_static_selectorELNS0_4arch9wavefront6targetE1EEEvSV_
	.p2align	8
	.type	_ZN7rocprim17ROCPRIM_400000_NS6detail17trampoline_kernelINS0_13select_configILj256ELj13ELNS0_17block_load_methodE3ELS4_3ELS4_3ELNS0_20block_scan_algorithmE0ELj4294967295EEENS1_25partition_config_selectorILNS1_17partition_subalgoE3EjNS0_10empty_typeEbEEZZNS1_14partition_implILS8_3ELb0ES6_jNS0_17counting_iteratorIjlEEPS9_SE_NS0_5tupleIJPjSE_EEENSF_IJSE_SE_EEES9_SG_JZNS1_25segmented_radix_sort_implINS0_14default_configELb1EPKlPlSM_SN_N2at6native12_GLOBAL__N_18offset_tEEE10hipError_tPvRmT1_PNSt15iterator_traitsISV_E10value_typeET2_T3_PNSW_IS11_E10value_typeET4_jRbjT5_S17_jjP12ihipStream_tbEUljE_EEESS_ST_SU_S11_S15_S17_T6_T7_T9_mT8_S19_bDpT10_ENKUlT_T0_E_clISt17integral_constantIbLb1EES1L_IbLb0EEEEDaS1H_S1I_EUlS1H_E_NS1_11comp_targetILNS1_3genE2ELNS1_11target_archE906ELNS1_3gpuE6ELNS1_3repE0EEENS1_30default_config_static_selectorELNS0_4arch9wavefront6targetE1EEEvSV_,@function
_ZN7rocprim17ROCPRIM_400000_NS6detail17trampoline_kernelINS0_13select_configILj256ELj13ELNS0_17block_load_methodE3ELS4_3ELS4_3ELNS0_20block_scan_algorithmE0ELj4294967295EEENS1_25partition_config_selectorILNS1_17partition_subalgoE3EjNS0_10empty_typeEbEEZZNS1_14partition_implILS8_3ELb0ES6_jNS0_17counting_iteratorIjlEEPS9_SE_NS0_5tupleIJPjSE_EEENSF_IJSE_SE_EEES9_SG_JZNS1_25segmented_radix_sort_implINS0_14default_configELb1EPKlPlSM_SN_N2at6native12_GLOBAL__N_18offset_tEEE10hipError_tPvRmT1_PNSt15iterator_traitsISV_E10value_typeET2_T3_PNSW_IS11_E10value_typeET4_jRbjT5_S17_jjP12ihipStream_tbEUljE_EEESS_ST_SU_S11_S15_S17_T6_T7_T9_mT8_S19_bDpT10_ENKUlT_T0_E_clISt17integral_constantIbLb1EES1L_IbLb0EEEEDaS1H_S1I_EUlS1H_E_NS1_11comp_targetILNS1_3genE2ELNS1_11target_archE906ELNS1_3gpuE6ELNS1_3repE0EEENS1_30default_config_static_selectorELNS0_4arch9wavefront6targetE1EEEvSV_: ; @_ZN7rocprim17ROCPRIM_400000_NS6detail17trampoline_kernelINS0_13select_configILj256ELj13ELNS0_17block_load_methodE3ELS4_3ELS4_3ELNS0_20block_scan_algorithmE0ELj4294967295EEENS1_25partition_config_selectorILNS1_17partition_subalgoE3EjNS0_10empty_typeEbEEZZNS1_14partition_implILS8_3ELb0ES6_jNS0_17counting_iteratorIjlEEPS9_SE_NS0_5tupleIJPjSE_EEENSF_IJSE_SE_EEES9_SG_JZNS1_25segmented_radix_sort_implINS0_14default_configELb1EPKlPlSM_SN_N2at6native12_GLOBAL__N_18offset_tEEE10hipError_tPvRmT1_PNSt15iterator_traitsISV_E10value_typeET2_T3_PNSW_IS11_E10value_typeET4_jRbjT5_S17_jjP12ihipStream_tbEUljE_EEESS_ST_SU_S11_S15_S17_T6_T7_T9_mT8_S19_bDpT10_ENKUlT_T0_E_clISt17integral_constantIbLb1EES1L_IbLb0EEEEDaS1H_S1I_EUlS1H_E_NS1_11comp_targetILNS1_3genE2ELNS1_11target_archE906ELNS1_3gpuE6ELNS1_3repE0EEENS1_30default_config_static_selectorELNS0_4arch9wavefront6targetE1EEEvSV_
; %bb.0:
	s_endpgm
	.section	.rodata,"a",@progbits
	.p2align	6, 0x0
	.amdhsa_kernel _ZN7rocprim17ROCPRIM_400000_NS6detail17trampoline_kernelINS0_13select_configILj256ELj13ELNS0_17block_load_methodE3ELS4_3ELS4_3ELNS0_20block_scan_algorithmE0ELj4294967295EEENS1_25partition_config_selectorILNS1_17partition_subalgoE3EjNS0_10empty_typeEbEEZZNS1_14partition_implILS8_3ELb0ES6_jNS0_17counting_iteratorIjlEEPS9_SE_NS0_5tupleIJPjSE_EEENSF_IJSE_SE_EEES9_SG_JZNS1_25segmented_radix_sort_implINS0_14default_configELb1EPKlPlSM_SN_N2at6native12_GLOBAL__N_18offset_tEEE10hipError_tPvRmT1_PNSt15iterator_traitsISV_E10value_typeET2_T3_PNSW_IS11_E10value_typeET4_jRbjT5_S17_jjP12ihipStream_tbEUljE_EEESS_ST_SU_S11_S15_S17_T6_T7_T9_mT8_S19_bDpT10_ENKUlT_T0_E_clISt17integral_constantIbLb1EES1L_IbLb0EEEEDaS1H_S1I_EUlS1H_E_NS1_11comp_targetILNS1_3genE2ELNS1_11target_archE906ELNS1_3gpuE6ELNS1_3repE0EEENS1_30default_config_static_selectorELNS0_4arch9wavefront6targetE1EEEvSV_
		.amdhsa_group_segment_fixed_size 0
		.amdhsa_private_segment_fixed_size 0
		.amdhsa_kernarg_size 144
		.amdhsa_user_sgpr_count 6
		.amdhsa_user_sgpr_private_segment_buffer 1
		.amdhsa_user_sgpr_dispatch_ptr 0
		.amdhsa_user_sgpr_queue_ptr 0
		.amdhsa_user_sgpr_kernarg_segment_ptr 1
		.amdhsa_user_sgpr_dispatch_id 0
		.amdhsa_user_sgpr_flat_scratch_init 0
		.amdhsa_user_sgpr_private_segment_size 0
		.amdhsa_uses_dynamic_stack 0
		.amdhsa_system_sgpr_private_segment_wavefront_offset 0
		.amdhsa_system_sgpr_workgroup_id_x 1
		.amdhsa_system_sgpr_workgroup_id_y 0
		.amdhsa_system_sgpr_workgroup_id_z 0
		.amdhsa_system_sgpr_workgroup_info 0
		.amdhsa_system_vgpr_workitem_id 0
		.amdhsa_next_free_vgpr 1
		.amdhsa_next_free_sgpr 0
		.amdhsa_reserve_vcc 0
		.amdhsa_reserve_flat_scratch 0
		.amdhsa_float_round_mode_32 0
		.amdhsa_float_round_mode_16_64 0
		.amdhsa_float_denorm_mode_32 3
		.amdhsa_float_denorm_mode_16_64 3
		.amdhsa_dx10_clamp 1
		.amdhsa_ieee_mode 1
		.amdhsa_fp16_overflow 0
		.amdhsa_exception_fp_ieee_invalid_op 0
		.amdhsa_exception_fp_denorm_src 0
		.amdhsa_exception_fp_ieee_div_zero 0
		.amdhsa_exception_fp_ieee_overflow 0
		.amdhsa_exception_fp_ieee_underflow 0
		.amdhsa_exception_fp_ieee_inexact 0
		.amdhsa_exception_int_div_zero 0
	.end_amdhsa_kernel
	.section	.text._ZN7rocprim17ROCPRIM_400000_NS6detail17trampoline_kernelINS0_13select_configILj256ELj13ELNS0_17block_load_methodE3ELS4_3ELS4_3ELNS0_20block_scan_algorithmE0ELj4294967295EEENS1_25partition_config_selectorILNS1_17partition_subalgoE3EjNS0_10empty_typeEbEEZZNS1_14partition_implILS8_3ELb0ES6_jNS0_17counting_iteratorIjlEEPS9_SE_NS0_5tupleIJPjSE_EEENSF_IJSE_SE_EEES9_SG_JZNS1_25segmented_radix_sort_implINS0_14default_configELb1EPKlPlSM_SN_N2at6native12_GLOBAL__N_18offset_tEEE10hipError_tPvRmT1_PNSt15iterator_traitsISV_E10value_typeET2_T3_PNSW_IS11_E10value_typeET4_jRbjT5_S17_jjP12ihipStream_tbEUljE_EEESS_ST_SU_S11_S15_S17_T6_T7_T9_mT8_S19_bDpT10_ENKUlT_T0_E_clISt17integral_constantIbLb1EES1L_IbLb0EEEEDaS1H_S1I_EUlS1H_E_NS1_11comp_targetILNS1_3genE2ELNS1_11target_archE906ELNS1_3gpuE6ELNS1_3repE0EEENS1_30default_config_static_selectorELNS0_4arch9wavefront6targetE1EEEvSV_,"axG",@progbits,_ZN7rocprim17ROCPRIM_400000_NS6detail17trampoline_kernelINS0_13select_configILj256ELj13ELNS0_17block_load_methodE3ELS4_3ELS4_3ELNS0_20block_scan_algorithmE0ELj4294967295EEENS1_25partition_config_selectorILNS1_17partition_subalgoE3EjNS0_10empty_typeEbEEZZNS1_14partition_implILS8_3ELb0ES6_jNS0_17counting_iteratorIjlEEPS9_SE_NS0_5tupleIJPjSE_EEENSF_IJSE_SE_EEES9_SG_JZNS1_25segmented_radix_sort_implINS0_14default_configELb1EPKlPlSM_SN_N2at6native12_GLOBAL__N_18offset_tEEE10hipError_tPvRmT1_PNSt15iterator_traitsISV_E10value_typeET2_T3_PNSW_IS11_E10value_typeET4_jRbjT5_S17_jjP12ihipStream_tbEUljE_EEESS_ST_SU_S11_S15_S17_T6_T7_T9_mT8_S19_bDpT10_ENKUlT_T0_E_clISt17integral_constantIbLb1EES1L_IbLb0EEEEDaS1H_S1I_EUlS1H_E_NS1_11comp_targetILNS1_3genE2ELNS1_11target_archE906ELNS1_3gpuE6ELNS1_3repE0EEENS1_30default_config_static_selectorELNS0_4arch9wavefront6targetE1EEEvSV_,comdat
.Lfunc_end692:
	.size	_ZN7rocprim17ROCPRIM_400000_NS6detail17trampoline_kernelINS0_13select_configILj256ELj13ELNS0_17block_load_methodE3ELS4_3ELS4_3ELNS0_20block_scan_algorithmE0ELj4294967295EEENS1_25partition_config_selectorILNS1_17partition_subalgoE3EjNS0_10empty_typeEbEEZZNS1_14partition_implILS8_3ELb0ES6_jNS0_17counting_iteratorIjlEEPS9_SE_NS0_5tupleIJPjSE_EEENSF_IJSE_SE_EEES9_SG_JZNS1_25segmented_radix_sort_implINS0_14default_configELb1EPKlPlSM_SN_N2at6native12_GLOBAL__N_18offset_tEEE10hipError_tPvRmT1_PNSt15iterator_traitsISV_E10value_typeET2_T3_PNSW_IS11_E10value_typeET4_jRbjT5_S17_jjP12ihipStream_tbEUljE_EEESS_ST_SU_S11_S15_S17_T6_T7_T9_mT8_S19_bDpT10_ENKUlT_T0_E_clISt17integral_constantIbLb1EES1L_IbLb0EEEEDaS1H_S1I_EUlS1H_E_NS1_11comp_targetILNS1_3genE2ELNS1_11target_archE906ELNS1_3gpuE6ELNS1_3repE0EEENS1_30default_config_static_selectorELNS0_4arch9wavefront6targetE1EEEvSV_, .Lfunc_end692-_ZN7rocprim17ROCPRIM_400000_NS6detail17trampoline_kernelINS0_13select_configILj256ELj13ELNS0_17block_load_methodE3ELS4_3ELS4_3ELNS0_20block_scan_algorithmE0ELj4294967295EEENS1_25partition_config_selectorILNS1_17partition_subalgoE3EjNS0_10empty_typeEbEEZZNS1_14partition_implILS8_3ELb0ES6_jNS0_17counting_iteratorIjlEEPS9_SE_NS0_5tupleIJPjSE_EEENSF_IJSE_SE_EEES9_SG_JZNS1_25segmented_radix_sort_implINS0_14default_configELb1EPKlPlSM_SN_N2at6native12_GLOBAL__N_18offset_tEEE10hipError_tPvRmT1_PNSt15iterator_traitsISV_E10value_typeET2_T3_PNSW_IS11_E10value_typeET4_jRbjT5_S17_jjP12ihipStream_tbEUljE_EEESS_ST_SU_S11_S15_S17_T6_T7_T9_mT8_S19_bDpT10_ENKUlT_T0_E_clISt17integral_constantIbLb1EES1L_IbLb0EEEEDaS1H_S1I_EUlS1H_E_NS1_11comp_targetILNS1_3genE2ELNS1_11target_archE906ELNS1_3gpuE6ELNS1_3repE0EEENS1_30default_config_static_selectorELNS0_4arch9wavefront6targetE1EEEvSV_
                                        ; -- End function
	.set _ZN7rocprim17ROCPRIM_400000_NS6detail17trampoline_kernelINS0_13select_configILj256ELj13ELNS0_17block_load_methodE3ELS4_3ELS4_3ELNS0_20block_scan_algorithmE0ELj4294967295EEENS1_25partition_config_selectorILNS1_17partition_subalgoE3EjNS0_10empty_typeEbEEZZNS1_14partition_implILS8_3ELb0ES6_jNS0_17counting_iteratorIjlEEPS9_SE_NS0_5tupleIJPjSE_EEENSF_IJSE_SE_EEES9_SG_JZNS1_25segmented_radix_sort_implINS0_14default_configELb1EPKlPlSM_SN_N2at6native12_GLOBAL__N_18offset_tEEE10hipError_tPvRmT1_PNSt15iterator_traitsISV_E10value_typeET2_T3_PNSW_IS11_E10value_typeET4_jRbjT5_S17_jjP12ihipStream_tbEUljE_EEESS_ST_SU_S11_S15_S17_T6_T7_T9_mT8_S19_bDpT10_ENKUlT_T0_E_clISt17integral_constantIbLb1EES1L_IbLb0EEEEDaS1H_S1I_EUlS1H_E_NS1_11comp_targetILNS1_3genE2ELNS1_11target_archE906ELNS1_3gpuE6ELNS1_3repE0EEENS1_30default_config_static_selectorELNS0_4arch9wavefront6targetE1EEEvSV_.num_vgpr, 0
	.set _ZN7rocprim17ROCPRIM_400000_NS6detail17trampoline_kernelINS0_13select_configILj256ELj13ELNS0_17block_load_methodE3ELS4_3ELS4_3ELNS0_20block_scan_algorithmE0ELj4294967295EEENS1_25partition_config_selectorILNS1_17partition_subalgoE3EjNS0_10empty_typeEbEEZZNS1_14partition_implILS8_3ELb0ES6_jNS0_17counting_iteratorIjlEEPS9_SE_NS0_5tupleIJPjSE_EEENSF_IJSE_SE_EEES9_SG_JZNS1_25segmented_radix_sort_implINS0_14default_configELb1EPKlPlSM_SN_N2at6native12_GLOBAL__N_18offset_tEEE10hipError_tPvRmT1_PNSt15iterator_traitsISV_E10value_typeET2_T3_PNSW_IS11_E10value_typeET4_jRbjT5_S17_jjP12ihipStream_tbEUljE_EEESS_ST_SU_S11_S15_S17_T6_T7_T9_mT8_S19_bDpT10_ENKUlT_T0_E_clISt17integral_constantIbLb1EES1L_IbLb0EEEEDaS1H_S1I_EUlS1H_E_NS1_11comp_targetILNS1_3genE2ELNS1_11target_archE906ELNS1_3gpuE6ELNS1_3repE0EEENS1_30default_config_static_selectorELNS0_4arch9wavefront6targetE1EEEvSV_.num_agpr, 0
	.set _ZN7rocprim17ROCPRIM_400000_NS6detail17trampoline_kernelINS0_13select_configILj256ELj13ELNS0_17block_load_methodE3ELS4_3ELS4_3ELNS0_20block_scan_algorithmE0ELj4294967295EEENS1_25partition_config_selectorILNS1_17partition_subalgoE3EjNS0_10empty_typeEbEEZZNS1_14partition_implILS8_3ELb0ES6_jNS0_17counting_iteratorIjlEEPS9_SE_NS0_5tupleIJPjSE_EEENSF_IJSE_SE_EEES9_SG_JZNS1_25segmented_radix_sort_implINS0_14default_configELb1EPKlPlSM_SN_N2at6native12_GLOBAL__N_18offset_tEEE10hipError_tPvRmT1_PNSt15iterator_traitsISV_E10value_typeET2_T3_PNSW_IS11_E10value_typeET4_jRbjT5_S17_jjP12ihipStream_tbEUljE_EEESS_ST_SU_S11_S15_S17_T6_T7_T9_mT8_S19_bDpT10_ENKUlT_T0_E_clISt17integral_constantIbLb1EES1L_IbLb0EEEEDaS1H_S1I_EUlS1H_E_NS1_11comp_targetILNS1_3genE2ELNS1_11target_archE906ELNS1_3gpuE6ELNS1_3repE0EEENS1_30default_config_static_selectorELNS0_4arch9wavefront6targetE1EEEvSV_.numbered_sgpr, 0
	.set _ZN7rocprim17ROCPRIM_400000_NS6detail17trampoline_kernelINS0_13select_configILj256ELj13ELNS0_17block_load_methodE3ELS4_3ELS4_3ELNS0_20block_scan_algorithmE0ELj4294967295EEENS1_25partition_config_selectorILNS1_17partition_subalgoE3EjNS0_10empty_typeEbEEZZNS1_14partition_implILS8_3ELb0ES6_jNS0_17counting_iteratorIjlEEPS9_SE_NS0_5tupleIJPjSE_EEENSF_IJSE_SE_EEES9_SG_JZNS1_25segmented_radix_sort_implINS0_14default_configELb1EPKlPlSM_SN_N2at6native12_GLOBAL__N_18offset_tEEE10hipError_tPvRmT1_PNSt15iterator_traitsISV_E10value_typeET2_T3_PNSW_IS11_E10value_typeET4_jRbjT5_S17_jjP12ihipStream_tbEUljE_EEESS_ST_SU_S11_S15_S17_T6_T7_T9_mT8_S19_bDpT10_ENKUlT_T0_E_clISt17integral_constantIbLb1EES1L_IbLb0EEEEDaS1H_S1I_EUlS1H_E_NS1_11comp_targetILNS1_3genE2ELNS1_11target_archE906ELNS1_3gpuE6ELNS1_3repE0EEENS1_30default_config_static_selectorELNS0_4arch9wavefront6targetE1EEEvSV_.num_named_barrier, 0
	.set _ZN7rocprim17ROCPRIM_400000_NS6detail17trampoline_kernelINS0_13select_configILj256ELj13ELNS0_17block_load_methodE3ELS4_3ELS4_3ELNS0_20block_scan_algorithmE0ELj4294967295EEENS1_25partition_config_selectorILNS1_17partition_subalgoE3EjNS0_10empty_typeEbEEZZNS1_14partition_implILS8_3ELb0ES6_jNS0_17counting_iteratorIjlEEPS9_SE_NS0_5tupleIJPjSE_EEENSF_IJSE_SE_EEES9_SG_JZNS1_25segmented_radix_sort_implINS0_14default_configELb1EPKlPlSM_SN_N2at6native12_GLOBAL__N_18offset_tEEE10hipError_tPvRmT1_PNSt15iterator_traitsISV_E10value_typeET2_T3_PNSW_IS11_E10value_typeET4_jRbjT5_S17_jjP12ihipStream_tbEUljE_EEESS_ST_SU_S11_S15_S17_T6_T7_T9_mT8_S19_bDpT10_ENKUlT_T0_E_clISt17integral_constantIbLb1EES1L_IbLb0EEEEDaS1H_S1I_EUlS1H_E_NS1_11comp_targetILNS1_3genE2ELNS1_11target_archE906ELNS1_3gpuE6ELNS1_3repE0EEENS1_30default_config_static_selectorELNS0_4arch9wavefront6targetE1EEEvSV_.private_seg_size, 0
	.set _ZN7rocprim17ROCPRIM_400000_NS6detail17trampoline_kernelINS0_13select_configILj256ELj13ELNS0_17block_load_methodE3ELS4_3ELS4_3ELNS0_20block_scan_algorithmE0ELj4294967295EEENS1_25partition_config_selectorILNS1_17partition_subalgoE3EjNS0_10empty_typeEbEEZZNS1_14partition_implILS8_3ELb0ES6_jNS0_17counting_iteratorIjlEEPS9_SE_NS0_5tupleIJPjSE_EEENSF_IJSE_SE_EEES9_SG_JZNS1_25segmented_radix_sort_implINS0_14default_configELb1EPKlPlSM_SN_N2at6native12_GLOBAL__N_18offset_tEEE10hipError_tPvRmT1_PNSt15iterator_traitsISV_E10value_typeET2_T3_PNSW_IS11_E10value_typeET4_jRbjT5_S17_jjP12ihipStream_tbEUljE_EEESS_ST_SU_S11_S15_S17_T6_T7_T9_mT8_S19_bDpT10_ENKUlT_T0_E_clISt17integral_constantIbLb1EES1L_IbLb0EEEEDaS1H_S1I_EUlS1H_E_NS1_11comp_targetILNS1_3genE2ELNS1_11target_archE906ELNS1_3gpuE6ELNS1_3repE0EEENS1_30default_config_static_selectorELNS0_4arch9wavefront6targetE1EEEvSV_.uses_vcc, 0
	.set _ZN7rocprim17ROCPRIM_400000_NS6detail17trampoline_kernelINS0_13select_configILj256ELj13ELNS0_17block_load_methodE3ELS4_3ELS4_3ELNS0_20block_scan_algorithmE0ELj4294967295EEENS1_25partition_config_selectorILNS1_17partition_subalgoE3EjNS0_10empty_typeEbEEZZNS1_14partition_implILS8_3ELb0ES6_jNS0_17counting_iteratorIjlEEPS9_SE_NS0_5tupleIJPjSE_EEENSF_IJSE_SE_EEES9_SG_JZNS1_25segmented_radix_sort_implINS0_14default_configELb1EPKlPlSM_SN_N2at6native12_GLOBAL__N_18offset_tEEE10hipError_tPvRmT1_PNSt15iterator_traitsISV_E10value_typeET2_T3_PNSW_IS11_E10value_typeET4_jRbjT5_S17_jjP12ihipStream_tbEUljE_EEESS_ST_SU_S11_S15_S17_T6_T7_T9_mT8_S19_bDpT10_ENKUlT_T0_E_clISt17integral_constantIbLb1EES1L_IbLb0EEEEDaS1H_S1I_EUlS1H_E_NS1_11comp_targetILNS1_3genE2ELNS1_11target_archE906ELNS1_3gpuE6ELNS1_3repE0EEENS1_30default_config_static_selectorELNS0_4arch9wavefront6targetE1EEEvSV_.uses_flat_scratch, 0
	.set _ZN7rocprim17ROCPRIM_400000_NS6detail17trampoline_kernelINS0_13select_configILj256ELj13ELNS0_17block_load_methodE3ELS4_3ELS4_3ELNS0_20block_scan_algorithmE0ELj4294967295EEENS1_25partition_config_selectorILNS1_17partition_subalgoE3EjNS0_10empty_typeEbEEZZNS1_14partition_implILS8_3ELb0ES6_jNS0_17counting_iteratorIjlEEPS9_SE_NS0_5tupleIJPjSE_EEENSF_IJSE_SE_EEES9_SG_JZNS1_25segmented_radix_sort_implINS0_14default_configELb1EPKlPlSM_SN_N2at6native12_GLOBAL__N_18offset_tEEE10hipError_tPvRmT1_PNSt15iterator_traitsISV_E10value_typeET2_T3_PNSW_IS11_E10value_typeET4_jRbjT5_S17_jjP12ihipStream_tbEUljE_EEESS_ST_SU_S11_S15_S17_T6_T7_T9_mT8_S19_bDpT10_ENKUlT_T0_E_clISt17integral_constantIbLb1EES1L_IbLb0EEEEDaS1H_S1I_EUlS1H_E_NS1_11comp_targetILNS1_3genE2ELNS1_11target_archE906ELNS1_3gpuE6ELNS1_3repE0EEENS1_30default_config_static_selectorELNS0_4arch9wavefront6targetE1EEEvSV_.has_dyn_sized_stack, 0
	.set _ZN7rocprim17ROCPRIM_400000_NS6detail17trampoline_kernelINS0_13select_configILj256ELj13ELNS0_17block_load_methodE3ELS4_3ELS4_3ELNS0_20block_scan_algorithmE0ELj4294967295EEENS1_25partition_config_selectorILNS1_17partition_subalgoE3EjNS0_10empty_typeEbEEZZNS1_14partition_implILS8_3ELb0ES6_jNS0_17counting_iteratorIjlEEPS9_SE_NS0_5tupleIJPjSE_EEENSF_IJSE_SE_EEES9_SG_JZNS1_25segmented_radix_sort_implINS0_14default_configELb1EPKlPlSM_SN_N2at6native12_GLOBAL__N_18offset_tEEE10hipError_tPvRmT1_PNSt15iterator_traitsISV_E10value_typeET2_T3_PNSW_IS11_E10value_typeET4_jRbjT5_S17_jjP12ihipStream_tbEUljE_EEESS_ST_SU_S11_S15_S17_T6_T7_T9_mT8_S19_bDpT10_ENKUlT_T0_E_clISt17integral_constantIbLb1EES1L_IbLb0EEEEDaS1H_S1I_EUlS1H_E_NS1_11comp_targetILNS1_3genE2ELNS1_11target_archE906ELNS1_3gpuE6ELNS1_3repE0EEENS1_30default_config_static_selectorELNS0_4arch9wavefront6targetE1EEEvSV_.has_recursion, 0
	.set _ZN7rocprim17ROCPRIM_400000_NS6detail17trampoline_kernelINS0_13select_configILj256ELj13ELNS0_17block_load_methodE3ELS4_3ELS4_3ELNS0_20block_scan_algorithmE0ELj4294967295EEENS1_25partition_config_selectorILNS1_17partition_subalgoE3EjNS0_10empty_typeEbEEZZNS1_14partition_implILS8_3ELb0ES6_jNS0_17counting_iteratorIjlEEPS9_SE_NS0_5tupleIJPjSE_EEENSF_IJSE_SE_EEES9_SG_JZNS1_25segmented_radix_sort_implINS0_14default_configELb1EPKlPlSM_SN_N2at6native12_GLOBAL__N_18offset_tEEE10hipError_tPvRmT1_PNSt15iterator_traitsISV_E10value_typeET2_T3_PNSW_IS11_E10value_typeET4_jRbjT5_S17_jjP12ihipStream_tbEUljE_EEESS_ST_SU_S11_S15_S17_T6_T7_T9_mT8_S19_bDpT10_ENKUlT_T0_E_clISt17integral_constantIbLb1EES1L_IbLb0EEEEDaS1H_S1I_EUlS1H_E_NS1_11comp_targetILNS1_3genE2ELNS1_11target_archE906ELNS1_3gpuE6ELNS1_3repE0EEENS1_30default_config_static_selectorELNS0_4arch9wavefront6targetE1EEEvSV_.has_indirect_call, 0
	.section	.AMDGPU.csdata,"",@progbits
; Kernel info:
; codeLenInByte = 4
; TotalNumSgprs: 4
; NumVgprs: 0
; ScratchSize: 0
; MemoryBound: 0
; FloatMode: 240
; IeeeMode: 1
; LDSByteSize: 0 bytes/workgroup (compile time only)
; SGPRBlocks: 0
; VGPRBlocks: 0
; NumSGPRsForWavesPerEU: 4
; NumVGPRsForWavesPerEU: 1
; Occupancy: 10
; WaveLimiterHint : 0
; COMPUTE_PGM_RSRC2:SCRATCH_EN: 0
; COMPUTE_PGM_RSRC2:USER_SGPR: 6
; COMPUTE_PGM_RSRC2:TRAP_HANDLER: 0
; COMPUTE_PGM_RSRC2:TGID_X_EN: 1
; COMPUTE_PGM_RSRC2:TGID_Y_EN: 0
; COMPUTE_PGM_RSRC2:TGID_Z_EN: 0
; COMPUTE_PGM_RSRC2:TIDIG_COMP_CNT: 0
	.section	.text._ZN7rocprim17ROCPRIM_400000_NS6detail17trampoline_kernelINS0_13select_configILj256ELj13ELNS0_17block_load_methodE3ELS4_3ELS4_3ELNS0_20block_scan_algorithmE0ELj4294967295EEENS1_25partition_config_selectorILNS1_17partition_subalgoE3EjNS0_10empty_typeEbEEZZNS1_14partition_implILS8_3ELb0ES6_jNS0_17counting_iteratorIjlEEPS9_SE_NS0_5tupleIJPjSE_EEENSF_IJSE_SE_EEES9_SG_JZNS1_25segmented_radix_sort_implINS0_14default_configELb1EPKlPlSM_SN_N2at6native12_GLOBAL__N_18offset_tEEE10hipError_tPvRmT1_PNSt15iterator_traitsISV_E10value_typeET2_T3_PNSW_IS11_E10value_typeET4_jRbjT5_S17_jjP12ihipStream_tbEUljE_EEESS_ST_SU_S11_S15_S17_T6_T7_T9_mT8_S19_bDpT10_ENKUlT_T0_E_clISt17integral_constantIbLb1EES1L_IbLb0EEEEDaS1H_S1I_EUlS1H_E_NS1_11comp_targetILNS1_3genE10ELNS1_11target_archE1200ELNS1_3gpuE4ELNS1_3repE0EEENS1_30default_config_static_selectorELNS0_4arch9wavefront6targetE1EEEvSV_,"axG",@progbits,_ZN7rocprim17ROCPRIM_400000_NS6detail17trampoline_kernelINS0_13select_configILj256ELj13ELNS0_17block_load_methodE3ELS4_3ELS4_3ELNS0_20block_scan_algorithmE0ELj4294967295EEENS1_25partition_config_selectorILNS1_17partition_subalgoE3EjNS0_10empty_typeEbEEZZNS1_14partition_implILS8_3ELb0ES6_jNS0_17counting_iteratorIjlEEPS9_SE_NS0_5tupleIJPjSE_EEENSF_IJSE_SE_EEES9_SG_JZNS1_25segmented_radix_sort_implINS0_14default_configELb1EPKlPlSM_SN_N2at6native12_GLOBAL__N_18offset_tEEE10hipError_tPvRmT1_PNSt15iterator_traitsISV_E10value_typeET2_T3_PNSW_IS11_E10value_typeET4_jRbjT5_S17_jjP12ihipStream_tbEUljE_EEESS_ST_SU_S11_S15_S17_T6_T7_T9_mT8_S19_bDpT10_ENKUlT_T0_E_clISt17integral_constantIbLb1EES1L_IbLb0EEEEDaS1H_S1I_EUlS1H_E_NS1_11comp_targetILNS1_3genE10ELNS1_11target_archE1200ELNS1_3gpuE4ELNS1_3repE0EEENS1_30default_config_static_selectorELNS0_4arch9wavefront6targetE1EEEvSV_,comdat
	.globl	_ZN7rocprim17ROCPRIM_400000_NS6detail17trampoline_kernelINS0_13select_configILj256ELj13ELNS0_17block_load_methodE3ELS4_3ELS4_3ELNS0_20block_scan_algorithmE0ELj4294967295EEENS1_25partition_config_selectorILNS1_17partition_subalgoE3EjNS0_10empty_typeEbEEZZNS1_14partition_implILS8_3ELb0ES6_jNS0_17counting_iteratorIjlEEPS9_SE_NS0_5tupleIJPjSE_EEENSF_IJSE_SE_EEES9_SG_JZNS1_25segmented_radix_sort_implINS0_14default_configELb1EPKlPlSM_SN_N2at6native12_GLOBAL__N_18offset_tEEE10hipError_tPvRmT1_PNSt15iterator_traitsISV_E10value_typeET2_T3_PNSW_IS11_E10value_typeET4_jRbjT5_S17_jjP12ihipStream_tbEUljE_EEESS_ST_SU_S11_S15_S17_T6_T7_T9_mT8_S19_bDpT10_ENKUlT_T0_E_clISt17integral_constantIbLb1EES1L_IbLb0EEEEDaS1H_S1I_EUlS1H_E_NS1_11comp_targetILNS1_3genE10ELNS1_11target_archE1200ELNS1_3gpuE4ELNS1_3repE0EEENS1_30default_config_static_selectorELNS0_4arch9wavefront6targetE1EEEvSV_ ; -- Begin function _ZN7rocprim17ROCPRIM_400000_NS6detail17trampoline_kernelINS0_13select_configILj256ELj13ELNS0_17block_load_methodE3ELS4_3ELS4_3ELNS0_20block_scan_algorithmE0ELj4294967295EEENS1_25partition_config_selectorILNS1_17partition_subalgoE3EjNS0_10empty_typeEbEEZZNS1_14partition_implILS8_3ELb0ES6_jNS0_17counting_iteratorIjlEEPS9_SE_NS0_5tupleIJPjSE_EEENSF_IJSE_SE_EEES9_SG_JZNS1_25segmented_radix_sort_implINS0_14default_configELb1EPKlPlSM_SN_N2at6native12_GLOBAL__N_18offset_tEEE10hipError_tPvRmT1_PNSt15iterator_traitsISV_E10value_typeET2_T3_PNSW_IS11_E10value_typeET4_jRbjT5_S17_jjP12ihipStream_tbEUljE_EEESS_ST_SU_S11_S15_S17_T6_T7_T9_mT8_S19_bDpT10_ENKUlT_T0_E_clISt17integral_constantIbLb1EES1L_IbLb0EEEEDaS1H_S1I_EUlS1H_E_NS1_11comp_targetILNS1_3genE10ELNS1_11target_archE1200ELNS1_3gpuE4ELNS1_3repE0EEENS1_30default_config_static_selectorELNS0_4arch9wavefront6targetE1EEEvSV_
	.p2align	8
	.type	_ZN7rocprim17ROCPRIM_400000_NS6detail17trampoline_kernelINS0_13select_configILj256ELj13ELNS0_17block_load_methodE3ELS4_3ELS4_3ELNS0_20block_scan_algorithmE0ELj4294967295EEENS1_25partition_config_selectorILNS1_17partition_subalgoE3EjNS0_10empty_typeEbEEZZNS1_14partition_implILS8_3ELb0ES6_jNS0_17counting_iteratorIjlEEPS9_SE_NS0_5tupleIJPjSE_EEENSF_IJSE_SE_EEES9_SG_JZNS1_25segmented_radix_sort_implINS0_14default_configELb1EPKlPlSM_SN_N2at6native12_GLOBAL__N_18offset_tEEE10hipError_tPvRmT1_PNSt15iterator_traitsISV_E10value_typeET2_T3_PNSW_IS11_E10value_typeET4_jRbjT5_S17_jjP12ihipStream_tbEUljE_EEESS_ST_SU_S11_S15_S17_T6_T7_T9_mT8_S19_bDpT10_ENKUlT_T0_E_clISt17integral_constantIbLb1EES1L_IbLb0EEEEDaS1H_S1I_EUlS1H_E_NS1_11comp_targetILNS1_3genE10ELNS1_11target_archE1200ELNS1_3gpuE4ELNS1_3repE0EEENS1_30default_config_static_selectorELNS0_4arch9wavefront6targetE1EEEvSV_,@function
_ZN7rocprim17ROCPRIM_400000_NS6detail17trampoline_kernelINS0_13select_configILj256ELj13ELNS0_17block_load_methodE3ELS4_3ELS4_3ELNS0_20block_scan_algorithmE0ELj4294967295EEENS1_25partition_config_selectorILNS1_17partition_subalgoE3EjNS0_10empty_typeEbEEZZNS1_14partition_implILS8_3ELb0ES6_jNS0_17counting_iteratorIjlEEPS9_SE_NS0_5tupleIJPjSE_EEENSF_IJSE_SE_EEES9_SG_JZNS1_25segmented_radix_sort_implINS0_14default_configELb1EPKlPlSM_SN_N2at6native12_GLOBAL__N_18offset_tEEE10hipError_tPvRmT1_PNSt15iterator_traitsISV_E10value_typeET2_T3_PNSW_IS11_E10value_typeET4_jRbjT5_S17_jjP12ihipStream_tbEUljE_EEESS_ST_SU_S11_S15_S17_T6_T7_T9_mT8_S19_bDpT10_ENKUlT_T0_E_clISt17integral_constantIbLb1EES1L_IbLb0EEEEDaS1H_S1I_EUlS1H_E_NS1_11comp_targetILNS1_3genE10ELNS1_11target_archE1200ELNS1_3gpuE4ELNS1_3repE0EEENS1_30default_config_static_selectorELNS0_4arch9wavefront6targetE1EEEvSV_: ; @_ZN7rocprim17ROCPRIM_400000_NS6detail17trampoline_kernelINS0_13select_configILj256ELj13ELNS0_17block_load_methodE3ELS4_3ELS4_3ELNS0_20block_scan_algorithmE0ELj4294967295EEENS1_25partition_config_selectorILNS1_17partition_subalgoE3EjNS0_10empty_typeEbEEZZNS1_14partition_implILS8_3ELb0ES6_jNS0_17counting_iteratorIjlEEPS9_SE_NS0_5tupleIJPjSE_EEENSF_IJSE_SE_EEES9_SG_JZNS1_25segmented_radix_sort_implINS0_14default_configELb1EPKlPlSM_SN_N2at6native12_GLOBAL__N_18offset_tEEE10hipError_tPvRmT1_PNSt15iterator_traitsISV_E10value_typeET2_T3_PNSW_IS11_E10value_typeET4_jRbjT5_S17_jjP12ihipStream_tbEUljE_EEESS_ST_SU_S11_S15_S17_T6_T7_T9_mT8_S19_bDpT10_ENKUlT_T0_E_clISt17integral_constantIbLb1EES1L_IbLb0EEEEDaS1H_S1I_EUlS1H_E_NS1_11comp_targetILNS1_3genE10ELNS1_11target_archE1200ELNS1_3gpuE4ELNS1_3repE0EEENS1_30default_config_static_selectorELNS0_4arch9wavefront6targetE1EEEvSV_
; %bb.0:
	.section	.rodata,"a",@progbits
	.p2align	6, 0x0
	.amdhsa_kernel _ZN7rocprim17ROCPRIM_400000_NS6detail17trampoline_kernelINS0_13select_configILj256ELj13ELNS0_17block_load_methodE3ELS4_3ELS4_3ELNS0_20block_scan_algorithmE0ELj4294967295EEENS1_25partition_config_selectorILNS1_17partition_subalgoE3EjNS0_10empty_typeEbEEZZNS1_14partition_implILS8_3ELb0ES6_jNS0_17counting_iteratorIjlEEPS9_SE_NS0_5tupleIJPjSE_EEENSF_IJSE_SE_EEES9_SG_JZNS1_25segmented_radix_sort_implINS0_14default_configELb1EPKlPlSM_SN_N2at6native12_GLOBAL__N_18offset_tEEE10hipError_tPvRmT1_PNSt15iterator_traitsISV_E10value_typeET2_T3_PNSW_IS11_E10value_typeET4_jRbjT5_S17_jjP12ihipStream_tbEUljE_EEESS_ST_SU_S11_S15_S17_T6_T7_T9_mT8_S19_bDpT10_ENKUlT_T0_E_clISt17integral_constantIbLb1EES1L_IbLb0EEEEDaS1H_S1I_EUlS1H_E_NS1_11comp_targetILNS1_3genE10ELNS1_11target_archE1200ELNS1_3gpuE4ELNS1_3repE0EEENS1_30default_config_static_selectorELNS0_4arch9wavefront6targetE1EEEvSV_
		.amdhsa_group_segment_fixed_size 0
		.amdhsa_private_segment_fixed_size 0
		.amdhsa_kernarg_size 144
		.amdhsa_user_sgpr_count 6
		.amdhsa_user_sgpr_private_segment_buffer 1
		.amdhsa_user_sgpr_dispatch_ptr 0
		.amdhsa_user_sgpr_queue_ptr 0
		.amdhsa_user_sgpr_kernarg_segment_ptr 1
		.amdhsa_user_sgpr_dispatch_id 0
		.amdhsa_user_sgpr_flat_scratch_init 0
		.amdhsa_user_sgpr_private_segment_size 0
		.amdhsa_uses_dynamic_stack 0
		.amdhsa_system_sgpr_private_segment_wavefront_offset 0
		.amdhsa_system_sgpr_workgroup_id_x 1
		.amdhsa_system_sgpr_workgroup_id_y 0
		.amdhsa_system_sgpr_workgroup_id_z 0
		.amdhsa_system_sgpr_workgroup_info 0
		.amdhsa_system_vgpr_workitem_id 0
		.amdhsa_next_free_vgpr 1
		.amdhsa_next_free_sgpr 0
		.amdhsa_reserve_vcc 0
		.amdhsa_reserve_flat_scratch 0
		.amdhsa_float_round_mode_32 0
		.amdhsa_float_round_mode_16_64 0
		.amdhsa_float_denorm_mode_32 3
		.amdhsa_float_denorm_mode_16_64 3
		.amdhsa_dx10_clamp 1
		.amdhsa_ieee_mode 1
		.amdhsa_fp16_overflow 0
		.amdhsa_exception_fp_ieee_invalid_op 0
		.amdhsa_exception_fp_denorm_src 0
		.amdhsa_exception_fp_ieee_div_zero 0
		.amdhsa_exception_fp_ieee_overflow 0
		.amdhsa_exception_fp_ieee_underflow 0
		.amdhsa_exception_fp_ieee_inexact 0
		.amdhsa_exception_int_div_zero 0
	.end_amdhsa_kernel
	.section	.text._ZN7rocprim17ROCPRIM_400000_NS6detail17trampoline_kernelINS0_13select_configILj256ELj13ELNS0_17block_load_methodE3ELS4_3ELS4_3ELNS0_20block_scan_algorithmE0ELj4294967295EEENS1_25partition_config_selectorILNS1_17partition_subalgoE3EjNS0_10empty_typeEbEEZZNS1_14partition_implILS8_3ELb0ES6_jNS0_17counting_iteratorIjlEEPS9_SE_NS0_5tupleIJPjSE_EEENSF_IJSE_SE_EEES9_SG_JZNS1_25segmented_radix_sort_implINS0_14default_configELb1EPKlPlSM_SN_N2at6native12_GLOBAL__N_18offset_tEEE10hipError_tPvRmT1_PNSt15iterator_traitsISV_E10value_typeET2_T3_PNSW_IS11_E10value_typeET4_jRbjT5_S17_jjP12ihipStream_tbEUljE_EEESS_ST_SU_S11_S15_S17_T6_T7_T9_mT8_S19_bDpT10_ENKUlT_T0_E_clISt17integral_constantIbLb1EES1L_IbLb0EEEEDaS1H_S1I_EUlS1H_E_NS1_11comp_targetILNS1_3genE10ELNS1_11target_archE1200ELNS1_3gpuE4ELNS1_3repE0EEENS1_30default_config_static_selectorELNS0_4arch9wavefront6targetE1EEEvSV_,"axG",@progbits,_ZN7rocprim17ROCPRIM_400000_NS6detail17trampoline_kernelINS0_13select_configILj256ELj13ELNS0_17block_load_methodE3ELS4_3ELS4_3ELNS0_20block_scan_algorithmE0ELj4294967295EEENS1_25partition_config_selectorILNS1_17partition_subalgoE3EjNS0_10empty_typeEbEEZZNS1_14partition_implILS8_3ELb0ES6_jNS0_17counting_iteratorIjlEEPS9_SE_NS0_5tupleIJPjSE_EEENSF_IJSE_SE_EEES9_SG_JZNS1_25segmented_radix_sort_implINS0_14default_configELb1EPKlPlSM_SN_N2at6native12_GLOBAL__N_18offset_tEEE10hipError_tPvRmT1_PNSt15iterator_traitsISV_E10value_typeET2_T3_PNSW_IS11_E10value_typeET4_jRbjT5_S17_jjP12ihipStream_tbEUljE_EEESS_ST_SU_S11_S15_S17_T6_T7_T9_mT8_S19_bDpT10_ENKUlT_T0_E_clISt17integral_constantIbLb1EES1L_IbLb0EEEEDaS1H_S1I_EUlS1H_E_NS1_11comp_targetILNS1_3genE10ELNS1_11target_archE1200ELNS1_3gpuE4ELNS1_3repE0EEENS1_30default_config_static_selectorELNS0_4arch9wavefront6targetE1EEEvSV_,comdat
.Lfunc_end693:
	.size	_ZN7rocprim17ROCPRIM_400000_NS6detail17trampoline_kernelINS0_13select_configILj256ELj13ELNS0_17block_load_methodE3ELS4_3ELS4_3ELNS0_20block_scan_algorithmE0ELj4294967295EEENS1_25partition_config_selectorILNS1_17partition_subalgoE3EjNS0_10empty_typeEbEEZZNS1_14partition_implILS8_3ELb0ES6_jNS0_17counting_iteratorIjlEEPS9_SE_NS0_5tupleIJPjSE_EEENSF_IJSE_SE_EEES9_SG_JZNS1_25segmented_radix_sort_implINS0_14default_configELb1EPKlPlSM_SN_N2at6native12_GLOBAL__N_18offset_tEEE10hipError_tPvRmT1_PNSt15iterator_traitsISV_E10value_typeET2_T3_PNSW_IS11_E10value_typeET4_jRbjT5_S17_jjP12ihipStream_tbEUljE_EEESS_ST_SU_S11_S15_S17_T6_T7_T9_mT8_S19_bDpT10_ENKUlT_T0_E_clISt17integral_constantIbLb1EES1L_IbLb0EEEEDaS1H_S1I_EUlS1H_E_NS1_11comp_targetILNS1_3genE10ELNS1_11target_archE1200ELNS1_3gpuE4ELNS1_3repE0EEENS1_30default_config_static_selectorELNS0_4arch9wavefront6targetE1EEEvSV_, .Lfunc_end693-_ZN7rocprim17ROCPRIM_400000_NS6detail17trampoline_kernelINS0_13select_configILj256ELj13ELNS0_17block_load_methodE3ELS4_3ELS4_3ELNS0_20block_scan_algorithmE0ELj4294967295EEENS1_25partition_config_selectorILNS1_17partition_subalgoE3EjNS0_10empty_typeEbEEZZNS1_14partition_implILS8_3ELb0ES6_jNS0_17counting_iteratorIjlEEPS9_SE_NS0_5tupleIJPjSE_EEENSF_IJSE_SE_EEES9_SG_JZNS1_25segmented_radix_sort_implINS0_14default_configELb1EPKlPlSM_SN_N2at6native12_GLOBAL__N_18offset_tEEE10hipError_tPvRmT1_PNSt15iterator_traitsISV_E10value_typeET2_T3_PNSW_IS11_E10value_typeET4_jRbjT5_S17_jjP12ihipStream_tbEUljE_EEESS_ST_SU_S11_S15_S17_T6_T7_T9_mT8_S19_bDpT10_ENKUlT_T0_E_clISt17integral_constantIbLb1EES1L_IbLb0EEEEDaS1H_S1I_EUlS1H_E_NS1_11comp_targetILNS1_3genE10ELNS1_11target_archE1200ELNS1_3gpuE4ELNS1_3repE0EEENS1_30default_config_static_selectorELNS0_4arch9wavefront6targetE1EEEvSV_
                                        ; -- End function
	.set _ZN7rocprim17ROCPRIM_400000_NS6detail17trampoline_kernelINS0_13select_configILj256ELj13ELNS0_17block_load_methodE3ELS4_3ELS4_3ELNS0_20block_scan_algorithmE0ELj4294967295EEENS1_25partition_config_selectorILNS1_17partition_subalgoE3EjNS0_10empty_typeEbEEZZNS1_14partition_implILS8_3ELb0ES6_jNS0_17counting_iteratorIjlEEPS9_SE_NS0_5tupleIJPjSE_EEENSF_IJSE_SE_EEES9_SG_JZNS1_25segmented_radix_sort_implINS0_14default_configELb1EPKlPlSM_SN_N2at6native12_GLOBAL__N_18offset_tEEE10hipError_tPvRmT1_PNSt15iterator_traitsISV_E10value_typeET2_T3_PNSW_IS11_E10value_typeET4_jRbjT5_S17_jjP12ihipStream_tbEUljE_EEESS_ST_SU_S11_S15_S17_T6_T7_T9_mT8_S19_bDpT10_ENKUlT_T0_E_clISt17integral_constantIbLb1EES1L_IbLb0EEEEDaS1H_S1I_EUlS1H_E_NS1_11comp_targetILNS1_3genE10ELNS1_11target_archE1200ELNS1_3gpuE4ELNS1_3repE0EEENS1_30default_config_static_selectorELNS0_4arch9wavefront6targetE1EEEvSV_.num_vgpr, 0
	.set _ZN7rocprim17ROCPRIM_400000_NS6detail17trampoline_kernelINS0_13select_configILj256ELj13ELNS0_17block_load_methodE3ELS4_3ELS4_3ELNS0_20block_scan_algorithmE0ELj4294967295EEENS1_25partition_config_selectorILNS1_17partition_subalgoE3EjNS0_10empty_typeEbEEZZNS1_14partition_implILS8_3ELb0ES6_jNS0_17counting_iteratorIjlEEPS9_SE_NS0_5tupleIJPjSE_EEENSF_IJSE_SE_EEES9_SG_JZNS1_25segmented_radix_sort_implINS0_14default_configELb1EPKlPlSM_SN_N2at6native12_GLOBAL__N_18offset_tEEE10hipError_tPvRmT1_PNSt15iterator_traitsISV_E10value_typeET2_T3_PNSW_IS11_E10value_typeET4_jRbjT5_S17_jjP12ihipStream_tbEUljE_EEESS_ST_SU_S11_S15_S17_T6_T7_T9_mT8_S19_bDpT10_ENKUlT_T0_E_clISt17integral_constantIbLb1EES1L_IbLb0EEEEDaS1H_S1I_EUlS1H_E_NS1_11comp_targetILNS1_3genE10ELNS1_11target_archE1200ELNS1_3gpuE4ELNS1_3repE0EEENS1_30default_config_static_selectorELNS0_4arch9wavefront6targetE1EEEvSV_.num_agpr, 0
	.set _ZN7rocprim17ROCPRIM_400000_NS6detail17trampoline_kernelINS0_13select_configILj256ELj13ELNS0_17block_load_methodE3ELS4_3ELS4_3ELNS0_20block_scan_algorithmE0ELj4294967295EEENS1_25partition_config_selectorILNS1_17partition_subalgoE3EjNS0_10empty_typeEbEEZZNS1_14partition_implILS8_3ELb0ES6_jNS0_17counting_iteratorIjlEEPS9_SE_NS0_5tupleIJPjSE_EEENSF_IJSE_SE_EEES9_SG_JZNS1_25segmented_radix_sort_implINS0_14default_configELb1EPKlPlSM_SN_N2at6native12_GLOBAL__N_18offset_tEEE10hipError_tPvRmT1_PNSt15iterator_traitsISV_E10value_typeET2_T3_PNSW_IS11_E10value_typeET4_jRbjT5_S17_jjP12ihipStream_tbEUljE_EEESS_ST_SU_S11_S15_S17_T6_T7_T9_mT8_S19_bDpT10_ENKUlT_T0_E_clISt17integral_constantIbLb1EES1L_IbLb0EEEEDaS1H_S1I_EUlS1H_E_NS1_11comp_targetILNS1_3genE10ELNS1_11target_archE1200ELNS1_3gpuE4ELNS1_3repE0EEENS1_30default_config_static_selectorELNS0_4arch9wavefront6targetE1EEEvSV_.numbered_sgpr, 0
	.set _ZN7rocprim17ROCPRIM_400000_NS6detail17trampoline_kernelINS0_13select_configILj256ELj13ELNS0_17block_load_methodE3ELS4_3ELS4_3ELNS0_20block_scan_algorithmE0ELj4294967295EEENS1_25partition_config_selectorILNS1_17partition_subalgoE3EjNS0_10empty_typeEbEEZZNS1_14partition_implILS8_3ELb0ES6_jNS0_17counting_iteratorIjlEEPS9_SE_NS0_5tupleIJPjSE_EEENSF_IJSE_SE_EEES9_SG_JZNS1_25segmented_radix_sort_implINS0_14default_configELb1EPKlPlSM_SN_N2at6native12_GLOBAL__N_18offset_tEEE10hipError_tPvRmT1_PNSt15iterator_traitsISV_E10value_typeET2_T3_PNSW_IS11_E10value_typeET4_jRbjT5_S17_jjP12ihipStream_tbEUljE_EEESS_ST_SU_S11_S15_S17_T6_T7_T9_mT8_S19_bDpT10_ENKUlT_T0_E_clISt17integral_constantIbLb1EES1L_IbLb0EEEEDaS1H_S1I_EUlS1H_E_NS1_11comp_targetILNS1_3genE10ELNS1_11target_archE1200ELNS1_3gpuE4ELNS1_3repE0EEENS1_30default_config_static_selectorELNS0_4arch9wavefront6targetE1EEEvSV_.num_named_barrier, 0
	.set _ZN7rocprim17ROCPRIM_400000_NS6detail17trampoline_kernelINS0_13select_configILj256ELj13ELNS0_17block_load_methodE3ELS4_3ELS4_3ELNS0_20block_scan_algorithmE0ELj4294967295EEENS1_25partition_config_selectorILNS1_17partition_subalgoE3EjNS0_10empty_typeEbEEZZNS1_14partition_implILS8_3ELb0ES6_jNS0_17counting_iteratorIjlEEPS9_SE_NS0_5tupleIJPjSE_EEENSF_IJSE_SE_EEES9_SG_JZNS1_25segmented_radix_sort_implINS0_14default_configELb1EPKlPlSM_SN_N2at6native12_GLOBAL__N_18offset_tEEE10hipError_tPvRmT1_PNSt15iterator_traitsISV_E10value_typeET2_T3_PNSW_IS11_E10value_typeET4_jRbjT5_S17_jjP12ihipStream_tbEUljE_EEESS_ST_SU_S11_S15_S17_T6_T7_T9_mT8_S19_bDpT10_ENKUlT_T0_E_clISt17integral_constantIbLb1EES1L_IbLb0EEEEDaS1H_S1I_EUlS1H_E_NS1_11comp_targetILNS1_3genE10ELNS1_11target_archE1200ELNS1_3gpuE4ELNS1_3repE0EEENS1_30default_config_static_selectorELNS0_4arch9wavefront6targetE1EEEvSV_.private_seg_size, 0
	.set _ZN7rocprim17ROCPRIM_400000_NS6detail17trampoline_kernelINS0_13select_configILj256ELj13ELNS0_17block_load_methodE3ELS4_3ELS4_3ELNS0_20block_scan_algorithmE0ELj4294967295EEENS1_25partition_config_selectorILNS1_17partition_subalgoE3EjNS0_10empty_typeEbEEZZNS1_14partition_implILS8_3ELb0ES6_jNS0_17counting_iteratorIjlEEPS9_SE_NS0_5tupleIJPjSE_EEENSF_IJSE_SE_EEES9_SG_JZNS1_25segmented_radix_sort_implINS0_14default_configELb1EPKlPlSM_SN_N2at6native12_GLOBAL__N_18offset_tEEE10hipError_tPvRmT1_PNSt15iterator_traitsISV_E10value_typeET2_T3_PNSW_IS11_E10value_typeET4_jRbjT5_S17_jjP12ihipStream_tbEUljE_EEESS_ST_SU_S11_S15_S17_T6_T7_T9_mT8_S19_bDpT10_ENKUlT_T0_E_clISt17integral_constantIbLb1EES1L_IbLb0EEEEDaS1H_S1I_EUlS1H_E_NS1_11comp_targetILNS1_3genE10ELNS1_11target_archE1200ELNS1_3gpuE4ELNS1_3repE0EEENS1_30default_config_static_selectorELNS0_4arch9wavefront6targetE1EEEvSV_.uses_vcc, 0
	.set _ZN7rocprim17ROCPRIM_400000_NS6detail17trampoline_kernelINS0_13select_configILj256ELj13ELNS0_17block_load_methodE3ELS4_3ELS4_3ELNS0_20block_scan_algorithmE0ELj4294967295EEENS1_25partition_config_selectorILNS1_17partition_subalgoE3EjNS0_10empty_typeEbEEZZNS1_14partition_implILS8_3ELb0ES6_jNS0_17counting_iteratorIjlEEPS9_SE_NS0_5tupleIJPjSE_EEENSF_IJSE_SE_EEES9_SG_JZNS1_25segmented_radix_sort_implINS0_14default_configELb1EPKlPlSM_SN_N2at6native12_GLOBAL__N_18offset_tEEE10hipError_tPvRmT1_PNSt15iterator_traitsISV_E10value_typeET2_T3_PNSW_IS11_E10value_typeET4_jRbjT5_S17_jjP12ihipStream_tbEUljE_EEESS_ST_SU_S11_S15_S17_T6_T7_T9_mT8_S19_bDpT10_ENKUlT_T0_E_clISt17integral_constantIbLb1EES1L_IbLb0EEEEDaS1H_S1I_EUlS1H_E_NS1_11comp_targetILNS1_3genE10ELNS1_11target_archE1200ELNS1_3gpuE4ELNS1_3repE0EEENS1_30default_config_static_selectorELNS0_4arch9wavefront6targetE1EEEvSV_.uses_flat_scratch, 0
	.set _ZN7rocprim17ROCPRIM_400000_NS6detail17trampoline_kernelINS0_13select_configILj256ELj13ELNS0_17block_load_methodE3ELS4_3ELS4_3ELNS0_20block_scan_algorithmE0ELj4294967295EEENS1_25partition_config_selectorILNS1_17partition_subalgoE3EjNS0_10empty_typeEbEEZZNS1_14partition_implILS8_3ELb0ES6_jNS0_17counting_iteratorIjlEEPS9_SE_NS0_5tupleIJPjSE_EEENSF_IJSE_SE_EEES9_SG_JZNS1_25segmented_radix_sort_implINS0_14default_configELb1EPKlPlSM_SN_N2at6native12_GLOBAL__N_18offset_tEEE10hipError_tPvRmT1_PNSt15iterator_traitsISV_E10value_typeET2_T3_PNSW_IS11_E10value_typeET4_jRbjT5_S17_jjP12ihipStream_tbEUljE_EEESS_ST_SU_S11_S15_S17_T6_T7_T9_mT8_S19_bDpT10_ENKUlT_T0_E_clISt17integral_constantIbLb1EES1L_IbLb0EEEEDaS1H_S1I_EUlS1H_E_NS1_11comp_targetILNS1_3genE10ELNS1_11target_archE1200ELNS1_3gpuE4ELNS1_3repE0EEENS1_30default_config_static_selectorELNS0_4arch9wavefront6targetE1EEEvSV_.has_dyn_sized_stack, 0
	.set _ZN7rocprim17ROCPRIM_400000_NS6detail17trampoline_kernelINS0_13select_configILj256ELj13ELNS0_17block_load_methodE3ELS4_3ELS4_3ELNS0_20block_scan_algorithmE0ELj4294967295EEENS1_25partition_config_selectorILNS1_17partition_subalgoE3EjNS0_10empty_typeEbEEZZNS1_14partition_implILS8_3ELb0ES6_jNS0_17counting_iteratorIjlEEPS9_SE_NS0_5tupleIJPjSE_EEENSF_IJSE_SE_EEES9_SG_JZNS1_25segmented_radix_sort_implINS0_14default_configELb1EPKlPlSM_SN_N2at6native12_GLOBAL__N_18offset_tEEE10hipError_tPvRmT1_PNSt15iterator_traitsISV_E10value_typeET2_T3_PNSW_IS11_E10value_typeET4_jRbjT5_S17_jjP12ihipStream_tbEUljE_EEESS_ST_SU_S11_S15_S17_T6_T7_T9_mT8_S19_bDpT10_ENKUlT_T0_E_clISt17integral_constantIbLb1EES1L_IbLb0EEEEDaS1H_S1I_EUlS1H_E_NS1_11comp_targetILNS1_3genE10ELNS1_11target_archE1200ELNS1_3gpuE4ELNS1_3repE0EEENS1_30default_config_static_selectorELNS0_4arch9wavefront6targetE1EEEvSV_.has_recursion, 0
	.set _ZN7rocprim17ROCPRIM_400000_NS6detail17trampoline_kernelINS0_13select_configILj256ELj13ELNS0_17block_load_methodE3ELS4_3ELS4_3ELNS0_20block_scan_algorithmE0ELj4294967295EEENS1_25partition_config_selectorILNS1_17partition_subalgoE3EjNS0_10empty_typeEbEEZZNS1_14partition_implILS8_3ELb0ES6_jNS0_17counting_iteratorIjlEEPS9_SE_NS0_5tupleIJPjSE_EEENSF_IJSE_SE_EEES9_SG_JZNS1_25segmented_radix_sort_implINS0_14default_configELb1EPKlPlSM_SN_N2at6native12_GLOBAL__N_18offset_tEEE10hipError_tPvRmT1_PNSt15iterator_traitsISV_E10value_typeET2_T3_PNSW_IS11_E10value_typeET4_jRbjT5_S17_jjP12ihipStream_tbEUljE_EEESS_ST_SU_S11_S15_S17_T6_T7_T9_mT8_S19_bDpT10_ENKUlT_T0_E_clISt17integral_constantIbLb1EES1L_IbLb0EEEEDaS1H_S1I_EUlS1H_E_NS1_11comp_targetILNS1_3genE10ELNS1_11target_archE1200ELNS1_3gpuE4ELNS1_3repE0EEENS1_30default_config_static_selectorELNS0_4arch9wavefront6targetE1EEEvSV_.has_indirect_call, 0
	.section	.AMDGPU.csdata,"",@progbits
; Kernel info:
; codeLenInByte = 0
; TotalNumSgprs: 4
; NumVgprs: 0
; ScratchSize: 0
; MemoryBound: 0
; FloatMode: 240
; IeeeMode: 1
; LDSByteSize: 0 bytes/workgroup (compile time only)
; SGPRBlocks: 0
; VGPRBlocks: 0
; NumSGPRsForWavesPerEU: 4
; NumVGPRsForWavesPerEU: 1
; Occupancy: 10
; WaveLimiterHint : 0
; COMPUTE_PGM_RSRC2:SCRATCH_EN: 0
; COMPUTE_PGM_RSRC2:USER_SGPR: 6
; COMPUTE_PGM_RSRC2:TRAP_HANDLER: 0
; COMPUTE_PGM_RSRC2:TGID_X_EN: 1
; COMPUTE_PGM_RSRC2:TGID_Y_EN: 0
; COMPUTE_PGM_RSRC2:TGID_Z_EN: 0
; COMPUTE_PGM_RSRC2:TIDIG_COMP_CNT: 0
	.section	.text._ZN7rocprim17ROCPRIM_400000_NS6detail17trampoline_kernelINS0_13select_configILj256ELj13ELNS0_17block_load_methodE3ELS4_3ELS4_3ELNS0_20block_scan_algorithmE0ELj4294967295EEENS1_25partition_config_selectorILNS1_17partition_subalgoE3EjNS0_10empty_typeEbEEZZNS1_14partition_implILS8_3ELb0ES6_jNS0_17counting_iteratorIjlEEPS9_SE_NS0_5tupleIJPjSE_EEENSF_IJSE_SE_EEES9_SG_JZNS1_25segmented_radix_sort_implINS0_14default_configELb1EPKlPlSM_SN_N2at6native12_GLOBAL__N_18offset_tEEE10hipError_tPvRmT1_PNSt15iterator_traitsISV_E10value_typeET2_T3_PNSW_IS11_E10value_typeET4_jRbjT5_S17_jjP12ihipStream_tbEUljE_EEESS_ST_SU_S11_S15_S17_T6_T7_T9_mT8_S19_bDpT10_ENKUlT_T0_E_clISt17integral_constantIbLb1EES1L_IbLb0EEEEDaS1H_S1I_EUlS1H_E_NS1_11comp_targetILNS1_3genE9ELNS1_11target_archE1100ELNS1_3gpuE3ELNS1_3repE0EEENS1_30default_config_static_selectorELNS0_4arch9wavefront6targetE1EEEvSV_,"axG",@progbits,_ZN7rocprim17ROCPRIM_400000_NS6detail17trampoline_kernelINS0_13select_configILj256ELj13ELNS0_17block_load_methodE3ELS4_3ELS4_3ELNS0_20block_scan_algorithmE0ELj4294967295EEENS1_25partition_config_selectorILNS1_17partition_subalgoE3EjNS0_10empty_typeEbEEZZNS1_14partition_implILS8_3ELb0ES6_jNS0_17counting_iteratorIjlEEPS9_SE_NS0_5tupleIJPjSE_EEENSF_IJSE_SE_EEES9_SG_JZNS1_25segmented_radix_sort_implINS0_14default_configELb1EPKlPlSM_SN_N2at6native12_GLOBAL__N_18offset_tEEE10hipError_tPvRmT1_PNSt15iterator_traitsISV_E10value_typeET2_T3_PNSW_IS11_E10value_typeET4_jRbjT5_S17_jjP12ihipStream_tbEUljE_EEESS_ST_SU_S11_S15_S17_T6_T7_T9_mT8_S19_bDpT10_ENKUlT_T0_E_clISt17integral_constantIbLb1EES1L_IbLb0EEEEDaS1H_S1I_EUlS1H_E_NS1_11comp_targetILNS1_3genE9ELNS1_11target_archE1100ELNS1_3gpuE3ELNS1_3repE0EEENS1_30default_config_static_selectorELNS0_4arch9wavefront6targetE1EEEvSV_,comdat
	.globl	_ZN7rocprim17ROCPRIM_400000_NS6detail17trampoline_kernelINS0_13select_configILj256ELj13ELNS0_17block_load_methodE3ELS4_3ELS4_3ELNS0_20block_scan_algorithmE0ELj4294967295EEENS1_25partition_config_selectorILNS1_17partition_subalgoE3EjNS0_10empty_typeEbEEZZNS1_14partition_implILS8_3ELb0ES6_jNS0_17counting_iteratorIjlEEPS9_SE_NS0_5tupleIJPjSE_EEENSF_IJSE_SE_EEES9_SG_JZNS1_25segmented_radix_sort_implINS0_14default_configELb1EPKlPlSM_SN_N2at6native12_GLOBAL__N_18offset_tEEE10hipError_tPvRmT1_PNSt15iterator_traitsISV_E10value_typeET2_T3_PNSW_IS11_E10value_typeET4_jRbjT5_S17_jjP12ihipStream_tbEUljE_EEESS_ST_SU_S11_S15_S17_T6_T7_T9_mT8_S19_bDpT10_ENKUlT_T0_E_clISt17integral_constantIbLb1EES1L_IbLb0EEEEDaS1H_S1I_EUlS1H_E_NS1_11comp_targetILNS1_3genE9ELNS1_11target_archE1100ELNS1_3gpuE3ELNS1_3repE0EEENS1_30default_config_static_selectorELNS0_4arch9wavefront6targetE1EEEvSV_ ; -- Begin function _ZN7rocprim17ROCPRIM_400000_NS6detail17trampoline_kernelINS0_13select_configILj256ELj13ELNS0_17block_load_methodE3ELS4_3ELS4_3ELNS0_20block_scan_algorithmE0ELj4294967295EEENS1_25partition_config_selectorILNS1_17partition_subalgoE3EjNS0_10empty_typeEbEEZZNS1_14partition_implILS8_3ELb0ES6_jNS0_17counting_iteratorIjlEEPS9_SE_NS0_5tupleIJPjSE_EEENSF_IJSE_SE_EEES9_SG_JZNS1_25segmented_radix_sort_implINS0_14default_configELb1EPKlPlSM_SN_N2at6native12_GLOBAL__N_18offset_tEEE10hipError_tPvRmT1_PNSt15iterator_traitsISV_E10value_typeET2_T3_PNSW_IS11_E10value_typeET4_jRbjT5_S17_jjP12ihipStream_tbEUljE_EEESS_ST_SU_S11_S15_S17_T6_T7_T9_mT8_S19_bDpT10_ENKUlT_T0_E_clISt17integral_constantIbLb1EES1L_IbLb0EEEEDaS1H_S1I_EUlS1H_E_NS1_11comp_targetILNS1_3genE9ELNS1_11target_archE1100ELNS1_3gpuE3ELNS1_3repE0EEENS1_30default_config_static_selectorELNS0_4arch9wavefront6targetE1EEEvSV_
	.p2align	8
	.type	_ZN7rocprim17ROCPRIM_400000_NS6detail17trampoline_kernelINS0_13select_configILj256ELj13ELNS0_17block_load_methodE3ELS4_3ELS4_3ELNS0_20block_scan_algorithmE0ELj4294967295EEENS1_25partition_config_selectorILNS1_17partition_subalgoE3EjNS0_10empty_typeEbEEZZNS1_14partition_implILS8_3ELb0ES6_jNS0_17counting_iteratorIjlEEPS9_SE_NS0_5tupleIJPjSE_EEENSF_IJSE_SE_EEES9_SG_JZNS1_25segmented_radix_sort_implINS0_14default_configELb1EPKlPlSM_SN_N2at6native12_GLOBAL__N_18offset_tEEE10hipError_tPvRmT1_PNSt15iterator_traitsISV_E10value_typeET2_T3_PNSW_IS11_E10value_typeET4_jRbjT5_S17_jjP12ihipStream_tbEUljE_EEESS_ST_SU_S11_S15_S17_T6_T7_T9_mT8_S19_bDpT10_ENKUlT_T0_E_clISt17integral_constantIbLb1EES1L_IbLb0EEEEDaS1H_S1I_EUlS1H_E_NS1_11comp_targetILNS1_3genE9ELNS1_11target_archE1100ELNS1_3gpuE3ELNS1_3repE0EEENS1_30default_config_static_selectorELNS0_4arch9wavefront6targetE1EEEvSV_,@function
_ZN7rocprim17ROCPRIM_400000_NS6detail17trampoline_kernelINS0_13select_configILj256ELj13ELNS0_17block_load_methodE3ELS4_3ELS4_3ELNS0_20block_scan_algorithmE0ELj4294967295EEENS1_25partition_config_selectorILNS1_17partition_subalgoE3EjNS0_10empty_typeEbEEZZNS1_14partition_implILS8_3ELb0ES6_jNS0_17counting_iteratorIjlEEPS9_SE_NS0_5tupleIJPjSE_EEENSF_IJSE_SE_EEES9_SG_JZNS1_25segmented_radix_sort_implINS0_14default_configELb1EPKlPlSM_SN_N2at6native12_GLOBAL__N_18offset_tEEE10hipError_tPvRmT1_PNSt15iterator_traitsISV_E10value_typeET2_T3_PNSW_IS11_E10value_typeET4_jRbjT5_S17_jjP12ihipStream_tbEUljE_EEESS_ST_SU_S11_S15_S17_T6_T7_T9_mT8_S19_bDpT10_ENKUlT_T0_E_clISt17integral_constantIbLb1EES1L_IbLb0EEEEDaS1H_S1I_EUlS1H_E_NS1_11comp_targetILNS1_3genE9ELNS1_11target_archE1100ELNS1_3gpuE3ELNS1_3repE0EEENS1_30default_config_static_selectorELNS0_4arch9wavefront6targetE1EEEvSV_: ; @_ZN7rocprim17ROCPRIM_400000_NS6detail17trampoline_kernelINS0_13select_configILj256ELj13ELNS0_17block_load_methodE3ELS4_3ELS4_3ELNS0_20block_scan_algorithmE0ELj4294967295EEENS1_25partition_config_selectorILNS1_17partition_subalgoE3EjNS0_10empty_typeEbEEZZNS1_14partition_implILS8_3ELb0ES6_jNS0_17counting_iteratorIjlEEPS9_SE_NS0_5tupleIJPjSE_EEENSF_IJSE_SE_EEES9_SG_JZNS1_25segmented_radix_sort_implINS0_14default_configELb1EPKlPlSM_SN_N2at6native12_GLOBAL__N_18offset_tEEE10hipError_tPvRmT1_PNSt15iterator_traitsISV_E10value_typeET2_T3_PNSW_IS11_E10value_typeET4_jRbjT5_S17_jjP12ihipStream_tbEUljE_EEESS_ST_SU_S11_S15_S17_T6_T7_T9_mT8_S19_bDpT10_ENKUlT_T0_E_clISt17integral_constantIbLb1EES1L_IbLb0EEEEDaS1H_S1I_EUlS1H_E_NS1_11comp_targetILNS1_3genE9ELNS1_11target_archE1100ELNS1_3gpuE3ELNS1_3repE0EEENS1_30default_config_static_selectorELNS0_4arch9wavefront6targetE1EEEvSV_
; %bb.0:
	.section	.rodata,"a",@progbits
	.p2align	6, 0x0
	.amdhsa_kernel _ZN7rocprim17ROCPRIM_400000_NS6detail17trampoline_kernelINS0_13select_configILj256ELj13ELNS0_17block_load_methodE3ELS4_3ELS4_3ELNS0_20block_scan_algorithmE0ELj4294967295EEENS1_25partition_config_selectorILNS1_17partition_subalgoE3EjNS0_10empty_typeEbEEZZNS1_14partition_implILS8_3ELb0ES6_jNS0_17counting_iteratorIjlEEPS9_SE_NS0_5tupleIJPjSE_EEENSF_IJSE_SE_EEES9_SG_JZNS1_25segmented_radix_sort_implINS0_14default_configELb1EPKlPlSM_SN_N2at6native12_GLOBAL__N_18offset_tEEE10hipError_tPvRmT1_PNSt15iterator_traitsISV_E10value_typeET2_T3_PNSW_IS11_E10value_typeET4_jRbjT5_S17_jjP12ihipStream_tbEUljE_EEESS_ST_SU_S11_S15_S17_T6_T7_T9_mT8_S19_bDpT10_ENKUlT_T0_E_clISt17integral_constantIbLb1EES1L_IbLb0EEEEDaS1H_S1I_EUlS1H_E_NS1_11comp_targetILNS1_3genE9ELNS1_11target_archE1100ELNS1_3gpuE3ELNS1_3repE0EEENS1_30default_config_static_selectorELNS0_4arch9wavefront6targetE1EEEvSV_
		.amdhsa_group_segment_fixed_size 0
		.amdhsa_private_segment_fixed_size 0
		.amdhsa_kernarg_size 144
		.amdhsa_user_sgpr_count 6
		.amdhsa_user_sgpr_private_segment_buffer 1
		.amdhsa_user_sgpr_dispatch_ptr 0
		.amdhsa_user_sgpr_queue_ptr 0
		.amdhsa_user_sgpr_kernarg_segment_ptr 1
		.amdhsa_user_sgpr_dispatch_id 0
		.amdhsa_user_sgpr_flat_scratch_init 0
		.amdhsa_user_sgpr_private_segment_size 0
		.amdhsa_uses_dynamic_stack 0
		.amdhsa_system_sgpr_private_segment_wavefront_offset 0
		.amdhsa_system_sgpr_workgroup_id_x 1
		.amdhsa_system_sgpr_workgroup_id_y 0
		.amdhsa_system_sgpr_workgroup_id_z 0
		.amdhsa_system_sgpr_workgroup_info 0
		.amdhsa_system_vgpr_workitem_id 0
		.amdhsa_next_free_vgpr 1
		.amdhsa_next_free_sgpr 0
		.amdhsa_reserve_vcc 0
		.amdhsa_reserve_flat_scratch 0
		.amdhsa_float_round_mode_32 0
		.amdhsa_float_round_mode_16_64 0
		.amdhsa_float_denorm_mode_32 3
		.amdhsa_float_denorm_mode_16_64 3
		.amdhsa_dx10_clamp 1
		.amdhsa_ieee_mode 1
		.amdhsa_fp16_overflow 0
		.amdhsa_exception_fp_ieee_invalid_op 0
		.amdhsa_exception_fp_denorm_src 0
		.amdhsa_exception_fp_ieee_div_zero 0
		.amdhsa_exception_fp_ieee_overflow 0
		.amdhsa_exception_fp_ieee_underflow 0
		.amdhsa_exception_fp_ieee_inexact 0
		.amdhsa_exception_int_div_zero 0
	.end_amdhsa_kernel
	.section	.text._ZN7rocprim17ROCPRIM_400000_NS6detail17trampoline_kernelINS0_13select_configILj256ELj13ELNS0_17block_load_methodE3ELS4_3ELS4_3ELNS0_20block_scan_algorithmE0ELj4294967295EEENS1_25partition_config_selectorILNS1_17partition_subalgoE3EjNS0_10empty_typeEbEEZZNS1_14partition_implILS8_3ELb0ES6_jNS0_17counting_iteratorIjlEEPS9_SE_NS0_5tupleIJPjSE_EEENSF_IJSE_SE_EEES9_SG_JZNS1_25segmented_radix_sort_implINS0_14default_configELb1EPKlPlSM_SN_N2at6native12_GLOBAL__N_18offset_tEEE10hipError_tPvRmT1_PNSt15iterator_traitsISV_E10value_typeET2_T3_PNSW_IS11_E10value_typeET4_jRbjT5_S17_jjP12ihipStream_tbEUljE_EEESS_ST_SU_S11_S15_S17_T6_T7_T9_mT8_S19_bDpT10_ENKUlT_T0_E_clISt17integral_constantIbLb1EES1L_IbLb0EEEEDaS1H_S1I_EUlS1H_E_NS1_11comp_targetILNS1_3genE9ELNS1_11target_archE1100ELNS1_3gpuE3ELNS1_3repE0EEENS1_30default_config_static_selectorELNS0_4arch9wavefront6targetE1EEEvSV_,"axG",@progbits,_ZN7rocprim17ROCPRIM_400000_NS6detail17trampoline_kernelINS0_13select_configILj256ELj13ELNS0_17block_load_methodE3ELS4_3ELS4_3ELNS0_20block_scan_algorithmE0ELj4294967295EEENS1_25partition_config_selectorILNS1_17partition_subalgoE3EjNS0_10empty_typeEbEEZZNS1_14partition_implILS8_3ELb0ES6_jNS0_17counting_iteratorIjlEEPS9_SE_NS0_5tupleIJPjSE_EEENSF_IJSE_SE_EEES9_SG_JZNS1_25segmented_radix_sort_implINS0_14default_configELb1EPKlPlSM_SN_N2at6native12_GLOBAL__N_18offset_tEEE10hipError_tPvRmT1_PNSt15iterator_traitsISV_E10value_typeET2_T3_PNSW_IS11_E10value_typeET4_jRbjT5_S17_jjP12ihipStream_tbEUljE_EEESS_ST_SU_S11_S15_S17_T6_T7_T9_mT8_S19_bDpT10_ENKUlT_T0_E_clISt17integral_constantIbLb1EES1L_IbLb0EEEEDaS1H_S1I_EUlS1H_E_NS1_11comp_targetILNS1_3genE9ELNS1_11target_archE1100ELNS1_3gpuE3ELNS1_3repE0EEENS1_30default_config_static_selectorELNS0_4arch9wavefront6targetE1EEEvSV_,comdat
.Lfunc_end694:
	.size	_ZN7rocprim17ROCPRIM_400000_NS6detail17trampoline_kernelINS0_13select_configILj256ELj13ELNS0_17block_load_methodE3ELS4_3ELS4_3ELNS0_20block_scan_algorithmE0ELj4294967295EEENS1_25partition_config_selectorILNS1_17partition_subalgoE3EjNS0_10empty_typeEbEEZZNS1_14partition_implILS8_3ELb0ES6_jNS0_17counting_iteratorIjlEEPS9_SE_NS0_5tupleIJPjSE_EEENSF_IJSE_SE_EEES9_SG_JZNS1_25segmented_radix_sort_implINS0_14default_configELb1EPKlPlSM_SN_N2at6native12_GLOBAL__N_18offset_tEEE10hipError_tPvRmT1_PNSt15iterator_traitsISV_E10value_typeET2_T3_PNSW_IS11_E10value_typeET4_jRbjT5_S17_jjP12ihipStream_tbEUljE_EEESS_ST_SU_S11_S15_S17_T6_T7_T9_mT8_S19_bDpT10_ENKUlT_T0_E_clISt17integral_constantIbLb1EES1L_IbLb0EEEEDaS1H_S1I_EUlS1H_E_NS1_11comp_targetILNS1_3genE9ELNS1_11target_archE1100ELNS1_3gpuE3ELNS1_3repE0EEENS1_30default_config_static_selectorELNS0_4arch9wavefront6targetE1EEEvSV_, .Lfunc_end694-_ZN7rocprim17ROCPRIM_400000_NS6detail17trampoline_kernelINS0_13select_configILj256ELj13ELNS0_17block_load_methodE3ELS4_3ELS4_3ELNS0_20block_scan_algorithmE0ELj4294967295EEENS1_25partition_config_selectorILNS1_17partition_subalgoE3EjNS0_10empty_typeEbEEZZNS1_14partition_implILS8_3ELb0ES6_jNS0_17counting_iteratorIjlEEPS9_SE_NS0_5tupleIJPjSE_EEENSF_IJSE_SE_EEES9_SG_JZNS1_25segmented_radix_sort_implINS0_14default_configELb1EPKlPlSM_SN_N2at6native12_GLOBAL__N_18offset_tEEE10hipError_tPvRmT1_PNSt15iterator_traitsISV_E10value_typeET2_T3_PNSW_IS11_E10value_typeET4_jRbjT5_S17_jjP12ihipStream_tbEUljE_EEESS_ST_SU_S11_S15_S17_T6_T7_T9_mT8_S19_bDpT10_ENKUlT_T0_E_clISt17integral_constantIbLb1EES1L_IbLb0EEEEDaS1H_S1I_EUlS1H_E_NS1_11comp_targetILNS1_3genE9ELNS1_11target_archE1100ELNS1_3gpuE3ELNS1_3repE0EEENS1_30default_config_static_selectorELNS0_4arch9wavefront6targetE1EEEvSV_
                                        ; -- End function
	.set _ZN7rocprim17ROCPRIM_400000_NS6detail17trampoline_kernelINS0_13select_configILj256ELj13ELNS0_17block_load_methodE3ELS4_3ELS4_3ELNS0_20block_scan_algorithmE0ELj4294967295EEENS1_25partition_config_selectorILNS1_17partition_subalgoE3EjNS0_10empty_typeEbEEZZNS1_14partition_implILS8_3ELb0ES6_jNS0_17counting_iteratorIjlEEPS9_SE_NS0_5tupleIJPjSE_EEENSF_IJSE_SE_EEES9_SG_JZNS1_25segmented_radix_sort_implINS0_14default_configELb1EPKlPlSM_SN_N2at6native12_GLOBAL__N_18offset_tEEE10hipError_tPvRmT1_PNSt15iterator_traitsISV_E10value_typeET2_T3_PNSW_IS11_E10value_typeET4_jRbjT5_S17_jjP12ihipStream_tbEUljE_EEESS_ST_SU_S11_S15_S17_T6_T7_T9_mT8_S19_bDpT10_ENKUlT_T0_E_clISt17integral_constantIbLb1EES1L_IbLb0EEEEDaS1H_S1I_EUlS1H_E_NS1_11comp_targetILNS1_3genE9ELNS1_11target_archE1100ELNS1_3gpuE3ELNS1_3repE0EEENS1_30default_config_static_selectorELNS0_4arch9wavefront6targetE1EEEvSV_.num_vgpr, 0
	.set _ZN7rocprim17ROCPRIM_400000_NS6detail17trampoline_kernelINS0_13select_configILj256ELj13ELNS0_17block_load_methodE3ELS4_3ELS4_3ELNS0_20block_scan_algorithmE0ELj4294967295EEENS1_25partition_config_selectorILNS1_17partition_subalgoE3EjNS0_10empty_typeEbEEZZNS1_14partition_implILS8_3ELb0ES6_jNS0_17counting_iteratorIjlEEPS9_SE_NS0_5tupleIJPjSE_EEENSF_IJSE_SE_EEES9_SG_JZNS1_25segmented_radix_sort_implINS0_14default_configELb1EPKlPlSM_SN_N2at6native12_GLOBAL__N_18offset_tEEE10hipError_tPvRmT1_PNSt15iterator_traitsISV_E10value_typeET2_T3_PNSW_IS11_E10value_typeET4_jRbjT5_S17_jjP12ihipStream_tbEUljE_EEESS_ST_SU_S11_S15_S17_T6_T7_T9_mT8_S19_bDpT10_ENKUlT_T0_E_clISt17integral_constantIbLb1EES1L_IbLb0EEEEDaS1H_S1I_EUlS1H_E_NS1_11comp_targetILNS1_3genE9ELNS1_11target_archE1100ELNS1_3gpuE3ELNS1_3repE0EEENS1_30default_config_static_selectorELNS0_4arch9wavefront6targetE1EEEvSV_.num_agpr, 0
	.set _ZN7rocprim17ROCPRIM_400000_NS6detail17trampoline_kernelINS0_13select_configILj256ELj13ELNS0_17block_load_methodE3ELS4_3ELS4_3ELNS0_20block_scan_algorithmE0ELj4294967295EEENS1_25partition_config_selectorILNS1_17partition_subalgoE3EjNS0_10empty_typeEbEEZZNS1_14partition_implILS8_3ELb0ES6_jNS0_17counting_iteratorIjlEEPS9_SE_NS0_5tupleIJPjSE_EEENSF_IJSE_SE_EEES9_SG_JZNS1_25segmented_radix_sort_implINS0_14default_configELb1EPKlPlSM_SN_N2at6native12_GLOBAL__N_18offset_tEEE10hipError_tPvRmT1_PNSt15iterator_traitsISV_E10value_typeET2_T3_PNSW_IS11_E10value_typeET4_jRbjT5_S17_jjP12ihipStream_tbEUljE_EEESS_ST_SU_S11_S15_S17_T6_T7_T9_mT8_S19_bDpT10_ENKUlT_T0_E_clISt17integral_constantIbLb1EES1L_IbLb0EEEEDaS1H_S1I_EUlS1H_E_NS1_11comp_targetILNS1_3genE9ELNS1_11target_archE1100ELNS1_3gpuE3ELNS1_3repE0EEENS1_30default_config_static_selectorELNS0_4arch9wavefront6targetE1EEEvSV_.numbered_sgpr, 0
	.set _ZN7rocprim17ROCPRIM_400000_NS6detail17trampoline_kernelINS0_13select_configILj256ELj13ELNS0_17block_load_methodE3ELS4_3ELS4_3ELNS0_20block_scan_algorithmE0ELj4294967295EEENS1_25partition_config_selectorILNS1_17partition_subalgoE3EjNS0_10empty_typeEbEEZZNS1_14partition_implILS8_3ELb0ES6_jNS0_17counting_iteratorIjlEEPS9_SE_NS0_5tupleIJPjSE_EEENSF_IJSE_SE_EEES9_SG_JZNS1_25segmented_radix_sort_implINS0_14default_configELb1EPKlPlSM_SN_N2at6native12_GLOBAL__N_18offset_tEEE10hipError_tPvRmT1_PNSt15iterator_traitsISV_E10value_typeET2_T3_PNSW_IS11_E10value_typeET4_jRbjT5_S17_jjP12ihipStream_tbEUljE_EEESS_ST_SU_S11_S15_S17_T6_T7_T9_mT8_S19_bDpT10_ENKUlT_T0_E_clISt17integral_constantIbLb1EES1L_IbLb0EEEEDaS1H_S1I_EUlS1H_E_NS1_11comp_targetILNS1_3genE9ELNS1_11target_archE1100ELNS1_3gpuE3ELNS1_3repE0EEENS1_30default_config_static_selectorELNS0_4arch9wavefront6targetE1EEEvSV_.num_named_barrier, 0
	.set _ZN7rocprim17ROCPRIM_400000_NS6detail17trampoline_kernelINS0_13select_configILj256ELj13ELNS0_17block_load_methodE3ELS4_3ELS4_3ELNS0_20block_scan_algorithmE0ELj4294967295EEENS1_25partition_config_selectorILNS1_17partition_subalgoE3EjNS0_10empty_typeEbEEZZNS1_14partition_implILS8_3ELb0ES6_jNS0_17counting_iteratorIjlEEPS9_SE_NS0_5tupleIJPjSE_EEENSF_IJSE_SE_EEES9_SG_JZNS1_25segmented_radix_sort_implINS0_14default_configELb1EPKlPlSM_SN_N2at6native12_GLOBAL__N_18offset_tEEE10hipError_tPvRmT1_PNSt15iterator_traitsISV_E10value_typeET2_T3_PNSW_IS11_E10value_typeET4_jRbjT5_S17_jjP12ihipStream_tbEUljE_EEESS_ST_SU_S11_S15_S17_T6_T7_T9_mT8_S19_bDpT10_ENKUlT_T0_E_clISt17integral_constantIbLb1EES1L_IbLb0EEEEDaS1H_S1I_EUlS1H_E_NS1_11comp_targetILNS1_3genE9ELNS1_11target_archE1100ELNS1_3gpuE3ELNS1_3repE0EEENS1_30default_config_static_selectorELNS0_4arch9wavefront6targetE1EEEvSV_.private_seg_size, 0
	.set _ZN7rocprim17ROCPRIM_400000_NS6detail17trampoline_kernelINS0_13select_configILj256ELj13ELNS0_17block_load_methodE3ELS4_3ELS4_3ELNS0_20block_scan_algorithmE0ELj4294967295EEENS1_25partition_config_selectorILNS1_17partition_subalgoE3EjNS0_10empty_typeEbEEZZNS1_14partition_implILS8_3ELb0ES6_jNS0_17counting_iteratorIjlEEPS9_SE_NS0_5tupleIJPjSE_EEENSF_IJSE_SE_EEES9_SG_JZNS1_25segmented_radix_sort_implINS0_14default_configELb1EPKlPlSM_SN_N2at6native12_GLOBAL__N_18offset_tEEE10hipError_tPvRmT1_PNSt15iterator_traitsISV_E10value_typeET2_T3_PNSW_IS11_E10value_typeET4_jRbjT5_S17_jjP12ihipStream_tbEUljE_EEESS_ST_SU_S11_S15_S17_T6_T7_T9_mT8_S19_bDpT10_ENKUlT_T0_E_clISt17integral_constantIbLb1EES1L_IbLb0EEEEDaS1H_S1I_EUlS1H_E_NS1_11comp_targetILNS1_3genE9ELNS1_11target_archE1100ELNS1_3gpuE3ELNS1_3repE0EEENS1_30default_config_static_selectorELNS0_4arch9wavefront6targetE1EEEvSV_.uses_vcc, 0
	.set _ZN7rocprim17ROCPRIM_400000_NS6detail17trampoline_kernelINS0_13select_configILj256ELj13ELNS0_17block_load_methodE3ELS4_3ELS4_3ELNS0_20block_scan_algorithmE0ELj4294967295EEENS1_25partition_config_selectorILNS1_17partition_subalgoE3EjNS0_10empty_typeEbEEZZNS1_14partition_implILS8_3ELb0ES6_jNS0_17counting_iteratorIjlEEPS9_SE_NS0_5tupleIJPjSE_EEENSF_IJSE_SE_EEES9_SG_JZNS1_25segmented_radix_sort_implINS0_14default_configELb1EPKlPlSM_SN_N2at6native12_GLOBAL__N_18offset_tEEE10hipError_tPvRmT1_PNSt15iterator_traitsISV_E10value_typeET2_T3_PNSW_IS11_E10value_typeET4_jRbjT5_S17_jjP12ihipStream_tbEUljE_EEESS_ST_SU_S11_S15_S17_T6_T7_T9_mT8_S19_bDpT10_ENKUlT_T0_E_clISt17integral_constantIbLb1EES1L_IbLb0EEEEDaS1H_S1I_EUlS1H_E_NS1_11comp_targetILNS1_3genE9ELNS1_11target_archE1100ELNS1_3gpuE3ELNS1_3repE0EEENS1_30default_config_static_selectorELNS0_4arch9wavefront6targetE1EEEvSV_.uses_flat_scratch, 0
	.set _ZN7rocprim17ROCPRIM_400000_NS6detail17trampoline_kernelINS0_13select_configILj256ELj13ELNS0_17block_load_methodE3ELS4_3ELS4_3ELNS0_20block_scan_algorithmE0ELj4294967295EEENS1_25partition_config_selectorILNS1_17partition_subalgoE3EjNS0_10empty_typeEbEEZZNS1_14partition_implILS8_3ELb0ES6_jNS0_17counting_iteratorIjlEEPS9_SE_NS0_5tupleIJPjSE_EEENSF_IJSE_SE_EEES9_SG_JZNS1_25segmented_radix_sort_implINS0_14default_configELb1EPKlPlSM_SN_N2at6native12_GLOBAL__N_18offset_tEEE10hipError_tPvRmT1_PNSt15iterator_traitsISV_E10value_typeET2_T3_PNSW_IS11_E10value_typeET4_jRbjT5_S17_jjP12ihipStream_tbEUljE_EEESS_ST_SU_S11_S15_S17_T6_T7_T9_mT8_S19_bDpT10_ENKUlT_T0_E_clISt17integral_constantIbLb1EES1L_IbLb0EEEEDaS1H_S1I_EUlS1H_E_NS1_11comp_targetILNS1_3genE9ELNS1_11target_archE1100ELNS1_3gpuE3ELNS1_3repE0EEENS1_30default_config_static_selectorELNS0_4arch9wavefront6targetE1EEEvSV_.has_dyn_sized_stack, 0
	.set _ZN7rocprim17ROCPRIM_400000_NS6detail17trampoline_kernelINS0_13select_configILj256ELj13ELNS0_17block_load_methodE3ELS4_3ELS4_3ELNS0_20block_scan_algorithmE0ELj4294967295EEENS1_25partition_config_selectorILNS1_17partition_subalgoE3EjNS0_10empty_typeEbEEZZNS1_14partition_implILS8_3ELb0ES6_jNS0_17counting_iteratorIjlEEPS9_SE_NS0_5tupleIJPjSE_EEENSF_IJSE_SE_EEES9_SG_JZNS1_25segmented_radix_sort_implINS0_14default_configELb1EPKlPlSM_SN_N2at6native12_GLOBAL__N_18offset_tEEE10hipError_tPvRmT1_PNSt15iterator_traitsISV_E10value_typeET2_T3_PNSW_IS11_E10value_typeET4_jRbjT5_S17_jjP12ihipStream_tbEUljE_EEESS_ST_SU_S11_S15_S17_T6_T7_T9_mT8_S19_bDpT10_ENKUlT_T0_E_clISt17integral_constantIbLb1EES1L_IbLb0EEEEDaS1H_S1I_EUlS1H_E_NS1_11comp_targetILNS1_3genE9ELNS1_11target_archE1100ELNS1_3gpuE3ELNS1_3repE0EEENS1_30default_config_static_selectorELNS0_4arch9wavefront6targetE1EEEvSV_.has_recursion, 0
	.set _ZN7rocprim17ROCPRIM_400000_NS6detail17trampoline_kernelINS0_13select_configILj256ELj13ELNS0_17block_load_methodE3ELS4_3ELS4_3ELNS0_20block_scan_algorithmE0ELj4294967295EEENS1_25partition_config_selectorILNS1_17partition_subalgoE3EjNS0_10empty_typeEbEEZZNS1_14partition_implILS8_3ELb0ES6_jNS0_17counting_iteratorIjlEEPS9_SE_NS0_5tupleIJPjSE_EEENSF_IJSE_SE_EEES9_SG_JZNS1_25segmented_radix_sort_implINS0_14default_configELb1EPKlPlSM_SN_N2at6native12_GLOBAL__N_18offset_tEEE10hipError_tPvRmT1_PNSt15iterator_traitsISV_E10value_typeET2_T3_PNSW_IS11_E10value_typeET4_jRbjT5_S17_jjP12ihipStream_tbEUljE_EEESS_ST_SU_S11_S15_S17_T6_T7_T9_mT8_S19_bDpT10_ENKUlT_T0_E_clISt17integral_constantIbLb1EES1L_IbLb0EEEEDaS1H_S1I_EUlS1H_E_NS1_11comp_targetILNS1_3genE9ELNS1_11target_archE1100ELNS1_3gpuE3ELNS1_3repE0EEENS1_30default_config_static_selectorELNS0_4arch9wavefront6targetE1EEEvSV_.has_indirect_call, 0
	.section	.AMDGPU.csdata,"",@progbits
; Kernel info:
; codeLenInByte = 0
; TotalNumSgprs: 4
; NumVgprs: 0
; ScratchSize: 0
; MemoryBound: 0
; FloatMode: 240
; IeeeMode: 1
; LDSByteSize: 0 bytes/workgroup (compile time only)
; SGPRBlocks: 0
; VGPRBlocks: 0
; NumSGPRsForWavesPerEU: 4
; NumVGPRsForWavesPerEU: 1
; Occupancy: 10
; WaveLimiterHint : 0
; COMPUTE_PGM_RSRC2:SCRATCH_EN: 0
; COMPUTE_PGM_RSRC2:USER_SGPR: 6
; COMPUTE_PGM_RSRC2:TRAP_HANDLER: 0
; COMPUTE_PGM_RSRC2:TGID_X_EN: 1
; COMPUTE_PGM_RSRC2:TGID_Y_EN: 0
; COMPUTE_PGM_RSRC2:TGID_Z_EN: 0
; COMPUTE_PGM_RSRC2:TIDIG_COMP_CNT: 0
	.section	.text._ZN7rocprim17ROCPRIM_400000_NS6detail17trampoline_kernelINS0_13select_configILj256ELj13ELNS0_17block_load_methodE3ELS4_3ELS4_3ELNS0_20block_scan_algorithmE0ELj4294967295EEENS1_25partition_config_selectorILNS1_17partition_subalgoE3EjNS0_10empty_typeEbEEZZNS1_14partition_implILS8_3ELb0ES6_jNS0_17counting_iteratorIjlEEPS9_SE_NS0_5tupleIJPjSE_EEENSF_IJSE_SE_EEES9_SG_JZNS1_25segmented_radix_sort_implINS0_14default_configELb1EPKlPlSM_SN_N2at6native12_GLOBAL__N_18offset_tEEE10hipError_tPvRmT1_PNSt15iterator_traitsISV_E10value_typeET2_T3_PNSW_IS11_E10value_typeET4_jRbjT5_S17_jjP12ihipStream_tbEUljE_EEESS_ST_SU_S11_S15_S17_T6_T7_T9_mT8_S19_bDpT10_ENKUlT_T0_E_clISt17integral_constantIbLb1EES1L_IbLb0EEEEDaS1H_S1I_EUlS1H_E_NS1_11comp_targetILNS1_3genE8ELNS1_11target_archE1030ELNS1_3gpuE2ELNS1_3repE0EEENS1_30default_config_static_selectorELNS0_4arch9wavefront6targetE1EEEvSV_,"axG",@progbits,_ZN7rocprim17ROCPRIM_400000_NS6detail17trampoline_kernelINS0_13select_configILj256ELj13ELNS0_17block_load_methodE3ELS4_3ELS4_3ELNS0_20block_scan_algorithmE0ELj4294967295EEENS1_25partition_config_selectorILNS1_17partition_subalgoE3EjNS0_10empty_typeEbEEZZNS1_14partition_implILS8_3ELb0ES6_jNS0_17counting_iteratorIjlEEPS9_SE_NS0_5tupleIJPjSE_EEENSF_IJSE_SE_EEES9_SG_JZNS1_25segmented_radix_sort_implINS0_14default_configELb1EPKlPlSM_SN_N2at6native12_GLOBAL__N_18offset_tEEE10hipError_tPvRmT1_PNSt15iterator_traitsISV_E10value_typeET2_T3_PNSW_IS11_E10value_typeET4_jRbjT5_S17_jjP12ihipStream_tbEUljE_EEESS_ST_SU_S11_S15_S17_T6_T7_T9_mT8_S19_bDpT10_ENKUlT_T0_E_clISt17integral_constantIbLb1EES1L_IbLb0EEEEDaS1H_S1I_EUlS1H_E_NS1_11comp_targetILNS1_3genE8ELNS1_11target_archE1030ELNS1_3gpuE2ELNS1_3repE0EEENS1_30default_config_static_selectorELNS0_4arch9wavefront6targetE1EEEvSV_,comdat
	.globl	_ZN7rocprim17ROCPRIM_400000_NS6detail17trampoline_kernelINS0_13select_configILj256ELj13ELNS0_17block_load_methodE3ELS4_3ELS4_3ELNS0_20block_scan_algorithmE0ELj4294967295EEENS1_25partition_config_selectorILNS1_17partition_subalgoE3EjNS0_10empty_typeEbEEZZNS1_14partition_implILS8_3ELb0ES6_jNS0_17counting_iteratorIjlEEPS9_SE_NS0_5tupleIJPjSE_EEENSF_IJSE_SE_EEES9_SG_JZNS1_25segmented_radix_sort_implINS0_14default_configELb1EPKlPlSM_SN_N2at6native12_GLOBAL__N_18offset_tEEE10hipError_tPvRmT1_PNSt15iterator_traitsISV_E10value_typeET2_T3_PNSW_IS11_E10value_typeET4_jRbjT5_S17_jjP12ihipStream_tbEUljE_EEESS_ST_SU_S11_S15_S17_T6_T7_T9_mT8_S19_bDpT10_ENKUlT_T0_E_clISt17integral_constantIbLb1EES1L_IbLb0EEEEDaS1H_S1I_EUlS1H_E_NS1_11comp_targetILNS1_3genE8ELNS1_11target_archE1030ELNS1_3gpuE2ELNS1_3repE0EEENS1_30default_config_static_selectorELNS0_4arch9wavefront6targetE1EEEvSV_ ; -- Begin function _ZN7rocprim17ROCPRIM_400000_NS6detail17trampoline_kernelINS0_13select_configILj256ELj13ELNS0_17block_load_methodE3ELS4_3ELS4_3ELNS0_20block_scan_algorithmE0ELj4294967295EEENS1_25partition_config_selectorILNS1_17partition_subalgoE3EjNS0_10empty_typeEbEEZZNS1_14partition_implILS8_3ELb0ES6_jNS0_17counting_iteratorIjlEEPS9_SE_NS0_5tupleIJPjSE_EEENSF_IJSE_SE_EEES9_SG_JZNS1_25segmented_radix_sort_implINS0_14default_configELb1EPKlPlSM_SN_N2at6native12_GLOBAL__N_18offset_tEEE10hipError_tPvRmT1_PNSt15iterator_traitsISV_E10value_typeET2_T3_PNSW_IS11_E10value_typeET4_jRbjT5_S17_jjP12ihipStream_tbEUljE_EEESS_ST_SU_S11_S15_S17_T6_T7_T9_mT8_S19_bDpT10_ENKUlT_T0_E_clISt17integral_constantIbLb1EES1L_IbLb0EEEEDaS1H_S1I_EUlS1H_E_NS1_11comp_targetILNS1_3genE8ELNS1_11target_archE1030ELNS1_3gpuE2ELNS1_3repE0EEENS1_30default_config_static_selectorELNS0_4arch9wavefront6targetE1EEEvSV_
	.p2align	8
	.type	_ZN7rocprim17ROCPRIM_400000_NS6detail17trampoline_kernelINS0_13select_configILj256ELj13ELNS0_17block_load_methodE3ELS4_3ELS4_3ELNS0_20block_scan_algorithmE0ELj4294967295EEENS1_25partition_config_selectorILNS1_17partition_subalgoE3EjNS0_10empty_typeEbEEZZNS1_14partition_implILS8_3ELb0ES6_jNS0_17counting_iteratorIjlEEPS9_SE_NS0_5tupleIJPjSE_EEENSF_IJSE_SE_EEES9_SG_JZNS1_25segmented_radix_sort_implINS0_14default_configELb1EPKlPlSM_SN_N2at6native12_GLOBAL__N_18offset_tEEE10hipError_tPvRmT1_PNSt15iterator_traitsISV_E10value_typeET2_T3_PNSW_IS11_E10value_typeET4_jRbjT5_S17_jjP12ihipStream_tbEUljE_EEESS_ST_SU_S11_S15_S17_T6_T7_T9_mT8_S19_bDpT10_ENKUlT_T0_E_clISt17integral_constantIbLb1EES1L_IbLb0EEEEDaS1H_S1I_EUlS1H_E_NS1_11comp_targetILNS1_3genE8ELNS1_11target_archE1030ELNS1_3gpuE2ELNS1_3repE0EEENS1_30default_config_static_selectorELNS0_4arch9wavefront6targetE1EEEvSV_,@function
_ZN7rocprim17ROCPRIM_400000_NS6detail17trampoline_kernelINS0_13select_configILj256ELj13ELNS0_17block_load_methodE3ELS4_3ELS4_3ELNS0_20block_scan_algorithmE0ELj4294967295EEENS1_25partition_config_selectorILNS1_17partition_subalgoE3EjNS0_10empty_typeEbEEZZNS1_14partition_implILS8_3ELb0ES6_jNS0_17counting_iteratorIjlEEPS9_SE_NS0_5tupleIJPjSE_EEENSF_IJSE_SE_EEES9_SG_JZNS1_25segmented_radix_sort_implINS0_14default_configELb1EPKlPlSM_SN_N2at6native12_GLOBAL__N_18offset_tEEE10hipError_tPvRmT1_PNSt15iterator_traitsISV_E10value_typeET2_T3_PNSW_IS11_E10value_typeET4_jRbjT5_S17_jjP12ihipStream_tbEUljE_EEESS_ST_SU_S11_S15_S17_T6_T7_T9_mT8_S19_bDpT10_ENKUlT_T0_E_clISt17integral_constantIbLb1EES1L_IbLb0EEEEDaS1H_S1I_EUlS1H_E_NS1_11comp_targetILNS1_3genE8ELNS1_11target_archE1030ELNS1_3gpuE2ELNS1_3repE0EEENS1_30default_config_static_selectorELNS0_4arch9wavefront6targetE1EEEvSV_: ; @_ZN7rocprim17ROCPRIM_400000_NS6detail17trampoline_kernelINS0_13select_configILj256ELj13ELNS0_17block_load_methodE3ELS4_3ELS4_3ELNS0_20block_scan_algorithmE0ELj4294967295EEENS1_25partition_config_selectorILNS1_17partition_subalgoE3EjNS0_10empty_typeEbEEZZNS1_14partition_implILS8_3ELb0ES6_jNS0_17counting_iteratorIjlEEPS9_SE_NS0_5tupleIJPjSE_EEENSF_IJSE_SE_EEES9_SG_JZNS1_25segmented_radix_sort_implINS0_14default_configELb1EPKlPlSM_SN_N2at6native12_GLOBAL__N_18offset_tEEE10hipError_tPvRmT1_PNSt15iterator_traitsISV_E10value_typeET2_T3_PNSW_IS11_E10value_typeET4_jRbjT5_S17_jjP12ihipStream_tbEUljE_EEESS_ST_SU_S11_S15_S17_T6_T7_T9_mT8_S19_bDpT10_ENKUlT_T0_E_clISt17integral_constantIbLb1EES1L_IbLb0EEEEDaS1H_S1I_EUlS1H_E_NS1_11comp_targetILNS1_3genE8ELNS1_11target_archE1030ELNS1_3gpuE2ELNS1_3repE0EEENS1_30default_config_static_selectorELNS0_4arch9wavefront6targetE1EEEvSV_
; %bb.0:
	.section	.rodata,"a",@progbits
	.p2align	6, 0x0
	.amdhsa_kernel _ZN7rocprim17ROCPRIM_400000_NS6detail17trampoline_kernelINS0_13select_configILj256ELj13ELNS0_17block_load_methodE3ELS4_3ELS4_3ELNS0_20block_scan_algorithmE0ELj4294967295EEENS1_25partition_config_selectorILNS1_17partition_subalgoE3EjNS0_10empty_typeEbEEZZNS1_14partition_implILS8_3ELb0ES6_jNS0_17counting_iteratorIjlEEPS9_SE_NS0_5tupleIJPjSE_EEENSF_IJSE_SE_EEES9_SG_JZNS1_25segmented_radix_sort_implINS0_14default_configELb1EPKlPlSM_SN_N2at6native12_GLOBAL__N_18offset_tEEE10hipError_tPvRmT1_PNSt15iterator_traitsISV_E10value_typeET2_T3_PNSW_IS11_E10value_typeET4_jRbjT5_S17_jjP12ihipStream_tbEUljE_EEESS_ST_SU_S11_S15_S17_T6_T7_T9_mT8_S19_bDpT10_ENKUlT_T0_E_clISt17integral_constantIbLb1EES1L_IbLb0EEEEDaS1H_S1I_EUlS1H_E_NS1_11comp_targetILNS1_3genE8ELNS1_11target_archE1030ELNS1_3gpuE2ELNS1_3repE0EEENS1_30default_config_static_selectorELNS0_4arch9wavefront6targetE1EEEvSV_
		.amdhsa_group_segment_fixed_size 0
		.amdhsa_private_segment_fixed_size 0
		.amdhsa_kernarg_size 144
		.amdhsa_user_sgpr_count 6
		.amdhsa_user_sgpr_private_segment_buffer 1
		.amdhsa_user_sgpr_dispatch_ptr 0
		.amdhsa_user_sgpr_queue_ptr 0
		.amdhsa_user_sgpr_kernarg_segment_ptr 1
		.amdhsa_user_sgpr_dispatch_id 0
		.amdhsa_user_sgpr_flat_scratch_init 0
		.amdhsa_user_sgpr_private_segment_size 0
		.amdhsa_uses_dynamic_stack 0
		.amdhsa_system_sgpr_private_segment_wavefront_offset 0
		.amdhsa_system_sgpr_workgroup_id_x 1
		.amdhsa_system_sgpr_workgroup_id_y 0
		.amdhsa_system_sgpr_workgroup_id_z 0
		.amdhsa_system_sgpr_workgroup_info 0
		.amdhsa_system_vgpr_workitem_id 0
		.amdhsa_next_free_vgpr 1
		.amdhsa_next_free_sgpr 0
		.amdhsa_reserve_vcc 0
		.amdhsa_reserve_flat_scratch 0
		.amdhsa_float_round_mode_32 0
		.amdhsa_float_round_mode_16_64 0
		.amdhsa_float_denorm_mode_32 3
		.amdhsa_float_denorm_mode_16_64 3
		.amdhsa_dx10_clamp 1
		.amdhsa_ieee_mode 1
		.amdhsa_fp16_overflow 0
		.amdhsa_exception_fp_ieee_invalid_op 0
		.amdhsa_exception_fp_denorm_src 0
		.amdhsa_exception_fp_ieee_div_zero 0
		.amdhsa_exception_fp_ieee_overflow 0
		.amdhsa_exception_fp_ieee_underflow 0
		.amdhsa_exception_fp_ieee_inexact 0
		.amdhsa_exception_int_div_zero 0
	.end_amdhsa_kernel
	.section	.text._ZN7rocprim17ROCPRIM_400000_NS6detail17trampoline_kernelINS0_13select_configILj256ELj13ELNS0_17block_load_methodE3ELS4_3ELS4_3ELNS0_20block_scan_algorithmE0ELj4294967295EEENS1_25partition_config_selectorILNS1_17partition_subalgoE3EjNS0_10empty_typeEbEEZZNS1_14partition_implILS8_3ELb0ES6_jNS0_17counting_iteratorIjlEEPS9_SE_NS0_5tupleIJPjSE_EEENSF_IJSE_SE_EEES9_SG_JZNS1_25segmented_radix_sort_implINS0_14default_configELb1EPKlPlSM_SN_N2at6native12_GLOBAL__N_18offset_tEEE10hipError_tPvRmT1_PNSt15iterator_traitsISV_E10value_typeET2_T3_PNSW_IS11_E10value_typeET4_jRbjT5_S17_jjP12ihipStream_tbEUljE_EEESS_ST_SU_S11_S15_S17_T6_T7_T9_mT8_S19_bDpT10_ENKUlT_T0_E_clISt17integral_constantIbLb1EES1L_IbLb0EEEEDaS1H_S1I_EUlS1H_E_NS1_11comp_targetILNS1_3genE8ELNS1_11target_archE1030ELNS1_3gpuE2ELNS1_3repE0EEENS1_30default_config_static_selectorELNS0_4arch9wavefront6targetE1EEEvSV_,"axG",@progbits,_ZN7rocprim17ROCPRIM_400000_NS6detail17trampoline_kernelINS0_13select_configILj256ELj13ELNS0_17block_load_methodE3ELS4_3ELS4_3ELNS0_20block_scan_algorithmE0ELj4294967295EEENS1_25partition_config_selectorILNS1_17partition_subalgoE3EjNS0_10empty_typeEbEEZZNS1_14partition_implILS8_3ELb0ES6_jNS0_17counting_iteratorIjlEEPS9_SE_NS0_5tupleIJPjSE_EEENSF_IJSE_SE_EEES9_SG_JZNS1_25segmented_radix_sort_implINS0_14default_configELb1EPKlPlSM_SN_N2at6native12_GLOBAL__N_18offset_tEEE10hipError_tPvRmT1_PNSt15iterator_traitsISV_E10value_typeET2_T3_PNSW_IS11_E10value_typeET4_jRbjT5_S17_jjP12ihipStream_tbEUljE_EEESS_ST_SU_S11_S15_S17_T6_T7_T9_mT8_S19_bDpT10_ENKUlT_T0_E_clISt17integral_constantIbLb1EES1L_IbLb0EEEEDaS1H_S1I_EUlS1H_E_NS1_11comp_targetILNS1_3genE8ELNS1_11target_archE1030ELNS1_3gpuE2ELNS1_3repE0EEENS1_30default_config_static_selectorELNS0_4arch9wavefront6targetE1EEEvSV_,comdat
.Lfunc_end695:
	.size	_ZN7rocprim17ROCPRIM_400000_NS6detail17trampoline_kernelINS0_13select_configILj256ELj13ELNS0_17block_load_methodE3ELS4_3ELS4_3ELNS0_20block_scan_algorithmE0ELj4294967295EEENS1_25partition_config_selectorILNS1_17partition_subalgoE3EjNS0_10empty_typeEbEEZZNS1_14partition_implILS8_3ELb0ES6_jNS0_17counting_iteratorIjlEEPS9_SE_NS0_5tupleIJPjSE_EEENSF_IJSE_SE_EEES9_SG_JZNS1_25segmented_radix_sort_implINS0_14default_configELb1EPKlPlSM_SN_N2at6native12_GLOBAL__N_18offset_tEEE10hipError_tPvRmT1_PNSt15iterator_traitsISV_E10value_typeET2_T3_PNSW_IS11_E10value_typeET4_jRbjT5_S17_jjP12ihipStream_tbEUljE_EEESS_ST_SU_S11_S15_S17_T6_T7_T9_mT8_S19_bDpT10_ENKUlT_T0_E_clISt17integral_constantIbLb1EES1L_IbLb0EEEEDaS1H_S1I_EUlS1H_E_NS1_11comp_targetILNS1_3genE8ELNS1_11target_archE1030ELNS1_3gpuE2ELNS1_3repE0EEENS1_30default_config_static_selectorELNS0_4arch9wavefront6targetE1EEEvSV_, .Lfunc_end695-_ZN7rocprim17ROCPRIM_400000_NS6detail17trampoline_kernelINS0_13select_configILj256ELj13ELNS0_17block_load_methodE3ELS4_3ELS4_3ELNS0_20block_scan_algorithmE0ELj4294967295EEENS1_25partition_config_selectorILNS1_17partition_subalgoE3EjNS0_10empty_typeEbEEZZNS1_14partition_implILS8_3ELb0ES6_jNS0_17counting_iteratorIjlEEPS9_SE_NS0_5tupleIJPjSE_EEENSF_IJSE_SE_EEES9_SG_JZNS1_25segmented_radix_sort_implINS0_14default_configELb1EPKlPlSM_SN_N2at6native12_GLOBAL__N_18offset_tEEE10hipError_tPvRmT1_PNSt15iterator_traitsISV_E10value_typeET2_T3_PNSW_IS11_E10value_typeET4_jRbjT5_S17_jjP12ihipStream_tbEUljE_EEESS_ST_SU_S11_S15_S17_T6_T7_T9_mT8_S19_bDpT10_ENKUlT_T0_E_clISt17integral_constantIbLb1EES1L_IbLb0EEEEDaS1H_S1I_EUlS1H_E_NS1_11comp_targetILNS1_3genE8ELNS1_11target_archE1030ELNS1_3gpuE2ELNS1_3repE0EEENS1_30default_config_static_selectorELNS0_4arch9wavefront6targetE1EEEvSV_
                                        ; -- End function
	.set _ZN7rocprim17ROCPRIM_400000_NS6detail17trampoline_kernelINS0_13select_configILj256ELj13ELNS0_17block_load_methodE3ELS4_3ELS4_3ELNS0_20block_scan_algorithmE0ELj4294967295EEENS1_25partition_config_selectorILNS1_17partition_subalgoE3EjNS0_10empty_typeEbEEZZNS1_14partition_implILS8_3ELb0ES6_jNS0_17counting_iteratorIjlEEPS9_SE_NS0_5tupleIJPjSE_EEENSF_IJSE_SE_EEES9_SG_JZNS1_25segmented_radix_sort_implINS0_14default_configELb1EPKlPlSM_SN_N2at6native12_GLOBAL__N_18offset_tEEE10hipError_tPvRmT1_PNSt15iterator_traitsISV_E10value_typeET2_T3_PNSW_IS11_E10value_typeET4_jRbjT5_S17_jjP12ihipStream_tbEUljE_EEESS_ST_SU_S11_S15_S17_T6_T7_T9_mT8_S19_bDpT10_ENKUlT_T0_E_clISt17integral_constantIbLb1EES1L_IbLb0EEEEDaS1H_S1I_EUlS1H_E_NS1_11comp_targetILNS1_3genE8ELNS1_11target_archE1030ELNS1_3gpuE2ELNS1_3repE0EEENS1_30default_config_static_selectorELNS0_4arch9wavefront6targetE1EEEvSV_.num_vgpr, 0
	.set _ZN7rocprim17ROCPRIM_400000_NS6detail17trampoline_kernelINS0_13select_configILj256ELj13ELNS0_17block_load_methodE3ELS4_3ELS4_3ELNS0_20block_scan_algorithmE0ELj4294967295EEENS1_25partition_config_selectorILNS1_17partition_subalgoE3EjNS0_10empty_typeEbEEZZNS1_14partition_implILS8_3ELb0ES6_jNS0_17counting_iteratorIjlEEPS9_SE_NS0_5tupleIJPjSE_EEENSF_IJSE_SE_EEES9_SG_JZNS1_25segmented_radix_sort_implINS0_14default_configELb1EPKlPlSM_SN_N2at6native12_GLOBAL__N_18offset_tEEE10hipError_tPvRmT1_PNSt15iterator_traitsISV_E10value_typeET2_T3_PNSW_IS11_E10value_typeET4_jRbjT5_S17_jjP12ihipStream_tbEUljE_EEESS_ST_SU_S11_S15_S17_T6_T7_T9_mT8_S19_bDpT10_ENKUlT_T0_E_clISt17integral_constantIbLb1EES1L_IbLb0EEEEDaS1H_S1I_EUlS1H_E_NS1_11comp_targetILNS1_3genE8ELNS1_11target_archE1030ELNS1_3gpuE2ELNS1_3repE0EEENS1_30default_config_static_selectorELNS0_4arch9wavefront6targetE1EEEvSV_.num_agpr, 0
	.set _ZN7rocprim17ROCPRIM_400000_NS6detail17trampoline_kernelINS0_13select_configILj256ELj13ELNS0_17block_load_methodE3ELS4_3ELS4_3ELNS0_20block_scan_algorithmE0ELj4294967295EEENS1_25partition_config_selectorILNS1_17partition_subalgoE3EjNS0_10empty_typeEbEEZZNS1_14partition_implILS8_3ELb0ES6_jNS0_17counting_iteratorIjlEEPS9_SE_NS0_5tupleIJPjSE_EEENSF_IJSE_SE_EEES9_SG_JZNS1_25segmented_radix_sort_implINS0_14default_configELb1EPKlPlSM_SN_N2at6native12_GLOBAL__N_18offset_tEEE10hipError_tPvRmT1_PNSt15iterator_traitsISV_E10value_typeET2_T3_PNSW_IS11_E10value_typeET4_jRbjT5_S17_jjP12ihipStream_tbEUljE_EEESS_ST_SU_S11_S15_S17_T6_T7_T9_mT8_S19_bDpT10_ENKUlT_T0_E_clISt17integral_constantIbLb1EES1L_IbLb0EEEEDaS1H_S1I_EUlS1H_E_NS1_11comp_targetILNS1_3genE8ELNS1_11target_archE1030ELNS1_3gpuE2ELNS1_3repE0EEENS1_30default_config_static_selectorELNS0_4arch9wavefront6targetE1EEEvSV_.numbered_sgpr, 0
	.set _ZN7rocprim17ROCPRIM_400000_NS6detail17trampoline_kernelINS0_13select_configILj256ELj13ELNS0_17block_load_methodE3ELS4_3ELS4_3ELNS0_20block_scan_algorithmE0ELj4294967295EEENS1_25partition_config_selectorILNS1_17partition_subalgoE3EjNS0_10empty_typeEbEEZZNS1_14partition_implILS8_3ELb0ES6_jNS0_17counting_iteratorIjlEEPS9_SE_NS0_5tupleIJPjSE_EEENSF_IJSE_SE_EEES9_SG_JZNS1_25segmented_radix_sort_implINS0_14default_configELb1EPKlPlSM_SN_N2at6native12_GLOBAL__N_18offset_tEEE10hipError_tPvRmT1_PNSt15iterator_traitsISV_E10value_typeET2_T3_PNSW_IS11_E10value_typeET4_jRbjT5_S17_jjP12ihipStream_tbEUljE_EEESS_ST_SU_S11_S15_S17_T6_T7_T9_mT8_S19_bDpT10_ENKUlT_T0_E_clISt17integral_constantIbLb1EES1L_IbLb0EEEEDaS1H_S1I_EUlS1H_E_NS1_11comp_targetILNS1_3genE8ELNS1_11target_archE1030ELNS1_3gpuE2ELNS1_3repE0EEENS1_30default_config_static_selectorELNS0_4arch9wavefront6targetE1EEEvSV_.num_named_barrier, 0
	.set _ZN7rocprim17ROCPRIM_400000_NS6detail17trampoline_kernelINS0_13select_configILj256ELj13ELNS0_17block_load_methodE3ELS4_3ELS4_3ELNS0_20block_scan_algorithmE0ELj4294967295EEENS1_25partition_config_selectorILNS1_17partition_subalgoE3EjNS0_10empty_typeEbEEZZNS1_14partition_implILS8_3ELb0ES6_jNS0_17counting_iteratorIjlEEPS9_SE_NS0_5tupleIJPjSE_EEENSF_IJSE_SE_EEES9_SG_JZNS1_25segmented_radix_sort_implINS0_14default_configELb1EPKlPlSM_SN_N2at6native12_GLOBAL__N_18offset_tEEE10hipError_tPvRmT1_PNSt15iterator_traitsISV_E10value_typeET2_T3_PNSW_IS11_E10value_typeET4_jRbjT5_S17_jjP12ihipStream_tbEUljE_EEESS_ST_SU_S11_S15_S17_T6_T7_T9_mT8_S19_bDpT10_ENKUlT_T0_E_clISt17integral_constantIbLb1EES1L_IbLb0EEEEDaS1H_S1I_EUlS1H_E_NS1_11comp_targetILNS1_3genE8ELNS1_11target_archE1030ELNS1_3gpuE2ELNS1_3repE0EEENS1_30default_config_static_selectorELNS0_4arch9wavefront6targetE1EEEvSV_.private_seg_size, 0
	.set _ZN7rocprim17ROCPRIM_400000_NS6detail17trampoline_kernelINS0_13select_configILj256ELj13ELNS0_17block_load_methodE3ELS4_3ELS4_3ELNS0_20block_scan_algorithmE0ELj4294967295EEENS1_25partition_config_selectorILNS1_17partition_subalgoE3EjNS0_10empty_typeEbEEZZNS1_14partition_implILS8_3ELb0ES6_jNS0_17counting_iteratorIjlEEPS9_SE_NS0_5tupleIJPjSE_EEENSF_IJSE_SE_EEES9_SG_JZNS1_25segmented_radix_sort_implINS0_14default_configELb1EPKlPlSM_SN_N2at6native12_GLOBAL__N_18offset_tEEE10hipError_tPvRmT1_PNSt15iterator_traitsISV_E10value_typeET2_T3_PNSW_IS11_E10value_typeET4_jRbjT5_S17_jjP12ihipStream_tbEUljE_EEESS_ST_SU_S11_S15_S17_T6_T7_T9_mT8_S19_bDpT10_ENKUlT_T0_E_clISt17integral_constantIbLb1EES1L_IbLb0EEEEDaS1H_S1I_EUlS1H_E_NS1_11comp_targetILNS1_3genE8ELNS1_11target_archE1030ELNS1_3gpuE2ELNS1_3repE0EEENS1_30default_config_static_selectorELNS0_4arch9wavefront6targetE1EEEvSV_.uses_vcc, 0
	.set _ZN7rocprim17ROCPRIM_400000_NS6detail17trampoline_kernelINS0_13select_configILj256ELj13ELNS0_17block_load_methodE3ELS4_3ELS4_3ELNS0_20block_scan_algorithmE0ELj4294967295EEENS1_25partition_config_selectorILNS1_17partition_subalgoE3EjNS0_10empty_typeEbEEZZNS1_14partition_implILS8_3ELb0ES6_jNS0_17counting_iteratorIjlEEPS9_SE_NS0_5tupleIJPjSE_EEENSF_IJSE_SE_EEES9_SG_JZNS1_25segmented_radix_sort_implINS0_14default_configELb1EPKlPlSM_SN_N2at6native12_GLOBAL__N_18offset_tEEE10hipError_tPvRmT1_PNSt15iterator_traitsISV_E10value_typeET2_T3_PNSW_IS11_E10value_typeET4_jRbjT5_S17_jjP12ihipStream_tbEUljE_EEESS_ST_SU_S11_S15_S17_T6_T7_T9_mT8_S19_bDpT10_ENKUlT_T0_E_clISt17integral_constantIbLb1EES1L_IbLb0EEEEDaS1H_S1I_EUlS1H_E_NS1_11comp_targetILNS1_3genE8ELNS1_11target_archE1030ELNS1_3gpuE2ELNS1_3repE0EEENS1_30default_config_static_selectorELNS0_4arch9wavefront6targetE1EEEvSV_.uses_flat_scratch, 0
	.set _ZN7rocprim17ROCPRIM_400000_NS6detail17trampoline_kernelINS0_13select_configILj256ELj13ELNS0_17block_load_methodE3ELS4_3ELS4_3ELNS0_20block_scan_algorithmE0ELj4294967295EEENS1_25partition_config_selectorILNS1_17partition_subalgoE3EjNS0_10empty_typeEbEEZZNS1_14partition_implILS8_3ELb0ES6_jNS0_17counting_iteratorIjlEEPS9_SE_NS0_5tupleIJPjSE_EEENSF_IJSE_SE_EEES9_SG_JZNS1_25segmented_radix_sort_implINS0_14default_configELb1EPKlPlSM_SN_N2at6native12_GLOBAL__N_18offset_tEEE10hipError_tPvRmT1_PNSt15iterator_traitsISV_E10value_typeET2_T3_PNSW_IS11_E10value_typeET4_jRbjT5_S17_jjP12ihipStream_tbEUljE_EEESS_ST_SU_S11_S15_S17_T6_T7_T9_mT8_S19_bDpT10_ENKUlT_T0_E_clISt17integral_constantIbLb1EES1L_IbLb0EEEEDaS1H_S1I_EUlS1H_E_NS1_11comp_targetILNS1_3genE8ELNS1_11target_archE1030ELNS1_3gpuE2ELNS1_3repE0EEENS1_30default_config_static_selectorELNS0_4arch9wavefront6targetE1EEEvSV_.has_dyn_sized_stack, 0
	.set _ZN7rocprim17ROCPRIM_400000_NS6detail17trampoline_kernelINS0_13select_configILj256ELj13ELNS0_17block_load_methodE3ELS4_3ELS4_3ELNS0_20block_scan_algorithmE0ELj4294967295EEENS1_25partition_config_selectorILNS1_17partition_subalgoE3EjNS0_10empty_typeEbEEZZNS1_14partition_implILS8_3ELb0ES6_jNS0_17counting_iteratorIjlEEPS9_SE_NS0_5tupleIJPjSE_EEENSF_IJSE_SE_EEES9_SG_JZNS1_25segmented_radix_sort_implINS0_14default_configELb1EPKlPlSM_SN_N2at6native12_GLOBAL__N_18offset_tEEE10hipError_tPvRmT1_PNSt15iterator_traitsISV_E10value_typeET2_T3_PNSW_IS11_E10value_typeET4_jRbjT5_S17_jjP12ihipStream_tbEUljE_EEESS_ST_SU_S11_S15_S17_T6_T7_T9_mT8_S19_bDpT10_ENKUlT_T0_E_clISt17integral_constantIbLb1EES1L_IbLb0EEEEDaS1H_S1I_EUlS1H_E_NS1_11comp_targetILNS1_3genE8ELNS1_11target_archE1030ELNS1_3gpuE2ELNS1_3repE0EEENS1_30default_config_static_selectorELNS0_4arch9wavefront6targetE1EEEvSV_.has_recursion, 0
	.set _ZN7rocprim17ROCPRIM_400000_NS6detail17trampoline_kernelINS0_13select_configILj256ELj13ELNS0_17block_load_methodE3ELS4_3ELS4_3ELNS0_20block_scan_algorithmE0ELj4294967295EEENS1_25partition_config_selectorILNS1_17partition_subalgoE3EjNS0_10empty_typeEbEEZZNS1_14partition_implILS8_3ELb0ES6_jNS0_17counting_iteratorIjlEEPS9_SE_NS0_5tupleIJPjSE_EEENSF_IJSE_SE_EEES9_SG_JZNS1_25segmented_radix_sort_implINS0_14default_configELb1EPKlPlSM_SN_N2at6native12_GLOBAL__N_18offset_tEEE10hipError_tPvRmT1_PNSt15iterator_traitsISV_E10value_typeET2_T3_PNSW_IS11_E10value_typeET4_jRbjT5_S17_jjP12ihipStream_tbEUljE_EEESS_ST_SU_S11_S15_S17_T6_T7_T9_mT8_S19_bDpT10_ENKUlT_T0_E_clISt17integral_constantIbLb1EES1L_IbLb0EEEEDaS1H_S1I_EUlS1H_E_NS1_11comp_targetILNS1_3genE8ELNS1_11target_archE1030ELNS1_3gpuE2ELNS1_3repE0EEENS1_30default_config_static_selectorELNS0_4arch9wavefront6targetE1EEEvSV_.has_indirect_call, 0
	.section	.AMDGPU.csdata,"",@progbits
; Kernel info:
; codeLenInByte = 0
; TotalNumSgprs: 4
; NumVgprs: 0
; ScratchSize: 0
; MemoryBound: 0
; FloatMode: 240
; IeeeMode: 1
; LDSByteSize: 0 bytes/workgroup (compile time only)
; SGPRBlocks: 0
; VGPRBlocks: 0
; NumSGPRsForWavesPerEU: 4
; NumVGPRsForWavesPerEU: 1
; Occupancy: 10
; WaveLimiterHint : 0
; COMPUTE_PGM_RSRC2:SCRATCH_EN: 0
; COMPUTE_PGM_RSRC2:USER_SGPR: 6
; COMPUTE_PGM_RSRC2:TRAP_HANDLER: 0
; COMPUTE_PGM_RSRC2:TGID_X_EN: 1
; COMPUTE_PGM_RSRC2:TGID_Y_EN: 0
; COMPUTE_PGM_RSRC2:TGID_Z_EN: 0
; COMPUTE_PGM_RSRC2:TIDIG_COMP_CNT: 0
	.section	.text._ZN7rocprim17ROCPRIM_400000_NS6detail17trampoline_kernelINS0_13select_configILj256ELj13ELNS0_17block_load_methodE3ELS4_3ELS4_3ELNS0_20block_scan_algorithmE0ELj4294967295EEENS1_25partition_config_selectorILNS1_17partition_subalgoE3EjNS0_10empty_typeEbEEZZNS1_14partition_implILS8_3ELb0ES6_jNS0_17counting_iteratorIjlEEPS9_SE_NS0_5tupleIJPjSE_EEENSF_IJSE_SE_EEES9_SG_JZNS1_25segmented_radix_sort_implINS0_14default_configELb1EPKlPlSM_SN_N2at6native12_GLOBAL__N_18offset_tEEE10hipError_tPvRmT1_PNSt15iterator_traitsISV_E10value_typeET2_T3_PNSW_IS11_E10value_typeET4_jRbjT5_S17_jjP12ihipStream_tbEUljE_EEESS_ST_SU_S11_S15_S17_T6_T7_T9_mT8_S19_bDpT10_ENKUlT_T0_E_clISt17integral_constantIbLb0EES1L_IbLb1EEEEDaS1H_S1I_EUlS1H_E_NS1_11comp_targetILNS1_3genE0ELNS1_11target_archE4294967295ELNS1_3gpuE0ELNS1_3repE0EEENS1_30default_config_static_selectorELNS0_4arch9wavefront6targetE1EEEvSV_,"axG",@progbits,_ZN7rocprim17ROCPRIM_400000_NS6detail17trampoline_kernelINS0_13select_configILj256ELj13ELNS0_17block_load_methodE3ELS4_3ELS4_3ELNS0_20block_scan_algorithmE0ELj4294967295EEENS1_25partition_config_selectorILNS1_17partition_subalgoE3EjNS0_10empty_typeEbEEZZNS1_14partition_implILS8_3ELb0ES6_jNS0_17counting_iteratorIjlEEPS9_SE_NS0_5tupleIJPjSE_EEENSF_IJSE_SE_EEES9_SG_JZNS1_25segmented_radix_sort_implINS0_14default_configELb1EPKlPlSM_SN_N2at6native12_GLOBAL__N_18offset_tEEE10hipError_tPvRmT1_PNSt15iterator_traitsISV_E10value_typeET2_T3_PNSW_IS11_E10value_typeET4_jRbjT5_S17_jjP12ihipStream_tbEUljE_EEESS_ST_SU_S11_S15_S17_T6_T7_T9_mT8_S19_bDpT10_ENKUlT_T0_E_clISt17integral_constantIbLb0EES1L_IbLb1EEEEDaS1H_S1I_EUlS1H_E_NS1_11comp_targetILNS1_3genE0ELNS1_11target_archE4294967295ELNS1_3gpuE0ELNS1_3repE0EEENS1_30default_config_static_selectorELNS0_4arch9wavefront6targetE1EEEvSV_,comdat
	.globl	_ZN7rocprim17ROCPRIM_400000_NS6detail17trampoline_kernelINS0_13select_configILj256ELj13ELNS0_17block_load_methodE3ELS4_3ELS4_3ELNS0_20block_scan_algorithmE0ELj4294967295EEENS1_25partition_config_selectorILNS1_17partition_subalgoE3EjNS0_10empty_typeEbEEZZNS1_14partition_implILS8_3ELb0ES6_jNS0_17counting_iteratorIjlEEPS9_SE_NS0_5tupleIJPjSE_EEENSF_IJSE_SE_EEES9_SG_JZNS1_25segmented_radix_sort_implINS0_14default_configELb1EPKlPlSM_SN_N2at6native12_GLOBAL__N_18offset_tEEE10hipError_tPvRmT1_PNSt15iterator_traitsISV_E10value_typeET2_T3_PNSW_IS11_E10value_typeET4_jRbjT5_S17_jjP12ihipStream_tbEUljE_EEESS_ST_SU_S11_S15_S17_T6_T7_T9_mT8_S19_bDpT10_ENKUlT_T0_E_clISt17integral_constantIbLb0EES1L_IbLb1EEEEDaS1H_S1I_EUlS1H_E_NS1_11comp_targetILNS1_3genE0ELNS1_11target_archE4294967295ELNS1_3gpuE0ELNS1_3repE0EEENS1_30default_config_static_selectorELNS0_4arch9wavefront6targetE1EEEvSV_ ; -- Begin function _ZN7rocprim17ROCPRIM_400000_NS6detail17trampoline_kernelINS0_13select_configILj256ELj13ELNS0_17block_load_methodE3ELS4_3ELS4_3ELNS0_20block_scan_algorithmE0ELj4294967295EEENS1_25partition_config_selectorILNS1_17partition_subalgoE3EjNS0_10empty_typeEbEEZZNS1_14partition_implILS8_3ELb0ES6_jNS0_17counting_iteratorIjlEEPS9_SE_NS0_5tupleIJPjSE_EEENSF_IJSE_SE_EEES9_SG_JZNS1_25segmented_radix_sort_implINS0_14default_configELb1EPKlPlSM_SN_N2at6native12_GLOBAL__N_18offset_tEEE10hipError_tPvRmT1_PNSt15iterator_traitsISV_E10value_typeET2_T3_PNSW_IS11_E10value_typeET4_jRbjT5_S17_jjP12ihipStream_tbEUljE_EEESS_ST_SU_S11_S15_S17_T6_T7_T9_mT8_S19_bDpT10_ENKUlT_T0_E_clISt17integral_constantIbLb0EES1L_IbLb1EEEEDaS1H_S1I_EUlS1H_E_NS1_11comp_targetILNS1_3genE0ELNS1_11target_archE4294967295ELNS1_3gpuE0ELNS1_3repE0EEENS1_30default_config_static_selectorELNS0_4arch9wavefront6targetE1EEEvSV_
	.p2align	8
	.type	_ZN7rocprim17ROCPRIM_400000_NS6detail17trampoline_kernelINS0_13select_configILj256ELj13ELNS0_17block_load_methodE3ELS4_3ELS4_3ELNS0_20block_scan_algorithmE0ELj4294967295EEENS1_25partition_config_selectorILNS1_17partition_subalgoE3EjNS0_10empty_typeEbEEZZNS1_14partition_implILS8_3ELb0ES6_jNS0_17counting_iteratorIjlEEPS9_SE_NS0_5tupleIJPjSE_EEENSF_IJSE_SE_EEES9_SG_JZNS1_25segmented_radix_sort_implINS0_14default_configELb1EPKlPlSM_SN_N2at6native12_GLOBAL__N_18offset_tEEE10hipError_tPvRmT1_PNSt15iterator_traitsISV_E10value_typeET2_T3_PNSW_IS11_E10value_typeET4_jRbjT5_S17_jjP12ihipStream_tbEUljE_EEESS_ST_SU_S11_S15_S17_T6_T7_T9_mT8_S19_bDpT10_ENKUlT_T0_E_clISt17integral_constantIbLb0EES1L_IbLb1EEEEDaS1H_S1I_EUlS1H_E_NS1_11comp_targetILNS1_3genE0ELNS1_11target_archE4294967295ELNS1_3gpuE0ELNS1_3repE0EEENS1_30default_config_static_selectorELNS0_4arch9wavefront6targetE1EEEvSV_,@function
_ZN7rocprim17ROCPRIM_400000_NS6detail17trampoline_kernelINS0_13select_configILj256ELj13ELNS0_17block_load_methodE3ELS4_3ELS4_3ELNS0_20block_scan_algorithmE0ELj4294967295EEENS1_25partition_config_selectorILNS1_17partition_subalgoE3EjNS0_10empty_typeEbEEZZNS1_14partition_implILS8_3ELb0ES6_jNS0_17counting_iteratorIjlEEPS9_SE_NS0_5tupleIJPjSE_EEENSF_IJSE_SE_EEES9_SG_JZNS1_25segmented_radix_sort_implINS0_14default_configELb1EPKlPlSM_SN_N2at6native12_GLOBAL__N_18offset_tEEE10hipError_tPvRmT1_PNSt15iterator_traitsISV_E10value_typeET2_T3_PNSW_IS11_E10value_typeET4_jRbjT5_S17_jjP12ihipStream_tbEUljE_EEESS_ST_SU_S11_S15_S17_T6_T7_T9_mT8_S19_bDpT10_ENKUlT_T0_E_clISt17integral_constantIbLb0EES1L_IbLb1EEEEDaS1H_S1I_EUlS1H_E_NS1_11comp_targetILNS1_3genE0ELNS1_11target_archE4294967295ELNS1_3gpuE0ELNS1_3repE0EEENS1_30default_config_static_selectorELNS0_4arch9wavefront6targetE1EEEvSV_: ; @_ZN7rocprim17ROCPRIM_400000_NS6detail17trampoline_kernelINS0_13select_configILj256ELj13ELNS0_17block_load_methodE3ELS4_3ELS4_3ELNS0_20block_scan_algorithmE0ELj4294967295EEENS1_25partition_config_selectorILNS1_17partition_subalgoE3EjNS0_10empty_typeEbEEZZNS1_14partition_implILS8_3ELb0ES6_jNS0_17counting_iteratorIjlEEPS9_SE_NS0_5tupleIJPjSE_EEENSF_IJSE_SE_EEES9_SG_JZNS1_25segmented_radix_sort_implINS0_14default_configELb1EPKlPlSM_SN_N2at6native12_GLOBAL__N_18offset_tEEE10hipError_tPvRmT1_PNSt15iterator_traitsISV_E10value_typeET2_T3_PNSW_IS11_E10value_typeET4_jRbjT5_S17_jjP12ihipStream_tbEUljE_EEESS_ST_SU_S11_S15_S17_T6_T7_T9_mT8_S19_bDpT10_ENKUlT_T0_E_clISt17integral_constantIbLb0EES1L_IbLb1EEEEDaS1H_S1I_EUlS1H_E_NS1_11comp_targetILNS1_3genE0ELNS1_11target_archE4294967295ELNS1_3gpuE0ELNS1_3repE0EEENS1_30default_config_static_selectorELNS0_4arch9wavefront6targetE1EEEvSV_
; %bb.0:
	.section	.rodata,"a",@progbits
	.p2align	6, 0x0
	.amdhsa_kernel _ZN7rocprim17ROCPRIM_400000_NS6detail17trampoline_kernelINS0_13select_configILj256ELj13ELNS0_17block_load_methodE3ELS4_3ELS4_3ELNS0_20block_scan_algorithmE0ELj4294967295EEENS1_25partition_config_selectorILNS1_17partition_subalgoE3EjNS0_10empty_typeEbEEZZNS1_14partition_implILS8_3ELb0ES6_jNS0_17counting_iteratorIjlEEPS9_SE_NS0_5tupleIJPjSE_EEENSF_IJSE_SE_EEES9_SG_JZNS1_25segmented_radix_sort_implINS0_14default_configELb1EPKlPlSM_SN_N2at6native12_GLOBAL__N_18offset_tEEE10hipError_tPvRmT1_PNSt15iterator_traitsISV_E10value_typeET2_T3_PNSW_IS11_E10value_typeET4_jRbjT5_S17_jjP12ihipStream_tbEUljE_EEESS_ST_SU_S11_S15_S17_T6_T7_T9_mT8_S19_bDpT10_ENKUlT_T0_E_clISt17integral_constantIbLb0EES1L_IbLb1EEEEDaS1H_S1I_EUlS1H_E_NS1_11comp_targetILNS1_3genE0ELNS1_11target_archE4294967295ELNS1_3gpuE0ELNS1_3repE0EEENS1_30default_config_static_selectorELNS0_4arch9wavefront6targetE1EEEvSV_
		.amdhsa_group_segment_fixed_size 0
		.amdhsa_private_segment_fixed_size 0
		.amdhsa_kernarg_size 152
		.amdhsa_user_sgpr_count 6
		.amdhsa_user_sgpr_private_segment_buffer 1
		.amdhsa_user_sgpr_dispatch_ptr 0
		.amdhsa_user_sgpr_queue_ptr 0
		.amdhsa_user_sgpr_kernarg_segment_ptr 1
		.amdhsa_user_sgpr_dispatch_id 0
		.amdhsa_user_sgpr_flat_scratch_init 0
		.amdhsa_user_sgpr_private_segment_size 0
		.amdhsa_uses_dynamic_stack 0
		.amdhsa_system_sgpr_private_segment_wavefront_offset 0
		.amdhsa_system_sgpr_workgroup_id_x 1
		.amdhsa_system_sgpr_workgroup_id_y 0
		.amdhsa_system_sgpr_workgroup_id_z 0
		.amdhsa_system_sgpr_workgroup_info 0
		.amdhsa_system_vgpr_workitem_id 0
		.amdhsa_next_free_vgpr 1
		.amdhsa_next_free_sgpr 0
		.amdhsa_reserve_vcc 0
		.amdhsa_reserve_flat_scratch 0
		.amdhsa_float_round_mode_32 0
		.amdhsa_float_round_mode_16_64 0
		.amdhsa_float_denorm_mode_32 3
		.amdhsa_float_denorm_mode_16_64 3
		.amdhsa_dx10_clamp 1
		.amdhsa_ieee_mode 1
		.amdhsa_fp16_overflow 0
		.amdhsa_exception_fp_ieee_invalid_op 0
		.amdhsa_exception_fp_denorm_src 0
		.amdhsa_exception_fp_ieee_div_zero 0
		.amdhsa_exception_fp_ieee_overflow 0
		.amdhsa_exception_fp_ieee_underflow 0
		.amdhsa_exception_fp_ieee_inexact 0
		.amdhsa_exception_int_div_zero 0
	.end_amdhsa_kernel
	.section	.text._ZN7rocprim17ROCPRIM_400000_NS6detail17trampoline_kernelINS0_13select_configILj256ELj13ELNS0_17block_load_methodE3ELS4_3ELS4_3ELNS0_20block_scan_algorithmE0ELj4294967295EEENS1_25partition_config_selectorILNS1_17partition_subalgoE3EjNS0_10empty_typeEbEEZZNS1_14partition_implILS8_3ELb0ES6_jNS0_17counting_iteratorIjlEEPS9_SE_NS0_5tupleIJPjSE_EEENSF_IJSE_SE_EEES9_SG_JZNS1_25segmented_radix_sort_implINS0_14default_configELb1EPKlPlSM_SN_N2at6native12_GLOBAL__N_18offset_tEEE10hipError_tPvRmT1_PNSt15iterator_traitsISV_E10value_typeET2_T3_PNSW_IS11_E10value_typeET4_jRbjT5_S17_jjP12ihipStream_tbEUljE_EEESS_ST_SU_S11_S15_S17_T6_T7_T9_mT8_S19_bDpT10_ENKUlT_T0_E_clISt17integral_constantIbLb0EES1L_IbLb1EEEEDaS1H_S1I_EUlS1H_E_NS1_11comp_targetILNS1_3genE0ELNS1_11target_archE4294967295ELNS1_3gpuE0ELNS1_3repE0EEENS1_30default_config_static_selectorELNS0_4arch9wavefront6targetE1EEEvSV_,"axG",@progbits,_ZN7rocprim17ROCPRIM_400000_NS6detail17trampoline_kernelINS0_13select_configILj256ELj13ELNS0_17block_load_methodE3ELS4_3ELS4_3ELNS0_20block_scan_algorithmE0ELj4294967295EEENS1_25partition_config_selectorILNS1_17partition_subalgoE3EjNS0_10empty_typeEbEEZZNS1_14partition_implILS8_3ELb0ES6_jNS0_17counting_iteratorIjlEEPS9_SE_NS0_5tupleIJPjSE_EEENSF_IJSE_SE_EEES9_SG_JZNS1_25segmented_radix_sort_implINS0_14default_configELb1EPKlPlSM_SN_N2at6native12_GLOBAL__N_18offset_tEEE10hipError_tPvRmT1_PNSt15iterator_traitsISV_E10value_typeET2_T3_PNSW_IS11_E10value_typeET4_jRbjT5_S17_jjP12ihipStream_tbEUljE_EEESS_ST_SU_S11_S15_S17_T6_T7_T9_mT8_S19_bDpT10_ENKUlT_T0_E_clISt17integral_constantIbLb0EES1L_IbLb1EEEEDaS1H_S1I_EUlS1H_E_NS1_11comp_targetILNS1_3genE0ELNS1_11target_archE4294967295ELNS1_3gpuE0ELNS1_3repE0EEENS1_30default_config_static_selectorELNS0_4arch9wavefront6targetE1EEEvSV_,comdat
.Lfunc_end696:
	.size	_ZN7rocprim17ROCPRIM_400000_NS6detail17trampoline_kernelINS0_13select_configILj256ELj13ELNS0_17block_load_methodE3ELS4_3ELS4_3ELNS0_20block_scan_algorithmE0ELj4294967295EEENS1_25partition_config_selectorILNS1_17partition_subalgoE3EjNS0_10empty_typeEbEEZZNS1_14partition_implILS8_3ELb0ES6_jNS0_17counting_iteratorIjlEEPS9_SE_NS0_5tupleIJPjSE_EEENSF_IJSE_SE_EEES9_SG_JZNS1_25segmented_radix_sort_implINS0_14default_configELb1EPKlPlSM_SN_N2at6native12_GLOBAL__N_18offset_tEEE10hipError_tPvRmT1_PNSt15iterator_traitsISV_E10value_typeET2_T3_PNSW_IS11_E10value_typeET4_jRbjT5_S17_jjP12ihipStream_tbEUljE_EEESS_ST_SU_S11_S15_S17_T6_T7_T9_mT8_S19_bDpT10_ENKUlT_T0_E_clISt17integral_constantIbLb0EES1L_IbLb1EEEEDaS1H_S1I_EUlS1H_E_NS1_11comp_targetILNS1_3genE0ELNS1_11target_archE4294967295ELNS1_3gpuE0ELNS1_3repE0EEENS1_30default_config_static_selectorELNS0_4arch9wavefront6targetE1EEEvSV_, .Lfunc_end696-_ZN7rocprim17ROCPRIM_400000_NS6detail17trampoline_kernelINS0_13select_configILj256ELj13ELNS0_17block_load_methodE3ELS4_3ELS4_3ELNS0_20block_scan_algorithmE0ELj4294967295EEENS1_25partition_config_selectorILNS1_17partition_subalgoE3EjNS0_10empty_typeEbEEZZNS1_14partition_implILS8_3ELb0ES6_jNS0_17counting_iteratorIjlEEPS9_SE_NS0_5tupleIJPjSE_EEENSF_IJSE_SE_EEES9_SG_JZNS1_25segmented_radix_sort_implINS0_14default_configELb1EPKlPlSM_SN_N2at6native12_GLOBAL__N_18offset_tEEE10hipError_tPvRmT1_PNSt15iterator_traitsISV_E10value_typeET2_T3_PNSW_IS11_E10value_typeET4_jRbjT5_S17_jjP12ihipStream_tbEUljE_EEESS_ST_SU_S11_S15_S17_T6_T7_T9_mT8_S19_bDpT10_ENKUlT_T0_E_clISt17integral_constantIbLb0EES1L_IbLb1EEEEDaS1H_S1I_EUlS1H_E_NS1_11comp_targetILNS1_3genE0ELNS1_11target_archE4294967295ELNS1_3gpuE0ELNS1_3repE0EEENS1_30default_config_static_selectorELNS0_4arch9wavefront6targetE1EEEvSV_
                                        ; -- End function
	.set _ZN7rocprim17ROCPRIM_400000_NS6detail17trampoline_kernelINS0_13select_configILj256ELj13ELNS0_17block_load_methodE3ELS4_3ELS4_3ELNS0_20block_scan_algorithmE0ELj4294967295EEENS1_25partition_config_selectorILNS1_17partition_subalgoE3EjNS0_10empty_typeEbEEZZNS1_14partition_implILS8_3ELb0ES6_jNS0_17counting_iteratorIjlEEPS9_SE_NS0_5tupleIJPjSE_EEENSF_IJSE_SE_EEES9_SG_JZNS1_25segmented_radix_sort_implINS0_14default_configELb1EPKlPlSM_SN_N2at6native12_GLOBAL__N_18offset_tEEE10hipError_tPvRmT1_PNSt15iterator_traitsISV_E10value_typeET2_T3_PNSW_IS11_E10value_typeET4_jRbjT5_S17_jjP12ihipStream_tbEUljE_EEESS_ST_SU_S11_S15_S17_T6_T7_T9_mT8_S19_bDpT10_ENKUlT_T0_E_clISt17integral_constantIbLb0EES1L_IbLb1EEEEDaS1H_S1I_EUlS1H_E_NS1_11comp_targetILNS1_3genE0ELNS1_11target_archE4294967295ELNS1_3gpuE0ELNS1_3repE0EEENS1_30default_config_static_selectorELNS0_4arch9wavefront6targetE1EEEvSV_.num_vgpr, 0
	.set _ZN7rocprim17ROCPRIM_400000_NS6detail17trampoline_kernelINS0_13select_configILj256ELj13ELNS0_17block_load_methodE3ELS4_3ELS4_3ELNS0_20block_scan_algorithmE0ELj4294967295EEENS1_25partition_config_selectorILNS1_17partition_subalgoE3EjNS0_10empty_typeEbEEZZNS1_14partition_implILS8_3ELb0ES6_jNS0_17counting_iteratorIjlEEPS9_SE_NS0_5tupleIJPjSE_EEENSF_IJSE_SE_EEES9_SG_JZNS1_25segmented_radix_sort_implINS0_14default_configELb1EPKlPlSM_SN_N2at6native12_GLOBAL__N_18offset_tEEE10hipError_tPvRmT1_PNSt15iterator_traitsISV_E10value_typeET2_T3_PNSW_IS11_E10value_typeET4_jRbjT5_S17_jjP12ihipStream_tbEUljE_EEESS_ST_SU_S11_S15_S17_T6_T7_T9_mT8_S19_bDpT10_ENKUlT_T0_E_clISt17integral_constantIbLb0EES1L_IbLb1EEEEDaS1H_S1I_EUlS1H_E_NS1_11comp_targetILNS1_3genE0ELNS1_11target_archE4294967295ELNS1_3gpuE0ELNS1_3repE0EEENS1_30default_config_static_selectorELNS0_4arch9wavefront6targetE1EEEvSV_.num_agpr, 0
	.set _ZN7rocprim17ROCPRIM_400000_NS6detail17trampoline_kernelINS0_13select_configILj256ELj13ELNS0_17block_load_methodE3ELS4_3ELS4_3ELNS0_20block_scan_algorithmE0ELj4294967295EEENS1_25partition_config_selectorILNS1_17partition_subalgoE3EjNS0_10empty_typeEbEEZZNS1_14partition_implILS8_3ELb0ES6_jNS0_17counting_iteratorIjlEEPS9_SE_NS0_5tupleIJPjSE_EEENSF_IJSE_SE_EEES9_SG_JZNS1_25segmented_radix_sort_implINS0_14default_configELb1EPKlPlSM_SN_N2at6native12_GLOBAL__N_18offset_tEEE10hipError_tPvRmT1_PNSt15iterator_traitsISV_E10value_typeET2_T3_PNSW_IS11_E10value_typeET4_jRbjT5_S17_jjP12ihipStream_tbEUljE_EEESS_ST_SU_S11_S15_S17_T6_T7_T9_mT8_S19_bDpT10_ENKUlT_T0_E_clISt17integral_constantIbLb0EES1L_IbLb1EEEEDaS1H_S1I_EUlS1H_E_NS1_11comp_targetILNS1_3genE0ELNS1_11target_archE4294967295ELNS1_3gpuE0ELNS1_3repE0EEENS1_30default_config_static_selectorELNS0_4arch9wavefront6targetE1EEEvSV_.numbered_sgpr, 0
	.set _ZN7rocprim17ROCPRIM_400000_NS6detail17trampoline_kernelINS0_13select_configILj256ELj13ELNS0_17block_load_methodE3ELS4_3ELS4_3ELNS0_20block_scan_algorithmE0ELj4294967295EEENS1_25partition_config_selectorILNS1_17partition_subalgoE3EjNS0_10empty_typeEbEEZZNS1_14partition_implILS8_3ELb0ES6_jNS0_17counting_iteratorIjlEEPS9_SE_NS0_5tupleIJPjSE_EEENSF_IJSE_SE_EEES9_SG_JZNS1_25segmented_radix_sort_implINS0_14default_configELb1EPKlPlSM_SN_N2at6native12_GLOBAL__N_18offset_tEEE10hipError_tPvRmT1_PNSt15iterator_traitsISV_E10value_typeET2_T3_PNSW_IS11_E10value_typeET4_jRbjT5_S17_jjP12ihipStream_tbEUljE_EEESS_ST_SU_S11_S15_S17_T6_T7_T9_mT8_S19_bDpT10_ENKUlT_T0_E_clISt17integral_constantIbLb0EES1L_IbLb1EEEEDaS1H_S1I_EUlS1H_E_NS1_11comp_targetILNS1_3genE0ELNS1_11target_archE4294967295ELNS1_3gpuE0ELNS1_3repE0EEENS1_30default_config_static_selectorELNS0_4arch9wavefront6targetE1EEEvSV_.num_named_barrier, 0
	.set _ZN7rocprim17ROCPRIM_400000_NS6detail17trampoline_kernelINS0_13select_configILj256ELj13ELNS0_17block_load_methodE3ELS4_3ELS4_3ELNS0_20block_scan_algorithmE0ELj4294967295EEENS1_25partition_config_selectorILNS1_17partition_subalgoE3EjNS0_10empty_typeEbEEZZNS1_14partition_implILS8_3ELb0ES6_jNS0_17counting_iteratorIjlEEPS9_SE_NS0_5tupleIJPjSE_EEENSF_IJSE_SE_EEES9_SG_JZNS1_25segmented_radix_sort_implINS0_14default_configELb1EPKlPlSM_SN_N2at6native12_GLOBAL__N_18offset_tEEE10hipError_tPvRmT1_PNSt15iterator_traitsISV_E10value_typeET2_T3_PNSW_IS11_E10value_typeET4_jRbjT5_S17_jjP12ihipStream_tbEUljE_EEESS_ST_SU_S11_S15_S17_T6_T7_T9_mT8_S19_bDpT10_ENKUlT_T0_E_clISt17integral_constantIbLb0EES1L_IbLb1EEEEDaS1H_S1I_EUlS1H_E_NS1_11comp_targetILNS1_3genE0ELNS1_11target_archE4294967295ELNS1_3gpuE0ELNS1_3repE0EEENS1_30default_config_static_selectorELNS0_4arch9wavefront6targetE1EEEvSV_.private_seg_size, 0
	.set _ZN7rocprim17ROCPRIM_400000_NS6detail17trampoline_kernelINS0_13select_configILj256ELj13ELNS0_17block_load_methodE3ELS4_3ELS4_3ELNS0_20block_scan_algorithmE0ELj4294967295EEENS1_25partition_config_selectorILNS1_17partition_subalgoE3EjNS0_10empty_typeEbEEZZNS1_14partition_implILS8_3ELb0ES6_jNS0_17counting_iteratorIjlEEPS9_SE_NS0_5tupleIJPjSE_EEENSF_IJSE_SE_EEES9_SG_JZNS1_25segmented_radix_sort_implINS0_14default_configELb1EPKlPlSM_SN_N2at6native12_GLOBAL__N_18offset_tEEE10hipError_tPvRmT1_PNSt15iterator_traitsISV_E10value_typeET2_T3_PNSW_IS11_E10value_typeET4_jRbjT5_S17_jjP12ihipStream_tbEUljE_EEESS_ST_SU_S11_S15_S17_T6_T7_T9_mT8_S19_bDpT10_ENKUlT_T0_E_clISt17integral_constantIbLb0EES1L_IbLb1EEEEDaS1H_S1I_EUlS1H_E_NS1_11comp_targetILNS1_3genE0ELNS1_11target_archE4294967295ELNS1_3gpuE0ELNS1_3repE0EEENS1_30default_config_static_selectorELNS0_4arch9wavefront6targetE1EEEvSV_.uses_vcc, 0
	.set _ZN7rocprim17ROCPRIM_400000_NS6detail17trampoline_kernelINS0_13select_configILj256ELj13ELNS0_17block_load_methodE3ELS4_3ELS4_3ELNS0_20block_scan_algorithmE0ELj4294967295EEENS1_25partition_config_selectorILNS1_17partition_subalgoE3EjNS0_10empty_typeEbEEZZNS1_14partition_implILS8_3ELb0ES6_jNS0_17counting_iteratorIjlEEPS9_SE_NS0_5tupleIJPjSE_EEENSF_IJSE_SE_EEES9_SG_JZNS1_25segmented_radix_sort_implINS0_14default_configELb1EPKlPlSM_SN_N2at6native12_GLOBAL__N_18offset_tEEE10hipError_tPvRmT1_PNSt15iterator_traitsISV_E10value_typeET2_T3_PNSW_IS11_E10value_typeET4_jRbjT5_S17_jjP12ihipStream_tbEUljE_EEESS_ST_SU_S11_S15_S17_T6_T7_T9_mT8_S19_bDpT10_ENKUlT_T0_E_clISt17integral_constantIbLb0EES1L_IbLb1EEEEDaS1H_S1I_EUlS1H_E_NS1_11comp_targetILNS1_3genE0ELNS1_11target_archE4294967295ELNS1_3gpuE0ELNS1_3repE0EEENS1_30default_config_static_selectorELNS0_4arch9wavefront6targetE1EEEvSV_.uses_flat_scratch, 0
	.set _ZN7rocprim17ROCPRIM_400000_NS6detail17trampoline_kernelINS0_13select_configILj256ELj13ELNS0_17block_load_methodE3ELS4_3ELS4_3ELNS0_20block_scan_algorithmE0ELj4294967295EEENS1_25partition_config_selectorILNS1_17partition_subalgoE3EjNS0_10empty_typeEbEEZZNS1_14partition_implILS8_3ELb0ES6_jNS0_17counting_iteratorIjlEEPS9_SE_NS0_5tupleIJPjSE_EEENSF_IJSE_SE_EEES9_SG_JZNS1_25segmented_radix_sort_implINS0_14default_configELb1EPKlPlSM_SN_N2at6native12_GLOBAL__N_18offset_tEEE10hipError_tPvRmT1_PNSt15iterator_traitsISV_E10value_typeET2_T3_PNSW_IS11_E10value_typeET4_jRbjT5_S17_jjP12ihipStream_tbEUljE_EEESS_ST_SU_S11_S15_S17_T6_T7_T9_mT8_S19_bDpT10_ENKUlT_T0_E_clISt17integral_constantIbLb0EES1L_IbLb1EEEEDaS1H_S1I_EUlS1H_E_NS1_11comp_targetILNS1_3genE0ELNS1_11target_archE4294967295ELNS1_3gpuE0ELNS1_3repE0EEENS1_30default_config_static_selectorELNS0_4arch9wavefront6targetE1EEEvSV_.has_dyn_sized_stack, 0
	.set _ZN7rocprim17ROCPRIM_400000_NS6detail17trampoline_kernelINS0_13select_configILj256ELj13ELNS0_17block_load_methodE3ELS4_3ELS4_3ELNS0_20block_scan_algorithmE0ELj4294967295EEENS1_25partition_config_selectorILNS1_17partition_subalgoE3EjNS0_10empty_typeEbEEZZNS1_14partition_implILS8_3ELb0ES6_jNS0_17counting_iteratorIjlEEPS9_SE_NS0_5tupleIJPjSE_EEENSF_IJSE_SE_EEES9_SG_JZNS1_25segmented_radix_sort_implINS0_14default_configELb1EPKlPlSM_SN_N2at6native12_GLOBAL__N_18offset_tEEE10hipError_tPvRmT1_PNSt15iterator_traitsISV_E10value_typeET2_T3_PNSW_IS11_E10value_typeET4_jRbjT5_S17_jjP12ihipStream_tbEUljE_EEESS_ST_SU_S11_S15_S17_T6_T7_T9_mT8_S19_bDpT10_ENKUlT_T0_E_clISt17integral_constantIbLb0EES1L_IbLb1EEEEDaS1H_S1I_EUlS1H_E_NS1_11comp_targetILNS1_3genE0ELNS1_11target_archE4294967295ELNS1_3gpuE0ELNS1_3repE0EEENS1_30default_config_static_selectorELNS0_4arch9wavefront6targetE1EEEvSV_.has_recursion, 0
	.set _ZN7rocprim17ROCPRIM_400000_NS6detail17trampoline_kernelINS0_13select_configILj256ELj13ELNS0_17block_load_methodE3ELS4_3ELS4_3ELNS0_20block_scan_algorithmE0ELj4294967295EEENS1_25partition_config_selectorILNS1_17partition_subalgoE3EjNS0_10empty_typeEbEEZZNS1_14partition_implILS8_3ELb0ES6_jNS0_17counting_iteratorIjlEEPS9_SE_NS0_5tupleIJPjSE_EEENSF_IJSE_SE_EEES9_SG_JZNS1_25segmented_radix_sort_implINS0_14default_configELb1EPKlPlSM_SN_N2at6native12_GLOBAL__N_18offset_tEEE10hipError_tPvRmT1_PNSt15iterator_traitsISV_E10value_typeET2_T3_PNSW_IS11_E10value_typeET4_jRbjT5_S17_jjP12ihipStream_tbEUljE_EEESS_ST_SU_S11_S15_S17_T6_T7_T9_mT8_S19_bDpT10_ENKUlT_T0_E_clISt17integral_constantIbLb0EES1L_IbLb1EEEEDaS1H_S1I_EUlS1H_E_NS1_11comp_targetILNS1_3genE0ELNS1_11target_archE4294967295ELNS1_3gpuE0ELNS1_3repE0EEENS1_30default_config_static_selectorELNS0_4arch9wavefront6targetE1EEEvSV_.has_indirect_call, 0
	.section	.AMDGPU.csdata,"",@progbits
; Kernel info:
; codeLenInByte = 0
; TotalNumSgprs: 4
; NumVgprs: 0
; ScratchSize: 0
; MemoryBound: 0
; FloatMode: 240
; IeeeMode: 1
; LDSByteSize: 0 bytes/workgroup (compile time only)
; SGPRBlocks: 0
; VGPRBlocks: 0
; NumSGPRsForWavesPerEU: 4
; NumVGPRsForWavesPerEU: 1
; Occupancy: 10
; WaveLimiterHint : 0
; COMPUTE_PGM_RSRC2:SCRATCH_EN: 0
; COMPUTE_PGM_RSRC2:USER_SGPR: 6
; COMPUTE_PGM_RSRC2:TRAP_HANDLER: 0
; COMPUTE_PGM_RSRC2:TGID_X_EN: 1
; COMPUTE_PGM_RSRC2:TGID_Y_EN: 0
; COMPUTE_PGM_RSRC2:TGID_Z_EN: 0
; COMPUTE_PGM_RSRC2:TIDIG_COMP_CNT: 0
	.section	.text._ZN7rocprim17ROCPRIM_400000_NS6detail17trampoline_kernelINS0_13select_configILj256ELj13ELNS0_17block_load_methodE3ELS4_3ELS4_3ELNS0_20block_scan_algorithmE0ELj4294967295EEENS1_25partition_config_selectorILNS1_17partition_subalgoE3EjNS0_10empty_typeEbEEZZNS1_14partition_implILS8_3ELb0ES6_jNS0_17counting_iteratorIjlEEPS9_SE_NS0_5tupleIJPjSE_EEENSF_IJSE_SE_EEES9_SG_JZNS1_25segmented_radix_sort_implINS0_14default_configELb1EPKlPlSM_SN_N2at6native12_GLOBAL__N_18offset_tEEE10hipError_tPvRmT1_PNSt15iterator_traitsISV_E10value_typeET2_T3_PNSW_IS11_E10value_typeET4_jRbjT5_S17_jjP12ihipStream_tbEUljE_EEESS_ST_SU_S11_S15_S17_T6_T7_T9_mT8_S19_bDpT10_ENKUlT_T0_E_clISt17integral_constantIbLb0EES1L_IbLb1EEEEDaS1H_S1I_EUlS1H_E_NS1_11comp_targetILNS1_3genE5ELNS1_11target_archE942ELNS1_3gpuE9ELNS1_3repE0EEENS1_30default_config_static_selectorELNS0_4arch9wavefront6targetE1EEEvSV_,"axG",@progbits,_ZN7rocprim17ROCPRIM_400000_NS6detail17trampoline_kernelINS0_13select_configILj256ELj13ELNS0_17block_load_methodE3ELS4_3ELS4_3ELNS0_20block_scan_algorithmE0ELj4294967295EEENS1_25partition_config_selectorILNS1_17partition_subalgoE3EjNS0_10empty_typeEbEEZZNS1_14partition_implILS8_3ELb0ES6_jNS0_17counting_iteratorIjlEEPS9_SE_NS0_5tupleIJPjSE_EEENSF_IJSE_SE_EEES9_SG_JZNS1_25segmented_radix_sort_implINS0_14default_configELb1EPKlPlSM_SN_N2at6native12_GLOBAL__N_18offset_tEEE10hipError_tPvRmT1_PNSt15iterator_traitsISV_E10value_typeET2_T3_PNSW_IS11_E10value_typeET4_jRbjT5_S17_jjP12ihipStream_tbEUljE_EEESS_ST_SU_S11_S15_S17_T6_T7_T9_mT8_S19_bDpT10_ENKUlT_T0_E_clISt17integral_constantIbLb0EES1L_IbLb1EEEEDaS1H_S1I_EUlS1H_E_NS1_11comp_targetILNS1_3genE5ELNS1_11target_archE942ELNS1_3gpuE9ELNS1_3repE0EEENS1_30default_config_static_selectorELNS0_4arch9wavefront6targetE1EEEvSV_,comdat
	.globl	_ZN7rocprim17ROCPRIM_400000_NS6detail17trampoline_kernelINS0_13select_configILj256ELj13ELNS0_17block_load_methodE3ELS4_3ELS4_3ELNS0_20block_scan_algorithmE0ELj4294967295EEENS1_25partition_config_selectorILNS1_17partition_subalgoE3EjNS0_10empty_typeEbEEZZNS1_14partition_implILS8_3ELb0ES6_jNS0_17counting_iteratorIjlEEPS9_SE_NS0_5tupleIJPjSE_EEENSF_IJSE_SE_EEES9_SG_JZNS1_25segmented_radix_sort_implINS0_14default_configELb1EPKlPlSM_SN_N2at6native12_GLOBAL__N_18offset_tEEE10hipError_tPvRmT1_PNSt15iterator_traitsISV_E10value_typeET2_T3_PNSW_IS11_E10value_typeET4_jRbjT5_S17_jjP12ihipStream_tbEUljE_EEESS_ST_SU_S11_S15_S17_T6_T7_T9_mT8_S19_bDpT10_ENKUlT_T0_E_clISt17integral_constantIbLb0EES1L_IbLb1EEEEDaS1H_S1I_EUlS1H_E_NS1_11comp_targetILNS1_3genE5ELNS1_11target_archE942ELNS1_3gpuE9ELNS1_3repE0EEENS1_30default_config_static_selectorELNS0_4arch9wavefront6targetE1EEEvSV_ ; -- Begin function _ZN7rocprim17ROCPRIM_400000_NS6detail17trampoline_kernelINS0_13select_configILj256ELj13ELNS0_17block_load_methodE3ELS4_3ELS4_3ELNS0_20block_scan_algorithmE0ELj4294967295EEENS1_25partition_config_selectorILNS1_17partition_subalgoE3EjNS0_10empty_typeEbEEZZNS1_14partition_implILS8_3ELb0ES6_jNS0_17counting_iteratorIjlEEPS9_SE_NS0_5tupleIJPjSE_EEENSF_IJSE_SE_EEES9_SG_JZNS1_25segmented_radix_sort_implINS0_14default_configELb1EPKlPlSM_SN_N2at6native12_GLOBAL__N_18offset_tEEE10hipError_tPvRmT1_PNSt15iterator_traitsISV_E10value_typeET2_T3_PNSW_IS11_E10value_typeET4_jRbjT5_S17_jjP12ihipStream_tbEUljE_EEESS_ST_SU_S11_S15_S17_T6_T7_T9_mT8_S19_bDpT10_ENKUlT_T0_E_clISt17integral_constantIbLb0EES1L_IbLb1EEEEDaS1H_S1I_EUlS1H_E_NS1_11comp_targetILNS1_3genE5ELNS1_11target_archE942ELNS1_3gpuE9ELNS1_3repE0EEENS1_30default_config_static_selectorELNS0_4arch9wavefront6targetE1EEEvSV_
	.p2align	8
	.type	_ZN7rocprim17ROCPRIM_400000_NS6detail17trampoline_kernelINS0_13select_configILj256ELj13ELNS0_17block_load_methodE3ELS4_3ELS4_3ELNS0_20block_scan_algorithmE0ELj4294967295EEENS1_25partition_config_selectorILNS1_17partition_subalgoE3EjNS0_10empty_typeEbEEZZNS1_14partition_implILS8_3ELb0ES6_jNS0_17counting_iteratorIjlEEPS9_SE_NS0_5tupleIJPjSE_EEENSF_IJSE_SE_EEES9_SG_JZNS1_25segmented_radix_sort_implINS0_14default_configELb1EPKlPlSM_SN_N2at6native12_GLOBAL__N_18offset_tEEE10hipError_tPvRmT1_PNSt15iterator_traitsISV_E10value_typeET2_T3_PNSW_IS11_E10value_typeET4_jRbjT5_S17_jjP12ihipStream_tbEUljE_EEESS_ST_SU_S11_S15_S17_T6_T7_T9_mT8_S19_bDpT10_ENKUlT_T0_E_clISt17integral_constantIbLb0EES1L_IbLb1EEEEDaS1H_S1I_EUlS1H_E_NS1_11comp_targetILNS1_3genE5ELNS1_11target_archE942ELNS1_3gpuE9ELNS1_3repE0EEENS1_30default_config_static_selectorELNS0_4arch9wavefront6targetE1EEEvSV_,@function
_ZN7rocprim17ROCPRIM_400000_NS6detail17trampoline_kernelINS0_13select_configILj256ELj13ELNS0_17block_load_methodE3ELS4_3ELS4_3ELNS0_20block_scan_algorithmE0ELj4294967295EEENS1_25partition_config_selectorILNS1_17partition_subalgoE3EjNS0_10empty_typeEbEEZZNS1_14partition_implILS8_3ELb0ES6_jNS0_17counting_iteratorIjlEEPS9_SE_NS0_5tupleIJPjSE_EEENSF_IJSE_SE_EEES9_SG_JZNS1_25segmented_radix_sort_implINS0_14default_configELb1EPKlPlSM_SN_N2at6native12_GLOBAL__N_18offset_tEEE10hipError_tPvRmT1_PNSt15iterator_traitsISV_E10value_typeET2_T3_PNSW_IS11_E10value_typeET4_jRbjT5_S17_jjP12ihipStream_tbEUljE_EEESS_ST_SU_S11_S15_S17_T6_T7_T9_mT8_S19_bDpT10_ENKUlT_T0_E_clISt17integral_constantIbLb0EES1L_IbLb1EEEEDaS1H_S1I_EUlS1H_E_NS1_11comp_targetILNS1_3genE5ELNS1_11target_archE942ELNS1_3gpuE9ELNS1_3repE0EEENS1_30default_config_static_selectorELNS0_4arch9wavefront6targetE1EEEvSV_: ; @_ZN7rocprim17ROCPRIM_400000_NS6detail17trampoline_kernelINS0_13select_configILj256ELj13ELNS0_17block_load_methodE3ELS4_3ELS4_3ELNS0_20block_scan_algorithmE0ELj4294967295EEENS1_25partition_config_selectorILNS1_17partition_subalgoE3EjNS0_10empty_typeEbEEZZNS1_14partition_implILS8_3ELb0ES6_jNS0_17counting_iteratorIjlEEPS9_SE_NS0_5tupleIJPjSE_EEENSF_IJSE_SE_EEES9_SG_JZNS1_25segmented_radix_sort_implINS0_14default_configELb1EPKlPlSM_SN_N2at6native12_GLOBAL__N_18offset_tEEE10hipError_tPvRmT1_PNSt15iterator_traitsISV_E10value_typeET2_T3_PNSW_IS11_E10value_typeET4_jRbjT5_S17_jjP12ihipStream_tbEUljE_EEESS_ST_SU_S11_S15_S17_T6_T7_T9_mT8_S19_bDpT10_ENKUlT_T0_E_clISt17integral_constantIbLb0EES1L_IbLb1EEEEDaS1H_S1I_EUlS1H_E_NS1_11comp_targetILNS1_3genE5ELNS1_11target_archE942ELNS1_3gpuE9ELNS1_3repE0EEENS1_30default_config_static_selectorELNS0_4arch9wavefront6targetE1EEEvSV_
; %bb.0:
	.section	.rodata,"a",@progbits
	.p2align	6, 0x0
	.amdhsa_kernel _ZN7rocprim17ROCPRIM_400000_NS6detail17trampoline_kernelINS0_13select_configILj256ELj13ELNS0_17block_load_methodE3ELS4_3ELS4_3ELNS0_20block_scan_algorithmE0ELj4294967295EEENS1_25partition_config_selectorILNS1_17partition_subalgoE3EjNS0_10empty_typeEbEEZZNS1_14partition_implILS8_3ELb0ES6_jNS0_17counting_iteratorIjlEEPS9_SE_NS0_5tupleIJPjSE_EEENSF_IJSE_SE_EEES9_SG_JZNS1_25segmented_radix_sort_implINS0_14default_configELb1EPKlPlSM_SN_N2at6native12_GLOBAL__N_18offset_tEEE10hipError_tPvRmT1_PNSt15iterator_traitsISV_E10value_typeET2_T3_PNSW_IS11_E10value_typeET4_jRbjT5_S17_jjP12ihipStream_tbEUljE_EEESS_ST_SU_S11_S15_S17_T6_T7_T9_mT8_S19_bDpT10_ENKUlT_T0_E_clISt17integral_constantIbLb0EES1L_IbLb1EEEEDaS1H_S1I_EUlS1H_E_NS1_11comp_targetILNS1_3genE5ELNS1_11target_archE942ELNS1_3gpuE9ELNS1_3repE0EEENS1_30default_config_static_selectorELNS0_4arch9wavefront6targetE1EEEvSV_
		.amdhsa_group_segment_fixed_size 0
		.amdhsa_private_segment_fixed_size 0
		.amdhsa_kernarg_size 152
		.amdhsa_user_sgpr_count 6
		.amdhsa_user_sgpr_private_segment_buffer 1
		.amdhsa_user_sgpr_dispatch_ptr 0
		.amdhsa_user_sgpr_queue_ptr 0
		.amdhsa_user_sgpr_kernarg_segment_ptr 1
		.amdhsa_user_sgpr_dispatch_id 0
		.amdhsa_user_sgpr_flat_scratch_init 0
		.amdhsa_user_sgpr_private_segment_size 0
		.amdhsa_uses_dynamic_stack 0
		.amdhsa_system_sgpr_private_segment_wavefront_offset 0
		.amdhsa_system_sgpr_workgroup_id_x 1
		.amdhsa_system_sgpr_workgroup_id_y 0
		.amdhsa_system_sgpr_workgroup_id_z 0
		.amdhsa_system_sgpr_workgroup_info 0
		.amdhsa_system_vgpr_workitem_id 0
		.amdhsa_next_free_vgpr 1
		.amdhsa_next_free_sgpr 0
		.amdhsa_reserve_vcc 0
		.amdhsa_reserve_flat_scratch 0
		.amdhsa_float_round_mode_32 0
		.amdhsa_float_round_mode_16_64 0
		.amdhsa_float_denorm_mode_32 3
		.amdhsa_float_denorm_mode_16_64 3
		.amdhsa_dx10_clamp 1
		.amdhsa_ieee_mode 1
		.amdhsa_fp16_overflow 0
		.amdhsa_exception_fp_ieee_invalid_op 0
		.amdhsa_exception_fp_denorm_src 0
		.amdhsa_exception_fp_ieee_div_zero 0
		.amdhsa_exception_fp_ieee_overflow 0
		.amdhsa_exception_fp_ieee_underflow 0
		.amdhsa_exception_fp_ieee_inexact 0
		.amdhsa_exception_int_div_zero 0
	.end_amdhsa_kernel
	.section	.text._ZN7rocprim17ROCPRIM_400000_NS6detail17trampoline_kernelINS0_13select_configILj256ELj13ELNS0_17block_load_methodE3ELS4_3ELS4_3ELNS0_20block_scan_algorithmE0ELj4294967295EEENS1_25partition_config_selectorILNS1_17partition_subalgoE3EjNS0_10empty_typeEbEEZZNS1_14partition_implILS8_3ELb0ES6_jNS0_17counting_iteratorIjlEEPS9_SE_NS0_5tupleIJPjSE_EEENSF_IJSE_SE_EEES9_SG_JZNS1_25segmented_radix_sort_implINS0_14default_configELb1EPKlPlSM_SN_N2at6native12_GLOBAL__N_18offset_tEEE10hipError_tPvRmT1_PNSt15iterator_traitsISV_E10value_typeET2_T3_PNSW_IS11_E10value_typeET4_jRbjT5_S17_jjP12ihipStream_tbEUljE_EEESS_ST_SU_S11_S15_S17_T6_T7_T9_mT8_S19_bDpT10_ENKUlT_T0_E_clISt17integral_constantIbLb0EES1L_IbLb1EEEEDaS1H_S1I_EUlS1H_E_NS1_11comp_targetILNS1_3genE5ELNS1_11target_archE942ELNS1_3gpuE9ELNS1_3repE0EEENS1_30default_config_static_selectorELNS0_4arch9wavefront6targetE1EEEvSV_,"axG",@progbits,_ZN7rocprim17ROCPRIM_400000_NS6detail17trampoline_kernelINS0_13select_configILj256ELj13ELNS0_17block_load_methodE3ELS4_3ELS4_3ELNS0_20block_scan_algorithmE0ELj4294967295EEENS1_25partition_config_selectorILNS1_17partition_subalgoE3EjNS0_10empty_typeEbEEZZNS1_14partition_implILS8_3ELb0ES6_jNS0_17counting_iteratorIjlEEPS9_SE_NS0_5tupleIJPjSE_EEENSF_IJSE_SE_EEES9_SG_JZNS1_25segmented_radix_sort_implINS0_14default_configELb1EPKlPlSM_SN_N2at6native12_GLOBAL__N_18offset_tEEE10hipError_tPvRmT1_PNSt15iterator_traitsISV_E10value_typeET2_T3_PNSW_IS11_E10value_typeET4_jRbjT5_S17_jjP12ihipStream_tbEUljE_EEESS_ST_SU_S11_S15_S17_T6_T7_T9_mT8_S19_bDpT10_ENKUlT_T0_E_clISt17integral_constantIbLb0EES1L_IbLb1EEEEDaS1H_S1I_EUlS1H_E_NS1_11comp_targetILNS1_3genE5ELNS1_11target_archE942ELNS1_3gpuE9ELNS1_3repE0EEENS1_30default_config_static_selectorELNS0_4arch9wavefront6targetE1EEEvSV_,comdat
.Lfunc_end697:
	.size	_ZN7rocprim17ROCPRIM_400000_NS6detail17trampoline_kernelINS0_13select_configILj256ELj13ELNS0_17block_load_methodE3ELS4_3ELS4_3ELNS0_20block_scan_algorithmE0ELj4294967295EEENS1_25partition_config_selectorILNS1_17partition_subalgoE3EjNS0_10empty_typeEbEEZZNS1_14partition_implILS8_3ELb0ES6_jNS0_17counting_iteratorIjlEEPS9_SE_NS0_5tupleIJPjSE_EEENSF_IJSE_SE_EEES9_SG_JZNS1_25segmented_radix_sort_implINS0_14default_configELb1EPKlPlSM_SN_N2at6native12_GLOBAL__N_18offset_tEEE10hipError_tPvRmT1_PNSt15iterator_traitsISV_E10value_typeET2_T3_PNSW_IS11_E10value_typeET4_jRbjT5_S17_jjP12ihipStream_tbEUljE_EEESS_ST_SU_S11_S15_S17_T6_T7_T9_mT8_S19_bDpT10_ENKUlT_T0_E_clISt17integral_constantIbLb0EES1L_IbLb1EEEEDaS1H_S1I_EUlS1H_E_NS1_11comp_targetILNS1_3genE5ELNS1_11target_archE942ELNS1_3gpuE9ELNS1_3repE0EEENS1_30default_config_static_selectorELNS0_4arch9wavefront6targetE1EEEvSV_, .Lfunc_end697-_ZN7rocprim17ROCPRIM_400000_NS6detail17trampoline_kernelINS0_13select_configILj256ELj13ELNS0_17block_load_methodE3ELS4_3ELS4_3ELNS0_20block_scan_algorithmE0ELj4294967295EEENS1_25partition_config_selectorILNS1_17partition_subalgoE3EjNS0_10empty_typeEbEEZZNS1_14partition_implILS8_3ELb0ES6_jNS0_17counting_iteratorIjlEEPS9_SE_NS0_5tupleIJPjSE_EEENSF_IJSE_SE_EEES9_SG_JZNS1_25segmented_radix_sort_implINS0_14default_configELb1EPKlPlSM_SN_N2at6native12_GLOBAL__N_18offset_tEEE10hipError_tPvRmT1_PNSt15iterator_traitsISV_E10value_typeET2_T3_PNSW_IS11_E10value_typeET4_jRbjT5_S17_jjP12ihipStream_tbEUljE_EEESS_ST_SU_S11_S15_S17_T6_T7_T9_mT8_S19_bDpT10_ENKUlT_T0_E_clISt17integral_constantIbLb0EES1L_IbLb1EEEEDaS1H_S1I_EUlS1H_E_NS1_11comp_targetILNS1_3genE5ELNS1_11target_archE942ELNS1_3gpuE9ELNS1_3repE0EEENS1_30default_config_static_selectorELNS0_4arch9wavefront6targetE1EEEvSV_
                                        ; -- End function
	.set _ZN7rocprim17ROCPRIM_400000_NS6detail17trampoline_kernelINS0_13select_configILj256ELj13ELNS0_17block_load_methodE3ELS4_3ELS4_3ELNS0_20block_scan_algorithmE0ELj4294967295EEENS1_25partition_config_selectorILNS1_17partition_subalgoE3EjNS0_10empty_typeEbEEZZNS1_14partition_implILS8_3ELb0ES6_jNS0_17counting_iteratorIjlEEPS9_SE_NS0_5tupleIJPjSE_EEENSF_IJSE_SE_EEES9_SG_JZNS1_25segmented_radix_sort_implINS0_14default_configELb1EPKlPlSM_SN_N2at6native12_GLOBAL__N_18offset_tEEE10hipError_tPvRmT1_PNSt15iterator_traitsISV_E10value_typeET2_T3_PNSW_IS11_E10value_typeET4_jRbjT5_S17_jjP12ihipStream_tbEUljE_EEESS_ST_SU_S11_S15_S17_T6_T7_T9_mT8_S19_bDpT10_ENKUlT_T0_E_clISt17integral_constantIbLb0EES1L_IbLb1EEEEDaS1H_S1I_EUlS1H_E_NS1_11comp_targetILNS1_3genE5ELNS1_11target_archE942ELNS1_3gpuE9ELNS1_3repE0EEENS1_30default_config_static_selectorELNS0_4arch9wavefront6targetE1EEEvSV_.num_vgpr, 0
	.set _ZN7rocprim17ROCPRIM_400000_NS6detail17trampoline_kernelINS0_13select_configILj256ELj13ELNS0_17block_load_methodE3ELS4_3ELS4_3ELNS0_20block_scan_algorithmE0ELj4294967295EEENS1_25partition_config_selectorILNS1_17partition_subalgoE3EjNS0_10empty_typeEbEEZZNS1_14partition_implILS8_3ELb0ES6_jNS0_17counting_iteratorIjlEEPS9_SE_NS0_5tupleIJPjSE_EEENSF_IJSE_SE_EEES9_SG_JZNS1_25segmented_radix_sort_implINS0_14default_configELb1EPKlPlSM_SN_N2at6native12_GLOBAL__N_18offset_tEEE10hipError_tPvRmT1_PNSt15iterator_traitsISV_E10value_typeET2_T3_PNSW_IS11_E10value_typeET4_jRbjT5_S17_jjP12ihipStream_tbEUljE_EEESS_ST_SU_S11_S15_S17_T6_T7_T9_mT8_S19_bDpT10_ENKUlT_T0_E_clISt17integral_constantIbLb0EES1L_IbLb1EEEEDaS1H_S1I_EUlS1H_E_NS1_11comp_targetILNS1_3genE5ELNS1_11target_archE942ELNS1_3gpuE9ELNS1_3repE0EEENS1_30default_config_static_selectorELNS0_4arch9wavefront6targetE1EEEvSV_.num_agpr, 0
	.set _ZN7rocprim17ROCPRIM_400000_NS6detail17trampoline_kernelINS0_13select_configILj256ELj13ELNS0_17block_load_methodE3ELS4_3ELS4_3ELNS0_20block_scan_algorithmE0ELj4294967295EEENS1_25partition_config_selectorILNS1_17partition_subalgoE3EjNS0_10empty_typeEbEEZZNS1_14partition_implILS8_3ELb0ES6_jNS0_17counting_iteratorIjlEEPS9_SE_NS0_5tupleIJPjSE_EEENSF_IJSE_SE_EEES9_SG_JZNS1_25segmented_radix_sort_implINS0_14default_configELb1EPKlPlSM_SN_N2at6native12_GLOBAL__N_18offset_tEEE10hipError_tPvRmT1_PNSt15iterator_traitsISV_E10value_typeET2_T3_PNSW_IS11_E10value_typeET4_jRbjT5_S17_jjP12ihipStream_tbEUljE_EEESS_ST_SU_S11_S15_S17_T6_T7_T9_mT8_S19_bDpT10_ENKUlT_T0_E_clISt17integral_constantIbLb0EES1L_IbLb1EEEEDaS1H_S1I_EUlS1H_E_NS1_11comp_targetILNS1_3genE5ELNS1_11target_archE942ELNS1_3gpuE9ELNS1_3repE0EEENS1_30default_config_static_selectorELNS0_4arch9wavefront6targetE1EEEvSV_.numbered_sgpr, 0
	.set _ZN7rocprim17ROCPRIM_400000_NS6detail17trampoline_kernelINS0_13select_configILj256ELj13ELNS0_17block_load_methodE3ELS4_3ELS4_3ELNS0_20block_scan_algorithmE0ELj4294967295EEENS1_25partition_config_selectorILNS1_17partition_subalgoE3EjNS0_10empty_typeEbEEZZNS1_14partition_implILS8_3ELb0ES6_jNS0_17counting_iteratorIjlEEPS9_SE_NS0_5tupleIJPjSE_EEENSF_IJSE_SE_EEES9_SG_JZNS1_25segmented_radix_sort_implINS0_14default_configELb1EPKlPlSM_SN_N2at6native12_GLOBAL__N_18offset_tEEE10hipError_tPvRmT1_PNSt15iterator_traitsISV_E10value_typeET2_T3_PNSW_IS11_E10value_typeET4_jRbjT5_S17_jjP12ihipStream_tbEUljE_EEESS_ST_SU_S11_S15_S17_T6_T7_T9_mT8_S19_bDpT10_ENKUlT_T0_E_clISt17integral_constantIbLb0EES1L_IbLb1EEEEDaS1H_S1I_EUlS1H_E_NS1_11comp_targetILNS1_3genE5ELNS1_11target_archE942ELNS1_3gpuE9ELNS1_3repE0EEENS1_30default_config_static_selectorELNS0_4arch9wavefront6targetE1EEEvSV_.num_named_barrier, 0
	.set _ZN7rocprim17ROCPRIM_400000_NS6detail17trampoline_kernelINS0_13select_configILj256ELj13ELNS0_17block_load_methodE3ELS4_3ELS4_3ELNS0_20block_scan_algorithmE0ELj4294967295EEENS1_25partition_config_selectorILNS1_17partition_subalgoE3EjNS0_10empty_typeEbEEZZNS1_14partition_implILS8_3ELb0ES6_jNS0_17counting_iteratorIjlEEPS9_SE_NS0_5tupleIJPjSE_EEENSF_IJSE_SE_EEES9_SG_JZNS1_25segmented_radix_sort_implINS0_14default_configELb1EPKlPlSM_SN_N2at6native12_GLOBAL__N_18offset_tEEE10hipError_tPvRmT1_PNSt15iterator_traitsISV_E10value_typeET2_T3_PNSW_IS11_E10value_typeET4_jRbjT5_S17_jjP12ihipStream_tbEUljE_EEESS_ST_SU_S11_S15_S17_T6_T7_T9_mT8_S19_bDpT10_ENKUlT_T0_E_clISt17integral_constantIbLb0EES1L_IbLb1EEEEDaS1H_S1I_EUlS1H_E_NS1_11comp_targetILNS1_3genE5ELNS1_11target_archE942ELNS1_3gpuE9ELNS1_3repE0EEENS1_30default_config_static_selectorELNS0_4arch9wavefront6targetE1EEEvSV_.private_seg_size, 0
	.set _ZN7rocprim17ROCPRIM_400000_NS6detail17trampoline_kernelINS0_13select_configILj256ELj13ELNS0_17block_load_methodE3ELS4_3ELS4_3ELNS0_20block_scan_algorithmE0ELj4294967295EEENS1_25partition_config_selectorILNS1_17partition_subalgoE3EjNS0_10empty_typeEbEEZZNS1_14partition_implILS8_3ELb0ES6_jNS0_17counting_iteratorIjlEEPS9_SE_NS0_5tupleIJPjSE_EEENSF_IJSE_SE_EEES9_SG_JZNS1_25segmented_radix_sort_implINS0_14default_configELb1EPKlPlSM_SN_N2at6native12_GLOBAL__N_18offset_tEEE10hipError_tPvRmT1_PNSt15iterator_traitsISV_E10value_typeET2_T3_PNSW_IS11_E10value_typeET4_jRbjT5_S17_jjP12ihipStream_tbEUljE_EEESS_ST_SU_S11_S15_S17_T6_T7_T9_mT8_S19_bDpT10_ENKUlT_T0_E_clISt17integral_constantIbLb0EES1L_IbLb1EEEEDaS1H_S1I_EUlS1H_E_NS1_11comp_targetILNS1_3genE5ELNS1_11target_archE942ELNS1_3gpuE9ELNS1_3repE0EEENS1_30default_config_static_selectorELNS0_4arch9wavefront6targetE1EEEvSV_.uses_vcc, 0
	.set _ZN7rocprim17ROCPRIM_400000_NS6detail17trampoline_kernelINS0_13select_configILj256ELj13ELNS0_17block_load_methodE3ELS4_3ELS4_3ELNS0_20block_scan_algorithmE0ELj4294967295EEENS1_25partition_config_selectorILNS1_17partition_subalgoE3EjNS0_10empty_typeEbEEZZNS1_14partition_implILS8_3ELb0ES6_jNS0_17counting_iteratorIjlEEPS9_SE_NS0_5tupleIJPjSE_EEENSF_IJSE_SE_EEES9_SG_JZNS1_25segmented_radix_sort_implINS0_14default_configELb1EPKlPlSM_SN_N2at6native12_GLOBAL__N_18offset_tEEE10hipError_tPvRmT1_PNSt15iterator_traitsISV_E10value_typeET2_T3_PNSW_IS11_E10value_typeET4_jRbjT5_S17_jjP12ihipStream_tbEUljE_EEESS_ST_SU_S11_S15_S17_T6_T7_T9_mT8_S19_bDpT10_ENKUlT_T0_E_clISt17integral_constantIbLb0EES1L_IbLb1EEEEDaS1H_S1I_EUlS1H_E_NS1_11comp_targetILNS1_3genE5ELNS1_11target_archE942ELNS1_3gpuE9ELNS1_3repE0EEENS1_30default_config_static_selectorELNS0_4arch9wavefront6targetE1EEEvSV_.uses_flat_scratch, 0
	.set _ZN7rocprim17ROCPRIM_400000_NS6detail17trampoline_kernelINS0_13select_configILj256ELj13ELNS0_17block_load_methodE3ELS4_3ELS4_3ELNS0_20block_scan_algorithmE0ELj4294967295EEENS1_25partition_config_selectorILNS1_17partition_subalgoE3EjNS0_10empty_typeEbEEZZNS1_14partition_implILS8_3ELb0ES6_jNS0_17counting_iteratorIjlEEPS9_SE_NS0_5tupleIJPjSE_EEENSF_IJSE_SE_EEES9_SG_JZNS1_25segmented_radix_sort_implINS0_14default_configELb1EPKlPlSM_SN_N2at6native12_GLOBAL__N_18offset_tEEE10hipError_tPvRmT1_PNSt15iterator_traitsISV_E10value_typeET2_T3_PNSW_IS11_E10value_typeET4_jRbjT5_S17_jjP12ihipStream_tbEUljE_EEESS_ST_SU_S11_S15_S17_T6_T7_T9_mT8_S19_bDpT10_ENKUlT_T0_E_clISt17integral_constantIbLb0EES1L_IbLb1EEEEDaS1H_S1I_EUlS1H_E_NS1_11comp_targetILNS1_3genE5ELNS1_11target_archE942ELNS1_3gpuE9ELNS1_3repE0EEENS1_30default_config_static_selectorELNS0_4arch9wavefront6targetE1EEEvSV_.has_dyn_sized_stack, 0
	.set _ZN7rocprim17ROCPRIM_400000_NS6detail17trampoline_kernelINS0_13select_configILj256ELj13ELNS0_17block_load_methodE3ELS4_3ELS4_3ELNS0_20block_scan_algorithmE0ELj4294967295EEENS1_25partition_config_selectorILNS1_17partition_subalgoE3EjNS0_10empty_typeEbEEZZNS1_14partition_implILS8_3ELb0ES6_jNS0_17counting_iteratorIjlEEPS9_SE_NS0_5tupleIJPjSE_EEENSF_IJSE_SE_EEES9_SG_JZNS1_25segmented_radix_sort_implINS0_14default_configELb1EPKlPlSM_SN_N2at6native12_GLOBAL__N_18offset_tEEE10hipError_tPvRmT1_PNSt15iterator_traitsISV_E10value_typeET2_T3_PNSW_IS11_E10value_typeET4_jRbjT5_S17_jjP12ihipStream_tbEUljE_EEESS_ST_SU_S11_S15_S17_T6_T7_T9_mT8_S19_bDpT10_ENKUlT_T0_E_clISt17integral_constantIbLb0EES1L_IbLb1EEEEDaS1H_S1I_EUlS1H_E_NS1_11comp_targetILNS1_3genE5ELNS1_11target_archE942ELNS1_3gpuE9ELNS1_3repE0EEENS1_30default_config_static_selectorELNS0_4arch9wavefront6targetE1EEEvSV_.has_recursion, 0
	.set _ZN7rocprim17ROCPRIM_400000_NS6detail17trampoline_kernelINS0_13select_configILj256ELj13ELNS0_17block_load_methodE3ELS4_3ELS4_3ELNS0_20block_scan_algorithmE0ELj4294967295EEENS1_25partition_config_selectorILNS1_17partition_subalgoE3EjNS0_10empty_typeEbEEZZNS1_14partition_implILS8_3ELb0ES6_jNS0_17counting_iteratorIjlEEPS9_SE_NS0_5tupleIJPjSE_EEENSF_IJSE_SE_EEES9_SG_JZNS1_25segmented_radix_sort_implINS0_14default_configELb1EPKlPlSM_SN_N2at6native12_GLOBAL__N_18offset_tEEE10hipError_tPvRmT1_PNSt15iterator_traitsISV_E10value_typeET2_T3_PNSW_IS11_E10value_typeET4_jRbjT5_S17_jjP12ihipStream_tbEUljE_EEESS_ST_SU_S11_S15_S17_T6_T7_T9_mT8_S19_bDpT10_ENKUlT_T0_E_clISt17integral_constantIbLb0EES1L_IbLb1EEEEDaS1H_S1I_EUlS1H_E_NS1_11comp_targetILNS1_3genE5ELNS1_11target_archE942ELNS1_3gpuE9ELNS1_3repE0EEENS1_30default_config_static_selectorELNS0_4arch9wavefront6targetE1EEEvSV_.has_indirect_call, 0
	.section	.AMDGPU.csdata,"",@progbits
; Kernel info:
; codeLenInByte = 0
; TotalNumSgprs: 4
; NumVgprs: 0
; ScratchSize: 0
; MemoryBound: 0
; FloatMode: 240
; IeeeMode: 1
; LDSByteSize: 0 bytes/workgroup (compile time only)
; SGPRBlocks: 0
; VGPRBlocks: 0
; NumSGPRsForWavesPerEU: 4
; NumVGPRsForWavesPerEU: 1
; Occupancy: 10
; WaveLimiterHint : 0
; COMPUTE_PGM_RSRC2:SCRATCH_EN: 0
; COMPUTE_PGM_RSRC2:USER_SGPR: 6
; COMPUTE_PGM_RSRC2:TRAP_HANDLER: 0
; COMPUTE_PGM_RSRC2:TGID_X_EN: 1
; COMPUTE_PGM_RSRC2:TGID_Y_EN: 0
; COMPUTE_PGM_RSRC2:TGID_Z_EN: 0
; COMPUTE_PGM_RSRC2:TIDIG_COMP_CNT: 0
	.section	.text._ZN7rocprim17ROCPRIM_400000_NS6detail17trampoline_kernelINS0_13select_configILj256ELj13ELNS0_17block_load_methodE3ELS4_3ELS4_3ELNS0_20block_scan_algorithmE0ELj4294967295EEENS1_25partition_config_selectorILNS1_17partition_subalgoE3EjNS0_10empty_typeEbEEZZNS1_14partition_implILS8_3ELb0ES6_jNS0_17counting_iteratorIjlEEPS9_SE_NS0_5tupleIJPjSE_EEENSF_IJSE_SE_EEES9_SG_JZNS1_25segmented_radix_sort_implINS0_14default_configELb1EPKlPlSM_SN_N2at6native12_GLOBAL__N_18offset_tEEE10hipError_tPvRmT1_PNSt15iterator_traitsISV_E10value_typeET2_T3_PNSW_IS11_E10value_typeET4_jRbjT5_S17_jjP12ihipStream_tbEUljE_EEESS_ST_SU_S11_S15_S17_T6_T7_T9_mT8_S19_bDpT10_ENKUlT_T0_E_clISt17integral_constantIbLb0EES1L_IbLb1EEEEDaS1H_S1I_EUlS1H_E_NS1_11comp_targetILNS1_3genE4ELNS1_11target_archE910ELNS1_3gpuE8ELNS1_3repE0EEENS1_30default_config_static_selectorELNS0_4arch9wavefront6targetE1EEEvSV_,"axG",@progbits,_ZN7rocprim17ROCPRIM_400000_NS6detail17trampoline_kernelINS0_13select_configILj256ELj13ELNS0_17block_load_methodE3ELS4_3ELS4_3ELNS0_20block_scan_algorithmE0ELj4294967295EEENS1_25partition_config_selectorILNS1_17partition_subalgoE3EjNS0_10empty_typeEbEEZZNS1_14partition_implILS8_3ELb0ES6_jNS0_17counting_iteratorIjlEEPS9_SE_NS0_5tupleIJPjSE_EEENSF_IJSE_SE_EEES9_SG_JZNS1_25segmented_radix_sort_implINS0_14default_configELb1EPKlPlSM_SN_N2at6native12_GLOBAL__N_18offset_tEEE10hipError_tPvRmT1_PNSt15iterator_traitsISV_E10value_typeET2_T3_PNSW_IS11_E10value_typeET4_jRbjT5_S17_jjP12ihipStream_tbEUljE_EEESS_ST_SU_S11_S15_S17_T6_T7_T9_mT8_S19_bDpT10_ENKUlT_T0_E_clISt17integral_constantIbLb0EES1L_IbLb1EEEEDaS1H_S1I_EUlS1H_E_NS1_11comp_targetILNS1_3genE4ELNS1_11target_archE910ELNS1_3gpuE8ELNS1_3repE0EEENS1_30default_config_static_selectorELNS0_4arch9wavefront6targetE1EEEvSV_,comdat
	.globl	_ZN7rocprim17ROCPRIM_400000_NS6detail17trampoline_kernelINS0_13select_configILj256ELj13ELNS0_17block_load_methodE3ELS4_3ELS4_3ELNS0_20block_scan_algorithmE0ELj4294967295EEENS1_25partition_config_selectorILNS1_17partition_subalgoE3EjNS0_10empty_typeEbEEZZNS1_14partition_implILS8_3ELb0ES6_jNS0_17counting_iteratorIjlEEPS9_SE_NS0_5tupleIJPjSE_EEENSF_IJSE_SE_EEES9_SG_JZNS1_25segmented_radix_sort_implINS0_14default_configELb1EPKlPlSM_SN_N2at6native12_GLOBAL__N_18offset_tEEE10hipError_tPvRmT1_PNSt15iterator_traitsISV_E10value_typeET2_T3_PNSW_IS11_E10value_typeET4_jRbjT5_S17_jjP12ihipStream_tbEUljE_EEESS_ST_SU_S11_S15_S17_T6_T7_T9_mT8_S19_bDpT10_ENKUlT_T0_E_clISt17integral_constantIbLb0EES1L_IbLb1EEEEDaS1H_S1I_EUlS1H_E_NS1_11comp_targetILNS1_3genE4ELNS1_11target_archE910ELNS1_3gpuE8ELNS1_3repE0EEENS1_30default_config_static_selectorELNS0_4arch9wavefront6targetE1EEEvSV_ ; -- Begin function _ZN7rocprim17ROCPRIM_400000_NS6detail17trampoline_kernelINS0_13select_configILj256ELj13ELNS0_17block_load_methodE3ELS4_3ELS4_3ELNS0_20block_scan_algorithmE0ELj4294967295EEENS1_25partition_config_selectorILNS1_17partition_subalgoE3EjNS0_10empty_typeEbEEZZNS1_14partition_implILS8_3ELb0ES6_jNS0_17counting_iteratorIjlEEPS9_SE_NS0_5tupleIJPjSE_EEENSF_IJSE_SE_EEES9_SG_JZNS1_25segmented_radix_sort_implINS0_14default_configELb1EPKlPlSM_SN_N2at6native12_GLOBAL__N_18offset_tEEE10hipError_tPvRmT1_PNSt15iterator_traitsISV_E10value_typeET2_T3_PNSW_IS11_E10value_typeET4_jRbjT5_S17_jjP12ihipStream_tbEUljE_EEESS_ST_SU_S11_S15_S17_T6_T7_T9_mT8_S19_bDpT10_ENKUlT_T0_E_clISt17integral_constantIbLb0EES1L_IbLb1EEEEDaS1H_S1I_EUlS1H_E_NS1_11comp_targetILNS1_3genE4ELNS1_11target_archE910ELNS1_3gpuE8ELNS1_3repE0EEENS1_30default_config_static_selectorELNS0_4arch9wavefront6targetE1EEEvSV_
	.p2align	8
	.type	_ZN7rocprim17ROCPRIM_400000_NS6detail17trampoline_kernelINS0_13select_configILj256ELj13ELNS0_17block_load_methodE3ELS4_3ELS4_3ELNS0_20block_scan_algorithmE0ELj4294967295EEENS1_25partition_config_selectorILNS1_17partition_subalgoE3EjNS0_10empty_typeEbEEZZNS1_14partition_implILS8_3ELb0ES6_jNS0_17counting_iteratorIjlEEPS9_SE_NS0_5tupleIJPjSE_EEENSF_IJSE_SE_EEES9_SG_JZNS1_25segmented_radix_sort_implINS0_14default_configELb1EPKlPlSM_SN_N2at6native12_GLOBAL__N_18offset_tEEE10hipError_tPvRmT1_PNSt15iterator_traitsISV_E10value_typeET2_T3_PNSW_IS11_E10value_typeET4_jRbjT5_S17_jjP12ihipStream_tbEUljE_EEESS_ST_SU_S11_S15_S17_T6_T7_T9_mT8_S19_bDpT10_ENKUlT_T0_E_clISt17integral_constantIbLb0EES1L_IbLb1EEEEDaS1H_S1I_EUlS1H_E_NS1_11comp_targetILNS1_3genE4ELNS1_11target_archE910ELNS1_3gpuE8ELNS1_3repE0EEENS1_30default_config_static_selectorELNS0_4arch9wavefront6targetE1EEEvSV_,@function
_ZN7rocprim17ROCPRIM_400000_NS6detail17trampoline_kernelINS0_13select_configILj256ELj13ELNS0_17block_load_methodE3ELS4_3ELS4_3ELNS0_20block_scan_algorithmE0ELj4294967295EEENS1_25partition_config_selectorILNS1_17partition_subalgoE3EjNS0_10empty_typeEbEEZZNS1_14partition_implILS8_3ELb0ES6_jNS0_17counting_iteratorIjlEEPS9_SE_NS0_5tupleIJPjSE_EEENSF_IJSE_SE_EEES9_SG_JZNS1_25segmented_radix_sort_implINS0_14default_configELb1EPKlPlSM_SN_N2at6native12_GLOBAL__N_18offset_tEEE10hipError_tPvRmT1_PNSt15iterator_traitsISV_E10value_typeET2_T3_PNSW_IS11_E10value_typeET4_jRbjT5_S17_jjP12ihipStream_tbEUljE_EEESS_ST_SU_S11_S15_S17_T6_T7_T9_mT8_S19_bDpT10_ENKUlT_T0_E_clISt17integral_constantIbLb0EES1L_IbLb1EEEEDaS1H_S1I_EUlS1H_E_NS1_11comp_targetILNS1_3genE4ELNS1_11target_archE910ELNS1_3gpuE8ELNS1_3repE0EEENS1_30default_config_static_selectorELNS0_4arch9wavefront6targetE1EEEvSV_: ; @_ZN7rocprim17ROCPRIM_400000_NS6detail17trampoline_kernelINS0_13select_configILj256ELj13ELNS0_17block_load_methodE3ELS4_3ELS4_3ELNS0_20block_scan_algorithmE0ELj4294967295EEENS1_25partition_config_selectorILNS1_17partition_subalgoE3EjNS0_10empty_typeEbEEZZNS1_14partition_implILS8_3ELb0ES6_jNS0_17counting_iteratorIjlEEPS9_SE_NS0_5tupleIJPjSE_EEENSF_IJSE_SE_EEES9_SG_JZNS1_25segmented_radix_sort_implINS0_14default_configELb1EPKlPlSM_SN_N2at6native12_GLOBAL__N_18offset_tEEE10hipError_tPvRmT1_PNSt15iterator_traitsISV_E10value_typeET2_T3_PNSW_IS11_E10value_typeET4_jRbjT5_S17_jjP12ihipStream_tbEUljE_EEESS_ST_SU_S11_S15_S17_T6_T7_T9_mT8_S19_bDpT10_ENKUlT_T0_E_clISt17integral_constantIbLb0EES1L_IbLb1EEEEDaS1H_S1I_EUlS1H_E_NS1_11comp_targetILNS1_3genE4ELNS1_11target_archE910ELNS1_3gpuE8ELNS1_3repE0EEENS1_30default_config_static_selectorELNS0_4arch9wavefront6targetE1EEEvSV_
; %bb.0:
	.section	.rodata,"a",@progbits
	.p2align	6, 0x0
	.amdhsa_kernel _ZN7rocprim17ROCPRIM_400000_NS6detail17trampoline_kernelINS0_13select_configILj256ELj13ELNS0_17block_load_methodE3ELS4_3ELS4_3ELNS0_20block_scan_algorithmE0ELj4294967295EEENS1_25partition_config_selectorILNS1_17partition_subalgoE3EjNS0_10empty_typeEbEEZZNS1_14partition_implILS8_3ELb0ES6_jNS0_17counting_iteratorIjlEEPS9_SE_NS0_5tupleIJPjSE_EEENSF_IJSE_SE_EEES9_SG_JZNS1_25segmented_radix_sort_implINS0_14default_configELb1EPKlPlSM_SN_N2at6native12_GLOBAL__N_18offset_tEEE10hipError_tPvRmT1_PNSt15iterator_traitsISV_E10value_typeET2_T3_PNSW_IS11_E10value_typeET4_jRbjT5_S17_jjP12ihipStream_tbEUljE_EEESS_ST_SU_S11_S15_S17_T6_T7_T9_mT8_S19_bDpT10_ENKUlT_T0_E_clISt17integral_constantIbLb0EES1L_IbLb1EEEEDaS1H_S1I_EUlS1H_E_NS1_11comp_targetILNS1_3genE4ELNS1_11target_archE910ELNS1_3gpuE8ELNS1_3repE0EEENS1_30default_config_static_selectorELNS0_4arch9wavefront6targetE1EEEvSV_
		.amdhsa_group_segment_fixed_size 0
		.amdhsa_private_segment_fixed_size 0
		.amdhsa_kernarg_size 152
		.amdhsa_user_sgpr_count 6
		.amdhsa_user_sgpr_private_segment_buffer 1
		.amdhsa_user_sgpr_dispatch_ptr 0
		.amdhsa_user_sgpr_queue_ptr 0
		.amdhsa_user_sgpr_kernarg_segment_ptr 1
		.amdhsa_user_sgpr_dispatch_id 0
		.amdhsa_user_sgpr_flat_scratch_init 0
		.amdhsa_user_sgpr_private_segment_size 0
		.amdhsa_uses_dynamic_stack 0
		.amdhsa_system_sgpr_private_segment_wavefront_offset 0
		.amdhsa_system_sgpr_workgroup_id_x 1
		.amdhsa_system_sgpr_workgroup_id_y 0
		.amdhsa_system_sgpr_workgroup_id_z 0
		.amdhsa_system_sgpr_workgroup_info 0
		.amdhsa_system_vgpr_workitem_id 0
		.amdhsa_next_free_vgpr 1
		.amdhsa_next_free_sgpr 0
		.amdhsa_reserve_vcc 0
		.amdhsa_reserve_flat_scratch 0
		.amdhsa_float_round_mode_32 0
		.amdhsa_float_round_mode_16_64 0
		.amdhsa_float_denorm_mode_32 3
		.amdhsa_float_denorm_mode_16_64 3
		.amdhsa_dx10_clamp 1
		.amdhsa_ieee_mode 1
		.amdhsa_fp16_overflow 0
		.amdhsa_exception_fp_ieee_invalid_op 0
		.amdhsa_exception_fp_denorm_src 0
		.amdhsa_exception_fp_ieee_div_zero 0
		.amdhsa_exception_fp_ieee_overflow 0
		.amdhsa_exception_fp_ieee_underflow 0
		.amdhsa_exception_fp_ieee_inexact 0
		.amdhsa_exception_int_div_zero 0
	.end_amdhsa_kernel
	.section	.text._ZN7rocprim17ROCPRIM_400000_NS6detail17trampoline_kernelINS0_13select_configILj256ELj13ELNS0_17block_load_methodE3ELS4_3ELS4_3ELNS0_20block_scan_algorithmE0ELj4294967295EEENS1_25partition_config_selectorILNS1_17partition_subalgoE3EjNS0_10empty_typeEbEEZZNS1_14partition_implILS8_3ELb0ES6_jNS0_17counting_iteratorIjlEEPS9_SE_NS0_5tupleIJPjSE_EEENSF_IJSE_SE_EEES9_SG_JZNS1_25segmented_radix_sort_implINS0_14default_configELb1EPKlPlSM_SN_N2at6native12_GLOBAL__N_18offset_tEEE10hipError_tPvRmT1_PNSt15iterator_traitsISV_E10value_typeET2_T3_PNSW_IS11_E10value_typeET4_jRbjT5_S17_jjP12ihipStream_tbEUljE_EEESS_ST_SU_S11_S15_S17_T6_T7_T9_mT8_S19_bDpT10_ENKUlT_T0_E_clISt17integral_constantIbLb0EES1L_IbLb1EEEEDaS1H_S1I_EUlS1H_E_NS1_11comp_targetILNS1_3genE4ELNS1_11target_archE910ELNS1_3gpuE8ELNS1_3repE0EEENS1_30default_config_static_selectorELNS0_4arch9wavefront6targetE1EEEvSV_,"axG",@progbits,_ZN7rocprim17ROCPRIM_400000_NS6detail17trampoline_kernelINS0_13select_configILj256ELj13ELNS0_17block_load_methodE3ELS4_3ELS4_3ELNS0_20block_scan_algorithmE0ELj4294967295EEENS1_25partition_config_selectorILNS1_17partition_subalgoE3EjNS0_10empty_typeEbEEZZNS1_14partition_implILS8_3ELb0ES6_jNS0_17counting_iteratorIjlEEPS9_SE_NS0_5tupleIJPjSE_EEENSF_IJSE_SE_EEES9_SG_JZNS1_25segmented_radix_sort_implINS0_14default_configELb1EPKlPlSM_SN_N2at6native12_GLOBAL__N_18offset_tEEE10hipError_tPvRmT1_PNSt15iterator_traitsISV_E10value_typeET2_T3_PNSW_IS11_E10value_typeET4_jRbjT5_S17_jjP12ihipStream_tbEUljE_EEESS_ST_SU_S11_S15_S17_T6_T7_T9_mT8_S19_bDpT10_ENKUlT_T0_E_clISt17integral_constantIbLb0EES1L_IbLb1EEEEDaS1H_S1I_EUlS1H_E_NS1_11comp_targetILNS1_3genE4ELNS1_11target_archE910ELNS1_3gpuE8ELNS1_3repE0EEENS1_30default_config_static_selectorELNS0_4arch9wavefront6targetE1EEEvSV_,comdat
.Lfunc_end698:
	.size	_ZN7rocprim17ROCPRIM_400000_NS6detail17trampoline_kernelINS0_13select_configILj256ELj13ELNS0_17block_load_methodE3ELS4_3ELS4_3ELNS0_20block_scan_algorithmE0ELj4294967295EEENS1_25partition_config_selectorILNS1_17partition_subalgoE3EjNS0_10empty_typeEbEEZZNS1_14partition_implILS8_3ELb0ES6_jNS0_17counting_iteratorIjlEEPS9_SE_NS0_5tupleIJPjSE_EEENSF_IJSE_SE_EEES9_SG_JZNS1_25segmented_radix_sort_implINS0_14default_configELb1EPKlPlSM_SN_N2at6native12_GLOBAL__N_18offset_tEEE10hipError_tPvRmT1_PNSt15iterator_traitsISV_E10value_typeET2_T3_PNSW_IS11_E10value_typeET4_jRbjT5_S17_jjP12ihipStream_tbEUljE_EEESS_ST_SU_S11_S15_S17_T6_T7_T9_mT8_S19_bDpT10_ENKUlT_T0_E_clISt17integral_constantIbLb0EES1L_IbLb1EEEEDaS1H_S1I_EUlS1H_E_NS1_11comp_targetILNS1_3genE4ELNS1_11target_archE910ELNS1_3gpuE8ELNS1_3repE0EEENS1_30default_config_static_selectorELNS0_4arch9wavefront6targetE1EEEvSV_, .Lfunc_end698-_ZN7rocprim17ROCPRIM_400000_NS6detail17trampoline_kernelINS0_13select_configILj256ELj13ELNS0_17block_load_methodE3ELS4_3ELS4_3ELNS0_20block_scan_algorithmE0ELj4294967295EEENS1_25partition_config_selectorILNS1_17partition_subalgoE3EjNS0_10empty_typeEbEEZZNS1_14partition_implILS8_3ELb0ES6_jNS0_17counting_iteratorIjlEEPS9_SE_NS0_5tupleIJPjSE_EEENSF_IJSE_SE_EEES9_SG_JZNS1_25segmented_radix_sort_implINS0_14default_configELb1EPKlPlSM_SN_N2at6native12_GLOBAL__N_18offset_tEEE10hipError_tPvRmT1_PNSt15iterator_traitsISV_E10value_typeET2_T3_PNSW_IS11_E10value_typeET4_jRbjT5_S17_jjP12ihipStream_tbEUljE_EEESS_ST_SU_S11_S15_S17_T6_T7_T9_mT8_S19_bDpT10_ENKUlT_T0_E_clISt17integral_constantIbLb0EES1L_IbLb1EEEEDaS1H_S1I_EUlS1H_E_NS1_11comp_targetILNS1_3genE4ELNS1_11target_archE910ELNS1_3gpuE8ELNS1_3repE0EEENS1_30default_config_static_selectorELNS0_4arch9wavefront6targetE1EEEvSV_
                                        ; -- End function
	.set _ZN7rocprim17ROCPRIM_400000_NS6detail17trampoline_kernelINS0_13select_configILj256ELj13ELNS0_17block_load_methodE3ELS4_3ELS4_3ELNS0_20block_scan_algorithmE0ELj4294967295EEENS1_25partition_config_selectorILNS1_17partition_subalgoE3EjNS0_10empty_typeEbEEZZNS1_14partition_implILS8_3ELb0ES6_jNS0_17counting_iteratorIjlEEPS9_SE_NS0_5tupleIJPjSE_EEENSF_IJSE_SE_EEES9_SG_JZNS1_25segmented_radix_sort_implINS0_14default_configELb1EPKlPlSM_SN_N2at6native12_GLOBAL__N_18offset_tEEE10hipError_tPvRmT1_PNSt15iterator_traitsISV_E10value_typeET2_T3_PNSW_IS11_E10value_typeET4_jRbjT5_S17_jjP12ihipStream_tbEUljE_EEESS_ST_SU_S11_S15_S17_T6_T7_T9_mT8_S19_bDpT10_ENKUlT_T0_E_clISt17integral_constantIbLb0EES1L_IbLb1EEEEDaS1H_S1I_EUlS1H_E_NS1_11comp_targetILNS1_3genE4ELNS1_11target_archE910ELNS1_3gpuE8ELNS1_3repE0EEENS1_30default_config_static_selectorELNS0_4arch9wavefront6targetE1EEEvSV_.num_vgpr, 0
	.set _ZN7rocprim17ROCPRIM_400000_NS6detail17trampoline_kernelINS0_13select_configILj256ELj13ELNS0_17block_load_methodE3ELS4_3ELS4_3ELNS0_20block_scan_algorithmE0ELj4294967295EEENS1_25partition_config_selectorILNS1_17partition_subalgoE3EjNS0_10empty_typeEbEEZZNS1_14partition_implILS8_3ELb0ES6_jNS0_17counting_iteratorIjlEEPS9_SE_NS0_5tupleIJPjSE_EEENSF_IJSE_SE_EEES9_SG_JZNS1_25segmented_radix_sort_implINS0_14default_configELb1EPKlPlSM_SN_N2at6native12_GLOBAL__N_18offset_tEEE10hipError_tPvRmT1_PNSt15iterator_traitsISV_E10value_typeET2_T3_PNSW_IS11_E10value_typeET4_jRbjT5_S17_jjP12ihipStream_tbEUljE_EEESS_ST_SU_S11_S15_S17_T6_T7_T9_mT8_S19_bDpT10_ENKUlT_T0_E_clISt17integral_constantIbLb0EES1L_IbLb1EEEEDaS1H_S1I_EUlS1H_E_NS1_11comp_targetILNS1_3genE4ELNS1_11target_archE910ELNS1_3gpuE8ELNS1_3repE0EEENS1_30default_config_static_selectorELNS0_4arch9wavefront6targetE1EEEvSV_.num_agpr, 0
	.set _ZN7rocprim17ROCPRIM_400000_NS6detail17trampoline_kernelINS0_13select_configILj256ELj13ELNS0_17block_load_methodE3ELS4_3ELS4_3ELNS0_20block_scan_algorithmE0ELj4294967295EEENS1_25partition_config_selectorILNS1_17partition_subalgoE3EjNS0_10empty_typeEbEEZZNS1_14partition_implILS8_3ELb0ES6_jNS0_17counting_iteratorIjlEEPS9_SE_NS0_5tupleIJPjSE_EEENSF_IJSE_SE_EEES9_SG_JZNS1_25segmented_radix_sort_implINS0_14default_configELb1EPKlPlSM_SN_N2at6native12_GLOBAL__N_18offset_tEEE10hipError_tPvRmT1_PNSt15iterator_traitsISV_E10value_typeET2_T3_PNSW_IS11_E10value_typeET4_jRbjT5_S17_jjP12ihipStream_tbEUljE_EEESS_ST_SU_S11_S15_S17_T6_T7_T9_mT8_S19_bDpT10_ENKUlT_T0_E_clISt17integral_constantIbLb0EES1L_IbLb1EEEEDaS1H_S1I_EUlS1H_E_NS1_11comp_targetILNS1_3genE4ELNS1_11target_archE910ELNS1_3gpuE8ELNS1_3repE0EEENS1_30default_config_static_selectorELNS0_4arch9wavefront6targetE1EEEvSV_.numbered_sgpr, 0
	.set _ZN7rocprim17ROCPRIM_400000_NS6detail17trampoline_kernelINS0_13select_configILj256ELj13ELNS0_17block_load_methodE3ELS4_3ELS4_3ELNS0_20block_scan_algorithmE0ELj4294967295EEENS1_25partition_config_selectorILNS1_17partition_subalgoE3EjNS0_10empty_typeEbEEZZNS1_14partition_implILS8_3ELb0ES6_jNS0_17counting_iteratorIjlEEPS9_SE_NS0_5tupleIJPjSE_EEENSF_IJSE_SE_EEES9_SG_JZNS1_25segmented_radix_sort_implINS0_14default_configELb1EPKlPlSM_SN_N2at6native12_GLOBAL__N_18offset_tEEE10hipError_tPvRmT1_PNSt15iterator_traitsISV_E10value_typeET2_T3_PNSW_IS11_E10value_typeET4_jRbjT5_S17_jjP12ihipStream_tbEUljE_EEESS_ST_SU_S11_S15_S17_T6_T7_T9_mT8_S19_bDpT10_ENKUlT_T0_E_clISt17integral_constantIbLb0EES1L_IbLb1EEEEDaS1H_S1I_EUlS1H_E_NS1_11comp_targetILNS1_3genE4ELNS1_11target_archE910ELNS1_3gpuE8ELNS1_3repE0EEENS1_30default_config_static_selectorELNS0_4arch9wavefront6targetE1EEEvSV_.num_named_barrier, 0
	.set _ZN7rocprim17ROCPRIM_400000_NS6detail17trampoline_kernelINS0_13select_configILj256ELj13ELNS0_17block_load_methodE3ELS4_3ELS4_3ELNS0_20block_scan_algorithmE0ELj4294967295EEENS1_25partition_config_selectorILNS1_17partition_subalgoE3EjNS0_10empty_typeEbEEZZNS1_14partition_implILS8_3ELb0ES6_jNS0_17counting_iteratorIjlEEPS9_SE_NS0_5tupleIJPjSE_EEENSF_IJSE_SE_EEES9_SG_JZNS1_25segmented_radix_sort_implINS0_14default_configELb1EPKlPlSM_SN_N2at6native12_GLOBAL__N_18offset_tEEE10hipError_tPvRmT1_PNSt15iterator_traitsISV_E10value_typeET2_T3_PNSW_IS11_E10value_typeET4_jRbjT5_S17_jjP12ihipStream_tbEUljE_EEESS_ST_SU_S11_S15_S17_T6_T7_T9_mT8_S19_bDpT10_ENKUlT_T0_E_clISt17integral_constantIbLb0EES1L_IbLb1EEEEDaS1H_S1I_EUlS1H_E_NS1_11comp_targetILNS1_3genE4ELNS1_11target_archE910ELNS1_3gpuE8ELNS1_3repE0EEENS1_30default_config_static_selectorELNS0_4arch9wavefront6targetE1EEEvSV_.private_seg_size, 0
	.set _ZN7rocprim17ROCPRIM_400000_NS6detail17trampoline_kernelINS0_13select_configILj256ELj13ELNS0_17block_load_methodE3ELS4_3ELS4_3ELNS0_20block_scan_algorithmE0ELj4294967295EEENS1_25partition_config_selectorILNS1_17partition_subalgoE3EjNS0_10empty_typeEbEEZZNS1_14partition_implILS8_3ELb0ES6_jNS0_17counting_iteratorIjlEEPS9_SE_NS0_5tupleIJPjSE_EEENSF_IJSE_SE_EEES9_SG_JZNS1_25segmented_radix_sort_implINS0_14default_configELb1EPKlPlSM_SN_N2at6native12_GLOBAL__N_18offset_tEEE10hipError_tPvRmT1_PNSt15iterator_traitsISV_E10value_typeET2_T3_PNSW_IS11_E10value_typeET4_jRbjT5_S17_jjP12ihipStream_tbEUljE_EEESS_ST_SU_S11_S15_S17_T6_T7_T9_mT8_S19_bDpT10_ENKUlT_T0_E_clISt17integral_constantIbLb0EES1L_IbLb1EEEEDaS1H_S1I_EUlS1H_E_NS1_11comp_targetILNS1_3genE4ELNS1_11target_archE910ELNS1_3gpuE8ELNS1_3repE0EEENS1_30default_config_static_selectorELNS0_4arch9wavefront6targetE1EEEvSV_.uses_vcc, 0
	.set _ZN7rocprim17ROCPRIM_400000_NS6detail17trampoline_kernelINS0_13select_configILj256ELj13ELNS0_17block_load_methodE3ELS4_3ELS4_3ELNS0_20block_scan_algorithmE0ELj4294967295EEENS1_25partition_config_selectorILNS1_17partition_subalgoE3EjNS0_10empty_typeEbEEZZNS1_14partition_implILS8_3ELb0ES6_jNS0_17counting_iteratorIjlEEPS9_SE_NS0_5tupleIJPjSE_EEENSF_IJSE_SE_EEES9_SG_JZNS1_25segmented_radix_sort_implINS0_14default_configELb1EPKlPlSM_SN_N2at6native12_GLOBAL__N_18offset_tEEE10hipError_tPvRmT1_PNSt15iterator_traitsISV_E10value_typeET2_T3_PNSW_IS11_E10value_typeET4_jRbjT5_S17_jjP12ihipStream_tbEUljE_EEESS_ST_SU_S11_S15_S17_T6_T7_T9_mT8_S19_bDpT10_ENKUlT_T0_E_clISt17integral_constantIbLb0EES1L_IbLb1EEEEDaS1H_S1I_EUlS1H_E_NS1_11comp_targetILNS1_3genE4ELNS1_11target_archE910ELNS1_3gpuE8ELNS1_3repE0EEENS1_30default_config_static_selectorELNS0_4arch9wavefront6targetE1EEEvSV_.uses_flat_scratch, 0
	.set _ZN7rocprim17ROCPRIM_400000_NS6detail17trampoline_kernelINS0_13select_configILj256ELj13ELNS0_17block_load_methodE3ELS4_3ELS4_3ELNS0_20block_scan_algorithmE0ELj4294967295EEENS1_25partition_config_selectorILNS1_17partition_subalgoE3EjNS0_10empty_typeEbEEZZNS1_14partition_implILS8_3ELb0ES6_jNS0_17counting_iteratorIjlEEPS9_SE_NS0_5tupleIJPjSE_EEENSF_IJSE_SE_EEES9_SG_JZNS1_25segmented_radix_sort_implINS0_14default_configELb1EPKlPlSM_SN_N2at6native12_GLOBAL__N_18offset_tEEE10hipError_tPvRmT1_PNSt15iterator_traitsISV_E10value_typeET2_T3_PNSW_IS11_E10value_typeET4_jRbjT5_S17_jjP12ihipStream_tbEUljE_EEESS_ST_SU_S11_S15_S17_T6_T7_T9_mT8_S19_bDpT10_ENKUlT_T0_E_clISt17integral_constantIbLb0EES1L_IbLb1EEEEDaS1H_S1I_EUlS1H_E_NS1_11comp_targetILNS1_3genE4ELNS1_11target_archE910ELNS1_3gpuE8ELNS1_3repE0EEENS1_30default_config_static_selectorELNS0_4arch9wavefront6targetE1EEEvSV_.has_dyn_sized_stack, 0
	.set _ZN7rocprim17ROCPRIM_400000_NS6detail17trampoline_kernelINS0_13select_configILj256ELj13ELNS0_17block_load_methodE3ELS4_3ELS4_3ELNS0_20block_scan_algorithmE0ELj4294967295EEENS1_25partition_config_selectorILNS1_17partition_subalgoE3EjNS0_10empty_typeEbEEZZNS1_14partition_implILS8_3ELb0ES6_jNS0_17counting_iteratorIjlEEPS9_SE_NS0_5tupleIJPjSE_EEENSF_IJSE_SE_EEES9_SG_JZNS1_25segmented_radix_sort_implINS0_14default_configELb1EPKlPlSM_SN_N2at6native12_GLOBAL__N_18offset_tEEE10hipError_tPvRmT1_PNSt15iterator_traitsISV_E10value_typeET2_T3_PNSW_IS11_E10value_typeET4_jRbjT5_S17_jjP12ihipStream_tbEUljE_EEESS_ST_SU_S11_S15_S17_T6_T7_T9_mT8_S19_bDpT10_ENKUlT_T0_E_clISt17integral_constantIbLb0EES1L_IbLb1EEEEDaS1H_S1I_EUlS1H_E_NS1_11comp_targetILNS1_3genE4ELNS1_11target_archE910ELNS1_3gpuE8ELNS1_3repE0EEENS1_30default_config_static_selectorELNS0_4arch9wavefront6targetE1EEEvSV_.has_recursion, 0
	.set _ZN7rocprim17ROCPRIM_400000_NS6detail17trampoline_kernelINS0_13select_configILj256ELj13ELNS0_17block_load_methodE3ELS4_3ELS4_3ELNS0_20block_scan_algorithmE0ELj4294967295EEENS1_25partition_config_selectorILNS1_17partition_subalgoE3EjNS0_10empty_typeEbEEZZNS1_14partition_implILS8_3ELb0ES6_jNS0_17counting_iteratorIjlEEPS9_SE_NS0_5tupleIJPjSE_EEENSF_IJSE_SE_EEES9_SG_JZNS1_25segmented_radix_sort_implINS0_14default_configELb1EPKlPlSM_SN_N2at6native12_GLOBAL__N_18offset_tEEE10hipError_tPvRmT1_PNSt15iterator_traitsISV_E10value_typeET2_T3_PNSW_IS11_E10value_typeET4_jRbjT5_S17_jjP12ihipStream_tbEUljE_EEESS_ST_SU_S11_S15_S17_T6_T7_T9_mT8_S19_bDpT10_ENKUlT_T0_E_clISt17integral_constantIbLb0EES1L_IbLb1EEEEDaS1H_S1I_EUlS1H_E_NS1_11comp_targetILNS1_3genE4ELNS1_11target_archE910ELNS1_3gpuE8ELNS1_3repE0EEENS1_30default_config_static_selectorELNS0_4arch9wavefront6targetE1EEEvSV_.has_indirect_call, 0
	.section	.AMDGPU.csdata,"",@progbits
; Kernel info:
; codeLenInByte = 0
; TotalNumSgprs: 4
; NumVgprs: 0
; ScratchSize: 0
; MemoryBound: 0
; FloatMode: 240
; IeeeMode: 1
; LDSByteSize: 0 bytes/workgroup (compile time only)
; SGPRBlocks: 0
; VGPRBlocks: 0
; NumSGPRsForWavesPerEU: 4
; NumVGPRsForWavesPerEU: 1
; Occupancy: 10
; WaveLimiterHint : 0
; COMPUTE_PGM_RSRC2:SCRATCH_EN: 0
; COMPUTE_PGM_RSRC2:USER_SGPR: 6
; COMPUTE_PGM_RSRC2:TRAP_HANDLER: 0
; COMPUTE_PGM_RSRC2:TGID_X_EN: 1
; COMPUTE_PGM_RSRC2:TGID_Y_EN: 0
; COMPUTE_PGM_RSRC2:TGID_Z_EN: 0
; COMPUTE_PGM_RSRC2:TIDIG_COMP_CNT: 0
	.section	.text._ZN7rocprim17ROCPRIM_400000_NS6detail17trampoline_kernelINS0_13select_configILj256ELj13ELNS0_17block_load_methodE3ELS4_3ELS4_3ELNS0_20block_scan_algorithmE0ELj4294967295EEENS1_25partition_config_selectorILNS1_17partition_subalgoE3EjNS0_10empty_typeEbEEZZNS1_14partition_implILS8_3ELb0ES6_jNS0_17counting_iteratorIjlEEPS9_SE_NS0_5tupleIJPjSE_EEENSF_IJSE_SE_EEES9_SG_JZNS1_25segmented_radix_sort_implINS0_14default_configELb1EPKlPlSM_SN_N2at6native12_GLOBAL__N_18offset_tEEE10hipError_tPvRmT1_PNSt15iterator_traitsISV_E10value_typeET2_T3_PNSW_IS11_E10value_typeET4_jRbjT5_S17_jjP12ihipStream_tbEUljE_EEESS_ST_SU_S11_S15_S17_T6_T7_T9_mT8_S19_bDpT10_ENKUlT_T0_E_clISt17integral_constantIbLb0EES1L_IbLb1EEEEDaS1H_S1I_EUlS1H_E_NS1_11comp_targetILNS1_3genE3ELNS1_11target_archE908ELNS1_3gpuE7ELNS1_3repE0EEENS1_30default_config_static_selectorELNS0_4arch9wavefront6targetE1EEEvSV_,"axG",@progbits,_ZN7rocprim17ROCPRIM_400000_NS6detail17trampoline_kernelINS0_13select_configILj256ELj13ELNS0_17block_load_methodE3ELS4_3ELS4_3ELNS0_20block_scan_algorithmE0ELj4294967295EEENS1_25partition_config_selectorILNS1_17partition_subalgoE3EjNS0_10empty_typeEbEEZZNS1_14partition_implILS8_3ELb0ES6_jNS0_17counting_iteratorIjlEEPS9_SE_NS0_5tupleIJPjSE_EEENSF_IJSE_SE_EEES9_SG_JZNS1_25segmented_radix_sort_implINS0_14default_configELb1EPKlPlSM_SN_N2at6native12_GLOBAL__N_18offset_tEEE10hipError_tPvRmT1_PNSt15iterator_traitsISV_E10value_typeET2_T3_PNSW_IS11_E10value_typeET4_jRbjT5_S17_jjP12ihipStream_tbEUljE_EEESS_ST_SU_S11_S15_S17_T6_T7_T9_mT8_S19_bDpT10_ENKUlT_T0_E_clISt17integral_constantIbLb0EES1L_IbLb1EEEEDaS1H_S1I_EUlS1H_E_NS1_11comp_targetILNS1_3genE3ELNS1_11target_archE908ELNS1_3gpuE7ELNS1_3repE0EEENS1_30default_config_static_selectorELNS0_4arch9wavefront6targetE1EEEvSV_,comdat
	.globl	_ZN7rocprim17ROCPRIM_400000_NS6detail17trampoline_kernelINS0_13select_configILj256ELj13ELNS0_17block_load_methodE3ELS4_3ELS4_3ELNS0_20block_scan_algorithmE0ELj4294967295EEENS1_25partition_config_selectorILNS1_17partition_subalgoE3EjNS0_10empty_typeEbEEZZNS1_14partition_implILS8_3ELb0ES6_jNS0_17counting_iteratorIjlEEPS9_SE_NS0_5tupleIJPjSE_EEENSF_IJSE_SE_EEES9_SG_JZNS1_25segmented_radix_sort_implINS0_14default_configELb1EPKlPlSM_SN_N2at6native12_GLOBAL__N_18offset_tEEE10hipError_tPvRmT1_PNSt15iterator_traitsISV_E10value_typeET2_T3_PNSW_IS11_E10value_typeET4_jRbjT5_S17_jjP12ihipStream_tbEUljE_EEESS_ST_SU_S11_S15_S17_T6_T7_T9_mT8_S19_bDpT10_ENKUlT_T0_E_clISt17integral_constantIbLb0EES1L_IbLb1EEEEDaS1H_S1I_EUlS1H_E_NS1_11comp_targetILNS1_3genE3ELNS1_11target_archE908ELNS1_3gpuE7ELNS1_3repE0EEENS1_30default_config_static_selectorELNS0_4arch9wavefront6targetE1EEEvSV_ ; -- Begin function _ZN7rocprim17ROCPRIM_400000_NS6detail17trampoline_kernelINS0_13select_configILj256ELj13ELNS0_17block_load_methodE3ELS4_3ELS4_3ELNS0_20block_scan_algorithmE0ELj4294967295EEENS1_25partition_config_selectorILNS1_17partition_subalgoE3EjNS0_10empty_typeEbEEZZNS1_14partition_implILS8_3ELb0ES6_jNS0_17counting_iteratorIjlEEPS9_SE_NS0_5tupleIJPjSE_EEENSF_IJSE_SE_EEES9_SG_JZNS1_25segmented_radix_sort_implINS0_14default_configELb1EPKlPlSM_SN_N2at6native12_GLOBAL__N_18offset_tEEE10hipError_tPvRmT1_PNSt15iterator_traitsISV_E10value_typeET2_T3_PNSW_IS11_E10value_typeET4_jRbjT5_S17_jjP12ihipStream_tbEUljE_EEESS_ST_SU_S11_S15_S17_T6_T7_T9_mT8_S19_bDpT10_ENKUlT_T0_E_clISt17integral_constantIbLb0EES1L_IbLb1EEEEDaS1H_S1I_EUlS1H_E_NS1_11comp_targetILNS1_3genE3ELNS1_11target_archE908ELNS1_3gpuE7ELNS1_3repE0EEENS1_30default_config_static_selectorELNS0_4arch9wavefront6targetE1EEEvSV_
	.p2align	8
	.type	_ZN7rocprim17ROCPRIM_400000_NS6detail17trampoline_kernelINS0_13select_configILj256ELj13ELNS0_17block_load_methodE3ELS4_3ELS4_3ELNS0_20block_scan_algorithmE0ELj4294967295EEENS1_25partition_config_selectorILNS1_17partition_subalgoE3EjNS0_10empty_typeEbEEZZNS1_14partition_implILS8_3ELb0ES6_jNS0_17counting_iteratorIjlEEPS9_SE_NS0_5tupleIJPjSE_EEENSF_IJSE_SE_EEES9_SG_JZNS1_25segmented_radix_sort_implINS0_14default_configELb1EPKlPlSM_SN_N2at6native12_GLOBAL__N_18offset_tEEE10hipError_tPvRmT1_PNSt15iterator_traitsISV_E10value_typeET2_T3_PNSW_IS11_E10value_typeET4_jRbjT5_S17_jjP12ihipStream_tbEUljE_EEESS_ST_SU_S11_S15_S17_T6_T7_T9_mT8_S19_bDpT10_ENKUlT_T0_E_clISt17integral_constantIbLb0EES1L_IbLb1EEEEDaS1H_S1I_EUlS1H_E_NS1_11comp_targetILNS1_3genE3ELNS1_11target_archE908ELNS1_3gpuE7ELNS1_3repE0EEENS1_30default_config_static_selectorELNS0_4arch9wavefront6targetE1EEEvSV_,@function
_ZN7rocprim17ROCPRIM_400000_NS6detail17trampoline_kernelINS0_13select_configILj256ELj13ELNS0_17block_load_methodE3ELS4_3ELS4_3ELNS0_20block_scan_algorithmE0ELj4294967295EEENS1_25partition_config_selectorILNS1_17partition_subalgoE3EjNS0_10empty_typeEbEEZZNS1_14partition_implILS8_3ELb0ES6_jNS0_17counting_iteratorIjlEEPS9_SE_NS0_5tupleIJPjSE_EEENSF_IJSE_SE_EEES9_SG_JZNS1_25segmented_radix_sort_implINS0_14default_configELb1EPKlPlSM_SN_N2at6native12_GLOBAL__N_18offset_tEEE10hipError_tPvRmT1_PNSt15iterator_traitsISV_E10value_typeET2_T3_PNSW_IS11_E10value_typeET4_jRbjT5_S17_jjP12ihipStream_tbEUljE_EEESS_ST_SU_S11_S15_S17_T6_T7_T9_mT8_S19_bDpT10_ENKUlT_T0_E_clISt17integral_constantIbLb0EES1L_IbLb1EEEEDaS1H_S1I_EUlS1H_E_NS1_11comp_targetILNS1_3genE3ELNS1_11target_archE908ELNS1_3gpuE7ELNS1_3repE0EEENS1_30default_config_static_selectorELNS0_4arch9wavefront6targetE1EEEvSV_: ; @_ZN7rocprim17ROCPRIM_400000_NS6detail17trampoline_kernelINS0_13select_configILj256ELj13ELNS0_17block_load_methodE3ELS4_3ELS4_3ELNS0_20block_scan_algorithmE0ELj4294967295EEENS1_25partition_config_selectorILNS1_17partition_subalgoE3EjNS0_10empty_typeEbEEZZNS1_14partition_implILS8_3ELb0ES6_jNS0_17counting_iteratorIjlEEPS9_SE_NS0_5tupleIJPjSE_EEENSF_IJSE_SE_EEES9_SG_JZNS1_25segmented_radix_sort_implINS0_14default_configELb1EPKlPlSM_SN_N2at6native12_GLOBAL__N_18offset_tEEE10hipError_tPvRmT1_PNSt15iterator_traitsISV_E10value_typeET2_T3_PNSW_IS11_E10value_typeET4_jRbjT5_S17_jjP12ihipStream_tbEUljE_EEESS_ST_SU_S11_S15_S17_T6_T7_T9_mT8_S19_bDpT10_ENKUlT_T0_E_clISt17integral_constantIbLb0EES1L_IbLb1EEEEDaS1H_S1I_EUlS1H_E_NS1_11comp_targetILNS1_3genE3ELNS1_11target_archE908ELNS1_3gpuE7ELNS1_3repE0EEENS1_30default_config_static_selectorELNS0_4arch9wavefront6targetE1EEEvSV_
; %bb.0:
	.section	.rodata,"a",@progbits
	.p2align	6, 0x0
	.amdhsa_kernel _ZN7rocprim17ROCPRIM_400000_NS6detail17trampoline_kernelINS0_13select_configILj256ELj13ELNS0_17block_load_methodE3ELS4_3ELS4_3ELNS0_20block_scan_algorithmE0ELj4294967295EEENS1_25partition_config_selectorILNS1_17partition_subalgoE3EjNS0_10empty_typeEbEEZZNS1_14partition_implILS8_3ELb0ES6_jNS0_17counting_iteratorIjlEEPS9_SE_NS0_5tupleIJPjSE_EEENSF_IJSE_SE_EEES9_SG_JZNS1_25segmented_radix_sort_implINS0_14default_configELb1EPKlPlSM_SN_N2at6native12_GLOBAL__N_18offset_tEEE10hipError_tPvRmT1_PNSt15iterator_traitsISV_E10value_typeET2_T3_PNSW_IS11_E10value_typeET4_jRbjT5_S17_jjP12ihipStream_tbEUljE_EEESS_ST_SU_S11_S15_S17_T6_T7_T9_mT8_S19_bDpT10_ENKUlT_T0_E_clISt17integral_constantIbLb0EES1L_IbLb1EEEEDaS1H_S1I_EUlS1H_E_NS1_11comp_targetILNS1_3genE3ELNS1_11target_archE908ELNS1_3gpuE7ELNS1_3repE0EEENS1_30default_config_static_selectorELNS0_4arch9wavefront6targetE1EEEvSV_
		.amdhsa_group_segment_fixed_size 0
		.amdhsa_private_segment_fixed_size 0
		.amdhsa_kernarg_size 152
		.amdhsa_user_sgpr_count 6
		.amdhsa_user_sgpr_private_segment_buffer 1
		.amdhsa_user_sgpr_dispatch_ptr 0
		.amdhsa_user_sgpr_queue_ptr 0
		.amdhsa_user_sgpr_kernarg_segment_ptr 1
		.amdhsa_user_sgpr_dispatch_id 0
		.amdhsa_user_sgpr_flat_scratch_init 0
		.amdhsa_user_sgpr_private_segment_size 0
		.amdhsa_uses_dynamic_stack 0
		.amdhsa_system_sgpr_private_segment_wavefront_offset 0
		.amdhsa_system_sgpr_workgroup_id_x 1
		.amdhsa_system_sgpr_workgroup_id_y 0
		.amdhsa_system_sgpr_workgroup_id_z 0
		.amdhsa_system_sgpr_workgroup_info 0
		.amdhsa_system_vgpr_workitem_id 0
		.amdhsa_next_free_vgpr 1
		.amdhsa_next_free_sgpr 0
		.amdhsa_reserve_vcc 0
		.amdhsa_reserve_flat_scratch 0
		.amdhsa_float_round_mode_32 0
		.amdhsa_float_round_mode_16_64 0
		.amdhsa_float_denorm_mode_32 3
		.amdhsa_float_denorm_mode_16_64 3
		.amdhsa_dx10_clamp 1
		.amdhsa_ieee_mode 1
		.amdhsa_fp16_overflow 0
		.amdhsa_exception_fp_ieee_invalid_op 0
		.amdhsa_exception_fp_denorm_src 0
		.amdhsa_exception_fp_ieee_div_zero 0
		.amdhsa_exception_fp_ieee_overflow 0
		.amdhsa_exception_fp_ieee_underflow 0
		.amdhsa_exception_fp_ieee_inexact 0
		.amdhsa_exception_int_div_zero 0
	.end_amdhsa_kernel
	.section	.text._ZN7rocprim17ROCPRIM_400000_NS6detail17trampoline_kernelINS0_13select_configILj256ELj13ELNS0_17block_load_methodE3ELS4_3ELS4_3ELNS0_20block_scan_algorithmE0ELj4294967295EEENS1_25partition_config_selectorILNS1_17partition_subalgoE3EjNS0_10empty_typeEbEEZZNS1_14partition_implILS8_3ELb0ES6_jNS0_17counting_iteratorIjlEEPS9_SE_NS0_5tupleIJPjSE_EEENSF_IJSE_SE_EEES9_SG_JZNS1_25segmented_radix_sort_implINS0_14default_configELb1EPKlPlSM_SN_N2at6native12_GLOBAL__N_18offset_tEEE10hipError_tPvRmT1_PNSt15iterator_traitsISV_E10value_typeET2_T3_PNSW_IS11_E10value_typeET4_jRbjT5_S17_jjP12ihipStream_tbEUljE_EEESS_ST_SU_S11_S15_S17_T6_T7_T9_mT8_S19_bDpT10_ENKUlT_T0_E_clISt17integral_constantIbLb0EES1L_IbLb1EEEEDaS1H_S1I_EUlS1H_E_NS1_11comp_targetILNS1_3genE3ELNS1_11target_archE908ELNS1_3gpuE7ELNS1_3repE0EEENS1_30default_config_static_selectorELNS0_4arch9wavefront6targetE1EEEvSV_,"axG",@progbits,_ZN7rocprim17ROCPRIM_400000_NS6detail17trampoline_kernelINS0_13select_configILj256ELj13ELNS0_17block_load_methodE3ELS4_3ELS4_3ELNS0_20block_scan_algorithmE0ELj4294967295EEENS1_25partition_config_selectorILNS1_17partition_subalgoE3EjNS0_10empty_typeEbEEZZNS1_14partition_implILS8_3ELb0ES6_jNS0_17counting_iteratorIjlEEPS9_SE_NS0_5tupleIJPjSE_EEENSF_IJSE_SE_EEES9_SG_JZNS1_25segmented_radix_sort_implINS0_14default_configELb1EPKlPlSM_SN_N2at6native12_GLOBAL__N_18offset_tEEE10hipError_tPvRmT1_PNSt15iterator_traitsISV_E10value_typeET2_T3_PNSW_IS11_E10value_typeET4_jRbjT5_S17_jjP12ihipStream_tbEUljE_EEESS_ST_SU_S11_S15_S17_T6_T7_T9_mT8_S19_bDpT10_ENKUlT_T0_E_clISt17integral_constantIbLb0EES1L_IbLb1EEEEDaS1H_S1I_EUlS1H_E_NS1_11comp_targetILNS1_3genE3ELNS1_11target_archE908ELNS1_3gpuE7ELNS1_3repE0EEENS1_30default_config_static_selectorELNS0_4arch9wavefront6targetE1EEEvSV_,comdat
.Lfunc_end699:
	.size	_ZN7rocprim17ROCPRIM_400000_NS6detail17trampoline_kernelINS0_13select_configILj256ELj13ELNS0_17block_load_methodE3ELS4_3ELS4_3ELNS0_20block_scan_algorithmE0ELj4294967295EEENS1_25partition_config_selectorILNS1_17partition_subalgoE3EjNS0_10empty_typeEbEEZZNS1_14partition_implILS8_3ELb0ES6_jNS0_17counting_iteratorIjlEEPS9_SE_NS0_5tupleIJPjSE_EEENSF_IJSE_SE_EEES9_SG_JZNS1_25segmented_radix_sort_implINS0_14default_configELb1EPKlPlSM_SN_N2at6native12_GLOBAL__N_18offset_tEEE10hipError_tPvRmT1_PNSt15iterator_traitsISV_E10value_typeET2_T3_PNSW_IS11_E10value_typeET4_jRbjT5_S17_jjP12ihipStream_tbEUljE_EEESS_ST_SU_S11_S15_S17_T6_T7_T9_mT8_S19_bDpT10_ENKUlT_T0_E_clISt17integral_constantIbLb0EES1L_IbLb1EEEEDaS1H_S1I_EUlS1H_E_NS1_11comp_targetILNS1_3genE3ELNS1_11target_archE908ELNS1_3gpuE7ELNS1_3repE0EEENS1_30default_config_static_selectorELNS0_4arch9wavefront6targetE1EEEvSV_, .Lfunc_end699-_ZN7rocprim17ROCPRIM_400000_NS6detail17trampoline_kernelINS0_13select_configILj256ELj13ELNS0_17block_load_methodE3ELS4_3ELS4_3ELNS0_20block_scan_algorithmE0ELj4294967295EEENS1_25partition_config_selectorILNS1_17partition_subalgoE3EjNS0_10empty_typeEbEEZZNS1_14partition_implILS8_3ELb0ES6_jNS0_17counting_iteratorIjlEEPS9_SE_NS0_5tupleIJPjSE_EEENSF_IJSE_SE_EEES9_SG_JZNS1_25segmented_radix_sort_implINS0_14default_configELb1EPKlPlSM_SN_N2at6native12_GLOBAL__N_18offset_tEEE10hipError_tPvRmT1_PNSt15iterator_traitsISV_E10value_typeET2_T3_PNSW_IS11_E10value_typeET4_jRbjT5_S17_jjP12ihipStream_tbEUljE_EEESS_ST_SU_S11_S15_S17_T6_T7_T9_mT8_S19_bDpT10_ENKUlT_T0_E_clISt17integral_constantIbLb0EES1L_IbLb1EEEEDaS1H_S1I_EUlS1H_E_NS1_11comp_targetILNS1_3genE3ELNS1_11target_archE908ELNS1_3gpuE7ELNS1_3repE0EEENS1_30default_config_static_selectorELNS0_4arch9wavefront6targetE1EEEvSV_
                                        ; -- End function
	.set _ZN7rocprim17ROCPRIM_400000_NS6detail17trampoline_kernelINS0_13select_configILj256ELj13ELNS0_17block_load_methodE3ELS4_3ELS4_3ELNS0_20block_scan_algorithmE0ELj4294967295EEENS1_25partition_config_selectorILNS1_17partition_subalgoE3EjNS0_10empty_typeEbEEZZNS1_14partition_implILS8_3ELb0ES6_jNS0_17counting_iteratorIjlEEPS9_SE_NS0_5tupleIJPjSE_EEENSF_IJSE_SE_EEES9_SG_JZNS1_25segmented_radix_sort_implINS0_14default_configELb1EPKlPlSM_SN_N2at6native12_GLOBAL__N_18offset_tEEE10hipError_tPvRmT1_PNSt15iterator_traitsISV_E10value_typeET2_T3_PNSW_IS11_E10value_typeET4_jRbjT5_S17_jjP12ihipStream_tbEUljE_EEESS_ST_SU_S11_S15_S17_T6_T7_T9_mT8_S19_bDpT10_ENKUlT_T0_E_clISt17integral_constantIbLb0EES1L_IbLb1EEEEDaS1H_S1I_EUlS1H_E_NS1_11comp_targetILNS1_3genE3ELNS1_11target_archE908ELNS1_3gpuE7ELNS1_3repE0EEENS1_30default_config_static_selectorELNS0_4arch9wavefront6targetE1EEEvSV_.num_vgpr, 0
	.set _ZN7rocprim17ROCPRIM_400000_NS6detail17trampoline_kernelINS0_13select_configILj256ELj13ELNS0_17block_load_methodE3ELS4_3ELS4_3ELNS0_20block_scan_algorithmE0ELj4294967295EEENS1_25partition_config_selectorILNS1_17partition_subalgoE3EjNS0_10empty_typeEbEEZZNS1_14partition_implILS8_3ELb0ES6_jNS0_17counting_iteratorIjlEEPS9_SE_NS0_5tupleIJPjSE_EEENSF_IJSE_SE_EEES9_SG_JZNS1_25segmented_radix_sort_implINS0_14default_configELb1EPKlPlSM_SN_N2at6native12_GLOBAL__N_18offset_tEEE10hipError_tPvRmT1_PNSt15iterator_traitsISV_E10value_typeET2_T3_PNSW_IS11_E10value_typeET4_jRbjT5_S17_jjP12ihipStream_tbEUljE_EEESS_ST_SU_S11_S15_S17_T6_T7_T9_mT8_S19_bDpT10_ENKUlT_T0_E_clISt17integral_constantIbLb0EES1L_IbLb1EEEEDaS1H_S1I_EUlS1H_E_NS1_11comp_targetILNS1_3genE3ELNS1_11target_archE908ELNS1_3gpuE7ELNS1_3repE0EEENS1_30default_config_static_selectorELNS0_4arch9wavefront6targetE1EEEvSV_.num_agpr, 0
	.set _ZN7rocprim17ROCPRIM_400000_NS6detail17trampoline_kernelINS0_13select_configILj256ELj13ELNS0_17block_load_methodE3ELS4_3ELS4_3ELNS0_20block_scan_algorithmE0ELj4294967295EEENS1_25partition_config_selectorILNS1_17partition_subalgoE3EjNS0_10empty_typeEbEEZZNS1_14partition_implILS8_3ELb0ES6_jNS0_17counting_iteratorIjlEEPS9_SE_NS0_5tupleIJPjSE_EEENSF_IJSE_SE_EEES9_SG_JZNS1_25segmented_radix_sort_implINS0_14default_configELb1EPKlPlSM_SN_N2at6native12_GLOBAL__N_18offset_tEEE10hipError_tPvRmT1_PNSt15iterator_traitsISV_E10value_typeET2_T3_PNSW_IS11_E10value_typeET4_jRbjT5_S17_jjP12ihipStream_tbEUljE_EEESS_ST_SU_S11_S15_S17_T6_T7_T9_mT8_S19_bDpT10_ENKUlT_T0_E_clISt17integral_constantIbLb0EES1L_IbLb1EEEEDaS1H_S1I_EUlS1H_E_NS1_11comp_targetILNS1_3genE3ELNS1_11target_archE908ELNS1_3gpuE7ELNS1_3repE0EEENS1_30default_config_static_selectorELNS0_4arch9wavefront6targetE1EEEvSV_.numbered_sgpr, 0
	.set _ZN7rocprim17ROCPRIM_400000_NS6detail17trampoline_kernelINS0_13select_configILj256ELj13ELNS0_17block_load_methodE3ELS4_3ELS4_3ELNS0_20block_scan_algorithmE0ELj4294967295EEENS1_25partition_config_selectorILNS1_17partition_subalgoE3EjNS0_10empty_typeEbEEZZNS1_14partition_implILS8_3ELb0ES6_jNS0_17counting_iteratorIjlEEPS9_SE_NS0_5tupleIJPjSE_EEENSF_IJSE_SE_EEES9_SG_JZNS1_25segmented_radix_sort_implINS0_14default_configELb1EPKlPlSM_SN_N2at6native12_GLOBAL__N_18offset_tEEE10hipError_tPvRmT1_PNSt15iterator_traitsISV_E10value_typeET2_T3_PNSW_IS11_E10value_typeET4_jRbjT5_S17_jjP12ihipStream_tbEUljE_EEESS_ST_SU_S11_S15_S17_T6_T7_T9_mT8_S19_bDpT10_ENKUlT_T0_E_clISt17integral_constantIbLb0EES1L_IbLb1EEEEDaS1H_S1I_EUlS1H_E_NS1_11comp_targetILNS1_3genE3ELNS1_11target_archE908ELNS1_3gpuE7ELNS1_3repE0EEENS1_30default_config_static_selectorELNS0_4arch9wavefront6targetE1EEEvSV_.num_named_barrier, 0
	.set _ZN7rocprim17ROCPRIM_400000_NS6detail17trampoline_kernelINS0_13select_configILj256ELj13ELNS0_17block_load_methodE3ELS4_3ELS4_3ELNS0_20block_scan_algorithmE0ELj4294967295EEENS1_25partition_config_selectorILNS1_17partition_subalgoE3EjNS0_10empty_typeEbEEZZNS1_14partition_implILS8_3ELb0ES6_jNS0_17counting_iteratorIjlEEPS9_SE_NS0_5tupleIJPjSE_EEENSF_IJSE_SE_EEES9_SG_JZNS1_25segmented_radix_sort_implINS0_14default_configELb1EPKlPlSM_SN_N2at6native12_GLOBAL__N_18offset_tEEE10hipError_tPvRmT1_PNSt15iterator_traitsISV_E10value_typeET2_T3_PNSW_IS11_E10value_typeET4_jRbjT5_S17_jjP12ihipStream_tbEUljE_EEESS_ST_SU_S11_S15_S17_T6_T7_T9_mT8_S19_bDpT10_ENKUlT_T0_E_clISt17integral_constantIbLb0EES1L_IbLb1EEEEDaS1H_S1I_EUlS1H_E_NS1_11comp_targetILNS1_3genE3ELNS1_11target_archE908ELNS1_3gpuE7ELNS1_3repE0EEENS1_30default_config_static_selectorELNS0_4arch9wavefront6targetE1EEEvSV_.private_seg_size, 0
	.set _ZN7rocprim17ROCPRIM_400000_NS6detail17trampoline_kernelINS0_13select_configILj256ELj13ELNS0_17block_load_methodE3ELS4_3ELS4_3ELNS0_20block_scan_algorithmE0ELj4294967295EEENS1_25partition_config_selectorILNS1_17partition_subalgoE3EjNS0_10empty_typeEbEEZZNS1_14partition_implILS8_3ELb0ES6_jNS0_17counting_iteratorIjlEEPS9_SE_NS0_5tupleIJPjSE_EEENSF_IJSE_SE_EEES9_SG_JZNS1_25segmented_radix_sort_implINS0_14default_configELb1EPKlPlSM_SN_N2at6native12_GLOBAL__N_18offset_tEEE10hipError_tPvRmT1_PNSt15iterator_traitsISV_E10value_typeET2_T3_PNSW_IS11_E10value_typeET4_jRbjT5_S17_jjP12ihipStream_tbEUljE_EEESS_ST_SU_S11_S15_S17_T6_T7_T9_mT8_S19_bDpT10_ENKUlT_T0_E_clISt17integral_constantIbLb0EES1L_IbLb1EEEEDaS1H_S1I_EUlS1H_E_NS1_11comp_targetILNS1_3genE3ELNS1_11target_archE908ELNS1_3gpuE7ELNS1_3repE0EEENS1_30default_config_static_selectorELNS0_4arch9wavefront6targetE1EEEvSV_.uses_vcc, 0
	.set _ZN7rocprim17ROCPRIM_400000_NS6detail17trampoline_kernelINS0_13select_configILj256ELj13ELNS0_17block_load_methodE3ELS4_3ELS4_3ELNS0_20block_scan_algorithmE0ELj4294967295EEENS1_25partition_config_selectorILNS1_17partition_subalgoE3EjNS0_10empty_typeEbEEZZNS1_14partition_implILS8_3ELb0ES6_jNS0_17counting_iteratorIjlEEPS9_SE_NS0_5tupleIJPjSE_EEENSF_IJSE_SE_EEES9_SG_JZNS1_25segmented_radix_sort_implINS0_14default_configELb1EPKlPlSM_SN_N2at6native12_GLOBAL__N_18offset_tEEE10hipError_tPvRmT1_PNSt15iterator_traitsISV_E10value_typeET2_T3_PNSW_IS11_E10value_typeET4_jRbjT5_S17_jjP12ihipStream_tbEUljE_EEESS_ST_SU_S11_S15_S17_T6_T7_T9_mT8_S19_bDpT10_ENKUlT_T0_E_clISt17integral_constantIbLb0EES1L_IbLb1EEEEDaS1H_S1I_EUlS1H_E_NS1_11comp_targetILNS1_3genE3ELNS1_11target_archE908ELNS1_3gpuE7ELNS1_3repE0EEENS1_30default_config_static_selectorELNS0_4arch9wavefront6targetE1EEEvSV_.uses_flat_scratch, 0
	.set _ZN7rocprim17ROCPRIM_400000_NS6detail17trampoline_kernelINS0_13select_configILj256ELj13ELNS0_17block_load_methodE3ELS4_3ELS4_3ELNS0_20block_scan_algorithmE0ELj4294967295EEENS1_25partition_config_selectorILNS1_17partition_subalgoE3EjNS0_10empty_typeEbEEZZNS1_14partition_implILS8_3ELb0ES6_jNS0_17counting_iteratorIjlEEPS9_SE_NS0_5tupleIJPjSE_EEENSF_IJSE_SE_EEES9_SG_JZNS1_25segmented_radix_sort_implINS0_14default_configELb1EPKlPlSM_SN_N2at6native12_GLOBAL__N_18offset_tEEE10hipError_tPvRmT1_PNSt15iterator_traitsISV_E10value_typeET2_T3_PNSW_IS11_E10value_typeET4_jRbjT5_S17_jjP12ihipStream_tbEUljE_EEESS_ST_SU_S11_S15_S17_T6_T7_T9_mT8_S19_bDpT10_ENKUlT_T0_E_clISt17integral_constantIbLb0EES1L_IbLb1EEEEDaS1H_S1I_EUlS1H_E_NS1_11comp_targetILNS1_3genE3ELNS1_11target_archE908ELNS1_3gpuE7ELNS1_3repE0EEENS1_30default_config_static_selectorELNS0_4arch9wavefront6targetE1EEEvSV_.has_dyn_sized_stack, 0
	.set _ZN7rocprim17ROCPRIM_400000_NS6detail17trampoline_kernelINS0_13select_configILj256ELj13ELNS0_17block_load_methodE3ELS4_3ELS4_3ELNS0_20block_scan_algorithmE0ELj4294967295EEENS1_25partition_config_selectorILNS1_17partition_subalgoE3EjNS0_10empty_typeEbEEZZNS1_14partition_implILS8_3ELb0ES6_jNS0_17counting_iteratorIjlEEPS9_SE_NS0_5tupleIJPjSE_EEENSF_IJSE_SE_EEES9_SG_JZNS1_25segmented_radix_sort_implINS0_14default_configELb1EPKlPlSM_SN_N2at6native12_GLOBAL__N_18offset_tEEE10hipError_tPvRmT1_PNSt15iterator_traitsISV_E10value_typeET2_T3_PNSW_IS11_E10value_typeET4_jRbjT5_S17_jjP12ihipStream_tbEUljE_EEESS_ST_SU_S11_S15_S17_T6_T7_T9_mT8_S19_bDpT10_ENKUlT_T0_E_clISt17integral_constantIbLb0EES1L_IbLb1EEEEDaS1H_S1I_EUlS1H_E_NS1_11comp_targetILNS1_3genE3ELNS1_11target_archE908ELNS1_3gpuE7ELNS1_3repE0EEENS1_30default_config_static_selectorELNS0_4arch9wavefront6targetE1EEEvSV_.has_recursion, 0
	.set _ZN7rocprim17ROCPRIM_400000_NS6detail17trampoline_kernelINS0_13select_configILj256ELj13ELNS0_17block_load_methodE3ELS4_3ELS4_3ELNS0_20block_scan_algorithmE0ELj4294967295EEENS1_25partition_config_selectorILNS1_17partition_subalgoE3EjNS0_10empty_typeEbEEZZNS1_14partition_implILS8_3ELb0ES6_jNS0_17counting_iteratorIjlEEPS9_SE_NS0_5tupleIJPjSE_EEENSF_IJSE_SE_EEES9_SG_JZNS1_25segmented_radix_sort_implINS0_14default_configELb1EPKlPlSM_SN_N2at6native12_GLOBAL__N_18offset_tEEE10hipError_tPvRmT1_PNSt15iterator_traitsISV_E10value_typeET2_T3_PNSW_IS11_E10value_typeET4_jRbjT5_S17_jjP12ihipStream_tbEUljE_EEESS_ST_SU_S11_S15_S17_T6_T7_T9_mT8_S19_bDpT10_ENKUlT_T0_E_clISt17integral_constantIbLb0EES1L_IbLb1EEEEDaS1H_S1I_EUlS1H_E_NS1_11comp_targetILNS1_3genE3ELNS1_11target_archE908ELNS1_3gpuE7ELNS1_3repE0EEENS1_30default_config_static_selectorELNS0_4arch9wavefront6targetE1EEEvSV_.has_indirect_call, 0
	.section	.AMDGPU.csdata,"",@progbits
; Kernel info:
; codeLenInByte = 0
; TotalNumSgprs: 4
; NumVgprs: 0
; ScratchSize: 0
; MemoryBound: 0
; FloatMode: 240
; IeeeMode: 1
; LDSByteSize: 0 bytes/workgroup (compile time only)
; SGPRBlocks: 0
; VGPRBlocks: 0
; NumSGPRsForWavesPerEU: 4
; NumVGPRsForWavesPerEU: 1
; Occupancy: 10
; WaveLimiterHint : 0
; COMPUTE_PGM_RSRC2:SCRATCH_EN: 0
; COMPUTE_PGM_RSRC2:USER_SGPR: 6
; COMPUTE_PGM_RSRC2:TRAP_HANDLER: 0
; COMPUTE_PGM_RSRC2:TGID_X_EN: 1
; COMPUTE_PGM_RSRC2:TGID_Y_EN: 0
; COMPUTE_PGM_RSRC2:TGID_Z_EN: 0
; COMPUTE_PGM_RSRC2:TIDIG_COMP_CNT: 0
	.section	.text._ZN7rocprim17ROCPRIM_400000_NS6detail17trampoline_kernelINS0_13select_configILj256ELj13ELNS0_17block_load_methodE3ELS4_3ELS4_3ELNS0_20block_scan_algorithmE0ELj4294967295EEENS1_25partition_config_selectorILNS1_17partition_subalgoE3EjNS0_10empty_typeEbEEZZNS1_14partition_implILS8_3ELb0ES6_jNS0_17counting_iteratorIjlEEPS9_SE_NS0_5tupleIJPjSE_EEENSF_IJSE_SE_EEES9_SG_JZNS1_25segmented_radix_sort_implINS0_14default_configELb1EPKlPlSM_SN_N2at6native12_GLOBAL__N_18offset_tEEE10hipError_tPvRmT1_PNSt15iterator_traitsISV_E10value_typeET2_T3_PNSW_IS11_E10value_typeET4_jRbjT5_S17_jjP12ihipStream_tbEUljE_EEESS_ST_SU_S11_S15_S17_T6_T7_T9_mT8_S19_bDpT10_ENKUlT_T0_E_clISt17integral_constantIbLb0EES1L_IbLb1EEEEDaS1H_S1I_EUlS1H_E_NS1_11comp_targetILNS1_3genE2ELNS1_11target_archE906ELNS1_3gpuE6ELNS1_3repE0EEENS1_30default_config_static_selectorELNS0_4arch9wavefront6targetE1EEEvSV_,"axG",@progbits,_ZN7rocprim17ROCPRIM_400000_NS6detail17trampoline_kernelINS0_13select_configILj256ELj13ELNS0_17block_load_methodE3ELS4_3ELS4_3ELNS0_20block_scan_algorithmE0ELj4294967295EEENS1_25partition_config_selectorILNS1_17partition_subalgoE3EjNS0_10empty_typeEbEEZZNS1_14partition_implILS8_3ELb0ES6_jNS0_17counting_iteratorIjlEEPS9_SE_NS0_5tupleIJPjSE_EEENSF_IJSE_SE_EEES9_SG_JZNS1_25segmented_radix_sort_implINS0_14default_configELb1EPKlPlSM_SN_N2at6native12_GLOBAL__N_18offset_tEEE10hipError_tPvRmT1_PNSt15iterator_traitsISV_E10value_typeET2_T3_PNSW_IS11_E10value_typeET4_jRbjT5_S17_jjP12ihipStream_tbEUljE_EEESS_ST_SU_S11_S15_S17_T6_T7_T9_mT8_S19_bDpT10_ENKUlT_T0_E_clISt17integral_constantIbLb0EES1L_IbLb1EEEEDaS1H_S1I_EUlS1H_E_NS1_11comp_targetILNS1_3genE2ELNS1_11target_archE906ELNS1_3gpuE6ELNS1_3repE0EEENS1_30default_config_static_selectorELNS0_4arch9wavefront6targetE1EEEvSV_,comdat
	.globl	_ZN7rocprim17ROCPRIM_400000_NS6detail17trampoline_kernelINS0_13select_configILj256ELj13ELNS0_17block_load_methodE3ELS4_3ELS4_3ELNS0_20block_scan_algorithmE0ELj4294967295EEENS1_25partition_config_selectorILNS1_17partition_subalgoE3EjNS0_10empty_typeEbEEZZNS1_14partition_implILS8_3ELb0ES6_jNS0_17counting_iteratorIjlEEPS9_SE_NS0_5tupleIJPjSE_EEENSF_IJSE_SE_EEES9_SG_JZNS1_25segmented_radix_sort_implINS0_14default_configELb1EPKlPlSM_SN_N2at6native12_GLOBAL__N_18offset_tEEE10hipError_tPvRmT1_PNSt15iterator_traitsISV_E10value_typeET2_T3_PNSW_IS11_E10value_typeET4_jRbjT5_S17_jjP12ihipStream_tbEUljE_EEESS_ST_SU_S11_S15_S17_T6_T7_T9_mT8_S19_bDpT10_ENKUlT_T0_E_clISt17integral_constantIbLb0EES1L_IbLb1EEEEDaS1H_S1I_EUlS1H_E_NS1_11comp_targetILNS1_3genE2ELNS1_11target_archE906ELNS1_3gpuE6ELNS1_3repE0EEENS1_30default_config_static_selectorELNS0_4arch9wavefront6targetE1EEEvSV_ ; -- Begin function _ZN7rocprim17ROCPRIM_400000_NS6detail17trampoline_kernelINS0_13select_configILj256ELj13ELNS0_17block_load_methodE3ELS4_3ELS4_3ELNS0_20block_scan_algorithmE0ELj4294967295EEENS1_25partition_config_selectorILNS1_17partition_subalgoE3EjNS0_10empty_typeEbEEZZNS1_14partition_implILS8_3ELb0ES6_jNS0_17counting_iteratorIjlEEPS9_SE_NS0_5tupleIJPjSE_EEENSF_IJSE_SE_EEES9_SG_JZNS1_25segmented_radix_sort_implINS0_14default_configELb1EPKlPlSM_SN_N2at6native12_GLOBAL__N_18offset_tEEE10hipError_tPvRmT1_PNSt15iterator_traitsISV_E10value_typeET2_T3_PNSW_IS11_E10value_typeET4_jRbjT5_S17_jjP12ihipStream_tbEUljE_EEESS_ST_SU_S11_S15_S17_T6_T7_T9_mT8_S19_bDpT10_ENKUlT_T0_E_clISt17integral_constantIbLb0EES1L_IbLb1EEEEDaS1H_S1I_EUlS1H_E_NS1_11comp_targetILNS1_3genE2ELNS1_11target_archE906ELNS1_3gpuE6ELNS1_3repE0EEENS1_30default_config_static_selectorELNS0_4arch9wavefront6targetE1EEEvSV_
	.p2align	8
	.type	_ZN7rocprim17ROCPRIM_400000_NS6detail17trampoline_kernelINS0_13select_configILj256ELj13ELNS0_17block_load_methodE3ELS4_3ELS4_3ELNS0_20block_scan_algorithmE0ELj4294967295EEENS1_25partition_config_selectorILNS1_17partition_subalgoE3EjNS0_10empty_typeEbEEZZNS1_14partition_implILS8_3ELb0ES6_jNS0_17counting_iteratorIjlEEPS9_SE_NS0_5tupleIJPjSE_EEENSF_IJSE_SE_EEES9_SG_JZNS1_25segmented_radix_sort_implINS0_14default_configELb1EPKlPlSM_SN_N2at6native12_GLOBAL__N_18offset_tEEE10hipError_tPvRmT1_PNSt15iterator_traitsISV_E10value_typeET2_T3_PNSW_IS11_E10value_typeET4_jRbjT5_S17_jjP12ihipStream_tbEUljE_EEESS_ST_SU_S11_S15_S17_T6_T7_T9_mT8_S19_bDpT10_ENKUlT_T0_E_clISt17integral_constantIbLb0EES1L_IbLb1EEEEDaS1H_S1I_EUlS1H_E_NS1_11comp_targetILNS1_3genE2ELNS1_11target_archE906ELNS1_3gpuE6ELNS1_3repE0EEENS1_30default_config_static_selectorELNS0_4arch9wavefront6targetE1EEEvSV_,@function
_ZN7rocprim17ROCPRIM_400000_NS6detail17trampoline_kernelINS0_13select_configILj256ELj13ELNS0_17block_load_methodE3ELS4_3ELS4_3ELNS0_20block_scan_algorithmE0ELj4294967295EEENS1_25partition_config_selectorILNS1_17partition_subalgoE3EjNS0_10empty_typeEbEEZZNS1_14partition_implILS8_3ELb0ES6_jNS0_17counting_iteratorIjlEEPS9_SE_NS0_5tupleIJPjSE_EEENSF_IJSE_SE_EEES9_SG_JZNS1_25segmented_radix_sort_implINS0_14default_configELb1EPKlPlSM_SN_N2at6native12_GLOBAL__N_18offset_tEEE10hipError_tPvRmT1_PNSt15iterator_traitsISV_E10value_typeET2_T3_PNSW_IS11_E10value_typeET4_jRbjT5_S17_jjP12ihipStream_tbEUljE_EEESS_ST_SU_S11_S15_S17_T6_T7_T9_mT8_S19_bDpT10_ENKUlT_T0_E_clISt17integral_constantIbLb0EES1L_IbLb1EEEEDaS1H_S1I_EUlS1H_E_NS1_11comp_targetILNS1_3genE2ELNS1_11target_archE906ELNS1_3gpuE6ELNS1_3repE0EEENS1_30default_config_static_selectorELNS0_4arch9wavefront6targetE1EEEvSV_: ; @_ZN7rocprim17ROCPRIM_400000_NS6detail17trampoline_kernelINS0_13select_configILj256ELj13ELNS0_17block_load_methodE3ELS4_3ELS4_3ELNS0_20block_scan_algorithmE0ELj4294967295EEENS1_25partition_config_selectorILNS1_17partition_subalgoE3EjNS0_10empty_typeEbEEZZNS1_14partition_implILS8_3ELb0ES6_jNS0_17counting_iteratorIjlEEPS9_SE_NS0_5tupleIJPjSE_EEENSF_IJSE_SE_EEES9_SG_JZNS1_25segmented_radix_sort_implINS0_14default_configELb1EPKlPlSM_SN_N2at6native12_GLOBAL__N_18offset_tEEE10hipError_tPvRmT1_PNSt15iterator_traitsISV_E10value_typeET2_T3_PNSW_IS11_E10value_typeET4_jRbjT5_S17_jjP12ihipStream_tbEUljE_EEESS_ST_SU_S11_S15_S17_T6_T7_T9_mT8_S19_bDpT10_ENKUlT_T0_E_clISt17integral_constantIbLb0EES1L_IbLb1EEEEDaS1H_S1I_EUlS1H_E_NS1_11comp_targetILNS1_3genE2ELNS1_11target_archE906ELNS1_3gpuE6ELNS1_3repE0EEENS1_30default_config_static_selectorELNS0_4arch9wavefront6targetE1EEEvSV_
; %bb.0:
	s_load_dwordx2 s[28:29], s[4:5], 0x10
	s_load_dwordx2 s[22:23], s[4:5], 0x28
	;; [unrolled: 1-line block ×3, first 2 shown]
	s_load_dwordx4 s[24:27], s[4:5], 0x48
	s_load_dword s14, s[4:5], 0x90
	s_load_dwordx2 s[34:35], s[4:5], 0x68
	s_load_dwordx4 s[8:11], s[4:5], 0x80
	v_cmp_eq_u32_e64 s[0:1], 0, v0
	s_and_saveexec_b64 s[2:3], s[0:1]
	s_cbranch_execz .LBB700_4
; %bb.1:
	s_mov_b64 s[12:13], exec
	v_mbcnt_lo_u32_b32 v1, s12, 0
	v_mbcnt_hi_u32_b32 v1, s13, v1
	v_cmp_eq_u32_e32 vcc, 0, v1
                                        ; implicit-def: $vgpr2
	s_and_saveexec_b64 s[6:7], vcc
	s_cbranch_execz .LBB700_3
; %bb.2:
	s_load_dwordx2 s[16:17], s[4:5], 0x78
	s_bcnt1_i32_b64 s12, s[12:13]
	v_mov_b32_e32 v2, 0
	v_mov_b32_e32 v3, s12
	s_waitcnt lgkmcnt(0)
	global_atomic_add v2, v2, v3, s[16:17] glc
.LBB700_3:
	s_or_b64 exec, exec, s[6:7]
	s_waitcnt vmcnt(0)
	v_readfirstlane_b32 s6, v2
	v_add_u32_e32 v1, s6, v1
	v_mov_b32_e32 v2, 0
	ds_write_b32 v2, v1
.LBB700_4:
	s_or_b64 exec, exec, s[2:3]
	v_mov_b32_e32 v1, 0
	s_load_dword s6, s[4:5], 0x8
	s_load_dword s2, s[4:5], 0x70
	s_waitcnt lgkmcnt(0)
	s_barrier
	ds_read_b32 v5, v1
	s_waitcnt lgkmcnt(0)
	s_barrier
	global_load_dwordx2 v[3:4], v1, s[26:27]
	s_add_i32 s4, s2, -1
	s_mulk_i32 s2, 0xd00
	s_add_i32 s3, s2, s28
	s_sub_i32 s33, s30, s3
	s_add_i32 s6, s6, s28
	s_addk_i32 s33, 0xd00
	s_add_u32 s2, s28, s2
	s_addc_u32 s3, s29, 0
	v_mov_b32_e32 v1, s2
	v_mov_b32_e32 v2, s3
	v_readfirstlane_b32 s43, v5
	v_cmp_gt_u64_e32 vcc, s[30:31], v[1:2]
	s_cmp_eq_u32 s43, s4
	v_cmp_ne_u32_e64 s[2:3], s4, v5
	s_cselect_b64 s[26:27], -1, 0
	s_or_b64 s[4:5], vcc, s[2:3]
	s_mul_i32 s42, s43, 0xd00
	s_mov_b64 s[2:3], -1
	s_and_b64 vcc, exec, s[4:5]
	v_lshlrev_b32_e32 v25, 2, v0
	s_cbranch_vccz .LBB700_6
; %bb.5:
	s_add_i32 s2, s42, s6
	v_add_u32_e32 v1, s2, v0
	v_add_u32_e32 v2, 0x100, v1
	v_add_u32_e32 v5, 0x200, v1
	v_add_u32_e32 v6, 0x300, v1
	v_add_u32_e32 v7, 0x400, v1
	v_add_u32_e32 v8, 0x500, v1
	v_add_u32_e32 v9, 0x600, v1
	v_add_u32_e32 v10, 0x700, v1
	v_add_u32_e32 v11, 0x800, v1
	v_add_u32_e32 v12, 0x900, v1
	v_add_u32_e32 v13, 0xa00, v1
	v_add_u32_e32 v14, 0xb00, v1
	v_add_u32_e32 v15, 0xc00, v1
	ds_write2st64_b32 v25, v1, v2 offset1:4
	ds_write2st64_b32 v25, v5, v6 offset0:8 offset1:12
	ds_write2st64_b32 v25, v7, v8 offset0:16 offset1:20
	;; [unrolled: 1-line block ×5, first 2 shown]
	ds_write_b32 v25, v15 offset:12288
	s_waitcnt vmcnt(0) lgkmcnt(0)
	s_barrier
	s_mov_b64 s[2:3], 0
.LBB700_6:
	s_andn2_b64 vcc, exec, s[2:3]
	v_cmp_gt_u32_e64 s[2:3], s33, v0
	s_cbranch_vccnz .LBB700_8
; %bb.7:
	s_add_i32 s6, s42, s6
	v_or_b32_e32 v2, 0x100, v0
	v_add_u32_e32 v5, s6, v2
	v_cmp_gt_u32_e32 vcc, s33, v2
	v_cndmask_b32_e32 v2, 0, v5, vcc
	v_or_b32_e32 v5, 0x200, v0
	v_add_u32_e32 v6, s6, v5
	v_cmp_gt_u32_e32 vcc, s33, v5
	v_cndmask_b32_e32 v5, 0, v6, vcc
	;; [unrolled: 4-line block ×10, first 2 shown]
	v_or_b32_e32 v14, 0xb00, v0
	v_add_u32_e32 v15, s6, v14
	v_cmp_gt_u32_e32 vcc, s33, v14
	v_add_u32_e32 v1, s6, v0
	v_cndmask_b32_e32 v14, 0, v15, vcc
	v_or_b32_e32 v15, 0xc00, v0
	v_cndmask_b32_e64 v1, 0, v1, s[2:3]
	v_add_u32_e32 v16, s6, v15
	v_cmp_gt_u32_e32 vcc, s33, v15
	v_cndmask_b32_e32 v15, 0, v16, vcc
	ds_write2st64_b32 v25, v1, v2 offset1:4
	ds_write2st64_b32 v25, v5, v6 offset0:8 offset1:12
	ds_write2st64_b32 v25, v7, v8 offset0:16 offset1:20
	;; [unrolled: 1-line block ×5, first 2 shown]
	ds_write_b32 v25, v15 offset:12288
	s_waitcnt vmcnt(0) lgkmcnt(0)
	s_barrier
.LBB700_8:
	v_mul_u32_u24_e32 v27, 13, v0
	v_lshlrev_b32_e32 v1, 2, v27
	ds_read2_b32 v[15:16], v1 offset1:1
	ds_read2_b32 v[13:14], v1 offset0:2 offset1:3
	ds_read2_b32 v[11:12], v1 offset0:4 offset1:5
	;; [unrolled: 1-line block ×5, first 2 shown]
	ds_read_b32 v26, v1 offset:48
	v_cndmask_b32_e64 v1, 0, 1, s[4:5]
	v_cmp_ne_u32_e64 s[2:3], 1, v1
	s_andn2_b64 vcc, exec, s[4:5]
	s_waitcnt vmcnt(0) lgkmcnt(0)
	s_barrier
	s_cbranch_vccnz .LBB700_10
; %bb.9:
	v_add_u32_e32 v1, s9, v15
	v_add_u32_e32 v2, s11, v15
	v_mul_lo_u32 v1, v1, s8
	v_mul_lo_u32 v2, v2, s10
	v_add_u32_e32 v17, s9, v13
	v_add_u32_e32 v18, s11, v13
	v_mul_lo_u32 v17, v17, s8
	v_sub_u32_e32 v1, v1, v2
	v_cmp_lt_u32_e32 vcc, s14, v1
	v_add_u32_e32 v1, s9, v16
	v_add_u32_e32 v2, s11, v16
	v_mul_lo_u32 v1, v1, s8
	v_mul_lo_u32 v2, v2, s10
	;; [unrolled: 1-line block ×3, first 2 shown]
	v_cndmask_b32_e64 v28, 0, 1, vcc
	v_sub_u32_e32 v1, v1, v2
	v_cmp_lt_u32_e32 vcc, s14, v1
	v_sub_u32_e32 v1, v17, v18
	v_cndmask_b32_e64 v29, 0, 1, vcc
	v_cmp_lt_u32_e32 vcc, s14, v1
	v_add_u32_e32 v1, s9, v14
	v_add_u32_e32 v2, s11, v14
	v_mul_lo_u32 v1, v1, s8
	v_mul_lo_u32 v2, v2, s10
	v_add_u32_e32 v17, s9, v11
	v_add_u32_e32 v18, s11, v11
	v_mul_lo_u32 v17, v17, s8
	v_mul_lo_u32 v18, v18, s10
	v_sub_u32_e32 v1, v1, v2
	v_cndmask_b32_e64 v30, 0, 1, vcc
	v_cmp_lt_u32_e32 vcc, s14, v1
	v_sub_u32_e32 v1, v17, v18
	v_cndmask_b32_e64 v31, 0, 1, vcc
	v_cmp_lt_u32_e32 vcc, s14, v1
	v_add_u32_e32 v1, s9, v12
	v_add_u32_e32 v2, s11, v12
	v_mul_lo_u32 v1, v1, s8
	v_mul_lo_u32 v2, v2, s10
	v_add_u32_e32 v17, s9, v9
	v_add_u32_e32 v18, s11, v9
	v_mul_lo_u32 v17, v17, s8
	v_mul_lo_u32 v18, v18, s10
	v_sub_u32_e32 v1, v1, v2
	v_cndmask_b32_e64 v32, 0, 1, vcc
	;; [unrolled: 14-line block ×5, first 2 shown]
	v_cmp_lt_u32_e32 vcc, s14, v1
	v_sub_u32_e32 v1, v17, v18
	v_cndmask_b32_e64 v39, 0, 1, vcc
	v_cmp_lt_u32_e64 s[36:37], s14, v1
	s_cbranch_execz .LBB700_11
	s_branch .LBB700_38
.LBB700_10:
                                        ; implicit-def: $sgpr36_sgpr37
                                        ; implicit-def: $vgpr39
                                        ; implicit-def: $vgpr38
                                        ; implicit-def: $vgpr37
                                        ; implicit-def: $vgpr36
                                        ; implicit-def: $vgpr35
                                        ; implicit-def: $vgpr34
                                        ; implicit-def: $vgpr33
                                        ; implicit-def: $vgpr32
                                        ; implicit-def: $vgpr28
                                        ; implicit-def: $vgpr29
                                        ; implicit-def: $vgpr30
                                        ; implicit-def: $vgpr31
.LBB700_11:
	v_cmp_gt_u32_e32 vcc, s33, v27
	v_mov_b32_e32 v29, 0
	v_mov_b32_e32 v28, 0
	s_and_saveexec_b64 s[4:5], vcc
	s_cbranch_execz .LBB700_13
; %bb.12:
	v_add_u32_e32 v1, s9, v15
	v_add_u32_e32 v2, s11, v15
	v_mul_lo_u32 v1, v1, s8
	v_mul_lo_u32 v2, v2, s10
	v_sub_u32_e32 v1, v1, v2
	v_cmp_lt_u32_e32 vcc, s14, v1
	v_cndmask_b32_e64 v28, 0, 1, vcc
.LBB700_13:
	s_or_b64 exec, exec, s[4:5]
	v_add_u32_e32 v1, 1, v27
	v_cmp_gt_u32_e32 vcc, s33, v1
	s_and_saveexec_b64 s[4:5], vcc
	s_cbranch_execz .LBB700_15
; %bb.14:
	v_add_u32_e32 v1, s9, v16
	v_add_u32_e32 v2, s11, v16
	v_mul_lo_u32 v1, v1, s8
	v_mul_lo_u32 v2, v2, s10
	v_sub_u32_e32 v1, v1, v2
	v_cmp_lt_u32_e32 vcc, s14, v1
	v_cndmask_b32_e64 v29, 0, 1, vcc
.LBB700_15:
	s_or_b64 exec, exec, s[4:5]
	v_add_u32_e32 v1, 2, v27
	v_cmp_gt_u32_e32 vcc, s33, v1
	v_mov_b32_e32 v31, 0
	v_mov_b32_e32 v30, 0
	s_and_saveexec_b64 s[4:5], vcc
	s_cbranch_execz .LBB700_17
; %bb.16:
	v_add_u32_e32 v1, s9, v13
	v_add_u32_e32 v2, s11, v13
	v_mul_lo_u32 v1, v1, s8
	v_mul_lo_u32 v2, v2, s10
	v_sub_u32_e32 v1, v1, v2
	v_cmp_lt_u32_e32 vcc, s14, v1
	v_cndmask_b32_e64 v30, 0, 1, vcc
.LBB700_17:
	s_or_b64 exec, exec, s[4:5]
	v_add_u32_e32 v1, 3, v27
	v_cmp_gt_u32_e32 vcc, s33, v1
	s_and_saveexec_b64 s[4:5], vcc
	s_cbranch_execz .LBB700_19
; %bb.18:
	v_add_u32_e32 v1, s9, v14
	v_add_u32_e32 v2, s11, v14
	v_mul_lo_u32 v1, v1, s8
	v_mul_lo_u32 v2, v2, s10
	v_sub_u32_e32 v1, v1, v2
	v_cmp_lt_u32_e32 vcc, s14, v1
	v_cndmask_b32_e64 v31, 0, 1, vcc
.LBB700_19:
	s_or_b64 exec, exec, s[4:5]
	v_add_u32_e32 v1, 4, v27
	;; [unrolled: 30-line block ×6, first 2 shown]
	v_cmp_gt_u32_e32 vcc, s33, v1
	s_mov_b64 s[36:37], 0
	s_and_saveexec_b64 s[4:5], vcc
	s_cbranch_execz .LBB700_37
; %bb.36:
	v_add_u32_e32 v1, s9, v26
	v_add_u32_e32 v2, s11, v26
	v_mul_lo_u32 v1, v1, s8
	v_mul_lo_u32 v2, v2, s10
	v_sub_u32_e32 v1, v1, v2
	v_cmp_lt_u32_e32 vcc, s14, v1
	s_and_b64 s[36:37], vcc, exec
.LBB700_37:
	s_or_b64 exec, exec, s[4:5]
.LBB700_38:
	v_and_b32_e32 v42, 0xff, v29
	v_and_b32_e32 v43, 0xff, v30
	;; [unrolled: 1-line block ×5, first 2 shown]
	v_add3_u32 v2, v43, v44, v42
	v_and_b32_e32 v46, 0xff, v33
	v_and_b32_e32 v47, 0xff, v34
	v_add3_u32 v2, v2, v41, v45
	v_and_b32_e32 v48, 0xff, v35
	v_and_b32_e32 v49, 0xff, v36
	;; [unrolled: 3-line block ×3, first 2 shown]
	v_add3_u32 v2, v2, v48, v49
	v_and_b32_e32 v40, 0xff, v39
	v_cndmask_b32_e64 v1, 0, 1, s[36:37]
	v_add3_u32 v2, v2, v50, v51
	v_add3_u32 v54, v2, v40, v1
	v_mbcnt_lo_u32_b32 v1, -1, 0
	v_mbcnt_hi_u32_b32 v52, -1, v1
	v_and_b32_e32 v1, 15, v52
	v_cmp_eq_u32_e64 s[16:17], 0, v1
	v_cmp_lt_u32_e64 s[14:15], 1, v1
	v_cmp_lt_u32_e64 s[12:13], 3, v1
	;; [unrolled: 1-line block ×3, first 2 shown]
	v_and_b32_e32 v1, 16, v52
	v_cmp_eq_u32_e64 s[8:9], 0, v1
	v_or_b32_e32 v1, 63, v0
	s_cmp_lg_u32 s43, 0
	v_cmp_lt_u32_e64 s[4:5], 31, v52
	v_lshrrev_b32_e32 v53, 6, v0
	v_cmp_eq_u32_e64 s[6:7], v0, v1
	s_cbranch_scc0 .LBB700_60
; %bb.39:
	v_mov_b32_dpp v1, v54 row_shr:1 row_mask:0xf bank_mask:0xf
	v_cndmask_b32_e64 v1, v1, 0, s[16:17]
	v_add_u32_e32 v1, v1, v54
	s_nop 1
	v_mov_b32_dpp v2, v1 row_shr:2 row_mask:0xf bank_mask:0xf
	v_cndmask_b32_e64 v2, 0, v2, s[14:15]
	v_add_u32_e32 v1, v1, v2
	s_nop 1
	;; [unrolled: 4-line block ×4, first 2 shown]
	v_mov_b32_dpp v2, v1 row_bcast:15 row_mask:0xf bank_mask:0xf
	v_cndmask_b32_e64 v2, v2, 0, s[8:9]
	v_add_u32_e32 v1, v1, v2
	s_nop 1
	v_mov_b32_dpp v2, v1 row_bcast:31 row_mask:0xf bank_mask:0xf
	v_cndmask_b32_e64 v2, 0, v2, s[4:5]
	v_add_u32_e32 v1, v1, v2
	s_and_saveexec_b64 s[18:19], s[6:7]
; %bb.40:
	v_lshlrev_b32_e32 v2, 2, v53
	ds_write_b32 v2, v1
; %bb.41:
	s_or_b64 exec, exec, s[18:19]
	v_cmp_gt_u32_e32 vcc, 4, v0
	s_waitcnt lgkmcnt(0)
	s_barrier
	s_and_saveexec_b64 s[18:19], vcc
	s_cbranch_execz .LBB700_43
; %bb.42:
	ds_read_b32 v2, v25
	v_and_b32_e32 v17, 3, v52
	v_cmp_ne_u32_e32 vcc, 0, v17
	s_waitcnt lgkmcnt(0)
	v_mov_b32_dpp v18, v2 row_shr:1 row_mask:0xf bank_mask:0xf
	v_cndmask_b32_e32 v18, 0, v18, vcc
	v_add_u32_e32 v2, v18, v2
	v_cmp_lt_u32_e32 vcc, 1, v17
	s_nop 0
	v_mov_b32_dpp v18, v2 row_shr:2 row_mask:0xf bank_mask:0xf
	v_cndmask_b32_e32 v17, 0, v18, vcc
	v_add_u32_e32 v2, v2, v17
	ds_write_b32 v25, v2
.LBB700_43:
	s_or_b64 exec, exec, s[18:19]
	v_cmp_gt_u32_e32 vcc, 64, v0
	v_cmp_lt_u32_e64 s[18:19], 63, v0
	s_waitcnt lgkmcnt(0)
	s_barrier
                                        ; implicit-def: $vgpr55
	s_and_saveexec_b64 s[20:21], s[18:19]
	s_cbranch_execz .LBB700_45
; %bb.44:
	v_lshl_add_u32 v2, v53, 2, -4
	ds_read_b32 v55, v2
	s_waitcnt lgkmcnt(0)
	v_add_u32_e32 v1, v55, v1
.LBB700_45:
	s_or_b64 exec, exec, s[20:21]
	v_subrev_co_u32_e64 v2, s[18:19], 1, v52
	v_and_b32_e32 v17, 64, v52
	v_cmp_lt_i32_e64 s[20:21], v2, v17
	v_cndmask_b32_e64 v2, v2, v52, s[20:21]
	v_lshlrev_b32_e32 v2, 2, v2
	ds_bpermute_b32 v56, v2, v1
	s_and_saveexec_b64 s[20:21], vcc
	s_cbranch_execz .LBB700_65
; %bb.46:
	v_mov_b32_e32 v21, 0
	ds_read_b32 v1, v21 offset:12
	s_and_saveexec_b64 s[38:39], s[18:19]
	s_cbranch_execz .LBB700_48
; %bb.47:
	s_add_i32 s40, s43, 64
	s_mov_b32 s41, 0
	s_lshl_b64 s[40:41], s[40:41], 3
	s_add_u32 s40, s34, s40
	v_mov_b32_e32 v2, 1
	s_addc_u32 s41, s35, s41
	s_waitcnt lgkmcnt(0)
	global_store_dwordx2 v21, v[1:2], s[40:41]
.LBB700_48:
	s_or_b64 exec, exec, s[38:39]
	v_xad_u32 v17, v52, -1, s43
	v_add_u32_e32 v20, 64, v17
	v_lshlrev_b64 v[18:19], 3, v[20:21]
	v_mov_b32_e32 v2, s35
	v_add_co_u32_e32 v22, vcc, s34, v18
	v_addc_co_u32_e32 v23, vcc, v2, v19, vcc
	global_load_dwordx2 v[19:20], v[22:23], off glc
	s_waitcnt vmcnt(0)
	v_cmp_eq_u16_sdwa s[40:41], v20, v21 src0_sel:BYTE_0 src1_sel:DWORD
	s_and_saveexec_b64 s[38:39], s[40:41]
	s_cbranch_execz .LBB700_52
; %bb.49:
	s_mov_b64 s[40:41], 0
	v_mov_b32_e32 v2, 0
.LBB700_50:                             ; =>This Inner Loop Header: Depth=1
	global_load_dwordx2 v[19:20], v[22:23], off glc
	s_waitcnt vmcnt(0)
	v_cmp_ne_u16_sdwa s[44:45], v20, v2 src0_sel:BYTE_0 src1_sel:DWORD
	s_or_b64 s[40:41], s[44:45], s[40:41]
	s_andn2_b64 exec, exec, s[40:41]
	s_cbranch_execnz .LBB700_50
; %bb.51:
	s_or_b64 exec, exec, s[40:41]
.LBB700_52:
	s_or_b64 exec, exec, s[38:39]
	v_and_b32_e32 v58, 63, v52
	v_mov_b32_e32 v57, 2
	v_lshlrev_b64 v[21:22], v52, -1
	v_cmp_ne_u32_e32 vcc, 63, v58
	v_cmp_eq_u16_sdwa s[38:39], v20, v57 src0_sel:BYTE_0 src1_sel:DWORD
	v_addc_co_u32_e32 v23, vcc, 0, v52, vcc
	v_and_b32_e32 v2, s39, v22
	v_lshlrev_b32_e32 v59, 2, v23
	v_or_b32_e32 v2, 0x80000000, v2
	ds_bpermute_b32 v23, v59, v19
	v_and_b32_e32 v18, s38, v21
	v_ffbl_b32_e32 v2, v2
	v_add_u32_e32 v2, 32, v2
	v_ffbl_b32_e32 v18, v18
	v_min_u32_e32 v2, v18, v2
	v_cmp_lt_u32_e32 vcc, v58, v2
	s_waitcnt lgkmcnt(0)
	v_cndmask_b32_e32 v18, 0, v23, vcc
	v_cmp_gt_u32_e32 vcc, 62, v58
	v_add_u32_e32 v18, v18, v19
	v_cndmask_b32_e64 v19, 0, 2, vcc
	v_add_lshl_u32 v60, v19, v52, 2
	ds_bpermute_b32 v19, v60, v18
	v_add_u32_e32 v61, 2, v58
	v_cmp_le_u32_e32 vcc, v61, v2
	v_add_u32_e32 v63, 4, v58
	v_add_u32_e32 v65, 8, v58
	s_waitcnt lgkmcnt(0)
	v_cndmask_b32_e32 v19, 0, v19, vcc
	v_cmp_gt_u32_e32 vcc, 60, v58
	v_add_u32_e32 v18, v18, v19
	v_cndmask_b32_e64 v19, 0, 4, vcc
	v_add_lshl_u32 v62, v19, v52, 2
	ds_bpermute_b32 v19, v62, v18
	v_cmp_le_u32_e32 vcc, v63, v2
	v_add_u32_e32 v67, 16, v58
	v_add_u32_e32 v69, 32, v58
	s_waitcnt lgkmcnt(0)
	v_cndmask_b32_e32 v19, 0, v19, vcc
	v_cmp_gt_u32_e32 vcc, 56, v58
	v_add_u32_e32 v18, v18, v19
	v_cndmask_b32_e64 v19, 0, 8, vcc
	v_add_lshl_u32 v64, v19, v52, 2
	ds_bpermute_b32 v19, v64, v18
	v_cmp_le_u32_e32 vcc, v65, v2
	s_waitcnt lgkmcnt(0)
	v_cndmask_b32_e32 v19, 0, v19, vcc
	v_cmp_gt_u32_e32 vcc, 48, v58
	v_add_u32_e32 v18, v18, v19
	v_cndmask_b32_e64 v19, 0, 16, vcc
	v_add_lshl_u32 v66, v19, v52, 2
	ds_bpermute_b32 v19, v66, v18
	v_cmp_le_u32_e32 vcc, v67, v2
	s_waitcnt lgkmcnt(0)
	v_cndmask_b32_e32 v19, 0, v19, vcc
	v_add_u32_e32 v18, v18, v19
	v_mov_b32_e32 v19, 0x80
	v_lshl_or_b32 v68, v52, 2, v19
	ds_bpermute_b32 v19, v68, v18
	v_cmp_le_u32_e32 vcc, v69, v2
	s_waitcnt lgkmcnt(0)
	v_cndmask_b32_e32 v2, 0, v19, vcc
	v_add_u32_e32 v19, v18, v2
	v_mov_b32_e32 v18, 0
	s_branch .LBB700_56
.LBB700_53:                             ;   in Loop: Header=BB700_56 Depth=1
	s_or_b64 exec, exec, s[40:41]
.LBB700_54:                             ;   in Loop: Header=BB700_56 Depth=1
	s_or_b64 exec, exec, s[38:39]
	v_cmp_eq_u16_sdwa s[38:39], v20, v57 src0_sel:BYTE_0 src1_sel:DWORD
	v_and_b32_e32 v23, s39, v22
	v_or_b32_e32 v23, 0x80000000, v23
	ds_bpermute_b32 v70, v59, v19
	v_and_b32_e32 v24, s38, v21
	v_ffbl_b32_e32 v23, v23
	v_add_u32_e32 v23, 32, v23
	v_ffbl_b32_e32 v24, v24
	v_min_u32_e32 v23, v24, v23
	v_cmp_lt_u32_e32 vcc, v58, v23
	s_waitcnt lgkmcnt(0)
	v_cndmask_b32_e32 v24, 0, v70, vcc
	v_add_u32_e32 v19, v24, v19
	ds_bpermute_b32 v24, v60, v19
	v_cmp_le_u32_e32 vcc, v61, v23
	v_subrev_u32_e32 v17, 64, v17
	s_mov_b64 s[38:39], 0
	s_waitcnt lgkmcnt(0)
	v_cndmask_b32_e32 v24, 0, v24, vcc
	v_add_u32_e32 v19, v19, v24
	ds_bpermute_b32 v24, v62, v19
	v_cmp_le_u32_e32 vcc, v63, v23
	s_waitcnt lgkmcnt(0)
	v_cndmask_b32_e32 v24, 0, v24, vcc
	v_add_u32_e32 v19, v19, v24
	ds_bpermute_b32 v24, v64, v19
	v_cmp_le_u32_e32 vcc, v65, v23
	s_waitcnt lgkmcnt(0)
	v_cndmask_b32_e32 v24, 0, v24, vcc
	v_add_u32_e32 v19, v19, v24
	ds_bpermute_b32 v24, v66, v19
	v_cmp_le_u32_e32 vcc, v67, v23
	s_waitcnt lgkmcnt(0)
	v_cndmask_b32_e32 v24, 0, v24, vcc
	v_add_u32_e32 v19, v19, v24
	ds_bpermute_b32 v24, v68, v19
	v_cmp_le_u32_e32 vcc, v69, v23
	s_waitcnt lgkmcnt(0)
	v_cndmask_b32_e32 v23, 0, v24, vcc
	v_add3_u32 v19, v23, v2, v19
.LBB700_55:                             ;   in Loop: Header=BB700_56 Depth=1
	s_and_b64 vcc, exec, s[38:39]
	s_cbranch_vccnz .LBB700_61
.LBB700_56:                             ; =>This Loop Header: Depth=1
                                        ;     Child Loop BB700_59 Depth 2
	v_cmp_ne_u16_sdwa s[38:39], v20, v57 src0_sel:BYTE_0 src1_sel:DWORD
	v_mov_b32_e32 v2, v19
	s_cmp_lg_u64 s[38:39], exec
	s_mov_b64 s[38:39], -1
                                        ; implicit-def: $vgpr19
                                        ; implicit-def: $vgpr20
	s_cbranch_scc1 .LBB700_55
; %bb.57:                               ;   in Loop: Header=BB700_56 Depth=1
	v_lshlrev_b64 v[19:20], 3, v[17:18]
	v_mov_b32_e32 v24, s35
	v_add_co_u32_e32 v23, vcc, s34, v19
	v_addc_co_u32_e32 v24, vcc, v24, v20, vcc
	global_load_dwordx2 v[19:20], v[23:24], off glc
	s_waitcnt vmcnt(0)
	v_cmp_eq_u16_sdwa s[40:41], v20, v18 src0_sel:BYTE_0 src1_sel:DWORD
	s_and_saveexec_b64 s[38:39], s[40:41]
	s_cbranch_execz .LBB700_54
; %bb.58:                               ;   in Loop: Header=BB700_56 Depth=1
	s_mov_b64 s[40:41], 0
.LBB700_59:                             ;   Parent Loop BB700_56 Depth=1
                                        ; =>  This Inner Loop Header: Depth=2
	global_load_dwordx2 v[19:20], v[23:24], off glc
	s_waitcnt vmcnt(0)
	v_cmp_ne_u16_sdwa s[44:45], v20, v18 src0_sel:BYTE_0 src1_sel:DWORD
	s_or_b64 s[40:41], s[44:45], s[40:41]
	s_andn2_b64 exec, exec, s[40:41]
	s_cbranch_execnz .LBB700_59
	s_branch .LBB700_53
.LBB700_60:
                                        ; implicit-def: $vgpr2
                                        ; implicit-def: $vgpr17
	s_cbranch_execnz .LBB700_66
	s_branch .LBB700_75
.LBB700_61:
	s_and_saveexec_b64 s[38:39], s[18:19]
	s_cbranch_execz .LBB700_63
; %bb.62:
	s_add_i32 s40, s43, 64
	s_mov_b32 s41, 0
	s_lshl_b64 s[40:41], s[40:41], 3
	s_add_u32 s40, s34, s40
	v_add_u32_e32 v17, v2, v1
	v_mov_b32_e32 v18, 2
	s_addc_u32 s41, s35, s41
	v_mov_b32_e32 v19, 0
	global_store_dwordx2 v19, v[17:18], s[40:41]
	ds_write_b64 v19, v[1:2] offset:13312
.LBB700_63:
	s_or_b64 exec, exec, s[38:39]
	s_and_b64 exec, exec, s[0:1]
; %bb.64:
	v_mov_b32_e32 v1, 0
	ds_write_b32 v1, v2 offset:12
.LBB700_65:
	s_or_b64 exec, exec, s[20:21]
	v_mov_b32_e32 v1, 0
	s_waitcnt vmcnt(0) lgkmcnt(0)
	s_barrier
	ds_read_b32 v17, v1 offset:12
	s_waitcnt lgkmcnt(0)
	s_barrier
	ds_read_b64 v[1:2], v1 offset:13312
	v_cndmask_b32_e64 v18, v56, v55, s[18:19]
	v_cndmask_b32_e64 v18, v18, 0, s[0:1]
	v_add_u32_e32 v17, v17, v18
	s_branch .LBB700_75
.LBB700_66:
	s_waitcnt lgkmcnt(0)
	v_mov_b32_dpp v1, v54 row_shr:1 row_mask:0xf bank_mask:0xf
	v_cndmask_b32_e64 v1, v1, 0, s[16:17]
	v_add_u32_e32 v1, v1, v54
	s_nop 1
	v_mov_b32_dpp v2, v1 row_shr:2 row_mask:0xf bank_mask:0xf
	v_cndmask_b32_e64 v2, 0, v2, s[14:15]
	v_add_u32_e32 v1, v1, v2
	s_nop 1
	;; [unrolled: 4-line block ×4, first 2 shown]
	v_mov_b32_dpp v2, v1 row_bcast:15 row_mask:0xf bank_mask:0xf
	v_cndmask_b32_e64 v2, v2, 0, s[8:9]
	v_add_u32_e32 v1, v1, v2
	s_nop 1
	v_mov_b32_dpp v2, v1 row_bcast:31 row_mask:0xf bank_mask:0xf
	v_cndmask_b32_e64 v2, 0, v2, s[4:5]
	v_add_u32_e32 v1, v1, v2
	s_and_saveexec_b64 s[4:5], s[6:7]
; %bb.67:
	v_lshlrev_b32_e32 v2, 2, v53
	ds_write_b32 v2, v1
; %bb.68:
	s_or_b64 exec, exec, s[4:5]
	v_cmp_gt_u32_e32 vcc, 4, v0
	s_waitcnt lgkmcnt(0)
	s_barrier
	s_and_saveexec_b64 s[4:5], vcc
	s_cbranch_execz .LBB700_70
; %bb.69:
	ds_read_b32 v2, v25
	v_and_b32_e32 v17, 3, v52
	v_cmp_ne_u32_e32 vcc, 0, v17
	s_waitcnt lgkmcnt(0)
	v_mov_b32_dpp v18, v2 row_shr:1 row_mask:0xf bank_mask:0xf
	v_cndmask_b32_e32 v18, 0, v18, vcc
	v_add_u32_e32 v2, v18, v2
	v_cmp_lt_u32_e32 vcc, 1, v17
	s_nop 0
	v_mov_b32_dpp v18, v2 row_shr:2 row_mask:0xf bank_mask:0xf
	v_cndmask_b32_e32 v17, 0, v18, vcc
	v_add_u32_e32 v2, v2, v17
	ds_write_b32 v25, v2
.LBB700_70:
	s_or_b64 exec, exec, s[4:5]
	v_cmp_lt_u32_e32 vcc, 63, v0
	v_mov_b32_e32 v2, 0
	v_mov_b32_e32 v17, 0
	s_waitcnt lgkmcnt(0)
	s_barrier
	s_and_saveexec_b64 s[4:5], vcc
; %bb.71:
	v_lshl_add_u32 v17, v53, 2, -4
	ds_read_b32 v17, v17
; %bb.72:
	s_or_b64 exec, exec, s[4:5]
	v_subrev_co_u32_e32 v18, vcc, 1, v52
	v_and_b32_e32 v19, 64, v52
	v_cmp_lt_i32_e64 s[4:5], v18, v19
	v_cndmask_b32_e64 v18, v18, v52, s[4:5]
	s_waitcnt lgkmcnt(0)
	v_add_u32_e32 v1, v17, v1
	v_lshlrev_b32_e32 v18, 2, v18
	ds_bpermute_b32 v18, v18, v1
	ds_read_b32 v1, v2 offset:12
	s_and_saveexec_b64 s[4:5], s[0:1]
	s_cbranch_execz .LBB700_74
; %bb.73:
	v_mov_b32_e32 v19, 0
	v_mov_b32_e32 v2, 2
	s_waitcnt lgkmcnt(0)
	global_store_dwordx2 v19, v[1:2], s[34:35] offset:512
.LBB700_74:
	s_or_b64 exec, exec, s[4:5]
	s_waitcnt lgkmcnt(1)
	v_cndmask_b32_e32 v2, v18, v17, vcc
	v_cndmask_b32_e64 v17, v2, 0, s[0:1]
	s_waitcnt vmcnt(0) lgkmcnt(0)
	s_barrier
	v_mov_b32_e32 v2, 0
.LBB700_75:
	v_add_u32_e32 v18, v17, v41
	v_add_u32_e32 v19, v18, v42
	;; [unrolled: 1-line block ×4, first 2 shown]
	s_waitcnt lgkmcnt(0)
	v_add_u32_e32 v27, v1, v27
	v_sub_u32_e32 v17, v17, v2
	v_and_b32_e32 v28, 1, v28
	v_add_u32_e32 v22, v21, v45
	v_sub_u32_e32 v45, v27, v17
	v_cmp_eq_u32_e32 vcc, 1, v28
	v_cndmask_b32_e32 v17, v45, v17, vcc
	v_lshlrev_b32_e32 v17, 2, v17
	ds_write_b32 v17, v15
	v_sub_u32_e32 v15, v18, v2
	v_sub_u32_e32 v17, v27, v15
	v_and_b32_e32 v18, 1, v29
	v_add_u32_e32 v17, 1, v17
	v_cmp_eq_u32_e32 vcc, 1, v18
	v_cndmask_b32_e32 v15, v17, v15, vcc
	v_lshlrev_b32_e32 v15, 2, v15
	ds_write_b32 v15, v16
	v_sub_u32_e32 v15, v19, v2
	v_sub_u32_e32 v16, v27, v15
	v_and_b32_e32 v17, 1, v30
	v_add_u32_e32 v16, 2, v16
	;; [unrolled: 8-line block ×5, first 2 shown]
	v_cmp_eq_u32_e32 vcc, 1, v14
	v_cndmask_b32_e32 v11, v13, v11, vcc
	v_add_u32_e32 v23, v22, v46
	v_lshlrev_b32_e32 v11, 2, v11
	ds_write_b32 v11, v12
	v_sub_u32_e32 v11, v23, v2
	v_sub_u32_e32 v12, v27, v11
	v_and_b32_e32 v13, 1, v34
	v_add_u32_e32 v12, 6, v12
	v_cmp_eq_u32_e32 vcc, 1, v13
	v_cndmask_b32_e32 v11, v12, v11, vcc
	v_add_u32_e32 v24, v23, v47
	v_lshlrev_b32_e32 v11, 2, v11
	ds_write_b32 v11, v9
	v_sub_u32_e32 v9, v24, v2
	v_sub_u32_e32 v11, v27, v9
	v_and_b32_e32 v12, 1, v35
	v_add_u32_e32 v11, 7, v11
	;; [unrolled: 9-line block ×6, first 2 shown]
	v_cmp_eq_u32_e32 vcc, 1, v8
	v_cndmask_b32_e32 v5, v7, v5, vcc
	v_lshlrev_b32_e32 v5, 2, v5
	ds_write_b32 v5, v6
	v_sub_u32_e32 v5, v40, v2
	v_add_u32_e32 v5, v44, v5
	v_sub_u32_e32 v6, v27, v5
	v_add_u32_e32 v6, 12, v6
	v_cndmask_b32_e64 v5, v6, v5, s[36:37]
	v_lshlrev_b32_e32 v5, 2, v5
	ds_write_b32 v5, v26
	s_waitcnt lgkmcnt(0)
	s_barrier
	ds_read2st64_b32 v[15:16], v25 offset1:4
	ds_read2st64_b32 v[13:14], v25 offset0:8 offset1:12
	ds_read2st64_b32 v[11:12], v25 offset0:16 offset1:20
	;; [unrolled: 1-line block ×5, first 2 shown]
	ds_read_b32 v18, v25 offset:12288
	s_and_b64 vcc, exec, s[2:3]
	v_add_co_u32_e64 v17, s[2:3], v3, v2
	v_or_b32_e32 v32, 0x100, v0
	v_or_b32_e32 v30, 0x200, v0
	v_or_b32_e32 v29, 0x300, v0
	v_or_b32_e32 v28, 0x400, v0
	v_or_b32_e32 v27, 0x500, v0
	v_or_b32_e32 v26, 0x600, v0
	v_or_b32_e32 v24, 0x700, v0
	v_or_b32_e32 v23, 0x800, v0
	v_or_b32_e32 v22, 0x900, v0
	v_or_b32_e32 v21, 0xa00, v0
	v_or_b32_e32 v20, 0xb00, v0
	v_or_b32_e32 v19, 0xc00, v0
	v_addc_co_u32_e64 v4, s[2:3], 0, v4, s[2:3]
	s_cbranch_vccnz .LBB700_132
; %bb.76:
	v_mov_b32_e32 v2, s29
	v_subrev_co_u32_e32 v3, vcc, s28, v17
	s_sub_u32 s2, s30, s42
	v_subb_co_u32_e32 v2, vcc, v4, v2, vcc
	s_subb_u32 s3, s31, 0
	v_mov_b32_e32 v25, s3
	v_add_co_u32_e32 v31, vcc, s2, v1
	v_addc_co_u32_e32 v33, vcc, 0, v25, vcc
	v_add_co_u32_e32 v25, vcc, v31, v3
	v_addc_co_u32_e32 v31, vcc, v33, v2, vcc
	v_cmp_ge_u32_e32 vcc, v0, v1
                                        ; implicit-def: $vgpr2_vgpr3
	s_and_saveexec_b64 s[2:3], vcc
	s_xor_b64 s[2:3], exec, s[2:3]
; %bb.77:
	v_not_b32_e32 v2, v0
	v_ashrrev_i32_e32 v3, 31, v2
	v_add_co_u32_e32 v2, vcc, v25, v2
	v_addc_co_u32_e32 v3, vcc, v31, v3, vcc
; %bb.78:
	s_andn2_saveexec_b64 s[2:3], s[2:3]
; %bb.79:
	v_add_co_u32_e32 v2, vcc, v17, v0
	v_addc_co_u32_e32 v3, vcc, 0, v4, vcc
; %bb.80:
	s_or_b64 exec, exec, s[2:3]
	v_lshlrev_b64 v[2:3], 2, v[2:3]
	v_mov_b32_e32 v33, s23
	v_add_co_u32_e32 v2, vcc, s22, v2
	v_addc_co_u32_e32 v3, vcc, v33, v3, vcc
	v_cmp_ge_u32_e32 vcc, v32, v1
	s_waitcnt lgkmcnt(6)
	global_store_dword v[2:3], v15, off
                                        ; implicit-def: $vgpr2_vgpr3
	s_and_saveexec_b64 s[2:3], vcc
	s_xor_b64 s[2:3], exec, s[2:3]
; %bb.81:
	v_xor_b32_e32 v2, 0xfffffeff, v0
	v_ashrrev_i32_e32 v3, 31, v2
	v_add_co_u32_e32 v2, vcc, v25, v2
	v_addc_co_u32_e32 v3, vcc, v31, v3, vcc
; %bb.82:
	s_andn2_saveexec_b64 s[2:3], s[2:3]
; %bb.83:
	v_add_co_u32_e32 v2, vcc, v17, v32
	v_addc_co_u32_e32 v3, vcc, 0, v4, vcc
; %bb.84:
	s_or_b64 exec, exec, s[2:3]
	v_lshlrev_b64 v[2:3], 2, v[2:3]
	v_mov_b32_e32 v33, s23
	v_add_co_u32_e32 v2, vcc, s22, v2
	v_addc_co_u32_e32 v3, vcc, v33, v3, vcc
	v_cmp_ge_u32_e32 vcc, v30, v1
	global_store_dword v[2:3], v16, off
                                        ; implicit-def: $vgpr2_vgpr3
	s_and_saveexec_b64 s[2:3], vcc
	s_xor_b64 s[2:3], exec, s[2:3]
; %bb.85:
	v_xor_b32_e32 v2, 0xfffffdff, v0
	v_ashrrev_i32_e32 v3, 31, v2
	v_add_co_u32_e32 v2, vcc, v25, v2
	v_addc_co_u32_e32 v3, vcc, v31, v3, vcc
; %bb.86:
	s_andn2_saveexec_b64 s[2:3], s[2:3]
; %bb.87:
	v_add_co_u32_e32 v2, vcc, v17, v30
	v_addc_co_u32_e32 v3, vcc, 0, v4, vcc
; %bb.88:
	s_or_b64 exec, exec, s[2:3]
	v_lshlrev_b64 v[2:3], 2, v[2:3]
	v_mov_b32_e32 v33, s23
	v_add_co_u32_e32 v2, vcc, s22, v2
	v_addc_co_u32_e32 v3, vcc, v33, v3, vcc
	v_cmp_ge_u32_e32 vcc, v29, v1
	s_waitcnt lgkmcnt(5)
	global_store_dword v[2:3], v13, off
                                        ; implicit-def: $vgpr2_vgpr3
	s_and_saveexec_b64 s[2:3], vcc
	s_xor_b64 s[2:3], exec, s[2:3]
; %bb.89:
	v_xor_b32_e32 v2, 0xfffffcff, v0
	v_ashrrev_i32_e32 v3, 31, v2
	v_add_co_u32_e32 v2, vcc, v25, v2
	v_addc_co_u32_e32 v3, vcc, v31, v3, vcc
; %bb.90:
	s_andn2_saveexec_b64 s[2:3], s[2:3]
; %bb.91:
	v_add_co_u32_e32 v2, vcc, v17, v29
	v_addc_co_u32_e32 v3, vcc, 0, v4, vcc
; %bb.92:
	s_or_b64 exec, exec, s[2:3]
	v_lshlrev_b64 v[2:3], 2, v[2:3]
	v_mov_b32_e32 v33, s23
	v_add_co_u32_e32 v2, vcc, s22, v2
	v_addc_co_u32_e32 v3, vcc, v33, v3, vcc
	v_cmp_ge_u32_e32 vcc, v28, v1
	global_store_dword v[2:3], v14, off
                                        ; implicit-def: $vgpr2_vgpr3
	s_and_saveexec_b64 s[2:3], vcc
	s_xor_b64 s[2:3], exec, s[2:3]
; %bb.93:
	v_xor_b32_e32 v2, 0xfffffbff, v0
	v_ashrrev_i32_e32 v3, 31, v2
	v_add_co_u32_e32 v2, vcc, v25, v2
	v_addc_co_u32_e32 v3, vcc, v31, v3, vcc
; %bb.94:
	s_andn2_saveexec_b64 s[2:3], s[2:3]
; %bb.95:
	v_add_co_u32_e32 v2, vcc, v17, v28
	v_addc_co_u32_e32 v3, vcc, 0, v4, vcc
; %bb.96:
	s_or_b64 exec, exec, s[2:3]
	v_lshlrev_b64 v[2:3], 2, v[2:3]
	v_mov_b32_e32 v33, s23
	v_add_co_u32_e32 v2, vcc, s22, v2
	v_addc_co_u32_e32 v3, vcc, v33, v3, vcc
	v_cmp_ge_u32_e32 vcc, v27, v1
	s_waitcnt lgkmcnt(4)
	global_store_dword v[2:3], v11, off
                                        ; implicit-def: $vgpr2_vgpr3
	s_and_saveexec_b64 s[2:3], vcc
	s_xor_b64 s[2:3], exec, s[2:3]
; %bb.97:
	v_xor_b32_e32 v2, 0xfffffaff, v0
	v_ashrrev_i32_e32 v3, 31, v2
	v_add_co_u32_e32 v2, vcc, v25, v2
	v_addc_co_u32_e32 v3, vcc, v31, v3, vcc
; %bb.98:
	s_andn2_saveexec_b64 s[2:3], s[2:3]
; %bb.99:
	v_add_co_u32_e32 v2, vcc, v17, v27
	v_addc_co_u32_e32 v3, vcc, 0, v4, vcc
; %bb.100:
	s_or_b64 exec, exec, s[2:3]
	v_lshlrev_b64 v[2:3], 2, v[2:3]
	v_mov_b32_e32 v33, s23
	v_add_co_u32_e32 v2, vcc, s22, v2
	v_addc_co_u32_e32 v3, vcc, v33, v3, vcc
	v_cmp_ge_u32_e32 vcc, v26, v1
	global_store_dword v[2:3], v12, off
                                        ; implicit-def: $vgpr2_vgpr3
	s_and_saveexec_b64 s[2:3], vcc
	s_xor_b64 s[2:3], exec, s[2:3]
; %bb.101:
	v_xor_b32_e32 v2, 0xfffff9ff, v0
	v_ashrrev_i32_e32 v3, 31, v2
	v_add_co_u32_e32 v2, vcc, v25, v2
	v_addc_co_u32_e32 v3, vcc, v31, v3, vcc
; %bb.102:
	s_andn2_saveexec_b64 s[2:3], s[2:3]
; %bb.103:
	v_add_co_u32_e32 v2, vcc, v17, v26
	v_addc_co_u32_e32 v3, vcc, 0, v4, vcc
; %bb.104:
	s_or_b64 exec, exec, s[2:3]
	v_lshlrev_b64 v[2:3], 2, v[2:3]
	v_mov_b32_e32 v33, s23
	v_add_co_u32_e32 v2, vcc, s22, v2
	v_addc_co_u32_e32 v3, vcc, v33, v3, vcc
	v_cmp_ge_u32_e32 vcc, v24, v1
	s_waitcnt lgkmcnt(3)
	global_store_dword v[2:3], v9, off
                                        ; implicit-def: $vgpr2_vgpr3
	s_and_saveexec_b64 s[2:3], vcc
	s_xor_b64 s[2:3], exec, s[2:3]
; %bb.105:
	v_xor_b32_e32 v2, 0xfffff8ff, v0
	v_ashrrev_i32_e32 v3, 31, v2
	v_add_co_u32_e32 v2, vcc, v25, v2
	v_addc_co_u32_e32 v3, vcc, v31, v3, vcc
; %bb.106:
	s_andn2_saveexec_b64 s[2:3], s[2:3]
; %bb.107:
	v_add_co_u32_e32 v2, vcc, v17, v24
	v_addc_co_u32_e32 v3, vcc, 0, v4, vcc
; %bb.108:
	s_or_b64 exec, exec, s[2:3]
	v_lshlrev_b64 v[2:3], 2, v[2:3]
	v_mov_b32_e32 v33, s23
	v_add_co_u32_e32 v2, vcc, s22, v2
	v_addc_co_u32_e32 v3, vcc, v33, v3, vcc
	v_cmp_ge_u32_e32 vcc, v23, v1
	global_store_dword v[2:3], v10, off
                                        ; implicit-def: $vgpr2_vgpr3
	s_and_saveexec_b64 s[2:3], vcc
	s_xor_b64 s[2:3], exec, s[2:3]
; %bb.109:
	v_xor_b32_e32 v2, 0xfffff7ff, v0
	v_ashrrev_i32_e32 v3, 31, v2
	v_add_co_u32_e32 v2, vcc, v25, v2
	v_addc_co_u32_e32 v3, vcc, v31, v3, vcc
; %bb.110:
	s_andn2_saveexec_b64 s[2:3], s[2:3]
; %bb.111:
	v_add_co_u32_e32 v2, vcc, v17, v23
	v_addc_co_u32_e32 v3, vcc, 0, v4, vcc
; %bb.112:
	s_or_b64 exec, exec, s[2:3]
	v_lshlrev_b64 v[2:3], 2, v[2:3]
	v_mov_b32_e32 v33, s23
	v_add_co_u32_e32 v2, vcc, s22, v2
	v_addc_co_u32_e32 v3, vcc, v33, v3, vcc
	v_cmp_ge_u32_e32 vcc, v22, v1
	s_waitcnt lgkmcnt(2)
	global_store_dword v[2:3], v7, off
                                        ; implicit-def: $vgpr2_vgpr3
	s_and_saveexec_b64 s[2:3], vcc
	s_xor_b64 s[2:3], exec, s[2:3]
; %bb.113:
	v_xor_b32_e32 v2, 0xfffff6ff, v0
	v_ashrrev_i32_e32 v3, 31, v2
	v_add_co_u32_e32 v2, vcc, v25, v2
	v_addc_co_u32_e32 v3, vcc, v31, v3, vcc
; %bb.114:
	s_andn2_saveexec_b64 s[2:3], s[2:3]
; %bb.115:
	v_add_co_u32_e32 v2, vcc, v17, v22
	v_addc_co_u32_e32 v3, vcc, 0, v4, vcc
; %bb.116:
	s_or_b64 exec, exec, s[2:3]
	v_lshlrev_b64 v[2:3], 2, v[2:3]
	v_mov_b32_e32 v33, s23
	v_add_co_u32_e32 v2, vcc, s22, v2
	v_addc_co_u32_e32 v3, vcc, v33, v3, vcc
	v_cmp_ge_u32_e32 vcc, v21, v1
	global_store_dword v[2:3], v8, off
                                        ; implicit-def: $vgpr2_vgpr3
	s_and_saveexec_b64 s[2:3], vcc
	s_xor_b64 s[2:3], exec, s[2:3]
; %bb.117:
	v_xor_b32_e32 v2, 0xfffff5ff, v0
	v_ashrrev_i32_e32 v3, 31, v2
	v_add_co_u32_e32 v2, vcc, v25, v2
	v_addc_co_u32_e32 v3, vcc, v31, v3, vcc
; %bb.118:
	s_andn2_saveexec_b64 s[2:3], s[2:3]
; %bb.119:
	v_add_co_u32_e32 v2, vcc, v17, v21
	v_addc_co_u32_e32 v3, vcc, 0, v4, vcc
; %bb.120:
	s_or_b64 exec, exec, s[2:3]
	v_lshlrev_b64 v[2:3], 2, v[2:3]
	v_mov_b32_e32 v33, s23
	v_add_co_u32_e32 v2, vcc, s22, v2
	v_addc_co_u32_e32 v3, vcc, v33, v3, vcc
	v_cmp_ge_u32_e32 vcc, v20, v1
	s_waitcnt lgkmcnt(1)
	global_store_dword v[2:3], v5, off
                                        ; implicit-def: $vgpr2_vgpr3
	s_and_saveexec_b64 s[2:3], vcc
	s_xor_b64 s[2:3], exec, s[2:3]
; %bb.121:
	v_xor_b32_e32 v2, 0xfffff4ff, v0
	v_ashrrev_i32_e32 v3, 31, v2
	v_add_co_u32_e32 v2, vcc, v25, v2
	v_addc_co_u32_e32 v3, vcc, v31, v3, vcc
; %bb.122:
	s_andn2_saveexec_b64 s[2:3], s[2:3]
; %bb.123:
	v_add_co_u32_e32 v2, vcc, v17, v20
	v_addc_co_u32_e32 v3, vcc, 0, v4, vcc
; %bb.124:
	s_or_b64 exec, exec, s[2:3]
	v_lshlrev_b64 v[2:3], 2, v[2:3]
	v_mov_b32_e32 v33, s23
	v_add_co_u32_e32 v2, vcc, s22, v2
	v_addc_co_u32_e32 v3, vcc, v33, v3, vcc
	v_cmp_ge_u32_e32 vcc, v19, v1
	global_store_dword v[2:3], v6, off
                                        ; implicit-def: $vgpr2_vgpr3
	s_and_saveexec_b64 s[2:3], vcc
	s_xor_b64 s[2:3], exec, s[2:3]
; %bb.125:
	v_xor_b32_e32 v2, 0xfffff3ff, v0
	v_ashrrev_i32_e32 v3, 31, v2
	v_add_co_u32_e32 v2, vcc, v25, v2
	v_addc_co_u32_e32 v3, vcc, v31, v3, vcc
; %bb.126:
	s_andn2_saveexec_b64 s[2:3], s[2:3]
; %bb.127:
	v_add_co_u32_e32 v2, vcc, v17, v19
	v_addc_co_u32_e32 v3, vcc, 0, v4, vcc
; %bb.128:
	s_or_b64 exec, exec, s[2:3]
	s_mov_b64 s[2:3], -1
.LBB700_129:
	s_and_saveexec_b64 s[4:5], s[2:3]
	s_cbranch_execz .LBB700_212
.LBB700_130:
	v_lshlrev_b64 v[2:3], 2, v[2:3]
	v_mov_b32_e32 v0, s23
	v_add_co_u32_e32 v2, vcc, s22, v2
	v_addc_co_u32_e32 v3, vcc, v0, v3, vcc
	s_waitcnt lgkmcnt(0)
	global_store_dword v[2:3], v18, off
	s_or_b64 exec, exec, s[4:5]
	s_and_b64 s[0:1], s[0:1], s[26:27]
	s_and_saveexec_b64 s[2:3], s[0:1]
	s_cbranch_execnz .LBB700_213
.LBB700_131:
	s_endpgm
.LBB700_132:
	s_mov_b64 s[2:3], 0
                                        ; implicit-def: $vgpr2_vgpr3
	s_cbranch_execz .LBB700_129
; %bb.133:
	s_add_u32 s4, s28, s42
	s_addc_u32 s5, s29, 0
	s_sub_u32 s4, s30, s4
	s_subb_u32 s5, s31, s5
	v_mov_b32_e32 v2, s5
	v_add_co_u32_e32 v3, vcc, s4, v1
	v_addc_co_u32_e32 v2, vcc, 0, v2, vcc
	v_add_co_u32_e32 v25, vcc, v3, v17
	v_addc_co_u32_e32 v31, vcc, v2, v4, vcc
	v_cmp_gt_u32_e32 vcc, s33, v0
	s_and_saveexec_b64 s[4:5], vcc
	s_cbranch_execz .LBB700_169
; %bb.134:
	v_cmp_ge_u32_e32 vcc, v0, v1
                                        ; implicit-def: $vgpr2_vgpr3
	s_and_saveexec_b64 s[6:7], vcc
	s_xor_b64 s[6:7], exec, s[6:7]
; %bb.135:
	v_not_b32_e32 v2, v0
	v_ashrrev_i32_e32 v3, 31, v2
	v_add_co_u32_e32 v2, vcc, v25, v2
	v_addc_co_u32_e32 v3, vcc, v31, v3, vcc
; %bb.136:
	s_andn2_saveexec_b64 s[6:7], s[6:7]
; %bb.137:
	v_add_co_u32_e32 v2, vcc, v17, v0
	v_addc_co_u32_e32 v3, vcc, 0, v4, vcc
; %bb.138:
	s_or_b64 exec, exec, s[6:7]
	v_lshlrev_b64 v[2:3], 2, v[2:3]
	v_mov_b32_e32 v33, s23
	v_add_co_u32_e32 v2, vcc, s22, v2
	v_addc_co_u32_e32 v3, vcc, v33, v3, vcc
	s_waitcnt lgkmcnt(6)
	global_store_dword v[2:3], v15, off
	s_or_b64 exec, exec, s[4:5]
	v_cmp_gt_u32_e32 vcc, s33, v32
	s_and_saveexec_b64 s[4:5], vcc
	s_cbranch_execnz .LBB700_170
.LBB700_139:
	s_or_b64 exec, exec, s[4:5]
	v_cmp_gt_u32_e32 vcc, s33, v30
	s_and_saveexec_b64 s[4:5], vcc
	s_cbranch_execz .LBB700_175
.LBB700_140:
	v_cmp_ge_u32_e32 vcc, v30, v1
                                        ; implicit-def: $vgpr2_vgpr3
	s_and_saveexec_b64 s[6:7], vcc
	s_xor_b64 s[6:7], exec, s[6:7]
; %bb.141:
	v_xor_b32_e32 v2, 0xfffffdff, v0
	v_ashrrev_i32_e32 v3, 31, v2
	v_add_co_u32_e32 v2, vcc, v25, v2
	v_addc_co_u32_e32 v3, vcc, v31, v3, vcc
                                        ; implicit-def: $vgpr30
; %bb.142:
	s_andn2_saveexec_b64 s[6:7], s[6:7]
; %bb.143:
	v_add_co_u32_e32 v2, vcc, v17, v30
	v_addc_co_u32_e32 v3, vcc, 0, v4, vcc
; %bb.144:
	s_or_b64 exec, exec, s[6:7]
	v_lshlrev_b64 v[2:3], 2, v[2:3]
	s_waitcnt lgkmcnt(6)
	v_mov_b32_e32 v15, s23
	v_add_co_u32_e32 v2, vcc, s22, v2
	v_addc_co_u32_e32 v3, vcc, v15, v3, vcc
	s_waitcnt lgkmcnt(5)
	global_store_dword v[2:3], v13, off
	s_or_b64 exec, exec, s[4:5]
	v_cmp_gt_u32_e32 vcc, s33, v29
	s_and_saveexec_b64 s[4:5], vcc
	s_cbranch_execnz .LBB700_176
.LBB700_145:
	s_or_b64 exec, exec, s[4:5]
	v_cmp_gt_u32_e32 vcc, s33, v28
	s_and_saveexec_b64 s[4:5], vcc
	s_cbranch_execz .LBB700_181
.LBB700_146:
	v_cmp_ge_u32_e32 vcc, v28, v1
                                        ; implicit-def: $vgpr2_vgpr3
	s_and_saveexec_b64 s[6:7], vcc
	s_xor_b64 s[6:7], exec, s[6:7]
; %bb.147:
	v_xor_b32_e32 v2, 0xfffffbff, v0
	v_ashrrev_i32_e32 v3, 31, v2
	v_add_co_u32_e32 v2, vcc, v25, v2
	v_addc_co_u32_e32 v3, vcc, v31, v3, vcc
                                        ; implicit-def: $vgpr28
; %bb.148:
	s_andn2_saveexec_b64 s[6:7], s[6:7]
; %bb.149:
	v_add_co_u32_e32 v2, vcc, v17, v28
	v_addc_co_u32_e32 v3, vcc, 0, v4, vcc
; %bb.150:
	s_or_b64 exec, exec, s[6:7]
	v_lshlrev_b64 v[2:3], 2, v[2:3]
	s_waitcnt lgkmcnt(5)
	v_mov_b32_e32 v13, s23
	v_add_co_u32_e32 v2, vcc, s22, v2
	v_addc_co_u32_e32 v3, vcc, v13, v3, vcc
	s_waitcnt lgkmcnt(4)
	global_store_dword v[2:3], v11, off
	s_or_b64 exec, exec, s[4:5]
	v_cmp_gt_u32_e32 vcc, s33, v27
	s_and_saveexec_b64 s[4:5], vcc
	s_cbranch_execnz .LBB700_182
.LBB700_151:
	s_or_b64 exec, exec, s[4:5]
	v_cmp_gt_u32_e32 vcc, s33, v26
	s_and_saveexec_b64 s[4:5], vcc
	s_cbranch_execz .LBB700_187
.LBB700_152:
	v_cmp_ge_u32_e32 vcc, v26, v1
                                        ; implicit-def: $vgpr2_vgpr3
	s_and_saveexec_b64 s[6:7], vcc
	s_xor_b64 s[6:7], exec, s[6:7]
; %bb.153:
	v_xor_b32_e32 v2, 0xfffff9ff, v0
	v_ashrrev_i32_e32 v3, 31, v2
	v_add_co_u32_e32 v2, vcc, v25, v2
	v_addc_co_u32_e32 v3, vcc, v31, v3, vcc
                                        ; implicit-def: $vgpr26
; %bb.154:
	s_andn2_saveexec_b64 s[6:7], s[6:7]
; %bb.155:
	v_add_co_u32_e32 v2, vcc, v17, v26
	v_addc_co_u32_e32 v3, vcc, 0, v4, vcc
; %bb.156:
	s_or_b64 exec, exec, s[6:7]
	v_lshlrev_b64 v[2:3], 2, v[2:3]
	s_waitcnt lgkmcnt(4)
	v_mov_b32_e32 v11, s23
	v_add_co_u32_e32 v2, vcc, s22, v2
	v_addc_co_u32_e32 v3, vcc, v11, v3, vcc
	s_waitcnt lgkmcnt(3)
	global_store_dword v[2:3], v9, off
	s_or_b64 exec, exec, s[4:5]
	v_cmp_gt_u32_e32 vcc, s33, v24
	s_and_saveexec_b64 s[4:5], vcc
	s_cbranch_execnz .LBB700_188
.LBB700_157:
	s_or_b64 exec, exec, s[4:5]
	v_cmp_gt_u32_e32 vcc, s33, v23
	s_and_saveexec_b64 s[4:5], vcc
	s_cbranch_execz .LBB700_193
.LBB700_158:
	v_cmp_ge_u32_e32 vcc, v23, v1
                                        ; implicit-def: $vgpr2_vgpr3
	s_and_saveexec_b64 s[6:7], vcc
	s_xor_b64 s[6:7], exec, s[6:7]
; %bb.159:
	v_xor_b32_e32 v2, 0xfffff7ff, v0
	v_ashrrev_i32_e32 v3, 31, v2
	v_add_co_u32_e32 v2, vcc, v25, v2
	v_addc_co_u32_e32 v3, vcc, v31, v3, vcc
                                        ; implicit-def: $vgpr23
; %bb.160:
	s_andn2_saveexec_b64 s[6:7], s[6:7]
; %bb.161:
	v_add_co_u32_e32 v2, vcc, v17, v23
	v_addc_co_u32_e32 v3, vcc, 0, v4, vcc
; %bb.162:
	s_or_b64 exec, exec, s[6:7]
	v_lshlrev_b64 v[2:3], 2, v[2:3]
	s_waitcnt lgkmcnt(3)
	v_mov_b32_e32 v9, s23
	v_add_co_u32_e32 v2, vcc, s22, v2
	v_addc_co_u32_e32 v3, vcc, v9, v3, vcc
	s_waitcnt lgkmcnt(2)
	global_store_dword v[2:3], v7, off
	s_or_b64 exec, exec, s[4:5]
	v_cmp_gt_u32_e32 vcc, s33, v22
	s_and_saveexec_b64 s[4:5], vcc
	s_cbranch_execnz .LBB700_194
.LBB700_163:
	s_or_b64 exec, exec, s[4:5]
	v_cmp_gt_u32_e32 vcc, s33, v21
	s_and_saveexec_b64 s[4:5], vcc
	s_cbranch_execz .LBB700_199
.LBB700_164:
	v_cmp_ge_u32_e32 vcc, v21, v1
                                        ; implicit-def: $vgpr2_vgpr3
	s_and_saveexec_b64 s[6:7], vcc
	s_xor_b64 s[6:7], exec, s[6:7]
; %bb.165:
	v_xor_b32_e32 v2, 0xfffff5ff, v0
	v_ashrrev_i32_e32 v3, 31, v2
	v_add_co_u32_e32 v2, vcc, v25, v2
	v_addc_co_u32_e32 v3, vcc, v31, v3, vcc
                                        ; implicit-def: $vgpr21
; %bb.166:
	s_andn2_saveexec_b64 s[6:7], s[6:7]
; %bb.167:
	v_add_co_u32_e32 v2, vcc, v17, v21
	v_addc_co_u32_e32 v3, vcc, 0, v4, vcc
; %bb.168:
	s_or_b64 exec, exec, s[6:7]
	v_lshlrev_b64 v[2:3], 2, v[2:3]
	s_waitcnt lgkmcnt(2)
	v_mov_b32_e32 v7, s23
	v_add_co_u32_e32 v2, vcc, s22, v2
	v_addc_co_u32_e32 v3, vcc, v7, v3, vcc
	s_waitcnt lgkmcnt(1)
	global_store_dword v[2:3], v5, off
	s_or_b64 exec, exec, s[4:5]
	v_cmp_gt_u32_e32 vcc, s33, v20
	s_and_saveexec_b64 s[4:5], vcc
	s_cbranch_execz .LBB700_205
	s_branch .LBB700_200
.LBB700_169:
	s_or_b64 exec, exec, s[4:5]
	v_cmp_gt_u32_e32 vcc, s33, v32
	s_and_saveexec_b64 s[4:5], vcc
	s_cbranch_execz .LBB700_139
.LBB700_170:
	v_cmp_ge_u32_e32 vcc, v32, v1
                                        ; implicit-def: $vgpr2_vgpr3
	s_and_saveexec_b64 s[6:7], vcc
	s_xor_b64 s[6:7], exec, s[6:7]
; %bb.171:
	v_xor_b32_e32 v2, 0xfffffeff, v0
	v_ashrrev_i32_e32 v3, 31, v2
	v_add_co_u32_e32 v2, vcc, v25, v2
	v_addc_co_u32_e32 v3, vcc, v31, v3, vcc
                                        ; implicit-def: $vgpr32
; %bb.172:
	s_andn2_saveexec_b64 s[6:7], s[6:7]
; %bb.173:
	v_add_co_u32_e32 v2, vcc, v17, v32
	v_addc_co_u32_e32 v3, vcc, 0, v4, vcc
; %bb.174:
	s_or_b64 exec, exec, s[6:7]
	v_lshlrev_b64 v[2:3], 2, v[2:3]
	s_waitcnt lgkmcnt(6)
	v_mov_b32_e32 v15, s23
	v_add_co_u32_e32 v2, vcc, s22, v2
	v_addc_co_u32_e32 v3, vcc, v15, v3, vcc
	global_store_dword v[2:3], v16, off
	s_or_b64 exec, exec, s[4:5]
	v_cmp_gt_u32_e32 vcc, s33, v30
	s_and_saveexec_b64 s[4:5], vcc
	s_cbranch_execnz .LBB700_140
.LBB700_175:
	s_or_b64 exec, exec, s[4:5]
	v_cmp_gt_u32_e32 vcc, s33, v29
	s_and_saveexec_b64 s[4:5], vcc
	s_cbranch_execz .LBB700_145
.LBB700_176:
	v_cmp_ge_u32_e32 vcc, v29, v1
                                        ; implicit-def: $vgpr2_vgpr3
	s_and_saveexec_b64 s[6:7], vcc
	s_xor_b64 s[6:7], exec, s[6:7]
; %bb.177:
	v_xor_b32_e32 v2, 0xfffffcff, v0
	v_ashrrev_i32_e32 v3, 31, v2
	v_add_co_u32_e32 v2, vcc, v25, v2
	v_addc_co_u32_e32 v3, vcc, v31, v3, vcc
                                        ; implicit-def: $vgpr29
; %bb.178:
	s_andn2_saveexec_b64 s[6:7], s[6:7]
; %bb.179:
	v_add_co_u32_e32 v2, vcc, v17, v29
	v_addc_co_u32_e32 v3, vcc, 0, v4, vcc
; %bb.180:
	s_or_b64 exec, exec, s[6:7]
	v_lshlrev_b64 v[2:3], 2, v[2:3]
	s_waitcnt lgkmcnt(5)
	v_mov_b32_e32 v13, s23
	v_add_co_u32_e32 v2, vcc, s22, v2
	v_addc_co_u32_e32 v3, vcc, v13, v3, vcc
	global_store_dword v[2:3], v14, off
	s_or_b64 exec, exec, s[4:5]
	v_cmp_gt_u32_e32 vcc, s33, v28
	s_and_saveexec_b64 s[4:5], vcc
	s_cbranch_execnz .LBB700_146
.LBB700_181:
	s_or_b64 exec, exec, s[4:5]
	v_cmp_gt_u32_e32 vcc, s33, v27
	s_and_saveexec_b64 s[4:5], vcc
	s_cbranch_execz .LBB700_151
.LBB700_182:
	v_cmp_ge_u32_e32 vcc, v27, v1
                                        ; implicit-def: $vgpr2_vgpr3
	s_and_saveexec_b64 s[6:7], vcc
	s_xor_b64 s[6:7], exec, s[6:7]
; %bb.183:
	v_xor_b32_e32 v2, 0xfffffaff, v0
	v_ashrrev_i32_e32 v3, 31, v2
	v_add_co_u32_e32 v2, vcc, v25, v2
	v_addc_co_u32_e32 v3, vcc, v31, v3, vcc
                                        ; implicit-def: $vgpr27
; %bb.184:
	s_andn2_saveexec_b64 s[6:7], s[6:7]
; %bb.185:
	v_add_co_u32_e32 v2, vcc, v17, v27
	v_addc_co_u32_e32 v3, vcc, 0, v4, vcc
; %bb.186:
	s_or_b64 exec, exec, s[6:7]
	v_lshlrev_b64 v[2:3], 2, v[2:3]
	s_waitcnt lgkmcnt(4)
	v_mov_b32_e32 v11, s23
	v_add_co_u32_e32 v2, vcc, s22, v2
	v_addc_co_u32_e32 v3, vcc, v11, v3, vcc
	global_store_dword v[2:3], v12, off
	s_or_b64 exec, exec, s[4:5]
	v_cmp_gt_u32_e32 vcc, s33, v26
	s_and_saveexec_b64 s[4:5], vcc
	s_cbranch_execnz .LBB700_152
.LBB700_187:
	s_or_b64 exec, exec, s[4:5]
	v_cmp_gt_u32_e32 vcc, s33, v24
	s_and_saveexec_b64 s[4:5], vcc
	s_cbranch_execz .LBB700_157
.LBB700_188:
	v_cmp_ge_u32_e32 vcc, v24, v1
                                        ; implicit-def: $vgpr2_vgpr3
	s_and_saveexec_b64 s[6:7], vcc
	s_xor_b64 s[6:7], exec, s[6:7]
; %bb.189:
	v_xor_b32_e32 v2, 0xfffff8ff, v0
	v_ashrrev_i32_e32 v3, 31, v2
	v_add_co_u32_e32 v2, vcc, v25, v2
	v_addc_co_u32_e32 v3, vcc, v31, v3, vcc
                                        ; implicit-def: $vgpr24
; %bb.190:
	s_andn2_saveexec_b64 s[6:7], s[6:7]
; %bb.191:
	v_add_co_u32_e32 v2, vcc, v17, v24
	v_addc_co_u32_e32 v3, vcc, 0, v4, vcc
; %bb.192:
	s_or_b64 exec, exec, s[6:7]
	v_lshlrev_b64 v[2:3], 2, v[2:3]
	s_waitcnt lgkmcnt(3)
	v_mov_b32_e32 v9, s23
	v_add_co_u32_e32 v2, vcc, s22, v2
	v_addc_co_u32_e32 v3, vcc, v9, v3, vcc
	global_store_dword v[2:3], v10, off
	s_or_b64 exec, exec, s[4:5]
	v_cmp_gt_u32_e32 vcc, s33, v23
	s_and_saveexec_b64 s[4:5], vcc
	s_cbranch_execnz .LBB700_158
.LBB700_193:
	s_or_b64 exec, exec, s[4:5]
	v_cmp_gt_u32_e32 vcc, s33, v22
	s_and_saveexec_b64 s[4:5], vcc
	s_cbranch_execz .LBB700_163
.LBB700_194:
	v_cmp_ge_u32_e32 vcc, v22, v1
                                        ; implicit-def: $vgpr2_vgpr3
	s_and_saveexec_b64 s[6:7], vcc
	s_xor_b64 s[6:7], exec, s[6:7]
; %bb.195:
	v_xor_b32_e32 v2, 0xfffff6ff, v0
	v_ashrrev_i32_e32 v3, 31, v2
	v_add_co_u32_e32 v2, vcc, v25, v2
	v_addc_co_u32_e32 v3, vcc, v31, v3, vcc
                                        ; implicit-def: $vgpr22
; %bb.196:
	s_andn2_saveexec_b64 s[6:7], s[6:7]
; %bb.197:
	v_add_co_u32_e32 v2, vcc, v17, v22
	v_addc_co_u32_e32 v3, vcc, 0, v4, vcc
; %bb.198:
	s_or_b64 exec, exec, s[6:7]
	v_lshlrev_b64 v[2:3], 2, v[2:3]
	s_waitcnt lgkmcnt(2)
	v_mov_b32_e32 v7, s23
	v_add_co_u32_e32 v2, vcc, s22, v2
	v_addc_co_u32_e32 v3, vcc, v7, v3, vcc
	global_store_dword v[2:3], v8, off
	s_or_b64 exec, exec, s[4:5]
	v_cmp_gt_u32_e32 vcc, s33, v21
	s_and_saveexec_b64 s[4:5], vcc
	s_cbranch_execnz .LBB700_164
.LBB700_199:
	s_or_b64 exec, exec, s[4:5]
	v_cmp_gt_u32_e32 vcc, s33, v20
	s_and_saveexec_b64 s[4:5], vcc
	s_cbranch_execz .LBB700_205
.LBB700_200:
	v_cmp_ge_u32_e32 vcc, v20, v1
                                        ; implicit-def: $vgpr2_vgpr3
	s_and_saveexec_b64 s[6:7], vcc
	s_xor_b64 s[6:7], exec, s[6:7]
; %bb.201:
	v_xor_b32_e32 v2, 0xfffff4ff, v0
	v_ashrrev_i32_e32 v3, 31, v2
	v_add_co_u32_e32 v2, vcc, v25, v2
	v_addc_co_u32_e32 v3, vcc, v31, v3, vcc
                                        ; implicit-def: $vgpr20
; %bb.202:
	s_andn2_saveexec_b64 s[6:7], s[6:7]
; %bb.203:
	v_add_co_u32_e32 v2, vcc, v17, v20
	v_addc_co_u32_e32 v3, vcc, 0, v4, vcc
; %bb.204:
	s_or_b64 exec, exec, s[6:7]
	v_lshlrev_b64 v[2:3], 2, v[2:3]
	s_waitcnt lgkmcnt(1)
	v_mov_b32_e32 v5, s23
	v_add_co_u32_e32 v2, vcc, s22, v2
	v_addc_co_u32_e32 v3, vcc, v5, v3, vcc
	global_store_dword v[2:3], v6, off
.LBB700_205:
	s_or_b64 exec, exec, s[4:5]
	v_cmp_gt_u32_e32 vcc, s33, v19
                                        ; implicit-def: $vgpr2_vgpr3
	s_and_saveexec_b64 s[4:5], vcc
	s_cbranch_execz .LBB700_211
; %bb.206:
	v_cmp_ge_u32_e32 vcc, v19, v1
                                        ; implicit-def: $vgpr2_vgpr3
	s_and_saveexec_b64 s[6:7], vcc
	s_xor_b64 s[6:7], exec, s[6:7]
; %bb.207:
	v_xor_b32_e32 v0, 0xfffff3ff, v0
	v_ashrrev_i32_e32 v3, 31, v0
	v_add_co_u32_e32 v2, vcc, v25, v0
	v_addc_co_u32_e32 v3, vcc, v31, v3, vcc
                                        ; implicit-def: $vgpr19
; %bb.208:
	s_andn2_saveexec_b64 s[6:7], s[6:7]
; %bb.209:
	v_add_co_u32_e32 v2, vcc, v17, v19
	v_addc_co_u32_e32 v3, vcc, 0, v4, vcc
; %bb.210:
	s_or_b64 exec, exec, s[6:7]
	s_or_b64 s[2:3], s[2:3], exec
.LBB700_211:
	s_or_b64 exec, exec, s[4:5]
	s_and_saveexec_b64 s[4:5], s[2:3]
	s_cbranch_execnz .LBB700_130
.LBB700_212:
	s_or_b64 exec, exec, s[4:5]
	s_and_b64 s[0:1], s[0:1], s[26:27]
	s_and_saveexec_b64 s[2:3], s[0:1]
	s_cbranch_execz .LBB700_131
.LBB700_213:
	v_add_co_u32_e32 v0, vcc, v17, v1
	v_mov_b32_e32 v2, 0
	v_addc_co_u32_e32 v1, vcc, 0, v4, vcc
	global_store_dwordx2 v2, v[0:1], s[24:25]
	s_endpgm
	.section	.rodata,"a",@progbits
	.p2align	6, 0x0
	.amdhsa_kernel _ZN7rocprim17ROCPRIM_400000_NS6detail17trampoline_kernelINS0_13select_configILj256ELj13ELNS0_17block_load_methodE3ELS4_3ELS4_3ELNS0_20block_scan_algorithmE0ELj4294967295EEENS1_25partition_config_selectorILNS1_17partition_subalgoE3EjNS0_10empty_typeEbEEZZNS1_14partition_implILS8_3ELb0ES6_jNS0_17counting_iteratorIjlEEPS9_SE_NS0_5tupleIJPjSE_EEENSF_IJSE_SE_EEES9_SG_JZNS1_25segmented_radix_sort_implINS0_14default_configELb1EPKlPlSM_SN_N2at6native12_GLOBAL__N_18offset_tEEE10hipError_tPvRmT1_PNSt15iterator_traitsISV_E10value_typeET2_T3_PNSW_IS11_E10value_typeET4_jRbjT5_S17_jjP12ihipStream_tbEUljE_EEESS_ST_SU_S11_S15_S17_T6_T7_T9_mT8_S19_bDpT10_ENKUlT_T0_E_clISt17integral_constantIbLb0EES1L_IbLb1EEEEDaS1H_S1I_EUlS1H_E_NS1_11comp_targetILNS1_3genE2ELNS1_11target_archE906ELNS1_3gpuE6ELNS1_3repE0EEENS1_30default_config_static_selectorELNS0_4arch9wavefront6targetE1EEEvSV_
		.amdhsa_group_segment_fixed_size 13320
		.amdhsa_private_segment_fixed_size 0
		.amdhsa_kernarg_size 152
		.amdhsa_user_sgpr_count 6
		.amdhsa_user_sgpr_private_segment_buffer 1
		.amdhsa_user_sgpr_dispatch_ptr 0
		.amdhsa_user_sgpr_queue_ptr 0
		.amdhsa_user_sgpr_kernarg_segment_ptr 1
		.amdhsa_user_sgpr_dispatch_id 0
		.amdhsa_user_sgpr_flat_scratch_init 0
		.amdhsa_user_sgpr_private_segment_size 0
		.amdhsa_uses_dynamic_stack 0
		.amdhsa_system_sgpr_private_segment_wavefront_offset 0
		.amdhsa_system_sgpr_workgroup_id_x 1
		.amdhsa_system_sgpr_workgroup_id_y 0
		.amdhsa_system_sgpr_workgroup_id_z 0
		.amdhsa_system_sgpr_workgroup_info 0
		.amdhsa_system_vgpr_workitem_id 0
		.amdhsa_next_free_vgpr 71
		.amdhsa_next_free_sgpr 98
		.amdhsa_reserve_vcc 1
		.amdhsa_reserve_flat_scratch 0
		.amdhsa_float_round_mode_32 0
		.amdhsa_float_round_mode_16_64 0
		.amdhsa_float_denorm_mode_32 3
		.amdhsa_float_denorm_mode_16_64 3
		.amdhsa_dx10_clamp 1
		.amdhsa_ieee_mode 1
		.amdhsa_fp16_overflow 0
		.amdhsa_exception_fp_ieee_invalid_op 0
		.amdhsa_exception_fp_denorm_src 0
		.amdhsa_exception_fp_ieee_div_zero 0
		.amdhsa_exception_fp_ieee_overflow 0
		.amdhsa_exception_fp_ieee_underflow 0
		.amdhsa_exception_fp_ieee_inexact 0
		.amdhsa_exception_int_div_zero 0
	.end_amdhsa_kernel
	.section	.text._ZN7rocprim17ROCPRIM_400000_NS6detail17trampoline_kernelINS0_13select_configILj256ELj13ELNS0_17block_load_methodE3ELS4_3ELS4_3ELNS0_20block_scan_algorithmE0ELj4294967295EEENS1_25partition_config_selectorILNS1_17partition_subalgoE3EjNS0_10empty_typeEbEEZZNS1_14partition_implILS8_3ELb0ES6_jNS0_17counting_iteratorIjlEEPS9_SE_NS0_5tupleIJPjSE_EEENSF_IJSE_SE_EEES9_SG_JZNS1_25segmented_radix_sort_implINS0_14default_configELb1EPKlPlSM_SN_N2at6native12_GLOBAL__N_18offset_tEEE10hipError_tPvRmT1_PNSt15iterator_traitsISV_E10value_typeET2_T3_PNSW_IS11_E10value_typeET4_jRbjT5_S17_jjP12ihipStream_tbEUljE_EEESS_ST_SU_S11_S15_S17_T6_T7_T9_mT8_S19_bDpT10_ENKUlT_T0_E_clISt17integral_constantIbLb0EES1L_IbLb1EEEEDaS1H_S1I_EUlS1H_E_NS1_11comp_targetILNS1_3genE2ELNS1_11target_archE906ELNS1_3gpuE6ELNS1_3repE0EEENS1_30default_config_static_selectorELNS0_4arch9wavefront6targetE1EEEvSV_,"axG",@progbits,_ZN7rocprim17ROCPRIM_400000_NS6detail17trampoline_kernelINS0_13select_configILj256ELj13ELNS0_17block_load_methodE3ELS4_3ELS4_3ELNS0_20block_scan_algorithmE0ELj4294967295EEENS1_25partition_config_selectorILNS1_17partition_subalgoE3EjNS0_10empty_typeEbEEZZNS1_14partition_implILS8_3ELb0ES6_jNS0_17counting_iteratorIjlEEPS9_SE_NS0_5tupleIJPjSE_EEENSF_IJSE_SE_EEES9_SG_JZNS1_25segmented_radix_sort_implINS0_14default_configELb1EPKlPlSM_SN_N2at6native12_GLOBAL__N_18offset_tEEE10hipError_tPvRmT1_PNSt15iterator_traitsISV_E10value_typeET2_T3_PNSW_IS11_E10value_typeET4_jRbjT5_S17_jjP12ihipStream_tbEUljE_EEESS_ST_SU_S11_S15_S17_T6_T7_T9_mT8_S19_bDpT10_ENKUlT_T0_E_clISt17integral_constantIbLb0EES1L_IbLb1EEEEDaS1H_S1I_EUlS1H_E_NS1_11comp_targetILNS1_3genE2ELNS1_11target_archE906ELNS1_3gpuE6ELNS1_3repE0EEENS1_30default_config_static_selectorELNS0_4arch9wavefront6targetE1EEEvSV_,comdat
.Lfunc_end700:
	.size	_ZN7rocprim17ROCPRIM_400000_NS6detail17trampoline_kernelINS0_13select_configILj256ELj13ELNS0_17block_load_methodE3ELS4_3ELS4_3ELNS0_20block_scan_algorithmE0ELj4294967295EEENS1_25partition_config_selectorILNS1_17partition_subalgoE3EjNS0_10empty_typeEbEEZZNS1_14partition_implILS8_3ELb0ES6_jNS0_17counting_iteratorIjlEEPS9_SE_NS0_5tupleIJPjSE_EEENSF_IJSE_SE_EEES9_SG_JZNS1_25segmented_radix_sort_implINS0_14default_configELb1EPKlPlSM_SN_N2at6native12_GLOBAL__N_18offset_tEEE10hipError_tPvRmT1_PNSt15iterator_traitsISV_E10value_typeET2_T3_PNSW_IS11_E10value_typeET4_jRbjT5_S17_jjP12ihipStream_tbEUljE_EEESS_ST_SU_S11_S15_S17_T6_T7_T9_mT8_S19_bDpT10_ENKUlT_T0_E_clISt17integral_constantIbLb0EES1L_IbLb1EEEEDaS1H_S1I_EUlS1H_E_NS1_11comp_targetILNS1_3genE2ELNS1_11target_archE906ELNS1_3gpuE6ELNS1_3repE0EEENS1_30default_config_static_selectorELNS0_4arch9wavefront6targetE1EEEvSV_, .Lfunc_end700-_ZN7rocprim17ROCPRIM_400000_NS6detail17trampoline_kernelINS0_13select_configILj256ELj13ELNS0_17block_load_methodE3ELS4_3ELS4_3ELNS0_20block_scan_algorithmE0ELj4294967295EEENS1_25partition_config_selectorILNS1_17partition_subalgoE3EjNS0_10empty_typeEbEEZZNS1_14partition_implILS8_3ELb0ES6_jNS0_17counting_iteratorIjlEEPS9_SE_NS0_5tupleIJPjSE_EEENSF_IJSE_SE_EEES9_SG_JZNS1_25segmented_radix_sort_implINS0_14default_configELb1EPKlPlSM_SN_N2at6native12_GLOBAL__N_18offset_tEEE10hipError_tPvRmT1_PNSt15iterator_traitsISV_E10value_typeET2_T3_PNSW_IS11_E10value_typeET4_jRbjT5_S17_jjP12ihipStream_tbEUljE_EEESS_ST_SU_S11_S15_S17_T6_T7_T9_mT8_S19_bDpT10_ENKUlT_T0_E_clISt17integral_constantIbLb0EES1L_IbLb1EEEEDaS1H_S1I_EUlS1H_E_NS1_11comp_targetILNS1_3genE2ELNS1_11target_archE906ELNS1_3gpuE6ELNS1_3repE0EEENS1_30default_config_static_selectorELNS0_4arch9wavefront6targetE1EEEvSV_
                                        ; -- End function
	.set _ZN7rocprim17ROCPRIM_400000_NS6detail17trampoline_kernelINS0_13select_configILj256ELj13ELNS0_17block_load_methodE3ELS4_3ELS4_3ELNS0_20block_scan_algorithmE0ELj4294967295EEENS1_25partition_config_selectorILNS1_17partition_subalgoE3EjNS0_10empty_typeEbEEZZNS1_14partition_implILS8_3ELb0ES6_jNS0_17counting_iteratorIjlEEPS9_SE_NS0_5tupleIJPjSE_EEENSF_IJSE_SE_EEES9_SG_JZNS1_25segmented_radix_sort_implINS0_14default_configELb1EPKlPlSM_SN_N2at6native12_GLOBAL__N_18offset_tEEE10hipError_tPvRmT1_PNSt15iterator_traitsISV_E10value_typeET2_T3_PNSW_IS11_E10value_typeET4_jRbjT5_S17_jjP12ihipStream_tbEUljE_EEESS_ST_SU_S11_S15_S17_T6_T7_T9_mT8_S19_bDpT10_ENKUlT_T0_E_clISt17integral_constantIbLb0EES1L_IbLb1EEEEDaS1H_S1I_EUlS1H_E_NS1_11comp_targetILNS1_3genE2ELNS1_11target_archE906ELNS1_3gpuE6ELNS1_3repE0EEENS1_30default_config_static_selectorELNS0_4arch9wavefront6targetE1EEEvSV_.num_vgpr, 71
	.set _ZN7rocprim17ROCPRIM_400000_NS6detail17trampoline_kernelINS0_13select_configILj256ELj13ELNS0_17block_load_methodE3ELS4_3ELS4_3ELNS0_20block_scan_algorithmE0ELj4294967295EEENS1_25partition_config_selectorILNS1_17partition_subalgoE3EjNS0_10empty_typeEbEEZZNS1_14partition_implILS8_3ELb0ES6_jNS0_17counting_iteratorIjlEEPS9_SE_NS0_5tupleIJPjSE_EEENSF_IJSE_SE_EEES9_SG_JZNS1_25segmented_radix_sort_implINS0_14default_configELb1EPKlPlSM_SN_N2at6native12_GLOBAL__N_18offset_tEEE10hipError_tPvRmT1_PNSt15iterator_traitsISV_E10value_typeET2_T3_PNSW_IS11_E10value_typeET4_jRbjT5_S17_jjP12ihipStream_tbEUljE_EEESS_ST_SU_S11_S15_S17_T6_T7_T9_mT8_S19_bDpT10_ENKUlT_T0_E_clISt17integral_constantIbLb0EES1L_IbLb1EEEEDaS1H_S1I_EUlS1H_E_NS1_11comp_targetILNS1_3genE2ELNS1_11target_archE906ELNS1_3gpuE6ELNS1_3repE0EEENS1_30default_config_static_selectorELNS0_4arch9wavefront6targetE1EEEvSV_.num_agpr, 0
	.set _ZN7rocprim17ROCPRIM_400000_NS6detail17trampoline_kernelINS0_13select_configILj256ELj13ELNS0_17block_load_methodE3ELS4_3ELS4_3ELNS0_20block_scan_algorithmE0ELj4294967295EEENS1_25partition_config_selectorILNS1_17partition_subalgoE3EjNS0_10empty_typeEbEEZZNS1_14partition_implILS8_3ELb0ES6_jNS0_17counting_iteratorIjlEEPS9_SE_NS0_5tupleIJPjSE_EEENSF_IJSE_SE_EEES9_SG_JZNS1_25segmented_radix_sort_implINS0_14default_configELb1EPKlPlSM_SN_N2at6native12_GLOBAL__N_18offset_tEEE10hipError_tPvRmT1_PNSt15iterator_traitsISV_E10value_typeET2_T3_PNSW_IS11_E10value_typeET4_jRbjT5_S17_jjP12ihipStream_tbEUljE_EEESS_ST_SU_S11_S15_S17_T6_T7_T9_mT8_S19_bDpT10_ENKUlT_T0_E_clISt17integral_constantIbLb0EES1L_IbLb1EEEEDaS1H_S1I_EUlS1H_E_NS1_11comp_targetILNS1_3genE2ELNS1_11target_archE906ELNS1_3gpuE6ELNS1_3repE0EEENS1_30default_config_static_selectorELNS0_4arch9wavefront6targetE1EEEvSV_.numbered_sgpr, 46
	.set _ZN7rocprim17ROCPRIM_400000_NS6detail17trampoline_kernelINS0_13select_configILj256ELj13ELNS0_17block_load_methodE3ELS4_3ELS4_3ELNS0_20block_scan_algorithmE0ELj4294967295EEENS1_25partition_config_selectorILNS1_17partition_subalgoE3EjNS0_10empty_typeEbEEZZNS1_14partition_implILS8_3ELb0ES6_jNS0_17counting_iteratorIjlEEPS9_SE_NS0_5tupleIJPjSE_EEENSF_IJSE_SE_EEES9_SG_JZNS1_25segmented_radix_sort_implINS0_14default_configELb1EPKlPlSM_SN_N2at6native12_GLOBAL__N_18offset_tEEE10hipError_tPvRmT1_PNSt15iterator_traitsISV_E10value_typeET2_T3_PNSW_IS11_E10value_typeET4_jRbjT5_S17_jjP12ihipStream_tbEUljE_EEESS_ST_SU_S11_S15_S17_T6_T7_T9_mT8_S19_bDpT10_ENKUlT_T0_E_clISt17integral_constantIbLb0EES1L_IbLb1EEEEDaS1H_S1I_EUlS1H_E_NS1_11comp_targetILNS1_3genE2ELNS1_11target_archE906ELNS1_3gpuE6ELNS1_3repE0EEENS1_30default_config_static_selectorELNS0_4arch9wavefront6targetE1EEEvSV_.num_named_barrier, 0
	.set _ZN7rocprim17ROCPRIM_400000_NS6detail17trampoline_kernelINS0_13select_configILj256ELj13ELNS0_17block_load_methodE3ELS4_3ELS4_3ELNS0_20block_scan_algorithmE0ELj4294967295EEENS1_25partition_config_selectorILNS1_17partition_subalgoE3EjNS0_10empty_typeEbEEZZNS1_14partition_implILS8_3ELb0ES6_jNS0_17counting_iteratorIjlEEPS9_SE_NS0_5tupleIJPjSE_EEENSF_IJSE_SE_EEES9_SG_JZNS1_25segmented_radix_sort_implINS0_14default_configELb1EPKlPlSM_SN_N2at6native12_GLOBAL__N_18offset_tEEE10hipError_tPvRmT1_PNSt15iterator_traitsISV_E10value_typeET2_T3_PNSW_IS11_E10value_typeET4_jRbjT5_S17_jjP12ihipStream_tbEUljE_EEESS_ST_SU_S11_S15_S17_T6_T7_T9_mT8_S19_bDpT10_ENKUlT_T0_E_clISt17integral_constantIbLb0EES1L_IbLb1EEEEDaS1H_S1I_EUlS1H_E_NS1_11comp_targetILNS1_3genE2ELNS1_11target_archE906ELNS1_3gpuE6ELNS1_3repE0EEENS1_30default_config_static_selectorELNS0_4arch9wavefront6targetE1EEEvSV_.private_seg_size, 0
	.set _ZN7rocprim17ROCPRIM_400000_NS6detail17trampoline_kernelINS0_13select_configILj256ELj13ELNS0_17block_load_methodE3ELS4_3ELS4_3ELNS0_20block_scan_algorithmE0ELj4294967295EEENS1_25partition_config_selectorILNS1_17partition_subalgoE3EjNS0_10empty_typeEbEEZZNS1_14partition_implILS8_3ELb0ES6_jNS0_17counting_iteratorIjlEEPS9_SE_NS0_5tupleIJPjSE_EEENSF_IJSE_SE_EEES9_SG_JZNS1_25segmented_radix_sort_implINS0_14default_configELb1EPKlPlSM_SN_N2at6native12_GLOBAL__N_18offset_tEEE10hipError_tPvRmT1_PNSt15iterator_traitsISV_E10value_typeET2_T3_PNSW_IS11_E10value_typeET4_jRbjT5_S17_jjP12ihipStream_tbEUljE_EEESS_ST_SU_S11_S15_S17_T6_T7_T9_mT8_S19_bDpT10_ENKUlT_T0_E_clISt17integral_constantIbLb0EES1L_IbLb1EEEEDaS1H_S1I_EUlS1H_E_NS1_11comp_targetILNS1_3genE2ELNS1_11target_archE906ELNS1_3gpuE6ELNS1_3repE0EEENS1_30default_config_static_selectorELNS0_4arch9wavefront6targetE1EEEvSV_.uses_vcc, 1
	.set _ZN7rocprim17ROCPRIM_400000_NS6detail17trampoline_kernelINS0_13select_configILj256ELj13ELNS0_17block_load_methodE3ELS4_3ELS4_3ELNS0_20block_scan_algorithmE0ELj4294967295EEENS1_25partition_config_selectorILNS1_17partition_subalgoE3EjNS0_10empty_typeEbEEZZNS1_14partition_implILS8_3ELb0ES6_jNS0_17counting_iteratorIjlEEPS9_SE_NS0_5tupleIJPjSE_EEENSF_IJSE_SE_EEES9_SG_JZNS1_25segmented_radix_sort_implINS0_14default_configELb1EPKlPlSM_SN_N2at6native12_GLOBAL__N_18offset_tEEE10hipError_tPvRmT1_PNSt15iterator_traitsISV_E10value_typeET2_T3_PNSW_IS11_E10value_typeET4_jRbjT5_S17_jjP12ihipStream_tbEUljE_EEESS_ST_SU_S11_S15_S17_T6_T7_T9_mT8_S19_bDpT10_ENKUlT_T0_E_clISt17integral_constantIbLb0EES1L_IbLb1EEEEDaS1H_S1I_EUlS1H_E_NS1_11comp_targetILNS1_3genE2ELNS1_11target_archE906ELNS1_3gpuE6ELNS1_3repE0EEENS1_30default_config_static_selectorELNS0_4arch9wavefront6targetE1EEEvSV_.uses_flat_scratch, 0
	.set _ZN7rocprim17ROCPRIM_400000_NS6detail17trampoline_kernelINS0_13select_configILj256ELj13ELNS0_17block_load_methodE3ELS4_3ELS4_3ELNS0_20block_scan_algorithmE0ELj4294967295EEENS1_25partition_config_selectorILNS1_17partition_subalgoE3EjNS0_10empty_typeEbEEZZNS1_14partition_implILS8_3ELb0ES6_jNS0_17counting_iteratorIjlEEPS9_SE_NS0_5tupleIJPjSE_EEENSF_IJSE_SE_EEES9_SG_JZNS1_25segmented_radix_sort_implINS0_14default_configELb1EPKlPlSM_SN_N2at6native12_GLOBAL__N_18offset_tEEE10hipError_tPvRmT1_PNSt15iterator_traitsISV_E10value_typeET2_T3_PNSW_IS11_E10value_typeET4_jRbjT5_S17_jjP12ihipStream_tbEUljE_EEESS_ST_SU_S11_S15_S17_T6_T7_T9_mT8_S19_bDpT10_ENKUlT_T0_E_clISt17integral_constantIbLb0EES1L_IbLb1EEEEDaS1H_S1I_EUlS1H_E_NS1_11comp_targetILNS1_3genE2ELNS1_11target_archE906ELNS1_3gpuE6ELNS1_3repE0EEENS1_30default_config_static_selectorELNS0_4arch9wavefront6targetE1EEEvSV_.has_dyn_sized_stack, 0
	.set _ZN7rocprim17ROCPRIM_400000_NS6detail17trampoline_kernelINS0_13select_configILj256ELj13ELNS0_17block_load_methodE3ELS4_3ELS4_3ELNS0_20block_scan_algorithmE0ELj4294967295EEENS1_25partition_config_selectorILNS1_17partition_subalgoE3EjNS0_10empty_typeEbEEZZNS1_14partition_implILS8_3ELb0ES6_jNS0_17counting_iteratorIjlEEPS9_SE_NS0_5tupleIJPjSE_EEENSF_IJSE_SE_EEES9_SG_JZNS1_25segmented_radix_sort_implINS0_14default_configELb1EPKlPlSM_SN_N2at6native12_GLOBAL__N_18offset_tEEE10hipError_tPvRmT1_PNSt15iterator_traitsISV_E10value_typeET2_T3_PNSW_IS11_E10value_typeET4_jRbjT5_S17_jjP12ihipStream_tbEUljE_EEESS_ST_SU_S11_S15_S17_T6_T7_T9_mT8_S19_bDpT10_ENKUlT_T0_E_clISt17integral_constantIbLb0EES1L_IbLb1EEEEDaS1H_S1I_EUlS1H_E_NS1_11comp_targetILNS1_3genE2ELNS1_11target_archE906ELNS1_3gpuE6ELNS1_3repE0EEENS1_30default_config_static_selectorELNS0_4arch9wavefront6targetE1EEEvSV_.has_recursion, 0
	.set _ZN7rocprim17ROCPRIM_400000_NS6detail17trampoline_kernelINS0_13select_configILj256ELj13ELNS0_17block_load_methodE3ELS4_3ELS4_3ELNS0_20block_scan_algorithmE0ELj4294967295EEENS1_25partition_config_selectorILNS1_17partition_subalgoE3EjNS0_10empty_typeEbEEZZNS1_14partition_implILS8_3ELb0ES6_jNS0_17counting_iteratorIjlEEPS9_SE_NS0_5tupleIJPjSE_EEENSF_IJSE_SE_EEES9_SG_JZNS1_25segmented_radix_sort_implINS0_14default_configELb1EPKlPlSM_SN_N2at6native12_GLOBAL__N_18offset_tEEE10hipError_tPvRmT1_PNSt15iterator_traitsISV_E10value_typeET2_T3_PNSW_IS11_E10value_typeET4_jRbjT5_S17_jjP12ihipStream_tbEUljE_EEESS_ST_SU_S11_S15_S17_T6_T7_T9_mT8_S19_bDpT10_ENKUlT_T0_E_clISt17integral_constantIbLb0EES1L_IbLb1EEEEDaS1H_S1I_EUlS1H_E_NS1_11comp_targetILNS1_3genE2ELNS1_11target_archE906ELNS1_3gpuE6ELNS1_3repE0EEENS1_30default_config_static_selectorELNS0_4arch9wavefront6targetE1EEEvSV_.has_indirect_call, 0
	.section	.AMDGPU.csdata,"",@progbits
; Kernel info:
; codeLenInByte = 7548
; TotalNumSgprs: 50
; NumVgprs: 71
; ScratchSize: 0
; MemoryBound: 0
; FloatMode: 240
; IeeeMode: 1
; LDSByteSize: 13320 bytes/workgroup (compile time only)
; SGPRBlocks: 12
; VGPRBlocks: 17
; NumSGPRsForWavesPerEU: 102
; NumVGPRsForWavesPerEU: 71
; Occupancy: 3
; WaveLimiterHint : 0
; COMPUTE_PGM_RSRC2:SCRATCH_EN: 0
; COMPUTE_PGM_RSRC2:USER_SGPR: 6
; COMPUTE_PGM_RSRC2:TRAP_HANDLER: 0
; COMPUTE_PGM_RSRC2:TGID_X_EN: 1
; COMPUTE_PGM_RSRC2:TGID_Y_EN: 0
; COMPUTE_PGM_RSRC2:TGID_Z_EN: 0
; COMPUTE_PGM_RSRC2:TIDIG_COMP_CNT: 0
	.section	.text._ZN7rocprim17ROCPRIM_400000_NS6detail17trampoline_kernelINS0_13select_configILj256ELj13ELNS0_17block_load_methodE3ELS4_3ELS4_3ELNS0_20block_scan_algorithmE0ELj4294967295EEENS1_25partition_config_selectorILNS1_17partition_subalgoE3EjNS0_10empty_typeEbEEZZNS1_14partition_implILS8_3ELb0ES6_jNS0_17counting_iteratorIjlEEPS9_SE_NS0_5tupleIJPjSE_EEENSF_IJSE_SE_EEES9_SG_JZNS1_25segmented_radix_sort_implINS0_14default_configELb1EPKlPlSM_SN_N2at6native12_GLOBAL__N_18offset_tEEE10hipError_tPvRmT1_PNSt15iterator_traitsISV_E10value_typeET2_T3_PNSW_IS11_E10value_typeET4_jRbjT5_S17_jjP12ihipStream_tbEUljE_EEESS_ST_SU_S11_S15_S17_T6_T7_T9_mT8_S19_bDpT10_ENKUlT_T0_E_clISt17integral_constantIbLb0EES1L_IbLb1EEEEDaS1H_S1I_EUlS1H_E_NS1_11comp_targetILNS1_3genE10ELNS1_11target_archE1200ELNS1_3gpuE4ELNS1_3repE0EEENS1_30default_config_static_selectorELNS0_4arch9wavefront6targetE1EEEvSV_,"axG",@progbits,_ZN7rocprim17ROCPRIM_400000_NS6detail17trampoline_kernelINS0_13select_configILj256ELj13ELNS0_17block_load_methodE3ELS4_3ELS4_3ELNS0_20block_scan_algorithmE0ELj4294967295EEENS1_25partition_config_selectorILNS1_17partition_subalgoE3EjNS0_10empty_typeEbEEZZNS1_14partition_implILS8_3ELb0ES6_jNS0_17counting_iteratorIjlEEPS9_SE_NS0_5tupleIJPjSE_EEENSF_IJSE_SE_EEES9_SG_JZNS1_25segmented_radix_sort_implINS0_14default_configELb1EPKlPlSM_SN_N2at6native12_GLOBAL__N_18offset_tEEE10hipError_tPvRmT1_PNSt15iterator_traitsISV_E10value_typeET2_T3_PNSW_IS11_E10value_typeET4_jRbjT5_S17_jjP12ihipStream_tbEUljE_EEESS_ST_SU_S11_S15_S17_T6_T7_T9_mT8_S19_bDpT10_ENKUlT_T0_E_clISt17integral_constantIbLb0EES1L_IbLb1EEEEDaS1H_S1I_EUlS1H_E_NS1_11comp_targetILNS1_3genE10ELNS1_11target_archE1200ELNS1_3gpuE4ELNS1_3repE0EEENS1_30default_config_static_selectorELNS0_4arch9wavefront6targetE1EEEvSV_,comdat
	.globl	_ZN7rocprim17ROCPRIM_400000_NS6detail17trampoline_kernelINS0_13select_configILj256ELj13ELNS0_17block_load_methodE3ELS4_3ELS4_3ELNS0_20block_scan_algorithmE0ELj4294967295EEENS1_25partition_config_selectorILNS1_17partition_subalgoE3EjNS0_10empty_typeEbEEZZNS1_14partition_implILS8_3ELb0ES6_jNS0_17counting_iteratorIjlEEPS9_SE_NS0_5tupleIJPjSE_EEENSF_IJSE_SE_EEES9_SG_JZNS1_25segmented_radix_sort_implINS0_14default_configELb1EPKlPlSM_SN_N2at6native12_GLOBAL__N_18offset_tEEE10hipError_tPvRmT1_PNSt15iterator_traitsISV_E10value_typeET2_T3_PNSW_IS11_E10value_typeET4_jRbjT5_S17_jjP12ihipStream_tbEUljE_EEESS_ST_SU_S11_S15_S17_T6_T7_T9_mT8_S19_bDpT10_ENKUlT_T0_E_clISt17integral_constantIbLb0EES1L_IbLb1EEEEDaS1H_S1I_EUlS1H_E_NS1_11comp_targetILNS1_3genE10ELNS1_11target_archE1200ELNS1_3gpuE4ELNS1_3repE0EEENS1_30default_config_static_selectorELNS0_4arch9wavefront6targetE1EEEvSV_ ; -- Begin function _ZN7rocprim17ROCPRIM_400000_NS6detail17trampoline_kernelINS0_13select_configILj256ELj13ELNS0_17block_load_methodE3ELS4_3ELS4_3ELNS0_20block_scan_algorithmE0ELj4294967295EEENS1_25partition_config_selectorILNS1_17partition_subalgoE3EjNS0_10empty_typeEbEEZZNS1_14partition_implILS8_3ELb0ES6_jNS0_17counting_iteratorIjlEEPS9_SE_NS0_5tupleIJPjSE_EEENSF_IJSE_SE_EEES9_SG_JZNS1_25segmented_radix_sort_implINS0_14default_configELb1EPKlPlSM_SN_N2at6native12_GLOBAL__N_18offset_tEEE10hipError_tPvRmT1_PNSt15iterator_traitsISV_E10value_typeET2_T3_PNSW_IS11_E10value_typeET4_jRbjT5_S17_jjP12ihipStream_tbEUljE_EEESS_ST_SU_S11_S15_S17_T6_T7_T9_mT8_S19_bDpT10_ENKUlT_T0_E_clISt17integral_constantIbLb0EES1L_IbLb1EEEEDaS1H_S1I_EUlS1H_E_NS1_11comp_targetILNS1_3genE10ELNS1_11target_archE1200ELNS1_3gpuE4ELNS1_3repE0EEENS1_30default_config_static_selectorELNS0_4arch9wavefront6targetE1EEEvSV_
	.p2align	8
	.type	_ZN7rocprim17ROCPRIM_400000_NS6detail17trampoline_kernelINS0_13select_configILj256ELj13ELNS0_17block_load_methodE3ELS4_3ELS4_3ELNS0_20block_scan_algorithmE0ELj4294967295EEENS1_25partition_config_selectorILNS1_17partition_subalgoE3EjNS0_10empty_typeEbEEZZNS1_14partition_implILS8_3ELb0ES6_jNS0_17counting_iteratorIjlEEPS9_SE_NS0_5tupleIJPjSE_EEENSF_IJSE_SE_EEES9_SG_JZNS1_25segmented_radix_sort_implINS0_14default_configELb1EPKlPlSM_SN_N2at6native12_GLOBAL__N_18offset_tEEE10hipError_tPvRmT1_PNSt15iterator_traitsISV_E10value_typeET2_T3_PNSW_IS11_E10value_typeET4_jRbjT5_S17_jjP12ihipStream_tbEUljE_EEESS_ST_SU_S11_S15_S17_T6_T7_T9_mT8_S19_bDpT10_ENKUlT_T0_E_clISt17integral_constantIbLb0EES1L_IbLb1EEEEDaS1H_S1I_EUlS1H_E_NS1_11comp_targetILNS1_3genE10ELNS1_11target_archE1200ELNS1_3gpuE4ELNS1_3repE0EEENS1_30default_config_static_selectorELNS0_4arch9wavefront6targetE1EEEvSV_,@function
_ZN7rocprim17ROCPRIM_400000_NS6detail17trampoline_kernelINS0_13select_configILj256ELj13ELNS0_17block_load_methodE3ELS4_3ELS4_3ELNS0_20block_scan_algorithmE0ELj4294967295EEENS1_25partition_config_selectorILNS1_17partition_subalgoE3EjNS0_10empty_typeEbEEZZNS1_14partition_implILS8_3ELb0ES6_jNS0_17counting_iteratorIjlEEPS9_SE_NS0_5tupleIJPjSE_EEENSF_IJSE_SE_EEES9_SG_JZNS1_25segmented_radix_sort_implINS0_14default_configELb1EPKlPlSM_SN_N2at6native12_GLOBAL__N_18offset_tEEE10hipError_tPvRmT1_PNSt15iterator_traitsISV_E10value_typeET2_T3_PNSW_IS11_E10value_typeET4_jRbjT5_S17_jjP12ihipStream_tbEUljE_EEESS_ST_SU_S11_S15_S17_T6_T7_T9_mT8_S19_bDpT10_ENKUlT_T0_E_clISt17integral_constantIbLb0EES1L_IbLb1EEEEDaS1H_S1I_EUlS1H_E_NS1_11comp_targetILNS1_3genE10ELNS1_11target_archE1200ELNS1_3gpuE4ELNS1_3repE0EEENS1_30default_config_static_selectorELNS0_4arch9wavefront6targetE1EEEvSV_: ; @_ZN7rocprim17ROCPRIM_400000_NS6detail17trampoline_kernelINS0_13select_configILj256ELj13ELNS0_17block_load_methodE3ELS4_3ELS4_3ELNS0_20block_scan_algorithmE0ELj4294967295EEENS1_25partition_config_selectorILNS1_17partition_subalgoE3EjNS0_10empty_typeEbEEZZNS1_14partition_implILS8_3ELb0ES6_jNS0_17counting_iteratorIjlEEPS9_SE_NS0_5tupleIJPjSE_EEENSF_IJSE_SE_EEES9_SG_JZNS1_25segmented_radix_sort_implINS0_14default_configELb1EPKlPlSM_SN_N2at6native12_GLOBAL__N_18offset_tEEE10hipError_tPvRmT1_PNSt15iterator_traitsISV_E10value_typeET2_T3_PNSW_IS11_E10value_typeET4_jRbjT5_S17_jjP12ihipStream_tbEUljE_EEESS_ST_SU_S11_S15_S17_T6_T7_T9_mT8_S19_bDpT10_ENKUlT_T0_E_clISt17integral_constantIbLb0EES1L_IbLb1EEEEDaS1H_S1I_EUlS1H_E_NS1_11comp_targetILNS1_3genE10ELNS1_11target_archE1200ELNS1_3gpuE4ELNS1_3repE0EEENS1_30default_config_static_selectorELNS0_4arch9wavefront6targetE1EEEvSV_
; %bb.0:
	.section	.rodata,"a",@progbits
	.p2align	6, 0x0
	.amdhsa_kernel _ZN7rocprim17ROCPRIM_400000_NS6detail17trampoline_kernelINS0_13select_configILj256ELj13ELNS0_17block_load_methodE3ELS4_3ELS4_3ELNS0_20block_scan_algorithmE0ELj4294967295EEENS1_25partition_config_selectorILNS1_17partition_subalgoE3EjNS0_10empty_typeEbEEZZNS1_14partition_implILS8_3ELb0ES6_jNS0_17counting_iteratorIjlEEPS9_SE_NS0_5tupleIJPjSE_EEENSF_IJSE_SE_EEES9_SG_JZNS1_25segmented_radix_sort_implINS0_14default_configELb1EPKlPlSM_SN_N2at6native12_GLOBAL__N_18offset_tEEE10hipError_tPvRmT1_PNSt15iterator_traitsISV_E10value_typeET2_T3_PNSW_IS11_E10value_typeET4_jRbjT5_S17_jjP12ihipStream_tbEUljE_EEESS_ST_SU_S11_S15_S17_T6_T7_T9_mT8_S19_bDpT10_ENKUlT_T0_E_clISt17integral_constantIbLb0EES1L_IbLb1EEEEDaS1H_S1I_EUlS1H_E_NS1_11comp_targetILNS1_3genE10ELNS1_11target_archE1200ELNS1_3gpuE4ELNS1_3repE0EEENS1_30default_config_static_selectorELNS0_4arch9wavefront6targetE1EEEvSV_
		.amdhsa_group_segment_fixed_size 0
		.amdhsa_private_segment_fixed_size 0
		.amdhsa_kernarg_size 152
		.amdhsa_user_sgpr_count 6
		.amdhsa_user_sgpr_private_segment_buffer 1
		.amdhsa_user_sgpr_dispatch_ptr 0
		.amdhsa_user_sgpr_queue_ptr 0
		.amdhsa_user_sgpr_kernarg_segment_ptr 1
		.amdhsa_user_sgpr_dispatch_id 0
		.amdhsa_user_sgpr_flat_scratch_init 0
		.amdhsa_user_sgpr_private_segment_size 0
		.amdhsa_uses_dynamic_stack 0
		.amdhsa_system_sgpr_private_segment_wavefront_offset 0
		.amdhsa_system_sgpr_workgroup_id_x 1
		.amdhsa_system_sgpr_workgroup_id_y 0
		.amdhsa_system_sgpr_workgroup_id_z 0
		.amdhsa_system_sgpr_workgroup_info 0
		.amdhsa_system_vgpr_workitem_id 0
		.amdhsa_next_free_vgpr 1
		.amdhsa_next_free_sgpr 0
		.amdhsa_reserve_vcc 0
		.amdhsa_reserve_flat_scratch 0
		.amdhsa_float_round_mode_32 0
		.amdhsa_float_round_mode_16_64 0
		.amdhsa_float_denorm_mode_32 3
		.amdhsa_float_denorm_mode_16_64 3
		.amdhsa_dx10_clamp 1
		.amdhsa_ieee_mode 1
		.amdhsa_fp16_overflow 0
		.amdhsa_exception_fp_ieee_invalid_op 0
		.amdhsa_exception_fp_denorm_src 0
		.amdhsa_exception_fp_ieee_div_zero 0
		.amdhsa_exception_fp_ieee_overflow 0
		.amdhsa_exception_fp_ieee_underflow 0
		.amdhsa_exception_fp_ieee_inexact 0
		.amdhsa_exception_int_div_zero 0
	.end_amdhsa_kernel
	.section	.text._ZN7rocprim17ROCPRIM_400000_NS6detail17trampoline_kernelINS0_13select_configILj256ELj13ELNS0_17block_load_methodE3ELS4_3ELS4_3ELNS0_20block_scan_algorithmE0ELj4294967295EEENS1_25partition_config_selectorILNS1_17partition_subalgoE3EjNS0_10empty_typeEbEEZZNS1_14partition_implILS8_3ELb0ES6_jNS0_17counting_iteratorIjlEEPS9_SE_NS0_5tupleIJPjSE_EEENSF_IJSE_SE_EEES9_SG_JZNS1_25segmented_radix_sort_implINS0_14default_configELb1EPKlPlSM_SN_N2at6native12_GLOBAL__N_18offset_tEEE10hipError_tPvRmT1_PNSt15iterator_traitsISV_E10value_typeET2_T3_PNSW_IS11_E10value_typeET4_jRbjT5_S17_jjP12ihipStream_tbEUljE_EEESS_ST_SU_S11_S15_S17_T6_T7_T9_mT8_S19_bDpT10_ENKUlT_T0_E_clISt17integral_constantIbLb0EES1L_IbLb1EEEEDaS1H_S1I_EUlS1H_E_NS1_11comp_targetILNS1_3genE10ELNS1_11target_archE1200ELNS1_3gpuE4ELNS1_3repE0EEENS1_30default_config_static_selectorELNS0_4arch9wavefront6targetE1EEEvSV_,"axG",@progbits,_ZN7rocprim17ROCPRIM_400000_NS6detail17trampoline_kernelINS0_13select_configILj256ELj13ELNS0_17block_load_methodE3ELS4_3ELS4_3ELNS0_20block_scan_algorithmE0ELj4294967295EEENS1_25partition_config_selectorILNS1_17partition_subalgoE3EjNS0_10empty_typeEbEEZZNS1_14partition_implILS8_3ELb0ES6_jNS0_17counting_iteratorIjlEEPS9_SE_NS0_5tupleIJPjSE_EEENSF_IJSE_SE_EEES9_SG_JZNS1_25segmented_radix_sort_implINS0_14default_configELb1EPKlPlSM_SN_N2at6native12_GLOBAL__N_18offset_tEEE10hipError_tPvRmT1_PNSt15iterator_traitsISV_E10value_typeET2_T3_PNSW_IS11_E10value_typeET4_jRbjT5_S17_jjP12ihipStream_tbEUljE_EEESS_ST_SU_S11_S15_S17_T6_T7_T9_mT8_S19_bDpT10_ENKUlT_T0_E_clISt17integral_constantIbLb0EES1L_IbLb1EEEEDaS1H_S1I_EUlS1H_E_NS1_11comp_targetILNS1_3genE10ELNS1_11target_archE1200ELNS1_3gpuE4ELNS1_3repE0EEENS1_30default_config_static_selectorELNS0_4arch9wavefront6targetE1EEEvSV_,comdat
.Lfunc_end701:
	.size	_ZN7rocprim17ROCPRIM_400000_NS6detail17trampoline_kernelINS0_13select_configILj256ELj13ELNS0_17block_load_methodE3ELS4_3ELS4_3ELNS0_20block_scan_algorithmE0ELj4294967295EEENS1_25partition_config_selectorILNS1_17partition_subalgoE3EjNS0_10empty_typeEbEEZZNS1_14partition_implILS8_3ELb0ES6_jNS0_17counting_iteratorIjlEEPS9_SE_NS0_5tupleIJPjSE_EEENSF_IJSE_SE_EEES9_SG_JZNS1_25segmented_radix_sort_implINS0_14default_configELb1EPKlPlSM_SN_N2at6native12_GLOBAL__N_18offset_tEEE10hipError_tPvRmT1_PNSt15iterator_traitsISV_E10value_typeET2_T3_PNSW_IS11_E10value_typeET4_jRbjT5_S17_jjP12ihipStream_tbEUljE_EEESS_ST_SU_S11_S15_S17_T6_T7_T9_mT8_S19_bDpT10_ENKUlT_T0_E_clISt17integral_constantIbLb0EES1L_IbLb1EEEEDaS1H_S1I_EUlS1H_E_NS1_11comp_targetILNS1_3genE10ELNS1_11target_archE1200ELNS1_3gpuE4ELNS1_3repE0EEENS1_30default_config_static_selectorELNS0_4arch9wavefront6targetE1EEEvSV_, .Lfunc_end701-_ZN7rocprim17ROCPRIM_400000_NS6detail17trampoline_kernelINS0_13select_configILj256ELj13ELNS0_17block_load_methodE3ELS4_3ELS4_3ELNS0_20block_scan_algorithmE0ELj4294967295EEENS1_25partition_config_selectorILNS1_17partition_subalgoE3EjNS0_10empty_typeEbEEZZNS1_14partition_implILS8_3ELb0ES6_jNS0_17counting_iteratorIjlEEPS9_SE_NS0_5tupleIJPjSE_EEENSF_IJSE_SE_EEES9_SG_JZNS1_25segmented_radix_sort_implINS0_14default_configELb1EPKlPlSM_SN_N2at6native12_GLOBAL__N_18offset_tEEE10hipError_tPvRmT1_PNSt15iterator_traitsISV_E10value_typeET2_T3_PNSW_IS11_E10value_typeET4_jRbjT5_S17_jjP12ihipStream_tbEUljE_EEESS_ST_SU_S11_S15_S17_T6_T7_T9_mT8_S19_bDpT10_ENKUlT_T0_E_clISt17integral_constantIbLb0EES1L_IbLb1EEEEDaS1H_S1I_EUlS1H_E_NS1_11comp_targetILNS1_3genE10ELNS1_11target_archE1200ELNS1_3gpuE4ELNS1_3repE0EEENS1_30default_config_static_selectorELNS0_4arch9wavefront6targetE1EEEvSV_
                                        ; -- End function
	.set _ZN7rocprim17ROCPRIM_400000_NS6detail17trampoline_kernelINS0_13select_configILj256ELj13ELNS0_17block_load_methodE3ELS4_3ELS4_3ELNS0_20block_scan_algorithmE0ELj4294967295EEENS1_25partition_config_selectorILNS1_17partition_subalgoE3EjNS0_10empty_typeEbEEZZNS1_14partition_implILS8_3ELb0ES6_jNS0_17counting_iteratorIjlEEPS9_SE_NS0_5tupleIJPjSE_EEENSF_IJSE_SE_EEES9_SG_JZNS1_25segmented_radix_sort_implINS0_14default_configELb1EPKlPlSM_SN_N2at6native12_GLOBAL__N_18offset_tEEE10hipError_tPvRmT1_PNSt15iterator_traitsISV_E10value_typeET2_T3_PNSW_IS11_E10value_typeET4_jRbjT5_S17_jjP12ihipStream_tbEUljE_EEESS_ST_SU_S11_S15_S17_T6_T7_T9_mT8_S19_bDpT10_ENKUlT_T0_E_clISt17integral_constantIbLb0EES1L_IbLb1EEEEDaS1H_S1I_EUlS1H_E_NS1_11comp_targetILNS1_3genE10ELNS1_11target_archE1200ELNS1_3gpuE4ELNS1_3repE0EEENS1_30default_config_static_selectorELNS0_4arch9wavefront6targetE1EEEvSV_.num_vgpr, 0
	.set _ZN7rocprim17ROCPRIM_400000_NS6detail17trampoline_kernelINS0_13select_configILj256ELj13ELNS0_17block_load_methodE3ELS4_3ELS4_3ELNS0_20block_scan_algorithmE0ELj4294967295EEENS1_25partition_config_selectorILNS1_17partition_subalgoE3EjNS0_10empty_typeEbEEZZNS1_14partition_implILS8_3ELb0ES6_jNS0_17counting_iteratorIjlEEPS9_SE_NS0_5tupleIJPjSE_EEENSF_IJSE_SE_EEES9_SG_JZNS1_25segmented_radix_sort_implINS0_14default_configELb1EPKlPlSM_SN_N2at6native12_GLOBAL__N_18offset_tEEE10hipError_tPvRmT1_PNSt15iterator_traitsISV_E10value_typeET2_T3_PNSW_IS11_E10value_typeET4_jRbjT5_S17_jjP12ihipStream_tbEUljE_EEESS_ST_SU_S11_S15_S17_T6_T7_T9_mT8_S19_bDpT10_ENKUlT_T0_E_clISt17integral_constantIbLb0EES1L_IbLb1EEEEDaS1H_S1I_EUlS1H_E_NS1_11comp_targetILNS1_3genE10ELNS1_11target_archE1200ELNS1_3gpuE4ELNS1_3repE0EEENS1_30default_config_static_selectorELNS0_4arch9wavefront6targetE1EEEvSV_.num_agpr, 0
	.set _ZN7rocprim17ROCPRIM_400000_NS6detail17trampoline_kernelINS0_13select_configILj256ELj13ELNS0_17block_load_methodE3ELS4_3ELS4_3ELNS0_20block_scan_algorithmE0ELj4294967295EEENS1_25partition_config_selectorILNS1_17partition_subalgoE3EjNS0_10empty_typeEbEEZZNS1_14partition_implILS8_3ELb0ES6_jNS0_17counting_iteratorIjlEEPS9_SE_NS0_5tupleIJPjSE_EEENSF_IJSE_SE_EEES9_SG_JZNS1_25segmented_radix_sort_implINS0_14default_configELb1EPKlPlSM_SN_N2at6native12_GLOBAL__N_18offset_tEEE10hipError_tPvRmT1_PNSt15iterator_traitsISV_E10value_typeET2_T3_PNSW_IS11_E10value_typeET4_jRbjT5_S17_jjP12ihipStream_tbEUljE_EEESS_ST_SU_S11_S15_S17_T6_T7_T9_mT8_S19_bDpT10_ENKUlT_T0_E_clISt17integral_constantIbLb0EES1L_IbLb1EEEEDaS1H_S1I_EUlS1H_E_NS1_11comp_targetILNS1_3genE10ELNS1_11target_archE1200ELNS1_3gpuE4ELNS1_3repE0EEENS1_30default_config_static_selectorELNS0_4arch9wavefront6targetE1EEEvSV_.numbered_sgpr, 0
	.set _ZN7rocprim17ROCPRIM_400000_NS6detail17trampoline_kernelINS0_13select_configILj256ELj13ELNS0_17block_load_methodE3ELS4_3ELS4_3ELNS0_20block_scan_algorithmE0ELj4294967295EEENS1_25partition_config_selectorILNS1_17partition_subalgoE3EjNS0_10empty_typeEbEEZZNS1_14partition_implILS8_3ELb0ES6_jNS0_17counting_iteratorIjlEEPS9_SE_NS0_5tupleIJPjSE_EEENSF_IJSE_SE_EEES9_SG_JZNS1_25segmented_radix_sort_implINS0_14default_configELb1EPKlPlSM_SN_N2at6native12_GLOBAL__N_18offset_tEEE10hipError_tPvRmT1_PNSt15iterator_traitsISV_E10value_typeET2_T3_PNSW_IS11_E10value_typeET4_jRbjT5_S17_jjP12ihipStream_tbEUljE_EEESS_ST_SU_S11_S15_S17_T6_T7_T9_mT8_S19_bDpT10_ENKUlT_T0_E_clISt17integral_constantIbLb0EES1L_IbLb1EEEEDaS1H_S1I_EUlS1H_E_NS1_11comp_targetILNS1_3genE10ELNS1_11target_archE1200ELNS1_3gpuE4ELNS1_3repE0EEENS1_30default_config_static_selectorELNS0_4arch9wavefront6targetE1EEEvSV_.num_named_barrier, 0
	.set _ZN7rocprim17ROCPRIM_400000_NS6detail17trampoline_kernelINS0_13select_configILj256ELj13ELNS0_17block_load_methodE3ELS4_3ELS4_3ELNS0_20block_scan_algorithmE0ELj4294967295EEENS1_25partition_config_selectorILNS1_17partition_subalgoE3EjNS0_10empty_typeEbEEZZNS1_14partition_implILS8_3ELb0ES6_jNS0_17counting_iteratorIjlEEPS9_SE_NS0_5tupleIJPjSE_EEENSF_IJSE_SE_EEES9_SG_JZNS1_25segmented_radix_sort_implINS0_14default_configELb1EPKlPlSM_SN_N2at6native12_GLOBAL__N_18offset_tEEE10hipError_tPvRmT1_PNSt15iterator_traitsISV_E10value_typeET2_T3_PNSW_IS11_E10value_typeET4_jRbjT5_S17_jjP12ihipStream_tbEUljE_EEESS_ST_SU_S11_S15_S17_T6_T7_T9_mT8_S19_bDpT10_ENKUlT_T0_E_clISt17integral_constantIbLb0EES1L_IbLb1EEEEDaS1H_S1I_EUlS1H_E_NS1_11comp_targetILNS1_3genE10ELNS1_11target_archE1200ELNS1_3gpuE4ELNS1_3repE0EEENS1_30default_config_static_selectorELNS0_4arch9wavefront6targetE1EEEvSV_.private_seg_size, 0
	.set _ZN7rocprim17ROCPRIM_400000_NS6detail17trampoline_kernelINS0_13select_configILj256ELj13ELNS0_17block_load_methodE3ELS4_3ELS4_3ELNS0_20block_scan_algorithmE0ELj4294967295EEENS1_25partition_config_selectorILNS1_17partition_subalgoE3EjNS0_10empty_typeEbEEZZNS1_14partition_implILS8_3ELb0ES6_jNS0_17counting_iteratorIjlEEPS9_SE_NS0_5tupleIJPjSE_EEENSF_IJSE_SE_EEES9_SG_JZNS1_25segmented_radix_sort_implINS0_14default_configELb1EPKlPlSM_SN_N2at6native12_GLOBAL__N_18offset_tEEE10hipError_tPvRmT1_PNSt15iterator_traitsISV_E10value_typeET2_T3_PNSW_IS11_E10value_typeET4_jRbjT5_S17_jjP12ihipStream_tbEUljE_EEESS_ST_SU_S11_S15_S17_T6_T7_T9_mT8_S19_bDpT10_ENKUlT_T0_E_clISt17integral_constantIbLb0EES1L_IbLb1EEEEDaS1H_S1I_EUlS1H_E_NS1_11comp_targetILNS1_3genE10ELNS1_11target_archE1200ELNS1_3gpuE4ELNS1_3repE0EEENS1_30default_config_static_selectorELNS0_4arch9wavefront6targetE1EEEvSV_.uses_vcc, 0
	.set _ZN7rocprim17ROCPRIM_400000_NS6detail17trampoline_kernelINS0_13select_configILj256ELj13ELNS0_17block_load_methodE3ELS4_3ELS4_3ELNS0_20block_scan_algorithmE0ELj4294967295EEENS1_25partition_config_selectorILNS1_17partition_subalgoE3EjNS0_10empty_typeEbEEZZNS1_14partition_implILS8_3ELb0ES6_jNS0_17counting_iteratorIjlEEPS9_SE_NS0_5tupleIJPjSE_EEENSF_IJSE_SE_EEES9_SG_JZNS1_25segmented_radix_sort_implINS0_14default_configELb1EPKlPlSM_SN_N2at6native12_GLOBAL__N_18offset_tEEE10hipError_tPvRmT1_PNSt15iterator_traitsISV_E10value_typeET2_T3_PNSW_IS11_E10value_typeET4_jRbjT5_S17_jjP12ihipStream_tbEUljE_EEESS_ST_SU_S11_S15_S17_T6_T7_T9_mT8_S19_bDpT10_ENKUlT_T0_E_clISt17integral_constantIbLb0EES1L_IbLb1EEEEDaS1H_S1I_EUlS1H_E_NS1_11comp_targetILNS1_3genE10ELNS1_11target_archE1200ELNS1_3gpuE4ELNS1_3repE0EEENS1_30default_config_static_selectorELNS0_4arch9wavefront6targetE1EEEvSV_.uses_flat_scratch, 0
	.set _ZN7rocprim17ROCPRIM_400000_NS6detail17trampoline_kernelINS0_13select_configILj256ELj13ELNS0_17block_load_methodE3ELS4_3ELS4_3ELNS0_20block_scan_algorithmE0ELj4294967295EEENS1_25partition_config_selectorILNS1_17partition_subalgoE3EjNS0_10empty_typeEbEEZZNS1_14partition_implILS8_3ELb0ES6_jNS0_17counting_iteratorIjlEEPS9_SE_NS0_5tupleIJPjSE_EEENSF_IJSE_SE_EEES9_SG_JZNS1_25segmented_radix_sort_implINS0_14default_configELb1EPKlPlSM_SN_N2at6native12_GLOBAL__N_18offset_tEEE10hipError_tPvRmT1_PNSt15iterator_traitsISV_E10value_typeET2_T3_PNSW_IS11_E10value_typeET4_jRbjT5_S17_jjP12ihipStream_tbEUljE_EEESS_ST_SU_S11_S15_S17_T6_T7_T9_mT8_S19_bDpT10_ENKUlT_T0_E_clISt17integral_constantIbLb0EES1L_IbLb1EEEEDaS1H_S1I_EUlS1H_E_NS1_11comp_targetILNS1_3genE10ELNS1_11target_archE1200ELNS1_3gpuE4ELNS1_3repE0EEENS1_30default_config_static_selectorELNS0_4arch9wavefront6targetE1EEEvSV_.has_dyn_sized_stack, 0
	.set _ZN7rocprim17ROCPRIM_400000_NS6detail17trampoline_kernelINS0_13select_configILj256ELj13ELNS0_17block_load_methodE3ELS4_3ELS4_3ELNS0_20block_scan_algorithmE0ELj4294967295EEENS1_25partition_config_selectorILNS1_17partition_subalgoE3EjNS0_10empty_typeEbEEZZNS1_14partition_implILS8_3ELb0ES6_jNS0_17counting_iteratorIjlEEPS9_SE_NS0_5tupleIJPjSE_EEENSF_IJSE_SE_EEES9_SG_JZNS1_25segmented_radix_sort_implINS0_14default_configELb1EPKlPlSM_SN_N2at6native12_GLOBAL__N_18offset_tEEE10hipError_tPvRmT1_PNSt15iterator_traitsISV_E10value_typeET2_T3_PNSW_IS11_E10value_typeET4_jRbjT5_S17_jjP12ihipStream_tbEUljE_EEESS_ST_SU_S11_S15_S17_T6_T7_T9_mT8_S19_bDpT10_ENKUlT_T0_E_clISt17integral_constantIbLb0EES1L_IbLb1EEEEDaS1H_S1I_EUlS1H_E_NS1_11comp_targetILNS1_3genE10ELNS1_11target_archE1200ELNS1_3gpuE4ELNS1_3repE0EEENS1_30default_config_static_selectorELNS0_4arch9wavefront6targetE1EEEvSV_.has_recursion, 0
	.set _ZN7rocprim17ROCPRIM_400000_NS6detail17trampoline_kernelINS0_13select_configILj256ELj13ELNS0_17block_load_methodE3ELS4_3ELS4_3ELNS0_20block_scan_algorithmE0ELj4294967295EEENS1_25partition_config_selectorILNS1_17partition_subalgoE3EjNS0_10empty_typeEbEEZZNS1_14partition_implILS8_3ELb0ES6_jNS0_17counting_iteratorIjlEEPS9_SE_NS0_5tupleIJPjSE_EEENSF_IJSE_SE_EEES9_SG_JZNS1_25segmented_radix_sort_implINS0_14default_configELb1EPKlPlSM_SN_N2at6native12_GLOBAL__N_18offset_tEEE10hipError_tPvRmT1_PNSt15iterator_traitsISV_E10value_typeET2_T3_PNSW_IS11_E10value_typeET4_jRbjT5_S17_jjP12ihipStream_tbEUljE_EEESS_ST_SU_S11_S15_S17_T6_T7_T9_mT8_S19_bDpT10_ENKUlT_T0_E_clISt17integral_constantIbLb0EES1L_IbLb1EEEEDaS1H_S1I_EUlS1H_E_NS1_11comp_targetILNS1_3genE10ELNS1_11target_archE1200ELNS1_3gpuE4ELNS1_3repE0EEENS1_30default_config_static_selectorELNS0_4arch9wavefront6targetE1EEEvSV_.has_indirect_call, 0
	.section	.AMDGPU.csdata,"",@progbits
; Kernel info:
; codeLenInByte = 0
; TotalNumSgprs: 4
; NumVgprs: 0
; ScratchSize: 0
; MemoryBound: 0
; FloatMode: 240
; IeeeMode: 1
; LDSByteSize: 0 bytes/workgroup (compile time only)
; SGPRBlocks: 0
; VGPRBlocks: 0
; NumSGPRsForWavesPerEU: 4
; NumVGPRsForWavesPerEU: 1
; Occupancy: 10
; WaveLimiterHint : 0
; COMPUTE_PGM_RSRC2:SCRATCH_EN: 0
; COMPUTE_PGM_RSRC2:USER_SGPR: 6
; COMPUTE_PGM_RSRC2:TRAP_HANDLER: 0
; COMPUTE_PGM_RSRC2:TGID_X_EN: 1
; COMPUTE_PGM_RSRC2:TGID_Y_EN: 0
; COMPUTE_PGM_RSRC2:TGID_Z_EN: 0
; COMPUTE_PGM_RSRC2:TIDIG_COMP_CNT: 0
	.section	.text._ZN7rocprim17ROCPRIM_400000_NS6detail17trampoline_kernelINS0_13select_configILj256ELj13ELNS0_17block_load_methodE3ELS4_3ELS4_3ELNS0_20block_scan_algorithmE0ELj4294967295EEENS1_25partition_config_selectorILNS1_17partition_subalgoE3EjNS0_10empty_typeEbEEZZNS1_14partition_implILS8_3ELb0ES6_jNS0_17counting_iteratorIjlEEPS9_SE_NS0_5tupleIJPjSE_EEENSF_IJSE_SE_EEES9_SG_JZNS1_25segmented_radix_sort_implINS0_14default_configELb1EPKlPlSM_SN_N2at6native12_GLOBAL__N_18offset_tEEE10hipError_tPvRmT1_PNSt15iterator_traitsISV_E10value_typeET2_T3_PNSW_IS11_E10value_typeET4_jRbjT5_S17_jjP12ihipStream_tbEUljE_EEESS_ST_SU_S11_S15_S17_T6_T7_T9_mT8_S19_bDpT10_ENKUlT_T0_E_clISt17integral_constantIbLb0EES1L_IbLb1EEEEDaS1H_S1I_EUlS1H_E_NS1_11comp_targetILNS1_3genE9ELNS1_11target_archE1100ELNS1_3gpuE3ELNS1_3repE0EEENS1_30default_config_static_selectorELNS0_4arch9wavefront6targetE1EEEvSV_,"axG",@progbits,_ZN7rocprim17ROCPRIM_400000_NS6detail17trampoline_kernelINS0_13select_configILj256ELj13ELNS0_17block_load_methodE3ELS4_3ELS4_3ELNS0_20block_scan_algorithmE0ELj4294967295EEENS1_25partition_config_selectorILNS1_17partition_subalgoE3EjNS0_10empty_typeEbEEZZNS1_14partition_implILS8_3ELb0ES6_jNS0_17counting_iteratorIjlEEPS9_SE_NS0_5tupleIJPjSE_EEENSF_IJSE_SE_EEES9_SG_JZNS1_25segmented_radix_sort_implINS0_14default_configELb1EPKlPlSM_SN_N2at6native12_GLOBAL__N_18offset_tEEE10hipError_tPvRmT1_PNSt15iterator_traitsISV_E10value_typeET2_T3_PNSW_IS11_E10value_typeET4_jRbjT5_S17_jjP12ihipStream_tbEUljE_EEESS_ST_SU_S11_S15_S17_T6_T7_T9_mT8_S19_bDpT10_ENKUlT_T0_E_clISt17integral_constantIbLb0EES1L_IbLb1EEEEDaS1H_S1I_EUlS1H_E_NS1_11comp_targetILNS1_3genE9ELNS1_11target_archE1100ELNS1_3gpuE3ELNS1_3repE0EEENS1_30default_config_static_selectorELNS0_4arch9wavefront6targetE1EEEvSV_,comdat
	.globl	_ZN7rocprim17ROCPRIM_400000_NS6detail17trampoline_kernelINS0_13select_configILj256ELj13ELNS0_17block_load_methodE3ELS4_3ELS4_3ELNS0_20block_scan_algorithmE0ELj4294967295EEENS1_25partition_config_selectorILNS1_17partition_subalgoE3EjNS0_10empty_typeEbEEZZNS1_14partition_implILS8_3ELb0ES6_jNS0_17counting_iteratorIjlEEPS9_SE_NS0_5tupleIJPjSE_EEENSF_IJSE_SE_EEES9_SG_JZNS1_25segmented_radix_sort_implINS0_14default_configELb1EPKlPlSM_SN_N2at6native12_GLOBAL__N_18offset_tEEE10hipError_tPvRmT1_PNSt15iterator_traitsISV_E10value_typeET2_T3_PNSW_IS11_E10value_typeET4_jRbjT5_S17_jjP12ihipStream_tbEUljE_EEESS_ST_SU_S11_S15_S17_T6_T7_T9_mT8_S19_bDpT10_ENKUlT_T0_E_clISt17integral_constantIbLb0EES1L_IbLb1EEEEDaS1H_S1I_EUlS1H_E_NS1_11comp_targetILNS1_3genE9ELNS1_11target_archE1100ELNS1_3gpuE3ELNS1_3repE0EEENS1_30default_config_static_selectorELNS0_4arch9wavefront6targetE1EEEvSV_ ; -- Begin function _ZN7rocprim17ROCPRIM_400000_NS6detail17trampoline_kernelINS0_13select_configILj256ELj13ELNS0_17block_load_methodE3ELS4_3ELS4_3ELNS0_20block_scan_algorithmE0ELj4294967295EEENS1_25partition_config_selectorILNS1_17partition_subalgoE3EjNS0_10empty_typeEbEEZZNS1_14partition_implILS8_3ELb0ES6_jNS0_17counting_iteratorIjlEEPS9_SE_NS0_5tupleIJPjSE_EEENSF_IJSE_SE_EEES9_SG_JZNS1_25segmented_radix_sort_implINS0_14default_configELb1EPKlPlSM_SN_N2at6native12_GLOBAL__N_18offset_tEEE10hipError_tPvRmT1_PNSt15iterator_traitsISV_E10value_typeET2_T3_PNSW_IS11_E10value_typeET4_jRbjT5_S17_jjP12ihipStream_tbEUljE_EEESS_ST_SU_S11_S15_S17_T6_T7_T9_mT8_S19_bDpT10_ENKUlT_T0_E_clISt17integral_constantIbLb0EES1L_IbLb1EEEEDaS1H_S1I_EUlS1H_E_NS1_11comp_targetILNS1_3genE9ELNS1_11target_archE1100ELNS1_3gpuE3ELNS1_3repE0EEENS1_30default_config_static_selectorELNS0_4arch9wavefront6targetE1EEEvSV_
	.p2align	8
	.type	_ZN7rocprim17ROCPRIM_400000_NS6detail17trampoline_kernelINS0_13select_configILj256ELj13ELNS0_17block_load_methodE3ELS4_3ELS4_3ELNS0_20block_scan_algorithmE0ELj4294967295EEENS1_25partition_config_selectorILNS1_17partition_subalgoE3EjNS0_10empty_typeEbEEZZNS1_14partition_implILS8_3ELb0ES6_jNS0_17counting_iteratorIjlEEPS9_SE_NS0_5tupleIJPjSE_EEENSF_IJSE_SE_EEES9_SG_JZNS1_25segmented_radix_sort_implINS0_14default_configELb1EPKlPlSM_SN_N2at6native12_GLOBAL__N_18offset_tEEE10hipError_tPvRmT1_PNSt15iterator_traitsISV_E10value_typeET2_T3_PNSW_IS11_E10value_typeET4_jRbjT5_S17_jjP12ihipStream_tbEUljE_EEESS_ST_SU_S11_S15_S17_T6_T7_T9_mT8_S19_bDpT10_ENKUlT_T0_E_clISt17integral_constantIbLb0EES1L_IbLb1EEEEDaS1H_S1I_EUlS1H_E_NS1_11comp_targetILNS1_3genE9ELNS1_11target_archE1100ELNS1_3gpuE3ELNS1_3repE0EEENS1_30default_config_static_selectorELNS0_4arch9wavefront6targetE1EEEvSV_,@function
_ZN7rocprim17ROCPRIM_400000_NS6detail17trampoline_kernelINS0_13select_configILj256ELj13ELNS0_17block_load_methodE3ELS4_3ELS4_3ELNS0_20block_scan_algorithmE0ELj4294967295EEENS1_25partition_config_selectorILNS1_17partition_subalgoE3EjNS0_10empty_typeEbEEZZNS1_14partition_implILS8_3ELb0ES6_jNS0_17counting_iteratorIjlEEPS9_SE_NS0_5tupleIJPjSE_EEENSF_IJSE_SE_EEES9_SG_JZNS1_25segmented_radix_sort_implINS0_14default_configELb1EPKlPlSM_SN_N2at6native12_GLOBAL__N_18offset_tEEE10hipError_tPvRmT1_PNSt15iterator_traitsISV_E10value_typeET2_T3_PNSW_IS11_E10value_typeET4_jRbjT5_S17_jjP12ihipStream_tbEUljE_EEESS_ST_SU_S11_S15_S17_T6_T7_T9_mT8_S19_bDpT10_ENKUlT_T0_E_clISt17integral_constantIbLb0EES1L_IbLb1EEEEDaS1H_S1I_EUlS1H_E_NS1_11comp_targetILNS1_3genE9ELNS1_11target_archE1100ELNS1_3gpuE3ELNS1_3repE0EEENS1_30default_config_static_selectorELNS0_4arch9wavefront6targetE1EEEvSV_: ; @_ZN7rocprim17ROCPRIM_400000_NS6detail17trampoline_kernelINS0_13select_configILj256ELj13ELNS0_17block_load_methodE3ELS4_3ELS4_3ELNS0_20block_scan_algorithmE0ELj4294967295EEENS1_25partition_config_selectorILNS1_17partition_subalgoE3EjNS0_10empty_typeEbEEZZNS1_14partition_implILS8_3ELb0ES6_jNS0_17counting_iteratorIjlEEPS9_SE_NS0_5tupleIJPjSE_EEENSF_IJSE_SE_EEES9_SG_JZNS1_25segmented_radix_sort_implINS0_14default_configELb1EPKlPlSM_SN_N2at6native12_GLOBAL__N_18offset_tEEE10hipError_tPvRmT1_PNSt15iterator_traitsISV_E10value_typeET2_T3_PNSW_IS11_E10value_typeET4_jRbjT5_S17_jjP12ihipStream_tbEUljE_EEESS_ST_SU_S11_S15_S17_T6_T7_T9_mT8_S19_bDpT10_ENKUlT_T0_E_clISt17integral_constantIbLb0EES1L_IbLb1EEEEDaS1H_S1I_EUlS1H_E_NS1_11comp_targetILNS1_3genE9ELNS1_11target_archE1100ELNS1_3gpuE3ELNS1_3repE0EEENS1_30default_config_static_selectorELNS0_4arch9wavefront6targetE1EEEvSV_
; %bb.0:
	.section	.rodata,"a",@progbits
	.p2align	6, 0x0
	.amdhsa_kernel _ZN7rocprim17ROCPRIM_400000_NS6detail17trampoline_kernelINS0_13select_configILj256ELj13ELNS0_17block_load_methodE3ELS4_3ELS4_3ELNS0_20block_scan_algorithmE0ELj4294967295EEENS1_25partition_config_selectorILNS1_17partition_subalgoE3EjNS0_10empty_typeEbEEZZNS1_14partition_implILS8_3ELb0ES6_jNS0_17counting_iteratorIjlEEPS9_SE_NS0_5tupleIJPjSE_EEENSF_IJSE_SE_EEES9_SG_JZNS1_25segmented_radix_sort_implINS0_14default_configELb1EPKlPlSM_SN_N2at6native12_GLOBAL__N_18offset_tEEE10hipError_tPvRmT1_PNSt15iterator_traitsISV_E10value_typeET2_T3_PNSW_IS11_E10value_typeET4_jRbjT5_S17_jjP12ihipStream_tbEUljE_EEESS_ST_SU_S11_S15_S17_T6_T7_T9_mT8_S19_bDpT10_ENKUlT_T0_E_clISt17integral_constantIbLb0EES1L_IbLb1EEEEDaS1H_S1I_EUlS1H_E_NS1_11comp_targetILNS1_3genE9ELNS1_11target_archE1100ELNS1_3gpuE3ELNS1_3repE0EEENS1_30default_config_static_selectorELNS0_4arch9wavefront6targetE1EEEvSV_
		.amdhsa_group_segment_fixed_size 0
		.amdhsa_private_segment_fixed_size 0
		.amdhsa_kernarg_size 152
		.amdhsa_user_sgpr_count 6
		.amdhsa_user_sgpr_private_segment_buffer 1
		.amdhsa_user_sgpr_dispatch_ptr 0
		.amdhsa_user_sgpr_queue_ptr 0
		.amdhsa_user_sgpr_kernarg_segment_ptr 1
		.amdhsa_user_sgpr_dispatch_id 0
		.amdhsa_user_sgpr_flat_scratch_init 0
		.amdhsa_user_sgpr_private_segment_size 0
		.amdhsa_uses_dynamic_stack 0
		.amdhsa_system_sgpr_private_segment_wavefront_offset 0
		.amdhsa_system_sgpr_workgroup_id_x 1
		.amdhsa_system_sgpr_workgroup_id_y 0
		.amdhsa_system_sgpr_workgroup_id_z 0
		.amdhsa_system_sgpr_workgroup_info 0
		.amdhsa_system_vgpr_workitem_id 0
		.amdhsa_next_free_vgpr 1
		.amdhsa_next_free_sgpr 0
		.amdhsa_reserve_vcc 0
		.amdhsa_reserve_flat_scratch 0
		.amdhsa_float_round_mode_32 0
		.amdhsa_float_round_mode_16_64 0
		.amdhsa_float_denorm_mode_32 3
		.amdhsa_float_denorm_mode_16_64 3
		.amdhsa_dx10_clamp 1
		.amdhsa_ieee_mode 1
		.amdhsa_fp16_overflow 0
		.amdhsa_exception_fp_ieee_invalid_op 0
		.amdhsa_exception_fp_denorm_src 0
		.amdhsa_exception_fp_ieee_div_zero 0
		.amdhsa_exception_fp_ieee_overflow 0
		.amdhsa_exception_fp_ieee_underflow 0
		.amdhsa_exception_fp_ieee_inexact 0
		.amdhsa_exception_int_div_zero 0
	.end_amdhsa_kernel
	.section	.text._ZN7rocprim17ROCPRIM_400000_NS6detail17trampoline_kernelINS0_13select_configILj256ELj13ELNS0_17block_load_methodE3ELS4_3ELS4_3ELNS0_20block_scan_algorithmE0ELj4294967295EEENS1_25partition_config_selectorILNS1_17partition_subalgoE3EjNS0_10empty_typeEbEEZZNS1_14partition_implILS8_3ELb0ES6_jNS0_17counting_iteratorIjlEEPS9_SE_NS0_5tupleIJPjSE_EEENSF_IJSE_SE_EEES9_SG_JZNS1_25segmented_radix_sort_implINS0_14default_configELb1EPKlPlSM_SN_N2at6native12_GLOBAL__N_18offset_tEEE10hipError_tPvRmT1_PNSt15iterator_traitsISV_E10value_typeET2_T3_PNSW_IS11_E10value_typeET4_jRbjT5_S17_jjP12ihipStream_tbEUljE_EEESS_ST_SU_S11_S15_S17_T6_T7_T9_mT8_S19_bDpT10_ENKUlT_T0_E_clISt17integral_constantIbLb0EES1L_IbLb1EEEEDaS1H_S1I_EUlS1H_E_NS1_11comp_targetILNS1_3genE9ELNS1_11target_archE1100ELNS1_3gpuE3ELNS1_3repE0EEENS1_30default_config_static_selectorELNS0_4arch9wavefront6targetE1EEEvSV_,"axG",@progbits,_ZN7rocprim17ROCPRIM_400000_NS6detail17trampoline_kernelINS0_13select_configILj256ELj13ELNS0_17block_load_methodE3ELS4_3ELS4_3ELNS0_20block_scan_algorithmE0ELj4294967295EEENS1_25partition_config_selectorILNS1_17partition_subalgoE3EjNS0_10empty_typeEbEEZZNS1_14partition_implILS8_3ELb0ES6_jNS0_17counting_iteratorIjlEEPS9_SE_NS0_5tupleIJPjSE_EEENSF_IJSE_SE_EEES9_SG_JZNS1_25segmented_radix_sort_implINS0_14default_configELb1EPKlPlSM_SN_N2at6native12_GLOBAL__N_18offset_tEEE10hipError_tPvRmT1_PNSt15iterator_traitsISV_E10value_typeET2_T3_PNSW_IS11_E10value_typeET4_jRbjT5_S17_jjP12ihipStream_tbEUljE_EEESS_ST_SU_S11_S15_S17_T6_T7_T9_mT8_S19_bDpT10_ENKUlT_T0_E_clISt17integral_constantIbLb0EES1L_IbLb1EEEEDaS1H_S1I_EUlS1H_E_NS1_11comp_targetILNS1_3genE9ELNS1_11target_archE1100ELNS1_3gpuE3ELNS1_3repE0EEENS1_30default_config_static_selectorELNS0_4arch9wavefront6targetE1EEEvSV_,comdat
.Lfunc_end702:
	.size	_ZN7rocprim17ROCPRIM_400000_NS6detail17trampoline_kernelINS0_13select_configILj256ELj13ELNS0_17block_load_methodE3ELS4_3ELS4_3ELNS0_20block_scan_algorithmE0ELj4294967295EEENS1_25partition_config_selectorILNS1_17partition_subalgoE3EjNS0_10empty_typeEbEEZZNS1_14partition_implILS8_3ELb0ES6_jNS0_17counting_iteratorIjlEEPS9_SE_NS0_5tupleIJPjSE_EEENSF_IJSE_SE_EEES9_SG_JZNS1_25segmented_radix_sort_implINS0_14default_configELb1EPKlPlSM_SN_N2at6native12_GLOBAL__N_18offset_tEEE10hipError_tPvRmT1_PNSt15iterator_traitsISV_E10value_typeET2_T3_PNSW_IS11_E10value_typeET4_jRbjT5_S17_jjP12ihipStream_tbEUljE_EEESS_ST_SU_S11_S15_S17_T6_T7_T9_mT8_S19_bDpT10_ENKUlT_T0_E_clISt17integral_constantIbLb0EES1L_IbLb1EEEEDaS1H_S1I_EUlS1H_E_NS1_11comp_targetILNS1_3genE9ELNS1_11target_archE1100ELNS1_3gpuE3ELNS1_3repE0EEENS1_30default_config_static_selectorELNS0_4arch9wavefront6targetE1EEEvSV_, .Lfunc_end702-_ZN7rocprim17ROCPRIM_400000_NS6detail17trampoline_kernelINS0_13select_configILj256ELj13ELNS0_17block_load_methodE3ELS4_3ELS4_3ELNS0_20block_scan_algorithmE0ELj4294967295EEENS1_25partition_config_selectorILNS1_17partition_subalgoE3EjNS0_10empty_typeEbEEZZNS1_14partition_implILS8_3ELb0ES6_jNS0_17counting_iteratorIjlEEPS9_SE_NS0_5tupleIJPjSE_EEENSF_IJSE_SE_EEES9_SG_JZNS1_25segmented_radix_sort_implINS0_14default_configELb1EPKlPlSM_SN_N2at6native12_GLOBAL__N_18offset_tEEE10hipError_tPvRmT1_PNSt15iterator_traitsISV_E10value_typeET2_T3_PNSW_IS11_E10value_typeET4_jRbjT5_S17_jjP12ihipStream_tbEUljE_EEESS_ST_SU_S11_S15_S17_T6_T7_T9_mT8_S19_bDpT10_ENKUlT_T0_E_clISt17integral_constantIbLb0EES1L_IbLb1EEEEDaS1H_S1I_EUlS1H_E_NS1_11comp_targetILNS1_3genE9ELNS1_11target_archE1100ELNS1_3gpuE3ELNS1_3repE0EEENS1_30default_config_static_selectorELNS0_4arch9wavefront6targetE1EEEvSV_
                                        ; -- End function
	.set _ZN7rocprim17ROCPRIM_400000_NS6detail17trampoline_kernelINS0_13select_configILj256ELj13ELNS0_17block_load_methodE3ELS4_3ELS4_3ELNS0_20block_scan_algorithmE0ELj4294967295EEENS1_25partition_config_selectorILNS1_17partition_subalgoE3EjNS0_10empty_typeEbEEZZNS1_14partition_implILS8_3ELb0ES6_jNS0_17counting_iteratorIjlEEPS9_SE_NS0_5tupleIJPjSE_EEENSF_IJSE_SE_EEES9_SG_JZNS1_25segmented_radix_sort_implINS0_14default_configELb1EPKlPlSM_SN_N2at6native12_GLOBAL__N_18offset_tEEE10hipError_tPvRmT1_PNSt15iterator_traitsISV_E10value_typeET2_T3_PNSW_IS11_E10value_typeET4_jRbjT5_S17_jjP12ihipStream_tbEUljE_EEESS_ST_SU_S11_S15_S17_T6_T7_T9_mT8_S19_bDpT10_ENKUlT_T0_E_clISt17integral_constantIbLb0EES1L_IbLb1EEEEDaS1H_S1I_EUlS1H_E_NS1_11comp_targetILNS1_3genE9ELNS1_11target_archE1100ELNS1_3gpuE3ELNS1_3repE0EEENS1_30default_config_static_selectorELNS0_4arch9wavefront6targetE1EEEvSV_.num_vgpr, 0
	.set _ZN7rocprim17ROCPRIM_400000_NS6detail17trampoline_kernelINS0_13select_configILj256ELj13ELNS0_17block_load_methodE3ELS4_3ELS4_3ELNS0_20block_scan_algorithmE0ELj4294967295EEENS1_25partition_config_selectorILNS1_17partition_subalgoE3EjNS0_10empty_typeEbEEZZNS1_14partition_implILS8_3ELb0ES6_jNS0_17counting_iteratorIjlEEPS9_SE_NS0_5tupleIJPjSE_EEENSF_IJSE_SE_EEES9_SG_JZNS1_25segmented_radix_sort_implINS0_14default_configELb1EPKlPlSM_SN_N2at6native12_GLOBAL__N_18offset_tEEE10hipError_tPvRmT1_PNSt15iterator_traitsISV_E10value_typeET2_T3_PNSW_IS11_E10value_typeET4_jRbjT5_S17_jjP12ihipStream_tbEUljE_EEESS_ST_SU_S11_S15_S17_T6_T7_T9_mT8_S19_bDpT10_ENKUlT_T0_E_clISt17integral_constantIbLb0EES1L_IbLb1EEEEDaS1H_S1I_EUlS1H_E_NS1_11comp_targetILNS1_3genE9ELNS1_11target_archE1100ELNS1_3gpuE3ELNS1_3repE0EEENS1_30default_config_static_selectorELNS0_4arch9wavefront6targetE1EEEvSV_.num_agpr, 0
	.set _ZN7rocprim17ROCPRIM_400000_NS6detail17trampoline_kernelINS0_13select_configILj256ELj13ELNS0_17block_load_methodE3ELS4_3ELS4_3ELNS0_20block_scan_algorithmE0ELj4294967295EEENS1_25partition_config_selectorILNS1_17partition_subalgoE3EjNS0_10empty_typeEbEEZZNS1_14partition_implILS8_3ELb0ES6_jNS0_17counting_iteratorIjlEEPS9_SE_NS0_5tupleIJPjSE_EEENSF_IJSE_SE_EEES9_SG_JZNS1_25segmented_radix_sort_implINS0_14default_configELb1EPKlPlSM_SN_N2at6native12_GLOBAL__N_18offset_tEEE10hipError_tPvRmT1_PNSt15iterator_traitsISV_E10value_typeET2_T3_PNSW_IS11_E10value_typeET4_jRbjT5_S17_jjP12ihipStream_tbEUljE_EEESS_ST_SU_S11_S15_S17_T6_T7_T9_mT8_S19_bDpT10_ENKUlT_T0_E_clISt17integral_constantIbLb0EES1L_IbLb1EEEEDaS1H_S1I_EUlS1H_E_NS1_11comp_targetILNS1_3genE9ELNS1_11target_archE1100ELNS1_3gpuE3ELNS1_3repE0EEENS1_30default_config_static_selectorELNS0_4arch9wavefront6targetE1EEEvSV_.numbered_sgpr, 0
	.set _ZN7rocprim17ROCPRIM_400000_NS6detail17trampoline_kernelINS0_13select_configILj256ELj13ELNS0_17block_load_methodE3ELS4_3ELS4_3ELNS0_20block_scan_algorithmE0ELj4294967295EEENS1_25partition_config_selectorILNS1_17partition_subalgoE3EjNS0_10empty_typeEbEEZZNS1_14partition_implILS8_3ELb0ES6_jNS0_17counting_iteratorIjlEEPS9_SE_NS0_5tupleIJPjSE_EEENSF_IJSE_SE_EEES9_SG_JZNS1_25segmented_radix_sort_implINS0_14default_configELb1EPKlPlSM_SN_N2at6native12_GLOBAL__N_18offset_tEEE10hipError_tPvRmT1_PNSt15iterator_traitsISV_E10value_typeET2_T3_PNSW_IS11_E10value_typeET4_jRbjT5_S17_jjP12ihipStream_tbEUljE_EEESS_ST_SU_S11_S15_S17_T6_T7_T9_mT8_S19_bDpT10_ENKUlT_T0_E_clISt17integral_constantIbLb0EES1L_IbLb1EEEEDaS1H_S1I_EUlS1H_E_NS1_11comp_targetILNS1_3genE9ELNS1_11target_archE1100ELNS1_3gpuE3ELNS1_3repE0EEENS1_30default_config_static_selectorELNS0_4arch9wavefront6targetE1EEEvSV_.num_named_barrier, 0
	.set _ZN7rocprim17ROCPRIM_400000_NS6detail17trampoline_kernelINS0_13select_configILj256ELj13ELNS0_17block_load_methodE3ELS4_3ELS4_3ELNS0_20block_scan_algorithmE0ELj4294967295EEENS1_25partition_config_selectorILNS1_17partition_subalgoE3EjNS0_10empty_typeEbEEZZNS1_14partition_implILS8_3ELb0ES6_jNS0_17counting_iteratorIjlEEPS9_SE_NS0_5tupleIJPjSE_EEENSF_IJSE_SE_EEES9_SG_JZNS1_25segmented_radix_sort_implINS0_14default_configELb1EPKlPlSM_SN_N2at6native12_GLOBAL__N_18offset_tEEE10hipError_tPvRmT1_PNSt15iterator_traitsISV_E10value_typeET2_T3_PNSW_IS11_E10value_typeET4_jRbjT5_S17_jjP12ihipStream_tbEUljE_EEESS_ST_SU_S11_S15_S17_T6_T7_T9_mT8_S19_bDpT10_ENKUlT_T0_E_clISt17integral_constantIbLb0EES1L_IbLb1EEEEDaS1H_S1I_EUlS1H_E_NS1_11comp_targetILNS1_3genE9ELNS1_11target_archE1100ELNS1_3gpuE3ELNS1_3repE0EEENS1_30default_config_static_selectorELNS0_4arch9wavefront6targetE1EEEvSV_.private_seg_size, 0
	.set _ZN7rocprim17ROCPRIM_400000_NS6detail17trampoline_kernelINS0_13select_configILj256ELj13ELNS0_17block_load_methodE3ELS4_3ELS4_3ELNS0_20block_scan_algorithmE0ELj4294967295EEENS1_25partition_config_selectorILNS1_17partition_subalgoE3EjNS0_10empty_typeEbEEZZNS1_14partition_implILS8_3ELb0ES6_jNS0_17counting_iteratorIjlEEPS9_SE_NS0_5tupleIJPjSE_EEENSF_IJSE_SE_EEES9_SG_JZNS1_25segmented_radix_sort_implINS0_14default_configELb1EPKlPlSM_SN_N2at6native12_GLOBAL__N_18offset_tEEE10hipError_tPvRmT1_PNSt15iterator_traitsISV_E10value_typeET2_T3_PNSW_IS11_E10value_typeET4_jRbjT5_S17_jjP12ihipStream_tbEUljE_EEESS_ST_SU_S11_S15_S17_T6_T7_T9_mT8_S19_bDpT10_ENKUlT_T0_E_clISt17integral_constantIbLb0EES1L_IbLb1EEEEDaS1H_S1I_EUlS1H_E_NS1_11comp_targetILNS1_3genE9ELNS1_11target_archE1100ELNS1_3gpuE3ELNS1_3repE0EEENS1_30default_config_static_selectorELNS0_4arch9wavefront6targetE1EEEvSV_.uses_vcc, 0
	.set _ZN7rocprim17ROCPRIM_400000_NS6detail17trampoline_kernelINS0_13select_configILj256ELj13ELNS0_17block_load_methodE3ELS4_3ELS4_3ELNS0_20block_scan_algorithmE0ELj4294967295EEENS1_25partition_config_selectorILNS1_17partition_subalgoE3EjNS0_10empty_typeEbEEZZNS1_14partition_implILS8_3ELb0ES6_jNS0_17counting_iteratorIjlEEPS9_SE_NS0_5tupleIJPjSE_EEENSF_IJSE_SE_EEES9_SG_JZNS1_25segmented_radix_sort_implINS0_14default_configELb1EPKlPlSM_SN_N2at6native12_GLOBAL__N_18offset_tEEE10hipError_tPvRmT1_PNSt15iterator_traitsISV_E10value_typeET2_T3_PNSW_IS11_E10value_typeET4_jRbjT5_S17_jjP12ihipStream_tbEUljE_EEESS_ST_SU_S11_S15_S17_T6_T7_T9_mT8_S19_bDpT10_ENKUlT_T0_E_clISt17integral_constantIbLb0EES1L_IbLb1EEEEDaS1H_S1I_EUlS1H_E_NS1_11comp_targetILNS1_3genE9ELNS1_11target_archE1100ELNS1_3gpuE3ELNS1_3repE0EEENS1_30default_config_static_selectorELNS0_4arch9wavefront6targetE1EEEvSV_.uses_flat_scratch, 0
	.set _ZN7rocprim17ROCPRIM_400000_NS6detail17trampoline_kernelINS0_13select_configILj256ELj13ELNS0_17block_load_methodE3ELS4_3ELS4_3ELNS0_20block_scan_algorithmE0ELj4294967295EEENS1_25partition_config_selectorILNS1_17partition_subalgoE3EjNS0_10empty_typeEbEEZZNS1_14partition_implILS8_3ELb0ES6_jNS0_17counting_iteratorIjlEEPS9_SE_NS0_5tupleIJPjSE_EEENSF_IJSE_SE_EEES9_SG_JZNS1_25segmented_radix_sort_implINS0_14default_configELb1EPKlPlSM_SN_N2at6native12_GLOBAL__N_18offset_tEEE10hipError_tPvRmT1_PNSt15iterator_traitsISV_E10value_typeET2_T3_PNSW_IS11_E10value_typeET4_jRbjT5_S17_jjP12ihipStream_tbEUljE_EEESS_ST_SU_S11_S15_S17_T6_T7_T9_mT8_S19_bDpT10_ENKUlT_T0_E_clISt17integral_constantIbLb0EES1L_IbLb1EEEEDaS1H_S1I_EUlS1H_E_NS1_11comp_targetILNS1_3genE9ELNS1_11target_archE1100ELNS1_3gpuE3ELNS1_3repE0EEENS1_30default_config_static_selectorELNS0_4arch9wavefront6targetE1EEEvSV_.has_dyn_sized_stack, 0
	.set _ZN7rocprim17ROCPRIM_400000_NS6detail17trampoline_kernelINS0_13select_configILj256ELj13ELNS0_17block_load_methodE3ELS4_3ELS4_3ELNS0_20block_scan_algorithmE0ELj4294967295EEENS1_25partition_config_selectorILNS1_17partition_subalgoE3EjNS0_10empty_typeEbEEZZNS1_14partition_implILS8_3ELb0ES6_jNS0_17counting_iteratorIjlEEPS9_SE_NS0_5tupleIJPjSE_EEENSF_IJSE_SE_EEES9_SG_JZNS1_25segmented_radix_sort_implINS0_14default_configELb1EPKlPlSM_SN_N2at6native12_GLOBAL__N_18offset_tEEE10hipError_tPvRmT1_PNSt15iterator_traitsISV_E10value_typeET2_T3_PNSW_IS11_E10value_typeET4_jRbjT5_S17_jjP12ihipStream_tbEUljE_EEESS_ST_SU_S11_S15_S17_T6_T7_T9_mT8_S19_bDpT10_ENKUlT_T0_E_clISt17integral_constantIbLb0EES1L_IbLb1EEEEDaS1H_S1I_EUlS1H_E_NS1_11comp_targetILNS1_3genE9ELNS1_11target_archE1100ELNS1_3gpuE3ELNS1_3repE0EEENS1_30default_config_static_selectorELNS0_4arch9wavefront6targetE1EEEvSV_.has_recursion, 0
	.set _ZN7rocprim17ROCPRIM_400000_NS6detail17trampoline_kernelINS0_13select_configILj256ELj13ELNS0_17block_load_methodE3ELS4_3ELS4_3ELNS0_20block_scan_algorithmE0ELj4294967295EEENS1_25partition_config_selectorILNS1_17partition_subalgoE3EjNS0_10empty_typeEbEEZZNS1_14partition_implILS8_3ELb0ES6_jNS0_17counting_iteratorIjlEEPS9_SE_NS0_5tupleIJPjSE_EEENSF_IJSE_SE_EEES9_SG_JZNS1_25segmented_radix_sort_implINS0_14default_configELb1EPKlPlSM_SN_N2at6native12_GLOBAL__N_18offset_tEEE10hipError_tPvRmT1_PNSt15iterator_traitsISV_E10value_typeET2_T3_PNSW_IS11_E10value_typeET4_jRbjT5_S17_jjP12ihipStream_tbEUljE_EEESS_ST_SU_S11_S15_S17_T6_T7_T9_mT8_S19_bDpT10_ENKUlT_T0_E_clISt17integral_constantIbLb0EES1L_IbLb1EEEEDaS1H_S1I_EUlS1H_E_NS1_11comp_targetILNS1_3genE9ELNS1_11target_archE1100ELNS1_3gpuE3ELNS1_3repE0EEENS1_30default_config_static_selectorELNS0_4arch9wavefront6targetE1EEEvSV_.has_indirect_call, 0
	.section	.AMDGPU.csdata,"",@progbits
; Kernel info:
; codeLenInByte = 0
; TotalNumSgprs: 4
; NumVgprs: 0
; ScratchSize: 0
; MemoryBound: 0
; FloatMode: 240
; IeeeMode: 1
; LDSByteSize: 0 bytes/workgroup (compile time only)
; SGPRBlocks: 0
; VGPRBlocks: 0
; NumSGPRsForWavesPerEU: 4
; NumVGPRsForWavesPerEU: 1
; Occupancy: 10
; WaveLimiterHint : 0
; COMPUTE_PGM_RSRC2:SCRATCH_EN: 0
; COMPUTE_PGM_RSRC2:USER_SGPR: 6
; COMPUTE_PGM_RSRC2:TRAP_HANDLER: 0
; COMPUTE_PGM_RSRC2:TGID_X_EN: 1
; COMPUTE_PGM_RSRC2:TGID_Y_EN: 0
; COMPUTE_PGM_RSRC2:TGID_Z_EN: 0
; COMPUTE_PGM_RSRC2:TIDIG_COMP_CNT: 0
	.section	.text._ZN7rocprim17ROCPRIM_400000_NS6detail17trampoline_kernelINS0_13select_configILj256ELj13ELNS0_17block_load_methodE3ELS4_3ELS4_3ELNS0_20block_scan_algorithmE0ELj4294967295EEENS1_25partition_config_selectorILNS1_17partition_subalgoE3EjNS0_10empty_typeEbEEZZNS1_14partition_implILS8_3ELb0ES6_jNS0_17counting_iteratorIjlEEPS9_SE_NS0_5tupleIJPjSE_EEENSF_IJSE_SE_EEES9_SG_JZNS1_25segmented_radix_sort_implINS0_14default_configELb1EPKlPlSM_SN_N2at6native12_GLOBAL__N_18offset_tEEE10hipError_tPvRmT1_PNSt15iterator_traitsISV_E10value_typeET2_T3_PNSW_IS11_E10value_typeET4_jRbjT5_S17_jjP12ihipStream_tbEUljE_EEESS_ST_SU_S11_S15_S17_T6_T7_T9_mT8_S19_bDpT10_ENKUlT_T0_E_clISt17integral_constantIbLb0EES1L_IbLb1EEEEDaS1H_S1I_EUlS1H_E_NS1_11comp_targetILNS1_3genE8ELNS1_11target_archE1030ELNS1_3gpuE2ELNS1_3repE0EEENS1_30default_config_static_selectorELNS0_4arch9wavefront6targetE1EEEvSV_,"axG",@progbits,_ZN7rocprim17ROCPRIM_400000_NS6detail17trampoline_kernelINS0_13select_configILj256ELj13ELNS0_17block_load_methodE3ELS4_3ELS4_3ELNS0_20block_scan_algorithmE0ELj4294967295EEENS1_25partition_config_selectorILNS1_17partition_subalgoE3EjNS0_10empty_typeEbEEZZNS1_14partition_implILS8_3ELb0ES6_jNS0_17counting_iteratorIjlEEPS9_SE_NS0_5tupleIJPjSE_EEENSF_IJSE_SE_EEES9_SG_JZNS1_25segmented_radix_sort_implINS0_14default_configELb1EPKlPlSM_SN_N2at6native12_GLOBAL__N_18offset_tEEE10hipError_tPvRmT1_PNSt15iterator_traitsISV_E10value_typeET2_T3_PNSW_IS11_E10value_typeET4_jRbjT5_S17_jjP12ihipStream_tbEUljE_EEESS_ST_SU_S11_S15_S17_T6_T7_T9_mT8_S19_bDpT10_ENKUlT_T0_E_clISt17integral_constantIbLb0EES1L_IbLb1EEEEDaS1H_S1I_EUlS1H_E_NS1_11comp_targetILNS1_3genE8ELNS1_11target_archE1030ELNS1_3gpuE2ELNS1_3repE0EEENS1_30default_config_static_selectorELNS0_4arch9wavefront6targetE1EEEvSV_,comdat
	.globl	_ZN7rocprim17ROCPRIM_400000_NS6detail17trampoline_kernelINS0_13select_configILj256ELj13ELNS0_17block_load_methodE3ELS4_3ELS4_3ELNS0_20block_scan_algorithmE0ELj4294967295EEENS1_25partition_config_selectorILNS1_17partition_subalgoE3EjNS0_10empty_typeEbEEZZNS1_14partition_implILS8_3ELb0ES6_jNS0_17counting_iteratorIjlEEPS9_SE_NS0_5tupleIJPjSE_EEENSF_IJSE_SE_EEES9_SG_JZNS1_25segmented_radix_sort_implINS0_14default_configELb1EPKlPlSM_SN_N2at6native12_GLOBAL__N_18offset_tEEE10hipError_tPvRmT1_PNSt15iterator_traitsISV_E10value_typeET2_T3_PNSW_IS11_E10value_typeET4_jRbjT5_S17_jjP12ihipStream_tbEUljE_EEESS_ST_SU_S11_S15_S17_T6_T7_T9_mT8_S19_bDpT10_ENKUlT_T0_E_clISt17integral_constantIbLb0EES1L_IbLb1EEEEDaS1H_S1I_EUlS1H_E_NS1_11comp_targetILNS1_3genE8ELNS1_11target_archE1030ELNS1_3gpuE2ELNS1_3repE0EEENS1_30default_config_static_selectorELNS0_4arch9wavefront6targetE1EEEvSV_ ; -- Begin function _ZN7rocprim17ROCPRIM_400000_NS6detail17trampoline_kernelINS0_13select_configILj256ELj13ELNS0_17block_load_methodE3ELS4_3ELS4_3ELNS0_20block_scan_algorithmE0ELj4294967295EEENS1_25partition_config_selectorILNS1_17partition_subalgoE3EjNS0_10empty_typeEbEEZZNS1_14partition_implILS8_3ELb0ES6_jNS0_17counting_iteratorIjlEEPS9_SE_NS0_5tupleIJPjSE_EEENSF_IJSE_SE_EEES9_SG_JZNS1_25segmented_radix_sort_implINS0_14default_configELb1EPKlPlSM_SN_N2at6native12_GLOBAL__N_18offset_tEEE10hipError_tPvRmT1_PNSt15iterator_traitsISV_E10value_typeET2_T3_PNSW_IS11_E10value_typeET4_jRbjT5_S17_jjP12ihipStream_tbEUljE_EEESS_ST_SU_S11_S15_S17_T6_T7_T9_mT8_S19_bDpT10_ENKUlT_T0_E_clISt17integral_constantIbLb0EES1L_IbLb1EEEEDaS1H_S1I_EUlS1H_E_NS1_11comp_targetILNS1_3genE8ELNS1_11target_archE1030ELNS1_3gpuE2ELNS1_3repE0EEENS1_30default_config_static_selectorELNS0_4arch9wavefront6targetE1EEEvSV_
	.p2align	8
	.type	_ZN7rocprim17ROCPRIM_400000_NS6detail17trampoline_kernelINS0_13select_configILj256ELj13ELNS0_17block_load_methodE3ELS4_3ELS4_3ELNS0_20block_scan_algorithmE0ELj4294967295EEENS1_25partition_config_selectorILNS1_17partition_subalgoE3EjNS0_10empty_typeEbEEZZNS1_14partition_implILS8_3ELb0ES6_jNS0_17counting_iteratorIjlEEPS9_SE_NS0_5tupleIJPjSE_EEENSF_IJSE_SE_EEES9_SG_JZNS1_25segmented_radix_sort_implINS0_14default_configELb1EPKlPlSM_SN_N2at6native12_GLOBAL__N_18offset_tEEE10hipError_tPvRmT1_PNSt15iterator_traitsISV_E10value_typeET2_T3_PNSW_IS11_E10value_typeET4_jRbjT5_S17_jjP12ihipStream_tbEUljE_EEESS_ST_SU_S11_S15_S17_T6_T7_T9_mT8_S19_bDpT10_ENKUlT_T0_E_clISt17integral_constantIbLb0EES1L_IbLb1EEEEDaS1H_S1I_EUlS1H_E_NS1_11comp_targetILNS1_3genE8ELNS1_11target_archE1030ELNS1_3gpuE2ELNS1_3repE0EEENS1_30default_config_static_selectorELNS0_4arch9wavefront6targetE1EEEvSV_,@function
_ZN7rocprim17ROCPRIM_400000_NS6detail17trampoline_kernelINS0_13select_configILj256ELj13ELNS0_17block_load_methodE3ELS4_3ELS4_3ELNS0_20block_scan_algorithmE0ELj4294967295EEENS1_25partition_config_selectorILNS1_17partition_subalgoE3EjNS0_10empty_typeEbEEZZNS1_14partition_implILS8_3ELb0ES6_jNS0_17counting_iteratorIjlEEPS9_SE_NS0_5tupleIJPjSE_EEENSF_IJSE_SE_EEES9_SG_JZNS1_25segmented_radix_sort_implINS0_14default_configELb1EPKlPlSM_SN_N2at6native12_GLOBAL__N_18offset_tEEE10hipError_tPvRmT1_PNSt15iterator_traitsISV_E10value_typeET2_T3_PNSW_IS11_E10value_typeET4_jRbjT5_S17_jjP12ihipStream_tbEUljE_EEESS_ST_SU_S11_S15_S17_T6_T7_T9_mT8_S19_bDpT10_ENKUlT_T0_E_clISt17integral_constantIbLb0EES1L_IbLb1EEEEDaS1H_S1I_EUlS1H_E_NS1_11comp_targetILNS1_3genE8ELNS1_11target_archE1030ELNS1_3gpuE2ELNS1_3repE0EEENS1_30default_config_static_selectorELNS0_4arch9wavefront6targetE1EEEvSV_: ; @_ZN7rocprim17ROCPRIM_400000_NS6detail17trampoline_kernelINS0_13select_configILj256ELj13ELNS0_17block_load_methodE3ELS4_3ELS4_3ELNS0_20block_scan_algorithmE0ELj4294967295EEENS1_25partition_config_selectorILNS1_17partition_subalgoE3EjNS0_10empty_typeEbEEZZNS1_14partition_implILS8_3ELb0ES6_jNS0_17counting_iteratorIjlEEPS9_SE_NS0_5tupleIJPjSE_EEENSF_IJSE_SE_EEES9_SG_JZNS1_25segmented_radix_sort_implINS0_14default_configELb1EPKlPlSM_SN_N2at6native12_GLOBAL__N_18offset_tEEE10hipError_tPvRmT1_PNSt15iterator_traitsISV_E10value_typeET2_T3_PNSW_IS11_E10value_typeET4_jRbjT5_S17_jjP12ihipStream_tbEUljE_EEESS_ST_SU_S11_S15_S17_T6_T7_T9_mT8_S19_bDpT10_ENKUlT_T0_E_clISt17integral_constantIbLb0EES1L_IbLb1EEEEDaS1H_S1I_EUlS1H_E_NS1_11comp_targetILNS1_3genE8ELNS1_11target_archE1030ELNS1_3gpuE2ELNS1_3repE0EEENS1_30default_config_static_selectorELNS0_4arch9wavefront6targetE1EEEvSV_
; %bb.0:
	.section	.rodata,"a",@progbits
	.p2align	6, 0x0
	.amdhsa_kernel _ZN7rocprim17ROCPRIM_400000_NS6detail17trampoline_kernelINS0_13select_configILj256ELj13ELNS0_17block_load_methodE3ELS4_3ELS4_3ELNS0_20block_scan_algorithmE0ELj4294967295EEENS1_25partition_config_selectorILNS1_17partition_subalgoE3EjNS0_10empty_typeEbEEZZNS1_14partition_implILS8_3ELb0ES6_jNS0_17counting_iteratorIjlEEPS9_SE_NS0_5tupleIJPjSE_EEENSF_IJSE_SE_EEES9_SG_JZNS1_25segmented_radix_sort_implINS0_14default_configELb1EPKlPlSM_SN_N2at6native12_GLOBAL__N_18offset_tEEE10hipError_tPvRmT1_PNSt15iterator_traitsISV_E10value_typeET2_T3_PNSW_IS11_E10value_typeET4_jRbjT5_S17_jjP12ihipStream_tbEUljE_EEESS_ST_SU_S11_S15_S17_T6_T7_T9_mT8_S19_bDpT10_ENKUlT_T0_E_clISt17integral_constantIbLb0EES1L_IbLb1EEEEDaS1H_S1I_EUlS1H_E_NS1_11comp_targetILNS1_3genE8ELNS1_11target_archE1030ELNS1_3gpuE2ELNS1_3repE0EEENS1_30default_config_static_selectorELNS0_4arch9wavefront6targetE1EEEvSV_
		.amdhsa_group_segment_fixed_size 0
		.amdhsa_private_segment_fixed_size 0
		.amdhsa_kernarg_size 152
		.amdhsa_user_sgpr_count 6
		.amdhsa_user_sgpr_private_segment_buffer 1
		.amdhsa_user_sgpr_dispatch_ptr 0
		.amdhsa_user_sgpr_queue_ptr 0
		.amdhsa_user_sgpr_kernarg_segment_ptr 1
		.amdhsa_user_sgpr_dispatch_id 0
		.amdhsa_user_sgpr_flat_scratch_init 0
		.amdhsa_user_sgpr_private_segment_size 0
		.amdhsa_uses_dynamic_stack 0
		.amdhsa_system_sgpr_private_segment_wavefront_offset 0
		.amdhsa_system_sgpr_workgroup_id_x 1
		.amdhsa_system_sgpr_workgroup_id_y 0
		.amdhsa_system_sgpr_workgroup_id_z 0
		.amdhsa_system_sgpr_workgroup_info 0
		.amdhsa_system_vgpr_workitem_id 0
		.amdhsa_next_free_vgpr 1
		.amdhsa_next_free_sgpr 0
		.amdhsa_reserve_vcc 0
		.amdhsa_reserve_flat_scratch 0
		.amdhsa_float_round_mode_32 0
		.amdhsa_float_round_mode_16_64 0
		.amdhsa_float_denorm_mode_32 3
		.amdhsa_float_denorm_mode_16_64 3
		.amdhsa_dx10_clamp 1
		.amdhsa_ieee_mode 1
		.amdhsa_fp16_overflow 0
		.amdhsa_exception_fp_ieee_invalid_op 0
		.amdhsa_exception_fp_denorm_src 0
		.amdhsa_exception_fp_ieee_div_zero 0
		.amdhsa_exception_fp_ieee_overflow 0
		.amdhsa_exception_fp_ieee_underflow 0
		.amdhsa_exception_fp_ieee_inexact 0
		.amdhsa_exception_int_div_zero 0
	.end_amdhsa_kernel
	.section	.text._ZN7rocprim17ROCPRIM_400000_NS6detail17trampoline_kernelINS0_13select_configILj256ELj13ELNS0_17block_load_methodE3ELS4_3ELS4_3ELNS0_20block_scan_algorithmE0ELj4294967295EEENS1_25partition_config_selectorILNS1_17partition_subalgoE3EjNS0_10empty_typeEbEEZZNS1_14partition_implILS8_3ELb0ES6_jNS0_17counting_iteratorIjlEEPS9_SE_NS0_5tupleIJPjSE_EEENSF_IJSE_SE_EEES9_SG_JZNS1_25segmented_radix_sort_implINS0_14default_configELb1EPKlPlSM_SN_N2at6native12_GLOBAL__N_18offset_tEEE10hipError_tPvRmT1_PNSt15iterator_traitsISV_E10value_typeET2_T3_PNSW_IS11_E10value_typeET4_jRbjT5_S17_jjP12ihipStream_tbEUljE_EEESS_ST_SU_S11_S15_S17_T6_T7_T9_mT8_S19_bDpT10_ENKUlT_T0_E_clISt17integral_constantIbLb0EES1L_IbLb1EEEEDaS1H_S1I_EUlS1H_E_NS1_11comp_targetILNS1_3genE8ELNS1_11target_archE1030ELNS1_3gpuE2ELNS1_3repE0EEENS1_30default_config_static_selectorELNS0_4arch9wavefront6targetE1EEEvSV_,"axG",@progbits,_ZN7rocprim17ROCPRIM_400000_NS6detail17trampoline_kernelINS0_13select_configILj256ELj13ELNS0_17block_load_methodE3ELS4_3ELS4_3ELNS0_20block_scan_algorithmE0ELj4294967295EEENS1_25partition_config_selectorILNS1_17partition_subalgoE3EjNS0_10empty_typeEbEEZZNS1_14partition_implILS8_3ELb0ES6_jNS0_17counting_iteratorIjlEEPS9_SE_NS0_5tupleIJPjSE_EEENSF_IJSE_SE_EEES9_SG_JZNS1_25segmented_radix_sort_implINS0_14default_configELb1EPKlPlSM_SN_N2at6native12_GLOBAL__N_18offset_tEEE10hipError_tPvRmT1_PNSt15iterator_traitsISV_E10value_typeET2_T3_PNSW_IS11_E10value_typeET4_jRbjT5_S17_jjP12ihipStream_tbEUljE_EEESS_ST_SU_S11_S15_S17_T6_T7_T9_mT8_S19_bDpT10_ENKUlT_T0_E_clISt17integral_constantIbLb0EES1L_IbLb1EEEEDaS1H_S1I_EUlS1H_E_NS1_11comp_targetILNS1_3genE8ELNS1_11target_archE1030ELNS1_3gpuE2ELNS1_3repE0EEENS1_30default_config_static_selectorELNS0_4arch9wavefront6targetE1EEEvSV_,comdat
.Lfunc_end703:
	.size	_ZN7rocprim17ROCPRIM_400000_NS6detail17trampoline_kernelINS0_13select_configILj256ELj13ELNS0_17block_load_methodE3ELS4_3ELS4_3ELNS0_20block_scan_algorithmE0ELj4294967295EEENS1_25partition_config_selectorILNS1_17partition_subalgoE3EjNS0_10empty_typeEbEEZZNS1_14partition_implILS8_3ELb0ES6_jNS0_17counting_iteratorIjlEEPS9_SE_NS0_5tupleIJPjSE_EEENSF_IJSE_SE_EEES9_SG_JZNS1_25segmented_radix_sort_implINS0_14default_configELb1EPKlPlSM_SN_N2at6native12_GLOBAL__N_18offset_tEEE10hipError_tPvRmT1_PNSt15iterator_traitsISV_E10value_typeET2_T3_PNSW_IS11_E10value_typeET4_jRbjT5_S17_jjP12ihipStream_tbEUljE_EEESS_ST_SU_S11_S15_S17_T6_T7_T9_mT8_S19_bDpT10_ENKUlT_T0_E_clISt17integral_constantIbLb0EES1L_IbLb1EEEEDaS1H_S1I_EUlS1H_E_NS1_11comp_targetILNS1_3genE8ELNS1_11target_archE1030ELNS1_3gpuE2ELNS1_3repE0EEENS1_30default_config_static_selectorELNS0_4arch9wavefront6targetE1EEEvSV_, .Lfunc_end703-_ZN7rocprim17ROCPRIM_400000_NS6detail17trampoline_kernelINS0_13select_configILj256ELj13ELNS0_17block_load_methodE3ELS4_3ELS4_3ELNS0_20block_scan_algorithmE0ELj4294967295EEENS1_25partition_config_selectorILNS1_17partition_subalgoE3EjNS0_10empty_typeEbEEZZNS1_14partition_implILS8_3ELb0ES6_jNS0_17counting_iteratorIjlEEPS9_SE_NS0_5tupleIJPjSE_EEENSF_IJSE_SE_EEES9_SG_JZNS1_25segmented_radix_sort_implINS0_14default_configELb1EPKlPlSM_SN_N2at6native12_GLOBAL__N_18offset_tEEE10hipError_tPvRmT1_PNSt15iterator_traitsISV_E10value_typeET2_T3_PNSW_IS11_E10value_typeET4_jRbjT5_S17_jjP12ihipStream_tbEUljE_EEESS_ST_SU_S11_S15_S17_T6_T7_T9_mT8_S19_bDpT10_ENKUlT_T0_E_clISt17integral_constantIbLb0EES1L_IbLb1EEEEDaS1H_S1I_EUlS1H_E_NS1_11comp_targetILNS1_3genE8ELNS1_11target_archE1030ELNS1_3gpuE2ELNS1_3repE0EEENS1_30default_config_static_selectorELNS0_4arch9wavefront6targetE1EEEvSV_
                                        ; -- End function
	.set _ZN7rocprim17ROCPRIM_400000_NS6detail17trampoline_kernelINS0_13select_configILj256ELj13ELNS0_17block_load_methodE3ELS4_3ELS4_3ELNS0_20block_scan_algorithmE0ELj4294967295EEENS1_25partition_config_selectorILNS1_17partition_subalgoE3EjNS0_10empty_typeEbEEZZNS1_14partition_implILS8_3ELb0ES6_jNS0_17counting_iteratorIjlEEPS9_SE_NS0_5tupleIJPjSE_EEENSF_IJSE_SE_EEES9_SG_JZNS1_25segmented_radix_sort_implINS0_14default_configELb1EPKlPlSM_SN_N2at6native12_GLOBAL__N_18offset_tEEE10hipError_tPvRmT1_PNSt15iterator_traitsISV_E10value_typeET2_T3_PNSW_IS11_E10value_typeET4_jRbjT5_S17_jjP12ihipStream_tbEUljE_EEESS_ST_SU_S11_S15_S17_T6_T7_T9_mT8_S19_bDpT10_ENKUlT_T0_E_clISt17integral_constantIbLb0EES1L_IbLb1EEEEDaS1H_S1I_EUlS1H_E_NS1_11comp_targetILNS1_3genE8ELNS1_11target_archE1030ELNS1_3gpuE2ELNS1_3repE0EEENS1_30default_config_static_selectorELNS0_4arch9wavefront6targetE1EEEvSV_.num_vgpr, 0
	.set _ZN7rocprim17ROCPRIM_400000_NS6detail17trampoline_kernelINS0_13select_configILj256ELj13ELNS0_17block_load_methodE3ELS4_3ELS4_3ELNS0_20block_scan_algorithmE0ELj4294967295EEENS1_25partition_config_selectorILNS1_17partition_subalgoE3EjNS0_10empty_typeEbEEZZNS1_14partition_implILS8_3ELb0ES6_jNS0_17counting_iteratorIjlEEPS9_SE_NS0_5tupleIJPjSE_EEENSF_IJSE_SE_EEES9_SG_JZNS1_25segmented_radix_sort_implINS0_14default_configELb1EPKlPlSM_SN_N2at6native12_GLOBAL__N_18offset_tEEE10hipError_tPvRmT1_PNSt15iterator_traitsISV_E10value_typeET2_T3_PNSW_IS11_E10value_typeET4_jRbjT5_S17_jjP12ihipStream_tbEUljE_EEESS_ST_SU_S11_S15_S17_T6_T7_T9_mT8_S19_bDpT10_ENKUlT_T0_E_clISt17integral_constantIbLb0EES1L_IbLb1EEEEDaS1H_S1I_EUlS1H_E_NS1_11comp_targetILNS1_3genE8ELNS1_11target_archE1030ELNS1_3gpuE2ELNS1_3repE0EEENS1_30default_config_static_selectorELNS0_4arch9wavefront6targetE1EEEvSV_.num_agpr, 0
	.set _ZN7rocprim17ROCPRIM_400000_NS6detail17trampoline_kernelINS0_13select_configILj256ELj13ELNS0_17block_load_methodE3ELS4_3ELS4_3ELNS0_20block_scan_algorithmE0ELj4294967295EEENS1_25partition_config_selectorILNS1_17partition_subalgoE3EjNS0_10empty_typeEbEEZZNS1_14partition_implILS8_3ELb0ES6_jNS0_17counting_iteratorIjlEEPS9_SE_NS0_5tupleIJPjSE_EEENSF_IJSE_SE_EEES9_SG_JZNS1_25segmented_radix_sort_implINS0_14default_configELb1EPKlPlSM_SN_N2at6native12_GLOBAL__N_18offset_tEEE10hipError_tPvRmT1_PNSt15iterator_traitsISV_E10value_typeET2_T3_PNSW_IS11_E10value_typeET4_jRbjT5_S17_jjP12ihipStream_tbEUljE_EEESS_ST_SU_S11_S15_S17_T6_T7_T9_mT8_S19_bDpT10_ENKUlT_T0_E_clISt17integral_constantIbLb0EES1L_IbLb1EEEEDaS1H_S1I_EUlS1H_E_NS1_11comp_targetILNS1_3genE8ELNS1_11target_archE1030ELNS1_3gpuE2ELNS1_3repE0EEENS1_30default_config_static_selectorELNS0_4arch9wavefront6targetE1EEEvSV_.numbered_sgpr, 0
	.set _ZN7rocprim17ROCPRIM_400000_NS6detail17trampoline_kernelINS0_13select_configILj256ELj13ELNS0_17block_load_methodE3ELS4_3ELS4_3ELNS0_20block_scan_algorithmE0ELj4294967295EEENS1_25partition_config_selectorILNS1_17partition_subalgoE3EjNS0_10empty_typeEbEEZZNS1_14partition_implILS8_3ELb0ES6_jNS0_17counting_iteratorIjlEEPS9_SE_NS0_5tupleIJPjSE_EEENSF_IJSE_SE_EEES9_SG_JZNS1_25segmented_radix_sort_implINS0_14default_configELb1EPKlPlSM_SN_N2at6native12_GLOBAL__N_18offset_tEEE10hipError_tPvRmT1_PNSt15iterator_traitsISV_E10value_typeET2_T3_PNSW_IS11_E10value_typeET4_jRbjT5_S17_jjP12ihipStream_tbEUljE_EEESS_ST_SU_S11_S15_S17_T6_T7_T9_mT8_S19_bDpT10_ENKUlT_T0_E_clISt17integral_constantIbLb0EES1L_IbLb1EEEEDaS1H_S1I_EUlS1H_E_NS1_11comp_targetILNS1_3genE8ELNS1_11target_archE1030ELNS1_3gpuE2ELNS1_3repE0EEENS1_30default_config_static_selectorELNS0_4arch9wavefront6targetE1EEEvSV_.num_named_barrier, 0
	.set _ZN7rocprim17ROCPRIM_400000_NS6detail17trampoline_kernelINS0_13select_configILj256ELj13ELNS0_17block_load_methodE3ELS4_3ELS4_3ELNS0_20block_scan_algorithmE0ELj4294967295EEENS1_25partition_config_selectorILNS1_17partition_subalgoE3EjNS0_10empty_typeEbEEZZNS1_14partition_implILS8_3ELb0ES6_jNS0_17counting_iteratorIjlEEPS9_SE_NS0_5tupleIJPjSE_EEENSF_IJSE_SE_EEES9_SG_JZNS1_25segmented_radix_sort_implINS0_14default_configELb1EPKlPlSM_SN_N2at6native12_GLOBAL__N_18offset_tEEE10hipError_tPvRmT1_PNSt15iterator_traitsISV_E10value_typeET2_T3_PNSW_IS11_E10value_typeET4_jRbjT5_S17_jjP12ihipStream_tbEUljE_EEESS_ST_SU_S11_S15_S17_T6_T7_T9_mT8_S19_bDpT10_ENKUlT_T0_E_clISt17integral_constantIbLb0EES1L_IbLb1EEEEDaS1H_S1I_EUlS1H_E_NS1_11comp_targetILNS1_3genE8ELNS1_11target_archE1030ELNS1_3gpuE2ELNS1_3repE0EEENS1_30default_config_static_selectorELNS0_4arch9wavefront6targetE1EEEvSV_.private_seg_size, 0
	.set _ZN7rocprim17ROCPRIM_400000_NS6detail17trampoline_kernelINS0_13select_configILj256ELj13ELNS0_17block_load_methodE3ELS4_3ELS4_3ELNS0_20block_scan_algorithmE0ELj4294967295EEENS1_25partition_config_selectorILNS1_17partition_subalgoE3EjNS0_10empty_typeEbEEZZNS1_14partition_implILS8_3ELb0ES6_jNS0_17counting_iteratorIjlEEPS9_SE_NS0_5tupleIJPjSE_EEENSF_IJSE_SE_EEES9_SG_JZNS1_25segmented_radix_sort_implINS0_14default_configELb1EPKlPlSM_SN_N2at6native12_GLOBAL__N_18offset_tEEE10hipError_tPvRmT1_PNSt15iterator_traitsISV_E10value_typeET2_T3_PNSW_IS11_E10value_typeET4_jRbjT5_S17_jjP12ihipStream_tbEUljE_EEESS_ST_SU_S11_S15_S17_T6_T7_T9_mT8_S19_bDpT10_ENKUlT_T0_E_clISt17integral_constantIbLb0EES1L_IbLb1EEEEDaS1H_S1I_EUlS1H_E_NS1_11comp_targetILNS1_3genE8ELNS1_11target_archE1030ELNS1_3gpuE2ELNS1_3repE0EEENS1_30default_config_static_selectorELNS0_4arch9wavefront6targetE1EEEvSV_.uses_vcc, 0
	.set _ZN7rocprim17ROCPRIM_400000_NS6detail17trampoline_kernelINS0_13select_configILj256ELj13ELNS0_17block_load_methodE3ELS4_3ELS4_3ELNS0_20block_scan_algorithmE0ELj4294967295EEENS1_25partition_config_selectorILNS1_17partition_subalgoE3EjNS0_10empty_typeEbEEZZNS1_14partition_implILS8_3ELb0ES6_jNS0_17counting_iteratorIjlEEPS9_SE_NS0_5tupleIJPjSE_EEENSF_IJSE_SE_EEES9_SG_JZNS1_25segmented_radix_sort_implINS0_14default_configELb1EPKlPlSM_SN_N2at6native12_GLOBAL__N_18offset_tEEE10hipError_tPvRmT1_PNSt15iterator_traitsISV_E10value_typeET2_T3_PNSW_IS11_E10value_typeET4_jRbjT5_S17_jjP12ihipStream_tbEUljE_EEESS_ST_SU_S11_S15_S17_T6_T7_T9_mT8_S19_bDpT10_ENKUlT_T0_E_clISt17integral_constantIbLb0EES1L_IbLb1EEEEDaS1H_S1I_EUlS1H_E_NS1_11comp_targetILNS1_3genE8ELNS1_11target_archE1030ELNS1_3gpuE2ELNS1_3repE0EEENS1_30default_config_static_selectorELNS0_4arch9wavefront6targetE1EEEvSV_.uses_flat_scratch, 0
	.set _ZN7rocprim17ROCPRIM_400000_NS6detail17trampoline_kernelINS0_13select_configILj256ELj13ELNS0_17block_load_methodE3ELS4_3ELS4_3ELNS0_20block_scan_algorithmE0ELj4294967295EEENS1_25partition_config_selectorILNS1_17partition_subalgoE3EjNS0_10empty_typeEbEEZZNS1_14partition_implILS8_3ELb0ES6_jNS0_17counting_iteratorIjlEEPS9_SE_NS0_5tupleIJPjSE_EEENSF_IJSE_SE_EEES9_SG_JZNS1_25segmented_radix_sort_implINS0_14default_configELb1EPKlPlSM_SN_N2at6native12_GLOBAL__N_18offset_tEEE10hipError_tPvRmT1_PNSt15iterator_traitsISV_E10value_typeET2_T3_PNSW_IS11_E10value_typeET4_jRbjT5_S17_jjP12ihipStream_tbEUljE_EEESS_ST_SU_S11_S15_S17_T6_T7_T9_mT8_S19_bDpT10_ENKUlT_T0_E_clISt17integral_constantIbLb0EES1L_IbLb1EEEEDaS1H_S1I_EUlS1H_E_NS1_11comp_targetILNS1_3genE8ELNS1_11target_archE1030ELNS1_3gpuE2ELNS1_3repE0EEENS1_30default_config_static_selectorELNS0_4arch9wavefront6targetE1EEEvSV_.has_dyn_sized_stack, 0
	.set _ZN7rocprim17ROCPRIM_400000_NS6detail17trampoline_kernelINS0_13select_configILj256ELj13ELNS0_17block_load_methodE3ELS4_3ELS4_3ELNS0_20block_scan_algorithmE0ELj4294967295EEENS1_25partition_config_selectorILNS1_17partition_subalgoE3EjNS0_10empty_typeEbEEZZNS1_14partition_implILS8_3ELb0ES6_jNS0_17counting_iteratorIjlEEPS9_SE_NS0_5tupleIJPjSE_EEENSF_IJSE_SE_EEES9_SG_JZNS1_25segmented_radix_sort_implINS0_14default_configELb1EPKlPlSM_SN_N2at6native12_GLOBAL__N_18offset_tEEE10hipError_tPvRmT1_PNSt15iterator_traitsISV_E10value_typeET2_T3_PNSW_IS11_E10value_typeET4_jRbjT5_S17_jjP12ihipStream_tbEUljE_EEESS_ST_SU_S11_S15_S17_T6_T7_T9_mT8_S19_bDpT10_ENKUlT_T0_E_clISt17integral_constantIbLb0EES1L_IbLb1EEEEDaS1H_S1I_EUlS1H_E_NS1_11comp_targetILNS1_3genE8ELNS1_11target_archE1030ELNS1_3gpuE2ELNS1_3repE0EEENS1_30default_config_static_selectorELNS0_4arch9wavefront6targetE1EEEvSV_.has_recursion, 0
	.set _ZN7rocprim17ROCPRIM_400000_NS6detail17trampoline_kernelINS0_13select_configILj256ELj13ELNS0_17block_load_methodE3ELS4_3ELS4_3ELNS0_20block_scan_algorithmE0ELj4294967295EEENS1_25partition_config_selectorILNS1_17partition_subalgoE3EjNS0_10empty_typeEbEEZZNS1_14partition_implILS8_3ELb0ES6_jNS0_17counting_iteratorIjlEEPS9_SE_NS0_5tupleIJPjSE_EEENSF_IJSE_SE_EEES9_SG_JZNS1_25segmented_radix_sort_implINS0_14default_configELb1EPKlPlSM_SN_N2at6native12_GLOBAL__N_18offset_tEEE10hipError_tPvRmT1_PNSt15iterator_traitsISV_E10value_typeET2_T3_PNSW_IS11_E10value_typeET4_jRbjT5_S17_jjP12ihipStream_tbEUljE_EEESS_ST_SU_S11_S15_S17_T6_T7_T9_mT8_S19_bDpT10_ENKUlT_T0_E_clISt17integral_constantIbLb0EES1L_IbLb1EEEEDaS1H_S1I_EUlS1H_E_NS1_11comp_targetILNS1_3genE8ELNS1_11target_archE1030ELNS1_3gpuE2ELNS1_3repE0EEENS1_30default_config_static_selectorELNS0_4arch9wavefront6targetE1EEEvSV_.has_indirect_call, 0
	.section	.AMDGPU.csdata,"",@progbits
; Kernel info:
; codeLenInByte = 0
; TotalNumSgprs: 4
; NumVgprs: 0
; ScratchSize: 0
; MemoryBound: 0
; FloatMode: 240
; IeeeMode: 1
; LDSByteSize: 0 bytes/workgroup (compile time only)
; SGPRBlocks: 0
; VGPRBlocks: 0
; NumSGPRsForWavesPerEU: 4
; NumVGPRsForWavesPerEU: 1
; Occupancy: 10
; WaveLimiterHint : 0
; COMPUTE_PGM_RSRC2:SCRATCH_EN: 0
; COMPUTE_PGM_RSRC2:USER_SGPR: 6
; COMPUTE_PGM_RSRC2:TRAP_HANDLER: 0
; COMPUTE_PGM_RSRC2:TGID_X_EN: 1
; COMPUTE_PGM_RSRC2:TGID_Y_EN: 0
; COMPUTE_PGM_RSRC2:TGID_Z_EN: 0
; COMPUTE_PGM_RSRC2:TIDIG_COMP_CNT: 0
	.section	.text._ZN7rocprim17ROCPRIM_400000_NS6detail17trampoline_kernelINS0_14default_configENS1_36segmented_radix_sort_config_selectorIllEEZNS1_25segmented_radix_sort_implIS3_Lb1EPKlPlS8_S9_N2at6native12_GLOBAL__N_18offset_tEEE10hipError_tPvRmT1_PNSt15iterator_traitsISH_E10value_typeET2_T3_PNSI_ISN_E10value_typeET4_jRbjT5_ST_jjP12ihipStream_tbEUlT_E_NS1_11comp_targetILNS1_3genE0ELNS1_11target_archE4294967295ELNS1_3gpuE0ELNS1_3repE0EEENS1_30default_config_static_selectorELNS0_4arch9wavefront6targetE1EEEvSH_,"axG",@progbits,_ZN7rocprim17ROCPRIM_400000_NS6detail17trampoline_kernelINS0_14default_configENS1_36segmented_radix_sort_config_selectorIllEEZNS1_25segmented_radix_sort_implIS3_Lb1EPKlPlS8_S9_N2at6native12_GLOBAL__N_18offset_tEEE10hipError_tPvRmT1_PNSt15iterator_traitsISH_E10value_typeET2_T3_PNSI_ISN_E10value_typeET4_jRbjT5_ST_jjP12ihipStream_tbEUlT_E_NS1_11comp_targetILNS1_3genE0ELNS1_11target_archE4294967295ELNS1_3gpuE0ELNS1_3repE0EEENS1_30default_config_static_selectorELNS0_4arch9wavefront6targetE1EEEvSH_,comdat
	.globl	_ZN7rocprim17ROCPRIM_400000_NS6detail17trampoline_kernelINS0_14default_configENS1_36segmented_radix_sort_config_selectorIllEEZNS1_25segmented_radix_sort_implIS3_Lb1EPKlPlS8_S9_N2at6native12_GLOBAL__N_18offset_tEEE10hipError_tPvRmT1_PNSt15iterator_traitsISH_E10value_typeET2_T3_PNSI_ISN_E10value_typeET4_jRbjT5_ST_jjP12ihipStream_tbEUlT_E_NS1_11comp_targetILNS1_3genE0ELNS1_11target_archE4294967295ELNS1_3gpuE0ELNS1_3repE0EEENS1_30default_config_static_selectorELNS0_4arch9wavefront6targetE1EEEvSH_ ; -- Begin function _ZN7rocprim17ROCPRIM_400000_NS6detail17trampoline_kernelINS0_14default_configENS1_36segmented_radix_sort_config_selectorIllEEZNS1_25segmented_radix_sort_implIS3_Lb1EPKlPlS8_S9_N2at6native12_GLOBAL__N_18offset_tEEE10hipError_tPvRmT1_PNSt15iterator_traitsISH_E10value_typeET2_T3_PNSI_ISN_E10value_typeET4_jRbjT5_ST_jjP12ihipStream_tbEUlT_E_NS1_11comp_targetILNS1_3genE0ELNS1_11target_archE4294967295ELNS1_3gpuE0ELNS1_3repE0EEENS1_30default_config_static_selectorELNS0_4arch9wavefront6targetE1EEEvSH_
	.p2align	8
	.type	_ZN7rocprim17ROCPRIM_400000_NS6detail17trampoline_kernelINS0_14default_configENS1_36segmented_radix_sort_config_selectorIllEEZNS1_25segmented_radix_sort_implIS3_Lb1EPKlPlS8_S9_N2at6native12_GLOBAL__N_18offset_tEEE10hipError_tPvRmT1_PNSt15iterator_traitsISH_E10value_typeET2_T3_PNSI_ISN_E10value_typeET4_jRbjT5_ST_jjP12ihipStream_tbEUlT_E_NS1_11comp_targetILNS1_3genE0ELNS1_11target_archE4294967295ELNS1_3gpuE0ELNS1_3repE0EEENS1_30default_config_static_selectorELNS0_4arch9wavefront6targetE1EEEvSH_,@function
_ZN7rocprim17ROCPRIM_400000_NS6detail17trampoline_kernelINS0_14default_configENS1_36segmented_radix_sort_config_selectorIllEEZNS1_25segmented_radix_sort_implIS3_Lb1EPKlPlS8_S9_N2at6native12_GLOBAL__N_18offset_tEEE10hipError_tPvRmT1_PNSt15iterator_traitsISH_E10value_typeET2_T3_PNSI_ISN_E10value_typeET4_jRbjT5_ST_jjP12ihipStream_tbEUlT_E_NS1_11comp_targetILNS1_3genE0ELNS1_11target_archE4294967295ELNS1_3gpuE0ELNS1_3repE0EEENS1_30default_config_static_selectorELNS0_4arch9wavefront6targetE1EEEvSH_: ; @_ZN7rocprim17ROCPRIM_400000_NS6detail17trampoline_kernelINS0_14default_configENS1_36segmented_radix_sort_config_selectorIllEEZNS1_25segmented_radix_sort_implIS3_Lb1EPKlPlS8_S9_N2at6native12_GLOBAL__N_18offset_tEEE10hipError_tPvRmT1_PNSt15iterator_traitsISH_E10value_typeET2_T3_PNSI_ISN_E10value_typeET4_jRbjT5_ST_jjP12ihipStream_tbEUlT_E_NS1_11comp_targetILNS1_3genE0ELNS1_11target_archE4294967295ELNS1_3gpuE0ELNS1_3repE0EEENS1_30default_config_static_selectorELNS0_4arch9wavefront6targetE1EEEvSH_
; %bb.0:
	.section	.rodata,"a",@progbits
	.p2align	6, 0x0
	.amdhsa_kernel _ZN7rocprim17ROCPRIM_400000_NS6detail17trampoline_kernelINS0_14default_configENS1_36segmented_radix_sort_config_selectorIllEEZNS1_25segmented_radix_sort_implIS3_Lb1EPKlPlS8_S9_N2at6native12_GLOBAL__N_18offset_tEEE10hipError_tPvRmT1_PNSt15iterator_traitsISH_E10value_typeET2_T3_PNSI_ISN_E10value_typeET4_jRbjT5_ST_jjP12ihipStream_tbEUlT_E_NS1_11comp_targetILNS1_3genE0ELNS1_11target_archE4294967295ELNS1_3gpuE0ELNS1_3repE0EEENS1_30default_config_static_selectorELNS0_4arch9wavefront6targetE1EEEvSH_
		.amdhsa_group_segment_fixed_size 0
		.amdhsa_private_segment_fixed_size 0
		.amdhsa_kernarg_size 96
		.amdhsa_user_sgpr_count 6
		.amdhsa_user_sgpr_private_segment_buffer 1
		.amdhsa_user_sgpr_dispatch_ptr 0
		.amdhsa_user_sgpr_queue_ptr 0
		.amdhsa_user_sgpr_kernarg_segment_ptr 1
		.amdhsa_user_sgpr_dispatch_id 0
		.amdhsa_user_sgpr_flat_scratch_init 0
		.amdhsa_user_sgpr_private_segment_size 0
		.amdhsa_uses_dynamic_stack 0
		.amdhsa_system_sgpr_private_segment_wavefront_offset 0
		.amdhsa_system_sgpr_workgroup_id_x 1
		.amdhsa_system_sgpr_workgroup_id_y 0
		.amdhsa_system_sgpr_workgroup_id_z 0
		.amdhsa_system_sgpr_workgroup_info 0
		.amdhsa_system_vgpr_workitem_id 0
		.amdhsa_next_free_vgpr 1
		.amdhsa_next_free_sgpr 0
		.amdhsa_reserve_vcc 0
		.amdhsa_reserve_flat_scratch 0
		.amdhsa_float_round_mode_32 0
		.amdhsa_float_round_mode_16_64 0
		.amdhsa_float_denorm_mode_32 3
		.amdhsa_float_denorm_mode_16_64 3
		.amdhsa_dx10_clamp 1
		.amdhsa_ieee_mode 1
		.amdhsa_fp16_overflow 0
		.amdhsa_exception_fp_ieee_invalid_op 0
		.amdhsa_exception_fp_denorm_src 0
		.amdhsa_exception_fp_ieee_div_zero 0
		.amdhsa_exception_fp_ieee_overflow 0
		.amdhsa_exception_fp_ieee_underflow 0
		.amdhsa_exception_fp_ieee_inexact 0
		.amdhsa_exception_int_div_zero 0
	.end_amdhsa_kernel
	.section	.text._ZN7rocprim17ROCPRIM_400000_NS6detail17trampoline_kernelINS0_14default_configENS1_36segmented_radix_sort_config_selectorIllEEZNS1_25segmented_radix_sort_implIS3_Lb1EPKlPlS8_S9_N2at6native12_GLOBAL__N_18offset_tEEE10hipError_tPvRmT1_PNSt15iterator_traitsISH_E10value_typeET2_T3_PNSI_ISN_E10value_typeET4_jRbjT5_ST_jjP12ihipStream_tbEUlT_E_NS1_11comp_targetILNS1_3genE0ELNS1_11target_archE4294967295ELNS1_3gpuE0ELNS1_3repE0EEENS1_30default_config_static_selectorELNS0_4arch9wavefront6targetE1EEEvSH_,"axG",@progbits,_ZN7rocprim17ROCPRIM_400000_NS6detail17trampoline_kernelINS0_14default_configENS1_36segmented_radix_sort_config_selectorIllEEZNS1_25segmented_radix_sort_implIS3_Lb1EPKlPlS8_S9_N2at6native12_GLOBAL__N_18offset_tEEE10hipError_tPvRmT1_PNSt15iterator_traitsISH_E10value_typeET2_T3_PNSI_ISN_E10value_typeET4_jRbjT5_ST_jjP12ihipStream_tbEUlT_E_NS1_11comp_targetILNS1_3genE0ELNS1_11target_archE4294967295ELNS1_3gpuE0ELNS1_3repE0EEENS1_30default_config_static_selectorELNS0_4arch9wavefront6targetE1EEEvSH_,comdat
.Lfunc_end704:
	.size	_ZN7rocprim17ROCPRIM_400000_NS6detail17trampoline_kernelINS0_14default_configENS1_36segmented_radix_sort_config_selectorIllEEZNS1_25segmented_radix_sort_implIS3_Lb1EPKlPlS8_S9_N2at6native12_GLOBAL__N_18offset_tEEE10hipError_tPvRmT1_PNSt15iterator_traitsISH_E10value_typeET2_T3_PNSI_ISN_E10value_typeET4_jRbjT5_ST_jjP12ihipStream_tbEUlT_E_NS1_11comp_targetILNS1_3genE0ELNS1_11target_archE4294967295ELNS1_3gpuE0ELNS1_3repE0EEENS1_30default_config_static_selectorELNS0_4arch9wavefront6targetE1EEEvSH_, .Lfunc_end704-_ZN7rocprim17ROCPRIM_400000_NS6detail17trampoline_kernelINS0_14default_configENS1_36segmented_radix_sort_config_selectorIllEEZNS1_25segmented_radix_sort_implIS3_Lb1EPKlPlS8_S9_N2at6native12_GLOBAL__N_18offset_tEEE10hipError_tPvRmT1_PNSt15iterator_traitsISH_E10value_typeET2_T3_PNSI_ISN_E10value_typeET4_jRbjT5_ST_jjP12ihipStream_tbEUlT_E_NS1_11comp_targetILNS1_3genE0ELNS1_11target_archE4294967295ELNS1_3gpuE0ELNS1_3repE0EEENS1_30default_config_static_selectorELNS0_4arch9wavefront6targetE1EEEvSH_
                                        ; -- End function
	.set _ZN7rocprim17ROCPRIM_400000_NS6detail17trampoline_kernelINS0_14default_configENS1_36segmented_radix_sort_config_selectorIllEEZNS1_25segmented_radix_sort_implIS3_Lb1EPKlPlS8_S9_N2at6native12_GLOBAL__N_18offset_tEEE10hipError_tPvRmT1_PNSt15iterator_traitsISH_E10value_typeET2_T3_PNSI_ISN_E10value_typeET4_jRbjT5_ST_jjP12ihipStream_tbEUlT_E_NS1_11comp_targetILNS1_3genE0ELNS1_11target_archE4294967295ELNS1_3gpuE0ELNS1_3repE0EEENS1_30default_config_static_selectorELNS0_4arch9wavefront6targetE1EEEvSH_.num_vgpr, 0
	.set _ZN7rocprim17ROCPRIM_400000_NS6detail17trampoline_kernelINS0_14default_configENS1_36segmented_radix_sort_config_selectorIllEEZNS1_25segmented_radix_sort_implIS3_Lb1EPKlPlS8_S9_N2at6native12_GLOBAL__N_18offset_tEEE10hipError_tPvRmT1_PNSt15iterator_traitsISH_E10value_typeET2_T3_PNSI_ISN_E10value_typeET4_jRbjT5_ST_jjP12ihipStream_tbEUlT_E_NS1_11comp_targetILNS1_3genE0ELNS1_11target_archE4294967295ELNS1_3gpuE0ELNS1_3repE0EEENS1_30default_config_static_selectorELNS0_4arch9wavefront6targetE1EEEvSH_.num_agpr, 0
	.set _ZN7rocprim17ROCPRIM_400000_NS6detail17trampoline_kernelINS0_14default_configENS1_36segmented_radix_sort_config_selectorIllEEZNS1_25segmented_radix_sort_implIS3_Lb1EPKlPlS8_S9_N2at6native12_GLOBAL__N_18offset_tEEE10hipError_tPvRmT1_PNSt15iterator_traitsISH_E10value_typeET2_T3_PNSI_ISN_E10value_typeET4_jRbjT5_ST_jjP12ihipStream_tbEUlT_E_NS1_11comp_targetILNS1_3genE0ELNS1_11target_archE4294967295ELNS1_3gpuE0ELNS1_3repE0EEENS1_30default_config_static_selectorELNS0_4arch9wavefront6targetE1EEEvSH_.numbered_sgpr, 0
	.set _ZN7rocprim17ROCPRIM_400000_NS6detail17trampoline_kernelINS0_14default_configENS1_36segmented_radix_sort_config_selectorIllEEZNS1_25segmented_radix_sort_implIS3_Lb1EPKlPlS8_S9_N2at6native12_GLOBAL__N_18offset_tEEE10hipError_tPvRmT1_PNSt15iterator_traitsISH_E10value_typeET2_T3_PNSI_ISN_E10value_typeET4_jRbjT5_ST_jjP12ihipStream_tbEUlT_E_NS1_11comp_targetILNS1_3genE0ELNS1_11target_archE4294967295ELNS1_3gpuE0ELNS1_3repE0EEENS1_30default_config_static_selectorELNS0_4arch9wavefront6targetE1EEEvSH_.num_named_barrier, 0
	.set _ZN7rocprim17ROCPRIM_400000_NS6detail17trampoline_kernelINS0_14default_configENS1_36segmented_radix_sort_config_selectorIllEEZNS1_25segmented_radix_sort_implIS3_Lb1EPKlPlS8_S9_N2at6native12_GLOBAL__N_18offset_tEEE10hipError_tPvRmT1_PNSt15iterator_traitsISH_E10value_typeET2_T3_PNSI_ISN_E10value_typeET4_jRbjT5_ST_jjP12ihipStream_tbEUlT_E_NS1_11comp_targetILNS1_3genE0ELNS1_11target_archE4294967295ELNS1_3gpuE0ELNS1_3repE0EEENS1_30default_config_static_selectorELNS0_4arch9wavefront6targetE1EEEvSH_.private_seg_size, 0
	.set _ZN7rocprim17ROCPRIM_400000_NS6detail17trampoline_kernelINS0_14default_configENS1_36segmented_radix_sort_config_selectorIllEEZNS1_25segmented_radix_sort_implIS3_Lb1EPKlPlS8_S9_N2at6native12_GLOBAL__N_18offset_tEEE10hipError_tPvRmT1_PNSt15iterator_traitsISH_E10value_typeET2_T3_PNSI_ISN_E10value_typeET4_jRbjT5_ST_jjP12ihipStream_tbEUlT_E_NS1_11comp_targetILNS1_3genE0ELNS1_11target_archE4294967295ELNS1_3gpuE0ELNS1_3repE0EEENS1_30default_config_static_selectorELNS0_4arch9wavefront6targetE1EEEvSH_.uses_vcc, 0
	.set _ZN7rocprim17ROCPRIM_400000_NS6detail17trampoline_kernelINS0_14default_configENS1_36segmented_radix_sort_config_selectorIllEEZNS1_25segmented_radix_sort_implIS3_Lb1EPKlPlS8_S9_N2at6native12_GLOBAL__N_18offset_tEEE10hipError_tPvRmT1_PNSt15iterator_traitsISH_E10value_typeET2_T3_PNSI_ISN_E10value_typeET4_jRbjT5_ST_jjP12ihipStream_tbEUlT_E_NS1_11comp_targetILNS1_3genE0ELNS1_11target_archE4294967295ELNS1_3gpuE0ELNS1_3repE0EEENS1_30default_config_static_selectorELNS0_4arch9wavefront6targetE1EEEvSH_.uses_flat_scratch, 0
	.set _ZN7rocprim17ROCPRIM_400000_NS6detail17trampoline_kernelINS0_14default_configENS1_36segmented_radix_sort_config_selectorIllEEZNS1_25segmented_radix_sort_implIS3_Lb1EPKlPlS8_S9_N2at6native12_GLOBAL__N_18offset_tEEE10hipError_tPvRmT1_PNSt15iterator_traitsISH_E10value_typeET2_T3_PNSI_ISN_E10value_typeET4_jRbjT5_ST_jjP12ihipStream_tbEUlT_E_NS1_11comp_targetILNS1_3genE0ELNS1_11target_archE4294967295ELNS1_3gpuE0ELNS1_3repE0EEENS1_30default_config_static_selectorELNS0_4arch9wavefront6targetE1EEEvSH_.has_dyn_sized_stack, 0
	.set _ZN7rocprim17ROCPRIM_400000_NS6detail17trampoline_kernelINS0_14default_configENS1_36segmented_radix_sort_config_selectorIllEEZNS1_25segmented_radix_sort_implIS3_Lb1EPKlPlS8_S9_N2at6native12_GLOBAL__N_18offset_tEEE10hipError_tPvRmT1_PNSt15iterator_traitsISH_E10value_typeET2_T3_PNSI_ISN_E10value_typeET4_jRbjT5_ST_jjP12ihipStream_tbEUlT_E_NS1_11comp_targetILNS1_3genE0ELNS1_11target_archE4294967295ELNS1_3gpuE0ELNS1_3repE0EEENS1_30default_config_static_selectorELNS0_4arch9wavefront6targetE1EEEvSH_.has_recursion, 0
	.set _ZN7rocprim17ROCPRIM_400000_NS6detail17trampoline_kernelINS0_14default_configENS1_36segmented_radix_sort_config_selectorIllEEZNS1_25segmented_radix_sort_implIS3_Lb1EPKlPlS8_S9_N2at6native12_GLOBAL__N_18offset_tEEE10hipError_tPvRmT1_PNSt15iterator_traitsISH_E10value_typeET2_T3_PNSI_ISN_E10value_typeET4_jRbjT5_ST_jjP12ihipStream_tbEUlT_E_NS1_11comp_targetILNS1_3genE0ELNS1_11target_archE4294967295ELNS1_3gpuE0ELNS1_3repE0EEENS1_30default_config_static_selectorELNS0_4arch9wavefront6targetE1EEEvSH_.has_indirect_call, 0
	.section	.AMDGPU.csdata,"",@progbits
; Kernel info:
; codeLenInByte = 0
; TotalNumSgprs: 4
; NumVgprs: 0
; ScratchSize: 0
; MemoryBound: 0
; FloatMode: 240
; IeeeMode: 1
; LDSByteSize: 0 bytes/workgroup (compile time only)
; SGPRBlocks: 0
; VGPRBlocks: 0
; NumSGPRsForWavesPerEU: 4
; NumVGPRsForWavesPerEU: 1
; Occupancy: 10
; WaveLimiterHint : 0
; COMPUTE_PGM_RSRC2:SCRATCH_EN: 0
; COMPUTE_PGM_RSRC2:USER_SGPR: 6
; COMPUTE_PGM_RSRC2:TRAP_HANDLER: 0
; COMPUTE_PGM_RSRC2:TGID_X_EN: 1
; COMPUTE_PGM_RSRC2:TGID_Y_EN: 0
; COMPUTE_PGM_RSRC2:TGID_Z_EN: 0
; COMPUTE_PGM_RSRC2:TIDIG_COMP_CNT: 0
	.section	.text._ZN7rocprim17ROCPRIM_400000_NS6detail17trampoline_kernelINS0_14default_configENS1_36segmented_radix_sort_config_selectorIllEEZNS1_25segmented_radix_sort_implIS3_Lb1EPKlPlS8_S9_N2at6native12_GLOBAL__N_18offset_tEEE10hipError_tPvRmT1_PNSt15iterator_traitsISH_E10value_typeET2_T3_PNSI_ISN_E10value_typeET4_jRbjT5_ST_jjP12ihipStream_tbEUlT_E_NS1_11comp_targetILNS1_3genE5ELNS1_11target_archE942ELNS1_3gpuE9ELNS1_3repE0EEENS1_30default_config_static_selectorELNS0_4arch9wavefront6targetE1EEEvSH_,"axG",@progbits,_ZN7rocprim17ROCPRIM_400000_NS6detail17trampoline_kernelINS0_14default_configENS1_36segmented_radix_sort_config_selectorIllEEZNS1_25segmented_radix_sort_implIS3_Lb1EPKlPlS8_S9_N2at6native12_GLOBAL__N_18offset_tEEE10hipError_tPvRmT1_PNSt15iterator_traitsISH_E10value_typeET2_T3_PNSI_ISN_E10value_typeET4_jRbjT5_ST_jjP12ihipStream_tbEUlT_E_NS1_11comp_targetILNS1_3genE5ELNS1_11target_archE942ELNS1_3gpuE9ELNS1_3repE0EEENS1_30default_config_static_selectorELNS0_4arch9wavefront6targetE1EEEvSH_,comdat
	.globl	_ZN7rocprim17ROCPRIM_400000_NS6detail17trampoline_kernelINS0_14default_configENS1_36segmented_radix_sort_config_selectorIllEEZNS1_25segmented_radix_sort_implIS3_Lb1EPKlPlS8_S9_N2at6native12_GLOBAL__N_18offset_tEEE10hipError_tPvRmT1_PNSt15iterator_traitsISH_E10value_typeET2_T3_PNSI_ISN_E10value_typeET4_jRbjT5_ST_jjP12ihipStream_tbEUlT_E_NS1_11comp_targetILNS1_3genE5ELNS1_11target_archE942ELNS1_3gpuE9ELNS1_3repE0EEENS1_30default_config_static_selectorELNS0_4arch9wavefront6targetE1EEEvSH_ ; -- Begin function _ZN7rocprim17ROCPRIM_400000_NS6detail17trampoline_kernelINS0_14default_configENS1_36segmented_radix_sort_config_selectorIllEEZNS1_25segmented_radix_sort_implIS3_Lb1EPKlPlS8_S9_N2at6native12_GLOBAL__N_18offset_tEEE10hipError_tPvRmT1_PNSt15iterator_traitsISH_E10value_typeET2_T3_PNSI_ISN_E10value_typeET4_jRbjT5_ST_jjP12ihipStream_tbEUlT_E_NS1_11comp_targetILNS1_3genE5ELNS1_11target_archE942ELNS1_3gpuE9ELNS1_3repE0EEENS1_30default_config_static_selectorELNS0_4arch9wavefront6targetE1EEEvSH_
	.p2align	8
	.type	_ZN7rocprim17ROCPRIM_400000_NS6detail17trampoline_kernelINS0_14default_configENS1_36segmented_radix_sort_config_selectorIllEEZNS1_25segmented_radix_sort_implIS3_Lb1EPKlPlS8_S9_N2at6native12_GLOBAL__N_18offset_tEEE10hipError_tPvRmT1_PNSt15iterator_traitsISH_E10value_typeET2_T3_PNSI_ISN_E10value_typeET4_jRbjT5_ST_jjP12ihipStream_tbEUlT_E_NS1_11comp_targetILNS1_3genE5ELNS1_11target_archE942ELNS1_3gpuE9ELNS1_3repE0EEENS1_30default_config_static_selectorELNS0_4arch9wavefront6targetE1EEEvSH_,@function
_ZN7rocprim17ROCPRIM_400000_NS6detail17trampoline_kernelINS0_14default_configENS1_36segmented_radix_sort_config_selectorIllEEZNS1_25segmented_radix_sort_implIS3_Lb1EPKlPlS8_S9_N2at6native12_GLOBAL__N_18offset_tEEE10hipError_tPvRmT1_PNSt15iterator_traitsISH_E10value_typeET2_T3_PNSI_ISN_E10value_typeET4_jRbjT5_ST_jjP12ihipStream_tbEUlT_E_NS1_11comp_targetILNS1_3genE5ELNS1_11target_archE942ELNS1_3gpuE9ELNS1_3repE0EEENS1_30default_config_static_selectorELNS0_4arch9wavefront6targetE1EEEvSH_: ; @_ZN7rocprim17ROCPRIM_400000_NS6detail17trampoline_kernelINS0_14default_configENS1_36segmented_radix_sort_config_selectorIllEEZNS1_25segmented_radix_sort_implIS3_Lb1EPKlPlS8_S9_N2at6native12_GLOBAL__N_18offset_tEEE10hipError_tPvRmT1_PNSt15iterator_traitsISH_E10value_typeET2_T3_PNSI_ISN_E10value_typeET4_jRbjT5_ST_jjP12ihipStream_tbEUlT_E_NS1_11comp_targetILNS1_3genE5ELNS1_11target_archE942ELNS1_3gpuE9ELNS1_3repE0EEENS1_30default_config_static_selectorELNS0_4arch9wavefront6targetE1EEEvSH_
; %bb.0:
	.section	.rodata,"a",@progbits
	.p2align	6, 0x0
	.amdhsa_kernel _ZN7rocprim17ROCPRIM_400000_NS6detail17trampoline_kernelINS0_14default_configENS1_36segmented_radix_sort_config_selectorIllEEZNS1_25segmented_radix_sort_implIS3_Lb1EPKlPlS8_S9_N2at6native12_GLOBAL__N_18offset_tEEE10hipError_tPvRmT1_PNSt15iterator_traitsISH_E10value_typeET2_T3_PNSI_ISN_E10value_typeET4_jRbjT5_ST_jjP12ihipStream_tbEUlT_E_NS1_11comp_targetILNS1_3genE5ELNS1_11target_archE942ELNS1_3gpuE9ELNS1_3repE0EEENS1_30default_config_static_selectorELNS0_4arch9wavefront6targetE1EEEvSH_
		.amdhsa_group_segment_fixed_size 0
		.amdhsa_private_segment_fixed_size 0
		.amdhsa_kernarg_size 96
		.amdhsa_user_sgpr_count 6
		.amdhsa_user_sgpr_private_segment_buffer 1
		.amdhsa_user_sgpr_dispatch_ptr 0
		.amdhsa_user_sgpr_queue_ptr 0
		.amdhsa_user_sgpr_kernarg_segment_ptr 1
		.amdhsa_user_sgpr_dispatch_id 0
		.amdhsa_user_sgpr_flat_scratch_init 0
		.amdhsa_user_sgpr_private_segment_size 0
		.amdhsa_uses_dynamic_stack 0
		.amdhsa_system_sgpr_private_segment_wavefront_offset 0
		.amdhsa_system_sgpr_workgroup_id_x 1
		.amdhsa_system_sgpr_workgroup_id_y 0
		.amdhsa_system_sgpr_workgroup_id_z 0
		.amdhsa_system_sgpr_workgroup_info 0
		.amdhsa_system_vgpr_workitem_id 0
		.amdhsa_next_free_vgpr 1
		.amdhsa_next_free_sgpr 0
		.amdhsa_reserve_vcc 0
		.amdhsa_reserve_flat_scratch 0
		.amdhsa_float_round_mode_32 0
		.amdhsa_float_round_mode_16_64 0
		.amdhsa_float_denorm_mode_32 3
		.amdhsa_float_denorm_mode_16_64 3
		.amdhsa_dx10_clamp 1
		.amdhsa_ieee_mode 1
		.amdhsa_fp16_overflow 0
		.amdhsa_exception_fp_ieee_invalid_op 0
		.amdhsa_exception_fp_denorm_src 0
		.amdhsa_exception_fp_ieee_div_zero 0
		.amdhsa_exception_fp_ieee_overflow 0
		.amdhsa_exception_fp_ieee_underflow 0
		.amdhsa_exception_fp_ieee_inexact 0
		.amdhsa_exception_int_div_zero 0
	.end_amdhsa_kernel
	.section	.text._ZN7rocprim17ROCPRIM_400000_NS6detail17trampoline_kernelINS0_14default_configENS1_36segmented_radix_sort_config_selectorIllEEZNS1_25segmented_radix_sort_implIS3_Lb1EPKlPlS8_S9_N2at6native12_GLOBAL__N_18offset_tEEE10hipError_tPvRmT1_PNSt15iterator_traitsISH_E10value_typeET2_T3_PNSI_ISN_E10value_typeET4_jRbjT5_ST_jjP12ihipStream_tbEUlT_E_NS1_11comp_targetILNS1_3genE5ELNS1_11target_archE942ELNS1_3gpuE9ELNS1_3repE0EEENS1_30default_config_static_selectorELNS0_4arch9wavefront6targetE1EEEvSH_,"axG",@progbits,_ZN7rocprim17ROCPRIM_400000_NS6detail17trampoline_kernelINS0_14default_configENS1_36segmented_radix_sort_config_selectorIllEEZNS1_25segmented_radix_sort_implIS3_Lb1EPKlPlS8_S9_N2at6native12_GLOBAL__N_18offset_tEEE10hipError_tPvRmT1_PNSt15iterator_traitsISH_E10value_typeET2_T3_PNSI_ISN_E10value_typeET4_jRbjT5_ST_jjP12ihipStream_tbEUlT_E_NS1_11comp_targetILNS1_3genE5ELNS1_11target_archE942ELNS1_3gpuE9ELNS1_3repE0EEENS1_30default_config_static_selectorELNS0_4arch9wavefront6targetE1EEEvSH_,comdat
.Lfunc_end705:
	.size	_ZN7rocprim17ROCPRIM_400000_NS6detail17trampoline_kernelINS0_14default_configENS1_36segmented_radix_sort_config_selectorIllEEZNS1_25segmented_radix_sort_implIS3_Lb1EPKlPlS8_S9_N2at6native12_GLOBAL__N_18offset_tEEE10hipError_tPvRmT1_PNSt15iterator_traitsISH_E10value_typeET2_T3_PNSI_ISN_E10value_typeET4_jRbjT5_ST_jjP12ihipStream_tbEUlT_E_NS1_11comp_targetILNS1_3genE5ELNS1_11target_archE942ELNS1_3gpuE9ELNS1_3repE0EEENS1_30default_config_static_selectorELNS0_4arch9wavefront6targetE1EEEvSH_, .Lfunc_end705-_ZN7rocprim17ROCPRIM_400000_NS6detail17trampoline_kernelINS0_14default_configENS1_36segmented_radix_sort_config_selectorIllEEZNS1_25segmented_radix_sort_implIS3_Lb1EPKlPlS8_S9_N2at6native12_GLOBAL__N_18offset_tEEE10hipError_tPvRmT1_PNSt15iterator_traitsISH_E10value_typeET2_T3_PNSI_ISN_E10value_typeET4_jRbjT5_ST_jjP12ihipStream_tbEUlT_E_NS1_11comp_targetILNS1_3genE5ELNS1_11target_archE942ELNS1_3gpuE9ELNS1_3repE0EEENS1_30default_config_static_selectorELNS0_4arch9wavefront6targetE1EEEvSH_
                                        ; -- End function
	.set _ZN7rocprim17ROCPRIM_400000_NS6detail17trampoline_kernelINS0_14default_configENS1_36segmented_radix_sort_config_selectorIllEEZNS1_25segmented_radix_sort_implIS3_Lb1EPKlPlS8_S9_N2at6native12_GLOBAL__N_18offset_tEEE10hipError_tPvRmT1_PNSt15iterator_traitsISH_E10value_typeET2_T3_PNSI_ISN_E10value_typeET4_jRbjT5_ST_jjP12ihipStream_tbEUlT_E_NS1_11comp_targetILNS1_3genE5ELNS1_11target_archE942ELNS1_3gpuE9ELNS1_3repE0EEENS1_30default_config_static_selectorELNS0_4arch9wavefront6targetE1EEEvSH_.num_vgpr, 0
	.set _ZN7rocprim17ROCPRIM_400000_NS6detail17trampoline_kernelINS0_14default_configENS1_36segmented_radix_sort_config_selectorIllEEZNS1_25segmented_radix_sort_implIS3_Lb1EPKlPlS8_S9_N2at6native12_GLOBAL__N_18offset_tEEE10hipError_tPvRmT1_PNSt15iterator_traitsISH_E10value_typeET2_T3_PNSI_ISN_E10value_typeET4_jRbjT5_ST_jjP12ihipStream_tbEUlT_E_NS1_11comp_targetILNS1_3genE5ELNS1_11target_archE942ELNS1_3gpuE9ELNS1_3repE0EEENS1_30default_config_static_selectorELNS0_4arch9wavefront6targetE1EEEvSH_.num_agpr, 0
	.set _ZN7rocprim17ROCPRIM_400000_NS6detail17trampoline_kernelINS0_14default_configENS1_36segmented_radix_sort_config_selectorIllEEZNS1_25segmented_radix_sort_implIS3_Lb1EPKlPlS8_S9_N2at6native12_GLOBAL__N_18offset_tEEE10hipError_tPvRmT1_PNSt15iterator_traitsISH_E10value_typeET2_T3_PNSI_ISN_E10value_typeET4_jRbjT5_ST_jjP12ihipStream_tbEUlT_E_NS1_11comp_targetILNS1_3genE5ELNS1_11target_archE942ELNS1_3gpuE9ELNS1_3repE0EEENS1_30default_config_static_selectorELNS0_4arch9wavefront6targetE1EEEvSH_.numbered_sgpr, 0
	.set _ZN7rocprim17ROCPRIM_400000_NS6detail17trampoline_kernelINS0_14default_configENS1_36segmented_radix_sort_config_selectorIllEEZNS1_25segmented_radix_sort_implIS3_Lb1EPKlPlS8_S9_N2at6native12_GLOBAL__N_18offset_tEEE10hipError_tPvRmT1_PNSt15iterator_traitsISH_E10value_typeET2_T3_PNSI_ISN_E10value_typeET4_jRbjT5_ST_jjP12ihipStream_tbEUlT_E_NS1_11comp_targetILNS1_3genE5ELNS1_11target_archE942ELNS1_3gpuE9ELNS1_3repE0EEENS1_30default_config_static_selectorELNS0_4arch9wavefront6targetE1EEEvSH_.num_named_barrier, 0
	.set _ZN7rocprim17ROCPRIM_400000_NS6detail17trampoline_kernelINS0_14default_configENS1_36segmented_radix_sort_config_selectorIllEEZNS1_25segmented_radix_sort_implIS3_Lb1EPKlPlS8_S9_N2at6native12_GLOBAL__N_18offset_tEEE10hipError_tPvRmT1_PNSt15iterator_traitsISH_E10value_typeET2_T3_PNSI_ISN_E10value_typeET4_jRbjT5_ST_jjP12ihipStream_tbEUlT_E_NS1_11comp_targetILNS1_3genE5ELNS1_11target_archE942ELNS1_3gpuE9ELNS1_3repE0EEENS1_30default_config_static_selectorELNS0_4arch9wavefront6targetE1EEEvSH_.private_seg_size, 0
	.set _ZN7rocprim17ROCPRIM_400000_NS6detail17trampoline_kernelINS0_14default_configENS1_36segmented_radix_sort_config_selectorIllEEZNS1_25segmented_radix_sort_implIS3_Lb1EPKlPlS8_S9_N2at6native12_GLOBAL__N_18offset_tEEE10hipError_tPvRmT1_PNSt15iterator_traitsISH_E10value_typeET2_T3_PNSI_ISN_E10value_typeET4_jRbjT5_ST_jjP12ihipStream_tbEUlT_E_NS1_11comp_targetILNS1_3genE5ELNS1_11target_archE942ELNS1_3gpuE9ELNS1_3repE0EEENS1_30default_config_static_selectorELNS0_4arch9wavefront6targetE1EEEvSH_.uses_vcc, 0
	.set _ZN7rocprim17ROCPRIM_400000_NS6detail17trampoline_kernelINS0_14default_configENS1_36segmented_radix_sort_config_selectorIllEEZNS1_25segmented_radix_sort_implIS3_Lb1EPKlPlS8_S9_N2at6native12_GLOBAL__N_18offset_tEEE10hipError_tPvRmT1_PNSt15iterator_traitsISH_E10value_typeET2_T3_PNSI_ISN_E10value_typeET4_jRbjT5_ST_jjP12ihipStream_tbEUlT_E_NS1_11comp_targetILNS1_3genE5ELNS1_11target_archE942ELNS1_3gpuE9ELNS1_3repE0EEENS1_30default_config_static_selectorELNS0_4arch9wavefront6targetE1EEEvSH_.uses_flat_scratch, 0
	.set _ZN7rocprim17ROCPRIM_400000_NS6detail17trampoline_kernelINS0_14default_configENS1_36segmented_radix_sort_config_selectorIllEEZNS1_25segmented_radix_sort_implIS3_Lb1EPKlPlS8_S9_N2at6native12_GLOBAL__N_18offset_tEEE10hipError_tPvRmT1_PNSt15iterator_traitsISH_E10value_typeET2_T3_PNSI_ISN_E10value_typeET4_jRbjT5_ST_jjP12ihipStream_tbEUlT_E_NS1_11comp_targetILNS1_3genE5ELNS1_11target_archE942ELNS1_3gpuE9ELNS1_3repE0EEENS1_30default_config_static_selectorELNS0_4arch9wavefront6targetE1EEEvSH_.has_dyn_sized_stack, 0
	.set _ZN7rocprim17ROCPRIM_400000_NS6detail17trampoline_kernelINS0_14default_configENS1_36segmented_radix_sort_config_selectorIllEEZNS1_25segmented_radix_sort_implIS3_Lb1EPKlPlS8_S9_N2at6native12_GLOBAL__N_18offset_tEEE10hipError_tPvRmT1_PNSt15iterator_traitsISH_E10value_typeET2_T3_PNSI_ISN_E10value_typeET4_jRbjT5_ST_jjP12ihipStream_tbEUlT_E_NS1_11comp_targetILNS1_3genE5ELNS1_11target_archE942ELNS1_3gpuE9ELNS1_3repE0EEENS1_30default_config_static_selectorELNS0_4arch9wavefront6targetE1EEEvSH_.has_recursion, 0
	.set _ZN7rocprim17ROCPRIM_400000_NS6detail17trampoline_kernelINS0_14default_configENS1_36segmented_radix_sort_config_selectorIllEEZNS1_25segmented_radix_sort_implIS3_Lb1EPKlPlS8_S9_N2at6native12_GLOBAL__N_18offset_tEEE10hipError_tPvRmT1_PNSt15iterator_traitsISH_E10value_typeET2_T3_PNSI_ISN_E10value_typeET4_jRbjT5_ST_jjP12ihipStream_tbEUlT_E_NS1_11comp_targetILNS1_3genE5ELNS1_11target_archE942ELNS1_3gpuE9ELNS1_3repE0EEENS1_30default_config_static_selectorELNS0_4arch9wavefront6targetE1EEEvSH_.has_indirect_call, 0
	.section	.AMDGPU.csdata,"",@progbits
; Kernel info:
; codeLenInByte = 0
; TotalNumSgprs: 4
; NumVgprs: 0
; ScratchSize: 0
; MemoryBound: 0
; FloatMode: 240
; IeeeMode: 1
; LDSByteSize: 0 bytes/workgroup (compile time only)
; SGPRBlocks: 0
; VGPRBlocks: 0
; NumSGPRsForWavesPerEU: 4
; NumVGPRsForWavesPerEU: 1
; Occupancy: 10
; WaveLimiterHint : 0
; COMPUTE_PGM_RSRC2:SCRATCH_EN: 0
; COMPUTE_PGM_RSRC2:USER_SGPR: 6
; COMPUTE_PGM_RSRC2:TRAP_HANDLER: 0
; COMPUTE_PGM_RSRC2:TGID_X_EN: 1
; COMPUTE_PGM_RSRC2:TGID_Y_EN: 0
; COMPUTE_PGM_RSRC2:TGID_Z_EN: 0
; COMPUTE_PGM_RSRC2:TIDIG_COMP_CNT: 0
	.section	.text._ZN7rocprim17ROCPRIM_400000_NS6detail17trampoline_kernelINS0_14default_configENS1_36segmented_radix_sort_config_selectorIllEEZNS1_25segmented_radix_sort_implIS3_Lb1EPKlPlS8_S9_N2at6native12_GLOBAL__N_18offset_tEEE10hipError_tPvRmT1_PNSt15iterator_traitsISH_E10value_typeET2_T3_PNSI_ISN_E10value_typeET4_jRbjT5_ST_jjP12ihipStream_tbEUlT_E_NS1_11comp_targetILNS1_3genE4ELNS1_11target_archE910ELNS1_3gpuE8ELNS1_3repE0EEENS1_30default_config_static_selectorELNS0_4arch9wavefront6targetE1EEEvSH_,"axG",@progbits,_ZN7rocprim17ROCPRIM_400000_NS6detail17trampoline_kernelINS0_14default_configENS1_36segmented_radix_sort_config_selectorIllEEZNS1_25segmented_radix_sort_implIS3_Lb1EPKlPlS8_S9_N2at6native12_GLOBAL__N_18offset_tEEE10hipError_tPvRmT1_PNSt15iterator_traitsISH_E10value_typeET2_T3_PNSI_ISN_E10value_typeET4_jRbjT5_ST_jjP12ihipStream_tbEUlT_E_NS1_11comp_targetILNS1_3genE4ELNS1_11target_archE910ELNS1_3gpuE8ELNS1_3repE0EEENS1_30default_config_static_selectorELNS0_4arch9wavefront6targetE1EEEvSH_,comdat
	.globl	_ZN7rocprim17ROCPRIM_400000_NS6detail17trampoline_kernelINS0_14default_configENS1_36segmented_radix_sort_config_selectorIllEEZNS1_25segmented_radix_sort_implIS3_Lb1EPKlPlS8_S9_N2at6native12_GLOBAL__N_18offset_tEEE10hipError_tPvRmT1_PNSt15iterator_traitsISH_E10value_typeET2_T3_PNSI_ISN_E10value_typeET4_jRbjT5_ST_jjP12ihipStream_tbEUlT_E_NS1_11comp_targetILNS1_3genE4ELNS1_11target_archE910ELNS1_3gpuE8ELNS1_3repE0EEENS1_30default_config_static_selectorELNS0_4arch9wavefront6targetE1EEEvSH_ ; -- Begin function _ZN7rocprim17ROCPRIM_400000_NS6detail17trampoline_kernelINS0_14default_configENS1_36segmented_radix_sort_config_selectorIllEEZNS1_25segmented_radix_sort_implIS3_Lb1EPKlPlS8_S9_N2at6native12_GLOBAL__N_18offset_tEEE10hipError_tPvRmT1_PNSt15iterator_traitsISH_E10value_typeET2_T3_PNSI_ISN_E10value_typeET4_jRbjT5_ST_jjP12ihipStream_tbEUlT_E_NS1_11comp_targetILNS1_3genE4ELNS1_11target_archE910ELNS1_3gpuE8ELNS1_3repE0EEENS1_30default_config_static_selectorELNS0_4arch9wavefront6targetE1EEEvSH_
	.p2align	8
	.type	_ZN7rocprim17ROCPRIM_400000_NS6detail17trampoline_kernelINS0_14default_configENS1_36segmented_radix_sort_config_selectorIllEEZNS1_25segmented_radix_sort_implIS3_Lb1EPKlPlS8_S9_N2at6native12_GLOBAL__N_18offset_tEEE10hipError_tPvRmT1_PNSt15iterator_traitsISH_E10value_typeET2_T3_PNSI_ISN_E10value_typeET4_jRbjT5_ST_jjP12ihipStream_tbEUlT_E_NS1_11comp_targetILNS1_3genE4ELNS1_11target_archE910ELNS1_3gpuE8ELNS1_3repE0EEENS1_30default_config_static_selectorELNS0_4arch9wavefront6targetE1EEEvSH_,@function
_ZN7rocprim17ROCPRIM_400000_NS6detail17trampoline_kernelINS0_14default_configENS1_36segmented_radix_sort_config_selectorIllEEZNS1_25segmented_radix_sort_implIS3_Lb1EPKlPlS8_S9_N2at6native12_GLOBAL__N_18offset_tEEE10hipError_tPvRmT1_PNSt15iterator_traitsISH_E10value_typeET2_T3_PNSI_ISN_E10value_typeET4_jRbjT5_ST_jjP12ihipStream_tbEUlT_E_NS1_11comp_targetILNS1_3genE4ELNS1_11target_archE910ELNS1_3gpuE8ELNS1_3repE0EEENS1_30default_config_static_selectorELNS0_4arch9wavefront6targetE1EEEvSH_: ; @_ZN7rocprim17ROCPRIM_400000_NS6detail17trampoline_kernelINS0_14default_configENS1_36segmented_radix_sort_config_selectorIllEEZNS1_25segmented_radix_sort_implIS3_Lb1EPKlPlS8_S9_N2at6native12_GLOBAL__N_18offset_tEEE10hipError_tPvRmT1_PNSt15iterator_traitsISH_E10value_typeET2_T3_PNSI_ISN_E10value_typeET4_jRbjT5_ST_jjP12ihipStream_tbEUlT_E_NS1_11comp_targetILNS1_3genE4ELNS1_11target_archE910ELNS1_3gpuE8ELNS1_3repE0EEENS1_30default_config_static_selectorELNS0_4arch9wavefront6targetE1EEEvSH_
; %bb.0:
	.section	.rodata,"a",@progbits
	.p2align	6, 0x0
	.amdhsa_kernel _ZN7rocprim17ROCPRIM_400000_NS6detail17trampoline_kernelINS0_14default_configENS1_36segmented_radix_sort_config_selectorIllEEZNS1_25segmented_radix_sort_implIS3_Lb1EPKlPlS8_S9_N2at6native12_GLOBAL__N_18offset_tEEE10hipError_tPvRmT1_PNSt15iterator_traitsISH_E10value_typeET2_T3_PNSI_ISN_E10value_typeET4_jRbjT5_ST_jjP12ihipStream_tbEUlT_E_NS1_11comp_targetILNS1_3genE4ELNS1_11target_archE910ELNS1_3gpuE8ELNS1_3repE0EEENS1_30default_config_static_selectorELNS0_4arch9wavefront6targetE1EEEvSH_
		.amdhsa_group_segment_fixed_size 0
		.amdhsa_private_segment_fixed_size 0
		.amdhsa_kernarg_size 96
		.amdhsa_user_sgpr_count 6
		.amdhsa_user_sgpr_private_segment_buffer 1
		.amdhsa_user_sgpr_dispatch_ptr 0
		.amdhsa_user_sgpr_queue_ptr 0
		.amdhsa_user_sgpr_kernarg_segment_ptr 1
		.amdhsa_user_sgpr_dispatch_id 0
		.amdhsa_user_sgpr_flat_scratch_init 0
		.amdhsa_user_sgpr_private_segment_size 0
		.amdhsa_uses_dynamic_stack 0
		.amdhsa_system_sgpr_private_segment_wavefront_offset 0
		.amdhsa_system_sgpr_workgroup_id_x 1
		.amdhsa_system_sgpr_workgroup_id_y 0
		.amdhsa_system_sgpr_workgroup_id_z 0
		.amdhsa_system_sgpr_workgroup_info 0
		.amdhsa_system_vgpr_workitem_id 0
		.amdhsa_next_free_vgpr 1
		.amdhsa_next_free_sgpr 0
		.amdhsa_reserve_vcc 0
		.amdhsa_reserve_flat_scratch 0
		.amdhsa_float_round_mode_32 0
		.amdhsa_float_round_mode_16_64 0
		.amdhsa_float_denorm_mode_32 3
		.amdhsa_float_denorm_mode_16_64 3
		.amdhsa_dx10_clamp 1
		.amdhsa_ieee_mode 1
		.amdhsa_fp16_overflow 0
		.amdhsa_exception_fp_ieee_invalid_op 0
		.amdhsa_exception_fp_denorm_src 0
		.amdhsa_exception_fp_ieee_div_zero 0
		.amdhsa_exception_fp_ieee_overflow 0
		.amdhsa_exception_fp_ieee_underflow 0
		.amdhsa_exception_fp_ieee_inexact 0
		.amdhsa_exception_int_div_zero 0
	.end_amdhsa_kernel
	.section	.text._ZN7rocprim17ROCPRIM_400000_NS6detail17trampoline_kernelINS0_14default_configENS1_36segmented_radix_sort_config_selectorIllEEZNS1_25segmented_radix_sort_implIS3_Lb1EPKlPlS8_S9_N2at6native12_GLOBAL__N_18offset_tEEE10hipError_tPvRmT1_PNSt15iterator_traitsISH_E10value_typeET2_T3_PNSI_ISN_E10value_typeET4_jRbjT5_ST_jjP12ihipStream_tbEUlT_E_NS1_11comp_targetILNS1_3genE4ELNS1_11target_archE910ELNS1_3gpuE8ELNS1_3repE0EEENS1_30default_config_static_selectorELNS0_4arch9wavefront6targetE1EEEvSH_,"axG",@progbits,_ZN7rocprim17ROCPRIM_400000_NS6detail17trampoline_kernelINS0_14default_configENS1_36segmented_radix_sort_config_selectorIllEEZNS1_25segmented_radix_sort_implIS3_Lb1EPKlPlS8_S9_N2at6native12_GLOBAL__N_18offset_tEEE10hipError_tPvRmT1_PNSt15iterator_traitsISH_E10value_typeET2_T3_PNSI_ISN_E10value_typeET4_jRbjT5_ST_jjP12ihipStream_tbEUlT_E_NS1_11comp_targetILNS1_3genE4ELNS1_11target_archE910ELNS1_3gpuE8ELNS1_3repE0EEENS1_30default_config_static_selectorELNS0_4arch9wavefront6targetE1EEEvSH_,comdat
.Lfunc_end706:
	.size	_ZN7rocprim17ROCPRIM_400000_NS6detail17trampoline_kernelINS0_14default_configENS1_36segmented_radix_sort_config_selectorIllEEZNS1_25segmented_radix_sort_implIS3_Lb1EPKlPlS8_S9_N2at6native12_GLOBAL__N_18offset_tEEE10hipError_tPvRmT1_PNSt15iterator_traitsISH_E10value_typeET2_T3_PNSI_ISN_E10value_typeET4_jRbjT5_ST_jjP12ihipStream_tbEUlT_E_NS1_11comp_targetILNS1_3genE4ELNS1_11target_archE910ELNS1_3gpuE8ELNS1_3repE0EEENS1_30default_config_static_selectorELNS0_4arch9wavefront6targetE1EEEvSH_, .Lfunc_end706-_ZN7rocprim17ROCPRIM_400000_NS6detail17trampoline_kernelINS0_14default_configENS1_36segmented_radix_sort_config_selectorIllEEZNS1_25segmented_radix_sort_implIS3_Lb1EPKlPlS8_S9_N2at6native12_GLOBAL__N_18offset_tEEE10hipError_tPvRmT1_PNSt15iterator_traitsISH_E10value_typeET2_T3_PNSI_ISN_E10value_typeET4_jRbjT5_ST_jjP12ihipStream_tbEUlT_E_NS1_11comp_targetILNS1_3genE4ELNS1_11target_archE910ELNS1_3gpuE8ELNS1_3repE0EEENS1_30default_config_static_selectorELNS0_4arch9wavefront6targetE1EEEvSH_
                                        ; -- End function
	.set _ZN7rocprim17ROCPRIM_400000_NS6detail17trampoline_kernelINS0_14default_configENS1_36segmented_radix_sort_config_selectorIllEEZNS1_25segmented_radix_sort_implIS3_Lb1EPKlPlS8_S9_N2at6native12_GLOBAL__N_18offset_tEEE10hipError_tPvRmT1_PNSt15iterator_traitsISH_E10value_typeET2_T3_PNSI_ISN_E10value_typeET4_jRbjT5_ST_jjP12ihipStream_tbEUlT_E_NS1_11comp_targetILNS1_3genE4ELNS1_11target_archE910ELNS1_3gpuE8ELNS1_3repE0EEENS1_30default_config_static_selectorELNS0_4arch9wavefront6targetE1EEEvSH_.num_vgpr, 0
	.set _ZN7rocprim17ROCPRIM_400000_NS6detail17trampoline_kernelINS0_14default_configENS1_36segmented_radix_sort_config_selectorIllEEZNS1_25segmented_radix_sort_implIS3_Lb1EPKlPlS8_S9_N2at6native12_GLOBAL__N_18offset_tEEE10hipError_tPvRmT1_PNSt15iterator_traitsISH_E10value_typeET2_T3_PNSI_ISN_E10value_typeET4_jRbjT5_ST_jjP12ihipStream_tbEUlT_E_NS1_11comp_targetILNS1_3genE4ELNS1_11target_archE910ELNS1_3gpuE8ELNS1_3repE0EEENS1_30default_config_static_selectorELNS0_4arch9wavefront6targetE1EEEvSH_.num_agpr, 0
	.set _ZN7rocprim17ROCPRIM_400000_NS6detail17trampoline_kernelINS0_14default_configENS1_36segmented_radix_sort_config_selectorIllEEZNS1_25segmented_radix_sort_implIS3_Lb1EPKlPlS8_S9_N2at6native12_GLOBAL__N_18offset_tEEE10hipError_tPvRmT1_PNSt15iterator_traitsISH_E10value_typeET2_T3_PNSI_ISN_E10value_typeET4_jRbjT5_ST_jjP12ihipStream_tbEUlT_E_NS1_11comp_targetILNS1_3genE4ELNS1_11target_archE910ELNS1_3gpuE8ELNS1_3repE0EEENS1_30default_config_static_selectorELNS0_4arch9wavefront6targetE1EEEvSH_.numbered_sgpr, 0
	.set _ZN7rocprim17ROCPRIM_400000_NS6detail17trampoline_kernelINS0_14default_configENS1_36segmented_radix_sort_config_selectorIllEEZNS1_25segmented_radix_sort_implIS3_Lb1EPKlPlS8_S9_N2at6native12_GLOBAL__N_18offset_tEEE10hipError_tPvRmT1_PNSt15iterator_traitsISH_E10value_typeET2_T3_PNSI_ISN_E10value_typeET4_jRbjT5_ST_jjP12ihipStream_tbEUlT_E_NS1_11comp_targetILNS1_3genE4ELNS1_11target_archE910ELNS1_3gpuE8ELNS1_3repE0EEENS1_30default_config_static_selectorELNS0_4arch9wavefront6targetE1EEEvSH_.num_named_barrier, 0
	.set _ZN7rocprim17ROCPRIM_400000_NS6detail17trampoline_kernelINS0_14default_configENS1_36segmented_radix_sort_config_selectorIllEEZNS1_25segmented_radix_sort_implIS3_Lb1EPKlPlS8_S9_N2at6native12_GLOBAL__N_18offset_tEEE10hipError_tPvRmT1_PNSt15iterator_traitsISH_E10value_typeET2_T3_PNSI_ISN_E10value_typeET4_jRbjT5_ST_jjP12ihipStream_tbEUlT_E_NS1_11comp_targetILNS1_3genE4ELNS1_11target_archE910ELNS1_3gpuE8ELNS1_3repE0EEENS1_30default_config_static_selectorELNS0_4arch9wavefront6targetE1EEEvSH_.private_seg_size, 0
	.set _ZN7rocprim17ROCPRIM_400000_NS6detail17trampoline_kernelINS0_14default_configENS1_36segmented_radix_sort_config_selectorIllEEZNS1_25segmented_radix_sort_implIS3_Lb1EPKlPlS8_S9_N2at6native12_GLOBAL__N_18offset_tEEE10hipError_tPvRmT1_PNSt15iterator_traitsISH_E10value_typeET2_T3_PNSI_ISN_E10value_typeET4_jRbjT5_ST_jjP12ihipStream_tbEUlT_E_NS1_11comp_targetILNS1_3genE4ELNS1_11target_archE910ELNS1_3gpuE8ELNS1_3repE0EEENS1_30default_config_static_selectorELNS0_4arch9wavefront6targetE1EEEvSH_.uses_vcc, 0
	.set _ZN7rocprim17ROCPRIM_400000_NS6detail17trampoline_kernelINS0_14default_configENS1_36segmented_radix_sort_config_selectorIllEEZNS1_25segmented_radix_sort_implIS3_Lb1EPKlPlS8_S9_N2at6native12_GLOBAL__N_18offset_tEEE10hipError_tPvRmT1_PNSt15iterator_traitsISH_E10value_typeET2_T3_PNSI_ISN_E10value_typeET4_jRbjT5_ST_jjP12ihipStream_tbEUlT_E_NS1_11comp_targetILNS1_3genE4ELNS1_11target_archE910ELNS1_3gpuE8ELNS1_3repE0EEENS1_30default_config_static_selectorELNS0_4arch9wavefront6targetE1EEEvSH_.uses_flat_scratch, 0
	.set _ZN7rocprim17ROCPRIM_400000_NS6detail17trampoline_kernelINS0_14default_configENS1_36segmented_radix_sort_config_selectorIllEEZNS1_25segmented_radix_sort_implIS3_Lb1EPKlPlS8_S9_N2at6native12_GLOBAL__N_18offset_tEEE10hipError_tPvRmT1_PNSt15iterator_traitsISH_E10value_typeET2_T3_PNSI_ISN_E10value_typeET4_jRbjT5_ST_jjP12ihipStream_tbEUlT_E_NS1_11comp_targetILNS1_3genE4ELNS1_11target_archE910ELNS1_3gpuE8ELNS1_3repE0EEENS1_30default_config_static_selectorELNS0_4arch9wavefront6targetE1EEEvSH_.has_dyn_sized_stack, 0
	.set _ZN7rocprim17ROCPRIM_400000_NS6detail17trampoline_kernelINS0_14default_configENS1_36segmented_radix_sort_config_selectorIllEEZNS1_25segmented_radix_sort_implIS3_Lb1EPKlPlS8_S9_N2at6native12_GLOBAL__N_18offset_tEEE10hipError_tPvRmT1_PNSt15iterator_traitsISH_E10value_typeET2_T3_PNSI_ISN_E10value_typeET4_jRbjT5_ST_jjP12ihipStream_tbEUlT_E_NS1_11comp_targetILNS1_3genE4ELNS1_11target_archE910ELNS1_3gpuE8ELNS1_3repE0EEENS1_30default_config_static_selectorELNS0_4arch9wavefront6targetE1EEEvSH_.has_recursion, 0
	.set _ZN7rocprim17ROCPRIM_400000_NS6detail17trampoline_kernelINS0_14default_configENS1_36segmented_radix_sort_config_selectorIllEEZNS1_25segmented_radix_sort_implIS3_Lb1EPKlPlS8_S9_N2at6native12_GLOBAL__N_18offset_tEEE10hipError_tPvRmT1_PNSt15iterator_traitsISH_E10value_typeET2_T3_PNSI_ISN_E10value_typeET4_jRbjT5_ST_jjP12ihipStream_tbEUlT_E_NS1_11comp_targetILNS1_3genE4ELNS1_11target_archE910ELNS1_3gpuE8ELNS1_3repE0EEENS1_30default_config_static_selectorELNS0_4arch9wavefront6targetE1EEEvSH_.has_indirect_call, 0
	.section	.AMDGPU.csdata,"",@progbits
; Kernel info:
; codeLenInByte = 0
; TotalNumSgprs: 4
; NumVgprs: 0
; ScratchSize: 0
; MemoryBound: 0
; FloatMode: 240
; IeeeMode: 1
; LDSByteSize: 0 bytes/workgroup (compile time only)
; SGPRBlocks: 0
; VGPRBlocks: 0
; NumSGPRsForWavesPerEU: 4
; NumVGPRsForWavesPerEU: 1
; Occupancy: 10
; WaveLimiterHint : 0
; COMPUTE_PGM_RSRC2:SCRATCH_EN: 0
; COMPUTE_PGM_RSRC2:USER_SGPR: 6
; COMPUTE_PGM_RSRC2:TRAP_HANDLER: 0
; COMPUTE_PGM_RSRC2:TGID_X_EN: 1
; COMPUTE_PGM_RSRC2:TGID_Y_EN: 0
; COMPUTE_PGM_RSRC2:TGID_Z_EN: 0
; COMPUTE_PGM_RSRC2:TIDIG_COMP_CNT: 0
	.section	.text._ZN7rocprim17ROCPRIM_400000_NS6detail17trampoline_kernelINS0_14default_configENS1_36segmented_radix_sort_config_selectorIllEEZNS1_25segmented_radix_sort_implIS3_Lb1EPKlPlS8_S9_N2at6native12_GLOBAL__N_18offset_tEEE10hipError_tPvRmT1_PNSt15iterator_traitsISH_E10value_typeET2_T3_PNSI_ISN_E10value_typeET4_jRbjT5_ST_jjP12ihipStream_tbEUlT_E_NS1_11comp_targetILNS1_3genE3ELNS1_11target_archE908ELNS1_3gpuE7ELNS1_3repE0EEENS1_30default_config_static_selectorELNS0_4arch9wavefront6targetE1EEEvSH_,"axG",@progbits,_ZN7rocprim17ROCPRIM_400000_NS6detail17trampoline_kernelINS0_14default_configENS1_36segmented_radix_sort_config_selectorIllEEZNS1_25segmented_radix_sort_implIS3_Lb1EPKlPlS8_S9_N2at6native12_GLOBAL__N_18offset_tEEE10hipError_tPvRmT1_PNSt15iterator_traitsISH_E10value_typeET2_T3_PNSI_ISN_E10value_typeET4_jRbjT5_ST_jjP12ihipStream_tbEUlT_E_NS1_11comp_targetILNS1_3genE3ELNS1_11target_archE908ELNS1_3gpuE7ELNS1_3repE0EEENS1_30default_config_static_selectorELNS0_4arch9wavefront6targetE1EEEvSH_,comdat
	.globl	_ZN7rocprim17ROCPRIM_400000_NS6detail17trampoline_kernelINS0_14default_configENS1_36segmented_radix_sort_config_selectorIllEEZNS1_25segmented_radix_sort_implIS3_Lb1EPKlPlS8_S9_N2at6native12_GLOBAL__N_18offset_tEEE10hipError_tPvRmT1_PNSt15iterator_traitsISH_E10value_typeET2_T3_PNSI_ISN_E10value_typeET4_jRbjT5_ST_jjP12ihipStream_tbEUlT_E_NS1_11comp_targetILNS1_3genE3ELNS1_11target_archE908ELNS1_3gpuE7ELNS1_3repE0EEENS1_30default_config_static_selectorELNS0_4arch9wavefront6targetE1EEEvSH_ ; -- Begin function _ZN7rocprim17ROCPRIM_400000_NS6detail17trampoline_kernelINS0_14default_configENS1_36segmented_radix_sort_config_selectorIllEEZNS1_25segmented_radix_sort_implIS3_Lb1EPKlPlS8_S9_N2at6native12_GLOBAL__N_18offset_tEEE10hipError_tPvRmT1_PNSt15iterator_traitsISH_E10value_typeET2_T3_PNSI_ISN_E10value_typeET4_jRbjT5_ST_jjP12ihipStream_tbEUlT_E_NS1_11comp_targetILNS1_3genE3ELNS1_11target_archE908ELNS1_3gpuE7ELNS1_3repE0EEENS1_30default_config_static_selectorELNS0_4arch9wavefront6targetE1EEEvSH_
	.p2align	8
	.type	_ZN7rocprim17ROCPRIM_400000_NS6detail17trampoline_kernelINS0_14default_configENS1_36segmented_radix_sort_config_selectorIllEEZNS1_25segmented_radix_sort_implIS3_Lb1EPKlPlS8_S9_N2at6native12_GLOBAL__N_18offset_tEEE10hipError_tPvRmT1_PNSt15iterator_traitsISH_E10value_typeET2_T3_PNSI_ISN_E10value_typeET4_jRbjT5_ST_jjP12ihipStream_tbEUlT_E_NS1_11comp_targetILNS1_3genE3ELNS1_11target_archE908ELNS1_3gpuE7ELNS1_3repE0EEENS1_30default_config_static_selectorELNS0_4arch9wavefront6targetE1EEEvSH_,@function
_ZN7rocprim17ROCPRIM_400000_NS6detail17trampoline_kernelINS0_14default_configENS1_36segmented_radix_sort_config_selectorIllEEZNS1_25segmented_radix_sort_implIS3_Lb1EPKlPlS8_S9_N2at6native12_GLOBAL__N_18offset_tEEE10hipError_tPvRmT1_PNSt15iterator_traitsISH_E10value_typeET2_T3_PNSI_ISN_E10value_typeET4_jRbjT5_ST_jjP12ihipStream_tbEUlT_E_NS1_11comp_targetILNS1_3genE3ELNS1_11target_archE908ELNS1_3gpuE7ELNS1_3repE0EEENS1_30default_config_static_selectorELNS0_4arch9wavefront6targetE1EEEvSH_: ; @_ZN7rocprim17ROCPRIM_400000_NS6detail17trampoline_kernelINS0_14default_configENS1_36segmented_radix_sort_config_selectorIllEEZNS1_25segmented_radix_sort_implIS3_Lb1EPKlPlS8_S9_N2at6native12_GLOBAL__N_18offset_tEEE10hipError_tPvRmT1_PNSt15iterator_traitsISH_E10value_typeET2_T3_PNSI_ISN_E10value_typeET4_jRbjT5_ST_jjP12ihipStream_tbEUlT_E_NS1_11comp_targetILNS1_3genE3ELNS1_11target_archE908ELNS1_3gpuE7ELNS1_3repE0EEENS1_30default_config_static_selectorELNS0_4arch9wavefront6targetE1EEEvSH_
; %bb.0:
	.section	.rodata,"a",@progbits
	.p2align	6, 0x0
	.amdhsa_kernel _ZN7rocprim17ROCPRIM_400000_NS6detail17trampoline_kernelINS0_14default_configENS1_36segmented_radix_sort_config_selectorIllEEZNS1_25segmented_radix_sort_implIS3_Lb1EPKlPlS8_S9_N2at6native12_GLOBAL__N_18offset_tEEE10hipError_tPvRmT1_PNSt15iterator_traitsISH_E10value_typeET2_T3_PNSI_ISN_E10value_typeET4_jRbjT5_ST_jjP12ihipStream_tbEUlT_E_NS1_11comp_targetILNS1_3genE3ELNS1_11target_archE908ELNS1_3gpuE7ELNS1_3repE0EEENS1_30default_config_static_selectorELNS0_4arch9wavefront6targetE1EEEvSH_
		.amdhsa_group_segment_fixed_size 0
		.amdhsa_private_segment_fixed_size 0
		.amdhsa_kernarg_size 96
		.amdhsa_user_sgpr_count 6
		.amdhsa_user_sgpr_private_segment_buffer 1
		.amdhsa_user_sgpr_dispatch_ptr 0
		.amdhsa_user_sgpr_queue_ptr 0
		.amdhsa_user_sgpr_kernarg_segment_ptr 1
		.amdhsa_user_sgpr_dispatch_id 0
		.amdhsa_user_sgpr_flat_scratch_init 0
		.amdhsa_user_sgpr_private_segment_size 0
		.amdhsa_uses_dynamic_stack 0
		.amdhsa_system_sgpr_private_segment_wavefront_offset 0
		.amdhsa_system_sgpr_workgroup_id_x 1
		.amdhsa_system_sgpr_workgroup_id_y 0
		.amdhsa_system_sgpr_workgroup_id_z 0
		.amdhsa_system_sgpr_workgroup_info 0
		.amdhsa_system_vgpr_workitem_id 0
		.amdhsa_next_free_vgpr 1
		.amdhsa_next_free_sgpr 0
		.amdhsa_reserve_vcc 0
		.amdhsa_reserve_flat_scratch 0
		.amdhsa_float_round_mode_32 0
		.amdhsa_float_round_mode_16_64 0
		.amdhsa_float_denorm_mode_32 3
		.amdhsa_float_denorm_mode_16_64 3
		.amdhsa_dx10_clamp 1
		.amdhsa_ieee_mode 1
		.amdhsa_fp16_overflow 0
		.amdhsa_exception_fp_ieee_invalid_op 0
		.amdhsa_exception_fp_denorm_src 0
		.amdhsa_exception_fp_ieee_div_zero 0
		.amdhsa_exception_fp_ieee_overflow 0
		.amdhsa_exception_fp_ieee_underflow 0
		.amdhsa_exception_fp_ieee_inexact 0
		.amdhsa_exception_int_div_zero 0
	.end_amdhsa_kernel
	.section	.text._ZN7rocprim17ROCPRIM_400000_NS6detail17trampoline_kernelINS0_14default_configENS1_36segmented_radix_sort_config_selectorIllEEZNS1_25segmented_radix_sort_implIS3_Lb1EPKlPlS8_S9_N2at6native12_GLOBAL__N_18offset_tEEE10hipError_tPvRmT1_PNSt15iterator_traitsISH_E10value_typeET2_T3_PNSI_ISN_E10value_typeET4_jRbjT5_ST_jjP12ihipStream_tbEUlT_E_NS1_11comp_targetILNS1_3genE3ELNS1_11target_archE908ELNS1_3gpuE7ELNS1_3repE0EEENS1_30default_config_static_selectorELNS0_4arch9wavefront6targetE1EEEvSH_,"axG",@progbits,_ZN7rocprim17ROCPRIM_400000_NS6detail17trampoline_kernelINS0_14default_configENS1_36segmented_radix_sort_config_selectorIllEEZNS1_25segmented_radix_sort_implIS3_Lb1EPKlPlS8_S9_N2at6native12_GLOBAL__N_18offset_tEEE10hipError_tPvRmT1_PNSt15iterator_traitsISH_E10value_typeET2_T3_PNSI_ISN_E10value_typeET4_jRbjT5_ST_jjP12ihipStream_tbEUlT_E_NS1_11comp_targetILNS1_3genE3ELNS1_11target_archE908ELNS1_3gpuE7ELNS1_3repE0EEENS1_30default_config_static_selectorELNS0_4arch9wavefront6targetE1EEEvSH_,comdat
.Lfunc_end707:
	.size	_ZN7rocprim17ROCPRIM_400000_NS6detail17trampoline_kernelINS0_14default_configENS1_36segmented_radix_sort_config_selectorIllEEZNS1_25segmented_radix_sort_implIS3_Lb1EPKlPlS8_S9_N2at6native12_GLOBAL__N_18offset_tEEE10hipError_tPvRmT1_PNSt15iterator_traitsISH_E10value_typeET2_T3_PNSI_ISN_E10value_typeET4_jRbjT5_ST_jjP12ihipStream_tbEUlT_E_NS1_11comp_targetILNS1_3genE3ELNS1_11target_archE908ELNS1_3gpuE7ELNS1_3repE0EEENS1_30default_config_static_selectorELNS0_4arch9wavefront6targetE1EEEvSH_, .Lfunc_end707-_ZN7rocprim17ROCPRIM_400000_NS6detail17trampoline_kernelINS0_14default_configENS1_36segmented_radix_sort_config_selectorIllEEZNS1_25segmented_radix_sort_implIS3_Lb1EPKlPlS8_S9_N2at6native12_GLOBAL__N_18offset_tEEE10hipError_tPvRmT1_PNSt15iterator_traitsISH_E10value_typeET2_T3_PNSI_ISN_E10value_typeET4_jRbjT5_ST_jjP12ihipStream_tbEUlT_E_NS1_11comp_targetILNS1_3genE3ELNS1_11target_archE908ELNS1_3gpuE7ELNS1_3repE0EEENS1_30default_config_static_selectorELNS0_4arch9wavefront6targetE1EEEvSH_
                                        ; -- End function
	.set _ZN7rocprim17ROCPRIM_400000_NS6detail17trampoline_kernelINS0_14default_configENS1_36segmented_radix_sort_config_selectorIllEEZNS1_25segmented_radix_sort_implIS3_Lb1EPKlPlS8_S9_N2at6native12_GLOBAL__N_18offset_tEEE10hipError_tPvRmT1_PNSt15iterator_traitsISH_E10value_typeET2_T3_PNSI_ISN_E10value_typeET4_jRbjT5_ST_jjP12ihipStream_tbEUlT_E_NS1_11comp_targetILNS1_3genE3ELNS1_11target_archE908ELNS1_3gpuE7ELNS1_3repE0EEENS1_30default_config_static_selectorELNS0_4arch9wavefront6targetE1EEEvSH_.num_vgpr, 0
	.set _ZN7rocprim17ROCPRIM_400000_NS6detail17trampoline_kernelINS0_14default_configENS1_36segmented_radix_sort_config_selectorIllEEZNS1_25segmented_radix_sort_implIS3_Lb1EPKlPlS8_S9_N2at6native12_GLOBAL__N_18offset_tEEE10hipError_tPvRmT1_PNSt15iterator_traitsISH_E10value_typeET2_T3_PNSI_ISN_E10value_typeET4_jRbjT5_ST_jjP12ihipStream_tbEUlT_E_NS1_11comp_targetILNS1_3genE3ELNS1_11target_archE908ELNS1_3gpuE7ELNS1_3repE0EEENS1_30default_config_static_selectorELNS0_4arch9wavefront6targetE1EEEvSH_.num_agpr, 0
	.set _ZN7rocprim17ROCPRIM_400000_NS6detail17trampoline_kernelINS0_14default_configENS1_36segmented_radix_sort_config_selectorIllEEZNS1_25segmented_radix_sort_implIS3_Lb1EPKlPlS8_S9_N2at6native12_GLOBAL__N_18offset_tEEE10hipError_tPvRmT1_PNSt15iterator_traitsISH_E10value_typeET2_T3_PNSI_ISN_E10value_typeET4_jRbjT5_ST_jjP12ihipStream_tbEUlT_E_NS1_11comp_targetILNS1_3genE3ELNS1_11target_archE908ELNS1_3gpuE7ELNS1_3repE0EEENS1_30default_config_static_selectorELNS0_4arch9wavefront6targetE1EEEvSH_.numbered_sgpr, 0
	.set _ZN7rocprim17ROCPRIM_400000_NS6detail17trampoline_kernelINS0_14default_configENS1_36segmented_radix_sort_config_selectorIllEEZNS1_25segmented_radix_sort_implIS3_Lb1EPKlPlS8_S9_N2at6native12_GLOBAL__N_18offset_tEEE10hipError_tPvRmT1_PNSt15iterator_traitsISH_E10value_typeET2_T3_PNSI_ISN_E10value_typeET4_jRbjT5_ST_jjP12ihipStream_tbEUlT_E_NS1_11comp_targetILNS1_3genE3ELNS1_11target_archE908ELNS1_3gpuE7ELNS1_3repE0EEENS1_30default_config_static_selectorELNS0_4arch9wavefront6targetE1EEEvSH_.num_named_barrier, 0
	.set _ZN7rocprim17ROCPRIM_400000_NS6detail17trampoline_kernelINS0_14default_configENS1_36segmented_radix_sort_config_selectorIllEEZNS1_25segmented_radix_sort_implIS3_Lb1EPKlPlS8_S9_N2at6native12_GLOBAL__N_18offset_tEEE10hipError_tPvRmT1_PNSt15iterator_traitsISH_E10value_typeET2_T3_PNSI_ISN_E10value_typeET4_jRbjT5_ST_jjP12ihipStream_tbEUlT_E_NS1_11comp_targetILNS1_3genE3ELNS1_11target_archE908ELNS1_3gpuE7ELNS1_3repE0EEENS1_30default_config_static_selectorELNS0_4arch9wavefront6targetE1EEEvSH_.private_seg_size, 0
	.set _ZN7rocprim17ROCPRIM_400000_NS6detail17trampoline_kernelINS0_14default_configENS1_36segmented_radix_sort_config_selectorIllEEZNS1_25segmented_radix_sort_implIS3_Lb1EPKlPlS8_S9_N2at6native12_GLOBAL__N_18offset_tEEE10hipError_tPvRmT1_PNSt15iterator_traitsISH_E10value_typeET2_T3_PNSI_ISN_E10value_typeET4_jRbjT5_ST_jjP12ihipStream_tbEUlT_E_NS1_11comp_targetILNS1_3genE3ELNS1_11target_archE908ELNS1_3gpuE7ELNS1_3repE0EEENS1_30default_config_static_selectorELNS0_4arch9wavefront6targetE1EEEvSH_.uses_vcc, 0
	.set _ZN7rocprim17ROCPRIM_400000_NS6detail17trampoline_kernelINS0_14default_configENS1_36segmented_radix_sort_config_selectorIllEEZNS1_25segmented_radix_sort_implIS3_Lb1EPKlPlS8_S9_N2at6native12_GLOBAL__N_18offset_tEEE10hipError_tPvRmT1_PNSt15iterator_traitsISH_E10value_typeET2_T3_PNSI_ISN_E10value_typeET4_jRbjT5_ST_jjP12ihipStream_tbEUlT_E_NS1_11comp_targetILNS1_3genE3ELNS1_11target_archE908ELNS1_3gpuE7ELNS1_3repE0EEENS1_30default_config_static_selectorELNS0_4arch9wavefront6targetE1EEEvSH_.uses_flat_scratch, 0
	.set _ZN7rocprim17ROCPRIM_400000_NS6detail17trampoline_kernelINS0_14default_configENS1_36segmented_radix_sort_config_selectorIllEEZNS1_25segmented_radix_sort_implIS3_Lb1EPKlPlS8_S9_N2at6native12_GLOBAL__N_18offset_tEEE10hipError_tPvRmT1_PNSt15iterator_traitsISH_E10value_typeET2_T3_PNSI_ISN_E10value_typeET4_jRbjT5_ST_jjP12ihipStream_tbEUlT_E_NS1_11comp_targetILNS1_3genE3ELNS1_11target_archE908ELNS1_3gpuE7ELNS1_3repE0EEENS1_30default_config_static_selectorELNS0_4arch9wavefront6targetE1EEEvSH_.has_dyn_sized_stack, 0
	.set _ZN7rocprim17ROCPRIM_400000_NS6detail17trampoline_kernelINS0_14default_configENS1_36segmented_radix_sort_config_selectorIllEEZNS1_25segmented_radix_sort_implIS3_Lb1EPKlPlS8_S9_N2at6native12_GLOBAL__N_18offset_tEEE10hipError_tPvRmT1_PNSt15iterator_traitsISH_E10value_typeET2_T3_PNSI_ISN_E10value_typeET4_jRbjT5_ST_jjP12ihipStream_tbEUlT_E_NS1_11comp_targetILNS1_3genE3ELNS1_11target_archE908ELNS1_3gpuE7ELNS1_3repE0EEENS1_30default_config_static_selectorELNS0_4arch9wavefront6targetE1EEEvSH_.has_recursion, 0
	.set _ZN7rocprim17ROCPRIM_400000_NS6detail17trampoline_kernelINS0_14default_configENS1_36segmented_radix_sort_config_selectorIllEEZNS1_25segmented_radix_sort_implIS3_Lb1EPKlPlS8_S9_N2at6native12_GLOBAL__N_18offset_tEEE10hipError_tPvRmT1_PNSt15iterator_traitsISH_E10value_typeET2_T3_PNSI_ISN_E10value_typeET4_jRbjT5_ST_jjP12ihipStream_tbEUlT_E_NS1_11comp_targetILNS1_3genE3ELNS1_11target_archE908ELNS1_3gpuE7ELNS1_3repE0EEENS1_30default_config_static_selectorELNS0_4arch9wavefront6targetE1EEEvSH_.has_indirect_call, 0
	.section	.AMDGPU.csdata,"",@progbits
; Kernel info:
; codeLenInByte = 0
; TotalNumSgprs: 4
; NumVgprs: 0
; ScratchSize: 0
; MemoryBound: 0
; FloatMode: 240
; IeeeMode: 1
; LDSByteSize: 0 bytes/workgroup (compile time only)
; SGPRBlocks: 0
; VGPRBlocks: 0
; NumSGPRsForWavesPerEU: 4
; NumVGPRsForWavesPerEU: 1
; Occupancy: 10
; WaveLimiterHint : 0
; COMPUTE_PGM_RSRC2:SCRATCH_EN: 0
; COMPUTE_PGM_RSRC2:USER_SGPR: 6
; COMPUTE_PGM_RSRC2:TRAP_HANDLER: 0
; COMPUTE_PGM_RSRC2:TGID_X_EN: 1
; COMPUTE_PGM_RSRC2:TGID_Y_EN: 0
; COMPUTE_PGM_RSRC2:TGID_Z_EN: 0
; COMPUTE_PGM_RSRC2:TIDIG_COMP_CNT: 0
	.text
	.p2align	2                               ; -- Begin function _ZN7rocprim17ROCPRIM_400000_NS6detail40segmented_radix_sort_single_block_helperIllLj256ELj16ELb1EE4sortIPKlPlS6_S7_EEbT_T0_T1_T2_jjjjRNS3_12storage_typeE
	.type	_ZN7rocprim17ROCPRIM_400000_NS6detail40segmented_radix_sort_single_block_helperIllLj256ELj16ELb1EE4sortIPKlPlS6_S7_EEbT_T0_T1_T2_jjjjRNS3_12storage_typeE,@function
_ZN7rocprim17ROCPRIM_400000_NS6detail40segmented_radix_sort_single_block_helperIllLj256ELj16ELb1EE4sortIPKlPlS6_S7_EEbT_T0_T1_T2_jjjjRNS3_12storage_typeE: ; @_ZN7rocprim17ROCPRIM_400000_NS6detail40segmented_radix_sort_single_block_helperIllLj256ELj16ELb1EE4sortIPKlPlS6_S7_EEbT_T0_T1_T2_jjjjRNS3_12storage_typeE
; %bb.0:
	s_waitcnt vmcnt(0) expcnt(0) lgkmcnt(0)
	buffer_store_dword v40, off, s[0:3], s32 offset:152 ; 4-byte Folded Spill
	buffer_store_dword v41, off, s[0:3], s32 offset:148 ; 4-byte Folded Spill
	;; [unrolled: 1-line block ×38, first 2 shown]
	buffer_store_dword v110, off, s[0:3], s32 ; 4-byte Folded Spill
	v_sub_u32_e32 v246, v9, v8
	s_movk_i32 s4, 0x1001
	v_mov_b32_e32 v15, v7
	v_cmp_gt_u32_e32 vcc, s4, v246
	s_and_saveexec_b64 s[58:59], vcc
	s_cbranch_execz .LBB708_372
; %bb.1:
	s_movk_i32 s4, 0x800
	v_cmp_lt_u32_e32 vcc, s4, v246
	v_bfe_u32 v14, v31, 10, 10
	v_bfe_u32 v19, v31, 20, 10
	v_mbcnt_lo_u32_b32 v20, -1, 0
	s_and_saveexec_b64 s[4:5], vcc
	s_xor_b64 s[60:61], exec, s[4:5]
	s_cbranch_execz .LBB708_143
; %bb.2:
	s_load_dwordx2 s[4:5], s[8:9], 0x0
	v_mov_b32_e32 v9, 0
	v_lshlrev_b64 v[112:113], 3, v[8:9]
	v_and_b32_e32 v7, 0x3ff, v31
	v_add_co_u32_e32 v8, vcc, v0, v112
	s_waitcnt lgkmcnt(0)
	s_cmp_lt_u32 s13, s5
	s_cselect_b32 s5, 14, 20
	s_add_u32 s6, s8, s5
	s_addc_u32 s7, s9, 0
	s_cmp_lt_u32 s12, s4
	s_cselect_b32 s4, 12, 18
	s_add_u32 s4, s8, s4
	global_load_ushort v13, v9, s[6:7]
	s_addc_u32 s5, s9, 0
	global_load_ushort v21, v9, s[4:5]
	v_mbcnt_hi_u32_b32 v16, -1, v20
	v_addc_co_u32_e32 v20, vcc, v1, v113, vcc
	v_and_b32_e32 v17, 63, v16
	v_lshlrev_b32_e32 v18, 3, v17
	v_mov_b32_e32 v118, -1
	v_mov_b32_e32 v128, -1
	;; [unrolled: 1-line block ×4, first 2 shown]
	s_waitcnt vmcnt(1)
	v_mad_u32_u24 v0, v19, v13, v14
	v_add_co_u32_e32 v19, vcc, v8, v18
	s_waitcnt vmcnt(0)
	v_mad_u64_u32 v[0:1], s[4:5], v0, v21, v[7:8]
	v_addc_co_u32_e32 v20, vcc, 0, v20, vcc
	v_lshlrev_b32_e32 v1, 4, v0
	v_and_b32_e32 v8, 0xfffffc00, v1
	v_lshlrev_b64 v[13:14], 3, v[8:9]
	v_or_b32_e32 v1, v8, v17
	v_add_co_u32_e32 v8, vcc, v19, v13
	v_addc_co_u32_e32 v9, vcc, v20, v14, vcc
	v_cmp_lt_u32_e64 s[4:5], v1, v246
	s_and_saveexec_b64 s[6:7], s[4:5]
	s_cbranch_execz .LBB708_4
; %bb.3:
	flat_load_dwordx2 v[19:20], v[8:9]
	s_waitcnt vmcnt(0) lgkmcnt(0)
	v_xor_b32_e32 v129, 0x7fffffff, v20
	v_not_b32_e32 v128, v19
.LBB708_4:
	s_or_b64 exec, exec, s[6:7]
	v_or_b32_e32 v19, 64, v1
	v_cmp_lt_u32_e64 s[6:7], v19, v246
	s_and_saveexec_b64 s[10:11], s[6:7]
	s_cbranch_execz .LBB708_6
; %bb.5:
	flat_load_dwordx2 v[19:20], v[8:9] offset:512
	s_waitcnt vmcnt(0) lgkmcnt(0)
	v_xor_b32_e32 v119, 0x7fffffff, v20
	v_not_b32_e32 v118, v19
.LBB708_6:
	s_or_b64 exec, exec, s[10:11]
	v_or_b32_e32 v19, 0x80, v1
	v_mov_b32_e32 v130, -1
	v_mov_b32_e32 v132, -1
	v_mov_b32_e32 v131, -1
	v_mov_b32_e32 v133, -1
	v_cmp_lt_u32_e64 s[10:11], v19, v246
	s_and_saveexec_b64 s[14:15], s[10:11]
	s_cbranch_execz .LBB708_8
; %bb.7:
	flat_load_dwordx2 v[19:20], v[8:9] offset:1024
	s_waitcnt vmcnt(0) lgkmcnt(0)
	v_xor_b32_e32 v133, 0x7fffffff, v20
	v_not_b32_e32 v132, v19
.LBB708_8:
	s_or_b64 exec, exec, s[14:15]
	v_or_b32_e32 v19, 0xc0, v1
	v_cmp_lt_u32_e64 s[56:57], v19, v246
	s_and_saveexec_b64 s[14:15], s[56:57]
	s_cbranch_execz .LBB708_10
; %bb.9:
	flat_load_dwordx2 v[19:20], v[8:9] offset:1536
	s_waitcnt vmcnt(0) lgkmcnt(0)
	v_xor_b32_e32 v131, 0x7fffffff, v20
	v_not_b32_e32 v130, v19
.LBB708_10:
	s_or_b64 exec, exec, s[14:15]
	v_or_b32_e32 v19, 0x100, v1
	v_mov_b32_e32 v134, -1
	v_mov_b32_e32 v144, -1
	v_mov_b32_e32 v135, -1
	v_mov_b32_e32 v145, -1
	v_cmp_lt_u32_e64 s[14:15], v19, v246
	s_and_saveexec_b64 s[16:17], s[14:15]
	s_cbranch_execz .LBB708_12
; %bb.11:
	flat_load_dwordx2 v[19:20], v[8:9] offset:2048
	s_waitcnt vmcnt(0) lgkmcnt(0)
	v_xor_b32_e32 v145, 0x7fffffff, v20
	v_not_b32_e32 v144, v19
.LBB708_12:
	;; [unrolled: 26-line block ×3, first 2 shown]
	s_or_b64 exec, exec, s[20:21]
	v_or_b32_e32 v19, 0x1c0, v1
	v_cmp_lt_u32_e64 s[20:21], v19, v246
	s_and_saveexec_b64 s[22:23], s[20:21]
	s_cbranch_execz .LBB708_18
; %bb.17:
	flat_load_dwordx2 v[19:20], v[8:9] offset:3584
	s_waitcnt vmcnt(0) lgkmcnt(0)
	v_xor_b32_e32 v147, 0x7fffffff, v20
	v_not_b32_e32 v146, v19
.LBB708_18:
	s_or_b64 exec, exec, s[22:23]
	v_or_b32_e32 v19, 0x200, v1
	v_mov_b32_e32 v150, -1
	v_mov_b32_e32 v160, -1
	;; [unrolled: 1-line block ×4, first 2 shown]
	v_cmp_lt_u32_e64 s[22:23], v19, v246
	s_and_saveexec_b64 s[24:25], s[22:23]
	s_cbranch_execz .LBB708_20
; %bb.19:
	v_add_co_u32_e32 v19, vcc, 0x1000, v8
	v_addc_co_u32_e32 v20, vcc, 0, v9, vcc
	flat_load_dwordx2 v[19:20], v[19:20]
	s_waitcnt vmcnt(0) lgkmcnt(0)
	v_xor_b32_e32 v161, 0x7fffffff, v20
	v_not_b32_e32 v160, v19
.LBB708_20:
	s_or_b64 exec, exec, s[24:25]
	v_or_b32_e32 v19, 0x240, v1
	v_cmp_lt_u32_e64 s[24:25], v19, v246
	s_and_saveexec_b64 s[26:27], s[24:25]
	s_cbranch_execz .LBB708_22
; %bb.21:
	v_add_co_u32_e32 v19, vcc, 0x1000, v8
	v_addc_co_u32_e32 v20, vcc, 0, v9, vcc
	flat_load_dwordx2 v[19:20], v[19:20] offset:512
	s_waitcnt vmcnt(0) lgkmcnt(0)
	v_xor_b32_e32 v151, 0x7fffffff, v20
	v_not_b32_e32 v150, v19
.LBB708_22:
	s_or_b64 exec, exec, s[26:27]
	v_or_b32_e32 v19, 0x280, v1
	v_mov_b32_e32 v162, -1
	v_mov_b32_e32 v164, -1
	v_mov_b32_e32 v163, -1
	v_mov_b32_e32 v165, -1
	v_cmp_lt_u32_e64 s[26:27], v19, v246
	s_and_saveexec_b64 s[28:29], s[26:27]
	s_cbranch_execz .LBB708_24
; %bb.23:
	v_add_co_u32_e32 v19, vcc, 0x1000, v8
	v_addc_co_u32_e32 v20, vcc, 0, v9, vcc
	flat_load_dwordx2 v[19:20], v[19:20] offset:1024
	s_waitcnt vmcnt(0) lgkmcnt(0)
	v_xor_b32_e32 v165, 0x7fffffff, v20
	v_not_b32_e32 v164, v19
.LBB708_24:
	s_or_b64 exec, exec, s[28:29]
	v_or_b32_e32 v19, 0x2c0, v1
	v_cmp_lt_u32_e64 s[28:29], v19, v246
	s_and_saveexec_b64 s[40:41], s[28:29]
	s_cbranch_execz .LBB708_26
; %bb.25:
	v_add_co_u32_e32 v19, vcc, 0x1000, v8
	v_addc_co_u32_e32 v20, vcc, 0, v9, vcc
	flat_load_dwordx2 v[19:20], v[19:20] offset:1536
	s_waitcnt vmcnt(0) lgkmcnt(0)
	v_xor_b32_e32 v163, 0x7fffffff, v20
	v_not_b32_e32 v162, v19
.LBB708_26:
	s_or_b64 exec, exec, s[40:41]
	v_or_b32_e32 v19, 0x300, v1
	v_mov_b32_e32 v166, -1
	v_mov_b32_e32 v176, -1
	v_mov_b32_e32 v167, -1
	v_mov_b32_e32 v177, -1
	v_cmp_lt_u32_e64 s[40:41], v19, v246
	s_and_saveexec_b64 s[42:43], s[40:41]
	s_cbranch_execz .LBB708_28
; %bb.27:
	v_add_co_u32_e32 v19, vcc, 0x1000, v8
	v_addc_co_u32_e32 v20, vcc, 0, v9, vcc
	flat_load_dwordx2 v[19:20], v[19:20] offset:2048
	s_waitcnt vmcnt(0) lgkmcnt(0)
	v_xor_b32_e32 v177, 0x7fffffff, v20
	v_not_b32_e32 v176, v19
.LBB708_28:
	;; [unrolled: 30-line block ×3, first 2 shown]
	s_or_b64 exec, exec, s[46:47]
	v_or_b32_e32 v1, 0x3c0, v1
	v_cmp_lt_u32_e64 s[46:47], v1, v246
	s_and_saveexec_b64 s[62:63], s[46:47]
	s_cbranch_execz .LBB708_34
; %bb.33:
	v_add_co_u32_e32 v8, vcc, 0x1000, v8
	v_addc_co_u32_e32 v9, vcc, 0, v9, vcc
	flat_load_dwordx2 v[8:9], v[8:9] offset:3584
	s_waitcnt vmcnt(0) lgkmcnt(0)
	v_xor_b32_e32 v179, 0x7fffffff, v9
	v_not_b32_e32 v178, v8
.LBB708_34:
	s_or_b64 exec, exec, s[62:63]
	v_add_co_u32_e32 v1, vcc, v4, v112
	v_addc_co_u32_e32 v4, vcc, v5, v113, vcc
	v_add_co_u32_e32 v1, vcc, v1, v18
	v_addc_co_u32_e32 v5, vcc, 0, v4, vcc
	;; [unrolled: 2-line block ×3, first 2 shown]
                                        ; implicit-def: $vgpr182_vgpr183
	s_and_saveexec_b64 s[62:63], s[4:5]
	s_cbranch_execnz .LBB708_196
; %bb.35:
	s_or_b64 exec, exec, s[62:63]
                                        ; implicit-def: $vgpr192_vgpr193
	s_and_saveexec_b64 s[4:5], s[6:7]
	s_cbranch_execnz .LBB708_197
.LBB708_36:
	s_or_b64 exec, exec, s[4:5]
                                        ; implicit-def: $vgpr194_vgpr195
	s_and_saveexec_b64 s[4:5], s[10:11]
	s_cbranch_execnz .LBB708_198
.LBB708_37:
	s_or_b64 exec, exec, s[4:5]
                                        ; implicit-def: $vgpr196_vgpr197
	s_and_saveexec_b64 s[4:5], s[56:57]
	s_cbranch_execnz .LBB708_199
.LBB708_38:
	s_or_b64 exec, exec, s[4:5]
                                        ; implicit-def: $vgpr198_vgpr199
	s_and_saveexec_b64 s[4:5], s[14:15]
	s_cbranch_execnz .LBB708_200
.LBB708_39:
	s_or_b64 exec, exec, s[4:5]
                                        ; implicit-def: $vgpr208_vgpr209
	s_and_saveexec_b64 s[4:5], s[16:17]
	s_cbranch_execnz .LBB708_201
.LBB708_40:
	s_or_b64 exec, exec, s[4:5]
                                        ; implicit-def: $vgpr210_vgpr211
	s_and_saveexec_b64 s[4:5], s[18:19]
	s_cbranch_execnz .LBB708_202
.LBB708_41:
	s_or_b64 exec, exec, s[4:5]
                                        ; implicit-def: $vgpr212_vgpr213
	s_and_saveexec_b64 s[4:5], s[20:21]
	s_cbranch_execnz .LBB708_203
.LBB708_42:
	s_or_b64 exec, exec, s[4:5]
                                        ; implicit-def: $vgpr214_vgpr215
	s_and_saveexec_b64 s[4:5], s[22:23]
	s_cbranch_execnz .LBB708_204
.LBB708_43:
	s_or_b64 exec, exec, s[4:5]
                                        ; implicit-def: $vgpr224_vgpr225
	s_and_saveexec_b64 s[4:5], s[24:25]
	s_cbranch_execnz .LBB708_205
.LBB708_44:
	s_or_b64 exec, exec, s[4:5]
                                        ; implicit-def: $vgpr226_vgpr227
	s_and_saveexec_b64 s[4:5], s[26:27]
	s_cbranch_execnz .LBB708_206
.LBB708_45:
	s_or_b64 exec, exec, s[4:5]
                                        ; implicit-def: $vgpr228_vgpr229
	s_and_saveexec_b64 s[4:5], s[28:29]
	s_cbranch_execnz .LBB708_207
.LBB708_46:
	s_or_b64 exec, exec, s[4:5]
                                        ; implicit-def: $vgpr230_vgpr231
	s_and_saveexec_b64 s[4:5], s[40:41]
	s_cbranch_execnz .LBB708_208
.LBB708_47:
	s_or_b64 exec, exec, s[4:5]
                                        ; implicit-def: $vgpr240_vgpr241
	s_and_saveexec_b64 s[4:5], s[42:43]
	s_cbranch_execnz .LBB708_209
.LBB708_48:
	s_or_b64 exec, exec, s[4:5]
                                        ; implicit-def: $vgpr242_vgpr243
	s_and_saveexec_b64 s[4:5], s[44:45]
	s_cbranch_execnz .LBB708_210
.LBB708_49:
	s_or_b64 exec, exec, s[4:5]
                                        ; implicit-def: $vgpr244_vgpr245
	s_and_saveexec_b64 s[4:5], s[46:47]
	s_cbranch_execz .LBB708_51
.LBB708_50:
	v_add_co_u32_e32 v4, vcc, 0x1000, v4
	v_addc_co_u32_e32 v5, vcc, 0, v5, vcc
	flat_load_dwordx2 v[244:245], v[4:5] offset:3584
.LBB708_51:
	s_or_b64 exec, exec, s[4:5]
	v_lshlrev_b32_e32 v4, 4, v7
	v_add_u32_e32 v5, v12, v4
	s_getpc_b64 s[4:5]
	s_add_u32 s4, s4, _ZN7rocprim17ROCPRIM_400000_NS16block_radix_sortIlLj256ELj16ElLj1ELj1ELj8ELNS0_26block_radix_rank_algorithmE2ELNS0_18block_padding_hintE2ELNS0_4arch9wavefront6targetE1EE19radix_bits_per_passE@rel32@lo+4
	s_addc_u32 s5, s5, _ZN7rocprim17ROCPRIM_400000_NS16block_radix_sortIlLj256ELj16ElLj1ELj1ELj8ELNS0_26block_radix_rank_algorithmE2ELNS0_18block_padding_hintE2ELNS0_4arch9wavefront6targetE1EE19radix_bits_per_passE@rel32@hi+12
	v_add_u32_e32 v1, 16, v5
	v_add_u32_e32 v247, 20, v5
	;; [unrolled: 1-line block ×4, first 2 shown]
	v_and_b32_e32 v5, 15, v16
	s_load_dword s62, s[4:5], 0x0
	v_cmp_eq_u32_e32 vcc, 0, v5
	v_cmp_lt_u32_e64 s[4:5], 1, v5
	v_cmp_lt_u32_e64 s[6:7], 3, v5
	;; [unrolled: 1-line block ×3, first 2 shown]
	v_and_b32_e32 v5, 16, v16
	v_cmp_eq_u32_e64 s[42:43], 0, v5
	v_and_b32_e32 v5, 0x3c0, v7
	v_min_u32_e32 v5, 0xc0, v5
	v_or_b32_e32 v5, 63, v5
	v_cmp_eq_u32_e64 s[16:17], v7, v5
	v_subrev_co_u32_e64 v5, s[22:23], 1, v16
	v_and_b32_e32 v8, 64, v16
	v_cmp_lt_i32_e64 s[24:25], v5, v8
	v_cndmask_b32_e64 v5, v5, v16, s[24:25]
	v_lshlrev_b32_e32 v43, 2, v5
	v_lshrrev_b32_e32 v5, 4, v7
	s_movk_i32 s40, 0x3c00
	v_and_b32_e32 v5, 60, v5
	v_and_or_b32 v4, v4, s40, v17
	v_add_u32_e32 v44, v12, v5
	v_and_b32_e32 v8, 3, v16
	v_lshl_add_u32 v47, v4, 3, v12
	v_lshrrev_b32_e32 v42, 6, v0
	v_cmp_lt_u32_e64 s[14:15], 31, v16
	v_cmp_gt_u32_e64 s[18:19], 4, v7
	v_cmp_lt_u32_e64 s[20:21], 63, v7
	v_cmp_eq_u32_e64 s[24:25], 0, v7
	v_mov_b32_e32 v5, 0
	v_lshl_add_u32 v45, v7, 2, v12
	v_cmp_eq_u32_e64 s[26:27], 0, v8
	v_cmp_lt_u32_e64 s[28:29], 1, v8
	v_add_u32_e32 v46, -4, v44
	v_add_u32_e32 v56, 0x200, v47
	v_add_u32_e32 v57, 0x400, v47
	;; [unrolled: 1-line block ×15, first 2 shown]
	v_sub_u32_e32 v79, v11, v10
	s_mov_b64 s[46:47], 0
	s_waitcnt vmcnt(0) lgkmcnt(0)
	s_barrier
	s_branch .LBB708_53
.LBB708_52:                             ;   in Loop: Header=BB708_53 Depth=1
	s_or_b64 exec, exec, s[44:45]
	s_and_b64 s[40:41], exec, s[56:57]
	s_or_b64 s[46:47], s[40:41], s[46:47]
	s_andn2_b64 exec, exec, s[46:47]
	s_cbranch_execz .LBB708_93
.LBB708_53:                             ; =>This Inner Loop Header: Depth=1
	v_mov_b32_e32 v102, v128
	v_mov_b32_e32 v103, v129
	v_mov_b32_e32 v100, v118
	v_min_u32_e32 v4, s62, v79
	v_mov_b32_e32 v101, v119
	v_mov_b32_e32 v98, v132
	v_lshlrev_b32_e64 v4, v4, -1
	v_lshrrev_b64 v[118:119], v10, v[102:103]
	v_mov_b32_e32 v99, v133
	v_not_b32_e32 v132, v4
	v_and_b32_e32 v128, v118, v132
	v_lshl_add_u32 v4, v128, 2, v42
	v_lshlrev_b64 v[118:119], 2, v[4:5]
	v_mov_b32_e32 v96, v130
	v_add_co_u32_e64 v4, s[40:41], v12, v118
	v_add_co_u32_e64 v4, s[40:41], 16, v4
	v_and_b32_e32 v118, 1, v128
	v_add_co_u32_e64 v119, s[40:41], -1, v118
	v_addc_co_u32_e64 v129, s[40:41], 0, -1, s[40:41]
	v_cmp_ne_u32_e64 s[40:41], 0, v118
	v_xor_b32_e32 v118, s41, v129
	v_xor_b32_e32 v119, s40, v119
	v_mov_b32_e32 v97, v131
	v_and_b32_e32 v129, exec_hi, v118
	v_and_b32_e32 v130, exec_lo, v119
	v_lshlrev_b32_e32 v119, 30, v128
	v_mov_b32_e32 v118, v5
	v_cmp_gt_i64_e64 s[40:41], 0, v[118:119]
	v_not_b32_e32 v118, v119
	v_ashrrev_i32_e32 v118, 31, v118
	v_xor_b32_e32 v119, s41, v118
	v_xor_b32_e32 v118, s40, v118
	v_and_b32_e32 v129, v129, v119
	v_and_b32_e32 v130, v130, v118
	v_lshlrev_b32_e32 v119, 29, v128
	v_mov_b32_e32 v118, v5
	v_cmp_gt_i64_e64 s[40:41], 0, v[118:119]
	v_not_b32_e32 v118, v119
	v_ashrrev_i32_e32 v118, 31, v118
	v_xor_b32_e32 v119, s41, v118
	v_xor_b32_e32 v118, s40, v118
	v_and_b32_e32 v129, v129, v119
	v_and_b32_e32 v130, v130, v118
	;; [unrolled: 9-line block ×7, first 2 shown]
	v_mbcnt_lo_u32_b32 v128, v118, 0
	v_mbcnt_hi_u32_b32 v128, v119, v128
	v_cmp_ne_u64_e64 s[40:41], 0, v[118:119]
	v_mov_b32_e32 v116, v182
	v_mov_b32_e32 v114, v192
	v_mov_b32_e32 v38, v194
	v_mov_b32_e32 v36, v196
	v_mov_b32_e32 v34, v198
	v_mov_b32_e32 v32, v208
	v_mov_b32_e32 v30, v210
	v_mov_b32_e32 v28, v212
	v_mov_b32_e32 v26, v214
	v_mov_b32_e32 v24, v224
	v_mov_b32_e32 v22, v226
	v_mov_b32_e32 v20, v228
	v_mov_b32_e32 v18, v230
	v_mov_b32_e32 v16, v240
	v_mov_b32_e32 v13, v242
	v_mov_b32_e32 v8, v244
	v_mov_b32_e32 v86, v144
	v_mov_b32_e32 v84, v134
	v_mov_b32_e32 v82, v148
	v_mov_b32_e32 v80, v146
	v_mov_b32_e32 v70, v160
	v_mov_b32_e32 v68, v150
	v_mov_b32_e32 v66, v164
	v_mov_b32_e32 v64, v162
	v_mov_b32_e32 v54, v176
	v_mov_b32_e32 v52, v166
	v_mov_b32_e32 v50, v180
	v_mov_b32_e32 v48, v178
	v_cmp_eq_u32_e64 s[44:45], 0, v128
	v_mov_b32_e32 v117, v183
	v_mov_b32_e32 v115, v193
	;; [unrolled: 1-line block ×28, first 2 shown]
	s_and_b64 s[44:45], s[40:41], s[44:45]
	ds_write_b32 v1, v5
	ds_write_b32 v247, v5
	;; [unrolled: 1-line block ×4, first 2 shown]
	s_waitcnt lgkmcnt(0)
	s_barrier
	; wave barrier
	s_and_saveexec_b64 s[40:41], s[44:45]
; %bb.54:                               ;   in Loop: Header=BB708_53 Depth=1
	v_bcnt_u32_b32 v118, v118, 0
	v_bcnt_u32_b32 v118, v119, v118
	ds_write_b32 v4, v118
; %bb.55:                               ;   in Loop: Header=BB708_53 Depth=1
	s_or_b64 exec, exec, s[40:41]
	v_lshrrev_b64 v[118:119], v10, v[100:101]
	v_and_b32_e32 v131, v118, v132
	v_lshl_add_u32 v118, v131, 2, v42
	v_lshl_add_u32 v118, v118, 2, v12
	; wave barrier
	v_add_u32_e32 v130, 16, v118
	ds_read_b32 v129, v118 offset:16
	v_and_b32_e32 v118, 1, v131
	v_add_co_u32_e64 v119, s[40:41], -1, v118
	v_addc_co_u32_e64 v133, s[40:41], 0, -1, s[40:41]
	v_cmp_ne_u32_e64 s[40:41], 0, v118
	v_xor_b32_e32 v118, s41, v133
	v_xor_b32_e32 v119, s40, v119
	v_and_b32_e32 v133, exec_hi, v118
	v_and_b32_e32 v134, exec_lo, v119
	v_lshlrev_b32_e32 v119, 30, v131
	v_mov_b32_e32 v118, v5
	v_cmp_gt_i64_e64 s[40:41], 0, v[118:119]
	v_not_b32_e32 v118, v119
	v_ashrrev_i32_e32 v118, 31, v118
	v_xor_b32_e32 v119, s41, v118
	v_xor_b32_e32 v118, s40, v118
	v_and_b32_e32 v133, v133, v119
	v_and_b32_e32 v134, v134, v118
	v_lshlrev_b32_e32 v119, 29, v131
	v_mov_b32_e32 v118, v5
	v_cmp_gt_i64_e64 s[40:41], 0, v[118:119]
	v_not_b32_e32 v118, v119
	v_ashrrev_i32_e32 v118, 31, v118
	v_xor_b32_e32 v119, s41, v118
	v_xor_b32_e32 v118, s40, v118
	v_and_b32_e32 v133, v133, v119
	v_and_b32_e32 v134, v134, v118
	;; [unrolled: 9-line block ×7, first 2 shown]
	v_mbcnt_lo_u32_b32 v131, v118, 0
	v_mbcnt_hi_u32_b32 v131, v119, v131
	v_cmp_ne_u64_e64 s[40:41], 0, v[118:119]
	v_cmp_eq_u32_e64 s[44:45], 0, v131
	s_and_b64 s[44:45], s[40:41], s[44:45]
	; wave barrier
	s_and_saveexec_b64 s[40:41], s[44:45]
	s_cbranch_execz .LBB708_57
; %bb.56:                               ;   in Loop: Header=BB708_53 Depth=1
	v_bcnt_u32_b32 v118, v118, 0
	v_bcnt_u32_b32 v118, v119, v118
	s_waitcnt lgkmcnt(0)
	v_add_u32_e32 v118, v129, v118
	ds_write_b32 v130, v118
.LBB708_57:                             ;   in Loop: Header=BB708_53 Depth=1
	s_or_b64 exec, exec, s[40:41]
	v_lshrrev_b64 v[118:119], v10, v[98:99]
	v_and_b32_e32 v135, v118, v132
	v_lshl_add_u32 v118, v135, 2, v42
	v_lshl_add_u32 v118, v118, 2, v12
	; wave barrier
	v_add_u32_e32 v134, 16, v118
	ds_read_b32 v133, v118 offset:16
	v_and_b32_e32 v118, 1, v135
	v_add_co_u32_e64 v119, s[40:41], -1, v118
	v_addc_co_u32_e64 v144, s[40:41], 0, -1, s[40:41]
	v_cmp_ne_u32_e64 s[40:41], 0, v118
	v_xor_b32_e32 v118, s41, v144
	v_xor_b32_e32 v119, s40, v119
	v_and_b32_e32 v144, exec_hi, v118
	v_and_b32_e32 v145, exec_lo, v119
	v_lshlrev_b32_e32 v119, 30, v135
	v_mov_b32_e32 v118, v5
	v_cmp_gt_i64_e64 s[40:41], 0, v[118:119]
	v_not_b32_e32 v118, v119
	v_ashrrev_i32_e32 v118, 31, v118
	v_xor_b32_e32 v119, s41, v118
	v_xor_b32_e32 v118, s40, v118
	v_and_b32_e32 v144, v144, v119
	v_and_b32_e32 v145, v145, v118
	v_lshlrev_b32_e32 v119, 29, v135
	v_mov_b32_e32 v118, v5
	v_cmp_gt_i64_e64 s[40:41], 0, v[118:119]
	v_not_b32_e32 v118, v119
	v_ashrrev_i32_e32 v118, 31, v118
	v_xor_b32_e32 v119, s41, v118
	v_xor_b32_e32 v118, s40, v118
	v_and_b32_e32 v144, v144, v119
	v_and_b32_e32 v145, v145, v118
	;; [unrolled: 9-line block ×7, first 2 shown]
	v_mbcnt_lo_u32_b32 v135, v118, 0
	v_mbcnt_hi_u32_b32 v135, v119, v135
	v_cmp_ne_u64_e64 s[40:41], 0, v[118:119]
	v_cmp_eq_u32_e64 s[44:45], 0, v135
	s_and_b64 s[44:45], s[40:41], s[44:45]
	; wave barrier
	s_and_saveexec_b64 s[40:41], s[44:45]
	s_cbranch_execz .LBB708_59
; %bb.58:                               ;   in Loop: Header=BB708_53 Depth=1
	v_bcnt_u32_b32 v118, v118, 0
	v_bcnt_u32_b32 v118, v119, v118
	s_waitcnt lgkmcnt(0)
	v_add_u32_e32 v118, v133, v118
	ds_write_b32 v134, v118
.LBB708_59:                             ;   in Loop: Header=BB708_53 Depth=1
	s_or_b64 exec, exec, s[40:41]
	v_lshrrev_b64 v[118:119], v10, v[96:97]
	v_and_b32_e32 v146, v118, v132
	v_lshl_add_u32 v118, v146, 2, v42
	v_lshl_add_u32 v118, v118, 2, v12
	; wave barrier
	v_add_u32_e32 v145, 16, v118
	ds_read_b32 v144, v118 offset:16
	v_and_b32_e32 v118, 1, v146
	v_add_co_u32_e64 v119, s[40:41], -1, v118
	v_addc_co_u32_e64 v147, s[40:41], 0, -1, s[40:41]
	v_cmp_ne_u32_e64 s[40:41], 0, v118
	v_xor_b32_e32 v118, s41, v147
	v_xor_b32_e32 v119, s40, v119
	v_and_b32_e32 v147, exec_hi, v118
	v_and_b32_e32 v148, exec_lo, v119
	v_lshlrev_b32_e32 v119, 30, v146
	v_mov_b32_e32 v118, v5
	v_cmp_gt_i64_e64 s[40:41], 0, v[118:119]
	v_not_b32_e32 v118, v119
	v_ashrrev_i32_e32 v118, 31, v118
	v_xor_b32_e32 v119, s41, v118
	v_xor_b32_e32 v118, s40, v118
	v_and_b32_e32 v147, v147, v119
	v_and_b32_e32 v148, v148, v118
	v_lshlrev_b32_e32 v119, 29, v146
	v_mov_b32_e32 v118, v5
	v_cmp_gt_i64_e64 s[40:41], 0, v[118:119]
	v_not_b32_e32 v118, v119
	v_ashrrev_i32_e32 v118, 31, v118
	v_xor_b32_e32 v119, s41, v118
	v_xor_b32_e32 v118, s40, v118
	v_and_b32_e32 v147, v147, v119
	v_and_b32_e32 v148, v148, v118
	;; [unrolled: 9-line block ×7, first 2 shown]
	v_mbcnt_lo_u32_b32 v146, v118, 0
	v_mbcnt_hi_u32_b32 v146, v119, v146
	v_cmp_ne_u64_e64 s[40:41], 0, v[118:119]
	v_cmp_eq_u32_e64 s[44:45], 0, v146
	s_and_b64 s[44:45], s[40:41], s[44:45]
	; wave barrier
	s_and_saveexec_b64 s[40:41], s[44:45]
	s_cbranch_execz .LBB708_61
; %bb.60:                               ;   in Loop: Header=BB708_53 Depth=1
	v_bcnt_u32_b32 v118, v118, 0
	v_bcnt_u32_b32 v118, v119, v118
	s_waitcnt lgkmcnt(0)
	v_add_u32_e32 v118, v144, v118
	ds_write_b32 v145, v118
.LBB708_61:                             ;   in Loop: Header=BB708_53 Depth=1
	s_or_b64 exec, exec, s[40:41]
	v_lshrrev_b64 v[118:119], v10, v[86:87]
	v_and_b32_e32 v149, v118, v132
	v_lshl_add_u32 v118, v149, 2, v42
	v_lshl_add_u32 v118, v118, 2, v12
	; wave barrier
	v_add_u32_e32 v148, 16, v118
	ds_read_b32 v147, v118 offset:16
	v_and_b32_e32 v118, 1, v149
	v_add_co_u32_e64 v119, s[40:41], -1, v118
	v_addc_co_u32_e64 v150, s[40:41], 0, -1, s[40:41]
	v_cmp_ne_u32_e64 s[40:41], 0, v118
	v_xor_b32_e32 v118, s41, v150
	v_xor_b32_e32 v119, s40, v119
	v_and_b32_e32 v150, exec_hi, v118
	v_and_b32_e32 v151, exec_lo, v119
	v_lshlrev_b32_e32 v119, 30, v149
	v_mov_b32_e32 v118, v5
	v_cmp_gt_i64_e64 s[40:41], 0, v[118:119]
	v_not_b32_e32 v118, v119
	v_ashrrev_i32_e32 v118, 31, v118
	v_xor_b32_e32 v119, s41, v118
	v_xor_b32_e32 v118, s40, v118
	v_and_b32_e32 v150, v150, v119
	v_and_b32_e32 v151, v151, v118
	v_lshlrev_b32_e32 v119, 29, v149
	v_mov_b32_e32 v118, v5
	v_cmp_gt_i64_e64 s[40:41], 0, v[118:119]
	v_not_b32_e32 v118, v119
	v_ashrrev_i32_e32 v118, 31, v118
	v_xor_b32_e32 v119, s41, v118
	v_xor_b32_e32 v118, s40, v118
	v_and_b32_e32 v150, v150, v119
	v_and_b32_e32 v151, v151, v118
	;; [unrolled: 9-line block ×7, first 2 shown]
	v_mbcnt_lo_u32_b32 v149, v118, 0
	v_mbcnt_hi_u32_b32 v149, v119, v149
	v_cmp_ne_u64_e64 s[40:41], 0, v[118:119]
	v_cmp_eq_u32_e64 s[44:45], 0, v149
	s_and_b64 s[44:45], s[40:41], s[44:45]
	; wave barrier
	s_and_saveexec_b64 s[40:41], s[44:45]
	s_cbranch_execz .LBB708_63
; %bb.62:                               ;   in Loop: Header=BB708_53 Depth=1
	v_bcnt_u32_b32 v118, v118, 0
	v_bcnt_u32_b32 v118, v119, v118
	s_waitcnt lgkmcnt(0)
	v_add_u32_e32 v118, v147, v118
	ds_write_b32 v148, v118
.LBB708_63:                             ;   in Loop: Header=BB708_53 Depth=1
	s_or_b64 exec, exec, s[40:41]
	v_lshrrev_b64 v[118:119], v10, v[84:85]
	v_and_b32_e32 v160, v118, v132
	v_lshl_add_u32 v118, v160, 2, v42
	v_lshl_add_u32 v118, v118, 2, v12
	; wave barrier
	v_add_u32_e32 v151, 16, v118
	ds_read_b32 v150, v118 offset:16
	v_and_b32_e32 v118, 1, v160
	v_add_co_u32_e64 v119, s[40:41], -1, v118
	v_addc_co_u32_e64 v161, s[40:41], 0, -1, s[40:41]
	v_cmp_ne_u32_e64 s[40:41], 0, v118
	v_xor_b32_e32 v118, s41, v161
	v_xor_b32_e32 v119, s40, v119
	v_and_b32_e32 v161, exec_hi, v118
	v_and_b32_e32 v162, exec_lo, v119
	v_lshlrev_b32_e32 v119, 30, v160
	v_mov_b32_e32 v118, v5
	v_cmp_gt_i64_e64 s[40:41], 0, v[118:119]
	v_not_b32_e32 v118, v119
	v_ashrrev_i32_e32 v118, 31, v118
	v_xor_b32_e32 v119, s41, v118
	v_xor_b32_e32 v118, s40, v118
	v_and_b32_e32 v161, v161, v119
	v_and_b32_e32 v162, v162, v118
	v_lshlrev_b32_e32 v119, 29, v160
	v_mov_b32_e32 v118, v5
	v_cmp_gt_i64_e64 s[40:41], 0, v[118:119]
	v_not_b32_e32 v118, v119
	v_ashrrev_i32_e32 v118, 31, v118
	v_xor_b32_e32 v119, s41, v118
	v_xor_b32_e32 v118, s40, v118
	v_and_b32_e32 v161, v161, v119
	v_and_b32_e32 v162, v162, v118
	;; [unrolled: 9-line block ×7, first 2 shown]
	v_mbcnt_lo_u32_b32 v160, v118, 0
	v_mbcnt_hi_u32_b32 v160, v119, v160
	v_cmp_ne_u64_e64 s[40:41], 0, v[118:119]
	v_cmp_eq_u32_e64 s[44:45], 0, v160
	s_and_b64 s[44:45], s[40:41], s[44:45]
	; wave barrier
	s_and_saveexec_b64 s[40:41], s[44:45]
	s_cbranch_execz .LBB708_65
; %bb.64:                               ;   in Loop: Header=BB708_53 Depth=1
	v_bcnt_u32_b32 v118, v118, 0
	v_bcnt_u32_b32 v118, v119, v118
	s_waitcnt lgkmcnt(0)
	v_add_u32_e32 v118, v150, v118
	ds_write_b32 v151, v118
.LBB708_65:                             ;   in Loop: Header=BB708_53 Depth=1
	s_or_b64 exec, exec, s[40:41]
	v_lshrrev_b64 v[118:119], v10, v[82:83]
	v_and_b32_e32 v163, v118, v132
	v_lshl_add_u32 v118, v163, 2, v42
	v_lshl_add_u32 v118, v118, 2, v12
	; wave barrier
	v_add_u32_e32 v162, 16, v118
	ds_read_b32 v161, v118 offset:16
	v_and_b32_e32 v118, 1, v163
	v_add_co_u32_e64 v119, s[40:41], -1, v118
	v_addc_co_u32_e64 v164, s[40:41], 0, -1, s[40:41]
	v_cmp_ne_u32_e64 s[40:41], 0, v118
	v_xor_b32_e32 v118, s41, v164
	v_xor_b32_e32 v119, s40, v119
	v_and_b32_e32 v164, exec_hi, v118
	v_and_b32_e32 v165, exec_lo, v119
	v_lshlrev_b32_e32 v119, 30, v163
	v_mov_b32_e32 v118, v5
	v_cmp_gt_i64_e64 s[40:41], 0, v[118:119]
	v_not_b32_e32 v118, v119
	v_ashrrev_i32_e32 v118, 31, v118
	v_xor_b32_e32 v119, s41, v118
	v_xor_b32_e32 v118, s40, v118
	v_and_b32_e32 v164, v164, v119
	v_and_b32_e32 v165, v165, v118
	v_lshlrev_b32_e32 v119, 29, v163
	v_mov_b32_e32 v118, v5
	v_cmp_gt_i64_e64 s[40:41], 0, v[118:119]
	v_not_b32_e32 v118, v119
	v_ashrrev_i32_e32 v118, 31, v118
	v_xor_b32_e32 v119, s41, v118
	v_xor_b32_e32 v118, s40, v118
	v_and_b32_e32 v164, v164, v119
	v_and_b32_e32 v165, v165, v118
	;; [unrolled: 9-line block ×7, first 2 shown]
	v_mbcnt_lo_u32_b32 v163, v118, 0
	v_mbcnt_hi_u32_b32 v163, v119, v163
	v_cmp_ne_u64_e64 s[40:41], 0, v[118:119]
	v_cmp_eq_u32_e64 s[44:45], 0, v163
	s_and_b64 s[44:45], s[40:41], s[44:45]
	; wave barrier
	s_and_saveexec_b64 s[40:41], s[44:45]
	s_cbranch_execz .LBB708_67
; %bb.66:                               ;   in Loop: Header=BB708_53 Depth=1
	v_bcnt_u32_b32 v118, v118, 0
	v_bcnt_u32_b32 v118, v119, v118
	s_waitcnt lgkmcnt(0)
	v_add_u32_e32 v118, v161, v118
	ds_write_b32 v162, v118
.LBB708_67:                             ;   in Loop: Header=BB708_53 Depth=1
	s_or_b64 exec, exec, s[40:41]
	v_lshrrev_b64 v[118:119], v10, v[80:81]
	v_and_b32_e32 v166, v118, v132
	v_lshl_add_u32 v118, v166, 2, v42
	v_lshl_add_u32 v118, v118, 2, v12
	; wave barrier
	v_add_u32_e32 v165, 16, v118
	ds_read_b32 v164, v118 offset:16
	v_and_b32_e32 v118, 1, v166
	v_add_co_u32_e64 v119, s[40:41], -1, v118
	v_addc_co_u32_e64 v167, s[40:41], 0, -1, s[40:41]
	v_cmp_ne_u32_e64 s[40:41], 0, v118
	v_xor_b32_e32 v118, s41, v167
	v_xor_b32_e32 v119, s40, v119
	v_and_b32_e32 v167, exec_hi, v118
	v_and_b32_e32 v176, exec_lo, v119
	v_lshlrev_b32_e32 v119, 30, v166
	v_mov_b32_e32 v118, v5
	v_cmp_gt_i64_e64 s[40:41], 0, v[118:119]
	v_not_b32_e32 v118, v119
	v_ashrrev_i32_e32 v118, 31, v118
	v_xor_b32_e32 v119, s41, v118
	v_xor_b32_e32 v118, s40, v118
	v_and_b32_e32 v167, v167, v119
	v_and_b32_e32 v176, v176, v118
	v_lshlrev_b32_e32 v119, 29, v166
	v_mov_b32_e32 v118, v5
	v_cmp_gt_i64_e64 s[40:41], 0, v[118:119]
	v_not_b32_e32 v118, v119
	v_ashrrev_i32_e32 v118, 31, v118
	v_xor_b32_e32 v119, s41, v118
	v_xor_b32_e32 v118, s40, v118
	v_and_b32_e32 v167, v167, v119
	v_and_b32_e32 v176, v176, v118
	;; [unrolled: 9-line block ×7, first 2 shown]
	v_mbcnt_lo_u32_b32 v166, v118, 0
	v_mbcnt_hi_u32_b32 v166, v119, v166
	v_cmp_ne_u64_e64 s[40:41], 0, v[118:119]
	v_cmp_eq_u32_e64 s[44:45], 0, v166
	s_and_b64 s[44:45], s[40:41], s[44:45]
	; wave barrier
	s_and_saveexec_b64 s[40:41], s[44:45]
	s_cbranch_execz .LBB708_69
; %bb.68:                               ;   in Loop: Header=BB708_53 Depth=1
	v_bcnt_u32_b32 v118, v118, 0
	v_bcnt_u32_b32 v118, v119, v118
	s_waitcnt lgkmcnt(0)
	v_add_u32_e32 v118, v164, v118
	ds_write_b32 v165, v118
.LBB708_69:                             ;   in Loop: Header=BB708_53 Depth=1
	s_or_b64 exec, exec, s[40:41]
	v_lshrrev_b64 v[118:119], v10, v[70:71]
	v_and_b32_e32 v177, v118, v132
	v_lshl_add_u32 v118, v177, 2, v42
	v_lshl_add_u32 v118, v118, 2, v12
	; wave barrier
	v_add_u32_e32 v176, 16, v118
	ds_read_b32 v167, v118 offset:16
	v_and_b32_e32 v118, 1, v177
	v_add_co_u32_e64 v119, s[40:41], -1, v118
	v_addc_co_u32_e64 v178, s[40:41], 0, -1, s[40:41]
	v_cmp_ne_u32_e64 s[40:41], 0, v118
	v_xor_b32_e32 v118, s41, v178
	v_xor_b32_e32 v119, s40, v119
	v_and_b32_e32 v178, exec_hi, v118
	v_and_b32_e32 v179, exec_lo, v119
	v_lshlrev_b32_e32 v119, 30, v177
	v_mov_b32_e32 v118, v5
	v_cmp_gt_i64_e64 s[40:41], 0, v[118:119]
	v_not_b32_e32 v118, v119
	v_ashrrev_i32_e32 v118, 31, v118
	v_xor_b32_e32 v119, s41, v118
	v_xor_b32_e32 v118, s40, v118
	v_and_b32_e32 v178, v178, v119
	v_and_b32_e32 v179, v179, v118
	v_lshlrev_b32_e32 v119, 29, v177
	v_mov_b32_e32 v118, v5
	v_cmp_gt_i64_e64 s[40:41], 0, v[118:119]
	v_not_b32_e32 v118, v119
	v_ashrrev_i32_e32 v118, 31, v118
	v_xor_b32_e32 v119, s41, v118
	v_xor_b32_e32 v118, s40, v118
	v_and_b32_e32 v178, v178, v119
	v_and_b32_e32 v179, v179, v118
	;; [unrolled: 9-line block ×7, first 2 shown]
	v_mbcnt_lo_u32_b32 v177, v118, 0
	v_mbcnt_hi_u32_b32 v177, v119, v177
	v_cmp_ne_u64_e64 s[40:41], 0, v[118:119]
	v_cmp_eq_u32_e64 s[44:45], 0, v177
	s_and_b64 s[44:45], s[40:41], s[44:45]
	; wave barrier
	s_and_saveexec_b64 s[40:41], s[44:45]
	s_cbranch_execz .LBB708_71
; %bb.70:                               ;   in Loop: Header=BB708_53 Depth=1
	v_bcnt_u32_b32 v118, v118, 0
	v_bcnt_u32_b32 v118, v119, v118
	s_waitcnt lgkmcnt(0)
	v_add_u32_e32 v118, v167, v118
	ds_write_b32 v176, v118
.LBB708_71:                             ;   in Loop: Header=BB708_53 Depth=1
	s_or_b64 exec, exec, s[40:41]
	v_lshrrev_b64 v[118:119], v10, v[68:69]
	v_and_b32_e32 v180, v118, v132
	v_lshl_add_u32 v118, v180, 2, v42
	v_lshl_add_u32 v118, v118, 2, v12
	; wave barrier
	v_add_u32_e32 v179, 16, v118
	ds_read_b32 v178, v118 offset:16
	v_and_b32_e32 v118, 1, v180
	v_add_co_u32_e64 v119, s[40:41], -1, v118
	v_addc_co_u32_e64 v181, s[40:41], 0, -1, s[40:41]
	v_cmp_ne_u32_e64 s[40:41], 0, v118
	v_xor_b32_e32 v118, s41, v181
	v_xor_b32_e32 v119, s40, v119
	v_and_b32_e32 v181, exec_hi, v118
	v_and_b32_e32 v182, exec_lo, v119
	v_lshlrev_b32_e32 v119, 30, v180
	v_mov_b32_e32 v118, v5
	v_cmp_gt_i64_e64 s[40:41], 0, v[118:119]
	v_not_b32_e32 v118, v119
	v_ashrrev_i32_e32 v118, 31, v118
	v_xor_b32_e32 v119, s41, v118
	v_xor_b32_e32 v118, s40, v118
	v_and_b32_e32 v181, v181, v119
	v_and_b32_e32 v182, v182, v118
	v_lshlrev_b32_e32 v119, 29, v180
	v_mov_b32_e32 v118, v5
	v_cmp_gt_i64_e64 s[40:41], 0, v[118:119]
	v_not_b32_e32 v118, v119
	v_ashrrev_i32_e32 v118, 31, v118
	v_xor_b32_e32 v119, s41, v118
	v_xor_b32_e32 v118, s40, v118
	v_and_b32_e32 v181, v181, v119
	v_and_b32_e32 v182, v182, v118
	;; [unrolled: 9-line block ×7, first 2 shown]
	v_mbcnt_lo_u32_b32 v180, v118, 0
	v_mbcnt_hi_u32_b32 v180, v119, v180
	v_cmp_ne_u64_e64 s[40:41], 0, v[118:119]
	v_cmp_eq_u32_e64 s[44:45], 0, v180
	s_and_b64 s[44:45], s[40:41], s[44:45]
	; wave barrier
	s_and_saveexec_b64 s[40:41], s[44:45]
	s_cbranch_execz .LBB708_73
; %bb.72:                               ;   in Loop: Header=BB708_53 Depth=1
	v_bcnt_u32_b32 v118, v118, 0
	v_bcnt_u32_b32 v118, v119, v118
	s_waitcnt lgkmcnt(0)
	v_add_u32_e32 v118, v178, v118
	ds_write_b32 v179, v118
.LBB708_73:                             ;   in Loop: Header=BB708_53 Depth=1
	s_or_b64 exec, exec, s[40:41]
	v_lshrrev_b64 v[118:119], v10, v[66:67]
	v_and_b32_e32 v183, v118, v132
	v_lshl_add_u32 v118, v183, 2, v42
	v_lshl_add_u32 v118, v118, 2, v12
	; wave barrier
	v_add_u32_e32 v182, 16, v118
	ds_read_b32 v181, v118 offset:16
	v_and_b32_e32 v118, 1, v183
	v_add_co_u32_e64 v119, s[40:41], -1, v118
	v_addc_co_u32_e64 v192, s[40:41], 0, -1, s[40:41]
	v_cmp_ne_u32_e64 s[40:41], 0, v118
	v_xor_b32_e32 v118, s41, v192
	v_xor_b32_e32 v119, s40, v119
	v_and_b32_e32 v192, exec_hi, v118
	v_and_b32_e32 v193, exec_lo, v119
	v_lshlrev_b32_e32 v119, 30, v183
	v_mov_b32_e32 v118, v5
	v_cmp_gt_i64_e64 s[40:41], 0, v[118:119]
	v_not_b32_e32 v118, v119
	v_ashrrev_i32_e32 v118, 31, v118
	v_xor_b32_e32 v119, s41, v118
	v_xor_b32_e32 v118, s40, v118
	v_and_b32_e32 v192, v192, v119
	v_and_b32_e32 v193, v193, v118
	v_lshlrev_b32_e32 v119, 29, v183
	v_mov_b32_e32 v118, v5
	v_cmp_gt_i64_e64 s[40:41], 0, v[118:119]
	v_not_b32_e32 v118, v119
	v_ashrrev_i32_e32 v118, 31, v118
	v_xor_b32_e32 v119, s41, v118
	v_xor_b32_e32 v118, s40, v118
	v_and_b32_e32 v192, v192, v119
	v_and_b32_e32 v193, v193, v118
	;; [unrolled: 9-line block ×7, first 2 shown]
	v_mbcnt_lo_u32_b32 v183, v118, 0
	v_mbcnt_hi_u32_b32 v183, v119, v183
	v_cmp_ne_u64_e64 s[40:41], 0, v[118:119]
	v_cmp_eq_u32_e64 s[44:45], 0, v183
	s_and_b64 s[44:45], s[40:41], s[44:45]
	; wave barrier
	s_and_saveexec_b64 s[40:41], s[44:45]
	s_cbranch_execz .LBB708_75
; %bb.74:                               ;   in Loop: Header=BB708_53 Depth=1
	v_bcnt_u32_b32 v118, v118, 0
	v_bcnt_u32_b32 v118, v119, v118
	s_waitcnt lgkmcnt(0)
	v_add_u32_e32 v118, v181, v118
	ds_write_b32 v182, v118
.LBB708_75:                             ;   in Loop: Header=BB708_53 Depth=1
	s_or_b64 exec, exec, s[40:41]
	v_lshrrev_b64 v[118:119], v10, v[64:65]
	v_and_b32_e32 v194, v118, v132
	v_lshl_add_u32 v118, v194, 2, v42
	v_lshl_add_u32 v118, v118, 2, v12
	; wave barrier
	v_add_u32_e32 v193, 16, v118
	ds_read_b32 v192, v118 offset:16
	v_and_b32_e32 v118, 1, v194
	v_add_co_u32_e64 v119, s[40:41], -1, v118
	v_addc_co_u32_e64 v195, s[40:41], 0, -1, s[40:41]
	v_cmp_ne_u32_e64 s[40:41], 0, v118
	v_xor_b32_e32 v118, s41, v195
	v_xor_b32_e32 v119, s40, v119
	v_and_b32_e32 v195, exec_hi, v118
	v_and_b32_e32 v196, exec_lo, v119
	v_lshlrev_b32_e32 v119, 30, v194
	v_mov_b32_e32 v118, v5
	v_cmp_gt_i64_e64 s[40:41], 0, v[118:119]
	v_not_b32_e32 v118, v119
	v_ashrrev_i32_e32 v118, 31, v118
	v_xor_b32_e32 v119, s41, v118
	v_xor_b32_e32 v118, s40, v118
	v_and_b32_e32 v195, v195, v119
	v_and_b32_e32 v196, v196, v118
	v_lshlrev_b32_e32 v119, 29, v194
	v_mov_b32_e32 v118, v5
	v_cmp_gt_i64_e64 s[40:41], 0, v[118:119]
	v_not_b32_e32 v118, v119
	v_ashrrev_i32_e32 v118, 31, v118
	v_xor_b32_e32 v119, s41, v118
	v_xor_b32_e32 v118, s40, v118
	v_and_b32_e32 v195, v195, v119
	v_and_b32_e32 v196, v196, v118
	;; [unrolled: 9-line block ×7, first 2 shown]
	v_mbcnt_lo_u32_b32 v194, v118, 0
	v_mbcnt_hi_u32_b32 v194, v119, v194
	v_cmp_ne_u64_e64 s[40:41], 0, v[118:119]
	v_cmp_eq_u32_e64 s[44:45], 0, v194
	s_and_b64 s[44:45], s[40:41], s[44:45]
	; wave barrier
	s_and_saveexec_b64 s[40:41], s[44:45]
	s_cbranch_execz .LBB708_77
; %bb.76:                               ;   in Loop: Header=BB708_53 Depth=1
	v_bcnt_u32_b32 v118, v118, 0
	v_bcnt_u32_b32 v118, v119, v118
	s_waitcnt lgkmcnt(0)
	v_add_u32_e32 v118, v192, v118
	ds_write_b32 v193, v118
.LBB708_77:                             ;   in Loop: Header=BB708_53 Depth=1
	s_or_b64 exec, exec, s[40:41]
	v_lshrrev_b64 v[118:119], v10, v[54:55]
	v_and_b32_e32 v197, v118, v132
	v_lshl_add_u32 v118, v197, 2, v42
	v_lshl_add_u32 v118, v118, 2, v12
	; wave barrier
	v_add_u32_e32 v196, 16, v118
	ds_read_b32 v195, v118 offset:16
	v_and_b32_e32 v118, 1, v197
	v_add_co_u32_e64 v119, s[40:41], -1, v118
	v_addc_co_u32_e64 v198, s[40:41], 0, -1, s[40:41]
	v_cmp_ne_u32_e64 s[40:41], 0, v118
	v_xor_b32_e32 v118, s41, v198
	v_xor_b32_e32 v119, s40, v119
	v_and_b32_e32 v198, exec_hi, v118
	v_and_b32_e32 v199, exec_lo, v119
	v_lshlrev_b32_e32 v119, 30, v197
	v_mov_b32_e32 v118, v5
	v_cmp_gt_i64_e64 s[40:41], 0, v[118:119]
	v_not_b32_e32 v118, v119
	v_ashrrev_i32_e32 v118, 31, v118
	v_xor_b32_e32 v119, s41, v118
	v_xor_b32_e32 v118, s40, v118
	v_and_b32_e32 v198, v198, v119
	v_and_b32_e32 v199, v199, v118
	v_lshlrev_b32_e32 v119, 29, v197
	v_mov_b32_e32 v118, v5
	v_cmp_gt_i64_e64 s[40:41], 0, v[118:119]
	v_not_b32_e32 v118, v119
	v_ashrrev_i32_e32 v118, 31, v118
	v_xor_b32_e32 v119, s41, v118
	v_xor_b32_e32 v118, s40, v118
	v_and_b32_e32 v198, v198, v119
	v_and_b32_e32 v199, v199, v118
	;; [unrolled: 9-line block ×7, first 2 shown]
	v_mbcnt_lo_u32_b32 v197, v118, 0
	v_mbcnt_hi_u32_b32 v197, v119, v197
	v_cmp_ne_u64_e64 s[40:41], 0, v[118:119]
	v_cmp_eq_u32_e64 s[44:45], 0, v197
	s_and_b64 s[44:45], s[40:41], s[44:45]
	; wave barrier
	s_and_saveexec_b64 s[40:41], s[44:45]
	s_cbranch_execz .LBB708_79
; %bb.78:                               ;   in Loop: Header=BB708_53 Depth=1
	v_bcnt_u32_b32 v118, v118, 0
	v_bcnt_u32_b32 v118, v119, v118
	s_waitcnt lgkmcnt(0)
	v_add_u32_e32 v118, v195, v118
	ds_write_b32 v196, v118
.LBB708_79:                             ;   in Loop: Header=BB708_53 Depth=1
	s_or_b64 exec, exec, s[40:41]
	v_lshrrev_b64 v[118:119], v10, v[52:53]
	v_and_b32_e32 v208, v118, v132
	v_lshl_add_u32 v118, v208, 2, v42
	v_lshl_add_u32 v118, v118, 2, v12
	; wave barrier
	v_add_u32_e32 v199, 16, v118
	ds_read_b32 v198, v118 offset:16
	v_and_b32_e32 v118, 1, v208
	v_add_co_u32_e64 v119, s[40:41], -1, v118
	v_addc_co_u32_e64 v209, s[40:41], 0, -1, s[40:41]
	v_cmp_ne_u32_e64 s[40:41], 0, v118
	v_xor_b32_e32 v118, s41, v209
	v_xor_b32_e32 v119, s40, v119
	v_and_b32_e32 v209, exec_hi, v118
	v_and_b32_e32 v210, exec_lo, v119
	v_lshlrev_b32_e32 v119, 30, v208
	v_mov_b32_e32 v118, v5
	v_cmp_gt_i64_e64 s[40:41], 0, v[118:119]
	v_not_b32_e32 v118, v119
	v_ashrrev_i32_e32 v118, 31, v118
	v_xor_b32_e32 v119, s41, v118
	v_xor_b32_e32 v118, s40, v118
	v_and_b32_e32 v209, v209, v119
	v_and_b32_e32 v210, v210, v118
	v_lshlrev_b32_e32 v119, 29, v208
	v_mov_b32_e32 v118, v5
	v_cmp_gt_i64_e64 s[40:41], 0, v[118:119]
	v_not_b32_e32 v118, v119
	v_ashrrev_i32_e32 v118, 31, v118
	v_xor_b32_e32 v119, s41, v118
	v_xor_b32_e32 v118, s40, v118
	v_and_b32_e32 v209, v209, v119
	v_and_b32_e32 v210, v210, v118
	;; [unrolled: 9-line block ×7, first 2 shown]
	v_mbcnt_lo_u32_b32 v208, v118, 0
	v_mbcnt_hi_u32_b32 v208, v119, v208
	v_cmp_ne_u64_e64 s[40:41], 0, v[118:119]
	v_cmp_eq_u32_e64 s[44:45], 0, v208
	s_and_b64 s[44:45], s[40:41], s[44:45]
	; wave barrier
	s_and_saveexec_b64 s[40:41], s[44:45]
	s_cbranch_execz .LBB708_81
; %bb.80:                               ;   in Loop: Header=BB708_53 Depth=1
	v_bcnt_u32_b32 v118, v118, 0
	v_bcnt_u32_b32 v118, v119, v118
	s_waitcnt lgkmcnt(0)
	v_add_u32_e32 v118, v198, v118
	ds_write_b32 v199, v118
.LBB708_81:                             ;   in Loop: Header=BB708_53 Depth=1
	s_or_b64 exec, exec, s[40:41]
	v_lshrrev_b64 v[118:119], v10, v[50:51]
	v_and_b32_e32 v211, v118, v132
	v_lshl_add_u32 v118, v211, 2, v42
	v_lshl_add_u32 v118, v118, 2, v12
	; wave barrier
	v_add_u32_e32 v210, 16, v118
	ds_read_b32 v209, v118 offset:16
	v_and_b32_e32 v118, 1, v211
	v_add_co_u32_e64 v119, s[40:41], -1, v118
	v_addc_co_u32_e64 v212, s[40:41], 0, -1, s[40:41]
	v_cmp_ne_u32_e64 s[40:41], 0, v118
	v_xor_b32_e32 v118, s41, v212
	v_xor_b32_e32 v119, s40, v119
	v_and_b32_e32 v212, exec_hi, v118
	v_and_b32_e32 v213, exec_lo, v119
	v_lshlrev_b32_e32 v119, 30, v211
	v_mov_b32_e32 v118, v5
	v_cmp_gt_i64_e64 s[40:41], 0, v[118:119]
	v_not_b32_e32 v118, v119
	v_ashrrev_i32_e32 v118, 31, v118
	v_xor_b32_e32 v119, s41, v118
	v_xor_b32_e32 v118, s40, v118
	v_and_b32_e32 v212, v212, v119
	v_and_b32_e32 v213, v213, v118
	v_lshlrev_b32_e32 v119, 29, v211
	v_mov_b32_e32 v118, v5
	v_cmp_gt_i64_e64 s[40:41], 0, v[118:119]
	v_not_b32_e32 v118, v119
	v_ashrrev_i32_e32 v118, 31, v118
	v_xor_b32_e32 v119, s41, v118
	v_xor_b32_e32 v118, s40, v118
	v_and_b32_e32 v212, v212, v119
	v_and_b32_e32 v213, v213, v118
	;; [unrolled: 9-line block ×7, first 2 shown]
	v_mbcnt_lo_u32_b32 v211, v118, 0
	v_mbcnt_hi_u32_b32 v211, v119, v211
	v_cmp_ne_u64_e64 s[40:41], 0, v[118:119]
	v_cmp_eq_u32_e64 s[44:45], 0, v211
	s_and_b64 s[44:45], s[40:41], s[44:45]
	; wave barrier
	s_and_saveexec_b64 s[40:41], s[44:45]
	s_cbranch_execz .LBB708_83
; %bb.82:                               ;   in Loop: Header=BB708_53 Depth=1
	v_bcnt_u32_b32 v118, v118, 0
	v_bcnt_u32_b32 v118, v119, v118
	s_waitcnt lgkmcnt(0)
	v_add_u32_e32 v118, v209, v118
	ds_write_b32 v210, v118
.LBB708_83:                             ;   in Loop: Header=BB708_53 Depth=1
	s_or_b64 exec, exec, s[40:41]
	v_lshrrev_b64 v[118:119], v10, v[48:49]
	v_and_b32_e32 v213, v118, v132
	v_lshl_add_u32 v118, v213, 2, v42
	v_lshl_add_u32 v118, v118, 2, v12
	; wave barrier
	v_add_u32_e32 v212, 16, v118
	ds_read_b32 v132, v118 offset:16
	v_and_b32_e32 v118, 1, v213
	v_add_co_u32_e64 v119, s[40:41], -1, v118
	v_addc_co_u32_e64 v214, s[40:41], 0, -1, s[40:41]
	v_cmp_ne_u32_e64 s[40:41], 0, v118
	v_xor_b32_e32 v118, s41, v214
	v_xor_b32_e32 v119, s40, v119
	v_and_b32_e32 v214, exec_hi, v118
	v_and_b32_e32 v215, exec_lo, v119
	v_lshlrev_b32_e32 v119, 30, v213
	v_mov_b32_e32 v118, v5
	v_cmp_gt_i64_e64 s[40:41], 0, v[118:119]
	v_not_b32_e32 v118, v119
	v_ashrrev_i32_e32 v118, 31, v118
	v_xor_b32_e32 v119, s41, v118
	v_xor_b32_e32 v118, s40, v118
	v_and_b32_e32 v214, v214, v119
	v_and_b32_e32 v215, v215, v118
	v_lshlrev_b32_e32 v119, 29, v213
	v_mov_b32_e32 v118, v5
	v_cmp_gt_i64_e64 s[40:41], 0, v[118:119]
	v_not_b32_e32 v118, v119
	v_ashrrev_i32_e32 v118, 31, v118
	v_xor_b32_e32 v119, s41, v118
	v_xor_b32_e32 v118, s40, v118
	v_and_b32_e32 v214, v214, v119
	v_and_b32_e32 v215, v215, v118
	;; [unrolled: 9-line block ×7, first 2 shown]
	v_mbcnt_lo_u32_b32 v213, v118, 0
	v_mbcnt_hi_u32_b32 v213, v119, v213
	v_cmp_ne_u64_e64 s[40:41], 0, v[118:119]
	v_cmp_eq_u32_e64 s[44:45], 0, v213
	s_and_b64 s[44:45], s[40:41], s[44:45]
	; wave barrier
	s_and_saveexec_b64 s[40:41], s[44:45]
	s_cbranch_execz .LBB708_85
; %bb.84:                               ;   in Loop: Header=BB708_53 Depth=1
	v_bcnt_u32_b32 v118, v118, 0
	v_bcnt_u32_b32 v118, v119, v118
	s_waitcnt lgkmcnt(0)
	v_add_u32_e32 v118, v132, v118
	ds_write_b32 v212, v118
.LBB708_85:                             ;   in Loop: Header=BB708_53 Depth=1
	s_or_b64 exec, exec, s[40:41]
	; wave barrier
	s_waitcnt lgkmcnt(0)
	s_barrier
	ds_read_b32 v214, v1
	ds_read_b32 v119, v247
	;; [unrolled: 1-line block ×4, first 2 shown]
	s_waitcnt lgkmcnt(2)
	v_add_u32_e32 v224, v119, v214
	s_waitcnt lgkmcnt(0)
	v_add3_u32 v215, v224, v118, v215
	s_nop 1
	v_mov_b32_dpp v224, v215 row_shr:1 row_mask:0xf bank_mask:0xf
	v_cndmask_b32_e64 v224, v224, 0, vcc
	v_add_u32_e32 v215, v224, v215
	s_nop 1
	v_mov_b32_dpp v224, v215 row_shr:2 row_mask:0xf bank_mask:0xf
	v_cndmask_b32_e64 v224, 0, v224, s[4:5]
	v_add_u32_e32 v215, v215, v224
	s_nop 1
	v_mov_b32_dpp v224, v215 row_shr:4 row_mask:0xf bank_mask:0xf
	v_cndmask_b32_e64 v224, 0, v224, s[6:7]
	;; [unrolled: 4-line block ×3, first 2 shown]
	v_add_u32_e32 v215, v215, v224
	s_nop 1
	v_mov_b32_dpp v224, v215 row_bcast:15 row_mask:0xf bank_mask:0xf
	v_cndmask_b32_e64 v224, v224, 0, s[42:43]
	v_add_u32_e32 v215, v215, v224
	s_nop 1
	v_mov_b32_dpp v224, v215 row_bcast:31 row_mask:0xf bank_mask:0xf
	v_cndmask_b32_e64 v224, 0, v224, s[14:15]
	v_add_u32_e32 v215, v215, v224
	s_and_saveexec_b64 s[40:41], s[16:17]
; %bb.86:                               ;   in Loop: Header=BB708_53 Depth=1
	ds_write_b32 v44, v215
; %bb.87:                               ;   in Loop: Header=BB708_53 Depth=1
	s_or_b64 exec, exec, s[40:41]
	s_waitcnt lgkmcnt(0)
	s_barrier
	s_and_saveexec_b64 s[40:41], s[18:19]
	s_cbranch_execz .LBB708_89
; %bb.88:                               ;   in Loop: Header=BB708_53 Depth=1
	ds_read_b32 v224, v45
	s_waitcnt lgkmcnt(0)
	s_nop 0
	v_mov_b32_dpp v225, v224 row_shr:1 row_mask:0xf bank_mask:0xf
	v_cndmask_b32_e64 v225, v225, 0, s[26:27]
	v_add_u32_e32 v224, v225, v224
	s_nop 1
	v_mov_b32_dpp v225, v224 row_shr:2 row_mask:0xf bank_mask:0xf
	v_cndmask_b32_e64 v225, 0, v225, s[28:29]
	v_add_u32_e32 v224, v224, v225
	ds_write_b32 v45, v224
.LBB708_89:                             ;   in Loop: Header=BB708_53 Depth=1
	s_or_b64 exec, exec, s[40:41]
	v_mov_b32_e32 v224, 0
	s_waitcnt lgkmcnt(0)
	s_barrier
	s_and_saveexec_b64 s[40:41], s[20:21]
; %bb.90:                               ;   in Loop: Header=BB708_53 Depth=1
	ds_read_b32 v224, v46
; %bb.91:                               ;   in Loop: Header=BB708_53 Depth=1
	s_or_b64 exec, exec, s[40:41]
	s_waitcnt lgkmcnt(0)
	v_add_u32_e32 v215, v224, v215
	ds_bpermute_b32 v215, v43, v215
	v_add_u32_e32 v10, 8, v10
	v_cmp_lt_u32_e64 s[40:41], v10, v11
	s_mov_b64 s[56:57], -1
                                        ; implicit-def: $vgpr226_vgpr227
                                        ; implicit-def: $vgpr228_vgpr229
                                        ; implicit-def: $vgpr230_vgpr231
                                        ; implicit-def: $vgpr240_vgpr241
                                        ; implicit-def: $vgpr242_vgpr243
                                        ; implicit-def: $vgpr244_vgpr245
	s_waitcnt lgkmcnt(0)
	v_cndmask_b32_e64 v215, v215, v224, s[22:23]
	v_cndmask_b32_e64 v215, v215, 0, s[24:25]
	v_add_u32_e32 v214, v215, v214
	v_add_u32_e32 v119, v214, v119
	;; [unrolled: 1-line block ×3, first 2 shown]
	ds_write_b32 v1, v215
	ds_write_b32 v247, v214
	;; [unrolled: 1-line block ×4, first 2 shown]
	s_waitcnt lgkmcnt(0)
	s_barrier
	ds_read_b32 v4, v4
	ds_read_b32 v118, v130
	;; [unrolled: 1-line block ×6, first 2 shown]
	v_mov_b32_e32 v151, v5
                                        ; implicit-def: $vgpr214_vgpr215
                                        ; implicit-def: $vgpr224_vgpr225
	s_waitcnt lgkmcnt(5)
	v_add_u32_e32 v4, v4, v128
	s_waitcnt lgkmcnt(4)
	v_add3_u32 v118, v131, v129, v118
	s_waitcnt lgkmcnt(3)
	v_add3_u32 v128, v135, v133, v119
	s_waitcnt lgkmcnt(1)
	v_add3_u32 v133, v149, v147, v134
	ds_read_b32 v119, v162
	ds_read_b32 v129, v165
	;; [unrolled: 1-line block ×5, first 2 shown]
	v_add3_u32 v130, v146, v144, v130
	s_waitcnt lgkmcnt(5)
	v_add3_u32 v144, v160, v150, v145
	s_waitcnt lgkmcnt(4)
	;; [unrolled: 2-line block ×6, first 2 shown]
	v_add3_u32 v162, v183, v181, v135
	ds_read_b32 v119, v193
	ds_read_b32 v129, v196
	;; [unrolled: 1-line block ×5, first 2 shown]
	s_waitcnt lgkmcnt(4)
	v_add3_u32 v164, v194, v192, v119
	v_mov_b32_e32 v119, v5
	v_lshlrev_b64 v[118:119], 3, v[118:119]
	s_waitcnt lgkmcnt(3)
	v_add3_u32 v166, v197, v195, v129
	v_mov_b32_e32 v129, v5
	v_add_co_u32_e64 v88, s[44:45], v12, v118
	v_lshlrev_b64 v[118:119], 3, v[128:129]
	s_waitcnt lgkmcnt(2)
	v_add3_u32 v176, v208, v198, v131
	s_waitcnt lgkmcnt(1)
	v_add3_u32 v178, v211, v209, v134
	;; [unrolled: 2-line block ×3, first 2 shown]
	v_lshlrev_b64 v[134:135], 3, v[4:5]
	v_mov_b32_e32 v131, v5
	v_add_co_u32_e64 v89, s[44:45], v12, v118
	v_lshlrev_b64 v[118:119], 3, v[130:131]
	v_add_co_u32_e64 v4, s[44:45], v12, v134
	v_mov_b32_e32 v134, v5
	v_add_co_u32_e64 v90, s[44:45], v12, v118
	v_lshlrev_b64 v[118:119], 3, v[133:134]
	v_mov_b32_e32 v145, v5
	v_add_co_u32_e64 v91, s[44:45], v12, v118
	v_lshlrev_b64 v[118:119], 3, v[144:145]
	;; [unrolled: 3-line block ×11, first 2 shown]
	v_add_co_u32_e64 v109, s[44:45], v12, v118
	v_lshlrev_b64 v[118:119], 3, v[132:133]
                                        ; implicit-def: $vgpr182_vgpr183
                                        ; implicit-def: $vgpr192_vgpr193
                                        ; implicit-def: $vgpr194_vgpr195
                                        ; implicit-def: $vgpr196_vgpr197
                                        ; implicit-def: $vgpr198_vgpr199
                                        ; implicit-def: $vgpr208_vgpr209
                                        ; implicit-def: $vgpr210_vgpr211
                                        ; implicit-def: $vgpr212_vgpr213
                                        ; implicit-def: $vgpr128_vgpr129
                                        ; implicit-def: $vgpr132_vgpr133
                                        ; implicit-def: $vgpr130_vgpr131
                                        ; implicit-def: $vgpr144_vgpr145
                                        ; implicit-def: $vgpr134_vgpr135
                                        ; implicit-def: $vgpr148_vgpr149
                                        ; implicit-def: $vgpr146_vgpr147
                                        ; implicit-def: $vgpr160_vgpr161
                                        ; implicit-def: $vgpr150_vgpr151
                                        ; implicit-def: $vgpr164_vgpr165
                                        ; implicit-def: $vgpr162_vgpr163
                                        ; implicit-def: $vgpr176_vgpr177
                                        ; implicit-def: $vgpr166_vgpr167
                                        ; implicit-def: $vgpr180_vgpr181
                                        ; implicit-def: $vgpr178_vgpr179
	v_add_co_u32_e64 v110, s[44:45], v12, v118
                                        ; implicit-def: $vgpr118_vgpr119
	s_and_saveexec_b64 s[44:45], s[40:41]
	s_cbranch_execz .LBB708_52
; %bb.92:                               ;   in Loop: Header=BB708_53 Depth=1
	s_barrier
	ds_write_b64 v4, v[102:103]
	ds_write_b64 v88, v[100:101]
	;; [unrolled: 1-line block ×16, first 2 shown]
	s_waitcnt lgkmcnt(0)
	s_barrier
	ds_read_b64 v[128:129], v47
	ds_read_b64 v[118:119], v56
	;; [unrolled: 1-line block ×16, first 2 shown]
	s_waitcnt lgkmcnt(0)
	s_barrier
	ds_write_b64 v4, v[116:117]
	ds_write_b64 v88, v[114:115]
	;; [unrolled: 1-line block ×16, first 2 shown]
	s_waitcnt lgkmcnt(0)
	s_barrier
	ds_read_b64 v[182:183], v47
	ds_read_b64 v[192:193], v56
	;; [unrolled: 1-line block ×16, first 2 shown]
	v_add_u32_e32 v79, -8, v79
	s_xor_b64 s[56:57], exec, -1
	s_waitcnt lgkmcnt(0)
	s_barrier
	s_branch .LBB708_52
.LBB708_93:
	s_or_b64 exec, exec, s[46:47]
	v_lshl_add_u32 v1, v7, 3, v12
	s_barrier
	ds_write_b64 v4, v[102:103]
	ds_write_b64 v88, v[100:101]
	;; [unrolled: 1-line block ×16, first 2 shown]
	s_waitcnt lgkmcnt(0)
	s_barrier
	ds_read2st64_b64 v[100:103], v1 offset1:4
	ds_read2st64_b64 v[96:99], v1 offset0:8 offset1:12
	ds_read2st64_b64 v[84:87], v1 offset0:16 offset1:20
	;; [unrolled: 1-line block ×7, first 2 shown]
	s_waitcnt lgkmcnt(0)
	s_barrier
	ds_write_b64 v4, v[116:117]
	ds_write_b64 v88, v[114:115]
	;; [unrolled: 1-line block ×16, first 2 shown]
	s_waitcnt lgkmcnt(0)
	s_barrier
	ds_read2st64_b64 v[36:39], v1 offset1:4
	ds_read2st64_b64 v[32:35], v1 offset0:8 offset1:12
	ds_read2st64_b64 v[28:31], v1 offset0:16 offset1:20
	;; [unrolled: 1-line block ×7, first 2 shown]
	v_mov_b32_e32 v1, 0
	v_add_co_u32_e32 v4, vcc, v2, v112
	v_lshlrev_b64 v[1:2], 3, v[0:1]
	v_addc_co_u32_e32 v5, vcc, v3, v113, vcc
	v_add_co_u32_e32 v3, vcc, v4, v1
	v_addc_co_u32_e32 v4, vcc, v5, v2, vcc
	v_cmp_lt_u32_e64 s[4:5], v0, v246
	s_waitcnt lgkmcnt(0)
	s_barrier
	s_and_saveexec_b64 s[6:7], s[4:5]
	s_cbranch_execz .LBB708_95
; %bb.94:
	v_xor_b32_e32 v101, 0x7fffffff, v101
	v_not_b32_e32 v100, v100
	flat_store_dwordx2 v[3:4], v[100:101]
.LBB708_95:
	s_or_b64 exec, exec, s[6:7]
	v_add_u32_e32 v5, 0x100, v0
	v_cmp_lt_u32_e64 s[6:7], v5, v246
	s_and_saveexec_b64 s[10:11], s[6:7]
	s_cbranch_execz .LBB708_97
; %bb.96:
	v_xor_b32_e32 v101, 0x7fffffff, v103
	v_not_b32_e32 v100, v102
	flat_store_dwordx2 v[3:4], v[100:101] offset:2048
.LBB708_97:
	s_or_b64 exec, exec, s[10:11]
	v_add_u32_e32 v5, 0x200, v0
	v_cmp_lt_u32_e64 s[10:11], v5, v246
	s_and_saveexec_b64 s[14:15], s[10:11]
	s_cbranch_execz .LBB708_99
; %bb.98:
	v_add_co_u32_e32 v100, vcc, 0x1000, v3
	v_xor_b32_e32 v97, 0x7fffffff, v97
	v_not_b32_e32 v96, v96
	v_addc_co_u32_e32 v101, vcc, 0, v4, vcc
	flat_store_dwordx2 v[100:101], v[96:97]
.LBB708_99:
	s_or_b64 exec, exec, s[14:15]
	v_add_u32_e32 v5, 0x300, v0
	v_cmp_lt_u32_e64 s[56:57], v5, v246
	s_and_saveexec_b64 s[14:15], s[56:57]
	s_cbranch_execz .LBB708_101
; %bb.100:
	v_not_b32_e32 v96, v98
	v_add_co_u32_e32 v98, vcc, 0x1000, v3
	v_xor_b32_e32 v97, 0x7fffffff, v99
	v_addc_co_u32_e32 v99, vcc, 0, v4, vcc
	flat_store_dwordx2 v[98:99], v[96:97] offset:2048
.LBB708_101:
	s_or_b64 exec, exec, s[14:15]
	v_add_u32_e32 v5, 0x400, v0
	v_cmp_lt_u32_e64 s[14:15], v5, v246
	s_and_saveexec_b64 s[16:17], s[14:15]
	s_cbranch_execz .LBB708_103
; %bb.102:
	v_add_co_u32_e32 v96, vcc, 0x2000, v3
	v_xor_b32_e32 v85, 0x7fffffff, v85
	v_not_b32_e32 v84, v84
	v_addc_co_u32_e32 v97, vcc, 0, v4, vcc
	flat_store_dwordx2 v[96:97], v[84:85]
.LBB708_103:
	s_or_b64 exec, exec, s[16:17]
	v_add_u32_e32 v5, 0x500, v0
	v_cmp_lt_u32_e64 s[16:17], v5, v246
	s_and_saveexec_b64 s[18:19], s[16:17]
	s_cbranch_execz .LBB708_105
; %bb.104:
	v_not_b32_e32 v84, v86
	v_add_co_u32_e32 v86, vcc, 0x2000, v3
	v_xor_b32_e32 v85, 0x7fffffff, v87
	v_addc_co_u32_e32 v87, vcc, 0, v4, vcc
	flat_store_dwordx2 v[86:87], v[84:85] offset:2048
.LBB708_105:
	;; [unrolled: 24-line block ×6, first 2 shown]
	s_or_b64 exec, exec, s[44:45]
	v_add_u32_e32 v5, 0xe00, v0
	v_cmp_lt_u32_e64 s[44:45], v5, v246
	s_and_saveexec_b64 s[46:47], s[44:45]
	s_cbranch_execz .LBB708_123
; %bb.122:
	v_add_co_u32_e32 v52, vcc, 0x7000, v3
	v_xor_b32_e32 v49, 0x7fffffff, v49
	v_not_b32_e32 v48, v48
	v_addc_co_u32_e32 v53, vcc, 0, v4, vcc
	flat_store_dwordx2 v[52:53], v[48:49]
.LBB708_123:
	s_or_b64 exec, exec, s[46:47]
	v_add_u32_e32 v0, 0xf00, v0
	v_cmp_lt_u32_e64 s[46:47], v0, v246
	s_and_saveexec_b64 s[62:63], s[46:47]
	s_cbranch_execz .LBB708_125
; %bb.124:
	v_add_co_u32_e32 v3, vcc, 0x7000, v3
	v_xor_b32_e32 v49, 0x7fffffff, v51
	v_not_b32_e32 v48, v50
	v_addc_co_u32_e32 v4, vcc, 0, v4, vcc
	flat_store_dwordx2 v[3:4], v[48:49] offset:2048
.LBB708_125:
	s_or_b64 exec, exec, s[62:63]
	v_add_co_u32_e32 v0, vcc, v6, v112
	v_addc_co_u32_e32 v3, vcc, v15, v113, vcc
	v_add_co_u32_e32 v0, vcc, v0, v1
	v_addc_co_u32_e32 v1, vcc, v3, v2, vcc
	s_and_saveexec_b64 s[62:63], s[4:5]
	s_cbranch_execnz .LBB708_211
; %bb.126:
	s_or_b64 exec, exec, s[62:63]
	s_and_saveexec_b64 s[4:5], s[6:7]
	s_cbranch_execnz .LBB708_212
.LBB708_127:
	s_or_b64 exec, exec, s[4:5]
	s_and_saveexec_b64 s[4:5], s[10:11]
	s_cbranch_execnz .LBB708_213
.LBB708_128:
	s_or_b64 exec, exec, s[4:5]
	s_and_saveexec_b64 s[4:5], s[56:57]
	s_cbranch_execnz .LBB708_214
.LBB708_129:
	s_or_b64 exec, exec, s[4:5]
	s_and_saveexec_b64 s[4:5], s[14:15]
	s_cbranch_execnz .LBB708_215
.LBB708_130:
	s_or_b64 exec, exec, s[4:5]
	s_and_saveexec_b64 s[4:5], s[16:17]
	s_cbranch_execnz .LBB708_216
.LBB708_131:
	s_or_b64 exec, exec, s[4:5]
	s_and_saveexec_b64 s[4:5], s[18:19]
	s_cbranch_execnz .LBB708_217
.LBB708_132:
	s_or_b64 exec, exec, s[4:5]
	s_and_saveexec_b64 s[4:5], s[20:21]
	s_cbranch_execnz .LBB708_218
.LBB708_133:
	s_or_b64 exec, exec, s[4:5]
	s_and_saveexec_b64 s[4:5], s[22:23]
	s_cbranch_execnz .LBB708_219
.LBB708_134:
	s_or_b64 exec, exec, s[4:5]
	s_and_saveexec_b64 s[4:5], s[24:25]
	s_cbranch_execnz .LBB708_220
.LBB708_135:
	s_or_b64 exec, exec, s[4:5]
	s_and_saveexec_b64 s[4:5], s[26:27]
	s_cbranch_execnz .LBB708_221
.LBB708_136:
	s_or_b64 exec, exec, s[4:5]
	s_and_saveexec_b64 s[4:5], s[28:29]
	s_cbranch_execnz .LBB708_222
.LBB708_137:
	s_or_b64 exec, exec, s[4:5]
	s_and_saveexec_b64 s[4:5], s[40:41]
	s_cbranch_execnz .LBB708_223
.LBB708_138:
	s_or_b64 exec, exec, s[4:5]
	s_and_saveexec_b64 s[4:5], s[42:43]
	s_cbranch_execnz .LBB708_224
.LBB708_139:
	s_or_b64 exec, exec, s[4:5]
	s_and_saveexec_b64 s[4:5], s[44:45]
	s_cbranch_execnz .LBB708_225
.LBB708_140:
	s_or_b64 exec, exec, s[4:5]
	s_and_saveexec_b64 s[4:5], s[46:47]
	s_cbranch_execz .LBB708_142
.LBB708_141:
	v_add_co_u32_e32 v0, vcc, 0x7000, v0
	v_addc_co_u32_e32 v1, vcc, 0, v1, vcc
	flat_store_dwordx2 v[0:1], v[9:10] offset:2048
.LBB708_142:
	s_or_b64 exec, exec, s[4:5]
                                        ; implicit-def: $vgpr246
                                        ; implicit-def: $vgpr0
                                        ; implicit-def: $vgpr1
                                        ; implicit-def: $vgpr2
                                        ; implicit-def: $vgpr3
                                        ; implicit-def: $vgpr4
                                        ; implicit-def: $vgpr5
                                        ; implicit-def: $vgpr6
                                        ; implicit-def: $vgpr15
                                        ; implicit-def: $vgpr8
                                        ; implicit-def: $vgpr10
                                        ; implicit-def: $vgpr11
                                        ; implicit-def: $vgpr12
                                        ; implicit-def: $vgpr31
                                        ; implicit-def: $vgpr14
                                        ; implicit-def: $vgpr19
                                        ; implicit-def: $vgpr20
.LBB708_143:
	s_andn2_saveexec_b64 s[4:5], s[60:61]
	s_cbranch_execz .LBB708_372
; %bb.144:
	s_movk_i32 s4, 0x400
	v_cmp_lt_u32_e32 vcc, s4, v246
	s_and_saveexec_b64 s[4:5], vcc
	s_xor_b64 s[46:47], exec, s[4:5]
	s_cbranch_execz .LBB708_252
; %bb.145:
	s_load_dwordx2 s[4:5], s[8:9], 0x0
	v_mov_b32_e32 v9, 0
	v_lshlrev_b64 v[48:49], 3, v[8:9]
	v_and_b32_e32 v7, 0x3ff, v31
	v_add_co_u32_e32 v8, vcc, v0, v48
	s_waitcnt lgkmcnt(0)
	s_cmp_lt_u32 s13, s5
	s_cselect_b32 s5, 14, 20
	s_add_u32 s6, s8, s5
	s_addc_u32 s7, s9, 0
	s_cmp_lt_u32 s12, s4
	s_cselect_b32 s4, 12, 18
	s_add_u32 s4, s8, s4
	global_load_ushort v13, v9, s[6:7]
	s_addc_u32 s5, s9, 0
	global_load_ushort v21, v9, s[4:5]
	v_mbcnt_hi_u32_b32 v16, -1, v20
	v_addc_co_u32_e32 v20, vcc, v1, v49, vcc
	v_and_b32_e32 v17, 63, v16
	v_lshlrev_b32_e32 v18, 3, v17
	v_mov_b32_e32 v54, -1
	v_mov_b32_e32 v64, -1
	;; [unrolled: 1-line block ×4, first 2 shown]
	s_waitcnt vmcnt(0)
	v_mad_u32_u24 v0, v19, v13, v14
	v_add_co_u32_e32 v19, vcc, v8, v18
	v_mad_u64_u32 v[0:1], s[4:5], v0, v21, v[7:8]
	v_addc_co_u32_e32 v20, vcc, 0, v20, vcc
	v_lshlrev_b32_e32 v1, 3, v0
	v_and_b32_e32 v8, 0xfffffe00, v1
	v_lshlrev_b64 v[13:14], 3, v[8:9]
	v_or_b32_e32 v1, v8, v17
	v_add_co_u32_e32 v8, vcc, v19, v13
	v_addc_co_u32_e32 v9, vcc, v20, v14, vcc
	v_cmp_lt_u32_e32 vcc, v1, v246
	s_and_saveexec_b64 s[4:5], vcc
	s_cbranch_execz .LBB708_147
; %bb.146:
	flat_load_dwordx2 v[19:20], v[8:9]
	s_waitcnt vmcnt(0) lgkmcnt(0)
	v_xor_b32_e32 v65, 0x7fffffff, v20
	v_not_b32_e32 v64, v19
.LBB708_147:
	s_or_b64 exec, exec, s[4:5]
	v_or_b32_e32 v19, 64, v1
	v_cmp_lt_u32_e64 s[4:5], v19, v246
	s_and_saveexec_b64 s[6:7], s[4:5]
	s_cbranch_execz .LBB708_149
; %bb.148:
	flat_load_dwordx2 v[19:20], v[8:9] offset:512
	s_waitcnt vmcnt(0) lgkmcnt(0)
	v_xor_b32_e32 v55, 0x7fffffff, v20
	v_not_b32_e32 v54, v19
.LBB708_149:
	s_or_b64 exec, exec, s[6:7]
	v_or_b32_e32 v19, 0x80, v1
	v_mov_b32_e32 v66, -1
	v_mov_b32_e32 v68, -1
	v_mov_b32_e32 v67, -1
	v_mov_b32_e32 v69, -1
	v_cmp_lt_u32_e64 s[6:7], v19, v246
	s_and_saveexec_b64 s[10:11], s[6:7]
	s_cbranch_execz .LBB708_151
; %bb.150:
	flat_load_dwordx2 v[19:20], v[8:9] offset:1024
	s_waitcnt vmcnt(0) lgkmcnt(0)
	v_xor_b32_e32 v69, 0x7fffffff, v20
	v_not_b32_e32 v68, v19
.LBB708_151:
	s_or_b64 exec, exec, s[10:11]
	v_or_b32_e32 v19, 0xc0, v1
	v_cmp_lt_u32_e64 s[10:11], v19, v246
	s_and_saveexec_b64 s[14:15], s[10:11]
	s_cbranch_execz .LBB708_153
; %bb.152:
	flat_load_dwordx2 v[19:20], v[8:9] offset:1536
	s_waitcnt vmcnt(0) lgkmcnt(0)
	v_xor_b32_e32 v67, 0x7fffffff, v20
	v_not_b32_e32 v66, v19
.LBB708_153:
	s_or_b64 exec, exec, s[14:15]
	v_or_b32_e32 v19, 0x100, v1
	v_mov_b32_e32 v70, -1
	v_mov_b32_e32 v80, -1
	v_mov_b32_e32 v71, -1
	v_mov_b32_e32 v81, -1
	v_cmp_lt_u32_e64 s[20:21], v19, v246
	s_and_saveexec_b64 s[14:15], s[20:21]
	s_cbranch_execz .LBB708_155
; %bb.154:
	flat_load_dwordx2 v[19:20], v[8:9] offset:2048
	s_waitcnt vmcnt(0) lgkmcnt(0)
	v_xor_b32_e32 v81, 0x7fffffff, v20
	v_not_b32_e32 v80, v19
.LBB708_155:
	s_or_b64 exec, exec, s[14:15]
	v_or_b32_e32 v19, 0x140, v1
	v_cmp_lt_u32_e64 s[14:15], v19, v246
	s_and_saveexec_b64 s[16:17], s[14:15]
	s_cbranch_execz .LBB708_157
; %bb.156:
	flat_load_dwordx2 v[19:20], v[8:9] offset:2560
	s_waitcnt vmcnt(0) lgkmcnt(0)
	v_xor_b32_e32 v71, 0x7fffffff, v20
	v_not_b32_e32 v70, v19
.LBB708_157:
	s_or_b64 exec, exec, s[16:17]
	v_or_b32_e32 v19, 0x180, v1
	v_mov_b32_e32 v82, -1
	v_mov_b32_e32 v84, -1
	v_mov_b32_e32 v83, -1
	v_mov_b32_e32 v85, -1
	v_cmp_lt_u32_e64 s[16:17], v19, v246
	s_and_saveexec_b64 s[18:19], s[16:17]
	s_cbranch_execz .LBB708_159
; %bb.158:
	flat_load_dwordx2 v[19:20], v[8:9] offset:3072
	s_waitcnt vmcnt(0) lgkmcnt(0)
	v_xor_b32_e32 v85, 0x7fffffff, v20
	v_not_b32_e32 v84, v19
.LBB708_159:
	s_or_b64 exec, exec, s[18:19]
	v_or_b32_e32 v1, 0x1c0, v1
	v_cmp_lt_u32_e64 s[18:19], v1, v246
	s_and_saveexec_b64 s[22:23], s[18:19]
	s_cbranch_execz .LBB708_161
; %bb.160:
	flat_load_dwordx2 v[8:9], v[8:9] offset:3584
	s_waitcnt vmcnt(0) lgkmcnt(0)
	v_xor_b32_e32 v83, 0x7fffffff, v9
	v_not_b32_e32 v82, v8
.LBB708_161:
	s_or_b64 exec, exec, s[22:23]
	v_add_co_u32_e64 v1, s[22:23], v4, v48
	v_addc_co_u32_e64 v4, s[22:23], v5, v49, s[22:23]
	v_add_co_u32_e64 v1, s[22:23], v1, v18
	v_addc_co_u32_e64 v5, s[22:23], 0, v4, s[22:23]
	;; [unrolled: 2-line block ×3, first 2 shown]
                                        ; implicit-def: $vgpr86_vgpr87
	s_and_saveexec_b64 s[22:23], vcc
	s_cbranch_execnz .LBB708_285
; %bb.162:
	s_or_b64 exec, exec, s[22:23]
                                        ; implicit-def: $vgpr96_vgpr97
	s_and_saveexec_b64 s[22:23], s[4:5]
	s_cbranch_execnz .LBB708_286
.LBB708_163:
	s_or_b64 exec, exec, s[22:23]
                                        ; implicit-def: $vgpr98_vgpr99
	s_and_saveexec_b64 s[4:5], s[6:7]
	s_cbranch_execnz .LBB708_287
.LBB708_164:
	s_or_b64 exec, exec, s[4:5]
                                        ; implicit-def: $vgpr100_vgpr101
	s_and_saveexec_b64 s[4:5], s[10:11]
	s_cbranch_execnz .LBB708_288
.LBB708_165:
	s_or_b64 exec, exec, s[4:5]
                                        ; implicit-def: $vgpr102_vgpr103
	s_and_saveexec_b64 s[4:5], s[20:21]
	s_cbranch_execnz .LBB708_289
.LBB708_166:
	s_or_b64 exec, exec, s[4:5]
                                        ; implicit-def: $vgpr112_vgpr113
	s_and_saveexec_b64 s[4:5], s[14:15]
	s_cbranch_execnz .LBB708_290
.LBB708_167:
	s_or_b64 exec, exec, s[4:5]
                                        ; implicit-def: $vgpr114_vgpr115
	s_and_saveexec_b64 s[4:5], s[16:17]
	s_cbranch_execnz .LBB708_291
.LBB708_168:
	s_or_b64 exec, exec, s[4:5]
                                        ; implicit-def: $vgpr116_vgpr117
	s_and_saveexec_b64 s[4:5], s[18:19]
	s_cbranch_execz .LBB708_170
.LBB708_169:
	flat_load_dwordx2 v[116:117], v[4:5] offset:3584
.LBB708_170:
	s_or_b64 exec, exec, s[4:5]
	v_lshl_add_u32 v4, v7, 4, v12
	s_getpc_b64 s[4:5]
	s_add_u32 s4, s4, _ZN7rocprim17ROCPRIM_400000_NS16block_radix_sortIlLj256ELj8ElLj1ELj1ELj8ELNS0_26block_radix_rank_algorithmE2ELNS0_18block_padding_hintE2ELNS0_4arch9wavefront6targetE1EE19radix_bits_per_passE@rel32@lo+4
	s_addc_u32 s5, s5, _ZN7rocprim17ROCPRIM_400000_NS16block_radix_sortIlLj256ELj8ElLj1ELj1ELj8ELNS0_26block_radix_rank_algorithmE2ELNS0_18block_padding_hintE2ELNS0_4arch9wavefront6targetE1EE19radix_bits_per_passE@rel32@hi+12
	v_add_u32_e32 v1, 16, v4
	v_add_u32_e32 v118, 20, v4
	;; [unrolled: 1-line block ×4, first 2 shown]
	v_and_b32_e32 v4, 15, v16
	s_load_dword s62, s[4:5], 0x0
	v_cmp_eq_u32_e32 vcc, 0, v4
	v_cmp_lt_u32_e64 s[4:5], 1, v4
	v_cmp_lt_u32_e64 s[6:7], 3, v4
	;; [unrolled: 1-line block ×3, first 2 shown]
	v_and_b32_e32 v4, 16, v16
	v_cmp_eq_u32_e64 s[40:41], 0, v4
	v_and_b32_e32 v4, 0x3c0, v7
	v_min_u32_e32 v4, 0xc0, v4
	v_or_b32_e32 v4, 63, v4
	v_cmp_eq_u32_e64 s[16:17], v7, v4
	v_subrev_co_u32_e64 v4, s[22:23], 1, v16
	v_and_b32_e32 v5, 64, v16
	v_cmp_lt_i32_e64 s[24:25], v4, v5
	v_cndmask_b32_e64 v4, v4, v16, s[24:25]
	v_lshlrev_b32_e32 v130, 2, v4
	v_lshrrev_b32_e32 v4, 4, v7
	v_and_b32_e32 v4, 60, v4
	v_add_u32_e32 v131, v12, v4
	v_and_b32_e32 v4, 3, v16
	v_cmp_eq_u32_e64 s[26:27], 0, v4
	v_cmp_lt_u32_e64 s[28:29], 1, v4
	v_lshlrev_b32_e32 v4, 3, v7
	s_movk_i32 s42, 0x1e00
	v_and_or_b32 v4, v4, s42, v17
	v_lshl_add_u32 v134, v4, 3, v12
	v_lshrrev_b32_e32 v129, 6, v0
	v_cmp_lt_u32_e64 s[14:15], 31, v16
	v_cmp_gt_u32_e64 s[18:19], 4, v7
	v_cmp_lt_u32_e64 s[20:21], 63, v7
	v_cmp_eq_u32_e64 s[24:25], 0, v7
	v_mov_b32_e32 v5, 0
	v_lshl_add_u32 v132, v7, 2, v12
	v_add_u32_e32 v133, -4, v131
	v_add_u32_e32 v135, 0x200, v134
	v_add_u32_e32 v144, 0x400, v134
	;; [unrolled: 1-line block ×7, first 2 shown]
	v_sub_u32_e32 v150, v11, v10
	s_mov_b64 s[56:57], 0
	s_waitcnt vmcnt(0) lgkmcnt(0)
	s_barrier
	s_branch .LBB708_172
.LBB708_171:                            ;   in Loop: Header=BB708_172 Depth=1
	s_or_b64 exec, exec, s[44:45]
	s_and_b64 s[42:43], exec, s[60:61]
	s_or_b64 s[56:57], s[42:43], s[56:57]
	s_andn2_b64 exec, exec, s[56:57]
	s_cbranch_execz .LBB708_226
.LBB708_172:                            ; =>This Inner Loop Header: Depth=1
	v_mov_b32_e32 v38, v64
	v_mov_b32_e32 v39, v65
	;; [unrolled: 1-line block ×3, first 2 shown]
	v_min_u32_e32 v4, s62, v150
	v_mov_b32_e32 v37, v55
	v_mov_b32_e32 v32, v66
	v_lshlrev_b32_e64 v4, v4, -1
	v_lshrrev_b64 v[54:55], v10, v[38:39]
	v_mov_b32_e32 v33, v67
	v_not_b32_e32 v67, v4
	v_and_b32_e32 v64, v54, v67
	v_lshl_add_u32 v4, v64, 2, v129
	v_lshlrev_b64 v[54:55], 2, v[4:5]
	v_mov_b32_e32 v52, v86
	v_add_co_u32_e64 v4, s[42:43], v12, v54
	v_add_co_u32_e64 v4, s[42:43], 16, v4
	v_and_b32_e32 v54, 1, v64
	v_add_co_u32_e64 v55, s[42:43], -1, v54
	v_addc_co_u32_e64 v65, s[42:43], 0, -1, s[42:43]
	v_cmp_ne_u32_e64 s[42:43], 0, v54
	v_xor_b32_e32 v54, s43, v65
	v_xor_b32_e32 v55, s42, v55
	v_and_b32_e32 v65, exec_hi, v54
	v_and_b32_e32 v66, exec_lo, v55
	v_lshlrev_b32_e32 v55, 30, v64
	v_mov_b32_e32 v54, v5
	v_cmp_gt_i64_e64 s[42:43], 0, v[54:55]
	v_not_b32_e32 v54, v55
	v_ashrrev_i32_e32 v54, 31, v54
	v_xor_b32_e32 v55, s43, v54
	v_xor_b32_e32 v54, s42, v54
	v_and_b32_e32 v65, v65, v55
	v_and_b32_e32 v66, v66, v54
	v_lshlrev_b32_e32 v55, 29, v64
	v_mov_b32_e32 v54, v5
	v_cmp_gt_i64_e64 s[42:43], 0, v[54:55]
	v_not_b32_e32 v54, v55
	v_ashrrev_i32_e32 v54, 31, v54
	v_xor_b32_e32 v55, s43, v54
	v_xor_b32_e32 v54, s42, v54
	v_and_b32_e32 v65, v65, v55
	v_and_b32_e32 v66, v66, v54
	;; [unrolled: 9-line block ×7, first 2 shown]
	v_mbcnt_lo_u32_b32 v64, v54, 0
	v_mbcnt_hi_u32_b32 v64, v55, v64
	v_cmp_ne_u64_e64 s[42:43], 0, v[54:55]
	v_mov_b32_e32 v50, v96
	v_mov_b32_e32 v22, v98
	;; [unrolled: 1-line block ×12, first 2 shown]
	v_cmp_eq_u32_e64 s[44:45], 0, v64
	v_mov_b32_e32 v53, v87
	v_mov_b32_e32 v51, v97
	;; [unrolled: 1-line block ×13, first 2 shown]
	s_and_b64 s[44:45], s[42:43], s[44:45]
	ds_write_b32 v1, v5
	ds_write_b32 v118, v5
	;; [unrolled: 1-line block ×4, first 2 shown]
	s_waitcnt lgkmcnt(0)
	s_barrier
	; wave barrier
	s_and_saveexec_b64 s[42:43], s[44:45]
; %bb.173:                              ;   in Loop: Header=BB708_172 Depth=1
	v_bcnt_u32_b32 v54, v54, 0
	v_bcnt_u32_b32 v54, v55, v54
	ds_write_b32 v4, v54
; %bb.174:                              ;   in Loop: Header=BB708_172 Depth=1
	s_or_b64 exec, exec, s[42:43]
	v_lshrrev_b64 v[54:55], v10, v[36:37]
	v_and_b32_e32 v68, v54, v67
	v_lshl_add_u32 v54, v68, 2, v129
	v_lshl_add_u32 v54, v54, 2, v12
	; wave barrier
	v_add_u32_e32 v66, 16, v54
	ds_read_b32 v65, v54 offset:16
	v_and_b32_e32 v54, 1, v68
	v_add_co_u32_e64 v55, s[42:43], -1, v54
	v_addc_co_u32_e64 v69, s[42:43], 0, -1, s[42:43]
	v_cmp_ne_u32_e64 s[42:43], 0, v54
	v_xor_b32_e32 v54, s43, v69
	v_xor_b32_e32 v55, s42, v55
	v_and_b32_e32 v69, exec_hi, v54
	v_and_b32_e32 v70, exec_lo, v55
	v_lshlrev_b32_e32 v55, 30, v68
	v_mov_b32_e32 v54, v5
	v_cmp_gt_i64_e64 s[42:43], 0, v[54:55]
	v_not_b32_e32 v54, v55
	v_ashrrev_i32_e32 v54, 31, v54
	v_xor_b32_e32 v55, s43, v54
	v_xor_b32_e32 v54, s42, v54
	v_and_b32_e32 v69, v69, v55
	v_and_b32_e32 v70, v70, v54
	v_lshlrev_b32_e32 v55, 29, v68
	v_mov_b32_e32 v54, v5
	v_cmp_gt_i64_e64 s[42:43], 0, v[54:55]
	v_not_b32_e32 v54, v55
	v_ashrrev_i32_e32 v54, 31, v54
	v_xor_b32_e32 v55, s43, v54
	v_xor_b32_e32 v54, s42, v54
	v_and_b32_e32 v69, v69, v55
	v_and_b32_e32 v70, v70, v54
	;; [unrolled: 9-line block ×7, first 2 shown]
	v_mbcnt_lo_u32_b32 v68, v54, 0
	v_mbcnt_hi_u32_b32 v68, v55, v68
	v_cmp_ne_u64_e64 s[42:43], 0, v[54:55]
	v_cmp_eq_u32_e64 s[44:45], 0, v68
	s_and_b64 s[44:45], s[42:43], s[44:45]
	; wave barrier
	s_and_saveexec_b64 s[42:43], s[44:45]
	s_cbranch_execz .LBB708_176
; %bb.175:                              ;   in Loop: Header=BB708_172 Depth=1
	v_bcnt_u32_b32 v54, v54, 0
	v_bcnt_u32_b32 v54, v55, v54
	s_waitcnt lgkmcnt(0)
	v_add_u32_e32 v54, v65, v54
	ds_write_b32 v66, v54
.LBB708_176:                            ;   in Loop: Header=BB708_172 Depth=1
	s_or_b64 exec, exec, s[42:43]
	v_lshrrev_b64 v[54:55], v10, v[34:35]
	v_and_b32_e32 v71, v54, v67
	v_lshl_add_u32 v54, v71, 2, v129
	v_lshl_add_u32 v54, v54, 2, v12
	; wave barrier
	v_add_u32_e32 v70, 16, v54
	ds_read_b32 v69, v54 offset:16
	v_and_b32_e32 v54, 1, v71
	v_add_co_u32_e64 v55, s[42:43], -1, v54
	v_addc_co_u32_e64 v80, s[42:43], 0, -1, s[42:43]
	v_cmp_ne_u32_e64 s[42:43], 0, v54
	v_xor_b32_e32 v54, s43, v80
	v_xor_b32_e32 v55, s42, v55
	v_and_b32_e32 v80, exec_hi, v54
	v_and_b32_e32 v81, exec_lo, v55
	v_lshlrev_b32_e32 v55, 30, v71
	v_mov_b32_e32 v54, v5
	v_cmp_gt_i64_e64 s[42:43], 0, v[54:55]
	v_not_b32_e32 v54, v55
	v_ashrrev_i32_e32 v54, 31, v54
	v_xor_b32_e32 v55, s43, v54
	v_xor_b32_e32 v54, s42, v54
	v_and_b32_e32 v80, v80, v55
	v_and_b32_e32 v81, v81, v54
	v_lshlrev_b32_e32 v55, 29, v71
	v_mov_b32_e32 v54, v5
	v_cmp_gt_i64_e64 s[42:43], 0, v[54:55]
	v_not_b32_e32 v54, v55
	v_ashrrev_i32_e32 v54, 31, v54
	v_xor_b32_e32 v55, s43, v54
	v_xor_b32_e32 v54, s42, v54
	v_and_b32_e32 v80, v80, v55
	v_and_b32_e32 v81, v81, v54
	;; [unrolled: 9-line block ×7, first 2 shown]
	v_mbcnt_lo_u32_b32 v71, v54, 0
	v_mbcnt_hi_u32_b32 v71, v55, v71
	v_cmp_ne_u64_e64 s[42:43], 0, v[54:55]
	v_cmp_eq_u32_e64 s[44:45], 0, v71
	s_and_b64 s[44:45], s[42:43], s[44:45]
	; wave barrier
	s_and_saveexec_b64 s[42:43], s[44:45]
	s_cbranch_execz .LBB708_178
; %bb.177:                              ;   in Loop: Header=BB708_172 Depth=1
	v_bcnt_u32_b32 v54, v54, 0
	v_bcnt_u32_b32 v54, v55, v54
	s_waitcnt lgkmcnt(0)
	v_add_u32_e32 v54, v69, v54
	ds_write_b32 v70, v54
.LBB708_178:                            ;   in Loop: Header=BB708_172 Depth=1
	s_or_b64 exec, exec, s[42:43]
	v_lshrrev_b64 v[54:55], v10, v[32:33]
	v_and_b32_e32 v82, v54, v67
	v_lshl_add_u32 v54, v82, 2, v129
	v_lshl_add_u32 v54, v54, 2, v12
	; wave barrier
	v_add_u32_e32 v81, 16, v54
	ds_read_b32 v80, v54 offset:16
	v_and_b32_e32 v54, 1, v82
	v_add_co_u32_e64 v55, s[42:43], -1, v54
	v_addc_co_u32_e64 v83, s[42:43], 0, -1, s[42:43]
	v_cmp_ne_u32_e64 s[42:43], 0, v54
	v_xor_b32_e32 v54, s43, v83
	v_xor_b32_e32 v55, s42, v55
	v_and_b32_e32 v83, exec_hi, v54
	v_and_b32_e32 v84, exec_lo, v55
	v_lshlrev_b32_e32 v55, 30, v82
	v_mov_b32_e32 v54, v5
	v_cmp_gt_i64_e64 s[42:43], 0, v[54:55]
	v_not_b32_e32 v54, v55
	v_ashrrev_i32_e32 v54, 31, v54
	v_xor_b32_e32 v55, s43, v54
	v_xor_b32_e32 v54, s42, v54
	v_and_b32_e32 v83, v83, v55
	v_and_b32_e32 v84, v84, v54
	v_lshlrev_b32_e32 v55, 29, v82
	v_mov_b32_e32 v54, v5
	v_cmp_gt_i64_e64 s[42:43], 0, v[54:55]
	v_not_b32_e32 v54, v55
	v_ashrrev_i32_e32 v54, 31, v54
	v_xor_b32_e32 v55, s43, v54
	v_xor_b32_e32 v54, s42, v54
	v_and_b32_e32 v83, v83, v55
	v_and_b32_e32 v84, v84, v54
	;; [unrolled: 9-line block ×7, first 2 shown]
	v_mbcnt_lo_u32_b32 v82, v54, 0
	v_mbcnt_hi_u32_b32 v82, v55, v82
	v_cmp_ne_u64_e64 s[42:43], 0, v[54:55]
	v_cmp_eq_u32_e64 s[44:45], 0, v82
	s_and_b64 s[44:45], s[42:43], s[44:45]
	; wave barrier
	s_and_saveexec_b64 s[42:43], s[44:45]
	s_cbranch_execz .LBB708_180
; %bb.179:                              ;   in Loop: Header=BB708_172 Depth=1
	v_bcnt_u32_b32 v54, v54, 0
	v_bcnt_u32_b32 v54, v55, v54
	s_waitcnt lgkmcnt(0)
	v_add_u32_e32 v54, v80, v54
	ds_write_b32 v81, v54
.LBB708_180:                            ;   in Loop: Header=BB708_172 Depth=1
	s_or_b64 exec, exec, s[42:43]
	v_lshrrev_b64 v[54:55], v10, v[30:31]
	v_and_b32_e32 v85, v54, v67
	v_lshl_add_u32 v54, v85, 2, v129
	v_lshl_add_u32 v54, v54, 2, v12
	; wave barrier
	v_add_u32_e32 v84, 16, v54
	ds_read_b32 v83, v54 offset:16
	v_and_b32_e32 v54, 1, v85
	v_add_co_u32_e64 v55, s[42:43], -1, v54
	v_addc_co_u32_e64 v86, s[42:43], 0, -1, s[42:43]
	v_cmp_ne_u32_e64 s[42:43], 0, v54
	v_xor_b32_e32 v54, s43, v86
	v_xor_b32_e32 v55, s42, v55
	v_and_b32_e32 v86, exec_hi, v54
	v_and_b32_e32 v87, exec_lo, v55
	v_lshlrev_b32_e32 v55, 30, v85
	v_mov_b32_e32 v54, v5
	v_cmp_gt_i64_e64 s[42:43], 0, v[54:55]
	v_not_b32_e32 v54, v55
	v_ashrrev_i32_e32 v54, 31, v54
	v_xor_b32_e32 v55, s43, v54
	v_xor_b32_e32 v54, s42, v54
	v_and_b32_e32 v86, v86, v55
	v_and_b32_e32 v87, v87, v54
	v_lshlrev_b32_e32 v55, 29, v85
	v_mov_b32_e32 v54, v5
	v_cmp_gt_i64_e64 s[42:43], 0, v[54:55]
	v_not_b32_e32 v54, v55
	v_ashrrev_i32_e32 v54, 31, v54
	v_xor_b32_e32 v55, s43, v54
	v_xor_b32_e32 v54, s42, v54
	v_and_b32_e32 v86, v86, v55
	v_and_b32_e32 v87, v87, v54
	;; [unrolled: 9-line block ×7, first 2 shown]
	v_mbcnt_lo_u32_b32 v85, v54, 0
	v_mbcnt_hi_u32_b32 v85, v55, v85
	v_cmp_ne_u64_e64 s[42:43], 0, v[54:55]
	v_cmp_eq_u32_e64 s[44:45], 0, v85
	s_and_b64 s[44:45], s[42:43], s[44:45]
	; wave barrier
	s_and_saveexec_b64 s[42:43], s[44:45]
	s_cbranch_execz .LBB708_182
; %bb.181:                              ;   in Loop: Header=BB708_172 Depth=1
	v_bcnt_u32_b32 v54, v54, 0
	v_bcnt_u32_b32 v54, v55, v54
	s_waitcnt lgkmcnt(0)
	v_add_u32_e32 v54, v83, v54
	ds_write_b32 v84, v54
.LBB708_182:                            ;   in Loop: Header=BB708_172 Depth=1
	s_or_b64 exec, exec, s[42:43]
	v_lshrrev_b64 v[54:55], v10, v[28:29]
	v_and_b32_e32 v96, v54, v67
	v_lshl_add_u32 v54, v96, 2, v129
	v_lshl_add_u32 v54, v54, 2, v12
	; wave barrier
	v_add_u32_e32 v87, 16, v54
	ds_read_b32 v86, v54 offset:16
	v_and_b32_e32 v54, 1, v96
	v_add_co_u32_e64 v55, s[42:43], -1, v54
	v_addc_co_u32_e64 v97, s[42:43], 0, -1, s[42:43]
	v_cmp_ne_u32_e64 s[42:43], 0, v54
	v_xor_b32_e32 v54, s43, v97
	v_xor_b32_e32 v55, s42, v55
	v_and_b32_e32 v97, exec_hi, v54
	v_and_b32_e32 v98, exec_lo, v55
	v_lshlrev_b32_e32 v55, 30, v96
	v_mov_b32_e32 v54, v5
	v_cmp_gt_i64_e64 s[42:43], 0, v[54:55]
	v_not_b32_e32 v54, v55
	v_ashrrev_i32_e32 v54, 31, v54
	v_xor_b32_e32 v55, s43, v54
	v_xor_b32_e32 v54, s42, v54
	v_and_b32_e32 v97, v97, v55
	v_and_b32_e32 v98, v98, v54
	v_lshlrev_b32_e32 v55, 29, v96
	v_mov_b32_e32 v54, v5
	v_cmp_gt_i64_e64 s[42:43], 0, v[54:55]
	v_not_b32_e32 v54, v55
	v_ashrrev_i32_e32 v54, 31, v54
	v_xor_b32_e32 v55, s43, v54
	v_xor_b32_e32 v54, s42, v54
	v_and_b32_e32 v97, v97, v55
	v_and_b32_e32 v98, v98, v54
	;; [unrolled: 9-line block ×7, first 2 shown]
	v_mbcnt_lo_u32_b32 v96, v54, 0
	v_mbcnt_hi_u32_b32 v96, v55, v96
	v_cmp_ne_u64_e64 s[42:43], 0, v[54:55]
	v_cmp_eq_u32_e64 s[44:45], 0, v96
	s_and_b64 s[44:45], s[42:43], s[44:45]
	; wave barrier
	s_and_saveexec_b64 s[42:43], s[44:45]
	s_cbranch_execz .LBB708_184
; %bb.183:                              ;   in Loop: Header=BB708_172 Depth=1
	v_bcnt_u32_b32 v54, v54, 0
	v_bcnt_u32_b32 v54, v55, v54
	s_waitcnt lgkmcnt(0)
	v_add_u32_e32 v54, v86, v54
	ds_write_b32 v87, v54
.LBB708_184:                            ;   in Loop: Header=BB708_172 Depth=1
	s_or_b64 exec, exec, s[42:43]
	v_lshrrev_b64 v[54:55], v10, v[26:27]
	v_and_b32_e32 v99, v54, v67
	v_lshl_add_u32 v54, v99, 2, v129
	v_lshl_add_u32 v54, v54, 2, v12
	; wave barrier
	v_add_u32_e32 v98, 16, v54
	ds_read_b32 v97, v54 offset:16
	v_and_b32_e32 v54, 1, v99
	v_add_co_u32_e64 v55, s[42:43], -1, v54
	v_addc_co_u32_e64 v100, s[42:43], 0, -1, s[42:43]
	v_cmp_ne_u32_e64 s[42:43], 0, v54
	v_xor_b32_e32 v54, s43, v100
	v_xor_b32_e32 v55, s42, v55
	v_and_b32_e32 v100, exec_hi, v54
	v_and_b32_e32 v101, exec_lo, v55
	v_lshlrev_b32_e32 v55, 30, v99
	v_mov_b32_e32 v54, v5
	v_cmp_gt_i64_e64 s[42:43], 0, v[54:55]
	v_not_b32_e32 v54, v55
	v_ashrrev_i32_e32 v54, 31, v54
	v_xor_b32_e32 v55, s43, v54
	v_xor_b32_e32 v54, s42, v54
	v_and_b32_e32 v100, v100, v55
	v_and_b32_e32 v101, v101, v54
	v_lshlrev_b32_e32 v55, 29, v99
	v_mov_b32_e32 v54, v5
	v_cmp_gt_i64_e64 s[42:43], 0, v[54:55]
	v_not_b32_e32 v54, v55
	v_ashrrev_i32_e32 v54, 31, v54
	v_xor_b32_e32 v55, s43, v54
	v_xor_b32_e32 v54, s42, v54
	v_and_b32_e32 v100, v100, v55
	v_and_b32_e32 v101, v101, v54
	;; [unrolled: 9-line block ×7, first 2 shown]
	v_mbcnt_lo_u32_b32 v99, v54, 0
	v_mbcnt_hi_u32_b32 v99, v55, v99
	v_cmp_ne_u64_e64 s[42:43], 0, v[54:55]
	v_cmp_eq_u32_e64 s[44:45], 0, v99
	s_and_b64 s[44:45], s[42:43], s[44:45]
	; wave barrier
	s_and_saveexec_b64 s[42:43], s[44:45]
	s_cbranch_execz .LBB708_186
; %bb.185:                              ;   in Loop: Header=BB708_172 Depth=1
	v_bcnt_u32_b32 v54, v54, 0
	v_bcnt_u32_b32 v54, v55, v54
	s_waitcnt lgkmcnt(0)
	v_add_u32_e32 v54, v97, v54
	ds_write_b32 v98, v54
.LBB708_186:                            ;   in Loop: Header=BB708_172 Depth=1
	s_or_b64 exec, exec, s[42:43]
	v_lshrrev_b64 v[54:55], v10, v[24:25]
	v_and_b32_e32 v101, v54, v67
	v_lshl_add_u32 v54, v101, 2, v129
	v_lshl_add_u32 v54, v54, 2, v12
	; wave barrier
	v_add_u32_e32 v100, 16, v54
	ds_read_b32 v67, v54 offset:16
	v_and_b32_e32 v54, 1, v101
	v_add_co_u32_e64 v55, s[42:43], -1, v54
	v_addc_co_u32_e64 v102, s[42:43], 0, -1, s[42:43]
	v_cmp_ne_u32_e64 s[42:43], 0, v54
	v_xor_b32_e32 v54, s43, v102
	v_xor_b32_e32 v55, s42, v55
	v_and_b32_e32 v102, exec_hi, v54
	v_and_b32_e32 v103, exec_lo, v55
	v_lshlrev_b32_e32 v55, 30, v101
	v_mov_b32_e32 v54, v5
	v_cmp_gt_i64_e64 s[42:43], 0, v[54:55]
	v_not_b32_e32 v54, v55
	v_ashrrev_i32_e32 v54, 31, v54
	v_xor_b32_e32 v55, s43, v54
	v_xor_b32_e32 v54, s42, v54
	v_and_b32_e32 v102, v102, v55
	v_and_b32_e32 v103, v103, v54
	v_lshlrev_b32_e32 v55, 29, v101
	v_mov_b32_e32 v54, v5
	v_cmp_gt_i64_e64 s[42:43], 0, v[54:55]
	v_not_b32_e32 v54, v55
	v_ashrrev_i32_e32 v54, 31, v54
	v_xor_b32_e32 v55, s43, v54
	v_xor_b32_e32 v54, s42, v54
	v_and_b32_e32 v102, v102, v55
	v_and_b32_e32 v103, v103, v54
	;; [unrolled: 9-line block ×7, first 2 shown]
	v_mbcnt_lo_u32_b32 v101, v54, 0
	v_mbcnt_hi_u32_b32 v101, v55, v101
	v_cmp_ne_u64_e64 s[42:43], 0, v[54:55]
	v_cmp_eq_u32_e64 s[44:45], 0, v101
	s_and_b64 s[44:45], s[42:43], s[44:45]
	; wave barrier
	s_and_saveexec_b64 s[42:43], s[44:45]
	s_cbranch_execz .LBB708_188
; %bb.187:                              ;   in Loop: Header=BB708_172 Depth=1
	v_bcnt_u32_b32 v54, v54, 0
	v_bcnt_u32_b32 v54, v55, v54
	s_waitcnt lgkmcnt(0)
	v_add_u32_e32 v54, v67, v54
	ds_write_b32 v100, v54
.LBB708_188:                            ;   in Loop: Header=BB708_172 Depth=1
	s_or_b64 exec, exec, s[42:43]
	; wave barrier
	s_waitcnt lgkmcnt(0)
	s_barrier
	ds_read_b32 v102, v1
	ds_read_b32 v55, v118
	;; [unrolled: 1-line block ×4, first 2 shown]
	s_waitcnt lgkmcnt(2)
	v_add_u32_e32 v112, v55, v102
	s_waitcnt lgkmcnt(0)
	v_add3_u32 v103, v112, v54, v103
	s_nop 1
	v_mov_b32_dpp v112, v103 row_shr:1 row_mask:0xf bank_mask:0xf
	v_cndmask_b32_e64 v112, v112, 0, vcc
	v_add_u32_e32 v103, v112, v103
	s_nop 1
	v_mov_b32_dpp v112, v103 row_shr:2 row_mask:0xf bank_mask:0xf
	v_cndmask_b32_e64 v112, 0, v112, s[4:5]
	v_add_u32_e32 v103, v103, v112
	s_nop 1
	v_mov_b32_dpp v112, v103 row_shr:4 row_mask:0xf bank_mask:0xf
	v_cndmask_b32_e64 v112, 0, v112, s[6:7]
	;; [unrolled: 4-line block ×3, first 2 shown]
	v_add_u32_e32 v103, v103, v112
	s_nop 1
	v_mov_b32_dpp v112, v103 row_bcast:15 row_mask:0xf bank_mask:0xf
	v_cndmask_b32_e64 v112, v112, 0, s[40:41]
	v_add_u32_e32 v103, v103, v112
	s_nop 1
	v_mov_b32_dpp v112, v103 row_bcast:31 row_mask:0xf bank_mask:0xf
	v_cndmask_b32_e64 v112, 0, v112, s[14:15]
	v_add_u32_e32 v103, v103, v112
	s_and_saveexec_b64 s[42:43], s[16:17]
; %bb.189:                              ;   in Loop: Header=BB708_172 Depth=1
	ds_write_b32 v131, v103
; %bb.190:                              ;   in Loop: Header=BB708_172 Depth=1
	s_or_b64 exec, exec, s[42:43]
	s_waitcnt lgkmcnt(0)
	s_barrier
	s_and_saveexec_b64 s[42:43], s[18:19]
	s_cbranch_execz .LBB708_192
; %bb.191:                              ;   in Loop: Header=BB708_172 Depth=1
	ds_read_b32 v112, v132
	s_waitcnt lgkmcnt(0)
	s_nop 0
	v_mov_b32_dpp v113, v112 row_shr:1 row_mask:0xf bank_mask:0xf
	v_cndmask_b32_e64 v113, v113, 0, s[26:27]
	v_add_u32_e32 v112, v113, v112
	s_nop 1
	v_mov_b32_dpp v113, v112 row_shr:2 row_mask:0xf bank_mask:0xf
	v_cndmask_b32_e64 v113, 0, v113, s[28:29]
	v_add_u32_e32 v112, v112, v113
	ds_write_b32 v132, v112
.LBB708_192:                            ;   in Loop: Header=BB708_172 Depth=1
	s_or_b64 exec, exec, s[42:43]
	v_mov_b32_e32 v112, 0
	s_waitcnt lgkmcnt(0)
	s_barrier
	s_and_saveexec_b64 s[42:43], s[20:21]
; %bb.193:                              ;   in Loop: Header=BB708_172 Depth=1
	ds_read_b32 v112, v133
; %bb.194:                              ;   in Loop: Header=BB708_172 Depth=1
	s_or_b64 exec, exec, s[42:43]
	s_waitcnt lgkmcnt(0)
	v_add_u32_e32 v103, v112, v103
	ds_bpermute_b32 v103, v130, v103
	v_add_u32_e32 v10, 8, v10
	v_cmp_lt_u32_e64 s[42:43], v10, v11
	s_mov_b64 s[60:61], -1
                                        ; implicit-def: $vgpr114_vgpr115
                                        ; implicit-def: $vgpr116_vgpr117
	s_waitcnt lgkmcnt(0)
	v_cndmask_b32_e64 v103, v103, v112, s[22:23]
	v_cndmask_b32_e64 v103, v103, 0, s[24:25]
	v_add_u32_e32 v102, v103, v102
	v_add_u32_e32 v55, v102, v55
	;; [unrolled: 1-line block ×3, first 2 shown]
	ds_write_b32 v1, v103
	ds_write_b32 v118, v102
	;; [unrolled: 1-line block ×4, first 2 shown]
	s_waitcnt lgkmcnt(0)
	s_barrier
	ds_read_b32 v4, v4
	ds_read_b32 v54, v66
	;; [unrolled: 1-line block ×3, first 2 shown]
                                        ; implicit-def: $vgpr102_vgpr103
                                        ; implicit-def: $vgpr112_vgpr113
	s_waitcnt lgkmcnt(2)
	v_add_u32_e32 v4, v4, v64
	s_waitcnt lgkmcnt(1)
	v_add3_u32 v54, v68, v65, v54
	s_waitcnt lgkmcnt(0)
	v_add3_u32 v64, v71, v69, v55
	ds_read_b32 v55, v81
	ds_read_b32 v65, v84
	ds_read_b32 v69, v87
	ds_read_b32 v71, v98
	ds_read_b32 v81, v100
	s_waitcnt lgkmcnt(4)
	v_add3_u32 v66, v82, v80, v55
	v_mov_b32_e32 v55, v5
	v_lshlrev_b64 v[54:55], 3, v[54:55]
	s_waitcnt lgkmcnt(3)
	v_add3_u32 v68, v85, v83, v65
	v_mov_b32_e32 v65, v5
	v_add_co_u32_e64 v151, s[44:45], v12, v54
	v_lshlrev_b64 v[54:55], 3, v[64:65]
	s_waitcnt lgkmcnt(0)
	v_add3_u32 v82, v101, v67, v81
	v_mov_b32_e32 v67, v5
	v_add_co_u32_e64 v160, s[44:45], v12, v54
	v_lshlrev_b64 v[54:55], 3, v[66:67]
	v_add3_u32 v70, v96, v86, v69
	v_mov_b32_e32 v69, v5
	v_add_co_u32_e64 v161, s[44:45], v12, v54
	v_lshlrev_b64 v[54:55], 3, v[68:69]
	v_add3_u32 v80, v99, v97, v71
	v_mov_b32_e32 v71, v5
	v_add_co_u32_e64 v162, s[44:45], v12, v54
	v_lshlrev_b64 v[54:55], 3, v[70:71]
	v_lshlrev_b64 v[83:84], 3, v[4:5]
	v_mov_b32_e32 v81, v5
	v_add_co_u32_e64 v163, s[44:45], v12, v54
	v_lshlrev_b64 v[54:55], 3, v[80:81]
	v_add_co_u32_e64 v4, s[44:45], v12, v83
	v_mov_b32_e32 v83, v5
	v_add_co_u32_e64 v164, s[44:45], v12, v54
	v_lshlrev_b64 v[54:55], 3, v[82:83]
	v_add_co_u32_e64 v165, s[44:45], v12, v54
                                        ; implicit-def: $vgpr86_vgpr87
                                        ; implicit-def: $vgpr96_vgpr97
                                        ; implicit-def: $vgpr98_vgpr99
                                        ; implicit-def: $vgpr100_vgpr101
                                        ; implicit-def: $vgpr64_vgpr65
                                        ; implicit-def: $vgpr54_vgpr55
                                        ; implicit-def: $vgpr68_vgpr69
                                        ; implicit-def: $vgpr66_vgpr67
                                        ; implicit-def: $vgpr80_vgpr81
                                        ; implicit-def: $vgpr70_vgpr71
                                        ; implicit-def: $vgpr84_vgpr85
                                        ; implicit-def: $vgpr82_vgpr83
	s_and_saveexec_b64 s[44:45], s[42:43]
	s_cbranch_execz .LBB708_171
; %bb.195:                              ;   in Loop: Header=BB708_172 Depth=1
	s_barrier
	ds_write_b64 v4, v[38:39]
	ds_write_b64 v151, v[36:37]
	;; [unrolled: 1-line block ×8, first 2 shown]
	s_waitcnt lgkmcnt(0)
	s_barrier
	ds_read_b64 v[64:65], v134
	ds_read_b64 v[54:55], v135
	;; [unrolled: 1-line block ×8, first 2 shown]
	s_waitcnt lgkmcnt(0)
	s_barrier
	ds_write_b64 v4, v[52:53]
	ds_write_b64 v151, v[50:51]
	;; [unrolled: 1-line block ×8, first 2 shown]
	s_waitcnt lgkmcnt(0)
	s_barrier
	ds_read_b64 v[86:87], v134
	ds_read_b64 v[96:97], v135
	;; [unrolled: 1-line block ×8, first 2 shown]
	v_add_u32_e32 v150, -8, v150
	s_xor_b64 s[60:61], exec, -1
	s_waitcnt lgkmcnt(0)
	s_barrier
	s_branch .LBB708_171
.LBB708_196:
	flat_load_dwordx2 v[182:183], v[4:5]
	s_or_b64 exec, exec, s[62:63]
                                        ; implicit-def: $vgpr192_vgpr193
	s_and_saveexec_b64 s[4:5], s[6:7]
	s_cbranch_execz .LBB708_36
.LBB708_197:
	flat_load_dwordx2 v[192:193], v[4:5] offset:512
	s_or_b64 exec, exec, s[4:5]
                                        ; implicit-def: $vgpr194_vgpr195
	s_and_saveexec_b64 s[4:5], s[10:11]
	s_cbranch_execz .LBB708_37
.LBB708_198:
	flat_load_dwordx2 v[194:195], v[4:5] offset:1024
	s_or_b64 exec, exec, s[4:5]
                                        ; implicit-def: $vgpr196_vgpr197
	s_and_saveexec_b64 s[4:5], s[56:57]
	s_cbranch_execz .LBB708_38
.LBB708_199:
	flat_load_dwordx2 v[196:197], v[4:5] offset:1536
	s_or_b64 exec, exec, s[4:5]
                                        ; implicit-def: $vgpr198_vgpr199
	s_and_saveexec_b64 s[4:5], s[14:15]
	s_cbranch_execz .LBB708_39
.LBB708_200:
	flat_load_dwordx2 v[198:199], v[4:5] offset:2048
	s_or_b64 exec, exec, s[4:5]
                                        ; implicit-def: $vgpr208_vgpr209
	s_and_saveexec_b64 s[4:5], s[16:17]
	s_cbranch_execz .LBB708_40
.LBB708_201:
	flat_load_dwordx2 v[208:209], v[4:5] offset:2560
	s_or_b64 exec, exec, s[4:5]
                                        ; implicit-def: $vgpr210_vgpr211
	s_and_saveexec_b64 s[4:5], s[18:19]
	s_cbranch_execz .LBB708_41
.LBB708_202:
	flat_load_dwordx2 v[210:211], v[4:5] offset:3072
	s_or_b64 exec, exec, s[4:5]
                                        ; implicit-def: $vgpr212_vgpr213
	s_and_saveexec_b64 s[4:5], s[20:21]
	s_cbranch_execz .LBB708_42
.LBB708_203:
	flat_load_dwordx2 v[212:213], v[4:5] offset:3584
	s_or_b64 exec, exec, s[4:5]
                                        ; implicit-def: $vgpr214_vgpr215
	s_and_saveexec_b64 s[4:5], s[22:23]
	s_cbranch_execz .LBB708_43
.LBB708_204:
	v_add_co_u32_e32 v8, vcc, 0x1000, v4
	v_addc_co_u32_e32 v9, vcc, 0, v5, vcc
	flat_load_dwordx2 v[214:215], v[8:9]
	s_or_b64 exec, exec, s[4:5]
                                        ; implicit-def: $vgpr224_vgpr225
	s_and_saveexec_b64 s[4:5], s[24:25]
	s_cbranch_execz .LBB708_44
.LBB708_205:
	v_add_co_u32_e32 v8, vcc, 0x1000, v4
	v_addc_co_u32_e32 v9, vcc, 0, v5, vcc
	flat_load_dwordx2 v[224:225], v[8:9] offset:512
	s_or_b64 exec, exec, s[4:5]
                                        ; implicit-def: $vgpr226_vgpr227
	s_and_saveexec_b64 s[4:5], s[26:27]
	s_cbranch_execz .LBB708_45
.LBB708_206:
	v_add_co_u32_e32 v8, vcc, 0x1000, v4
	v_addc_co_u32_e32 v9, vcc, 0, v5, vcc
	flat_load_dwordx2 v[226:227], v[8:9] offset:1024
	s_or_b64 exec, exec, s[4:5]
                                        ; implicit-def: $vgpr228_vgpr229
	s_and_saveexec_b64 s[4:5], s[28:29]
	s_cbranch_execz .LBB708_46
.LBB708_207:
	v_add_co_u32_e32 v8, vcc, 0x1000, v4
	v_addc_co_u32_e32 v9, vcc, 0, v5, vcc
	flat_load_dwordx2 v[228:229], v[8:9] offset:1536
	s_or_b64 exec, exec, s[4:5]
                                        ; implicit-def: $vgpr230_vgpr231
	s_and_saveexec_b64 s[4:5], s[40:41]
	s_cbranch_execz .LBB708_47
.LBB708_208:
	v_add_co_u32_e32 v8, vcc, 0x1000, v4
	v_addc_co_u32_e32 v9, vcc, 0, v5, vcc
	flat_load_dwordx2 v[230:231], v[8:9] offset:2048
	s_or_b64 exec, exec, s[4:5]
                                        ; implicit-def: $vgpr240_vgpr241
	s_and_saveexec_b64 s[4:5], s[42:43]
	s_cbranch_execz .LBB708_48
.LBB708_209:
	v_add_co_u32_e32 v8, vcc, 0x1000, v4
	v_addc_co_u32_e32 v9, vcc, 0, v5, vcc
	flat_load_dwordx2 v[240:241], v[8:9] offset:2560
	s_or_b64 exec, exec, s[4:5]
                                        ; implicit-def: $vgpr242_vgpr243
	s_and_saveexec_b64 s[4:5], s[44:45]
	s_cbranch_execz .LBB708_49
.LBB708_210:
	v_add_co_u32_e32 v8, vcc, 0x1000, v4
	v_addc_co_u32_e32 v9, vcc, 0, v5, vcc
	flat_load_dwordx2 v[242:243], v[8:9] offset:3072
	s_or_b64 exec, exec, s[4:5]
                                        ; implicit-def: $vgpr244_vgpr245
	s_and_saveexec_b64 s[4:5], s[46:47]
	s_cbranch_execnz .LBB708_50
	s_branch .LBB708_51
.LBB708_211:
	flat_store_dwordx2 v[0:1], v[36:37]
	s_or_b64 exec, exec, s[62:63]
	s_and_saveexec_b64 s[4:5], s[6:7]
	s_cbranch_execz .LBB708_127
.LBB708_212:
	flat_store_dwordx2 v[0:1], v[38:39] offset:2048
	s_or_b64 exec, exec, s[4:5]
	s_and_saveexec_b64 s[4:5], s[10:11]
	s_cbranch_execz .LBB708_128
.LBB708_213:
	v_add_co_u32_e32 v2, vcc, 0x1000, v0
	v_addc_co_u32_e32 v3, vcc, 0, v1, vcc
	flat_store_dwordx2 v[2:3], v[32:33]
	s_or_b64 exec, exec, s[4:5]
	s_and_saveexec_b64 s[4:5], s[56:57]
	s_cbranch_execz .LBB708_129
.LBB708_214:
	v_add_co_u32_e32 v2, vcc, 0x1000, v0
	v_addc_co_u32_e32 v3, vcc, 0, v1, vcc
	flat_store_dwordx2 v[2:3], v[34:35] offset:2048
	s_or_b64 exec, exec, s[4:5]
	s_and_saveexec_b64 s[4:5], s[14:15]
	s_cbranch_execz .LBB708_130
.LBB708_215:
	v_add_co_u32_e32 v2, vcc, 0x2000, v0
	v_addc_co_u32_e32 v3, vcc, 0, v1, vcc
	flat_store_dwordx2 v[2:3], v[28:29]
	s_or_b64 exec, exec, s[4:5]
	s_and_saveexec_b64 s[4:5], s[16:17]
	s_cbranch_execz .LBB708_131
.LBB708_216:
	v_add_co_u32_e32 v2, vcc, 0x2000, v0
	v_addc_co_u32_e32 v3, vcc, 0, v1, vcc
	flat_store_dwordx2 v[2:3], v[30:31] offset:2048
	s_or_b64 exec, exec, s[4:5]
	s_and_saveexec_b64 s[4:5], s[18:19]
	s_cbranch_execz .LBB708_132
.LBB708_217:
	v_add_co_u32_e32 v2, vcc, 0x3000, v0
	v_addc_co_u32_e32 v3, vcc, 0, v1, vcc
	flat_store_dwordx2 v[2:3], v[24:25]
	s_or_b64 exec, exec, s[4:5]
	s_and_saveexec_b64 s[4:5], s[20:21]
	s_cbranch_execz .LBB708_133
.LBB708_218:
	v_add_co_u32_e32 v2, vcc, 0x3000, v0
	v_addc_co_u32_e32 v3, vcc, 0, v1, vcc
	flat_store_dwordx2 v[2:3], v[26:27] offset:2048
	s_or_b64 exec, exec, s[4:5]
	s_and_saveexec_b64 s[4:5], s[22:23]
	s_cbranch_execz .LBB708_134
.LBB708_219:
	v_add_co_u32_e32 v2, vcc, 0x4000, v0
	v_addc_co_u32_e32 v3, vcc, 0, v1, vcc
	flat_store_dwordx2 v[2:3], v[20:21]
	s_or_b64 exec, exec, s[4:5]
	s_and_saveexec_b64 s[4:5], s[24:25]
	s_cbranch_execz .LBB708_135
.LBB708_220:
	v_add_co_u32_e32 v2, vcc, 0x4000, v0
	v_addc_co_u32_e32 v3, vcc, 0, v1, vcc
	flat_store_dwordx2 v[2:3], v[22:23] offset:2048
	s_or_b64 exec, exec, s[4:5]
	s_and_saveexec_b64 s[4:5], s[26:27]
	s_cbranch_execz .LBB708_136
.LBB708_221:
	v_add_co_u32_e32 v2, vcc, 0x5000, v0
	v_addc_co_u32_e32 v3, vcc, 0, v1, vcc
	flat_store_dwordx2 v[2:3], v[16:17]
	s_or_b64 exec, exec, s[4:5]
	s_and_saveexec_b64 s[4:5], s[28:29]
	s_cbranch_execz .LBB708_137
.LBB708_222:
	v_add_co_u32_e32 v2, vcc, 0x5000, v0
	v_addc_co_u32_e32 v3, vcc, 0, v1, vcc
	flat_store_dwordx2 v[2:3], v[18:19] offset:2048
	s_or_b64 exec, exec, s[4:5]
	s_and_saveexec_b64 s[4:5], s[40:41]
	s_cbranch_execz .LBB708_138
.LBB708_223:
	v_add_co_u32_e32 v2, vcc, 0x6000, v0
	v_addc_co_u32_e32 v3, vcc, 0, v1, vcc
	flat_store_dwordx2 v[2:3], v[11:12]
	s_or_b64 exec, exec, s[4:5]
	s_and_saveexec_b64 s[4:5], s[42:43]
	s_cbranch_execz .LBB708_139
.LBB708_224:
	v_add_co_u32_e32 v2, vcc, 0x6000, v0
	v_addc_co_u32_e32 v3, vcc, 0, v1, vcc
	flat_store_dwordx2 v[2:3], v[13:14] offset:2048
	s_or_b64 exec, exec, s[4:5]
	s_and_saveexec_b64 s[4:5], s[44:45]
	s_cbranch_execz .LBB708_140
.LBB708_225:
	v_add_co_u32_e32 v2, vcc, 0x7000, v0
	v_addc_co_u32_e32 v3, vcc, 0, v1, vcc
	flat_store_dwordx2 v[2:3], v[7:8]
	s_or_b64 exec, exec, s[4:5]
	s_and_saveexec_b64 s[4:5], s[46:47]
	s_cbranch_execnz .LBB708_141
	s_branch .LBB708_142
.LBB708_226:
	s_or_b64 exec, exec, s[56:57]
	v_lshl_add_u32 v1, v7, 3, v12
	s_barrier
	ds_write_b64 v4, v[38:39]
	ds_write_b64 v151, v[36:37]
	;; [unrolled: 1-line block ×8, first 2 shown]
	s_waitcnt lgkmcnt(0)
	s_barrier
	ds_read2st64_b64 v[36:39], v1 offset1:4
	ds_read2st64_b64 v[32:35], v1 offset0:8 offset1:12
	ds_read2st64_b64 v[28:31], v1 offset0:16 offset1:20
	;; [unrolled: 1-line block ×3, first 2 shown]
	s_waitcnt lgkmcnt(0)
	s_barrier
	ds_write_b64 v4, v[52:53]
	ds_write_b64 v151, v[50:51]
	;; [unrolled: 1-line block ×8, first 2 shown]
	s_waitcnt lgkmcnt(0)
	s_barrier
	ds_read2st64_b64 v[20:23], v1 offset1:4
	ds_read2st64_b64 v[16:19], v1 offset0:8 offset1:12
	ds_read2st64_b64 v[11:14], v1 offset0:16 offset1:20
	;; [unrolled: 1-line block ×3, first 2 shown]
	v_mov_b32_e32 v1, 0
	v_add_co_u32_e32 v4, vcc, v2, v48
	v_lshlrev_b64 v[1:2], 3, v[0:1]
	v_addc_co_u32_e32 v5, vcc, v3, v49, vcc
	v_add_co_u32_e32 v3, vcc, v4, v1
	v_addc_co_u32_e32 v4, vcc, v5, v2, vcc
	v_cmp_lt_u32_e64 s[4:5], v0, v246
	s_waitcnt lgkmcnt(0)
	s_barrier
	s_and_saveexec_b64 s[6:7], s[4:5]
	s_cbranch_execz .LBB708_228
; %bb.227:
	v_xor_b32_e32 v37, 0x7fffffff, v37
	v_not_b32_e32 v36, v36
	flat_store_dwordx2 v[3:4], v[36:37]
.LBB708_228:
	s_or_b64 exec, exec, s[6:7]
	v_add_u32_e32 v5, 0x100, v0
	v_cmp_lt_u32_e64 s[6:7], v5, v246
	s_and_saveexec_b64 s[10:11], s[6:7]
	s_cbranch_execz .LBB708_230
; %bb.229:
	v_xor_b32_e32 v37, 0x7fffffff, v39
	v_not_b32_e32 v36, v38
	flat_store_dwordx2 v[3:4], v[36:37] offset:2048
.LBB708_230:
	s_or_b64 exec, exec, s[10:11]
	v_add_u32_e32 v5, 0x200, v0
	v_cmp_lt_u32_e64 s[10:11], v5, v246
	s_and_saveexec_b64 s[14:15], s[10:11]
	s_cbranch_execz .LBB708_232
; %bb.231:
	v_add_co_u32_e32 v36, vcc, 0x1000, v3
	v_xor_b32_e32 v33, 0x7fffffff, v33
	v_not_b32_e32 v32, v32
	v_addc_co_u32_e32 v37, vcc, 0, v4, vcc
	flat_store_dwordx2 v[36:37], v[32:33]
.LBB708_232:
	s_or_b64 exec, exec, s[14:15]
	v_add_u32_e32 v5, 0x300, v0
	v_cmp_lt_u32_e64 s[22:23], v5, v246
	s_and_saveexec_b64 s[14:15], s[22:23]
	s_cbranch_execz .LBB708_234
; %bb.233:
	v_not_b32_e32 v32, v34
	v_add_co_u32_e32 v34, vcc, 0x1000, v3
	v_xor_b32_e32 v33, 0x7fffffff, v35
	v_addc_co_u32_e32 v35, vcc, 0, v4, vcc
	flat_store_dwordx2 v[34:35], v[32:33] offset:2048
.LBB708_234:
	s_or_b64 exec, exec, s[14:15]
	v_add_u32_e32 v5, 0x400, v0
	v_cmp_lt_u32_e64 s[14:15], v5, v246
	s_and_saveexec_b64 s[16:17], s[14:15]
	s_cbranch_execz .LBB708_236
; %bb.235:
	v_add_co_u32_e32 v32, vcc, 0x2000, v3
	v_xor_b32_e32 v29, 0x7fffffff, v29
	v_not_b32_e32 v28, v28
	v_addc_co_u32_e32 v33, vcc, 0, v4, vcc
	flat_store_dwordx2 v[32:33], v[28:29]
.LBB708_236:
	s_or_b64 exec, exec, s[16:17]
	v_add_u32_e32 v5, 0x500, v0
	v_cmp_lt_u32_e64 s[16:17], v5, v246
	s_and_saveexec_b64 s[18:19], s[16:17]
	s_cbranch_execz .LBB708_238
; %bb.237:
	v_not_b32_e32 v28, v30
	v_add_co_u32_e32 v30, vcc, 0x2000, v3
	v_xor_b32_e32 v29, 0x7fffffff, v31
	v_addc_co_u32_e32 v31, vcc, 0, v4, vcc
	flat_store_dwordx2 v[30:31], v[28:29] offset:2048
.LBB708_238:
	s_or_b64 exec, exec, s[18:19]
	v_add_u32_e32 v5, 0x600, v0
	v_cmp_lt_u32_e64 s[18:19], v5, v246
	s_and_saveexec_b64 s[20:21], s[18:19]
	s_cbranch_execz .LBB708_240
; %bb.239:
	v_add_co_u32_e32 v28, vcc, 0x3000, v3
	v_xor_b32_e32 v25, 0x7fffffff, v25
	v_not_b32_e32 v24, v24
	v_addc_co_u32_e32 v29, vcc, 0, v4, vcc
	flat_store_dwordx2 v[28:29], v[24:25]
.LBB708_240:
	s_or_b64 exec, exec, s[20:21]
	v_add_u32_e32 v0, 0x700, v0
	v_cmp_lt_u32_e64 s[20:21], v0, v246
	s_and_saveexec_b64 s[24:25], s[20:21]
	s_cbranch_execz .LBB708_242
; %bb.241:
	v_add_co_u32_e32 v3, vcc, 0x3000, v3
	v_xor_b32_e32 v25, 0x7fffffff, v27
	v_not_b32_e32 v24, v26
	v_addc_co_u32_e32 v4, vcc, 0, v4, vcc
	flat_store_dwordx2 v[3:4], v[24:25] offset:2048
.LBB708_242:
	s_or_b64 exec, exec, s[24:25]
	v_add_co_u32_e32 v0, vcc, v6, v48
	v_addc_co_u32_e32 v3, vcc, v15, v49, vcc
	v_add_co_u32_e32 v0, vcc, v0, v1
	v_addc_co_u32_e32 v1, vcc, v3, v2, vcc
	s_and_saveexec_b64 s[24:25], s[4:5]
	s_cbranch_execnz .LBB708_292
; %bb.243:
	s_or_b64 exec, exec, s[24:25]
	s_and_saveexec_b64 s[4:5], s[6:7]
	s_cbranch_execnz .LBB708_293
.LBB708_244:
	s_or_b64 exec, exec, s[4:5]
	s_and_saveexec_b64 s[4:5], s[10:11]
	s_cbranch_execnz .LBB708_294
.LBB708_245:
	s_or_b64 exec, exec, s[4:5]
	s_and_saveexec_b64 s[4:5], s[22:23]
	s_cbranch_execnz .LBB708_295
.LBB708_246:
	s_or_b64 exec, exec, s[4:5]
	s_and_saveexec_b64 s[4:5], s[14:15]
	s_cbranch_execnz .LBB708_296
.LBB708_247:
	s_or_b64 exec, exec, s[4:5]
	s_and_saveexec_b64 s[4:5], s[16:17]
	s_cbranch_execnz .LBB708_297
.LBB708_248:
	s_or_b64 exec, exec, s[4:5]
	s_and_saveexec_b64 s[4:5], s[18:19]
	s_cbranch_execnz .LBB708_298
.LBB708_249:
	s_or_b64 exec, exec, s[4:5]
	s_and_saveexec_b64 s[4:5], s[20:21]
	s_cbranch_execz .LBB708_251
.LBB708_250:
	v_add_co_u32_e32 v0, vcc, 0x3000, v0
	v_addc_co_u32_e32 v1, vcc, 0, v1, vcc
	flat_store_dwordx2 v[0:1], v[9:10] offset:2048
.LBB708_251:
	s_or_b64 exec, exec, s[4:5]
                                        ; implicit-def: $vgpr246
                                        ; implicit-def: $vgpr0
                                        ; implicit-def: $vgpr1
                                        ; implicit-def: $vgpr2
                                        ; implicit-def: $vgpr3
                                        ; implicit-def: $vgpr4
                                        ; implicit-def: $vgpr5
                                        ; implicit-def: $vgpr6
                                        ; implicit-def: $vgpr15
                                        ; implicit-def: $vgpr8
                                        ; implicit-def: $vgpr10
                                        ; implicit-def: $vgpr11
                                        ; implicit-def: $vgpr12
                                        ; implicit-def: $vgpr31
                                        ; implicit-def: $vgpr14
                                        ; implicit-def: $vgpr19
                                        ; implicit-def: $vgpr20
.LBB708_252:
	s_andn2_saveexec_b64 s[4:5], s[46:47]
	s_cbranch_execz .LBB708_372
; %bb.253:
	s_movk_i32 s4, 0x200
	v_cmp_lt_u32_e32 vcc, s4, v246
	s_and_saveexec_b64 s[4:5], vcc
	s_xor_b64 s[46:47], exec, s[4:5]
	s_cbranch_execz .LBB708_313
; %bb.254:
	s_load_dwordx2 s[4:5], s[8:9], 0x0
	v_mov_b32_e32 v9, 0
	v_mov_b32_e32 v80, v10
	;; [unrolled: 1-line block ×3, first 2 shown]
	v_lshlrev_b64 v[24:25], 3, v[8:9]
	s_waitcnt lgkmcnt(0)
	s_cmp_lt_u32 s13, s5
	s_cselect_b32 s5, 14, 20
	s_add_u32 s6, s8, s5
	s_addc_u32 s7, s9, 0
	s_cmp_lt_u32 s12, s4
	s_cselect_b32 s4, 12, 18
	s_add_u32 s4, s8, s4
	global_load_ushort v10, v9, s[6:7]
	s_addc_u32 s5, s9, 0
	global_load_ushort v12, v9, s[4:5]
	v_add_co_u32_e32 v8, vcc, v0, v24
	v_and_b32_e32 v16, 0x3ff, v31
	v_addc_co_u32_e32 v17, vcc, v1, v25, vcc
	v_mbcnt_hi_u32_b32 v22, -1, v20
	v_and_b32_e32 v21, 63, v22
	v_lshlrev_b32_e32 v26, 3, v21
	v_mov_b32_e32 v81, v11
	v_mov_b32_e32 v7, v9
	;; [unrolled: 1-line block ×4, first 2 shown]
	s_waitcnt vmcnt(0)
	v_mad_u32_u24 v0, v19, v10, v14
	v_add_co_u32_e32 v14, vcc, v8, v26
	v_mad_u64_u32 v[0:1], s[4:5], v0, v12, v[16:17]
	v_addc_co_u32_e32 v20, vcc, 0, v17, vcc
	v_lshlrev_b32_e32 v1, 2, v0
	v_and_b32_e32 v8, 0xffffff00, v1
	v_lshlrev_b64 v[17:18], 3, v[8:9]
	v_or_b32_e32 v1, v8, v21
	v_bfrev_b32_e32 v8, 1
	v_add_co_u32_e64 v19, s[4:5], v14, v17
	v_cmp_lt_u32_e32 vcc, v1, v246
	v_mov_b32_e32 v10, v8
	v_mov_b32_e32 v12, v8
	v_addc_co_u32_e64 v20, s[4:5], v20, v18, s[4:5]
	v_mov_b32_e32 v14, v8
	s_and_saveexec_b64 s[4:5], vcc
	s_cbranch_execz .LBB708_256
; %bb.255:
	flat_load_dwordx2 v[27:28], v[19:20]
	v_mov_b32_e32 v29, v9
	v_mov_b32_e32 v30, v8
	;; [unrolled: 1-line block ×6, first 2 shown]
	s_waitcnt vmcnt(0) lgkmcnt(0)
	v_mov_b32_e32 v7, v27
	v_mov_b32_e32 v8, v28
	;; [unrolled: 1-line block ×8, first 2 shown]
.LBB708_256:
	s_or_b64 exec, exec, s[4:5]
	v_or_b32_e32 v27, 64, v1
	v_cmp_lt_u32_e64 s[4:5], v27, v246
	s_and_saveexec_b64 s[6:7], s[4:5]
	s_cbranch_execz .LBB708_258
; %bb.257:
	flat_load_dwordx2 v[9:10], v[19:20] offset:512
.LBB708_258:
	s_or_b64 exec, exec, s[6:7]
	v_or_b32_e32 v27, 0x80, v1
	v_cmp_lt_u32_e64 s[6:7], v27, v246
	s_and_saveexec_b64 s[10:11], s[6:7]
	s_cbranch_execz .LBB708_260
; %bb.259:
	flat_load_dwordx2 v[11:12], v[19:20] offset:1024
.LBB708_260:
	;; [unrolled: 8-line block ×3, first 2 shown]
	s_or_b64 exec, exec, s[14:15]
	v_add_co_u32_e64 v1, s[14:15], v4, v24
	v_addc_co_u32_e64 v4, s[14:15], v5, v25, s[14:15]
	v_add_co_u32_e64 v1, s[14:15], v1, v26
	v_addc_co_u32_e64 v5, s[14:15], 0, v4, s[14:15]
	;; [unrolled: 2-line block ×3, first 2 shown]
                                        ; implicit-def: $vgpr28_vgpr29
	s_and_saveexec_b64 s[14:15], vcc
	s_cbranch_execnz .LBB708_337
; %bb.263:
	s_or_b64 exec, exec, s[14:15]
                                        ; implicit-def: $vgpr30_vgpr31
	s_and_saveexec_b64 s[14:15], s[4:5]
	s_cbranch_execnz .LBB708_338
.LBB708_264:
	s_or_b64 exec, exec, s[14:15]
                                        ; implicit-def: $vgpr32_vgpr33
	s_and_saveexec_b64 s[4:5], s[6:7]
	s_cbranch_execnz .LBB708_339
.LBB708_265:
	s_or_b64 exec, exec, s[4:5]
                                        ; implicit-def: $vgpr36_vgpr37
	s_and_saveexec_b64 s[4:5], s[10:11]
	s_cbranch_execz .LBB708_267
.LBB708_266:
	flat_load_dwordx2 v[36:37], v[4:5] offset:1536
.LBB708_267:
	s_or_b64 exec, exec, s[4:5]
	v_mov_b32_e32 v1, v23
	v_lshl_add_u32 v5, v16, 4, v1
	s_getpc_b64 s[4:5]
	s_add_u32 s4, s4, _ZN7rocprim17ROCPRIM_400000_NS16block_radix_sortIlLj256ELj4ElLj1ELj1ELj8ELNS0_26block_radix_rank_algorithmE2ELNS0_18block_padding_hintE2ELNS0_4arch9wavefront6targetE1EE19radix_bits_per_passE@rel32@lo+4
	s_addc_u32 s5, s5, _ZN7rocprim17ROCPRIM_400000_NS16block_radix_sortIlLj256ELj4ElLj1ELj1ELj8ELNS0_26block_radix_rank_algorithmE2ELNS0_18block_padding_hintE2ELNS0_4arch9wavefront6targetE1EE19radix_bits_per_passE@rel32@hi+12
	v_add_u32_e32 v23, 16, v5
	v_add_u32_e32 v52, 20, v5
	;; [unrolled: 1-line block ×4, first 2 shown]
	v_and_b32_e32 v5, 15, v22
	s_load_dword s62, s[4:5], 0x0
	v_cmp_eq_u32_e32 vcc, 0, v5
	v_cmp_lt_u32_e64 s[4:5], 1, v5
	v_cmp_lt_u32_e64 s[6:7], 3, v5
	;; [unrolled: 1-line block ×3, first 2 shown]
	v_and_b32_e32 v5, 16, v22
	v_cmp_eq_u32_e64 s[40:41], 0, v5
	v_and_b32_e32 v5, 0x3c0, v16
	v_min_u32_e32 v5, 0xc0, v5
	v_or_b32_e32 v5, 63, v5
	v_xor_b32_e32 v34, -1, v7
	v_cmp_eq_u32_e64 s[16:17], v16, v5
	v_subrev_co_u32_e64 v5, s[22:23], 1, v22
	v_and_b32_e32 v7, 64, v22
	v_cmp_lt_i32_e64 s[24:25], v5, v7
	v_cndmask_b32_e64 v5, v5, v22, s[24:25]
	v_lshlrev_b32_e32 v4, 2, v16
	v_lshlrev_b32_e32 v64, 2, v5
	v_lshrrev_b32_e32 v5, 4, v16
	s_movk_i32 s42, 0xf00
	v_and_b32_e32 v5, 60, v5
	v_add_u32_e32 v66, v1, v4
	v_and_or_b32 v4, v4, s42, v21
	v_add_u32_e32 v65, v1, v5
	v_and_b32_e32 v7, 3, v22
	v_lshl_add_u32 v68, v4, 3, v1
	v_xor_b32_e32 v35, 0x7fffffff, v8
	s_waitcnt vmcnt(0) lgkmcnt(0)
	v_xor_b32_e32 v39, 0x7fffffff, v10
	v_xor_b32_e32 v38, -1, v9
	v_xor_b32_e32 v49, 0x7fffffff, v12
	v_xor_b32_e32 v48, -1, v11
	;; [unrolled: 2-line block ×3, first 2 shown]
	v_lshrrev_b32_e32 v55, 6, v0
	v_cmp_lt_u32_e64 s[14:15], 31, v22
	v_cmp_gt_u32_e64 s[18:19], 4, v16
	v_cmp_lt_u32_e64 s[20:21], 63, v16
	v_cmp_eq_u32_e64 s[24:25], 0, v16
	v_mov_b32_e32 v5, 0
	v_cmp_eq_u32_e64 s[26:27], 0, v7
	v_cmp_lt_u32_e64 s[28:29], 1, v7
	v_add_u32_e32 v67, -4, v65
	v_add_u32_e32 v69, 0x200, v68
	v_add_u32_e32 v70, 0x400, v68
	;; [unrolled: 1-line block ×3, first 2 shown]
	v_sub_u32_e32 v82, v81, v80
	s_mov_b64 s[56:57], 0
	s_barrier
	s_branch .LBB708_269
.LBB708_268:                            ;   in Loop: Header=BB708_269 Depth=1
	s_or_b64 exec, exec, s[44:45]
	s_and_b64 s[42:43], exec, s[60:61]
	s_or_b64 s[56:57], s[42:43], s[56:57]
	s_andn2_b64 exec, exec, s[56:57]
	s_cbranch_execz .LBB708_299
.LBB708_269:                            ; =>This Inner Loop Header: Depth=1
	v_mov_b32_e32 v26, v34
	v_mov_b32_e32 v27, v35
	;; [unrolled: 1-line block ×3, first 2 shown]
	v_min_u32_e32 v4, s62, v82
	v_mov_b32_e32 v14, v29
	v_lshlrev_b32_e64 v4, v4, -1
	v_lshrrev_b64 v[28:29], v80, v[26:27]
	v_mov_b32_e32 v11, v30
	v_not_b32_e32 v34, v4
	v_mov_b32_e32 v12, v31
	v_and_b32_e32 v30, v28, v34
	v_lshl_add_u32 v4, v30, 2, v55
	v_lshlrev_b64 v[28:29], 2, v[4:5]
	v_mov_b32_e32 v9, v32
	v_add_co_u32_e64 v4, s[42:43], v1, v28
	v_add_co_u32_e64 v4, s[42:43], 16, v4
	v_and_b32_e32 v28, 1, v30
	v_add_co_u32_e64 v29, s[42:43], -1, v28
	v_addc_co_u32_e64 v31, s[42:43], 0, -1, s[42:43]
	v_cmp_ne_u32_e64 s[42:43], 0, v28
	v_xor_b32_e32 v28, s43, v31
	v_xor_b32_e32 v29, s42, v29
	v_mov_b32_e32 v10, v33
	v_and_b32_e32 v31, exec_hi, v28
	v_and_b32_e32 v32, exec_lo, v29
	v_lshlrev_b32_e32 v29, 30, v30
	v_mov_b32_e32 v28, v5
	v_cmp_gt_i64_e64 s[42:43], 0, v[28:29]
	v_not_b32_e32 v28, v29
	v_ashrrev_i32_e32 v28, 31, v28
	v_xor_b32_e32 v29, s43, v28
	v_xor_b32_e32 v28, s42, v28
	v_and_b32_e32 v31, v31, v29
	v_and_b32_e32 v32, v32, v28
	v_lshlrev_b32_e32 v29, 29, v30
	v_mov_b32_e32 v28, v5
	v_cmp_gt_i64_e64 s[42:43], 0, v[28:29]
	v_not_b32_e32 v28, v29
	v_ashrrev_i32_e32 v28, 31, v28
	v_xor_b32_e32 v29, s43, v28
	v_xor_b32_e32 v28, s42, v28
	v_and_b32_e32 v31, v31, v29
	v_and_b32_e32 v32, v32, v28
	;; [unrolled: 9-line block ×7, first 2 shown]
	v_mbcnt_lo_u32_b32 v30, v28, 0
	v_mbcnt_hi_u32_b32 v30, v29, v30
	v_cmp_ne_u64_e64 s[42:43], 0, v[28:29]
	v_mov_b32_e32 v17, v50
	v_mov_b32_e32 v19, v48
	;; [unrolled: 1-line block ×4, first 2 shown]
	v_cmp_eq_u32_e64 s[44:45], 0, v30
	v_mov_b32_e32 v18, v51
	v_mov_b32_e32 v20, v49
	;; [unrolled: 1-line block ×4, first 2 shown]
	s_and_b64 s[44:45], s[42:43], s[44:45]
	ds_write_b32 v23, v5
	ds_write_b32 v52, v5
	;; [unrolled: 1-line block ×4, first 2 shown]
	s_waitcnt lgkmcnt(0)
	s_barrier
	; wave barrier
	s_and_saveexec_b64 s[42:43], s[44:45]
; %bb.270:                              ;   in Loop: Header=BB708_269 Depth=1
	v_bcnt_u32_b32 v28, v28, 0
	v_bcnt_u32_b32 v28, v29, v28
	ds_write_b32 v4, v28
; %bb.271:                              ;   in Loop: Header=BB708_269 Depth=1
	s_or_b64 exec, exec, s[42:43]
	v_lshrrev_b64 v[28:29], v80, v[21:22]
	v_and_b32_e32 v33, v28, v34
	v_lshl_add_u32 v28, v33, 2, v55
	v_lshl_add_u32 v28, v28, 2, v1
	; wave barrier
	v_add_u32_e32 v32, 16, v28
	ds_read_b32 v31, v28 offset:16
	v_and_b32_e32 v28, 1, v33
	v_add_co_u32_e64 v29, s[42:43], -1, v28
	v_addc_co_u32_e64 v35, s[42:43], 0, -1, s[42:43]
	v_cmp_ne_u32_e64 s[42:43], 0, v28
	v_xor_b32_e32 v28, s43, v35
	v_xor_b32_e32 v29, s42, v29
	v_and_b32_e32 v35, exec_hi, v28
	v_and_b32_e32 v36, exec_lo, v29
	v_lshlrev_b32_e32 v29, 30, v33
	v_mov_b32_e32 v28, v5
	v_cmp_gt_i64_e64 s[42:43], 0, v[28:29]
	v_not_b32_e32 v28, v29
	v_ashrrev_i32_e32 v28, 31, v28
	v_xor_b32_e32 v29, s43, v28
	v_xor_b32_e32 v28, s42, v28
	v_and_b32_e32 v35, v35, v29
	v_and_b32_e32 v36, v36, v28
	v_lshlrev_b32_e32 v29, 29, v33
	v_mov_b32_e32 v28, v5
	v_cmp_gt_i64_e64 s[42:43], 0, v[28:29]
	v_not_b32_e32 v28, v29
	v_ashrrev_i32_e32 v28, 31, v28
	v_xor_b32_e32 v29, s43, v28
	v_xor_b32_e32 v28, s42, v28
	v_and_b32_e32 v35, v35, v29
	v_and_b32_e32 v36, v36, v28
	;; [unrolled: 9-line block ×7, first 2 shown]
	v_mbcnt_lo_u32_b32 v33, v28, 0
	v_mbcnt_hi_u32_b32 v33, v29, v33
	v_cmp_ne_u64_e64 s[42:43], 0, v[28:29]
	v_cmp_eq_u32_e64 s[44:45], 0, v33
	s_and_b64 s[44:45], s[42:43], s[44:45]
	; wave barrier
	s_and_saveexec_b64 s[42:43], s[44:45]
	s_cbranch_execz .LBB708_273
; %bb.272:                              ;   in Loop: Header=BB708_269 Depth=1
	v_bcnt_u32_b32 v28, v28, 0
	v_bcnt_u32_b32 v28, v29, v28
	s_waitcnt lgkmcnt(0)
	v_add_u32_e32 v28, v31, v28
	ds_write_b32 v32, v28
.LBB708_273:                            ;   in Loop: Header=BB708_269 Depth=1
	s_or_b64 exec, exec, s[42:43]
	v_lshrrev_b64 v[28:29], v80, v[19:20]
	v_and_b32_e32 v37, v28, v34
	v_lshl_add_u32 v28, v37, 2, v55
	v_lshl_add_u32 v28, v28, 2, v1
	; wave barrier
	v_add_u32_e32 v36, 16, v28
	ds_read_b32 v35, v28 offset:16
	v_and_b32_e32 v28, 1, v37
	v_add_co_u32_e64 v29, s[42:43], -1, v28
	v_addc_co_u32_e64 v38, s[42:43], 0, -1, s[42:43]
	v_cmp_ne_u32_e64 s[42:43], 0, v28
	v_xor_b32_e32 v28, s43, v38
	v_xor_b32_e32 v29, s42, v29
	v_and_b32_e32 v38, exec_hi, v28
	v_and_b32_e32 v39, exec_lo, v29
	v_lshlrev_b32_e32 v29, 30, v37
	v_mov_b32_e32 v28, v5
	v_cmp_gt_i64_e64 s[42:43], 0, v[28:29]
	v_not_b32_e32 v28, v29
	v_ashrrev_i32_e32 v28, 31, v28
	v_xor_b32_e32 v29, s43, v28
	v_xor_b32_e32 v28, s42, v28
	v_and_b32_e32 v38, v38, v29
	v_and_b32_e32 v39, v39, v28
	v_lshlrev_b32_e32 v29, 29, v37
	v_mov_b32_e32 v28, v5
	v_cmp_gt_i64_e64 s[42:43], 0, v[28:29]
	v_not_b32_e32 v28, v29
	v_ashrrev_i32_e32 v28, 31, v28
	v_xor_b32_e32 v29, s43, v28
	v_xor_b32_e32 v28, s42, v28
	v_and_b32_e32 v38, v38, v29
	v_and_b32_e32 v39, v39, v28
	v_lshlrev_b32_e32 v29, 28, v37
	v_mov_b32_e32 v28, v5
	v_cmp_gt_i64_e64 s[42:43], 0, v[28:29]
	v_not_b32_e32 v28, v29
	v_ashrrev_i32_e32 v28, 31, v28
	v_xor_b32_e32 v29, s43, v28
	v_xor_b32_e32 v28, s42, v28
	v_and_b32_e32 v38, v38, v29
	v_and_b32_e32 v39, v39, v28
	v_lshlrev_b32_e32 v29, 27, v37
	v_mov_b32_e32 v28, v5
	v_cmp_gt_i64_e64 s[42:43], 0, v[28:29]
	v_not_b32_e32 v28, v29
	v_ashrrev_i32_e32 v28, 31, v28
	v_xor_b32_e32 v29, s43, v28
	v_xor_b32_e32 v28, s42, v28
	v_and_b32_e32 v38, v38, v29
	v_and_b32_e32 v39, v39, v28
	v_lshlrev_b32_e32 v29, 26, v37
	v_mov_b32_e32 v28, v5
	v_cmp_gt_i64_e64 s[42:43], 0, v[28:29]
	v_not_b32_e32 v28, v29
	v_ashrrev_i32_e32 v28, 31, v28
	v_xor_b32_e32 v29, s43, v28
	v_xor_b32_e32 v28, s42, v28
	v_and_b32_e32 v38, v38, v29
	v_and_b32_e32 v39, v39, v28
	v_lshlrev_b32_e32 v29, 25, v37
	v_mov_b32_e32 v28, v5
	v_cmp_gt_i64_e64 s[42:43], 0, v[28:29]
	v_not_b32_e32 v28, v29
	v_ashrrev_i32_e32 v28, 31, v28
	v_xor_b32_e32 v29, s43, v28
	v_xor_b32_e32 v28, s42, v28
	v_and_b32_e32 v38, v38, v29
	v_and_b32_e32 v39, v39, v28
	v_lshlrev_b32_e32 v29, 24, v37
	v_mov_b32_e32 v28, v5
	v_cmp_gt_i64_e64 s[42:43], 0, v[28:29]
	v_not_b32_e32 v28, v29
	v_ashrrev_i32_e32 v28, 31, v28
	v_xor_b32_e32 v29, s43, v28
	v_xor_b32_e32 v28, s42, v28
	v_and_b32_e32 v28, v39, v28
	v_and_b32_e32 v29, v38, v29
	v_mbcnt_lo_u32_b32 v37, v28, 0
	v_mbcnt_hi_u32_b32 v37, v29, v37
	v_cmp_ne_u64_e64 s[42:43], 0, v[28:29]
	v_cmp_eq_u32_e64 s[44:45], 0, v37
	s_and_b64 s[44:45], s[42:43], s[44:45]
	; wave barrier
	s_and_saveexec_b64 s[42:43], s[44:45]
	s_cbranch_execz .LBB708_275
; %bb.274:                              ;   in Loop: Header=BB708_269 Depth=1
	v_bcnt_u32_b32 v28, v28, 0
	v_bcnt_u32_b32 v28, v29, v28
	s_waitcnt lgkmcnt(0)
	v_add_u32_e32 v28, v35, v28
	ds_write_b32 v36, v28
.LBB708_275:                            ;   in Loop: Header=BB708_269 Depth=1
	s_or_b64 exec, exec, s[42:43]
	v_lshrrev_b64 v[28:29], v80, v[17:18]
	v_and_b32_e32 v39, v28, v34
	v_lshl_add_u32 v28, v39, 2, v55
	v_lshl_add_u32 v28, v28, 2, v1
	; wave barrier
	v_add_u32_e32 v38, 16, v28
	ds_read_b32 v34, v28 offset:16
	v_and_b32_e32 v28, 1, v39
	v_add_co_u32_e64 v29, s[42:43], -1, v28
	v_addc_co_u32_e64 v48, s[42:43], 0, -1, s[42:43]
	v_cmp_ne_u32_e64 s[42:43], 0, v28
	v_xor_b32_e32 v28, s43, v48
	v_xor_b32_e32 v29, s42, v29
	v_and_b32_e32 v48, exec_hi, v28
	v_and_b32_e32 v49, exec_lo, v29
	v_lshlrev_b32_e32 v29, 30, v39
	v_mov_b32_e32 v28, v5
	v_cmp_gt_i64_e64 s[42:43], 0, v[28:29]
	v_not_b32_e32 v28, v29
	v_ashrrev_i32_e32 v28, 31, v28
	v_xor_b32_e32 v29, s43, v28
	v_xor_b32_e32 v28, s42, v28
	v_and_b32_e32 v48, v48, v29
	v_and_b32_e32 v49, v49, v28
	v_lshlrev_b32_e32 v29, 29, v39
	v_mov_b32_e32 v28, v5
	v_cmp_gt_i64_e64 s[42:43], 0, v[28:29]
	v_not_b32_e32 v28, v29
	v_ashrrev_i32_e32 v28, 31, v28
	v_xor_b32_e32 v29, s43, v28
	v_xor_b32_e32 v28, s42, v28
	v_and_b32_e32 v48, v48, v29
	v_and_b32_e32 v49, v49, v28
	;; [unrolled: 9-line block ×7, first 2 shown]
	v_mbcnt_lo_u32_b32 v39, v28, 0
	v_mbcnt_hi_u32_b32 v39, v29, v39
	v_cmp_ne_u64_e64 s[42:43], 0, v[28:29]
	v_cmp_eq_u32_e64 s[44:45], 0, v39
	s_and_b64 s[44:45], s[42:43], s[44:45]
	; wave barrier
	s_and_saveexec_b64 s[42:43], s[44:45]
	s_cbranch_execz .LBB708_277
; %bb.276:                              ;   in Loop: Header=BB708_269 Depth=1
	v_bcnt_u32_b32 v28, v28, 0
	v_bcnt_u32_b32 v28, v29, v28
	s_waitcnt lgkmcnt(0)
	v_add_u32_e32 v28, v34, v28
	ds_write_b32 v38, v28
.LBB708_277:                            ;   in Loop: Header=BB708_269 Depth=1
	s_or_b64 exec, exec, s[42:43]
	; wave barrier
	s_waitcnt lgkmcnt(0)
	s_barrier
	ds_read_b32 v48, v23
	ds_read_b32 v29, v52
	;; [unrolled: 1-line block ×4, first 2 shown]
	s_waitcnt lgkmcnt(2)
	v_add_u32_e32 v50, v29, v48
	s_waitcnt lgkmcnt(0)
	v_add3_u32 v49, v50, v28, v49
	s_nop 1
	v_mov_b32_dpp v50, v49 row_shr:1 row_mask:0xf bank_mask:0xf
	v_cndmask_b32_e64 v50, v50, 0, vcc
	v_add_u32_e32 v49, v50, v49
	s_nop 1
	v_mov_b32_dpp v50, v49 row_shr:2 row_mask:0xf bank_mask:0xf
	v_cndmask_b32_e64 v50, 0, v50, s[4:5]
	v_add_u32_e32 v49, v49, v50
	s_nop 1
	v_mov_b32_dpp v50, v49 row_shr:4 row_mask:0xf bank_mask:0xf
	v_cndmask_b32_e64 v50, 0, v50, s[6:7]
	;; [unrolled: 4-line block ×3, first 2 shown]
	v_add_u32_e32 v49, v49, v50
	s_nop 1
	v_mov_b32_dpp v50, v49 row_bcast:15 row_mask:0xf bank_mask:0xf
	v_cndmask_b32_e64 v50, v50, 0, s[40:41]
	v_add_u32_e32 v49, v49, v50
	s_nop 1
	v_mov_b32_dpp v50, v49 row_bcast:31 row_mask:0xf bank_mask:0xf
	v_cndmask_b32_e64 v50, 0, v50, s[14:15]
	v_add_u32_e32 v49, v49, v50
	s_and_saveexec_b64 s[42:43], s[16:17]
; %bb.278:                              ;   in Loop: Header=BB708_269 Depth=1
	ds_write_b32 v65, v49
; %bb.279:                              ;   in Loop: Header=BB708_269 Depth=1
	s_or_b64 exec, exec, s[42:43]
	s_waitcnt lgkmcnt(0)
	s_barrier
	s_and_saveexec_b64 s[42:43], s[18:19]
	s_cbranch_execz .LBB708_281
; %bb.280:                              ;   in Loop: Header=BB708_269 Depth=1
	ds_read_b32 v50, v66
	s_waitcnt lgkmcnt(0)
	s_nop 0
	v_mov_b32_dpp v51, v50 row_shr:1 row_mask:0xf bank_mask:0xf
	v_cndmask_b32_e64 v51, v51, 0, s[26:27]
	v_add_u32_e32 v50, v51, v50
	s_nop 1
	v_mov_b32_dpp v51, v50 row_shr:2 row_mask:0xf bank_mask:0xf
	v_cndmask_b32_e64 v51, 0, v51, s[28:29]
	v_add_u32_e32 v50, v50, v51
	ds_write_b32 v66, v50
.LBB708_281:                            ;   in Loop: Header=BB708_269 Depth=1
	s_or_b64 exec, exec, s[42:43]
	v_mov_b32_e32 v50, 0
	s_waitcnt lgkmcnt(0)
	s_barrier
	s_and_saveexec_b64 s[42:43], s[20:21]
; %bb.282:                              ;   in Loop: Header=BB708_269 Depth=1
	ds_read_b32 v50, v67
; %bb.283:                              ;   in Loop: Header=BB708_269 Depth=1
	s_or_b64 exec, exec, s[42:43]
	s_waitcnt lgkmcnt(0)
	v_add_u32_e32 v49, v50, v49
	ds_bpermute_b32 v49, v64, v49
	v_add_u32_e32 v80, 8, v80
	v_cmp_lt_u32_e64 s[42:43], v80, v81
	s_mov_b64 s[60:61], -1
	s_waitcnt lgkmcnt(0)
	v_cndmask_b32_e64 v49, v49, v50, s[22:23]
	v_cndmask_b32_e64 v49, v49, 0, s[24:25]
	v_add_u32_e32 v48, v49, v48
	v_add_u32_e32 v29, v48, v29
	;; [unrolled: 1-line block ×3, first 2 shown]
	ds_write_b32 v23, v49
	ds_write_b32 v52, v48
	;; [unrolled: 1-line block ×4, first 2 shown]
	s_waitcnt lgkmcnt(0)
	s_barrier
	ds_read_b32 v4, v4
	ds_read_b32 v28, v32
	;; [unrolled: 1-line block ×4, first 2 shown]
	s_waitcnt lgkmcnt(0)
	v_add_u32_e32 v4, v4, v30
	v_add3_u32 v28, v33, v31, v28
	v_add3_u32 v30, v37, v35, v29
	v_mov_b32_e32 v29, v5
	v_lshlrev_b64 v[28:29], 3, v[28:29]
	v_add3_u32 v32, v39, v34, v32
	v_lshlrev_b64 v[33:34], 3, v[4:5]
	v_mov_b32_e32 v31, v5
	v_add_co_u32_e64 v83, s[44:45], v1, v28
	v_lshlrev_b64 v[28:29], 3, v[30:31]
	v_add_co_u32_e64 v4, s[44:45], v1, v33
	v_mov_b32_e32 v33, v5
	v_add_co_u32_e64 v84, s[44:45], v1, v28
	v_lshlrev_b64 v[28:29], 3, v[32:33]
                                        ; implicit-def: $vgpr50_vgpr51
                                        ; implicit-def: $vgpr48_vgpr49
                                        ; implicit-def: $vgpr38_vgpr39
                                        ; implicit-def: $vgpr34_vgpr35
                                        ; implicit-def: $vgpr30_vgpr31
                                        ; implicit-def: $vgpr32_vgpr33
                                        ; implicit-def: $vgpr36_vgpr37
	v_add_co_u32_e64 v85, s[44:45], v1, v28
                                        ; implicit-def: $vgpr28_vgpr29
	s_and_saveexec_b64 s[44:45], s[42:43]
	s_cbranch_execz .LBB708_268
; %bb.284:                              ;   in Loop: Header=BB708_269 Depth=1
	s_barrier
	ds_write_b64 v4, v[26:27]
	ds_write_b64 v83, v[21:22]
	;; [unrolled: 1-line block ×4, first 2 shown]
	s_waitcnt lgkmcnt(0)
	s_barrier
	ds_read_b64 v[34:35], v68
	ds_read_b64 v[38:39], v69
	;; [unrolled: 1-line block ×4, first 2 shown]
	s_waitcnt lgkmcnt(0)
	s_barrier
	ds_write_b64 v4, v[13:14]
	ds_write_b64 v83, v[11:12]
	ds_write_b64 v84, v[9:10]
	ds_write_b64 v85, v[7:8]
	s_waitcnt lgkmcnt(0)
	s_barrier
	ds_read_b64 v[28:29], v68
	ds_read_b64 v[30:31], v69
	;; [unrolled: 1-line block ×4, first 2 shown]
	v_add_u32_e32 v82, -8, v82
	s_xor_b64 s[60:61], exec, -1
	s_waitcnt lgkmcnt(0)
	s_barrier
	s_branch .LBB708_268
.LBB708_285:
	flat_load_dwordx2 v[86:87], v[4:5]
	s_or_b64 exec, exec, s[22:23]
                                        ; implicit-def: $vgpr96_vgpr97
	s_and_saveexec_b64 s[22:23], s[4:5]
	s_cbranch_execz .LBB708_163
.LBB708_286:
	flat_load_dwordx2 v[96:97], v[4:5] offset:512
	s_or_b64 exec, exec, s[22:23]
                                        ; implicit-def: $vgpr98_vgpr99
	s_and_saveexec_b64 s[4:5], s[6:7]
	s_cbranch_execz .LBB708_164
.LBB708_287:
	flat_load_dwordx2 v[98:99], v[4:5] offset:1024
	s_or_b64 exec, exec, s[4:5]
                                        ; implicit-def: $vgpr100_vgpr101
	s_and_saveexec_b64 s[4:5], s[10:11]
	s_cbranch_execz .LBB708_165
.LBB708_288:
	flat_load_dwordx2 v[100:101], v[4:5] offset:1536
	s_or_b64 exec, exec, s[4:5]
                                        ; implicit-def: $vgpr102_vgpr103
	s_and_saveexec_b64 s[4:5], s[20:21]
	s_cbranch_execz .LBB708_166
.LBB708_289:
	flat_load_dwordx2 v[102:103], v[4:5] offset:2048
	s_or_b64 exec, exec, s[4:5]
                                        ; implicit-def: $vgpr112_vgpr113
	s_and_saveexec_b64 s[4:5], s[14:15]
	s_cbranch_execz .LBB708_167
.LBB708_290:
	flat_load_dwordx2 v[112:113], v[4:5] offset:2560
	s_or_b64 exec, exec, s[4:5]
                                        ; implicit-def: $vgpr114_vgpr115
	s_and_saveexec_b64 s[4:5], s[16:17]
	s_cbranch_execz .LBB708_168
.LBB708_291:
	flat_load_dwordx2 v[114:115], v[4:5] offset:3072
	s_or_b64 exec, exec, s[4:5]
                                        ; implicit-def: $vgpr116_vgpr117
	s_and_saveexec_b64 s[4:5], s[18:19]
	s_cbranch_execnz .LBB708_169
	s_branch .LBB708_170
.LBB708_292:
	flat_store_dwordx2 v[0:1], v[20:21]
	s_or_b64 exec, exec, s[24:25]
	s_and_saveexec_b64 s[4:5], s[6:7]
	s_cbranch_execz .LBB708_244
.LBB708_293:
	flat_store_dwordx2 v[0:1], v[22:23] offset:2048
	s_or_b64 exec, exec, s[4:5]
	s_and_saveexec_b64 s[4:5], s[10:11]
	s_cbranch_execz .LBB708_245
.LBB708_294:
	v_add_co_u32_e32 v2, vcc, 0x1000, v0
	v_addc_co_u32_e32 v3, vcc, 0, v1, vcc
	flat_store_dwordx2 v[2:3], v[16:17]
	s_or_b64 exec, exec, s[4:5]
	s_and_saveexec_b64 s[4:5], s[22:23]
	s_cbranch_execz .LBB708_246
.LBB708_295:
	v_add_co_u32_e32 v2, vcc, 0x1000, v0
	v_addc_co_u32_e32 v3, vcc, 0, v1, vcc
	flat_store_dwordx2 v[2:3], v[18:19] offset:2048
	s_or_b64 exec, exec, s[4:5]
	s_and_saveexec_b64 s[4:5], s[14:15]
	s_cbranch_execz .LBB708_247
.LBB708_296:
	v_add_co_u32_e32 v2, vcc, 0x2000, v0
	v_addc_co_u32_e32 v3, vcc, 0, v1, vcc
	flat_store_dwordx2 v[2:3], v[11:12]
	s_or_b64 exec, exec, s[4:5]
	s_and_saveexec_b64 s[4:5], s[16:17]
	s_cbranch_execz .LBB708_248
.LBB708_297:
	v_add_co_u32_e32 v2, vcc, 0x2000, v0
	v_addc_co_u32_e32 v3, vcc, 0, v1, vcc
	flat_store_dwordx2 v[2:3], v[13:14] offset:2048
	s_or_b64 exec, exec, s[4:5]
	s_and_saveexec_b64 s[4:5], s[18:19]
	s_cbranch_execz .LBB708_249
.LBB708_298:
	v_add_co_u32_e32 v2, vcc, 0x3000, v0
	v_addc_co_u32_e32 v3, vcc, 0, v1, vcc
	flat_store_dwordx2 v[2:3], v[7:8]
	s_or_b64 exec, exec, s[4:5]
	s_and_saveexec_b64 s[4:5], s[20:21]
	s_cbranch_execnz .LBB708_250
	s_branch .LBB708_251
.LBB708_299:
	s_or_b64 exec, exec, s[56:57]
	v_lshl_add_u32 v1, v16, 3, v1
	s_barrier
	ds_write_b64 v4, v[26:27]
	ds_write_b64 v83, v[21:22]
	;; [unrolled: 1-line block ×4, first 2 shown]
	s_waitcnt lgkmcnt(0)
	s_barrier
	ds_read2st64_b64 v[20:23], v1 offset1:4
	ds_read2st64_b64 v[16:19], v1 offset0:8 offset1:12
	s_waitcnt lgkmcnt(0)
	s_barrier
	ds_write_b64 v4, v[13:14]
	ds_write_b64 v83, v[11:12]
	;; [unrolled: 1-line block ×4, first 2 shown]
	s_waitcnt lgkmcnt(0)
	s_barrier
	ds_read2st64_b64 v[11:14], v1 offset1:4
	ds_read2st64_b64 v[7:10], v1 offset0:8 offset1:12
	v_mov_b32_e32 v1, 0
	v_add_co_u32_e32 v4, vcc, v2, v24
	v_lshlrev_b64 v[1:2], 3, v[0:1]
	v_addc_co_u32_e32 v5, vcc, v3, v25, vcc
	v_add_co_u32_e32 v3, vcc, v4, v1
	v_addc_co_u32_e32 v4, vcc, v5, v2, vcc
	v_cmp_lt_u32_e64 s[4:5], v0, v246
	s_waitcnt lgkmcnt(0)
	s_barrier
	s_and_saveexec_b64 s[6:7], s[4:5]
	s_cbranch_execz .LBB708_301
; %bb.300:
	v_xor_b32_e32 v21, 0x7fffffff, v21
	v_not_b32_e32 v20, v20
	flat_store_dwordx2 v[3:4], v[20:21]
.LBB708_301:
	s_or_b64 exec, exec, s[6:7]
	v_add_u32_e32 v5, 0x100, v0
	v_cmp_lt_u32_e64 s[6:7], v5, v246
	s_and_saveexec_b64 s[10:11], s[6:7]
	s_cbranch_execz .LBB708_303
; %bb.302:
	v_xor_b32_e32 v21, 0x7fffffff, v23
	v_not_b32_e32 v20, v22
	flat_store_dwordx2 v[3:4], v[20:21] offset:2048
.LBB708_303:
	s_or_b64 exec, exec, s[10:11]
	v_add_u32_e32 v5, 0x200, v0
	v_cmp_lt_u32_e64 s[10:11], v5, v246
	s_and_saveexec_b64 s[14:15], s[10:11]
	s_cbranch_execz .LBB708_305
; %bb.304:
	v_add_co_u32_e32 v20, vcc, 0x1000, v3
	v_xor_b32_e32 v17, 0x7fffffff, v17
	v_not_b32_e32 v16, v16
	v_addc_co_u32_e32 v21, vcc, 0, v4, vcc
	flat_store_dwordx2 v[20:21], v[16:17]
.LBB708_305:
	s_or_b64 exec, exec, s[14:15]
	v_add_u32_e32 v0, 0x300, v0
	v_cmp_lt_u32_e64 s[14:15], v0, v246
	s_and_saveexec_b64 s[16:17], s[14:15]
	s_cbranch_execz .LBB708_307
; %bb.306:
	v_add_co_u32_e32 v3, vcc, 0x1000, v3
	v_xor_b32_e32 v17, 0x7fffffff, v19
	v_not_b32_e32 v16, v18
	v_addc_co_u32_e32 v4, vcc, 0, v4, vcc
	flat_store_dwordx2 v[3:4], v[16:17] offset:2048
.LBB708_307:
	s_or_b64 exec, exec, s[16:17]
	v_add_co_u32_e32 v0, vcc, v6, v24
	v_addc_co_u32_e32 v3, vcc, v15, v25, vcc
	v_add_co_u32_e32 v0, vcc, v0, v1
	v_addc_co_u32_e32 v1, vcc, v3, v2, vcc
	s_and_saveexec_b64 s[16:17], s[4:5]
	s_cbranch_execnz .LBB708_340
; %bb.308:
	s_or_b64 exec, exec, s[16:17]
	s_and_saveexec_b64 s[4:5], s[6:7]
	s_cbranch_execnz .LBB708_341
.LBB708_309:
	s_or_b64 exec, exec, s[4:5]
	s_and_saveexec_b64 s[4:5], s[10:11]
	s_cbranch_execnz .LBB708_342
.LBB708_310:
	s_or_b64 exec, exec, s[4:5]
	s_and_saveexec_b64 s[4:5], s[14:15]
	s_cbranch_execz .LBB708_312
.LBB708_311:
	v_add_co_u32_e32 v0, vcc, 0x1000, v0
	v_addc_co_u32_e32 v1, vcc, 0, v1, vcc
	flat_store_dwordx2 v[0:1], v[9:10] offset:2048
.LBB708_312:
	s_or_b64 exec, exec, s[4:5]
                                        ; implicit-def: $vgpr246
                                        ; implicit-def: $vgpr0
                                        ; implicit-def: $vgpr1
                                        ; implicit-def: $vgpr2
                                        ; implicit-def: $vgpr3
                                        ; implicit-def: $vgpr4
                                        ; implicit-def: $vgpr5
                                        ; implicit-def: $vgpr6
                                        ; implicit-def: $vgpr15
                                        ; implicit-def: $vgpr8
                                        ; implicit-def: $vgpr10
                                        ; implicit-def: $vgpr11
                                        ; implicit-def: $vgpr12
                                        ; implicit-def: $vgpr31
                                        ; implicit-def: $vgpr14
                                        ; implicit-def: $vgpr19
                                        ; implicit-def: $vgpr20
.LBB708_313:
	s_andn2_saveexec_b64 s[4:5], s[46:47]
	s_cbranch_execz .LBB708_372
; %bb.314:
	s_load_dwordx2 s[4:5], s[8:9], 0x0
	v_mov_b32_e32 v9, 0
	v_and_b32_e32 v13, 0x3ff, v31
	s_waitcnt lgkmcnt(0)
	s_cmp_lt_u32 s13, s5
	s_cselect_b32 s5, 14, 20
	s_add_u32 s6, s8, s5
	s_addc_u32 s7, s9, 0
	s_cmp_lt_u32 s12, s4
	s_cselect_b32 s4, 12, 18
	s_add_u32 s4, s8, s4
	global_load_ushort v7, v9, s[6:7]
	s_addc_u32 s5, s9, 0
	global_load_ushort v16, v9, s[4:5]
	s_waitcnt vmcnt(0)
	v_mad_u32_u24 v7, v19, v7, v14
	v_mad_u64_u32 v[18:19], s[4:5], v7, v16, v[13:14]
	s_movk_i32 s4, 0x100
	v_lshlrev_b64 v[16:17], 3, v[8:9]
	v_cmp_lt_u32_e32 vcc, s4, v246
	s_and_saveexec_b64 s[4:5], vcc
	s_xor_b64 s[42:43], exec, s[4:5]
	s_cbranch_execz .LBB708_352
; %bb.315:
	v_mbcnt_hi_u32_b32 v36, -1, v20
	v_add_co_u32_e32 v0, vcc, v0, v16
	v_and_b32_e32 v37, 63, v36
	v_addc_co_u32_e32 v1, vcc, v1, v17, vcc
	v_lshlrev_b32_e32 v7, 1, v18
	v_lshlrev_b32_e32 v14, 3, v37
	v_and_b32_e32 v8, 0xffffff80, v7
	v_add_co_u32_e32 v7, vcc, v0, v14
	v_mov_b32_e32 v39, v10
	v_addc_co_u32_e32 v10, vcc, 0, v1, vcc
	v_lshlrev_b64 v[0:1], 3, v[8:9]
	v_or_b32_e32 v21, v37, v8
	v_add_co_u32_e32 v19, vcc, v7, v0
	v_addc_co_u32_e32 v20, vcc, v10, v1, vcc
	v_bfrev_b32_e32 v8, 1
	v_cmp_lt_u32_e32 vcc, v21, v246
	v_mov_b32_e32 v7, v9
	v_mov_b32_e32 v10, v8
	s_and_saveexec_b64 s[4:5], vcc
	s_cbranch_execz .LBB708_317
; %bb.316:
	flat_load_dwordx2 v[22:23], v[19:20]
	v_mov_b32_e32 v24, 0
	v_mov_b32_e32 v25, v8
	s_waitcnt vmcnt(0) lgkmcnt(0)
	v_mov_b32_e32 v7, v22
	v_mov_b32_e32 v8, v23
	;; [unrolled: 1-line block ×4, first 2 shown]
.LBB708_317:
	s_or_b64 exec, exec, s[4:5]
	v_or_b32_e32 v21, 64, v21
	v_cmp_lt_u32_e64 s[4:5], v21, v246
	s_and_saveexec_b64 s[6:7], s[4:5]
	s_cbranch_execz .LBB708_319
; %bb.318:
	flat_load_dwordx2 v[9:10], v[19:20] offset:512
.LBB708_319:
	s_or_b64 exec, exec, s[6:7]
	v_add_co_u32_e64 v4, s[6:7], v4, v16
	v_addc_co_u32_e64 v5, s[6:7], v5, v17, s[6:7]
	v_add_co_u32_e64 v4, s[6:7], v4, v14
	v_addc_co_u32_e64 v5, s[6:7], 0, v5, s[6:7]
	v_mov_b32_e32 v23, 0
	v_mov_b32_e32 v21, 0
	v_add_co_u32_e64 v0, s[6:7], v4, v0
	v_mov_b32_e32 v24, 0
	v_mov_b32_e32 v22, 0
	v_addc_co_u32_e64 v1, s[6:7], v5, v1, s[6:7]
	s_and_saveexec_b64 s[6:7], vcc
	s_cbranch_execz .LBB708_321
; %bb.320:
	flat_load_dwordx2 v[21:22], v[0:1]
.LBB708_321:
	s_or_b64 exec, exec, s[6:7]
	s_and_saveexec_b64 s[6:7], s[4:5]
	s_cbranch_execz .LBB708_323
; %bb.322:
	flat_load_dwordx2 v[23:24], v[0:1] offset:512
.LBB708_323:
	s_or_b64 exec, exec, s[6:7]
	v_lshl_add_u32 v0, v13, 4, v12
	s_getpc_b64 s[4:5]
	s_add_u32 s4, s4, _ZN7rocprim17ROCPRIM_400000_NS16block_radix_sortIlLj256ELj2ElLj1ELj1ELj8ELNS0_26block_radix_rank_algorithmE2ELNS0_18block_padding_hintE2ELNS0_4arch9wavefront6targetE1EE19radix_bits_per_passE@rel32@lo+4
	s_addc_u32 s5, s5, _ZN7rocprim17ROCPRIM_400000_NS16block_radix_sortIlLj256ELj2ElLj1ELj1ELj8ELNS0_26block_radix_rank_algorithmE2ELNS0_18block_padding_hintE2ELNS0_4arch9wavefront6targetE1EE19radix_bits_per_passE@rel32@hi+12
	v_add_u32_e32 v14, 16, v0
	v_add_u32_e32 v29, 20, v0
	;; [unrolled: 1-line block ×4, first 2 shown]
	v_and_b32_e32 v0, 15, v36
	s_load_dword s56, s[4:5], 0x0
	v_cmp_eq_u32_e32 vcc, 0, v0
	v_cmp_lt_u32_e64 s[4:5], 1, v0
	v_cmp_lt_u32_e64 s[6:7], 3, v0
	;; [unrolled: 1-line block ×3, first 2 shown]
	v_and_b32_e32 v0, 16, v36
	v_cmp_eq_u32_e64 s[10:11], 0, v0
	v_and_b32_e32 v0, 0x3c0, v13
	v_min_u32_e32 v0, 0xc0, v0
	v_or_b32_e32 v0, 63, v0
	v_cmp_eq_u32_e64 s[14:15], v13, v0
	v_subrev_co_u32_e64 v0, s[20:21], 1, v36
	v_and_b32_e32 v1, 64, v36
	v_cmp_lt_i32_e64 s[22:23], v0, v1
	v_cndmask_b32_e64 v0, v0, v36, s[22:23]
	v_lshlrev_b32_e32 v33, 2, v0
	v_lshrrev_b32_e32 v0, 4, v13
	v_and_b32_e32 v0, 60, v0
	v_add_u32_e32 v34, v12, v0
	v_and_b32_e32 v0, 3, v36
	v_cmp_eq_u32_e64 s[24:25], 0, v0
	v_cmp_lt_u32_e64 s[26:27], 1, v0
	v_lshlrev_b32_e32 v0, 1, v13
	s_movk_i32 s28, 0x780
	v_and_or_b32 v0, v0, s28, v37
	v_lshl_add_u32 v37, v0, 3, v12
	v_xor_b32_e32 v26, 0x7fffffff, v8
	v_xor_b32_e32 v25, -1, v7
	s_waitcnt vmcnt(0) lgkmcnt(0)
	v_xor_b32_e32 v28, 0x7fffffff, v10
	v_xor_b32_e32 v27, -1, v9
	v_lshrrev_b32_e32 v32, 6, v18
	v_cmp_lt_u32_e64 s[12:13], 31, v36
	v_cmp_gt_u32_e64 s[16:17], 4, v13
	v_cmp_lt_u32_e64 s[18:19], 63, v13
	v_cmp_eq_u32_e64 s[22:23], 0, v13
	v_mov_b32_e32 v1, 0
	v_lshl_add_u32 v35, v13, 2, v12
	v_add_u32_e32 v36, -4, v34
	v_add_u32_e32 v38, 0x200, v37
	v_sub_u32_e32 v48, v11, v39
	s_mov_b64 s[44:45], 0
	s_barrier
	s_branch .LBB708_325
.LBB708_324:                            ;   in Loop: Header=BB708_325 Depth=1
	s_or_b64 exec, exec, s[40:41]
	s_and_b64 s[28:29], exec, s[46:47]
	s_or_b64 s[44:45], s[28:29], s[44:45]
	s_andn2_b64 exec, exec, s[44:45]
	s_cbranch_execz .LBB708_343
.LBB708_325:                            ; =>This Inner Loop Header: Depth=1
	v_mov_b32_e32 v19, v25
	v_mov_b32_e32 v20, v26
	;; [unrolled: 1-line block ×3, first 2 shown]
	v_min_u32_e32 v0, s56, v48
	v_mov_b32_e32 v4, v23
	v_mov_b32_e32 v8, v22
	v_lshlrev_b32_e64 v0, v0, -1
	v_lshrrev_b64 v[21:22], v39, v[19:20]
	v_mov_b32_e32 v5, v24
	v_not_b32_e32 v24, v0
	v_and_b32_e32 v23, v21, v24
	v_lshl_add_u32 v0, v23, 2, v32
	v_lshlrev_b64 v[21:22], 2, v[0:1]
	v_mov_b32_e32 v9, v27
	v_add_co_u32_e64 v0, s[28:29], v12, v21
	v_add_co_u32_e64 v0, s[28:29], 16, v0
	v_and_b32_e32 v21, 1, v23
	v_add_co_u32_e64 v22, s[28:29], -1, v21
	v_addc_co_u32_e64 v25, s[28:29], 0, -1, s[28:29]
	v_cmp_ne_u32_e64 s[28:29], 0, v21
	v_xor_b32_e32 v21, s29, v25
	v_xor_b32_e32 v22, s28, v22
	v_and_b32_e32 v25, exec_hi, v21
	v_and_b32_e32 v26, exec_lo, v22
	v_lshlrev_b32_e32 v22, 30, v23
	v_mov_b32_e32 v21, v1
	v_cmp_gt_i64_e64 s[28:29], 0, v[21:22]
	v_not_b32_e32 v21, v22
	v_ashrrev_i32_e32 v21, 31, v21
	v_xor_b32_e32 v22, s29, v21
	v_xor_b32_e32 v21, s28, v21
	v_and_b32_e32 v25, v25, v22
	v_and_b32_e32 v26, v26, v21
	v_lshlrev_b32_e32 v22, 29, v23
	v_mov_b32_e32 v21, v1
	v_cmp_gt_i64_e64 s[28:29], 0, v[21:22]
	v_not_b32_e32 v21, v22
	v_ashrrev_i32_e32 v21, 31, v21
	v_xor_b32_e32 v22, s29, v21
	v_xor_b32_e32 v21, s28, v21
	v_and_b32_e32 v25, v25, v22
	v_and_b32_e32 v26, v26, v21
	;; [unrolled: 9-line block ×7, first 2 shown]
	v_mbcnt_lo_u32_b32 v23, v21, 0
	v_mbcnt_hi_u32_b32 v23, v22, v23
	v_cmp_ne_u64_e64 s[28:29], 0, v[21:22]
	v_cmp_eq_u32_e64 s[40:41], 0, v23
	v_mov_b32_e32 v10, v28
	s_and_b64 s[40:41], s[28:29], s[40:41]
	ds_write_b32 v14, v1
	ds_write_b32 v29, v1
	;; [unrolled: 1-line block ×4, first 2 shown]
	s_waitcnt lgkmcnt(0)
	s_barrier
	; wave barrier
	s_and_saveexec_b64 s[28:29], s[40:41]
; %bb.326:                              ;   in Loop: Header=BB708_325 Depth=1
	v_bcnt_u32_b32 v21, v21, 0
	v_bcnt_u32_b32 v21, v22, v21
	ds_write_b32 v0, v21
; %bb.327:                              ;   in Loop: Header=BB708_325 Depth=1
	s_or_b64 exec, exec, s[28:29]
	v_lshrrev_b64 v[21:22], v39, v[9:10]
	v_and_b32_e32 v26, v21, v24
	v_lshl_add_u32 v21, v26, 2, v32
	v_lshl_add_u32 v21, v21, 2, v12
	; wave barrier
	v_add_u32_e32 v25, 16, v21
	ds_read_b32 v24, v21 offset:16
	v_and_b32_e32 v21, 1, v26
	v_add_co_u32_e64 v22, s[28:29], -1, v21
	v_addc_co_u32_e64 v27, s[28:29], 0, -1, s[28:29]
	v_cmp_ne_u32_e64 s[28:29], 0, v21
	v_xor_b32_e32 v21, s29, v27
	v_xor_b32_e32 v22, s28, v22
	v_and_b32_e32 v27, exec_hi, v21
	v_and_b32_e32 v28, exec_lo, v22
	v_lshlrev_b32_e32 v22, 30, v26
	v_mov_b32_e32 v21, v1
	v_cmp_gt_i64_e64 s[28:29], 0, v[21:22]
	v_not_b32_e32 v21, v22
	v_ashrrev_i32_e32 v21, 31, v21
	v_xor_b32_e32 v22, s29, v21
	v_xor_b32_e32 v21, s28, v21
	v_and_b32_e32 v27, v27, v22
	v_and_b32_e32 v28, v28, v21
	v_lshlrev_b32_e32 v22, 29, v26
	v_mov_b32_e32 v21, v1
	v_cmp_gt_i64_e64 s[28:29], 0, v[21:22]
	v_not_b32_e32 v21, v22
	v_ashrrev_i32_e32 v21, 31, v21
	v_xor_b32_e32 v22, s29, v21
	v_xor_b32_e32 v21, s28, v21
	v_and_b32_e32 v27, v27, v22
	v_and_b32_e32 v28, v28, v21
	;; [unrolled: 9-line block ×7, first 2 shown]
	v_mbcnt_lo_u32_b32 v26, v21, 0
	v_mbcnt_hi_u32_b32 v26, v22, v26
	v_cmp_ne_u64_e64 s[28:29], 0, v[21:22]
	v_cmp_eq_u32_e64 s[40:41], 0, v26
	s_and_b64 s[40:41], s[28:29], s[40:41]
	; wave barrier
	s_and_saveexec_b64 s[28:29], s[40:41]
	s_cbranch_execz .LBB708_329
; %bb.328:                              ;   in Loop: Header=BB708_325 Depth=1
	v_bcnt_u32_b32 v21, v21, 0
	v_bcnt_u32_b32 v21, v22, v21
	s_waitcnt lgkmcnt(0)
	v_add_u32_e32 v21, v24, v21
	ds_write_b32 v25, v21
.LBB708_329:                            ;   in Loop: Header=BB708_325 Depth=1
	s_or_b64 exec, exec, s[28:29]
	; wave barrier
	s_waitcnt lgkmcnt(0)
	s_barrier
	ds_read_b32 v27, v14
	ds_read_b32 v22, v29
	;; [unrolled: 1-line block ×4, first 2 shown]
	s_waitcnt lgkmcnt(2)
	v_add_u32_e32 v49, v22, v27
	s_waitcnt lgkmcnt(0)
	v_add3_u32 v28, v49, v21, v28
	s_nop 1
	v_mov_b32_dpp v49, v28 row_shr:1 row_mask:0xf bank_mask:0xf
	v_cndmask_b32_e64 v49, v49, 0, vcc
	v_add_u32_e32 v28, v49, v28
	s_nop 1
	v_mov_b32_dpp v49, v28 row_shr:2 row_mask:0xf bank_mask:0xf
	v_cndmask_b32_e64 v49, 0, v49, s[4:5]
	v_add_u32_e32 v28, v28, v49
	s_nop 1
	v_mov_b32_dpp v49, v28 row_shr:4 row_mask:0xf bank_mask:0xf
	v_cndmask_b32_e64 v49, 0, v49, s[6:7]
	;; [unrolled: 4-line block ×3, first 2 shown]
	v_add_u32_e32 v28, v28, v49
	s_nop 1
	v_mov_b32_dpp v49, v28 row_bcast:15 row_mask:0xf bank_mask:0xf
	v_cndmask_b32_e64 v49, v49, 0, s[10:11]
	v_add_u32_e32 v28, v28, v49
	s_nop 1
	v_mov_b32_dpp v49, v28 row_bcast:31 row_mask:0xf bank_mask:0xf
	v_cndmask_b32_e64 v49, 0, v49, s[12:13]
	v_add_u32_e32 v28, v28, v49
	s_and_saveexec_b64 s[28:29], s[14:15]
; %bb.330:                              ;   in Loop: Header=BB708_325 Depth=1
	ds_write_b32 v34, v28
; %bb.331:                              ;   in Loop: Header=BB708_325 Depth=1
	s_or_b64 exec, exec, s[28:29]
	s_waitcnt lgkmcnt(0)
	s_barrier
	s_and_saveexec_b64 s[28:29], s[16:17]
	s_cbranch_execz .LBB708_333
; %bb.332:                              ;   in Loop: Header=BB708_325 Depth=1
	ds_read_b32 v49, v35
	s_waitcnt lgkmcnt(0)
	s_nop 0
	v_mov_b32_dpp v50, v49 row_shr:1 row_mask:0xf bank_mask:0xf
	v_cndmask_b32_e64 v50, v50, 0, s[24:25]
	v_add_u32_e32 v49, v50, v49
	s_nop 1
	v_mov_b32_dpp v50, v49 row_shr:2 row_mask:0xf bank_mask:0xf
	v_cndmask_b32_e64 v50, 0, v50, s[26:27]
	v_add_u32_e32 v49, v49, v50
	ds_write_b32 v35, v49
.LBB708_333:                            ;   in Loop: Header=BB708_325 Depth=1
	s_or_b64 exec, exec, s[28:29]
	v_mov_b32_e32 v49, 0
	s_waitcnt lgkmcnt(0)
	s_barrier
	s_and_saveexec_b64 s[28:29], s[18:19]
; %bb.334:                              ;   in Loop: Header=BB708_325 Depth=1
	ds_read_b32 v49, v36
; %bb.335:                              ;   in Loop: Header=BB708_325 Depth=1
	s_or_b64 exec, exec, s[28:29]
	s_waitcnt lgkmcnt(0)
	v_add_u32_e32 v28, v49, v28
	ds_bpermute_b32 v28, v33, v28
	v_add_u32_e32 v39, 8, v39
	v_cmp_lt_u32_e64 s[28:29], v39, v11
	s_mov_b64 s[46:47], -1
	s_waitcnt lgkmcnt(0)
	v_cndmask_b32_e64 v28, v28, v49, s[20:21]
	v_cndmask_b32_e64 v28, v28, 0, s[22:23]
	v_add_u32_e32 v27, v28, v27
	v_add_u32_e32 v22, v27, v22
	;; [unrolled: 1-line block ×3, first 2 shown]
	ds_write_b32 v14, v28
	ds_write_b32 v29, v27
	ds_write_b32 v30, v22
	ds_write_b32 v31, v21
	s_waitcnt lgkmcnt(0)
	s_barrier
	ds_read_b32 v0, v0
	ds_read_b32 v21, v25
	s_waitcnt lgkmcnt(0)
                                        ; implicit-def: $vgpr27_vgpr28
	v_add_u32_e32 v0, v0, v23
	v_lshlrev_b64 v[22:23], 3, v[0:1]
	v_add3_u32 v21, v26, v24, v21
	v_add_co_u32_e64 v0, s[40:41], v12, v22
	v_mov_b32_e32 v22, v1
	v_lshlrev_b64 v[21:22], 3, v[21:22]
                                        ; implicit-def: $vgpr25_vgpr26
                                        ; implicit-def: $vgpr23_vgpr24
	v_add_co_u32_e64 v49, s[40:41], v12, v21
                                        ; implicit-def: $vgpr21_vgpr22
	s_and_saveexec_b64 s[40:41], s[28:29]
	s_cbranch_execz .LBB708_324
; %bb.336:                              ;   in Loop: Header=BB708_325 Depth=1
	s_barrier
	ds_write_b64 v0, v[19:20]
	ds_write_b64 v49, v[9:10]
	s_waitcnt lgkmcnt(0)
	s_barrier
	ds_read_b64 v[25:26], v37
	ds_read_b64 v[27:28], v38
	s_waitcnt lgkmcnt(0)
	s_barrier
	ds_write_b64 v0, v[7:8]
	ds_write_b64 v49, v[4:5]
	s_waitcnt lgkmcnt(0)
	s_barrier
	ds_read_b64 v[21:22], v37
	ds_read_b64 v[23:24], v38
	v_add_u32_e32 v48, -8, v48
	s_xor_b64 s[46:47], exec, -1
	s_waitcnt lgkmcnt(0)
	s_barrier
	s_branch .LBB708_324
.LBB708_337:
	flat_load_dwordx2 v[28:29], v[4:5]
	s_or_b64 exec, exec, s[14:15]
                                        ; implicit-def: $vgpr30_vgpr31
	s_and_saveexec_b64 s[14:15], s[4:5]
	s_cbranch_execz .LBB708_264
.LBB708_338:
	flat_load_dwordx2 v[30:31], v[4:5] offset:512
	s_or_b64 exec, exec, s[14:15]
                                        ; implicit-def: $vgpr32_vgpr33
	s_and_saveexec_b64 s[4:5], s[6:7]
	s_cbranch_execz .LBB708_265
.LBB708_339:
	flat_load_dwordx2 v[32:33], v[4:5] offset:1024
	s_or_b64 exec, exec, s[4:5]
                                        ; implicit-def: $vgpr36_vgpr37
	s_and_saveexec_b64 s[4:5], s[10:11]
	s_cbranch_execnz .LBB708_266
	s_branch .LBB708_267
.LBB708_340:
	flat_store_dwordx2 v[0:1], v[11:12]
	s_or_b64 exec, exec, s[16:17]
	s_and_saveexec_b64 s[4:5], s[6:7]
	s_cbranch_execz .LBB708_309
.LBB708_341:
	flat_store_dwordx2 v[0:1], v[13:14] offset:2048
	s_or_b64 exec, exec, s[4:5]
	s_and_saveexec_b64 s[4:5], s[10:11]
	s_cbranch_execz .LBB708_310
.LBB708_342:
	v_add_co_u32_e32 v2, vcc, 0x1000, v0
	v_addc_co_u32_e32 v3, vcc, 0, v1, vcc
	flat_store_dwordx2 v[2:3], v[7:8]
	s_or_b64 exec, exec, s[4:5]
	s_and_saveexec_b64 s[4:5], s[14:15]
	s_cbranch_execnz .LBB708_311
	s_branch .LBB708_312
.LBB708_343:
	s_or_b64 exec, exec, s[44:45]
	s_barrier
	ds_write_b64 v0, v[19:20]
	ds_write_b64 v49, v[9:10]
	v_lshl_add_u32 v1, v13, 3, v12
	v_mov_b32_e32 v19, 0
	s_waitcnt lgkmcnt(0)
	s_barrier
	ds_read2st64_b64 v[11:14], v1 offset1:4
	s_waitcnt lgkmcnt(0)
	s_barrier
	ds_write_b64 v0, v[7:8]
	ds_write_b64 v49, v[4:5]
	s_waitcnt lgkmcnt(0)
	s_barrier
	ds_read2st64_b64 v[7:10], v1 offset1:4
	v_add_co_u32_e32 v2, vcc, v2, v16
	v_lshlrev_b64 v[0:1], 3, v[18:19]
	v_addc_co_u32_e32 v3, vcc, v3, v17, vcc
	v_add_co_u32_e32 v2, vcc, v2, v0
	v_addc_co_u32_e32 v3, vcc, v3, v1, vcc
	v_cmp_lt_u32_e32 vcc, v18, v246
	s_waitcnt lgkmcnt(0)
	s_barrier
	s_and_saveexec_b64 s[4:5], vcc
	s_cbranch_execz .LBB708_345
; %bb.344:
	v_xor_b32_e32 v5, 0x7fffffff, v12
	v_not_b32_e32 v4, v11
	flat_store_dwordx2 v[2:3], v[4:5]
.LBB708_345:
	s_or_b64 exec, exec, s[4:5]
	v_add_u32_e32 v4, 0x100, v18
	v_cmp_lt_u32_e64 s[4:5], v4, v246
	s_and_saveexec_b64 s[6:7], s[4:5]
	s_cbranch_execz .LBB708_347
; %bb.346:
	v_xor_b32_e32 v5, 0x7fffffff, v14
	v_not_b32_e32 v4, v13
	flat_store_dwordx2 v[2:3], v[4:5] offset:2048
.LBB708_347:
	s_or_b64 exec, exec, s[6:7]
	v_add_co_u32_e64 v2, s[6:7], v6, v16
	v_addc_co_u32_e64 v3, s[6:7], v15, v17, s[6:7]
	v_add_co_u32_e64 v0, s[6:7], v2, v0
	v_addc_co_u32_e64 v1, s[6:7], v3, v1, s[6:7]
	s_and_saveexec_b64 s[6:7], vcc
	s_cbranch_execz .LBB708_349
; %bb.348:
	flat_store_dwordx2 v[0:1], v[7:8]
.LBB708_349:
	s_or_b64 exec, exec, s[6:7]
	s_and_saveexec_b64 s[6:7], s[4:5]
	s_cbranch_execz .LBB708_351
; %bb.350:
	flat_store_dwordx2 v[0:1], v[9:10] offset:2048
.LBB708_351:
	s_or_b64 exec, exec, s[6:7]
                                        ; implicit-def: $vgpr13
                                        ; implicit-def: $vgpr18_vgpr19
                                        ; implicit-def: $vgpr16_vgpr17
                                        ; implicit-def: $vgpr246
                                        ; implicit-def: $vgpr0
                                        ; implicit-def: $vgpr1
                                        ; implicit-def: $vgpr2
                                        ; implicit-def: $vgpr3
                                        ; implicit-def: $vgpr4
                                        ; implicit-def: $vgpr5
                                        ; implicit-def: $vgpr6
                                        ; implicit-def: $vgpr15
                                        ; implicit-def: $vgpr10
                                        ; implicit-def: $vgpr11
                                        ; implicit-def: $vgpr12
                                        ; implicit-def: $vgpr20
.LBB708_352:
	s_andn2_saveexec_b64 s[4:5], s[42:43]
	s_cbranch_execz .LBB708_372
; %bb.353:
	v_mbcnt_hi_u32_b32 v29, -1, v20
	v_and_b32_e32 v30, 63, v29
	v_bfi_b32 v8, 63, v29, v18
	v_mov_b32_e32 v19, -1
	v_and_b32_e32 v7, 0xffffffc0, v18
	v_cmp_lt_u32_e32 vcc, v8, v246
	v_mov_b32_e32 v20, -1
	v_lshlrev_b32_e32 v9, 3, v30
	s_and_saveexec_b64 s[6:7], vcc
	s_cbranch_execz .LBB708_355
; %bb.354:
	v_add_co_u32_e64 v0, s[4:5], v0, v16
	v_addc_co_u32_e64 v1, s[4:5], v1, v17, s[4:5]
	v_mov_b32_e32 v8, 0
	v_add_co_u32_e64 v14, s[4:5], v0, v9
	v_addc_co_u32_e64 v19, s[4:5], 0, v1, s[4:5]
	v_lshlrev_b64 v[0:1], 3, v[7:8]
	v_add_co_u32_e64 v0, s[4:5], v14, v0
	v_addc_co_u32_e64 v1, s[4:5], v19, v1, s[4:5]
	flat_load_dwordx2 v[0:1], v[0:1]
	s_waitcnt vmcnt(0) lgkmcnt(0)
	v_xor_b32_e32 v20, 0x7fffffff, v1
	v_not_b32_e32 v19, v0
.LBB708_355:
	s_or_b64 exec, exec, s[6:7]
                                        ; implicit-def: $vgpr21_vgpr22
	s_and_saveexec_b64 s[4:5], vcc
	s_cbranch_execz .LBB708_357
; %bb.356:
	v_add_co_u32_e32 v0, vcc, v4, v16
	v_addc_co_u32_e32 v1, vcc, v5, v17, vcc
	v_mov_b32_e32 v8, 0
	v_add_co_u32_e32 v4, vcc, v0, v9
	v_addc_co_u32_e32 v5, vcc, 0, v1, vcc
	v_lshlrev_b64 v[0:1], 3, v[7:8]
	v_add_co_u32_e32 v0, vcc, v4, v0
	v_addc_co_u32_e32 v1, vcc, v5, v1, vcc
	flat_load_dwordx2 v[21:22], v[0:1]
.LBB708_357:
	s_or_b64 exec, exec, s[4:5]
	v_lshl_add_u32 v4, v13, 4, v12
	s_getpc_b64 s[4:5]
	s_add_u32 s4, s4, _ZN7rocprim17ROCPRIM_400000_NS16block_radix_sortIlLj256ELj1ElLj1ELj1ELj8ELNS0_26block_radix_rank_algorithmE2ELNS0_18block_padding_hintE2ELNS0_4arch9wavefront6targetE1EE19radix_bits_per_passE@rel32@lo+4
	s_addc_u32 s5, s5, _ZN7rocprim17ROCPRIM_400000_NS16block_radix_sortIlLj256ELj1ElLj1ELj1ELj8ELNS0_26block_radix_rank_algorithmE2ELNS0_18block_padding_hintE2ELNS0_4arch9wavefront6targetE1EE19radix_bits_per_passE@rel32@hi+12
	v_add_u32_e32 v9, 16, v4
	v_add_u32_e32 v14, 20, v4
	;; [unrolled: 1-line block ×4, first 2 shown]
	v_and_b32_e32 v4, 15, v29
	s_load_dword s46, s[4:5], 0x0
	v_cmp_eq_u32_e32 vcc, 0, v4
	v_cmp_lt_u32_e64 s[4:5], 1, v4
	v_cmp_lt_u32_e64 s[6:7], 3, v4
	;; [unrolled: 1-line block ×3, first 2 shown]
	v_and_b32_e32 v4, 16, v29
	v_cmp_eq_u32_e64 s[10:11], 0, v4
	v_and_b32_e32 v4, 0x3c0, v13
	v_min_u32_e32 v5, 0xc0, v4
	v_or_b32_e32 v5, 63, v5
	v_cmp_eq_u32_e64 s[14:15], v13, v5
	v_subrev_co_u32_e64 v5, s[20:21], 1, v29
	v_and_b32_e32 v7, 64, v29
	v_cmp_lt_i32_e64 s[22:23], v5, v7
	v_cndmask_b32_e64 v5, v5, v29, s[22:23]
	v_lshlrev_b32_e32 v0, 2, v13
	v_lshlrev_b32_e32 v27, 2, v5
	v_lshrrev_b32_e32 v5, 4, v13
	v_and_b32_e32 v5, 60, v5
	v_add_co_u32_e64 v26, s[24:25], v12, v0
	v_and_b32_e32 v0, 3, v29
	v_add_u32_e32 v28, v12, v5
	v_cmp_eq_u32_e64 s[24:25], 0, v0
	v_cmp_lt_u32_e64 s[26:27], 1, v0
	v_or_b32_e32 v0, v30, v4
	v_mov_b32_e32 v1, 0
	v_lshrrev_b32_e32 v25, 6, v18
	v_cmp_lt_u32_e64 s[12:13], 31, v29
	v_cmp_gt_u32_e64 s[16:17], 4, v13
	v_cmp_lt_u32_e64 s[18:19], 63, v13
	v_cmp_eq_u32_e64 s[22:23], 0, v13
	v_add_u32_e32 v29, -4, v28
	v_lshl_add_u32 v30, v0, 3, v12
	v_sub_u32_e32 v31, v11, v10
	s_mov_b64 s[42:43], 0
	s_waitcnt vmcnt(0) lgkmcnt(0)
	s_barrier
	s_branch .LBB708_359
.LBB708_358:                            ;   in Loop: Header=BB708_359 Depth=1
	s_or_b64 exec, exec, s[40:41]
	s_and_b64 s[28:29], exec, s[44:45]
	s_or_b64 s[42:43], s[28:29], s[42:43]
	s_andn2_b64 exec, exec, s[42:43]
	s_cbranch_execz .LBB708_369
.LBB708_359:                            ; =>This Inner Loop Header: Depth=1
	v_mov_b32_e32 v7, v19
	v_mov_b32_e32 v8, v20
	v_lshrrev_b64 v[19:20], v10, v[7:8]
	v_mov_b32_e32 v4, v21
	v_min_u32_e32 v0, s46, v31
	v_mov_b32_e32 v5, v22
	v_bfe_u32 v21, v19, 0, v0
	v_lshl_add_u32 v0, v21, 2, v25
	v_lshlrev_b64 v[19:20], 2, v[0:1]
	ds_write_b32 v9, v1
	ds_write_b32 v14, v1
	ds_write_b32 v23, v1
	ds_write_b32 v24, v1
	v_add_co_u32_e64 v0, s[28:29], v12, v19
	v_add_co_u32_e64 v0, s[28:29], 16, v0
	v_and_b32_e32 v19, 1, v21
	v_add_co_u32_e64 v20, s[28:29], -1, v19
	v_addc_co_u32_e64 v22, s[28:29], 0, -1, s[28:29]
	v_cmp_ne_u32_e64 s[28:29], 0, v19
	v_xor_b32_e32 v19, s29, v22
	v_xor_b32_e32 v20, s28, v20
	v_and_b32_e32 v22, exec_hi, v19
	v_and_b32_e32 v32, exec_lo, v20
	v_lshlrev_b32_e32 v20, 30, v21
	v_mov_b32_e32 v19, v1
	v_cmp_gt_i64_e64 s[28:29], 0, v[19:20]
	v_not_b32_e32 v19, v20
	v_ashrrev_i32_e32 v19, 31, v19
	v_xor_b32_e32 v20, s29, v19
	v_xor_b32_e32 v19, s28, v19
	v_and_b32_e32 v22, v22, v20
	v_and_b32_e32 v32, v32, v19
	v_lshlrev_b32_e32 v20, 29, v21
	v_mov_b32_e32 v19, v1
	v_cmp_gt_i64_e64 s[28:29], 0, v[19:20]
	v_not_b32_e32 v19, v20
	v_ashrrev_i32_e32 v19, 31, v19
	v_xor_b32_e32 v20, s29, v19
	v_xor_b32_e32 v19, s28, v19
	v_and_b32_e32 v22, v22, v20
	v_and_b32_e32 v32, v32, v19
	;; [unrolled: 9-line block ×7, first 2 shown]
	v_mbcnt_lo_u32_b32 v21, v19, 0
	v_mbcnt_hi_u32_b32 v21, v20, v21
	v_cmp_ne_u64_e64 s[28:29], 0, v[19:20]
	v_cmp_eq_u32_e64 s[40:41], 0, v21
	s_and_b64 s[40:41], s[28:29], s[40:41]
	s_waitcnt lgkmcnt(0)
	s_barrier
	; wave barrier
	s_and_saveexec_b64 s[28:29], s[40:41]
; %bb.360:                              ;   in Loop: Header=BB708_359 Depth=1
	v_bcnt_u32_b32 v19, v19, 0
	v_bcnt_u32_b32 v19, v20, v19
	ds_write_b32 v0, v19
; %bb.361:                              ;   in Loop: Header=BB708_359 Depth=1
	s_or_b64 exec, exec, s[28:29]
	; wave barrier
	s_waitcnt lgkmcnt(0)
	s_barrier
	ds_read_b32 v22, v9
	ds_read_b32 v20, v14
	;; [unrolled: 1-line block ×4, first 2 shown]
	s_waitcnt lgkmcnt(2)
	v_add_u32_e32 v33, v20, v22
	s_waitcnt lgkmcnt(0)
	v_add3_u32 v32, v33, v19, v32
	s_nop 1
	v_mov_b32_dpp v33, v32 row_shr:1 row_mask:0xf bank_mask:0xf
	v_cndmask_b32_e64 v33, v33, 0, vcc
	v_add_u32_e32 v32, v33, v32
	s_nop 1
	v_mov_b32_dpp v33, v32 row_shr:2 row_mask:0xf bank_mask:0xf
	v_cndmask_b32_e64 v33, 0, v33, s[4:5]
	v_add_u32_e32 v32, v32, v33
	s_nop 1
	v_mov_b32_dpp v33, v32 row_shr:4 row_mask:0xf bank_mask:0xf
	v_cndmask_b32_e64 v33, 0, v33, s[6:7]
	v_add_u32_e32 v32, v32, v33
	s_nop 1
	v_mov_b32_dpp v33, v32 row_shr:8 row_mask:0xf bank_mask:0xf
	v_cndmask_b32_e64 v33, 0, v33, s[8:9]
	v_add_u32_e32 v32, v32, v33
	s_nop 1
	v_mov_b32_dpp v33, v32 row_bcast:15 row_mask:0xf bank_mask:0xf
	v_cndmask_b32_e64 v33, v33, 0, s[10:11]
	v_add_u32_e32 v32, v32, v33
	s_nop 1
	v_mov_b32_dpp v33, v32 row_bcast:31 row_mask:0xf bank_mask:0xf
	v_cndmask_b32_e64 v33, 0, v33, s[12:13]
	v_add_u32_e32 v32, v32, v33
	s_and_saveexec_b64 s[28:29], s[14:15]
; %bb.362:                              ;   in Loop: Header=BB708_359 Depth=1
	ds_write_b32 v28, v32
; %bb.363:                              ;   in Loop: Header=BB708_359 Depth=1
	s_or_b64 exec, exec, s[28:29]
	s_waitcnt lgkmcnt(0)
	s_barrier
	s_and_saveexec_b64 s[28:29], s[16:17]
	s_cbranch_execz .LBB708_365
; %bb.364:                              ;   in Loop: Header=BB708_359 Depth=1
	ds_read_b32 v33, v26
	s_waitcnt lgkmcnt(0)
	s_nop 0
	v_mov_b32_dpp v34, v33 row_shr:1 row_mask:0xf bank_mask:0xf
	v_cndmask_b32_e64 v34, v34, 0, s[24:25]
	v_add_u32_e32 v33, v34, v33
	s_nop 1
	v_mov_b32_dpp v34, v33 row_shr:2 row_mask:0xf bank_mask:0xf
	v_cndmask_b32_e64 v34, 0, v34, s[26:27]
	v_add_u32_e32 v33, v33, v34
	ds_write_b32 v26, v33
.LBB708_365:                            ;   in Loop: Header=BB708_359 Depth=1
	s_or_b64 exec, exec, s[28:29]
	v_mov_b32_e32 v33, 0
	s_waitcnt lgkmcnt(0)
	s_barrier
	s_and_saveexec_b64 s[28:29], s[18:19]
; %bb.366:                              ;   in Loop: Header=BB708_359 Depth=1
	ds_read_b32 v33, v29
; %bb.367:                              ;   in Loop: Header=BB708_359 Depth=1
	s_or_b64 exec, exec, s[28:29]
	s_waitcnt lgkmcnt(0)
	v_add_u32_e32 v32, v33, v32
	ds_bpermute_b32 v32, v27, v32
	v_add_u32_e32 v10, 8, v10
	v_cmp_lt_u32_e64 s[28:29], v10, v11
	s_mov_b64 s[44:45], -1
	s_waitcnt lgkmcnt(0)
	v_cndmask_b32_e64 v32, v32, v33, s[20:21]
	v_cndmask_b32_e64 v32, v32, 0, s[22:23]
	v_add_u32_e32 v22, v32, v22
	v_add_u32_e32 v20, v22, v20
	ds_write_b32 v9, v32
	ds_write_b32 v14, v22
	v_add_u32_e32 v19, v20, v19
	ds_write_b32 v23, v20
	ds_write_b32 v24, v19
	s_waitcnt lgkmcnt(0)
	s_barrier
	ds_read_b32 v0, v0
	s_waitcnt lgkmcnt(0)
	v_add_u32_e32 v0, v0, v21
	v_lshlrev_b64 v[19:20], 3, v[0:1]
                                        ; implicit-def: $vgpr21_vgpr22
	v_add_co_u32_e64 v0, s[40:41], v12, v19
                                        ; implicit-def: $vgpr19_vgpr20
	s_and_saveexec_b64 s[40:41], s[28:29]
	s_cbranch_execz .LBB708_358
; %bb.368:                              ;   in Loop: Header=BB708_359 Depth=1
	s_barrier
	ds_write_b64 v0, v[7:8]
	s_waitcnt lgkmcnt(0)
	s_barrier
	ds_read_b64 v[19:20], v30
	s_waitcnt lgkmcnt(0)
	s_barrier
	ds_write_b64 v0, v[4:5]
	s_waitcnt lgkmcnt(0)
	s_barrier
	ds_read_b64 v[21:22], v30
	v_add_u32_e32 v31, -8, v31
	s_xor_b64 s[44:45], exec, -1
	s_waitcnt lgkmcnt(0)
	s_barrier
	s_branch .LBB708_358
.LBB708_369:
	s_or_b64 exec, exec, s[42:43]
	v_lshl_add_u32 v1, v13, 2, v26
	s_barrier
	ds_write_b64 v0, v[7:8]
	s_waitcnt lgkmcnt(0)
	s_barrier
	ds_read_b64 v[7:8], v1
	s_waitcnt lgkmcnt(0)
	s_barrier
	ds_write_b64 v0, v[4:5]
	s_waitcnt lgkmcnt(0)
	s_barrier
	ds_read_b64 v[0:1], v1
	v_cmp_lt_u32_e32 vcc, v18, v246
	s_waitcnt lgkmcnt(0)
	s_barrier
	s_and_saveexec_b64 s[4:5], vcc
	s_cbranch_execz .LBB708_371
; %bb.370:
	v_add_co_u32_e32 v4, vcc, v2, v16
	v_mov_b32_e32 v19, 0
	v_addc_co_u32_e32 v5, vcc, v3, v17, vcc
	v_lshlrev_b64 v[2:3], 3, v[18:19]
	v_xor_b32_e32 v8, 0x7fffffff, v8
	v_add_co_u32_e32 v4, vcc, v4, v2
	v_addc_co_u32_e32 v5, vcc, v5, v3, vcc
	v_add_co_u32_e32 v6, vcc, v6, v16
	v_addc_co_u32_e32 v9, vcc, v15, v17, vcc
	v_not_b32_e32 v7, v7
	v_add_co_u32_e32 v2, vcc, v6, v2
	v_addc_co_u32_e32 v3, vcc, v9, v3, vcc
	flat_store_dwordx2 v[4:5], v[7:8]
	flat_store_dwordx2 v[2:3], v[0:1]
.LBB708_371:
	s_or_b64 exec, exec, s[4:5]
.LBB708_372:
	s_or_b64 exec, exec, s[58:59]
	buffer_load_dword v110, off, s[0:3], s32 ; 4-byte Folded Reload
	buffer_load_dword v109, off, s[0:3], s32 offset:4 ; 4-byte Folded Reload
	buffer_load_dword v108, off, s[0:3], s32 offset:8 ; 4-byte Folded Reload
	;; [unrolled: 1-line block ×38, first 2 shown]
	s_waitcnt vmcnt(0) lgkmcnt(0)
	s_setpc_b64 s[30:31]
.Lfunc_end708:
	.size	_ZN7rocprim17ROCPRIM_400000_NS6detail40segmented_radix_sort_single_block_helperIllLj256ELj16ELb1EE4sortIPKlPlS6_S7_EEbT_T0_T1_T2_jjjjRNS3_12storage_typeE, .Lfunc_end708-_ZN7rocprim17ROCPRIM_400000_NS6detail40segmented_radix_sort_single_block_helperIllLj256ELj16ELb1EE4sortIPKlPlS6_S7_EEbT_T0_T1_T2_jjjjRNS3_12storage_typeE
                                        ; -- End function
	.set .L_ZN7rocprim17ROCPRIM_400000_NS6detail40segmented_radix_sort_single_block_helperIllLj256ELj16ELb1EE4sortIPKlPlS6_S7_EEbT_T0_T1_T2_jjjjRNS3_12storage_typeE.num_vgpr, 248
	.set .L_ZN7rocprim17ROCPRIM_400000_NS6detail40segmented_radix_sort_single_block_helperIllLj256ELj16ELb1EE4sortIPKlPlS6_S7_EEbT_T0_T1_T2_jjjjRNS3_12storage_typeE.num_agpr, 0
	.set .L_ZN7rocprim17ROCPRIM_400000_NS6detail40segmented_radix_sort_single_block_helperIllLj256ELj16ELb1EE4sortIPKlPlS6_S7_EEbT_T0_T1_T2_jjjjRNS3_12storage_typeE.numbered_sgpr, 64
	.set .L_ZN7rocprim17ROCPRIM_400000_NS6detail40segmented_radix_sort_single_block_helperIllLj256ELj16ELb1EE4sortIPKlPlS6_S7_EEbT_T0_T1_T2_jjjjRNS3_12storage_typeE.num_named_barrier, 0
	.set .L_ZN7rocprim17ROCPRIM_400000_NS6detail40segmented_radix_sort_single_block_helperIllLj256ELj16ELb1EE4sortIPKlPlS6_S7_EEbT_T0_T1_T2_jjjjRNS3_12storage_typeE.private_seg_size, 160
	.set .L_ZN7rocprim17ROCPRIM_400000_NS6detail40segmented_radix_sort_single_block_helperIllLj256ELj16ELb1EE4sortIPKlPlS6_S7_EEbT_T0_T1_T2_jjjjRNS3_12storage_typeE.uses_vcc, 1
	.set .L_ZN7rocprim17ROCPRIM_400000_NS6detail40segmented_radix_sort_single_block_helperIllLj256ELj16ELb1EE4sortIPKlPlS6_S7_EEbT_T0_T1_T2_jjjjRNS3_12storage_typeE.uses_flat_scratch, 0
	.set .L_ZN7rocprim17ROCPRIM_400000_NS6detail40segmented_radix_sort_single_block_helperIllLj256ELj16ELb1EE4sortIPKlPlS6_S7_EEbT_T0_T1_T2_jjjjRNS3_12storage_typeE.has_dyn_sized_stack, 0
	.set .L_ZN7rocprim17ROCPRIM_400000_NS6detail40segmented_radix_sort_single_block_helperIllLj256ELj16ELb1EE4sortIPKlPlS6_S7_EEbT_T0_T1_T2_jjjjRNS3_12storage_typeE.has_recursion, 0
	.set .L_ZN7rocprim17ROCPRIM_400000_NS6detail40segmented_radix_sort_single_block_helperIllLj256ELj16ELb1EE4sortIPKlPlS6_S7_EEbT_T0_T1_T2_jjjjRNS3_12storage_typeE.has_indirect_call, 0
	.section	.AMDGPU.csdata,"",@progbits
; Function info:
; codeLenInByte = 29732
; TotalNumSgprs: 68
; NumVgprs: 248
; ScratchSize: 160
; MemoryBound: 1
	.section	.text._ZN7rocprim17ROCPRIM_400000_NS6detail17trampoline_kernelINS0_14default_configENS1_36segmented_radix_sort_config_selectorIllEEZNS1_25segmented_radix_sort_implIS3_Lb1EPKlPlS8_S9_N2at6native12_GLOBAL__N_18offset_tEEE10hipError_tPvRmT1_PNSt15iterator_traitsISH_E10value_typeET2_T3_PNSI_ISN_E10value_typeET4_jRbjT5_ST_jjP12ihipStream_tbEUlT_E_NS1_11comp_targetILNS1_3genE2ELNS1_11target_archE906ELNS1_3gpuE6ELNS1_3repE0EEENS1_30default_config_static_selectorELNS0_4arch9wavefront6targetE1EEEvSH_,"axG",@progbits,_ZN7rocprim17ROCPRIM_400000_NS6detail17trampoline_kernelINS0_14default_configENS1_36segmented_radix_sort_config_selectorIllEEZNS1_25segmented_radix_sort_implIS3_Lb1EPKlPlS8_S9_N2at6native12_GLOBAL__N_18offset_tEEE10hipError_tPvRmT1_PNSt15iterator_traitsISH_E10value_typeET2_T3_PNSI_ISN_E10value_typeET4_jRbjT5_ST_jjP12ihipStream_tbEUlT_E_NS1_11comp_targetILNS1_3genE2ELNS1_11target_archE906ELNS1_3gpuE6ELNS1_3repE0EEENS1_30default_config_static_selectorELNS0_4arch9wavefront6targetE1EEEvSH_,comdat
	.globl	_ZN7rocprim17ROCPRIM_400000_NS6detail17trampoline_kernelINS0_14default_configENS1_36segmented_radix_sort_config_selectorIllEEZNS1_25segmented_radix_sort_implIS3_Lb1EPKlPlS8_S9_N2at6native12_GLOBAL__N_18offset_tEEE10hipError_tPvRmT1_PNSt15iterator_traitsISH_E10value_typeET2_T3_PNSI_ISN_E10value_typeET4_jRbjT5_ST_jjP12ihipStream_tbEUlT_E_NS1_11comp_targetILNS1_3genE2ELNS1_11target_archE906ELNS1_3gpuE6ELNS1_3repE0EEENS1_30default_config_static_selectorELNS0_4arch9wavefront6targetE1EEEvSH_ ; -- Begin function _ZN7rocprim17ROCPRIM_400000_NS6detail17trampoline_kernelINS0_14default_configENS1_36segmented_radix_sort_config_selectorIllEEZNS1_25segmented_radix_sort_implIS3_Lb1EPKlPlS8_S9_N2at6native12_GLOBAL__N_18offset_tEEE10hipError_tPvRmT1_PNSt15iterator_traitsISH_E10value_typeET2_T3_PNSI_ISN_E10value_typeET4_jRbjT5_ST_jjP12ihipStream_tbEUlT_E_NS1_11comp_targetILNS1_3genE2ELNS1_11target_archE906ELNS1_3gpuE6ELNS1_3repE0EEENS1_30default_config_static_selectorELNS0_4arch9wavefront6targetE1EEEvSH_
	.p2align	8
	.type	_ZN7rocprim17ROCPRIM_400000_NS6detail17trampoline_kernelINS0_14default_configENS1_36segmented_radix_sort_config_selectorIllEEZNS1_25segmented_radix_sort_implIS3_Lb1EPKlPlS8_S9_N2at6native12_GLOBAL__N_18offset_tEEE10hipError_tPvRmT1_PNSt15iterator_traitsISH_E10value_typeET2_T3_PNSI_ISN_E10value_typeET4_jRbjT5_ST_jjP12ihipStream_tbEUlT_E_NS1_11comp_targetILNS1_3genE2ELNS1_11target_archE906ELNS1_3gpuE6ELNS1_3repE0EEENS1_30default_config_static_selectorELNS0_4arch9wavefront6targetE1EEEvSH_,@function
_ZN7rocprim17ROCPRIM_400000_NS6detail17trampoline_kernelINS0_14default_configENS1_36segmented_radix_sort_config_selectorIllEEZNS1_25segmented_radix_sort_implIS3_Lb1EPKlPlS8_S9_N2at6native12_GLOBAL__N_18offset_tEEE10hipError_tPvRmT1_PNSt15iterator_traitsISH_E10value_typeET2_T3_PNSI_ISN_E10value_typeET4_jRbjT5_ST_jjP12ihipStream_tbEUlT_E_NS1_11comp_targetILNS1_3genE2ELNS1_11target_archE906ELNS1_3gpuE6ELNS1_3repE0EEENS1_30default_config_static_selectorELNS0_4arch9wavefront6targetE1EEEvSH_: ; @_ZN7rocprim17ROCPRIM_400000_NS6detail17trampoline_kernelINS0_14default_configENS1_36segmented_radix_sort_config_selectorIllEEZNS1_25segmented_radix_sort_implIS3_Lb1EPKlPlS8_S9_N2at6native12_GLOBAL__N_18offset_tEEE10hipError_tPvRmT1_PNSt15iterator_traitsISH_E10value_typeET2_T3_PNSI_ISN_E10value_typeET4_jRbjT5_ST_jjP12ihipStream_tbEUlT_E_NS1_11comp_targetILNS1_3genE2ELNS1_11target_archE906ELNS1_3gpuE6ELNS1_3repE0EEENS1_30default_config_static_selectorELNS0_4arch9wavefront6targetE1EEEvSH_
; %bb.0:
	s_add_u32 s0, s0, s8
	s_mov_b64 s[34:35], s[4:5]
	s_load_dwordx2 s[4:5], s[4:5], 0x38
	s_nop 0
	s_load_dwordx4 s[8:11], s[34:35], 0x40
                                        ; implicit-def: $vgpr232 : SGPR spill to VGPR lane
	s_addc_u32 s1, s1, 0
	v_writelane_b32 v232, s7, 0
	s_mov_b32 s7, 0
	s_lshl_b64 s[12:13], s[6:7], 2
	s_waitcnt lgkmcnt(0)
	s_add_u32 s4, s4, s12
	s_addc_u32 s5, s5, s13
	s_load_dword s4, s[4:5], 0x0
	s_mov_b32 s32, 0
	s_waitcnt lgkmcnt(0)
	s_add_i32 s96, s4, s9
	s_add_i32 s97, s4, s11
	s_mul_i32 s96, s96, s8
	s_mul_i32 s97, s97, s10
	s_cmp_le_u32 s97, s96
	s_cbranch_scc1 .LBB709_1190
; %bb.1:
	s_load_dword s4, s[34:35], 0x30
	s_load_dwordx4 s[84:87], s[34:35], 0x20
	s_load_dwordx4 s[88:91], s[34:35], 0x50
	s_load_dwordx8 s[76:83], s[34:35], 0x0
	s_waitcnt lgkmcnt(0)
	s_bitcmp1_b32 s4, 0
	s_cselect_b64 s[74:75], -1, 0
	s_sub_i32 s33, s97, s96
	s_cmpk_lt_u32 s33, 0x1001
	s_mov_b64 s[4:5], -1
	s_cbranch_scc0 .LBB709_7
; %bb.2:
	s_and_b32 s4, s88, 1
	v_cndmask_b32_e64 v3, 0, 1, s[74:75]
	v_cmp_ne_u32_e32 vcc, s4, v3
	s_mov_b64 s[4:5], -1
	v_lshlrev_b32_e32 v41, 20, v2
	v_lshlrev_b32_e32 v42, 10, v1
	s_cbranch_vccnz .LBB709_4
; %bb.3:
	s_add_u32 s8, s34, 0x60
	s_mov_b64 s[4:5], src_shared_base
	s_addc_u32 s9, s35, 0
	s_getpc_b64 s[10:11]
	s_add_u32 s10, s10, _ZN7rocprim17ROCPRIM_400000_NS6detail40segmented_radix_sort_single_block_helperIllLj256ELj16ELb1EE4sortIPKlPlS6_S7_EEbT_T0_T1_T2_jjjjRNS3_12storage_typeE@rel32@lo+4
	s_addc_u32 s11, s11, _ZN7rocprim17ROCPRIM_400000_NS6detail40segmented_radix_sort_single_block_helperIllLj256ELj16ELb1EE4sortIPKlPlS6_S7_EEbT_T0_T1_T2_jjjjRNS3_12storage_typeE@rel32@hi+12
	v_or3_b32 v31, v0, v42, v41
	s_mov_b32 s12, s6
	v_readlane_b32 s13, v232, 0
	v_mov_b32_e32 v40, v0
	v_mov_b32_e32 v0, s76
	;; [unrolled: 1-line block ×17, first 2 shown]
	s_mov_b32 s36, s6
	s_swappc_b64 s[30:31], s[10:11]
	v_mov_b32_e32 v1, v43
	v_mov_b32_e32 v2, v44
	v_mov_b32_e32 v0, v40
	s_mov_b32 s6, s36
	s_mov_b64 s[4:5], 0
.LBB709_4:
	s_andn2_b64 vcc, exec, s[4:5]
	s_cbranch_vccnz .LBB709_6
; %bb.5:
	s_add_u32 s8, s34, 0x60
	s_mov_b64 s[4:5], src_shared_base
	s_addc_u32 s9, s35, 0
	s_getpc_b64 s[10:11]
	s_add_u32 s10, s10, _ZN7rocprim17ROCPRIM_400000_NS6detail40segmented_radix_sort_single_block_helperIllLj256ELj16ELb1EE4sortIPKlPlS6_S7_EEbT_T0_T1_T2_jjjjRNS3_12storage_typeE@rel32@lo+4
	s_addc_u32 s11, s11, _ZN7rocprim17ROCPRIM_400000_NS6detail40segmented_radix_sort_single_block_helperIllLj256ELj16ELb1EE4sortIPKlPlS6_S7_EEbT_T0_T1_T2_jjjjRNS3_12storage_typeE@rel32@hi+12
	v_or3_b32 v31, v0, v42, v41
	s_mov_b32 s12, s6
	v_readlane_b32 s13, v232, 0
	v_mov_b32_e32 v40, v0
	v_mov_b32_e32 v0, s76
	;; [unrolled: 1-line block ×17, first 2 shown]
	s_mov_b32 s36, s6
	s_swappc_b64 s[30:31], s[10:11]
	v_mov_b32_e32 v1, v41
	v_mov_b32_e32 v2, v42
	;; [unrolled: 1-line block ×3, first 2 shown]
	s_mov_b32 s6, s36
.LBB709_6:
	s_mov_b64 s[4:5], 0
.LBB709_7:
	s_andn2_b64 vcc, exec, s[4:5]
	s_cbranch_vccnz .LBB709_1190
; %bb.8:
	s_cmp_ge_u32 s89, s90
	s_cbranch_scc1 .LBB709_1190
; %bb.9:
	v_lshlrev_b32_e32 v5, 3, v0
	v_and_b32_e32 v4, 3, v0
	v_mov_b32_e32 v6, s81
	v_add_co_u32_e32 v73, vcc, s80, v5
	v_addc_co_u32_e32 v74, vcc, 0, v6, vcc
	v_lshlrev_b32_e32 v89, 2, v4
	v_lshlrev_b32_e32 v4, 4, v0
	v_mul_u32_u24_e32 v90, 12, v0
	v_and_b32_e32 v6, 0xc0, v0
	v_min_u32_e32 v7, 64, v6
	v_and_b32_e32 v96, 0xc00, v4
	v_or_b32_e32 v6, 63, v6
	v_sub_u32_e32 v97, v90, v5
	s_movk_i32 s7, 0x80
	v_cmp_eq_u32_e64 s[14:15], v0, v6
	v_add_u32_e32 v6, 1, v0
	v_add_u32_e32 v99, v97, v4
	v_lshlrev_b32_e32 v4, 3, v96
	v_mul_u32_u24_e32 v98, 20, v6
	v_cmp_ne_u32_e64 s[20:21], s7, v6
	v_mov_b32_e32 v6, s87
	v_add_co_u32_e32 v100, vcc, s86, v4
	v_addc_co_u32_e32 v101, vcc, 0, v6, vcc
	v_mov_b32_e32 v6, s81
	v_add_co_u32_e32 v102, vcc, s80, v4
	v_addc_co_u32_e32 v103, vcc, 0, v6, vcc
	;; [unrolled: 3-line block ×6, first 2 shown]
	v_or_b32_e32 v7, 63, v7
	v_mov_b32_e32 v5, s83
	v_add_co_u32_e32 v113, vcc, s82, v4
	v_cmp_eq_u32_e64 s[8:9], v0, v7
	v_lshrrev_b32_e32 v7, 4, v0
	v_addc_co_u32_e32 v114, vcc, 0, v5, vcc
	v_lshlrev_b32_e32 v71, 2, v0
	v_or_b32_e32 v75, 0x200, v0
	v_or_b32_e32 v76, 0x300, v0
	;; [unrolled: 1-line block ×14, first 2 shown]
	v_and_b32_e32 v92, 12, v7
	s_add_u32 s94, s34, 0x60
	v_mov_b32_e32 v5, s77
	v_add_co_u32_e32 v115, vcc, s76, v4
	v_mbcnt_lo_u32_b32 v4, -1, 0
	s_mov_b32 s93, 0
	v_mov_b32_e32 v3, 0
	v_or_b32_e32 v72, 0x100, v0
	v_cmp_gt_u32_e64 s[4:5], s7, v0
	v_mad_u32_u24 v91, v0, 12, v71
	v_writelane_b32 v232, s8, 1
	v_or_b32_e32 v93, 0x8200, v92
	v_cmp_gt_u32_e64 s[10:11], 2, v0
	v_add_u32_e32 v94, 0x8200, v71
	v_cmp_lt_u32_e64 s[12:13], 63, v0
	v_add_u32_e32 v95, 0x81fc, v92
	s_addc_u32 s95, s35, 0
	v_cmp_gt_u32_e64 s[16:17], 4, v0
	v_cmp_eq_u32_e64 s[18:19], 0, v0
	v_mad_i32_i24 v104, v0, -12, v99
	v_addc_co_u32_e32 v116, vcc, 0, v5, vcc
	s_mov_b32 s7, s89
	v_mov_b32_e32 v117, 1
	v_lshlrev_b32_e32 v118, 3, v0
	v_lshlrev_b32_e32 v119, 3, v75
	;; [unrolled: 1-line block ×15, first 2 shown]
	v_mbcnt_hi_u32_b32 v133, -1, v4
	v_bfrev_b32_e32 v4, 1
	s_mov_b32 s88, s89
	v_writelane_b32 v232, s9, 2
	s_branch .LBB709_12
.LBB709_10:                             ;   in Loop: Header=BB709_12 Depth=1
	s_waitcnt lgkmcnt(0)
	s_barrier
.LBB709_11:                             ;   in Loop: Header=BB709_12 Depth=1
	s_add_i32 s88, s88, 7
	s_cmp_ge_u32 s88, s90
	s_cbranch_scc1 .LBB709_1190
.LBB709_12:                             ; =>This Loop Header: Depth=1
                                        ;     Child Loop BB709_16 Depth 2
                                        ;     Child Loop BB709_96 Depth 2
                                        ;     Child Loop BB709_310 Depth 2
                                        ;     Child Loop BB709_390 Depth 2
                                        ;     Child Loop BB709_606 Depth 2
                                        ;     Child Loop BB709_686 Depth 2
                                        ;     Child Loop BB709_900 Depth 2
                                        ;     Child Loop BB709_980 Depth 2
	s_sub_i32 s8, s90, s88
	s_xor_b64 s[74:75], s[74:75], -1
	s_min_u32 s98, s8, 7
	s_cmp_lg_u32 s88, s89
	s_mov_b64 s[22:23], -1
	ds_write2st64_b32 v71, v3, v3 offset1:4
	s_waitcnt lgkmcnt(0)
	s_cbranch_scc0 .LBB709_602
; %bb.13:                               ;   in Loop: Header=BB709_12 Depth=1
	s_lshl_b32 s8, -1, s98
	s_not_b32 s99, s8
	s_and_b64 vcc, exec, s[74:75]
	s_cbranch_vccz .LBB709_307
; %bb.14:                               ;   in Loop: Header=BB709_12 Depth=1
	s_mov_b32 s8, s33
	s_mov_b32 s92, s96
	s_barrier
                                        ; implicit-def: $vgpr5_vgpr6
                                        ; implicit-def: $vgpr7_vgpr8
                                        ; implicit-def: $vgpr9_vgpr10
                                        ; implicit-def: $vgpr11_vgpr12
                                        ; implicit-def: $vgpr13_vgpr14
                                        ; implicit-def: $vgpr15_vgpr16
                                        ; implicit-def: $vgpr17_vgpr18
                                        ; implicit-def: $vgpr19_vgpr20
                                        ; implicit-def: $vgpr21_vgpr22
                                        ; implicit-def: $vgpr23_vgpr24
                                        ; implicit-def: $vgpr25_vgpr26
                                        ; implicit-def: $vgpr27_vgpr28
                                        ; implicit-def: $vgpr29_vgpr30
                                        ; implicit-def: $vgpr31_vgpr32
                                        ; implicit-def: $vgpr33_vgpr34
                                        ; implicit-def: $vgpr35_vgpr36
	s_branch .LBB709_16
.LBB709_15:                             ;   in Loop: Header=BB709_16 Depth=2
	s_or_b64 exec, exec, s[22:23]
	s_addk_i32 s8, 0xf000
	s_cmp_ge_u32 s9, s97
	s_mov_b32 s92, s9
	s_cbranch_scc1 .LBB709_84
.LBB709_16:                             ;   Parent Loop BB709_12 Depth=1
                                        ; =>  This Inner Loop Header: Depth=2
	s_add_i32 s9, s92, 0x1000
	s_cmp_gt_u32 s9, s97
	s_mov_b64 s[22:23], -1
                                        ; implicit-def: $vgpr37_vgpr38
                                        ; implicit-def: $vgpr39_vgpr40
                                        ; implicit-def: $vgpr41_vgpr42
                                        ; implicit-def: $vgpr43_vgpr44
                                        ; implicit-def: $vgpr45_vgpr46
                                        ; implicit-def: $vgpr47_vgpr48
                                        ; implicit-def: $vgpr49_vgpr50
                                        ; implicit-def: $vgpr51_vgpr52
                                        ; implicit-def: $vgpr53_vgpr54
                                        ; implicit-def: $vgpr55_vgpr56
                                        ; implicit-def: $vgpr57_vgpr58
                                        ; implicit-def: $vgpr59_vgpr60
                                        ; implicit-def: $vgpr61_vgpr62
                                        ; implicit-def: $vgpr63_vgpr64
                                        ; implicit-def: $vgpr65_vgpr66
                                        ; implicit-def: $vgpr67_vgpr68
	s_cbranch_scc1 .LBB709_18
; %bb.17:                               ;   in Loop: Header=BB709_16 Depth=2
	s_lshl_b64 s[22:23], s[92:93], 3
	v_mov_b32_e32 v37, s23
	v_add_co_u32_e32 v61, vcc, s22, v73
	v_addc_co_u32_e32 v62, vcc, v74, v37, vcc
	v_add_co_u32_e32 v45, vcc, 0x1000, v61
	v_addc_co_u32_e32 v46, vcc, 0, v62, vcc
	;; [unrolled: 2-line block ×6, first 2 shown]
	global_load_dwordx2 v[37:38], v[61:62], off
	global_load_dwordx2 v[39:40], v[61:62], off offset:2048
	global_load_dwordx2 v[41:42], v[45:46], off
	global_load_dwordx2 v[43:44], v[45:46], off offset:2048
	s_nop 0
	global_load_dwordx2 v[45:46], v[53:54], off
	global_load_dwordx2 v[47:48], v[53:54], off offset:2048
	global_load_dwordx2 v[49:50], v[55:56], off
	global_load_dwordx2 v[51:52], v[55:56], off offset:2048
	s_nop 0
	global_load_dwordx2 v[53:54], v[59:60], off
	global_load_dwordx2 v[55:56], v[59:60], off offset:2048
	global_load_dwordx2 v[57:58], v[63:64], off
                                        ; kill: killed $vgpr59 killed $vgpr60
	s_nop 0
	global_load_dwordx2 v[59:60], v[63:64], off offset:2048
	v_add_co_u32_e32 v63, vcc, 0x6000, v61
	v_addc_co_u32_e32 v64, vcc, 0, v62, vcc
	v_add_co_u32_e32 v67, vcc, 0x7000, v61
	v_addc_co_u32_e32 v68, vcc, 0, v62, vcc
	global_load_dwordx2 v[61:62], v[63:64], off
	s_nop 0
	global_load_dwordx2 v[63:64], v[63:64], off offset:2048
	s_nop 0
	global_load_dwordx2 v[65:66], v[67:68], off
	s_nop 0
	global_load_dwordx2 v[67:68], v[67:68], off offset:2048
	s_mov_b64 s[22:23], 0
.LBB709_18:                             ;   in Loop: Header=BB709_16 Depth=2
	s_andn2_b64 vcc, exec, s[22:23]
	s_movk_i32 s24, 0x1000
	s_cbranch_vccnz .LBB709_37
; %bb.19:                               ;   in Loop: Header=BB709_16 Depth=2
	s_lshl_b64 s[22:23], s[92:93], 3
	s_add_u32 s22, s80, s22
	s_addc_u32 s23, s81, s23
	v_cmp_gt_u32_e32 vcc, s8, v0
	s_and_saveexec_b64 s[24:25], vcc
	s_cbranch_execnz .LBB709_69
; %bb.20:                               ;   in Loop: Header=BB709_16 Depth=2
	s_or_b64 exec, exec, s[24:25]
	v_cmp_gt_u32_e32 vcc, s8, v72
	s_and_saveexec_b64 s[24:25], vcc
	s_cbranch_execnz .LBB709_70
.LBB709_21:                             ;   in Loop: Header=BB709_16 Depth=2
	s_or_b64 exec, exec, s[24:25]
	v_cmp_gt_u32_e32 vcc, s8, v75
	s_and_saveexec_b64 s[24:25], vcc
	s_cbranch_execnz .LBB709_71
.LBB709_22:                             ;   in Loop: Header=BB709_16 Depth=2
	s_or_b64 exec, exec, s[24:25]
	v_cmp_gt_u32_e32 vcc, s8, v76
	s_and_saveexec_b64 s[24:25], vcc
	s_cbranch_execnz .LBB709_72
.LBB709_23:                             ;   in Loop: Header=BB709_16 Depth=2
	s_or_b64 exec, exec, s[24:25]
	v_cmp_gt_u32_e32 vcc, s8, v77
	s_and_saveexec_b64 s[24:25], vcc
	s_cbranch_execnz .LBB709_73
.LBB709_24:                             ;   in Loop: Header=BB709_16 Depth=2
	s_or_b64 exec, exec, s[24:25]
	v_cmp_gt_u32_e32 vcc, s8, v78
	s_and_saveexec_b64 s[24:25], vcc
	s_cbranch_execnz .LBB709_74
.LBB709_25:                             ;   in Loop: Header=BB709_16 Depth=2
	s_or_b64 exec, exec, s[24:25]
	v_cmp_gt_u32_e32 vcc, s8, v79
	s_and_saveexec_b64 s[24:25], vcc
	s_cbranch_execnz .LBB709_75
.LBB709_26:                             ;   in Loop: Header=BB709_16 Depth=2
	s_or_b64 exec, exec, s[24:25]
	v_cmp_gt_u32_e32 vcc, s8, v80
	s_and_saveexec_b64 s[24:25], vcc
	s_cbranch_execnz .LBB709_76
.LBB709_27:                             ;   in Loop: Header=BB709_16 Depth=2
	s_or_b64 exec, exec, s[24:25]
	v_cmp_gt_u32_e32 vcc, s8, v81
	s_and_saveexec_b64 s[24:25], vcc
	s_cbranch_execnz .LBB709_77
.LBB709_28:                             ;   in Loop: Header=BB709_16 Depth=2
	s_or_b64 exec, exec, s[24:25]
	v_cmp_gt_u32_e32 vcc, s8, v82
	s_and_saveexec_b64 s[24:25], vcc
	s_cbranch_execnz .LBB709_78
.LBB709_29:                             ;   in Loop: Header=BB709_16 Depth=2
	s_or_b64 exec, exec, s[24:25]
	v_cmp_gt_u32_e32 vcc, s8, v83
	s_and_saveexec_b64 s[24:25], vcc
	s_cbranch_execnz .LBB709_79
.LBB709_30:                             ;   in Loop: Header=BB709_16 Depth=2
	s_or_b64 exec, exec, s[24:25]
	v_cmp_gt_u32_e32 vcc, s8, v84
	s_and_saveexec_b64 s[24:25], vcc
	s_cbranch_execnz .LBB709_80
.LBB709_31:                             ;   in Loop: Header=BB709_16 Depth=2
	s_or_b64 exec, exec, s[24:25]
	v_cmp_gt_u32_e32 vcc, s8, v85
	s_and_saveexec_b64 s[24:25], vcc
	s_cbranch_execnz .LBB709_81
.LBB709_32:                             ;   in Loop: Header=BB709_16 Depth=2
	s_or_b64 exec, exec, s[24:25]
	v_cmp_gt_u32_e32 vcc, s8, v86
	s_and_saveexec_b64 s[24:25], vcc
	s_cbranch_execnz .LBB709_82
.LBB709_33:                             ;   in Loop: Header=BB709_16 Depth=2
	s_or_b64 exec, exec, s[24:25]
	v_cmp_gt_u32_e32 vcc, s8, v87
	s_and_saveexec_b64 s[24:25], vcc
	s_cbranch_execnz .LBB709_83
.LBB709_34:                             ;   in Loop: Header=BB709_16 Depth=2
	s_or_b64 exec, exec, s[24:25]
	v_cmp_gt_u32_e32 vcc, s8, v88
	s_and_saveexec_b64 s[24:25], vcc
	s_cbranch_execz .LBB709_36
.LBB709_35:                             ;   in Loop: Header=BB709_16 Depth=2
	global_load_dwordx2 v[5:6], v132, s[22:23]
.LBB709_36:                             ;   in Loop: Header=BB709_16 Depth=2
	s_or_b64 exec, exec, s[24:25]
	s_waitcnt vmcnt(0)
	v_mov_b32_e32 v38, v36
	v_mov_b32_e32 v40, v34
	;; [unrolled: 1-line block ×16, first 2 shown]
	s_mov_b32 s24, s8
	v_mov_b32_e32 v37, v35
	v_mov_b32_e32 v39, v33
	;; [unrolled: 1-line block ×16, first 2 shown]
.LBB709_37:                             ;   in Loop: Header=BB709_16 Depth=2
	s_waitcnt vmcnt(0)
	v_mov_b32_e32 v5, v67
	v_mov_b32_e32 v7, v65
	;; [unrolled: 1-line block ×32, first 2 shown]
	v_cmp_gt_u32_e32 vcc, s24, v0
	s_and_saveexec_b64 s[22:23], vcc
	s_cbranch_execnz .LBB709_53
; %bb.38:                               ;   in Loop: Header=BB709_16 Depth=2
	s_or_b64 exec, exec, s[22:23]
	v_cmp_gt_u32_e32 vcc, s24, v72
	s_and_saveexec_b64 s[22:23], vcc
	s_cbranch_execnz .LBB709_54
.LBB709_39:                             ;   in Loop: Header=BB709_16 Depth=2
	s_or_b64 exec, exec, s[22:23]
	v_cmp_gt_u32_e32 vcc, s24, v75
	s_and_saveexec_b64 s[22:23], vcc
	s_cbranch_execnz .LBB709_55
.LBB709_40:                             ;   in Loop: Header=BB709_16 Depth=2
	s_or_b64 exec, exec, s[22:23]
	v_cmp_gt_u32_e32 vcc, s24, v76
	s_and_saveexec_b64 s[22:23], vcc
	s_cbranch_execnz .LBB709_56
.LBB709_41:                             ;   in Loop: Header=BB709_16 Depth=2
	s_or_b64 exec, exec, s[22:23]
	v_cmp_gt_u32_e32 vcc, s24, v77
	s_and_saveexec_b64 s[22:23], vcc
	s_cbranch_execnz .LBB709_57
.LBB709_42:                             ;   in Loop: Header=BB709_16 Depth=2
	s_or_b64 exec, exec, s[22:23]
	v_cmp_gt_u32_e32 vcc, s24, v78
	s_and_saveexec_b64 s[22:23], vcc
	s_cbranch_execnz .LBB709_58
.LBB709_43:                             ;   in Loop: Header=BB709_16 Depth=2
	s_or_b64 exec, exec, s[22:23]
	v_cmp_gt_u32_e32 vcc, s24, v79
	s_and_saveexec_b64 s[22:23], vcc
	s_cbranch_execnz .LBB709_59
.LBB709_44:                             ;   in Loop: Header=BB709_16 Depth=2
	s_or_b64 exec, exec, s[22:23]
	v_cmp_gt_u32_e32 vcc, s24, v80
	s_and_saveexec_b64 s[22:23], vcc
	s_cbranch_execnz .LBB709_60
.LBB709_45:                             ;   in Loop: Header=BB709_16 Depth=2
	s_or_b64 exec, exec, s[22:23]
	v_cmp_gt_u32_e32 vcc, s24, v81
	s_and_saveexec_b64 s[22:23], vcc
	s_cbranch_execnz .LBB709_61
.LBB709_46:                             ;   in Loop: Header=BB709_16 Depth=2
	s_or_b64 exec, exec, s[22:23]
	v_cmp_gt_u32_e32 vcc, s24, v82
	s_and_saveexec_b64 s[22:23], vcc
	s_cbranch_execnz .LBB709_62
.LBB709_47:                             ;   in Loop: Header=BB709_16 Depth=2
	s_or_b64 exec, exec, s[22:23]
	v_cmp_gt_u32_e32 vcc, s24, v83
	s_and_saveexec_b64 s[22:23], vcc
	s_cbranch_execnz .LBB709_63
.LBB709_48:                             ;   in Loop: Header=BB709_16 Depth=2
	s_or_b64 exec, exec, s[22:23]
	v_cmp_gt_u32_e32 vcc, s24, v84
	s_and_saveexec_b64 s[22:23], vcc
	s_cbranch_execnz .LBB709_64
.LBB709_49:                             ;   in Loop: Header=BB709_16 Depth=2
	s_or_b64 exec, exec, s[22:23]
	v_cmp_gt_u32_e32 vcc, s24, v85
	s_and_saveexec_b64 s[22:23], vcc
	s_cbranch_execnz .LBB709_65
.LBB709_50:                             ;   in Loop: Header=BB709_16 Depth=2
	s_or_b64 exec, exec, s[22:23]
	v_cmp_gt_u32_e32 vcc, s24, v86
	s_and_saveexec_b64 s[22:23], vcc
	s_cbranch_execnz .LBB709_66
.LBB709_51:                             ;   in Loop: Header=BB709_16 Depth=2
	s_or_b64 exec, exec, s[22:23]
	v_cmp_gt_u32_e32 vcc, s24, v87
	s_and_saveexec_b64 s[22:23], vcc
	s_cbranch_execnz .LBB709_67
.LBB709_52:                             ;   in Loop: Header=BB709_16 Depth=2
	s_or_b64 exec, exec, s[22:23]
	v_cmp_gt_u32_e32 vcc, s24, v88
	s_and_saveexec_b64 s[22:23], vcc
	s_cbranch_execz .LBB709_15
	s_branch .LBB709_68
.LBB709_53:                             ;   in Loop: Header=BB709_16 Depth=2
	v_xor_b32_e32 v38, 0x7fffffff, v36
	v_not_b32_e32 v37, v35
	v_lshrrev_b64 v[37:38], s88, v[37:38]
	v_and_b32_e32 v37, s99, v37
	v_lshl_or_b32 v37, v37, 4, v89
	ds_add_u32 v37, v117
	s_or_b64 exec, exec, s[22:23]
	v_cmp_gt_u32_e32 vcc, s24, v72
	s_and_saveexec_b64 s[22:23], vcc
	s_cbranch_execz .LBB709_39
.LBB709_54:                             ;   in Loop: Header=BB709_16 Depth=2
	v_xor_b32_e32 v38, 0x7fffffff, v34
	v_not_b32_e32 v37, v33
	v_lshrrev_b64 v[37:38], s88, v[37:38]
	v_and_b32_e32 v37, s99, v37
	v_lshl_or_b32 v37, v37, 4, v89
	ds_add_u32 v37, v117
	s_or_b64 exec, exec, s[22:23]
	v_cmp_gt_u32_e32 vcc, s24, v75
	s_and_saveexec_b64 s[22:23], vcc
	s_cbranch_execz .LBB709_40
.LBB709_55:                             ;   in Loop: Header=BB709_16 Depth=2
	v_xor_b32_e32 v38, 0x7fffffff, v32
	v_not_b32_e32 v37, v31
	v_lshrrev_b64 v[37:38], s88, v[37:38]
	v_and_b32_e32 v37, s99, v37
	v_lshl_or_b32 v37, v37, 4, v89
	ds_add_u32 v37, v117
	s_or_b64 exec, exec, s[22:23]
	v_cmp_gt_u32_e32 vcc, s24, v76
	s_and_saveexec_b64 s[22:23], vcc
	s_cbranch_execz .LBB709_41
.LBB709_56:                             ;   in Loop: Header=BB709_16 Depth=2
	v_xor_b32_e32 v38, 0x7fffffff, v30
	v_not_b32_e32 v37, v29
	v_lshrrev_b64 v[37:38], s88, v[37:38]
	v_and_b32_e32 v37, s99, v37
	v_lshl_or_b32 v37, v37, 4, v89
	ds_add_u32 v37, v117
	s_or_b64 exec, exec, s[22:23]
	v_cmp_gt_u32_e32 vcc, s24, v77
	s_and_saveexec_b64 s[22:23], vcc
	s_cbranch_execz .LBB709_42
.LBB709_57:                             ;   in Loop: Header=BB709_16 Depth=2
	v_xor_b32_e32 v38, 0x7fffffff, v28
	v_not_b32_e32 v37, v27
	v_lshrrev_b64 v[37:38], s88, v[37:38]
	v_and_b32_e32 v37, s99, v37
	v_lshl_or_b32 v37, v37, 4, v89
	ds_add_u32 v37, v117
	s_or_b64 exec, exec, s[22:23]
	v_cmp_gt_u32_e32 vcc, s24, v78
	s_and_saveexec_b64 s[22:23], vcc
	s_cbranch_execz .LBB709_43
.LBB709_58:                             ;   in Loop: Header=BB709_16 Depth=2
	v_xor_b32_e32 v38, 0x7fffffff, v26
	v_not_b32_e32 v37, v25
	v_lshrrev_b64 v[37:38], s88, v[37:38]
	v_and_b32_e32 v37, s99, v37
	v_lshl_or_b32 v37, v37, 4, v89
	ds_add_u32 v37, v117
	s_or_b64 exec, exec, s[22:23]
	v_cmp_gt_u32_e32 vcc, s24, v79
	s_and_saveexec_b64 s[22:23], vcc
	s_cbranch_execz .LBB709_44
.LBB709_59:                             ;   in Loop: Header=BB709_16 Depth=2
	v_xor_b32_e32 v38, 0x7fffffff, v24
	v_not_b32_e32 v37, v23
	v_lshrrev_b64 v[37:38], s88, v[37:38]
	v_and_b32_e32 v37, s99, v37
	v_lshl_or_b32 v37, v37, 4, v89
	ds_add_u32 v37, v117
	s_or_b64 exec, exec, s[22:23]
	v_cmp_gt_u32_e32 vcc, s24, v80
	s_and_saveexec_b64 s[22:23], vcc
	s_cbranch_execz .LBB709_45
.LBB709_60:                             ;   in Loop: Header=BB709_16 Depth=2
	v_xor_b32_e32 v38, 0x7fffffff, v22
	v_not_b32_e32 v37, v21
	v_lshrrev_b64 v[37:38], s88, v[37:38]
	v_and_b32_e32 v37, s99, v37
	v_lshl_or_b32 v37, v37, 4, v89
	ds_add_u32 v37, v117
	s_or_b64 exec, exec, s[22:23]
	v_cmp_gt_u32_e32 vcc, s24, v81
	s_and_saveexec_b64 s[22:23], vcc
	s_cbranch_execz .LBB709_46
.LBB709_61:                             ;   in Loop: Header=BB709_16 Depth=2
	v_xor_b32_e32 v38, 0x7fffffff, v20
	v_not_b32_e32 v37, v19
	v_lshrrev_b64 v[37:38], s88, v[37:38]
	v_and_b32_e32 v37, s99, v37
	v_lshl_or_b32 v37, v37, 4, v89
	ds_add_u32 v37, v117
	s_or_b64 exec, exec, s[22:23]
	v_cmp_gt_u32_e32 vcc, s24, v82
	s_and_saveexec_b64 s[22:23], vcc
	s_cbranch_execz .LBB709_47
.LBB709_62:                             ;   in Loop: Header=BB709_16 Depth=2
	v_xor_b32_e32 v38, 0x7fffffff, v18
	v_not_b32_e32 v37, v17
	v_lshrrev_b64 v[37:38], s88, v[37:38]
	v_and_b32_e32 v37, s99, v37
	v_lshl_or_b32 v37, v37, 4, v89
	ds_add_u32 v37, v117
	s_or_b64 exec, exec, s[22:23]
	v_cmp_gt_u32_e32 vcc, s24, v83
	s_and_saveexec_b64 s[22:23], vcc
	s_cbranch_execz .LBB709_48
.LBB709_63:                             ;   in Loop: Header=BB709_16 Depth=2
	v_xor_b32_e32 v38, 0x7fffffff, v16
	v_not_b32_e32 v37, v15
	v_lshrrev_b64 v[37:38], s88, v[37:38]
	v_and_b32_e32 v37, s99, v37
	v_lshl_or_b32 v37, v37, 4, v89
	ds_add_u32 v37, v117
	s_or_b64 exec, exec, s[22:23]
	v_cmp_gt_u32_e32 vcc, s24, v84
	s_and_saveexec_b64 s[22:23], vcc
	s_cbranch_execz .LBB709_49
.LBB709_64:                             ;   in Loop: Header=BB709_16 Depth=2
	v_xor_b32_e32 v38, 0x7fffffff, v14
	v_not_b32_e32 v37, v13
	v_lshrrev_b64 v[37:38], s88, v[37:38]
	v_and_b32_e32 v37, s99, v37
	v_lshl_or_b32 v37, v37, 4, v89
	ds_add_u32 v37, v117
	s_or_b64 exec, exec, s[22:23]
	v_cmp_gt_u32_e32 vcc, s24, v85
	s_and_saveexec_b64 s[22:23], vcc
	s_cbranch_execz .LBB709_50
.LBB709_65:                             ;   in Loop: Header=BB709_16 Depth=2
	v_xor_b32_e32 v38, 0x7fffffff, v12
	v_not_b32_e32 v37, v11
	v_lshrrev_b64 v[37:38], s88, v[37:38]
	v_and_b32_e32 v37, s99, v37
	v_lshl_or_b32 v37, v37, 4, v89
	ds_add_u32 v37, v117
	s_or_b64 exec, exec, s[22:23]
	v_cmp_gt_u32_e32 vcc, s24, v86
	s_and_saveexec_b64 s[22:23], vcc
	s_cbranch_execz .LBB709_51
.LBB709_66:                             ;   in Loop: Header=BB709_16 Depth=2
	v_xor_b32_e32 v38, 0x7fffffff, v10
	v_not_b32_e32 v37, v9
	v_lshrrev_b64 v[37:38], s88, v[37:38]
	v_and_b32_e32 v37, s99, v37
	v_lshl_or_b32 v37, v37, 4, v89
	ds_add_u32 v37, v117
	s_or_b64 exec, exec, s[22:23]
	v_cmp_gt_u32_e32 vcc, s24, v87
	s_and_saveexec_b64 s[22:23], vcc
	s_cbranch_execz .LBB709_52
.LBB709_67:                             ;   in Loop: Header=BB709_16 Depth=2
	v_xor_b32_e32 v38, 0x7fffffff, v8
	v_not_b32_e32 v37, v7
	v_lshrrev_b64 v[37:38], s88, v[37:38]
	v_and_b32_e32 v37, s99, v37
	v_lshl_or_b32 v37, v37, 4, v89
	ds_add_u32 v37, v117
	s_or_b64 exec, exec, s[22:23]
	v_cmp_gt_u32_e32 vcc, s24, v88
	s_and_saveexec_b64 s[22:23], vcc
	s_cbranch_execz .LBB709_15
.LBB709_68:                             ;   in Loop: Header=BB709_16 Depth=2
	v_xor_b32_e32 v38, 0x7fffffff, v6
	v_not_b32_e32 v37, v5
	v_lshrrev_b64 v[37:38], s88, v[37:38]
	v_and_b32_e32 v37, s99, v37
	v_lshl_or_b32 v37, v37, 4, v89
	ds_add_u32 v37, v117
	s_branch .LBB709_15
.LBB709_69:                             ;   in Loop: Header=BB709_16 Depth=2
	global_load_dwordx2 v[35:36], v118, s[22:23]
	s_or_b64 exec, exec, s[24:25]
	v_cmp_gt_u32_e32 vcc, s8, v72
	s_and_saveexec_b64 s[24:25], vcc
	s_cbranch_execz .LBB709_21
.LBB709_70:                             ;   in Loop: Header=BB709_16 Depth=2
	global_load_dwordx2 v[33:34], v118, s[22:23] offset:2048
	s_or_b64 exec, exec, s[24:25]
	v_cmp_gt_u32_e32 vcc, s8, v75
	s_and_saveexec_b64 s[24:25], vcc
	s_cbranch_execz .LBB709_22
.LBB709_71:                             ;   in Loop: Header=BB709_16 Depth=2
	global_load_dwordx2 v[31:32], v119, s[22:23]
	s_or_b64 exec, exec, s[24:25]
	v_cmp_gt_u32_e32 vcc, s8, v76
	s_and_saveexec_b64 s[24:25], vcc
	s_cbranch_execz .LBB709_23
.LBB709_72:                             ;   in Loop: Header=BB709_16 Depth=2
	global_load_dwordx2 v[29:30], v120, s[22:23]
	s_or_b64 exec, exec, s[24:25]
	v_cmp_gt_u32_e32 vcc, s8, v77
	s_and_saveexec_b64 s[24:25], vcc
	s_cbranch_execz .LBB709_24
.LBB709_73:                             ;   in Loop: Header=BB709_16 Depth=2
	global_load_dwordx2 v[27:28], v121, s[22:23]
	s_or_b64 exec, exec, s[24:25]
	v_cmp_gt_u32_e32 vcc, s8, v78
	s_and_saveexec_b64 s[24:25], vcc
	s_cbranch_execz .LBB709_25
.LBB709_74:                             ;   in Loop: Header=BB709_16 Depth=2
	global_load_dwordx2 v[25:26], v122, s[22:23]
	s_or_b64 exec, exec, s[24:25]
	v_cmp_gt_u32_e32 vcc, s8, v79
	s_and_saveexec_b64 s[24:25], vcc
	s_cbranch_execz .LBB709_26
.LBB709_75:                             ;   in Loop: Header=BB709_16 Depth=2
	global_load_dwordx2 v[23:24], v123, s[22:23]
	s_or_b64 exec, exec, s[24:25]
	v_cmp_gt_u32_e32 vcc, s8, v80
	s_and_saveexec_b64 s[24:25], vcc
	s_cbranch_execz .LBB709_27
.LBB709_76:                             ;   in Loop: Header=BB709_16 Depth=2
	global_load_dwordx2 v[21:22], v124, s[22:23]
	s_or_b64 exec, exec, s[24:25]
	v_cmp_gt_u32_e32 vcc, s8, v81
	s_and_saveexec_b64 s[24:25], vcc
	s_cbranch_execz .LBB709_28
.LBB709_77:                             ;   in Loop: Header=BB709_16 Depth=2
	global_load_dwordx2 v[19:20], v125, s[22:23]
	s_or_b64 exec, exec, s[24:25]
	v_cmp_gt_u32_e32 vcc, s8, v82
	s_and_saveexec_b64 s[24:25], vcc
	s_cbranch_execz .LBB709_29
.LBB709_78:                             ;   in Loop: Header=BB709_16 Depth=2
	global_load_dwordx2 v[17:18], v126, s[22:23]
	s_or_b64 exec, exec, s[24:25]
	v_cmp_gt_u32_e32 vcc, s8, v83
	s_and_saveexec_b64 s[24:25], vcc
	s_cbranch_execz .LBB709_30
.LBB709_79:                             ;   in Loop: Header=BB709_16 Depth=2
	global_load_dwordx2 v[15:16], v127, s[22:23]
	s_or_b64 exec, exec, s[24:25]
	v_cmp_gt_u32_e32 vcc, s8, v84
	s_and_saveexec_b64 s[24:25], vcc
	s_cbranch_execz .LBB709_31
.LBB709_80:                             ;   in Loop: Header=BB709_16 Depth=2
	global_load_dwordx2 v[13:14], v128, s[22:23]
	s_or_b64 exec, exec, s[24:25]
	v_cmp_gt_u32_e32 vcc, s8, v85
	s_and_saveexec_b64 s[24:25], vcc
	s_cbranch_execz .LBB709_32
.LBB709_81:                             ;   in Loop: Header=BB709_16 Depth=2
	global_load_dwordx2 v[11:12], v129, s[22:23]
	s_or_b64 exec, exec, s[24:25]
	v_cmp_gt_u32_e32 vcc, s8, v86
	s_and_saveexec_b64 s[24:25], vcc
	s_cbranch_execz .LBB709_33
.LBB709_82:                             ;   in Loop: Header=BB709_16 Depth=2
	global_load_dwordx2 v[9:10], v130, s[22:23]
	s_or_b64 exec, exec, s[24:25]
	v_cmp_gt_u32_e32 vcc, s8, v87
	s_and_saveexec_b64 s[24:25], vcc
	s_cbranch_execz .LBB709_34
.LBB709_83:                             ;   in Loop: Header=BB709_16 Depth=2
	global_load_dwordx2 v[7:8], v131, s[22:23]
	s_or_b64 exec, exec, s[24:25]
	v_cmp_gt_u32_e32 vcc, s8, v88
	s_and_saveexec_b64 s[24:25], vcc
	s_cbranch_execnz .LBB709_35
	s_branch .LBB709_36
.LBB709_84:                             ;   in Loop: Header=BB709_12 Depth=1
	v_mov_b32_e32 v5, 0
	s_waitcnt lgkmcnt(0)
	s_barrier
	s_and_saveexec_b64 s[22:23], s[4:5]
	s_cbranch_execz .LBB709_86
; %bb.85:                               ;   in Loop: Header=BB709_12 Depth=1
	ds_read2_b64 v[5:8], v91 offset1:1
	s_waitcnt lgkmcnt(0)
	v_add_u32_e32 v5, v6, v5
	v_add3_u32 v5, v5, v7, v8
.LBB709_86:                             ;   in Loop: Header=BB709_12 Depth=1
	s_or_b64 exec, exec, s[22:23]
	v_and_b32_e32 v6, 15, v133
	v_mov_b32_dpp v7, v5 row_shr:1 row_mask:0xf bank_mask:0xf
	v_cmp_eq_u32_e64 s[22:23], 0, v6
	v_cndmask_b32_e64 v7, v7, 0, s[22:23]
	v_add_u32_e32 v5, v7, v5
	v_cmp_lt_u32_e64 s[24:25], 1, v6
	v_cmp_lt_u32_e64 s[26:27], 3, v6
	v_mov_b32_dpp v7, v5 row_shr:2 row_mask:0xf bank_mask:0xf
	v_cndmask_b32_e64 v7, 0, v7, s[24:25]
	v_add_u32_e32 v5, v5, v7
	v_cmp_lt_u32_e64 s[28:29], 7, v6
	v_cmp_lt_u32_e64 s[34:35], 31, v133
	v_mov_b32_dpp v7, v5 row_shr:4 row_mask:0xf bank_mask:0xf
	v_cndmask_b32_e64 v7, 0, v7, s[26:27]
	v_add_u32_e32 v5, v5, v7
	v_and_b32_e32 v8, 16, v133
	v_cmp_eq_u32_e64 s[30:31], 0, v8
	v_mov_b32_dpp v7, v5 row_shr:8 row_mask:0xf bank_mask:0xf
	v_cndmask_b32_e64 v6, 0, v7, s[28:29]
	v_add_u32_e32 v5, v5, v6
	v_bfe_i32 v7, v133, 4, 1
	s_nop 0
	v_mov_b32_dpp v6, v5 row_bcast:15 row_mask:0xf bank_mask:0xf
	v_and_b32_e32 v6, v7, v6
	v_add_u32_e32 v5, v5, v6
	s_nop 1
	v_mov_b32_dpp v6, v5 row_bcast:31 row_mask:0xf bank_mask:0xf
	v_cndmask_b32_e64 v6, 0, v6, s[34:35]
	v_add_u32_e32 v5, v5, v6
	s_mov_b64 s[36:37], exec
	v_readlane_b32 s8, v232, 1
	v_readlane_b32 s9, v232, 2
	s_and_b64 s[8:9], s[36:37], s[8:9]
	s_mov_b64 exec, s[8:9]
; %bb.87:                               ;   in Loop: Header=BB709_12 Depth=1
	ds_write_b32 v93, v5
; %bb.88:                               ;   in Loop: Header=BB709_12 Depth=1
	s_or_b64 exec, exec, s[36:37]
	s_waitcnt lgkmcnt(0)
	s_barrier
	s_and_saveexec_b64 s[36:37], s[10:11]
	s_cbranch_execz .LBB709_90
; %bb.89:                               ;   in Loop: Header=BB709_12 Depth=1
	ds_read_b32 v6, v94
	v_bfe_i32 v7, v133, 0, 1
	s_waitcnt lgkmcnt(0)
	v_mov_b32_dpp v8, v6 row_shr:1 row_mask:0xf bank_mask:0xf
	v_and_b32_e32 v7, v7, v8
	v_add_u32_e32 v6, v7, v6
	ds_write_b32 v94, v6
.LBB709_90:                             ;   in Loop: Header=BB709_12 Depth=1
	s_or_b64 exec, exec, s[36:37]
	v_mov_b32_e32 v6, 0
	s_waitcnt lgkmcnt(0)
	s_barrier
	s_and_saveexec_b64 s[36:37], s[12:13]
; %bb.91:                               ;   in Loop: Header=BB709_12 Depth=1
	ds_read_b32 v6, v95
; %bb.92:                               ;   in Loop: Header=BB709_12 Depth=1
	s_or_b64 exec, exec, s[36:37]
	v_subrev_co_u32_e64 v7, s[36:37], 1, v133
	v_and_b32_e32 v8, 64, v133
	v_cmp_lt_i32_e32 vcc, v7, v8
	v_cndmask_b32_e32 v7, v7, v133, vcc
	s_waitcnt lgkmcnt(0)
	v_add_u32_e32 v5, v6, v5
	v_lshlrev_b32_e32 v134, 2, v7
	ds_bpermute_b32 v5, v134, v5
	s_waitcnt lgkmcnt(0)
	s_barrier
	s_and_saveexec_b64 s[38:39], s[4:5]
; %bb.93:                               ;   in Loop: Header=BB709_12 Depth=1
	v_cndmask_b32_e64 v5, v5, v6, s[36:37]
	v_add_u32_e32 v5, s96, v5
	ds_write_b32 v71, v5
; %bb.94:                               ;   in Loop: Header=BB709_12 Depth=1
	s_or_b64 exec, exec, s[38:39]
	s_load_dword s8, s[94:95], 0x4
	s_load_dword s42, s[94:95], 0xc
	v_readlane_b32 s9, v232, 0
	v_and_b32_e32 v38, 3, v133
	v_and_b32_e32 v39, 63, v133
	s_waitcnt lgkmcnt(0)
	s_cmp_lt_u32 s9, s8
	s_cselect_b32 s8, 14, 20
	s_add_u32 s8, s94, s8
	s_addc_u32 s9, s95, 0
	global_load_ushort v37, v3, s[8:9]
	s_and_b32 s8, s42, 0xffff
	v_cmp_eq_u32_e64 s[38:39], 0, v38
	v_cmp_lt_u32_e64 s[40:41], 1, v38
	v_lshlrev_b32_e32 v40, 3, v39
	v_add_co_u32_e32 v152, vcc, v100, v40
	v_addc_co_u32_e32 v153, vcc, 0, v101, vcc
	v_or_b32_e32 v151, v39, v96
	v_add_co_u32_e32 v169, vcc, v102, v40
	s_mov_b32 s91, s33
	v_or_b32_e32 v154, 64, v151
	v_or_b32_e32 v155, 0x80, v151
	;; [unrolled: 1-line block ×15, first 2 shown]
	v_addc_co_u32_e32 v170, vcc, 0, v103, vcc
	s_mov_b32 s92, s96
                                        ; implicit-def: $vgpr5_vgpr6
                                        ; implicit-def: $vgpr7_vgpr8
                                        ; implicit-def: $vgpr9_vgpr10
                                        ; implicit-def: $vgpr13_vgpr14
                                        ; implicit-def: $vgpr17_vgpr18
                                        ; implicit-def: $vgpr21_vgpr22
                                        ; implicit-def: $vgpr25_vgpr26
                                        ; implicit-def: $vgpr29_vgpr30
                                        ; implicit-def: $vgpr11_vgpr12
                                        ; implicit-def: $vgpr15_vgpr16
                                        ; implicit-def: $vgpr19_vgpr20
                                        ; implicit-def: $vgpr23_vgpr24
                                        ; implicit-def: $vgpr27_vgpr28
                                        ; implicit-def: $vgpr31_vgpr32
                                        ; implicit-def: $vgpr33_vgpr34
                                        ; implicit-def: $vgpr35_vgpr36
                                        ; implicit-def: $vgpr135
                                        ; implicit-def: $vgpr136
                                        ; implicit-def: $vgpr137
                                        ; implicit-def: $vgpr138
                                        ; implicit-def: $vgpr139
                                        ; implicit-def: $vgpr140
                                        ; implicit-def: $vgpr141
                                        ; implicit-def: $vgpr142
                                        ; implicit-def: $vgpr143
                                        ; implicit-def: $vgpr144
                                        ; implicit-def: $vgpr145
                                        ; implicit-def: $vgpr146
                                        ; implicit-def: $vgpr147
                                        ; implicit-def: $vgpr148
                                        ; implicit-def: $vgpr149
                                        ; implicit-def: $vgpr150
                                        ; implicit-def: $vgpr172
                                        ; implicit-def: $vgpr173
	s_waitcnt vmcnt(0)
	v_mad_u32_u24 v37, v2, v37, v1
	v_mad_u64_u32 v[37:38], s[8:9], v37, s8, v[0:1]
	v_lshrrev_b32_e32 v37, 4, v37
	v_and_b32_e32 v171, 0xffffffc, v37
	s_branch .LBB709_96
.LBB709_95:                             ;   in Loop: Header=BB709_96 Depth=2
	s_or_b64 exec, exec, s[42:43]
	s_addk_i32 s91, 0xf000
	s_cmp_lt_u32 s8, s97
	s_mov_b32 s92, s8
	s_cbranch_scc0 .LBB709_306
.LBB709_96:                             ;   Parent Loop BB709_12 Depth=1
                                        ; =>  This Inner Loop Header: Depth=2
	s_add_i32 s8, s92, 0x1000
	s_cmp_gt_u32 s8, s97
	s_cbranch_scc1 .LBB709_98
; %bb.97:                               ;   in Loop: Header=BB709_96 Depth=2
	s_lshl_b64 s[42:43], s[92:93], 3
	v_mov_b32_e32 v38, s43
	v_add_co_u32_e32 v37, vcc, s42, v169
	v_addc_co_u32_e32 v38, vcc, v170, v38, vcc
	global_load_dwordx2 v[39:40], v[37:38], off
	global_load_dwordx2 v[41:42], v[37:38], off offset:512
	global_load_dwordx2 v[45:46], v[37:38], off offset:1024
	global_load_dwordx2 v[49:50], v[37:38], off offset:1536
	global_load_dwordx2 v[53:54], v[37:38], off offset:2048
	global_load_dwordx2 v[57:58], v[37:38], off offset:2560
	global_load_dwordx2 v[61:62], v[37:38], off offset:3072
	global_load_dwordx2 v[67:68], v[37:38], off offset:3584
	v_add_co_u32_e32 v37, vcc, 0x1000, v37
	v_addc_co_u32_e32 v38, vcc, 0, v38, vcc
	global_load_dwordx2 v[65:66], v[37:38], off
	global_load_dwordx2 v[63:64], v[37:38], off offset:512
	global_load_dwordx2 v[59:60], v[37:38], off offset:1024
	;; [unrolled: 1-line block ×6, first 2 shown]
	s_mov_b64 s[42:43], -1
	s_movk_i32 s9, 0x1000
	s_cbranch_execz .LBB709_99
	s_branch .LBB709_130
.LBB709_98:                             ;   in Loop: Header=BB709_96 Depth=2
	s_mov_b64 s[42:43], 0
                                        ; implicit-def: $vgpr39_vgpr40
                                        ; implicit-def: $vgpr41_vgpr42
                                        ; implicit-def: $vgpr45_vgpr46
                                        ; implicit-def: $vgpr49_vgpr50
                                        ; implicit-def: $vgpr53_vgpr54
                                        ; implicit-def: $vgpr57_vgpr58
                                        ; implicit-def: $vgpr61_vgpr62
                                        ; implicit-def: $vgpr67_vgpr68
                                        ; implicit-def: $vgpr65_vgpr66
                                        ; implicit-def: $vgpr63_vgpr64
                                        ; implicit-def: $vgpr59_vgpr60
                                        ; implicit-def: $vgpr55_vgpr56
                                        ; implicit-def: $vgpr51_vgpr52
                                        ; implicit-def: $vgpr47_vgpr48
                                        ; implicit-def: $vgpr43_vgpr44
	s_movk_i32 s9, 0x1000
.LBB709_99:                             ;   in Loop: Header=BB709_96 Depth=2
	s_lshl_b64 s[42:43], s[92:93], 3
	v_mov_b32_e32 v38, s43
	v_add_co_u32_e32 v37, vcc, s42, v169
	s_waitcnt vmcnt(13)
	v_mov_b32_e32 v41, v3
	v_addc_co_u32_e32 v38, vcc, v170, v38, vcc
	v_mov_b32_e32 v42, v4
	v_mov_b32_e32 v39, v41
	v_cmp_gt_u32_e32 vcc, s91, v151
	v_mov_b32_e32 v40, v42
	s_and_saveexec_b64 s[42:43], vcc
	s_cbranch_execz .LBB709_101
; %bb.100:                              ;   in Loop: Header=BB709_96 Depth=2
	global_load_dwordx2 v[39:40], v[37:38], off
.LBB709_101:                            ;   in Loop: Header=BB709_96 Depth=2
	s_or_b64 exec, exec, s[42:43]
	v_cmp_gt_u32_e32 vcc, s91, v154
	s_and_saveexec_b64 s[42:43], vcc
	s_cbranch_execz .LBB709_103
; %bb.102:                              ;   in Loop: Header=BB709_96 Depth=2
	global_load_dwordx2 v[41:42], v[37:38], off offset:512
.LBB709_103:                            ;   in Loop: Header=BB709_96 Depth=2
	s_or_b64 exec, exec, s[42:43]
	s_waitcnt vmcnt(12)
	v_mov_b32_e32 v46, v4
	v_cmp_gt_u32_e32 vcc, s91, v155
	v_mov_b32_e32 v45, v3
	s_and_saveexec_b64 s[42:43], vcc
	s_cbranch_execz .LBB709_105
; %bb.104:                              ;   in Loop: Header=BB709_96 Depth=2
	global_load_dwordx2 v[45:46], v[37:38], off offset:1024
.LBB709_105:                            ;   in Loop: Header=BB709_96 Depth=2
	s_or_b64 exec, exec, s[42:43]
	s_waitcnt vmcnt(11)
	v_mov_b32_e32 v50, v4
	v_cmp_gt_u32_e32 vcc, s91, v156
	v_mov_b32_e32 v49, v3
	;; [unrolled: 10-line block ×7, first 2 shown]
	s_and_saveexec_b64 s[42:43], vcc
	s_cbranch_execz .LBB709_117
; %bb.116:                              ;   in Loop: Header=BB709_96 Depth=2
	s_waitcnt vmcnt(0)
	v_add_co_u32_e32 v43, vcc, 0x1000, v37
	v_addc_co_u32_e32 v44, vcc, 0, v38, vcc
	global_load_dwordx2 v[65:66], v[43:44], off
.LBB709_117:                            ;   in Loop: Header=BB709_96 Depth=2
	s_or_b64 exec, exec, s[42:43]
	s_waitcnt vmcnt(5)
	v_mov_b32_e32 v64, v4
	v_cmp_gt_u32_e32 vcc, s91, v162
	v_mov_b32_e32 v63, v3
	s_and_saveexec_b64 s[42:43], vcc
	s_cbranch_execz .LBB709_119
; %bb.118:                              ;   in Loop: Header=BB709_96 Depth=2
	s_waitcnt vmcnt(0)
	v_add_co_u32_e32 v43, vcc, 0x1000, v37
	v_addc_co_u32_e32 v44, vcc, 0, v38, vcc
	global_load_dwordx2 v[63:64], v[43:44], off offset:512
.LBB709_119:                            ;   in Loop: Header=BB709_96 Depth=2
	s_or_b64 exec, exec, s[42:43]
	s_waitcnt vmcnt(4)
	v_mov_b32_e32 v60, v4
	v_cmp_gt_u32_e32 vcc, s91, v163
	v_mov_b32_e32 v59, v3
	s_and_saveexec_b64 s[42:43], vcc
	s_cbranch_execz .LBB709_121
; %bb.120:                              ;   in Loop: Header=BB709_96 Depth=2
	s_waitcnt vmcnt(0)
	v_add_co_u32_e32 v43, vcc, 0x1000, v37
	v_addc_co_u32_e32 v44, vcc, 0, v38, vcc
	global_load_dwordx2 v[59:60], v[43:44], off offset:1024
.LBB709_121:                            ;   in Loop: Header=BB709_96 Depth=2
	;; [unrolled: 13-line block ×5, first 2 shown]
	s_or_b64 exec, exec, s[42:43]
	s_waitcnt vmcnt(0)
	v_mov_b32_e32 v44, v4
	v_cmp_gt_u32_e32 vcc, s91, v167
	v_mov_b32_e32 v43, v3
	s_and_saveexec_b64 s[42:43], vcc
	s_cbranch_execz .LBB709_129
; %bb.128:                              ;   in Loop: Header=BB709_96 Depth=2
	v_add_co_u32_e32 v37, vcc, 0x1000, v37
	v_addc_co_u32_e32 v38, vcc, 0, v38, vcc
	global_load_dwordx2 v[43:44], v[37:38], off offset:3072
.LBB709_129:                            ;   in Loop: Header=BB709_96 Depth=2
	s_or_b64 exec, exec, s[42:43]
	s_sub_i32 s9, s97, s92
	v_cmp_gt_u32_e64 s[42:43], s91, v168
.LBB709_130:                            ;   in Loop: Header=BB709_96 Depth=2
	v_mov_b32_e32 v37, -1
	v_mov_b32_e32 v38, -1
	v_mov_b32_e32 v174, s91
	s_and_saveexec_b64 s[44:45], s[42:43]
	s_cbranch_execz .LBB709_132
; %bb.131:                              ;   in Loop: Header=BB709_96 Depth=2
	s_lshl_b64 s[42:43], s[92:93], 3
	v_mov_b32_e32 v37, s43
	v_add_co_u32_e32 v38, vcc, s42, v169
	v_addc_co_u32_e32 v69, vcc, v170, v37, vcc
	v_add_co_u32_e32 v37, vcc, 0x1000, v38
	v_addc_co_u32_e32 v38, vcc, 0, v69, vcc
	global_load_dwordx2 v[37:38], v[37:38], off offset:3584
	v_mov_b32_e32 v174, s9
	s_waitcnt vmcnt(0)
	v_xor_b32_e32 v38, 0x7fffffff, v38
	v_not_b32_e32 v37, v37
.LBB709_132:                            ;   in Loop: Header=BB709_96 Depth=2
	s_or_b64 exec, exec, s[44:45]
	s_waitcnt vmcnt(14)
	v_xor_b32_e32 v40, 0x7fffffff, v40
	v_not_b32_e32 v39, v39
	v_lshrrev_b64 v[69:70], s88, v[39:40]
	ds_write2_b32 v90, v3, v3 offset0:132 offset1:133
	ds_write_b32 v90, v3 offset:536
	v_and_b32_e32 v175, s99, v69
	v_and_b32_e32 v69, 1, v175
	v_add_co_u32_e32 v70, vcc, -1, v69
	v_addc_co_u32_e64 v177, s[42:43], 0, -1, vcc
	v_cmp_ne_u32_e32 vcc, 0, v69
	v_xor_b32_e32 v69, vcc_hi, v177
	v_xor_b32_e32 v70, vcc_lo, v70
	v_and_b32_e32 v177, exec_hi, v69
	v_and_b32_e32 v178, exec_lo, v70
	v_lshlrev_b32_e32 v70, 30, v175
	v_mov_b32_e32 v69, v3
	v_cmp_gt_i64_e32 vcc, 0, v[69:70]
	v_not_b32_e32 v69, v70
	v_ashrrev_i32_e32 v69, 31, v69
	v_xor_b32_e32 v70, vcc_hi, v69
	v_xor_b32_e32 v69, vcc_lo, v69
	v_and_b32_e32 v177, v177, v70
	v_and_b32_e32 v178, v178, v69
	v_lshlrev_b32_e32 v70, 29, v175
	v_mov_b32_e32 v69, v3
	v_cmp_gt_i64_e32 vcc, 0, v[69:70]
	v_not_b32_e32 v69, v70
	v_ashrrev_i32_e32 v69, 31, v69
	v_xor_b32_e32 v70, vcc_hi, v69
	v_xor_b32_e32 v69, vcc_lo, v69
	v_and_b32_e32 v177, v177, v70
	v_and_b32_e32 v178, v178, v69
	;; [unrolled: 9-line block ×5, first 2 shown]
	v_lshlrev_b32_e32 v70, 25, v175
	v_mov_b32_e32 v69, v3
	v_cmp_gt_i64_e32 vcc, 0, v[69:70]
	v_not_b32_e32 v69, v70
	v_ashrrev_i32_e32 v69, 31, v69
	v_xor_b32_e32 v70, vcc_hi, v69
	v_xor_b32_e32 v69, vcc_lo, v69
	v_and_b32_e32 v69, v178, v69
	v_mul_u32_u24_e32 v176, 20, v175
	v_and_b32_e32 v70, v177, v70
	v_mbcnt_lo_u32_b32 v175, v69, 0
	v_mbcnt_hi_u32_b32 v175, v70, v175
	v_cmp_ne_u64_e32 vcc, 0, v[69:70]
	v_cmp_eq_u32_e64 s[42:43], 0, v175
	s_and_b64 s[44:45], vcc, s[42:43]
	v_add_u32_e32 v177, v171, v176
	s_waitcnt vmcnt(0) lgkmcnt(0)
	s_barrier
	; wave barrier
	s_and_saveexec_b64 s[42:43], s[44:45]
; %bb.133:                              ;   in Loop: Header=BB709_96 Depth=2
	v_bcnt_u32_b32 v69, v69, 0
	v_bcnt_u32_b32 v69, v70, v69
	ds_write_b32 v177, v69 offset:528
; %bb.134:                              ;   in Loop: Header=BB709_96 Depth=2
	s_or_b64 exec, exec, s[42:43]
	v_xor_b32_e32 v42, 0x7fffffff, v42
	v_not_b32_e32 v41, v41
	v_lshrrev_b64 v[69:70], s88, v[41:42]
	v_and_b32_e32 v178, s99, v69
	v_mad_u32_u24 v69, v178, 20, v171
	; wave barrier
	ds_read_b32 v176, v69 offset:528
	v_and_b32_e32 v69, 1, v178
	v_add_co_u32_e32 v70, vcc, -1, v69
	v_addc_co_u32_e64 v180, s[42:43], 0, -1, vcc
	v_cmp_ne_u32_e32 vcc, 0, v69
	v_xor_b32_e32 v69, vcc_hi, v180
	v_xor_b32_e32 v70, vcc_lo, v70
	v_and_b32_e32 v180, exec_hi, v69
	v_and_b32_e32 v181, exec_lo, v70
	v_lshlrev_b32_e32 v70, 30, v178
	v_mov_b32_e32 v69, v3
	v_cmp_gt_i64_e32 vcc, 0, v[69:70]
	v_not_b32_e32 v69, v70
	v_ashrrev_i32_e32 v69, 31, v69
	v_xor_b32_e32 v70, vcc_hi, v69
	v_xor_b32_e32 v69, vcc_lo, v69
	v_and_b32_e32 v180, v180, v70
	v_and_b32_e32 v181, v181, v69
	v_lshlrev_b32_e32 v70, 29, v178
	v_mov_b32_e32 v69, v3
	v_cmp_gt_i64_e32 vcc, 0, v[69:70]
	v_not_b32_e32 v69, v70
	v_ashrrev_i32_e32 v69, 31, v69
	v_xor_b32_e32 v70, vcc_hi, v69
	v_xor_b32_e32 v69, vcc_lo, v69
	v_and_b32_e32 v180, v180, v70
	v_and_b32_e32 v181, v181, v69
	;; [unrolled: 9-line block ×5, first 2 shown]
	v_lshlrev_b32_e32 v70, 25, v178
	v_mov_b32_e32 v69, v3
	v_cmp_gt_i64_e32 vcc, 0, v[69:70]
	v_not_b32_e32 v69, v70
	v_ashrrev_i32_e32 v69, 31, v69
	v_xor_b32_e32 v70, vcc_hi, v69
	v_xor_b32_e32 v69, vcc_lo, v69
	v_and_b32_e32 v69, v181, v69
	v_mul_u32_u24_e32 v179, 20, v178
	v_and_b32_e32 v70, v180, v70
	v_mbcnt_lo_u32_b32 v178, v69, 0
	v_mbcnt_hi_u32_b32 v178, v70, v178
	v_cmp_ne_u64_e32 vcc, 0, v[69:70]
	v_cmp_eq_u32_e64 s[42:43], 0, v178
	s_and_b64 s[44:45], vcc, s[42:43]
	v_add_u32_e32 v180, v171, v179
	; wave barrier
	s_and_saveexec_b64 s[42:43], s[44:45]
	s_cbranch_execz .LBB709_136
; %bb.135:                              ;   in Loop: Header=BB709_96 Depth=2
	v_bcnt_u32_b32 v69, v69, 0
	v_bcnt_u32_b32 v69, v70, v69
	s_waitcnt lgkmcnt(0)
	v_add_u32_e32 v69, v176, v69
	ds_write_b32 v180, v69 offset:528
.LBB709_136:                            ;   in Loop: Header=BB709_96 Depth=2
	s_or_b64 exec, exec, s[42:43]
	v_xor_b32_e32 v46, 0x7fffffff, v46
	v_not_b32_e32 v45, v45
	v_lshrrev_b64 v[69:70], s88, v[45:46]
	v_and_b32_e32 v181, s99, v69
	v_mad_u32_u24 v69, v181, 20, v171
	; wave barrier
	ds_read_b32 v179, v69 offset:528
	v_and_b32_e32 v69, 1, v181
	v_add_co_u32_e32 v70, vcc, -1, v69
	v_addc_co_u32_e64 v183, s[42:43], 0, -1, vcc
	v_cmp_ne_u32_e32 vcc, 0, v69
	v_xor_b32_e32 v69, vcc_hi, v183
	v_xor_b32_e32 v70, vcc_lo, v70
	v_and_b32_e32 v183, exec_hi, v69
	v_and_b32_e32 v184, exec_lo, v70
	v_lshlrev_b32_e32 v70, 30, v181
	v_mov_b32_e32 v69, v3
	v_cmp_gt_i64_e32 vcc, 0, v[69:70]
	v_not_b32_e32 v69, v70
	v_ashrrev_i32_e32 v69, 31, v69
	v_xor_b32_e32 v70, vcc_hi, v69
	v_xor_b32_e32 v69, vcc_lo, v69
	v_and_b32_e32 v183, v183, v70
	v_and_b32_e32 v184, v184, v69
	v_lshlrev_b32_e32 v70, 29, v181
	v_mov_b32_e32 v69, v3
	v_cmp_gt_i64_e32 vcc, 0, v[69:70]
	v_not_b32_e32 v69, v70
	v_ashrrev_i32_e32 v69, 31, v69
	v_xor_b32_e32 v70, vcc_hi, v69
	v_xor_b32_e32 v69, vcc_lo, v69
	v_and_b32_e32 v183, v183, v70
	v_and_b32_e32 v184, v184, v69
	;; [unrolled: 9-line block ×5, first 2 shown]
	v_lshlrev_b32_e32 v70, 25, v181
	v_mov_b32_e32 v69, v3
	v_cmp_gt_i64_e32 vcc, 0, v[69:70]
	v_not_b32_e32 v69, v70
	v_ashrrev_i32_e32 v69, 31, v69
	v_xor_b32_e32 v70, vcc_hi, v69
	v_xor_b32_e32 v69, vcc_lo, v69
	v_and_b32_e32 v69, v184, v69
	v_mul_u32_u24_e32 v182, 20, v181
	v_and_b32_e32 v70, v183, v70
	v_mbcnt_lo_u32_b32 v181, v69, 0
	v_mbcnt_hi_u32_b32 v181, v70, v181
	v_cmp_ne_u64_e32 vcc, 0, v[69:70]
	v_cmp_eq_u32_e64 s[42:43], 0, v181
	s_and_b64 s[44:45], vcc, s[42:43]
	v_add_u32_e32 v183, v171, v182
	; wave barrier
	s_and_saveexec_b64 s[42:43], s[44:45]
	s_cbranch_execz .LBB709_138
; %bb.137:                              ;   in Loop: Header=BB709_96 Depth=2
	v_bcnt_u32_b32 v69, v69, 0
	v_bcnt_u32_b32 v69, v70, v69
	s_waitcnt lgkmcnt(0)
	v_add_u32_e32 v69, v179, v69
	ds_write_b32 v183, v69 offset:528
.LBB709_138:                            ;   in Loop: Header=BB709_96 Depth=2
	s_or_b64 exec, exec, s[42:43]
	v_xor_b32_e32 v50, 0x7fffffff, v50
	v_not_b32_e32 v49, v49
	v_lshrrev_b64 v[69:70], s88, v[49:50]
	v_and_b32_e32 v184, s99, v69
	v_mad_u32_u24 v69, v184, 20, v171
	; wave barrier
	ds_read_b32 v182, v69 offset:528
	v_and_b32_e32 v69, 1, v184
	v_add_co_u32_e32 v70, vcc, -1, v69
	v_addc_co_u32_e64 v186, s[42:43], 0, -1, vcc
	v_cmp_ne_u32_e32 vcc, 0, v69
	v_xor_b32_e32 v69, vcc_hi, v186
	v_xor_b32_e32 v70, vcc_lo, v70
	v_and_b32_e32 v186, exec_hi, v69
	v_and_b32_e32 v187, exec_lo, v70
	v_lshlrev_b32_e32 v70, 30, v184
	v_mov_b32_e32 v69, v3
	v_cmp_gt_i64_e32 vcc, 0, v[69:70]
	v_not_b32_e32 v69, v70
	v_ashrrev_i32_e32 v69, 31, v69
	v_xor_b32_e32 v70, vcc_hi, v69
	v_xor_b32_e32 v69, vcc_lo, v69
	v_and_b32_e32 v186, v186, v70
	v_and_b32_e32 v187, v187, v69
	v_lshlrev_b32_e32 v70, 29, v184
	v_mov_b32_e32 v69, v3
	v_cmp_gt_i64_e32 vcc, 0, v[69:70]
	v_not_b32_e32 v69, v70
	v_ashrrev_i32_e32 v69, 31, v69
	v_xor_b32_e32 v70, vcc_hi, v69
	v_xor_b32_e32 v69, vcc_lo, v69
	v_and_b32_e32 v186, v186, v70
	v_and_b32_e32 v187, v187, v69
	;; [unrolled: 9-line block ×5, first 2 shown]
	v_lshlrev_b32_e32 v70, 25, v184
	v_mov_b32_e32 v69, v3
	v_cmp_gt_i64_e32 vcc, 0, v[69:70]
	v_not_b32_e32 v69, v70
	v_ashrrev_i32_e32 v69, 31, v69
	v_xor_b32_e32 v70, vcc_hi, v69
	v_xor_b32_e32 v69, vcc_lo, v69
	v_and_b32_e32 v69, v187, v69
	v_mul_u32_u24_e32 v185, 20, v184
	v_and_b32_e32 v70, v186, v70
	v_mbcnt_lo_u32_b32 v184, v69, 0
	v_mbcnt_hi_u32_b32 v184, v70, v184
	v_cmp_ne_u64_e32 vcc, 0, v[69:70]
	v_cmp_eq_u32_e64 s[42:43], 0, v184
	s_and_b64 s[44:45], vcc, s[42:43]
	v_add_u32_e32 v186, v171, v185
	; wave barrier
	s_and_saveexec_b64 s[42:43], s[44:45]
	s_cbranch_execz .LBB709_140
; %bb.139:                              ;   in Loop: Header=BB709_96 Depth=2
	v_bcnt_u32_b32 v69, v69, 0
	v_bcnt_u32_b32 v69, v70, v69
	s_waitcnt lgkmcnt(0)
	v_add_u32_e32 v69, v182, v69
	ds_write_b32 v186, v69 offset:528
.LBB709_140:                            ;   in Loop: Header=BB709_96 Depth=2
	s_or_b64 exec, exec, s[42:43]
	v_xor_b32_e32 v54, 0x7fffffff, v54
	v_not_b32_e32 v53, v53
	v_lshrrev_b64 v[69:70], s88, v[53:54]
	v_and_b32_e32 v187, s99, v69
	v_mad_u32_u24 v69, v187, 20, v171
	; wave barrier
	ds_read_b32 v185, v69 offset:528
	v_and_b32_e32 v69, 1, v187
	v_add_co_u32_e32 v70, vcc, -1, v69
	v_addc_co_u32_e64 v189, s[42:43], 0, -1, vcc
	v_cmp_ne_u32_e32 vcc, 0, v69
	v_xor_b32_e32 v69, vcc_hi, v189
	v_xor_b32_e32 v70, vcc_lo, v70
	v_and_b32_e32 v189, exec_hi, v69
	v_and_b32_e32 v190, exec_lo, v70
	v_lshlrev_b32_e32 v70, 30, v187
	v_mov_b32_e32 v69, v3
	v_cmp_gt_i64_e32 vcc, 0, v[69:70]
	v_not_b32_e32 v69, v70
	v_ashrrev_i32_e32 v69, 31, v69
	v_xor_b32_e32 v70, vcc_hi, v69
	v_xor_b32_e32 v69, vcc_lo, v69
	v_and_b32_e32 v189, v189, v70
	v_and_b32_e32 v190, v190, v69
	v_lshlrev_b32_e32 v70, 29, v187
	v_mov_b32_e32 v69, v3
	v_cmp_gt_i64_e32 vcc, 0, v[69:70]
	v_not_b32_e32 v69, v70
	v_ashrrev_i32_e32 v69, 31, v69
	v_xor_b32_e32 v70, vcc_hi, v69
	v_xor_b32_e32 v69, vcc_lo, v69
	v_and_b32_e32 v189, v189, v70
	v_and_b32_e32 v190, v190, v69
	;; [unrolled: 9-line block ×5, first 2 shown]
	v_lshlrev_b32_e32 v70, 25, v187
	v_mov_b32_e32 v69, v3
	v_cmp_gt_i64_e32 vcc, 0, v[69:70]
	v_not_b32_e32 v69, v70
	v_ashrrev_i32_e32 v69, 31, v69
	v_xor_b32_e32 v70, vcc_hi, v69
	v_xor_b32_e32 v69, vcc_lo, v69
	v_and_b32_e32 v69, v190, v69
	v_mul_u32_u24_e32 v188, 20, v187
	v_and_b32_e32 v70, v189, v70
	v_mbcnt_lo_u32_b32 v187, v69, 0
	v_mbcnt_hi_u32_b32 v187, v70, v187
	v_cmp_ne_u64_e32 vcc, 0, v[69:70]
	v_cmp_eq_u32_e64 s[42:43], 0, v187
	s_and_b64 s[44:45], vcc, s[42:43]
	v_add_u32_e32 v189, v171, v188
	; wave barrier
	s_and_saveexec_b64 s[42:43], s[44:45]
	s_cbranch_execz .LBB709_142
; %bb.141:                              ;   in Loop: Header=BB709_96 Depth=2
	v_bcnt_u32_b32 v69, v69, 0
	v_bcnt_u32_b32 v69, v70, v69
	s_waitcnt lgkmcnt(0)
	v_add_u32_e32 v69, v185, v69
	ds_write_b32 v189, v69 offset:528
.LBB709_142:                            ;   in Loop: Header=BB709_96 Depth=2
	s_or_b64 exec, exec, s[42:43]
	v_xor_b32_e32 v58, 0x7fffffff, v58
	v_not_b32_e32 v57, v57
	v_lshrrev_b64 v[69:70], s88, v[57:58]
	v_and_b32_e32 v190, s99, v69
	v_mad_u32_u24 v69, v190, 20, v171
	; wave barrier
	ds_read_b32 v188, v69 offset:528
	v_and_b32_e32 v69, 1, v190
	v_add_co_u32_e32 v70, vcc, -1, v69
	v_addc_co_u32_e64 v192, s[42:43], 0, -1, vcc
	v_cmp_ne_u32_e32 vcc, 0, v69
	v_xor_b32_e32 v69, vcc_hi, v192
	v_xor_b32_e32 v70, vcc_lo, v70
	v_and_b32_e32 v192, exec_hi, v69
	v_and_b32_e32 v193, exec_lo, v70
	v_lshlrev_b32_e32 v70, 30, v190
	v_mov_b32_e32 v69, v3
	v_cmp_gt_i64_e32 vcc, 0, v[69:70]
	v_not_b32_e32 v69, v70
	v_ashrrev_i32_e32 v69, 31, v69
	v_xor_b32_e32 v70, vcc_hi, v69
	v_xor_b32_e32 v69, vcc_lo, v69
	v_and_b32_e32 v192, v192, v70
	v_and_b32_e32 v193, v193, v69
	v_lshlrev_b32_e32 v70, 29, v190
	v_mov_b32_e32 v69, v3
	v_cmp_gt_i64_e32 vcc, 0, v[69:70]
	v_not_b32_e32 v69, v70
	v_ashrrev_i32_e32 v69, 31, v69
	v_xor_b32_e32 v70, vcc_hi, v69
	v_xor_b32_e32 v69, vcc_lo, v69
	v_and_b32_e32 v192, v192, v70
	v_and_b32_e32 v193, v193, v69
	;; [unrolled: 9-line block ×5, first 2 shown]
	v_lshlrev_b32_e32 v70, 25, v190
	v_mov_b32_e32 v69, v3
	v_cmp_gt_i64_e32 vcc, 0, v[69:70]
	v_not_b32_e32 v69, v70
	v_ashrrev_i32_e32 v69, 31, v69
	v_xor_b32_e32 v70, vcc_hi, v69
	v_xor_b32_e32 v69, vcc_lo, v69
	v_and_b32_e32 v69, v193, v69
	v_mul_u32_u24_e32 v191, 20, v190
	v_and_b32_e32 v70, v192, v70
	v_mbcnt_lo_u32_b32 v190, v69, 0
	v_mbcnt_hi_u32_b32 v190, v70, v190
	v_cmp_ne_u64_e32 vcc, 0, v[69:70]
	v_cmp_eq_u32_e64 s[42:43], 0, v190
	s_and_b64 s[44:45], vcc, s[42:43]
	v_add_u32_e32 v192, v171, v191
	; wave barrier
	s_and_saveexec_b64 s[42:43], s[44:45]
	s_cbranch_execz .LBB709_144
; %bb.143:                              ;   in Loop: Header=BB709_96 Depth=2
	v_bcnt_u32_b32 v69, v69, 0
	v_bcnt_u32_b32 v69, v70, v69
	s_waitcnt lgkmcnt(0)
	v_add_u32_e32 v69, v188, v69
	ds_write_b32 v192, v69 offset:528
.LBB709_144:                            ;   in Loop: Header=BB709_96 Depth=2
	s_or_b64 exec, exec, s[42:43]
	v_xor_b32_e32 v62, 0x7fffffff, v62
	v_not_b32_e32 v61, v61
	v_lshrrev_b64 v[69:70], s88, v[61:62]
	v_and_b32_e32 v193, s99, v69
	v_mad_u32_u24 v69, v193, 20, v171
	; wave barrier
	ds_read_b32 v191, v69 offset:528
	v_and_b32_e32 v69, 1, v193
	v_add_co_u32_e32 v70, vcc, -1, v69
	v_addc_co_u32_e64 v195, s[42:43], 0, -1, vcc
	v_cmp_ne_u32_e32 vcc, 0, v69
	v_xor_b32_e32 v69, vcc_hi, v195
	v_xor_b32_e32 v70, vcc_lo, v70
	v_and_b32_e32 v195, exec_hi, v69
	v_and_b32_e32 v196, exec_lo, v70
	v_lshlrev_b32_e32 v70, 30, v193
	v_mov_b32_e32 v69, v3
	v_cmp_gt_i64_e32 vcc, 0, v[69:70]
	v_not_b32_e32 v69, v70
	v_ashrrev_i32_e32 v69, 31, v69
	v_xor_b32_e32 v70, vcc_hi, v69
	v_xor_b32_e32 v69, vcc_lo, v69
	v_and_b32_e32 v195, v195, v70
	v_and_b32_e32 v196, v196, v69
	v_lshlrev_b32_e32 v70, 29, v193
	v_mov_b32_e32 v69, v3
	v_cmp_gt_i64_e32 vcc, 0, v[69:70]
	v_not_b32_e32 v69, v70
	v_ashrrev_i32_e32 v69, 31, v69
	v_xor_b32_e32 v70, vcc_hi, v69
	v_xor_b32_e32 v69, vcc_lo, v69
	v_and_b32_e32 v195, v195, v70
	v_and_b32_e32 v196, v196, v69
	;; [unrolled: 9-line block ×5, first 2 shown]
	v_lshlrev_b32_e32 v70, 25, v193
	v_mov_b32_e32 v69, v3
	v_cmp_gt_i64_e32 vcc, 0, v[69:70]
	v_not_b32_e32 v69, v70
	v_ashrrev_i32_e32 v69, 31, v69
	v_xor_b32_e32 v70, vcc_hi, v69
	v_xor_b32_e32 v69, vcc_lo, v69
	v_and_b32_e32 v69, v196, v69
	v_mul_u32_u24_e32 v194, 20, v193
	v_and_b32_e32 v70, v195, v70
	v_mbcnt_lo_u32_b32 v193, v69, 0
	v_mbcnt_hi_u32_b32 v193, v70, v193
	v_cmp_ne_u64_e32 vcc, 0, v[69:70]
	v_cmp_eq_u32_e64 s[42:43], 0, v193
	s_and_b64 s[44:45], vcc, s[42:43]
	v_add_u32_e32 v195, v171, v194
	; wave barrier
	s_and_saveexec_b64 s[42:43], s[44:45]
	s_cbranch_execz .LBB709_146
; %bb.145:                              ;   in Loop: Header=BB709_96 Depth=2
	v_bcnt_u32_b32 v69, v69, 0
	v_bcnt_u32_b32 v69, v70, v69
	s_waitcnt lgkmcnt(0)
	v_add_u32_e32 v69, v191, v69
	ds_write_b32 v195, v69 offset:528
.LBB709_146:                            ;   in Loop: Header=BB709_96 Depth=2
	s_or_b64 exec, exec, s[42:43]
	v_xor_b32_e32 v68, 0x7fffffff, v68
	v_not_b32_e32 v67, v67
	v_lshrrev_b64 v[69:70], s88, v[67:68]
	v_and_b32_e32 v196, s99, v69
	v_mad_u32_u24 v69, v196, 20, v171
	; wave barrier
	ds_read_b32 v194, v69 offset:528
	v_and_b32_e32 v69, 1, v196
	v_add_co_u32_e32 v70, vcc, -1, v69
	v_addc_co_u32_e64 v198, s[42:43], 0, -1, vcc
	v_cmp_ne_u32_e32 vcc, 0, v69
	v_xor_b32_e32 v69, vcc_hi, v198
	v_xor_b32_e32 v70, vcc_lo, v70
	v_and_b32_e32 v198, exec_hi, v69
	v_and_b32_e32 v199, exec_lo, v70
	v_lshlrev_b32_e32 v70, 30, v196
	v_mov_b32_e32 v69, v3
	v_cmp_gt_i64_e32 vcc, 0, v[69:70]
	v_not_b32_e32 v69, v70
	v_ashrrev_i32_e32 v69, 31, v69
	v_xor_b32_e32 v70, vcc_hi, v69
	v_xor_b32_e32 v69, vcc_lo, v69
	v_and_b32_e32 v198, v198, v70
	v_and_b32_e32 v199, v199, v69
	v_lshlrev_b32_e32 v70, 29, v196
	v_mov_b32_e32 v69, v3
	v_cmp_gt_i64_e32 vcc, 0, v[69:70]
	v_not_b32_e32 v69, v70
	v_ashrrev_i32_e32 v69, 31, v69
	v_xor_b32_e32 v70, vcc_hi, v69
	v_xor_b32_e32 v69, vcc_lo, v69
	v_and_b32_e32 v198, v198, v70
	v_and_b32_e32 v199, v199, v69
	;; [unrolled: 9-line block ×5, first 2 shown]
	v_lshlrev_b32_e32 v70, 25, v196
	v_mov_b32_e32 v69, v3
	v_cmp_gt_i64_e32 vcc, 0, v[69:70]
	v_not_b32_e32 v69, v70
	v_ashrrev_i32_e32 v69, 31, v69
	v_xor_b32_e32 v70, vcc_hi, v69
	v_xor_b32_e32 v69, vcc_lo, v69
	v_and_b32_e32 v69, v199, v69
	v_mul_u32_u24_e32 v197, 20, v196
	v_and_b32_e32 v70, v198, v70
	v_mbcnt_lo_u32_b32 v196, v69, 0
	v_mbcnt_hi_u32_b32 v196, v70, v196
	v_cmp_ne_u64_e32 vcc, 0, v[69:70]
	v_cmp_eq_u32_e64 s[42:43], 0, v196
	s_and_b64 s[44:45], vcc, s[42:43]
	v_add_u32_e32 v198, v171, v197
	; wave barrier
	s_and_saveexec_b64 s[42:43], s[44:45]
	s_cbranch_execz .LBB709_148
; %bb.147:                              ;   in Loop: Header=BB709_96 Depth=2
	v_bcnt_u32_b32 v69, v69, 0
	v_bcnt_u32_b32 v69, v70, v69
	s_waitcnt lgkmcnt(0)
	v_add_u32_e32 v69, v194, v69
	ds_write_b32 v198, v69 offset:528
.LBB709_148:                            ;   in Loop: Header=BB709_96 Depth=2
	s_or_b64 exec, exec, s[42:43]
	v_xor_b32_e32 v66, 0x7fffffff, v66
	v_not_b32_e32 v65, v65
	v_lshrrev_b64 v[69:70], s88, v[65:66]
	v_and_b32_e32 v199, s99, v69
	v_mad_u32_u24 v69, v199, 20, v171
	; wave barrier
	ds_read_b32 v197, v69 offset:528
	v_and_b32_e32 v69, 1, v199
	v_add_co_u32_e32 v70, vcc, -1, v69
	v_addc_co_u32_e64 v201, s[42:43], 0, -1, vcc
	v_cmp_ne_u32_e32 vcc, 0, v69
	v_xor_b32_e32 v69, vcc_hi, v201
	v_xor_b32_e32 v70, vcc_lo, v70
	v_and_b32_e32 v201, exec_hi, v69
	v_and_b32_e32 v202, exec_lo, v70
	v_lshlrev_b32_e32 v70, 30, v199
	v_mov_b32_e32 v69, v3
	v_cmp_gt_i64_e32 vcc, 0, v[69:70]
	v_not_b32_e32 v69, v70
	v_ashrrev_i32_e32 v69, 31, v69
	v_xor_b32_e32 v70, vcc_hi, v69
	v_xor_b32_e32 v69, vcc_lo, v69
	v_and_b32_e32 v201, v201, v70
	v_and_b32_e32 v202, v202, v69
	v_lshlrev_b32_e32 v70, 29, v199
	v_mov_b32_e32 v69, v3
	v_cmp_gt_i64_e32 vcc, 0, v[69:70]
	v_not_b32_e32 v69, v70
	v_ashrrev_i32_e32 v69, 31, v69
	v_xor_b32_e32 v70, vcc_hi, v69
	v_xor_b32_e32 v69, vcc_lo, v69
	v_and_b32_e32 v201, v201, v70
	v_and_b32_e32 v202, v202, v69
	;; [unrolled: 9-line block ×5, first 2 shown]
	v_lshlrev_b32_e32 v70, 25, v199
	v_mov_b32_e32 v69, v3
	v_cmp_gt_i64_e32 vcc, 0, v[69:70]
	v_not_b32_e32 v69, v70
	v_ashrrev_i32_e32 v69, 31, v69
	v_xor_b32_e32 v70, vcc_hi, v69
	v_xor_b32_e32 v69, vcc_lo, v69
	v_and_b32_e32 v69, v202, v69
	v_mul_u32_u24_e32 v200, 20, v199
	v_and_b32_e32 v70, v201, v70
	v_mbcnt_lo_u32_b32 v199, v69, 0
	v_mbcnt_hi_u32_b32 v199, v70, v199
	v_cmp_ne_u64_e32 vcc, 0, v[69:70]
	v_cmp_eq_u32_e64 s[42:43], 0, v199
	s_and_b64 s[44:45], vcc, s[42:43]
	v_add_u32_e32 v201, v171, v200
	; wave barrier
	s_and_saveexec_b64 s[42:43], s[44:45]
	s_cbranch_execz .LBB709_150
; %bb.149:                              ;   in Loop: Header=BB709_96 Depth=2
	v_bcnt_u32_b32 v69, v69, 0
	v_bcnt_u32_b32 v69, v70, v69
	s_waitcnt lgkmcnt(0)
	v_add_u32_e32 v69, v197, v69
	ds_write_b32 v201, v69 offset:528
.LBB709_150:                            ;   in Loop: Header=BB709_96 Depth=2
	s_or_b64 exec, exec, s[42:43]
	v_xor_b32_e32 v64, 0x7fffffff, v64
	v_not_b32_e32 v63, v63
	v_lshrrev_b64 v[69:70], s88, v[63:64]
	v_and_b32_e32 v202, s99, v69
	v_mad_u32_u24 v69, v202, 20, v171
	; wave barrier
	ds_read_b32 v200, v69 offset:528
	v_and_b32_e32 v69, 1, v202
	v_add_co_u32_e32 v70, vcc, -1, v69
	v_addc_co_u32_e64 v204, s[42:43], 0, -1, vcc
	v_cmp_ne_u32_e32 vcc, 0, v69
	v_xor_b32_e32 v69, vcc_hi, v204
	v_xor_b32_e32 v70, vcc_lo, v70
	v_and_b32_e32 v204, exec_hi, v69
	v_and_b32_e32 v205, exec_lo, v70
	v_lshlrev_b32_e32 v70, 30, v202
	v_mov_b32_e32 v69, v3
	v_cmp_gt_i64_e32 vcc, 0, v[69:70]
	v_not_b32_e32 v69, v70
	v_ashrrev_i32_e32 v69, 31, v69
	v_xor_b32_e32 v70, vcc_hi, v69
	v_xor_b32_e32 v69, vcc_lo, v69
	v_and_b32_e32 v204, v204, v70
	v_and_b32_e32 v205, v205, v69
	v_lshlrev_b32_e32 v70, 29, v202
	v_mov_b32_e32 v69, v3
	v_cmp_gt_i64_e32 vcc, 0, v[69:70]
	v_not_b32_e32 v69, v70
	v_ashrrev_i32_e32 v69, 31, v69
	v_xor_b32_e32 v70, vcc_hi, v69
	v_xor_b32_e32 v69, vcc_lo, v69
	v_and_b32_e32 v204, v204, v70
	v_and_b32_e32 v205, v205, v69
	v_lshlrev_b32_e32 v70, 28, v202
	v_mov_b32_e32 v69, v3
	v_cmp_gt_i64_e32 vcc, 0, v[69:70]
	v_not_b32_e32 v69, v70
	v_ashrrev_i32_e32 v69, 31, v69
	v_xor_b32_e32 v70, vcc_hi, v69
	v_xor_b32_e32 v69, vcc_lo, v69
	v_and_b32_e32 v204, v204, v70
	v_and_b32_e32 v205, v205, v69
	v_lshlrev_b32_e32 v70, 27, v202
	v_mov_b32_e32 v69, v3
	v_cmp_gt_i64_e32 vcc, 0, v[69:70]
	v_not_b32_e32 v69, v70
	v_ashrrev_i32_e32 v69, 31, v69
	v_xor_b32_e32 v70, vcc_hi, v69
	v_xor_b32_e32 v69, vcc_lo, v69
	v_and_b32_e32 v204, v204, v70
	v_and_b32_e32 v205, v205, v69
	v_lshlrev_b32_e32 v70, 26, v202
	v_mov_b32_e32 v69, v3
	v_cmp_gt_i64_e32 vcc, 0, v[69:70]
	v_not_b32_e32 v69, v70
	v_ashrrev_i32_e32 v69, 31, v69
	v_xor_b32_e32 v70, vcc_hi, v69
	v_xor_b32_e32 v69, vcc_lo, v69
	v_and_b32_e32 v204, v204, v70
	v_and_b32_e32 v205, v205, v69
	v_lshlrev_b32_e32 v70, 25, v202
	v_mov_b32_e32 v69, v3
	v_cmp_gt_i64_e32 vcc, 0, v[69:70]
	v_not_b32_e32 v69, v70
	v_ashrrev_i32_e32 v69, 31, v69
	v_xor_b32_e32 v70, vcc_hi, v69
	v_xor_b32_e32 v69, vcc_lo, v69
	v_and_b32_e32 v69, v205, v69
	v_mul_u32_u24_e32 v203, 20, v202
	v_and_b32_e32 v70, v204, v70
	v_mbcnt_lo_u32_b32 v202, v69, 0
	v_mbcnt_hi_u32_b32 v202, v70, v202
	v_cmp_ne_u64_e32 vcc, 0, v[69:70]
	v_cmp_eq_u32_e64 s[42:43], 0, v202
	s_and_b64 s[44:45], vcc, s[42:43]
	v_add_u32_e32 v205, v171, v203
	; wave barrier
	s_and_saveexec_b64 s[42:43], s[44:45]
	s_cbranch_execz .LBB709_152
; %bb.151:                              ;   in Loop: Header=BB709_96 Depth=2
	v_bcnt_u32_b32 v69, v69, 0
	v_bcnt_u32_b32 v69, v70, v69
	s_waitcnt lgkmcnt(0)
	v_add_u32_e32 v69, v200, v69
	ds_write_b32 v205, v69 offset:528
.LBB709_152:                            ;   in Loop: Header=BB709_96 Depth=2
	s_or_b64 exec, exec, s[42:43]
	v_xor_b32_e32 v60, 0x7fffffff, v60
	v_not_b32_e32 v59, v59
	v_lshrrev_b64 v[69:70], s88, v[59:60]
	v_and_b32_e32 v204, s99, v69
	v_mad_u32_u24 v69, v204, 20, v171
	; wave barrier
	ds_read_b32 v203, v69 offset:528
	v_and_b32_e32 v69, 1, v204
	v_add_co_u32_e32 v70, vcc, -1, v69
	v_addc_co_u32_e64 v207, s[42:43], 0, -1, vcc
	v_cmp_ne_u32_e32 vcc, 0, v69
	v_xor_b32_e32 v69, vcc_hi, v207
	v_xor_b32_e32 v70, vcc_lo, v70
	v_and_b32_e32 v207, exec_hi, v69
	v_and_b32_e32 v208, exec_lo, v70
	v_lshlrev_b32_e32 v70, 30, v204
	v_mov_b32_e32 v69, v3
	v_cmp_gt_i64_e32 vcc, 0, v[69:70]
	v_not_b32_e32 v69, v70
	v_ashrrev_i32_e32 v69, 31, v69
	v_xor_b32_e32 v70, vcc_hi, v69
	v_xor_b32_e32 v69, vcc_lo, v69
	v_and_b32_e32 v207, v207, v70
	v_and_b32_e32 v208, v208, v69
	v_lshlrev_b32_e32 v70, 29, v204
	v_mov_b32_e32 v69, v3
	v_cmp_gt_i64_e32 vcc, 0, v[69:70]
	v_not_b32_e32 v69, v70
	v_ashrrev_i32_e32 v69, 31, v69
	v_xor_b32_e32 v70, vcc_hi, v69
	v_xor_b32_e32 v69, vcc_lo, v69
	v_and_b32_e32 v207, v207, v70
	v_and_b32_e32 v208, v208, v69
	v_lshlrev_b32_e32 v70, 28, v204
	v_mov_b32_e32 v69, v3
	v_cmp_gt_i64_e32 vcc, 0, v[69:70]
	v_not_b32_e32 v69, v70
	v_ashrrev_i32_e32 v69, 31, v69
	v_xor_b32_e32 v70, vcc_hi, v69
	v_xor_b32_e32 v69, vcc_lo, v69
	v_and_b32_e32 v207, v207, v70
	v_and_b32_e32 v208, v208, v69
	v_lshlrev_b32_e32 v70, 27, v204
	v_mov_b32_e32 v69, v3
	v_cmp_gt_i64_e32 vcc, 0, v[69:70]
	v_not_b32_e32 v69, v70
	v_ashrrev_i32_e32 v69, 31, v69
	v_xor_b32_e32 v70, vcc_hi, v69
	v_xor_b32_e32 v69, vcc_lo, v69
	v_and_b32_e32 v207, v207, v70
	v_and_b32_e32 v208, v208, v69
	v_lshlrev_b32_e32 v70, 26, v204
	v_mov_b32_e32 v69, v3
	v_cmp_gt_i64_e32 vcc, 0, v[69:70]
	v_not_b32_e32 v69, v70
	v_ashrrev_i32_e32 v69, 31, v69
	v_xor_b32_e32 v70, vcc_hi, v69
	v_xor_b32_e32 v69, vcc_lo, v69
	v_and_b32_e32 v207, v207, v70
	v_and_b32_e32 v208, v208, v69
	v_lshlrev_b32_e32 v70, 25, v204
	v_mov_b32_e32 v69, v3
	v_cmp_gt_i64_e32 vcc, 0, v[69:70]
	v_not_b32_e32 v69, v70
	v_ashrrev_i32_e32 v69, 31, v69
	v_xor_b32_e32 v70, vcc_hi, v69
	v_xor_b32_e32 v69, vcc_lo, v69
	v_and_b32_e32 v69, v208, v69
	v_mul_u32_u24_e32 v206, 20, v204
	v_and_b32_e32 v70, v207, v70
	v_mbcnt_lo_u32_b32 v204, v69, 0
	v_mbcnt_hi_u32_b32 v204, v70, v204
	v_cmp_ne_u64_e32 vcc, 0, v[69:70]
	v_cmp_eq_u32_e64 s[42:43], 0, v204
	s_and_b64 s[44:45], vcc, s[42:43]
	v_add_u32_e32 v208, v171, v206
	; wave barrier
	s_and_saveexec_b64 s[42:43], s[44:45]
	s_cbranch_execz .LBB709_154
; %bb.153:                              ;   in Loop: Header=BB709_96 Depth=2
	v_bcnt_u32_b32 v69, v69, 0
	v_bcnt_u32_b32 v69, v70, v69
	s_waitcnt lgkmcnt(0)
	v_add_u32_e32 v69, v203, v69
	ds_write_b32 v208, v69 offset:528
.LBB709_154:                            ;   in Loop: Header=BB709_96 Depth=2
	s_or_b64 exec, exec, s[42:43]
	v_xor_b32_e32 v56, 0x7fffffff, v56
	v_not_b32_e32 v55, v55
	v_lshrrev_b64 v[69:70], s88, v[55:56]
	v_and_b32_e32 v207, s99, v69
	v_mad_u32_u24 v69, v207, 20, v171
	; wave barrier
	ds_read_b32 v206, v69 offset:528
	v_and_b32_e32 v69, 1, v207
	v_add_co_u32_e32 v70, vcc, -1, v69
	v_addc_co_u32_e64 v210, s[42:43], 0, -1, vcc
	v_cmp_ne_u32_e32 vcc, 0, v69
	v_xor_b32_e32 v69, vcc_hi, v210
	v_xor_b32_e32 v70, vcc_lo, v70
	v_and_b32_e32 v210, exec_hi, v69
	v_and_b32_e32 v211, exec_lo, v70
	v_lshlrev_b32_e32 v70, 30, v207
	v_mov_b32_e32 v69, v3
	v_cmp_gt_i64_e32 vcc, 0, v[69:70]
	v_not_b32_e32 v69, v70
	v_ashrrev_i32_e32 v69, 31, v69
	v_xor_b32_e32 v70, vcc_hi, v69
	v_xor_b32_e32 v69, vcc_lo, v69
	v_and_b32_e32 v210, v210, v70
	v_and_b32_e32 v211, v211, v69
	v_lshlrev_b32_e32 v70, 29, v207
	v_mov_b32_e32 v69, v3
	v_cmp_gt_i64_e32 vcc, 0, v[69:70]
	v_not_b32_e32 v69, v70
	v_ashrrev_i32_e32 v69, 31, v69
	v_xor_b32_e32 v70, vcc_hi, v69
	v_xor_b32_e32 v69, vcc_lo, v69
	v_and_b32_e32 v210, v210, v70
	v_and_b32_e32 v211, v211, v69
	;; [unrolled: 9-line block ×5, first 2 shown]
	v_lshlrev_b32_e32 v70, 25, v207
	v_mov_b32_e32 v69, v3
	v_cmp_gt_i64_e32 vcc, 0, v[69:70]
	v_not_b32_e32 v69, v70
	v_ashrrev_i32_e32 v69, 31, v69
	v_xor_b32_e32 v70, vcc_hi, v69
	v_xor_b32_e32 v69, vcc_lo, v69
	v_and_b32_e32 v69, v211, v69
	v_mul_u32_u24_e32 v209, 20, v207
	v_and_b32_e32 v70, v210, v70
	v_mbcnt_lo_u32_b32 v207, v69, 0
	v_mbcnt_hi_u32_b32 v207, v70, v207
	v_cmp_ne_u64_e32 vcc, 0, v[69:70]
	v_cmp_eq_u32_e64 s[42:43], 0, v207
	s_and_b64 s[44:45], vcc, s[42:43]
	v_add_u32_e32 v211, v171, v209
	; wave barrier
	s_and_saveexec_b64 s[42:43], s[44:45]
	s_cbranch_execz .LBB709_156
; %bb.155:                              ;   in Loop: Header=BB709_96 Depth=2
	v_bcnt_u32_b32 v69, v69, 0
	v_bcnt_u32_b32 v69, v70, v69
	s_waitcnt lgkmcnt(0)
	v_add_u32_e32 v69, v206, v69
	ds_write_b32 v211, v69 offset:528
.LBB709_156:                            ;   in Loop: Header=BB709_96 Depth=2
	s_or_b64 exec, exec, s[42:43]
	v_xor_b32_e32 v52, 0x7fffffff, v52
	v_not_b32_e32 v51, v51
	v_lshrrev_b64 v[69:70], s88, v[51:52]
	v_and_b32_e32 v210, s99, v69
	v_mad_u32_u24 v69, v210, 20, v171
	; wave barrier
	ds_read_b32 v209, v69 offset:528
	v_and_b32_e32 v69, 1, v210
	v_add_co_u32_e32 v70, vcc, -1, v69
	v_addc_co_u32_e64 v213, s[42:43], 0, -1, vcc
	v_cmp_ne_u32_e32 vcc, 0, v69
	v_xor_b32_e32 v69, vcc_hi, v213
	v_xor_b32_e32 v70, vcc_lo, v70
	v_and_b32_e32 v213, exec_hi, v69
	v_and_b32_e32 v214, exec_lo, v70
	v_lshlrev_b32_e32 v70, 30, v210
	v_mov_b32_e32 v69, v3
	v_cmp_gt_i64_e32 vcc, 0, v[69:70]
	v_not_b32_e32 v69, v70
	v_ashrrev_i32_e32 v69, 31, v69
	v_xor_b32_e32 v70, vcc_hi, v69
	v_xor_b32_e32 v69, vcc_lo, v69
	v_and_b32_e32 v213, v213, v70
	v_and_b32_e32 v214, v214, v69
	v_lshlrev_b32_e32 v70, 29, v210
	v_mov_b32_e32 v69, v3
	v_cmp_gt_i64_e32 vcc, 0, v[69:70]
	v_not_b32_e32 v69, v70
	v_ashrrev_i32_e32 v69, 31, v69
	v_xor_b32_e32 v70, vcc_hi, v69
	v_xor_b32_e32 v69, vcc_lo, v69
	v_and_b32_e32 v213, v213, v70
	v_and_b32_e32 v214, v214, v69
	;; [unrolled: 9-line block ×5, first 2 shown]
	v_lshlrev_b32_e32 v70, 25, v210
	v_mov_b32_e32 v69, v3
	v_cmp_gt_i64_e32 vcc, 0, v[69:70]
	v_not_b32_e32 v69, v70
	v_ashrrev_i32_e32 v69, 31, v69
	v_xor_b32_e32 v70, vcc_hi, v69
	v_xor_b32_e32 v69, vcc_lo, v69
	v_and_b32_e32 v69, v214, v69
	v_mul_u32_u24_e32 v212, 20, v210
	v_and_b32_e32 v70, v213, v70
	v_mbcnt_lo_u32_b32 v210, v69, 0
	v_mbcnt_hi_u32_b32 v210, v70, v210
	v_cmp_ne_u64_e32 vcc, 0, v[69:70]
	v_cmp_eq_u32_e64 s[42:43], 0, v210
	s_and_b64 s[44:45], vcc, s[42:43]
	v_add_u32_e32 v214, v171, v212
	; wave barrier
	s_and_saveexec_b64 s[42:43], s[44:45]
	s_cbranch_execz .LBB709_158
; %bb.157:                              ;   in Loop: Header=BB709_96 Depth=2
	v_bcnt_u32_b32 v69, v69, 0
	v_bcnt_u32_b32 v69, v70, v69
	s_waitcnt lgkmcnt(0)
	v_add_u32_e32 v69, v209, v69
	ds_write_b32 v214, v69 offset:528
.LBB709_158:                            ;   in Loop: Header=BB709_96 Depth=2
	s_or_b64 exec, exec, s[42:43]
	v_xor_b32_e32 v48, 0x7fffffff, v48
	v_not_b32_e32 v47, v47
	v_lshrrev_b64 v[69:70], s88, v[47:48]
	v_and_b32_e32 v213, s99, v69
	v_mad_u32_u24 v69, v213, 20, v171
	; wave barrier
	ds_read_b32 v212, v69 offset:528
	v_and_b32_e32 v69, 1, v213
	v_add_co_u32_e32 v70, vcc, -1, v69
	v_addc_co_u32_e64 v216, s[42:43], 0, -1, vcc
	v_cmp_ne_u32_e32 vcc, 0, v69
	v_xor_b32_e32 v69, vcc_hi, v216
	v_xor_b32_e32 v70, vcc_lo, v70
	v_and_b32_e32 v216, exec_hi, v69
	v_and_b32_e32 v217, exec_lo, v70
	v_lshlrev_b32_e32 v70, 30, v213
	v_mov_b32_e32 v69, v3
	v_cmp_gt_i64_e32 vcc, 0, v[69:70]
	v_not_b32_e32 v69, v70
	v_ashrrev_i32_e32 v69, 31, v69
	v_xor_b32_e32 v70, vcc_hi, v69
	v_xor_b32_e32 v69, vcc_lo, v69
	v_and_b32_e32 v216, v216, v70
	v_and_b32_e32 v217, v217, v69
	v_lshlrev_b32_e32 v70, 29, v213
	v_mov_b32_e32 v69, v3
	v_cmp_gt_i64_e32 vcc, 0, v[69:70]
	v_not_b32_e32 v69, v70
	v_ashrrev_i32_e32 v69, 31, v69
	v_xor_b32_e32 v70, vcc_hi, v69
	v_xor_b32_e32 v69, vcc_lo, v69
	v_and_b32_e32 v216, v216, v70
	v_and_b32_e32 v217, v217, v69
	;; [unrolled: 9-line block ×5, first 2 shown]
	v_lshlrev_b32_e32 v70, 25, v213
	v_mov_b32_e32 v69, v3
	v_cmp_gt_i64_e32 vcc, 0, v[69:70]
	v_not_b32_e32 v69, v70
	v_ashrrev_i32_e32 v69, 31, v69
	v_xor_b32_e32 v70, vcc_hi, v69
	v_xor_b32_e32 v69, vcc_lo, v69
	v_and_b32_e32 v69, v217, v69
	v_mul_u32_u24_e32 v215, 20, v213
	v_and_b32_e32 v70, v216, v70
	v_mbcnt_lo_u32_b32 v213, v69, 0
	v_mbcnt_hi_u32_b32 v213, v70, v213
	v_cmp_ne_u64_e32 vcc, 0, v[69:70]
	v_cmp_eq_u32_e64 s[42:43], 0, v213
	s_and_b64 s[44:45], vcc, s[42:43]
	v_add_u32_e32 v217, v171, v215
	; wave barrier
	s_and_saveexec_b64 s[42:43], s[44:45]
	s_cbranch_execz .LBB709_160
; %bb.159:                              ;   in Loop: Header=BB709_96 Depth=2
	v_bcnt_u32_b32 v69, v69, 0
	v_bcnt_u32_b32 v69, v70, v69
	s_waitcnt lgkmcnt(0)
	v_add_u32_e32 v69, v212, v69
	ds_write_b32 v217, v69 offset:528
.LBB709_160:                            ;   in Loop: Header=BB709_96 Depth=2
	s_or_b64 exec, exec, s[42:43]
	v_xor_b32_e32 v44, 0x7fffffff, v44
	v_not_b32_e32 v43, v43
	v_lshrrev_b64 v[69:70], s88, v[43:44]
	v_and_b32_e32 v216, s99, v69
	v_mad_u32_u24 v69, v216, 20, v171
	; wave barrier
	ds_read_b32 v215, v69 offset:528
	v_and_b32_e32 v69, 1, v216
	v_add_co_u32_e32 v70, vcc, -1, v69
	v_addc_co_u32_e64 v219, s[42:43], 0, -1, vcc
	v_cmp_ne_u32_e32 vcc, 0, v69
	v_xor_b32_e32 v69, vcc_hi, v219
	v_xor_b32_e32 v70, vcc_lo, v70
	v_and_b32_e32 v219, exec_hi, v69
	v_and_b32_e32 v220, exec_lo, v70
	v_lshlrev_b32_e32 v70, 30, v216
	v_mov_b32_e32 v69, v3
	v_cmp_gt_i64_e32 vcc, 0, v[69:70]
	v_not_b32_e32 v69, v70
	v_ashrrev_i32_e32 v69, 31, v69
	v_xor_b32_e32 v70, vcc_hi, v69
	v_xor_b32_e32 v69, vcc_lo, v69
	v_and_b32_e32 v219, v219, v70
	v_and_b32_e32 v220, v220, v69
	v_lshlrev_b32_e32 v70, 29, v216
	v_mov_b32_e32 v69, v3
	v_cmp_gt_i64_e32 vcc, 0, v[69:70]
	v_not_b32_e32 v69, v70
	v_ashrrev_i32_e32 v69, 31, v69
	v_xor_b32_e32 v70, vcc_hi, v69
	v_xor_b32_e32 v69, vcc_lo, v69
	v_and_b32_e32 v219, v219, v70
	v_and_b32_e32 v220, v220, v69
	;; [unrolled: 9-line block ×5, first 2 shown]
	v_lshlrev_b32_e32 v70, 25, v216
	v_mov_b32_e32 v69, v3
	v_cmp_gt_i64_e32 vcc, 0, v[69:70]
	v_not_b32_e32 v69, v70
	v_ashrrev_i32_e32 v69, 31, v69
	v_xor_b32_e32 v70, vcc_hi, v69
	v_xor_b32_e32 v69, vcc_lo, v69
	v_and_b32_e32 v69, v220, v69
	v_mul_u32_u24_e32 v218, 20, v216
	v_and_b32_e32 v70, v219, v70
	v_mbcnt_lo_u32_b32 v216, v69, 0
	v_mbcnt_hi_u32_b32 v216, v70, v216
	v_cmp_ne_u64_e32 vcc, 0, v[69:70]
	v_cmp_eq_u32_e64 s[42:43], 0, v216
	s_and_b64 s[44:45], vcc, s[42:43]
	v_add_u32_e32 v220, v171, v218
	; wave barrier
	s_and_saveexec_b64 s[42:43], s[44:45]
	s_cbranch_execz .LBB709_162
; %bb.161:                              ;   in Loop: Header=BB709_96 Depth=2
	v_bcnt_u32_b32 v69, v69, 0
	v_bcnt_u32_b32 v69, v70, v69
	s_waitcnt lgkmcnt(0)
	v_add_u32_e32 v69, v215, v69
	ds_write_b32 v220, v69 offset:528
.LBB709_162:                            ;   in Loop: Header=BB709_96 Depth=2
	s_or_b64 exec, exec, s[42:43]
	v_lshrrev_b64 v[69:70], s88, v[37:38]
	v_and_b32_e32 v219, s99, v69
	v_mad_u32_u24 v69, v219, 20, v171
	; wave barrier
	ds_read_b32 v218, v69 offset:528
	v_and_b32_e32 v69, 1, v219
	v_add_co_u32_e32 v70, vcc, -1, v69
	v_addc_co_u32_e64 v222, s[42:43], 0, -1, vcc
	v_cmp_ne_u32_e32 vcc, 0, v69
	v_xor_b32_e32 v69, vcc_hi, v222
	v_xor_b32_e32 v70, vcc_lo, v70
	v_and_b32_e32 v222, exec_hi, v69
	v_and_b32_e32 v223, exec_lo, v70
	v_lshlrev_b32_e32 v70, 30, v219
	v_mov_b32_e32 v69, v3
	v_cmp_gt_i64_e32 vcc, 0, v[69:70]
	v_not_b32_e32 v69, v70
	v_ashrrev_i32_e32 v69, 31, v69
	v_xor_b32_e32 v70, vcc_hi, v69
	v_xor_b32_e32 v69, vcc_lo, v69
	v_and_b32_e32 v222, v222, v70
	v_and_b32_e32 v223, v223, v69
	v_lshlrev_b32_e32 v70, 29, v219
	v_mov_b32_e32 v69, v3
	v_cmp_gt_i64_e32 vcc, 0, v[69:70]
	v_not_b32_e32 v69, v70
	v_ashrrev_i32_e32 v69, 31, v69
	v_xor_b32_e32 v70, vcc_hi, v69
	v_xor_b32_e32 v69, vcc_lo, v69
	v_and_b32_e32 v222, v222, v70
	v_and_b32_e32 v223, v223, v69
	;; [unrolled: 9-line block ×5, first 2 shown]
	v_lshlrev_b32_e32 v70, 25, v219
	v_mov_b32_e32 v69, v3
	v_cmp_gt_i64_e32 vcc, 0, v[69:70]
	v_not_b32_e32 v69, v70
	v_ashrrev_i32_e32 v69, 31, v69
	v_xor_b32_e32 v70, vcc_hi, v69
	v_xor_b32_e32 v69, vcc_lo, v69
	v_and_b32_e32 v69, v223, v69
	v_mul_u32_u24_e32 v221, 20, v219
	v_and_b32_e32 v70, v222, v70
	v_mbcnt_lo_u32_b32 v219, v69, 0
	v_mbcnt_hi_u32_b32 v219, v70, v219
	v_cmp_ne_u64_e32 vcc, 0, v[69:70]
	v_cmp_eq_u32_e64 s[42:43], 0, v219
	s_and_b64 s[44:45], vcc, s[42:43]
	v_add_u32_e32 v221, v171, v221
	; wave barrier
	s_and_saveexec_b64 s[42:43], s[44:45]
	s_cbranch_execz .LBB709_164
; %bb.163:                              ;   in Loop: Header=BB709_96 Depth=2
	v_bcnt_u32_b32 v69, v69, 0
	v_bcnt_u32_b32 v69, v70, v69
	s_waitcnt lgkmcnt(0)
	v_add_u32_e32 v69, v218, v69
	ds_write_b32 v221, v69 offset:528
.LBB709_164:                            ;   in Loop: Header=BB709_96 Depth=2
	s_or_b64 exec, exec, s[42:43]
	; wave barrier
	s_waitcnt lgkmcnt(0)
	s_barrier
	ds_read2_b32 v[69:70], v90 offset0:132 offset1:133
	ds_read_b32 v222, v90 offset:536
	s_waitcnt lgkmcnt(0)
	v_add3_u32 v222, v70, v69, v222
	s_nop 1
	v_mov_b32_dpp v223, v222 row_shr:1 row_mask:0xf bank_mask:0xf
	v_cndmask_b32_e64 v223, v223, 0, s[22:23]
	v_add_u32_e32 v222, v223, v222
	s_nop 1
	v_mov_b32_dpp v223, v222 row_shr:2 row_mask:0xf bank_mask:0xf
	v_cndmask_b32_e64 v223, 0, v223, s[24:25]
	v_add_u32_e32 v222, v222, v223
	;; [unrolled: 4-line block ×4, first 2 shown]
	s_nop 1
	v_mov_b32_dpp v223, v222 row_bcast:15 row_mask:0xf bank_mask:0xf
	v_cndmask_b32_e64 v223, v223, 0, s[30:31]
	v_add_u32_e32 v222, v222, v223
	s_nop 1
	v_mov_b32_dpp v223, v222 row_bcast:31 row_mask:0xf bank_mask:0xf
	v_cndmask_b32_e64 v223, 0, v223, s[34:35]
	v_add_u32_e32 v222, v222, v223
	s_and_saveexec_b64 s[42:43], s[14:15]
; %bb.165:                              ;   in Loop: Header=BB709_96 Depth=2
	ds_write_b32 v92, v222 offset:512
; %bb.166:                              ;   in Loop: Header=BB709_96 Depth=2
	s_or_b64 exec, exec, s[42:43]
	s_waitcnt lgkmcnt(0)
	s_barrier
	s_and_saveexec_b64 s[42:43], s[16:17]
	s_cbranch_execz .LBB709_168
; %bb.167:                              ;   in Loop: Header=BB709_96 Depth=2
	ds_read_b32 v223, v97 offset:512
	s_waitcnt lgkmcnt(0)
	s_nop 0
	v_mov_b32_dpp v224, v223 row_shr:1 row_mask:0xf bank_mask:0xf
	v_cndmask_b32_e64 v224, v224, 0, s[38:39]
	v_add_u32_e32 v223, v224, v223
	s_nop 1
	v_mov_b32_dpp v224, v223 row_shr:2 row_mask:0xf bank_mask:0xf
	v_cndmask_b32_e64 v224, 0, v224, s[40:41]
	v_add_u32_e32 v223, v223, v224
	ds_write_b32 v97, v223 offset:512
.LBB709_168:                            ;   in Loop: Header=BB709_96 Depth=2
	s_or_b64 exec, exec, s[42:43]
	v_mov_b32_e32 v223, 0
	s_waitcnt lgkmcnt(0)
	s_barrier
	s_and_saveexec_b64 s[42:43], s[12:13]
; %bb.169:                              ;   in Loop: Header=BB709_96 Depth=2
	ds_read_b32 v223, v92 offset:508
; %bb.170:                              ;   in Loop: Header=BB709_96 Depth=2
	s_or_b64 exec, exec, s[42:43]
	s_waitcnt lgkmcnt(0)
	v_add_u32_e32 v222, v223, v222
	ds_bpermute_b32 v222, v134, v222
	s_waitcnt lgkmcnt(0)
	v_cndmask_b32_e64 v222, v222, v223, s[36:37]
	v_cndmask_b32_e64 v222, v222, 0, s[18:19]
	v_add_u32_e32 v69, v222, v69
	v_add_u32_e32 v70, v69, v70
	ds_write2_b32 v90, v222, v69 offset0:132 offset1:133
	ds_write_b32 v90, v70 offset:536
	s_waitcnt lgkmcnt(0)
	s_barrier
	ds_read_b32 v69, v177 offset:528
	ds_read_b32 v227, v180 offset:528
	ds_read_b32 v226, v183 offset:528
	ds_read_b32 v225, v186 offset:528
	ds_read_b32 v224, v189 offset:528
	ds_read_b32 v223, v192 offset:528
	ds_read_b32 v222, v195 offset:528
	ds_read_b32 v198, v198 offset:528
	ds_read_b32 v195, v201 offset:528
	ds_read_b32 v192, v205 offset:528
	ds_read_b32 v189, v208 offset:528
	ds_read_b32 v186, v211 offset:528
	ds_read_b32 v183, v214 offset:528
	ds_read_b32 v180, v217 offset:528
	ds_read_b32 v177, v220 offset:528
	ds_read_b32 v70, v221 offset:528
	s_and_saveexec_b64 s[42:43], s[4:5]
	s_cbranch_execz .LBB709_174
; %bb.171:                              ;   in Loop: Header=BB709_96 Depth=2
	ds_read_b32 v172, v99 offset:528
	v_mov_b32_e32 v173, 0x1000
	s_and_saveexec_b64 s[44:45], s[20:21]
; %bb.172:                              ;   in Loop: Header=BB709_96 Depth=2
	ds_read_b32 v173, v98 offset:528
; %bb.173:                              ;   in Loop: Header=BB709_96 Depth=2
	s_or_b64 exec, exec, s[44:45]
	s_waitcnt lgkmcnt(0)
	v_sub_u32_e32 v173, v173, v172
.LBB709_174:                            ;   in Loop: Header=BB709_96 Depth=2
	s_or_b64 exec, exec, s[42:43]
	s_waitcnt lgkmcnt(0)
	s_barrier
	s_and_saveexec_b64 s[42:43], s[4:5]
	s_cbranch_execz .LBB709_176
; %bb.175:                              ;   in Loop: Header=BB709_96 Depth=2
	ds_read_b32 v201, v71
	s_waitcnt lgkmcnt(0)
	v_sub_u32_e32 v201, v201, v172
	ds_write_b32 v71, v201
.LBB709_176:                            ;   in Loop: Header=BB709_96 Depth=2
	s_or_b64 exec, exec, s[42:43]
	v_lshlrev_b32_e32 v175, 3, v175
	v_lshl_add_u32 v69, v69, 3, v175
	ds_write_b64 v69, v[39:40] offset:512
	v_lshlrev_b32_e32 v39, 3, v178
	v_lshlrev_b32_e32 v40, 3, v176
	v_lshlrev_b32_e32 v175, 3, v227
	v_add3_u32 v39, v39, v40, v175
	ds_write_b64 v39, v[41:42] offset:512
	v_lshlrev_b32_e32 v40, 3, v181
	v_lshlrev_b32_e32 v41, 3, v179
	v_lshlrev_b32_e32 v42, 3, v226
	v_add3_u32 v40, v40, v41, v42
	;; [unrolled: 5-line block ×3, first 2 shown]
	v_lshlrev_b32_e32 v42, 3, v187
	v_lshlrev_b32_e32 v45, 3, v185
	v_lshlrev_b32_e32 v46, 3, v224
	ds_write_b64 v41, v[49:50] offset:512
	v_add3_u32 v42, v42, v45, v46
	v_lshlrev_b32_e32 v45, 3, v190
	v_lshlrev_b32_e32 v46, 3, v188
	v_lshlrev_b32_e32 v49, 3, v223
	v_add3_u32 v45, v45, v46, v49
	v_lshlrev_b32_e32 v46, 3, v193
	v_lshlrev_b32_e32 v49, 3, v191
	v_lshlrev_b32_e32 v50, 3, v222
	ds_write_b64 v42, v[53:54] offset:512
	v_add3_u32 v46, v46, v49, v50
	v_lshlrev_b32_e32 v49, 3, v196
	v_lshlrev_b32_e32 v50, 3, v194
	v_lshlrev_b32_e32 v53, 3, v198
	v_add3_u32 v49, v49, v50, v53
	;; [unrolled: 9-line block ×3, first 2 shown]
	v_lshlrev_b32_e32 v54, 3, v204
	v_lshlrev_b32_e32 v57, 3, v203
	;; [unrolled: 1-line block ×3, first 2 shown]
	v_add3_u32 v54, v54, v57, v58
	ds_write_b64 v46, v[61:62] offset:512
	ds_write_b64 v49, v[67:68] offset:512
	;; [unrolled: 1-line block ×5, first 2 shown]
	v_lshlrev_b32_e32 v57, 3, v207
	v_lshlrev_b32_e32 v58, 3, v206
	v_lshlrev_b32_e32 v59, 3, v186
	v_add3_u32 v57, v57, v58, v59
	ds_write_b64 v57, v[55:56] offset:512
	v_lshlrev_b32_e32 v55, 3, v210
	v_lshlrev_b32_e32 v56, 3, v209
	v_lshlrev_b32_e32 v58, 3, v183
	v_add3_u32 v55, v55, v56, v58
	ds_write_b64 v55, v[51:52] offset:512
	;; [unrolled: 5-line block ×4, first 2 shown]
	v_lshlrev_b32_e32 v43, 3, v219
	v_lshlrev_b32_e32 v44, 3, v218
	;; [unrolled: 1-line block ×3, first 2 shown]
	v_add3_u32 v43, v43, v44, v48
	v_cmp_lt_u32_e64 s[42:43], v0, v174
	ds_write_b64 v43, v[37:38] offset:512
	s_waitcnt lgkmcnt(0)
	s_barrier
	s_and_saveexec_b64 s[44:45], s[42:43]
	s_cbranch_execnz .LBB709_245
; %bb.177:                              ;   in Loop: Header=BB709_96 Depth=2
	s_or_b64 exec, exec, s[44:45]
	v_cmp_lt_u32_e64 s[44:45], v72, v174
	s_and_saveexec_b64 s[46:47], s[44:45]
	s_cbranch_execnz .LBB709_246
.LBB709_178:                            ;   in Loop: Header=BB709_96 Depth=2
	s_or_b64 exec, exec, s[46:47]
	v_cmp_lt_u32_e64 s[46:47], v75, v174
	s_and_saveexec_b64 s[48:49], s[46:47]
	s_cbranch_execnz .LBB709_247
.LBB709_179:                            ;   in Loop: Header=BB709_96 Depth=2
	s_or_b64 exec, exec, s[48:49]
	v_cmp_lt_u32_e64 s[48:49], v76, v174
	s_and_saveexec_b64 s[50:51], s[48:49]
	s_cbranch_execnz .LBB709_248
.LBB709_180:                            ;   in Loop: Header=BB709_96 Depth=2
	s_or_b64 exec, exec, s[50:51]
	v_cmp_lt_u32_e64 s[50:51], v77, v174
	s_and_saveexec_b64 s[52:53], s[50:51]
	s_cbranch_execnz .LBB709_249
.LBB709_181:                            ;   in Loop: Header=BB709_96 Depth=2
	s_or_b64 exec, exec, s[52:53]
	v_cmp_lt_u32_e64 s[52:53], v78, v174
	s_and_saveexec_b64 s[54:55], s[52:53]
	s_cbranch_execnz .LBB709_250
.LBB709_182:                            ;   in Loop: Header=BB709_96 Depth=2
	s_or_b64 exec, exec, s[54:55]
	v_cmp_lt_u32_e64 s[54:55], v79, v174
	s_and_saveexec_b64 s[56:57], s[54:55]
	s_cbranch_execnz .LBB709_251
.LBB709_183:                            ;   in Loop: Header=BB709_96 Depth=2
	s_or_b64 exec, exec, s[56:57]
	v_cmp_lt_u32_e64 s[56:57], v80, v174
	s_and_saveexec_b64 s[58:59], s[56:57]
	s_cbranch_execnz .LBB709_252
.LBB709_184:                            ;   in Loop: Header=BB709_96 Depth=2
	s_or_b64 exec, exec, s[58:59]
	v_cmp_lt_u32_e64 s[58:59], v81, v174
	s_and_saveexec_b64 s[60:61], s[58:59]
	s_cbranch_execnz .LBB709_253
.LBB709_185:                            ;   in Loop: Header=BB709_96 Depth=2
	s_or_b64 exec, exec, s[60:61]
	v_cmp_lt_u32_e64 s[60:61], v82, v174
	s_and_saveexec_b64 s[62:63], s[60:61]
	s_cbranch_execnz .LBB709_254
.LBB709_186:                            ;   in Loop: Header=BB709_96 Depth=2
	s_or_b64 exec, exec, s[62:63]
	v_cmp_lt_u32_e64 s[62:63], v83, v174
	s_and_saveexec_b64 s[64:65], s[62:63]
	s_cbranch_execnz .LBB709_255
.LBB709_187:                            ;   in Loop: Header=BB709_96 Depth=2
	s_or_b64 exec, exec, s[64:65]
	v_cmp_lt_u32_e64 s[64:65], v84, v174
	s_and_saveexec_b64 s[66:67], s[64:65]
	s_cbranch_execnz .LBB709_256
.LBB709_188:                            ;   in Loop: Header=BB709_96 Depth=2
	s_or_b64 exec, exec, s[66:67]
	v_cmp_lt_u32_e64 s[66:67], v85, v174
	s_and_saveexec_b64 s[68:69], s[66:67]
	s_cbranch_execnz .LBB709_257
.LBB709_189:                            ;   in Loop: Header=BB709_96 Depth=2
	s_or_b64 exec, exec, s[68:69]
	v_cmp_lt_u32_e64 s[68:69], v86, v174
	s_and_saveexec_b64 s[70:71], s[68:69]
	s_cbranch_execnz .LBB709_258
.LBB709_190:                            ;   in Loop: Header=BB709_96 Depth=2
	s_or_b64 exec, exec, s[70:71]
	v_cmp_lt_u32_e64 s[70:71], v87, v174
	s_and_saveexec_b64 s[72:73], s[70:71]
	s_cbranch_execnz .LBB709_259
.LBB709_191:                            ;   in Loop: Header=BB709_96 Depth=2
	s_or_b64 exec, exec, s[72:73]
	v_cmp_lt_u32_e64 s[72:73], v88, v174
	s_and_saveexec_b64 s[82:83], s[72:73]
	s_cbranch_execz .LBB709_193
.LBB709_192:                            ;   in Loop: Header=BB709_96 Depth=2
	ds_read_b64 v[37:38], v104 offset:31232
	v_mov_b32_e32 v48, s79
	s_waitcnt lgkmcnt(0)
	v_lshrrev_b64 v[58:59], s88, v[37:38]
	v_mov_b32_e32 v59, v3
	v_and_b32_e32 v44, s99, v58
	v_lshlrev_b32_e32 v44, 2, v44
	ds_read_b32 v44, v44
	v_xor_b32_e32 v38, 0x7fffffff, v38
	v_not_b32_e32 v37, v37
	s_waitcnt lgkmcnt(0)
	v_add_u32_e32 v58, v44, v88
	v_lshlrev_b64 v[58:59], 3, v[58:59]
	v_add_co_u32_e32 v58, vcc, s78, v58
	v_addc_co_u32_e32 v59, vcc, v48, v59, vcc
	global_store_dwordx2 v[58:59], v[37:38], off
.LBB709_193:                            ;   in Loop: Header=BB709_96 Depth=2
	s_or_b64 exec, exec, s[82:83]
	s_lshl_b64 s[82:83], s[92:93], 3
	v_mov_b32_e32 v38, s83
	v_add_co_u32_e32 v37, vcc, s82, v152
	v_addc_co_u32_e32 v38, vcc, v153, v38, vcc
	v_cmp_lt_u32_e32 vcc, v151, v174
	s_and_saveexec_b64 s[82:83], vcc
	s_xor_b64 s[82:83], exec, s[82:83]
	s_cbranch_execnz .LBB709_260
; %bb.194:                              ;   in Loop: Header=BB709_96 Depth=2
	s_or_b64 exec, exec, s[82:83]
	v_cmp_lt_u32_e32 vcc, v154, v174
	s_and_saveexec_b64 s[82:83], vcc
	s_cbranch_execnz .LBB709_261
.LBB709_195:                            ;   in Loop: Header=BB709_96 Depth=2
	s_or_b64 exec, exec, s[82:83]
	v_cmp_lt_u32_e32 vcc, v155, v174
	s_and_saveexec_b64 s[82:83], vcc
	s_cbranch_execnz .LBB709_262
.LBB709_196:                            ;   in Loop: Header=BB709_96 Depth=2
	s_or_b64 exec, exec, s[82:83]
	v_cmp_lt_u32_e32 vcc, v156, v174
	s_and_saveexec_b64 s[82:83], vcc
	s_cbranch_execnz .LBB709_263
.LBB709_197:                            ;   in Loop: Header=BB709_96 Depth=2
	s_or_b64 exec, exec, s[82:83]
	v_cmp_lt_u32_e32 vcc, v157, v174
	s_and_saveexec_b64 s[82:83], vcc
	s_cbranch_execnz .LBB709_264
.LBB709_198:                            ;   in Loop: Header=BB709_96 Depth=2
	s_or_b64 exec, exec, s[82:83]
	v_cmp_lt_u32_e32 vcc, v158, v174
	s_and_saveexec_b64 s[82:83], vcc
	s_cbranch_execnz .LBB709_265
.LBB709_199:                            ;   in Loop: Header=BB709_96 Depth=2
	s_or_b64 exec, exec, s[82:83]
	v_cmp_lt_u32_e32 vcc, v159, v174
	s_and_saveexec_b64 s[82:83], vcc
	s_cbranch_execnz .LBB709_266
.LBB709_200:                            ;   in Loop: Header=BB709_96 Depth=2
	s_or_b64 exec, exec, s[82:83]
	v_cmp_lt_u32_e32 vcc, v160, v174
	s_and_saveexec_b64 s[82:83], vcc
	s_cbranch_execnz .LBB709_267
.LBB709_201:                            ;   in Loop: Header=BB709_96 Depth=2
	s_or_b64 exec, exec, s[82:83]
	v_cmp_lt_u32_e32 vcc, v161, v174
	s_and_saveexec_b64 s[82:83], vcc
	s_cbranch_execnz .LBB709_268
.LBB709_202:                            ;   in Loop: Header=BB709_96 Depth=2
	s_or_b64 exec, exec, s[82:83]
	v_cmp_lt_u32_e32 vcc, v162, v174
	s_and_saveexec_b64 s[82:83], vcc
	s_cbranch_execnz .LBB709_269
.LBB709_203:                            ;   in Loop: Header=BB709_96 Depth=2
	s_or_b64 exec, exec, s[82:83]
	v_cmp_lt_u32_e32 vcc, v163, v174
	s_and_saveexec_b64 s[82:83], vcc
	s_cbranch_execnz .LBB709_270
.LBB709_204:                            ;   in Loop: Header=BB709_96 Depth=2
	s_or_b64 exec, exec, s[82:83]
	v_cmp_lt_u32_e32 vcc, v164, v174
	s_and_saveexec_b64 s[82:83], vcc
	s_cbranch_execnz .LBB709_271
.LBB709_205:                            ;   in Loop: Header=BB709_96 Depth=2
	s_or_b64 exec, exec, s[82:83]
	v_cmp_lt_u32_e32 vcc, v165, v174
	s_and_saveexec_b64 s[82:83], vcc
	s_cbranch_execnz .LBB709_272
.LBB709_206:                            ;   in Loop: Header=BB709_96 Depth=2
	s_or_b64 exec, exec, s[82:83]
	v_cmp_lt_u32_e32 vcc, v166, v174
	s_and_saveexec_b64 s[82:83], vcc
	s_cbranch_execnz .LBB709_273
.LBB709_207:                            ;   in Loop: Header=BB709_96 Depth=2
	s_or_b64 exec, exec, s[82:83]
	v_cmp_lt_u32_e32 vcc, v167, v174
	s_and_saveexec_b64 s[82:83], vcc
	s_cbranch_execnz .LBB709_274
.LBB709_208:                            ;   in Loop: Header=BB709_96 Depth=2
	s_or_b64 exec, exec, s[82:83]
	v_cmp_lt_u32_e32 vcc, v168, v174
	s_and_saveexec_b64 s[82:83], vcc
	s_cbranch_execnz .LBB709_275
.LBB709_209:                            ;   in Loop: Header=BB709_96 Depth=2
	s_or_b64 exec, exec, s[82:83]
	s_and_saveexec_b64 s[82:83], s[42:43]
	s_cbranch_execnz .LBB709_276
.LBB709_210:                            ;   in Loop: Header=BB709_96 Depth=2
	s_or_b64 exec, exec, s[82:83]
	s_and_saveexec_b64 s[82:83], s[44:45]
	s_cbranch_execnz .LBB709_277
.LBB709_211:                            ;   in Loop: Header=BB709_96 Depth=2
	s_or_b64 exec, exec, s[82:83]
	s_and_saveexec_b64 s[82:83], s[46:47]
	s_cbranch_execnz .LBB709_278
.LBB709_212:                            ;   in Loop: Header=BB709_96 Depth=2
	s_or_b64 exec, exec, s[82:83]
	s_and_saveexec_b64 s[82:83], s[48:49]
	s_cbranch_execnz .LBB709_279
.LBB709_213:                            ;   in Loop: Header=BB709_96 Depth=2
	s_or_b64 exec, exec, s[82:83]
	s_and_saveexec_b64 s[82:83], s[50:51]
	s_cbranch_execnz .LBB709_280
.LBB709_214:                            ;   in Loop: Header=BB709_96 Depth=2
	s_or_b64 exec, exec, s[82:83]
	s_and_saveexec_b64 s[82:83], s[52:53]
	s_cbranch_execnz .LBB709_281
.LBB709_215:                            ;   in Loop: Header=BB709_96 Depth=2
	s_or_b64 exec, exec, s[82:83]
	s_and_saveexec_b64 s[82:83], s[54:55]
	s_cbranch_execnz .LBB709_282
.LBB709_216:                            ;   in Loop: Header=BB709_96 Depth=2
	s_or_b64 exec, exec, s[82:83]
	s_and_saveexec_b64 s[82:83], s[56:57]
	s_cbranch_execnz .LBB709_283
.LBB709_217:                            ;   in Loop: Header=BB709_96 Depth=2
	s_or_b64 exec, exec, s[82:83]
	s_and_saveexec_b64 s[82:83], s[58:59]
	s_cbranch_execnz .LBB709_284
.LBB709_218:                            ;   in Loop: Header=BB709_96 Depth=2
	s_or_b64 exec, exec, s[82:83]
	s_and_saveexec_b64 s[82:83], s[60:61]
	s_cbranch_execnz .LBB709_285
.LBB709_219:                            ;   in Loop: Header=BB709_96 Depth=2
	s_or_b64 exec, exec, s[82:83]
	s_and_saveexec_b64 s[82:83], s[62:63]
	s_cbranch_execnz .LBB709_286
.LBB709_220:                            ;   in Loop: Header=BB709_96 Depth=2
	s_or_b64 exec, exec, s[82:83]
	s_and_saveexec_b64 s[82:83], s[64:65]
	s_cbranch_execnz .LBB709_287
.LBB709_221:                            ;   in Loop: Header=BB709_96 Depth=2
	s_or_b64 exec, exec, s[82:83]
	s_and_saveexec_b64 s[82:83], s[66:67]
	s_cbranch_execnz .LBB709_288
.LBB709_222:                            ;   in Loop: Header=BB709_96 Depth=2
	s_or_b64 exec, exec, s[82:83]
	s_and_saveexec_b64 s[82:83], s[68:69]
	s_cbranch_execnz .LBB709_289
.LBB709_223:                            ;   in Loop: Header=BB709_96 Depth=2
	s_or_b64 exec, exec, s[82:83]
	s_and_saveexec_b64 s[82:83], s[70:71]
	s_cbranch_execnz .LBB709_290
.LBB709_224:                            ;   in Loop: Header=BB709_96 Depth=2
	s_or_b64 exec, exec, s[82:83]
	s_and_saveexec_b64 s[82:83], s[72:73]
	s_cbranch_execz .LBB709_226
.LBB709_225:                            ;   in Loop: Header=BB709_96 Depth=2
	ds_read_b64 v[37:38], v104 offset:31232
	s_waitcnt lgkmcnt(0)
	v_lshrrev_b64 v[37:38], s88, v[37:38]
	v_and_b32_e32 v135, s99, v37
.LBB709_226:                            ;   in Loop: Header=BB709_96 Depth=2
	s_or_b64 exec, exec, s[82:83]
	s_waitcnt vmcnt(0)
	s_barrier
	ds_write_b64 v69, v[35:36] offset:512
	ds_write_b64 v39, v[33:34] offset:512
	;; [unrolled: 1-line block ×16, first 2 shown]
	s_waitcnt lgkmcnt(0)
	s_barrier
	s_and_saveexec_b64 s[82:83], s[42:43]
	s_cbranch_execnz .LBB709_291
; %bb.227:                              ;   in Loop: Header=BB709_96 Depth=2
	s_or_b64 exec, exec, s[82:83]
	s_and_saveexec_b64 s[42:43], s[44:45]
	s_cbranch_execnz .LBB709_292
.LBB709_228:                            ;   in Loop: Header=BB709_96 Depth=2
	s_or_b64 exec, exec, s[42:43]
	s_and_saveexec_b64 s[42:43], s[46:47]
	s_cbranch_execnz .LBB709_293
.LBB709_229:                            ;   in Loop: Header=BB709_96 Depth=2
	s_or_b64 exec, exec, s[42:43]
	s_and_saveexec_b64 s[42:43], s[48:49]
	s_cbranch_execnz .LBB709_294
.LBB709_230:                            ;   in Loop: Header=BB709_96 Depth=2
	s_or_b64 exec, exec, s[42:43]
	s_and_saveexec_b64 s[42:43], s[50:51]
	s_cbranch_execnz .LBB709_295
.LBB709_231:                            ;   in Loop: Header=BB709_96 Depth=2
	s_or_b64 exec, exec, s[42:43]
	s_and_saveexec_b64 s[42:43], s[52:53]
	s_cbranch_execnz .LBB709_296
.LBB709_232:                            ;   in Loop: Header=BB709_96 Depth=2
	s_or_b64 exec, exec, s[42:43]
	s_and_saveexec_b64 s[42:43], s[54:55]
	s_cbranch_execnz .LBB709_297
.LBB709_233:                            ;   in Loop: Header=BB709_96 Depth=2
	s_or_b64 exec, exec, s[42:43]
	s_and_saveexec_b64 s[42:43], s[56:57]
	s_cbranch_execnz .LBB709_298
.LBB709_234:                            ;   in Loop: Header=BB709_96 Depth=2
	s_or_b64 exec, exec, s[42:43]
	s_and_saveexec_b64 s[42:43], s[58:59]
	s_cbranch_execnz .LBB709_299
.LBB709_235:                            ;   in Loop: Header=BB709_96 Depth=2
	s_or_b64 exec, exec, s[42:43]
	s_and_saveexec_b64 s[42:43], s[60:61]
	s_cbranch_execnz .LBB709_300
.LBB709_236:                            ;   in Loop: Header=BB709_96 Depth=2
	s_or_b64 exec, exec, s[42:43]
	s_and_saveexec_b64 s[42:43], s[62:63]
	s_cbranch_execnz .LBB709_301
.LBB709_237:                            ;   in Loop: Header=BB709_96 Depth=2
	s_or_b64 exec, exec, s[42:43]
	s_and_saveexec_b64 s[42:43], s[64:65]
	s_cbranch_execnz .LBB709_302
.LBB709_238:                            ;   in Loop: Header=BB709_96 Depth=2
	s_or_b64 exec, exec, s[42:43]
	s_and_saveexec_b64 s[42:43], s[66:67]
	s_cbranch_execnz .LBB709_303
.LBB709_239:                            ;   in Loop: Header=BB709_96 Depth=2
	s_or_b64 exec, exec, s[42:43]
	s_and_saveexec_b64 s[42:43], s[68:69]
	s_cbranch_execnz .LBB709_304
.LBB709_240:                            ;   in Loop: Header=BB709_96 Depth=2
	s_or_b64 exec, exec, s[42:43]
	s_and_saveexec_b64 s[42:43], s[70:71]
	s_cbranch_execnz .LBB709_305
.LBB709_241:                            ;   in Loop: Header=BB709_96 Depth=2
	s_or_b64 exec, exec, s[42:43]
	s_and_saveexec_b64 s[42:43], s[72:73]
	s_cbranch_execz .LBB709_243
.LBB709_242:                            ;   in Loop: Header=BB709_96 Depth=2
	v_lshlrev_b32_e32 v37, 2, v135
	ds_read_b32 v39, v37
	ds_read_b64 v[37:38], v104 offset:31232
	v_mov_b32_e32 v40, v3
	v_mov_b32_e32 v41, s85
	s_waitcnt lgkmcnt(1)
	v_add_u32_e32 v39, v39, v88
	v_lshlrev_b64 v[39:40], 3, v[39:40]
	v_add_co_u32_e32 v39, vcc, s84, v39
	v_addc_co_u32_e32 v40, vcc, v41, v40, vcc
	s_waitcnt lgkmcnt(0)
	global_store_dwordx2 v[39:40], v[37:38], off
.LBB709_243:                            ;   in Loop: Header=BB709_96 Depth=2
	s_or_b64 exec, exec, s[42:43]
	s_waitcnt vmcnt(0)
	s_barrier
	s_and_saveexec_b64 s[42:43], s[4:5]
	s_cbranch_execz .LBB709_95
; %bb.244:                              ;   in Loop: Header=BB709_96 Depth=2
	ds_read_b32 v37, v71
	s_waitcnt lgkmcnt(0)
	v_add3_u32 v37, v172, v173, v37
	ds_write_b32 v71, v37
	s_branch .LBB709_95
.LBB709_245:                            ;   in Loop: Header=BB709_96 Depth=2
	ds_read_b64 v[37:38], v104 offset:512
	v_mov_b32_e32 v48, s79
	s_waitcnt lgkmcnt(0)
	v_lshrrev_b64 v[58:59], s88, v[37:38]
	v_mov_b32_e32 v59, v3
	v_and_b32_e32 v44, s99, v58
	v_lshlrev_b32_e32 v44, 2, v44
	ds_read_b32 v44, v44
	v_xor_b32_e32 v38, 0x7fffffff, v38
	v_not_b32_e32 v37, v37
	s_waitcnt lgkmcnt(0)
	v_add_u32_e32 v58, v44, v0
	v_lshlrev_b64 v[58:59], 3, v[58:59]
	v_add_co_u32_e32 v58, vcc, s78, v58
	v_addc_co_u32_e32 v59, vcc, v48, v59, vcc
	global_store_dwordx2 v[58:59], v[37:38], off
	s_or_b64 exec, exec, s[44:45]
	v_cmp_lt_u32_e64 s[44:45], v72, v174
	s_and_saveexec_b64 s[46:47], s[44:45]
	s_cbranch_execz .LBB709_178
.LBB709_246:                            ;   in Loop: Header=BB709_96 Depth=2
	ds_read_b64 v[37:38], v104 offset:2560
	v_mov_b32_e32 v48, s79
	s_waitcnt lgkmcnt(0)
	v_lshrrev_b64 v[58:59], s88, v[37:38]
	v_mov_b32_e32 v59, v3
	v_and_b32_e32 v44, s99, v58
	v_lshlrev_b32_e32 v44, 2, v44
	ds_read_b32 v44, v44
	v_xor_b32_e32 v38, 0x7fffffff, v38
	v_not_b32_e32 v37, v37
	s_waitcnt lgkmcnt(0)
	v_add_u32_e32 v58, v44, v72
	v_lshlrev_b64 v[58:59], 3, v[58:59]
	v_add_co_u32_e32 v58, vcc, s78, v58
	v_addc_co_u32_e32 v59, vcc, v48, v59, vcc
	global_store_dwordx2 v[58:59], v[37:38], off
	s_or_b64 exec, exec, s[46:47]
	v_cmp_lt_u32_e64 s[46:47], v75, v174
	s_and_saveexec_b64 s[48:49], s[46:47]
	s_cbranch_execz .LBB709_179
.LBB709_247:                            ;   in Loop: Header=BB709_96 Depth=2
	ds_read_b64 v[37:38], v104 offset:4608
	v_mov_b32_e32 v48, s79
	s_waitcnt lgkmcnt(0)
	v_lshrrev_b64 v[58:59], s88, v[37:38]
	v_mov_b32_e32 v59, v3
	v_and_b32_e32 v44, s99, v58
	v_lshlrev_b32_e32 v44, 2, v44
	ds_read_b32 v44, v44
	v_xor_b32_e32 v38, 0x7fffffff, v38
	v_not_b32_e32 v37, v37
	s_waitcnt lgkmcnt(0)
	v_add_u32_e32 v58, v44, v75
	v_lshlrev_b64 v[58:59], 3, v[58:59]
	v_add_co_u32_e32 v58, vcc, s78, v58
	v_addc_co_u32_e32 v59, vcc, v48, v59, vcc
	global_store_dwordx2 v[58:59], v[37:38], off
	s_or_b64 exec, exec, s[48:49]
	v_cmp_lt_u32_e64 s[48:49], v76, v174
	s_and_saveexec_b64 s[50:51], s[48:49]
	s_cbranch_execz .LBB709_180
.LBB709_248:                            ;   in Loop: Header=BB709_96 Depth=2
	ds_read_b64 v[37:38], v104 offset:6656
	v_mov_b32_e32 v48, s79
	s_waitcnt lgkmcnt(0)
	v_lshrrev_b64 v[58:59], s88, v[37:38]
	v_mov_b32_e32 v59, v3
	v_and_b32_e32 v44, s99, v58
	v_lshlrev_b32_e32 v44, 2, v44
	ds_read_b32 v44, v44
	v_xor_b32_e32 v38, 0x7fffffff, v38
	v_not_b32_e32 v37, v37
	s_waitcnt lgkmcnt(0)
	v_add_u32_e32 v58, v44, v76
	v_lshlrev_b64 v[58:59], 3, v[58:59]
	v_add_co_u32_e32 v58, vcc, s78, v58
	v_addc_co_u32_e32 v59, vcc, v48, v59, vcc
	global_store_dwordx2 v[58:59], v[37:38], off
	s_or_b64 exec, exec, s[50:51]
	v_cmp_lt_u32_e64 s[50:51], v77, v174
	s_and_saveexec_b64 s[52:53], s[50:51]
	s_cbranch_execz .LBB709_181
.LBB709_249:                            ;   in Loop: Header=BB709_96 Depth=2
	ds_read_b64 v[37:38], v104 offset:8704
	v_mov_b32_e32 v48, s79
	s_waitcnt lgkmcnt(0)
	v_lshrrev_b64 v[58:59], s88, v[37:38]
	v_mov_b32_e32 v59, v3
	v_and_b32_e32 v44, s99, v58
	v_lshlrev_b32_e32 v44, 2, v44
	ds_read_b32 v44, v44
	v_xor_b32_e32 v38, 0x7fffffff, v38
	v_not_b32_e32 v37, v37
	s_waitcnt lgkmcnt(0)
	v_add_u32_e32 v58, v44, v77
	v_lshlrev_b64 v[58:59], 3, v[58:59]
	v_add_co_u32_e32 v58, vcc, s78, v58
	v_addc_co_u32_e32 v59, vcc, v48, v59, vcc
	global_store_dwordx2 v[58:59], v[37:38], off
	s_or_b64 exec, exec, s[52:53]
	v_cmp_lt_u32_e64 s[52:53], v78, v174
	s_and_saveexec_b64 s[54:55], s[52:53]
	s_cbranch_execz .LBB709_182
.LBB709_250:                            ;   in Loop: Header=BB709_96 Depth=2
	ds_read_b64 v[37:38], v104 offset:10752
	v_mov_b32_e32 v48, s79
	s_waitcnt lgkmcnt(0)
	v_lshrrev_b64 v[58:59], s88, v[37:38]
	v_mov_b32_e32 v59, v3
	v_and_b32_e32 v44, s99, v58
	v_lshlrev_b32_e32 v44, 2, v44
	ds_read_b32 v44, v44
	v_xor_b32_e32 v38, 0x7fffffff, v38
	v_not_b32_e32 v37, v37
	s_waitcnt lgkmcnt(0)
	v_add_u32_e32 v58, v44, v78
	v_lshlrev_b64 v[58:59], 3, v[58:59]
	v_add_co_u32_e32 v58, vcc, s78, v58
	v_addc_co_u32_e32 v59, vcc, v48, v59, vcc
	global_store_dwordx2 v[58:59], v[37:38], off
	s_or_b64 exec, exec, s[54:55]
	v_cmp_lt_u32_e64 s[54:55], v79, v174
	s_and_saveexec_b64 s[56:57], s[54:55]
	s_cbranch_execz .LBB709_183
.LBB709_251:                            ;   in Loop: Header=BB709_96 Depth=2
	ds_read_b64 v[37:38], v104 offset:12800
	v_mov_b32_e32 v48, s79
	s_waitcnt lgkmcnt(0)
	v_lshrrev_b64 v[58:59], s88, v[37:38]
	v_mov_b32_e32 v59, v3
	v_and_b32_e32 v44, s99, v58
	v_lshlrev_b32_e32 v44, 2, v44
	ds_read_b32 v44, v44
	v_xor_b32_e32 v38, 0x7fffffff, v38
	v_not_b32_e32 v37, v37
	s_waitcnt lgkmcnt(0)
	v_add_u32_e32 v58, v44, v79
	v_lshlrev_b64 v[58:59], 3, v[58:59]
	v_add_co_u32_e32 v58, vcc, s78, v58
	v_addc_co_u32_e32 v59, vcc, v48, v59, vcc
	global_store_dwordx2 v[58:59], v[37:38], off
	s_or_b64 exec, exec, s[56:57]
	v_cmp_lt_u32_e64 s[56:57], v80, v174
	s_and_saveexec_b64 s[58:59], s[56:57]
	s_cbranch_execz .LBB709_184
.LBB709_252:                            ;   in Loop: Header=BB709_96 Depth=2
	ds_read_b64 v[37:38], v104 offset:14848
	v_mov_b32_e32 v48, s79
	s_waitcnt lgkmcnt(0)
	v_lshrrev_b64 v[58:59], s88, v[37:38]
	v_mov_b32_e32 v59, v3
	v_and_b32_e32 v44, s99, v58
	v_lshlrev_b32_e32 v44, 2, v44
	ds_read_b32 v44, v44
	v_xor_b32_e32 v38, 0x7fffffff, v38
	v_not_b32_e32 v37, v37
	s_waitcnt lgkmcnt(0)
	v_add_u32_e32 v58, v44, v80
	v_lshlrev_b64 v[58:59], 3, v[58:59]
	v_add_co_u32_e32 v58, vcc, s78, v58
	v_addc_co_u32_e32 v59, vcc, v48, v59, vcc
	global_store_dwordx2 v[58:59], v[37:38], off
	s_or_b64 exec, exec, s[58:59]
	v_cmp_lt_u32_e64 s[58:59], v81, v174
	s_and_saveexec_b64 s[60:61], s[58:59]
	s_cbranch_execz .LBB709_185
.LBB709_253:                            ;   in Loop: Header=BB709_96 Depth=2
	ds_read_b64 v[37:38], v104 offset:16896
	v_mov_b32_e32 v48, s79
	s_waitcnt lgkmcnt(0)
	v_lshrrev_b64 v[58:59], s88, v[37:38]
	v_mov_b32_e32 v59, v3
	v_and_b32_e32 v44, s99, v58
	v_lshlrev_b32_e32 v44, 2, v44
	ds_read_b32 v44, v44
	v_xor_b32_e32 v38, 0x7fffffff, v38
	v_not_b32_e32 v37, v37
	s_waitcnt lgkmcnt(0)
	v_add_u32_e32 v58, v44, v81
	v_lshlrev_b64 v[58:59], 3, v[58:59]
	v_add_co_u32_e32 v58, vcc, s78, v58
	v_addc_co_u32_e32 v59, vcc, v48, v59, vcc
	global_store_dwordx2 v[58:59], v[37:38], off
	s_or_b64 exec, exec, s[60:61]
	v_cmp_lt_u32_e64 s[60:61], v82, v174
	s_and_saveexec_b64 s[62:63], s[60:61]
	s_cbranch_execz .LBB709_186
.LBB709_254:                            ;   in Loop: Header=BB709_96 Depth=2
	ds_read_b64 v[37:38], v104 offset:18944
	v_mov_b32_e32 v48, s79
	s_waitcnt lgkmcnt(0)
	v_lshrrev_b64 v[58:59], s88, v[37:38]
	v_mov_b32_e32 v59, v3
	v_and_b32_e32 v44, s99, v58
	v_lshlrev_b32_e32 v44, 2, v44
	ds_read_b32 v44, v44
	v_xor_b32_e32 v38, 0x7fffffff, v38
	v_not_b32_e32 v37, v37
	s_waitcnt lgkmcnt(0)
	v_add_u32_e32 v58, v44, v82
	v_lshlrev_b64 v[58:59], 3, v[58:59]
	v_add_co_u32_e32 v58, vcc, s78, v58
	v_addc_co_u32_e32 v59, vcc, v48, v59, vcc
	global_store_dwordx2 v[58:59], v[37:38], off
	s_or_b64 exec, exec, s[62:63]
	v_cmp_lt_u32_e64 s[62:63], v83, v174
	s_and_saveexec_b64 s[64:65], s[62:63]
	s_cbranch_execz .LBB709_187
.LBB709_255:                            ;   in Loop: Header=BB709_96 Depth=2
	ds_read_b64 v[37:38], v104 offset:20992
	v_mov_b32_e32 v48, s79
	s_waitcnt lgkmcnt(0)
	v_lshrrev_b64 v[58:59], s88, v[37:38]
	v_mov_b32_e32 v59, v3
	v_and_b32_e32 v44, s99, v58
	v_lshlrev_b32_e32 v44, 2, v44
	ds_read_b32 v44, v44
	v_xor_b32_e32 v38, 0x7fffffff, v38
	v_not_b32_e32 v37, v37
	s_waitcnt lgkmcnt(0)
	v_add_u32_e32 v58, v44, v83
	v_lshlrev_b64 v[58:59], 3, v[58:59]
	v_add_co_u32_e32 v58, vcc, s78, v58
	v_addc_co_u32_e32 v59, vcc, v48, v59, vcc
	global_store_dwordx2 v[58:59], v[37:38], off
	s_or_b64 exec, exec, s[64:65]
	v_cmp_lt_u32_e64 s[64:65], v84, v174
	s_and_saveexec_b64 s[66:67], s[64:65]
	s_cbranch_execz .LBB709_188
.LBB709_256:                            ;   in Loop: Header=BB709_96 Depth=2
	ds_read_b64 v[37:38], v104 offset:23040
	v_mov_b32_e32 v48, s79
	s_waitcnt lgkmcnt(0)
	v_lshrrev_b64 v[58:59], s88, v[37:38]
	v_mov_b32_e32 v59, v3
	v_and_b32_e32 v44, s99, v58
	v_lshlrev_b32_e32 v44, 2, v44
	ds_read_b32 v44, v44
	v_xor_b32_e32 v38, 0x7fffffff, v38
	v_not_b32_e32 v37, v37
	s_waitcnt lgkmcnt(0)
	v_add_u32_e32 v58, v44, v84
	v_lshlrev_b64 v[58:59], 3, v[58:59]
	v_add_co_u32_e32 v58, vcc, s78, v58
	v_addc_co_u32_e32 v59, vcc, v48, v59, vcc
	global_store_dwordx2 v[58:59], v[37:38], off
	s_or_b64 exec, exec, s[66:67]
	v_cmp_lt_u32_e64 s[66:67], v85, v174
	s_and_saveexec_b64 s[68:69], s[66:67]
	s_cbranch_execz .LBB709_189
.LBB709_257:                            ;   in Loop: Header=BB709_96 Depth=2
	ds_read_b64 v[37:38], v104 offset:25088
	v_mov_b32_e32 v48, s79
	s_waitcnt lgkmcnt(0)
	v_lshrrev_b64 v[58:59], s88, v[37:38]
	v_mov_b32_e32 v59, v3
	v_and_b32_e32 v44, s99, v58
	v_lshlrev_b32_e32 v44, 2, v44
	ds_read_b32 v44, v44
	v_xor_b32_e32 v38, 0x7fffffff, v38
	v_not_b32_e32 v37, v37
	s_waitcnt lgkmcnt(0)
	v_add_u32_e32 v58, v44, v85
	v_lshlrev_b64 v[58:59], 3, v[58:59]
	v_add_co_u32_e32 v58, vcc, s78, v58
	v_addc_co_u32_e32 v59, vcc, v48, v59, vcc
	global_store_dwordx2 v[58:59], v[37:38], off
	s_or_b64 exec, exec, s[68:69]
	v_cmp_lt_u32_e64 s[68:69], v86, v174
	s_and_saveexec_b64 s[70:71], s[68:69]
	s_cbranch_execz .LBB709_190
.LBB709_258:                            ;   in Loop: Header=BB709_96 Depth=2
	ds_read_b64 v[37:38], v104 offset:27136
	v_mov_b32_e32 v48, s79
	s_waitcnt lgkmcnt(0)
	v_lshrrev_b64 v[58:59], s88, v[37:38]
	v_mov_b32_e32 v59, v3
	v_and_b32_e32 v44, s99, v58
	v_lshlrev_b32_e32 v44, 2, v44
	ds_read_b32 v44, v44
	v_xor_b32_e32 v38, 0x7fffffff, v38
	v_not_b32_e32 v37, v37
	s_waitcnt lgkmcnt(0)
	v_add_u32_e32 v58, v44, v86
	v_lshlrev_b64 v[58:59], 3, v[58:59]
	v_add_co_u32_e32 v58, vcc, s78, v58
	v_addc_co_u32_e32 v59, vcc, v48, v59, vcc
	global_store_dwordx2 v[58:59], v[37:38], off
	s_or_b64 exec, exec, s[70:71]
	v_cmp_lt_u32_e64 s[70:71], v87, v174
	s_and_saveexec_b64 s[72:73], s[70:71]
	s_cbranch_execz .LBB709_191
.LBB709_259:                            ;   in Loop: Header=BB709_96 Depth=2
	ds_read_b64 v[37:38], v104 offset:29184
	v_mov_b32_e32 v48, s79
	s_waitcnt lgkmcnt(0)
	v_lshrrev_b64 v[58:59], s88, v[37:38]
	v_mov_b32_e32 v59, v3
	v_and_b32_e32 v44, s99, v58
	v_lshlrev_b32_e32 v44, 2, v44
	ds_read_b32 v44, v44
	v_xor_b32_e32 v38, 0x7fffffff, v38
	v_not_b32_e32 v37, v37
	s_waitcnt lgkmcnt(0)
	v_add_u32_e32 v58, v44, v87
	v_lshlrev_b64 v[58:59], 3, v[58:59]
	v_add_co_u32_e32 v58, vcc, s78, v58
	v_addc_co_u32_e32 v59, vcc, v48, v59, vcc
	global_store_dwordx2 v[58:59], v[37:38], off
	s_or_b64 exec, exec, s[72:73]
	v_cmp_lt_u32_e64 s[72:73], v88, v174
	s_and_saveexec_b64 s[82:83], s[72:73]
	s_cbranch_execnz .LBB709_192
	s_branch .LBB709_193
.LBB709_260:                            ;   in Loop: Header=BB709_96 Depth=2
	global_load_dwordx2 v[35:36], v[37:38], off
	s_or_b64 exec, exec, s[82:83]
	v_cmp_lt_u32_e32 vcc, v154, v174
	s_and_saveexec_b64 s[82:83], vcc
	s_cbranch_execz .LBB709_195
.LBB709_261:                            ;   in Loop: Header=BB709_96 Depth=2
	global_load_dwordx2 v[33:34], v[37:38], off offset:512
	s_or_b64 exec, exec, s[82:83]
	v_cmp_lt_u32_e32 vcc, v155, v174
	s_and_saveexec_b64 s[82:83], vcc
	s_cbranch_execz .LBB709_196
.LBB709_262:                            ;   in Loop: Header=BB709_96 Depth=2
	global_load_dwordx2 v[31:32], v[37:38], off offset:1024
	s_or_b64 exec, exec, s[82:83]
	v_cmp_lt_u32_e32 vcc, v156, v174
	s_and_saveexec_b64 s[82:83], vcc
	s_cbranch_execz .LBB709_197
.LBB709_263:                            ;   in Loop: Header=BB709_96 Depth=2
	global_load_dwordx2 v[27:28], v[37:38], off offset:1536
	s_or_b64 exec, exec, s[82:83]
	v_cmp_lt_u32_e32 vcc, v157, v174
	s_and_saveexec_b64 s[82:83], vcc
	s_cbranch_execz .LBB709_198
.LBB709_264:                            ;   in Loop: Header=BB709_96 Depth=2
	global_load_dwordx2 v[23:24], v[37:38], off offset:2048
	s_or_b64 exec, exec, s[82:83]
	v_cmp_lt_u32_e32 vcc, v158, v174
	s_and_saveexec_b64 s[82:83], vcc
	s_cbranch_execz .LBB709_199
.LBB709_265:                            ;   in Loop: Header=BB709_96 Depth=2
	global_load_dwordx2 v[19:20], v[37:38], off offset:2560
	s_or_b64 exec, exec, s[82:83]
	v_cmp_lt_u32_e32 vcc, v159, v174
	s_and_saveexec_b64 s[82:83], vcc
	s_cbranch_execz .LBB709_200
.LBB709_266:                            ;   in Loop: Header=BB709_96 Depth=2
	global_load_dwordx2 v[15:16], v[37:38], off offset:3072
	s_or_b64 exec, exec, s[82:83]
	v_cmp_lt_u32_e32 vcc, v160, v174
	s_and_saveexec_b64 s[82:83], vcc
	s_cbranch_execz .LBB709_201
.LBB709_267:                            ;   in Loop: Header=BB709_96 Depth=2
	global_load_dwordx2 v[11:12], v[37:38], off offset:3584
	s_or_b64 exec, exec, s[82:83]
	v_cmp_lt_u32_e32 vcc, v161, v174
	s_and_saveexec_b64 s[82:83], vcc
	s_cbranch_execz .LBB709_202
.LBB709_268:                            ;   in Loop: Header=BB709_96 Depth=2
	v_add_co_u32_e32 v29, vcc, 0x1000, v37
	v_addc_co_u32_e32 v30, vcc, 0, v38, vcc
	global_load_dwordx2 v[29:30], v[29:30], off
	s_or_b64 exec, exec, s[82:83]
	v_cmp_lt_u32_e32 vcc, v162, v174
	s_and_saveexec_b64 s[82:83], vcc
	s_cbranch_execz .LBB709_203
.LBB709_269:                            ;   in Loop: Header=BB709_96 Depth=2
	v_add_co_u32_e32 v25, vcc, 0x1000, v37
	v_addc_co_u32_e32 v26, vcc, 0, v38, vcc
	global_load_dwordx2 v[25:26], v[25:26], off offset:512
	s_or_b64 exec, exec, s[82:83]
	v_cmp_lt_u32_e32 vcc, v163, v174
	s_and_saveexec_b64 s[82:83], vcc
	s_cbranch_execz .LBB709_204
.LBB709_270:                            ;   in Loop: Header=BB709_96 Depth=2
	v_add_co_u32_e32 v21, vcc, 0x1000, v37
	v_addc_co_u32_e32 v22, vcc, 0, v38, vcc
	global_load_dwordx2 v[21:22], v[21:22], off offset:1024
	s_or_b64 exec, exec, s[82:83]
	v_cmp_lt_u32_e32 vcc, v164, v174
	s_and_saveexec_b64 s[82:83], vcc
	s_cbranch_execz .LBB709_205
.LBB709_271:                            ;   in Loop: Header=BB709_96 Depth=2
	v_add_co_u32_e32 v17, vcc, 0x1000, v37
	v_addc_co_u32_e32 v18, vcc, 0, v38, vcc
	global_load_dwordx2 v[17:18], v[17:18], off offset:1536
	s_or_b64 exec, exec, s[82:83]
	v_cmp_lt_u32_e32 vcc, v165, v174
	s_and_saveexec_b64 s[82:83], vcc
	s_cbranch_execz .LBB709_206
.LBB709_272:                            ;   in Loop: Header=BB709_96 Depth=2
	v_add_co_u32_e32 v13, vcc, 0x1000, v37
	v_addc_co_u32_e32 v14, vcc, 0, v38, vcc
	global_load_dwordx2 v[13:14], v[13:14], off offset:2048
	s_or_b64 exec, exec, s[82:83]
	v_cmp_lt_u32_e32 vcc, v166, v174
	s_and_saveexec_b64 s[82:83], vcc
	s_cbranch_execz .LBB709_207
.LBB709_273:                            ;   in Loop: Header=BB709_96 Depth=2
	v_add_co_u32_e32 v9, vcc, 0x1000, v37
	v_addc_co_u32_e32 v10, vcc, 0, v38, vcc
	global_load_dwordx2 v[9:10], v[9:10], off offset:2560
	s_or_b64 exec, exec, s[82:83]
	v_cmp_lt_u32_e32 vcc, v167, v174
	s_and_saveexec_b64 s[82:83], vcc
	s_cbranch_execz .LBB709_208
.LBB709_274:                            ;   in Loop: Header=BB709_96 Depth=2
	v_add_co_u32_e32 v7, vcc, 0x1000, v37
	v_addc_co_u32_e32 v8, vcc, 0, v38, vcc
	global_load_dwordx2 v[7:8], v[7:8], off offset:3072
	s_or_b64 exec, exec, s[82:83]
	v_cmp_lt_u32_e32 vcc, v168, v174
	s_and_saveexec_b64 s[82:83], vcc
	s_cbranch_execz .LBB709_209
.LBB709_275:                            ;   in Loop: Header=BB709_96 Depth=2
	v_add_co_u32_e32 v5, vcc, 0x1000, v37
	v_addc_co_u32_e32 v6, vcc, 0, v38, vcc
	global_load_dwordx2 v[5:6], v[5:6], off offset:3584
	s_or_b64 exec, exec, s[82:83]
	s_and_saveexec_b64 s[82:83], s[42:43]
	s_cbranch_execz .LBB709_210
.LBB709_276:                            ;   in Loop: Header=BB709_96 Depth=2
	ds_read_b64 v[37:38], v104 offset:512
	s_waitcnt lgkmcnt(0)
	v_lshrrev_b64 v[37:38], s88, v[37:38]
	v_and_b32_e32 v150, s99, v37
	s_or_b64 exec, exec, s[82:83]
	s_and_saveexec_b64 s[82:83], s[44:45]
	s_cbranch_execz .LBB709_211
.LBB709_277:                            ;   in Loop: Header=BB709_96 Depth=2
	ds_read_b64 v[37:38], v104 offset:2560
	s_waitcnt lgkmcnt(0)
	v_lshrrev_b64 v[37:38], s88, v[37:38]
	v_and_b32_e32 v149, s99, v37
	s_or_b64 exec, exec, s[82:83]
	s_and_saveexec_b64 s[82:83], s[46:47]
	s_cbranch_execz .LBB709_212
.LBB709_278:                            ;   in Loop: Header=BB709_96 Depth=2
	ds_read_b64 v[37:38], v104 offset:4608
	s_waitcnt lgkmcnt(0)
	v_lshrrev_b64 v[37:38], s88, v[37:38]
	v_and_b32_e32 v148, s99, v37
	s_or_b64 exec, exec, s[82:83]
	s_and_saveexec_b64 s[82:83], s[48:49]
	s_cbranch_execz .LBB709_213
.LBB709_279:                            ;   in Loop: Header=BB709_96 Depth=2
	ds_read_b64 v[37:38], v104 offset:6656
	s_waitcnt lgkmcnt(0)
	v_lshrrev_b64 v[37:38], s88, v[37:38]
	v_and_b32_e32 v147, s99, v37
	s_or_b64 exec, exec, s[82:83]
	s_and_saveexec_b64 s[82:83], s[50:51]
	s_cbranch_execz .LBB709_214
.LBB709_280:                            ;   in Loop: Header=BB709_96 Depth=2
	ds_read_b64 v[37:38], v104 offset:8704
	s_waitcnt lgkmcnt(0)
	v_lshrrev_b64 v[37:38], s88, v[37:38]
	v_and_b32_e32 v146, s99, v37
	s_or_b64 exec, exec, s[82:83]
	s_and_saveexec_b64 s[82:83], s[52:53]
	s_cbranch_execz .LBB709_215
.LBB709_281:                            ;   in Loop: Header=BB709_96 Depth=2
	ds_read_b64 v[37:38], v104 offset:10752
	s_waitcnt lgkmcnt(0)
	v_lshrrev_b64 v[37:38], s88, v[37:38]
	v_and_b32_e32 v145, s99, v37
	s_or_b64 exec, exec, s[82:83]
	s_and_saveexec_b64 s[82:83], s[54:55]
	s_cbranch_execz .LBB709_216
.LBB709_282:                            ;   in Loop: Header=BB709_96 Depth=2
	ds_read_b64 v[37:38], v104 offset:12800
	s_waitcnt lgkmcnt(0)
	v_lshrrev_b64 v[37:38], s88, v[37:38]
	v_and_b32_e32 v144, s99, v37
	s_or_b64 exec, exec, s[82:83]
	s_and_saveexec_b64 s[82:83], s[56:57]
	s_cbranch_execz .LBB709_217
.LBB709_283:                            ;   in Loop: Header=BB709_96 Depth=2
	ds_read_b64 v[37:38], v104 offset:14848
	s_waitcnt lgkmcnt(0)
	v_lshrrev_b64 v[37:38], s88, v[37:38]
	v_and_b32_e32 v143, s99, v37
	s_or_b64 exec, exec, s[82:83]
	s_and_saveexec_b64 s[82:83], s[58:59]
	s_cbranch_execz .LBB709_218
.LBB709_284:                            ;   in Loop: Header=BB709_96 Depth=2
	ds_read_b64 v[37:38], v104 offset:16896
	s_waitcnt lgkmcnt(0)
	v_lshrrev_b64 v[37:38], s88, v[37:38]
	v_and_b32_e32 v142, s99, v37
	s_or_b64 exec, exec, s[82:83]
	s_and_saveexec_b64 s[82:83], s[60:61]
	s_cbranch_execz .LBB709_219
.LBB709_285:                            ;   in Loop: Header=BB709_96 Depth=2
	ds_read_b64 v[37:38], v104 offset:18944
	s_waitcnt lgkmcnt(0)
	v_lshrrev_b64 v[37:38], s88, v[37:38]
	v_and_b32_e32 v141, s99, v37
	s_or_b64 exec, exec, s[82:83]
	s_and_saveexec_b64 s[82:83], s[62:63]
	s_cbranch_execz .LBB709_220
.LBB709_286:                            ;   in Loop: Header=BB709_96 Depth=2
	ds_read_b64 v[37:38], v104 offset:20992
	s_waitcnt lgkmcnt(0)
	v_lshrrev_b64 v[37:38], s88, v[37:38]
	v_and_b32_e32 v140, s99, v37
	s_or_b64 exec, exec, s[82:83]
	s_and_saveexec_b64 s[82:83], s[64:65]
	s_cbranch_execz .LBB709_221
.LBB709_287:                            ;   in Loop: Header=BB709_96 Depth=2
	ds_read_b64 v[37:38], v104 offset:23040
	s_waitcnt lgkmcnt(0)
	v_lshrrev_b64 v[37:38], s88, v[37:38]
	v_and_b32_e32 v139, s99, v37
	s_or_b64 exec, exec, s[82:83]
	s_and_saveexec_b64 s[82:83], s[66:67]
	s_cbranch_execz .LBB709_222
.LBB709_288:                            ;   in Loop: Header=BB709_96 Depth=2
	ds_read_b64 v[37:38], v104 offset:25088
	s_waitcnt lgkmcnt(0)
	v_lshrrev_b64 v[37:38], s88, v[37:38]
	v_and_b32_e32 v138, s99, v37
	s_or_b64 exec, exec, s[82:83]
	s_and_saveexec_b64 s[82:83], s[68:69]
	s_cbranch_execz .LBB709_223
.LBB709_289:                            ;   in Loop: Header=BB709_96 Depth=2
	ds_read_b64 v[37:38], v104 offset:27136
	s_waitcnt lgkmcnt(0)
	v_lshrrev_b64 v[37:38], s88, v[37:38]
	v_and_b32_e32 v137, s99, v37
	s_or_b64 exec, exec, s[82:83]
	s_and_saveexec_b64 s[82:83], s[70:71]
	s_cbranch_execz .LBB709_224
.LBB709_290:                            ;   in Loop: Header=BB709_96 Depth=2
	ds_read_b64 v[37:38], v104 offset:29184
	s_waitcnt lgkmcnt(0)
	v_lshrrev_b64 v[37:38], s88, v[37:38]
	v_and_b32_e32 v136, s99, v37
	s_or_b64 exec, exec, s[82:83]
	s_and_saveexec_b64 s[82:83], s[72:73]
	s_cbranch_execnz .LBB709_225
	s_branch .LBB709_226
.LBB709_291:                            ;   in Loop: Header=BB709_96 Depth=2
	v_lshlrev_b32_e32 v37, 2, v150
	ds_read_b32 v39, v37
	ds_read_b64 v[37:38], v104 offset:512
	v_mov_b32_e32 v40, v3
	v_mov_b32_e32 v41, s85
	s_waitcnt lgkmcnt(1)
	v_add_u32_e32 v39, v39, v0
	v_lshlrev_b64 v[39:40], 3, v[39:40]
	v_add_co_u32_e32 v39, vcc, s84, v39
	v_addc_co_u32_e32 v40, vcc, v41, v40, vcc
	s_waitcnt lgkmcnt(0)
	global_store_dwordx2 v[39:40], v[37:38], off
	s_or_b64 exec, exec, s[82:83]
	s_and_saveexec_b64 s[42:43], s[44:45]
	s_cbranch_execz .LBB709_228
.LBB709_292:                            ;   in Loop: Header=BB709_96 Depth=2
	v_lshlrev_b32_e32 v37, 2, v149
	ds_read_b32 v39, v37
	ds_read_b64 v[37:38], v104 offset:2560
	v_mov_b32_e32 v40, v3
	v_mov_b32_e32 v41, s85
	s_waitcnt lgkmcnt(1)
	v_add_u32_e32 v39, v39, v72
	v_lshlrev_b64 v[39:40], 3, v[39:40]
	v_add_co_u32_e32 v39, vcc, s84, v39
	v_addc_co_u32_e32 v40, vcc, v41, v40, vcc
	s_waitcnt lgkmcnt(0)
	global_store_dwordx2 v[39:40], v[37:38], off
	s_or_b64 exec, exec, s[42:43]
	s_and_saveexec_b64 s[42:43], s[46:47]
	s_cbranch_execz .LBB709_229
.LBB709_293:                            ;   in Loop: Header=BB709_96 Depth=2
	v_lshlrev_b32_e32 v37, 2, v148
	ds_read_b32 v39, v37
	ds_read_b64 v[37:38], v104 offset:4608
	v_mov_b32_e32 v40, v3
	v_mov_b32_e32 v41, s85
	s_waitcnt lgkmcnt(1)
	v_add_u32_e32 v39, v39, v75
	v_lshlrev_b64 v[39:40], 3, v[39:40]
	v_add_co_u32_e32 v39, vcc, s84, v39
	v_addc_co_u32_e32 v40, vcc, v41, v40, vcc
	s_waitcnt lgkmcnt(0)
	global_store_dwordx2 v[39:40], v[37:38], off
	s_or_b64 exec, exec, s[42:43]
	s_and_saveexec_b64 s[42:43], s[48:49]
	s_cbranch_execz .LBB709_230
.LBB709_294:                            ;   in Loop: Header=BB709_96 Depth=2
	v_lshlrev_b32_e32 v37, 2, v147
	ds_read_b32 v39, v37
	ds_read_b64 v[37:38], v104 offset:6656
	v_mov_b32_e32 v40, v3
	v_mov_b32_e32 v41, s85
	s_waitcnt lgkmcnt(1)
	v_add_u32_e32 v39, v39, v76
	v_lshlrev_b64 v[39:40], 3, v[39:40]
	v_add_co_u32_e32 v39, vcc, s84, v39
	v_addc_co_u32_e32 v40, vcc, v41, v40, vcc
	s_waitcnt lgkmcnt(0)
	global_store_dwordx2 v[39:40], v[37:38], off
	s_or_b64 exec, exec, s[42:43]
	s_and_saveexec_b64 s[42:43], s[50:51]
	s_cbranch_execz .LBB709_231
.LBB709_295:                            ;   in Loop: Header=BB709_96 Depth=2
	v_lshlrev_b32_e32 v37, 2, v146
	ds_read_b32 v39, v37
	ds_read_b64 v[37:38], v104 offset:8704
	v_mov_b32_e32 v40, v3
	v_mov_b32_e32 v41, s85
	s_waitcnt lgkmcnt(1)
	v_add_u32_e32 v39, v39, v77
	v_lshlrev_b64 v[39:40], 3, v[39:40]
	v_add_co_u32_e32 v39, vcc, s84, v39
	v_addc_co_u32_e32 v40, vcc, v41, v40, vcc
	s_waitcnt lgkmcnt(0)
	global_store_dwordx2 v[39:40], v[37:38], off
	s_or_b64 exec, exec, s[42:43]
	s_and_saveexec_b64 s[42:43], s[52:53]
	s_cbranch_execz .LBB709_232
.LBB709_296:                            ;   in Loop: Header=BB709_96 Depth=2
	v_lshlrev_b32_e32 v37, 2, v145
	ds_read_b32 v39, v37
	ds_read_b64 v[37:38], v104 offset:10752
	v_mov_b32_e32 v40, v3
	v_mov_b32_e32 v41, s85
	s_waitcnt lgkmcnt(1)
	v_add_u32_e32 v39, v39, v78
	v_lshlrev_b64 v[39:40], 3, v[39:40]
	v_add_co_u32_e32 v39, vcc, s84, v39
	v_addc_co_u32_e32 v40, vcc, v41, v40, vcc
	s_waitcnt lgkmcnt(0)
	global_store_dwordx2 v[39:40], v[37:38], off
	s_or_b64 exec, exec, s[42:43]
	s_and_saveexec_b64 s[42:43], s[54:55]
	s_cbranch_execz .LBB709_233
.LBB709_297:                            ;   in Loop: Header=BB709_96 Depth=2
	v_lshlrev_b32_e32 v37, 2, v144
	ds_read_b32 v39, v37
	ds_read_b64 v[37:38], v104 offset:12800
	v_mov_b32_e32 v40, v3
	v_mov_b32_e32 v41, s85
	s_waitcnt lgkmcnt(1)
	v_add_u32_e32 v39, v39, v79
	v_lshlrev_b64 v[39:40], 3, v[39:40]
	v_add_co_u32_e32 v39, vcc, s84, v39
	v_addc_co_u32_e32 v40, vcc, v41, v40, vcc
	s_waitcnt lgkmcnt(0)
	global_store_dwordx2 v[39:40], v[37:38], off
	s_or_b64 exec, exec, s[42:43]
	s_and_saveexec_b64 s[42:43], s[56:57]
	s_cbranch_execz .LBB709_234
.LBB709_298:                            ;   in Loop: Header=BB709_96 Depth=2
	v_lshlrev_b32_e32 v37, 2, v143
	ds_read_b32 v39, v37
	ds_read_b64 v[37:38], v104 offset:14848
	v_mov_b32_e32 v40, v3
	v_mov_b32_e32 v41, s85
	s_waitcnt lgkmcnt(1)
	v_add_u32_e32 v39, v39, v80
	v_lshlrev_b64 v[39:40], 3, v[39:40]
	v_add_co_u32_e32 v39, vcc, s84, v39
	v_addc_co_u32_e32 v40, vcc, v41, v40, vcc
	s_waitcnt lgkmcnt(0)
	global_store_dwordx2 v[39:40], v[37:38], off
	s_or_b64 exec, exec, s[42:43]
	s_and_saveexec_b64 s[42:43], s[58:59]
	s_cbranch_execz .LBB709_235
.LBB709_299:                            ;   in Loop: Header=BB709_96 Depth=2
	v_lshlrev_b32_e32 v37, 2, v142
	ds_read_b32 v39, v37
	ds_read_b64 v[37:38], v104 offset:16896
	v_mov_b32_e32 v40, v3
	v_mov_b32_e32 v41, s85
	s_waitcnt lgkmcnt(1)
	v_add_u32_e32 v39, v39, v81
	v_lshlrev_b64 v[39:40], 3, v[39:40]
	v_add_co_u32_e32 v39, vcc, s84, v39
	v_addc_co_u32_e32 v40, vcc, v41, v40, vcc
	s_waitcnt lgkmcnt(0)
	global_store_dwordx2 v[39:40], v[37:38], off
	s_or_b64 exec, exec, s[42:43]
	s_and_saveexec_b64 s[42:43], s[60:61]
	s_cbranch_execz .LBB709_236
.LBB709_300:                            ;   in Loop: Header=BB709_96 Depth=2
	v_lshlrev_b32_e32 v37, 2, v141
	ds_read_b32 v39, v37
	ds_read_b64 v[37:38], v104 offset:18944
	v_mov_b32_e32 v40, v3
	v_mov_b32_e32 v41, s85
	s_waitcnt lgkmcnt(1)
	v_add_u32_e32 v39, v39, v82
	v_lshlrev_b64 v[39:40], 3, v[39:40]
	v_add_co_u32_e32 v39, vcc, s84, v39
	v_addc_co_u32_e32 v40, vcc, v41, v40, vcc
	s_waitcnt lgkmcnt(0)
	global_store_dwordx2 v[39:40], v[37:38], off
	s_or_b64 exec, exec, s[42:43]
	s_and_saveexec_b64 s[42:43], s[62:63]
	s_cbranch_execz .LBB709_237
.LBB709_301:                            ;   in Loop: Header=BB709_96 Depth=2
	v_lshlrev_b32_e32 v37, 2, v140
	ds_read_b32 v39, v37
	ds_read_b64 v[37:38], v104 offset:20992
	v_mov_b32_e32 v40, v3
	v_mov_b32_e32 v41, s85
	s_waitcnt lgkmcnt(1)
	v_add_u32_e32 v39, v39, v83
	v_lshlrev_b64 v[39:40], 3, v[39:40]
	v_add_co_u32_e32 v39, vcc, s84, v39
	v_addc_co_u32_e32 v40, vcc, v41, v40, vcc
	s_waitcnt lgkmcnt(0)
	global_store_dwordx2 v[39:40], v[37:38], off
	s_or_b64 exec, exec, s[42:43]
	s_and_saveexec_b64 s[42:43], s[64:65]
	s_cbranch_execz .LBB709_238
.LBB709_302:                            ;   in Loop: Header=BB709_96 Depth=2
	v_lshlrev_b32_e32 v37, 2, v139
	ds_read_b32 v39, v37
	ds_read_b64 v[37:38], v104 offset:23040
	v_mov_b32_e32 v40, v3
	v_mov_b32_e32 v41, s85
	s_waitcnt lgkmcnt(1)
	v_add_u32_e32 v39, v39, v84
	v_lshlrev_b64 v[39:40], 3, v[39:40]
	v_add_co_u32_e32 v39, vcc, s84, v39
	v_addc_co_u32_e32 v40, vcc, v41, v40, vcc
	s_waitcnt lgkmcnt(0)
	global_store_dwordx2 v[39:40], v[37:38], off
	s_or_b64 exec, exec, s[42:43]
	s_and_saveexec_b64 s[42:43], s[66:67]
	s_cbranch_execz .LBB709_239
.LBB709_303:                            ;   in Loop: Header=BB709_96 Depth=2
	v_lshlrev_b32_e32 v37, 2, v138
	ds_read_b32 v39, v37
	ds_read_b64 v[37:38], v104 offset:25088
	v_mov_b32_e32 v40, v3
	v_mov_b32_e32 v41, s85
	s_waitcnt lgkmcnt(1)
	v_add_u32_e32 v39, v39, v85
	v_lshlrev_b64 v[39:40], 3, v[39:40]
	v_add_co_u32_e32 v39, vcc, s84, v39
	v_addc_co_u32_e32 v40, vcc, v41, v40, vcc
	s_waitcnt lgkmcnt(0)
	global_store_dwordx2 v[39:40], v[37:38], off
	s_or_b64 exec, exec, s[42:43]
	s_and_saveexec_b64 s[42:43], s[68:69]
	s_cbranch_execz .LBB709_240
.LBB709_304:                            ;   in Loop: Header=BB709_96 Depth=2
	v_lshlrev_b32_e32 v37, 2, v137
	ds_read_b32 v39, v37
	ds_read_b64 v[37:38], v104 offset:27136
	v_mov_b32_e32 v40, v3
	v_mov_b32_e32 v41, s85
	s_waitcnt lgkmcnt(1)
	v_add_u32_e32 v39, v39, v86
	v_lshlrev_b64 v[39:40], 3, v[39:40]
	v_add_co_u32_e32 v39, vcc, s84, v39
	v_addc_co_u32_e32 v40, vcc, v41, v40, vcc
	s_waitcnt lgkmcnt(0)
	global_store_dwordx2 v[39:40], v[37:38], off
	s_or_b64 exec, exec, s[42:43]
	s_and_saveexec_b64 s[42:43], s[70:71]
	s_cbranch_execz .LBB709_241
.LBB709_305:                            ;   in Loop: Header=BB709_96 Depth=2
	v_lshlrev_b32_e32 v37, 2, v136
	ds_read_b32 v39, v37
	ds_read_b64 v[37:38], v104 offset:29184
	v_mov_b32_e32 v40, v3
	v_mov_b32_e32 v41, s85
	s_waitcnt lgkmcnt(1)
	v_add_u32_e32 v39, v39, v87
	v_lshlrev_b64 v[39:40], 3, v[39:40]
	v_add_co_u32_e32 v39, vcc, s84, v39
	v_addc_co_u32_e32 v40, vcc, v41, v40, vcc
	s_waitcnt lgkmcnt(0)
	global_store_dwordx2 v[39:40], v[37:38], off
	s_or_b64 exec, exec, s[42:43]
	s_and_saveexec_b64 s[42:43], s[72:73]
	s_cbranch_execnz .LBB709_242
	s_branch .LBB709_243
.LBB709_306:                            ;   in Loop: Header=BB709_12 Depth=1
	s_waitcnt lgkmcnt(0)
	s_barrier
	s_mov_b64 s[22:23], 0
.LBB709_307:                            ;   in Loop: Header=BB709_12 Depth=1
	s_and_b64 vcc, exec, s[22:23]
	s_cbranch_vccz .LBB709_601
; %bb.308:                              ;   in Loop: Header=BB709_12 Depth=1
	s_mov_b32 s8, s33
	s_mov_b32 s92, s96
	s_barrier
                                        ; implicit-def: $vgpr5_vgpr6
                                        ; implicit-def: $vgpr7_vgpr8
                                        ; implicit-def: $vgpr9_vgpr10
                                        ; implicit-def: $vgpr11_vgpr12
                                        ; implicit-def: $vgpr13_vgpr14
                                        ; implicit-def: $vgpr15_vgpr16
                                        ; implicit-def: $vgpr17_vgpr18
                                        ; implicit-def: $vgpr19_vgpr20
                                        ; implicit-def: $vgpr21_vgpr22
                                        ; implicit-def: $vgpr23_vgpr24
                                        ; implicit-def: $vgpr25_vgpr26
                                        ; implicit-def: $vgpr27_vgpr28
                                        ; implicit-def: $vgpr29_vgpr30
                                        ; implicit-def: $vgpr31_vgpr32
                                        ; implicit-def: $vgpr33_vgpr34
                                        ; implicit-def: $vgpr35_vgpr36
	s_branch .LBB709_310
.LBB709_309:                            ;   in Loop: Header=BB709_310 Depth=2
	s_or_b64 exec, exec, s[22:23]
	s_addk_i32 s8, 0xf000
	s_cmp_ge_u32 s9, s97
	s_mov_b32 s92, s9
	s_cbranch_scc1 .LBB709_378
.LBB709_310:                            ;   Parent Loop BB709_12 Depth=1
                                        ; =>  This Inner Loop Header: Depth=2
	s_add_i32 s9, s92, 0x1000
	s_cmp_gt_u32 s9, s97
	s_mov_b64 s[22:23], -1
                                        ; implicit-def: $vgpr37_vgpr38
                                        ; implicit-def: $vgpr39_vgpr40
                                        ; implicit-def: $vgpr41_vgpr42
                                        ; implicit-def: $vgpr43_vgpr44
                                        ; implicit-def: $vgpr45_vgpr46
                                        ; implicit-def: $vgpr47_vgpr48
                                        ; implicit-def: $vgpr49_vgpr50
                                        ; implicit-def: $vgpr51_vgpr52
                                        ; implicit-def: $vgpr53_vgpr54
                                        ; implicit-def: $vgpr55_vgpr56
                                        ; implicit-def: $vgpr57_vgpr58
                                        ; implicit-def: $vgpr59_vgpr60
                                        ; implicit-def: $vgpr61_vgpr62
                                        ; implicit-def: $vgpr63_vgpr64
                                        ; implicit-def: $vgpr65_vgpr66
                                        ; implicit-def: $vgpr67_vgpr68
	s_cbranch_scc1 .LBB709_312
; %bb.311:                              ;   in Loop: Header=BB709_310 Depth=2
	s_lshl_b64 s[22:23], s[92:93], 3
	v_mov_b32_e32 v37, s23
	v_add_co_u32_e32 v61, vcc, s22, v105
	v_addc_co_u32_e32 v62, vcc, v106, v37, vcc
	v_add_co_u32_e32 v45, vcc, 0x1000, v61
	v_addc_co_u32_e32 v46, vcc, 0, v62, vcc
	v_add_co_u32_e32 v53, vcc, 0x2000, v61
	v_addc_co_u32_e32 v54, vcc, 0, v62, vcc
	v_add_co_u32_e32 v55, vcc, 0x3000, v61
	v_addc_co_u32_e32 v56, vcc, 0, v62, vcc
	v_add_co_u32_e32 v59, vcc, 0x4000, v61
	v_addc_co_u32_e32 v60, vcc, 0, v62, vcc
	v_add_co_u32_e32 v63, vcc, 0x5000, v61
	v_addc_co_u32_e32 v64, vcc, 0, v62, vcc
	global_load_dwordx2 v[37:38], v[61:62], off
	global_load_dwordx2 v[39:40], v[61:62], off offset:2048
	global_load_dwordx2 v[41:42], v[45:46], off
	global_load_dwordx2 v[43:44], v[45:46], off offset:2048
	s_nop 0
	global_load_dwordx2 v[45:46], v[53:54], off
	global_load_dwordx2 v[47:48], v[53:54], off offset:2048
	global_load_dwordx2 v[49:50], v[55:56], off
	global_load_dwordx2 v[51:52], v[55:56], off offset:2048
	s_nop 0
	global_load_dwordx2 v[53:54], v[59:60], off
	global_load_dwordx2 v[55:56], v[59:60], off offset:2048
	global_load_dwordx2 v[57:58], v[63:64], off
                                        ; kill: killed $vgpr59 killed $vgpr60
	s_nop 0
	global_load_dwordx2 v[59:60], v[63:64], off offset:2048
	v_add_co_u32_e32 v63, vcc, 0x6000, v61
	v_addc_co_u32_e32 v64, vcc, 0, v62, vcc
	v_add_co_u32_e32 v67, vcc, 0x7000, v61
	v_addc_co_u32_e32 v68, vcc, 0, v62, vcc
	global_load_dwordx2 v[61:62], v[63:64], off
	s_nop 0
	global_load_dwordx2 v[63:64], v[63:64], off offset:2048
	s_nop 0
	global_load_dwordx2 v[65:66], v[67:68], off
	s_nop 0
	global_load_dwordx2 v[67:68], v[67:68], off offset:2048
	s_mov_b64 s[22:23], 0
.LBB709_312:                            ;   in Loop: Header=BB709_310 Depth=2
	s_andn2_b64 vcc, exec, s[22:23]
	s_movk_i32 s24, 0x1000
	s_cbranch_vccnz .LBB709_331
; %bb.313:                              ;   in Loop: Header=BB709_310 Depth=2
	s_lshl_b64 s[22:23], s[92:93], 3
	s_add_u32 s22, s78, s22
	s_addc_u32 s23, s79, s23
	v_cmp_gt_u32_e32 vcc, s8, v0
	s_and_saveexec_b64 s[24:25], vcc
	s_cbranch_execnz .LBB709_363
; %bb.314:                              ;   in Loop: Header=BB709_310 Depth=2
	s_or_b64 exec, exec, s[24:25]
	v_cmp_gt_u32_e32 vcc, s8, v72
	s_and_saveexec_b64 s[24:25], vcc
	s_cbranch_execnz .LBB709_364
.LBB709_315:                            ;   in Loop: Header=BB709_310 Depth=2
	s_or_b64 exec, exec, s[24:25]
	v_cmp_gt_u32_e32 vcc, s8, v75
	s_and_saveexec_b64 s[24:25], vcc
	s_cbranch_execnz .LBB709_365
.LBB709_316:                            ;   in Loop: Header=BB709_310 Depth=2
	s_or_b64 exec, exec, s[24:25]
	v_cmp_gt_u32_e32 vcc, s8, v76
	s_and_saveexec_b64 s[24:25], vcc
	s_cbranch_execnz .LBB709_366
.LBB709_317:                            ;   in Loop: Header=BB709_310 Depth=2
	s_or_b64 exec, exec, s[24:25]
	v_cmp_gt_u32_e32 vcc, s8, v77
	s_and_saveexec_b64 s[24:25], vcc
	s_cbranch_execnz .LBB709_367
.LBB709_318:                            ;   in Loop: Header=BB709_310 Depth=2
	s_or_b64 exec, exec, s[24:25]
	v_cmp_gt_u32_e32 vcc, s8, v78
	s_and_saveexec_b64 s[24:25], vcc
	s_cbranch_execnz .LBB709_368
.LBB709_319:                            ;   in Loop: Header=BB709_310 Depth=2
	s_or_b64 exec, exec, s[24:25]
	v_cmp_gt_u32_e32 vcc, s8, v79
	s_and_saveexec_b64 s[24:25], vcc
	s_cbranch_execnz .LBB709_369
.LBB709_320:                            ;   in Loop: Header=BB709_310 Depth=2
	s_or_b64 exec, exec, s[24:25]
	v_cmp_gt_u32_e32 vcc, s8, v80
	s_and_saveexec_b64 s[24:25], vcc
	s_cbranch_execnz .LBB709_370
.LBB709_321:                            ;   in Loop: Header=BB709_310 Depth=2
	s_or_b64 exec, exec, s[24:25]
	v_cmp_gt_u32_e32 vcc, s8, v81
	s_and_saveexec_b64 s[24:25], vcc
	s_cbranch_execnz .LBB709_371
.LBB709_322:                            ;   in Loop: Header=BB709_310 Depth=2
	s_or_b64 exec, exec, s[24:25]
	v_cmp_gt_u32_e32 vcc, s8, v82
	s_and_saveexec_b64 s[24:25], vcc
	s_cbranch_execnz .LBB709_372
.LBB709_323:                            ;   in Loop: Header=BB709_310 Depth=2
	s_or_b64 exec, exec, s[24:25]
	v_cmp_gt_u32_e32 vcc, s8, v83
	s_and_saveexec_b64 s[24:25], vcc
	s_cbranch_execnz .LBB709_373
.LBB709_324:                            ;   in Loop: Header=BB709_310 Depth=2
	s_or_b64 exec, exec, s[24:25]
	v_cmp_gt_u32_e32 vcc, s8, v84
	s_and_saveexec_b64 s[24:25], vcc
	s_cbranch_execnz .LBB709_374
.LBB709_325:                            ;   in Loop: Header=BB709_310 Depth=2
	s_or_b64 exec, exec, s[24:25]
	v_cmp_gt_u32_e32 vcc, s8, v85
	s_and_saveexec_b64 s[24:25], vcc
	s_cbranch_execnz .LBB709_375
.LBB709_326:                            ;   in Loop: Header=BB709_310 Depth=2
	s_or_b64 exec, exec, s[24:25]
	v_cmp_gt_u32_e32 vcc, s8, v86
	s_and_saveexec_b64 s[24:25], vcc
	s_cbranch_execnz .LBB709_376
.LBB709_327:                            ;   in Loop: Header=BB709_310 Depth=2
	s_or_b64 exec, exec, s[24:25]
	v_cmp_gt_u32_e32 vcc, s8, v87
	s_and_saveexec_b64 s[24:25], vcc
	s_cbranch_execnz .LBB709_377
.LBB709_328:                            ;   in Loop: Header=BB709_310 Depth=2
	s_or_b64 exec, exec, s[24:25]
	v_cmp_gt_u32_e32 vcc, s8, v88
	s_and_saveexec_b64 s[24:25], vcc
	s_cbranch_execz .LBB709_330
.LBB709_329:                            ;   in Loop: Header=BB709_310 Depth=2
	global_load_dwordx2 v[5:6], v132, s[22:23]
.LBB709_330:                            ;   in Loop: Header=BB709_310 Depth=2
	s_or_b64 exec, exec, s[24:25]
	s_waitcnt vmcnt(0)
	v_mov_b32_e32 v38, v36
	v_mov_b32_e32 v40, v34
	;; [unrolled: 1-line block ×16, first 2 shown]
	s_mov_b32 s24, s8
	v_mov_b32_e32 v37, v35
	v_mov_b32_e32 v39, v33
	v_mov_b32_e32 v41, v31
	v_mov_b32_e32 v43, v29
	v_mov_b32_e32 v45, v27
	v_mov_b32_e32 v47, v25
	v_mov_b32_e32 v49, v23
	v_mov_b32_e32 v51, v21
	v_mov_b32_e32 v53, v19
	v_mov_b32_e32 v55, v17
	v_mov_b32_e32 v57, v15
	v_mov_b32_e32 v59, v13
	v_mov_b32_e32 v61, v11
	v_mov_b32_e32 v63, v9
	v_mov_b32_e32 v65, v7
	v_mov_b32_e32 v67, v5
.LBB709_331:                            ;   in Loop: Header=BB709_310 Depth=2
	s_waitcnt vmcnt(0)
	v_mov_b32_e32 v5, v67
	v_mov_b32_e32 v7, v65
	;; [unrolled: 1-line block ×32, first 2 shown]
	v_cmp_gt_u32_e32 vcc, s24, v0
	s_and_saveexec_b64 s[22:23], vcc
	s_cbranch_execnz .LBB709_347
; %bb.332:                              ;   in Loop: Header=BB709_310 Depth=2
	s_or_b64 exec, exec, s[22:23]
	v_cmp_gt_u32_e32 vcc, s24, v72
	s_and_saveexec_b64 s[22:23], vcc
	s_cbranch_execnz .LBB709_348
.LBB709_333:                            ;   in Loop: Header=BB709_310 Depth=2
	s_or_b64 exec, exec, s[22:23]
	v_cmp_gt_u32_e32 vcc, s24, v75
	s_and_saveexec_b64 s[22:23], vcc
	s_cbranch_execnz .LBB709_349
.LBB709_334:                            ;   in Loop: Header=BB709_310 Depth=2
	s_or_b64 exec, exec, s[22:23]
	v_cmp_gt_u32_e32 vcc, s24, v76
	s_and_saveexec_b64 s[22:23], vcc
	s_cbranch_execnz .LBB709_350
.LBB709_335:                            ;   in Loop: Header=BB709_310 Depth=2
	s_or_b64 exec, exec, s[22:23]
	v_cmp_gt_u32_e32 vcc, s24, v77
	s_and_saveexec_b64 s[22:23], vcc
	s_cbranch_execnz .LBB709_351
.LBB709_336:                            ;   in Loop: Header=BB709_310 Depth=2
	s_or_b64 exec, exec, s[22:23]
	v_cmp_gt_u32_e32 vcc, s24, v78
	s_and_saveexec_b64 s[22:23], vcc
	s_cbranch_execnz .LBB709_352
.LBB709_337:                            ;   in Loop: Header=BB709_310 Depth=2
	s_or_b64 exec, exec, s[22:23]
	v_cmp_gt_u32_e32 vcc, s24, v79
	s_and_saveexec_b64 s[22:23], vcc
	s_cbranch_execnz .LBB709_353
.LBB709_338:                            ;   in Loop: Header=BB709_310 Depth=2
	s_or_b64 exec, exec, s[22:23]
	v_cmp_gt_u32_e32 vcc, s24, v80
	s_and_saveexec_b64 s[22:23], vcc
	s_cbranch_execnz .LBB709_354
.LBB709_339:                            ;   in Loop: Header=BB709_310 Depth=2
	s_or_b64 exec, exec, s[22:23]
	v_cmp_gt_u32_e32 vcc, s24, v81
	s_and_saveexec_b64 s[22:23], vcc
	s_cbranch_execnz .LBB709_355
.LBB709_340:                            ;   in Loop: Header=BB709_310 Depth=2
	s_or_b64 exec, exec, s[22:23]
	v_cmp_gt_u32_e32 vcc, s24, v82
	s_and_saveexec_b64 s[22:23], vcc
	s_cbranch_execnz .LBB709_356
.LBB709_341:                            ;   in Loop: Header=BB709_310 Depth=2
	s_or_b64 exec, exec, s[22:23]
	v_cmp_gt_u32_e32 vcc, s24, v83
	s_and_saveexec_b64 s[22:23], vcc
	s_cbranch_execnz .LBB709_357
.LBB709_342:                            ;   in Loop: Header=BB709_310 Depth=2
	s_or_b64 exec, exec, s[22:23]
	v_cmp_gt_u32_e32 vcc, s24, v84
	s_and_saveexec_b64 s[22:23], vcc
	s_cbranch_execnz .LBB709_358
.LBB709_343:                            ;   in Loop: Header=BB709_310 Depth=2
	s_or_b64 exec, exec, s[22:23]
	v_cmp_gt_u32_e32 vcc, s24, v85
	s_and_saveexec_b64 s[22:23], vcc
	s_cbranch_execnz .LBB709_359
.LBB709_344:                            ;   in Loop: Header=BB709_310 Depth=2
	s_or_b64 exec, exec, s[22:23]
	v_cmp_gt_u32_e32 vcc, s24, v86
	s_and_saveexec_b64 s[22:23], vcc
	s_cbranch_execnz .LBB709_360
.LBB709_345:                            ;   in Loop: Header=BB709_310 Depth=2
	s_or_b64 exec, exec, s[22:23]
	v_cmp_gt_u32_e32 vcc, s24, v87
	s_and_saveexec_b64 s[22:23], vcc
	s_cbranch_execnz .LBB709_361
.LBB709_346:                            ;   in Loop: Header=BB709_310 Depth=2
	s_or_b64 exec, exec, s[22:23]
	v_cmp_gt_u32_e32 vcc, s24, v88
	s_and_saveexec_b64 s[22:23], vcc
	s_cbranch_execz .LBB709_309
	s_branch .LBB709_362
.LBB709_347:                            ;   in Loop: Header=BB709_310 Depth=2
	v_xor_b32_e32 v38, 0x7fffffff, v36
	v_not_b32_e32 v37, v35
	v_lshrrev_b64 v[37:38], s88, v[37:38]
	v_and_b32_e32 v37, s99, v37
	v_lshl_or_b32 v37, v37, 4, v89
	ds_add_u32 v37, v117
	s_or_b64 exec, exec, s[22:23]
	v_cmp_gt_u32_e32 vcc, s24, v72
	s_and_saveexec_b64 s[22:23], vcc
	s_cbranch_execz .LBB709_333
.LBB709_348:                            ;   in Loop: Header=BB709_310 Depth=2
	v_xor_b32_e32 v38, 0x7fffffff, v34
	v_not_b32_e32 v37, v33
	v_lshrrev_b64 v[37:38], s88, v[37:38]
	v_and_b32_e32 v37, s99, v37
	v_lshl_or_b32 v37, v37, 4, v89
	ds_add_u32 v37, v117
	s_or_b64 exec, exec, s[22:23]
	v_cmp_gt_u32_e32 vcc, s24, v75
	s_and_saveexec_b64 s[22:23], vcc
	s_cbranch_execz .LBB709_334
.LBB709_349:                            ;   in Loop: Header=BB709_310 Depth=2
	v_xor_b32_e32 v38, 0x7fffffff, v32
	v_not_b32_e32 v37, v31
	v_lshrrev_b64 v[37:38], s88, v[37:38]
	v_and_b32_e32 v37, s99, v37
	v_lshl_or_b32 v37, v37, 4, v89
	ds_add_u32 v37, v117
	s_or_b64 exec, exec, s[22:23]
	v_cmp_gt_u32_e32 vcc, s24, v76
	s_and_saveexec_b64 s[22:23], vcc
	s_cbranch_execz .LBB709_335
.LBB709_350:                            ;   in Loop: Header=BB709_310 Depth=2
	v_xor_b32_e32 v38, 0x7fffffff, v30
	v_not_b32_e32 v37, v29
	v_lshrrev_b64 v[37:38], s88, v[37:38]
	v_and_b32_e32 v37, s99, v37
	v_lshl_or_b32 v37, v37, 4, v89
	ds_add_u32 v37, v117
	s_or_b64 exec, exec, s[22:23]
	v_cmp_gt_u32_e32 vcc, s24, v77
	s_and_saveexec_b64 s[22:23], vcc
	s_cbranch_execz .LBB709_336
.LBB709_351:                            ;   in Loop: Header=BB709_310 Depth=2
	v_xor_b32_e32 v38, 0x7fffffff, v28
	v_not_b32_e32 v37, v27
	v_lshrrev_b64 v[37:38], s88, v[37:38]
	v_and_b32_e32 v37, s99, v37
	v_lshl_or_b32 v37, v37, 4, v89
	ds_add_u32 v37, v117
	s_or_b64 exec, exec, s[22:23]
	v_cmp_gt_u32_e32 vcc, s24, v78
	s_and_saveexec_b64 s[22:23], vcc
	s_cbranch_execz .LBB709_337
.LBB709_352:                            ;   in Loop: Header=BB709_310 Depth=2
	v_xor_b32_e32 v38, 0x7fffffff, v26
	v_not_b32_e32 v37, v25
	v_lshrrev_b64 v[37:38], s88, v[37:38]
	v_and_b32_e32 v37, s99, v37
	v_lshl_or_b32 v37, v37, 4, v89
	ds_add_u32 v37, v117
	s_or_b64 exec, exec, s[22:23]
	v_cmp_gt_u32_e32 vcc, s24, v79
	s_and_saveexec_b64 s[22:23], vcc
	s_cbranch_execz .LBB709_338
.LBB709_353:                            ;   in Loop: Header=BB709_310 Depth=2
	v_xor_b32_e32 v38, 0x7fffffff, v24
	v_not_b32_e32 v37, v23
	v_lshrrev_b64 v[37:38], s88, v[37:38]
	v_and_b32_e32 v37, s99, v37
	v_lshl_or_b32 v37, v37, 4, v89
	ds_add_u32 v37, v117
	s_or_b64 exec, exec, s[22:23]
	v_cmp_gt_u32_e32 vcc, s24, v80
	s_and_saveexec_b64 s[22:23], vcc
	s_cbranch_execz .LBB709_339
.LBB709_354:                            ;   in Loop: Header=BB709_310 Depth=2
	v_xor_b32_e32 v38, 0x7fffffff, v22
	v_not_b32_e32 v37, v21
	v_lshrrev_b64 v[37:38], s88, v[37:38]
	v_and_b32_e32 v37, s99, v37
	v_lshl_or_b32 v37, v37, 4, v89
	ds_add_u32 v37, v117
	s_or_b64 exec, exec, s[22:23]
	v_cmp_gt_u32_e32 vcc, s24, v81
	s_and_saveexec_b64 s[22:23], vcc
	s_cbranch_execz .LBB709_340
.LBB709_355:                            ;   in Loop: Header=BB709_310 Depth=2
	v_xor_b32_e32 v38, 0x7fffffff, v20
	v_not_b32_e32 v37, v19
	v_lshrrev_b64 v[37:38], s88, v[37:38]
	v_and_b32_e32 v37, s99, v37
	v_lshl_or_b32 v37, v37, 4, v89
	ds_add_u32 v37, v117
	s_or_b64 exec, exec, s[22:23]
	v_cmp_gt_u32_e32 vcc, s24, v82
	s_and_saveexec_b64 s[22:23], vcc
	s_cbranch_execz .LBB709_341
.LBB709_356:                            ;   in Loop: Header=BB709_310 Depth=2
	v_xor_b32_e32 v38, 0x7fffffff, v18
	v_not_b32_e32 v37, v17
	v_lshrrev_b64 v[37:38], s88, v[37:38]
	v_and_b32_e32 v37, s99, v37
	v_lshl_or_b32 v37, v37, 4, v89
	ds_add_u32 v37, v117
	s_or_b64 exec, exec, s[22:23]
	v_cmp_gt_u32_e32 vcc, s24, v83
	s_and_saveexec_b64 s[22:23], vcc
	s_cbranch_execz .LBB709_342
.LBB709_357:                            ;   in Loop: Header=BB709_310 Depth=2
	v_xor_b32_e32 v38, 0x7fffffff, v16
	v_not_b32_e32 v37, v15
	v_lshrrev_b64 v[37:38], s88, v[37:38]
	v_and_b32_e32 v37, s99, v37
	v_lshl_or_b32 v37, v37, 4, v89
	ds_add_u32 v37, v117
	s_or_b64 exec, exec, s[22:23]
	v_cmp_gt_u32_e32 vcc, s24, v84
	s_and_saveexec_b64 s[22:23], vcc
	s_cbranch_execz .LBB709_343
.LBB709_358:                            ;   in Loop: Header=BB709_310 Depth=2
	v_xor_b32_e32 v38, 0x7fffffff, v14
	v_not_b32_e32 v37, v13
	v_lshrrev_b64 v[37:38], s88, v[37:38]
	v_and_b32_e32 v37, s99, v37
	v_lshl_or_b32 v37, v37, 4, v89
	ds_add_u32 v37, v117
	s_or_b64 exec, exec, s[22:23]
	v_cmp_gt_u32_e32 vcc, s24, v85
	s_and_saveexec_b64 s[22:23], vcc
	s_cbranch_execz .LBB709_344
.LBB709_359:                            ;   in Loop: Header=BB709_310 Depth=2
	v_xor_b32_e32 v38, 0x7fffffff, v12
	v_not_b32_e32 v37, v11
	v_lshrrev_b64 v[37:38], s88, v[37:38]
	v_and_b32_e32 v37, s99, v37
	v_lshl_or_b32 v37, v37, 4, v89
	ds_add_u32 v37, v117
	s_or_b64 exec, exec, s[22:23]
	v_cmp_gt_u32_e32 vcc, s24, v86
	s_and_saveexec_b64 s[22:23], vcc
	s_cbranch_execz .LBB709_345
.LBB709_360:                            ;   in Loop: Header=BB709_310 Depth=2
	v_xor_b32_e32 v38, 0x7fffffff, v10
	v_not_b32_e32 v37, v9
	v_lshrrev_b64 v[37:38], s88, v[37:38]
	v_and_b32_e32 v37, s99, v37
	v_lshl_or_b32 v37, v37, 4, v89
	ds_add_u32 v37, v117
	s_or_b64 exec, exec, s[22:23]
	v_cmp_gt_u32_e32 vcc, s24, v87
	s_and_saveexec_b64 s[22:23], vcc
	s_cbranch_execz .LBB709_346
.LBB709_361:                            ;   in Loop: Header=BB709_310 Depth=2
	v_xor_b32_e32 v38, 0x7fffffff, v8
	v_not_b32_e32 v37, v7
	v_lshrrev_b64 v[37:38], s88, v[37:38]
	v_and_b32_e32 v37, s99, v37
	v_lshl_or_b32 v37, v37, 4, v89
	ds_add_u32 v37, v117
	s_or_b64 exec, exec, s[22:23]
	v_cmp_gt_u32_e32 vcc, s24, v88
	s_and_saveexec_b64 s[22:23], vcc
	s_cbranch_execz .LBB709_309
.LBB709_362:                            ;   in Loop: Header=BB709_310 Depth=2
	v_xor_b32_e32 v38, 0x7fffffff, v6
	v_not_b32_e32 v37, v5
	v_lshrrev_b64 v[37:38], s88, v[37:38]
	v_and_b32_e32 v37, s99, v37
	v_lshl_or_b32 v37, v37, 4, v89
	ds_add_u32 v37, v117
	s_branch .LBB709_309
.LBB709_363:                            ;   in Loop: Header=BB709_310 Depth=2
	global_load_dwordx2 v[35:36], v118, s[22:23]
	s_or_b64 exec, exec, s[24:25]
	v_cmp_gt_u32_e32 vcc, s8, v72
	s_and_saveexec_b64 s[24:25], vcc
	s_cbranch_execz .LBB709_315
.LBB709_364:                            ;   in Loop: Header=BB709_310 Depth=2
	global_load_dwordx2 v[33:34], v118, s[22:23] offset:2048
	s_or_b64 exec, exec, s[24:25]
	v_cmp_gt_u32_e32 vcc, s8, v75
	s_and_saveexec_b64 s[24:25], vcc
	s_cbranch_execz .LBB709_316
.LBB709_365:                            ;   in Loop: Header=BB709_310 Depth=2
	global_load_dwordx2 v[31:32], v119, s[22:23]
	s_or_b64 exec, exec, s[24:25]
	v_cmp_gt_u32_e32 vcc, s8, v76
	s_and_saveexec_b64 s[24:25], vcc
	s_cbranch_execz .LBB709_317
.LBB709_366:                            ;   in Loop: Header=BB709_310 Depth=2
	global_load_dwordx2 v[29:30], v120, s[22:23]
	s_or_b64 exec, exec, s[24:25]
	v_cmp_gt_u32_e32 vcc, s8, v77
	s_and_saveexec_b64 s[24:25], vcc
	s_cbranch_execz .LBB709_318
.LBB709_367:                            ;   in Loop: Header=BB709_310 Depth=2
	global_load_dwordx2 v[27:28], v121, s[22:23]
	s_or_b64 exec, exec, s[24:25]
	v_cmp_gt_u32_e32 vcc, s8, v78
	s_and_saveexec_b64 s[24:25], vcc
	s_cbranch_execz .LBB709_319
.LBB709_368:                            ;   in Loop: Header=BB709_310 Depth=2
	global_load_dwordx2 v[25:26], v122, s[22:23]
	s_or_b64 exec, exec, s[24:25]
	v_cmp_gt_u32_e32 vcc, s8, v79
	s_and_saveexec_b64 s[24:25], vcc
	s_cbranch_execz .LBB709_320
.LBB709_369:                            ;   in Loop: Header=BB709_310 Depth=2
	global_load_dwordx2 v[23:24], v123, s[22:23]
	s_or_b64 exec, exec, s[24:25]
	v_cmp_gt_u32_e32 vcc, s8, v80
	s_and_saveexec_b64 s[24:25], vcc
	s_cbranch_execz .LBB709_321
.LBB709_370:                            ;   in Loop: Header=BB709_310 Depth=2
	global_load_dwordx2 v[21:22], v124, s[22:23]
	s_or_b64 exec, exec, s[24:25]
	v_cmp_gt_u32_e32 vcc, s8, v81
	s_and_saveexec_b64 s[24:25], vcc
	s_cbranch_execz .LBB709_322
.LBB709_371:                            ;   in Loop: Header=BB709_310 Depth=2
	global_load_dwordx2 v[19:20], v125, s[22:23]
	s_or_b64 exec, exec, s[24:25]
	v_cmp_gt_u32_e32 vcc, s8, v82
	s_and_saveexec_b64 s[24:25], vcc
	s_cbranch_execz .LBB709_323
.LBB709_372:                            ;   in Loop: Header=BB709_310 Depth=2
	global_load_dwordx2 v[17:18], v126, s[22:23]
	s_or_b64 exec, exec, s[24:25]
	v_cmp_gt_u32_e32 vcc, s8, v83
	s_and_saveexec_b64 s[24:25], vcc
	s_cbranch_execz .LBB709_324
.LBB709_373:                            ;   in Loop: Header=BB709_310 Depth=2
	global_load_dwordx2 v[15:16], v127, s[22:23]
	s_or_b64 exec, exec, s[24:25]
	v_cmp_gt_u32_e32 vcc, s8, v84
	s_and_saveexec_b64 s[24:25], vcc
	s_cbranch_execz .LBB709_325
.LBB709_374:                            ;   in Loop: Header=BB709_310 Depth=2
	global_load_dwordx2 v[13:14], v128, s[22:23]
	s_or_b64 exec, exec, s[24:25]
	v_cmp_gt_u32_e32 vcc, s8, v85
	s_and_saveexec_b64 s[24:25], vcc
	s_cbranch_execz .LBB709_326
.LBB709_375:                            ;   in Loop: Header=BB709_310 Depth=2
	global_load_dwordx2 v[11:12], v129, s[22:23]
	s_or_b64 exec, exec, s[24:25]
	v_cmp_gt_u32_e32 vcc, s8, v86
	s_and_saveexec_b64 s[24:25], vcc
	s_cbranch_execz .LBB709_327
.LBB709_376:                            ;   in Loop: Header=BB709_310 Depth=2
	global_load_dwordx2 v[9:10], v130, s[22:23]
	s_or_b64 exec, exec, s[24:25]
	v_cmp_gt_u32_e32 vcc, s8, v87
	s_and_saveexec_b64 s[24:25], vcc
	s_cbranch_execz .LBB709_328
.LBB709_377:                            ;   in Loop: Header=BB709_310 Depth=2
	global_load_dwordx2 v[7:8], v131, s[22:23]
	s_or_b64 exec, exec, s[24:25]
	v_cmp_gt_u32_e32 vcc, s8, v88
	s_and_saveexec_b64 s[24:25], vcc
	s_cbranch_execnz .LBB709_329
	s_branch .LBB709_330
.LBB709_378:                            ;   in Loop: Header=BB709_12 Depth=1
	v_mov_b32_e32 v5, 0
	s_waitcnt lgkmcnt(0)
	s_barrier
	s_and_saveexec_b64 s[22:23], s[4:5]
	s_cbranch_execz .LBB709_380
; %bb.379:                              ;   in Loop: Header=BB709_12 Depth=1
	ds_read2_b64 v[5:8], v91 offset1:1
	s_waitcnt lgkmcnt(0)
	v_add_u32_e32 v5, v6, v5
	v_add3_u32 v5, v5, v7, v8
.LBB709_380:                            ;   in Loop: Header=BB709_12 Depth=1
	s_or_b64 exec, exec, s[22:23]
	v_and_b32_e32 v6, 15, v133
	v_mov_b32_dpp v7, v5 row_shr:1 row_mask:0xf bank_mask:0xf
	v_cmp_eq_u32_e64 s[22:23], 0, v6
	v_cndmask_b32_e64 v7, v7, 0, s[22:23]
	v_add_u32_e32 v5, v7, v5
	v_cmp_lt_u32_e64 s[24:25], 1, v6
	v_cmp_lt_u32_e64 s[26:27], 3, v6
	v_mov_b32_dpp v7, v5 row_shr:2 row_mask:0xf bank_mask:0xf
	v_cndmask_b32_e64 v7, 0, v7, s[24:25]
	v_add_u32_e32 v5, v5, v7
	v_cmp_lt_u32_e64 s[28:29], 7, v6
	v_cmp_lt_u32_e64 s[34:35], 31, v133
	v_mov_b32_dpp v7, v5 row_shr:4 row_mask:0xf bank_mask:0xf
	v_cndmask_b32_e64 v7, 0, v7, s[26:27]
	v_add_u32_e32 v5, v5, v7
	v_and_b32_e32 v8, 16, v133
	v_cmp_eq_u32_e64 s[30:31], 0, v8
	v_mov_b32_dpp v7, v5 row_shr:8 row_mask:0xf bank_mask:0xf
	v_cndmask_b32_e64 v6, 0, v7, s[28:29]
	v_add_u32_e32 v5, v5, v6
	v_bfe_i32 v7, v133, 4, 1
	s_nop 0
	v_mov_b32_dpp v6, v5 row_bcast:15 row_mask:0xf bank_mask:0xf
	v_and_b32_e32 v6, v7, v6
	v_add_u32_e32 v5, v5, v6
	s_nop 1
	v_mov_b32_dpp v6, v5 row_bcast:31 row_mask:0xf bank_mask:0xf
	v_cndmask_b32_e64 v6, 0, v6, s[34:35]
	v_add_u32_e32 v5, v5, v6
	s_mov_b64 s[36:37], exec
	v_readlane_b32 s8, v232, 1
	v_readlane_b32 s9, v232, 2
	s_and_b64 s[8:9], s[36:37], s[8:9]
	s_mov_b64 exec, s[8:9]
; %bb.381:                              ;   in Loop: Header=BB709_12 Depth=1
	ds_write_b32 v93, v5
; %bb.382:                              ;   in Loop: Header=BB709_12 Depth=1
	s_or_b64 exec, exec, s[36:37]
	s_waitcnt lgkmcnt(0)
	s_barrier
	s_and_saveexec_b64 s[36:37], s[10:11]
	s_cbranch_execz .LBB709_384
; %bb.383:                              ;   in Loop: Header=BB709_12 Depth=1
	ds_read_b32 v6, v94
	v_bfe_i32 v7, v133, 0, 1
	s_waitcnt lgkmcnt(0)
	v_mov_b32_dpp v8, v6 row_shr:1 row_mask:0xf bank_mask:0xf
	v_and_b32_e32 v7, v7, v8
	v_add_u32_e32 v6, v7, v6
	ds_write_b32 v94, v6
.LBB709_384:                            ;   in Loop: Header=BB709_12 Depth=1
	s_or_b64 exec, exec, s[36:37]
	v_mov_b32_e32 v6, 0
	s_waitcnt lgkmcnt(0)
	s_barrier
	s_and_saveexec_b64 s[36:37], s[12:13]
; %bb.385:                              ;   in Loop: Header=BB709_12 Depth=1
	ds_read_b32 v6, v95
; %bb.386:                              ;   in Loop: Header=BB709_12 Depth=1
	s_or_b64 exec, exec, s[36:37]
	v_subrev_co_u32_e64 v7, s[36:37], 1, v133
	v_and_b32_e32 v8, 64, v133
	v_cmp_lt_i32_e32 vcc, v7, v8
	v_cndmask_b32_e32 v7, v7, v133, vcc
	s_waitcnt lgkmcnt(0)
	v_add_u32_e32 v5, v6, v5
	v_lshlrev_b32_e32 v134, 2, v7
	ds_bpermute_b32 v5, v134, v5
	s_waitcnt lgkmcnt(0)
	s_barrier
	s_and_saveexec_b64 s[38:39], s[4:5]
; %bb.387:                              ;   in Loop: Header=BB709_12 Depth=1
	v_cndmask_b32_e64 v5, v5, v6, s[36:37]
	v_add_u32_e32 v5, s96, v5
	ds_write_b32 v71, v5
; %bb.388:                              ;   in Loop: Header=BB709_12 Depth=1
	s_or_b64 exec, exec, s[38:39]
	s_load_dwordx2 s[8:9], s[94:95], 0x0
	v_readlane_b32 s38, v232, 0
	v_and_b32_e32 v39, 3, v133
	v_and_b32_e32 v40, 63, v133
	v_cmp_lt_u32_e64 s[40:41], 1, v39
	s_waitcnt lgkmcnt(0)
	s_cmp_lt_u32 s38, s9
	s_cselect_b32 s9, 14, 20
	s_add_u32 s38, s94, s9
	s_addc_u32 s39, s95, 0
	s_cmp_lt_u32 s6, s8
	s_cselect_b32 s8, 12, 18
	s_add_u32 s8, s94, s8
	global_load_ushort v37, v3, s[38:39]
	s_addc_u32 s9, s95, 0
	global_load_ushort v38, v3, s[8:9]
	v_cmp_eq_u32_e64 s[38:39], 0, v39
	v_lshlrev_b32_e32 v39, 3, v40
	v_add_co_u32_e32 v152, vcc, v107, v39
	v_addc_co_u32_e32 v153, vcc, 0, v108, vcc
	v_or_b32_e32 v151, v40, v96
	v_add_co_u32_e32 v169, vcc, v109, v39
	s_mov_b32 s91, s33
	v_or_b32_e32 v154, 64, v151
	v_or_b32_e32 v155, 0x80, v151
	v_or_b32_e32 v156, 0xc0, v151
	v_or_b32_e32 v157, 0x100, v151
	v_or_b32_e32 v158, 0x140, v151
	v_or_b32_e32 v159, 0x180, v151
	v_or_b32_e32 v160, 0x1c0, v151
	v_or_b32_e32 v161, 0x200, v151
	v_or_b32_e32 v162, 0x240, v151
	v_or_b32_e32 v163, 0x280, v151
	v_or_b32_e32 v164, 0x2c0, v151
	v_or_b32_e32 v165, 0x300, v151
	v_or_b32_e32 v166, 0x340, v151
	v_or_b32_e32 v167, 0x380, v151
	v_or_b32_e32 v168, 0x3c0, v151
	v_addc_co_u32_e32 v170, vcc, 0, v110, vcc
	s_mov_b32 s92, s96
                                        ; implicit-def: $vgpr5_vgpr6
                                        ; implicit-def: $vgpr7_vgpr8
                                        ; implicit-def: $vgpr9_vgpr10
                                        ; implicit-def: $vgpr13_vgpr14
                                        ; implicit-def: $vgpr17_vgpr18
                                        ; implicit-def: $vgpr21_vgpr22
                                        ; implicit-def: $vgpr25_vgpr26
                                        ; implicit-def: $vgpr29_vgpr30
                                        ; implicit-def: $vgpr11_vgpr12
                                        ; implicit-def: $vgpr15_vgpr16
                                        ; implicit-def: $vgpr19_vgpr20
                                        ; implicit-def: $vgpr23_vgpr24
                                        ; implicit-def: $vgpr27_vgpr28
                                        ; implicit-def: $vgpr31_vgpr32
                                        ; implicit-def: $vgpr33_vgpr34
                                        ; implicit-def: $vgpr35_vgpr36
                                        ; implicit-def: $vgpr135
                                        ; implicit-def: $vgpr136
                                        ; implicit-def: $vgpr137
                                        ; implicit-def: $vgpr138
                                        ; implicit-def: $vgpr139
                                        ; implicit-def: $vgpr140
                                        ; implicit-def: $vgpr141
                                        ; implicit-def: $vgpr142
                                        ; implicit-def: $vgpr143
                                        ; implicit-def: $vgpr144
                                        ; implicit-def: $vgpr145
                                        ; implicit-def: $vgpr146
                                        ; implicit-def: $vgpr147
                                        ; implicit-def: $vgpr148
                                        ; implicit-def: $vgpr149
                                        ; implicit-def: $vgpr150
                                        ; implicit-def: $vgpr172
                                        ; implicit-def: $vgpr173
	s_waitcnt vmcnt(1)
	v_mad_u32_u24 v37, v2, v37, v1
	s_waitcnt vmcnt(0)
	v_mad_u64_u32 v[37:38], s[8:9], v37, v38, v[0:1]
	v_lshrrev_b32_e32 v37, 4, v37
	v_and_b32_e32 v171, 0xffffffc, v37
	s_branch .LBB709_390
.LBB709_389:                            ;   in Loop: Header=BB709_390 Depth=2
	s_or_b64 exec, exec, s[42:43]
	s_addk_i32 s91, 0xf000
	s_cmp_lt_u32 s8, s97
	s_mov_b32 s92, s8
	s_cbranch_scc0 .LBB709_600
.LBB709_390:                            ;   Parent Loop BB709_12 Depth=1
                                        ; =>  This Inner Loop Header: Depth=2
	s_add_i32 s8, s92, 0x1000
	s_cmp_gt_u32 s8, s97
	s_cbranch_scc1 .LBB709_392
; %bb.391:                              ;   in Loop: Header=BB709_390 Depth=2
	s_lshl_b64 s[42:43], s[92:93], 3
	v_mov_b32_e32 v38, s43
	v_add_co_u32_e32 v37, vcc, s42, v169
	v_addc_co_u32_e32 v38, vcc, v170, v38, vcc
	global_load_dwordx2 v[39:40], v[37:38], off
	global_load_dwordx2 v[41:42], v[37:38], off offset:512
	global_load_dwordx2 v[45:46], v[37:38], off offset:1024
	;; [unrolled: 1-line block ×7, first 2 shown]
	v_add_co_u32_e32 v37, vcc, 0x1000, v37
	v_addc_co_u32_e32 v38, vcc, 0, v38, vcc
	global_load_dwordx2 v[65:66], v[37:38], off
	global_load_dwordx2 v[63:64], v[37:38], off offset:512
	global_load_dwordx2 v[59:60], v[37:38], off offset:1024
	;; [unrolled: 1-line block ×6, first 2 shown]
	s_mov_b64 s[42:43], -1
	s_movk_i32 s9, 0x1000
	s_cbranch_execz .LBB709_393
	s_branch .LBB709_424
.LBB709_392:                            ;   in Loop: Header=BB709_390 Depth=2
	s_mov_b64 s[42:43], 0
                                        ; implicit-def: $vgpr39_vgpr40
                                        ; implicit-def: $vgpr41_vgpr42
                                        ; implicit-def: $vgpr45_vgpr46
                                        ; implicit-def: $vgpr49_vgpr50
                                        ; implicit-def: $vgpr53_vgpr54
                                        ; implicit-def: $vgpr57_vgpr58
                                        ; implicit-def: $vgpr61_vgpr62
                                        ; implicit-def: $vgpr67_vgpr68
                                        ; implicit-def: $vgpr65_vgpr66
                                        ; implicit-def: $vgpr63_vgpr64
                                        ; implicit-def: $vgpr59_vgpr60
                                        ; implicit-def: $vgpr55_vgpr56
                                        ; implicit-def: $vgpr51_vgpr52
                                        ; implicit-def: $vgpr47_vgpr48
                                        ; implicit-def: $vgpr43_vgpr44
	s_movk_i32 s9, 0x1000
.LBB709_393:                            ;   in Loop: Header=BB709_390 Depth=2
	s_lshl_b64 s[42:43], s[92:93], 3
	v_mov_b32_e32 v38, s43
	v_add_co_u32_e32 v37, vcc, s42, v169
	s_waitcnt vmcnt(13)
	v_mov_b32_e32 v41, v3
	v_addc_co_u32_e32 v38, vcc, v170, v38, vcc
	v_mov_b32_e32 v42, v4
	v_mov_b32_e32 v39, v41
	v_cmp_gt_u32_e32 vcc, s91, v151
	v_mov_b32_e32 v40, v42
	s_and_saveexec_b64 s[42:43], vcc
	s_cbranch_execz .LBB709_395
; %bb.394:                              ;   in Loop: Header=BB709_390 Depth=2
	global_load_dwordx2 v[39:40], v[37:38], off
.LBB709_395:                            ;   in Loop: Header=BB709_390 Depth=2
	s_or_b64 exec, exec, s[42:43]
	v_cmp_gt_u32_e32 vcc, s91, v154
	s_and_saveexec_b64 s[42:43], vcc
	s_cbranch_execz .LBB709_397
; %bb.396:                              ;   in Loop: Header=BB709_390 Depth=2
	global_load_dwordx2 v[41:42], v[37:38], off offset:512
.LBB709_397:                            ;   in Loop: Header=BB709_390 Depth=2
	s_or_b64 exec, exec, s[42:43]
	s_waitcnt vmcnt(12)
	v_mov_b32_e32 v46, v4
	v_cmp_gt_u32_e32 vcc, s91, v155
	v_mov_b32_e32 v45, v3
	s_and_saveexec_b64 s[42:43], vcc
	s_cbranch_execz .LBB709_399
; %bb.398:                              ;   in Loop: Header=BB709_390 Depth=2
	global_load_dwordx2 v[45:46], v[37:38], off offset:1024
.LBB709_399:                            ;   in Loop: Header=BB709_390 Depth=2
	s_or_b64 exec, exec, s[42:43]
	s_waitcnt vmcnt(11)
	v_mov_b32_e32 v50, v4
	v_cmp_gt_u32_e32 vcc, s91, v156
	v_mov_b32_e32 v49, v3
	;; [unrolled: 10-line block ×7, first 2 shown]
	s_and_saveexec_b64 s[42:43], vcc
	s_cbranch_execz .LBB709_411
; %bb.410:                              ;   in Loop: Header=BB709_390 Depth=2
	s_waitcnt vmcnt(0)
	v_add_co_u32_e32 v43, vcc, 0x1000, v37
	v_addc_co_u32_e32 v44, vcc, 0, v38, vcc
	global_load_dwordx2 v[65:66], v[43:44], off
.LBB709_411:                            ;   in Loop: Header=BB709_390 Depth=2
	s_or_b64 exec, exec, s[42:43]
	s_waitcnt vmcnt(5)
	v_mov_b32_e32 v64, v4
	v_cmp_gt_u32_e32 vcc, s91, v162
	v_mov_b32_e32 v63, v3
	s_and_saveexec_b64 s[42:43], vcc
	s_cbranch_execz .LBB709_413
; %bb.412:                              ;   in Loop: Header=BB709_390 Depth=2
	s_waitcnt vmcnt(0)
	v_add_co_u32_e32 v43, vcc, 0x1000, v37
	v_addc_co_u32_e32 v44, vcc, 0, v38, vcc
	global_load_dwordx2 v[63:64], v[43:44], off offset:512
.LBB709_413:                            ;   in Loop: Header=BB709_390 Depth=2
	s_or_b64 exec, exec, s[42:43]
	s_waitcnt vmcnt(4)
	v_mov_b32_e32 v60, v4
	v_cmp_gt_u32_e32 vcc, s91, v163
	v_mov_b32_e32 v59, v3
	s_and_saveexec_b64 s[42:43], vcc
	s_cbranch_execz .LBB709_415
; %bb.414:                              ;   in Loop: Header=BB709_390 Depth=2
	s_waitcnt vmcnt(0)
	v_add_co_u32_e32 v43, vcc, 0x1000, v37
	v_addc_co_u32_e32 v44, vcc, 0, v38, vcc
	global_load_dwordx2 v[59:60], v[43:44], off offset:1024
.LBB709_415:                            ;   in Loop: Header=BB709_390 Depth=2
	;; [unrolled: 13-line block ×5, first 2 shown]
	s_or_b64 exec, exec, s[42:43]
	s_waitcnt vmcnt(0)
	v_mov_b32_e32 v44, v4
	v_cmp_gt_u32_e32 vcc, s91, v167
	v_mov_b32_e32 v43, v3
	s_and_saveexec_b64 s[42:43], vcc
	s_cbranch_execz .LBB709_423
; %bb.422:                              ;   in Loop: Header=BB709_390 Depth=2
	v_add_co_u32_e32 v37, vcc, 0x1000, v37
	v_addc_co_u32_e32 v38, vcc, 0, v38, vcc
	global_load_dwordx2 v[43:44], v[37:38], off offset:3072
.LBB709_423:                            ;   in Loop: Header=BB709_390 Depth=2
	s_or_b64 exec, exec, s[42:43]
	s_sub_i32 s9, s97, s92
	v_cmp_gt_u32_e64 s[42:43], s91, v168
.LBB709_424:                            ;   in Loop: Header=BB709_390 Depth=2
	v_mov_b32_e32 v37, -1
	v_mov_b32_e32 v38, -1
	v_mov_b32_e32 v174, s91
	s_and_saveexec_b64 s[44:45], s[42:43]
	s_cbranch_execz .LBB709_426
; %bb.425:                              ;   in Loop: Header=BB709_390 Depth=2
	s_lshl_b64 s[42:43], s[92:93], 3
	v_mov_b32_e32 v37, s43
	v_add_co_u32_e32 v38, vcc, s42, v169
	v_addc_co_u32_e32 v69, vcc, v170, v37, vcc
	v_add_co_u32_e32 v37, vcc, 0x1000, v38
	v_addc_co_u32_e32 v38, vcc, 0, v69, vcc
	global_load_dwordx2 v[37:38], v[37:38], off offset:3584
	v_mov_b32_e32 v174, s9
	s_waitcnt vmcnt(0)
	v_xor_b32_e32 v38, 0x7fffffff, v38
	v_not_b32_e32 v37, v37
.LBB709_426:                            ;   in Loop: Header=BB709_390 Depth=2
	s_or_b64 exec, exec, s[44:45]
	s_waitcnt vmcnt(14)
	v_xor_b32_e32 v40, 0x7fffffff, v40
	v_not_b32_e32 v39, v39
	v_lshrrev_b64 v[69:70], s88, v[39:40]
	ds_write2_b32 v90, v3, v3 offset0:132 offset1:133
	ds_write_b32 v90, v3 offset:536
	v_and_b32_e32 v175, s99, v69
	v_and_b32_e32 v69, 1, v175
	v_add_co_u32_e32 v70, vcc, -1, v69
	v_addc_co_u32_e64 v177, s[42:43], 0, -1, vcc
	v_cmp_ne_u32_e32 vcc, 0, v69
	v_xor_b32_e32 v69, vcc_hi, v177
	v_xor_b32_e32 v70, vcc_lo, v70
	v_and_b32_e32 v177, exec_hi, v69
	v_and_b32_e32 v178, exec_lo, v70
	v_lshlrev_b32_e32 v70, 30, v175
	v_mov_b32_e32 v69, v3
	v_cmp_gt_i64_e32 vcc, 0, v[69:70]
	v_not_b32_e32 v69, v70
	v_ashrrev_i32_e32 v69, 31, v69
	v_xor_b32_e32 v70, vcc_hi, v69
	v_xor_b32_e32 v69, vcc_lo, v69
	v_and_b32_e32 v177, v177, v70
	v_and_b32_e32 v178, v178, v69
	v_lshlrev_b32_e32 v70, 29, v175
	v_mov_b32_e32 v69, v3
	v_cmp_gt_i64_e32 vcc, 0, v[69:70]
	v_not_b32_e32 v69, v70
	v_ashrrev_i32_e32 v69, 31, v69
	v_xor_b32_e32 v70, vcc_hi, v69
	v_xor_b32_e32 v69, vcc_lo, v69
	v_and_b32_e32 v177, v177, v70
	v_and_b32_e32 v178, v178, v69
	;; [unrolled: 9-line block ×5, first 2 shown]
	v_lshlrev_b32_e32 v70, 25, v175
	v_mov_b32_e32 v69, v3
	v_cmp_gt_i64_e32 vcc, 0, v[69:70]
	v_not_b32_e32 v69, v70
	v_ashrrev_i32_e32 v69, 31, v69
	v_xor_b32_e32 v70, vcc_hi, v69
	v_xor_b32_e32 v69, vcc_lo, v69
	v_and_b32_e32 v69, v178, v69
	v_mul_u32_u24_e32 v176, 20, v175
	v_and_b32_e32 v70, v177, v70
	v_mbcnt_lo_u32_b32 v175, v69, 0
	v_mbcnt_hi_u32_b32 v175, v70, v175
	v_cmp_ne_u64_e32 vcc, 0, v[69:70]
	v_cmp_eq_u32_e64 s[42:43], 0, v175
	s_and_b64 s[44:45], vcc, s[42:43]
	v_add_u32_e32 v177, v171, v176
	s_waitcnt vmcnt(0) lgkmcnt(0)
	s_barrier
	; wave barrier
	s_and_saveexec_b64 s[42:43], s[44:45]
; %bb.427:                              ;   in Loop: Header=BB709_390 Depth=2
	v_bcnt_u32_b32 v69, v69, 0
	v_bcnt_u32_b32 v69, v70, v69
	ds_write_b32 v177, v69 offset:528
; %bb.428:                              ;   in Loop: Header=BB709_390 Depth=2
	s_or_b64 exec, exec, s[42:43]
	v_xor_b32_e32 v42, 0x7fffffff, v42
	v_not_b32_e32 v41, v41
	v_lshrrev_b64 v[69:70], s88, v[41:42]
	v_and_b32_e32 v178, s99, v69
	v_mad_u32_u24 v69, v178, 20, v171
	; wave barrier
	ds_read_b32 v176, v69 offset:528
	v_and_b32_e32 v69, 1, v178
	v_add_co_u32_e32 v70, vcc, -1, v69
	v_addc_co_u32_e64 v180, s[42:43], 0, -1, vcc
	v_cmp_ne_u32_e32 vcc, 0, v69
	v_xor_b32_e32 v69, vcc_hi, v180
	v_xor_b32_e32 v70, vcc_lo, v70
	v_and_b32_e32 v180, exec_hi, v69
	v_and_b32_e32 v181, exec_lo, v70
	v_lshlrev_b32_e32 v70, 30, v178
	v_mov_b32_e32 v69, v3
	v_cmp_gt_i64_e32 vcc, 0, v[69:70]
	v_not_b32_e32 v69, v70
	v_ashrrev_i32_e32 v69, 31, v69
	v_xor_b32_e32 v70, vcc_hi, v69
	v_xor_b32_e32 v69, vcc_lo, v69
	v_and_b32_e32 v180, v180, v70
	v_and_b32_e32 v181, v181, v69
	v_lshlrev_b32_e32 v70, 29, v178
	v_mov_b32_e32 v69, v3
	v_cmp_gt_i64_e32 vcc, 0, v[69:70]
	v_not_b32_e32 v69, v70
	v_ashrrev_i32_e32 v69, 31, v69
	v_xor_b32_e32 v70, vcc_hi, v69
	v_xor_b32_e32 v69, vcc_lo, v69
	v_and_b32_e32 v180, v180, v70
	v_and_b32_e32 v181, v181, v69
	;; [unrolled: 9-line block ×5, first 2 shown]
	v_lshlrev_b32_e32 v70, 25, v178
	v_mov_b32_e32 v69, v3
	v_cmp_gt_i64_e32 vcc, 0, v[69:70]
	v_not_b32_e32 v69, v70
	v_ashrrev_i32_e32 v69, 31, v69
	v_xor_b32_e32 v70, vcc_hi, v69
	v_xor_b32_e32 v69, vcc_lo, v69
	v_and_b32_e32 v69, v181, v69
	v_mul_u32_u24_e32 v179, 20, v178
	v_and_b32_e32 v70, v180, v70
	v_mbcnt_lo_u32_b32 v178, v69, 0
	v_mbcnt_hi_u32_b32 v178, v70, v178
	v_cmp_ne_u64_e32 vcc, 0, v[69:70]
	v_cmp_eq_u32_e64 s[42:43], 0, v178
	s_and_b64 s[44:45], vcc, s[42:43]
	v_add_u32_e32 v180, v171, v179
	; wave barrier
	s_and_saveexec_b64 s[42:43], s[44:45]
	s_cbranch_execz .LBB709_430
; %bb.429:                              ;   in Loop: Header=BB709_390 Depth=2
	v_bcnt_u32_b32 v69, v69, 0
	v_bcnt_u32_b32 v69, v70, v69
	s_waitcnt lgkmcnt(0)
	v_add_u32_e32 v69, v176, v69
	ds_write_b32 v180, v69 offset:528
.LBB709_430:                            ;   in Loop: Header=BB709_390 Depth=2
	s_or_b64 exec, exec, s[42:43]
	v_xor_b32_e32 v46, 0x7fffffff, v46
	v_not_b32_e32 v45, v45
	v_lshrrev_b64 v[69:70], s88, v[45:46]
	v_and_b32_e32 v181, s99, v69
	v_mad_u32_u24 v69, v181, 20, v171
	; wave barrier
	ds_read_b32 v179, v69 offset:528
	v_and_b32_e32 v69, 1, v181
	v_add_co_u32_e32 v70, vcc, -1, v69
	v_addc_co_u32_e64 v183, s[42:43], 0, -1, vcc
	v_cmp_ne_u32_e32 vcc, 0, v69
	v_xor_b32_e32 v69, vcc_hi, v183
	v_xor_b32_e32 v70, vcc_lo, v70
	v_and_b32_e32 v183, exec_hi, v69
	v_and_b32_e32 v184, exec_lo, v70
	v_lshlrev_b32_e32 v70, 30, v181
	v_mov_b32_e32 v69, v3
	v_cmp_gt_i64_e32 vcc, 0, v[69:70]
	v_not_b32_e32 v69, v70
	v_ashrrev_i32_e32 v69, 31, v69
	v_xor_b32_e32 v70, vcc_hi, v69
	v_xor_b32_e32 v69, vcc_lo, v69
	v_and_b32_e32 v183, v183, v70
	v_and_b32_e32 v184, v184, v69
	v_lshlrev_b32_e32 v70, 29, v181
	v_mov_b32_e32 v69, v3
	v_cmp_gt_i64_e32 vcc, 0, v[69:70]
	v_not_b32_e32 v69, v70
	v_ashrrev_i32_e32 v69, 31, v69
	v_xor_b32_e32 v70, vcc_hi, v69
	v_xor_b32_e32 v69, vcc_lo, v69
	v_and_b32_e32 v183, v183, v70
	v_and_b32_e32 v184, v184, v69
	;; [unrolled: 9-line block ×5, first 2 shown]
	v_lshlrev_b32_e32 v70, 25, v181
	v_mov_b32_e32 v69, v3
	v_cmp_gt_i64_e32 vcc, 0, v[69:70]
	v_not_b32_e32 v69, v70
	v_ashrrev_i32_e32 v69, 31, v69
	v_xor_b32_e32 v70, vcc_hi, v69
	v_xor_b32_e32 v69, vcc_lo, v69
	v_and_b32_e32 v69, v184, v69
	v_mul_u32_u24_e32 v182, 20, v181
	v_and_b32_e32 v70, v183, v70
	v_mbcnt_lo_u32_b32 v181, v69, 0
	v_mbcnt_hi_u32_b32 v181, v70, v181
	v_cmp_ne_u64_e32 vcc, 0, v[69:70]
	v_cmp_eq_u32_e64 s[42:43], 0, v181
	s_and_b64 s[44:45], vcc, s[42:43]
	v_add_u32_e32 v183, v171, v182
	; wave barrier
	s_and_saveexec_b64 s[42:43], s[44:45]
	s_cbranch_execz .LBB709_432
; %bb.431:                              ;   in Loop: Header=BB709_390 Depth=2
	v_bcnt_u32_b32 v69, v69, 0
	v_bcnt_u32_b32 v69, v70, v69
	s_waitcnt lgkmcnt(0)
	v_add_u32_e32 v69, v179, v69
	ds_write_b32 v183, v69 offset:528
.LBB709_432:                            ;   in Loop: Header=BB709_390 Depth=2
	s_or_b64 exec, exec, s[42:43]
	v_xor_b32_e32 v50, 0x7fffffff, v50
	v_not_b32_e32 v49, v49
	v_lshrrev_b64 v[69:70], s88, v[49:50]
	v_and_b32_e32 v184, s99, v69
	v_mad_u32_u24 v69, v184, 20, v171
	; wave barrier
	ds_read_b32 v182, v69 offset:528
	v_and_b32_e32 v69, 1, v184
	v_add_co_u32_e32 v70, vcc, -1, v69
	v_addc_co_u32_e64 v186, s[42:43], 0, -1, vcc
	v_cmp_ne_u32_e32 vcc, 0, v69
	v_xor_b32_e32 v69, vcc_hi, v186
	v_xor_b32_e32 v70, vcc_lo, v70
	v_and_b32_e32 v186, exec_hi, v69
	v_and_b32_e32 v187, exec_lo, v70
	v_lshlrev_b32_e32 v70, 30, v184
	v_mov_b32_e32 v69, v3
	v_cmp_gt_i64_e32 vcc, 0, v[69:70]
	v_not_b32_e32 v69, v70
	v_ashrrev_i32_e32 v69, 31, v69
	v_xor_b32_e32 v70, vcc_hi, v69
	v_xor_b32_e32 v69, vcc_lo, v69
	v_and_b32_e32 v186, v186, v70
	v_and_b32_e32 v187, v187, v69
	v_lshlrev_b32_e32 v70, 29, v184
	v_mov_b32_e32 v69, v3
	v_cmp_gt_i64_e32 vcc, 0, v[69:70]
	v_not_b32_e32 v69, v70
	v_ashrrev_i32_e32 v69, 31, v69
	v_xor_b32_e32 v70, vcc_hi, v69
	v_xor_b32_e32 v69, vcc_lo, v69
	v_and_b32_e32 v186, v186, v70
	v_and_b32_e32 v187, v187, v69
	;; [unrolled: 9-line block ×5, first 2 shown]
	v_lshlrev_b32_e32 v70, 25, v184
	v_mov_b32_e32 v69, v3
	v_cmp_gt_i64_e32 vcc, 0, v[69:70]
	v_not_b32_e32 v69, v70
	v_ashrrev_i32_e32 v69, 31, v69
	v_xor_b32_e32 v70, vcc_hi, v69
	v_xor_b32_e32 v69, vcc_lo, v69
	v_and_b32_e32 v69, v187, v69
	v_mul_u32_u24_e32 v185, 20, v184
	v_and_b32_e32 v70, v186, v70
	v_mbcnt_lo_u32_b32 v184, v69, 0
	v_mbcnt_hi_u32_b32 v184, v70, v184
	v_cmp_ne_u64_e32 vcc, 0, v[69:70]
	v_cmp_eq_u32_e64 s[42:43], 0, v184
	s_and_b64 s[44:45], vcc, s[42:43]
	v_add_u32_e32 v186, v171, v185
	; wave barrier
	s_and_saveexec_b64 s[42:43], s[44:45]
	s_cbranch_execz .LBB709_434
; %bb.433:                              ;   in Loop: Header=BB709_390 Depth=2
	v_bcnt_u32_b32 v69, v69, 0
	v_bcnt_u32_b32 v69, v70, v69
	s_waitcnt lgkmcnt(0)
	v_add_u32_e32 v69, v182, v69
	ds_write_b32 v186, v69 offset:528
.LBB709_434:                            ;   in Loop: Header=BB709_390 Depth=2
	s_or_b64 exec, exec, s[42:43]
	v_xor_b32_e32 v54, 0x7fffffff, v54
	v_not_b32_e32 v53, v53
	v_lshrrev_b64 v[69:70], s88, v[53:54]
	v_and_b32_e32 v187, s99, v69
	v_mad_u32_u24 v69, v187, 20, v171
	; wave barrier
	ds_read_b32 v185, v69 offset:528
	v_and_b32_e32 v69, 1, v187
	v_add_co_u32_e32 v70, vcc, -1, v69
	v_addc_co_u32_e64 v189, s[42:43], 0, -1, vcc
	v_cmp_ne_u32_e32 vcc, 0, v69
	v_xor_b32_e32 v69, vcc_hi, v189
	v_xor_b32_e32 v70, vcc_lo, v70
	v_and_b32_e32 v189, exec_hi, v69
	v_and_b32_e32 v190, exec_lo, v70
	v_lshlrev_b32_e32 v70, 30, v187
	v_mov_b32_e32 v69, v3
	v_cmp_gt_i64_e32 vcc, 0, v[69:70]
	v_not_b32_e32 v69, v70
	v_ashrrev_i32_e32 v69, 31, v69
	v_xor_b32_e32 v70, vcc_hi, v69
	v_xor_b32_e32 v69, vcc_lo, v69
	v_and_b32_e32 v189, v189, v70
	v_and_b32_e32 v190, v190, v69
	v_lshlrev_b32_e32 v70, 29, v187
	v_mov_b32_e32 v69, v3
	v_cmp_gt_i64_e32 vcc, 0, v[69:70]
	v_not_b32_e32 v69, v70
	v_ashrrev_i32_e32 v69, 31, v69
	v_xor_b32_e32 v70, vcc_hi, v69
	v_xor_b32_e32 v69, vcc_lo, v69
	v_and_b32_e32 v189, v189, v70
	v_and_b32_e32 v190, v190, v69
	;; [unrolled: 9-line block ×5, first 2 shown]
	v_lshlrev_b32_e32 v70, 25, v187
	v_mov_b32_e32 v69, v3
	v_cmp_gt_i64_e32 vcc, 0, v[69:70]
	v_not_b32_e32 v69, v70
	v_ashrrev_i32_e32 v69, 31, v69
	v_xor_b32_e32 v70, vcc_hi, v69
	v_xor_b32_e32 v69, vcc_lo, v69
	v_and_b32_e32 v69, v190, v69
	v_mul_u32_u24_e32 v188, 20, v187
	v_and_b32_e32 v70, v189, v70
	v_mbcnt_lo_u32_b32 v187, v69, 0
	v_mbcnt_hi_u32_b32 v187, v70, v187
	v_cmp_ne_u64_e32 vcc, 0, v[69:70]
	v_cmp_eq_u32_e64 s[42:43], 0, v187
	s_and_b64 s[44:45], vcc, s[42:43]
	v_add_u32_e32 v189, v171, v188
	; wave barrier
	s_and_saveexec_b64 s[42:43], s[44:45]
	s_cbranch_execz .LBB709_436
; %bb.435:                              ;   in Loop: Header=BB709_390 Depth=2
	v_bcnt_u32_b32 v69, v69, 0
	v_bcnt_u32_b32 v69, v70, v69
	s_waitcnt lgkmcnt(0)
	v_add_u32_e32 v69, v185, v69
	ds_write_b32 v189, v69 offset:528
.LBB709_436:                            ;   in Loop: Header=BB709_390 Depth=2
	s_or_b64 exec, exec, s[42:43]
	v_xor_b32_e32 v58, 0x7fffffff, v58
	v_not_b32_e32 v57, v57
	v_lshrrev_b64 v[69:70], s88, v[57:58]
	v_and_b32_e32 v190, s99, v69
	v_mad_u32_u24 v69, v190, 20, v171
	; wave barrier
	ds_read_b32 v188, v69 offset:528
	v_and_b32_e32 v69, 1, v190
	v_add_co_u32_e32 v70, vcc, -1, v69
	v_addc_co_u32_e64 v192, s[42:43], 0, -1, vcc
	v_cmp_ne_u32_e32 vcc, 0, v69
	v_xor_b32_e32 v69, vcc_hi, v192
	v_xor_b32_e32 v70, vcc_lo, v70
	v_and_b32_e32 v192, exec_hi, v69
	v_and_b32_e32 v193, exec_lo, v70
	v_lshlrev_b32_e32 v70, 30, v190
	v_mov_b32_e32 v69, v3
	v_cmp_gt_i64_e32 vcc, 0, v[69:70]
	v_not_b32_e32 v69, v70
	v_ashrrev_i32_e32 v69, 31, v69
	v_xor_b32_e32 v70, vcc_hi, v69
	v_xor_b32_e32 v69, vcc_lo, v69
	v_and_b32_e32 v192, v192, v70
	v_and_b32_e32 v193, v193, v69
	v_lshlrev_b32_e32 v70, 29, v190
	v_mov_b32_e32 v69, v3
	v_cmp_gt_i64_e32 vcc, 0, v[69:70]
	v_not_b32_e32 v69, v70
	v_ashrrev_i32_e32 v69, 31, v69
	v_xor_b32_e32 v70, vcc_hi, v69
	v_xor_b32_e32 v69, vcc_lo, v69
	v_and_b32_e32 v192, v192, v70
	v_and_b32_e32 v193, v193, v69
	;; [unrolled: 9-line block ×5, first 2 shown]
	v_lshlrev_b32_e32 v70, 25, v190
	v_mov_b32_e32 v69, v3
	v_cmp_gt_i64_e32 vcc, 0, v[69:70]
	v_not_b32_e32 v69, v70
	v_ashrrev_i32_e32 v69, 31, v69
	v_xor_b32_e32 v70, vcc_hi, v69
	v_xor_b32_e32 v69, vcc_lo, v69
	v_and_b32_e32 v69, v193, v69
	v_mul_u32_u24_e32 v191, 20, v190
	v_and_b32_e32 v70, v192, v70
	v_mbcnt_lo_u32_b32 v190, v69, 0
	v_mbcnt_hi_u32_b32 v190, v70, v190
	v_cmp_ne_u64_e32 vcc, 0, v[69:70]
	v_cmp_eq_u32_e64 s[42:43], 0, v190
	s_and_b64 s[44:45], vcc, s[42:43]
	v_add_u32_e32 v192, v171, v191
	; wave barrier
	s_and_saveexec_b64 s[42:43], s[44:45]
	s_cbranch_execz .LBB709_438
; %bb.437:                              ;   in Loop: Header=BB709_390 Depth=2
	v_bcnt_u32_b32 v69, v69, 0
	v_bcnt_u32_b32 v69, v70, v69
	s_waitcnt lgkmcnt(0)
	v_add_u32_e32 v69, v188, v69
	ds_write_b32 v192, v69 offset:528
.LBB709_438:                            ;   in Loop: Header=BB709_390 Depth=2
	s_or_b64 exec, exec, s[42:43]
	v_xor_b32_e32 v62, 0x7fffffff, v62
	v_not_b32_e32 v61, v61
	v_lshrrev_b64 v[69:70], s88, v[61:62]
	v_and_b32_e32 v193, s99, v69
	v_mad_u32_u24 v69, v193, 20, v171
	; wave barrier
	ds_read_b32 v191, v69 offset:528
	v_and_b32_e32 v69, 1, v193
	v_add_co_u32_e32 v70, vcc, -1, v69
	v_addc_co_u32_e64 v195, s[42:43], 0, -1, vcc
	v_cmp_ne_u32_e32 vcc, 0, v69
	v_xor_b32_e32 v69, vcc_hi, v195
	v_xor_b32_e32 v70, vcc_lo, v70
	v_and_b32_e32 v195, exec_hi, v69
	v_and_b32_e32 v196, exec_lo, v70
	v_lshlrev_b32_e32 v70, 30, v193
	v_mov_b32_e32 v69, v3
	v_cmp_gt_i64_e32 vcc, 0, v[69:70]
	v_not_b32_e32 v69, v70
	v_ashrrev_i32_e32 v69, 31, v69
	v_xor_b32_e32 v70, vcc_hi, v69
	v_xor_b32_e32 v69, vcc_lo, v69
	v_and_b32_e32 v195, v195, v70
	v_and_b32_e32 v196, v196, v69
	v_lshlrev_b32_e32 v70, 29, v193
	v_mov_b32_e32 v69, v3
	v_cmp_gt_i64_e32 vcc, 0, v[69:70]
	v_not_b32_e32 v69, v70
	v_ashrrev_i32_e32 v69, 31, v69
	v_xor_b32_e32 v70, vcc_hi, v69
	v_xor_b32_e32 v69, vcc_lo, v69
	v_and_b32_e32 v195, v195, v70
	v_and_b32_e32 v196, v196, v69
	;; [unrolled: 9-line block ×5, first 2 shown]
	v_lshlrev_b32_e32 v70, 25, v193
	v_mov_b32_e32 v69, v3
	v_cmp_gt_i64_e32 vcc, 0, v[69:70]
	v_not_b32_e32 v69, v70
	v_ashrrev_i32_e32 v69, 31, v69
	v_xor_b32_e32 v70, vcc_hi, v69
	v_xor_b32_e32 v69, vcc_lo, v69
	v_and_b32_e32 v69, v196, v69
	v_mul_u32_u24_e32 v194, 20, v193
	v_and_b32_e32 v70, v195, v70
	v_mbcnt_lo_u32_b32 v193, v69, 0
	v_mbcnt_hi_u32_b32 v193, v70, v193
	v_cmp_ne_u64_e32 vcc, 0, v[69:70]
	v_cmp_eq_u32_e64 s[42:43], 0, v193
	s_and_b64 s[44:45], vcc, s[42:43]
	v_add_u32_e32 v195, v171, v194
	; wave barrier
	s_and_saveexec_b64 s[42:43], s[44:45]
	s_cbranch_execz .LBB709_440
; %bb.439:                              ;   in Loop: Header=BB709_390 Depth=2
	v_bcnt_u32_b32 v69, v69, 0
	v_bcnt_u32_b32 v69, v70, v69
	s_waitcnt lgkmcnt(0)
	v_add_u32_e32 v69, v191, v69
	ds_write_b32 v195, v69 offset:528
.LBB709_440:                            ;   in Loop: Header=BB709_390 Depth=2
	s_or_b64 exec, exec, s[42:43]
	v_xor_b32_e32 v68, 0x7fffffff, v68
	v_not_b32_e32 v67, v67
	v_lshrrev_b64 v[69:70], s88, v[67:68]
	v_and_b32_e32 v196, s99, v69
	v_mad_u32_u24 v69, v196, 20, v171
	; wave barrier
	ds_read_b32 v194, v69 offset:528
	v_and_b32_e32 v69, 1, v196
	v_add_co_u32_e32 v70, vcc, -1, v69
	v_addc_co_u32_e64 v198, s[42:43], 0, -1, vcc
	v_cmp_ne_u32_e32 vcc, 0, v69
	v_xor_b32_e32 v69, vcc_hi, v198
	v_xor_b32_e32 v70, vcc_lo, v70
	v_and_b32_e32 v198, exec_hi, v69
	v_and_b32_e32 v199, exec_lo, v70
	v_lshlrev_b32_e32 v70, 30, v196
	v_mov_b32_e32 v69, v3
	v_cmp_gt_i64_e32 vcc, 0, v[69:70]
	v_not_b32_e32 v69, v70
	v_ashrrev_i32_e32 v69, 31, v69
	v_xor_b32_e32 v70, vcc_hi, v69
	v_xor_b32_e32 v69, vcc_lo, v69
	v_and_b32_e32 v198, v198, v70
	v_and_b32_e32 v199, v199, v69
	v_lshlrev_b32_e32 v70, 29, v196
	v_mov_b32_e32 v69, v3
	v_cmp_gt_i64_e32 vcc, 0, v[69:70]
	v_not_b32_e32 v69, v70
	v_ashrrev_i32_e32 v69, 31, v69
	v_xor_b32_e32 v70, vcc_hi, v69
	v_xor_b32_e32 v69, vcc_lo, v69
	v_and_b32_e32 v198, v198, v70
	v_and_b32_e32 v199, v199, v69
	v_lshlrev_b32_e32 v70, 28, v196
	v_mov_b32_e32 v69, v3
	v_cmp_gt_i64_e32 vcc, 0, v[69:70]
	v_not_b32_e32 v69, v70
	v_ashrrev_i32_e32 v69, 31, v69
	v_xor_b32_e32 v70, vcc_hi, v69
	v_xor_b32_e32 v69, vcc_lo, v69
	v_and_b32_e32 v198, v198, v70
	v_and_b32_e32 v199, v199, v69
	v_lshlrev_b32_e32 v70, 27, v196
	v_mov_b32_e32 v69, v3
	v_cmp_gt_i64_e32 vcc, 0, v[69:70]
	v_not_b32_e32 v69, v70
	v_ashrrev_i32_e32 v69, 31, v69
	v_xor_b32_e32 v70, vcc_hi, v69
	v_xor_b32_e32 v69, vcc_lo, v69
	v_and_b32_e32 v198, v198, v70
	v_and_b32_e32 v199, v199, v69
	v_lshlrev_b32_e32 v70, 26, v196
	v_mov_b32_e32 v69, v3
	v_cmp_gt_i64_e32 vcc, 0, v[69:70]
	v_not_b32_e32 v69, v70
	v_ashrrev_i32_e32 v69, 31, v69
	v_xor_b32_e32 v70, vcc_hi, v69
	v_xor_b32_e32 v69, vcc_lo, v69
	v_and_b32_e32 v198, v198, v70
	v_and_b32_e32 v199, v199, v69
	v_lshlrev_b32_e32 v70, 25, v196
	v_mov_b32_e32 v69, v3
	v_cmp_gt_i64_e32 vcc, 0, v[69:70]
	v_not_b32_e32 v69, v70
	v_ashrrev_i32_e32 v69, 31, v69
	v_xor_b32_e32 v70, vcc_hi, v69
	v_xor_b32_e32 v69, vcc_lo, v69
	v_and_b32_e32 v69, v199, v69
	v_mul_u32_u24_e32 v197, 20, v196
	v_and_b32_e32 v70, v198, v70
	v_mbcnt_lo_u32_b32 v196, v69, 0
	v_mbcnt_hi_u32_b32 v196, v70, v196
	v_cmp_ne_u64_e32 vcc, 0, v[69:70]
	v_cmp_eq_u32_e64 s[42:43], 0, v196
	s_and_b64 s[44:45], vcc, s[42:43]
	v_add_u32_e32 v198, v171, v197
	; wave barrier
	s_and_saveexec_b64 s[42:43], s[44:45]
	s_cbranch_execz .LBB709_442
; %bb.441:                              ;   in Loop: Header=BB709_390 Depth=2
	v_bcnt_u32_b32 v69, v69, 0
	v_bcnt_u32_b32 v69, v70, v69
	s_waitcnt lgkmcnt(0)
	v_add_u32_e32 v69, v194, v69
	ds_write_b32 v198, v69 offset:528
.LBB709_442:                            ;   in Loop: Header=BB709_390 Depth=2
	s_or_b64 exec, exec, s[42:43]
	v_xor_b32_e32 v66, 0x7fffffff, v66
	v_not_b32_e32 v65, v65
	v_lshrrev_b64 v[69:70], s88, v[65:66]
	v_and_b32_e32 v199, s99, v69
	v_mad_u32_u24 v69, v199, 20, v171
	; wave barrier
	ds_read_b32 v197, v69 offset:528
	v_and_b32_e32 v69, 1, v199
	v_add_co_u32_e32 v70, vcc, -1, v69
	v_addc_co_u32_e64 v201, s[42:43], 0, -1, vcc
	v_cmp_ne_u32_e32 vcc, 0, v69
	v_xor_b32_e32 v69, vcc_hi, v201
	v_xor_b32_e32 v70, vcc_lo, v70
	v_and_b32_e32 v201, exec_hi, v69
	v_and_b32_e32 v202, exec_lo, v70
	v_lshlrev_b32_e32 v70, 30, v199
	v_mov_b32_e32 v69, v3
	v_cmp_gt_i64_e32 vcc, 0, v[69:70]
	v_not_b32_e32 v69, v70
	v_ashrrev_i32_e32 v69, 31, v69
	v_xor_b32_e32 v70, vcc_hi, v69
	v_xor_b32_e32 v69, vcc_lo, v69
	v_and_b32_e32 v201, v201, v70
	v_and_b32_e32 v202, v202, v69
	v_lshlrev_b32_e32 v70, 29, v199
	v_mov_b32_e32 v69, v3
	v_cmp_gt_i64_e32 vcc, 0, v[69:70]
	v_not_b32_e32 v69, v70
	v_ashrrev_i32_e32 v69, 31, v69
	v_xor_b32_e32 v70, vcc_hi, v69
	v_xor_b32_e32 v69, vcc_lo, v69
	v_and_b32_e32 v201, v201, v70
	v_and_b32_e32 v202, v202, v69
	;; [unrolled: 9-line block ×5, first 2 shown]
	v_lshlrev_b32_e32 v70, 25, v199
	v_mov_b32_e32 v69, v3
	v_cmp_gt_i64_e32 vcc, 0, v[69:70]
	v_not_b32_e32 v69, v70
	v_ashrrev_i32_e32 v69, 31, v69
	v_xor_b32_e32 v70, vcc_hi, v69
	v_xor_b32_e32 v69, vcc_lo, v69
	v_and_b32_e32 v69, v202, v69
	v_mul_u32_u24_e32 v200, 20, v199
	v_and_b32_e32 v70, v201, v70
	v_mbcnt_lo_u32_b32 v199, v69, 0
	v_mbcnt_hi_u32_b32 v199, v70, v199
	v_cmp_ne_u64_e32 vcc, 0, v[69:70]
	v_cmp_eq_u32_e64 s[42:43], 0, v199
	s_and_b64 s[44:45], vcc, s[42:43]
	v_add_u32_e32 v201, v171, v200
	; wave barrier
	s_and_saveexec_b64 s[42:43], s[44:45]
	s_cbranch_execz .LBB709_444
; %bb.443:                              ;   in Loop: Header=BB709_390 Depth=2
	v_bcnt_u32_b32 v69, v69, 0
	v_bcnt_u32_b32 v69, v70, v69
	s_waitcnt lgkmcnt(0)
	v_add_u32_e32 v69, v197, v69
	ds_write_b32 v201, v69 offset:528
.LBB709_444:                            ;   in Loop: Header=BB709_390 Depth=2
	s_or_b64 exec, exec, s[42:43]
	v_xor_b32_e32 v64, 0x7fffffff, v64
	v_not_b32_e32 v63, v63
	v_lshrrev_b64 v[69:70], s88, v[63:64]
	v_and_b32_e32 v202, s99, v69
	v_mad_u32_u24 v69, v202, 20, v171
	; wave barrier
	ds_read_b32 v200, v69 offset:528
	v_and_b32_e32 v69, 1, v202
	v_add_co_u32_e32 v70, vcc, -1, v69
	v_addc_co_u32_e64 v204, s[42:43], 0, -1, vcc
	v_cmp_ne_u32_e32 vcc, 0, v69
	v_xor_b32_e32 v69, vcc_hi, v204
	v_xor_b32_e32 v70, vcc_lo, v70
	v_and_b32_e32 v204, exec_hi, v69
	v_and_b32_e32 v205, exec_lo, v70
	v_lshlrev_b32_e32 v70, 30, v202
	v_mov_b32_e32 v69, v3
	v_cmp_gt_i64_e32 vcc, 0, v[69:70]
	v_not_b32_e32 v69, v70
	v_ashrrev_i32_e32 v69, 31, v69
	v_xor_b32_e32 v70, vcc_hi, v69
	v_xor_b32_e32 v69, vcc_lo, v69
	v_and_b32_e32 v204, v204, v70
	v_and_b32_e32 v205, v205, v69
	v_lshlrev_b32_e32 v70, 29, v202
	v_mov_b32_e32 v69, v3
	v_cmp_gt_i64_e32 vcc, 0, v[69:70]
	v_not_b32_e32 v69, v70
	v_ashrrev_i32_e32 v69, 31, v69
	v_xor_b32_e32 v70, vcc_hi, v69
	v_xor_b32_e32 v69, vcc_lo, v69
	v_and_b32_e32 v204, v204, v70
	v_and_b32_e32 v205, v205, v69
	;; [unrolled: 9-line block ×5, first 2 shown]
	v_lshlrev_b32_e32 v70, 25, v202
	v_mov_b32_e32 v69, v3
	v_cmp_gt_i64_e32 vcc, 0, v[69:70]
	v_not_b32_e32 v69, v70
	v_ashrrev_i32_e32 v69, 31, v69
	v_xor_b32_e32 v70, vcc_hi, v69
	v_xor_b32_e32 v69, vcc_lo, v69
	v_and_b32_e32 v69, v205, v69
	v_mul_u32_u24_e32 v203, 20, v202
	v_and_b32_e32 v70, v204, v70
	v_mbcnt_lo_u32_b32 v202, v69, 0
	v_mbcnt_hi_u32_b32 v202, v70, v202
	v_cmp_ne_u64_e32 vcc, 0, v[69:70]
	v_cmp_eq_u32_e64 s[42:43], 0, v202
	s_and_b64 s[44:45], vcc, s[42:43]
	v_add_u32_e32 v205, v171, v203
	; wave barrier
	s_and_saveexec_b64 s[42:43], s[44:45]
	s_cbranch_execz .LBB709_446
; %bb.445:                              ;   in Loop: Header=BB709_390 Depth=2
	v_bcnt_u32_b32 v69, v69, 0
	v_bcnt_u32_b32 v69, v70, v69
	s_waitcnt lgkmcnt(0)
	v_add_u32_e32 v69, v200, v69
	ds_write_b32 v205, v69 offset:528
.LBB709_446:                            ;   in Loop: Header=BB709_390 Depth=2
	s_or_b64 exec, exec, s[42:43]
	v_xor_b32_e32 v60, 0x7fffffff, v60
	v_not_b32_e32 v59, v59
	v_lshrrev_b64 v[69:70], s88, v[59:60]
	v_and_b32_e32 v204, s99, v69
	v_mad_u32_u24 v69, v204, 20, v171
	; wave barrier
	ds_read_b32 v203, v69 offset:528
	v_and_b32_e32 v69, 1, v204
	v_add_co_u32_e32 v70, vcc, -1, v69
	v_addc_co_u32_e64 v207, s[42:43], 0, -1, vcc
	v_cmp_ne_u32_e32 vcc, 0, v69
	v_xor_b32_e32 v69, vcc_hi, v207
	v_xor_b32_e32 v70, vcc_lo, v70
	v_and_b32_e32 v207, exec_hi, v69
	v_and_b32_e32 v208, exec_lo, v70
	v_lshlrev_b32_e32 v70, 30, v204
	v_mov_b32_e32 v69, v3
	v_cmp_gt_i64_e32 vcc, 0, v[69:70]
	v_not_b32_e32 v69, v70
	v_ashrrev_i32_e32 v69, 31, v69
	v_xor_b32_e32 v70, vcc_hi, v69
	v_xor_b32_e32 v69, vcc_lo, v69
	v_and_b32_e32 v207, v207, v70
	v_and_b32_e32 v208, v208, v69
	v_lshlrev_b32_e32 v70, 29, v204
	v_mov_b32_e32 v69, v3
	v_cmp_gt_i64_e32 vcc, 0, v[69:70]
	v_not_b32_e32 v69, v70
	v_ashrrev_i32_e32 v69, 31, v69
	v_xor_b32_e32 v70, vcc_hi, v69
	v_xor_b32_e32 v69, vcc_lo, v69
	v_and_b32_e32 v207, v207, v70
	v_and_b32_e32 v208, v208, v69
	;; [unrolled: 9-line block ×5, first 2 shown]
	v_lshlrev_b32_e32 v70, 25, v204
	v_mov_b32_e32 v69, v3
	v_cmp_gt_i64_e32 vcc, 0, v[69:70]
	v_not_b32_e32 v69, v70
	v_ashrrev_i32_e32 v69, 31, v69
	v_xor_b32_e32 v70, vcc_hi, v69
	v_xor_b32_e32 v69, vcc_lo, v69
	v_and_b32_e32 v69, v208, v69
	v_mul_u32_u24_e32 v206, 20, v204
	v_and_b32_e32 v70, v207, v70
	v_mbcnt_lo_u32_b32 v204, v69, 0
	v_mbcnt_hi_u32_b32 v204, v70, v204
	v_cmp_ne_u64_e32 vcc, 0, v[69:70]
	v_cmp_eq_u32_e64 s[42:43], 0, v204
	s_and_b64 s[44:45], vcc, s[42:43]
	v_add_u32_e32 v208, v171, v206
	; wave barrier
	s_and_saveexec_b64 s[42:43], s[44:45]
	s_cbranch_execz .LBB709_448
; %bb.447:                              ;   in Loop: Header=BB709_390 Depth=2
	v_bcnt_u32_b32 v69, v69, 0
	v_bcnt_u32_b32 v69, v70, v69
	s_waitcnt lgkmcnt(0)
	v_add_u32_e32 v69, v203, v69
	ds_write_b32 v208, v69 offset:528
.LBB709_448:                            ;   in Loop: Header=BB709_390 Depth=2
	s_or_b64 exec, exec, s[42:43]
	v_xor_b32_e32 v56, 0x7fffffff, v56
	v_not_b32_e32 v55, v55
	v_lshrrev_b64 v[69:70], s88, v[55:56]
	v_and_b32_e32 v207, s99, v69
	v_mad_u32_u24 v69, v207, 20, v171
	; wave barrier
	ds_read_b32 v206, v69 offset:528
	v_and_b32_e32 v69, 1, v207
	v_add_co_u32_e32 v70, vcc, -1, v69
	v_addc_co_u32_e64 v210, s[42:43], 0, -1, vcc
	v_cmp_ne_u32_e32 vcc, 0, v69
	v_xor_b32_e32 v69, vcc_hi, v210
	v_xor_b32_e32 v70, vcc_lo, v70
	v_and_b32_e32 v210, exec_hi, v69
	v_and_b32_e32 v211, exec_lo, v70
	v_lshlrev_b32_e32 v70, 30, v207
	v_mov_b32_e32 v69, v3
	v_cmp_gt_i64_e32 vcc, 0, v[69:70]
	v_not_b32_e32 v69, v70
	v_ashrrev_i32_e32 v69, 31, v69
	v_xor_b32_e32 v70, vcc_hi, v69
	v_xor_b32_e32 v69, vcc_lo, v69
	v_and_b32_e32 v210, v210, v70
	v_and_b32_e32 v211, v211, v69
	v_lshlrev_b32_e32 v70, 29, v207
	v_mov_b32_e32 v69, v3
	v_cmp_gt_i64_e32 vcc, 0, v[69:70]
	v_not_b32_e32 v69, v70
	v_ashrrev_i32_e32 v69, 31, v69
	v_xor_b32_e32 v70, vcc_hi, v69
	v_xor_b32_e32 v69, vcc_lo, v69
	v_and_b32_e32 v210, v210, v70
	v_and_b32_e32 v211, v211, v69
	v_lshlrev_b32_e32 v70, 28, v207
	v_mov_b32_e32 v69, v3
	v_cmp_gt_i64_e32 vcc, 0, v[69:70]
	v_not_b32_e32 v69, v70
	v_ashrrev_i32_e32 v69, 31, v69
	v_xor_b32_e32 v70, vcc_hi, v69
	v_xor_b32_e32 v69, vcc_lo, v69
	v_and_b32_e32 v210, v210, v70
	v_and_b32_e32 v211, v211, v69
	v_lshlrev_b32_e32 v70, 27, v207
	v_mov_b32_e32 v69, v3
	v_cmp_gt_i64_e32 vcc, 0, v[69:70]
	v_not_b32_e32 v69, v70
	v_ashrrev_i32_e32 v69, 31, v69
	v_xor_b32_e32 v70, vcc_hi, v69
	v_xor_b32_e32 v69, vcc_lo, v69
	v_and_b32_e32 v210, v210, v70
	v_and_b32_e32 v211, v211, v69
	v_lshlrev_b32_e32 v70, 26, v207
	v_mov_b32_e32 v69, v3
	v_cmp_gt_i64_e32 vcc, 0, v[69:70]
	v_not_b32_e32 v69, v70
	v_ashrrev_i32_e32 v69, 31, v69
	v_xor_b32_e32 v70, vcc_hi, v69
	v_xor_b32_e32 v69, vcc_lo, v69
	v_and_b32_e32 v210, v210, v70
	v_and_b32_e32 v211, v211, v69
	v_lshlrev_b32_e32 v70, 25, v207
	v_mov_b32_e32 v69, v3
	v_cmp_gt_i64_e32 vcc, 0, v[69:70]
	v_not_b32_e32 v69, v70
	v_ashrrev_i32_e32 v69, 31, v69
	v_xor_b32_e32 v70, vcc_hi, v69
	v_xor_b32_e32 v69, vcc_lo, v69
	v_and_b32_e32 v69, v211, v69
	v_mul_u32_u24_e32 v209, 20, v207
	v_and_b32_e32 v70, v210, v70
	v_mbcnt_lo_u32_b32 v207, v69, 0
	v_mbcnt_hi_u32_b32 v207, v70, v207
	v_cmp_ne_u64_e32 vcc, 0, v[69:70]
	v_cmp_eq_u32_e64 s[42:43], 0, v207
	s_and_b64 s[44:45], vcc, s[42:43]
	v_add_u32_e32 v211, v171, v209
	; wave barrier
	s_and_saveexec_b64 s[42:43], s[44:45]
	s_cbranch_execz .LBB709_450
; %bb.449:                              ;   in Loop: Header=BB709_390 Depth=2
	v_bcnt_u32_b32 v69, v69, 0
	v_bcnt_u32_b32 v69, v70, v69
	s_waitcnt lgkmcnt(0)
	v_add_u32_e32 v69, v206, v69
	ds_write_b32 v211, v69 offset:528
.LBB709_450:                            ;   in Loop: Header=BB709_390 Depth=2
	s_or_b64 exec, exec, s[42:43]
	v_xor_b32_e32 v52, 0x7fffffff, v52
	v_not_b32_e32 v51, v51
	v_lshrrev_b64 v[69:70], s88, v[51:52]
	v_and_b32_e32 v210, s99, v69
	v_mad_u32_u24 v69, v210, 20, v171
	; wave barrier
	ds_read_b32 v209, v69 offset:528
	v_and_b32_e32 v69, 1, v210
	v_add_co_u32_e32 v70, vcc, -1, v69
	v_addc_co_u32_e64 v213, s[42:43], 0, -1, vcc
	v_cmp_ne_u32_e32 vcc, 0, v69
	v_xor_b32_e32 v69, vcc_hi, v213
	v_xor_b32_e32 v70, vcc_lo, v70
	v_and_b32_e32 v213, exec_hi, v69
	v_and_b32_e32 v214, exec_lo, v70
	v_lshlrev_b32_e32 v70, 30, v210
	v_mov_b32_e32 v69, v3
	v_cmp_gt_i64_e32 vcc, 0, v[69:70]
	v_not_b32_e32 v69, v70
	v_ashrrev_i32_e32 v69, 31, v69
	v_xor_b32_e32 v70, vcc_hi, v69
	v_xor_b32_e32 v69, vcc_lo, v69
	v_and_b32_e32 v213, v213, v70
	v_and_b32_e32 v214, v214, v69
	v_lshlrev_b32_e32 v70, 29, v210
	v_mov_b32_e32 v69, v3
	v_cmp_gt_i64_e32 vcc, 0, v[69:70]
	v_not_b32_e32 v69, v70
	v_ashrrev_i32_e32 v69, 31, v69
	v_xor_b32_e32 v70, vcc_hi, v69
	v_xor_b32_e32 v69, vcc_lo, v69
	v_and_b32_e32 v213, v213, v70
	v_and_b32_e32 v214, v214, v69
	;; [unrolled: 9-line block ×5, first 2 shown]
	v_lshlrev_b32_e32 v70, 25, v210
	v_mov_b32_e32 v69, v3
	v_cmp_gt_i64_e32 vcc, 0, v[69:70]
	v_not_b32_e32 v69, v70
	v_ashrrev_i32_e32 v69, 31, v69
	v_xor_b32_e32 v70, vcc_hi, v69
	v_xor_b32_e32 v69, vcc_lo, v69
	v_and_b32_e32 v69, v214, v69
	v_mul_u32_u24_e32 v212, 20, v210
	v_and_b32_e32 v70, v213, v70
	v_mbcnt_lo_u32_b32 v210, v69, 0
	v_mbcnt_hi_u32_b32 v210, v70, v210
	v_cmp_ne_u64_e32 vcc, 0, v[69:70]
	v_cmp_eq_u32_e64 s[42:43], 0, v210
	s_and_b64 s[44:45], vcc, s[42:43]
	v_add_u32_e32 v214, v171, v212
	; wave barrier
	s_and_saveexec_b64 s[42:43], s[44:45]
	s_cbranch_execz .LBB709_452
; %bb.451:                              ;   in Loop: Header=BB709_390 Depth=2
	v_bcnt_u32_b32 v69, v69, 0
	v_bcnt_u32_b32 v69, v70, v69
	s_waitcnt lgkmcnt(0)
	v_add_u32_e32 v69, v209, v69
	ds_write_b32 v214, v69 offset:528
.LBB709_452:                            ;   in Loop: Header=BB709_390 Depth=2
	s_or_b64 exec, exec, s[42:43]
	v_xor_b32_e32 v48, 0x7fffffff, v48
	v_not_b32_e32 v47, v47
	v_lshrrev_b64 v[69:70], s88, v[47:48]
	v_and_b32_e32 v213, s99, v69
	v_mad_u32_u24 v69, v213, 20, v171
	; wave barrier
	ds_read_b32 v212, v69 offset:528
	v_and_b32_e32 v69, 1, v213
	v_add_co_u32_e32 v70, vcc, -1, v69
	v_addc_co_u32_e64 v216, s[42:43], 0, -1, vcc
	v_cmp_ne_u32_e32 vcc, 0, v69
	v_xor_b32_e32 v69, vcc_hi, v216
	v_xor_b32_e32 v70, vcc_lo, v70
	v_and_b32_e32 v216, exec_hi, v69
	v_and_b32_e32 v217, exec_lo, v70
	v_lshlrev_b32_e32 v70, 30, v213
	v_mov_b32_e32 v69, v3
	v_cmp_gt_i64_e32 vcc, 0, v[69:70]
	v_not_b32_e32 v69, v70
	v_ashrrev_i32_e32 v69, 31, v69
	v_xor_b32_e32 v70, vcc_hi, v69
	v_xor_b32_e32 v69, vcc_lo, v69
	v_and_b32_e32 v216, v216, v70
	v_and_b32_e32 v217, v217, v69
	v_lshlrev_b32_e32 v70, 29, v213
	v_mov_b32_e32 v69, v3
	v_cmp_gt_i64_e32 vcc, 0, v[69:70]
	v_not_b32_e32 v69, v70
	v_ashrrev_i32_e32 v69, 31, v69
	v_xor_b32_e32 v70, vcc_hi, v69
	v_xor_b32_e32 v69, vcc_lo, v69
	v_and_b32_e32 v216, v216, v70
	v_and_b32_e32 v217, v217, v69
	;; [unrolled: 9-line block ×5, first 2 shown]
	v_lshlrev_b32_e32 v70, 25, v213
	v_mov_b32_e32 v69, v3
	v_cmp_gt_i64_e32 vcc, 0, v[69:70]
	v_not_b32_e32 v69, v70
	v_ashrrev_i32_e32 v69, 31, v69
	v_xor_b32_e32 v70, vcc_hi, v69
	v_xor_b32_e32 v69, vcc_lo, v69
	v_and_b32_e32 v69, v217, v69
	v_mul_u32_u24_e32 v215, 20, v213
	v_and_b32_e32 v70, v216, v70
	v_mbcnt_lo_u32_b32 v213, v69, 0
	v_mbcnt_hi_u32_b32 v213, v70, v213
	v_cmp_ne_u64_e32 vcc, 0, v[69:70]
	v_cmp_eq_u32_e64 s[42:43], 0, v213
	s_and_b64 s[44:45], vcc, s[42:43]
	v_add_u32_e32 v217, v171, v215
	; wave barrier
	s_and_saveexec_b64 s[42:43], s[44:45]
	s_cbranch_execz .LBB709_454
; %bb.453:                              ;   in Loop: Header=BB709_390 Depth=2
	v_bcnt_u32_b32 v69, v69, 0
	v_bcnt_u32_b32 v69, v70, v69
	s_waitcnt lgkmcnt(0)
	v_add_u32_e32 v69, v212, v69
	ds_write_b32 v217, v69 offset:528
.LBB709_454:                            ;   in Loop: Header=BB709_390 Depth=2
	s_or_b64 exec, exec, s[42:43]
	v_xor_b32_e32 v44, 0x7fffffff, v44
	v_not_b32_e32 v43, v43
	v_lshrrev_b64 v[69:70], s88, v[43:44]
	v_and_b32_e32 v216, s99, v69
	v_mad_u32_u24 v69, v216, 20, v171
	; wave barrier
	ds_read_b32 v215, v69 offset:528
	v_and_b32_e32 v69, 1, v216
	v_add_co_u32_e32 v70, vcc, -1, v69
	v_addc_co_u32_e64 v219, s[42:43], 0, -1, vcc
	v_cmp_ne_u32_e32 vcc, 0, v69
	v_xor_b32_e32 v69, vcc_hi, v219
	v_xor_b32_e32 v70, vcc_lo, v70
	v_and_b32_e32 v219, exec_hi, v69
	v_and_b32_e32 v220, exec_lo, v70
	v_lshlrev_b32_e32 v70, 30, v216
	v_mov_b32_e32 v69, v3
	v_cmp_gt_i64_e32 vcc, 0, v[69:70]
	v_not_b32_e32 v69, v70
	v_ashrrev_i32_e32 v69, 31, v69
	v_xor_b32_e32 v70, vcc_hi, v69
	v_xor_b32_e32 v69, vcc_lo, v69
	v_and_b32_e32 v219, v219, v70
	v_and_b32_e32 v220, v220, v69
	v_lshlrev_b32_e32 v70, 29, v216
	v_mov_b32_e32 v69, v3
	v_cmp_gt_i64_e32 vcc, 0, v[69:70]
	v_not_b32_e32 v69, v70
	v_ashrrev_i32_e32 v69, 31, v69
	v_xor_b32_e32 v70, vcc_hi, v69
	v_xor_b32_e32 v69, vcc_lo, v69
	v_and_b32_e32 v219, v219, v70
	v_and_b32_e32 v220, v220, v69
	;; [unrolled: 9-line block ×5, first 2 shown]
	v_lshlrev_b32_e32 v70, 25, v216
	v_mov_b32_e32 v69, v3
	v_cmp_gt_i64_e32 vcc, 0, v[69:70]
	v_not_b32_e32 v69, v70
	v_ashrrev_i32_e32 v69, 31, v69
	v_xor_b32_e32 v70, vcc_hi, v69
	v_xor_b32_e32 v69, vcc_lo, v69
	v_and_b32_e32 v69, v220, v69
	v_mul_u32_u24_e32 v218, 20, v216
	v_and_b32_e32 v70, v219, v70
	v_mbcnt_lo_u32_b32 v216, v69, 0
	v_mbcnt_hi_u32_b32 v216, v70, v216
	v_cmp_ne_u64_e32 vcc, 0, v[69:70]
	v_cmp_eq_u32_e64 s[42:43], 0, v216
	s_and_b64 s[44:45], vcc, s[42:43]
	v_add_u32_e32 v220, v171, v218
	; wave barrier
	s_and_saveexec_b64 s[42:43], s[44:45]
	s_cbranch_execz .LBB709_456
; %bb.455:                              ;   in Loop: Header=BB709_390 Depth=2
	v_bcnt_u32_b32 v69, v69, 0
	v_bcnt_u32_b32 v69, v70, v69
	s_waitcnt lgkmcnt(0)
	v_add_u32_e32 v69, v215, v69
	ds_write_b32 v220, v69 offset:528
.LBB709_456:                            ;   in Loop: Header=BB709_390 Depth=2
	s_or_b64 exec, exec, s[42:43]
	v_lshrrev_b64 v[69:70], s88, v[37:38]
	v_and_b32_e32 v219, s99, v69
	v_mad_u32_u24 v69, v219, 20, v171
	; wave barrier
	ds_read_b32 v218, v69 offset:528
	v_and_b32_e32 v69, 1, v219
	v_add_co_u32_e32 v70, vcc, -1, v69
	v_addc_co_u32_e64 v222, s[42:43], 0, -1, vcc
	v_cmp_ne_u32_e32 vcc, 0, v69
	v_xor_b32_e32 v69, vcc_hi, v222
	v_xor_b32_e32 v70, vcc_lo, v70
	v_and_b32_e32 v222, exec_hi, v69
	v_and_b32_e32 v223, exec_lo, v70
	v_lshlrev_b32_e32 v70, 30, v219
	v_mov_b32_e32 v69, v3
	v_cmp_gt_i64_e32 vcc, 0, v[69:70]
	v_not_b32_e32 v69, v70
	v_ashrrev_i32_e32 v69, 31, v69
	v_xor_b32_e32 v70, vcc_hi, v69
	v_xor_b32_e32 v69, vcc_lo, v69
	v_and_b32_e32 v222, v222, v70
	v_and_b32_e32 v223, v223, v69
	v_lshlrev_b32_e32 v70, 29, v219
	v_mov_b32_e32 v69, v3
	v_cmp_gt_i64_e32 vcc, 0, v[69:70]
	v_not_b32_e32 v69, v70
	v_ashrrev_i32_e32 v69, 31, v69
	v_xor_b32_e32 v70, vcc_hi, v69
	v_xor_b32_e32 v69, vcc_lo, v69
	v_and_b32_e32 v222, v222, v70
	v_and_b32_e32 v223, v223, v69
	;; [unrolled: 9-line block ×5, first 2 shown]
	v_lshlrev_b32_e32 v70, 25, v219
	v_mov_b32_e32 v69, v3
	v_cmp_gt_i64_e32 vcc, 0, v[69:70]
	v_not_b32_e32 v69, v70
	v_ashrrev_i32_e32 v69, 31, v69
	v_xor_b32_e32 v70, vcc_hi, v69
	v_xor_b32_e32 v69, vcc_lo, v69
	v_and_b32_e32 v69, v223, v69
	v_mul_u32_u24_e32 v221, 20, v219
	v_and_b32_e32 v70, v222, v70
	v_mbcnt_lo_u32_b32 v219, v69, 0
	v_mbcnt_hi_u32_b32 v219, v70, v219
	v_cmp_ne_u64_e32 vcc, 0, v[69:70]
	v_cmp_eq_u32_e64 s[42:43], 0, v219
	s_and_b64 s[44:45], vcc, s[42:43]
	v_add_u32_e32 v221, v171, v221
	; wave barrier
	s_and_saveexec_b64 s[42:43], s[44:45]
	s_cbranch_execz .LBB709_458
; %bb.457:                              ;   in Loop: Header=BB709_390 Depth=2
	v_bcnt_u32_b32 v69, v69, 0
	v_bcnt_u32_b32 v69, v70, v69
	s_waitcnt lgkmcnt(0)
	v_add_u32_e32 v69, v218, v69
	ds_write_b32 v221, v69 offset:528
.LBB709_458:                            ;   in Loop: Header=BB709_390 Depth=2
	s_or_b64 exec, exec, s[42:43]
	; wave barrier
	s_waitcnt lgkmcnt(0)
	s_barrier
	ds_read2_b32 v[69:70], v90 offset0:132 offset1:133
	ds_read_b32 v222, v90 offset:536
	s_waitcnt lgkmcnt(0)
	v_add3_u32 v222, v70, v69, v222
	s_nop 1
	v_mov_b32_dpp v223, v222 row_shr:1 row_mask:0xf bank_mask:0xf
	v_cndmask_b32_e64 v223, v223, 0, s[22:23]
	v_add_u32_e32 v222, v223, v222
	s_nop 1
	v_mov_b32_dpp v223, v222 row_shr:2 row_mask:0xf bank_mask:0xf
	v_cndmask_b32_e64 v223, 0, v223, s[24:25]
	v_add_u32_e32 v222, v222, v223
	;; [unrolled: 4-line block ×4, first 2 shown]
	s_nop 1
	v_mov_b32_dpp v223, v222 row_bcast:15 row_mask:0xf bank_mask:0xf
	v_cndmask_b32_e64 v223, v223, 0, s[30:31]
	v_add_u32_e32 v222, v222, v223
	s_nop 1
	v_mov_b32_dpp v223, v222 row_bcast:31 row_mask:0xf bank_mask:0xf
	v_cndmask_b32_e64 v223, 0, v223, s[34:35]
	v_add_u32_e32 v222, v222, v223
	s_and_saveexec_b64 s[42:43], s[14:15]
; %bb.459:                              ;   in Loop: Header=BB709_390 Depth=2
	ds_write_b32 v92, v222 offset:512
; %bb.460:                              ;   in Loop: Header=BB709_390 Depth=2
	s_or_b64 exec, exec, s[42:43]
	s_waitcnt lgkmcnt(0)
	s_barrier
	s_and_saveexec_b64 s[42:43], s[16:17]
	s_cbranch_execz .LBB709_462
; %bb.461:                              ;   in Loop: Header=BB709_390 Depth=2
	ds_read_b32 v223, v97 offset:512
	s_waitcnt lgkmcnt(0)
	s_nop 0
	v_mov_b32_dpp v224, v223 row_shr:1 row_mask:0xf bank_mask:0xf
	v_cndmask_b32_e64 v224, v224, 0, s[38:39]
	v_add_u32_e32 v223, v224, v223
	s_nop 1
	v_mov_b32_dpp v224, v223 row_shr:2 row_mask:0xf bank_mask:0xf
	v_cndmask_b32_e64 v224, 0, v224, s[40:41]
	v_add_u32_e32 v223, v223, v224
	ds_write_b32 v97, v223 offset:512
.LBB709_462:                            ;   in Loop: Header=BB709_390 Depth=2
	s_or_b64 exec, exec, s[42:43]
	v_mov_b32_e32 v223, 0
	s_waitcnt lgkmcnt(0)
	s_barrier
	s_and_saveexec_b64 s[42:43], s[12:13]
; %bb.463:                              ;   in Loop: Header=BB709_390 Depth=2
	ds_read_b32 v223, v92 offset:508
; %bb.464:                              ;   in Loop: Header=BB709_390 Depth=2
	s_or_b64 exec, exec, s[42:43]
	s_waitcnt lgkmcnt(0)
	v_add_u32_e32 v222, v223, v222
	ds_bpermute_b32 v222, v134, v222
	s_waitcnt lgkmcnt(0)
	v_cndmask_b32_e64 v222, v222, v223, s[36:37]
	v_cndmask_b32_e64 v222, v222, 0, s[18:19]
	v_add_u32_e32 v69, v222, v69
	v_add_u32_e32 v70, v69, v70
	ds_write2_b32 v90, v222, v69 offset0:132 offset1:133
	ds_write_b32 v90, v70 offset:536
	s_waitcnt lgkmcnt(0)
	s_barrier
	ds_read_b32 v69, v177 offset:528
	ds_read_b32 v227, v180 offset:528
	;; [unrolled: 1-line block ×16, first 2 shown]
	s_and_saveexec_b64 s[42:43], s[4:5]
	s_cbranch_execz .LBB709_468
; %bb.465:                              ;   in Loop: Header=BB709_390 Depth=2
	ds_read_b32 v172, v99 offset:528
	v_mov_b32_e32 v173, 0x1000
	s_and_saveexec_b64 s[44:45], s[20:21]
; %bb.466:                              ;   in Loop: Header=BB709_390 Depth=2
	ds_read_b32 v173, v98 offset:528
; %bb.467:                              ;   in Loop: Header=BB709_390 Depth=2
	s_or_b64 exec, exec, s[44:45]
	s_waitcnt lgkmcnt(0)
	v_sub_u32_e32 v173, v173, v172
.LBB709_468:                            ;   in Loop: Header=BB709_390 Depth=2
	s_or_b64 exec, exec, s[42:43]
	s_waitcnt lgkmcnt(0)
	s_barrier
	s_and_saveexec_b64 s[42:43], s[4:5]
	s_cbranch_execz .LBB709_470
; %bb.469:                              ;   in Loop: Header=BB709_390 Depth=2
	ds_read_b32 v201, v71
	s_waitcnt lgkmcnt(0)
	v_sub_u32_e32 v201, v201, v172
	ds_write_b32 v71, v201
.LBB709_470:                            ;   in Loop: Header=BB709_390 Depth=2
	s_or_b64 exec, exec, s[42:43]
	v_lshlrev_b32_e32 v175, 3, v175
	v_lshl_add_u32 v69, v69, 3, v175
	ds_write_b64 v69, v[39:40] offset:512
	v_lshlrev_b32_e32 v39, 3, v178
	v_lshlrev_b32_e32 v40, 3, v176
	v_lshlrev_b32_e32 v175, 3, v227
	v_add3_u32 v39, v39, v40, v175
	ds_write_b64 v39, v[41:42] offset:512
	v_lshlrev_b32_e32 v40, 3, v181
	v_lshlrev_b32_e32 v41, 3, v179
	v_lshlrev_b32_e32 v42, 3, v226
	v_add3_u32 v40, v40, v41, v42
	;; [unrolled: 5-line block ×3, first 2 shown]
	v_lshlrev_b32_e32 v42, 3, v187
	v_lshlrev_b32_e32 v45, 3, v185
	v_lshlrev_b32_e32 v46, 3, v224
	ds_write_b64 v41, v[49:50] offset:512
	v_add3_u32 v42, v42, v45, v46
	v_lshlrev_b32_e32 v45, 3, v190
	v_lshlrev_b32_e32 v46, 3, v188
	v_lshlrev_b32_e32 v49, 3, v223
	v_add3_u32 v45, v45, v46, v49
	v_lshlrev_b32_e32 v46, 3, v193
	v_lshlrev_b32_e32 v49, 3, v191
	v_lshlrev_b32_e32 v50, 3, v222
	ds_write_b64 v42, v[53:54] offset:512
	v_add3_u32 v46, v46, v49, v50
	v_lshlrev_b32_e32 v49, 3, v196
	v_lshlrev_b32_e32 v50, 3, v194
	v_lshlrev_b32_e32 v53, 3, v198
	v_add3_u32 v49, v49, v50, v53
	;; [unrolled: 9-line block ×3, first 2 shown]
	v_lshlrev_b32_e32 v54, 3, v204
	v_lshlrev_b32_e32 v57, 3, v203
	;; [unrolled: 1-line block ×3, first 2 shown]
	v_add3_u32 v54, v54, v57, v58
	ds_write_b64 v46, v[61:62] offset:512
	ds_write_b64 v49, v[67:68] offset:512
	ds_write_b64 v50, v[65:66] offset:512
	ds_write_b64 v53, v[63:64] offset:512
	ds_write_b64 v54, v[59:60] offset:512
	v_lshlrev_b32_e32 v57, 3, v207
	v_lshlrev_b32_e32 v58, 3, v206
	v_lshlrev_b32_e32 v59, 3, v186
	v_add3_u32 v57, v57, v58, v59
	ds_write_b64 v57, v[55:56] offset:512
	v_lshlrev_b32_e32 v55, 3, v210
	v_lshlrev_b32_e32 v56, 3, v209
	v_lshlrev_b32_e32 v58, 3, v183
	v_add3_u32 v55, v55, v56, v58
	ds_write_b64 v55, v[51:52] offset:512
	;; [unrolled: 5-line block ×4, first 2 shown]
	v_lshlrev_b32_e32 v43, 3, v219
	v_lshlrev_b32_e32 v44, 3, v218
	;; [unrolled: 1-line block ×3, first 2 shown]
	v_add3_u32 v43, v43, v44, v48
	v_cmp_lt_u32_e64 s[42:43], v0, v174
	ds_write_b64 v43, v[37:38] offset:512
	s_waitcnt lgkmcnt(0)
	s_barrier
	s_and_saveexec_b64 s[44:45], s[42:43]
	s_cbranch_execnz .LBB709_539
; %bb.471:                              ;   in Loop: Header=BB709_390 Depth=2
	s_or_b64 exec, exec, s[44:45]
	v_cmp_lt_u32_e64 s[44:45], v72, v174
	s_and_saveexec_b64 s[46:47], s[44:45]
	s_cbranch_execnz .LBB709_540
.LBB709_472:                            ;   in Loop: Header=BB709_390 Depth=2
	s_or_b64 exec, exec, s[46:47]
	v_cmp_lt_u32_e64 s[46:47], v75, v174
	s_and_saveexec_b64 s[48:49], s[46:47]
	s_cbranch_execnz .LBB709_541
.LBB709_473:                            ;   in Loop: Header=BB709_390 Depth=2
	s_or_b64 exec, exec, s[48:49]
	v_cmp_lt_u32_e64 s[48:49], v76, v174
	s_and_saveexec_b64 s[50:51], s[48:49]
	s_cbranch_execnz .LBB709_542
.LBB709_474:                            ;   in Loop: Header=BB709_390 Depth=2
	s_or_b64 exec, exec, s[50:51]
	v_cmp_lt_u32_e64 s[50:51], v77, v174
	s_and_saveexec_b64 s[52:53], s[50:51]
	s_cbranch_execnz .LBB709_543
.LBB709_475:                            ;   in Loop: Header=BB709_390 Depth=2
	s_or_b64 exec, exec, s[52:53]
	v_cmp_lt_u32_e64 s[52:53], v78, v174
	s_and_saveexec_b64 s[54:55], s[52:53]
	s_cbranch_execnz .LBB709_544
.LBB709_476:                            ;   in Loop: Header=BB709_390 Depth=2
	s_or_b64 exec, exec, s[54:55]
	v_cmp_lt_u32_e64 s[54:55], v79, v174
	s_and_saveexec_b64 s[56:57], s[54:55]
	s_cbranch_execnz .LBB709_545
.LBB709_477:                            ;   in Loop: Header=BB709_390 Depth=2
	s_or_b64 exec, exec, s[56:57]
	v_cmp_lt_u32_e64 s[56:57], v80, v174
	s_and_saveexec_b64 s[58:59], s[56:57]
	s_cbranch_execnz .LBB709_546
.LBB709_478:                            ;   in Loop: Header=BB709_390 Depth=2
	s_or_b64 exec, exec, s[58:59]
	v_cmp_lt_u32_e64 s[58:59], v81, v174
	s_and_saveexec_b64 s[60:61], s[58:59]
	s_cbranch_execnz .LBB709_547
.LBB709_479:                            ;   in Loop: Header=BB709_390 Depth=2
	s_or_b64 exec, exec, s[60:61]
	v_cmp_lt_u32_e64 s[60:61], v82, v174
	s_and_saveexec_b64 s[62:63], s[60:61]
	s_cbranch_execnz .LBB709_548
.LBB709_480:                            ;   in Loop: Header=BB709_390 Depth=2
	s_or_b64 exec, exec, s[62:63]
	v_cmp_lt_u32_e64 s[62:63], v83, v174
	s_and_saveexec_b64 s[64:65], s[62:63]
	s_cbranch_execnz .LBB709_549
.LBB709_481:                            ;   in Loop: Header=BB709_390 Depth=2
	s_or_b64 exec, exec, s[64:65]
	v_cmp_lt_u32_e64 s[64:65], v84, v174
	s_and_saveexec_b64 s[66:67], s[64:65]
	s_cbranch_execnz .LBB709_550
.LBB709_482:                            ;   in Loop: Header=BB709_390 Depth=2
	s_or_b64 exec, exec, s[66:67]
	v_cmp_lt_u32_e64 s[66:67], v85, v174
	s_and_saveexec_b64 s[68:69], s[66:67]
	s_cbranch_execnz .LBB709_551
.LBB709_483:                            ;   in Loop: Header=BB709_390 Depth=2
	s_or_b64 exec, exec, s[68:69]
	v_cmp_lt_u32_e64 s[68:69], v86, v174
	s_and_saveexec_b64 s[70:71], s[68:69]
	s_cbranch_execnz .LBB709_552
.LBB709_484:                            ;   in Loop: Header=BB709_390 Depth=2
	s_or_b64 exec, exec, s[70:71]
	v_cmp_lt_u32_e64 s[70:71], v87, v174
	s_and_saveexec_b64 s[72:73], s[70:71]
	s_cbranch_execnz .LBB709_553
.LBB709_485:                            ;   in Loop: Header=BB709_390 Depth=2
	s_or_b64 exec, exec, s[72:73]
	v_cmp_lt_u32_e64 s[72:73], v88, v174
	s_and_saveexec_b64 s[82:83], s[72:73]
	s_cbranch_execz .LBB709_487
.LBB709_486:                            ;   in Loop: Header=BB709_390 Depth=2
	ds_read_b64 v[37:38], v104 offset:31232
	v_mov_b32_e32 v48, s81
	s_waitcnt lgkmcnt(0)
	v_lshrrev_b64 v[58:59], s88, v[37:38]
	v_mov_b32_e32 v59, v3
	v_and_b32_e32 v44, s99, v58
	v_lshlrev_b32_e32 v44, 2, v44
	ds_read_b32 v44, v44
	v_xor_b32_e32 v38, 0x7fffffff, v38
	v_not_b32_e32 v37, v37
	s_waitcnt lgkmcnt(0)
	v_add_u32_e32 v58, v44, v88
	v_lshlrev_b64 v[58:59], 3, v[58:59]
	v_add_co_u32_e32 v58, vcc, s80, v58
	v_addc_co_u32_e32 v59, vcc, v48, v59, vcc
	global_store_dwordx2 v[58:59], v[37:38], off
.LBB709_487:                            ;   in Loop: Header=BB709_390 Depth=2
	s_or_b64 exec, exec, s[82:83]
	s_lshl_b64 s[82:83], s[92:93], 3
	v_mov_b32_e32 v38, s83
	v_add_co_u32_e32 v37, vcc, s82, v152
	v_addc_co_u32_e32 v38, vcc, v153, v38, vcc
	v_cmp_lt_u32_e32 vcc, v151, v174
	s_and_saveexec_b64 s[82:83], vcc
	s_xor_b64 s[82:83], exec, s[82:83]
	s_cbranch_execnz .LBB709_554
; %bb.488:                              ;   in Loop: Header=BB709_390 Depth=2
	s_or_b64 exec, exec, s[82:83]
	v_cmp_lt_u32_e32 vcc, v154, v174
	s_and_saveexec_b64 s[82:83], vcc
	s_cbranch_execnz .LBB709_555
.LBB709_489:                            ;   in Loop: Header=BB709_390 Depth=2
	s_or_b64 exec, exec, s[82:83]
	v_cmp_lt_u32_e32 vcc, v155, v174
	s_and_saveexec_b64 s[82:83], vcc
	s_cbranch_execnz .LBB709_556
.LBB709_490:                            ;   in Loop: Header=BB709_390 Depth=2
	s_or_b64 exec, exec, s[82:83]
	v_cmp_lt_u32_e32 vcc, v156, v174
	s_and_saveexec_b64 s[82:83], vcc
	s_cbranch_execnz .LBB709_557
.LBB709_491:                            ;   in Loop: Header=BB709_390 Depth=2
	s_or_b64 exec, exec, s[82:83]
	v_cmp_lt_u32_e32 vcc, v157, v174
	s_and_saveexec_b64 s[82:83], vcc
	s_cbranch_execnz .LBB709_558
.LBB709_492:                            ;   in Loop: Header=BB709_390 Depth=2
	s_or_b64 exec, exec, s[82:83]
	v_cmp_lt_u32_e32 vcc, v158, v174
	s_and_saveexec_b64 s[82:83], vcc
	s_cbranch_execnz .LBB709_559
.LBB709_493:                            ;   in Loop: Header=BB709_390 Depth=2
	s_or_b64 exec, exec, s[82:83]
	v_cmp_lt_u32_e32 vcc, v159, v174
	s_and_saveexec_b64 s[82:83], vcc
	s_cbranch_execnz .LBB709_560
.LBB709_494:                            ;   in Loop: Header=BB709_390 Depth=2
	s_or_b64 exec, exec, s[82:83]
	v_cmp_lt_u32_e32 vcc, v160, v174
	s_and_saveexec_b64 s[82:83], vcc
	s_cbranch_execnz .LBB709_561
.LBB709_495:                            ;   in Loop: Header=BB709_390 Depth=2
	s_or_b64 exec, exec, s[82:83]
	v_cmp_lt_u32_e32 vcc, v161, v174
	s_and_saveexec_b64 s[82:83], vcc
	s_cbranch_execnz .LBB709_562
.LBB709_496:                            ;   in Loop: Header=BB709_390 Depth=2
	s_or_b64 exec, exec, s[82:83]
	v_cmp_lt_u32_e32 vcc, v162, v174
	s_and_saveexec_b64 s[82:83], vcc
	s_cbranch_execnz .LBB709_563
.LBB709_497:                            ;   in Loop: Header=BB709_390 Depth=2
	s_or_b64 exec, exec, s[82:83]
	v_cmp_lt_u32_e32 vcc, v163, v174
	s_and_saveexec_b64 s[82:83], vcc
	s_cbranch_execnz .LBB709_564
.LBB709_498:                            ;   in Loop: Header=BB709_390 Depth=2
	s_or_b64 exec, exec, s[82:83]
	v_cmp_lt_u32_e32 vcc, v164, v174
	s_and_saveexec_b64 s[82:83], vcc
	s_cbranch_execnz .LBB709_565
.LBB709_499:                            ;   in Loop: Header=BB709_390 Depth=2
	s_or_b64 exec, exec, s[82:83]
	v_cmp_lt_u32_e32 vcc, v165, v174
	s_and_saveexec_b64 s[82:83], vcc
	s_cbranch_execnz .LBB709_566
.LBB709_500:                            ;   in Loop: Header=BB709_390 Depth=2
	s_or_b64 exec, exec, s[82:83]
	v_cmp_lt_u32_e32 vcc, v166, v174
	s_and_saveexec_b64 s[82:83], vcc
	s_cbranch_execnz .LBB709_567
.LBB709_501:                            ;   in Loop: Header=BB709_390 Depth=2
	s_or_b64 exec, exec, s[82:83]
	v_cmp_lt_u32_e32 vcc, v167, v174
	s_and_saveexec_b64 s[82:83], vcc
	s_cbranch_execnz .LBB709_568
.LBB709_502:                            ;   in Loop: Header=BB709_390 Depth=2
	s_or_b64 exec, exec, s[82:83]
	v_cmp_lt_u32_e32 vcc, v168, v174
	s_and_saveexec_b64 s[82:83], vcc
	s_cbranch_execnz .LBB709_569
.LBB709_503:                            ;   in Loop: Header=BB709_390 Depth=2
	s_or_b64 exec, exec, s[82:83]
	s_and_saveexec_b64 s[82:83], s[42:43]
	s_cbranch_execnz .LBB709_570
.LBB709_504:                            ;   in Loop: Header=BB709_390 Depth=2
	s_or_b64 exec, exec, s[82:83]
	s_and_saveexec_b64 s[82:83], s[44:45]
	s_cbranch_execnz .LBB709_571
.LBB709_505:                            ;   in Loop: Header=BB709_390 Depth=2
	s_or_b64 exec, exec, s[82:83]
	s_and_saveexec_b64 s[82:83], s[46:47]
	s_cbranch_execnz .LBB709_572
.LBB709_506:                            ;   in Loop: Header=BB709_390 Depth=2
	s_or_b64 exec, exec, s[82:83]
	s_and_saveexec_b64 s[82:83], s[48:49]
	s_cbranch_execnz .LBB709_573
.LBB709_507:                            ;   in Loop: Header=BB709_390 Depth=2
	s_or_b64 exec, exec, s[82:83]
	s_and_saveexec_b64 s[82:83], s[50:51]
	s_cbranch_execnz .LBB709_574
.LBB709_508:                            ;   in Loop: Header=BB709_390 Depth=2
	s_or_b64 exec, exec, s[82:83]
	s_and_saveexec_b64 s[82:83], s[52:53]
	s_cbranch_execnz .LBB709_575
.LBB709_509:                            ;   in Loop: Header=BB709_390 Depth=2
	s_or_b64 exec, exec, s[82:83]
	s_and_saveexec_b64 s[82:83], s[54:55]
	s_cbranch_execnz .LBB709_576
.LBB709_510:                            ;   in Loop: Header=BB709_390 Depth=2
	s_or_b64 exec, exec, s[82:83]
	s_and_saveexec_b64 s[82:83], s[56:57]
	s_cbranch_execnz .LBB709_577
.LBB709_511:                            ;   in Loop: Header=BB709_390 Depth=2
	s_or_b64 exec, exec, s[82:83]
	s_and_saveexec_b64 s[82:83], s[58:59]
	s_cbranch_execnz .LBB709_578
.LBB709_512:                            ;   in Loop: Header=BB709_390 Depth=2
	s_or_b64 exec, exec, s[82:83]
	s_and_saveexec_b64 s[82:83], s[60:61]
	s_cbranch_execnz .LBB709_579
.LBB709_513:                            ;   in Loop: Header=BB709_390 Depth=2
	s_or_b64 exec, exec, s[82:83]
	s_and_saveexec_b64 s[82:83], s[62:63]
	s_cbranch_execnz .LBB709_580
.LBB709_514:                            ;   in Loop: Header=BB709_390 Depth=2
	s_or_b64 exec, exec, s[82:83]
	s_and_saveexec_b64 s[82:83], s[64:65]
	s_cbranch_execnz .LBB709_581
.LBB709_515:                            ;   in Loop: Header=BB709_390 Depth=2
	s_or_b64 exec, exec, s[82:83]
	s_and_saveexec_b64 s[82:83], s[66:67]
	s_cbranch_execnz .LBB709_582
.LBB709_516:                            ;   in Loop: Header=BB709_390 Depth=2
	s_or_b64 exec, exec, s[82:83]
	s_and_saveexec_b64 s[82:83], s[68:69]
	s_cbranch_execnz .LBB709_583
.LBB709_517:                            ;   in Loop: Header=BB709_390 Depth=2
	s_or_b64 exec, exec, s[82:83]
	s_and_saveexec_b64 s[82:83], s[70:71]
	s_cbranch_execnz .LBB709_584
.LBB709_518:                            ;   in Loop: Header=BB709_390 Depth=2
	s_or_b64 exec, exec, s[82:83]
	s_and_saveexec_b64 s[82:83], s[72:73]
	s_cbranch_execz .LBB709_520
.LBB709_519:                            ;   in Loop: Header=BB709_390 Depth=2
	ds_read_b64 v[37:38], v104 offset:31232
	s_waitcnt lgkmcnt(0)
	v_lshrrev_b64 v[37:38], s88, v[37:38]
	v_and_b32_e32 v135, s99, v37
.LBB709_520:                            ;   in Loop: Header=BB709_390 Depth=2
	s_or_b64 exec, exec, s[82:83]
	s_waitcnt vmcnt(0)
	s_barrier
	ds_write_b64 v69, v[35:36] offset:512
	ds_write_b64 v39, v[33:34] offset:512
	;; [unrolled: 1-line block ×16, first 2 shown]
	s_waitcnt lgkmcnt(0)
	s_barrier
	s_and_saveexec_b64 s[82:83], s[42:43]
	s_cbranch_execnz .LBB709_585
; %bb.521:                              ;   in Loop: Header=BB709_390 Depth=2
	s_or_b64 exec, exec, s[82:83]
	s_and_saveexec_b64 s[42:43], s[44:45]
	s_cbranch_execnz .LBB709_586
.LBB709_522:                            ;   in Loop: Header=BB709_390 Depth=2
	s_or_b64 exec, exec, s[42:43]
	s_and_saveexec_b64 s[42:43], s[46:47]
	s_cbranch_execnz .LBB709_587
.LBB709_523:                            ;   in Loop: Header=BB709_390 Depth=2
	s_or_b64 exec, exec, s[42:43]
	s_and_saveexec_b64 s[42:43], s[48:49]
	s_cbranch_execnz .LBB709_588
.LBB709_524:                            ;   in Loop: Header=BB709_390 Depth=2
	s_or_b64 exec, exec, s[42:43]
	s_and_saveexec_b64 s[42:43], s[50:51]
	s_cbranch_execnz .LBB709_589
.LBB709_525:                            ;   in Loop: Header=BB709_390 Depth=2
	s_or_b64 exec, exec, s[42:43]
	s_and_saveexec_b64 s[42:43], s[52:53]
	s_cbranch_execnz .LBB709_590
.LBB709_526:                            ;   in Loop: Header=BB709_390 Depth=2
	s_or_b64 exec, exec, s[42:43]
	s_and_saveexec_b64 s[42:43], s[54:55]
	s_cbranch_execnz .LBB709_591
.LBB709_527:                            ;   in Loop: Header=BB709_390 Depth=2
	s_or_b64 exec, exec, s[42:43]
	s_and_saveexec_b64 s[42:43], s[56:57]
	s_cbranch_execnz .LBB709_592
.LBB709_528:                            ;   in Loop: Header=BB709_390 Depth=2
	s_or_b64 exec, exec, s[42:43]
	s_and_saveexec_b64 s[42:43], s[58:59]
	s_cbranch_execnz .LBB709_593
.LBB709_529:                            ;   in Loop: Header=BB709_390 Depth=2
	s_or_b64 exec, exec, s[42:43]
	s_and_saveexec_b64 s[42:43], s[60:61]
	s_cbranch_execnz .LBB709_594
.LBB709_530:                            ;   in Loop: Header=BB709_390 Depth=2
	s_or_b64 exec, exec, s[42:43]
	s_and_saveexec_b64 s[42:43], s[62:63]
	s_cbranch_execnz .LBB709_595
.LBB709_531:                            ;   in Loop: Header=BB709_390 Depth=2
	s_or_b64 exec, exec, s[42:43]
	s_and_saveexec_b64 s[42:43], s[64:65]
	s_cbranch_execnz .LBB709_596
.LBB709_532:                            ;   in Loop: Header=BB709_390 Depth=2
	s_or_b64 exec, exec, s[42:43]
	s_and_saveexec_b64 s[42:43], s[66:67]
	s_cbranch_execnz .LBB709_597
.LBB709_533:                            ;   in Loop: Header=BB709_390 Depth=2
	s_or_b64 exec, exec, s[42:43]
	s_and_saveexec_b64 s[42:43], s[68:69]
	s_cbranch_execnz .LBB709_598
.LBB709_534:                            ;   in Loop: Header=BB709_390 Depth=2
	s_or_b64 exec, exec, s[42:43]
	s_and_saveexec_b64 s[42:43], s[70:71]
	s_cbranch_execnz .LBB709_599
.LBB709_535:                            ;   in Loop: Header=BB709_390 Depth=2
	s_or_b64 exec, exec, s[42:43]
	s_and_saveexec_b64 s[42:43], s[72:73]
	s_cbranch_execz .LBB709_537
.LBB709_536:                            ;   in Loop: Header=BB709_390 Depth=2
	v_lshlrev_b32_e32 v37, 2, v135
	ds_read_b32 v39, v37
	ds_read_b64 v[37:38], v104 offset:31232
	v_mov_b32_e32 v40, v3
	v_mov_b32_e32 v41, s87
	s_waitcnt lgkmcnt(1)
	v_add_u32_e32 v39, v39, v88
	v_lshlrev_b64 v[39:40], 3, v[39:40]
	v_add_co_u32_e32 v39, vcc, s86, v39
	v_addc_co_u32_e32 v40, vcc, v41, v40, vcc
	s_waitcnt lgkmcnt(0)
	global_store_dwordx2 v[39:40], v[37:38], off
.LBB709_537:                            ;   in Loop: Header=BB709_390 Depth=2
	s_or_b64 exec, exec, s[42:43]
	s_waitcnt vmcnt(0)
	s_barrier
	s_and_saveexec_b64 s[42:43], s[4:5]
	s_cbranch_execz .LBB709_389
; %bb.538:                              ;   in Loop: Header=BB709_390 Depth=2
	ds_read_b32 v37, v71
	s_waitcnt lgkmcnt(0)
	v_add3_u32 v37, v172, v173, v37
	ds_write_b32 v71, v37
	s_branch .LBB709_389
.LBB709_539:                            ;   in Loop: Header=BB709_390 Depth=2
	ds_read_b64 v[37:38], v104 offset:512
	v_mov_b32_e32 v48, s81
	s_waitcnt lgkmcnt(0)
	v_lshrrev_b64 v[58:59], s88, v[37:38]
	v_mov_b32_e32 v59, v3
	v_and_b32_e32 v44, s99, v58
	v_lshlrev_b32_e32 v44, 2, v44
	ds_read_b32 v44, v44
	v_xor_b32_e32 v38, 0x7fffffff, v38
	v_not_b32_e32 v37, v37
	s_waitcnt lgkmcnt(0)
	v_add_u32_e32 v58, v44, v0
	v_lshlrev_b64 v[58:59], 3, v[58:59]
	v_add_co_u32_e32 v58, vcc, s80, v58
	v_addc_co_u32_e32 v59, vcc, v48, v59, vcc
	global_store_dwordx2 v[58:59], v[37:38], off
	s_or_b64 exec, exec, s[44:45]
	v_cmp_lt_u32_e64 s[44:45], v72, v174
	s_and_saveexec_b64 s[46:47], s[44:45]
	s_cbranch_execz .LBB709_472
.LBB709_540:                            ;   in Loop: Header=BB709_390 Depth=2
	ds_read_b64 v[37:38], v104 offset:2560
	v_mov_b32_e32 v48, s81
	s_waitcnt lgkmcnt(0)
	v_lshrrev_b64 v[58:59], s88, v[37:38]
	v_mov_b32_e32 v59, v3
	v_and_b32_e32 v44, s99, v58
	v_lshlrev_b32_e32 v44, 2, v44
	ds_read_b32 v44, v44
	v_xor_b32_e32 v38, 0x7fffffff, v38
	v_not_b32_e32 v37, v37
	s_waitcnt lgkmcnt(0)
	v_add_u32_e32 v58, v44, v72
	v_lshlrev_b64 v[58:59], 3, v[58:59]
	v_add_co_u32_e32 v58, vcc, s80, v58
	v_addc_co_u32_e32 v59, vcc, v48, v59, vcc
	global_store_dwordx2 v[58:59], v[37:38], off
	s_or_b64 exec, exec, s[46:47]
	v_cmp_lt_u32_e64 s[46:47], v75, v174
	s_and_saveexec_b64 s[48:49], s[46:47]
	s_cbranch_execz .LBB709_473
.LBB709_541:                            ;   in Loop: Header=BB709_390 Depth=2
	ds_read_b64 v[37:38], v104 offset:4608
	v_mov_b32_e32 v48, s81
	s_waitcnt lgkmcnt(0)
	v_lshrrev_b64 v[58:59], s88, v[37:38]
	v_mov_b32_e32 v59, v3
	v_and_b32_e32 v44, s99, v58
	v_lshlrev_b32_e32 v44, 2, v44
	ds_read_b32 v44, v44
	v_xor_b32_e32 v38, 0x7fffffff, v38
	v_not_b32_e32 v37, v37
	s_waitcnt lgkmcnt(0)
	v_add_u32_e32 v58, v44, v75
	v_lshlrev_b64 v[58:59], 3, v[58:59]
	v_add_co_u32_e32 v58, vcc, s80, v58
	v_addc_co_u32_e32 v59, vcc, v48, v59, vcc
	global_store_dwordx2 v[58:59], v[37:38], off
	s_or_b64 exec, exec, s[48:49]
	v_cmp_lt_u32_e64 s[48:49], v76, v174
	s_and_saveexec_b64 s[50:51], s[48:49]
	s_cbranch_execz .LBB709_474
.LBB709_542:                            ;   in Loop: Header=BB709_390 Depth=2
	ds_read_b64 v[37:38], v104 offset:6656
	v_mov_b32_e32 v48, s81
	s_waitcnt lgkmcnt(0)
	v_lshrrev_b64 v[58:59], s88, v[37:38]
	v_mov_b32_e32 v59, v3
	v_and_b32_e32 v44, s99, v58
	v_lshlrev_b32_e32 v44, 2, v44
	ds_read_b32 v44, v44
	v_xor_b32_e32 v38, 0x7fffffff, v38
	v_not_b32_e32 v37, v37
	s_waitcnt lgkmcnt(0)
	v_add_u32_e32 v58, v44, v76
	v_lshlrev_b64 v[58:59], 3, v[58:59]
	v_add_co_u32_e32 v58, vcc, s80, v58
	v_addc_co_u32_e32 v59, vcc, v48, v59, vcc
	global_store_dwordx2 v[58:59], v[37:38], off
	s_or_b64 exec, exec, s[50:51]
	v_cmp_lt_u32_e64 s[50:51], v77, v174
	s_and_saveexec_b64 s[52:53], s[50:51]
	s_cbranch_execz .LBB709_475
.LBB709_543:                            ;   in Loop: Header=BB709_390 Depth=2
	ds_read_b64 v[37:38], v104 offset:8704
	v_mov_b32_e32 v48, s81
	s_waitcnt lgkmcnt(0)
	v_lshrrev_b64 v[58:59], s88, v[37:38]
	v_mov_b32_e32 v59, v3
	v_and_b32_e32 v44, s99, v58
	v_lshlrev_b32_e32 v44, 2, v44
	ds_read_b32 v44, v44
	v_xor_b32_e32 v38, 0x7fffffff, v38
	v_not_b32_e32 v37, v37
	s_waitcnt lgkmcnt(0)
	v_add_u32_e32 v58, v44, v77
	v_lshlrev_b64 v[58:59], 3, v[58:59]
	v_add_co_u32_e32 v58, vcc, s80, v58
	v_addc_co_u32_e32 v59, vcc, v48, v59, vcc
	global_store_dwordx2 v[58:59], v[37:38], off
	s_or_b64 exec, exec, s[52:53]
	v_cmp_lt_u32_e64 s[52:53], v78, v174
	s_and_saveexec_b64 s[54:55], s[52:53]
	s_cbranch_execz .LBB709_476
.LBB709_544:                            ;   in Loop: Header=BB709_390 Depth=2
	ds_read_b64 v[37:38], v104 offset:10752
	v_mov_b32_e32 v48, s81
	s_waitcnt lgkmcnt(0)
	v_lshrrev_b64 v[58:59], s88, v[37:38]
	v_mov_b32_e32 v59, v3
	v_and_b32_e32 v44, s99, v58
	v_lshlrev_b32_e32 v44, 2, v44
	ds_read_b32 v44, v44
	v_xor_b32_e32 v38, 0x7fffffff, v38
	v_not_b32_e32 v37, v37
	s_waitcnt lgkmcnt(0)
	v_add_u32_e32 v58, v44, v78
	v_lshlrev_b64 v[58:59], 3, v[58:59]
	v_add_co_u32_e32 v58, vcc, s80, v58
	v_addc_co_u32_e32 v59, vcc, v48, v59, vcc
	global_store_dwordx2 v[58:59], v[37:38], off
	s_or_b64 exec, exec, s[54:55]
	v_cmp_lt_u32_e64 s[54:55], v79, v174
	s_and_saveexec_b64 s[56:57], s[54:55]
	s_cbranch_execz .LBB709_477
.LBB709_545:                            ;   in Loop: Header=BB709_390 Depth=2
	ds_read_b64 v[37:38], v104 offset:12800
	v_mov_b32_e32 v48, s81
	s_waitcnt lgkmcnt(0)
	v_lshrrev_b64 v[58:59], s88, v[37:38]
	v_mov_b32_e32 v59, v3
	v_and_b32_e32 v44, s99, v58
	v_lshlrev_b32_e32 v44, 2, v44
	ds_read_b32 v44, v44
	v_xor_b32_e32 v38, 0x7fffffff, v38
	v_not_b32_e32 v37, v37
	s_waitcnt lgkmcnt(0)
	v_add_u32_e32 v58, v44, v79
	v_lshlrev_b64 v[58:59], 3, v[58:59]
	v_add_co_u32_e32 v58, vcc, s80, v58
	v_addc_co_u32_e32 v59, vcc, v48, v59, vcc
	global_store_dwordx2 v[58:59], v[37:38], off
	s_or_b64 exec, exec, s[56:57]
	v_cmp_lt_u32_e64 s[56:57], v80, v174
	s_and_saveexec_b64 s[58:59], s[56:57]
	s_cbranch_execz .LBB709_478
.LBB709_546:                            ;   in Loop: Header=BB709_390 Depth=2
	ds_read_b64 v[37:38], v104 offset:14848
	v_mov_b32_e32 v48, s81
	s_waitcnt lgkmcnt(0)
	v_lshrrev_b64 v[58:59], s88, v[37:38]
	v_mov_b32_e32 v59, v3
	v_and_b32_e32 v44, s99, v58
	v_lshlrev_b32_e32 v44, 2, v44
	ds_read_b32 v44, v44
	v_xor_b32_e32 v38, 0x7fffffff, v38
	v_not_b32_e32 v37, v37
	s_waitcnt lgkmcnt(0)
	v_add_u32_e32 v58, v44, v80
	v_lshlrev_b64 v[58:59], 3, v[58:59]
	v_add_co_u32_e32 v58, vcc, s80, v58
	v_addc_co_u32_e32 v59, vcc, v48, v59, vcc
	global_store_dwordx2 v[58:59], v[37:38], off
	s_or_b64 exec, exec, s[58:59]
	v_cmp_lt_u32_e64 s[58:59], v81, v174
	s_and_saveexec_b64 s[60:61], s[58:59]
	s_cbranch_execz .LBB709_479
.LBB709_547:                            ;   in Loop: Header=BB709_390 Depth=2
	ds_read_b64 v[37:38], v104 offset:16896
	v_mov_b32_e32 v48, s81
	s_waitcnt lgkmcnt(0)
	v_lshrrev_b64 v[58:59], s88, v[37:38]
	v_mov_b32_e32 v59, v3
	v_and_b32_e32 v44, s99, v58
	v_lshlrev_b32_e32 v44, 2, v44
	ds_read_b32 v44, v44
	v_xor_b32_e32 v38, 0x7fffffff, v38
	v_not_b32_e32 v37, v37
	s_waitcnt lgkmcnt(0)
	v_add_u32_e32 v58, v44, v81
	v_lshlrev_b64 v[58:59], 3, v[58:59]
	v_add_co_u32_e32 v58, vcc, s80, v58
	v_addc_co_u32_e32 v59, vcc, v48, v59, vcc
	global_store_dwordx2 v[58:59], v[37:38], off
	s_or_b64 exec, exec, s[60:61]
	v_cmp_lt_u32_e64 s[60:61], v82, v174
	s_and_saveexec_b64 s[62:63], s[60:61]
	s_cbranch_execz .LBB709_480
.LBB709_548:                            ;   in Loop: Header=BB709_390 Depth=2
	ds_read_b64 v[37:38], v104 offset:18944
	v_mov_b32_e32 v48, s81
	s_waitcnt lgkmcnt(0)
	v_lshrrev_b64 v[58:59], s88, v[37:38]
	v_mov_b32_e32 v59, v3
	v_and_b32_e32 v44, s99, v58
	v_lshlrev_b32_e32 v44, 2, v44
	ds_read_b32 v44, v44
	v_xor_b32_e32 v38, 0x7fffffff, v38
	v_not_b32_e32 v37, v37
	s_waitcnt lgkmcnt(0)
	v_add_u32_e32 v58, v44, v82
	v_lshlrev_b64 v[58:59], 3, v[58:59]
	v_add_co_u32_e32 v58, vcc, s80, v58
	v_addc_co_u32_e32 v59, vcc, v48, v59, vcc
	global_store_dwordx2 v[58:59], v[37:38], off
	s_or_b64 exec, exec, s[62:63]
	v_cmp_lt_u32_e64 s[62:63], v83, v174
	s_and_saveexec_b64 s[64:65], s[62:63]
	s_cbranch_execz .LBB709_481
.LBB709_549:                            ;   in Loop: Header=BB709_390 Depth=2
	ds_read_b64 v[37:38], v104 offset:20992
	v_mov_b32_e32 v48, s81
	s_waitcnt lgkmcnt(0)
	v_lshrrev_b64 v[58:59], s88, v[37:38]
	v_mov_b32_e32 v59, v3
	v_and_b32_e32 v44, s99, v58
	v_lshlrev_b32_e32 v44, 2, v44
	ds_read_b32 v44, v44
	v_xor_b32_e32 v38, 0x7fffffff, v38
	v_not_b32_e32 v37, v37
	s_waitcnt lgkmcnt(0)
	v_add_u32_e32 v58, v44, v83
	v_lshlrev_b64 v[58:59], 3, v[58:59]
	v_add_co_u32_e32 v58, vcc, s80, v58
	v_addc_co_u32_e32 v59, vcc, v48, v59, vcc
	global_store_dwordx2 v[58:59], v[37:38], off
	s_or_b64 exec, exec, s[64:65]
	v_cmp_lt_u32_e64 s[64:65], v84, v174
	s_and_saveexec_b64 s[66:67], s[64:65]
	s_cbranch_execz .LBB709_482
.LBB709_550:                            ;   in Loop: Header=BB709_390 Depth=2
	ds_read_b64 v[37:38], v104 offset:23040
	v_mov_b32_e32 v48, s81
	s_waitcnt lgkmcnt(0)
	v_lshrrev_b64 v[58:59], s88, v[37:38]
	v_mov_b32_e32 v59, v3
	v_and_b32_e32 v44, s99, v58
	v_lshlrev_b32_e32 v44, 2, v44
	ds_read_b32 v44, v44
	v_xor_b32_e32 v38, 0x7fffffff, v38
	v_not_b32_e32 v37, v37
	s_waitcnt lgkmcnt(0)
	v_add_u32_e32 v58, v44, v84
	v_lshlrev_b64 v[58:59], 3, v[58:59]
	v_add_co_u32_e32 v58, vcc, s80, v58
	v_addc_co_u32_e32 v59, vcc, v48, v59, vcc
	global_store_dwordx2 v[58:59], v[37:38], off
	s_or_b64 exec, exec, s[66:67]
	v_cmp_lt_u32_e64 s[66:67], v85, v174
	s_and_saveexec_b64 s[68:69], s[66:67]
	s_cbranch_execz .LBB709_483
.LBB709_551:                            ;   in Loop: Header=BB709_390 Depth=2
	ds_read_b64 v[37:38], v104 offset:25088
	v_mov_b32_e32 v48, s81
	s_waitcnt lgkmcnt(0)
	v_lshrrev_b64 v[58:59], s88, v[37:38]
	v_mov_b32_e32 v59, v3
	v_and_b32_e32 v44, s99, v58
	v_lshlrev_b32_e32 v44, 2, v44
	ds_read_b32 v44, v44
	v_xor_b32_e32 v38, 0x7fffffff, v38
	v_not_b32_e32 v37, v37
	s_waitcnt lgkmcnt(0)
	v_add_u32_e32 v58, v44, v85
	v_lshlrev_b64 v[58:59], 3, v[58:59]
	v_add_co_u32_e32 v58, vcc, s80, v58
	v_addc_co_u32_e32 v59, vcc, v48, v59, vcc
	global_store_dwordx2 v[58:59], v[37:38], off
	s_or_b64 exec, exec, s[68:69]
	v_cmp_lt_u32_e64 s[68:69], v86, v174
	s_and_saveexec_b64 s[70:71], s[68:69]
	s_cbranch_execz .LBB709_484
.LBB709_552:                            ;   in Loop: Header=BB709_390 Depth=2
	ds_read_b64 v[37:38], v104 offset:27136
	v_mov_b32_e32 v48, s81
	s_waitcnt lgkmcnt(0)
	v_lshrrev_b64 v[58:59], s88, v[37:38]
	v_mov_b32_e32 v59, v3
	v_and_b32_e32 v44, s99, v58
	v_lshlrev_b32_e32 v44, 2, v44
	ds_read_b32 v44, v44
	v_xor_b32_e32 v38, 0x7fffffff, v38
	v_not_b32_e32 v37, v37
	s_waitcnt lgkmcnt(0)
	v_add_u32_e32 v58, v44, v86
	v_lshlrev_b64 v[58:59], 3, v[58:59]
	v_add_co_u32_e32 v58, vcc, s80, v58
	v_addc_co_u32_e32 v59, vcc, v48, v59, vcc
	global_store_dwordx2 v[58:59], v[37:38], off
	s_or_b64 exec, exec, s[70:71]
	v_cmp_lt_u32_e64 s[70:71], v87, v174
	s_and_saveexec_b64 s[72:73], s[70:71]
	s_cbranch_execz .LBB709_485
.LBB709_553:                            ;   in Loop: Header=BB709_390 Depth=2
	ds_read_b64 v[37:38], v104 offset:29184
	v_mov_b32_e32 v48, s81
	s_waitcnt lgkmcnt(0)
	v_lshrrev_b64 v[58:59], s88, v[37:38]
	v_mov_b32_e32 v59, v3
	v_and_b32_e32 v44, s99, v58
	v_lshlrev_b32_e32 v44, 2, v44
	ds_read_b32 v44, v44
	v_xor_b32_e32 v38, 0x7fffffff, v38
	v_not_b32_e32 v37, v37
	s_waitcnt lgkmcnt(0)
	v_add_u32_e32 v58, v44, v87
	v_lshlrev_b64 v[58:59], 3, v[58:59]
	v_add_co_u32_e32 v58, vcc, s80, v58
	v_addc_co_u32_e32 v59, vcc, v48, v59, vcc
	global_store_dwordx2 v[58:59], v[37:38], off
	s_or_b64 exec, exec, s[72:73]
	v_cmp_lt_u32_e64 s[72:73], v88, v174
	s_and_saveexec_b64 s[82:83], s[72:73]
	s_cbranch_execnz .LBB709_486
	s_branch .LBB709_487
.LBB709_554:                            ;   in Loop: Header=BB709_390 Depth=2
	global_load_dwordx2 v[35:36], v[37:38], off
	s_or_b64 exec, exec, s[82:83]
	v_cmp_lt_u32_e32 vcc, v154, v174
	s_and_saveexec_b64 s[82:83], vcc
	s_cbranch_execz .LBB709_489
.LBB709_555:                            ;   in Loop: Header=BB709_390 Depth=2
	global_load_dwordx2 v[33:34], v[37:38], off offset:512
	s_or_b64 exec, exec, s[82:83]
	v_cmp_lt_u32_e32 vcc, v155, v174
	s_and_saveexec_b64 s[82:83], vcc
	s_cbranch_execz .LBB709_490
.LBB709_556:                            ;   in Loop: Header=BB709_390 Depth=2
	global_load_dwordx2 v[31:32], v[37:38], off offset:1024
	s_or_b64 exec, exec, s[82:83]
	v_cmp_lt_u32_e32 vcc, v156, v174
	s_and_saveexec_b64 s[82:83], vcc
	s_cbranch_execz .LBB709_491
.LBB709_557:                            ;   in Loop: Header=BB709_390 Depth=2
	global_load_dwordx2 v[27:28], v[37:38], off offset:1536
	s_or_b64 exec, exec, s[82:83]
	v_cmp_lt_u32_e32 vcc, v157, v174
	s_and_saveexec_b64 s[82:83], vcc
	s_cbranch_execz .LBB709_492
.LBB709_558:                            ;   in Loop: Header=BB709_390 Depth=2
	global_load_dwordx2 v[23:24], v[37:38], off offset:2048
	s_or_b64 exec, exec, s[82:83]
	v_cmp_lt_u32_e32 vcc, v158, v174
	s_and_saveexec_b64 s[82:83], vcc
	s_cbranch_execz .LBB709_493
.LBB709_559:                            ;   in Loop: Header=BB709_390 Depth=2
	global_load_dwordx2 v[19:20], v[37:38], off offset:2560
	s_or_b64 exec, exec, s[82:83]
	v_cmp_lt_u32_e32 vcc, v159, v174
	s_and_saveexec_b64 s[82:83], vcc
	s_cbranch_execz .LBB709_494
.LBB709_560:                            ;   in Loop: Header=BB709_390 Depth=2
	global_load_dwordx2 v[15:16], v[37:38], off offset:3072
	s_or_b64 exec, exec, s[82:83]
	v_cmp_lt_u32_e32 vcc, v160, v174
	s_and_saveexec_b64 s[82:83], vcc
	s_cbranch_execz .LBB709_495
.LBB709_561:                            ;   in Loop: Header=BB709_390 Depth=2
	global_load_dwordx2 v[11:12], v[37:38], off offset:3584
	s_or_b64 exec, exec, s[82:83]
	v_cmp_lt_u32_e32 vcc, v161, v174
	s_and_saveexec_b64 s[82:83], vcc
	s_cbranch_execz .LBB709_496
.LBB709_562:                            ;   in Loop: Header=BB709_390 Depth=2
	v_add_co_u32_e32 v29, vcc, 0x1000, v37
	v_addc_co_u32_e32 v30, vcc, 0, v38, vcc
	global_load_dwordx2 v[29:30], v[29:30], off
	s_or_b64 exec, exec, s[82:83]
	v_cmp_lt_u32_e32 vcc, v162, v174
	s_and_saveexec_b64 s[82:83], vcc
	s_cbranch_execz .LBB709_497
.LBB709_563:                            ;   in Loop: Header=BB709_390 Depth=2
	v_add_co_u32_e32 v25, vcc, 0x1000, v37
	v_addc_co_u32_e32 v26, vcc, 0, v38, vcc
	global_load_dwordx2 v[25:26], v[25:26], off offset:512
	s_or_b64 exec, exec, s[82:83]
	v_cmp_lt_u32_e32 vcc, v163, v174
	s_and_saveexec_b64 s[82:83], vcc
	s_cbranch_execz .LBB709_498
.LBB709_564:                            ;   in Loop: Header=BB709_390 Depth=2
	v_add_co_u32_e32 v21, vcc, 0x1000, v37
	v_addc_co_u32_e32 v22, vcc, 0, v38, vcc
	global_load_dwordx2 v[21:22], v[21:22], off offset:1024
	s_or_b64 exec, exec, s[82:83]
	v_cmp_lt_u32_e32 vcc, v164, v174
	s_and_saveexec_b64 s[82:83], vcc
	s_cbranch_execz .LBB709_499
.LBB709_565:                            ;   in Loop: Header=BB709_390 Depth=2
	v_add_co_u32_e32 v17, vcc, 0x1000, v37
	v_addc_co_u32_e32 v18, vcc, 0, v38, vcc
	global_load_dwordx2 v[17:18], v[17:18], off offset:1536
	s_or_b64 exec, exec, s[82:83]
	v_cmp_lt_u32_e32 vcc, v165, v174
	s_and_saveexec_b64 s[82:83], vcc
	s_cbranch_execz .LBB709_500
.LBB709_566:                            ;   in Loop: Header=BB709_390 Depth=2
	v_add_co_u32_e32 v13, vcc, 0x1000, v37
	v_addc_co_u32_e32 v14, vcc, 0, v38, vcc
	global_load_dwordx2 v[13:14], v[13:14], off offset:2048
	s_or_b64 exec, exec, s[82:83]
	v_cmp_lt_u32_e32 vcc, v166, v174
	s_and_saveexec_b64 s[82:83], vcc
	s_cbranch_execz .LBB709_501
.LBB709_567:                            ;   in Loop: Header=BB709_390 Depth=2
	v_add_co_u32_e32 v9, vcc, 0x1000, v37
	v_addc_co_u32_e32 v10, vcc, 0, v38, vcc
	global_load_dwordx2 v[9:10], v[9:10], off offset:2560
	s_or_b64 exec, exec, s[82:83]
	v_cmp_lt_u32_e32 vcc, v167, v174
	s_and_saveexec_b64 s[82:83], vcc
	s_cbranch_execz .LBB709_502
.LBB709_568:                            ;   in Loop: Header=BB709_390 Depth=2
	v_add_co_u32_e32 v7, vcc, 0x1000, v37
	v_addc_co_u32_e32 v8, vcc, 0, v38, vcc
	global_load_dwordx2 v[7:8], v[7:8], off offset:3072
	s_or_b64 exec, exec, s[82:83]
	v_cmp_lt_u32_e32 vcc, v168, v174
	s_and_saveexec_b64 s[82:83], vcc
	s_cbranch_execz .LBB709_503
.LBB709_569:                            ;   in Loop: Header=BB709_390 Depth=2
	v_add_co_u32_e32 v5, vcc, 0x1000, v37
	v_addc_co_u32_e32 v6, vcc, 0, v38, vcc
	global_load_dwordx2 v[5:6], v[5:6], off offset:3584
	s_or_b64 exec, exec, s[82:83]
	s_and_saveexec_b64 s[82:83], s[42:43]
	s_cbranch_execz .LBB709_504
.LBB709_570:                            ;   in Loop: Header=BB709_390 Depth=2
	ds_read_b64 v[37:38], v104 offset:512
	s_waitcnt lgkmcnt(0)
	v_lshrrev_b64 v[37:38], s88, v[37:38]
	v_and_b32_e32 v150, s99, v37
	s_or_b64 exec, exec, s[82:83]
	s_and_saveexec_b64 s[82:83], s[44:45]
	s_cbranch_execz .LBB709_505
.LBB709_571:                            ;   in Loop: Header=BB709_390 Depth=2
	ds_read_b64 v[37:38], v104 offset:2560
	s_waitcnt lgkmcnt(0)
	v_lshrrev_b64 v[37:38], s88, v[37:38]
	v_and_b32_e32 v149, s99, v37
	s_or_b64 exec, exec, s[82:83]
	s_and_saveexec_b64 s[82:83], s[46:47]
	s_cbranch_execz .LBB709_506
.LBB709_572:                            ;   in Loop: Header=BB709_390 Depth=2
	ds_read_b64 v[37:38], v104 offset:4608
	s_waitcnt lgkmcnt(0)
	v_lshrrev_b64 v[37:38], s88, v[37:38]
	v_and_b32_e32 v148, s99, v37
	s_or_b64 exec, exec, s[82:83]
	s_and_saveexec_b64 s[82:83], s[48:49]
	s_cbranch_execz .LBB709_507
.LBB709_573:                            ;   in Loop: Header=BB709_390 Depth=2
	ds_read_b64 v[37:38], v104 offset:6656
	s_waitcnt lgkmcnt(0)
	v_lshrrev_b64 v[37:38], s88, v[37:38]
	v_and_b32_e32 v147, s99, v37
	s_or_b64 exec, exec, s[82:83]
	s_and_saveexec_b64 s[82:83], s[50:51]
	s_cbranch_execz .LBB709_508
.LBB709_574:                            ;   in Loop: Header=BB709_390 Depth=2
	ds_read_b64 v[37:38], v104 offset:8704
	s_waitcnt lgkmcnt(0)
	v_lshrrev_b64 v[37:38], s88, v[37:38]
	v_and_b32_e32 v146, s99, v37
	s_or_b64 exec, exec, s[82:83]
	s_and_saveexec_b64 s[82:83], s[52:53]
	s_cbranch_execz .LBB709_509
.LBB709_575:                            ;   in Loop: Header=BB709_390 Depth=2
	ds_read_b64 v[37:38], v104 offset:10752
	s_waitcnt lgkmcnt(0)
	v_lshrrev_b64 v[37:38], s88, v[37:38]
	v_and_b32_e32 v145, s99, v37
	s_or_b64 exec, exec, s[82:83]
	s_and_saveexec_b64 s[82:83], s[54:55]
	s_cbranch_execz .LBB709_510
.LBB709_576:                            ;   in Loop: Header=BB709_390 Depth=2
	ds_read_b64 v[37:38], v104 offset:12800
	s_waitcnt lgkmcnt(0)
	v_lshrrev_b64 v[37:38], s88, v[37:38]
	v_and_b32_e32 v144, s99, v37
	s_or_b64 exec, exec, s[82:83]
	s_and_saveexec_b64 s[82:83], s[56:57]
	s_cbranch_execz .LBB709_511
.LBB709_577:                            ;   in Loop: Header=BB709_390 Depth=2
	ds_read_b64 v[37:38], v104 offset:14848
	s_waitcnt lgkmcnt(0)
	v_lshrrev_b64 v[37:38], s88, v[37:38]
	v_and_b32_e32 v143, s99, v37
	s_or_b64 exec, exec, s[82:83]
	s_and_saveexec_b64 s[82:83], s[58:59]
	s_cbranch_execz .LBB709_512
.LBB709_578:                            ;   in Loop: Header=BB709_390 Depth=2
	ds_read_b64 v[37:38], v104 offset:16896
	s_waitcnt lgkmcnt(0)
	v_lshrrev_b64 v[37:38], s88, v[37:38]
	v_and_b32_e32 v142, s99, v37
	s_or_b64 exec, exec, s[82:83]
	s_and_saveexec_b64 s[82:83], s[60:61]
	s_cbranch_execz .LBB709_513
.LBB709_579:                            ;   in Loop: Header=BB709_390 Depth=2
	ds_read_b64 v[37:38], v104 offset:18944
	s_waitcnt lgkmcnt(0)
	v_lshrrev_b64 v[37:38], s88, v[37:38]
	v_and_b32_e32 v141, s99, v37
	s_or_b64 exec, exec, s[82:83]
	s_and_saveexec_b64 s[82:83], s[62:63]
	s_cbranch_execz .LBB709_514
.LBB709_580:                            ;   in Loop: Header=BB709_390 Depth=2
	ds_read_b64 v[37:38], v104 offset:20992
	s_waitcnt lgkmcnt(0)
	v_lshrrev_b64 v[37:38], s88, v[37:38]
	v_and_b32_e32 v140, s99, v37
	s_or_b64 exec, exec, s[82:83]
	s_and_saveexec_b64 s[82:83], s[64:65]
	s_cbranch_execz .LBB709_515
.LBB709_581:                            ;   in Loop: Header=BB709_390 Depth=2
	ds_read_b64 v[37:38], v104 offset:23040
	s_waitcnt lgkmcnt(0)
	v_lshrrev_b64 v[37:38], s88, v[37:38]
	v_and_b32_e32 v139, s99, v37
	s_or_b64 exec, exec, s[82:83]
	s_and_saveexec_b64 s[82:83], s[66:67]
	s_cbranch_execz .LBB709_516
.LBB709_582:                            ;   in Loop: Header=BB709_390 Depth=2
	ds_read_b64 v[37:38], v104 offset:25088
	s_waitcnt lgkmcnt(0)
	v_lshrrev_b64 v[37:38], s88, v[37:38]
	v_and_b32_e32 v138, s99, v37
	s_or_b64 exec, exec, s[82:83]
	s_and_saveexec_b64 s[82:83], s[68:69]
	s_cbranch_execz .LBB709_517
.LBB709_583:                            ;   in Loop: Header=BB709_390 Depth=2
	ds_read_b64 v[37:38], v104 offset:27136
	s_waitcnt lgkmcnt(0)
	v_lshrrev_b64 v[37:38], s88, v[37:38]
	v_and_b32_e32 v137, s99, v37
	s_or_b64 exec, exec, s[82:83]
	s_and_saveexec_b64 s[82:83], s[70:71]
	s_cbranch_execz .LBB709_518
.LBB709_584:                            ;   in Loop: Header=BB709_390 Depth=2
	ds_read_b64 v[37:38], v104 offset:29184
	s_waitcnt lgkmcnt(0)
	v_lshrrev_b64 v[37:38], s88, v[37:38]
	v_and_b32_e32 v136, s99, v37
	s_or_b64 exec, exec, s[82:83]
	s_and_saveexec_b64 s[82:83], s[72:73]
	s_cbranch_execnz .LBB709_519
	s_branch .LBB709_520
.LBB709_585:                            ;   in Loop: Header=BB709_390 Depth=2
	v_lshlrev_b32_e32 v37, 2, v150
	ds_read_b32 v39, v37
	ds_read_b64 v[37:38], v104 offset:512
	v_mov_b32_e32 v40, v3
	v_mov_b32_e32 v41, s87
	s_waitcnt lgkmcnt(1)
	v_add_u32_e32 v39, v39, v0
	v_lshlrev_b64 v[39:40], 3, v[39:40]
	v_add_co_u32_e32 v39, vcc, s86, v39
	v_addc_co_u32_e32 v40, vcc, v41, v40, vcc
	s_waitcnt lgkmcnt(0)
	global_store_dwordx2 v[39:40], v[37:38], off
	s_or_b64 exec, exec, s[82:83]
	s_and_saveexec_b64 s[42:43], s[44:45]
	s_cbranch_execz .LBB709_522
.LBB709_586:                            ;   in Loop: Header=BB709_390 Depth=2
	v_lshlrev_b32_e32 v37, 2, v149
	ds_read_b32 v39, v37
	ds_read_b64 v[37:38], v104 offset:2560
	v_mov_b32_e32 v40, v3
	v_mov_b32_e32 v41, s87
	s_waitcnt lgkmcnt(1)
	v_add_u32_e32 v39, v39, v72
	v_lshlrev_b64 v[39:40], 3, v[39:40]
	v_add_co_u32_e32 v39, vcc, s86, v39
	v_addc_co_u32_e32 v40, vcc, v41, v40, vcc
	s_waitcnt lgkmcnt(0)
	global_store_dwordx2 v[39:40], v[37:38], off
	s_or_b64 exec, exec, s[42:43]
	s_and_saveexec_b64 s[42:43], s[46:47]
	s_cbranch_execz .LBB709_523
.LBB709_587:                            ;   in Loop: Header=BB709_390 Depth=2
	v_lshlrev_b32_e32 v37, 2, v148
	ds_read_b32 v39, v37
	ds_read_b64 v[37:38], v104 offset:4608
	v_mov_b32_e32 v40, v3
	v_mov_b32_e32 v41, s87
	s_waitcnt lgkmcnt(1)
	v_add_u32_e32 v39, v39, v75
	v_lshlrev_b64 v[39:40], 3, v[39:40]
	v_add_co_u32_e32 v39, vcc, s86, v39
	v_addc_co_u32_e32 v40, vcc, v41, v40, vcc
	s_waitcnt lgkmcnt(0)
	global_store_dwordx2 v[39:40], v[37:38], off
	s_or_b64 exec, exec, s[42:43]
	s_and_saveexec_b64 s[42:43], s[48:49]
	s_cbranch_execz .LBB709_524
.LBB709_588:                            ;   in Loop: Header=BB709_390 Depth=2
	v_lshlrev_b32_e32 v37, 2, v147
	ds_read_b32 v39, v37
	ds_read_b64 v[37:38], v104 offset:6656
	v_mov_b32_e32 v40, v3
	v_mov_b32_e32 v41, s87
	s_waitcnt lgkmcnt(1)
	v_add_u32_e32 v39, v39, v76
	v_lshlrev_b64 v[39:40], 3, v[39:40]
	v_add_co_u32_e32 v39, vcc, s86, v39
	v_addc_co_u32_e32 v40, vcc, v41, v40, vcc
	s_waitcnt lgkmcnt(0)
	global_store_dwordx2 v[39:40], v[37:38], off
	s_or_b64 exec, exec, s[42:43]
	s_and_saveexec_b64 s[42:43], s[50:51]
	s_cbranch_execz .LBB709_525
.LBB709_589:                            ;   in Loop: Header=BB709_390 Depth=2
	v_lshlrev_b32_e32 v37, 2, v146
	ds_read_b32 v39, v37
	ds_read_b64 v[37:38], v104 offset:8704
	v_mov_b32_e32 v40, v3
	v_mov_b32_e32 v41, s87
	s_waitcnt lgkmcnt(1)
	v_add_u32_e32 v39, v39, v77
	v_lshlrev_b64 v[39:40], 3, v[39:40]
	v_add_co_u32_e32 v39, vcc, s86, v39
	v_addc_co_u32_e32 v40, vcc, v41, v40, vcc
	s_waitcnt lgkmcnt(0)
	global_store_dwordx2 v[39:40], v[37:38], off
	s_or_b64 exec, exec, s[42:43]
	s_and_saveexec_b64 s[42:43], s[52:53]
	s_cbranch_execz .LBB709_526
.LBB709_590:                            ;   in Loop: Header=BB709_390 Depth=2
	v_lshlrev_b32_e32 v37, 2, v145
	ds_read_b32 v39, v37
	ds_read_b64 v[37:38], v104 offset:10752
	v_mov_b32_e32 v40, v3
	v_mov_b32_e32 v41, s87
	s_waitcnt lgkmcnt(1)
	v_add_u32_e32 v39, v39, v78
	v_lshlrev_b64 v[39:40], 3, v[39:40]
	v_add_co_u32_e32 v39, vcc, s86, v39
	v_addc_co_u32_e32 v40, vcc, v41, v40, vcc
	s_waitcnt lgkmcnt(0)
	global_store_dwordx2 v[39:40], v[37:38], off
	s_or_b64 exec, exec, s[42:43]
	s_and_saveexec_b64 s[42:43], s[54:55]
	s_cbranch_execz .LBB709_527
.LBB709_591:                            ;   in Loop: Header=BB709_390 Depth=2
	v_lshlrev_b32_e32 v37, 2, v144
	ds_read_b32 v39, v37
	ds_read_b64 v[37:38], v104 offset:12800
	v_mov_b32_e32 v40, v3
	v_mov_b32_e32 v41, s87
	s_waitcnt lgkmcnt(1)
	v_add_u32_e32 v39, v39, v79
	v_lshlrev_b64 v[39:40], 3, v[39:40]
	v_add_co_u32_e32 v39, vcc, s86, v39
	v_addc_co_u32_e32 v40, vcc, v41, v40, vcc
	s_waitcnt lgkmcnt(0)
	global_store_dwordx2 v[39:40], v[37:38], off
	s_or_b64 exec, exec, s[42:43]
	s_and_saveexec_b64 s[42:43], s[56:57]
	s_cbranch_execz .LBB709_528
.LBB709_592:                            ;   in Loop: Header=BB709_390 Depth=2
	v_lshlrev_b32_e32 v37, 2, v143
	ds_read_b32 v39, v37
	ds_read_b64 v[37:38], v104 offset:14848
	v_mov_b32_e32 v40, v3
	v_mov_b32_e32 v41, s87
	s_waitcnt lgkmcnt(1)
	v_add_u32_e32 v39, v39, v80
	v_lshlrev_b64 v[39:40], 3, v[39:40]
	v_add_co_u32_e32 v39, vcc, s86, v39
	v_addc_co_u32_e32 v40, vcc, v41, v40, vcc
	s_waitcnt lgkmcnt(0)
	global_store_dwordx2 v[39:40], v[37:38], off
	s_or_b64 exec, exec, s[42:43]
	s_and_saveexec_b64 s[42:43], s[58:59]
	s_cbranch_execz .LBB709_529
.LBB709_593:                            ;   in Loop: Header=BB709_390 Depth=2
	v_lshlrev_b32_e32 v37, 2, v142
	ds_read_b32 v39, v37
	ds_read_b64 v[37:38], v104 offset:16896
	v_mov_b32_e32 v40, v3
	v_mov_b32_e32 v41, s87
	s_waitcnt lgkmcnt(1)
	v_add_u32_e32 v39, v39, v81
	v_lshlrev_b64 v[39:40], 3, v[39:40]
	v_add_co_u32_e32 v39, vcc, s86, v39
	v_addc_co_u32_e32 v40, vcc, v41, v40, vcc
	s_waitcnt lgkmcnt(0)
	global_store_dwordx2 v[39:40], v[37:38], off
	s_or_b64 exec, exec, s[42:43]
	s_and_saveexec_b64 s[42:43], s[60:61]
	s_cbranch_execz .LBB709_530
.LBB709_594:                            ;   in Loop: Header=BB709_390 Depth=2
	v_lshlrev_b32_e32 v37, 2, v141
	ds_read_b32 v39, v37
	ds_read_b64 v[37:38], v104 offset:18944
	v_mov_b32_e32 v40, v3
	v_mov_b32_e32 v41, s87
	s_waitcnt lgkmcnt(1)
	v_add_u32_e32 v39, v39, v82
	v_lshlrev_b64 v[39:40], 3, v[39:40]
	v_add_co_u32_e32 v39, vcc, s86, v39
	v_addc_co_u32_e32 v40, vcc, v41, v40, vcc
	s_waitcnt lgkmcnt(0)
	global_store_dwordx2 v[39:40], v[37:38], off
	s_or_b64 exec, exec, s[42:43]
	s_and_saveexec_b64 s[42:43], s[62:63]
	s_cbranch_execz .LBB709_531
.LBB709_595:                            ;   in Loop: Header=BB709_390 Depth=2
	v_lshlrev_b32_e32 v37, 2, v140
	ds_read_b32 v39, v37
	ds_read_b64 v[37:38], v104 offset:20992
	v_mov_b32_e32 v40, v3
	v_mov_b32_e32 v41, s87
	s_waitcnt lgkmcnt(1)
	v_add_u32_e32 v39, v39, v83
	v_lshlrev_b64 v[39:40], 3, v[39:40]
	v_add_co_u32_e32 v39, vcc, s86, v39
	v_addc_co_u32_e32 v40, vcc, v41, v40, vcc
	s_waitcnt lgkmcnt(0)
	global_store_dwordx2 v[39:40], v[37:38], off
	s_or_b64 exec, exec, s[42:43]
	s_and_saveexec_b64 s[42:43], s[64:65]
	s_cbranch_execz .LBB709_532
.LBB709_596:                            ;   in Loop: Header=BB709_390 Depth=2
	v_lshlrev_b32_e32 v37, 2, v139
	ds_read_b32 v39, v37
	ds_read_b64 v[37:38], v104 offset:23040
	v_mov_b32_e32 v40, v3
	v_mov_b32_e32 v41, s87
	s_waitcnt lgkmcnt(1)
	v_add_u32_e32 v39, v39, v84
	v_lshlrev_b64 v[39:40], 3, v[39:40]
	v_add_co_u32_e32 v39, vcc, s86, v39
	v_addc_co_u32_e32 v40, vcc, v41, v40, vcc
	s_waitcnt lgkmcnt(0)
	global_store_dwordx2 v[39:40], v[37:38], off
	s_or_b64 exec, exec, s[42:43]
	s_and_saveexec_b64 s[42:43], s[66:67]
	s_cbranch_execz .LBB709_533
.LBB709_597:                            ;   in Loop: Header=BB709_390 Depth=2
	v_lshlrev_b32_e32 v37, 2, v138
	ds_read_b32 v39, v37
	ds_read_b64 v[37:38], v104 offset:25088
	v_mov_b32_e32 v40, v3
	v_mov_b32_e32 v41, s87
	s_waitcnt lgkmcnt(1)
	v_add_u32_e32 v39, v39, v85
	v_lshlrev_b64 v[39:40], 3, v[39:40]
	v_add_co_u32_e32 v39, vcc, s86, v39
	v_addc_co_u32_e32 v40, vcc, v41, v40, vcc
	s_waitcnt lgkmcnt(0)
	global_store_dwordx2 v[39:40], v[37:38], off
	s_or_b64 exec, exec, s[42:43]
	s_and_saveexec_b64 s[42:43], s[68:69]
	s_cbranch_execz .LBB709_534
.LBB709_598:                            ;   in Loop: Header=BB709_390 Depth=2
	v_lshlrev_b32_e32 v37, 2, v137
	ds_read_b32 v39, v37
	ds_read_b64 v[37:38], v104 offset:27136
	v_mov_b32_e32 v40, v3
	v_mov_b32_e32 v41, s87
	s_waitcnt lgkmcnt(1)
	v_add_u32_e32 v39, v39, v86
	v_lshlrev_b64 v[39:40], 3, v[39:40]
	v_add_co_u32_e32 v39, vcc, s86, v39
	v_addc_co_u32_e32 v40, vcc, v41, v40, vcc
	s_waitcnt lgkmcnt(0)
	global_store_dwordx2 v[39:40], v[37:38], off
	s_or_b64 exec, exec, s[42:43]
	s_and_saveexec_b64 s[42:43], s[70:71]
	s_cbranch_execz .LBB709_535
.LBB709_599:                            ;   in Loop: Header=BB709_390 Depth=2
	v_lshlrev_b32_e32 v37, 2, v136
	ds_read_b32 v39, v37
	ds_read_b64 v[37:38], v104 offset:29184
	v_mov_b32_e32 v40, v3
	v_mov_b32_e32 v41, s87
	s_waitcnt lgkmcnt(1)
	v_add_u32_e32 v39, v39, v87
	v_lshlrev_b64 v[39:40], 3, v[39:40]
	v_add_co_u32_e32 v39, vcc, s86, v39
	v_addc_co_u32_e32 v40, vcc, v41, v40, vcc
	s_waitcnt lgkmcnt(0)
	global_store_dwordx2 v[39:40], v[37:38], off
	s_or_b64 exec, exec, s[42:43]
	s_and_saveexec_b64 s[42:43], s[72:73]
	s_cbranch_execnz .LBB709_536
	s_branch .LBB709_537
.LBB709_600:                            ;   in Loop: Header=BB709_12 Depth=1
	s_waitcnt lgkmcnt(0)
	s_barrier
.LBB709_601:                            ;   in Loop: Header=BB709_12 Depth=1
	s_mov_b64 s[22:23], 0
.LBB709_602:                            ;   in Loop: Header=BB709_12 Depth=1
	s_andn2_b64 vcc, exec, s[22:23]
	s_cbranch_vccnz .LBB709_11
; %bb.603:                              ;   in Loop: Header=BB709_12 Depth=1
	s_lshl_b32 s8, -1, s98
	s_not_b32 s98, s8
	s_mov_b64 s[22:23], -1
	s_and_b64 vcc, exec, s[74:75]
	s_cbranch_vccz .LBB709_897
; %bb.604:                              ;   in Loop: Header=BB709_12 Depth=1
	s_mov_b32 s8, s33
	s_mov_b32 s92, s96
	s_barrier
                                        ; implicit-def: $vgpr5_vgpr6
                                        ; implicit-def: $vgpr7_vgpr8
                                        ; implicit-def: $vgpr9_vgpr10
                                        ; implicit-def: $vgpr11_vgpr12
                                        ; implicit-def: $vgpr13_vgpr14
                                        ; implicit-def: $vgpr15_vgpr16
                                        ; implicit-def: $vgpr17_vgpr18
                                        ; implicit-def: $vgpr19_vgpr20
                                        ; implicit-def: $vgpr21_vgpr22
                                        ; implicit-def: $vgpr23_vgpr24
                                        ; implicit-def: $vgpr25_vgpr26
                                        ; implicit-def: $vgpr27_vgpr28
                                        ; implicit-def: $vgpr29_vgpr30
                                        ; implicit-def: $vgpr31_vgpr32
                                        ; implicit-def: $vgpr33_vgpr34
                                        ; implicit-def: $vgpr35_vgpr36
	s_branch .LBB709_606
.LBB709_605:                            ;   in Loop: Header=BB709_606 Depth=2
	s_or_b64 exec, exec, s[22:23]
	s_addk_i32 s8, 0xf000
	s_cmp_ge_u32 s9, s97
	s_mov_b32 s92, s9
	s_cbranch_scc1 .LBB709_674
.LBB709_606:                            ;   Parent Loop BB709_12 Depth=1
                                        ; =>  This Inner Loop Header: Depth=2
	s_add_i32 s9, s92, 0x1000
	s_cmp_gt_u32 s9, s97
	s_mov_b64 s[22:23], -1
                                        ; implicit-def: $vgpr37_vgpr38
                                        ; implicit-def: $vgpr39_vgpr40
                                        ; implicit-def: $vgpr41_vgpr42
                                        ; implicit-def: $vgpr43_vgpr44
                                        ; implicit-def: $vgpr45_vgpr46
                                        ; implicit-def: $vgpr47_vgpr48
                                        ; implicit-def: $vgpr49_vgpr50
                                        ; implicit-def: $vgpr51_vgpr52
                                        ; implicit-def: $vgpr53_vgpr54
                                        ; implicit-def: $vgpr55_vgpr56
                                        ; implicit-def: $vgpr57_vgpr58
                                        ; implicit-def: $vgpr59_vgpr60
                                        ; implicit-def: $vgpr61_vgpr62
                                        ; implicit-def: $vgpr63_vgpr64
                                        ; implicit-def: $vgpr65_vgpr66
                                        ; implicit-def: $vgpr67_vgpr68
	s_cbranch_scc1 .LBB709_608
; %bb.607:                              ;   in Loop: Header=BB709_606 Depth=2
	s_lshl_b64 s[22:23], s[92:93], 3
	v_mov_b32_e32 v37, s23
	v_add_co_u32_e32 v61, vcc, s22, v111
	v_addc_co_u32_e32 v62, vcc, v112, v37, vcc
	v_add_co_u32_e32 v45, vcc, 0x1000, v61
	v_addc_co_u32_e32 v46, vcc, 0, v62, vcc
	;; [unrolled: 2-line block ×6, first 2 shown]
	global_load_dwordx2 v[37:38], v[61:62], off
	global_load_dwordx2 v[39:40], v[61:62], off offset:2048
	global_load_dwordx2 v[41:42], v[45:46], off
	global_load_dwordx2 v[43:44], v[45:46], off offset:2048
	s_nop 0
	global_load_dwordx2 v[45:46], v[53:54], off
	global_load_dwordx2 v[47:48], v[53:54], off offset:2048
	global_load_dwordx2 v[49:50], v[55:56], off
	global_load_dwordx2 v[51:52], v[55:56], off offset:2048
	s_nop 0
	global_load_dwordx2 v[53:54], v[59:60], off
	global_load_dwordx2 v[55:56], v[59:60], off offset:2048
	global_load_dwordx2 v[57:58], v[63:64], off
                                        ; kill: killed $vgpr59 killed $vgpr60
	s_nop 0
	global_load_dwordx2 v[59:60], v[63:64], off offset:2048
	v_add_co_u32_e32 v63, vcc, 0x6000, v61
	v_addc_co_u32_e32 v64, vcc, 0, v62, vcc
	v_add_co_u32_e32 v67, vcc, 0x7000, v61
	v_addc_co_u32_e32 v68, vcc, 0, v62, vcc
	global_load_dwordx2 v[61:62], v[63:64], off
	s_nop 0
	global_load_dwordx2 v[63:64], v[63:64], off offset:2048
	s_nop 0
	global_load_dwordx2 v[65:66], v[67:68], off
	s_nop 0
	global_load_dwordx2 v[67:68], v[67:68], off offset:2048
	s_mov_b64 s[22:23], 0
.LBB709_608:                            ;   in Loop: Header=BB709_606 Depth=2
	s_andn2_b64 vcc, exec, s[22:23]
	s_movk_i32 s24, 0x1000
	s_cbranch_vccnz .LBB709_627
; %bb.609:                              ;   in Loop: Header=BB709_606 Depth=2
	s_lshl_b64 s[22:23], s[92:93], 3
	s_add_u32 s22, s76, s22
	s_addc_u32 s23, s77, s23
	v_cmp_gt_u32_e32 vcc, s8, v0
	s_and_saveexec_b64 s[24:25], vcc
	s_cbranch_execnz .LBB709_659
; %bb.610:                              ;   in Loop: Header=BB709_606 Depth=2
	s_or_b64 exec, exec, s[24:25]
	v_cmp_gt_u32_e32 vcc, s8, v72
	s_and_saveexec_b64 s[24:25], vcc
	s_cbranch_execnz .LBB709_660
.LBB709_611:                            ;   in Loop: Header=BB709_606 Depth=2
	s_or_b64 exec, exec, s[24:25]
	v_cmp_gt_u32_e32 vcc, s8, v75
	s_and_saveexec_b64 s[24:25], vcc
	s_cbranch_execnz .LBB709_661
.LBB709_612:                            ;   in Loop: Header=BB709_606 Depth=2
	s_or_b64 exec, exec, s[24:25]
	v_cmp_gt_u32_e32 vcc, s8, v76
	s_and_saveexec_b64 s[24:25], vcc
	s_cbranch_execnz .LBB709_662
.LBB709_613:                            ;   in Loop: Header=BB709_606 Depth=2
	s_or_b64 exec, exec, s[24:25]
	v_cmp_gt_u32_e32 vcc, s8, v77
	s_and_saveexec_b64 s[24:25], vcc
	s_cbranch_execnz .LBB709_663
.LBB709_614:                            ;   in Loop: Header=BB709_606 Depth=2
	s_or_b64 exec, exec, s[24:25]
	v_cmp_gt_u32_e32 vcc, s8, v78
	s_and_saveexec_b64 s[24:25], vcc
	s_cbranch_execnz .LBB709_664
.LBB709_615:                            ;   in Loop: Header=BB709_606 Depth=2
	s_or_b64 exec, exec, s[24:25]
	v_cmp_gt_u32_e32 vcc, s8, v79
	s_and_saveexec_b64 s[24:25], vcc
	s_cbranch_execnz .LBB709_665
.LBB709_616:                            ;   in Loop: Header=BB709_606 Depth=2
	s_or_b64 exec, exec, s[24:25]
	v_cmp_gt_u32_e32 vcc, s8, v80
	s_and_saveexec_b64 s[24:25], vcc
	s_cbranch_execnz .LBB709_666
.LBB709_617:                            ;   in Loop: Header=BB709_606 Depth=2
	s_or_b64 exec, exec, s[24:25]
	v_cmp_gt_u32_e32 vcc, s8, v81
	s_and_saveexec_b64 s[24:25], vcc
	s_cbranch_execnz .LBB709_667
.LBB709_618:                            ;   in Loop: Header=BB709_606 Depth=2
	s_or_b64 exec, exec, s[24:25]
	v_cmp_gt_u32_e32 vcc, s8, v82
	s_and_saveexec_b64 s[24:25], vcc
	s_cbranch_execnz .LBB709_668
.LBB709_619:                            ;   in Loop: Header=BB709_606 Depth=2
	s_or_b64 exec, exec, s[24:25]
	v_cmp_gt_u32_e32 vcc, s8, v83
	s_and_saveexec_b64 s[24:25], vcc
	s_cbranch_execnz .LBB709_669
.LBB709_620:                            ;   in Loop: Header=BB709_606 Depth=2
	s_or_b64 exec, exec, s[24:25]
	v_cmp_gt_u32_e32 vcc, s8, v84
	s_and_saveexec_b64 s[24:25], vcc
	s_cbranch_execnz .LBB709_670
.LBB709_621:                            ;   in Loop: Header=BB709_606 Depth=2
	s_or_b64 exec, exec, s[24:25]
	v_cmp_gt_u32_e32 vcc, s8, v85
	s_and_saveexec_b64 s[24:25], vcc
	s_cbranch_execnz .LBB709_671
.LBB709_622:                            ;   in Loop: Header=BB709_606 Depth=2
	s_or_b64 exec, exec, s[24:25]
	v_cmp_gt_u32_e32 vcc, s8, v86
	s_and_saveexec_b64 s[24:25], vcc
	s_cbranch_execnz .LBB709_672
.LBB709_623:                            ;   in Loop: Header=BB709_606 Depth=2
	s_or_b64 exec, exec, s[24:25]
	v_cmp_gt_u32_e32 vcc, s8, v87
	s_and_saveexec_b64 s[24:25], vcc
	s_cbranch_execnz .LBB709_673
.LBB709_624:                            ;   in Loop: Header=BB709_606 Depth=2
	s_or_b64 exec, exec, s[24:25]
	v_cmp_gt_u32_e32 vcc, s8, v88
	s_and_saveexec_b64 s[24:25], vcc
	s_cbranch_execz .LBB709_626
.LBB709_625:                            ;   in Loop: Header=BB709_606 Depth=2
	global_load_dwordx2 v[5:6], v132, s[22:23]
.LBB709_626:                            ;   in Loop: Header=BB709_606 Depth=2
	s_or_b64 exec, exec, s[24:25]
	s_waitcnt vmcnt(0)
	v_mov_b32_e32 v38, v36
	v_mov_b32_e32 v40, v34
	;; [unrolled: 1-line block ×16, first 2 shown]
	s_mov_b32 s24, s8
	v_mov_b32_e32 v37, v35
	v_mov_b32_e32 v39, v33
	;; [unrolled: 1-line block ×16, first 2 shown]
.LBB709_627:                            ;   in Loop: Header=BB709_606 Depth=2
	s_waitcnt vmcnt(0)
	v_mov_b32_e32 v5, v67
	v_mov_b32_e32 v7, v65
	;; [unrolled: 1-line block ×32, first 2 shown]
	v_cmp_gt_u32_e32 vcc, s24, v0
	s_and_saveexec_b64 s[22:23], vcc
	s_cbranch_execnz .LBB709_643
; %bb.628:                              ;   in Loop: Header=BB709_606 Depth=2
	s_or_b64 exec, exec, s[22:23]
	v_cmp_gt_u32_e32 vcc, s24, v72
	s_and_saveexec_b64 s[22:23], vcc
	s_cbranch_execnz .LBB709_644
.LBB709_629:                            ;   in Loop: Header=BB709_606 Depth=2
	s_or_b64 exec, exec, s[22:23]
	v_cmp_gt_u32_e32 vcc, s24, v75
	s_and_saveexec_b64 s[22:23], vcc
	s_cbranch_execnz .LBB709_645
.LBB709_630:                            ;   in Loop: Header=BB709_606 Depth=2
	s_or_b64 exec, exec, s[22:23]
	v_cmp_gt_u32_e32 vcc, s24, v76
	s_and_saveexec_b64 s[22:23], vcc
	s_cbranch_execnz .LBB709_646
.LBB709_631:                            ;   in Loop: Header=BB709_606 Depth=2
	s_or_b64 exec, exec, s[22:23]
	v_cmp_gt_u32_e32 vcc, s24, v77
	s_and_saveexec_b64 s[22:23], vcc
	s_cbranch_execnz .LBB709_647
.LBB709_632:                            ;   in Loop: Header=BB709_606 Depth=2
	s_or_b64 exec, exec, s[22:23]
	v_cmp_gt_u32_e32 vcc, s24, v78
	s_and_saveexec_b64 s[22:23], vcc
	s_cbranch_execnz .LBB709_648
.LBB709_633:                            ;   in Loop: Header=BB709_606 Depth=2
	s_or_b64 exec, exec, s[22:23]
	v_cmp_gt_u32_e32 vcc, s24, v79
	s_and_saveexec_b64 s[22:23], vcc
	s_cbranch_execnz .LBB709_649
.LBB709_634:                            ;   in Loop: Header=BB709_606 Depth=2
	s_or_b64 exec, exec, s[22:23]
	v_cmp_gt_u32_e32 vcc, s24, v80
	s_and_saveexec_b64 s[22:23], vcc
	s_cbranch_execnz .LBB709_650
.LBB709_635:                            ;   in Loop: Header=BB709_606 Depth=2
	s_or_b64 exec, exec, s[22:23]
	v_cmp_gt_u32_e32 vcc, s24, v81
	s_and_saveexec_b64 s[22:23], vcc
	s_cbranch_execnz .LBB709_651
.LBB709_636:                            ;   in Loop: Header=BB709_606 Depth=2
	s_or_b64 exec, exec, s[22:23]
	v_cmp_gt_u32_e32 vcc, s24, v82
	s_and_saveexec_b64 s[22:23], vcc
	s_cbranch_execnz .LBB709_652
.LBB709_637:                            ;   in Loop: Header=BB709_606 Depth=2
	s_or_b64 exec, exec, s[22:23]
	v_cmp_gt_u32_e32 vcc, s24, v83
	s_and_saveexec_b64 s[22:23], vcc
	s_cbranch_execnz .LBB709_653
.LBB709_638:                            ;   in Loop: Header=BB709_606 Depth=2
	s_or_b64 exec, exec, s[22:23]
	v_cmp_gt_u32_e32 vcc, s24, v84
	s_and_saveexec_b64 s[22:23], vcc
	s_cbranch_execnz .LBB709_654
.LBB709_639:                            ;   in Loop: Header=BB709_606 Depth=2
	s_or_b64 exec, exec, s[22:23]
	v_cmp_gt_u32_e32 vcc, s24, v85
	s_and_saveexec_b64 s[22:23], vcc
	s_cbranch_execnz .LBB709_655
.LBB709_640:                            ;   in Loop: Header=BB709_606 Depth=2
	s_or_b64 exec, exec, s[22:23]
	v_cmp_gt_u32_e32 vcc, s24, v86
	s_and_saveexec_b64 s[22:23], vcc
	s_cbranch_execnz .LBB709_656
.LBB709_641:                            ;   in Loop: Header=BB709_606 Depth=2
	s_or_b64 exec, exec, s[22:23]
	v_cmp_gt_u32_e32 vcc, s24, v87
	s_and_saveexec_b64 s[22:23], vcc
	s_cbranch_execnz .LBB709_657
.LBB709_642:                            ;   in Loop: Header=BB709_606 Depth=2
	s_or_b64 exec, exec, s[22:23]
	v_cmp_gt_u32_e32 vcc, s24, v88
	s_and_saveexec_b64 s[22:23], vcc
	s_cbranch_execz .LBB709_605
	s_branch .LBB709_658
.LBB709_643:                            ;   in Loop: Header=BB709_606 Depth=2
	v_xor_b32_e32 v38, 0x7fffffff, v36
	v_not_b32_e32 v37, v35
	v_lshrrev_b64 v[37:38], s7, v[37:38]
	v_and_b32_e32 v37, s98, v37
	v_lshl_or_b32 v37, v37, 4, v89
	ds_add_u32 v37, v117
	s_or_b64 exec, exec, s[22:23]
	v_cmp_gt_u32_e32 vcc, s24, v72
	s_and_saveexec_b64 s[22:23], vcc
	s_cbranch_execz .LBB709_629
.LBB709_644:                            ;   in Loop: Header=BB709_606 Depth=2
	v_xor_b32_e32 v38, 0x7fffffff, v34
	v_not_b32_e32 v37, v33
	v_lshrrev_b64 v[37:38], s7, v[37:38]
	v_and_b32_e32 v37, s98, v37
	v_lshl_or_b32 v37, v37, 4, v89
	ds_add_u32 v37, v117
	s_or_b64 exec, exec, s[22:23]
	v_cmp_gt_u32_e32 vcc, s24, v75
	s_and_saveexec_b64 s[22:23], vcc
	s_cbranch_execz .LBB709_630
.LBB709_645:                            ;   in Loop: Header=BB709_606 Depth=2
	v_xor_b32_e32 v38, 0x7fffffff, v32
	v_not_b32_e32 v37, v31
	v_lshrrev_b64 v[37:38], s7, v[37:38]
	v_and_b32_e32 v37, s98, v37
	v_lshl_or_b32 v37, v37, 4, v89
	ds_add_u32 v37, v117
	s_or_b64 exec, exec, s[22:23]
	v_cmp_gt_u32_e32 vcc, s24, v76
	s_and_saveexec_b64 s[22:23], vcc
	s_cbranch_execz .LBB709_631
.LBB709_646:                            ;   in Loop: Header=BB709_606 Depth=2
	v_xor_b32_e32 v38, 0x7fffffff, v30
	v_not_b32_e32 v37, v29
	v_lshrrev_b64 v[37:38], s7, v[37:38]
	v_and_b32_e32 v37, s98, v37
	v_lshl_or_b32 v37, v37, 4, v89
	ds_add_u32 v37, v117
	s_or_b64 exec, exec, s[22:23]
	v_cmp_gt_u32_e32 vcc, s24, v77
	s_and_saveexec_b64 s[22:23], vcc
	s_cbranch_execz .LBB709_632
.LBB709_647:                            ;   in Loop: Header=BB709_606 Depth=2
	v_xor_b32_e32 v38, 0x7fffffff, v28
	v_not_b32_e32 v37, v27
	v_lshrrev_b64 v[37:38], s7, v[37:38]
	v_and_b32_e32 v37, s98, v37
	v_lshl_or_b32 v37, v37, 4, v89
	ds_add_u32 v37, v117
	s_or_b64 exec, exec, s[22:23]
	v_cmp_gt_u32_e32 vcc, s24, v78
	s_and_saveexec_b64 s[22:23], vcc
	s_cbranch_execz .LBB709_633
.LBB709_648:                            ;   in Loop: Header=BB709_606 Depth=2
	v_xor_b32_e32 v38, 0x7fffffff, v26
	v_not_b32_e32 v37, v25
	v_lshrrev_b64 v[37:38], s7, v[37:38]
	v_and_b32_e32 v37, s98, v37
	v_lshl_or_b32 v37, v37, 4, v89
	ds_add_u32 v37, v117
	s_or_b64 exec, exec, s[22:23]
	v_cmp_gt_u32_e32 vcc, s24, v79
	s_and_saveexec_b64 s[22:23], vcc
	s_cbranch_execz .LBB709_634
.LBB709_649:                            ;   in Loop: Header=BB709_606 Depth=2
	v_xor_b32_e32 v38, 0x7fffffff, v24
	v_not_b32_e32 v37, v23
	v_lshrrev_b64 v[37:38], s7, v[37:38]
	v_and_b32_e32 v37, s98, v37
	v_lshl_or_b32 v37, v37, 4, v89
	ds_add_u32 v37, v117
	s_or_b64 exec, exec, s[22:23]
	v_cmp_gt_u32_e32 vcc, s24, v80
	s_and_saveexec_b64 s[22:23], vcc
	s_cbranch_execz .LBB709_635
.LBB709_650:                            ;   in Loop: Header=BB709_606 Depth=2
	v_xor_b32_e32 v38, 0x7fffffff, v22
	v_not_b32_e32 v37, v21
	v_lshrrev_b64 v[37:38], s7, v[37:38]
	v_and_b32_e32 v37, s98, v37
	v_lshl_or_b32 v37, v37, 4, v89
	ds_add_u32 v37, v117
	s_or_b64 exec, exec, s[22:23]
	v_cmp_gt_u32_e32 vcc, s24, v81
	s_and_saveexec_b64 s[22:23], vcc
	s_cbranch_execz .LBB709_636
.LBB709_651:                            ;   in Loop: Header=BB709_606 Depth=2
	v_xor_b32_e32 v38, 0x7fffffff, v20
	v_not_b32_e32 v37, v19
	v_lshrrev_b64 v[37:38], s7, v[37:38]
	v_and_b32_e32 v37, s98, v37
	v_lshl_or_b32 v37, v37, 4, v89
	ds_add_u32 v37, v117
	s_or_b64 exec, exec, s[22:23]
	v_cmp_gt_u32_e32 vcc, s24, v82
	s_and_saveexec_b64 s[22:23], vcc
	s_cbranch_execz .LBB709_637
.LBB709_652:                            ;   in Loop: Header=BB709_606 Depth=2
	v_xor_b32_e32 v38, 0x7fffffff, v18
	v_not_b32_e32 v37, v17
	v_lshrrev_b64 v[37:38], s7, v[37:38]
	v_and_b32_e32 v37, s98, v37
	v_lshl_or_b32 v37, v37, 4, v89
	ds_add_u32 v37, v117
	s_or_b64 exec, exec, s[22:23]
	v_cmp_gt_u32_e32 vcc, s24, v83
	s_and_saveexec_b64 s[22:23], vcc
	s_cbranch_execz .LBB709_638
.LBB709_653:                            ;   in Loop: Header=BB709_606 Depth=2
	v_xor_b32_e32 v38, 0x7fffffff, v16
	v_not_b32_e32 v37, v15
	v_lshrrev_b64 v[37:38], s7, v[37:38]
	v_and_b32_e32 v37, s98, v37
	v_lshl_or_b32 v37, v37, 4, v89
	ds_add_u32 v37, v117
	s_or_b64 exec, exec, s[22:23]
	v_cmp_gt_u32_e32 vcc, s24, v84
	s_and_saveexec_b64 s[22:23], vcc
	s_cbranch_execz .LBB709_639
.LBB709_654:                            ;   in Loop: Header=BB709_606 Depth=2
	v_xor_b32_e32 v38, 0x7fffffff, v14
	v_not_b32_e32 v37, v13
	v_lshrrev_b64 v[37:38], s7, v[37:38]
	v_and_b32_e32 v37, s98, v37
	v_lshl_or_b32 v37, v37, 4, v89
	ds_add_u32 v37, v117
	s_or_b64 exec, exec, s[22:23]
	v_cmp_gt_u32_e32 vcc, s24, v85
	s_and_saveexec_b64 s[22:23], vcc
	s_cbranch_execz .LBB709_640
.LBB709_655:                            ;   in Loop: Header=BB709_606 Depth=2
	v_xor_b32_e32 v38, 0x7fffffff, v12
	v_not_b32_e32 v37, v11
	v_lshrrev_b64 v[37:38], s7, v[37:38]
	v_and_b32_e32 v37, s98, v37
	v_lshl_or_b32 v37, v37, 4, v89
	ds_add_u32 v37, v117
	s_or_b64 exec, exec, s[22:23]
	v_cmp_gt_u32_e32 vcc, s24, v86
	s_and_saveexec_b64 s[22:23], vcc
	s_cbranch_execz .LBB709_641
.LBB709_656:                            ;   in Loop: Header=BB709_606 Depth=2
	v_xor_b32_e32 v38, 0x7fffffff, v10
	v_not_b32_e32 v37, v9
	v_lshrrev_b64 v[37:38], s7, v[37:38]
	v_and_b32_e32 v37, s98, v37
	v_lshl_or_b32 v37, v37, 4, v89
	ds_add_u32 v37, v117
	s_or_b64 exec, exec, s[22:23]
	v_cmp_gt_u32_e32 vcc, s24, v87
	s_and_saveexec_b64 s[22:23], vcc
	s_cbranch_execz .LBB709_642
.LBB709_657:                            ;   in Loop: Header=BB709_606 Depth=2
	v_xor_b32_e32 v38, 0x7fffffff, v8
	v_not_b32_e32 v37, v7
	v_lshrrev_b64 v[37:38], s7, v[37:38]
	v_and_b32_e32 v37, s98, v37
	v_lshl_or_b32 v37, v37, 4, v89
	ds_add_u32 v37, v117
	s_or_b64 exec, exec, s[22:23]
	v_cmp_gt_u32_e32 vcc, s24, v88
	s_and_saveexec_b64 s[22:23], vcc
	s_cbranch_execz .LBB709_605
.LBB709_658:                            ;   in Loop: Header=BB709_606 Depth=2
	v_xor_b32_e32 v38, 0x7fffffff, v6
	v_not_b32_e32 v37, v5
	v_lshrrev_b64 v[37:38], s7, v[37:38]
	v_and_b32_e32 v37, s98, v37
	v_lshl_or_b32 v37, v37, 4, v89
	ds_add_u32 v37, v117
	s_branch .LBB709_605
.LBB709_659:                            ;   in Loop: Header=BB709_606 Depth=2
	global_load_dwordx2 v[35:36], v118, s[22:23]
	s_or_b64 exec, exec, s[24:25]
	v_cmp_gt_u32_e32 vcc, s8, v72
	s_and_saveexec_b64 s[24:25], vcc
	s_cbranch_execz .LBB709_611
.LBB709_660:                            ;   in Loop: Header=BB709_606 Depth=2
	global_load_dwordx2 v[33:34], v118, s[22:23] offset:2048
	s_or_b64 exec, exec, s[24:25]
	v_cmp_gt_u32_e32 vcc, s8, v75
	s_and_saveexec_b64 s[24:25], vcc
	s_cbranch_execz .LBB709_612
.LBB709_661:                            ;   in Loop: Header=BB709_606 Depth=2
	global_load_dwordx2 v[31:32], v119, s[22:23]
	s_or_b64 exec, exec, s[24:25]
	v_cmp_gt_u32_e32 vcc, s8, v76
	s_and_saveexec_b64 s[24:25], vcc
	s_cbranch_execz .LBB709_613
.LBB709_662:                            ;   in Loop: Header=BB709_606 Depth=2
	global_load_dwordx2 v[29:30], v120, s[22:23]
	s_or_b64 exec, exec, s[24:25]
	v_cmp_gt_u32_e32 vcc, s8, v77
	s_and_saveexec_b64 s[24:25], vcc
	s_cbranch_execz .LBB709_614
.LBB709_663:                            ;   in Loop: Header=BB709_606 Depth=2
	global_load_dwordx2 v[27:28], v121, s[22:23]
	s_or_b64 exec, exec, s[24:25]
	v_cmp_gt_u32_e32 vcc, s8, v78
	s_and_saveexec_b64 s[24:25], vcc
	s_cbranch_execz .LBB709_615
.LBB709_664:                            ;   in Loop: Header=BB709_606 Depth=2
	global_load_dwordx2 v[25:26], v122, s[22:23]
	s_or_b64 exec, exec, s[24:25]
	v_cmp_gt_u32_e32 vcc, s8, v79
	s_and_saveexec_b64 s[24:25], vcc
	s_cbranch_execz .LBB709_616
.LBB709_665:                            ;   in Loop: Header=BB709_606 Depth=2
	global_load_dwordx2 v[23:24], v123, s[22:23]
	s_or_b64 exec, exec, s[24:25]
	v_cmp_gt_u32_e32 vcc, s8, v80
	s_and_saveexec_b64 s[24:25], vcc
	s_cbranch_execz .LBB709_617
.LBB709_666:                            ;   in Loop: Header=BB709_606 Depth=2
	global_load_dwordx2 v[21:22], v124, s[22:23]
	s_or_b64 exec, exec, s[24:25]
	v_cmp_gt_u32_e32 vcc, s8, v81
	s_and_saveexec_b64 s[24:25], vcc
	s_cbranch_execz .LBB709_618
.LBB709_667:                            ;   in Loop: Header=BB709_606 Depth=2
	global_load_dwordx2 v[19:20], v125, s[22:23]
	s_or_b64 exec, exec, s[24:25]
	v_cmp_gt_u32_e32 vcc, s8, v82
	s_and_saveexec_b64 s[24:25], vcc
	s_cbranch_execz .LBB709_619
.LBB709_668:                            ;   in Loop: Header=BB709_606 Depth=2
	global_load_dwordx2 v[17:18], v126, s[22:23]
	s_or_b64 exec, exec, s[24:25]
	v_cmp_gt_u32_e32 vcc, s8, v83
	s_and_saveexec_b64 s[24:25], vcc
	s_cbranch_execz .LBB709_620
.LBB709_669:                            ;   in Loop: Header=BB709_606 Depth=2
	global_load_dwordx2 v[15:16], v127, s[22:23]
	s_or_b64 exec, exec, s[24:25]
	v_cmp_gt_u32_e32 vcc, s8, v84
	s_and_saveexec_b64 s[24:25], vcc
	s_cbranch_execz .LBB709_621
.LBB709_670:                            ;   in Loop: Header=BB709_606 Depth=2
	global_load_dwordx2 v[13:14], v128, s[22:23]
	s_or_b64 exec, exec, s[24:25]
	v_cmp_gt_u32_e32 vcc, s8, v85
	s_and_saveexec_b64 s[24:25], vcc
	s_cbranch_execz .LBB709_622
.LBB709_671:                            ;   in Loop: Header=BB709_606 Depth=2
	global_load_dwordx2 v[11:12], v129, s[22:23]
	s_or_b64 exec, exec, s[24:25]
	v_cmp_gt_u32_e32 vcc, s8, v86
	s_and_saveexec_b64 s[24:25], vcc
	s_cbranch_execz .LBB709_623
.LBB709_672:                            ;   in Loop: Header=BB709_606 Depth=2
	global_load_dwordx2 v[9:10], v130, s[22:23]
	s_or_b64 exec, exec, s[24:25]
	v_cmp_gt_u32_e32 vcc, s8, v87
	s_and_saveexec_b64 s[24:25], vcc
	s_cbranch_execz .LBB709_624
.LBB709_673:                            ;   in Loop: Header=BB709_606 Depth=2
	global_load_dwordx2 v[7:8], v131, s[22:23]
	s_or_b64 exec, exec, s[24:25]
	v_cmp_gt_u32_e32 vcc, s8, v88
	s_and_saveexec_b64 s[24:25], vcc
	s_cbranch_execnz .LBB709_625
	s_branch .LBB709_626
.LBB709_674:                            ;   in Loop: Header=BB709_12 Depth=1
	v_mov_b32_e32 v5, 0
	s_waitcnt lgkmcnt(0)
	s_barrier
	s_and_saveexec_b64 s[22:23], s[4:5]
	s_cbranch_execz .LBB709_676
; %bb.675:                              ;   in Loop: Header=BB709_12 Depth=1
	ds_read2_b64 v[5:8], v91 offset1:1
	s_waitcnt lgkmcnt(0)
	v_add_u32_e32 v5, v6, v5
	v_add3_u32 v5, v5, v7, v8
.LBB709_676:                            ;   in Loop: Header=BB709_12 Depth=1
	s_or_b64 exec, exec, s[22:23]
	v_and_b32_e32 v6, 15, v133
	v_mov_b32_dpp v7, v5 row_shr:1 row_mask:0xf bank_mask:0xf
	v_cmp_eq_u32_e64 s[22:23], 0, v6
	v_cndmask_b32_e64 v7, v7, 0, s[22:23]
	v_add_u32_e32 v5, v7, v5
	v_cmp_lt_u32_e64 s[24:25], 1, v6
	v_cmp_lt_u32_e64 s[26:27], 3, v6
	v_mov_b32_dpp v7, v5 row_shr:2 row_mask:0xf bank_mask:0xf
	v_cndmask_b32_e64 v7, 0, v7, s[24:25]
	v_add_u32_e32 v5, v5, v7
	v_cmp_lt_u32_e64 s[28:29], 7, v6
	v_cmp_lt_u32_e64 s[34:35], 31, v133
	v_mov_b32_dpp v7, v5 row_shr:4 row_mask:0xf bank_mask:0xf
	v_cndmask_b32_e64 v7, 0, v7, s[26:27]
	v_add_u32_e32 v5, v5, v7
	v_and_b32_e32 v8, 16, v133
	v_cmp_eq_u32_e64 s[30:31], 0, v8
	v_mov_b32_dpp v7, v5 row_shr:8 row_mask:0xf bank_mask:0xf
	v_cndmask_b32_e64 v6, 0, v7, s[28:29]
	v_add_u32_e32 v5, v5, v6
	v_bfe_i32 v7, v133, 4, 1
	s_nop 0
	v_mov_b32_dpp v6, v5 row_bcast:15 row_mask:0xf bank_mask:0xf
	v_and_b32_e32 v6, v7, v6
	v_add_u32_e32 v5, v5, v6
	s_nop 1
	v_mov_b32_dpp v6, v5 row_bcast:31 row_mask:0xf bank_mask:0xf
	v_cndmask_b32_e64 v6, 0, v6, s[34:35]
	v_add_u32_e32 v5, v5, v6
	s_mov_b64 s[36:37], exec
	v_readlane_b32 s8, v232, 1
	v_readlane_b32 s9, v232, 2
	s_and_b64 s[8:9], s[36:37], s[8:9]
	s_mov_b64 exec, s[8:9]
; %bb.677:                              ;   in Loop: Header=BB709_12 Depth=1
	ds_write_b32 v93, v5
; %bb.678:                              ;   in Loop: Header=BB709_12 Depth=1
	s_or_b64 exec, exec, s[36:37]
	s_waitcnt lgkmcnt(0)
	s_barrier
	s_and_saveexec_b64 s[36:37], s[10:11]
	s_cbranch_execz .LBB709_680
; %bb.679:                              ;   in Loop: Header=BB709_12 Depth=1
	ds_read_b32 v6, v94
	v_bfe_i32 v7, v133, 0, 1
	s_waitcnt lgkmcnt(0)
	v_mov_b32_dpp v8, v6 row_shr:1 row_mask:0xf bank_mask:0xf
	v_and_b32_e32 v7, v7, v8
	v_add_u32_e32 v6, v7, v6
	ds_write_b32 v94, v6
.LBB709_680:                            ;   in Loop: Header=BB709_12 Depth=1
	s_or_b64 exec, exec, s[36:37]
	v_mov_b32_e32 v6, 0
	s_waitcnt lgkmcnt(0)
	s_barrier
	s_and_saveexec_b64 s[36:37], s[12:13]
; %bb.681:                              ;   in Loop: Header=BB709_12 Depth=1
	ds_read_b32 v6, v95
; %bb.682:                              ;   in Loop: Header=BB709_12 Depth=1
	s_or_b64 exec, exec, s[36:37]
	v_subrev_co_u32_e64 v7, s[36:37], 1, v133
	v_and_b32_e32 v8, 64, v133
	v_cmp_lt_i32_e32 vcc, v7, v8
	v_cndmask_b32_e32 v7, v7, v133, vcc
	s_waitcnt lgkmcnt(0)
	v_add_u32_e32 v5, v6, v5
	v_lshlrev_b32_e32 v134, 2, v7
	ds_bpermute_b32 v5, v134, v5
	s_waitcnt lgkmcnt(0)
	s_barrier
	s_and_saveexec_b64 s[38:39], s[4:5]
; %bb.683:                              ;   in Loop: Header=BB709_12 Depth=1
	v_cndmask_b32_e64 v5, v5, v6, s[36:37]
	v_add_u32_e32 v5, s96, v5
	ds_write_b32 v71, v5
; %bb.684:                              ;   in Loop: Header=BB709_12 Depth=1
	s_or_b64 exec, exec, s[38:39]
	s_load_dwordx2 s[8:9], s[94:95], 0x0
	v_readlane_b32 s38, v232, 0
	v_and_b32_e32 v39, 3, v133
	v_and_b32_e32 v40, 63, v133
	v_cmp_lt_u32_e64 s[40:41], 1, v39
	s_waitcnt lgkmcnt(0)
	s_cmp_lt_u32 s38, s9
	s_cselect_b32 s9, 14, 20
	s_add_u32 s38, s94, s9
	s_addc_u32 s39, s95, 0
	s_cmp_lt_u32 s6, s8
	s_cselect_b32 s8, 12, 18
	s_add_u32 s8, s94, s8
	global_load_ushort v37, v3, s[38:39]
	s_addc_u32 s9, s95, 0
	global_load_ushort v38, v3, s[8:9]
	v_cmp_eq_u32_e64 s[38:39], 0, v39
	v_lshlrev_b32_e32 v39, 3, v40
	v_add_co_u32_e32 v152, vcc, v113, v39
	v_addc_co_u32_e32 v153, vcc, 0, v114, vcc
	v_or_b32_e32 v151, v40, v96
	v_add_co_u32_e32 v169, vcc, v115, v39
	s_mov_b32 s91, s33
	v_or_b32_e32 v154, 64, v151
	v_or_b32_e32 v155, 0x80, v151
	;; [unrolled: 1-line block ×15, first 2 shown]
	v_addc_co_u32_e32 v170, vcc, 0, v116, vcc
	s_mov_b32 s92, s96
                                        ; implicit-def: $vgpr5_vgpr6
                                        ; implicit-def: $vgpr7_vgpr8
                                        ; implicit-def: $vgpr9_vgpr10
                                        ; implicit-def: $vgpr13_vgpr14
                                        ; implicit-def: $vgpr17_vgpr18
                                        ; implicit-def: $vgpr21_vgpr22
                                        ; implicit-def: $vgpr25_vgpr26
                                        ; implicit-def: $vgpr29_vgpr30
                                        ; implicit-def: $vgpr11_vgpr12
                                        ; implicit-def: $vgpr15_vgpr16
                                        ; implicit-def: $vgpr19_vgpr20
                                        ; implicit-def: $vgpr23_vgpr24
                                        ; implicit-def: $vgpr27_vgpr28
                                        ; implicit-def: $vgpr31_vgpr32
                                        ; implicit-def: $vgpr33_vgpr34
                                        ; implicit-def: $vgpr35_vgpr36
                                        ; implicit-def: $vgpr135
                                        ; implicit-def: $vgpr136
                                        ; implicit-def: $vgpr137
                                        ; implicit-def: $vgpr138
                                        ; implicit-def: $vgpr139
                                        ; implicit-def: $vgpr140
                                        ; implicit-def: $vgpr141
                                        ; implicit-def: $vgpr142
                                        ; implicit-def: $vgpr143
                                        ; implicit-def: $vgpr144
                                        ; implicit-def: $vgpr145
                                        ; implicit-def: $vgpr146
                                        ; implicit-def: $vgpr147
                                        ; implicit-def: $vgpr148
                                        ; implicit-def: $vgpr149
                                        ; implicit-def: $vgpr150
                                        ; implicit-def: $vgpr172
                                        ; implicit-def: $vgpr173
	s_waitcnt vmcnt(1)
	v_mad_u32_u24 v37, v2, v37, v1
	s_waitcnt vmcnt(0)
	v_mad_u64_u32 v[37:38], s[8:9], v37, v38, v[0:1]
	v_lshrrev_b32_e32 v37, 4, v37
	v_and_b32_e32 v171, 0xffffffc, v37
	s_branch .LBB709_686
.LBB709_685:                            ;   in Loop: Header=BB709_686 Depth=2
	s_or_b64 exec, exec, s[42:43]
	s_addk_i32 s91, 0xf000
	s_cmp_lt_u32 s99, s97
	s_mov_b32 s92, s99
	s_cbranch_scc0 .LBB709_896
.LBB709_686:                            ;   Parent Loop BB709_12 Depth=1
                                        ; =>  This Inner Loop Header: Depth=2
	s_add_i32 s99, s92, 0x1000
	s_cmp_gt_u32 s99, s97
	s_cbranch_scc1 .LBB709_688
; %bb.687:                              ;   in Loop: Header=BB709_686 Depth=2
	s_lshl_b64 s[8:9], s[92:93], 3
	v_mov_b32_e32 v38, s9
	v_add_co_u32_e32 v37, vcc, s8, v169
	v_addc_co_u32_e32 v38, vcc, v170, v38, vcc
	global_load_dwordx2 v[39:40], v[37:38], off
	global_load_dwordx2 v[41:42], v[37:38], off offset:512
	global_load_dwordx2 v[45:46], v[37:38], off offset:1024
	;; [unrolled: 1-line block ×7, first 2 shown]
	v_add_co_u32_e32 v37, vcc, 0x1000, v37
	v_addc_co_u32_e32 v38, vcc, 0, v38, vcc
	global_load_dwordx2 v[65:66], v[37:38], off
	global_load_dwordx2 v[63:64], v[37:38], off offset:512
	global_load_dwordx2 v[59:60], v[37:38], off offset:1024
	;; [unrolled: 1-line block ×6, first 2 shown]
	s_mov_b64 s[42:43], -1
	s_movk_i32 s8, 0x1000
	s_cbranch_execz .LBB709_689
	s_branch .LBB709_720
.LBB709_688:                            ;   in Loop: Header=BB709_686 Depth=2
	s_mov_b64 s[42:43], 0
                                        ; implicit-def: $vgpr39_vgpr40
                                        ; implicit-def: $vgpr41_vgpr42
                                        ; implicit-def: $vgpr45_vgpr46
                                        ; implicit-def: $vgpr49_vgpr50
                                        ; implicit-def: $vgpr53_vgpr54
                                        ; implicit-def: $vgpr57_vgpr58
                                        ; implicit-def: $vgpr61_vgpr62
                                        ; implicit-def: $vgpr67_vgpr68
                                        ; implicit-def: $vgpr65_vgpr66
                                        ; implicit-def: $vgpr63_vgpr64
                                        ; implicit-def: $vgpr59_vgpr60
                                        ; implicit-def: $vgpr55_vgpr56
                                        ; implicit-def: $vgpr51_vgpr52
                                        ; implicit-def: $vgpr47_vgpr48
                                        ; implicit-def: $vgpr43_vgpr44
	s_movk_i32 s8, 0x1000
.LBB709_689:                            ;   in Loop: Header=BB709_686 Depth=2
	s_lshl_b64 s[8:9], s[92:93], 3
	v_mov_b32_e32 v38, s9
	v_add_co_u32_e32 v37, vcc, s8, v169
	s_waitcnt vmcnt(13)
	v_mov_b32_e32 v41, v3
	v_addc_co_u32_e32 v38, vcc, v170, v38, vcc
	v_mov_b32_e32 v42, v4
	v_mov_b32_e32 v39, v41
	v_cmp_gt_u32_e32 vcc, s91, v151
	v_mov_b32_e32 v40, v42
	s_and_saveexec_b64 s[42:43], vcc
	s_cbranch_execz .LBB709_691
; %bb.690:                              ;   in Loop: Header=BB709_686 Depth=2
	global_load_dwordx2 v[39:40], v[37:38], off
.LBB709_691:                            ;   in Loop: Header=BB709_686 Depth=2
	s_or_b64 exec, exec, s[42:43]
	v_cmp_gt_u32_e32 vcc, s91, v154
	s_and_saveexec_b64 s[42:43], vcc
	s_cbranch_execz .LBB709_693
; %bb.692:                              ;   in Loop: Header=BB709_686 Depth=2
	global_load_dwordx2 v[41:42], v[37:38], off offset:512
.LBB709_693:                            ;   in Loop: Header=BB709_686 Depth=2
	s_or_b64 exec, exec, s[42:43]
	s_waitcnt vmcnt(12)
	v_mov_b32_e32 v46, v4
	v_cmp_gt_u32_e32 vcc, s91, v155
	v_mov_b32_e32 v45, v3
	s_and_saveexec_b64 s[42:43], vcc
	s_cbranch_execz .LBB709_695
; %bb.694:                              ;   in Loop: Header=BB709_686 Depth=2
	global_load_dwordx2 v[45:46], v[37:38], off offset:1024
.LBB709_695:                            ;   in Loop: Header=BB709_686 Depth=2
	s_or_b64 exec, exec, s[42:43]
	s_waitcnt vmcnt(11)
	v_mov_b32_e32 v50, v4
	v_cmp_gt_u32_e32 vcc, s91, v156
	v_mov_b32_e32 v49, v3
	;; [unrolled: 10-line block ×7, first 2 shown]
	s_and_saveexec_b64 s[42:43], vcc
	s_cbranch_execz .LBB709_707
; %bb.706:                              ;   in Loop: Header=BB709_686 Depth=2
	s_waitcnt vmcnt(0)
	v_add_co_u32_e32 v43, vcc, 0x1000, v37
	v_addc_co_u32_e32 v44, vcc, 0, v38, vcc
	global_load_dwordx2 v[65:66], v[43:44], off
.LBB709_707:                            ;   in Loop: Header=BB709_686 Depth=2
	s_or_b64 exec, exec, s[42:43]
	s_waitcnt vmcnt(5)
	v_mov_b32_e32 v64, v4
	v_cmp_gt_u32_e32 vcc, s91, v162
	v_mov_b32_e32 v63, v3
	s_and_saveexec_b64 s[42:43], vcc
	s_cbranch_execz .LBB709_709
; %bb.708:                              ;   in Loop: Header=BB709_686 Depth=2
	s_waitcnt vmcnt(0)
	v_add_co_u32_e32 v43, vcc, 0x1000, v37
	v_addc_co_u32_e32 v44, vcc, 0, v38, vcc
	global_load_dwordx2 v[63:64], v[43:44], off offset:512
.LBB709_709:                            ;   in Loop: Header=BB709_686 Depth=2
	s_or_b64 exec, exec, s[42:43]
	s_waitcnt vmcnt(4)
	v_mov_b32_e32 v60, v4
	v_cmp_gt_u32_e32 vcc, s91, v163
	v_mov_b32_e32 v59, v3
	s_and_saveexec_b64 s[42:43], vcc
	s_cbranch_execz .LBB709_711
; %bb.710:                              ;   in Loop: Header=BB709_686 Depth=2
	s_waitcnt vmcnt(0)
	v_add_co_u32_e32 v43, vcc, 0x1000, v37
	v_addc_co_u32_e32 v44, vcc, 0, v38, vcc
	global_load_dwordx2 v[59:60], v[43:44], off offset:1024
.LBB709_711:                            ;   in Loop: Header=BB709_686 Depth=2
	;; [unrolled: 13-line block ×5, first 2 shown]
	s_or_b64 exec, exec, s[42:43]
	s_waitcnt vmcnt(0)
	v_mov_b32_e32 v44, v4
	v_cmp_gt_u32_e32 vcc, s91, v167
	v_mov_b32_e32 v43, v3
	s_and_saveexec_b64 s[42:43], vcc
	s_cbranch_execz .LBB709_719
; %bb.718:                              ;   in Loop: Header=BB709_686 Depth=2
	v_add_co_u32_e32 v37, vcc, 0x1000, v37
	v_addc_co_u32_e32 v38, vcc, 0, v38, vcc
	global_load_dwordx2 v[43:44], v[37:38], off offset:3072
.LBB709_719:                            ;   in Loop: Header=BB709_686 Depth=2
	s_or_b64 exec, exec, s[42:43]
	s_sub_i32 s8, s97, s92
	v_cmp_gt_u32_e64 s[42:43], s91, v168
.LBB709_720:                            ;   in Loop: Header=BB709_686 Depth=2
	v_mov_b32_e32 v37, -1
	v_mov_b32_e32 v38, -1
	v_mov_b32_e32 v174, s91
	s_and_saveexec_b64 s[44:45], s[42:43]
	s_cbranch_execz .LBB709_722
; %bb.721:                              ;   in Loop: Header=BB709_686 Depth=2
	s_lshl_b64 s[42:43], s[92:93], 3
	v_mov_b32_e32 v37, s43
	v_add_co_u32_e32 v38, vcc, s42, v169
	v_addc_co_u32_e32 v69, vcc, v170, v37, vcc
	v_add_co_u32_e32 v37, vcc, 0x1000, v38
	v_addc_co_u32_e32 v38, vcc, 0, v69, vcc
	global_load_dwordx2 v[37:38], v[37:38], off offset:3584
	v_mov_b32_e32 v174, s8
	s_waitcnt vmcnt(0)
	v_xor_b32_e32 v38, 0x7fffffff, v38
	v_not_b32_e32 v37, v37
.LBB709_722:                            ;   in Loop: Header=BB709_686 Depth=2
	s_or_b64 exec, exec, s[44:45]
	s_waitcnt vmcnt(14)
	v_xor_b32_e32 v40, 0x7fffffff, v40
	v_not_b32_e32 v39, v39
	v_lshrrev_b64 v[69:70], s7, v[39:40]
	ds_write2_b32 v90, v3, v3 offset0:132 offset1:133
	ds_write_b32 v90, v3 offset:536
	v_and_b32_e32 v175, s98, v69
	v_and_b32_e32 v69, 1, v175
	v_add_co_u32_e32 v70, vcc, -1, v69
	v_addc_co_u32_e64 v177, s[8:9], 0, -1, vcc
	v_cmp_ne_u32_e32 vcc, 0, v69
	v_xor_b32_e32 v69, vcc_hi, v177
	v_xor_b32_e32 v70, vcc_lo, v70
	v_and_b32_e32 v177, exec_hi, v69
	v_and_b32_e32 v178, exec_lo, v70
	v_lshlrev_b32_e32 v70, 30, v175
	v_mov_b32_e32 v69, v3
	v_cmp_gt_i64_e32 vcc, 0, v[69:70]
	v_not_b32_e32 v69, v70
	v_ashrrev_i32_e32 v69, 31, v69
	v_xor_b32_e32 v70, vcc_hi, v69
	v_xor_b32_e32 v69, vcc_lo, v69
	v_and_b32_e32 v177, v177, v70
	v_and_b32_e32 v178, v178, v69
	v_lshlrev_b32_e32 v70, 29, v175
	v_mov_b32_e32 v69, v3
	v_cmp_gt_i64_e32 vcc, 0, v[69:70]
	v_not_b32_e32 v69, v70
	v_ashrrev_i32_e32 v69, 31, v69
	v_xor_b32_e32 v70, vcc_hi, v69
	v_xor_b32_e32 v69, vcc_lo, v69
	v_and_b32_e32 v177, v177, v70
	v_and_b32_e32 v178, v178, v69
	;; [unrolled: 9-line block ×5, first 2 shown]
	v_lshlrev_b32_e32 v70, 25, v175
	v_mov_b32_e32 v69, v3
	v_cmp_gt_i64_e32 vcc, 0, v[69:70]
	v_not_b32_e32 v69, v70
	v_ashrrev_i32_e32 v69, 31, v69
	v_xor_b32_e32 v70, vcc_hi, v69
	v_xor_b32_e32 v69, vcc_lo, v69
	v_and_b32_e32 v69, v178, v69
	v_mul_u32_u24_e32 v176, 20, v175
	v_and_b32_e32 v70, v177, v70
	v_mbcnt_lo_u32_b32 v175, v69, 0
	v_mbcnt_hi_u32_b32 v175, v70, v175
	v_cmp_ne_u64_e32 vcc, 0, v[69:70]
	v_cmp_eq_u32_e64 s[42:43], 0, v175
	s_and_b64 s[8:9], vcc, s[42:43]
	v_add_u32_e32 v177, v171, v176
	s_waitcnt vmcnt(0) lgkmcnt(0)
	s_barrier
	; wave barrier
	s_and_saveexec_b64 s[42:43], s[8:9]
; %bb.723:                              ;   in Loop: Header=BB709_686 Depth=2
	v_bcnt_u32_b32 v69, v69, 0
	v_bcnt_u32_b32 v69, v70, v69
	ds_write_b32 v177, v69 offset:528
; %bb.724:                              ;   in Loop: Header=BB709_686 Depth=2
	s_or_b64 exec, exec, s[42:43]
	v_xor_b32_e32 v42, 0x7fffffff, v42
	v_not_b32_e32 v41, v41
	v_lshrrev_b64 v[69:70], s7, v[41:42]
	v_and_b32_e32 v178, s98, v69
	v_mad_u32_u24 v69, v178, 20, v171
	; wave barrier
	ds_read_b32 v176, v69 offset:528
	v_and_b32_e32 v69, 1, v178
	v_add_co_u32_e32 v70, vcc, -1, v69
	v_addc_co_u32_e64 v180, s[8:9], 0, -1, vcc
	v_cmp_ne_u32_e32 vcc, 0, v69
	v_xor_b32_e32 v69, vcc_hi, v180
	v_xor_b32_e32 v70, vcc_lo, v70
	v_and_b32_e32 v180, exec_hi, v69
	v_and_b32_e32 v181, exec_lo, v70
	v_lshlrev_b32_e32 v70, 30, v178
	v_mov_b32_e32 v69, v3
	v_cmp_gt_i64_e32 vcc, 0, v[69:70]
	v_not_b32_e32 v69, v70
	v_ashrrev_i32_e32 v69, 31, v69
	v_xor_b32_e32 v70, vcc_hi, v69
	v_xor_b32_e32 v69, vcc_lo, v69
	v_and_b32_e32 v180, v180, v70
	v_and_b32_e32 v181, v181, v69
	v_lshlrev_b32_e32 v70, 29, v178
	v_mov_b32_e32 v69, v3
	v_cmp_gt_i64_e32 vcc, 0, v[69:70]
	v_not_b32_e32 v69, v70
	v_ashrrev_i32_e32 v69, 31, v69
	v_xor_b32_e32 v70, vcc_hi, v69
	v_xor_b32_e32 v69, vcc_lo, v69
	v_and_b32_e32 v180, v180, v70
	v_and_b32_e32 v181, v181, v69
	;; [unrolled: 9-line block ×5, first 2 shown]
	v_lshlrev_b32_e32 v70, 25, v178
	v_mov_b32_e32 v69, v3
	v_cmp_gt_i64_e32 vcc, 0, v[69:70]
	v_not_b32_e32 v69, v70
	v_ashrrev_i32_e32 v69, 31, v69
	v_xor_b32_e32 v70, vcc_hi, v69
	v_xor_b32_e32 v69, vcc_lo, v69
	v_and_b32_e32 v69, v181, v69
	v_mul_u32_u24_e32 v179, 20, v178
	v_and_b32_e32 v70, v180, v70
	v_mbcnt_lo_u32_b32 v178, v69, 0
	v_mbcnt_hi_u32_b32 v178, v70, v178
	v_cmp_ne_u64_e32 vcc, 0, v[69:70]
	v_cmp_eq_u32_e64 s[42:43], 0, v178
	s_and_b64 s[8:9], vcc, s[42:43]
	v_add_u32_e32 v180, v171, v179
	; wave barrier
	s_and_saveexec_b64 s[42:43], s[8:9]
	s_cbranch_execz .LBB709_726
; %bb.725:                              ;   in Loop: Header=BB709_686 Depth=2
	v_bcnt_u32_b32 v69, v69, 0
	v_bcnt_u32_b32 v69, v70, v69
	s_waitcnt lgkmcnt(0)
	v_add_u32_e32 v69, v176, v69
	ds_write_b32 v180, v69 offset:528
.LBB709_726:                            ;   in Loop: Header=BB709_686 Depth=2
	s_or_b64 exec, exec, s[42:43]
	v_xor_b32_e32 v46, 0x7fffffff, v46
	v_not_b32_e32 v45, v45
	v_lshrrev_b64 v[69:70], s7, v[45:46]
	v_and_b32_e32 v181, s98, v69
	v_mad_u32_u24 v69, v181, 20, v171
	; wave barrier
	ds_read_b32 v179, v69 offset:528
	v_and_b32_e32 v69, 1, v181
	v_add_co_u32_e32 v70, vcc, -1, v69
	v_addc_co_u32_e64 v183, s[8:9], 0, -1, vcc
	v_cmp_ne_u32_e32 vcc, 0, v69
	v_xor_b32_e32 v69, vcc_hi, v183
	v_xor_b32_e32 v70, vcc_lo, v70
	v_and_b32_e32 v183, exec_hi, v69
	v_and_b32_e32 v184, exec_lo, v70
	v_lshlrev_b32_e32 v70, 30, v181
	v_mov_b32_e32 v69, v3
	v_cmp_gt_i64_e32 vcc, 0, v[69:70]
	v_not_b32_e32 v69, v70
	v_ashrrev_i32_e32 v69, 31, v69
	v_xor_b32_e32 v70, vcc_hi, v69
	v_xor_b32_e32 v69, vcc_lo, v69
	v_and_b32_e32 v183, v183, v70
	v_and_b32_e32 v184, v184, v69
	v_lshlrev_b32_e32 v70, 29, v181
	v_mov_b32_e32 v69, v3
	v_cmp_gt_i64_e32 vcc, 0, v[69:70]
	v_not_b32_e32 v69, v70
	v_ashrrev_i32_e32 v69, 31, v69
	v_xor_b32_e32 v70, vcc_hi, v69
	v_xor_b32_e32 v69, vcc_lo, v69
	v_and_b32_e32 v183, v183, v70
	v_and_b32_e32 v184, v184, v69
	;; [unrolled: 9-line block ×5, first 2 shown]
	v_lshlrev_b32_e32 v70, 25, v181
	v_mov_b32_e32 v69, v3
	v_cmp_gt_i64_e32 vcc, 0, v[69:70]
	v_not_b32_e32 v69, v70
	v_ashrrev_i32_e32 v69, 31, v69
	v_xor_b32_e32 v70, vcc_hi, v69
	v_xor_b32_e32 v69, vcc_lo, v69
	v_and_b32_e32 v69, v184, v69
	v_mul_u32_u24_e32 v182, 20, v181
	v_and_b32_e32 v70, v183, v70
	v_mbcnt_lo_u32_b32 v181, v69, 0
	v_mbcnt_hi_u32_b32 v181, v70, v181
	v_cmp_ne_u64_e32 vcc, 0, v[69:70]
	v_cmp_eq_u32_e64 s[42:43], 0, v181
	s_and_b64 s[8:9], vcc, s[42:43]
	v_add_u32_e32 v183, v171, v182
	; wave barrier
	s_and_saveexec_b64 s[42:43], s[8:9]
	s_cbranch_execz .LBB709_728
; %bb.727:                              ;   in Loop: Header=BB709_686 Depth=2
	v_bcnt_u32_b32 v69, v69, 0
	v_bcnt_u32_b32 v69, v70, v69
	s_waitcnt lgkmcnt(0)
	v_add_u32_e32 v69, v179, v69
	ds_write_b32 v183, v69 offset:528
.LBB709_728:                            ;   in Loop: Header=BB709_686 Depth=2
	s_or_b64 exec, exec, s[42:43]
	v_xor_b32_e32 v50, 0x7fffffff, v50
	v_not_b32_e32 v49, v49
	v_lshrrev_b64 v[69:70], s7, v[49:50]
	v_and_b32_e32 v184, s98, v69
	v_mad_u32_u24 v69, v184, 20, v171
	; wave barrier
	ds_read_b32 v182, v69 offset:528
	v_and_b32_e32 v69, 1, v184
	v_add_co_u32_e32 v70, vcc, -1, v69
	v_addc_co_u32_e64 v186, s[8:9], 0, -1, vcc
	v_cmp_ne_u32_e32 vcc, 0, v69
	v_xor_b32_e32 v69, vcc_hi, v186
	v_xor_b32_e32 v70, vcc_lo, v70
	v_and_b32_e32 v186, exec_hi, v69
	v_and_b32_e32 v187, exec_lo, v70
	v_lshlrev_b32_e32 v70, 30, v184
	v_mov_b32_e32 v69, v3
	v_cmp_gt_i64_e32 vcc, 0, v[69:70]
	v_not_b32_e32 v69, v70
	v_ashrrev_i32_e32 v69, 31, v69
	v_xor_b32_e32 v70, vcc_hi, v69
	v_xor_b32_e32 v69, vcc_lo, v69
	v_and_b32_e32 v186, v186, v70
	v_and_b32_e32 v187, v187, v69
	v_lshlrev_b32_e32 v70, 29, v184
	v_mov_b32_e32 v69, v3
	v_cmp_gt_i64_e32 vcc, 0, v[69:70]
	v_not_b32_e32 v69, v70
	v_ashrrev_i32_e32 v69, 31, v69
	v_xor_b32_e32 v70, vcc_hi, v69
	v_xor_b32_e32 v69, vcc_lo, v69
	v_and_b32_e32 v186, v186, v70
	v_and_b32_e32 v187, v187, v69
	;; [unrolled: 9-line block ×5, first 2 shown]
	v_lshlrev_b32_e32 v70, 25, v184
	v_mov_b32_e32 v69, v3
	v_cmp_gt_i64_e32 vcc, 0, v[69:70]
	v_not_b32_e32 v69, v70
	v_ashrrev_i32_e32 v69, 31, v69
	v_xor_b32_e32 v70, vcc_hi, v69
	v_xor_b32_e32 v69, vcc_lo, v69
	v_and_b32_e32 v69, v187, v69
	v_mul_u32_u24_e32 v185, 20, v184
	v_and_b32_e32 v70, v186, v70
	v_mbcnt_lo_u32_b32 v184, v69, 0
	v_mbcnt_hi_u32_b32 v184, v70, v184
	v_cmp_ne_u64_e32 vcc, 0, v[69:70]
	v_cmp_eq_u32_e64 s[42:43], 0, v184
	s_and_b64 s[8:9], vcc, s[42:43]
	v_add_u32_e32 v186, v171, v185
	; wave barrier
	s_and_saveexec_b64 s[42:43], s[8:9]
	s_cbranch_execz .LBB709_730
; %bb.729:                              ;   in Loop: Header=BB709_686 Depth=2
	v_bcnt_u32_b32 v69, v69, 0
	v_bcnt_u32_b32 v69, v70, v69
	s_waitcnt lgkmcnt(0)
	v_add_u32_e32 v69, v182, v69
	ds_write_b32 v186, v69 offset:528
.LBB709_730:                            ;   in Loop: Header=BB709_686 Depth=2
	s_or_b64 exec, exec, s[42:43]
	v_xor_b32_e32 v54, 0x7fffffff, v54
	v_not_b32_e32 v53, v53
	v_lshrrev_b64 v[69:70], s7, v[53:54]
	v_and_b32_e32 v187, s98, v69
	v_mad_u32_u24 v69, v187, 20, v171
	; wave barrier
	ds_read_b32 v185, v69 offset:528
	v_and_b32_e32 v69, 1, v187
	v_add_co_u32_e32 v70, vcc, -1, v69
	v_addc_co_u32_e64 v189, s[8:9], 0, -1, vcc
	v_cmp_ne_u32_e32 vcc, 0, v69
	v_xor_b32_e32 v69, vcc_hi, v189
	v_xor_b32_e32 v70, vcc_lo, v70
	v_and_b32_e32 v189, exec_hi, v69
	v_and_b32_e32 v190, exec_lo, v70
	v_lshlrev_b32_e32 v70, 30, v187
	v_mov_b32_e32 v69, v3
	v_cmp_gt_i64_e32 vcc, 0, v[69:70]
	v_not_b32_e32 v69, v70
	v_ashrrev_i32_e32 v69, 31, v69
	v_xor_b32_e32 v70, vcc_hi, v69
	v_xor_b32_e32 v69, vcc_lo, v69
	v_and_b32_e32 v189, v189, v70
	v_and_b32_e32 v190, v190, v69
	v_lshlrev_b32_e32 v70, 29, v187
	v_mov_b32_e32 v69, v3
	v_cmp_gt_i64_e32 vcc, 0, v[69:70]
	v_not_b32_e32 v69, v70
	v_ashrrev_i32_e32 v69, 31, v69
	v_xor_b32_e32 v70, vcc_hi, v69
	v_xor_b32_e32 v69, vcc_lo, v69
	v_and_b32_e32 v189, v189, v70
	v_and_b32_e32 v190, v190, v69
	;; [unrolled: 9-line block ×5, first 2 shown]
	v_lshlrev_b32_e32 v70, 25, v187
	v_mov_b32_e32 v69, v3
	v_cmp_gt_i64_e32 vcc, 0, v[69:70]
	v_not_b32_e32 v69, v70
	v_ashrrev_i32_e32 v69, 31, v69
	v_xor_b32_e32 v70, vcc_hi, v69
	v_xor_b32_e32 v69, vcc_lo, v69
	v_and_b32_e32 v69, v190, v69
	v_mul_u32_u24_e32 v188, 20, v187
	v_and_b32_e32 v70, v189, v70
	v_mbcnt_lo_u32_b32 v187, v69, 0
	v_mbcnt_hi_u32_b32 v187, v70, v187
	v_cmp_ne_u64_e32 vcc, 0, v[69:70]
	v_cmp_eq_u32_e64 s[42:43], 0, v187
	s_and_b64 s[8:9], vcc, s[42:43]
	v_add_u32_e32 v189, v171, v188
	; wave barrier
	s_and_saveexec_b64 s[42:43], s[8:9]
	s_cbranch_execz .LBB709_732
; %bb.731:                              ;   in Loop: Header=BB709_686 Depth=2
	v_bcnt_u32_b32 v69, v69, 0
	v_bcnt_u32_b32 v69, v70, v69
	s_waitcnt lgkmcnt(0)
	v_add_u32_e32 v69, v185, v69
	ds_write_b32 v189, v69 offset:528
.LBB709_732:                            ;   in Loop: Header=BB709_686 Depth=2
	s_or_b64 exec, exec, s[42:43]
	v_xor_b32_e32 v58, 0x7fffffff, v58
	v_not_b32_e32 v57, v57
	v_lshrrev_b64 v[69:70], s7, v[57:58]
	v_and_b32_e32 v190, s98, v69
	v_mad_u32_u24 v69, v190, 20, v171
	; wave barrier
	ds_read_b32 v188, v69 offset:528
	v_and_b32_e32 v69, 1, v190
	v_add_co_u32_e32 v70, vcc, -1, v69
	v_addc_co_u32_e64 v192, s[8:9], 0, -1, vcc
	v_cmp_ne_u32_e32 vcc, 0, v69
	v_xor_b32_e32 v69, vcc_hi, v192
	v_xor_b32_e32 v70, vcc_lo, v70
	v_and_b32_e32 v192, exec_hi, v69
	v_and_b32_e32 v193, exec_lo, v70
	v_lshlrev_b32_e32 v70, 30, v190
	v_mov_b32_e32 v69, v3
	v_cmp_gt_i64_e32 vcc, 0, v[69:70]
	v_not_b32_e32 v69, v70
	v_ashrrev_i32_e32 v69, 31, v69
	v_xor_b32_e32 v70, vcc_hi, v69
	v_xor_b32_e32 v69, vcc_lo, v69
	v_and_b32_e32 v192, v192, v70
	v_and_b32_e32 v193, v193, v69
	v_lshlrev_b32_e32 v70, 29, v190
	v_mov_b32_e32 v69, v3
	v_cmp_gt_i64_e32 vcc, 0, v[69:70]
	v_not_b32_e32 v69, v70
	v_ashrrev_i32_e32 v69, 31, v69
	v_xor_b32_e32 v70, vcc_hi, v69
	v_xor_b32_e32 v69, vcc_lo, v69
	v_and_b32_e32 v192, v192, v70
	v_and_b32_e32 v193, v193, v69
	;; [unrolled: 9-line block ×5, first 2 shown]
	v_lshlrev_b32_e32 v70, 25, v190
	v_mov_b32_e32 v69, v3
	v_cmp_gt_i64_e32 vcc, 0, v[69:70]
	v_not_b32_e32 v69, v70
	v_ashrrev_i32_e32 v69, 31, v69
	v_xor_b32_e32 v70, vcc_hi, v69
	v_xor_b32_e32 v69, vcc_lo, v69
	v_and_b32_e32 v69, v193, v69
	v_mul_u32_u24_e32 v191, 20, v190
	v_and_b32_e32 v70, v192, v70
	v_mbcnt_lo_u32_b32 v190, v69, 0
	v_mbcnt_hi_u32_b32 v190, v70, v190
	v_cmp_ne_u64_e32 vcc, 0, v[69:70]
	v_cmp_eq_u32_e64 s[42:43], 0, v190
	s_and_b64 s[8:9], vcc, s[42:43]
	v_add_u32_e32 v192, v171, v191
	; wave barrier
	s_and_saveexec_b64 s[42:43], s[8:9]
	s_cbranch_execz .LBB709_734
; %bb.733:                              ;   in Loop: Header=BB709_686 Depth=2
	v_bcnt_u32_b32 v69, v69, 0
	v_bcnt_u32_b32 v69, v70, v69
	s_waitcnt lgkmcnt(0)
	v_add_u32_e32 v69, v188, v69
	ds_write_b32 v192, v69 offset:528
.LBB709_734:                            ;   in Loop: Header=BB709_686 Depth=2
	s_or_b64 exec, exec, s[42:43]
	v_xor_b32_e32 v62, 0x7fffffff, v62
	v_not_b32_e32 v61, v61
	v_lshrrev_b64 v[69:70], s7, v[61:62]
	v_and_b32_e32 v193, s98, v69
	v_mad_u32_u24 v69, v193, 20, v171
	; wave barrier
	ds_read_b32 v191, v69 offset:528
	v_and_b32_e32 v69, 1, v193
	v_add_co_u32_e32 v70, vcc, -1, v69
	v_addc_co_u32_e64 v195, s[8:9], 0, -1, vcc
	v_cmp_ne_u32_e32 vcc, 0, v69
	v_xor_b32_e32 v69, vcc_hi, v195
	v_xor_b32_e32 v70, vcc_lo, v70
	v_and_b32_e32 v195, exec_hi, v69
	v_and_b32_e32 v196, exec_lo, v70
	v_lshlrev_b32_e32 v70, 30, v193
	v_mov_b32_e32 v69, v3
	v_cmp_gt_i64_e32 vcc, 0, v[69:70]
	v_not_b32_e32 v69, v70
	v_ashrrev_i32_e32 v69, 31, v69
	v_xor_b32_e32 v70, vcc_hi, v69
	v_xor_b32_e32 v69, vcc_lo, v69
	v_and_b32_e32 v195, v195, v70
	v_and_b32_e32 v196, v196, v69
	v_lshlrev_b32_e32 v70, 29, v193
	v_mov_b32_e32 v69, v3
	v_cmp_gt_i64_e32 vcc, 0, v[69:70]
	v_not_b32_e32 v69, v70
	v_ashrrev_i32_e32 v69, 31, v69
	v_xor_b32_e32 v70, vcc_hi, v69
	v_xor_b32_e32 v69, vcc_lo, v69
	v_and_b32_e32 v195, v195, v70
	v_and_b32_e32 v196, v196, v69
	;; [unrolled: 9-line block ×5, first 2 shown]
	v_lshlrev_b32_e32 v70, 25, v193
	v_mov_b32_e32 v69, v3
	v_cmp_gt_i64_e32 vcc, 0, v[69:70]
	v_not_b32_e32 v69, v70
	v_ashrrev_i32_e32 v69, 31, v69
	v_xor_b32_e32 v70, vcc_hi, v69
	v_xor_b32_e32 v69, vcc_lo, v69
	v_and_b32_e32 v69, v196, v69
	v_mul_u32_u24_e32 v194, 20, v193
	v_and_b32_e32 v70, v195, v70
	v_mbcnt_lo_u32_b32 v193, v69, 0
	v_mbcnt_hi_u32_b32 v193, v70, v193
	v_cmp_ne_u64_e32 vcc, 0, v[69:70]
	v_cmp_eq_u32_e64 s[42:43], 0, v193
	s_and_b64 s[8:9], vcc, s[42:43]
	v_add_u32_e32 v195, v171, v194
	; wave barrier
	s_and_saveexec_b64 s[42:43], s[8:9]
	s_cbranch_execz .LBB709_736
; %bb.735:                              ;   in Loop: Header=BB709_686 Depth=2
	v_bcnt_u32_b32 v69, v69, 0
	v_bcnt_u32_b32 v69, v70, v69
	s_waitcnt lgkmcnt(0)
	v_add_u32_e32 v69, v191, v69
	ds_write_b32 v195, v69 offset:528
.LBB709_736:                            ;   in Loop: Header=BB709_686 Depth=2
	s_or_b64 exec, exec, s[42:43]
	v_xor_b32_e32 v68, 0x7fffffff, v68
	v_not_b32_e32 v67, v67
	v_lshrrev_b64 v[69:70], s7, v[67:68]
	v_and_b32_e32 v196, s98, v69
	v_mad_u32_u24 v69, v196, 20, v171
	; wave barrier
	ds_read_b32 v194, v69 offset:528
	v_and_b32_e32 v69, 1, v196
	v_add_co_u32_e32 v70, vcc, -1, v69
	v_addc_co_u32_e64 v198, s[8:9], 0, -1, vcc
	v_cmp_ne_u32_e32 vcc, 0, v69
	v_xor_b32_e32 v69, vcc_hi, v198
	v_xor_b32_e32 v70, vcc_lo, v70
	v_and_b32_e32 v198, exec_hi, v69
	v_and_b32_e32 v199, exec_lo, v70
	v_lshlrev_b32_e32 v70, 30, v196
	v_mov_b32_e32 v69, v3
	v_cmp_gt_i64_e32 vcc, 0, v[69:70]
	v_not_b32_e32 v69, v70
	v_ashrrev_i32_e32 v69, 31, v69
	v_xor_b32_e32 v70, vcc_hi, v69
	v_xor_b32_e32 v69, vcc_lo, v69
	v_and_b32_e32 v198, v198, v70
	v_and_b32_e32 v199, v199, v69
	v_lshlrev_b32_e32 v70, 29, v196
	v_mov_b32_e32 v69, v3
	v_cmp_gt_i64_e32 vcc, 0, v[69:70]
	v_not_b32_e32 v69, v70
	v_ashrrev_i32_e32 v69, 31, v69
	v_xor_b32_e32 v70, vcc_hi, v69
	v_xor_b32_e32 v69, vcc_lo, v69
	v_and_b32_e32 v198, v198, v70
	v_and_b32_e32 v199, v199, v69
	;; [unrolled: 9-line block ×5, first 2 shown]
	v_lshlrev_b32_e32 v70, 25, v196
	v_mov_b32_e32 v69, v3
	v_cmp_gt_i64_e32 vcc, 0, v[69:70]
	v_not_b32_e32 v69, v70
	v_ashrrev_i32_e32 v69, 31, v69
	v_xor_b32_e32 v70, vcc_hi, v69
	v_xor_b32_e32 v69, vcc_lo, v69
	v_and_b32_e32 v69, v199, v69
	v_mul_u32_u24_e32 v197, 20, v196
	v_and_b32_e32 v70, v198, v70
	v_mbcnt_lo_u32_b32 v196, v69, 0
	v_mbcnt_hi_u32_b32 v196, v70, v196
	v_cmp_ne_u64_e32 vcc, 0, v[69:70]
	v_cmp_eq_u32_e64 s[42:43], 0, v196
	s_and_b64 s[8:9], vcc, s[42:43]
	v_add_u32_e32 v198, v171, v197
	; wave barrier
	s_and_saveexec_b64 s[42:43], s[8:9]
	s_cbranch_execz .LBB709_738
; %bb.737:                              ;   in Loop: Header=BB709_686 Depth=2
	v_bcnt_u32_b32 v69, v69, 0
	v_bcnt_u32_b32 v69, v70, v69
	s_waitcnt lgkmcnt(0)
	v_add_u32_e32 v69, v194, v69
	ds_write_b32 v198, v69 offset:528
.LBB709_738:                            ;   in Loop: Header=BB709_686 Depth=2
	s_or_b64 exec, exec, s[42:43]
	v_xor_b32_e32 v66, 0x7fffffff, v66
	v_not_b32_e32 v65, v65
	v_lshrrev_b64 v[69:70], s7, v[65:66]
	v_and_b32_e32 v199, s98, v69
	v_mad_u32_u24 v69, v199, 20, v171
	; wave barrier
	ds_read_b32 v197, v69 offset:528
	v_and_b32_e32 v69, 1, v199
	v_add_co_u32_e32 v70, vcc, -1, v69
	v_addc_co_u32_e64 v201, s[8:9], 0, -1, vcc
	v_cmp_ne_u32_e32 vcc, 0, v69
	v_xor_b32_e32 v69, vcc_hi, v201
	v_xor_b32_e32 v70, vcc_lo, v70
	v_and_b32_e32 v201, exec_hi, v69
	v_and_b32_e32 v202, exec_lo, v70
	v_lshlrev_b32_e32 v70, 30, v199
	v_mov_b32_e32 v69, v3
	v_cmp_gt_i64_e32 vcc, 0, v[69:70]
	v_not_b32_e32 v69, v70
	v_ashrrev_i32_e32 v69, 31, v69
	v_xor_b32_e32 v70, vcc_hi, v69
	v_xor_b32_e32 v69, vcc_lo, v69
	v_and_b32_e32 v201, v201, v70
	v_and_b32_e32 v202, v202, v69
	v_lshlrev_b32_e32 v70, 29, v199
	v_mov_b32_e32 v69, v3
	v_cmp_gt_i64_e32 vcc, 0, v[69:70]
	v_not_b32_e32 v69, v70
	v_ashrrev_i32_e32 v69, 31, v69
	v_xor_b32_e32 v70, vcc_hi, v69
	v_xor_b32_e32 v69, vcc_lo, v69
	v_and_b32_e32 v201, v201, v70
	v_and_b32_e32 v202, v202, v69
	;; [unrolled: 9-line block ×5, first 2 shown]
	v_lshlrev_b32_e32 v70, 25, v199
	v_mov_b32_e32 v69, v3
	v_cmp_gt_i64_e32 vcc, 0, v[69:70]
	v_not_b32_e32 v69, v70
	v_ashrrev_i32_e32 v69, 31, v69
	v_xor_b32_e32 v70, vcc_hi, v69
	v_xor_b32_e32 v69, vcc_lo, v69
	v_and_b32_e32 v69, v202, v69
	v_mul_u32_u24_e32 v200, 20, v199
	v_and_b32_e32 v70, v201, v70
	v_mbcnt_lo_u32_b32 v199, v69, 0
	v_mbcnt_hi_u32_b32 v199, v70, v199
	v_cmp_ne_u64_e32 vcc, 0, v[69:70]
	v_cmp_eq_u32_e64 s[42:43], 0, v199
	s_and_b64 s[8:9], vcc, s[42:43]
	v_add_u32_e32 v201, v171, v200
	; wave barrier
	s_and_saveexec_b64 s[42:43], s[8:9]
	s_cbranch_execz .LBB709_740
; %bb.739:                              ;   in Loop: Header=BB709_686 Depth=2
	v_bcnt_u32_b32 v69, v69, 0
	v_bcnt_u32_b32 v69, v70, v69
	s_waitcnt lgkmcnt(0)
	v_add_u32_e32 v69, v197, v69
	ds_write_b32 v201, v69 offset:528
.LBB709_740:                            ;   in Loop: Header=BB709_686 Depth=2
	s_or_b64 exec, exec, s[42:43]
	v_xor_b32_e32 v64, 0x7fffffff, v64
	v_not_b32_e32 v63, v63
	v_lshrrev_b64 v[69:70], s7, v[63:64]
	v_and_b32_e32 v202, s98, v69
	v_mad_u32_u24 v69, v202, 20, v171
	; wave barrier
	ds_read_b32 v200, v69 offset:528
	v_and_b32_e32 v69, 1, v202
	v_add_co_u32_e32 v70, vcc, -1, v69
	v_addc_co_u32_e64 v204, s[8:9], 0, -1, vcc
	v_cmp_ne_u32_e32 vcc, 0, v69
	v_xor_b32_e32 v69, vcc_hi, v204
	v_xor_b32_e32 v70, vcc_lo, v70
	v_and_b32_e32 v204, exec_hi, v69
	v_and_b32_e32 v205, exec_lo, v70
	v_lshlrev_b32_e32 v70, 30, v202
	v_mov_b32_e32 v69, v3
	v_cmp_gt_i64_e32 vcc, 0, v[69:70]
	v_not_b32_e32 v69, v70
	v_ashrrev_i32_e32 v69, 31, v69
	v_xor_b32_e32 v70, vcc_hi, v69
	v_xor_b32_e32 v69, vcc_lo, v69
	v_and_b32_e32 v204, v204, v70
	v_and_b32_e32 v205, v205, v69
	v_lshlrev_b32_e32 v70, 29, v202
	v_mov_b32_e32 v69, v3
	v_cmp_gt_i64_e32 vcc, 0, v[69:70]
	v_not_b32_e32 v69, v70
	v_ashrrev_i32_e32 v69, 31, v69
	v_xor_b32_e32 v70, vcc_hi, v69
	v_xor_b32_e32 v69, vcc_lo, v69
	v_and_b32_e32 v204, v204, v70
	v_and_b32_e32 v205, v205, v69
	v_lshlrev_b32_e32 v70, 28, v202
	v_mov_b32_e32 v69, v3
	v_cmp_gt_i64_e32 vcc, 0, v[69:70]
	v_not_b32_e32 v69, v70
	v_ashrrev_i32_e32 v69, 31, v69
	v_xor_b32_e32 v70, vcc_hi, v69
	v_xor_b32_e32 v69, vcc_lo, v69
	v_and_b32_e32 v204, v204, v70
	v_and_b32_e32 v205, v205, v69
	v_lshlrev_b32_e32 v70, 27, v202
	v_mov_b32_e32 v69, v3
	v_cmp_gt_i64_e32 vcc, 0, v[69:70]
	v_not_b32_e32 v69, v70
	v_ashrrev_i32_e32 v69, 31, v69
	v_xor_b32_e32 v70, vcc_hi, v69
	v_xor_b32_e32 v69, vcc_lo, v69
	v_and_b32_e32 v204, v204, v70
	v_and_b32_e32 v205, v205, v69
	v_lshlrev_b32_e32 v70, 26, v202
	v_mov_b32_e32 v69, v3
	v_cmp_gt_i64_e32 vcc, 0, v[69:70]
	v_not_b32_e32 v69, v70
	v_ashrrev_i32_e32 v69, 31, v69
	v_xor_b32_e32 v70, vcc_hi, v69
	v_xor_b32_e32 v69, vcc_lo, v69
	v_and_b32_e32 v204, v204, v70
	v_and_b32_e32 v205, v205, v69
	v_lshlrev_b32_e32 v70, 25, v202
	v_mov_b32_e32 v69, v3
	v_cmp_gt_i64_e32 vcc, 0, v[69:70]
	v_not_b32_e32 v69, v70
	v_ashrrev_i32_e32 v69, 31, v69
	v_xor_b32_e32 v70, vcc_hi, v69
	v_xor_b32_e32 v69, vcc_lo, v69
	v_and_b32_e32 v69, v205, v69
	v_mul_u32_u24_e32 v203, 20, v202
	v_and_b32_e32 v70, v204, v70
	v_mbcnt_lo_u32_b32 v202, v69, 0
	v_mbcnt_hi_u32_b32 v202, v70, v202
	v_cmp_ne_u64_e32 vcc, 0, v[69:70]
	v_cmp_eq_u32_e64 s[42:43], 0, v202
	s_and_b64 s[8:9], vcc, s[42:43]
	v_add_u32_e32 v205, v171, v203
	; wave barrier
	s_and_saveexec_b64 s[42:43], s[8:9]
	s_cbranch_execz .LBB709_742
; %bb.741:                              ;   in Loop: Header=BB709_686 Depth=2
	v_bcnt_u32_b32 v69, v69, 0
	v_bcnt_u32_b32 v69, v70, v69
	s_waitcnt lgkmcnt(0)
	v_add_u32_e32 v69, v200, v69
	ds_write_b32 v205, v69 offset:528
.LBB709_742:                            ;   in Loop: Header=BB709_686 Depth=2
	s_or_b64 exec, exec, s[42:43]
	v_xor_b32_e32 v60, 0x7fffffff, v60
	v_not_b32_e32 v59, v59
	v_lshrrev_b64 v[69:70], s7, v[59:60]
	v_and_b32_e32 v204, s98, v69
	v_mad_u32_u24 v69, v204, 20, v171
	; wave barrier
	ds_read_b32 v203, v69 offset:528
	v_and_b32_e32 v69, 1, v204
	v_add_co_u32_e32 v70, vcc, -1, v69
	v_addc_co_u32_e64 v207, s[8:9], 0, -1, vcc
	v_cmp_ne_u32_e32 vcc, 0, v69
	v_xor_b32_e32 v69, vcc_hi, v207
	v_xor_b32_e32 v70, vcc_lo, v70
	v_and_b32_e32 v207, exec_hi, v69
	v_and_b32_e32 v208, exec_lo, v70
	v_lshlrev_b32_e32 v70, 30, v204
	v_mov_b32_e32 v69, v3
	v_cmp_gt_i64_e32 vcc, 0, v[69:70]
	v_not_b32_e32 v69, v70
	v_ashrrev_i32_e32 v69, 31, v69
	v_xor_b32_e32 v70, vcc_hi, v69
	v_xor_b32_e32 v69, vcc_lo, v69
	v_and_b32_e32 v207, v207, v70
	v_and_b32_e32 v208, v208, v69
	v_lshlrev_b32_e32 v70, 29, v204
	v_mov_b32_e32 v69, v3
	v_cmp_gt_i64_e32 vcc, 0, v[69:70]
	v_not_b32_e32 v69, v70
	v_ashrrev_i32_e32 v69, 31, v69
	v_xor_b32_e32 v70, vcc_hi, v69
	v_xor_b32_e32 v69, vcc_lo, v69
	v_and_b32_e32 v207, v207, v70
	v_and_b32_e32 v208, v208, v69
	;; [unrolled: 9-line block ×5, first 2 shown]
	v_lshlrev_b32_e32 v70, 25, v204
	v_mov_b32_e32 v69, v3
	v_cmp_gt_i64_e32 vcc, 0, v[69:70]
	v_not_b32_e32 v69, v70
	v_ashrrev_i32_e32 v69, 31, v69
	v_xor_b32_e32 v70, vcc_hi, v69
	v_xor_b32_e32 v69, vcc_lo, v69
	v_and_b32_e32 v69, v208, v69
	v_mul_u32_u24_e32 v206, 20, v204
	v_and_b32_e32 v70, v207, v70
	v_mbcnt_lo_u32_b32 v204, v69, 0
	v_mbcnt_hi_u32_b32 v204, v70, v204
	v_cmp_ne_u64_e32 vcc, 0, v[69:70]
	v_cmp_eq_u32_e64 s[42:43], 0, v204
	s_and_b64 s[8:9], vcc, s[42:43]
	v_add_u32_e32 v208, v171, v206
	; wave barrier
	s_and_saveexec_b64 s[42:43], s[8:9]
	s_cbranch_execz .LBB709_744
; %bb.743:                              ;   in Loop: Header=BB709_686 Depth=2
	v_bcnt_u32_b32 v69, v69, 0
	v_bcnt_u32_b32 v69, v70, v69
	s_waitcnt lgkmcnt(0)
	v_add_u32_e32 v69, v203, v69
	ds_write_b32 v208, v69 offset:528
.LBB709_744:                            ;   in Loop: Header=BB709_686 Depth=2
	s_or_b64 exec, exec, s[42:43]
	v_xor_b32_e32 v56, 0x7fffffff, v56
	v_not_b32_e32 v55, v55
	v_lshrrev_b64 v[69:70], s7, v[55:56]
	v_and_b32_e32 v207, s98, v69
	v_mad_u32_u24 v69, v207, 20, v171
	; wave barrier
	ds_read_b32 v206, v69 offset:528
	v_and_b32_e32 v69, 1, v207
	v_add_co_u32_e32 v70, vcc, -1, v69
	v_addc_co_u32_e64 v210, s[8:9], 0, -1, vcc
	v_cmp_ne_u32_e32 vcc, 0, v69
	v_xor_b32_e32 v69, vcc_hi, v210
	v_xor_b32_e32 v70, vcc_lo, v70
	v_and_b32_e32 v210, exec_hi, v69
	v_and_b32_e32 v211, exec_lo, v70
	v_lshlrev_b32_e32 v70, 30, v207
	v_mov_b32_e32 v69, v3
	v_cmp_gt_i64_e32 vcc, 0, v[69:70]
	v_not_b32_e32 v69, v70
	v_ashrrev_i32_e32 v69, 31, v69
	v_xor_b32_e32 v70, vcc_hi, v69
	v_xor_b32_e32 v69, vcc_lo, v69
	v_and_b32_e32 v210, v210, v70
	v_and_b32_e32 v211, v211, v69
	v_lshlrev_b32_e32 v70, 29, v207
	v_mov_b32_e32 v69, v3
	v_cmp_gt_i64_e32 vcc, 0, v[69:70]
	v_not_b32_e32 v69, v70
	v_ashrrev_i32_e32 v69, 31, v69
	v_xor_b32_e32 v70, vcc_hi, v69
	v_xor_b32_e32 v69, vcc_lo, v69
	v_and_b32_e32 v210, v210, v70
	v_and_b32_e32 v211, v211, v69
	;; [unrolled: 9-line block ×5, first 2 shown]
	v_lshlrev_b32_e32 v70, 25, v207
	v_mov_b32_e32 v69, v3
	v_cmp_gt_i64_e32 vcc, 0, v[69:70]
	v_not_b32_e32 v69, v70
	v_ashrrev_i32_e32 v69, 31, v69
	v_xor_b32_e32 v70, vcc_hi, v69
	v_xor_b32_e32 v69, vcc_lo, v69
	v_and_b32_e32 v69, v211, v69
	v_mul_u32_u24_e32 v209, 20, v207
	v_and_b32_e32 v70, v210, v70
	v_mbcnt_lo_u32_b32 v207, v69, 0
	v_mbcnt_hi_u32_b32 v207, v70, v207
	v_cmp_ne_u64_e32 vcc, 0, v[69:70]
	v_cmp_eq_u32_e64 s[42:43], 0, v207
	s_and_b64 s[8:9], vcc, s[42:43]
	v_add_u32_e32 v211, v171, v209
	; wave barrier
	s_and_saveexec_b64 s[42:43], s[8:9]
	s_cbranch_execz .LBB709_746
; %bb.745:                              ;   in Loop: Header=BB709_686 Depth=2
	v_bcnt_u32_b32 v69, v69, 0
	v_bcnt_u32_b32 v69, v70, v69
	s_waitcnt lgkmcnt(0)
	v_add_u32_e32 v69, v206, v69
	ds_write_b32 v211, v69 offset:528
.LBB709_746:                            ;   in Loop: Header=BB709_686 Depth=2
	s_or_b64 exec, exec, s[42:43]
	v_xor_b32_e32 v52, 0x7fffffff, v52
	v_not_b32_e32 v51, v51
	v_lshrrev_b64 v[69:70], s7, v[51:52]
	v_and_b32_e32 v210, s98, v69
	v_mad_u32_u24 v69, v210, 20, v171
	; wave barrier
	ds_read_b32 v209, v69 offset:528
	v_and_b32_e32 v69, 1, v210
	v_add_co_u32_e32 v70, vcc, -1, v69
	v_addc_co_u32_e64 v213, s[8:9], 0, -1, vcc
	v_cmp_ne_u32_e32 vcc, 0, v69
	v_xor_b32_e32 v69, vcc_hi, v213
	v_xor_b32_e32 v70, vcc_lo, v70
	v_and_b32_e32 v213, exec_hi, v69
	v_and_b32_e32 v214, exec_lo, v70
	v_lshlrev_b32_e32 v70, 30, v210
	v_mov_b32_e32 v69, v3
	v_cmp_gt_i64_e32 vcc, 0, v[69:70]
	v_not_b32_e32 v69, v70
	v_ashrrev_i32_e32 v69, 31, v69
	v_xor_b32_e32 v70, vcc_hi, v69
	v_xor_b32_e32 v69, vcc_lo, v69
	v_and_b32_e32 v213, v213, v70
	v_and_b32_e32 v214, v214, v69
	v_lshlrev_b32_e32 v70, 29, v210
	v_mov_b32_e32 v69, v3
	v_cmp_gt_i64_e32 vcc, 0, v[69:70]
	v_not_b32_e32 v69, v70
	v_ashrrev_i32_e32 v69, 31, v69
	v_xor_b32_e32 v70, vcc_hi, v69
	v_xor_b32_e32 v69, vcc_lo, v69
	v_and_b32_e32 v213, v213, v70
	v_and_b32_e32 v214, v214, v69
	;; [unrolled: 9-line block ×5, first 2 shown]
	v_lshlrev_b32_e32 v70, 25, v210
	v_mov_b32_e32 v69, v3
	v_cmp_gt_i64_e32 vcc, 0, v[69:70]
	v_not_b32_e32 v69, v70
	v_ashrrev_i32_e32 v69, 31, v69
	v_xor_b32_e32 v70, vcc_hi, v69
	v_xor_b32_e32 v69, vcc_lo, v69
	v_and_b32_e32 v69, v214, v69
	v_mul_u32_u24_e32 v212, 20, v210
	v_and_b32_e32 v70, v213, v70
	v_mbcnt_lo_u32_b32 v210, v69, 0
	v_mbcnt_hi_u32_b32 v210, v70, v210
	v_cmp_ne_u64_e32 vcc, 0, v[69:70]
	v_cmp_eq_u32_e64 s[42:43], 0, v210
	s_and_b64 s[8:9], vcc, s[42:43]
	v_add_u32_e32 v214, v171, v212
	; wave barrier
	s_and_saveexec_b64 s[42:43], s[8:9]
	s_cbranch_execz .LBB709_748
; %bb.747:                              ;   in Loop: Header=BB709_686 Depth=2
	v_bcnt_u32_b32 v69, v69, 0
	v_bcnt_u32_b32 v69, v70, v69
	s_waitcnt lgkmcnt(0)
	v_add_u32_e32 v69, v209, v69
	ds_write_b32 v214, v69 offset:528
.LBB709_748:                            ;   in Loop: Header=BB709_686 Depth=2
	s_or_b64 exec, exec, s[42:43]
	v_xor_b32_e32 v48, 0x7fffffff, v48
	v_not_b32_e32 v47, v47
	v_lshrrev_b64 v[69:70], s7, v[47:48]
	v_and_b32_e32 v213, s98, v69
	v_mad_u32_u24 v69, v213, 20, v171
	; wave barrier
	ds_read_b32 v212, v69 offset:528
	v_and_b32_e32 v69, 1, v213
	v_add_co_u32_e32 v70, vcc, -1, v69
	v_addc_co_u32_e64 v216, s[8:9], 0, -1, vcc
	v_cmp_ne_u32_e32 vcc, 0, v69
	v_xor_b32_e32 v69, vcc_hi, v216
	v_xor_b32_e32 v70, vcc_lo, v70
	v_and_b32_e32 v216, exec_hi, v69
	v_and_b32_e32 v217, exec_lo, v70
	v_lshlrev_b32_e32 v70, 30, v213
	v_mov_b32_e32 v69, v3
	v_cmp_gt_i64_e32 vcc, 0, v[69:70]
	v_not_b32_e32 v69, v70
	v_ashrrev_i32_e32 v69, 31, v69
	v_xor_b32_e32 v70, vcc_hi, v69
	v_xor_b32_e32 v69, vcc_lo, v69
	v_and_b32_e32 v216, v216, v70
	v_and_b32_e32 v217, v217, v69
	v_lshlrev_b32_e32 v70, 29, v213
	v_mov_b32_e32 v69, v3
	v_cmp_gt_i64_e32 vcc, 0, v[69:70]
	v_not_b32_e32 v69, v70
	v_ashrrev_i32_e32 v69, 31, v69
	v_xor_b32_e32 v70, vcc_hi, v69
	v_xor_b32_e32 v69, vcc_lo, v69
	v_and_b32_e32 v216, v216, v70
	v_and_b32_e32 v217, v217, v69
	;; [unrolled: 9-line block ×5, first 2 shown]
	v_lshlrev_b32_e32 v70, 25, v213
	v_mov_b32_e32 v69, v3
	v_cmp_gt_i64_e32 vcc, 0, v[69:70]
	v_not_b32_e32 v69, v70
	v_ashrrev_i32_e32 v69, 31, v69
	v_xor_b32_e32 v70, vcc_hi, v69
	v_xor_b32_e32 v69, vcc_lo, v69
	v_and_b32_e32 v69, v217, v69
	v_mul_u32_u24_e32 v215, 20, v213
	v_and_b32_e32 v70, v216, v70
	v_mbcnt_lo_u32_b32 v213, v69, 0
	v_mbcnt_hi_u32_b32 v213, v70, v213
	v_cmp_ne_u64_e32 vcc, 0, v[69:70]
	v_cmp_eq_u32_e64 s[42:43], 0, v213
	s_and_b64 s[8:9], vcc, s[42:43]
	v_add_u32_e32 v217, v171, v215
	; wave barrier
	s_and_saveexec_b64 s[42:43], s[8:9]
	s_cbranch_execz .LBB709_750
; %bb.749:                              ;   in Loop: Header=BB709_686 Depth=2
	v_bcnt_u32_b32 v69, v69, 0
	v_bcnt_u32_b32 v69, v70, v69
	s_waitcnt lgkmcnt(0)
	v_add_u32_e32 v69, v212, v69
	ds_write_b32 v217, v69 offset:528
.LBB709_750:                            ;   in Loop: Header=BB709_686 Depth=2
	s_or_b64 exec, exec, s[42:43]
	v_xor_b32_e32 v44, 0x7fffffff, v44
	v_not_b32_e32 v43, v43
	v_lshrrev_b64 v[69:70], s7, v[43:44]
	v_and_b32_e32 v216, s98, v69
	v_mad_u32_u24 v69, v216, 20, v171
	; wave barrier
	ds_read_b32 v215, v69 offset:528
	v_and_b32_e32 v69, 1, v216
	v_add_co_u32_e32 v70, vcc, -1, v69
	v_addc_co_u32_e64 v219, s[8:9], 0, -1, vcc
	v_cmp_ne_u32_e32 vcc, 0, v69
	v_xor_b32_e32 v69, vcc_hi, v219
	v_xor_b32_e32 v70, vcc_lo, v70
	v_and_b32_e32 v219, exec_hi, v69
	v_and_b32_e32 v220, exec_lo, v70
	v_lshlrev_b32_e32 v70, 30, v216
	v_mov_b32_e32 v69, v3
	v_cmp_gt_i64_e32 vcc, 0, v[69:70]
	v_not_b32_e32 v69, v70
	v_ashrrev_i32_e32 v69, 31, v69
	v_xor_b32_e32 v70, vcc_hi, v69
	v_xor_b32_e32 v69, vcc_lo, v69
	v_and_b32_e32 v219, v219, v70
	v_and_b32_e32 v220, v220, v69
	v_lshlrev_b32_e32 v70, 29, v216
	v_mov_b32_e32 v69, v3
	v_cmp_gt_i64_e32 vcc, 0, v[69:70]
	v_not_b32_e32 v69, v70
	v_ashrrev_i32_e32 v69, 31, v69
	v_xor_b32_e32 v70, vcc_hi, v69
	v_xor_b32_e32 v69, vcc_lo, v69
	v_and_b32_e32 v219, v219, v70
	v_and_b32_e32 v220, v220, v69
	;; [unrolled: 9-line block ×5, first 2 shown]
	v_lshlrev_b32_e32 v70, 25, v216
	v_mov_b32_e32 v69, v3
	v_cmp_gt_i64_e32 vcc, 0, v[69:70]
	v_not_b32_e32 v69, v70
	v_ashrrev_i32_e32 v69, 31, v69
	v_xor_b32_e32 v70, vcc_hi, v69
	v_xor_b32_e32 v69, vcc_lo, v69
	v_and_b32_e32 v69, v220, v69
	v_mul_u32_u24_e32 v218, 20, v216
	v_and_b32_e32 v70, v219, v70
	v_mbcnt_lo_u32_b32 v216, v69, 0
	v_mbcnt_hi_u32_b32 v216, v70, v216
	v_cmp_ne_u64_e32 vcc, 0, v[69:70]
	v_cmp_eq_u32_e64 s[42:43], 0, v216
	s_and_b64 s[8:9], vcc, s[42:43]
	v_add_u32_e32 v220, v171, v218
	; wave barrier
	s_and_saveexec_b64 s[42:43], s[8:9]
	s_cbranch_execz .LBB709_752
; %bb.751:                              ;   in Loop: Header=BB709_686 Depth=2
	v_bcnt_u32_b32 v69, v69, 0
	v_bcnt_u32_b32 v69, v70, v69
	s_waitcnt lgkmcnt(0)
	v_add_u32_e32 v69, v215, v69
	ds_write_b32 v220, v69 offset:528
.LBB709_752:                            ;   in Loop: Header=BB709_686 Depth=2
	s_or_b64 exec, exec, s[42:43]
	v_lshrrev_b64 v[69:70], s7, v[37:38]
	v_and_b32_e32 v219, s98, v69
	v_mad_u32_u24 v69, v219, 20, v171
	; wave barrier
	ds_read_b32 v218, v69 offset:528
	v_and_b32_e32 v69, 1, v219
	v_add_co_u32_e32 v70, vcc, -1, v69
	v_addc_co_u32_e64 v222, s[8:9], 0, -1, vcc
	v_cmp_ne_u32_e32 vcc, 0, v69
	v_xor_b32_e32 v69, vcc_hi, v222
	v_xor_b32_e32 v70, vcc_lo, v70
	v_and_b32_e32 v222, exec_hi, v69
	v_and_b32_e32 v223, exec_lo, v70
	v_lshlrev_b32_e32 v70, 30, v219
	v_mov_b32_e32 v69, v3
	v_cmp_gt_i64_e32 vcc, 0, v[69:70]
	v_not_b32_e32 v69, v70
	v_ashrrev_i32_e32 v69, 31, v69
	v_xor_b32_e32 v70, vcc_hi, v69
	v_xor_b32_e32 v69, vcc_lo, v69
	v_and_b32_e32 v222, v222, v70
	v_and_b32_e32 v223, v223, v69
	v_lshlrev_b32_e32 v70, 29, v219
	v_mov_b32_e32 v69, v3
	v_cmp_gt_i64_e32 vcc, 0, v[69:70]
	v_not_b32_e32 v69, v70
	v_ashrrev_i32_e32 v69, 31, v69
	v_xor_b32_e32 v70, vcc_hi, v69
	v_xor_b32_e32 v69, vcc_lo, v69
	v_and_b32_e32 v222, v222, v70
	v_and_b32_e32 v223, v223, v69
	;; [unrolled: 9-line block ×5, first 2 shown]
	v_lshlrev_b32_e32 v70, 25, v219
	v_mov_b32_e32 v69, v3
	v_cmp_gt_i64_e32 vcc, 0, v[69:70]
	v_not_b32_e32 v69, v70
	v_ashrrev_i32_e32 v69, 31, v69
	v_xor_b32_e32 v70, vcc_hi, v69
	v_xor_b32_e32 v69, vcc_lo, v69
	v_and_b32_e32 v69, v223, v69
	v_mul_u32_u24_e32 v221, 20, v219
	v_and_b32_e32 v70, v222, v70
	v_mbcnt_lo_u32_b32 v219, v69, 0
	v_mbcnt_hi_u32_b32 v219, v70, v219
	v_cmp_ne_u64_e32 vcc, 0, v[69:70]
	v_cmp_eq_u32_e64 s[42:43], 0, v219
	s_and_b64 s[8:9], vcc, s[42:43]
	v_add_u32_e32 v221, v171, v221
	; wave barrier
	s_and_saveexec_b64 s[42:43], s[8:9]
	s_cbranch_execz .LBB709_754
; %bb.753:                              ;   in Loop: Header=BB709_686 Depth=2
	v_bcnt_u32_b32 v69, v69, 0
	v_bcnt_u32_b32 v69, v70, v69
	s_waitcnt lgkmcnt(0)
	v_add_u32_e32 v69, v218, v69
	ds_write_b32 v221, v69 offset:528
.LBB709_754:                            ;   in Loop: Header=BB709_686 Depth=2
	s_or_b64 exec, exec, s[42:43]
	; wave barrier
	s_waitcnt lgkmcnt(0)
	s_barrier
	ds_read2_b32 v[69:70], v90 offset0:132 offset1:133
	ds_read_b32 v222, v90 offset:536
	s_waitcnt lgkmcnt(0)
	v_add3_u32 v222, v70, v69, v222
	s_nop 1
	v_mov_b32_dpp v223, v222 row_shr:1 row_mask:0xf bank_mask:0xf
	v_cndmask_b32_e64 v223, v223, 0, s[22:23]
	v_add_u32_e32 v222, v223, v222
	s_nop 1
	v_mov_b32_dpp v223, v222 row_shr:2 row_mask:0xf bank_mask:0xf
	v_cndmask_b32_e64 v223, 0, v223, s[24:25]
	v_add_u32_e32 v222, v222, v223
	;; [unrolled: 4-line block ×4, first 2 shown]
	s_nop 1
	v_mov_b32_dpp v223, v222 row_bcast:15 row_mask:0xf bank_mask:0xf
	v_cndmask_b32_e64 v223, v223, 0, s[30:31]
	v_add_u32_e32 v222, v222, v223
	s_nop 1
	v_mov_b32_dpp v223, v222 row_bcast:31 row_mask:0xf bank_mask:0xf
	v_cndmask_b32_e64 v223, 0, v223, s[34:35]
	v_add_u32_e32 v222, v222, v223
	s_and_saveexec_b64 s[42:43], s[14:15]
; %bb.755:                              ;   in Loop: Header=BB709_686 Depth=2
	ds_write_b32 v92, v222 offset:512
; %bb.756:                              ;   in Loop: Header=BB709_686 Depth=2
	s_or_b64 exec, exec, s[42:43]
	s_waitcnt lgkmcnt(0)
	s_barrier
	s_and_saveexec_b64 s[42:43], s[16:17]
	s_cbranch_execz .LBB709_758
; %bb.757:                              ;   in Loop: Header=BB709_686 Depth=2
	ds_read_b32 v223, v97 offset:512
	s_waitcnt lgkmcnt(0)
	s_nop 0
	v_mov_b32_dpp v224, v223 row_shr:1 row_mask:0xf bank_mask:0xf
	v_cndmask_b32_e64 v224, v224, 0, s[38:39]
	v_add_u32_e32 v223, v224, v223
	s_nop 1
	v_mov_b32_dpp v224, v223 row_shr:2 row_mask:0xf bank_mask:0xf
	v_cndmask_b32_e64 v224, 0, v224, s[40:41]
	v_add_u32_e32 v223, v223, v224
	ds_write_b32 v97, v223 offset:512
.LBB709_758:                            ;   in Loop: Header=BB709_686 Depth=2
	s_or_b64 exec, exec, s[42:43]
	v_mov_b32_e32 v223, 0
	s_waitcnt lgkmcnt(0)
	s_barrier
	s_and_saveexec_b64 s[42:43], s[12:13]
; %bb.759:                              ;   in Loop: Header=BB709_686 Depth=2
	ds_read_b32 v223, v92 offset:508
; %bb.760:                              ;   in Loop: Header=BB709_686 Depth=2
	s_or_b64 exec, exec, s[42:43]
	s_waitcnt lgkmcnt(0)
	v_add_u32_e32 v222, v223, v222
	ds_bpermute_b32 v222, v134, v222
	s_waitcnt lgkmcnt(0)
	v_cndmask_b32_e64 v222, v222, v223, s[36:37]
	v_cndmask_b32_e64 v222, v222, 0, s[18:19]
	v_add_u32_e32 v69, v222, v69
	v_add_u32_e32 v70, v69, v70
	ds_write2_b32 v90, v222, v69 offset0:132 offset1:133
	ds_write_b32 v90, v70 offset:536
	s_waitcnt lgkmcnt(0)
	s_barrier
	ds_read_b32 v69, v177 offset:528
	ds_read_b32 v227, v180 offset:528
	;; [unrolled: 1-line block ×16, first 2 shown]
	s_and_saveexec_b64 s[42:43], s[4:5]
	s_cbranch_execz .LBB709_764
; %bb.761:                              ;   in Loop: Header=BB709_686 Depth=2
	ds_read_b32 v172, v99 offset:528
	v_mov_b32_e32 v173, 0x1000
	s_and_saveexec_b64 s[44:45], s[20:21]
; %bb.762:                              ;   in Loop: Header=BB709_686 Depth=2
	ds_read_b32 v173, v98 offset:528
; %bb.763:                              ;   in Loop: Header=BB709_686 Depth=2
	s_or_b64 exec, exec, s[44:45]
	s_waitcnt lgkmcnt(0)
	v_sub_u32_e32 v173, v173, v172
.LBB709_764:                            ;   in Loop: Header=BB709_686 Depth=2
	s_or_b64 exec, exec, s[42:43]
	s_waitcnt lgkmcnt(0)
	s_barrier
	s_and_saveexec_b64 s[42:43], s[4:5]
	s_cbranch_execz .LBB709_766
; %bb.765:                              ;   in Loop: Header=BB709_686 Depth=2
	ds_read_b32 v201, v71
	s_waitcnt lgkmcnt(0)
	v_sub_u32_e32 v201, v201, v172
	ds_write_b32 v71, v201
.LBB709_766:                            ;   in Loop: Header=BB709_686 Depth=2
	s_or_b64 exec, exec, s[42:43]
	v_lshlrev_b32_e32 v175, 3, v175
	v_lshl_add_u32 v69, v69, 3, v175
	ds_write_b64 v69, v[39:40] offset:512
	v_lshlrev_b32_e32 v39, 3, v178
	v_lshlrev_b32_e32 v40, 3, v176
	v_lshlrev_b32_e32 v175, 3, v227
	v_add3_u32 v39, v39, v40, v175
	ds_write_b64 v39, v[41:42] offset:512
	v_lshlrev_b32_e32 v40, 3, v181
	v_lshlrev_b32_e32 v41, 3, v179
	v_lshlrev_b32_e32 v42, 3, v226
	v_add3_u32 v40, v40, v41, v42
	;; [unrolled: 5-line block ×3, first 2 shown]
	v_lshlrev_b32_e32 v42, 3, v187
	v_lshlrev_b32_e32 v45, 3, v185
	v_lshlrev_b32_e32 v46, 3, v224
	ds_write_b64 v41, v[49:50] offset:512
	v_add3_u32 v42, v42, v45, v46
	v_lshlrev_b32_e32 v45, 3, v190
	v_lshlrev_b32_e32 v46, 3, v188
	v_lshlrev_b32_e32 v49, 3, v223
	v_add3_u32 v45, v45, v46, v49
	v_lshlrev_b32_e32 v46, 3, v193
	v_lshlrev_b32_e32 v49, 3, v191
	v_lshlrev_b32_e32 v50, 3, v222
	ds_write_b64 v42, v[53:54] offset:512
	v_add3_u32 v46, v46, v49, v50
	v_lshlrev_b32_e32 v49, 3, v196
	v_lshlrev_b32_e32 v50, 3, v194
	v_lshlrev_b32_e32 v53, 3, v198
	v_add3_u32 v49, v49, v50, v53
	;; [unrolled: 9-line block ×3, first 2 shown]
	v_lshlrev_b32_e32 v54, 3, v204
	v_lshlrev_b32_e32 v57, 3, v203
	;; [unrolled: 1-line block ×3, first 2 shown]
	v_add3_u32 v54, v54, v57, v58
	ds_write_b64 v46, v[61:62] offset:512
	ds_write_b64 v49, v[67:68] offset:512
	;; [unrolled: 1-line block ×5, first 2 shown]
	v_lshlrev_b32_e32 v57, 3, v207
	v_lshlrev_b32_e32 v58, 3, v206
	v_lshlrev_b32_e32 v59, 3, v186
	v_add3_u32 v57, v57, v58, v59
	ds_write_b64 v57, v[55:56] offset:512
	v_lshlrev_b32_e32 v55, 3, v210
	v_lshlrev_b32_e32 v56, 3, v209
	v_lshlrev_b32_e32 v58, 3, v183
	v_add3_u32 v55, v55, v56, v58
	ds_write_b64 v55, v[51:52] offset:512
	;; [unrolled: 5-line block ×4, first 2 shown]
	v_lshlrev_b32_e32 v43, 3, v219
	v_lshlrev_b32_e32 v44, 3, v218
	;; [unrolled: 1-line block ×3, first 2 shown]
	v_add3_u32 v43, v43, v44, v48
	v_cmp_lt_u32_e64 s[42:43], v0, v174
	ds_write_b64 v43, v[37:38] offset:512
	s_waitcnt lgkmcnt(0)
	s_barrier
	s_and_saveexec_b64 s[44:45], s[42:43]
	s_cbranch_execnz .LBB709_835
; %bb.767:                              ;   in Loop: Header=BB709_686 Depth=2
	s_or_b64 exec, exec, s[44:45]
	v_cmp_lt_u32_e64 s[44:45], v72, v174
	s_and_saveexec_b64 s[46:47], s[44:45]
	s_cbranch_execnz .LBB709_836
.LBB709_768:                            ;   in Loop: Header=BB709_686 Depth=2
	s_or_b64 exec, exec, s[46:47]
	v_cmp_lt_u32_e64 s[46:47], v75, v174
	s_and_saveexec_b64 s[48:49], s[46:47]
	s_cbranch_execnz .LBB709_837
.LBB709_769:                            ;   in Loop: Header=BB709_686 Depth=2
	s_or_b64 exec, exec, s[48:49]
	v_cmp_lt_u32_e64 s[48:49], v76, v174
	s_and_saveexec_b64 s[50:51], s[48:49]
	s_cbranch_execnz .LBB709_838
.LBB709_770:                            ;   in Loop: Header=BB709_686 Depth=2
	s_or_b64 exec, exec, s[50:51]
	v_cmp_lt_u32_e64 s[50:51], v77, v174
	s_and_saveexec_b64 s[52:53], s[50:51]
	s_cbranch_execnz .LBB709_839
.LBB709_771:                            ;   in Loop: Header=BB709_686 Depth=2
	s_or_b64 exec, exec, s[52:53]
	v_cmp_lt_u32_e64 s[52:53], v78, v174
	s_and_saveexec_b64 s[54:55], s[52:53]
	s_cbranch_execnz .LBB709_840
.LBB709_772:                            ;   in Loop: Header=BB709_686 Depth=2
	s_or_b64 exec, exec, s[54:55]
	v_cmp_lt_u32_e64 s[54:55], v79, v174
	s_and_saveexec_b64 s[56:57], s[54:55]
	s_cbranch_execnz .LBB709_841
.LBB709_773:                            ;   in Loop: Header=BB709_686 Depth=2
	s_or_b64 exec, exec, s[56:57]
	v_cmp_lt_u32_e64 s[56:57], v80, v174
	s_and_saveexec_b64 s[58:59], s[56:57]
	s_cbranch_execnz .LBB709_842
.LBB709_774:                            ;   in Loop: Header=BB709_686 Depth=2
	s_or_b64 exec, exec, s[58:59]
	v_cmp_lt_u32_e64 s[58:59], v81, v174
	s_and_saveexec_b64 s[60:61], s[58:59]
	s_cbranch_execnz .LBB709_843
.LBB709_775:                            ;   in Loop: Header=BB709_686 Depth=2
	s_or_b64 exec, exec, s[60:61]
	v_cmp_lt_u32_e64 s[60:61], v82, v174
	s_and_saveexec_b64 s[62:63], s[60:61]
	s_cbranch_execnz .LBB709_844
.LBB709_776:                            ;   in Loop: Header=BB709_686 Depth=2
	s_or_b64 exec, exec, s[62:63]
	v_cmp_lt_u32_e64 s[62:63], v83, v174
	s_and_saveexec_b64 s[64:65], s[62:63]
	s_cbranch_execnz .LBB709_845
.LBB709_777:                            ;   in Loop: Header=BB709_686 Depth=2
	s_or_b64 exec, exec, s[64:65]
	v_cmp_lt_u32_e64 s[64:65], v84, v174
	s_and_saveexec_b64 s[66:67], s[64:65]
	s_cbranch_execnz .LBB709_846
.LBB709_778:                            ;   in Loop: Header=BB709_686 Depth=2
	s_or_b64 exec, exec, s[66:67]
	v_cmp_lt_u32_e64 s[66:67], v85, v174
	s_and_saveexec_b64 s[68:69], s[66:67]
	s_cbranch_execnz .LBB709_847
.LBB709_779:                            ;   in Loop: Header=BB709_686 Depth=2
	s_or_b64 exec, exec, s[68:69]
	v_cmp_lt_u32_e64 s[68:69], v86, v174
	s_and_saveexec_b64 s[70:71], s[68:69]
	s_cbranch_execnz .LBB709_848
.LBB709_780:                            ;   in Loop: Header=BB709_686 Depth=2
	s_or_b64 exec, exec, s[70:71]
	v_cmp_lt_u32_e64 s[70:71], v87, v174
	s_and_saveexec_b64 s[72:73], s[70:71]
	s_cbranch_execnz .LBB709_849
.LBB709_781:                            ;   in Loop: Header=BB709_686 Depth=2
	s_or_b64 exec, exec, s[72:73]
	v_cmp_lt_u32_e64 s[72:73], v88, v174
	s_and_saveexec_b64 s[82:83], s[72:73]
	s_cbranch_execz .LBB709_783
.LBB709_782:                            ;   in Loop: Header=BB709_686 Depth=2
	ds_read_b64 v[37:38], v104 offset:31232
	v_mov_b32_e32 v48, s79
	s_waitcnt lgkmcnt(0)
	v_lshrrev_b64 v[58:59], s7, v[37:38]
	v_mov_b32_e32 v59, v3
	v_and_b32_e32 v44, s98, v58
	v_lshlrev_b32_e32 v44, 2, v44
	ds_read_b32 v44, v44
	v_xor_b32_e32 v38, 0x7fffffff, v38
	v_not_b32_e32 v37, v37
	s_waitcnt lgkmcnt(0)
	v_add_u32_e32 v58, v44, v88
	v_lshlrev_b64 v[58:59], 3, v[58:59]
	v_add_co_u32_e32 v58, vcc, s78, v58
	v_addc_co_u32_e32 v59, vcc, v48, v59, vcc
	global_store_dwordx2 v[58:59], v[37:38], off
.LBB709_783:                            ;   in Loop: Header=BB709_686 Depth=2
	s_or_b64 exec, exec, s[82:83]
	s_lshl_b64 s[8:9], s[92:93], 3
	v_mov_b32_e32 v38, s9
	v_add_co_u32_e32 v37, vcc, s8, v152
	v_addc_co_u32_e32 v38, vcc, v153, v38, vcc
	v_cmp_lt_u32_e32 vcc, v151, v174
	s_and_saveexec_b64 s[8:9], vcc
	s_xor_b64 s[82:83], exec, s[8:9]
	s_cbranch_execnz .LBB709_850
; %bb.784:                              ;   in Loop: Header=BB709_686 Depth=2
	s_or_b64 exec, exec, s[82:83]
	v_cmp_lt_u32_e32 vcc, v154, v174
	s_and_saveexec_b64 s[82:83], vcc
	s_cbranch_execnz .LBB709_851
.LBB709_785:                            ;   in Loop: Header=BB709_686 Depth=2
	s_or_b64 exec, exec, s[82:83]
	v_cmp_lt_u32_e32 vcc, v155, v174
	s_and_saveexec_b64 s[82:83], vcc
	s_cbranch_execnz .LBB709_852
.LBB709_786:                            ;   in Loop: Header=BB709_686 Depth=2
	s_or_b64 exec, exec, s[82:83]
	v_cmp_lt_u32_e32 vcc, v156, v174
	s_and_saveexec_b64 s[82:83], vcc
	s_cbranch_execnz .LBB709_853
.LBB709_787:                            ;   in Loop: Header=BB709_686 Depth=2
	s_or_b64 exec, exec, s[82:83]
	v_cmp_lt_u32_e32 vcc, v157, v174
	s_and_saveexec_b64 s[82:83], vcc
	s_cbranch_execnz .LBB709_854
.LBB709_788:                            ;   in Loop: Header=BB709_686 Depth=2
	s_or_b64 exec, exec, s[82:83]
	v_cmp_lt_u32_e32 vcc, v158, v174
	s_and_saveexec_b64 s[82:83], vcc
	s_cbranch_execnz .LBB709_855
.LBB709_789:                            ;   in Loop: Header=BB709_686 Depth=2
	s_or_b64 exec, exec, s[82:83]
	v_cmp_lt_u32_e32 vcc, v159, v174
	s_and_saveexec_b64 s[82:83], vcc
	s_cbranch_execnz .LBB709_856
.LBB709_790:                            ;   in Loop: Header=BB709_686 Depth=2
	s_or_b64 exec, exec, s[82:83]
	v_cmp_lt_u32_e32 vcc, v160, v174
	s_and_saveexec_b64 s[82:83], vcc
	s_cbranch_execnz .LBB709_857
.LBB709_791:                            ;   in Loop: Header=BB709_686 Depth=2
	s_or_b64 exec, exec, s[82:83]
	v_cmp_lt_u32_e32 vcc, v161, v174
	s_and_saveexec_b64 s[82:83], vcc
	s_cbranch_execnz .LBB709_858
.LBB709_792:                            ;   in Loop: Header=BB709_686 Depth=2
	s_or_b64 exec, exec, s[82:83]
	v_cmp_lt_u32_e32 vcc, v162, v174
	s_and_saveexec_b64 s[82:83], vcc
	s_cbranch_execnz .LBB709_859
.LBB709_793:                            ;   in Loop: Header=BB709_686 Depth=2
	s_or_b64 exec, exec, s[82:83]
	v_cmp_lt_u32_e32 vcc, v163, v174
	s_and_saveexec_b64 s[82:83], vcc
	s_cbranch_execnz .LBB709_860
.LBB709_794:                            ;   in Loop: Header=BB709_686 Depth=2
	s_or_b64 exec, exec, s[82:83]
	v_cmp_lt_u32_e32 vcc, v164, v174
	s_and_saveexec_b64 s[82:83], vcc
	s_cbranch_execnz .LBB709_861
.LBB709_795:                            ;   in Loop: Header=BB709_686 Depth=2
	s_or_b64 exec, exec, s[82:83]
	v_cmp_lt_u32_e32 vcc, v165, v174
	s_and_saveexec_b64 s[82:83], vcc
	s_cbranch_execnz .LBB709_862
.LBB709_796:                            ;   in Loop: Header=BB709_686 Depth=2
	s_or_b64 exec, exec, s[82:83]
	v_cmp_lt_u32_e32 vcc, v166, v174
	s_and_saveexec_b64 s[82:83], vcc
	s_cbranch_execnz .LBB709_863
.LBB709_797:                            ;   in Loop: Header=BB709_686 Depth=2
	s_or_b64 exec, exec, s[82:83]
	v_cmp_lt_u32_e32 vcc, v167, v174
	s_and_saveexec_b64 s[82:83], vcc
	s_cbranch_execnz .LBB709_864
.LBB709_798:                            ;   in Loop: Header=BB709_686 Depth=2
	s_or_b64 exec, exec, s[82:83]
	v_cmp_lt_u32_e32 vcc, v168, v174
	s_and_saveexec_b64 s[82:83], vcc
	s_cbranch_execnz .LBB709_865
.LBB709_799:                            ;   in Loop: Header=BB709_686 Depth=2
	s_or_b64 exec, exec, s[82:83]
	s_and_saveexec_b64 s[82:83], s[42:43]
	s_cbranch_execnz .LBB709_866
.LBB709_800:                            ;   in Loop: Header=BB709_686 Depth=2
	s_or_b64 exec, exec, s[82:83]
	s_and_saveexec_b64 s[82:83], s[44:45]
	s_cbranch_execnz .LBB709_867
.LBB709_801:                            ;   in Loop: Header=BB709_686 Depth=2
	s_or_b64 exec, exec, s[82:83]
	s_and_saveexec_b64 s[82:83], s[46:47]
	s_cbranch_execnz .LBB709_868
.LBB709_802:                            ;   in Loop: Header=BB709_686 Depth=2
	s_or_b64 exec, exec, s[82:83]
	s_and_saveexec_b64 s[82:83], s[48:49]
	s_cbranch_execnz .LBB709_869
.LBB709_803:                            ;   in Loop: Header=BB709_686 Depth=2
	s_or_b64 exec, exec, s[82:83]
	s_and_saveexec_b64 s[82:83], s[50:51]
	s_cbranch_execnz .LBB709_870
.LBB709_804:                            ;   in Loop: Header=BB709_686 Depth=2
	s_or_b64 exec, exec, s[82:83]
	s_and_saveexec_b64 s[82:83], s[52:53]
	s_cbranch_execnz .LBB709_871
.LBB709_805:                            ;   in Loop: Header=BB709_686 Depth=2
	s_or_b64 exec, exec, s[82:83]
	s_and_saveexec_b64 s[82:83], s[54:55]
	s_cbranch_execnz .LBB709_872
.LBB709_806:                            ;   in Loop: Header=BB709_686 Depth=2
	s_or_b64 exec, exec, s[82:83]
	s_and_saveexec_b64 s[82:83], s[56:57]
	s_cbranch_execnz .LBB709_873
.LBB709_807:                            ;   in Loop: Header=BB709_686 Depth=2
	s_or_b64 exec, exec, s[82:83]
	s_and_saveexec_b64 s[82:83], s[58:59]
	s_cbranch_execnz .LBB709_874
.LBB709_808:                            ;   in Loop: Header=BB709_686 Depth=2
	s_or_b64 exec, exec, s[82:83]
	s_and_saveexec_b64 s[82:83], s[60:61]
	s_cbranch_execnz .LBB709_875
.LBB709_809:                            ;   in Loop: Header=BB709_686 Depth=2
	s_or_b64 exec, exec, s[82:83]
	s_and_saveexec_b64 s[82:83], s[62:63]
	s_cbranch_execnz .LBB709_876
.LBB709_810:                            ;   in Loop: Header=BB709_686 Depth=2
	s_or_b64 exec, exec, s[82:83]
	s_and_saveexec_b64 s[82:83], s[64:65]
	s_cbranch_execnz .LBB709_877
.LBB709_811:                            ;   in Loop: Header=BB709_686 Depth=2
	s_or_b64 exec, exec, s[82:83]
	s_and_saveexec_b64 s[82:83], s[66:67]
	s_cbranch_execnz .LBB709_878
.LBB709_812:                            ;   in Loop: Header=BB709_686 Depth=2
	s_or_b64 exec, exec, s[82:83]
	s_and_saveexec_b64 s[82:83], s[68:69]
	s_cbranch_execnz .LBB709_879
.LBB709_813:                            ;   in Loop: Header=BB709_686 Depth=2
	s_or_b64 exec, exec, s[82:83]
	s_and_saveexec_b64 s[82:83], s[70:71]
	s_cbranch_execnz .LBB709_880
.LBB709_814:                            ;   in Loop: Header=BB709_686 Depth=2
	s_or_b64 exec, exec, s[82:83]
	s_and_saveexec_b64 s[82:83], s[72:73]
	s_cbranch_execz .LBB709_816
.LBB709_815:                            ;   in Loop: Header=BB709_686 Depth=2
	ds_read_b64 v[37:38], v104 offset:31232
	s_waitcnt lgkmcnt(0)
	v_lshrrev_b64 v[37:38], s7, v[37:38]
	v_and_b32_e32 v135, s98, v37
.LBB709_816:                            ;   in Loop: Header=BB709_686 Depth=2
	s_or_b64 exec, exec, s[82:83]
	s_waitcnt vmcnt(0)
	s_barrier
	ds_write_b64 v69, v[35:36] offset:512
	ds_write_b64 v39, v[33:34] offset:512
	;; [unrolled: 1-line block ×16, first 2 shown]
	s_waitcnt lgkmcnt(0)
	s_barrier
	s_and_saveexec_b64 s[82:83], s[42:43]
	s_cbranch_execnz .LBB709_881
; %bb.817:                              ;   in Loop: Header=BB709_686 Depth=2
	s_or_b64 exec, exec, s[82:83]
	s_and_saveexec_b64 s[42:43], s[44:45]
	s_cbranch_execnz .LBB709_882
.LBB709_818:                            ;   in Loop: Header=BB709_686 Depth=2
	s_or_b64 exec, exec, s[42:43]
	s_and_saveexec_b64 s[42:43], s[46:47]
	s_cbranch_execnz .LBB709_883
.LBB709_819:                            ;   in Loop: Header=BB709_686 Depth=2
	s_or_b64 exec, exec, s[42:43]
	s_and_saveexec_b64 s[42:43], s[48:49]
	s_cbranch_execnz .LBB709_884
.LBB709_820:                            ;   in Loop: Header=BB709_686 Depth=2
	s_or_b64 exec, exec, s[42:43]
	s_and_saveexec_b64 s[42:43], s[50:51]
	s_cbranch_execnz .LBB709_885
.LBB709_821:                            ;   in Loop: Header=BB709_686 Depth=2
	s_or_b64 exec, exec, s[42:43]
	s_and_saveexec_b64 s[42:43], s[52:53]
	s_cbranch_execnz .LBB709_886
.LBB709_822:                            ;   in Loop: Header=BB709_686 Depth=2
	s_or_b64 exec, exec, s[42:43]
	s_and_saveexec_b64 s[42:43], s[54:55]
	s_cbranch_execnz .LBB709_887
.LBB709_823:                            ;   in Loop: Header=BB709_686 Depth=2
	s_or_b64 exec, exec, s[42:43]
	s_and_saveexec_b64 s[42:43], s[56:57]
	s_cbranch_execnz .LBB709_888
.LBB709_824:                            ;   in Loop: Header=BB709_686 Depth=2
	s_or_b64 exec, exec, s[42:43]
	s_and_saveexec_b64 s[42:43], s[58:59]
	s_cbranch_execnz .LBB709_889
.LBB709_825:                            ;   in Loop: Header=BB709_686 Depth=2
	s_or_b64 exec, exec, s[42:43]
	s_and_saveexec_b64 s[42:43], s[60:61]
	s_cbranch_execnz .LBB709_890
.LBB709_826:                            ;   in Loop: Header=BB709_686 Depth=2
	s_or_b64 exec, exec, s[42:43]
	s_and_saveexec_b64 s[42:43], s[62:63]
	s_cbranch_execnz .LBB709_891
.LBB709_827:                            ;   in Loop: Header=BB709_686 Depth=2
	s_or_b64 exec, exec, s[42:43]
	s_and_saveexec_b64 s[42:43], s[64:65]
	s_cbranch_execnz .LBB709_892
.LBB709_828:                            ;   in Loop: Header=BB709_686 Depth=2
	s_or_b64 exec, exec, s[42:43]
	s_and_saveexec_b64 s[42:43], s[66:67]
	s_cbranch_execnz .LBB709_893
.LBB709_829:                            ;   in Loop: Header=BB709_686 Depth=2
	s_or_b64 exec, exec, s[42:43]
	s_and_saveexec_b64 s[42:43], s[68:69]
	s_cbranch_execnz .LBB709_894
.LBB709_830:                            ;   in Loop: Header=BB709_686 Depth=2
	s_or_b64 exec, exec, s[42:43]
	s_and_saveexec_b64 s[42:43], s[70:71]
	s_cbranch_execnz .LBB709_895
.LBB709_831:                            ;   in Loop: Header=BB709_686 Depth=2
	s_or_b64 exec, exec, s[42:43]
	s_and_saveexec_b64 s[42:43], s[72:73]
	s_cbranch_execz .LBB709_833
.LBB709_832:                            ;   in Loop: Header=BB709_686 Depth=2
	v_lshlrev_b32_e32 v37, 2, v135
	ds_read_b32 v39, v37
	ds_read_b64 v[37:38], v104 offset:31232
	v_mov_b32_e32 v40, v3
	v_mov_b32_e32 v41, s85
	s_waitcnt lgkmcnt(1)
	v_add_u32_e32 v39, v39, v88
	v_lshlrev_b64 v[39:40], 3, v[39:40]
	v_add_co_u32_e32 v39, vcc, s84, v39
	v_addc_co_u32_e32 v40, vcc, v41, v40, vcc
	s_waitcnt lgkmcnt(0)
	global_store_dwordx2 v[39:40], v[37:38], off
.LBB709_833:                            ;   in Loop: Header=BB709_686 Depth=2
	s_or_b64 exec, exec, s[42:43]
	s_waitcnt vmcnt(0)
	s_barrier
	s_and_saveexec_b64 s[42:43], s[4:5]
	s_cbranch_execz .LBB709_685
; %bb.834:                              ;   in Loop: Header=BB709_686 Depth=2
	ds_read_b32 v37, v71
	s_waitcnt lgkmcnt(0)
	v_add3_u32 v37, v172, v173, v37
	ds_write_b32 v71, v37
	s_branch .LBB709_685
.LBB709_835:                            ;   in Loop: Header=BB709_686 Depth=2
	ds_read_b64 v[37:38], v104 offset:512
	v_mov_b32_e32 v48, s79
	s_waitcnt lgkmcnt(0)
	v_lshrrev_b64 v[58:59], s7, v[37:38]
	v_mov_b32_e32 v59, v3
	v_and_b32_e32 v44, s98, v58
	v_lshlrev_b32_e32 v44, 2, v44
	ds_read_b32 v44, v44
	v_xor_b32_e32 v38, 0x7fffffff, v38
	v_not_b32_e32 v37, v37
	s_waitcnt lgkmcnt(0)
	v_add_u32_e32 v58, v44, v0
	v_lshlrev_b64 v[58:59], 3, v[58:59]
	v_add_co_u32_e32 v58, vcc, s78, v58
	v_addc_co_u32_e32 v59, vcc, v48, v59, vcc
	global_store_dwordx2 v[58:59], v[37:38], off
	s_or_b64 exec, exec, s[44:45]
	v_cmp_lt_u32_e64 s[44:45], v72, v174
	s_and_saveexec_b64 s[46:47], s[44:45]
	s_cbranch_execz .LBB709_768
.LBB709_836:                            ;   in Loop: Header=BB709_686 Depth=2
	ds_read_b64 v[37:38], v104 offset:2560
	v_mov_b32_e32 v48, s79
	s_waitcnt lgkmcnt(0)
	v_lshrrev_b64 v[58:59], s7, v[37:38]
	v_mov_b32_e32 v59, v3
	v_and_b32_e32 v44, s98, v58
	v_lshlrev_b32_e32 v44, 2, v44
	ds_read_b32 v44, v44
	v_xor_b32_e32 v38, 0x7fffffff, v38
	v_not_b32_e32 v37, v37
	s_waitcnt lgkmcnt(0)
	v_add_u32_e32 v58, v44, v72
	v_lshlrev_b64 v[58:59], 3, v[58:59]
	v_add_co_u32_e32 v58, vcc, s78, v58
	v_addc_co_u32_e32 v59, vcc, v48, v59, vcc
	global_store_dwordx2 v[58:59], v[37:38], off
	s_or_b64 exec, exec, s[46:47]
	v_cmp_lt_u32_e64 s[46:47], v75, v174
	s_and_saveexec_b64 s[48:49], s[46:47]
	s_cbranch_execz .LBB709_769
.LBB709_837:                            ;   in Loop: Header=BB709_686 Depth=2
	ds_read_b64 v[37:38], v104 offset:4608
	v_mov_b32_e32 v48, s79
	s_waitcnt lgkmcnt(0)
	v_lshrrev_b64 v[58:59], s7, v[37:38]
	v_mov_b32_e32 v59, v3
	v_and_b32_e32 v44, s98, v58
	v_lshlrev_b32_e32 v44, 2, v44
	ds_read_b32 v44, v44
	v_xor_b32_e32 v38, 0x7fffffff, v38
	v_not_b32_e32 v37, v37
	s_waitcnt lgkmcnt(0)
	v_add_u32_e32 v58, v44, v75
	v_lshlrev_b64 v[58:59], 3, v[58:59]
	v_add_co_u32_e32 v58, vcc, s78, v58
	v_addc_co_u32_e32 v59, vcc, v48, v59, vcc
	global_store_dwordx2 v[58:59], v[37:38], off
	s_or_b64 exec, exec, s[48:49]
	v_cmp_lt_u32_e64 s[48:49], v76, v174
	s_and_saveexec_b64 s[50:51], s[48:49]
	s_cbranch_execz .LBB709_770
.LBB709_838:                            ;   in Loop: Header=BB709_686 Depth=2
	ds_read_b64 v[37:38], v104 offset:6656
	v_mov_b32_e32 v48, s79
	s_waitcnt lgkmcnt(0)
	v_lshrrev_b64 v[58:59], s7, v[37:38]
	v_mov_b32_e32 v59, v3
	v_and_b32_e32 v44, s98, v58
	v_lshlrev_b32_e32 v44, 2, v44
	ds_read_b32 v44, v44
	v_xor_b32_e32 v38, 0x7fffffff, v38
	v_not_b32_e32 v37, v37
	s_waitcnt lgkmcnt(0)
	v_add_u32_e32 v58, v44, v76
	v_lshlrev_b64 v[58:59], 3, v[58:59]
	v_add_co_u32_e32 v58, vcc, s78, v58
	v_addc_co_u32_e32 v59, vcc, v48, v59, vcc
	global_store_dwordx2 v[58:59], v[37:38], off
	s_or_b64 exec, exec, s[50:51]
	v_cmp_lt_u32_e64 s[50:51], v77, v174
	s_and_saveexec_b64 s[52:53], s[50:51]
	s_cbranch_execz .LBB709_771
.LBB709_839:                            ;   in Loop: Header=BB709_686 Depth=2
	ds_read_b64 v[37:38], v104 offset:8704
	v_mov_b32_e32 v48, s79
	s_waitcnt lgkmcnt(0)
	v_lshrrev_b64 v[58:59], s7, v[37:38]
	v_mov_b32_e32 v59, v3
	v_and_b32_e32 v44, s98, v58
	v_lshlrev_b32_e32 v44, 2, v44
	ds_read_b32 v44, v44
	v_xor_b32_e32 v38, 0x7fffffff, v38
	v_not_b32_e32 v37, v37
	s_waitcnt lgkmcnt(0)
	v_add_u32_e32 v58, v44, v77
	v_lshlrev_b64 v[58:59], 3, v[58:59]
	v_add_co_u32_e32 v58, vcc, s78, v58
	v_addc_co_u32_e32 v59, vcc, v48, v59, vcc
	global_store_dwordx2 v[58:59], v[37:38], off
	s_or_b64 exec, exec, s[52:53]
	v_cmp_lt_u32_e64 s[52:53], v78, v174
	s_and_saveexec_b64 s[54:55], s[52:53]
	s_cbranch_execz .LBB709_772
.LBB709_840:                            ;   in Loop: Header=BB709_686 Depth=2
	ds_read_b64 v[37:38], v104 offset:10752
	v_mov_b32_e32 v48, s79
	s_waitcnt lgkmcnt(0)
	v_lshrrev_b64 v[58:59], s7, v[37:38]
	v_mov_b32_e32 v59, v3
	v_and_b32_e32 v44, s98, v58
	v_lshlrev_b32_e32 v44, 2, v44
	ds_read_b32 v44, v44
	v_xor_b32_e32 v38, 0x7fffffff, v38
	v_not_b32_e32 v37, v37
	s_waitcnt lgkmcnt(0)
	v_add_u32_e32 v58, v44, v78
	v_lshlrev_b64 v[58:59], 3, v[58:59]
	v_add_co_u32_e32 v58, vcc, s78, v58
	v_addc_co_u32_e32 v59, vcc, v48, v59, vcc
	global_store_dwordx2 v[58:59], v[37:38], off
	s_or_b64 exec, exec, s[54:55]
	v_cmp_lt_u32_e64 s[54:55], v79, v174
	s_and_saveexec_b64 s[56:57], s[54:55]
	s_cbranch_execz .LBB709_773
.LBB709_841:                            ;   in Loop: Header=BB709_686 Depth=2
	ds_read_b64 v[37:38], v104 offset:12800
	v_mov_b32_e32 v48, s79
	s_waitcnt lgkmcnt(0)
	v_lshrrev_b64 v[58:59], s7, v[37:38]
	v_mov_b32_e32 v59, v3
	v_and_b32_e32 v44, s98, v58
	v_lshlrev_b32_e32 v44, 2, v44
	ds_read_b32 v44, v44
	v_xor_b32_e32 v38, 0x7fffffff, v38
	v_not_b32_e32 v37, v37
	s_waitcnt lgkmcnt(0)
	v_add_u32_e32 v58, v44, v79
	v_lshlrev_b64 v[58:59], 3, v[58:59]
	v_add_co_u32_e32 v58, vcc, s78, v58
	v_addc_co_u32_e32 v59, vcc, v48, v59, vcc
	global_store_dwordx2 v[58:59], v[37:38], off
	s_or_b64 exec, exec, s[56:57]
	v_cmp_lt_u32_e64 s[56:57], v80, v174
	s_and_saveexec_b64 s[58:59], s[56:57]
	s_cbranch_execz .LBB709_774
.LBB709_842:                            ;   in Loop: Header=BB709_686 Depth=2
	ds_read_b64 v[37:38], v104 offset:14848
	v_mov_b32_e32 v48, s79
	s_waitcnt lgkmcnt(0)
	v_lshrrev_b64 v[58:59], s7, v[37:38]
	v_mov_b32_e32 v59, v3
	v_and_b32_e32 v44, s98, v58
	v_lshlrev_b32_e32 v44, 2, v44
	ds_read_b32 v44, v44
	v_xor_b32_e32 v38, 0x7fffffff, v38
	v_not_b32_e32 v37, v37
	s_waitcnt lgkmcnt(0)
	v_add_u32_e32 v58, v44, v80
	v_lshlrev_b64 v[58:59], 3, v[58:59]
	v_add_co_u32_e32 v58, vcc, s78, v58
	v_addc_co_u32_e32 v59, vcc, v48, v59, vcc
	global_store_dwordx2 v[58:59], v[37:38], off
	s_or_b64 exec, exec, s[58:59]
	v_cmp_lt_u32_e64 s[58:59], v81, v174
	s_and_saveexec_b64 s[60:61], s[58:59]
	s_cbranch_execz .LBB709_775
.LBB709_843:                            ;   in Loop: Header=BB709_686 Depth=2
	ds_read_b64 v[37:38], v104 offset:16896
	v_mov_b32_e32 v48, s79
	s_waitcnt lgkmcnt(0)
	v_lshrrev_b64 v[58:59], s7, v[37:38]
	v_mov_b32_e32 v59, v3
	v_and_b32_e32 v44, s98, v58
	v_lshlrev_b32_e32 v44, 2, v44
	ds_read_b32 v44, v44
	v_xor_b32_e32 v38, 0x7fffffff, v38
	v_not_b32_e32 v37, v37
	s_waitcnt lgkmcnt(0)
	v_add_u32_e32 v58, v44, v81
	v_lshlrev_b64 v[58:59], 3, v[58:59]
	v_add_co_u32_e32 v58, vcc, s78, v58
	v_addc_co_u32_e32 v59, vcc, v48, v59, vcc
	global_store_dwordx2 v[58:59], v[37:38], off
	s_or_b64 exec, exec, s[60:61]
	v_cmp_lt_u32_e64 s[60:61], v82, v174
	s_and_saveexec_b64 s[62:63], s[60:61]
	s_cbranch_execz .LBB709_776
.LBB709_844:                            ;   in Loop: Header=BB709_686 Depth=2
	ds_read_b64 v[37:38], v104 offset:18944
	v_mov_b32_e32 v48, s79
	s_waitcnt lgkmcnt(0)
	v_lshrrev_b64 v[58:59], s7, v[37:38]
	v_mov_b32_e32 v59, v3
	v_and_b32_e32 v44, s98, v58
	v_lshlrev_b32_e32 v44, 2, v44
	ds_read_b32 v44, v44
	v_xor_b32_e32 v38, 0x7fffffff, v38
	v_not_b32_e32 v37, v37
	s_waitcnt lgkmcnt(0)
	v_add_u32_e32 v58, v44, v82
	v_lshlrev_b64 v[58:59], 3, v[58:59]
	v_add_co_u32_e32 v58, vcc, s78, v58
	v_addc_co_u32_e32 v59, vcc, v48, v59, vcc
	global_store_dwordx2 v[58:59], v[37:38], off
	s_or_b64 exec, exec, s[62:63]
	v_cmp_lt_u32_e64 s[62:63], v83, v174
	s_and_saveexec_b64 s[64:65], s[62:63]
	s_cbranch_execz .LBB709_777
.LBB709_845:                            ;   in Loop: Header=BB709_686 Depth=2
	ds_read_b64 v[37:38], v104 offset:20992
	v_mov_b32_e32 v48, s79
	s_waitcnt lgkmcnt(0)
	v_lshrrev_b64 v[58:59], s7, v[37:38]
	v_mov_b32_e32 v59, v3
	v_and_b32_e32 v44, s98, v58
	v_lshlrev_b32_e32 v44, 2, v44
	ds_read_b32 v44, v44
	v_xor_b32_e32 v38, 0x7fffffff, v38
	v_not_b32_e32 v37, v37
	s_waitcnt lgkmcnt(0)
	v_add_u32_e32 v58, v44, v83
	v_lshlrev_b64 v[58:59], 3, v[58:59]
	v_add_co_u32_e32 v58, vcc, s78, v58
	v_addc_co_u32_e32 v59, vcc, v48, v59, vcc
	global_store_dwordx2 v[58:59], v[37:38], off
	s_or_b64 exec, exec, s[64:65]
	v_cmp_lt_u32_e64 s[64:65], v84, v174
	s_and_saveexec_b64 s[66:67], s[64:65]
	s_cbranch_execz .LBB709_778
.LBB709_846:                            ;   in Loop: Header=BB709_686 Depth=2
	ds_read_b64 v[37:38], v104 offset:23040
	v_mov_b32_e32 v48, s79
	s_waitcnt lgkmcnt(0)
	v_lshrrev_b64 v[58:59], s7, v[37:38]
	v_mov_b32_e32 v59, v3
	v_and_b32_e32 v44, s98, v58
	v_lshlrev_b32_e32 v44, 2, v44
	ds_read_b32 v44, v44
	v_xor_b32_e32 v38, 0x7fffffff, v38
	v_not_b32_e32 v37, v37
	s_waitcnt lgkmcnt(0)
	v_add_u32_e32 v58, v44, v84
	v_lshlrev_b64 v[58:59], 3, v[58:59]
	v_add_co_u32_e32 v58, vcc, s78, v58
	v_addc_co_u32_e32 v59, vcc, v48, v59, vcc
	global_store_dwordx2 v[58:59], v[37:38], off
	s_or_b64 exec, exec, s[66:67]
	v_cmp_lt_u32_e64 s[66:67], v85, v174
	s_and_saveexec_b64 s[68:69], s[66:67]
	s_cbranch_execz .LBB709_779
.LBB709_847:                            ;   in Loop: Header=BB709_686 Depth=2
	ds_read_b64 v[37:38], v104 offset:25088
	v_mov_b32_e32 v48, s79
	s_waitcnt lgkmcnt(0)
	v_lshrrev_b64 v[58:59], s7, v[37:38]
	v_mov_b32_e32 v59, v3
	v_and_b32_e32 v44, s98, v58
	v_lshlrev_b32_e32 v44, 2, v44
	ds_read_b32 v44, v44
	v_xor_b32_e32 v38, 0x7fffffff, v38
	v_not_b32_e32 v37, v37
	s_waitcnt lgkmcnt(0)
	v_add_u32_e32 v58, v44, v85
	v_lshlrev_b64 v[58:59], 3, v[58:59]
	v_add_co_u32_e32 v58, vcc, s78, v58
	v_addc_co_u32_e32 v59, vcc, v48, v59, vcc
	global_store_dwordx2 v[58:59], v[37:38], off
	s_or_b64 exec, exec, s[68:69]
	v_cmp_lt_u32_e64 s[68:69], v86, v174
	s_and_saveexec_b64 s[70:71], s[68:69]
	s_cbranch_execz .LBB709_780
.LBB709_848:                            ;   in Loop: Header=BB709_686 Depth=2
	ds_read_b64 v[37:38], v104 offset:27136
	v_mov_b32_e32 v48, s79
	s_waitcnt lgkmcnt(0)
	v_lshrrev_b64 v[58:59], s7, v[37:38]
	v_mov_b32_e32 v59, v3
	v_and_b32_e32 v44, s98, v58
	v_lshlrev_b32_e32 v44, 2, v44
	ds_read_b32 v44, v44
	v_xor_b32_e32 v38, 0x7fffffff, v38
	v_not_b32_e32 v37, v37
	s_waitcnt lgkmcnt(0)
	v_add_u32_e32 v58, v44, v86
	v_lshlrev_b64 v[58:59], 3, v[58:59]
	v_add_co_u32_e32 v58, vcc, s78, v58
	v_addc_co_u32_e32 v59, vcc, v48, v59, vcc
	global_store_dwordx2 v[58:59], v[37:38], off
	s_or_b64 exec, exec, s[70:71]
	v_cmp_lt_u32_e64 s[70:71], v87, v174
	s_and_saveexec_b64 s[72:73], s[70:71]
	s_cbranch_execz .LBB709_781
.LBB709_849:                            ;   in Loop: Header=BB709_686 Depth=2
	ds_read_b64 v[37:38], v104 offset:29184
	v_mov_b32_e32 v48, s79
	s_waitcnt lgkmcnt(0)
	v_lshrrev_b64 v[58:59], s7, v[37:38]
	v_mov_b32_e32 v59, v3
	v_and_b32_e32 v44, s98, v58
	v_lshlrev_b32_e32 v44, 2, v44
	ds_read_b32 v44, v44
	v_xor_b32_e32 v38, 0x7fffffff, v38
	v_not_b32_e32 v37, v37
	s_waitcnt lgkmcnt(0)
	v_add_u32_e32 v58, v44, v87
	v_lshlrev_b64 v[58:59], 3, v[58:59]
	v_add_co_u32_e32 v58, vcc, s78, v58
	v_addc_co_u32_e32 v59, vcc, v48, v59, vcc
	global_store_dwordx2 v[58:59], v[37:38], off
	s_or_b64 exec, exec, s[72:73]
	v_cmp_lt_u32_e64 s[72:73], v88, v174
	s_and_saveexec_b64 s[82:83], s[72:73]
	s_cbranch_execnz .LBB709_782
	s_branch .LBB709_783
.LBB709_850:                            ;   in Loop: Header=BB709_686 Depth=2
	global_load_dwordx2 v[35:36], v[37:38], off
	s_or_b64 exec, exec, s[82:83]
	v_cmp_lt_u32_e32 vcc, v154, v174
	s_and_saveexec_b64 s[82:83], vcc
	s_cbranch_execz .LBB709_785
.LBB709_851:                            ;   in Loop: Header=BB709_686 Depth=2
	global_load_dwordx2 v[33:34], v[37:38], off offset:512
	s_or_b64 exec, exec, s[82:83]
	v_cmp_lt_u32_e32 vcc, v155, v174
	s_and_saveexec_b64 s[82:83], vcc
	s_cbranch_execz .LBB709_786
.LBB709_852:                            ;   in Loop: Header=BB709_686 Depth=2
	global_load_dwordx2 v[31:32], v[37:38], off offset:1024
	s_or_b64 exec, exec, s[82:83]
	v_cmp_lt_u32_e32 vcc, v156, v174
	s_and_saveexec_b64 s[82:83], vcc
	s_cbranch_execz .LBB709_787
.LBB709_853:                            ;   in Loop: Header=BB709_686 Depth=2
	global_load_dwordx2 v[27:28], v[37:38], off offset:1536
	s_or_b64 exec, exec, s[82:83]
	v_cmp_lt_u32_e32 vcc, v157, v174
	s_and_saveexec_b64 s[82:83], vcc
	s_cbranch_execz .LBB709_788
.LBB709_854:                            ;   in Loop: Header=BB709_686 Depth=2
	global_load_dwordx2 v[23:24], v[37:38], off offset:2048
	s_or_b64 exec, exec, s[82:83]
	v_cmp_lt_u32_e32 vcc, v158, v174
	s_and_saveexec_b64 s[82:83], vcc
	s_cbranch_execz .LBB709_789
.LBB709_855:                            ;   in Loop: Header=BB709_686 Depth=2
	global_load_dwordx2 v[19:20], v[37:38], off offset:2560
	s_or_b64 exec, exec, s[82:83]
	v_cmp_lt_u32_e32 vcc, v159, v174
	s_and_saveexec_b64 s[82:83], vcc
	s_cbranch_execz .LBB709_790
.LBB709_856:                            ;   in Loop: Header=BB709_686 Depth=2
	global_load_dwordx2 v[15:16], v[37:38], off offset:3072
	s_or_b64 exec, exec, s[82:83]
	v_cmp_lt_u32_e32 vcc, v160, v174
	s_and_saveexec_b64 s[82:83], vcc
	s_cbranch_execz .LBB709_791
.LBB709_857:                            ;   in Loop: Header=BB709_686 Depth=2
	global_load_dwordx2 v[11:12], v[37:38], off offset:3584
	s_or_b64 exec, exec, s[82:83]
	v_cmp_lt_u32_e32 vcc, v161, v174
	s_and_saveexec_b64 s[82:83], vcc
	s_cbranch_execz .LBB709_792
.LBB709_858:                            ;   in Loop: Header=BB709_686 Depth=2
	v_add_co_u32_e32 v29, vcc, 0x1000, v37
	v_addc_co_u32_e32 v30, vcc, 0, v38, vcc
	global_load_dwordx2 v[29:30], v[29:30], off
	s_or_b64 exec, exec, s[82:83]
	v_cmp_lt_u32_e32 vcc, v162, v174
	s_and_saveexec_b64 s[82:83], vcc
	s_cbranch_execz .LBB709_793
.LBB709_859:                            ;   in Loop: Header=BB709_686 Depth=2
	v_add_co_u32_e32 v25, vcc, 0x1000, v37
	v_addc_co_u32_e32 v26, vcc, 0, v38, vcc
	global_load_dwordx2 v[25:26], v[25:26], off offset:512
	s_or_b64 exec, exec, s[82:83]
	v_cmp_lt_u32_e32 vcc, v163, v174
	s_and_saveexec_b64 s[82:83], vcc
	s_cbranch_execz .LBB709_794
.LBB709_860:                            ;   in Loop: Header=BB709_686 Depth=2
	v_add_co_u32_e32 v21, vcc, 0x1000, v37
	v_addc_co_u32_e32 v22, vcc, 0, v38, vcc
	global_load_dwordx2 v[21:22], v[21:22], off offset:1024
	s_or_b64 exec, exec, s[82:83]
	v_cmp_lt_u32_e32 vcc, v164, v174
	s_and_saveexec_b64 s[82:83], vcc
	s_cbranch_execz .LBB709_795
.LBB709_861:                            ;   in Loop: Header=BB709_686 Depth=2
	v_add_co_u32_e32 v17, vcc, 0x1000, v37
	v_addc_co_u32_e32 v18, vcc, 0, v38, vcc
	global_load_dwordx2 v[17:18], v[17:18], off offset:1536
	s_or_b64 exec, exec, s[82:83]
	v_cmp_lt_u32_e32 vcc, v165, v174
	s_and_saveexec_b64 s[82:83], vcc
	s_cbranch_execz .LBB709_796
.LBB709_862:                            ;   in Loop: Header=BB709_686 Depth=2
	v_add_co_u32_e32 v13, vcc, 0x1000, v37
	v_addc_co_u32_e32 v14, vcc, 0, v38, vcc
	global_load_dwordx2 v[13:14], v[13:14], off offset:2048
	s_or_b64 exec, exec, s[82:83]
	v_cmp_lt_u32_e32 vcc, v166, v174
	s_and_saveexec_b64 s[82:83], vcc
	s_cbranch_execz .LBB709_797
.LBB709_863:                            ;   in Loop: Header=BB709_686 Depth=2
	v_add_co_u32_e32 v9, vcc, 0x1000, v37
	v_addc_co_u32_e32 v10, vcc, 0, v38, vcc
	global_load_dwordx2 v[9:10], v[9:10], off offset:2560
	s_or_b64 exec, exec, s[82:83]
	v_cmp_lt_u32_e32 vcc, v167, v174
	s_and_saveexec_b64 s[82:83], vcc
	s_cbranch_execz .LBB709_798
.LBB709_864:                            ;   in Loop: Header=BB709_686 Depth=2
	v_add_co_u32_e32 v7, vcc, 0x1000, v37
	v_addc_co_u32_e32 v8, vcc, 0, v38, vcc
	global_load_dwordx2 v[7:8], v[7:8], off offset:3072
	s_or_b64 exec, exec, s[82:83]
	v_cmp_lt_u32_e32 vcc, v168, v174
	s_and_saveexec_b64 s[82:83], vcc
	s_cbranch_execz .LBB709_799
.LBB709_865:                            ;   in Loop: Header=BB709_686 Depth=2
	v_add_co_u32_e32 v5, vcc, 0x1000, v37
	v_addc_co_u32_e32 v6, vcc, 0, v38, vcc
	global_load_dwordx2 v[5:6], v[5:6], off offset:3584
	s_or_b64 exec, exec, s[82:83]
	s_and_saveexec_b64 s[82:83], s[42:43]
	s_cbranch_execz .LBB709_800
.LBB709_866:                            ;   in Loop: Header=BB709_686 Depth=2
	ds_read_b64 v[37:38], v104 offset:512
	s_waitcnt lgkmcnt(0)
	v_lshrrev_b64 v[37:38], s7, v[37:38]
	v_and_b32_e32 v150, s98, v37
	s_or_b64 exec, exec, s[82:83]
	s_and_saveexec_b64 s[82:83], s[44:45]
	s_cbranch_execz .LBB709_801
.LBB709_867:                            ;   in Loop: Header=BB709_686 Depth=2
	ds_read_b64 v[37:38], v104 offset:2560
	s_waitcnt lgkmcnt(0)
	v_lshrrev_b64 v[37:38], s7, v[37:38]
	v_and_b32_e32 v149, s98, v37
	s_or_b64 exec, exec, s[82:83]
	s_and_saveexec_b64 s[82:83], s[46:47]
	s_cbranch_execz .LBB709_802
.LBB709_868:                            ;   in Loop: Header=BB709_686 Depth=2
	ds_read_b64 v[37:38], v104 offset:4608
	s_waitcnt lgkmcnt(0)
	v_lshrrev_b64 v[37:38], s7, v[37:38]
	v_and_b32_e32 v148, s98, v37
	s_or_b64 exec, exec, s[82:83]
	s_and_saveexec_b64 s[82:83], s[48:49]
	s_cbranch_execz .LBB709_803
.LBB709_869:                            ;   in Loop: Header=BB709_686 Depth=2
	ds_read_b64 v[37:38], v104 offset:6656
	s_waitcnt lgkmcnt(0)
	v_lshrrev_b64 v[37:38], s7, v[37:38]
	v_and_b32_e32 v147, s98, v37
	s_or_b64 exec, exec, s[82:83]
	s_and_saveexec_b64 s[82:83], s[50:51]
	s_cbranch_execz .LBB709_804
.LBB709_870:                            ;   in Loop: Header=BB709_686 Depth=2
	ds_read_b64 v[37:38], v104 offset:8704
	s_waitcnt lgkmcnt(0)
	v_lshrrev_b64 v[37:38], s7, v[37:38]
	v_and_b32_e32 v146, s98, v37
	s_or_b64 exec, exec, s[82:83]
	s_and_saveexec_b64 s[82:83], s[52:53]
	s_cbranch_execz .LBB709_805
.LBB709_871:                            ;   in Loop: Header=BB709_686 Depth=2
	ds_read_b64 v[37:38], v104 offset:10752
	s_waitcnt lgkmcnt(0)
	v_lshrrev_b64 v[37:38], s7, v[37:38]
	v_and_b32_e32 v145, s98, v37
	s_or_b64 exec, exec, s[82:83]
	s_and_saveexec_b64 s[82:83], s[54:55]
	s_cbranch_execz .LBB709_806
.LBB709_872:                            ;   in Loop: Header=BB709_686 Depth=2
	ds_read_b64 v[37:38], v104 offset:12800
	s_waitcnt lgkmcnt(0)
	v_lshrrev_b64 v[37:38], s7, v[37:38]
	v_and_b32_e32 v144, s98, v37
	s_or_b64 exec, exec, s[82:83]
	s_and_saveexec_b64 s[82:83], s[56:57]
	s_cbranch_execz .LBB709_807
.LBB709_873:                            ;   in Loop: Header=BB709_686 Depth=2
	ds_read_b64 v[37:38], v104 offset:14848
	s_waitcnt lgkmcnt(0)
	v_lshrrev_b64 v[37:38], s7, v[37:38]
	v_and_b32_e32 v143, s98, v37
	s_or_b64 exec, exec, s[82:83]
	s_and_saveexec_b64 s[82:83], s[58:59]
	s_cbranch_execz .LBB709_808
.LBB709_874:                            ;   in Loop: Header=BB709_686 Depth=2
	ds_read_b64 v[37:38], v104 offset:16896
	s_waitcnt lgkmcnt(0)
	v_lshrrev_b64 v[37:38], s7, v[37:38]
	v_and_b32_e32 v142, s98, v37
	s_or_b64 exec, exec, s[82:83]
	s_and_saveexec_b64 s[82:83], s[60:61]
	s_cbranch_execz .LBB709_809
.LBB709_875:                            ;   in Loop: Header=BB709_686 Depth=2
	ds_read_b64 v[37:38], v104 offset:18944
	s_waitcnt lgkmcnt(0)
	v_lshrrev_b64 v[37:38], s7, v[37:38]
	v_and_b32_e32 v141, s98, v37
	s_or_b64 exec, exec, s[82:83]
	s_and_saveexec_b64 s[82:83], s[62:63]
	s_cbranch_execz .LBB709_810
.LBB709_876:                            ;   in Loop: Header=BB709_686 Depth=2
	ds_read_b64 v[37:38], v104 offset:20992
	s_waitcnt lgkmcnt(0)
	v_lshrrev_b64 v[37:38], s7, v[37:38]
	v_and_b32_e32 v140, s98, v37
	s_or_b64 exec, exec, s[82:83]
	s_and_saveexec_b64 s[82:83], s[64:65]
	s_cbranch_execz .LBB709_811
.LBB709_877:                            ;   in Loop: Header=BB709_686 Depth=2
	ds_read_b64 v[37:38], v104 offset:23040
	s_waitcnt lgkmcnt(0)
	v_lshrrev_b64 v[37:38], s7, v[37:38]
	v_and_b32_e32 v139, s98, v37
	s_or_b64 exec, exec, s[82:83]
	s_and_saveexec_b64 s[82:83], s[66:67]
	s_cbranch_execz .LBB709_812
.LBB709_878:                            ;   in Loop: Header=BB709_686 Depth=2
	ds_read_b64 v[37:38], v104 offset:25088
	s_waitcnt lgkmcnt(0)
	v_lshrrev_b64 v[37:38], s7, v[37:38]
	v_and_b32_e32 v138, s98, v37
	s_or_b64 exec, exec, s[82:83]
	s_and_saveexec_b64 s[82:83], s[68:69]
	s_cbranch_execz .LBB709_813
.LBB709_879:                            ;   in Loop: Header=BB709_686 Depth=2
	ds_read_b64 v[37:38], v104 offset:27136
	s_waitcnt lgkmcnt(0)
	v_lshrrev_b64 v[37:38], s7, v[37:38]
	v_and_b32_e32 v137, s98, v37
	s_or_b64 exec, exec, s[82:83]
	s_and_saveexec_b64 s[82:83], s[70:71]
	s_cbranch_execz .LBB709_814
.LBB709_880:                            ;   in Loop: Header=BB709_686 Depth=2
	ds_read_b64 v[37:38], v104 offset:29184
	s_waitcnt lgkmcnt(0)
	v_lshrrev_b64 v[37:38], s7, v[37:38]
	v_and_b32_e32 v136, s98, v37
	s_or_b64 exec, exec, s[82:83]
	s_and_saveexec_b64 s[82:83], s[72:73]
	s_cbranch_execnz .LBB709_815
	s_branch .LBB709_816
.LBB709_881:                            ;   in Loop: Header=BB709_686 Depth=2
	v_lshlrev_b32_e32 v37, 2, v150
	ds_read_b32 v39, v37
	ds_read_b64 v[37:38], v104 offset:512
	v_mov_b32_e32 v40, v3
	v_mov_b32_e32 v41, s85
	s_waitcnt lgkmcnt(1)
	v_add_u32_e32 v39, v39, v0
	v_lshlrev_b64 v[39:40], 3, v[39:40]
	v_add_co_u32_e32 v39, vcc, s84, v39
	v_addc_co_u32_e32 v40, vcc, v41, v40, vcc
	s_waitcnt lgkmcnt(0)
	global_store_dwordx2 v[39:40], v[37:38], off
	s_or_b64 exec, exec, s[82:83]
	s_and_saveexec_b64 s[42:43], s[44:45]
	s_cbranch_execz .LBB709_818
.LBB709_882:                            ;   in Loop: Header=BB709_686 Depth=2
	v_lshlrev_b32_e32 v37, 2, v149
	ds_read_b32 v39, v37
	ds_read_b64 v[37:38], v104 offset:2560
	v_mov_b32_e32 v40, v3
	v_mov_b32_e32 v41, s85
	s_waitcnt lgkmcnt(1)
	v_add_u32_e32 v39, v39, v72
	v_lshlrev_b64 v[39:40], 3, v[39:40]
	v_add_co_u32_e32 v39, vcc, s84, v39
	v_addc_co_u32_e32 v40, vcc, v41, v40, vcc
	s_waitcnt lgkmcnt(0)
	global_store_dwordx2 v[39:40], v[37:38], off
	s_or_b64 exec, exec, s[42:43]
	s_and_saveexec_b64 s[42:43], s[46:47]
	s_cbranch_execz .LBB709_819
.LBB709_883:                            ;   in Loop: Header=BB709_686 Depth=2
	v_lshlrev_b32_e32 v37, 2, v148
	ds_read_b32 v39, v37
	ds_read_b64 v[37:38], v104 offset:4608
	v_mov_b32_e32 v40, v3
	v_mov_b32_e32 v41, s85
	s_waitcnt lgkmcnt(1)
	v_add_u32_e32 v39, v39, v75
	v_lshlrev_b64 v[39:40], 3, v[39:40]
	v_add_co_u32_e32 v39, vcc, s84, v39
	v_addc_co_u32_e32 v40, vcc, v41, v40, vcc
	s_waitcnt lgkmcnt(0)
	global_store_dwordx2 v[39:40], v[37:38], off
	s_or_b64 exec, exec, s[42:43]
	s_and_saveexec_b64 s[42:43], s[48:49]
	s_cbranch_execz .LBB709_820
.LBB709_884:                            ;   in Loop: Header=BB709_686 Depth=2
	v_lshlrev_b32_e32 v37, 2, v147
	ds_read_b32 v39, v37
	ds_read_b64 v[37:38], v104 offset:6656
	v_mov_b32_e32 v40, v3
	v_mov_b32_e32 v41, s85
	s_waitcnt lgkmcnt(1)
	v_add_u32_e32 v39, v39, v76
	v_lshlrev_b64 v[39:40], 3, v[39:40]
	v_add_co_u32_e32 v39, vcc, s84, v39
	v_addc_co_u32_e32 v40, vcc, v41, v40, vcc
	s_waitcnt lgkmcnt(0)
	global_store_dwordx2 v[39:40], v[37:38], off
	s_or_b64 exec, exec, s[42:43]
	s_and_saveexec_b64 s[42:43], s[50:51]
	s_cbranch_execz .LBB709_821
.LBB709_885:                            ;   in Loop: Header=BB709_686 Depth=2
	v_lshlrev_b32_e32 v37, 2, v146
	ds_read_b32 v39, v37
	ds_read_b64 v[37:38], v104 offset:8704
	v_mov_b32_e32 v40, v3
	v_mov_b32_e32 v41, s85
	s_waitcnt lgkmcnt(1)
	v_add_u32_e32 v39, v39, v77
	v_lshlrev_b64 v[39:40], 3, v[39:40]
	v_add_co_u32_e32 v39, vcc, s84, v39
	v_addc_co_u32_e32 v40, vcc, v41, v40, vcc
	s_waitcnt lgkmcnt(0)
	global_store_dwordx2 v[39:40], v[37:38], off
	s_or_b64 exec, exec, s[42:43]
	s_and_saveexec_b64 s[42:43], s[52:53]
	s_cbranch_execz .LBB709_822
.LBB709_886:                            ;   in Loop: Header=BB709_686 Depth=2
	v_lshlrev_b32_e32 v37, 2, v145
	ds_read_b32 v39, v37
	ds_read_b64 v[37:38], v104 offset:10752
	v_mov_b32_e32 v40, v3
	v_mov_b32_e32 v41, s85
	s_waitcnt lgkmcnt(1)
	v_add_u32_e32 v39, v39, v78
	v_lshlrev_b64 v[39:40], 3, v[39:40]
	v_add_co_u32_e32 v39, vcc, s84, v39
	v_addc_co_u32_e32 v40, vcc, v41, v40, vcc
	s_waitcnt lgkmcnt(0)
	global_store_dwordx2 v[39:40], v[37:38], off
	s_or_b64 exec, exec, s[42:43]
	s_and_saveexec_b64 s[42:43], s[54:55]
	s_cbranch_execz .LBB709_823
.LBB709_887:                            ;   in Loop: Header=BB709_686 Depth=2
	v_lshlrev_b32_e32 v37, 2, v144
	ds_read_b32 v39, v37
	ds_read_b64 v[37:38], v104 offset:12800
	v_mov_b32_e32 v40, v3
	v_mov_b32_e32 v41, s85
	s_waitcnt lgkmcnt(1)
	v_add_u32_e32 v39, v39, v79
	v_lshlrev_b64 v[39:40], 3, v[39:40]
	v_add_co_u32_e32 v39, vcc, s84, v39
	v_addc_co_u32_e32 v40, vcc, v41, v40, vcc
	s_waitcnt lgkmcnt(0)
	global_store_dwordx2 v[39:40], v[37:38], off
	s_or_b64 exec, exec, s[42:43]
	s_and_saveexec_b64 s[42:43], s[56:57]
	s_cbranch_execz .LBB709_824
.LBB709_888:                            ;   in Loop: Header=BB709_686 Depth=2
	v_lshlrev_b32_e32 v37, 2, v143
	ds_read_b32 v39, v37
	ds_read_b64 v[37:38], v104 offset:14848
	v_mov_b32_e32 v40, v3
	v_mov_b32_e32 v41, s85
	s_waitcnt lgkmcnt(1)
	v_add_u32_e32 v39, v39, v80
	v_lshlrev_b64 v[39:40], 3, v[39:40]
	v_add_co_u32_e32 v39, vcc, s84, v39
	v_addc_co_u32_e32 v40, vcc, v41, v40, vcc
	s_waitcnt lgkmcnt(0)
	global_store_dwordx2 v[39:40], v[37:38], off
	s_or_b64 exec, exec, s[42:43]
	s_and_saveexec_b64 s[42:43], s[58:59]
	s_cbranch_execz .LBB709_825
.LBB709_889:                            ;   in Loop: Header=BB709_686 Depth=2
	v_lshlrev_b32_e32 v37, 2, v142
	ds_read_b32 v39, v37
	ds_read_b64 v[37:38], v104 offset:16896
	v_mov_b32_e32 v40, v3
	v_mov_b32_e32 v41, s85
	s_waitcnt lgkmcnt(1)
	v_add_u32_e32 v39, v39, v81
	v_lshlrev_b64 v[39:40], 3, v[39:40]
	v_add_co_u32_e32 v39, vcc, s84, v39
	v_addc_co_u32_e32 v40, vcc, v41, v40, vcc
	s_waitcnt lgkmcnt(0)
	global_store_dwordx2 v[39:40], v[37:38], off
	s_or_b64 exec, exec, s[42:43]
	s_and_saveexec_b64 s[42:43], s[60:61]
	s_cbranch_execz .LBB709_826
.LBB709_890:                            ;   in Loop: Header=BB709_686 Depth=2
	v_lshlrev_b32_e32 v37, 2, v141
	ds_read_b32 v39, v37
	ds_read_b64 v[37:38], v104 offset:18944
	v_mov_b32_e32 v40, v3
	v_mov_b32_e32 v41, s85
	s_waitcnt lgkmcnt(1)
	v_add_u32_e32 v39, v39, v82
	v_lshlrev_b64 v[39:40], 3, v[39:40]
	v_add_co_u32_e32 v39, vcc, s84, v39
	v_addc_co_u32_e32 v40, vcc, v41, v40, vcc
	s_waitcnt lgkmcnt(0)
	global_store_dwordx2 v[39:40], v[37:38], off
	s_or_b64 exec, exec, s[42:43]
	s_and_saveexec_b64 s[42:43], s[62:63]
	s_cbranch_execz .LBB709_827
.LBB709_891:                            ;   in Loop: Header=BB709_686 Depth=2
	v_lshlrev_b32_e32 v37, 2, v140
	ds_read_b32 v39, v37
	ds_read_b64 v[37:38], v104 offset:20992
	v_mov_b32_e32 v40, v3
	v_mov_b32_e32 v41, s85
	s_waitcnt lgkmcnt(1)
	v_add_u32_e32 v39, v39, v83
	v_lshlrev_b64 v[39:40], 3, v[39:40]
	v_add_co_u32_e32 v39, vcc, s84, v39
	v_addc_co_u32_e32 v40, vcc, v41, v40, vcc
	s_waitcnt lgkmcnt(0)
	global_store_dwordx2 v[39:40], v[37:38], off
	s_or_b64 exec, exec, s[42:43]
	s_and_saveexec_b64 s[42:43], s[64:65]
	s_cbranch_execz .LBB709_828
.LBB709_892:                            ;   in Loop: Header=BB709_686 Depth=2
	v_lshlrev_b32_e32 v37, 2, v139
	ds_read_b32 v39, v37
	ds_read_b64 v[37:38], v104 offset:23040
	v_mov_b32_e32 v40, v3
	v_mov_b32_e32 v41, s85
	s_waitcnt lgkmcnt(1)
	v_add_u32_e32 v39, v39, v84
	v_lshlrev_b64 v[39:40], 3, v[39:40]
	v_add_co_u32_e32 v39, vcc, s84, v39
	v_addc_co_u32_e32 v40, vcc, v41, v40, vcc
	s_waitcnt lgkmcnt(0)
	global_store_dwordx2 v[39:40], v[37:38], off
	s_or_b64 exec, exec, s[42:43]
	s_and_saveexec_b64 s[42:43], s[66:67]
	s_cbranch_execz .LBB709_829
.LBB709_893:                            ;   in Loop: Header=BB709_686 Depth=2
	v_lshlrev_b32_e32 v37, 2, v138
	ds_read_b32 v39, v37
	ds_read_b64 v[37:38], v104 offset:25088
	v_mov_b32_e32 v40, v3
	v_mov_b32_e32 v41, s85
	s_waitcnt lgkmcnt(1)
	v_add_u32_e32 v39, v39, v85
	v_lshlrev_b64 v[39:40], 3, v[39:40]
	v_add_co_u32_e32 v39, vcc, s84, v39
	v_addc_co_u32_e32 v40, vcc, v41, v40, vcc
	s_waitcnt lgkmcnt(0)
	global_store_dwordx2 v[39:40], v[37:38], off
	s_or_b64 exec, exec, s[42:43]
	s_and_saveexec_b64 s[42:43], s[68:69]
	s_cbranch_execz .LBB709_830
.LBB709_894:                            ;   in Loop: Header=BB709_686 Depth=2
	v_lshlrev_b32_e32 v37, 2, v137
	ds_read_b32 v39, v37
	ds_read_b64 v[37:38], v104 offset:27136
	v_mov_b32_e32 v40, v3
	v_mov_b32_e32 v41, s85
	s_waitcnt lgkmcnt(1)
	v_add_u32_e32 v39, v39, v86
	v_lshlrev_b64 v[39:40], 3, v[39:40]
	v_add_co_u32_e32 v39, vcc, s84, v39
	v_addc_co_u32_e32 v40, vcc, v41, v40, vcc
	s_waitcnt lgkmcnt(0)
	global_store_dwordx2 v[39:40], v[37:38], off
	s_or_b64 exec, exec, s[42:43]
	s_and_saveexec_b64 s[42:43], s[70:71]
	s_cbranch_execz .LBB709_831
.LBB709_895:                            ;   in Loop: Header=BB709_686 Depth=2
	v_lshlrev_b32_e32 v37, 2, v136
	ds_read_b32 v39, v37
	ds_read_b64 v[37:38], v104 offset:29184
	v_mov_b32_e32 v40, v3
	v_mov_b32_e32 v41, s85
	s_waitcnt lgkmcnt(1)
	v_add_u32_e32 v39, v39, v87
	v_lshlrev_b64 v[39:40], 3, v[39:40]
	v_add_co_u32_e32 v39, vcc, s84, v39
	v_addc_co_u32_e32 v40, vcc, v41, v40, vcc
	s_waitcnt lgkmcnt(0)
	global_store_dwordx2 v[39:40], v[37:38], off
	s_or_b64 exec, exec, s[42:43]
	s_and_saveexec_b64 s[42:43], s[72:73]
	s_cbranch_execnz .LBB709_832
	s_branch .LBB709_833
.LBB709_896:                            ;   in Loop: Header=BB709_12 Depth=1
	s_waitcnt lgkmcnt(0)
	s_barrier
	s_mov_b64 s[22:23], 0
.LBB709_897:                            ;   in Loop: Header=BB709_12 Depth=1
	s_and_b64 vcc, exec, s[22:23]
	s_cbranch_vccz .LBB709_11
; %bb.898:                              ;   in Loop: Header=BB709_12 Depth=1
	s_mov_b32 s8, s33
	s_mov_b32 s92, s96
	s_barrier
                                        ; implicit-def: $vgpr5_vgpr6
                                        ; implicit-def: $vgpr7_vgpr8
                                        ; implicit-def: $vgpr9_vgpr10
                                        ; implicit-def: $vgpr11_vgpr12
                                        ; implicit-def: $vgpr13_vgpr14
                                        ; implicit-def: $vgpr15_vgpr16
                                        ; implicit-def: $vgpr17_vgpr18
                                        ; implicit-def: $vgpr19_vgpr20
                                        ; implicit-def: $vgpr21_vgpr22
                                        ; implicit-def: $vgpr23_vgpr24
                                        ; implicit-def: $vgpr25_vgpr26
                                        ; implicit-def: $vgpr27_vgpr28
                                        ; implicit-def: $vgpr29_vgpr30
                                        ; implicit-def: $vgpr31_vgpr32
                                        ; implicit-def: $vgpr33_vgpr34
                                        ; implicit-def: $vgpr35_vgpr36
	s_branch .LBB709_900
.LBB709_899:                            ;   in Loop: Header=BB709_900 Depth=2
	s_or_b64 exec, exec, s[22:23]
	s_addk_i32 s8, 0xf000
	s_cmp_ge_u32 s9, s97
	s_mov_b32 s92, s9
	s_cbranch_scc1 .LBB709_968
.LBB709_900:                            ;   Parent Loop BB709_12 Depth=1
                                        ; =>  This Inner Loop Header: Depth=2
	s_add_i32 s9, s92, 0x1000
	s_cmp_gt_u32 s9, s97
	s_mov_b64 s[22:23], -1
                                        ; implicit-def: $vgpr37_vgpr38
                                        ; implicit-def: $vgpr39_vgpr40
                                        ; implicit-def: $vgpr41_vgpr42
                                        ; implicit-def: $vgpr43_vgpr44
                                        ; implicit-def: $vgpr45_vgpr46
                                        ; implicit-def: $vgpr47_vgpr48
                                        ; implicit-def: $vgpr49_vgpr50
                                        ; implicit-def: $vgpr51_vgpr52
                                        ; implicit-def: $vgpr53_vgpr54
                                        ; implicit-def: $vgpr55_vgpr56
                                        ; implicit-def: $vgpr57_vgpr58
                                        ; implicit-def: $vgpr59_vgpr60
                                        ; implicit-def: $vgpr61_vgpr62
                                        ; implicit-def: $vgpr63_vgpr64
                                        ; implicit-def: $vgpr65_vgpr66
                                        ; implicit-def: $vgpr67_vgpr68
	s_cbranch_scc1 .LBB709_902
; %bb.901:                              ;   in Loop: Header=BB709_900 Depth=2
	s_lshl_b64 s[22:23], s[92:93], 3
	v_mov_b32_e32 v37, s23
	v_add_co_u32_e32 v61, vcc, s22, v111
	v_addc_co_u32_e32 v62, vcc, v112, v37, vcc
	v_add_co_u32_e32 v45, vcc, 0x1000, v61
	v_addc_co_u32_e32 v46, vcc, 0, v62, vcc
	;; [unrolled: 2-line block ×6, first 2 shown]
	global_load_dwordx2 v[37:38], v[61:62], off
	global_load_dwordx2 v[39:40], v[61:62], off offset:2048
	global_load_dwordx2 v[41:42], v[45:46], off
	global_load_dwordx2 v[43:44], v[45:46], off offset:2048
	s_nop 0
	global_load_dwordx2 v[45:46], v[53:54], off
	global_load_dwordx2 v[47:48], v[53:54], off offset:2048
	global_load_dwordx2 v[49:50], v[55:56], off
	global_load_dwordx2 v[51:52], v[55:56], off offset:2048
	s_nop 0
	global_load_dwordx2 v[53:54], v[59:60], off
	global_load_dwordx2 v[55:56], v[59:60], off offset:2048
	global_load_dwordx2 v[57:58], v[63:64], off
                                        ; kill: killed $vgpr59 killed $vgpr60
	s_nop 0
	global_load_dwordx2 v[59:60], v[63:64], off offset:2048
	v_add_co_u32_e32 v63, vcc, 0x6000, v61
	v_addc_co_u32_e32 v64, vcc, 0, v62, vcc
	v_add_co_u32_e32 v67, vcc, 0x7000, v61
	v_addc_co_u32_e32 v68, vcc, 0, v62, vcc
	global_load_dwordx2 v[61:62], v[63:64], off
	s_nop 0
	global_load_dwordx2 v[63:64], v[63:64], off offset:2048
	s_nop 0
	global_load_dwordx2 v[65:66], v[67:68], off
	s_nop 0
	global_load_dwordx2 v[67:68], v[67:68], off offset:2048
	s_mov_b64 s[22:23], 0
.LBB709_902:                            ;   in Loop: Header=BB709_900 Depth=2
	s_andn2_b64 vcc, exec, s[22:23]
	s_movk_i32 s24, 0x1000
	s_cbranch_vccnz .LBB709_921
; %bb.903:                              ;   in Loop: Header=BB709_900 Depth=2
	s_lshl_b64 s[22:23], s[92:93], 3
	s_add_u32 s22, s76, s22
	s_addc_u32 s23, s77, s23
	v_cmp_gt_u32_e32 vcc, s8, v0
	s_and_saveexec_b64 s[24:25], vcc
	s_cbranch_execnz .LBB709_953
; %bb.904:                              ;   in Loop: Header=BB709_900 Depth=2
	s_or_b64 exec, exec, s[24:25]
	v_cmp_gt_u32_e32 vcc, s8, v72
	s_and_saveexec_b64 s[24:25], vcc
	s_cbranch_execnz .LBB709_954
.LBB709_905:                            ;   in Loop: Header=BB709_900 Depth=2
	s_or_b64 exec, exec, s[24:25]
	v_cmp_gt_u32_e32 vcc, s8, v75
	s_and_saveexec_b64 s[24:25], vcc
	s_cbranch_execnz .LBB709_955
.LBB709_906:                            ;   in Loop: Header=BB709_900 Depth=2
	s_or_b64 exec, exec, s[24:25]
	v_cmp_gt_u32_e32 vcc, s8, v76
	s_and_saveexec_b64 s[24:25], vcc
	s_cbranch_execnz .LBB709_956
.LBB709_907:                            ;   in Loop: Header=BB709_900 Depth=2
	s_or_b64 exec, exec, s[24:25]
	v_cmp_gt_u32_e32 vcc, s8, v77
	s_and_saveexec_b64 s[24:25], vcc
	s_cbranch_execnz .LBB709_957
.LBB709_908:                            ;   in Loop: Header=BB709_900 Depth=2
	s_or_b64 exec, exec, s[24:25]
	v_cmp_gt_u32_e32 vcc, s8, v78
	s_and_saveexec_b64 s[24:25], vcc
	s_cbranch_execnz .LBB709_958
.LBB709_909:                            ;   in Loop: Header=BB709_900 Depth=2
	s_or_b64 exec, exec, s[24:25]
	v_cmp_gt_u32_e32 vcc, s8, v79
	s_and_saveexec_b64 s[24:25], vcc
	s_cbranch_execnz .LBB709_959
.LBB709_910:                            ;   in Loop: Header=BB709_900 Depth=2
	s_or_b64 exec, exec, s[24:25]
	v_cmp_gt_u32_e32 vcc, s8, v80
	s_and_saveexec_b64 s[24:25], vcc
	s_cbranch_execnz .LBB709_960
.LBB709_911:                            ;   in Loop: Header=BB709_900 Depth=2
	s_or_b64 exec, exec, s[24:25]
	v_cmp_gt_u32_e32 vcc, s8, v81
	s_and_saveexec_b64 s[24:25], vcc
	s_cbranch_execnz .LBB709_961
.LBB709_912:                            ;   in Loop: Header=BB709_900 Depth=2
	s_or_b64 exec, exec, s[24:25]
	v_cmp_gt_u32_e32 vcc, s8, v82
	s_and_saveexec_b64 s[24:25], vcc
	s_cbranch_execnz .LBB709_962
.LBB709_913:                            ;   in Loop: Header=BB709_900 Depth=2
	s_or_b64 exec, exec, s[24:25]
	v_cmp_gt_u32_e32 vcc, s8, v83
	s_and_saveexec_b64 s[24:25], vcc
	s_cbranch_execnz .LBB709_963
.LBB709_914:                            ;   in Loop: Header=BB709_900 Depth=2
	s_or_b64 exec, exec, s[24:25]
	v_cmp_gt_u32_e32 vcc, s8, v84
	s_and_saveexec_b64 s[24:25], vcc
	s_cbranch_execnz .LBB709_964
.LBB709_915:                            ;   in Loop: Header=BB709_900 Depth=2
	s_or_b64 exec, exec, s[24:25]
	v_cmp_gt_u32_e32 vcc, s8, v85
	s_and_saveexec_b64 s[24:25], vcc
	s_cbranch_execnz .LBB709_965
.LBB709_916:                            ;   in Loop: Header=BB709_900 Depth=2
	s_or_b64 exec, exec, s[24:25]
	v_cmp_gt_u32_e32 vcc, s8, v86
	s_and_saveexec_b64 s[24:25], vcc
	s_cbranch_execnz .LBB709_966
.LBB709_917:                            ;   in Loop: Header=BB709_900 Depth=2
	s_or_b64 exec, exec, s[24:25]
	v_cmp_gt_u32_e32 vcc, s8, v87
	s_and_saveexec_b64 s[24:25], vcc
	s_cbranch_execnz .LBB709_967
.LBB709_918:                            ;   in Loop: Header=BB709_900 Depth=2
	s_or_b64 exec, exec, s[24:25]
	v_cmp_gt_u32_e32 vcc, s8, v88
	s_and_saveexec_b64 s[24:25], vcc
	s_cbranch_execz .LBB709_920
.LBB709_919:                            ;   in Loop: Header=BB709_900 Depth=2
	global_load_dwordx2 v[5:6], v132, s[22:23]
.LBB709_920:                            ;   in Loop: Header=BB709_900 Depth=2
	s_or_b64 exec, exec, s[24:25]
	s_waitcnt vmcnt(0)
	v_mov_b32_e32 v38, v36
	v_mov_b32_e32 v40, v34
	;; [unrolled: 1-line block ×16, first 2 shown]
	s_mov_b32 s24, s8
	v_mov_b32_e32 v37, v35
	v_mov_b32_e32 v39, v33
	;; [unrolled: 1-line block ×16, first 2 shown]
.LBB709_921:                            ;   in Loop: Header=BB709_900 Depth=2
	s_waitcnt vmcnt(0)
	v_mov_b32_e32 v5, v67
	v_mov_b32_e32 v7, v65
	v_mov_b32_e32 v9, v63
	v_mov_b32_e32 v11, v61
	v_mov_b32_e32 v13, v59
	v_mov_b32_e32 v15, v57
	v_mov_b32_e32 v17, v55
	v_mov_b32_e32 v19, v53
	v_mov_b32_e32 v21, v51
	v_mov_b32_e32 v23, v49
	v_mov_b32_e32 v25, v47
	v_mov_b32_e32 v27, v45
	v_mov_b32_e32 v29, v43
	v_mov_b32_e32 v31, v41
	v_mov_b32_e32 v33, v39
	v_mov_b32_e32 v35, v37
	v_mov_b32_e32 v6, v68
	v_mov_b32_e32 v8, v66
	v_mov_b32_e32 v10, v64
	v_mov_b32_e32 v12, v62
	v_mov_b32_e32 v14, v60
	v_mov_b32_e32 v16, v58
	v_mov_b32_e32 v18, v56
	v_mov_b32_e32 v20, v54
	v_mov_b32_e32 v22, v52
	v_mov_b32_e32 v24, v50
	v_mov_b32_e32 v26, v48
	v_mov_b32_e32 v28, v46
	v_mov_b32_e32 v30, v44
	v_mov_b32_e32 v32, v42
	v_mov_b32_e32 v34, v40
	v_mov_b32_e32 v36, v38
	v_cmp_gt_u32_e32 vcc, s24, v0
	s_and_saveexec_b64 s[22:23], vcc
	s_cbranch_execnz .LBB709_937
; %bb.922:                              ;   in Loop: Header=BB709_900 Depth=2
	s_or_b64 exec, exec, s[22:23]
	v_cmp_gt_u32_e32 vcc, s24, v72
	s_and_saveexec_b64 s[22:23], vcc
	s_cbranch_execnz .LBB709_938
.LBB709_923:                            ;   in Loop: Header=BB709_900 Depth=2
	s_or_b64 exec, exec, s[22:23]
	v_cmp_gt_u32_e32 vcc, s24, v75
	s_and_saveexec_b64 s[22:23], vcc
	s_cbranch_execnz .LBB709_939
.LBB709_924:                            ;   in Loop: Header=BB709_900 Depth=2
	s_or_b64 exec, exec, s[22:23]
	v_cmp_gt_u32_e32 vcc, s24, v76
	s_and_saveexec_b64 s[22:23], vcc
	s_cbranch_execnz .LBB709_940
.LBB709_925:                            ;   in Loop: Header=BB709_900 Depth=2
	s_or_b64 exec, exec, s[22:23]
	v_cmp_gt_u32_e32 vcc, s24, v77
	s_and_saveexec_b64 s[22:23], vcc
	s_cbranch_execnz .LBB709_941
.LBB709_926:                            ;   in Loop: Header=BB709_900 Depth=2
	s_or_b64 exec, exec, s[22:23]
	v_cmp_gt_u32_e32 vcc, s24, v78
	s_and_saveexec_b64 s[22:23], vcc
	s_cbranch_execnz .LBB709_942
.LBB709_927:                            ;   in Loop: Header=BB709_900 Depth=2
	s_or_b64 exec, exec, s[22:23]
	v_cmp_gt_u32_e32 vcc, s24, v79
	s_and_saveexec_b64 s[22:23], vcc
	s_cbranch_execnz .LBB709_943
.LBB709_928:                            ;   in Loop: Header=BB709_900 Depth=2
	s_or_b64 exec, exec, s[22:23]
	v_cmp_gt_u32_e32 vcc, s24, v80
	s_and_saveexec_b64 s[22:23], vcc
	s_cbranch_execnz .LBB709_944
.LBB709_929:                            ;   in Loop: Header=BB709_900 Depth=2
	s_or_b64 exec, exec, s[22:23]
	v_cmp_gt_u32_e32 vcc, s24, v81
	s_and_saveexec_b64 s[22:23], vcc
	s_cbranch_execnz .LBB709_945
.LBB709_930:                            ;   in Loop: Header=BB709_900 Depth=2
	s_or_b64 exec, exec, s[22:23]
	v_cmp_gt_u32_e32 vcc, s24, v82
	s_and_saveexec_b64 s[22:23], vcc
	s_cbranch_execnz .LBB709_946
.LBB709_931:                            ;   in Loop: Header=BB709_900 Depth=2
	s_or_b64 exec, exec, s[22:23]
	v_cmp_gt_u32_e32 vcc, s24, v83
	s_and_saveexec_b64 s[22:23], vcc
	s_cbranch_execnz .LBB709_947
.LBB709_932:                            ;   in Loop: Header=BB709_900 Depth=2
	s_or_b64 exec, exec, s[22:23]
	v_cmp_gt_u32_e32 vcc, s24, v84
	s_and_saveexec_b64 s[22:23], vcc
	s_cbranch_execnz .LBB709_948
.LBB709_933:                            ;   in Loop: Header=BB709_900 Depth=2
	s_or_b64 exec, exec, s[22:23]
	v_cmp_gt_u32_e32 vcc, s24, v85
	s_and_saveexec_b64 s[22:23], vcc
	s_cbranch_execnz .LBB709_949
.LBB709_934:                            ;   in Loop: Header=BB709_900 Depth=2
	s_or_b64 exec, exec, s[22:23]
	v_cmp_gt_u32_e32 vcc, s24, v86
	s_and_saveexec_b64 s[22:23], vcc
	s_cbranch_execnz .LBB709_950
.LBB709_935:                            ;   in Loop: Header=BB709_900 Depth=2
	s_or_b64 exec, exec, s[22:23]
	v_cmp_gt_u32_e32 vcc, s24, v87
	s_and_saveexec_b64 s[22:23], vcc
	s_cbranch_execnz .LBB709_951
.LBB709_936:                            ;   in Loop: Header=BB709_900 Depth=2
	s_or_b64 exec, exec, s[22:23]
	v_cmp_gt_u32_e32 vcc, s24, v88
	s_and_saveexec_b64 s[22:23], vcc
	s_cbranch_execz .LBB709_899
	s_branch .LBB709_952
.LBB709_937:                            ;   in Loop: Header=BB709_900 Depth=2
	v_xor_b32_e32 v38, 0x7fffffff, v36
	v_not_b32_e32 v37, v35
	v_lshrrev_b64 v[37:38], s7, v[37:38]
	v_and_b32_e32 v37, s98, v37
	v_lshl_or_b32 v37, v37, 4, v89
	ds_add_u32 v37, v117
	s_or_b64 exec, exec, s[22:23]
	v_cmp_gt_u32_e32 vcc, s24, v72
	s_and_saveexec_b64 s[22:23], vcc
	s_cbranch_execz .LBB709_923
.LBB709_938:                            ;   in Loop: Header=BB709_900 Depth=2
	v_xor_b32_e32 v38, 0x7fffffff, v34
	v_not_b32_e32 v37, v33
	v_lshrrev_b64 v[37:38], s7, v[37:38]
	v_and_b32_e32 v37, s98, v37
	v_lshl_or_b32 v37, v37, 4, v89
	ds_add_u32 v37, v117
	s_or_b64 exec, exec, s[22:23]
	v_cmp_gt_u32_e32 vcc, s24, v75
	s_and_saveexec_b64 s[22:23], vcc
	s_cbranch_execz .LBB709_924
.LBB709_939:                            ;   in Loop: Header=BB709_900 Depth=2
	v_xor_b32_e32 v38, 0x7fffffff, v32
	v_not_b32_e32 v37, v31
	v_lshrrev_b64 v[37:38], s7, v[37:38]
	v_and_b32_e32 v37, s98, v37
	v_lshl_or_b32 v37, v37, 4, v89
	ds_add_u32 v37, v117
	s_or_b64 exec, exec, s[22:23]
	v_cmp_gt_u32_e32 vcc, s24, v76
	s_and_saveexec_b64 s[22:23], vcc
	s_cbranch_execz .LBB709_925
.LBB709_940:                            ;   in Loop: Header=BB709_900 Depth=2
	v_xor_b32_e32 v38, 0x7fffffff, v30
	v_not_b32_e32 v37, v29
	v_lshrrev_b64 v[37:38], s7, v[37:38]
	v_and_b32_e32 v37, s98, v37
	v_lshl_or_b32 v37, v37, 4, v89
	ds_add_u32 v37, v117
	s_or_b64 exec, exec, s[22:23]
	v_cmp_gt_u32_e32 vcc, s24, v77
	s_and_saveexec_b64 s[22:23], vcc
	s_cbranch_execz .LBB709_926
.LBB709_941:                            ;   in Loop: Header=BB709_900 Depth=2
	v_xor_b32_e32 v38, 0x7fffffff, v28
	v_not_b32_e32 v37, v27
	v_lshrrev_b64 v[37:38], s7, v[37:38]
	v_and_b32_e32 v37, s98, v37
	v_lshl_or_b32 v37, v37, 4, v89
	ds_add_u32 v37, v117
	s_or_b64 exec, exec, s[22:23]
	v_cmp_gt_u32_e32 vcc, s24, v78
	s_and_saveexec_b64 s[22:23], vcc
	s_cbranch_execz .LBB709_927
.LBB709_942:                            ;   in Loop: Header=BB709_900 Depth=2
	v_xor_b32_e32 v38, 0x7fffffff, v26
	v_not_b32_e32 v37, v25
	v_lshrrev_b64 v[37:38], s7, v[37:38]
	v_and_b32_e32 v37, s98, v37
	v_lshl_or_b32 v37, v37, 4, v89
	ds_add_u32 v37, v117
	s_or_b64 exec, exec, s[22:23]
	v_cmp_gt_u32_e32 vcc, s24, v79
	s_and_saveexec_b64 s[22:23], vcc
	s_cbranch_execz .LBB709_928
.LBB709_943:                            ;   in Loop: Header=BB709_900 Depth=2
	v_xor_b32_e32 v38, 0x7fffffff, v24
	v_not_b32_e32 v37, v23
	v_lshrrev_b64 v[37:38], s7, v[37:38]
	v_and_b32_e32 v37, s98, v37
	v_lshl_or_b32 v37, v37, 4, v89
	ds_add_u32 v37, v117
	s_or_b64 exec, exec, s[22:23]
	v_cmp_gt_u32_e32 vcc, s24, v80
	s_and_saveexec_b64 s[22:23], vcc
	s_cbranch_execz .LBB709_929
.LBB709_944:                            ;   in Loop: Header=BB709_900 Depth=2
	v_xor_b32_e32 v38, 0x7fffffff, v22
	v_not_b32_e32 v37, v21
	v_lshrrev_b64 v[37:38], s7, v[37:38]
	v_and_b32_e32 v37, s98, v37
	v_lshl_or_b32 v37, v37, 4, v89
	ds_add_u32 v37, v117
	s_or_b64 exec, exec, s[22:23]
	v_cmp_gt_u32_e32 vcc, s24, v81
	s_and_saveexec_b64 s[22:23], vcc
	s_cbranch_execz .LBB709_930
.LBB709_945:                            ;   in Loop: Header=BB709_900 Depth=2
	v_xor_b32_e32 v38, 0x7fffffff, v20
	v_not_b32_e32 v37, v19
	v_lshrrev_b64 v[37:38], s7, v[37:38]
	v_and_b32_e32 v37, s98, v37
	v_lshl_or_b32 v37, v37, 4, v89
	ds_add_u32 v37, v117
	s_or_b64 exec, exec, s[22:23]
	v_cmp_gt_u32_e32 vcc, s24, v82
	s_and_saveexec_b64 s[22:23], vcc
	s_cbranch_execz .LBB709_931
.LBB709_946:                            ;   in Loop: Header=BB709_900 Depth=2
	v_xor_b32_e32 v38, 0x7fffffff, v18
	v_not_b32_e32 v37, v17
	v_lshrrev_b64 v[37:38], s7, v[37:38]
	v_and_b32_e32 v37, s98, v37
	v_lshl_or_b32 v37, v37, 4, v89
	ds_add_u32 v37, v117
	s_or_b64 exec, exec, s[22:23]
	v_cmp_gt_u32_e32 vcc, s24, v83
	s_and_saveexec_b64 s[22:23], vcc
	s_cbranch_execz .LBB709_932
.LBB709_947:                            ;   in Loop: Header=BB709_900 Depth=2
	v_xor_b32_e32 v38, 0x7fffffff, v16
	v_not_b32_e32 v37, v15
	v_lshrrev_b64 v[37:38], s7, v[37:38]
	v_and_b32_e32 v37, s98, v37
	v_lshl_or_b32 v37, v37, 4, v89
	ds_add_u32 v37, v117
	s_or_b64 exec, exec, s[22:23]
	v_cmp_gt_u32_e32 vcc, s24, v84
	s_and_saveexec_b64 s[22:23], vcc
	s_cbranch_execz .LBB709_933
.LBB709_948:                            ;   in Loop: Header=BB709_900 Depth=2
	v_xor_b32_e32 v38, 0x7fffffff, v14
	v_not_b32_e32 v37, v13
	v_lshrrev_b64 v[37:38], s7, v[37:38]
	v_and_b32_e32 v37, s98, v37
	v_lshl_or_b32 v37, v37, 4, v89
	ds_add_u32 v37, v117
	s_or_b64 exec, exec, s[22:23]
	v_cmp_gt_u32_e32 vcc, s24, v85
	s_and_saveexec_b64 s[22:23], vcc
	s_cbranch_execz .LBB709_934
.LBB709_949:                            ;   in Loop: Header=BB709_900 Depth=2
	v_xor_b32_e32 v38, 0x7fffffff, v12
	v_not_b32_e32 v37, v11
	v_lshrrev_b64 v[37:38], s7, v[37:38]
	v_and_b32_e32 v37, s98, v37
	v_lshl_or_b32 v37, v37, 4, v89
	ds_add_u32 v37, v117
	s_or_b64 exec, exec, s[22:23]
	v_cmp_gt_u32_e32 vcc, s24, v86
	s_and_saveexec_b64 s[22:23], vcc
	s_cbranch_execz .LBB709_935
.LBB709_950:                            ;   in Loop: Header=BB709_900 Depth=2
	v_xor_b32_e32 v38, 0x7fffffff, v10
	v_not_b32_e32 v37, v9
	v_lshrrev_b64 v[37:38], s7, v[37:38]
	v_and_b32_e32 v37, s98, v37
	v_lshl_or_b32 v37, v37, 4, v89
	ds_add_u32 v37, v117
	s_or_b64 exec, exec, s[22:23]
	v_cmp_gt_u32_e32 vcc, s24, v87
	s_and_saveexec_b64 s[22:23], vcc
	s_cbranch_execz .LBB709_936
.LBB709_951:                            ;   in Loop: Header=BB709_900 Depth=2
	v_xor_b32_e32 v38, 0x7fffffff, v8
	v_not_b32_e32 v37, v7
	v_lshrrev_b64 v[37:38], s7, v[37:38]
	v_and_b32_e32 v37, s98, v37
	v_lshl_or_b32 v37, v37, 4, v89
	ds_add_u32 v37, v117
	s_or_b64 exec, exec, s[22:23]
	v_cmp_gt_u32_e32 vcc, s24, v88
	s_and_saveexec_b64 s[22:23], vcc
	s_cbranch_execz .LBB709_899
.LBB709_952:                            ;   in Loop: Header=BB709_900 Depth=2
	v_xor_b32_e32 v38, 0x7fffffff, v6
	v_not_b32_e32 v37, v5
	v_lshrrev_b64 v[37:38], s7, v[37:38]
	v_and_b32_e32 v37, s98, v37
	v_lshl_or_b32 v37, v37, 4, v89
	ds_add_u32 v37, v117
	s_branch .LBB709_899
.LBB709_953:                            ;   in Loop: Header=BB709_900 Depth=2
	global_load_dwordx2 v[35:36], v118, s[22:23]
	s_or_b64 exec, exec, s[24:25]
	v_cmp_gt_u32_e32 vcc, s8, v72
	s_and_saveexec_b64 s[24:25], vcc
	s_cbranch_execz .LBB709_905
.LBB709_954:                            ;   in Loop: Header=BB709_900 Depth=2
	global_load_dwordx2 v[33:34], v118, s[22:23] offset:2048
	s_or_b64 exec, exec, s[24:25]
	v_cmp_gt_u32_e32 vcc, s8, v75
	s_and_saveexec_b64 s[24:25], vcc
	s_cbranch_execz .LBB709_906
.LBB709_955:                            ;   in Loop: Header=BB709_900 Depth=2
	global_load_dwordx2 v[31:32], v119, s[22:23]
	s_or_b64 exec, exec, s[24:25]
	v_cmp_gt_u32_e32 vcc, s8, v76
	s_and_saveexec_b64 s[24:25], vcc
	s_cbranch_execz .LBB709_907
.LBB709_956:                            ;   in Loop: Header=BB709_900 Depth=2
	global_load_dwordx2 v[29:30], v120, s[22:23]
	s_or_b64 exec, exec, s[24:25]
	v_cmp_gt_u32_e32 vcc, s8, v77
	s_and_saveexec_b64 s[24:25], vcc
	s_cbranch_execz .LBB709_908
.LBB709_957:                            ;   in Loop: Header=BB709_900 Depth=2
	global_load_dwordx2 v[27:28], v121, s[22:23]
	s_or_b64 exec, exec, s[24:25]
	v_cmp_gt_u32_e32 vcc, s8, v78
	s_and_saveexec_b64 s[24:25], vcc
	s_cbranch_execz .LBB709_909
.LBB709_958:                            ;   in Loop: Header=BB709_900 Depth=2
	global_load_dwordx2 v[25:26], v122, s[22:23]
	s_or_b64 exec, exec, s[24:25]
	v_cmp_gt_u32_e32 vcc, s8, v79
	s_and_saveexec_b64 s[24:25], vcc
	s_cbranch_execz .LBB709_910
.LBB709_959:                            ;   in Loop: Header=BB709_900 Depth=2
	global_load_dwordx2 v[23:24], v123, s[22:23]
	s_or_b64 exec, exec, s[24:25]
	v_cmp_gt_u32_e32 vcc, s8, v80
	s_and_saveexec_b64 s[24:25], vcc
	s_cbranch_execz .LBB709_911
.LBB709_960:                            ;   in Loop: Header=BB709_900 Depth=2
	global_load_dwordx2 v[21:22], v124, s[22:23]
	s_or_b64 exec, exec, s[24:25]
	v_cmp_gt_u32_e32 vcc, s8, v81
	s_and_saveexec_b64 s[24:25], vcc
	s_cbranch_execz .LBB709_912
.LBB709_961:                            ;   in Loop: Header=BB709_900 Depth=2
	global_load_dwordx2 v[19:20], v125, s[22:23]
	s_or_b64 exec, exec, s[24:25]
	v_cmp_gt_u32_e32 vcc, s8, v82
	s_and_saveexec_b64 s[24:25], vcc
	s_cbranch_execz .LBB709_913
.LBB709_962:                            ;   in Loop: Header=BB709_900 Depth=2
	global_load_dwordx2 v[17:18], v126, s[22:23]
	s_or_b64 exec, exec, s[24:25]
	v_cmp_gt_u32_e32 vcc, s8, v83
	s_and_saveexec_b64 s[24:25], vcc
	s_cbranch_execz .LBB709_914
.LBB709_963:                            ;   in Loop: Header=BB709_900 Depth=2
	global_load_dwordx2 v[15:16], v127, s[22:23]
	s_or_b64 exec, exec, s[24:25]
	v_cmp_gt_u32_e32 vcc, s8, v84
	s_and_saveexec_b64 s[24:25], vcc
	s_cbranch_execz .LBB709_915
.LBB709_964:                            ;   in Loop: Header=BB709_900 Depth=2
	global_load_dwordx2 v[13:14], v128, s[22:23]
	s_or_b64 exec, exec, s[24:25]
	v_cmp_gt_u32_e32 vcc, s8, v85
	s_and_saveexec_b64 s[24:25], vcc
	s_cbranch_execz .LBB709_916
.LBB709_965:                            ;   in Loop: Header=BB709_900 Depth=2
	global_load_dwordx2 v[11:12], v129, s[22:23]
	s_or_b64 exec, exec, s[24:25]
	v_cmp_gt_u32_e32 vcc, s8, v86
	s_and_saveexec_b64 s[24:25], vcc
	s_cbranch_execz .LBB709_917
.LBB709_966:                            ;   in Loop: Header=BB709_900 Depth=2
	global_load_dwordx2 v[9:10], v130, s[22:23]
	s_or_b64 exec, exec, s[24:25]
	v_cmp_gt_u32_e32 vcc, s8, v87
	s_and_saveexec_b64 s[24:25], vcc
	s_cbranch_execz .LBB709_918
.LBB709_967:                            ;   in Loop: Header=BB709_900 Depth=2
	global_load_dwordx2 v[7:8], v131, s[22:23]
	s_or_b64 exec, exec, s[24:25]
	v_cmp_gt_u32_e32 vcc, s8, v88
	s_and_saveexec_b64 s[24:25], vcc
	s_cbranch_execnz .LBB709_919
	s_branch .LBB709_920
.LBB709_968:                            ;   in Loop: Header=BB709_12 Depth=1
	v_mov_b32_e32 v5, 0
	s_waitcnt lgkmcnt(0)
	s_barrier
	s_and_saveexec_b64 s[22:23], s[4:5]
	s_cbranch_execz .LBB709_970
; %bb.969:                              ;   in Loop: Header=BB709_12 Depth=1
	ds_read2_b64 v[5:8], v91 offset1:1
	s_waitcnt lgkmcnt(0)
	v_add_u32_e32 v5, v6, v5
	v_add3_u32 v5, v5, v7, v8
.LBB709_970:                            ;   in Loop: Header=BB709_12 Depth=1
	s_or_b64 exec, exec, s[22:23]
	v_and_b32_e32 v6, 15, v133
	v_mov_b32_dpp v7, v5 row_shr:1 row_mask:0xf bank_mask:0xf
	v_cmp_eq_u32_e64 s[22:23], 0, v6
	v_cndmask_b32_e64 v7, v7, 0, s[22:23]
	v_add_u32_e32 v5, v7, v5
	v_cmp_lt_u32_e64 s[24:25], 1, v6
	v_cmp_lt_u32_e64 s[26:27], 3, v6
	v_mov_b32_dpp v7, v5 row_shr:2 row_mask:0xf bank_mask:0xf
	v_cndmask_b32_e64 v7, 0, v7, s[24:25]
	v_add_u32_e32 v5, v5, v7
	v_cmp_lt_u32_e64 s[28:29], 7, v6
	v_cmp_lt_u32_e64 s[34:35], 31, v133
	v_mov_b32_dpp v7, v5 row_shr:4 row_mask:0xf bank_mask:0xf
	v_cndmask_b32_e64 v7, 0, v7, s[26:27]
	v_add_u32_e32 v5, v5, v7
	v_and_b32_e32 v8, 16, v133
	v_cmp_eq_u32_e64 s[30:31], 0, v8
	v_mov_b32_dpp v7, v5 row_shr:8 row_mask:0xf bank_mask:0xf
	v_cndmask_b32_e64 v6, 0, v7, s[28:29]
	v_add_u32_e32 v5, v5, v6
	v_bfe_i32 v7, v133, 4, 1
	s_nop 0
	v_mov_b32_dpp v6, v5 row_bcast:15 row_mask:0xf bank_mask:0xf
	v_and_b32_e32 v6, v7, v6
	v_add_u32_e32 v5, v5, v6
	s_nop 1
	v_mov_b32_dpp v6, v5 row_bcast:31 row_mask:0xf bank_mask:0xf
	v_cndmask_b32_e64 v6, 0, v6, s[34:35]
	v_add_u32_e32 v5, v5, v6
	s_mov_b64 s[36:37], exec
	v_readlane_b32 s8, v232, 1
	v_readlane_b32 s9, v232, 2
	s_and_b64 s[8:9], s[36:37], s[8:9]
	s_mov_b64 exec, s[8:9]
; %bb.971:                              ;   in Loop: Header=BB709_12 Depth=1
	ds_write_b32 v93, v5
; %bb.972:                              ;   in Loop: Header=BB709_12 Depth=1
	s_or_b64 exec, exec, s[36:37]
	s_waitcnt lgkmcnt(0)
	s_barrier
	s_and_saveexec_b64 s[36:37], s[10:11]
	s_cbranch_execz .LBB709_974
; %bb.973:                              ;   in Loop: Header=BB709_12 Depth=1
	ds_read_b32 v6, v94
	v_bfe_i32 v7, v133, 0, 1
	s_waitcnt lgkmcnt(0)
	v_mov_b32_dpp v8, v6 row_shr:1 row_mask:0xf bank_mask:0xf
	v_and_b32_e32 v7, v7, v8
	v_add_u32_e32 v6, v7, v6
	ds_write_b32 v94, v6
.LBB709_974:                            ;   in Loop: Header=BB709_12 Depth=1
	s_or_b64 exec, exec, s[36:37]
	v_mov_b32_e32 v6, 0
	s_waitcnt lgkmcnt(0)
	s_barrier
	s_and_saveexec_b64 s[36:37], s[12:13]
; %bb.975:                              ;   in Loop: Header=BB709_12 Depth=1
	ds_read_b32 v6, v95
; %bb.976:                              ;   in Loop: Header=BB709_12 Depth=1
	s_or_b64 exec, exec, s[36:37]
	v_subrev_co_u32_e64 v7, s[36:37], 1, v133
	v_and_b32_e32 v8, 64, v133
	v_cmp_lt_i32_e32 vcc, v7, v8
	v_cndmask_b32_e32 v7, v7, v133, vcc
	s_waitcnt lgkmcnt(0)
	v_add_u32_e32 v5, v6, v5
	v_lshlrev_b32_e32 v134, 2, v7
	ds_bpermute_b32 v5, v134, v5
	s_waitcnt lgkmcnt(0)
	s_barrier
	s_and_saveexec_b64 s[38:39], s[4:5]
; %bb.977:                              ;   in Loop: Header=BB709_12 Depth=1
	v_cndmask_b32_e64 v5, v5, v6, s[36:37]
	v_add_u32_e32 v5, s96, v5
	ds_write_b32 v71, v5
; %bb.978:                              ;   in Loop: Header=BB709_12 Depth=1
	s_or_b64 exec, exec, s[38:39]
	s_load_dwordx2 s[8:9], s[94:95], 0x0
	v_readlane_b32 s38, v232, 0
	v_and_b32_e32 v39, 3, v133
	v_and_b32_e32 v40, 63, v133
	v_cmp_lt_u32_e64 s[40:41], 1, v39
	s_waitcnt lgkmcnt(0)
	s_cmp_lt_u32 s38, s9
	s_cselect_b32 s9, 14, 20
	s_add_u32 s38, s94, s9
	s_addc_u32 s39, s95, 0
	s_cmp_lt_u32 s6, s8
	s_cselect_b32 s8, 12, 18
	s_add_u32 s8, s94, s8
	global_load_ushort v37, v3, s[38:39]
	s_addc_u32 s9, s95, 0
	global_load_ushort v38, v3, s[8:9]
	v_cmp_eq_u32_e64 s[38:39], 0, v39
	v_lshlrev_b32_e32 v39, 3, v40
	v_add_co_u32_e32 v152, vcc, v113, v39
	v_addc_co_u32_e32 v153, vcc, 0, v114, vcc
	v_or_b32_e32 v151, v40, v96
	v_add_co_u32_e32 v169, vcc, v115, v39
	s_mov_b32 s91, s33
	v_or_b32_e32 v154, 64, v151
	v_or_b32_e32 v155, 0x80, v151
	;; [unrolled: 1-line block ×15, first 2 shown]
	v_addc_co_u32_e32 v170, vcc, 0, v116, vcc
	s_mov_b32 s92, s96
                                        ; implicit-def: $vgpr5_vgpr6
                                        ; implicit-def: $vgpr7_vgpr8
                                        ; implicit-def: $vgpr9_vgpr10
                                        ; implicit-def: $vgpr13_vgpr14
                                        ; implicit-def: $vgpr17_vgpr18
                                        ; implicit-def: $vgpr21_vgpr22
                                        ; implicit-def: $vgpr25_vgpr26
                                        ; implicit-def: $vgpr29_vgpr30
                                        ; implicit-def: $vgpr11_vgpr12
                                        ; implicit-def: $vgpr15_vgpr16
                                        ; implicit-def: $vgpr19_vgpr20
                                        ; implicit-def: $vgpr23_vgpr24
                                        ; implicit-def: $vgpr27_vgpr28
                                        ; implicit-def: $vgpr31_vgpr32
                                        ; implicit-def: $vgpr33_vgpr34
                                        ; implicit-def: $vgpr35_vgpr36
                                        ; implicit-def: $vgpr135
                                        ; implicit-def: $vgpr136
                                        ; implicit-def: $vgpr137
                                        ; implicit-def: $vgpr138
                                        ; implicit-def: $vgpr139
                                        ; implicit-def: $vgpr140
                                        ; implicit-def: $vgpr141
                                        ; implicit-def: $vgpr142
                                        ; implicit-def: $vgpr143
                                        ; implicit-def: $vgpr144
                                        ; implicit-def: $vgpr145
                                        ; implicit-def: $vgpr146
                                        ; implicit-def: $vgpr147
                                        ; implicit-def: $vgpr148
                                        ; implicit-def: $vgpr149
                                        ; implicit-def: $vgpr150
                                        ; implicit-def: $vgpr172
                                        ; implicit-def: $vgpr173
	s_waitcnt vmcnt(1)
	v_mad_u32_u24 v37, v2, v37, v1
	s_waitcnt vmcnt(0)
	v_mad_u64_u32 v[37:38], s[8:9], v37, v38, v[0:1]
	v_lshrrev_b32_e32 v37, 4, v37
	v_and_b32_e32 v171, 0xffffffc, v37
	s_branch .LBB709_980
.LBB709_979:                            ;   in Loop: Header=BB709_980 Depth=2
	s_or_b64 exec, exec, s[42:43]
	s_addk_i32 s91, 0xf000
	s_cmp_lt_u32 s99, s97
	s_mov_b32 s92, s99
	s_cbranch_scc0 .LBB709_10
.LBB709_980:                            ;   Parent Loop BB709_12 Depth=1
                                        ; =>  This Inner Loop Header: Depth=2
	s_add_i32 s99, s92, 0x1000
	s_cmp_gt_u32 s99, s97
	s_cbranch_scc1 .LBB709_982
; %bb.981:                              ;   in Loop: Header=BB709_980 Depth=2
	s_lshl_b64 s[8:9], s[92:93], 3
	v_mov_b32_e32 v38, s9
	v_add_co_u32_e32 v37, vcc, s8, v169
	v_addc_co_u32_e32 v38, vcc, v170, v38, vcc
	global_load_dwordx2 v[39:40], v[37:38], off
	global_load_dwordx2 v[41:42], v[37:38], off offset:512
	global_load_dwordx2 v[45:46], v[37:38], off offset:1024
	;; [unrolled: 1-line block ×7, first 2 shown]
	v_add_co_u32_e32 v37, vcc, 0x1000, v37
	v_addc_co_u32_e32 v38, vcc, 0, v38, vcc
	global_load_dwordx2 v[65:66], v[37:38], off
	global_load_dwordx2 v[63:64], v[37:38], off offset:512
	global_load_dwordx2 v[59:60], v[37:38], off offset:1024
	;; [unrolled: 1-line block ×6, first 2 shown]
	s_mov_b64 s[42:43], -1
	s_movk_i32 s8, 0x1000
	s_cbranch_execz .LBB709_983
	s_branch .LBB709_1014
.LBB709_982:                            ;   in Loop: Header=BB709_980 Depth=2
	s_mov_b64 s[42:43], 0
                                        ; implicit-def: $vgpr39_vgpr40
                                        ; implicit-def: $vgpr41_vgpr42
                                        ; implicit-def: $vgpr45_vgpr46
                                        ; implicit-def: $vgpr49_vgpr50
                                        ; implicit-def: $vgpr53_vgpr54
                                        ; implicit-def: $vgpr57_vgpr58
                                        ; implicit-def: $vgpr61_vgpr62
                                        ; implicit-def: $vgpr67_vgpr68
                                        ; implicit-def: $vgpr65_vgpr66
                                        ; implicit-def: $vgpr63_vgpr64
                                        ; implicit-def: $vgpr59_vgpr60
                                        ; implicit-def: $vgpr55_vgpr56
                                        ; implicit-def: $vgpr51_vgpr52
                                        ; implicit-def: $vgpr47_vgpr48
                                        ; implicit-def: $vgpr43_vgpr44
	s_movk_i32 s8, 0x1000
.LBB709_983:                            ;   in Loop: Header=BB709_980 Depth=2
	s_lshl_b64 s[8:9], s[92:93], 3
	v_mov_b32_e32 v38, s9
	v_add_co_u32_e32 v37, vcc, s8, v169
	s_waitcnt vmcnt(13)
	v_mov_b32_e32 v41, v3
	v_addc_co_u32_e32 v38, vcc, v170, v38, vcc
	v_mov_b32_e32 v42, v4
	v_mov_b32_e32 v39, v41
	v_cmp_gt_u32_e32 vcc, s91, v151
	v_mov_b32_e32 v40, v42
	s_and_saveexec_b64 s[42:43], vcc
	s_cbranch_execz .LBB709_985
; %bb.984:                              ;   in Loop: Header=BB709_980 Depth=2
	global_load_dwordx2 v[39:40], v[37:38], off
.LBB709_985:                            ;   in Loop: Header=BB709_980 Depth=2
	s_or_b64 exec, exec, s[42:43]
	v_cmp_gt_u32_e32 vcc, s91, v154
	s_and_saveexec_b64 s[42:43], vcc
	s_cbranch_execz .LBB709_987
; %bb.986:                              ;   in Loop: Header=BB709_980 Depth=2
	global_load_dwordx2 v[41:42], v[37:38], off offset:512
.LBB709_987:                            ;   in Loop: Header=BB709_980 Depth=2
	s_or_b64 exec, exec, s[42:43]
	s_waitcnt vmcnt(12)
	v_mov_b32_e32 v46, v4
	v_cmp_gt_u32_e32 vcc, s91, v155
	v_mov_b32_e32 v45, v3
	s_and_saveexec_b64 s[42:43], vcc
	s_cbranch_execz .LBB709_989
; %bb.988:                              ;   in Loop: Header=BB709_980 Depth=2
	global_load_dwordx2 v[45:46], v[37:38], off offset:1024
.LBB709_989:                            ;   in Loop: Header=BB709_980 Depth=2
	s_or_b64 exec, exec, s[42:43]
	s_waitcnt vmcnt(11)
	v_mov_b32_e32 v50, v4
	v_cmp_gt_u32_e32 vcc, s91, v156
	v_mov_b32_e32 v49, v3
	;; [unrolled: 10-line block ×7, first 2 shown]
	s_and_saveexec_b64 s[42:43], vcc
	s_cbranch_execz .LBB709_1001
; %bb.1000:                             ;   in Loop: Header=BB709_980 Depth=2
	s_waitcnt vmcnt(0)
	v_add_co_u32_e32 v43, vcc, 0x1000, v37
	v_addc_co_u32_e32 v44, vcc, 0, v38, vcc
	global_load_dwordx2 v[65:66], v[43:44], off
.LBB709_1001:                           ;   in Loop: Header=BB709_980 Depth=2
	s_or_b64 exec, exec, s[42:43]
	s_waitcnt vmcnt(5)
	v_mov_b32_e32 v64, v4
	v_cmp_gt_u32_e32 vcc, s91, v162
	v_mov_b32_e32 v63, v3
	s_and_saveexec_b64 s[42:43], vcc
	s_cbranch_execz .LBB709_1003
; %bb.1002:                             ;   in Loop: Header=BB709_980 Depth=2
	s_waitcnt vmcnt(0)
	v_add_co_u32_e32 v43, vcc, 0x1000, v37
	v_addc_co_u32_e32 v44, vcc, 0, v38, vcc
	global_load_dwordx2 v[63:64], v[43:44], off offset:512
.LBB709_1003:                           ;   in Loop: Header=BB709_980 Depth=2
	s_or_b64 exec, exec, s[42:43]
	s_waitcnt vmcnt(4)
	v_mov_b32_e32 v60, v4
	v_cmp_gt_u32_e32 vcc, s91, v163
	v_mov_b32_e32 v59, v3
	s_and_saveexec_b64 s[42:43], vcc
	s_cbranch_execz .LBB709_1005
; %bb.1004:                             ;   in Loop: Header=BB709_980 Depth=2
	s_waitcnt vmcnt(0)
	v_add_co_u32_e32 v43, vcc, 0x1000, v37
	v_addc_co_u32_e32 v44, vcc, 0, v38, vcc
	global_load_dwordx2 v[59:60], v[43:44], off offset:1024
.LBB709_1005:                           ;   in Loop: Header=BB709_980 Depth=2
	;; [unrolled: 13-line block ×5, first 2 shown]
	s_or_b64 exec, exec, s[42:43]
	s_waitcnt vmcnt(0)
	v_mov_b32_e32 v44, v4
	v_cmp_gt_u32_e32 vcc, s91, v167
	v_mov_b32_e32 v43, v3
	s_and_saveexec_b64 s[42:43], vcc
	s_cbranch_execz .LBB709_1013
; %bb.1012:                             ;   in Loop: Header=BB709_980 Depth=2
	v_add_co_u32_e32 v37, vcc, 0x1000, v37
	v_addc_co_u32_e32 v38, vcc, 0, v38, vcc
	global_load_dwordx2 v[43:44], v[37:38], off offset:3072
.LBB709_1013:                           ;   in Loop: Header=BB709_980 Depth=2
	s_or_b64 exec, exec, s[42:43]
	s_sub_i32 s8, s97, s92
	v_cmp_gt_u32_e64 s[42:43], s91, v168
.LBB709_1014:                           ;   in Loop: Header=BB709_980 Depth=2
	v_mov_b32_e32 v37, -1
	v_mov_b32_e32 v38, -1
	v_mov_b32_e32 v174, s91
	s_and_saveexec_b64 s[44:45], s[42:43]
	s_cbranch_execz .LBB709_1016
; %bb.1015:                             ;   in Loop: Header=BB709_980 Depth=2
	s_lshl_b64 s[42:43], s[92:93], 3
	v_mov_b32_e32 v37, s43
	v_add_co_u32_e32 v38, vcc, s42, v169
	v_addc_co_u32_e32 v69, vcc, v170, v37, vcc
	v_add_co_u32_e32 v37, vcc, 0x1000, v38
	v_addc_co_u32_e32 v38, vcc, 0, v69, vcc
	global_load_dwordx2 v[37:38], v[37:38], off offset:3584
	v_mov_b32_e32 v174, s8
	s_waitcnt vmcnt(0)
	v_xor_b32_e32 v38, 0x7fffffff, v38
	v_not_b32_e32 v37, v37
.LBB709_1016:                           ;   in Loop: Header=BB709_980 Depth=2
	s_or_b64 exec, exec, s[44:45]
	s_waitcnt vmcnt(14)
	v_xor_b32_e32 v40, 0x7fffffff, v40
	v_not_b32_e32 v39, v39
	v_lshrrev_b64 v[69:70], s7, v[39:40]
	ds_write2_b32 v90, v3, v3 offset0:132 offset1:133
	ds_write_b32 v90, v3 offset:536
	v_and_b32_e32 v175, s98, v69
	v_and_b32_e32 v69, 1, v175
	v_add_co_u32_e32 v70, vcc, -1, v69
	v_addc_co_u32_e64 v177, s[8:9], 0, -1, vcc
	v_cmp_ne_u32_e32 vcc, 0, v69
	v_xor_b32_e32 v69, vcc_hi, v177
	v_xor_b32_e32 v70, vcc_lo, v70
	v_and_b32_e32 v177, exec_hi, v69
	v_and_b32_e32 v178, exec_lo, v70
	v_lshlrev_b32_e32 v70, 30, v175
	v_mov_b32_e32 v69, v3
	v_cmp_gt_i64_e32 vcc, 0, v[69:70]
	v_not_b32_e32 v69, v70
	v_ashrrev_i32_e32 v69, 31, v69
	v_xor_b32_e32 v70, vcc_hi, v69
	v_xor_b32_e32 v69, vcc_lo, v69
	v_and_b32_e32 v177, v177, v70
	v_and_b32_e32 v178, v178, v69
	v_lshlrev_b32_e32 v70, 29, v175
	v_mov_b32_e32 v69, v3
	v_cmp_gt_i64_e32 vcc, 0, v[69:70]
	v_not_b32_e32 v69, v70
	v_ashrrev_i32_e32 v69, 31, v69
	v_xor_b32_e32 v70, vcc_hi, v69
	v_xor_b32_e32 v69, vcc_lo, v69
	v_and_b32_e32 v177, v177, v70
	v_and_b32_e32 v178, v178, v69
	v_lshlrev_b32_e32 v70, 28, v175
	v_mov_b32_e32 v69, v3
	v_cmp_gt_i64_e32 vcc, 0, v[69:70]
	v_not_b32_e32 v69, v70
	v_ashrrev_i32_e32 v69, 31, v69
	v_xor_b32_e32 v70, vcc_hi, v69
	v_xor_b32_e32 v69, vcc_lo, v69
	v_and_b32_e32 v177, v177, v70
	v_and_b32_e32 v178, v178, v69
	v_lshlrev_b32_e32 v70, 27, v175
	v_mov_b32_e32 v69, v3
	v_cmp_gt_i64_e32 vcc, 0, v[69:70]
	v_not_b32_e32 v69, v70
	v_ashrrev_i32_e32 v69, 31, v69
	v_xor_b32_e32 v70, vcc_hi, v69
	v_xor_b32_e32 v69, vcc_lo, v69
	v_and_b32_e32 v177, v177, v70
	v_and_b32_e32 v178, v178, v69
	v_lshlrev_b32_e32 v70, 26, v175
	v_mov_b32_e32 v69, v3
	v_cmp_gt_i64_e32 vcc, 0, v[69:70]
	v_not_b32_e32 v69, v70
	v_ashrrev_i32_e32 v69, 31, v69
	v_xor_b32_e32 v70, vcc_hi, v69
	v_xor_b32_e32 v69, vcc_lo, v69
	v_and_b32_e32 v177, v177, v70
	v_and_b32_e32 v178, v178, v69
	v_lshlrev_b32_e32 v70, 25, v175
	v_mov_b32_e32 v69, v3
	v_cmp_gt_i64_e32 vcc, 0, v[69:70]
	v_not_b32_e32 v69, v70
	v_ashrrev_i32_e32 v69, 31, v69
	v_xor_b32_e32 v70, vcc_hi, v69
	v_xor_b32_e32 v69, vcc_lo, v69
	v_and_b32_e32 v69, v178, v69
	v_mul_u32_u24_e32 v176, 20, v175
	v_and_b32_e32 v70, v177, v70
	v_mbcnt_lo_u32_b32 v175, v69, 0
	v_mbcnt_hi_u32_b32 v175, v70, v175
	v_cmp_ne_u64_e32 vcc, 0, v[69:70]
	v_cmp_eq_u32_e64 s[42:43], 0, v175
	s_and_b64 s[8:9], vcc, s[42:43]
	v_add_u32_e32 v177, v171, v176
	s_waitcnt vmcnt(0) lgkmcnt(0)
	s_barrier
	; wave barrier
	s_and_saveexec_b64 s[42:43], s[8:9]
; %bb.1017:                             ;   in Loop: Header=BB709_980 Depth=2
	v_bcnt_u32_b32 v69, v69, 0
	v_bcnt_u32_b32 v69, v70, v69
	ds_write_b32 v177, v69 offset:528
; %bb.1018:                             ;   in Loop: Header=BB709_980 Depth=2
	s_or_b64 exec, exec, s[42:43]
	v_xor_b32_e32 v42, 0x7fffffff, v42
	v_not_b32_e32 v41, v41
	v_lshrrev_b64 v[69:70], s7, v[41:42]
	v_and_b32_e32 v178, s98, v69
	v_mad_u32_u24 v69, v178, 20, v171
	; wave barrier
	ds_read_b32 v176, v69 offset:528
	v_and_b32_e32 v69, 1, v178
	v_add_co_u32_e32 v70, vcc, -1, v69
	v_addc_co_u32_e64 v180, s[8:9], 0, -1, vcc
	v_cmp_ne_u32_e32 vcc, 0, v69
	v_xor_b32_e32 v69, vcc_hi, v180
	v_xor_b32_e32 v70, vcc_lo, v70
	v_and_b32_e32 v180, exec_hi, v69
	v_and_b32_e32 v181, exec_lo, v70
	v_lshlrev_b32_e32 v70, 30, v178
	v_mov_b32_e32 v69, v3
	v_cmp_gt_i64_e32 vcc, 0, v[69:70]
	v_not_b32_e32 v69, v70
	v_ashrrev_i32_e32 v69, 31, v69
	v_xor_b32_e32 v70, vcc_hi, v69
	v_xor_b32_e32 v69, vcc_lo, v69
	v_and_b32_e32 v180, v180, v70
	v_and_b32_e32 v181, v181, v69
	v_lshlrev_b32_e32 v70, 29, v178
	v_mov_b32_e32 v69, v3
	v_cmp_gt_i64_e32 vcc, 0, v[69:70]
	v_not_b32_e32 v69, v70
	v_ashrrev_i32_e32 v69, 31, v69
	v_xor_b32_e32 v70, vcc_hi, v69
	v_xor_b32_e32 v69, vcc_lo, v69
	v_and_b32_e32 v180, v180, v70
	v_and_b32_e32 v181, v181, v69
	;; [unrolled: 9-line block ×5, first 2 shown]
	v_lshlrev_b32_e32 v70, 25, v178
	v_mov_b32_e32 v69, v3
	v_cmp_gt_i64_e32 vcc, 0, v[69:70]
	v_not_b32_e32 v69, v70
	v_ashrrev_i32_e32 v69, 31, v69
	v_xor_b32_e32 v70, vcc_hi, v69
	v_xor_b32_e32 v69, vcc_lo, v69
	v_and_b32_e32 v69, v181, v69
	v_mul_u32_u24_e32 v179, 20, v178
	v_and_b32_e32 v70, v180, v70
	v_mbcnt_lo_u32_b32 v178, v69, 0
	v_mbcnt_hi_u32_b32 v178, v70, v178
	v_cmp_ne_u64_e32 vcc, 0, v[69:70]
	v_cmp_eq_u32_e64 s[42:43], 0, v178
	s_and_b64 s[8:9], vcc, s[42:43]
	v_add_u32_e32 v180, v171, v179
	; wave barrier
	s_and_saveexec_b64 s[42:43], s[8:9]
	s_cbranch_execz .LBB709_1020
; %bb.1019:                             ;   in Loop: Header=BB709_980 Depth=2
	v_bcnt_u32_b32 v69, v69, 0
	v_bcnt_u32_b32 v69, v70, v69
	s_waitcnt lgkmcnt(0)
	v_add_u32_e32 v69, v176, v69
	ds_write_b32 v180, v69 offset:528
.LBB709_1020:                           ;   in Loop: Header=BB709_980 Depth=2
	s_or_b64 exec, exec, s[42:43]
	v_xor_b32_e32 v46, 0x7fffffff, v46
	v_not_b32_e32 v45, v45
	v_lshrrev_b64 v[69:70], s7, v[45:46]
	v_and_b32_e32 v181, s98, v69
	v_mad_u32_u24 v69, v181, 20, v171
	; wave barrier
	ds_read_b32 v179, v69 offset:528
	v_and_b32_e32 v69, 1, v181
	v_add_co_u32_e32 v70, vcc, -1, v69
	v_addc_co_u32_e64 v183, s[8:9], 0, -1, vcc
	v_cmp_ne_u32_e32 vcc, 0, v69
	v_xor_b32_e32 v69, vcc_hi, v183
	v_xor_b32_e32 v70, vcc_lo, v70
	v_and_b32_e32 v183, exec_hi, v69
	v_and_b32_e32 v184, exec_lo, v70
	v_lshlrev_b32_e32 v70, 30, v181
	v_mov_b32_e32 v69, v3
	v_cmp_gt_i64_e32 vcc, 0, v[69:70]
	v_not_b32_e32 v69, v70
	v_ashrrev_i32_e32 v69, 31, v69
	v_xor_b32_e32 v70, vcc_hi, v69
	v_xor_b32_e32 v69, vcc_lo, v69
	v_and_b32_e32 v183, v183, v70
	v_and_b32_e32 v184, v184, v69
	v_lshlrev_b32_e32 v70, 29, v181
	v_mov_b32_e32 v69, v3
	v_cmp_gt_i64_e32 vcc, 0, v[69:70]
	v_not_b32_e32 v69, v70
	v_ashrrev_i32_e32 v69, 31, v69
	v_xor_b32_e32 v70, vcc_hi, v69
	v_xor_b32_e32 v69, vcc_lo, v69
	v_and_b32_e32 v183, v183, v70
	v_and_b32_e32 v184, v184, v69
	;; [unrolled: 9-line block ×5, first 2 shown]
	v_lshlrev_b32_e32 v70, 25, v181
	v_mov_b32_e32 v69, v3
	v_cmp_gt_i64_e32 vcc, 0, v[69:70]
	v_not_b32_e32 v69, v70
	v_ashrrev_i32_e32 v69, 31, v69
	v_xor_b32_e32 v70, vcc_hi, v69
	v_xor_b32_e32 v69, vcc_lo, v69
	v_and_b32_e32 v69, v184, v69
	v_mul_u32_u24_e32 v182, 20, v181
	v_and_b32_e32 v70, v183, v70
	v_mbcnt_lo_u32_b32 v181, v69, 0
	v_mbcnt_hi_u32_b32 v181, v70, v181
	v_cmp_ne_u64_e32 vcc, 0, v[69:70]
	v_cmp_eq_u32_e64 s[42:43], 0, v181
	s_and_b64 s[8:9], vcc, s[42:43]
	v_add_u32_e32 v183, v171, v182
	; wave barrier
	s_and_saveexec_b64 s[42:43], s[8:9]
	s_cbranch_execz .LBB709_1022
; %bb.1021:                             ;   in Loop: Header=BB709_980 Depth=2
	v_bcnt_u32_b32 v69, v69, 0
	v_bcnt_u32_b32 v69, v70, v69
	s_waitcnt lgkmcnt(0)
	v_add_u32_e32 v69, v179, v69
	ds_write_b32 v183, v69 offset:528
.LBB709_1022:                           ;   in Loop: Header=BB709_980 Depth=2
	s_or_b64 exec, exec, s[42:43]
	v_xor_b32_e32 v50, 0x7fffffff, v50
	v_not_b32_e32 v49, v49
	v_lshrrev_b64 v[69:70], s7, v[49:50]
	v_and_b32_e32 v184, s98, v69
	v_mad_u32_u24 v69, v184, 20, v171
	; wave barrier
	ds_read_b32 v182, v69 offset:528
	v_and_b32_e32 v69, 1, v184
	v_add_co_u32_e32 v70, vcc, -1, v69
	v_addc_co_u32_e64 v186, s[8:9], 0, -1, vcc
	v_cmp_ne_u32_e32 vcc, 0, v69
	v_xor_b32_e32 v69, vcc_hi, v186
	v_xor_b32_e32 v70, vcc_lo, v70
	v_and_b32_e32 v186, exec_hi, v69
	v_and_b32_e32 v187, exec_lo, v70
	v_lshlrev_b32_e32 v70, 30, v184
	v_mov_b32_e32 v69, v3
	v_cmp_gt_i64_e32 vcc, 0, v[69:70]
	v_not_b32_e32 v69, v70
	v_ashrrev_i32_e32 v69, 31, v69
	v_xor_b32_e32 v70, vcc_hi, v69
	v_xor_b32_e32 v69, vcc_lo, v69
	v_and_b32_e32 v186, v186, v70
	v_and_b32_e32 v187, v187, v69
	v_lshlrev_b32_e32 v70, 29, v184
	v_mov_b32_e32 v69, v3
	v_cmp_gt_i64_e32 vcc, 0, v[69:70]
	v_not_b32_e32 v69, v70
	v_ashrrev_i32_e32 v69, 31, v69
	v_xor_b32_e32 v70, vcc_hi, v69
	v_xor_b32_e32 v69, vcc_lo, v69
	v_and_b32_e32 v186, v186, v70
	v_and_b32_e32 v187, v187, v69
	;; [unrolled: 9-line block ×5, first 2 shown]
	v_lshlrev_b32_e32 v70, 25, v184
	v_mov_b32_e32 v69, v3
	v_cmp_gt_i64_e32 vcc, 0, v[69:70]
	v_not_b32_e32 v69, v70
	v_ashrrev_i32_e32 v69, 31, v69
	v_xor_b32_e32 v70, vcc_hi, v69
	v_xor_b32_e32 v69, vcc_lo, v69
	v_and_b32_e32 v69, v187, v69
	v_mul_u32_u24_e32 v185, 20, v184
	v_and_b32_e32 v70, v186, v70
	v_mbcnt_lo_u32_b32 v184, v69, 0
	v_mbcnt_hi_u32_b32 v184, v70, v184
	v_cmp_ne_u64_e32 vcc, 0, v[69:70]
	v_cmp_eq_u32_e64 s[42:43], 0, v184
	s_and_b64 s[8:9], vcc, s[42:43]
	v_add_u32_e32 v186, v171, v185
	; wave barrier
	s_and_saveexec_b64 s[42:43], s[8:9]
	s_cbranch_execz .LBB709_1024
; %bb.1023:                             ;   in Loop: Header=BB709_980 Depth=2
	v_bcnt_u32_b32 v69, v69, 0
	v_bcnt_u32_b32 v69, v70, v69
	s_waitcnt lgkmcnt(0)
	v_add_u32_e32 v69, v182, v69
	ds_write_b32 v186, v69 offset:528
.LBB709_1024:                           ;   in Loop: Header=BB709_980 Depth=2
	s_or_b64 exec, exec, s[42:43]
	v_xor_b32_e32 v54, 0x7fffffff, v54
	v_not_b32_e32 v53, v53
	v_lshrrev_b64 v[69:70], s7, v[53:54]
	v_and_b32_e32 v187, s98, v69
	v_mad_u32_u24 v69, v187, 20, v171
	; wave barrier
	ds_read_b32 v185, v69 offset:528
	v_and_b32_e32 v69, 1, v187
	v_add_co_u32_e32 v70, vcc, -1, v69
	v_addc_co_u32_e64 v189, s[8:9], 0, -1, vcc
	v_cmp_ne_u32_e32 vcc, 0, v69
	v_xor_b32_e32 v69, vcc_hi, v189
	v_xor_b32_e32 v70, vcc_lo, v70
	v_and_b32_e32 v189, exec_hi, v69
	v_and_b32_e32 v190, exec_lo, v70
	v_lshlrev_b32_e32 v70, 30, v187
	v_mov_b32_e32 v69, v3
	v_cmp_gt_i64_e32 vcc, 0, v[69:70]
	v_not_b32_e32 v69, v70
	v_ashrrev_i32_e32 v69, 31, v69
	v_xor_b32_e32 v70, vcc_hi, v69
	v_xor_b32_e32 v69, vcc_lo, v69
	v_and_b32_e32 v189, v189, v70
	v_and_b32_e32 v190, v190, v69
	v_lshlrev_b32_e32 v70, 29, v187
	v_mov_b32_e32 v69, v3
	v_cmp_gt_i64_e32 vcc, 0, v[69:70]
	v_not_b32_e32 v69, v70
	v_ashrrev_i32_e32 v69, 31, v69
	v_xor_b32_e32 v70, vcc_hi, v69
	v_xor_b32_e32 v69, vcc_lo, v69
	v_and_b32_e32 v189, v189, v70
	v_and_b32_e32 v190, v190, v69
	;; [unrolled: 9-line block ×5, first 2 shown]
	v_lshlrev_b32_e32 v70, 25, v187
	v_mov_b32_e32 v69, v3
	v_cmp_gt_i64_e32 vcc, 0, v[69:70]
	v_not_b32_e32 v69, v70
	v_ashrrev_i32_e32 v69, 31, v69
	v_xor_b32_e32 v70, vcc_hi, v69
	v_xor_b32_e32 v69, vcc_lo, v69
	v_and_b32_e32 v69, v190, v69
	v_mul_u32_u24_e32 v188, 20, v187
	v_and_b32_e32 v70, v189, v70
	v_mbcnt_lo_u32_b32 v187, v69, 0
	v_mbcnt_hi_u32_b32 v187, v70, v187
	v_cmp_ne_u64_e32 vcc, 0, v[69:70]
	v_cmp_eq_u32_e64 s[42:43], 0, v187
	s_and_b64 s[8:9], vcc, s[42:43]
	v_add_u32_e32 v189, v171, v188
	; wave barrier
	s_and_saveexec_b64 s[42:43], s[8:9]
	s_cbranch_execz .LBB709_1026
; %bb.1025:                             ;   in Loop: Header=BB709_980 Depth=2
	v_bcnt_u32_b32 v69, v69, 0
	v_bcnt_u32_b32 v69, v70, v69
	s_waitcnt lgkmcnt(0)
	v_add_u32_e32 v69, v185, v69
	ds_write_b32 v189, v69 offset:528
.LBB709_1026:                           ;   in Loop: Header=BB709_980 Depth=2
	s_or_b64 exec, exec, s[42:43]
	v_xor_b32_e32 v58, 0x7fffffff, v58
	v_not_b32_e32 v57, v57
	v_lshrrev_b64 v[69:70], s7, v[57:58]
	v_and_b32_e32 v190, s98, v69
	v_mad_u32_u24 v69, v190, 20, v171
	; wave barrier
	ds_read_b32 v188, v69 offset:528
	v_and_b32_e32 v69, 1, v190
	v_add_co_u32_e32 v70, vcc, -1, v69
	v_addc_co_u32_e64 v192, s[8:9], 0, -1, vcc
	v_cmp_ne_u32_e32 vcc, 0, v69
	v_xor_b32_e32 v69, vcc_hi, v192
	v_xor_b32_e32 v70, vcc_lo, v70
	v_and_b32_e32 v192, exec_hi, v69
	v_and_b32_e32 v193, exec_lo, v70
	v_lshlrev_b32_e32 v70, 30, v190
	v_mov_b32_e32 v69, v3
	v_cmp_gt_i64_e32 vcc, 0, v[69:70]
	v_not_b32_e32 v69, v70
	v_ashrrev_i32_e32 v69, 31, v69
	v_xor_b32_e32 v70, vcc_hi, v69
	v_xor_b32_e32 v69, vcc_lo, v69
	v_and_b32_e32 v192, v192, v70
	v_and_b32_e32 v193, v193, v69
	v_lshlrev_b32_e32 v70, 29, v190
	v_mov_b32_e32 v69, v3
	v_cmp_gt_i64_e32 vcc, 0, v[69:70]
	v_not_b32_e32 v69, v70
	v_ashrrev_i32_e32 v69, 31, v69
	v_xor_b32_e32 v70, vcc_hi, v69
	v_xor_b32_e32 v69, vcc_lo, v69
	v_and_b32_e32 v192, v192, v70
	v_and_b32_e32 v193, v193, v69
	v_lshlrev_b32_e32 v70, 28, v190
	v_mov_b32_e32 v69, v3
	v_cmp_gt_i64_e32 vcc, 0, v[69:70]
	v_not_b32_e32 v69, v70
	v_ashrrev_i32_e32 v69, 31, v69
	v_xor_b32_e32 v70, vcc_hi, v69
	v_xor_b32_e32 v69, vcc_lo, v69
	v_and_b32_e32 v192, v192, v70
	v_and_b32_e32 v193, v193, v69
	v_lshlrev_b32_e32 v70, 27, v190
	v_mov_b32_e32 v69, v3
	v_cmp_gt_i64_e32 vcc, 0, v[69:70]
	v_not_b32_e32 v69, v70
	v_ashrrev_i32_e32 v69, 31, v69
	v_xor_b32_e32 v70, vcc_hi, v69
	v_xor_b32_e32 v69, vcc_lo, v69
	v_and_b32_e32 v192, v192, v70
	v_and_b32_e32 v193, v193, v69
	v_lshlrev_b32_e32 v70, 26, v190
	v_mov_b32_e32 v69, v3
	v_cmp_gt_i64_e32 vcc, 0, v[69:70]
	v_not_b32_e32 v69, v70
	v_ashrrev_i32_e32 v69, 31, v69
	v_xor_b32_e32 v70, vcc_hi, v69
	v_xor_b32_e32 v69, vcc_lo, v69
	v_and_b32_e32 v192, v192, v70
	v_and_b32_e32 v193, v193, v69
	v_lshlrev_b32_e32 v70, 25, v190
	v_mov_b32_e32 v69, v3
	v_cmp_gt_i64_e32 vcc, 0, v[69:70]
	v_not_b32_e32 v69, v70
	v_ashrrev_i32_e32 v69, 31, v69
	v_xor_b32_e32 v70, vcc_hi, v69
	v_xor_b32_e32 v69, vcc_lo, v69
	v_and_b32_e32 v69, v193, v69
	v_mul_u32_u24_e32 v191, 20, v190
	v_and_b32_e32 v70, v192, v70
	v_mbcnt_lo_u32_b32 v190, v69, 0
	v_mbcnt_hi_u32_b32 v190, v70, v190
	v_cmp_ne_u64_e32 vcc, 0, v[69:70]
	v_cmp_eq_u32_e64 s[42:43], 0, v190
	s_and_b64 s[8:9], vcc, s[42:43]
	v_add_u32_e32 v192, v171, v191
	; wave barrier
	s_and_saveexec_b64 s[42:43], s[8:9]
	s_cbranch_execz .LBB709_1028
; %bb.1027:                             ;   in Loop: Header=BB709_980 Depth=2
	v_bcnt_u32_b32 v69, v69, 0
	v_bcnt_u32_b32 v69, v70, v69
	s_waitcnt lgkmcnt(0)
	v_add_u32_e32 v69, v188, v69
	ds_write_b32 v192, v69 offset:528
.LBB709_1028:                           ;   in Loop: Header=BB709_980 Depth=2
	s_or_b64 exec, exec, s[42:43]
	v_xor_b32_e32 v62, 0x7fffffff, v62
	v_not_b32_e32 v61, v61
	v_lshrrev_b64 v[69:70], s7, v[61:62]
	v_and_b32_e32 v193, s98, v69
	v_mad_u32_u24 v69, v193, 20, v171
	; wave barrier
	ds_read_b32 v191, v69 offset:528
	v_and_b32_e32 v69, 1, v193
	v_add_co_u32_e32 v70, vcc, -1, v69
	v_addc_co_u32_e64 v195, s[8:9], 0, -1, vcc
	v_cmp_ne_u32_e32 vcc, 0, v69
	v_xor_b32_e32 v69, vcc_hi, v195
	v_xor_b32_e32 v70, vcc_lo, v70
	v_and_b32_e32 v195, exec_hi, v69
	v_and_b32_e32 v196, exec_lo, v70
	v_lshlrev_b32_e32 v70, 30, v193
	v_mov_b32_e32 v69, v3
	v_cmp_gt_i64_e32 vcc, 0, v[69:70]
	v_not_b32_e32 v69, v70
	v_ashrrev_i32_e32 v69, 31, v69
	v_xor_b32_e32 v70, vcc_hi, v69
	v_xor_b32_e32 v69, vcc_lo, v69
	v_and_b32_e32 v195, v195, v70
	v_and_b32_e32 v196, v196, v69
	v_lshlrev_b32_e32 v70, 29, v193
	v_mov_b32_e32 v69, v3
	v_cmp_gt_i64_e32 vcc, 0, v[69:70]
	v_not_b32_e32 v69, v70
	v_ashrrev_i32_e32 v69, 31, v69
	v_xor_b32_e32 v70, vcc_hi, v69
	v_xor_b32_e32 v69, vcc_lo, v69
	v_and_b32_e32 v195, v195, v70
	v_and_b32_e32 v196, v196, v69
	;; [unrolled: 9-line block ×5, first 2 shown]
	v_lshlrev_b32_e32 v70, 25, v193
	v_mov_b32_e32 v69, v3
	v_cmp_gt_i64_e32 vcc, 0, v[69:70]
	v_not_b32_e32 v69, v70
	v_ashrrev_i32_e32 v69, 31, v69
	v_xor_b32_e32 v70, vcc_hi, v69
	v_xor_b32_e32 v69, vcc_lo, v69
	v_and_b32_e32 v69, v196, v69
	v_mul_u32_u24_e32 v194, 20, v193
	v_and_b32_e32 v70, v195, v70
	v_mbcnt_lo_u32_b32 v193, v69, 0
	v_mbcnt_hi_u32_b32 v193, v70, v193
	v_cmp_ne_u64_e32 vcc, 0, v[69:70]
	v_cmp_eq_u32_e64 s[42:43], 0, v193
	s_and_b64 s[8:9], vcc, s[42:43]
	v_add_u32_e32 v195, v171, v194
	; wave barrier
	s_and_saveexec_b64 s[42:43], s[8:9]
	s_cbranch_execz .LBB709_1030
; %bb.1029:                             ;   in Loop: Header=BB709_980 Depth=2
	v_bcnt_u32_b32 v69, v69, 0
	v_bcnt_u32_b32 v69, v70, v69
	s_waitcnt lgkmcnt(0)
	v_add_u32_e32 v69, v191, v69
	ds_write_b32 v195, v69 offset:528
.LBB709_1030:                           ;   in Loop: Header=BB709_980 Depth=2
	s_or_b64 exec, exec, s[42:43]
	v_xor_b32_e32 v68, 0x7fffffff, v68
	v_not_b32_e32 v67, v67
	v_lshrrev_b64 v[69:70], s7, v[67:68]
	v_and_b32_e32 v196, s98, v69
	v_mad_u32_u24 v69, v196, 20, v171
	; wave barrier
	ds_read_b32 v194, v69 offset:528
	v_and_b32_e32 v69, 1, v196
	v_add_co_u32_e32 v70, vcc, -1, v69
	v_addc_co_u32_e64 v198, s[8:9], 0, -1, vcc
	v_cmp_ne_u32_e32 vcc, 0, v69
	v_xor_b32_e32 v69, vcc_hi, v198
	v_xor_b32_e32 v70, vcc_lo, v70
	v_and_b32_e32 v198, exec_hi, v69
	v_and_b32_e32 v199, exec_lo, v70
	v_lshlrev_b32_e32 v70, 30, v196
	v_mov_b32_e32 v69, v3
	v_cmp_gt_i64_e32 vcc, 0, v[69:70]
	v_not_b32_e32 v69, v70
	v_ashrrev_i32_e32 v69, 31, v69
	v_xor_b32_e32 v70, vcc_hi, v69
	v_xor_b32_e32 v69, vcc_lo, v69
	v_and_b32_e32 v198, v198, v70
	v_and_b32_e32 v199, v199, v69
	v_lshlrev_b32_e32 v70, 29, v196
	v_mov_b32_e32 v69, v3
	v_cmp_gt_i64_e32 vcc, 0, v[69:70]
	v_not_b32_e32 v69, v70
	v_ashrrev_i32_e32 v69, 31, v69
	v_xor_b32_e32 v70, vcc_hi, v69
	v_xor_b32_e32 v69, vcc_lo, v69
	v_and_b32_e32 v198, v198, v70
	v_and_b32_e32 v199, v199, v69
	;; [unrolled: 9-line block ×5, first 2 shown]
	v_lshlrev_b32_e32 v70, 25, v196
	v_mov_b32_e32 v69, v3
	v_cmp_gt_i64_e32 vcc, 0, v[69:70]
	v_not_b32_e32 v69, v70
	v_ashrrev_i32_e32 v69, 31, v69
	v_xor_b32_e32 v70, vcc_hi, v69
	v_xor_b32_e32 v69, vcc_lo, v69
	v_and_b32_e32 v69, v199, v69
	v_mul_u32_u24_e32 v197, 20, v196
	v_and_b32_e32 v70, v198, v70
	v_mbcnt_lo_u32_b32 v196, v69, 0
	v_mbcnt_hi_u32_b32 v196, v70, v196
	v_cmp_ne_u64_e32 vcc, 0, v[69:70]
	v_cmp_eq_u32_e64 s[42:43], 0, v196
	s_and_b64 s[8:9], vcc, s[42:43]
	v_add_u32_e32 v198, v171, v197
	; wave barrier
	s_and_saveexec_b64 s[42:43], s[8:9]
	s_cbranch_execz .LBB709_1032
; %bb.1031:                             ;   in Loop: Header=BB709_980 Depth=2
	v_bcnt_u32_b32 v69, v69, 0
	v_bcnt_u32_b32 v69, v70, v69
	s_waitcnt lgkmcnt(0)
	v_add_u32_e32 v69, v194, v69
	ds_write_b32 v198, v69 offset:528
.LBB709_1032:                           ;   in Loop: Header=BB709_980 Depth=2
	s_or_b64 exec, exec, s[42:43]
	v_xor_b32_e32 v66, 0x7fffffff, v66
	v_not_b32_e32 v65, v65
	v_lshrrev_b64 v[69:70], s7, v[65:66]
	v_and_b32_e32 v199, s98, v69
	v_mad_u32_u24 v69, v199, 20, v171
	; wave barrier
	ds_read_b32 v197, v69 offset:528
	v_and_b32_e32 v69, 1, v199
	v_add_co_u32_e32 v70, vcc, -1, v69
	v_addc_co_u32_e64 v201, s[8:9], 0, -1, vcc
	v_cmp_ne_u32_e32 vcc, 0, v69
	v_xor_b32_e32 v69, vcc_hi, v201
	v_xor_b32_e32 v70, vcc_lo, v70
	v_and_b32_e32 v201, exec_hi, v69
	v_and_b32_e32 v202, exec_lo, v70
	v_lshlrev_b32_e32 v70, 30, v199
	v_mov_b32_e32 v69, v3
	v_cmp_gt_i64_e32 vcc, 0, v[69:70]
	v_not_b32_e32 v69, v70
	v_ashrrev_i32_e32 v69, 31, v69
	v_xor_b32_e32 v70, vcc_hi, v69
	v_xor_b32_e32 v69, vcc_lo, v69
	v_and_b32_e32 v201, v201, v70
	v_and_b32_e32 v202, v202, v69
	v_lshlrev_b32_e32 v70, 29, v199
	v_mov_b32_e32 v69, v3
	v_cmp_gt_i64_e32 vcc, 0, v[69:70]
	v_not_b32_e32 v69, v70
	v_ashrrev_i32_e32 v69, 31, v69
	v_xor_b32_e32 v70, vcc_hi, v69
	v_xor_b32_e32 v69, vcc_lo, v69
	v_and_b32_e32 v201, v201, v70
	v_and_b32_e32 v202, v202, v69
	;; [unrolled: 9-line block ×5, first 2 shown]
	v_lshlrev_b32_e32 v70, 25, v199
	v_mov_b32_e32 v69, v3
	v_cmp_gt_i64_e32 vcc, 0, v[69:70]
	v_not_b32_e32 v69, v70
	v_ashrrev_i32_e32 v69, 31, v69
	v_xor_b32_e32 v70, vcc_hi, v69
	v_xor_b32_e32 v69, vcc_lo, v69
	v_and_b32_e32 v69, v202, v69
	v_mul_u32_u24_e32 v200, 20, v199
	v_and_b32_e32 v70, v201, v70
	v_mbcnt_lo_u32_b32 v199, v69, 0
	v_mbcnt_hi_u32_b32 v199, v70, v199
	v_cmp_ne_u64_e32 vcc, 0, v[69:70]
	v_cmp_eq_u32_e64 s[42:43], 0, v199
	s_and_b64 s[8:9], vcc, s[42:43]
	v_add_u32_e32 v201, v171, v200
	; wave barrier
	s_and_saveexec_b64 s[42:43], s[8:9]
	s_cbranch_execz .LBB709_1034
; %bb.1033:                             ;   in Loop: Header=BB709_980 Depth=2
	v_bcnt_u32_b32 v69, v69, 0
	v_bcnt_u32_b32 v69, v70, v69
	s_waitcnt lgkmcnt(0)
	v_add_u32_e32 v69, v197, v69
	ds_write_b32 v201, v69 offset:528
.LBB709_1034:                           ;   in Loop: Header=BB709_980 Depth=2
	s_or_b64 exec, exec, s[42:43]
	v_xor_b32_e32 v64, 0x7fffffff, v64
	v_not_b32_e32 v63, v63
	v_lshrrev_b64 v[69:70], s7, v[63:64]
	v_and_b32_e32 v202, s98, v69
	v_mad_u32_u24 v69, v202, 20, v171
	; wave barrier
	ds_read_b32 v200, v69 offset:528
	v_and_b32_e32 v69, 1, v202
	v_add_co_u32_e32 v70, vcc, -1, v69
	v_addc_co_u32_e64 v204, s[8:9], 0, -1, vcc
	v_cmp_ne_u32_e32 vcc, 0, v69
	v_xor_b32_e32 v69, vcc_hi, v204
	v_xor_b32_e32 v70, vcc_lo, v70
	v_and_b32_e32 v204, exec_hi, v69
	v_and_b32_e32 v205, exec_lo, v70
	v_lshlrev_b32_e32 v70, 30, v202
	v_mov_b32_e32 v69, v3
	v_cmp_gt_i64_e32 vcc, 0, v[69:70]
	v_not_b32_e32 v69, v70
	v_ashrrev_i32_e32 v69, 31, v69
	v_xor_b32_e32 v70, vcc_hi, v69
	v_xor_b32_e32 v69, vcc_lo, v69
	v_and_b32_e32 v204, v204, v70
	v_and_b32_e32 v205, v205, v69
	v_lshlrev_b32_e32 v70, 29, v202
	v_mov_b32_e32 v69, v3
	v_cmp_gt_i64_e32 vcc, 0, v[69:70]
	v_not_b32_e32 v69, v70
	v_ashrrev_i32_e32 v69, 31, v69
	v_xor_b32_e32 v70, vcc_hi, v69
	v_xor_b32_e32 v69, vcc_lo, v69
	v_and_b32_e32 v204, v204, v70
	v_and_b32_e32 v205, v205, v69
	;; [unrolled: 9-line block ×5, first 2 shown]
	v_lshlrev_b32_e32 v70, 25, v202
	v_mov_b32_e32 v69, v3
	v_cmp_gt_i64_e32 vcc, 0, v[69:70]
	v_not_b32_e32 v69, v70
	v_ashrrev_i32_e32 v69, 31, v69
	v_xor_b32_e32 v70, vcc_hi, v69
	v_xor_b32_e32 v69, vcc_lo, v69
	v_and_b32_e32 v69, v205, v69
	v_mul_u32_u24_e32 v203, 20, v202
	v_and_b32_e32 v70, v204, v70
	v_mbcnt_lo_u32_b32 v202, v69, 0
	v_mbcnt_hi_u32_b32 v202, v70, v202
	v_cmp_ne_u64_e32 vcc, 0, v[69:70]
	v_cmp_eq_u32_e64 s[42:43], 0, v202
	s_and_b64 s[8:9], vcc, s[42:43]
	v_add_u32_e32 v205, v171, v203
	; wave barrier
	s_and_saveexec_b64 s[42:43], s[8:9]
	s_cbranch_execz .LBB709_1036
; %bb.1035:                             ;   in Loop: Header=BB709_980 Depth=2
	v_bcnt_u32_b32 v69, v69, 0
	v_bcnt_u32_b32 v69, v70, v69
	s_waitcnt lgkmcnt(0)
	v_add_u32_e32 v69, v200, v69
	ds_write_b32 v205, v69 offset:528
.LBB709_1036:                           ;   in Loop: Header=BB709_980 Depth=2
	s_or_b64 exec, exec, s[42:43]
	v_xor_b32_e32 v60, 0x7fffffff, v60
	v_not_b32_e32 v59, v59
	v_lshrrev_b64 v[69:70], s7, v[59:60]
	v_and_b32_e32 v204, s98, v69
	v_mad_u32_u24 v69, v204, 20, v171
	; wave barrier
	ds_read_b32 v203, v69 offset:528
	v_and_b32_e32 v69, 1, v204
	v_add_co_u32_e32 v70, vcc, -1, v69
	v_addc_co_u32_e64 v207, s[8:9], 0, -1, vcc
	v_cmp_ne_u32_e32 vcc, 0, v69
	v_xor_b32_e32 v69, vcc_hi, v207
	v_xor_b32_e32 v70, vcc_lo, v70
	v_and_b32_e32 v207, exec_hi, v69
	v_and_b32_e32 v208, exec_lo, v70
	v_lshlrev_b32_e32 v70, 30, v204
	v_mov_b32_e32 v69, v3
	v_cmp_gt_i64_e32 vcc, 0, v[69:70]
	v_not_b32_e32 v69, v70
	v_ashrrev_i32_e32 v69, 31, v69
	v_xor_b32_e32 v70, vcc_hi, v69
	v_xor_b32_e32 v69, vcc_lo, v69
	v_and_b32_e32 v207, v207, v70
	v_and_b32_e32 v208, v208, v69
	v_lshlrev_b32_e32 v70, 29, v204
	v_mov_b32_e32 v69, v3
	v_cmp_gt_i64_e32 vcc, 0, v[69:70]
	v_not_b32_e32 v69, v70
	v_ashrrev_i32_e32 v69, 31, v69
	v_xor_b32_e32 v70, vcc_hi, v69
	v_xor_b32_e32 v69, vcc_lo, v69
	v_and_b32_e32 v207, v207, v70
	v_and_b32_e32 v208, v208, v69
	;; [unrolled: 9-line block ×5, first 2 shown]
	v_lshlrev_b32_e32 v70, 25, v204
	v_mov_b32_e32 v69, v3
	v_cmp_gt_i64_e32 vcc, 0, v[69:70]
	v_not_b32_e32 v69, v70
	v_ashrrev_i32_e32 v69, 31, v69
	v_xor_b32_e32 v70, vcc_hi, v69
	v_xor_b32_e32 v69, vcc_lo, v69
	v_and_b32_e32 v69, v208, v69
	v_mul_u32_u24_e32 v206, 20, v204
	v_and_b32_e32 v70, v207, v70
	v_mbcnt_lo_u32_b32 v204, v69, 0
	v_mbcnt_hi_u32_b32 v204, v70, v204
	v_cmp_ne_u64_e32 vcc, 0, v[69:70]
	v_cmp_eq_u32_e64 s[42:43], 0, v204
	s_and_b64 s[8:9], vcc, s[42:43]
	v_add_u32_e32 v208, v171, v206
	; wave barrier
	s_and_saveexec_b64 s[42:43], s[8:9]
	s_cbranch_execz .LBB709_1038
; %bb.1037:                             ;   in Loop: Header=BB709_980 Depth=2
	v_bcnt_u32_b32 v69, v69, 0
	v_bcnt_u32_b32 v69, v70, v69
	s_waitcnt lgkmcnt(0)
	v_add_u32_e32 v69, v203, v69
	ds_write_b32 v208, v69 offset:528
.LBB709_1038:                           ;   in Loop: Header=BB709_980 Depth=2
	s_or_b64 exec, exec, s[42:43]
	v_xor_b32_e32 v56, 0x7fffffff, v56
	v_not_b32_e32 v55, v55
	v_lshrrev_b64 v[69:70], s7, v[55:56]
	v_and_b32_e32 v207, s98, v69
	v_mad_u32_u24 v69, v207, 20, v171
	; wave barrier
	ds_read_b32 v206, v69 offset:528
	v_and_b32_e32 v69, 1, v207
	v_add_co_u32_e32 v70, vcc, -1, v69
	v_addc_co_u32_e64 v210, s[8:9], 0, -1, vcc
	v_cmp_ne_u32_e32 vcc, 0, v69
	v_xor_b32_e32 v69, vcc_hi, v210
	v_xor_b32_e32 v70, vcc_lo, v70
	v_and_b32_e32 v210, exec_hi, v69
	v_and_b32_e32 v211, exec_lo, v70
	v_lshlrev_b32_e32 v70, 30, v207
	v_mov_b32_e32 v69, v3
	v_cmp_gt_i64_e32 vcc, 0, v[69:70]
	v_not_b32_e32 v69, v70
	v_ashrrev_i32_e32 v69, 31, v69
	v_xor_b32_e32 v70, vcc_hi, v69
	v_xor_b32_e32 v69, vcc_lo, v69
	v_and_b32_e32 v210, v210, v70
	v_and_b32_e32 v211, v211, v69
	v_lshlrev_b32_e32 v70, 29, v207
	v_mov_b32_e32 v69, v3
	v_cmp_gt_i64_e32 vcc, 0, v[69:70]
	v_not_b32_e32 v69, v70
	v_ashrrev_i32_e32 v69, 31, v69
	v_xor_b32_e32 v70, vcc_hi, v69
	v_xor_b32_e32 v69, vcc_lo, v69
	v_and_b32_e32 v210, v210, v70
	v_and_b32_e32 v211, v211, v69
	;; [unrolled: 9-line block ×5, first 2 shown]
	v_lshlrev_b32_e32 v70, 25, v207
	v_mov_b32_e32 v69, v3
	v_cmp_gt_i64_e32 vcc, 0, v[69:70]
	v_not_b32_e32 v69, v70
	v_ashrrev_i32_e32 v69, 31, v69
	v_xor_b32_e32 v70, vcc_hi, v69
	v_xor_b32_e32 v69, vcc_lo, v69
	v_and_b32_e32 v69, v211, v69
	v_mul_u32_u24_e32 v209, 20, v207
	v_and_b32_e32 v70, v210, v70
	v_mbcnt_lo_u32_b32 v207, v69, 0
	v_mbcnt_hi_u32_b32 v207, v70, v207
	v_cmp_ne_u64_e32 vcc, 0, v[69:70]
	v_cmp_eq_u32_e64 s[42:43], 0, v207
	s_and_b64 s[8:9], vcc, s[42:43]
	v_add_u32_e32 v211, v171, v209
	; wave barrier
	s_and_saveexec_b64 s[42:43], s[8:9]
	s_cbranch_execz .LBB709_1040
; %bb.1039:                             ;   in Loop: Header=BB709_980 Depth=2
	v_bcnt_u32_b32 v69, v69, 0
	v_bcnt_u32_b32 v69, v70, v69
	s_waitcnt lgkmcnt(0)
	v_add_u32_e32 v69, v206, v69
	ds_write_b32 v211, v69 offset:528
.LBB709_1040:                           ;   in Loop: Header=BB709_980 Depth=2
	s_or_b64 exec, exec, s[42:43]
	v_xor_b32_e32 v52, 0x7fffffff, v52
	v_not_b32_e32 v51, v51
	v_lshrrev_b64 v[69:70], s7, v[51:52]
	v_and_b32_e32 v210, s98, v69
	v_mad_u32_u24 v69, v210, 20, v171
	; wave barrier
	ds_read_b32 v209, v69 offset:528
	v_and_b32_e32 v69, 1, v210
	v_add_co_u32_e32 v70, vcc, -1, v69
	v_addc_co_u32_e64 v213, s[8:9], 0, -1, vcc
	v_cmp_ne_u32_e32 vcc, 0, v69
	v_xor_b32_e32 v69, vcc_hi, v213
	v_xor_b32_e32 v70, vcc_lo, v70
	v_and_b32_e32 v213, exec_hi, v69
	v_and_b32_e32 v214, exec_lo, v70
	v_lshlrev_b32_e32 v70, 30, v210
	v_mov_b32_e32 v69, v3
	v_cmp_gt_i64_e32 vcc, 0, v[69:70]
	v_not_b32_e32 v69, v70
	v_ashrrev_i32_e32 v69, 31, v69
	v_xor_b32_e32 v70, vcc_hi, v69
	v_xor_b32_e32 v69, vcc_lo, v69
	v_and_b32_e32 v213, v213, v70
	v_and_b32_e32 v214, v214, v69
	v_lshlrev_b32_e32 v70, 29, v210
	v_mov_b32_e32 v69, v3
	v_cmp_gt_i64_e32 vcc, 0, v[69:70]
	v_not_b32_e32 v69, v70
	v_ashrrev_i32_e32 v69, 31, v69
	v_xor_b32_e32 v70, vcc_hi, v69
	v_xor_b32_e32 v69, vcc_lo, v69
	v_and_b32_e32 v213, v213, v70
	v_and_b32_e32 v214, v214, v69
	;; [unrolled: 9-line block ×5, first 2 shown]
	v_lshlrev_b32_e32 v70, 25, v210
	v_mov_b32_e32 v69, v3
	v_cmp_gt_i64_e32 vcc, 0, v[69:70]
	v_not_b32_e32 v69, v70
	v_ashrrev_i32_e32 v69, 31, v69
	v_xor_b32_e32 v70, vcc_hi, v69
	v_xor_b32_e32 v69, vcc_lo, v69
	v_and_b32_e32 v69, v214, v69
	v_mul_u32_u24_e32 v212, 20, v210
	v_and_b32_e32 v70, v213, v70
	v_mbcnt_lo_u32_b32 v210, v69, 0
	v_mbcnt_hi_u32_b32 v210, v70, v210
	v_cmp_ne_u64_e32 vcc, 0, v[69:70]
	v_cmp_eq_u32_e64 s[42:43], 0, v210
	s_and_b64 s[8:9], vcc, s[42:43]
	v_add_u32_e32 v214, v171, v212
	; wave barrier
	s_and_saveexec_b64 s[42:43], s[8:9]
	s_cbranch_execz .LBB709_1042
; %bb.1041:                             ;   in Loop: Header=BB709_980 Depth=2
	v_bcnt_u32_b32 v69, v69, 0
	v_bcnt_u32_b32 v69, v70, v69
	s_waitcnt lgkmcnt(0)
	v_add_u32_e32 v69, v209, v69
	ds_write_b32 v214, v69 offset:528
.LBB709_1042:                           ;   in Loop: Header=BB709_980 Depth=2
	s_or_b64 exec, exec, s[42:43]
	v_xor_b32_e32 v48, 0x7fffffff, v48
	v_not_b32_e32 v47, v47
	v_lshrrev_b64 v[69:70], s7, v[47:48]
	v_and_b32_e32 v213, s98, v69
	v_mad_u32_u24 v69, v213, 20, v171
	; wave barrier
	ds_read_b32 v212, v69 offset:528
	v_and_b32_e32 v69, 1, v213
	v_add_co_u32_e32 v70, vcc, -1, v69
	v_addc_co_u32_e64 v216, s[8:9], 0, -1, vcc
	v_cmp_ne_u32_e32 vcc, 0, v69
	v_xor_b32_e32 v69, vcc_hi, v216
	v_xor_b32_e32 v70, vcc_lo, v70
	v_and_b32_e32 v216, exec_hi, v69
	v_and_b32_e32 v217, exec_lo, v70
	v_lshlrev_b32_e32 v70, 30, v213
	v_mov_b32_e32 v69, v3
	v_cmp_gt_i64_e32 vcc, 0, v[69:70]
	v_not_b32_e32 v69, v70
	v_ashrrev_i32_e32 v69, 31, v69
	v_xor_b32_e32 v70, vcc_hi, v69
	v_xor_b32_e32 v69, vcc_lo, v69
	v_and_b32_e32 v216, v216, v70
	v_and_b32_e32 v217, v217, v69
	v_lshlrev_b32_e32 v70, 29, v213
	v_mov_b32_e32 v69, v3
	v_cmp_gt_i64_e32 vcc, 0, v[69:70]
	v_not_b32_e32 v69, v70
	v_ashrrev_i32_e32 v69, 31, v69
	v_xor_b32_e32 v70, vcc_hi, v69
	v_xor_b32_e32 v69, vcc_lo, v69
	v_and_b32_e32 v216, v216, v70
	v_and_b32_e32 v217, v217, v69
	;; [unrolled: 9-line block ×5, first 2 shown]
	v_lshlrev_b32_e32 v70, 25, v213
	v_mov_b32_e32 v69, v3
	v_cmp_gt_i64_e32 vcc, 0, v[69:70]
	v_not_b32_e32 v69, v70
	v_ashrrev_i32_e32 v69, 31, v69
	v_xor_b32_e32 v70, vcc_hi, v69
	v_xor_b32_e32 v69, vcc_lo, v69
	v_and_b32_e32 v69, v217, v69
	v_mul_u32_u24_e32 v215, 20, v213
	v_and_b32_e32 v70, v216, v70
	v_mbcnt_lo_u32_b32 v213, v69, 0
	v_mbcnt_hi_u32_b32 v213, v70, v213
	v_cmp_ne_u64_e32 vcc, 0, v[69:70]
	v_cmp_eq_u32_e64 s[42:43], 0, v213
	s_and_b64 s[8:9], vcc, s[42:43]
	v_add_u32_e32 v217, v171, v215
	; wave barrier
	s_and_saveexec_b64 s[42:43], s[8:9]
	s_cbranch_execz .LBB709_1044
; %bb.1043:                             ;   in Loop: Header=BB709_980 Depth=2
	v_bcnt_u32_b32 v69, v69, 0
	v_bcnt_u32_b32 v69, v70, v69
	s_waitcnt lgkmcnt(0)
	v_add_u32_e32 v69, v212, v69
	ds_write_b32 v217, v69 offset:528
.LBB709_1044:                           ;   in Loop: Header=BB709_980 Depth=2
	s_or_b64 exec, exec, s[42:43]
	v_xor_b32_e32 v44, 0x7fffffff, v44
	v_not_b32_e32 v43, v43
	v_lshrrev_b64 v[69:70], s7, v[43:44]
	v_and_b32_e32 v216, s98, v69
	v_mad_u32_u24 v69, v216, 20, v171
	; wave barrier
	ds_read_b32 v215, v69 offset:528
	v_and_b32_e32 v69, 1, v216
	v_add_co_u32_e32 v70, vcc, -1, v69
	v_addc_co_u32_e64 v219, s[8:9], 0, -1, vcc
	v_cmp_ne_u32_e32 vcc, 0, v69
	v_xor_b32_e32 v69, vcc_hi, v219
	v_xor_b32_e32 v70, vcc_lo, v70
	v_and_b32_e32 v219, exec_hi, v69
	v_and_b32_e32 v220, exec_lo, v70
	v_lshlrev_b32_e32 v70, 30, v216
	v_mov_b32_e32 v69, v3
	v_cmp_gt_i64_e32 vcc, 0, v[69:70]
	v_not_b32_e32 v69, v70
	v_ashrrev_i32_e32 v69, 31, v69
	v_xor_b32_e32 v70, vcc_hi, v69
	v_xor_b32_e32 v69, vcc_lo, v69
	v_and_b32_e32 v219, v219, v70
	v_and_b32_e32 v220, v220, v69
	v_lshlrev_b32_e32 v70, 29, v216
	v_mov_b32_e32 v69, v3
	v_cmp_gt_i64_e32 vcc, 0, v[69:70]
	v_not_b32_e32 v69, v70
	v_ashrrev_i32_e32 v69, 31, v69
	v_xor_b32_e32 v70, vcc_hi, v69
	v_xor_b32_e32 v69, vcc_lo, v69
	v_and_b32_e32 v219, v219, v70
	v_and_b32_e32 v220, v220, v69
	;; [unrolled: 9-line block ×5, first 2 shown]
	v_lshlrev_b32_e32 v70, 25, v216
	v_mov_b32_e32 v69, v3
	v_cmp_gt_i64_e32 vcc, 0, v[69:70]
	v_not_b32_e32 v69, v70
	v_ashrrev_i32_e32 v69, 31, v69
	v_xor_b32_e32 v70, vcc_hi, v69
	v_xor_b32_e32 v69, vcc_lo, v69
	v_and_b32_e32 v69, v220, v69
	v_mul_u32_u24_e32 v218, 20, v216
	v_and_b32_e32 v70, v219, v70
	v_mbcnt_lo_u32_b32 v216, v69, 0
	v_mbcnt_hi_u32_b32 v216, v70, v216
	v_cmp_ne_u64_e32 vcc, 0, v[69:70]
	v_cmp_eq_u32_e64 s[42:43], 0, v216
	s_and_b64 s[8:9], vcc, s[42:43]
	v_add_u32_e32 v220, v171, v218
	; wave barrier
	s_and_saveexec_b64 s[42:43], s[8:9]
	s_cbranch_execz .LBB709_1046
; %bb.1045:                             ;   in Loop: Header=BB709_980 Depth=2
	v_bcnt_u32_b32 v69, v69, 0
	v_bcnt_u32_b32 v69, v70, v69
	s_waitcnt lgkmcnt(0)
	v_add_u32_e32 v69, v215, v69
	ds_write_b32 v220, v69 offset:528
.LBB709_1046:                           ;   in Loop: Header=BB709_980 Depth=2
	s_or_b64 exec, exec, s[42:43]
	v_lshrrev_b64 v[69:70], s7, v[37:38]
	v_and_b32_e32 v219, s98, v69
	v_mad_u32_u24 v69, v219, 20, v171
	; wave barrier
	ds_read_b32 v218, v69 offset:528
	v_and_b32_e32 v69, 1, v219
	v_add_co_u32_e32 v70, vcc, -1, v69
	v_addc_co_u32_e64 v222, s[8:9], 0, -1, vcc
	v_cmp_ne_u32_e32 vcc, 0, v69
	v_xor_b32_e32 v69, vcc_hi, v222
	v_xor_b32_e32 v70, vcc_lo, v70
	v_and_b32_e32 v222, exec_hi, v69
	v_and_b32_e32 v223, exec_lo, v70
	v_lshlrev_b32_e32 v70, 30, v219
	v_mov_b32_e32 v69, v3
	v_cmp_gt_i64_e32 vcc, 0, v[69:70]
	v_not_b32_e32 v69, v70
	v_ashrrev_i32_e32 v69, 31, v69
	v_xor_b32_e32 v70, vcc_hi, v69
	v_xor_b32_e32 v69, vcc_lo, v69
	v_and_b32_e32 v222, v222, v70
	v_and_b32_e32 v223, v223, v69
	v_lshlrev_b32_e32 v70, 29, v219
	v_mov_b32_e32 v69, v3
	v_cmp_gt_i64_e32 vcc, 0, v[69:70]
	v_not_b32_e32 v69, v70
	v_ashrrev_i32_e32 v69, 31, v69
	v_xor_b32_e32 v70, vcc_hi, v69
	v_xor_b32_e32 v69, vcc_lo, v69
	v_and_b32_e32 v222, v222, v70
	v_and_b32_e32 v223, v223, v69
	v_lshlrev_b32_e32 v70, 28, v219
	v_mov_b32_e32 v69, v3
	v_cmp_gt_i64_e32 vcc, 0, v[69:70]
	v_not_b32_e32 v69, v70
	v_ashrrev_i32_e32 v69, 31, v69
	v_xor_b32_e32 v70, vcc_hi, v69
	v_xor_b32_e32 v69, vcc_lo, v69
	v_and_b32_e32 v222, v222, v70
	v_and_b32_e32 v223, v223, v69
	v_lshlrev_b32_e32 v70, 27, v219
	v_mov_b32_e32 v69, v3
	v_cmp_gt_i64_e32 vcc, 0, v[69:70]
	v_not_b32_e32 v69, v70
	v_ashrrev_i32_e32 v69, 31, v69
	v_xor_b32_e32 v70, vcc_hi, v69
	v_xor_b32_e32 v69, vcc_lo, v69
	v_and_b32_e32 v222, v222, v70
	v_and_b32_e32 v223, v223, v69
	v_lshlrev_b32_e32 v70, 26, v219
	v_mov_b32_e32 v69, v3
	v_cmp_gt_i64_e32 vcc, 0, v[69:70]
	v_not_b32_e32 v69, v70
	v_ashrrev_i32_e32 v69, 31, v69
	v_xor_b32_e32 v70, vcc_hi, v69
	v_xor_b32_e32 v69, vcc_lo, v69
	v_and_b32_e32 v222, v222, v70
	v_and_b32_e32 v223, v223, v69
	v_lshlrev_b32_e32 v70, 25, v219
	v_mov_b32_e32 v69, v3
	v_cmp_gt_i64_e32 vcc, 0, v[69:70]
	v_not_b32_e32 v69, v70
	v_ashrrev_i32_e32 v69, 31, v69
	v_xor_b32_e32 v70, vcc_hi, v69
	v_xor_b32_e32 v69, vcc_lo, v69
	v_and_b32_e32 v69, v223, v69
	v_mul_u32_u24_e32 v221, 20, v219
	v_and_b32_e32 v70, v222, v70
	v_mbcnt_lo_u32_b32 v219, v69, 0
	v_mbcnt_hi_u32_b32 v219, v70, v219
	v_cmp_ne_u64_e32 vcc, 0, v[69:70]
	v_cmp_eq_u32_e64 s[42:43], 0, v219
	s_and_b64 s[8:9], vcc, s[42:43]
	v_add_u32_e32 v221, v171, v221
	; wave barrier
	s_and_saveexec_b64 s[42:43], s[8:9]
	s_cbranch_execz .LBB709_1048
; %bb.1047:                             ;   in Loop: Header=BB709_980 Depth=2
	v_bcnt_u32_b32 v69, v69, 0
	v_bcnt_u32_b32 v69, v70, v69
	s_waitcnt lgkmcnt(0)
	v_add_u32_e32 v69, v218, v69
	ds_write_b32 v221, v69 offset:528
.LBB709_1048:                           ;   in Loop: Header=BB709_980 Depth=2
	s_or_b64 exec, exec, s[42:43]
	; wave barrier
	s_waitcnt lgkmcnt(0)
	s_barrier
	ds_read2_b32 v[69:70], v90 offset0:132 offset1:133
	ds_read_b32 v222, v90 offset:536
	s_waitcnt lgkmcnt(0)
	v_add3_u32 v222, v70, v69, v222
	s_nop 1
	v_mov_b32_dpp v223, v222 row_shr:1 row_mask:0xf bank_mask:0xf
	v_cndmask_b32_e64 v223, v223, 0, s[22:23]
	v_add_u32_e32 v222, v223, v222
	s_nop 1
	v_mov_b32_dpp v223, v222 row_shr:2 row_mask:0xf bank_mask:0xf
	v_cndmask_b32_e64 v223, 0, v223, s[24:25]
	v_add_u32_e32 v222, v222, v223
	;; [unrolled: 4-line block ×4, first 2 shown]
	s_nop 1
	v_mov_b32_dpp v223, v222 row_bcast:15 row_mask:0xf bank_mask:0xf
	v_cndmask_b32_e64 v223, v223, 0, s[30:31]
	v_add_u32_e32 v222, v222, v223
	s_nop 1
	v_mov_b32_dpp v223, v222 row_bcast:31 row_mask:0xf bank_mask:0xf
	v_cndmask_b32_e64 v223, 0, v223, s[34:35]
	v_add_u32_e32 v222, v222, v223
	s_and_saveexec_b64 s[42:43], s[14:15]
; %bb.1049:                             ;   in Loop: Header=BB709_980 Depth=2
	ds_write_b32 v92, v222 offset:512
; %bb.1050:                             ;   in Loop: Header=BB709_980 Depth=2
	s_or_b64 exec, exec, s[42:43]
	s_waitcnt lgkmcnt(0)
	s_barrier
	s_and_saveexec_b64 s[42:43], s[16:17]
	s_cbranch_execz .LBB709_1052
; %bb.1051:                             ;   in Loop: Header=BB709_980 Depth=2
	ds_read_b32 v223, v97 offset:512
	s_waitcnt lgkmcnt(0)
	s_nop 0
	v_mov_b32_dpp v224, v223 row_shr:1 row_mask:0xf bank_mask:0xf
	v_cndmask_b32_e64 v224, v224, 0, s[38:39]
	v_add_u32_e32 v223, v224, v223
	s_nop 1
	v_mov_b32_dpp v224, v223 row_shr:2 row_mask:0xf bank_mask:0xf
	v_cndmask_b32_e64 v224, 0, v224, s[40:41]
	v_add_u32_e32 v223, v223, v224
	ds_write_b32 v97, v223 offset:512
.LBB709_1052:                           ;   in Loop: Header=BB709_980 Depth=2
	s_or_b64 exec, exec, s[42:43]
	v_mov_b32_e32 v223, 0
	s_waitcnt lgkmcnt(0)
	s_barrier
	s_and_saveexec_b64 s[42:43], s[12:13]
; %bb.1053:                             ;   in Loop: Header=BB709_980 Depth=2
	ds_read_b32 v223, v92 offset:508
; %bb.1054:                             ;   in Loop: Header=BB709_980 Depth=2
	s_or_b64 exec, exec, s[42:43]
	s_waitcnt lgkmcnt(0)
	v_add_u32_e32 v222, v223, v222
	ds_bpermute_b32 v222, v134, v222
	s_waitcnt lgkmcnt(0)
	v_cndmask_b32_e64 v222, v222, v223, s[36:37]
	v_cndmask_b32_e64 v222, v222, 0, s[18:19]
	v_add_u32_e32 v69, v222, v69
	v_add_u32_e32 v70, v69, v70
	ds_write2_b32 v90, v222, v69 offset0:132 offset1:133
	ds_write_b32 v90, v70 offset:536
	s_waitcnt lgkmcnt(0)
	s_barrier
	ds_read_b32 v69, v177 offset:528
	ds_read_b32 v227, v180 offset:528
	;; [unrolled: 1-line block ×16, first 2 shown]
	s_and_saveexec_b64 s[42:43], s[4:5]
	s_cbranch_execz .LBB709_1058
; %bb.1055:                             ;   in Loop: Header=BB709_980 Depth=2
	ds_read_b32 v172, v99 offset:528
	v_mov_b32_e32 v173, 0x1000
	s_and_saveexec_b64 s[44:45], s[20:21]
; %bb.1056:                             ;   in Loop: Header=BB709_980 Depth=2
	ds_read_b32 v173, v98 offset:528
; %bb.1057:                             ;   in Loop: Header=BB709_980 Depth=2
	s_or_b64 exec, exec, s[44:45]
	s_waitcnt lgkmcnt(0)
	v_sub_u32_e32 v173, v173, v172
.LBB709_1058:                           ;   in Loop: Header=BB709_980 Depth=2
	s_or_b64 exec, exec, s[42:43]
	s_waitcnt lgkmcnt(0)
	s_barrier
	s_and_saveexec_b64 s[42:43], s[4:5]
	s_cbranch_execz .LBB709_1060
; %bb.1059:                             ;   in Loop: Header=BB709_980 Depth=2
	ds_read_b32 v201, v71
	s_waitcnt lgkmcnt(0)
	v_sub_u32_e32 v201, v201, v172
	ds_write_b32 v71, v201
.LBB709_1060:                           ;   in Loop: Header=BB709_980 Depth=2
	s_or_b64 exec, exec, s[42:43]
	v_lshlrev_b32_e32 v175, 3, v175
	v_lshl_add_u32 v69, v69, 3, v175
	ds_write_b64 v69, v[39:40] offset:512
	v_lshlrev_b32_e32 v39, 3, v178
	v_lshlrev_b32_e32 v40, 3, v176
	v_lshlrev_b32_e32 v175, 3, v227
	v_add3_u32 v39, v39, v40, v175
	ds_write_b64 v39, v[41:42] offset:512
	v_lshlrev_b32_e32 v40, 3, v181
	v_lshlrev_b32_e32 v41, 3, v179
	v_lshlrev_b32_e32 v42, 3, v226
	v_add3_u32 v40, v40, v41, v42
	;; [unrolled: 5-line block ×3, first 2 shown]
	v_lshlrev_b32_e32 v42, 3, v187
	v_lshlrev_b32_e32 v45, 3, v185
	v_lshlrev_b32_e32 v46, 3, v224
	ds_write_b64 v41, v[49:50] offset:512
	v_add3_u32 v42, v42, v45, v46
	v_lshlrev_b32_e32 v45, 3, v190
	v_lshlrev_b32_e32 v46, 3, v188
	v_lshlrev_b32_e32 v49, 3, v223
	v_add3_u32 v45, v45, v46, v49
	v_lshlrev_b32_e32 v46, 3, v193
	v_lshlrev_b32_e32 v49, 3, v191
	v_lshlrev_b32_e32 v50, 3, v222
	ds_write_b64 v42, v[53:54] offset:512
	v_add3_u32 v46, v46, v49, v50
	v_lshlrev_b32_e32 v49, 3, v196
	v_lshlrev_b32_e32 v50, 3, v194
	v_lshlrev_b32_e32 v53, 3, v198
	v_add3_u32 v49, v49, v50, v53
	;; [unrolled: 9-line block ×3, first 2 shown]
	v_lshlrev_b32_e32 v54, 3, v204
	v_lshlrev_b32_e32 v57, 3, v203
	v_lshlrev_b32_e32 v58, 3, v189
	v_add3_u32 v54, v54, v57, v58
	ds_write_b64 v46, v[61:62] offset:512
	ds_write_b64 v49, v[67:68] offset:512
	;; [unrolled: 1-line block ×5, first 2 shown]
	v_lshlrev_b32_e32 v57, 3, v207
	v_lshlrev_b32_e32 v58, 3, v206
	v_lshlrev_b32_e32 v59, 3, v186
	v_add3_u32 v57, v57, v58, v59
	ds_write_b64 v57, v[55:56] offset:512
	v_lshlrev_b32_e32 v55, 3, v210
	v_lshlrev_b32_e32 v56, 3, v209
	v_lshlrev_b32_e32 v58, 3, v183
	v_add3_u32 v55, v55, v56, v58
	ds_write_b64 v55, v[51:52] offset:512
	;; [unrolled: 5-line block ×4, first 2 shown]
	v_lshlrev_b32_e32 v43, 3, v219
	v_lshlrev_b32_e32 v44, 3, v218
	;; [unrolled: 1-line block ×3, first 2 shown]
	v_add3_u32 v43, v43, v44, v48
	v_cmp_lt_u32_e64 s[42:43], v0, v174
	ds_write_b64 v43, v[37:38] offset:512
	s_waitcnt lgkmcnt(0)
	s_barrier
	s_and_saveexec_b64 s[44:45], s[42:43]
	s_cbranch_execnz .LBB709_1129
; %bb.1061:                             ;   in Loop: Header=BB709_980 Depth=2
	s_or_b64 exec, exec, s[44:45]
	v_cmp_lt_u32_e64 s[44:45], v72, v174
	s_and_saveexec_b64 s[46:47], s[44:45]
	s_cbranch_execnz .LBB709_1130
.LBB709_1062:                           ;   in Loop: Header=BB709_980 Depth=2
	s_or_b64 exec, exec, s[46:47]
	v_cmp_lt_u32_e64 s[46:47], v75, v174
	s_and_saveexec_b64 s[48:49], s[46:47]
	s_cbranch_execnz .LBB709_1131
.LBB709_1063:                           ;   in Loop: Header=BB709_980 Depth=2
	s_or_b64 exec, exec, s[48:49]
	v_cmp_lt_u32_e64 s[48:49], v76, v174
	s_and_saveexec_b64 s[50:51], s[48:49]
	s_cbranch_execnz .LBB709_1132
.LBB709_1064:                           ;   in Loop: Header=BB709_980 Depth=2
	s_or_b64 exec, exec, s[50:51]
	v_cmp_lt_u32_e64 s[50:51], v77, v174
	s_and_saveexec_b64 s[52:53], s[50:51]
	s_cbranch_execnz .LBB709_1133
.LBB709_1065:                           ;   in Loop: Header=BB709_980 Depth=2
	s_or_b64 exec, exec, s[52:53]
	v_cmp_lt_u32_e64 s[52:53], v78, v174
	s_and_saveexec_b64 s[54:55], s[52:53]
	s_cbranch_execnz .LBB709_1134
.LBB709_1066:                           ;   in Loop: Header=BB709_980 Depth=2
	s_or_b64 exec, exec, s[54:55]
	v_cmp_lt_u32_e64 s[54:55], v79, v174
	s_and_saveexec_b64 s[56:57], s[54:55]
	s_cbranch_execnz .LBB709_1135
.LBB709_1067:                           ;   in Loop: Header=BB709_980 Depth=2
	s_or_b64 exec, exec, s[56:57]
	v_cmp_lt_u32_e64 s[56:57], v80, v174
	s_and_saveexec_b64 s[58:59], s[56:57]
	s_cbranch_execnz .LBB709_1136
.LBB709_1068:                           ;   in Loop: Header=BB709_980 Depth=2
	s_or_b64 exec, exec, s[58:59]
	v_cmp_lt_u32_e64 s[58:59], v81, v174
	s_and_saveexec_b64 s[60:61], s[58:59]
	s_cbranch_execnz .LBB709_1137
.LBB709_1069:                           ;   in Loop: Header=BB709_980 Depth=2
	s_or_b64 exec, exec, s[60:61]
	v_cmp_lt_u32_e64 s[60:61], v82, v174
	s_and_saveexec_b64 s[62:63], s[60:61]
	s_cbranch_execnz .LBB709_1138
.LBB709_1070:                           ;   in Loop: Header=BB709_980 Depth=2
	s_or_b64 exec, exec, s[62:63]
	v_cmp_lt_u32_e64 s[62:63], v83, v174
	s_and_saveexec_b64 s[64:65], s[62:63]
	s_cbranch_execnz .LBB709_1139
.LBB709_1071:                           ;   in Loop: Header=BB709_980 Depth=2
	s_or_b64 exec, exec, s[64:65]
	v_cmp_lt_u32_e64 s[64:65], v84, v174
	s_and_saveexec_b64 s[66:67], s[64:65]
	s_cbranch_execnz .LBB709_1140
.LBB709_1072:                           ;   in Loop: Header=BB709_980 Depth=2
	s_or_b64 exec, exec, s[66:67]
	v_cmp_lt_u32_e64 s[66:67], v85, v174
	s_and_saveexec_b64 s[68:69], s[66:67]
	s_cbranch_execnz .LBB709_1141
.LBB709_1073:                           ;   in Loop: Header=BB709_980 Depth=2
	s_or_b64 exec, exec, s[68:69]
	v_cmp_lt_u32_e64 s[68:69], v86, v174
	s_and_saveexec_b64 s[70:71], s[68:69]
	s_cbranch_execnz .LBB709_1142
.LBB709_1074:                           ;   in Loop: Header=BB709_980 Depth=2
	s_or_b64 exec, exec, s[70:71]
	v_cmp_lt_u32_e64 s[70:71], v87, v174
	s_and_saveexec_b64 s[72:73], s[70:71]
	s_cbranch_execnz .LBB709_1143
.LBB709_1075:                           ;   in Loop: Header=BB709_980 Depth=2
	s_or_b64 exec, exec, s[72:73]
	v_cmp_lt_u32_e64 s[72:73], v88, v174
	s_and_saveexec_b64 s[82:83], s[72:73]
	s_cbranch_execz .LBB709_1077
.LBB709_1076:                           ;   in Loop: Header=BB709_980 Depth=2
	ds_read_b64 v[37:38], v104 offset:31232
	v_mov_b32_e32 v48, s81
	s_waitcnt lgkmcnt(0)
	v_lshrrev_b64 v[58:59], s7, v[37:38]
	v_mov_b32_e32 v59, v3
	v_and_b32_e32 v44, s98, v58
	v_lshlrev_b32_e32 v44, 2, v44
	ds_read_b32 v44, v44
	v_xor_b32_e32 v38, 0x7fffffff, v38
	v_not_b32_e32 v37, v37
	s_waitcnt lgkmcnt(0)
	v_add_u32_e32 v58, v44, v88
	v_lshlrev_b64 v[58:59], 3, v[58:59]
	v_add_co_u32_e32 v58, vcc, s80, v58
	v_addc_co_u32_e32 v59, vcc, v48, v59, vcc
	global_store_dwordx2 v[58:59], v[37:38], off
.LBB709_1077:                           ;   in Loop: Header=BB709_980 Depth=2
	s_or_b64 exec, exec, s[82:83]
	s_lshl_b64 s[8:9], s[92:93], 3
	v_mov_b32_e32 v38, s9
	v_add_co_u32_e32 v37, vcc, s8, v152
	v_addc_co_u32_e32 v38, vcc, v153, v38, vcc
	v_cmp_lt_u32_e32 vcc, v151, v174
	s_and_saveexec_b64 s[8:9], vcc
	s_xor_b64 s[82:83], exec, s[8:9]
	s_cbranch_execnz .LBB709_1144
; %bb.1078:                             ;   in Loop: Header=BB709_980 Depth=2
	s_or_b64 exec, exec, s[82:83]
	v_cmp_lt_u32_e32 vcc, v154, v174
	s_and_saveexec_b64 s[82:83], vcc
	s_cbranch_execnz .LBB709_1145
.LBB709_1079:                           ;   in Loop: Header=BB709_980 Depth=2
	s_or_b64 exec, exec, s[82:83]
	v_cmp_lt_u32_e32 vcc, v155, v174
	s_and_saveexec_b64 s[82:83], vcc
	s_cbranch_execnz .LBB709_1146
.LBB709_1080:                           ;   in Loop: Header=BB709_980 Depth=2
	s_or_b64 exec, exec, s[82:83]
	v_cmp_lt_u32_e32 vcc, v156, v174
	s_and_saveexec_b64 s[82:83], vcc
	s_cbranch_execnz .LBB709_1147
.LBB709_1081:                           ;   in Loop: Header=BB709_980 Depth=2
	s_or_b64 exec, exec, s[82:83]
	v_cmp_lt_u32_e32 vcc, v157, v174
	s_and_saveexec_b64 s[82:83], vcc
	s_cbranch_execnz .LBB709_1148
.LBB709_1082:                           ;   in Loop: Header=BB709_980 Depth=2
	s_or_b64 exec, exec, s[82:83]
	v_cmp_lt_u32_e32 vcc, v158, v174
	s_and_saveexec_b64 s[82:83], vcc
	s_cbranch_execnz .LBB709_1149
.LBB709_1083:                           ;   in Loop: Header=BB709_980 Depth=2
	s_or_b64 exec, exec, s[82:83]
	v_cmp_lt_u32_e32 vcc, v159, v174
	s_and_saveexec_b64 s[82:83], vcc
	s_cbranch_execnz .LBB709_1150
.LBB709_1084:                           ;   in Loop: Header=BB709_980 Depth=2
	s_or_b64 exec, exec, s[82:83]
	v_cmp_lt_u32_e32 vcc, v160, v174
	s_and_saveexec_b64 s[82:83], vcc
	s_cbranch_execnz .LBB709_1151
.LBB709_1085:                           ;   in Loop: Header=BB709_980 Depth=2
	s_or_b64 exec, exec, s[82:83]
	v_cmp_lt_u32_e32 vcc, v161, v174
	s_and_saveexec_b64 s[82:83], vcc
	s_cbranch_execnz .LBB709_1152
.LBB709_1086:                           ;   in Loop: Header=BB709_980 Depth=2
	s_or_b64 exec, exec, s[82:83]
	v_cmp_lt_u32_e32 vcc, v162, v174
	s_and_saveexec_b64 s[82:83], vcc
	s_cbranch_execnz .LBB709_1153
.LBB709_1087:                           ;   in Loop: Header=BB709_980 Depth=2
	s_or_b64 exec, exec, s[82:83]
	v_cmp_lt_u32_e32 vcc, v163, v174
	s_and_saveexec_b64 s[82:83], vcc
	s_cbranch_execnz .LBB709_1154
.LBB709_1088:                           ;   in Loop: Header=BB709_980 Depth=2
	s_or_b64 exec, exec, s[82:83]
	v_cmp_lt_u32_e32 vcc, v164, v174
	s_and_saveexec_b64 s[82:83], vcc
	s_cbranch_execnz .LBB709_1155
.LBB709_1089:                           ;   in Loop: Header=BB709_980 Depth=2
	s_or_b64 exec, exec, s[82:83]
	v_cmp_lt_u32_e32 vcc, v165, v174
	s_and_saveexec_b64 s[82:83], vcc
	s_cbranch_execnz .LBB709_1156
.LBB709_1090:                           ;   in Loop: Header=BB709_980 Depth=2
	s_or_b64 exec, exec, s[82:83]
	v_cmp_lt_u32_e32 vcc, v166, v174
	s_and_saveexec_b64 s[82:83], vcc
	s_cbranch_execnz .LBB709_1157
.LBB709_1091:                           ;   in Loop: Header=BB709_980 Depth=2
	s_or_b64 exec, exec, s[82:83]
	v_cmp_lt_u32_e32 vcc, v167, v174
	s_and_saveexec_b64 s[82:83], vcc
	s_cbranch_execnz .LBB709_1158
.LBB709_1092:                           ;   in Loop: Header=BB709_980 Depth=2
	s_or_b64 exec, exec, s[82:83]
	v_cmp_lt_u32_e32 vcc, v168, v174
	s_and_saveexec_b64 s[82:83], vcc
	s_cbranch_execnz .LBB709_1159
.LBB709_1093:                           ;   in Loop: Header=BB709_980 Depth=2
	s_or_b64 exec, exec, s[82:83]
	s_and_saveexec_b64 s[82:83], s[42:43]
	s_cbranch_execnz .LBB709_1160
.LBB709_1094:                           ;   in Loop: Header=BB709_980 Depth=2
	s_or_b64 exec, exec, s[82:83]
	s_and_saveexec_b64 s[82:83], s[44:45]
	s_cbranch_execnz .LBB709_1161
.LBB709_1095:                           ;   in Loop: Header=BB709_980 Depth=2
	s_or_b64 exec, exec, s[82:83]
	s_and_saveexec_b64 s[82:83], s[46:47]
	s_cbranch_execnz .LBB709_1162
.LBB709_1096:                           ;   in Loop: Header=BB709_980 Depth=2
	s_or_b64 exec, exec, s[82:83]
	s_and_saveexec_b64 s[82:83], s[48:49]
	s_cbranch_execnz .LBB709_1163
.LBB709_1097:                           ;   in Loop: Header=BB709_980 Depth=2
	s_or_b64 exec, exec, s[82:83]
	s_and_saveexec_b64 s[82:83], s[50:51]
	s_cbranch_execnz .LBB709_1164
.LBB709_1098:                           ;   in Loop: Header=BB709_980 Depth=2
	s_or_b64 exec, exec, s[82:83]
	s_and_saveexec_b64 s[82:83], s[52:53]
	s_cbranch_execnz .LBB709_1165
.LBB709_1099:                           ;   in Loop: Header=BB709_980 Depth=2
	s_or_b64 exec, exec, s[82:83]
	s_and_saveexec_b64 s[82:83], s[54:55]
	s_cbranch_execnz .LBB709_1166
.LBB709_1100:                           ;   in Loop: Header=BB709_980 Depth=2
	s_or_b64 exec, exec, s[82:83]
	s_and_saveexec_b64 s[82:83], s[56:57]
	s_cbranch_execnz .LBB709_1167
.LBB709_1101:                           ;   in Loop: Header=BB709_980 Depth=2
	s_or_b64 exec, exec, s[82:83]
	s_and_saveexec_b64 s[82:83], s[58:59]
	s_cbranch_execnz .LBB709_1168
.LBB709_1102:                           ;   in Loop: Header=BB709_980 Depth=2
	s_or_b64 exec, exec, s[82:83]
	s_and_saveexec_b64 s[82:83], s[60:61]
	s_cbranch_execnz .LBB709_1169
.LBB709_1103:                           ;   in Loop: Header=BB709_980 Depth=2
	s_or_b64 exec, exec, s[82:83]
	s_and_saveexec_b64 s[82:83], s[62:63]
	s_cbranch_execnz .LBB709_1170
.LBB709_1104:                           ;   in Loop: Header=BB709_980 Depth=2
	s_or_b64 exec, exec, s[82:83]
	s_and_saveexec_b64 s[82:83], s[64:65]
	s_cbranch_execnz .LBB709_1171
.LBB709_1105:                           ;   in Loop: Header=BB709_980 Depth=2
	s_or_b64 exec, exec, s[82:83]
	s_and_saveexec_b64 s[82:83], s[66:67]
	s_cbranch_execnz .LBB709_1172
.LBB709_1106:                           ;   in Loop: Header=BB709_980 Depth=2
	s_or_b64 exec, exec, s[82:83]
	s_and_saveexec_b64 s[82:83], s[68:69]
	s_cbranch_execnz .LBB709_1173
.LBB709_1107:                           ;   in Loop: Header=BB709_980 Depth=2
	s_or_b64 exec, exec, s[82:83]
	s_and_saveexec_b64 s[82:83], s[70:71]
	s_cbranch_execnz .LBB709_1174
.LBB709_1108:                           ;   in Loop: Header=BB709_980 Depth=2
	s_or_b64 exec, exec, s[82:83]
	s_and_saveexec_b64 s[82:83], s[72:73]
	s_cbranch_execz .LBB709_1110
.LBB709_1109:                           ;   in Loop: Header=BB709_980 Depth=2
	ds_read_b64 v[37:38], v104 offset:31232
	s_waitcnt lgkmcnt(0)
	v_lshrrev_b64 v[37:38], s7, v[37:38]
	v_and_b32_e32 v135, s98, v37
.LBB709_1110:                           ;   in Loop: Header=BB709_980 Depth=2
	s_or_b64 exec, exec, s[82:83]
	s_waitcnt vmcnt(0)
	s_barrier
	ds_write_b64 v69, v[35:36] offset:512
	ds_write_b64 v39, v[33:34] offset:512
	;; [unrolled: 1-line block ×16, first 2 shown]
	s_waitcnt lgkmcnt(0)
	s_barrier
	s_and_saveexec_b64 s[82:83], s[42:43]
	s_cbranch_execnz .LBB709_1175
; %bb.1111:                             ;   in Loop: Header=BB709_980 Depth=2
	s_or_b64 exec, exec, s[82:83]
	s_and_saveexec_b64 s[42:43], s[44:45]
	s_cbranch_execnz .LBB709_1176
.LBB709_1112:                           ;   in Loop: Header=BB709_980 Depth=2
	s_or_b64 exec, exec, s[42:43]
	s_and_saveexec_b64 s[42:43], s[46:47]
	s_cbranch_execnz .LBB709_1177
.LBB709_1113:                           ;   in Loop: Header=BB709_980 Depth=2
	s_or_b64 exec, exec, s[42:43]
	s_and_saveexec_b64 s[42:43], s[48:49]
	s_cbranch_execnz .LBB709_1178
.LBB709_1114:                           ;   in Loop: Header=BB709_980 Depth=2
	s_or_b64 exec, exec, s[42:43]
	s_and_saveexec_b64 s[42:43], s[50:51]
	s_cbranch_execnz .LBB709_1179
.LBB709_1115:                           ;   in Loop: Header=BB709_980 Depth=2
	s_or_b64 exec, exec, s[42:43]
	s_and_saveexec_b64 s[42:43], s[52:53]
	s_cbranch_execnz .LBB709_1180
.LBB709_1116:                           ;   in Loop: Header=BB709_980 Depth=2
	s_or_b64 exec, exec, s[42:43]
	s_and_saveexec_b64 s[42:43], s[54:55]
	s_cbranch_execnz .LBB709_1181
.LBB709_1117:                           ;   in Loop: Header=BB709_980 Depth=2
	s_or_b64 exec, exec, s[42:43]
	s_and_saveexec_b64 s[42:43], s[56:57]
	s_cbranch_execnz .LBB709_1182
.LBB709_1118:                           ;   in Loop: Header=BB709_980 Depth=2
	s_or_b64 exec, exec, s[42:43]
	s_and_saveexec_b64 s[42:43], s[58:59]
	s_cbranch_execnz .LBB709_1183
.LBB709_1119:                           ;   in Loop: Header=BB709_980 Depth=2
	s_or_b64 exec, exec, s[42:43]
	s_and_saveexec_b64 s[42:43], s[60:61]
	s_cbranch_execnz .LBB709_1184
.LBB709_1120:                           ;   in Loop: Header=BB709_980 Depth=2
	s_or_b64 exec, exec, s[42:43]
	s_and_saveexec_b64 s[42:43], s[62:63]
	s_cbranch_execnz .LBB709_1185
.LBB709_1121:                           ;   in Loop: Header=BB709_980 Depth=2
	s_or_b64 exec, exec, s[42:43]
	s_and_saveexec_b64 s[42:43], s[64:65]
	s_cbranch_execnz .LBB709_1186
.LBB709_1122:                           ;   in Loop: Header=BB709_980 Depth=2
	s_or_b64 exec, exec, s[42:43]
	s_and_saveexec_b64 s[42:43], s[66:67]
	s_cbranch_execnz .LBB709_1187
.LBB709_1123:                           ;   in Loop: Header=BB709_980 Depth=2
	s_or_b64 exec, exec, s[42:43]
	s_and_saveexec_b64 s[42:43], s[68:69]
	s_cbranch_execnz .LBB709_1188
.LBB709_1124:                           ;   in Loop: Header=BB709_980 Depth=2
	s_or_b64 exec, exec, s[42:43]
	s_and_saveexec_b64 s[42:43], s[70:71]
	s_cbranch_execnz .LBB709_1189
.LBB709_1125:                           ;   in Loop: Header=BB709_980 Depth=2
	s_or_b64 exec, exec, s[42:43]
	s_and_saveexec_b64 s[42:43], s[72:73]
	s_cbranch_execz .LBB709_1127
.LBB709_1126:                           ;   in Loop: Header=BB709_980 Depth=2
	v_lshlrev_b32_e32 v37, 2, v135
	ds_read_b32 v39, v37
	ds_read_b64 v[37:38], v104 offset:31232
	v_mov_b32_e32 v40, v3
	v_mov_b32_e32 v41, s87
	s_waitcnt lgkmcnt(1)
	v_add_u32_e32 v39, v39, v88
	v_lshlrev_b64 v[39:40], 3, v[39:40]
	v_add_co_u32_e32 v39, vcc, s86, v39
	v_addc_co_u32_e32 v40, vcc, v41, v40, vcc
	s_waitcnt lgkmcnt(0)
	global_store_dwordx2 v[39:40], v[37:38], off
.LBB709_1127:                           ;   in Loop: Header=BB709_980 Depth=2
	s_or_b64 exec, exec, s[42:43]
	s_waitcnt vmcnt(0)
	s_barrier
	s_and_saveexec_b64 s[42:43], s[4:5]
	s_cbranch_execz .LBB709_979
; %bb.1128:                             ;   in Loop: Header=BB709_980 Depth=2
	ds_read_b32 v37, v71
	s_waitcnt lgkmcnt(0)
	v_add3_u32 v37, v172, v173, v37
	ds_write_b32 v71, v37
	s_branch .LBB709_979
.LBB709_1129:                           ;   in Loop: Header=BB709_980 Depth=2
	ds_read_b64 v[37:38], v104 offset:512
	v_mov_b32_e32 v48, s81
	s_waitcnt lgkmcnt(0)
	v_lshrrev_b64 v[58:59], s7, v[37:38]
	v_mov_b32_e32 v59, v3
	v_and_b32_e32 v44, s98, v58
	v_lshlrev_b32_e32 v44, 2, v44
	ds_read_b32 v44, v44
	v_xor_b32_e32 v38, 0x7fffffff, v38
	v_not_b32_e32 v37, v37
	s_waitcnt lgkmcnt(0)
	v_add_u32_e32 v58, v44, v0
	v_lshlrev_b64 v[58:59], 3, v[58:59]
	v_add_co_u32_e32 v58, vcc, s80, v58
	v_addc_co_u32_e32 v59, vcc, v48, v59, vcc
	global_store_dwordx2 v[58:59], v[37:38], off
	s_or_b64 exec, exec, s[44:45]
	v_cmp_lt_u32_e64 s[44:45], v72, v174
	s_and_saveexec_b64 s[46:47], s[44:45]
	s_cbranch_execz .LBB709_1062
.LBB709_1130:                           ;   in Loop: Header=BB709_980 Depth=2
	ds_read_b64 v[37:38], v104 offset:2560
	v_mov_b32_e32 v48, s81
	s_waitcnt lgkmcnt(0)
	v_lshrrev_b64 v[58:59], s7, v[37:38]
	v_mov_b32_e32 v59, v3
	v_and_b32_e32 v44, s98, v58
	v_lshlrev_b32_e32 v44, 2, v44
	ds_read_b32 v44, v44
	v_xor_b32_e32 v38, 0x7fffffff, v38
	v_not_b32_e32 v37, v37
	s_waitcnt lgkmcnt(0)
	v_add_u32_e32 v58, v44, v72
	v_lshlrev_b64 v[58:59], 3, v[58:59]
	v_add_co_u32_e32 v58, vcc, s80, v58
	v_addc_co_u32_e32 v59, vcc, v48, v59, vcc
	global_store_dwordx2 v[58:59], v[37:38], off
	s_or_b64 exec, exec, s[46:47]
	v_cmp_lt_u32_e64 s[46:47], v75, v174
	s_and_saveexec_b64 s[48:49], s[46:47]
	s_cbranch_execz .LBB709_1063
.LBB709_1131:                           ;   in Loop: Header=BB709_980 Depth=2
	ds_read_b64 v[37:38], v104 offset:4608
	v_mov_b32_e32 v48, s81
	s_waitcnt lgkmcnt(0)
	v_lshrrev_b64 v[58:59], s7, v[37:38]
	v_mov_b32_e32 v59, v3
	v_and_b32_e32 v44, s98, v58
	v_lshlrev_b32_e32 v44, 2, v44
	ds_read_b32 v44, v44
	v_xor_b32_e32 v38, 0x7fffffff, v38
	v_not_b32_e32 v37, v37
	s_waitcnt lgkmcnt(0)
	v_add_u32_e32 v58, v44, v75
	v_lshlrev_b64 v[58:59], 3, v[58:59]
	v_add_co_u32_e32 v58, vcc, s80, v58
	v_addc_co_u32_e32 v59, vcc, v48, v59, vcc
	global_store_dwordx2 v[58:59], v[37:38], off
	s_or_b64 exec, exec, s[48:49]
	v_cmp_lt_u32_e64 s[48:49], v76, v174
	s_and_saveexec_b64 s[50:51], s[48:49]
	s_cbranch_execz .LBB709_1064
.LBB709_1132:                           ;   in Loop: Header=BB709_980 Depth=2
	ds_read_b64 v[37:38], v104 offset:6656
	v_mov_b32_e32 v48, s81
	s_waitcnt lgkmcnt(0)
	v_lshrrev_b64 v[58:59], s7, v[37:38]
	v_mov_b32_e32 v59, v3
	v_and_b32_e32 v44, s98, v58
	v_lshlrev_b32_e32 v44, 2, v44
	ds_read_b32 v44, v44
	v_xor_b32_e32 v38, 0x7fffffff, v38
	v_not_b32_e32 v37, v37
	s_waitcnt lgkmcnt(0)
	v_add_u32_e32 v58, v44, v76
	v_lshlrev_b64 v[58:59], 3, v[58:59]
	v_add_co_u32_e32 v58, vcc, s80, v58
	v_addc_co_u32_e32 v59, vcc, v48, v59, vcc
	global_store_dwordx2 v[58:59], v[37:38], off
	s_or_b64 exec, exec, s[50:51]
	v_cmp_lt_u32_e64 s[50:51], v77, v174
	s_and_saveexec_b64 s[52:53], s[50:51]
	s_cbranch_execz .LBB709_1065
.LBB709_1133:                           ;   in Loop: Header=BB709_980 Depth=2
	ds_read_b64 v[37:38], v104 offset:8704
	v_mov_b32_e32 v48, s81
	s_waitcnt lgkmcnt(0)
	v_lshrrev_b64 v[58:59], s7, v[37:38]
	v_mov_b32_e32 v59, v3
	v_and_b32_e32 v44, s98, v58
	v_lshlrev_b32_e32 v44, 2, v44
	ds_read_b32 v44, v44
	v_xor_b32_e32 v38, 0x7fffffff, v38
	v_not_b32_e32 v37, v37
	s_waitcnt lgkmcnt(0)
	v_add_u32_e32 v58, v44, v77
	v_lshlrev_b64 v[58:59], 3, v[58:59]
	v_add_co_u32_e32 v58, vcc, s80, v58
	v_addc_co_u32_e32 v59, vcc, v48, v59, vcc
	global_store_dwordx2 v[58:59], v[37:38], off
	s_or_b64 exec, exec, s[52:53]
	v_cmp_lt_u32_e64 s[52:53], v78, v174
	s_and_saveexec_b64 s[54:55], s[52:53]
	s_cbranch_execz .LBB709_1066
.LBB709_1134:                           ;   in Loop: Header=BB709_980 Depth=2
	ds_read_b64 v[37:38], v104 offset:10752
	v_mov_b32_e32 v48, s81
	s_waitcnt lgkmcnt(0)
	v_lshrrev_b64 v[58:59], s7, v[37:38]
	v_mov_b32_e32 v59, v3
	v_and_b32_e32 v44, s98, v58
	v_lshlrev_b32_e32 v44, 2, v44
	ds_read_b32 v44, v44
	v_xor_b32_e32 v38, 0x7fffffff, v38
	v_not_b32_e32 v37, v37
	s_waitcnt lgkmcnt(0)
	v_add_u32_e32 v58, v44, v78
	v_lshlrev_b64 v[58:59], 3, v[58:59]
	v_add_co_u32_e32 v58, vcc, s80, v58
	v_addc_co_u32_e32 v59, vcc, v48, v59, vcc
	global_store_dwordx2 v[58:59], v[37:38], off
	s_or_b64 exec, exec, s[54:55]
	v_cmp_lt_u32_e64 s[54:55], v79, v174
	s_and_saveexec_b64 s[56:57], s[54:55]
	s_cbranch_execz .LBB709_1067
.LBB709_1135:                           ;   in Loop: Header=BB709_980 Depth=2
	ds_read_b64 v[37:38], v104 offset:12800
	v_mov_b32_e32 v48, s81
	s_waitcnt lgkmcnt(0)
	v_lshrrev_b64 v[58:59], s7, v[37:38]
	v_mov_b32_e32 v59, v3
	v_and_b32_e32 v44, s98, v58
	v_lshlrev_b32_e32 v44, 2, v44
	ds_read_b32 v44, v44
	v_xor_b32_e32 v38, 0x7fffffff, v38
	v_not_b32_e32 v37, v37
	s_waitcnt lgkmcnt(0)
	v_add_u32_e32 v58, v44, v79
	v_lshlrev_b64 v[58:59], 3, v[58:59]
	v_add_co_u32_e32 v58, vcc, s80, v58
	v_addc_co_u32_e32 v59, vcc, v48, v59, vcc
	global_store_dwordx2 v[58:59], v[37:38], off
	s_or_b64 exec, exec, s[56:57]
	v_cmp_lt_u32_e64 s[56:57], v80, v174
	s_and_saveexec_b64 s[58:59], s[56:57]
	s_cbranch_execz .LBB709_1068
.LBB709_1136:                           ;   in Loop: Header=BB709_980 Depth=2
	ds_read_b64 v[37:38], v104 offset:14848
	v_mov_b32_e32 v48, s81
	s_waitcnt lgkmcnt(0)
	v_lshrrev_b64 v[58:59], s7, v[37:38]
	v_mov_b32_e32 v59, v3
	v_and_b32_e32 v44, s98, v58
	v_lshlrev_b32_e32 v44, 2, v44
	ds_read_b32 v44, v44
	v_xor_b32_e32 v38, 0x7fffffff, v38
	v_not_b32_e32 v37, v37
	s_waitcnt lgkmcnt(0)
	v_add_u32_e32 v58, v44, v80
	v_lshlrev_b64 v[58:59], 3, v[58:59]
	v_add_co_u32_e32 v58, vcc, s80, v58
	v_addc_co_u32_e32 v59, vcc, v48, v59, vcc
	global_store_dwordx2 v[58:59], v[37:38], off
	s_or_b64 exec, exec, s[58:59]
	v_cmp_lt_u32_e64 s[58:59], v81, v174
	s_and_saveexec_b64 s[60:61], s[58:59]
	s_cbranch_execz .LBB709_1069
.LBB709_1137:                           ;   in Loop: Header=BB709_980 Depth=2
	ds_read_b64 v[37:38], v104 offset:16896
	v_mov_b32_e32 v48, s81
	s_waitcnt lgkmcnt(0)
	v_lshrrev_b64 v[58:59], s7, v[37:38]
	v_mov_b32_e32 v59, v3
	v_and_b32_e32 v44, s98, v58
	v_lshlrev_b32_e32 v44, 2, v44
	ds_read_b32 v44, v44
	v_xor_b32_e32 v38, 0x7fffffff, v38
	v_not_b32_e32 v37, v37
	s_waitcnt lgkmcnt(0)
	v_add_u32_e32 v58, v44, v81
	v_lshlrev_b64 v[58:59], 3, v[58:59]
	v_add_co_u32_e32 v58, vcc, s80, v58
	v_addc_co_u32_e32 v59, vcc, v48, v59, vcc
	global_store_dwordx2 v[58:59], v[37:38], off
	s_or_b64 exec, exec, s[60:61]
	v_cmp_lt_u32_e64 s[60:61], v82, v174
	s_and_saveexec_b64 s[62:63], s[60:61]
	s_cbranch_execz .LBB709_1070
.LBB709_1138:                           ;   in Loop: Header=BB709_980 Depth=2
	ds_read_b64 v[37:38], v104 offset:18944
	v_mov_b32_e32 v48, s81
	s_waitcnt lgkmcnt(0)
	v_lshrrev_b64 v[58:59], s7, v[37:38]
	v_mov_b32_e32 v59, v3
	v_and_b32_e32 v44, s98, v58
	v_lshlrev_b32_e32 v44, 2, v44
	ds_read_b32 v44, v44
	v_xor_b32_e32 v38, 0x7fffffff, v38
	v_not_b32_e32 v37, v37
	s_waitcnt lgkmcnt(0)
	v_add_u32_e32 v58, v44, v82
	v_lshlrev_b64 v[58:59], 3, v[58:59]
	v_add_co_u32_e32 v58, vcc, s80, v58
	v_addc_co_u32_e32 v59, vcc, v48, v59, vcc
	global_store_dwordx2 v[58:59], v[37:38], off
	s_or_b64 exec, exec, s[62:63]
	v_cmp_lt_u32_e64 s[62:63], v83, v174
	s_and_saveexec_b64 s[64:65], s[62:63]
	s_cbranch_execz .LBB709_1071
.LBB709_1139:                           ;   in Loop: Header=BB709_980 Depth=2
	ds_read_b64 v[37:38], v104 offset:20992
	v_mov_b32_e32 v48, s81
	s_waitcnt lgkmcnt(0)
	v_lshrrev_b64 v[58:59], s7, v[37:38]
	v_mov_b32_e32 v59, v3
	v_and_b32_e32 v44, s98, v58
	v_lshlrev_b32_e32 v44, 2, v44
	ds_read_b32 v44, v44
	v_xor_b32_e32 v38, 0x7fffffff, v38
	v_not_b32_e32 v37, v37
	s_waitcnt lgkmcnt(0)
	v_add_u32_e32 v58, v44, v83
	v_lshlrev_b64 v[58:59], 3, v[58:59]
	v_add_co_u32_e32 v58, vcc, s80, v58
	v_addc_co_u32_e32 v59, vcc, v48, v59, vcc
	global_store_dwordx2 v[58:59], v[37:38], off
	s_or_b64 exec, exec, s[64:65]
	v_cmp_lt_u32_e64 s[64:65], v84, v174
	s_and_saveexec_b64 s[66:67], s[64:65]
	s_cbranch_execz .LBB709_1072
.LBB709_1140:                           ;   in Loop: Header=BB709_980 Depth=2
	ds_read_b64 v[37:38], v104 offset:23040
	v_mov_b32_e32 v48, s81
	s_waitcnt lgkmcnt(0)
	v_lshrrev_b64 v[58:59], s7, v[37:38]
	v_mov_b32_e32 v59, v3
	v_and_b32_e32 v44, s98, v58
	v_lshlrev_b32_e32 v44, 2, v44
	ds_read_b32 v44, v44
	v_xor_b32_e32 v38, 0x7fffffff, v38
	v_not_b32_e32 v37, v37
	s_waitcnt lgkmcnt(0)
	v_add_u32_e32 v58, v44, v84
	v_lshlrev_b64 v[58:59], 3, v[58:59]
	v_add_co_u32_e32 v58, vcc, s80, v58
	v_addc_co_u32_e32 v59, vcc, v48, v59, vcc
	global_store_dwordx2 v[58:59], v[37:38], off
	s_or_b64 exec, exec, s[66:67]
	v_cmp_lt_u32_e64 s[66:67], v85, v174
	s_and_saveexec_b64 s[68:69], s[66:67]
	s_cbranch_execz .LBB709_1073
.LBB709_1141:                           ;   in Loop: Header=BB709_980 Depth=2
	ds_read_b64 v[37:38], v104 offset:25088
	v_mov_b32_e32 v48, s81
	s_waitcnt lgkmcnt(0)
	v_lshrrev_b64 v[58:59], s7, v[37:38]
	v_mov_b32_e32 v59, v3
	v_and_b32_e32 v44, s98, v58
	v_lshlrev_b32_e32 v44, 2, v44
	ds_read_b32 v44, v44
	v_xor_b32_e32 v38, 0x7fffffff, v38
	v_not_b32_e32 v37, v37
	s_waitcnt lgkmcnt(0)
	v_add_u32_e32 v58, v44, v85
	v_lshlrev_b64 v[58:59], 3, v[58:59]
	v_add_co_u32_e32 v58, vcc, s80, v58
	v_addc_co_u32_e32 v59, vcc, v48, v59, vcc
	global_store_dwordx2 v[58:59], v[37:38], off
	s_or_b64 exec, exec, s[68:69]
	v_cmp_lt_u32_e64 s[68:69], v86, v174
	s_and_saveexec_b64 s[70:71], s[68:69]
	s_cbranch_execz .LBB709_1074
.LBB709_1142:                           ;   in Loop: Header=BB709_980 Depth=2
	ds_read_b64 v[37:38], v104 offset:27136
	v_mov_b32_e32 v48, s81
	s_waitcnt lgkmcnt(0)
	v_lshrrev_b64 v[58:59], s7, v[37:38]
	v_mov_b32_e32 v59, v3
	v_and_b32_e32 v44, s98, v58
	v_lshlrev_b32_e32 v44, 2, v44
	ds_read_b32 v44, v44
	v_xor_b32_e32 v38, 0x7fffffff, v38
	v_not_b32_e32 v37, v37
	s_waitcnt lgkmcnt(0)
	v_add_u32_e32 v58, v44, v86
	v_lshlrev_b64 v[58:59], 3, v[58:59]
	v_add_co_u32_e32 v58, vcc, s80, v58
	v_addc_co_u32_e32 v59, vcc, v48, v59, vcc
	global_store_dwordx2 v[58:59], v[37:38], off
	s_or_b64 exec, exec, s[70:71]
	v_cmp_lt_u32_e64 s[70:71], v87, v174
	s_and_saveexec_b64 s[72:73], s[70:71]
	s_cbranch_execz .LBB709_1075
.LBB709_1143:                           ;   in Loop: Header=BB709_980 Depth=2
	ds_read_b64 v[37:38], v104 offset:29184
	v_mov_b32_e32 v48, s81
	s_waitcnt lgkmcnt(0)
	v_lshrrev_b64 v[58:59], s7, v[37:38]
	v_mov_b32_e32 v59, v3
	v_and_b32_e32 v44, s98, v58
	v_lshlrev_b32_e32 v44, 2, v44
	ds_read_b32 v44, v44
	v_xor_b32_e32 v38, 0x7fffffff, v38
	v_not_b32_e32 v37, v37
	s_waitcnt lgkmcnt(0)
	v_add_u32_e32 v58, v44, v87
	v_lshlrev_b64 v[58:59], 3, v[58:59]
	v_add_co_u32_e32 v58, vcc, s80, v58
	v_addc_co_u32_e32 v59, vcc, v48, v59, vcc
	global_store_dwordx2 v[58:59], v[37:38], off
	s_or_b64 exec, exec, s[72:73]
	v_cmp_lt_u32_e64 s[72:73], v88, v174
	s_and_saveexec_b64 s[82:83], s[72:73]
	s_cbranch_execnz .LBB709_1076
	s_branch .LBB709_1077
.LBB709_1144:                           ;   in Loop: Header=BB709_980 Depth=2
	global_load_dwordx2 v[35:36], v[37:38], off
	s_or_b64 exec, exec, s[82:83]
	v_cmp_lt_u32_e32 vcc, v154, v174
	s_and_saveexec_b64 s[82:83], vcc
	s_cbranch_execz .LBB709_1079
.LBB709_1145:                           ;   in Loop: Header=BB709_980 Depth=2
	global_load_dwordx2 v[33:34], v[37:38], off offset:512
	s_or_b64 exec, exec, s[82:83]
	v_cmp_lt_u32_e32 vcc, v155, v174
	s_and_saveexec_b64 s[82:83], vcc
	s_cbranch_execz .LBB709_1080
.LBB709_1146:                           ;   in Loop: Header=BB709_980 Depth=2
	global_load_dwordx2 v[31:32], v[37:38], off offset:1024
	s_or_b64 exec, exec, s[82:83]
	v_cmp_lt_u32_e32 vcc, v156, v174
	s_and_saveexec_b64 s[82:83], vcc
	s_cbranch_execz .LBB709_1081
.LBB709_1147:                           ;   in Loop: Header=BB709_980 Depth=2
	global_load_dwordx2 v[27:28], v[37:38], off offset:1536
	s_or_b64 exec, exec, s[82:83]
	v_cmp_lt_u32_e32 vcc, v157, v174
	s_and_saveexec_b64 s[82:83], vcc
	s_cbranch_execz .LBB709_1082
.LBB709_1148:                           ;   in Loop: Header=BB709_980 Depth=2
	global_load_dwordx2 v[23:24], v[37:38], off offset:2048
	s_or_b64 exec, exec, s[82:83]
	v_cmp_lt_u32_e32 vcc, v158, v174
	s_and_saveexec_b64 s[82:83], vcc
	s_cbranch_execz .LBB709_1083
.LBB709_1149:                           ;   in Loop: Header=BB709_980 Depth=2
	global_load_dwordx2 v[19:20], v[37:38], off offset:2560
	s_or_b64 exec, exec, s[82:83]
	v_cmp_lt_u32_e32 vcc, v159, v174
	s_and_saveexec_b64 s[82:83], vcc
	s_cbranch_execz .LBB709_1084
.LBB709_1150:                           ;   in Loop: Header=BB709_980 Depth=2
	global_load_dwordx2 v[15:16], v[37:38], off offset:3072
	s_or_b64 exec, exec, s[82:83]
	v_cmp_lt_u32_e32 vcc, v160, v174
	s_and_saveexec_b64 s[82:83], vcc
	s_cbranch_execz .LBB709_1085
.LBB709_1151:                           ;   in Loop: Header=BB709_980 Depth=2
	global_load_dwordx2 v[11:12], v[37:38], off offset:3584
	s_or_b64 exec, exec, s[82:83]
	v_cmp_lt_u32_e32 vcc, v161, v174
	s_and_saveexec_b64 s[82:83], vcc
	s_cbranch_execz .LBB709_1086
.LBB709_1152:                           ;   in Loop: Header=BB709_980 Depth=2
	v_add_co_u32_e32 v29, vcc, 0x1000, v37
	v_addc_co_u32_e32 v30, vcc, 0, v38, vcc
	global_load_dwordx2 v[29:30], v[29:30], off
	s_or_b64 exec, exec, s[82:83]
	v_cmp_lt_u32_e32 vcc, v162, v174
	s_and_saveexec_b64 s[82:83], vcc
	s_cbranch_execz .LBB709_1087
.LBB709_1153:                           ;   in Loop: Header=BB709_980 Depth=2
	v_add_co_u32_e32 v25, vcc, 0x1000, v37
	v_addc_co_u32_e32 v26, vcc, 0, v38, vcc
	global_load_dwordx2 v[25:26], v[25:26], off offset:512
	s_or_b64 exec, exec, s[82:83]
	v_cmp_lt_u32_e32 vcc, v163, v174
	s_and_saveexec_b64 s[82:83], vcc
	s_cbranch_execz .LBB709_1088
.LBB709_1154:                           ;   in Loop: Header=BB709_980 Depth=2
	v_add_co_u32_e32 v21, vcc, 0x1000, v37
	v_addc_co_u32_e32 v22, vcc, 0, v38, vcc
	global_load_dwordx2 v[21:22], v[21:22], off offset:1024
	s_or_b64 exec, exec, s[82:83]
	v_cmp_lt_u32_e32 vcc, v164, v174
	s_and_saveexec_b64 s[82:83], vcc
	s_cbranch_execz .LBB709_1089
.LBB709_1155:                           ;   in Loop: Header=BB709_980 Depth=2
	v_add_co_u32_e32 v17, vcc, 0x1000, v37
	v_addc_co_u32_e32 v18, vcc, 0, v38, vcc
	global_load_dwordx2 v[17:18], v[17:18], off offset:1536
	s_or_b64 exec, exec, s[82:83]
	v_cmp_lt_u32_e32 vcc, v165, v174
	s_and_saveexec_b64 s[82:83], vcc
	s_cbranch_execz .LBB709_1090
.LBB709_1156:                           ;   in Loop: Header=BB709_980 Depth=2
	v_add_co_u32_e32 v13, vcc, 0x1000, v37
	v_addc_co_u32_e32 v14, vcc, 0, v38, vcc
	global_load_dwordx2 v[13:14], v[13:14], off offset:2048
	s_or_b64 exec, exec, s[82:83]
	v_cmp_lt_u32_e32 vcc, v166, v174
	s_and_saveexec_b64 s[82:83], vcc
	s_cbranch_execz .LBB709_1091
.LBB709_1157:                           ;   in Loop: Header=BB709_980 Depth=2
	v_add_co_u32_e32 v9, vcc, 0x1000, v37
	v_addc_co_u32_e32 v10, vcc, 0, v38, vcc
	global_load_dwordx2 v[9:10], v[9:10], off offset:2560
	s_or_b64 exec, exec, s[82:83]
	v_cmp_lt_u32_e32 vcc, v167, v174
	s_and_saveexec_b64 s[82:83], vcc
	s_cbranch_execz .LBB709_1092
.LBB709_1158:                           ;   in Loop: Header=BB709_980 Depth=2
	v_add_co_u32_e32 v7, vcc, 0x1000, v37
	v_addc_co_u32_e32 v8, vcc, 0, v38, vcc
	global_load_dwordx2 v[7:8], v[7:8], off offset:3072
	s_or_b64 exec, exec, s[82:83]
	v_cmp_lt_u32_e32 vcc, v168, v174
	s_and_saveexec_b64 s[82:83], vcc
	s_cbranch_execz .LBB709_1093
.LBB709_1159:                           ;   in Loop: Header=BB709_980 Depth=2
	v_add_co_u32_e32 v5, vcc, 0x1000, v37
	v_addc_co_u32_e32 v6, vcc, 0, v38, vcc
	global_load_dwordx2 v[5:6], v[5:6], off offset:3584
	s_or_b64 exec, exec, s[82:83]
	s_and_saveexec_b64 s[82:83], s[42:43]
	s_cbranch_execz .LBB709_1094
.LBB709_1160:                           ;   in Loop: Header=BB709_980 Depth=2
	ds_read_b64 v[37:38], v104 offset:512
	s_waitcnt lgkmcnt(0)
	v_lshrrev_b64 v[37:38], s7, v[37:38]
	v_and_b32_e32 v150, s98, v37
	s_or_b64 exec, exec, s[82:83]
	s_and_saveexec_b64 s[82:83], s[44:45]
	s_cbranch_execz .LBB709_1095
.LBB709_1161:                           ;   in Loop: Header=BB709_980 Depth=2
	ds_read_b64 v[37:38], v104 offset:2560
	s_waitcnt lgkmcnt(0)
	v_lshrrev_b64 v[37:38], s7, v[37:38]
	v_and_b32_e32 v149, s98, v37
	s_or_b64 exec, exec, s[82:83]
	s_and_saveexec_b64 s[82:83], s[46:47]
	s_cbranch_execz .LBB709_1096
.LBB709_1162:                           ;   in Loop: Header=BB709_980 Depth=2
	ds_read_b64 v[37:38], v104 offset:4608
	s_waitcnt lgkmcnt(0)
	v_lshrrev_b64 v[37:38], s7, v[37:38]
	v_and_b32_e32 v148, s98, v37
	s_or_b64 exec, exec, s[82:83]
	s_and_saveexec_b64 s[82:83], s[48:49]
	s_cbranch_execz .LBB709_1097
.LBB709_1163:                           ;   in Loop: Header=BB709_980 Depth=2
	ds_read_b64 v[37:38], v104 offset:6656
	s_waitcnt lgkmcnt(0)
	v_lshrrev_b64 v[37:38], s7, v[37:38]
	v_and_b32_e32 v147, s98, v37
	s_or_b64 exec, exec, s[82:83]
	s_and_saveexec_b64 s[82:83], s[50:51]
	s_cbranch_execz .LBB709_1098
.LBB709_1164:                           ;   in Loop: Header=BB709_980 Depth=2
	ds_read_b64 v[37:38], v104 offset:8704
	s_waitcnt lgkmcnt(0)
	v_lshrrev_b64 v[37:38], s7, v[37:38]
	v_and_b32_e32 v146, s98, v37
	s_or_b64 exec, exec, s[82:83]
	s_and_saveexec_b64 s[82:83], s[52:53]
	s_cbranch_execz .LBB709_1099
.LBB709_1165:                           ;   in Loop: Header=BB709_980 Depth=2
	ds_read_b64 v[37:38], v104 offset:10752
	s_waitcnt lgkmcnt(0)
	v_lshrrev_b64 v[37:38], s7, v[37:38]
	v_and_b32_e32 v145, s98, v37
	s_or_b64 exec, exec, s[82:83]
	s_and_saveexec_b64 s[82:83], s[54:55]
	s_cbranch_execz .LBB709_1100
.LBB709_1166:                           ;   in Loop: Header=BB709_980 Depth=2
	ds_read_b64 v[37:38], v104 offset:12800
	s_waitcnt lgkmcnt(0)
	v_lshrrev_b64 v[37:38], s7, v[37:38]
	v_and_b32_e32 v144, s98, v37
	s_or_b64 exec, exec, s[82:83]
	s_and_saveexec_b64 s[82:83], s[56:57]
	s_cbranch_execz .LBB709_1101
.LBB709_1167:                           ;   in Loop: Header=BB709_980 Depth=2
	ds_read_b64 v[37:38], v104 offset:14848
	s_waitcnt lgkmcnt(0)
	v_lshrrev_b64 v[37:38], s7, v[37:38]
	v_and_b32_e32 v143, s98, v37
	s_or_b64 exec, exec, s[82:83]
	s_and_saveexec_b64 s[82:83], s[58:59]
	s_cbranch_execz .LBB709_1102
.LBB709_1168:                           ;   in Loop: Header=BB709_980 Depth=2
	ds_read_b64 v[37:38], v104 offset:16896
	s_waitcnt lgkmcnt(0)
	v_lshrrev_b64 v[37:38], s7, v[37:38]
	v_and_b32_e32 v142, s98, v37
	s_or_b64 exec, exec, s[82:83]
	s_and_saveexec_b64 s[82:83], s[60:61]
	s_cbranch_execz .LBB709_1103
.LBB709_1169:                           ;   in Loop: Header=BB709_980 Depth=2
	ds_read_b64 v[37:38], v104 offset:18944
	s_waitcnt lgkmcnt(0)
	v_lshrrev_b64 v[37:38], s7, v[37:38]
	v_and_b32_e32 v141, s98, v37
	s_or_b64 exec, exec, s[82:83]
	s_and_saveexec_b64 s[82:83], s[62:63]
	s_cbranch_execz .LBB709_1104
.LBB709_1170:                           ;   in Loop: Header=BB709_980 Depth=2
	ds_read_b64 v[37:38], v104 offset:20992
	s_waitcnt lgkmcnt(0)
	v_lshrrev_b64 v[37:38], s7, v[37:38]
	v_and_b32_e32 v140, s98, v37
	s_or_b64 exec, exec, s[82:83]
	s_and_saveexec_b64 s[82:83], s[64:65]
	s_cbranch_execz .LBB709_1105
.LBB709_1171:                           ;   in Loop: Header=BB709_980 Depth=2
	ds_read_b64 v[37:38], v104 offset:23040
	s_waitcnt lgkmcnt(0)
	v_lshrrev_b64 v[37:38], s7, v[37:38]
	v_and_b32_e32 v139, s98, v37
	s_or_b64 exec, exec, s[82:83]
	s_and_saveexec_b64 s[82:83], s[66:67]
	s_cbranch_execz .LBB709_1106
.LBB709_1172:                           ;   in Loop: Header=BB709_980 Depth=2
	ds_read_b64 v[37:38], v104 offset:25088
	s_waitcnt lgkmcnt(0)
	v_lshrrev_b64 v[37:38], s7, v[37:38]
	v_and_b32_e32 v138, s98, v37
	s_or_b64 exec, exec, s[82:83]
	s_and_saveexec_b64 s[82:83], s[68:69]
	s_cbranch_execz .LBB709_1107
.LBB709_1173:                           ;   in Loop: Header=BB709_980 Depth=2
	ds_read_b64 v[37:38], v104 offset:27136
	s_waitcnt lgkmcnt(0)
	v_lshrrev_b64 v[37:38], s7, v[37:38]
	v_and_b32_e32 v137, s98, v37
	s_or_b64 exec, exec, s[82:83]
	s_and_saveexec_b64 s[82:83], s[70:71]
	s_cbranch_execz .LBB709_1108
.LBB709_1174:                           ;   in Loop: Header=BB709_980 Depth=2
	ds_read_b64 v[37:38], v104 offset:29184
	s_waitcnt lgkmcnt(0)
	v_lshrrev_b64 v[37:38], s7, v[37:38]
	v_and_b32_e32 v136, s98, v37
	s_or_b64 exec, exec, s[82:83]
	s_and_saveexec_b64 s[82:83], s[72:73]
	s_cbranch_execnz .LBB709_1109
	s_branch .LBB709_1110
.LBB709_1175:                           ;   in Loop: Header=BB709_980 Depth=2
	v_lshlrev_b32_e32 v37, 2, v150
	ds_read_b32 v39, v37
	ds_read_b64 v[37:38], v104 offset:512
	v_mov_b32_e32 v40, v3
	v_mov_b32_e32 v41, s87
	s_waitcnt lgkmcnt(1)
	v_add_u32_e32 v39, v39, v0
	v_lshlrev_b64 v[39:40], 3, v[39:40]
	v_add_co_u32_e32 v39, vcc, s86, v39
	v_addc_co_u32_e32 v40, vcc, v41, v40, vcc
	s_waitcnt lgkmcnt(0)
	global_store_dwordx2 v[39:40], v[37:38], off
	s_or_b64 exec, exec, s[82:83]
	s_and_saveexec_b64 s[42:43], s[44:45]
	s_cbranch_execz .LBB709_1112
.LBB709_1176:                           ;   in Loop: Header=BB709_980 Depth=2
	v_lshlrev_b32_e32 v37, 2, v149
	ds_read_b32 v39, v37
	ds_read_b64 v[37:38], v104 offset:2560
	v_mov_b32_e32 v40, v3
	v_mov_b32_e32 v41, s87
	s_waitcnt lgkmcnt(1)
	v_add_u32_e32 v39, v39, v72
	v_lshlrev_b64 v[39:40], 3, v[39:40]
	v_add_co_u32_e32 v39, vcc, s86, v39
	v_addc_co_u32_e32 v40, vcc, v41, v40, vcc
	s_waitcnt lgkmcnt(0)
	global_store_dwordx2 v[39:40], v[37:38], off
	s_or_b64 exec, exec, s[42:43]
	s_and_saveexec_b64 s[42:43], s[46:47]
	s_cbranch_execz .LBB709_1113
.LBB709_1177:                           ;   in Loop: Header=BB709_980 Depth=2
	v_lshlrev_b32_e32 v37, 2, v148
	ds_read_b32 v39, v37
	ds_read_b64 v[37:38], v104 offset:4608
	v_mov_b32_e32 v40, v3
	v_mov_b32_e32 v41, s87
	s_waitcnt lgkmcnt(1)
	v_add_u32_e32 v39, v39, v75
	v_lshlrev_b64 v[39:40], 3, v[39:40]
	v_add_co_u32_e32 v39, vcc, s86, v39
	v_addc_co_u32_e32 v40, vcc, v41, v40, vcc
	s_waitcnt lgkmcnt(0)
	global_store_dwordx2 v[39:40], v[37:38], off
	s_or_b64 exec, exec, s[42:43]
	s_and_saveexec_b64 s[42:43], s[48:49]
	s_cbranch_execz .LBB709_1114
.LBB709_1178:                           ;   in Loop: Header=BB709_980 Depth=2
	v_lshlrev_b32_e32 v37, 2, v147
	ds_read_b32 v39, v37
	ds_read_b64 v[37:38], v104 offset:6656
	v_mov_b32_e32 v40, v3
	v_mov_b32_e32 v41, s87
	s_waitcnt lgkmcnt(1)
	v_add_u32_e32 v39, v39, v76
	v_lshlrev_b64 v[39:40], 3, v[39:40]
	v_add_co_u32_e32 v39, vcc, s86, v39
	v_addc_co_u32_e32 v40, vcc, v41, v40, vcc
	s_waitcnt lgkmcnt(0)
	global_store_dwordx2 v[39:40], v[37:38], off
	s_or_b64 exec, exec, s[42:43]
	s_and_saveexec_b64 s[42:43], s[50:51]
	s_cbranch_execz .LBB709_1115
.LBB709_1179:                           ;   in Loop: Header=BB709_980 Depth=2
	v_lshlrev_b32_e32 v37, 2, v146
	ds_read_b32 v39, v37
	ds_read_b64 v[37:38], v104 offset:8704
	v_mov_b32_e32 v40, v3
	v_mov_b32_e32 v41, s87
	s_waitcnt lgkmcnt(1)
	v_add_u32_e32 v39, v39, v77
	v_lshlrev_b64 v[39:40], 3, v[39:40]
	v_add_co_u32_e32 v39, vcc, s86, v39
	v_addc_co_u32_e32 v40, vcc, v41, v40, vcc
	s_waitcnt lgkmcnt(0)
	global_store_dwordx2 v[39:40], v[37:38], off
	s_or_b64 exec, exec, s[42:43]
	s_and_saveexec_b64 s[42:43], s[52:53]
	s_cbranch_execz .LBB709_1116
.LBB709_1180:                           ;   in Loop: Header=BB709_980 Depth=2
	v_lshlrev_b32_e32 v37, 2, v145
	ds_read_b32 v39, v37
	ds_read_b64 v[37:38], v104 offset:10752
	v_mov_b32_e32 v40, v3
	v_mov_b32_e32 v41, s87
	s_waitcnt lgkmcnt(1)
	v_add_u32_e32 v39, v39, v78
	v_lshlrev_b64 v[39:40], 3, v[39:40]
	v_add_co_u32_e32 v39, vcc, s86, v39
	v_addc_co_u32_e32 v40, vcc, v41, v40, vcc
	s_waitcnt lgkmcnt(0)
	global_store_dwordx2 v[39:40], v[37:38], off
	s_or_b64 exec, exec, s[42:43]
	s_and_saveexec_b64 s[42:43], s[54:55]
	s_cbranch_execz .LBB709_1117
.LBB709_1181:                           ;   in Loop: Header=BB709_980 Depth=2
	v_lshlrev_b32_e32 v37, 2, v144
	ds_read_b32 v39, v37
	ds_read_b64 v[37:38], v104 offset:12800
	v_mov_b32_e32 v40, v3
	v_mov_b32_e32 v41, s87
	s_waitcnt lgkmcnt(1)
	v_add_u32_e32 v39, v39, v79
	v_lshlrev_b64 v[39:40], 3, v[39:40]
	v_add_co_u32_e32 v39, vcc, s86, v39
	v_addc_co_u32_e32 v40, vcc, v41, v40, vcc
	s_waitcnt lgkmcnt(0)
	global_store_dwordx2 v[39:40], v[37:38], off
	s_or_b64 exec, exec, s[42:43]
	s_and_saveexec_b64 s[42:43], s[56:57]
	s_cbranch_execz .LBB709_1118
.LBB709_1182:                           ;   in Loop: Header=BB709_980 Depth=2
	v_lshlrev_b32_e32 v37, 2, v143
	ds_read_b32 v39, v37
	ds_read_b64 v[37:38], v104 offset:14848
	v_mov_b32_e32 v40, v3
	v_mov_b32_e32 v41, s87
	s_waitcnt lgkmcnt(1)
	v_add_u32_e32 v39, v39, v80
	v_lshlrev_b64 v[39:40], 3, v[39:40]
	v_add_co_u32_e32 v39, vcc, s86, v39
	v_addc_co_u32_e32 v40, vcc, v41, v40, vcc
	s_waitcnt lgkmcnt(0)
	global_store_dwordx2 v[39:40], v[37:38], off
	s_or_b64 exec, exec, s[42:43]
	s_and_saveexec_b64 s[42:43], s[58:59]
	s_cbranch_execz .LBB709_1119
.LBB709_1183:                           ;   in Loop: Header=BB709_980 Depth=2
	v_lshlrev_b32_e32 v37, 2, v142
	ds_read_b32 v39, v37
	ds_read_b64 v[37:38], v104 offset:16896
	v_mov_b32_e32 v40, v3
	v_mov_b32_e32 v41, s87
	s_waitcnt lgkmcnt(1)
	v_add_u32_e32 v39, v39, v81
	v_lshlrev_b64 v[39:40], 3, v[39:40]
	v_add_co_u32_e32 v39, vcc, s86, v39
	v_addc_co_u32_e32 v40, vcc, v41, v40, vcc
	s_waitcnt lgkmcnt(0)
	global_store_dwordx2 v[39:40], v[37:38], off
	s_or_b64 exec, exec, s[42:43]
	s_and_saveexec_b64 s[42:43], s[60:61]
	s_cbranch_execz .LBB709_1120
.LBB709_1184:                           ;   in Loop: Header=BB709_980 Depth=2
	v_lshlrev_b32_e32 v37, 2, v141
	ds_read_b32 v39, v37
	ds_read_b64 v[37:38], v104 offset:18944
	v_mov_b32_e32 v40, v3
	v_mov_b32_e32 v41, s87
	s_waitcnt lgkmcnt(1)
	v_add_u32_e32 v39, v39, v82
	v_lshlrev_b64 v[39:40], 3, v[39:40]
	v_add_co_u32_e32 v39, vcc, s86, v39
	v_addc_co_u32_e32 v40, vcc, v41, v40, vcc
	s_waitcnt lgkmcnt(0)
	global_store_dwordx2 v[39:40], v[37:38], off
	s_or_b64 exec, exec, s[42:43]
	s_and_saveexec_b64 s[42:43], s[62:63]
	s_cbranch_execz .LBB709_1121
.LBB709_1185:                           ;   in Loop: Header=BB709_980 Depth=2
	v_lshlrev_b32_e32 v37, 2, v140
	ds_read_b32 v39, v37
	ds_read_b64 v[37:38], v104 offset:20992
	v_mov_b32_e32 v40, v3
	v_mov_b32_e32 v41, s87
	s_waitcnt lgkmcnt(1)
	v_add_u32_e32 v39, v39, v83
	v_lshlrev_b64 v[39:40], 3, v[39:40]
	v_add_co_u32_e32 v39, vcc, s86, v39
	v_addc_co_u32_e32 v40, vcc, v41, v40, vcc
	s_waitcnt lgkmcnt(0)
	global_store_dwordx2 v[39:40], v[37:38], off
	s_or_b64 exec, exec, s[42:43]
	s_and_saveexec_b64 s[42:43], s[64:65]
	s_cbranch_execz .LBB709_1122
.LBB709_1186:                           ;   in Loop: Header=BB709_980 Depth=2
	v_lshlrev_b32_e32 v37, 2, v139
	ds_read_b32 v39, v37
	ds_read_b64 v[37:38], v104 offset:23040
	v_mov_b32_e32 v40, v3
	v_mov_b32_e32 v41, s87
	s_waitcnt lgkmcnt(1)
	v_add_u32_e32 v39, v39, v84
	v_lshlrev_b64 v[39:40], 3, v[39:40]
	v_add_co_u32_e32 v39, vcc, s86, v39
	v_addc_co_u32_e32 v40, vcc, v41, v40, vcc
	s_waitcnt lgkmcnt(0)
	global_store_dwordx2 v[39:40], v[37:38], off
	s_or_b64 exec, exec, s[42:43]
	s_and_saveexec_b64 s[42:43], s[66:67]
	s_cbranch_execz .LBB709_1123
.LBB709_1187:                           ;   in Loop: Header=BB709_980 Depth=2
	v_lshlrev_b32_e32 v37, 2, v138
	ds_read_b32 v39, v37
	ds_read_b64 v[37:38], v104 offset:25088
	v_mov_b32_e32 v40, v3
	v_mov_b32_e32 v41, s87
	s_waitcnt lgkmcnt(1)
	v_add_u32_e32 v39, v39, v85
	v_lshlrev_b64 v[39:40], 3, v[39:40]
	v_add_co_u32_e32 v39, vcc, s86, v39
	v_addc_co_u32_e32 v40, vcc, v41, v40, vcc
	s_waitcnt lgkmcnt(0)
	global_store_dwordx2 v[39:40], v[37:38], off
	s_or_b64 exec, exec, s[42:43]
	s_and_saveexec_b64 s[42:43], s[68:69]
	s_cbranch_execz .LBB709_1124
.LBB709_1188:                           ;   in Loop: Header=BB709_980 Depth=2
	v_lshlrev_b32_e32 v37, 2, v137
	ds_read_b32 v39, v37
	ds_read_b64 v[37:38], v104 offset:27136
	v_mov_b32_e32 v40, v3
	v_mov_b32_e32 v41, s87
	s_waitcnt lgkmcnt(1)
	v_add_u32_e32 v39, v39, v86
	v_lshlrev_b64 v[39:40], 3, v[39:40]
	v_add_co_u32_e32 v39, vcc, s86, v39
	v_addc_co_u32_e32 v40, vcc, v41, v40, vcc
	s_waitcnt lgkmcnt(0)
	global_store_dwordx2 v[39:40], v[37:38], off
	s_or_b64 exec, exec, s[42:43]
	s_and_saveexec_b64 s[42:43], s[70:71]
	s_cbranch_execz .LBB709_1125
.LBB709_1189:                           ;   in Loop: Header=BB709_980 Depth=2
	v_lshlrev_b32_e32 v37, 2, v136
	ds_read_b32 v39, v37
	ds_read_b64 v[37:38], v104 offset:29184
	v_mov_b32_e32 v40, v3
	v_mov_b32_e32 v41, s87
	s_waitcnt lgkmcnt(1)
	v_add_u32_e32 v39, v39, v87
	v_lshlrev_b64 v[39:40], 3, v[39:40]
	v_add_co_u32_e32 v39, vcc, s86, v39
	v_addc_co_u32_e32 v40, vcc, v41, v40, vcc
	s_waitcnt lgkmcnt(0)
	global_store_dwordx2 v[39:40], v[37:38], off
	s_or_b64 exec, exec, s[42:43]
	s_and_saveexec_b64 s[42:43], s[72:73]
	s_cbranch_execnz .LBB709_1126
	s_branch .LBB709_1127
.LBB709_1190:
	s_endpgm
	.section	.rodata,"a",@progbits
	.p2align	6, 0x0
	.amdhsa_kernel _ZN7rocprim17ROCPRIM_400000_NS6detail17trampoline_kernelINS0_14default_configENS1_36segmented_radix_sort_config_selectorIllEEZNS1_25segmented_radix_sort_implIS3_Lb1EPKlPlS8_S9_N2at6native12_GLOBAL__N_18offset_tEEE10hipError_tPvRmT1_PNSt15iterator_traitsISH_E10value_typeET2_T3_PNSI_ISN_E10value_typeET4_jRbjT5_ST_jjP12ihipStream_tbEUlT_E_NS1_11comp_targetILNS1_3genE2ELNS1_11target_archE906ELNS1_3gpuE6ELNS1_3repE0EEENS1_30default_config_static_selectorELNS0_4arch9wavefront6targetE1EEEvSH_
		.amdhsa_group_segment_fixed_size 33288
		.amdhsa_private_segment_fixed_size 160
		.amdhsa_kernarg_size 352
		.amdhsa_user_sgpr_count 6
		.amdhsa_user_sgpr_private_segment_buffer 1
		.amdhsa_user_sgpr_dispatch_ptr 0
		.amdhsa_user_sgpr_queue_ptr 0
		.amdhsa_user_sgpr_kernarg_segment_ptr 1
		.amdhsa_user_sgpr_dispatch_id 0
		.amdhsa_user_sgpr_flat_scratch_init 0
		.amdhsa_user_sgpr_private_segment_size 0
		.amdhsa_uses_dynamic_stack 0
		.amdhsa_system_sgpr_private_segment_wavefront_offset 1
		.amdhsa_system_sgpr_workgroup_id_x 1
		.amdhsa_system_sgpr_workgroup_id_y 1
		.amdhsa_system_sgpr_workgroup_id_z 0
		.amdhsa_system_sgpr_workgroup_info 0
		.amdhsa_system_vgpr_workitem_id 2
		.amdhsa_next_free_vgpr 248
		.amdhsa_next_free_sgpr 100
		.amdhsa_reserve_vcc 1
		.amdhsa_reserve_flat_scratch 0
		.amdhsa_float_round_mode_32 0
		.amdhsa_float_round_mode_16_64 0
		.amdhsa_float_denorm_mode_32 3
		.amdhsa_float_denorm_mode_16_64 3
		.amdhsa_dx10_clamp 1
		.amdhsa_ieee_mode 1
		.amdhsa_fp16_overflow 0
		.amdhsa_exception_fp_ieee_invalid_op 0
		.amdhsa_exception_fp_denorm_src 0
		.amdhsa_exception_fp_ieee_div_zero 0
		.amdhsa_exception_fp_ieee_overflow 0
		.amdhsa_exception_fp_ieee_underflow 0
		.amdhsa_exception_fp_ieee_inexact 0
		.amdhsa_exception_int_div_zero 0
	.end_amdhsa_kernel
	.section	.text._ZN7rocprim17ROCPRIM_400000_NS6detail17trampoline_kernelINS0_14default_configENS1_36segmented_radix_sort_config_selectorIllEEZNS1_25segmented_radix_sort_implIS3_Lb1EPKlPlS8_S9_N2at6native12_GLOBAL__N_18offset_tEEE10hipError_tPvRmT1_PNSt15iterator_traitsISH_E10value_typeET2_T3_PNSI_ISN_E10value_typeET4_jRbjT5_ST_jjP12ihipStream_tbEUlT_E_NS1_11comp_targetILNS1_3genE2ELNS1_11target_archE906ELNS1_3gpuE6ELNS1_3repE0EEENS1_30default_config_static_selectorELNS0_4arch9wavefront6targetE1EEEvSH_,"axG",@progbits,_ZN7rocprim17ROCPRIM_400000_NS6detail17trampoline_kernelINS0_14default_configENS1_36segmented_radix_sort_config_selectorIllEEZNS1_25segmented_radix_sort_implIS3_Lb1EPKlPlS8_S9_N2at6native12_GLOBAL__N_18offset_tEEE10hipError_tPvRmT1_PNSt15iterator_traitsISH_E10value_typeET2_T3_PNSI_ISN_E10value_typeET4_jRbjT5_ST_jjP12ihipStream_tbEUlT_E_NS1_11comp_targetILNS1_3genE2ELNS1_11target_archE906ELNS1_3gpuE6ELNS1_3repE0EEENS1_30default_config_static_selectorELNS0_4arch9wavefront6targetE1EEEvSH_,comdat
.Lfunc_end709:
	.size	_ZN7rocprim17ROCPRIM_400000_NS6detail17trampoline_kernelINS0_14default_configENS1_36segmented_radix_sort_config_selectorIllEEZNS1_25segmented_radix_sort_implIS3_Lb1EPKlPlS8_S9_N2at6native12_GLOBAL__N_18offset_tEEE10hipError_tPvRmT1_PNSt15iterator_traitsISH_E10value_typeET2_T3_PNSI_ISN_E10value_typeET4_jRbjT5_ST_jjP12ihipStream_tbEUlT_E_NS1_11comp_targetILNS1_3genE2ELNS1_11target_archE906ELNS1_3gpuE6ELNS1_3repE0EEENS1_30default_config_static_selectorELNS0_4arch9wavefront6targetE1EEEvSH_, .Lfunc_end709-_ZN7rocprim17ROCPRIM_400000_NS6detail17trampoline_kernelINS0_14default_configENS1_36segmented_radix_sort_config_selectorIllEEZNS1_25segmented_radix_sort_implIS3_Lb1EPKlPlS8_S9_N2at6native12_GLOBAL__N_18offset_tEEE10hipError_tPvRmT1_PNSt15iterator_traitsISH_E10value_typeET2_T3_PNSI_ISN_E10value_typeET4_jRbjT5_ST_jjP12ihipStream_tbEUlT_E_NS1_11comp_targetILNS1_3genE2ELNS1_11target_archE906ELNS1_3gpuE6ELNS1_3repE0EEENS1_30default_config_static_selectorELNS0_4arch9wavefront6targetE1EEEvSH_
                                        ; -- End function
	.set _ZN7rocprim17ROCPRIM_400000_NS6detail17trampoline_kernelINS0_14default_configENS1_36segmented_radix_sort_config_selectorIllEEZNS1_25segmented_radix_sort_implIS3_Lb1EPKlPlS8_S9_N2at6native12_GLOBAL__N_18offset_tEEE10hipError_tPvRmT1_PNSt15iterator_traitsISH_E10value_typeET2_T3_PNSI_ISN_E10value_typeET4_jRbjT5_ST_jjP12ihipStream_tbEUlT_E_NS1_11comp_targetILNS1_3genE2ELNS1_11target_archE906ELNS1_3gpuE6ELNS1_3repE0EEENS1_30default_config_static_selectorELNS0_4arch9wavefront6targetE1EEEvSH_.num_vgpr, max(233, .L_ZN7rocprim17ROCPRIM_400000_NS6detail40segmented_radix_sort_single_block_helperIllLj256ELj16ELb1EE4sortIPKlPlS6_S7_EEbT_T0_T1_T2_jjjjRNS3_12storage_typeE.num_vgpr)
	.set _ZN7rocprim17ROCPRIM_400000_NS6detail17trampoline_kernelINS0_14default_configENS1_36segmented_radix_sort_config_selectorIllEEZNS1_25segmented_radix_sort_implIS3_Lb1EPKlPlS8_S9_N2at6native12_GLOBAL__N_18offset_tEEE10hipError_tPvRmT1_PNSt15iterator_traitsISH_E10value_typeET2_T3_PNSI_ISN_E10value_typeET4_jRbjT5_ST_jjP12ihipStream_tbEUlT_E_NS1_11comp_targetILNS1_3genE2ELNS1_11target_archE906ELNS1_3gpuE6ELNS1_3repE0EEENS1_30default_config_static_selectorELNS0_4arch9wavefront6targetE1EEEvSH_.num_agpr, max(0, .L_ZN7rocprim17ROCPRIM_400000_NS6detail40segmented_radix_sort_single_block_helperIllLj256ELj16ELb1EE4sortIPKlPlS6_S7_EEbT_T0_T1_T2_jjjjRNS3_12storage_typeE.num_agpr)
	.set _ZN7rocprim17ROCPRIM_400000_NS6detail17trampoline_kernelINS0_14default_configENS1_36segmented_radix_sort_config_selectorIllEEZNS1_25segmented_radix_sort_implIS3_Lb1EPKlPlS8_S9_N2at6native12_GLOBAL__N_18offset_tEEE10hipError_tPvRmT1_PNSt15iterator_traitsISH_E10value_typeET2_T3_PNSI_ISN_E10value_typeET4_jRbjT5_ST_jjP12ihipStream_tbEUlT_E_NS1_11comp_targetILNS1_3genE2ELNS1_11target_archE906ELNS1_3gpuE6ELNS1_3repE0EEENS1_30default_config_static_selectorELNS0_4arch9wavefront6targetE1EEEvSH_.numbered_sgpr, max(100, .L_ZN7rocprim17ROCPRIM_400000_NS6detail40segmented_radix_sort_single_block_helperIllLj256ELj16ELb1EE4sortIPKlPlS6_S7_EEbT_T0_T1_T2_jjjjRNS3_12storage_typeE.numbered_sgpr)
	.set _ZN7rocprim17ROCPRIM_400000_NS6detail17trampoline_kernelINS0_14default_configENS1_36segmented_radix_sort_config_selectorIllEEZNS1_25segmented_radix_sort_implIS3_Lb1EPKlPlS8_S9_N2at6native12_GLOBAL__N_18offset_tEEE10hipError_tPvRmT1_PNSt15iterator_traitsISH_E10value_typeET2_T3_PNSI_ISN_E10value_typeET4_jRbjT5_ST_jjP12ihipStream_tbEUlT_E_NS1_11comp_targetILNS1_3genE2ELNS1_11target_archE906ELNS1_3gpuE6ELNS1_3repE0EEENS1_30default_config_static_selectorELNS0_4arch9wavefront6targetE1EEEvSH_.num_named_barrier, max(0, .L_ZN7rocprim17ROCPRIM_400000_NS6detail40segmented_radix_sort_single_block_helperIllLj256ELj16ELb1EE4sortIPKlPlS6_S7_EEbT_T0_T1_T2_jjjjRNS3_12storage_typeE.num_named_barrier)
	.set _ZN7rocprim17ROCPRIM_400000_NS6detail17trampoline_kernelINS0_14default_configENS1_36segmented_radix_sort_config_selectorIllEEZNS1_25segmented_radix_sort_implIS3_Lb1EPKlPlS8_S9_N2at6native12_GLOBAL__N_18offset_tEEE10hipError_tPvRmT1_PNSt15iterator_traitsISH_E10value_typeET2_T3_PNSI_ISN_E10value_typeET4_jRbjT5_ST_jjP12ihipStream_tbEUlT_E_NS1_11comp_targetILNS1_3genE2ELNS1_11target_archE906ELNS1_3gpuE6ELNS1_3repE0EEENS1_30default_config_static_selectorELNS0_4arch9wavefront6targetE1EEEvSH_.private_seg_size, 0+max(.L_ZN7rocprim17ROCPRIM_400000_NS6detail40segmented_radix_sort_single_block_helperIllLj256ELj16ELb1EE4sortIPKlPlS6_S7_EEbT_T0_T1_T2_jjjjRNS3_12storage_typeE.private_seg_size)
	.set _ZN7rocprim17ROCPRIM_400000_NS6detail17trampoline_kernelINS0_14default_configENS1_36segmented_radix_sort_config_selectorIllEEZNS1_25segmented_radix_sort_implIS3_Lb1EPKlPlS8_S9_N2at6native12_GLOBAL__N_18offset_tEEE10hipError_tPvRmT1_PNSt15iterator_traitsISH_E10value_typeET2_T3_PNSI_ISN_E10value_typeET4_jRbjT5_ST_jjP12ihipStream_tbEUlT_E_NS1_11comp_targetILNS1_3genE2ELNS1_11target_archE906ELNS1_3gpuE6ELNS1_3repE0EEENS1_30default_config_static_selectorELNS0_4arch9wavefront6targetE1EEEvSH_.uses_vcc, or(1, .L_ZN7rocprim17ROCPRIM_400000_NS6detail40segmented_radix_sort_single_block_helperIllLj256ELj16ELb1EE4sortIPKlPlS6_S7_EEbT_T0_T1_T2_jjjjRNS3_12storage_typeE.uses_vcc)
	.set _ZN7rocprim17ROCPRIM_400000_NS6detail17trampoline_kernelINS0_14default_configENS1_36segmented_radix_sort_config_selectorIllEEZNS1_25segmented_radix_sort_implIS3_Lb1EPKlPlS8_S9_N2at6native12_GLOBAL__N_18offset_tEEE10hipError_tPvRmT1_PNSt15iterator_traitsISH_E10value_typeET2_T3_PNSI_ISN_E10value_typeET4_jRbjT5_ST_jjP12ihipStream_tbEUlT_E_NS1_11comp_targetILNS1_3genE2ELNS1_11target_archE906ELNS1_3gpuE6ELNS1_3repE0EEENS1_30default_config_static_selectorELNS0_4arch9wavefront6targetE1EEEvSH_.uses_flat_scratch, or(0, .L_ZN7rocprim17ROCPRIM_400000_NS6detail40segmented_radix_sort_single_block_helperIllLj256ELj16ELb1EE4sortIPKlPlS6_S7_EEbT_T0_T1_T2_jjjjRNS3_12storage_typeE.uses_flat_scratch)
	.set _ZN7rocprim17ROCPRIM_400000_NS6detail17trampoline_kernelINS0_14default_configENS1_36segmented_radix_sort_config_selectorIllEEZNS1_25segmented_radix_sort_implIS3_Lb1EPKlPlS8_S9_N2at6native12_GLOBAL__N_18offset_tEEE10hipError_tPvRmT1_PNSt15iterator_traitsISH_E10value_typeET2_T3_PNSI_ISN_E10value_typeET4_jRbjT5_ST_jjP12ihipStream_tbEUlT_E_NS1_11comp_targetILNS1_3genE2ELNS1_11target_archE906ELNS1_3gpuE6ELNS1_3repE0EEENS1_30default_config_static_selectorELNS0_4arch9wavefront6targetE1EEEvSH_.has_dyn_sized_stack, or(0, .L_ZN7rocprim17ROCPRIM_400000_NS6detail40segmented_radix_sort_single_block_helperIllLj256ELj16ELb1EE4sortIPKlPlS6_S7_EEbT_T0_T1_T2_jjjjRNS3_12storage_typeE.has_dyn_sized_stack)
	.set _ZN7rocprim17ROCPRIM_400000_NS6detail17trampoline_kernelINS0_14default_configENS1_36segmented_radix_sort_config_selectorIllEEZNS1_25segmented_radix_sort_implIS3_Lb1EPKlPlS8_S9_N2at6native12_GLOBAL__N_18offset_tEEE10hipError_tPvRmT1_PNSt15iterator_traitsISH_E10value_typeET2_T3_PNSI_ISN_E10value_typeET4_jRbjT5_ST_jjP12ihipStream_tbEUlT_E_NS1_11comp_targetILNS1_3genE2ELNS1_11target_archE906ELNS1_3gpuE6ELNS1_3repE0EEENS1_30default_config_static_selectorELNS0_4arch9wavefront6targetE1EEEvSH_.has_recursion, or(0, .L_ZN7rocprim17ROCPRIM_400000_NS6detail40segmented_radix_sort_single_block_helperIllLj256ELj16ELb1EE4sortIPKlPlS6_S7_EEbT_T0_T1_T2_jjjjRNS3_12storage_typeE.has_recursion)
	.set _ZN7rocprim17ROCPRIM_400000_NS6detail17trampoline_kernelINS0_14default_configENS1_36segmented_radix_sort_config_selectorIllEEZNS1_25segmented_radix_sort_implIS3_Lb1EPKlPlS8_S9_N2at6native12_GLOBAL__N_18offset_tEEE10hipError_tPvRmT1_PNSt15iterator_traitsISH_E10value_typeET2_T3_PNSI_ISN_E10value_typeET4_jRbjT5_ST_jjP12ihipStream_tbEUlT_E_NS1_11comp_targetILNS1_3genE2ELNS1_11target_archE906ELNS1_3gpuE6ELNS1_3repE0EEENS1_30default_config_static_selectorELNS0_4arch9wavefront6targetE1EEEvSH_.has_indirect_call, or(0, .L_ZN7rocprim17ROCPRIM_400000_NS6detail40segmented_radix_sort_single_block_helperIllLj256ELj16ELb1EE4sortIPKlPlS6_S7_EEbT_T0_T1_T2_jjjjRNS3_12storage_typeE.has_indirect_call)
	.section	.AMDGPU.csdata,"",@progbits
; Kernel info:
; codeLenInByte = 66204
; TotalNumSgprs: 104
; NumVgprs: 248
; ScratchSize: 160
; MemoryBound: 0
; FloatMode: 240
; IeeeMode: 1
; LDSByteSize: 33288 bytes/workgroup (compile time only)
; SGPRBlocks: 12
; VGPRBlocks: 61
; NumSGPRsForWavesPerEU: 104
; NumVGPRsForWavesPerEU: 248
; Occupancy: 1
; WaveLimiterHint : 1
; COMPUTE_PGM_RSRC2:SCRATCH_EN: 1
; COMPUTE_PGM_RSRC2:USER_SGPR: 6
; COMPUTE_PGM_RSRC2:TRAP_HANDLER: 0
; COMPUTE_PGM_RSRC2:TGID_X_EN: 1
; COMPUTE_PGM_RSRC2:TGID_Y_EN: 1
; COMPUTE_PGM_RSRC2:TGID_Z_EN: 0
; COMPUTE_PGM_RSRC2:TIDIG_COMP_CNT: 2
	.section	.text._ZN7rocprim17ROCPRIM_400000_NS6detail17trampoline_kernelINS0_14default_configENS1_36segmented_radix_sort_config_selectorIllEEZNS1_25segmented_radix_sort_implIS3_Lb1EPKlPlS8_S9_N2at6native12_GLOBAL__N_18offset_tEEE10hipError_tPvRmT1_PNSt15iterator_traitsISH_E10value_typeET2_T3_PNSI_ISN_E10value_typeET4_jRbjT5_ST_jjP12ihipStream_tbEUlT_E_NS1_11comp_targetILNS1_3genE10ELNS1_11target_archE1201ELNS1_3gpuE5ELNS1_3repE0EEENS1_30default_config_static_selectorELNS0_4arch9wavefront6targetE1EEEvSH_,"axG",@progbits,_ZN7rocprim17ROCPRIM_400000_NS6detail17trampoline_kernelINS0_14default_configENS1_36segmented_radix_sort_config_selectorIllEEZNS1_25segmented_radix_sort_implIS3_Lb1EPKlPlS8_S9_N2at6native12_GLOBAL__N_18offset_tEEE10hipError_tPvRmT1_PNSt15iterator_traitsISH_E10value_typeET2_T3_PNSI_ISN_E10value_typeET4_jRbjT5_ST_jjP12ihipStream_tbEUlT_E_NS1_11comp_targetILNS1_3genE10ELNS1_11target_archE1201ELNS1_3gpuE5ELNS1_3repE0EEENS1_30default_config_static_selectorELNS0_4arch9wavefront6targetE1EEEvSH_,comdat
	.globl	_ZN7rocprim17ROCPRIM_400000_NS6detail17trampoline_kernelINS0_14default_configENS1_36segmented_radix_sort_config_selectorIllEEZNS1_25segmented_radix_sort_implIS3_Lb1EPKlPlS8_S9_N2at6native12_GLOBAL__N_18offset_tEEE10hipError_tPvRmT1_PNSt15iterator_traitsISH_E10value_typeET2_T3_PNSI_ISN_E10value_typeET4_jRbjT5_ST_jjP12ihipStream_tbEUlT_E_NS1_11comp_targetILNS1_3genE10ELNS1_11target_archE1201ELNS1_3gpuE5ELNS1_3repE0EEENS1_30default_config_static_selectorELNS0_4arch9wavefront6targetE1EEEvSH_ ; -- Begin function _ZN7rocprim17ROCPRIM_400000_NS6detail17trampoline_kernelINS0_14default_configENS1_36segmented_radix_sort_config_selectorIllEEZNS1_25segmented_radix_sort_implIS3_Lb1EPKlPlS8_S9_N2at6native12_GLOBAL__N_18offset_tEEE10hipError_tPvRmT1_PNSt15iterator_traitsISH_E10value_typeET2_T3_PNSI_ISN_E10value_typeET4_jRbjT5_ST_jjP12ihipStream_tbEUlT_E_NS1_11comp_targetILNS1_3genE10ELNS1_11target_archE1201ELNS1_3gpuE5ELNS1_3repE0EEENS1_30default_config_static_selectorELNS0_4arch9wavefront6targetE1EEEvSH_
	.p2align	8
	.type	_ZN7rocprim17ROCPRIM_400000_NS6detail17trampoline_kernelINS0_14default_configENS1_36segmented_radix_sort_config_selectorIllEEZNS1_25segmented_radix_sort_implIS3_Lb1EPKlPlS8_S9_N2at6native12_GLOBAL__N_18offset_tEEE10hipError_tPvRmT1_PNSt15iterator_traitsISH_E10value_typeET2_T3_PNSI_ISN_E10value_typeET4_jRbjT5_ST_jjP12ihipStream_tbEUlT_E_NS1_11comp_targetILNS1_3genE10ELNS1_11target_archE1201ELNS1_3gpuE5ELNS1_3repE0EEENS1_30default_config_static_selectorELNS0_4arch9wavefront6targetE1EEEvSH_,@function
_ZN7rocprim17ROCPRIM_400000_NS6detail17trampoline_kernelINS0_14default_configENS1_36segmented_radix_sort_config_selectorIllEEZNS1_25segmented_radix_sort_implIS3_Lb1EPKlPlS8_S9_N2at6native12_GLOBAL__N_18offset_tEEE10hipError_tPvRmT1_PNSt15iterator_traitsISH_E10value_typeET2_T3_PNSI_ISN_E10value_typeET4_jRbjT5_ST_jjP12ihipStream_tbEUlT_E_NS1_11comp_targetILNS1_3genE10ELNS1_11target_archE1201ELNS1_3gpuE5ELNS1_3repE0EEENS1_30default_config_static_selectorELNS0_4arch9wavefront6targetE1EEEvSH_: ; @_ZN7rocprim17ROCPRIM_400000_NS6detail17trampoline_kernelINS0_14default_configENS1_36segmented_radix_sort_config_selectorIllEEZNS1_25segmented_radix_sort_implIS3_Lb1EPKlPlS8_S9_N2at6native12_GLOBAL__N_18offset_tEEE10hipError_tPvRmT1_PNSt15iterator_traitsISH_E10value_typeET2_T3_PNSI_ISN_E10value_typeET4_jRbjT5_ST_jjP12ihipStream_tbEUlT_E_NS1_11comp_targetILNS1_3genE10ELNS1_11target_archE1201ELNS1_3gpuE5ELNS1_3repE0EEENS1_30default_config_static_selectorELNS0_4arch9wavefront6targetE1EEEvSH_
; %bb.0:
	.section	.rodata,"a",@progbits
	.p2align	6, 0x0
	.amdhsa_kernel _ZN7rocprim17ROCPRIM_400000_NS6detail17trampoline_kernelINS0_14default_configENS1_36segmented_radix_sort_config_selectorIllEEZNS1_25segmented_radix_sort_implIS3_Lb1EPKlPlS8_S9_N2at6native12_GLOBAL__N_18offset_tEEE10hipError_tPvRmT1_PNSt15iterator_traitsISH_E10value_typeET2_T3_PNSI_ISN_E10value_typeET4_jRbjT5_ST_jjP12ihipStream_tbEUlT_E_NS1_11comp_targetILNS1_3genE10ELNS1_11target_archE1201ELNS1_3gpuE5ELNS1_3repE0EEENS1_30default_config_static_selectorELNS0_4arch9wavefront6targetE1EEEvSH_
		.amdhsa_group_segment_fixed_size 0
		.amdhsa_private_segment_fixed_size 0
		.amdhsa_kernarg_size 96
		.amdhsa_user_sgpr_count 6
		.amdhsa_user_sgpr_private_segment_buffer 1
		.amdhsa_user_sgpr_dispatch_ptr 0
		.amdhsa_user_sgpr_queue_ptr 0
		.amdhsa_user_sgpr_kernarg_segment_ptr 1
		.amdhsa_user_sgpr_dispatch_id 0
		.amdhsa_user_sgpr_flat_scratch_init 0
		.amdhsa_user_sgpr_private_segment_size 0
		.amdhsa_uses_dynamic_stack 0
		.amdhsa_system_sgpr_private_segment_wavefront_offset 0
		.amdhsa_system_sgpr_workgroup_id_x 1
		.amdhsa_system_sgpr_workgroup_id_y 0
		.amdhsa_system_sgpr_workgroup_id_z 0
		.amdhsa_system_sgpr_workgroup_info 0
		.amdhsa_system_vgpr_workitem_id 0
		.amdhsa_next_free_vgpr 1
		.amdhsa_next_free_sgpr 0
		.amdhsa_reserve_vcc 0
		.amdhsa_reserve_flat_scratch 0
		.amdhsa_float_round_mode_32 0
		.amdhsa_float_round_mode_16_64 0
		.amdhsa_float_denorm_mode_32 3
		.amdhsa_float_denorm_mode_16_64 3
		.amdhsa_dx10_clamp 1
		.amdhsa_ieee_mode 1
		.amdhsa_fp16_overflow 0
		.amdhsa_exception_fp_ieee_invalid_op 0
		.amdhsa_exception_fp_denorm_src 0
		.amdhsa_exception_fp_ieee_div_zero 0
		.amdhsa_exception_fp_ieee_overflow 0
		.amdhsa_exception_fp_ieee_underflow 0
		.amdhsa_exception_fp_ieee_inexact 0
		.amdhsa_exception_int_div_zero 0
	.end_amdhsa_kernel
	.section	.text._ZN7rocprim17ROCPRIM_400000_NS6detail17trampoline_kernelINS0_14default_configENS1_36segmented_radix_sort_config_selectorIllEEZNS1_25segmented_radix_sort_implIS3_Lb1EPKlPlS8_S9_N2at6native12_GLOBAL__N_18offset_tEEE10hipError_tPvRmT1_PNSt15iterator_traitsISH_E10value_typeET2_T3_PNSI_ISN_E10value_typeET4_jRbjT5_ST_jjP12ihipStream_tbEUlT_E_NS1_11comp_targetILNS1_3genE10ELNS1_11target_archE1201ELNS1_3gpuE5ELNS1_3repE0EEENS1_30default_config_static_selectorELNS0_4arch9wavefront6targetE1EEEvSH_,"axG",@progbits,_ZN7rocprim17ROCPRIM_400000_NS6detail17trampoline_kernelINS0_14default_configENS1_36segmented_radix_sort_config_selectorIllEEZNS1_25segmented_radix_sort_implIS3_Lb1EPKlPlS8_S9_N2at6native12_GLOBAL__N_18offset_tEEE10hipError_tPvRmT1_PNSt15iterator_traitsISH_E10value_typeET2_T3_PNSI_ISN_E10value_typeET4_jRbjT5_ST_jjP12ihipStream_tbEUlT_E_NS1_11comp_targetILNS1_3genE10ELNS1_11target_archE1201ELNS1_3gpuE5ELNS1_3repE0EEENS1_30default_config_static_selectorELNS0_4arch9wavefront6targetE1EEEvSH_,comdat
.Lfunc_end710:
	.size	_ZN7rocprim17ROCPRIM_400000_NS6detail17trampoline_kernelINS0_14default_configENS1_36segmented_radix_sort_config_selectorIllEEZNS1_25segmented_radix_sort_implIS3_Lb1EPKlPlS8_S9_N2at6native12_GLOBAL__N_18offset_tEEE10hipError_tPvRmT1_PNSt15iterator_traitsISH_E10value_typeET2_T3_PNSI_ISN_E10value_typeET4_jRbjT5_ST_jjP12ihipStream_tbEUlT_E_NS1_11comp_targetILNS1_3genE10ELNS1_11target_archE1201ELNS1_3gpuE5ELNS1_3repE0EEENS1_30default_config_static_selectorELNS0_4arch9wavefront6targetE1EEEvSH_, .Lfunc_end710-_ZN7rocprim17ROCPRIM_400000_NS6detail17trampoline_kernelINS0_14default_configENS1_36segmented_radix_sort_config_selectorIllEEZNS1_25segmented_radix_sort_implIS3_Lb1EPKlPlS8_S9_N2at6native12_GLOBAL__N_18offset_tEEE10hipError_tPvRmT1_PNSt15iterator_traitsISH_E10value_typeET2_T3_PNSI_ISN_E10value_typeET4_jRbjT5_ST_jjP12ihipStream_tbEUlT_E_NS1_11comp_targetILNS1_3genE10ELNS1_11target_archE1201ELNS1_3gpuE5ELNS1_3repE0EEENS1_30default_config_static_selectorELNS0_4arch9wavefront6targetE1EEEvSH_
                                        ; -- End function
	.set _ZN7rocprim17ROCPRIM_400000_NS6detail17trampoline_kernelINS0_14default_configENS1_36segmented_radix_sort_config_selectorIllEEZNS1_25segmented_radix_sort_implIS3_Lb1EPKlPlS8_S9_N2at6native12_GLOBAL__N_18offset_tEEE10hipError_tPvRmT1_PNSt15iterator_traitsISH_E10value_typeET2_T3_PNSI_ISN_E10value_typeET4_jRbjT5_ST_jjP12ihipStream_tbEUlT_E_NS1_11comp_targetILNS1_3genE10ELNS1_11target_archE1201ELNS1_3gpuE5ELNS1_3repE0EEENS1_30default_config_static_selectorELNS0_4arch9wavefront6targetE1EEEvSH_.num_vgpr, 0
	.set _ZN7rocprim17ROCPRIM_400000_NS6detail17trampoline_kernelINS0_14default_configENS1_36segmented_radix_sort_config_selectorIllEEZNS1_25segmented_radix_sort_implIS3_Lb1EPKlPlS8_S9_N2at6native12_GLOBAL__N_18offset_tEEE10hipError_tPvRmT1_PNSt15iterator_traitsISH_E10value_typeET2_T3_PNSI_ISN_E10value_typeET4_jRbjT5_ST_jjP12ihipStream_tbEUlT_E_NS1_11comp_targetILNS1_3genE10ELNS1_11target_archE1201ELNS1_3gpuE5ELNS1_3repE0EEENS1_30default_config_static_selectorELNS0_4arch9wavefront6targetE1EEEvSH_.num_agpr, 0
	.set _ZN7rocprim17ROCPRIM_400000_NS6detail17trampoline_kernelINS0_14default_configENS1_36segmented_radix_sort_config_selectorIllEEZNS1_25segmented_radix_sort_implIS3_Lb1EPKlPlS8_S9_N2at6native12_GLOBAL__N_18offset_tEEE10hipError_tPvRmT1_PNSt15iterator_traitsISH_E10value_typeET2_T3_PNSI_ISN_E10value_typeET4_jRbjT5_ST_jjP12ihipStream_tbEUlT_E_NS1_11comp_targetILNS1_3genE10ELNS1_11target_archE1201ELNS1_3gpuE5ELNS1_3repE0EEENS1_30default_config_static_selectorELNS0_4arch9wavefront6targetE1EEEvSH_.numbered_sgpr, 0
	.set _ZN7rocprim17ROCPRIM_400000_NS6detail17trampoline_kernelINS0_14default_configENS1_36segmented_radix_sort_config_selectorIllEEZNS1_25segmented_radix_sort_implIS3_Lb1EPKlPlS8_S9_N2at6native12_GLOBAL__N_18offset_tEEE10hipError_tPvRmT1_PNSt15iterator_traitsISH_E10value_typeET2_T3_PNSI_ISN_E10value_typeET4_jRbjT5_ST_jjP12ihipStream_tbEUlT_E_NS1_11comp_targetILNS1_3genE10ELNS1_11target_archE1201ELNS1_3gpuE5ELNS1_3repE0EEENS1_30default_config_static_selectorELNS0_4arch9wavefront6targetE1EEEvSH_.num_named_barrier, 0
	.set _ZN7rocprim17ROCPRIM_400000_NS6detail17trampoline_kernelINS0_14default_configENS1_36segmented_radix_sort_config_selectorIllEEZNS1_25segmented_radix_sort_implIS3_Lb1EPKlPlS8_S9_N2at6native12_GLOBAL__N_18offset_tEEE10hipError_tPvRmT1_PNSt15iterator_traitsISH_E10value_typeET2_T3_PNSI_ISN_E10value_typeET4_jRbjT5_ST_jjP12ihipStream_tbEUlT_E_NS1_11comp_targetILNS1_3genE10ELNS1_11target_archE1201ELNS1_3gpuE5ELNS1_3repE0EEENS1_30default_config_static_selectorELNS0_4arch9wavefront6targetE1EEEvSH_.private_seg_size, 0
	.set _ZN7rocprim17ROCPRIM_400000_NS6detail17trampoline_kernelINS0_14default_configENS1_36segmented_radix_sort_config_selectorIllEEZNS1_25segmented_radix_sort_implIS3_Lb1EPKlPlS8_S9_N2at6native12_GLOBAL__N_18offset_tEEE10hipError_tPvRmT1_PNSt15iterator_traitsISH_E10value_typeET2_T3_PNSI_ISN_E10value_typeET4_jRbjT5_ST_jjP12ihipStream_tbEUlT_E_NS1_11comp_targetILNS1_3genE10ELNS1_11target_archE1201ELNS1_3gpuE5ELNS1_3repE0EEENS1_30default_config_static_selectorELNS0_4arch9wavefront6targetE1EEEvSH_.uses_vcc, 0
	.set _ZN7rocprim17ROCPRIM_400000_NS6detail17trampoline_kernelINS0_14default_configENS1_36segmented_radix_sort_config_selectorIllEEZNS1_25segmented_radix_sort_implIS3_Lb1EPKlPlS8_S9_N2at6native12_GLOBAL__N_18offset_tEEE10hipError_tPvRmT1_PNSt15iterator_traitsISH_E10value_typeET2_T3_PNSI_ISN_E10value_typeET4_jRbjT5_ST_jjP12ihipStream_tbEUlT_E_NS1_11comp_targetILNS1_3genE10ELNS1_11target_archE1201ELNS1_3gpuE5ELNS1_3repE0EEENS1_30default_config_static_selectorELNS0_4arch9wavefront6targetE1EEEvSH_.uses_flat_scratch, 0
	.set _ZN7rocprim17ROCPRIM_400000_NS6detail17trampoline_kernelINS0_14default_configENS1_36segmented_radix_sort_config_selectorIllEEZNS1_25segmented_radix_sort_implIS3_Lb1EPKlPlS8_S9_N2at6native12_GLOBAL__N_18offset_tEEE10hipError_tPvRmT1_PNSt15iterator_traitsISH_E10value_typeET2_T3_PNSI_ISN_E10value_typeET4_jRbjT5_ST_jjP12ihipStream_tbEUlT_E_NS1_11comp_targetILNS1_3genE10ELNS1_11target_archE1201ELNS1_3gpuE5ELNS1_3repE0EEENS1_30default_config_static_selectorELNS0_4arch9wavefront6targetE1EEEvSH_.has_dyn_sized_stack, 0
	.set _ZN7rocprim17ROCPRIM_400000_NS6detail17trampoline_kernelINS0_14default_configENS1_36segmented_radix_sort_config_selectorIllEEZNS1_25segmented_radix_sort_implIS3_Lb1EPKlPlS8_S9_N2at6native12_GLOBAL__N_18offset_tEEE10hipError_tPvRmT1_PNSt15iterator_traitsISH_E10value_typeET2_T3_PNSI_ISN_E10value_typeET4_jRbjT5_ST_jjP12ihipStream_tbEUlT_E_NS1_11comp_targetILNS1_3genE10ELNS1_11target_archE1201ELNS1_3gpuE5ELNS1_3repE0EEENS1_30default_config_static_selectorELNS0_4arch9wavefront6targetE1EEEvSH_.has_recursion, 0
	.set _ZN7rocprim17ROCPRIM_400000_NS6detail17trampoline_kernelINS0_14default_configENS1_36segmented_radix_sort_config_selectorIllEEZNS1_25segmented_radix_sort_implIS3_Lb1EPKlPlS8_S9_N2at6native12_GLOBAL__N_18offset_tEEE10hipError_tPvRmT1_PNSt15iterator_traitsISH_E10value_typeET2_T3_PNSI_ISN_E10value_typeET4_jRbjT5_ST_jjP12ihipStream_tbEUlT_E_NS1_11comp_targetILNS1_3genE10ELNS1_11target_archE1201ELNS1_3gpuE5ELNS1_3repE0EEENS1_30default_config_static_selectorELNS0_4arch9wavefront6targetE1EEEvSH_.has_indirect_call, 0
	.section	.AMDGPU.csdata,"",@progbits
; Kernel info:
; codeLenInByte = 0
; TotalNumSgprs: 4
; NumVgprs: 0
; ScratchSize: 0
; MemoryBound: 0
; FloatMode: 240
; IeeeMode: 1
; LDSByteSize: 0 bytes/workgroup (compile time only)
; SGPRBlocks: 0
; VGPRBlocks: 0
; NumSGPRsForWavesPerEU: 4
; NumVGPRsForWavesPerEU: 1
; Occupancy: 10
; WaveLimiterHint : 0
; COMPUTE_PGM_RSRC2:SCRATCH_EN: 0
; COMPUTE_PGM_RSRC2:USER_SGPR: 6
; COMPUTE_PGM_RSRC2:TRAP_HANDLER: 0
; COMPUTE_PGM_RSRC2:TGID_X_EN: 1
; COMPUTE_PGM_RSRC2:TGID_Y_EN: 0
; COMPUTE_PGM_RSRC2:TGID_Z_EN: 0
; COMPUTE_PGM_RSRC2:TIDIG_COMP_CNT: 0
	.section	.text._ZN7rocprim17ROCPRIM_400000_NS6detail17trampoline_kernelINS0_14default_configENS1_36segmented_radix_sort_config_selectorIllEEZNS1_25segmented_radix_sort_implIS3_Lb1EPKlPlS8_S9_N2at6native12_GLOBAL__N_18offset_tEEE10hipError_tPvRmT1_PNSt15iterator_traitsISH_E10value_typeET2_T3_PNSI_ISN_E10value_typeET4_jRbjT5_ST_jjP12ihipStream_tbEUlT_E_NS1_11comp_targetILNS1_3genE10ELNS1_11target_archE1200ELNS1_3gpuE4ELNS1_3repE0EEENS1_30default_config_static_selectorELNS0_4arch9wavefront6targetE1EEEvSH_,"axG",@progbits,_ZN7rocprim17ROCPRIM_400000_NS6detail17trampoline_kernelINS0_14default_configENS1_36segmented_radix_sort_config_selectorIllEEZNS1_25segmented_radix_sort_implIS3_Lb1EPKlPlS8_S9_N2at6native12_GLOBAL__N_18offset_tEEE10hipError_tPvRmT1_PNSt15iterator_traitsISH_E10value_typeET2_T3_PNSI_ISN_E10value_typeET4_jRbjT5_ST_jjP12ihipStream_tbEUlT_E_NS1_11comp_targetILNS1_3genE10ELNS1_11target_archE1200ELNS1_3gpuE4ELNS1_3repE0EEENS1_30default_config_static_selectorELNS0_4arch9wavefront6targetE1EEEvSH_,comdat
	.globl	_ZN7rocprim17ROCPRIM_400000_NS6detail17trampoline_kernelINS0_14default_configENS1_36segmented_radix_sort_config_selectorIllEEZNS1_25segmented_radix_sort_implIS3_Lb1EPKlPlS8_S9_N2at6native12_GLOBAL__N_18offset_tEEE10hipError_tPvRmT1_PNSt15iterator_traitsISH_E10value_typeET2_T3_PNSI_ISN_E10value_typeET4_jRbjT5_ST_jjP12ihipStream_tbEUlT_E_NS1_11comp_targetILNS1_3genE10ELNS1_11target_archE1200ELNS1_3gpuE4ELNS1_3repE0EEENS1_30default_config_static_selectorELNS0_4arch9wavefront6targetE1EEEvSH_ ; -- Begin function _ZN7rocprim17ROCPRIM_400000_NS6detail17trampoline_kernelINS0_14default_configENS1_36segmented_radix_sort_config_selectorIllEEZNS1_25segmented_radix_sort_implIS3_Lb1EPKlPlS8_S9_N2at6native12_GLOBAL__N_18offset_tEEE10hipError_tPvRmT1_PNSt15iterator_traitsISH_E10value_typeET2_T3_PNSI_ISN_E10value_typeET4_jRbjT5_ST_jjP12ihipStream_tbEUlT_E_NS1_11comp_targetILNS1_3genE10ELNS1_11target_archE1200ELNS1_3gpuE4ELNS1_3repE0EEENS1_30default_config_static_selectorELNS0_4arch9wavefront6targetE1EEEvSH_
	.p2align	8
	.type	_ZN7rocprim17ROCPRIM_400000_NS6detail17trampoline_kernelINS0_14default_configENS1_36segmented_radix_sort_config_selectorIllEEZNS1_25segmented_radix_sort_implIS3_Lb1EPKlPlS8_S9_N2at6native12_GLOBAL__N_18offset_tEEE10hipError_tPvRmT1_PNSt15iterator_traitsISH_E10value_typeET2_T3_PNSI_ISN_E10value_typeET4_jRbjT5_ST_jjP12ihipStream_tbEUlT_E_NS1_11comp_targetILNS1_3genE10ELNS1_11target_archE1200ELNS1_3gpuE4ELNS1_3repE0EEENS1_30default_config_static_selectorELNS0_4arch9wavefront6targetE1EEEvSH_,@function
_ZN7rocprim17ROCPRIM_400000_NS6detail17trampoline_kernelINS0_14default_configENS1_36segmented_radix_sort_config_selectorIllEEZNS1_25segmented_radix_sort_implIS3_Lb1EPKlPlS8_S9_N2at6native12_GLOBAL__N_18offset_tEEE10hipError_tPvRmT1_PNSt15iterator_traitsISH_E10value_typeET2_T3_PNSI_ISN_E10value_typeET4_jRbjT5_ST_jjP12ihipStream_tbEUlT_E_NS1_11comp_targetILNS1_3genE10ELNS1_11target_archE1200ELNS1_3gpuE4ELNS1_3repE0EEENS1_30default_config_static_selectorELNS0_4arch9wavefront6targetE1EEEvSH_: ; @_ZN7rocprim17ROCPRIM_400000_NS6detail17trampoline_kernelINS0_14default_configENS1_36segmented_radix_sort_config_selectorIllEEZNS1_25segmented_radix_sort_implIS3_Lb1EPKlPlS8_S9_N2at6native12_GLOBAL__N_18offset_tEEE10hipError_tPvRmT1_PNSt15iterator_traitsISH_E10value_typeET2_T3_PNSI_ISN_E10value_typeET4_jRbjT5_ST_jjP12ihipStream_tbEUlT_E_NS1_11comp_targetILNS1_3genE10ELNS1_11target_archE1200ELNS1_3gpuE4ELNS1_3repE0EEENS1_30default_config_static_selectorELNS0_4arch9wavefront6targetE1EEEvSH_
; %bb.0:
	.section	.rodata,"a",@progbits
	.p2align	6, 0x0
	.amdhsa_kernel _ZN7rocprim17ROCPRIM_400000_NS6detail17trampoline_kernelINS0_14default_configENS1_36segmented_radix_sort_config_selectorIllEEZNS1_25segmented_radix_sort_implIS3_Lb1EPKlPlS8_S9_N2at6native12_GLOBAL__N_18offset_tEEE10hipError_tPvRmT1_PNSt15iterator_traitsISH_E10value_typeET2_T3_PNSI_ISN_E10value_typeET4_jRbjT5_ST_jjP12ihipStream_tbEUlT_E_NS1_11comp_targetILNS1_3genE10ELNS1_11target_archE1200ELNS1_3gpuE4ELNS1_3repE0EEENS1_30default_config_static_selectorELNS0_4arch9wavefront6targetE1EEEvSH_
		.amdhsa_group_segment_fixed_size 0
		.amdhsa_private_segment_fixed_size 0
		.amdhsa_kernarg_size 96
		.amdhsa_user_sgpr_count 6
		.amdhsa_user_sgpr_private_segment_buffer 1
		.amdhsa_user_sgpr_dispatch_ptr 0
		.amdhsa_user_sgpr_queue_ptr 0
		.amdhsa_user_sgpr_kernarg_segment_ptr 1
		.amdhsa_user_sgpr_dispatch_id 0
		.amdhsa_user_sgpr_flat_scratch_init 0
		.amdhsa_user_sgpr_private_segment_size 0
		.amdhsa_uses_dynamic_stack 0
		.amdhsa_system_sgpr_private_segment_wavefront_offset 0
		.amdhsa_system_sgpr_workgroup_id_x 1
		.amdhsa_system_sgpr_workgroup_id_y 0
		.amdhsa_system_sgpr_workgroup_id_z 0
		.amdhsa_system_sgpr_workgroup_info 0
		.amdhsa_system_vgpr_workitem_id 0
		.amdhsa_next_free_vgpr 1
		.amdhsa_next_free_sgpr 0
		.amdhsa_reserve_vcc 0
		.amdhsa_reserve_flat_scratch 0
		.amdhsa_float_round_mode_32 0
		.amdhsa_float_round_mode_16_64 0
		.amdhsa_float_denorm_mode_32 3
		.amdhsa_float_denorm_mode_16_64 3
		.amdhsa_dx10_clamp 1
		.amdhsa_ieee_mode 1
		.amdhsa_fp16_overflow 0
		.amdhsa_exception_fp_ieee_invalid_op 0
		.amdhsa_exception_fp_denorm_src 0
		.amdhsa_exception_fp_ieee_div_zero 0
		.amdhsa_exception_fp_ieee_overflow 0
		.amdhsa_exception_fp_ieee_underflow 0
		.amdhsa_exception_fp_ieee_inexact 0
		.amdhsa_exception_int_div_zero 0
	.end_amdhsa_kernel
	.section	.text._ZN7rocprim17ROCPRIM_400000_NS6detail17trampoline_kernelINS0_14default_configENS1_36segmented_radix_sort_config_selectorIllEEZNS1_25segmented_radix_sort_implIS3_Lb1EPKlPlS8_S9_N2at6native12_GLOBAL__N_18offset_tEEE10hipError_tPvRmT1_PNSt15iterator_traitsISH_E10value_typeET2_T3_PNSI_ISN_E10value_typeET4_jRbjT5_ST_jjP12ihipStream_tbEUlT_E_NS1_11comp_targetILNS1_3genE10ELNS1_11target_archE1200ELNS1_3gpuE4ELNS1_3repE0EEENS1_30default_config_static_selectorELNS0_4arch9wavefront6targetE1EEEvSH_,"axG",@progbits,_ZN7rocprim17ROCPRIM_400000_NS6detail17trampoline_kernelINS0_14default_configENS1_36segmented_radix_sort_config_selectorIllEEZNS1_25segmented_radix_sort_implIS3_Lb1EPKlPlS8_S9_N2at6native12_GLOBAL__N_18offset_tEEE10hipError_tPvRmT1_PNSt15iterator_traitsISH_E10value_typeET2_T3_PNSI_ISN_E10value_typeET4_jRbjT5_ST_jjP12ihipStream_tbEUlT_E_NS1_11comp_targetILNS1_3genE10ELNS1_11target_archE1200ELNS1_3gpuE4ELNS1_3repE0EEENS1_30default_config_static_selectorELNS0_4arch9wavefront6targetE1EEEvSH_,comdat
.Lfunc_end711:
	.size	_ZN7rocprim17ROCPRIM_400000_NS6detail17trampoline_kernelINS0_14default_configENS1_36segmented_radix_sort_config_selectorIllEEZNS1_25segmented_radix_sort_implIS3_Lb1EPKlPlS8_S9_N2at6native12_GLOBAL__N_18offset_tEEE10hipError_tPvRmT1_PNSt15iterator_traitsISH_E10value_typeET2_T3_PNSI_ISN_E10value_typeET4_jRbjT5_ST_jjP12ihipStream_tbEUlT_E_NS1_11comp_targetILNS1_3genE10ELNS1_11target_archE1200ELNS1_3gpuE4ELNS1_3repE0EEENS1_30default_config_static_selectorELNS0_4arch9wavefront6targetE1EEEvSH_, .Lfunc_end711-_ZN7rocprim17ROCPRIM_400000_NS6detail17trampoline_kernelINS0_14default_configENS1_36segmented_radix_sort_config_selectorIllEEZNS1_25segmented_radix_sort_implIS3_Lb1EPKlPlS8_S9_N2at6native12_GLOBAL__N_18offset_tEEE10hipError_tPvRmT1_PNSt15iterator_traitsISH_E10value_typeET2_T3_PNSI_ISN_E10value_typeET4_jRbjT5_ST_jjP12ihipStream_tbEUlT_E_NS1_11comp_targetILNS1_3genE10ELNS1_11target_archE1200ELNS1_3gpuE4ELNS1_3repE0EEENS1_30default_config_static_selectorELNS0_4arch9wavefront6targetE1EEEvSH_
                                        ; -- End function
	.set _ZN7rocprim17ROCPRIM_400000_NS6detail17trampoline_kernelINS0_14default_configENS1_36segmented_radix_sort_config_selectorIllEEZNS1_25segmented_radix_sort_implIS3_Lb1EPKlPlS8_S9_N2at6native12_GLOBAL__N_18offset_tEEE10hipError_tPvRmT1_PNSt15iterator_traitsISH_E10value_typeET2_T3_PNSI_ISN_E10value_typeET4_jRbjT5_ST_jjP12ihipStream_tbEUlT_E_NS1_11comp_targetILNS1_3genE10ELNS1_11target_archE1200ELNS1_3gpuE4ELNS1_3repE0EEENS1_30default_config_static_selectorELNS0_4arch9wavefront6targetE1EEEvSH_.num_vgpr, 0
	.set _ZN7rocprim17ROCPRIM_400000_NS6detail17trampoline_kernelINS0_14default_configENS1_36segmented_radix_sort_config_selectorIllEEZNS1_25segmented_radix_sort_implIS3_Lb1EPKlPlS8_S9_N2at6native12_GLOBAL__N_18offset_tEEE10hipError_tPvRmT1_PNSt15iterator_traitsISH_E10value_typeET2_T3_PNSI_ISN_E10value_typeET4_jRbjT5_ST_jjP12ihipStream_tbEUlT_E_NS1_11comp_targetILNS1_3genE10ELNS1_11target_archE1200ELNS1_3gpuE4ELNS1_3repE0EEENS1_30default_config_static_selectorELNS0_4arch9wavefront6targetE1EEEvSH_.num_agpr, 0
	.set _ZN7rocprim17ROCPRIM_400000_NS6detail17trampoline_kernelINS0_14default_configENS1_36segmented_radix_sort_config_selectorIllEEZNS1_25segmented_radix_sort_implIS3_Lb1EPKlPlS8_S9_N2at6native12_GLOBAL__N_18offset_tEEE10hipError_tPvRmT1_PNSt15iterator_traitsISH_E10value_typeET2_T3_PNSI_ISN_E10value_typeET4_jRbjT5_ST_jjP12ihipStream_tbEUlT_E_NS1_11comp_targetILNS1_3genE10ELNS1_11target_archE1200ELNS1_3gpuE4ELNS1_3repE0EEENS1_30default_config_static_selectorELNS0_4arch9wavefront6targetE1EEEvSH_.numbered_sgpr, 0
	.set _ZN7rocprim17ROCPRIM_400000_NS6detail17trampoline_kernelINS0_14default_configENS1_36segmented_radix_sort_config_selectorIllEEZNS1_25segmented_radix_sort_implIS3_Lb1EPKlPlS8_S9_N2at6native12_GLOBAL__N_18offset_tEEE10hipError_tPvRmT1_PNSt15iterator_traitsISH_E10value_typeET2_T3_PNSI_ISN_E10value_typeET4_jRbjT5_ST_jjP12ihipStream_tbEUlT_E_NS1_11comp_targetILNS1_3genE10ELNS1_11target_archE1200ELNS1_3gpuE4ELNS1_3repE0EEENS1_30default_config_static_selectorELNS0_4arch9wavefront6targetE1EEEvSH_.num_named_barrier, 0
	.set _ZN7rocprim17ROCPRIM_400000_NS6detail17trampoline_kernelINS0_14default_configENS1_36segmented_radix_sort_config_selectorIllEEZNS1_25segmented_radix_sort_implIS3_Lb1EPKlPlS8_S9_N2at6native12_GLOBAL__N_18offset_tEEE10hipError_tPvRmT1_PNSt15iterator_traitsISH_E10value_typeET2_T3_PNSI_ISN_E10value_typeET4_jRbjT5_ST_jjP12ihipStream_tbEUlT_E_NS1_11comp_targetILNS1_3genE10ELNS1_11target_archE1200ELNS1_3gpuE4ELNS1_3repE0EEENS1_30default_config_static_selectorELNS0_4arch9wavefront6targetE1EEEvSH_.private_seg_size, 0
	.set _ZN7rocprim17ROCPRIM_400000_NS6detail17trampoline_kernelINS0_14default_configENS1_36segmented_radix_sort_config_selectorIllEEZNS1_25segmented_radix_sort_implIS3_Lb1EPKlPlS8_S9_N2at6native12_GLOBAL__N_18offset_tEEE10hipError_tPvRmT1_PNSt15iterator_traitsISH_E10value_typeET2_T3_PNSI_ISN_E10value_typeET4_jRbjT5_ST_jjP12ihipStream_tbEUlT_E_NS1_11comp_targetILNS1_3genE10ELNS1_11target_archE1200ELNS1_3gpuE4ELNS1_3repE0EEENS1_30default_config_static_selectorELNS0_4arch9wavefront6targetE1EEEvSH_.uses_vcc, 0
	.set _ZN7rocprim17ROCPRIM_400000_NS6detail17trampoline_kernelINS0_14default_configENS1_36segmented_radix_sort_config_selectorIllEEZNS1_25segmented_radix_sort_implIS3_Lb1EPKlPlS8_S9_N2at6native12_GLOBAL__N_18offset_tEEE10hipError_tPvRmT1_PNSt15iterator_traitsISH_E10value_typeET2_T3_PNSI_ISN_E10value_typeET4_jRbjT5_ST_jjP12ihipStream_tbEUlT_E_NS1_11comp_targetILNS1_3genE10ELNS1_11target_archE1200ELNS1_3gpuE4ELNS1_3repE0EEENS1_30default_config_static_selectorELNS0_4arch9wavefront6targetE1EEEvSH_.uses_flat_scratch, 0
	.set _ZN7rocprim17ROCPRIM_400000_NS6detail17trampoline_kernelINS0_14default_configENS1_36segmented_radix_sort_config_selectorIllEEZNS1_25segmented_radix_sort_implIS3_Lb1EPKlPlS8_S9_N2at6native12_GLOBAL__N_18offset_tEEE10hipError_tPvRmT1_PNSt15iterator_traitsISH_E10value_typeET2_T3_PNSI_ISN_E10value_typeET4_jRbjT5_ST_jjP12ihipStream_tbEUlT_E_NS1_11comp_targetILNS1_3genE10ELNS1_11target_archE1200ELNS1_3gpuE4ELNS1_3repE0EEENS1_30default_config_static_selectorELNS0_4arch9wavefront6targetE1EEEvSH_.has_dyn_sized_stack, 0
	.set _ZN7rocprim17ROCPRIM_400000_NS6detail17trampoline_kernelINS0_14default_configENS1_36segmented_radix_sort_config_selectorIllEEZNS1_25segmented_radix_sort_implIS3_Lb1EPKlPlS8_S9_N2at6native12_GLOBAL__N_18offset_tEEE10hipError_tPvRmT1_PNSt15iterator_traitsISH_E10value_typeET2_T3_PNSI_ISN_E10value_typeET4_jRbjT5_ST_jjP12ihipStream_tbEUlT_E_NS1_11comp_targetILNS1_3genE10ELNS1_11target_archE1200ELNS1_3gpuE4ELNS1_3repE0EEENS1_30default_config_static_selectorELNS0_4arch9wavefront6targetE1EEEvSH_.has_recursion, 0
	.set _ZN7rocprim17ROCPRIM_400000_NS6detail17trampoline_kernelINS0_14default_configENS1_36segmented_radix_sort_config_selectorIllEEZNS1_25segmented_radix_sort_implIS3_Lb1EPKlPlS8_S9_N2at6native12_GLOBAL__N_18offset_tEEE10hipError_tPvRmT1_PNSt15iterator_traitsISH_E10value_typeET2_T3_PNSI_ISN_E10value_typeET4_jRbjT5_ST_jjP12ihipStream_tbEUlT_E_NS1_11comp_targetILNS1_3genE10ELNS1_11target_archE1200ELNS1_3gpuE4ELNS1_3repE0EEENS1_30default_config_static_selectorELNS0_4arch9wavefront6targetE1EEEvSH_.has_indirect_call, 0
	.section	.AMDGPU.csdata,"",@progbits
; Kernel info:
; codeLenInByte = 0
; TotalNumSgprs: 4
; NumVgprs: 0
; ScratchSize: 0
; MemoryBound: 0
; FloatMode: 240
; IeeeMode: 1
; LDSByteSize: 0 bytes/workgroup (compile time only)
; SGPRBlocks: 0
; VGPRBlocks: 0
; NumSGPRsForWavesPerEU: 4
; NumVGPRsForWavesPerEU: 1
; Occupancy: 10
; WaveLimiterHint : 0
; COMPUTE_PGM_RSRC2:SCRATCH_EN: 0
; COMPUTE_PGM_RSRC2:USER_SGPR: 6
; COMPUTE_PGM_RSRC2:TRAP_HANDLER: 0
; COMPUTE_PGM_RSRC2:TGID_X_EN: 1
; COMPUTE_PGM_RSRC2:TGID_Y_EN: 0
; COMPUTE_PGM_RSRC2:TGID_Z_EN: 0
; COMPUTE_PGM_RSRC2:TIDIG_COMP_CNT: 0
	.section	.text._ZN7rocprim17ROCPRIM_400000_NS6detail17trampoline_kernelINS0_14default_configENS1_36segmented_radix_sort_config_selectorIllEEZNS1_25segmented_radix_sort_implIS3_Lb1EPKlPlS8_S9_N2at6native12_GLOBAL__N_18offset_tEEE10hipError_tPvRmT1_PNSt15iterator_traitsISH_E10value_typeET2_T3_PNSI_ISN_E10value_typeET4_jRbjT5_ST_jjP12ihipStream_tbEUlT_E_NS1_11comp_targetILNS1_3genE9ELNS1_11target_archE1100ELNS1_3gpuE3ELNS1_3repE0EEENS1_30default_config_static_selectorELNS0_4arch9wavefront6targetE1EEEvSH_,"axG",@progbits,_ZN7rocprim17ROCPRIM_400000_NS6detail17trampoline_kernelINS0_14default_configENS1_36segmented_radix_sort_config_selectorIllEEZNS1_25segmented_radix_sort_implIS3_Lb1EPKlPlS8_S9_N2at6native12_GLOBAL__N_18offset_tEEE10hipError_tPvRmT1_PNSt15iterator_traitsISH_E10value_typeET2_T3_PNSI_ISN_E10value_typeET4_jRbjT5_ST_jjP12ihipStream_tbEUlT_E_NS1_11comp_targetILNS1_3genE9ELNS1_11target_archE1100ELNS1_3gpuE3ELNS1_3repE0EEENS1_30default_config_static_selectorELNS0_4arch9wavefront6targetE1EEEvSH_,comdat
	.globl	_ZN7rocprim17ROCPRIM_400000_NS6detail17trampoline_kernelINS0_14default_configENS1_36segmented_radix_sort_config_selectorIllEEZNS1_25segmented_radix_sort_implIS3_Lb1EPKlPlS8_S9_N2at6native12_GLOBAL__N_18offset_tEEE10hipError_tPvRmT1_PNSt15iterator_traitsISH_E10value_typeET2_T3_PNSI_ISN_E10value_typeET4_jRbjT5_ST_jjP12ihipStream_tbEUlT_E_NS1_11comp_targetILNS1_3genE9ELNS1_11target_archE1100ELNS1_3gpuE3ELNS1_3repE0EEENS1_30default_config_static_selectorELNS0_4arch9wavefront6targetE1EEEvSH_ ; -- Begin function _ZN7rocprim17ROCPRIM_400000_NS6detail17trampoline_kernelINS0_14default_configENS1_36segmented_radix_sort_config_selectorIllEEZNS1_25segmented_radix_sort_implIS3_Lb1EPKlPlS8_S9_N2at6native12_GLOBAL__N_18offset_tEEE10hipError_tPvRmT1_PNSt15iterator_traitsISH_E10value_typeET2_T3_PNSI_ISN_E10value_typeET4_jRbjT5_ST_jjP12ihipStream_tbEUlT_E_NS1_11comp_targetILNS1_3genE9ELNS1_11target_archE1100ELNS1_3gpuE3ELNS1_3repE0EEENS1_30default_config_static_selectorELNS0_4arch9wavefront6targetE1EEEvSH_
	.p2align	8
	.type	_ZN7rocprim17ROCPRIM_400000_NS6detail17trampoline_kernelINS0_14default_configENS1_36segmented_radix_sort_config_selectorIllEEZNS1_25segmented_radix_sort_implIS3_Lb1EPKlPlS8_S9_N2at6native12_GLOBAL__N_18offset_tEEE10hipError_tPvRmT1_PNSt15iterator_traitsISH_E10value_typeET2_T3_PNSI_ISN_E10value_typeET4_jRbjT5_ST_jjP12ihipStream_tbEUlT_E_NS1_11comp_targetILNS1_3genE9ELNS1_11target_archE1100ELNS1_3gpuE3ELNS1_3repE0EEENS1_30default_config_static_selectorELNS0_4arch9wavefront6targetE1EEEvSH_,@function
_ZN7rocprim17ROCPRIM_400000_NS6detail17trampoline_kernelINS0_14default_configENS1_36segmented_radix_sort_config_selectorIllEEZNS1_25segmented_radix_sort_implIS3_Lb1EPKlPlS8_S9_N2at6native12_GLOBAL__N_18offset_tEEE10hipError_tPvRmT1_PNSt15iterator_traitsISH_E10value_typeET2_T3_PNSI_ISN_E10value_typeET4_jRbjT5_ST_jjP12ihipStream_tbEUlT_E_NS1_11comp_targetILNS1_3genE9ELNS1_11target_archE1100ELNS1_3gpuE3ELNS1_3repE0EEENS1_30default_config_static_selectorELNS0_4arch9wavefront6targetE1EEEvSH_: ; @_ZN7rocprim17ROCPRIM_400000_NS6detail17trampoline_kernelINS0_14default_configENS1_36segmented_radix_sort_config_selectorIllEEZNS1_25segmented_radix_sort_implIS3_Lb1EPKlPlS8_S9_N2at6native12_GLOBAL__N_18offset_tEEE10hipError_tPvRmT1_PNSt15iterator_traitsISH_E10value_typeET2_T3_PNSI_ISN_E10value_typeET4_jRbjT5_ST_jjP12ihipStream_tbEUlT_E_NS1_11comp_targetILNS1_3genE9ELNS1_11target_archE1100ELNS1_3gpuE3ELNS1_3repE0EEENS1_30default_config_static_selectorELNS0_4arch9wavefront6targetE1EEEvSH_
; %bb.0:
	.section	.rodata,"a",@progbits
	.p2align	6, 0x0
	.amdhsa_kernel _ZN7rocprim17ROCPRIM_400000_NS6detail17trampoline_kernelINS0_14default_configENS1_36segmented_radix_sort_config_selectorIllEEZNS1_25segmented_radix_sort_implIS3_Lb1EPKlPlS8_S9_N2at6native12_GLOBAL__N_18offset_tEEE10hipError_tPvRmT1_PNSt15iterator_traitsISH_E10value_typeET2_T3_PNSI_ISN_E10value_typeET4_jRbjT5_ST_jjP12ihipStream_tbEUlT_E_NS1_11comp_targetILNS1_3genE9ELNS1_11target_archE1100ELNS1_3gpuE3ELNS1_3repE0EEENS1_30default_config_static_selectorELNS0_4arch9wavefront6targetE1EEEvSH_
		.amdhsa_group_segment_fixed_size 0
		.amdhsa_private_segment_fixed_size 0
		.amdhsa_kernarg_size 96
		.amdhsa_user_sgpr_count 6
		.amdhsa_user_sgpr_private_segment_buffer 1
		.amdhsa_user_sgpr_dispatch_ptr 0
		.amdhsa_user_sgpr_queue_ptr 0
		.amdhsa_user_sgpr_kernarg_segment_ptr 1
		.amdhsa_user_sgpr_dispatch_id 0
		.amdhsa_user_sgpr_flat_scratch_init 0
		.amdhsa_user_sgpr_private_segment_size 0
		.amdhsa_uses_dynamic_stack 0
		.amdhsa_system_sgpr_private_segment_wavefront_offset 0
		.amdhsa_system_sgpr_workgroup_id_x 1
		.amdhsa_system_sgpr_workgroup_id_y 0
		.amdhsa_system_sgpr_workgroup_id_z 0
		.amdhsa_system_sgpr_workgroup_info 0
		.amdhsa_system_vgpr_workitem_id 0
		.amdhsa_next_free_vgpr 1
		.amdhsa_next_free_sgpr 0
		.amdhsa_reserve_vcc 0
		.amdhsa_reserve_flat_scratch 0
		.amdhsa_float_round_mode_32 0
		.amdhsa_float_round_mode_16_64 0
		.amdhsa_float_denorm_mode_32 3
		.amdhsa_float_denorm_mode_16_64 3
		.amdhsa_dx10_clamp 1
		.amdhsa_ieee_mode 1
		.amdhsa_fp16_overflow 0
		.amdhsa_exception_fp_ieee_invalid_op 0
		.amdhsa_exception_fp_denorm_src 0
		.amdhsa_exception_fp_ieee_div_zero 0
		.amdhsa_exception_fp_ieee_overflow 0
		.amdhsa_exception_fp_ieee_underflow 0
		.amdhsa_exception_fp_ieee_inexact 0
		.amdhsa_exception_int_div_zero 0
	.end_amdhsa_kernel
	.section	.text._ZN7rocprim17ROCPRIM_400000_NS6detail17trampoline_kernelINS0_14default_configENS1_36segmented_radix_sort_config_selectorIllEEZNS1_25segmented_radix_sort_implIS3_Lb1EPKlPlS8_S9_N2at6native12_GLOBAL__N_18offset_tEEE10hipError_tPvRmT1_PNSt15iterator_traitsISH_E10value_typeET2_T3_PNSI_ISN_E10value_typeET4_jRbjT5_ST_jjP12ihipStream_tbEUlT_E_NS1_11comp_targetILNS1_3genE9ELNS1_11target_archE1100ELNS1_3gpuE3ELNS1_3repE0EEENS1_30default_config_static_selectorELNS0_4arch9wavefront6targetE1EEEvSH_,"axG",@progbits,_ZN7rocprim17ROCPRIM_400000_NS6detail17trampoline_kernelINS0_14default_configENS1_36segmented_radix_sort_config_selectorIllEEZNS1_25segmented_radix_sort_implIS3_Lb1EPKlPlS8_S9_N2at6native12_GLOBAL__N_18offset_tEEE10hipError_tPvRmT1_PNSt15iterator_traitsISH_E10value_typeET2_T3_PNSI_ISN_E10value_typeET4_jRbjT5_ST_jjP12ihipStream_tbEUlT_E_NS1_11comp_targetILNS1_3genE9ELNS1_11target_archE1100ELNS1_3gpuE3ELNS1_3repE0EEENS1_30default_config_static_selectorELNS0_4arch9wavefront6targetE1EEEvSH_,comdat
.Lfunc_end712:
	.size	_ZN7rocprim17ROCPRIM_400000_NS6detail17trampoline_kernelINS0_14default_configENS1_36segmented_radix_sort_config_selectorIllEEZNS1_25segmented_radix_sort_implIS3_Lb1EPKlPlS8_S9_N2at6native12_GLOBAL__N_18offset_tEEE10hipError_tPvRmT1_PNSt15iterator_traitsISH_E10value_typeET2_T3_PNSI_ISN_E10value_typeET4_jRbjT5_ST_jjP12ihipStream_tbEUlT_E_NS1_11comp_targetILNS1_3genE9ELNS1_11target_archE1100ELNS1_3gpuE3ELNS1_3repE0EEENS1_30default_config_static_selectorELNS0_4arch9wavefront6targetE1EEEvSH_, .Lfunc_end712-_ZN7rocprim17ROCPRIM_400000_NS6detail17trampoline_kernelINS0_14default_configENS1_36segmented_radix_sort_config_selectorIllEEZNS1_25segmented_radix_sort_implIS3_Lb1EPKlPlS8_S9_N2at6native12_GLOBAL__N_18offset_tEEE10hipError_tPvRmT1_PNSt15iterator_traitsISH_E10value_typeET2_T3_PNSI_ISN_E10value_typeET4_jRbjT5_ST_jjP12ihipStream_tbEUlT_E_NS1_11comp_targetILNS1_3genE9ELNS1_11target_archE1100ELNS1_3gpuE3ELNS1_3repE0EEENS1_30default_config_static_selectorELNS0_4arch9wavefront6targetE1EEEvSH_
                                        ; -- End function
	.set _ZN7rocprim17ROCPRIM_400000_NS6detail17trampoline_kernelINS0_14default_configENS1_36segmented_radix_sort_config_selectorIllEEZNS1_25segmented_radix_sort_implIS3_Lb1EPKlPlS8_S9_N2at6native12_GLOBAL__N_18offset_tEEE10hipError_tPvRmT1_PNSt15iterator_traitsISH_E10value_typeET2_T3_PNSI_ISN_E10value_typeET4_jRbjT5_ST_jjP12ihipStream_tbEUlT_E_NS1_11comp_targetILNS1_3genE9ELNS1_11target_archE1100ELNS1_3gpuE3ELNS1_3repE0EEENS1_30default_config_static_selectorELNS0_4arch9wavefront6targetE1EEEvSH_.num_vgpr, 0
	.set _ZN7rocprim17ROCPRIM_400000_NS6detail17trampoline_kernelINS0_14default_configENS1_36segmented_radix_sort_config_selectorIllEEZNS1_25segmented_radix_sort_implIS3_Lb1EPKlPlS8_S9_N2at6native12_GLOBAL__N_18offset_tEEE10hipError_tPvRmT1_PNSt15iterator_traitsISH_E10value_typeET2_T3_PNSI_ISN_E10value_typeET4_jRbjT5_ST_jjP12ihipStream_tbEUlT_E_NS1_11comp_targetILNS1_3genE9ELNS1_11target_archE1100ELNS1_3gpuE3ELNS1_3repE0EEENS1_30default_config_static_selectorELNS0_4arch9wavefront6targetE1EEEvSH_.num_agpr, 0
	.set _ZN7rocprim17ROCPRIM_400000_NS6detail17trampoline_kernelINS0_14default_configENS1_36segmented_radix_sort_config_selectorIllEEZNS1_25segmented_radix_sort_implIS3_Lb1EPKlPlS8_S9_N2at6native12_GLOBAL__N_18offset_tEEE10hipError_tPvRmT1_PNSt15iterator_traitsISH_E10value_typeET2_T3_PNSI_ISN_E10value_typeET4_jRbjT5_ST_jjP12ihipStream_tbEUlT_E_NS1_11comp_targetILNS1_3genE9ELNS1_11target_archE1100ELNS1_3gpuE3ELNS1_3repE0EEENS1_30default_config_static_selectorELNS0_4arch9wavefront6targetE1EEEvSH_.numbered_sgpr, 0
	.set _ZN7rocprim17ROCPRIM_400000_NS6detail17trampoline_kernelINS0_14default_configENS1_36segmented_radix_sort_config_selectorIllEEZNS1_25segmented_radix_sort_implIS3_Lb1EPKlPlS8_S9_N2at6native12_GLOBAL__N_18offset_tEEE10hipError_tPvRmT1_PNSt15iterator_traitsISH_E10value_typeET2_T3_PNSI_ISN_E10value_typeET4_jRbjT5_ST_jjP12ihipStream_tbEUlT_E_NS1_11comp_targetILNS1_3genE9ELNS1_11target_archE1100ELNS1_3gpuE3ELNS1_3repE0EEENS1_30default_config_static_selectorELNS0_4arch9wavefront6targetE1EEEvSH_.num_named_barrier, 0
	.set _ZN7rocprim17ROCPRIM_400000_NS6detail17trampoline_kernelINS0_14default_configENS1_36segmented_radix_sort_config_selectorIllEEZNS1_25segmented_radix_sort_implIS3_Lb1EPKlPlS8_S9_N2at6native12_GLOBAL__N_18offset_tEEE10hipError_tPvRmT1_PNSt15iterator_traitsISH_E10value_typeET2_T3_PNSI_ISN_E10value_typeET4_jRbjT5_ST_jjP12ihipStream_tbEUlT_E_NS1_11comp_targetILNS1_3genE9ELNS1_11target_archE1100ELNS1_3gpuE3ELNS1_3repE0EEENS1_30default_config_static_selectorELNS0_4arch9wavefront6targetE1EEEvSH_.private_seg_size, 0
	.set _ZN7rocprim17ROCPRIM_400000_NS6detail17trampoline_kernelINS0_14default_configENS1_36segmented_radix_sort_config_selectorIllEEZNS1_25segmented_radix_sort_implIS3_Lb1EPKlPlS8_S9_N2at6native12_GLOBAL__N_18offset_tEEE10hipError_tPvRmT1_PNSt15iterator_traitsISH_E10value_typeET2_T3_PNSI_ISN_E10value_typeET4_jRbjT5_ST_jjP12ihipStream_tbEUlT_E_NS1_11comp_targetILNS1_3genE9ELNS1_11target_archE1100ELNS1_3gpuE3ELNS1_3repE0EEENS1_30default_config_static_selectorELNS0_4arch9wavefront6targetE1EEEvSH_.uses_vcc, 0
	.set _ZN7rocprim17ROCPRIM_400000_NS6detail17trampoline_kernelINS0_14default_configENS1_36segmented_radix_sort_config_selectorIllEEZNS1_25segmented_radix_sort_implIS3_Lb1EPKlPlS8_S9_N2at6native12_GLOBAL__N_18offset_tEEE10hipError_tPvRmT1_PNSt15iterator_traitsISH_E10value_typeET2_T3_PNSI_ISN_E10value_typeET4_jRbjT5_ST_jjP12ihipStream_tbEUlT_E_NS1_11comp_targetILNS1_3genE9ELNS1_11target_archE1100ELNS1_3gpuE3ELNS1_3repE0EEENS1_30default_config_static_selectorELNS0_4arch9wavefront6targetE1EEEvSH_.uses_flat_scratch, 0
	.set _ZN7rocprim17ROCPRIM_400000_NS6detail17trampoline_kernelINS0_14default_configENS1_36segmented_radix_sort_config_selectorIllEEZNS1_25segmented_radix_sort_implIS3_Lb1EPKlPlS8_S9_N2at6native12_GLOBAL__N_18offset_tEEE10hipError_tPvRmT1_PNSt15iterator_traitsISH_E10value_typeET2_T3_PNSI_ISN_E10value_typeET4_jRbjT5_ST_jjP12ihipStream_tbEUlT_E_NS1_11comp_targetILNS1_3genE9ELNS1_11target_archE1100ELNS1_3gpuE3ELNS1_3repE0EEENS1_30default_config_static_selectorELNS0_4arch9wavefront6targetE1EEEvSH_.has_dyn_sized_stack, 0
	.set _ZN7rocprim17ROCPRIM_400000_NS6detail17trampoline_kernelINS0_14default_configENS1_36segmented_radix_sort_config_selectorIllEEZNS1_25segmented_radix_sort_implIS3_Lb1EPKlPlS8_S9_N2at6native12_GLOBAL__N_18offset_tEEE10hipError_tPvRmT1_PNSt15iterator_traitsISH_E10value_typeET2_T3_PNSI_ISN_E10value_typeET4_jRbjT5_ST_jjP12ihipStream_tbEUlT_E_NS1_11comp_targetILNS1_3genE9ELNS1_11target_archE1100ELNS1_3gpuE3ELNS1_3repE0EEENS1_30default_config_static_selectorELNS0_4arch9wavefront6targetE1EEEvSH_.has_recursion, 0
	.set _ZN7rocprim17ROCPRIM_400000_NS6detail17trampoline_kernelINS0_14default_configENS1_36segmented_radix_sort_config_selectorIllEEZNS1_25segmented_radix_sort_implIS3_Lb1EPKlPlS8_S9_N2at6native12_GLOBAL__N_18offset_tEEE10hipError_tPvRmT1_PNSt15iterator_traitsISH_E10value_typeET2_T3_PNSI_ISN_E10value_typeET4_jRbjT5_ST_jjP12ihipStream_tbEUlT_E_NS1_11comp_targetILNS1_3genE9ELNS1_11target_archE1100ELNS1_3gpuE3ELNS1_3repE0EEENS1_30default_config_static_selectorELNS0_4arch9wavefront6targetE1EEEvSH_.has_indirect_call, 0
	.section	.AMDGPU.csdata,"",@progbits
; Kernel info:
; codeLenInByte = 0
; TotalNumSgprs: 4
; NumVgprs: 0
; ScratchSize: 0
; MemoryBound: 0
; FloatMode: 240
; IeeeMode: 1
; LDSByteSize: 0 bytes/workgroup (compile time only)
; SGPRBlocks: 0
; VGPRBlocks: 0
; NumSGPRsForWavesPerEU: 4
; NumVGPRsForWavesPerEU: 1
; Occupancy: 10
; WaveLimiterHint : 0
; COMPUTE_PGM_RSRC2:SCRATCH_EN: 0
; COMPUTE_PGM_RSRC2:USER_SGPR: 6
; COMPUTE_PGM_RSRC2:TRAP_HANDLER: 0
; COMPUTE_PGM_RSRC2:TGID_X_EN: 1
; COMPUTE_PGM_RSRC2:TGID_Y_EN: 0
; COMPUTE_PGM_RSRC2:TGID_Z_EN: 0
; COMPUTE_PGM_RSRC2:TIDIG_COMP_CNT: 0
	.section	.text._ZN7rocprim17ROCPRIM_400000_NS6detail17trampoline_kernelINS0_14default_configENS1_36segmented_radix_sort_config_selectorIllEEZNS1_25segmented_radix_sort_implIS3_Lb1EPKlPlS8_S9_N2at6native12_GLOBAL__N_18offset_tEEE10hipError_tPvRmT1_PNSt15iterator_traitsISH_E10value_typeET2_T3_PNSI_ISN_E10value_typeET4_jRbjT5_ST_jjP12ihipStream_tbEUlT_E_NS1_11comp_targetILNS1_3genE8ELNS1_11target_archE1030ELNS1_3gpuE2ELNS1_3repE0EEENS1_30default_config_static_selectorELNS0_4arch9wavefront6targetE1EEEvSH_,"axG",@progbits,_ZN7rocprim17ROCPRIM_400000_NS6detail17trampoline_kernelINS0_14default_configENS1_36segmented_radix_sort_config_selectorIllEEZNS1_25segmented_radix_sort_implIS3_Lb1EPKlPlS8_S9_N2at6native12_GLOBAL__N_18offset_tEEE10hipError_tPvRmT1_PNSt15iterator_traitsISH_E10value_typeET2_T3_PNSI_ISN_E10value_typeET4_jRbjT5_ST_jjP12ihipStream_tbEUlT_E_NS1_11comp_targetILNS1_3genE8ELNS1_11target_archE1030ELNS1_3gpuE2ELNS1_3repE0EEENS1_30default_config_static_selectorELNS0_4arch9wavefront6targetE1EEEvSH_,comdat
	.globl	_ZN7rocprim17ROCPRIM_400000_NS6detail17trampoline_kernelINS0_14default_configENS1_36segmented_radix_sort_config_selectorIllEEZNS1_25segmented_radix_sort_implIS3_Lb1EPKlPlS8_S9_N2at6native12_GLOBAL__N_18offset_tEEE10hipError_tPvRmT1_PNSt15iterator_traitsISH_E10value_typeET2_T3_PNSI_ISN_E10value_typeET4_jRbjT5_ST_jjP12ihipStream_tbEUlT_E_NS1_11comp_targetILNS1_3genE8ELNS1_11target_archE1030ELNS1_3gpuE2ELNS1_3repE0EEENS1_30default_config_static_selectorELNS0_4arch9wavefront6targetE1EEEvSH_ ; -- Begin function _ZN7rocprim17ROCPRIM_400000_NS6detail17trampoline_kernelINS0_14default_configENS1_36segmented_radix_sort_config_selectorIllEEZNS1_25segmented_radix_sort_implIS3_Lb1EPKlPlS8_S9_N2at6native12_GLOBAL__N_18offset_tEEE10hipError_tPvRmT1_PNSt15iterator_traitsISH_E10value_typeET2_T3_PNSI_ISN_E10value_typeET4_jRbjT5_ST_jjP12ihipStream_tbEUlT_E_NS1_11comp_targetILNS1_3genE8ELNS1_11target_archE1030ELNS1_3gpuE2ELNS1_3repE0EEENS1_30default_config_static_selectorELNS0_4arch9wavefront6targetE1EEEvSH_
	.p2align	8
	.type	_ZN7rocprim17ROCPRIM_400000_NS6detail17trampoline_kernelINS0_14default_configENS1_36segmented_radix_sort_config_selectorIllEEZNS1_25segmented_radix_sort_implIS3_Lb1EPKlPlS8_S9_N2at6native12_GLOBAL__N_18offset_tEEE10hipError_tPvRmT1_PNSt15iterator_traitsISH_E10value_typeET2_T3_PNSI_ISN_E10value_typeET4_jRbjT5_ST_jjP12ihipStream_tbEUlT_E_NS1_11comp_targetILNS1_3genE8ELNS1_11target_archE1030ELNS1_3gpuE2ELNS1_3repE0EEENS1_30default_config_static_selectorELNS0_4arch9wavefront6targetE1EEEvSH_,@function
_ZN7rocprim17ROCPRIM_400000_NS6detail17trampoline_kernelINS0_14default_configENS1_36segmented_radix_sort_config_selectorIllEEZNS1_25segmented_radix_sort_implIS3_Lb1EPKlPlS8_S9_N2at6native12_GLOBAL__N_18offset_tEEE10hipError_tPvRmT1_PNSt15iterator_traitsISH_E10value_typeET2_T3_PNSI_ISN_E10value_typeET4_jRbjT5_ST_jjP12ihipStream_tbEUlT_E_NS1_11comp_targetILNS1_3genE8ELNS1_11target_archE1030ELNS1_3gpuE2ELNS1_3repE0EEENS1_30default_config_static_selectorELNS0_4arch9wavefront6targetE1EEEvSH_: ; @_ZN7rocprim17ROCPRIM_400000_NS6detail17trampoline_kernelINS0_14default_configENS1_36segmented_radix_sort_config_selectorIllEEZNS1_25segmented_radix_sort_implIS3_Lb1EPKlPlS8_S9_N2at6native12_GLOBAL__N_18offset_tEEE10hipError_tPvRmT1_PNSt15iterator_traitsISH_E10value_typeET2_T3_PNSI_ISN_E10value_typeET4_jRbjT5_ST_jjP12ihipStream_tbEUlT_E_NS1_11comp_targetILNS1_3genE8ELNS1_11target_archE1030ELNS1_3gpuE2ELNS1_3repE0EEENS1_30default_config_static_selectorELNS0_4arch9wavefront6targetE1EEEvSH_
; %bb.0:
	.section	.rodata,"a",@progbits
	.p2align	6, 0x0
	.amdhsa_kernel _ZN7rocprim17ROCPRIM_400000_NS6detail17trampoline_kernelINS0_14default_configENS1_36segmented_radix_sort_config_selectorIllEEZNS1_25segmented_radix_sort_implIS3_Lb1EPKlPlS8_S9_N2at6native12_GLOBAL__N_18offset_tEEE10hipError_tPvRmT1_PNSt15iterator_traitsISH_E10value_typeET2_T3_PNSI_ISN_E10value_typeET4_jRbjT5_ST_jjP12ihipStream_tbEUlT_E_NS1_11comp_targetILNS1_3genE8ELNS1_11target_archE1030ELNS1_3gpuE2ELNS1_3repE0EEENS1_30default_config_static_selectorELNS0_4arch9wavefront6targetE1EEEvSH_
		.amdhsa_group_segment_fixed_size 0
		.amdhsa_private_segment_fixed_size 0
		.amdhsa_kernarg_size 96
		.amdhsa_user_sgpr_count 6
		.amdhsa_user_sgpr_private_segment_buffer 1
		.amdhsa_user_sgpr_dispatch_ptr 0
		.amdhsa_user_sgpr_queue_ptr 0
		.amdhsa_user_sgpr_kernarg_segment_ptr 1
		.amdhsa_user_sgpr_dispatch_id 0
		.amdhsa_user_sgpr_flat_scratch_init 0
		.amdhsa_user_sgpr_private_segment_size 0
		.amdhsa_uses_dynamic_stack 0
		.amdhsa_system_sgpr_private_segment_wavefront_offset 0
		.amdhsa_system_sgpr_workgroup_id_x 1
		.amdhsa_system_sgpr_workgroup_id_y 0
		.amdhsa_system_sgpr_workgroup_id_z 0
		.amdhsa_system_sgpr_workgroup_info 0
		.amdhsa_system_vgpr_workitem_id 0
		.amdhsa_next_free_vgpr 1
		.amdhsa_next_free_sgpr 0
		.amdhsa_reserve_vcc 0
		.amdhsa_reserve_flat_scratch 0
		.amdhsa_float_round_mode_32 0
		.amdhsa_float_round_mode_16_64 0
		.amdhsa_float_denorm_mode_32 3
		.amdhsa_float_denorm_mode_16_64 3
		.amdhsa_dx10_clamp 1
		.amdhsa_ieee_mode 1
		.amdhsa_fp16_overflow 0
		.amdhsa_exception_fp_ieee_invalid_op 0
		.amdhsa_exception_fp_denorm_src 0
		.amdhsa_exception_fp_ieee_div_zero 0
		.amdhsa_exception_fp_ieee_overflow 0
		.amdhsa_exception_fp_ieee_underflow 0
		.amdhsa_exception_fp_ieee_inexact 0
		.amdhsa_exception_int_div_zero 0
	.end_amdhsa_kernel
	.section	.text._ZN7rocprim17ROCPRIM_400000_NS6detail17trampoline_kernelINS0_14default_configENS1_36segmented_radix_sort_config_selectorIllEEZNS1_25segmented_radix_sort_implIS3_Lb1EPKlPlS8_S9_N2at6native12_GLOBAL__N_18offset_tEEE10hipError_tPvRmT1_PNSt15iterator_traitsISH_E10value_typeET2_T3_PNSI_ISN_E10value_typeET4_jRbjT5_ST_jjP12ihipStream_tbEUlT_E_NS1_11comp_targetILNS1_3genE8ELNS1_11target_archE1030ELNS1_3gpuE2ELNS1_3repE0EEENS1_30default_config_static_selectorELNS0_4arch9wavefront6targetE1EEEvSH_,"axG",@progbits,_ZN7rocprim17ROCPRIM_400000_NS6detail17trampoline_kernelINS0_14default_configENS1_36segmented_radix_sort_config_selectorIllEEZNS1_25segmented_radix_sort_implIS3_Lb1EPKlPlS8_S9_N2at6native12_GLOBAL__N_18offset_tEEE10hipError_tPvRmT1_PNSt15iterator_traitsISH_E10value_typeET2_T3_PNSI_ISN_E10value_typeET4_jRbjT5_ST_jjP12ihipStream_tbEUlT_E_NS1_11comp_targetILNS1_3genE8ELNS1_11target_archE1030ELNS1_3gpuE2ELNS1_3repE0EEENS1_30default_config_static_selectorELNS0_4arch9wavefront6targetE1EEEvSH_,comdat
.Lfunc_end713:
	.size	_ZN7rocprim17ROCPRIM_400000_NS6detail17trampoline_kernelINS0_14default_configENS1_36segmented_radix_sort_config_selectorIllEEZNS1_25segmented_radix_sort_implIS3_Lb1EPKlPlS8_S9_N2at6native12_GLOBAL__N_18offset_tEEE10hipError_tPvRmT1_PNSt15iterator_traitsISH_E10value_typeET2_T3_PNSI_ISN_E10value_typeET4_jRbjT5_ST_jjP12ihipStream_tbEUlT_E_NS1_11comp_targetILNS1_3genE8ELNS1_11target_archE1030ELNS1_3gpuE2ELNS1_3repE0EEENS1_30default_config_static_selectorELNS0_4arch9wavefront6targetE1EEEvSH_, .Lfunc_end713-_ZN7rocprim17ROCPRIM_400000_NS6detail17trampoline_kernelINS0_14default_configENS1_36segmented_radix_sort_config_selectorIllEEZNS1_25segmented_radix_sort_implIS3_Lb1EPKlPlS8_S9_N2at6native12_GLOBAL__N_18offset_tEEE10hipError_tPvRmT1_PNSt15iterator_traitsISH_E10value_typeET2_T3_PNSI_ISN_E10value_typeET4_jRbjT5_ST_jjP12ihipStream_tbEUlT_E_NS1_11comp_targetILNS1_3genE8ELNS1_11target_archE1030ELNS1_3gpuE2ELNS1_3repE0EEENS1_30default_config_static_selectorELNS0_4arch9wavefront6targetE1EEEvSH_
                                        ; -- End function
	.set _ZN7rocprim17ROCPRIM_400000_NS6detail17trampoline_kernelINS0_14default_configENS1_36segmented_radix_sort_config_selectorIllEEZNS1_25segmented_radix_sort_implIS3_Lb1EPKlPlS8_S9_N2at6native12_GLOBAL__N_18offset_tEEE10hipError_tPvRmT1_PNSt15iterator_traitsISH_E10value_typeET2_T3_PNSI_ISN_E10value_typeET4_jRbjT5_ST_jjP12ihipStream_tbEUlT_E_NS1_11comp_targetILNS1_3genE8ELNS1_11target_archE1030ELNS1_3gpuE2ELNS1_3repE0EEENS1_30default_config_static_selectorELNS0_4arch9wavefront6targetE1EEEvSH_.num_vgpr, 0
	.set _ZN7rocprim17ROCPRIM_400000_NS6detail17trampoline_kernelINS0_14default_configENS1_36segmented_radix_sort_config_selectorIllEEZNS1_25segmented_radix_sort_implIS3_Lb1EPKlPlS8_S9_N2at6native12_GLOBAL__N_18offset_tEEE10hipError_tPvRmT1_PNSt15iterator_traitsISH_E10value_typeET2_T3_PNSI_ISN_E10value_typeET4_jRbjT5_ST_jjP12ihipStream_tbEUlT_E_NS1_11comp_targetILNS1_3genE8ELNS1_11target_archE1030ELNS1_3gpuE2ELNS1_3repE0EEENS1_30default_config_static_selectorELNS0_4arch9wavefront6targetE1EEEvSH_.num_agpr, 0
	.set _ZN7rocprim17ROCPRIM_400000_NS6detail17trampoline_kernelINS0_14default_configENS1_36segmented_radix_sort_config_selectorIllEEZNS1_25segmented_radix_sort_implIS3_Lb1EPKlPlS8_S9_N2at6native12_GLOBAL__N_18offset_tEEE10hipError_tPvRmT1_PNSt15iterator_traitsISH_E10value_typeET2_T3_PNSI_ISN_E10value_typeET4_jRbjT5_ST_jjP12ihipStream_tbEUlT_E_NS1_11comp_targetILNS1_3genE8ELNS1_11target_archE1030ELNS1_3gpuE2ELNS1_3repE0EEENS1_30default_config_static_selectorELNS0_4arch9wavefront6targetE1EEEvSH_.numbered_sgpr, 0
	.set _ZN7rocprim17ROCPRIM_400000_NS6detail17trampoline_kernelINS0_14default_configENS1_36segmented_radix_sort_config_selectorIllEEZNS1_25segmented_radix_sort_implIS3_Lb1EPKlPlS8_S9_N2at6native12_GLOBAL__N_18offset_tEEE10hipError_tPvRmT1_PNSt15iterator_traitsISH_E10value_typeET2_T3_PNSI_ISN_E10value_typeET4_jRbjT5_ST_jjP12ihipStream_tbEUlT_E_NS1_11comp_targetILNS1_3genE8ELNS1_11target_archE1030ELNS1_3gpuE2ELNS1_3repE0EEENS1_30default_config_static_selectorELNS0_4arch9wavefront6targetE1EEEvSH_.num_named_barrier, 0
	.set _ZN7rocprim17ROCPRIM_400000_NS6detail17trampoline_kernelINS0_14default_configENS1_36segmented_radix_sort_config_selectorIllEEZNS1_25segmented_radix_sort_implIS3_Lb1EPKlPlS8_S9_N2at6native12_GLOBAL__N_18offset_tEEE10hipError_tPvRmT1_PNSt15iterator_traitsISH_E10value_typeET2_T3_PNSI_ISN_E10value_typeET4_jRbjT5_ST_jjP12ihipStream_tbEUlT_E_NS1_11comp_targetILNS1_3genE8ELNS1_11target_archE1030ELNS1_3gpuE2ELNS1_3repE0EEENS1_30default_config_static_selectorELNS0_4arch9wavefront6targetE1EEEvSH_.private_seg_size, 0
	.set _ZN7rocprim17ROCPRIM_400000_NS6detail17trampoline_kernelINS0_14default_configENS1_36segmented_radix_sort_config_selectorIllEEZNS1_25segmented_radix_sort_implIS3_Lb1EPKlPlS8_S9_N2at6native12_GLOBAL__N_18offset_tEEE10hipError_tPvRmT1_PNSt15iterator_traitsISH_E10value_typeET2_T3_PNSI_ISN_E10value_typeET4_jRbjT5_ST_jjP12ihipStream_tbEUlT_E_NS1_11comp_targetILNS1_3genE8ELNS1_11target_archE1030ELNS1_3gpuE2ELNS1_3repE0EEENS1_30default_config_static_selectorELNS0_4arch9wavefront6targetE1EEEvSH_.uses_vcc, 0
	.set _ZN7rocprim17ROCPRIM_400000_NS6detail17trampoline_kernelINS0_14default_configENS1_36segmented_radix_sort_config_selectorIllEEZNS1_25segmented_radix_sort_implIS3_Lb1EPKlPlS8_S9_N2at6native12_GLOBAL__N_18offset_tEEE10hipError_tPvRmT1_PNSt15iterator_traitsISH_E10value_typeET2_T3_PNSI_ISN_E10value_typeET4_jRbjT5_ST_jjP12ihipStream_tbEUlT_E_NS1_11comp_targetILNS1_3genE8ELNS1_11target_archE1030ELNS1_3gpuE2ELNS1_3repE0EEENS1_30default_config_static_selectorELNS0_4arch9wavefront6targetE1EEEvSH_.uses_flat_scratch, 0
	.set _ZN7rocprim17ROCPRIM_400000_NS6detail17trampoline_kernelINS0_14default_configENS1_36segmented_radix_sort_config_selectorIllEEZNS1_25segmented_radix_sort_implIS3_Lb1EPKlPlS8_S9_N2at6native12_GLOBAL__N_18offset_tEEE10hipError_tPvRmT1_PNSt15iterator_traitsISH_E10value_typeET2_T3_PNSI_ISN_E10value_typeET4_jRbjT5_ST_jjP12ihipStream_tbEUlT_E_NS1_11comp_targetILNS1_3genE8ELNS1_11target_archE1030ELNS1_3gpuE2ELNS1_3repE0EEENS1_30default_config_static_selectorELNS0_4arch9wavefront6targetE1EEEvSH_.has_dyn_sized_stack, 0
	.set _ZN7rocprim17ROCPRIM_400000_NS6detail17trampoline_kernelINS0_14default_configENS1_36segmented_radix_sort_config_selectorIllEEZNS1_25segmented_radix_sort_implIS3_Lb1EPKlPlS8_S9_N2at6native12_GLOBAL__N_18offset_tEEE10hipError_tPvRmT1_PNSt15iterator_traitsISH_E10value_typeET2_T3_PNSI_ISN_E10value_typeET4_jRbjT5_ST_jjP12ihipStream_tbEUlT_E_NS1_11comp_targetILNS1_3genE8ELNS1_11target_archE1030ELNS1_3gpuE2ELNS1_3repE0EEENS1_30default_config_static_selectorELNS0_4arch9wavefront6targetE1EEEvSH_.has_recursion, 0
	.set _ZN7rocprim17ROCPRIM_400000_NS6detail17trampoline_kernelINS0_14default_configENS1_36segmented_radix_sort_config_selectorIllEEZNS1_25segmented_radix_sort_implIS3_Lb1EPKlPlS8_S9_N2at6native12_GLOBAL__N_18offset_tEEE10hipError_tPvRmT1_PNSt15iterator_traitsISH_E10value_typeET2_T3_PNSI_ISN_E10value_typeET4_jRbjT5_ST_jjP12ihipStream_tbEUlT_E_NS1_11comp_targetILNS1_3genE8ELNS1_11target_archE1030ELNS1_3gpuE2ELNS1_3repE0EEENS1_30default_config_static_selectorELNS0_4arch9wavefront6targetE1EEEvSH_.has_indirect_call, 0
	.section	.AMDGPU.csdata,"",@progbits
; Kernel info:
; codeLenInByte = 0
; TotalNumSgprs: 4
; NumVgprs: 0
; ScratchSize: 0
; MemoryBound: 0
; FloatMode: 240
; IeeeMode: 1
; LDSByteSize: 0 bytes/workgroup (compile time only)
; SGPRBlocks: 0
; VGPRBlocks: 0
; NumSGPRsForWavesPerEU: 4
; NumVGPRsForWavesPerEU: 1
; Occupancy: 10
; WaveLimiterHint : 0
; COMPUTE_PGM_RSRC2:SCRATCH_EN: 0
; COMPUTE_PGM_RSRC2:USER_SGPR: 6
; COMPUTE_PGM_RSRC2:TRAP_HANDLER: 0
; COMPUTE_PGM_RSRC2:TGID_X_EN: 1
; COMPUTE_PGM_RSRC2:TGID_Y_EN: 0
; COMPUTE_PGM_RSRC2:TGID_Z_EN: 0
; COMPUTE_PGM_RSRC2:TIDIG_COMP_CNT: 0
	.section	.text._ZN7rocprim17ROCPRIM_400000_NS6detail17trampoline_kernelINS0_14default_configENS1_36segmented_radix_sort_config_selectorIllEEZNS1_25segmented_radix_sort_implIS3_Lb1EPKlPlS8_S9_N2at6native12_GLOBAL__N_18offset_tEEE10hipError_tPvRmT1_PNSt15iterator_traitsISH_E10value_typeET2_T3_PNSI_ISN_E10value_typeET4_jRbjT5_ST_jjP12ihipStream_tbEUlT_E0_NS1_11comp_targetILNS1_3genE0ELNS1_11target_archE4294967295ELNS1_3gpuE0ELNS1_3repE0EEENS1_60segmented_radix_sort_warp_sort_medium_config_static_selectorELNS0_4arch9wavefront6targetE1EEEvSH_,"axG",@progbits,_ZN7rocprim17ROCPRIM_400000_NS6detail17trampoline_kernelINS0_14default_configENS1_36segmented_radix_sort_config_selectorIllEEZNS1_25segmented_radix_sort_implIS3_Lb1EPKlPlS8_S9_N2at6native12_GLOBAL__N_18offset_tEEE10hipError_tPvRmT1_PNSt15iterator_traitsISH_E10value_typeET2_T3_PNSI_ISN_E10value_typeET4_jRbjT5_ST_jjP12ihipStream_tbEUlT_E0_NS1_11comp_targetILNS1_3genE0ELNS1_11target_archE4294967295ELNS1_3gpuE0ELNS1_3repE0EEENS1_60segmented_radix_sort_warp_sort_medium_config_static_selectorELNS0_4arch9wavefront6targetE1EEEvSH_,comdat
	.globl	_ZN7rocprim17ROCPRIM_400000_NS6detail17trampoline_kernelINS0_14default_configENS1_36segmented_radix_sort_config_selectorIllEEZNS1_25segmented_radix_sort_implIS3_Lb1EPKlPlS8_S9_N2at6native12_GLOBAL__N_18offset_tEEE10hipError_tPvRmT1_PNSt15iterator_traitsISH_E10value_typeET2_T3_PNSI_ISN_E10value_typeET4_jRbjT5_ST_jjP12ihipStream_tbEUlT_E0_NS1_11comp_targetILNS1_3genE0ELNS1_11target_archE4294967295ELNS1_3gpuE0ELNS1_3repE0EEENS1_60segmented_radix_sort_warp_sort_medium_config_static_selectorELNS0_4arch9wavefront6targetE1EEEvSH_ ; -- Begin function _ZN7rocprim17ROCPRIM_400000_NS6detail17trampoline_kernelINS0_14default_configENS1_36segmented_radix_sort_config_selectorIllEEZNS1_25segmented_radix_sort_implIS3_Lb1EPKlPlS8_S9_N2at6native12_GLOBAL__N_18offset_tEEE10hipError_tPvRmT1_PNSt15iterator_traitsISH_E10value_typeET2_T3_PNSI_ISN_E10value_typeET4_jRbjT5_ST_jjP12ihipStream_tbEUlT_E0_NS1_11comp_targetILNS1_3genE0ELNS1_11target_archE4294967295ELNS1_3gpuE0ELNS1_3repE0EEENS1_60segmented_radix_sort_warp_sort_medium_config_static_selectorELNS0_4arch9wavefront6targetE1EEEvSH_
	.p2align	8
	.type	_ZN7rocprim17ROCPRIM_400000_NS6detail17trampoline_kernelINS0_14default_configENS1_36segmented_radix_sort_config_selectorIllEEZNS1_25segmented_radix_sort_implIS3_Lb1EPKlPlS8_S9_N2at6native12_GLOBAL__N_18offset_tEEE10hipError_tPvRmT1_PNSt15iterator_traitsISH_E10value_typeET2_T3_PNSI_ISN_E10value_typeET4_jRbjT5_ST_jjP12ihipStream_tbEUlT_E0_NS1_11comp_targetILNS1_3genE0ELNS1_11target_archE4294967295ELNS1_3gpuE0ELNS1_3repE0EEENS1_60segmented_radix_sort_warp_sort_medium_config_static_selectorELNS0_4arch9wavefront6targetE1EEEvSH_,@function
_ZN7rocprim17ROCPRIM_400000_NS6detail17trampoline_kernelINS0_14default_configENS1_36segmented_radix_sort_config_selectorIllEEZNS1_25segmented_radix_sort_implIS3_Lb1EPKlPlS8_S9_N2at6native12_GLOBAL__N_18offset_tEEE10hipError_tPvRmT1_PNSt15iterator_traitsISH_E10value_typeET2_T3_PNSI_ISN_E10value_typeET4_jRbjT5_ST_jjP12ihipStream_tbEUlT_E0_NS1_11comp_targetILNS1_3genE0ELNS1_11target_archE4294967295ELNS1_3gpuE0ELNS1_3repE0EEENS1_60segmented_radix_sort_warp_sort_medium_config_static_selectorELNS0_4arch9wavefront6targetE1EEEvSH_: ; @_ZN7rocprim17ROCPRIM_400000_NS6detail17trampoline_kernelINS0_14default_configENS1_36segmented_radix_sort_config_selectorIllEEZNS1_25segmented_radix_sort_implIS3_Lb1EPKlPlS8_S9_N2at6native12_GLOBAL__N_18offset_tEEE10hipError_tPvRmT1_PNSt15iterator_traitsISH_E10value_typeET2_T3_PNSI_ISN_E10value_typeET4_jRbjT5_ST_jjP12ihipStream_tbEUlT_E0_NS1_11comp_targetILNS1_3genE0ELNS1_11target_archE4294967295ELNS1_3gpuE0ELNS1_3repE0EEENS1_60segmented_radix_sort_warp_sort_medium_config_static_selectorELNS0_4arch9wavefront6targetE1EEEvSH_
; %bb.0:
	.section	.rodata,"a",@progbits
	.p2align	6, 0x0
	.amdhsa_kernel _ZN7rocprim17ROCPRIM_400000_NS6detail17trampoline_kernelINS0_14default_configENS1_36segmented_radix_sort_config_selectorIllEEZNS1_25segmented_radix_sort_implIS3_Lb1EPKlPlS8_S9_N2at6native12_GLOBAL__N_18offset_tEEE10hipError_tPvRmT1_PNSt15iterator_traitsISH_E10value_typeET2_T3_PNSI_ISN_E10value_typeET4_jRbjT5_ST_jjP12ihipStream_tbEUlT_E0_NS1_11comp_targetILNS1_3genE0ELNS1_11target_archE4294967295ELNS1_3gpuE0ELNS1_3repE0EEENS1_60segmented_radix_sort_warp_sort_medium_config_static_selectorELNS0_4arch9wavefront6targetE1EEEvSH_
		.amdhsa_group_segment_fixed_size 0
		.amdhsa_private_segment_fixed_size 0
		.amdhsa_kernarg_size 88
		.amdhsa_user_sgpr_count 6
		.amdhsa_user_sgpr_private_segment_buffer 1
		.amdhsa_user_sgpr_dispatch_ptr 0
		.amdhsa_user_sgpr_queue_ptr 0
		.amdhsa_user_sgpr_kernarg_segment_ptr 1
		.amdhsa_user_sgpr_dispatch_id 0
		.amdhsa_user_sgpr_flat_scratch_init 0
		.amdhsa_user_sgpr_private_segment_size 0
		.amdhsa_uses_dynamic_stack 0
		.amdhsa_system_sgpr_private_segment_wavefront_offset 0
		.amdhsa_system_sgpr_workgroup_id_x 1
		.amdhsa_system_sgpr_workgroup_id_y 0
		.amdhsa_system_sgpr_workgroup_id_z 0
		.amdhsa_system_sgpr_workgroup_info 0
		.amdhsa_system_vgpr_workitem_id 0
		.amdhsa_next_free_vgpr 1
		.amdhsa_next_free_sgpr 0
		.amdhsa_reserve_vcc 0
		.amdhsa_reserve_flat_scratch 0
		.amdhsa_float_round_mode_32 0
		.amdhsa_float_round_mode_16_64 0
		.amdhsa_float_denorm_mode_32 3
		.amdhsa_float_denorm_mode_16_64 3
		.amdhsa_dx10_clamp 1
		.amdhsa_ieee_mode 1
		.amdhsa_fp16_overflow 0
		.amdhsa_exception_fp_ieee_invalid_op 0
		.amdhsa_exception_fp_denorm_src 0
		.amdhsa_exception_fp_ieee_div_zero 0
		.amdhsa_exception_fp_ieee_overflow 0
		.amdhsa_exception_fp_ieee_underflow 0
		.amdhsa_exception_fp_ieee_inexact 0
		.amdhsa_exception_int_div_zero 0
	.end_amdhsa_kernel
	.section	.text._ZN7rocprim17ROCPRIM_400000_NS6detail17trampoline_kernelINS0_14default_configENS1_36segmented_radix_sort_config_selectorIllEEZNS1_25segmented_radix_sort_implIS3_Lb1EPKlPlS8_S9_N2at6native12_GLOBAL__N_18offset_tEEE10hipError_tPvRmT1_PNSt15iterator_traitsISH_E10value_typeET2_T3_PNSI_ISN_E10value_typeET4_jRbjT5_ST_jjP12ihipStream_tbEUlT_E0_NS1_11comp_targetILNS1_3genE0ELNS1_11target_archE4294967295ELNS1_3gpuE0ELNS1_3repE0EEENS1_60segmented_radix_sort_warp_sort_medium_config_static_selectorELNS0_4arch9wavefront6targetE1EEEvSH_,"axG",@progbits,_ZN7rocprim17ROCPRIM_400000_NS6detail17trampoline_kernelINS0_14default_configENS1_36segmented_radix_sort_config_selectorIllEEZNS1_25segmented_radix_sort_implIS3_Lb1EPKlPlS8_S9_N2at6native12_GLOBAL__N_18offset_tEEE10hipError_tPvRmT1_PNSt15iterator_traitsISH_E10value_typeET2_T3_PNSI_ISN_E10value_typeET4_jRbjT5_ST_jjP12ihipStream_tbEUlT_E0_NS1_11comp_targetILNS1_3genE0ELNS1_11target_archE4294967295ELNS1_3gpuE0ELNS1_3repE0EEENS1_60segmented_radix_sort_warp_sort_medium_config_static_selectorELNS0_4arch9wavefront6targetE1EEEvSH_,comdat
.Lfunc_end714:
	.size	_ZN7rocprim17ROCPRIM_400000_NS6detail17trampoline_kernelINS0_14default_configENS1_36segmented_radix_sort_config_selectorIllEEZNS1_25segmented_radix_sort_implIS3_Lb1EPKlPlS8_S9_N2at6native12_GLOBAL__N_18offset_tEEE10hipError_tPvRmT1_PNSt15iterator_traitsISH_E10value_typeET2_T3_PNSI_ISN_E10value_typeET4_jRbjT5_ST_jjP12ihipStream_tbEUlT_E0_NS1_11comp_targetILNS1_3genE0ELNS1_11target_archE4294967295ELNS1_3gpuE0ELNS1_3repE0EEENS1_60segmented_radix_sort_warp_sort_medium_config_static_selectorELNS0_4arch9wavefront6targetE1EEEvSH_, .Lfunc_end714-_ZN7rocprim17ROCPRIM_400000_NS6detail17trampoline_kernelINS0_14default_configENS1_36segmented_radix_sort_config_selectorIllEEZNS1_25segmented_radix_sort_implIS3_Lb1EPKlPlS8_S9_N2at6native12_GLOBAL__N_18offset_tEEE10hipError_tPvRmT1_PNSt15iterator_traitsISH_E10value_typeET2_T3_PNSI_ISN_E10value_typeET4_jRbjT5_ST_jjP12ihipStream_tbEUlT_E0_NS1_11comp_targetILNS1_3genE0ELNS1_11target_archE4294967295ELNS1_3gpuE0ELNS1_3repE0EEENS1_60segmented_radix_sort_warp_sort_medium_config_static_selectorELNS0_4arch9wavefront6targetE1EEEvSH_
                                        ; -- End function
	.set _ZN7rocprim17ROCPRIM_400000_NS6detail17trampoline_kernelINS0_14default_configENS1_36segmented_radix_sort_config_selectorIllEEZNS1_25segmented_radix_sort_implIS3_Lb1EPKlPlS8_S9_N2at6native12_GLOBAL__N_18offset_tEEE10hipError_tPvRmT1_PNSt15iterator_traitsISH_E10value_typeET2_T3_PNSI_ISN_E10value_typeET4_jRbjT5_ST_jjP12ihipStream_tbEUlT_E0_NS1_11comp_targetILNS1_3genE0ELNS1_11target_archE4294967295ELNS1_3gpuE0ELNS1_3repE0EEENS1_60segmented_radix_sort_warp_sort_medium_config_static_selectorELNS0_4arch9wavefront6targetE1EEEvSH_.num_vgpr, 0
	.set _ZN7rocprim17ROCPRIM_400000_NS6detail17trampoline_kernelINS0_14default_configENS1_36segmented_radix_sort_config_selectorIllEEZNS1_25segmented_radix_sort_implIS3_Lb1EPKlPlS8_S9_N2at6native12_GLOBAL__N_18offset_tEEE10hipError_tPvRmT1_PNSt15iterator_traitsISH_E10value_typeET2_T3_PNSI_ISN_E10value_typeET4_jRbjT5_ST_jjP12ihipStream_tbEUlT_E0_NS1_11comp_targetILNS1_3genE0ELNS1_11target_archE4294967295ELNS1_3gpuE0ELNS1_3repE0EEENS1_60segmented_radix_sort_warp_sort_medium_config_static_selectorELNS0_4arch9wavefront6targetE1EEEvSH_.num_agpr, 0
	.set _ZN7rocprim17ROCPRIM_400000_NS6detail17trampoline_kernelINS0_14default_configENS1_36segmented_radix_sort_config_selectorIllEEZNS1_25segmented_radix_sort_implIS3_Lb1EPKlPlS8_S9_N2at6native12_GLOBAL__N_18offset_tEEE10hipError_tPvRmT1_PNSt15iterator_traitsISH_E10value_typeET2_T3_PNSI_ISN_E10value_typeET4_jRbjT5_ST_jjP12ihipStream_tbEUlT_E0_NS1_11comp_targetILNS1_3genE0ELNS1_11target_archE4294967295ELNS1_3gpuE0ELNS1_3repE0EEENS1_60segmented_radix_sort_warp_sort_medium_config_static_selectorELNS0_4arch9wavefront6targetE1EEEvSH_.numbered_sgpr, 0
	.set _ZN7rocprim17ROCPRIM_400000_NS6detail17trampoline_kernelINS0_14default_configENS1_36segmented_radix_sort_config_selectorIllEEZNS1_25segmented_radix_sort_implIS3_Lb1EPKlPlS8_S9_N2at6native12_GLOBAL__N_18offset_tEEE10hipError_tPvRmT1_PNSt15iterator_traitsISH_E10value_typeET2_T3_PNSI_ISN_E10value_typeET4_jRbjT5_ST_jjP12ihipStream_tbEUlT_E0_NS1_11comp_targetILNS1_3genE0ELNS1_11target_archE4294967295ELNS1_3gpuE0ELNS1_3repE0EEENS1_60segmented_radix_sort_warp_sort_medium_config_static_selectorELNS0_4arch9wavefront6targetE1EEEvSH_.num_named_barrier, 0
	.set _ZN7rocprim17ROCPRIM_400000_NS6detail17trampoline_kernelINS0_14default_configENS1_36segmented_radix_sort_config_selectorIllEEZNS1_25segmented_radix_sort_implIS3_Lb1EPKlPlS8_S9_N2at6native12_GLOBAL__N_18offset_tEEE10hipError_tPvRmT1_PNSt15iterator_traitsISH_E10value_typeET2_T3_PNSI_ISN_E10value_typeET4_jRbjT5_ST_jjP12ihipStream_tbEUlT_E0_NS1_11comp_targetILNS1_3genE0ELNS1_11target_archE4294967295ELNS1_3gpuE0ELNS1_3repE0EEENS1_60segmented_radix_sort_warp_sort_medium_config_static_selectorELNS0_4arch9wavefront6targetE1EEEvSH_.private_seg_size, 0
	.set _ZN7rocprim17ROCPRIM_400000_NS6detail17trampoline_kernelINS0_14default_configENS1_36segmented_radix_sort_config_selectorIllEEZNS1_25segmented_radix_sort_implIS3_Lb1EPKlPlS8_S9_N2at6native12_GLOBAL__N_18offset_tEEE10hipError_tPvRmT1_PNSt15iterator_traitsISH_E10value_typeET2_T3_PNSI_ISN_E10value_typeET4_jRbjT5_ST_jjP12ihipStream_tbEUlT_E0_NS1_11comp_targetILNS1_3genE0ELNS1_11target_archE4294967295ELNS1_3gpuE0ELNS1_3repE0EEENS1_60segmented_radix_sort_warp_sort_medium_config_static_selectorELNS0_4arch9wavefront6targetE1EEEvSH_.uses_vcc, 0
	.set _ZN7rocprim17ROCPRIM_400000_NS6detail17trampoline_kernelINS0_14default_configENS1_36segmented_radix_sort_config_selectorIllEEZNS1_25segmented_radix_sort_implIS3_Lb1EPKlPlS8_S9_N2at6native12_GLOBAL__N_18offset_tEEE10hipError_tPvRmT1_PNSt15iterator_traitsISH_E10value_typeET2_T3_PNSI_ISN_E10value_typeET4_jRbjT5_ST_jjP12ihipStream_tbEUlT_E0_NS1_11comp_targetILNS1_3genE0ELNS1_11target_archE4294967295ELNS1_3gpuE0ELNS1_3repE0EEENS1_60segmented_radix_sort_warp_sort_medium_config_static_selectorELNS0_4arch9wavefront6targetE1EEEvSH_.uses_flat_scratch, 0
	.set _ZN7rocprim17ROCPRIM_400000_NS6detail17trampoline_kernelINS0_14default_configENS1_36segmented_radix_sort_config_selectorIllEEZNS1_25segmented_radix_sort_implIS3_Lb1EPKlPlS8_S9_N2at6native12_GLOBAL__N_18offset_tEEE10hipError_tPvRmT1_PNSt15iterator_traitsISH_E10value_typeET2_T3_PNSI_ISN_E10value_typeET4_jRbjT5_ST_jjP12ihipStream_tbEUlT_E0_NS1_11comp_targetILNS1_3genE0ELNS1_11target_archE4294967295ELNS1_3gpuE0ELNS1_3repE0EEENS1_60segmented_radix_sort_warp_sort_medium_config_static_selectorELNS0_4arch9wavefront6targetE1EEEvSH_.has_dyn_sized_stack, 0
	.set _ZN7rocprim17ROCPRIM_400000_NS6detail17trampoline_kernelINS0_14default_configENS1_36segmented_radix_sort_config_selectorIllEEZNS1_25segmented_radix_sort_implIS3_Lb1EPKlPlS8_S9_N2at6native12_GLOBAL__N_18offset_tEEE10hipError_tPvRmT1_PNSt15iterator_traitsISH_E10value_typeET2_T3_PNSI_ISN_E10value_typeET4_jRbjT5_ST_jjP12ihipStream_tbEUlT_E0_NS1_11comp_targetILNS1_3genE0ELNS1_11target_archE4294967295ELNS1_3gpuE0ELNS1_3repE0EEENS1_60segmented_radix_sort_warp_sort_medium_config_static_selectorELNS0_4arch9wavefront6targetE1EEEvSH_.has_recursion, 0
	.set _ZN7rocprim17ROCPRIM_400000_NS6detail17trampoline_kernelINS0_14default_configENS1_36segmented_radix_sort_config_selectorIllEEZNS1_25segmented_radix_sort_implIS3_Lb1EPKlPlS8_S9_N2at6native12_GLOBAL__N_18offset_tEEE10hipError_tPvRmT1_PNSt15iterator_traitsISH_E10value_typeET2_T3_PNSI_ISN_E10value_typeET4_jRbjT5_ST_jjP12ihipStream_tbEUlT_E0_NS1_11comp_targetILNS1_3genE0ELNS1_11target_archE4294967295ELNS1_3gpuE0ELNS1_3repE0EEENS1_60segmented_radix_sort_warp_sort_medium_config_static_selectorELNS0_4arch9wavefront6targetE1EEEvSH_.has_indirect_call, 0
	.section	.AMDGPU.csdata,"",@progbits
; Kernel info:
; codeLenInByte = 0
; TotalNumSgprs: 4
; NumVgprs: 0
; ScratchSize: 0
; MemoryBound: 0
; FloatMode: 240
; IeeeMode: 1
; LDSByteSize: 0 bytes/workgroup (compile time only)
; SGPRBlocks: 0
; VGPRBlocks: 0
; NumSGPRsForWavesPerEU: 4
; NumVGPRsForWavesPerEU: 1
; Occupancy: 10
; WaveLimiterHint : 0
; COMPUTE_PGM_RSRC2:SCRATCH_EN: 0
; COMPUTE_PGM_RSRC2:USER_SGPR: 6
; COMPUTE_PGM_RSRC2:TRAP_HANDLER: 0
; COMPUTE_PGM_RSRC2:TGID_X_EN: 1
; COMPUTE_PGM_RSRC2:TGID_Y_EN: 0
; COMPUTE_PGM_RSRC2:TGID_Z_EN: 0
; COMPUTE_PGM_RSRC2:TIDIG_COMP_CNT: 0
	.section	.text._ZN7rocprim17ROCPRIM_400000_NS6detail17trampoline_kernelINS0_14default_configENS1_36segmented_radix_sort_config_selectorIllEEZNS1_25segmented_radix_sort_implIS3_Lb1EPKlPlS8_S9_N2at6native12_GLOBAL__N_18offset_tEEE10hipError_tPvRmT1_PNSt15iterator_traitsISH_E10value_typeET2_T3_PNSI_ISN_E10value_typeET4_jRbjT5_ST_jjP12ihipStream_tbEUlT_E0_NS1_11comp_targetILNS1_3genE5ELNS1_11target_archE942ELNS1_3gpuE9ELNS1_3repE0EEENS1_60segmented_radix_sort_warp_sort_medium_config_static_selectorELNS0_4arch9wavefront6targetE1EEEvSH_,"axG",@progbits,_ZN7rocprim17ROCPRIM_400000_NS6detail17trampoline_kernelINS0_14default_configENS1_36segmented_radix_sort_config_selectorIllEEZNS1_25segmented_radix_sort_implIS3_Lb1EPKlPlS8_S9_N2at6native12_GLOBAL__N_18offset_tEEE10hipError_tPvRmT1_PNSt15iterator_traitsISH_E10value_typeET2_T3_PNSI_ISN_E10value_typeET4_jRbjT5_ST_jjP12ihipStream_tbEUlT_E0_NS1_11comp_targetILNS1_3genE5ELNS1_11target_archE942ELNS1_3gpuE9ELNS1_3repE0EEENS1_60segmented_radix_sort_warp_sort_medium_config_static_selectorELNS0_4arch9wavefront6targetE1EEEvSH_,comdat
	.globl	_ZN7rocprim17ROCPRIM_400000_NS6detail17trampoline_kernelINS0_14default_configENS1_36segmented_radix_sort_config_selectorIllEEZNS1_25segmented_radix_sort_implIS3_Lb1EPKlPlS8_S9_N2at6native12_GLOBAL__N_18offset_tEEE10hipError_tPvRmT1_PNSt15iterator_traitsISH_E10value_typeET2_T3_PNSI_ISN_E10value_typeET4_jRbjT5_ST_jjP12ihipStream_tbEUlT_E0_NS1_11comp_targetILNS1_3genE5ELNS1_11target_archE942ELNS1_3gpuE9ELNS1_3repE0EEENS1_60segmented_radix_sort_warp_sort_medium_config_static_selectorELNS0_4arch9wavefront6targetE1EEEvSH_ ; -- Begin function _ZN7rocprim17ROCPRIM_400000_NS6detail17trampoline_kernelINS0_14default_configENS1_36segmented_radix_sort_config_selectorIllEEZNS1_25segmented_radix_sort_implIS3_Lb1EPKlPlS8_S9_N2at6native12_GLOBAL__N_18offset_tEEE10hipError_tPvRmT1_PNSt15iterator_traitsISH_E10value_typeET2_T3_PNSI_ISN_E10value_typeET4_jRbjT5_ST_jjP12ihipStream_tbEUlT_E0_NS1_11comp_targetILNS1_3genE5ELNS1_11target_archE942ELNS1_3gpuE9ELNS1_3repE0EEENS1_60segmented_radix_sort_warp_sort_medium_config_static_selectorELNS0_4arch9wavefront6targetE1EEEvSH_
	.p2align	8
	.type	_ZN7rocprim17ROCPRIM_400000_NS6detail17trampoline_kernelINS0_14default_configENS1_36segmented_radix_sort_config_selectorIllEEZNS1_25segmented_radix_sort_implIS3_Lb1EPKlPlS8_S9_N2at6native12_GLOBAL__N_18offset_tEEE10hipError_tPvRmT1_PNSt15iterator_traitsISH_E10value_typeET2_T3_PNSI_ISN_E10value_typeET4_jRbjT5_ST_jjP12ihipStream_tbEUlT_E0_NS1_11comp_targetILNS1_3genE5ELNS1_11target_archE942ELNS1_3gpuE9ELNS1_3repE0EEENS1_60segmented_radix_sort_warp_sort_medium_config_static_selectorELNS0_4arch9wavefront6targetE1EEEvSH_,@function
_ZN7rocprim17ROCPRIM_400000_NS6detail17trampoline_kernelINS0_14default_configENS1_36segmented_radix_sort_config_selectorIllEEZNS1_25segmented_radix_sort_implIS3_Lb1EPKlPlS8_S9_N2at6native12_GLOBAL__N_18offset_tEEE10hipError_tPvRmT1_PNSt15iterator_traitsISH_E10value_typeET2_T3_PNSI_ISN_E10value_typeET4_jRbjT5_ST_jjP12ihipStream_tbEUlT_E0_NS1_11comp_targetILNS1_3genE5ELNS1_11target_archE942ELNS1_3gpuE9ELNS1_3repE0EEENS1_60segmented_radix_sort_warp_sort_medium_config_static_selectorELNS0_4arch9wavefront6targetE1EEEvSH_: ; @_ZN7rocprim17ROCPRIM_400000_NS6detail17trampoline_kernelINS0_14default_configENS1_36segmented_radix_sort_config_selectorIllEEZNS1_25segmented_radix_sort_implIS3_Lb1EPKlPlS8_S9_N2at6native12_GLOBAL__N_18offset_tEEE10hipError_tPvRmT1_PNSt15iterator_traitsISH_E10value_typeET2_T3_PNSI_ISN_E10value_typeET4_jRbjT5_ST_jjP12ihipStream_tbEUlT_E0_NS1_11comp_targetILNS1_3genE5ELNS1_11target_archE942ELNS1_3gpuE9ELNS1_3repE0EEENS1_60segmented_radix_sort_warp_sort_medium_config_static_selectorELNS0_4arch9wavefront6targetE1EEEvSH_
; %bb.0:
	.section	.rodata,"a",@progbits
	.p2align	6, 0x0
	.amdhsa_kernel _ZN7rocprim17ROCPRIM_400000_NS6detail17trampoline_kernelINS0_14default_configENS1_36segmented_radix_sort_config_selectorIllEEZNS1_25segmented_radix_sort_implIS3_Lb1EPKlPlS8_S9_N2at6native12_GLOBAL__N_18offset_tEEE10hipError_tPvRmT1_PNSt15iterator_traitsISH_E10value_typeET2_T3_PNSI_ISN_E10value_typeET4_jRbjT5_ST_jjP12ihipStream_tbEUlT_E0_NS1_11comp_targetILNS1_3genE5ELNS1_11target_archE942ELNS1_3gpuE9ELNS1_3repE0EEENS1_60segmented_radix_sort_warp_sort_medium_config_static_selectorELNS0_4arch9wavefront6targetE1EEEvSH_
		.amdhsa_group_segment_fixed_size 0
		.amdhsa_private_segment_fixed_size 0
		.amdhsa_kernarg_size 88
		.amdhsa_user_sgpr_count 6
		.amdhsa_user_sgpr_private_segment_buffer 1
		.amdhsa_user_sgpr_dispatch_ptr 0
		.amdhsa_user_sgpr_queue_ptr 0
		.amdhsa_user_sgpr_kernarg_segment_ptr 1
		.amdhsa_user_sgpr_dispatch_id 0
		.amdhsa_user_sgpr_flat_scratch_init 0
		.amdhsa_user_sgpr_private_segment_size 0
		.amdhsa_uses_dynamic_stack 0
		.amdhsa_system_sgpr_private_segment_wavefront_offset 0
		.amdhsa_system_sgpr_workgroup_id_x 1
		.amdhsa_system_sgpr_workgroup_id_y 0
		.amdhsa_system_sgpr_workgroup_id_z 0
		.amdhsa_system_sgpr_workgroup_info 0
		.amdhsa_system_vgpr_workitem_id 0
		.amdhsa_next_free_vgpr 1
		.amdhsa_next_free_sgpr 0
		.amdhsa_reserve_vcc 0
		.amdhsa_reserve_flat_scratch 0
		.amdhsa_float_round_mode_32 0
		.amdhsa_float_round_mode_16_64 0
		.amdhsa_float_denorm_mode_32 3
		.amdhsa_float_denorm_mode_16_64 3
		.amdhsa_dx10_clamp 1
		.amdhsa_ieee_mode 1
		.amdhsa_fp16_overflow 0
		.amdhsa_exception_fp_ieee_invalid_op 0
		.amdhsa_exception_fp_denorm_src 0
		.amdhsa_exception_fp_ieee_div_zero 0
		.amdhsa_exception_fp_ieee_overflow 0
		.amdhsa_exception_fp_ieee_underflow 0
		.amdhsa_exception_fp_ieee_inexact 0
		.amdhsa_exception_int_div_zero 0
	.end_amdhsa_kernel
	.section	.text._ZN7rocprim17ROCPRIM_400000_NS6detail17trampoline_kernelINS0_14default_configENS1_36segmented_radix_sort_config_selectorIllEEZNS1_25segmented_radix_sort_implIS3_Lb1EPKlPlS8_S9_N2at6native12_GLOBAL__N_18offset_tEEE10hipError_tPvRmT1_PNSt15iterator_traitsISH_E10value_typeET2_T3_PNSI_ISN_E10value_typeET4_jRbjT5_ST_jjP12ihipStream_tbEUlT_E0_NS1_11comp_targetILNS1_3genE5ELNS1_11target_archE942ELNS1_3gpuE9ELNS1_3repE0EEENS1_60segmented_radix_sort_warp_sort_medium_config_static_selectorELNS0_4arch9wavefront6targetE1EEEvSH_,"axG",@progbits,_ZN7rocprim17ROCPRIM_400000_NS6detail17trampoline_kernelINS0_14default_configENS1_36segmented_radix_sort_config_selectorIllEEZNS1_25segmented_radix_sort_implIS3_Lb1EPKlPlS8_S9_N2at6native12_GLOBAL__N_18offset_tEEE10hipError_tPvRmT1_PNSt15iterator_traitsISH_E10value_typeET2_T3_PNSI_ISN_E10value_typeET4_jRbjT5_ST_jjP12ihipStream_tbEUlT_E0_NS1_11comp_targetILNS1_3genE5ELNS1_11target_archE942ELNS1_3gpuE9ELNS1_3repE0EEENS1_60segmented_radix_sort_warp_sort_medium_config_static_selectorELNS0_4arch9wavefront6targetE1EEEvSH_,comdat
.Lfunc_end715:
	.size	_ZN7rocprim17ROCPRIM_400000_NS6detail17trampoline_kernelINS0_14default_configENS1_36segmented_radix_sort_config_selectorIllEEZNS1_25segmented_radix_sort_implIS3_Lb1EPKlPlS8_S9_N2at6native12_GLOBAL__N_18offset_tEEE10hipError_tPvRmT1_PNSt15iterator_traitsISH_E10value_typeET2_T3_PNSI_ISN_E10value_typeET4_jRbjT5_ST_jjP12ihipStream_tbEUlT_E0_NS1_11comp_targetILNS1_3genE5ELNS1_11target_archE942ELNS1_3gpuE9ELNS1_3repE0EEENS1_60segmented_radix_sort_warp_sort_medium_config_static_selectorELNS0_4arch9wavefront6targetE1EEEvSH_, .Lfunc_end715-_ZN7rocprim17ROCPRIM_400000_NS6detail17trampoline_kernelINS0_14default_configENS1_36segmented_radix_sort_config_selectorIllEEZNS1_25segmented_radix_sort_implIS3_Lb1EPKlPlS8_S9_N2at6native12_GLOBAL__N_18offset_tEEE10hipError_tPvRmT1_PNSt15iterator_traitsISH_E10value_typeET2_T3_PNSI_ISN_E10value_typeET4_jRbjT5_ST_jjP12ihipStream_tbEUlT_E0_NS1_11comp_targetILNS1_3genE5ELNS1_11target_archE942ELNS1_3gpuE9ELNS1_3repE0EEENS1_60segmented_radix_sort_warp_sort_medium_config_static_selectorELNS0_4arch9wavefront6targetE1EEEvSH_
                                        ; -- End function
	.set _ZN7rocprim17ROCPRIM_400000_NS6detail17trampoline_kernelINS0_14default_configENS1_36segmented_radix_sort_config_selectorIllEEZNS1_25segmented_radix_sort_implIS3_Lb1EPKlPlS8_S9_N2at6native12_GLOBAL__N_18offset_tEEE10hipError_tPvRmT1_PNSt15iterator_traitsISH_E10value_typeET2_T3_PNSI_ISN_E10value_typeET4_jRbjT5_ST_jjP12ihipStream_tbEUlT_E0_NS1_11comp_targetILNS1_3genE5ELNS1_11target_archE942ELNS1_3gpuE9ELNS1_3repE0EEENS1_60segmented_radix_sort_warp_sort_medium_config_static_selectorELNS0_4arch9wavefront6targetE1EEEvSH_.num_vgpr, 0
	.set _ZN7rocprim17ROCPRIM_400000_NS6detail17trampoline_kernelINS0_14default_configENS1_36segmented_radix_sort_config_selectorIllEEZNS1_25segmented_radix_sort_implIS3_Lb1EPKlPlS8_S9_N2at6native12_GLOBAL__N_18offset_tEEE10hipError_tPvRmT1_PNSt15iterator_traitsISH_E10value_typeET2_T3_PNSI_ISN_E10value_typeET4_jRbjT5_ST_jjP12ihipStream_tbEUlT_E0_NS1_11comp_targetILNS1_3genE5ELNS1_11target_archE942ELNS1_3gpuE9ELNS1_3repE0EEENS1_60segmented_radix_sort_warp_sort_medium_config_static_selectorELNS0_4arch9wavefront6targetE1EEEvSH_.num_agpr, 0
	.set _ZN7rocprim17ROCPRIM_400000_NS6detail17trampoline_kernelINS0_14default_configENS1_36segmented_radix_sort_config_selectorIllEEZNS1_25segmented_radix_sort_implIS3_Lb1EPKlPlS8_S9_N2at6native12_GLOBAL__N_18offset_tEEE10hipError_tPvRmT1_PNSt15iterator_traitsISH_E10value_typeET2_T3_PNSI_ISN_E10value_typeET4_jRbjT5_ST_jjP12ihipStream_tbEUlT_E0_NS1_11comp_targetILNS1_3genE5ELNS1_11target_archE942ELNS1_3gpuE9ELNS1_3repE0EEENS1_60segmented_radix_sort_warp_sort_medium_config_static_selectorELNS0_4arch9wavefront6targetE1EEEvSH_.numbered_sgpr, 0
	.set _ZN7rocprim17ROCPRIM_400000_NS6detail17trampoline_kernelINS0_14default_configENS1_36segmented_radix_sort_config_selectorIllEEZNS1_25segmented_radix_sort_implIS3_Lb1EPKlPlS8_S9_N2at6native12_GLOBAL__N_18offset_tEEE10hipError_tPvRmT1_PNSt15iterator_traitsISH_E10value_typeET2_T3_PNSI_ISN_E10value_typeET4_jRbjT5_ST_jjP12ihipStream_tbEUlT_E0_NS1_11comp_targetILNS1_3genE5ELNS1_11target_archE942ELNS1_3gpuE9ELNS1_3repE0EEENS1_60segmented_radix_sort_warp_sort_medium_config_static_selectorELNS0_4arch9wavefront6targetE1EEEvSH_.num_named_barrier, 0
	.set _ZN7rocprim17ROCPRIM_400000_NS6detail17trampoline_kernelINS0_14default_configENS1_36segmented_radix_sort_config_selectorIllEEZNS1_25segmented_radix_sort_implIS3_Lb1EPKlPlS8_S9_N2at6native12_GLOBAL__N_18offset_tEEE10hipError_tPvRmT1_PNSt15iterator_traitsISH_E10value_typeET2_T3_PNSI_ISN_E10value_typeET4_jRbjT5_ST_jjP12ihipStream_tbEUlT_E0_NS1_11comp_targetILNS1_3genE5ELNS1_11target_archE942ELNS1_3gpuE9ELNS1_3repE0EEENS1_60segmented_radix_sort_warp_sort_medium_config_static_selectorELNS0_4arch9wavefront6targetE1EEEvSH_.private_seg_size, 0
	.set _ZN7rocprim17ROCPRIM_400000_NS6detail17trampoline_kernelINS0_14default_configENS1_36segmented_radix_sort_config_selectorIllEEZNS1_25segmented_radix_sort_implIS3_Lb1EPKlPlS8_S9_N2at6native12_GLOBAL__N_18offset_tEEE10hipError_tPvRmT1_PNSt15iterator_traitsISH_E10value_typeET2_T3_PNSI_ISN_E10value_typeET4_jRbjT5_ST_jjP12ihipStream_tbEUlT_E0_NS1_11comp_targetILNS1_3genE5ELNS1_11target_archE942ELNS1_3gpuE9ELNS1_3repE0EEENS1_60segmented_radix_sort_warp_sort_medium_config_static_selectorELNS0_4arch9wavefront6targetE1EEEvSH_.uses_vcc, 0
	.set _ZN7rocprim17ROCPRIM_400000_NS6detail17trampoline_kernelINS0_14default_configENS1_36segmented_radix_sort_config_selectorIllEEZNS1_25segmented_radix_sort_implIS3_Lb1EPKlPlS8_S9_N2at6native12_GLOBAL__N_18offset_tEEE10hipError_tPvRmT1_PNSt15iterator_traitsISH_E10value_typeET2_T3_PNSI_ISN_E10value_typeET4_jRbjT5_ST_jjP12ihipStream_tbEUlT_E0_NS1_11comp_targetILNS1_3genE5ELNS1_11target_archE942ELNS1_3gpuE9ELNS1_3repE0EEENS1_60segmented_radix_sort_warp_sort_medium_config_static_selectorELNS0_4arch9wavefront6targetE1EEEvSH_.uses_flat_scratch, 0
	.set _ZN7rocprim17ROCPRIM_400000_NS6detail17trampoline_kernelINS0_14default_configENS1_36segmented_radix_sort_config_selectorIllEEZNS1_25segmented_radix_sort_implIS3_Lb1EPKlPlS8_S9_N2at6native12_GLOBAL__N_18offset_tEEE10hipError_tPvRmT1_PNSt15iterator_traitsISH_E10value_typeET2_T3_PNSI_ISN_E10value_typeET4_jRbjT5_ST_jjP12ihipStream_tbEUlT_E0_NS1_11comp_targetILNS1_3genE5ELNS1_11target_archE942ELNS1_3gpuE9ELNS1_3repE0EEENS1_60segmented_radix_sort_warp_sort_medium_config_static_selectorELNS0_4arch9wavefront6targetE1EEEvSH_.has_dyn_sized_stack, 0
	.set _ZN7rocprim17ROCPRIM_400000_NS6detail17trampoline_kernelINS0_14default_configENS1_36segmented_radix_sort_config_selectorIllEEZNS1_25segmented_radix_sort_implIS3_Lb1EPKlPlS8_S9_N2at6native12_GLOBAL__N_18offset_tEEE10hipError_tPvRmT1_PNSt15iterator_traitsISH_E10value_typeET2_T3_PNSI_ISN_E10value_typeET4_jRbjT5_ST_jjP12ihipStream_tbEUlT_E0_NS1_11comp_targetILNS1_3genE5ELNS1_11target_archE942ELNS1_3gpuE9ELNS1_3repE0EEENS1_60segmented_radix_sort_warp_sort_medium_config_static_selectorELNS0_4arch9wavefront6targetE1EEEvSH_.has_recursion, 0
	.set _ZN7rocprim17ROCPRIM_400000_NS6detail17trampoline_kernelINS0_14default_configENS1_36segmented_radix_sort_config_selectorIllEEZNS1_25segmented_radix_sort_implIS3_Lb1EPKlPlS8_S9_N2at6native12_GLOBAL__N_18offset_tEEE10hipError_tPvRmT1_PNSt15iterator_traitsISH_E10value_typeET2_T3_PNSI_ISN_E10value_typeET4_jRbjT5_ST_jjP12ihipStream_tbEUlT_E0_NS1_11comp_targetILNS1_3genE5ELNS1_11target_archE942ELNS1_3gpuE9ELNS1_3repE0EEENS1_60segmented_radix_sort_warp_sort_medium_config_static_selectorELNS0_4arch9wavefront6targetE1EEEvSH_.has_indirect_call, 0
	.section	.AMDGPU.csdata,"",@progbits
; Kernel info:
; codeLenInByte = 0
; TotalNumSgprs: 4
; NumVgprs: 0
; ScratchSize: 0
; MemoryBound: 0
; FloatMode: 240
; IeeeMode: 1
; LDSByteSize: 0 bytes/workgroup (compile time only)
; SGPRBlocks: 0
; VGPRBlocks: 0
; NumSGPRsForWavesPerEU: 4
; NumVGPRsForWavesPerEU: 1
; Occupancy: 10
; WaveLimiterHint : 0
; COMPUTE_PGM_RSRC2:SCRATCH_EN: 0
; COMPUTE_PGM_RSRC2:USER_SGPR: 6
; COMPUTE_PGM_RSRC2:TRAP_HANDLER: 0
; COMPUTE_PGM_RSRC2:TGID_X_EN: 1
; COMPUTE_PGM_RSRC2:TGID_Y_EN: 0
; COMPUTE_PGM_RSRC2:TGID_Z_EN: 0
; COMPUTE_PGM_RSRC2:TIDIG_COMP_CNT: 0
	.section	.text._ZN7rocprim17ROCPRIM_400000_NS6detail17trampoline_kernelINS0_14default_configENS1_36segmented_radix_sort_config_selectorIllEEZNS1_25segmented_radix_sort_implIS3_Lb1EPKlPlS8_S9_N2at6native12_GLOBAL__N_18offset_tEEE10hipError_tPvRmT1_PNSt15iterator_traitsISH_E10value_typeET2_T3_PNSI_ISN_E10value_typeET4_jRbjT5_ST_jjP12ihipStream_tbEUlT_E0_NS1_11comp_targetILNS1_3genE4ELNS1_11target_archE910ELNS1_3gpuE8ELNS1_3repE0EEENS1_60segmented_radix_sort_warp_sort_medium_config_static_selectorELNS0_4arch9wavefront6targetE1EEEvSH_,"axG",@progbits,_ZN7rocprim17ROCPRIM_400000_NS6detail17trampoline_kernelINS0_14default_configENS1_36segmented_radix_sort_config_selectorIllEEZNS1_25segmented_radix_sort_implIS3_Lb1EPKlPlS8_S9_N2at6native12_GLOBAL__N_18offset_tEEE10hipError_tPvRmT1_PNSt15iterator_traitsISH_E10value_typeET2_T3_PNSI_ISN_E10value_typeET4_jRbjT5_ST_jjP12ihipStream_tbEUlT_E0_NS1_11comp_targetILNS1_3genE4ELNS1_11target_archE910ELNS1_3gpuE8ELNS1_3repE0EEENS1_60segmented_radix_sort_warp_sort_medium_config_static_selectorELNS0_4arch9wavefront6targetE1EEEvSH_,comdat
	.globl	_ZN7rocprim17ROCPRIM_400000_NS6detail17trampoline_kernelINS0_14default_configENS1_36segmented_radix_sort_config_selectorIllEEZNS1_25segmented_radix_sort_implIS3_Lb1EPKlPlS8_S9_N2at6native12_GLOBAL__N_18offset_tEEE10hipError_tPvRmT1_PNSt15iterator_traitsISH_E10value_typeET2_T3_PNSI_ISN_E10value_typeET4_jRbjT5_ST_jjP12ihipStream_tbEUlT_E0_NS1_11comp_targetILNS1_3genE4ELNS1_11target_archE910ELNS1_3gpuE8ELNS1_3repE0EEENS1_60segmented_radix_sort_warp_sort_medium_config_static_selectorELNS0_4arch9wavefront6targetE1EEEvSH_ ; -- Begin function _ZN7rocprim17ROCPRIM_400000_NS6detail17trampoline_kernelINS0_14default_configENS1_36segmented_radix_sort_config_selectorIllEEZNS1_25segmented_radix_sort_implIS3_Lb1EPKlPlS8_S9_N2at6native12_GLOBAL__N_18offset_tEEE10hipError_tPvRmT1_PNSt15iterator_traitsISH_E10value_typeET2_T3_PNSI_ISN_E10value_typeET4_jRbjT5_ST_jjP12ihipStream_tbEUlT_E0_NS1_11comp_targetILNS1_3genE4ELNS1_11target_archE910ELNS1_3gpuE8ELNS1_3repE0EEENS1_60segmented_radix_sort_warp_sort_medium_config_static_selectorELNS0_4arch9wavefront6targetE1EEEvSH_
	.p2align	8
	.type	_ZN7rocprim17ROCPRIM_400000_NS6detail17trampoline_kernelINS0_14default_configENS1_36segmented_radix_sort_config_selectorIllEEZNS1_25segmented_radix_sort_implIS3_Lb1EPKlPlS8_S9_N2at6native12_GLOBAL__N_18offset_tEEE10hipError_tPvRmT1_PNSt15iterator_traitsISH_E10value_typeET2_T3_PNSI_ISN_E10value_typeET4_jRbjT5_ST_jjP12ihipStream_tbEUlT_E0_NS1_11comp_targetILNS1_3genE4ELNS1_11target_archE910ELNS1_3gpuE8ELNS1_3repE0EEENS1_60segmented_radix_sort_warp_sort_medium_config_static_selectorELNS0_4arch9wavefront6targetE1EEEvSH_,@function
_ZN7rocprim17ROCPRIM_400000_NS6detail17trampoline_kernelINS0_14default_configENS1_36segmented_radix_sort_config_selectorIllEEZNS1_25segmented_radix_sort_implIS3_Lb1EPKlPlS8_S9_N2at6native12_GLOBAL__N_18offset_tEEE10hipError_tPvRmT1_PNSt15iterator_traitsISH_E10value_typeET2_T3_PNSI_ISN_E10value_typeET4_jRbjT5_ST_jjP12ihipStream_tbEUlT_E0_NS1_11comp_targetILNS1_3genE4ELNS1_11target_archE910ELNS1_3gpuE8ELNS1_3repE0EEENS1_60segmented_radix_sort_warp_sort_medium_config_static_selectorELNS0_4arch9wavefront6targetE1EEEvSH_: ; @_ZN7rocprim17ROCPRIM_400000_NS6detail17trampoline_kernelINS0_14default_configENS1_36segmented_radix_sort_config_selectorIllEEZNS1_25segmented_radix_sort_implIS3_Lb1EPKlPlS8_S9_N2at6native12_GLOBAL__N_18offset_tEEE10hipError_tPvRmT1_PNSt15iterator_traitsISH_E10value_typeET2_T3_PNSI_ISN_E10value_typeET4_jRbjT5_ST_jjP12ihipStream_tbEUlT_E0_NS1_11comp_targetILNS1_3genE4ELNS1_11target_archE910ELNS1_3gpuE8ELNS1_3repE0EEENS1_60segmented_radix_sort_warp_sort_medium_config_static_selectorELNS0_4arch9wavefront6targetE1EEEvSH_
; %bb.0:
	.section	.rodata,"a",@progbits
	.p2align	6, 0x0
	.amdhsa_kernel _ZN7rocprim17ROCPRIM_400000_NS6detail17trampoline_kernelINS0_14default_configENS1_36segmented_radix_sort_config_selectorIllEEZNS1_25segmented_radix_sort_implIS3_Lb1EPKlPlS8_S9_N2at6native12_GLOBAL__N_18offset_tEEE10hipError_tPvRmT1_PNSt15iterator_traitsISH_E10value_typeET2_T3_PNSI_ISN_E10value_typeET4_jRbjT5_ST_jjP12ihipStream_tbEUlT_E0_NS1_11comp_targetILNS1_3genE4ELNS1_11target_archE910ELNS1_3gpuE8ELNS1_3repE0EEENS1_60segmented_radix_sort_warp_sort_medium_config_static_selectorELNS0_4arch9wavefront6targetE1EEEvSH_
		.amdhsa_group_segment_fixed_size 0
		.amdhsa_private_segment_fixed_size 0
		.amdhsa_kernarg_size 88
		.amdhsa_user_sgpr_count 6
		.amdhsa_user_sgpr_private_segment_buffer 1
		.amdhsa_user_sgpr_dispatch_ptr 0
		.amdhsa_user_sgpr_queue_ptr 0
		.amdhsa_user_sgpr_kernarg_segment_ptr 1
		.amdhsa_user_sgpr_dispatch_id 0
		.amdhsa_user_sgpr_flat_scratch_init 0
		.amdhsa_user_sgpr_private_segment_size 0
		.amdhsa_uses_dynamic_stack 0
		.amdhsa_system_sgpr_private_segment_wavefront_offset 0
		.amdhsa_system_sgpr_workgroup_id_x 1
		.amdhsa_system_sgpr_workgroup_id_y 0
		.amdhsa_system_sgpr_workgroup_id_z 0
		.amdhsa_system_sgpr_workgroup_info 0
		.amdhsa_system_vgpr_workitem_id 0
		.amdhsa_next_free_vgpr 1
		.amdhsa_next_free_sgpr 0
		.amdhsa_reserve_vcc 0
		.amdhsa_reserve_flat_scratch 0
		.amdhsa_float_round_mode_32 0
		.amdhsa_float_round_mode_16_64 0
		.amdhsa_float_denorm_mode_32 3
		.amdhsa_float_denorm_mode_16_64 3
		.amdhsa_dx10_clamp 1
		.amdhsa_ieee_mode 1
		.amdhsa_fp16_overflow 0
		.amdhsa_exception_fp_ieee_invalid_op 0
		.amdhsa_exception_fp_denorm_src 0
		.amdhsa_exception_fp_ieee_div_zero 0
		.amdhsa_exception_fp_ieee_overflow 0
		.amdhsa_exception_fp_ieee_underflow 0
		.amdhsa_exception_fp_ieee_inexact 0
		.amdhsa_exception_int_div_zero 0
	.end_amdhsa_kernel
	.section	.text._ZN7rocprim17ROCPRIM_400000_NS6detail17trampoline_kernelINS0_14default_configENS1_36segmented_radix_sort_config_selectorIllEEZNS1_25segmented_radix_sort_implIS3_Lb1EPKlPlS8_S9_N2at6native12_GLOBAL__N_18offset_tEEE10hipError_tPvRmT1_PNSt15iterator_traitsISH_E10value_typeET2_T3_PNSI_ISN_E10value_typeET4_jRbjT5_ST_jjP12ihipStream_tbEUlT_E0_NS1_11comp_targetILNS1_3genE4ELNS1_11target_archE910ELNS1_3gpuE8ELNS1_3repE0EEENS1_60segmented_radix_sort_warp_sort_medium_config_static_selectorELNS0_4arch9wavefront6targetE1EEEvSH_,"axG",@progbits,_ZN7rocprim17ROCPRIM_400000_NS6detail17trampoline_kernelINS0_14default_configENS1_36segmented_radix_sort_config_selectorIllEEZNS1_25segmented_radix_sort_implIS3_Lb1EPKlPlS8_S9_N2at6native12_GLOBAL__N_18offset_tEEE10hipError_tPvRmT1_PNSt15iterator_traitsISH_E10value_typeET2_T3_PNSI_ISN_E10value_typeET4_jRbjT5_ST_jjP12ihipStream_tbEUlT_E0_NS1_11comp_targetILNS1_3genE4ELNS1_11target_archE910ELNS1_3gpuE8ELNS1_3repE0EEENS1_60segmented_radix_sort_warp_sort_medium_config_static_selectorELNS0_4arch9wavefront6targetE1EEEvSH_,comdat
.Lfunc_end716:
	.size	_ZN7rocprim17ROCPRIM_400000_NS6detail17trampoline_kernelINS0_14default_configENS1_36segmented_radix_sort_config_selectorIllEEZNS1_25segmented_radix_sort_implIS3_Lb1EPKlPlS8_S9_N2at6native12_GLOBAL__N_18offset_tEEE10hipError_tPvRmT1_PNSt15iterator_traitsISH_E10value_typeET2_T3_PNSI_ISN_E10value_typeET4_jRbjT5_ST_jjP12ihipStream_tbEUlT_E0_NS1_11comp_targetILNS1_3genE4ELNS1_11target_archE910ELNS1_3gpuE8ELNS1_3repE0EEENS1_60segmented_radix_sort_warp_sort_medium_config_static_selectorELNS0_4arch9wavefront6targetE1EEEvSH_, .Lfunc_end716-_ZN7rocprim17ROCPRIM_400000_NS6detail17trampoline_kernelINS0_14default_configENS1_36segmented_radix_sort_config_selectorIllEEZNS1_25segmented_radix_sort_implIS3_Lb1EPKlPlS8_S9_N2at6native12_GLOBAL__N_18offset_tEEE10hipError_tPvRmT1_PNSt15iterator_traitsISH_E10value_typeET2_T3_PNSI_ISN_E10value_typeET4_jRbjT5_ST_jjP12ihipStream_tbEUlT_E0_NS1_11comp_targetILNS1_3genE4ELNS1_11target_archE910ELNS1_3gpuE8ELNS1_3repE0EEENS1_60segmented_radix_sort_warp_sort_medium_config_static_selectorELNS0_4arch9wavefront6targetE1EEEvSH_
                                        ; -- End function
	.set _ZN7rocprim17ROCPRIM_400000_NS6detail17trampoline_kernelINS0_14default_configENS1_36segmented_radix_sort_config_selectorIllEEZNS1_25segmented_radix_sort_implIS3_Lb1EPKlPlS8_S9_N2at6native12_GLOBAL__N_18offset_tEEE10hipError_tPvRmT1_PNSt15iterator_traitsISH_E10value_typeET2_T3_PNSI_ISN_E10value_typeET4_jRbjT5_ST_jjP12ihipStream_tbEUlT_E0_NS1_11comp_targetILNS1_3genE4ELNS1_11target_archE910ELNS1_3gpuE8ELNS1_3repE0EEENS1_60segmented_radix_sort_warp_sort_medium_config_static_selectorELNS0_4arch9wavefront6targetE1EEEvSH_.num_vgpr, 0
	.set _ZN7rocprim17ROCPRIM_400000_NS6detail17trampoline_kernelINS0_14default_configENS1_36segmented_radix_sort_config_selectorIllEEZNS1_25segmented_radix_sort_implIS3_Lb1EPKlPlS8_S9_N2at6native12_GLOBAL__N_18offset_tEEE10hipError_tPvRmT1_PNSt15iterator_traitsISH_E10value_typeET2_T3_PNSI_ISN_E10value_typeET4_jRbjT5_ST_jjP12ihipStream_tbEUlT_E0_NS1_11comp_targetILNS1_3genE4ELNS1_11target_archE910ELNS1_3gpuE8ELNS1_3repE0EEENS1_60segmented_radix_sort_warp_sort_medium_config_static_selectorELNS0_4arch9wavefront6targetE1EEEvSH_.num_agpr, 0
	.set _ZN7rocprim17ROCPRIM_400000_NS6detail17trampoline_kernelINS0_14default_configENS1_36segmented_radix_sort_config_selectorIllEEZNS1_25segmented_radix_sort_implIS3_Lb1EPKlPlS8_S9_N2at6native12_GLOBAL__N_18offset_tEEE10hipError_tPvRmT1_PNSt15iterator_traitsISH_E10value_typeET2_T3_PNSI_ISN_E10value_typeET4_jRbjT5_ST_jjP12ihipStream_tbEUlT_E0_NS1_11comp_targetILNS1_3genE4ELNS1_11target_archE910ELNS1_3gpuE8ELNS1_3repE0EEENS1_60segmented_radix_sort_warp_sort_medium_config_static_selectorELNS0_4arch9wavefront6targetE1EEEvSH_.numbered_sgpr, 0
	.set _ZN7rocprim17ROCPRIM_400000_NS6detail17trampoline_kernelINS0_14default_configENS1_36segmented_radix_sort_config_selectorIllEEZNS1_25segmented_radix_sort_implIS3_Lb1EPKlPlS8_S9_N2at6native12_GLOBAL__N_18offset_tEEE10hipError_tPvRmT1_PNSt15iterator_traitsISH_E10value_typeET2_T3_PNSI_ISN_E10value_typeET4_jRbjT5_ST_jjP12ihipStream_tbEUlT_E0_NS1_11comp_targetILNS1_3genE4ELNS1_11target_archE910ELNS1_3gpuE8ELNS1_3repE0EEENS1_60segmented_radix_sort_warp_sort_medium_config_static_selectorELNS0_4arch9wavefront6targetE1EEEvSH_.num_named_barrier, 0
	.set _ZN7rocprim17ROCPRIM_400000_NS6detail17trampoline_kernelINS0_14default_configENS1_36segmented_radix_sort_config_selectorIllEEZNS1_25segmented_radix_sort_implIS3_Lb1EPKlPlS8_S9_N2at6native12_GLOBAL__N_18offset_tEEE10hipError_tPvRmT1_PNSt15iterator_traitsISH_E10value_typeET2_T3_PNSI_ISN_E10value_typeET4_jRbjT5_ST_jjP12ihipStream_tbEUlT_E0_NS1_11comp_targetILNS1_3genE4ELNS1_11target_archE910ELNS1_3gpuE8ELNS1_3repE0EEENS1_60segmented_radix_sort_warp_sort_medium_config_static_selectorELNS0_4arch9wavefront6targetE1EEEvSH_.private_seg_size, 0
	.set _ZN7rocprim17ROCPRIM_400000_NS6detail17trampoline_kernelINS0_14default_configENS1_36segmented_radix_sort_config_selectorIllEEZNS1_25segmented_radix_sort_implIS3_Lb1EPKlPlS8_S9_N2at6native12_GLOBAL__N_18offset_tEEE10hipError_tPvRmT1_PNSt15iterator_traitsISH_E10value_typeET2_T3_PNSI_ISN_E10value_typeET4_jRbjT5_ST_jjP12ihipStream_tbEUlT_E0_NS1_11comp_targetILNS1_3genE4ELNS1_11target_archE910ELNS1_3gpuE8ELNS1_3repE0EEENS1_60segmented_radix_sort_warp_sort_medium_config_static_selectorELNS0_4arch9wavefront6targetE1EEEvSH_.uses_vcc, 0
	.set _ZN7rocprim17ROCPRIM_400000_NS6detail17trampoline_kernelINS0_14default_configENS1_36segmented_radix_sort_config_selectorIllEEZNS1_25segmented_radix_sort_implIS3_Lb1EPKlPlS8_S9_N2at6native12_GLOBAL__N_18offset_tEEE10hipError_tPvRmT1_PNSt15iterator_traitsISH_E10value_typeET2_T3_PNSI_ISN_E10value_typeET4_jRbjT5_ST_jjP12ihipStream_tbEUlT_E0_NS1_11comp_targetILNS1_3genE4ELNS1_11target_archE910ELNS1_3gpuE8ELNS1_3repE0EEENS1_60segmented_radix_sort_warp_sort_medium_config_static_selectorELNS0_4arch9wavefront6targetE1EEEvSH_.uses_flat_scratch, 0
	.set _ZN7rocprim17ROCPRIM_400000_NS6detail17trampoline_kernelINS0_14default_configENS1_36segmented_radix_sort_config_selectorIllEEZNS1_25segmented_radix_sort_implIS3_Lb1EPKlPlS8_S9_N2at6native12_GLOBAL__N_18offset_tEEE10hipError_tPvRmT1_PNSt15iterator_traitsISH_E10value_typeET2_T3_PNSI_ISN_E10value_typeET4_jRbjT5_ST_jjP12ihipStream_tbEUlT_E0_NS1_11comp_targetILNS1_3genE4ELNS1_11target_archE910ELNS1_3gpuE8ELNS1_3repE0EEENS1_60segmented_radix_sort_warp_sort_medium_config_static_selectorELNS0_4arch9wavefront6targetE1EEEvSH_.has_dyn_sized_stack, 0
	.set _ZN7rocprim17ROCPRIM_400000_NS6detail17trampoline_kernelINS0_14default_configENS1_36segmented_radix_sort_config_selectorIllEEZNS1_25segmented_radix_sort_implIS3_Lb1EPKlPlS8_S9_N2at6native12_GLOBAL__N_18offset_tEEE10hipError_tPvRmT1_PNSt15iterator_traitsISH_E10value_typeET2_T3_PNSI_ISN_E10value_typeET4_jRbjT5_ST_jjP12ihipStream_tbEUlT_E0_NS1_11comp_targetILNS1_3genE4ELNS1_11target_archE910ELNS1_3gpuE8ELNS1_3repE0EEENS1_60segmented_radix_sort_warp_sort_medium_config_static_selectorELNS0_4arch9wavefront6targetE1EEEvSH_.has_recursion, 0
	.set _ZN7rocprim17ROCPRIM_400000_NS6detail17trampoline_kernelINS0_14default_configENS1_36segmented_radix_sort_config_selectorIllEEZNS1_25segmented_radix_sort_implIS3_Lb1EPKlPlS8_S9_N2at6native12_GLOBAL__N_18offset_tEEE10hipError_tPvRmT1_PNSt15iterator_traitsISH_E10value_typeET2_T3_PNSI_ISN_E10value_typeET4_jRbjT5_ST_jjP12ihipStream_tbEUlT_E0_NS1_11comp_targetILNS1_3genE4ELNS1_11target_archE910ELNS1_3gpuE8ELNS1_3repE0EEENS1_60segmented_radix_sort_warp_sort_medium_config_static_selectorELNS0_4arch9wavefront6targetE1EEEvSH_.has_indirect_call, 0
	.section	.AMDGPU.csdata,"",@progbits
; Kernel info:
; codeLenInByte = 0
; TotalNumSgprs: 4
; NumVgprs: 0
; ScratchSize: 0
; MemoryBound: 0
; FloatMode: 240
; IeeeMode: 1
; LDSByteSize: 0 bytes/workgroup (compile time only)
; SGPRBlocks: 0
; VGPRBlocks: 0
; NumSGPRsForWavesPerEU: 4
; NumVGPRsForWavesPerEU: 1
; Occupancy: 10
; WaveLimiterHint : 0
; COMPUTE_PGM_RSRC2:SCRATCH_EN: 0
; COMPUTE_PGM_RSRC2:USER_SGPR: 6
; COMPUTE_PGM_RSRC2:TRAP_HANDLER: 0
; COMPUTE_PGM_RSRC2:TGID_X_EN: 1
; COMPUTE_PGM_RSRC2:TGID_Y_EN: 0
; COMPUTE_PGM_RSRC2:TGID_Z_EN: 0
; COMPUTE_PGM_RSRC2:TIDIG_COMP_CNT: 0
	.section	.text._ZN7rocprim17ROCPRIM_400000_NS6detail17trampoline_kernelINS0_14default_configENS1_36segmented_radix_sort_config_selectorIllEEZNS1_25segmented_radix_sort_implIS3_Lb1EPKlPlS8_S9_N2at6native12_GLOBAL__N_18offset_tEEE10hipError_tPvRmT1_PNSt15iterator_traitsISH_E10value_typeET2_T3_PNSI_ISN_E10value_typeET4_jRbjT5_ST_jjP12ihipStream_tbEUlT_E0_NS1_11comp_targetILNS1_3genE3ELNS1_11target_archE908ELNS1_3gpuE7ELNS1_3repE0EEENS1_60segmented_radix_sort_warp_sort_medium_config_static_selectorELNS0_4arch9wavefront6targetE1EEEvSH_,"axG",@progbits,_ZN7rocprim17ROCPRIM_400000_NS6detail17trampoline_kernelINS0_14default_configENS1_36segmented_radix_sort_config_selectorIllEEZNS1_25segmented_radix_sort_implIS3_Lb1EPKlPlS8_S9_N2at6native12_GLOBAL__N_18offset_tEEE10hipError_tPvRmT1_PNSt15iterator_traitsISH_E10value_typeET2_T3_PNSI_ISN_E10value_typeET4_jRbjT5_ST_jjP12ihipStream_tbEUlT_E0_NS1_11comp_targetILNS1_3genE3ELNS1_11target_archE908ELNS1_3gpuE7ELNS1_3repE0EEENS1_60segmented_radix_sort_warp_sort_medium_config_static_selectorELNS0_4arch9wavefront6targetE1EEEvSH_,comdat
	.globl	_ZN7rocprim17ROCPRIM_400000_NS6detail17trampoline_kernelINS0_14default_configENS1_36segmented_radix_sort_config_selectorIllEEZNS1_25segmented_radix_sort_implIS3_Lb1EPKlPlS8_S9_N2at6native12_GLOBAL__N_18offset_tEEE10hipError_tPvRmT1_PNSt15iterator_traitsISH_E10value_typeET2_T3_PNSI_ISN_E10value_typeET4_jRbjT5_ST_jjP12ihipStream_tbEUlT_E0_NS1_11comp_targetILNS1_3genE3ELNS1_11target_archE908ELNS1_3gpuE7ELNS1_3repE0EEENS1_60segmented_radix_sort_warp_sort_medium_config_static_selectorELNS0_4arch9wavefront6targetE1EEEvSH_ ; -- Begin function _ZN7rocprim17ROCPRIM_400000_NS6detail17trampoline_kernelINS0_14default_configENS1_36segmented_radix_sort_config_selectorIllEEZNS1_25segmented_radix_sort_implIS3_Lb1EPKlPlS8_S9_N2at6native12_GLOBAL__N_18offset_tEEE10hipError_tPvRmT1_PNSt15iterator_traitsISH_E10value_typeET2_T3_PNSI_ISN_E10value_typeET4_jRbjT5_ST_jjP12ihipStream_tbEUlT_E0_NS1_11comp_targetILNS1_3genE3ELNS1_11target_archE908ELNS1_3gpuE7ELNS1_3repE0EEENS1_60segmented_radix_sort_warp_sort_medium_config_static_selectorELNS0_4arch9wavefront6targetE1EEEvSH_
	.p2align	8
	.type	_ZN7rocprim17ROCPRIM_400000_NS6detail17trampoline_kernelINS0_14default_configENS1_36segmented_radix_sort_config_selectorIllEEZNS1_25segmented_radix_sort_implIS3_Lb1EPKlPlS8_S9_N2at6native12_GLOBAL__N_18offset_tEEE10hipError_tPvRmT1_PNSt15iterator_traitsISH_E10value_typeET2_T3_PNSI_ISN_E10value_typeET4_jRbjT5_ST_jjP12ihipStream_tbEUlT_E0_NS1_11comp_targetILNS1_3genE3ELNS1_11target_archE908ELNS1_3gpuE7ELNS1_3repE0EEENS1_60segmented_radix_sort_warp_sort_medium_config_static_selectorELNS0_4arch9wavefront6targetE1EEEvSH_,@function
_ZN7rocprim17ROCPRIM_400000_NS6detail17trampoline_kernelINS0_14default_configENS1_36segmented_radix_sort_config_selectorIllEEZNS1_25segmented_radix_sort_implIS3_Lb1EPKlPlS8_S9_N2at6native12_GLOBAL__N_18offset_tEEE10hipError_tPvRmT1_PNSt15iterator_traitsISH_E10value_typeET2_T3_PNSI_ISN_E10value_typeET4_jRbjT5_ST_jjP12ihipStream_tbEUlT_E0_NS1_11comp_targetILNS1_3genE3ELNS1_11target_archE908ELNS1_3gpuE7ELNS1_3repE0EEENS1_60segmented_radix_sort_warp_sort_medium_config_static_selectorELNS0_4arch9wavefront6targetE1EEEvSH_: ; @_ZN7rocprim17ROCPRIM_400000_NS6detail17trampoline_kernelINS0_14default_configENS1_36segmented_radix_sort_config_selectorIllEEZNS1_25segmented_radix_sort_implIS3_Lb1EPKlPlS8_S9_N2at6native12_GLOBAL__N_18offset_tEEE10hipError_tPvRmT1_PNSt15iterator_traitsISH_E10value_typeET2_T3_PNSI_ISN_E10value_typeET4_jRbjT5_ST_jjP12ihipStream_tbEUlT_E0_NS1_11comp_targetILNS1_3genE3ELNS1_11target_archE908ELNS1_3gpuE7ELNS1_3repE0EEENS1_60segmented_radix_sort_warp_sort_medium_config_static_selectorELNS0_4arch9wavefront6targetE1EEEvSH_
; %bb.0:
	.section	.rodata,"a",@progbits
	.p2align	6, 0x0
	.amdhsa_kernel _ZN7rocprim17ROCPRIM_400000_NS6detail17trampoline_kernelINS0_14default_configENS1_36segmented_radix_sort_config_selectorIllEEZNS1_25segmented_radix_sort_implIS3_Lb1EPKlPlS8_S9_N2at6native12_GLOBAL__N_18offset_tEEE10hipError_tPvRmT1_PNSt15iterator_traitsISH_E10value_typeET2_T3_PNSI_ISN_E10value_typeET4_jRbjT5_ST_jjP12ihipStream_tbEUlT_E0_NS1_11comp_targetILNS1_3genE3ELNS1_11target_archE908ELNS1_3gpuE7ELNS1_3repE0EEENS1_60segmented_radix_sort_warp_sort_medium_config_static_selectorELNS0_4arch9wavefront6targetE1EEEvSH_
		.amdhsa_group_segment_fixed_size 0
		.amdhsa_private_segment_fixed_size 0
		.amdhsa_kernarg_size 88
		.amdhsa_user_sgpr_count 6
		.amdhsa_user_sgpr_private_segment_buffer 1
		.amdhsa_user_sgpr_dispatch_ptr 0
		.amdhsa_user_sgpr_queue_ptr 0
		.amdhsa_user_sgpr_kernarg_segment_ptr 1
		.amdhsa_user_sgpr_dispatch_id 0
		.amdhsa_user_sgpr_flat_scratch_init 0
		.amdhsa_user_sgpr_private_segment_size 0
		.amdhsa_uses_dynamic_stack 0
		.amdhsa_system_sgpr_private_segment_wavefront_offset 0
		.amdhsa_system_sgpr_workgroup_id_x 1
		.amdhsa_system_sgpr_workgroup_id_y 0
		.amdhsa_system_sgpr_workgroup_id_z 0
		.amdhsa_system_sgpr_workgroup_info 0
		.amdhsa_system_vgpr_workitem_id 0
		.amdhsa_next_free_vgpr 1
		.amdhsa_next_free_sgpr 0
		.amdhsa_reserve_vcc 0
		.amdhsa_reserve_flat_scratch 0
		.amdhsa_float_round_mode_32 0
		.amdhsa_float_round_mode_16_64 0
		.amdhsa_float_denorm_mode_32 3
		.amdhsa_float_denorm_mode_16_64 3
		.amdhsa_dx10_clamp 1
		.amdhsa_ieee_mode 1
		.amdhsa_fp16_overflow 0
		.amdhsa_exception_fp_ieee_invalid_op 0
		.amdhsa_exception_fp_denorm_src 0
		.amdhsa_exception_fp_ieee_div_zero 0
		.amdhsa_exception_fp_ieee_overflow 0
		.amdhsa_exception_fp_ieee_underflow 0
		.amdhsa_exception_fp_ieee_inexact 0
		.amdhsa_exception_int_div_zero 0
	.end_amdhsa_kernel
	.section	.text._ZN7rocprim17ROCPRIM_400000_NS6detail17trampoline_kernelINS0_14default_configENS1_36segmented_radix_sort_config_selectorIllEEZNS1_25segmented_radix_sort_implIS3_Lb1EPKlPlS8_S9_N2at6native12_GLOBAL__N_18offset_tEEE10hipError_tPvRmT1_PNSt15iterator_traitsISH_E10value_typeET2_T3_PNSI_ISN_E10value_typeET4_jRbjT5_ST_jjP12ihipStream_tbEUlT_E0_NS1_11comp_targetILNS1_3genE3ELNS1_11target_archE908ELNS1_3gpuE7ELNS1_3repE0EEENS1_60segmented_radix_sort_warp_sort_medium_config_static_selectorELNS0_4arch9wavefront6targetE1EEEvSH_,"axG",@progbits,_ZN7rocprim17ROCPRIM_400000_NS6detail17trampoline_kernelINS0_14default_configENS1_36segmented_radix_sort_config_selectorIllEEZNS1_25segmented_radix_sort_implIS3_Lb1EPKlPlS8_S9_N2at6native12_GLOBAL__N_18offset_tEEE10hipError_tPvRmT1_PNSt15iterator_traitsISH_E10value_typeET2_T3_PNSI_ISN_E10value_typeET4_jRbjT5_ST_jjP12ihipStream_tbEUlT_E0_NS1_11comp_targetILNS1_3genE3ELNS1_11target_archE908ELNS1_3gpuE7ELNS1_3repE0EEENS1_60segmented_radix_sort_warp_sort_medium_config_static_selectorELNS0_4arch9wavefront6targetE1EEEvSH_,comdat
.Lfunc_end717:
	.size	_ZN7rocprim17ROCPRIM_400000_NS6detail17trampoline_kernelINS0_14default_configENS1_36segmented_radix_sort_config_selectorIllEEZNS1_25segmented_radix_sort_implIS3_Lb1EPKlPlS8_S9_N2at6native12_GLOBAL__N_18offset_tEEE10hipError_tPvRmT1_PNSt15iterator_traitsISH_E10value_typeET2_T3_PNSI_ISN_E10value_typeET4_jRbjT5_ST_jjP12ihipStream_tbEUlT_E0_NS1_11comp_targetILNS1_3genE3ELNS1_11target_archE908ELNS1_3gpuE7ELNS1_3repE0EEENS1_60segmented_radix_sort_warp_sort_medium_config_static_selectorELNS0_4arch9wavefront6targetE1EEEvSH_, .Lfunc_end717-_ZN7rocprim17ROCPRIM_400000_NS6detail17trampoline_kernelINS0_14default_configENS1_36segmented_radix_sort_config_selectorIllEEZNS1_25segmented_radix_sort_implIS3_Lb1EPKlPlS8_S9_N2at6native12_GLOBAL__N_18offset_tEEE10hipError_tPvRmT1_PNSt15iterator_traitsISH_E10value_typeET2_T3_PNSI_ISN_E10value_typeET4_jRbjT5_ST_jjP12ihipStream_tbEUlT_E0_NS1_11comp_targetILNS1_3genE3ELNS1_11target_archE908ELNS1_3gpuE7ELNS1_3repE0EEENS1_60segmented_radix_sort_warp_sort_medium_config_static_selectorELNS0_4arch9wavefront6targetE1EEEvSH_
                                        ; -- End function
	.set _ZN7rocprim17ROCPRIM_400000_NS6detail17trampoline_kernelINS0_14default_configENS1_36segmented_radix_sort_config_selectorIllEEZNS1_25segmented_radix_sort_implIS3_Lb1EPKlPlS8_S9_N2at6native12_GLOBAL__N_18offset_tEEE10hipError_tPvRmT1_PNSt15iterator_traitsISH_E10value_typeET2_T3_PNSI_ISN_E10value_typeET4_jRbjT5_ST_jjP12ihipStream_tbEUlT_E0_NS1_11comp_targetILNS1_3genE3ELNS1_11target_archE908ELNS1_3gpuE7ELNS1_3repE0EEENS1_60segmented_radix_sort_warp_sort_medium_config_static_selectorELNS0_4arch9wavefront6targetE1EEEvSH_.num_vgpr, 0
	.set _ZN7rocprim17ROCPRIM_400000_NS6detail17trampoline_kernelINS0_14default_configENS1_36segmented_radix_sort_config_selectorIllEEZNS1_25segmented_radix_sort_implIS3_Lb1EPKlPlS8_S9_N2at6native12_GLOBAL__N_18offset_tEEE10hipError_tPvRmT1_PNSt15iterator_traitsISH_E10value_typeET2_T3_PNSI_ISN_E10value_typeET4_jRbjT5_ST_jjP12ihipStream_tbEUlT_E0_NS1_11comp_targetILNS1_3genE3ELNS1_11target_archE908ELNS1_3gpuE7ELNS1_3repE0EEENS1_60segmented_radix_sort_warp_sort_medium_config_static_selectorELNS0_4arch9wavefront6targetE1EEEvSH_.num_agpr, 0
	.set _ZN7rocprim17ROCPRIM_400000_NS6detail17trampoline_kernelINS0_14default_configENS1_36segmented_radix_sort_config_selectorIllEEZNS1_25segmented_radix_sort_implIS3_Lb1EPKlPlS8_S9_N2at6native12_GLOBAL__N_18offset_tEEE10hipError_tPvRmT1_PNSt15iterator_traitsISH_E10value_typeET2_T3_PNSI_ISN_E10value_typeET4_jRbjT5_ST_jjP12ihipStream_tbEUlT_E0_NS1_11comp_targetILNS1_3genE3ELNS1_11target_archE908ELNS1_3gpuE7ELNS1_3repE0EEENS1_60segmented_radix_sort_warp_sort_medium_config_static_selectorELNS0_4arch9wavefront6targetE1EEEvSH_.numbered_sgpr, 0
	.set _ZN7rocprim17ROCPRIM_400000_NS6detail17trampoline_kernelINS0_14default_configENS1_36segmented_radix_sort_config_selectorIllEEZNS1_25segmented_radix_sort_implIS3_Lb1EPKlPlS8_S9_N2at6native12_GLOBAL__N_18offset_tEEE10hipError_tPvRmT1_PNSt15iterator_traitsISH_E10value_typeET2_T3_PNSI_ISN_E10value_typeET4_jRbjT5_ST_jjP12ihipStream_tbEUlT_E0_NS1_11comp_targetILNS1_3genE3ELNS1_11target_archE908ELNS1_3gpuE7ELNS1_3repE0EEENS1_60segmented_radix_sort_warp_sort_medium_config_static_selectorELNS0_4arch9wavefront6targetE1EEEvSH_.num_named_barrier, 0
	.set _ZN7rocprim17ROCPRIM_400000_NS6detail17trampoline_kernelINS0_14default_configENS1_36segmented_radix_sort_config_selectorIllEEZNS1_25segmented_radix_sort_implIS3_Lb1EPKlPlS8_S9_N2at6native12_GLOBAL__N_18offset_tEEE10hipError_tPvRmT1_PNSt15iterator_traitsISH_E10value_typeET2_T3_PNSI_ISN_E10value_typeET4_jRbjT5_ST_jjP12ihipStream_tbEUlT_E0_NS1_11comp_targetILNS1_3genE3ELNS1_11target_archE908ELNS1_3gpuE7ELNS1_3repE0EEENS1_60segmented_radix_sort_warp_sort_medium_config_static_selectorELNS0_4arch9wavefront6targetE1EEEvSH_.private_seg_size, 0
	.set _ZN7rocprim17ROCPRIM_400000_NS6detail17trampoline_kernelINS0_14default_configENS1_36segmented_radix_sort_config_selectorIllEEZNS1_25segmented_radix_sort_implIS3_Lb1EPKlPlS8_S9_N2at6native12_GLOBAL__N_18offset_tEEE10hipError_tPvRmT1_PNSt15iterator_traitsISH_E10value_typeET2_T3_PNSI_ISN_E10value_typeET4_jRbjT5_ST_jjP12ihipStream_tbEUlT_E0_NS1_11comp_targetILNS1_3genE3ELNS1_11target_archE908ELNS1_3gpuE7ELNS1_3repE0EEENS1_60segmented_radix_sort_warp_sort_medium_config_static_selectorELNS0_4arch9wavefront6targetE1EEEvSH_.uses_vcc, 0
	.set _ZN7rocprim17ROCPRIM_400000_NS6detail17trampoline_kernelINS0_14default_configENS1_36segmented_radix_sort_config_selectorIllEEZNS1_25segmented_radix_sort_implIS3_Lb1EPKlPlS8_S9_N2at6native12_GLOBAL__N_18offset_tEEE10hipError_tPvRmT1_PNSt15iterator_traitsISH_E10value_typeET2_T3_PNSI_ISN_E10value_typeET4_jRbjT5_ST_jjP12ihipStream_tbEUlT_E0_NS1_11comp_targetILNS1_3genE3ELNS1_11target_archE908ELNS1_3gpuE7ELNS1_3repE0EEENS1_60segmented_radix_sort_warp_sort_medium_config_static_selectorELNS0_4arch9wavefront6targetE1EEEvSH_.uses_flat_scratch, 0
	.set _ZN7rocprim17ROCPRIM_400000_NS6detail17trampoline_kernelINS0_14default_configENS1_36segmented_radix_sort_config_selectorIllEEZNS1_25segmented_radix_sort_implIS3_Lb1EPKlPlS8_S9_N2at6native12_GLOBAL__N_18offset_tEEE10hipError_tPvRmT1_PNSt15iterator_traitsISH_E10value_typeET2_T3_PNSI_ISN_E10value_typeET4_jRbjT5_ST_jjP12ihipStream_tbEUlT_E0_NS1_11comp_targetILNS1_3genE3ELNS1_11target_archE908ELNS1_3gpuE7ELNS1_3repE0EEENS1_60segmented_radix_sort_warp_sort_medium_config_static_selectorELNS0_4arch9wavefront6targetE1EEEvSH_.has_dyn_sized_stack, 0
	.set _ZN7rocprim17ROCPRIM_400000_NS6detail17trampoline_kernelINS0_14default_configENS1_36segmented_radix_sort_config_selectorIllEEZNS1_25segmented_radix_sort_implIS3_Lb1EPKlPlS8_S9_N2at6native12_GLOBAL__N_18offset_tEEE10hipError_tPvRmT1_PNSt15iterator_traitsISH_E10value_typeET2_T3_PNSI_ISN_E10value_typeET4_jRbjT5_ST_jjP12ihipStream_tbEUlT_E0_NS1_11comp_targetILNS1_3genE3ELNS1_11target_archE908ELNS1_3gpuE7ELNS1_3repE0EEENS1_60segmented_radix_sort_warp_sort_medium_config_static_selectorELNS0_4arch9wavefront6targetE1EEEvSH_.has_recursion, 0
	.set _ZN7rocprim17ROCPRIM_400000_NS6detail17trampoline_kernelINS0_14default_configENS1_36segmented_radix_sort_config_selectorIllEEZNS1_25segmented_radix_sort_implIS3_Lb1EPKlPlS8_S9_N2at6native12_GLOBAL__N_18offset_tEEE10hipError_tPvRmT1_PNSt15iterator_traitsISH_E10value_typeET2_T3_PNSI_ISN_E10value_typeET4_jRbjT5_ST_jjP12ihipStream_tbEUlT_E0_NS1_11comp_targetILNS1_3genE3ELNS1_11target_archE908ELNS1_3gpuE7ELNS1_3repE0EEENS1_60segmented_radix_sort_warp_sort_medium_config_static_selectorELNS0_4arch9wavefront6targetE1EEEvSH_.has_indirect_call, 0
	.section	.AMDGPU.csdata,"",@progbits
; Kernel info:
; codeLenInByte = 0
; TotalNumSgprs: 4
; NumVgprs: 0
; ScratchSize: 0
; MemoryBound: 0
; FloatMode: 240
; IeeeMode: 1
; LDSByteSize: 0 bytes/workgroup (compile time only)
; SGPRBlocks: 0
; VGPRBlocks: 0
; NumSGPRsForWavesPerEU: 4
; NumVGPRsForWavesPerEU: 1
; Occupancy: 10
; WaveLimiterHint : 0
; COMPUTE_PGM_RSRC2:SCRATCH_EN: 0
; COMPUTE_PGM_RSRC2:USER_SGPR: 6
; COMPUTE_PGM_RSRC2:TRAP_HANDLER: 0
; COMPUTE_PGM_RSRC2:TGID_X_EN: 1
; COMPUTE_PGM_RSRC2:TGID_Y_EN: 0
; COMPUTE_PGM_RSRC2:TGID_Z_EN: 0
; COMPUTE_PGM_RSRC2:TIDIG_COMP_CNT: 0
	.text
	.p2align	2                               ; -- Begin function _ZN7rocprim17ROCPRIM_400000_NS6detail26segmented_warp_sort_helperINS1_20WarpSortHelperConfigILj16ELj16ELj256EEEllLi256ELb1EvE4sortIPKlPlS8_S9_EEvT_T0_T1_T2_jjjjRNS5_12storage_typeE
	.type	_ZN7rocprim17ROCPRIM_400000_NS6detail26segmented_warp_sort_helperINS1_20WarpSortHelperConfigILj16ELj16ELj256EEEllLi256ELb1EvE4sortIPKlPlS8_S9_EEvT_T0_T1_T2_jjjjRNS5_12storage_typeE,@function
_ZN7rocprim17ROCPRIM_400000_NS6detail26segmented_warp_sort_helperINS1_20WarpSortHelperConfigILj16ELj16ELj256EEEllLi256ELb1EvE4sortIPKlPlS8_S9_EEvT_T0_T1_T2_jjjjRNS5_12storage_typeE: ; @_ZN7rocprim17ROCPRIM_400000_NS6detail26segmented_warp_sort_helperINS1_20WarpSortHelperConfigILj16ELj16ELj256EEEllLi256ELb1EvE4sortIPKlPlS8_S9_EEvT_T0_T1_T2_jjjjRNS5_12storage_typeE
; %bb.0:
	s_waitcnt vmcnt(0) expcnt(0) lgkmcnt(0)
	s_or_saveexec_b64 s[4:5], -1
	buffer_store_dword v40, off, s[0:3], s32 ; 4-byte Folded Spill
	s_mov_b64 exec, s[4:5]
	v_writelane_b32 v40, s30, 0
	v_writelane_b32 v40, s31, 1
	v_mov_b32_e32 v12, v10
	v_mov_b32_e32 v10, v9
	;; [unrolled: 1-line block ×3, first 2 shown]
	v_mbcnt_lo_u32_b32 v15, -1, 0
	v_lshlrev_b64 v[13:14], 3, v[8:9]
	v_mbcnt_hi_u32_b32 v15, -1, v15
	v_lshlrev_b32_e32 v161, 4, v15
	v_add_co_u32_e32 v0, vcc, v0, v13
	v_and_b32_e32 v162, 0xf0, v161
	v_addc_co_u32_e32 v1, vcc, v1, v14, vcc
	v_lshlrev_b32_e32 v160, 3, v162
	v_add_co_u32_e32 v0, vcc, v0, v160
	v_sub_u32_e32 v8, v10, v8
	v_bfrev_b32_e32 v10, 1
	v_addc_co_u32_e32 v1, vcc, 0, v1, vcc
	v_mov_b32_e32 v16, v10
	v_cmp_lt_u32_e32 vcc, v162, v8
	v_mov_b32_e32 v15, v9
	s_and_saveexec_b64 s[4:5], vcc
	s_cbranch_execz .LBB718_2
; %bb.1:
	flat_load_dwordx2 v[15:16], v[0:1]
.LBB718_2:
	s_or_b64 exec, exec, s[4:5]
	v_or_b32_e32 v17, 1, v162
	v_cmp_lt_u32_e64 s[4:5], v17, v8
	s_and_saveexec_b64 s[6:7], s[4:5]
	s_cbranch_execz .LBB718_4
; %bb.3:
	flat_load_dwordx2 v[9:10], v[0:1] offset:8
.LBB718_4:
	s_or_b64 exec, exec, s[6:7]
	v_mov_b32_e32 v36, 0
	v_or_b32_e32 v17, 2, v162
	v_bfrev_b32_e32 v37, 1
	v_mov_b32_e32 v34, v36
	v_cmp_lt_u32_e64 s[6:7], v17, v8
	v_mov_b32_e32 v35, v37
	s_and_saveexec_b64 s[10:11], s[6:7]
	s_cbranch_execz .LBB718_6
; %bb.5:
	flat_load_dwordx2 v[34:35], v[0:1] offset:16
.LBB718_6:
	s_or_b64 exec, exec, s[10:11]
	v_or_b32_e32 v17, 3, v162
	v_cmp_lt_u32_e64 s[44:45], v17, v8
	s_and_saveexec_b64 s[10:11], s[44:45]
	s_cbranch_execz .LBB718_8
; %bb.7:
	flat_load_dwordx2 v[36:37], v[0:1] offset:24
.LBB718_8:
	s_or_b64 exec, exec, s[10:11]
	v_mov_b32_e32 v50, 0
	v_or_b32_e32 v17, 4, v162
	v_bfrev_b32_e32 v51, 1
	v_mov_b32_e32 v48, v50
	v_cmp_lt_u32_e64 s[10:11], v17, v8
	v_mov_b32_e32 v49, v51
	s_and_saveexec_b64 s[14:15], s[10:11]
	s_cbranch_execz .LBB718_10
; %bb.9:
	flat_load_dwordx2 v[48:49], v[0:1] offset:32
.LBB718_10:
	;; [unrolled: 20-line block ×5, first 2 shown]
	s_or_b64 exec, exec, s[24:25]
	v_or_b32_e32 v17, 11, v162
	v_cmp_lt_u32_e64 s[24:25], v17, v8
	s_and_saveexec_b64 s[26:27], s[24:25]
	s_cbranch_execz .LBB718_24
; %bb.23:
	flat_load_dwordx2 v[98:99], v[0:1] offset:88
.LBB718_24:
	s_or_b64 exec, exec, s[26:27]
	v_bfrev_b32_e32 v69, 1
	v_or_b32_e32 v17, 12, v162
	v_mov_b32_e32 v68, 0
	v_mov_b32_e32 v97, v69
	v_cmp_lt_u32_e64 s[26:27], v17, v8
	v_mov_b32_e32 v96, v68
	s_and_saveexec_b64 s[28:29], s[26:27]
	s_cbranch_execz .LBB718_26
; %bb.25:
	flat_load_dwordx2 v[96:97], v[0:1] offset:96
.LBB718_26:
	s_or_b64 exec, exec, s[28:29]
	v_or_b32_e32 v17, 13, v162
	v_cmp_lt_u32_e64 s[28:29], v17, v8
	s_and_saveexec_b64 s[40:41], s[28:29]
	s_cbranch_execz .LBB718_28
; %bb.27:
	flat_load_dwordx2 v[68:69], v[0:1] offset:104
.LBB718_28:
	s_or_b64 exec, exec, s[40:41]
	v_or_b32_e32 v17, 14, v162
	v_bfrev_b32_e32 v18, 1
	v_cmp_lt_u32_e64 s[40:41], v17, v8
	v_mov_b32_e32 v17, 0
	v_mov_b32_e32 v113, v18
	;; [unrolled: 1-line block ×3, first 2 shown]
	s_and_saveexec_b64 s[42:43], s[40:41]
	s_cbranch_execz .LBB718_30
; %bb.29:
	flat_load_dwordx2 v[112:113], v[0:1] offset:112
.LBB718_30:
	s_or_b64 exec, exec, s[42:43]
	v_or_b32_e32 v19, 15, v162
	v_cmp_lt_u32_e64 s[42:43], v19, v8
	s_and_saveexec_b64 s[46:47], s[42:43]
	s_cbranch_execz .LBB718_32
; %bb.31:
	flat_load_dwordx2 v[17:18], v[0:1] offset:120
.LBB718_32:
	s_or_b64 exec, exec, s[46:47]
	v_add_co_u32_e64 v0, s[46:47], v4, v13
	v_addc_co_u32_e64 v1, s[46:47], v5, v14, s[46:47]
	v_add_co_u32_e64 v114, s[46:47], v0, v160
	v_addc_co_u32_e64 v115, s[46:47], 0, v1, s[46:47]
	; wave barrier
                                        ; implicit-def: $vgpr0_vgpr1
	s_and_saveexec_b64 s[46:47], vcc
	s_cbranch_execnz .LBB718_652
; %bb.33:
	s_or_b64 exec, exec, s[46:47]
	s_and_saveexec_b64 s[46:47], s[4:5]
                                        ; implicit-def: $vgpr4_vgpr5
	s_cbranch_execnz .LBB718_653
.LBB718_34:
	s_or_b64 exec, exec, s[46:47]
                                        ; implicit-def: $vgpr19_vgpr20
	s_and_saveexec_b64 s[46:47], s[6:7]
	s_cbranch_execnz .LBB718_654
.LBB718_35:
	s_or_b64 exec, exec, s[46:47]
	s_and_saveexec_b64 s[46:47], s[44:45]
                                        ; implicit-def: $vgpr21_vgpr22
	s_cbranch_execnz .LBB718_655
.LBB718_36:
	s_or_b64 exec, exec, s[46:47]
                                        ; implicit-def: $vgpr23_vgpr24
	s_and_saveexec_b64 s[46:47], s[10:11]
	s_cbranch_execnz .LBB718_656
.LBB718_37:
	s_or_b64 exec, exec, s[46:47]
	s_and_saveexec_b64 s[46:47], s[88:89]
                                        ; implicit-def: $vgpr25_vgpr26
	s_cbranch_execnz .LBB718_657
.LBB718_38:
	s_or_b64 exec, exec, s[46:47]
                                        ; implicit-def: $vgpr27_vgpr28
	s_and_saveexec_b64 s[46:47], s[14:15]
	s_cbranch_execnz .LBB718_658
.LBB718_39:
	s_or_b64 exec, exec, s[46:47]
	s_and_saveexec_b64 s[46:47], s[16:17]
                                        ; implicit-def: $vgpr29_vgpr30
	s_cbranch_execnz .LBB718_659
.LBB718_40:
	s_or_b64 exec, exec, s[46:47]
                                        ; implicit-def: $vgpr32_vgpr33
	s_and_saveexec_b64 s[46:47], s[18:19]
	s_cbranch_execnz .LBB718_660
.LBB718_41:
	s_or_b64 exec, exec, s[46:47]
	s_and_saveexec_b64 s[46:47], s[20:21]
                                        ; implicit-def: $vgpr38_vgpr39
	s_cbranch_execnz .LBB718_661
.LBB718_42:
	s_or_b64 exec, exec, s[46:47]
                                        ; implicit-def: $vgpr52_vgpr53
	s_and_saveexec_b64 s[46:47], s[22:23]
	s_cbranch_execnz .LBB718_662
.LBB718_43:
	s_or_b64 exec, exec, s[46:47]
	s_and_saveexec_b64 s[46:47], s[24:25]
                                        ; implicit-def: $vgpr66_vgpr67
	s_cbranch_execnz .LBB718_663
.LBB718_44:
	s_or_b64 exec, exec, s[46:47]
                                        ; implicit-def: $vgpr84_vgpr85
	s_and_saveexec_b64 s[46:47], s[26:27]
	s_cbranch_execnz .LBB718_664
.LBB718_45:
	s_or_b64 exec, exec, s[46:47]
	s_and_saveexec_b64 s[46:47], s[28:29]
                                        ; implicit-def: $vgpr100_vgpr101
	s_cbranch_execnz .LBB718_665
.LBB718_46:
	s_or_b64 exec, exec, s[46:47]
                                        ; implicit-def: $vgpr70_vgpr71
	s_and_saveexec_b64 s[46:47], s[40:41]
	s_cbranch_execnz .LBB718_666
.LBB718_47:
	s_or_b64 exec, exec, s[46:47]
	s_and_saveexec_b64 s[46:47], s[42:43]
                                        ; implicit-def: $vgpr102_vgpr103
	s_cbranch_execz .LBB718_49
.LBB718_48:
	flat_load_dwordx2 v[102:103], v[114:115] offset:120
.LBB718_49:
	s_or_b64 exec, exec, s[46:47]
	v_cmp_ne_u32_e64 s[46:47], 0, v12
	v_cmp_ne_u32_e64 s[56:57], 64, v11
	s_or_b64 s[46:47], s[46:47], s[56:57]
	v_bfe_u32 v8, v31, 10, 10
	v_bfe_u32 v114, v31, 20, 10
	; wave barrier
	s_and_saveexec_b64 s[56:57], s[46:47]
	s_xor_b64 s[94:95], exec, s[56:57]
	s_cbranch_execz .LBB718_333
; %bb.50:
	s_load_dwordx2 s[46:47], s[8:9], 0x0
	v_mov_b32_e32 v115, 0
	v_and_b32_e32 v31, 0x3ff, v31
	s_waitcnt lgkmcnt(0)
	s_cmp_lt_u32 s13, s47
	s_cselect_b32 s47, 14, 20
	s_add_u32 s56, s8, s47
	s_addc_u32 s57, s9, 0
	s_cmp_lt_u32 s12, s46
	s_cselect_b32 s46, 12, 18
	s_add_u32 s46, s8, s46
	s_addc_u32 s47, s9, 0
	global_load_ushort v117, v115, s[56:57]
	global_load_ushort v118, v115, s[46:47]
	v_lshlrev_b64 v[115:116], v11, -1
	v_lshlrev_b64 v[11:12], v12, -1
	s_movk_i32 s46, 0x1000
	v_xor_b32_e32 v164, v116, v12
	v_xor_b32_e32 v163, v115, v11
	s_waitcnt vmcnt(0)
	v_mad_u32_u24 v8, v114, v117, v8
	v_mul_lo_u32 v8, v8, v118
	v_add_lshl_u32 v165, v8, v31, 4
	v_cmp_gt_u32_e64 s[46:47], s46, v165
	s_and_saveexec_b64 s[56:57], s[46:47]
	s_cbranch_execz .LBB718_292
; %bb.51:
	v_and_b32_e32 v12, v10, v164
	v_and_b32_e32 v11, v9, v163
	v_and_b32_e32 v115, v16, v164
	v_and_b32_e32 v114, v15, v163
	v_cmp_gt_u64_e64 s[46:47], v[11:12], v[114:115]
	v_mov_b32_e32 v12, v10
	v_mov_b32_e32 v115, v5
	v_mov_b32_e32 v11, v9
	v_mov_b32_e32 v114, v4
	s_and_saveexec_b64 s[58:59], s[46:47]
; %bb.52:
	v_mov_b32_e32 v11, v15
	v_mov_b32_e32 v115, v1
	v_mov_b32_e32 v12, v16
	v_mov_b32_e32 v16, v10
	v_mov_b32_e32 v114, v0
	v_mov_b32_e32 v0, v4
	v_mov_b32_e32 v15, v9
	v_mov_b32_e32 v1, v5
; %bb.53:
	s_or_b64 exec, exec, s[58:59]
	v_and_b32_e32 v5, v37, v164
	v_and_b32_e32 v4, v36, v163
	v_and_b32_e32 v9, v35, v164
	v_and_b32_e32 v8, v34, v163
	v_cmp_gt_u64_e64 s[46:47], v[4:5], v[8:9]
	v_mov_b32_e32 v8, v36
	v_mov_b32_e32 v117, v22
	v_mov_b32_e32 v9, v37
	v_mov_b32_e32 v116, v21
	s_and_saveexec_b64 s[58:59], s[46:47]
; %bb.54:
	v_mov_b32_e32 v8, v34
	v_mov_b32_e32 v117, v20
	v_mov_b32_e32 v9, v35
	v_mov_b32_e32 v34, v36
	v_mov_b32_e32 v116, v19
	v_mov_b32_e32 v19, v21
	v_mov_b32_e32 v35, v37
	v_mov_b32_e32 v20, v22
; %bb.55:
	s_or_b64 exec, exec, s[58:59]
	;; [unrolled: 21-line block ×8, first 2 shown]
	v_and_b32_e32 v39, v35, v164
	v_and_b32_e32 v38, v34, v163
	;; [unrolled: 1-line block ×4, first 2 shown]
	v_cmp_gt_u64_e64 s[46:47], v[38:39], v[96:97]
	v_mov_b32_e32 v39, v35
	v_mov_b32_e32 v97, v20
	;; [unrolled: 1-line block ×4, first 2 shown]
	s_and_saveexec_b64 s[58:59], s[46:47]
	s_xor_b64 s[46:47], exec, s[58:59]
; %bb.68:
	v_mov_b32_e32 v39, v12
	v_mov_b32_e32 v96, v114
	v_mov_b32_e32 v38, v11
	v_mov_b32_e32 v11, v34
	v_mov_b32_e32 v97, v115
	v_mov_b32_e32 v115, v20
	v_mov_b32_e32 v12, v35
	v_mov_b32_e32 v114, v19
; %bb.69:
	s_or_b64 exec, exec, s[46:47]
	v_and_b32_e32 v20, v49, v164
	v_and_b32_e32 v19, v48, v163
	v_and_b32_e32 v35, v9, v164
	v_and_b32_e32 v34, v8, v163
	v_cmp_gt_u64_e64 s[46:47], v[19:20], v[34:35]
	v_mov_b32_e32 v19, v48
	v_mov_b32_e32 v99, v24
	v_mov_b32_e32 v20, v49
	v_mov_b32_e32 v98, v23
	s_and_saveexec_b64 s[58:59], s[46:47]
; %bb.70:
	v_mov_b32_e32 v20, v9
	v_mov_b32_e32 v98, v116
	v_mov_b32_e32 v19, v8
	v_mov_b32_e32 v8, v48
	v_mov_b32_e32 v99, v117
	v_mov_b32_e32 v117, v24
	v_mov_b32_e32 v9, v49
	v_mov_b32_e32 v116, v23
; %bb.71:
	s_or_b64 exec, exec, s[58:59]
	v_and_b32_e32 v24, v55, v164
	v_and_b32_e32 v23, v54, v163
	v_and_b32_e32 v35, v22, v164
	v_and_b32_e32 v34, v21, v163
	v_cmp_gt_u64_e64 s[46:47], v[23:24], v[34:35]
	v_mov_b32_e32 v23, v54
	v_mov_b32_e32 v101, v28
	v_mov_b32_e32 v24, v55
	v_mov_b32_e32 v100, v27
	s_and_saveexec_b64 s[58:59], s[46:47]
	;; [unrolled: 21-line block ×111, first 2 shown]
; %bb.290:
	v_mov_b32_e32 v113, v69
	v_mov_b32_e32 v101, v71
	;; [unrolled: 1-line block ×8, first 2 shown]
; %bb.291:
	s_or_b64 exec, exec, s[58:59]
.LBB718_292:
	s_or_b64 exec, exec, s[56:57]
	v_and_b32_e32 v8, 0xfffffc00, v165
	v_lshlrev_b32_e32 v12, 3, v8
	s_movk_i32 s46, 0x1000
	v_lshl_add_u32 v114, v161, 3, v12
	v_sub_u32_e64 v31, s46, v8 clamp
	v_add_u32_e32 v8, 0x8000, v114
	ds_write2_b64 v114, v[15:16], v[9:10] offset1:1
	ds_write2_b64 v8, v[0:1], v[4:5] offset1:1
	v_add_u32_e32 v8, 0x8010, v114
	ds_write2_b64 v114, v[34:35], v[36:37] offset0:2 offset1:3
	ds_write2_b64 v8, v[19:20], v[21:22] offset1:1
	v_add_u32_e32 v8, 0x8020, v114
	ds_write2_b64 v114, v[48:49], v[50:51] offset0:4 offset1:5
	;; [unrolled: 3-line block ×4, first 2 shown]
	ds_write2_b64 v8, v[32:33], v[38:39] offset1:1
	v_add_u32_e32 v8, 0x8050, v114
	v_or_b32_e32 v11, 16, v161
	ds_write2_b64 v114, v[86:87], v[98:99] offset0:10 offset1:11
	ds_write2_b64 v8, v[52:53], v[66:67] offset1:1
	v_add_u32_e32 v8, 0x8060, v114
	v_min_u32_e32 v115, v31, v11
	ds_write2_b64 v114, v[96:97], v[68:69] offset0:12 offset1:13
	ds_write2_b64 v8, v[84:85], v[100:101] offset1:1
	v_add_u32_e32 v8, 0x8070, v114
	v_add_u32_e32 v11, 16, v115
	ds_write2_b64 v114, v[112:113], v[17:18] offset0:14 offset1:15
	ds_write2_b64 v8, v[70:71], v[102:103] offset1:1
	v_and_b32_e32 v8, 0x7e0, v161
	v_min_u32_e32 v116, v31, v11
	v_and_b32_e32 v11, 16, v161
	v_min_u32_e32 v119, v31, v11
	v_sub_u32_e32 v118, v115, v8
	v_sub_u32_e32 v117, v116, v115
	v_sub_u32_e64 v117, v119, v117 clamp
	v_min_u32_e32 v118, v119, v118
	v_lshl_add_u32 v11, v8, 3, v12
	v_cmp_lt_u32_e64 s[46:47], v117, v118
	; wave barrier
	s_and_saveexec_b64 s[56:57], s[46:47]
	s_cbranch_execz .LBB718_296
; %bb.293:
	v_lshlrev_b32_e32 v128, 3, v115
	v_lshlrev_b32_e32 v129, 3, v119
	v_add3_u32 v128, v12, v128, v129
	s_mov_b64 s[58:59], 0
.LBB718_294:                            ; =>This Inner Loop Header: Depth=1
	v_add_u32_e32 v129, v118, v117
	v_lshrrev_b32_e32 v133, 1, v129
	v_not_b32_e32 v131, v133
	v_lshl_add_u32 v129, v133, 3, v11
	v_lshl_add_u32 v131, v131, 3, v128
	ds_read_b64 v[129:130], v129
	ds_read_b64 v[131:132], v131
	v_add_u32_e32 v134, 1, v133
	s_waitcnt lgkmcnt(1)
	v_and_b32_e32 v130, v130, v164
	v_and_b32_e32 v129, v129, v163
	s_waitcnt lgkmcnt(0)
	v_and_b32_e32 v132, v132, v164
	v_and_b32_e32 v131, v131, v163
	v_cmp_gt_u64_e64 s[46:47], v[131:132], v[129:130]
	v_cndmask_b32_e64 v118, v118, v133, s[46:47]
	v_cndmask_b32_e64 v117, v134, v117, s[46:47]
	v_cmp_ge_u32_e64 s[46:47], v117, v118
	s_or_b64 s[58:59], s[46:47], s[58:59]
	s_andn2_b64 exec, exec, s[58:59]
	s_cbranch_execnz .LBB718_294
; %bb.295:
	s_or_b64 exec, exec, s[58:59]
.LBB718_296:
	s_or_b64 exec, exec, s[56:57]
	v_add_u32_e32 v118, v117, v8
	v_add_u32_e32 v8, v115, v119
	v_sub_u32_e32 v119, v8, v117
	v_cmp_le_u32_e64 s[46:47], v118, v115
	v_cmp_le_u32_e64 s[56:57], v119, v116
	s_or_b64 s[46:47], s[46:47], s[56:57]
	s_and_saveexec_b64 s[30:31], s[46:47]
	s_cbranch_execz .LBB718_302
; %bb.297:
	v_cmp_lt_u32_e64 s[46:47], v118, v115
                                        ; implicit-def: $vgpr8_vgpr9
	s_and_saveexec_b64 s[56:57], s[46:47]
; %bb.298:
	v_lshl_add_u32 v0, v117, 3, v11
	ds_read_b64 v[8:9], v0
; %bb.299:
	s_or_b64 exec, exec, s[56:57]
	v_cmp_ge_u32_e64 s[56:57], v119, v116
	v_cmp_lt_u32_e64 s[58:59], v119, v116
                                        ; implicit-def: $vgpr10_vgpr11
	s_and_saveexec_b64 s[60:61], s[58:59]
; %bb.300:
	v_lshl_add_u32 v0, v119, 3, v12
	ds_read_b64 v[10:11], v0
; %bb.301:
	s_or_b64 exec, exec, s[60:61]
	s_waitcnt lgkmcnt(0)
	v_and_b32_e32 v1, v11, v164
	v_and_b32_e32 v0, v10, v163
	v_and_b32_e32 v5, v9, v164
	v_and_b32_e32 v4, v8, v163
	v_cmp_le_u64_e64 s[58:59], v[0:1], v[4:5]
	s_and_b64 s[46:47], s[46:47], s[58:59]
	s_or_b64 s[46:47], s[56:57], s[46:47]
	v_cndmask_b32_e64 v17, v119, v118, s[46:47]
	v_cndmask_b32_e64 v0, v116, v115, s[46:47]
	v_add_u32_e32 v4, 1, v17
	v_add_u32_e32 v0, -1, v0
	v_min_u32_e32 v0, v4, v0
	v_lshl_add_u32 v0, v0, 3, v12
	ds_read_b64 v[0:1], v0
	v_cndmask_b32_e64 v15, v4, v119, s[46:47]
	v_cndmask_b32_e64 v16, v118, v4, s[46:47]
	v_cmp_lt_u32_e64 s[60:61], v16, v115
	v_cmp_ge_u32_e64 s[56:57], v15, v116
	s_waitcnt lgkmcnt(0)
	v_cndmask_b32_e64 v34, v1, v11, s[46:47]
	v_cndmask_b32_e64 v35, v0, v10, s[46:47]
	v_cndmask_b32_e64 v36, v9, v1, s[46:47]
	v_cndmask_b32_e64 v37, v8, v0, s[46:47]
	v_and_b32_e32 v1, v34, v164
	v_and_b32_e32 v0, v35, v163
	v_and_b32_e32 v5, v36, v164
	v_and_b32_e32 v4, v37, v163
	v_cmp_le_u64_e64 s[58:59], v[0:1], v[4:5]
	s_and_b64 s[58:59], s[60:61], s[58:59]
	s_or_b64 s[58:59], s[56:57], s[58:59]
	v_cndmask_b32_e64 v18, v15, v16, s[58:59]
	v_cndmask_b32_e64 v0, v116, v115, s[58:59]
	v_add_u32_e32 v4, 1, v18
	v_add_u32_e32 v0, -1, v0
	v_min_u32_e32 v0, v4, v0
	v_lshl_add_u32 v0, v0, 3, v12
	ds_read_b64 v[0:1], v0
	v_cndmask_b32_e64 v15, v4, v15, s[58:59]
	v_cndmask_b32_e64 v16, v16, v4, s[58:59]
	v_cmp_lt_u32_e64 s[62:63], v16, v115
	v_cmp_ge_u32_e64 s[56:57], v15, v116
	s_waitcnt lgkmcnt(0)
	v_cndmask_b32_e64 v48, v1, v34, s[58:59]
	v_cndmask_b32_e64 v49, v0, v35, s[58:59]
	v_cndmask_b32_e64 v50, v36, v1, s[58:59]
	v_cndmask_b32_e64 v51, v37, v0, s[58:59]
	;; [unrolled: 23-line block ×4, first 2 shown]
	v_and_b32_e32 v1, v64, v164
	v_and_b32_e32 v0, v65, v163
	;; [unrolled: 1-line block ×4, first 2 shown]
	v_cmp_le_u64_e64 s[72:73], v[0:1], v[4:5]
	v_lshl_add_u32 v4, v18, 3, v12
	s_and_b64 s[72:73], s[74:75], s[72:73]
	s_or_b64 s[60:61], s[60:61], s[72:73]
	v_cndmask_b32_e64 v23, v20, v22, s[60:61]
	v_cndmask_b32_e64 v0, v116, v115, s[60:61]
	v_add_u32_e32 v24, 1, v23
	v_add_u32_e32 v0, -1, v0
	v_min_u32_e32 v0, v24, v0
	v_lshl_add_u32 v0, v0, 3, v12
	ds_read_b64 v[15:16], v0
	v_lshl_add_u32 v0, v17, 3, v12
	v_cndmask_b32_e64 v25, v24, v20, s[60:61]
	v_cndmask_b32_e64 v24, v22, v24, s[60:61]
	v_cmp_lt_u32_e64 s[76:77], v24, v115
	s_waitcnt lgkmcnt(0)
	v_cndmask_b32_e64 v68, v16, v64, s[60:61]
	v_cndmask_b32_e64 v69, v15, v65, s[60:61]
	;; [unrolled: 1-line block ×4, first 2 shown]
	v_and_b32_e32 v16, v68, v164
	v_and_b32_e32 v15, v69, v163
	;; [unrolled: 1-line block ×4, first 2 shown]
	v_cmp_le_u64_e64 s[74:75], v[15:16], v[17:18]
	v_cmp_ge_u32_e64 s[72:73], v25, v116
	s_and_b64 s[74:75], s[76:77], s[74:75]
	s_or_b64 s[72:73], s[72:73], s[74:75]
	v_cndmask_b32_e64 v26, v25, v24, s[72:73]
	v_cndmask_b32_e64 v15, v116, v115, s[72:73]
	v_add_u32_e32 v17, 1, v26
	v_add_u32_e32 v15, -1, v15
	v_min_u32_e32 v15, v17, v15
	v_lshl_add_u32 v15, v15, 3, v12
	ds_read_b64 v[0:1], v0 offset:32768
	ds_read_b64 v[4:5], v4 offset:32768
	ds_read_b64 v[15:16], v15
	v_lshl_add_u32 v18, v19, 3, v12
	ds_read_b64 v[19:20], v18 offset:32768
	v_lshl_add_u32 v18, v21, 3, v12
	ds_read_b64 v[21:22], v18 offset:32768
	s_waitcnt lgkmcnt(2)
	v_cndmask_b32_e64 v80, v16, v68, s[72:73]
	v_cndmask_b32_e64 v81, v15, v69, s[72:73]
	;; [unrolled: 1-line block ×6, first 2 shown]
	v_and_b32_e32 v16, v80, v164
	v_and_b32_e32 v15, v81, v163
	;; [unrolled: 1-line block ×4, first 2 shown]
	v_cmp_le_u64_e64 s[76:77], v[15:16], v[17:18]
	v_cmp_lt_u32_e64 s[78:79], v28, v115
	v_cmp_ge_u32_e64 s[74:75], v27, v116
	s_and_b64 s[76:77], s[78:79], s[76:77]
	s_or_b64 s[74:75], s[74:75], s[76:77]
	v_cndmask_b32_e64 v29, v27, v28, s[74:75]
	v_cndmask_b32_e64 v15, v116, v115, s[74:75]
	v_add_u32_e32 v17, 1, v29
	v_add_u32_e32 v15, -1, v15
	v_min_u32_e32 v15, v17, v15
	v_lshl_add_u32 v15, v15, 3, v12
	ds_read_b64 v[15:16], v15
	v_lshl_add_u32 v18, v23, 3, v12
	ds_read_b64 v[23:24], v18 offset:32768
	v_lshl_add_u32 v18, v26, 3, v12
	ds_read_b64 v[25:26], v18 offset:32768
	s_waitcnt lgkmcnt(2)
	v_cndmask_b32_e64 v84, v16, v80, s[74:75]
	v_cndmask_b32_e64 v85, v15, v81, s[74:75]
	;; [unrolled: 1-line block ×6, first 2 shown]
	v_and_b32_e32 v16, v84, v164
	v_and_b32_e32 v15, v85, v163
	v_and_b32_e32 v18, v86, v164
	v_and_b32_e32 v17, v87, v163
	v_cmp_le_u64_e64 s[78:79], v[15:16], v[17:18]
	v_cmp_lt_u32_e64 s[90:91], v33, v115
	v_cmp_ge_u32_e64 s[76:77], v32, v116
	s_and_b64 s[78:79], s[90:91], s[78:79]
	s_or_b64 s[76:77], s[76:77], s[78:79]
	v_cndmask_b32_e64 v17, v32, v33, s[76:77]
	v_cndmask_b32_e64 v15, v116, v115, s[76:77]
	v_add_u32_e32 v18, 1, v17
	v_add_u32_e32 v15, -1, v15
	v_min_u32_e32 v15, v18, v15
	v_lshl_add_u32 v15, v15, 3, v12
	ds_read_b64 v[15:16], v15
	v_lshl_add_u32 v27, v29, 3, v12
	v_lshl_add_u32 v17, v17, 3, v12
	ds_read_b64 v[27:28], v27 offset:32768
	ds_read_b64 v[29:30], v17 offset:32768
	s_waitcnt lgkmcnt(2)
	v_cndmask_b32_e64 v96, v16, v84, s[76:77]
	v_cndmask_b32_e64 v97, v15, v85, s[76:77]
	;; [unrolled: 1-line block ×6, first 2 shown]
	v_and_b32_e32 v16, v96, v164
	v_and_b32_e32 v15, v97, v163
	;; [unrolled: 1-line block ×4, first 2 shown]
	v_cmp_le_u64_e64 s[90:91], v[15:16], v[17:18]
	v_cmp_lt_u32_e64 s[92:93], v39, v115
	v_cmp_ge_u32_e64 s[78:79], v38, v116
	s_and_b64 s[90:91], s[92:93], s[90:91]
	s_or_b64 s[78:79], s[78:79], s[90:91]
	v_cndmask_b32_e64 v15, v38, v39, s[78:79]
	v_cndmask_b32_e64 v16, v116, v115, s[78:79]
	v_lshl_add_u32 v17, v15, 3, v12
	v_add_u32_e32 v100, 1, v15
	v_add_u32_e32 v15, -1, v16
	v_min_u32_e32 v15, v100, v15
	v_lshl_add_u32 v15, v15, 3, v12
	ds_read_b64 v[32:33], v17 offset:32768
	ds_read_b64 v[17:18], v15
	v_cndmask_b32_e64 v16, v11, v9, s[46:47]
	v_cndmask_b32_e64 v15, v10, v8, s[46:47]
	;; [unrolled: 1-line block ×4, first 2 shown]
	s_waitcnt lgkmcnt(0)
	v_cndmask_b32_e64 v8, v18, v96, s[78:79]
	v_cndmask_b32_e64 v11, v17, v97, s[78:79]
	;; [unrolled: 1-line block ×4, first 2 shown]
	v_and_b32_e32 v18, v8, v164
	v_and_b32_e32 v17, v11, v163
	;; [unrolled: 1-line block ×4, first 2 shown]
	v_cndmask_b32_e64 v103, v100, v38, s[78:79]
	v_cndmask_b32_e64 v100, v39, v100, s[78:79]
	v_cmp_le_u64_e64 s[58:59], v[17:18], v[34:35]
	v_cmp_lt_u32_e64 s[90:91], v100, v115
	v_cmp_ge_u32_e64 s[46:47], v103, v116
	s_and_b64 s[58:59], s[90:91], s[58:59]
	s_or_b64 s[46:47], s[46:47], s[58:59]
	v_cndmask_b32_e64 v17, v103, v100, s[46:47]
	v_cndmask_b32_e64 v18, v116, v115, s[46:47]
	v_lshl_add_u32 v34, v17, 3, v12
	v_add_u32_e32 v112, 1, v17
	v_add_u32_e32 v17, -1, v18
	v_min_u32_e32 v17, v112, v17
	v_lshl_add_u32 v17, v17, 3, v12
	ds_read_b64 v[38:39], v34 offset:32768
	ds_read_b64 v[17:18], v17
	v_cndmask_b32_e64 v35, v48, v50, s[56:57]
	v_cndmask_b32_e64 v34, v49, v51, s[56:57]
	;; [unrolled: 1-line block ×4, first 2 shown]
	s_waitcnt lgkmcnt(0)
	v_cndmask_b32_e64 v113, v18, v8, s[46:47]
	v_cndmask_b32_e64 v117, v17, v11, s[46:47]
	;; [unrolled: 1-line block ×4, first 2 shown]
	v_and_b32_e32 v18, v113, v164
	v_and_b32_e32 v17, v117, v163
	;; [unrolled: 1-line block ×4, first 2 shown]
	v_cmp_le_u64_e64 s[58:59], v[17:18], v[48:49]
	v_cndmask_b32_e64 v37, v52, v54, s[62:63]
	v_cndmask_b32_e64 v54, v112, v103, s[46:47]
	v_cmp_lt_u32_e64 s[62:63], v55, v115
	v_cmp_ge_u32_e64 s[56:57], v54, v116
	s_and_b64 s[58:59], s[62:63], s[58:59]
	s_or_b64 s[56:57], s[56:57], s[58:59]
	v_cndmask_b32_e64 v17, v54, v55, s[56:57]
	v_cndmask_b32_e64 v18, v116, v115, s[56:57]
	v_lshl_add_u32 v48, v17, 3, v12
	v_add_u32_e32 v100, 1, v17
	v_add_u32_e32 v17, -1, v18
	v_min_u32_e32 v17, v100, v17
	v_lshl_add_u32 v17, v17, 3, v12
	ds_read_b64 v[52:53], v48 offset:32768
	ds_read_b64 v[17:18], v17
	v_cndmask_b32_e64 v51, v68, v70, s[72:73]
	v_cndmask_b32_e64 v50, v69, v71, s[72:73]
	;; [unrolled: 1-line block ×4, first 2 shown]
	s_waitcnt lgkmcnt(0)
	v_cndmask_b32_e64 v70, v18, v113, s[56:57]
	v_cndmask_b32_e64 v71, v17, v117, s[56:57]
	;; [unrolled: 1-line block ×4, first 2 shown]
	v_and_b32_e32 v18, v70, v164
	v_and_b32_e32 v17, v71, v163
	;; [unrolled: 1-line block ×4, first 2 shown]
	v_cndmask_b32_e64 v49, v64, v66, s[60:61]
	v_cndmask_b32_e64 v48, v65, v67, s[60:61]
	v_cmp_le_u64_e64 s[60:61], v[17:18], v[54:55]
	v_cmp_lt_u32_e64 s[62:63], v69, v115
	v_cmp_ge_u32_e64 s[58:59], v68, v116
	s_and_b64 s[60:61], s[62:63], s[60:61]
	s_or_b64 s[58:59], s[58:59], s[60:61]
	v_cndmask_b32_e64 v17, v68, v69, s[58:59]
	v_cndmask_b32_e64 v18, v116, v115, s[58:59]
	v_lshl_add_u32 v54, v17, 3, v12
	v_add_u32_e32 v100, 1, v17
	v_add_u32_e32 v17, -1, v18
	v_min_u32_e32 v17, v100, v17
	v_lshl_add_u32 v17, v17, 3, v12
	ds_read_b64 v[66:67], v54 offset:32768
	ds_read_b64 v[17:18], v17
	v_cndmask_b32_e64 v65, v84, v86, s[76:77]
	v_cndmask_b32_e64 v64, v85, v87, s[76:77]
	;; [unrolled: 1-line block ×4, first 2 shown]
	s_waitcnt lgkmcnt(0)
	v_cndmask_b32_e64 v128, v18, v70, s[58:59]
	v_cndmask_b32_e64 v129, v17, v71, s[58:59]
	;; [unrolled: 1-line block ×4, first 2 shown]
	v_and_b32_e32 v18, v128, v164
	v_and_b32_e32 v17, v129, v163
	;; [unrolled: 1-line block ×4, first 2 shown]
	v_cmp_le_u64_e64 s[62:63], v[17:18], v[68:69]
	v_cmp_lt_u32_e64 s[72:73], v87, v115
	v_cmp_ge_u32_e64 s[60:61], v86, v116
	s_and_b64 s[62:63], s[72:73], s[62:63]
	s_or_b64 s[60:61], s[60:61], s[62:63]
	v_cndmask_b32_e64 v17, v86, v87, s[60:61]
	v_cndmask_b32_e64 v18, v116, v115, s[60:61]
	v_lshl_add_u32 v68, v17, 3, v12
	v_add_u32_e32 v69, 1, v17
	v_add_u32_e32 v17, -1, v18
	v_min_u32_e32 v17, v69, v17
	v_lshl_add_u32 v17, v17, 3, v12
	ds_read_b64 v[84:85], v68 offset:32768
	ds_read_b64 v[17:18], v17
	v_cndmask_b32_e64 v55, v80, v82, s[74:75]
	v_cndmask_b32_e64 v54, v81, v83, s[74:75]
	;; [unrolled: 1-line block ×4, first 2 shown]
	s_waitcnt lgkmcnt(0)
	v_cndmask_b32_e64 v8, v18, v128, s[60:61]
	v_cndmask_b32_e64 v11, v17, v129, s[60:61]
	v_cndmask_b32_e64 v102, v130, v18, s[60:61]
	v_cndmask_b32_e64 v132, v131, v17, s[60:61]
	v_cndmask_b32_e64 v81, v96, v98, s[78:79]
	v_cndmask_b32_e64 v80, v97, v99, s[78:79]
	v_cndmask_b32_e64 v96, v69, v86, s[60:61]
	v_cndmask_b32_e64 v97, v87, v69, s[60:61]
	v_and_b32_e32 v18, v8, v164
	v_and_b32_e32 v17, v11, v163
	;; [unrolled: 1-line block ×4, first 2 shown]
	v_cmp_le_u64_e64 s[62:63], v[17:18], v[68:69]
	v_cmp_lt_u32_e64 s[72:73], v97, v115
	v_cmp_ge_u32_e64 s[46:47], v96, v116
	s_and_b64 s[62:63], s[72:73], s[62:63]
	s_or_b64 s[46:47], s[46:47], s[62:63]
	v_cndmask_b32_e64 v17, v96, v97, s[46:47]
	v_cndmask_b32_e64 v18, v116, v115, s[46:47]
	v_lshl_add_u32 v68, v17, 3, v12
	v_add_u32_e32 v69, 1, v17
	v_add_u32_e32 v17, -1, v18
	v_min_u32_e32 v17, v69, v17
	v_lshl_add_u32 v17, v17, 3, v12
	ds_read_b64 v[100:101], v68 offset:32768
	ds_read_b64 v[17:18], v17
	v_cndmask_b32_e64 v87, v113, v118, s[56:57]
	v_cndmask_b32_e64 v86, v117, v119, s[56:57]
	;; [unrolled: 1-line block ×4, first 2 shown]
	s_waitcnt lgkmcnt(0)
	v_cndmask_b32_e64 v112, v18, v8, s[46:47]
	v_cndmask_b32_e64 v117, v17, v11, s[46:47]
	;; [unrolled: 1-line block ×6, first 2 shown]
	v_and_b32_e32 v18, v112, v164
	v_and_b32_e32 v17, v117, v163
	;; [unrolled: 1-line block ×4, first 2 shown]
	v_cmp_le_u64_e64 s[58:59], v[17:18], v[68:69]
	v_cmp_lt_u32_e64 s[62:63], v119, v115
	v_cmp_ge_u32_e64 s[56:57], v103, v116
	s_and_b64 s[58:59], s[62:63], s[58:59]
	s_or_b64 s[56:57], s[56:57], s[58:59]
	v_cndmask_b32_e64 v17, v103, v119, s[56:57]
	v_cndmask_b32_e64 v18, v116, v115, s[56:57]
	v_lshl_add_u32 v68, v17, 3, v12
	v_add_u32_e32 v133, 1, v17
	v_add_u32_e32 v17, -1, v18
	v_min_u32_e32 v17, v133, v17
	v_lshl_add_u32 v17, v17, 3, v12
	ds_read_b64 v[70:71], v68 offset:32768
	ds_read_b64 v[17:18], v17
	v_cndmask_b32_e64 v97, v128, v130, s[60:61]
	v_cndmask_b32_e64 v96, v129, v131, s[60:61]
	;; [unrolled: 1-line block ×4, first 2 shown]
	s_waitcnt lgkmcnt(0)
	v_cndmask_b32_e64 v8, v18, v112, s[56:57]
	v_cndmask_b32_e64 v11, v17, v117, s[56:57]
	;; [unrolled: 1-line block ×5, first 2 shown]
	v_and_b32_e32 v18, v8, v164
	v_and_b32_e32 v17, v11, v163
	;; [unrolled: 1-line block ×4, first 2 shown]
	v_cndmask_b32_e64 v119, v119, v133, s[56:57]
	v_cmp_le_u64_e64 s[58:59], v[17:18], v[102:103]
	v_cmp_lt_u32_e64 s[60:61], v119, v115
	v_cmp_ge_u32_e64 s[46:47], v130, v116
	s_and_b64 s[58:59], s[60:61], s[58:59]
	s_or_b64 s[46:47], s[46:47], s[58:59]
	v_cndmask_b32_e64 v17, v130, v119, s[46:47]
	v_lshl_add_u32 v17, v17, 3, v12
	ds_read_b64 v[102:103], v17 offset:32768
	v_cndmask_b32_e64 v113, v112, v113, s[56:57]
	v_cndmask_b32_e64 v112, v117, v118, s[56:57]
	;; [unrolled: 1-line block ×4, first 2 shown]
.LBB718_302:
	s_or_b64 exec, exec, s[30:31]
	v_add_u32_e32 v8, 0x8000, v114
	; wave barrier
	ds_write2_b64 v114, v[15:16], v[9:10] offset1:1
	ds_write2_b64 v8, v[0:1], v[4:5] offset1:1
	v_add_u32_e32 v8, 0x8010, v114
	ds_write2_b64 v114, v[34:35], v[36:37] offset0:2 offset1:3
	ds_write2_b64 v8, v[19:20], v[21:22] offset1:1
	v_add_u32_e32 v8, 0x8020, v114
	ds_write2_b64 v114, v[48:49], v[50:51] offset0:4 offset1:5
	;; [unrolled: 3-line block ×7, first 2 shown]
	s_waitcnt lgkmcnt(14)
	ds_write2_b64 v8, v[70:71], v[102:103] offset1:1
	v_and_b32_e32 v8, 0x7c0, v161
	v_or_b32_e32 v11, 32, v8
	v_min_u32_e32 v115, v31, v11
	v_add_u32_e32 v11, 32, v115
	v_min_u32_e32 v116, v31, v11
	v_and_b32_e32 v11, 48, v161
	v_min_u32_e32 v119, v31, v11
	v_sub_u32_e32 v118, v115, v8
	v_sub_u32_e32 v117, v116, v115
	v_sub_u32_e64 v117, v119, v117 clamp
	v_min_u32_e32 v118, v119, v118
	v_lshl_add_u32 v11, v8, 3, v12
	v_cmp_lt_u32_e64 s[46:47], v117, v118
	; wave barrier
	s_and_saveexec_b64 s[56:57], s[46:47]
	s_cbranch_execz .LBB718_306
; %bb.303:
	v_lshlrev_b32_e32 v128, 3, v115
	v_lshlrev_b32_e32 v129, 3, v119
	v_add3_u32 v128, v12, v128, v129
	s_mov_b64 s[58:59], 0
.LBB718_304:                            ; =>This Inner Loop Header: Depth=1
	v_add_u32_e32 v129, v118, v117
	v_lshrrev_b32_e32 v133, 1, v129
	v_not_b32_e32 v131, v133
	v_lshl_add_u32 v129, v133, 3, v11
	v_lshl_add_u32 v131, v131, 3, v128
	ds_read_b64 v[129:130], v129
	ds_read_b64 v[131:132], v131
	v_add_u32_e32 v134, 1, v133
	s_waitcnt lgkmcnt(1)
	v_and_b32_e32 v130, v130, v164
	v_and_b32_e32 v129, v129, v163
	s_waitcnt lgkmcnt(0)
	v_and_b32_e32 v132, v132, v164
	v_and_b32_e32 v131, v131, v163
	v_cmp_gt_u64_e64 s[46:47], v[131:132], v[129:130]
	v_cndmask_b32_e64 v118, v118, v133, s[46:47]
	v_cndmask_b32_e64 v117, v134, v117, s[46:47]
	v_cmp_ge_u32_e64 s[46:47], v117, v118
	s_or_b64 s[58:59], s[46:47], s[58:59]
	s_andn2_b64 exec, exec, s[58:59]
	s_cbranch_execnz .LBB718_304
; %bb.305:
	s_or_b64 exec, exec, s[58:59]
.LBB718_306:
	s_or_b64 exec, exec, s[56:57]
	v_add_u32_e32 v118, v117, v8
	v_add_u32_e32 v8, v115, v119
	v_sub_u32_e32 v119, v8, v117
	v_cmp_le_u32_e64 s[46:47], v118, v115
	v_cmp_le_u32_e64 s[56:57], v119, v116
	s_or_b64 s[46:47], s[46:47], s[56:57]
	s_and_saveexec_b64 s[30:31], s[46:47]
	s_cbranch_execz .LBB718_312
; %bb.307:
	v_cmp_lt_u32_e64 s[46:47], v118, v115
                                        ; implicit-def: $vgpr8_vgpr9
	s_and_saveexec_b64 s[56:57], s[46:47]
; %bb.308:
	v_lshl_add_u32 v0, v117, 3, v11
	ds_read_b64 v[8:9], v0
; %bb.309:
	s_or_b64 exec, exec, s[56:57]
	v_cmp_ge_u32_e64 s[56:57], v119, v116
	v_cmp_lt_u32_e64 s[58:59], v119, v116
                                        ; implicit-def: $vgpr10_vgpr11
	s_and_saveexec_b64 s[60:61], s[58:59]
; %bb.310:
	v_lshl_add_u32 v0, v119, 3, v12
	ds_read_b64 v[10:11], v0
; %bb.311:
	s_or_b64 exec, exec, s[60:61]
	s_waitcnt lgkmcnt(0)
	v_and_b32_e32 v1, v11, v164
	v_and_b32_e32 v0, v10, v163
	v_and_b32_e32 v5, v9, v164
	v_and_b32_e32 v4, v8, v163
	v_cmp_le_u64_e64 s[58:59], v[0:1], v[4:5]
	s_and_b64 s[46:47], s[46:47], s[58:59]
	s_or_b64 s[46:47], s[56:57], s[46:47]
	v_cndmask_b32_e64 v17, v119, v118, s[46:47]
	v_cndmask_b32_e64 v0, v116, v115, s[46:47]
	v_add_u32_e32 v4, 1, v17
	v_add_u32_e32 v0, -1, v0
	v_min_u32_e32 v0, v4, v0
	v_lshl_add_u32 v0, v0, 3, v12
	ds_read_b64 v[0:1], v0
	v_cndmask_b32_e64 v15, v4, v119, s[46:47]
	v_cndmask_b32_e64 v16, v118, v4, s[46:47]
	v_cmp_lt_u32_e64 s[60:61], v16, v115
	v_cmp_ge_u32_e64 s[56:57], v15, v116
	s_waitcnt lgkmcnt(0)
	v_cndmask_b32_e64 v34, v1, v11, s[46:47]
	v_cndmask_b32_e64 v35, v0, v10, s[46:47]
	v_cndmask_b32_e64 v36, v9, v1, s[46:47]
	v_cndmask_b32_e64 v37, v8, v0, s[46:47]
	v_and_b32_e32 v1, v34, v164
	v_and_b32_e32 v0, v35, v163
	v_and_b32_e32 v5, v36, v164
	v_and_b32_e32 v4, v37, v163
	v_cmp_le_u64_e64 s[58:59], v[0:1], v[4:5]
	s_and_b64 s[58:59], s[60:61], s[58:59]
	s_or_b64 s[58:59], s[56:57], s[58:59]
	v_cndmask_b32_e64 v18, v15, v16, s[58:59]
	v_cndmask_b32_e64 v0, v116, v115, s[58:59]
	v_add_u32_e32 v4, 1, v18
	v_add_u32_e32 v0, -1, v0
	v_min_u32_e32 v0, v4, v0
	v_lshl_add_u32 v0, v0, 3, v12
	ds_read_b64 v[0:1], v0
	v_cndmask_b32_e64 v15, v4, v15, s[58:59]
	v_cndmask_b32_e64 v16, v16, v4, s[58:59]
	v_cmp_lt_u32_e64 s[62:63], v16, v115
	v_cmp_ge_u32_e64 s[56:57], v15, v116
	s_waitcnt lgkmcnt(0)
	v_cndmask_b32_e64 v48, v1, v34, s[58:59]
	v_cndmask_b32_e64 v49, v0, v35, s[58:59]
	v_cndmask_b32_e64 v50, v36, v1, s[58:59]
	v_cndmask_b32_e64 v51, v37, v0, s[58:59]
	;; [unrolled: 23-line block ×4, first 2 shown]
	v_and_b32_e32 v1, v64, v164
	v_and_b32_e32 v0, v65, v163
	;; [unrolled: 1-line block ×4, first 2 shown]
	v_cmp_le_u64_e64 s[72:73], v[0:1], v[4:5]
	v_lshl_add_u32 v4, v18, 3, v12
	s_and_b64 s[72:73], s[74:75], s[72:73]
	s_or_b64 s[60:61], s[60:61], s[72:73]
	v_cndmask_b32_e64 v23, v20, v22, s[60:61]
	v_cndmask_b32_e64 v0, v116, v115, s[60:61]
	v_add_u32_e32 v24, 1, v23
	v_add_u32_e32 v0, -1, v0
	v_min_u32_e32 v0, v24, v0
	v_lshl_add_u32 v0, v0, 3, v12
	ds_read_b64 v[15:16], v0
	v_lshl_add_u32 v0, v17, 3, v12
	v_cndmask_b32_e64 v25, v24, v20, s[60:61]
	v_cndmask_b32_e64 v24, v22, v24, s[60:61]
	v_cmp_lt_u32_e64 s[76:77], v24, v115
	s_waitcnt lgkmcnt(0)
	v_cndmask_b32_e64 v68, v16, v64, s[60:61]
	v_cndmask_b32_e64 v69, v15, v65, s[60:61]
	v_cndmask_b32_e64 v70, v66, v16, s[60:61]
	v_cndmask_b32_e64 v71, v67, v15, s[60:61]
	v_and_b32_e32 v16, v68, v164
	v_and_b32_e32 v15, v69, v163
	;; [unrolled: 1-line block ×4, first 2 shown]
	v_cmp_le_u64_e64 s[74:75], v[15:16], v[17:18]
	v_cmp_ge_u32_e64 s[72:73], v25, v116
	s_and_b64 s[74:75], s[76:77], s[74:75]
	s_or_b64 s[72:73], s[72:73], s[74:75]
	v_cndmask_b32_e64 v26, v25, v24, s[72:73]
	v_cndmask_b32_e64 v15, v116, v115, s[72:73]
	v_add_u32_e32 v17, 1, v26
	v_add_u32_e32 v15, -1, v15
	v_min_u32_e32 v15, v17, v15
	v_lshl_add_u32 v15, v15, 3, v12
	ds_read_b64 v[0:1], v0 offset:32768
	ds_read_b64 v[4:5], v4 offset:32768
	ds_read_b64 v[15:16], v15
	v_lshl_add_u32 v18, v19, 3, v12
	ds_read_b64 v[19:20], v18 offset:32768
	v_lshl_add_u32 v18, v21, 3, v12
	ds_read_b64 v[21:22], v18 offset:32768
	s_waitcnt lgkmcnt(2)
	v_cndmask_b32_e64 v80, v16, v68, s[72:73]
	v_cndmask_b32_e64 v81, v15, v69, s[72:73]
	;; [unrolled: 1-line block ×6, first 2 shown]
	v_and_b32_e32 v16, v80, v164
	v_and_b32_e32 v15, v81, v163
	;; [unrolled: 1-line block ×4, first 2 shown]
	v_cmp_le_u64_e64 s[76:77], v[15:16], v[17:18]
	v_cmp_lt_u32_e64 s[78:79], v28, v115
	v_cmp_ge_u32_e64 s[74:75], v27, v116
	s_and_b64 s[76:77], s[78:79], s[76:77]
	s_or_b64 s[74:75], s[74:75], s[76:77]
	v_cndmask_b32_e64 v29, v27, v28, s[74:75]
	v_cndmask_b32_e64 v15, v116, v115, s[74:75]
	v_add_u32_e32 v17, 1, v29
	v_add_u32_e32 v15, -1, v15
	v_min_u32_e32 v15, v17, v15
	v_lshl_add_u32 v15, v15, 3, v12
	ds_read_b64 v[15:16], v15
	v_lshl_add_u32 v18, v23, 3, v12
	ds_read_b64 v[23:24], v18 offset:32768
	v_lshl_add_u32 v18, v26, 3, v12
	ds_read_b64 v[25:26], v18 offset:32768
	s_waitcnt lgkmcnt(2)
	v_cndmask_b32_e64 v84, v16, v80, s[74:75]
	v_cndmask_b32_e64 v85, v15, v81, s[74:75]
	;; [unrolled: 1-line block ×6, first 2 shown]
	v_and_b32_e32 v16, v84, v164
	v_and_b32_e32 v15, v85, v163
	;; [unrolled: 1-line block ×4, first 2 shown]
	v_cmp_le_u64_e64 s[78:79], v[15:16], v[17:18]
	v_cmp_lt_u32_e64 s[90:91], v33, v115
	v_cmp_ge_u32_e64 s[76:77], v32, v116
	s_and_b64 s[78:79], s[90:91], s[78:79]
	s_or_b64 s[76:77], s[76:77], s[78:79]
	v_cndmask_b32_e64 v17, v32, v33, s[76:77]
	v_cndmask_b32_e64 v15, v116, v115, s[76:77]
	v_add_u32_e32 v18, 1, v17
	v_add_u32_e32 v15, -1, v15
	v_min_u32_e32 v15, v18, v15
	v_lshl_add_u32 v15, v15, 3, v12
	ds_read_b64 v[15:16], v15
	v_lshl_add_u32 v27, v29, 3, v12
	v_lshl_add_u32 v17, v17, 3, v12
	ds_read_b64 v[27:28], v27 offset:32768
	ds_read_b64 v[29:30], v17 offset:32768
	s_waitcnt lgkmcnt(2)
	v_cndmask_b32_e64 v96, v16, v84, s[76:77]
	v_cndmask_b32_e64 v97, v15, v85, s[76:77]
	;; [unrolled: 1-line block ×6, first 2 shown]
	v_and_b32_e32 v16, v96, v164
	v_and_b32_e32 v15, v97, v163
	;; [unrolled: 1-line block ×4, first 2 shown]
	v_cmp_le_u64_e64 s[90:91], v[15:16], v[17:18]
	v_cmp_lt_u32_e64 s[92:93], v39, v115
	v_cmp_ge_u32_e64 s[78:79], v38, v116
	s_and_b64 s[90:91], s[92:93], s[90:91]
	s_or_b64 s[78:79], s[78:79], s[90:91]
	v_cndmask_b32_e64 v15, v38, v39, s[78:79]
	v_cndmask_b32_e64 v16, v116, v115, s[78:79]
	v_lshl_add_u32 v17, v15, 3, v12
	v_add_u32_e32 v100, 1, v15
	v_add_u32_e32 v15, -1, v16
	v_min_u32_e32 v15, v100, v15
	v_lshl_add_u32 v15, v15, 3, v12
	ds_read_b64 v[32:33], v17 offset:32768
	ds_read_b64 v[17:18], v15
	v_cndmask_b32_e64 v16, v11, v9, s[46:47]
	v_cndmask_b32_e64 v15, v10, v8, s[46:47]
	;; [unrolled: 1-line block ×4, first 2 shown]
	s_waitcnt lgkmcnt(0)
	v_cndmask_b32_e64 v8, v18, v96, s[78:79]
	v_cndmask_b32_e64 v11, v17, v97, s[78:79]
	;; [unrolled: 1-line block ×4, first 2 shown]
	v_and_b32_e32 v18, v8, v164
	v_and_b32_e32 v17, v11, v163
	;; [unrolled: 1-line block ×4, first 2 shown]
	v_cndmask_b32_e64 v103, v100, v38, s[78:79]
	v_cndmask_b32_e64 v100, v39, v100, s[78:79]
	v_cmp_le_u64_e64 s[58:59], v[17:18], v[34:35]
	v_cmp_lt_u32_e64 s[90:91], v100, v115
	v_cmp_ge_u32_e64 s[46:47], v103, v116
	s_and_b64 s[58:59], s[90:91], s[58:59]
	s_or_b64 s[46:47], s[46:47], s[58:59]
	v_cndmask_b32_e64 v17, v103, v100, s[46:47]
	v_cndmask_b32_e64 v18, v116, v115, s[46:47]
	v_lshl_add_u32 v34, v17, 3, v12
	v_add_u32_e32 v112, 1, v17
	v_add_u32_e32 v17, -1, v18
	v_min_u32_e32 v17, v112, v17
	v_lshl_add_u32 v17, v17, 3, v12
	ds_read_b64 v[38:39], v34 offset:32768
	ds_read_b64 v[17:18], v17
	v_cndmask_b32_e64 v35, v48, v50, s[56:57]
	v_cndmask_b32_e64 v34, v49, v51, s[56:57]
	;; [unrolled: 1-line block ×4, first 2 shown]
	s_waitcnt lgkmcnt(0)
	v_cndmask_b32_e64 v113, v18, v8, s[46:47]
	v_cndmask_b32_e64 v117, v17, v11, s[46:47]
	;; [unrolled: 1-line block ×4, first 2 shown]
	v_and_b32_e32 v18, v113, v164
	v_and_b32_e32 v17, v117, v163
	;; [unrolled: 1-line block ×4, first 2 shown]
	v_cmp_le_u64_e64 s[58:59], v[17:18], v[48:49]
	v_cndmask_b32_e64 v37, v52, v54, s[62:63]
	v_cndmask_b32_e64 v54, v112, v103, s[46:47]
	v_cmp_lt_u32_e64 s[62:63], v55, v115
	v_cmp_ge_u32_e64 s[56:57], v54, v116
	s_and_b64 s[58:59], s[62:63], s[58:59]
	s_or_b64 s[56:57], s[56:57], s[58:59]
	v_cndmask_b32_e64 v17, v54, v55, s[56:57]
	v_cndmask_b32_e64 v18, v116, v115, s[56:57]
	v_lshl_add_u32 v48, v17, 3, v12
	v_add_u32_e32 v100, 1, v17
	v_add_u32_e32 v17, -1, v18
	v_min_u32_e32 v17, v100, v17
	v_lshl_add_u32 v17, v17, 3, v12
	ds_read_b64 v[52:53], v48 offset:32768
	ds_read_b64 v[17:18], v17
	v_cndmask_b32_e64 v51, v68, v70, s[72:73]
	v_cndmask_b32_e64 v50, v69, v71, s[72:73]
	;; [unrolled: 1-line block ×4, first 2 shown]
	s_waitcnt lgkmcnt(0)
	v_cndmask_b32_e64 v70, v18, v113, s[56:57]
	v_cndmask_b32_e64 v71, v17, v117, s[56:57]
	v_cndmask_b32_e64 v103, v118, v18, s[56:57]
	v_cndmask_b32_e64 v112, v119, v17, s[56:57]
	v_and_b32_e32 v18, v70, v164
	v_and_b32_e32 v17, v71, v163
	;; [unrolled: 1-line block ×4, first 2 shown]
	v_cndmask_b32_e64 v49, v64, v66, s[60:61]
	v_cndmask_b32_e64 v48, v65, v67, s[60:61]
	v_cmp_le_u64_e64 s[60:61], v[17:18], v[54:55]
	v_cmp_lt_u32_e64 s[62:63], v69, v115
	v_cmp_ge_u32_e64 s[58:59], v68, v116
	s_and_b64 s[60:61], s[62:63], s[60:61]
	s_or_b64 s[58:59], s[58:59], s[60:61]
	v_cndmask_b32_e64 v17, v68, v69, s[58:59]
	v_cndmask_b32_e64 v18, v116, v115, s[58:59]
	v_lshl_add_u32 v54, v17, 3, v12
	v_add_u32_e32 v100, 1, v17
	v_add_u32_e32 v17, -1, v18
	v_min_u32_e32 v17, v100, v17
	v_lshl_add_u32 v17, v17, 3, v12
	ds_read_b64 v[66:67], v54 offset:32768
	ds_read_b64 v[17:18], v17
	v_cndmask_b32_e64 v65, v84, v86, s[76:77]
	v_cndmask_b32_e64 v64, v85, v87, s[76:77]
	;; [unrolled: 1-line block ×4, first 2 shown]
	s_waitcnt lgkmcnt(0)
	v_cndmask_b32_e64 v128, v18, v70, s[58:59]
	v_cndmask_b32_e64 v129, v17, v71, s[58:59]
	v_cndmask_b32_e64 v130, v103, v18, s[58:59]
	v_cndmask_b32_e64 v131, v112, v17, s[58:59]
	v_and_b32_e32 v18, v128, v164
	v_and_b32_e32 v17, v129, v163
	;; [unrolled: 1-line block ×4, first 2 shown]
	v_cmp_le_u64_e64 s[62:63], v[17:18], v[68:69]
	v_cmp_lt_u32_e64 s[72:73], v87, v115
	v_cmp_ge_u32_e64 s[60:61], v86, v116
	s_and_b64 s[62:63], s[72:73], s[62:63]
	s_or_b64 s[60:61], s[60:61], s[62:63]
	v_cndmask_b32_e64 v17, v86, v87, s[60:61]
	v_cndmask_b32_e64 v18, v116, v115, s[60:61]
	v_lshl_add_u32 v68, v17, 3, v12
	v_add_u32_e32 v69, 1, v17
	v_add_u32_e32 v17, -1, v18
	v_min_u32_e32 v17, v69, v17
	v_lshl_add_u32 v17, v17, 3, v12
	ds_read_b64 v[84:85], v68 offset:32768
	ds_read_b64 v[17:18], v17
	v_cndmask_b32_e64 v55, v80, v82, s[74:75]
	v_cndmask_b32_e64 v54, v81, v83, s[74:75]
	;; [unrolled: 1-line block ×4, first 2 shown]
	s_waitcnt lgkmcnt(0)
	v_cndmask_b32_e64 v8, v18, v128, s[60:61]
	v_cndmask_b32_e64 v11, v17, v129, s[60:61]
	;; [unrolled: 1-line block ×8, first 2 shown]
	v_and_b32_e32 v18, v8, v164
	v_and_b32_e32 v17, v11, v163
	;; [unrolled: 1-line block ×4, first 2 shown]
	v_cmp_le_u64_e64 s[62:63], v[17:18], v[68:69]
	v_cmp_lt_u32_e64 s[72:73], v97, v115
	v_cmp_ge_u32_e64 s[46:47], v96, v116
	s_and_b64 s[62:63], s[72:73], s[62:63]
	s_or_b64 s[46:47], s[46:47], s[62:63]
	v_cndmask_b32_e64 v17, v96, v97, s[46:47]
	v_cndmask_b32_e64 v18, v116, v115, s[46:47]
	v_lshl_add_u32 v68, v17, 3, v12
	v_add_u32_e32 v69, 1, v17
	v_add_u32_e32 v17, -1, v18
	v_min_u32_e32 v17, v69, v17
	v_lshl_add_u32 v17, v17, 3, v12
	ds_read_b64 v[100:101], v68 offset:32768
	ds_read_b64 v[17:18], v17
	v_cndmask_b32_e64 v87, v113, v118, s[56:57]
	v_cndmask_b32_e64 v86, v117, v119, s[56:57]
	;; [unrolled: 1-line block ×4, first 2 shown]
	s_waitcnt lgkmcnt(0)
	v_cndmask_b32_e64 v112, v18, v8, s[46:47]
	v_cndmask_b32_e64 v117, v17, v11, s[46:47]
	;; [unrolled: 1-line block ×6, first 2 shown]
	v_and_b32_e32 v18, v112, v164
	v_and_b32_e32 v17, v117, v163
	;; [unrolled: 1-line block ×4, first 2 shown]
	v_cmp_le_u64_e64 s[58:59], v[17:18], v[68:69]
	v_cmp_lt_u32_e64 s[62:63], v119, v115
	v_cmp_ge_u32_e64 s[56:57], v103, v116
	s_and_b64 s[58:59], s[62:63], s[58:59]
	s_or_b64 s[56:57], s[56:57], s[58:59]
	v_cndmask_b32_e64 v17, v103, v119, s[56:57]
	v_cndmask_b32_e64 v18, v116, v115, s[56:57]
	v_lshl_add_u32 v68, v17, 3, v12
	v_add_u32_e32 v133, 1, v17
	v_add_u32_e32 v17, -1, v18
	v_min_u32_e32 v17, v133, v17
	v_lshl_add_u32 v17, v17, 3, v12
	ds_read_b64 v[70:71], v68 offset:32768
	ds_read_b64 v[17:18], v17
	v_cndmask_b32_e64 v97, v128, v130, s[60:61]
	v_cndmask_b32_e64 v96, v129, v131, s[60:61]
	;; [unrolled: 1-line block ×4, first 2 shown]
	s_waitcnt lgkmcnt(0)
	v_cndmask_b32_e64 v8, v18, v112, s[56:57]
	v_cndmask_b32_e64 v11, v17, v117, s[56:57]
	;; [unrolled: 1-line block ×5, first 2 shown]
	v_and_b32_e32 v18, v8, v164
	v_and_b32_e32 v17, v11, v163
	v_and_b32_e32 v103, v128, v164
	v_and_b32_e32 v102, v129, v163
	v_cndmask_b32_e64 v119, v119, v133, s[56:57]
	v_cmp_le_u64_e64 s[58:59], v[17:18], v[102:103]
	v_cmp_lt_u32_e64 s[60:61], v119, v115
	v_cmp_ge_u32_e64 s[46:47], v130, v116
	s_and_b64 s[58:59], s[60:61], s[58:59]
	s_or_b64 s[46:47], s[46:47], s[58:59]
	v_cndmask_b32_e64 v17, v130, v119, s[46:47]
	v_lshl_add_u32 v17, v17, 3, v12
	ds_read_b64 v[102:103], v17 offset:32768
	v_cndmask_b32_e64 v113, v112, v113, s[56:57]
	v_cndmask_b32_e64 v112, v117, v118, s[56:57]
	;; [unrolled: 1-line block ×4, first 2 shown]
.LBB718_312:
	s_or_b64 exec, exec, s[30:31]
	v_add_u32_e32 v8, 0x8000, v114
	; wave barrier
	ds_write2_b64 v114, v[15:16], v[9:10] offset1:1
	ds_write2_b64 v8, v[0:1], v[4:5] offset1:1
	v_add_u32_e32 v8, 0x8010, v114
	ds_write2_b64 v114, v[34:35], v[36:37] offset0:2 offset1:3
	ds_write2_b64 v8, v[19:20], v[21:22] offset1:1
	v_add_u32_e32 v8, 0x8020, v114
	ds_write2_b64 v114, v[48:49], v[50:51] offset0:4 offset1:5
	;; [unrolled: 3-line block ×7, first 2 shown]
	s_waitcnt lgkmcnt(14)
	ds_write2_b64 v8, v[70:71], v[102:103] offset1:1
	v_and_b32_e32 v8, 0x780, v161
	v_or_b32_e32 v11, 64, v8
	v_min_u32_e32 v115, v31, v11
	v_add_u32_e32 v11, 64, v115
	v_min_u32_e32 v116, v31, v11
	v_and_b32_e32 v11, 0x70, v161
	v_min_u32_e32 v119, v31, v11
	v_sub_u32_e32 v118, v115, v8
	v_sub_u32_e32 v117, v116, v115
	v_sub_u32_e64 v117, v119, v117 clamp
	v_min_u32_e32 v118, v119, v118
	v_lshl_add_u32 v11, v8, 3, v12
	v_cmp_lt_u32_e64 s[46:47], v117, v118
	; wave barrier
	s_and_saveexec_b64 s[56:57], s[46:47]
	s_cbranch_execz .LBB718_316
; %bb.313:
	v_lshlrev_b32_e32 v128, 3, v115
	v_lshlrev_b32_e32 v129, 3, v119
	v_add3_u32 v128, v12, v128, v129
	s_mov_b64 s[58:59], 0
.LBB718_314:                            ; =>This Inner Loop Header: Depth=1
	v_add_u32_e32 v129, v118, v117
	v_lshrrev_b32_e32 v133, 1, v129
	v_not_b32_e32 v131, v133
	v_lshl_add_u32 v129, v133, 3, v11
	v_lshl_add_u32 v131, v131, 3, v128
	ds_read_b64 v[129:130], v129
	ds_read_b64 v[131:132], v131
	v_add_u32_e32 v134, 1, v133
	s_waitcnt lgkmcnt(1)
	v_and_b32_e32 v130, v130, v164
	v_and_b32_e32 v129, v129, v163
	s_waitcnt lgkmcnt(0)
	v_and_b32_e32 v132, v132, v164
	v_and_b32_e32 v131, v131, v163
	v_cmp_gt_u64_e64 s[46:47], v[131:132], v[129:130]
	v_cndmask_b32_e64 v118, v118, v133, s[46:47]
	v_cndmask_b32_e64 v117, v134, v117, s[46:47]
	v_cmp_ge_u32_e64 s[46:47], v117, v118
	s_or_b64 s[58:59], s[46:47], s[58:59]
	s_andn2_b64 exec, exec, s[58:59]
	s_cbranch_execnz .LBB718_314
; %bb.315:
	s_or_b64 exec, exec, s[58:59]
.LBB718_316:
	s_or_b64 exec, exec, s[56:57]
	v_add_u32_e32 v118, v117, v8
	v_add_u32_e32 v8, v115, v119
	v_sub_u32_e32 v119, v8, v117
	v_cmp_le_u32_e64 s[46:47], v118, v115
	v_cmp_le_u32_e64 s[56:57], v119, v116
	s_or_b64 s[46:47], s[46:47], s[56:57]
	s_and_saveexec_b64 s[30:31], s[46:47]
	s_cbranch_execz .LBB718_322
; %bb.317:
	v_cmp_lt_u32_e64 s[46:47], v118, v115
                                        ; implicit-def: $vgpr8_vgpr9
	s_and_saveexec_b64 s[56:57], s[46:47]
; %bb.318:
	v_lshl_add_u32 v0, v117, 3, v11
	ds_read_b64 v[8:9], v0
; %bb.319:
	s_or_b64 exec, exec, s[56:57]
	v_cmp_ge_u32_e64 s[56:57], v119, v116
	v_cmp_lt_u32_e64 s[58:59], v119, v116
                                        ; implicit-def: $vgpr10_vgpr11
	s_and_saveexec_b64 s[60:61], s[58:59]
; %bb.320:
	v_lshl_add_u32 v0, v119, 3, v12
	ds_read_b64 v[10:11], v0
; %bb.321:
	s_or_b64 exec, exec, s[60:61]
	s_waitcnt lgkmcnt(0)
	v_and_b32_e32 v1, v11, v164
	v_and_b32_e32 v0, v10, v163
	v_and_b32_e32 v5, v9, v164
	v_and_b32_e32 v4, v8, v163
	v_cmp_le_u64_e64 s[58:59], v[0:1], v[4:5]
	s_and_b64 s[46:47], s[46:47], s[58:59]
	s_or_b64 s[46:47], s[56:57], s[46:47]
	v_cndmask_b32_e64 v17, v119, v118, s[46:47]
	v_cndmask_b32_e64 v0, v116, v115, s[46:47]
	v_add_u32_e32 v4, 1, v17
	v_add_u32_e32 v0, -1, v0
	v_min_u32_e32 v0, v4, v0
	v_lshl_add_u32 v0, v0, 3, v12
	ds_read_b64 v[0:1], v0
	v_cndmask_b32_e64 v15, v4, v119, s[46:47]
	v_cndmask_b32_e64 v16, v118, v4, s[46:47]
	v_cmp_lt_u32_e64 s[60:61], v16, v115
	v_cmp_ge_u32_e64 s[56:57], v15, v116
	s_waitcnt lgkmcnt(0)
	v_cndmask_b32_e64 v34, v1, v11, s[46:47]
	v_cndmask_b32_e64 v35, v0, v10, s[46:47]
	v_cndmask_b32_e64 v36, v9, v1, s[46:47]
	v_cndmask_b32_e64 v37, v8, v0, s[46:47]
	v_and_b32_e32 v1, v34, v164
	v_and_b32_e32 v0, v35, v163
	v_and_b32_e32 v5, v36, v164
	v_and_b32_e32 v4, v37, v163
	v_cmp_le_u64_e64 s[58:59], v[0:1], v[4:5]
	s_and_b64 s[58:59], s[60:61], s[58:59]
	s_or_b64 s[58:59], s[56:57], s[58:59]
	v_cndmask_b32_e64 v18, v15, v16, s[58:59]
	v_cndmask_b32_e64 v0, v116, v115, s[58:59]
	v_add_u32_e32 v4, 1, v18
	v_add_u32_e32 v0, -1, v0
	v_min_u32_e32 v0, v4, v0
	v_lshl_add_u32 v0, v0, 3, v12
	ds_read_b64 v[0:1], v0
	v_cndmask_b32_e64 v15, v4, v15, s[58:59]
	v_cndmask_b32_e64 v16, v16, v4, s[58:59]
	v_cmp_lt_u32_e64 s[62:63], v16, v115
	v_cmp_ge_u32_e64 s[56:57], v15, v116
	s_waitcnt lgkmcnt(0)
	v_cndmask_b32_e64 v48, v1, v34, s[58:59]
	v_cndmask_b32_e64 v49, v0, v35, s[58:59]
	v_cndmask_b32_e64 v50, v36, v1, s[58:59]
	v_cndmask_b32_e64 v51, v37, v0, s[58:59]
	;; [unrolled: 23-line block ×4, first 2 shown]
	v_and_b32_e32 v1, v64, v164
	v_and_b32_e32 v0, v65, v163
	v_and_b32_e32 v5, v66, v164
	v_and_b32_e32 v4, v67, v163
	v_cmp_le_u64_e64 s[72:73], v[0:1], v[4:5]
	v_lshl_add_u32 v4, v18, 3, v12
	s_and_b64 s[72:73], s[74:75], s[72:73]
	s_or_b64 s[60:61], s[60:61], s[72:73]
	v_cndmask_b32_e64 v23, v20, v22, s[60:61]
	v_cndmask_b32_e64 v0, v116, v115, s[60:61]
	v_add_u32_e32 v24, 1, v23
	v_add_u32_e32 v0, -1, v0
	v_min_u32_e32 v0, v24, v0
	v_lshl_add_u32 v0, v0, 3, v12
	ds_read_b64 v[15:16], v0
	v_lshl_add_u32 v0, v17, 3, v12
	v_cndmask_b32_e64 v25, v24, v20, s[60:61]
	v_cndmask_b32_e64 v24, v22, v24, s[60:61]
	v_cmp_lt_u32_e64 s[76:77], v24, v115
	s_waitcnt lgkmcnt(0)
	v_cndmask_b32_e64 v68, v16, v64, s[60:61]
	v_cndmask_b32_e64 v69, v15, v65, s[60:61]
	;; [unrolled: 1-line block ×4, first 2 shown]
	v_and_b32_e32 v16, v68, v164
	v_and_b32_e32 v15, v69, v163
	;; [unrolled: 1-line block ×4, first 2 shown]
	v_cmp_le_u64_e64 s[74:75], v[15:16], v[17:18]
	v_cmp_ge_u32_e64 s[72:73], v25, v116
	s_and_b64 s[74:75], s[76:77], s[74:75]
	s_or_b64 s[72:73], s[72:73], s[74:75]
	v_cndmask_b32_e64 v26, v25, v24, s[72:73]
	v_cndmask_b32_e64 v15, v116, v115, s[72:73]
	v_add_u32_e32 v17, 1, v26
	v_add_u32_e32 v15, -1, v15
	v_min_u32_e32 v15, v17, v15
	v_lshl_add_u32 v15, v15, 3, v12
	ds_read_b64 v[0:1], v0 offset:32768
	ds_read_b64 v[4:5], v4 offset:32768
	ds_read_b64 v[15:16], v15
	v_lshl_add_u32 v18, v19, 3, v12
	ds_read_b64 v[19:20], v18 offset:32768
	v_lshl_add_u32 v18, v21, 3, v12
	ds_read_b64 v[21:22], v18 offset:32768
	s_waitcnt lgkmcnt(2)
	v_cndmask_b32_e64 v80, v16, v68, s[72:73]
	v_cndmask_b32_e64 v81, v15, v69, s[72:73]
	;; [unrolled: 1-line block ×6, first 2 shown]
	v_and_b32_e32 v16, v80, v164
	v_and_b32_e32 v15, v81, v163
	;; [unrolled: 1-line block ×4, first 2 shown]
	v_cmp_le_u64_e64 s[76:77], v[15:16], v[17:18]
	v_cmp_lt_u32_e64 s[78:79], v28, v115
	v_cmp_ge_u32_e64 s[74:75], v27, v116
	s_and_b64 s[76:77], s[78:79], s[76:77]
	s_or_b64 s[74:75], s[74:75], s[76:77]
	v_cndmask_b32_e64 v29, v27, v28, s[74:75]
	v_cndmask_b32_e64 v15, v116, v115, s[74:75]
	v_add_u32_e32 v17, 1, v29
	v_add_u32_e32 v15, -1, v15
	v_min_u32_e32 v15, v17, v15
	v_lshl_add_u32 v15, v15, 3, v12
	ds_read_b64 v[15:16], v15
	v_lshl_add_u32 v18, v23, 3, v12
	ds_read_b64 v[23:24], v18 offset:32768
	v_lshl_add_u32 v18, v26, 3, v12
	ds_read_b64 v[25:26], v18 offset:32768
	s_waitcnt lgkmcnt(2)
	v_cndmask_b32_e64 v84, v16, v80, s[74:75]
	v_cndmask_b32_e64 v85, v15, v81, s[74:75]
	;; [unrolled: 1-line block ×6, first 2 shown]
	v_and_b32_e32 v16, v84, v164
	v_and_b32_e32 v15, v85, v163
	;; [unrolled: 1-line block ×4, first 2 shown]
	v_cmp_le_u64_e64 s[78:79], v[15:16], v[17:18]
	v_cmp_lt_u32_e64 s[90:91], v33, v115
	v_cmp_ge_u32_e64 s[76:77], v32, v116
	s_and_b64 s[78:79], s[90:91], s[78:79]
	s_or_b64 s[76:77], s[76:77], s[78:79]
	v_cndmask_b32_e64 v17, v32, v33, s[76:77]
	v_cndmask_b32_e64 v15, v116, v115, s[76:77]
	v_add_u32_e32 v18, 1, v17
	v_add_u32_e32 v15, -1, v15
	v_min_u32_e32 v15, v18, v15
	v_lshl_add_u32 v15, v15, 3, v12
	ds_read_b64 v[15:16], v15
	v_lshl_add_u32 v27, v29, 3, v12
	v_lshl_add_u32 v17, v17, 3, v12
	ds_read_b64 v[27:28], v27 offset:32768
	ds_read_b64 v[29:30], v17 offset:32768
	s_waitcnt lgkmcnt(2)
	v_cndmask_b32_e64 v96, v16, v84, s[76:77]
	v_cndmask_b32_e64 v97, v15, v85, s[76:77]
	;; [unrolled: 1-line block ×6, first 2 shown]
	v_and_b32_e32 v16, v96, v164
	v_and_b32_e32 v15, v97, v163
	;; [unrolled: 1-line block ×4, first 2 shown]
	v_cmp_le_u64_e64 s[90:91], v[15:16], v[17:18]
	v_cmp_lt_u32_e64 s[92:93], v39, v115
	v_cmp_ge_u32_e64 s[78:79], v38, v116
	s_and_b64 s[90:91], s[92:93], s[90:91]
	s_or_b64 s[78:79], s[78:79], s[90:91]
	v_cndmask_b32_e64 v15, v38, v39, s[78:79]
	v_cndmask_b32_e64 v16, v116, v115, s[78:79]
	v_lshl_add_u32 v17, v15, 3, v12
	v_add_u32_e32 v100, 1, v15
	v_add_u32_e32 v15, -1, v16
	v_min_u32_e32 v15, v100, v15
	v_lshl_add_u32 v15, v15, 3, v12
	ds_read_b64 v[32:33], v17 offset:32768
	ds_read_b64 v[17:18], v15
	v_cndmask_b32_e64 v16, v11, v9, s[46:47]
	v_cndmask_b32_e64 v15, v10, v8, s[46:47]
	v_cndmask_b32_e64 v10, v34, v36, s[58:59]
	v_cndmask_b32_e64 v9, v35, v37, s[58:59]
	s_waitcnt lgkmcnt(0)
	v_cndmask_b32_e64 v8, v18, v96, s[78:79]
	v_cndmask_b32_e64 v11, v17, v97, s[78:79]
	v_cndmask_b32_e64 v101, v98, v18, s[78:79]
	v_cndmask_b32_e64 v102, v99, v17, s[78:79]
	v_and_b32_e32 v18, v8, v164
	v_and_b32_e32 v17, v11, v163
	;; [unrolled: 1-line block ×4, first 2 shown]
	v_cndmask_b32_e64 v103, v100, v38, s[78:79]
	v_cndmask_b32_e64 v100, v39, v100, s[78:79]
	v_cmp_le_u64_e64 s[58:59], v[17:18], v[34:35]
	v_cmp_lt_u32_e64 s[90:91], v100, v115
	v_cmp_ge_u32_e64 s[46:47], v103, v116
	s_and_b64 s[58:59], s[90:91], s[58:59]
	s_or_b64 s[46:47], s[46:47], s[58:59]
	v_cndmask_b32_e64 v17, v103, v100, s[46:47]
	v_cndmask_b32_e64 v18, v116, v115, s[46:47]
	v_lshl_add_u32 v34, v17, 3, v12
	v_add_u32_e32 v112, 1, v17
	v_add_u32_e32 v17, -1, v18
	v_min_u32_e32 v17, v112, v17
	v_lshl_add_u32 v17, v17, 3, v12
	ds_read_b64 v[38:39], v34 offset:32768
	ds_read_b64 v[17:18], v17
	v_cndmask_b32_e64 v35, v48, v50, s[56:57]
	v_cndmask_b32_e64 v34, v49, v51, s[56:57]
	;; [unrolled: 1-line block ×4, first 2 shown]
	s_waitcnt lgkmcnt(0)
	v_cndmask_b32_e64 v113, v18, v8, s[46:47]
	v_cndmask_b32_e64 v117, v17, v11, s[46:47]
	;; [unrolled: 1-line block ×4, first 2 shown]
	v_and_b32_e32 v18, v113, v164
	v_and_b32_e32 v17, v117, v163
	;; [unrolled: 1-line block ×4, first 2 shown]
	v_cmp_le_u64_e64 s[58:59], v[17:18], v[48:49]
	v_cndmask_b32_e64 v37, v52, v54, s[62:63]
	v_cndmask_b32_e64 v54, v112, v103, s[46:47]
	v_cmp_lt_u32_e64 s[62:63], v55, v115
	v_cmp_ge_u32_e64 s[56:57], v54, v116
	s_and_b64 s[58:59], s[62:63], s[58:59]
	s_or_b64 s[56:57], s[56:57], s[58:59]
	v_cndmask_b32_e64 v17, v54, v55, s[56:57]
	v_cndmask_b32_e64 v18, v116, v115, s[56:57]
	v_lshl_add_u32 v48, v17, 3, v12
	v_add_u32_e32 v100, 1, v17
	v_add_u32_e32 v17, -1, v18
	v_min_u32_e32 v17, v100, v17
	v_lshl_add_u32 v17, v17, 3, v12
	ds_read_b64 v[52:53], v48 offset:32768
	ds_read_b64 v[17:18], v17
	v_cndmask_b32_e64 v51, v68, v70, s[72:73]
	v_cndmask_b32_e64 v50, v69, v71, s[72:73]
	;; [unrolled: 1-line block ×4, first 2 shown]
	s_waitcnt lgkmcnt(0)
	v_cndmask_b32_e64 v70, v18, v113, s[56:57]
	v_cndmask_b32_e64 v71, v17, v117, s[56:57]
	;; [unrolled: 1-line block ×4, first 2 shown]
	v_and_b32_e32 v18, v70, v164
	v_and_b32_e32 v17, v71, v163
	;; [unrolled: 1-line block ×4, first 2 shown]
	v_cndmask_b32_e64 v49, v64, v66, s[60:61]
	v_cndmask_b32_e64 v48, v65, v67, s[60:61]
	v_cmp_le_u64_e64 s[60:61], v[17:18], v[54:55]
	v_cmp_lt_u32_e64 s[62:63], v69, v115
	v_cmp_ge_u32_e64 s[58:59], v68, v116
	s_and_b64 s[60:61], s[62:63], s[60:61]
	s_or_b64 s[58:59], s[58:59], s[60:61]
	v_cndmask_b32_e64 v17, v68, v69, s[58:59]
	v_cndmask_b32_e64 v18, v116, v115, s[58:59]
	v_lshl_add_u32 v54, v17, 3, v12
	v_add_u32_e32 v100, 1, v17
	v_add_u32_e32 v17, -1, v18
	v_min_u32_e32 v17, v100, v17
	v_lshl_add_u32 v17, v17, 3, v12
	ds_read_b64 v[66:67], v54 offset:32768
	ds_read_b64 v[17:18], v17
	v_cndmask_b32_e64 v65, v84, v86, s[76:77]
	v_cndmask_b32_e64 v64, v85, v87, s[76:77]
	;; [unrolled: 1-line block ×4, first 2 shown]
	s_waitcnt lgkmcnt(0)
	v_cndmask_b32_e64 v128, v18, v70, s[58:59]
	v_cndmask_b32_e64 v129, v17, v71, s[58:59]
	;; [unrolled: 1-line block ×4, first 2 shown]
	v_and_b32_e32 v18, v128, v164
	v_and_b32_e32 v17, v129, v163
	;; [unrolled: 1-line block ×4, first 2 shown]
	v_cmp_le_u64_e64 s[62:63], v[17:18], v[68:69]
	v_cmp_lt_u32_e64 s[72:73], v87, v115
	v_cmp_ge_u32_e64 s[60:61], v86, v116
	s_and_b64 s[62:63], s[72:73], s[62:63]
	s_or_b64 s[60:61], s[60:61], s[62:63]
	v_cndmask_b32_e64 v17, v86, v87, s[60:61]
	v_cndmask_b32_e64 v18, v116, v115, s[60:61]
	v_lshl_add_u32 v68, v17, 3, v12
	v_add_u32_e32 v69, 1, v17
	v_add_u32_e32 v17, -1, v18
	v_min_u32_e32 v17, v69, v17
	v_lshl_add_u32 v17, v17, 3, v12
	ds_read_b64 v[84:85], v68 offset:32768
	ds_read_b64 v[17:18], v17
	v_cndmask_b32_e64 v55, v80, v82, s[74:75]
	v_cndmask_b32_e64 v54, v81, v83, s[74:75]
	;; [unrolled: 1-line block ×4, first 2 shown]
	s_waitcnt lgkmcnt(0)
	v_cndmask_b32_e64 v8, v18, v128, s[60:61]
	v_cndmask_b32_e64 v11, v17, v129, s[60:61]
	;; [unrolled: 1-line block ×8, first 2 shown]
	v_and_b32_e32 v18, v8, v164
	v_and_b32_e32 v17, v11, v163
	;; [unrolled: 1-line block ×4, first 2 shown]
	v_cmp_le_u64_e64 s[62:63], v[17:18], v[68:69]
	v_cmp_lt_u32_e64 s[72:73], v97, v115
	v_cmp_ge_u32_e64 s[46:47], v96, v116
	s_and_b64 s[62:63], s[72:73], s[62:63]
	s_or_b64 s[46:47], s[46:47], s[62:63]
	v_cndmask_b32_e64 v17, v96, v97, s[46:47]
	v_cndmask_b32_e64 v18, v116, v115, s[46:47]
	v_lshl_add_u32 v68, v17, 3, v12
	v_add_u32_e32 v69, 1, v17
	v_add_u32_e32 v17, -1, v18
	v_min_u32_e32 v17, v69, v17
	v_lshl_add_u32 v17, v17, 3, v12
	ds_read_b64 v[100:101], v68 offset:32768
	ds_read_b64 v[17:18], v17
	v_cndmask_b32_e64 v87, v113, v118, s[56:57]
	v_cndmask_b32_e64 v86, v117, v119, s[56:57]
	;; [unrolled: 1-line block ×4, first 2 shown]
	s_waitcnt lgkmcnt(0)
	v_cndmask_b32_e64 v112, v18, v8, s[46:47]
	v_cndmask_b32_e64 v117, v17, v11, s[46:47]
	;; [unrolled: 1-line block ×6, first 2 shown]
	v_and_b32_e32 v18, v112, v164
	v_and_b32_e32 v17, v117, v163
	;; [unrolled: 1-line block ×4, first 2 shown]
	v_cmp_le_u64_e64 s[58:59], v[17:18], v[68:69]
	v_cmp_lt_u32_e64 s[62:63], v119, v115
	v_cmp_ge_u32_e64 s[56:57], v103, v116
	s_and_b64 s[58:59], s[62:63], s[58:59]
	s_or_b64 s[56:57], s[56:57], s[58:59]
	v_cndmask_b32_e64 v17, v103, v119, s[56:57]
	v_cndmask_b32_e64 v18, v116, v115, s[56:57]
	v_lshl_add_u32 v68, v17, 3, v12
	v_add_u32_e32 v133, 1, v17
	v_add_u32_e32 v17, -1, v18
	v_min_u32_e32 v17, v133, v17
	v_lshl_add_u32 v17, v17, 3, v12
	ds_read_b64 v[70:71], v68 offset:32768
	ds_read_b64 v[17:18], v17
	v_cndmask_b32_e64 v97, v128, v130, s[60:61]
	v_cndmask_b32_e64 v96, v129, v131, s[60:61]
	;; [unrolled: 1-line block ×4, first 2 shown]
	s_waitcnt lgkmcnt(0)
	v_cndmask_b32_e64 v8, v18, v112, s[56:57]
	v_cndmask_b32_e64 v11, v17, v117, s[56:57]
	v_cndmask_b32_e64 v128, v113, v18, s[56:57]
	v_cndmask_b32_e64 v129, v118, v17, s[56:57]
	v_cndmask_b32_e64 v130, v133, v103, s[56:57]
	v_and_b32_e32 v18, v8, v164
	v_and_b32_e32 v17, v11, v163
	;; [unrolled: 1-line block ×4, first 2 shown]
	v_cndmask_b32_e64 v119, v119, v133, s[56:57]
	v_cmp_le_u64_e64 s[58:59], v[17:18], v[102:103]
	v_cmp_lt_u32_e64 s[60:61], v119, v115
	v_cmp_ge_u32_e64 s[46:47], v130, v116
	s_and_b64 s[58:59], s[60:61], s[58:59]
	s_or_b64 s[46:47], s[46:47], s[58:59]
	v_cndmask_b32_e64 v17, v130, v119, s[46:47]
	v_lshl_add_u32 v17, v17, 3, v12
	ds_read_b64 v[102:103], v17 offset:32768
	v_cndmask_b32_e64 v113, v112, v113, s[56:57]
	v_cndmask_b32_e64 v112, v117, v118, s[56:57]
	v_cndmask_b32_e64 v18, v8, v128, s[46:47]
	v_cndmask_b32_e64 v17, v11, v129, s[46:47]
.LBB718_322:
	s_or_b64 exec, exec, s[30:31]
	v_add_u32_e32 v8, 0x8000, v114
	; wave barrier
	ds_write2_b64 v114, v[15:16], v[9:10] offset1:1
	ds_write2_b64 v8, v[0:1], v[4:5] offset1:1
	v_add_u32_e32 v8, 0x8010, v114
	ds_write2_b64 v114, v[34:35], v[36:37] offset0:2 offset1:3
	ds_write2_b64 v8, v[19:20], v[21:22] offset1:1
	v_add_u32_e32 v8, 0x8020, v114
	ds_write2_b64 v114, v[48:49], v[50:51] offset0:4 offset1:5
	;; [unrolled: 3-line block ×7, first 2 shown]
	s_waitcnt lgkmcnt(14)
	ds_write2_b64 v8, v[70:71], v[102:103] offset1:1
	v_and_b32_e32 v8, 0x700, v161
	v_or_b32_e32 v11, 0x80, v8
	v_min_u32_e32 v114, v31, v11
	v_add_u32_e32 v11, 0x80, v114
	v_min_u32_e32 v115, v31, v11
	v_min_u32_e32 v117, v31, v162
	v_sub_u32_e32 v116, v114, v8
	v_sub_u32_e32 v31, v115, v114
	v_sub_u32_e64 v31, v117, v31 clamp
	v_min_u32_e32 v116, v117, v116
	v_lshl_add_u32 v11, v8, 3, v12
	v_cmp_lt_u32_e64 s[46:47], v31, v116
	; wave barrier
	s_and_saveexec_b64 s[56:57], s[46:47]
	s_cbranch_execz .LBB718_326
; %bb.323:
	v_lshlrev_b32_e32 v118, 3, v114
	v_lshlrev_b32_e32 v119, 3, v117
	v_add3_u32 v118, v12, v118, v119
	s_mov_b64 s[58:59], 0
.LBB718_324:                            ; =>This Inner Loop Header: Depth=1
	v_add_u32_e32 v119, v116, v31
	v_lshrrev_b32_e32 v119, 1, v119
	v_not_b32_e32 v130, v119
	v_lshl_add_u32 v128, v119, 3, v11
	v_lshl_add_u32 v130, v130, 3, v118
	ds_read_b64 v[128:129], v128
	ds_read_b64 v[130:131], v130
	v_add_u32_e32 v132, 1, v119
	s_waitcnt lgkmcnt(1)
	v_and_b32_e32 v129, v129, v164
	v_and_b32_e32 v128, v128, v163
	s_waitcnt lgkmcnt(0)
	v_and_b32_e32 v131, v131, v164
	v_and_b32_e32 v130, v130, v163
	v_cmp_gt_u64_e64 s[46:47], v[130:131], v[128:129]
	v_cndmask_b32_e64 v116, v116, v119, s[46:47]
	v_cndmask_b32_e64 v31, v132, v31, s[46:47]
	v_cmp_ge_u32_e64 s[46:47], v31, v116
	s_or_b64 s[58:59], s[46:47], s[58:59]
	s_andn2_b64 exec, exec, s[58:59]
	s_cbranch_execnz .LBB718_324
; %bb.325:
	s_or_b64 exec, exec, s[58:59]
.LBB718_326:
	s_or_b64 exec, exec, s[56:57]
	v_add_u32_e32 v116, v31, v8
	v_add_u32_e32 v8, v114, v117
	v_sub_u32_e32 v117, v8, v31
	v_cmp_le_u32_e64 s[46:47], v116, v114
	v_cmp_le_u32_e64 s[56:57], v117, v115
	s_or_b64 s[46:47], s[46:47], s[56:57]
	s_and_saveexec_b64 s[30:31], s[46:47]
	s_cbranch_execz .LBB718_332
; %bb.327:
	v_cmp_lt_u32_e64 s[46:47], v116, v114
                                        ; implicit-def: $vgpr8_vgpr9
	s_and_saveexec_b64 s[56:57], s[46:47]
; %bb.328:
	v_lshl_add_u32 v0, v31, 3, v11
	ds_read_b64 v[8:9], v0
; %bb.329:
	s_or_b64 exec, exec, s[56:57]
	v_cmp_ge_u32_e64 s[56:57], v117, v115
	v_cmp_lt_u32_e64 s[58:59], v117, v115
                                        ; implicit-def: $vgpr10_vgpr11
	s_and_saveexec_b64 s[60:61], s[58:59]
; %bb.330:
	v_lshl_add_u32 v0, v117, 3, v12
	ds_read_b64 v[10:11], v0
; %bb.331:
	s_or_b64 exec, exec, s[60:61]
	s_waitcnt lgkmcnt(0)
	v_and_b32_e32 v1, v11, v164
	v_and_b32_e32 v0, v10, v163
	v_and_b32_e32 v5, v9, v164
	v_and_b32_e32 v4, v8, v163
	v_cmp_le_u64_e64 s[58:59], v[0:1], v[4:5]
	s_and_b64 s[46:47], s[46:47], s[58:59]
	s_or_b64 s[46:47], s[56:57], s[46:47]
	v_cndmask_b32_e64 v17, v117, v116, s[46:47]
	v_cndmask_b32_e64 v0, v115, v114, s[46:47]
	v_add_u32_e32 v4, 1, v17
	v_add_u32_e32 v0, -1, v0
	v_min_u32_e32 v0, v4, v0
	v_lshl_add_u32 v0, v0, 3, v12
	ds_read_b64 v[0:1], v0
	v_cndmask_b32_e64 v15, v4, v117, s[46:47]
	v_cndmask_b32_e64 v16, v116, v4, s[46:47]
	v_cmp_lt_u32_e64 s[60:61], v16, v114
	v_cmp_ge_u32_e64 s[56:57], v15, v115
	s_waitcnt lgkmcnt(0)
	v_cndmask_b32_e64 v31, v1, v11, s[46:47]
	v_cndmask_b32_e64 v34, v0, v10, s[46:47]
	v_cndmask_b32_e64 v35, v9, v1, s[46:47]
	v_cndmask_b32_e64 v36, v8, v0, s[46:47]
	v_and_b32_e32 v1, v31, v164
	v_and_b32_e32 v0, v34, v163
	v_and_b32_e32 v5, v35, v164
	v_and_b32_e32 v4, v36, v163
	v_cmp_le_u64_e64 s[58:59], v[0:1], v[4:5]
	s_and_b64 s[58:59], s[60:61], s[58:59]
	s_or_b64 s[58:59], s[56:57], s[58:59]
	v_cndmask_b32_e64 v18, v15, v16, s[58:59]
	v_cndmask_b32_e64 v0, v115, v114, s[58:59]
	v_add_u32_e32 v4, 1, v18
	v_add_u32_e32 v0, -1, v0
	v_min_u32_e32 v0, v4, v0
	v_lshl_add_u32 v0, v0, 3, v12
	ds_read_b64 v[0:1], v0
	v_cndmask_b32_e64 v15, v4, v15, s[58:59]
	v_cndmask_b32_e64 v16, v16, v4, s[58:59]
	v_cmp_lt_u32_e64 s[62:63], v16, v114
	v_cmp_ge_u32_e64 s[56:57], v15, v115
	s_waitcnt lgkmcnt(0)
	v_cndmask_b32_e64 v37, v1, v31, s[58:59]
	v_cndmask_b32_e64 v48, v0, v34, s[58:59]
	v_cndmask_b32_e64 v49, v35, v1, s[58:59]
	v_cndmask_b32_e64 v50, v36, v0, s[58:59]
	;; [unrolled: 23-line block ×4, first 2 shown]
	v_and_b32_e32 v1, v55, v164
	v_and_b32_e32 v0, v64, v163
	;; [unrolled: 1-line block ×4, first 2 shown]
	v_cmp_le_u64_e64 s[72:73], v[0:1], v[4:5]
	v_lshl_add_u32 v4, v18, 3, v12
	s_and_b64 s[72:73], s[74:75], s[72:73]
	s_or_b64 s[60:61], s[60:61], s[72:73]
	v_cndmask_b32_e64 v23, v20, v22, s[60:61]
	v_cndmask_b32_e64 v0, v115, v114, s[60:61]
	v_add_u32_e32 v24, 1, v23
	v_add_u32_e32 v0, -1, v0
	v_min_u32_e32 v0, v24, v0
	v_lshl_add_u32 v0, v0, 3, v12
	ds_read_b64 v[15:16], v0
	v_lshl_add_u32 v0, v17, 3, v12
	v_cndmask_b32_e64 v25, v24, v20, s[60:61]
	v_cndmask_b32_e64 v24, v22, v24, s[60:61]
	v_cmp_lt_u32_e64 s[76:77], v24, v114
	s_waitcnt lgkmcnt(0)
	v_cndmask_b32_e64 v67, v16, v55, s[60:61]
	v_cndmask_b32_e64 v68, v15, v64, s[60:61]
	;; [unrolled: 1-line block ×4, first 2 shown]
	v_and_b32_e32 v16, v67, v164
	v_and_b32_e32 v15, v68, v163
	;; [unrolled: 1-line block ×4, first 2 shown]
	v_cmp_le_u64_e64 s[74:75], v[15:16], v[17:18]
	v_cmp_ge_u32_e64 s[72:73], v25, v115
	s_and_b64 s[74:75], s[76:77], s[74:75]
	s_or_b64 s[72:73], s[72:73], s[74:75]
	v_cndmask_b32_e64 v26, v25, v24, s[72:73]
	v_cndmask_b32_e64 v15, v115, v114, s[72:73]
	v_add_u32_e32 v17, 1, v26
	v_add_u32_e32 v15, -1, v15
	v_min_u32_e32 v15, v17, v15
	v_lshl_add_u32 v15, v15, 3, v12
	ds_read_b64 v[0:1], v0 offset:32768
	ds_read_b64 v[4:5], v4 offset:32768
	ds_read_b64 v[15:16], v15
	v_lshl_add_u32 v18, v19, 3, v12
	ds_read_b64 v[19:20], v18 offset:32768
	v_lshl_add_u32 v18, v21, 3, v12
	ds_read_b64 v[21:22], v18 offset:32768
	s_waitcnt lgkmcnt(2)
	v_cndmask_b32_e64 v71, v16, v67, s[72:73]
	v_cndmask_b32_e64 v80, v15, v68, s[72:73]
	;; [unrolled: 1-line block ×6, first 2 shown]
	v_and_b32_e32 v16, v71, v164
	v_and_b32_e32 v15, v80, v163
	;; [unrolled: 1-line block ×4, first 2 shown]
	v_cmp_le_u64_e64 s[76:77], v[15:16], v[17:18]
	v_cmp_lt_u32_e64 s[78:79], v28, v114
	v_cmp_ge_u32_e64 s[74:75], v27, v115
	s_and_b64 s[76:77], s[78:79], s[76:77]
	s_or_b64 s[74:75], s[74:75], s[76:77]
	v_cndmask_b32_e64 v29, v27, v28, s[74:75]
	v_cndmask_b32_e64 v15, v115, v114, s[74:75]
	v_add_u32_e32 v17, 1, v29
	v_add_u32_e32 v15, -1, v15
	v_min_u32_e32 v15, v17, v15
	v_lshl_add_u32 v15, v15, 3, v12
	ds_read_b64 v[15:16], v15
	v_lshl_add_u32 v18, v23, 3, v12
	ds_read_b64 v[23:24], v18 offset:32768
	v_lshl_add_u32 v18, v26, 3, v12
	ds_read_b64 v[25:26], v18 offset:32768
	s_waitcnt lgkmcnt(2)
	v_cndmask_b32_e64 v83, v16, v71, s[74:75]
	v_cndmask_b32_e64 v84, v15, v80, s[74:75]
	;; [unrolled: 1-line block ×6, first 2 shown]
	v_and_b32_e32 v16, v83, v164
	v_and_b32_e32 v15, v84, v163
	;; [unrolled: 1-line block ×4, first 2 shown]
	v_cmp_le_u64_e64 s[78:79], v[15:16], v[17:18]
	v_cmp_lt_u32_e64 s[90:91], v33, v114
	v_cmp_ge_u32_e64 s[76:77], v32, v115
	s_and_b64 s[78:79], s[90:91], s[78:79]
	s_or_b64 s[76:77], s[76:77], s[78:79]
	v_cndmask_b32_e64 v17, v32, v33, s[76:77]
	v_cndmask_b32_e64 v15, v115, v114, s[76:77]
	v_add_u32_e32 v18, 1, v17
	v_add_u32_e32 v15, -1, v15
	v_min_u32_e32 v15, v18, v15
	v_lshl_add_u32 v15, v15, 3, v12
	ds_read_b64 v[15:16], v15
	v_lshl_add_u32 v27, v29, 3, v12
	v_lshl_add_u32 v17, v17, 3, v12
	ds_read_b64 v[27:28], v27 offset:32768
	ds_read_b64 v[29:30], v17 offset:32768
	s_waitcnt lgkmcnt(2)
	v_cndmask_b32_e64 v87, v16, v83, s[76:77]
	v_cndmask_b32_e64 v96, v15, v84, s[76:77]
	;; [unrolled: 1-line block ×6, first 2 shown]
	v_and_b32_e32 v16, v87, v164
	v_and_b32_e32 v15, v96, v163
	;; [unrolled: 1-line block ×4, first 2 shown]
	v_cmp_le_u64_e64 s[90:91], v[15:16], v[17:18]
	v_cmp_lt_u32_e64 s[92:93], v39, v114
	v_cmp_ge_u32_e64 s[78:79], v38, v115
	s_and_b64 s[90:91], s[92:93], s[90:91]
	s_or_b64 s[78:79], s[78:79], s[90:91]
	v_cndmask_b32_e64 v15, v38, v39, s[78:79]
	v_cndmask_b32_e64 v16, v115, v114, s[78:79]
	v_lshl_add_u32 v17, v15, 3, v12
	v_add_u32_e32 v99, 1, v15
	v_add_u32_e32 v15, -1, v16
	v_min_u32_e32 v15, v99, v15
	v_lshl_add_u32 v15, v15, 3, v12
	ds_read_b64 v[32:33], v17 offset:32768
	ds_read_b64 v[17:18], v15
	v_cndmask_b32_e64 v16, v11, v9, s[46:47]
	v_cndmask_b32_e64 v15, v10, v8, s[46:47]
	;; [unrolled: 1-line block ×4, first 2 shown]
	s_waitcnt lgkmcnt(0)
	v_cndmask_b32_e64 v8, v18, v87, s[78:79]
	v_cndmask_b32_e64 v11, v17, v96, s[78:79]
	;; [unrolled: 1-line block ×4, first 2 shown]
	v_and_b32_e32 v18, v8, v164
	v_and_b32_e32 v17, v11, v163
	;; [unrolled: 1-line block ×4, first 2 shown]
	v_cndmask_b32_e64 v101, v99, v38, s[78:79]
	v_cndmask_b32_e64 v99, v39, v99, s[78:79]
	v_cmp_le_u64_e64 s[58:59], v[17:18], v[34:35]
	v_cmp_lt_u32_e64 s[90:91], v99, v114
	v_cmp_ge_u32_e64 s[46:47], v101, v115
	s_and_b64 s[58:59], s[90:91], s[58:59]
	s_or_b64 s[46:47], s[46:47], s[58:59]
	v_cndmask_b32_e64 v17, v101, v99, s[46:47]
	v_cndmask_b32_e64 v18, v115, v114, s[46:47]
	v_lshl_add_u32 v34, v17, 3, v12
	v_add_u32_e32 v102, 1, v17
	v_add_u32_e32 v17, -1, v18
	v_min_u32_e32 v17, v102, v17
	v_lshl_add_u32 v17, v17, 3, v12
	ds_read_b64 v[38:39], v34 offset:32768
	ds_read_b64 v[17:18], v17
	v_cndmask_b32_e64 v35, v37, v49, s[56:57]
	v_cndmask_b32_e64 v34, v48, v50, s[56:57]
	;; [unrolled: 1-line block ×4, first 2 shown]
	s_waitcnt lgkmcnt(0)
	v_cndmask_b32_e64 v103, v18, v8, s[46:47]
	v_cndmask_b32_e64 v112, v17, v11, s[46:47]
	;; [unrolled: 1-line block ×4, first 2 shown]
	v_and_b32_e32 v18, v103, v164
	v_and_b32_e32 v17, v112, v163
	;; [unrolled: 1-line block ×4, first 2 shown]
	v_cmp_le_u64_e64 s[58:59], v[17:18], v[48:49]
	v_cndmask_b32_e64 v36, v52, v54, s[62:63]
	v_cndmask_b32_e64 v54, v102, v101, s[46:47]
	v_cmp_lt_u32_e64 s[62:63], v99, v114
	v_cmp_ge_u32_e64 s[56:57], v54, v115
	s_and_b64 s[58:59], s[62:63], s[58:59]
	s_or_b64 s[56:57], s[56:57], s[58:59]
	v_cndmask_b32_e64 v17, v54, v99, s[56:57]
	v_cndmask_b32_e64 v18, v115, v114, s[56:57]
	v_lshl_add_u32 v48, v17, 3, v12
	v_add_u32_e32 v101, 1, v17
	v_add_u32_e32 v17, -1, v18
	v_min_u32_e32 v17, v101, v17
	v_lshl_add_u32 v17, v17, 3, v12
	ds_read_b64 v[52:53], v48 offset:32768
	ds_read_b64 v[17:18], v17
	v_cndmask_b32_e64 v50, v68, v70, s[72:73]
	v_cndmask_b32_e64 v49, v55, v65, s[60:61]
	;; [unrolled: 1-line block ×4, first 2 shown]
	s_waitcnt lgkmcnt(0)
	v_cndmask_b32_e64 v70, v18, v103, s[56:57]
	v_cndmask_b32_e64 v102, v17, v112, s[56:57]
	;; [unrolled: 1-line block ×4, first 2 shown]
	v_and_b32_e32 v18, v70, v164
	v_and_b32_e32 v17, v102, v163
	;; [unrolled: 1-line block ×4, first 2 shown]
	v_cndmask_b32_e64 v51, v67, v69, s[72:73]
	v_cndmask_b32_e64 v69, v99, v101, s[56:57]
	v_cmp_le_u64_e64 s[60:61], v[17:18], v[54:55]
	v_cmp_lt_u32_e64 s[62:63], v69, v114
	v_cmp_ge_u32_e64 s[58:59], v68, v115
	s_and_b64 s[60:61], s[62:63], s[60:61]
	s_or_b64 s[58:59], s[58:59], s[60:61]
	v_cndmask_b32_e64 v17, v68, v69, s[58:59]
	v_cndmask_b32_e64 v18, v115, v114, s[58:59]
	v_lshl_add_u32 v54, v17, 3, v12
	v_add_u32_e32 v99, 1, v17
	v_add_u32_e32 v17, -1, v18
	v_min_u32_e32 v17, v99, v17
	v_lshl_add_u32 v17, v17, 3, v12
	ds_read_b64 v[66:67], v54 offset:32768
	ds_read_b64 v[17:18], v17
	v_cndmask_b32_e64 v55, v71, v81, s[74:75]
	v_cndmask_b32_e64 v64, v84, v86, s[76:77]
	;; [unrolled: 1-line block ×4, first 2 shown]
	s_waitcnt lgkmcnt(0)
	v_cndmask_b32_e64 v119, v18, v70, s[58:59]
	v_cndmask_b32_e64 v128, v17, v102, s[58:59]
	;; [unrolled: 1-line block ×4, first 2 shown]
	v_and_b32_e32 v18, v119, v164
	v_and_b32_e32 v17, v128, v163
	;; [unrolled: 1-line block ×4, first 2 shown]
	v_cmp_le_u64_e64 s[62:63], v[17:18], v[68:69]
	v_cmp_lt_u32_e64 s[72:73], v86, v114
	v_cmp_ge_u32_e64 s[60:61], v71, v115
	s_and_b64 s[62:63], s[72:73], s[62:63]
	s_or_b64 s[60:61], s[60:61], s[62:63]
	v_cndmask_b32_e64 v17, v71, v86, s[60:61]
	v_cndmask_b32_e64 v18, v115, v114, s[60:61]
	v_lshl_add_u32 v68, v17, 3, v12
	v_add_u32_e32 v69, 1, v17
	v_add_u32_e32 v17, -1, v18
	v_min_u32_e32 v17, v69, v17
	v_lshl_add_u32 v17, v17, 3, v12
	v_cndmask_b32_e64 v65, v83, v85, s[76:77]
	ds_read_b64 v[84:85], v68 offset:32768
	ds_read_b64 v[17:18], v17
	v_cndmask_b32_e64 v54, v80, v82, s[74:75]
	v_cndmask_b32_e64 v83, v8, v31, s[46:47]
	;; [unrolled: 1-line block ×4, first 2 shown]
	s_waitcnt lgkmcnt(0)
	v_cndmask_b32_e64 v8, v18, v119, s[60:61]
	v_cndmask_b32_e64 v11, v17, v128, s[60:61]
	;; [unrolled: 1-line block ×6, first 2 shown]
	v_and_b32_e32 v18, v8, v164
	v_and_b32_e32 v17, v11, v163
	;; [unrolled: 1-line block ×4, first 2 shown]
	v_cmp_le_u64_e64 s[62:63], v[17:18], v[68:69]
	v_cmp_lt_u32_e64 s[72:73], v96, v114
	v_cmp_ge_u32_e64 s[46:47], v71, v115
	s_and_b64 s[62:63], s[72:73], s[62:63]
	s_or_b64 s[46:47], s[46:47], s[62:63]
	v_cndmask_b32_e64 v17, v71, v96, s[46:47]
	v_cndmask_b32_e64 v18, v115, v114, s[46:47]
	v_lshl_add_u32 v68, v17, 3, v12
	v_add_u32_e32 v69, 1, v17
	v_add_u32_e32 v17, -1, v18
	v_min_u32_e32 v17, v69, v17
	v_lshl_add_u32 v17, v17, 3, v12
	ds_read_b64 v[100:101], v68 offset:32768
	ds_read_b64 v[17:18], v17
	v_cndmask_b32_e64 v81, v87, v97, s[78:79]
	v_cndmask_b32_e64 v87, v103, v113, s[56:57]
	;; [unrolled: 1-line block ×4, first 2 shown]
	s_waitcnt lgkmcnt(0)
	v_cndmask_b32_e64 v112, v18, v8, s[46:47]
	v_cndmask_b32_e64 v116, v17, v11, s[46:47]
	;; [unrolled: 1-line block ×7, first 2 shown]
	v_and_b32_e32 v18, v112, v164
	v_and_b32_e32 v17, v116, v163
	;; [unrolled: 1-line block ×4, first 2 shown]
	v_cmp_le_u64_e64 s[58:59], v[17:18], v[68:69]
	v_cmp_lt_u32_e64 s[62:63], v103, v114
	v_cmp_ge_u32_e64 s[56:57], v102, v115
	s_and_b64 s[58:59], s[62:63], s[58:59]
	s_or_b64 s[56:57], s[56:57], s[58:59]
	v_cndmask_b32_e64 v17, v102, v103, s[56:57]
	v_cndmask_b32_e64 v18, v115, v114, s[56:57]
	v_lshl_add_u32 v68, v17, 3, v12
	v_add_u32_e32 v118, 1, v17
	v_add_u32_e32 v17, -1, v18
	v_min_u32_e32 v17, v118, v17
	v_lshl_add_u32 v17, v17, 3, v12
	ds_read_b64 v[70:71], v68 offset:32768
	ds_read_b64 v[17:18], v17
	v_cndmask_b32_e64 v97, v119, v129, s[60:61]
	v_cndmask_b32_e64 v69, v8, v31, s[46:47]
	;; [unrolled: 1-line block ×4, first 2 shown]
	s_waitcnt lgkmcnt(0)
	v_cndmask_b32_e64 v8, v18, v112, s[56:57]
	v_cndmask_b32_e64 v11, v17, v116, s[56:57]
	;; [unrolled: 1-line block ×6, first 2 shown]
	v_and_b32_e32 v18, v8, v164
	v_and_b32_e32 v17, v11, v163
	;; [unrolled: 1-line block ×4, first 2 shown]
	v_cmp_le_u64_e64 s[58:59], v[17:18], v[102:103]
	v_cmp_lt_u32_e64 s[60:61], v118, v114
	v_cmp_ge_u32_e64 s[46:47], v128, v115
	s_and_b64 s[58:59], s[60:61], s[58:59]
	s_or_b64 s[46:47], s[46:47], s[58:59]
	v_cndmask_b32_e64 v17, v128, v118, s[46:47]
	v_lshl_add_u32 v12, v17, 3, v12
	ds_read_b64 v[102:103], v12 offset:32768
	v_cndmask_b32_e64 v113, v112, v113, s[56:57]
	v_cndmask_b32_e64 v112, v116, v117, s[56:57]
	;; [unrolled: 1-line block ×4, first 2 shown]
.LBB718_332:
	s_or_b64 exec, exec, s[30:31]
	; wave barrier
	s_waitcnt lgkmcnt(0)
	s_barrier
                                        ; implicit-def: $vgpr161
                                        ; implicit-def: $vgpr162
                                        ; implicit-def: $vgpr31
                                        ; implicit-def: $vgpr8
                                        ; implicit-def: $vgpr114
.LBB718_333:
	s_andn2_saveexec_b64 s[90:91], s[94:95]
	s_cbranch_execz .LBB718_617
; %bb.334:
	s_load_dwordx2 s[46:47], s[8:9], 0x0
	v_mov_b32_e32 v11, 0
	s_waitcnt lgkmcnt(0)
	s_cmp_lt_u32 s13, s47
	s_cselect_b32 s13, 14, 20
	s_add_u32 s56, s8, s13
	s_addc_u32 s57, s9, 0
	s_cmp_lt_u32 s12, s46
	s_cselect_b32 s12, 12, 18
	s_add_u32 s8, s8, s12
	s_addc_u32 s9, s9, 0
	global_load_ushort v12, v11, s[56:57]
	global_load_ushort v115, v11, s[8:9]
	v_and_b32_e32 v11, 0x3ff, v31
	s_movk_i32 s8, 0x1000
	s_waitcnt vmcnt(0)
	v_mad_u32_u24 v8, v114, v12, v8
	v_mul_lo_u32 v8, v8, v115
	v_add_lshl_u32 v163, v8, v11, 4
	v_cmp_gt_u32_e64 s[8:9], s8, v163
	s_and_saveexec_b64 s[12:13], s[8:9]
	s_cbranch_execz .LBB718_576
; %bb.335:
	v_cmp_gt_i64_e64 s[8:9], v[9:10], v[15:16]
	v_mov_b32_e32 v12, v10
	v_mov_b32_e32 v115, v5
	v_mov_b32_e32 v11, v9
	v_mov_b32_e32 v114, v4
	s_and_saveexec_b64 s[46:47], s[8:9]
; %bb.336:
	v_mov_b32_e32 v11, v15
	v_mov_b32_e32 v115, v1
	v_mov_b32_e32 v12, v16
	v_mov_b32_e32 v16, v10
	v_mov_b32_e32 v114, v0
	v_mov_b32_e32 v0, v4
	v_mov_b32_e32 v15, v9
	v_mov_b32_e32 v1, v5
; %bb.337:
	s_or_b64 exec, exec, s[46:47]
	v_cmp_gt_i64_e64 s[8:9], v[36:37], v[34:35]
	v_mov_b32_e32 v8, v36
	v_mov_b32_e32 v117, v22
	v_mov_b32_e32 v9, v37
	v_mov_b32_e32 v116, v21
	s_and_saveexec_b64 s[46:47], s[8:9]
; %bb.338:
	v_mov_b32_e32 v8, v34
	v_mov_b32_e32 v117, v20
	v_mov_b32_e32 v9, v35
	v_mov_b32_e32 v34, v36
	v_mov_b32_e32 v116, v19
	v_mov_b32_e32 v19, v21
	v_mov_b32_e32 v35, v37
	v_mov_b32_e32 v20, v22
; %bb.339:
	s_or_b64 exec, exec, s[46:47]
	;; [unrolled: 17-line block ×8, first 2 shown]
	v_cmp_gt_i64_e64 s[8:9], v[34:35], v[11:12]
	v_mov_b32_e32 v39, v35
	v_mov_b32_e32 v97, v20
	;; [unrolled: 1-line block ×4, first 2 shown]
	s_and_saveexec_b64 s[46:47], s[8:9]
	s_xor_b64 s[8:9], exec, s[46:47]
; %bb.352:
	v_mov_b32_e32 v39, v12
	v_mov_b32_e32 v96, v114
	v_mov_b32_e32 v38, v11
	v_mov_b32_e32 v11, v34
	v_mov_b32_e32 v97, v115
	v_mov_b32_e32 v115, v20
	v_mov_b32_e32 v12, v35
	v_mov_b32_e32 v114, v19
; %bb.353:
	s_or_b64 exec, exec, s[8:9]
	v_cmp_gt_i64_e64 s[8:9], v[48:49], v[8:9]
	v_mov_b32_e32 v19, v48
	v_mov_b32_e32 v99, v24
	v_mov_b32_e32 v20, v49
	v_mov_b32_e32 v98, v23
	s_and_saveexec_b64 s[46:47], s[8:9]
; %bb.354:
	v_mov_b32_e32 v20, v9
	v_mov_b32_e32 v98, v116
	v_mov_b32_e32 v19, v8
	v_mov_b32_e32 v8, v48
	v_mov_b32_e32 v99, v117
	v_mov_b32_e32 v117, v24
	v_mov_b32_e32 v9, v49
	v_mov_b32_e32 v116, v23
; %bb.355:
	s_or_b64 exec, exec, s[46:47]
	v_cmp_gt_i64_e64 s[8:9], v[54:55], v[21:22]
	v_mov_b32_e32 v23, v54
	v_mov_b32_e32 v101, v28
	v_mov_b32_e32 v24, v55
	v_mov_b32_e32 v100, v27
	s_and_saveexec_b64 s[46:47], s[8:9]
	;; [unrolled: 17-line block ×111, first 2 shown]
; %bb.574:
	v_mov_b32_e32 v113, v69
	v_mov_b32_e32 v101, v71
	v_mov_b32_e32 v112, v68
	v_mov_b32_e32 v68, v118
	v_mov_b32_e32 v100, v70
	v_mov_b32_e32 v70, v116
	v_mov_b32_e32 v69, v119
	v_mov_b32_e32 v71, v117
; %bb.575:
	s_or_b64 exec, exec, s[46:47]
.LBB718_576:
	s_or_b64 exec, exec, s[12:13]
	v_and_b32_e32 v8, 0xfffffc00, v163
	v_lshlrev_b32_e32 v12, 3, v8
	s_movk_i32 s8, 0x1000
	v_lshl_add_u32 v114, v161, 3, v12
	v_sub_u32_e64 v31, s8, v8 clamp
	v_add_u32_e32 v8, 0x8000, v114
	ds_write2_b64 v114, v[15:16], v[9:10] offset1:1
	ds_write2_b64 v8, v[0:1], v[4:5] offset1:1
	v_add_u32_e32 v8, 0x8010, v114
	ds_write2_b64 v114, v[34:35], v[36:37] offset0:2 offset1:3
	ds_write2_b64 v8, v[19:20], v[21:22] offset1:1
	v_add_u32_e32 v8, 0x8020, v114
	ds_write2_b64 v114, v[48:49], v[50:51] offset0:4 offset1:5
	;; [unrolled: 3-line block ×4, first 2 shown]
	ds_write2_b64 v8, v[32:33], v[38:39] offset1:1
	v_add_u32_e32 v8, 0x8050, v114
	v_or_b32_e32 v11, 16, v161
	ds_write2_b64 v114, v[86:87], v[98:99] offset0:10 offset1:11
	ds_write2_b64 v8, v[52:53], v[66:67] offset1:1
	v_add_u32_e32 v8, 0x8060, v114
	v_min_u32_e32 v115, v31, v11
	ds_write2_b64 v114, v[96:97], v[68:69] offset0:12 offset1:13
	ds_write2_b64 v8, v[84:85], v[100:101] offset1:1
	v_add_u32_e32 v8, 0x8070, v114
	v_add_u32_e32 v11, 16, v115
	ds_write2_b64 v114, v[112:113], v[17:18] offset0:14 offset1:15
	ds_write2_b64 v8, v[70:71], v[102:103] offset1:1
	v_and_b32_e32 v8, 0x7e0, v161
	v_min_u32_e32 v116, v31, v11
	v_and_b32_e32 v11, 16, v161
	v_min_u32_e32 v119, v31, v11
	v_sub_u32_e32 v118, v115, v8
	v_sub_u32_e32 v117, v116, v115
	v_sub_u32_e64 v117, v119, v117 clamp
	v_min_u32_e32 v118, v119, v118
	v_lshl_add_u32 v11, v8, 3, v12
	v_cmp_lt_u32_e64 s[8:9], v117, v118
	; wave barrier
	s_and_saveexec_b64 s[12:13], s[8:9]
	s_cbranch_execz .LBB718_580
; %bb.577:
	v_lshlrev_b32_e32 v128, 3, v115
	v_lshlrev_b32_e32 v129, 3, v119
	v_add3_u32 v128, v12, v128, v129
	s_mov_b64 s[46:47], 0
.LBB718_578:                            ; =>This Inner Loop Header: Depth=1
	v_add_u32_e32 v129, v118, v117
	v_lshrrev_b32_e32 v133, 1, v129
	v_not_b32_e32 v129, v133
	v_lshl_add_u32 v130, v133, 3, v11
	v_lshl_add_u32 v131, v129, 3, v128
	ds_read_b64 v[129:130], v130
	ds_read_b64 v[131:132], v131
	v_add_u32_e32 v134, 1, v133
	s_waitcnt lgkmcnt(0)
	v_cmp_gt_i64_e64 s[8:9], v[131:132], v[129:130]
	v_cndmask_b32_e64 v118, v118, v133, s[8:9]
	v_cndmask_b32_e64 v117, v134, v117, s[8:9]
	v_cmp_ge_u32_e64 s[8:9], v117, v118
	s_or_b64 s[46:47], s[8:9], s[46:47]
	s_andn2_b64 exec, exec, s[46:47]
	s_cbranch_execnz .LBB718_578
; %bb.579:
	s_or_b64 exec, exec, s[46:47]
.LBB718_580:
	s_or_b64 exec, exec, s[12:13]
	v_add_u32_e32 v118, v117, v8
	v_add_u32_e32 v8, v115, v119
	v_sub_u32_e32 v119, v8, v117
	v_cmp_le_u32_e64 s[8:9], v118, v115
	v_cmp_le_u32_e64 s[12:13], v119, v116
	s_or_b64 s[8:9], s[8:9], s[12:13]
	s_and_saveexec_b64 s[92:93], s[8:9]
	s_cbranch_execz .LBB718_586
; %bb.581:
	v_cmp_lt_u32_e64 s[8:9], v118, v115
                                        ; implicit-def: $vgpr8_vgpr9
	s_and_saveexec_b64 s[12:13], s[8:9]
; %bb.582:
	v_lshl_add_u32 v0, v117, 3, v11
	ds_read_b64 v[8:9], v0
; %bb.583:
	s_or_b64 exec, exec, s[12:13]
	v_cmp_ge_u32_e64 s[46:47], v119, v116
	v_cmp_lt_u32_e64 s[12:13], v119, v116
                                        ; implicit-def: $vgpr10_vgpr11
	s_and_saveexec_b64 s[56:57], s[12:13]
; %bb.584:
	v_lshl_add_u32 v0, v119, 3, v12
	ds_read_b64 v[10:11], v0
; %bb.585:
	s_or_b64 exec, exec, s[56:57]
	s_waitcnt lgkmcnt(0)
	v_cmp_le_i64_e64 s[12:13], v[10:11], v[8:9]
	s_and_b64 s[8:9], s[8:9], s[12:13]
	s_or_b64 s[8:9], s[46:47], s[8:9]
	v_cndmask_b32_e64 v4, v119, v118, s[8:9]
	v_cndmask_b32_e64 v0, v116, v115, s[8:9]
	v_add_u32_e32 v5, 1, v4
	v_add_u32_e32 v0, -1, v0
	v_min_u32_e32 v0, v5, v0
	v_lshl_add_u32 v0, v0, 3, v12
	ds_read_b64 v[0:1], v0
	v_cndmask_b32_e64 v15, v5, v119, s[8:9]
	v_cndmask_b32_e64 v5, v118, v5, s[8:9]
	v_cmp_lt_u32_e64 s[56:57], v5, v115
	v_cmp_ge_u32_e64 s[12:13], v15, v116
	s_waitcnt lgkmcnt(0)
	v_cndmask_b32_e64 v18, v1, v11, s[8:9]
	v_cndmask_b32_e64 v17, v0, v10, s[8:9]
	v_cndmask_b32_e64 v35, v9, v1, s[8:9]
	v_cndmask_b32_e64 v34, v8, v0, s[8:9]
	v_cmp_le_i64_e64 s[46:47], v[17:18], v[34:35]
	s_and_b64 s[46:47], s[56:57], s[46:47]
	s_or_b64 s[56:57], s[12:13], s[46:47]
	v_cndmask_b32_e64 v19, v15, v5, s[56:57]
	v_cndmask_b32_e64 v0, v116, v115, s[56:57]
	v_add_u32_e32 v16, 1, v19
	v_add_u32_e32 v0, -1, v0
	v_min_u32_e32 v0, v16, v0
	v_lshl_add_u32 v0, v0, 3, v12
	ds_read_b64 v[0:1], v0
	v_cndmask_b32_e64 v5, v5, v16, s[56:57]
	v_cndmask_b32_e64 v15, v16, v15, s[56:57]
	v_cmp_lt_u32_e64 s[58:59], v5, v115
	v_cmp_ge_u32_e64 s[12:13], v15, v116
	s_waitcnt lgkmcnt(0)
	v_cndmask_b32_e64 v37, v1, v18, s[56:57]
	v_cndmask_b32_e64 v36, v0, v17, s[56:57]
	v_cndmask_b32_e64 v49, v35, v1, s[56:57]
	v_cndmask_b32_e64 v48, v34, v0, s[56:57]
	v_cmp_le_i64_e64 s[46:47], v[36:37], v[48:49]
	s_and_b64 s[46:47], s[58:59], s[46:47]
	s_or_b64 s[46:47], s[12:13], s[46:47]
	v_cndmask_b32_e64 v20, v15, v5, s[46:47]
	v_cndmask_b32_e64 v0, v116, v115, s[46:47]
	v_add_u32_e32 v16, 1, v20
	v_add_u32_e32 v0, -1, v0
	v_min_u32_e32 v0, v16, v0
	v_lshl_add_u32 v0, v0, 3, v12
	ds_read_b64 v[0:1], v0
	v_cndmask_b32_e64 v5, v5, v16, s[46:47]
	v_cndmask_b32_e64 v15, v16, v15, s[46:47]
	v_cmp_lt_u32_e64 s[60:61], v5, v115
	v_cmp_ge_u32_e64 s[12:13], v15, v116
	s_waitcnt lgkmcnt(0)
	v_cndmask_b32_e64 v51, v1, v37, s[46:47]
	v_cndmask_b32_e64 v50, v0, v36, s[46:47]
	v_cndmask_b32_e64 v53, v49, v1, s[46:47]
	v_cndmask_b32_e64 v52, v48, v0, s[46:47]
	v_cmp_le_i64_e64 s[58:59], v[50:51], v[52:53]
	s_and_b64 s[58:59], s[60:61], s[58:59]
	s_or_b64 s[60:61], s[12:13], s[58:59]
	v_cndmask_b32_e64 v21, v15, v5, s[60:61]
	v_cndmask_b32_e64 v0, v116, v115, s[60:61]
	v_add_u32_e32 v16, 1, v21
	v_add_u32_e32 v0, -1, v0
	v_min_u32_e32 v0, v16, v0
	v_lshl_add_u32 v0, v0, 3, v12
	ds_read_b64 v[0:1], v0
	v_cndmask_b32_e64 v23, v5, v16, s[60:61]
	v_cndmask_b32_e64 v22, v16, v15, s[60:61]
	v_cmp_lt_u32_e64 s[62:63], v23, v115
	v_cmp_ge_u32_e64 s[12:13], v22, v116
	s_waitcnt lgkmcnt(0)
	v_cndmask_b32_e64 v55, v1, v51, s[60:61]
	v_cndmask_b32_e64 v54, v0, v50, s[60:61]
	v_cndmask_b32_e64 v65, v53, v1, s[60:61]
	v_cndmask_b32_e64 v64, v52, v0, s[60:61]
	v_cmp_le_i64_e64 s[58:59], v[54:55], v[64:65]
	v_lshl_add_u32 v21, v21, 3, v12
	s_and_b64 s[58:59], s[62:63], s[58:59]
	s_or_b64 s[58:59], s[12:13], s[58:59]
	v_cndmask_b32_e64 v24, v22, v23, s[58:59]
	v_cndmask_b32_e64 v0, v116, v115, s[58:59]
	v_add_u32_e32 v25, 1, v24
	v_add_u32_e32 v0, -1, v0
	v_min_u32_e32 v0, v25, v0
	v_lshl_add_u32 v0, v0, 3, v12
	ds_read_b64 v[15:16], v0
	v_cndmask_b32_e64 v26, v25, v22, s[58:59]
	ds_read_b64 v[21:22], v21 offset:32768
	v_cndmask_b32_e64 v23, v23, v25, s[58:59]
	v_cmp_lt_u32_e64 s[72:73], v23, v115
	s_waitcnt lgkmcnt(1)
	v_cndmask_b32_e64 v67, v16, v55, s[58:59]
	v_cndmask_b32_e64 v66, v15, v54, s[58:59]
	;; [unrolled: 1-line block ×4, first 2 shown]
	v_cmp_le_i64_e64 s[62:63], v[66:67], v[68:69]
	v_cmp_ge_u32_e64 s[12:13], v26, v116
	s_and_b64 s[62:63], s[72:73], s[62:63]
	s_or_b64 s[62:63], s[12:13], s[62:63]
	v_cndmask_b32_e64 v25, v26, v23, s[62:63]
	v_cndmask_b32_e64 v15, v116, v115, s[62:63]
	v_add_u32_e32 v27, 1, v25
	v_add_u32_e32 v15, -1, v15
	v_min_u32_e32 v15, v27, v15
	v_lshl_add_u32 v0, v4, 3, v12
	v_lshl_add_u32 v4, v19, 3, v12
	;; [unrolled: 1-line block ×3, first 2 shown]
	ds_read_b64 v[0:1], v0 offset:32768
	ds_read_b64 v[4:5], v4 offset:32768
	ds_read_b64 v[15:16], v15
	v_lshl_add_u32 v19, v20, 3, v12
	ds_read_b64 v[19:20], v19 offset:32768
	v_cndmask_b32_e64 v28, v27, v26, s[62:63]
	v_cndmask_b32_e64 v27, v23, v27, s[62:63]
	s_waitcnt lgkmcnt(1)
	v_cndmask_b32_e64 v71, v16, v67, s[62:63]
	v_cndmask_b32_e64 v70, v15, v66, s[62:63]
	;; [unrolled: 1-line block ×4, first 2 shown]
	v_cmp_le_i64_e64 s[72:73], v[70:71], v[80:81]
	v_cmp_lt_u32_e64 s[74:75], v27, v115
	v_cmp_ge_u32_e64 s[12:13], v28, v116
	s_and_b64 s[72:73], s[74:75], s[72:73]
	s_or_b64 s[72:73], s[12:13], s[72:73]
	v_cndmask_b32_e64 v29, v28, v27, s[72:73]
	v_cndmask_b32_e64 v15, v116, v115, s[72:73]
	v_add_u32_e32 v30, 1, v29
	v_add_u32_e32 v15, -1, v15
	v_min_u32_e32 v15, v30, v15
	v_lshl_add_u32 v15, v15, 3, v12
	ds_read_b64 v[15:16], v15
	v_lshl_add_u32 v23, v24, 3, v12
	v_cndmask_b32_e64 v33, v27, v30, s[72:73]
	v_lshl_add_u32 v27, v29, 3, v12
	ds_read_b64 v[23:24], v23 offset:32768
	v_cndmask_b32_e64 v32, v30, v28, s[72:73]
	ds_read_b64 v[27:28], v27 offset:32768
	s_waitcnt lgkmcnt(2)
	v_cndmask_b32_e64 v83, v16, v71, s[72:73]
	v_cndmask_b32_e64 v82, v15, v70, s[72:73]
	;; [unrolled: 1-line block ×4, first 2 shown]
	v_cmp_le_i64_e64 s[74:75], v[82:83], v[84:85]
	v_cmp_lt_u32_e64 s[76:77], v33, v115
	v_cmp_ge_u32_e64 s[12:13], v32, v116
	s_and_b64 s[74:75], s[76:77], s[74:75]
	s_or_b64 s[74:75], s[12:13], s[74:75]
	v_cndmask_b32_e64 v30, v32, v33, s[74:75]
	v_cndmask_b32_e64 v15, v116, v115, s[74:75]
	v_add_u32_e32 v38, 1, v30
	v_add_u32_e32 v15, -1, v15
	v_min_u32_e32 v15, v38, v15
	v_lshl_add_u32 v25, v25, 3, v12
	v_lshl_add_u32 v15, v15, 3, v12
	;; [unrolled: 1-line block ×3, first 2 shown]
	ds_read_b64 v[25:26], v25 offset:32768
	ds_read_b64 v[29:30], v29 offset:32768
	ds_read_b64 v[15:16], v15
	v_cndmask_b32_e64 v101, v33, v38, s[74:75]
	v_cndmask_b32_e64 v100, v38, v32, s[74:75]
	v_cmp_lt_u32_e64 s[78:79], v101, v115
	v_cmp_ge_u32_e64 s[12:13], v100, v116
	s_waitcnt lgkmcnt(0)
	v_cndmask_b32_e64 v87, v16, v83, s[74:75]
	v_cndmask_b32_e64 v86, v15, v82, s[74:75]
	;; [unrolled: 1-line block ×4, first 2 shown]
	v_cmp_le_i64_e64 s[76:77], v[86:87], v[96:97]
	s_and_b64 s[76:77], s[78:79], s[76:77]
	s_or_b64 s[76:77], s[12:13], s[76:77]
	v_cndmask_b32_e64 v15, v100, v101, s[76:77]
	v_cndmask_b32_e64 v16, v116, v115, s[76:77]
	v_lshl_add_u32 v32, v15, 3, v12
	v_add_u32_e32 v102, 1, v15
	v_add_u32_e32 v15, -1, v16
	v_min_u32_e32 v15, v102, v15
	v_lshl_add_u32 v15, v15, 3, v12
	ds_read_b64 v[32:33], v32 offset:32768
	ds_read_b64 v[38:39], v15
	v_cndmask_b32_e64 v16, v11, v9, s[8:9]
	v_cndmask_b32_e64 v15, v10, v8, s[8:9]
	;; [unrolled: 1-line block ×4, first 2 shown]
	s_waitcnt lgkmcnt(0)
	v_cndmask_b32_e64 v18, v39, v87, s[76:77]
	v_cndmask_b32_e64 v17, v38, v86, s[76:77]
	;; [unrolled: 1-line block ×5, first 2 shown]
	v_cmp_le_i64_e64 s[12:13], v[17:18], v[98:99]
	v_cndmask_b32_e64 v8, v102, v100, s[76:77]
	v_cmp_lt_u32_e64 s[56:57], v11, v115
	v_cmp_ge_u32_e64 s[8:9], v8, v116
	s_and_b64 s[12:13], s[56:57], s[12:13]
	s_or_b64 s[8:9], s[8:9], s[12:13]
	v_cndmask_b32_e64 v34, v8, v11, s[8:9]
	v_cndmask_b32_e64 v35, v116, v115, s[8:9]
	v_lshl_add_u32 v38, v34, 3, v12
	v_add_u32_e32 v117, 1, v34
	v_add_u32_e32 v34, -1, v35
	v_min_u32_e32 v34, v117, v34
	v_lshl_add_u32 v34, v34, 3, v12
	ds_read_b64 v[38:39], v38 offset:32768
	ds_read_b64 v[100:101], v34
	v_cndmask_b32_e64 v35, v37, v49, s[46:47]
	v_cndmask_b32_e64 v34, v36, v48, s[46:47]
	;; [unrolled: 1-line block ×4, first 2 shown]
	s_waitcnt lgkmcnt(0)
	v_cndmask_b32_e64 v103, v101, v18, s[8:9]
	v_cndmask_b32_e64 v102, v100, v17, s[8:9]
	;; [unrolled: 1-line block ×4, first 2 shown]
	v_cmp_le_i64_e64 s[46:47], v[102:103], v[112:113]
	v_cmp_lt_u32_e64 s[56:57], v11, v115
	v_cmp_ge_u32_e64 s[12:13], v8, v116
	s_and_b64 s[46:47], s[56:57], s[46:47]
	s_or_b64 s[46:47], s[12:13], s[46:47]
	v_cndmask_b32_e64 v48, v8, v11, s[46:47]
	v_cndmask_b32_e64 v49, v116, v115, s[46:47]
	;; [unrolled: 1-line block ×3, first 2 shown]
	v_lshl_add_u32 v50, v48, 3, v12
	v_add_u32_e32 v119, 1, v48
	v_add_u32_e32 v48, -1, v49
	v_min_u32_e32 v48, v119, v48
	v_cndmask_b32_e64 v37, v51, v53, s[60:61]
	v_lshl_add_u32 v48, v48, 3, v12
	ds_read_b64 v[52:53], v50 offset:32768
	ds_read_b64 v[100:101], v48
	v_cndmask_b32_e64 v51, v67, v69, s[62:63]
	v_cndmask_b32_e64 v50, v66, v68, s[62:63]
	;; [unrolled: 1-line block ×4, first 2 shown]
	s_waitcnt lgkmcnt(0)
	v_cndmask_b32_e64 v69, v101, v103, s[46:47]
	v_cndmask_b32_e64 v68, v100, v102, s[46:47]
	;; [unrolled: 1-line block ×4, first 2 shown]
	v_cmp_le_i64_e64 s[56:57], v[68:69], v[117:118]
	v_cndmask_b32_e64 v48, v54, v64, s[58:59]
	v_cndmask_b32_e64 v8, v119, v8, s[46:47]
	v_cmp_lt_u32_e64 s[58:59], v11, v115
	v_cmp_ge_u32_e64 s[12:13], v8, v116
	s_and_b64 s[56:57], s[58:59], s[56:57]
	s_or_b64 s[12:13], s[12:13], s[56:57]
	v_cndmask_b32_e64 v54, v8, v11, s[12:13]
	v_cndmask_b32_e64 v55, v116, v115, s[12:13]
	v_lshl_add_u32 v64, v54, 3, v12
	v_add_u32_e32 v119, 1, v54
	v_add_u32_e32 v54, -1, v55
	v_min_u32_e32 v54, v119, v54
	v_lshl_add_u32 v54, v54, 3, v12
	ds_read_b64 v[66:67], v64 offset:32768
	ds_read_b64 v[100:101], v54
	v_cndmask_b32_e64 v11, v11, v119, s[12:13]
	v_cndmask_b32_e64 v8, v119, v8, s[12:13]
	v_cmp_lt_u32_e64 s[60:61], v11, v115
	v_cmp_ge_u32_e64 s[56:57], v8, v116
	s_waitcnt lgkmcnt(0)
	v_cndmask_b32_e64 v129, v101, v69, s[12:13]
	v_cndmask_b32_e64 v128, v100, v68, s[12:13]
	;; [unrolled: 1-line block ×4, first 2 shown]
	v_cmp_le_i64_e64 s[58:59], v[128:129], v[130:131]
	v_cndmask_b32_e64 v55, v71, v81, s[72:73]
	s_and_b64 s[58:59], s[60:61], s[58:59]
	s_or_b64 s[56:57], s[56:57], s[58:59]
	v_cndmask_b32_e64 v54, v70, v80, s[72:73]
	v_cndmask_b32_e64 v70, v8, v11, s[56:57]
	v_cndmask_b32_e64 v71, v116, v115, s[56:57]
	v_lshl_add_u32 v80, v70, 3, v12
	v_add_u32_e32 v100, 1, v70
	v_add_u32_e32 v70, -1, v71
	v_min_u32_e32 v70, v100, v70
	v_lshl_add_u32 v70, v70, 3, v12
	v_cndmask_b32_e64 v65, v83, v85, s[74:75]
	v_cndmask_b32_e64 v64, v82, v84, s[74:75]
	ds_read_b64 v[84:85], v80 offset:32768
	ds_read_b64 v[70:71], v70
	v_cndmask_b32_e64 v83, v18, v99, s[8:9]
	v_cndmask_b32_e64 v82, v17, v98, s[8:9]
	;; [unrolled: 1-line block ×4, first 2 shown]
	s_waitcnt lgkmcnt(0)
	v_cndmask_b32_e64 v18, v71, v129, s[56:57]
	v_cndmask_b32_e64 v17, v70, v128, s[56:57]
	;; [unrolled: 1-line block ×4, first 2 shown]
	v_cmp_le_i64_e64 s[58:59], v[17:18], v[132:133]
	v_cmp_lt_u32_e64 s[60:61], v11, v115
	v_cmp_ge_u32_e64 s[8:9], v8, v116
	s_and_b64 s[58:59], s[60:61], s[58:59]
	s_or_b64 s[8:9], s[8:9], s[58:59]
	v_cndmask_b32_e64 v70, v8, v11, s[8:9]
	v_cndmask_b32_e64 v71, v116, v115, s[8:9]
	v_cndmask_b32_e64 v80, v86, v96, s[76:77]
	v_lshl_add_u32 v86, v70, 3, v12
	v_add_u32_e32 v96, 1, v70
	v_add_u32_e32 v70, -1, v71
	v_min_u32_e32 v70, v96, v70
	v_lshl_add_u32 v70, v70, 3, v12
	ds_read_b64 v[100:101], v86 offset:32768
	ds_read_b64 v[70:71], v70
	v_cndmask_b32_e64 v81, v87, v97, s[76:77]
	v_cndmask_b32_e64 v87, v103, v113, s[46:47]
	;; [unrolled: 1-line block ×5, first 2 shown]
	s_waitcnt lgkmcnt(0)
	v_cndmask_b32_e64 v113, v71, v18, s[8:9]
	v_cndmask_b32_e64 v112, v70, v17, s[8:9]
	;; [unrolled: 1-line block ×5, first 2 shown]
	v_cmp_le_i64_e64 s[46:47], v[112:113], v[117:118]
	v_cndmask_b32_e64 v8, v96, v8, s[8:9]
	v_cmp_lt_u32_e64 s[58:59], v11, v115
	v_cmp_ge_u32_e64 s[12:13], v8, v116
	s_and_b64 s[46:47], s[58:59], s[46:47]
	s_or_b64 s[12:13], s[12:13], s[46:47]
	v_cndmask_b32_e64 v68, v8, v11, s[12:13]
	v_cndmask_b32_e64 v69, v116, v115, s[12:13]
	v_lshl_add_u32 v70, v68, 3, v12
	v_add_u32_e32 v119, 1, v68
	v_add_u32_e32 v68, -1, v69
	v_min_u32_e32 v68, v119, v68
	v_lshl_add_u32 v68, v68, 3, v12
	ds_read_b64 v[70:71], v70 offset:32768
	ds_read_b64 v[102:103], v68
	v_cndmask_b32_e64 v97, v129, v131, s[56:57]
	v_cndmask_b32_e64 v96, v128, v130, s[56:57]
	;; [unrolled: 1-line block ×4, first 2 shown]
	s_waitcnt lgkmcnt(0)
	v_cndmask_b32_e64 v18, v103, v113, s[12:13]
	v_cndmask_b32_e64 v17, v102, v112, s[12:13]
	v_cndmask_b32_e64 v129, v118, v103, s[12:13]
	v_cndmask_b32_e64 v128, v117, v102, s[12:13]
	v_cndmask_b32_e64 v11, v11, v119, s[12:13]
	v_cmp_le_i64_e64 s[46:47], v[17:18], v[128:129]
	v_cndmask_b32_e64 v8, v119, v8, s[12:13]
	v_cmp_lt_u32_e64 s[56:57], v11, v115
	v_cmp_ge_u32_e64 s[8:9], v8, v116
	s_and_b64 s[46:47], s[56:57], s[46:47]
	s_or_b64 s[8:9], s[8:9], s[46:47]
	v_cndmask_b32_e64 v8, v8, v11, s[8:9]
	v_lshl_add_u32 v8, v8, 3, v12
	ds_read_b64 v[102:103], v8 offset:32768
	v_cndmask_b32_e64 v113, v113, v118, s[12:13]
	v_cndmask_b32_e64 v112, v112, v117, s[12:13]
	;; [unrolled: 1-line block ×4, first 2 shown]
.LBB718_586:
	s_or_b64 exec, exec, s[92:93]
	v_add_u32_e32 v8, 0x8000, v114
	; wave barrier
	ds_write2_b64 v114, v[15:16], v[9:10] offset1:1
	ds_write2_b64 v8, v[0:1], v[4:5] offset1:1
	v_add_u32_e32 v8, 0x8010, v114
	ds_write2_b64 v114, v[34:35], v[36:37] offset0:2 offset1:3
	ds_write2_b64 v8, v[19:20], v[21:22] offset1:1
	v_add_u32_e32 v8, 0x8020, v114
	ds_write2_b64 v114, v[48:49], v[50:51] offset0:4 offset1:5
	;; [unrolled: 3-line block ×7, first 2 shown]
	s_waitcnt lgkmcnt(14)
	ds_write2_b64 v8, v[70:71], v[102:103] offset1:1
	v_and_b32_e32 v8, 0x7c0, v161
	v_or_b32_e32 v11, 32, v8
	v_min_u32_e32 v115, v31, v11
	v_add_u32_e32 v11, 32, v115
	v_min_u32_e32 v116, v31, v11
	v_and_b32_e32 v11, 48, v161
	v_min_u32_e32 v119, v31, v11
	v_sub_u32_e32 v118, v115, v8
	v_sub_u32_e32 v117, v116, v115
	v_sub_u32_e64 v117, v119, v117 clamp
	v_min_u32_e32 v118, v119, v118
	v_lshl_add_u32 v11, v8, 3, v12
	v_cmp_lt_u32_e64 s[8:9], v117, v118
	; wave barrier
	s_and_saveexec_b64 s[12:13], s[8:9]
	s_cbranch_execz .LBB718_590
; %bb.587:
	v_lshlrev_b32_e32 v128, 3, v115
	v_lshlrev_b32_e32 v129, 3, v119
	v_add3_u32 v128, v12, v128, v129
	s_mov_b64 s[46:47], 0
.LBB718_588:                            ; =>This Inner Loop Header: Depth=1
	v_add_u32_e32 v129, v118, v117
	v_lshrrev_b32_e32 v133, 1, v129
	v_not_b32_e32 v129, v133
	v_lshl_add_u32 v130, v133, 3, v11
	v_lshl_add_u32 v131, v129, 3, v128
	ds_read_b64 v[129:130], v130
	ds_read_b64 v[131:132], v131
	v_add_u32_e32 v134, 1, v133
	s_waitcnt lgkmcnt(0)
	v_cmp_gt_i64_e64 s[8:9], v[131:132], v[129:130]
	v_cndmask_b32_e64 v118, v118, v133, s[8:9]
	v_cndmask_b32_e64 v117, v134, v117, s[8:9]
	v_cmp_ge_u32_e64 s[8:9], v117, v118
	s_or_b64 s[46:47], s[8:9], s[46:47]
	s_andn2_b64 exec, exec, s[46:47]
	s_cbranch_execnz .LBB718_588
; %bb.589:
	s_or_b64 exec, exec, s[46:47]
.LBB718_590:
	s_or_b64 exec, exec, s[12:13]
	v_add_u32_e32 v118, v117, v8
	v_add_u32_e32 v8, v115, v119
	v_sub_u32_e32 v119, v8, v117
	v_cmp_le_u32_e64 s[8:9], v118, v115
	v_cmp_le_u32_e64 s[12:13], v119, v116
	s_or_b64 s[8:9], s[8:9], s[12:13]
	s_and_saveexec_b64 s[92:93], s[8:9]
	s_cbranch_execz .LBB718_596
; %bb.591:
	v_cmp_lt_u32_e64 s[8:9], v118, v115
                                        ; implicit-def: $vgpr8_vgpr9
	s_and_saveexec_b64 s[12:13], s[8:9]
; %bb.592:
	v_lshl_add_u32 v0, v117, 3, v11
	ds_read_b64 v[8:9], v0
; %bb.593:
	s_or_b64 exec, exec, s[12:13]
	v_cmp_ge_u32_e64 s[46:47], v119, v116
	v_cmp_lt_u32_e64 s[12:13], v119, v116
                                        ; implicit-def: $vgpr10_vgpr11
	s_and_saveexec_b64 s[56:57], s[12:13]
; %bb.594:
	v_lshl_add_u32 v0, v119, 3, v12
	ds_read_b64 v[10:11], v0
; %bb.595:
	s_or_b64 exec, exec, s[56:57]
	s_waitcnt lgkmcnt(0)
	v_cmp_le_i64_e64 s[12:13], v[10:11], v[8:9]
	s_and_b64 s[8:9], s[8:9], s[12:13]
	s_or_b64 s[8:9], s[46:47], s[8:9]
	v_cndmask_b32_e64 v4, v119, v118, s[8:9]
	v_cndmask_b32_e64 v0, v116, v115, s[8:9]
	v_add_u32_e32 v5, 1, v4
	v_add_u32_e32 v0, -1, v0
	v_min_u32_e32 v0, v5, v0
	v_lshl_add_u32 v0, v0, 3, v12
	ds_read_b64 v[0:1], v0
	v_cndmask_b32_e64 v15, v5, v119, s[8:9]
	v_cndmask_b32_e64 v5, v118, v5, s[8:9]
	v_cmp_lt_u32_e64 s[56:57], v5, v115
	v_cmp_ge_u32_e64 s[12:13], v15, v116
	s_waitcnt lgkmcnt(0)
	v_cndmask_b32_e64 v18, v1, v11, s[8:9]
	v_cndmask_b32_e64 v17, v0, v10, s[8:9]
	v_cndmask_b32_e64 v35, v9, v1, s[8:9]
	v_cndmask_b32_e64 v34, v8, v0, s[8:9]
	v_cmp_le_i64_e64 s[46:47], v[17:18], v[34:35]
	s_and_b64 s[46:47], s[56:57], s[46:47]
	s_or_b64 s[56:57], s[12:13], s[46:47]
	v_cndmask_b32_e64 v19, v15, v5, s[56:57]
	v_cndmask_b32_e64 v0, v116, v115, s[56:57]
	v_add_u32_e32 v16, 1, v19
	v_add_u32_e32 v0, -1, v0
	v_min_u32_e32 v0, v16, v0
	v_lshl_add_u32 v0, v0, 3, v12
	ds_read_b64 v[0:1], v0
	v_cndmask_b32_e64 v5, v5, v16, s[56:57]
	v_cndmask_b32_e64 v15, v16, v15, s[56:57]
	v_cmp_lt_u32_e64 s[58:59], v5, v115
	v_cmp_ge_u32_e64 s[12:13], v15, v116
	s_waitcnt lgkmcnt(0)
	v_cndmask_b32_e64 v37, v1, v18, s[56:57]
	v_cndmask_b32_e64 v36, v0, v17, s[56:57]
	v_cndmask_b32_e64 v49, v35, v1, s[56:57]
	v_cndmask_b32_e64 v48, v34, v0, s[56:57]
	;; [unrolled: 19-line block ×4, first 2 shown]
	v_cmp_le_i64_e64 s[58:59], v[54:55], v[64:65]
	v_lshl_add_u32 v21, v21, 3, v12
	s_and_b64 s[58:59], s[62:63], s[58:59]
	s_or_b64 s[58:59], s[12:13], s[58:59]
	v_cndmask_b32_e64 v24, v22, v23, s[58:59]
	v_cndmask_b32_e64 v0, v116, v115, s[58:59]
	v_add_u32_e32 v25, 1, v24
	v_add_u32_e32 v0, -1, v0
	v_min_u32_e32 v0, v25, v0
	v_lshl_add_u32 v0, v0, 3, v12
	ds_read_b64 v[15:16], v0
	v_cndmask_b32_e64 v26, v25, v22, s[58:59]
	ds_read_b64 v[21:22], v21 offset:32768
	v_cndmask_b32_e64 v23, v23, v25, s[58:59]
	v_cmp_lt_u32_e64 s[72:73], v23, v115
	s_waitcnt lgkmcnt(1)
	v_cndmask_b32_e64 v67, v16, v55, s[58:59]
	v_cndmask_b32_e64 v66, v15, v54, s[58:59]
	;; [unrolled: 1-line block ×4, first 2 shown]
	v_cmp_le_i64_e64 s[62:63], v[66:67], v[68:69]
	v_cmp_ge_u32_e64 s[12:13], v26, v116
	s_and_b64 s[62:63], s[72:73], s[62:63]
	s_or_b64 s[62:63], s[12:13], s[62:63]
	v_cndmask_b32_e64 v25, v26, v23, s[62:63]
	v_cndmask_b32_e64 v15, v116, v115, s[62:63]
	v_add_u32_e32 v27, 1, v25
	v_add_u32_e32 v15, -1, v15
	v_min_u32_e32 v15, v27, v15
	v_lshl_add_u32 v0, v4, 3, v12
	v_lshl_add_u32 v4, v19, 3, v12
	;; [unrolled: 1-line block ×3, first 2 shown]
	ds_read_b64 v[0:1], v0 offset:32768
	ds_read_b64 v[4:5], v4 offset:32768
	ds_read_b64 v[15:16], v15
	v_lshl_add_u32 v19, v20, 3, v12
	ds_read_b64 v[19:20], v19 offset:32768
	v_cndmask_b32_e64 v28, v27, v26, s[62:63]
	v_cndmask_b32_e64 v27, v23, v27, s[62:63]
	s_waitcnt lgkmcnt(1)
	v_cndmask_b32_e64 v71, v16, v67, s[62:63]
	v_cndmask_b32_e64 v70, v15, v66, s[62:63]
	;; [unrolled: 1-line block ×4, first 2 shown]
	v_cmp_le_i64_e64 s[72:73], v[70:71], v[80:81]
	v_cmp_lt_u32_e64 s[74:75], v27, v115
	v_cmp_ge_u32_e64 s[12:13], v28, v116
	s_and_b64 s[72:73], s[74:75], s[72:73]
	s_or_b64 s[72:73], s[12:13], s[72:73]
	v_cndmask_b32_e64 v29, v28, v27, s[72:73]
	v_cndmask_b32_e64 v15, v116, v115, s[72:73]
	v_add_u32_e32 v30, 1, v29
	v_add_u32_e32 v15, -1, v15
	v_min_u32_e32 v15, v30, v15
	v_lshl_add_u32 v15, v15, 3, v12
	ds_read_b64 v[15:16], v15
	v_lshl_add_u32 v23, v24, 3, v12
	v_cndmask_b32_e64 v33, v27, v30, s[72:73]
	v_lshl_add_u32 v27, v29, 3, v12
	ds_read_b64 v[23:24], v23 offset:32768
	v_cndmask_b32_e64 v32, v30, v28, s[72:73]
	ds_read_b64 v[27:28], v27 offset:32768
	s_waitcnt lgkmcnt(2)
	v_cndmask_b32_e64 v83, v16, v71, s[72:73]
	v_cndmask_b32_e64 v82, v15, v70, s[72:73]
	;; [unrolled: 1-line block ×4, first 2 shown]
	v_cmp_le_i64_e64 s[74:75], v[82:83], v[84:85]
	v_cmp_lt_u32_e64 s[76:77], v33, v115
	v_cmp_ge_u32_e64 s[12:13], v32, v116
	s_and_b64 s[74:75], s[76:77], s[74:75]
	s_or_b64 s[74:75], s[12:13], s[74:75]
	v_cndmask_b32_e64 v30, v32, v33, s[74:75]
	v_cndmask_b32_e64 v15, v116, v115, s[74:75]
	v_add_u32_e32 v38, 1, v30
	v_add_u32_e32 v15, -1, v15
	v_min_u32_e32 v15, v38, v15
	v_lshl_add_u32 v25, v25, 3, v12
	v_lshl_add_u32 v15, v15, 3, v12
	v_lshl_add_u32 v29, v30, 3, v12
	ds_read_b64 v[25:26], v25 offset:32768
	ds_read_b64 v[29:30], v29 offset:32768
	ds_read_b64 v[15:16], v15
	v_cndmask_b32_e64 v101, v33, v38, s[74:75]
	v_cndmask_b32_e64 v100, v38, v32, s[74:75]
	v_cmp_lt_u32_e64 s[78:79], v101, v115
	v_cmp_ge_u32_e64 s[12:13], v100, v116
	s_waitcnt lgkmcnt(0)
	v_cndmask_b32_e64 v87, v16, v83, s[74:75]
	v_cndmask_b32_e64 v86, v15, v82, s[74:75]
	;; [unrolled: 1-line block ×4, first 2 shown]
	v_cmp_le_i64_e64 s[76:77], v[86:87], v[96:97]
	s_and_b64 s[76:77], s[78:79], s[76:77]
	s_or_b64 s[76:77], s[12:13], s[76:77]
	v_cndmask_b32_e64 v15, v100, v101, s[76:77]
	v_cndmask_b32_e64 v16, v116, v115, s[76:77]
	v_lshl_add_u32 v32, v15, 3, v12
	v_add_u32_e32 v102, 1, v15
	v_add_u32_e32 v15, -1, v16
	v_min_u32_e32 v15, v102, v15
	v_lshl_add_u32 v15, v15, 3, v12
	ds_read_b64 v[32:33], v32 offset:32768
	ds_read_b64 v[38:39], v15
	v_cndmask_b32_e64 v16, v11, v9, s[8:9]
	v_cndmask_b32_e64 v15, v10, v8, s[8:9]
	;; [unrolled: 1-line block ×4, first 2 shown]
	s_waitcnt lgkmcnt(0)
	v_cndmask_b32_e64 v18, v39, v87, s[76:77]
	v_cndmask_b32_e64 v17, v38, v86, s[76:77]
	;; [unrolled: 1-line block ×5, first 2 shown]
	v_cmp_le_i64_e64 s[12:13], v[17:18], v[98:99]
	v_cndmask_b32_e64 v8, v102, v100, s[76:77]
	v_cmp_lt_u32_e64 s[56:57], v11, v115
	v_cmp_ge_u32_e64 s[8:9], v8, v116
	s_and_b64 s[12:13], s[56:57], s[12:13]
	s_or_b64 s[8:9], s[8:9], s[12:13]
	v_cndmask_b32_e64 v34, v8, v11, s[8:9]
	v_cndmask_b32_e64 v35, v116, v115, s[8:9]
	v_lshl_add_u32 v38, v34, 3, v12
	v_add_u32_e32 v117, 1, v34
	v_add_u32_e32 v34, -1, v35
	v_min_u32_e32 v34, v117, v34
	v_lshl_add_u32 v34, v34, 3, v12
	ds_read_b64 v[38:39], v38 offset:32768
	ds_read_b64 v[100:101], v34
	v_cndmask_b32_e64 v35, v37, v49, s[46:47]
	v_cndmask_b32_e64 v34, v36, v48, s[46:47]
	;; [unrolled: 1-line block ×4, first 2 shown]
	s_waitcnt lgkmcnt(0)
	v_cndmask_b32_e64 v103, v101, v18, s[8:9]
	v_cndmask_b32_e64 v102, v100, v17, s[8:9]
	;; [unrolled: 1-line block ×4, first 2 shown]
	v_cmp_le_i64_e64 s[46:47], v[102:103], v[112:113]
	v_cmp_lt_u32_e64 s[56:57], v11, v115
	v_cmp_ge_u32_e64 s[12:13], v8, v116
	s_and_b64 s[46:47], s[56:57], s[46:47]
	s_or_b64 s[46:47], s[12:13], s[46:47]
	v_cndmask_b32_e64 v48, v8, v11, s[46:47]
	v_cndmask_b32_e64 v49, v116, v115, s[46:47]
	;; [unrolled: 1-line block ×3, first 2 shown]
	v_lshl_add_u32 v50, v48, 3, v12
	v_add_u32_e32 v119, 1, v48
	v_add_u32_e32 v48, -1, v49
	v_min_u32_e32 v48, v119, v48
	v_cndmask_b32_e64 v37, v51, v53, s[60:61]
	v_lshl_add_u32 v48, v48, 3, v12
	ds_read_b64 v[52:53], v50 offset:32768
	ds_read_b64 v[100:101], v48
	v_cndmask_b32_e64 v51, v67, v69, s[62:63]
	v_cndmask_b32_e64 v50, v66, v68, s[62:63]
	;; [unrolled: 1-line block ×4, first 2 shown]
	s_waitcnt lgkmcnt(0)
	v_cndmask_b32_e64 v69, v101, v103, s[46:47]
	v_cndmask_b32_e64 v68, v100, v102, s[46:47]
	;; [unrolled: 1-line block ×4, first 2 shown]
	v_cmp_le_i64_e64 s[56:57], v[68:69], v[117:118]
	v_cndmask_b32_e64 v48, v54, v64, s[58:59]
	v_cndmask_b32_e64 v8, v119, v8, s[46:47]
	v_cmp_lt_u32_e64 s[58:59], v11, v115
	v_cmp_ge_u32_e64 s[12:13], v8, v116
	s_and_b64 s[56:57], s[58:59], s[56:57]
	s_or_b64 s[12:13], s[12:13], s[56:57]
	v_cndmask_b32_e64 v54, v8, v11, s[12:13]
	v_cndmask_b32_e64 v55, v116, v115, s[12:13]
	v_lshl_add_u32 v64, v54, 3, v12
	v_add_u32_e32 v119, 1, v54
	v_add_u32_e32 v54, -1, v55
	v_min_u32_e32 v54, v119, v54
	v_lshl_add_u32 v54, v54, 3, v12
	ds_read_b64 v[66:67], v64 offset:32768
	ds_read_b64 v[100:101], v54
	v_cndmask_b32_e64 v11, v11, v119, s[12:13]
	v_cndmask_b32_e64 v8, v119, v8, s[12:13]
	v_cmp_lt_u32_e64 s[60:61], v11, v115
	v_cmp_ge_u32_e64 s[56:57], v8, v116
	s_waitcnt lgkmcnt(0)
	v_cndmask_b32_e64 v129, v101, v69, s[12:13]
	v_cndmask_b32_e64 v128, v100, v68, s[12:13]
	;; [unrolled: 1-line block ×4, first 2 shown]
	v_cmp_le_i64_e64 s[58:59], v[128:129], v[130:131]
	v_cndmask_b32_e64 v55, v71, v81, s[72:73]
	s_and_b64 s[58:59], s[60:61], s[58:59]
	s_or_b64 s[56:57], s[56:57], s[58:59]
	v_cndmask_b32_e64 v54, v70, v80, s[72:73]
	v_cndmask_b32_e64 v70, v8, v11, s[56:57]
	;; [unrolled: 1-line block ×3, first 2 shown]
	v_lshl_add_u32 v80, v70, 3, v12
	v_add_u32_e32 v100, 1, v70
	v_add_u32_e32 v70, -1, v71
	v_min_u32_e32 v70, v100, v70
	v_lshl_add_u32 v70, v70, 3, v12
	v_cndmask_b32_e64 v65, v83, v85, s[74:75]
	v_cndmask_b32_e64 v64, v82, v84, s[74:75]
	ds_read_b64 v[84:85], v80 offset:32768
	ds_read_b64 v[70:71], v70
	v_cndmask_b32_e64 v83, v18, v99, s[8:9]
	v_cndmask_b32_e64 v82, v17, v98, s[8:9]
	;; [unrolled: 1-line block ×4, first 2 shown]
	s_waitcnt lgkmcnt(0)
	v_cndmask_b32_e64 v18, v71, v129, s[56:57]
	v_cndmask_b32_e64 v17, v70, v128, s[56:57]
	;; [unrolled: 1-line block ×4, first 2 shown]
	v_cmp_le_i64_e64 s[58:59], v[17:18], v[132:133]
	v_cmp_lt_u32_e64 s[60:61], v11, v115
	v_cmp_ge_u32_e64 s[8:9], v8, v116
	s_and_b64 s[58:59], s[60:61], s[58:59]
	s_or_b64 s[8:9], s[8:9], s[58:59]
	v_cndmask_b32_e64 v70, v8, v11, s[8:9]
	v_cndmask_b32_e64 v71, v116, v115, s[8:9]
	v_cndmask_b32_e64 v80, v86, v96, s[76:77]
	v_lshl_add_u32 v86, v70, 3, v12
	v_add_u32_e32 v96, 1, v70
	v_add_u32_e32 v70, -1, v71
	v_min_u32_e32 v70, v96, v70
	v_lshl_add_u32 v70, v70, 3, v12
	ds_read_b64 v[100:101], v86 offset:32768
	ds_read_b64 v[70:71], v70
	v_cndmask_b32_e64 v81, v87, v97, s[76:77]
	v_cndmask_b32_e64 v87, v103, v113, s[46:47]
	;; [unrolled: 1-line block ×5, first 2 shown]
	s_waitcnt lgkmcnt(0)
	v_cndmask_b32_e64 v113, v71, v18, s[8:9]
	v_cndmask_b32_e64 v112, v70, v17, s[8:9]
	;; [unrolled: 1-line block ×5, first 2 shown]
	v_cmp_le_i64_e64 s[46:47], v[112:113], v[117:118]
	v_cndmask_b32_e64 v8, v96, v8, s[8:9]
	v_cmp_lt_u32_e64 s[58:59], v11, v115
	v_cmp_ge_u32_e64 s[12:13], v8, v116
	s_and_b64 s[46:47], s[58:59], s[46:47]
	s_or_b64 s[12:13], s[12:13], s[46:47]
	v_cndmask_b32_e64 v68, v8, v11, s[12:13]
	v_cndmask_b32_e64 v69, v116, v115, s[12:13]
	v_lshl_add_u32 v70, v68, 3, v12
	v_add_u32_e32 v119, 1, v68
	v_add_u32_e32 v68, -1, v69
	v_min_u32_e32 v68, v119, v68
	v_lshl_add_u32 v68, v68, 3, v12
	ds_read_b64 v[70:71], v70 offset:32768
	ds_read_b64 v[102:103], v68
	v_cndmask_b32_e64 v97, v129, v131, s[56:57]
	v_cndmask_b32_e64 v96, v128, v130, s[56:57]
	;; [unrolled: 1-line block ×4, first 2 shown]
	s_waitcnt lgkmcnt(0)
	v_cndmask_b32_e64 v18, v103, v113, s[12:13]
	v_cndmask_b32_e64 v17, v102, v112, s[12:13]
	;; [unrolled: 1-line block ×5, first 2 shown]
	v_cmp_le_i64_e64 s[46:47], v[17:18], v[128:129]
	v_cndmask_b32_e64 v8, v119, v8, s[12:13]
	v_cmp_lt_u32_e64 s[56:57], v11, v115
	v_cmp_ge_u32_e64 s[8:9], v8, v116
	s_and_b64 s[46:47], s[56:57], s[46:47]
	s_or_b64 s[8:9], s[8:9], s[46:47]
	v_cndmask_b32_e64 v8, v8, v11, s[8:9]
	v_lshl_add_u32 v8, v8, 3, v12
	ds_read_b64 v[102:103], v8 offset:32768
	v_cndmask_b32_e64 v113, v113, v118, s[12:13]
	v_cndmask_b32_e64 v112, v112, v117, s[12:13]
	;; [unrolled: 1-line block ×4, first 2 shown]
.LBB718_596:
	s_or_b64 exec, exec, s[92:93]
	v_add_u32_e32 v8, 0x8000, v114
	; wave barrier
	ds_write2_b64 v114, v[15:16], v[9:10] offset1:1
	ds_write2_b64 v8, v[0:1], v[4:5] offset1:1
	v_add_u32_e32 v8, 0x8010, v114
	ds_write2_b64 v114, v[34:35], v[36:37] offset0:2 offset1:3
	ds_write2_b64 v8, v[19:20], v[21:22] offset1:1
	v_add_u32_e32 v8, 0x8020, v114
	ds_write2_b64 v114, v[48:49], v[50:51] offset0:4 offset1:5
	;; [unrolled: 3-line block ×7, first 2 shown]
	s_waitcnt lgkmcnt(14)
	ds_write2_b64 v8, v[70:71], v[102:103] offset1:1
	v_and_b32_e32 v8, 0x780, v161
	v_or_b32_e32 v11, 64, v8
	v_min_u32_e32 v115, v31, v11
	v_add_u32_e32 v11, 64, v115
	v_min_u32_e32 v116, v31, v11
	v_and_b32_e32 v11, 0x70, v161
	v_min_u32_e32 v119, v31, v11
	v_sub_u32_e32 v118, v115, v8
	v_sub_u32_e32 v117, v116, v115
	v_sub_u32_e64 v117, v119, v117 clamp
	v_min_u32_e32 v118, v119, v118
	v_lshl_add_u32 v11, v8, 3, v12
	v_cmp_lt_u32_e64 s[8:9], v117, v118
	; wave barrier
	s_and_saveexec_b64 s[12:13], s[8:9]
	s_cbranch_execz .LBB718_600
; %bb.597:
	v_lshlrev_b32_e32 v128, 3, v115
	v_lshlrev_b32_e32 v129, 3, v119
	v_add3_u32 v128, v12, v128, v129
	s_mov_b64 s[46:47], 0
.LBB718_598:                            ; =>This Inner Loop Header: Depth=1
	v_add_u32_e32 v129, v118, v117
	v_lshrrev_b32_e32 v133, 1, v129
	v_not_b32_e32 v129, v133
	v_lshl_add_u32 v130, v133, 3, v11
	v_lshl_add_u32 v131, v129, 3, v128
	ds_read_b64 v[129:130], v130
	ds_read_b64 v[131:132], v131
	v_add_u32_e32 v134, 1, v133
	s_waitcnt lgkmcnt(0)
	v_cmp_gt_i64_e64 s[8:9], v[131:132], v[129:130]
	v_cndmask_b32_e64 v118, v118, v133, s[8:9]
	v_cndmask_b32_e64 v117, v134, v117, s[8:9]
	v_cmp_ge_u32_e64 s[8:9], v117, v118
	s_or_b64 s[46:47], s[8:9], s[46:47]
	s_andn2_b64 exec, exec, s[46:47]
	s_cbranch_execnz .LBB718_598
; %bb.599:
	s_or_b64 exec, exec, s[46:47]
.LBB718_600:
	s_or_b64 exec, exec, s[12:13]
	v_add_u32_e32 v118, v117, v8
	v_add_u32_e32 v8, v115, v119
	v_sub_u32_e32 v119, v8, v117
	v_cmp_le_u32_e64 s[8:9], v118, v115
	v_cmp_le_u32_e64 s[12:13], v119, v116
	s_or_b64 s[8:9], s[8:9], s[12:13]
	s_and_saveexec_b64 s[92:93], s[8:9]
	s_cbranch_execz .LBB718_606
; %bb.601:
	v_cmp_lt_u32_e64 s[8:9], v118, v115
                                        ; implicit-def: $vgpr8_vgpr9
	s_and_saveexec_b64 s[12:13], s[8:9]
; %bb.602:
	v_lshl_add_u32 v0, v117, 3, v11
	ds_read_b64 v[8:9], v0
; %bb.603:
	s_or_b64 exec, exec, s[12:13]
	v_cmp_ge_u32_e64 s[46:47], v119, v116
	v_cmp_lt_u32_e64 s[12:13], v119, v116
                                        ; implicit-def: $vgpr10_vgpr11
	s_and_saveexec_b64 s[56:57], s[12:13]
; %bb.604:
	v_lshl_add_u32 v0, v119, 3, v12
	ds_read_b64 v[10:11], v0
; %bb.605:
	s_or_b64 exec, exec, s[56:57]
	s_waitcnt lgkmcnt(0)
	v_cmp_le_i64_e64 s[12:13], v[10:11], v[8:9]
	s_and_b64 s[8:9], s[8:9], s[12:13]
	s_or_b64 s[8:9], s[46:47], s[8:9]
	v_cndmask_b32_e64 v4, v119, v118, s[8:9]
	v_cndmask_b32_e64 v0, v116, v115, s[8:9]
	v_add_u32_e32 v5, 1, v4
	v_add_u32_e32 v0, -1, v0
	v_min_u32_e32 v0, v5, v0
	v_lshl_add_u32 v0, v0, 3, v12
	ds_read_b64 v[0:1], v0
	v_cndmask_b32_e64 v15, v5, v119, s[8:9]
	v_cndmask_b32_e64 v5, v118, v5, s[8:9]
	v_cmp_lt_u32_e64 s[56:57], v5, v115
	v_cmp_ge_u32_e64 s[12:13], v15, v116
	s_waitcnt lgkmcnt(0)
	v_cndmask_b32_e64 v18, v1, v11, s[8:9]
	v_cndmask_b32_e64 v17, v0, v10, s[8:9]
	v_cndmask_b32_e64 v35, v9, v1, s[8:9]
	v_cndmask_b32_e64 v34, v8, v0, s[8:9]
	v_cmp_le_i64_e64 s[46:47], v[17:18], v[34:35]
	s_and_b64 s[46:47], s[56:57], s[46:47]
	s_or_b64 s[56:57], s[12:13], s[46:47]
	v_cndmask_b32_e64 v19, v15, v5, s[56:57]
	v_cndmask_b32_e64 v0, v116, v115, s[56:57]
	v_add_u32_e32 v16, 1, v19
	v_add_u32_e32 v0, -1, v0
	v_min_u32_e32 v0, v16, v0
	v_lshl_add_u32 v0, v0, 3, v12
	ds_read_b64 v[0:1], v0
	v_cndmask_b32_e64 v5, v5, v16, s[56:57]
	v_cndmask_b32_e64 v15, v16, v15, s[56:57]
	v_cmp_lt_u32_e64 s[58:59], v5, v115
	v_cmp_ge_u32_e64 s[12:13], v15, v116
	s_waitcnt lgkmcnt(0)
	v_cndmask_b32_e64 v37, v1, v18, s[56:57]
	v_cndmask_b32_e64 v36, v0, v17, s[56:57]
	v_cndmask_b32_e64 v49, v35, v1, s[56:57]
	v_cndmask_b32_e64 v48, v34, v0, s[56:57]
	;; [unrolled: 19-line block ×4, first 2 shown]
	v_cmp_le_i64_e64 s[58:59], v[54:55], v[64:65]
	v_lshl_add_u32 v21, v21, 3, v12
	s_and_b64 s[58:59], s[62:63], s[58:59]
	s_or_b64 s[58:59], s[12:13], s[58:59]
	v_cndmask_b32_e64 v24, v22, v23, s[58:59]
	v_cndmask_b32_e64 v0, v116, v115, s[58:59]
	v_add_u32_e32 v25, 1, v24
	v_add_u32_e32 v0, -1, v0
	v_min_u32_e32 v0, v25, v0
	v_lshl_add_u32 v0, v0, 3, v12
	ds_read_b64 v[15:16], v0
	v_cndmask_b32_e64 v26, v25, v22, s[58:59]
	ds_read_b64 v[21:22], v21 offset:32768
	v_cndmask_b32_e64 v23, v23, v25, s[58:59]
	v_cmp_lt_u32_e64 s[72:73], v23, v115
	s_waitcnt lgkmcnt(1)
	v_cndmask_b32_e64 v67, v16, v55, s[58:59]
	v_cndmask_b32_e64 v66, v15, v54, s[58:59]
	;; [unrolled: 1-line block ×4, first 2 shown]
	v_cmp_le_i64_e64 s[62:63], v[66:67], v[68:69]
	v_cmp_ge_u32_e64 s[12:13], v26, v116
	s_and_b64 s[62:63], s[72:73], s[62:63]
	s_or_b64 s[62:63], s[12:13], s[62:63]
	v_cndmask_b32_e64 v25, v26, v23, s[62:63]
	v_cndmask_b32_e64 v15, v116, v115, s[62:63]
	v_add_u32_e32 v27, 1, v25
	v_add_u32_e32 v15, -1, v15
	v_min_u32_e32 v15, v27, v15
	v_lshl_add_u32 v0, v4, 3, v12
	v_lshl_add_u32 v4, v19, 3, v12
	;; [unrolled: 1-line block ×3, first 2 shown]
	ds_read_b64 v[0:1], v0 offset:32768
	ds_read_b64 v[4:5], v4 offset:32768
	ds_read_b64 v[15:16], v15
	v_lshl_add_u32 v19, v20, 3, v12
	ds_read_b64 v[19:20], v19 offset:32768
	v_cndmask_b32_e64 v28, v27, v26, s[62:63]
	v_cndmask_b32_e64 v27, v23, v27, s[62:63]
	s_waitcnt lgkmcnt(1)
	v_cndmask_b32_e64 v71, v16, v67, s[62:63]
	v_cndmask_b32_e64 v70, v15, v66, s[62:63]
	v_cndmask_b32_e64 v81, v69, v16, s[62:63]
	v_cndmask_b32_e64 v80, v68, v15, s[62:63]
	v_cmp_le_i64_e64 s[72:73], v[70:71], v[80:81]
	v_cmp_lt_u32_e64 s[74:75], v27, v115
	v_cmp_ge_u32_e64 s[12:13], v28, v116
	s_and_b64 s[72:73], s[74:75], s[72:73]
	s_or_b64 s[72:73], s[12:13], s[72:73]
	v_cndmask_b32_e64 v29, v28, v27, s[72:73]
	v_cndmask_b32_e64 v15, v116, v115, s[72:73]
	v_add_u32_e32 v30, 1, v29
	v_add_u32_e32 v15, -1, v15
	v_min_u32_e32 v15, v30, v15
	v_lshl_add_u32 v15, v15, 3, v12
	ds_read_b64 v[15:16], v15
	v_lshl_add_u32 v23, v24, 3, v12
	v_cndmask_b32_e64 v33, v27, v30, s[72:73]
	v_lshl_add_u32 v27, v29, 3, v12
	ds_read_b64 v[23:24], v23 offset:32768
	v_cndmask_b32_e64 v32, v30, v28, s[72:73]
	ds_read_b64 v[27:28], v27 offset:32768
	s_waitcnt lgkmcnt(2)
	v_cndmask_b32_e64 v83, v16, v71, s[72:73]
	v_cndmask_b32_e64 v82, v15, v70, s[72:73]
	;; [unrolled: 1-line block ×4, first 2 shown]
	v_cmp_le_i64_e64 s[74:75], v[82:83], v[84:85]
	v_cmp_lt_u32_e64 s[76:77], v33, v115
	v_cmp_ge_u32_e64 s[12:13], v32, v116
	s_and_b64 s[74:75], s[76:77], s[74:75]
	s_or_b64 s[74:75], s[12:13], s[74:75]
	v_cndmask_b32_e64 v30, v32, v33, s[74:75]
	v_cndmask_b32_e64 v15, v116, v115, s[74:75]
	v_add_u32_e32 v38, 1, v30
	v_add_u32_e32 v15, -1, v15
	v_min_u32_e32 v15, v38, v15
	v_lshl_add_u32 v25, v25, 3, v12
	v_lshl_add_u32 v15, v15, 3, v12
	;; [unrolled: 1-line block ×3, first 2 shown]
	ds_read_b64 v[25:26], v25 offset:32768
	ds_read_b64 v[29:30], v29 offset:32768
	ds_read_b64 v[15:16], v15
	v_cndmask_b32_e64 v101, v33, v38, s[74:75]
	v_cndmask_b32_e64 v100, v38, v32, s[74:75]
	v_cmp_lt_u32_e64 s[78:79], v101, v115
	v_cmp_ge_u32_e64 s[12:13], v100, v116
	s_waitcnt lgkmcnt(0)
	v_cndmask_b32_e64 v87, v16, v83, s[74:75]
	v_cndmask_b32_e64 v86, v15, v82, s[74:75]
	v_cndmask_b32_e64 v97, v85, v16, s[74:75]
	v_cndmask_b32_e64 v96, v84, v15, s[74:75]
	v_cmp_le_i64_e64 s[76:77], v[86:87], v[96:97]
	s_and_b64 s[76:77], s[78:79], s[76:77]
	s_or_b64 s[76:77], s[12:13], s[76:77]
	v_cndmask_b32_e64 v15, v100, v101, s[76:77]
	v_cndmask_b32_e64 v16, v116, v115, s[76:77]
	v_lshl_add_u32 v32, v15, 3, v12
	v_add_u32_e32 v102, 1, v15
	v_add_u32_e32 v15, -1, v16
	v_min_u32_e32 v15, v102, v15
	v_lshl_add_u32 v15, v15, 3, v12
	ds_read_b64 v[32:33], v32 offset:32768
	ds_read_b64 v[38:39], v15
	v_cndmask_b32_e64 v16, v11, v9, s[8:9]
	v_cndmask_b32_e64 v15, v10, v8, s[8:9]
	;; [unrolled: 1-line block ×4, first 2 shown]
	s_waitcnt lgkmcnt(0)
	v_cndmask_b32_e64 v18, v39, v87, s[76:77]
	v_cndmask_b32_e64 v17, v38, v86, s[76:77]
	v_cndmask_b32_e64 v99, v97, v39, s[76:77]
	v_cndmask_b32_e64 v98, v96, v38, s[76:77]
	v_cndmask_b32_e64 v11, v101, v102, s[76:77]
	v_cmp_le_i64_e64 s[12:13], v[17:18], v[98:99]
	v_cndmask_b32_e64 v8, v102, v100, s[76:77]
	v_cmp_lt_u32_e64 s[56:57], v11, v115
	v_cmp_ge_u32_e64 s[8:9], v8, v116
	s_and_b64 s[12:13], s[56:57], s[12:13]
	s_or_b64 s[8:9], s[8:9], s[12:13]
	v_cndmask_b32_e64 v34, v8, v11, s[8:9]
	v_cndmask_b32_e64 v35, v116, v115, s[8:9]
	v_lshl_add_u32 v38, v34, 3, v12
	v_add_u32_e32 v117, 1, v34
	v_add_u32_e32 v34, -1, v35
	v_min_u32_e32 v34, v117, v34
	v_lshl_add_u32 v34, v34, 3, v12
	ds_read_b64 v[38:39], v38 offset:32768
	ds_read_b64 v[100:101], v34
	v_cndmask_b32_e64 v35, v37, v49, s[46:47]
	v_cndmask_b32_e64 v34, v36, v48, s[46:47]
	;; [unrolled: 1-line block ×4, first 2 shown]
	s_waitcnt lgkmcnt(0)
	v_cndmask_b32_e64 v103, v101, v18, s[8:9]
	v_cndmask_b32_e64 v102, v100, v17, s[8:9]
	;; [unrolled: 1-line block ×4, first 2 shown]
	v_cmp_le_i64_e64 s[46:47], v[102:103], v[112:113]
	v_cmp_lt_u32_e64 s[56:57], v11, v115
	v_cmp_ge_u32_e64 s[12:13], v8, v116
	s_and_b64 s[46:47], s[56:57], s[46:47]
	s_or_b64 s[46:47], s[12:13], s[46:47]
	v_cndmask_b32_e64 v48, v8, v11, s[46:47]
	v_cndmask_b32_e64 v49, v116, v115, s[46:47]
	;; [unrolled: 1-line block ×3, first 2 shown]
	v_lshl_add_u32 v50, v48, 3, v12
	v_add_u32_e32 v119, 1, v48
	v_add_u32_e32 v48, -1, v49
	v_min_u32_e32 v48, v119, v48
	v_cndmask_b32_e64 v37, v51, v53, s[60:61]
	v_lshl_add_u32 v48, v48, 3, v12
	ds_read_b64 v[52:53], v50 offset:32768
	ds_read_b64 v[100:101], v48
	v_cndmask_b32_e64 v51, v67, v69, s[62:63]
	v_cndmask_b32_e64 v50, v66, v68, s[62:63]
	;; [unrolled: 1-line block ×4, first 2 shown]
	s_waitcnt lgkmcnt(0)
	v_cndmask_b32_e64 v69, v101, v103, s[46:47]
	v_cndmask_b32_e64 v68, v100, v102, s[46:47]
	;; [unrolled: 1-line block ×4, first 2 shown]
	v_cmp_le_i64_e64 s[56:57], v[68:69], v[117:118]
	v_cndmask_b32_e64 v48, v54, v64, s[58:59]
	v_cndmask_b32_e64 v8, v119, v8, s[46:47]
	v_cmp_lt_u32_e64 s[58:59], v11, v115
	v_cmp_ge_u32_e64 s[12:13], v8, v116
	s_and_b64 s[56:57], s[58:59], s[56:57]
	s_or_b64 s[12:13], s[12:13], s[56:57]
	v_cndmask_b32_e64 v54, v8, v11, s[12:13]
	v_cndmask_b32_e64 v55, v116, v115, s[12:13]
	v_lshl_add_u32 v64, v54, 3, v12
	v_add_u32_e32 v119, 1, v54
	v_add_u32_e32 v54, -1, v55
	v_min_u32_e32 v54, v119, v54
	v_lshl_add_u32 v54, v54, 3, v12
	ds_read_b64 v[66:67], v64 offset:32768
	ds_read_b64 v[100:101], v54
	v_cndmask_b32_e64 v11, v11, v119, s[12:13]
	v_cndmask_b32_e64 v8, v119, v8, s[12:13]
	v_cmp_lt_u32_e64 s[60:61], v11, v115
	v_cmp_ge_u32_e64 s[56:57], v8, v116
	s_waitcnt lgkmcnt(0)
	v_cndmask_b32_e64 v129, v101, v69, s[12:13]
	v_cndmask_b32_e64 v128, v100, v68, s[12:13]
	;; [unrolled: 1-line block ×4, first 2 shown]
	v_cmp_le_i64_e64 s[58:59], v[128:129], v[130:131]
	v_cndmask_b32_e64 v55, v71, v81, s[72:73]
	s_and_b64 s[58:59], s[60:61], s[58:59]
	s_or_b64 s[56:57], s[56:57], s[58:59]
	v_cndmask_b32_e64 v54, v70, v80, s[72:73]
	v_cndmask_b32_e64 v70, v8, v11, s[56:57]
	;; [unrolled: 1-line block ×3, first 2 shown]
	v_lshl_add_u32 v80, v70, 3, v12
	v_add_u32_e32 v100, 1, v70
	v_add_u32_e32 v70, -1, v71
	v_min_u32_e32 v70, v100, v70
	v_lshl_add_u32 v70, v70, 3, v12
	v_cndmask_b32_e64 v65, v83, v85, s[74:75]
	v_cndmask_b32_e64 v64, v82, v84, s[74:75]
	ds_read_b64 v[84:85], v80 offset:32768
	ds_read_b64 v[70:71], v70
	v_cndmask_b32_e64 v83, v18, v99, s[8:9]
	v_cndmask_b32_e64 v82, v17, v98, s[8:9]
	;; [unrolled: 1-line block ×4, first 2 shown]
	s_waitcnt lgkmcnt(0)
	v_cndmask_b32_e64 v18, v71, v129, s[56:57]
	v_cndmask_b32_e64 v17, v70, v128, s[56:57]
	;; [unrolled: 1-line block ×4, first 2 shown]
	v_cmp_le_i64_e64 s[58:59], v[17:18], v[132:133]
	v_cmp_lt_u32_e64 s[60:61], v11, v115
	v_cmp_ge_u32_e64 s[8:9], v8, v116
	s_and_b64 s[58:59], s[60:61], s[58:59]
	s_or_b64 s[8:9], s[8:9], s[58:59]
	v_cndmask_b32_e64 v70, v8, v11, s[8:9]
	v_cndmask_b32_e64 v71, v116, v115, s[8:9]
	;; [unrolled: 1-line block ×3, first 2 shown]
	v_lshl_add_u32 v86, v70, 3, v12
	v_add_u32_e32 v96, 1, v70
	v_add_u32_e32 v70, -1, v71
	v_min_u32_e32 v70, v96, v70
	v_lshl_add_u32 v70, v70, 3, v12
	ds_read_b64 v[100:101], v86 offset:32768
	ds_read_b64 v[70:71], v70
	v_cndmask_b32_e64 v81, v87, v97, s[76:77]
	v_cndmask_b32_e64 v87, v103, v113, s[46:47]
	;; [unrolled: 1-line block ×5, first 2 shown]
	s_waitcnt lgkmcnt(0)
	v_cndmask_b32_e64 v113, v71, v18, s[8:9]
	v_cndmask_b32_e64 v112, v70, v17, s[8:9]
	;; [unrolled: 1-line block ×5, first 2 shown]
	v_cmp_le_i64_e64 s[46:47], v[112:113], v[117:118]
	v_cndmask_b32_e64 v8, v96, v8, s[8:9]
	v_cmp_lt_u32_e64 s[58:59], v11, v115
	v_cmp_ge_u32_e64 s[12:13], v8, v116
	s_and_b64 s[46:47], s[58:59], s[46:47]
	s_or_b64 s[12:13], s[12:13], s[46:47]
	v_cndmask_b32_e64 v68, v8, v11, s[12:13]
	v_cndmask_b32_e64 v69, v116, v115, s[12:13]
	v_lshl_add_u32 v70, v68, 3, v12
	v_add_u32_e32 v119, 1, v68
	v_add_u32_e32 v68, -1, v69
	v_min_u32_e32 v68, v119, v68
	v_lshl_add_u32 v68, v68, 3, v12
	ds_read_b64 v[70:71], v70 offset:32768
	ds_read_b64 v[102:103], v68
	v_cndmask_b32_e64 v97, v129, v131, s[56:57]
	v_cndmask_b32_e64 v96, v128, v130, s[56:57]
	;; [unrolled: 1-line block ×4, first 2 shown]
	s_waitcnt lgkmcnt(0)
	v_cndmask_b32_e64 v18, v103, v113, s[12:13]
	v_cndmask_b32_e64 v17, v102, v112, s[12:13]
	;; [unrolled: 1-line block ×5, first 2 shown]
	v_cmp_le_i64_e64 s[46:47], v[17:18], v[128:129]
	v_cndmask_b32_e64 v8, v119, v8, s[12:13]
	v_cmp_lt_u32_e64 s[56:57], v11, v115
	v_cmp_ge_u32_e64 s[8:9], v8, v116
	s_and_b64 s[46:47], s[56:57], s[46:47]
	s_or_b64 s[8:9], s[8:9], s[46:47]
	v_cndmask_b32_e64 v8, v8, v11, s[8:9]
	v_lshl_add_u32 v8, v8, 3, v12
	ds_read_b64 v[102:103], v8 offset:32768
	v_cndmask_b32_e64 v113, v113, v118, s[12:13]
	v_cndmask_b32_e64 v112, v112, v117, s[12:13]
	;; [unrolled: 1-line block ×4, first 2 shown]
.LBB718_606:
	s_or_b64 exec, exec, s[92:93]
	v_add_u32_e32 v8, 0x8000, v114
	; wave barrier
	ds_write2_b64 v114, v[15:16], v[9:10] offset1:1
	ds_write2_b64 v8, v[0:1], v[4:5] offset1:1
	v_add_u32_e32 v8, 0x8010, v114
	ds_write2_b64 v114, v[34:35], v[36:37] offset0:2 offset1:3
	ds_write2_b64 v8, v[19:20], v[21:22] offset1:1
	v_add_u32_e32 v8, 0x8020, v114
	ds_write2_b64 v114, v[48:49], v[50:51] offset0:4 offset1:5
	;; [unrolled: 3-line block ×7, first 2 shown]
	s_waitcnt lgkmcnt(14)
	ds_write2_b64 v8, v[70:71], v[102:103] offset1:1
	v_and_b32_e32 v8, 0x700, v161
	v_or_b32_e32 v11, 0x80, v8
	v_min_u32_e32 v114, v31, v11
	v_add_u32_e32 v11, 0x80, v114
	v_min_u32_e32 v115, v31, v11
	v_min_u32_e32 v117, v31, v162
	v_sub_u32_e32 v116, v114, v8
	v_sub_u32_e32 v31, v115, v114
	v_sub_u32_e64 v31, v117, v31 clamp
	v_min_u32_e32 v116, v117, v116
	v_lshl_add_u32 v11, v8, 3, v12
	v_cmp_lt_u32_e64 s[8:9], v31, v116
	; wave barrier
	s_and_saveexec_b64 s[12:13], s[8:9]
	s_cbranch_execz .LBB718_610
; %bb.607:
	v_lshlrev_b32_e32 v118, 3, v114
	v_lshlrev_b32_e32 v119, 3, v117
	v_add3_u32 v118, v12, v118, v119
	s_mov_b64 s[46:47], 0
.LBB718_608:                            ; =>This Inner Loop Header: Depth=1
	v_add_u32_e32 v119, v116, v31
	v_lshrrev_b32_e32 v119, 1, v119
	v_not_b32_e32 v128, v119
	v_lshl_add_u32 v129, v119, 3, v11
	v_lshl_add_u32 v130, v128, 3, v118
	ds_read_b64 v[128:129], v129
	ds_read_b64 v[130:131], v130
	v_add_u32_e32 v132, 1, v119
	s_waitcnt lgkmcnt(0)
	v_cmp_gt_i64_e64 s[8:9], v[130:131], v[128:129]
	v_cndmask_b32_e64 v116, v116, v119, s[8:9]
	v_cndmask_b32_e64 v31, v132, v31, s[8:9]
	v_cmp_ge_u32_e64 s[8:9], v31, v116
	s_or_b64 s[46:47], s[8:9], s[46:47]
	s_andn2_b64 exec, exec, s[46:47]
	s_cbranch_execnz .LBB718_608
; %bb.609:
	s_or_b64 exec, exec, s[46:47]
.LBB718_610:
	s_or_b64 exec, exec, s[12:13]
	v_add_u32_e32 v116, v31, v8
	v_add_u32_e32 v8, v114, v117
	v_sub_u32_e32 v117, v8, v31
	v_cmp_le_u32_e64 s[8:9], v116, v114
	v_cmp_le_u32_e64 s[12:13], v117, v115
	s_or_b64 s[8:9], s[8:9], s[12:13]
	s_and_saveexec_b64 s[92:93], s[8:9]
	s_cbranch_execz .LBB718_616
; %bb.611:
	v_cmp_lt_u32_e64 s[8:9], v116, v114
                                        ; implicit-def: $vgpr8_vgpr9
	s_and_saveexec_b64 s[12:13], s[8:9]
; %bb.612:
	v_lshl_add_u32 v0, v31, 3, v11
	ds_read_b64 v[8:9], v0
; %bb.613:
	s_or_b64 exec, exec, s[12:13]
	v_cmp_ge_u32_e64 s[46:47], v117, v115
	v_cmp_lt_u32_e64 s[12:13], v117, v115
                                        ; implicit-def: $vgpr10_vgpr11
	s_and_saveexec_b64 s[56:57], s[12:13]
; %bb.614:
	v_lshl_add_u32 v0, v117, 3, v12
	ds_read_b64 v[10:11], v0
; %bb.615:
	s_or_b64 exec, exec, s[56:57]
	s_waitcnt lgkmcnt(0)
	v_cmp_le_i64_e64 s[12:13], v[10:11], v[8:9]
	s_and_b64 s[8:9], s[8:9], s[12:13]
	s_or_b64 s[8:9], s[46:47], s[8:9]
	v_cndmask_b32_e64 v4, v117, v116, s[8:9]
	v_cndmask_b32_e64 v0, v115, v114, s[8:9]
	v_add_u32_e32 v5, 1, v4
	v_add_u32_e32 v0, -1, v0
	v_min_u32_e32 v0, v5, v0
	v_lshl_add_u32 v0, v0, 3, v12
	ds_read_b64 v[0:1], v0
	v_cndmask_b32_e64 v15, v5, v117, s[8:9]
	v_cndmask_b32_e64 v5, v116, v5, s[8:9]
	v_cmp_lt_u32_e64 s[56:57], v5, v114
	v_cmp_ge_u32_e64 s[12:13], v15, v115
	s_waitcnt lgkmcnt(0)
	v_cndmask_b32_e64 v18, v1, v11, s[8:9]
	v_cndmask_b32_e64 v17, v0, v10, s[8:9]
	v_cndmask_b32_e64 v35, v9, v1, s[8:9]
	v_cndmask_b32_e64 v34, v8, v0, s[8:9]
	v_cmp_le_i64_e64 s[46:47], v[17:18], v[34:35]
	s_and_b64 s[46:47], s[56:57], s[46:47]
	s_or_b64 s[56:57], s[12:13], s[46:47]
	v_cndmask_b32_e64 v19, v15, v5, s[56:57]
	v_cndmask_b32_e64 v0, v115, v114, s[56:57]
	v_add_u32_e32 v16, 1, v19
	v_add_u32_e32 v0, -1, v0
	v_min_u32_e32 v0, v16, v0
	v_lshl_add_u32 v0, v0, 3, v12
	ds_read_b64 v[0:1], v0
	v_cndmask_b32_e64 v5, v5, v16, s[56:57]
	v_cndmask_b32_e64 v15, v16, v15, s[56:57]
	v_cmp_lt_u32_e64 s[58:59], v5, v114
	v_cmp_ge_u32_e64 s[12:13], v15, v115
	s_waitcnt lgkmcnt(0)
	v_cndmask_b32_e64 v37, v1, v18, s[56:57]
	v_cndmask_b32_e64 v36, v0, v17, s[56:57]
	v_cndmask_b32_e64 v49, v35, v1, s[56:57]
	v_cndmask_b32_e64 v48, v34, v0, s[56:57]
	;; [unrolled: 19-line block ×4, first 2 shown]
	v_cmp_le_i64_e64 s[58:59], v[54:55], v[64:65]
	v_lshl_add_u32 v21, v21, 3, v12
	s_and_b64 s[58:59], s[62:63], s[58:59]
	s_or_b64 s[58:59], s[12:13], s[58:59]
	v_cndmask_b32_e64 v24, v22, v23, s[58:59]
	v_cndmask_b32_e64 v0, v115, v114, s[58:59]
	v_add_u32_e32 v25, 1, v24
	v_add_u32_e32 v0, -1, v0
	v_min_u32_e32 v0, v25, v0
	v_lshl_add_u32 v0, v0, 3, v12
	ds_read_b64 v[15:16], v0
	v_cndmask_b32_e64 v26, v25, v22, s[58:59]
	ds_read_b64 v[21:22], v21 offset:32768
	v_cndmask_b32_e64 v23, v23, v25, s[58:59]
	v_cmp_lt_u32_e64 s[72:73], v23, v114
	s_waitcnt lgkmcnt(1)
	v_cndmask_b32_e64 v67, v16, v55, s[58:59]
	v_cndmask_b32_e64 v66, v15, v54, s[58:59]
	;; [unrolled: 1-line block ×4, first 2 shown]
	v_cmp_le_i64_e64 s[62:63], v[66:67], v[68:69]
	v_cmp_ge_u32_e64 s[12:13], v26, v115
	s_and_b64 s[62:63], s[72:73], s[62:63]
	s_or_b64 s[62:63], s[12:13], s[62:63]
	v_cndmask_b32_e64 v25, v26, v23, s[62:63]
	v_cndmask_b32_e64 v15, v115, v114, s[62:63]
	v_add_u32_e32 v27, 1, v25
	v_add_u32_e32 v15, -1, v15
	v_min_u32_e32 v15, v27, v15
	v_lshl_add_u32 v0, v4, 3, v12
	v_lshl_add_u32 v4, v19, 3, v12
	;; [unrolled: 1-line block ×3, first 2 shown]
	ds_read_b64 v[0:1], v0 offset:32768
	ds_read_b64 v[4:5], v4 offset:32768
	ds_read_b64 v[15:16], v15
	v_lshl_add_u32 v19, v20, 3, v12
	ds_read_b64 v[19:20], v19 offset:32768
	v_cndmask_b32_e64 v28, v27, v26, s[62:63]
	v_cndmask_b32_e64 v27, v23, v27, s[62:63]
	s_waitcnt lgkmcnt(1)
	v_cndmask_b32_e64 v71, v16, v67, s[62:63]
	v_cndmask_b32_e64 v70, v15, v66, s[62:63]
	;; [unrolled: 1-line block ×4, first 2 shown]
	v_cmp_le_i64_e64 s[72:73], v[70:71], v[80:81]
	v_cmp_lt_u32_e64 s[74:75], v27, v114
	v_cmp_ge_u32_e64 s[12:13], v28, v115
	s_and_b64 s[72:73], s[74:75], s[72:73]
	s_or_b64 s[72:73], s[12:13], s[72:73]
	v_cndmask_b32_e64 v29, v28, v27, s[72:73]
	v_cndmask_b32_e64 v15, v115, v114, s[72:73]
	v_add_u32_e32 v30, 1, v29
	v_add_u32_e32 v15, -1, v15
	v_min_u32_e32 v15, v30, v15
	v_lshl_add_u32 v15, v15, 3, v12
	ds_read_b64 v[15:16], v15
	v_lshl_add_u32 v23, v24, 3, v12
	v_cndmask_b32_e64 v32, v27, v30, s[72:73]
	v_lshl_add_u32 v27, v29, 3, v12
	ds_read_b64 v[23:24], v23 offset:32768
	v_cndmask_b32_e64 v31, v30, v28, s[72:73]
	ds_read_b64 v[27:28], v27 offset:32768
	s_waitcnt lgkmcnt(2)
	v_cndmask_b32_e64 v83, v16, v71, s[72:73]
	v_cndmask_b32_e64 v82, v15, v70, s[72:73]
	v_cndmask_b32_e64 v85, v81, v16, s[72:73]
	v_cndmask_b32_e64 v84, v80, v15, s[72:73]
	v_cmp_le_i64_e64 s[74:75], v[82:83], v[84:85]
	v_cmp_lt_u32_e64 s[76:77], v32, v114
	v_cmp_ge_u32_e64 s[12:13], v31, v115
	s_and_b64 s[74:75], s[76:77], s[74:75]
	s_or_b64 s[74:75], s[12:13], s[74:75]
	v_cndmask_b32_e64 v30, v31, v32, s[74:75]
	v_cndmask_b32_e64 v15, v115, v114, s[74:75]
	v_add_u32_e32 v33, 1, v30
	v_add_u32_e32 v15, -1, v15
	v_min_u32_e32 v15, v33, v15
	v_lshl_add_u32 v25, v25, 3, v12
	v_lshl_add_u32 v15, v15, 3, v12
	;; [unrolled: 1-line block ×3, first 2 shown]
	ds_read_b64 v[25:26], v25 offset:32768
	ds_read_b64 v[29:30], v29 offset:32768
	ds_read_b64 v[15:16], v15
	v_cndmask_b32_e64 v100, v32, v33, s[74:75]
	v_cndmask_b32_e64 v31, v33, v31, s[74:75]
	v_cmp_lt_u32_e64 s[78:79], v100, v114
	v_cmp_ge_u32_e64 s[12:13], v31, v115
	s_waitcnt lgkmcnt(0)
	v_cndmask_b32_e64 v87, v16, v83, s[74:75]
	v_cndmask_b32_e64 v86, v15, v82, s[74:75]
	;; [unrolled: 1-line block ×4, first 2 shown]
	v_cmp_le_i64_e64 s[76:77], v[86:87], v[96:97]
	s_and_b64 s[76:77], s[78:79], s[76:77]
	s_or_b64 s[76:77], s[12:13], s[76:77]
	v_cndmask_b32_e64 v15, v31, v100, s[76:77]
	v_cndmask_b32_e64 v16, v115, v114, s[76:77]
	v_lshl_add_u32 v32, v15, 3, v12
	v_add_u32_e32 v101, 1, v15
	v_add_u32_e32 v15, -1, v16
	v_min_u32_e32 v15, v101, v15
	v_lshl_add_u32 v15, v15, 3, v12
	ds_read_b64 v[32:33], v32 offset:32768
	ds_read_b64 v[38:39], v15
	v_cndmask_b32_e64 v16, v11, v9, s[8:9]
	v_cndmask_b32_e64 v15, v10, v8, s[8:9]
	;; [unrolled: 1-line block ×4, first 2 shown]
	s_waitcnt lgkmcnt(0)
	v_cndmask_b32_e64 v18, v39, v87, s[76:77]
	v_cndmask_b32_e64 v17, v38, v86, s[76:77]
	;; [unrolled: 1-line block ×5, first 2 shown]
	v_cmp_le_i64_e64 s[12:13], v[17:18], v[98:99]
	v_cndmask_b32_e64 v8, v101, v31, s[76:77]
	v_cmp_lt_u32_e64 s[56:57], v11, v114
	v_cmp_ge_u32_e64 s[8:9], v8, v115
	s_and_b64 s[12:13], s[56:57], s[12:13]
	s_or_b64 s[8:9], s[8:9], s[12:13]
	v_cndmask_b32_e64 v31, v8, v11, s[8:9]
	v_cndmask_b32_e64 v34, v115, v114, s[8:9]
	v_lshl_add_u32 v35, v31, 3, v12
	v_add_u32_e32 v31, 1, v31
	v_add_u32_e32 v34, -1, v34
	v_min_u32_e32 v34, v31, v34
	v_lshl_add_u32 v34, v34, 3, v12
	ds_read_b64 v[38:39], v35 offset:32768
	ds_read_b64 v[100:101], v34
	v_cndmask_b32_e64 v35, v37, v49, s[46:47]
	v_cndmask_b32_e64 v34, v36, v48, s[46:47]
	;; [unrolled: 1-line block ×4, first 2 shown]
	s_waitcnt lgkmcnt(0)
	v_cndmask_b32_e64 v103, v101, v18, s[8:9]
	v_cndmask_b32_e64 v102, v100, v17, s[8:9]
	;; [unrolled: 1-line block ×4, first 2 shown]
	v_cmp_le_i64_e64 s[46:47], v[102:103], v[112:113]
	v_cmp_lt_u32_e64 s[56:57], v11, v114
	v_cmp_ge_u32_e64 s[12:13], v8, v115
	s_and_b64 s[46:47], s[56:57], s[46:47]
	s_or_b64 s[46:47], s[12:13], s[46:47]
	v_cndmask_b32_e64 v31, v8, v11, s[46:47]
	v_cndmask_b32_e64 v48, v115, v114, s[46:47]
	v_lshl_add_u32 v49, v31, 3, v12
	v_add_u32_e32 v31, 1, v31
	v_add_u32_e32 v48, -1, v48
	v_min_u32_e32 v48, v31, v48
	v_cndmask_b32_e64 v37, v51, v53, s[60:61]
	v_cndmask_b32_e64 v36, v50, v52, s[60:61]
	v_lshl_add_u32 v48, v48, 3, v12
	ds_read_b64 v[52:53], v49 offset:32768
	ds_read_b64 v[100:101], v48
	v_cndmask_b32_e64 v51, v67, v69, s[62:63]
	v_cndmask_b32_e64 v50, v66, v68, s[62:63]
	v_cndmask_b32_e64 v11, v11, v31, s[46:47]
	v_cndmask_b32_e64 v49, v55, v65, s[58:59]
	s_waitcnt lgkmcnt(0)
	v_cndmask_b32_e64 v69, v101, v103, s[46:47]
	v_cndmask_b32_e64 v68, v100, v102, s[46:47]
	;; [unrolled: 1-line block ×4, first 2 shown]
	v_cmp_le_i64_e64 s[56:57], v[68:69], v[116:117]
	v_cndmask_b32_e64 v48, v54, v64, s[58:59]
	v_cndmask_b32_e64 v8, v31, v8, s[46:47]
	v_cmp_lt_u32_e64 s[58:59], v11, v114
	v_cmp_ge_u32_e64 s[12:13], v8, v115
	s_and_b64 s[56:57], s[58:59], s[56:57]
	s_or_b64 s[12:13], s[12:13], s[56:57]
	v_cndmask_b32_e64 v31, v8, v11, s[12:13]
	v_cndmask_b32_e64 v54, v115, v114, s[12:13]
	v_lshl_add_u32 v55, v31, 3, v12
	v_add_u32_e32 v31, 1, v31
	v_add_u32_e32 v54, -1, v54
	v_min_u32_e32 v54, v31, v54
	v_lshl_add_u32 v54, v54, 3, v12
	ds_read_b64 v[66:67], v55 offset:32768
	ds_read_b64 v[100:101], v54
	v_cndmask_b32_e64 v11, v11, v31, s[12:13]
	v_cndmask_b32_e64 v8, v31, v8, s[12:13]
	v_cmp_lt_u32_e64 s[60:61], v11, v114
	v_cmp_ge_u32_e64 s[56:57], v8, v115
	s_waitcnt lgkmcnt(0)
	v_cndmask_b32_e64 v119, v101, v69, s[12:13]
	v_cndmask_b32_e64 v118, v100, v68, s[12:13]
	v_cndmask_b32_e64 v129, v117, v101, s[12:13]
	v_cndmask_b32_e64 v128, v116, v100, s[12:13]
	v_cmp_le_i64_e64 s[58:59], v[118:119], v[128:129]
	v_cndmask_b32_e64 v54, v70, v80, s[72:73]
	s_and_b64 s[58:59], s[60:61], s[58:59]
	s_or_b64 s[56:57], s[56:57], s[58:59]
	v_cndmask_b32_e64 v31, v8, v11, s[56:57]
	v_cndmask_b32_e64 v70, v115, v114, s[56:57]
	;; [unrolled: 1-line block ×3, first 2 shown]
	v_lshl_add_u32 v71, v31, 3, v12
	v_add_u32_e32 v31, 1, v31
	v_add_u32_e32 v70, -1, v70
	v_min_u32_e32 v70, v31, v70
	v_lshl_add_u32 v70, v70, 3, v12
	v_cndmask_b32_e64 v65, v83, v85, s[74:75]
	v_cndmask_b32_e64 v64, v82, v84, s[74:75]
	ds_read_b64 v[84:85], v71 offset:32768
	ds_read_b64 v[70:71], v70
	v_cndmask_b32_e64 v83, v18, v99, s[8:9]
	v_cndmask_b32_e64 v82, v17, v98, s[8:9]
	;; [unrolled: 1-line block ×4, first 2 shown]
	s_waitcnt lgkmcnt(0)
	v_cndmask_b32_e64 v18, v71, v119, s[56:57]
	v_cndmask_b32_e64 v17, v70, v118, s[56:57]
	v_cndmask_b32_e64 v131, v129, v71, s[56:57]
	v_cndmask_b32_e64 v130, v128, v70, s[56:57]
	v_cmp_le_i64_e64 s[58:59], v[17:18], v[130:131]
	v_cmp_lt_u32_e64 s[60:61], v11, v114
	v_cmp_ge_u32_e64 s[8:9], v8, v115
	s_and_b64 s[58:59], s[60:61], s[58:59]
	s_or_b64 s[8:9], s[8:9], s[58:59]
	v_cndmask_b32_e64 v31, v8, v11, s[8:9]
	v_cndmask_b32_e64 v70, v115, v114, s[8:9]
	v_lshl_add_u32 v71, v31, 3, v12
	v_add_u32_e32 v31, 1, v31
	v_add_u32_e32 v70, -1, v70
	v_min_u32_e32 v70, v31, v70
	v_lshl_add_u32 v70, v70, 3, v12
	ds_read_b64 v[100:101], v71 offset:32768
	ds_read_b64 v[70:71], v70
	v_cndmask_b32_e64 v81, v87, v97, s[76:77]
	v_cndmask_b32_e64 v80, v86, v96, s[76:77]
	;; [unrolled: 1-line block ×6, first 2 shown]
	s_waitcnt lgkmcnt(0)
	v_cndmask_b32_e64 v113, v71, v18, s[8:9]
	v_cndmask_b32_e64 v112, v70, v17, s[8:9]
	;; [unrolled: 1-line block ×5, first 2 shown]
	v_cmp_le_i64_e64 s[46:47], v[112:113], v[116:117]
	v_cndmask_b32_e64 v8, v31, v8, s[8:9]
	v_cmp_lt_u32_e64 s[58:59], v11, v114
	v_cmp_ge_u32_e64 s[12:13], v8, v115
	s_and_b64 s[46:47], s[58:59], s[46:47]
	s_or_b64 s[12:13], s[12:13], s[46:47]
	v_cndmask_b32_e64 v31, v8, v11, s[12:13]
	v_cndmask_b32_e64 v68, v115, v114, s[12:13]
	v_lshl_add_u32 v69, v31, 3, v12
	v_add_u32_e32 v31, 1, v31
	v_add_u32_e32 v68, -1, v68
	v_min_u32_e32 v68, v31, v68
	v_lshl_add_u32 v68, v68, 3, v12
	ds_read_b64 v[70:71], v69 offset:32768
	ds_read_b64 v[102:103], v68
	v_cndmask_b32_e64 v97, v119, v129, s[56:57]
	v_cndmask_b32_e64 v96, v118, v128, s[56:57]
	v_cndmask_b32_e64 v69, v18, v131, s[8:9]
	v_cndmask_b32_e64 v68, v17, v130, s[8:9]
	s_waitcnt lgkmcnt(0)
	v_cndmask_b32_e64 v18, v103, v113, s[12:13]
	v_cndmask_b32_e64 v17, v102, v112, s[12:13]
	;; [unrolled: 1-line block ×5, first 2 shown]
	v_cmp_le_i64_e64 s[46:47], v[17:18], v[118:119]
	v_cndmask_b32_e64 v8, v31, v8, s[12:13]
	v_cmp_lt_u32_e64 s[56:57], v11, v114
	v_cmp_ge_u32_e64 s[8:9], v8, v115
	s_and_b64 s[46:47], s[56:57], s[46:47]
	s_or_b64 s[8:9], s[8:9], s[46:47]
	v_cndmask_b32_e64 v8, v8, v11, s[8:9]
	v_lshl_add_u32 v8, v8, 3, v12
	ds_read_b64 v[102:103], v8 offset:32768
	v_cndmask_b32_e64 v113, v113, v117, s[12:13]
	v_cndmask_b32_e64 v112, v112, v116, s[12:13]
	;; [unrolled: 1-line block ×4, first 2 shown]
.LBB718_616:
	s_or_b64 exec, exec, s[92:93]
	; wave barrier
	s_waitcnt lgkmcnt(0)
	s_barrier
.LBB718_617:
	s_or_b64 exec, exec, s[90:91]
	v_add_co_u32_e64 v2, s[8:9], v2, v13
	v_addc_co_u32_e64 v3, s[8:9], v3, v14, s[8:9]
	v_add_co_u32_e64 v2, s[8:9], v2, v160
	v_addc_co_u32_e64 v3, s[8:9], 0, v3, s[8:9]
	s_waitcnt lgkmcnt(0)
	; wave barrier
	s_and_saveexec_b64 s[8:9], vcc
	s_cbranch_execnz .LBB718_667
; %bb.618:
	s_or_b64 exec, exec, s[8:9]
	s_and_saveexec_b64 s[8:9], s[4:5]
	s_cbranch_execnz .LBB718_668
.LBB718_619:
	s_or_b64 exec, exec, s[8:9]
	s_and_saveexec_b64 s[8:9], s[6:7]
	s_cbranch_execnz .LBB718_669
.LBB718_620:
	s_or_b64 exec, exec, s[8:9]
	s_and_saveexec_b64 s[8:9], s[44:45]
	s_cbranch_execnz .LBB718_670
.LBB718_621:
	s_or_b64 exec, exec, s[8:9]
	s_and_saveexec_b64 s[8:9], s[10:11]
	s_cbranch_execnz .LBB718_671
.LBB718_622:
	s_or_b64 exec, exec, s[8:9]
	s_and_saveexec_b64 s[8:9], s[88:89]
	s_cbranch_execnz .LBB718_672
.LBB718_623:
	s_or_b64 exec, exec, s[8:9]
	s_and_saveexec_b64 s[8:9], s[14:15]
	s_cbranch_execnz .LBB718_673
.LBB718_624:
	s_or_b64 exec, exec, s[8:9]
	s_and_saveexec_b64 s[8:9], s[16:17]
	s_cbranch_execnz .LBB718_674
.LBB718_625:
	s_or_b64 exec, exec, s[8:9]
	s_and_saveexec_b64 s[8:9], s[18:19]
	s_cbranch_execnz .LBB718_675
.LBB718_626:
	s_or_b64 exec, exec, s[8:9]
	s_and_saveexec_b64 s[8:9], s[20:21]
	s_cbranch_execnz .LBB718_676
.LBB718_627:
	s_or_b64 exec, exec, s[8:9]
	s_and_saveexec_b64 s[8:9], s[22:23]
	s_cbranch_execnz .LBB718_677
.LBB718_628:
	s_or_b64 exec, exec, s[8:9]
	s_and_saveexec_b64 s[8:9], s[24:25]
	s_cbranch_execnz .LBB718_678
.LBB718_629:
	s_or_b64 exec, exec, s[8:9]
	s_and_saveexec_b64 s[8:9], s[26:27]
	s_cbranch_execnz .LBB718_679
.LBB718_630:
	s_or_b64 exec, exec, s[8:9]
	s_and_saveexec_b64 s[8:9], s[28:29]
	s_cbranch_execnz .LBB718_680
.LBB718_631:
	s_or_b64 exec, exec, s[8:9]
	s_and_saveexec_b64 s[8:9], s[40:41]
	s_cbranch_execnz .LBB718_681
.LBB718_632:
	s_or_b64 exec, exec, s[8:9]
	s_and_saveexec_b64 s[8:9], s[42:43]
	s_cbranch_execz .LBB718_634
.LBB718_633:
	s_waitcnt vmcnt(0)
	flat_store_dwordx2 v[2:3], v[17:18] offset:120
.LBB718_634:
	s_or_b64 exec, exec, s[8:9]
	v_add_co_u32_e64 v2, s[8:9], v6, v13
	v_addc_co_u32_e64 v3, s[8:9], v7, v14, s[8:9]
	v_add_co_u32_e64 v2, s[8:9], v2, v160
	v_addc_co_u32_e64 v3, s[8:9], 0, v3, s[8:9]
	; wave barrier
	s_and_saveexec_b64 s[8:9], vcc
	s_cbranch_execnz .LBB718_682
; %bb.635:
	s_or_b64 exec, exec, s[8:9]
	s_and_saveexec_b64 s[8:9], s[4:5]
	s_cbranch_execnz .LBB718_683
.LBB718_636:
	s_or_b64 exec, exec, s[8:9]
	s_and_saveexec_b64 s[4:5], s[6:7]
	s_cbranch_execnz .LBB718_684
.LBB718_637:
	s_or_b64 exec, exec, s[4:5]
	s_and_saveexec_b64 s[4:5], s[44:45]
	s_cbranch_execnz .LBB718_685
.LBB718_638:
	s_or_b64 exec, exec, s[4:5]
	s_and_saveexec_b64 s[4:5], s[10:11]
	s_cbranch_execnz .LBB718_686
.LBB718_639:
	s_or_b64 exec, exec, s[4:5]
	s_and_saveexec_b64 s[4:5], s[88:89]
	s_cbranch_execnz .LBB718_687
.LBB718_640:
	s_or_b64 exec, exec, s[4:5]
	s_and_saveexec_b64 s[4:5], s[14:15]
	s_cbranch_execnz .LBB718_688
.LBB718_641:
	s_or_b64 exec, exec, s[4:5]
	s_and_saveexec_b64 s[4:5], s[16:17]
	s_cbranch_execnz .LBB718_689
.LBB718_642:
	s_or_b64 exec, exec, s[4:5]
	s_and_saveexec_b64 s[4:5], s[18:19]
	s_cbranch_execnz .LBB718_690
.LBB718_643:
	s_or_b64 exec, exec, s[4:5]
	s_and_saveexec_b64 s[4:5], s[20:21]
	s_cbranch_execnz .LBB718_691
.LBB718_644:
	s_or_b64 exec, exec, s[4:5]
	s_and_saveexec_b64 s[4:5], s[22:23]
	s_cbranch_execnz .LBB718_692
.LBB718_645:
	s_or_b64 exec, exec, s[4:5]
	s_and_saveexec_b64 s[4:5], s[24:25]
	s_cbranch_execnz .LBB718_693
.LBB718_646:
	s_or_b64 exec, exec, s[4:5]
	s_and_saveexec_b64 s[4:5], s[26:27]
	s_cbranch_execnz .LBB718_694
.LBB718_647:
	s_or_b64 exec, exec, s[4:5]
	s_and_saveexec_b64 s[4:5], s[28:29]
	s_cbranch_execnz .LBB718_695
.LBB718_648:
	s_or_b64 exec, exec, s[4:5]
	s_and_saveexec_b64 s[4:5], s[40:41]
	s_cbranch_execnz .LBB718_696
.LBB718_649:
	s_or_b64 exec, exec, s[4:5]
	s_and_saveexec_b64 s[4:5], s[42:43]
	s_cbranch_execz .LBB718_651
.LBB718_650:
	s_waitcnt vmcnt(0)
	flat_store_dwordx2 v[2:3], v[102:103] offset:120
.LBB718_651:
	s_or_b64 exec, exec, s[4:5]
	v_readlane_b32 s30, v40, 0
	v_readlane_b32 s31, v40, 1
	s_or_saveexec_b64 s[4:5], -1
	buffer_load_dword v40, off, s[0:3], s32 ; 4-byte Folded Reload
	s_mov_b64 exec, s[4:5]
	s_waitcnt vmcnt(0) lgkmcnt(0)
	s_setpc_b64 s[30:31]
.LBB718_652:
	flat_load_dwordx2 v[0:1], v[114:115]
	s_or_b64 exec, exec, s[46:47]
	s_and_saveexec_b64 s[46:47], s[4:5]
                                        ; implicit-def: $vgpr4_vgpr5
	s_cbranch_execz .LBB718_34
.LBB718_653:
	flat_load_dwordx2 v[4:5], v[114:115] offset:8
	s_or_b64 exec, exec, s[46:47]
                                        ; implicit-def: $vgpr19_vgpr20
	s_and_saveexec_b64 s[46:47], s[6:7]
	s_cbranch_execz .LBB718_35
.LBB718_654:
	flat_load_dwordx2 v[19:20], v[114:115] offset:16
	s_or_b64 exec, exec, s[46:47]
	s_and_saveexec_b64 s[46:47], s[44:45]
                                        ; implicit-def: $vgpr21_vgpr22
	s_cbranch_execz .LBB718_36
.LBB718_655:
	flat_load_dwordx2 v[21:22], v[114:115] offset:24
	s_or_b64 exec, exec, s[46:47]
                                        ; implicit-def: $vgpr23_vgpr24
	s_and_saveexec_b64 s[46:47], s[10:11]
	s_cbranch_execz .LBB718_37
.LBB718_656:
	flat_load_dwordx2 v[23:24], v[114:115] offset:32
	s_or_b64 exec, exec, s[46:47]
	s_and_saveexec_b64 s[46:47], s[88:89]
                                        ; implicit-def: $vgpr25_vgpr26
	s_cbranch_execz .LBB718_38
.LBB718_657:
	flat_load_dwordx2 v[25:26], v[114:115] offset:40
	s_or_b64 exec, exec, s[46:47]
                                        ; implicit-def: $vgpr27_vgpr28
	s_and_saveexec_b64 s[46:47], s[14:15]
	s_cbranch_execz .LBB718_39
.LBB718_658:
	flat_load_dwordx2 v[27:28], v[114:115] offset:48
	s_or_b64 exec, exec, s[46:47]
	s_and_saveexec_b64 s[46:47], s[16:17]
                                        ; implicit-def: $vgpr29_vgpr30
	s_cbranch_execz .LBB718_40
.LBB718_659:
	flat_load_dwordx2 v[29:30], v[114:115] offset:56
	s_or_b64 exec, exec, s[46:47]
                                        ; implicit-def: $vgpr32_vgpr33
	s_and_saveexec_b64 s[46:47], s[18:19]
	s_cbranch_execz .LBB718_41
.LBB718_660:
	flat_load_dwordx2 v[32:33], v[114:115] offset:64
	s_or_b64 exec, exec, s[46:47]
	s_and_saveexec_b64 s[46:47], s[20:21]
                                        ; implicit-def: $vgpr38_vgpr39
	s_cbranch_execz .LBB718_42
.LBB718_661:
	flat_load_dwordx2 v[38:39], v[114:115] offset:72
	s_or_b64 exec, exec, s[46:47]
                                        ; implicit-def: $vgpr52_vgpr53
	s_and_saveexec_b64 s[46:47], s[22:23]
	s_cbranch_execz .LBB718_43
.LBB718_662:
	flat_load_dwordx2 v[52:53], v[114:115] offset:80
	s_or_b64 exec, exec, s[46:47]
	s_and_saveexec_b64 s[46:47], s[24:25]
                                        ; implicit-def: $vgpr66_vgpr67
	s_cbranch_execz .LBB718_44
.LBB718_663:
	flat_load_dwordx2 v[66:67], v[114:115] offset:88
	s_or_b64 exec, exec, s[46:47]
                                        ; implicit-def: $vgpr84_vgpr85
	s_and_saveexec_b64 s[46:47], s[26:27]
	s_cbranch_execz .LBB718_45
.LBB718_664:
	flat_load_dwordx2 v[84:85], v[114:115] offset:96
	s_or_b64 exec, exec, s[46:47]
	s_and_saveexec_b64 s[46:47], s[28:29]
                                        ; implicit-def: $vgpr100_vgpr101
	s_cbranch_execz .LBB718_46
.LBB718_665:
	flat_load_dwordx2 v[100:101], v[114:115] offset:104
	s_or_b64 exec, exec, s[46:47]
                                        ; implicit-def: $vgpr70_vgpr71
	s_and_saveexec_b64 s[46:47], s[40:41]
	s_cbranch_execz .LBB718_47
.LBB718_666:
	flat_load_dwordx2 v[70:71], v[114:115] offset:112
	s_or_b64 exec, exec, s[46:47]
	s_and_saveexec_b64 s[46:47], s[42:43]
                                        ; implicit-def: $vgpr102_vgpr103
	s_cbranch_execnz .LBB718_48
	s_branch .LBB718_49
.LBB718_667:
	s_waitcnt vmcnt(0)
	flat_store_dwordx2 v[2:3], v[15:16]
	s_or_b64 exec, exec, s[8:9]
	s_and_saveexec_b64 s[8:9], s[4:5]
	s_cbranch_execz .LBB718_619
.LBB718_668:
	s_waitcnt vmcnt(0)
	flat_store_dwordx2 v[2:3], v[9:10] offset:8
	s_or_b64 exec, exec, s[8:9]
	s_and_saveexec_b64 s[8:9], s[6:7]
	s_cbranch_execz .LBB718_620
.LBB718_669:
	s_waitcnt vmcnt(0)
	flat_store_dwordx2 v[2:3], v[34:35] offset:16
	s_or_b64 exec, exec, s[8:9]
	s_and_saveexec_b64 s[8:9], s[44:45]
	s_cbranch_execz .LBB718_621
.LBB718_670:
	s_waitcnt vmcnt(0)
	flat_store_dwordx2 v[2:3], v[36:37] offset:24
	s_or_b64 exec, exec, s[8:9]
	s_and_saveexec_b64 s[8:9], s[10:11]
	s_cbranch_execz .LBB718_622
.LBB718_671:
	s_waitcnt vmcnt(0)
	flat_store_dwordx2 v[2:3], v[48:49] offset:32
	s_or_b64 exec, exec, s[8:9]
	s_and_saveexec_b64 s[8:9], s[88:89]
	s_cbranch_execz .LBB718_623
.LBB718_672:
	s_waitcnt vmcnt(0)
	flat_store_dwordx2 v[2:3], v[50:51] offset:40
	s_or_b64 exec, exec, s[8:9]
	s_and_saveexec_b64 s[8:9], s[14:15]
	s_cbranch_execz .LBB718_624
.LBB718_673:
	s_waitcnt vmcnt(0)
	flat_store_dwordx2 v[2:3], v[54:55] offset:48
	s_or_b64 exec, exec, s[8:9]
	s_and_saveexec_b64 s[8:9], s[16:17]
	s_cbranch_execz .LBB718_625
.LBB718_674:
	s_waitcnt vmcnt(0)
	flat_store_dwordx2 v[2:3], v[64:65] offset:56
	s_or_b64 exec, exec, s[8:9]
	s_and_saveexec_b64 s[8:9], s[18:19]
	s_cbranch_execz .LBB718_626
.LBB718_675:
	s_waitcnt vmcnt(0)
	flat_store_dwordx2 v[2:3], v[80:81] offset:64
	s_or_b64 exec, exec, s[8:9]
	s_and_saveexec_b64 s[8:9], s[20:21]
	s_cbranch_execz .LBB718_627
.LBB718_676:
	s_waitcnt vmcnt(0)
	flat_store_dwordx2 v[2:3], v[82:83] offset:72
	s_or_b64 exec, exec, s[8:9]
	s_and_saveexec_b64 s[8:9], s[22:23]
	s_cbranch_execz .LBB718_628
.LBB718_677:
	s_waitcnt vmcnt(0)
	flat_store_dwordx2 v[2:3], v[86:87] offset:80
	s_or_b64 exec, exec, s[8:9]
	s_and_saveexec_b64 s[8:9], s[24:25]
	s_cbranch_execz .LBB718_629
.LBB718_678:
	s_waitcnt vmcnt(0)
	flat_store_dwordx2 v[2:3], v[98:99] offset:88
	s_or_b64 exec, exec, s[8:9]
	s_and_saveexec_b64 s[8:9], s[26:27]
	s_cbranch_execz .LBB718_630
.LBB718_679:
	s_waitcnt vmcnt(0)
	flat_store_dwordx2 v[2:3], v[96:97] offset:96
	s_or_b64 exec, exec, s[8:9]
	s_and_saveexec_b64 s[8:9], s[28:29]
	s_cbranch_execz .LBB718_631
.LBB718_680:
	s_waitcnt vmcnt(0)
	flat_store_dwordx2 v[2:3], v[68:69] offset:104
	s_or_b64 exec, exec, s[8:9]
	s_and_saveexec_b64 s[8:9], s[40:41]
	s_cbranch_execz .LBB718_632
.LBB718_681:
	s_waitcnt vmcnt(0)
	flat_store_dwordx2 v[2:3], v[112:113] offset:112
	s_or_b64 exec, exec, s[8:9]
	s_and_saveexec_b64 s[8:9], s[42:43]
	s_cbranch_execnz .LBB718_633
	s_branch .LBB718_634
.LBB718_682:
	s_waitcnt vmcnt(0)
	flat_store_dwordx2 v[2:3], v[0:1]
	s_or_b64 exec, exec, s[8:9]
	s_and_saveexec_b64 s[8:9], s[4:5]
	s_cbranch_execz .LBB718_636
.LBB718_683:
	s_waitcnt vmcnt(0)
	flat_store_dwordx2 v[2:3], v[4:5] offset:8
	s_or_b64 exec, exec, s[8:9]
	s_and_saveexec_b64 s[4:5], s[6:7]
	s_cbranch_execz .LBB718_637
.LBB718_684:
	s_waitcnt vmcnt(0)
	flat_store_dwordx2 v[2:3], v[19:20] offset:16
	s_or_b64 exec, exec, s[4:5]
	s_and_saveexec_b64 s[4:5], s[44:45]
	s_cbranch_execz .LBB718_638
.LBB718_685:
	s_waitcnt vmcnt(0)
	flat_store_dwordx2 v[2:3], v[21:22] offset:24
	s_or_b64 exec, exec, s[4:5]
	s_and_saveexec_b64 s[4:5], s[10:11]
	s_cbranch_execz .LBB718_639
.LBB718_686:
	s_waitcnt vmcnt(0)
	flat_store_dwordx2 v[2:3], v[23:24] offset:32
	s_or_b64 exec, exec, s[4:5]
	s_and_saveexec_b64 s[4:5], s[88:89]
	s_cbranch_execz .LBB718_640
.LBB718_687:
	s_waitcnt vmcnt(0)
	flat_store_dwordx2 v[2:3], v[25:26] offset:40
	s_or_b64 exec, exec, s[4:5]
	s_and_saveexec_b64 s[4:5], s[14:15]
	s_cbranch_execz .LBB718_641
.LBB718_688:
	s_waitcnt vmcnt(0)
	flat_store_dwordx2 v[2:3], v[27:28] offset:48
	s_or_b64 exec, exec, s[4:5]
	s_and_saveexec_b64 s[4:5], s[16:17]
	s_cbranch_execz .LBB718_642
.LBB718_689:
	s_waitcnt vmcnt(0)
	flat_store_dwordx2 v[2:3], v[29:30] offset:56
	s_or_b64 exec, exec, s[4:5]
	s_and_saveexec_b64 s[4:5], s[18:19]
	s_cbranch_execz .LBB718_643
.LBB718_690:
	s_waitcnt vmcnt(0)
	flat_store_dwordx2 v[2:3], v[32:33] offset:64
	s_or_b64 exec, exec, s[4:5]
	s_and_saveexec_b64 s[4:5], s[20:21]
	s_cbranch_execz .LBB718_644
.LBB718_691:
	s_waitcnt vmcnt(0)
	flat_store_dwordx2 v[2:3], v[38:39] offset:72
	s_or_b64 exec, exec, s[4:5]
	s_and_saveexec_b64 s[4:5], s[22:23]
	s_cbranch_execz .LBB718_645
.LBB718_692:
	s_waitcnt vmcnt(0)
	flat_store_dwordx2 v[2:3], v[52:53] offset:80
	s_or_b64 exec, exec, s[4:5]
	s_and_saveexec_b64 s[4:5], s[24:25]
	s_cbranch_execz .LBB718_646
.LBB718_693:
	s_waitcnt vmcnt(0)
	flat_store_dwordx2 v[2:3], v[66:67] offset:88
	s_or_b64 exec, exec, s[4:5]
	s_and_saveexec_b64 s[4:5], s[26:27]
	s_cbranch_execz .LBB718_647
.LBB718_694:
	s_waitcnt vmcnt(0)
	flat_store_dwordx2 v[2:3], v[84:85] offset:96
	s_or_b64 exec, exec, s[4:5]
	s_and_saveexec_b64 s[4:5], s[28:29]
	s_cbranch_execz .LBB718_648
.LBB718_695:
	s_waitcnt vmcnt(0)
	flat_store_dwordx2 v[2:3], v[100:101] offset:104
	s_or_b64 exec, exec, s[4:5]
	s_and_saveexec_b64 s[4:5], s[40:41]
	s_cbranch_execz .LBB718_649
.LBB718_696:
	s_waitcnt vmcnt(0)
	flat_store_dwordx2 v[2:3], v[70:71] offset:112
	s_or_b64 exec, exec, s[4:5]
	s_and_saveexec_b64 s[4:5], s[42:43]
	s_cbranch_execnz .LBB718_650
	s_branch .LBB718_651
.Lfunc_end718:
	.size	_ZN7rocprim17ROCPRIM_400000_NS6detail26segmented_warp_sort_helperINS1_20WarpSortHelperConfigILj16ELj16ELj256EEEllLi256ELb1EvE4sortIPKlPlS8_S9_EEvT_T0_T1_T2_jjjjRNS5_12storage_typeE, .Lfunc_end718-_ZN7rocprim17ROCPRIM_400000_NS6detail26segmented_warp_sort_helperINS1_20WarpSortHelperConfigILj16ELj16ELj256EEEllLi256ELb1EvE4sortIPKlPlS8_S9_EEvT_T0_T1_T2_jjjjRNS5_12storage_typeE
                                        ; -- End function
	.set .L_ZN7rocprim17ROCPRIM_400000_NS6detail26segmented_warp_sort_helperINS1_20WarpSortHelperConfigILj16ELj16ELj256EEEllLi256ELb1EvE4sortIPKlPlS8_S9_EEvT_T0_T1_T2_jjjjRNS5_12storage_typeE.num_vgpr, 166
	.set .L_ZN7rocprim17ROCPRIM_400000_NS6detail26segmented_warp_sort_helperINS1_20WarpSortHelperConfigILj16ELj16ELj256EEEllLi256ELb1EvE4sortIPKlPlS8_S9_EEvT_T0_T1_T2_jjjjRNS5_12storage_typeE.num_agpr, 0
	.set .L_ZN7rocprim17ROCPRIM_400000_NS6detail26segmented_warp_sort_helperINS1_20WarpSortHelperConfigILj16ELj16ELj256EEEllLi256ELb1EvE4sortIPKlPlS8_S9_EEvT_T0_T1_T2_jjjjRNS5_12storage_typeE.numbered_sgpr, 96
	.set .L_ZN7rocprim17ROCPRIM_400000_NS6detail26segmented_warp_sort_helperINS1_20WarpSortHelperConfigILj16ELj16ELj256EEEllLi256ELb1EvE4sortIPKlPlS8_S9_EEvT_T0_T1_T2_jjjjRNS5_12storage_typeE.num_named_barrier, 0
	.set .L_ZN7rocprim17ROCPRIM_400000_NS6detail26segmented_warp_sort_helperINS1_20WarpSortHelperConfigILj16ELj16ELj256EEEllLi256ELb1EvE4sortIPKlPlS8_S9_EEvT_T0_T1_T2_jjjjRNS5_12storage_typeE.private_seg_size, 8
	.set .L_ZN7rocprim17ROCPRIM_400000_NS6detail26segmented_warp_sort_helperINS1_20WarpSortHelperConfigILj16ELj16ELj256EEEllLi256ELb1EvE4sortIPKlPlS8_S9_EEvT_T0_T1_T2_jjjjRNS5_12storage_typeE.uses_vcc, 1
	.set .L_ZN7rocprim17ROCPRIM_400000_NS6detail26segmented_warp_sort_helperINS1_20WarpSortHelperConfigILj16ELj16ELj256EEEllLi256ELb1EvE4sortIPKlPlS8_S9_EEvT_T0_T1_T2_jjjjRNS5_12storage_typeE.uses_flat_scratch, 0
	.set .L_ZN7rocprim17ROCPRIM_400000_NS6detail26segmented_warp_sort_helperINS1_20WarpSortHelperConfigILj16ELj16ELj256EEEllLi256ELb1EvE4sortIPKlPlS8_S9_EEvT_T0_T1_T2_jjjjRNS5_12storage_typeE.has_dyn_sized_stack, 0
	.set .L_ZN7rocprim17ROCPRIM_400000_NS6detail26segmented_warp_sort_helperINS1_20WarpSortHelperConfigILj16ELj16ELj256EEEllLi256ELb1EvE4sortIPKlPlS8_S9_EEvT_T0_T1_T2_jjjjRNS5_12storage_typeE.has_recursion, 0
	.set .L_ZN7rocprim17ROCPRIM_400000_NS6detail26segmented_warp_sort_helperINS1_20WarpSortHelperConfigILj16ELj16ELj256EEEllLi256ELb1EvE4sortIPKlPlS8_S9_EEvT_T0_T1_T2_jjjjRNS5_12storage_typeE.has_indirect_call, 0
	.section	.AMDGPU.csdata,"",@progbits
; Function info:
; codeLenInByte = 45104
; TotalNumSgprs: 100
; NumVgprs: 166
; ScratchSize: 8
; MemoryBound: 0
	.section	.text._ZN7rocprim17ROCPRIM_400000_NS6detail17trampoline_kernelINS0_14default_configENS1_36segmented_radix_sort_config_selectorIllEEZNS1_25segmented_radix_sort_implIS3_Lb1EPKlPlS8_S9_N2at6native12_GLOBAL__N_18offset_tEEE10hipError_tPvRmT1_PNSt15iterator_traitsISH_E10value_typeET2_T3_PNSI_ISN_E10value_typeET4_jRbjT5_ST_jjP12ihipStream_tbEUlT_E0_NS1_11comp_targetILNS1_3genE2ELNS1_11target_archE906ELNS1_3gpuE6ELNS1_3repE0EEENS1_60segmented_radix_sort_warp_sort_medium_config_static_selectorELNS0_4arch9wavefront6targetE1EEEvSH_,"axG",@progbits,_ZN7rocprim17ROCPRIM_400000_NS6detail17trampoline_kernelINS0_14default_configENS1_36segmented_radix_sort_config_selectorIllEEZNS1_25segmented_radix_sort_implIS3_Lb1EPKlPlS8_S9_N2at6native12_GLOBAL__N_18offset_tEEE10hipError_tPvRmT1_PNSt15iterator_traitsISH_E10value_typeET2_T3_PNSI_ISN_E10value_typeET4_jRbjT5_ST_jjP12ihipStream_tbEUlT_E0_NS1_11comp_targetILNS1_3genE2ELNS1_11target_archE906ELNS1_3gpuE6ELNS1_3repE0EEENS1_60segmented_radix_sort_warp_sort_medium_config_static_selectorELNS0_4arch9wavefront6targetE1EEEvSH_,comdat
	.globl	_ZN7rocprim17ROCPRIM_400000_NS6detail17trampoline_kernelINS0_14default_configENS1_36segmented_radix_sort_config_selectorIllEEZNS1_25segmented_radix_sort_implIS3_Lb1EPKlPlS8_S9_N2at6native12_GLOBAL__N_18offset_tEEE10hipError_tPvRmT1_PNSt15iterator_traitsISH_E10value_typeET2_T3_PNSI_ISN_E10value_typeET4_jRbjT5_ST_jjP12ihipStream_tbEUlT_E0_NS1_11comp_targetILNS1_3genE2ELNS1_11target_archE906ELNS1_3gpuE6ELNS1_3repE0EEENS1_60segmented_radix_sort_warp_sort_medium_config_static_selectorELNS0_4arch9wavefront6targetE1EEEvSH_ ; -- Begin function _ZN7rocprim17ROCPRIM_400000_NS6detail17trampoline_kernelINS0_14default_configENS1_36segmented_radix_sort_config_selectorIllEEZNS1_25segmented_radix_sort_implIS3_Lb1EPKlPlS8_S9_N2at6native12_GLOBAL__N_18offset_tEEE10hipError_tPvRmT1_PNSt15iterator_traitsISH_E10value_typeET2_T3_PNSI_ISN_E10value_typeET4_jRbjT5_ST_jjP12ihipStream_tbEUlT_E0_NS1_11comp_targetILNS1_3genE2ELNS1_11target_archE906ELNS1_3gpuE6ELNS1_3repE0EEENS1_60segmented_radix_sort_warp_sort_medium_config_static_selectorELNS0_4arch9wavefront6targetE1EEEvSH_
	.p2align	8
	.type	_ZN7rocprim17ROCPRIM_400000_NS6detail17trampoline_kernelINS0_14default_configENS1_36segmented_radix_sort_config_selectorIllEEZNS1_25segmented_radix_sort_implIS3_Lb1EPKlPlS8_S9_N2at6native12_GLOBAL__N_18offset_tEEE10hipError_tPvRmT1_PNSt15iterator_traitsISH_E10value_typeET2_T3_PNSI_ISN_E10value_typeET4_jRbjT5_ST_jjP12ihipStream_tbEUlT_E0_NS1_11comp_targetILNS1_3genE2ELNS1_11target_archE906ELNS1_3gpuE6ELNS1_3repE0EEENS1_60segmented_radix_sort_warp_sort_medium_config_static_selectorELNS0_4arch9wavefront6targetE1EEEvSH_,@function
_ZN7rocprim17ROCPRIM_400000_NS6detail17trampoline_kernelINS0_14default_configENS1_36segmented_radix_sort_config_selectorIllEEZNS1_25segmented_radix_sort_implIS3_Lb1EPKlPlS8_S9_N2at6native12_GLOBAL__N_18offset_tEEE10hipError_tPvRmT1_PNSt15iterator_traitsISH_E10value_typeET2_T3_PNSI_ISN_E10value_typeET4_jRbjT5_ST_jjP12ihipStream_tbEUlT_E0_NS1_11comp_targetILNS1_3genE2ELNS1_11target_archE906ELNS1_3gpuE6ELNS1_3repE0EEENS1_60segmented_radix_sort_warp_sort_medium_config_static_selectorELNS0_4arch9wavefront6targetE1EEEvSH_: ; @_ZN7rocprim17ROCPRIM_400000_NS6detail17trampoline_kernelINS0_14default_configENS1_36segmented_radix_sort_config_selectorIllEEZNS1_25segmented_radix_sort_implIS3_Lb1EPKlPlS8_S9_N2at6native12_GLOBAL__N_18offset_tEEE10hipError_tPvRmT1_PNSt15iterator_traitsISH_E10value_typeET2_T3_PNSI_ISN_E10value_typeET4_jRbjT5_ST_jjP12ihipStream_tbEUlT_E0_NS1_11comp_targetILNS1_3genE2ELNS1_11target_archE906ELNS1_3gpuE6ELNS1_3repE0EEENS1_60segmented_radix_sort_warp_sort_medium_config_static_selectorELNS0_4arch9wavefront6targetE1EEEvSH_
; %bb.0:
	s_add_u32 s0, s0, s8
	s_load_dword s8, s[4:5], 0x64
	s_addc_u32 s1, s1, 0
	s_mov_b32 s32, 0
	s_waitcnt lgkmcnt(0)
	s_lshr_b32 s9, s8, 16
	s_and_b32 s8, s8, 0xffff
	v_mad_u32_u24 v3, v2, s9, v1
	v_mad_u64_u32 v[3:4], s[8:9], v3, s8, v[0:1]
	s_load_dword s8, s[4:5], 0x34
	v_lshrrev_b32_e32 v3, 4, v3
	v_lshl_add_u32 v3, s6, 4, v3
	s_waitcnt lgkmcnt(0)
	v_cmp_gt_u32_e32 vcc, s8, v3
	s_and_saveexec_b64 s[8:9], vcc
	s_cbranch_execz .LBB719_6
; %bb.1:
	s_load_dwordx2 s[12:13], s[4:5], 0x38
	s_load_dwordx4 s[8:11], s[4:5], 0x40
	v_mov_b32_e32 v4, 0
	v_lshlrev_b64 v[3:4], 2, v[3:4]
	s_waitcnt lgkmcnt(0)
	v_mov_b32_e32 v5, s13
	v_add_co_u32_e32 v3, vcc, s12, v3
	v_addc_co_u32_e32 v4, vcc, v5, v4, vcc
	global_load_dword v3, v[3:4], off
	s_waitcnt vmcnt(0)
	v_add_u32_e32 v4, s9, v3
	v_add_u32_e32 v3, s11, v3
	v_mul_lo_u32 v41, v4, s8
	v_mul_lo_u32 v42, v3, s10
	v_cmp_gt_u32_e32 vcc, v42, v41
	s_and_b64 exec, exec, vcc
	s_cbranch_execz .LBB719_6
; %bb.2:
	s_load_dword s10, s[4:5], 0x30
	s_load_dwordx4 s[36:39], s[4:5], 0x20
	s_load_dwordx8 s[48:55], s[4:5], 0x0
	s_load_dwordx2 s[34:35], s[4:5], 0x50
	s_mov_b64 s[8:9], -1
	s_waitcnt lgkmcnt(0)
	s_bitcmp0_b32 s10, 0
	v_lshlrev_b32_e32 v44, 20, v2
	v_lshlrev_b32_e32 v45, 10, v1
	s_cbranch_scc0 .LBB719_4
; %bb.3:
	s_add_u32 s8, s4, 0x58
	s_addc_u32 s9, s5, 0
	s_getpc_b64 s[10:11]
	s_add_u32 s10, s10, _ZN7rocprim17ROCPRIM_400000_NS6detail26segmented_warp_sort_helperINS1_20WarpSortHelperConfigILj16ELj16ELj256EEEllLi256ELb1EvE4sortIPKlPlS8_S9_EEvT_T0_T1_T2_jjjjRNS5_12storage_typeE@rel32@lo+4
	s_addc_u32 s11, s11, _ZN7rocprim17ROCPRIM_400000_NS6detail26segmented_warp_sort_helperINS1_20WarpSortHelperConfigILj16ELj16ELj256EEEllLi256ELb1EvE4sortIPKlPlS8_S9_EEvT_T0_T1_T2_jjjjRNS5_12storage_typeE@rel32@hi+12
	v_or3_b32 v31, v0, v45, v44
	s_mov_b32 s12, s6
	s_mov_b32 s13, s7
	v_mov_b32_e32 v43, v0
	v_mov_b32_e32 v0, s48
	;; [unrolled: 1-line block ×13, first 2 shown]
	s_mov_b64 s[36:37], s[4:5]
	s_mov_b32 s50, s7
	s_mov_b32 s33, s6
	s_swappc_b64 s[30:31], s[10:11]
	v_mov_b32_e32 v0, v43
	s_mov_b32 s6, s33
	s_mov_b32 s7, s50
	s_mov_b64 s[4:5], s[36:37]
	s_mov_b64 s[8:9], 0
.LBB719_4:
	s_andn2_b64 vcc, exec, s[8:9]
	s_cbranch_vccnz .LBB719_6
; %bb.5:
	s_add_u32 s8, s4, 0x58
	s_addc_u32 s9, s5, 0
	s_getpc_b64 s[4:5]
	s_add_u32 s4, s4, _ZN7rocprim17ROCPRIM_400000_NS6detail26segmented_warp_sort_helperINS1_20WarpSortHelperConfigILj16ELj16ELj256EEEllLi256ELb1EvE4sortIPKlPlS8_S9_EEvT_T0_T1_T2_jjjjRNS5_12storage_typeE@rel32@lo+4
	s_addc_u32 s5, s5, _ZN7rocprim17ROCPRIM_400000_NS6detail26segmented_warp_sort_helperINS1_20WarpSortHelperConfigILj16ELj16ELj256EEEllLi256ELb1EvE4sortIPKlPlS8_S9_EEvT_T0_T1_T2_jjjjRNS5_12storage_typeE@rel32@hi+12
	v_or3_b32 v31, v0, v45, v44
	s_mov_b32 s12, s6
	s_mov_b32 s13, s7
	v_mov_b32_e32 v0, s48
	v_mov_b32_e32 v1, s49
	;; [unrolled: 1-line block ×12, first 2 shown]
	s_swappc_b64 s[30:31], s[4:5]
.LBB719_6:
	s_endpgm
	.section	.rodata,"a",@progbits
	.p2align	6, 0x0
	.amdhsa_kernel _ZN7rocprim17ROCPRIM_400000_NS6detail17trampoline_kernelINS0_14default_configENS1_36segmented_radix_sort_config_selectorIllEEZNS1_25segmented_radix_sort_implIS3_Lb1EPKlPlS8_S9_N2at6native12_GLOBAL__N_18offset_tEEE10hipError_tPvRmT1_PNSt15iterator_traitsISH_E10value_typeET2_T3_PNSI_ISN_E10value_typeET4_jRbjT5_ST_jjP12ihipStream_tbEUlT_E0_NS1_11comp_targetILNS1_3genE2ELNS1_11target_archE906ELNS1_3gpuE6ELNS1_3repE0EEENS1_60segmented_radix_sort_warp_sort_medium_config_static_selectorELNS0_4arch9wavefront6targetE1EEEvSH_
		.amdhsa_group_segment_fixed_size 65536
		.amdhsa_private_segment_fixed_size 8
		.amdhsa_kernarg_size 344
		.amdhsa_user_sgpr_count 6
		.amdhsa_user_sgpr_private_segment_buffer 1
		.amdhsa_user_sgpr_dispatch_ptr 0
		.amdhsa_user_sgpr_queue_ptr 0
		.amdhsa_user_sgpr_kernarg_segment_ptr 1
		.amdhsa_user_sgpr_dispatch_id 0
		.amdhsa_user_sgpr_flat_scratch_init 0
		.amdhsa_user_sgpr_private_segment_size 0
		.amdhsa_uses_dynamic_stack 0
		.amdhsa_system_sgpr_private_segment_wavefront_offset 1
		.amdhsa_system_sgpr_workgroup_id_x 1
		.amdhsa_system_sgpr_workgroup_id_y 1
		.amdhsa_system_sgpr_workgroup_id_z 0
		.amdhsa_system_sgpr_workgroup_info 0
		.amdhsa_system_vgpr_workitem_id 2
		.amdhsa_next_free_vgpr 166
		.amdhsa_next_free_sgpr 98
		.amdhsa_reserve_vcc 1
		.amdhsa_reserve_flat_scratch 0
		.amdhsa_float_round_mode_32 0
		.amdhsa_float_round_mode_16_64 0
		.amdhsa_float_denorm_mode_32 3
		.amdhsa_float_denorm_mode_16_64 3
		.amdhsa_dx10_clamp 1
		.amdhsa_ieee_mode 1
		.amdhsa_fp16_overflow 0
		.amdhsa_exception_fp_ieee_invalid_op 0
		.amdhsa_exception_fp_denorm_src 0
		.amdhsa_exception_fp_ieee_div_zero 0
		.amdhsa_exception_fp_ieee_overflow 0
		.amdhsa_exception_fp_ieee_underflow 0
		.amdhsa_exception_fp_ieee_inexact 0
		.amdhsa_exception_int_div_zero 0
	.end_amdhsa_kernel
	.section	.text._ZN7rocprim17ROCPRIM_400000_NS6detail17trampoline_kernelINS0_14default_configENS1_36segmented_radix_sort_config_selectorIllEEZNS1_25segmented_radix_sort_implIS3_Lb1EPKlPlS8_S9_N2at6native12_GLOBAL__N_18offset_tEEE10hipError_tPvRmT1_PNSt15iterator_traitsISH_E10value_typeET2_T3_PNSI_ISN_E10value_typeET4_jRbjT5_ST_jjP12ihipStream_tbEUlT_E0_NS1_11comp_targetILNS1_3genE2ELNS1_11target_archE906ELNS1_3gpuE6ELNS1_3repE0EEENS1_60segmented_radix_sort_warp_sort_medium_config_static_selectorELNS0_4arch9wavefront6targetE1EEEvSH_,"axG",@progbits,_ZN7rocprim17ROCPRIM_400000_NS6detail17trampoline_kernelINS0_14default_configENS1_36segmented_radix_sort_config_selectorIllEEZNS1_25segmented_radix_sort_implIS3_Lb1EPKlPlS8_S9_N2at6native12_GLOBAL__N_18offset_tEEE10hipError_tPvRmT1_PNSt15iterator_traitsISH_E10value_typeET2_T3_PNSI_ISN_E10value_typeET4_jRbjT5_ST_jjP12ihipStream_tbEUlT_E0_NS1_11comp_targetILNS1_3genE2ELNS1_11target_archE906ELNS1_3gpuE6ELNS1_3repE0EEENS1_60segmented_radix_sort_warp_sort_medium_config_static_selectorELNS0_4arch9wavefront6targetE1EEEvSH_,comdat
.Lfunc_end719:
	.size	_ZN7rocprim17ROCPRIM_400000_NS6detail17trampoline_kernelINS0_14default_configENS1_36segmented_radix_sort_config_selectorIllEEZNS1_25segmented_radix_sort_implIS3_Lb1EPKlPlS8_S9_N2at6native12_GLOBAL__N_18offset_tEEE10hipError_tPvRmT1_PNSt15iterator_traitsISH_E10value_typeET2_T3_PNSI_ISN_E10value_typeET4_jRbjT5_ST_jjP12ihipStream_tbEUlT_E0_NS1_11comp_targetILNS1_3genE2ELNS1_11target_archE906ELNS1_3gpuE6ELNS1_3repE0EEENS1_60segmented_radix_sort_warp_sort_medium_config_static_selectorELNS0_4arch9wavefront6targetE1EEEvSH_, .Lfunc_end719-_ZN7rocprim17ROCPRIM_400000_NS6detail17trampoline_kernelINS0_14default_configENS1_36segmented_radix_sort_config_selectorIllEEZNS1_25segmented_radix_sort_implIS3_Lb1EPKlPlS8_S9_N2at6native12_GLOBAL__N_18offset_tEEE10hipError_tPvRmT1_PNSt15iterator_traitsISH_E10value_typeET2_T3_PNSI_ISN_E10value_typeET4_jRbjT5_ST_jjP12ihipStream_tbEUlT_E0_NS1_11comp_targetILNS1_3genE2ELNS1_11target_archE906ELNS1_3gpuE6ELNS1_3repE0EEENS1_60segmented_radix_sort_warp_sort_medium_config_static_selectorELNS0_4arch9wavefront6targetE1EEEvSH_
                                        ; -- End function
	.set _ZN7rocprim17ROCPRIM_400000_NS6detail17trampoline_kernelINS0_14default_configENS1_36segmented_radix_sort_config_selectorIllEEZNS1_25segmented_radix_sort_implIS3_Lb1EPKlPlS8_S9_N2at6native12_GLOBAL__N_18offset_tEEE10hipError_tPvRmT1_PNSt15iterator_traitsISH_E10value_typeET2_T3_PNSI_ISN_E10value_typeET4_jRbjT5_ST_jjP12ihipStream_tbEUlT_E0_NS1_11comp_targetILNS1_3genE2ELNS1_11target_archE906ELNS1_3gpuE6ELNS1_3repE0EEENS1_60segmented_radix_sort_warp_sort_medium_config_static_selectorELNS0_4arch9wavefront6targetE1EEEvSH_.num_vgpr, max(46, .L_ZN7rocprim17ROCPRIM_400000_NS6detail26segmented_warp_sort_helperINS1_20WarpSortHelperConfigILj16ELj16ELj256EEEllLi256ELb1EvE4sortIPKlPlS8_S9_EEvT_T0_T1_T2_jjjjRNS5_12storage_typeE.num_vgpr)
	.set _ZN7rocprim17ROCPRIM_400000_NS6detail17trampoline_kernelINS0_14default_configENS1_36segmented_radix_sort_config_selectorIllEEZNS1_25segmented_radix_sort_implIS3_Lb1EPKlPlS8_S9_N2at6native12_GLOBAL__N_18offset_tEEE10hipError_tPvRmT1_PNSt15iterator_traitsISH_E10value_typeET2_T3_PNSI_ISN_E10value_typeET4_jRbjT5_ST_jjP12ihipStream_tbEUlT_E0_NS1_11comp_targetILNS1_3genE2ELNS1_11target_archE906ELNS1_3gpuE6ELNS1_3repE0EEENS1_60segmented_radix_sort_warp_sort_medium_config_static_selectorELNS0_4arch9wavefront6targetE1EEEvSH_.num_agpr, max(0, .L_ZN7rocprim17ROCPRIM_400000_NS6detail26segmented_warp_sort_helperINS1_20WarpSortHelperConfigILj16ELj16ELj256EEEllLi256ELb1EvE4sortIPKlPlS8_S9_EEvT_T0_T1_T2_jjjjRNS5_12storage_typeE.num_agpr)
	.set _ZN7rocprim17ROCPRIM_400000_NS6detail17trampoline_kernelINS0_14default_configENS1_36segmented_radix_sort_config_selectorIllEEZNS1_25segmented_radix_sort_implIS3_Lb1EPKlPlS8_S9_N2at6native12_GLOBAL__N_18offset_tEEE10hipError_tPvRmT1_PNSt15iterator_traitsISH_E10value_typeET2_T3_PNSI_ISN_E10value_typeET4_jRbjT5_ST_jjP12ihipStream_tbEUlT_E0_NS1_11comp_targetILNS1_3genE2ELNS1_11target_archE906ELNS1_3gpuE6ELNS1_3repE0EEENS1_60segmented_radix_sort_warp_sort_medium_config_static_selectorELNS0_4arch9wavefront6targetE1EEEvSH_.numbered_sgpr, max(56, .L_ZN7rocprim17ROCPRIM_400000_NS6detail26segmented_warp_sort_helperINS1_20WarpSortHelperConfigILj16ELj16ELj256EEEllLi256ELb1EvE4sortIPKlPlS8_S9_EEvT_T0_T1_T2_jjjjRNS5_12storage_typeE.numbered_sgpr)
	.set _ZN7rocprim17ROCPRIM_400000_NS6detail17trampoline_kernelINS0_14default_configENS1_36segmented_radix_sort_config_selectorIllEEZNS1_25segmented_radix_sort_implIS3_Lb1EPKlPlS8_S9_N2at6native12_GLOBAL__N_18offset_tEEE10hipError_tPvRmT1_PNSt15iterator_traitsISH_E10value_typeET2_T3_PNSI_ISN_E10value_typeET4_jRbjT5_ST_jjP12ihipStream_tbEUlT_E0_NS1_11comp_targetILNS1_3genE2ELNS1_11target_archE906ELNS1_3gpuE6ELNS1_3repE0EEENS1_60segmented_radix_sort_warp_sort_medium_config_static_selectorELNS0_4arch9wavefront6targetE1EEEvSH_.num_named_barrier, max(0, .L_ZN7rocprim17ROCPRIM_400000_NS6detail26segmented_warp_sort_helperINS1_20WarpSortHelperConfigILj16ELj16ELj256EEEllLi256ELb1EvE4sortIPKlPlS8_S9_EEvT_T0_T1_T2_jjjjRNS5_12storage_typeE.num_named_barrier)
	.set _ZN7rocprim17ROCPRIM_400000_NS6detail17trampoline_kernelINS0_14default_configENS1_36segmented_radix_sort_config_selectorIllEEZNS1_25segmented_radix_sort_implIS3_Lb1EPKlPlS8_S9_N2at6native12_GLOBAL__N_18offset_tEEE10hipError_tPvRmT1_PNSt15iterator_traitsISH_E10value_typeET2_T3_PNSI_ISN_E10value_typeET4_jRbjT5_ST_jjP12ihipStream_tbEUlT_E0_NS1_11comp_targetILNS1_3genE2ELNS1_11target_archE906ELNS1_3gpuE6ELNS1_3repE0EEENS1_60segmented_radix_sort_warp_sort_medium_config_static_selectorELNS0_4arch9wavefront6targetE1EEEvSH_.private_seg_size, 0+max(.L_ZN7rocprim17ROCPRIM_400000_NS6detail26segmented_warp_sort_helperINS1_20WarpSortHelperConfigILj16ELj16ELj256EEEllLi256ELb1EvE4sortIPKlPlS8_S9_EEvT_T0_T1_T2_jjjjRNS5_12storage_typeE.private_seg_size)
	.set _ZN7rocprim17ROCPRIM_400000_NS6detail17trampoline_kernelINS0_14default_configENS1_36segmented_radix_sort_config_selectorIllEEZNS1_25segmented_radix_sort_implIS3_Lb1EPKlPlS8_S9_N2at6native12_GLOBAL__N_18offset_tEEE10hipError_tPvRmT1_PNSt15iterator_traitsISH_E10value_typeET2_T3_PNSI_ISN_E10value_typeET4_jRbjT5_ST_jjP12ihipStream_tbEUlT_E0_NS1_11comp_targetILNS1_3genE2ELNS1_11target_archE906ELNS1_3gpuE6ELNS1_3repE0EEENS1_60segmented_radix_sort_warp_sort_medium_config_static_selectorELNS0_4arch9wavefront6targetE1EEEvSH_.uses_vcc, or(1, .L_ZN7rocprim17ROCPRIM_400000_NS6detail26segmented_warp_sort_helperINS1_20WarpSortHelperConfigILj16ELj16ELj256EEEllLi256ELb1EvE4sortIPKlPlS8_S9_EEvT_T0_T1_T2_jjjjRNS5_12storage_typeE.uses_vcc)
	.set _ZN7rocprim17ROCPRIM_400000_NS6detail17trampoline_kernelINS0_14default_configENS1_36segmented_radix_sort_config_selectorIllEEZNS1_25segmented_radix_sort_implIS3_Lb1EPKlPlS8_S9_N2at6native12_GLOBAL__N_18offset_tEEE10hipError_tPvRmT1_PNSt15iterator_traitsISH_E10value_typeET2_T3_PNSI_ISN_E10value_typeET4_jRbjT5_ST_jjP12ihipStream_tbEUlT_E0_NS1_11comp_targetILNS1_3genE2ELNS1_11target_archE906ELNS1_3gpuE6ELNS1_3repE0EEENS1_60segmented_radix_sort_warp_sort_medium_config_static_selectorELNS0_4arch9wavefront6targetE1EEEvSH_.uses_flat_scratch, or(0, .L_ZN7rocprim17ROCPRIM_400000_NS6detail26segmented_warp_sort_helperINS1_20WarpSortHelperConfigILj16ELj16ELj256EEEllLi256ELb1EvE4sortIPKlPlS8_S9_EEvT_T0_T1_T2_jjjjRNS5_12storage_typeE.uses_flat_scratch)
	.set _ZN7rocprim17ROCPRIM_400000_NS6detail17trampoline_kernelINS0_14default_configENS1_36segmented_radix_sort_config_selectorIllEEZNS1_25segmented_radix_sort_implIS3_Lb1EPKlPlS8_S9_N2at6native12_GLOBAL__N_18offset_tEEE10hipError_tPvRmT1_PNSt15iterator_traitsISH_E10value_typeET2_T3_PNSI_ISN_E10value_typeET4_jRbjT5_ST_jjP12ihipStream_tbEUlT_E0_NS1_11comp_targetILNS1_3genE2ELNS1_11target_archE906ELNS1_3gpuE6ELNS1_3repE0EEENS1_60segmented_radix_sort_warp_sort_medium_config_static_selectorELNS0_4arch9wavefront6targetE1EEEvSH_.has_dyn_sized_stack, or(0, .L_ZN7rocprim17ROCPRIM_400000_NS6detail26segmented_warp_sort_helperINS1_20WarpSortHelperConfigILj16ELj16ELj256EEEllLi256ELb1EvE4sortIPKlPlS8_S9_EEvT_T0_T1_T2_jjjjRNS5_12storage_typeE.has_dyn_sized_stack)
	.set _ZN7rocprim17ROCPRIM_400000_NS6detail17trampoline_kernelINS0_14default_configENS1_36segmented_radix_sort_config_selectorIllEEZNS1_25segmented_radix_sort_implIS3_Lb1EPKlPlS8_S9_N2at6native12_GLOBAL__N_18offset_tEEE10hipError_tPvRmT1_PNSt15iterator_traitsISH_E10value_typeET2_T3_PNSI_ISN_E10value_typeET4_jRbjT5_ST_jjP12ihipStream_tbEUlT_E0_NS1_11comp_targetILNS1_3genE2ELNS1_11target_archE906ELNS1_3gpuE6ELNS1_3repE0EEENS1_60segmented_radix_sort_warp_sort_medium_config_static_selectorELNS0_4arch9wavefront6targetE1EEEvSH_.has_recursion, or(0, .L_ZN7rocprim17ROCPRIM_400000_NS6detail26segmented_warp_sort_helperINS1_20WarpSortHelperConfigILj16ELj16ELj256EEEllLi256ELb1EvE4sortIPKlPlS8_S9_EEvT_T0_T1_T2_jjjjRNS5_12storage_typeE.has_recursion)
	.set _ZN7rocprim17ROCPRIM_400000_NS6detail17trampoline_kernelINS0_14default_configENS1_36segmented_radix_sort_config_selectorIllEEZNS1_25segmented_radix_sort_implIS3_Lb1EPKlPlS8_S9_N2at6native12_GLOBAL__N_18offset_tEEE10hipError_tPvRmT1_PNSt15iterator_traitsISH_E10value_typeET2_T3_PNSI_ISN_E10value_typeET4_jRbjT5_ST_jjP12ihipStream_tbEUlT_E0_NS1_11comp_targetILNS1_3genE2ELNS1_11target_archE906ELNS1_3gpuE6ELNS1_3repE0EEENS1_60segmented_radix_sort_warp_sort_medium_config_static_selectorELNS0_4arch9wavefront6targetE1EEEvSH_.has_indirect_call, or(0, .L_ZN7rocprim17ROCPRIM_400000_NS6detail26segmented_warp_sort_helperINS1_20WarpSortHelperConfigILj16ELj16ELj256EEEllLi256ELb1EvE4sortIPKlPlS8_S9_EEvT_T0_T1_T2_jjjjRNS5_12storage_typeE.has_indirect_call)
	.section	.AMDGPU.csdata,"",@progbits
; Kernel info:
; codeLenInByte = 484
; TotalNumSgprs: 100
; NumVgprs: 166
; ScratchSize: 8
; MemoryBound: 0
; FloatMode: 240
; IeeeMode: 1
; LDSByteSize: 65536 bytes/workgroup (compile time only)
; SGPRBlocks: 12
; VGPRBlocks: 41
; NumSGPRsForWavesPerEU: 102
; NumVGPRsForWavesPerEU: 166
; Occupancy: 1
; WaveLimiterHint : 0
; COMPUTE_PGM_RSRC2:SCRATCH_EN: 1
; COMPUTE_PGM_RSRC2:USER_SGPR: 6
; COMPUTE_PGM_RSRC2:TRAP_HANDLER: 0
; COMPUTE_PGM_RSRC2:TGID_X_EN: 1
; COMPUTE_PGM_RSRC2:TGID_Y_EN: 1
; COMPUTE_PGM_RSRC2:TGID_Z_EN: 0
; COMPUTE_PGM_RSRC2:TIDIG_COMP_CNT: 2
	.section	.text._ZN7rocprim17ROCPRIM_400000_NS6detail17trampoline_kernelINS0_14default_configENS1_36segmented_radix_sort_config_selectorIllEEZNS1_25segmented_radix_sort_implIS3_Lb1EPKlPlS8_S9_N2at6native12_GLOBAL__N_18offset_tEEE10hipError_tPvRmT1_PNSt15iterator_traitsISH_E10value_typeET2_T3_PNSI_ISN_E10value_typeET4_jRbjT5_ST_jjP12ihipStream_tbEUlT_E0_NS1_11comp_targetILNS1_3genE10ELNS1_11target_archE1201ELNS1_3gpuE5ELNS1_3repE0EEENS1_60segmented_radix_sort_warp_sort_medium_config_static_selectorELNS0_4arch9wavefront6targetE1EEEvSH_,"axG",@progbits,_ZN7rocprim17ROCPRIM_400000_NS6detail17trampoline_kernelINS0_14default_configENS1_36segmented_radix_sort_config_selectorIllEEZNS1_25segmented_radix_sort_implIS3_Lb1EPKlPlS8_S9_N2at6native12_GLOBAL__N_18offset_tEEE10hipError_tPvRmT1_PNSt15iterator_traitsISH_E10value_typeET2_T3_PNSI_ISN_E10value_typeET4_jRbjT5_ST_jjP12ihipStream_tbEUlT_E0_NS1_11comp_targetILNS1_3genE10ELNS1_11target_archE1201ELNS1_3gpuE5ELNS1_3repE0EEENS1_60segmented_radix_sort_warp_sort_medium_config_static_selectorELNS0_4arch9wavefront6targetE1EEEvSH_,comdat
	.globl	_ZN7rocprim17ROCPRIM_400000_NS6detail17trampoline_kernelINS0_14default_configENS1_36segmented_radix_sort_config_selectorIllEEZNS1_25segmented_radix_sort_implIS3_Lb1EPKlPlS8_S9_N2at6native12_GLOBAL__N_18offset_tEEE10hipError_tPvRmT1_PNSt15iterator_traitsISH_E10value_typeET2_T3_PNSI_ISN_E10value_typeET4_jRbjT5_ST_jjP12ihipStream_tbEUlT_E0_NS1_11comp_targetILNS1_3genE10ELNS1_11target_archE1201ELNS1_3gpuE5ELNS1_3repE0EEENS1_60segmented_radix_sort_warp_sort_medium_config_static_selectorELNS0_4arch9wavefront6targetE1EEEvSH_ ; -- Begin function _ZN7rocprim17ROCPRIM_400000_NS6detail17trampoline_kernelINS0_14default_configENS1_36segmented_radix_sort_config_selectorIllEEZNS1_25segmented_radix_sort_implIS3_Lb1EPKlPlS8_S9_N2at6native12_GLOBAL__N_18offset_tEEE10hipError_tPvRmT1_PNSt15iterator_traitsISH_E10value_typeET2_T3_PNSI_ISN_E10value_typeET4_jRbjT5_ST_jjP12ihipStream_tbEUlT_E0_NS1_11comp_targetILNS1_3genE10ELNS1_11target_archE1201ELNS1_3gpuE5ELNS1_3repE0EEENS1_60segmented_radix_sort_warp_sort_medium_config_static_selectorELNS0_4arch9wavefront6targetE1EEEvSH_
	.p2align	8
	.type	_ZN7rocprim17ROCPRIM_400000_NS6detail17trampoline_kernelINS0_14default_configENS1_36segmented_radix_sort_config_selectorIllEEZNS1_25segmented_radix_sort_implIS3_Lb1EPKlPlS8_S9_N2at6native12_GLOBAL__N_18offset_tEEE10hipError_tPvRmT1_PNSt15iterator_traitsISH_E10value_typeET2_T3_PNSI_ISN_E10value_typeET4_jRbjT5_ST_jjP12ihipStream_tbEUlT_E0_NS1_11comp_targetILNS1_3genE10ELNS1_11target_archE1201ELNS1_3gpuE5ELNS1_3repE0EEENS1_60segmented_radix_sort_warp_sort_medium_config_static_selectorELNS0_4arch9wavefront6targetE1EEEvSH_,@function
_ZN7rocprim17ROCPRIM_400000_NS6detail17trampoline_kernelINS0_14default_configENS1_36segmented_radix_sort_config_selectorIllEEZNS1_25segmented_radix_sort_implIS3_Lb1EPKlPlS8_S9_N2at6native12_GLOBAL__N_18offset_tEEE10hipError_tPvRmT1_PNSt15iterator_traitsISH_E10value_typeET2_T3_PNSI_ISN_E10value_typeET4_jRbjT5_ST_jjP12ihipStream_tbEUlT_E0_NS1_11comp_targetILNS1_3genE10ELNS1_11target_archE1201ELNS1_3gpuE5ELNS1_3repE0EEENS1_60segmented_radix_sort_warp_sort_medium_config_static_selectorELNS0_4arch9wavefront6targetE1EEEvSH_: ; @_ZN7rocprim17ROCPRIM_400000_NS6detail17trampoline_kernelINS0_14default_configENS1_36segmented_radix_sort_config_selectorIllEEZNS1_25segmented_radix_sort_implIS3_Lb1EPKlPlS8_S9_N2at6native12_GLOBAL__N_18offset_tEEE10hipError_tPvRmT1_PNSt15iterator_traitsISH_E10value_typeET2_T3_PNSI_ISN_E10value_typeET4_jRbjT5_ST_jjP12ihipStream_tbEUlT_E0_NS1_11comp_targetILNS1_3genE10ELNS1_11target_archE1201ELNS1_3gpuE5ELNS1_3repE0EEENS1_60segmented_radix_sort_warp_sort_medium_config_static_selectorELNS0_4arch9wavefront6targetE1EEEvSH_
; %bb.0:
	.section	.rodata,"a",@progbits
	.p2align	6, 0x0
	.amdhsa_kernel _ZN7rocprim17ROCPRIM_400000_NS6detail17trampoline_kernelINS0_14default_configENS1_36segmented_radix_sort_config_selectorIllEEZNS1_25segmented_radix_sort_implIS3_Lb1EPKlPlS8_S9_N2at6native12_GLOBAL__N_18offset_tEEE10hipError_tPvRmT1_PNSt15iterator_traitsISH_E10value_typeET2_T3_PNSI_ISN_E10value_typeET4_jRbjT5_ST_jjP12ihipStream_tbEUlT_E0_NS1_11comp_targetILNS1_3genE10ELNS1_11target_archE1201ELNS1_3gpuE5ELNS1_3repE0EEENS1_60segmented_radix_sort_warp_sort_medium_config_static_selectorELNS0_4arch9wavefront6targetE1EEEvSH_
		.amdhsa_group_segment_fixed_size 0
		.amdhsa_private_segment_fixed_size 0
		.amdhsa_kernarg_size 88
		.amdhsa_user_sgpr_count 6
		.amdhsa_user_sgpr_private_segment_buffer 1
		.amdhsa_user_sgpr_dispatch_ptr 0
		.amdhsa_user_sgpr_queue_ptr 0
		.amdhsa_user_sgpr_kernarg_segment_ptr 1
		.amdhsa_user_sgpr_dispatch_id 0
		.amdhsa_user_sgpr_flat_scratch_init 0
		.amdhsa_user_sgpr_private_segment_size 0
		.amdhsa_uses_dynamic_stack 0
		.amdhsa_system_sgpr_private_segment_wavefront_offset 0
		.amdhsa_system_sgpr_workgroup_id_x 1
		.amdhsa_system_sgpr_workgroup_id_y 0
		.amdhsa_system_sgpr_workgroup_id_z 0
		.amdhsa_system_sgpr_workgroup_info 0
		.amdhsa_system_vgpr_workitem_id 0
		.amdhsa_next_free_vgpr 1
		.amdhsa_next_free_sgpr 0
		.amdhsa_reserve_vcc 0
		.amdhsa_reserve_flat_scratch 0
		.amdhsa_float_round_mode_32 0
		.amdhsa_float_round_mode_16_64 0
		.amdhsa_float_denorm_mode_32 3
		.amdhsa_float_denorm_mode_16_64 3
		.amdhsa_dx10_clamp 1
		.amdhsa_ieee_mode 1
		.amdhsa_fp16_overflow 0
		.amdhsa_exception_fp_ieee_invalid_op 0
		.amdhsa_exception_fp_denorm_src 0
		.amdhsa_exception_fp_ieee_div_zero 0
		.amdhsa_exception_fp_ieee_overflow 0
		.amdhsa_exception_fp_ieee_underflow 0
		.amdhsa_exception_fp_ieee_inexact 0
		.amdhsa_exception_int_div_zero 0
	.end_amdhsa_kernel
	.section	.text._ZN7rocprim17ROCPRIM_400000_NS6detail17trampoline_kernelINS0_14default_configENS1_36segmented_radix_sort_config_selectorIllEEZNS1_25segmented_radix_sort_implIS3_Lb1EPKlPlS8_S9_N2at6native12_GLOBAL__N_18offset_tEEE10hipError_tPvRmT1_PNSt15iterator_traitsISH_E10value_typeET2_T3_PNSI_ISN_E10value_typeET4_jRbjT5_ST_jjP12ihipStream_tbEUlT_E0_NS1_11comp_targetILNS1_3genE10ELNS1_11target_archE1201ELNS1_3gpuE5ELNS1_3repE0EEENS1_60segmented_radix_sort_warp_sort_medium_config_static_selectorELNS0_4arch9wavefront6targetE1EEEvSH_,"axG",@progbits,_ZN7rocprim17ROCPRIM_400000_NS6detail17trampoline_kernelINS0_14default_configENS1_36segmented_radix_sort_config_selectorIllEEZNS1_25segmented_radix_sort_implIS3_Lb1EPKlPlS8_S9_N2at6native12_GLOBAL__N_18offset_tEEE10hipError_tPvRmT1_PNSt15iterator_traitsISH_E10value_typeET2_T3_PNSI_ISN_E10value_typeET4_jRbjT5_ST_jjP12ihipStream_tbEUlT_E0_NS1_11comp_targetILNS1_3genE10ELNS1_11target_archE1201ELNS1_3gpuE5ELNS1_3repE0EEENS1_60segmented_radix_sort_warp_sort_medium_config_static_selectorELNS0_4arch9wavefront6targetE1EEEvSH_,comdat
.Lfunc_end720:
	.size	_ZN7rocprim17ROCPRIM_400000_NS6detail17trampoline_kernelINS0_14default_configENS1_36segmented_radix_sort_config_selectorIllEEZNS1_25segmented_radix_sort_implIS3_Lb1EPKlPlS8_S9_N2at6native12_GLOBAL__N_18offset_tEEE10hipError_tPvRmT1_PNSt15iterator_traitsISH_E10value_typeET2_T3_PNSI_ISN_E10value_typeET4_jRbjT5_ST_jjP12ihipStream_tbEUlT_E0_NS1_11comp_targetILNS1_3genE10ELNS1_11target_archE1201ELNS1_3gpuE5ELNS1_3repE0EEENS1_60segmented_radix_sort_warp_sort_medium_config_static_selectorELNS0_4arch9wavefront6targetE1EEEvSH_, .Lfunc_end720-_ZN7rocprim17ROCPRIM_400000_NS6detail17trampoline_kernelINS0_14default_configENS1_36segmented_radix_sort_config_selectorIllEEZNS1_25segmented_radix_sort_implIS3_Lb1EPKlPlS8_S9_N2at6native12_GLOBAL__N_18offset_tEEE10hipError_tPvRmT1_PNSt15iterator_traitsISH_E10value_typeET2_T3_PNSI_ISN_E10value_typeET4_jRbjT5_ST_jjP12ihipStream_tbEUlT_E0_NS1_11comp_targetILNS1_3genE10ELNS1_11target_archE1201ELNS1_3gpuE5ELNS1_3repE0EEENS1_60segmented_radix_sort_warp_sort_medium_config_static_selectorELNS0_4arch9wavefront6targetE1EEEvSH_
                                        ; -- End function
	.set _ZN7rocprim17ROCPRIM_400000_NS6detail17trampoline_kernelINS0_14default_configENS1_36segmented_radix_sort_config_selectorIllEEZNS1_25segmented_radix_sort_implIS3_Lb1EPKlPlS8_S9_N2at6native12_GLOBAL__N_18offset_tEEE10hipError_tPvRmT1_PNSt15iterator_traitsISH_E10value_typeET2_T3_PNSI_ISN_E10value_typeET4_jRbjT5_ST_jjP12ihipStream_tbEUlT_E0_NS1_11comp_targetILNS1_3genE10ELNS1_11target_archE1201ELNS1_3gpuE5ELNS1_3repE0EEENS1_60segmented_radix_sort_warp_sort_medium_config_static_selectorELNS0_4arch9wavefront6targetE1EEEvSH_.num_vgpr, 0
	.set _ZN7rocprim17ROCPRIM_400000_NS6detail17trampoline_kernelINS0_14default_configENS1_36segmented_radix_sort_config_selectorIllEEZNS1_25segmented_radix_sort_implIS3_Lb1EPKlPlS8_S9_N2at6native12_GLOBAL__N_18offset_tEEE10hipError_tPvRmT1_PNSt15iterator_traitsISH_E10value_typeET2_T3_PNSI_ISN_E10value_typeET4_jRbjT5_ST_jjP12ihipStream_tbEUlT_E0_NS1_11comp_targetILNS1_3genE10ELNS1_11target_archE1201ELNS1_3gpuE5ELNS1_3repE0EEENS1_60segmented_radix_sort_warp_sort_medium_config_static_selectorELNS0_4arch9wavefront6targetE1EEEvSH_.num_agpr, 0
	.set _ZN7rocprim17ROCPRIM_400000_NS6detail17trampoline_kernelINS0_14default_configENS1_36segmented_radix_sort_config_selectorIllEEZNS1_25segmented_radix_sort_implIS3_Lb1EPKlPlS8_S9_N2at6native12_GLOBAL__N_18offset_tEEE10hipError_tPvRmT1_PNSt15iterator_traitsISH_E10value_typeET2_T3_PNSI_ISN_E10value_typeET4_jRbjT5_ST_jjP12ihipStream_tbEUlT_E0_NS1_11comp_targetILNS1_3genE10ELNS1_11target_archE1201ELNS1_3gpuE5ELNS1_3repE0EEENS1_60segmented_radix_sort_warp_sort_medium_config_static_selectorELNS0_4arch9wavefront6targetE1EEEvSH_.numbered_sgpr, 0
	.set _ZN7rocprim17ROCPRIM_400000_NS6detail17trampoline_kernelINS0_14default_configENS1_36segmented_radix_sort_config_selectorIllEEZNS1_25segmented_radix_sort_implIS3_Lb1EPKlPlS8_S9_N2at6native12_GLOBAL__N_18offset_tEEE10hipError_tPvRmT1_PNSt15iterator_traitsISH_E10value_typeET2_T3_PNSI_ISN_E10value_typeET4_jRbjT5_ST_jjP12ihipStream_tbEUlT_E0_NS1_11comp_targetILNS1_3genE10ELNS1_11target_archE1201ELNS1_3gpuE5ELNS1_3repE0EEENS1_60segmented_radix_sort_warp_sort_medium_config_static_selectorELNS0_4arch9wavefront6targetE1EEEvSH_.num_named_barrier, 0
	.set _ZN7rocprim17ROCPRIM_400000_NS6detail17trampoline_kernelINS0_14default_configENS1_36segmented_radix_sort_config_selectorIllEEZNS1_25segmented_radix_sort_implIS3_Lb1EPKlPlS8_S9_N2at6native12_GLOBAL__N_18offset_tEEE10hipError_tPvRmT1_PNSt15iterator_traitsISH_E10value_typeET2_T3_PNSI_ISN_E10value_typeET4_jRbjT5_ST_jjP12ihipStream_tbEUlT_E0_NS1_11comp_targetILNS1_3genE10ELNS1_11target_archE1201ELNS1_3gpuE5ELNS1_3repE0EEENS1_60segmented_radix_sort_warp_sort_medium_config_static_selectorELNS0_4arch9wavefront6targetE1EEEvSH_.private_seg_size, 0
	.set _ZN7rocprim17ROCPRIM_400000_NS6detail17trampoline_kernelINS0_14default_configENS1_36segmented_radix_sort_config_selectorIllEEZNS1_25segmented_radix_sort_implIS3_Lb1EPKlPlS8_S9_N2at6native12_GLOBAL__N_18offset_tEEE10hipError_tPvRmT1_PNSt15iterator_traitsISH_E10value_typeET2_T3_PNSI_ISN_E10value_typeET4_jRbjT5_ST_jjP12ihipStream_tbEUlT_E0_NS1_11comp_targetILNS1_3genE10ELNS1_11target_archE1201ELNS1_3gpuE5ELNS1_3repE0EEENS1_60segmented_radix_sort_warp_sort_medium_config_static_selectorELNS0_4arch9wavefront6targetE1EEEvSH_.uses_vcc, 0
	.set _ZN7rocprim17ROCPRIM_400000_NS6detail17trampoline_kernelINS0_14default_configENS1_36segmented_radix_sort_config_selectorIllEEZNS1_25segmented_radix_sort_implIS3_Lb1EPKlPlS8_S9_N2at6native12_GLOBAL__N_18offset_tEEE10hipError_tPvRmT1_PNSt15iterator_traitsISH_E10value_typeET2_T3_PNSI_ISN_E10value_typeET4_jRbjT5_ST_jjP12ihipStream_tbEUlT_E0_NS1_11comp_targetILNS1_3genE10ELNS1_11target_archE1201ELNS1_3gpuE5ELNS1_3repE0EEENS1_60segmented_radix_sort_warp_sort_medium_config_static_selectorELNS0_4arch9wavefront6targetE1EEEvSH_.uses_flat_scratch, 0
	.set _ZN7rocprim17ROCPRIM_400000_NS6detail17trampoline_kernelINS0_14default_configENS1_36segmented_radix_sort_config_selectorIllEEZNS1_25segmented_radix_sort_implIS3_Lb1EPKlPlS8_S9_N2at6native12_GLOBAL__N_18offset_tEEE10hipError_tPvRmT1_PNSt15iterator_traitsISH_E10value_typeET2_T3_PNSI_ISN_E10value_typeET4_jRbjT5_ST_jjP12ihipStream_tbEUlT_E0_NS1_11comp_targetILNS1_3genE10ELNS1_11target_archE1201ELNS1_3gpuE5ELNS1_3repE0EEENS1_60segmented_radix_sort_warp_sort_medium_config_static_selectorELNS0_4arch9wavefront6targetE1EEEvSH_.has_dyn_sized_stack, 0
	.set _ZN7rocprim17ROCPRIM_400000_NS6detail17trampoline_kernelINS0_14default_configENS1_36segmented_radix_sort_config_selectorIllEEZNS1_25segmented_radix_sort_implIS3_Lb1EPKlPlS8_S9_N2at6native12_GLOBAL__N_18offset_tEEE10hipError_tPvRmT1_PNSt15iterator_traitsISH_E10value_typeET2_T3_PNSI_ISN_E10value_typeET4_jRbjT5_ST_jjP12ihipStream_tbEUlT_E0_NS1_11comp_targetILNS1_3genE10ELNS1_11target_archE1201ELNS1_3gpuE5ELNS1_3repE0EEENS1_60segmented_radix_sort_warp_sort_medium_config_static_selectorELNS0_4arch9wavefront6targetE1EEEvSH_.has_recursion, 0
	.set _ZN7rocprim17ROCPRIM_400000_NS6detail17trampoline_kernelINS0_14default_configENS1_36segmented_radix_sort_config_selectorIllEEZNS1_25segmented_radix_sort_implIS3_Lb1EPKlPlS8_S9_N2at6native12_GLOBAL__N_18offset_tEEE10hipError_tPvRmT1_PNSt15iterator_traitsISH_E10value_typeET2_T3_PNSI_ISN_E10value_typeET4_jRbjT5_ST_jjP12ihipStream_tbEUlT_E0_NS1_11comp_targetILNS1_3genE10ELNS1_11target_archE1201ELNS1_3gpuE5ELNS1_3repE0EEENS1_60segmented_radix_sort_warp_sort_medium_config_static_selectorELNS0_4arch9wavefront6targetE1EEEvSH_.has_indirect_call, 0
	.section	.AMDGPU.csdata,"",@progbits
; Kernel info:
; codeLenInByte = 0
; TotalNumSgprs: 4
; NumVgprs: 0
; ScratchSize: 0
; MemoryBound: 0
; FloatMode: 240
; IeeeMode: 1
; LDSByteSize: 0 bytes/workgroup (compile time only)
; SGPRBlocks: 0
; VGPRBlocks: 0
; NumSGPRsForWavesPerEU: 4
; NumVGPRsForWavesPerEU: 1
; Occupancy: 10
; WaveLimiterHint : 0
; COMPUTE_PGM_RSRC2:SCRATCH_EN: 0
; COMPUTE_PGM_RSRC2:USER_SGPR: 6
; COMPUTE_PGM_RSRC2:TRAP_HANDLER: 0
; COMPUTE_PGM_RSRC2:TGID_X_EN: 1
; COMPUTE_PGM_RSRC2:TGID_Y_EN: 0
; COMPUTE_PGM_RSRC2:TGID_Z_EN: 0
; COMPUTE_PGM_RSRC2:TIDIG_COMP_CNT: 0
	.section	.text._ZN7rocprim17ROCPRIM_400000_NS6detail17trampoline_kernelINS0_14default_configENS1_36segmented_radix_sort_config_selectorIllEEZNS1_25segmented_radix_sort_implIS3_Lb1EPKlPlS8_S9_N2at6native12_GLOBAL__N_18offset_tEEE10hipError_tPvRmT1_PNSt15iterator_traitsISH_E10value_typeET2_T3_PNSI_ISN_E10value_typeET4_jRbjT5_ST_jjP12ihipStream_tbEUlT_E0_NS1_11comp_targetILNS1_3genE10ELNS1_11target_archE1200ELNS1_3gpuE4ELNS1_3repE0EEENS1_60segmented_radix_sort_warp_sort_medium_config_static_selectorELNS0_4arch9wavefront6targetE1EEEvSH_,"axG",@progbits,_ZN7rocprim17ROCPRIM_400000_NS6detail17trampoline_kernelINS0_14default_configENS1_36segmented_radix_sort_config_selectorIllEEZNS1_25segmented_radix_sort_implIS3_Lb1EPKlPlS8_S9_N2at6native12_GLOBAL__N_18offset_tEEE10hipError_tPvRmT1_PNSt15iterator_traitsISH_E10value_typeET2_T3_PNSI_ISN_E10value_typeET4_jRbjT5_ST_jjP12ihipStream_tbEUlT_E0_NS1_11comp_targetILNS1_3genE10ELNS1_11target_archE1200ELNS1_3gpuE4ELNS1_3repE0EEENS1_60segmented_radix_sort_warp_sort_medium_config_static_selectorELNS0_4arch9wavefront6targetE1EEEvSH_,comdat
	.globl	_ZN7rocprim17ROCPRIM_400000_NS6detail17trampoline_kernelINS0_14default_configENS1_36segmented_radix_sort_config_selectorIllEEZNS1_25segmented_radix_sort_implIS3_Lb1EPKlPlS8_S9_N2at6native12_GLOBAL__N_18offset_tEEE10hipError_tPvRmT1_PNSt15iterator_traitsISH_E10value_typeET2_T3_PNSI_ISN_E10value_typeET4_jRbjT5_ST_jjP12ihipStream_tbEUlT_E0_NS1_11comp_targetILNS1_3genE10ELNS1_11target_archE1200ELNS1_3gpuE4ELNS1_3repE0EEENS1_60segmented_radix_sort_warp_sort_medium_config_static_selectorELNS0_4arch9wavefront6targetE1EEEvSH_ ; -- Begin function _ZN7rocprim17ROCPRIM_400000_NS6detail17trampoline_kernelINS0_14default_configENS1_36segmented_radix_sort_config_selectorIllEEZNS1_25segmented_radix_sort_implIS3_Lb1EPKlPlS8_S9_N2at6native12_GLOBAL__N_18offset_tEEE10hipError_tPvRmT1_PNSt15iterator_traitsISH_E10value_typeET2_T3_PNSI_ISN_E10value_typeET4_jRbjT5_ST_jjP12ihipStream_tbEUlT_E0_NS1_11comp_targetILNS1_3genE10ELNS1_11target_archE1200ELNS1_3gpuE4ELNS1_3repE0EEENS1_60segmented_radix_sort_warp_sort_medium_config_static_selectorELNS0_4arch9wavefront6targetE1EEEvSH_
	.p2align	8
	.type	_ZN7rocprim17ROCPRIM_400000_NS6detail17trampoline_kernelINS0_14default_configENS1_36segmented_radix_sort_config_selectorIllEEZNS1_25segmented_radix_sort_implIS3_Lb1EPKlPlS8_S9_N2at6native12_GLOBAL__N_18offset_tEEE10hipError_tPvRmT1_PNSt15iterator_traitsISH_E10value_typeET2_T3_PNSI_ISN_E10value_typeET4_jRbjT5_ST_jjP12ihipStream_tbEUlT_E0_NS1_11comp_targetILNS1_3genE10ELNS1_11target_archE1200ELNS1_3gpuE4ELNS1_3repE0EEENS1_60segmented_radix_sort_warp_sort_medium_config_static_selectorELNS0_4arch9wavefront6targetE1EEEvSH_,@function
_ZN7rocprim17ROCPRIM_400000_NS6detail17trampoline_kernelINS0_14default_configENS1_36segmented_radix_sort_config_selectorIllEEZNS1_25segmented_radix_sort_implIS3_Lb1EPKlPlS8_S9_N2at6native12_GLOBAL__N_18offset_tEEE10hipError_tPvRmT1_PNSt15iterator_traitsISH_E10value_typeET2_T3_PNSI_ISN_E10value_typeET4_jRbjT5_ST_jjP12ihipStream_tbEUlT_E0_NS1_11comp_targetILNS1_3genE10ELNS1_11target_archE1200ELNS1_3gpuE4ELNS1_3repE0EEENS1_60segmented_radix_sort_warp_sort_medium_config_static_selectorELNS0_4arch9wavefront6targetE1EEEvSH_: ; @_ZN7rocprim17ROCPRIM_400000_NS6detail17trampoline_kernelINS0_14default_configENS1_36segmented_radix_sort_config_selectorIllEEZNS1_25segmented_radix_sort_implIS3_Lb1EPKlPlS8_S9_N2at6native12_GLOBAL__N_18offset_tEEE10hipError_tPvRmT1_PNSt15iterator_traitsISH_E10value_typeET2_T3_PNSI_ISN_E10value_typeET4_jRbjT5_ST_jjP12ihipStream_tbEUlT_E0_NS1_11comp_targetILNS1_3genE10ELNS1_11target_archE1200ELNS1_3gpuE4ELNS1_3repE0EEENS1_60segmented_radix_sort_warp_sort_medium_config_static_selectorELNS0_4arch9wavefront6targetE1EEEvSH_
; %bb.0:
	.section	.rodata,"a",@progbits
	.p2align	6, 0x0
	.amdhsa_kernel _ZN7rocprim17ROCPRIM_400000_NS6detail17trampoline_kernelINS0_14default_configENS1_36segmented_radix_sort_config_selectorIllEEZNS1_25segmented_radix_sort_implIS3_Lb1EPKlPlS8_S9_N2at6native12_GLOBAL__N_18offset_tEEE10hipError_tPvRmT1_PNSt15iterator_traitsISH_E10value_typeET2_T3_PNSI_ISN_E10value_typeET4_jRbjT5_ST_jjP12ihipStream_tbEUlT_E0_NS1_11comp_targetILNS1_3genE10ELNS1_11target_archE1200ELNS1_3gpuE4ELNS1_3repE0EEENS1_60segmented_radix_sort_warp_sort_medium_config_static_selectorELNS0_4arch9wavefront6targetE1EEEvSH_
		.amdhsa_group_segment_fixed_size 0
		.amdhsa_private_segment_fixed_size 0
		.amdhsa_kernarg_size 88
		.amdhsa_user_sgpr_count 6
		.amdhsa_user_sgpr_private_segment_buffer 1
		.amdhsa_user_sgpr_dispatch_ptr 0
		.amdhsa_user_sgpr_queue_ptr 0
		.amdhsa_user_sgpr_kernarg_segment_ptr 1
		.amdhsa_user_sgpr_dispatch_id 0
		.amdhsa_user_sgpr_flat_scratch_init 0
		.amdhsa_user_sgpr_private_segment_size 0
		.amdhsa_uses_dynamic_stack 0
		.amdhsa_system_sgpr_private_segment_wavefront_offset 0
		.amdhsa_system_sgpr_workgroup_id_x 1
		.amdhsa_system_sgpr_workgroup_id_y 0
		.amdhsa_system_sgpr_workgroup_id_z 0
		.amdhsa_system_sgpr_workgroup_info 0
		.amdhsa_system_vgpr_workitem_id 0
		.amdhsa_next_free_vgpr 1
		.amdhsa_next_free_sgpr 0
		.amdhsa_reserve_vcc 0
		.amdhsa_reserve_flat_scratch 0
		.amdhsa_float_round_mode_32 0
		.amdhsa_float_round_mode_16_64 0
		.amdhsa_float_denorm_mode_32 3
		.amdhsa_float_denorm_mode_16_64 3
		.amdhsa_dx10_clamp 1
		.amdhsa_ieee_mode 1
		.amdhsa_fp16_overflow 0
		.amdhsa_exception_fp_ieee_invalid_op 0
		.amdhsa_exception_fp_denorm_src 0
		.amdhsa_exception_fp_ieee_div_zero 0
		.amdhsa_exception_fp_ieee_overflow 0
		.amdhsa_exception_fp_ieee_underflow 0
		.amdhsa_exception_fp_ieee_inexact 0
		.amdhsa_exception_int_div_zero 0
	.end_amdhsa_kernel
	.section	.text._ZN7rocprim17ROCPRIM_400000_NS6detail17trampoline_kernelINS0_14default_configENS1_36segmented_radix_sort_config_selectorIllEEZNS1_25segmented_radix_sort_implIS3_Lb1EPKlPlS8_S9_N2at6native12_GLOBAL__N_18offset_tEEE10hipError_tPvRmT1_PNSt15iterator_traitsISH_E10value_typeET2_T3_PNSI_ISN_E10value_typeET4_jRbjT5_ST_jjP12ihipStream_tbEUlT_E0_NS1_11comp_targetILNS1_3genE10ELNS1_11target_archE1200ELNS1_3gpuE4ELNS1_3repE0EEENS1_60segmented_radix_sort_warp_sort_medium_config_static_selectorELNS0_4arch9wavefront6targetE1EEEvSH_,"axG",@progbits,_ZN7rocprim17ROCPRIM_400000_NS6detail17trampoline_kernelINS0_14default_configENS1_36segmented_radix_sort_config_selectorIllEEZNS1_25segmented_radix_sort_implIS3_Lb1EPKlPlS8_S9_N2at6native12_GLOBAL__N_18offset_tEEE10hipError_tPvRmT1_PNSt15iterator_traitsISH_E10value_typeET2_T3_PNSI_ISN_E10value_typeET4_jRbjT5_ST_jjP12ihipStream_tbEUlT_E0_NS1_11comp_targetILNS1_3genE10ELNS1_11target_archE1200ELNS1_3gpuE4ELNS1_3repE0EEENS1_60segmented_radix_sort_warp_sort_medium_config_static_selectorELNS0_4arch9wavefront6targetE1EEEvSH_,comdat
.Lfunc_end721:
	.size	_ZN7rocprim17ROCPRIM_400000_NS6detail17trampoline_kernelINS0_14default_configENS1_36segmented_radix_sort_config_selectorIllEEZNS1_25segmented_radix_sort_implIS3_Lb1EPKlPlS8_S9_N2at6native12_GLOBAL__N_18offset_tEEE10hipError_tPvRmT1_PNSt15iterator_traitsISH_E10value_typeET2_T3_PNSI_ISN_E10value_typeET4_jRbjT5_ST_jjP12ihipStream_tbEUlT_E0_NS1_11comp_targetILNS1_3genE10ELNS1_11target_archE1200ELNS1_3gpuE4ELNS1_3repE0EEENS1_60segmented_radix_sort_warp_sort_medium_config_static_selectorELNS0_4arch9wavefront6targetE1EEEvSH_, .Lfunc_end721-_ZN7rocprim17ROCPRIM_400000_NS6detail17trampoline_kernelINS0_14default_configENS1_36segmented_radix_sort_config_selectorIllEEZNS1_25segmented_radix_sort_implIS3_Lb1EPKlPlS8_S9_N2at6native12_GLOBAL__N_18offset_tEEE10hipError_tPvRmT1_PNSt15iterator_traitsISH_E10value_typeET2_T3_PNSI_ISN_E10value_typeET4_jRbjT5_ST_jjP12ihipStream_tbEUlT_E0_NS1_11comp_targetILNS1_3genE10ELNS1_11target_archE1200ELNS1_3gpuE4ELNS1_3repE0EEENS1_60segmented_radix_sort_warp_sort_medium_config_static_selectorELNS0_4arch9wavefront6targetE1EEEvSH_
                                        ; -- End function
	.set _ZN7rocprim17ROCPRIM_400000_NS6detail17trampoline_kernelINS0_14default_configENS1_36segmented_radix_sort_config_selectorIllEEZNS1_25segmented_radix_sort_implIS3_Lb1EPKlPlS8_S9_N2at6native12_GLOBAL__N_18offset_tEEE10hipError_tPvRmT1_PNSt15iterator_traitsISH_E10value_typeET2_T3_PNSI_ISN_E10value_typeET4_jRbjT5_ST_jjP12ihipStream_tbEUlT_E0_NS1_11comp_targetILNS1_3genE10ELNS1_11target_archE1200ELNS1_3gpuE4ELNS1_3repE0EEENS1_60segmented_radix_sort_warp_sort_medium_config_static_selectorELNS0_4arch9wavefront6targetE1EEEvSH_.num_vgpr, 0
	.set _ZN7rocprim17ROCPRIM_400000_NS6detail17trampoline_kernelINS0_14default_configENS1_36segmented_radix_sort_config_selectorIllEEZNS1_25segmented_radix_sort_implIS3_Lb1EPKlPlS8_S9_N2at6native12_GLOBAL__N_18offset_tEEE10hipError_tPvRmT1_PNSt15iterator_traitsISH_E10value_typeET2_T3_PNSI_ISN_E10value_typeET4_jRbjT5_ST_jjP12ihipStream_tbEUlT_E0_NS1_11comp_targetILNS1_3genE10ELNS1_11target_archE1200ELNS1_3gpuE4ELNS1_3repE0EEENS1_60segmented_radix_sort_warp_sort_medium_config_static_selectorELNS0_4arch9wavefront6targetE1EEEvSH_.num_agpr, 0
	.set _ZN7rocprim17ROCPRIM_400000_NS6detail17trampoline_kernelINS0_14default_configENS1_36segmented_radix_sort_config_selectorIllEEZNS1_25segmented_radix_sort_implIS3_Lb1EPKlPlS8_S9_N2at6native12_GLOBAL__N_18offset_tEEE10hipError_tPvRmT1_PNSt15iterator_traitsISH_E10value_typeET2_T3_PNSI_ISN_E10value_typeET4_jRbjT5_ST_jjP12ihipStream_tbEUlT_E0_NS1_11comp_targetILNS1_3genE10ELNS1_11target_archE1200ELNS1_3gpuE4ELNS1_3repE0EEENS1_60segmented_radix_sort_warp_sort_medium_config_static_selectorELNS0_4arch9wavefront6targetE1EEEvSH_.numbered_sgpr, 0
	.set _ZN7rocprim17ROCPRIM_400000_NS6detail17trampoline_kernelINS0_14default_configENS1_36segmented_radix_sort_config_selectorIllEEZNS1_25segmented_radix_sort_implIS3_Lb1EPKlPlS8_S9_N2at6native12_GLOBAL__N_18offset_tEEE10hipError_tPvRmT1_PNSt15iterator_traitsISH_E10value_typeET2_T3_PNSI_ISN_E10value_typeET4_jRbjT5_ST_jjP12ihipStream_tbEUlT_E0_NS1_11comp_targetILNS1_3genE10ELNS1_11target_archE1200ELNS1_3gpuE4ELNS1_3repE0EEENS1_60segmented_radix_sort_warp_sort_medium_config_static_selectorELNS0_4arch9wavefront6targetE1EEEvSH_.num_named_barrier, 0
	.set _ZN7rocprim17ROCPRIM_400000_NS6detail17trampoline_kernelINS0_14default_configENS1_36segmented_radix_sort_config_selectorIllEEZNS1_25segmented_radix_sort_implIS3_Lb1EPKlPlS8_S9_N2at6native12_GLOBAL__N_18offset_tEEE10hipError_tPvRmT1_PNSt15iterator_traitsISH_E10value_typeET2_T3_PNSI_ISN_E10value_typeET4_jRbjT5_ST_jjP12ihipStream_tbEUlT_E0_NS1_11comp_targetILNS1_3genE10ELNS1_11target_archE1200ELNS1_3gpuE4ELNS1_3repE0EEENS1_60segmented_radix_sort_warp_sort_medium_config_static_selectorELNS0_4arch9wavefront6targetE1EEEvSH_.private_seg_size, 0
	.set _ZN7rocprim17ROCPRIM_400000_NS6detail17trampoline_kernelINS0_14default_configENS1_36segmented_radix_sort_config_selectorIllEEZNS1_25segmented_radix_sort_implIS3_Lb1EPKlPlS8_S9_N2at6native12_GLOBAL__N_18offset_tEEE10hipError_tPvRmT1_PNSt15iterator_traitsISH_E10value_typeET2_T3_PNSI_ISN_E10value_typeET4_jRbjT5_ST_jjP12ihipStream_tbEUlT_E0_NS1_11comp_targetILNS1_3genE10ELNS1_11target_archE1200ELNS1_3gpuE4ELNS1_3repE0EEENS1_60segmented_radix_sort_warp_sort_medium_config_static_selectorELNS0_4arch9wavefront6targetE1EEEvSH_.uses_vcc, 0
	.set _ZN7rocprim17ROCPRIM_400000_NS6detail17trampoline_kernelINS0_14default_configENS1_36segmented_radix_sort_config_selectorIllEEZNS1_25segmented_radix_sort_implIS3_Lb1EPKlPlS8_S9_N2at6native12_GLOBAL__N_18offset_tEEE10hipError_tPvRmT1_PNSt15iterator_traitsISH_E10value_typeET2_T3_PNSI_ISN_E10value_typeET4_jRbjT5_ST_jjP12ihipStream_tbEUlT_E0_NS1_11comp_targetILNS1_3genE10ELNS1_11target_archE1200ELNS1_3gpuE4ELNS1_3repE0EEENS1_60segmented_radix_sort_warp_sort_medium_config_static_selectorELNS0_4arch9wavefront6targetE1EEEvSH_.uses_flat_scratch, 0
	.set _ZN7rocprim17ROCPRIM_400000_NS6detail17trampoline_kernelINS0_14default_configENS1_36segmented_radix_sort_config_selectorIllEEZNS1_25segmented_radix_sort_implIS3_Lb1EPKlPlS8_S9_N2at6native12_GLOBAL__N_18offset_tEEE10hipError_tPvRmT1_PNSt15iterator_traitsISH_E10value_typeET2_T3_PNSI_ISN_E10value_typeET4_jRbjT5_ST_jjP12ihipStream_tbEUlT_E0_NS1_11comp_targetILNS1_3genE10ELNS1_11target_archE1200ELNS1_3gpuE4ELNS1_3repE0EEENS1_60segmented_radix_sort_warp_sort_medium_config_static_selectorELNS0_4arch9wavefront6targetE1EEEvSH_.has_dyn_sized_stack, 0
	.set _ZN7rocprim17ROCPRIM_400000_NS6detail17trampoline_kernelINS0_14default_configENS1_36segmented_radix_sort_config_selectorIllEEZNS1_25segmented_radix_sort_implIS3_Lb1EPKlPlS8_S9_N2at6native12_GLOBAL__N_18offset_tEEE10hipError_tPvRmT1_PNSt15iterator_traitsISH_E10value_typeET2_T3_PNSI_ISN_E10value_typeET4_jRbjT5_ST_jjP12ihipStream_tbEUlT_E0_NS1_11comp_targetILNS1_3genE10ELNS1_11target_archE1200ELNS1_3gpuE4ELNS1_3repE0EEENS1_60segmented_radix_sort_warp_sort_medium_config_static_selectorELNS0_4arch9wavefront6targetE1EEEvSH_.has_recursion, 0
	.set _ZN7rocprim17ROCPRIM_400000_NS6detail17trampoline_kernelINS0_14default_configENS1_36segmented_radix_sort_config_selectorIllEEZNS1_25segmented_radix_sort_implIS3_Lb1EPKlPlS8_S9_N2at6native12_GLOBAL__N_18offset_tEEE10hipError_tPvRmT1_PNSt15iterator_traitsISH_E10value_typeET2_T3_PNSI_ISN_E10value_typeET4_jRbjT5_ST_jjP12ihipStream_tbEUlT_E0_NS1_11comp_targetILNS1_3genE10ELNS1_11target_archE1200ELNS1_3gpuE4ELNS1_3repE0EEENS1_60segmented_radix_sort_warp_sort_medium_config_static_selectorELNS0_4arch9wavefront6targetE1EEEvSH_.has_indirect_call, 0
	.section	.AMDGPU.csdata,"",@progbits
; Kernel info:
; codeLenInByte = 0
; TotalNumSgprs: 4
; NumVgprs: 0
; ScratchSize: 0
; MemoryBound: 0
; FloatMode: 240
; IeeeMode: 1
; LDSByteSize: 0 bytes/workgroup (compile time only)
; SGPRBlocks: 0
; VGPRBlocks: 0
; NumSGPRsForWavesPerEU: 4
; NumVGPRsForWavesPerEU: 1
; Occupancy: 10
; WaveLimiterHint : 0
; COMPUTE_PGM_RSRC2:SCRATCH_EN: 0
; COMPUTE_PGM_RSRC2:USER_SGPR: 6
; COMPUTE_PGM_RSRC2:TRAP_HANDLER: 0
; COMPUTE_PGM_RSRC2:TGID_X_EN: 1
; COMPUTE_PGM_RSRC2:TGID_Y_EN: 0
; COMPUTE_PGM_RSRC2:TGID_Z_EN: 0
; COMPUTE_PGM_RSRC2:TIDIG_COMP_CNT: 0
	.section	.text._ZN7rocprim17ROCPRIM_400000_NS6detail17trampoline_kernelINS0_14default_configENS1_36segmented_radix_sort_config_selectorIllEEZNS1_25segmented_radix_sort_implIS3_Lb1EPKlPlS8_S9_N2at6native12_GLOBAL__N_18offset_tEEE10hipError_tPvRmT1_PNSt15iterator_traitsISH_E10value_typeET2_T3_PNSI_ISN_E10value_typeET4_jRbjT5_ST_jjP12ihipStream_tbEUlT_E0_NS1_11comp_targetILNS1_3genE9ELNS1_11target_archE1100ELNS1_3gpuE3ELNS1_3repE0EEENS1_60segmented_radix_sort_warp_sort_medium_config_static_selectorELNS0_4arch9wavefront6targetE1EEEvSH_,"axG",@progbits,_ZN7rocprim17ROCPRIM_400000_NS6detail17trampoline_kernelINS0_14default_configENS1_36segmented_radix_sort_config_selectorIllEEZNS1_25segmented_radix_sort_implIS3_Lb1EPKlPlS8_S9_N2at6native12_GLOBAL__N_18offset_tEEE10hipError_tPvRmT1_PNSt15iterator_traitsISH_E10value_typeET2_T3_PNSI_ISN_E10value_typeET4_jRbjT5_ST_jjP12ihipStream_tbEUlT_E0_NS1_11comp_targetILNS1_3genE9ELNS1_11target_archE1100ELNS1_3gpuE3ELNS1_3repE0EEENS1_60segmented_radix_sort_warp_sort_medium_config_static_selectorELNS0_4arch9wavefront6targetE1EEEvSH_,comdat
	.globl	_ZN7rocprim17ROCPRIM_400000_NS6detail17trampoline_kernelINS0_14default_configENS1_36segmented_radix_sort_config_selectorIllEEZNS1_25segmented_radix_sort_implIS3_Lb1EPKlPlS8_S9_N2at6native12_GLOBAL__N_18offset_tEEE10hipError_tPvRmT1_PNSt15iterator_traitsISH_E10value_typeET2_T3_PNSI_ISN_E10value_typeET4_jRbjT5_ST_jjP12ihipStream_tbEUlT_E0_NS1_11comp_targetILNS1_3genE9ELNS1_11target_archE1100ELNS1_3gpuE3ELNS1_3repE0EEENS1_60segmented_radix_sort_warp_sort_medium_config_static_selectorELNS0_4arch9wavefront6targetE1EEEvSH_ ; -- Begin function _ZN7rocprim17ROCPRIM_400000_NS6detail17trampoline_kernelINS0_14default_configENS1_36segmented_radix_sort_config_selectorIllEEZNS1_25segmented_radix_sort_implIS3_Lb1EPKlPlS8_S9_N2at6native12_GLOBAL__N_18offset_tEEE10hipError_tPvRmT1_PNSt15iterator_traitsISH_E10value_typeET2_T3_PNSI_ISN_E10value_typeET4_jRbjT5_ST_jjP12ihipStream_tbEUlT_E0_NS1_11comp_targetILNS1_3genE9ELNS1_11target_archE1100ELNS1_3gpuE3ELNS1_3repE0EEENS1_60segmented_radix_sort_warp_sort_medium_config_static_selectorELNS0_4arch9wavefront6targetE1EEEvSH_
	.p2align	8
	.type	_ZN7rocprim17ROCPRIM_400000_NS6detail17trampoline_kernelINS0_14default_configENS1_36segmented_radix_sort_config_selectorIllEEZNS1_25segmented_radix_sort_implIS3_Lb1EPKlPlS8_S9_N2at6native12_GLOBAL__N_18offset_tEEE10hipError_tPvRmT1_PNSt15iterator_traitsISH_E10value_typeET2_T3_PNSI_ISN_E10value_typeET4_jRbjT5_ST_jjP12ihipStream_tbEUlT_E0_NS1_11comp_targetILNS1_3genE9ELNS1_11target_archE1100ELNS1_3gpuE3ELNS1_3repE0EEENS1_60segmented_radix_sort_warp_sort_medium_config_static_selectorELNS0_4arch9wavefront6targetE1EEEvSH_,@function
_ZN7rocprim17ROCPRIM_400000_NS6detail17trampoline_kernelINS0_14default_configENS1_36segmented_radix_sort_config_selectorIllEEZNS1_25segmented_radix_sort_implIS3_Lb1EPKlPlS8_S9_N2at6native12_GLOBAL__N_18offset_tEEE10hipError_tPvRmT1_PNSt15iterator_traitsISH_E10value_typeET2_T3_PNSI_ISN_E10value_typeET4_jRbjT5_ST_jjP12ihipStream_tbEUlT_E0_NS1_11comp_targetILNS1_3genE9ELNS1_11target_archE1100ELNS1_3gpuE3ELNS1_3repE0EEENS1_60segmented_radix_sort_warp_sort_medium_config_static_selectorELNS0_4arch9wavefront6targetE1EEEvSH_: ; @_ZN7rocprim17ROCPRIM_400000_NS6detail17trampoline_kernelINS0_14default_configENS1_36segmented_radix_sort_config_selectorIllEEZNS1_25segmented_radix_sort_implIS3_Lb1EPKlPlS8_S9_N2at6native12_GLOBAL__N_18offset_tEEE10hipError_tPvRmT1_PNSt15iterator_traitsISH_E10value_typeET2_T3_PNSI_ISN_E10value_typeET4_jRbjT5_ST_jjP12ihipStream_tbEUlT_E0_NS1_11comp_targetILNS1_3genE9ELNS1_11target_archE1100ELNS1_3gpuE3ELNS1_3repE0EEENS1_60segmented_radix_sort_warp_sort_medium_config_static_selectorELNS0_4arch9wavefront6targetE1EEEvSH_
; %bb.0:
	.section	.rodata,"a",@progbits
	.p2align	6, 0x0
	.amdhsa_kernel _ZN7rocprim17ROCPRIM_400000_NS6detail17trampoline_kernelINS0_14default_configENS1_36segmented_radix_sort_config_selectorIllEEZNS1_25segmented_radix_sort_implIS3_Lb1EPKlPlS8_S9_N2at6native12_GLOBAL__N_18offset_tEEE10hipError_tPvRmT1_PNSt15iterator_traitsISH_E10value_typeET2_T3_PNSI_ISN_E10value_typeET4_jRbjT5_ST_jjP12ihipStream_tbEUlT_E0_NS1_11comp_targetILNS1_3genE9ELNS1_11target_archE1100ELNS1_3gpuE3ELNS1_3repE0EEENS1_60segmented_radix_sort_warp_sort_medium_config_static_selectorELNS0_4arch9wavefront6targetE1EEEvSH_
		.amdhsa_group_segment_fixed_size 0
		.amdhsa_private_segment_fixed_size 0
		.amdhsa_kernarg_size 88
		.amdhsa_user_sgpr_count 6
		.amdhsa_user_sgpr_private_segment_buffer 1
		.amdhsa_user_sgpr_dispatch_ptr 0
		.amdhsa_user_sgpr_queue_ptr 0
		.amdhsa_user_sgpr_kernarg_segment_ptr 1
		.amdhsa_user_sgpr_dispatch_id 0
		.amdhsa_user_sgpr_flat_scratch_init 0
		.amdhsa_user_sgpr_private_segment_size 0
		.amdhsa_uses_dynamic_stack 0
		.amdhsa_system_sgpr_private_segment_wavefront_offset 0
		.amdhsa_system_sgpr_workgroup_id_x 1
		.amdhsa_system_sgpr_workgroup_id_y 0
		.amdhsa_system_sgpr_workgroup_id_z 0
		.amdhsa_system_sgpr_workgroup_info 0
		.amdhsa_system_vgpr_workitem_id 0
		.amdhsa_next_free_vgpr 1
		.amdhsa_next_free_sgpr 0
		.amdhsa_reserve_vcc 0
		.amdhsa_reserve_flat_scratch 0
		.amdhsa_float_round_mode_32 0
		.amdhsa_float_round_mode_16_64 0
		.amdhsa_float_denorm_mode_32 3
		.amdhsa_float_denorm_mode_16_64 3
		.amdhsa_dx10_clamp 1
		.amdhsa_ieee_mode 1
		.amdhsa_fp16_overflow 0
		.amdhsa_exception_fp_ieee_invalid_op 0
		.amdhsa_exception_fp_denorm_src 0
		.amdhsa_exception_fp_ieee_div_zero 0
		.amdhsa_exception_fp_ieee_overflow 0
		.amdhsa_exception_fp_ieee_underflow 0
		.amdhsa_exception_fp_ieee_inexact 0
		.amdhsa_exception_int_div_zero 0
	.end_amdhsa_kernel
	.section	.text._ZN7rocprim17ROCPRIM_400000_NS6detail17trampoline_kernelINS0_14default_configENS1_36segmented_radix_sort_config_selectorIllEEZNS1_25segmented_radix_sort_implIS3_Lb1EPKlPlS8_S9_N2at6native12_GLOBAL__N_18offset_tEEE10hipError_tPvRmT1_PNSt15iterator_traitsISH_E10value_typeET2_T3_PNSI_ISN_E10value_typeET4_jRbjT5_ST_jjP12ihipStream_tbEUlT_E0_NS1_11comp_targetILNS1_3genE9ELNS1_11target_archE1100ELNS1_3gpuE3ELNS1_3repE0EEENS1_60segmented_radix_sort_warp_sort_medium_config_static_selectorELNS0_4arch9wavefront6targetE1EEEvSH_,"axG",@progbits,_ZN7rocprim17ROCPRIM_400000_NS6detail17trampoline_kernelINS0_14default_configENS1_36segmented_radix_sort_config_selectorIllEEZNS1_25segmented_radix_sort_implIS3_Lb1EPKlPlS8_S9_N2at6native12_GLOBAL__N_18offset_tEEE10hipError_tPvRmT1_PNSt15iterator_traitsISH_E10value_typeET2_T3_PNSI_ISN_E10value_typeET4_jRbjT5_ST_jjP12ihipStream_tbEUlT_E0_NS1_11comp_targetILNS1_3genE9ELNS1_11target_archE1100ELNS1_3gpuE3ELNS1_3repE0EEENS1_60segmented_radix_sort_warp_sort_medium_config_static_selectorELNS0_4arch9wavefront6targetE1EEEvSH_,comdat
.Lfunc_end722:
	.size	_ZN7rocprim17ROCPRIM_400000_NS6detail17trampoline_kernelINS0_14default_configENS1_36segmented_radix_sort_config_selectorIllEEZNS1_25segmented_radix_sort_implIS3_Lb1EPKlPlS8_S9_N2at6native12_GLOBAL__N_18offset_tEEE10hipError_tPvRmT1_PNSt15iterator_traitsISH_E10value_typeET2_T3_PNSI_ISN_E10value_typeET4_jRbjT5_ST_jjP12ihipStream_tbEUlT_E0_NS1_11comp_targetILNS1_3genE9ELNS1_11target_archE1100ELNS1_3gpuE3ELNS1_3repE0EEENS1_60segmented_radix_sort_warp_sort_medium_config_static_selectorELNS0_4arch9wavefront6targetE1EEEvSH_, .Lfunc_end722-_ZN7rocprim17ROCPRIM_400000_NS6detail17trampoline_kernelINS0_14default_configENS1_36segmented_radix_sort_config_selectorIllEEZNS1_25segmented_radix_sort_implIS3_Lb1EPKlPlS8_S9_N2at6native12_GLOBAL__N_18offset_tEEE10hipError_tPvRmT1_PNSt15iterator_traitsISH_E10value_typeET2_T3_PNSI_ISN_E10value_typeET4_jRbjT5_ST_jjP12ihipStream_tbEUlT_E0_NS1_11comp_targetILNS1_3genE9ELNS1_11target_archE1100ELNS1_3gpuE3ELNS1_3repE0EEENS1_60segmented_radix_sort_warp_sort_medium_config_static_selectorELNS0_4arch9wavefront6targetE1EEEvSH_
                                        ; -- End function
	.set _ZN7rocprim17ROCPRIM_400000_NS6detail17trampoline_kernelINS0_14default_configENS1_36segmented_radix_sort_config_selectorIllEEZNS1_25segmented_radix_sort_implIS3_Lb1EPKlPlS8_S9_N2at6native12_GLOBAL__N_18offset_tEEE10hipError_tPvRmT1_PNSt15iterator_traitsISH_E10value_typeET2_T3_PNSI_ISN_E10value_typeET4_jRbjT5_ST_jjP12ihipStream_tbEUlT_E0_NS1_11comp_targetILNS1_3genE9ELNS1_11target_archE1100ELNS1_3gpuE3ELNS1_3repE0EEENS1_60segmented_radix_sort_warp_sort_medium_config_static_selectorELNS0_4arch9wavefront6targetE1EEEvSH_.num_vgpr, 0
	.set _ZN7rocprim17ROCPRIM_400000_NS6detail17trampoline_kernelINS0_14default_configENS1_36segmented_radix_sort_config_selectorIllEEZNS1_25segmented_radix_sort_implIS3_Lb1EPKlPlS8_S9_N2at6native12_GLOBAL__N_18offset_tEEE10hipError_tPvRmT1_PNSt15iterator_traitsISH_E10value_typeET2_T3_PNSI_ISN_E10value_typeET4_jRbjT5_ST_jjP12ihipStream_tbEUlT_E0_NS1_11comp_targetILNS1_3genE9ELNS1_11target_archE1100ELNS1_3gpuE3ELNS1_3repE0EEENS1_60segmented_radix_sort_warp_sort_medium_config_static_selectorELNS0_4arch9wavefront6targetE1EEEvSH_.num_agpr, 0
	.set _ZN7rocprim17ROCPRIM_400000_NS6detail17trampoline_kernelINS0_14default_configENS1_36segmented_radix_sort_config_selectorIllEEZNS1_25segmented_radix_sort_implIS3_Lb1EPKlPlS8_S9_N2at6native12_GLOBAL__N_18offset_tEEE10hipError_tPvRmT1_PNSt15iterator_traitsISH_E10value_typeET2_T3_PNSI_ISN_E10value_typeET4_jRbjT5_ST_jjP12ihipStream_tbEUlT_E0_NS1_11comp_targetILNS1_3genE9ELNS1_11target_archE1100ELNS1_3gpuE3ELNS1_3repE0EEENS1_60segmented_radix_sort_warp_sort_medium_config_static_selectorELNS0_4arch9wavefront6targetE1EEEvSH_.numbered_sgpr, 0
	.set _ZN7rocprim17ROCPRIM_400000_NS6detail17trampoline_kernelINS0_14default_configENS1_36segmented_radix_sort_config_selectorIllEEZNS1_25segmented_radix_sort_implIS3_Lb1EPKlPlS8_S9_N2at6native12_GLOBAL__N_18offset_tEEE10hipError_tPvRmT1_PNSt15iterator_traitsISH_E10value_typeET2_T3_PNSI_ISN_E10value_typeET4_jRbjT5_ST_jjP12ihipStream_tbEUlT_E0_NS1_11comp_targetILNS1_3genE9ELNS1_11target_archE1100ELNS1_3gpuE3ELNS1_3repE0EEENS1_60segmented_radix_sort_warp_sort_medium_config_static_selectorELNS0_4arch9wavefront6targetE1EEEvSH_.num_named_barrier, 0
	.set _ZN7rocprim17ROCPRIM_400000_NS6detail17trampoline_kernelINS0_14default_configENS1_36segmented_radix_sort_config_selectorIllEEZNS1_25segmented_radix_sort_implIS3_Lb1EPKlPlS8_S9_N2at6native12_GLOBAL__N_18offset_tEEE10hipError_tPvRmT1_PNSt15iterator_traitsISH_E10value_typeET2_T3_PNSI_ISN_E10value_typeET4_jRbjT5_ST_jjP12ihipStream_tbEUlT_E0_NS1_11comp_targetILNS1_3genE9ELNS1_11target_archE1100ELNS1_3gpuE3ELNS1_3repE0EEENS1_60segmented_radix_sort_warp_sort_medium_config_static_selectorELNS0_4arch9wavefront6targetE1EEEvSH_.private_seg_size, 0
	.set _ZN7rocprim17ROCPRIM_400000_NS6detail17trampoline_kernelINS0_14default_configENS1_36segmented_radix_sort_config_selectorIllEEZNS1_25segmented_radix_sort_implIS3_Lb1EPKlPlS8_S9_N2at6native12_GLOBAL__N_18offset_tEEE10hipError_tPvRmT1_PNSt15iterator_traitsISH_E10value_typeET2_T3_PNSI_ISN_E10value_typeET4_jRbjT5_ST_jjP12ihipStream_tbEUlT_E0_NS1_11comp_targetILNS1_3genE9ELNS1_11target_archE1100ELNS1_3gpuE3ELNS1_3repE0EEENS1_60segmented_radix_sort_warp_sort_medium_config_static_selectorELNS0_4arch9wavefront6targetE1EEEvSH_.uses_vcc, 0
	.set _ZN7rocprim17ROCPRIM_400000_NS6detail17trampoline_kernelINS0_14default_configENS1_36segmented_radix_sort_config_selectorIllEEZNS1_25segmented_radix_sort_implIS3_Lb1EPKlPlS8_S9_N2at6native12_GLOBAL__N_18offset_tEEE10hipError_tPvRmT1_PNSt15iterator_traitsISH_E10value_typeET2_T3_PNSI_ISN_E10value_typeET4_jRbjT5_ST_jjP12ihipStream_tbEUlT_E0_NS1_11comp_targetILNS1_3genE9ELNS1_11target_archE1100ELNS1_3gpuE3ELNS1_3repE0EEENS1_60segmented_radix_sort_warp_sort_medium_config_static_selectorELNS0_4arch9wavefront6targetE1EEEvSH_.uses_flat_scratch, 0
	.set _ZN7rocprim17ROCPRIM_400000_NS6detail17trampoline_kernelINS0_14default_configENS1_36segmented_radix_sort_config_selectorIllEEZNS1_25segmented_radix_sort_implIS3_Lb1EPKlPlS8_S9_N2at6native12_GLOBAL__N_18offset_tEEE10hipError_tPvRmT1_PNSt15iterator_traitsISH_E10value_typeET2_T3_PNSI_ISN_E10value_typeET4_jRbjT5_ST_jjP12ihipStream_tbEUlT_E0_NS1_11comp_targetILNS1_3genE9ELNS1_11target_archE1100ELNS1_3gpuE3ELNS1_3repE0EEENS1_60segmented_radix_sort_warp_sort_medium_config_static_selectorELNS0_4arch9wavefront6targetE1EEEvSH_.has_dyn_sized_stack, 0
	.set _ZN7rocprim17ROCPRIM_400000_NS6detail17trampoline_kernelINS0_14default_configENS1_36segmented_radix_sort_config_selectorIllEEZNS1_25segmented_radix_sort_implIS3_Lb1EPKlPlS8_S9_N2at6native12_GLOBAL__N_18offset_tEEE10hipError_tPvRmT1_PNSt15iterator_traitsISH_E10value_typeET2_T3_PNSI_ISN_E10value_typeET4_jRbjT5_ST_jjP12ihipStream_tbEUlT_E0_NS1_11comp_targetILNS1_3genE9ELNS1_11target_archE1100ELNS1_3gpuE3ELNS1_3repE0EEENS1_60segmented_radix_sort_warp_sort_medium_config_static_selectorELNS0_4arch9wavefront6targetE1EEEvSH_.has_recursion, 0
	.set _ZN7rocprim17ROCPRIM_400000_NS6detail17trampoline_kernelINS0_14default_configENS1_36segmented_radix_sort_config_selectorIllEEZNS1_25segmented_radix_sort_implIS3_Lb1EPKlPlS8_S9_N2at6native12_GLOBAL__N_18offset_tEEE10hipError_tPvRmT1_PNSt15iterator_traitsISH_E10value_typeET2_T3_PNSI_ISN_E10value_typeET4_jRbjT5_ST_jjP12ihipStream_tbEUlT_E0_NS1_11comp_targetILNS1_3genE9ELNS1_11target_archE1100ELNS1_3gpuE3ELNS1_3repE0EEENS1_60segmented_radix_sort_warp_sort_medium_config_static_selectorELNS0_4arch9wavefront6targetE1EEEvSH_.has_indirect_call, 0
	.section	.AMDGPU.csdata,"",@progbits
; Kernel info:
; codeLenInByte = 0
; TotalNumSgprs: 4
; NumVgprs: 0
; ScratchSize: 0
; MemoryBound: 0
; FloatMode: 240
; IeeeMode: 1
; LDSByteSize: 0 bytes/workgroup (compile time only)
; SGPRBlocks: 0
; VGPRBlocks: 0
; NumSGPRsForWavesPerEU: 4
; NumVGPRsForWavesPerEU: 1
; Occupancy: 10
; WaveLimiterHint : 0
; COMPUTE_PGM_RSRC2:SCRATCH_EN: 0
; COMPUTE_PGM_RSRC2:USER_SGPR: 6
; COMPUTE_PGM_RSRC2:TRAP_HANDLER: 0
; COMPUTE_PGM_RSRC2:TGID_X_EN: 1
; COMPUTE_PGM_RSRC2:TGID_Y_EN: 0
; COMPUTE_PGM_RSRC2:TGID_Z_EN: 0
; COMPUTE_PGM_RSRC2:TIDIG_COMP_CNT: 0
	.section	.text._ZN7rocprim17ROCPRIM_400000_NS6detail17trampoline_kernelINS0_14default_configENS1_36segmented_radix_sort_config_selectorIllEEZNS1_25segmented_radix_sort_implIS3_Lb1EPKlPlS8_S9_N2at6native12_GLOBAL__N_18offset_tEEE10hipError_tPvRmT1_PNSt15iterator_traitsISH_E10value_typeET2_T3_PNSI_ISN_E10value_typeET4_jRbjT5_ST_jjP12ihipStream_tbEUlT_E0_NS1_11comp_targetILNS1_3genE8ELNS1_11target_archE1030ELNS1_3gpuE2ELNS1_3repE0EEENS1_60segmented_radix_sort_warp_sort_medium_config_static_selectorELNS0_4arch9wavefront6targetE1EEEvSH_,"axG",@progbits,_ZN7rocprim17ROCPRIM_400000_NS6detail17trampoline_kernelINS0_14default_configENS1_36segmented_radix_sort_config_selectorIllEEZNS1_25segmented_radix_sort_implIS3_Lb1EPKlPlS8_S9_N2at6native12_GLOBAL__N_18offset_tEEE10hipError_tPvRmT1_PNSt15iterator_traitsISH_E10value_typeET2_T3_PNSI_ISN_E10value_typeET4_jRbjT5_ST_jjP12ihipStream_tbEUlT_E0_NS1_11comp_targetILNS1_3genE8ELNS1_11target_archE1030ELNS1_3gpuE2ELNS1_3repE0EEENS1_60segmented_radix_sort_warp_sort_medium_config_static_selectorELNS0_4arch9wavefront6targetE1EEEvSH_,comdat
	.globl	_ZN7rocprim17ROCPRIM_400000_NS6detail17trampoline_kernelINS0_14default_configENS1_36segmented_radix_sort_config_selectorIllEEZNS1_25segmented_radix_sort_implIS3_Lb1EPKlPlS8_S9_N2at6native12_GLOBAL__N_18offset_tEEE10hipError_tPvRmT1_PNSt15iterator_traitsISH_E10value_typeET2_T3_PNSI_ISN_E10value_typeET4_jRbjT5_ST_jjP12ihipStream_tbEUlT_E0_NS1_11comp_targetILNS1_3genE8ELNS1_11target_archE1030ELNS1_3gpuE2ELNS1_3repE0EEENS1_60segmented_radix_sort_warp_sort_medium_config_static_selectorELNS0_4arch9wavefront6targetE1EEEvSH_ ; -- Begin function _ZN7rocprim17ROCPRIM_400000_NS6detail17trampoline_kernelINS0_14default_configENS1_36segmented_radix_sort_config_selectorIllEEZNS1_25segmented_radix_sort_implIS3_Lb1EPKlPlS8_S9_N2at6native12_GLOBAL__N_18offset_tEEE10hipError_tPvRmT1_PNSt15iterator_traitsISH_E10value_typeET2_T3_PNSI_ISN_E10value_typeET4_jRbjT5_ST_jjP12ihipStream_tbEUlT_E0_NS1_11comp_targetILNS1_3genE8ELNS1_11target_archE1030ELNS1_3gpuE2ELNS1_3repE0EEENS1_60segmented_radix_sort_warp_sort_medium_config_static_selectorELNS0_4arch9wavefront6targetE1EEEvSH_
	.p2align	8
	.type	_ZN7rocprim17ROCPRIM_400000_NS6detail17trampoline_kernelINS0_14default_configENS1_36segmented_radix_sort_config_selectorIllEEZNS1_25segmented_radix_sort_implIS3_Lb1EPKlPlS8_S9_N2at6native12_GLOBAL__N_18offset_tEEE10hipError_tPvRmT1_PNSt15iterator_traitsISH_E10value_typeET2_T3_PNSI_ISN_E10value_typeET4_jRbjT5_ST_jjP12ihipStream_tbEUlT_E0_NS1_11comp_targetILNS1_3genE8ELNS1_11target_archE1030ELNS1_3gpuE2ELNS1_3repE0EEENS1_60segmented_radix_sort_warp_sort_medium_config_static_selectorELNS0_4arch9wavefront6targetE1EEEvSH_,@function
_ZN7rocprim17ROCPRIM_400000_NS6detail17trampoline_kernelINS0_14default_configENS1_36segmented_radix_sort_config_selectorIllEEZNS1_25segmented_radix_sort_implIS3_Lb1EPKlPlS8_S9_N2at6native12_GLOBAL__N_18offset_tEEE10hipError_tPvRmT1_PNSt15iterator_traitsISH_E10value_typeET2_T3_PNSI_ISN_E10value_typeET4_jRbjT5_ST_jjP12ihipStream_tbEUlT_E0_NS1_11comp_targetILNS1_3genE8ELNS1_11target_archE1030ELNS1_3gpuE2ELNS1_3repE0EEENS1_60segmented_radix_sort_warp_sort_medium_config_static_selectorELNS0_4arch9wavefront6targetE1EEEvSH_: ; @_ZN7rocprim17ROCPRIM_400000_NS6detail17trampoline_kernelINS0_14default_configENS1_36segmented_radix_sort_config_selectorIllEEZNS1_25segmented_radix_sort_implIS3_Lb1EPKlPlS8_S9_N2at6native12_GLOBAL__N_18offset_tEEE10hipError_tPvRmT1_PNSt15iterator_traitsISH_E10value_typeET2_T3_PNSI_ISN_E10value_typeET4_jRbjT5_ST_jjP12ihipStream_tbEUlT_E0_NS1_11comp_targetILNS1_3genE8ELNS1_11target_archE1030ELNS1_3gpuE2ELNS1_3repE0EEENS1_60segmented_radix_sort_warp_sort_medium_config_static_selectorELNS0_4arch9wavefront6targetE1EEEvSH_
; %bb.0:
	.section	.rodata,"a",@progbits
	.p2align	6, 0x0
	.amdhsa_kernel _ZN7rocprim17ROCPRIM_400000_NS6detail17trampoline_kernelINS0_14default_configENS1_36segmented_radix_sort_config_selectorIllEEZNS1_25segmented_radix_sort_implIS3_Lb1EPKlPlS8_S9_N2at6native12_GLOBAL__N_18offset_tEEE10hipError_tPvRmT1_PNSt15iterator_traitsISH_E10value_typeET2_T3_PNSI_ISN_E10value_typeET4_jRbjT5_ST_jjP12ihipStream_tbEUlT_E0_NS1_11comp_targetILNS1_3genE8ELNS1_11target_archE1030ELNS1_3gpuE2ELNS1_3repE0EEENS1_60segmented_radix_sort_warp_sort_medium_config_static_selectorELNS0_4arch9wavefront6targetE1EEEvSH_
		.amdhsa_group_segment_fixed_size 0
		.amdhsa_private_segment_fixed_size 0
		.amdhsa_kernarg_size 88
		.amdhsa_user_sgpr_count 6
		.amdhsa_user_sgpr_private_segment_buffer 1
		.amdhsa_user_sgpr_dispatch_ptr 0
		.amdhsa_user_sgpr_queue_ptr 0
		.amdhsa_user_sgpr_kernarg_segment_ptr 1
		.amdhsa_user_sgpr_dispatch_id 0
		.amdhsa_user_sgpr_flat_scratch_init 0
		.amdhsa_user_sgpr_private_segment_size 0
		.amdhsa_uses_dynamic_stack 0
		.amdhsa_system_sgpr_private_segment_wavefront_offset 0
		.amdhsa_system_sgpr_workgroup_id_x 1
		.amdhsa_system_sgpr_workgroup_id_y 0
		.amdhsa_system_sgpr_workgroup_id_z 0
		.amdhsa_system_sgpr_workgroup_info 0
		.amdhsa_system_vgpr_workitem_id 0
		.amdhsa_next_free_vgpr 1
		.amdhsa_next_free_sgpr 0
		.amdhsa_reserve_vcc 0
		.amdhsa_reserve_flat_scratch 0
		.amdhsa_float_round_mode_32 0
		.amdhsa_float_round_mode_16_64 0
		.amdhsa_float_denorm_mode_32 3
		.amdhsa_float_denorm_mode_16_64 3
		.amdhsa_dx10_clamp 1
		.amdhsa_ieee_mode 1
		.amdhsa_fp16_overflow 0
		.amdhsa_exception_fp_ieee_invalid_op 0
		.amdhsa_exception_fp_denorm_src 0
		.amdhsa_exception_fp_ieee_div_zero 0
		.amdhsa_exception_fp_ieee_overflow 0
		.amdhsa_exception_fp_ieee_underflow 0
		.amdhsa_exception_fp_ieee_inexact 0
		.amdhsa_exception_int_div_zero 0
	.end_amdhsa_kernel
	.section	.text._ZN7rocprim17ROCPRIM_400000_NS6detail17trampoline_kernelINS0_14default_configENS1_36segmented_radix_sort_config_selectorIllEEZNS1_25segmented_radix_sort_implIS3_Lb1EPKlPlS8_S9_N2at6native12_GLOBAL__N_18offset_tEEE10hipError_tPvRmT1_PNSt15iterator_traitsISH_E10value_typeET2_T3_PNSI_ISN_E10value_typeET4_jRbjT5_ST_jjP12ihipStream_tbEUlT_E0_NS1_11comp_targetILNS1_3genE8ELNS1_11target_archE1030ELNS1_3gpuE2ELNS1_3repE0EEENS1_60segmented_radix_sort_warp_sort_medium_config_static_selectorELNS0_4arch9wavefront6targetE1EEEvSH_,"axG",@progbits,_ZN7rocprim17ROCPRIM_400000_NS6detail17trampoline_kernelINS0_14default_configENS1_36segmented_radix_sort_config_selectorIllEEZNS1_25segmented_radix_sort_implIS3_Lb1EPKlPlS8_S9_N2at6native12_GLOBAL__N_18offset_tEEE10hipError_tPvRmT1_PNSt15iterator_traitsISH_E10value_typeET2_T3_PNSI_ISN_E10value_typeET4_jRbjT5_ST_jjP12ihipStream_tbEUlT_E0_NS1_11comp_targetILNS1_3genE8ELNS1_11target_archE1030ELNS1_3gpuE2ELNS1_3repE0EEENS1_60segmented_radix_sort_warp_sort_medium_config_static_selectorELNS0_4arch9wavefront6targetE1EEEvSH_,comdat
.Lfunc_end723:
	.size	_ZN7rocprim17ROCPRIM_400000_NS6detail17trampoline_kernelINS0_14default_configENS1_36segmented_radix_sort_config_selectorIllEEZNS1_25segmented_radix_sort_implIS3_Lb1EPKlPlS8_S9_N2at6native12_GLOBAL__N_18offset_tEEE10hipError_tPvRmT1_PNSt15iterator_traitsISH_E10value_typeET2_T3_PNSI_ISN_E10value_typeET4_jRbjT5_ST_jjP12ihipStream_tbEUlT_E0_NS1_11comp_targetILNS1_3genE8ELNS1_11target_archE1030ELNS1_3gpuE2ELNS1_3repE0EEENS1_60segmented_radix_sort_warp_sort_medium_config_static_selectorELNS0_4arch9wavefront6targetE1EEEvSH_, .Lfunc_end723-_ZN7rocprim17ROCPRIM_400000_NS6detail17trampoline_kernelINS0_14default_configENS1_36segmented_radix_sort_config_selectorIllEEZNS1_25segmented_radix_sort_implIS3_Lb1EPKlPlS8_S9_N2at6native12_GLOBAL__N_18offset_tEEE10hipError_tPvRmT1_PNSt15iterator_traitsISH_E10value_typeET2_T3_PNSI_ISN_E10value_typeET4_jRbjT5_ST_jjP12ihipStream_tbEUlT_E0_NS1_11comp_targetILNS1_3genE8ELNS1_11target_archE1030ELNS1_3gpuE2ELNS1_3repE0EEENS1_60segmented_radix_sort_warp_sort_medium_config_static_selectorELNS0_4arch9wavefront6targetE1EEEvSH_
                                        ; -- End function
	.set _ZN7rocprim17ROCPRIM_400000_NS6detail17trampoline_kernelINS0_14default_configENS1_36segmented_radix_sort_config_selectorIllEEZNS1_25segmented_radix_sort_implIS3_Lb1EPKlPlS8_S9_N2at6native12_GLOBAL__N_18offset_tEEE10hipError_tPvRmT1_PNSt15iterator_traitsISH_E10value_typeET2_T3_PNSI_ISN_E10value_typeET4_jRbjT5_ST_jjP12ihipStream_tbEUlT_E0_NS1_11comp_targetILNS1_3genE8ELNS1_11target_archE1030ELNS1_3gpuE2ELNS1_3repE0EEENS1_60segmented_radix_sort_warp_sort_medium_config_static_selectorELNS0_4arch9wavefront6targetE1EEEvSH_.num_vgpr, 0
	.set _ZN7rocprim17ROCPRIM_400000_NS6detail17trampoline_kernelINS0_14default_configENS1_36segmented_radix_sort_config_selectorIllEEZNS1_25segmented_radix_sort_implIS3_Lb1EPKlPlS8_S9_N2at6native12_GLOBAL__N_18offset_tEEE10hipError_tPvRmT1_PNSt15iterator_traitsISH_E10value_typeET2_T3_PNSI_ISN_E10value_typeET4_jRbjT5_ST_jjP12ihipStream_tbEUlT_E0_NS1_11comp_targetILNS1_3genE8ELNS1_11target_archE1030ELNS1_3gpuE2ELNS1_3repE0EEENS1_60segmented_radix_sort_warp_sort_medium_config_static_selectorELNS0_4arch9wavefront6targetE1EEEvSH_.num_agpr, 0
	.set _ZN7rocprim17ROCPRIM_400000_NS6detail17trampoline_kernelINS0_14default_configENS1_36segmented_radix_sort_config_selectorIllEEZNS1_25segmented_radix_sort_implIS3_Lb1EPKlPlS8_S9_N2at6native12_GLOBAL__N_18offset_tEEE10hipError_tPvRmT1_PNSt15iterator_traitsISH_E10value_typeET2_T3_PNSI_ISN_E10value_typeET4_jRbjT5_ST_jjP12ihipStream_tbEUlT_E0_NS1_11comp_targetILNS1_3genE8ELNS1_11target_archE1030ELNS1_3gpuE2ELNS1_3repE0EEENS1_60segmented_radix_sort_warp_sort_medium_config_static_selectorELNS0_4arch9wavefront6targetE1EEEvSH_.numbered_sgpr, 0
	.set _ZN7rocprim17ROCPRIM_400000_NS6detail17trampoline_kernelINS0_14default_configENS1_36segmented_radix_sort_config_selectorIllEEZNS1_25segmented_radix_sort_implIS3_Lb1EPKlPlS8_S9_N2at6native12_GLOBAL__N_18offset_tEEE10hipError_tPvRmT1_PNSt15iterator_traitsISH_E10value_typeET2_T3_PNSI_ISN_E10value_typeET4_jRbjT5_ST_jjP12ihipStream_tbEUlT_E0_NS1_11comp_targetILNS1_3genE8ELNS1_11target_archE1030ELNS1_3gpuE2ELNS1_3repE0EEENS1_60segmented_radix_sort_warp_sort_medium_config_static_selectorELNS0_4arch9wavefront6targetE1EEEvSH_.num_named_barrier, 0
	.set _ZN7rocprim17ROCPRIM_400000_NS6detail17trampoline_kernelINS0_14default_configENS1_36segmented_radix_sort_config_selectorIllEEZNS1_25segmented_radix_sort_implIS3_Lb1EPKlPlS8_S9_N2at6native12_GLOBAL__N_18offset_tEEE10hipError_tPvRmT1_PNSt15iterator_traitsISH_E10value_typeET2_T3_PNSI_ISN_E10value_typeET4_jRbjT5_ST_jjP12ihipStream_tbEUlT_E0_NS1_11comp_targetILNS1_3genE8ELNS1_11target_archE1030ELNS1_3gpuE2ELNS1_3repE0EEENS1_60segmented_radix_sort_warp_sort_medium_config_static_selectorELNS0_4arch9wavefront6targetE1EEEvSH_.private_seg_size, 0
	.set _ZN7rocprim17ROCPRIM_400000_NS6detail17trampoline_kernelINS0_14default_configENS1_36segmented_radix_sort_config_selectorIllEEZNS1_25segmented_radix_sort_implIS3_Lb1EPKlPlS8_S9_N2at6native12_GLOBAL__N_18offset_tEEE10hipError_tPvRmT1_PNSt15iterator_traitsISH_E10value_typeET2_T3_PNSI_ISN_E10value_typeET4_jRbjT5_ST_jjP12ihipStream_tbEUlT_E0_NS1_11comp_targetILNS1_3genE8ELNS1_11target_archE1030ELNS1_3gpuE2ELNS1_3repE0EEENS1_60segmented_radix_sort_warp_sort_medium_config_static_selectorELNS0_4arch9wavefront6targetE1EEEvSH_.uses_vcc, 0
	.set _ZN7rocprim17ROCPRIM_400000_NS6detail17trampoline_kernelINS0_14default_configENS1_36segmented_radix_sort_config_selectorIllEEZNS1_25segmented_radix_sort_implIS3_Lb1EPKlPlS8_S9_N2at6native12_GLOBAL__N_18offset_tEEE10hipError_tPvRmT1_PNSt15iterator_traitsISH_E10value_typeET2_T3_PNSI_ISN_E10value_typeET4_jRbjT5_ST_jjP12ihipStream_tbEUlT_E0_NS1_11comp_targetILNS1_3genE8ELNS1_11target_archE1030ELNS1_3gpuE2ELNS1_3repE0EEENS1_60segmented_radix_sort_warp_sort_medium_config_static_selectorELNS0_4arch9wavefront6targetE1EEEvSH_.uses_flat_scratch, 0
	.set _ZN7rocprim17ROCPRIM_400000_NS6detail17trampoline_kernelINS0_14default_configENS1_36segmented_radix_sort_config_selectorIllEEZNS1_25segmented_radix_sort_implIS3_Lb1EPKlPlS8_S9_N2at6native12_GLOBAL__N_18offset_tEEE10hipError_tPvRmT1_PNSt15iterator_traitsISH_E10value_typeET2_T3_PNSI_ISN_E10value_typeET4_jRbjT5_ST_jjP12ihipStream_tbEUlT_E0_NS1_11comp_targetILNS1_3genE8ELNS1_11target_archE1030ELNS1_3gpuE2ELNS1_3repE0EEENS1_60segmented_radix_sort_warp_sort_medium_config_static_selectorELNS0_4arch9wavefront6targetE1EEEvSH_.has_dyn_sized_stack, 0
	.set _ZN7rocprim17ROCPRIM_400000_NS6detail17trampoline_kernelINS0_14default_configENS1_36segmented_radix_sort_config_selectorIllEEZNS1_25segmented_radix_sort_implIS3_Lb1EPKlPlS8_S9_N2at6native12_GLOBAL__N_18offset_tEEE10hipError_tPvRmT1_PNSt15iterator_traitsISH_E10value_typeET2_T3_PNSI_ISN_E10value_typeET4_jRbjT5_ST_jjP12ihipStream_tbEUlT_E0_NS1_11comp_targetILNS1_3genE8ELNS1_11target_archE1030ELNS1_3gpuE2ELNS1_3repE0EEENS1_60segmented_radix_sort_warp_sort_medium_config_static_selectorELNS0_4arch9wavefront6targetE1EEEvSH_.has_recursion, 0
	.set _ZN7rocprim17ROCPRIM_400000_NS6detail17trampoline_kernelINS0_14default_configENS1_36segmented_radix_sort_config_selectorIllEEZNS1_25segmented_radix_sort_implIS3_Lb1EPKlPlS8_S9_N2at6native12_GLOBAL__N_18offset_tEEE10hipError_tPvRmT1_PNSt15iterator_traitsISH_E10value_typeET2_T3_PNSI_ISN_E10value_typeET4_jRbjT5_ST_jjP12ihipStream_tbEUlT_E0_NS1_11comp_targetILNS1_3genE8ELNS1_11target_archE1030ELNS1_3gpuE2ELNS1_3repE0EEENS1_60segmented_radix_sort_warp_sort_medium_config_static_selectorELNS0_4arch9wavefront6targetE1EEEvSH_.has_indirect_call, 0
	.section	.AMDGPU.csdata,"",@progbits
; Kernel info:
; codeLenInByte = 0
; TotalNumSgprs: 4
; NumVgprs: 0
; ScratchSize: 0
; MemoryBound: 0
; FloatMode: 240
; IeeeMode: 1
; LDSByteSize: 0 bytes/workgroup (compile time only)
; SGPRBlocks: 0
; VGPRBlocks: 0
; NumSGPRsForWavesPerEU: 4
; NumVGPRsForWavesPerEU: 1
; Occupancy: 10
; WaveLimiterHint : 0
; COMPUTE_PGM_RSRC2:SCRATCH_EN: 0
; COMPUTE_PGM_RSRC2:USER_SGPR: 6
; COMPUTE_PGM_RSRC2:TRAP_HANDLER: 0
; COMPUTE_PGM_RSRC2:TGID_X_EN: 1
; COMPUTE_PGM_RSRC2:TGID_Y_EN: 0
; COMPUTE_PGM_RSRC2:TGID_Z_EN: 0
; COMPUTE_PGM_RSRC2:TIDIG_COMP_CNT: 0
	.section	.text._ZN7rocprim17ROCPRIM_400000_NS6detail17trampoline_kernelINS0_14default_configENS1_36segmented_radix_sort_config_selectorIllEEZNS1_25segmented_radix_sort_implIS3_Lb1EPKlPlS8_S9_N2at6native12_GLOBAL__N_18offset_tEEE10hipError_tPvRmT1_PNSt15iterator_traitsISH_E10value_typeET2_T3_PNSI_ISN_E10value_typeET4_jRbjT5_ST_jjP12ihipStream_tbEUlT_E1_NS1_11comp_targetILNS1_3genE0ELNS1_11target_archE4294967295ELNS1_3gpuE0ELNS1_3repE0EEENS1_59segmented_radix_sort_warp_sort_small_config_static_selectorELNS0_4arch9wavefront6targetE1EEEvSH_,"axG",@progbits,_ZN7rocprim17ROCPRIM_400000_NS6detail17trampoline_kernelINS0_14default_configENS1_36segmented_radix_sort_config_selectorIllEEZNS1_25segmented_radix_sort_implIS3_Lb1EPKlPlS8_S9_N2at6native12_GLOBAL__N_18offset_tEEE10hipError_tPvRmT1_PNSt15iterator_traitsISH_E10value_typeET2_T3_PNSI_ISN_E10value_typeET4_jRbjT5_ST_jjP12ihipStream_tbEUlT_E1_NS1_11comp_targetILNS1_3genE0ELNS1_11target_archE4294967295ELNS1_3gpuE0ELNS1_3repE0EEENS1_59segmented_radix_sort_warp_sort_small_config_static_selectorELNS0_4arch9wavefront6targetE1EEEvSH_,comdat
	.globl	_ZN7rocprim17ROCPRIM_400000_NS6detail17trampoline_kernelINS0_14default_configENS1_36segmented_radix_sort_config_selectorIllEEZNS1_25segmented_radix_sort_implIS3_Lb1EPKlPlS8_S9_N2at6native12_GLOBAL__N_18offset_tEEE10hipError_tPvRmT1_PNSt15iterator_traitsISH_E10value_typeET2_T3_PNSI_ISN_E10value_typeET4_jRbjT5_ST_jjP12ihipStream_tbEUlT_E1_NS1_11comp_targetILNS1_3genE0ELNS1_11target_archE4294967295ELNS1_3gpuE0ELNS1_3repE0EEENS1_59segmented_radix_sort_warp_sort_small_config_static_selectorELNS0_4arch9wavefront6targetE1EEEvSH_ ; -- Begin function _ZN7rocprim17ROCPRIM_400000_NS6detail17trampoline_kernelINS0_14default_configENS1_36segmented_radix_sort_config_selectorIllEEZNS1_25segmented_radix_sort_implIS3_Lb1EPKlPlS8_S9_N2at6native12_GLOBAL__N_18offset_tEEE10hipError_tPvRmT1_PNSt15iterator_traitsISH_E10value_typeET2_T3_PNSI_ISN_E10value_typeET4_jRbjT5_ST_jjP12ihipStream_tbEUlT_E1_NS1_11comp_targetILNS1_3genE0ELNS1_11target_archE4294967295ELNS1_3gpuE0ELNS1_3repE0EEENS1_59segmented_radix_sort_warp_sort_small_config_static_selectorELNS0_4arch9wavefront6targetE1EEEvSH_
	.p2align	8
	.type	_ZN7rocprim17ROCPRIM_400000_NS6detail17trampoline_kernelINS0_14default_configENS1_36segmented_radix_sort_config_selectorIllEEZNS1_25segmented_radix_sort_implIS3_Lb1EPKlPlS8_S9_N2at6native12_GLOBAL__N_18offset_tEEE10hipError_tPvRmT1_PNSt15iterator_traitsISH_E10value_typeET2_T3_PNSI_ISN_E10value_typeET4_jRbjT5_ST_jjP12ihipStream_tbEUlT_E1_NS1_11comp_targetILNS1_3genE0ELNS1_11target_archE4294967295ELNS1_3gpuE0ELNS1_3repE0EEENS1_59segmented_radix_sort_warp_sort_small_config_static_selectorELNS0_4arch9wavefront6targetE1EEEvSH_,@function
_ZN7rocprim17ROCPRIM_400000_NS6detail17trampoline_kernelINS0_14default_configENS1_36segmented_radix_sort_config_selectorIllEEZNS1_25segmented_radix_sort_implIS3_Lb1EPKlPlS8_S9_N2at6native12_GLOBAL__N_18offset_tEEE10hipError_tPvRmT1_PNSt15iterator_traitsISH_E10value_typeET2_T3_PNSI_ISN_E10value_typeET4_jRbjT5_ST_jjP12ihipStream_tbEUlT_E1_NS1_11comp_targetILNS1_3genE0ELNS1_11target_archE4294967295ELNS1_3gpuE0ELNS1_3repE0EEENS1_59segmented_radix_sort_warp_sort_small_config_static_selectorELNS0_4arch9wavefront6targetE1EEEvSH_: ; @_ZN7rocprim17ROCPRIM_400000_NS6detail17trampoline_kernelINS0_14default_configENS1_36segmented_radix_sort_config_selectorIllEEZNS1_25segmented_radix_sort_implIS3_Lb1EPKlPlS8_S9_N2at6native12_GLOBAL__N_18offset_tEEE10hipError_tPvRmT1_PNSt15iterator_traitsISH_E10value_typeET2_T3_PNSI_ISN_E10value_typeET4_jRbjT5_ST_jjP12ihipStream_tbEUlT_E1_NS1_11comp_targetILNS1_3genE0ELNS1_11target_archE4294967295ELNS1_3gpuE0ELNS1_3repE0EEENS1_59segmented_radix_sort_warp_sort_small_config_static_selectorELNS0_4arch9wavefront6targetE1EEEvSH_
; %bb.0:
	.section	.rodata,"a",@progbits
	.p2align	6, 0x0
	.amdhsa_kernel _ZN7rocprim17ROCPRIM_400000_NS6detail17trampoline_kernelINS0_14default_configENS1_36segmented_radix_sort_config_selectorIllEEZNS1_25segmented_radix_sort_implIS3_Lb1EPKlPlS8_S9_N2at6native12_GLOBAL__N_18offset_tEEE10hipError_tPvRmT1_PNSt15iterator_traitsISH_E10value_typeET2_T3_PNSI_ISN_E10value_typeET4_jRbjT5_ST_jjP12ihipStream_tbEUlT_E1_NS1_11comp_targetILNS1_3genE0ELNS1_11target_archE4294967295ELNS1_3gpuE0ELNS1_3repE0EEENS1_59segmented_radix_sort_warp_sort_small_config_static_selectorELNS0_4arch9wavefront6targetE1EEEvSH_
		.amdhsa_group_segment_fixed_size 0
		.amdhsa_private_segment_fixed_size 0
		.amdhsa_kernarg_size 88
		.amdhsa_user_sgpr_count 6
		.amdhsa_user_sgpr_private_segment_buffer 1
		.amdhsa_user_sgpr_dispatch_ptr 0
		.amdhsa_user_sgpr_queue_ptr 0
		.amdhsa_user_sgpr_kernarg_segment_ptr 1
		.amdhsa_user_sgpr_dispatch_id 0
		.amdhsa_user_sgpr_flat_scratch_init 0
		.amdhsa_user_sgpr_private_segment_size 0
		.amdhsa_uses_dynamic_stack 0
		.amdhsa_system_sgpr_private_segment_wavefront_offset 0
		.amdhsa_system_sgpr_workgroup_id_x 1
		.amdhsa_system_sgpr_workgroup_id_y 0
		.amdhsa_system_sgpr_workgroup_id_z 0
		.amdhsa_system_sgpr_workgroup_info 0
		.amdhsa_system_vgpr_workitem_id 0
		.amdhsa_next_free_vgpr 1
		.amdhsa_next_free_sgpr 0
		.amdhsa_reserve_vcc 0
		.amdhsa_reserve_flat_scratch 0
		.amdhsa_float_round_mode_32 0
		.amdhsa_float_round_mode_16_64 0
		.amdhsa_float_denorm_mode_32 3
		.amdhsa_float_denorm_mode_16_64 3
		.amdhsa_dx10_clamp 1
		.amdhsa_ieee_mode 1
		.amdhsa_fp16_overflow 0
		.amdhsa_exception_fp_ieee_invalid_op 0
		.amdhsa_exception_fp_denorm_src 0
		.amdhsa_exception_fp_ieee_div_zero 0
		.amdhsa_exception_fp_ieee_overflow 0
		.amdhsa_exception_fp_ieee_underflow 0
		.amdhsa_exception_fp_ieee_inexact 0
		.amdhsa_exception_int_div_zero 0
	.end_amdhsa_kernel
	.section	.text._ZN7rocprim17ROCPRIM_400000_NS6detail17trampoline_kernelINS0_14default_configENS1_36segmented_radix_sort_config_selectorIllEEZNS1_25segmented_radix_sort_implIS3_Lb1EPKlPlS8_S9_N2at6native12_GLOBAL__N_18offset_tEEE10hipError_tPvRmT1_PNSt15iterator_traitsISH_E10value_typeET2_T3_PNSI_ISN_E10value_typeET4_jRbjT5_ST_jjP12ihipStream_tbEUlT_E1_NS1_11comp_targetILNS1_3genE0ELNS1_11target_archE4294967295ELNS1_3gpuE0ELNS1_3repE0EEENS1_59segmented_radix_sort_warp_sort_small_config_static_selectorELNS0_4arch9wavefront6targetE1EEEvSH_,"axG",@progbits,_ZN7rocprim17ROCPRIM_400000_NS6detail17trampoline_kernelINS0_14default_configENS1_36segmented_radix_sort_config_selectorIllEEZNS1_25segmented_radix_sort_implIS3_Lb1EPKlPlS8_S9_N2at6native12_GLOBAL__N_18offset_tEEE10hipError_tPvRmT1_PNSt15iterator_traitsISH_E10value_typeET2_T3_PNSI_ISN_E10value_typeET4_jRbjT5_ST_jjP12ihipStream_tbEUlT_E1_NS1_11comp_targetILNS1_3genE0ELNS1_11target_archE4294967295ELNS1_3gpuE0ELNS1_3repE0EEENS1_59segmented_radix_sort_warp_sort_small_config_static_selectorELNS0_4arch9wavefront6targetE1EEEvSH_,comdat
.Lfunc_end724:
	.size	_ZN7rocprim17ROCPRIM_400000_NS6detail17trampoline_kernelINS0_14default_configENS1_36segmented_radix_sort_config_selectorIllEEZNS1_25segmented_radix_sort_implIS3_Lb1EPKlPlS8_S9_N2at6native12_GLOBAL__N_18offset_tEEE10hipError_tPvRmT1_PNSt15iterator_traitsISH_E10value_typeET2_T3_PNSI_ISN_E10value_typeET4_jRbjT5_ST_jjP12ihipStream_tbEUlT_E1_NS1_11comp_targetILNS1_3genE0ELNS1_11target_archE4294967295ELNS1_3gpuE0ELNS1_3repE0EEENS1_59segmented_radix_sort_warp_sort_small_config_static_selectorELNS0_4arch9wavefront6targetE1EEEvSH_, .Lfunc_end724-_ZN7rocprim17ROCPRIM_400000_NS6detail17trampoline_kernelINS0_14default_configENS1_36segmented_radix_sort_config_selectorIllEEZNS1_25segmented_radix_sort_implIS3_Lb1EPKlPlS8_S9_N2at6native12_GLOBAL__N_18offset_tEEE10hipError_tPvRmT1_PNSt15iterator_traitsISH_E10value_typeET2_T3_PNSI_ISN_E10value_typeET4_jRbjT5_ST_jjP12ihipStream_tbEUlT_E1_NS1_11comp_targetILNS1_3genE0ELNS1_11target_archE4294967295ELNS1_3gpuE0ELNS1_3repE0EEENS1_59segmented_radix_sort_warp_sort_small_config_static_selectorELNS0_4arch9wavefront6targetE1EEEvSH_
                                        ; -- End function
	.set _ZN7rocprim17ROCPRIM_400000_NS6detail17trampoline_kernelINS0_14default_configENS1_36segmented_radix_sort_config_selectorIllEEZNS1_25segmented_radix_sort_implIS3_Lb1EPKlPlS8_S9_N2at6native12_GLOBAL__N_18offset_tEEE10hipError_tPvRmT1_PNSt15iterator_traitsISH_E10value_typeET2_T3_PNSI_ISN_E10value_typeET4_jRbjT5_ST_jjP12ihipStream_tbEUlT_E1_NS1_11comp_targetILNS1_3genE0ELNS1_11target_archE4294967295ELNS1_3gpuE0ELNS1_3repE0EEENS1_59segmented_radix_sort_warp_sort_small_config_static_selectorELNS0_4arch9wavefront6targetE1EEEvSH_.num_vgpr, 0
	.set _ZN7rocprim17ROCPRIM_400000_NS6detail17trampoline_kernelINS0_14default_configENS1_36segmented_radix_sort_config_selectorIllEEZNS1_25segmented_radix_sort_implIS3_Lb1EPKlPlS8_S9_N2at6native12_GLOBAL__N_18offset_tEEE10hipError_tPvRmT1_PNSt15iterator_traitsISH_E10value_typeET2_T3_PNSI_ISN_E10value_typeET4_jRbjT5_ST_jjP12ihipStream_tbEUlT_E1_NS1_11comp_targetILNS1_3genE0ELNS1_11target_archE4294967295ELNS1_3gpuE0ELNS1_3repE0EEENS1_59segmented_radix_sort_warp_sort_small_config_static_selectorELNS0_4arch9wavefront6targetE1EEEvSH_.num_agpr, 0
	.set _ZN7rocprim17ROCPRIM_400000_NS6detail17trampoline_kernelINS0_14default_configENS1_36segmented_radix_sort_config_selectorIllEEZNS1_25segmented_radix_sort_implIS3_Lb1EPKlPlS8_S9_N2at6native12_GLOBAL__N_18offset_tEEE10hipError_tPvRmT1_PNSt15iterator_traitsISH_E10value_typeET2_T3_PNSI_ISN_E10value_typeET4_jRbjT5_ST_jjP12ihipStream_tbEUlT_E1_NS1_11comp_targetILNS1_3genE0ELNS1_11target_archE4294967295ELNS1_3gpuE0ELNS1_3repE0EEENS1_59segmented_radix_sort_warp_sort_small_config_static_selectorELNS0_4arch9wavefront6targetE1EEEvSH_.numbered_sgpr, 0
	.set _ZN7rocprim17ROCPRIM_400000_NS6detail17trampoline_kernelINS0_14default_configENS1_36segmented_radix_sort_config_selectorIllEEZNS1_25segmented_radix_sort_implIS3_Lb1EPKlPlS8_S9_N2at6native12_GLOBAL__N_18offset_tEEE10hipError_tPvRmT1_PNSt15iterator_traitsISH_E10value_typeET2_T3_PNSI_ISN_E10value_typeET4_jRbjT5_ST_jjP12ihipStream_tbEUlT_E1_NS1_11comp_targetILNS1_3genE0ELNS1_11target_archE4294967295ELNS1_3gpuE0ELNS1_3repE0EEENS1_59segmented_radix_sort_warp_sort_small_config_static_selectorELNS0_4arch9wavefront6targetE1EEEvSH_.num_named_barrier, 0
	.set _ZN7rocprim17ROCPRIM_400000_NS6detail17trampoline_kernelINS0_14default_configENS1_36segmented_radix_sort_config_selectorIllEEZNS1_25segmented_radix_sort_implIS3_Lb1EPKlPlS8_S9_N2at6native12_GLOBAL__N_18offset_tEEE10hipError_tPvRmT1_PNSt15iterator_traitsISH_E10value_typeET2_T3_PNSI_ISN_E10value_typeET4_jRbjT5_ST_jjP12ihipStream_tbEUlT_E1_NS1_11comp_targetILNS1_3genE0ELNS1_11target_archE4294967295ELNS1_3gpuE0ELNS1_3repE0EEENS1_59segmented_radix_sort_warp_sort_small_config_static_selectorELNS0_4arch9wavefront6targetE1EEEvSH_.private_seg_size, 0
	.set _ZN7rocprim17ROCPRIM_400000_NS6detail17trampoline_kernelINS0_14default_configENS1_36segmented_radix_sort_config_selectorIllEEZNS1_25segmented_radix_sort_implIS3_Lb1EPKlPlS8_S9_N2at6native12_GLOBAL__N_18offset_tEEE10hipError_tPvRmT1_PNSt15iterator_traitsISH_E10value_typeET2_T3_PNSI_ISN_E10value_typeET4_jRbjT5_ST_jjP12ihipStream_tbEUlT_E1_NS1_11comp_targetILNS1_3genE0ELNS1_11target_archE4294967295ELNS1_3gpuE0ELNS1_3repE0EEENS1_59segmented_radix_sort_warp_sort_small_config_static_selectorELNS0_4arch9wavefront6targetE1EEEvSH_.uses_vcc, 0
	.set _ZN7rocprim17ROCPRIM_400000_NS6detail17trampoline_kernelINS0_14default_configENS1_36segmented_radix_sort_config_selectorIllEEZNS1_25segmented_radix_sort_implIS3_Lb1EPKlPlS8_S9_N2at6native12_GLOBAL__N_18offset_tEEE10hipError_tPvRmT1_PNSt15iterator_traitsISH_E10value_typeET2_T3_PNSI_ISN_E10value_typeET4_jRbjT5_ST_jjP12ihipStream_tbEUlT_E1_NS1_11comp_targetILNS1_3genE0ELNS1_11target_archE4294967295ELNS1_3gpuE0ELNS1_3repE0EEENS1_59segmented_radix_sort_warp_sort_small_config_static_selectorELNS0_4arch9wavefront6targetE1EEEvSH_.uses_flat_scratch, 0
	.set _ZN7rocprim17ROCPRIM_400000_NS6detail17trampoline_kernelINS0_14default_configENS1_36segmented_radix_sort_config_selectorIllEEZNS1_25segmented_radix_sort_implIS3_Lb1EPKlPlS8_S9_N2at6native12_GLOBAL__N_18offset_tEEE10hipError_tPvRmT1_PNSt15iterator_traitsISH_E10value_typeET2_T3_PNSI_ISN_E10value_typeET4_jRbjT5_ST_jjP12ihipStream_tbEUlT_E1_NS1_11comp_targetILNS1_3genE0ELNS1_11target_archE4294967295ELNS1_3gpuE0ELNS1_3repE0EEENS1_59segmented_radix_sort_warp_sort_small_config_static_selectorELNS0_4arch9wavefront6targetE1EEEvSH_.has_dyn_sized_stack, 0
	.set _ZN7rocprim17ROCPRIM_400000_NS6detail17trampoline_kernelINS0_14default_configENS1_36segmented_radix_sort_config_selectorIllEEZNS1_25segmented_radix_sort_implIS3_Lb1EPKlPlS8_S9_N2at6native12_GLOBAL__N_18offset_tEEE10hipError_tPvRmT1_PNSt15iterator_traitsISH_E10value_typeET2_T3_PNSI_ISN_E10value_typeET4_jRbjT5_ST_jjP12ihipStream_tbEUlT_E1_NS1_11comp_targetILNS1_3genE0ELNS1_11target_archE4294967295ELNS1_3gpuE0ELNS1_3repE0EEENS1_59segmented_radix_sort_warp_sort_small_config_static_selectorELNS0_4arch9wavefront6targetE1EEEvSH_.has_recursion, 0
	.set _ZN7rocprim17ROCPRIM_400000_NS6detail17trampoline_kernelINS0_14default_configENS1_36segmented_radix_sort_config_selectorIllEEZNS1_25segmented_radix_sort_implIS3_Lb1EPKlPlS8_S9_N2at6native12_GLOBAL__N_18offset_tEEE10hipError_tPvRmT1_PNSt15iterator_traitsISH_E10value_typeET2_T3_PNSI_ISN_E10value_typeET4_jRbjT5_ST_jjP12ihipStream_tbEUlT_E1_NS1_11comp_targetILNS1_3genE0ELNS1_11target_archE4294967295ELNS1_3gpuE0ELNS1_3repE0EEENS1_59segmented_radix_sort_warp_sort_small_config_static_selectorELNS0_4arch9wavefront6targetE1EEEvSH_.has_indirect_call, 0
	.section	.AMDGPU.csdata,"",@progbits
; Kernel info:
; codeLenInByte = 0
; TotalNumSgprs: 4
; NumVgprs: 0
; ScratchSize: 0
; MemoryBound: 0
; FloatMode: 240
; IeeeMode: 1
; LDSByteSize: 0 bytes/workgroup (compile time only)
; SGPRBlocks: 0
; VGPRBlocks: 0
; NumSGPRsForWavesPerEU: 4
; NumVGPRsForWavesPerEU: 1
; Occupancy: 10
; WaveLimiterHint : 0
; COMPUTE_PGM_RSRC2:SCRATCH_EN: 0
; COMPUTE_PGM_RSRC2:USER_SGPR: 6
; COMPUTE_PGM_RSRC2:TRAP_HANDLER: 0
; COMPUTE_PGM_RSRC2:TGID_X_EN: 1
; COMPUTE_PGM_RSRC2:TGID_Y_EN: 0
; COMPUTE_PGM_RSRC2:TGID_Z_EN: 0
; COMPUTE_PGM_RSRC2:TIDIG_COMP_CNT: 0
	.section	.text._ZN7rocprim17ROCPRIM_400000_NS6detail17trampoline_kernelINS0_14default_configENS1_36segmented_radix_sort_config_selectorIllEEZNS1_25segmented_radix_sort_implIS3_Lb1EPKlPlS8_S9_N2at6native12_GLOBAL__N_18offset_tEEE10hipError_tPvRmT1_PNSt15iterator_traitsISH_E10value_typeET2_T3_PNSI_ISN_E10value_typeET4_jRbjT5_ST_jjP12ihipStream_tbEUlT_E1_NS1_11comp_targetILNS1_3genE5ELNS1_11target_archE942ELNS1_3gpuE9ELNS1_3repE0EEENS1_59segmented_radix_sort_warp_sort_small_config_static_selectorELNS0_4arch9wavefront6targetE1EEEvSH_,"axG",@progbits,_ZN7rocprim17ROCPRIM_400000_NS6detail17trampoline_kernelINS0_14default_configENS1_36segmented_radix_sort_config_selectorIllEEZNS1_25segmented_radix_sort_implIS3_Lb1EPKlPlS8_S9_N2at6native12_GLOBAL__N_18offset_tEEE10hipError_tPvRmT1_PNSt15iterator_traitsISH_E10value_typeET2_T3_PNSI_ISN_E10value_typeET4_jRbjT5_ST_jjP12ihipStream_tbEUlT_E1_NS1_11comp_targetILNS1_3genE5ELNS1_11target_archE942ELNS1_3gpuE9ELNS1_3repE0EEENS1_59segmented_radix_sort_warp_sort_small_config_static_selectorELNS0_4arch9wavefront6targetE1EEEvSH_,comdat
	.globl	_ZN7rocprim17ROCPRIM_400000_NS6detail17trampoline_kernelINS0_14default_configENS1_36segmented_radix_sort_config_selectorIllEEZNS1_25segmented_radix_sort_implIS3_Lb1EPKlPlS8_S9_N2at6native12_GLOBAL__N_18offset_tEEE10hipError_tPvRmT1_PNSt15iterator_traitsISH_E10value_typeET2_T3_PNSI_ISN_E10value_typeET4_jRbjT5_ST_jjP12ihipStream_tbEUlT_E1_NS1_11comp_targetILNS1_3genE5ELNS1_11target_archE942ELNS1_3gpuE9ELNS1_3repE0EEENS1_59segmented_radix_sort_warp_sort_small_config_static_selectorELNS0_4arch9wavefront6targetE1EEEvSH_ ; -- Begin function _ZN7rocprim17ROCPRIM_400000_NS6detail17trampoline_kernelINS0_14default_configENS1_36segmented_radix_sort_config_selectorIllEEZNS1_25segmented_radix_sort_implIS3_Lb1EPKlPlS8_S9_N2at6native12_GLOBAL__N_18offset_tEEE10hipError_tPvRmT1_PNSt15iterator_traitsISH_E10value_typeET2_T3_PNSI_ISN_E10value_typeET4_jRbjT5_ST_jjP12ihipStream_tbEUlT_E1_NS1_11comp_targetILNS1_3genE5ELNS1_11target_archE942ELNS1_3gpuE9ELNS1_3repE0EEENS1_59segmented_radix_sort_warp_sort_small_config_static_selectorELNS0_4arch9wavefront6targetE1EEEvSH_
	.p2align	8
	.type	_ZN7rocprim17ROCPRIM_400000_NS6detail17trampoline_kernelINS0_14default_configENS1_36segmented_radix_sort_config_selectorIllEEZNS1_25segmented_radix_sort_implIS3_Lb1EPKlPlS8_S9_N2at6native12_GLOBAL__N_18offset_tEEE10hipError_tPvRmT1_PNSt15iterator_traitsISH_E10value_typeET2_T3_PNSI_ISN_E10value_typeET4_jRbjT5_ST_jjP12ihipStream_tbEUlT_E1_NS1_11comp_targetILNS1_3genE5ELNS1_11target_archE942ELNS1_3gpuE9ELNS1_3repE0EEENS1_59segmented_radix_sort_warp_sort_small_config_static_selectorELNS0_4arch9wavefront6targetE1EEEvSH_,@function
_ZN7rocprim17ROCPRIM_400000_NS6detail17trampoline_kernelINS0_14default_configENS1_36segmented_radix_sort_config_selectorIllEEZNS1_25segmented_radix_sort_implIS3_Lb1EPKlPlS8_S9_N2at6native12_GLOBAL__N_18offset_tEEE10hipError_tPvRmT1_PNSt15iterator_traitsISH_E10value_typeET2_T3_PNSI_ISN_E10value_typeET4_jRbjT5_ST_jjP12ihipStream_tbEUlT_E1_NS1_11comp_targetILNS1_3genE5ELNS1_11target_archE942ELNS1_3gpuE9ELNS1_3repE0EEENS1_59segmented_radix_sort_warp_sort_small_config_static_selectorELNS0_4arch9wavefront6targetE1EEEvSH_: ; @_ZN7rocprim17ROCPRIM_400000_NS6detail17trampoline_kernelINS0_14default_configENS1_36segmented_radix_sort_config_selectorIllEEZNS1_25segmented_radix_sort_implIS3_Lb1EPKlPlS8_S9_N2at6native12_GLOBAL__N_18offset_tEEE10hipError_tPvRmT1_PNSt15iterator_traitsISH_E10value_typeET2_T3_PNSI_ISN_E10value_typeET4_jRbjT5_ST_jjP12ihipStream_tbEUlT_E1_NS1_11comp_targetILNS1_3genE5ELNS1_11target_archE942ELNS1_3gpuE9ELNS1_3repE0EEENS1_59segmented_radix_sort_warp_sort_small_config_static_selectorELNS0_4arch9wavefront6targetE1EEEvSH_
; %bb.0:
	.section	.rodata,"a",@progbits
	.p2align	6, 0x0
	.amdhsa_kernel _ZN7rocprim17ROCPRIM_400000_NS6detail17trampoline_kernelINS0_14default_configENS1_36segmented_radix_sort_config_selectorIllEEZNS1_25segmented_radix_sort_implIS3_Lb1EPKlPlS8_S9_N2at6native12_GLOBAL__N_18offset_tEEE10hipError_tPvRmT1_PNSt15iterator_traitsISH_E10value_typeET2_T3_PNSI_ISN_E10value_typeET4_jRbjT5_ST_jjP12ihipStream_tbEUlT_E1_NS1_11comp_targetILNS1_3genE5ELNS1_11target_archE942ELNS1_3gpuE9ELNS1_3repE0EEENS1_59segmented_radix_sort_warp_sort_small_config_static_selectorELNS0_4arch9wavefront6targetE1EEEvSH_
		.amdhsa_group_segment_fixed_size 0
		.amdhsa_private_segment_fixed_size 0
		.amdhsa_kernarg_size 88
		.amdhsa_user_sgpr_count 6
		.amdhsa_user_sgpr_private_segment_buffer 1
		.amdhsa_user_sgpr_dispatch_ptr 0
		.amdhsa_user_sgpr_queue_ptr 0
		.amdhsa_user_sgpr_kernarg_segment_ptr 1
		.amdhsa_user_sgpr_dispatch_id 0
		.amdhsa_user_sgpr_flat_scratch_init 0
		.amdhsa_user_sgpr_private_segment_size 0
		.amdhsa_uses_dynamic_stack 0
		.amdhsa_system_sgpr_private_segment_wavefront_offset 0
		.amdhsa_system_sgpr_workgroup_id_x 1
		.amdhsa_system_sgpr_workgroup_id_y 0
		.amdhsa_system_sgpr_workgroup_id_z 0
		.amdhsa_system_sgpr_workgroup_info 0
		.amdhsa_system_vgpr_workitem_id 0
		.amdhsa_next_free_vgpr 1
		.amdhsa_next_free_sgpr 0
		.amdhsa_reserve_vcc 0
		.amdhsa_reserve_flat_scratch 0
		.amdhsa_float_round_mode_32 0
		.amdhsa_float_round_mode_16_64 0
		.amdhsa_float_denorm_mode_32 3
		.amdhsa_float_denorm_mode_16_64 3
		.amdhsa_dx10_clamp 1
		.amdhsa_ieee_mode 1
		.amdhsa_fp16_overflow 0
		.amdhsa_exception_fp_ieee_invalid_op 0
		.amdhsa_exception_fp_denorm_src 0
		.amdhsa_exception_fp_ieee_div_zero 0
		.amdhsa_exception_fp_ieee_overflow 0
		.amdhsa_exception_fp_ieee_underflow 0
		.amdhsa_exception_fp_ieee_inexact 0
		.amdhsa_exception_int_div_zero 0
	.end_amdhsa_kernel
	.section	.text._ZN7rocprim17ROCPRIM_400000_NS6detail17trampoline_kernelINS0_14default_configENS1_36segmented_radix_sort_config_selectorIllEEZNS1_25segmented_radix_sort_implIS3_Lb1EPKlPlS8_S9_N2at6native12_GLOBAL__N_18offset_tEEE10hipError_tPvRmT1_PNSt15iterator_traitsISH_E10value_typeET2_T3_PNSI_ISN_E10value_typeET4_jRbjT5_ST_jjP12ihipStream_tbEUlT_E1_NS1_11comp_targetILNS1_3genE5ELNS1_11target_archE942ELNS1_3gpuE9ELNS1_3repE0EEENS1_59segmented_radix_sort_warp_sort_small_config_static_selectorELNS0_4arch9wavefront6targetE1EEEvSH_,"axG",@progbits,_ZN7rocprim17ROCPRIM_400000_NS6detail17trampoline_kernelINS0_14default_configENS1_36segmented_radix_sort_config_selectorIllEEZNS1_25segmented_radix_sort_implIS3_Lb1EPKlPlS8_S9_N2at6native12_GLOBAL__N_18offset_tEEE10hipError_tPvRmT1_PNSt15iterator_traitsISH_E10value_typeET2_T3_PNSI_ISN_E10value_typeET4_jRbjT5_ST_jjP12ihipStream_tbEUlT_E1_NS1_11comp_targetILNS1_3genE5ELNS1_11target_archE942ELNS1_3gpuE9ELNS1_3repE0EEENS1_59segmented_radix_sort_warp_sort_small_config_static_selectorELNS0_4arch9wavefront6targetE1EEEvSH_,comdat
.Lfunc_end725:
	.size	_ZN7rocprim17ROCPRIM_400000_NS6detail17trampoline_kernelINS0_14default_configENS1_36segmented_radix_sort_config_selectorIllEEZNS1_25segmented_radix_sort_implIS3_Lb1EPKlPlS8_S9_N2at6native12_GLOBAL__N_18offset_tEEE10hipError_tPvRmT1_PNSt15iterator_traitsISH_E10value_typeET2_T3_PNSI_ISN_E10value_typeET4_jRbjT5_ST_jjP12ihipStream_tbEUlT_E1_NS1_11comp_targetILNS1_3genE5ELNS1_11target_archE942ELNS1_3gpuE9ELNS1_3repE0EEENS1_59segmented_radix_sort_warp_sort_small_config_static_selectorELNS0_4arch9wavefront6targetE1EEEvSH_, .Lfunc_end725-_ZN7rocprim17ROCPRIM_400000_NS6detail17trampoline_kernelINS0_14default_configENS1_36segmented_radix_sort_config_selectorIllEEZNS1_25segmented_radix_sort_implIS3_Lb1EPKlPlS8_S9_N2at6native12_GLOBAL__N_18offset_tEEE10hipError_tPvRmT1_PNSt15iterator_traitsISH_E10value_typeET2_T3_PNSI_ISN_E10value_typeET4_jRbjT5_ST_jjP12ihipStream_tbEUlT_E1_NS1_11comp_targetILNS1_3genE5ELNS1_11target_archE942ELNS1_3gpuE9ELNS1_3repE0EEENS1_59segmented_radix_sort_warp_sort_small_config_static_selectorELNS0_4arch9wavefront6targetE1EEEvSH_
                                        ; -- End function
	.set _ZN7rocprim17ROCPRIM_400000_NS6detail17trampoline_kernelINS0_14default_configENS1_36segmented_radix_sort_config_selectorIllEEZNS1_25segmented_radix_sort_implIS3_Lb1EPKlPlS8_S9_N2at6native12_GLOBAL__N_18offset_tEEE10hipError_tPvRmT1_PNSt15iterator_traitsISH_E10value_typeET2_T3_PNSI_ISN_E10value_typeET4_jRbjT5_ST_jjP12ihipStream_tbEUlT_E1_NS1_11comp_targetILNS1_3genE5ELNS1_11target_archE942ELNS1_3gpuE9ELNS1_3repE0EEENS1_59segmented_radix_sort_warp_sort_small_config_static_selectorELNS0_4arch9wavefront6targetE1EEEvSH_.num_vgpr, 0
	.set _ZN7rocprim17ROCPRIM_400000_NS6detail17trampoline_kernelINS0_14default_configENS1_36segmented_radix_sort_config_selectorIllEEZNS1_25segmented_radix_sort_implIS3_Lb1EPKlPlS8_S9_N2at6native12_GLOBAL__N_18offset_tEEE10hipError_tPvRmT1_PNSt15iterator_traitsISH_E10value_typeET2_T3_PNSI_ISN_E10value_typeET4_jRbjT5_ST_jjP12ihipStream_tbEUlT_E1_NS1_11comp_targetILNS1_3genE5ELNS1_11target_archE942ELNS1_3gpuE9ELNS1_3repE0EEENS1_59segmented_radix_sort_warp_sort_small_config_static_selectorELNS0_4arch9wavefront6targetE1EEEvSH_.num_agpr, 0
	.set _ZN7rocprim17ROCPRIM_400000_NS6detail17trampoline_kernelINS0_14default_configENS1_36segmented_radix_sort_config_selectorIllEEZNS1_25segmented_radix_sort_implIS3_Lb1EPKlPlS8_S9_N2at6native12_GLOBAL__N_18offset_tEEE10hipError_tPvRmT1_PNSt15iterator_traitsISH_E10value_typeET2_T3_PNSI_ISN_E10value_typeET4_jRbjT5_ST_jjP12ihipStream_tbEUlT_E1_NS1_11comp_targetILNS1_3genE5ELNS1_11target_archE942ELNS1_3gpuE9ELNS1_3repE0EEENS1_59segmented_radix_sort_warp_sort_small_config_static_selectorELNS0_4arch9wavefront6targetE1EEEvSH_.numbered_sgpr, 0
	.set _ZN7rocprim17ROCPRIM_400000_NS6detail17trampoline_kernelINS0_14default_configENS1_36segmented_radix_sort_config_selectorIllEEZNS1_25segmented_radix_sort_implIS3_Lb1EPKlPlS8_S9_N2at6native12_GLOBAL__N_18offset_tEEE10hipError_tPvRmT1_PNSt15iterator_traitsISH_E10value_typeET2_T3_PNSI_ISN_E10value_typeET4_jRbjT5_ST_jjP12ihipStream_tbEUlT_E1_NS1_11comp_targetILNS1_3genE5ELNS1_11target_archE942ELNS1_3gpuE9ELNS1_3repE0EEENS1_59segmented_radix_sort_warp_sort_small_config_static_selectorELNS0_4arch9wavefront6targetE1EEEvSH_.num_named_barrier, 0
	.set _ZN7rocprim17ROCPRIM_400000_NS6detail17trampoline_kernelINS0_14default_configENS1_36segmented_radix_sort_config_selectorIllEEZNS1_25segmented_radix_sort_implIS3_Lb1EPKlPlS8_S9_N2at6native12_GLOBAL__N_18offset_tEEE10hipError_tPvRmT1_PNSt15iterator_traitsISH_E10value_typeET2_T3_PNSI_ISN_E10value_typeET4_jRbjT5_ST_jjP12ihipStream_tbEUlT_E1_NS1_11comp_targetILNS1_3genE5ELNS1_11target_archE942ELNS1_3gpuE9ELNS1_3repE0EEENS1_59segmented_radix_sort_warp_sort_small_config_static_selectorELNS0_4arch9wavefront6targetE1EEEvSH_.private_seg_size, 0
	.set _ZN7rocprim17ROCPRIM_400000_NS6detail17trampoline_kernelINS0_14default_configENS1_36segmented_radix_sort_config_selectorIllEEZNS1_25segmented_radix_sort_implIS3_Lb1EPKlPlS8_S9_N2at6native12_GLOBAL__N_18offset_tEEE10hipError_tPvRmT1_PNSt15iterator_traitsISH_E10value_typeET2_T3_PNSI_ISN_E10value_typeET4_jRbjT5_ST_jjP12ihipStream_tbEUlT_E1_NS1_11comp_targetILNS1_3genE5ELNS1_11target_archE942ELNS1_3gpuE9ELNS1_3repE0EEENS1_59segmented_radix_sort_warp_sort_small_config_static_selectorELNS0_4arch9wavefront6targetE1EEEvSH_.uses_vcc, 0
	.set _ZN7rocprim17ROCPRIM_400000_NS6detail17trampoline_kernelINS0_14default_configENS1_36segmented_radix_sort_config_selectorIllEEZNS1_25segmented_radix_sort_implIS3_Lb1EPKlPlS8_S9_N2at6native12_GLOBAL__N_18offset_tEEE10hipError_tPvRmT1_PNSt15iterator_traitsISH_E10value_typeET2_T3_PNSI_ISN_E10value_typeET4_jRbjT5_ST_jjP12ihipStream_tbEUlT_E1_NS1_11comp_targetILNS1_3genE5ELNS1_11target_archE942ELNS1_3gpuE9ELNS1_3repE0EEENS1_59segmented_radix_sort_warp_sort_small_config_static_selectorELNS0_4arch9wavefront6targetE1EEEvSH_.uses_flat_scratch, 0
	.set _ZN7rocprim17ROCPRIM_400000_NS6detail17trampoline_kernelINS0_14default_configENS1_36segmented_radix_sort_config_selectorIllEEZNS1_25segmented_radix_sort_implIS3_Lb1EPKlPlS8_S9_N2at6native12_GLOBAL__N_18offset_tEEE10hipError_tPvRmT1_PNSt15iterator_traitsISH_E10value_typeET2_T3_PNSI_ISN_E10value_typeET4_jRbjT5_ST_jjP12ihipStream_tbEUlT_E1_NS1_11comp_targetILNS1_3genE5ELNS1_11target_archE942ELNS1_3gpuE9ELNS1_3repE0EEENS1_59segmented_radix_sort_warp_sort_small_config_static_selectorELNS0_4arch9wavefront6targetE1EEEvSH_.has_dyn_sized_stack, 0
	.set _ZN7rocprim17ROCPRIM_400000_NS6detail17trampoline_kernelINS0_14default_configENS1_36segmented_radix_sort_config_selectorIllEEZNS1_25segmented_radix_sort_implIS3_Lb1EPKlPlS8_S9_N2at6native12_GLOBAL__N_18offset_tEEE10hipError_tPvRmT1_PNSt15iterator_traitsISH_E10value_typeET2_T3_PNSI_ISN_E10value_typeET4_jRbjT5_ST_jjP12ihipStream_tbEUlT_E1_NS1_11comp_targetILNS1_3genE5ELNS1_11target_archE942ELNS1_3gpuE9ELNS1_3repE0EEENS1_59segmented_radix_sort_warp_sort_small_config_static_selectorELNS0_4arch9wavefront6targetE1EEEvSH_.has_recursion, 0
	.set _ZN7rocprim17ROCPRIM_400000_NS6detail17trampoline_kernelINS0_14default_configENS1_36segmented_radix_sort_config_selectorIllEEZNS1_25segmented_radix_sort_implIS3_Lb1EPKlPlS8_S9_N2at6native12_GLOBAL__N_18offset_tEEE10hipError_tPvRmT1_PNSt15iterator_traitsISH_E10value_typeET2_T3_PNSI_ISN_E10value_typeET4_jRbjT5_ST_jjP12ihipStream_tbEUlT_E1_NS1_11comp_targetILNS1_3genE5ELNS1_11target_archE942ELNS1_3gpuE9ELNS1_3repE0EEENS1_59segmented_radix_sort_warp_sort_small_config_static_selectorELNS0_4arch9wavefront6targetE1EEEvSH_.has_indirect_call, 0
	.section	.AMDGPU.csdata,"",@progbits
; Kernel info:
; codeLenInByte = 0
; TotalNumSgprs: 4
; NumVgprs: 0
; ScratchSize: 0
; MemoryBound: 0
; FloatMode: 240
; IeeeMode: 1
; LDSByteSize: 0 bytes/workgroup (compile time only)
; SGPRBlocks: 0
; VGPRBlocks: 0
; NumSGPRsForWavesPerEU: 4
; NumVGPRsForWavesPerEU: 1
; Occupancy: 10
; WaveLimiterHint : 0
; COMPUTE_PGM_RSRC2:SCRATCH_EN: 0
; COMPUTE_PGM_RSRC2:USER_SGPR: 6
; COMPUTE_PGM_RSRC2:TRAP_HANDLER: 0
; COMPUTE_PGM_RSRC2:TGID_X_EN: 1
; COMPUTE_PGM_RSRC2:TGID_Y_EN: 0
; COMPUTE_PGM_RSRC2:TGID_Z_EN: 0
; COMPUTE_PGM_RSRC2:TIDIG_COMP_CNT: 0
	.section	.text._ZN7rocprim17ROCPRIM_400000_NS6detail17trampoline_kernelINS0_14default_configENS1_36segmented_radix_sort_config_selectorIllEEZNS1_25segmented_radix_sort_implIS3_Lb1EPKlPlS8_S9_N2at6native12_GLOBAL__N_18offset_tEEE10hipError_tPvRmT1_PNSt15iterator_traitsISH_E10value_typeET2_T3_PNSI_ISN_E10value_typeET4_jRbjT5_ST_jjP12ihipStream_tbEUlT_E1_NS1_11comp_targetILNS1_3genE4ELNS1_11target_archE910ELNS1_3gpuE8ELNS1_3repE0EEENS1_59segmented_radix_sort_warp_sort_small_config_static_selectorELNS0_4arch9wavefront6targetE1EEEvSH_,"axG",@progbits,_ZN7rocprim17ROCPRIM_400000_NS6detail17trampoline_kernelINS0_14default_configENS1_36segmented_radix_sort_config_selectorIllEEZNS1_25segmented_radix_sort_implIS3_Lb1EPKlPlS8_S9_N2at6native12_GLOBAL__N_18offset_tEEE10hipError_tPvRmT1_PNSt15iterator_traitsISH_E10value_typeET2_T3_PNSI_ISN_E10value_typeET4_jRbjT5_ST_jjP12ihipStream_tbEUlT_E1_NS1_11comp_targetILNS1_3genE4ELNS1_11target_archE910ELNS1_3gpuE8ELNS1_3repE0EEENS1_59segmented_radix_sort_warp_sort_small_config_static_selectorELNS0_4arch9wavefront6targetE1EEEvSH_,comdat
	.globl	_ZN7rocprim17ROCPRIM_400000_NS6detail17trampoline_kernelINS0_14default_configENS1_36segmented_radix_sort_config_selectorIllEEZNS1_25segmented_radix_sort_implIS3_Lb1EPKlPlS8_S9_N2at6native12_GLOBAL__N_18offset_tEEE10hipError_tPvRmT1_PNSt15iterator_traitsISH_E10value_typeET2_T3_PNSI_ISN_E10value_typeET4_jRbjT5_ST_jjP12ihipStream_tbEUlT_E1_NS1_11comp_targetILNS1_3genE4ELNS1_11target_archE910ELNS1_3gpuE8ELNS1_3repE0EEENS1_59segmented_radix_sort_warp_sort_small_config_static_selectorELNS0_4arch9wavefront6targetE1EEEvSH_ ; -- Begin function _ZN7rocprim17ROCPRIM_400000_NS6detail17trampoline_kernelINS0_14default_configENS1_36segmented_radix_sort_config_selectorIllEEZNS1_25segmented_radix_sort_implIS3_Lb1EPKlPlS8_S9_N2at6native12_GLOBAL__N_18offset_tEEE10hipError_tPvRmT1_PNSt15iterator_traitsISH_E10value_typeET2_T3_PNSI_ISN_E10value_typeET4_jRbjT5_ST_jjP12ihipStream_tbEUlT_E1_NS1_11comp_targetILNS1_3genE4ELNS1_11target_archE910ELNS1_3gpuE8ELNS1_3repE0EEENS1_59segmented_radix_sort_warp_sort_small_config_static_selectorELNS0_4arch9wavefront6targetE1EEEvSH_
	.p2align	8
	.type	_ZN7rocprim17ROCPRIM_400000_NS6detail17trampoline_kernelINS0_14default_configENS1_36segmented_radix_sort_config_selectorIllEEZNS1_25segmented_radix_sort_implIS3_Lb1EPKlPlS8_S9_N2at6native12_GLOBAL__N_18offset_tEEE10hipError_tPvRmT1_PNSt15iterator_traitsISH_E10value_typeET2_T3_PNSI_ISN_E10value_typeET4_jRbjT5_ST_jjP12ihipStream_tbEUlT_E1_NS1_11comp_targetILNS1_3genE4ELNS1_11target_archE910ELNS1_3gpuE8ELNS1_3repE0EEENS1_59segmented_radix_sort_warp_sort_small_config_static_selectorELNS0_4arch9wavefront6targetE1EEEvSH_,@function
_ZN7rocprim17ROCPRIM_400000_NS6detail17trampoline_kernelINS0_14default_configENS1_36segmented_radix_sort_config_selectorIllEEZNS1_25segmented_radix_sort_implIS3_Lb1EPKlPlS8_S9_N2at6native12_GLOBAL__N_18offset_tEEE10hipError_tPvRmT1_PNSt15iterator_traitsISH_E10value_typeET2_T3_PNSI_ISN_E10value_typeET4_jRbjT5_ST_jjP12ihipStream_tbEUlT_E1_NS1_11comp_targetILNS1_3genE4ELNS1_11target_archE910ELNS1_3gpuE8ELNS1_3repE0EEENS1_59segmented_radix_sort_warp_sort_small_config_static_selectorELNS0_4arch9wavefront6targetE1EEEvSH_: ; @_ZN7rocprim17ROCPRIM_400000_NS6detail17trampoline_kernelINS0_14default_configENS1_36segmented_radix_sort_config_selectorIllEEZNS1_25segmented_radix_sort_implIS3_Lb1EPKlPlS8_S9_N2at6native12_GLOBAL__N_18offset_tEEE10hipError_tPvRmT1_PNSt15iterator_traitsISH_E10value_typeET2_T3_PNSI_ISN_E10value_typeET4_jRbjT5_ST_jjP12ihipStream_tbEUlT_E1_NS1_11comp_targetILNS1_3genE4ELNS1_11target_archE910ELNS1_3gpuE8ELNS1_3repE0EEENS1_59segmented_radix_sort_warp_sort_small_config_static_selectorELNS0_4arch9wavefront6targetE1EEEvSH_
; %bb.0:
	.section	.rodata,"a",@progbits
	.p2align	6, 0x0
	.amdhsa_kernel _ZN7rocprim17ROCPRIM_400000_NS6detail17trampoline_kernelINS0_14default_configENS1_36segmented_radix_sort_config_selectorIllEEZNS1_25segmented_radix_sort_implIS3_Lb1EPKlPlS8_S9_N2at6native12_GLOBAL__N_18offset_tEEE10hipError_tPvRmT1_PNSt15iterator_traitsISH_E10value_typeET2_T3_PNSI_ISN_E10value_typeET4_jRbjT5_ST_jjP12ihipStream_tbEUlT_E1_NS1_11comp_targetILNS1_3genE4ELNS1_11target_archE910ELNS1_3gpuE8ELNS1_3repE0EEENS1_59segmented_radix_sort_warp_sort_small_config_static_selectorELNS0_4arch9wavefront6targetE1EEEvSH_
		.amdhsa_group_segment_fixed_size 0
		.amdhsa_private_segment_fixed_size 0
		.amdhsa_kernarg_size 88
		.amdhsa_user_sgpr_count 6
		.amdhsa_user_sgpr_private_segment_buffer 1
		.amdhsa_user_sgpr_dispatch_ptr 0
		.amdhsa_user_sgpr_queue_ptr 0
		.amdhsa_user_sgpr_kernarg_segment_ptr 1
		.amdhsa_user_sgpr_dispatch_id 0
		.amdhsa_user_sgpr_flat_scratch_init 0
		.amdhsa_user_sgpr_private_segment_size 0
		.amdhsa_uses_dynamic_stack 0
		.amdhsa_system_sgpr_private_segment_wavefront_offset 0
		.amdhsa_system_sgpr_workgroup_id_x 1
		.amdhsa_system_sgpr_workgroup_id_y 0
		.amdhsa_system_sgpr_workgroup_id_z 0
		.amdhsa_system_sgpr_workgroup_info 0
		.amdhsa_system_vgpr_workitem_id 0
		.amdhsa_next_free_vgpr 1
		.amdhsa_next_free_sgpr 0
		.amdhsa_reserve_vcc 0
		.amdhsa_reserve_flat_scratch 0
		.amdhsa_float_round_mode_32 0
		.amdhsa_float_round_mode_16_64 0
		.amdhsa_float_denorm_mode_32 3
		.amdhsa_float_denorm_mode_16_64 3
		.amdhsa_dx10_clamp 1
		.amdhsa_ieee_mode 1
		.amdhsa_fp16_overflow 0
		.amdhsa_exception_fp_ieee_invalid_op 0
		.amdhsa_exception_fp_denorm_src 0
		.amdhsa_exception_fp_ieee_div_zero 0
		.amdhsa_exception_fp_ieee_overflow 0
		.amdhsa_exception_fp_ieee_underflow 0
		.amdhsa_exception_fp_ieee_inexact 0
		.amdhsa_exception_int_div_zero 0
	.end_amdhsa_kernel
	.section	.text._ZN7rocprim17ROCPRIM_400000_NS6detail17trampoline_kernelINS0_14default_configENS1_36segmented_radix_sort_config_selectorIllEEZNS1_25segmented_radix_sort_implIS3_Lb1EPKlPlS8_S9_N2at6native12_GLOBAL__N_18offset_tEEE10hipError_tPvRmT1_PNSt15iterator_traitsISH_E10value_typeET2_T3_PNSI_ISN_E10value_typeET4_jRbjT5_ST_jjP12ihipStream_tbEUlT_E1_NS1_11comp_targetILNS1_3genE4ELNS1_11target_archE910ELNS1_3gpuE8ELNS1_3repE0EEENS1_59segmented_radix_sort_warp_sort_small_config_static_selectorELNS0_4arch9wavefront6targetE1EEEvSH_,"axG",@progbits,_ZN7rocprim17ROCPRIM_400000_NS6detail17trampoline_kernelINS0_14default_configENS1_36segmented_radix_sort_config_selectorIllEEZNS1_25segmented_radix_sort_implIS3_Lb1EPKlPlS8_S9_N2at6native12_GLOBAL__N_18offset_tEEE10hipError_tPvRmT1_PNSt15iterator_traitsISH_E10value_typeET2_T3_PNSI_ISN_E10value_typeET4_jRbjT5_ST_jjP12ihipStream_tbEUlT_E1_NS1_11comp_targetILNS1_3genE4ELNS1_11target_archE910ELNS1_3gpuE8ELNS1_3repE0EEENS1_59segmented_radix_sort_warp_sort_small_config_static_selectorELNS0_4arch9wavefront6targetE1EEEvSH_,comdat
.Lfunc_end726:
	.size	_ZN7rocprim17ROCPRIM_400000_NS6detail17trampoline_kernelINS0_14default_configENS1_36segmented_radix_sort_config_selectorIllEEZNS1_25segmented_radix_sort_implIS3_Lb1EPKlPlS8_S9_N2at6native12_GLOBAL__N_18offset_tEEE10hipError_tPvRmT1_PNSt15iterator_traitsISH_E10value_typeET2_T3_PNSI_ISN_E10value_typeET4_jRbjT5_ST_jjP12ihipStream_tbEUlT_E1_NS1_11comp_targetILNS1_3genE4ELNS1_11target_archE910ELNS1_3gpuE8ELNS1_3repE0EEENS1_59segmented_radix_sort_warp_sort_small_config_static_selectorELNS0_4arch9wavefront6targetE1EEEvSH_, .Lfunc_end726-_ZN7rocprim17ROCPRIM_400000_NS6detail17trampoline_kernelINS0_14default_configENS1_36segmented_radix_sort_config_selectorIllEEZNS1_25segmented_radix_sort_implIS3_Lb1EPKlPlS8_S9_N2at6native12_GLOBAL__N_18offset_tEEE10hipError_tPvRmT1_PNSt15iterator_traitsISH_E10value_typeET2_T3_PNSI_ISN_E10value_typeET4_jRbjT5_ST_jjP12ihipStream_tbEUlT_E1_NS1_11comp_targetILNS1_3genE4ELNS1_11target_archE910ELNS1_3gpuE8ELNS1_3repE0EEENS1_59segmented_radix_sort_warp_sort_small_config_static_selectorELNS0_4arch9wavefront6targetE1EEEvSH_
                                        ; -- End function
	.set _ZN7rocprim17ROCPRIM_400000_NS6detail17trampoline_kernelINS0_14default_configENS1_36segmented_radix_sort_config_selectorIllEEZNS1_25segmented_radix_sort_implIS3_Lb1EPKlPlS8_S9_N2at6native12_GLOBAL__N_18offset_tEEE10hipError_tPvRmT1_PNSt15iterator_traitsISH_E10value_typeET2_T3_PNSI_ISN_E10value_typeET4_jRbjT5_ST_jjP12ihipStream_tbEUlT_E1_NS1_11comp_targetILNS1_3genE4ELNS1_11target_archE910ELNS1_3gpuE8ELNS1_3repE0EEENS1_59segmented_radix_sort_warp_sort_small_config_static_selectorELNS0_4arch9wavefront6targetE1EEEvSH_.num_vgpr, 0
	.set _ZN7rocprim17ROCPRIM_400000_NS6detail17trampoline_kernelINS0_14default_configENS1_36segmented_radix_sort_config_selectorIllEEZNS1_25segmented_radix_sort_implIS3_Lb1EPKlPlS8_S9_N2at6native12_GLOBAL__N_18offset_tEEE10hipError_tPvRmT1_PNSt15iterator_traitsISH_E10value_typeET2_T3_PNSI_ISN_E10value_typeET4_jRbjT5_ST_jjP12ihipStream_tbEUlT_E1_NS1_11comp_targetILNS1_3genE4ELNS1_11target_archE910ELNS1_3gpuE8ELNS1_3repE0EEENS1_59segmented_radix_sort_warp_sort_small_config_static_selectorELNS0_4arch9wavefront6targetE1EEEvSH_.num_agpr, 0
	.set _ZN7rocprim17ROCPRIM_400000_NS6detail17trampoline_kernelINS0_14default_configENS1_36segmented_radix_sort_config_selectorIllEEZNS1_25segmented_radix_sort_implIS3_Lb1EPKlPlS8_S9_N2at6native12_GLOBAL__N_18offset_tEEE10hipError_tPvRmT1_PNSt15iterator_traitsISH_E10value_typeET2_T3_PNSI_ISN_E10value_typeET4_jRbjT5_ST_jjP12ihipStream_tbEUlT_E1_NS1_11comp_targetILNS1_3genE4ELNS1_11target_archE910ELNS1_3gpuE8ELNS1_3repE0EEENS1_59segmented_radix_sort_warp_sort_small_config_static_selectorELNS0_4arch9wavefront6targetE1EEEvSH_.numbered_sgpr, 0
	.set _ZN7rocprim17ROCPRIM_400000_NS6detail17trampoline_kernelINS0_14default_configENS1_36segmented_radix_sort_config_selectorIllEEZNS1_25segmented_radix_sort_implIS3_Lb1EPKlPlS8_S9_N2at6native12_GLOBAL__N_18offset_tEEE10hipError_tPvRmT1_PNSt15iterator_traitsISH_E10value_typeET2_T3_PNSI_ISN_E10value_typeET4_jRbjT5_ST_jjP12ihipStream_tbEUlT_E1_NS1_11comp_targetILNS1_3genE4ELNS1_11target_archE910ELNS1_3gpuE8ELNS1_3repE0EEENS1_59segmented_radix_sort_warp_sort_small_config_static_selectorELNS0_4arch9wavefront6targetE1EEEvSH_.num_named_barrier, 0
	.set _ZN7rocprim17ROCPRIM_400000_NS6detail17trampoline_kernelINS0_14default_configENS1_36segmented_radix_sort_config_selectorIllEEZNS1_25segmented_radix_sort_implIS3_Lb1EPKlPlS8_S9_N2at6native12_GLOBAL__N_18offset_tEEE10hipError_tPvRmT1_PNSt15iterator_traitsISH_E10value_typeET2_T3_PNSI_ISN_E10value_typeET4_jRbjT5_ST_jjP12ihipStream_tbEUlT_E1_NS1_11comp_targetILNS1_3genE4ELNS1_11target_archE910ELNS1_3gpuE8ELNS1_3repE0EEENS1_59segmented_radix_sort_warp_sort_small_config_static_selectorELNS0_4arch9wavefront6targetE1EEEvSH_.private_seg_size, 0
	.set _ZN7rocprim17ROCPRIM_400000_NS6detail17trampoline_kernelINS0_14default_configENS1_36segmented_radix_sort_config_selectorIllEEZNS1_25segmented_radix_sort_implIS3_Lb1EPKlPlS8_S9_N2at6native12_GLOBAL__N_18offset_tEEE10hipError_tPvRmT1_PNSt15iterator_traitsISH_E10value_typeET2_T3_PNSI_ISN_E10value_typeET4_jRbjT5_ST_jjP12ihipStream_tbEUlT_E1_NS1_11comp_targetILNS1_3genE4ELNS1_11target_archE910ELNS1_3gpuE8ELNS1_3repE0EEENS1_59segmented_radix_sort_warp_sort_small_config_static_selectorELNS0_4arch9wavefront6targetE1EEEvSH_.uses_vcc, 0
	.set _ZN7rocprim17ROCPRIM_400000_NS6detail17trampoline_kernelINS0_14default_configENS1_36segmented_radix_sort_config_selectorIllEEZNS1_25segmented_radix_sort_implIS3_Lb1EPKlPlS8_S9_N2at6native12_GLOBAL__N_18offset_tEEE10hipError_tPvRmT1_PNSt15iterator_traitsISH_E10value_typeET2_T3_PNSI_ISN_E10value_typeET4_jRbjT5_ST_jjP12ihipStream_tbEUlT_E1_NS1_11comp_targetILNS1_3genE4ELNS1_11target_archE910ELNS1_3gpuE8ELNS1_3repE0EEENS1_59segmented_radix_sort_warp_sort_small_config_static_selectorELNS0_4arch9wavefront6targetE1EEEvSH_.uses_flat_scratch, 0
	.set _ZN7rocprim17ROCPRIM_400000_NS6detail17trampoline_kernelINS0_14default_configENS1_36segmented_radix_sort_config_selectorIllEEZNS1_25segmented_radix_sort_implIS3_Lb1EPKlPlS8_S9_N2at6native12_GLOBAL__N_18offset_tEEE10hipError_tPvRmT1_PNSt15iterator_traitsISH_E10value_typeET2_T3_PNSI_ISN_E10value_typeET4_jRbjT5_ST_jjP12ihipStream_tbEUlT_E1_NS1_11comp_targetILNS1_3genE4ELNS1_11target_archE910ELNS1_3gpuE8ELNS1_3repE0EEENS1_59segmented_radix_sort_warp_sort_small_config_static_selectorELNS0_4arch9wavefront6targetE1EEEvSH_.has_dyn_sized_stack, 0
	.set _ZN7rocprim17ROCPRIM_400000_NS6detail17trampoline_kernelINS0_14default_configENS1_36segmented_radix_sort_config_selectorIllEEZNS1_25segmented_radix_sort_implIS3_Lb1EPKlPlS8_S9_N2at6native12_GLOBAL__N_18offset_tEEE10hipError_tPvRmT1_PNSt15iterator_traitsISH_E10value_typeET2_T3_PNSI_ISN_E10value_typeET4_jRbjT5_ST_jjP12ihipStream_tbEUlT_E1_NS1_11comp_targetILNS1_3genE4ELNS1_11target_archE910ELNS1_3gpuE8ELNS1_3repE0EEENS1_59segmented_radix_sort_warp_sort_small_config_static_selectorELNS0_4arch9wavefront6targetE1EEEvSH_.has_recursion, 0
	.set _ZN7rocprim17ROCPRIM_400000_NS6detail17trampoline_kernelINS0_14default_configENS1_36segmented_radix_sort_config_selectorIllEEZNS1_25segmented_radix_sort_implIS3_Lb1EPKlPlS8_S9_N2at6native12_GLOBAL__N_18offset_tEEE10hipError_tPvRmT1_PNSt15iterator_traitsISH_E10value_typeET2_T3_PNSI_ISN_E10value_typeET4_jRbjT5_ST_jjP12ihipStream_tbEUlT_E1_NS1_11comp_targetILNS1_3genE4ELNS1_11target_archE910ELNS1_3gpuE8ELNS1_3repE0EEENS1_59segmented_radix_sort_warp_sort_small_config_static_selectorELNS0_4arch9wavefront6targetE1EEEvSH_.has_indirect_call, 0
	.section	.AMDGPU.csdata,"",@progbits
; Kernel info:
; codeLenInByte = 0
; TotalNumSgprs: 4
; NumVgprs: 0
; ScratchSize: 0
; MemoryBound: 0
; FloatMode: 240
; IeeeMode: 1
; LDSByteSize: 0 bytes/workgroup (compile time only)
; SGPRBlocks: 0
; VGPRBlocks: 0
; NumSGPRsForWavesPerEU: 4
; NumVGPRsForWavesPerEU: 1
; Occupancy: 10
; WaveLimiterHint : 0
; COMPUTE_PGM_RSRC2:SCRATCH_EN: 0
; COMPUTE_PGM_RSRC2:USER_SGPR: 6
; COMPUTE_PGM_RSRC2:TRAP_HANDLER: 0
; COMPUTE_PGM_RSRC2:TGID_X_EN: 1
; COMPUTE_PGM_RSRC2:TGID_Y_EN: 0
; COMPUTE_PGM_RSRC2:TGID_Z_EN: 0
; COMPUTE_PGM_RSRC2:TIDIG_COMP_CNT: 0
	.section	.text._ZN7rocprim17ROCPRIM_400000_NS6detail17trampoline_kernelINS0_14default_configENS1_36segmented_radix_sort_config_selectorIllEEZNS1_25segmented_radix_sort_implIS3_Lb1EPKlPlS8_S9_N2at6native12_GLOBAL__N_18offset_tEEE10hipError_tPvRmT1_PNSt15iterator_traitsISH_E10value_typeET2_T3_PNSI_ISN_E10value_typeET4_jRbjT5_ST_jjP12ihipStream_tbEUlT_E1_NS1_11comp_targetILNS1_3genE3ELNS1_11target_archE908ELNS1_3gpuE7ELNS1_3repE0EEENS1_59segmented_radix_sort_warp_sort_small_config_static_selectorELNS0_4arch9wavefront6targetE1EEEvSH_,"axG",@progbits,_ZN7rocprim17ROCPRIM_400000_NS6detail17trampoline_kernelINS0_14default_configENS1_36segmented_radix_sort_config_selectorIllEEZNS1_25segmented_radix_sort_implIS3_Lb1EPKlPlS8_S9_N2at6native12_GLOBAL__N_18offset_tEEE10hipError_tPvRmT1_PNSt15iterator_traitsISH_E10value_typeET2_T3_PNSI_ISN_E10value_typeET4_jRbjT5_ST_jjP12ihipStream_tbEUlT_E1_NS1_11comp_targetILNS1_3genE3ELNS1_11target_archE908ELNS1_3gpuE7ELNS1_3repE0EEENS1_59segmented_radix_sort_warp_sort_small_config_static_selectorELNS0_4arch9wavefront6targetE1EEEvSH_,comdat
	.globl	_ZN7rocprim17ROCPRIM_400000_NS6detail17trampoline_kernelINS0_14default_configENS1_36segmented_radix_sort_config_selectorIllEEZNS1_25segmented_radix_sort_implIS3_Lb1EPKlPlS8_S9_N2at6native12_GLOBAL__N_18offset_tEEE10hipError_tPvRmT1_PNSt15iterator_traitsISH_E10value_typeET2_T3_PNSI_ISN_E10value_typeET4_jRbjT5_ST_jjP12ihipStream_tbEUlT_E1_NS1_11comp_targetILNS1_3genE3ELNS1_11target_archE908ELNS1_3gpuE7ELNS1_3repE0EEENS1_59segmented_radix_sort_warp_sort_small_config_static_selectorELNS0_4arch9wavefront6targetE1EEEvSH_ ; -- Begin function _ZN7rocprim17ROCPRIM_400000_NS6detail17trampoline_kernelINS0_14default_configENS1_36segmented_radix_sort_config_selectorIllEEZNS1_25segmented_radix_sort_implIS3_Lb1EPKlPlS8_S9_N2at6native12_GLOBAL__N_18offset_tEEE10hipError_tPvRmT1_PNSt15iterator_traitsISH_E10value_typeET2_T3_PNSI_ISN_E10value_typeET4_jRbjT5_ST_jjP12ihipStream_tbEUlT_E1_NS1_11comp_targetILNS1_3genE3ELNS1_11target_archE908ELNS1_3gpuE7ELNS1_3repE0EEENS1_59segmented_radix_sort_warp_sort_small_config_static_selectorELNS0_4arch9wavefront6targetE1EEEvSH_
	.p2align	8
	.type	_ZN7rocprim17ROCPRIM_400000_NS6detail17trampoline_kernelINS0_14default_configENS1_36segmented_radix_sort_config_selectorIllEEZNS1_25segmented_radix_sort_implIS3_Lb1EPKlPlS8_S9_N2at6native12_GLOBAL__N_18offset_tEEE10hipError_tPvRmT1_PNSt15iterator_traitsISH_E10value_typeET2_T3_PNSI_ISN_E10value_typeET4_jRbjT5_ST_jjP12ihipStream_tbEUlT_E1_NS1_11comp_targetILNS1_3genE3ELNS1_11target_archE908ELNS1_3gpuE7ELNS1_3repE0EEENS1_59segmented_radix_sort_warp_sort_small_config_static_selectorELNS0_4arch9wavefront6targetE1EEEvSH_,@function
_ZN7rocprim17ROCPRIM_400000_NS6detail17trampoline_kernelINS0_14default_configENS1_36segmented_radix_sort_config_selectorIllEEZNS1_25segmented_radix_sort_implIS3_Lb1EPKlPlS8_S9_N2at6native12_GLOBAL__N_18offset_tEEE10hipError_tPvRmT1_PNSt15iterator_traitsISH_E10value_typeET2_T3_PNSI_ISN_E10value_typeET4_jRbjT5_ST_jjP12ihipStream_tbEUlT_E1_NS1_11comp_targetILNS1_3genE3ELNS1_11target_archE908ELNS1_3gpuE7ELNS1_3repE0EEENS1_59segmented_radix_sort_warp_sort_small_config_static_selectorELNS0_4arch9wavefront6targetE1EEEvSH_: ; @_ZN7rocprim17ROCPRIM_400000_NS6detail17trampoline_kernelINS0_14default_configENS1_36segmented_radix_sort_config_selectorIllEEZNS1_25segmented_radix_sort_implIS3_Lb1EPKlPlS8_S9_N2at6native12_GLOBAL__N_18offset_tEEE10hipError_tPvRmT1_PNSt15iterator_traitsISH_E10value_typeET2_T3_PNSI_ISN_E10value_typeET4_jRbjT5_ST_jjP12ihipStream_tbEUlT_E1_NS1_11comp_targetILNS1_3genE3ELNS1_11target_archE908ELNS1_3gpuE7ELNS1_3repE0EEENS1_59segmented_radix_sort_warp_sort_small_config_static_selectorELNS0_4arch9wavefront6targetE1EEEvSH_
; %bb.0:
	.section	.rodata,"a",@progbits
	.p2align	6, 0x0
	.amdhsa_kernel _ZN7rocprim17ROCPRIM_400000_NS6detail17trampoline_kernelINS0_14default_configENS1_36segmented_radix_sort_config_selectorIllEEZNS1_25segmented_radix_sort_implIS3_Lb1EPKlPlS8_S9_N2at6native12_GLOBAL__N_18offset_tEEE10hipError_tPvRmT1_PNSt15iterator_traitsISH_E10value_typeET2_T3_PNSI_ISN_E10value_typeET4_jRbjT5_ST_jjP12ihipStream_tbEUlT_E1_NS1_11comp_targetILNS1_3genE3ELNS1_11target_archE908ELNS1_3gpuE7ELNS1_3repE0EEENS1_59segmented_radix_sort_warp_sort_small_config_static_selectorELNS0_4arch9wavefront6targetE1EEEvSH_
		.amdhsa_group_segment_fixed_size 0
		.amdhsa_private_segment_fixed_size 0
		.amdhsa_kernarg_size 88
		.amdhsa_user_sgpr_count 6
		.amdhsa_user_sgpr_private_segment_buffer 1
		.amdhsa_user_sgpr_dispatch_ptr 0
		.amdhsa_user_sgpr_queue_ptr 0
		.amdhsa_user_sgpr_kernarg_segment_ptr 1
		.amdhsa_user_sgpr_dispatch_id 0
		.amdhsa_user_sgpr_flat_scratch_init 0
		.amdhsa_user_sgpr_private_segment_size 0
		.amdhsa_uses_dynamic_stack 0
		.amdhsa_system_sgpr_private_segment_wavefront_offset 0
		.amdhsa_system_sgpr_workgroup_id_x 1
		.amdhsa_system_sgpr_workgroup_id_y 0
		.amdhsa_system_sgpr_workgroup_id_z 0
		.amdhsa_system_sgpr_workgroup_info 0
		.amdhsa_system_vgpr_workitem_id 0
		.amdhsa_next_free_vgpr 1
		.amdhsa_next_free_sgpr 0
		.amdhsa_reserve_vcc 0
		.amdhsa_reserve_flat_scratch 0
		.amdhsa_float_round_mode_32 0
		.amdhsa_float_round_mode_16_64 0
		.amdhsa_float_denorm_mode_32 3
		.amdhsa_float_denorm_mode_16_64 3
		.amdhsa_dx10_clamp 1
		.amdhsa_ieee_mode 1
		.amdhsa_fp16_overflow 0
		.amdhsa_exception_fp_ieee_invalid_op 0
		.amdhsa_exception_fp_denorm_src 0
		.amdhsa_exception_fp_ieee_div_zero 0
		.amdhsa_exception_fp_ieee_overflow 0
		.amdhsa_exception_fp_ieee_underflow 0
		.amdhsa_exception_fp_ieee_inexact 0
		.amdhsa_exception_int_div_zero 0
	.end_amdhsa_kernel
	.section	.text._ZN7rocprim17ROCPRIM_400000_NS6detail17trampoline_kernelINS0_14default_configENS1_36segmented_radix_sort_config_selectorIllEEZNS1_25segmented_radix_sort_implIS3_Lb1EPKlPlS8_S9_N2at6native12_GLOBAL__N_18offset_tEEE10hipError_tPvRmT1_PNSt15iterator_traitsISH_E10value_typeET2_T3_PNSI_ISN_E10value_typeET4_jRbjT5_ST_jjP12ihipStream_tbEUlT_E1_NS1_11comp_targetILNS1_3genE3ELNS1_11target_archE908ELNS1_3gpuE7ELNS1_3repE0EEENS1_59segmented_radix_sort_warp_sort_small_config_static_selectorELNS0_4arch9wavefront6targetE1EEEvSH_,"axG",@progbits,_ZN7rocprim17ROCPRIM_400000_NS6detail17trampoline_kernelINS0_14default_configENS1_36segmented_radix_sort_config_selectorIllEEZNS1_25segmented_radix_sort_implIS3_Lb1EPKlPlS8_S9_N2at6native12_GLOBAL__N_18offset_tEEE10hipError_tPvRmT1_PNSt15iterator_traitsISH_E10value_typeET2_T3_PNSI_ISN_E10value_typeET4_jRbjT5_ST_jjP12ihipStream_tbEUlT_E1_NS1_11comp_targetILNS1_3genE3ELNS1_11target_archE908ELNS1_3gpuE7ELNS1_3repE0EEENS1_59segmented_radix_sort_warp_sort_small_config_static_selectorELNS0_4arch9wavefront6targetE1EEEvSH_,comdat
.Lfunc_end727:
	.size	_ZN7rocprim17ROCPRIM_400000_NS6detail17trampoline_kernelINS0_14default_configENS1_36segmented_radix_sort_config_selectorIllEEZNS1_25segmented_radix_sort_implIS3_Lb1EPKlPlS8_S9_N2at6native12_GLOBAL__N_18offset_tEEE10hipError_tPvRmT1_PNSt15iterator_traitsISH_E10value_typeET2_T3_PNSI_ISN_E10value_typeET4_jRbjT5_ST_jjP12ihipStream_tbEUlT_E1_NS1_11comp_targetILNS1_3genE3ELNS1_11target_archE908ELNS1_3gpuE7ELNS1_3repE0EEENS1_59segmented_radix_sort_warp_sort_small_config_static_selectorELNS0_4arch9wavefront6targetE1EEEvSH_, .Lfunc_end727-_ZN7rocprim17ROCPRIM_400000_NS6detail17trampoline_kernelINS0_14default_configENS1_36segmented_radix_sort_config_selectorIllEEZNS1_25segmented_radix_sort_implIS3_Lb1EPKlPlS8_S9_N2at6native12_GLOBAL__N_18offset_tEEE10hipError_tPvRmT1_PNSt15iterator_traitsISH_E10value_typeET2_T3_PNSI_ISN_E10value_typeET4_jRbjT5_ST_jjP12ihipStream_tbEUlT_E1_NS1_11comp_targetILNS1_3genE3ELNS1_11target_archE908ELNS1_3gpuE7ELNS1_3repE0EEENS1_59segmented_radix_sort_warp_sort_small_config_static_selectorELNS0_4arch9wavefront6targetE1EEEvSH_
                                        ; -- End function
	.set _ZN7rocprim17ROCPRIM_400000_NS6detail17trampoline_kernelINS0_14default_configENS1_36segmented_radix_sort_config_selectorIllEEZNS1_25segmented_radix_sort_implIS3_Lb1EPKlPlS8_S9_N2at6native12_GLOBAL__N_18offset_tEEE10hipError_tPvRmT1_PNSt15iterator_traitsISH_E10value_typeET2_T3_PNSI_ISN_E10value_typeET4_jRbjT5_ST_jjP12ihipStream_tbEUlT_E1_NS1_11comp_targetILNS1_3genE3ELNS1_11target_archE908ELNS1_3gpuE7ELNS1_3repE0EEENS1_59segmented_radix_sort_warp_sort_small_config_static_selectorELNS0_4arch9wavefront6targetE1EEEvSH_.num_vgpr, 0
	.set _ZN7rocprim17ROCPRIM_400000_NS6detail17trampoline_kernelINS0_14default_configENS1_36segmented_radix_sort_config_selectorIllEEZNS1_25segmented_radix_sort_implIS3_Lb1EPKlPlS8_S9_N2at6native12_GLOBAL__N_18offset_tEEE10hipError_tPvRmT1_PNSt15iterator_traitsISH_E10value_typeET2_T3_PNSI_ISN_E10value_typeET4_jRbjT5_ST_jjP12ihipStream_tbEUlT_E1_NS1_11comp_targetILNS1_3genE3ELNS1_11target_archE908ELNS1_3gpuE7ELNS1_3repE0EEENS1_59segmented_radix_sort_warp_sort_small_config_static_selectorELNS0_4arch9wavefront6targetE1EEEvSH_.num_agpr, 0
	.set _ZN7rocprim17ROCPRIM_400000_NS6detail17trampoline_kernelINS0_14default_configENS1_36segmented_radix_sort_config_selectorIllEEZNS1_25segmented_radix_sort_implIS3_Lb1EPKlPlS8_S9_N2at6native12_GLOBAL__N_18offset_tEEE10hipError_tPvRmT1_PNSt15iterator_traitsISH_E10value_typeET2_T3_PNSI_ISN_E10value_typeET4_jRbjT5_ST_jjP12ihipStream_tbEUlT_E1_NS1_11comp_targetILNS1_3genE3ELNS1_11target_archE908ELNS1_3gpuE7ELNS1_3repE0EEENS1_59segmented_radix_sort_warp_sort_small_config_static_selectorELNS0_4arch9wavefront6targetE1EEEvSH_.numbered_sgpr, 0
	.set _ZN7rocprim17ROCPRIM_400000_NS6detail17trampoline_kernelINS0_14default_configENS1_36segmented_radix_sort_config_selectorIllEEZNS1_25segmented_radix_sort_implIS3_Lb1EPKlPlS8_S9_N2at6native12_GLOBAL__N_18offset_tEEE10hipError_tPvRmT1_PNSt15iterator_traitsISH_E10value_typeET2_T3_PNSI_ISN_E10value_typeET4_jRbjT5_ST_jjP12ihipStream_tbEUlT_E1_NS1_11comp_targetILNS1_3genE3ELNS1_11target_archE908ELNS1_3gpuE7ELNS1_3repE0EEENS1_59segmented_radix_sort_warp_sort_small_config_static_selectorELNS0_4arch9wavefront6targetE1EEEvSH_.num_named_barrier, 0
	.set _ZN7rocprim17ROCPRIM_400000_NS6detail17trampoline_kernelINS0_14default_configENS1_36segmented_radix_sort_config_selectorIllEEZNS1_25segmented_radix_sort_implIS3_Lb1EPKlPlS8_S9_N2at6native12_GLOBAL__N_18offset_tEEE10hipError_tPvRmT1_PNSt15iterator_traitsISH_E10value_typeET2_T3_PNSI_ISN_E10value_typeET4_jRbjT5_ST_jjP12ihipStream_tbEUlT_E1_NS1_11comp_targetILNS1_3genE3ELNS1_11target_archE908ELNS1_3gpuE7ELNS1_3repE0EEENS1_59segmented_radix_sort_warp_sort_small_config_static_selectorELNS0_4arch9wavefront6targetE1EEEvSH_.private_seg_size, 0
	.set _ZN7rocprim17ROCPRIM_400000_NS6detail17trampoline_kernelINS0_14default_configENS1_36segmented_radix_sort_config_selectorIllEEZNS1_25segmented_radix_sort_implIS3_Lb1EPKlPlS8_S9_N2at6native12_GLOBAL__N_18offset_tEEE10hipError_tPvRmT1_PNSt15iterator_traitsISH_E10value_typeET2_T3_PNSI_ISN_E10value_typeET4_jRbjT5_ST_jjP12ihipStream_tbEUlT_E1_NS1_11comp_targetILNS1_3genE3ELNS1_11target_archE908ELNS1_3gpuE7ELNS1_3repE0EEENS1_59segmented_radix_sort_warp_sort_small_config_static_selectorELNS0_4arch9wavefront6targetE1EEEvSH_.uses_vcc, 0
	.set _ZN7rocprim17ROCPRIM_400000_NS6detail17trampoline_kernelINS0_14default_configENS1_36segmented_radix_sort_config_selectorIllEEZNS1_25segmented_radix_sort_implIS3_Lb1EPKlPlS8_S9_N2at6native12_GLOBAL__N_18offset_tEEE10hipError_tPvRmT1_PNSt15iterator_traitsISH_E10value_typeET2_T3_PNSI_ISN_E10value_typeET4_jRbjT5_ST_jjP12ihipStream_tbEUlT_E1_NS1_11comp_targetILNS1_3genE3ELNS1_11target_archE908ELNS1_3gpuE7ELNS1_3repE0EEENS1_59segmented_radix_sort_warp_sort_small_config_static_selectorELNS0_4arch9wavefront6targetE1EEEvSH_.uses_flat_scratch, 0
	.set _ZN7rocprim17ROCPRIM_400000_NS6detail17trampoline_kernelINS0_14default_configENS1_36segmented_radix_sort_config_selectorIllEEZNS1_25segmented_radix_sort_implIS3_Lb1EPKlPlS8_S9_N2at6native12_GLOBAL__N_18offset_tEEE10hipError_tPvRmT1_PNSt15iterator_traitsISH_E10value_typeET2_T3_PNSI_ISN_E10value_typeET4_jRbjT5_ST_jjP12ihipStream_tbEUlT_E1_NS1_11comp_targetILNS1_3genE3ELNS1_11target_archE908ELNS1_3gpuE7ELNS1_3repE0EEENS1_59segmented_radix_sort_warp_sort_small_config_static_selectorELNS0_4arch9wavefront6targetE1EEEvSH_.has_dyn_sized_stack, 0
	.set _ZN7rocprim17ROCPRIM_400000_NS6detail17trampoline_kernelINS0_14default_configENS1_36segmented_radix_sort_config_selectorIllEEZNS1_25segmented_radix_sort_implIS3_Lb1EPKlPlS8_S9_N2at6native12_GLOBAL__N_18offset_tEEE10hipError_tPvRmT1_PNSt15iterator_traitsISH_E10value_typeET2_T3_PNSI_ISN_E10value_typeET4_jRbjT5_ST_jjP12ihipStream_tbEUlT_E1_NS1_11comp_targetILNS1_3genE3ELNS1_11target_archE908ELNS1_3gpuE7ELNS1_3repE0EEENS1_59segmented_radix_sort_warp_sort_small_config_static_selectorELNS0_4arch9wavefront6targetE1EEEvSH_.has_recursion, 0
	.set _ZN7rocprim17ROCPRIM_400000_NS6detail17trampoline_kernelINS0_14default_configENS1_36segmented_radix_sort_config_selectorIllEEZNS1_25segmented_radix_sort_implIS3_Lb1EPKlPlS8_S9_N2at6native12_GLOBAL__N_18offset_tEEE10hipError_tPvRmT1_PNSt15iterator_traitsISH_E10value_typeET2_T3_PNSI_ISN_E10value_typeET4_jRbjT5_ST_jjP12ihipStream_tbEUlT_E1_NS1_11comp_targetILNS1_3genE3ELNS1_11target_archE908ELNS1_3gpuE7ELNS1_3repE0EEENS1_59segmented_radix_sort_warp_sort_small_config_static_selectorELNS0_4arch9wavefront6targetE1EEEvSH_.has_indirect_call, 0
	.section	.AMDGPU.csdata,"",@progbits
; Kernel info:
; codeLenInByte = 0
; TotalNumSgprs: 4
; NumVgprs: 0
; ScratchSize: 0
; MemoryBound: 0
; FloatMode: 240
; IeeeMode: 1
; LDSByteSize: 0 bytes/workgroup (compile time only)
; SGPRBlocks: 0
; VGPRBlocks: 0
; NumSGPRsForWavesPerEU: 4
; NumVGPRsForWavesPerEU: 1
; Occupancy: 10
; WaveLimiterHint : 0
; COMPUTE_PGM_RSRC2:SCRATCH_EN: 0
; COMPUTE_PGM_RSRC2:USER_SGPR: 6
; COMPUTE_PGM_RSRC2:TRAP_HANDLER: 0
; COMPUTE_PGM_RSRC2:TGID_X_EN: 1
; COMPUTE_PGM_RSRC2:TGID_Y_EN: 0
; COMPUTE_PGM_RSRC2:TGID_Z_EN: 0
; COMPUTE_PGM_RSRC2:TIDIG_COMP_CNT: 0
	.text
	.p2align	2                               ; -- Begin function _ZN7rocprim17ROCPRIM_400000_NS6detail26segmented_warp_sort_helperINS1_20WarpSortHelperConfigILj8ELj8ELj256EEEllLi256ELb1EvE4sortIPKlPlS8_S9_EEvT_T0_T1_T2_jjjjRNS5_12storage_typeE
	.type	_ZN7rocprim17ROCPRIM_400000_NS6detail26segmented_warp_sort_helperINS1_20WarpSortHelperConfigILj8ELj8ELj256EEEllLi256ELb1EvE4sortIPKlPlS8_S9_EEvT_T0_T1_T2_jjjjRNS5_12storage_typeE,@function
_ZN7rocprim17ROCPRIM_400000_NS6detail26segmented_warp_sort_helperINS1_20WarpSortHelperConfigILj8ELj8ELj256EEEllLi256ELb1EvE4sortIPKlPlS8_S9_EEvT_T0_T1_T2_jjjjRNS5_12storage_typeE: ; @_ZN7rocprim17ROCPRIM_400000_NS6detail26segmented_warp_sort_helperINS1_20WarpSortHelperConfigILj8ELj8ELj256EEEllLi256ELb1EvE4sortIPKlPlS8_S9_EEvT_T0_T1_T2_jjjjRNS5_12storage_typeE
; %bb.0:
	s_waitcnt vmcnt(0) expcnt(0) lgkmcnt(0)
	v_mov_b32_e32 v13, v9
	v_mov_b32_e32 v9, 0
	v_mbcnt_lo_u32_b32 v16, -1, 0
	v_lshlrev_b64 v[14:15], 3, v[8:9]
	v_mbcnt_hi_u32_b32 v16, -1, v16
	v_lshlrev_b32_e32 v67, 3, v16
	v_add_co_u32_e32 v0, vcc, v0, v14
	v_and_b32_e32 v68, 56, v67
	v_addc_co_u32_e32 v1, vcc, v1, v15, vcc
	v_lshlrev_b32_e32 v66, 3, v68
	v_add_co_u32_e32 v20, vcc, v0, v66
	v_sub_u32_e32 v13, v13, v8
	v_mov_b32_e32 v8, v9
	v_addc_co_u32_e32 v21, vcc, 0, v1, vcc
	v_bfrev_b32_e32 v9, 1
	v_mov_b32_e32 v0, v8
	v_cmp_lt_u32_e64 s[4:5], v68, v13
	v_mov_b32_e32 v1, v9
	s_and_saveexec_b64 s[6:7], s[4:5]
	s_cbranch_execz .LBB728_2
; %bb.1:
	flat_load_dwordx2 v[0:1], v[20:21]
.LBB728_2:
	s_or_b64 exec, exec, s[6:7]
	v_or_b32_e32 v16, 1, v68
	v_cmp_lt_u32_e64 s[6:7], v16, v13
	s_and_saveexec_b64 s[10:11], s[6:7]
	s_cbranch_execz .LBB728_4
; %bb.3:
	flat_load_dwordx2 v[8:9], v[20:21] offset:8
.LBB728_4:
	s_or_b64 exec, exec, s[10:11]
	v_or_b32_e32 v16, 2, v68
	v_mov_b32_e32 v26, 0
	v_cmp_lt_u32_e64 s[20:21], v16, v13
	v_bfrev_b32_e32 v27, 1
	v_mov_b32_e32 v16, v26
	v_mov_b32_e32 v17, v27
	s_and_saveexec_b64 s[10:11], s[20:21]
	s_cbranch_execz .LBB728_6
; %bb.5:
	flat_load_dwordx2 v[16:17], v[20:21] offset:16
.LBB728_6:
	s_or_b64 exec, exec, s[10:11]
	v_or_b32_e32 v18, 3, v68
	v_cmp_lt_u32_e64 s[10:11], v18, v13
	s_and_saveexec_b64 s[14:15], s[10:11]
	s_cbranch_execz .LBB728_8
; %bb.7:
	flat_load_dwordx2 v[26:27], v[20:21] offset:24
.LBB728_8:
	s_or_b64 exec, exec, s[14:15]
	v_bfrev_b32_e32 v25, 1
	v_or_b32_e32 v18, 4, v68
	v_mov_b32_e32 v24, 0
	v_mov_b32_e32 v29, v25
	v_cmp_lt_u32_e64 s[24:25], v18, v13
	v_mov_b32_e32 v28, v24
	s_and_saveexec_b64 s[14:15], s[24:25]
	s_cbranch_execz .LBB728_10
; %bb.9:
	flat_load_dwordx2 v[28:29], v[20:21] offset:32
.LBB728_10:
	s_or_b64 exec, exec, s[14:15]
	v_or_b32_e32 v18, 5, v68
	v_cmp_lt_u32_e64 s[14:15], v18, v13
	s_and_saveexec_b64 s[16:17], s[14:15]
	s_cbranch_execz .LBB728_12
; %bb.11:
	flat_load_dwordx2 v[24:25], v[20:21] offset:40
.LBB728_12:
	s_or_b64 exec, exec, s[16:17]
	v_or_b32_e32 v18, 6, v68
	v_bfrev_b32_e32 v19, 1
	v_cmp_lt_u32_e64 s[16:17], v18, v13
	v_mov_b32_e32 v18, 0
	v_mov_b32_e32 v51, v19
	v_mov_b32_e32 v50, v18
	s_and_saveexec_b64 s[18:19], s[16:17]
	s_cbranch_execz .LBB728_14
; %bb.13:
	flat_load_dwordx2 v[50:51], v[20:21] offset:48
.LBB728_14:
	s_or_b64 exec, exec, s[18:19]
	v_or_b32_e32 v22, 7, v68
	v_cmp_lt_u32_e64 s[18:19], v22, v13
	s_and_saveexec_b64 s[22:23], s[18:19]
	s_cbranch_execz .LBB728_16
; %bb.15:
	flat_load_dwordx2 v[18:19], v[20:21] offset:56
.LBB728_16:
	s_or_b64 exec, exec, s[22:23]
	v_add_co_u32_e32 v4, vcc, v4, v14
	v_addc_co_u32_e32 v5, vcc, v5, v15, vcc
	v_add_co_u32_e32 v52, vcc, v4, v66
	v_addc_co_u32_e32 v53, vcc, 0, v5, vcc
	; wave barrier
                                        ; implicit-def: $vgpr4_vgpr5
	s_and_saveexec_b64 s[22:23], s[4:5]
	s_cbranch_execnz .LBB728_223
; %bb.17:
	s_or_b64 exec, exec, s[22:23]
                                        ; implicit-def: $vgpr20_vgpr21
	s_and_saveexec_b64 s[22:23], s[6:7]
	s_cbranch_execnz .LBB728_224
.LBB728_18:
	s_or_b64 exec, exec, s[22:23]
                                        ; implicit-def: $vgpr22_vgpr23
	s_and_saveexec_b64 s[22:23], s[20:21]
	s_cbranch_execnz .LBB728_225
.LBB728_19:
	s_or_b64 exec, exec, s[22:23]
                                        ; implicit-def: $vgpr32_vgpr33
	s_and_saveexec_b64 s[22:23], s[10:11]
	s_cbranch_execnz .LBB728_226
.LBB728_20:
	s_or_b64 exec, exec, s[22:23]
                                        ; implicit-def: $vgpr36_vgpr37
	s_and_saveexec_b64 s[22:23], s[24:25]
	s_cbranch_execnz .LBB728_227
.LBB728_21:
	s_or_b64 exec, exec, s[22:23]
                                        ; implicit-def: $vgpr48_vgpr49
	s_and_saveexec_b64 s[22:23], s[14:15]
	s_cbranch_execnz .LBB728_228
.LBB728_22:
	s_or_b64 exec, exec, s[22:23]
                                        ; implicit-def: $vgpr34_vgpr35
	s_and_saveexec_b64 s[22:23], s[16:17]
	s_cbranch_execnz .LBB728_229
.LBB728_23:
	s_or_b64 exec, exec, s[22:23]
                                        ; implicit-def: $vgpr38_vgpr39
	s_and_saveexec_b64 s[22:23], s[18:19]
	s_cbranch_execz .LBB728_25
.LBB728_24:
	flat_load_dwordx2 v[38:39], v[52:53] offset:56
.LBB728_25:
	s_or_b64 exec, exec, s[22:23]
	v_cmp_ne_u32_e32 vcc, 0, v10
	v_cmp_ne_u32_e64 s[22:23], 64, v11
	s_or_b64 s[22:23], vcc, s[22:23]
	v_bfe_u32 v13, v31, 10, 10
	v_bfe_u32 v30, v31, 20, 10
	; wave barrier
	s_and_saveexec_b64 s[26:27], s[22:23]
	s_xor_b64 s[40:41], exec, s[26:27]
	s_cbranch_execz .LBB728_115
; %bb.26:
	s_load_dwordx2 s[22:23], s[8:9], 0x0
	v_mov_b32_e32 v52, 0
	v_and_b32_e32 v31, 0x3ff, v31
	s_waitcnt lgkmcnt(0)
	s_cmp_lt_u32 s13, s23
	s_cselect_b32 s23, 14, 20
	s_add_u32 s26, s8, s23
	s_addc_u32 s27, s9, 0
	s_cmp_lt_u32 s12, s22
	s_cselect_b32 s22, 12, 18
	s_add_u32 s22, s8, s22
	s_addc_u32 s23, s9, 0
	global_load_ushort v54, v52, s[26:27]
	global_load_ushort v55, v52, s[22:23]
	v_lshlrev_b64 v[52:53], v11, -1
	v_lshlrev_b64 v[10:11], v10, -1
	s_movk_i32 s22, 0x800
	v_xor_b32_e32 v69, v53, v11
	s_waitcnt vmcnt(0)
	v_mad_u32_u24 v13, v30, v54, v13
	v_mul_lo_u32 v30, v13, v55
	v_xor_b32_e32 v13, v52, v10
	v_add_lshl_u32 v70, v30, v31, 3
	v_cmp_gt_u32_e32 vcc, s22, v70
	s_and_saveexec_b64 s[22:23], vcc
	s_cbranch_execz .LBB728_84
; %bb.27:
	v_and_b32_e32 v11, v9, v69
	v_and_b32_e32 v10, v8, v13
	v_and_b32_e32 v31, v1, v69
	v_and_b32_e32 v30, v0, v13
	v_cmp_gt_u64_e32 vcc, v[10:11], v[30:31]
	v_mov_b32_e32 v11, v9
	v_mov_b32_e32 v31, v21
	v_mov_b32_e32 v10, v8
	v_mov_b32_e32 v30, v20
	s_and_saveexec_b64 s[26:27], vcc
; %bb.28:
	v_mov_b32_e32 v11, v1
	v_mov_b32_e32 v31, v5
	v_mov_b32_e32 v10, v0
	v_mov_b32_e32 v0, v8
	v_mov_b32_e32 v30, v4
	v_mov_b32_e32 v4, v20
	v_mov_b32_e32 v1, v9
	v_mov_b32_e32 v5, v21
; %bb.29:
	s_or_b64 exec, exec, s[26:27]
	v_and_b32_e32 v9, v27, v69
	v_and_b32_e32 v8, v26, v13
	v_and_b32_e32 v21, v17, v69
	v_and_b32_e32 v20, v16, v13
	v_cmp_gt_u64_e32 vcc, v[8:9], v[20:21]
	v_mov_b32_e32 v65, v27
	v_mov_b32_e32 v53, v33
	v_mov_b32_e32 v64, v26
	v_mov_b32_e32 v52, v32
	s_and_saveexec_b64 s[26:27], vcc
; %bb.30:
	v_mov_b32_e32 v65, v17
	v_mov_b32_e32 v53, v23
	v_mov_b32_e32 v64, v16
	v_mov_b32_e32 v16, v26
	v_mov_b32_e32 v52, v22
	v_mov_b32_e32 v22, v32
	v_mov_b32_e32 v17, v27
	v_mov_b32_e32 v23, v33
; %bb.31:
	s_or_b64 exec, exec, s[26:27]
	;; [unrolled: 21-line block ×4, first 2 shown]
	v_and_b32_e32 v27, v17, v69
	v_and_b32_e32 v26, v16, v13
	;; [unrolled: 1-line block ×4, first 2 shown]
	v_cmp_gt_u64_e32 vcc, v[26:27], v[32:33]
	v_mov_b32_e32 v27, v17
	v_mov_b32_e32 v33, v23
	;; [unrolled: 1-line block ×4, first 2 shown]
	s_and_saveexec_b64 s[26:27], vcc
	s_xor_b64 s[26:27], exec, s[26:27]
; %bb.36:
	v_mov_b32_e32 v27, v11
	v_mov_b32_e32 v33, v31
	v_mov_b32_e32 v26, v10
	v_mov_b32_e32 v10, v16
	v_mov_b32_e32 v32, v30
	v_mov_b32_e32 v31, v23
	v_mov_b32_e32 v11, v17
	v_mov_b32_e32 v30, v22
; %bb.37:
	s_or_b64 exec, exec, s[26:27]
	v_and_b32_e32 v17, v55, v69
	v_and_b32_e32 v16, v54, v13
	v_and_b32_e32 v23, v65, v69
	v_and_b32_e32 v22, v64, v13
	v_cmp_gt_u64_e32 vcc, v[16:17], v[22:23]
	v_mov_b32_e32 v48, v64
	v_mov_b32_e32 v39, v37
	v_mov_b32_e32 v49, v65
	v_mov_b32_e32 v38, v36
	s_and_saveexec_b64 s[26:27], vcc
; %bb.38:
	v_mov_b32_e32 v48, v54
	v_mov_b32_e32 v38, v52
	v_mov_b32_e32 v49, v55
	v_mov_b32_e32 v39, v53
	v_mov_b32_e32 v53, v37
	v_mov_b32_e32 v54, v64
	v_mov_b32_e32 v52, v36
	v_mov_b32_e32 v55, v65
; %bb.39:
	s_or_b64 exec, exec, s[26:27]
	v_and_b32_e32 v17, v29, v69
	v_and_b32_e32 v16, v28, v13
	v_and_b32_e32 v23, v25, v69
	v_and_b32_e32 v22, v24, v13
	v_cmp_gt_u64_e32 vcc, v[16:17], v[22:23]
	v_mov_b32_e32 v16, v34
	v_mov_b32_e32 v37, v25
	v_mov_b32_e32 v17, v35
	v_mov_b32_e32 v36, v24
	s_and_saveexec_b64 s[26:27], vcc
	;; [unrolled: 21-line block ×23, first 2 shown]
; %bb.82:
	v_mov_b32_e32 v51, v25
	v_mov_b32_e32 v49, v35
	;; [unrolled: 1-line block ×8, first 2 shown]
; %bb.83:
	s_or_b64 exec, exec, s[26:27]
.LBB728_84:
	s_or_b64 exec, exec, s[22:23]
	v_and_b32_e32 v10, 0xfffffe00, v70
	s_movk_i32 s22, 0x800
	v_sub_u32_e64 v30, s22, v10 clamp
	v_or_b32_e32 v52, 8, v67
	v_mov_b32_e32 v11, 0
	v_min_u32_e32 v86, v30, v52
	v_lshlrev_b64 v[10:11], 3, v[10:11]
	v_add_u32_e32 v52, 8, v86
	v_and_b32_e32 v96, 0x3f0, v67
	v_min_u32_e32 v87, v30, v52
	v_and_b32_e32 v52, 8, v67
	v_add_co_u32_e32 v11, vcc, v12, v10
	v_min_u32_e32 v97, v30, v52
	v_sub_u32_e32 v52, v86, v96
	v_sub_u32_e32 v53, v87, v86
	v_add_co_u32_e32 v10, vcc, 0x4000, v11
	v_lshlrev_b32_e32 v31, 3, v67
	v_sub_u32_e64 v98, v97, v53 clamp
	v_min_u32_e32 v52, v97, v52
	v_add_u32_e32 v12, v11, v31
	v_add_u32_e32 v31, v10, v31
	v_cmp_lt_u32_e32 vcc, v98, v52
	ds_write_b64 v12, v[0:1]
	ds_write_b64 v31, v[4:5]
	ds_write_b64 v12, v[8:9] offset:8
	ds_write_b64 v31, v[20:21] offset:8
	;; [unrolled: 1-line block ×14, first 2 shown]
	; wave barrier
	s_and_saveexec_b64 s[22:23], vcc
	s_cbranch_execz .LBB728_88
; %bb.85:
	v_lshlrev_b32_e32 v53, 3, v96
	v_lshlrev_b32_e32 v54, 3, v86
	v_add_co_u32_e32 v53, vcc, v11, v53
	v_add_co_u32_e32 v54, vcc, v11, v54
	s_mov_b64 s[26:27], 0
.LBB728_86:                             ; =>This Inner Loop Header: Depth=1
	v_add_u32_e32 v55, v52, v98
	v_lshrrev_b32_e32 v55, 1, v55
	v_xad_u32 v70, v55, -1, v97
	v_lshl_add_u32 v64, v55, 3, v53
	v_lshl_add_u32 v70, v70, 3, v54
	ds_read_b64 v[64:65], v64
	ds_read_b64 v[70:71], v70
	v_add_u32_e32 v80, 1, v55
	s_waitcnt lgkmcnt(1)
	v_and_b32_e32 v65, v65, v69
	v_and_b32_e32 v64, v64, v13
	s_waitcnt lgkmcnt(0)
	v_and_b32_e32 v71, v71, v69
	v_and_b32_e32 v70, v70, v13
	v_cmp_gt_u64_e32 vcc, v[70:71], v[64:65]
	v_cndmask_b32_e32 v52, v52, v55, vcc
	v_cndmask_b32_e32 v98, v80, v98, vcc
	v_cmp_ge_u32_e32 vcc, v98, v52
	s_or_b64 s[26:27], vcc, s[26:27]
	s_andn2_b64 exec, exec, s[26:27]
	s_cbranch_execnz .LBB728_86
; %bb.87:
	s_or_b64 exec, exec, s[26:27]
.LBB728_88:
	s_or_b64 exec, exec, s[22:23]
	v_add_u32_e32 v97, v86, v97
	v_add_u32_e32 v96, v98, v96
	v_sub_u32_e32 v97, v97, v98
	v_cmp_le_u32_e32 vcc, v96, v86
	v_cmp_le_u32_e64 s[22:23], v97, v87
	v_add_u32_e32 v52, 8, v12
	v_add_u32_e32 v53, 8, v31
	;; [unrolled: 1-line block ×14, first 2 shown]
	s_or_b64 s[22:23], vcc, s[22:23]
	s_and_saveexec_b64 s[42:43], s[22:23]
	s_cbranch_execz .LBB728_94
; %bb.89:
	v_cmp_lt_u32_e32 vcc, v96, v86
                                        ; implicit-def: $vgpr4_vgpr5
	s_and_saveexec_b64 s[22:23], vcc
; %bb.90:
	v_lshl_add_u32 v0, v96, 3, v11
	ds_read_b64 v[4:5], v0
; %bb.91:
	s_or_b64 exec, exec, s[22:23]
	v_cmp_ge_u32_e64 s[22:23], v97, v87
	v_cmp_lt_u32_e64 s[26:27], v97, v87
                                        ; implicit-def: $vgpr8_vgpr9
	s_and_saveexec_b64 s[28:29], s[26:27]
; %bb.92:
	v_lshl_add_u32 v0, v97, 3, v11
	ds_read_b64 v[8:9], v0
; %bb.93:
	s_or_b64 exec, exec, s[28:29]
	s_waitcnt lgkmcnt(0)
	v_and_b32_e32 v1, v9, v69
	v_and_b32_e32 v0, v8, v13
	;; [unrolled: 1-line block ×4, first 2 shown]
	v_cmp_le_u64_e64 s[26:27], v[0:1], v[16:17]
	s_and_b64 s[26:27], vcc, s[26:27]
	s_or_b64 vcc, s[22:23], s[26:27]
	v_cndmask_b32_e32 v18, v97, v96, vcc
	v_cndmask_b32_e32 v0, v87, v86, vcc
	v_add_u32_e32 v19, 1, v18
	v_add_u32_e32 v0, -1, v0
	v_min_u32_e32 v0, v19, v0
	v_lshl_add_u32 v0, v0, 3, v11
	ds_read_b64 v[16:17], v0
	v_cndmask_b32_e32 v1, v9, v5, vcc
	v_cndmask_b32_e32 v0, v8, v4, vcc
	;; [unrolled: 1-line block ×4, first 2 shown]
	s_waitcnt lgkmcnt(0)
	v_cndmask_b32_e32 v20, v17, v9, vcc
	v_cndmask_b32_e32 v21, v16, v8, vcc
	;; [unrolled: 1-line block ×4, first 2 shown]
	v_and_b32_e32 v5, v20, v69
	v_and_b32_e32 v4, v21, v13
	;; [unrolled: 1-line block ×4, first 2 shown]
	v_cmp_le_u64_e64 s[22:23], v[4:5], v[8:9]
	v_cmp_lt_u32_e64 s[26:27], v19, v86
	v_cmp_ge_u32_e32 vcc, v24, v87
	s_and_b64 s[22:23], s[26:27], s[22:23]
	s_or_b64 vcc, vcc, s[22:23]
	v_cndmask_b32_e32 v25, v24, v19, vcc
	v_cndmask_b32_e32 v4, v87, v86, vcc
	v_add_u32_e32 v26, 1, v25
	v_add_u32_e32 v4, -1, v4
	v_min_u32_e32 v4, v26, v4
	v_lshl_add_u32 v4, v4, 3, v11
	ds_read_b64 v[16:17], v4
	v_cndmask_b32_e32 v9, v20, v22, vcc
	v_cndmask_b32_e32 v8, v21, v23, vcc
	v_lshl_add_u32 v4, v18, 3, v10
	v_cndmask_b32_e32 v24, v26, v24, vcc
	s_waitcnt lgkmcnt(0)
	v_cndmask_b32_e32 v27, v17, v20, vcc
	v_cndmask_b32_e32 v28, v16, v21, vcc
	;; [unrolled: 1-line block ×5, first 2 shown]
	v_and_b32_e32 v17, v27, v69
	v_and_b32_e32 v16, v28, v13
	;; [unrolled: 1-line block ×4, first 2 shown]
	v_cmp_le_u64_e64 s[22:23], v[16:17], v[18:19]
	v_cmp_lt_u32_e64 s[26:27], v26, v86
	v_cmp_ge_u32_e32 vcc, v24, v87
	s_and_b64 s[22:23], s[26:27], s[22:23]
	s_or_b64 vcc, vcc, s[22:23]
	v_cndmask_b32_e32 v29, v24, v26, vcc
	v_cndmask_b32_e32 v16, v87, v86, vcc
	v_add_u32_e32 v32, 1, v29
	v_add_u32_e32 v16, -1, v16
	v_min_u32_e32 v16, v32, v16
	v_lshl_add_u32 v16, v16, 3, v11
	ds_read_b64 v[18:19], v16
	v_lshl_add_u32 v16, v25, 3, v10
	ds_read_b64 v[20:21], v16
	v_cndmask_b32_e32 v16, v28, v23, vcc
	v_cndmask_b32_e32 v17, v27, v22, vcc
	s_waitcnt lgkmcnt(1)
	v_cndmask_b32_e32 v25, v19, v27, vcc
	v_cndmask_b32_e32 v28, v18, v28, vcc
	v_cndmask_b32_e32 v33, v22, v19, vcc
	v_cndmask_b32_e32 v34, v23, v18, vcc
	v_and_b32_e32 v19, v25, v69
	v_and_b32_e32 v18, v28, v13
	;; [unrolled: 1-line block ×4, first 2 shown]
	v_cndmask_b32_e32 v24, v32, v24, vcc
	v_cndmask_b32_e32 v32, v26, v32, vcc
	v_cmp_le_u64_e64 s[22:23], v[18:19], v[22:23]
	v_cmp_lt_u32_e64 s[26:27], v32, v86
	v_cmp_ge_u32_e32 vcc, v24, v87
	s_and_b64 s[22:23], s[26:27], s[22:23]
	s_or_b64 vcc, vcc, s[22:23]
	v_cndmask_b32_e32 v35, v24, v32, vcc
	v_cndmask_b32_e32 v18, v87, v86, vcc
	v_add_u32_e32 v36, 1, v35
	v_add_u32_e32 v18, -1, v18
	v_min_u32_e32 v18, v36, v18
	v_lshl_add_u32 v18, v18, 3, v11
	ds_read_b64 v[18:19], v18
	v_cndmask_b32_e32 v26, v28, v34, vcc
	v_cndmask_b32_e32 v27, v25, v33, vcc
	;; [unrolled: 1-line block ×4, first 2 shown]
	s_waitcnt lgkmcnt(0)
	v_cndmask_b32_e32 v37, v19, v25, vcc
	v_cndmask_b32_e32 v38, v18, v28, vcc
	;; [unrolled: 1-line block ×4, first 2 shown]
	v_and_b32_e32 v19, v37, v69
	v_and_b32_e32 v18, v38, v13
	;; [unrolled: 1-line block ×4, first 2 shown]
	v_cmp_le_u64_e64 s[22:23], v[18:19], v[24:25]
	v_cmp_lt_u32_e64 s[26:27], v36, v86
	v_cmp_ge_u32_e32 vcc, v48, v87
	s_and_b64 s[22:23], s[26:27], s[22:23]
	s_or_b64 vcc, vcc, s[22:23]
	v_cndmask_b32_e32 v49, v48, v36, vcc
	v_cndmask_b32_e32 v18, v87, v86, vcc
	v_add_u32_e32 v24, 1, v49
	v_add_u32_e32 v18, -1, v18
	v_min_u32_e32 v18, v24, v18
	v_lshl_add_u32 v18, v18, 3, v11
	ds_read_b64 v[18:19], v18
	v_lshl_add_u32 v22, v29, 3, v10
	v_lshl_add_u32 v25, v35, 3, v10
	v_cndmask_b32_e32 v29, v37, v39, vcc
	v_cndmask_b32_e32 v28, v38, v34, vcc
	s_waitcnt lgkmcnt(0)
	v_cndmask_b32_e32 v35, v19, v37, vcc
	v_cndmask_b32_e32 v38, v18, v38, vcc
	;; [unrolled: 1-line block ×4, first 2 shown]
	ds_read_b64 v[32:33], v25
	v_cndmask_b32_e32 v48, v24, v48, vcc
	v_cndmask_b32_e32 v50, v36, v24, vcc
	v_and_b32_e32 v19, v35, v69
	v_and_b32_e32 v18, v38, v13
	;; [unrolled: 1-line block ×4, first 2 shown]
	v_cmp_le_u64_e64 s[22:23], v[18:19], v[24:25]
	v_cmp_lt_u32_e64 s[26:27], v50, v86
	v_cmp_ge_u32_e32 vcc, v48, v87
	s_and_b64 s[22:23], s[26:27], s[22:23]
	s_or_b64 vcc, vcc, s[22:23]
	v_cndmask_b32_e32 v51, v48, v50, vcc
	v_cndmask_b32_e32 v18, v87, v86, vcc
	v_add_u32_e32 v96, 1, v51
	v_add_u32_e32 v18, -1, v18
	v_min_u32_e32 v18, v96, v18
	v_lshl_add_u32 v18, v18, 3, v11
	ds_read_b64 v[18:19], v18
	v_lshl_add_u32 v24, v49, 3, v10
	ds_read_b64 v[36:37], v24
	v_cndmask_b32_e32 v25, v35, v39, vcc
	v_cndmask_b32_e32 v24, v38, v34, vcc
	s_waitcnt lgkmcnt(1)
	v_cndmask_b32_e32 v97, v19, v35, vcc
	v_cndmask_b32_e32 v98, v18, v38, vcc
	;; [unrolled: 1-line block ×4, first 2 shown]
	v_and_b32_e32 v19, v97, v69
	v_and_b32_e32 v18, v98, v13
	;; [unrolled: 1-line block ×4, first 2 shown]
	v_cndmask_b32_e32 v39, v50, v96, vcc
	v_cmp_le_u64_e64 s[22:23], v[18:19], v[34:35]
	v_cndmask_b32_e32 v38, v96, v48, vcc
	v_cmp_lt_u32_e64 s[26:27], v39, v86
	v_cmp_ge_u32_e32 vcc, v38, v87
	s_and_b64 s[22:23], s[26:27], s[22:23]
	s_or_b64 vcc, vcc, s[22:23]
	v_cndmask_b32_e32 v34, v38, v39, vcc
	v_cndmask_b32_e32 v18, v87, v86, vcc
	v_add_u32_e32 v50, 1, v34
	v_add_u32_e32 v18, -1, v18
	v_min_u32_e32 v18, v50, v18
	v_lshl_add_u32 v18, v18, 3, v11
	ds_read_b64 v[18:19], v18
	v_lshl_add_u32 v35, v51, 3, v10
	v_cndmask_b32_e32 v51, v50, v38, vcc
	v_cndmask_b32_e32 v50, v39, v50, vcc
	v_cmp_lt_u32_e64 s[28:29], v50, v86
	s_waitcnt lgkmcnt(0)
	v_cndmask_b32_e32 v96, v19, v97, vcc
	v_cndmask_b32_e32 v101, v18, v98, vcc
	;; [unrolled: 1-line block ×4, first 2 shown]
	v_and_b32_e32 v19, v96, v69
	v_and_b32_e32 v18, v101, v13
	;; [unrolled: 1-line block ×4, first 2 shown]
	v_cmp_le_u64_e64 s[26:27], v[18:19], v[38:39]
	v_cmp_ge_u32_e64 s[22:23], v51, v87
	s_and_b64 s[26:27], s[28:29], s[26:27]
	s_or_b64 s[22:23], s[22:23], s[26:27]
	v_cndmask_b32_e64 v18, v51, v50, s[22:23]
	v_lshl_add_u32 v34, v34, 3, v10
	v_lshl_add_u32 v18, v18, 3, v10
	ds_read_b64 v[4:5], v4
	ds_read_b64 v[22:23], v22
	;; [unrolled: 1-line block ×5, first 2 shown]
	v_cndmask_b32_e32 v51, v97, v99, vcc
	v_cndmask_b32_e32 v50, v98, v100, vcc
	v_cndmask_b32_e64 v19, v96, v102, s[22:23]
	v_cndmask_b32_e64 v18, v101, v103, s[22:23]
.LBB728_94:
	s_or_b64 exec, exec, s[42:43]
	v_and_b32_e32 v96, 0x3e0, v67
	v_or_b32_e32 v86, 16, v96
	v_min_u32_e32 v86, v30, v86
	v_add_u32_e32 v87, 16, v86
	v_min_u32_e32 v87, v30, v87
	v_and_b32_e32 v97, 24, v67
	v_min_u32_e32 v97, v30, v97
	v_sub_u32_e32 v99, v86, v96
	v_sub_u32_e32 v98, v87, v86
	v_sub_u32_e64 v98, v97, v98 clamp
	v_min_u32_e32 v99, v97, v99
	v_cmp_lt_u32_e32 vcc, v98, v99
	; wave barrier
	ds_write_b64 v12, v[0:1]
	s_waitcnt lgkmcnt(5)
	ds_write_b64 v31, v[4:5]
	ds_write_b64 v52, v[8:9]
	;; [unrolled: 1-line block ×4, first 2 shown]
	s_waitcnt lgkmcnt(8)
	ds_write_b64 v55, v[22:23]
	ds_write_b64 v64, v[26:27]
	;; [unrolled: 1-line block ×6, first 2 shown]
	s_waitcnt lgkmcnt(13)
	ds_write_b64 v81, v[48:49]
	ds_write_b64 v82, v[50:51]
	s_waitcnt lgkmcnt(14)
	ds_write_b64 v83, v[34:35]
	ds_write_b64 v84, v[18:19]
	s_waitcnt lgkmcnt(14)
	ds_write_b64 v85, v[38:39]
	; wave barrier
	s_and_saveexec_b64 s[22:23], vcc
	s_cbranch_execz .LBB728_98
; %bb.95:
	v_lshlrev_b32_e32 v100, 3, v96
	v_lshlrev_b32_e32 v101, 3, v86
	v_add_co_u32_e32 v100, vcc, v11, v100
	v_add_co_u32_e32 v101, vcc, v11, v101
	s_mov_b64 s[26:27], 0
.LBB728_96:                             ; =>This Inner Loop Header: Depth=1
	v_add_u32_e32 v102, v99, v98
	v_lshrrev_b32_e32 v114, 1, v102
	v_xad_u32 v112, v114, -1, v97
	v_lshl_add_u32 v102, v114, 3, v100
	v_lshl_add_u32 v112, v112, 3, v101
	ds_read_b64 v[102:103], v102
	ds_read_b64 v[112:113], v112
	v_add_u32_e32 v115, 1, v114
	s_waitcnt lgkmcnt(1)
	v_and_b32_e32 v103, v103, v69
	v_and_b32_e32 v102, v102, v13
	s_waitcnt lgkmcnt(0)
	v_and_b32_e32 v113, v113, v69
	v_and_b32_e32 v112, v112, v13
	v_cmp_gt_u64_e32 vcc, v[112:113], v[102:103]
	v_cndmask_b32_e32 v99, v99, v114, vcc
	v_cndmask_b32_e32 v98, v115, v98, vcc
	v_cmp_ge_u32_e32 vcc, v98, v99
	s_or_b64 s[26:27], vcc, s[26:27]
	s_andn2_b64 exec, exec, s[26:27]
	s_cbranch_execnz .LBB728_96
; %bb.97:
	s_or_b64 exec, exec, s[26:27]
.LBB728_98:
	s_or_b64 exec, exec, s[22:23]
	v_add_u32_e32 v97, v86, v97
	v_add_u32_e32 v96, v98, v96
	v_sub_u32_e32 v97, v97, v98
	v_cmp_le_u32_e32 vcc, v96, v86
	v_cmp_le_u32_e64 s[22:23], v97, v87
	s_or_b64 s[22:23], vcc, s[22:23]
	s_and_saveexec_b64 s[42:43], s[22:23]
	s_cbranch_execz .LBB728_104
; %bb.99:
	v_cmp_lt_u32_e32 vcc, v96, v86
                                        ; implicit-def: $vgpr4_vgpr5
	s_and_saveexec_b64 s[22:23], vcc
; %bb.100:
	v_lshl_add_u32 v0, v96, 3, v11
	ds_read_b64 v[4:5], v0
; %bb.101:
	s_or_b64 exec, exec, s[22:23]
	v_cmp_ge_u32_e64 s[22:23], v97, v87
	v_cmp_lt_u32_e64 s[26:27], v97, v87
                                        ; implicit-def: $vgpr8_vgpr9
	s_and_saveexec_b64 s[28:29], s[26:27]
; %bb.102:
	v_lshl_add_u32 v0, v97, 3, v11
	ds_read_b64 v[8:9], v0
; %bb.103:
	s_or_b64 exec, exec, s[28:29]
	s_waitcnt lgkmcnt(0)
	v_and_b32_e32 v1, v9, v69
	v_and_b32_e32 v0, v8, v13
	;; [unrolled: 1-line block ×4, first 2 shown]
	v_cmp_le_u64_e64 s[26:27], v[0:1], v[16:17]
	s_and_b64 s[26:27], vcc, s[26:27]
	s_or_b64 vcc, s[22:23], s[26:27]
	v_cndmask_b32_e32 v18, v97, v96, vcc
	v_cndmask_b32_e32 v0, v87, v86, vcc
	v_add_u32_e32 v19, 1, v18
	v_add_u32_e32 v0, -1, v0
	v_min_u32_e32 v0, v19, v0
	v_lshl_add_u32 v0, v0, 3, v11
	ds_read_b64 v[16:17], v0
	v_cndmask_b32_e32 v1, v9, v5, vcc
	v_cndmask_b32_e32 v0, v8, v4, vcc
	;; [unrolled: 1-line block ×4, first 2 shown]
	s_waitcnt lgkmcnt(0)
	v_cndmask_b32_e32 v20, v17, v9, vcc
	v_cndmask_b32_e32 v21, v16, v8, vcc
	;; [unrolled: 1-line block ×4, first 2 shown]
	v_and_b32_e32 v5, v20, v69
	v_and_b32_e32 v4, v21, v13
	;; [unrolled: 1-line block ×4, first 2 shown]
	v_cmp_le_u64_e64 s[22:23], v[4:5], v[8:9]
	v_cmp_lt_u32_e64 s[26:27], v19, v86
	v_cmp_ge_u32_e32 vcc, v24, v87
	s_and_b64 s[22:23], s[26:27], s[22:23]
	s_or_b64 vcc, vcc, s[22:23]
	v_cndmask_b32_e32 v25, v24, v19, vcc
	v_cndmask_b32_e32 v4, v87, v86, vcc
	v_add_u32_e32 v26, 1, v25
	v_add_u32_e32 v4, -1, v4
	v_min_u32_e32 v4, v26, v4
	v_lshl_add_u32 v4, v4, 3, v11
	ds_read_b64 v[16:17], v4
	v_cndmask_b32_e32 v9, v20, v22, vcc
	v_cndmask_b32_e32 v8, v21, v23, vcc
	v_lshl_add_u32 v4, v18, 3, v10
	v_cndmask_b32_e32 v24, v26, v24, vcc
	s_waitcnt lgkmcnt(0)
	v_cndmask_b32_e32 v27, v17, v20, vcc
	v_cndmask_b32_e32 v28, v16, v21, vcc
	;; [unrolled: 1-line block ×5, first 2 shown]
	v_and_b32_e32 v17, v27, v69
	v_and_b32_e32 v16, v28, v13
	;; [unrolled: 1-line block ×4, first 2 shown]
	v_cmp_le_u64_e64 s[22:23], v[16:17], v[18:19]
	v_cmp_lt_u32_e64 s[26:27], v26, v86
	v_cmp_ge_u32_e32 vcc, v24, v87
	s_and_b64 s[22:23], s[26:27], s[22:23]
	s_or_b64 vcc, vcc, s[22:23]
	v_cndmask_b32_e32 v29, v24, v26, vcc
	v_cndmask_b32_e32 v16, v87, v86, vcc
	v_add_u32_e32 v32, 1, v29
	v_add_u32_e32 v16, -1, v16
	v_min_u32_e32 v16, v32, v16
	v_lshl_add_u32 v16, v16, 3, v11
	ds_read_b64 v[18:19], v16
	v_lshl_add_u32 v16, v25, 3, v10
	ds_read_b64 v[20:21], v16
	v_cndmask_b32_e32 v16, v28, v23, vcc
	v_cndmask_b32_e32 v17, v27, v22, vcc
	s_waitcnt lgkmcnt(1)
	v_cndmask_b32_e32 v25, v19, v27, vcc
	v_cndmask_b32_e32 v28, v18, v28, vcc
	;; [unrolled: 1-line block ×4, first 2 shown]
	v_and_b32_e32 v19, v25, v69
	v_and_b32_e32 v18, v28, v13
	;; [unrolled: 1-line block ×4, first 2 shown]
	v_cndmask_b32_e32 v24, v32, v24, vcc
	v_cndmask_b32_e32 v32, v26, v32, vcc
	v_cmp_le_u64_e64 s[22:23], v[18:19], v[22:23]
	v_cmp_lt_u32_e64 s[26:27], v32, v86
	v_cmp_ge_u32_e32 vcc, v24, v87
	s_and_b64 s[22:23], s[26:27], s[22:23]
	s_or_b64 vcc, vcc, s[22:23]
	v_cndmask_b32_e32 v35, v24, v32, vcc
	v_cndmask_b32_e32 v18, v87, v86, vcc
	v_add_u32_e32 v36, 1, v35
	v_add_u32_e32 v18, -1, v18
	v_min_u32_e32 v18, v36, v18
	v_lshl_add_u32 v18, v18, 3, v11
	ds_read_b64 v[18:19], v18
	v_cndmask_b32_e32 v26, v28, v34, vcc
	v_cndmask_b32_e32 v27, v25, v33, vcc
	;; [unrolled: 1-line block ×4, first 2 shown]
	s_waitcnt lgkmcnt(0)
	v_cndmask_b32_e32 v37, v19, v25, vcc
	v_cndmask_b32_e32 v38, v18, v28, vcc
	v_cndmask_b32_e32 v39, v33, v19, vcc
	v_cndmask_b32_e32 v34, v34, v18, vcc
	v_and_b32_e32 v19, v37, v69
	v_and_b32_e32 v18, v38, v13
	v_and_b32_e32 v25, v39, v69
	v_and_b32_e32 v24, v34, v13
	v_cmp_le_u64_e64 s[22:23], v[18:19], v[24:25]
	v_cmp_lt_u32_e64 s[26:27], v36, v86
	v_cmp_ge_u32_e32 vcc, v48, v87
	s_and_b64 s[22:23], s[26:27], s[22:23]
	s_or_b64 vcc, vcc, s[22:23]
	v_cndmask_b32_e32 v49, v48, v36, vcc
	v_cndmask_b32_e32 v18, v87, v86, vcc
	v_add_u32_e32 v24, 1, v49
	v_add_u32_e32 v18, -1, v18
	v_min_u32_e32 v18, v24, v18
	v_lshl_add_u32 v18, v18, 3, v11
	ds_read_b64 v[18:19], v18
	v_lshl_add_u32 v22, v29, 3, v10
	v_lshl_add_u32 v25, v35, 3, v10
	v_cndmask_b32_e32 v29, v37, v39, vcc
	v_cndmask_b32_e32 v28, v38, v34, vcc
	s_waitcnt lgkmcnt(0)
	v_cndmask_b32_e32 v35, v19, v37, vcc
	v_cndmask_b32_e32 v38, v18, v38, vcc
	;; [unrolled: 1-line block ×4, first 2 shown]
	ds_read_b64 v[32:33], v25
	v_cndmask_b32_e32 v48, v24, v48, vcc
	v_cndmask_b32_e32 v50, v36, v24, vcc
	v_and_b32_e32 v19, v35, v69
	v_and_b32_e32 v18, v38, v13
	;; [unrolled: 1-line block ×4, first 2 shown]
	v_cmp_le_u64_e64 s[22:23], v[18:19], v[24:25]
	v_cmp_lt_u32_e64 s[26:27], v50, v86
	v_cmp_ge_u32_e32 vcc, v48, v87
	s_and_b64 s[22:23], s[26:27], s[22:23]
	s_or_b64 vcc, vcc, s[22:23]
	v_cndmask_b32_e32 v51, v48, v50, vcc
	v_cndmask_b32_e32 v18, v87, v86, vcc
	v_add_u32_e32 v96, 1, v51
	v_add_u32_e32 v18, -1, v18
	v_min_u32_e32 v18, v96, v18
	v_lshl_add_u32 v18, v18, 3, v11
	ds_read_b64 v[18:19], v18
	v_lshl_add_u32 v24, v49, 3, v10
	ds_read_b64 v[36:37], v24
	v_cndmask_b32_e32 v25, v35, v39, vcc
	v_cndmask_b32_e32 v24, v38, v34, vcc
	s_waitcnt lgkmcnt(1)
	v_cndmask_b32_e32 v97, v19, v35, vcc
	v_cndmask_b32_e32 v98, v18, v38, vcc
	;; [unrolled: 1-line block ×4, first 2 shown]
	v_and_b32_e32 v19, v97, v69
	v_and_b32_e32 v18, v98, v13
	;; [unrolled: 1-line block ×4, first 2 shown]
	v_cndmask_b32_e32 v39, v50, v96, vcc
	v_cmp_le_u64_e64 s[22:23], v[18:19], v[34:35]
	v_cndmask_b32_e32 v38, v96, v48, vcc
	v_cmp_lt_u32_e64 s[26:27], v39, v86
	v_cmp_ge_u32_e32 vcc, v38, v87
	s_and_b64 s[22:23], s[26:27], s[22:23]
	s_or_b64 vcc, vcc, s[22:23]
	v_cndmask_b32_e32 v34, v38, v39, vcc
	v_cndmask_b32_e32 v18, v87, v86, vcc
	v_add_u32_e32 v50, 1, v34
	v_add_u32_e32 v18, -1, v18
	v_min_u32_e32 v18, v50, v18
	v_lshl_add_u32 v18, v18, 3, v11
	ds_read_b64 v[18:19], v18
	v_lshl_add_u32 v35, v51, 3, v10
	v_cndmask_b32_e32 v51, v50, v38, vcc
	v_cndmask_b32_e32 v50, v39, v50, vcc
	v_cmp_lt_u32_e64 s[28:29], v50, v86
	s_waitcnt lgkmcnt(0)
	v_cndmask_b32_e32 v96, v19, v97, vcc
	v_cndmask_b32_e32 v101, v18, v98, vcc
	v_cndmask_b32_e32 v102, v99, v19, vcc
	v_cndmask_b32_e32 v103, v100, v18, vcc
	v_and_b32_e32 v19, v96, v69
	v_and_b32_e32 v18, v101, v13
	;; [unrolled: 1-line block ×4, first 2 shown]
	v_cmp_le_u64_e64 s[26:27], v[18:19], v[38:39]
	v_cmp_ge_u32_e64 s[22:23], v51, v87
	s_and_b64 s[26:27], s[28:29], s[26:27]
	s_or_b64 s[22:23], s[22:23], s[26:27]
	v_cndmask_b32_e64 v18, v51, v50, s[22:23]
	v_lshl_add_u32 v34, v34, 3, v10
	v_lshl_add_u32 v18, v18, 3, v10
	ds_read_b64 v[4:5], v4
	ds_read_b64 v[22:23], v22
	;; [unrolled: 1-line block ×5, first 2 shown]
	v_cndmask_b32_e32 v51, v97, v99, vcc
	v_cndmask_b32_e32 v50, v98, v100, vcc
	v_cndmask_b32_e64 v19, v96, v102, s[22:23]
	v_cndmask_b32_e64 v18, v101, v103, s[22:23]
.LBB728_104:
	s_or_b64 exec, exec, s[42:43]
	; wave barrier
	ds_write_b64 v12, v[0:1]
	s_waitcnt lgkmcnt(5)
	ds_write_b64 v31, v[4:5]
	ds_write_b64 v52, v[8:9]
	;; [unrolled: 1-line block ×4, first 2 shown]
	s_waitcnt lgkmcnt(8)
	ds_write_b64 v55, v[22:23]
	ds_write_b64 v64, v[26:27]
	;; [unrolled: 1-line block ×6, first 2 shown]
	s_waitcnt lgkmcnt(13)
	ds_write_b64 v81, v[48:49]
	ds_write_b64 v82, v[50:51]
	s_waitcnt lgkmcnt(14)
	ds_write_b64 v83, v[34:35]
	ds_write_b64 v84, v[18:19]
	s_waitcnt lgkmcnt(14)
	ds_write_b64 v85, v[38:39]
	v_and_b32_e32 v52, 0x3c0, v67
	v_or_b32_e32 v12, 32, v52
	v_min_u32_e32 v12, v30, v12
	v_add_u32_e32 v31, 32, v12
	v_min_u32_e32 v31, v30, v31
	v_min_u32_e32 v53, v30, v68
	v_sub_u32_e32 v30, v12, v52
	v_sub_u32_e32 v54, v31, v12
	v_sub_u32_e64 v54, v53, v54 clamp
	v_min_u32_e32 v30, v53, v30
	v_cmp_lt_u32_e32 vcc, v54, v30
	; wave barrier
	s_and_saveexec_b64 s[22:23], vcc
	s_cbranch_execz .LBB728_108
; %bb.105:
	v_lshlrev_b32_e32 v55, 3, v52
	v_lshlrev_b32_e32 v64, 3, v12
	v_add_co_u32_e32 v55, vcc, v11, v55
	v_add_co_u32_e32 v64, vcc, v11, v64
	s_mov_b64 s[26:27], 0
.LBB728_106:                            ; =>This Inner Loop Header: Depth=1
	v_add_u32_e32 v65, v30, v54
	v_lshrrev_b32_e32 v65, 1, v65
	v_xad_u32 v70, v65, -1, v53
	v_lshl_add_u32 v67, v65, 3, v55
	v_lshl_add_u32 v70, v70, 3, v64
	ds_read_b64 v[67:68], v67
	ds_read_b64 v[70:71], v70
	v_add_u32_e32 v80, 1, v65
	s_waitcnt lgkmcnt(1)
	v_and_b32_e32 v68, v68, v69
	v_and_b32_e32 v67, v67, v13
	s_waitcnt lgkmcnt(0)
	v_and_b32_e32 v71, v71, v69
	v_and_b32_e32 v70, v70, v13
	v_cmp_gt_u64_e32 vcc, v[70:71], v[67:68]
	v_cndmask_b32_e32 v30, v30, v65, vcc
	v_cndmask_b32_e32 v54, v80, v54, vcc
	v_cmp_ge_u32_e32 vcc, v54, v30
	s_or_b64 s[26:27], vcc, s[26:27]
	s_andn2_b64 exec, exec, s[26:27]
	s_cbranch_execnz .LBB728_106
; %bb.107:
	s_or_b64 exec, exec, s[26:27]
.LBB728_108:
	s_or_b64 exec, exec, s[22:23]
	v_add_u32_e32 v30, v54, v52
	v_add_u32_e32 v52, v12, v53
	v_sub_u32_e32 v52, v52, v54
	v_cmp_le_u32_e32 vcc, v30, v12
	v_cmp_le_u32_e64 s[22:23], v52, v31
	s_or_b64 s[22:23], vcc, s[22:23]
	s_and_saveexec_b64 s[42:43], s[22:23]
	s_cbranch_execz .LBB728_114
; %bb.109:
	v_cmp_lt_u32_e32 vcc, v30, v12
                                        ; implicit-def: $vgpr4_vgpr5
	s_and_saveexec_b64 s[22:23], vcc
; %bb.110:
	v_lshl_add_u32 v0, v30, 3, v11
	ds_read_b64 v[4:5], v0
; %bb.111:
	s_or_b64 exec, exec, s[22:23]
	v_cmp_ge_u32_e64 s[22:23], v52, v31
	v_cmp_lt_u32_e64 s[26:27], v52, v31
                                        ; implicit-def: $vgpr8_vgpr9
	s_and_saveexec_b64 s[28:29], s[26:27]
; %bb.112:
	v_lshl_add_u32 v0, v52, 3, v11
	ds_read_b64 v[8:9], v0
; %bb.113:
	s_or_b64 exec, exec, s[28:29]
	s_waitcnt lgkmcnt(0)
	v_and_b32_e32 v1, v9, v69
	v_and_b32_e32 v0, v8, v13
	;; [unrolled: 1-line block ×4, first 2 shown]
	v_cmp_le_u64_e64 s[26:27], v[0:1], v[16:17]
	s_and_b64 s[26:27], vcc, s[26:27]
	s_or_b64 vcc, s[22:23], s[26:27]
	v_cndmask_b32_e32 v18, v52, v30, vcc
	v_cndmask_b32_e32 v0, v31, v12, vcc
	v_add_u32_e32 v19, 1, v18
	v_add_u32_e32 v0, -1, v0
	v_min_u32_e32 v0, v19, v0
	v_lshl_add_u32 v0, v0, 3, v11
	ds_read_b64 v[16:17], v0
	v_cndmask_b32_e32 v1, v9, v5, vcc
	v_cndmask_b32_e32 v0, v8, v4, vcc
	;; [unrolled: 1-line block ×4, first 2 shown]
	s_waitcnt lgkmcnt(0)
	v_cndmask_b32_e32 v20, v17, v9, vcc
	v_cndmask_b32_e32 v21, v16, v8, vcc
	;; [unrolled: 1-line block ×4, first 2 shown]
	v_and_b32_e32 v5, v20, v69
	v_and_b32_e32 v4, v21, v13
	;; [unrolled: 1-line block ×4, first 2 shown]
	v_cmp_le_u64_e64 s[22:23], v[4:5], v[8:9]
	v_cmp_lt_u32_e64 s[26:27], v19, v12
	v_cmp_ge_u32_e32 vcc, v24, v31
	s_and_b64 s[22:23], s[26:27], s[22:23]
	s_or_b64 vcc, vcc, s[22:23]
	v_cndmask_b32_e32 v25, v24, v19, vcc
	v_cndmask_b32_e32 v4, v31, v12, vcc
	v_add_u32_e32 v26, 1, v25
	v_add_u32_e32 v4, -1, v4
	v_min_u32_e32 v4, v26, v4
	v_lshl_add_u32 v4, v4, 3, v11
	ds_read_b64 v[16:17], v4
	v_cndmask_b32_e32 v9, v20, v22, vcc
	v_cndmask_b32_e32 v8, v21, v23, vcc
	v_lshl_add_u32 v4, v18, 3, v10
	v_cndmask_b32_e32 v24, v26, v24, vcc
	s_waitcnt lgkmcnt(0)
	v_cndmask_b32_e32 v27, v17, v20, vcc
	v_cndmask_b32_e32 v28, v16, v21, vcc
	;; [unrolled: 1-line block ×5, first 2 shown]
	v_and_b32_e32 v17, v27, v69
	v_and_b32_e32 v16, v28, v13
	;; [unrolled: 1-line block ×4, first 2 shown]
	v_cmp_le_u64_e64 s[22:23], v[16:17], v[18:19]
	v_cmp_lt_u32_e64 s[26:27], v26, v12
	v_cmp_ge_u32_e32 vcc, v24, v31
	s_and_b64 s[22:23], s[26:27], s[22:23]
	s_or_b64 vcc, vcc, s[22:23]
	v_cndmask_b32_e32 v29, v24, v26, vcc
	v_cndmask_b32_e32 v16, v31, v12, vcc
	v_add_u32_e32 v30, 1, v29
	v_add_u32_e32 v16, -1, v16
	v_min_u32_e32 v16, v30, v16
	v_lshl_add_u32 v16, v16, 3, v11
	ds_read_b64 v[18:19], v16
	v_lshl_add_u32 v16, v25, 3, v10
	ds_read_b64 v[20:21], v16
	v_cndmask_b32_e32 v16, v28, v23, vcc
	v_cndmask_b32_e32 v17, v27, v22, vcc
	s_waitcnt lgkmcnt(1)
	v_cndmask_b32_e32 v25, v19, v27, vcc
	v_cndmask_b32_e32 v28, v18, v28, vcc
	v_cndmask_b32_e32 v32, v22, v19, vcc
	v_cndmask_b32_e32 v33, v23, v18, vcc
	v_and_b32_e32 v19, v25, v69
	v_and_b32_e32 v18, v28, v13
	;; [unrolled: 1-line block ×4, first 2 shown]
	v_cndmask_b32_e32 v24, v30, v24, vcc
	v_cndmask_b32_e32 v30, v26, v30, vcc
	v_cmp_le_u64_e64 s[22:23], v[18:19], v[22:23]
	v_cmp_lt_u32_e64 s[26:27], v30, v12
	v_cmp_ge_u32_e32 vcc, v24, v31
	s_and_b64 s[22:23], s[26:27], s[22:23]
	s_or_b64 vcc, vcc, s[22:23]
	v_cndmask_b32_e32 v34, v24, v30, vcc
	v_cndmask_b32_e32 v18, v31, v12, vcc
	v_add_u32_e32 v35, 1, v34
	v_add_u32_e32 v18, -1, v18
	v_min_u32_e32 v18, v35, v18
	v_lshl_add_u32 v18, v18, 3, v11
	ds_read_b64 v[18:19], v18
	v_cndmask_b32_e32 v27, v25, v32, vcc
	v_cndmask_b32_e32 v48, v35, v24, vcc
	;; [unrolled: 1-line block ×3, first 2 shown]
	v_cmp_lt_u32_e64 s[26:27], v30, v12
	s_waitcnt lgkmcnt(0)
	v_cndmask_b32_e32 v36, v19, v25, vcc
	v_cndmask_b32_e32 v37, v18, v28, vcc
	;; [unrolled: 1-line block ×4, first 2 shown]
	v_and_b32_e32 v19, v36, v69
	v_and_b32_e32 v18, v37, v13
	;; [unrolled: 1-line block ×4, first 2 shown]
	v_cmp_le_u64_e64 s[22:23], v[18:19], v[24:25]
	v_cndmask_b32_e32 v26, v28, v33, vcc
	v_cmp_ge_u32_e32 vcc, v48, v31
	s_and_b64 s[22:23], s[26:27], s[22:23]
	s_or_b64 vcc, vcc, s[22:23]
	v_cndmask_b32_e32 v35, v48, v30, vcc
	v_cndmask_b32_e32 v18, v31, v12, vcc
	v_add_u32_e32 v24, 1, v35
	v_add_u32_e32 v18, -1, v18
	v_min_u32_e32 v18, v24, v18
	v_lshl_add_u32 v18, v18, 3, v11
	ds_read_b64 v[18:19], v18
	v_lshl_add_u32 v22, v29, 3, v10
	v_lshl_add_u32 v25, v34, 3, v10
	v_cndmask_b32_e32 v29, v36, v38, vcc
	v_cndmask_b32_e32 v28, v37, v39, vcc
	s_waitcnt lgkmcnt(0)
	v_cndmask_b32_e32 v34, v19, v36, vcc
	v_cndmask_b32_e32 v49, v18, v37, vcc
	;; [unrolled: 1-line block ×4, first 2 shown]
	ds_read_b64 v[32:33], v25
	v_cndmask_b32_e32 v48, v24, v48, vcc
	v_cndmask_b32_e32 v30, v30, v24, vcc
	v_and_b32_e32 v19, v34, v69
	v_and_b32_e32 v18, v49, v13
	;; [unrolled: 1-line block ×4, first 2 shown]
	v_cmp_le_u64_e64 s[22:23], v[18:19], v[24:25]
	v_cmp_lt_u32_e64 s[26:27], v30, v12
	v_cmp_ge_u32_e32 vcc, v48, v31
	s_and_b64 s[22:23], s[26:27], s[22:23]
	s_or_b64 vcc, vcc, s[22:23]
	v_cndmask_b32_e32 v50, v48, v30, vcc
	v_cndmask_b32_e32 v18, v31, v12, vcc
	v_add_u32_e32 v51, 1, v50
	v_add_u32_e32 v18, -1, v18
	v_min_u32_e32 v18, v51, v18
	v_lshl_add_u32 v18, v18, 3, v11
	ds_read_b64 v[18:19], v18
	v_lshl_add_u32 v24, v35, 3, v10
	v_cndmask_b32_e32 v25, v34, v38, vcc
	v_cndmask_b32_e32 v30, v30, v51, vcc
	v_cmp_lt_u32_e64 s[26:27], v30, v12
	s_waitcnt lgkmcnt(0)
	v_cndmask_b32_e32 v52, v19, v34, vcc
	v_cndmask_b32_e32 v53, v18, v49, vcc
	;; [unrolled: 1-line block ×4, first 2 shown]
	v_and_b32_e32 v19, v52, v69
	v_and_b32_e32 v18, v53, v13
	;; [unrolled: 1-line block ×4, first 2 shown]
	v_cmp_le_u64_e64 s[22:23], v[18:19], v[34:35]
	v_cndmask_b32_e32 v38, v51, v48, vcc
	ds_read_b64 v[36:37], v24
	v_cndmask_b32_e32 v24, v49, v39, vcc
	v_cmp_ge_u32_e32 vcc, v38, v31
	s_and_b64 s[22:23], s[26:27], s[22:23]
	s_or_b64 vcc, vcc, s[22:23]
	v_cndmask_b32_e32 v34, v38, v30, vcc
	v_cndmask_b32_e32 v18, v31, v12, vcc
	v_add_u32_e32 v39, 1, v34
	v_add_u32_e32 v18, -1, v18
	v_min_u32_e32 v18, v39, v18
	v_lshl_add_u32 v11, v18, 3, v11
	ds_read_b64 v[18:19], v11
	v_lshl_add_u32 v11, v50, 3, v10
	ds_read_b64 v[48:49], v11
	v_lshl_add_u32 v11, v34, 3, v10
	ds_read_b64 v[34:35], v11
	s_waitcnt lgkmcnt(2)
	v_cndmask_b32_e32 v11, v19, v52, vcc
	v_cndmask_b32_e32 v64, v18, v53, vcc
	;; [unrolled: 1-line block ×6, first 2 shown]
	v_cmp_ge_u32_e64 s[22:23], v38, v31
	v_and_b32_e32 v19, v11, v69
	v_and_b32_e32 v18, v64, v13
	v_and_b32_e32 v31, v65, v69
	v_and_b32_e32 v30, v67, v13
	v_cmp_le_u64_e64 s[26:27], v[18:19], v[30:31]
	v_cmp_lt_u32_e64 s[28:29], v39, v12
	s_and_b64 s[26:27], s[28:29], s[26:27]
	s_or_b64 s[22:23], s[22:23], s[26:27]
	v_cndmask_b32_e64 v12, v38, v39, s[22:23]
	v_lshl_add_u32 v10, v12, 3, v10
	ds_read_b64 v[4:5], v4
	ds_read_b64 v[22:23], v22
	;; [unrolled: 1-line block ×3, first 2 shown]
	v_cndmask_b32_e32 v51, v52, v54, vcc
	v_cndmask_b32_e32 v50, v53, v55, vcc
	v_cndmask_b32_e64 v19, v11, v65, s[22:23]
	v_cndmask_b32_e64 v18, v64, v67, s[22:23]
.LBB728_114:
	s_or_b64 exec, exec, s[42:43]
	; wave barrier
	s_waitcnt lgkmcnt(0)
	s_barrier
                                        ; implicit-def: $vgpr67
                                        ; implicit-def: $vgpr12
                                        ; implicit-def: $vgpr68
                                        ; implicit-def: $vgpr31
                                        ; implicit-def: $vgpr13
                                        ; implicit-def: $vgpr30
.LBB728_115:
	s_andn2_saveexec_b64 s[26:27], s[40:41]
	s_cbranch_execz .LBB728_205
; %bb.116:
	s_load_dwordx2 s[22:23], s[8:9], 0x0
	v_mov_b32_e32 v10, 0
	s_waitcnt lgkmcnt(0)
	s_cmp_lt_u32 s13, s23
	s_cselect_b32 s13, 14, 20
	s_add_u32 s28, s8, s13
	s_addc_u32 s29, s9, 0
	s_cmp_lt_u32 s12, s22
	s_cselect_b32 s12, 12, 18
	s_add_u32 s8, s8, s12
	s_addc_u32 s9, s9, 0
	global_load_ushort v11, v10, s[28:29]
	global_load_ushort v52, v10, s[8:9]
	s_movk_i32 s8, 0x800
	s_waitcnt vmcnt(0)
	v_mad_u32_u24 v10, v30, v11, v13
	v_mul_lo_u32 v10, v10, v52
	v_and_b32_e32 v11, 0x3ff, v31
	v_add_lshl_u32 v13, v10, v11, 3
	v_cmp_gt_u32_e32 vcc, s8, v13
	s_and_saveexec_b64 s[8:9], vcc
	s_cbranch_execz .LBB728_174
; %bb.117:
	v_cmp_gt_i64_e32 vcc, v[8:9], v[0:1]
	v_mov_b32_e32 v11, v9
	v_mov_b32_e32 v31, v21
	v_mov_b32_e32 v10, v8
	v_mov_b32_e32 v30, v20
	s_and_saveexec_b64 s[12:13], vcc
; %bb.118:
	v_mov_b32_e32 v11, v1
	v_mov_b32_e32 v31, v5
	v_mov_b32_e32 v10, v0
	v_mov_b32_e32 v0, v8
	v_mov_b32_e32 v30, v4
	v_mov_b32_e32 v4, v20
	v_mov_b32_e32 v1, v9
	v_mov_b32_e32 v5, v21
; %bb.119:
	s_or_b64 exec, exec, s[12:13]
	v_cmp_gt_i64_e32 vcc, v[26:27], v[16:17]
	v_mov_b32_e32 v65, v27
	v_mov_b32_e32 v53, v33
	v_mov_b32_e32 v64, v26
	v_mov_b32_e32 v52, v32
	s_and_saveexec_b64 s[12:13], vcc
; %bb.120:
	v_mov_b32_e32 v65, v17
	v_mov_b32_e32 v53, v23
	v_mov_b32_e32 v64, v16
	v_mov_b32_e32 v16, v26
	v_mov_b32_e32 v52, v22
	v_mov_b32_e32 v22, v32
	v_mov_b32_e32 v17, v27
	v_mov_b32_e32 v23, v33
; %bb.121:
	s_or_b64 exec, exec, s[12:13]
	;; [unrolled: 17-line block ×4, first 2 shown]
	v_cmp_gt_i64_e32 vcc, v[16:17], v[10:11]
	v_mov_b32_e32 v27, v17
	v_mov_b32_e32 v33, v23
	v_mov_b32_e32 v26, v16
	v_mov_b32_e32 v32, v22
	s_and_saveexec_b64 s[12:13], vcc
	s_xor_b64 s[12:13], exec, s[12:13]
; %bb.126:
	v_mov_b32_e32 v27, v11
	v_mov_b32_e32 v33, v31
	v_mov_b32_e32 v26, v10
	v_mov_b32_e32 v10, v16
	v_mov_b32_e32 v32, v30
	v_mov_b32_e32 v31, v23
	v_mov_b32_e32 v11, v17
	v_mov_b32_e32 v30, v22
; %bb.127:
	s_or_b64 exec, exec, s[12:13]
	v_cmp_gt_i64_e32 vcc, v[54:55], v[64:65]
	v_mov_b32_e32 v48, v64
	v_mov_b32_e32 v39, v37
	v_mov_b32_e32 v49, v65
	v_mov_b32_e32 v38, v36
	s_and_saveexec_b64 s[12:13], vcc
; %bb.128:
	v_mov_b32_e32 v48, v54
	v_mov_b32_e32 v38, v52
	v_mov_b32_e32 v49, v55
	v_mov_b32_e32 v39, v53
	v_mov_b32_e32 v53, v37
	v_mov_b32_e32 v54, v64
	v_mov_b32_e32 v52, v36
	v_mov_b32_e32 v55, v65
; %bb.129:
	s_or_b64 exec, exec, s[12:13]
	v_cmp_gt_i64_e32 vcc, v[28:29], v[24:25]
	v_mov_b32_e32 v16, v34
	v_mov_b32_e32 v37, v25
	v_mov_b32_e32 v17, v35
	v_mov_b32_e32 v36, v24
	s_and_saveexec_b64 s[12:13], vcc
	;; [unrolled: 17-line block ×23, first 2 shown]
; %bb.172:
	v_mov_b32_e32 v51, v25
	v_mov_b32_e32 v49, v35
	;; [unrolled: 1-line block ×8, first 2 shown]
; %bb.173:
	s_or_b64 exec, exec, s[12:13]
.LBB728_174:
	s_or_b64 exec, exec, s[8:9]
	v_and_b32_e32 v10, 0xfffffe00, v13
	s_movk_i32 s8, 0x800
	v_sub_u32_e64 v13, s8, v10 clamp
	v_or_b32_e32 v31, 8, v67
	v_mov_b32_e32 v11, 0
	v_min_u32_e32 v84, v13, v31
	v_lshlrev_b64 v[10:11], 3, v[10:11]
	v_add_u32_e32 v31, 8, v84
	v_and_b32_e32 v86, 0x3f0, v67
	v_min_u32_e32 v85, v13, v31
	v_and_b32_e32 v31, 8, v67
	v_add_co_u32_e32 v11, vcc, v12, v10
	v_min_u32_e32 v87, v13, v31
	v_sub_u32_e32 v31, v84, v86
	v_sub_u32_e32 v52, v85, v84
	v_add_co_u32_e32 v10, vcc, 0x4000, v11
	v_lshlrev_b32_e32 v30, 3, v67
	v_sub_u32_e64 v96, v87, v52 clamp
	v_min_u32_e32 v31, v87, v31
	v_add_u32_e32 v12, v11, v30
	v_add_u32_e32 v30, v10, v30
	v_cmp_lt_u32_e32 vcc, v96, v31
	ds_write_b64 v12, v[0:1]
	ds_write_b64 v30, v[4:5]
	ds_write_b64 v12, v[8:9] offset:8
	ds_write_b64 v30, v[20:21] offset:8
	;; [unrolled: 1-line block ×14, first 2 shown]
	; wave barrier
	s_and_saveexec_b64 s[8:9], vcc
	s_cbranch_execz .LBB728_178
; %bb.175:
	v_lshlrev_b32_e32 v52, 3, v86
	v_lshlrev_b32_e32 v53, 3, v84
	v_add_co_u32_e32 v52, vcc, v11, v52
	v_add_co_u32_e32 v53, vcc, v11, v53
	s_mov_b64 s[12:13], 0
.LBB728_176:                            ; =>This Inner Loop Header: Depth=1
	v_add_u32_e32 v54, v31, v96
	v_lshrrev_b32_e32 v69, 1, v54
	v_xad_u32 v64, v69, -1, v87
	v_lshl_add_u32 v54, v69, 3, v52
	v_lshl_add_u32 v64, v64, 3, v53
	ds_read_b64 v[54:55], v54
	ds_read_b64 v[64:65], v64
	v_add_u32_e32 v70, 1, v69
	s_waitcnt lgkmcnt(0)
	v_cmp_gt_i64_e32 vcc, v[64:65], v[54:55]
	v_cndmask_b32_e32 v31, v31, v69, vcc
	v_cndmask_b32_e32 v96, v70, v96, vcc
	v_cmp_ge_u32_e32 vcc, v96, v31
	s_or_b64 s[12:13], vcc, s[12:13]
	s_andn2_b64 exec, exec, s[12:13]
	s_cbranch_execnz .LBB728_176
; %bb.177:
	s_or_b64 exec, exec, s[12:13]
.LBB728_178:
	s_or_b64 exec, exec, s[8:9]
	v_add_u32_e32 v87, v84, v87
	v_add_u32_e32 v86, v96, v86
	v_sub_u32_e32 v87, v87, v96
	v_cmp_le_u32_e32 vcc, v86, v84
	v_cmp_le_u32_e64 s[8:9], v87, v85
	v_add_u32_e32 v31, 8, v12
	v_add_u32_e32 v52, 8, v30
	;; [unrolled: 1-line block ×14, first 2 shown]
	s_or_b64 s[8:9], vcc, s[8:9]
	s_and_saveexec_b64 s[28:29], s[8:9]
	s_cbranch_execz .LBB728_184
; %bb.179:
	v_cmp_lt_u32_e32 vcc, v86, v84
                                        ; implicit-def: $vgpr4_vgpr5
	s_and_saveexec_b64 s[8:9], vcc
; %bb.180:
	v_lshl_add_u32 v0, v86, 3, v11
	ds_read_b64 v[4:5], v0
; %bb.181:
	s_or_b64 exec, exec, s[8:9]
	v_cmp_ge_u32_e64 s[8:9], v87, v85
	v_cmp_lt_u32_e64 s[12:13], v87, v85
                                        ; implicit-def: $vgpr8_vgpr9
	s_and_saveexec_b64 s[22:23], s[12:13]
; %bb.182:
	v_lshl_add_u32 v0, v87, 3, v11
	ds_read_b64 v[8:9], v0
; %bb.183:
	s_or_b64 exec, exec, s[22:23]
	s_waitcnt lgkmcnt(0)
	v_cmp_le_i64_e64 s[12:13], v[8:9], v[4:5]
	s_and_b64 s[12:13], vcc, s[12:13]
	s_or_b64 vcc, s[8:9], s[12:13]
	v_cndmask_b32_e32 v22, v87, v86, vcc
	v_cndmask_b32_e32 v0, v85, v84, vcc
	v_add_u32_e32 v20, 1, v22
	v_add_u32_e32 v0, -1, v0
	v_min_u32_e32 v0, v20, v0
	v_lshl_add_u32 v0, v0, 3, v11
	ds_read_b64 v[16:17], v0
	v_cndmask_b32_e32 v25, v86, v20, vcc
	v_cndmask_b32_e32 v24, v20, v87, vcc
	v_cmp_lt_u32_e64 s[12:13], v25, v84
	v_cndmask_b32_e32 v1, v9, v5, vcc
	s_waitcnt lgkmcnt(0)
	v_cndmask_b32_e32 v19, v17, v9, vcc
	v_cndmask_b32_e32 v18, v16, v8, vcc
	;; [unrolled: 1-line block ×4, first 2 shown]
	v_cmp_le_i64_e64 s[8:9], v[18:19], v[16:17]
	v_cndmask_b32_e32 v0, v8, v4, vcc
	v_cmp_ge_u32_e32 vcc, v24, v85
	s_and_b64 s[8:9], s[12:13], s[8:9]
	s_or_b64 vcc, vcc, s[8:9]
	v_cndmask_b32_e32 v26, v24, v25, vcc
	v_cndmask_b32_e32 v4, v85, v84, vcc
	v_add_u32_e32 v27, 1, v26
	v_add_u32_e32 v4, -1, v4
	v_min_u32_e32 v4, v27, v4
	v_lshl_add_u32 v4, v4, 3, v11
	ds_read_b64 v[20:21], v4
	v_lshl_add_u32 v4, v22, 3, v10
	v_cndmask_b32_e32 v9, v19, v17, vcc
	v_cndmask_b32_e32 v8, v18, v16, vcc
	v_cndmask_b32_e32 v28, v27, v24, vcc
	s_waitcnt lgkmcnt(0)
	v_cndmask_b32_e32 v19, v21, v19, vcc
	v_cndmask_b32_e32 v18, v20, v18, vcc
	v_cndmask_b32_e32 v23, v17, v21, vcc
	v_cndmask_b32_e32 v22, v16, v20, vcc
	v_cndmask_b32_e32 v27, v25, v27, vcc
	v_cmp_le_i64_e64 s[8:9], v[18:19], v[22:23]
	v_cmp_lt_u32_e64 s[12:13], v27, v84
	v_cmp_ge_u32_e32 vcc, v28, v85
	s_and_b64 s[8:9], s[12:13], s[8:9]
	s_or_b64 vcc, vcc, s[8:9]
	v_cndmask_b32_e32 v32, v28, v27, vcc
	v_cndmask_b32_e32 v16, v85, v84, vcc
	v_add_u32_e32 v29, 1, v32
	v_add_u32_e32 v16, -1, v16
	v_min_u32_e32 v16, v29, v16
	v_lshl_add_u32 v16, v16, 3, v11
	ds_read_b64 v[24:25], v16
	v_lshl_add_u32 v16, v26, 3, v10
	ds_read_b64 v[20:21], v16
	v_cndmask_b32_e32 v17, v19, v23, vcc
	v_cndmask_b32_e32 v16, v18, v22, vcc
	s_waitcnt lgkmcnt(1)
	v_cndmask_b32_e32 v19, v25, v19, vcc
	v_cndmask_b32_e32 v18, v24, v18, vcc
	;; [unrolled: 1-line block ×5, first 2 shown]
	v_cmp_le_i64_e64 s[8:9], v[18:19], v[24:25]
	v_cndmask_b32_e32 v33, v29, v28, vcc
	v_cmp_lt_u32_e64 s[12:13], v34, v84
	v_cmp_ge_u32_e32 vcc, v33, v85
	s_and_b64 s[8:9], s[12:13], s[8:9]
	s_or_b64 vcc, vcc, s[8:9]
	v_cndmask_b32_e32 v36, v33, v34, vcc
	v_cndmask_b32_e32 v22, v85, v84, vcc
	v_add_u32_e32 v35, 1, v36
	v_add_u32_e32 v22, -1, v22
	v_min_u32_e32 v22, v35, v22
	v_lshl_add_u32 v22, v22, 3, v11
	ds_read_b64 v[28:29], v22
	v_cndmask_b32_e32 v27, v19, v25, vcc
	v_cndmask_b32_e32 v26, v18, v24, vcc
	;; [unrolled: 1-line block ×4, first 2 shown]
	s_waitcnt lgkmcnt(0)
	v_cndmask_b32_e32 v19, v29, v19, vcc
	v_cndmask_b32_e32 v18, v28, v18, vcc
	;; [unrolled: 1-line block ×4, first 2 shown]
	v_cmp_le_i64_e64 s[8:9], v[18:19], v[24:25]
	v_cmp_lt_u32_e64 s[12:13], v38, v84
	v_cmp_ge_u32_e32 vcc, v37, v85
	s_and_b64 s[8:9], s[12:13], s[8:9]
	s_or_b64 vcc, vcc, s[8:9]
	v_cndmask_b32_e32 v48, v37, v38, vcc
	v_cndmask_b32_e32 v28, v85, v84, vcc
	v_add_u32_e32 v39, 1, v48
	v_add_u32_e32 v28, -1, v28
	v_min_u32_e32 v28, v39, v28
	v_lshl_add_u32 v28, v28, 3, v11
	ds_read_b64 v[34:35], v28
	v_lshl_add_u32 v28, v36, 3, v10
	v_lshl_add_u32 v22, v32, 3, v10
	ds_read_b64 v[32:33], v28
	v_cndmask_b32_e32 v29, v19, v25, vcc
	v_cndmask_b32_e32 v28, v18, v24, vcc
	s_waitcnt lgkmcnt(1)
	v_cndmask_b32_e32 v19, v35, v19, vcc
	v_cndmask_b32_e32 v18, v34, v18, vcc
	;; [unrolled: 1-line block ×5, first 2 shown]
	v_cmp_le_i64_e64 s[8:9], v[18:19], v[34:35]
	v_cndmask_b32_e32 v49, v39, v37, vcc
	v_cmp_lt_u32_e64 s[12:13], v86, v84
	v_cmp_ge_u32_e32 vcc, v49, v85
	s_and_b64 s[8:9], s[12:13], s[8:9]
	s_or_b64 vcc, vcc, s[8:9]
	v_cndmask_b32_e32 v87, v49, v86, vcc
	v_cndmask_b32_e32 v24, v85, v84, vcc
	v_add_u32_e32 v96, 1, v87
	v_add_u32_e32 v24, -1, v24
	v_min_u32_e32 v24, v96, v24
	v_lshl_add_u32 v24, v24, 3, v11
	ds_read_b64 v[38:39], v24
	v_lshl_add_u32 v24, v48, 3, v10
	ds_read_b64 v[36:37], v24
	v_cndmask_b32_e32 v25, v19, v35, vcc
	v_cndmask_b32_e32 v24, v18, v34, vcc
	s_waitcnt lgkmcnt(1)
	v_cndmask_b32_e32 v19, v39, v19, vcc
	v_cndmask_b32_e32 v18, v38, v18, vcc
	;; [unrolled: 1-line block ×5, first 2 shown]
	v_cmp_le_i64_e64 s[8:9], v[18:19], v[50:51]
	v_cndmask_b32_e32 v98, v96, v49, vcc
	v_cmp_lt_u32_e64 s[12:13], v99, v84
	v_cmp_ge_u32_e32 vcc, v98, v85
	s_and_b64 s[8:9], s[12:13], s[8:9]
	s_or_b64 vcc, vcc, s[8:9]
	v_cndmask_b32_e32 v34, v98, v99, vcc
	v_cndmask_b32_e32 v35, v85, v84, vcc
	v_add_u32_e32 v100, 1, v34
	v_add_u32_e32 v35, -1, v35
	v_min_u32_e32 v35, v100, v35
	v_lshl_add_u32 v35, v35, 3, v11
	ds_read_b64 v[38:39], v35
	v_lshl_add_u32 v35, v87, 3, v10
	v_lshl_add_u32 v34, v34, 3, v10
	ds_read_b64 v[4:5], v4
	ds_read_b64 v[22:23], v22
	s_waitcnt lgkmcnt(2)
	v_cndmask_b32_e32 v87, v39, v19, vcc
	v_cndmask_b32_e32 v86, v38, v18, vcc
	;; [unrolled: 1-line block ×5, first 2 shown]
	v_cmp_le_i64_e64 s[12:13], v[86:87], v[96:97]
	v_cndmask_b32_e32 v38, v100, v98, vcc
	v_cmp_lt_u32_e64 s[22:23], v39, v84
	v_cmp_ge_u32_e64 s[8:9], v38, v85
	s_and_b64 s[12:13], s[22:23], s[12:13]
	s_or_b64 s[8:9], s[8:9], s[12:13]
	v_cndmask_b32_e64 v38, v38, v39, s[8:9]
	v_lshl_add_u32 v38, v38, 3, v10
	ds_read_b64 v[48:49], v35
	ds_read_b64 v[34:35], v34
	;; [unrolled: 1-line block ×3, first 2 shown]
	v_cndmask_b32_e32 v51, v19, v51, vcc
	v_cndmask_b32_e32 v50, v18, v50, vcc
	v_cndmask_b32_e64 v19, v87, v97, s[8:9]
	v_cndmask_b32_e64 v18, v86, v96, s[8:9]
.LBB728_184:
	s_or_b64 exec, exec, s[28:29]
	v_and_b32_e32 v86, 0x3e0, v67
	v_or_b32_e32 v84, 16, v86
	v_min_u32_e32 v84, v13, v84
	v_add_u32_e32 v85, 16, v84
	v_min_u32_e32 v85, v13, v85
	v_and_b32_e32 v87, 24, v67
	v_min_u32_e32 v87, v13, v87
	v_sub_u32_e32 v97, v84, v86
	v_sub_u32_e32 v96, v85, v84
	v_sub_u32_e64 v96, v87, v96 clamp
	v_min_u32_e32 v97, v87, v97
	v_cmp_lt_u32_e32 vcc, v96, v97
	; wave barrier
	ds_write_b64 v12, v[0:1]
	s_waitcnt lgkmcnt(5)
	ds_write_b64 v30, v[4:5]
	ds_write_b64 v31, v[8:9]
	;; [unrolled: 1-line block ×4, first 2 shown]
	s_waitcnt lgkmcnt(8)
	ds_write_b64 v54, v[22:23]
	ds_write_b64 v55, v[26:27]
	;; [unrolled: 1-line block ×6, first 2 shown]
	s_waitcnt lgkmcnt(13)
	ds_write_b64 v71, v[48:49]
	ds_write_b64 v80, v[50:51]
	s_waitcnt lgkmcnt(14)
	ds_write_b64 v81, v[34:35]
	ds_write_b64 v82, v[18:19]
	s_waitcnt lgkmcnt(14)
	ds_write_b64 v83, v[38:39]
	; wave barrier
	s_and_saveexec_b64 s[8:9], vcc
	s_cbranch_execz .LBB728_188
; %bb.185:
	v_lshlrev_b32_e32 v98, 3, v86
	v_lshlrev_b32_e32 v99, 3, v84
	v_add_co_u32_e32 v98, vcc, v11, v98
	v_add_co_u32_e32 v99, vcc, v11, v99
	s_mov_b64 s[12:13], 0
.LBB728_186:                            ; =>This Inner Loop Header: Depth=1
	v_add_u32_e32 v100, v97, v96
	v_lshrrev_b32_e32 v112, 1, v100
	v_xad_u32 v102, v112, -1, v87
	v_lshl_add_u32 v100, v112, 3, v98
	v_lshl_add_u32 v102, v102, 3, v99
	ds_read_b64 v[100:101], v100
	ds_read_b64 v[102:103], v102
	v_add_u32_e32 v113, 1, v112
	s_waitcnt lgkmcnt(0)
	v_cmp_gt_i64_e32 vcc, v[102:103], v[100:101]
	v_cndmask_b32_e32 v97, v97, v112, vcc
	v_cndmask_b32_e32 v96, v113, v96, vcc
	v_cmp_ge_u32_e32 vcc, v96, v97
	s_or_b64 s[12:13], vcc, s[12:13]
	s_andn2_b64 exec, exec, s[12:13]
	s_cbranch_execnz .LBB728_186
; %bb.187:
	s_or_b64 exec, exec, s[12:13]
.LBB728_188:
	s_or_b64 exec, exec, s[8:9]
	v_add_u32_e32 v87, v84, v87
	v_add_u32_e32 v86, v96, v86
	v_sub_u32_e32 v87, v87, v96
	v_cmp_le_u32_e32 vcc, v86, v84
	v_cmp_le_u32_e64 s[8:9], v87, v85
	s_or_b64 s[8:9], vcc, s[8:9]
	s_and_saveexec_b64 s[28:29], s[8:9]
	s_cbranch_execz .LBB728_194
; %bb.189:
	v_cmp_lt_u32_e32 vcc, v86, v84
                                        ; implicit-def: $vgpr4_vgpr5
	s_and_saveexec_b64 s[8:9], vcc
; %bb.190:
	v_lshl_add_u32 v0, v86, 3, v11
	ds_read_b64 v[4:5], v0
; %bb.191:
	s_or_b64 exec, exec, s[8:9]
	v_cmp_ge_u32_e64 s[8:9], v87, v85
	v_cmp_lt_u32_e64 s[12:13], v87, v85
                                        ; implicit-def: $vgpr8_vgpr9
	s_and_saveexec_b64 s[22:23], s[12:13]
; %bb.192:
	v_lshl_add_u32 v0, v87, 3, v11
	ds_read_b64 v[8:9], v0
; %bb.193:
	s_or_b64 exec, exec, s[22:23]
	s_waitcnt lgkmcnt(0)
	v_cmp_le_i64_e64 s[12:13], v[8:9], v[4:5]
	s_and_b64 s[12:13], vcc, s[12:13]
	s_or_b64 vcc, s[8:9], s[12:13]
	v_cndmask_b32_e32 v22, v87, v86, vcc
	v_cndmask_b32_e32 v0, v85, v84, vcc
	v_add_u32_e32 v20, 1, v22
	v_add_u32_e32 v0, -1, v0
	v_min_u32_e32 v0, v20, v0
	v_lshl_add_u32 v0, v0, 3, v11
	ds_read_b64 v[16:17], v0
	v_cndmask_b32_e32 v25, v86, v20, vcc
	v_cndmask_b32_e32 v24, v20, v87, vcc
	v_cmp_lt_u32_e64 s[12:13], v25, v84
	v_cndmask_b32_e32 v1, v9, v5, vcc
	s_waitcnt lgkmcnt(0)
	v_cndmask_b32_e32 v19, v17, v9, vcc
	v_cndmask_b32_e32 v18, v16, v8, vcc
	;; [unrolled: 1-line block ×4, first 2 shown]
	v_cmp_le_i64_e64 s[8:9], v[18:19], v[16:17]
	v_cndmask_b32_e32 v0, v8, v4, vcc
	v_cmp_ge_u32_e32 vcc, v24, v85
	s_and_b64 s[8:9], s[12:13], s[8:9]
	s_or_b64 vcc, vcc, s[8:9]
	v_cndmask_b32_e32 v26, v24, v25, vcc
	v_cndmask_b32_e32 v4, v85, v84, vcc
	v_add_u32_e32 v27, 1, v26
	v_add_u32_e32 v4, -1, v4
	v_min_u32_e32 v4, v27, v4
	v_lshl_add_u32 v4, v4, 3, v11
	ds_read_b64 v[20:21], v4
	v_lshl_add_u32 v4, v22, 3, v10
	v_cndmask_b32_e32 v9, v19, v17, vcc
	v_cndmask_b32_e32 v8, v18, v16, vcc
	;; [unrolled: 1-line block ×3, first 2 shown]
	s_waitcnt lgkmcnt(0)
	v_cndmask_b32_e32 v19, v21, v19, vcc
	v_cndmask_b32_e32 v18, v20, v18, vcc
	;; [unrolled: 1-line block ×5, first 2 shown]
	v_cmp_le_i64_e64 s[8:9], v[18:19], v[22:23]
	v_cmp_lt_u32_e64 s[12:13], v27, v84
	v_cmp_ge_u32_e32 vcc, v28, v85
	s_and_b64 s[8:9], s[12:13], s[8:9]
	s_or_b64 vcc, vcc, s[8:9]
	v_cndmask_b32_e32 v32, v28, v27, vcc
	v_cndmask_b32_e32 v16, v85, v84, vcc
	v_add_u32_e32 v29, 1, v32
	v_add_u32_e32 v16, -1, v16
	v_min_u32_e32 v16, v29, v16
	v_lshl_add_u32 v16, v16, 3, v11
	ds_read_b64 v[24:25], v16
	v_lshl_add_u32 v16, v26, 3, v10
	ds_read_b64 v[20:21], v16
	v_cndmask_b32_e32 v17, v19, v23, vcc
	v_cndmask_b32_e32 v16, v18, v22, vcc
	s_waitcnt lgkmcnt(1)
	v_cndmask_b32_e32 v19, v25, v19, vcc
	v_cndmask_b32_e32 v18, v24, v18, vcc
	;; [unrolled: 1-line block ×5, first 2 shown]
	v_cmp_le_i64_e64 s[8:9], v[18:19], v[24:25]
	v_cndmask_b32_e32 v33, v29, v28, vcc
	v_cmp_lt_u32_e64 s[12:13], v34, v84
	v_cmp_ge_u32_e32 vcc, v33, v85
	s_and_b64 s[8:9], s[12:13], s[8:9]
	s_or_b64 vcc, vcc, s[8:9]
	v_cndmask_b32_e32 v36, v33, v34, vcc
	v_cndmask_b32_e32 v22, v85, v84, vcc
	v_add_u32_e32 v35, 1, v36
	v_add_u32_e32 v22, -1, v22
	v_min_u32_e32 v22, v35, v22
	v_lshl_add_u32 v22, v22, 3, v11
	ds_read_b64 v[28:29], v22
	v_cndmask_b32_e32 v27, v19, v25, vcc
	v_cndmask_b32_e32 v26, v18, v24, vcc
	v_cndmask_b32_e32 v38, v34, v35, vcc
	v_cndmask_b32_e32 v37, v35, v33, vcc
	s_waitcnt lgkmcnt(0)
	v_cndmask_b32_e32 v19, v29, v19, vcc
	v_cndmask_b32_e32 v18, v28, v18, vcc
	;; [unrolled: 1-line block ×4, first 2 shown]
	v_cmp_le_i64_e64 s[8:9], v[18:19], v[24:25]
	v_cmp_lt_u32_e64 s[12:13], v38, v84
	v_cmp_ge_u32_e32 vcc, v37, v85
	s_and_b64 s[8:9], s[12:13], s[8:9]
	s_or_b64 vcc, vcc, s[8:9]
	v_cndmask_b32_e32 v48, v37, v38, vcc
	v_cndmask_b32_e32 v28, v85, v84, vcc
	v_add_u32_e32 v39, 1, v48
	v_add_u32_e32 v28, -1, v28
	v_min_u32_e32 v28, v39, v28
	v_lshl_add_u32 v28, v28, 3, v11
	ds_read_b64 v[34:35], v28
	v_lshl_add_u32 v28, v36, 3, v10
	v_lshl_add_u32 v22, v32, 3, v10
	ds_read_b64 v[32:33], v28
	v_cndmask_b32_e32 v29, v19, v25, vcc
	v_cndmask_b32_e32 v28, v18, v24, vcc
	s_waitcnt lgkmcnt(1)
	v_cndmask_b32_e32 v19, v35, v19, vcc
	v_cndmask_b32_e32 v18, v34, v18, vcc
	;; [unrolled: 1-line block ×5, first 2 shown]
	v_cmp_le_i64_e64 s[8:9], v[18:19], v[34:35]
	v_cndmask_b32_e32 v49, v39, v37, vcc
	v_cmp_lt_u32_e64 s[12:13], v86, v84
	v_cmp_ge_u32_e32 vcc, v49, v85
	s_and_b64 s[8:9], s[12:13], s[8:9]
	s_or_b64 vcc, vcc, s[8:9]
	v_cndmask_b32_e32 v87, v49, v86, vcc
	v_cndmask_b32_e32 v24, v85, v84, vcc
	v_add_u32_e32 v96, 1, v87
	v_add_u32_e32 v24, -1, v24
	v_min_u32_e32 v24, v96, v24
	v_lshl_add_u32 v24, v24, 3, v11
	ds_read_b64 v[38:39], v24
	v_lshl_add_u32 v24, v48, 3, v10
	ds_read_b64 v[36:37], v24
	v_cndmask_b32_e32 v25, v19, v35, vcc
	v_cndmask_b32_e32 v24, v18, v34, vcc
	s_waitcnt lgkmcnt(1)
	v_cndmask_b32_e32 v19, v39, v19, vcc
	v_cndmask_b32_e32 v18, v38, v18, vcc
	;; [unrolled: 1-line block ×5, first 2 shown]
	v_cmp_le_i64_e64 s[8:9], v[18:19], v[50:51]
	v_cndmask_b32_e32 v98, v96, v49, vcc
	v_cmp_lt_u32_e64 s[12:13], v99, v84
	v_cmp_ge_u32_e32 vcc, v98, v85
	s_and_b64 s[8:9], s[12:13], s[8:9]
	s_or_b64 vcc, vcc, s[8:9]
	v_cndmask_b32_e32 v34, v98, v99, vcc
	v_cndmask_b32_e32 v35, v85, v84, vcc
	v_add_u32_e32 v100, 1, v34
	v_add_u32_e32 v35, -1, v35
	v_min_u32_e32 v35, v100, v35
	v_lshl_add_u32 v35, v35, 3, v11
	ds_read_b64 v[38:39], v35
	v_lshl_add_u32 v35, v87, 3, v10
	v_lshl_add_u32 v34, v34, 3, v10
	ds_read_b64 v[4:5], v4
	ds_read_b64 v[22:23], v22
	s_waitcnt lgkmcnt(2)
	v_cndmask_b32_e32 v87, v39, v19, vcc
	v_cndmask_b32_e32 v86, v38, v18, vcc
	;; [unrolled: 1-line block ×5, first 2 shown]
	v_cmp_le_i64_e64 s[12:13], v[86:87], v[96:97]
	v_cndmask_b32_e32 v38, v100, v98, vcc
	v_cmp_lt_u32_e64 s[22:23], v39, v84
	v_cmp_ge_u32_e64 s[8:9], v38, v85
	s_and_b64 s[12:13], s[22:23], s[12:13]
	s_or_b64 s[8:9], s[8:9], s[12:13]
	v_cndmask_b32_e64 v38, v38, v39, s[8:9]
	v_lshl_add_u32 v38, v38, 3, v10
	ds_read_b64 v[48:49], v35
	ds_read_b64 v[34:35], v34
	;; [unrolled: 1-line block ×3, first 2 shown]
	v_cndmask_b32_e32 v51, v19, v51, vcc
	v_cndmask_b32_e32 v50, v18, v50, vcc
	v_cndmask_b32_e64 v19, v87, v97, s[8:9]
	v_cndmask_b32_e64 v18, v86, v96, s[8:9]
.LBB728_194:
	s_or_b64 exec, exec, s[28:29]
	; wave barrier
	ds_write_b64 v12, v[0:1]
	s_waitcnt lgkmcnt(5)
	ds_write_b64 v30, v[4:5]
	ds_write_b64 v31, v[8:9]
	;; [unrolled: 1-line block ×4, first 2 shown]
	s_waitcnt lgkmcnt(8)
	ds_write_b64 v54, v[22:23]
	ds_write_b64 v55, v[26:27]
	;; [unrolled: 1-line block ×6, first 2 shown]
	s_waitcnt lgkmcnt(13)
	ds_write_b64 v71, v[48:49]
	ds_write_b64 v80, v[50:51]
	s_waitcnt lgkmcnt(14)
	ds_write_b64 v81, v[34:35]
	ds_write_b64 v82, v[18:19]
	s_waitcnt lgkmcnt(14)
	ds_write_b64 v83, v[38:39]
	v_and_b32_e32 v31, 0x3c0, v67
	v_or_b32_e32 v12, 32, v31
	v_min_u32_e32 v12, v13, v12
	v_add_u32_e32 v30, 32, v12
	v_min_u32_e32 v30, v13, v30
	v_min_u32_e32 v52, v13, v68
	v_sub_u32_e32 v13, v12, v31
	v_sub_u32_e32 v53, v30, v12
	v_sub_u32_e64 v53, v52, v53 clamp
	v_min_u32_e32 v13, v52, v13
	v_cmp_lt_u32_e32 vcc, v53, v13
	; wave barrier
	s_and_saveexec_b64 s[8:9], vcc
	s_cbranch_execz .LBB728_198
; %bb.195:
	v_lshlrev_b32_e32 v54, 3, v31
	v_lshlrev_b32_e32 v55, 3, v12
	v_add_co_u32_e32 v54, vcc, v11, v54
	v_add_co_u32_e32 v55, vcc, v11, v55
	s_mov_b64 s[12:13], 0
.LBB728_196:                            ; =>This Inner Loop Header: Depth=1
	v_add_u32_e32 v64, v13, v53
	v_lshrrev_b32_e32 v69, 1, v64
	v_xad_u32 v67, v69, -1, v52
	v_lshl_add_u32 v64, v69, 3, v54
	v_lshl_add_u32 v67, v67, 3, v55
	ds_read_b64 v[64:65], v64
	ds_read_b64 v[67:68], v67
	v_add_u32_e32 v70, 1, v69
	s_waitcnt lgkmcnt(0)
	v_cmp_gt_i64_e32 vcc, v[67:68], v[64:65]
	v_cndmask_b32_e32 v13, v13, v69, vcc
	v_cndmask_b32_e32 v53, v70, v53, vcc
	v_cmp_ge_u32_e32 vcc, v53, v13
	s_or_b64 s[12:13], vcc, s[12:13]
	s_andn2_b64 exec, exec, s[12:13]
	s_cbranch_execnz .LBB728_196
; %bb.197:
	s_or_b64 exec, exec, s[12:13]
.LBB728_198:
	s_or_b64 exec, exec, s[8:9]
	v_add_u32_e32 v13, v53, v31
	v_add_u32_e32 v31, v12, v52
	v_sub_u32_e32 v31, v31, v53
	v_cmp_le_u32_e32 vcc, v13, v12
	v_cmp_le_u32_e64 s[8:9], v31, v30
	s_or_b64 s[8:9], vcc, s[8:9]
	s_and_saveexec_b64 s[28:29], s[8:9]
	s_cbranch_execz .LBB728_204
; %bb.199:
	v_cmp_lt_u32_e32 vcc, v13, v12
                                        ; implicit-def: $vgpr4_vgpr5
	s_and_saveexec_b64 s[8:9], vcc
; %bb.200:
	v_lshl_add_u32 v0, v13, 3, v11
	ds_read_b64 v[4:5], v0
; %bb.201:
	s_or_b64 exec, exec, s[8:9]
	v_cmp_ge_u32_e64 s[8:9], v31, v30
	v_cmp_lt_u32_e64 s[12:13], v31, v30
                                        ; implicit-def: $vgpr8_vgpr9
	s_and_saveexec_b64 s[22:23], s[12:13]
; %bb.202:
	v_lshl_add_u32 v0, v31, 3, v11
	ds_read_b64 v[8:9], v0
; %bb.203:
	s_or_b64 exec, exec, s[22:23]
	s_waitcnt lgkmcnt(0)
	v_cmp_le_i64_e64 s[12:13], v[8:9], v[4:5]
	s_and_b64 s[12:13], vcc, s[12:13]
	s_or_b64 vcc, s[8:9], s[12:13]
	v_cndmask_b32_e32 v22, v31, v13, vcc
	v_cndmask_b32_e32 v0, v30, v12, vcc
	v_add_u32_e32 v20, 1, v22
	v_add_u32_e32 v0, -1, v0
	v_min_u32_e32 v0, v20, v0
	v_lshl_add_u32 v0, v0, 3, v11
	ds_read_b64 v[16:17], v0
	v_cndmask_b32_e32 v13, v13, v20, vcc
	v_cndmask_b32_e32 v24, v20, v31, vcc
	v_cmp_lt_u32_e64 s[12:13], v13, v12
	v_cndmask_b32_e32 v1, v9, v5, vcc
	s_waitcnt lgkmcnt(0)
	v_cndmask_b32_e32 v19, v17, v9, vcc
	v_cndmask_b32_e32 v18, v16, v8, vcc
	;; [unrolled: 1-line block ×4, first 2 shown]
	v_cmp_le_i64_e64 s[8:9], v[18:19], v[16:17]
	v_cndmask_b32_e32 v0, v8, v4, vcc
	v_cmp_ge_u32_e32 vcc, v24, v30
	s_and_b64 s[8:9], s[12:13], s[8:9]
	s_or_b64 vcc, vcc, s[8:9]
	v_cndmask_b32_e32 v26, v24, v13, vcc
	v_cndmask_b32_e32 v4, v30, v12, vcc
	v_add_u32_e32 v25, 1, v26
	v_add_u32_e32 v4, -1, v4
	v_min_u32_e32 v4, v25, v4
	v_lshl_add_u32 v4, v4, 3, v11
	ds_read_b64 v[20:21], v4
	v_lshl_add_u32 v4, v22, 3, v10
	v_cndmask_b32_e32 v9, v19, v17, vcc
	v_cndmask_b32_e32 v8, v18, v16, vcc
	;; [unrolled: 1-line block ×3, first 2 shown]
	s_waitcnt lgkmcnt(0)
	v_cndmask_b32_e32 v19, v21, v19, vcc
	v_cndmask_b32_e32 v18, v20, v18, vcc
	;; [unrolled: 1-line block ×4, first 2 shown]
	v_cmp_le_i64_e64 s[8:9], v[18:19], v[22:23]
	v_cndmask_b32_e32 v27, v25, v24, vcc
	v_cmp_lt_u32_e64 s[12:13], v13, v12
	v_cmp_ge_u32_e32 vcc, v27, v30
	s_and_b64 s[8:9], s[12:13], s[8:9]
	s_or_b64 vcc, vcc, s[8:9]
	v_cndmask_b32_e32 v31, v27, v13, vcc
	v_cndmask_b32_e32 v16, v30, v12, vcc
	v_add_u32_e32 v28, 1, v31
	v_add_u32_e32 v16, -1, v16
	v_min_u32_e32 v16, v28, v16
	v_lshl_add_u32 v16, v16, 3, v11
	ds_read_b64 v[24:25], v16
	v_lshl_add_u32 v16, v26, 3, v10
	ds_read_b64 v[20:21], v16
	v_cndmask_b32_e32 v17, v19, v23, vcc
	v_cndmask_b32_e32 v16, v18, v22, vcc
	s_waitcnt lgkmcnt(1)
	v_cndmask_b32_e32 v19, v25, v19, vcc
	v_cndmask_b32_e32 v18, v24, v18, vcc
	;; [unrolled: 1-line block ×5, first 2 shown]
	v_cmp_le_i64_e64 s[8:9], v[18:19], v[24:25]
	v_cndmask_b32_e32 v32, v28, v27, vcc
	v_cmp_lt_u32_e64 s[12:13], v13, v12
	v_cmp_ge_u32_e32 vcc, v32, v30
	s_and_b64 s[8:9], s[12:13], s[8:9]
	s_or_b64 vcc, vcc, s[8:9]
	v_cndmask_b32_e32 v33, v32, v13, vcc
	v_cndmask_b32_e32 v22, v30, v12, vcc
	v_add_u32_e32 v34, 1, v33
	v_add_u32_e32 v22, -1, v22
	v_min_u32_e32 v22, v34, v22
	v_lshl_add_u32 v22, v22, 3, v11
	ds_read_b64 v[28:29], v22
	v_cndmask_b32_e32 v27, v19, v25, vcc
	v_cndmask_b32_e32 v26, v18, v24, vcc
	;; [unrolled: 1-line block ×3, first 2 shown]
	v_lshl_add_u32 v22, v31, 3, v10
	s_waitcnt lgkmcnt(0)
	v_cndmask_b32_e32 v19, v29, v19, vcc
	v_cndmask_b32_e32 v18, v28, v18, vcc
	;; [unrolled: 1-line block ×4, first 2 shown]
	v_cmp_le_i64_e64 s[8:9], v[18:19], v[24:25]
	v_cndmask_b32_e32 v31, v34, v32, vcc
	v_cmp_lt_u32_e64 s[12:13], v13, v12
	v_cmp_ge_u32_e32 vcc, v31, v30
	s_and_b64 s[8:9], s[12:13], s[8:9]
	s_or_b64 vcc, vcc, s[8:9]
	v_cndmask_b32_e32 v36, v31, v13, vcc
	v_cndmask_b32_e32 v28, v30, v12, vcc
	v_add_u32_e32 v37, 1, v36
	v_add_u32_e32 v28, -1, v28
	v_min_u32_e32 v28, v37, v28
	v_lshl_add_u32 v28, v28, 3, v11
	ds_read_b64 v[34:35], v28
	v_lshl_add_u32 v28, v33, 3, v10
	ds_read_b64 v[32:33], v28
	v_cndmask_b32_e32 v29, v19, v25, vcc
	v_cndmask_b32_e32 v28, v18, v24, vcc
	s_waitcnt lgkmcnt(1)
	v_cndmask_b32_e32 v19, v35, v19, vcc
	v_cndmask_b32_e32 v18, v34, v18, vcc
	;; [unrolled: 1-line block ×5, first 2 shown]
	v_cmp_le_i64_e64 s[8:9], v[18:19], v[34:35]
	v_cndmask_b32_e32 v31, v37, v31, vcc
	v_cmp_lt_u32_e64 s[12:13], v13, v12
	v_cmp_ge_u32_e32 vcc, v31, v30
	s_and_b64 s[8:9], s[12:13], s[8:9]
	s_or_b64 vcc, vcc, s[8:9]
	v_cndmask_b32_e32 v48, v31, v13, vcc
	v_cndmask_b32_e32 v24, v30, v12, vcc
	v_add_u32_e32 v49, 1, v48
	v_add_u32_e32 v24, -1, v24
	v_min_u32_e32 v24, v49, v24
	v_lshl_add_u32 v24, v24, 3, v11
	ds_read_b64 v[38:39], v24
	v_lshl_add_u32 v24, v36, 3, v10
	ds_read_b64 v[36:37], v24
	v_cndmask_b32_e32 v25, v19, v35, vcc
	v_cndmask_b32_e32 v24, v18, v34, vcc
	s_waitcnt lgkmcnt(1)
	v_cndmask_b32_e32 v19, v39, v19, vcc
	v_cndmask_b32_e32 v18, v38, v18, vcc
	;; [unrolled: 1-line block ×5, first 2 shown]
	v_cmp_le_i64_e64 s[8:9], v[18:19], v[50:51]
	v_cndmask_b32_e32 v31, v49, v31, vcc
	v_cmp_lt_u32_e64 s[12:13], v13, v12
	v_cmp_ge_u32_e32 vcc, v31, v30
	s_and_b64 s[8:9], s[12:13], s[8:9]
	s_or_b64 vcc, vcc, s[8:9]
	v_cndmask_b32_e32 v34, v31, v13, vcc
	v_cndmask_b32_e32 v35, v30, v12, vcc
	v_add_u32_e32 v64, 1, v34
	v_add_u32_e32 v35, -1, v35
	v_min_u32_e32 v35, v64, v35
	v_lshl_add_u32 v11, v35, 3, v11
	ds_read_b64 v[38:39], v11
	v_lshl_add_u32 v11, v48, 3, v10
	ds_read_b64 v[48:49], v11
	v_lshl_add_u32 v11, v34, 3, v10
	v_cndmask_b32_e32 v13, v13, v64, vcc
	s_waitcnt lgkmcnt(1)
	v_cndmask_b32_e32 v53, v39, v19, vcc
	v_cndmask_b32_e32 v52, v38, v18, vcc
	;; [unrolled: 1-line block ×4, first 2 shown]
	v_cmp_le_i64_e64 s[12:13], v[52:53], v[54:55]
	ds_read_b64 v[34:35], v11
	v_cndmask_b32_e32 v11, v64, v31, vcc
	v_cmp_lt_u32_e64 s[22:23], v13, v12
	v_cmp_ge_u32_e64 s[8:9], v11, v30
	s_and_b64 s[12:13], s[22:23], s[12:13]
	s_or_b64 s[8:9], s[8:9], s[12:13]
	v_cndmask_b32_e64 v11, v11, v13, s[8:9]
	v_lshl_add_u32 v10, v11, 3, v10
	ds_read_b64 v[4:5], v4
	ds_read_b64 v[22:23], v22
	;; [unrolled: 1-line block ×3, first 2 shown]
	v_cndmask_b32_e32 v51, v19, v51, vcc
	v_cndmask_b32_e32 v50, v18, v50, vcc
	v_cndmask_b32_e64 v19, v53, v55, s[8:9]
	v_cndmask_b32_e64 v18, v52, v54, s[8:9]
.LBB728_204:
	s_or_b64 exec, exec, s[28:29]
	; wave barrier
	s_waitcnt lgkmcnt(0)
	s_barrier
.LBB728_205:
	s_or_b64 exec, exec, s[26:27]
	v_add_co_u32_e32 v2, vcc, v2, v14
	v_addc_co_u32_e32 v3, vcc, v3, v15, vcc
	v_add_co_u32_e32 v2, vcc, v2, v66
	v_addc_co_u32_e32 v3, vcc, 0, v3, vcc
	s_waitcnt lgkmcnt(0)
	; wave barrier
	s_and_saveexec_b64 s[8:9], s[4:5]
	s_cbranch_execnz .LBB728_230
; %bb.206:
	s_or_b64 exec, exec, s[8:9]
	s_and_saveexec_b64 s[8:9], s[6:7]
	s_cbranch_execnz .LBB728_231
.LBB728_207:
	s_or_b64 exec, exec, s[8:9]
	s_and_saveexec_b64 s[8:9], s[20:21]
	s_cbranch_execnz .LBB728_232
.LBB728_208:
	s_or_b64 exec, exec, s[8:9]
	s_and_saveexec_b64 s[8:9], s[10:11]
	s_cbranch_execnz .LBB728_233
.LBB728_209:
	s_or_b64 exec, exec, s[8:9]
	s_and_saveexec_b64 s[8:9], s[24:25]
	s_cbranch_execnz .LBB728_234
.LBB728_210:
	s_or_b64 exec, exec, s[8:9]
	s_and_saveexec_b64 s[8:9], s[14:15]
	s_cbranch_execnz .LBB728_235
.LBB728_211:
	s_or_b64 exec, exec, s[8:9]
	s_and_saveexec_b64 s[8:9], s[16:17]
	s_cbranch_execnz .LBB728_236
.LBB728_212:
	s_or_b64 exec, exec, s[8:9]
	s_and_saveexec_b64 s[8:9], s[18:19]
	s_cbranch_execz .LBB728_214
.LBB728_213:
	s_waitcnt vmcnt(0)
	flat_store_dwordx2 v[2:3], v[18:19] offset:56
.LBB728_214:
	s_or_b64 exec, exec, s[8:9]
	s_waitcnt vmcnt(0)
	v_add_co_u32_e32 v0, vcc, v6, v14
	v_addc_co_u32_e32 v1, vcc, v7, v15, vcc
	v_add_co_u32_e32 v0, vcc, v0, v66
	v_addc_co_u32_e32 v1, vcc, 0, v1, vcc
	; wave barrier
	s_and_saveexec_b64 s[8:9], s[4:5]
	s_cbranch_execnz .LBB728_237
; %bb.215:
	s_or_b64 exec, exec, s[8:9]
	s_and_saveexec_b64 s[4:5], s[6:7]
	s_cbranch_execnz .LBB728_238
.LBB728_216:
	s_or_b64 exec, exec, s[4:5]
	s_and_saveexec_b64 s[4:5], s[20:21]
	s_cbranch_execnz .LBB728_239
.LBB728_217:
	s_or_b64 exec, exec, s[4:5]
	s_and_saveexec_b64 s[4:5], s[10:11]
	s_cbranch_execnz .LBB728_240
.LBB728_218:
	s_or_b64 exec, exec, s[4:5]
	s_and_saveexec_b64 s[4:5], s[24:25]
	s_cbranch_execnz .LBB728_241
.LBB728_219:
	s_or_b64 exec, exec, s[4:5]
	s_and_saveexec_b64 s[4:5], s[14:15]
	s_cbranch_execnz .LBB728_242
.LBB728_220:
	s_or_b64 exec, exec, s[4:5]
	s_and_saveexec_b64 s[4:5], s[16:17]
	s_cbranch_execnz .LBB728_243
.LBB728_221:
	s_or_b64 exec, exec, s[4:5]
	s_and_saveexec_b64 s[4:5], s[18:19]
	s_cbranch_execnz .LBB728_244
.LBB728_222:
	s_or_b64 exec, exec, s[4:5]
	s_waitcnt vmcnt(0) lgkmcnt(0)
	s_setpc_b64 s[30:31]
.LBB728_223:
	flat_load_dwordx2 v[4:5], v[52:53]
	s_or_b64 exec, exec, s[22:23]
                                        ; implicit-def: $vgpr20_vgpr21
	s_and_saveexec_b64 s[22:23], s[6:7]
	s_cbranch_execz .LBB728_18
.LBB728_224:
	flat_load_dwordx2 v[20:21], v[52:53] offset:8
	s_or_b64 exec, exec, s[22:23]
                                        ; implicit-def: $vgpr22_vgpr23
	s_and_saveexec_b64 s[22:23], s[20:21]
	s_cbranch_execz .LBB728_19
.LBB728_225:
	flat_load_dwordx2 v[22:23], v[52:53] offset:16
	s_or_b64 exec, exec, s[22:23]
                                        ; implicit-def: $vgpr32_vgpr33
	s_and_saveexec_b64 s[22:23], s[10:11]
	s_cbranch_execz .LBB728_20
.LBB728_226:
	flat_load_dwordx2 v[32:33], v[52:53] offset:24
	s_or_b64 exec, exec, s[22:23]
                                        ; implicit-def: $vgpr36_vgpr37
	s_and_saveexec_b64 s[22:23], s[24:25]
	s_cbranch_execz .LBB728_21
.LBB728_227:
	flat_load_dwordx2 v[36:37], v[52:53] offset:32
	s_or_b64 exec, exec, s[22:23]
                                        ; implicit-def: $vgpr48_vgpr49
	s_and_saveexec_b64 s[22:23], s[14:15]
	s_cbranch_execz .LBB728_22
.LBB728_228:
	flat_load_dwordx2 v[48:49], v[52:53] offset:40
	s_or_b64 exec, exec, s[22:23]
                                        ; implicit-def: $vgpr34_vgpr35
	s_and_saveexec_b64 s[22:23], s[16:17]
	s_cbranch_execz .LBB728_23
.LBB728_229:
	flat_load_dwordx2 v[34:35], v[52:53] offset:48
	s_or_b64 exec, exec, s[22:23]
                                        ; implicit-def: $vgpr38_vgpr39
	s_and_saveexec_b64 s[22:23], s[18:19]
	s_cbranch_execnz .LBB728_24
	s_branch .LBB728_25
.LBB728_230:
	s_waitcnt vmcnt(0)
	flat_store_dwordx2 v[2:3], v[0:1]
	s_or_b64 exec, exec, s[8:9]
	s_and_saveexec_b64 s[8:9], s[6:7]
	s_cbranch_execz .LBB728_207
.LBB728_231:
	s_waitcnt vmcnt(0)
	flat_store_dwordx2 v[2:3], v[8:9] offset:8
	s_or_b64 exec, exec, s[8:9]
	s_and_saveexec_b64 s[8:9], s[20:21]
	s_cbranch_execz .LBB728_208
.LBB728_232:
	s_waitcnt vmcnt(0)
	flat_store_dwordx2 v[2:3], v[16:17] offset:16
	s_or_b64 exec, exec, s[8:9]
	s_and_saveexec_b64 s[8:9], s[10:11]
	s_cbranch_execz .LBB728_209
.LBB728_233:
	s_waitcnt vmcnt(0)
	flat_store_dwordx2 v[2:3], v[26:27] offset:24
	s_or_b64 exec, exec, s[8:9]
	s_and_saveexec_b64 s[8:9], s[24:25]
	s_cbranch_execz .LBB728_210
.LBB728_234:
	s_waitcnt vmcnt(0)
	flat_store_dwordx2 v[2:3], v[28:29] offset:32
	s_or_b64 exec, exec, s[8:9]
	s_and_saveexec_b64 s[8:9], s[14:15]
	s_cbranch_execz .LBB728_211
.LBB728_235:
	s_waitcnt vmcnt(0)
	flat_store_dwordx2 v[2:3], v[24:25] offset:40
	s_or_b64 exec, exec, s[8:9]
	s_and_saveexec_b64 s[8:9], s[16:17]
	s_cbranch_execz .LBB728_212
.LBB728_236:
	s_waitcnt vmcnt(0)
	flat_store_dwordx2 v[2:3], v[50:51] offset:48
	s_or_b64 exec, exec, s[8:9]
	s_and_saveexec_b64 s[8:9], s[18:19]
	s_cbranch_execnz .LBB728_213
	s_branch .LBB728_214
.LBB728_237:
	flat_store_dwordx2 v[0:1], v[4:5]
	s_or_b64 exec, exec, s[8:9]
	s_and_saveexec_b64 s[4:5], s[6:7]
	s_cbranch_execz .LBB728_216
.LBB728_238:
	flat_store_dwordx2 v[0:1], v[20:21] offset:8
	s_or_b64 exec, exec, s[4:5]
	s_and_saveexec_b64 s[4:5], s[20:21]
	s_cbranch_execz .LBB728_217
.LBB728_239:
	flat_store_dwordx2 v[0:1], v[22:23] offset:16
	s_or_b64 exec, exec, s[4:5]
	s_and_saveexec_b64 s[4:5], s[10:11]
	s_cbranch_execz .LBB728_218
.LBB728_240:
	flat_store_dwordx2 v[0:1], v[32:33] offset:24
	s_or_b64 exec, exec, s[4:5]
	s_and_saveexec_b64 s[4:5], s[24:25]
	s_cbranch_execz .LBB728_219
.LBB728_241:
	flat_store_dwordx2 v[0:1], v[36:37] offset:32
	s_or_b64 exec, exec, s[4:5]
	s_and_saveexec_b64 s[4:5], s[14:15]
	s_cbranch_execz .LBB728_220
.LBB728_242:
	flat_store_dwordx2 v[0:1], v[48:49] offset:40
	s_or_b64 exec, exec, s[4:5]
	s_and_saveexec_b64 s[4:5], s[16:17]
	s_cbranch_execz .LBB728_221
.LBB728_243:
	flat_store_dwordx2 v[0:1], v[34:35] offset:48
	s_or_b64 exec, exec, s[4:5]
	s_and_saveexec_b64 s[4:5], s[18:19]
	s_cbranch_execz .LBB728_222
.LBB728_244:
	flat_store_dwordx2 v[0:1], v[38:39] offset:56
	s_or_b64 exec, exec, s[4:5]
	s_waitcnt vmcnt(0) lgkmcnt(0)
	s_setpc_b64 s[30:31]
.Lfunc_end728:
	.size	_ZN7rocprim17ROCPRIM_400000_NS6detail26segmented_warp_sort_helperINS1_20WarpSortHelperConfigILj8ELj8ELj256EEEllLi256ELb1EvE4sortIPKlPlS8_S9_EEvT_T0_T1_T2_jjjjRNS5_12storage_typeE, .Lfunc_end728-_ZN7rocprim17ROCPRIM_400000_NS6detail26segmented_warp_sort_helperINS1_20WarpSortHelperConfigILj8ELj8ELj256EEEllLi256ELb1EvE4sortIPKlPlS8_S9_EEvT_T0_T1_T2_jjjjRNS5_12storage_typeE
                                        ; -- End function
	.set .L_ZN7rocprim17ROCPRIM_400000_NS6detail26segmented_warp_sort_helperINS1_20WarpSortHelperConfigILj8ELj8ELj256EEEllLi256ELb1EvE4sortIPKlPlS8_S9_EEvT_T0_T1_T2_jjjjRNS5_12storage_typeE.num_vgpr, 116
	.set .L_ZN7rocprim17ROCPRIM_400000_NS6detail26segmented_warp_sort_helperINS1_20WarpSortHelperConfigILj8ELj8ELj256EEEllLi256ELb1EvE4sortIPKlPlS8_S9_EEvT_T0_T1_T2_jjjjRNS5_12storage_typeE.num_agpr, 0
	.set .L_ZN7rocprim17ROCPRIM_400000_NS6detail26segmented_warp_sort_helperINS1_20WarpSortHelperConfigILj8ELj8ELj256EEEllLi256ELb1EvE4sortIPKlPlS8_S9_EEvT_T0_T1_T2_jjjjRNS5_12storage_typeE.numbered_sgpr, 44
	.set .L_ZN7rocprim17ROCPRIM_400000_NS6detail26segmented_warp_sort_helperINS1_20WarpSortHelperConfigILj8ELj8ELj256EEEllLi256ELb1EvE4sortIPKlPlS8_S9_EEvT_T0_T1_T2_jjjjRNS5_12storage_typeE.num_named_barrier, 0
	.set .L_ZN7rocprim17ROCPRIM_400000_NS6detail26segmented_warp_sort_helperINS1_20WarpSortHelperConfigILj8ELj8ELj256EEEllLi256ELb1EvE4sortIPKlPlS8_S9_EEvT_T0_T1_T2_jjjjRNS5_12storage_typeE.private_seg_size, 0
	.set .L_ZN7rocprim17ROCPRIM_400000_NS6detail26segmented_warp_sort_helperINS1_20WarpSortHelperConfigILj8ELj8ELj256EEEllLi256ELb1EvE4sortIPKlPlS8_S9_EEvT_T0_T1_T2_jjjjRNS5_12storage_typeE.uses_vcc, 1
	.set .L_ZN7rocprim17ROCPRIM_400000_NS6detail26segmented_warp_sort_helperINS1_20WarpSortHelperConfigILj8ELj8ELj256EEEllLi256ELb1EvE4sortIPKlPlS8_S9_EEvT_T0_T1_T2_jjjjRNS5_12storage_typeE.uses_flat_scratch, 0
	.set .L_ZN7rocprim17ROCPRIM_400000_NS6detail26segmented_warp_sort_helperINS1_20WarpSortHelperConfigILj8ELj8ELj256EEEllLi256ELb1EvE4sortIPKlPlS8_S9_EEvT_T0_T1_T2_jjjjRNS5_12storage_typeE.has_dyn_sized_stack, 0
	.set .L_ZN7rocprim17ROCPRIM_400000_NS6detail26segmented_warp_sort_helperINS1_20WarpSortHelperConfigILj8ELj8ELj256EEEllLi256ELb1EvE4sortIPKlPlS8_S9_EEvT_T0_T1_T2_jjjjRNS5_12storage_typeE.has_recursion, 0
	.set .L_ZN7rocprim17ROCPRIM_400000_NS6detail26segmented_warp_sort_helperINS1_20WarpSortHelperConfigILj8ELj8ELj256EEEllLi256ELb1EvE4sortIPKlPlS8_S9_EEvT_T0_T1_T2_jjjjRNS5_12storage_typeE.has_indirect_call, 0
	.section	.AMDGPU.csdata,"",@progbits
; Function info:
; codeLenInByte = 13852
; TotalNumSgprs: 48
; NumVgprs: 116
; ScratchSize: 0
; MemoryBound: 0
	.section	.text._ZN7rocprim17ROCPRIM_400000_NS6detail17trampoline_kernelINS0_14default_configENS1_36segmented_radix_sort_config_selectorIllEEZNS1_25segmented_radix_sort_implIS3_Lb1EPKlPlS8_S9_N2at6native12_GLOBAL__N_18offset_tEEE10hipError_tPvRmT1_PNSt15iterator_traitsISH_E10value_typeET2_T3_PNSI_ISN_E10value_typeET4_jRbjT5_ST_jjP12ihipStream_tbEUlT_E1_NS1_11comp_targetILNS1_3genE2ELNS1_11target_archE906ELNS1_3gpuE6ELNS1_3repE0EEENS1_59segmented_radix_sort_warp_sort_small_config_static_selectorELNS0_4arch9wavefront6targetE1EEEvSH_,"axG",@progbits,_ZN7rocprim17ROCPRIM_400000_NS6detail17trampoline_kernelINS0_14default_configENS1_36segmented_radix_sort_config_selectorIllEEZNS1_25segmented_radix_sort_implIS3_Lb1EPKlPlS8_S9_N2at6native12_GLOBAL__N_18offset_tEEE10hipError_tPvRmT1_PNSt15iterator_traitsISH_E10value_typeET2_T3_PNSI_ISN_E10value_typeET4_jRbjT5_ST_jjP12ihipStream_tbEUlT_E1_NS1_11comp_targetILNS1_3genE2ELNS1_11target_archE906ELNS1_3gpuE6ELNS1_3repE0EEENS1_59segmented_radix_sort_warp_sort_small_config_static_selectorELNS0_4arch9wavefront6targetE1EEEvSH_,comdat
	.globl	_ZN7rocprim17ROCPRIM_400000_NS6detail17trampoline_kernelINS0_14default_configENS1_36segmented_radix_sort_config_selectorIllEEZNS1_25segmented_radix_sort_implIS3_Lb1EPKlPlS8_S9_N2at6native12_GLOBAL__N_18offset_tEEE10hipError_tPvRmT1_PNSt15iterator_traitsISH_E10value_typeET2_T3_PNSI_ISN_E10value_typeET4_jRbjT5_ST_jjP12ihipStream_tbEUlT_E1_NS1_11comp_targetILNS1_3genE2ELNS1_11target_archE906ELNS1_3gpuE6ELNS1_3repE0EEENS1_59segmented_radix_sort_warp_sort_small_config_static_selectorELNS0_4arch9wavefront6targetE1EEEvSH_ ; -- Begin function _ZN7rocprim17ROCPRIM_400000_NS6detail17trampoline_kernelINS0_14default_configENS1_36segmented_radix_sort_config_selectorIllEEZNS1_25segmented_radix_sort_implIS3_Lb1EPKlPlS8_S9_N2at6native12_GLOBAL__N_18offset_tEEE10hipError_tPvRmT1_PNSt15iterator_traitsISH_E10value_typeET2_T3_PNSI_ISN_E10value_typeET4_jRbjT5_ST_jjP12ihipStream_tbEUlT_E1_NS1_11comp_targetILNS1_3genE2ELNS1_11target_archE906ELNS1_3gpuE6ELNS1_3repE0EEENS1_59segmented_radix_sort_warp_sort_small_config_static_selectorELNS0_4arch9wavefront6targetE1EEEvSH_
	.p2align	8
	.type	_ZN7rocprim17ROCPRIM_400000_NS6detail17trampoline_kernelINS0_14default_configENS1_36segmented_radix_sort_config_selectorIllEEZNS1_25segmented_radix_sort_implIS3_Lb1EPKlPlS8_S9_N2at6native12_GLOBAL__N_18offset_tEEE10hipError_tPvRmT1_PNSt15iterator_traitsISH_E10value_typeET2_T3_PNSI_ISN_E10value_typeET4_jRbjT5_ST_jjP12ihipStream_tbEUlT_E1_NS1_11comp_targetILNS1_3genE2ELNS1_11target_archE906ELNS1_3gpuE6ELNS1_3repE0EEENS1_59segmented_radix_sort_warp_sort_small_config_static_selectorELNS0_4arch9wavefront6targetE1EEEvSH_,@function
_ZN7rocprim17ROCPRIM_400000_NS6detail17trampoline_kernelINS0_14default_configENS1_36segmented_radix_sort_config_selectorIllEEZNS1_25segmented_radix_sort_implIS3_Lb1EPKlPlS8_S9_N2at6native12_GLOBAL__N_18offset_tEEE10hipError_tPvRmT1_PNSt15iterator_traitsISH_E10value_typeET2_T3_PNSI_ISN_E10value_typeET4_jRbjT5_ST_jjP12ihipStream_tbEUlT_E1_NS1_11comp_targetILNS1_3genE2ELNS1_11target_archE906ELNS1_3gpuE6ELNS1_3repE0EEENS1_59segmented_radix_sort_warp_sort_small_config_static_selectorELNS0_4arch9wavefront6targetE1EEEvSH_: ; @_ZN7rocprim17ROCPRIM_400000_NS6detail17trampoline_kernelINS0_14default_configENS1_36segmented_radix_sort_config_selectorIllEEZNS1_25segmented_radix_sort_implIS3_Lb1EPKlPlS8_S9_N2at6native12_GLOBAL__N_18offset_tEEE10hipError_tPvRmT1_PNSt15iterator_traitsISH_E10value_typeET2_T3_PNSI_ISN_E10value_typeET4_jRbjT5_ST_jjP12ihipStream_tbEUlT_E1_NS1_11comp_targetILNS1_3genE2ELNS1_11target_archE906ELNS1_3gpuE6ELNS1_3repE0EEENS1_59segmented_radix_sort_warp_sort_small_config_static_selectorELNS0_4arch9wavefront6targetE1EEEvSH_
; %bb.0:
	s_add_u32 s0, s0, s8
	s_load_dword s8, s[4:5], 0x64
	s_addc_u32 s1, s1, 0
	s_mov_b32 s32, 0
	s_waitcnt lgkmcnt(0)
	s_lshr_b32 s9, s8, 16
	s_and_b32 s8, s8, 0xffff
	v_mad_u32_u24 v3, v2, s9, v1
	v_mad_u64_u32 v[3:4], s[8:9], v3, s8, v[0:1]
	s_load_dword s8, s[4:5], 0x34
	v_lshrrev_b32_e32 v3, 3, v3
	v_lshl_add_u32 v3, s6, 5, v3
	s_waitcnt lgkmcnt(0)
	v_cmp_gt_u32_e32 vcc, s8, v3
	s_and_saveexec_b64 s[8:9], vcc
	s_cbranch_execz .LBB729_6
; %bb.1:
	s_load_dwordx2 s[12:13], s[4:5], 0x38
	s_load_dwordx4 s[8:11], s[4:5], 0x40
	v_mov_b32_e32 v4, 0
	v_lshlrev_b64 v[3:4], 2, v[3:4]
	s_waitcnt lgkmcnt(0)
	v_mov_b32_e32 v5, s13
	v_sub_co_u32_e32 v3, vcc, s12, v3
	v_subb_co_u32_e32 v4, vcc, v5, v4, vcc
	global_load_dword v3, v[3:4], off offset:-4
	s_waitcnt vmcnt(0)
	v_add_u32_e32 v4, s9, v3
	v_add_u32_e32 v3, s11, v3
	v_mul_lo_u32 v40, v4, s8
	v_mul_lo_u32 v41, v3, s10
	v_cmp_gt_u32_e32 vcc, v41, v40
	s_and_b64 exec, exec, vcc
	s_cbranch_execz .LBB729_6
; %bb.2:
	s_load_dword s10, s[4:5], 0x30
	s_load_dwordx4 s[36:39], s[4:5], 0x20
	s_load_dwordx8 s[44:51], s[4:5], 0x0
	s_load_dwordx2 s[34:35], s[4:5], 0x50
	s_mov_b64 s[8:9], -1
	s_waitcnt lgkmcnt(0)
	s_bitcmp0_b32 s10, 0
	v_lshlrev_b32_e32 v43, 20, v2
	v_lshlrev_b32_e32 v44, 10, v1
	s_cbranch_scc0 .LBB729_4
; %bb.3:
	s_add_u32 s8, s4, 0x58
	s_mov_b64 s[10:11], src_shared_base
	s_addc_u32 s9, s5, 0
	s_getpc_b64 s[14:15]
	s_add_u32 s14, s14, _ZN7rocprim17ROCPRIM_400000_NS6detail26segmented_warp_sort_helperINS1_20WarpSortHelperConfigILj8ELj8ELj256EEEllLi256ELb1EvE4sortIPKlPlS8_S9_EEvT_T0_T1_T2_jjjjRNS5_12storage_typeE@rel32@lo+4
	s_addc_u32 s15, s15, _ZN7rocprim17ROCPRIM_400000_NS6detail26segmented_warp_sort_helperINS1_20WarpSortHelperConfigILj8ELj8ELj256EEEllLi256ELb1EvE4sortIPKlPlS8_S9_EEvT_T0_T1_T2_jjjjRNS5_12storage_typeE@rel32@hi+12
	v_or3_b32 v31, v0, v44, v43
	s_mov_b32 s12, s6
	s_mov_b32 s13, s7
	v_mov_b32_e32 v42, v0
	v_mov_b32_e32 v0, s44
	;; [unrolled: 1-line block ×15, first 2 shown]
	s_mov_b64 s[36:37], s[4:5]
	s_mov_b32 s46, s7
	s_mov_b32 s33, s6
	s_swappc_b64 s[30:31], s[14:15]
	v_mov_b32_e32 v0, v42
	s_mov_b32 s6, s33
	s_mov_b32 s7, s46
	s_mov_b64 s[4:5], s[36:37]
	s_mov_b64 s[8:9], 0
.LBB729_4:
	s_andn2_b64 vcc, exec, s[8:9]
	s_cbranch_vccnz .LBB729_6
; %bb.5:
	s_add_u32 s8, s4, 0x58
	s_mov_b64 s[10:11], src_shared_base
	s_addc_u32 s9, s5, 0
	s_getpc_b64 s[4:5]
	s_add_u32 s4, s4, _ZN7rocprim17ROCPRIM_400000_NS6detail26segmented_warp_sort_helperINS1_20WarpSortHelperConfigILj8ELj8ELj256EEEllLi256ELb1EvE4sortIPKlPlS8_S9_EEvT_T0_T1_T2_jjjjRNS5_12storage_typeE@rel32@lo+4
	s_addc_u32 s5, s5, _ZN7rocprim17ROCPRIM_400000_NS6detail26segmented_warp_sort_helperINS1_20WarpSortHelperConfigILj8ELj8ELj256EEEllLi256ELb1EvE4sortIPKlPlS8_S9_EEvT_T0_T1_T2_jjjjRNS5_12storage_typeE@rel32@hi+12
	v_or3_b32 v31, v0, v44, v43
	s_mov_b32 s12, s6
	s_mov_b32 s13, s7
	v_mov_b32_e32 v0, s44
	v_mov_b32_e32 v1, s45
	;; [unrolled: 1-line block ×14, first 2 shown]
	s_swappc_b64 s[30:31], s[4:5]
.LBB729_6:
	s_endpgm
	.section	.rodata,"a",@progbits
	.p2align	6, 0x0
	.amdhsa_kernel _ZN7rocprim17ROCPRIM_400000_NS6detail17trampoline_kernelINS0_14default_configENS1_36segmented_radix_sort_config_selectorIllEEZNS1_25segmented_radix_sort_implIS3_Lb1EPKlPlS8_S9_N2at6native12_GLOBAL__N_18offset_tEEE10hipError_tPvRmT1_PNSt15iterator_traitsISH_E10value_typeET2_T3_PNSI_ISN_E10value_typeET4_jRbjT5_ST_jjP12ihipStream_tbEUlT_E1_NS1_11comp_targetILNS1_3genE2ELNS1_11target_archE906ELNS1_3gpuE6ELNS1_3repE0EEENS1_59segmented_radix_sort_warp_sort_small_config_static_selectorELNS0_4arch9wavefront6targetE1EEEvSH_
		.amdhsa_group_segment_fixed_size 32768
		.amdhsa_private_segment_fixed_size 0
		.amdhsa_kernarg_size 344
		.amdhsa_user_sgpr_count 6
		.amdhsa_user_sgpr_private_segment_buffer 1
		.amdhsa_user_sgpr_dispatch_ptr 0
		.amdhsa_user_sgpr_queue_ptr 0
		.amdhsa_user_sgpr_kernarg_segment_ptr 1
		.amdhsa_user_sgpr_dispatch_id 0
		.amdhsa_user_sgpr_flat_scratch_init 0
		.amdhsa_user_sgpr_private_segment_size 0
		.amdhsa_uses_dynamic_stack 0
		.amdhsa_system_sgpr_private_segment_wavefront_offset 0
		.amdhsa_system_sgpr_workgroup_id_x 1
		.amdhsa_system_sgpr_workgroup_id_y 1
		.amdhsa_system_sgpr_workgroup_id_z 0
		.amdhsa_system_sgpr_workgroup_info 0
		.amdhsa_system_vgpr_workitem_id 2
		.amdhsa_next_free_vgpr 116
		.amdhsa_next_free_sgpr 98
		.amdhsa_reserve_vcc 1
		.amdhsa_reserve_flat_scratch 0
		.amdhsa_float_round_mode_32 0
		.amdhsa_float_round_mode_16_64 0
		.amdhsa_float_denorm_mode_32 3
		.amdhsa_float_denorm_mode_16_64 3
		.amdhsa_dx10_clamp 1
		.amdhsa_ieee_mode 1
		.amdhsa_fp16_overflow 0
		.amdhsa_exception_fp_ieee_invalid_op 0
		.amdhsa_exception_fp_denorm_src 0
		.amdhsa_exception_fp_ieee_div_zero 0
		.amdhsa_exception_fp_ieee_overflow 0
		.amdhsa_exception_fp_ieee_underflow 0
		.amdhsa_exception_fp_ieee_inexact 0
		.amdhsa_exception_int_div_zero 0
	.end_amdhsa_kernel
	.section	.text._ZN7rocprim17ROCPRIM_400000_NS6detail17trampoline_kernelINS0_14default_configENS1_36segmented_radix_sort_config_selectorIllEEZNS1_25segmented_radix_sort_implIS3_Lb1EPKlPlS8_S9_N2at6native12_GLOBAL__N_18offset_tEEE10hipError_tPvRmT1_PNSt15iterator_traitsISH_E10value_typeET2_T3_PNSI_ISN_E10value_typeET4_jRbjT5_ST_jjP12ihipStream_tbEUlT_E1_NS1_11comp_targetILNS1_3genE2ELNS1_11target_archE906ELNS1_3gpuE6ELNS1_3repE0EEENS1_59segmented_radix_sort_warp_sort_small_config_static_selectorELNS0_4arch9wavefront6targetE1EEEvSH_,"axG",@progbits,_ZN7rocprim17ROCPRIM_400000_NS6detail17trampoline_kernelINS0_14default_configENS1_36segmented_radix_sort_config_selectorIllEEZNS1_25segmented_radix_sort_implIS3_Lb1EPKlPlS8_S9_N2at6native12_GLOBAL__N_18offset_tEEE10hipError_tPvRmT1_PNSt15iterator_traitsISH_E10value_typeET2_T3_PNSI_ISN_E10value_typeET4_jRbjT5_ST_jjP12ihipStream_tbEUlT_E1_NS1_11comp_targetILNS1_3genE2ELNS1_11target_archE906ELNS1_3gpuE6ELNS1_3repE0EEENS1_59segmented_radix_sort_warp_sort_small_config_static_selectorELNS0_4arch9wavefront6targetE1EEEvSH_,comdat
.Lfunc_end729:
	.size	_ZN7rocprim17ROCPRIM_400000_NS6detail17trampoline_kernelINS0_14default_configENS1_36segmented_radix_sort_config_selectorIllEEZNS1_25segmented_radix_sort_implIS3_Lb1EPKlPlS8_S9_N2at6native12_GLOBAL__N_18offset_tEEE10hipError_tPvRmT1_PNSt15iterator_traitsISH_E10value_typeET2_T3_PNSI_ISN_E10value_typeET4_jRbjT5_ST_jjP12ihipStream_tbEUlT_E1_NS1_11comp_targetILNS1_3genE2ELNS1_11target_archE906ELNS1_3gpuE6ELNS1_3repE0EEENS1_59segmented_radix_sort_warp_sort_small_config_static_selectorELNS0_4arch9wavefront6targetE1EEEvSH_, .Lfunc_end729-_ZN7rocprim17ROCPRIM_400000_NS6detail17trampoline_kernelINS0_14default_configENS1_36segmented_radix_sort_config_selectorIllEEZNS1_25segmented_radix_sort_implIS3_Lb1EPKlPlS8_S9_N2at6native12_GLOBAL__N_18offset_tEEE10hipError_tPvRmT1_PNSt15iterator_traitsISH_E10value_typeET2_T3_PNSI_ISN_E10value_typeET4_jRbjT5_ST_jjP12ihipStream_tbEUlT_E1_NS1_11comp_targetILNS1_3genE2ELNS1_11target_archE906ELNS1_3gpuE6ELNS1_3repE0EEENS1_59segmented_radix_sort_warp_sort_small_config_static_selectorELNS0_4arch9wavefront6targetE1EEEvSH_
                                        ; -- End function
	.set _ZN7rocprim17ROCPRIM_400000_NS6detail17trampoline_kernelINS0_14default_configENS1_36segmented_radix_sort_config_selectorIllEEZNS1_25segmented_radix_sort_implIS3_Lb1EPKlPlS8_S9_N2at6native12_GLOBAL__N_18offset_tEEE10hipError_tPvRmT1_PNSt15iterator_traitsISH_E10value_typeET2_T3_PNSI_ISN_E10value_typeET4_jRbjT5_ST_jjP12ihipStream_tbEUlT_E1_NS1_11comp_targetILNS1_3genE2ELNS1_11target_archE906ELNS1_3gpuE6ELNS1_3repE0EEENS1_59segmented_radix_sort_warp_sort_small_config_static_selectorELNS0_4arch9wavefront6targetE1EEEvSH_.num_vgpr, max(45, .L_ZN7rocprim17ROCPRIM_400000_NS6detail26segmented_warp_sort_helperINS1_20WarpSortHelperConfigILj8ELj8ELj256EEEllLi256ELb1EvE4sortIPKlPlS8_S9_EEvT_T0_T1_T2_jjjjRNS5_12storage_typeE.num_vgpr)
	.set _ZN7rocprim17ROCPRIM_400000_NS6detail17trampoline_kernelINS0_14default_configENS1_36segmented_radix_sort_config_selectorIllEEZNS1_25segmented_radix_sort_implIS3_Lb1EPKlPlS8_S9_N2at6native12_GLOBAL__N_18offset_tEEE10hipError_tPvRmT1_PNSt15iterator_traitsISH_E10value_typeET2_T3_PNSI_ISN_E10value_typeET4_jRbjT5_ST_jjP12ihipStream_tbEUlT_E1_NS1_11comp_targetILNS1_3genE2ELNS1_11target_archE906ELNS1_3gpuE6ELNS1_3repE0EEENS1_59segmented_radix_sort_warp_sort_small_config_static_selectorELNS0_4arch9wavefront6targetE1EEEvSH_.num_agpr, max(0, .L_ZN7rocprim17ROCPRIM_400000_NS6detail26segmented_warp_sort_helperINS1_20WarpSortHelperConfigILj8ELj8ELj256EEEllLi256ELb1EvE4sortIPKlPlS8_S9_EEvT_T0_T1_T2_jjjjRNS5_12storage_typeE.num_agpr)
	.set _ZN7rocprim17ROCPRIM_400000_NS6detail17trampoline_kernelINS0_14default_configENS1_36segmented_radix_sort_config_selectorIllEEZNS1_25segmented_radix_sort_implIS3_Lb1EPKlPlS8_S9_N2at6native12_GLOBAL__N_18offset_tEEE10hipError_tPvRmT1_PNSt15iterator_traitsISH_E10value_typeET2_T3_PNSI_ISN_E10value_typeET4_jRbjT5_ST_jjP12ihipStream_tbEUlT_E1_NS1_11comp_targetILNS1_3genE2ELNS1_11target_archE906ELNS1_3gpuE6ELNS1_3repE0EEENS1_59segmented_radix_sort_warp_sort_small_config_static_selectorELNS0_4arch9wavefront6targetE1EEEvSH_.numbered_sgpr, max(52, .L_ZN7rocprim17ROCPRIM_400000_NS6detail26segmented_warp_sort_helperINS1_20WarpSortHelperConfigILj8ELj8ELj256EEEllLi256ELb1EvE4sortIPKlPlS8_S9_EEvT_T0_T1_T2_jjjjRNS5_12storage_typeE.numbered_sgpr)
	.set _ZN7rocprim17ROCPRIM_400000_NS6detail17trampoline_kernelINS0_14default_configENS1_36segmented_radix_sort_config_selectorIllEEZNS1_25segmented_radix_sort_implIS3_Lb1EPKlPlS8_S9_N2at6native12_GLOBAL__N_18offset_tEEE10hipError_tPvRmT1_PNSt15iterator_traitsISH_E10value_typeET2_T3_PNSI_ISN_E10value_typeET4_jRbjT5_ST_jjP12ihipStream_tbEUlT_E1_NS1_11comp_targetILNS1_3genE2ELNS1_11target_archE906ELNS1_3gpuE6ELNS1_3repE0EEENS1_59segmented_radix_sort_warp_sort_small_config_static_selectorELNS0_4arch9wavefront6targetE1EEEvSH_.num_named_barrier, max(0, .L_ZN7rocprim17ROCPRIM_400000_NS6detail26segmented_warp_sort_helperINS1_20WarpSortHelperConfigILj8ELj8ELj256EEEllLi256ELb1EvE4sortIPKlPlS8_S9_EEvT_T0_T1_T2_jjjjRNS5_12storage_typeE.num_named_barrier)
	.set _ZN7rocprim17ROCPRIM_400000_NS6detail17trampoline_kernelINS0_14default_configENS1_36segmented_radix_sort_config_selectorIllEEZNS1_25segmented_radix_sort_implIS3_Lb1EPKlPlS8_S9_N2at6native12_GLOBAL__N_18offset_tEEE10hipError_tPvRmT1_PNSt15iterator_traitsISH_E10value_typeET2_T3_PNSI_ISN_E10value_typeET4_jRbjT5_ST_jjP12ihipStream_tbEUlT_E1_NS1_11comp_targetILNS1_3genE2ELNS1_11target_archE906ELNS1_3gpuE6ELNS1_3repE0EEENS1_59segmented_radix_sort_warp_sort_small_config_static_selectorELNS0_4arch9wavefront6targetE1EEEvSH_.private_seg_size, 0+max(.L_ZN7rocprim17ROCPRIM_400000_NS6detail26segmented_warp_sort_helperINS1_20WarpSortHelperConfigILj8ELj8ELj256EEEllLi256ELb1EvE4sortIPKlPlS8_S9_EEvT_T0_T1_T2_jjjjRNS5_12storage_typeE.private_seg_size)
	.set _ZN7rocprim17ROCPRIM_400000_NS6detail17trampoline_kernelINS0_14default_configENS1_36segmented_radix_sort_config_selectorIllEEZNS1_25segmented_radix_sort_implIS3_Lb1EPKlPlS8_S9_N2at6native12_GLOBAL__N_18offset_tEEE10hipError_tPvRmT1_PNSt15iterator_traitsISH_E10value_typeET2_T3_PNSI_ISN_E10value_typeET4_jRbjT5_ST_jjP12ihipStream_tbEUlT_E1_NS1_11comp_targetILNS1_3genE2ELNS1_11target_archE906ELNS1_3gpuE6ELNS1_3repE0EEENS1_59segmented_radix_sort_warp_sort_small_config_static_selectorELNS0_4arch9wavefront6targetE1EEEvSH_.uses_vcc, or(1, .L_ZN7rocprim17ROCPRIM_400000_NS6detail26segmented_warp_sort_helperINS1_20WarpSortHelperConfigILj8ELj8ELj256EEEllLi256ELb1EvE4sortIPKlPlS8_S9_EEvT_T0_T1_T2_jjjjRNS5_12storage_typeE.uses_vcc)
	.set _ZN7rocprim17ROCPRIM_400000_NS6detail17trampoline_kernelINS0_14default_configENS1_36segmented_radix_sort_config_selectorIllEEZNS1_25segmented_radix_sort_implIS3_Lb1EPKlPlS8_S9_N2at6native12_GLOBAL__N_18offset_tEEE10hipError_tPvRmT1_PNSt15iterator_traitsISH_E10value_typeET2_T3_PNSI_ISN_E10value_typeET4_jRbjT5_ST_jjP12ihipStream_tbEUlT_E1_NS1_11comp_targetILNS1_3genE2ELNS1_11target_archE906ELNS1_3gpuE6ELNS1_3repE0EEENS1_59segmented_radix_sort_warp_sort_small_config_static_selectorELNS0_4arch9wavefront6targetE1EEEvSH_.uses_flat_scratch, or(0, .L_ZN7rocprim17ROCPRIM_400000_NS6detail26segmented_warp_sort_helperINS1_20WarpSortHelperConfigILj8ELj8ELj256EEEllLi256ELb1EvE4sortIPKlPlS8_S9_EEvT_T0_T1_T2_jjjjRNS5_12storage_typeE.uses_flat_scratch)
	.set _ZN7rocprim17ROCPRIM_400000_NS6detail17trampoline_kernelINS0_14default_configENS1_36segmented_radix_sort_config_selectorIllEEZNS1_25segmented_radix_sort_implIS3_Lb1EPKlPlS8_S9_N2at6native12_GLOBAL__N_18offset_tEEE10hipError_tPvRmT1_PNSt15iterator_traitsISH_E10value_typeET2_T3_PNSI_ISN_E10value_typeET4_jRbjT5_ST_jjP12ihipStream_tbEUlT_E1_NS1_11comp_targetILNS1_3genE2ELNS1_11target_archE906ELNS1_3gpuE6ELNS1_3repE0EEENS1_59segmented_radix_sort_warp_sort_small_config_static_selectorELNS0_4arch9wavefront6targetE1EEEvSH_.has_dyn_sized_stack, or(0, .L_ZN7rocprim17ROCPRIM_400000_NS6detail26segmented_warp_sort_helperINS1_20WarpSortHelperConfigILj8ELj8ELj256EEEllLi256ELb1EvE4sortIPKlPlS8_S9_EEvT_T0_T1_T2_jjjjRNS5_12storage_typeE.has_dyn_sized_stack)
	.set _ZN7rocprim17ROCPRIM_400000_NS6detail17trampoline_kernelINS0_14default_configENS1_36segmented_radix_sort_config_selectorIllEEZNS1_25segmented_radix_sort_implIS3_Lb1EPKlPlS8_S9_N2at6native12_GLOBAL__N_18offset_tEEE10hipError_tPvRmT1_PNSt15iterator_traitsISH_E10value_typeET2_T3_PNSI_ISN_E10value_typeET4_jRbjT5_ST_jjP12ihipStream_tbEUlT_E1_NS1_11comp_targetILNS1_3genE2ELNS1_11target_archE906ELNS1_3gpuE6ELNS1_3repE0EEENS1_59segmented_radix_sort_warp_sort_small_config_static_selectorELNS0_4arch9wavefront6targetE1EEEvSH_.has_recursion, or(0, .L_ZN7rocprim17ROCPRIM_400000_NS6detail26segmented_warp_sort_helperINS1_20WarpSortHelperConfigILj8ELj8ELj256EEEllLi256ELb1EvE4sortIPKlPlS8_S9_EEvT_T0_T1_T2_jjjjRNS5_12storage_typeE.has_recursion)
	.set _ZN7rocprim17ROCPRIM_400000_NS6detail17trampoline_kernelINS0_14default_configENS1_36segmented_radix_sort_config_selectorIllEEZNS1_25segmented_radix_sort_implIS3_Lb1EPKlPlS8_S9_N2at6native12_GLOBAL__N_18offset_tEEE10hipError_tPvRmT1_PNSt15iterator_traitsISH_E10value_typeET2_T3_PNSI_ISN_E10value_typeET4_jRbjT5_ST_jjP12ihipStream_tbEUlT_E1_NS1_11comp_targetILNS1_3genE2ELNS1_11target_archE906ELNS1_3gpuE6ELNS1_3repE0EEENS1_59segmented_radix_sort_warp_sort_small_config_static_selectorELNS0_4arch9wavefront6targetE1EEEvSH_.has_indirect_call, or(0, .L_ZN7rocprim17ROCPRIM_400000_NS6detail26segmented_warp_sort_helperINS1_20WarpSortHelperConfigILj8ELj8ELj256EEEllLi256ELb1EvE4sortIPKlPlS8_S9_EEvT_T0_T1_T2_jjjjRNS5_12storage_typeE.has_indirect_call)
	.section	.AMDGPU.csdata,"",@progbits
; Kernel info:
; codeLenInByte = 508
; TotalNumSgprs: 56
; NumVgprs: 116
; ScratchSize: 0
; MemoryBound: 0
; FloatMode: 240
; IeeeMode: 1
; LDSByteSize: 32768 bytes/workgroup (compile time only)
; SGPRBlocks: 12
; VGPRBlocks: 28
; NumSGPRsForWavesPerEU: 102
; NumVGPRsForWavesPerEU: 116
; Occupancy: 2
; WaveLimiterHint : 0
; COMPUTE_PGM_RSRC2:SCRATCH_EN: 0
; COMPUTE_PGM_RSRC2:USER_SGPR: 6
; COMPUTE_PGM_RSRC2:TRAP_HANDLER: 0
; COMPUTE_PGM_RSRC2:TGID_X_EN: 1
; COMPUTE_PGM_RSRC2:TGID_Y_EN: 1
; COMPUTE_PGM_RSRC2:TGID_Z_EN: 0
; COMPUTE_PGM_RSRC2:TIDIG_COMP_CNT: 2
	.section	.text._ZN7rocprim17ROCPRIM_400000_NS6detail17trampoline_kernelINS0_14default_configENS1_36segmented_radix_sort_config_selectorIllEEZNS1_25segmented_radix_sort_implIS3_Lb1EPKlPlS8_S9_N2at6native12_GLOBAL__N_18offset_tEEE10hipError_tPvRmT1_PNSt15iterator_traitsISH_E10value_typeET2_T3_PNSI_ISN_E10value_typeET4_jRbjT5_ST_jjP12ihipStream_tbEUlT_E1_NS1_11comp_targetILNS1_3genE10ELNS1_11target_archE1201ELNS1_3gpuE5ELNS1_3repE0EEENS1_59segmented_radix_sort_warp_sort_small_config_static_selectorELNS0_4arch9wavefront6targetE1EEEvSH_,"axG",@progbits,_ZN7rocprim17ROCPRIM_400000_NS6detail17trampoline_kernelINS0_14default_configENS1_36segmented_radix_sort_config_selectorIllEEZNS1_25segmented_radix_sort_implIS3_Lb1EPKlPlS8_S9_N2at6native12_GLOBAL__N_18offset_tEEE10hipError_tPvRmT1_PNSt15iterator_traitsISH_E10value_typeET2_T3_PNSI_ISN_E10value_typeET4_jRbjT5_ST_jjP12ihipStream_tbEUlT_E1_NS1_11comp_targetILNS1_3genE10ELNS1_11target_archE1201ELNS1_3gpuE5ELNS1_3repE0EEENS1_59segmented_radix_sort_warp_sort_small_config_static_selectorELNS0_4arch9wavefront6targetE1EEEvSH_,comdat
	.globl	_ZN7rocprim17ROCPRIM_400000_NS6detail17trampoline_kernelINS0_14default_configENS1_36segmented_radix_sort_config_selectorIllEEZNS1_25segmented_radix_sort_implIS3_Lb1EPKlPlS8_S9_N2at6native12_GLOBAL__N_18offset_tEEE10hipError_tPvRmT1_PNSt15iterator_traitsISH_E10value_typeET2_T3_PNSI_ISN_E10value_typeET4_jRbjT5_ST_jjP12ihipStream_tbEUlT_E1_NS1_11comp_targetILNS1_3genE10ELNS1_11target_archE1201ELNS1_3gpuE5ELNS1_3repE0EEENS1_59segmented_radix_sort_warp_sort_small_config_static_selectorELNS0_4arch9wavefront6targetE1EEEvSH_ ; -- Begin function _ZN7rocprim17ROCPRIM_400000_NS6detail17trampoline_kernelINS0_14default_configENS1_36segmented_radix_sort_config_selectorIllEEZNS1_25segmented_radix_sort_implIS3_Lb1EPKlPlS8_S9_N2at6native12_GLOBAL__N_18offset_tEEE10hipError_tPvRmT1_PNSt15iterator_traitsISH_E10value_typeET2_T3_PNSI_ISN_E10value_typeET4_jRbjT5_ST_jjP12ihipStream_tbEUlT_E1_NS1_11comp_targetILNS1_3genE10ELNS1_11target_archE1201ELNS1_3gpuE5ELNS1_3repE0EEENS1_59segmented_radix_sort_warp_sort_small_config_static_selectorELNS0_4arch9wavefront6targetE1EEEvSH_
	.p2align	8
	.type	_ZN7rocprim17ROCPRIM_400000_NS6detail17trampoline_kernelINS0_14default_configENS1_36segmented_radix_sort_config_selectorIllEEZNS1_25segmented_radix_sort_implIS3_Lb1EPKlPlS8_S9_N2at6native12_GLOBAL__N_18offset_tEEE10hipError_tPvRmT1_PNSt15iterator_traitsISH_E10value_typeET2_T3_PNSI_ISN_E10value_typeET4_jRbjT5_ST_jjP12ihipStream_tbEUlT_E1_NS1_11comp_targetILNS1_3genE10ELNS1_11target_archE1201ELNS1_3gpuE5ELNS1_3repE0EEENS1_59segmented_radix_sort_warp_sort_small_config_static_selectorELNS0_4arch9wavefront6targetE1EEEvSH_,@function
_ZN7rocprim17ROCPRIM_400000_NS6detail17trampoline_kernelINS0_14default_configENS1_36segmented_radix_sort_config_selectorIllEEZNS1_25segmented_radix_sort_implIS3_Lb1EPKlPlS8_S9_N2at6native12_GLOBAL__N_18offset_tEEE10hipError_tPvRmT1_PNSt15iterator_traitsISH_E10value_typeET2_T3_PNSI_ISN_E10value_typeET4_jRbjT5_ST_jjP12ihipStream_tbEUlT_E1_NS1_11comp_targetILNS1_3genE10ELNS1_11target_archE1201ELNS1_3gpuE5ELNS1_3repE0EEENS1_59segmented_radix_sort_warp_sort_small_config_static_selectorELNS0_4arch9wavefront6targetE1EEEvSH_: ; @_ZN7rocprim17ROCPRIM_400000_NS6detail17trampoline_kernelINS0_14default_configENS1_36segmented_radix_sort_config_selectorIllEEZNS1_25segmented_radix_sort_implIS3_Lb1EPKlPlS8_S9_N2at6native12_GLOBAL__N_18offset_tEEE10hipError_tPvRmT1_PNSt15iterator_traitsISH_E10value_typeET2_T3_PNSI_ISN_E10value_typeET4_jRbjT5_ST_jjP12ihipStream_tbEUlT_E1_NS1_11comp_targetILNS1_3genE10ELNS1_11target_archE1201ELNS1_3gpuE5ELNS1_3repE0EEENS1_59segmented_radix_sort_warp_sort_small_config_static_selectorELNS0_4arch9wavefront6targetE1EEEvSH_
; %bb.0:
	.section	.rodata,"a",@progbits
	.p2align	6, 0x0
	.amdhsa_kernel _ZN7rocprim17ROCPRIM_400000_NS6detail17trampoline_kernelINS0_14default_configENS1_36segmented_radix_sort_config_selectorIllEEZNS1_25segmented_radix_sort_implIS3_Lb1EPKlPlS8_S9_N2at6native12_GLOBAL__N_18offset_tEEE10hipError_tPvRmT1_PNSt15iterator_traitsISH_E10value_typeET2_T3_PNSI_ISN_E10value_typeET4_jRbjT5_ST_jjP12ihipStream_tbEUlT_E1_NS1_11comp_targetILNS1_3genE10ELNS1_11target_archE1201ELNS1_3gpuE5ELNS1_3repE0EEENS1_59segmented_radix_sort_warp_sort_small_config_static_selectorELNS0_4arch9wavefront6targetE1EEEvSH_
		.amdhsa_group_segment_fixed_size 0
		.amdhsa_private_segment_fixed_size 0
		.amdhsa_kernarg_size 88
		.amdhsa_user_sgpr_count 6
		.amdhsa_user_sgpr_private_segment_buffer 1
		.amdhsa_user_sgpr_dispatch_ptr 0
		.amdhsa_user_sgpr_queue_ptr 0
		.amdhsa_user_sgpr_kernarg_segment_ptr 1
		.amdhsa_user_sgpr_dispatch_id 0
		.amdhsa_user_sgpr_flat_scratch_init 0
		.amdhsa_user_sgpr_private_segment_size 0
		.amdhsa_uses_dynamic_stack 0
		.amdhsa_system_sgpr_private_segment_wavefront_offset 0
		.amdhsa_system_sgpr_workgroup_id_x 1
		.amdhsa_system_sgpr_workgroup_id_y 0
		.amdhsa_system_sgpr_workgroup_id_z 0
		.amdhsa_system_sgpr_workgroup_info 0
		.amdhsa_system_vgpr_workitem_id 0
		.amdhsa_next_free_vgpr 1
		.amdhsa_next_free_sgpr 0
		.amdhsa_reserve_vcc 0
		.amdhsa_reserve_flat_scratch 0
		.amdhsa_float_round_mode_32 0
		.amdhsa_float_round_mode_16_64 0
		.amdhsa_float_denorm_mode_32 3
		.amdhsa_float_denorm_mode_16_64 3
		.amdhsa_dx10_clamp 1
		.amdhsa_ieee_mode 1
		.amdhsa_fp16_overflow 0
		.amdhsa_exception_fp_ieee_invalid_op 0
		.amdhsa_exception_fp_denorm_src 0
		.amdhsa_exception_fp_ieee_div_zero 0
		.amdhsa_exception_fp_ieee_overflow 0
		.amdhsa_exception_fp_ieee_underflow 0
		.amdhsa_exception_fp_ieee_inexact 0
		.amdhsa_exception_int_div_zero 0
	.end_amdhsa_kernel
	.section	.text._ZN7rocprim17ROCPRIM_400000_NS6detail17trampoline_kernelINS0_14default_configENS1_36segmented_radix_sort_config_selectorIllEEZNS1_25segmented_radix_sort_implIS3_Lb1EPKlPlS8_S9_N2at6native12_GLOBAL__N_18offset_tEEE10hipError_tPvRmT1_PNSt15iterator_traitsISH_E10value_typeET2_T3_PNSI_ISN_E10value_typeET4_jRbjT5_ST_jjP12ihipStream_tbEUlT_E1_NS1_11comp_targetILNS1_3genE10ELNS1_11target_archE1201ELNS1_3gpuE5ELNS1_3repE0EEENS1_59segmented_radix_sort_warp_sort_small_config_static_selectorELNS0_4arch9wavefront6targetE1EEEvSH_,"axG",@progbits,_ZN7rocprim17ROCPRIM_400000_NS6detail17trampoline_kernelINS0_14default_configENS1_36segmented_radix_sort_config_selectorIllEEZNS1_25segmented_radix_sort_implIS3_Lb1EPKlPlS8_S9_N2at6native12_GLOBAL__N_18offset_tEEE10hipError_tPvRmT1_PNSt15iterator_traitsISH_E10value_typeET2_T3_PNSI_ISN_E10value_typeET4_jRbjT5_ST_jjP12ihipStream_tbEUlT_E1_NS1_11comp_targetILNS1_3genE10ELNS1_11target_archE1201ELNS1_3gpuE5ELNS1_3repE0EEENS1_59segmented_radix_sort_warp_sort_small_config_static_selectorELNS0_4arch9wavefront6targetE1EEEvSH_,comdat
.Lfunc_end730:
	.size	_ZN7rocprim17ROCPRIM_400000_NS6detail17trampoline_kernelINS0_14default_configENS1_36segmented_radix_sort_config_selectorIllEEZNS1_25segmented_radix_sort_implIS3_Lb1EPKlPlS8_S9_N2at6native12_GLOBAL__N_18offset_tEEE10hipError_tPvRmT1_PNSt15iterator_traitsISH_E10value_typeET2_T3_PNSI_ISN_E10value_typeET4_jRbjT5_ST_jjP12ihipStream_tbEUlT_E1_NS1_11comp_targetILNS1_3genE10ELNS1_11target_archE1201ELNS1_3gpuE5ELNS1_3repE0EEENS1_59segmented_radix_sort_warp_sort_small_config_static_selectorELNS0_4arch9wavefront6targetE1EEEvSH_, .Lfunc_end730-_ZN7rocprim17ROCPRIM_400000_NS6detail17trampoline_kernelINS0_14default_configENS1_36segmented_radix_sort_config_selectorIllEEZNS1_25segmented_radix_sort_implIS3_Lb1EPKlPlS8_S9_N2at6native12_GLOBAL__N_18offset_tEEE10hipError_tPvRmT1_PNSt15iterator_traitsISH_E10value_typeET2_T3_PNSI_ISN_E10value_typeET4_jRbjT5_ST_jjP12ihipStream_tbEUlT_E1_NS1_11comp_targetILNS1_3genE10ELNS1_11target_archE1201ELNS1_3gpuE5ELNS1_3repE0EEENS1_59segmented_radix_sort_warp_sort_small_config_static_selectorELNS0_4arch9wavefront6targetE1EEEvSH_
                                        ; -- End function
	.set _ZN7rocprim17ROCPRIM_400000_NS6detail17trampoline_kernelINS0_14default_configENS1_36segmented_radix_sort_config_selectorIllEEZNS1_25segmented_radix_sort_implIS3_Lb1EPKlPlS8_S9_N2at6native12_GLOBAL__N_18offset_tEEE10hipError_tPvRmT1_PNSt15iterator_traitsISH_E10value_typeET2_T3_PNSI_ISN_E10value_typeET4_jRbjT5_ST_jjP12ihipStream_tbEUlT_E1_NS1_11comp_targetILNS1_3genE10ELNS1_11target_archE1201ELNS1_3gpuE5ELNS1_3repE0EEENS1_59segmented_radix_sort_warp_sort_small_config_static_selectorELNS0_4arch9wavefront6targetE1EEEvSH_.num_vgpr, 0
	.set _ZN7rocprim17ROCPRIM_400000_NS6detail17trampoline_kernelINS0_14default_configENS1_36segmented_radix_sort_config_selectorIllEEZNS1_25segmented_radix_sort_implIS3_Lb1EPKlPlS8_S9_N2at6native12_GLOBAL__N_18offset_tEEE10hipError_tPvRmT1_PNSt15iterator_traitsISH_E10value_typeET2_T3_PNSI_ISN_E10value_typeET4_jRbjT5_ST_jjP12ihipStream_tbEUlT_E1_NS1_11comp_targetILNS1_3genE10ELNS1_11target_archE1201ELNS1_3gpuE5ELNS1_3repE0EEENS1_59segmented_radix_sort_warp_sort_small_config_static_selectorELNS0_4arch9wavefront6targetE1EEEvSH_.num_agpr, 0
	.set _ZN7rocprim17ROCPRIM_400000_NS6detail17trampoline_kernelINS0_14default_configENS1_36segmented_radix_sort_config_selectorIllEEZNS1_25segmented_radix_sort_implIS3_Lb1EPKlPlS8_S9_N2at6native12_GLOBAL__N_18offset_tEEE10hipError_tPvRmT1_PNSt15iterator_traitsISH_E10value_typeET2_T3_PNSI_ISN_E10value_typeET4_jRbjT5_ST_jjP12ihipStream_tbEUlT_E1_NS1_11comp_targetILNS1_3genE10ELNS1_11target_archE1201ELNS1_3gpuE5ELNS1_3repE0EEENS1_59segmented_radix_sort_warp_sort_small_config_static_selectorELNS0_4arch9wavefront6targetE1EEEvSH_.numbered_sgpr, 0
	.set _ZN7rocprim17ROCPRIM_400000_NS6detail17trampoline_kernelINS0_14default_configENS1_36segmented_radix_sort_config_selectorIllEEZNS1_25segmented_radix_sort_implIS3_Lb1EPKlPlS8_S9_N2at6native12_GLOBAL__N_18offset_tEEE10hipError_tPvRmT1_PNSt15iterator_traitsISH_E10value_typeET2_T3_PNSI_ISN_E10value_typeET4_jRbjT5_ST_jjP12ihipStream_tbEUlT_E1_NS1_11comp_targetILNS1_3genE10ELNS1_11target_archE1201ELNS1_3gpuE5ELNS1_3repE0EEENS1_59segmented_radix_sort_warp_sort_small_config_static_selectorELNS0_4arch9wavefront6targetE1EEEvSH_.num_named_barrier, 0
	.set _ZN7rocprim17ROCPRIM_400000_NS6detail17trampoline_kernelINS0_14default_configENS1_36segmented_radix_sort_config_selectorIllEEZNS1_25segmented_radix_sort_implIS3_Lb1EPKlPlS8_S9_N2at6native12_GLOBAL__N_18offset_tEEE10hipError_tPvRmT1_PNSt15iterator_traitsISH_E10value_typeET2_T3_PNSI_ISN_E10value_typeET4_jRbjT5_ST_jjP12ihipStream_tbEUlT_E1_NS1_11comp_targetILNS1_3genE10ELNS1_11target_archE1201ELNS1_3gpuE5ELNS1_3repE0EEENS1_59segmented_radix_sort_warp_sort_small_config_static_selectorELNS0_4arch9wavefront6targetE1EEEvSH_.private_seg_size, 0
	.set _ZN7rocprim17ROCPRIM_400000_NS6detail17trampoline_kernelINS0_14default_configENS1_36segmented_radix_sort_config_selectorIllEEZNS1_25segmented_radix_sort_implIS3_Lb1EPKlPlS8_S9_N2at6native12_GLOBAL__N_18offset_tEEE10hipError_tPvRmT1_PNSt15iterator_traitsISH_E10value_typeET2_T3_PNSI_ISN_E10value_typeET4_jRbjT5_ST_jjP12ihipStream_tbEUlT_E1_NS1_11comp_targetILNS1_3genE10ELNS1_11target_archE1201ELNS1_3gpuE5ELNS1_3repE0EEENS1_59segmented_radix_sort_warp_sort_small_config_static_selectorELNS0_4arch9wavefront6targetE1EEEvSH_.uses_vcc, 0
	.set _ZN7rocprim17ROCPRIM_400000_NS6detail17trampoline_kernelINS0_14default_configENS1_36segmented_radix_sort_config_selectorIllEEZNS1_25segmented_radix_sort_implIS3_Lb1EPKlPlS8_S9_N2at6native12_GLOBAL__N_18offset_tEEE10hipError_tPvRmT1_PNSt15iterator_traitsISH_E10value_typeET2_T3_PNSI_ISN_E10value_typeET4_jRbjT5_ST_jjP12ihipStream_tbEUlT_E1_NS1_11comp_targetILNS1_3genE10ELNS1_11target_archE1201ELNS1_3gpuE5ELNS1_3repE0EEENS1_59segmented_radix_sort_warp_sort_small_config_static_selectorELNS0_4arch9wavefront6targetE1EEEvSH_.uses_flat_scratch, 0
	.set _ZN7rocprim17ROCPRIM_400000_NS6detail17trampoline_kernelINS0_14default_configENS1_36segmented_radix_sort_config_selectorIllEEZNS1_25segmented_radix_sort_implIS3_Lb1EPKlPlS8_S9_N2at6native12_GLOBAL__N_18offset_tEEE10hipError_tPvRmT1_PNSt15iterator_traitsISH_E10value_typeET2_T3_PNSI_ISN_E10value_typeET4_jRbjT5_ST_jjP12ihipStream_tbEUlT_E1_NS1_11comp_targetILNS1_3genE10ELNS1_11target_archE1201ELNS1_3gpuE5ELNS1_3repE0EEENS1_59segmented_radix_sort_warp_sort_small_config_static_selectorELNS0_4arch9wavefront6targetE1EEEvSH_.has_dyn_sized_stack, 0
	.set _ZN7rocprim17ROCPRIM_400000_NS6detail17trampoline_kernelINS0_14default_configENS1_36segmented_radix_sort_config_selectorIllEEZNS1_25segmented_radix_sort_implIS3_Lb1EPKlPlS8_S9_N2at6native12_GLOBAL__N_18offset_tEEE10hipError_tPvRmT1_PNSt15iterator_traitsISH_E10value_typeET2_T3_PNSI_ISN_E10value_typeET4_jRbjT5_ST_jjP12ihipStream_tbEUlT_E1_NS1_11comp_targetILNS1_3genE10ELNS1_11target_archE1201ELNS1_3gpuE5ELNS1_3repE0EEENS1_59segmented_radix_sort_warp_sort_small_config_static_selectorELNS0_4arch9wavefront6targetE1EEEvSH_.has_recursion, 0
	.set _ZN7rocprim17ROCPRIM_400000_NS6detail17trampoline_kernelINS0_14default_configENS1_36segmented_radix_sort_config_selectorIllEEZNS1_25segmented_radix_sort_implIS3_Lb1EPKlPlS8_S9_N2at6native12_GLOBAL__N_18offset_tEEE10hipError_tPvRmT1_PNSt15iterator_traitsISH_E10value_typeET2_T3_PNSI_ISN_E10value_typeET4_jRbjT5_ST_jjP12ihipStream_tbEUlT_E1_NS1_11comp_targetILNS1_3genE10ELNS1_11target_archE1201ELNS1_3gpuE5ELNS1_3repE0EEENS1_59segmented_radix_sort_warp_sort_small_config_static_selectorELNS0_4arch9wavefront6targetE1EEEvSH_.has_indirect_call, 0
	.section	.AMDGPU.csdata,"",@progbits
; Kernel info:
; codeLenInByte = 0
; TotalNumSgprs: 4
; NumVgprs: 0
; ScratchSize: 0
; MemoryBound: 0
; FloatMode: 240
; IeeeMode: 1
; LDSByteSize: 0 bytes/workgroup (compile time only)
; SGPRBlocks: 0
; VGPRBlocks: 0
; NumSGPRsForWavesPerEU: 4
; NumVGPRsForWavesPerEU: 1
; Occupancy: 10
; WaveLimiterHint : 0
; COMPUTE_PGM_RSRC2:SCRATCH_EN: 0
; COMPUTE_PGM_RSRC2:USER_SGPR: 6
; COMPUTE_PGM_RSRC2:TRAP_HANDLER: 0
; COMPUTE_PGM_RSRC2:TGID_X_EN: 1
; COMPUTE_PGM_RSRC2:TGID_Y_EN: 0
; COMPUTE_PGM_RSRC2:TGID_Z_EN: 0
; COMPUTE_PGM_RSRC2:TIDIG_COMP_CNT: 0
	.section	.text._ZN7rocprim17ROCPRIM_400000_NS6detail17trampoline_kernelINS0_14default_configENS1_36segmented_radix_sort_config_selectorIllEEZNS1_25segmented_radix_sort_implIS3_Lb1EPKlPlS8_S9_N2at6native12_GLOBAL__N_18offset_tEEE10hipError_tPvRmT1_PNSt15iterator_traitsISH_E10value_typeET2_T3_PNSI_ISN_E10value_typeET4_jRbjT5_ST_jjP12ihipStream_tbEUlT_E1_NS1_11comp_targetILNS1_3genE10ELNS1_11target_archE1200ELNS1_3gpuE4ELNS1_3repE0EEENS1_59segmented_radix_sort_warp_sort_small_config_static_selectorELNS0_4arch9wavefront6targetE1EEEvSH_,"axG",@progbits,_ZN7rocprim17ROCPRIM_400000_NS6detail17trampoline_kernelINS0_14default_configENS1_36segmented_radix_sort_config_selectorIllEEZNS1_25segmented_radix_sort_implIS3_Lb1EPKlPlS8_S9_N2at6native12_GLOBAL__N_18offset_tEEE10hipError_tPvRmT1_PNSt15iterator_traitsISH_E10value_typeET2_T3_PNSI_ISN_E10value_typeET4_jRbjT5_ST_jjP12ihipStream_tbEUlT_E1_NS1_11comp_targetILNS1_3genE10ELNS1_11target_archE1200ELNS1_3gpuE4ELNS1_3repE0EEENS1_59segmented_radix_sort_warp_sort_small_config_static_selectorELNS0_4arch9wavefront6targetE1EEEvSH_,comdat
	.globl	_ZN7rocprim17ROCPRIM_400000_NS6detail17trampoline_kernelINS0_14default_configENS1_36segmented_radix_sort_config_selectorIllEEZNS1_25segmented_radix_sort_implIS3_Lb1EPKlPlS8_S9_N2at6native12_GLOBAL__N_18offset_tEEE10hipError_tPvRmT1_PNSt15iterator_traitsISH_E10value_typeET2_T3_PNSI_ISN_E10value_typeET4_jRbjT5_ST_jjP12ihipStream_tbEUlT_E1_NS1_11comp_targetILNS1_3genE10ELNS1_11target_archE1200ELNS1_3gpuE4ELNS1_3repE0EEENS1_59segmented_radix_sort_warp_sort_small_config_static_selectorELNS0_4arch9wavefront6targetE1EEEvSH_ ; -- Begin function _ZN7rocprim17ROCPRIM_400000_NS6detail17trampoline_kernelINS0_14default_configENS1_36segmented_radix_sort_config_selectorIllEEZNS1_25segmented_radix_sort_implIS3_Lb1EPKlPlS8_S9_N2at6native12_GLOBAL__N_18offset_tEEE10hipError_tPvRmT1_PNSt15iterator_traitsISH_E10value_typeET2_T3_PNSI_ISN_E10value_typeET4_jRbjT5_ST_jjP12ihipStream_tbEUlT_E1_NS1_11comp_targetILNS1_3genE10ELNS1_11target_archE1200ELNS1_3gpuE4ELNS1_3repE0EEENS1_59segmented_radix_sort_warp_sort_small_config_static_selectorELNS0_4arch9wavefront6targetE1EEEvSH_
	.p2align	8
	.type	_ZN7rocprim17ROCPRIM_400000_NS6detail17trampoline_kernelINS0_14default_configENS1_36segmented_radix_sort_config_selectorIllEEZNS1_25segmented_radix_sort_implIS3_Lb1EPKlPlS8_S9_N2at6native12_GLOBAL__N_18offset_tEEE10hipError_tPvRmT1_PNSt15iterator_traitsISH_E10value_typeET2_T3_PNSI_ISN_E10value_typeET4_jRbjT5_ST_jjP12ihipStream_tbEUlT_E1_NS1_11comp_targetILNS1_3genE10ELNS1_11target_archE1200ELNS1_3gpuE4ELNS1_3repE0EEENS1_59segmented_radix_sort_warp_sort_small_config_static_selectorELNS0_4arch9wavefront6targetE1EEEvSH_,@function
_ZN7rocprim17ROCPRIM_400000_NS6detail17trampoline_kernelINS0_14default_configENS1_36segmented_radix_sort_config_selectorIllEEZNS1_25segmented_radix_sort_implIS3_Lb1EPKlPlS8_S9_N2at6native12_GLOBAL__N_18offset_tEEE10hipError_tPvRmT1_PNSt15iterator_traitsISH_E10value_typeET2_T3_PNSI_ISN_E10value_typeET4_jRbjT5_ST_jjP12ihipStream_tbEUlT_E1_NS1_11comp_targetILNS1_3genE10ELNS1_11target_archE1200ELNS1_3gpuE4ELNS1_3repE0EEENS1_59segmented_radix_sort_warp_sort_small_config_static_selectorELNS0_4arch9wavefront6targetE1EEEvSH_: ; @_ZN7rocprim17ROCPRIM_400000_NS6detail17trampoline_kernelINS0_14default_configENS1_36segmented_radix_sort_config_selectorIllEEZNS1_25segmented_radix_sort_implIS3_Lb1EPKlPlS8_S9_N2at6native12_GLOBAL__N_18offset_tEEE10hipError_tPvRmT1_PNSt15iterator_traitsISH_E10value_typeET2_T3_PNSI_ISN_E10value_typeET4_jRbjT5_ST_jjP12ihipStream_tbEUlT_E1_NS1_11comp_targetILNS1_3genE10ELNS1_11target_archE1200ELNS1_3gpuE4ELNS1_3repE0EEENS1_59segmented_radix_sort_warp_sort_small_config_static_selectorELNS0_4arch9wavefront6targetE1EEEvSH_
; %bb.0:
	.section	.rodata,"a",@progbits
	.p2align	6, 0x0
	.amdhsa_kernel _ZN7rocprim17ROCPRIM_400000_NS6detail17trampoline_kernelINS0_14default_configENS1_36segmented_radix_sort_config_selectorIllEEZNS1_25segmented_radix_sort_implIS3_Lb1EPKlPlS8_S9_N2at6native12_GLOBAL__N_18offset_tEEE10hipError_tPvRmT1_PNSt15iterator_traitsISH_E10value_typeET2_T3_PNSI_ISN_E10value_typeET4_jRbjT5_ST_jjP12ihipStream_tbEUlT_E1_NS1_11comp_targetILNS1_3genE10ELNS1_11target_archE1200ELNS1_3gpuE4ELNS1_3repE0EEENS1_59segmented_radix_sort_warp_sort_small_config_static_selectorELNS0_4arch9wavefront6targetE1EEEvSH_
		.amdhsa_group_segment_fixed_size 0
		.amdhsa_private_segment_fixed_size 0
		.amdhsa_kernarg_size 88
		.amdhsa_user_sgpr_count 6
		.amdhsa_user_sgpr_private_segment_buffer 1
		.amdhsa_user_sgpr_dispatch_ptr 0
		.amdhsa_user_sgpr_queue_ptr 0
		.amdhsa_user_sgpr_kernarg_segment_ptr 1
		.amdhsa_user_sgpr_dispatch_id 0
		.amdhsa_user_sgpr_flat_scratch_init 0
		.amdhsa_user_sgpr_private_segment_size 0
		.amdhsa_uses_dynamic_stack 0
		.amdhsa_system_sgpr_private_segment_wavefront_offset 0
		.amdhsa_system_sgpr_workgroup_id_x 1
		.amdhsa_system_sgpr_workgroup_id_y 0
		.amdhsa_system_sgpr_workgroup_id_z 0
		.amdhsa_system_sgpr_workgroup_info 0
		.amdhsa_system_vgpr_workitem_id 0
		.amdhsa_next_free_vgpr 1
		.amdhsa_next_free_sgpr 0
		.amdhsa_reserve_vcc 0
		.amdhsa_reserve_flat_scratch 0
		.amdhsa_float_round_mode_32 0
		.amdhsa_float_round_mode_16_64 0
		.amdhsa_float_denorm_mode_32 3
		.amdhsa_float_denorm_mode_16_64 3
		.amdhsa_dx10_clamp 1
		.amdhsa_ieee_mode 1
		.amdhsa_fp16_overflow 0
		.amdhsa_exception_fp_ieee_invalid_op 0
		.amdhsa_exception_fp_denorm_src 0
		.amdhsa_exception_fp_ieee_div_zero 0
		.amdhsa_exception_fp_ieee_overflow 0
		.amdhsa_exception_fp_ieee_underflow 0
		.amdhsa_exception_fp_ieee_inexact 0
		.amdhsa_exception_int_div_zero 0
	.end_amdhsa_kernel
	.section	.text._ZN7rocprim17ROCPRIM_400000_NS6detail17trampoline_kernelINS0_14default_configENS1_36segmented_radix_sort_config_selectorIllEEZNS1_25segmented_radix_sort_implIS3_Lb1EPKlPlS8_S9_N2at6native12_GLOBAL__N_18offset_tEEE10hipError_tPvRmT1_PNSt15iterator_traitsISH_E10value_typeET2_T3_PNSI_ISN_E10value_typeET4_jRbjT5_ST_jjP12ihipStream_tbEUlT_E1_NS1_11comp_targetILNS1_3genE10ELNS1_11target_archE1200ELNS1_3gpuE4ELNS1_3repE0EEENS1_59segmented_radix_sort_warp_sort_small_config_static_selectorELNS0_4arch9wavefront6targetE1EEEvSH_,"axG",@progbits,_ZN7rocprim17ROCPRIM_400000_NS6detail17trampoline_kernelINS0_14default_configENS1_36segmented_radix_sort_config_selectorIllEEZNS1_25segmented_radix_sort_implIS3_Lb1EPKlPlS8_S9_N2at6native12_GLOBAL__N_18offset_tEEE10hipError_tPvRmT1_PNSt15iterator_traitsISH_E10value_typeET2_T3_PNSI_ISN_E10value_typeET4_jRbjT5_ST_jjP12ihipStream_tbEUlT_E1_NS1_11comp_targetILNS1_3genE10ELNS1_11target_archE1200ELNS1_3gpuE4ELNS1_3repE0EEENS1_59segmented_radix_sort_warp_sort_small_config_static_selectorELNS0_4arch9wavefront6targetE1EEEvSH_,comdat
.Lfunc_end731:
	.size	_ZN7rocprim17ROCPRIM_400000_NS6detail17trampoline_kernelINS0_14default_configENS1_36segmented_radix_sort_config_selectorIllEEZNS1_25segmented_radix_sort_implIS3_Lb1EPKlPlS8_S9_N2at6native12_GLOBAL__N_18offset_tEEE10hipError_tPvRmT1_PNSt15iterator_traitsISH_E10value_typeET2_T3_PNSI_ISN_E10value_typeET4_jRbjT5_ST_jjP12ihipStream_tbEUlT_E1_NS1_11comp_targetILNS1_3genE10ELNS1_11target_archE1200ELNS1_3gpuE4ELNS1_3repE0EEENS1_59segmented_radix_sort_warp_sort_small_config_static_selectorELNS0_4arch9wavefront6targetE1EEEvSH_, .Lfunc_end731-_ZN7rocprim17ROCPRIM_400000_NS6detail17trampoline_kernelINS0_14default_configENS1_36segmented_radix_sort_config_selectorIllEEZNS1_25segmented_radix_sort_implIS3_Lb1EPKlPlS8_S9_N2at6native12_GLOBAL__N_18offset_tEEE10hipError_tPvRmT1_PNSt15iterator_traitsISH_E10value_typeET2_T3_PNSI_ISN_E10value_typeET4_jRbjT5_ST_jjP12ihipStream_tbEUlT_E1_NS1_11comp_targetILNS1_3genE10ELNS1_11target_archE1200ELNS1_3gpuE4ELNS1_3repE0EEENS1_59segmented_radix_sort_warp_sort_small_config_static_selectorELNS0_4arch9wavefront6targetE1EEEvSH_
                                        ; -- End function
	.set _ZN7rocprim17ROCPRIM_400000_NS6detail17trampoline_kernelINS0_14default_configENS1_36segmented_radix_sort_config_selectorIllEEZNS1_25segmented_radix_sort_implIS3_Lb1EPKlPlS8_S9_N2at6native12_GLOBAL__N_18offset_tEEE10hipError_tPvRmT1_PNSt15iterator_traitsISH_E10value_typeET2_T3_PNSI_ISN_E10value_typeET4_jRbjT5_ST_jjP12ihipStream_tbEUlT_E1_NS1_11comp_targetILNS1_3genE10ELNS1_11target_archE1200ELNS1_3gpuE4ELNS1_3repE0EEENS1_59segmented_radix_sort_warp_sort_small_config_static_selectorELNS0_4arch9wavefront6targetE1EEEvSH_.num_vgpr, 0
	.set _ZN7rocprim17ROCPRIM_400000_NS6detail17trampoline_kernelINS0_14default_configENS1_36segmented_radix_sort_config_selectorIllEEZNS1_25segmented_radix_sort_implIS3_Lb1EPKlPlS8_S9_N2at6native12_GLOBAL__N_18offset_tEEE10hipError_tPvRmT1_PNSt15iterator_traitsISH_E10value_typeET2_T3_PNSI_ISN_E10value_typeET4_jRbjT5_ST_jjP12ihipStream_tbEUlT_E1_NS1_11comp_targetILNS1_3genE10ELNS1_11target_archE1200ELNS1_3gpuE4ELNS1_3repE0EEENS1_59segmented_radix_sort_warp_sort_small_config_static_selectorELNS0_4arch9wavefront6targetE1EEEvSH_.num_agpr, 0
	.set _ZN7rocprim17ROCPRIM_400000_NS6detail17trampoline_kernelINS0_14default_configENS1_36segmented_radix_sort_config_selectorIllEEZNS1_25segmented_radix_sort_implIS3_Lb1EPKlPlS8_S9_N2at6native12_GLOBAL__N_18offset_tEEE10hipError_tPvRmT1_PNSt15iterator_traitsISH_E10value_typeET2_T3_PNSI_ISN_E10value_typeET4_jRbjT5_ST_jjP12ihipStream_tbEUlT_E1_NS1_11comp_targetILNS1_3genE10ELNS1_11target_archE1200ELNS1_3gpuE4ELNS1_3repE0EEENS1_59segmented_radix_sort_warp_sort_small_config_static_selectorELNS0_4arch9wavefront6targetE1EEEvSH_.numbered_sgpr, 0
	.set _ZN7rocprim17ROCPRIM_400000_NS6detail17trampoline_kernelINS0_14default_configENS1_36segmented_radix_sort_config_selectorIllEEZNS1_25segmented_radix_sort_implIS3_Lb1EPKlPlS8_S9_N2at6native12_GLOBAL__N_18offset_tEEE10hipError_tPvRmT1_PNSt15iterator_traitsISH_E10value_typeET2_T3_PNSI_ISN_E10value_typeET4_jRbjT5_ST_jjP12ihipStream_tbEUlT_E1_NS1_11comp_targetILNS1_3genE10ELNS1_11target_archE1200ELNS1_3gpuE4ELNS1_3repE0EEENS1_59segmented_radix_sort_warp_sort_small_config_static_selectorELNS0_4arch9wavefront6targetE1EEEvSH_.num_named_barrier, 0
	.set _ZN7rocprim17ROCPRIM_400000_NS6detail17trampoline_kernelINS0_14default_configENS1_36segmented_radix_sort_config_selectorIllEEZNS1_25segmented_radix_sort_implIS3_Lb1EPKlPlS8_S9_N2at6native12_GLOBAL__N_18offset_tEEE10hipError_tPvRmT1_PNSt15iterator_traitsISH_E10value_typeET2_T3_PNSI_ISN_E10value_typeET4_jRbjT5_ST_jjP12ihipStream_tbEUlT_E1_NS1_11comp_targetILNS1_3genE10ELNS1_11target_archE1200ELNS1_3gpuE4ELNS1_3repE0EEENS1_59segmented_radix_sort_warp_sort_small_config_static_selectorELNS0_4arch9wavefront6targetE1EEEvSH_.private_seg_size, 0
	.set _ZN7rocprim17ROCPRIM_400000_NS6detail17trampoline_kernelINS0_14default_configENS1_36segmented_radix_sort_config_selectorIllEEZNS1_25segmented_radix_sort_implIS3_Lb1EPKlPlS8_S9_N2at6native12_GLOBAL__N_18offset_tEEE10hipError_tPvRmT1_PNSt15iterator_traitsISH_E10value_typeET2_T3_PNSI_ISN_E10value_typeET4_jRbjT5_ST_jjP12ihipStream_tbEUlT_E1_NS1_11comp_targetILNS1_3genE10ELNS1_11target_archE1200ELNS1_3gpuE4ELNS1_3repE0EEENS1_59segmented_radix_sort_warp_sort_small_config_static_selectorELNS0_4arch9wavefront6targetE1EEEvSH_.uses_vcc, 0
	.set _ZN7rocprim17ROCPRIM_400000_NS6detail17trampoline_kernelINS0_14default_configENS1_36segmented_radix_sort_config_selectorIllEEZNS1_25segmented_radix_sort_implIS3_Lb1EPKlPlS8_S9_N2at6native12_GLOBAL__N_18offset_tEEE10hipError_tPvRmT1_PNSt15iterator_traitsISH_E10value_typeET2_T3_PNSI_ISN_E10value_typeET4_jRbjT5_ST_jjP12ihipStream_tbEUlT_E1_NS1_11comp_targetILNS1_3genE10ELNS1_11target_archE1200ELNS1_3gpuE4ELNS1_3repE0EEENS1_59segmented_radix_sort_warp_sort_small_config_static_selectorELNS0_4arch9wavefront6targetE1EEEvSH_.uses_flat_scratch, 0
	.set _ZN7rocprim17ROCPRIM_400000_NS6detail17trampoline_kernelINS0_14default_configENS1_36segmented_radix_sort_config_selectorIllEEZNS1_25segmented_radix_sort_implIS3_Lb1EPKlPlS8_S9_N2at6native12_GLOBAL__N_18offset_tEEE10hipError_tPvRmT1_PNSt15iterator_traitsISH_E10value_typeET2_T3_PNSI_ISN_E10value_typeET4_jRbjT5_ST_jjP12ihipStream_tbEUlT_E1_NS1_11comp_targetILNS1_3genE10ELNS1_11target_archE1200ELNS1_3gpuE4ELNS1_3repE0EEENS1_59segmented_radix_sort_warp_sort_small_config_static_selectorELNS0_4arch9wavefront6targetE1EEEvSH_.has_dyn_sized_stack, 0
	.set _ZN7rocprim17ROCPRIM_400000_NS6detail17trampoline_kernelINS0_14default_configENS1_36segmented_radix_sort_config_selectorIllEEZNS1_25segmented_radix_sort_implIS3_Lb1EPKlPlS8_S9_N2at6native12_GLOBAL__N_18offset_tEEE10hipError_tPvRmT1_PNSt15iterator_traitsISH_E10value_typeET2_T3_PNSI_ISN_E10value_typeET4_jRbjT5_ST_jjP12ihipStream_tbEUlT_E1_NS1_11comp_targetILNS1_3genE10ELNS1_11target_archE1200ELNS1_3gpuE4ELNS1_3repE0EEENS1_59segmented_radix_sort_warp_sort_small_config_static_selectorELNS0_4arch9wavefront6targetE1EEEvSH_.has_recursion, 0
	.set _ZN7rocprim17ROCPRIM_400000_NS6detail17trampoline_kernelINS0_14default_configENS1_36segmented_radix_sort_config_selectorIllEEZNS1_25segmented_radix_sort_implIS3_Lb1EPKlPlS8_S9_N2at6native12_GLOBAL__N_18offset_tEEE10hipError_tPvRmT1_PNSt15iterator_traitsISH_E10value_typeET2_T3_PNSI_ISN_E10value_typeET4_jRbjT5_ST_jjP12ihipStream_tbEUlT_E1_NS1_11comp_targetILNS1_3genE10ELNS1_11target_archE1200ELNS1_3gpuE4ELNS1_3repE0EEENS1_59segmented_radix_sort_warp_sort_small_config_static_selectorELNS0_4arch9wavefront6targetE1EEEvSH_.has_indirect_call, 0
	.section	.AMDGPU.csdata,"",@progbits
; Kernel info:
; codeLenInByte = 0
; TotalNumSgprs: 4
; NumVgprs: 0
; ScratchSize: 0
; MemoryBound: 0
; FloatMode: 240
; IeeeMode: 1
; LDSByteSize: 0 bytes/workgroup (compile time only)
; SGPRBlocks: 0
; VGPRBlocks: 0
; NumSGPRsForWavesPerEU: 4
; NumVGPRsForWavesPerEU: 1
; Occupancy: 10
; WaveLimiterHint : 0
; COMPUTE_PGM_RSRC2:SCRATCH_EN: 0
; COMPUTE_PGM_RSRC2:USER_SGPR: 6
; COMPUTE_PGM_RSRC2:TRAP_HANDLER: 0
; COMPUTE_PGM_RSRC2:TGID_X_EN: 1
; COMPUTE_PGM_RSRC2:TGID_Y_EN: 0
; COMPUTE_PGM_RSRC2:TGID_Z_EN: 0
; COMPUTE_PGM_RSRC2:TIDIG_COMP_CNT: 0
	.section	.text._ZN7rocprim17ROCPRIM_400000_NS6detail17trampoline_kernelINS0_14default_configENS1_36segmented_radix_sort_config_selectorIllEEZNS1_25segmented_radix_sort_implIS3_Lb1EPKlPlS8_S9_N2at6native12_GLOBAL__N_18offset_tEEE10hipError_tPvRmT1_PNSt15iterator_traitsISH_E10value_typeET2_T3_PNSI_ISN_E10value_typeET4_jRbjT5_ST_jjP12ihipStream_tbEUlT_E1_NS1_11comp_targetILNS1_3genE9ELNS1_11target_archE1100ELNS1_3gpuE3ELNS1_3repE0EEENS1_59segmented_radix_sort_warp_sort_small_config_static_selectorELNS0_4arch9wavefront6targetE1EEEvSH_,"axG",@progbits,_ZN7rocprim17ROCPRIM_400000_NS6detail17trampoline_kernelINS0_14default_configENS1_36segmented_radix_sort_config_selectorIllEEZNS1_25segmented_radix_sort_implIS3_Lb1EPKlPlS8_S9_N2at6native12_GLOBAL__N_18offset_tEEE10hipError_tPvRmT1_PNSt15iterator_traitsISH_E10value_typeET2_T3_PNSI_ISN_E10value_typeET4_jRbjT5_ST_jjP12ihipStream_tbEUlT_E1_NS1_11comp_targetILNS1_3genE9ELNS1_11target_archE1100ELNS1_3gpuE3ELNS1_3repE0EEENS1_59segmented_radix_sort_warp_sort_small_config_static_selectorELNS0_4arch9wavefront6targetE1EEEvSH_,comdat
	.globl	_ZN7rocprim17ROCPRIM_400000_NS6detail17trampoline_kernelINS0_14default_configENS1_36segmented_radix_sort_config_selectorIllEEZNS1_25segmented_radix_sort_implIS3_Lb1EPKlPlS8_S9_N2at6native12_GLOBAL__N_18offset_tEEE10hipError_tPvRmT1_PNSt15iterator_traitsISH_E10value_typeET2_T3_PNSI_ISN_E10value_typeET4_jRbjT5_ST_jjP12ihipStream_tbEUlT_E1_NS1_11comp_targetILNS1_3genE9ELNS1_11target_archE1100ELNS1_3gpuE3ELNS1_3repE0EEENS1_59segmented_radix_sort_warp_sort_small_config_static_selectorELNS0_4arch9wavefront6targetE1EEEvSH_ ; -- Begin function _ZN7rocprim17ROCPRIM_400000_NS6detail17trampoline_kernelINS0_14default_configENS1_36segmented_radix_sort_config_selectorIllEEZNS1_25segmented_radix_sort_implIS3_Lb1EPKlPlS8_S9_N2at6native12_GLOBAL__N_18offset_tEEE10hipError_tPvRmT1_PNSt15iterator_traitsISH_E10value_typeET2_T3_PNSI_ISN_E10value_typeET4_jRbjT5_ST_jjP12ihipStream_tbEUlT_E1_NS1_11comp_targetILNS1_3genE9ELNS1_11target_archE1100ELNS1_3gpuE3ELNS1_3repE0EEENS1_59segmented_radix_sort_warp_sort_small_config_static_selectorELNS0_4arch9wavefront6targetE1EEEvSH_
	.p2align	8
	.type	_ZN7rocprim17ROCPRIM_400000_NS6detail17trampoline_kernelINS0_14default_configENS1_36segmented_radix_sort_config_selectorIllEEZNS1_25segmented_radix_sort_implIS3_Lb1EPKlPlS8_S9_N2at6native12_GLOBAL__N_18offset_tEEE10hipError_tPvRmT1_PNSt15iterator_traitsISH_E10value_typeET2_T3_PNSI_ISN_E10value_typeET4_jRbjT5_ST_jjP12ihipStream_tbEUlT_E1_NS1_11comp_targetILNS1_3genE9ELNS1_11target_archE1100ELNS1_3gpuE3ELNS1_3repE0EEENS1_59segmented_radix_sort_warp_sort_small_config_static_selectorELNS0_4arch9wavefront6targetE1EEEvSH_,@function
_ZN7rocprim17ROCPRIM_400000_NS6detail17trampoline_kernelINS0_14default_configENS1_36segmented_radix_sort_config_selectorIllEEZNS1_25segmented_radix_sort_implIS3_Lb1EPKlPlS8_S9_N2at6native12_GLOBAL__N_18offset_tEEE10hipError_tPvRmT1_PNSt15iterator_traitsISH_E10value_typeET2_T3_PNSI_ISN_E10value_typeET4_jRbjT5_ST_jjP12ihipStream_tbEUlT_E1_NS1_11comp_targetILNS1_3genE9ELNS1_11target_archE1100ELNS1_3gpuE3ELNS1_3repE0EEENS1_59segmented_radix_sort_warp_sort_small_config_static_selectorELNS0_4arch9wavefront6targetE1EEEvSH_: ; @_ZN7rocprim17ROCPRIM_400000_NS6detail17trampoline_kernelINS0_14default_configENS1_36segmented_radix_sort_config_selectorIllEEZNS1_25segmented_radix_sort_implIS3_Lb1EPKlPlS8_S9_N2at6native12_GLOBAL__N_18offset_tEEE10hipError_tPvRmT1_PNSt15iterator_traitsISH_E10value_typeET2_T3_PNSI_ISN_E10value_typeET4_jRbjT5_ST_jjP12ihipStream_tbEUlT_E1_NS1_11comp_targetILNS1_3genE9ELNS1_11target_archE1100ELNS1_3gpuE3ELNS1_3repE0EEENS1_59segmented_radix_sort_warp_sort_small_config_static_selectorELNS0_4arch9wavefront6targetE1EEEvSH_
; %bb.0:
	.section	.rodata,"a",@progbits
	.p2align	6, 0x0
	.amdhsa_kernel _ZN7rocprim17ROCPRIM_400000_NS6detail17trampoline_kernelINS0_14default_configENS1_36segmented_radix_sort_config_selectorIllEEZNS1_25segmented_radix_sort_implIS3_Lb1EPKlPlS8_S9_N2at6native12_GLOBAL__N_18offset_tEEE10hipError_tPvRmT1_PNSt15iterator_traitsISH_E10value_typeET2_T3_PNSI_ISN_E10value_typeET4_jRbjT5_ST_jjP12ihipStream_tbEUlT_E1_NS1_11comp_targetILNS1_3genE9ELNS1_11target_archE1100ELNS1_3gpuE3ELNS1_3repE0EEENS1_59segmented_radix_sort_warp_sort_small_config_static_selectorELNS0_4arch9wavefront6targetE1EEEvSH_
		.amdhsa_group_segment_fixed_size 0
		.amdhsa_private_segment_fixed_size 0
		.amdhsa_kernarg_size 88
		.amdhsa_user_sgpr_count 6
		.amdhsa_user_sgpr_private_segment_buffer 1
		.amdhsa_user_sgpr_dispatch_ptr 0
		.amdhsa_user_sgpr_queue_ptr 0
		.amdhsa_user_sgpr_kernarg_segment_ptr 1
		.amdhsa_user_sgpr_dispatch_id 0
		.amdhsa_user_sgpr_flat_scratch_init 0
		.amdhsa_user_sgpr_private_segment_size 0
		.amdhsa_uses_dynamic_stack 0
		.amdhsa_system_sgpr_private_segment_wavefront_offset 0
		.amdhsa_system_sgpr_workgroup_id_x 1
		.amdhsa_system_sgpr_workgroup_id_y 0
		.amdhsa_system_sgpr_workgroup_id_z 0
		.amdhsa_system_sgpr_workgroup_info 0
		.amdhsa_system_vgpr_workitem_id 0
		.amdhsa_next_free_vgpr 1
		.amdhsa_next_free_sgpr 0
		.amdhsa_reserve_vcc 0
		.amdhsa_reserve_flat_scratch 0
		.amdhsa_float_round_mode_32 0
		.amdhsa_float_round_mode_16_64 0
		.amdhsa_float_denorm_mode_32 3
		.amdhsa_float_denorm_mode_16_64 3
		.amdhsa_dx10_clamp 1
		.amdhsa_ieee_mode 1
		.amdhsa_fp16_overflow 0
		.amdhsa_exception_fp_ieee_invalid_op 0
		.amdhsa_exception_fp_denorm_src 0
		.amdhsa_exception_fp_ieee_div_zero 0
		.amdhsa_exception_fp_ieee_overflow 0
		.amdhsa_exception_fp_ieee_underflow 0
		.amdhsa_exception_fp_ieee_inexact 0
		.amdhsa_exception_int_div_zero 0
	.end_amdhsa_kernel
	.section	.text._ZN7rocprim17ROCPRIM_400000_NS6detail17trampoline_kernelINS0_14default_configENS1_36segmented_radix_sort_config_selectorIllEEZNS1_25segmented_radix_sort_implIS3_Lb1EPKlPlS8_S9_N2at6native12_GLOBAL__N_18offset_tEEE10hipError_tPvRmT1_PNSt15iterator_traitsISH_E10value_typeET2_T3_PNSI_ISN_E10value_typeET4_jRbjT5_ST_jjP12ihipStream_tbEUlT_E1_NS1_11comp_targetILNS1_3genE9ELNS1_11target_archE1100ELNS1_3gpuE3ELNS1_3repE0EEENS1_59segmented_radix_sort_warp_sort_small_config_static_selectorELNS0_4arch9wavefront6targetE1EEEvSH_,"axG",@progbits,_ZN7rocprim17ROCPRIM_400000_NS6detail17trampoline_kernelINS0_14default_configENS1_36segmented_radix_sort_config_selectorIllEEZNS1_25segmented_radix_sort_implIS3_Lb1EPKlPlS8_S9_N2at6native12_GLOBAL__N_18offset_tEEE10hipError_tPvRmT1_PNSt15iterator_traitsISH_E10value_typeET2_T3_PNSI_ISN_E10value_typeET4_jRbjT5_ST_jjP12ihipStream_tbEUlT_E1_NS1_11comp_targetILNS1_3genE9ELNS1_11target_archE1100ELNS1_3gpuE3ELNS1_3repE0EEENS1_59segmented_radix_sort_warp_sort_small_config_static_selectorELNS0_4arch9wavefront6targetE1EEEvSH_,comdat
.Lfunc_end732:
	.size	_ZN7rocprim17ROCPRIM_400000_NS6detail17trampoline_kernelINS0_14default_configENS1_36segmented_radix_sort_config_selectorIllEEZNS1_25segmented_radix_sort_implIS3_Lb1EPKlPlS8_S9_N2at6native12_GLOBAL__N_18offset_tEEE10hipError_tPvRmT1_PNSt15iterator_traitsISH_E10value_typeET2_T3_PNSI_ISN_E10value_typeET4_jRbjT5_ST_jjP12ihipStream_tbEUlT_E1_NS1_11comp_targetILNS1_3genE9ELNS1_11target_archE1100ELNS1_3gpuE3ELNS1_3repE0EEENS1_59segmented_radix_sort_warp_sort_small_config_static_selectorELNS0_4arch9wavefront6targetE1EEEvSH_, .Lfunc_end732-_ZN7rocprim17ROCPRIM_400000_NS6detail17trampoline_kernelINS0_14default_configENS1_36segmented_radix_sort_config_selectorIllEEZNS1_25segmented_radix_sort_implIS3_Lb1EPKlPlS8_S9_N2at6native12_GLOBAL__N_18offset_tEEE10hipError_tPvRmT1_PNSt15iterator_traitsISH_E10value_typeET2_T3_PNSI_ISN_E10value_typeET4_jRbjT5_ST_jjP12ihipStream_tbEUlT_E1_NS1_11comp_targetILNS1_3genE9ELNS1_11target_archE1100ELNS1_3gpuE3ELNS1_3repE0EEENS1_59segmented_radix_sort_warp_sort_small_config_static_selectorELNS0_4arch9wavefront6targetE1EEEvSH_
                                        ; -- End function
	.set _ZN7rocprim17ROCPRIM_400000_NS6detail17trampoline_kernelINS0_14default_configENS1_36segmented_radix_sort_config_selectorIllEEZNS1_25segmented_radix_sort_implIS3_Lb1EPKlPlS8_S9_N2at6native12_GLOBAL__N_18offset_tEEE10hipError_tPvRmT1_PNSt15iterator_traitsISH_E10value_typeET2_T3_PNSI_ISN_E10value_typeET4_jRbjT5_ST_jjP12ihipStream_tbEUlT_E1_NS1_11comp_targetILNS1_3genE9ELNS1_11target_archE1100ELNS1_3gpuE3ELNS1_3repE0EEENS1_59segmented_radix_sort_warp_sort_small_config_static_selectorELNS0_4arch9wavefront6targetE1EEEvSH_.num_vgpr, 0
	.set _ZN7rocprim17ROCPRIM_400000_NS6detail17trampoline_kernelINS0_14default_configENS1_36segmented_radix_sort_config_selectorIllEEZNS1_25segmented_radix_sort_implIS3_Lb1EPKlPlS8_S9_N2at6native12_GLOBAL__N_18offset_tEEE10hipError_tPvRmT1_PNSt15iterator_traitsISH_E10value_typeET2_T3_PNSI_ISN_E10value_typeET4_jRbjT5_ST_jjP12ihipStream_tbEUlT_E1_NS1_11comp_targetILNS1_3genE9ELNS1_11target_archE1100ELNS1_3gpuE3ELNS1_3repE0EEENS1_59segmented_radix_sort_warp_sort_small_config_static_selectorELNS0_4arch9wavefront6targetE1EEEvSH_.num_agpr, 0
	.set _ZN7rocprim17ROCPRIM_400000_NS6detail17trampoline_kernelINS0_14default_configENS1_36segmented_radix_sort_config_selectorIllEEZNS1_25segmented_radix_sort_implIS3_Lb1EPKlPlS8_S9_N2at6native12_GLOBAL__N_18offset_tEEE10hipError_tPvRmT1_PNSt15iterator_traitsISH_E10value_typeET2_T3_PNSI_ISN_E10value_typeET4_jRbjT5_ST_jjP12ihipStream_tbEUlT_E1_NS1_11comp_targetILNS1_3genE9ELNS1_11target_archE1100ELNS1_3gpuE3ELNS1_3repE0EEENS1_59segmented_radix_sort_warp_sort_small_config_static_selectorELNS0_4arch9wavefront6targetE1EEEvSH_.numbered_sgpr, 0
	.set _ZN7rocprim17ROCPRIM_400000_NS6detail17trampoline_kernelINS0_14default_configENS1_36segmented_radix_sort_config_selectorIllEEZNS1_25segmented_radix_sort_implIS3_Lb1EPKlPlS8_S9_N2at6native12_GLOBAL__N_18offset_tEEE10hipError_tPvRmT1_PNSt15iterator_traitsISH_E10value_typeET2_T3_PNSI_ISN_E10value_typeET4_jRbjT5_ST_jjP12ihipStream_tbEUlT_E1_NS1_11comp_targetILNS1_3genE9ELNS1_11target_archE1100ELNS1_3gpuE3ELNS1_3repE0EEENS1_59segmented_radix_sort_warp_sort_small_config_static_selectorELNS0_4arch9wavefront6targetE1EEEvSH_.num_named_barrier, 0
	.set _ZN7rocprim17ROCPRIM_400000_NS6detail17trampoline_kernelINS0_14default_configENS1_36segmented_radix_sort_config_selectorIllEEZNS1_25segmented_radix_sort_implIS3_Lb1EPKlPlS8_S9_N2at6native12_GLOBAL__N_18offset_tEEE10hipError_tPvRmT1_PNSt15iterator_traitsISH_E10value_typeET2_T3_PNSI_ISN_E10value_typeET4_jRbjT5_ST_jjP12ihipStream_tbEUlT_E1_NS1_11comp_targetILNS1_3genE9ELNS1_11target_archE1100ELNS1_3gpuE3ELNS1_3repE0EEENS1_59segmented_radix_sort_warp_sort_small_config_static_selectorELNS0_4arch9wavefront6targetE1EEEvSH_.private_seg_size, 0
	.set _ZN7rocprim17ROCPRIM_400000_NS6detail17trampoline_kernelINS0_14default_configENS1_36segmented_radix_sort_config_selectorIllEEZNS1_25segmented_radix_sort_implIS3_Lb1EPKlPlS8_S9_N2at6native12_GLOBAL__N_18offset_tEEE10hipError_tPvRmT1_PNSt15iterator_traitsISH_E10value_typeET2_T3_PNSI_ISN_E10value_typeET4_jRbjT5_ST_jjP12ihipStream_tbEUlT_E1_NS1_11comp_targetILNS1_3genE9ELNS1_11target_archE1100ELNS1_3gpuE3ELNS1_3repE0EEENS1_59segmented_radix_sort_warp_sort_small_config_static_selectorELNS0_4arch9wavefront6targetE1EEEvSH_.uses_vcc, 0
	.set _ZN7rocprim17ROCPRIM_400000_NS6detail17trampoline_kernelINS0_14default_configENS1_36segmented_radix_sort_config_selectorIllEEZNS1_25segmented_radix_sort_implIS3_Lb1EPKlPlS8_S9_N2at6native12_GLOBAL__N_18offset_tEEE10hipError_tPvRmT1_PNSt15iterator_traitsISH_E10value_typeET2_T3_PNSI_ISN_E10value_typeET4_jRbjT5_ST_jjP12ihipStream_tbEUlT_E1_NS1_11comp_targetILNS1_3genE9ELNS1_11target_archE1100ELNS1_3gpuE3ELNS1_3repE0EEENS1_59segmented_radix_sort_warp_sort_small_config_static_selectorELNS0_4arch9wavefront6targetE1EEEvSH_.uses_flat_scratch, 0
	.set _ZN7rocprim17ROCPRIM_400000_NS6detail17trampoline_kernelINS0_14default_configENS1_36segmented_radix_sort_config_selectorIllEEZNS1_25segmented_radix_sort_implIS3_Lb1EPKlPlS8_S9_N2at6native12_GLOBAL__N_18offset_tEEE10hipError_tPvRmT1_PNSt15iterator_traitsISH_E10value_typeET2_T3_PNSI_ISN_E10value_typeET4_jRbjT5_ST_jjP12ihipStream_tbEUlT_E1_NS1_11comp_targetILNS1_3genE9ELNS1_11target_archE1100ELNS1_3gpuE3ELNS1_3repE0EEENS1_59segmented_radix_sort_warp_sort_small_config_static_selectorELNS0_4arch9wavefront6targetE1EEEvSH_.has_dyn_sized_stack, 0
	.set _ZN7rocprim17ROCPRIM_400000_NS6detail17trampoline_kernelINS0_14default_configENS1_36segmented_radix_sort_config_selectorIllEEZNS1_25segmented_radix_sort_implIS3_Lb1EPKlPlS8_S9_N2at6native12_GLOBAL__N_18offset_tEEE10hipError_tPvRmT1_PNSt15iterator_traitsISH_E10value_typeET2_T3_PNSI_ISN_E10value_typeET4_jRbjT5_ST_jjP12ihipStream_tbEUlT_E1_NS1_11comp_targetILNS1_3genE9ELNS1_11target_archE1100ELNS1_3gpuE3ELNS1_3repE0EEENS1_59segmented_radix_sort_warp_sort_small_config_static_selectorELNS0_4arch9wavefront6targetE1EEEvSH_.has_recursion, 0
	.set _ZN7rocprim17ROCPRIM_400000_NS6detail17trampoline_kernelINS0_14default_configENS1_36segmented_radix_sort_config_selectorIllEEZNS1_25segmented_radix_sort_implIS3_Lb1EPKlPlS8_S9_N2at6native12_GLOBAL__N_18offset_tEEE10hipError_tPvRmT1_PNSt15iterator_traitsISH_E10value_typeET2_T3_PNSI_ISN_E10value_typeET4_jRbjT5_ST_jjP12ihipStream_tbEUlT_E1_NS1_11comp_targetILNS1_3genE9ELNS1_11target_archE1100ELNS1_3gpuE3ELNS1_3repE0EEENS1_59segmented_radix_sort_warp_sort_small_config_static_selectorELNS0_4arch9wavefront6targetE1EEEvSH_.has_indirect_call, 0
	.section	.AMDGPU.csdata,"",@progbits
; Kernel info:
; codeLenInByte = 0
; TotalNumSgprs: 4
; NumVgprs: 0
; ScratchSize: 0
; MemoryBound: 0
; FloatMode: 240
; IeeeMode: 1
; LDSByteSize: 0 bytes/workgroup (compile time only)
; SGPRBlocks: 0
; VGPRBlocks: 0
; NumSGPRsForWavesPerEU: 4
; NumVGPRsForWavesPerEU: 1
; Occupancy: 10
; WaveLimiterHint : 0
; COMPUTE_PGM_RSRC2:SCRATCH_EN: 0
; COMPUTE_PGM_RSRC2:USER_SGPR: 6
; COMPUTE_PGM_RSRC2:TRAP_HANDLER: 0
; COMPUTE_PGM_RSRC2:TGID_X_EN: 1
; COMPUTE_PGM_RSRC2:TGID_Y_EN: 0
; COMPUTE_PGM_RSRC2:TGID_Z_EN: 0
; COMPUTE_PGM_RSRC2:TIDIG_COMP_CNT: 0
	.section	.text._ZN7rocprim17ROCPRIM_400000_NS6detail17trampoline_kernelINS0_14default_configENS1_36segmented_radix_sort_config_selectorIllEEZNS1_25segmented_radix_sort_implIS3_Lb1EPKlPlS8_S9_N2at6native12_GLOBAL__N_18offset_tEEE10hipError_tPvRmT1_PNSt15iterator_traitsISH_E10value_typeET2_T3_PNSI_ISN_E10value_typeET4_jRbjT5_ST_jjP12ihipStream_tbEUlT_E1_NS1_11comp_targetILNS1_3genE8ELNS1_11target_archE1030ELNS1_3gpuE2ELNS1_3repE0EEENS1_59segmented_radix_sort_warp_sort_small_config_static_selectorELNS0_4arch9wavefront6targetE1EEEvSH_,"axG",@progbits,_ZN7rocprim17ROCPRIM_400000_NS6detail17trampoline_kernelINS0_14default_configENS1_36segmented_radix_sort_config_selectorIllEEZNS1_25segmented_radix_sort_implIS3_Lb1EPKlPlS8_S9_N2at6native12_GLOBAL__N_18offset_tEEE10hipError_tPvRmT1_PNSt15iterator_traitsISH_E10value_typeET2_T3_PNSI_ISN_E10value_typeET4_jRbjT5_ST_jjP12ihipStream_tbEUlT_E1_NS1_11comp_targetILNS1_3genE8ELNS1_11target_archE1030ELNS1_3gpuE2ELNS1_3repE0EEENS1_59segmented_radix_sort_warp_sort_small_config_static_selectorELNS0_4arch9wavefront6targetE1EEEvSH_,comdat
	.globl	_ZN7rocprim17ROCPRIM_400000_NS6detail17trampoline_kernelINS0_14default_configENS1_36segmented_radix_sort_config_selectorIllEEZNS1_25segmented_radix_sort_implIS3_Lb1EPKlPlS8_S9_N2at6native12_GLOBAL__N_18offset_tEEE10hipError_tPvRmT1_PNSt15iterator_traitsISH_E10value_typeET2_T3_PNSI_ISN_E10value_typeET4_jRbjT5_ST_jjP12ihipStream_tbEUlT_E1_NS1_11comp_targetILNS1_3genE8ELNS1_11target_archE1030ELNS1_3gpuE2ELNS1_3repE0EEENS1_59segmented_radix_sort_warp_sort_small_config_static_selectorELNS0_4arch9wavefront6targetE1EEEvSH_ ; -- Begin function _ZN7rocprim17ROCPRIM_400000_NS6detail17trampoline_kernelINS0_14default_configENS1_36segmented_radix_sort_config_selectorIllEEZNS1_25segmented_radix_sort_implIS3_Lb1EPKlPlS8_S9_N2at6native12_GLOBAL__N_18offset_tEEE10hipError_tPvRmT1_PNSt15iterator_traitsISH_E10value_typeET2_T3_PNSI_ISN_E10value_typeET4_jRbjT5_ST_jjP12ihipStream_tbEUlT_E1_NS1_11comp_targetILNS1_3genE8ELNS1_11target_archE1030ELNS1_3gpuE2ELNS1_3repE0EEENS1_59segmented_radix_sort_warp_sort_small_config_static_selectorELNS0_4arch9wavefront6targetE1EEEvSH_
	.p2align	8
	.type	_ZN7rocprim17ROCPRIM_400000_NS6detail17trampoline_kernelINS0_14default_configENS1_36segmented_radix_sort_config_selectorIllEEZNS1_25segmented_radix_sort_implIS3_Lb1EPKlPlS8_S9_N2at6native12_GLOBAL__N_18offset_tEEE10hipError_tPvRmT1_PNSt15iterator_traitsISH_E10value_typeET2_T3_PNSI_ISN_E10value_typeET4_jRbjT5_ST_jjP12ihipStream_tbEUlT_E1_NS1_11comp_targetILNS1_3genE8ELNS1_11target_archE1030ELNS1_3gpuE2ELNS1_3repE0EEENS1_59segmented_radix_sort_warp_sort_small_config_static_selectorELNS0_4arch9wavefront6targetE1EEEvSH_,@function
_ZN7rocprim17ROCPRIM_400000_NS6detail17trampoline_kernelINS0_14default_configENS1_36segmented_radix_sort_config_selectorIllEEZNS1_25segmented_radix_sort_implIS3_Lb1EPKlPlS8_S9_N2at6native12_GLOBAL__N_18offset_tEEE10hipError_tPvRmT1_PNSt15iterator_traitsISH_E10value_typeET2_T3_PNSI_ISN_E10value_typeET4_jRbjT5_ST_jjP12ihipStream_tbEUlT_E1_NS1_11comp_targetILNS1_3genE8ELNS1_11target_archE1030ELNS1_3gpuE2ELNS1_3repE0EEENS1_59segmented_radix_sort_warp_sort_small_config_static_selectorELNS0_4arch9wavefront6targetE1EEEvSH_: ; @_ZN7rocprim17ROCPRIM_400000_NS6detail17trampoline_kernelINS0_14default_configENS1_36segmented_radix_sort_config_selectorIllEEZNS1_25segmented_radix_sort_implIS3_Lb1EPKlPlS8_S9_N2at6native12_GLOBAL__N_18offset_tEEE10hipError_tPvRmT1_PNSt15iterator_traitsISH_E10value_typeET2_T3_PNSI_ISN_E10value_typeET4_jRbjT5_ST_jjP12ihipStream_tbEUlT_E1_NS1_11comp_targetILNS1_3genE8ELNS1_11target_archE1030ELNS1_3gpuE2ELNS1_3repE0EEENS1_59segmented_radix_sort_warp_sort_small_config_static_selectorELNS0_4arch9wavefront6targetE1EEEvSH_
; %bb.0:
	.section	.rodata,"a",@progbits
	.p2align	6, 0x0
	.amdhsa_kernel _ZN7rocprim17ROCPRIM_400000_NS6detail17trampoline_kernelINS0_14default_configENS1_36segmented_radix_sort_config_selectorIllEEZNS1_25segmented_radix_sort_implIS3_Lb1EPKlPlS8_S9_N2at6native12_GLOBAL__N_18offset_tEEE10hipError_tPvRmT1_PNSt15iterator_traitsISH_E10value_typeET2_T3_PNSI_ISN_E10value_typeET4_jRbjT5_ST_jjP12ihipStream_tbEUlT_E1_NS1_11comp_targetILNS1_3genE8ELNS1_11target_archE1030ELNS1_3gpuE2ELNS1_3repE0EEENS1_59segmented_radix_sort_warp_sort_small_config_static_selectorELNS0_4arch9wavefront6targetE1EEEvSH_
		.amdhsa_group_segment_fixed_size 0
		.amdhsa_private_segment_fixed_size 0
		.amdhsa_kernarg_size 88
		.amdhsa_user_sgpr_count 6
		.amdhsa_user_sgpr_private_segment_buffer 1
		.amdhsa_user_sgpr_dispatch_ptr 0
		.amdhsa_user_sgpr_queue_ptr 0
		.amdhsa_user_sgpr_kernarg_segment_ptr 1
		.amdhsa_user_sgpr_dispatch_id 0
		.amdhsa_user_sgpr_flat_scratch_init 0
		.amdhsa_user_sgpr_private_segment_size 0
		.amdhsa_uses_dynamic_stack 0
		.amdhsa_system_sgpr_private_segment_wavefront_offset 0
		.amdhsa_system_sgpr_workgroup_id_x 1
		.amdhsa_system_sgpr_workgroup_id_y 0
		.amdhsa_system_sgpr_workgroup_id_z 0
		.amdhsa_system_sgpr_workgroup_info 0
		.amdhsa_system_vgpr_workitem_id 0
		.amdhsa_next_free_vgpr 1
		.amdhsa_next_free_sgpr 0
		.amdhsa_reserve_vcc 0
		.amdhsa_reserve_flat_scratch 0
		.amdhsa_float_round_mode_32 0
		.amdhsa_float_round_mode_16_64 0
		.amdhsa_float_denorm_mode_32 3
		.amdhsa_float_denorm_mode_16_64 3
		.amdhsa_dx10_clamp 1
		.amdhsa_ieee_mode 1
		.amdhsa_fp16_overflow 0
		.amdhsa_exception_fp_ieee_invalid_op 0
		.amdhsa_exception_fp_denorm_src 0
		.amdhsa_exception_fp_ieee_div_zero 0
		.amdhsa_exception_fp_ieee_overflow 0
		.amdhsa_exception_fp_ieee_underflow 0
		.amdhsa_exception_fp_ieee_inexact 0
		.amdhsa_exception_int_div_zero 0
	.end_amdhsa_kernel
	.section	.text._ZN7rocprim17ROCPRIM_400000_NS6detail17trampoline_kernelINS0_14default_configENS1_36segmented_radix_sort_config_selectorIllEEZNS1_25segmented_radix_sort_implIS3_Lb1EPKlPlS8_S9_N2at6native12_GLOBAL__N_18offset_tEEE10hipError_tPvRmT1_PNSt15iterator_traitsISH_E10value_typeET2_T3_PNSI_ISN_E10value_typeET4_jRbjT5_ST_jjP12ihipStream_tbEUlT_E1_NS1_11comp_targetILNS1_3genE8ELNS1_11target_archE1030ELNS1_3gpuE2ELNS1_3repE0EEENS1_59segmented_radix_sort_warp_sort_small_config_static_selectorELNS0_4arch9wavefront6targetE1EEEvSH_,"axG",@progbits,_ZN7rocprim17ROCPRIM_400000_NS6detail17trampoline_kernelINS0_14default_configENS1_36segmented_radix_sort_config_selectorIllEEZNS1_25segmented_radix_sort_implIS3_Lb1EPKlPlS8_S9_N2at6native12_GLOBAL__N_18offset_tEEE10hipError_tPvRmT1_PNSt15iterator_traitsISH_E10value_typeET2_T3_PNSI_ISN_E10value_typeET4_jRbjT5_ST_jjP12ihipStream_tbEUlT_E1_NS1_11comp_targetILNS1_3genE8ELNS1_11target_archE1030ELNS1_3gpuE2ELNS1_3repE0EEENS1_59segmented_radix_sort_warp_sort_small_config_static_selectorELNS0_4arch9wavefront6targetE1EEEvSH_,comdat
.Lfunc_end733:
	.size	_ZN7rocprim17ROCPRIM_400000_NS6detail17trampoline_kernelINS0_14default_configENS1_36segmented_radix_sort_config_selectorIllEEZNS1_25segmented_radix_sort_implIS3_Lb1EPKlPlS8_S9_N2at6native12_GLOBAL__N_18offset_tEEE10hipError_tPvRmT1_PNSt15iterator_traitsISH_E10value_typeET2_T3_PNSI_ISN_E10value_typeET4_jRbjT5_ST_jjP12ihipStream_tbEUlT_E1_NS1_11comp_targetILNS1_3genE8ELNS1_11target_archE1030ELNS1_3gpuE2ELNS1_3repE0EEENS1_59segmented_radix_sort_warp_sort_small_config_static_selectorELNS0_4arch9wavefront6targetE1EEEvSH_, .Lfunc_end733-_ZN7rocprim17ROCPRIM_400000_NS6detail17trampoline_kernelINS0_14default_configENS1_36segmented_radix_sort_config_selectorIllEEZNS1_25segmented_radix_sort_implIS3_Lb1EPKlPlS8_S9_N2at6native12_GLOBAL__N_18offset_tEEE10hipError_tPvRmT1_PNSt15iterator_traitsISH_E10value_typeET2_T3_PNSI_ISN_E10value_typeET4_jRbjT5_ST_jjP12ihipStream_tbEUlT_E1_NS1_11comp_targetILNS1_3genE8ELNS1_11target_archE1030ELNS1_3gpuE2ELNS1_3repE0EEENS1_59segmented_radix_sort_warp_sort_small_config_static_selectorELNS0_4arch9wavefront6targetE1EEEvSH_
                                        ; -- End function
	.set _ZN7rocprim17ROCPRIM_400000_NS6detail17trampoline_kernelINS0_14default_configENS1_36segmented_radix_sort_config_selectorIllEEZNS1_25segmented_radix_sort_implIS3_Lb1EPKlPlS8_S9_N2at6native12_GLOBAL__N_18offset_tEEE10hipError_tPvRmT1_PNSt15iterator_traitsISH_E10value_typeET2_T3_PNSI_ISN_E10value_typeET4_jRbjT5_ST_jjP12ihipStream_tbEUlT_E1_NS1_11comp_targetILNS1_3genE8ELNS1_11target_archE1030ELNS1_3gpuE2ELNS1_3repE0EEENS1_59segmented_radix_sort_warp_sort_small_config_static_selectorELNS0_4arch9wavefront6targetE1EEEvSH_.num_vgpr, 0
	.set _ZN7rocprim17ROCPRIM_400000_NS6detail17trampoline_kernelINS0_14default_configENS1_36segmented_radix_sort_config_selectorIllEEZNS1_25segmented_radix_sort_implIS3_Lb1EPKlPlS8_S9_N2at6native12_GLOBAL__N_18offset_tEEE10hipError_tPvRmT1_PNSt15iterator_traitsISH_E10value_typeET2_T3_PNSI_ISN_E10value_typeET4_jRbjT5_ST_jjP12ihipStream_tbEUlT_E1_NS1_11comp_targetILNS1_3genE8ELNS1_11target_archE1030ELNS1_3gpuE2ELNS1_3repE0EEENS1_59segmented_radix_sort_warp_sort_small_config_static_selectorELNS0_4arch9wavefront6targetE1EEEvSH_.num_agpr, 0
	.set _ZN7rocprim17ROCPRIM_400000_NS6detail17trampoline_kernelINS0_14default_configENS1_36segmented_radix_sort_config_selectorIllEEZNS1_25segmented_radix_sort_implIS3_Lb1EPKlPlS8_S9_N2at6native12_GLOBAL__N_18offset_tEEE10hipError_tPvRmT1_PNSt15iterator_traitsISH_E10value_typeET2_T3_PNSI_ISN_E10value_typeET4_jRbjT5_ST_jjP12ihipStream_tbEUlT_E1_NS1_11comp_targetILNS1_3genE8ELNS1_11target_archE1030ELNS1_3gpuE2ELNS1_3repE0EEENS1_59segmented_radix_sort_warp_sort_small_config_static_selectorELNS0_4arch9wavefront6targetE1EEEvSH_.numbered_sgpr, 0
	.set _ZN7rocprim17ROCPRIM_400000_NS6detail17trampoline_kernelINS0_14default_configENS1_36segmented_radix_sort_config_selectorIllEEZNS1_25segmented_radix_sort_implIS3_Lb1EPKlPlS8_S9_N2at6native12_GLOBAL__N_18offset_tEEE10hipError_tPvRmT1_PNSt15iterator_traitsISH_E10value_typeET2_T3_PNSI_ISN_E10value_typeET4_jRbjT5_ST_jjP12ihipStream_tbEUlT_E1_NS1_11comp_targetILNS1_3genE8ELNS1_11target_archE1030ELNS1_3gpuE2ELNS1_3repE0EEENS1_59segmented_radix_sort_warp_sort_small_config_static_selectorELNS0_4arch9wavefront6targetE1EEEvSH_.num_named_barrier, 0
	.set _ZN7rocprim17ROCPRIM_400000_NS6detail17trampoline_kernelINS0_14default_configENS1_36segmented_radix_sort_config_selectorIllEEZNS1_25segmented_radix_sort_implIS3_Lb1EPKlPlS8_S9_N2at6native12_GLOBAL__N_18offset_tEEE10hipError_tPvRmT1_PNSt15iterator_traitsISH_E10value_typeET2_T3_PNSI_ISN_E10value_typeET4_jRbjT5_ST_jjP12ihipStream_tbEUlT_E1_NS1_11comp_targetILNS1_3genE8ELNS1_11target_archE1030ELNS1_3gpuE2ELNS1_3repE0EEENS1_59segmented_radix_sort_warp_sort_small_config_static_selectorELNS0_4arch9wavefront6targetE1EEEvSH_.private_seg_size, 0
	.set _ZN7rocprim17ROCPRIM_400000_NS6detail17trampoline_kernelINS0_14default_configENS1_36segmented_radix_sort_config_selectorIllEEZNS1_25segmented_radix_sort_implIS3_Lb1EPKlPlS8_S9_N2at6native12_GLOBAL__N_18offset_tEEE10hipError_tPvRmT1_PNSt15iterator_traitsISH_E10value_typeET2_T3_PNSI_ISN_E10value_typeET4_jRbjT5_ST_jjP12ihipStream_tbEUlT_E1_NS1_11comp_targetILNS1_3genE8ELNS1_11target_archE1030ELNS1_3gpuE2ELNS1_3repE0EEENS1_59segmented_radix_sort_warp_sort_small_config_static_selectorELNS0_4arch9wavefront6targetE1EEEvSH_.uses_vcc, 0
	.set _ZN7rocprim17ROCPRIM_400000_NS6detail17trampoline_kernelINS0_14default_configENS1_36segmented_radix_sort_config_selectorIllEEZNS1_25segmented_radix_sort_implIS3_Lb1EPKlPlS8_S9_N2at6native12_GLOBAL__N_18offset_tEEE10hipError_tPvRmT1_PNSt15iterator_traitsISH_E10value_typeET2_T3_PNSI_ISN_E10value_typeET4_jRbjT5_ST_jjP12ihipStream_tbEUlT_E1_NS1_11comp_targetILNS1_3genE8ELNS1_11target_archE1030ELNS1_3gpuE2ELNS1_3repE0EEENS1_59segmented_radix_sort_warp_sort_small_config_static_selectorELNS0_4arch9wavefront6targetE1EEEvSH_.uses_flat_scratch, 0
	.set _ZN7rocprim17ROCPRIM_400000_NS6detail17trampoline_kernelINS0_14default_configENS1_36segmented_radix_sort_config_selectorIllEEZNS1_25segmented_radix_sort_implIS3_Lb1EPKlPlS8_S9_N2at6native12_GLOBAL__N_18offset_tEEE10hipError_tPvRmT1_PNSt15iterator_traitsISH_E10value_typeET2_T3_PNSI_ISN_E10value_typeET4_jRbjT5_ST_jjP12ihipStream_tbEUlT_E1_NS1_11comp_targetILNS1_3genE8ELNS1_11target_archE1030ELNS1_3gpuE2ELNS1_3repE0EEENS1_59segmented_radix_sort_warp_sort_small_config_static_selectorELNS0_4arch9wavefront6targetE1EEEvSH_.has_dyn_sized_stack, 0
	.set _ZN7rocprim17ROCPRIM_400000_NS6detail17trampoline_kernelINS0_14default_configENS1_36segmented_radix_sort_config_selectorIllEEZNS1_25segmented_radix_sort_implIS3_Lb1EPKlPlS8_S9_N2at6native12_GLOBAL__N_18offset_tEEE10hipError_tPvRmT1_PNSt15iterator_traitsISH_E10value_typeET2_T3_PNSI_ISN_E10value_typeET4_jRbjT5_ST_jjP12ihipStream_tbEUlT_E1_NS1_11comp_targetILNS1_3genE8ELNS1_11target_archE1030ELNS1_3gpuE2ELNS1_3repE0EEENS1_59segmented_radix_sort_warp_sort_small_config_static_selectorELNS0_4arch9wavefront6targetE1EEEvSH_.has_recursion, 0
	.set _ZN7rocprim17ROCPRIM_400000_NS6detail17trampoline_kernelINS0_14default_configENS1_36segmented_radix_sort_config_selectorIllEEZNS1_25segmented_radix_sort_implIS3_Lb1EPKlPlS8_S9_N2at6native12_GLOBAL__N_18offset_tEEE10hipError_tPvRmT1_PNSt15iterator_traitsISH_E10value_typeET2_T3_PNSI_ISN_E10value_typeET4_jRbjT5_ST_jjP12ihipStream_tbEUlT_E1_NS1_11comp_targetILNS1_3genE8ELNS1_11target_archE1030ELNS1_3gpuE2ELNS1_3repE0EEENS1_59segmented_radix_sort_warp_sort_small_config_static_selectorELNS0_4arch9wavefront6targetE1EEEvSH_.has_indirect_call, 0
	.section	.AMDGPU.csdata,"",@progbits
; Kernel info:
; codeLenInByte = 0
; TotalNumSgprs: 4
; NumVgprs: 0
; ScratchSize: 0
; MemoryBound: 0
; FloatMode: 240
; IeeeMode: 1
; LDSByteSize: 0 bytes/workgroup (compile time only)
; SGPRBlocks: 0
; VGPRBlocks: 0
; NumSGPRsForWavesPerEU: 4
; NumVGPRsForWavesPerEU: 1
; Occupancy: 10
; WaveLimiterHint : 0
; COMPUTE_PGM_RSRC2:SCRATCH_EN: 0
; COMPUTE_PGM_RSRC2:USER_SGPR: 6
; COMPUTE_PGM_RSRC2:TRAP_HANDLER: 0
; COMPUTE_PGM_RSRC2:TGID_X_EN: 1
; COMPUTE_PGM_RSRC2:TGID_Y_EN: 0
; COMPUTE_PGM_RSRC2:TGID_Z_EN: 0
; COMPUTE_PGM_RSRC2:TIDIG_COMP_CNT: 0
	.section	.text._ZN7rocprim17ROCPRIM_400000_NS6detail17trampoline_kernelINS0_14default_configENS1_36segmented_radix_sort_config_selectorIllEEZNS1_25segmented_radix_sort_implIS3_Lb1EPKlPlS8_S9_N2at6native12_GLOBAL__N_18offset_tEEE10hipError_tPvRmT1_PNSt15iterator_traitsISH_E10value_typeET2_T3_PNSI_ISN_E10value_typeET4_jRbjT5_ST_jjP12ihipStream_tbEUlT_E2_NS1_11comp_targetILNS1_3genE0ELNS1_11target_archE4294967295ELNS1_3gpuE0ELNS1_3repE0EEENS1_30default_config_static_selectorELNS0_4arch9wavefront6targetE1EEEvSH_,"axG",@progbits,_ZN7rocprim17ROCPRIM_400000_NS6detail17trampoline_kernelINS0_14default_configENS1_36segmented_radix_sort_config_selectorIllEEZNS1_25segmented_radix_sort_implIS3_Lb1EPKlPlS8_S9_N2at6native12_GLOBAL__N_18offset_tEEE10hipError_tPvRmT1_PNSt15iterator_traitsISH_E10value_typeET2_T3_PNSI_ISN_E10value_typeET4_jRbjT5_ST_jjP12ihipStream_tbEUlT_E2_NS1_11comp_targetILNS1_3genE0ELNS1_11target_archE4294967295ELNS1_3gpuE0ELNS1_3repE0EEENS1_30default_config_static_selectorELNS0_4arch9wavefront6targetE1EEEvSH_,comdat
	.globl	_ZN7rocprim17ROCPRIM_400000_NS6detail17trampoline_kernelINS0_14default_configENS1_36segmented_radix_sort_config_selectorIllEEZNS1_25segmented_radix_sort_implIS3_Lb1EPKlPlS8_S9_N2at6native12_GLOBAL__N_18offset_tEEE10hipError_tPvRmT1_PNSt15iterator_traitsISH_E10value_typeET2_T3_PNSI_ISN_E10value_typeET4_jRbjT5_ST_jjP12ihipStream_tbEUlT_E2_NS1_11comp_targetILNS1_3genE0ELNS1_11target_archE4294967295ELNS1_3gpuE0ELNS1_3repE0EEENS1_30default_config_static_selectorELNS0_4arch9wavefront6targetE1EEEvSH_ ; -- Begin function _ZN7rocprim17ROCPRIM_400000_NS6detail17trampoline_kernelINS0_14default_configENS1_36segmented_radix_sort_config_selectorIllEEZNS1_25segmented_radix_sort_implIS3_Lb1EPKlPlS8_S9_N2at6native12_GLOBAL__N_18offset_tEEE10hipError_tPvRmT1_PNSt15iterator_traitsISH_E10value_typeET2_T3_PNSI_ISN_E10value_typeET4_jRbjT5_ST_jjP12ihipStream_tbEUlT_E2_NS1_11comp_targetILNS1_3genE0ELNS1_11target_archE4294967295ELNS1_3gpuE0ELNS1_3repE0EEENS1_30default_config_static_selectorELNS0_4arch9wavefront6targetE1EEEvSH_
	.p2align	8
	.type	_ZN7rocprim17ROCPRIM_400000_NS6detail17trampoline_kernelINS0_14default_configENS1_36segmented_radix_sort_config_selectorIllEEZNS1_25segmented_radix_sort_implIS3_Lb1EPKlPlS8_S9_N2at6native12_GLOBAL__N_18offset_tEEE10hipError_tPvRmT1_PNSt15iterator_traitsISH_E10value_typeET2_T3_PNSI_ISN_E10value_typeET4_jRbjT5_ST_jjP12ihipStream_tbEUlT_E2_NS1_11comp_targetILNS1_3genE0ELNS1_11target_archE4294967295ELNS1_3gpuE0ELNS1_3repE0EEENS1_30default_config_static_selectorELNS0_4arch9wavefront6targetE1EEEvSH_,@function
_ZN7rocprim17ROCPRIM_400000_NS6detail17trampoline_kernelINS0_14default_configENS1_36segmented_radix_sort_config_selectorIllEEZNS1_25segmented_radix_sort_implIS3_Lb1EPKlPlS8_S9_N2at6native12_GLOBAL__N_18offset_tEEE10hipError_tPvRmT1_PNSt15iterator_traitsISH_E10value_typeET2_T3_PNSI_ISN_E10value_typeET4_jRbjT5_ST_jjP12ihipStream_tbEUlT_E2_NS1_11comp_targetILNS1_3genE0ELNS1_11target_archE4294967295ELNS1_3gpuE0ELNS1_3repE0EEENS1_30default_config_static_selectorELNS0_4arch9wavefront6targetE1EEEvSH_: ; @_ZN7rocprim17ROCPRIM_400000_NS6detail17trampoline_kernelINS0_14default_configENS1_36segmented_radix_sort_config_selectorIllEEZNS1_25segmented_radix_sort_implIS3_Lb1EPKlPlS8_S9_N2at6native12_GLOBAL__N_18offset_tEEE10hipError_tPvRmT1_PNSt15iterator_traitsISH_E10value_typeET2_T3_PNSI_ISN_E10value_typeET4_jRbjT5_ST_jjP12ihipStream_tbEUlT_E2_NS1_11comp_targetILNS1_3genE0ELNS1_11target_archE4294967295ELNS1_3gpuE0ELNS1_3repE0EEENS1_30default_config_static_selectorELNS0_4arch9wavefront6targetE1EEEvSH_
; %bb.0:
	.section	.rodata,"a",@progbits
	.p2align	6, 0x0
	.amdhsa_kernel _ZN7rocprim17ROCPRIM_400000_NS6detail17trampoline_kernelINS0_14default_configENS1_36segmented_radix_sort_config_selectorIllEEZNS1_25segmented_radix_sort_implIS3_Lb1EPKlPlS8_S9_N2at6native12_GLOBAL__N_18offset_tEEE10hipError_tPvRmT1_PNSt15iterator_traitsISH_E10value_typeET2_T3_PNSI_ISN_E10value_typeET4_jRbjT5_ST_jjP12ihipStream_tbEUlT_E2_NS1_11comp_targetILNS1_3genE0ELNS1_11target_archE4294967295ELNS1_3gpuE0ELNS1_3repE0EEENS1_30default_config_static_selectorELNS0_4arch9wavefront6targetE1EEEvSH_
		.amdhsa_group_segment_fixed_size 0
		.amdhsa_private_segment_fixed_size 0
		.amdhsa_kernarg_size 80
		.amdhsa_user_sgpr_count 6
		.amdhsa_user_sgpr_private_segment_buffer 1
		.amdhsa_user_sgpr_dispatch_ptr 0
		.amdhsa_user_sgpr_queue_ptr 0
		.amdhsa_user_sgpr_kernarg_segment_ptr 1
		.amdhsa_user_sgpr_dispatch_id 0
		.amdhsa_user_sgpr_flat_scratch_init 0
		.amdhsa_user_sgpr_private_segment_size 0
		.amdhsa_uses_dynamic_stack 0
		.amdhsa_system_sgpr_private_segment_wavefront_offset 0
		.amdhsa_system_sgpr_workgroup_id_x 1
		.amdhsa_system_sgpr_workgroup_id_y 0
		.amdhsa_system_sgpr_workgroup_id_z 0
		.amdhsa_system_sgpr_workgroup_info 0
		.amdhsa_system_vgpr_workitem_id 0
		.amdhsa_next_free_vgpr 1
		.amdhsa_next_free_sgpr 0
		.amdhsa_reserve_vcc 0
		.amdhsa_reserve_flat_scratch 0
		.amdhsa_float_round_mode_32 0
		.amdhsa_float_round_mode_16_64 0
		.amdhsa_float_denorm_mode_32 3
		.amdhsa_float_denorm_mode_16_64 3
		.amdhsa_dx10_clamp 1
		.amdhsa_ieee_mode 1
		.amdhsa_fp16_overflow 0
		.amdhsa_exception_fp_ieee_invalid_op 0
		.amdhsa_exception_fp_denorm_src 0
		.amdhsa_exception_fp_ieee_div_zero 0
		.amdhsa_exception_fp_ieee_overflow 0
		.amdhsa_exception_fp_ieee_underflow 0
		.amdhsa_exception_fp_ieee_inexact 0
		.amdhsa_exception_int_div_zero 0
	.end_amdhsa_kernel
	.section	.text._ZN7rocprim17ROCPRIM_400000_NS6detail17trampoline_kernelINS0_14default_configENS1_36segmented_radix_sort_config_selectorIllEEZNS1_25segmented_radix_sort_implIS3_Lb1EPKlPlS8_S9_N2at6native12_GLOBAL__N_18offset_tEEE10hipError_tPvRmT1_PNSt15iterator_traitsISH_E10value_typeET2_T3_PNSI_ISN_E10value_typeET4_jRbjT5_ST_jjP12ihipStream_tbEUlT_E2_NS1_11comp_targetILNS1_3genE0ELNS1_11target_archE4294967295ELNS1_3gpuE0ELNS1_3repE0EEENS1_30default_config_static_selectorELNS0_4arch9wavefront6targetE1EEEvSH_,"axG",@progbits,_ZN7rocprim17ROCPRIM_400000_NS6detail17trampoline_kernelINS0_14default_configENS1_36segmented_radix_sort_config_selectorIllEEZNS1_25segmented_radix_sort_implIS3_Lb1EPKlPlS8_S9_N2at6native12_GLOBAL__N_18offset_tEEE10hipError_tPvRmT1_PNSt15iterator_traitsISH_E10value_typeET2_T3_PNSI_ISN_E10value_typeET4_jRbjT5_ST_jjP12ihipStream_tbEUlT_E2_NS1_11comp_targetILNS1_3genE0ELNS1_11target_archE4294967295ELNS1_3gpuE0ELNS1_3repE0EEENS1_30default_config_static_selectorELNS0_4arch9wavefront6targetE1EEEvSH_,comdat
.Lfunc_end734:
	.size	_ZN7rocprim17ROCPRIM_400000_NS6detail17trampoline_kernelINS0_14default_configENS1_36segmented_radix_sort_config_selectorIllEEZNS1_25segmented_radix_sort_implIS3_Lb1EPKlPlS8_S9_N2at6native12_GLOBAL__N_18offset_tEEE10hipError_tPvRmT1_PNSt15iterator_traitsISH_E10value_typeET2_T3_PNSI_ISN_E10value_typeET4_jRbjT5_ST_jjP12ihipStream_tbEUlT_E2_NS1_11comp_targetILNS1_3genE0ELNS1_11target_archE4294967295ELNS1_3gpuE0ELNS1_3repE0EEENS1_30default_config_static_selectorELNS0_4arch9wavefront6targetE1EEEvSH_, .Lfunc_end734-_ZN7rocprim17ROCPRIM_400000_NS6detail17trampoline_kernelINS0_14default_configENS1_36segmented_radix_sort_config_selectorIllEEZNS1_25segmented_radix_sort_implIS3_Lb1EPKlPlS8_S9_N2at6native12_GLOBAL__N_18offset_tEEE10hipError_tPvRmT1_PNSt15iterator_traitsISH_E10value_typeET2_T3_PNSI_ISN_E10value_typeET4_jRbjT5_ST_jjP12ihipStream_tbEUlT_E2_NS1_11comp_targetILNS1_3genE0ELNS1_11target_archE4294967295ELNS1_3gpuE0ELNS1_3repE0EEENS1_30default_config_static_selectorELNS0_4arch9wavefront6targetE1EEEvSH_
                                        ; -- End function
	.set _ZN7rocprim17ROCPRIM_400000_NS6detail17trampoline_kernelINS0_14default_configENS1_36segmented_radix_sort_config_selectorIllEEZNS1_25segmented_radix_sort_implIS3_Lb1EPKlPlS8_S9_N2at6native12_GLOBAL__N_18offset_tEEE10hipError_tPvRmT1_PNSt15iterator_traitsISH_E10value_typeET2_T3_PNSI_ISN_E10value_typeET4_jRbjT5_ST_jjP12ihipStream_tbEUlT_E2_NS1_11comp_targetILNS1_3genE0ELNS1_11target_archE4294967295ELNS1_3gpuE0ELNS1_3repE0EEENS1_30default_config_static_selectorELNS0_4arch9wavefront6targetE1EEEvSH_.num_vgpr, 0
	.set _ZN7rocprim17ROCPRIM_400000_NS6detail17trampoline_kernelINS0_14default_configENS1_36segmented_radix_sort_config_selectorIllEEZNS1_25segmented_radix_sort_implIS3_Lb1EPKlPlS8_S9_N2at6native12_GLOBAL__N_18offset_tEEE10hipError_tPvRmT1_PNSt15iterator_traitsISH_E10value_typeET2_T3_PNSI_ISN_E10value_typeET4_jRbjT5_ST_jjP12ihipStream_tbEUlT_E2_NS1_11comp_targetILNS1_3genE0ELNS1_11target_archE4294967295ELNS1_3gpuE0ELNS1_3repE0EEENS1_30default_config_static_selectorELNS0_4arch9wavefront6targetE1EEEvSH_.num_agpr, 0
	.set _ZN7rocprim17ROCPRIM_400000_NS6detail17trampoline_kernelINS0_14default_configENS1_36segmented_radix_sort_config_selectorIllEEZNS1_25segmented_radix_sort_implIS3_Lb1EPKlPlS8_S9_N2at6native12_GLOBAL__N_18offset_tEEE10hipError_tPvRmT1_PNSt15iterator_traitsISH_E10value_typeET2_T3_PNSI_ISN_E10value_typeET4_jRbjT5_ST_jjP12ihipStream_tbEUlT_E2_NS1_11comp_targetILNS1_3genE0ELNS1_11target_archE4294967295ELNS1_3gpuE0ELNS1_3repE0EEENS1_30default_config_static_selectorELNS0_4arch9wavefront6targetE1EEEvSH_.numbered_sgpr, 0
	.set _ZN7rocprim17ROCPRIM_400000_NS6detail17trampoline_kernelINS0_14default_configENS1_36segmented_radix_sort_config_selectorIllEEZNS1_25segmented_radix_sort_implIS3_Lb1EPKlPlS8_S9_N2at6native12_GLOBAL__N_18offset_tEEE10hipError_tPvRmT1_PNSt15iterator_traitsISH_E10value_typeET2_T3_PNSI_ISN_E10value_typeET4_jRbjT5_ST_jjP12ihipStream_tbEUlT_E2_NS1_11comp_targetILNS1_3genE0ELNS1_11target_archE4294967295ELNS1_3gpuE0ELNS1_3repE0EEENS1_30default_config_static_selectorELNS0_4arch9wavefront6targetE1EEEvSH_.num_named_barrier, 0
	.set _ZN7rocprim17ROCPRIM_400000_NS6detail17trampoline_kernelINS0_14default_configENS1_36segmented_radix_sort_config_selectorIllEEZNS1_25segmented_radix_sort_implIS3_Lb1EPKlPlS8_S9_N2at6native12_GLOBAL__N_18offset_tEEE10hipError_tPvRmT1_PNSt15iterator_traitsISH_E10value_typeET2_T3_PNSI_ISN_E10value_typeET4_jRbjT5_ST_jjP12ihipStream_tbEUlT_E2_NS1_11comp_targetILNS1_3genE0ELNS1_11target_archE4294967295ELNS1_3gpuE0ELNS1_3repE0EEENS1_30default_config_static_selectorELNS0_4arch9wavefront6targetE1EEEvSH_.private_seg_size, 0
	.set _ZN7rocprim17ROCPRIM_400000_NS6detail17trampoline_kernelINS0_14default_configENS1_36segmented_radix_sort_config_selectorIllEEZNS1_25segmented_radix_sort_implIS3_Lb1EPKlPlS8_S9_N2at6native12_GLOBAL__N_18offset_tEEE10hipError_tPvRmT1_PNSt15iterator_traitsISH_E10value_typeET2_T3_PNSI_ISN_E10value_typeET4_jRbjT5_ST_jjP12ihipStream_tbEUlT_E2_NS1_11comp_targetILNS1_3genE0ELNS1_11target_archE4294967295ELNS1_3gpuE0ELNS1_3repE0EEENS1_30default_config_static_selectorELNS0_4arch9wavefront6targetE1EEEvSH_.uses_vcc, 0
	.set _ZN7rocprim17ROCPRIM_400000_NS6detail17trampoline_kernelINS0_14default_configENS1_36segmented_radix_sort_config_selectorIllEEZNS1_25segmented_radix_sort_implIS3_Lb1EPKlPlS8_S9_N2at6native12_GLOBAL__N_18offset_tEEE10hipError_tPvRmT1_PNSt15iterator_traitsISH_E10value_typeET2_T3_PNSI_ISN_E10value_typeET4_jRbjT5_ST_jjP12ihipStream_tbEUlT_E2_NS1_11comp_targetILNS1_3genE0ELNS1_11target_archE4294967295ELNS1_3gpuE0ELNS1_3repE0EEENS1_30default_config_static_selectorELNS0_4arch9wavefront6targetE1EEEvSH_.uses_flat_scratch, 0
	.set _ZN7rocprim17ROCPRIM_400000_NS6detail17trampoline_kernelINS0_14default_configENS1_36segmented_radix_sort_config_selectorIllEEZNS1_25segmented_radix_sort_implIS3_Lb1EPKlPlS8_S9_N2at6native12_GLOBAL__N_18offset_tEEE10hipError_tPvRmT1_PNSt15iterator_traitsISH_E10value_typeET2_T3_PNSI_ISN_E10value_typeET4_jRbjT5_ST_jjP12ihipStream_tbEUlT_E2_NS1_11comp_targetILNS1_3genE0ELNS1_11target_archE4294967295ELNS1_3gpuE0ELNS1_3repE0EEENS1_30default_config_static_selectorELNS0_4arch9wavefront6targetE1EEEvSH_.has_dyn_sized_stack, 0
	.set _ZN7rocprim17ROCPRIM_400000_NS6detail17trampoline_kernelINS0_14default_configENS1_36segmented_radix_sort_config_selectorIllEEZNS1_25segmented_radix_sort_implIS3_Lb1EPKlPlS8_S9_N2at6native12_GLOBAL__N_18offset_tEEE10hipError_tPvRmT1_PNSt15iterator_traitsISH_E10value_typeET2_T3_PNSI_ISN_E10value_typeET4_jRbjT5_ST_jjP12ihipStream_tbEUlT_E2_NS1_11comp_targetILNS1_3genE0ELNS1_11target_archE4294967295ELNS1_3gpuE0ELNS1_3repE0EEENS1_30default_config_static_selectorELNS0_4arch9wavefront6targetE1EEEvSH_.has_recursion, 0
	.set _ZN7rocprim17ROCPRIM_400000_NS6detail17trampoline_kernelINS0_14default_configENS1_36segmented_radix_sort_config_selectorIllEEZNS1_25segmented_radix_sort_implIS3_Lb1EPKlPlS8_S9_N2at6native12_GLOBAL__N_18offset_tEEE10hipError_tPvRmT1_PNSt15iterator_traitsISH_E10value_typeET2_T3_PNSI_ISN_E10value_typeET4_jRbjT5_ST_jjP12ihipStream_tbEUlT_E2_NS1_11comp_targetILNS1_3genE0ELNS1_11target_archE4294967295ELNS1_3gpuE0ELNS1_3repE0EEENS1_30default_config_static_selectorELNS0_4arch9wavefront6targetE1EEEvSH_.has_indirect_call, 0
	.section	.AMDGPU.csdata,"",@progbits
; Kernel info:
; codeLenInByte = 0
; TotalNumSgprs: 4
; NumVgprs: 0
; ScratchSize: 0
; MemoryBound: 0
; FloatMode: 240
; IeeeMode: 1
; LDSByteSize: 0 bytes/workgroup (compile time only)
; SGPRBlocks: 0
; VGPRBlocks: 0
; NumSGPRsForWavesPerEU: 4
; NumVGPRsForWavesPerEU: 1
; Occupancy: 10
; WaveLimiterHint : 0
; COMPUTE_PGM_RSRC2:SCRATCH_EN: 0
; COMPUTE_PGM_RSRC2:USER_SGPR: 6
; COMPUTE_PGM_RSRC2:TRAP_HANDLER: 0
; COMPUTE_PGM_RSRC2:TGID_X_EN: 1
; COMPUTE_PGM_RSRC2:TGID_Y_EN: 0
; COMPUTE_PGM_RSRC2:TGID_Z_EN: 0
; COMPUTE_PGM_RSRC2:TIDIG_COMP_CNT: 0
	.section	.text._ZN7rocprim17ROCPRIM_400000_NS6detail17trampoline_kernelINS0_14default_configENS1_36segmented_radix_sort_config_selectorIllEEZNS1_25segmented_radix_sort_implIS3_Lb1EPKlPlS8_S9_N2at6native12_GLOBAL__N_18offset_tEEE10hipError_tPvRmT1_PNSt15iterator_traitsISH_E10value_typeET2_T3_PNSI_ISN_E10value_typeET4_jRbjT5_ST_jjP12ihipStream_tbEUlT_E2_NS1_11comp_targetILNS1_3genE5ELNS1_11target_archE942ELNS1_3gpuE9ELNS1_3repE0EEENS1_30default_config_static_selectorELNS0_4arch9wavefront6targetE1EEEvSH_,"axG",@progbits,_ZN7rocprim17ROCPRIM_400000_NS6detail17trampoline_kernelINS0_14default_configENS1_36segmented_radix_sort_config_selectorIllEEZNS1_25segmented_radix_sort_implIS3_Lb1EPKlPlS8_S9_N2at6native12_GLOBAL__N_18offset_tEEE10hipError_tPvRmT1_PNSt15iterator_traitsISH_E10value_typeET2_T3_PNSI_ISN_E10value_typeET4_jRbjT5_ST_jjP12ihipStream_tbEUlT_E2_NS1_11comp_targetILNS1_3genE5ELNS1_11target_archE942ELNS1_3gpuE9ELNS1_3repE0EEENS1_30default_config_static_selectorELNS0_4arch9wavefront6targetE1EEEvSH_,comdat
	.globl	_ZN7rocprim17ROCPRIM_400000_NS6detail17trampoline_kernelINS0_14default_configENS1_36segmented_radix_sort_config_selectorIllEEZNS1_25segmented_radix_sort_implIS3_Lb1EPKlPlS8_S9_N2at6native12_GLOBAL__N_18offset_tEEE10hipError_tPvRmT1_PNSt15iterator_traitsISH_E10value_typeET2_T3_PNSI_ISN_E10value_typeET4_jRbjT5_ST_jjP12ihipStream_tbEUlT_E2_NS1_11comp_targetILNS1_3genE5ELNS1_11target_archE942ELNS1_3gpuE9ELNS1_3repE0EEENS1_30default_config_static_selectorELNS0_4arch9wavefront6targetE1EEEvSH_ ; -- Begin function _ZN7rocprim17ROCPRIM_400000_NS6detail17trampoline_kernelINS0_14default_configENS1_36segmented_radix_sort_config_selectorIllEEZNS1_25segmented_radix_sort_implIS3_Lb1EPKlPlS8_S9_N2at6native12_GLOBAL__N_18offset_tEEE10hipError_tPvRmT1_PNSt15iterator_traitsISH_E10value_typeET2_T3_PNSI_ISN_E10value_typeET4_jRbjT5_ST_jjP12ihipStream_tbEUlT_E2_NS1_11comp_targetILNS1_3genE5ELNS1_11target_archE942ELNS1_3gpuE9ELNS1_3repE0EEENS1_30default_config_static_selectorELNS0_4arch9wavefront6targetE1EEEvSH_
	.p2align	8
	.type	_ZN7rocprim17ROCPRIM_400000_NS6detail17trampoline_kernelINS0_14default_configENS1_36segmented_radix_sort_config_selectorIllEEZNS1_25segmented_radix_sort_implIS3_Lb1EPKlPlS8_S9_N2at6native12_GLOBAL__N_18offset_tEEE10hipError_tPvRmT1_PNSt15iterator_traitsISH_E10value_typeET2_T3_PNSI_ISN_E10value_typeET4_jRbjT5_ST_jjP12ihipStream_tbEUlT_E2_NS1_11comp_targetILNS1_3genE5ELNS1_11target_archE942ELNS1_3gpuE9ELNS1_3repE0EEENS1_30default_config_static_selectorELNS0_4arch9wavefront6targetE1EEEvSH_,@function
_ZN7rocprim17ROCPRIM_400000_NS6detail17trampoline_kernelINS0_14default_configENS1_36segmented_radix_sort_config_selectorIllEEZNS1_25segmented_radix_sort_implIS3_Lb1EPKlPlS8_S9_N2at6native12_GLOBAL__N_18offset_tEEE10hipError_tPvRmT1_PNSt15iterator_traitsISH_E10value_typeET2_T3_PNSI_ISN_E10value_typeET4_jRbjT5_ST_jjP12ihipStream_tbEUlT_E2_NS1_11comp_targetILNS1_3genE5ELNS1_11target_archE942ELNS1_3gpuE9ELNS1_3repE0EEENS1_30default_config_static_selectorELNS0_4arch9wavefront6targetE1EEEvSH_: ; @_ZN7rocprim17ROCPRIM_400000_NS6detail17trampoline_kernelINS0_14default_configENS1_36segmented_radix_sort_config_selectorIllEEZNS1_25segmented_radix_sort_implIS3_Lb1EPKlPlS8_S9_N2at6native12_GLOBAL__N_18offset_tEEE10hipError_tPvRmT1_PNSt15iterator_traitsISH_E10value_typeET2_T3_PNSI_ISN_E10value_typeET4_jRbjT5_ST_jjP12ihipStream_tbEUlT_E2_NS1_11comp_targetILNS1_3genE5ELNS1_11target_archE942ELNS1_3gpuE9ELNS1_3repE0EEENS1_30default_config_static_selectorELNS0_4arch9wavefront6targetE1EEEvSH_
; %bb.0:
	.section	.rodata,"a",@progbits
	.p2align	6, 0x0
	.amdhsa_kernel _ZN7rocprim17ROCPRIM_400000_NS6detail17trampoline_kernelINS0_14default_configENS1_36segmented_radix_sort_config_selectorIllEEZNS1_25segmented_radix_sort_implIS3_Lb1EPKlPlS8_S9_N2at6native12_GLOBAL__N_18offset_tEEE10hipError_tPvRmT1_PNSt15iterator_traitsISH_E10value_typeET2_T3_PNSI_ISN_E10value_typeET4_jRbjT5_ST_jjP12ihipStream_tbEUlT_E2_NS1_11comp_targetILNS1_3genE5ELNS1_11target_archE942ELNS1_3gpuE9ELNS1_3repE0EEENS1_30default_config_static_selectorELNS0_4arch9wavefront6targetE1EEEvSH_
		.amdhsa_group_segment_fixed_size 0
		.amdhsa_private_segment_fixed_size 0
		.amdhsa_kernarg_size 80
		.amdhsa_user_sgpr_count 6
		.amdhsa_user_sgpr_private_segment_buffer 1
		.amdhsa_user_sgpr_dispatch_ptr 0
		.amdhsa_user_sgpr_queue_ptr 0
		.amdhsa_user_sgpr_kernarg_segment_ptr 1
		.amdhsa_user_sgpr_dispatch_id 0
		.amdhsa_user_sgpr_flat_scratch_init 0
		.amdhsa_user_sgpr_private_segment_size 0
		.amdhsa_uses_dynamic_stack 0
		.amdhsa_system_sgpr_private_segment_wavefront_offset 0
		.amdhsa_system_sgpr_workgroup_id_x 1
		.amdhsa_system_sgpr_workgroup_id_y 0
		.amdhsa_system_sgpr_workgroup_id_z 0
		.amdhsa_system_sgpr_workgroup_info 0
		.amdhsa_system_vgpr_workitem_id 0
		.amdhsa_next_free_vgpr 1
		.amdhsa_next_free_sgpr 0
		.amdhsa_reserve_vcc 0
		.amdhsa_reserve_flat_scratch 0
		.amdhsa_float_round_mode_32 0
		.amdhsa_float_round_mode_16_64 0
		.amdhsa_float_denorm_mode_32 3
		.amdhsa_float_denorm_mode_16_64 3
		.amdhsa_dx10_clamp 1
		.amdhsa_ieee_mode 1
		.amdhsa_fp16_overflow 0
		.amdhsa_exception_fp_ieee_invalid_op 0
		.amdhsa_exception_fp_denorm_src 0
		.amdhsa_exception_fp_ieee_div_zero 0
		.amdhsa_exception_fp_ieee_overflow 0
		.amdhsa_exception_fp_ieee_underflow 0
		.amdhsa_exception_fp_ieee_inexact 0
		.amdhsa_exception_int_div_zero 0
	.end_amdhsa_kernel
	.section	.text._ZN7rocprim17ROCPRIM_400000_NS6detail17trampoline_kernelINS0_14default_configENS1_36segmented_radix_sort_config_selectorIllEEZNS1_25segmented_radix_sort_implIS3_Lb1EPKlPlS8_S9_N2at6native12_GLOBAL__N_18offset_tEEE10hipError_tPvRmT1_PNSt15iterator_traitsISH_E10value_typeET2_T3_PNSI_ISN_E10value_typeET4_jRbjT5_ST_jjP12ihipStream_tbEUlT_E2_NS1_11comp_targetILNS1_3genE5ELNS1_11target_archE942ELNS1_3gpuE9ELNS1_3repE0EEENS1_30default_config_static_selectorELNS0_4arch9wavefront6targetE1EEEvSH_,"axG",@progbits,_ZN7rocprim17ROCPRIM_400000_NS6detail17trampoline_kernelINS0_14default_configENS1_36segmented_radix_sort_config_selectorIllEEZNS1_25segmented_radix_sort_implIS3_Lb1EPKlPlS8_S9_N2at6native12_GLOBAL__N_18offset_tEEE10hipError_tPvRmT1_PNSt15iterator_traitsISH_E10value_typeET2_T3_PNSI_ISN_E10value_typeET4_jRbjT5_ST_jjP12ihipStream_tbEUlT_E2_NS1_11comp_targetILNS1_3genE5ELNS1_11target_archE942ELNS1_3gpuE9ELNS1_3repE0EEENS1_30default_config_static_selectorELNS0_4arch9wavefront6targetE1EEEvSH_,comdat
.Lfunc_end735:
	.size	_ZN7rocprim17ROCPRIM_400000_NS6detail17trampoline_kernelINS0_14default_configENS1_36segmented_radix_sort_config_selectorIllEEZNS1_25segmented_radix_sort_implIS3_Lb1EPKlPlS8_S9_N2at6native12_GLOBAL__N_18offset_tEEE10hipError_tPvRmT1_PNSt15iterator_traitsISH_E10value_typeET2_T3_PNSI_ISN_E10value_typeET4_jRbjT5_ST_jjP12ihipStream_tbEUlT_E2_NS1_11comp_targetILNS1_3genE5ELNS1_11target_archE942ELNS1_3gpuE9ELNS1_3repE0EEENS1_30default_config_static_selectorELNS0_4arch9wavefront6targetE1EEEvSH_, .Lfunc_end735-_ZN7rocprim17ROCPRIM_400000_NS6detail17trampoline_kernelINS0_14default_configENS1_36segmented_radix_sort_config_selectorIllEEZNS1_25segmented_radix_sort_implIS3_Lb1EPKlPlS8_S9_N2at6native12_GLOBAL__N_18offset_tEEE10hipError_tPvRmT1_PNSt15iterator_traitsISH_E10value_typeET2_T3_PNSI_ISN_E10value_typeET4_jRbjT5_ST_jjP12ihipStream_tbEUlT_E2_NS1_11comp_targetILNS1_3genE5ELNS1_11target_archE942ELNS1_3gpuE9ELNS1_3repE0EEENS1_30default_config_static_selectorELNS0_4arch9wavefront6targetE1EEEvSH_
                                        ; -- End function
	.set _ZN7rocprim17ROCPRIM_400000_NS6detail17trampoline_kernelINS0_14default_configENS1_36segmented_radix_sort_config_selectorIllEEZNS1_25segmented_radix_sort_implIS3_Lb1EPKlPlS8_S9_N2at6native12_GLOBAL__N_18offset_tEEE10hipError_tPvRmT1_PNSt15iterator_traitsISH_E10value_typeET2_T3_PNSI_ISN_E10value_typeET4_jRbjT5_ST_jjP12ihipStream_tbEUlT_E2_NS1_11comp_targetILNS1_3genE5ELNS1_11target_archE942ELNS1_3gpuE9ELNS1_3repE0EEENS1_30default_config_static_selectorELNS0_4arch9wavefront6targetE1EEEvSH_.num_vgpr, 0
	.set _ZN7rocprim17ROCPRIM_400000_NS6detail17trampoline_kernelINS0_14default_configENS1_36segmented_radix_sort_config_selectorIllEEZNS1_25segmented_radix_sort_implIS3_Lb1EPKlPlS8_S9_N2at6native12_GLOBAL__N_18offset_tEEE10hipError_tPvRmT1_PNSt15iterator_traitsISH_E10value_typeET2_T3_PNSI_ISN_E10value_typeET4_jRbjT5_ST_jjP12ihipStream_tbEUlT_E2_NS1_11comp_targetILNS1_3genE5ELNS1_11target_archE942ELNS1_3gpuE9ELNS1_3repE0EEENS1_30default_config_static_selectorELNS0_4arch9wavefront6targetE1EEEvSH_.num_agpr, 0
	.set _ZN7rocprim17ROCPRIM_400000_NS6detail17trampoline_kernelINS0_14default_configENS1_36segmented_radix_sort_config_selectorIllEEZNS1_25segmented_radix_sort_implIS3_Lb1EPKlPlS8_S9_N2at6native12_GLOBAL__N_18offset_tEEE10hipError_tPvRmT1_PNSt15iterator_traitsISH_E10value_typeET2_T3_PNSI_ISN_E10value_typeET4_jRbjT5_ST_jjP12ihipStream_tbEUlT_E2_NS1_11comp_targetILNS1_3genE5ELNS1_11target_archE942ELNS1_3gpuE9ELNS1_3repE0EEENS1_30default_config_static_selectorELNS0_4arch9wavefront6targetE1EEEvSH_.numbered_sgpr, 0
	.set _ZN7rocprim17ROCPRIM_400000_NS6detail17trampoline_kernelINS0_14default_configENS1_36segmented_radix_sort_config_selectorIllEEZNS1_25segmented_radix_sort_implIS3_Lb1EPKlPlS8_S9_N2at6native12_GLOBAL__N_18offset_tEEE10hipError_tPvRmT1_PNSt15iterator_traitsISH_E10value_typeET2_T3_PNSI_ISN_E10value_typeET4_jRbjT5_ST_jjP12ihipStream_tbEUlT_E2_NS1_11comp_targetILNS1_3genE5ELNS1_11target_archE942ELNS1_3gpuE9ELNS1_3repE0EEENS1_30default_config_static_selectorELNS0_4arch9wavefront6targetE1EEEvSH_.num_named_barrier, 0
	.set _ZN7rocprim17ROCPRIM_400000_NS6detail17trampoline_kernelINS0_14default_configENS1_36segmented_radix_sort_config_selectorIllEEZNS1_25segmented_radix_sort_implIS3_Lb1EPKlPlS8_S9_N2at6native12_GLOBAL__N_18offset_tEEE10hipError_tPvRmT1_PNSt15iterator_traitsISH_E10value_typeET2_T3_PNSI_ISN_E10value_typeET4_jRbjT5_ST_jjP12ihipStream_tbEUlT_E2_NS1_11comp_targetILNS1_3genE5ELNS1_11target_archE942ELNS1_3gpuE9ELNS1_3repE0EEENS1_30default_config_static_selectorELNS0_4arch9wavefront6targetE1EEEvSH_.private_seg_size, 0
	.set _ZN7rocprim17ROCPRIM_400000_NS6detail17trampoline_kernelINS0_14default_configENS1_36segmented_radix_sort_config_selectorIllEEZNS1_25segmented_radix_sort_implIS3_Lb1EPKlPlS8_S9_N2at6native12_GLOBAL__N_18offset_tEEE10hipError_tPvRmT1_PNSt15iterator_traitsISH_E10value_typeET2_T3_PNSI_ISN_E10value_typeET4_jRbjT5_ST_jjP12ihipStream_tbEUlT_E2_NS1_11comp_targetILNS1_3genE5ELNS1_11target_archE942ELNS1_3gpuE9ELNS1_3repE0EEENS1_30default_config_static_selectorELNS0_4arch9wavefront6targetE1EEEvSH_.uses_vcc, 0
	.set _ZN7rocprim17ROCPRIM_400000_NS6detail17trampoline_kernelINS0_14default_configENS1_36segmented_radix_sort_config_selectorIllEEZNS1_25segmented_radix_sort_implIS3_Lb1EPKlPlS8_S9_N2at6native12_GLOBAL__N_18offset_tEEE10hipError_tPvRmT1_PNSt15iterator_traitsISH_E10value_typeET2_T3_PNSI_ISN_E10value_typeET4_jRbjT5_ST_jjP12ihipStream_tbEUlT_E2_NS1_11comp_targetILNS1_3genE5ELNS1_11target_archE942ELNS1_3gpuE9ELNS1_3repE0EEENS1_30default_config_static_selectorELNS0_4arch9wavefront6targetE1EEEvSH_.uses_flat_scratch, 0
	.set _ZN7rocprim17ROCPRIM_400000_NS6detail17trampoline_kernelINS0_14default_configENS1_36segmented_radix_sort_config_selectorIllEEZNS1_25segmented_radix_sort_implIS3_Lb1EPKlPlS8_S9_N2at6native12_GLOBAL__N_18offset_tEEE10hipError_tPvRmT1_PNSt15iterator_traitsISH_E10value_typeET2_T3_PNSI_ISN_E10value_typeET4_jRbjT5_ST_jjP12ihipStream_tbEUlT_E2_NS1_11comp_targetILNS1_3genE5ELNS1_11target_archE942ELNS1_3gpuE9ELNS1_3repE0EEENS1_30default_config_static_selectorELNS0_4arch9wavefront6targetE1EEEvSH_.has_dyn_sized_stack, 0
	.set _ZN7rocprim17ROCPRIM_400000_NS6detail17trampoline_kernelINS0_14default_configENS1_36segmented_radix_sort_config_selectorIllEEZNS1_25segmented_radix_sort_implIS3_Lb1EPKlPlS8_S9_N2at6native12_GLOBAL__N_18offset_tEEE10hipError_tPvRmT1_PNSt15iterator_traitsISH_E10value_typeET2_T3_PNSI_ISN_E10value_typeET4_jRbjT5_ST_jjP12ihipStream_tbEUlT_E2_NS1_11comp_targetILNS1_3genE5ELNS1_11target_archE942ELNS1_3gpuE9ELNS1_3repE0EEENS1_30default_config_static_selectorELNS0_4arch9wavefront6targetE1EEEvSH_.has_recursion, 0
	.set _ZN7rocprim17ROCPRIM_400000_NS6detail17trampoline_kernelINS0_14default_configENS1_36segmented_radix_sort_config_selectorIllEEZNS1_25segmented_radix_sort_implIS3_Lb1EPKlPlS8_S9_N2at6native12_GLOBAL__N_18offset_tEEE10hipError_tPvRmT1_PNSt15iterator_traitsISH_E10value_typeET2_T3_PNSI_ISN_E10value_typeET4_jRbjT5_ST_jjP12ihipStream_tbEUlT_E2_NS1_11comp_targetILNS1_3genE5ELNS1_11target_archE942ELNS1_3gpuE9ELNS1_3repE0EEENS1_30default_config_static_selectorELNS0_4arch9wavefront6targetE1EEEvSH_.has_indirect_call, 0
	.section	.AMDGPU.csdata,"",@progbits
; Kernel info:
; codeLenInByte = 0
; TotalNumSgprs: 4
; NumVgprs: 0
; ScratchSize: 0
; MemoryBound: 0
; FloatMode: 240
; IeeeMode: 1
; LDSByteSize: 0 bytes/workgroup (compile time only)
; SGPRBlocks: 0
; VGPRBlocks: 0
; NumSGPRsForWavesPerEU: 4
; NumVGPRsForWavesPerEU: 1
; Occupancy: 10
; WaveLimiterHint : 0
; COMPUTE_PGM_RSRC2:SCRATCH_EN: 0
; COMPUTE_PGM_RSRC2:USER_SGPR: 6
; COMPUTE_PGM_RSRC2:TRAP_HANDLER: 0
; COMPUTE_PGM_RSRC2:TGID_X_EN: 1
; COMPUTE_PGM_RSRC2:TGID_Y_EN: 0
; COMPUTE_PGM_RSRC2:TGID_Z_EN: 0
; COMPUTE_PGM_RSRC2:TIDIG_COMP_CNT: 0
	.section	.text._ZN7rocprim17ROCPRIM_400000_NS6detail17trampoline_kernelINS0_14default_configENS1_36segmented_radix_sort_config_selectorIllEEZNS1_25segmented_radix_sort_implIS3_Lb1EPKlPlS8_S9_N2at6native12_GLOBAL__N_18offset_tEEE10hipError_tPvRmT1_PNSt15iterator_traitsISH_E10value_typeET2_T3_PNSI_ISN_E10value_typeET4_jRbjT5_ST_jjP12ihipStream_tbEUlT_E2_NS1_11comp_targetILNS1_3genE4ELNS1_11target_archE910ELNS1_3gpuE8ELNS1_3repE0EEENS1_30default_config_static_selectorELNS0_4arch9wavefront6targetE1EEEvSH_,"axG",@progbits,_ZN7rocprim17ROCPRIM_400000_NS6detail17trampoline_kernelINS0_14default_configENS1_36segmented_radix_sort_config_selectorIllEEZNS1_25segmented_radix_sort_implIS3_Lb1EPKlPlS8_S9_N2at6native12_GLOBAL__N_18offset_tEEE10hipError_tPvRmT1_PNSt15iterator_traitsISH_E10value_typeET2_T3_PNSI_ISN_E10value_typeET4_jRbjT5_ST_jjP12ihipStream_tbEUlT_E2_NS1_11comp_targetILNS1_3genE4ELNS1_11target_archE910ELNS1_3gpuE8ELNS1_3repE0EEENS1_30default_config_static_selectorELNS0_4arch9wavefront6targetE1EEEvSH_,comdat
	.globl	_ZN7rocprim17ROCPRIM_400000_NS6detail17trampoline_kernelINS0_14default_configENS1_36segmented_radix_sort_config_selectorIllEEZNS1_25segmented_radix_sort_implIS3_Lb1EPKlPlS8_S9_N2at6native12_GLOBAL__N_18offset_tEEE10hipError_tPvRmT1_PNSt15iterator_traitsISH_E10value_typeET2_T3_PNSI_ISN_E10value_typeET4_jRbjT5_ST_jjP12ihipStream_tbEUlT_E2_NS1_11comp_targetILNS1_3genE4ELNS1_11target_archE910ELNS1_3gpuE8ELNS1_3repE0EEENS1_30default_config_static_selectorELNS0_4arch9wavefront6targetE1EEEvSH_ ; -- Begin function _ZN7rocprim17ROCPRIM_400000_NS6detail17trampoline_kernelINS0_14default_configENS1_36segmented_radix_sort_config_selectorIllEEZNS1_25segmented_radix_sort_implIS3_Lb1EPKlPlS8_S9_N2at6native12_GLOBAL__N_18offset_tEEE10hipError_tPvRmT1_PNSt15iterator_traitsISH_E10value_typeET2_T3_PNSI_ISN_E10value_typeET4_jRbjT5_ST_jjP12ihipStream_tbEUlT_E2_NS1_11comp_targetILNS1_3genE4ELNS1_11target_archE910ELNS1_3gpuE8ELNS1_3repE0EEENS1_30default_config_static_selectorELNS0_4arch9wavefront6targetE1EEEvSH_
	.p2align	8
	.type	_ZN7rocprim17ROCPRIM_400000_NS6detail17trampoline_kernelINS0_14default_configENS1_36segmented_radix_sort_config_selectorIllEEZNS1_25segmented_radix_sort_implIS3_Lb1EPKlPlS8_S9_N2at6native12_GLOBAL__N_18offset_tEEE10hipError_tPvRmT1_PNSt15iterator_traitsISH_E10value_typeET2_T3_PNSI_ISN_E10value_typeET4_jRbjT5_ST_jjP12ihipStream_tbEUlT_E2_NS1_11comp_targetILNS1_3genE4ELNS1_11target_archE910ELNS1_3gpuE8ELNS1_3repE0EEENS1_30default_config_static_selectorELNS0_4arch9wavefront6targetE1EEEvSH_,@function
_ZN7rocprim17ROCPRIM_400000_NS6detail17trampoline_kernelINS0_14default_configENS1_36segmented_radix_sort_config_selectorIllEEZNS1_25segmented_radix_sort_implIS3_Lb1EPKlPlS8_S9_N2at6native12_GLOBAL__N_18offset_tEEE10hipError_tPvRmT1_PNSt15iterator_traitsISH_E10value_typeET2_T3_PNSI_ISN_E10value_typeET4_jRbjT5_ST_jjP12ihipStream_tbEUlT_E2_NS1_11comp_targetILNS1_3genE4ELNS1_11target_archE910ELNS1_3gpuE8ELNS1_3repE0EEENS1_30default_config_static_selectorELNS0_4arch9wavefront6targetE1EEEvSH_: ; @_ZN7rocprim17ROCPRIM_400000_NS6detail17trampoline_kernelINS0_14default_configENS1_36segmented_radix_sort_config_selectorIllEEZNS1_25segmented_radix_sort_implIS3_Lb1EPKlPlS8_S9_N2at6native12_GLOBAL__N_18offset_tEEE10hipError_tPvRmT1_PNSt15iterator_traitsISH_E10value_typeET2_T3_PNSI_ISN_E10value_typeET4_jRbjT5_ST_jjP12ihipStream_tbEUlT_E2_NS1_11comp_targetILNS1_3genE4ELNS1_11target_archE910ELNS1_3gpuE8ELNS1_3repE0EEENS1_30default_config_static_selectorELNS0_4arch9wavefront6targetE1EEEvSH_
; %bb.0:
	.section	.rodata,"a",@progbits
	.p2align	6, 0x0
	.amdhsa_kernel _ZN7rocprim17ROCPRIM_400000_NS6detail17trampoline_kernelINS0_14default_configENS1_36segmented_radix_sort_config_selectorIllEEZNS1_25segmented_radix_sort_implIS3_Lb1EPKlPlS8_S9_N2at6native12_GLOBAL__N_18offset_tEEE10hipError_tPvRmT1_PNSt15iterator_traitsISH_E10value_typeET2_T3_PNSI_ISN_E10value_typeET4_jRbjT5_ST_jjP12ihipStream_tbEUlT_E2_NS1_11comp_targetILNS1_3genE4ELNS1_11target_archE910ELNS1_3gpuE8ELNS1_3repE0EEENS1_30default_config_static_selectorELNS0_4arch9wavefront6targetE1EEEvSH_
		.amdhsa_group_segment_fixed_size 0
		.amdhsa_private_segment_fixed_size 0
		.amdhsa_kernarg_size 80
		.amdhsa_user_sgpr_count 6
		.amdhsa_user_sgpr_private_segment_buffer 1
		.amdhsa_user_sgpr_dispatch_ptr 0
		.amdhsa_user_sgpr_queue_ptr 0
		.amdhsa_user_sgpr_kernarg_segment_ptr 1
		.amdhsa_user_sgpr_dispatch_id 0
		.amdhsa_user_sgpr_flat_scratch_init 0
		.amdhsa_user_sgpr_private_segment_size 0
		.amdhsa_uses_dynamic_stack 0
		.amdhsa_system_sgpr_private_segment_wavefront_offset 0
		.amdhsa_system_sgpr_workgroup_id_x 1
		.amdhsa_system_sgpr_workgroup_id_y 0
		.amdhsa_system_sgpr_workgroup_id_z 0
		.amdhsa_system_sgpr_workgroup_info 0
		.amdhsa_system_vgpr_workitem_id 0
		.amdhsa_next_free_vgpr 1
		.amdhsa_next_free_sgpr 0
		.amdhsa_reserve_vcc 0
		.amdhsa_reserve_flat_scratch 0
		.amdhsa_float_round_mode_32 0
		.amdhsa_float_round_mode_16_64 0
		.amdhsa_float_denorm_mode_32 3
		.amdhsa_float_denorm_mode_16_64 3
		.amdhsa_dx10_clamp 1
		.amdhsa_ieee_mode 1
		.amdhsa_fp16_overflow 0
		.amdhsa_exception_fp_ieee_invalid_op 0
		.amdhsa_exception_fp_denorm_src 0
		.amdhsa_exception_fp_ieee_div_zero 0
		.amdhsa_exception_fp_ieee_overflow 0
		.amdhsa_exception_fp_ieee_underflow 0
		.amdhsa_exception_fp_ieee_inexact 0
		.amdhsa_exception_int_div_zero 0
	.end_amdhsa_kernel
	.section	.text._ZN7rocprim17ROCPRIM_400000_NS6detail17trampoline_kernelINS0_14default_configENS1_36segmented_radix_sort_config_selectorIllEEZNS1_25segmented_radix_sort_implIS3_Lb1EPKlPlS8_S9_N2at6native12_GLOBAL__N_18offset_tEEE10hipError_tPvRmT1_PNSt15iterator_traitsISH_E10value_typeET2_T3_PNSI_ISN_E10value_typeET4_jRbjT5_ST_jjP12ihipStream_tbEUlT_E2_NS1_11comp_targetILNS1_3genE4ELNS1_11target_archE910ELNS1_3gpuE8ELNS1_3repE0EEENS1_30default_config_static_selectorELNS0_4arch9wavefront6targetE1EEEvSH_,"axG",@progbits,_ZN7rocprim17ROCPRIM_400000_NS6detail17trampoline_kernelINS0_14default_configENS1_36segmented_radix_sort_config_selectorIllEEZNS1_25segmented_radix_sort_implIS3_Lb1EPKlPlS8_S9_N2at6native12_GLOBAL__N_18offset_tEEE10hipError_tPvRmT1_PNSt15iterator_traitsISH_E10value_typeET2_T3_PNSI_ISN_E10value_typeET4_jRbjT5_ST_jjP12ihipStream_tbEUlT_E2_NS1_11comp_targetILNS1_3genE4ELNS1_11target_archE910ELNS1_3gpuE8ELNS1_3repE0EEENS1_30default_config_static_selectorELNS0_4arch9wavefront6targetE1EEEvSH_,comdat
.Lfunc_end736:
	.size	_ZN7rocprim17ROCPRIM_400000_NS6detail17trampoline_kernelINS0_14default_configENS1_36segmented_radix_sort_config_selectorIllEEZNS1_25segmented_radix_sort_implIS3_Lb1EPKlPlS8_S9_N2at6native12_GLOBAL__N_18offset_tEEE10hipError_tPvRmT1_PNSt15iterator_traitsISH_E10value_typeET2_T3_PNSI_ISN_E10value_typeET4_jRbjT5_ST_jjP12ihipStream_tbEUlT_E2_NS1_11comp_targetILNS1_3genE4ELNS1_11target_archE910ELNS1_3gpuE8ELNS1_3repE0EEENS1_30default_config_static_selectorELNS0_4arch9wavefront6targetE1EEEvSH_, .Lfunc_end736-_ZN7rocprim17ROCPRIM_400000_NS6detail17trampoline_kernelINS0_14default_configENS1_36segmented_radix_sort_config_selectorIllEEZNS1_25segmented_radix_sort_implIS3_Lb1EPKlPlS8_S9_N2at6native12_GLOBAL__N_18offset_tEEE10hipError_tPvRmT1_PNSt15iterator_traitsISH_E10value_typeET2_T3_PNSI_ISN_E10value_typeET4_jRbjT5_ST_jjP12ihipStream_tbEUlT_E2_NS1_11comp_targetILNS1_3genE4ELNS1_11target_archE910ELNS1_3gpuE8ELNS1_3repE0EEENS1_30default_config_static_selectorELNS0_4arch9wavefront6targetE1EEEvSH_
                                        ; -- End function
	.set _ZN7rocprim17ROCPRIM_400000_NS6detail17trampoline_kernelINS0_14default_configENS1_36segmented_radix_sort_config_selectorIllEEZNS1_25segmented_radix_sort_implIS3_Lb1EPKlPlS8_S9_N2at6native12_GLOBAL__N_18offset_tEEE10hipError_tPvRmT1_PNSt15iterator_traitsISH_E10value_typeET2_T3_PNSI_ISN_E10value_typeET4_jRbjT5_ST_jjP12ihipStream_tbEUlT_E2_NS1_11comp_targetILNS1_3genE4ELNS1_11target_archE910ELNS1_3gpuE8ELNS1_3repE0EEENS1_30default_config_static_selectorELNS0_4arch9wavefront6targetE1EEEvSH_.num_vgpr, 0
	.set _ZN7rocprim17ROCPRIM_400000_NS6detail17trampoline_kernelINS0_14default_configENS1_36segmented_radix_sort_config_selectorIllEEZNS1_25segmented_radix_sort_implIS3_Lb1EPKlPlS8_S9_N2at6native12_GLOBAL__N_18offset_tEEE10hipError_tPvRmT1_PNSt15iterator_traitsISH_E10value_typeET2_T3_PNSI_ISN_E10value_typeET4_jRbjT5_ST_jjP12ihipStream_tbEUlT_E2_NS1_11comp_targetILNS1_3genE4ELNS1_11target_archE910ELNS1_3gpuE8ELNS1_3repE0EEENS1_30default_config_static_selectorELNS0_4arch9wavefront6targetE1EEEvSH_.num_agpr, 0
	.set _ZN7rocprim17ROCPRIM_400000_NS6detail17trampoline_kernelINS0_14default_configENS1_36segmented_radix_sort_config_selectorIllEEZNS1_25segmented_radix_sort_implIS3_Lb1EPKlPlS8_S9_N2at6native12_GLOBAL__N_18offset_tEEE10hipError_tPvRmT1_PNSt15iterator_traitsISH_E10value_typeET2_T3_PNSI_ISN_E10value_typeET4_jRbjT5_ST_jjP12ihipStream_tbEUlT_E2_NS1_11comp_targetILNS1_3genE4ELNS1_11target_archE910ELNS1_3gpuE8ELNS1_3repE0EEENS1_30default_config_static_selectorELNS0_4arch9wavefront6targetE1EEEvSH_.numbered_sgpr, 0
	.set _ZN7rocprim17ROCPRIM_400000_NS6detail17trampoline_kernelINS0_14default_configENS1_36segmented_radix_sort_config_selectorIllEEZNS1_25segmented_radix_sort_implIS3_Lb1EPKlPlS8_S9_N2at6native12_GLOBAL__N_18offset_tEEE10hipError_tPvRmT1_PNSt15iterator_traitsISH_E10value_typeET2_T3_PNSI_ISN_E10value_typeET4_jRbjT5_ST_jjP12ihipStream_tbEUlT_E2_NS1_11comp_targetILNS1_3genE4ELNS1_11target_archE910ELNS1_3gpuE8ELNS1_3repE0EEENS1_30default_config_static_selectorELNS0_4arch9wavefront6targetE1EEEvSH_.num_named_barrier, 0
	.set _ZN7rocprim17ROCPRIM_400000_NS6detail17trampoline_kernelINS0_14default_configENS1_36segmented_radix_sort_config_selectorIllEEZNS1_25segmented_radix_sort_implIS3_Lb1EPKlPlS8_S9_N2at6native12_GLOBAL__N_18offset_tEEE10hipError_tPvRmT1_PNSt15iterator_traitsISH_E10value_typeET2_T3_PNSI_ISN_E10value_typeET4_jRbjT5_ST_jjP12ihipStream_tbEUlT_E2_NS1_11comp_targetILNS1_3genE4ELNS1_11target_archE910ELNS1_3gpuE8ELNS1_3repE0EEENS1_30default_config_static_selectorELNS0_4arch9wavefront6targetE1EEEvSH_.private_seg_size, 0
	.set _ZN7rocprim17ROCPRIM_400000_NS6detail17trampoline_kernelINS0_14default_configENS1_36segmented_radix_sort_config_selectorIllEEZNS1_25segmented_radix_sort_implIS3_Lb1EPKlPlS8_S9_N2at6native12_GLOBAL__N_18offset_tEEE10hipError_tPvRmT1_PNSt15iterator_traitsISH_E10value_typeET2_T3_PNSI_ISN_E10value_typeET4_jRbjT5_ST_jjP12ihipStream_tbEUlT_E2_NS1_11comp_targetILNS1_3genE4ELNS1_11target_archE910ELNS1_3gpuE8ELNS1_3repE0EEENS1_30default_config_static_selectorELNS0_4arch9wavefront6targetE1EEEvSH_.uses_vcc, 0
	.set _ZN7rocprim17ROCPRIM_400000_NS6detail17trampoline_kernelINS0_14default_configENS1_36segmented_radix_sort_config_selectorIllEEZNS1_25segmented_radix_sort_implIS3_Lb1EPKlPlS8_S9_N2at6native12_GLOBAL__N_18offset_tEEE10hipError_tPvRmT1_PNSt15iterator_traitsISH_E10value_typeET2_T3_PNSI_ISN_E10value_typeET4_jRbjT5_ST_jjP12ihipStream_tbEUlT_E2_NS1_11comp_targetILNS1_3genE4ELNS1_11target_archE910ELNS1_3gpuE8ELNS1_3repE0EEENS1_30default_config_static_selectorELNS0_4arch9wavefront6targetE1EEEvSH_.uses_flat_scratch, 0
	.set _ZN7rocprim17ROCPRIM_400000_NS6detail17trampoline_kernelINS0_14default_configENS1_36segmented_radix_sort_config_selectorIllEEZNS1_25segmented_radix_sort_implIS3_Lb1EPKlPlS8_S9_N2at6native12_GLOBAL__N_18offset_tEEE10hipError_tPvRmT1_PNSt15iterator_traitsISH_E10value_typeET2_T3_PNSI_ISN_E10value_typeET4_jRbjT5_ST_jjP12ihipStream_tbEUlT_E2_NS1_11comp_targetILNS1_3genE4ELNS1_11target_archE910ELNS1_3gpuE8ELNS1_3repE0EEENS1_30default_config_static_selectorELNS0_4arch9wavefront6targetE1EEEvSH_.has_dyn_sized_stack, 0
	.set _ZN7rocprim17ROCPRIM_400000_NS6detail17trampoline_kernelINS0_14default_configENS1_36segmented_radix_sort_config_selectorIllEEZNS1_25segmented_radix_sort_implIS3_Lb1EPKlPlS8_S9_N2at6native12_GLOBAL__N_18offset_tEEE10hipError_tPvRmT1_PNSt15iterator_traitsISH_E10value_typeET2_T3_PNSI_ISN_E10value_typeET4_jRbjT5_ST_jjP12ihipStream_tbEUlT_E2_NS1_11comp_targetILNS1_3genE4ELNS1_11target_archE910ELNS1_3gpuE8ELNS1_3repE0EEENS1_30default_config_static_selectorELNS0_4arch9wavefront6targetE1EEEvSH_.has_recursion, 0
	.set _ZN7rocprim17ROCPRIM_400000_NS6detail17trampoline_kernelINS0_14default_configENS1_36segmented_radix_sort_config_selectorIllEEZNS1_25segmented_radix_sort_implIS3_Lb1EPKlPlS8_S9_N2at6native12_GLOBAL__N_18offset_tEEE10hipError_tPvRmT1_PNSt15iterator_traitsISH_E10value_typeET2_T3_PNSI_ISN_E10value_typeET4_jRbjT5_ST_jjP12ihipStream_tbEUlT_E2_NS1_11comp_targetILNS1_3genE4ELNS1_11target_archE910ELNS1_3gpuE8ELNS1_3repE0EEENS1_30default_config_static_selectorELNS0_4arch9wavefront6targetE1EEEvSH_.has_indirect_call, 0
	.section	.AMDGPU.csdata,"",@progbits
; Kernel info:
; codeLenInByte = 0
; TotalNumSgprs: 4
; NumVgprs: 0
; ScratchSize: 0
; MemoryBound: 0
; FloatMode: 240
; IeeeMode: 1
; LDSByteSize: 0 bytes/workgroup (compile time only)
; SGPRBlocks: 0
; VGPRBlocks: 0
; NumSGPRsForWavesPerEU: 4
; NumVGPRsForWavesPerEU: 1
; Occupancy: 10
; WaveLimiterHint : 0
; COMPUTE_PGM_RSRC2:SCRATCH_EN: 0
; COMPUTE_PGM_RSRC2:USER_SGPR: 6
; COMPUTE_PGM_RSRC2:TRAP_HANDLER: 0
; COMPUTE_PGM_RSRC2:TGID_X_EN: 1
; COMPUTE_PGM_RSRC2:TGID_Y_EN: 0
; COMPUTE_PGM_RSRC2:TGID_Z_EN: 0
; COMPUTE_PGM_RSRC2:TIDIG_COMP_CNT: 0
	.section	.text._ZN7rocprim17ROCPRIM_400000_NS6detail17trampoline_kernelINS0_14default_configENS1_36segmented_radix_sort_config_selectorIllEEZNS1_25segmented_radix_sort_implIS3_Lb1EPKlPlS8_S9_N2at6native12_GLOBAL__N_18offset_tEEE10hipError_tPvRmT1_PNSt15iterator_traitsISH_E10value_typeET2_T3_PNSI_ISN_E10value_typeET4_jRbjT5_ST_jjP12ihipStream_tbEUlT_E2_NS1_11comp_targetILNS1_3genE3ELNS1_11target_archE908ELNS1_3gpuE7ELNS1_3repE0EEENS1_30default_config_static_selectorELNS0_4arch9wavefront6targetE1EEEvSH_,"axG",@progbits,_ZN7rocprim17ROCPRIM_400000_NS6detail17trampoline_kernelINS0_14default_configENS1_36segmented_radix_sort_config_selectorIllEEZNS1_25segmented_radix_sort_implIS3_Lb1EPKlPlS8_S9_N2at6native12_GLOBAL__N_18offset_tEEE10hipError_tPvRmT1_PNSt15iterator_traitsISH_E10value_typeET2_T3_PNSI_ISN_E10value_typeET4_jRbjT5_ST_jjP12ihipStream_tbEUlT_E2_NS1_11comp_targetILNS1_3genE3ELNS1_11target_archE908ELNS1_3gpuE7ELNS1_3repE0EEENS1_30default_config_static_selectorELNS0_4arch9wavefront6targetE1EEEvSH_,comdat
	.globl	_ZN7rocprim17ROCPRIM_400000_NS6detail17trampoline_kernelINS0_14default_configENS1_36segmented_radix_sort_config_selectorIllEEZNS1_25segmented_radix_sort_implIS3_Lb1EPKlPlS8_S9_N2at6native12_GLOBAL__N_18offset_tEEE10hipError_tPvRmT1_PNSt15iterator_traitsISH_E10value_typeET2_T3_PNSI_ISN_E10value_typeET4_jRbjT5_ST_jjP12ihipStream_tbEUlT_E2_NS1_11comp_targetILNS1_3genE3ELNS1_11target_archE908ELNS1_3gpuE7ELNS1_3repE0EEENS1_30default_config_static_selectorELNS0_4arch9wavefront6targetE1EEEvSH_ ; -- Begin function _ZN7rocprim17ROCPRIM_400000_NS6detail17trampoline_kernelINS0_14default_configENS1_36segmented_radix_sort_config_selectorIllEEZNS1_25segmented_radix_sort_implIS3_Lb1EPKlPlS8_S9_N2at6native12_GLOBAL__N_18offset_tEEE10hipError_tPvRmT1_PNSt15iterator_traitsISH_E10value_typeET2_T3_PNSI_ISN_E10value_typeET4_jRbjT5_ST_jjP12ihipStream_tbEUlT_E2_NS1_11comp_targetILNS1_3genE3ELNS1_11target_archE908ELNS1_3gpuE7ELNS1_3repE0EEENS1_30default_config_static_selectorELNS0_4arch9wavefront6targetE1EEEvSH_
	.p2align	8
	.type	_ZN7rocprim17ROCPRIM_400000_NS6detail17trampoline_kernelINS0_14default_configENS1_36segmented_radix_sort_config_selectorIllEEZNS1_25segmented_radix_sort_implIS3_Lb1EPKlPlS8_S9_N2at6native12_GLOBAL__N_18offset_tEEE10hipError_tPvRmT1_PNSt15iterator_traitsISH_E10value_typeET2_T3_PNSI_ISN_E10value_typeET4_jRbjT5_ST_jjP12ihipStream_tbEUlT_E2_NS1_11comp_targetILNS1_3genE3ELNS1_11target_archE908ELNS1_3gpuE7ELNS1_3repE0EEENS1_30default_config_static_selectorELNS0_4arch9wavefront6targetE1EEEvSH_,@function
_ZN7rocprim17ROCPRIM_400000_NS6detail17trampoline_kernelINS0_14default_configENS1_36segmented_radix_sort_config_selectorIllEEZNS1_25segmented_radix_sort_implIS3_Lb1EPKlPlS8_S9_N2at6native12_GLOBAL__N_18offset_tEEE10hipError_tPvRmT1_PNSt15iterator_traitsISH_E10value_typeET2_T3_PNSI_ISN_E10value_typeET4_jRbjT5_ST_jjP12ihipStream_tbEUlT_E2_NS1_11comp_targetILNS1_3genE3ELNS1_11target_archE908ELNS1_3gpuE7ELNS1_3repE0EEENS1_30default_config_static_selectorELNS0_4arch9wavefront6targetE1EEEvSH_: ; @_ZN7rocprim17ROCPRIM_400000_NS6detail17trampoline_kernelINS0_14default_configENS1_36segmented_radix_sort_config_selectorIllEEZNS1_25segmented_radix_sort_implIS3_Lb1EPKlPlS8_S9_N2at6native12_GLOBAL__N_18offset_tEEE10hipError_tPvRmT1_PNSt15iterator_traitsISH_E10value_typeET2_T3_PNSI_ISN_E10value_typeET4_jRbjT5_ST_jjP12ihipStream_tbEUlT_E2_NS1_11comp_targetILNS1_3genE3ELNS1_11target_archE908ELNS1_3gpuE7ELNS1_3repE0EEENS1_30default_config_static_selectorELNS0_4arch9wavefront6targetE1EEEvSH_
; %bb.0:
	.section	.rodata,"a",@progbits
	.p2align	6, 0x0
	.amdhsa_kernel _ZN7rocprim17ROCPRIM_400000_NS6detail17trampoline_kernelINS0_14default_configENS1_36segmented_radix_sort_config_selectorIllEEZNS1_25segmented_radix_sort_implIS3_Lb1EPKlPlS8_S9_N2at6native12_GLOBAL__N_18offset_tEEE10hipError_tPvRmT1_PNSt15iterator_traitsISH_E10value_typeET2_T3_PNSI_ISN_E10value_typeET4_jRbjT5_ST_jjP12ihipStream_tbEUlT_E2_NS1_11comp_targetILNS1_3genE3ELNS1_11target_archE908ELNS1_3gpuE7ELNS1_3repE0EEENS1_30default_config_static_selectorELNS0_4arch9wavefront6targetE1EEEvSH_
		.amdhsa_group_segment_fixed_size 0
		.amdhsa_private_segment_fixed_size 0
		.amdhsa_kernarg_size 80
		.amdhsa_user_sgpr_count 6
		.amdhsa_user_sgpr_private_segment_buffer 1
		.amdhsa_user_sgpr_dispatch_ptr 0
		.amdhsa_user_sgpr_queue_ptr 0
		.amdhsa_user_sgpr_kernarg_segment_ptr 1
		.amdhsa_user_sgpr_dispatch_id 0
		.amdhsa_user_sgpr_flat_scratch_init 0
		.amdhsa_user_sgpr_private_segment_size 0
		.amdhsa_uses_dynamic_stack 0
		.amdhsa_system_sgpr_private_segment_wavefront_offset 0
		.amdhsa_system_sgpr_workgroup_id_x 1
		.amdhsa_system_sgpr_workgroup_id_y 0
		.amdhsa_system_sgpr_workgroup_id_z 0
		.amdhsa_system_sgpr_workgroup_info 0
		.amdhsa_system_vgpr_workitem_id 0
		.amdhsa_next_free_vgpr 1
		.amdhsa_next_free_sgpr 0
		.amdhsa_reserve_vcc 0
		.amdhsa_reserve_flat_scratch 0
		.amdhsa_float_round_mode_32 0
		.amdhsa_float_round_mode_16_64 0
		.amdhsa_float_denorm_mode_32 3
		.amdhsa_float_denorm_mode_16_64 3
		.amdhsa_dx10_clamp 1
		.amdhsa_ieee_mode 1
		.amdhsa_fp16_overflow 0
		.amdhsa_exception_fp_ieee_invalid_op 0
		.amdhsa_exception_fp_denorm_src 0
		.amdhsa_exception_fp_ieee_div_zero 0
		.amdhsa_exception_fp_ieee_overflow 0
		.amdhsa_exception_fp_ieee_underflow 0
		.amdhsa_exception_fp_ieee_inexact 0
		.amdhsa_exception_int_div_zero 0
	.end_amdhsa_kernel
	.section	.text._ZN7rocprim17ROCPRIM_400000_NS6detail17trampoline_kernelINS0_14default_configENS1_36segmented_radix_sort_config_selectorIllEEZNS1_25segmented_radix_sort_implIS3_Lb1EPKlPlS8_S9_N2at6native12_GLOBAL__N_18offset_tEEE10hipError_tPvRmT1_PNSt15iterator_traitsISH_E10value_typeET2_T3_PNSI_ISN_E10value_typeET4_jRbjT5_ST_jjP12ihipStream_tbEUlT_E2_NS1_11comp_targetILNS1_3genE3ELNS1_11target_archE908ELNS1_3gpuE7ELNS1_3repE0EEENS1_30default_config_static_selectorELNS0_4arch9wavefront6targetE1EEEvSH_,"axG",@progbits,_ZN7rocprim17ROCPRIM_400000_NS6detail17trampoline_kernelINS0_14default_configENS1_36segmented_radix_sort_config_selectorIllEEZNS1_25segmented_radix_sort_implIS3_Lb1EPKlPlS8_S9_N2at6native12_GLOBAL__N_18offset_tEEE10hipError_tPvRmT1_PNSt15iterator_traitsISH_E10value_typeET2_T3_PNSI_ISN_E10value_typeET4_jRbjT5_ST_jjP12ihipStream_tbEUlT_E2_NS1_11comp_targetILNS1_3genE3ELNS1_11target_archE908ELNS1_3gpuE7ELNS1_3repE0EEENS1_30default_config_static_selectorELNS0_4arch9wavefront6targetE1EEEvSH_,comdat
.Lfunc_end737:
	.size	_ZN7rocprim17ROCPRIM_400000_NS6detail17trampoline_kernelINS0_14default_configENS1_36segmented_radix_sort_config_selectorIllEEZNS1_25segmented_radix_sort_implIS3_Lb1EPKlPlS8_S9_N2at6native12_GLOBAL__N_18offset_tEEE10hipError_tPvRmT1_PNSt15iterator_traitsISH_E10value_typeET2_T3_PNSI_ISN_E10value_typeET4_jRbjT5_ST_jjP12ihipStream_tbEUlT_E2_NS1_11comp_targetILNS1_3genE3ELNS1_11target_archE908ELNS1_3gpuE7ELNS1_3repE0EEENS1_30default_config_static_selectorELNS0_4arch9wavefront6targetE1EEEvSH_, .Lfunc_end737-_ZN7rocprim17ROCPRIM_400000_NS6detail17trampoline_kernelINS0_14default_configENS1_36segmented_radix_sort_config_selectorIllEEZNS1_25segmented_radix_sort_implIS3_Lb1EPKlPlS8_S9_N2at6native12_GLOBAL__N_18offset_tEEE10hipError_tPvRmT1_PNSt15iterator_traitsISH_E10value_typeET2_T3_PNSI_ISN_E10value_typeET4_jRbjT5_ST_jjP12ihipStream_tbEUlT_E2_NS1_11comp_targetILNS1_3genE3ELNS1_11target_archE908ELNS1_3gpuE7ELNS1_3repE0EEENS1_30default_config_static_selectorELNS0_4arch9wavefront6targetE1EEEvSH_
                                        ; -- End function
	.set _ZN7rocprim17ROCPRIM_400000_NS6detail17trampoline_kernelINS0_14default_configENS1_36segmented_radix_sort_config_selectorIllEEZNS1_25segmented_radix_sort_implIS3_Lb1EPKlPlS8_S9_N2at6native12_GLOBAL__N_18offset_tEEE10hipError_tPvRmT1_PNSt15iterator_traitsISH_E10value_typeET2_T3_PNSI_ISN_E10value_typeET4_jRbjT5_ST_jjP12ihipStream_tbEUlT_E2_NS1_11comp_targetILNS1_3genE3ELNS1_11target_archE908ELNS1_3gpuE7ELNS1_3repE0EEENS1_30default_config_static_selectorELNS0_4arch9wavefront6targetE1EEEvSH_.num_vgpr, 0
	.set _ZN7rocprim17ROCPRIM_400000_NS6detail17trampoline_kernelINS0_14default_configENS1_36segmented_radix_sort_config_selectorIllEEZNS1_25segmented_radix_sort_implIS3_Lb1EPKlPlS8_S9_N2at6native12_GLOBAL__N_18offset_tEEE10hipError_tPvRmT1_PNSt15iterator_traitsISH_E10value_typeET2_T3_PNSI_ISN_E10value_typeET4_jRbjT5_ST_jjP12ihipStream_tbEUlT_E2_NS1_11comp_targetILNS1_3genE3ELNS1_11target_archE908ELNS1_3gpuE7ELNS1_3repE0EEENS1_30default_config_static_selectorELNS0_4arch9wavefront6targetE1EEEvSH_.num_agpr, 0
	.set _ZN7rocprim17ROCPRIM_400000_NS6detail17trampoline_kernelINS0_14default_configENS1_36segmented_radix_sort_config_selectorIllEEZNS1_25segmented_radix_sort_implIS3_Lb1EPKlPlS8_S9_N2at6native12_GLOBAL__N_18offset_tEEE10hipError_tPvRmT1_PNSt15iterator_traitsISH_E10value_typeET2_T3_PNSI_ISN_E10value_typeET4_jRbjT5_ST_jjP12ihipStream_tbEUlT_E2_NS1_11comp_targetILNS1_3genE3ELNS1_11target_archE908ELNS1_3gpuE7ELNS1_3repE0EEENS1_30default_config_static_selectorELNS0_4arch9wavefront6targetE1EEEvSH_.numbered_sgpr, 0
	.set _ZN7rocprim17ROCPRIM_400000_NS6detail17trampoline_kernelINS0_14default_configENS1_36segmented_radix_sort_config_selectorIllEEZNS1_25segmented_radix_sort_implIS3_Lb1EPKlPlS8_S9_N2at6native12_GLOBAL__N_18offset_tEEE10hipError_tPvRmT1_PNSt15iterator_traitsISH_E10value_typeET2_T3_PNSI_ISN_E10value_typeET4_jRbjT5_ST_jjP12ihipStream_tbEUlT_E2_NS1_11comp_targetILNS1_3genE3ELNS1_11target_archE908ELNS1_3gpuE7ELNS1_3repE0EEENS1_30default_config_static_selectorELNS0_4arch9wavefront6targetE1EEEvSH_.num_named_barrier, 0
	.set _ZN7rocprim17ROCPRIM_400000_NS6detail17trampoline_kernelINS0_14default_configENS1_36segmented_radix_sort_config_selectorIllEEZNS1_25segmented_radix_sort_implIS3_Lb1EPKlPlS8_S9_N2at6native12_GLOBAL__N_18offset_tEEE10hipError_tPvRmT1_PNSt15iterator_traitsISH_E10value_typeET2_T3_PNSI_ISN_E10value_typeET4_jRbjT5_ST_jjP12ihipStream_tbEUlT_E2_NS1_11comp_targetILNS1_3genE3ELNS1_11target_archE908ELNS1_3gpuE7ELNS1_3repE0EEENS1_30default_config_static_selectorELNS0_4arch9wavefront6targetE1EEEvSH_.private_seg_size, 0
	.set _ZN7rocprim17ROCPRIM_400000_NS6detail17trampoline_kernelINS0_14default_configENS1_36segmented_radix_sort_config_selectorIllEEZNS1_25segmented_radix_sort_implIS3_Lb1EPKlPlS8_S9_N2at6native12_GLOBAL__N_18offset_tEEE10hipError_tPvRmT1_PNSt15iterator_traitsISH_E10value_typeET2_T3_PNSI_ISN_E10value_typeET4_jRbjT5_ST_jjP12ihipStream_tbEUlT_E2_NS1_11comp_targetILNS1_3genE3ELNS1_11target_archE908ELNS1_3gpuE7ELNS1_3repE0EEENS1_30default_config_static_selectorELNS0_4arch9wavefront6targetE1EEEvSH_.uses_vcc, 0
	.set _ZN7rocprim17ROCPRIM_400000_NS6detail17trampoline_kernelINS0_14default_configENS1_36segmented_radix_sort_config_selectorIllEEZNS1_25segmented_radix_sort_implIS3_Lb1EPKlPlS8_S9_N2at6native12_GLOBAL__N_18offset_tEEE10hipError_tPvRmT1_PNSt15iterator_traitsISH_E10value_typeET2_T3_PNSI_ISN_E10value_typeET4_jRbjT5_ST_jjP12ihipStream_tbEUlT_E2_NS1_11comp_targetILNS1_3genE3ELNS1_11target_archE908ELNS1_3gpuE7ELNS1_3repE0EEENS1_30default_config_static_selectorELNS0_4arch9wavefront6targetE1EEEvSH_.uses_flat_scratch, 0
	.set _ZN7rocprim17ROCPRIM_400000_NS6detail17trampoline_kernelINS0_14default_configENS1_36segmented_radix_sort_config_selectorIllEEZNS1_25segmented_radix_sort_implIS3_Lb1EPKlPlS8_S9_N2at6native12_GLOBAL__N_18offset_tEEE10hipError_tPvRmT1_PNSt15iterator_traitsISH_E10value_typeET2_T3_PNSI_ISN_E10value_typeET4_jRbjT5_ST_jjP12ihipStream_tbEUlT_E2_NS1_11comp_targetILNS1_3genE3ELNS1_11target_archE908ELNS1_3gpuE7ELNS1_3repE0EEENS1_30default_config_static_selectorELNS0_4arch9wavefront6targetE1EEEvSH_.has_dyn_sized_stack, 0
	.set _ZN7rocprim17ROCPRIM_400000_NS6detail17trampoline_kernelINS0_14default_configENS1_36segmented_radix_sort_config_selectorIllEEZNS1_25segmented_radix_sort_implIS3_Lb1EPKlPlS8_S9_N2at6native12_GLOBAL__N_18offset_tEEE10hipError_tPvRmT1_PNSt15iterator_traitsISH_E10value_typeET2_T3_PNSI_ISN_E10value_typeET4_jRbjT5_ST_jjP12ihipStream_tbEUlT_E2_NS1_11comp_targetILNS1_3genE3ELNS1_11target_archE908ELNS1_3gpuE7ELNS1_3repE0EEENS1_30default_config_static_selectorELNS0_4arch9wavefront6targetE1EEEvSH_.has_recursion, 0
	.set _ZN7rocprim17ROCPRIM_400000_NS6detail17trampoline_kernelINS0_14default_configENS1_36segmented_radix_sort_config_selectorIllEEZNS1_25segmented_radix_sort_implIS3_Lb1EPKlPlS8_S9_N2at6native12_GLOBAL__N_18offset_tEEE10hipError_tPvRmT1_PNSt15iterator_traitsISH_E10value_typeET2_T3_PNSI_ISN_E10value_typeET4_jRbjT5_ST_jjP12ihipStream_tbEUlT_E2_NS1_11comp_targetILNS1_3genE3ELNS1_11target_archE908ELNS1_3gpuE7ELNS1_3repE0EEENS1_30default_config_static_selectorELNS0_4arch9wavefront6targetE1EEEvSH_.has_indirect_call, 0
	.section	.AMDGPU.csdata,"",@progbits
; Kernel info:
; codeLenInByte = 0
; TotalNumSgprs: 4
; NumVgprs: 0
; ScratchSize: 0
; MemoryBound: 0
; FloatMode: 240
; IeeeMode: 1
; LDSByteSize: 0 bytes/workgroup (compile time only)
; SGPRBlocks: 0
; VGPRBlocks: 0
; NumSGPRsForWavesPerEU: 4
; NumVGPRsForWavesPerEU: 1
; Occupancy: 10
; WaveLimiterHint : 0
; COMPUTE_PGM_RSRC2:SCRATCH_EN: 0
; COMPUTE_PGM_RSRC2:USER_SGPR: 6
; COMPUTE_PGM_RSRC2:TRAP_HANDLER: 0
; COMPUTE_PGM_RSRC2:TGID_X_EN: 1
; COMPUTE_PGM_RSRC2:TGID_Y_EN: 0
; COMPUTE_PGM_RSRC2:TGID_Z_EN: 0
; COMPUTE_PGM_RSRC2:TIDIG_COMP_CNT: 0
	.section	.text._ZN7rocprim17ROCPRIM_400000_NS6detail17trampoline_kernelINS0_14default_configENS1_36segmented_radix_sort_config_selectorIllEEZNS1_25segmented_radix_sort_implIS3_Lb1EPKlPlS8_S9_N2at6native12_GLOBAL__N_18offset_tEEE10hipError_tPvRmT1_PNSt15iterator_traitsISH_E10value_typeET2_T3_PNSI_ISN_E10value_typeET4_jRbjT5_ST_jjP12ihipStream_tbEUlT_E2_NS1_11comp_targetILNS1_3genE2ELNS1_11target_archE906ELNS1_3gpuE6ELNS1_3repE0EEENS1_30default_config_static_selectorELNS0_4arch9wavefront6targetE1EEEvSH_,"axG",@progbits,_ZN7rocprim17ROCPRIM_400000_NS6detail17trampoline_kernelINS0_14default_configENS1_36segmented_radix_sort_config_selectorIllEEZNS1_25segmented_radix_sort_implIS3_Lb1EPKlPlS8_S9_N2at6native12_GLOBAL__N_18offset_tEEE10hipError_tPvRmT1_PNSt15iterator_traitsISH_E10value_typeET2_T3_PNSI_ISN_E10value_typeET4_jRbjT5_ST_jjP12ihipStream_tbEUlT_E2_NS1_11comp_targetILNS1_3genE2ELNS1_11target_archE906ELNS1_3gpuE6ELNS1_3repE0EEENS1_30default_config_static_selectorELNS0_4arch9wavefront6targetE1EEEvSH_,comdat
	.globl	_ZN7rocprim17ROCPRIM_400000_NS6detail17trampoline_kernelINS0_14default_configENS1_36segmented_radix_sort_config_selectorIllEEZNS1_25segmented_radix_sort_implIS3_Lb1EPKlPlS8_S9_N2at6native12_GLOBAL__N_18offset_tEEE10hipError_tPvRmT1_PNSt15iterator_traitsISH_E10value_typeET2_T3_PNSI_ISN_E10value_typeET4_jRbjT5_ST_jjP12ihipStream_tbEUlT_E2_NS1_11comp_targetILNS1_3genE2ELNS1_11target_archE906ELNS1_3gpuE6ELNS1_3repE0EEENS1_30default_config_static_selectorELNS0_4arch9wavefront6targetE1EEEvSH_ ; -- Begin function _ZN7rocprim17ROCPRIM_400000_NS6detail17trampoline_kernelINS0_14default_configENS1_36segmented_radix_sort_config_selectorIllEEZNS1_25segmented_radix_sort_implIS3_Lb1EPKlPlS8_S9_N2at6native12_GLOBAL__N_18offset_tEEE10hipError_tPvRmT1_PNSt15iterator_traitsISH_E10value_typeET2_T3_PNSI_ISN_E10value_typeET4_jRbjT5_ST_jjP12ihipStream_tbEUlT_E2_NS1_11comp_targetILNS1_3genE2ELNS1_11target_archE906ELNS1_3gpuE6ELNS1_3repE0EEENS1_30default_config_static_selectorELNS0_4arch9wavefront6targetE1EEEvSH_
	.p2align	8
	.type	_ZN7rocprim17ROCPRIM_400000_NS6detail17trampoline_kernelINS0_14default_configENS1_36segmented_radix_sort_config_selectorIllEEZNS1_25segmented_radix_sort_implIS3_Lb1EPKlPlS8_S9_N2at6native12_GLOBAL__N_18offset_tEEE10hipError_tPvRmT1_PNSt15iterator_traitsISH_E10value_typeET2_T3_PNSI_ISN_E10value_typeET4_jRbjT5_ST_jjP12ihipStream_tbEUlT_E2_NS1_11comp_targetILNS1_3genE2ELNS1_11target_archE906ELNS1_3gpuE6ELNS1_3repE0EEENS1_30default_config_static_selectorELNS0_4arch9wavefront6targetE1EEEvSH_,@function
_ZN7rocprim17ROCPRIM_400000_NS6detail17trampoline_kernelINS0_14default_configENS1_36segmented_radix_sort_config_selectorIllEEZNS1_25segmented_radix_sort_implIS3_Lb1EPKlPlS8_S9_N2at6native12_GLOBAL__N_18offset_tEEE10hipError_tPvRmT1_PNSt15iterator_traitsISH_E10value_typeET2_T3_PNSI_ISN_E10value_typeET4_jRbjT5_ST_jjP12ihipStream_tbEUlT_E2_NS1_11comp_targetILNS1_3genE2ELNS1_11target_archE906ELNS1_3gpuE6ELNS1_3repE0EEENS1_30default_config_static_selectorELNS0_4arch9wavefront6targetE1EEEvSH_: ; @_ZN7rocprim17ROCPRIM_400000_NS6detail17trampoline_kernelINS0_14default_configENS1_36segmented_radix_sort_config_selectorIllEEZNS1_25segmented_radix_sort_implIS3_Lb1EPKlPlS8_S9_N2at6native12_GLOBAL__N_18offset_tEEE10hipError_tPvRmT1_PNSt15iterator_traitsISH_E10value_typeET2_T3_PNSI_ISN_E10value_typeET4_jRbjT5_ST_jjP12ihipStream_tbEUlT_E2_NS1_11comp_targetILNS1_3genE2ELNS1_11target_archE906ELNS1_3gpuE6ELNS1_3repE0EEENS1_30default_config_static_selectorELNS0_4arch9wavefront6targetE1EEEvSH_
; %bb.0:
	s_add_u32 s0, s0, s8
	s_load_dwordx4 s[8:11], s[4:5], 0x34
	s_addc_u32 s1, s1, 0
                                        ; implicit-def: $vgpr232 : SGPR spill to VGPR lane
	s_mov_b32 s32, 0
	v_writelane_b32 v232, s7, 0
	s_waitcnt lgkmcnt(0)
	s_add_i32 s73, s9, s6
	s_add_i32 s96, s11, s6
	s_mul_i32 s73, s73, s8
	s_mul_i32 s96, s96, s10
	s_cmp_le_u32 s96, s73
	s_cbranch_scc1 .LBB738_1198
; %bb.1:
	s_mov_b32 s72, s6
	s_load_dword s6, s[4:5], 0x30
	s_load_dwordx4 s[84:87], s[4:5], 0x20
	s_load_dwordx4 s[88:91], s[4:5], 0x44
	s_load_dwordx8 s[76:83], s[4:5], 0x0
	s_waitcnt lgkmcnt(0)
	s_bitcmp1_b32 s6, 0
	s_cselect_b64 s[74:75], -1, 0
	s_sub_i32 s33, s96, s73
	s_cmpk_lt_u32 s33, 0x1001
	s_mov_b64 s[6:7], -1
	s_cbranch_scc0 .LBB738_15
; %bb.2:
	s_cmpk_lt_u32 s33, 0x41
	s_cbranch_scc0 .LBB738_9
; %bb.3:
	s_load_dword s6, s[4:5], 0x5c
	s_waitcnt lgkmcnt(0)
	s_lshr_b32 s7, s6, 16
	s_and_b32 s6, s6, 0xffff
	v_mad_u32_u24 v3, v2, s7, v1
	v_mad_u64_u32 v[3:4], s[6:7], v3, s6, v[0:1]
	v_cmp_gt_u32_e32 vcc, 8, v3
	s_and_saveexec_b64 s[34:35], vcc
	s_cbranch_execz .LBB738_8
; %bb.4:
	s_and_b32 s6, s88, 1
	v_cndmask_b32_e64 v3, 0, 1, s[74:75]
	v_cmp_ne_u32_e32 vcc, s6, v3
	s_mov_b64 s[6:7], -1
	s_cbranch_vccnz .LBB738_6
; %bb.5:
	s_add_u32 s8, s4, 0x50
	s_mov_b64 s[6:7], src_shared_base
	s_addc_u32 s9, s5, 0
	v_lshlrev_b32_e32 v3, 20, v2
	v_lshlrev_b32_e32 v4, 10, v1
	s_getpc_b64 s[10:11]
	s_add_u32 s10, s10, _ZN7rocprim17ROCPRIM_400000_NS6detail26segmented_warp_sort_helperINS1_20WarpSortHelperConfigILj8ELj8ELj256EEEllLi256ELb1EvE4sortIPKlPlS8_S9_EEvT_T0_T1_T2_jjjjRNS5_12storage_typeE@rel32@lo+4
	s_addc_u32 s11, s11, _ZN7rocprim17ROCPRIM_400000_NS6detail26segmented_warp_sort_helperINS1_20WarpSortHelperConfigILj8ELj8ELj256EEEllLi256ELb1EvE4sortIPKlPlS8_S9_EEvT_T0_T1_T2_jjjjRNS5_12storage_typeE@rel32@hi+12
	v_or3_b32 v31, v0, v4, v3
	s_mov_b32 s12, s72
	v_readlane_b32 s13, v232, 0
	v_mov_b32_e32 v40, v0
	v_mov_b32_e32 v0, s76
	;; [unrolled: 1-line block ×17, first 2 shown]
	s_mov_b64 s[36:37], s[4:5]
	s_swappc_b64 s[30:31], s[10:11]
	v_mov_b32_e32 v1, v41
	v_mov_b32_e32 v2, v42
	;; [unrolled: 1-line block ×3, first 2 shown]
	s_mov_b64 s[4:5], s[36:37]
	s_mov_b64 s[6:7], 0
.LBB738_6:
	s_andn2_b64 vcc, exec, s[6:7]
	s_cbranch_vccnz .LBB738_8
; %bb.7:
	s_add_u32 s8, s4, 0x50
	s_mov_b64 s[6:7], src_shared_base
	s_addc_u32 s9, s5, 0
	v_lshlrev_b32_e32 v3, 20, v2
	v_lshlrev_b32_e32 v4, 10, v1
	s_getpc_b64 s[10:11]
	s_add_u32 s10, s10, _ZN7rocprim17ROCPRIM_400000_NS6detail26segmented_warp_sort_helperINS1_20WarpSortHelperConfigILj8ELj8ELj256EEEllLi256ELb1EvE4sortIPKlPlS8_S9_EEvT_T0_T1_T2_jjjjRNS5_12storage_typeE@rel32@lo+4
	s_addc_u32 s11, s11, _ZN7rocprim17ROCPRIM_400000_NS6detail26segmented_warp_sort_helperINS1_20WarpSortHelperConfigILj8ELj8ELj256EEEllLi256ELb1EvE4sortIPKlPlS8_S9_EEvT_T0_T1_T2_jjjjRNS5_12storage_typeE@rel32@hi+12
	v_or3_b32 v31, v0, v4, v3
	s_mov_b32 s12, s72
	v_readlane_b32 s13, v232, 0
	v_mov_b32_e32 v40, v0
	v_mov_b32_e32 v0, s76
	;; [unrolled: 1-line block ×17, first 2 shown]
	s_mov_b64 s[36:37], s[4:5]
	s_swappc_b64 s[30:31], s[10:11]
	v_mov_b32_e32 v1, v41
	v_mov_b32_e32 v2, v42
	;; [unrolled: 1-line block ×3, first 2 shown]
	s_mov_b64 s[4:5], s[36:37]
.LBB738_8:
	s_or_b64 exec, exec, s[34:35]
	s_mov_b64 s[6:7], 0
.LBB738_9:
	s_andn2_b64 vcc, exec, s[6:7]
	s_cbranch_vccnz .LBB738_14
; %bb.10:
	s_and_b32 s6, s88, 1
	v_cndmask_b32_e64 v3, 0, 1, s[74:75]
	v_cmp_ne_u32_e32 vcc, s6, v3
	s_mov_b64 s[6:7], -1
	v_lshlrev_b32_e32 v41, 20, v2
	v_lshlrev_b32_e32 v42, 10, v1
	s_cbranch_vccnz .LBB738_12
; %bb.11:
	s_add_u32 s8, s4, 0x50
	s_mov_b64 s[6:7], src_shared_base
	s_addc_u32 s9, s5, 0
	s_getpc_b64 s[10:11]
	s_add_u32 s10, s10, _ZN7rocprim17ROCPRIM_400000_NS6detail40segmented_radix_sort_single_block_helperIllLj256ELj16ELb1EE4sortIPKlPlS6_S7_EEbT_T0_T1_T2_jjjjRNS3_12storage_typeE@rel32@lo+4
	s_addc_u32 s11, s11, _ZN7rocprim17ROCPRIM_400000_NS6detail40segmented_radix_sort_single_block_helperIllLj256ELj16ELb1EE4sortIPKlPlS6_S7_EEbT_T0_T1_T2_jjjjRNS3_12storage_typeE@rel32@hi+12
	v_or3_b32 v31, v0, v42, v41
	s_mov_b32 s12, s72
	v_readlane_b32 s13, v232, 0
	v_mov_b32_e32 v40, v0
	v_mov_b32_e32 v0, s76
	;; [unrolled: 1-line block ×17, first 2 shown]
	s_mov_b64 s[34:35], s[4:5]
	s_swappc_b64 s[30:31], s[10:11]
	v_mov_b32_e32 v1, v43
	v_mov_b32_e32 v2, v44
	;; [unrolled: 1-line block ×3, first 2 shown]
	s_mov_b64 s[4:5], s[34:35]
	s_mov_b64 s[6:7], 0
.LBB738_12:
	s_andn2_b64 vcc, exec, s[6:7]
	s_cbranch_vccnz .LBB738_14
; %bb.13:
	s_add_u32 s8, s4, 0x50
	s_mov_b64 s[6:7], src_shared_base
	s_addc_u32 s9, s5, 0
	s_getpc_b64 s[10:11]
	s_add_u32 s10, s10, _ZN7rocprim17ROCPRIM_400000_NS6detail40segmented_radix_sort_single_block_helperIllLj256ELj16ELb1EE4sortIPKlPlS6_S7_EEbT_T0_T1_T2_jjjjRNS3_12storage_typeE@rel32@lo+4
	s_addc_u32 s11, s11, _ZN7rocprim17ROCPRIM_400000_NS6detail40segmented_radix_sort_single_block_helperIllLj256ELj16ELb1EE4sortIPKlPlS6_S7_EEbT_T0_T1_T2_jjjjRNS3_12storage_typeE@rel32@hi+12
	v_or3_b32 v31, v0, v42, v41
	s_mov_b32 s12, s72
	v_readlane_b32 s13, v232, 0
	v_mov_b32_e32 v40, v0
	v_mov_b32_e32 v0, s76
	;; [unrolled: 1-line block ×17, first 2 shown]
	s_mov_b64 s[34:35], s[4:5]
	s_swappc_b64 s[30:31], s[10:11]
	v_mov_b32_e32 v1, v41
	v_mov_b32_e32 v2, v42
	v_mov_b32_e32 v0, v40
	s_mov_b64 s[4:5], s[34:35]
.LBB738_14:
	s_mov_b64 s[6:7], 0
.LBB738_15:
	s_andn2_b64 vcc, exec, s[6:7]
	s_cbranch_vccnz .LBB738_1198
; %bb.16:
	s_cmp_ge_u32 s89, s90
	s_cbranch_scc1 .LBB738_1198
; %bb.17:
	v_lshlrev_b32_e32 v5, 3, v0
	v_and_b32_e32 v4, 3, v0
	v_mov_b32_e32 v6, s81
	v_add_co_u32_e32 v73, vcc, s80, v5
	v_addc_co_u32_e32 v74, vcc, 0, v6, vcc
	v_lshlrev_b32_e32 v89, 2, v4
	v_lshlrev_b32_e32 v4, 4, v0
	v_mul_u32_u24_e32 v90, 12, v0
	v_and_b32_e32 v6, 0xc0, v0
	v_min_u32_e32 v7, 64, v6
	v_and_b32_e32 v96, 0xc00, v4
	v_or_b32_e32 v6, 63, v6
	v_sub_u32_e32 v97, v90, v5
	s_movk_i32 s18, 0x80
	v_cmp_eq_u32_e64 s[12:13], v0, v6
	v_add_u32_e32 v6, 1, v0
	v_add_u32_e32 v99, v97, v4
	v_lshlrev_b32_e32 v4, 3, v96
	s_mov_b64 s[6:7], s[4:5]
	v_cmp_gt_u32_e64 s[4:5], s18, v0
	v_mul_u32_u24_e32 v98, 20, v6
	v_cmp_ne_u32_e64 s[18:19], s18, v6
	v_mov_b32_e32 v6, s87
	v_add_co_u32_e32 v100, vcc, s86, v4
	v_addc_co_u32_e32 v101, vcc, 0, v6, vcc
	v_mov_b32_e32 v6, s81
	v_add_co_u32_e32 v102, vcc, s80, v4
	v_addc_co_u32_e32 v103, vcc, 0, v6, vcc
	;; [unrolled: 3-line block ×6, first 2 shown]
	v_or_b32_e32 v7, 63, v7
	v_mov_b32_e32 v5, s83
	v_add_co_u32_e32 v113, vcc, s82, v4
	v_cmp_eq_u32_e64 s[8:9], v0, v7
	v_lshrrev_b32_e32 v7, 4, v0
	v_addc_co_u32_e32 v114, vcc, 0, v5, vcc
	v_lshlrev_b32_e32 v71, 2, v0
	v_or_b32_e32 v75, 0x200, v0
	v_or_b32_e32 v76, 0x300, v0
	;; [unrolled: 1-line block ×14, first 2 shown]
	v_writelane_b32 v232, s8, 1
	v_and_b32_e32 v92, 12, v7
	s_add_u32 s94, s6, 0x50
	v_mov_b32_e32 v5, s77
	v_add_co_u32_e32 v115, vcc, s76, v4
	v_mbcnt_lo_u32_b32 v4, -1, 0
	s_mov_b32 s93, 0
	v_mov_b32_e32 v3, 0
	v_or_b32_e32 v72, 0x100, v0
	v_mad_u32_u24 v91, v0, 12, v71
	v_writelane_b32 v232, s9, 2
	v_or_b32_e32 v93, 0x8200, v92
	v_cmp_gt_u32_e64 s[8:9], 2, v0
	v_add_u32_e32 v94, 0x8200, v71
	v_cmp_lt_u32_e64 s[10:11], 63, v0
	v_add_u32_e32 v95, 0x81fc, v92
	s_addc_u32 s95, s7, 0
	v_cmp_gt_u32_e64 s[14:15], 4, v0
	v_cmp_eq_u32_e64 s[16:17], 0, v0
	v_mad_i32_i24 v104, v0, -12, v99
	v_addc_co_u32_e32 v116, vcc, 0, v5, vcc
	s_mov_b32 s88, s89
	v_mov_b32_e32 v117, 1
	v_lshlrev_b32_e32 v118, 3, v0
	v_lshlrev_b32_e32 v119, 3, v75
	;; [unrolled: 1-line block ×15, first 2 shown]
	v_mbcnt_hi_u32_b32 v133, -1, v4
	v_bfrev_b32_e32 v4, 1
	s_mov_b32 s97, s89
	s_branch .LBB738_20
.LBB738_18:                             ;   in Loop: Header=BB738_20 Depth=1
	s_waitcnt lgkmcnt(0)
	s_barrier
.LBB738_19:                             ;   in Loop: Header=BB738_20 Depth=1
	s_add_i32 s97, s97, 7
	s_cmp_ge_u32 s97, s90
	s_cbranch_scc1 .LBB738_1198
.LBB738_20:                             ; =>This Loop Header: Depth=1
                                        ;     Child Loop BB738_24 Depth 2
                                        ;     Child Loop BB738_104 Depth 2
                                        ;     Child Loop BB738_318 Depth 2
                                        ;     Child Loop BB738_398 Depth 2
                                        ;     Child Loop BB738_614 Depth 2
                                        ;     Child Loop BB738_694 Depth 2
                                        ;     Child Loop BB738_908 Depth 2
                                        ;     Child Loop BB738_988 Depth 2
	s_sub_i32 s6, s90, s97
	s_xor_b64 s[74:75], s[74:75], -1
	s_min_u32 s98, s6, 7
	s_cmp_lg_u32 s97, s89
	s_mov_b64 s[20:21], -1
	ds_write2st64_b32 v71, v3, v3 offset1:4
	s_waitcnt lgkmcnt(0)
	s_cbranch_scc0 .LBB738_610
; %bb.21:                               ;   in Loop: Header=BB738_20 Depth=1
	s_lshl_b32 s6, -1, s98
	s_not_b32 s99, s6
	s_and_b64 vcc, exec, s[74:75]
	s_cbranch_vccz .LBB738_315
; %bb.22:                               ;   in Loop: Header=BB738_20 Depth=1
	s_mov_b32 s6, s33
	s_mov_b32 s92, s73
	s_barrier
                                        ; implicit-def: $vgpr5_vgpr6
                                        ; implicit-def: $vgpr7_vgpr8
                                        ; implicit-def: $vgpr9_vgpr10
                                        ; implicit-def: $vgpr11_vgpr12
                                        ; implicit-def: $vgpr13_vgpr14
                                        ; implicit-def: $vgpr15_vgpr16
                                        ; implicit-def: $vgpr17_vgpr18
                                        ; implicit-def: $vgpr19_vgpr20
                                        ; implicit-def: $vgpr21_vgpr22
                                        ; implicit-def: $vgpr23_vgpr24
                                        ; implicit-def: $vgpr25_vgpr26
                                        ; implicit-def: $vgpr27_vgpr28
                                        ; implicit-def: $vgpr29_vgpr30
                                        ; implicit-def: $vgpr31_vgpr32
                                        ; implicit-def: $vgpr33_vgpr34
                                        ; implicit-def: $vgpr35_vgpr36
	s_branch .LBB738_24
.LBB738_23:                             ;   in Loop: Header=BB738_24 Depth=2
	s_or_b64 exec, exec, s[20:21]
	s_addk_i32 s6, 0xf000
	s_cmp_ge_u32 s7, s96
	s_mov_b32 s92, s7
	s_cbranch_scc1 .LBB738_92
.LBB738_24:                             ;   Parent Loop BB738_20 Depth=1
                                        ; =>  This Inner Loop Header: Depth=2
	s_add_i32 s7, s92, 0x1000
	s_cmp_gt_u32 s7, s96
	s_mov_b64 s[20:21], -1
                                        ; implicit-def: $vgpr37_vgpr38
                                        ; implicit-def: $vgpr39_vgpr40
                                        ; implicit-def: $vgpr41_vgpr42
                                        ; implicit-def: $vgpr43_vgpr44
                                        ; implicit-def: $vgpr45_vgpr46
                                        ; implicit-def: $vgpr47_vgpr48
                                        ; implicit-def: $vgpr49_vgpr50
                                        ; implicit-def: $vgpr51_vgpr52
                                        ; implicit-def: $vgpr53_vgpr54
                                        ; implicit-def: $vgpr55_vgpr56
                                        ; implicit-def: $vgpr57_vgpr58
                                        ; implicit-def: $vgpr59_vgpr60
                                        ; implicit-def: $vgpr61_vgpr62
                                        ; implicit-def: $vgpr63_vgpr64
                                        ; implicit-def: $vgpr65_vgpr66
                                        ; implicit-def: $vgpr67_vgpr68
	s_cbranch_scc1 .LBB738_26
; %bb.25:                               ;   in Loop: Header=BB738_24 Depth=2
	s_lshl_b64 s[20:21], s[92:93], 3
	v_mov_b32_e32 v37, s21
	v_add_co_u32_e32 v61, vcc, s20, v73
	v_addc_co_u32_e32 v62, vcc, v74, v37, vcc
	v_add_co_u32_e32 v45, vcc, 0x1000, v61
	v_addc_co_u32_e32 v46, vcc, 0, v62, vcc
	;; [unrolled: 2-line block ×6, first 2 shown]
	global_load_dwordx2 v[37:38], v[61:62], off
	global_load_dwordx2 v[39:40], v[61:62], off offset:2048
	global_load_dwordx2 v[41:42], v[45:46], off
	global_load_dwordx2 v[43:44], v[45:46], off offset:2048
	s_nop 0
	global_load_dwordx2 v[45:46], v[53:54], off
	global_load_dwordx2 v[47:48], v[53:54], off offset:2048
	global_load_dwordx2 v[49:50], v[55:56], off
	global_load_dwordx2 v[51:52], v[55:56], off offset:2048
	s_nop 0
	global_load_dwordx2 v[53:54], v[59:60], off
	global_load_dwordx2 v[55:56], v[59:60], off offset:2048
	global_load_dwordx2 v[57:58], v[63:64], off
                                        ; kill: killed $vgpr59 killed $vgpr60
	s_nop 0
	global_load_dwordx2 v[59:60], v[63:64], off offset:2048
	v_add_co_u32_e32 v63, vcc, 0x6000, v61
	v_addc_co_u32_e32 v64, vcc, 0, v62, vcc
	v_add_co_u32_e32 v67, vcc, 0x7000, v61
	v_addc_co_u32_e32 v68, vcc, 0, v62, vcc
	global_load_dwordx2 v[61:62], v[63:64], off
	s_nop 0
	global_load_dwordx2 v[63:64], v[63:64], off offset:2048
	s_nop 0
	global_load_dwordx2 v[65:66], v[67:68], off
	s_nop 0
	global_load_dwordx2 v[67:68], v[67:68], off offset:2048
	s_mov_b64 s[20:21], 0
.LBB738_26:                             ;   in Loop: Header=BB738_24 Depth=2
	s_andn2_b64 vcc, exec, s[20:21]
	s_movk_i32 s22, 0x1000
	s_cbranch_vccnz .LBB738_45
; %bb.27:                               ;   in Loop: Header=BB738_24 Depth=2
	s_lshl_b64 s[20:21], s[92:93], 3
	s_add_u32 s20, s80, s20
	s_addc_u32 s21, s81, s21
	v_cmp_gt_u32_e32 vcc, s6, v0
	s_and_saveexec_b64 s[22:23], vcc
	s_cbranch_execnz .LBB738_77
; %bb.28:                               ;   in Loop: Header=BB738_24 Depth=2
	s_or_b64 exec, exec, s[22:23]
	v_cmp_gt_u32_e32 vcc, s6, v72
	s_and_saveexec_b64 s[22:23], vcc
	s_cbranch_execnz .LBB738_78
.LBB738_29:                             ;   in Loop: Header=BB738_24 Depth=2
	s_or_b64 exec, exec, s[22:23]
	v_cmp_gt_u32_e32 vcc, s6, v75
	s_and_saveexec_b64 s[22:23], vcc
	s_cbranch_execnz .LBB738_79
.LBB738_30:                             ;   in Loop: Header=BB738_24 Depth=2
	s_or_b64 exec, exec, s[22:23]
	v_cmp_gt_u32_e32 vcc, s6, v76
	s_and_saveexec_b64 s[22:23], vcc
	s_cbranch_execnz .LBB738_80
.LBB738_31:                             ;   in Loop: Header=BB738_24 Depth=2
	s_or_b64 exec, exec, s[22:23]
	v_cmp_gt_u32_e32 vcc, s6, v77
	s_and_saveexec_b64 s[22:23], vcc
	s_cbranch_execnz .LBB738_81
.LBB738_32:                             ;   in Loop: Header=BB738_24 Depth=2
	s_or_b64 exec, exec, s[22:23]
	v_cmp_gt_u32_e32 vcc, s6, v78
	s_and_saveexec_b64 s[22:23], vcc
	s_cbranch_execnz .LBB738_82
.LBB738_33:                             ;   in Loop: Header=BB738_24 Depth=2
	s_or_b64 exec, exec, s[22:23]
	v_cmp_gt_u32_e32 vcc, s6, v79
	s_and_saveexec_b64 s[22:23], vcc
	s_cbranch_execnz .LBB738_83
.LBB738_34:                             ;   in Loop: Header=BB738_24 Depth=2
	s_or_b64 exec, exec, s[22:23]
	v_cmp_gt_u32_e32 vcc, s6, v80
	s_and_saveexec_b64 s[22:23], vcc
	s_cbranch_execnz .LBB738_84
.LBB738_35:                             ;   in Loop: Header=BB738_24 Depth=2
	s_or_b64 exec, exec, s[22:23]
	v_cmp_gt_u32_e32 vcc, s6, v81
	s_and_saveexec_b64 s[22:23], vcc
	s_cbranch_execnz .LBB738_85
.LBB738_36:                             ;   in Loop: Header=BB738_24 Depth=2
	s_or_b64 exec, exec, s[22:23]
	v_cmp_gt_u32_e32 vcc, s6, v82
	s_and_saveexec_b64 s[22:23], vcc
	s_cbranch_execnz .LBB738_86
.LBB738_37:                             ;   in Loop: Header=BB738_24 Depth=2
	s_or_b64 exec, exec, s[22:23]
	v_cmp_gt_u32_e32 vcc, s6, v83
	s_and_saveexec_b64 s[22:23], vcc
	s_cbranch_execnz .LBB738_87
.LBB738_38:                             ;   in Loop: Header=BB738_24 Depth=2
	s_or_b64 exec, exec, s[22:23]
	v_cmp_gt_u32_e32 vcc, s6, v84
	s_and_saveexec_b64 s[22:23], vcc
	s_cbranch_execnz .LBB738_88
.LBB738_39:                             ;   in Loop: Header=BB738_24 Depth=2
	s_or_b64 exec, exec, s[22:23]
	v_cmp_gt_u32_e32 vcc, s6, v85
	s_and_saveexec_b64 s[22:23], vcc
	s_cbranch_execnz .LBB738_89
.LBB738_40:                             ;   in Loop: Header=BB738_24 Depth=2
	s_or_b64 exec, exec, s[22:23]
	v_cmp_gt_u32_e32 vcc, s6, v86
	s_and_saveexec_b64 s[22:23], vcc
	s_cbranch_execnz .LBB738_90
.LBB738_41:                             ;   in Loop: Header=BB738_24 Depth=2
	s_or_b64 exec, exec, s[22:23]
	v_cmp_gt_u32_e32 vcc, s6, v87
	s_and_saveexec_b64 s[22:23], vcc
	s_cbranch_execnz .LBB738_91
.LBB738_42:                             ;   in Loop: Header=BB738_24 Depth=2
	s_or_b64 exec, exec, s[22:23]
	v_cmp_gt_u32_e32 vcc, s6, v88
	s_and_saveexec_b64 s[22:23], vcc
	s_cbranch_execz .LBB738_44
.LBB738_43:                             ;   in Loop: Header=BB738_24 Depth=2
	global_load_dwordx2 v[5:6], v132, s[20:21]
.LBB738_44:                             ;   in Loop: Header=BB738_24 Depth=2
	s_or_b64 exec, exec, s[22:23]
	s_waitcnt vmcnt(0)
	v_mov_b32_e32 v38, v36
	v_mov_b32_e32 v40, v34
	;; [unrolled: 1-line block ×16, first 2 shown]
	s_mov_b32 s22, s6
	v_mov_b32_e32 v37, v35
	v_mov_b32_e32 v39, v33
	;; [unrolled: 1-line block ×16, first 2 shown]
.LBB738_45:                             ;   in Loop: Header=BB738_24 Depth=2
	s_waitcnt vmcnt(0)
	v_mov_b32_e32 v5, v67
	v_mov_b32_e32 v7, v65
	;; [unrolled: 1-line block ×32, first 2 shown]
	v_cmp_gt_u32_e32 vcc, s22, v0
	s_and_saveexec_b64 s[20:21], vcc
	s_cbranch_execnz .LBB738_61
; %bb.46:                               ;   in Loop: Header=BB738_24 Depth=2
	s_or_b64 exec, exec, s[20:21]
	v_cmp_gt_u32_e32 vcc, s22, v72
	s_and_saveexec_b64 s[20:21], vcc
	s_cbranch_execnz .LBB738_62
.LBB738_47:                             ;   in Loop: Header=BB738_24 Depth=2
	s_or_b64 exec, exec, s[20:21]
	v_cmp_gt_u32_e32 vcc, s22, v75
	s_and_saveexec_b64 s[20:21], vcc
	s_cbranch_execnz .LBB738_63
.LBB738_48:                             ;   in Loop: Header=BB738_24 Depth=2
	s_or_b64 exec, exec, s[20:21]
	v_cmp_gt_u32_e32 vcc, s22, v76
	s_and_saveexec_b64 s[20:21], vcc
	s_cbranch_execnz .LBB738_64
.LBB738_49:                             ;   in Loop: Header=BB738_24 Depth=2
	s_or_b64 exec, exec, s[20:21]
	v_cmp_gt_u32_e32 vcc, s22, v77
	s_and_saveexec_b64 s[20:21], vcc
	s_cbranch_execnz .LBB738_65
.LBB738_50:                             ;   in Loop: Header=BB738_24 Depth=2
	s_or_b64 exec, exec, s[20:21]
	v_cmp_gt_u32_e32 vcc, s22, v78
	s_and_saveexec_b64 s[20:21], vcc
	s_cbranch_execnz .LBB738_66
.LBB738_51:                             ;   in Loop: Header=BB738_24 Depth=2
	s_or_b64 exec, exec, s[20:21]
	v_cmp_gt_u32_e32 vcc, s22, v79
	s_and_saveexec_b64 s[20:21], vcc
	s_cbranch_execnz .LBB738_67
.LBB738_52:                             ;   in Loop: Header=BB738_24 Depth=2
	s_or_b64 exec, exec, s[20:21]
	v_cmp_gt_u32_e32 vcc, s22, v80
	s_and_saveexec_b64 s[20:21], vcc
	s_cbranch_execnz .LBB738_68
.LBB738_53:                             ;   in Loop: Header=BB738_24 Depth=2
	s_or_b64 exec, exec, s[20:21]
	v_cmp_gt_u32_e32 vcc, s22, v81
	s_and_saveexec_b64 s[20:21], vcc
	s_cbranch_execnz .LBB738_69
.LBB738_54:                             ;   in Loop: Header=BB738_24 Depth=2
	s_or_b64 exec, exec, s[20:21]
	v_cmp_gt_u32_e32 vcc, s22, v82
	s_and_saveexec_b64 s[20:21], vcc
	s_cbranch_execnz .LBB738_70
.LBB738_55:                             ;   in Loop: Header=BB738_24 Depth=2
	s_or_b64 exec, exec, s[20:21]
	v_cmp_gt_u32_e32 vcc, s22, v83
	s_and_saveexec_b64 s[20:21], vcc
	s_cbranch_execnz .LBB738_71
.LBB738_56:                             ;   in Loop: Header=BB738_24 Depth=2
	s_or_b64 exec, exec, s[20:21]
	v_cmp_gt_u32_e32 vcc, s22, v84
	s_and_saveexec_b64 s[20:21], vcc
	s_cbranch_execnz .LBB738_72
.LBB738_57:                             ;   in Loop: Header=BB738_24 Depth=2
	s_or_b64 exec, exec, s[20:21]
	v_cmp_gt_u32_e32 vcc, s22, v85
	s_and_saveexec_b64 s[20:21], vcc
	s_cbranch_execnz .LBB738_73
.LBB738_58:                             ;   in Loop: Header=BB738_24 Depth=2
	s_or_b64 exec, exec, s[20:21]
	v_cmp_gt_u32_e32 vcc, s22, v86
	s_and_saveexec_b64 s[20:21], vcc
	s_cbranch_execnz .LBB738_74
.LBB738_59:                             ;   in Loop: Header=BB738_24 Depth=2
	s_or_b64 exec, exec, s[20:21]
	v_cmp_gt_u32_e32 vcc, s22, v87
	s_and_saveexec_b64 s[20:21], vcc
	s_cbranch_execnz .LBB738_75
.LBB738_60:                             ;   in Loop: Header=BB738_24 Depth=2
	s_or_b64 exec, exec, s[20:21]
	v_cmp_gt_u32_e32 vcc, s22, v88
	s_and_saveexec_b64 s[20:21], vcc
	s_cbranch_execz .LBB738_23
	s_branch .LBB738_76
.LBB738_61:                             ;   in Loop: Header=BB738_24 Depth=2
	v_xor_b32_e32 v38, 0x7fffffff, v36
	v_not_b32_e32 v37, v35
	v_lshrrev_b64 v[37:38], s97, v[37:38]
	v_and_b32_e32 v37, s99, v37
	v_lshl_or_b32 v37, v37, 4, v89
	ds_add_u32 v37, v117
	s_or_b64 exec, exec, s[20:21]
	v_cmp_gt_u32_e32 vcc, s22, v72
	s_and_saveexec_b64 s[20:21], vcc
	s_cbranch_execz .LBB738_47
.LBB738_62:                             ;   in Loop: Header=BB738_24 Depth=2
	v_xor_b32_e32 v38, 0x7fffffff, v34
	v_not_b32_e32 v37, v33
	v_lshrrev_b64 v[37:38], s97, v[37:38]
	v_and_b32_e32 v37, s99, v37
	v_lshl_or_b32 v37, v37, 4, v89
	ds_add_u32 v37, v117
	s_or_b64 exec, exec, s[20:21]
	v_cmp_gt_u32_e32 vcc, s22, v75
	s_and_saveexec_b64 s[20:21], vcc
	s_cbranch_execz .LBB738_48
.LBB738_63:                             ;   in Loop: Header=BB738_24 Depth=2
	v_xor_b32_e32 v38, 0x7fffffff, v32
	v_not_b32_e32 v37, v31
	v_lshrrev_b64 v[37:38], s97, v[37:38]
	v_and_b32_e32 v37, s99, v37
	v_lshl_or_b32 v37, v37, 4, v89
	ds_add_u32 v37, v117
	s_or_b64 exec, exec, s[20:21]
	v_cmp_gt_u32_e32 vcc, s22, v76
	s_and_saveexec_b64 s[20:21], vcc
	s_cbranch_execz .LBB738_49
.LBB738_64:                             ;   in Loop: Header=BB738_24 Depth=2
	v_xor_b32_e32 v38, 0x7fffffff, v30
	v_not_b32_e32 v37, v29
	v_lshrrev_b64 v[37:38], s97, v[37:38]
	v_and_b32_e32 v37, s99, v37
	v_lshl_or_b32 v37, v37, 4, v89
	ds_add_u32 v37, v117
	s_or_b64 exec, exec, s[20:21]
	v_cmp_gt_u32_e32 vcc, s22, v77
	s_and_saveexec_b64 s[20:21], vcc
	s_cbranch_execz .LBB738_50
.LBB738_65:                             ;   in Loop: Header=BB738_24 Depth=2
	v_xor_b32_e32 v38, 0x7fffffff, v28
	v_not_b32_e32 v37, v27
	v_lshrrev_b64 v[37:38], s97, v[37:38]
	v_and_b32_e32 v37, s99, v37
	v_lshl_or_b32 v37, v37, 4, v89
	ds_add_u32 v37, v117
	s_or_b64 exec, exec, s[20:21]
	v_cmp_gt_u32_e32 vcc, s22, v78
	s_and_saveexec_b64 s[20:21], vcc
	s_cbranch_execz .LBB738_51
.LBB738_66:                             ;   in Loop: Header=BB738_24 Depth=2
	v_xor_b32_e32 v38, 0x7fffffff, v26
	v_not_b32_e32 v37, v25
	v_lshrrev_b64 v[37:38], s97, v[37:38]
	v_and_b32_e32 v37, s99, v37
	v_lshl_or_b32 v37, v37, 4, v89
	ds_add_u32 v37, v117
	s_or_b64 exec, exec, s[20:21]
	v_cmp_gt_u32_e32 vcc, s22, v79
	s_and_saveexec_b64 s[20:21], vcc
	s_cbranch_execz .LBB738_52
.LBB738_67:                             ;   in Loop: Header=BB738_24 Depth=2
	v_xor_b32_e32 v38, 0x7fffffff, v24
	v_not_b32_e32 v37, v23
	v_lshrrev_b64 v[37:38], s97, v[37:38]
	v_and_b32_e32 v37, s99, v37
	v_lshl_or_b32 v37, v37, 4, v89
	ds_add_u32 v37, v117
	s_or_b64 exec, exec, s[20:21]
	v_cmp_gt_u32_e32 vcc, s22, v80
	s_and_saveexec_b64 s[20:21], vcc
	s_cbranch_execz .LBB738_53
.LBB738_68:                             ;   in Loop: Header=BB738_24 Depth=2
	v_xor_b32_e32 v38, 0x7fffffff, v22
	v_not_b32_e32 v37, v21
	v_lshrrev_b64 v[37:38], s97, v[37:38]
	v_and_b32_e32 v37, s99, v37
	v_lshl_or_b32 v37, v37, 4, v89
	ds_add_u32 v37, v117
	s_or_b64 exec, exec, s[20:21]
	v_cmp_gt_u32_e32 vcc, s22, v81
	s_and_saveexec_b64 s[20:21], vcc
	s_cbranch_execz .LBB738_54
.LBB738_69:                             ;   in Loop: Header=BB738_24 Depth=2
	v_xor_b32_e32 v38, 0x7fffffff, v20
	v_not_b32_e32 v37, v19
	v_lshrrev_b64 v[37:38], s97, v[37:38]
	v_and_b32_e32 v37, s99, v37
	v_lshl_or_b32 v37, v37, 4, v89
	ds_add_u32 v37, v117
	s_or_b64 exec, exec, s[20:21]
	v_cmp_gt_u32_e32 vcc, s22, v82
	s_and_saveexec_b64 s[20:21], vcc
	s_cbranch_execz .LBB738_55
.LBB738_70:                             ;   in Loop: Header=BB738_24 Depth=2
	v_xor_b32_e32 v38, 0x7fffffff, v18
	v_not_b32_e32 v37, v17
	v_lshrrev_b64 v[37:38], s97, v[37:38]
	v_and_b32_e32 v37, s99, v37
	v_lshl_or_b32 v37, v37, 4, v89
	ds_add_u32 v37, v117
	s_or_b64 exec, exec, s[20:21]
	v_cmp_gt_u32_e32 vcc, s22, v83
	s_and_saveexec_b64 s[20:21], vcc
	s_cbranch_execz .LBB738_56
.LBB738_71:                             ;   in Loop: Header=BB738_24 Depth=2
	v_xor_b32_e32 v38, 0x7fffffff, v16
	v_not_b32_e32 v37, v15
	v_lshrrev_b64 v[37:38], s97, v[37:38]
	v_and_b32_e32 v37, s99, v37
	v_lshl_or_b32 v37, v37, 4, v89
	ds_add_u32 v37, v117
	s_or_b64 exec, exec, s[20:21]
	v_cmp_gt_u32_e32 vcc, s22, v84
	s_and_saveexec_b64 s[20:21], vcc
	s_cbranch_execz .LBB738_57
.LBB738_72:                             ;   in Loop: Header=BB738_24 Depth=2
	v_xor_b32_e32 v38, 0x7fffffff, v14
	v_not_b32_e32 v37, v13
	v_lshrrev_b64 v[37:38], s97, v[37:38]
	v_and_b32_e32 v37, s99, v37
	v_lshl_or_b32 v37, v37, 4, v89
	ds_add_u32 v37, v117
	s_or_b64 exec, exec, s[20:21]
	v_cmp_gt_u32_e32 vcc, s22, v85
	s_and_saveexec_b64 s[20:21], vcc
	s_cbranch_execz .LBB738_58
.LBB738_73:                             ;   in Loop: Header=BB738_24 Depth=2
	v_xor_b32_e32 v38, 0x7fffffff, v12
	v_not_b32_e32 v37, v11
	v_lshrrev_b64 v[37:38], s97, v[37:38]
	v_and_b32_e32 v37, s99, v37
	v_lshl_or_b32 v37, v37, 4, v89
	ds_add_u32 v37, v117
	s_or_b64 exec, exec, s[20:21]
	v_cmp_gt_u32_e32 vcc, s22, v86
	s_and_saveexec_b64 s[20:21], vcc
	s_cbranch_execz .LBB738_59
.LBB738_74:                             ;   in Loop: Header=BB738_24 Depth=2
	v_xor_b32_e32 v38, 0x7fffffff, v10
	v_not_b32_e32 v37, v9
	v_lshrrev_b64 v[37:38], s97, v[37:38]
	v_and_b32_e32 v37, s99, v37
	v_lshl_or_b32 v37, v37, 4, v89
	ds_add_u32 v37, v117
	s_or_b64 exec, exec, s[20:21]
	v_cmp_gt_u32_e32 vcc, s22, v87
	s_and_saveexec_b64 s[20:21], vcc
	s_cbranch_execz .LBB738_60
.LBB738_75:                             ;   in Loop: Header=BB738_24 Depth=2
	v_xor_b32_e32 v38, 0x7fffffff, v8
	v_not_b32_e32 v37, v7
	v_lshrrev_b64 v[37:38], s97, v[37:38]
	v_and_b32_e32 v37, s99, v37
	v_lshl_or_b32 v37, v37, 4, v89
	ds_add_u32 v37, v117
	s_or_b64 exec, exec, s[20:21]
	v_cmp_gt_u32_e32 vcc, s22, v88
	s_and_saveexec_b64 s[20:21], vcc
	s_cbranch_execz .LBB738_23
.LBB738_76:                             ;   in Loop: Header=BB738_24 Depth=2
	v_xor_b32_e32 v38, 0x7fffffff, v6
	v_not_b32_e32 v37, v5
	v_lshrrev_b64 v[37:38], s97, v[37:38]
	v_and_b32_e32 v37, s99, v37
	v_lshl_or_b32 v37, v37, 4, v89
	ds_add_u32 v37, v117
	s_branch .LBB738_23
.LBB738_77:                             ;   in Loop: Header=BB738_24 Depth=2
	global_load_dwordx2 v[35:36], v118, s[20:21]
	s_or_b64 exec, exec, s[22:23]
	v_cmp_gt_u32_e32 vcc, s6, v72
	s_and_saveexec_b64 s[22:23], vcc
	s_cbranch_execz .LBB738_29
.LBB738_78:                             ;   in Loop: Header=BB738_24 Depth=2
	global_load_dwordx2 v[33:34], v118, s[20:21] offset:2048
	s_or_b64 exec, exec, s[22:23]
	v_cmp_gt_u32_e32 vcc, s6, v75
	s_and_saveexec_b64 s[22:23], vcc
	s_cbranch_execz .LBB738_30
.LBB738_79:                             ;   in Loop: Header=BB738_24 Depth=2
	global_load_dwordx2 v[31:32], v119, s[20:21]
	s_or_b64 exec, exec, s[22:23]
	v_cmp_gt_u32_e32 vcc, s6, v76
	s_and_saveexec_b64 s[22:23], vcc
	s_cbranch_execz .LBB738_31
.LBB738_80:                             ;   in Loop: Header=BB738_24 Depth=2
	global_load_dwordx2 v[29:30], v120, s[20:21]
	s_or_b64 exec, exec, s[22:23]
	v_cmp_gt_u32_e32 vcc, s6, v77
	s_and_saveexec_b64 s[22:23], vcc
	s_cbranch_execz .LBB738_32
.LBB738_81:                             ;   in Loop: Header=BB738_24 Depth=2
	global_load_dwordx2 v[27:28], v121, s[20:21]
	s_or_b64 exec, exec, s[22:23]
	v_cmp_gt_u32_e32 vcc, s6, v78
	s_and_saveexec_b64 s[22:23], vcc
	s_cbranch_execz .LBB738_33
.LBB738_82:                             ;   in Loop: Header=BB738_24 Depth=2
	global_load_dwordx2 v[25:26], v122, s[20:21]
	s_or_b64 exec, exec, s[22:23]
	v_cmp_gt_u32_e32 vcc, s6, v79
	s_and_saveexec_b64 s[22:23], vcc
	s_cbranch_execz .LBB738_34
.LBB738_83:                             ;   in Loop: Header=BB738_24 Depth=2
	global_load_dwordx2 v[23:24], v123, s[20:21]
	s_or_b64 exec, exec, s[22:23]
	v_cmp_gt_u32_e32 vcc, s6, v80
	s_and_saveexec_b64 s[22:23], vcc
	s_cbranch_execz .LBB738_35
.LBB738_84:                             ;   in Loop: Header=BB738_24 Depth=2
	global_load_dwordx2 v[21:22], v124, s[20:21]
	s_or_b64 exec, exec, s[22:23]
	v_cmp_gt_u32_e32 vcc, s6, v81
	s_and_saveexec_b64 s[22:23], vcc
	s_cbranch_execz .LBB738_36
.LBB738_85:                             ;   in Loop: Header=BB738_24 Depth=2
	global_load_dwordx2 v[19:20], v125, s[20:21]
	s_or_b64 exec, exec, s[22:23]
	v_cmp_gt_u32_e32 vcc, s6, v82
	s_and_saveexec_b64 s[22:23], vcc
	s_cbranch_execz .LBB738_37
.LBB738_86:                             ;   in Loop: Header=BB738_24 Depth=2
	global_load_dwordx2 v[17:18], v126, s[20:21]
	s_or_b64 exec, exec, s[22:23]
	v_cmp_gt_u32_e32 vcc, s6, v83
	s_and_saveexec_b64 s[22:23], vcc
	s_cbranch_execz .LBB738_38
.LBB738_87:                             ;   in Loop: Header=BB738_24 Depth=2
	global_load_dwordx2 v[15:16], v127, s[20:21]
	s_or_b64 exec, exec, s[22:23]
	v_cmp_gt_u32_e32 vcc, s6, v84
	s_and_saveexec_b64 s[22:23], vcc
	s_cbranch_execz .LBB738_39
.LBB738_88:                             ;   in Loop: Header=BB738_24 Depth=2
	global_load_dwordx2 v[13:14], v128, s[20:21]
	s_or_b64 exec, exec, s[22:23]
	v_cmp_gt_u32_e32 vcc, s6, v85
	s_and_saveexec_b64 s[22:23], vcc
	s_cbranch_execz .LBB738_40
.LBB738_89:                             ;   in Loop: Header=BB738_24 Depth=2
	global_load_dwordx2 v[11:12], v129, s[20:21]
	s_or_b64 exec, exec, s[22:23]
	v_cmp_gt_u32_e32 vcc, s6, v86
	s_and_saveexec_b64 s[22:23], vcc
	s_cbranch_execz .LBB738_41
.LBB738_90:                             ;   in Loop: Header=BB738_24 Depth=2
	global_load_dwordx2 v[9:10], v130, s[20:21]
	s_or_b64 exec, exec, s[22:23]
	v_cmp_gt_u32_e32 vcc, s6, v87
	s_and_saveexec_b64 s[22:23], vcc
	s_cbranch_execz .LBB738_42
.LBB738_91:                             ;   in Loop: Header=BB738_24 Depth=2
	global_load_dwordx2 v[7:8], v131, s[20:21]
	s_or_b64 exec, exec, s[22:23]
	v_cmp_gt_u32_e32 vcc, s6, v88
	s_and_saveexec_b64 s[22:23], vcc
	s_cbranch_execnz .LBB738_43
	s_branch .LBB738_44
.LBB738_92:                             ;   in Loop: Header=BB738_20 Depth=1
	v_mov_b32_e32 v5, 0
	s_waitcnt lgkmcnt(0)
	s_barrier
	s_and_saveexec_b64 s[20:21], s[4:5]
	s_cbranch_execz .LBB738_94
; %bb.93:                               ;   in Loop: Header=BB738_20 Depth=1
	ds_read2_b64 v[5:8], v91 offset1:1
	s_waitcnt lgkmcnt(0)
	v_add_u32_e32 v5, v6, v5
	v_add3_u32 v5, v5, v7, v8
.LBB738_94:                             ;   in Loop: Header=BB738_20 Depth=1
	s_or_b64 exec, exec, s[20:21]
	v_and_b32_e32 v6, 15, v133
	v_mov_b32_dpp v7, v5 row_shr:1 row_mask:0xf bank_mask:0xf
	v_cmp_eq_u32_e64 s[20:21], 0, v6
	v_cndmask_b32_e64 v7, v7, 0, s[20:21]
	v_add_u32_e32 v5, v7, v5
	v_cmp_lt_u32_e64 s[22:23], 1, v6
	v_cmp_lt_u32_e64 s[24:25], 3, v6
	v_mov_b32_dpp v7, v5 row_shr:2 row_mask:0xf bank_mask:0xf
	v_cndmask_b32_e64 v7, 0, v7, s[22:23]
	v_add_u32_e32 v5, v5, v7
	v_cmp_lt_u32_e64 s[26:27], 7, v6
	v_cmp_lt_u32_e64 s[30:31], 31, v133
	v_mov_b32_dpp v7, v5 row_shr:4 row_mask:0xf bank_mask:0xf
	v_cndmask_b32_e64 v7, 0, v7, s[24:25]
	v_add_u32_e32 v5, v5, v7
	v_and_b32_e32 v8, 16, v133
	v_cmp_eq_u32_e64 s[28:29], 0, v8
	v_mov_b32_dpp v7, v5 row_shr:8 row_mask:0xf bank_mask:0xf
	v_cndmask_b32_e64 v6, 0, v7, s[26:27]
	v_add_u32_e32 v5, v5, v6
	v_bfe_i32 v7, v133, 4, 1
	s_nop 0
	v_mov_b32_dpp v6, v5 row_bcast:15 row_mask:0xf bank_mask:0xf
	v_and_b32_e32 v6, v7, v6
	v_add_u32_e32 v5, v5, v6
	s_nop 1
	v_mov_b32_dpp v6, v5 row_bcast:31 row_mask:0xf bank_mask:0xf
	v_cndmask_b32_e64 v6, 0, v6, s[30:31]
	v_add_u32_e32 v5, v5, v6
	s_mov_b64 s[34:35], exec
	v_readlane_b32 s6, v232, 1
	v_readlane_b32 s7, v232, 2
	s_and_b64 s[6:7], s[34:35], s[6:7]
	s_mov_b64 exec, s[6:7]
; %bb.95:                               ;   in Loop: Header=BB738_20 Depth=1
	ds_write_b32 v93, v5
; %bb.96:                               ;   in Loop: Header=BB738_20 Depth=1
	s_or_b64 exec, exec, s[34:35]
	s_waitcnt lgkmcnt(0)
	s_barrier
	s_and_saveexec_b64 s[34:35], s[8:9]
	s_cbranch_execz .LBB738_98
; %bb.97:                               ;   in Loop: Header=BB738_20 Depth=1
	ds_read_b32 v6, v94
	v_bfe_i32 v7, v133, 0, 1
	s_waitcnt lgkmcnt(0)
	v_mov_b32_dpp v8, v6 row_shr:1 row_mask:0xf bank_mask:0xf
	v_and_b32_e32 v7, v7, v8
	v_add_u32_e32 v6, v7, v6
	ds_write_b32 v94, v6
.LBB738_98:                             ;   in Loop: Header=BB738_20 Depth=1
	s_or_b64 exec, exec, s[34:35]
	v_mov_b32_e32 v6, 0
	s_waitcnt lgkmcnt(0)
	s_barrier
	s_and_saveexec_b64 s[34:35], s[10:11]
; %bb.99:                               ;   in Loop: Header=BB738_20 Depth=1
	ds_read_b32 v6, v95
; %bb.100:                              ;   in Loop: Header=BB738_20 Depth=1
	s_or_b64 exec, exec, s[34:35]
	v_subrev_co_u32_e64 v7, s[34:35], 1, v133
	v_and_b32_e32 v8, 64, v133
	v_cmp_lt_i32_e32 vcc, v7, v8
	v_cndmask_b32_e32 v7, v7, v133, vcc
	s_waitcnt lgkmcnt(0)
	v_add_u32_e32 v5, v6, v5
	v_lshlrev_b32_e32 v134, 2, v7
	ds_bpermute_b32 v5, v134, v5
	s_waitcnt lgkmcnt(0)
	s_barrier
	s_and_saveexec_b64 s[36:37], s[4:5]
; %bb.101:                              ;   in Loop: Header=BB738_20 Depth=1
	v_cndmask_b32_e64 v5, v5, v6, s[34:35]
	v_add_u32_e32 v5, s73, v5
	ds_write_b32 v71, v5
; %bb.102:                              ;   in Loop: Header=BB738_20 Depth=1
	s_or_b64 exec, exec, s[36:37]
	s_load_dword s6, s[94:95], 0x4
	s_load_dword s40, s[94:95], 0xc
	v_readlane_b32 s7, v232, 0
	v_and_b32_e32 v38, 3, v133
	v_and_b32_e32 v39, 63, v133
	s_waitcnt lgkmcnt(0)
	s_cmp_lt_u32 s7, s6
	s_cselect_b32 s6, 14, 20
	s_add_u32 s6, s94, s6
	s_addc_u32 s7, s95, 0
	global_load_ushort v37, v3, s[6:7]
	s_and_b32 s6, s40, 0xffff
	v_cmp_eq_u32_e64 s[36:37], 0, v38
	v_cmp_lt_u32_e64 s[38:39], 1, v38
	v_lshlrev_b32_e32 v40, 3, v39
	v_add_co_u32_e32 v152, vcc, v100, v40
	v_addc_co_u32_e32 v153, vcc, 0, v101, vcc
	v_or_b32_e32 v151, v39, v96
	v_add_co_u32_e32 v169, vcc, v102, v40
	s_mov_b32 s91, s33
	v_or_b32_e32 v154, 64, v151
	v_or_b32_e32 v155, 0x80, v151
	;; [unrolled: 1-line block ×15, first 2 shown]
	v_addc_co_u32_e32 v170, vcc, 0, v103, vcc
	s_mov_b32 s92, s73
                                        ; implicit-def: $vgpr5_vgpr6
                                        ; implicit-def: $vgpr7_vgpr8
                                        ; implicit-def: $vgpr9_vgpr10
                                        ; implicit-def: $vgpr13_vgpr14
                                        ; implicit-def: $vgpr17_vgpr18
                                        ; implicit-def: $vgpr21_vgpr22
                                        ; implicit-def: $vgpr25_vgpr26
                                        ; implicit-def: $vgpr29_vgpr30
                                        ; implicit-def: $vgpr11_vgpr12
                                        ; implicit-def: $vgpr15_vgpr16
                                        ; implicit-def: $vgpr19_vgpr20
                                        ; implicit-def: $vgpr23_vgpr24
                                        ; implicit-def: $vgpr27_vgpr28
                                        ; implicit-def: $vgpr31_vgpr32
                                        ; implicit-def: $vgpr33_vgpr34
                                        ; implicit-def: $vgpr35_vgpr36
                                        ; implicit-def: $vgpr135
                                        ; implicit-def: $vgpr136
                                        ; implicit-def: $vgpr137
                                        ; implicit-def: $vgpr138
                                        ; implicit-def: $vgpr139
                                        ; implicit-def: $vgpr140
                                        ; implicit-def: $vgpr141
                                        ; implicit-def: $vgpr142
                                        ; implicit-def: $vgpr143
                                        ; implicit-def: $vgpr144
                                        ; implicit-def: $vgpr145
                                        ; implicit-def: $vgpr146
                                        ; implicit-def: $vgpr147
                                        ; implicit-def: $vgpr148
                                        ; implicit-def: $vgpr149
                                        ; implicit-def: $vgpr150
                                        ; implicit-def: $vgpr172
                                        ; implicit-def: $vgpr173
	s_waitcnt vmcnt(0)
	v_mad_u32_u24 v37, v2, v37, v1
	v_mad_u64_u32 v[37:38], s[6:7], v37, s6, v[0:1]
	v_lshrrev_b32_e32 v37, 4, v37
	v_and_b32_e32 v171, 0xffffffc, v37
	s_branch .LBB738_104
.LBB738_103:                            ;   in Loop: Header=BB738_104 Depth=2
	s_or_b64 exec, exec, s[40:41]
	s_addk_i32 s91, 0xf000
	s_cmp_lt_u32 s6, s96
	s_mov_b32 s92, s6
	s_cbranch_scc0 .LBB738_314
.LBB738_104:                            ;   Parent Loop BB738_20 Depth=1
                                        ; =>  This Inner Loop Header: Depth=2
	s_add_i32 s6, s92, 0x1000
	s_cmp_gt_u32 s6, s96
	s_cbranch_scc1 .LBB738_106
; %bb.105:                              ;   in Loop: Header=BB738_104 Depth=2
	s_lshl_b64 s[40:41], s[92:93], 3
	v_mov_b32_e32 v38, s41
	v_add_co_u32_e32 v37, vcc, s40, v169
	v_addc_co_u32_e32 v38, vcc, v170, v38, vcc
	global_load_dwordx2 v[39:40], v[37:38], off
	global_load_dwordx2 v[41:42], v[37:38], off offset:512
	global_load_dwordx2 v[45:46], v[37:38], off offset:1024
	;; [unrolled: 1-line block ×7, first 2 shown]
	v_add_co_u32_e32 v37, vcc, 0x1000, v37
	v_addc_co_u32_e32 v38, vcc, 0, v38, vcc
	global_load_dwordx2 v[65:66], v[37:38], off
	global_load_dwordx2 v[63:64], v[37:38], off offset:512
	global_load_dwordx2 v[59:60], v[37:38], off offset:1024
	;; [unrolled: 1-line block ×6, first 2 shown]
	s_mov_b64 s[40:41], -1
	s_movk_i32 s7, 0x1000
	s_cbranch_execz .LBB738_107
	s_branch .LBB738_138
.LBB738_106:                            ;   in Loop: Header=BB738_104 Depth=2
	s_mov_b64 s[40:41], 0
                                        ; implicit-def: $vgpr39_vgpr40
                                        ; implicit-def: $vgpr41_vgpr42
                                        ; implicit-def: $vgpr45_vgpr46
                                        ; implicit-def: $vgpr49_vgpr50
                                        ; implicit-def: $vgpr53_vgpr54
                                        ; implicit-def: $vgpr57_vgpr58
                                        ; implicit-def: $vgpr61_vgpr62
                                        ; implicit-def: $vgpr67_vgpr68
                                        ; implicit-def: $vgpr65_vgpr66
                                        ; implicit-def: $vgpr63_vgpr64
                                        ; implicit-def: $vgpr59_vgpr60
                                        ; implicit-def: $vgpr55_vgpr56
                                        ; implicit-def: $vgpr51_vgpr52
                                        ; implicit-def: $vgpr47_vgpr48
                                        ; implicit-def: $vgpr43_vgpr44
	s_movk_i32 s7, 0x1000
.LBB738_107:                            ;   in Loop: Header=BB738_104 Depth=2
	s_lshl_b64 s[40:41], s[92:93], 3
	v_mov_b32_e32 v38, s41
	v_add_co_u32_e32 v37, vcc, s40, v169
	s_waitcnt vmcnt(13)
	v_mov_b32_e32 v41, v3
	v_addc_co_u32_e32 v38, vcc, v170, v38, vcc
	v_mov_b32_e32 v42, v4
	v_mov_b32_e32 v39, v41
	v_cmp_gt_u32_e32 vcc, s91, v151
	v_mov_b32_e32 v40, v42
	s_and_saveexec_b64 s[40:41], vcc
	s_cbranch_execz .LBB738_109
; %bb.108:                              ;   in Loop: Header=BB738_104 Depth=2
	global_load_dwordx2 v[39:40], v[37:38], off
.LBB738_109:                            ;   in Loop: Header=BB738_104 Depth=2
	s_or_b64 exec, exec, s[40:41]
	v_cmp_gt_u32_e32 vcc, s91, v154
	s_and_saveexec_b64 s[40:41], vcc
	s_cbranch_execz .LBB738_111
; %bb.110:                              ;   in Loop: Header=BB738_104 Depth=2
	global_load_dwordx2 v[41:42], v[37:38], off offset:512
.LBB738_111:                            ;   in Loop: Header=BB738_104 Depth=2
	s_or_b64 exec, exec, s[40:41]
	s_waitcnt vmcnt(12)
	v_mov_b32_e32 v46, v4
	v_cmp_gt_u32_e32 vcc, s91, v155
	v_mov_b32_e32 v45, v3
	s_and_saveexec_b64 s[40:41], vcc
	s_cbranch_execz .LBB738_113
; %bb.112:                              ;   in Loop: Header=BB738_104 Depth=2
	global_load_dwordx2 v[45:46], v[37:38], off offset:1024
.LBB738_113:                            ;   in Loop: Header=BB738_104 Depth=2
	s_or_b64 exec, exec, s[40:41]
	s_waitcnt vmcnt(11)
	v_mov_b32_e32 v50, v4
	v_cmp_gt_u32_e32 vcc, s91, v156
	v_mov_b32_e32 v49, v3
	;; [unrolled: 10-line block ×7, first 2 shown]
	s_and_saveexec_b64 s[40:41], vcc
	s_cbranch_execz .LBB738_125
; %bb.124:                              ;   in Loop: Header=BB738_104 Depth=2
	s_waitcnt vmcnt(0)
	v_add_co_u32_e32 v43, vcc, 0x1000, v37
	v_addc_co_u32_e32 v44, vcc, 0, v38, vcc
	global_load_dwordx2 v[65:66], v[43:44], off
.LBB738_125:                            ;   in Loop: Header=BB738_104 Depth=2
	s_or_b64 exec, exec, s[40:41]
	s_waitcnt vmcnt(5)
	v_mov_b32_e32 v64, v4
	v_cmp_gt_u32_e32 vcc, s91, v162
	v_mov_b32_e32 v63, v3
	s_and_saveexec_b64 s[40:41], vcc
	s_cbranch_execz .LBB738_127
; %bb.126:                              ;   in Loop: Header=BB738_104 Depth=2
	s_waitcnt vmcnt(0)
	v_add_co_u32_e32 v43, vcc, 0x1000, v37
	v_addc_co_u32_e32 v44, vcc, 0, v38, vcc
	global_load_dwordx2 v[63:64], v[43:44], off offset:512
.LBB738_127:                            ;   in Loop: Header=BB738_104 Depth=2
	s_or_b64 exec, exec, s[40:41]
	s_waitcnt vmcnt(4)
	v_mov_b32_e32 v60, v4
	v_cmp_gt_u32_e32 vcc, s91, v163
	v_mov_b32_e32 v59, v3
	s_and_saveexec_b64 s[40:41], vcc
	s_cbranch_execz .LBB738_129
; %bb.128:                              ;   in Loop: Header=BB738_104 Depth=2
	s_waitcnt vmcnt(0)
	v_add_co_u32_e32 v43, vcc, 0x1000, v37
	v_addc_co_u32_e32 v44, vcc, 0, v38, vcc
	global_load_dwordx2 v[59:60], v[43:44], off offset:1024
.LBB738_129:                            ;   in Loop: Header=BB738_104 Depth=2
	;; [unrolled: 13-line block ×5, first 2 shown]
	s_or_b64 exec, exec, s[40:41]
	s_waitcnt vmcnt(0)
	v_mov_b32_e32 v44, v4
	v_cmp_gt_u32_e32 vcc, s91, v167
	v_mov_b32_e32 v43, v3
	s_and_saveexec_b64 s[40:41], vcc
	s_cbranch_execz .LBB738_137
; %bb.136:                              ;   in Loop: Header=BB738_104 Depth=2
	v_add_co_u32_e32 v37, vcc, 0x1000, v37
	v_addc_co_u32_e32 v38, vcc, 0, v38, vcc
	global_load_dwordx2 v[43:44], v[37:38], off offset:3072
.LBB738_137:                            ;   in Loop: Header=BB738_104 Depth=2
	s_or_b64 exec, exec, s[40:41]
	s_sub_i32 s7, s96, s92
	v_cmp_gt_u32_e64 s[40:41], s91, v168
.LBB738_138:                            ;   in Loop: Header=BB738_104 Depth=2
	v_mov_b32_e32 v37, -1
	v_mov_b32_e32 v38, -1
	v_mov_b32_e32 v174, s91
	s_and_saveexec_b64 s[42:43], s[40:41]
	s_cbranch_execz .LBB738_140
; %bb.139:                              ;   in Loop: Header=BB738_104 Depth=2
	s_lshl_b64 s[40:41], s[92:93], 3
	v_mov_b32_e32 v37, s41
	v_add_co_u32_e32 v38, vcc, s40, v169
	v_addc_co_u32_e32 v69, vcc, v170, v37, vcc
	v_add_co_u32_e32 v37, vcc, 0x1000, v38
	v_addc_co_u32_e32 v38, vcc, 0, v69, vcc
	global_load_dwordx2 v[37:38], v[37:38], off offset:3584
	v_mov_b32_e32 v174, s7
	s_waitcnt vmcnt(0)
	v_xor_b32_e32 v38, 0x7fffffff, v38
	v_not_b32_e32 v37, v37
.LBB738_140:                            ;   in Loop: Header=BB738_104 Depth=2
	s_or_b64 exec, exec, s[42:43]
	s_waitcnt vmcnt(14)
	v_xor_b32_e32 v40, 0x7fffffff, v40
	v_not_b32_e32 v39, v39
	v_lshrrev_b64 v[69:70], s97, v[39:40]
	ds_write2_b32 v90, v3, v3 offset0:132 offset1:133
	ds_write_b32 v90, v3 offset:536
	v_and_b32_e32 v175, s99, v69
	v_and_b32_e32 v69, 1, v175
	v_add_co_u32_e32 v70, vcc, -1, v69
	v_addc_co_u32_e64 v177, s[40:41], 0, -1, vcc
	v_cmp_ne_u32_e32 vcc, 0, v69
	v_xor_b32_e32 v69, vcc_hi, v177
	v_xor_b32_e32 v70, vcc_lo, v70
	v_and_b32_e32 v177, exec_hi, v69
	v_and_b32_e32 v178, exec_lo, v70
	v_lshlrev_b32_e32 v70, 30, v175
	v_mov_b32_e32 v69, v3
	v_cmp_gt_i64_e32 vcc, 0, v[69:70]
	v_not_b32_e32 v69, v70
	v_ashrrev_i32_e32 v69, 31, v69
	v_xor_b32_e32 v70, vcc_hi, v69
	v_xor_b32_e32 v69, vcc_lo, v69
	v_and_b32_e32 v177, v177, v70
	v_and_b32_e32 v178, v178, v69
	v_lshlrev_b32_e32 v70, 29, v175
	v_mov_b32_e32 v69, v3
	v_cmp_gt_i64_e32 vcc, 0, v[69:70]
	v_not_b32_e32 v69, v70
	v_ashrrev_i32_e32 v69, 31, v69
	v_xor_b32_e32 v70, vcc_hi, v69
	v_xor_b32_e32 v69, vcc_lo, v69
	v_and_b32_e32 v177, v177, v70
	v_and_b32_e32 v178, v178, v69
	;; [unrolled: 9-line block ×5, first 2 shown]
	v_lshlrev_b32_e32 v70, 25, v175
	v_mov_b32_e32 v69, v3
	v_cmp_gt_i64_e32 vcc, 0, v[69:70]
	v_not_b32_e32 v69, v70
	v_ashrrev_i32_e32 v69, 31, v69
	v_xor_b32_e32 v70, vcc_hi, v69
	v_xor_b32_e32 v69, vcc_lo, v69
	v_and_b32_e32 v69, v178, v69
	v_mul_u32_u24_e32 v176, 20, v175
	v_and_b32_e32 v70, v177, v70
	v_mbcnt_lo_u32_b32 v175, v69, 0
	v_mbcnt_hi_u32_b32 v175, v70, v175
	v_cmp_ne_u64_e32 vcc, 0, v[69:70]
	v_cmp_eq_u32_e64 s[40:41], 0, v175
	s_and_b64 s[42:43], vcc, s[40:41]
	v_add_u32_e32 v177, v171, v176
	s_waitcnt vmcnt(0) lgkmcnt(0)
	s_barrier
	; wave barrier
	s_and_saveexec_b64 s[40:41], s[42:43]
; %bb.141:                              ;   in Loop: Header=BB738_104 Depth=2
	v_bcnt_u32_b32 v69, v69, 0
	v_bcnt_u32_b32 v69, v70, v69
	ds_write_b32 v177, v69 offset:528
; %bb.142:                              ;   in Loop: Header=BB738_104 Depth=2
	s_or_b64 exec, exec, s[40:41]
	v_xor_b32_e32 v42, 0x7fffffff, v42
	v_not_b32_e32 v41, v41
	v_lshrrev_b64 v[69:70], s97, v[41:42]
	v_and_b32_e32 v178, s99, v69
	v_mad_u32_u24 v69, v178, 20, v171
	; wave barrier
	ds_read_b32 v176, v69 offset:528
	v_and_b32_e32 v69, 1, v178
	v_add_co_u32_e32 v70, vcc, -1, v69
	v_addc_co_u32_e64 v180, s[40:41], 0, -1, vcc
	v_cmp_ne_u32_e32 vcc, 0, v69
	v_xor_b32_e32 v69, vcc_hi, v180
	v_xor_b32_e32 v70, vcc_lo, v70
	v_and_b32_e32 v180, exec_hi, v69
	v_and_b32_e32 v181, exec_lo, v70
	v_lshlrev_b32_e32 v70, 30, v178
	v_mov_b32_e32 v69, v3
	v_cmp_gt_i64_e32 vcc, 0, v[69:70]
	v_not_b32_e32 v69, v70
	v_ashrrev_i32_e32 v69, 31, v69
	v_xor_b32_e32 v70, vcc_hi, v69
	v_xor_b32_e32 v69, vcc_lo, v69
	v_and_b32_e32 v180, v180, v70
	v_and_b32_e32 v181, v181, v69
	v_lshlrev_b32_e32 v70, 29, v178
	v_mov_b32_e32 v69, v3
	v_cmp_gt_i64_e32 vcc, 0, v[69:70]
	v_not_b32_e32 v69, v70
	v_ashrrev_i32_e32 v69, 31, v69
	v_xor_b32_e32 v70, vcc_hi, v69
	v_xor_b32_e32 v69, vcc_lo, v69
	v_and_b32_e32 v180, v180, v70
	v_and_b32_e32 v181, v181, v69
	;; [unrolled: 9-line block ×5, first 2 shown]
	v_lshlrev_b32_e32 v70, 25, v178
	v_mov_b32_e32 v69, v3
	v_cmp_gt_i64_e32 vcc, 0, v[69:70]
	v_not_b32_e32 v69, v70
	v_ashrrev_i32_e32 v69, 31, v69
	v_xor_b32_e32 v70, vcc_hi, v69
	v_xor_b32_e32 v69, vcc_lo, v69
	v_and_b32_e32 v69, v181, v69
	v_mul_u32_u24_e32 v179, 20, v178
	v_and_b32_e32 v70, v180, v70
	v_mbcnt_lo_u32_b32 v178, v69, 0
	v_mbcnt_hi_u32_b32 v178, v70, v178
	v_cmp_ne_u64_e32 vcc, 0, v[69:70]
	v_cmp_eq_u32_e64 s[40:41], 0, v178
	s_and_b64 s[42:43], vcc, s[40:41]
	v_add_u32_e32 v180, v171, v179
	; wave barrier
	s_and_saveexec_b64 s[40:41], s[42:43]
	s_cbranch_execz .LBB738_144
; %bb.143:                              ;   in Loop: Header=BB738_104 Depth=2
	v_bcnt_u32_b32 v69, v69, 0
	v_bcnt_u32_b32 v69, v70, v69
	s_waitcnt lgkmcnt(0)
	v_add_u32_e32 v69, v176, v69
	ds_write_b32 v180, v69 offset:528
.LBB738_144:                            ;   in Loop: Header=BB738_104 Depth=2
	s_or_b64 exec, exec, s[40:41]
	v_xor_b32_e32 v46, 0x7fffffff, v46
	v_not_b32_e32 v45, v45
	v_lshrrev_b64 v[69:70], s97, v[45:46]
	v_and_b32_e32 v181, s99, v69
	v_mad_u32_u24 v69, v181, 20, v171
	; wave barrier
	ds_read_b32 v179, v69 offset:528
	v_and_b32_e32 v69, 1, v181
	v_add_co_u32_e32 v70, vcc, -1, v69
	v_addc_co_u32_e64 v183, s[40:41], 0, -1, vcc
	v_cmp_ne_u32_e32 vcc, 0, v69
	v_xor_b32_e32 v69, vcc_hi, v183
	v_xor_b32_e32 v70, vcc_lo, v70
	v_and_b32_e32 v183, exec_hi, v69
	v_and_b32_e32 v184, exec_lo, v70
	v_lshlrev_b32_e32 v70, 30, v181
	v_mov_b32_e32 v69, v3
	v_cmp_gt_i64_e32 vcc, 0, v[69:70]
	v_not_b32_e32 v69, v70
	v_ashrrev_i32_e32 v69, 31, v69
	v_xor_b32_e32 v70, vcc_hi, v69
	v_xor_b32_e32 v69, vcc_lo, v69
	v_and_b32_e32 v183, v183, v70
	v_and_b32_e32 v184, v184, v69
	v_lshlrev_b32_e32 v70, 29, v181
	v_mov_b32_e32 v69, v3
	v_cmp_gt_i64_e32 vcc, 0, v[69:70]
	v_not_b32_e32 v69, v70
	v_ashrrev_i32_e32 v69, 31, v69
	v_xor_b32_e32 v70, vcc_hi, v69
	v_xor_b32_e32 v69, vcc_lo, v69
	v_and_b32_e32 v183, v183, v70
	v_and_b32_e32 v184, v184, v69
	v_lshlrev_b32_e32 v70, 28, v181
	v_mov_b32_e32 v69, v3
	v_cmp_gt_i64_e32 vcc, 0, v[69:70]
	v_not_b32_e32 v69, v70
	v_ashrrev_i32_e32 v69, 31, v69
	v_xor_b32_e32 v70, vcc_hi, v69
	v_xor_b32_e32 v69, vcc_lo, v69
	v_and_b32_e32 v183, v183, v70
	v_and_b32_e32 v184, v184, v69
	v_lshlrev_b32_e32 v70, 27, v181
	v_mov_b32_e32 v69, v3
	v_cmp_gt_i64_e32 vcc, 0, v[69:70]
	v_not_b32_e32 v69, v70
	v_ashrrev_i32_e32 v69, 31, v69
	v_xor_b32_e32 v70, vcc_hi, v69
	v_xor_b32_e32 v69, vcc_lo, v69
	v_and_b32_e32 v183, v183, v70
	v_and_b32_e32 v184, v184, v69
	v_lshlrev_b32_e32 v70, 26, v181
	v_mov_b32_e32 v69, v3
	v_cmp_gt_i64_e32 vcc, 0, v[69:70]
	v_not_b32_e32 v69, v70
	v_ashrrev_i32_e32 v69, 31, v69
	v_xor_b32_e32 v70, vcc_hi, v69
	v_xor_b32_e32 v69, vcc_lo, v69
	v_and_b32_e32 v183, v183, v70
	v_and_b32_e32 v184, v184, v69
	v_lshlrev_b32_e32 v70, 25, v181
	v_mov_b32_e32 v69, v3
	v_cmp_gt_i64_e32 vcc, 0, v[69:70]
	v_not_b32_e32 v69, v70
	v_ashrrev_i32_e32 v69, 31, v69
	v_xor_b32_e32 v70, vcc_hi, v69
	v_xor_b32_e32 v69, vcc_lo, v69
	v_and_b32_e32 v69, v184, v69
	v_mul_u32_u24_e32 v182, 20, v181
	v_and_b32_e32 v70, v183, v70
	v_mbcnt_lo_u32_b32 v181, v69, 0
	v_mbcnt_hi_u32_b32 v181, v70, v181
	v_cmp_ne_u64_e32 vcc, 0, v[69:70]
	v_cmp_eq_u32_e64 s[40:41], 0, v181
	s_and_b64 s[42:43], vcc, s[40:41]
	v_add_u32_e32 v183, v171, v182
	; wave barrier
	s_and_saveexec_b64 s[40:41], s[42:43]
	s_cbranch_execz .LBB738_146
; %bb.145:                              ;   in Loop: Header=BB738_104 Depth=2
	v_bcnt_u32_b32 v69, v69, 0
	v_bcnt_u32_b32 v69, v70, v69
	s_waitcnt lgkmcnt(0)
	v_add_u32_e32 v69, v179, v69
	ds_write_b32 v183, v69 offset:528
.LBB738_146:                            ;   in Loop: Header=BB738_104 Depth=2
	s_or_b64 exec, exec, s[40:41]
	v_xor_b32_e32 v50, 0x7fffffff, v50
	v_not_b32_e32 v49, v49
	v_lshrrev_b64 v[69:70], s97, v[49:50]
	v_and_b32_e32 v184, s99, v69
	v_mad_u32_u24 v69, v184, 20, v171
	; wave barrier
	ds_read_b32 v182, v69 offset:528
	v_and_b32_e32 v69, 1, v184
	v_add_co_u32_e32 v70, vcc, -1, v69
	v_addc_co_u32_e64 v186, s[40:41], 0, -1, vcc
	v_cmp_ne_u32_e32 vcc, 0, v69
	v_xor_b32_e32 v69, vcc_hi, v186
	v_xor_b32_e32 v70, vcc_lo, v70
	v_and_b32_e32 v186, exec_hi, v69
	v_and_b32_e32 v187, exec_lo, v70
	v_lshlrev_b32_e32 v70, 30, v184
	v_mov_b32_e32 v69, v3
	v_cmp_gt_i64_e32 vcc, 0, v[69:70]
	v_not_b32_e32 v69, v70
	v_ashrrev_i32_e32 v69, 31, v69
	v_xor_b32_e32 v70, vcc_hi, v69
	v_xor_b32_e32 v69, vcc_lo, v69
	v_and_b32_e32 v186, v186, v70
	v_and_b32_e32 v187, v187, v69
	v_lshlrev_b32_e32 v70, 29, v184
	v_mov_b32_e32 v69, v3
	v_cmp_gt_i64_e32 vcc, 0, v[69:70]
	v_not_b32_e32 v69, v70
	v_ashrrev_i32_e32 v69, 31, v69
	v_xor_b32_e32 v70, vcc_hi, v69
	v_xor_b32_e32 v69, vcc_lo, v69
	v_and_b32_e32 v186, v186, v70
	v_and_b32_e32 v187, v187, v69
	;; [unrolled: 9-line block ×5, first 2 shown]
	v_lshlrev_b32_e32 v70, 25, v184
	v_mov_b32_e32 v69, v3
	v_cmp_gt_i64_e32 vcc, 0, v[69:70]
	v_not_b32_e32 v69, v70
	v_ashrrev_i32_e32 v69, 31, v69
	v_xor_b32_e32 v70, vcc_hi, v69
	v_xor_b32_e32 v69, vcc_lo, v69
	v_and_b32_e32 v69, v187, v69
	v_mul_u32_u24_e32 v185, 20, v184
	v_and_b32_e32 v70, v186, v70
	v_mbcnt_lo_u32_b32 v184, v69, 0
	v_mbcnt_hi_u32_b32 v184, v70, v184
	v_cmp_ne_u64_e32 vcc, 0, v[69:70]
	v_cmp_eq_u32_e64 s[40:41], 0, v184
	s_and_b64 s[42:43], vcc, s[40:41]
	v_add_u32_e32 v186, v171, v185
	; wave barrier
	s_and_saveexec_b64 s[40:41], s[42:43]
	s_cbranch_execz .LBB738_148
; %bb.147:                              ;   in Loop: Header=BB738_104 Depth=2
	v_bcnt_u32_b32 v69, v69, 0
	v_bcnt_u32_b32 v69, v70, v69
	s_waitcnt lgkmcnt(0)
	v_add_u32_e32 v69, v182, v69
	ds_write_b32 v186, v69 offset:528
.LBB738_148:                            ;   in Loop: Header=BB738_104 Depth=2
	s_or_b64 exec, exec, s[40:41]
	v_xor_b32_e32 v54, 0x7fffffff, v54
	v_not_b32_e32 v53, v53
	v_lshrrev_b64 v[69:70], s97, v[53:54]
	v_and_b32_e32 v187, s99, v69
	v_mad_u32_u24 v69, v187, 20, v171
	; wave barrier
	ds_read_b32 v185, v69 offset:528
	v_and_b32_e32 v69, 1, v187
	v_add_co_u32_e32 v70, vcc, -1, v69
	v_addc_co_u32_e64 v189, s[40:41], 0, -1, vcc
	v_cmp_ne_u32_e32 vcc, 0, v69
	v_xor_b32_e32 v69, vcc_hi, v189
	v_xor_b32_e32 v70, vcc_lo, v70
	v_and_b32_e32 v189, exec_hi, v69
	v_and_b32_e32 v190, exec_lo, v70
	v_lshlrev_b32_e32 v70, 30, v187
	v_mov_b32_e32 v69, v3
	v_cmp_gt_i64_e32 vcc, 0, v[69:70]
	v_not_b32_e32 v69, v70
	v_ashrrev_i32_e32 v69, 31, v69
	v_xor_b32_e32 v70, vcc_hi, v69
	v_xor_b32_e32 v69, vcc_lo, v69
	v_and_b32_e32 v189, v189, v70
	v_and_b32_e32 v190, v190, v69
	v_lshlrev_b32_e32 v70, 29, v187
	v_mov_b32_e32 v69, v3
	v_cmp_gt_i64_e32 vcc, 0, v[69:70]
	v_not_b32_e32 v69, v70
	v_ashrrev_i32_e32 v69, 31, v69
	v_xor_b32_e32 v70, vcc_hi, v69
	v_xor_b32_e32 v69, vcc_lo, v69
	v_and_b32_e32 v189, v189, v70
	v_and_b32_e32 v190, v190, v69
	;; [unrolled: 9-line block ×5, first 2 shown]
	v_lshlrev_b32_e32 v70, 25, v187
	v_mov_b32_e32 v69, v3
	v_cmp_gt_i64_e32 vcc, 0, v[69:70]
	v_not_b32_e32 v69, v70
	v_ashrrev_i32_e32 v69, 31, v69
	v_xor_b32_e32 v70, vcc_hi, v69
	v_xor_b32_e32 v69, vcc_lo, v69
	v_and_b32_e32 v69, v190, v69
	v_mul_u32_u24_e32 v188, 20, v187
	v_and_b32_e32 v70, v189, v70
	v_mbcnt_lo_u32_b32 v187, v69, 0
	v_mbcnt_hi_u32_b32 v187, v70, v187
	v_cmp_ne_u64_e32 vcc, 0, v[69:70]
	v_cmp_eq_u32_e64 s[40:41], 0, v187
	s_and_b64 s[42:43], vcc, s[40:41]
	v_add_u32_e32 v189, v171, v188
	; wave barrier
	s_and_saveexec_b64 s[40:41], s[42:43]
	s_cbranch_execz .LBB738_150
; %bb.149:                              ;   in Loop: Header=BB738_104 Depth=2
	v_bcnt_u32_b32 v69, v69, 0
	v_bcnt_u32_b32 v69, v70, v69
	s_waitcnt lgkmcnt(0)
	v_add_u32_e32 v69, v185, v69
	ds_write_b32 v189, v69 offset:528
.LBB738_150:                            ;   in Loop: Header=BB738_104 Depth=2
	s_or_b64 exec, exec, s[40:41]
	v_xor_b32_e32 v58, 0x7fffffff, v58
	v_not_b32_e32 v57, v57
	v_lshrrev_b64 v[69:70], s97, v[57:58]
	v_and_b32_e32 v190, s99, v69
	v_mad_u32_u24 v69, v190, 20, v171
	; wave barrier
	ds_read_b32 v188, v69 offset:528
	v_and_b32_e32 v69, 1, v190
	v_add_co_u32_e32 v70, vcc, -1, v69
	v_addc_co_u32_e64 v192, s[40:41], 0, -1, vcc
	v_cmp_ne_u32_e32 vcc, 0, v69
	v_xor_b32_e32 v69, vcc_hi, v192
	v_xor_b32_e32 v70, vcc_lo, v70
	v_and_b32_e32 v192, exec_hi, v69
	v_and_b32_e32 v193, exec_lo, v70
	v_lshlrev_b32_e32 v70, 30, v190
	v_mov_b32_e32 v69, v3
	v_cmp_gt_i64_e32 vcc, 0, v[69:70]
	v_not_b32_e32 v69, v70
	v_ashrrev_i32_e32 v69, 31, v69
	v_xor_b32_e32 v70, vcc_hi, v69
	v_xor_b32_e32 v69, vcc_lo, v69
	v_and_b32_e32 v192, v192, v70
	v_and_b32_e32 v193, v193, v69
	v_lshlrev_b32_e32 v70, 29, v190
	v_mov_b32_e32 v69, v3
	v_cmp_gt_i64_e32 vcc, 0, v[69:70]
	v_not_b32_e32 v69, v70
	v_ashrrev_i32_e32 v69, 31, v69
	v_xor_b32_e32 v70, vcc_hi, v69
	v_xor_b32_e32 v69, vcc_lo, v69
	v_and_b32_e32 v192, v192, v70
	v_and_b32_e32 v193, v193, v69
	;; [unrolled: 9-line block ×5, first 2 shown]
	v_lshlrev_b32_e32 v70, 25, v190
	v_mov_b32_e32 v69, v3
	v_cmp_gt_i64_e32 vcc, 0, v[69:70]
	v_not_b32_e32 v69, v70
	v_ashrrev_i32_e32 v69, 31, v69
	v_xor_b32_e32 v70, vcc_hi, v69
	v_xor_b32_e32 v69, vcc_lo, v69
	v_and_b32_e32 v69, v193, v69
	v_mul_u32_u24_e32 v191, 20, v190
	v_and_b32_e32 v70, v192, v70
	v_mbcnt_lo_u32_b32 v190, v69, 0
	v_mbcnt_hi_u32_b32 v190, v70, v190
	v_cmp_ne_u64_e32 vcc, 0, v[69:70]
	v_cmp_eq_u32_e64 s[40:41], 0, v190
	s_and_b64 s[42:43], vcc, s[40:41]
	v_add_u32_e32 v192, v171, v191
	; wave barrier
	s_and_saveexec_b64 s[40:41], s[42:43]
	s_cbranch_execz .LBB738_152
; %bb.151:                              ;   in Loop: Header=BB738_104 Depth=2
	v_bcnt_u32_b32 v69, v69, 0
	v_bcnt_u32_b32 v69, v70, v69
	s_waitcnt lgkmcnt(0)
	v_add_u32_e32 v69, v188, v69
	ds_write_b32 v192, v69 offset:528
.LBB738_152:                            ;   in Loop: Header=BB738_104 Depth=2
	s_or_b64 exec, exec, s[40:41]
	v_xor_b32_e32 v62, 0x7fffffff, v62
	v_not_b32_e32 v61, v61
	v_lshrrev_b64 v[69:70], s97, v[61:62]
	v_and_b32_e32 v193, s99, v69
	v_mad_u32_u24 v69, v193, 20, v171
	; wave barrier
	ds_read_b32 v191, v69 offset:528
	v_and_b32_e32 v69, 1, v193
	v_add_co_u32_e32 v70, vcc, -1, v69
	v_addc_co_u32_e64 v195, s[40:41], 0, -1, vcc
	v_cmp_ne_u32_e32 vcc, 0, v69
	v_xor_b32_e32 v69, vcc_hi, v195
	v_xor_b32_e32 v70, vcc_lo, v70
	v_and_b32_e32 v195, exec_hi, v69
	v_and_b32_e32 v196, exec_lo, v70
	v_lshlrev_b32_e32 v70, 30, v193
	v_mov_b32_e32 v69, v3
	v_cmp_gt_i64_e32 vcc, 0, v[69:70]
	v_not_b32_e32 v69, v70
	v_ashrrev_i32_e32 v69, 31, v69
	v_xor_b32_e32 v70, vcc_hi, v69
	v_xor_b32_e32 v69, vcc_lo, v69
	v_and_b32_e32 v195, v195, v70
	v_and_b32_e32 v196, v196, v69
	v_lshlrev_b32_e32 v70, 29, v193
	v_mov_b32_e32 v69, v3
	v_cmp_gt_i64_e32 vcc, 0, v[69:70]
	v_not_b32_e32 v69, v70
	v_ashrrev_i32_e32 v69, 31, v69
	v_xor_b32_e32 v70, vcc_hi, v69
	v_xor_b32_e32 v69, vcc_lo, v69
	v_and_b32_e32 v195, v195, v70
	v_and_b32_e32 v196, v196, v69
	v_lshlrev_b32_e32 v70, 28, v193
	v_mov_b32_e32 v69, v3
	v_cmp_gt_i64_e32 vcc, 0, v[69:70]
	v_not_b32_e32 v69, v70
	v_ashrrev_i32_e32 v69, 31, v69
	v_xor_b32_e32 v70, vcc_hi, v69
	v_xor_b32_e32 v69, vcc_lo, v69
	v_and_b32_e32 v195, v195, v70
	v_and_b32_e32 v196, v196, v69
	v_lshlrev_b32_e32 v70, 27, v193
	v_mov_b32_e32 v69, v3
	v_cmp_gt_i64_e32 vcc, 0, v[69:70]
	v_not_b32_e32 v69, v70
	v_ashrrev_i32_e32 v69, 31, v69
	v_xor_b32_e32 v70, vcc_hi, v69
	v_xor_b32_e32 v69, vcc_lo, v69
	v_and_b32_e32 v195, v195, v70
	v_and_b32_e32 v196, v196, v69
	v_lshlrev_b32_e32 v70, 26, v193
	v_mov_b32_e32 v69, v3
	v_cmp_gt_i64_e32 vcc, 0, v[69:70]
	v_not_b32_e32 v69, v70
	v_ashrrev_i32_e32 v69, 31, v69
	v_xor_b32_e32 v70, vcc_hi, v69
	v_xor_b32_e32 v69, vcc_lo, v69
	v_and_b32_e32 v195, v195, v70
	v_and_b32_e32 v196, v196, v69
	v_lshlrev_b32_e32 v70, 25, v193
	v_mov_b32_e32 v69, v3
	v_cmp_gt_i64_e32 vcc, 0, v[69:70]
	v_not_b32_e32 v69, v70
	v_ashrrev_i32_e32 v69, 31, v69
	v_xor_b32_e32 v70, vcc_hi, v69
	v_xor_b32_e32 v69, vcc_lo, v69
	v_and_b32_e32 v69, v196, v69
	v_mul_u32_u24_e32 v194, 20, v193
	v_and_b32_e32 v70, v195, v70
	v_mbcnt_lo_u32_b32 v193, v69, 0
	v_mbcnt_hi_u32_b32 v193, v70, v193
	v_cmp_ne_u64_e32 vcc, 0, v[69:70]
	v_cmp_eq_u32_e64 s[40:41], 0, v193
	s_and_b64 s[42:43], vcc, s[40:41]
	v_add_u32_e32 v195, v171, v194
	; wave barrier
	s_and_saveexec_b64 s[40:41], s[42:43]
	s_cbranch_execz .LBB738_154
; %bb.153:                              ;   in Loop: Header=BB738_104 Depth=2
	v_bcnt_u32_b32 v69, v69, 0
	v_bcnt_u32_b32 v69, v70, v69
	s_waitcnt lgkmcnt(0)
	v_add_u32_e32 v69, v191, v69
	ds_write_b32 v195, v69 offset:528
.LBB738_154:                            ;   in Loop: Header=BB738_104 Depth=2
	s_or_b64 exec, exec, s[40:41]
	v_xor_b32_e32 v68, 0x7fffffff, v68
	v_not_b32_e32 v67, v67
	v_lshrrev_b64 v[69:70], s97, v[67:68]
	v_and_b32_e32 v196, s99, v69
	v_mad_u32_u24 v69, v196, 20, v171
	; wave barrier
	ds_read_b32 v194, v69 offset:528
	v_and_b32_e32 v69, 1, v196
	v_add_co_u32_e32 v70, vcc, -1, v69
	v_addc_co_u32_e64 v198, s[40:41], 0, -1, vcc
	v_cmp_ne_u32_e32 vcc, 0, v69
	v_xor_b32_e32 v69, vcc_hi, v198
	v_xor_b32_e32 v70, vcc_lo, v70
	v_and_b32_e32 v198, exec_hi, v69
	v_and_b32_e32 v199, exec_lo, v70
	v_lshlrev_b32_e32 v70, 30, v196
	v_mov_b32_e32 v69, v3
	v_cmp_gt_i64_e32 vcc, 0, v[69:70]
	v_not_b32_e32 v69, v70
	v_ashrrev_i32_e32 v69, 31, v69
	v_xor_b32_e32 v70, vcc_hi, v69
	v_xor_b32_e32 v69, vcc_lo, v69
	v_and_b32_e32 v198, v198, v70
	v_and_b32_e32 v199, v199, v69
	v_lshlrev_b32_e32 v70, 29, v196
	v_mov_b32_e32 v69, v3
	v_cmp_gt_i64_e32 vcc, 0, v[69:70]
	v_not_b32_e32 v69, v70
	v_ashrrev_i32_e32 v69, 31, v69
	v_xor_b32_e32 v70, vcc_hi, v69
	v_xor_b32_e32 v69, vcc_lo, v69
	v_and_b32_e32 v198, v198, v70
	v_and_b32_e32 v199, v199, v69
	;; [unrolled: 9-line block ×5, first 2 shown]
	v_lshlrev_b32_e32 v70, 25, v196
	v_mov_b32_e32 v69, v3
	v_cmp_gt_i64_e32 vcc, 0, v[69:70]
	v_not_b32_e32 v69, v70
	v_ashrrev_i32_e32 v69, 31, v69
	v_xor_b32_e32 v70, vcc_hi, v69
	v_xor_b32_e32 v69, vcc_lo, v69
	v_and_b32_e32 v69, v199, v69
	v_mul_u32_u24_e32 v197, 20, v196
	v_and_b32_e32 v70, v198, v70
	v_mbcnt_lo_u32_b32 v196, v69, 0
	v_mbcnt_hi_u32_b32 v196, v70, v196
	v_cmp_ne_u64_e32 vcc, 0, v[69:70]
	v_cmp_eq_u32_e64 s[40:41], 0, v196
	s_and_b64 s[42:43], vcc, s[40:41]
	v_add_u32_e32 v198, v171, v197
	; wave barrier
	s_and_saveexec_b64 s[40:41], s[42:43]
	s_cbranch_execz .LBB738_156
; %bb.155:                              ;   in Loop: Header=BB738_104 Depth=2
	v_bcnt_u32_b32 v69, v69, 0
	v_bcnt_u32_b32 v69, v70, v69
	s_waitcnt lgkmcnt(0)
	v_add_u32_e32 v69, v194, v69
	ds_write_b32 v198, v69 offset:528
.LBB738_156:                            ;   in Loop: Header=BB738_104 Depth=2
	s_or_b64 exec, exec, s[40:41]
	v_xor_b32_e32 v66, 0x7fffffff, v66
	v_not_b32_e32 v65, v65
	v_lshrrev_b64 v[69:70], s97, v[65:66]
	v_and_b32_e32 v199, s99, v69
	v_mad_u32_u24 v69, v199, 20, v171
	; wave barrier
	ds_read_b32 v197, v69 offset:528
	v_and_b32_e32 v69, 1, v199
	v_add_co_u32_e32 v70, vcc, -1, v69
	v_addc_co_u32_e64 v201, s[40:41], 0, -1, vcc
	v_cmp_ne_u32_e32 vcc, 0, v69
	v_xor_b32_e32 v69, vcc_hi, v201
	v_xor_b32_e32 v70, vcc_lo, v70
	v_and_b32_e32 v201, exec_hi, v69
	v_and_b32_e32 v202, exec_lo, v70
	v_lshlrev_b32_e32 v70, 30, v199
	v_mov_b32_e32 v69, v3
	v_cmp_gt_i64_e32 vcc, 0, v[69:70]
	v_not_b32_e32 v69, v70
	v_ashrrev_i32_e32 v69, 31, v69
	v_xor_b32_e32 v70, vcc_hi, v69
	v_xor_b32_e32 v69, vcc_lo, v69
	v_and_b32_e32 v201, v201, v70
	v_and_b32_e32 v202, v202, v69
	v_lshlrev_b32_e32 v70, 29, v199
	v_mov_b32_e32 v69, v3
	v_cmp_gt_i64_e32 vcc, 0, v[69:70]
	v_not_b32_e32 v69, v70
	v_ashrrev_i32_e32 v69, 31, v69
	v_xor_b32_e32 v70, vcc_hi, v69
	v_xor_b32_e32 v69, vcc_lo, v69
	v_and_b32_e32 v201, v201, v70
	v_and_b32_e32 v202, v202, v69
	;; [unrolled: 9-line block ×5, first 2 shown]
	v_lshlrev_b32_e32 v70, 25, v199
	v_mov_b32_e32 v69, v3
	v_cmp_gt_i64_e32 vcc, 0, v[69:70]
	v_not_b32_e32 v69, v70
	v_ashrrev_i32_e32 v69, 31, v69
	v_xor_b32_e32 v70, vcc_hi, v69
	v_xor_b32_e32 v69, vcc_lo, v69
	v_and_b32_e32 v69, v202, v69
	v_mul_u32_u24_e32 v200, 20, v199
	v_and_b32_e32 v70, v201, v70
	v_mbcnt_lo_u32_b32 v199, v69, 0
	v_mbcnt_hi_u32_b32 v199, v70, v199
	v_cmp_ne_u64_e32 vcc, 0, v[69:70]
	v_cmp_eq_u32_e64 s[40:41], 0, v199
	s_and_b64 s[42:43], vcc, s[40:41]
	v_add_u32_e32 v201, v171, v200
	; wave barrier
	s_and_saveexec_b64 s[40:41], s[42:43]
	s_cbranch_execz .LBB738_158
; %bb.157:                              ;   in Loop: Header=BB738_104 Depth=2
	v_bcnt_u32_b32 v69, v69, 0
	v_bcnt_u32_b32 v69, v70, v69
	s_waitcnt lgkmcnt(0)
	v_add_u32_e32 v69, v197, v69
	ds_write_b32 v201, v69 offset:528
.LBB738_158:                            ;   in Loop: Header=BB738_104 Depth=2
	s_or_b64 exec, exec, s[40:41]
	v_xor_b32_e32 v64, 0x7fffffff, v64
	v_not_b32_e32 v63, v63
	v_lshrrev_b64 v[69:70], s97, v[63:64]
	v_and_b32_e32 v202, s99, v69
	v_mad_u32_u24 v69, v202, 20, v171
	; wave barrier
	ds_read_b32 v200, v69 offset:528
	v_and_b32_e32 v69, 1, v202
	v_add_co_u32_e32 v70, vcc, -1, v69
	v_addc_co_u32_e64 v204, s[40:41], 0, -1, vcc
	v_cmp_ne_u32_e32 vcc, 0, v69
	v_xor_b32_e32 v69, vcc_hi, v204
	v_xor_b32_e32 v70, vcc_lo, v70
	v_and_b32_e32 v204, exec_hi, v69
	v_and_b32_e32 v205, exec_lo, v70
	v_lshlrev_b32_e32 v70, 30, v202
	v_mov_b32_e32 v69, v3
	v_cmp_gt_i64_e32 vcc, 0, v[69:70]
	v_not_b32_e32 v69, v70
	v_ashrrev_i32_e32 v69, 31, v69
	v_xor_b32_e32 v70, vcc_hi, v69
	v_xor_b32_e32 v69, vcc_lo, v69
	v_and_b32_e32 v204, v204, v70
	v_and_b32_e32 v205, v205, v69
	v_lshlrev_b32_e32 v70, 29, v202
	v_mov_b32_e32 v69, v3
	v_cmp_gt_i64_e32 vcc, 0, v[69:70]
	v_not_b32_e32 v69, v70
	v_ashrrev_i32_e32 v69, 31, v69
	v_xor_b32_e32 v70, vcc_hi, v69
	v_xor_b32_e32 v69, vcc_lo, v69
	v_and_b32_e32 v204, v204, v70
	v_and_b32_e32 v205, v205, v69
	;; [unrolled: 9-line block ×5, first 2 shown]
	v_lshlrev_b32_e32 v70, 25, v202
	v_mov_b32_e32 v69, v3
	v_cmp_gt_i64_e32 vcc, 0, v[69:70]
	v_not_b32_e32 v69, v70
	v_ashrrev_i32_e32 v69, 31, v69
	v_xor_b32_e32 v70, vcc_hi, v69
	v_xor_b32_e32 v69, vcc_lo, v69
	v_and_b32_e32 v69, v205, v69
	v_mul_u32_u24_e32 v203, 20, v202
	v_and_b32_e32 v70, v204, v70
	v_mbcnt_lo_u32_b32 v202, v69, 0
	v_mbcnt_hi_u32_b32 v202, v70, v202
	v_cmp_ne_u64_e32 vcc, 0, v[69:70]
	v_cmp_eq_u32_e64 s[40:41], 0, v202
	s_and_b64 s[42:43], vcc, s[40:41]
	v_add_u32_e32 v205, v171, v203
	; wave barrier
	s_and_saveexec_b64 s[40:41], s[42:43]
	s_cbranch_execz .LBB738_160
; %bb.159:                              ;   in Loop: Header=BB738_104 Depth=2
	v_bcnt_u32_b32 v69, v69, 0
	v_bcnt_u32_b32 v69, v70, v69
	s_waitcnt lgkmcnt(0)
	v_add_u32_e32 v69, v200, v69
	ds_write_b32 v205, v69 offset:528
.LBB738_160:                            ;   in Loop: Header=BB738_104 Depth=2
	s_or_b64 exec, exec, s[40:41]
	v_xor_b32_e32 v60, 0x7fffffff, v60
	v_not_b32_e32 v59, v59
	v_lshrrev_b64 v[69:70], s97, v[59:60]
	v_and_b32_e32 v204, s99, v69
	v_mad_u32_u24 v69, v204, 20, v171
	; wave barrier
	ds_read_b32 v203, v69 offset:528
	v_and_b32_e32 v69, 1, v204
	v_add_co_u32_e32 v70, vcc, -1, v69
	v_addc_co_u32_e64 v207, s[40:41], 0, -1, vcc
	v_cmp_ne_u32_e32 vcc, 0, v69
	v_xor_b32_e32 v69, vcc_hi, v207
	v_xor_b32_e32 v70, vcc_lo, v70
	v_and_b32_e32 v207, exec_hi, v69
	v_and_b32_e32 v208, exec_lo, v70
	v_lshlrev_b32_e32 v70, 30, v204
	v_mov_b32_e32 v69, v3
	v_cmp_gt_i64_e32 vcc, 0, v[69:70]
	v_not_b32_e32 v69, v70
	v_ashrrev_i32_e32 v69, 31, v69
	v_xor_b32_e32 v70, vcc_hi, v69
	v_xor_b32_e32 v69, vcc_lo, v69
	v_and_b32_e32 v207, v207, v70
	v_and_b32_e32 v208, v208, v69
	v_lshlrev_b32_e32 v70, 29, v204
	v_mov_b32_e32 v69, v3
	v_cmp_gt_i64_e32 vcc, 0, v[69:70]
	v_not_b32_e32 v69, v70
	v_ashrrev_i32_e32 v69, 31, v69
	v_xor_b32_e32 v70, vcc_hi, v69
	v_xor_b32_e32 v69, vcc_lo, v69
	v_and_b32_e32 v207, v207, v70
	v_and_b32_e32 v208, v208, v69
	;; [unrolled: 9-line block ×5, first 2 shown]
	v_lshlrev_b32_e32 v70, 25, v204
	v_mov_b32_e32 v69, v3
	v_cmp_gt_i64_e32 vcc, 0, v[69:70]
	v_not_b32_e32 v69, v70
	v_ashrrev_i32_e32 v69, 31, v69
	v_xor_b32_e32 v70, vcc_hi, v69
	v_xor_b32_e32 v69, vcc_lo, v69
	v_and_b32_e32 v69, v208, v69
	v_mul_u32_u24_e32 v206, 20, v204
	v_and_b32_e32 v70, v207, v70
	v_mbcnt_lo_u32_b32 v204, v69, 0
	v_mbcnt_hi_u32_b32 v204, v70, v204
	v_cmp_ne_u64_e32 vcc, 0, v[69:70]
	v_cmp_eq_u32_e64 s[40:41], 0, v204
	s_and_b64 s[42:43], vcc, s[40:41]
	v_add_u32_e32 v208, v171, v206
	; wave barrier
	s_and_saveexec_b64 s[40:41], s[42:43]
	s_cbranch_execz .LBB738_162
; %bb.161:                              ;   in Loop: Header=BB738_104 Depth=2
	v_bcnt_u32_b32 v69, v69, 0
	v_bcnt_u32_b32 v69, v70, v69
	s_waitcnt lgkmcnt(0)
	v_add_u32_e32 v69, v203, v69
	ds_write_b32 v208, v69 offset:528
.LBB738_162:                            ;   in Loop: Header=BB738_104 Depth=2
	s_or_b64 exec, exec, s[40:41]
	v_xor_b32_e32 v56, 0x7fffffff, v56
	v_not_b32_e32 v55, v55
	v_lshrrev_b64 v[69:70], s97, v[55:56]
	v_and_b32_e32 v207, s99, v69
	v_mad_u32_u24 v69, v207, 20, v171
	; wave barrier
	ds_read_b32 v206, v69 offset:528
	v_and_b32_e32 v69, 1, v207
	v_add_co_u32_e32 v70, vcc, -1, v69
	v_addc_co_u32_e64 v210, s[40:41], 0, -1, vcc
	v_cmp_ne_u32_e32 vcc, 0, v69
	v_xor_b32_e32 v69, vcc_hi, v210
	v_xor_b32_e32 v70, vcc_lo, v70
	v_and_b32_e32 v210, exec_hi, v69
	v_and_b32_e32 v211, exec_lo, v70
	v_lshlrev_b32_e32 v70, 30, v207
	v_mov_b32_e32 v69, v3
	v_cmp_gt_i64_e32 vcc, 0, v[69:70]
	v_not_b32_e32 v69, v70
	v_ashrrev_i32_e32 v69, 31, v69
	v_xor_b32_e32 v70, vcc_hi, v69
	v_xor_b32_e32 v69, vcc_lo, v69
	v_and_b32_e32 v210, v210, v70
	v_and_b32_e32 v211, v211, v69
	v_lshlrev_b32_e32 v70, 29, v207
	v_mov_b32_e32 v69, v3
	v_cmp_gt_i64_e32 vcc, 0, v[69:70]
	v_not_b32_e32 v69, v70
	v_ashrrev_i32_e32 v69, 31, v69
	v_xor_b32_e32 v70, vcc_hi, v69
	v_xor_b32_e32 v69, vcc_lo, v69
	v_and_b32_e32 v210, v210, v70
	v_and_b32_e32 v211, v211, v69
	;; [unrolled: 9-line block ×5, first 2 shown]
	v_lshlrev_b32_e32 v70, 25, v207
	v_mov_b32_e32 v69, v3
	v_cmp_gt_i64_e32 vcc, 0, v[69:70]
	v_not_b32_e32 v69, v70
	v_ashrrev_i32_e32 v69, 31, v69
	v_xor_b32_e32 v70, vcc_hi, v69
	v_xor_b32_e32 v69, vcc_lo, v69
	v_and_b32_e32 v69, v211, v69
	v_mul_u32_u24_e32 v209, 20, v207
	v_and_b32_e32 v70, v210, v70
	v_mbcnt_lo_u32_b32 v207, v69, 0
	v_mbcnt_hi_u32_b32 v207, v70, v207
	v_cmp_ne_u64_e32 vcc, 0, v[69:70]
	v_cmp_eq_u32_e64 s[40:41], 0, v207
	s_and_b64 s[42:43], vcc, s[40:41]
	v_add_u32_e32 v211, v171, v209
	; wave barrier
	s_and_saveexec_b64 s[40:41], s[42:43]
	s_cbranch_execz .LBB738_164
; %bb.163:                              ;   in Loop: Header=BB738_104 Depth=2
	v_bcnt_u32_b32 v69, v69, 0
	v_bcnt_u32_b32 v69, v70, v69
	s_waitcnt lgkmcnt(0)
	v_add_u32_e32 v69, v206, v69
	ds_write_b32 v211, v69 offset:528
.LBB738_164:                            ;   in Loop: Header=BB738_104 Depth=2
	s_or_b64 exec, exec, s[40:41]
	v_xor_b32_e32 v52, 0x7fffffff, v52
	v_not_b32_e32 v51, v51
	v_lshrrev_b64 v[69:70], s97, v[51:52]
	v_and_b32_e32 v210, s99, v69
	v_mad_u32_u24 v69, v210, 20, v171
	; wave barrier
	ds_read_b32 v209, v69 offset:528
	v_and_b32_e32 v69, 1, v210
	v_add_co_u32_e32 v70, vcc, -1, v69
	v_addc_co_u32_e64 v213, s[40:41], 0, -1, vcc
	v_cmp_ne_u32_e32 vcc, 0, v69
	v_xor_b32_e32 v69, vcc_hi, v213
	v_xor_b32_e32 v70, vcc_lo, v70
	v_and_b32_e32 v213, exec_hi, v69
	v_and_b32_e32 v214, exec_lo, v70
	v_lshlrev_b32_e32 v70, 30, v210
	v_mov_b32_e32 v69, v3
	v_cmp_gt_i64_e32 vcc, 0, v[69:70]
	v_not_b32_e32 v69, v70
	v_ashrrev_i32_e32 v69, 31, v69
	v_xor_b32_e32 v70, vcc_hi, v69
	v_xor_b32_e32 v69, vcc_lo, v69
	v_and_b32_e32 v213, v213, v70
	v_and_b32_e32 v214, v214, v69
	v_lshlrev_b32_e32 v70, 29, v210
	v_mov_b32_e32 v69, v3
	v_cmp_gt_i64_e32 vcc, 0, v[69:70]
	v_not_b32_e32 v69, v70
	v_ashrrev_i32_e32 v69, 31, v69
	v_xor_b32_e32 v70, vcc_hi, v69
	v_xor_b32_e32 v69, vcc_lo, v69
	v_and_b32_e32 v213, v213, v70
	v_and_b32_e32 v214, v214, v69
	;; [unrolled: 9-line block ×5, first 2 shown]
	v_lshlrev_b32_e32 v70, 25, v210
	v_mov_b32_e32 v69, v3
	v_cmp_gt_i64_e32 vcc, 0, v[69:70]
	v_not_b32_e32 v69, v70
	v_ashrrev_i32_e32 v69, 31, v69
	v_xor_b32_e32 v70, vcc_hi, v69
	v_xor_b32_e32 v69, vcc_lo, v69
	v_and_b32_e32 v69, v214, v69
	v_mul_u32_u24_e32 v212, 20, v210
	v_and_b32_e32 v70, v213, v70
	v_mbcnt_lo_u32_b32 v210, v69, 0
	v_mbcnt_hi_u32_b32 v210, v70, v210
	v_cmp_ne_u64_e32 vcc, 0, v[69:70]
	v_cmp_eq_u32_e64 s[40:41], 0, v210
	s_and_b64 s[42:43], vcc, s[40:41]
	v_add_u32_e32 v214, v171, v212
	; wave barrier
	s_and_saveexec_b64 s[40:41], s[42:43]
	s_cbranch_execz .LBB738_166
; %bb.165:                              ;   in Loop: Header=BB738_104 Depth=2
	v_bcnt_u32_b32 v69, v69, 0
	v_bcnt_u32_b32 v69, v70, v69
	s_waitcnt lgkmcnt(0)
	v_add_u32_e32 v69, v209, v69
	ds_write_b32 v214, v69 offset:528
.LBB738_166:                            ;   in Loop: Header=BB738_104 Depth=2
	s_or_b64 exec, exec, s[40:41]
	v_xor_b32_e32 v48, 0x7fffffff, v48
	v_not_b32_e32 v47, v47
	v_lshrrev_b64 v[69:70], s97, v[47:48]
	v_and_b32_e32 v213, s99, v69
	v_mad_u32_u24 v69, v213, 20, v171
	; wave barrier
	ds_read_b32 v212, v69 offset:528
	v_and_b32_e32 v69, 1, v213
	v_add_co_u32_e32 v70, vcc, -1, v69
	v_addc_co_u32_e64 v216, s[40:41], 0, -1, vcc
	v_cmp_ne_u32_e32 vcc, 0, v69
	v_xor_b32_e32 v69, vcc_hi, v216
	v_xor_b32_e32 v70, vcc_lo, v70
	v_and_b32_e32 v216, exec_hi, v69
	v_and_b32_e32 v217, exec_lo, v70
	v_lshlrev_b32_e32 v70, 30, v213
	v_mov_b32_e32 v69, v3
	v_cmp_gt_i64_e32 vcc, 0, v[69:70]
	v_not_b32_e32 v69, v70
	v_ashrrev_i32_e32 v69, 31, v69
	v_xor_b32_e32 v70, vcc_hi, v69
	v_xor_b32_e32 v69, vcc_lo, v69
	v_and_b32_e32 v216, v216, v70
	v_and_b32_e32 v217, v217, v69
	v_lshlrev_b32_e32 v70, 29, v213
	v_mov_b32_e32 v69, v3
	v_cmp_gt_i64_e32 vcc, 0, v[69:70]
	v_not_b32_e32 v69, v70
	v_ashrrev_i32_e32 v69, 31, v69
	v_xor_b32_e32 v70, vcc_hi, v69
	v_xor_b32_e32 v69, vcc_lo, v69
	v_and_b32_e32 v216, v216, v70
	v_and_b32_e32 v217, v217, v69
	;; [unrolled: 9-line block ×5, first 2 shown]
	v_lshlrev_b32_e32 v70, 25, v213
	v_mov_b32_e32 v69, v3
	v_cmp_gt_i64_e32 vcc, 0, v[69:70]
	v_not_b32_e32 v69, v70
	v_ashrrev_i32_e32 v69, 31, v69
	v_xor_b32_e32 v70, vcc_hi, v69
	v_xor_b32_e32 v69, vcc_lo, v69
	v_and_b32_e32 v69, v217, v69
	v_mul_u32_u24_e32 v215, 20, v213
	v_and_b32_e32 v70, v216, v70
	v_mbcnt_lo_u32_b32 v213, v69, 0
	v_mbcnt_hi_u32_b32 v213, v70, v213
	v_cmp_ne_u64_e32 vcc, 0, v[69:70]
	v_cmp_eq_u32_e64 s[40:41], 0, v213
	s_and_b64 s[42:43], vcc, s[40:41]
	v_add_u32_e32 v217, v171, v215
	; wave barrier
	s_and_saveexec_b64 s[40:41], s[42:43]
	s_cbranch_execz .LBB738_168
; %bb.167:                              ;   in Loop: Header=BB738_104 Depth=2
	v_bcnt_u32_b32 v69, v69, 0
	v_bcnt_u32_b32 v69, v70, v69
	s_waitcnt lgkmcnt(0)
	v_add_u32_e32 v69, v212, v69
	ds_write_b32 v217, v69 offset:528
.LBB738_168:                            ;   in Loop: Header=BB738_104 Depth=2
	s_or_b64 exec, exec, s[40:41]
	v_xor_b32_e32 v44, 0x7fffffff, v44
	v_not_b32_e32 v43, v43
	v_lshrrev_b64 v[69:70], s97, v[43:44]
	v_and_b32_e32 v216, s99, v69
	v_mad_u32_u24 v69, v216, 20, v171
	; wave barrier
	ds_read_b32 v215, v69 offset:528
	v_and_b32_e32 v69, 1, v216
	v_add_co_u32_e32 v70, vcc, -1, v69
	v_addc_co_u32_e64 v219, s[40:41], 0, -1, vcc
	v_cmp_ne_u32_e32 vcc, 0, v69
	v_xor_b32_e32 v69, vcc_hi, v219
	v_xor_b32_e32 v70, vcc_lo, v70
	v_and_b32_e32 v219, exec_hi, v69
	v_and_b32_e32 v220, exec_lo, v70
	v_lshlrev_b32_e32 v70, 30, v216
	v_mov_b32_e32 v69, v3
	v_cmp_gt_i64_e32 vcc, 0, v[69:70]
	v_not_b32_e32 v69, v70
	v_ashrrev_i32_e32 v69, 31, v69
	v_xor_b32_e32 v70, vcc_hi, v69
	v_xor_b32_e32 v69, vcc_lo, v69
	v_and_b32_e32 v219, v219, v70
	v_and_b32_e32 v220, v220, v69
	v_lshlrev_b32_e32 v70, 29, v216
	v_mov_b32_e32 v69, v3
	v_cmp_gt_i64_e32 vcc, 0, v[69:70]
	v_not_b32_e32 v69, v70
	v_ashrrev_i32_e32 v69, 31, v69
	v_xor_b32_e32 v70, vcc_hi, v69
	v_xor_b32_e32 v69, vcc_lo, v69
	v_and_b32_e32 v219, v219, v70
	v_and_b32_e32 v220, v220, v69
	;; [unrolled: 9-line block ×5, first 2 shown]
	v_lshlrev_b32_e32 v70, 25, v216
	v_mov_b32_e32 v69, v3
	v_cmp_gt_i64_e32 vcc, 0, v[69:70]
	v_not_b32_e32 v69, v70
	v_ashrrev_i32_e32 v69, 31, v69
	v_xor_b32_e32 v70, vcc_hi, v69
	v_xor_b32_e32 v69, vcc_lo, v69
	v_and_b32_e32 v69, v220, v69
	v_mul_u32_u24_e32 v218, 20, v216
	v_and_b32_e32 v70, v219, v70
	v_mbcnt_lo_u32_b32 v216, v69, 0
	v_mbcnt_hi_u32_b32 v216, v70, v216
	v_cmp_ne_u64_e32 vcc, 0, v[69:70]
	v_cmp_eq_u32_e64 s[40:41], 0, v216
	s_and_b64 s[42:43], vcc, s[40:41]
	v_add_u32_e32 v220, v171, v218
	; wave barrier
	s_and_saveexec_b64 s[40:41], s[42:43]
	s_cbranch_execz .LBB738_170
; %bb.169:                              ;   in Loop: Header=BB738_104 Depth=2
	v_bcnt_u32_b32 v69, v69, 0
	v_bcnt_u32_b32 v69, v70, v69
	s_waitcnt lgkmcnt(0)
	v_add_u32_e32 v69, v215, v69
	ds_write_b32 v220, v69 offset:528
.LBB738_170:                            ;   in Loop: Header=BB738_104 Depth=2
	s_or_b64 exec, exec, s[40:41]
	v_lshrrev_b64 v[69:70], s97, v[37:38]
	v_and_b32_e32 v219, s99, v69
	v_mad_u32_u24 v69, v219, 20, v171
	; wave barrier
	ds_read_b32 v218, v69 offset:528
	v_and_b32_e32 v69, 1, v219
	v_add_co_u32_e32 v70, vcc, -1, v69
	v_addc_co_u32_e64 v222, s[40:41], 0, -1, vcc
	v_cmp_ne_u32_e32 vcc, 0, v69
	v_xor_b32_e32 v69, vcc_hi, v222
	v_xor_b32_e32 v70, vcc_lo, v70
	v_and_b32_e32 v222, exec_hi, v69
	v_and_b32_e32 v223, exec_lo, v70
	v_lshlrev_b32_e32 v70, 30, v219
	v_mov_b32_e32 v69, v3
	v_cmp_gt_i64_e32 vcc, 0, v[69:70]
	v_not_b32_e32 v69, v70
	v_ashrrev_i32_e32 v69, 31, v69
	v_xor_b32_e32 v70, vcc_hi, v69
	v_xor_b32_e32 v69, vcc_lo, v69
	v_and_b32_e32 v222, v222, v70
	v_and_b32_e32 v223, v223, v69
	v_lshlrev_b32_e32 v70, 29, v219
	v_mov_b32_e32 v69, v3
	v_cmp_gt_i64_e32 vcc, 0, v[69:70]
	v_not_b32_e32 v69, v70
	v_ashrrev_i32_e32 v69, 31, v69
	v_xor_b32_e32 v70, vcc_hi, v69
	v_xor_b32_e32 v69, vcc_lo, v69
	v_and_b32_e32 v222, v222, v70
	v_and_b32_e32 v223, v223, v69
	;; [unrolled: 9-line block ×5, first 2 shown]
	v_lshlrev_b32_e32 v70, 25, v219
	v_mov_b32_e32 v69, v3
	v_cmp_gt_i64_e32 vcc, 0, v[69:70]
	v_not_b32_e32 v69, v70
	v_ashrrev_i32_e32 v69, 31, v69
	v_xor_b32_e32 v70, vcc_hi, v69
	v_xor_b32_e32 v69, vcc_lo, v69
	v_and_b32_e32 v69, v223, v69
	v_mul_u32_u24_e32 v221, 20, v219
	v_and_b32_e32 v70, v222, v70
	v_mbcnt_lo_u32_b32 v219, v69, 0
	v_mbcnt_hi_u32_b32 v219, v70, v219
	v_cmp_ne_u64_e32 vcc, 0, v[69:70]
	v_cmp_eq_u32_e64 s[40:41], 0, v219
	s_and_b64 s[42:43], vcc, s[40:41]
	v_add_u32_e32 v221, v171, v221
	; wave barrier
	s_and_saveexec_b64 s[40:41], s[42:43]
	s_cbranch_execz .LBB738_172
; %bb.171:                              ;   in Loop: Header=BB738_104 Depth=2
	v_bcnt_u32_b32 v69, v69, 0
	v_bcnt_u32_b32 v69, v70, v69
	s_waitcnt lgkmcnt(0)
	v_add_u32_e32 v69, v218, v69
	ds_write_b32 v221, v69 offset:528
.LBB738_172:                            ;   in Loop: Header=BB738_104 Depth=2
	s_or_b64 exec, exec, s[40:41]
	; wave barrier
	s_waitcnt lgkmcnt(0)
	s_barrier
	ds_read2_b32 v[69:70], v90 offset0:132 offset1:133
	ds_read_b32 v222, v90 offset:536
	s_waitcnt lgkmcnt(0)
	v_add3_u32 v222, v70, v69, v222
	s_nop 1
	v_mov_b32_dpp v223, v222 row_shr:1 row_mask:0xf bank_mask:0xf
	v_cndmask_b32_e64 v223, v223, 0, s[20:21]
	v_add_u32_e32 v222, v223, v222
	s_nop 1
	v_mov_b32_dpp v223, v222 row_shr:2 row_mask:0xf bank_mask:0xf
	v_cndmask_b32_e64 v223, 0, v223, s[22:23]
	v_add_u32_e32 v222, v222, v223
	;; [unrolled: 4-line block ×4, first 2 shown]
	s_nop 1
	v_mov_b32_dpp v223, v222 row_bcast:15 row_mask:0xf bank_mask:0xf
	v_cndmask_b32_e64 v223, v223, 0, s[28:29]
	v_add_u32_e32 v222, v222, v223
	s_nop 1
	v_mov_b32_dpp v223, v222 row_bcast:31 row_mask:0xf bank_mask:0xf
	v_cndmask_b32_e64 v223, 0, v223, s[30:31]
	v_add_u32_e32 v222, v222, v223
	s_and_saveexec_b64 s[40:41], s[12:13]
; %bb.173:                              ;   in Loop: Header=BB738_104 Depth=2
	ds_write_b32 v92, v222 offset:512
; %bb.174:                              ;   in Loop: Header=BB738_104 Depth=2
	s_or_b64 exec, exec, s[40:41]
	s_waitcnt lgkmcnt(0)
	s_barrier
	s_and_saveexec_b64 s[40:41], s[14:15]
	s_cbranch_execz .LBB738_176
; %bb.175:                              ;   in Loop: Header=BB738_104 Depth=2
	ds_read_b32 v223, v97 offset:512
	s_waitcnt lgkmcnt(0)
	s_nop 0
	v_mov_b32_dpp v224, v223 row_shr:1 row_mask:0xf bank_mask:0xf
	v_cndmask_b32_e64 v224, v224, 0, s[36:37]
	v_add_u32_e32 v223, v224, v223
	s_nop 1
	v_mov_b32_dpp v224, v223 row_shr:2 row_mask:0xf bank_mask:0xf
	v_cndmask_b32_e64 v224, 0, v224, s[38:39]
	v_add_u32_e32 v223, v223, v224
	ds_write_b32 v97, v223 offset:512
.LBB738_176:                            ;   in Loop: Header=BB738_104 Depth=2
	s_or_b64 exec, exec, s[40:41]
	v_mov_b32_e32 v223, 0
	s_waitcnt lgkmcnt(0)
	s_barrier
	s_and_saveexec_b64 s[40:41], s[10:11]
; %bb.177:                              ;   in Loop: Header=BB738_104 Depth=2
	ds_read_b32 v223, v92 offset:508
; %bb.178:                              ;   in Loop: Header=BB738_104 Depth=2
	s_or_b64 exec, exec, s[40:41]
	s_waitcnt lgkmcnt(0)
	v_add_u32_e32 v222, v223, v222
	ds_bpermute_b32 v222, v134, v222
	s_waitcnt lgkmcnt(0)
	v_cndmask_b32_e64 v222, v222, v223, s[34:35]
	v_cndmask_b32_e64 v222, v222, 0, s[16:17]
	v_add_u32_e32 v69, v222, v69
	v_add_u32_e32 v70, v69, v70
	ds_write2_b32 v90, v222, v69 offset0:132 offset1:133
	ds_write_b32 v90, v70 offset:536
	s_waitcnt lgkmcnt(0)
	s_barrier
	ds_read_b32 v69, v177 offset:528
	ds_read_b32 v227, v180 offset:528
	;; [unrolled: 1-line block ×16, first 2 shown]
	s_and_saveexec_b64 s[40:41], s[4:5]
	s_cbranch_execz .LBB738_182
; %bb.179:                              ;   in Loop: Header=BB738_104 Depth=2
	ds_read_b32 v172, v99 offset:528
	v_mov_b32_e32 v173, 0x1000
	s_and_saveexec_b64 s[42:43], s[18:19]
; %bb.180:                              ;   in Loop: Header=BB738_104 Depth=2
	ds_read_b32 v173, v98 offset:528
; %bb.181:                              ;   in Loop: Header=BB738_104 Depth=2
	s_or_b64 exec, exec, s[42:43]
	s_waitcnt lgkmcnt(0)
	v_sub_u32_e32 v173, v173, v172
.LBB738_182:                            ;   in Loop: Header=BB738_104 Depth=2
	s_or_b64 exec, exec, s[40:41]
	s_waitcnt lgkmcnt(0)
	s_barrier
	s_and_saveexec_b64 s[40:41], s[4:5]
	s_cbranch_execz .LBB738_184
; %bb.183:                              ;   in Loop: Header=BB738_104 Depth=2
	ds_read_b32 v201, v71
	s_waitcnt lgkmcnt(0)
	v_sub_u32_e32 v201, v201, v172
	ds_write_b32 v71, v201
.LBB738_184:                            ;   in Loop: Header=BB738_104 Depth=2
	s_or_b64 exec, exec, s[40:41]
	v_lshlrev_b32_e32 v175, 3, v175
	v_lshl_add_u32 v69, v69, 3, v175
	ds_write_b64 v69, v[39:40] offset:512
	v_lshlrev_b32_e32 v39, 3, v178
	v_lshlrev_b32_e32 v40, 3, v176
	v_lshlrev_b32_e32 v175, 3, v227
	v_add3_u32 v39, v39, v40, v175
	ds_write_b64 v39, v[41:42] offset:512
	v_lshlrev_b32_e32 v40, 3, v181
	v_lshlrev_b32_e32 v41, 3, v179
	v_lshlrev_b32_e32 v42, 3, v226
	v_add3_u32 v40, v40, v41, v42
	;; [unrolled: 5-line block ×3, first 2 shown]
	v_lshlrev_b32_e32 v42, 3, v187
	v_lshlrev_b32_e32 v45, 3, v185
	v_lshlrev_b32_e32 v46, 3, v224
	ds_write_b64 v41, v[49:50] offset:512
	v_add3_u32 v42, v42, v45, v46
	v_lshlrev_b32_e32 v45, 3, v190
	v_lshlrev_b32_e32 v46, 3, v188
	v_lshlrev_b32_e32 v49, 3, v223
	v_add3_u32 v45, v45, v46, v49
	v_lshlrev_b32_e32 v46, 3, v193
	v_lshlrev_b32_e32 v49, 3, v191
	v_lshlrev_b32_e32 v50, 3, v222
	ds_write_b64 v42, v[53:54] offset:512
	v_add3_u32 v46, v46, v49, v50
	v_lshlrev_b32_e32 v49, 3, v196
	v_lshlrev_b32_e32 v50, 3, v194
	v_lshlrev_b32_e32 v53, 3, v198
	v_add3_u32 v49, v49, v50, v53
	;; [unrolled: 9-line block ×3, first 2 shown]
	v_lshlrev_b32_e32 v54, 3, v204
	v_lshlrev_b32_e32 v57, 3, v203
	;; [unrolled: 1-line block ×3, first 2 shown]
	v_add3_u32 v54, v54, v57, v58
	ds_write_b64 v46, v[61:62] offset:512
	ds_write_b64 v49, v[67:68] offset:512
	;; [unrolled: 1-line block ×5, first 2 shown]
	v_lshlrev_b32_e32 v57, 3, v207
	v_lshlrev_b32_e32 v58, 3, v206
	v_lshlrev_b32_e32 v59, 3, v186
	v_add3_u32 v57, v57, v58, v59
	ds_write_b64 v57, v[55:56] offset:512
	v_lshlrev_b32_e32 v55, 3, v210
	v_lshlrev_b32_e32 v56, 3, v209
	v_lshlrev_b32_e32 v58, 3, v183
	v_add3_u32 v55, v55, v56, v58
	ds_write_b64 v55, v[51:52] offset:512
	;; [unrolled: 5-line block ×4, first 2 shown]
	v_lshlrev_b32_e32 v43, 3, v219
	v_lshlrev_b32_e32 v44, 3, v218
	v_lshlrev_b32_e32 v48, 3, v70
	v_add3_u32 v43, v43, v44, v48
	v_cmp_lt_u32_e64 s[40:41], v0, v174
	ds_write_b64 v43, v[37:38] offset:512
	s_waitcnt lgkmcnt(0)
	s_barrier
	s_and_saveexec_b64 s[42:43], s[40:41]
	s_cbranch_execnz .LBB738_253
; %bb.185:                              ;   in Loop: Header=BB738_104 Depth=2
	s_or_b64 exec, exec, s[42:43]
	v_cmp_lt_u32_e64 s[42:43], v72, v174
	s_and_saveexec_b64 s[44:45], s[42:43]
	s_cbranch_execnz .LBB738_254
.LBB738_186:                            ;   in Loop: Header=BB738_104 Depth=2
	s_or_b64 exec, exec, s[44:45]
	v_cmp_lt_u32_e64 s[44:45], v75, v174
	s_and_saveexec_b64 s[46:47], s[44:45]
	s_cbranch_execnz .LBB738_255
.LBB738_187:                            ;   in Loop: Header=BB738_104 Depth=2
	s_or_b64 exec, exec, s[46:47]
	v_cmp_lt_u32_e64 s[46:47], v76, v174
	s_and_saveexec_b64 s[48:49], s[46:47]
	s_cbranch_execnz .LBB738_256
.LBB738_188:                            ;   in Loop: Header=BB738_104 Depth=2
	s_or_b64 exec, exec, s[48:49]
	v_cmp_lt_u32_e64 s[48:49], v77, v174
	s_and_saveexec_b64 s[50:51], s[48:49]
	s_cbranch_execnz .LBB738_257
.LBB738_189:                            ;   in Loop: Header=BB738_104 Depth=2
	s_or_b64 exec, exec, s[50:51]
	v_cmp_lt_u32_e64 s[50:51], v78, v174
	s_and_saveexec_b64 s[52:53], s[50:51]
	s_cbranch_execnz .LBB738_258
.LBB738_190:                            ;   in Loop: Header=BB738_104 Depth=2
	s_or_b64 exec, exec, s[52:53]
	v_cmp_lt_u32_e64 s[52:53], v79, v174
	s_and_saveexec_b64 s[54:55], s[52:53]
	s_cbranch_execnz .LBB738_259
.LBB738_191:                            ;   in Loop: Header=BB738_104 Depth=2
	s_or_b64 exec, exec, s[54:55]
	v_cmp_lt_u32_e64 s[54:55], v80, v174
	s_and_saveexec_b64 s[56:57], s[54:55]
	s_cbranch_execnz .LBB738_260
.LBB738_192:                            ;   in Loop: Header=BB738_104 Depth=2
	s_or_b64 exec, exec, s[56:57]
	v_cmp_lt_u32_e64 s[56:57], v81, v174
	s_and_saveexec_b64 s[58:59], s[56:57]
	s_cbranch_execnz .LBB738_261
.LBB738_193:                            ;   in Loop: Header=BB738_104 Depth=2
	s_or_b64 exec, exec, s[58:59]
	v_cmp_lt_u32_e64 s[58:59], v82, v174
	s_and_saveexec_b64 s[60:61], s[58:59]
	s_cbranch_execnz .LBB738_262
.LBB738_194:                            ;   in Loop: Header=BB738_104 Depth=2
	s_or_b64 exec, exec, s[60:61]
	v_cmp_lt_u32_e64 s[60:61], v83, v174
	s_and_saveexec_b64 s[62:63], s[60:61]
	s_cbranch_execnz .LBB738_263
.LBB738_195:                            ;   in Loop: Header=BB738_104 Depth=2
	s_or_b64 exec, exec, s[62:63]
	v_cmp_lt_u32_e64 s[62:63], v84, v174
	s_and_saveexec_b64 s[64:65], s[62:63]
	s_cbranch_execnz .LBB738_264
.LBB738_196:                            ;   in Loop: Header=BB738_104 Depth=2
	s_or_b64 exec, exec, s[64:65]
	v_cmp_lt_u32_e64 s[64:65], v85, v174
	s_and_saveexec_b64 s[66:67], s[64:65]
	s_cbranch_execnz .LBB738_265
.LBB738_197:                            ;   in Loop: Header=BB738_104 Depth=2
	s_or_b64 exec, exec, s[66:67]
	v_cmp_lt_u32_e64 s[66:67], v86, v174
	s_and_saveexec_b64 s[68:69], s[66:67]
	s_cbranch_execnz .LBB738_266
.LBB738_198:                            ;   in Loop: Header=BB738_104 Depth=2
	s_or_b64 exec, exec, s[68:69]
	v_cmp_lt_u32_e64 s[68:69], v87, v174
	s_and_saveexec_b64 s[70:71], s[68:69]
	s_cbranch_execnz .LBB738_267
.LBB738_199:                            ;   in Loop: Header=BB738_104 Depth=2
	s_or_b64 exec, exec, s[70:71]
	v_cmp_lt_u32_e64 s[70:71], v88, v174
	s_and_saveexec_b64 s[82:83], s[70:71]
	s_cbranch_execz .LBB738_201
.LBB738_200:                            ;   in Loop: Header=BB738_104 Depth=2
	ds_read_b64 v[37:38], v104 offset:31232
	v_mov_b32_e32 v48, s79
	s_waitcnt lgkmcnt(0)
	v_lshrrev_b64 v[58:59], s97, v[37:38]
	v_mov_b32_e32 v59, v3
	v_and_b32_e32 v44, s99, v58
	v_lshlrev_b32_e32 v44, 2, v44
	ds_read_b32 v44, v44
	v_xor_b32_e32 v38, 0x7fffffff, v38
	v_not_b32_e32 v37, v37
	s_waitcnt lgkmcnt(0)
	v_add_u32_e32 v58, v44, v88
	v_lshlrev_b64 v[58:59], 3, v[58:59]
	v_add_co_u32_e32 v58, vcc, s78, v58
	v_addc_co_u32_e32 v59, vcc, v48, v59, vcc
	global_store_dwordx2 v[58:59], v[37:38], off
.LBB738_201:                            ;   in Loop: Header=BB738_104 Depth=2
	s_or_b64 exec, exec, s[82:83]
	s_lshl_b64 s[82:83], s[92:93], 3
	v_mov_b32_e32 v38, s83
	v_add_co_u32_e32 v37, vcc, s82, v152
	v_addc_co_u32_e32 v38, vcc, v153, v38, vcc
	v_cmp_lt_u32_e32 vcc, v151, v174
	s_and_saveexec_b64 s[82:83], vcc
	s_xor_b64 s[82:83], exec, s[82:83]
	s_cbranch_execnz .LBB738_268
; %bb.202:                              ;   in Loop: Header=BB738_104 Depth=2
	s_or_b64 exec, exec, s[82:83]
	v_cmp_lt_u32_e32 vcc, v154, v174
	s_and_saveexec_b64 s[82:83], vcc
	s_cbranch_execnz .LBB738_269
.LBB738_203:                            ;   in Loop: Header=BB738_104 Depth=2
	s_or_b64 exec, exec, s[82:83]
	v_cmp_lt_u32_e32 vcc, v155, v174
	s_and_saveexec_b64 s[82:83], vcc
	s_cbranch_execnz .LBB738_270
.LBB738_204:                            ;   in Loop: Header=BB738_104 Depth=2
	s_or_b64 exec, exec, s[82:83]
	v_cmp_lt_u32_e32 vcc, v156, v174
	s_and_saveexec_b64 s[82:83], vcc
	s_cbranch_execnz .LBB738_271
.LBB738_205:                            ;   in Loop: Header=BB738_104 Depth=2
	s_or_b64 exec, exec, s[82:83]
	v_cmp_lt_u32_e32 vcc, v157, v174
	s_and_saveexec_b64 s[82:83], vcc
	s_cbranch_execnz .LBB738_272
.LBB738_206:                            ;   in Loop: Header=BB738_104 Depth=2
	s_or_b64 exec, exec, s[82:83]
	v_cmp_lt_u32_e32 vcc, v158, v174
	s_and_saveexec_b64 s[82:83], vcc
	s_cbranch_execnz .LBB738_273
.LBB738_207:                            ;   in Loop: Header=BB738_104 Depth=2
	s_or_b64 exec, exec, s[82:83]
	v_cmp_lt_u32_e32 vcc, v159, v174
	s_and_saveexec_b64 s[82:83], vcc
	s_cbranch_execnz .LBB738_274
.LBB738_208:                            ;   in Loop: Header=BB738_104 Depth=2
	s_or_b64 exec, exec, s[82:83]
	v_cmp_lt_u32_e32 vcc, v160, v174
	s_and_saveexec_b64 s[82:83], vcc
	s_cbranch_execnz .LBB738_275
.LBB738_209:                            ;   in Loop: Header=BB738_104 Depth=2
	s_or_b64 exec, exec, s[82:83]
	v_cmp_lt_u32_e32 vcc, v161, v174
	s_and_saveexec_b64 s[82:83], vcc
	s_cbranch_execnz .LBB738_276
.LBB738_210:                            ;   in Loop: Header=BB738_104 Depth=2
	s_or_b64 exec, exec, s[82:83]
	v_cmp_lt_u32_e32 vcc, v162, v174
	s_and_saveexec_b64 s[82:83], vcc
	s_cbranch_execnz .LBB738_277
.LBB738_211:                            ;   in Loop: Header=BB738_104 Depth=2
	s_or_b64 exec, exec, s[82:83]
	v_cmp_lt_u32_e32 vcc, v163, v174
	s_and_saveexec_b64 s[82:83], vcc
	s_cbranch_execnz .LBB738_278
.LBB738_212:                            ;   in Loop: Header=BB738_104 Depth=2
	s_or_b64 exec, exec, s[82:83]
	v_cmp_lt_u32_e32 vcc, v164, v174
	s_and_saveexec_b64 s[82:83], vcc
	s_cbranch_execnz .LBB738_279
.LBB738_213:                            ;   in Loop: Header=BB738_104 Depth=2
	s_or_b64 exec, exec, s[82:83]
	v_cmp_lt_u32_e32 vcc, v165, v174
	s_and_saveexec_b64 s[82:83], vcc
	s_cbranch_execnz .LBB738_280
.LBB738_214:                            ;   in Loop: Header=BB738_104 Depth=2
	s_or_b64 exec, exec, s[82:83]
	v_cmp_lt_u32_e32 vcc, v166, v174
	s_and_saveexec_b64 s[82:83], vcc
	s_cbranch_execnz .LBB738_281
.LBB738_215:                            ;   in Loop: Header=BB738_104 Depth=2
	s_or_b64 exec, exec, s[82:83]
	v_cmp_lt_u32_e32 vcc, v167, v174
	s_and_saveexec_b64 s[82:83], vcc
	s_cbranch_execnz .LBB738_282
.LBB738_216:                            ;   in Loop: Header=BB738_104 Depth=2
	s_or_b64 exec, exec, s[82:83]
	v_cmp_lt_u32_e32 vcc, v168, v174
	s_and_saveexec_b64 s[82:83], vcc
	s_cbranch_execnz .LBB738_283
.LBB738_217:                            ;   in Loop: Header=BB738_104 Depth=2
	s_or_b64 exec, exec, s[82:83]
	s_and_saveexec_b64 s[82:83], s[40:41]
	s_cbranch_execnz .LBB738_284
.LBB738_218:                            ;   in Loop: Header=BB738_104 Depth=2
	s_or_b64 exec, exec, s[82:83]
	s_and_saveexec_b64 s[82:83], s[42:43]
	s_cbranch_execnz .LBB738_285
.LBB738_219:                            ;   in Loop: Header=BB738_104 Depth=2
	s_or_b64 exec, exec, s[82:83]
	s_and_saveexec_b64 s[82:83], s[44:45]
	s_cbranch_execnz .LBB738_286
.LBB738_220:                            ;   in Loop: Header=BB738_104 Depth=2
	s_or_b64 exec, exec, s[82:83]
	s_and_saveexec_b64 s[82:83], s[46:47]
	s_cbranch_execnz .LBB738_287
.LBB738_221:                            ;   in Loop: Header=BB738_104 Depth=2
	s_or_b64 exec, exec, s[82:83]
	s_and_saveexec_b64 s[82:83], s[48:49]
	s_cbranch_execnz .LBB738_288
.LBB738_222:                            ;   in Loop: Header=BB738_104 Depth=2
	s_or_b64 exec, exec, s[82:83]
	s_and_saveexec_b64 s[82:83], s[50:51]
	s_cbranch_execnz .LBB738_289
.LBB738_223:                            ;   in Loop: Header=BB738_104 Depth=2
	s_or_b64 exec, exec, s[82:83]
	s_and_saveexec_b64 s[82:83], s[52:53]
	s_cbranch_execnz .LBB738_290
.LBB738_224:                            ;   in Loop: Header=BB738_104 Depth=2
	s_or_b64 exec, exec, s[82:83]
	s_and_saveexec_b64 s[82:83], s[54:55]
	s_cbranch_execnz .LBB738_291
.LBB738_225:                            ;   in Loop: Header=BB738_104 Depth=2
	s_or_b64 exec, exec, s[82:83]
	s_and_saveexec_b64 s[82:83], s[56:57]
	s_cbranch_execnz .LBB738_292
.LBB738_226:                            ;   in Loop: Header=BB738_104 Depth=2
	s_or_b64 exec, exec, s[82:83]
	s_and_saveexec_b64 s[82:83], s[58:59]
	s_cbranch_execnz .LBB738_293
.LBB738_227:                            ;   in Loop: Header=BB738_104 Depth=2
	s_or_b64 exec, exec, s[82:83]
	s_and_saveexec_b64 s[82:83], s[60:61]
	s_cbranch_execnz .LBB738_294
.LBB738_228:                            ;   in Loop: Header=BB738_104 Depth=2
	s_or_b64 exec, exec, s[82:83]
	s_and_saveexec_b64 s[82:83], s[62:63]
	s_cbranch_execnz .LBB738_295
.LBB738_229:                            ;   in Loop: Header=BB738_104 Depth=2
	s_or_b64 exec, exec, s[82:83]
	s_and_saveexec_b64 s[82:83], s[64:65]
	s_cbranch_execnz .LBB738_296
.LBB738_230:                            ;   in Loop: Header=BB738_104 Depth=2
	s_or_b64 exec, exec, s[82:83]
	s_and_saveexec_b64 s[82:83], s[66:67]
	s_cbranch_execnz .LBB738_297
.LBB738_231:                            ;   in Loop: Header=BB738_104 Depth=2
	s_or_b64 exec, exec, s[82:83]
	s_and_saveexec_b64 s[82:83], s[68:69]
	s_cbranch_execnz .LBB738_298
.LBB738_232:                            ;   in Loop: Header=BB738_104 Depth=2
	s_or_b64 exec, exec, s[82:83]
	s_and_saveexec_b64 s[82:83], s[70:71]
	s_cbranch_execz .LBB738_234
.LBB738_233:                            ;   in Loop: Header=BB738_104 Depth=2
	ds_read_b64 v[37:38], v104 offset:31232
	s_waitcnt lgkmcnt(0)
	v_lshrrev_b64 v[37:38], s97, v[37:38]
	v_and_b32_e32 v135, s99, v37
.LBB738_234:                            ;   in Loop: Header=BB738_104 Depth=2
	s_or_b64 exec, exec, s[82:83]
	s_waitcnt vmcnt(0)
	s_barrier
	ds_write_b64 v69, v[35:36] offset:512
	ds_write_b64 v39, v[33:34] offset:512
	;; [unrolled: 1-line block ×16, first 2 shown]
	s_waitcnt lgkmcnt(0)
	s_barrier
	s_and_saveexec_b64 s[82:83], s[40:41]
	s_cbranch_execnz .LBB738_299
; %bb.235:                              ;   in Loop: Header=BB738_104 Depth=2
	s_or_b64 exec, exec, s[82:83]
	s_and_saveexec_b64 s[40:41], s[42:43]
	s_cbranch_execnz .LBB738_300
.LBB738_236:                            ;   in Loop: Header=BB738_104 Depth=2
	s_or_b64 exec, exec, s[40:41]
	s_and_saveexec_b64 s[40:41], s[44:45]
	s_cbranch_execnz .LBB738_301
.LBB738_237:                            ;   in Loop: Header=BB738_104 Depth=2
	s_or_b64 exec, exec, s[40:41]
	s_and_saveexec_b64 s[40:41], s[46:47]
	s_cbranch_execnz .LBB738_302
.LBB738_238:                            ;   in Loop: Header=BB738_104 Depth=2
	s_or_b64 exec, exec, s[40:41]
	s_and_saveexec_b64 s[40:41], s[48:49]
	s_cbranch_execnz .LBB738_303
.LBB738_239:                            ;   in Loop: Header=BB738_104 Depth=2
	s_or_b64 exec, exec, s[40:41]
	s_and_saveexec_b64 s[40:41], s[50:51]
	s_cbranch_execnz .LBB738_304
.LBB738_240:                            ;   in Loop: Header=BB738_104 Depth=2
	s_or_b64 exec, exec, s[40:41]
	s_and_saveexec_b64 s[40:41], s[52:53]
	s_cbranch_execnz .LBB738_305
.LBB738_241:                            ;   in Loop: Header=BB738_104 Depth=2
	s_or_b64 exec, exec, s[40:41]
	s_and_saveexec_b64 s[40:41], s[54:55]
	s_cbranch_execnz .LBB738_306
.LBB738_242:                            ;   in Loop: Header=BB738_104 Depth=2
	s_or_b64 exec, exec, s[40:41]
	s_and_saveexec_b64 s[40:41], s[56:57]
	s_cbranch_execnz .LBB738_307
.LBB738_243:                            ;   in Loop: Header=BB738_104 Depth=2
	s_or_b64 exec, exec, s[40:41]
	s_and_saveexec_b64 s[40:41], s[58:59]
	s_cbranch_execnz .LBB738_308
.LBB738_244:                            ;   in Loop: Header=BB738_104 Depth=2
	s_or_b64 exec, exec, s[40:41]
	s_and_saveexec_b64 s[40:41], s[60:61]
	s_cbranch_execnz .LBB738_309
.LBB738_245:                            ;   in Loop: Header=BB738_104 Depth=2
	s_or_b64 exec, exec, s[40:41]
	s_and_saveexec_b64 s[40:41], s[62:63]
	s_cbranch_execnz .LBB738_310
.LBB738_246:                            ;   in Loop: Header=BB738_104 Depth=2
	s_or_b64 exec, exec, s[40:41]
	s_and_saveexec_b64 s[40:41], s[64:65]
	s_cbranch_execnz .LBB738_311
.LBB738_247:                            ;   in Loop: Header=BB738_104 Depth=2
	s_or_b64 exec, exec, s[40:41]
	s_and_saveexec_b64 s[40:41], s[66:67]
	s_cbranch_execnz .LBB738_312
.LBB738_248:                            ;   in Loop: Header=BB738_104 Depth=2
	s_or_b64 exec, exec, s[40:41]
	s_and_saveexec_b64 s[40:41], s[68:69]
	s_cbranch_execnz .LBB738_313
.LBB738_249:                            ;   in Loop: Header=BB738_104 Depth=2
	s_or_b64 exec, exec, s[40:41]
	s_and_saveexec_b64 s[40:41], s[70:71]
	s_cbranch_execz .LBB738_251
.LBB738_250:                            ;   in Loop: Header=BB738_104 Depth=2
	v_lshlrev_b32_e32 v37, 2, v135
	ds_read_b32 v39, v37
	ds_read_b64 v[37:38], v104 offset:31232
	v_mov_b32_e32 v40, v3
	v_mov_b32_e32 v41, s85
	s_waitcnt lgkmcnt(1)
	v_add_u32_e32 v39, v39, v88
	v_lshlrev_b64 v[39:40], 3, v[39:40]
	v_add_co_u32_e32 v39, vcc, s84, v39
	v_addc_co_u32_e32 v40, vcc, v41, v40, vcc
	s_waitcnt lgkmcnt(0)
	global_store_dwordx2 v[39:40], v[37:38], off
.LBB738_251:                            ;   in Loop: Header=BB738_104 Depth=2
	s_or_b64 exec, exec, s[40:41]
	s_waitcnt vmcnt(0)
	s_barrier
	s_and_saveexec_b64 s[40:41], s[4:5]
	s_cbranch_execz .LBB738_103
; %bb.252:                              ;   in Loop: Header=BB738_104 Depth=2
	ds_read_b32 v37, v71
	s_waitcnt lgkmcnt(0)
	v_add3_u32 v37, v172, v173, v37
	ds_write_b32 v71, v37
	s_branch .LBB738_103
.LBB738_253:                            ;   in Loop: Header=BB738_104 Depth=2
	ds_read_b64 v[37:38], v104 offset:512
	v_mov_b32_e32 v48, s79
	s_waitcnt lgkmcnt(0)
	v_lshrrev_b64 v[58:59], s97, v[37:38]
	v_mov_b32_e32 v59, v3
	v_and_b32_e32 v44, s99, v58
	v_lshlrev_b32_e32 v44, 2, v44
	ds_read_b32 v44, v44
	v_xor_b32_e32 v38, 0x7fffffff, v38
	v_not_b32_e32 v37, v37
	s_waitcnt lgkmcnt(0)
	v_add_u32_e32 v58, v44, v0
	v_lshlrev_b64 v[58:59], 3, v[58:59]
	v_add_co_u32_e32 v58, vcc, s78, v58
	v_addc_co_u32_e32 v59, vcc, v48, v59, vcc
	global_store_dwordx2 v[58:59], v[37:38], off
	s_or_b64 exec, exec, s[42:43]
	v_cmp_lt_u32_e64 s[42:43], v72, v174
	s_and_saveexec_b64 s[44:45], s[42:43]
	s_cbranch_execz .LBB738_186
.LBB738_254:                            ;   in Loop: Header=BB738_104 Depth=2
	ds_read_b64 v[37:38], v104 offset:2560
	v_mov_b32_e32 v48, s79
	s_waitcnt lgkmcnt(0)
	v_lshrrev_b64 v[58:59], s97, v[37:38]
	v_mov_b32_e32 v59, v3
	v_and_b32_e32 v44, s99, v58
	v_lshlrev_b32_e32 v44, 2, v44
	ds_read_b32 v44, v44
	v_xor_b32_e32 v38, 0x7fffffff, v38
	v_not_b32_e32 v37, v37
	s_waitcnt lgkmcnt(0)
	v_add_u32_e32 v58, v44, v72
	v_lshlrev_b64 v[58:59], 3, v[58:59]
	v_add_co_u32_e32 v58, vcc, s78, v58
	v_addc_co_u32_e32 v59, vcc, v48, v59, vcc
	global_store_dwordx2 v[58:59], v[37:38], off
	s_or_b64 exec, exec, s[44:45]
	v_cmp_lt_u32_e64 s[44:45], v75, v174
	s_and_saveexec_b64 s[46:47], s[44:45]
	s_cbranch_execz .LBB738_187
.LBB738_255:                            ;   in Loop: Header=BB738_104 Depth=2
	ds_read_b64 v[37:38], v104 offset:4608
	v_mov_b32_e32 v48, s79
	s_waitcnt lgkmcnt(0)
	v_lshrrev_b64 v[58:59], s97, v[37:38]
	v_mov_b32_e32 v59, v3
	v_and_b32_e32 v44, s99, v58
	v_lshlrev_b32_e32 v44, 2, v44
	ds_read_b32 v44, v44
	v_xor_b32_e32 v38, 0x7fffffff, v38
	v_not_b32_e32 v37, v37
	s_waitcnt lgkmcnt(0)
	v_add_u32_e32 v58, v44, v75
	v_lshlrev_b64 v[58:59], 3, v[58:59]
	v_add_co_u32_e32 v58, vcc, s78, v58
	v_addc_co_u32_e32 v59, vcc, v48, v59, vcc
	global_store_dwordx2 v[58:59], v[37:38], off
	s_or_b64 exec, exec, s[46:47]
	v_cmp_lt_u32_e64 s[46:47], v76, v174
	s_and_saveexec_b64 s[48:49], s[46:47]
	s_cbranch_execz .LBB738_188
.LBB738_256:                            ;   in Loop: Header=BB738_104 Depth=2
	ds_read_b64 v[37:38], v104 offset:6656
	v_mov_b32_e32 v48, s79
	s_waitcnt lgkmcnt(0)
	v_lshrrev_b64 v[58:59], s97, v[37:38]
	v_mov_b32_e32 v59, v3
	v_and_b32_e32 v44, s99, v58
	v_lshlrev_b32_e32 v44, 2, v44
	ds_read_b32 v44, v44
	v_xor_b32_e32 v38, 0x7fffffff, v38
	v_not_b32_e32 v37, v37
	s_waitcnt lgkmcnt(0)
	v_add_u32_e32 v58, v44, v76
	v_lshlrev_b64 v[58:59], 3, v[58:59]
	v_add_co_u32_e32 v58, vcc, s78, v58
	v_addc_co_u32_e32 v59, vcc, v48, v59, vcc
	global_store_dwordx2 v[58:59], v[37:38], off
	s_or_b64 exec, exec, s[48:49]
	v_cmp_lt_u32_e64 s[48:49], v77, v174
	s_and_saveexec_b64 s[50:51], s[48:49]
	s_cbranch_execz .LBB738_189
.LBB738_257:                            ;   in Loop: Header=BB738_104 Depth=2
	ds_read_b64 v[37:38], v104 offset:8704
	v_mov_b32_e32 v48, s79
	s_waitcnt lgkmcnt(0)
	v_lshrrev_b64 v[58:59], s97, v[37:38]
	v_mov_b32_e32 v59, v3
	v_and_b32_e32 v44, s99, v58
	v_lshlrev_b32_e32 v44, 2, v44
	ds_read_b32 v44, v44
	v_xor_b32_e32 v38, 0x7fffffff, v38
	v_not_b32_e32 v37, v37
	s_waitcnt lgkmcnt(0)
	v_add_u32_e32 v58, v44, v77
	v_lshlrev_b64 v[58:59], 3, v[58:59]
	v_add_co_u32_e32 v58, vcc, s78, v58
	v_addc_co_u32_e32 v59, vcc, v48, v59, vcc
	global_store_dwordx2 v[58:59], v[37:38], off
	s_or_b64 exec, exec, s[50:51]
	v_cmp_lt_u32_e64 s[50:51], v78, v174
	s_and_saveexec_b64 s[52:53], s[50:51]
	s_cbranch_execz .LBB738_190
.LBB738_258:                            ;   in Loop: Header=BB738_104 Depth=2
	ds_read_b64 v[37:38], v104 offset:10752
	v_mov_b32_e32 v48, s79
	s_waitcnt lgkmcnt(0)
	v_lshrrev_b64 v[58:59], s97, v[37:38]
	v_mov_b32_e32 v59, v3
	v_and_b32_e32 v44, s99, v58
	v_lshlrev_b32_e32 v44, 2, v44
	ds_read_b32 v44, v44
	v_xor_b32_e32 v38, 0x7fffffff, v38
	v_not_b32_e32 v37, v37
	s_waitcnt lgkmcnt(0)
	v_add_u32_e32 v58, v44, v78
	v_lshlrev_b64 v[58:59], 3, v[58:59]
	v_add_co_u32_e32 v58, vcc, s78, v58
	v_addc_co_u32_e32 v59, vcc, v48, v59, vcc
	global_store_dwordx2 v[58:59], v[37:38], off
	s_or_b64 exec, exec, s[52:53]
	v_cmp_lt_u32_e64 s[52:53], v79, v174
	s_and_saveexec_b64 s[54:55], s[52:53]
	s_cbranch_execz .LBB738_191
.LBB738_259:                            ;   in Loop: Header=BB738_104 Depth=2
	ds_read_b64 v[37:38], v104 offset:12800
	v_mov_b32_e32 v48, s79
	s_waitcnt lgkmcnt(0)
	v_lshrrev_b64 v[58:59], s97, v[37:38]
	v_mov_b32_e32 v59, v3
	v_and_b32_e32 v44, s99, v58
	v_lshlrev_b32_e32 v44, 2, v44
	ds_read_b32 v44, v44
	v_xor_b32_e32 v38, 0x7fffffff, v38
	v_not_b32_e32 v37, v37
	s_waitcnt lgkmcnt(0)
	v_add_u32_e32 v58, v44, v79
	v_lshlrev_b64 v[58:59], 3, v[58:59]
	v_add_co_u32_e32 v58, vcc, s78, v58
	v_addc_co_u32_e32 v59, vcc, v48, v59, vcc
	global_store_dwordx2 v[58:59], v[37:38], off
	s_or_b64 exec, exec, s[54:55]
	v_cmp_lt_u32_e64 s[54:55], v80, v174
	s_and_saveexec_b64 s[56:57], s[54:55]
	s_cbranch_execz .LBB738_192
.LBB738_260:                            ;   in Loop: Header=BB738_104 Depth=2
	ds_read_b64 v[37:38], v104 offset:14848
	v_mov_b32_e32 v48, s79
	s_waitcnt lgkmcnt(0)
	v_lshrrev_b64 v[58:59], s97, v[37:38]
	v_mov_b32_e32 v59, v3
	v_and_b32_e32 v44, s99, v58
	v_lshlrev_b32_e32 v44, 2, v44
	ds_read_b32 v44, v44
	v_xor_b32_e32 v38, 0x7fffffff, v38
	v_not_b32_e32 v37, v37
	s_waitcnt lgkmcnt(0)
	v_add_u32_e32 v58, v44, v80
	v_lshlrev_b64 v[58:59], 3, v[58:59]
	v_add_co_u32_e32 v58, vcc, s78, v58
	v_addc_co_u32_e32 v59, vcc, v48, v59, vcc
	global_store_dwordx2 v[58:59], v[37:38], off
	s_or_b64 exec, exec, s[56:57]
	v_cmp_lt_u32_e64 s[56:57], v81, v174
	s_and_saveexec_b64 s[58:59], s[56:57]
	s_cbranch_execz .LBB738_193
.LBB738_261:                            ;   in Loop: Header=BB738_104 Depth=2
	ds_read_b64 v[37:38], v104 offset:16896
	v_mov_b32_e32 v48, s79
	s_waitcnt lgkmcnt(0)
	v_lshrrev_b64 v[58:59], s97, v[37:38]
	v_mov_b32_e32 v59, v3
	v_and_b32_e32 v44, s99, v58
	v_lshlrev_b32_e32 v44, 2, v44
	ds_read_b32 v44, v44
	v_xor_b32_e32 v38, 0x7fffffff, v38
	v_not_b32_e32 v37, v37
	s_waitcnt lgkmcnt(0)
	v_add_u32_e32 v58, v44, v81
	v_lshlrev_b64 v[58:59], 3, v[58:59]
	v_add_co_u32_e32 v58, vcc, s78, v58
	v_addc_co_u32_e32 v59, vcc, v48, v59, vcc
	global_store_dwordx2 v[58:59], v[37:38], off
	s_or_b64 exec, exec, s[58:59]
	v_cmp_lt_u32_e64 s[58:59], v82, v174
	s_and_saveexec_b64 s[60:61], s[58:59]
	s_cbranch_execz .LBB738_194
.LBB738_262:                            ;   in Loop: Header=BB738_104 Depth=2
	ds_read_b64 v[37:38], v104 offset:18944
	v_mov_b32_e32 v48, s79
	s_waitcnt lgkmcnt(0)
	v_lshrrev_b64 v[58:59], s97, v[37:38]
	v_mov_b32_e32 v59, v3
	v_and_b32_e32 v44, s99, v58
	v_lshlrev_b32_e32 v44, 2, v44
	ds_read_b32 v44, v44
	v_xor_b32_e32 v38, 0x7fffffff, v38
	v_not_b32_e32 v37, v37
	s_waitcnt lgkmcnt(0)
	v_add_u32_e32 v58, v44, v82
	v_lshlrev_b64 v[58:59], 3, v[58:59]
	v_add_co_u32_e32 v58, vcc, s78, v58
	v_addc_co_u32_e32 v59, vcc, v48, v59, vcc
	global_store_dwordx2 v[58:59], v[37:38], off
	s_or_b64 exec, exec, s[60:61]
	v_cmp_lt_u32_e64 s[60:61], v83, v174
	s_and_saveexec_b64 s[62:63], s[60:61]
	s_cbranch_execz .LBB738_195
.LBB738_263:                            ;   in Loop: Header=BB738_104 Depth=2
	ds_read_b64 v[37:38], v104 offset:20992
	v_mov_b32_e32 v48, s79
	s_waitcnt lgkmcnt(0)
	v_lshrrev_b64 v[58:59], s97, v[37:38]
	v_mov_b32_e32 v59, v3
	v_and_b32_e32 v44, s99, v58
	v_lshlrev_b32_e32 v44, 2, v44
	ds_read_b32 v44, v44
	v_xor_b32_e32 v38, 0x7fffffff, v38
	v_not_b32_e32 v37, v37
	s_waitcnt lgkmcnt(0)
	v_add_u32_e32 v58, v44, v83
	v_lshlrev_b64 v[58:59], 3, v[58:59]
	v_add_co_u32_e32 v58, vcc, s78, v58
	v_addc_co_u32_e32 v59, vcc, v48, v59, vcc
	global_store_dwordx2 v[58:59], v[37:38], off
	s_or_b64 exec, exec, s[62:63]
	v_cmp_lt_u32_e64 s[62:63], v84, v174
	s_and_saveexec_b64 s[64:65], s[62:63]
	s_cbranch_execz .LBB738_196
.LBB738_264:                            ;   in Loop: Header=BB738_104 Depth=2
	ds_read_b64 v[37:38], v104 offset:23040
	v_mov_b32_e32 v48, s79
	s_waitcnt lgkmcnt(0)
	v_lshrrev_b64 v[58:59], s97, v[37:38]
	v_mov_b32_e32 v59, v3
	v_and_b32_e32 v44, s99, v58
	v_lshlrev_b32_e32 v44, 2, v44
	ds_read_b32 v44, v44
	v_xor_b32_e32 v38, 0x7fffffff, v38
	v_not_b32_e32 v37, v37
	s_waitcnt lgkmcnt(0)
	v_add_u32_e32 v58, v44, v84
	v_lshlrev_b64 v[58:59], 3, v[58:59]
	v_add_co_u32_e32 v58, vcc, s78, v58
	v_addc_co_u32_e32 v59, vcc, v48, v59, vcc
	global_store_dwordx2 v[58:59], v[37:38], off
	s_or_b64 exec, exec, s[64:65]
	v_cmp_lt_u32_e64 s[64:65], v85, v174
	s_and_saveexec_b64 s[66:67], s[64:65]
	s_cbranch_execz .LBB738_197
.LBB738_265:                            ;   in Loop: Header=BB738_104 Depth=2
	ds_read_b64 v[37:38], v104 offset:25088
	v_mov_b32_e32 v48, s79
	s_waitcnt lgkmcnt(0)
	v_lshrrev_b64 v[58:59], s97, v[37:38]
	v_mov_b32_e32 v59, v3
	v_and_b32_e32 v44, s99, v58
	v_lshlrev_b32_e32 v44, 2, v44
	ds_read_b32 v44, v44
	v_xor_b32_e32 v38, 0x7fffffff, v38
	v_not_b32_e32 v37, v37
	s_waitcnt lgkmcnt(0)
	v_add_u32_e32 v58, v44, v85
	v_lshlrev_b64 v[58:59], 3, v[58:59]
	v_add_co_u32_e32 v58, vcc, s78, v58
	v_addc_co_u32_e32 v59, vcc, v48, v59, vcc
	global_store_dwordx2 v[58:59], v[37:38], off
	s_or_b64 exec, exec, s[66:67]
	v_cmp_lt_u32_e64 s[66:67], v86, v174
	s_and_saveexec_b64 s[68:69], s[66:67]
	s_cbranch_execz .LBB738_198
.LBB738_266:                            ;   in Loop: Header=BB738_104 Depth=2
	ds_read_b64 v[37:38], v104 offset:27136
	v_mov_b32_e32 v48, s79
	s_waitcnt lgkmcnt(0)
	v_lshrrev_b64 v[58:59], s97, v[37:38]
	v_mov_b32_e32 v59, v3
	v_and_b32_e32 v44, s99, v58
	v_lshlrev_b32_e32 v44, 2, v44
	ds_read_b32 v44, v44
	v_xor_b32_e32 v38, 0x7fffffff, v38
	v_not_b32_e32 v37, v37
	s_waitcnt lgkmcnt(0)
	v_add_u32_e32 v58, v44, v86
	v_lshlrev_b64 v[58:59], 3, v[58:59]
	v_add_co_u32_e32 v58, vcc, s78, v58
	v_addc_co_u32_e32 v59, vcc, v48, v59, vcc
	global_store_dwordx2 v[58:59], v[37:38], off
	s_or_b64 exec, exec, s[68:69]
	v_cmp_lt_u32_e64 s[68:69], v87, v174
	s_and_saveexec_b64 s[70:71], s[68:69]
	s_cbranch_execz .LBB738_199
.LBB738_267:                            ;   in Loop: Header=BB738_104 Depth=2
	ds_read_b64 v[37:38], v104 offset:29184
	v_mov_b32_e32 v48, s79
	s_waitcnt lgkmcnt(0)
	v_lshrrev_b64 v[58:59], s97, v[37:38]
	v_mov_b32_e32 v59, v3
	v_and_b32_e32 v44, s99, v58
	v_lshlrev_b32_e32 v44, 2, v44
	ds_read_b32 v44, v44
	v_xor_b32_e32 v38, 0x7fffffff, v38
	v_not_b32_e32 v37, v37
	s_waitcnt lgkmcnt(0)
	v_add_u32_e32 v58, v44, v87
	v_lshlrev_b64 v[58:59], 3, v[58:59]
	v_add_co_u32_e32 v58, vcc, s78, v58
	v_addc_co_u32_e32 v59, vcc, v48, v59, vcc
	global_store_dwordx2 v[58:59], v[37:38], off
	s_or_b64 exec, exec, s[70:71]
	v_cmp_lt_u32_e64 s[70:71], v88, v174
	s_and_saveexec_b64 s[82:83], s[70:71]
	s_cbranch_execnz .LBB738_200
	s_branch .LBB738_201
.LBB738_268:                            ;   in Loop: Header=BB738_104 Depth=2
	global_load_dwordx2 v[35:36], v[37:38], off
	s_or_b64 exec, exec, s[82:83]
	v_cmp_lt_u32_e32 vcc, v154, v174
	s_and_saveexec_b64 s[82:83], vcc
	s_cbranch_execz .LBB738_203
.LBB738_269:                            ;   in Loop: Header=BB738_104 Depth=2
	global_load_dwordx2 v[33:34], v[37:38], off offset:512
	s_or_b64 exec, exec, s[82:83]
	v_cmp_lt_u32_e32 vcc, v155, v174
	s_and_saveexec_b64 s[82:83], vcc
	s_cbranch_execz .LBB738_204
.LBB738_270:                            ;   in Loop: Header=BB738_104 Depth=2
	global_load_dwordx2 v[31:32], v[37:38], off offset:1024
	s_or_b64 exec, exec, s[82:83]
	v_cmp_lt_u32_e32 vcc, v156, v174
	s_and_saveexec_b64 s[82:83], vcc
	s_cbranch_execz .LBB738_205
.LBB738_271:                            ;   in Loop: Header=BB738_104 Depth=2
	global_load_dwordx2 v[27:28], v[37:38], off offset:1536
	s_or_b64 exec, exec, s[82:83]
	v_cmp_lt_u32_e32 vcc, v157, v174
	s_and_saveexec_b64 s[82:83], vcc
	s_cbranch_execz .LBB738_206
.LBB738_272:                            ;   in Loop: Header=BB738_104 Depth=2
	global_load_dwordx2 v[23:24], v[37:38], off offset:2048
	s_or_b64 exec, exec, s[82:83]
	v_cmp_lt_u32_e32 vcc, v158, v174
	s_and_saveexec_b64 s[82:83], vcc
	s_cbranch_execz .LBB738_207
.LBB738_273:                            ;   in Loop: Header=BB738_104 Depth=2
	global_load_dwordx2 v[19:20], v[37:38], off offset:2560
	s_or_b64 exec, exec, s[82:83]
	v_cmp_lt_u32_e32 vcc, v159, v174
	s_and_saveexec_b64 s[82:83], vcc
	s_cbranch_execz .LBB738_208
.LBB738_274:                            ;   in Loop: Header=BB738_104 Depth=2
	global_load_dwordx2 v[15:16], v[37:38], off offset:3072
	s_or_b64 exec, exec, s[82:83]
	v_cmp_lt_u32_e32 vcc, v160, v174
	s_and_saveexec_b64 s[82:83], vcc
	s_cbranch_execz .LBB738_209
.LBB738_275:                            ;   in Loop: Header=BB738_104 Depth=2
	global_load_dwordx2 v[11:12], v[37:38], off offset:3584
	s_or_b64 exec, exec, s[82:83]
	v_cmp_lt_u32_e32 vcc, v161, v174
	s_and_saveexec_b64 s[82:83], vcc
	s_cbranch_execz .LBB738_210
.LBB738_276:                            ;   in Loop: Header=BB738_104 Depth=2
	v_add_co_u32_e32 v29, vcc, 0x1000, v37
	v_addc_co_u32_e32 v30, vcc, 0, v38, vcc
	global_load_dwordx2 v[29:30], v[29:30], off
	s_or_b64 exec, exec, s[82:83]
	v_cmp_lt_u32_e32 vcc, v162, v174
	s_and_saveexec_b64 s[82:83], vcc
	s_cbranch_execz .LBB738_211
.LBB738_277:                            ;   in Loop: Header=BB738_104 Depth=2
	v_add_co_u32_e32 v25, vcc, 0x1000, v37
	v_addc_co_u32_e32 v26, vcc, 0, v38, vcc
	global_load_dwordx2 v[25:26], v[25:26], off offset:512
	s_or_b64 exec, exec, s[82:83]
	v_cmp_lt_u32_e32 vcc, v163, v174
	s_and_saveexec_b64 s[82:83], vcc
	s_cbranch_execz .LBB738_212
.LBB738_278:                            ;   in Loop: Header=BB738_104 Depth=2
	v_add_co_u32_e32 v21, vcc, 0x1000, v37
	v_addc_co_u32_e32 v22, vcc, 0, v38, vcc
	global_load_dwordx2 v[21:22], v[21:22], off offset:1024
	s_or_b64 exec, exec, s[82:83]
	v_cmp_lt_u32_e32 vcc, v164, v174
	s_and_saveexec_b64 s[82:83], vcc
	s_cbranch_execz .LBB738_213
.LBB738_279:                            ;   in Loop: Header=BB738_104 Depth=2
	v_add_co_u32_e32 v17, vcc, 0x1000, v37
	v_addc_co_u32_e32 v18, vcc, 0, v38, vcc
	global_load_dwordx2 v[17:18], v[17:18], off offset:1536
	s_or_b64 exec, exec, s[82:83]
	v_cmp_lt_u32_e32 vcc, v165, v174
	s_and_saveexec_b64 s[82:83], vcc
	s_cbranch_execz .LBB738_214
.LBB738_280:                            ;   in Loop: Header=BB738_104 Depth=2
	v_add_co_u32_e32 v13, vcc, 0x1000, v37
	v_addc_co_u32_e32 v14, vcc, 0, v38, vcc
	global_load_dwordx2 v[13:14], v[13:14], off offset:2048
	s_or_b64 exec, exec, s[82:83]
	v_cmp_lt_u32_e32 vcc, v166, v174
	s_and_saveexec_b64 s[82:83], vcc
	s_cbranch_execz .LBB738_215
.LBB738_281:                            ;   in Loop: Header=BB738_104 Depth=2
	v_add_co_u32_e32 v9, vcc, 0x1000, v37
	v_addc_co_u32_e32 v10, vcc, 0, v38, vcc
	global_load_dwordx2 v[9:10], v[9:10], off offset:2560
	s_or_b64 exec, exec, s[82:83]
	v_cmp_lt_u32_e32 vcc, v167, v174
	s_and_saveexec_b64 s[82:83], vcc
	s_cbranch_execz .LBB738_216
.LBB738_282:                            ;   in Loop: Header=BB738_104 Depth=2
	v_add_co_u32_e32 v7, vcc, 0x1000, v37
	v_addc_co_u32_e32 v8, vcc, 0, v38, vcc
	global_load_dwordx2 v[7:8], v[7:8], off offset:3072
	s_or_b64 exec, exec, s[82:83]
	v_cmp_lt_u32_e32 vcc, v168, v174
	s_and_saveexec_b64 s[82:83], vcc
	s_cbranch_execz .LBB738_217
.LBB738_283:                            ;   in Loop: Header=BB738_104 Depth=2
	v_add_co_u32_e32 v5, vcc, 0x1000, v37
	v_addc_co_u32_e32 v6, vcc, 0, v38, vcc
	global_load_dwordx2 v[5:6], v[5:6], off offset:3584
	s_or_b64 exec, exec, s[82:83]
	s_and_saveexec_b64 s[82:83], s[40:41]
	s_cbranch_execz .LBB738_218
.LBB738_284:                            ;   in Loop: Header=BB738_104 Depth=2
	ds_read_b64 v[37:38], v104 offset:512
	s_waitcnt lgkmcnt(0)
	v_lshrrev_b64 v[37:38], s97, v[37:38]
	v_and_b32_e32 v150, s99, v37
	s_or_b64 exec, exec, s[82:83]
	s_and_saveexec_b64 s[82:83], s[42:43]
	s_cbranch_execz .LBB738_219
.LBB738_285:                            ;   in Loop: Header=BB738_104 Depth=2
	ds_read_b64 v[37:38], v104 offset:2560
	s_waitcnt lgkmcnt(0)
	v_lshrrev_b64 v[37:38], s97, v[37:38]
	v_and_b32_e32 v149, s99, v37
	s_or_b64 exec, exec, s[82:83]
	s_and_saveexec_b64 s[82:83], s[44:45]
	s_cbranch_execz .LBB738_220
.LBB738_286:                            ;   in Loop: Header=BB738_104 Depth=2
	ds_read_b64 v[37:38], v104 offset:4608
	s_waitcnt lgkmcnt(0)
	v_lshrrev_b64 v[37:38], s97, v[37:38]
	v_and_b32_e32 v148, s99, v37
	s_or_b64 exec, exec, s[82:83]
	s_and_saveexec_b64 s[82:83], s[46:47]
	s_cbranch_execz .LBB738_221
.LBB738_287:                            ;   in Loop: Header=BB738_104 Depth=2
	ds_read_b64 v[37:38], v104 offset:6656
	s_waitcnt lgkmcnt(0)
	v_lshrrev_b64 v[37:38], s97, v[37:38]
	v_and_b32_e32 v147, s99, v37
	s_or_b64 exec, exec, s[82:83]
	s_and_saveexec_b64 s[82:83], s[48:49]
	s_cbranch_execz .LBB738_222
.LBB738_288:                            ;   in Loop: Header=BB738_104 Depth=2
	ds_read_b64 v[37:38], v104 offset:8704
	s_waitcnt lgkmcnt(0)
	v_lshrrev_b64 v[37:38], s97, v[37:38]
	v_and_b32_e32 v146, s99, v37
	s_or_b64 exec, exec, s[82:83]
	s_and_saveexec_b64 s[82:83], s[50:51]
	s_cbranch_execz .LBB738_223
.LBB738_289:                            ;   in Loop: Header=BB738_104 Depth=2
	ds_read_b64 v[37:38], v104 offset:10752
	s_waitcnt lgkmcnt(0)
	v_lshrrev_b64 v[37:38], s97, v[37:38]
	v_and_b32_e32 v145, s99, v37
	s_or_b64 exec, exec, s[82:83]
	s_and_saveexec_b64 s[82:83], s[52:53]
	s_cbranch_execz .LBB738_224
.LBB738_290:                            ;   in Loop: Header=BB738_104 Depth=2
	ds_read_b64 v[37:38], v104 offset:12800
	s_waitcnt lgkmcnt(0)
	v_lshrrev_b64 v[37:38], s97, v[37:38]
	v_and_b32_e32 v144, s99, v37
	s_or_b64 exec, exec, s[82:83]
	s_and_saveexec_b64 s[82:83], s[54:55]
	s_cbranch_execz .LBB738_225
.LBB738_291:                            ;   in Loop: Header=BB738_104 Depth=2
	ds_read_b64 v[37:38], v104 offset:14848
	s_waitcnt lgkmcnt(0)
	v_lshrrev_b64 v[37:38], s97, v[37:38]
	v_and_b32_e32 v143, s99, v37
	s_or_b64 exec, exec, s[82:83]
	s_and_saveexec_b64 s[82:83], s[56:57]
	s_cbranch_execz .LBB738_226
.LBB738_292:                            ;   in Loop: Header=BB738_104 Depth=2
	ds_read_b64 v[37:38], v104 offset:16896
	s_waitcnt lgkmcnt(0)
	v_lshrrev_b64 v[37:38], s97, v[37:38]
	v_and_b32_e32 v142, s99, v37
	s_or_b64 exec, exec, s[82:83]
	s_and_saveexec_b64 s[82:83], s[58:59]
	s_cbranch_execz .LBB738_227
.LBB738_293:                            ;   in Loop: Header=BB738_104 Depth=2
	ds_read_b64 v[37:38], v104 offset:18944
	s_waitcnt lgkmcnt(0)
	v_lshrrev_b64 v[37:38], s97, v[37:38]
	v_and_b32_e32 v141, s99, v37
	s_or_b64 exec, exec, s[82:83]
	s_and_saveexec_b64 s[82:83], s[60:61]
	s_cbranch_execz .LBB738_228
.LBB738_294:                            ;   in Loop: Header=BB738_104 Depth=2
	ds_read_b64 v[37:38], v104 offset:20992
	s_waitcnt lgkmcnt(0)
	v_lshrrev_b64 v[37:38], s97, v[37:38]
	v_and_b32_e32 v140, s99, v37
	s_or_b64 exec, exec, s[82:83]
	s_and_saveexec_b64 s[82:83], s[62:63]
	s_cbranch_execz .LBB738_229
.LBB738_295:                            ;   in Loop: Header=BB738_104 Depth=2
	ds_read_b64 v[37:38], v104 offset:23040
	s_waitcnt lgkmcnt(0)
	v_lshrrev_b64 v[37:38], s97, v[37:38]
	v_and_b32_e32 v139, s99, v37
	s_or_b64 exec, exec, s[82:83]
	s_and_saveexec_b64 s[82:83], s[64:65]
	s_cbranch_execz .LBB738_230
.LBB738_296:                            ;   in Loop: Header=BB738_104 Depth=2
	ds_read_b64 v[37:38], v104 offset:25088
	s_waitcnt lgkmcnt(0)
	v_lshrrev_b64 v[37:38], s97, v[37:38]
	v_and_b32_e32 v138, s99, v37
	s_or_b64 exec, exec, s[82:83]
	s_and_saveexec_b64 s[82:83], s[66:67]
	s_cbranch_execz .LBB738_231
.LBB738_297:                            ;   in Loop: Header=BB738_104 Depth=2
	ds_read_b64 v[37:38], v104 offset:27136
	s_waitcnt lgkmcnt(0)
	v_lshrrev_b64 v[37:38], s97, v[37:38]
	v_and_b32_e32 v137, s99, v37
	s_or_b64 exec, exec, s[82:83]
	s_and_saveexec_b64 s[82:83], s[68:69]
	s_cbranch_execz .LBB738_232
.LBB738_298:                            ;   in Loop: Header=BB738_104 Depth=2
	ds_read_b64 v[37:38], v104 offset:29184
	s_waitcnt lgkmcnt(0)
	v_lshrrev_b64 v[37:38], s97, v[37:38]
	v_and_b32_e32 v136, s99, v37
	s_or_b64 exec, exec, s[82:83]
	s_and_saveexec_b64 s[82:83], s[70:71]
	s_cbranch_execnz .LBB738_233
	s_branch .LBB738_234
.LBB738_299:                            ;   in Loop: Header=BB738_104 Depth=2
	v_lshlrev_b32_e32 v37, 2, v150
	ds_read_b32 v39, v37
	ds_read_b64 v[37:38], v104 offset:512
	v_mov_b32_e32 v40, v3
	v_mov_b32_e32 v41, s85
	s_waitcnt lgkmcnt(1)
	v_add_u32_e32 v39, v39, v0
	v_lshlrev_b64 v[39:40], 3, v[39:40]
	v_add_co_u32_e32 v39, vcc, s84, v39
	v_addc_co_u32_e32 v40, vcc, v41, v40, vcc
	s_waitcnt lgkmcnt(0)
	global_store_dwordx2 v[39:40], v[37:38], off
	s_or_b64 exec, exec, s[82:83]
	s_and_saveexec_b64 s[40:41], s[42:43]
	s_cbranch_execz .LBB738_236
.LBB738_300:                            ;   in Loop: Header=BB738_104 Depth=2
	v_lshlrev_b32_e32 v37, 2, v149
	ds_read_b32 v39, v37
	ds_read_b64 v[37:38], v104 offset:2560
	v_mov_b32_e32 v40, v3
	v_mov_b32_e32 v41, s85
	s_waitcnt lgkmcnt(1)
	v_add_u32_e32 v39, v39, v72
	v_lshlrev_b64 v[39:40], 3, v[39:40]
	v_add_co_u32_e32 v39, vcc, s84, v39
	v_addc_co_u32_e32 v40, vcc, v41, v40, vcc
	s_waitcnt lgkmcnt(0)
	global_store_dwordx2 v[39:40], v[37:38], off
	s_or_b64 exec, exec, s[40:41]
	s_and_saveexec_b64 s[40:41], s[44:45]
	s_cbranch_execz .LBB738_237
.LBB738_301:                            ;   in Loop: Header=BB738_104 Depth=2
	v_lshlrev_b32_e32 v37, 2, v148
	ds_read_b32 v39, v37
	ds_read_b64 v[37:38], v104 offset:4608
	v_mov_b32_e32 v40, v3
	v_mov_b32_e32 v41, s85
	s_waitcnt lgkmcnt(1)
	v_add_u32_e32 v39, v39, v75
	v_lshlrev_b64 v[39:40], 3, v[39:40]
	v_add_co_u32_e32 v39, vcc, s84, v39
	v_addc_co_u32_e32 v40, vcc, v41, v40, vcc
	s_waitcnt lgkmcnt(0)
	global_store_dwordx2 v[39:40], v[37:38], off
	s_or_b64 exec, exec, s[40:41]
	s_and_saveexec_b64 s[40:41], s[46:47]
	s_cbranch_execz .LBB738_238
.LBB738_302:                            ;   in Loop: Header=BB738_104 Depth=2
	v_lshlrev_b32_e32 v37, 2, v147
	ds_read_b32 v39, v37
	ds_read_b64 v[37:38], v104 offset:6656
	v_mov_b32_e32 v40, v3
	v_mov_b32_e32 v41, s85
	s_waitcnt lgkmcnt(1)
	v_add_u32_e32 v39, v39, v76
	v_lshlrev_b64 v[39:40], 3, v[39:40]
	v_add_co_u32_e32 v39, vcc, s84, v39
	v_addc_co_u32_e32 v40, vcc, v41, v40, vcc
	s_waitcnt lgkmcnt(0)
	global_store_dwordx2 v[39:40], v[37:38], off
	s_or_b64 exec, exec, s[40:41]
	s_and_saveexec_b64 s[40:41], s[48:49]
	s_cbranch_execz .LBB738_239
.LBB738_303:                            ;   in Loop: Header=BB738_104 Depth=2
	v_lshlrev_b32_e32 v37, 2, v146
	ds_read_b32 v39, v37
	ds_read_b64 v[37:38], v104 offset:8704
	v_mov_b32_e32 v40, v3
	v_mov_b32_e32 v41, s85
	s_waitcnt lgkmcnt(1)
	v_add_u32_e32 v39, v39, v77
	v_lshlrev_b64 v[39:40], 3, v[39:40]
	v_add_co_u32_e32 v39, vcc, s84, v39
	v_addc_co_u32_e32 v40, vcc, v41, v40, vcc
	s_waitcnt lgkmcnt(0)
	global_store_dwordx2 v[39:40], v[37:38], off
	s_or_b64 exec, exec, s[40:41]
	s_and_saveexec_b64 s[40:41], s[50:51]
	s_cbranch_execz .LBB738_240
.LBB738_304:                            ;   in Loop: Header=BB738_104 Depth=2
	v_lshlrev_b32_e32 v37, 2, v145
	ds_read_b32 v39, v37
	ds_read_b64 v[37:38], v104 offset:10752
	v_mov_b32_e32 v40, v3
	v_mov_b32_e32 v41, s85
	s_waitcnt lgkmcnt(1)
	v_add_u32_e32 v39, v39, v78
	v_lshlrev_b64 v[39:40], 3, v[39:40]
	v_add_co_u32_e32 v39, vcc, s84, v39
	v_addc_co_u32_e32 v40, vcc, v41, v40, vcc
	s_waitcnt lgkmcnt(0)
	global_store_dwordx2 v[39:40], v[37:38], off
	s_or_b64 exec, exec, s[40:41]
	s_and_saveexec_b64 s[40:41], s[52:53]
	s_cbranch_execz .LBB738_241
.LBB738_305:                            ;   in Loop: Header=BB738_104 Depth=2
	v_lshlrev_b32_e32 v37, 2, v144
	ds_read_b32 v39, v37
	ds_read_b64 v[37:38], v104 offset:12800
	v_mov_b32_e32 v40, v3
	v_mov_b32_e32 v41, s85
	s_waitcnt lgkmcnt(1)
	v_add_u32_e32 v39, v39, v79
	v_lshlrev_b64 v[39:40], 3, v[39:40]
	v_add_co_u32_e32 v39, vcc, s84, v39
	v_addc_co_u32_e32 v40, vcc, v41, v40, vcc
	s_waitcnt lgkmcnt(0)
	global_store_dwordx2 v[39:40], v[37:38], off
	s_or_b64 exec, exec, s[40:41]
	s_and_saveexec_b64 s[40:41], s[54:55]
	s_cbranch_execz .LBB738_242
.LBB738_306:                            ;   in Loop: Header=BB738_104 Depth=2
	v_lshlrev_b32_e32 v37, 2, v143
	ds_read_b32 v39, v37
	ds_read_b64 v[37:38], v104 offset:14848
	v_mov_b32_e32 v40, v3
	v_mov_b32_e32 v41, s85
	s_waitcnt lgkmcnt(1)
	v_add_u32_e32 v39, v39, v80
	v_lshlrev_b64 v[39:40], 3, v[39:40]
	v_add_co_u32_e32 v39, vcc, s84, v39
	v_addc_co_u32_e32 v40, vcc, v41, v40, vcc
	s_waitcnt lgkmcnt(0)
	global_store_dwordx2 v[39:40], v[37:38], off
	s_or_b64 exec, exec, s[40:41]
	s_and_saveexec_b64 s[40:41], s[56:57]
	s_cbranch_execz .LBB738_243
.LBB738_307:                            ;   in Loop: Header=BB738_104 Depth=2
	v_lshlrev_b32_e32 v37, 2, v142
	ds_read_b32 v39, v37
	ds_read_b64 v[37:38], v104 offset:16896
	v_mov_b32_e32 v40, v3
	v_mov_b32_e32 v41, s85
	s_waitcnt lgkmcnt(1)
	v_add_u32_e32 v39, v39, v81
	v_lshlrev_b64 v[39:40], 3, v[39:40]
	v_add_co_u32_e32 v39, vcc, s84, v39
	v_addc_co_u32_e32 v40, vcc, v41, v40, vcc
	s_waitcnt lgkmcnt(0)
	global_store_dwordx2 v[39:40], v[37:38], off
	s_or_b64 exec, exec, s[40:41]
	s_and_saveexec_b64 s[40:41], s[58:59]
	s_cbranch_execz .LBB738_244
.LBB738_308:                            ;   in Loop: Header=BB738_104 Depth=2
	v_lshlrev_b32_e32 v37, 2, v141
	ds_read_b32 v39, v37
	ds_read_b64 v[37:38], v104 offset:18944
	v_mov_b32_e32 v40, v3
	v_mov_b32_e32 v41, s85
	s_waitcnt lgkmcnt(1)
	v_add_u32_e32 v39, v39, v82
	v_lshlrev_b64 v[39:40], 3, v[39:40]
	v_add_co_u32_e32 v39, vcc, s84, v39
	v_addc_co_u32_e32 v40, vcc, v41, v40, vcc
	s_waitcnt lgkmcnt(0)
	global_store_dwordx2 v[39:40], v[37:38], off
	s_or_b64 exec, exec, s[40:41]
	s_and_saveexec_b64 s[40:41], s[60:61]
	s_cbranch_execz .LBB738_245
.LBB738_309:                            ;   in Loop: Header=BB738_104 Depth=2
	v_lshlrev_b32_e32 v37, 2, v140
	ds_read_b32 v39, v37
	ds_read_b64 v[37:38], v104 offset:20992
	v_mov_b32_e32 v40, v3
	v_mov_b32_e32 v41, s85
	s_waitcnt lgkmcnt(1)
	v_add_u32_e32 v39, v39, v83
	v_lshlrev_b64 v[39:40], 3, v[39:40]
	v_add_co_u32_e32 v39, vcc, s84, v39
	v_addc_co_u32_e32 v40, vcc, v41, v40, vcc
	s_waitcnt lgkmcnt(0)
	global_store_dwordx2 v[39:40], v[37:38], off
	s_or_b64 exec, exec, s[40:41]
	s_and_saveexec_b64 s[40:41], s[62:63]
	s_cbranch_execz .LBB738_246
.LBB738_310:                            ;   in Loop: Header=BB738_104 Depth=2
	v_lshlrev_b32_e32 v37, 2, v139
	ds_read_b32 v39, v37
	ds_read_b64 v[37:38], v104 offset:23040
	v_mov_b32_e32 v40, v3
	v_mov_b32_e32 v41, s85
	s_waitcnt lgkmcnt(1)
	v_add_u32_e32 v39, v39, v84
	v_lshlrev_b64 v[39:40], 3, v[39:40]
	v_add_co_u32_e32 v39, vcc, s84, v39
	v_addc_co_u32_e32 v40, vcc, v41, v40, vcc
	s_waitcnt lgkmcnt(0)
	global_store_dwordx2 v[39:40], v[37:38], off
	s_or_b64 exec, exec, s[40:41]
	s_and_saveexec_b64 s[40:41], s[64:65]
	s_cbranch_execz .LBB738_247
.LBB738_311:                            ;   in Loop: Header=BB738_104 Depth=2
	v_lshlrev_b32_e32 v37, 2, v138
	ds_read_b32 v39, v37
	ds_read_b64 v[37:38], v104 offset:25088
	v_mov_b32_e32 v40, v3
	v_mov_b32_e32 v41, s85
	s_waitcnt lgkmcnt(1)
	v_add_u32_e32 v39, v39, v85
	v_lshlrev_b64 v[39:40], 3, v[39:40]
	v_add_co_u32_e32 v39, vcc, s84, v39
	v_addc_co_u32_e32 v40, vcc, v41, v40, vcc
	s_waitcnt lgkmcnt(0)
	global_store_dwordx2 v[39:40], v[37:38], off
	s_or_b64 exec, exec, s[40:41]
	s_and_saveexec_b64 s[40:41], s[66:67]
	s_cbranch_execz .LBB738_248
.LBB738_312:                            ;   in Loop: Header=BB738_104 Depth=2
	v_lshlrev_b32_e32 v37, 2, v137
	ds_read_b32 v39, v37
	ds_read_b64 v[37:38], v104 offset:27136
	v_mov_b32_e32 v40, v3
	v_mov_b32_e32 v41, s85
	s_waitcnt lgkmcnt(1)
	v_add_u32_e32 v39, v39, v86
	v_lshlrev_b64 v[39:40], 3, v[39:40]
	v_add_co_u32_e32 v39, vcc, s84, v39
	v_addc_co_u32_e32 v40, vcc, v41, v40, vcc
	s_waitcnt lgkmcnt(0)
	global_store_dwordx2 v[39:40], v[37:38], off
	s_or_b64 exec, exec, s[40:41]
	s_and_saveexec_b64 s[40:41], s[68:69]
	s_cbranch_execz .LBB738_249
.LBB738_313:                            ;   in Loop: Header=BB738_104 Depth=2
	v_lshlrev_b32_e32 v37, 2, v136
	ds_read_b32 v39, v37
	ds_read_b64 v[37:38], v104 offset:29184
	v_mov_b32_e32 v40, v3
	v_mov_b32_e32 v41, s85
	s_waitcnt lgkmcnt(1)
	v_add_u32_e32 v39, v39, v87
	v_lshlrev_b64 v[39:40], 3, v[39:40]
	v_add_co_u32_e32 v39, vcc, s84, v39
	v_addc_co_u32_e32 v40, vcc, v41, v40, vcc
	s_waitcnt lgkmcnt(0)
	global_store_dwordx2 v[39:40], v[37:38], off
	s_or_b64 exec, exec, s[40:41]
	s_and_saveexec_b64 s[40:41], s[70:71]
	s_cbranch_execnz .LBB738_250
	s_branch .LBB738_251
.LBB738_314:                            ;   in Loop: Header=BB738_20 Depth=1
	s_waitcnt lgkmcnt(0)
	s_barrier
	s_mov_b64 s[20:21], 0
.LBB738_315:                            ;   in Loop: Header=BB738_20 Depth=1
	s_and_b64 vcc, exec, s[20:21]
	s_cbranch_vccz .LBB738_609
; %bb.316:                              ;   in Loop: Header=BB738_20 Depth=1
	s_mov_b32 s6, s33
	s_mov_b32 s92, s73
	s_barrier
                                        ; implicit-def: $vgpr5_vgpr6
                                        ; implicit-def: $vgpr7_vgpr8
                                        ; implicit-def: $vgpr9_vgpr10
                                        ; implicit-def: $vgpr11_vgpr12
                                        ; implicit-def: $vgpr13_vgpr14
                                        ; implicit-def: $vgpr15_vgpr16
                                        ; implicit-def: $vgpr17_vgpr18
                                        ; implicit-def: $vgpr19_vgpr20
                                        ; implicit-def: $vgpr21_vgpr22
                                        ; implicit-def: $vgpr23_vgpr24
                                        ; implicit-def: $vgpr25_vgpr26
                                        ; implicit-def: $vgpr27_vgpr28
                                        ; implicit-def: $vgpr29_vgpr30
                                        ; implicit-def: $vgpr31_vgpr32
                                        ; implicit-def: $vgpr33_vgpr34
                                        ; implicit-def: $vgpr35_vgpr36
	s_branch .LBB738_318
.LBB738_317:                            ;   in Loop: Header=BB738_318 Depth=2
	s_or_b64 exec, exec, s[20:21]
	s_addk_i32 s6, 0xf000
	s_cmp_ge_u32 s7, s96
	s_mov_b32 s92, s7
	s_cbranch_scc1 .LBB738_386
.LBB738_318:                            ;   Parent Loop BB738_20 Depth=1
                                        ; =>  This Inner Loop Header: Depth=2
	s_add_i32 s7, s92, 0x1000
	s_cmp_gt_u32 s7, s96
	s_mov_b64 s[20:21], -1
                                        ; implicit-def: $vgpr37_vgpr38
                                        ; implicit-def: $vgpr39_vgpr40
                                        ; implicit-def: $vgpr41_vgpr42
                                        ; implicit-def: $vgpr43_vgpr44
                                        ; implicit-def: $vgpr45_vgpr46
                                        ; implicit-def: $vgpr47_vgpr48
                                        ; implicit-def: $vgpr49_vgpr50
                                        ; implicit-def: $vgpr51_vgpr52
                                        ; implicit-def: $vgpr53_vgpr54
                                        ; implicit-def: $vgpr55_vgpr56
                                        ; implicit-def: $vgpr57_vgpr58
                                        ; implicit-def: $vgpr59_vgpr60
                                        ; implicit-def: $vgpr61_vgpr62
                                        ; implicit-def: $vgpr63_vgpr64
                                        ; implicit-def: $vgpr65_vgpr66
                                        ; implicit-def: $vgpr67_vgpr68
	s_cbranch_scc1 .LBB738_320
; %bb.319:                              ;   in Loop: Header=BB738_318 Depth=2
	s_lshl_b64 s[20:21], s[92:93], 3
	v_mov_b32_e32 v37, s21
	v_add_co_u32_e32 v61, vcc, s20, v105
	v_addc_co_u32_e32 v62, vcc, v106, v37, vcc
	v_add_co_u32_e32 v45, vcc, 0x1000, v61
	v_addc_co_u32_e32 v46, vcc, 0, v62, vcc
	;; [unrolled: 2-line block ×6, first 2 shown]
	global_load_dwordx2 v[37:38], v[61:62], off
	global_load_dwordx2 v[39:40], v[61:62], off offset:2048
	global_load_dwordx2 v[41:42], v[45:46], off
	global_load_dwordx2 v[43:44], v[45:46], off offset:2048
	s_nop 0
	global_load_dwordx2 v[45:46], v[53:54], off
	global_load_dwordx2 v[47:48], v[53:54], off offset:2048
	global_load_dwordx2 v[49:50], v[55:56], off
	global_load_dwordx2 v[51:52], v[55:56], off offset:2048
	s_nop 0
	global_load_dwordx2 v[53:54], v[59:60], off
	global_load_dwordx2 v[55:56], v[59:60], off offset:2048
	global_load_dwordx2 v[57:58], v[63:64], off
                                        ; kill: killed $vgpr59 killed $vgpr60
	s_nop 0
	global_load_dwordx2 v[59:60], v[63:64], off offset:2048
	v_add_co_u32_e32 v63, vcc, 0x6000, v61
	v_addc_co_u32_e32 v64, vcc, 0, v62, vcc
	v_add_co_u32_e32 v67, vcc, 0x7000, v61
	v_addc_co_u32_e32 v68, vcc, 0, v62, vcc
	global_load_dwordx2 v[61:62], v[63:64], off
	s_nop 0
	global_load_dwordx2 v[63:64], v[63:64], off offset:2048
	s_nop 0
	global_load_dwordx2 v[65:66], v[67:68], off
	s_nop 0
	global_load_dwordx2 v[67:68], v[67:68], off offset:2048
	s_mov_b64 s[20:21], 0
.LBB738_320:                            ;   in Loop: Header=BB738_318 Depth=2
	s_andn2_b64 vcc, exec, s[20:21]
	s_movk_i32 s22, 0x1000
	s_cbranch_vccnz .LBB738_339
; %bb.321:                              ;   in Loop: Header=BB738_318 Depth=2
	s_lshl_b64 s[20:21], s[92:93], 3
	s_add_u32 s20, s78, s20
	s_addc_u32 s21, s79, s21
	v_cmp_gt_u32_e32 vcc, s6, v0
	s_and_saveexec_b64 s[22:23], vcc
	s_cbranch_execnz .LBB738_371
; %bb.322:                              ;   in Loop: Header=BB738_318 Depth=2
	s_or_b64 exec, exec, s[22:23]
	v_cmp_gt_u32_e32 vcc, s6, v72
	s_and_saveexec_b64 s[22:23], vcc
	s_cbranch_execnz .LBB738_372
.LBB738_323:                            ;   in Loop: Header=BB738_318 Depth=2
	s_or_b64 exec, exec, s[22:23]
	v_cmp_gt_u32_e32 vcc, s6, v75
	s_and_saveexec_b64 s[22:23], vcc
	s_cbranch_execnz .LBB738_373
.LBB738_324:                            ;   in Loop: Header=BB738_318 Depth=2
	s_or_b64 exec, exec, s[22:23]
	v_cmp_gt_u32_e32 vcc, s6, v76
	s_and_saveexec_b64 s[22:23], vcc
	s_cbranch_execnz .LBB738_374
.LBB738_325:                            ;   in Loop: Header=BB738_318 Depth=2
	s_or_b64 exec, exec, s[22:23]
	v_cmp_gt_u32_e32 vcc, s6, v77
	s_and_saveexec_b64 s[22:23], vcc
	s_cbranch_execnz .LBB738_375
.LBB738_326:                            ;   in Loop: Header=BB738_318 Depth=2
	s_or_b64 exec, exec, s[22:23]
	v_cmp_gt_u32_e32 vcc, s6, v78
	s_and_saveexec_b64 s[22:23], vcc
	s_cbranch_execnz .LBB738_376
.LBB738_327:                            ;   in Loop: Header=BB738_318 Depth=2
	s_or_b64 exec, exec, s[22:23]
	v_cmp_gt_u32_e32 vcc, s6, v79
	s_and_saveexec_b64 s[22:23], vcc
	s_cbranch_execnz .LBB738_377
.LBB738_328:                            ;   in Loop: Header=BB738_318 Depth=2
	s_or_b64 exec, exec, s[22:23]
	v_cmp_gt_u32_e32 vcc, s6, v80
	s_and_saveexec_b64 s[22:23], vcc
	s_cbranch_execnz .LBB738_378
.LBB738_329:                            ;   in Loop: Header=BB738_318 Depth=2
	s_or_b64 exec, exec, s[22:23]
	v_cmp_gt_u32_e32 vcc, s6, v81
	s_and_saveexec_b64 s[22:23], vcc
	s_cbranch_execnz .LBB738_379
.LBB738_330:                            ;   in Loop: Header=BB738_318 Depth=2
	s_or_b64 exec, exec, s[22:23]
	v_cmp_gt_u32_e32 vcc, s6, v82
	s_and_saveexec_b64 s[22:23], vcc
	s_cbranch_execnz .LBB738_380
.LBB738_331:                            ;   in Loop: Header=BB738_318 Depth=2
	s_or_b64 exec, exec, s[22:23]
	v_cmp_gt_u32_e32 vcc, s6, v83
	s_and_saveexec_b64 s[22:23], vcc
	s_cbranch_execnz .LBB738_381
.LBB738_332:                            ;   in Loop: Header=BB738_318 Depth=2
	s_or_b64 exec, exec, s[22:23]
	v_cmp_gt_u32_e32 vcc, s6, v84
	s_and_saveexec_b64 s[22:23], vcc
	s_cbranch_execnz .LBB738_382
.LBB738_333:                            ;   in Loop: Header=BB738_318 Depth=2
	s_or_b64 exec, exec, s[22:23]
	v_cmp_gt_u32_e32 vcc, s6, v85
	s_and_saveexec_b64 s[22:23], vcc
	s_cbranch_execnz .LBB738_383
.LBB738_334:                            ;   in Loop: Header=BB738_318 Depth=2
	s_or_b64 exec, exec, s[22:23]
	v_cmp_gt_u32_e32 vcc, s6, v86
	s_and_saveexec_b64 s[22:23], vcc
	s_cbranch_execnz .LBB738_384
.LBB738_335:                            ;   in Loop: Header=BB738_318 Depth=2
	s_or_b64 exec, exec, s[22:23]
	v_cmp_gt_u32_e32 vcc, s6, v87
	s_and_saveexec_b64 s[22:23], vcc
	s_cbranch_execnz .LBB738_385
.LBB738_336:                            ;   in Loop: Header=BB738_318 Depth=2
	s_or_b64 exec, exec, s[22:23]
	v_cmp_gt_u32_e32 vcc, s6, v88
	s_and_saveexec_b64 s[22:23], vcc
	s_cbranch_execz .LBB738_338
.LBB738_337:                            ;   in Loop: Header=BB738_318 Depth=2
	global_load_dwordx2 v[5:6], v132, s[20:21]
.LBB738_338:                            ;   in Loop: Header=BB738_318 Depth=2
	s_or_b64 exec, exec, s[22:23]
	s_waitcnt vmcnt(0)
	v_mov_b32_e32 v38, v36
	v_mov_b32_e32 v40, v34
	;; [unrolled: 1-line block ×16, first 2 shown]
	s_mov_b32 s22, s6
	v_mov_b32_e32 v37, v35
	v_mov_b32_e32 v39, v33
	;; [unrolled: 1-line block ×16, first 2 shown]
.LBB738_339:                            ;   in Loop: Header=BB738_318 Depth=2
	s_waitcnt vmcnt(0)
	v_mov_b32_e32 v5, v67
	v_mov_b32_e32 v7, v65
	;; [unrolled: 1-line block ×32, first 2 shown]
	v_cmp_gt_u32_e32 vcc, s22, v0
	s_and_saveexec_b64 s[20:21], vcc
	s_cbranch_execnz .LBB738_355
; %bb.340:                              ;   in Loop: Header=BB738_318 Depth=2
	s_or_b64 exec, exec, s[20:21]
	v_cmp_gt_u32_e32 vcc, s22, v72
	s_and_saveexec_b64 s[20:21], vcc
	s_cbranch_execnz .LBB738_356
.LBB738_341:                            ;   in Loop: Header=BB738_318 Depth=2
	s_or_b64 exec, exec, s[20:21]
	v_cmp_gt_u32_e32 vcc, s22, v75
	s_and_saveexec_b64 s[20:21], vcc
	s_cbranch_execnz .LBB738_357
.LBB738_342:                            ;   in Loop: Header=BB738_318 Depth=2
	s_or_b64 exec, exec, s[20:21]
	v_cmp_gt_u32_e32 vcc, s22, v76
	s_and_saveexec_b64 s[20:21], vcc
	s_cbranch_execnz .LBB738_358
.LBB738_343:                            ;   in Loop: Header=BB738_318 Depth=2
	s_or_b64 exec, exec, s[20:21]
	v_cmp_gt_u32_e32 vcc, s22, v77
	s_and_saveexec_b64 s[20:21], vcc
	s_cbranch_execnz .LBB738_359
.LBB738_344:                            ;   in Loop: Header=BB738_318 Depth=2
	s_or_b64 exec, exec, s[20:21]
	v_cmp_gt_u32_e32 vcc, s22, v78
	s_and_saveexec_b64 s[20:21], vcc
	s_cbranch_execnz .LBB738_360
.LBB738_345:                            ;   in Loop: Header=BB738_318 Depth=2
	s_or_b64 exec, exec, s[20:21]
	v_cmp_gt_u32_e32 vcc, s22, v79
	s_and_saveexec_b64 s[20:21], vcc
	s_cbranch_execnz .LBB738_361
.LBB738_346:                            ;   in Loop: Header=BB738_318 Depth=2
	s_or_b64 exec, exec, s[20:21]
	v_cmp_gt_u32_e32 vcc, s22, v80
	s_and_saveexec_b64 s[20:21], vcc
	s_cbranch_execnz .LBB738_362
.LBB738_347:                            ;   in Loop: Header=BB738_318 Depth=2
	s_or_b64 exec, exec, s[20:21]
	v_cmp_gt_u32_e32 vcc, s22, v81
	s_and_saveexec_b64 s[20:21], vcc
	s_cbranch_execnz .LBB738_363
.LBB738_348:                            ;   in Loop: Header=BB738_318 Depth=2
	s_or_b64 exec, exec, s[20:21]
	v_cmp_gt_u32_e32 vcc, s22, v82
	s_and_saveexec_b64 s[20:21], vcc
	s_cbranch_execnz .LBB738_364
.LBB738_349:                            ;   in Loop: Header=BB738_318 Depth=2
	s_or_b64 exec, exec, s[20:21]
	v_cmp_gt_u32_e32 vcc, s22, v83
	s_and_saveexec_b64 s[20:21], vcc
	s_cbranch_execnz .LBB738_365
.LBB738_350:                            ;   in Loop: Header=BB738_318 Depth=2
	s_or_b64 exec, exec, s[20:21]
	v_cmp_gt_u32_e32 vcc, s22, v84
	s_and_saveexec_b64 s[20:21], vcc
	s_cbranch_execnz .LBB738_366
.LBB738_351:                            ;   in Loop: Header=BB738_318 Depth=2
	s_or_b64 exec, exec, s[20:21]
	v_cmp_gt_u32_e32 vcc, s22, v85
	s_and_saveexec_b64 s[20:21], vcc
	s_cbranch_execnz .LBB738_367
.LBB738_352:                            ;   in Loop: Header=BB738_318 Depth=2
	s_or_b64 exec, exec, s[20:21]
	v_cmp_gt_u32_e32 vcc, s22, v86
	s_and_saveexec_b64 s[20:21], vcc
	s_cbranch_execnz .LBB738_368
.LBB738_353:                            ;   in Loop: Header=BB738_318 Depth=2
	s_or_b64 exec, exec, s[20:21]
	v_cmp_gt_u32_e32 vcc, s22, v87
	s_and_saveexec_b64 s[20:21], vcc
	s_cbranch_execnz .LBB738_369
.LBB738_354:                            ;   in Loop: Header=BB738_318 Depth=2
	s_or_b64 exec, exec, s[20:21]
	v_cmp_gt_u32_e32 vcc, s22, v88
	s_and_saveexec_b64 s[20:21], vcc
	s_cbranch_execz .LBB738_317
	s_branch .LBB738_370
.LBB738_355:                            ;   in Loop: Header=BB738_318 Depth=2
	v_xor_b32_e32 v38, 0x7fffffff, v36
	v_not_b32_e32 v37, v35
	v_lshrrev_b64 v[37:38], s97, v[37:38]
	v_and_b32_e32 v37, s99, v37
	v_lshl_or_b32 v37, v37, 4, v89
	ds_add_u32 v37, v117
	s_or_b64 exec, exec, s[20:21]
	v_cmp_gt_u32_e32 vcc, s22, v72
	s_and_saveexec_b64 s[20:21], vcc
	s_cbranch_execz .LBB738_341
.LBB738_356:                            ;   in Loop: Header=BB738_318 Depth=2
	v_xor_b32_e32 v38, 0x7fffffff, v34
	v_not_b32_e32 v37, v33
	v_lshrrev_b64 v[37:38], s97, v[37:38]
	v_and_b32_e32 v37, s99, v37
	v_lshl_or_b32 v37, v37, 4, v89
	ds_add_u32 v37, v117
	s_or_b64 exec, exec, s[20:21]
	v_cmp_gt_u32_e32 vcc, s22, v75
	s_and_saveexec_b64 s[20:21], vcc
	s_cbranch_execz .LBB738_342
.LBB738_357:                            ;   in Loop: Header=BB738_318 Depth=2
	v_xor_b32_e32 v38, 0x7fffffff, v32
	v_not_b32_e32 v37, v31
	v_lshrrev_b64 v[37:38], s97, v[37:38]
	v_and_b32_e32 v37, s99, v37
	v_lshl_or_b32 v37, v37, 4, v89
	ds_add_u32 v37, v117
	s_or_b64 exec, exec, s[20:21]
	v_cmp_gt_u32_e32 vcc, s22, v76
	s_and_saveexec_b64 s[20:21], vcc
	s_cbranch_execz .LBB738_343
.LBB738_358:                            ;   in Loop: Header=BB738_318 Depth=2
	v_xor_b32_e32 v38, 0x7fffffff, v30
	v_not_b32_e32 v37, v29
	v_lshrrev_b64 v[37:38], s97, v[37:38]
	v_and_b32_e32 v37, s99, v37
	v_lshl_or_b32 v37, v37, 4, v89
	ds_add_u32 v37, v117
	s_or_b64 exec, exec, s[20:21]
	v_cmp_gt_u32_e32 vcc, s22, v77
	s_and_saveexec_b64 s[20:21], vcc
	s_cbranch_execz .LBB738_344
.LBB738_359:                            ;   in Loop: Header=BB738_318 Depth=2
	v_xor_b32_e32 v38, 0x7fffffff, v28
	v_not_b32_e32 v37, v27
	v_lshrrev_b64 v[37:38], s97, v[37:38]
	v_and_b32_e32 v37, s99, v37
	v_lshl_or_b32 v37, v37, 4, v89
	ds_add_u32 v37, v117
	s_or_b64 exec, exec, s[20:21]
	v_cmp_gt_u32_e32 vcc, s22, v78
	s_and_saveexec_b64 s[20:21], vcc
	s_cbranch_execz .LBB738_345
.LBB738_360:                            ;   in Loop: Header=BB738_318 Depth=2
	v_xor_b32_e32 v38, 0x7fffffff, v26
	v_not_b32_e32 v37, v25
	v_lshrrev_b64 v[37:38], s97, v[37:38]
	v_and_b32_e32 v37, s99, v37
	v_lshl_or_b32 v37, v37, 4, v89
	ds_add_u32 v37, v117
	s_or_b64 exec, exec, s[20:21]
	v_cmp_gt_u32_e32 vcc, s22, v79
	s_and_saveexec_b64 s[20:21], vcc
	s_cbranch_execz .LBB738_346
.LBB738_361:                            ;   in Loop: Header=BB738_318 Depth=2
	v_xor_b32_e32 v38, 0x7fffffff, v24
	v_not_b32_e32 v37, v23
	v_lshrrev_b64 v[37:38], s97, v[37:38]
	v_and_b32_e32 v37, s99, v37
	v_lshl_or_b32 v37, v37, 4, v89
	ds_add_u32 v37, v117
	s_or_b64 exec, exec, s[20:21]
	v_cmp_gt_u32_e32 vcc, s22, v80
	s_and_saveexec_b64 s[20:21], vcc
	s_cbranch_execz .LBB738_347
.LBB738_362:                            ;   in Loop: Header=BB738_318 Depth=2
	v_xor_b32_e32 v38, 0x7fffffff, v22
	v_not_b32_e32 v37, v21
	v_lshrrev_b64 v[37:38], s97, v[37:38]
	v_and_b32_e32 v37, s99, v37
	v_lshl_or_b32 v37, v37, 4, v89
	ds_add_u32 v37, v117
	s_or_b64 exec, exec, s[20:21]
	v_cmp_gt_u32_e32 vcc, s22, v81
	s_and_saveexec_b64 s[20:21], vcc
	s_cbranch_execz .LBB738_348
.LBB738_363:                            ;   in Loop: Header=BB738_318 Depth=2
	v_xor_b32_e32 v38, 0x7fffffff, v20
	v_not_b32_e32 v37, v19
	v_lshrrev_b64 v[37:38], s97, v[37:38]
	v_and_b32_e32 v37, s99, v37
	v_lshl_or_b32 v37, v37, 4, v89
	ds_add_u32 v37, v117
	s_or_b64 exec, exec, s[20:21]
	v_cmp_gt_u32_e32 vcc, s22, v82
	s_and_saveexec_b64 s[20:21], vcc
	s_cbranch_execz .LBB738_349
.LBB738_364:                            ;   in Loop: Header=BB738_318 Depth=2
	v_xor_b32_e32 v38, 0x7fffffff, v18
	v_not_b32_e32 v37, v17
	v_lshrrev_b64 v[37:38], s97, v[37:38]
	v_and_b32_e32 v37, s99, v37
	v_lshl_or_b32 v37, v37, 4, v89
	ds_add_u32 v37, v117
	s_or_b64 exec, exec, s[20:21]
	v_cmp_gt_u32_e32 vcc, s22, v83
	s_and_saveexec_b64 s[20:21], vcc
	s_cbranch_execz .LBB738_350
.LBB738_365:                            ;   in Loop: Header=BB738_318 Depth=2
	v_xor_b32_e32 v38, 0x7fffffff, v16
	v_not_b32_e32 v37, v15
	v_lshrrev_b64 v[37:38], s97, v[37:38]
	v_and_b32_e32 v37, s99, v37
	v_lshl_or_b32 v37, v37, 4, v89
	ds_add_u32 v37, v117
	s_or_b64 exec, exec, s[20:21]
	v_cmp_gt_u32_e32 vcc, s22, v84
	s_and_saveexec_b64 s[20:21], vcc
	s_cbranch_execz .LBB738_351
.LBB738_366:                            ;   in Loop: Header=BB738_318 Depth=2
	v_xor_b32_e32 v38, 0x7fffffff, v14
	v_not_b32_e32 v37, v13
	v_lshrrev_b64 v[37:38], s97, v[37:38]
	v_and_b32_e32 v37, s99, v37
	v_lshl_or_b32 v37, v37, 4, v89
	ds_add_u32 v37, v117
	s_or_b64 exec, exec, s[20:21]
	v_cmp_gt_u32_e32 vcc, s22, v85
	s_and_saveexec_b64 s[20:21], vcc
	s_cbranch_execz .LBB738_352
.LBB738_367:                            ;   in Loop: Header=BB738_318 Depth=2
	v_xor_b32_e32 v38, 0x7fffffff, v12
	v_not_b32_e32 v37, v11
	v_lshrrev_b64 v[37:38], s97, v[37:38]
	v_and_b32_e32 v37, s99, v37
	v_lshl_or_b32 v37, v37, 4, v89
	ds_add_u32 v37, v117
	s_or_b64 exec, exec, s[20:21]
	v_cmp_gt_u32_e32 vcc, s22, v86
	s_and_saveexec_b64 s[20:21], vcc
	s_cbranch_execz .LBB738_353
.LBB738_368:                            ;   in Loop: Header=BB738_318 Depth=2
	v_xor_b32_e32 v38, 0x7fffffff, v10
	v_not_b32_e32 v37, v9
	v_lshrrev_b64 v[37:38], s97, v[37:38]
	v_and_b32_e32 v37, s99, v37
	v_lshl_or_b32 v37, v37, 4, v89
	ds_add_u32 v37, v117
	s_or_b64 exec, exec, s[20:21]
	v_cmp_gt_u32_e32 vcc, s22, v87
	s_and_saveexec_b64 s[20:21], vcc
	s_cbranch_execz .LBB738_354
.LBB738_369:                            ;   in Loop: Header=BB738_318 Depth=2
	v_xor_b32_e32 v38, 0x7fffffff, v8
	v_not_b32_e32 v37, v7
	v_lshrrev_b64 v[37:38], s97, v[37:38]
	v_and_b32_e32 v37, s99, v37
	v_lshl_or_b32 v37, v37, 4, v89
	ds_add_u32 v37, v117
	s_or_b64 exec, exec, s[20:21]
	v_cmp_gt_u32_e32 vcc, s22, v88
	s_and_saveexec_b64 s[20:21], vcc
	s_cbranch_execz .LBB738_317
.LBB738_370:                            ;   in Loop: Header=BB738_318 Depth=2
	v_xor_b32_e32 v38, 0x7fffffff, v6
	v_not_b32_e32 v37, v5
	v_lshrrev_b64 v[37:38], s97, v[37:38]
	v_and_b32_e32 v37, s99, v37
	v_lshl_or_b32 v37, v37, 4, v89
	ds_add_u32 v37, v117
	s_branch .LBB738_317
.LBB738_371:                            ;   in Loop: Header=BB738_318 Depth=2
	global_load_dwordx2 v[35:36], v118, s[20:21]
	s_or_b64 exec, exec, s[22:23]
	v_cmp_gt_u32_e32 vcc, s6, v72
	s_and_saveexec_b64 s[22:23], vcc
	s_cbranch_execz .LBB738_323
.LBB738_372:                            ;   in Loop: Header=BB738_318 Depth=2
	global_load_dwordx2 v[33:34], v118, s[20:21] offset:2048
	s_or_b64 exec, exec, s[22:23]
	v_cmp_gt_u32_e32 vcc, s6, v75
	s_and_saveexec_b64 s[22:23], vcc
	s_cbranch_execz .LBB738_324
.LBB738_373:                            ;   in Loop: Header=BB738_318 Depth=2
	global_load_dwordx2 v[31:32], v119, s[20:21]
	s_or_b64 exec, exec, s[22:23]
	v_cmp_gt_u32_e32 vcc, s6, v76
	s_and_saveexec_b64 s[22:23], vcc
	s_cbranch_execz .LBB738_325
.LBB738_374:                            ;   in Loop: Header=BB738_318 Depth=2
	global_load_dwordx2 v[29:30], v120, s[20:21]
	s_or_b64 exec, exec, s[22:23]
	v_cmp_gt_u32_e32 vcc, s6, v77
	s_and_saveexec_b64 s[22:23], vcc
	s_cbranch_execz .LBB738_326
.LBB738_375:                            ;   in Loop: Header=BB738_318 Depth=2
	global_load_dwordx2 v[27:28], v121, s[20:21]
	s_or_b64 exec, exec, s[22:23]
	v_cmp_gt_u32_e32 vcc, s6, v78
	s_and_saveexec_b64 s[22:23], vcc
	s_cbranch_execz .LBB738_327
.LBB738_376:                            ;   in Loop: Header=BB738_318 Depth=2
	global_load_dwordx2 v[25:26], v122, s[20:21]
	s_or_b64 exec, exec, s[22:23]
	v_cmp_gt_u32_e32 vcc, s6, v79
	s_and_saveexec_b64 s[22:23], vcc
	s_cbranch_execz .LBB738_328
.LBB738_377:                            ;   in Loop: Header=BB738_318 Depth=2
	global_load_dwordx2 v[23:24], v123, s[20:21]
	s_or_b64 exec, exec, s[22:23]
	v_cmp_gt_u32_e32 vcc, s6, v80
	s_and_saveexec_b64 s[22:23], vcc
	s_cbranch_execz .LBB738_329
.LBB738_378:                            ;   in Loop: Header=BB738_318 Depth=2
	global_load_dwordx2 v[21:22], v124, s[20:21]
	s_or_b64 exec, exec, s[22:23]
	v_cmp_gt_u32_e32 vcc, s6, v81
	s_and_saveexec_b64 s[22:23], vcc
	s_cbranch_execz .LBB738_330
.LBB738_379:                            ;   in Loop: Header=BB738_318 Depth=2
	global_load_dwordx2 v[19:20], v125, s[20:21]
	s_or_b64 exec, exec, s[22:23]
	v_cmp_gt_u32_e32 vcc, s6, v82
	s_and_saveexec_b64 s[22:23], vcc
	s_cbranch_execz .LBB738_331
.LBB738_380:                            ;   in Loop: Header=BB738_318 Depth=2
	global_load_dwordx2 v[17:18], v126, s[20:21]
	s_or_b64 exec, exec, s[22:23]
	v_cmp_gt_u32_e32 vcc, s6, v83
	s_and_saveexec_b64 s[22:23], vcc
	s_cbranch_execz .LBB738_332
.LBB738_381:                            ;   in Loop: Header=BB738_318 Depth=2
	global_load_dwordx2 v[15:16], v127, s[20:21]
	s_or_b64 exec, exec, s[22:23]
	v_cmp_gt_u32_e32 vcc, s6, v84
	s_and_saveexec_b64 s[22:23], vcc
	s_cbranch_execz .LBB738_333
.LBB738_382:                            ;   in Loop: Header=BB738_318 Depth=2
	global_load_dwordx2 v[13:14], v128, s[20:21]
	s_or_b64 exec, exec, s[22:23]
	v_cmp_gt_u32_e32 vcc, s6, v85
	s_and_saveexec_b64 s[22:23], vcc
	s_cbranch_execz .LBB738_334
.LBB738_383:                            ;   in Loop: Header=BB738_318 Depth=2
	global_load_dwordx2 v[11:12], v129, s[20:21]
	s_or_b64 exec, exec, s[22:23]
	v_cmp_gt_u32_e32 vcc, s6, v86
	s_and_saveexec_b64 s[22:23], vcc
	s_cbranch_execz .LBB738_335
.LBB738_384:                            ;   in Loop: Header=BB738_318 Depth=2
	global_load_dwordx2 v[9:10], v130, s[20:21]
	s_or_b64 exec, exec, s[22:23]
	v_cmp_gt_u32_e32 vcc, s6, v87
	s_and_saveexec_b64 s[22:23], vcc
	s_cbranch_execz .LBB738_336
.LBB738_385:                            ;   in Loop: Header=BB738_318 Depth=2
	global_load_dwordx2 v[7:8], v131, s[20:21]
	s_or_b64 exec, exec, s[22:23]
	v_cmp_gt_u32_e32 vcc, s6, v88
	s_and_saveexec_b64 s[22:23], vcc
	s_cbranch_execnz .LBB738_337
	s_branch .LBB738_338
.LBB738_386:                            ;   in Loop: Header=BB738_20 Depth=1
	v_mov_b32_e32 v5, 0
	s_waitcnt lgkmcnt(0)
	s_barrier
	s_and_saveexec_b64 s[20:21], s[4:5]
	s_cbranch_execz .LBB738_388
; %bb.387:                              ;   in Loop: Header=BB738_20 Depth=1
	ds_read2_b64 v[5:8], v91 offset1:1
	s_waitcnt lgkmcnt(0)
	v_add_u32_e32 v5, v6, v5
	v_add3_u32 v5, v5, v7, v8
.LBB738_388:                            ;   in Loop: Header=BB738_20 Depth=1
	s_or_b64 exec, exec, s[20:21]
	v_and_b32_e32 v6, 15, v133
	v_mov_b32_dpp v7, v5 row_shr:1 row_mask:0xf bank_mask:0xf
	v_cmp_eq_u32_e64 s[20:21], 0, v6
	v_cndmask_b32_e64 v7, v7, 0, s[20:21]
	v_add_u32_e32 v5, v7, v5
	v_cmp_lt_u32_e64 s[22:23], 1, v6
	v_cmp_lt_u32_e64 s[24:25], 3, v6
	v_mov_b32_dpp v7, v5 row_shr:2 row_mask:0xf bank_mask:0xf
	v_cndmask_b32_e64 v7, 0, v7, s[22:23]
	v_add_u32_e32 v5, v5, v7
	v_cmp_lt_u32_e64 s[26:27], 7, v6
	v_cmp_lt_u32_e64 s[30:31], 31, v133
	v_mov_b32_dpp v7, v5 row_shr:4 row_mask:0xf bank_mask:0xf
	v_cndmask_b32_e64 v7, 0, v7, s[24:25]
	v_add_u32_e32 v5, v5, v7
	v_and_b32_e32 v8, 16, v133
	v_cmp_eq_u32_e64 s[28:29], 0, v8
	v_mov_b32_dpp v7, v5 row_shr:8 row_mask:0xf bank_mask:0xf
	v_cndmask_b32_e64 v6, 0, v7, s[26:27]
	v_add_u32_e32 v5, v5, v6
	v_bfe_i32 v7, v133, 4, 1
	s_nop 0
	v_mov_b32_dpp v6, v5 row_bcast:15 row_mask:0xf bank_mask:0xf
	v_and_b32_e32 v6, v7, v6
	v_add_u32_e32 v5, v5, v6
	s_nop 1
	v_mov_b32_dpp v6, v5 row_bcast:31 row_mask:0xf bank_mask:0xf
	v_cndmask_b32_e64 v6, 0, v6, s[30:31]
	v_add_u32_e32 v5, v5, v6
	s_mov_b64 s[34:35], exec
	v_readlane_b32 s6, v232, 1
	v_readlane_b32 s7, v232, 2
	s_and_b64 s[6:7], s[34:35], s[6:7]
	s_mov_b64 exec, s[6:7]
; %bb.389:                              ;   in Loop: Header=BB738_20 Depth=1
	ds_write_b32 v93, v5
; %bb.390:                              ;   in Loop: Header=BB738_20 Depth=1
	s_or_b64 exec, exec, s[34:35]
	s_waitcnt lgkmcnt(0)
	s_barrier
	s_and_saveexec_b64 s[34:35], s[8:9]
	s_cbranch_execz .LBB738_392
; %bb.391:                              ;   in Loop: Header=BB738_20 Depth=1
	ds_read_b32 v6, v94
	v_bfe_i32 v7, v133, 0, 1
	s_waitcnt lgkmcnt(0)
	v_mov_b32_dpp v8, v6 row_shr:1 row_mask:0xf bank_mask:0xf
	v_and_b32_e32 v7, v7, v8
	v_add_u32_e32 v6, v7, v6
	ds_write_b32 v94, v6
.LBB738_392:                            ;   in Loop: Header=BB738_20 Depth=1
	s_or_b64 exec, exec, s[34:35]
	v_mov_b32_e32 v6, 0
	s_waitcnt lgkmcnt(0)
	s_barrier
	s_and_saveexec_b64 s[34:35], s[10:11]
; %bb.393:                              ;   in Loop: Header=BB738_20 Depth=1
	ds_read_b32 v6, v95
; %bb.394:                              ;   in Loop: Header=BB738_20 Depth=1
	s_or_b64 exec, exec, s[34:35]
	v_subrev_co_u32_e64 v7, s[34:35], 1, v133
	v_and_b32_e32 v8, 64, v133
	v_cmp_lt_i32_e32 vcc, v7, v8
	v_cndmask_b32_e32 v7, v7, v133, vcc
	s_waitcnt lgkmcnt(0)
	v_add_u32_e32 v5, v6, v5
	v_lshlrev_b32_e32 v134, 2, v7
	ds_bpermute_b32 v5, v134, v5
	s_waitcnt lgkmcnt(0)
	s_barrier
	s_and_saveexec_b64 s[36:37], s[4:5]
; %bb.395:                              ;   in Loop: Header=BB738_20 Depth=1
	v_cndmask_b32_e64 v5, v5, v6, s[34:35]
	v_add_u32_e32 v5, s73, v5
	ds_write_b32 v71, v5
; %bb.396:                              ;   in Loop: Header=BB738_20 Depth=1
	s_or_b64 exec, exec, s[36:37]
	s_load_dwordx2 s[6:7], s[94:95], 0x0
	v_readlane_b32 s36, v232, 0
	v_and_b32_e32 v39, 3, v133
	v_and_b32_e32 v40, 63, v133
	v_cmp_lt_u32_e64 s[38:39], 1, v39
	s_waitcnt lgkmcnt(0)
	s_cmp_lt_u32 s36, s7
	s_cselect_b32 s7, 14, 20
	s_add_u32 s36, s94, s7
	s_addc_u32 s37, s95, 0
	s_cmp_lt_u32 s72, s6
	s_cselect_b32 s6, 12, 18
	s_add_u32 s6, s94, s6
	global_load_ushort v37, v3, s[36:37]
	s_addc_u32 s7, s95, 0
	global_load_ushort v38, v3, s[6:7]
	v_cmp_eq_u32_e64 s[36:37], 0, v39
	v_lshlrev_b32_e32 v39, 3, v40
	v_add_co_u32_e32 v152, vcc, v107, v39
	v_addc_co_u32_e32 v153, vcc, 0, v108, vcc
	v_or_b32_e32 v151, v40, v96
	v_add_co_u32_e32 v169, vcc, v109, v39
	s_mov_b32 s91, s33
	v_or_b32_e32 v154, 64, v151
	v_or_b32_e32 v155, 0x80, v151
	;; [unrolled: 1-line block ×15, first 2 shown]
	v_addc_co_u32_e32 v170, vcc, 0, v110, vcc
	s_mov_b32 s92, s73
                                        ; implicit-def: $vgpr5_vgpr6
                                        ; implicit-def: $vgpr7_vgpr8
                                        ; implicit-def: $vgpr9_vgpr10
                                        ; implicit-def: $vgpr13_vgpr14
                                        ; implicit-def: $vgpr17_vgpr18
                                        ; implicit-def: $vgpr21_vgpr22
                                        ; implicit-def: $vgpr25_vgpr26
                                        ; implicit-def: $vgpr29_vgpr30
                                        ; implicit-def: $vgpr11_vgpr12
                                        ; implicit-def: $vgpr15_vgpr16
                                        ; implicit-def: $vgpr19_vgpr20
                                        ; implicit-def: $vgpr23_vgpr24
                                        ; implicit-def: $vgpr27_vgpr28
                                        ; implicit-def: $vgpr31_vgpr32
                                        ; implicit-def: $vgpr33_vgpr34
                                        ; implicit-def: $vgpr35_vgpr36
                                        ; implicit-def: $vgpr135
                                        ; implicit-def: $vgpr136
                                        ; implicit-def: $vgpr137
                                        ; implicit-def: $vgpr138
                                        ; implicit-def: $vgpr139
                                        ; implicit-def: $vgpr140
                                        ; implicit-def: $vgpr141
                                        ; implicit-def: $vgpr142
                                        ; implicit-def: $vgpr143
                                        ; implicit-def: $vgpr144
                                        ; implicit-def: $vgpr145
                                        ; implicit-def: $vgpr146
                                        ; implicit-def: $vgpr147
                                        ; implicit-def: $vgpr148
                                        ; implicit-def: $vgpr149
                                        ; implicit-def: $vgpr150
                                        ; implicit-def: $vgpr172
                                        ; implicit-def: $vgpr173
	s_waitcnt vmcnt(1)
	v_mad_u32_u24 v37, v2, v37, v1
	s_waitcnt vmcnt(0)
	v_mad_u64_u32 v[37:38], s[6:7], v37, v38, v[0:1]
	v_lshrrev_b32_e32 v37, 4, v37
	v_and_b32_e32 v171, 0xffffffc, v37
	s_branch .LBB738_398
.LBB738_397:                            ;   in Loop: Header=BB738_398 Depth=2
	s_or_b64 exec, exec, s[40:41]
	s_addk_i32 s91, 0xf000
	s_cmp_lt_u32 s6, s96
	s_mov_b32 s92, s6
	s_cbranch_scc0 .LBB738_608
.LBB738_398:                            ;   Parent Loop BB738_20 Depth=1
                                        ; =>  This Inner Loop Header: Depth=2
	s_add_i32 s6, s92, 0x1000
	s_cmp_gt_u32 s6, s96
	s_cbranch_scc1 .LBB738_400
; %bb.399:                              ;   in Loop: Header=BB738_398 Depth=2
	s_lshl_b64 s[40:41], s[92:93], 3
	v_mov_b32_e32 v38, s41
	v_add_co_u32_e32 v37, vcc, s40, v169
	v_addc_co_u32_e32 v38, vcc, v170, v38, vcc
	global_load_dwordx2 v[39:40], v[37:38], off
	global_load_dwordx2 v[41:42], v[37:38], off offset:512
	global_load_dwordx2 v[45:46], v[37:38], off offset:1024
	;; [unrolled: 1-line block ×7, first 2 shown]
	v_add_co_u32_e32 v37, vcc, 0x1000, v37
	v_addc_co_u32_e32 v38, vcc, 0, v38, vcc
	global_load_dwordx2 v[65:66], v[37:38], off
	global_load_dwordx2 v[63:64], v[37:38], off offset:512
	global_load_dwordx2 v[59:60], v[37:38], off offset:1024
	;; [unrolled: 1-line block ×6, first 2 shown]
	s_mov_b64 s[40:41], -1
	s_movk_i32 s7, 0x1000
	s_cbranch_execz .LBB738_401
	s_branch .LBB738_432
.LBB738_400:                            ;   in Loop: Header=BB738_398 Depth=2
	s_mov_b64 s[40:41], 0
                                        ; implicit-def: $vgpr39_vgpr40
                                        ; implicit-def: $vgpr41_vgpr42
                                        ; implicit-def: $vgpr45_vgpr46
                                        ; implicit-def: $vgpr49_vgpr50
                                        ; implicit-def: $vgpr53_vgpr54
                                        ; implicit-def: $vgpr57_vgpr58
                                        ; implicit-def: $vgpr61_vgpr62
                                        ; implicit-def: $vgpr67_vgpr68
                                        ; implicit-def: $vgpr65_vgpr66
                                        ; implicit-def: $vgpr63_vgpr64
                                        ; implicit-def: $vgpr59_vgpr60
                                        ; implicit-def: $vgpr55_vgpr56
                                        ; implicit-def: $vgpr51_vgpr52
                                        ; implicit-def: $vgpr47_vgpr48
                                        ; implicit-def: $vgpr43_vgpr44
	s_movk_i32 s7, 0x1000
.LBB738_401:                            ;   in Loop: Header=BB738_398 Depth=2
	s_lshl_b64 s[40:41], s[92:93], 3
	v_mov_b32_e32 v38, s41
	v_add_co_u32_e32 v37, vcc, s40, v169
	s_waitcnt vmcnt(13)
	v_mov_b32_e32 v41, v3
	v_addc_co_u32_e32 v38, vcc, v170, v38, vcc
	v_mov_b32_e32 v42, v4
	v_mov_b32_e32 v39, v41
	v_cmp_gt_u32_e32 vcc, s91, v151
	v_mov_b32_e32 v40, v42
	s_and_saveexec_b64 s[40:41], vcc
	s_cbranch_execz .LBB738_403
; %bb.402:                              ;   in Loop: Header=BB738_398 Depth=2
	global_load_dwordx2 v[39:40], v[37:38], off
.LBB738_403:                            ;   in Loop: Header=BB738_398 Depth=2
	s_or_b64 exec, exec, s[40:41]
	v_cmp_gt_u32_e32 vcc, s91, v154
	s_and_saveexec_b64 s[40:41], vcc
	s_cbranch_execz .LBB738_405
; %bb.404:                              ;   in Loop: Header=BB738_398 Depth=2
	global_load_dwordx2 v[41:42], v[37:38], off offset:512
.LBB738_405:                            ;   in Loop: Header=BB738_398 Depth=2
	s_or_b64 exec, exec, s[40:41]
	s_waitcnt vmcnt(12)
	v_mov_b32_e32 v46, v4
	v_cmp_gt_u32_e32 vcc, s91, v155
	v_mov_b32_e32 v45, v3
	s_and_saveexec_b64 s[40:41], vcc
	s_cbranch_execz .LBB738_407
; %bb.406:                              ;   in Loop: Header=BB738_398 Depth=2
	global_load_dwordx2 v[45:46], v[37:38], off offset:1024
.LBB738_407:                            ;   in Loop: Header=BB738_398 Depth=2
	s_or_b64 exec, exec, s[40:41]
	s_waitcnt vmcnt(11)
	v_mov_b32_e32 v50, v4
	v_cmp_gt_u32_e32 vcc, s91, v156
	v_mov_b32_e32 v49, v3
	s_and_saveexec_b64 s[40:41], vcc
	s_cbranch_execz .LBB738_409
; %bb.408:                              ;   in Loop: Header=BB738_398 Depth=2
	global_load_dwordx2 v[49:50], v[37:38], off offset:1536
.LBB738_409:                            ;   in Loop: Header=BB738_398 Depth=2
	s_or_b64 exec, exec, s[40:41]
	s_waitcnt vmcnt(10)
	v_mov_b32_e32 v54, v4
	v_cmp_gt_u32_e32 vcc, s91, v157
	v_mov_b32_e32 v53, v3
	s_and_saveexec_b64 s[40:41], vcc
	s_cbranch_execz .LBB738_411
; %bb.410:                              ;   in Loop: Header=BB738_398 Depth=2
	global_load_dwordx2 v[53:54], v[37:38], off offset:2048
.LBB738_411:                            ;   in Loop: Header=BB738_398 Depth=2
	s_or_b64 exec, exec, s[40:41]
	s_waitcnt vmcnt(9)
	v_mov_b32_e32 v58, v4
	v_cmp_gt_u32_e32 vcc, s91, v158
	v_mov_b32_e32 v57, v3
	s_and_saveexec_b64 s[40:41], vcc
	s_cbranch_execz .LBB738_413
; %bb.412:                              ;   in Loop: Header=BB738_398 Depth=2
	global_load_dwordx2 v[57:58], v[37:38], off offset:2560
.LBB738_413:                            ;   in Loop: Header=BB738_398 Depth=2
	s_or_b64 exec, exec, s[40:41]
	s_waitcnt vmcnt(8)
	v_mov_b32_e32 v62, v4
	v_cmp_gt_u32_e32 vcc, s91, v159
	v_mov_b32_e32 v61, v3
	s_and_saveexec_b64 s[40:41], vcc
	s_cbranch_execz .LBB738_415
; %bb.414:                              ;   in Loop: Header=BB738_398 Depth=2
	global_load_dwordx2 v[61:62], v[37:38], off offset:3072
.LBB738_415:                            ;   in Loop: Header=BB738_398 Depth=2
	s_or_b64 exec, exec, s[40:41]
	s_waitcnt vmcnt(7)
	v_mov_b32_e32 v68, v4
	v_cmp_gt_u32_e32 vcc, s91, v160
	v_mov_b32_e32 v67, v3
	s_and_saveexec_b64 s[40:41], vcc
	s_cbranch_execz .LBB738_417
; %bb.416:                              ;   in Loop: Header=BB738_398 Depth=2
	global_load_dwordx2 v[67:68], v[37:38], off offset:3584
.LBB738_417:                            ;   in Loop: Header=BB738_398 Depth=2
	s_or_b64 exec, exec, s[40:41]
	s_waitcnt vmcnt(6)
	v_mov_b32_e32 v66, v4
	v_cmp_gt_u32_e32 vcc, s91, v161
	v_mov_b32_e32 v65, v3
	s_and_saveexec_b64 s[40:41], vcc
	s_cbranch_execz .LBB738_419
; %bb.418:                              ;   in Loop: Header=BB738_398 Depth=2
	s_waitcnt vmcnt(0)
	v_add_co_u32_e32 v43, vcc, 0x1000, v37
	v_addc_co_u32_e32 v44, vcc, 0, v38, vcc
	global_load_dwordx2 v[65:66], v[43:44], off
.LBB738_419:                            ;   in Loop: Header=BB738_398 Depth=2
	s_or_b64 exec, exec, s[40:41]
	s_waitcnt vmcnt(5)
	v_mov_b32_e32 v64, v4
	v_cmp_gt_u32_e32 vcc, s91, v162
	v_mov_b32_e32 v63, v3
	s_and_saveexec_b64 s[40:41], vcc
	s_cbranch_execz .LBB738_421
; %bb.420:                              ;   in Loop: Header=BB738_398 Depth=2
	s_waitcnt vmcnt(0)
	v_add_co_u32_e32 v43, vcc, 0x1000, v37
	v_addc_co_u32_e32 v44, vcc, 0, v38, vcc
	global_load_dwordx2 v[63:64], v[43:44], off offset:512
.LBB738_421:                            ;   in Loop: Header=BB738_398 Depth=2
	s_or_b64 exec, exec, s[40:41]
	s_waitcnt vmcnt(4)
	v_mov_b32_e32 v60, v4
	v_cmp_gt_u32_e32 vcc, s91, v163
	v_mov_b32_e32 v59, v3
	s_and_saveexec_b64 s[40:41], vcc
	s_cbranch_execz .LBB738_423
; %bb.422:                              ;   in Loop: Header=BB738_398 Depth=2
	s_waitcnt vmcnt(0)
	v_add_co_u32_e32 v43, vcc, 0x1000, v37
	v_addc_co_u32_e32 v44, vcc, 0, v38, vcc
	global_load_dwordx2 v[59:60], v[43:44], off offset:1024
.LBB738_423:                            ;   in Loop: Header=BB738_398 Depth=2
	;; [unrolled: 13-line block ×5, first 2 shown]
	s_or_b64 exec, exec, s[40:41]
	s_waitcnt vmcnt(0)
	v_mov_b32_e32 v44, v4
	v_cmp_gt_u32_e32 vcc, s91, v167
	v_mov_b32_e32 v43, v3
	s_and_saveexec_b64 s[40:41], vcc
	s_cbranch_execz .LBB738_431
; %bb.430:                              ;   in Loop: Header=BB738_398 Depth=2
	v_add_co_u32_e32 v37, vcc, 0x1000, v37
	v_addc_co_u32_e32 v38, vcc, 0, v38, vcc
	global_load_dwordx2 v[43:44], v[37:38], off offset:3072
.LBB738_431:                            ;   in Loop: Header=BB738_398 Depth=2
	s_or_b64 exec, exec, s[40:41]
	s_sub_i32 s7, s96, s92
	v_cmp_gt_u32_e64 s[40:41], s91, v168
.LBB738_432:                            ;   in Loop: Header=BB738_398 Depth=2
	v_mov_b32_e32 v37, -1
	v_mov_b32_e32 v38, -1
	v_mov_b32_e32 v174, s91
	s_and_saveexec_b64 s[42:43], s[40:41]
	s_cbranch_execz .LBB738_434
; %bb.433:                              ;   in Loop: Header=BB738_398 Depth=2
	s_lshl_b64 s[40:41], s[92:93], 3
	v_mov_b32_e32 v37, s41
	v_add_co_u32_e32 v38, vcc, s40, v169
	v_addc_co_u32_e32 v69, vcc, v170, v37, vcc
	v_add_co_u32_e32 v37, vcc, 0x1000, v38
	v_addc_co_u32_e32 v38, vcc, 0, v69, vcc
	global_load_dwordx2 v[37:38], v[37:38], off offset:3584
	v_mov_b32_e32 v174, s7
	s_waitcnt vmcnt(0)
	v_xor_b32_e32 v38, 0x7fffffff, v38
	v_not_b32_e32 v37, v37
.LBB738_434:                            ;   in Loop: Header=BB738_398 Depth=2
	s_or_b64 exec, exec, s[42:43]
	s_waitcnt vmcnt(14)
	v_xor_b32_e32 v40, 0x7fffffff, v40
	v_not_b32_e32 v39, v39
	v_lshrrev_b64 v[69:70], s97, v[39:40]
	ds_write2_b32 v90, v3, v3 offset0:132 offset1:133
	ds_write_b32 v90, v3 offset:536
	v_and_b32_e32 v175, s99, v69
	v_and_b32_e32 v69, 1, v175
	v_add_co_u32_e32 v70, vcc, -1, v69
	v_addc_co_u32_e64 v177, s[40:41], 0, -1, vcc
	v_cmp_ne_u32_e32 vcc, 0, v69
	v_xor_b32_e32 v69, vcc_hi, v177
	v_xor_b32_e32 v70, vcc_lo, v70
	v_and_b32_e32 v177, exec_hi, v69
	v_and_b32_e32 v178, exec_lo, v70
	v_lshlrev_b32_e32 v70, 30, v175
	v_mov_b32_e32 v69, v3
	v_cmp_gt_i64_e32 vcc, 0, v[69:70]
	v_not_b32_e32 v69, v70
	v_ashrrev_i32_e32 v69, 31, v69
	v_xor_b32_e32 v70, vcc_hi, v69
	v_xor_b32_e32 v69, vcc_lo, v69
	v_and_b32_e32 v177, v177, v70
	v_and_b32_e32 v178, v178, v69
	v_lshlrev_b32_e32 v70, 29, v175
	v_mov_b32_e32 v69, v3
	v_cmp_gt_i64_e32 vcc, 0, v[69:70]
	v_not_b32_e32 v69, v70
	v_ashrrev_i32_e32 v69, 31, v69
	v_xor_b32_e32 v70, vcc_hi, v69
	v_xor_b32_e32 v69, vcc_lo, v69
	v_and_b32_e32 v177, v177, v70
	v_and_b32_e32 v178, v178, v69
	;; [unrolled: 9-line block ×5, first 2 shown]
	v_lshlrev_b32_e32 v70, 25, v175
	v_mov_b32_e32 v69, v3
	v_cmp_gt_i64_e32 vcc, 0, v[69:70]
	v_not_b32_e32 v69, v70
	v_ashrrev_i32_e32 v69, 31, v69
	v_xor_b32_e32 v70, vcc_hi, v69
	v_xor_b32_e32 v69, vcc_lo, v69
	v_and_b32_e32 v69, v178, v69
	v_mul_u32_u24_e32 v176, 20, v175
	v_and_b32_e32 v70, v177, v70
	v_mbcnt_lo_u32_b32 v175, v69, 0
	v_mbcnt_hi_u32_b32 v175, v70, v175
	v_cmp_ne_u64_e32 vcc, 0, v[69:70]
	v_cmp_eq_u32_e64 s[40:41], 0, v175
	s_and_b64 s[42:43], vcc, s[40:41]
	v_add_u32_e32 v177, v171, v176
	s_waitcnt vmcnt(0) lgkmcnt(0)
	s_barrier
	; wave barrier
	s_and_saveexec_b64 s[40:41], s[42:43]
; %bb.435:                              ;   in Loop: Header=BB738_398 Depth=2
	v_bcnt_u32_b32 v69, v69, 0
	v_bcnt_u32_b32 v69, v70, v69
	ds_write_b32 v177, v69 offset:528
; %bb.436:                              ;   in Loop: Header=BB738_398 Depth=2
	s_or_b64 exec, exec, s[40:41]
	v_xor_b32_e32 v42, 0x7fffffff, v42
	v_not_b32_e32 v41, v41
	v_lshrrev_b64 v[69:70], s97, v[41:42]
	v_and_b32_e32 v178, s99, v69
	v_mad_u32_u24 v69, v178, 20, v171
	; wave barrier
	ds_read_b32 v176, v69 offset:528
	v_and_b32_e32 v69, 1, v178
	v_add_co_u32_e32 v70, vcc, -1, v69
	v_addc_co_u32_e64 v180, s[40:41], 0, -1, vcc
	v_cmp_ne_u32_e32 vcc, 0, v69
	v_xor_b32_e32 v69, vcc_hi, v180
	v_xor_b32_e32 v70, vcc_lo, v70
	v_and_b32_e32 v180, exec_hi, v69
	v_and_b32_e32 v181, exec_lo, v70
	v_lshlrev_b32_e32 v70, 30, v178
	v_mov_b32_e32 v69, v3
	v_cmp_gt_i64_e32 vcc, 0, v[69:70]
	v_not_b32_e32 v69, v70
	v_ashrrev_i32_e32 v69, 31, v69
	v_xor_b32_e32 v70, vcc_hi, v69
	v_xor_b32_e32 v69, vcc_lo, v69
	v_and_b32_e32 v180, v180, v70
	v_and_b32_e32 v181, v181, v69
	v_lshlrev_b32_e32 v70, 29, v178
	v_mov_b32_e32 v69, v3
	v_cmp_gt_i64_e32 vcc, 0, v[69:70]
	v_not_b32_e32 v69, v70
	v_ashrrev_i32_e32 v69, 31, v69
	v_xor_b32_e32 v70, vcc_hi, v69
	v_xor_b32_e32 v69, vcc_lo, v69
	v_and_b32_e32 v180, v180, v70
	v_and_b32_e32 v181, v181, v69
	;; [unrolled: 9-line block ×5, first 2 shown]
	v_lshlrev_b32_e32 v70, 25, v178
	v_mov_b32_e32 v69, v3
	v_cmp_gt_i64_e32 vcc, 0, v[69:70]
	v_not_b32_e32 v69, v70
	v_ashrrev_i32_e32 v69, 31, v69
	v_xor_b32_e32 v70, vcc_hi, v69
	v_xor_b32_e32 v69, vcc_lo, v69
	v_and_b32_e32 v69, v181, v69
	v_mul_u32_u24_e32 v179, 20, v178
	v_and_b32_e32 v70, v180, v70
	v_mbcnt_lo_u32_b32 v178, v69, 0
	v_mbcnt_hi_u32_b32 v178, v70, v178
	v_cmp_ne_u64_e32 vcc, 0, v[69:70]
	v_cmp_eq_u32_e64 s[40:41], 0, v178
	s_and_b64 s[42:43], vcc, s[40:41]
	v_add_u32_e32 v180, v171, v179
	; wave barrier
	s_and_saveexec_b64 s[40:41], s[42:43]
	s_cbranch_execz .LBB738_438
; %bb.437:                              ;   in Loop: Header=BB738_398 Depth=2
	v_bcnt_u32_b32 v69, v69, 0
	v_bcnt_u32_b32 v69, v70, v69
	s_waitcnt lgkmcnt(0)
	v_add_u32_e32 v69, v176, v69
	ds_write_b32 v180, v69 offset:528
.LBB738_438:                            ;   in Loop: Header=BB738_398 Depth=2
	s_or_b64 exec, exec, s[40:41]
	v_xor_b32_e32 v46, 0x7fffffff, v46
	v_not_b32_e32 v45, v45
	v_lshrrev_b64 v[69:70], s97, v[45:46]
	v_and_b32_e32 v181, s99, v69
	v_mad_u32_u24 v69, v181, 20, v171
	; wave barrier
	ds_read_b32 v179, v69 offset:528
	v_and_b32_e32 v69, 1, v181
	v_add_co_u32_e32 v70, vcc, -1, v69
	v_addc_co_u32_e64 v183, s[40:41], 0, -1, vcc
	v_cmp_ne_u32_e32 vcc, 0, v69
	v_xor_b32_e32 v69, vcc_hi, v183
	v_xor_b32_e32 v70, vcc_lo, v70
	v_and_b32_e32 v183, exec_hi, v69
	v_and_b32_e32 v184, exec_lo, v70
	v_lshlrev_b32_e32 v70, 30, v181
	v_mov_b32_e32 v69, v3
	v_cmp_gt_i64_e32 vcc, 0, v[69:70]
	v_not_b32_e32 v69, v70
	v_ashrrev_i32_e32 v69, 31, v69
	v_xor_b32_e32 v70, vcc_hi, v69
	v_xor_b32_e32 v69, vcc_lo, v69
	v_and_b32_e32 v183, v183, v70
	v_and_b32_e32 v184, v184, v69
	v_lshlrev_b32_e32 v70, 29, v181
	v_mov_b32_e32 v69, v3
	v_cmp_gt_i64_e32 vcc, 0, v[69:70]
	v_not_b32_e32 v69, v70
	v_ashrrev_i32_e32 v69, 31, v69
	v_xor_b32_e32 v70, vcc_hi, v69
	v_xor_b32_e32 v69, vcc_lo, v69
	v_and_b32_e32 v183, v183, v70
	v_and_b32_e32 v184, v184, v69
	;; [unrolled: 9-line block ×5, first 2 shown]
	v_lshlrev_b32_e32 v70, 25, v181
	v_mov_b32_e32 v69, v3
	v_cmp_gt_i64_e32 vcc, 0, v[69:70]
	v_not_b32_e32 v69, v70
	v_ashrrev_i32_e32 v69, 31, v69
	v_xor_b32_e32 v70, vcc_hi, v69
	v_xor_b32_e32 v69, vcc_lo, v69
	v_and_b32_e32 v69, v184, v69
	v_mul_u32_u24_e32 v182, 20, v181
	v_and_b32_e32 v70, v183, v70
	v_mbcnt_lo_u32_b32 v181, v69, 0
	v_mbcnt_hi_u32_b32 v181, v70, v181
	v_cmp_ne_u64_e32 vcc, 0, v[69:70]
	v_cmp_eq_u32_e64 s[40:41], 0, v181
	s_and_b64 s[42:43], vcc, s[40:41]
	v_add_u32_e32 v183, v171, v182
	; wave barrier
	s_and_saveexec_b64 s[40:41], s[42:43]
	s_cbranch_execz .LBB738_440
; %bb.439:                              ;   in Loop: Header=BB738_398 Depth=2
	v_bcnt_u32_b32 v69, v69, 0
	v_bcnt_u32_b32 v69, v70, v69
	s_waitcnt lgkmcnt(0)
	v_add_u32_e32 v69, v179, v69
	ds_write_b32 v183, v69 offset:528
.LBB738_440:                            ;   in Loop: Header=BB738_398 Depth=2
	s_or_b64 exec, exec, s[40:41]
	v_xor_b32_e32 v50, 0x7fffffff, v50
	v_not_b32_e32 v49, v49
	v_lshrrev_b64 v[69:70], s97, v[49:50]
	v_and_b32_e32 v184, s99, v69
	v_mad_u32_u24 v69, v184, 20, v171
	; wave barrier
	ds_read_b32 v182, v69 offset:528
	v_and_b32_e32 v69, 1, v184
	v_add_co_u32_e32 v70, vcc, -1, v69
	v_addc_co_u32_e64 v186, s[40:41], 0, -1, vcc
	v_cmp_ne_u32_e32 vcc, 0, v69
	v_xor_b32_e32 v69, vcc_hi, v186
	v_xor_b32_e32 v70, vcc_lo, v70
	v_and_b32_e32 v186, exec_hi, v69
	v_and_b32_e32 v187, exec_lo, v70
	v_lshlrev_b32_e32 v70, 30, v184
	v_mov_b32_e32 v69, v3
	v_cmp_gt_i64_e32 vcc, 0, v[69:70]
	v_not_b32_e32 v69, v70
	v_ashrrev_i32_e32 v69, 31, v69
	v_xor_b32_e32 v70, vcc_hi, v69
	v_xor_b32_e32 v69, vcc_lo, v69
	v_and_b32_e32 v186, v186, v70
	v_and_b32_e32 v187, v187, v69
	v_lshlrev_b32_e32 v70, 29, v184
	v_mov_b32_e32 v69, v3
	v_cmp_gt_i64_e32 vcc, 0, v[69:70]
	v_not_b32_e32 v69, v70
	v_ashrrev_i32_e32 v69, 31, v69
	v_xor_b32_e32 v70, vcc_hi, v69
	v_xor_b32_e32 v69, vcc_lo, v69
	v_and_b32_e32 v186, v186, v70
	v_and_b32_e32 v187, v187, v69
	;; [unrolled: 9-line block ×5, first 2 shown]
	v_lshlrev_b32_e32 v70, 25, v184
	v_mov_b32_e32 v69, v3
	v_cmp_gt_i64_e32 vcc, 0, v[69:70]
	v_not_b32_e32 v69, v70
	v_ashrrev_i32_e32 v69, 31, v69
	v_xor_b32_e32 v70, vcc_hi, v69
	v_xor_b32_e32 v69, vcc_lo, v69
	v_and_b32_e32 v69, v187, v69
	v_mul_u32_u24_e32 v185, 20, v184
	v_and_b32_e32 v70, v186, v70
	v_mbcnt_lo_u32_b32 v184, v69, 0
	v_mbcnt_hi_u32_b32 v184, v70, v184
	v_cmp_ne_u64_e32 vcc, 0, v[69:70]
	v_cmp_eq_u32_e64 s[40:41], 0, v184
	s_and_b64 s[42:43], vcc, s[40:41]
	v_add_u32_e32 v186, v171, v185
	; wave barrier
	s_and_saveexec_b64 s[40:41], s[42:43]
	s_cbranch_execz .LBB738_442
; %bb.441:                              ;   in Loop: Header=BB738_398 Depth=2
	v_bcnt_u32_b32 v69, v69, 0
	v_bcnt_u32_b32 v69, v70, v69
	s_waitcnt lgkmcnt(0)
	v_add_u32_e32 v69, v182, v69
	ds_write_b32 v186, v69 offset:528
.LBB738_442:                            ;   in Loop: Header=BB738_398 Depth=2
	s_or_b64 exec, exec, s[40:41]
	v_xor_b32_e32 v54, 0x7fffffff, v54
	v_not_b32_e32 v53, v53
	v_lshrrev_b64 v[69:70], s97, v[53:54]
	v_and_b32_e32 v187, s99, v69
	v_mad_u32_u24 v69, v187, 20, v171
	; wave barrier
	ds_read_b32 v185, v69 offset:528
	v_and_b32_e32 v69, 1, v187
	v_add_co_u32_e32 v70, vcc, -1, v69
	v_addc_co_u32_e64 v189, s[40:41], 0, -1, vcc
	v_cmp_ne_u32_e32 vcc, 0, v69
	v_xor_b32_e32 v69, vcc_hi, v189
	v_xor_b32_e32 v70, vcc_lo, v70
	v_and_b32_e32 v189, exec_hi, v69
	v_and_b32_e32 v190, exec_lo, v70
	v_lshlrev_b32_e32 v70, 30, v187
	v_mov_b32_e32 v69, v3
	v_cmp_gt_i64_e32 vcc, 0, v[69:70]
	v_not_b32_e32 v69, v70
	v_ashrrev_i32_e32 v69, 31, v69
	v_xor_b32_e32 v70, vcc_hi, v69
	v_xor_b32_e32 v69, vcc_lo, v69
	v_and_b32_e32 v189, v189, v70
	v_and_b32_e32 v190, v190, v69
	v_lshlrev_b32_e32 v70, 29, v187
	v_mov_b32_e32 v69, v3
	v_cmp_gt_i64_e32 vcc, 0, v[69:70]
	v_not_b32_e32 v69, v70
	v_ashrrev_i32_e32 v69, 31, v69
	v_xor_b32_e32 v70, vcc_hi, v69
	v_xor_b32_e32 v69, vcc_lo, v69
	v_and_b32_e32 v189, v189, v70
	v_and_b32_e32 v190, v190, v69
	;; [unrolled: 9-line block ×5, first 2 shown]
	v_lshlrev_b32_e32 v70, 25, v187
	v_mov_b32_e32 v69, v3
	v_cmp_gt_i64_e32 vcc, 0, v[69:70]
	v_not_b32_e32 v69, v70
	v_ashrrev_i32_e32 v69, 31, v69
	v_xor_b32_e32 v70, vcc_hi, v69
	v_xor_b32_e32 v69, vcc_lo, v69
	v_and_b32_e32 v69, v190, v69
	v_mul_u32_u24_e32 v188, 20, v187
	v_and_b32_e32 v70, v189, v70
	v_mbcnt_lo_u32_b32 v187, v69, 0
	v_mbcnt_hi_u32_b32 v187, v70, v187
	v_cmp_ne_u64_e32 vcc, 0, v[69:70]
	v_cmp_eq_u32_e64 s[40:41], 0, v187
	s_and_b64 s[42:43], vcc, s[40:41]
	v_add_u32_e32 v189, v171, v188
	; wave barrier
	s_and_saveexec_b64 s[40:41], s[42:43]
	s_cbranch_execz .LBB738_444
; %bb.443:                              ;   in Loop: Header=BB738_398 Depth=2
	v_bcnt_u32_b32 v69, v69, 0
	v_bcnt_u32_b32 v69, v70, v69
	s_waitcnt lgkmcnt(0)
	v_add_u32_e32 v69, v185, v69
	ds_write_b32 v189, v69 offset:528
.LBB738_444:                            ;   in Loop: Header=BB738_398 Depth=2
	s_or_b64 exec, exec, s[40:41]
	v_xor_b32_e32 v58, 0x7fffffff, v58
	v_not_b32_e32 v57, v57
	v_lshrrev_b64 v[69:70], s97, v[57:58]
	v_and_b32_e32 v190, s99, v69
	v_mad_u32_u24 v69, v190, 20, v171
	; wave barrier
	ds_read_b32 v188, v69 offset:528
	v_and_b32_e32 v69, 1, v190
	v_add_co_u32_e32 v70, vcc, -1, v69
	v_addc_co_u32_e64 v192, s[40:41], 0, -1, vcc
	v_cmp_ne_u32_e32 vcc, 0, v69
	v_xor_b32_e32 v69, vcc_hi, v192
	v_xor_b32_e32 v70, vcc_lo, v70
	v_and_b32_e32 v192, exec_hi, v69
	v_and_b32_e32 v193, exec_lo, v70
	v_lshlrev_b32_e32 v70, 30, v190
	v_mov_b32_e32 v69, v3
	v_cmp_gt_i64_e32 vcc, 0, v[69:70]
	v_not_b32_e32 v69, v70
	v_ashrrev_i32_e32 v69, 31, v69
	v_xor_b32_e32 v70, vcc_hi, v69
	v_xor_b32_e32 v69, vcc_lo, v69
	v_and_b32_e32 v192, v192, v70
	v_and_b32_e32 v193, v193, v69
	v_lshlrev_b32_e32 v70, 29, v190
	v_mov_b32_e32 v69, v3
	v_cmp_gt_i64_e32 vcc, 0, v[69:70]
	v_not_b32_e32 v69, v70
	v_ashrrev_i32_e32 v69, 31, v69
	v_xor_b32_e32 v70, vcc_hi, v69
	v_xor_b32_e32 v69, vcc_lo, v69
	v_and_b32_e32 v192, v192, v70
	v_and_b32_e32 v193, v193, v69
	;; [unrolled: 9-line block ×5, first 2 shown]
	v_lshlrev_b32_e32 v70, 25, v190
	v_mov_b32_e32 v69, v3
	v_cmp_gt_i64_e32 vcc, 0, v[69:70]
	v_not_b32_e32 v69, v70
	v_ashrrev_i32_e32 v69, 31, v69
	v_xor_b32_e32 v70, vcc_hi, v69
	v_xor_b32_e32 v69, vcc_lo, v69
	v_and_b32_e32 v69, v193, v69
	v_mul_u32_u24_e32 v191, 20, v190
	v_and_b32_e32 v70, v192, v70
	v_mbcnt_lo_u32_b32 v190, v69, 0
	v_mbcnt_hi_u32_b32 v190, v70, v190
	v_cmp_ne_u64_e32 vcc, 0, v[69:70]
	v_cmp_eq_u32_e64 s[40:41], 0, v190
	s_and_b64 s[42:43], vcc, s[40:41]
	v_add_u32_e32 v192, v171, v191
	; wave barrier
	s_and_saveexec_b64 s[40:41], s[42:43]
	s_cbranch_execz .LBB738_446
; %bb.445:                              ;   in Loop: Header=BB738_398 Depth=2
	v_bcnt_u32_b32 v69, v69, 0
	v_bcnt_u32_b32 v69, v70, v69
	s_waitcnt lgkmcnt(0)
	v_add_u32_e32 v69, v188, v69
	ds_write_b32 v192, v69 offset:528
.LBB738_446:                            ;   in Loop: Header=BB738_398 Depth=2
	s_or_b64 exec, exec, s[40:41]
	v_xor_b32_e32 v62, 0x7fffffff, v62
	v_not_b32_e32 v61, v61
	v_lshrrev_b64 v[69:70], s97, v[61:62]
	v_and_b32_e32 v193, s99, v69
	v_mad_u32_u24 v69, v193, 20, v171
	; wave barrier
	ds_read_b32 v191, v69 offset:528
	v_and_b32_e32 v69, 1, v193
	v_add_co_u32_e32 v70, vcc, -1, v69
	v_addc_co_u32_e64 v195, s[40:41], 0, -1, vcc
	v_cmp_ne_u32_e32 vcc, 0, v69
	v_xor_b32_e32 v69, vcc_hi, v195
	v_xor_b32_e32 v70, vcc_lo, v70
	v_and_b32_e32 v195, exec_hi, v69
	v_and_b32_e32 v196, exec_lo, v70
	v_lshlrev_b32_e32 v70, 30, v193
	v_mov_b32_e32 v69, v3
	v_cmp_gt_i64_e32 vcc, 0, v[69:70]
	v_not_b32_e32 v69, v70
	v_ashrrev_i32_e32 v69, 31, v69
	v_xor_b32_e32 v70, vcc_hi, v69
	v_xor_b32_e32 v69, vcc_lo, v69
	v_and_b32_e32 v195, v195, v70
	v_and_b32_e32 v196, v196, v69
	v_lshlrev_b32_e32 v70, 29, v193
	v_mov_b32_e32 v69, v3
	v_cmp_gt_i64_e32 vcc, 0, v[69:70]
	v_not_b32_e32 v69, v70
	v_ashrrev_i32_e32 v69, 31, v69
	v_xor_b32_e32 v70, vcc_hi, v69
	v_xor_b32_e32 v69, vcc_lo, v69
	v_and_b32_e32 v195, v195, v70
	v_and_b32_e32 v196, v196, v69
	;; [unrolled: 9-line block ×5, first 2 shown]
	v_lshlrev_b32_e32 v70, 25, v193
	v_mov_b32_e32 v69, v3
	v_cmp_gt_i64_e32 vcc, 0, v[69:70]
	v_not_b32_e32 v69, v70
	v_ashrrev_i32_e32 v69, 31, v69
	v_xor_b32_e32 v70, vcc_hi, v69
	v_xor_b32_e32 v69, vcc_lo, v69
	v_and_b32_e32 v69, v196, v69
	v_mul_u32_u24_e32 v194, 20, v193
	v_and_b32_e32 v70, v195, v70
	v_mbcnt_lo_u32_b32 v193, v69, 0
	v_mbcnt_hi_u32_b32 v193, v70, v193
	v_cmp_ne_u64_e32 vcc, 0, v[69:70]
	v_cmp_eq_u32_e64 s[40:41], 0, v193
	s_and_b64 s[42:43], vcc, s[40:41]
	v_add_u32_e32 v195, v171, v194
	; wave barrier
	s_and_saveexec_b64 s[40:41], s[42:43]
	s_cbranch_execz .LBB738_448
; %bb.447:                              ;   in Loop: Header=BB738_398 Depth=2
	v_bcnt_u32_b32 v69, v69, 0
	v_bcnt_u32_b32 v69, v70, v69
	s_waitcnt lgkmcnt(0)
	v_add_u32_e32 v69, v191, v69
	ds_write_b32 v195, v69 offset:528
.LBB738_448:                            ;   in Loop: Header=BB738_398 Depth=2
	s_or_b64 exec, exec, s[40:41]
	v_xor_b32_e32 v68, 0x7fffffff, v68
	v_not_b32_e32 v67, v67
	v_lshrrev_b64 v[69:70], s97, v[67:68]
	v_and_b32_e32 v196, s99, v69
	v_mad_u32_u24 v69, v196, 20, v171
	; wave barrier
	ds_read_b32 v194, v69 offset:528
	v_and_b32_e32 v69, 1, v196
	v_add_co_u32_e32 v70, vcc, -1, v69
	v_addc_co_u32_e64 v198, s[40:41], 0, -1, vcc
	v_cmp_ne_u32_e32 vcc, 0, v69
	v_xor_b32_e32 v69, vcc_hi, v198
	v_xor_b32_e32 v70, vcc_lo, v70
	v_and_b32_e32 v198, exec_hi, v69
	v_and_b32_e32 v199, exec_lo, v70
	v_lshlrev_b32_e32 v70, 30, v196
	v_mov_b32_e32 v69, v3
	v_cmp_gt_i64_e32 vcc, 0, v[69:70]
	v_not_b32_e32 v69, v70
	v_ashrrev_i32_e32 v69, 31, v69
	v_xor_b32_e32 v70, vcc_hi, v69
	v_xor_b32_e32 v69, vcc_lo, v69
	v_and_b32_e32 v198, v198, v70
	v_and_b32_e32 v199, v199, v69
	v_lshlrev_b32_e32 v70, 29, v196
	v_mov_b32_e32 v69, v3
	v_cmp_gt_i64_e32 vcc, 0, v[69:70]
	v_not_b32_e32 v69, v70
	v_ashrrev_i32_e32 v69, 31, v69
	v_xor_b32_e32 v70, vcc_hi, v69
	v_xor_b32_e32 v69, vcc_lo, v69
	v_and_b32_e32 v198, v198, v70
	v_and_b32_e32 v199, v199, v69
	;; [unrolled: 9-line block ×5, first 2 shown]
	v_lshlrev_b32_e32 v70, 25, v196
	v_mov_b32_e32 v69, v3
	v_cmp_gt_i64_e32 vcc, 0, v[69:70]
	v_not_b32_e32 v69, v70
	v_ashrrev_i32_e32 v69, 31, v69
	v_xor_b32_e32 v70, vcc_hi, v69
	v_xor_b32_e32 v69, vcc_lo, v69
	v_and_b32_e32 v69, v199, v69
	v_mul_u32_u24_e32 v197, 20, v196
	v_and_b32_e32 v70, v198, v70
	v_mbcnt_lo_u32_b32 v196, v69, 0
	v_mbcnt_hi_u32_b32 v196, v70, v196
	v_cmp_ne_u64_e32 vcc, 0, v[69:70]
	v_cmp_eq_u32_e64 s[40:41], 0, v196
	s_and_b64 s[42:43], vcc, s[40:41]
	v_add_u32_e32 v198, v171, v197
	; wave barrier
	s_and_saveexec_b64 s[40:41], s[42:43]
	s_cbranch_execz .LBB738_450
; %bb.449:                              ;   in Loop: Header=BB738_398 Depth=2
	v_bcnt_u32_b32 v69, v69, 0
	v_bcnt_u32_b32 v69, v70, v69
	s_waitcnt lgkmcnt(0)
	v_add_u32_e32 v69, v194, v69
	ds_write_b32 v198, v69 offset:528
.LBB738_450:                            ;   in Loop: Header=BB738_398 Depth=2
	s_or_b64 exec, exec, s[40:41]
	v_xor_b32_e32 v66, 0x7fffffff, v66
	v_not_b32_e32 v65, v65
	v_lshrrev_b64 v[69:70], s97, v[65:66]
	v_and_b32_e32 v199, s99, v69
	v_mad_u32_u24 v69, v199, 20, v171
	; wave barrier
	ds_read_b32 v197, v69 offset:528
	v_and_b32_e32 v69, 1, v199
	v_add_co_u32_e32 v70, vcc, -1, v69
	v_addc_co_u32_e64 v201, s[40:41], 0, -1, vcc
	v_cmp_ne_u32_e32 vcc, 0, v69
	v_xor_b32_e32 v69, vcc_hi, v201
	v_xor_b32_e32 v70, vcc_lo, v70
	v_and_b32_e32 v201, exec_hi, v69
	v_and_b32_e32 v202, exec_lo, v70
	v_lshlrev_b32_e32 v70, 30, v199
	v_mov_b32_e32 v69, v3
	v_cmp_gt_i64_e32 vcc, 0, v[69:70]
	v_not_b32_e32 v69, v70
	v_ashrrev_i32_e32 v69, 31, v69
	v_xor_b32_e32 v70, vcc_hi, v69
	v_xor_b32_e32 v69, vcc_lo, v69
	v_and_b32_e32 v201, v201, v70
	v_and_b32_e32 v202, v202, v69
	v_lshlrev_b32_e32 v70, 29, v199
	v_mov_b32_e32 v69, v3
	v_cmp_gt_i64_e32 vcc, 0, v[69:70]
	v_not_b32_e32 v69, v70
	v_ashrrev_i32_e32 v69, 31, v69
	v_xor_b32_e32 v70, vcc_hi, v69
	v_xor_b32_e32 v69, vcc_lo, v69
	v_and_b32_e32 v201, v201, v70
	v_and_b32_e32 v202, v202, v69
	;; [unrolled: 9-line block ×5, first 2 shown]
	v_lshlrev_b32_e32 v70, 25, v199
	v_mov_b32_e32 v69, v3
	v_cmp_gt_i64_e32 vcc, 0, v[69:70]
	v_not_b32_e32 v69, v70
	v_ashrrev_i32_e32 v69, 31, v69
	v_xor_b32_e32 v70, vcc_hi, v69
	v_xor_b32_e32 v69, vcc_lo, v69
	v_and_b32_e32 v69, v202, v69
	v_mul_u32_u24_e32 v200, 20, v199
	v_and_b32_e32 v70, v201, v70
	v_mbcnt_lo_u32_b32 v199, v69, 0
	v_mbcnt_hi_u32_b32 v199, v70, v199
	v_cmp_ne_u64_e32 vcc, 0, v[69:70]
	v_cmp_eq_u32_e64 s[40:41], 0, v199
	s_and_b64 s[42:43], vcc, s[40:41]
	v_add_u32_e32 v201, v171, v200
	; wave barrier
	s_and_saveexec_b64 s[40:41], s[42:43]
	s_cbranch_execz .LBB738_452
; %bb.451:                              ;   in Loop: Header=BB738_398 Depth=2
	v_bcnt_u32_b32 v69, v69, 0
	v_bcnt_u32_b32 v69, v70, v69
	s_waitcnt lgkmcnt(0)
	v_add_u32_e32 v69, v197, v69
	ds_write_b32 v201, v69 offset:528
.LBB738_452:                            ;   in Loop: Header=BB738_398 Depth=2
	s_or_b64 exec, exec, s[40:41]
	v_xor_b32_e32 v64, 0x7fffffff, v64
	v_not_b32_e32 v63, v63
	v_lshrrev_b64 v[69:70], s97, v[63:64]
	v_and_b32_e32 v202, s99, v69
	v_mad_u32_u24 v69, v202, 20, v171
	; wave barrier
	ds_read_b32 v200, v69 offset:528
	v_and_b32_e32 v69, 1, v202
	v_add_co_u32_e32 v70, vcc, -1, v69
	v_addc_co_u32_e64 v204, s[40:41], 0, -1, vcc
	v_cmp_ne_u32_e32 vcc, 0, v69
	v_xor_b32_e32 v69, vcc_hi, v204
	v_xor_b32_e32 v70, vcc_lo, v70
	v_and_b32_e32 v204, exec_hi, v69
	v_and_b32_e32 v205, exec_lo, v70
	v_lshlrev_b32_e32 v70, 30, v202
	v_mov_b32_e32 v69, v3
	v_cmp_gt_i64_e32 vcc, 0, v[69:70]
	v_not_b32_e32 v69, v70
	v_ashrrev_i32_e32 v69, 31, v69
	v_xor_b32_e32 v70, vcc_hi, v69
	v_xor_b32_e32 v69, vcc_lo, v69
	v_and_b32_e32 v204, v204, v70
	v_and_b32_e32 v205, v205, v69
	v_lshlrev_b32_e32 v70, 29, v202
	v_mov_b32_e32 v69, v3
	v_cmp_gt_i64_e32 vcc, 0, v[69:70]
	v_not_b32_e32 v69, v70
	v_ashrrev_i32_e32 v69, 31, v69
	v_xor_b32_e32 v70, vcc_hi, v69
	v_xor_b32_e32 v69, vcc_lo, v69
	v_and_b32_e32 v204, v204, v70
	v_and_b32_e32 v205, v205, v69
	;; [unrolled: 9-line block ×5, first 2 shown]
	v_lshlrev_b32_e32 v70, 25, v202
	v_mov_b32_e32 v69, v3
	v_cmp_gt_i64_e32 vcc, 0, v[69:70]
	v_not_b32_e32 v69, v70
	v_ashrrev_i32_e32 v69, 31, v69
	v_xor_b32_e32 v70, vcc_hi, v69
	v_xor_b32_e32 v69, vcc_lo, v69
	v_and_b32_e32 v69, v205, v69
	v_mul_u32_u24_e32 v203, 20, v202
	v_and_b32_e32 v70, v204, v70
	v_mbcnt_lo_u32_b32 v202, v69, 0
	v_mbcnt_hi_u32_b32 v202, v70, v202
	v_cmp_ne_u64_e32 vcc, 0, v[69:70]
	v_cmp_eq_u32_e64 s[40:41], 0, v202
	s_and_b64 s[42:43], vcc, s[40:41]
	v_add_u32_e32 v205, v171, v203
	; wave barrier
	s_and_saveexec_b64 s[40:41], s[42:43]
	s_cbranch_execz .LBB738_454
; %bb.453:                              ;   in Loop: Header=BB738_398 Depth=2
	v_bcnt_u32_b32 v69, v69, 0
	v_bcnt_u32_b32 v69, v70, v69
	s_waitcnt lgkmcnt(0)
	v_add_u32_e32 v69, v200, v69
	ds_write_b32 v205, v69 offset:528
.LBB738_454:                            ;   in Loop: Header=BB738_398 Depth=2
	s_or_b64 exec, exec, s[40:41]
	v_xor_b32_e32 v60, 0x7fffffff, v60
	v_not_b32_e32 v59, v59
	v_lshrrev_b64 v[69:70], s97, v[59:60]
	v_and_b32_e32 v204, s99, v69
	v_mad_u32_u24 v69, v204, 20, v171
	; wave barrier
	ds_read_b32 v203, v69 offset:528
	v_and_b32_e32 v69, 1, v204
	v_add_co_u32_e32 v70, vcc, -1, v69
	v_addc_co_u32_e64 v207, s[40:41], 0, -1, vcc
	v_cmp_ne_u32_e32 vcc, 0, v69
	v_xor_b32_e32 v69, vcc_hi, v207
	v_xor_b32_e32 v70, vcc_lo, v70
	v_and_b32_e32 v207, exec_hi, v69
	v_and_b32_e32 v208, exec_lo, v70
	v_lshlrev_b32_e32 v70, 30, v204
	v_mov_b32_e32 v69, v3
	v_cmp_gt_i64_e32 vcc, 0, v[69:70]
	v_not_b32_e32 v69, v70
	v_ashrrev_i32_e32 v69, 31, v69
	v_xor_b32_e32 v70, vcc_hi, v69
	v_xor_b32_e32 v69, vcc_lo, v69
	v_and_b32_e32 v207, v207, v70
	v_and_b32_e32 v208, v208, v69
	v_lshlrev_b32_e32 v70, 29, v204
	v_mov_b32_e32 v69, v3
	v_cmp_gt_i64_e32 vcc, 0, v[69:70]
	v_not_b32_e32 v69, v70
	v_ashrrev_i32_e32 v69, 31, v69
	v_xor_b32_e32 v70, vcc_hi, v69
	v_xor_b32_e32 v69, vcc_lo, v69
	v_and_b32_e32 v207, v207, v70
	v_and_b32_e32 v208, v208, v69
	;; [unrolled: 9-line block ×5, first 2 shown]
	v_lshlrev_b32_e32 v70, 25, v204
	v_mov_b32_e32 v69, v3
	v_cmp_gt_i64_e32 vcc, 0, v[69:70]
	v_not_b32_e32 v69, v70
	v_ashrrev_i32_e32 v69, 31, v69
	v_xor_b32_e32 v70, vcc_hi, v69
	v_xor_b32_e32 v69, vcc_lo, v69
	v_and_b32_e32 v69, v208, v69
	v_mul_u32_u24_e32 v206, 20, v204
	v_and_b32_e32 v70, v207, v70
	v_mbcnt_lo_u32_b32 v204, v69, 0
	v_mbcnt_hi_u32_b32 v204, v70, v204
	v_cmp_ne_u64_e32 vcc, 0, v[69:70]
	v_cmp_eq_u32_e64 s[40:41], 0, v204
	s_and_b64 s[42:43], vcc, s[40:41]
	v_add_u32_e32 v208, v171, v206
	; wave barrier
	s_and_saveexec_b64 s[40:41], s[42:43]
	s_cbranch_execz .LBB738_456
; %bb.455:                              ;   in Loop: Header=BB738_398 Depth=2
	v_bcnt_u32_b32 v69, v69, 0
	v_bcnt_u32_b32 v69, v70, v69
	s_waitcnt lgkmcnt(0)
	v_add_u32_e32 v69, v203, v69
	ds_write_b32 v208, v69 offset:528
.LBB738_456:                            ;   in Loop: Header=BB738_398 Depth=2
	s_or_b64 exec, exec, s[40:41]
	v_xor_b32_e32 v56, 0x7fffffff, v56
	v_not_b32_e32 v55, v55
	v_lshrrev_b64 v[69:70], s97, v[55:56]
	v_and_b32_e32 v207, s99, v69
	v_mad_u32_u24 v69, v207, 20, v171
	; wave barrier
	ds_read_b32 v206, v69 offset:528
	v_and_b32_e32 v69, 1, v207
	v_add_co_u32_e32 v70, vcc, -1, v69
	v_addc_co_u32_e64 v210, s[40:41], 0, -1, vcc
	v_cmp_ne_u32_e32 vcc, 0, v69
	v_xor_b32_e32 v69, vcc_hi, v210
	v_xor_b32_e32 v70, vcc_lo, v70
	v_and_b32_e32 v210, exec_hi, v69
	v_and_b32_e32 v211, exec_lo, v70
	v_lshlrev_b32_e32 v70, 30, v207
	v_mov_b32_e32 v69, v3
	v_cmp_gt_i64_e32 vcc, 0, v[69:70]
	v_not_b32_e32 v69, v70
	v_ashrrev_i32_e32 v69, 31, v69
	v_xor_b32_e32 v70, vcc_hi, v69
	v_xor_b32_e32 v69, vcc_lo, v69
	v_and_b32_e32 v210, v210, v70
	v_and_b32_e32 v211, v211, v69
	v_lshlrev_b32_e32 v70, 29, v207
	v_mov_b32_e32 v69, v3
	v_cmp_gt_i64_e32 vcc, 0, v[69:70]
	v_not_b32_e32 v69, v70
	v_ashrrev_i32_e32 v69, 31, v69
	v_xor_b32_e32 v70, vcc_hi, v69
	v_xor_b32_e32 v69, vcc_lo, v69
	v_and_b32_e32 v210, v210, v70
	v_and_b32_e32 v211, v211, v69
	;; [unrolled: 9-line block ×5, first 2 shown]
	v_lshlrev_b32_e32 v70, 25, v207
	v_mov_b32_e32 v69, v3
	v_cmp_gt_i64_e32 vcc, 0, v[69:70]
	v_not_b32_e32 v69, v70
	v_ashrrev_i32_e32 v69, 31, v69
	v_xor_b32_e32 v70, vcc_hi, v69
	v_xor_b32_e32 v69, vcc_lo, v69
	v_and_b32_e32 v69, v211, v69
	v_mul_u32_u24_e32 v209, 20, v207
	v_and_b32_e32 v70, v210, v70
	v_mbcnt_lo_u32_b32 v207, v69, 0
	v_mbcnt_hi_u32_b32 v207, v70, v207
	v_cmp_ne_u64_e32 vcc, 0, v[69:70]
	v_cmp_eq_u32_e64 s[40:41], 0, v207
	s_and_b64 s[42:43], vcc, s[40:41]
	v_add_u32_e32 v211, v171, v209
	; wave barrier
	s_and_saveexec_b64 s[40:41], s[42:43]
	s_cbranch_execz .LBB738_458
; %bb.457:                              ;   in Loop: Header=BB738_398 Depth=2
	v_bcnt_u32_b32 v69, v69, 0
	v_bcnt_u32_b32 v69, v70, v69
	s_waitcnt lgkmcnt(0)
	v_add_u32_e32 v69, v206, v69
	ds_write_b32 v211, v69 offset:528
.LBB738_458:                            ;   in Loop: Header=BB738_398 Depth=2
	s_or_b64 exec, exec, s[40:41]
	v_xor_b32_e32 v52, 0x7fffffff, v52
	v_not_b32_e32 v51, v51
	v_lshrrev_b64 v[69:70], s97, v[51:52]
	v_and_b32_e32 v210, s99, v69
	v_mad_u32_u24 v69, v210, 20, v171
	; wave barrier
	ds_read_b32 v209, v69 offset:528
	v_and_b32_e32 v69, 1, v210
	v_add_co_u32_e32 v70, vcc, -1, v69
	v_addc_co_u32_e64 v213, s[40:41], 0, -1, vcc
	v_cmp_ne_u32_e32 vcc, 0, v69
	v_xor_b32_e32 v69, vcc_hi, v213
	v_xor_b32_e32 v70, vcc_lo, v70
	v_and_b32_e32 v213, exec_hi, v69
	v_and_b32_e32 v214, exec_lo, v70
	v_lshlrev_b32_e32 v70, 30, v210
	v_mov_b32_e32 v69, v3
	v_cmp_gt_i64_e32 vcc, 0, v[69:70]
	v_not_b32_e32 v69, v70
	v_ashrrev_i32_e32 v69, 31, v69
	v_xor_b32_e32 v70, vcc_hi, v69
	v_xor_b32_e32 v69, vcc_lo, v69
	v_and_b32_e32 v213, v213, v70
	v_and_b32_e32 v214, v214, v69
	v_lshlrev_b32_e32 v70, 29, v210
	v_mov_b32_e32 v69, v3
	v_cmp_gt_i64_e32 vcc, 0, v[69:70]
	v_not_b32_e32 v69, v70
	v_ashrrev_i32_e32 v69, 31, v69
	v_xor_b32_e32 v70, vcc_hi, v69
	v_xor_b32_e32 v69, vcc_lo, v69
	v_and_b32_e32 v213, v213, v70
	v_and_b32_e32 v214, v214, v69
	;; [unrolled: 9-line block ×5, first 2 shown]
	v_lshlrev_b32_e32 v70, 25, v210
	v_mov_b32_e32 v69, v3
	v_cmp_gt_i64_e32 vcc, 0, v[69:70]
	v_not_b32_e32 v69, v70
	v_ashrrev_i32_e32 v69, 31, v69
	v_xor_b32_e32 v70, vcc_hi, v69
	v_xor_b32_e32 v69, vcc_lo, v69
	v_and_b32_e32 v69, v214, v69
	v_mul_u32_u24_e32 v212, 20, v210
	v_and_b32_e32 v70, v213, v70
	v_mbcnt_lo_u32_b32 v210, v69, 0
	v_mbcnt_hi_u32_b32 v210, v70, v210
	v_cmp_ne_u64_e32 vcc, 0, v[69:70]
	v_cmp_eq_u32_e64 s[40:41], 0, v210
	s_and_b64 s[42:43], vcc, s[40:41]
	v_add_u32_e32 v214, v171, v212
	; wave barrier
	s_and_saveexec_b64 s[40:41], s[42:43]
	s_cbranch_execz .LBB738_460
; %bb.459:                              ;   in Loop: Header=BB738_398 Depth=2
	v_bcnt_u32_b32 v69, v69, 0
	v_bcnt_u32_b32 v69, v70, v69
	s_waitcnt lgkmcnt(0)
	v_add_u32_e32 v69, v209, v69
	ds_write_b32 v214, v69 offset:528
.LBB738_460:                            ;   in Loop: Header=BB738_398 Depth=2
	s_or_b64 exec, exec, s[40:41]
	v_xor_b32_e32 v48, 0x7fffffff, v48
	v_not_b32_e32 v47, v47
	v_lshrrev_b64 v[69:70], s97, v[47:48]
	v_and_b32_e32 v213, s99, v69
	v_mad_u32_u24 v69, v213, 20, v171
	; wave barrier
	ds_read_b32 v212, v69 offset:528
	v_and_b32_e32 v69, 1, v213
	v_add_co_u32_e32 v70, vcc, -1, v69
	v_addc_co_u32_e64 v216, s[40:41], 0, -1, vcc
	v_cmp_ne_u32_e32 vcc, 0, v69
	v_xor_b32_e32 v69, vcc_hi, v216
	v_xor_b32_e32 v70, vcc_lo, v70
	v_and_b32_e32 v216, exec_hi, v69
	v_and_b32_e32 v217, exec_lo, v70
	v_lshlrev_b32_e32 v70, 30, v213
	v_mov_b32_e32 v69, v3
	v_cmp_gt_i64_e32 vcc, 0, v[69:70]
	v_not_b32_e32 v69, v70
	v_ashrrev_i32_e32 v69, 31, v69
	v_xor_b32_e32 v70, vcc_hi, v69
	v_xor_b32_e32 v69, vcc_lo, v69
	v_and_b32_e32 v216, v216, v70
	v_and_b32_e32 v217, v217, v69
	v_lshlrev_b32_e32 v70, 29, v213
	v_mov_b32_e32 v69, v3
	v_cmp_gt_i64_e32 vcc, 0, v[69:70]
	v_not_b32_e32 v69, v70
	v_ashrrev_i32_e32 v69, 31, v69
	v_xor_b32_e32 v70, vcc_hi, v69
	v_xor_b32_e32 v69, vcc_lo, v69
	v_and_b32_e32 v216, v216, v70
	v_and_b32_e32 v217, v217, v69
	;; [unrolled: 9-line block ×5, first 2 shown]
	v_lshlrev_b32_e32 v70, 25, v213
	v_mov_b32_e32 v69, v3
	v_cmp_gt_i64_e32 vcc, 0, v[69:70]
	v_not_b32_e32 v69, v70
	v_ashrrev_i32_e32 v69, 31, v69
	v_xor_b32_e32 v70, vcc_hi, v69
	v_xor_b32_e32 v69, vcc_lo, v69
	v_and_b32_e32 v69, v217, v69
	v_mul_u32_u24_e32 v215, 20, v213
	v_and_b32_e32 v70, v216, v70
	v_mbcnt_lo_u32_b32 v213, v69, 0
	v_mbcnt_hi_u32_b32 v213, v70, v213
	v_cmp_ne_u64_e32 vcc, 0, v[69:70]
	v_cmp_eq_u32_e64 s[40:41], 0, v213
	s_and_b64 s[42:43], vcc, s[40:41]
	v_add_u32_e32 v217, v171, v215
	; wave barrier
	s_and_saveexec_b64 s[40:41], s[42:43]
	s_cbranch_execz .LBB738_462
; %bb.461:                              ;   in Loop: Header=BB738_398 Depth=2
	v_bcnt_u32_b32 v69, v69, 0
	v_bcnt_u32_b32 v69, v70, v69
	s_waitcnt lgkmcnt(0)
	v_add_u32_e32 v69, v212, v69
	ds_write_b32 v217, v69 offset:528
.LBB738_462:                            ;   in Loop: Header=BB738_398 Depth=2
	s_or_b64 exec, exec, s[40:41]
	v_xor_b32_e32 v44, 0x7fffffff, v44
	v_not_b32_e32 v43, v43
	v_lshrrev_b64 v[69:70], s97, v[43:44]
	v_and_b32_e32 v216, s99, v69
	v_mad_u32_u24 v69, v216, 20, v171
	; wave barrier
	ds_read_b32 v215, v69 offset:528
	v_and_b32_e32 v69, 1, v216
	v_add_co_u32_e32 v70, vcc, -1, v69
	v_addc_co_u32_e64 v219, s[40:41], 0, -1, vcc
	v_cmp_ne_u32_e32 vcc, 0, v69
	v_xor_b32_e32 v69, vcc_hi, v219
	v_xor_b32_e32 v70, vcc_lo, v70
	v_and_b32_e32 v219, exec_hi, v69
	v_and_b32_e32 v220, exec_lo, v70
	v_lshlrev_b32_e32 v70, 30, v216
	v_mov_b32_e32 v69, v3
	v_cmp_gt_i64_e32 vcc, 0, v[69:70]
	v_not_b32_e32 v69, v70
	v_ashrrev_i32_e32 v69, 31, v69
	v_xor_b32_e32 v70, vcc_hi, v69
	v_xor_b32_e32 v69, vcc_lo, v69
	v_and_b32_e32 v219, v219, v70
	v_and_b32_e32 v220, v220, v69
	v_lshlrev_b32_e32 v70, 29, v216
	v_mov_b32_e32 v69, v3
	v_cmp_gt_i64_e32 vcc, 0, v[69:70]
	v_not_b32_e32 v69, v70
	v_ashrrev_i32_e32 v69, 31, v69
	v_xor_b32_e32 v70, vcc_hi, v69
	v_xor_b32_e32 v69, vcc_lo, v69
	v_and_b32_e32 v219, v219, v70
	v_and_b32_e32 v220, v220, v69
	;; [unrolled: 9-line block ×5, first 2 shown]
	v_lshlrev_b32_e32 v70, 25, v216
	v_mov_b32_e32 v69, v3
	v_cmp_gt_i64_e32 vcc, 0, v[69:70]
	v_not_b32_e32 v69, v70
	v_ashrrev_i32_e32 v69, 31, v69
	v_xor_b32_e32 v70, vcc_hi, v69
	v_xor_b32_e32 v69, vcc_lo, v69
	v_and_b32_e32 v69, v220, v69
	v_mul_u32_u24_e32 v218, 20, v216
	v_and_b32_e32 v70, v219, v70
	v_mbcnt_lo_u32_b32 v216, v69, 0
	v_mbcnt_hi_u32_b32 v216, v70, v216
	v_cmp_ne_u64_e32 vcc, 0, v[69:70]
	v_cmp_eq_u32_e64 s[40:41], 0, v216
	s_and_b64 s[42:43], vcc, s[40:41]
	v_add_u32_e32 v220, v171, v218
	; wave barrier
	s_and_saveexec_b64 s[40:41], s[42:43]
	s_cbranch_execz .LBB738_464
; %bb.463:                              ;   in Loop: Header=BB738_398 Depth=2
	v_bcnt_u32_b32 v69, v69, 0
	v_bcnt_u32_b32 v69, v70, v69
	s_waitcnt lgkmcnt(0)
	v_add_u32_e32 v69, v215, v69
	ds_write_b32 v220, v69 offset:528
.LBB738_464:                            ;   in Loop: Header=BB738_398 Depth=2
	s_or_b64 exec, exec, s[40:41]
	v_lshrrev_b64 v[69:70], s97, v[37:38]
	v_and_b32_e32 v219, s99, v69
	v_mad_u32_u24 v69, v219, 20, v171
	; wave barrier
	ds_read_b32 v218, v69 offset:528
	v_and_b32_e32 v69, 1, v219
	v_add_co_u32_e32 v70, vcc, -1, v69
	v_addc_co_u32_e64 v222, s[40:41], 0, -1, vcc
	v_cmp_ne_u32_e32 vcc, 0, v69
	v_xor_b32_e32 v69, vcc_hi, v222
	v_xor_b32_e32 v70, vcc_lo, v70
	v_and_b32_e32 v222, exec_hi, v69
	v_and_b32_e32 v223, exec_lo, v70
	v_lshlrev_b32_e32 v70, 30, v219
	v_mov_b32_e32 v69, v3
	v_cmp_gt_i64_e32 vcc, 0, v[69:70]
	v_not_b32_e32 v69, v70
	v_ashrrev_i32_e32 v69, 31, v69
	v_xor_b32_e32 v70, vcc_hi, v69
	v_xor_b32_e32 v69, vcc_lo, v69
	v_and_b32_e32 v222, v222, v70
	v_and_b32_e32 v223, v223, v69
	v_lshlrev_b32_e32 v70, 29, v219
	v_mov_b32_e32 v69, v3
	v_cmp_gt_i64_e32 vcc, 0, v[69:70]
	v_not_b32_e32 v69, v70
	v_ashrrev_i32_e32 v69, 31, v69
	v_xor_b32_e32 v70, vcc_hi, v69
	v_xor_b32_e32 v69, vcc_lo, v69
	v_and_b32_e32 v222, v222, v70
	v_and_b32_e32 v223, v223, v69
	;; [unrolled: 9-line block ×5, first 2 shown]
	v_lshlrev_b32_e32 v70, 25, v219
	v_mov_b32_e32 v69, v3
	v_cmp_gt_i64_e32 vcc, 0, v[69:70]
	v_not_b32_e32 v69, v70
	v_ashrrev_i32_e32 v69, 31, v69
	v_xor_b32_e32 v70, vcc_hi, v69
	v_xor_b32_e32 v69, vcc_lo, v69
	v_and_b32_e32 v69, v223, v69
	v_mul_u32_u24_e32 v221, 20, v219
	v_and_b32_e32 v70, v222, v70
	v_mbcnt_lo_u32_b32 v219, v69, 0
	v_mbcnt_hi_u32_b32 v219, v70, v219
	v_cmp_ne_u64_e32 vcc, 0, v[69:70]
	v_cmp_eq_u32_e64 s[40:41], 0, v219
	s_and_b64 s[42:43], vcc, s[40:41]
	v_add_u32_e32 v221, v171, v221
	; wave barrier
	s_and_saveexec_b64 s[40:41], s[42:43]
	s_cbranch_execz .LBB738_466
; %bb.465:                              ;   in Loop: Header=BB738_398 Depth=2
	v_bcnt_u32_b32 v69, v69, 0
	v_bcnt_u32_b32 v69, v70, v69
	s_waitcnt lgkmcnt(0)
	v_add_u32_e32 v69, v218, v69
	ds_write_b32 v221, v69 offset:528
.LBB738_466:                            ;   in Loop: Header=BB738_398 Depth=2
	s_or_b64 exec, exec, s[40:41]
	; wave barrier
	s_waitcnt lgkmcnt(0)
	s_barrier
	ds_read2_b32 v[69:70], v90 offset0:132 offset1:133
	ds_read_b32 v222, v90 offset:536
	s_waitcnt lgkmcnt(0)
	v_add3_u32 v222, v70, v69, v222
	s_nop 1
	v_mov_b32_dpp v223, v222 row_shr:1 row_mask:0xf bank_mask:0xf
	v_cndmask_b32_e64 v223, v223, 0, s[20:21]
	v_add_u32_e32 v222, v223, v222
	s_nop 1
	v_mov_b32_dpp v223, v222 row_shr:2 row_mask:0xf bank_mask:0xf
	v_cndmask_b32_e64 v223, 0, v223, s[22:23]
	v_add_u32_e32 v222, v222, v223
	;; [unrolled: 4-line block ×4, first 2 shown]
	s_nop 1
	v_mov_b32_dpp v223, v222 row_bcast:15 row_mask:0xf bank_mask:0xf
	v_cndmask_b32_e64 v223, v223, 0, s[28:29]
	v_add_u32_e32 v222, v222, v223
	s_nop 1
	v_mov_b32_dpp v223, v222 row_bcast:31 row_mask:0xf bank_mask:0xf
	v_cndmask_b32_e64 v223, 0, v223, s[30:31]
	v_add_u32_e32 v222, v222, v223
	s_and_saveexec_b64 s[40:41], s[12:13]
; %bb.467:                              ;   in Loop: Header=BB738_398 Depth=2
	ds_write_b32 v92, v222 offset:512
; %bb.468:                              ;   in Loop: Header=BB738_398 Depth=2
	s_or_b64 exec, exec, s[40:41]
	s_waitcnt lgkmcnt(0)
	s_barrier
	s_and_saveexec_b64 s[40:41], s[14:15]
	s_cbranch_execz .LBB738_470
; %bb.469:                              ;   in Loop: Header=BB738_398 Depth=2
	ds_read_b32 v223, v97 offset:512
	s_waitcnt lgkmcnt(0)
	s_nop 0
	v_mov_b32_dpp v224, v223 row_shr:1 row_mask:0xf bank_mask:0xf
	v_cndmask_b32_e64 v224, v224, 0, s[36:37]
	v_add_u32_e32 v223, v224, v223
	s_nop 1
	v_mov_b32_dpp v224, v223 row_shr:2 row_mask:0xf bank_mask:0xf
	v_cndmask_b32_e64 v224, 0, v224, s[38:39]
	v_add_u32_e32 v223, v223, v224
	ds_write_b32 v97, v223 offset:512
.LBB738_470:                            ;   in Loop: Header=BB738_398 Depth=2
	s_or_b64 exec, exec, s[40:41]
	v_mov_b32_e32 v223, 0
	s_waitcnt lgkmcnt(0)
	s_barrier
	s_and_saveexec_b64 s[40:41], s[10:11]
; %bb.471:                              ;   in Loop: Header=BB738_398 Depth=2
	ds_read_b32 v223, v92 offset:508
; %bb.472:                              ;   in Loop: Header=BB738_398 Depth=2
	s_or_b64 exec, exec, s[40:41]
	s_waitcnt lgkmcnt(0)
	v_add_u32_e32 v222, v223, v222
	ds_bpermute_b32 v222, v134, v222
	s_waitcnt lgkmcnt(0)
	v_cndmask_b32_e64 v222, v222, v223, s[34:35]
	v_cndmask_b32_e64 v222, v222, 0, s[16:17]
	v_add_u32_e32 v69, v222, v69
	v_add_u32_e32 v70, v69, v70
	ds_write2_b32 v90, v222, v69 offset0:132 offset1:133
	ds_write_b32 v90, v70 offset:536
	s_waitcnt lgkmcnt(0)
	s_barrier
	ds_read_b32 v69, v177 offset:528
	ds_read_b32 v227, v180 offset:528
	;; [unrolled: 1-line block ×16, first 2 shown]
	s_and_saveexec_b64 s[40:41], s[4:5]
	s_cbranch_execz .LBB738_476
; %bb.473:                              ;   in Loop: Header=BB738_398 Depth=2
	ds_read_b32 v172, v99 offset:528
	v_mov_b32_e32 v173, 0x1000
	s_and_saveexec_b64 s[42:43], s[18:19]
; %bb.474:                              ;   in Loop: Header=BB738_398 Depth=2
	ds_read_b32 v173, v98 offset:528
; %bb.475:                              ;   in Loop: Header=BB738_398 Depth=2
	s_or_b64 exec, exec, s[42:43]
	s_waitcnt lgkmcnt(0)
	v_sub_u32_e32 v173, v173, v172
.LBB738_476:                            ;   in Loop: Header=BB738_398 Depth=2
	s_or_b64 exec, exec, s[40:41]
	s_waitcnt lgkmcnt(0)
	s_barrier
	s_and_saveexec_b64 s[40:41], s[4:5]
	s_cbranch_execz .LBB738_478
; %bb.477:                              ;   in Loop: Header=BB738_398 Depth=2
	ds_read_b32 v201, v71
	s_waitcnt lgkmcnt(0)
	v_sub_u32_e32 v201, v201, v172
	ds_write_b32 v71, v201
.LBB738_478:                            ;   in Loop: Header=BB738_398 Depth=2
	s_or_b64 exec, exec, s[40:41]
	v_lshlrev_b32_e32 v175, 3, v175
	v_lshl_add_u32 v69, v69, 3, v175
	ds_write_b64 v69, v[39:40] offset:512
	v_lshlrev_b32_e32 v39, 3, v178
	v_lshlrev_b32_e32 v40, 3, v176
	v_lshlrev_b32_e32 v175, 3, v227
	v_add3_u32 v39, v39, v40, v175
	ds_write_b64 v39, v[41:42] offset:512
	v_lshlrev_b32_e32 v40, 3, v181
	v_lshlrev_b32_e32 v41, 3, v179
	v_lshlrev_b32_e32 v42, 3, v226
	v_add3_u32 v40, v40, v41, v42
	;; [unrolled: 5-line block ×3, first 2 shown]
	v_lshlrev_b32_e32 v42, 3, v187
	v_lshlrev_b32_e32 v45, 3, v185
	v_lshlrev_b32_e32 v46, 3, v224
	ds_write_b64 v41, v[49:50] offset:512
	v_add3_u32 v42, v42, v45, v46
	v_lshlrev_b32_e32 v45, 3, v190
	v_lshlrev_b32_e32 v46, 3, v188
	v_lshlrev_b32_e32 v49, 3, v223
	v_add3_u32 v45, v45, v46, v49
	v_lshlrev_b32_e32 v46, 3, v193
	v_lshlrev_b32_e32 v49, 3, v191
	v_lshlrev_b32_e32 v50, 3, v222
	ds_write_b64 v42, v[53:54] offset:512
	v_add3_u32 v46, v46, v49, v50
	v_lshlrev_b32_e32 v49, 3, v196
	v_lshlrev_b32_e32 v50, 3, v194
	v_lshlrev_b32_e32 v53, 3, v198
	v_add3_u32 v49, v49, v50, v53
	;; [unrolled: 9-line block ×3, first 2 shown]
	v_lshlrev_b32_e32 v54, 3, v204
	v_lshlrev_b32_e32 v57, 3, v203
	v_lshlrev_b32_e32 v58, 3, v189
	v_add3_u32 v54, v54, v57, v58
	ds_write_b64 v46, v[61:62] offset:512
	ds_write_b64 v49, v[67:68] offset:512
	;; [unrolled: 1-line block ×5, first 2 shown]
	v_lshlrev_b32_e32 v57, 3, v207
	v_lshlrev_b32_e32 v58, 3, v206
	v_lshlrev_b32_e32 v59, 3, v186
	v_add3_u32 v57, v57, v58, v59
	ds_write_b64 v57, v[55:56] offset:512
	v_lshlrev_b32_e32 v55, 3, v210
	v_lshlrev_b32_e32 v56, 3, v209
	v_lshlrev_b32_e32 v58, 3, v183
	v_add3_u32 v55, v55, v56, v58
	ds_write_b64 v55, v[51:52] offset:512
	v_lshlrev_b32_e32 v51, 3, v213
	v_lshlrev_b32_e32 v52, 3, v212
	v_lshlrev_b32_e32 v56, 3, v180
	v_add3_u32 v51, v51, v52, v56
	ds_write_b64 v51, v[47:48] offset:512
	v_lshlrev_b32_e32 v47, 3, v216
	v_lshlrev_b32_e32 v48, 3, v215
	v_lshlrev_b32_e32 v52, 3, v177
	v_add3_u32 v47, v47, v48, v52
	ds_write_b64 v47, v[43:44] offset:512
	v_lshlrev_b32_e32 v43, 3, v219
	v_lshlrev_b32_e32 v44, 3, v218
	;; [unrolled: 1-line block ×3, first 2 shown]
	v_add3_u32 v43, v43, v44, v48
	v_cmp_lt_u32_e64 s[40:41], v0, v174
	ds_write_b64 v43, v[37:38] offset:512
	s_waitcnt lgkmcnt(0)
	s_barrier
	s_and_saveexec_b64 s[42:43], s[40:41]
	s_cbranch_execnz .LBB738_547
; %bb.479:                              ;   in Loop: Header=BB738_398 Depth=2
	s_or_b64 exec, exec, s[42:43]
	v_cmp_lt_u32_e64 s[42:43], v72, v174
	s_and_saveexec_b64 s[44:45], s[42:43]
	s_cbranch_execnz .LBB738_548
.LBB738_480:                            ;   in Loop: Header=BB738_398 Depth=2
	s_or_b64 exec, exec, s[44:45]
	v_cmp_lt_u32_e64 s[44:45], v75, v174
	s_and_saveexec_b64 s[46:47], s[44:45]
	s_cbranch_execnz .LBB738_549
.LBB738_481:                            ;   in Loop: Header=BB738_398 Depth=2
	s_or_b64 exec, exec, s[46:47]
	v_cmp_lt_u32_e64 s[46:47], v76, v174
	s_and_saveexec_b64 s[48:49], s[46:47]
	s_cbranch_execnz .LBB738_550
.LBB738_482:                            ;   in Loop: Header=BB738_398 Depth=2
	s_or_b64 exec, exec, s[48:49]
	v_cmp_lt_u32_e64 s[48:49], v77, v174
	s_and_saveexec_b64 s[50:51], s[48:49]
	s_cbranch_execnz .LBB738_551
.LBB738_483:                            ;   in Loop: Header=BB738_398 Depth=2
	s_or_b64 exec, exec, s[50:51]
	v_cmp_lt_u32_e64 s[50:51], v78, v174
	s_and_saveexec_b64 s[52:53], s[50:51]
	s_cbranch_execnz .LBB738_552
.LBB738_484:                            ;   in Loop: Header=BB738_398 Depth=2
	s_or_b64 exec, exec, s[52:53]
	v_cmp_lt_u32_e64 s[52:53], v79, v174
	s_and_saveexec_b64 s[54:55], s[52:53]
	s_cbranch_execnz .LBB738_553
.LBB738_485:                            ;   in Loop: Header=BB738_398 Depth=2
	s_or_b64 exec, exec, s[54:55]
	v_cmp_lt_u32_e64 s[54:55], v80, v174
	s_and_saveexec_b64 s[56:57], s[54:55]
	s_cbranch_execnz .LBB738_554
.LBB738_486:                            ;   in Loop: Header=BB738_398 Depth=2
	s_or_b64 exec, exec, s[56:57]
	v_cmp_lt_u32_e64 s[56:57], v81, v174
	s_and_saveexec_b64 s[58:59], s[56:57]
	s_cbranch_execnz .LBB738_555
.LBB738_487:                            ;   in Loop: Header=BB738_398 Depth=2
	s_or_b64 exec, exec, s[58:59]
	v_cmp_lt_u32_e64 s[58:59], v82, v174
	s_and_saveexec_b64 s[60:61], s[58:59]
	s_cbranch_execnz .LBB738_556
.LBB738_488:                            ;   in Loop: Header=BB738_398 Depth=2
	s_or_b64 exec, exec, s[60:61]
	v_cmp_lt_u32_e64 s[60:61], v83, v174
	s_and_saveexec_b64 s[62:63], s[60:61]
	s_cbranch_execnz .LBB738_557
.LBB738_489:                            ;   in Loop: Header=BB738_398 Depth=2
	s_or_b64 exec, exec, s[62:63]
	v_cmp_lt_u32_e64 s[62:63], v84, v174
	s_and_saveexec_b64 s[64:65], s[62:63]
	s_cbranch_execnz .LBB738_558
.LBB738_490:                            ;   in Loop: Header=BB738_398 Depth=2
	s_or_b64 exec, exec, s[64:65]
	v_cmp_lt_u32_e64 s[64:65], v85, v174
	s_and_saveexec_b64 s[66:67], s[64:65]
	s_cbranch_execnz .LBB738_559
.LBB738_491:                            ;   in Loop: Header=BB738_398 Depth=2
	s_or_b64 exec, exec, s[66:67]
	v_cmp_lt_u32_e64 s[66:67], v86, v174
	s_and_saveexec_b64 s[68:69], s[66:67]
	s_cbranch_execnz .LBB738_560
.LBB738_492:                            ;   in Loop: Header=BB738_398 Depth=2
	s_or_b64 exec, exec, s[68:69]
	v_cmp_lt_u32_e64 s[68:69], v87, v174
	s_and_saveexec_b64 s[70:71], s[68:69]
	s_cbranch_execnz .LBB738_561
.LBB738_493:                            ;   in Loop: Header=BB738_398 Depth=2
	s_or_b64 exec, exec, s[70:71]
	v_cmp_lt_u32_e64 s[70:71], v88, v174
	s_and_saveexec_b64 s[82:83], s[70:71]
	s_cbranch_execz .LBB738_495
.LBB738_494:                            ;   in Loop: Header=BB738_398 Depth=2
	ds_read_b64 v[37:38], v104 offset:31232
	v_mov_b32_e32 v48, s81
	s_waitcnt lgkmcnt(0)
	v_lshrrev_b64 v[58:59], s97, v[37:38]
	v_mov_b32_e32 v59, v3
	v_and_b32_e32 v44, s99, v58
	v_lshlrev_b32_e32 v44, 2, v44
	ds_read_b32 v44, v44
	v_xor_b32_e32 v38, 0x7fffffff, v38
	v_not_b32_e32 v37, v37
	s_waitcnt lgkmcnt(0)
	v_add_u32_e32 v58, v44, v88
	v_lshlrev_b64 v[58:59], 3, v[58:59]
	v_add_co_u32_e32 v58, vcc, s80, v58
	v_addc_co_u32_e32 v59, vcc, v48, v59, vcc
	global_store_dwordx2 v[58:59], v[37:38], off
.LBB738_495:                            ;   in Loop: Header=BB738_398 Depth=2
	s_or_b64 exec, exec, s[82:83]
	s_lshl_b64 s[82:83], s[92:93], 3
	v_mov_b32_e32 v38, s83
	v_add_co_u32_e32 v37, vcc, s82, v152
	v_addc_co_u32_e32 v38, vcc, v153, v38, vcc
	v_cmp_lt_u32_e32 vcc, v151, v174
	s_and_saveexec_b64 s[82:83], vcc
	s_xor_b64 s[82:83], exec, s[82:83]
	s_cbranch_execnz .LBB738_562
; %bb.496:                              ;   in Loop: Header=BB738_398 Depth=2
	s_or_b64 exec, exec, s[82:83]
	v_cmp_lt_u32_e32 vcc, v154, v174
	s_and_saveexec_b64 s[82:83], vcc
	s_cbranch_execnz .LBB738_563
.LBB738_497:                            ;   in Loop: Header=BB738_398 Depth=2
	s_or_b64 exec, exec, s[82:83]
	v_cmp_lt_u32_e32 vcc, v155, v174
	s_and_saveexec_b64 s[82:83], vcc
	s_cbranch_execnz .LBB738_564
.LBB738_498:                            ;   in Loop: Header=BB738_398 Depth=2
	s_or_b64 exec, exec, s[82:83]
	v_cmp_lt_u32_e32 vcc, v156, v174
	s_and_saveexec_b64 s[82:83], vcc
	s_cbranch_execnz .LBB738_565
.LBB738_499:                            ;   in Loop: Header=BB738_398 Depth=2
	s_or_b64 exec, exec, s[82:83]
	v_cmp_lt_u32_e32 vcc, v157, v174
	s_and_saveexec_b64 s[82:83], vcc
	s_cbranch_execnz .LBB738_566
.LBB738_500:                            ;   in Loop: Header=BB738_398 Depth=2
	s_or_b64 exec, exec, s[82:83]
	v_cmp_lt_u32_e32 vcc, v158, v174
	s_and_saveexec_b64 s[82:83], vcc
	s_cbranch_execnz .LBB738_567
.LBB738_501:                            ;   in Loop: Header=BB738_398 Depth=2
	s_or_b64 exec, exec, s[82:83]
	v_cmp_lt_u32_e32 vcc, v159, v174
	s_and_saveexec_b64 s[82:83], vcc
	s_cbranch_execnz .LBB738_568
.LBB738_502:                            ;   in Loop: Header=BB738_398 Depth=2
	s_or_b64 exec, exec, s[82:83]
	v_cmp_lt_u32_e32 vcc, v160, v174
	s_and_saveexec_b64 s[82:83], vcc
	s_cbranch_execnz .LBB738_569
.LBB738_503:                            ;   in Loop: Header=BB738_398 Depth=2
	s_or_b64 exec, exec, s[82:83]
	v_cmp_lt_u32_e32 vcc, v161, v174
	s_and_saveexec_b64 s[82:83], vcc
	s_cbranch_execnz .LBB738_570
.LBB738_504:                            ;   in Loop: Header=BB738_398 Depth=2
	s_or_b64 exec, exec, s[82:83]
	v_cmp_lt_u32_e32 vcc, v162, v174
	s_and_saveexec_b64 s[82:83], vcc
	s_cbranch_execnz .LBB738_571
.LBB738_505:                            ;   in Loop: Header=BB738_398 Depth=2
	s_or_b64 exec, exec, s[82:83]
	v_cmp_lt_u32_e32 vcc, v163, v174
	s_and_saveexec_b64 s[82:83], vcc
	s_cbranch_execnz .LBB738_572
.LBB738_506:                            ;   in Loop: Header=BB738_398 Depth=2
	s_or_b64 exec, exec, s[82:83]
	v_cmp_lt_u32_e32 vcc, v164, v174
	s_and_saveexec_b64 s[82:83], vcc
	s_cbranch_execnz .LBB738_573
.LBB738_507:                            ;   in Loop: Header=BB738_398 Depth=2
	s_or_b64 exec, exec, s[82:83]
	v_cmp_lt_u32_e32 vcc, v165, v174
	s_and_saveexec_b64 s[82:83], vcc
	s_cbranch_execnz .LBB738_574
.LBB738_508:                            ;   in Loop: Header=BB738_398 Depth=2
	s_or_b64 exec, exec, s[82:83]
	v_cmp_lt_u32_e32 vcc, v166, v174
	s_and_saveexec_b64 s[82:83], vcc
	s_cbranch_execnz .LBB738_575
.LBB738_509:                            ;   in Loop: Header=BB738_398 Depth=2
	s_or_b64 exec, exec, s[82:83]
	v_cmp_lt_u32_e32 vcc, v167, v174
	s_and_saveexec_b64 s[82:83], vcc
	s_cbranch_execnz .LBB738_576
.LBB738_510:                            ;   in Loop: Header=BB738_398 Depth=2
	s_or_b64 exec, exec, s[82:83]
	v_cmp_lt_u32_e32 vcc, v168, v174
	s_and_saveexec_b64 s[82:83], vcc
	s_cbranch_execnz .LBB738_577
.LBB738_511:                            ;   in Loop: Header=BB738_398 Depth=2
	s_or_b64 exec, exec, s[82:83]
	s_and_saveexec_b64 s[82:83], s[40:41]
	s_cbranch_execnz .LBB738_578
.LBB738_512:                            ;   in Loop: Header=BB738_398 Depth=2
	s_or_b64 exec, exec, s[82:83]
	s_and_saveexec_b64 s[82:83], s[42:43]
	s_cbranch_execnz .LBB738_579
.LBB738_513:                            ;   in Loop: Header=BB738_398 Depth=2
	s_or_b64 exec, exec, s[82:83]
	s_and_saveexec_b64 s[82:83], s[44:45]
	s_cbranch_execnz .LBB738_580
.LBB738_514:                            ;   in Loop: Header=BB738_398 Depth=2
	s_or_b64 exec, exec, s[82:83]
	s_and_saveexec_b64 s[82:83], s[46:47]
	s_cbranch_execnz .LBB738_581
.LBB738_515:                            ;   in Loop: Header=BB738_398 Depth=2
	s_or_b64 exec, exec, s[82:83]
	s_and_saveexec_b64 s[82:83], s[48:49]
	s_cbranch_execnz .LBB738_582
.LBB738_516:                            ;   in Loop: Header=BB738_398 Depth=2
	s_or_b64 exec, exec, s[82:83]
	s_and_saveexec_b64 s[82:83], s[50:51]
	s_cbranch_execnz .LBB738_583
.LBB738_517:                            ;   in Loop: Header=BB738_398 Depth=2
	s_or_b64 exec, exec, s[82:83]
	s_and_saveexec_b64 s[82:83], s[52:53]
	s_cbranch_execnz .LBB738_584
.LBB738_518:                            ;   in Loop: Header=BB738_398 Depth=2
	s_or_b64 exec, exec, s[82:83]
	s_and_saveexec_b64 s[82:83], s[54:55]
	s_cbranch_execnz .LBB738_585
.LBB738_519:                            ;   in Loop: Header=BB738_398 Depth=2
	s_or_b64 exec, exec, s[82:83]
	s_and_saveexec_b64 s[82:83], s[56:57]
	s_cbranch_execnz .LBB738_586
.LBB738_520:                            ;   in Loop: Header=BB738_398 Depth=2
	s_or_b64 exec, exec, s[82:83]
	s_and_saveexec_b64 s[82:83], s[58:59]
	s_cbranch_execnz .LBB738_587
.LBB738_521:                            ;   in Loop: Header=BB738_398 Depth=2
	s_or_b64 exec, exec, s[82:83]
	s_and_saveexec_b64 s[82:83], s[60:61]
	s_cbranch_execnz .LBB738_588
.LBB738_522:                            ;   in Loop: Header=BB738_398 Depth=2
	s_or_b64 exec, exec, s[82:83]
	s_and_saveexec_b64 s[82:83], s[62:63]
	s_cbranch_execnz .LBB738_589
.LBB738_523:                            ;   in Loop: Header=BB738_398 Depth=2
	s_or_b64 exec, exec, s[82:83]
	s_and_saveexec_b64 s[82:83], s[64:65]
	s_cbranch_execnz .LBB738_590
.LBB738_524:                            ;   in Loop: Header=BB738_398 Depth=2
	s_or_b64 exec, exec, s[82:83]
	s_and_saveexec_b64 s[82:83], s[66:67]
	s_cbranch_execnz .LBB738_591
.LBB738_525:                            ;   in Loop: Header=BB738_398 Depth=2
	s_or_b64 exec, exec, s[82:83]
	s_and_saveexec_b64 s[82:83], s[68:69]
	s_cbranch_execnz .LBB738_592
.LBB738_526:                            ;   in Loop: Header=BB738_398 Depth=2
	s_or_b64 exec, exec, s[82:83]
	s_and_saveexec_b64 s[82:83], s[70:71]
	s_cbranch_execz .LBB738_528
.LBB738_527:                            ;   in Loop: Header=BB738_398 Depth=2
	ds_read_b64 v[37:38], v104 offset:31232
	s_waitcnt lgkmcnt(0)
	v_lshrrev_b64 v[37:38], s97, v[37:38]
	v_and_b32_e32 v135, s99, v37
.LBB738_528:                            ;   in Loop: Header=BB738_398 Depth=2
	s_or_b64 exec, exec, s[82:83]
	s_waitcnt vmcnt(0)
	s_barrier
	ds_write_b64 v69, v[35:36] offset:512
	ds_write_b64 v39, v[33:34] offset:512
	;; [unrolled: 1-line block ×16, first 2 shown]
	s_waitcnt lgkmcnt(0)
	s_barrier
	s_and_saveexec_b64 s[82:83], s[40:41]
	s_cbranch_execnz .LBB738_593
; %bb.529:                              ;   in Loop: Header=BB738_398 Depth=2
	s_or_b64 exec, exec, s[82:83]
	s_and_saveexec_b64 s[40:41], s[42:43]
	s_cbranch_execnz .LBB738_594
.LBB738_530:                            ;   in Loop: Header=BB738_398 Depth=2
	s_or_b64 exec, exec, s[40:41]
	s_and_saveexec_b64 s[40:41], s[44:45]
	s_cbranch_execnz .LBB738_595
.LBB738_531:                            ;   in Loop: Header=BB738_398 Depth=2
	s_or_b64 exec, exec, s[40:41]
	s_and_saveexec_b64 s[40:41], s[46:47]
	s_cbranch_execnz .LBB738_596
.LBB738_532:                            ;   in Loop: Header=BB738_398 Depth=2
	s_or_b64 exec, exec, s[40:41]
	s_and_saveexec_b64 s[40:41], s[48:49]
	s_cbranch_execnz .LBB738_597
.LBB738_533:                            ;   in Loop: Header=BB738_398 Depth=2
	s_or_b64 exec, exec, s[40:41]
	s_and_saveexec_b64 s[40:41], s[50:51]
	s_cbranch_execnz .LBB738_598
.LBB738_534:                            ;   in Loop: Header=BB738_398 Depth=2
	s_or_b64 exec, exec, s[40:41]
	s_and_saveexec_b64 s[40:41], s[52:53]
	s_cbranch_execnz .LBB738_599
.LBB738_535:                            ;   in Loop: Header=BB738_398 Depth=2
	s_or_b64 exec, exec, s[40:41]
	s_and_saveexec_b64 s[40:41], s[54:55]
	s_cbranch_execnz .LBB738_600
.LBB738_536:                            ;   in Loop: Header=BB738_398 Depth=2
	s_or_b64 exec, exec, s[40:41]
	s_and_saveexec_b64 s[40:41], s[56:57]
	s_cbranch_execnz .LBB738_601
.LBB738_537:                            ;   in Loop: Header=BB738_398 Depth=2
	s_or_b64 exec, exec, s[40:41]
	s_and_saveexec_b64 s[40:41], s[58:59]
	s_cbranch_execnz .LBB738_602
.LBB738_538:                            ;   in Loop: Header=BB738_398 Depth=2
	s_or_b64 exec, exec, s[40:41]
	s_and_saveexec_b64 s[40:41], s[60:61]
	s_cbranch_execnz .LBB738_603
.LBB738_539:                            ;   in Loop: Header=BB738_398 Depth=2
	s_or_b64 exec, exec, s[40:41]
	s_and_saveexec_b64 s[40:41], s[62:63]
	s_cbranch_execnz .LBB738_604
.LBB738_540:                            ;   in Loop: Header=BB738_398 Depth=2
	s_or_b64 exec, exec, s[40:41]
	s_and_saveexec_b64 s[40:41], s[64:65]
	s_cbranch_execnz .LBB738_605
.LBB738_541:                            ;   in Loop: Header=BB738_398 Depth=2
	s_or_b64 exec, exec, s[40:41]
	s_and_saveexec_b64 s[40:41], s[66:67]
	s_cbranch_execnz .LBB738_606
.LBB738_542:                            ;   in Loop: Header=BB738_398 Depth=2
	s_or_b64 exec, exec, s[40:41]
	s_and_saveexec_b64 s[40:41], s[68:69]
	s_cbranch_execnz .LBB738_607
.LBB738_543:                            ;   in Loop: Header=BB738_398 Depth=2
	s_or_b64 exec, exec, s[40:41]
	s_and_saveexec_b64 s[40:41], s[70:71]
	s_cbranch_execz .LBB738_545
.LBB738_544:                            ;   in Loop: Header=BB738_398 Depth=2
	v_lshlrev_b32_e32 v37, 2, v135
	ds_read_b32 v39, v37
	ds_read_b64 v[37:38], v104 offset:31232
	v_mov_b32_e32 v40, v3
	v_mov_b32_e32 v41, s87
	s_waitcnt lgkmcnt(1)
	v_add_u32_e32 v39, v39, v88
	v_lshlrev_b64 v[39:40], 3, v[39:40]
	v_add_co_u32_e32 v39, vcc, s86, v39
	v_addc_co_u32_e32 v40, vcc, v41, v40, vcc
	s_waitcnt lgkmcnt(0)
	global_store_dwordx2 v[39:40], v[37:38], off
.LBB738_545:                            ;   in Loop: Header=BB738_398 Depth=2
	s_or_b64 exec, exec, s[40:41]
	s_waitcnt vmcnt(0)
	s_barrier
	s_and_saveexec_b64 s[40:41], s[4:5]
	s_cbranch_execz .LBB738_397
; %bb.546:                              ;   in Loop: Header=BB738_398 Depth=2
	ds_read_b32 v37, v71
	s_waitcnt lgkmcnt(0)
	v_add3_u32 v37, v172, v173, v37
	ds_write_b32 v71, v37
	s_branch .LBB738_397
.LBB738_547:                            ;   in Loop: Header=BB738_398 Depth=2
	ds_read_b64 v[37:38], v104 offset:512
	v_mov_b32_e32 v48, s81
	s_waitcnt lgkmcnt(0)
	v_lshrrev_b64 v[58:59], s97, v[37:38]
	v_mov_b32_e32 v59, v3
	v_and_b32_e32 v44, s99, v58
	v_lshlrev_b32_e32 v44, 2, v44
	ds_read_b32 v44, v44
	v_xor_b32_e32 v38, 0x7fffffff, v38
	v_not_b32_e32 v37, v37
	s_waitcnt lgkmcnt(0)
	v_add_u32_e32 v58, v44, v0
	v_lshlrev_b64 v[58:59], 3, v[58:59]
	v_add_co_u32_e32 v58, vcc, s80, v58
	v_addc_co_u32_e32 v59, vcc, v48, v59, vcc
	global_store_dwordx2 v[58:59], v[37:38], off
	s_or_b64 exec, exec, s[42:43]
	v_cmp_lt_u32_e64 s[42:43], v72, v174
	s_and_saveexec_b64 s[44:45], s[42:43]
	s_cbranch_execz .LBB738_480
.LBB738_548:                            ;   in Loop: Header=BB738_398 Depth=2
	ds_read_b64 v[37:38], v104 offset:2560
	v_mov_b32_e32 v48, s81
	s_waitcnt lgkmcnt(0)
	v_lshrrev_b64 v[58:59], s97, v[37:38]
	v_mov_b32_e32 v59, v3
	v_and_b32_e32 v44, s99, v58
	v_lshlrev_b32_e32 v44, 2, v44
	ds_read_b32 v44, v44
	v_xor_b32_e32 v38, 0x7fffffff, v38
	v_not_b32_e32 v37, v37
	s_waitcnt lgkmcnt(0)
	v_add_u32_e32 v58, v44, v72
	v_lshlrev_b64 v[58:59], 3, v[58:59]
	v_add_co_u32_e32 v58, vcc, s80, v58
	v_addc_co_u32_e32 v59, vcc, v48, v59, vcc
	global_store_dwordx2 v[58:59], v[37:38], off
	s_or_b64 exec, exec, s[44:45]
	v_cmp_lt_u32_e64 s[44:45], v75, v174
	s_and_saveexec_b64 s[46:47], s[44:45]
	s_cbranch_execz .LBB738_481
.LBB738_549:                            ;   in Loop: Header=BB738_398 Depth=2
	ds_read_b64 v[37:38], v104 offset:4608
	v_mov_b32_e32 v48, s81
	s_waitcnt lgkmcnt(0)
	v_lshrrev_b64 v[58:59], s97, v[37:38]
	v_mov_b32_e32 v59, v3
	v_and_b32_e32 v44, s99, v58
	v_lshlrev_b32_e32 v44, 2, v44
	ds_read_b32 v44, v44
	v_xor_b32_e32 v38, 0x7fffffff, v38
	v_not_b32_e32 v37, v37
	s_waitcnt lgkmcnt(0)
	v_add_u32_e32 v58, v44, v75
	v_lshlrev_b64 v[58:59], 3, v[58:59]
	v_add_co_u32_e32 v58, vcc, s80, v58
	v_addc_co_u32_e32 v59, vcc, v48, v59, vcc
	global_store_dwordx2 v[58:59], v[37:38], off
	s_or_b64 exec, exec, s[46:47]
	v_cmp_lt_u32_e64 s[46:47], v76, v174
	s_and_saveexec_b64 s[48:49], s[46:47]
	s_cbranch_execz .LBB738_482
.LBB738_550:                            ;   in Loop: Header=BB738_398 Depth=2
	ds_read_b64 v[37:38], v104 offset:6656
	v_mov_b32_e32 v48, s81
	s_waitcnt lgkmcnt(0)
	v_lshrrev_b64 v[58:59], s97, v[37:38]
	v_mov_b32_e32 v59, v3
	v_and_b32_e32 v44, s99, v58
	v_lshlrev_b32_e32 v44, 2, v44
	ds_read_b32 v44, v44
	v_xor_b32_e32 v38, 0x7fffffff, v38
	v_not_b32_e32 v37, v37
	s_waitcnt lgkmcnt(0)
	v_add_u32_e32 v58, v44, v76
	v_lshlrev_b64 v[58:59], 3, v[58:59]
	v_add_co_u32_e32 v58, vcc, s80, v58
	v_addc_co_u32_e32 v59, vcc, v48, v59, vcc
	global_store_dwordx2 v[58:59], v[37:38], off
	s_or_b64 exec, exec, s[48:49]
	v_cmp_lt_u32_e64 s[48:49], v77, v174
	s_and_saveexec_b64 s[50:51], s[48:49]
	s_cbranch_execz .LBB738_483
.LBB738_551:                            ;   in Loop: Header=BB738_398 Depth=2
	ds_read_b64 v[37:38], v104 offset:8704
	v_mov_b32_e32 v48, s81
	s_waitcnt lgkmcnt(0)
	v_lshrrev_b64 v[58:59], s97, v[37:38]
	v_mov_b32_e32 v59, v3
	v_and_b32_e32 v44, s99, v58
	v_lshlrev_b32_e32 v44, 2, v44
	ds_read_b32 v44, v44
	v_xor_b32_e32 v38, 0x7fffffff, v38
	v_not_b32_e32 v37, v37
	s_waitcnt lgkmcnt(0)
	v_add_u32_e32 v58, v44, v77
	v_lshlrev_b64 v[58:59], 3, v[58:59]
	v_add_co_u32_e32 v58, vcc, s80, v58
	v_addc_co_u32_e32 v59, vcc, v48, v59, vcc
	global_store_dwordx2 v[58:59], v[37:38], off
	s_or_b64 exec, exec, s[50:51]
	v_cmp_lt_u32_e64 s[50:51], v78, v174
	s_and_saveexec_b64 s[52:53], s[50:51]
	s_cbranch_execz .LBB738_484
.LBB738_552:                            ;   in Loop: Header=BB738_398 Depth=2
	ds_read_b64 v[37:38], v104 offset:10752
	v_mov_b32_e32 v48, s81
	s_waitcnt lgkmcnt(0)
	v_lshrrev_b64 v[58:59], s97, v[37:38]
	v_mov_b32_e32 v59, v3
	v_and_b32_e32 v44, s99, v58
	v_lshlrev_b32_e32 v44, 2, v44
	ds_read_b32 v44, v44
	v_xor_b32_e32 v38, 0x7fffffff, v38
	v_not_b32_e32 v37, v37
	s_waitcnt lgkmcnt(0)
	v_add_u32_e32 v58, v44, v78
	v_lshlrev_b64 v[58:59], 3, v[58:59]
	v_add_co_u32_e32 v58, vcc, s80, v58
	v_addc_co_u32_e32 v59, vcc, v48, v59, vcc
	global_store_dwordx2 v[58:59], v[37:38], off
	s_or_b64 exec, exec, s[52:53]
	v_cmp_lt_u32_e64 s[52:53], v79, v174
	s_and_saveexec_b64 s[54:55], s[52:53]
	s_cbranch_execz .LBB738_485
.LBB738_553:                            ;   in Loop: Header=BB738_398 Depth=2
	ds_read_b64 v[37:38], v104 offset:12800
	v_mov_b32_e32 v48, s81
	s_waitcnt lgkmcnt(0)
	v_lshrrev_b64 v[58:59], s97, v[37:38]
	v_mov_b32_e32 v59, v3
	v_and_b32_e32 v44, s99, v58
	v_lshlrev_b32_e32 v44, 2, v44
	ds_read_b32 v44, v44
	v_xor_b32_e32 v38, 0x7fffffff, v38
	v_not_b32_e32 v37, v37
	s_waitcnt lgkmcnt(0)
	v_add_u32_e32 v58, v44, v79
	v_lshlrev_b64 v[58:59], 3, v[58:59]
	v_add_co_u32_e32 v58, vcc, s80, v58
	v_addc_co_u32_e32 v59, vcc, v48, v59, vcc
	global_store_dwordx2 v[58:59], v[37:38], off
	s_or_b64 exec, exec, s[54:55]
	v_cmp_lt_u32_e64 s[54:55], v80, v174
	s_and_saveexec_b64 s[56:57], s[54:55]
	s_cbranch_execz .LBB738_486
.LBB738_554:                            ;   in Loop: Header=BB738_398 Depth=2
	ds_read_b64 v[37:38], v104 offset:14848
	v_mov_b32_e32 v48, s81
	s_waitcnt lgkmcnt(0)
	v_lshrrev_b64 v[58:59], s97, v[37:38]
	v_mov_b32_e32 v59, v3
	v_and_b32_e32 v44, s99, v58
	v_lshlrev_b32_e32 v44, 2, v44
	ds_read_b32 v44, v44
	v_xor_b32_e32 v38, 0x7fffffff, v38
	v_not_b32_e32 v37, v37
	s_waitcnt lgkmcnt(0)
	v_add_u32_e32 v58, v44, v80
	v_lshlrev_b64 v[58:59], 3, v[58:59]
	v_add_co_u32_e32 v58, vcc, s80, v58
	v_addc_co_u32_e32 v59, vcc, v48, v59, vcc
	global_store_dwordx2 v[58:59], v[37:38], off
	s_or_b64 exec, exec, s[56:57]
	v_cmp_lt_u32_e64 s[56:57], v81, v174
	s_and_saveexec_b64 s[58:59], s[56:57]
	s_cbranch_execz .LBB738_487
.LBB738_555:                            ;   in Loop: Header=BB738_398 Depth=2
	ds_read_b64 v[37:38], v104 offset:16896
	v_mov_b32_e32 v48, s81
	s_waitcnt lgkmcnt(0)
	v_lshrrev_b64 v[58:59], s97, v[37:38]
	v_mov_b32_e32 v59, v3
	v_and_b32_e32 v44, s99, v58
	v_lshlrev_b32_e32 v44, 2, v44
	ds_read_b32 v44, v44
	v_xor_b32_e32 v38, 0x7fffffff, v38
	v_not_b32_e32 v37, v37
	s_waitcnt lgkmcnt(0)
	v_add_u32_e32 v58, v44, v81
	v_lshlrev_b64 v[58:59], 3, v[58:59]
	v_add_co_u32_e32 v58, vcc, s80, v58
	v_addc_co_u32_e32 v59, vcc, v48, v59, vcc
	global_store_dwordx2 v[58:59], v[37:38], off
	s_or_b64 exec, exec, s[58:59]
	v_cmp_lt_u32_e64 s[58:59], v82, v174
	s_and_saveexec_b64 s[60:61], s[58:59]
	s_cbranch_execz .LBB738_488
.LBB738_556:                            ;   in Loop: Header=BB738_398 Depth=2
	ds_read_b64 v[37:38], v104 offset:18944
	v_mov_b32_e32 v48, s81
	s_waitcnt lgkmcnt(0)
	v_lshrrev_b64 v[58:59], s97, v[37:38]
	v_mov_b32_e32 v59, v3
	v_and_b32_e32 v44, s99, v58
	v_lshlrev_b32_e32 v44, 2, v44
	ds_read_b32 v44, v44
	v_xor_b32_e32 v38, 0x7fffffff, v38
	v_not_b32_e32 v37, v37
	s_waitcnt lgkmcnt(0)
	v_add_u32_e32 v58, v44, v82
	v_lshlrev_b64 v[58:59], 3, v[58:59]
	v_add_co_u32_e32 v58, vcc, s80, v58
	v_addc_co_u32_e32 v59, vcc, v48, v59, vcc
	global_store_dwordx2 v[58:59], v[37:38], off
	s_or_b64 exec, exec, s[60:61]
	v_cmp_lt_u32_e64 s[60:61], v83, v174
	s_and_saveexec_b64 s[62:63], s[60:61]
	s_cbranch_execz .LBB738_489
.LBB738_557:                            ;   in Loop: Header=BB738_398 Depth=2
	ds_read_b64 v[37:38], v104 offset:20992
	v_mov_b32_e32 v48, s81
	s_waitcnt lgkmcnt(0)
	v_lshrrev_b64 v[58:59], s97, v[37:38]
	v_mov_b32_e32 v59, v3
	v_and_b32_e32 v44, s99, v58
	v_lshlrev_b32_e32 v44, 2, v44
	ds_read_b32 v44, v44
	v_xor_b32_e32 v38, 0x7fffffff, v38
	v_not_b32_e32 v37, v37
	s_waitcnt lgkmcnt(0)
	v_add_u32_e32 v58, v44, v83
	v_lshlrev_b64 v[58:59], 3, v[58:59]
	v_add_co_u32_e32 v58, vcc, s80, v58
	v_addc_co_u32_e32 v59, vcc, v48, v59, vcc
	global_store_dwordx2 v[58:59], v[37:38], off
	s_or_b64 exec, exec, s[62:63]
	v_cmp_lt_u32_e64 s[62:63], v84, v174
	s_and_saveexec_b64 s[64:65], s[62:63]
	s_cbranch_execz .LBB738_490
.LBB738_558:                            ;   in Loop: Header=BB738_398 Depth=2
	ds_read_b64 v[37:38], v104 offset:23040
	v_mov_b32_e32 v48, s81
	s_waitcnt lgkmcnt(0)
	v_lshrrev_b64 v[58:59], s97, v[37:38]
	v_mov_b32_e32 v59, v3
	v_and_b32_e32 v44, s99, v58
	v_lshlrev_b32_e32 v44, 2, v44
	ds_read_b32 v44, v44
	v_xor_b32_e32 v38, 0x7fffffff, v38
	v_not_b32_e32 v37, v37
	s_waitcnt lgkmcnt(0)
	v_add_u32_e32 v58, v44, v84
	v_lshlrev_b64 v[58:59], 3, v[58:59]
	v_add_co_u32_e32 v58, vcc, s80, v58
	v_addc_co_u32_e32 v59, vcc, v48, v59, vcc
	global_store_dwordx2 v[58:59], v[37:38], off
	s_or_b64 exec, exec, s[64:65]
	v_cmp_lt_u32_e64 s[64:65], v85, v174
	s_and_saveexec_b64 s[66:67], s[64:65]
	s_cbranch_execz .LBB738_491
.LBB738_559:                            ;   in Loop: Header=BB738_398 Depth=2
	ds_read_b64 v[37:38], v104 offset:25088
	v_mov_b32_e32 v48, s81
	s_waitcnt lgkmcnt(0)
	v_lshrrev_b64 v[58:59], s97, v[37:38]
	v_mov_b32_e32 v59, v3
	v_and_b32_e32 v44, s99, v58
	v_lshlrev_b32_e32 v44, 2, v44
	ds_read_b32 v44, v44
	v_xor_b32_e32 v38, 0x7fffffff, v38
	v_not_b32_e32 v37, v37
	s_waitcnt lgkmcnt(0)
	v_add_u32_e32 v58, v44, v85
	v_lshlrev_b64 v[58:59], 3, v[58:59]
	v_add_co_u32_e32 v58, vcc, s80, v58
	v_addc_co_u32_e32 v59, vcc, v48, v59, vcc
	global_store_dwordx2 v[58:59], v[37:38], off
	s_or_b64 exec, exec, s[66:67]
	v_cmp_lt_u32_e64 s[66:67], v86, v174
	s_and_saveexec_b64 s[68:69], s[66:67]
	s_cbranch_execz .LBB738_492
.LBB738_560:                            ;   in Loop: Header=BB738_398 Depth=2
	ds_read_b64 v[37:38], v104 offset:27136
	v_mov_b32_e32 v48, s81
	s_waitcnt lgkmcnt(0)
	v_lshrrev_b64 v[58:59], s97, v[37:38]
	v_mov_b32_e32 v59, v3
	v_and_b32_e32 v44, s99, v58
	v_lshlrev_b32_e32 v44, 2, v44
	ds_read_b32 v44, v44
	v_xor_b32_e32 v38, 0x7fffffff, v38
	v_not_b32_e32 v37, v37
	s_waitcnt lgkmcnt(0)
	v_add_u32_e32 v58, v44, v86
	v_lshlrev_b64 v[58:59], 3, v[58:59]
	v_add_co_u32_e32 v58, vcc, s80, v58
	v_addc_co_u32_e32 v59, vcc, v48, v59, vcc
	global_store_dwordx2 v[58:59], v[37:38], off
	s_or_b64 exec, exec, s[68:69]
	v_cmp_lt_u32_e64 s[68:69], v87, v174
	s_and_saveexec_b64 s[70:71], s[68:69]
	s_cbranch_execz .LBB738_493
.LBB738_561:                            ;   in Loop: Header=BB738_398 Depth=2
	ds_read_b64 v[37:38], v104 offset:29184
	v_mov_b32_e32 v48, s81
	s_waitcnt lgkmcnt(0)
	v_lshrrev_b64 v[58:59], s97, v[37:38]
	v_mov_b32_e32 v59, v3
	v_and_b32_e32 v44, s99, v58
	v_lshlrev_b32_e32 v44, 2, v44
	ds_read_b32 v44, v44
	v_xor_b32_e32 v38, 0x7fffffff, v38
	v_not_b32_e32 v37, v37
	s_waitcnt lgkmcnt(0)
	v_add_u32_e32 v58, v44, v87
	v_lshlrev_b64 v[58:59], 3, v[58:59]
	v_add_co_u32_e32 v58, vcc, s80, v58
	v_addc_co_u32_e32 v59, vcc, v48, v59, vcc
	global_store_dwordx2 v[58:59], v[37:38], off
	s_or_b64 exec, exec, s[70:71]
	v_cmp_lt_u32_e64 s[70:71], v88, v174
	s_and_saveexec_b64 s[82:83], s[70:71]
	s_cbranch_execnz .LBB738_494
	s_branch .LBB738_495
.LBB738_562:                            ;   in Loop: Header=BB738_398 Depth=2
	global_load_dwordx2 v[35:36], v[37:38], off
	s_or_b64 exec, exec, s[82:83]
	v_cmp_lt_u32_e32 vcc, v154, v174
	s_and_saveexec_b64 s[82:83], vcc
	s_cbranch_execz .LBB738_497
.LBB738_563:                            ;   in Loop: Header=BB738_398 Depth=2
	global_load_dwordx2 v[33:34], v[37:38], off offset:512
	s_or_b64 exec, exec, s[82:83]
	v_cmp_lt_u32_e32 vcc, v155, v174
	s_and_saveexec_b64 s[82:83], vcc
	s_cbranch_execz .LBB738_498
.LBB738_564:                            ;   in Loop: Header=BB738_398 Depth=2
	global_load_dwordx2 v[31:32], v[37:38], off offset:1024
	s_or_b64 exec, exec, s[82:83]
	v_cmp_lt_u32_e32 vcc, v156, v174
	s_and_saveexec_b64 s[82:83], vcc
	s_cbranch_execz .LBB738_499
.LBB738_565:                            ;   in Loop: Header=BB738_398 Depth=2
	global_load_dwordx2 v[27:28], v[37:38], off offset:1536
	s_or_b64 exec, exec, s[82:83]
	v_cmp_lt_u32_e32 vcc, v157, v174
	s_and_saveexec_b64 s[82:83], vcc
	s_cbranch_execz .LBB738_500
.LBB738_566:                            ;   in Loop: Header=BB738_398 Depth=2
	global_load_dwordx2 v[23:24], v[37:38], off offset:2048
	s_or_b64 exec, exec, s[82:83]
	v_cmp_lt_u32_e32 vcc, v158, v174
	s_and_saveexec_b64 s[82:83], vcc
	s_cbranch_execz .LBB738_501
.LBB738_567:                            ;   in Loop: Header=BB738_398 Depth=2
	global_load_dwordx2 v[19:20], v[37:38], off offset:2560
	s_or_b64 exec, exec, s[82:83]
	v_cmp_lt_u32_e32 vcc, v159, v174
	s_and_saveexec_b64 s[82:83], vcc
	s_cbranch_execz .LBB738_502
.LBB738_568:                            ;   in Loop: Header=BB738_398 Depth=2
	global_load_dwordx2 v[15:16], v[37:38], off offset:3072
	s_or_b64 exec, exec, s[82:83]
	v_cmp_lt_u32_e32 vcc, v160, v174
	s_and_saveexec_b64 s[82:83], vcc
	s_cbranch_execz .LBB738_503
.LBB738_569:                            ;   in Loop: Header=BB738_398 Depth=2
	global_load_dwordx2 v[11:12], v[37:38], off offset:3584
	s_or_b64 exec, exec, s[82:83]
	v_cmp_lt_u32_e32 vcc, v161, v174
	s_and_saveexec_b64 s[82:83], vcc
	s_cbranch_execz .LBB738_504
.LBB738_570:                            ;   in Loop: Header=BB738_398 Depth=2
	v_add_co_u32_e32 v29, vcc, 0x1000, v37
	v_addc_co_u32_e32 v30, vcc, 0, v38, vcc
	global_load_dwordx2 v[29:30], v[29:30], off
	s_or_b64 exec, exec, s[82:83]
	v_cmp_lt_u32_e32 vcc, v162, v174
	s_and_saveexec_b64 s[82:83], vcc
	s_cbranch_execz .LBB738_505
.LBB738_571:                            ;   in Loop: Header=BB738_398 Depth=2
	v_add_co_u32_e32 v25, vcc, 0x1000, v37
	v_addc_co_u32_e32 v26, vcc, 0, v38, vcc
	global_load_dwordx2 v[25:26], v[25:26], off offset:512
	s_or_b64 exec, exec, s[82:83]
	v_cmp_lt_u32_e32 vcc, v163, v174
	s_and_saveexec_b64 s[82:83], vcc
	s_cbranch_execz .LBB738_506
.LBB738_572:                            ;   in Loop: Header=BB738_398 Depth=2
	v_add_co_u32_e32 v21, vcc, 0x1000, v37
	v_addc_co_u32_e32 v22, vcc, 0, v38, vcc
	global_load_dwordx2 v[21:22], v[21:22], off offset:1024
	s_or_b64 exec, exec, s[82:83]
	v_cmp_lt_u32_e32 vcc, v164, v174
	s_and_saveexec_b64 s[82:83], vcc
	s_cbranch_execz .LBB738_507
.LBB738_573:                            ;   in Loop: Header=BB738_398 Depth=2
	v_add_co_u32_e32 v17, vcc, 0x1000, v37
	v_addc_co_u32_e32 v18, vcc, 0, v38, vcc
	global_load_dwordx2 v[17:18], v[17:18], off offset:1536
	s_or_b64 exec, exec, s[82:83]
	v_cmp_lt_u32_e32 vcc, v165, v174
	s_and_saveexec_b64 s[82:83], vcc
	s_cbranch_execz .LBB738_508
.LBB738_574:                            ;   in Loop: Header=BB738_398 Depth=2
	v_add_co_u32_e32 v13, vcc, 0x1000, v37
	v_addc_co_u32_e32 v14, vcc, 0, v38, vcc
	global_load_dwordx2 v[13:14], v[13:14], off offset:2048
	s_or_b64 exec, exec, s[82:83]
	v_cmp_lt_u32_e32 vcc, v166, v174
	s_and_saveexec_b64 s[82:83], vcc
	s_cbranch_execz .LBB738_509
.LBB738_575:                            ;   in Loop: Header=BB738_398 Depth=2
	v_add_co_u32_e32 v9, vcc, 0x1000, v37
	v_addc_co_u32_e32 v10, vcc, 0, v38, vcc
	global_load_dwordx2 v[9:10], v[9:10], off offset:2560
	s_or_b64 exec, exec, s[82:83]
	v_cmp_lt_u32_e32 vcc, v167, v174
	s_and_saveexec_b64 s[82:83], vcc
	s_cbranch_execz .LBB738_510
.LBB738_576:                            ;   in Loop: Header=BB738_398 Depth=2
	v_add_co_u32_e32 v7, vcc, 0x1000, v37
	v_addc_co_u32_e32 v8, vcc, 0, v38, vcc
	global_load_dwordx2 v[7:8], v[7:8], off offset:3072
	s_or_b64 exec, exec, s[82:83]
	v_cmp_lt_u32_e32 vcc, v168, v174
	s_and_saveexec_b64 s[82:83], vcc
	s_cbranch_execz .LBB738_511
.LBB738_577:                            ;   in Loop: Header=BB738_398 Depth=2
	v_add_co_u32_e32 v5, vcc, 0x1000, v37
	v_addc_co_u32_e32 v6, vcc, 0, v38, vcc
	global_load_dwordx2 v[5:6], v[5:6], off offset:3584
	s_or_b64 exec, exec, s[82:83]
	s_and_saveexec_b64 s[82:83], s[40:41]
	s_cbranch_execz .LBB738_512
.LBB738_578:                            ;   in Loop: Header=BB738_398 Depth=2
	ds_read_b64 v[37:38], v104 offset:512
	s_waitcnt lgkmcnt(0)
	v_lshrrev_b64 v[37:38], s97, v[37:38]
	v_and_b32_e32 v150, s99, v37
	s_or_b64 exec, exec, s[82:83]
	s_and_saveexec_b64 s[82:83], s[42:43]
	s_cbranch_execz .LBB738_513
.LBB738_579:                            ;   in Loop: Header=BB738_398 Depth=2
	ds_read_b64 v[37:38], v104 offset:2560
	s_waitcnt lgkmcnt(0)
	v_lshrrev_b64 v[37:38], s97, v[37:38]
	v_and_b32_e32 v149, s99, v37
	s_or_b64 exec, exec, s[82:83]
	s_and_saveexec_b64 s[82:83], s[44:45]
	s_cbranch_execz .LBB738_514
.LBB738_580:                            ;   in Loop: Header=BB738_398 Depth=2
	ds_read_b64 v[37:38], v104 offset:4608
	s_waitcnt lgkmcnt(0)
	v_lshrrev_b64 v[37:38], s97, v[37:38]
	v_and_b32_e32 v148, s99, v37
	s_or_b64 exec, exec, s[82:83]
	s_and_saveexec_b64 s[82:83], s[46:47]
	s_cbranch_execz .LBB738_515
.LBB738_581:                            ;   in Loop: Header=BB738_398 Depth=2
	ds_read_b64 v[37:38], v104 offset:6656
	s_waitcnt lgkmcnt(0)
	v_lshrrev_b64 v[37:38], s97, v[37:38]
	v_and_b32_e32 v147, s99, v37
	s_or_b64 exec, exec, s[82:83]
	s_and_saveexec_b64 s[82:83], s[48:49]
	s_cbranch_execz .LBB738_516
.LBB738_582:                            ;   in Loop: Header=BB738_398 Depth=2
	ds_read_b64 v[37:38], v104 offset:8704
	s_waitcnt lgkmcnt(0)
	v_lshrrev_b64 v[37:38], s97, v[37:38]
	v_and_b32_e32 v146, s99, v37
	s_or_b64 exec, exec, s[82:83]
	s_and_saveexec_b64 s[82:83], s[50:51]
	s_cbranch_execz .LBB738_517
.LBB738_583:                            ;   in Loop: Header=BB738_398 Depth=2
	ds_read_b64 v[37:38], v104 offset:10752
	s_waitcnt lgkmcnt(0)
	v_lshrrev_b64 v[37:38], s97, v[37:38]
	v_and_b32_e32 v145, s99, v37
	s_or_b64 exec, exec, s[82:83]
	s_and_saveexec_b64 s[82:83], s[52:53]
	s_cbranch_execz .LBB738_518
.LBB738_584:                            ;   in Loop: Header=BB738_398 Depth=2
	ds_read_b64 v[37:38], v104 offset:12800
	s_waitcnt lgkmcnt(0)
	v_lshrrev_b64 v[37:38], s97, v[37:38]
	v_and_b32_e32 v144, s99, v37
	s_or_b64 exec, exec, s[82:83]
	s_and_saveexec_b64 s[82:83], s[54:55]
	s_cbranch_execz .LBB738_519
.LBB738_585:                            ;   in Loop: Header=BB738_398 Depth=2
	ds_read_b64 v[37:38], v104 offset:14848
	s_waitcnt lgkmcnt(0)
	v_lshrrev_b64 v[37:38], s97, v[37:38]
	v_and_b32_e32 v143, s99, v37
	s_or_b64 exec, exec, s[82:83]
	s_and_saveexec_b64 s[82:83], s[56:57]
	s_cbranch_execz .LBB738_520
.LBB738_586:                            ;   in Loop: Header=BB738_398 Depth=2
	ds_read_b64 v[37:38], v104 offset:16896
	s_waitcnt lgkmcnt(0)
	v_lshrrev_b64 v[37:38], s97, v[37:38]
	v_and_b32_e32 v142, s99, v37
	s_or_b64 exec, exec, s[82:83]
	s_and_saveexec_b64 s[82:83], s[58:59]
	s_cbranch_execz .LBB738_521
.LBB738_587:                            ;   in Loop: Header=BB738_398 Depth=2
	ds_read_b64 v[37:38], v104 offset:18944
	s_waitcnt lgkmcnt(0)
	v_lshrrev_b64 v[37:38], s97, v[37:38]
	v_and_b32_e32 v141, s99, v37
	s_or_b64 exec, exec, s[82:83]
	s_and_saveexec_b64 s[82:83], s[60:61]
	s_cbranch_execz .LBB738_522
.LBB738_588:                            ;   in Loop: Header=BB738_398 Depth=2
	ds_read_b64 v[37:38], v104 offset:20992
	s_waitcnt lgkmcnt(0)
	v_lshrrev_b64 v[37:38], s97, v[37:38]
	v_and_b32_e32 v140, s99, v37
	s_or_b64 exec, exec, s[82:83]
	s_and_saveexec_b64 s[82:83], s[62:63]
	s_cbranch_execz .LBB738_523
.LBB738_589:                            ;   in Loop: Header=BB738_398 Depth=2
	ds_read_b64 v[37:38], v104 offset:23040
	s_waitcnt lgkmcnt(0)
	v_lshrrev_b64 v[37:38], s97, v[37:38]
	v_and_b32_e32 v139, s99, v37
	s_or_b64 exec, exec, s[82:83]
	s_and_saveexec_b64 s[82:83], s[64:65]
	s_cbranch_execz .LBB738_524
.LBB738_590:                            ;   in Loop: Header=BB738_398 Depth=2
	ds_read_b64 v[37:38], v104 offset:25088
	s_waitcnt lgkmcnt(0)
	v_lshrrev_b64 v[37:38], s97, v[37:38]
	v_and_b32_e32 v138, s99, v37
	s_or_b64 exec, exec, s[82:83]
	s_and_saveexec_b64 s[82:83], s[66:67]
	s_cbranch_execz .LBB738_525
.LBB738_591:                            ;   in Loop: Header=BB738_398 Depth=2
	ds_read_b64 v[37:38], v104 offset:27136
	s_waitcnt lgkmcnt(0)
	v_lshrrev_b64 v[37:38], s97, v[37:38]
	v_and_b32_e32 v137, s99, v37
	s_or_b64 exec, exec, s[82:83]
	s_and_saveexec_b64 s[82:83], s[68:69]
	s_cbranch_execz .LBB738_526
.LBB738_592:                            ;   in Loop: Header=BB738_398 Depth=2
	ds_read_b64 v[37:38], v104 offset:29184
	s_waitcnt lgkmcnt(0)
	v_lshrrev_b64 v[37:38], s97, v[37:38]
	v_and_b32_e32 v136, s99, v37
	s_or_b64 exec, exec, s[82:83]
	s_and_saveexec_b64 s[82:83], s[70:71]
	s_cbranch_execnz .LBB738_527
	s_branch .LBB738_528
.LBB738_593:                            ;   in Loop: Header=BB738_398 Depth=2
	v_lshlrev_b32_e32 v37, 2, v150
	ds_read_b32 v39, v37
	ds_read_b64 v[37:38], v104 offset:512
	v_mov_b32_e32 v40, v3
	v_mov_b32_e32 v41, s87
	s_waitcnt lgkmcnt(1)
	v_add_u32_e32 v39, v39, v0
	v_lshlrev_b64 v[39:40], 3, v[39:40]
	v_add_co_u32_e32 v39, vcc, s86, v39
	v_addc_co_u32_e32 v40, vcc, v41, v40, vcc
	s_waitcnt lgkmcnt(0)
	global_store_dwordx2 v[39:40], v[37:38], off
	s_or_b64 exec, exec, s[82:83]
	s_and_saveexec_b64 s[40:41], s[42:43]
	s_cbranch_execz .LBB738_530
.LBB738_594:                            ;   in Loop: Header=BB738_398 Depth=2
	v_lshlrev_b32_e32 v37, 2, v149
	ds_read_b32 v39, v37
	ds_read_b64 v[37:38], v104 offset:2560
	v_mov_b32_e32 v40, v3
	v_mov_b32_e32 v41, s87
	s_waitcnt lgkmcnt(1)
	v_add_u32_e32 v39, v39, v72
	v_lshlrev_b64 v[39:40], 3, v[39:40]
	v_add_co_u32_e32 v39, vcc, s86, v39
	v_addc_co_u32_e32 v40, vcc, v41, v40, vcc
	s_waitcnt lgkmcnt(0)
	global_store_dwordx2 v[39:40], v[37:38], off
	s_or_b64 exec, exec, s[40:41]
	s_and_saveexec_b64 s[40:41], s[44:45]
	s_cbranch_execz .LBB738_531
.LBB738_595:                            ;   in Loop: Header=BB738_398 Depth=2
	v_lshlrev_b32_e32 v37, 2, v148
	ds_read_b32 v39, v37
	ds_read_b64 v[37:38], v104 offset:4608
	v_mov_b32_e32 v40, v3
	v_mov_b32_e32 v41, s87
	s_waitcnt lgkmcnt(1)
	v_add_u32_e32 v39, v39, v75
	v_lshlrev_b64 v[39:40], 3, v[39:40]
	v_add_co_u32_e32 v39, vcc, s86, v39
	v_addc_co_u32_e32 v40, vcc, v41, v40, vcc
	s_waitcnt lgkmcnt(0)
	global_store_dwordx2 v[39:40], v[37:38], off
	s_or_b64 exec, exec, s[40:41]
	s_and_saveexec_b64 s[40:41], s[46:47]
	s_cbranch_execz .LBB738_532
.LBB738_596:                            ;   in Loop: Header=BB738_398 Depth=2
	v_lshlrev_b32_e32 v37, 2, v147
	ds_read_b32 v39, v37
	ds_read_b64 v[37:38], v104 offset:6656
	v_mov_b32_e32 v40, v3
	v_mov_b32_e32 v41, s87
	s_waitcnt lgkmcnt(1)
	v_add_u32_e32 v39, v39, v76
	v_lshlrev_b64 v[39:40], 3, v[39:40]
	v_add_co_u32_e32 v39, vcc, s86, v39
	v_addc_co_u32_e32 v40, vcc, v41, v40, vcc
	s_waitcnt lgkmcnt(0)
	global_store_dwordx2 v[39:40], v[37:38], off
	s_or_b64 exec, exec, s[40:41]
	s_and_saveexec_b64 s[40:41], s[48:49]
	s_cbranch_execz .LBB738_533
.LBB738_597:                            ;   in Loop: Header=BB738_398 Depth=2
	v_lshlrev_b32_e32 v37, 2, v146
	ds_read_b32 v39, v37
	ds_read_b64 v[37:38], v104 offset:8704
	v_mov_b32_e32 v40, v3
	v_mov_b32_e32 v41, s87
	s_waitcnt lgkmcnt(1)
	v_add_u32_e32 v39, v39, v77
	v_lshlrev_b64 v[39:40], 3, v[39:40]
	v_add_co_u32_e32 v39, vcc, s86, v39
	v_addc_co_u32_e32 v40, vcc, v41, v40, vcc
	s_waitcnt lgkmcnt(0)
	global_store_dwordx2 v[39:40], v[37:38], off
	s_or_b64 exec, exec, s[40:41]
	s_and_saveexec_b64 s[40:41], s[50:51]
	s_cbranch_execz .LBB738_534
.LBB738_598:                            ;   in Loop: Header=BB738_398 Depth=2
	v_lshlrev_b32_e32 v37, 2, v145
	ds_read_b32 v39, v37
	ds_read_b64 v[37:38], v104 offset:10752
	v_mov_b32_e32 v40, v3
	v_mov_b32_e32 v41, s87
	s_waitcnt lgkmcnt(1)
	v_add_u32_e32 v39, v39, v78
	v_lshlrev_b64 v[39:40], 3, v[39:40]
	v_add_co_u32_e32 v39, vcc, s86, v39
	v_addc_co_u32_e32 v40, vcc, v41, v40, vcc
	s_waitcnt lgkmcnt(0)
	global_store_dwordx2 v[39:40], v[37:38], off
	s_or_b64 exec, exec, s[40:41]
	s_and_saveexec_b64 s[40:41], s[52:53]
	s_cbranch_execz .LBB738_535
.LBB738_599:                            ;   in Loop: Header=BB738_398 Depth=2
	v_lshlrev_b32_e32 v37, 2, v144
	ds_read_b32 v39, v37
	ds_read_b64 v[37:38], v104 offset:12800
	v_mov_b32_e32 v40, v3
	v_mov_b32_e32 v41, s87
	s_waitcnt lgkmcnt(1)
	v_add_u32_e32 v39, v39, v79
	v_lshlrev_b64 v[39:40], 3, v[39:40]
	v_add_co_u32_e32 v39, vcc, s86, v39
	v_addc_co_u32_e32 v40, vcc, v41, v40, vcc
	s_waitcnt lgkmcnt(0)
	global_store_dwordx2 v[39:40], v[37:38], off
	s_or_b64 exec, exec, s[40:41]
	s_and_saveexec_b64 s[40:41], s[54:55]
	s_cbranch_execz .LBB738_536
.LBB738_600:                            ;   in Loop: Header=BB738_398 Depth=2
	v_lshlrev_b32_e32 v37, 2, v143
	ds_read_b32 v39, v37
	ds_read_b64 v[37:38], v104 offset:14848
	v_mov_b32_e32 v40, v3
	v_mov_b32_e32 v41, s87
	s_waitcnt lgkmcnt(1)
	v_add_u32_e32 v39, v39, v80
	v_lshlrev_b64 v[39:40], 3, v[39:40]
	v_add_co_u32_e32 v39, vcc, s86, v39
	v_addc_co_u32_e32 v40, vcc, v41, v40, vcc
	s_waitcnt lgkmcnt(0)
	global_store_dwordx2 v[39:40], v[37:38], off
	s_or_b64 exec, exec, s[40:41]
	s_and_saveexec_b64 s[40:41], s[56:57]
	s_cbranch_execz .LBB738_537
.LBB738_601:                            ;   in Loop: Header=BB738_398 Depth=2
	v_lshlrev_b32_e32 v37, 2, v142
	ds_read_b32 v39, v37
	ds_read_b64 v[37:38], v104 offset:16896
	v_mov_b32_e32 v40, v3
	v_mov_b32_e32 v41, s87
	s_waitcnt lgkmcnt(1)
	v_add_u32_e32 v39, v39, v81
	v_lshlrev_b64 v[39:40], 3, v[39:40]
	v_add_co_u32_e32 v39, vcc, s86, v39
	v_addc_co_u32_e32 v40, vcc, v41, v40, vcc
	s_waitcnt lgkmcnt(0)
	global_store_dwordx2 v[39:40], v[37:38], off
	s_or_b64 exec, exec, s[40:41]
	s_and_saveexec_b64 s[40:41], s[58:59]
	s_cbranch_execz .LBB738_538
.LBB738_602:                            ;   in Loop: Header=BB738_398 Depth=2
	v_lshlrev_b32_e32 v37, 2, v141
	ds_read_b32 v39, v37
	ds_read_b64 v[37:38], v104 offset:18944
	v_mov_b32_e32 v40, v3
	v_mov_b32_e32 v41, s87
	s_waitcnt lgkmcnt(1)
	v_add_u32_e32 v39, v39, v82
	v_lshlrev_b64 v[39:40], 3, v[39:40]
	v_add_co_u32_e32 v39, vcc, s86, v39
	v_addc_co_u32_e32 v40, vcc, v41, v40, vcc
	s_waitcnt lgkmcnt(0)
	global_store_dwordx2 v[39:40], v[37:38], off
	s_or_b64 exec, exec, s[40:41]
	s_and_saveexec_b64 s[40:41], s[60:61]
	s_cbranch_execz .LBB738_539
.LBB738_603:                            ;   in Loop: Header=BB738_398 Depth=2
	v_lshlrev_b32_e32 v37, 2, v140
	ds_read_b32 v39, v37
	ds_read_b64 v[37:38], v104 offset:20992
	v_mov_b32_e32 v40, v3
	v_mov_b32_e32 v41, s87
	s_waitcnt lgkmcnt(1)
	v_add_u32_e32 v39, v39, v83
	v_lshlrev_b64 v[39:40], 3, v[39:40]
	v_add_co_u32_e32 v39, vcc, s86, v39
	v_addc_co_u32_e32 v40, vcc, v41, v40, vcc
	s_waitcnt lgkmcnt(0)
	global_store_dwordx2 v[39:40], v[37:38], off
	s_or_b64 exec, exec, s[40:41]
	s_and_saveexec_b64 s[40:41], s[62:63]
	s_cbranch_execz .LBB738_540
.LBB738_604:                            ;   in Loop: Header=BB738_398 Depth=2
	v_lshlrev_b32_e32 v37, 2, v139
	ds_read_b32 v39, v37
	ds_read_b64 v[37:38], v104 offset:23040
	v_mov_b32_e32 v40, v3
	v_mov_b32_e32 v41, s87
	s_waitcnt lgkmcnt(1)
	v_add_u32_e32 v39, v39, v84
	v_lshlrev_b64 v[39:40], 3, v[39:40]
	v_add_co_u32_e32 v39, vcc, s86, v39
	v_addc_co_u32_e32 v40, vcc, v41, v40, vcc
	s_waitcnt lgkmcnt(0)
	global_store_dwordx2 v[39:40], v[37:38], off
	s_or_b64 exec, exec, s[40:41]
	s_and_saveexec_b64 s[40:41], s[64:65]
	s_cbranch_execz .LBB738_541
.LBB738_605:                            ;   in Loop: Header=BB738_398 Depth=2
	v_lshlrev_b32_e32 v37, 2, v138
	ds_read_b32 v39, v37
	ds_read_b64 v[37:38], v104 offset:25088
	v_mov_b32_e32 v40, v3
	v_mov_b32_e32 v41, s87
	s_waitcnt lgkmcnt(1)
	v_add_u32_e32 v39, v39, v85
	v_lshlrev_b64 v[39:40], 3, v[39:40]
	v_add_co_u32_e32 v39, vcc, s86, v39
	v_addc_co_u32_e32 v40, vcc, v41, v40, vcc
	s_waitcnt lgkmcnt(0)
	global_store_dwordx2 v[39:40], v[37:38], off
	s_or_b64 exec, exec, s[40:41]
	s_and_saveexec_b64 s[40:41], s[66:67]
	s_cbranch_execz .LBB738_542
.LBB738_606:                            ;   in Loop: Header=BB738_398 Depth=2
	v_lshlrev_b32_e32 v37, 2, v137
	ds_read_b32 v39, v37
	ds_read_b64 v[37:38], v104 offset:27136
	v_mov_b32_e32 v40, v3
	v_mov_b32_e32 v41, s87
	s_waitcnt lgkmcnt(1)
	v_add_u32_e32 v39, v39, v86
	v_lshlrev_b64 v[39:40], 3, v[39:40]
	v_add_co_u32_e32 v39, vcc, s86, v39
	v_addc_co_u32_e32 v40, vcc, v41, v40, vcc
	s_waitcnt lgkmcnt(0)
	global_store_dwordx2 v[39:40], v[37:38], off
	s_or_b64 exec, exec, s[40:41]
	s_and_saveexec_b64 s[40:41], s[68:69]
	s_cbranch_execz .LBB738_543
.LBB738_607:                            ;   in Loop: Header=BB738_398 Depth=2
	v_lshlrev_b32_e32 v37, 2, v136
	ds_read_b32 v39, v37
	ds_read_b64 v[37:38], v104 offset:29184
	v_mov_b32_e32 v40, v3
	v_mov_b32_e32 v41, s87
	s_waitcnt lgkmcnt(1)
	v_add_u32_e32 v39, v39, v87
	v_lshlrev_b64 v[39:40], 3, v[39:40]
	v_add_co_u32_e32 v39, vcc, s86, v39
	v_addc_co_u32_e32 v40, vcc, v41, v40, vcc
	s_waitcnt lgkmcnt(0)
	global_store_dwordx2 v[39:40], v[37:38], off
	s_or_b64 exec, exec, s[40:41]
	s_and_saveexec_b64 s[40:41], s[70:71]
	s_cbranch_execnz .LBB738_544
	s_branch .LBB738_545
.LBB738_608:                            ;   in Loop: Header=BB738_20 Depth=1
	s_waitcnt lgkmcnt(0)
	s_barrier
.LBB738_609:                            ;   in Loop: Header=BB738_20 Depth=1
	s_mov_b64 s[20:21], 0
.LBB738_610:                            ;   in Loop: Header=BB738_20 Depth=1
	s_andn2_b64 vcc, exec, s[20:21]
	s_cbranch_vccnz .LBB738_19
; %bb.611:                              ;   in Loop: Header=BB738_20 Depth=1
	s_lshl_b32 s6, -1, s98
	s_not_b32 s98, s6
	s_mov_b64 s[20:21], -1
	s_and_b64 vcc, exec, s[74:75]
	s_cbranch_vccz .LBB738_905
; %bb.612:                              ;   in Loop: Header=BB738_20 Depth=1
	s_mov_b32 s6, s33
	s_mov_b32 s92, s73
	s_barrier
                                        ; implicit-def: $vgpr5_vgpr6
                                        ; implicit-def: $vgpr7_vgpr8
                                        ; implicit-def: $vgpr9_vgpr10
                                        ; implicit-def: $vgpr11_vgpr12
                                        ; implicit-def: $vgpr13_vgpr14
                                        ; implicit-def: $vgpr15_vgpr16
                                        ; implicit-def: $vgpr17_vgpr18
                                        ; implicit-def: $vgpr19_vgpr20
                                        ; implicit-def: $vgpr21_vgpr22
                                        ; implicit-def: $vgpr23_vgpr24
                                        ; implicit-def: $vgpr25_vgpr26
                                        ; implicit-def: $vgpr27_vgpr28
                                        ; implicit-def: $vgpr29_vgpr30
                                        ; implicit-def: $vgpr31_vgpr32
                                        ; implicit-def: $vgpr33_vgpr34
                                        ; implicit-def: $vgpr35_vgpr36
	s_branch .LBB738_614
.LBB738_613:                            ;   in Loop: Header=BB738_614 Depth=2
	s_or_b64 exec, exec, s[20:21]
	s_addk_i32 s6, 0xf000
	s_cmp_ge_u32 s7, s96
	s_mov_b32 s92, s7
	s_cbranch_scc1 .LBB738_682
.LBB738_614:                            ;   Parent Loop BB738_20 Depth=1
                                        ; =>  This Inner Loop Header: Depth=2
	s_add_i32 s7, s92, 0x1000
	s_cmp_gt_u32 s7, s96
	s_mov_b64 s[20:21], -1
                                        ; implicit-def: $vgpr37_vgpr38
                                        ; implicit-def: $vgpr39_vgpr40
                                        ; implicit-def: $vgpr41_vgpr42
                                        ; implicit-def: $vgpr43_vgpr44
                                        ; implicit-def: $vgpr45_vgpr46
                                        ; implicit-def: $vgpr47_vgpr48
                                        ; implicit-def: $vgpr49_vgpr50
                                        ; implicit-def: $vgpr51_vgpr52
                                        ; implicit-def: $vgpr53_vgpr54
                                        ; implicit-def: $vgpr55_vgpr56
                                        ; implicit-def: $vgpr57_vgpr58
                                        ; implicit-def: $vgpr59_vgpr60
                                        ; implicit-def: $vgpr61_vgpr62
                                        ; implicit-def: $vgpr63_vgpr64
                                        ; implicit-def: $vgpr65_vgpr66
                                        ; implicit-def: $vgpr67_vgpr68
	s_cbranch_scc1 .LBB738_616
; %bb.615:                              ;   in Loop: Header=BB738_614 Depth=2
	s_lshl_b64 s[20:21], s[92:93], 3
	v_mov_b32_e32 v37, s21
	v_add_co_u32_e32 v61, vcc, s20, v111
	v_addc_co_u32_e32 v62, vcc, v112, v37, vcc
	v_add_co_u32_e32 v45, vcc, 0x1000, v61
	v_addc_co_u32_e32 v46, vcc, 0, v62, vcc
	;; [unrolled: 2-line block ×6, first 2 shown]
	global_load_dwordx2 v[37:38], v[61:62], off
	global_load_dwordx2 v[39:40], v[61:62], off offset:2048
	global_load_dwordx2 v[41:42], v[45:46], off
	global_load_dwordx2 v[43:44], v[45:46], off offset:2048
	s_nop 0
	global_load_dwordx2 v[45:46], v[53:54], off
	global_load_dwordx2 v[47:48], v[53:54], off offset:2048
	global_load_dwordx2 v[49:50], v[55:56], off
	global_load_dwordx2 v[51:52], v[55:56], off offset:2048
	s_nop 0
	global_load_dwordx2 v[53:54], v[59:60], off
	global_load_dwordx2 v[55:56], v[59:60], off offset:2048
	global_load_dwordx2 v[57:58], v[63:64], off
                                        ; kill: killed $vgpr59 killed $vgpr60
	s_nop 0
	global_load_dwordx2 v[59:60], v[63:64], off offset:2048
	v_add_co_u32_e32 v63, vcc, 0x6000, v61
	v_addc_co_u32_e32 v64, vcc, 0, v62, vcc
	v_add_co_u32_e32 v67, vcc, 0x7000, v61
	v_addc_co_u32_e32 v68, vcc, 0, v62, vcc
	global_load_dwordx2 v[61:62], v[63:64], off
	s_nop 0
	global_load_dwordx2 v[63:64], v[63:64], off offset:2048
	s_nop 0
	global_load_dwordx2 v[65:66], v[67:68], off
	s_nop 0
	global_load_dwordx2 v[67:68], v[67:68], off offset:2048
	s_mov_b64 s[20:21], 0
.LBB738_616:                            ;   in Loop: Header=BB738_614 Depth=2
	s_andn2_b64 vcc, exec, s[20:21]
	s_movk_i32 s22, 0x1000
	s_cbranch_vccnz .LBB738_635
; %bb.617:                              ;   in Loop: Header=BB738_614 Depth=2
	s_lshl_b64 s[20:21], s[92:93], 3
	s_add_u32 s20, s76, s20
	s_addc_u32 s21, s77, s21
	v_cmp_gt_u32_e32 vcc, s6, v0
	s_and_saveexec_b64 s[22:23], vcc
	s_cbranch_execnz .LBB738_667
; %bb.618:                              ;   in Loop: Header=BB738_614 Depth=2
	s_or_b64 exec, exec, s[22:23]
	v_cmp_gt_u32_e32 vcc, s6, v72
	s_and_saveexec_b64 s[22:23], vcc
	s_cbranch_execnz .LBB738_668
.LBB738_619:                            ;   in Loop: Header=BB738_614 Depth=2
	s_or_b64 exec, exec, s[22:23]
	v_cmp_gt_u32_e32 vcc, s6, v75
	s_and_saveexec_b64 s[22:23], vcc
	s_cbranch_execnz .LBB738_669
.LBB738_620:                            ;   in Loop: Header=BB738_614 Depth=2
	s_or_b64 exec, exec, s[22:23]
	v_cmp_gt_u32_e32 vcc, s6, v76
	s_and_saveexec_b64 s[22:23], vcc
	s_cbranch_execnz .LBB738_670
.LBB738_621:                            ;   in Loop: Header=BB738_614 Depth=2
	s_or_b64 exec, exec, s[22:23]
	v_cmp_gt_u32_e32 vcc, s6, v77
	s_and_saveexec_b64 s[22:23], vcc
	s_cbranch_execnz .LBB738_671
.LBB738_622:                            ;   in Loop: Header=BB738_614 Depth=2
	s_or_b64 exec, exec, s[22:23]
	v_cmp_gt_u32_e32 vcc, s6, v78
	s_and_saveexec_b64 s[22:23], vcc
	s_cbranch_execnz .LBB738_672
.LBB738_623:                            ;   in Loop: Header=BB738_614 Depth=2
	s_or_b64 exec, exec, s[22:23]
	v_cmp_gt_u32_e32 vcc, s6, v79
	s_and_saveexec_b64 s[22:23], vcc
	s_cbranch_execnz .LBB738_673
.LBB738_624:                            ;   in Loop: Header=BB738_614 Depth=2
	s_or_b64 exec, exec, s[22:23]
	v_cmp_gt_u32_e32 vcc, s6, v80
	s_and_saveexec_b64 s[22:23], vcc
	s_cbranch_execnz .LBB738_674
.LBB738_625:                            ;   in Loop: Header=BB738_614 Depth=2
	s_or_b64 exec, exec, s[22:23]
	v_cmp_gt_u32_e32 vcc, s6, v81
	s_and_saveexec_b64 s[22:23], vcc
	s_cbranch_execnz .LBB738_675
.LBB738_626:                            ;   in Loop: Header=BB738_614 Depth=2
	s_or_b64 exec, exec, s[22:23]
	v_cmp_gt_u32_e32 vcc, s6, v82
	s_and_saveexec_b64 s[22:23], vcc
	s_cbranch_execnz .LBB738_676
.LBB738_627:                            ;   in Loop: Header=BB738_614 Depth=2
	s_or_b64 exec, exec, s[22:23]
	v_cmp_gt_u32_e32 vcc, s6, v83
	s_and_saveexec_b64 s[22:23], vcc
	s_cbranch_execnz .LBB738_677
.LBB738_628:                            ;   in Loop: Header=BB738_614 Depth=2
	s_or_b64 exec, exec, s[22:23]
	v_cmp_gt_u32_e32 vcc, s6, v84
	s_and_saveexec_b64 s[22:23], vcc
	s_cbranch_execnz .LBB738_678
.LBB738_629:                            ;   in Loop: Header=BB738_614 Depth=2
	s_or_b64 exec, exec, s[22:23]
	v_cmp_gt_u32_e32 vcc, s6, v85
	s_and_saveexec_b64 s[22:23], vcc
	s_cbranch_execnz .LBB738_679
.LBB738_630:                            ;   in Loop: Header=BB738_614 Depth=2
	s_or_b64 exec, exec, s[22:23]
	v_cmp_gt_u32_e32 vcc, s6, v86
	s_and_saveexec_b64 s[22:23], vcc
	s_cbranch_execnz .LBB738_680
.LBB738_631:                            ;   in Loop: Header=BB738_614 Depth=2
	s_or_b64 exec, exec, s[22:23]
	v_cmp_gt_u32_e32 vcc, s6, v87
	s_and_saveexec_b64 s[22:23], vcc
	s_cbranch_execnz .LBB738_681
.LBB738_632:                            ;   in Loop: Header=BB738_614 Depth=2
	s_or_b64 exec, exec, s[22:23]
	v_cmp_gt_u32_e32 vcc, s6, v88
	s_and_saveexec_b64 s[22:23], vcc
	s_cbranch_execz .LBB738_634
.LBB738_633:                            ;   in Loop: Header=BB738_614 Depth=2
	global_load_dwordx2 v[5:6], v132, s[20:21]
.LBB738_634:                            ;   in Loop: Header=BB738_614 Depth=2
	s_or_b64 exec, exec, s[22:23]
	s_waitcnt vmcnt(0)
	v_mov_b32_e32 v38, v36
	v_mov_b32_e32 v40, v34
	;; [unrolled: 1-line block ×16, first 2 shown]
	s_mov_b32 s22, s6
	v_mov_b32_e32 v37, v35
	v_mov_b32_e32 v39, v33
	v_mov_b32_e32 v41, v31
	v_mov_b32_e32 v43, v29
	v_mov_b32_e32 v45, v27
	v_mov_b32_e32 v47, v25
	v_mov_b32_e32 v49, v23
	v_mov_b32_e32 v51, v21
	v_mov_b32_e32 v53, v19
	v_mov_b32_e32 v55, v17
	v_mov_b32_e32 v57, v15
	v_mov_b32_e32 v59, v13
	v_mov_b32_e32 v61, v11
	v_mov_b32_e32 v63, v9
	v_mov_b32_e32 v65, v7
	v_mov_b32_e32 v67, v5
.LBB738_635:                            ;   in Loop: Header=BB738_614 Depth=2
	s_waitcnt vmcnt(0)
	v_mov_b32_e32 v5, v67
	v_mov_b32_e32 v7, v65
	;; [unrolled: 1-line block ×32, first 2 shown]
	v_cmp_gt_u32_e32 vcc, s22, v0
	s_and_saveexec_b64 s[20:21], vcc
	s_cbranch_execnz .LBB738_651
; %bb.636:                              ;   in Loop: Header=BB738_614 Depth=2
	s_or_b64 exec, exec, s[20:21]
	v_cmp_gt_u32_e32 vcc, s22, v72
	s_and_saveexec_b64 s[20:21], vcc
	s_cbranch_execnz .LBB738_652
.LBB738_637:                            ;   in Loop: Header=BB738_614 Depth=2
	s_or_b64 exec, exec, s[20:21]
	v_cmp_gt_u32_e32 vcc, s22, v75
	s_and_saveexec_b64 s[20:21], vcc
	s_cbranch_execnz .LBB738_653
.LBB738_638:                            ;   in Loop: Header=BB738_614 Depth=2
	s_or_b64 exec, exec, s[20:21]
	v_cmp_gt_u32_e32 vcc, s22, v76
	s_and_saveexec_b64 s[20:21], vcc
	s_cbranch_execnz .LBB738_654
.LBB738_639:                            ;   in Loop: Header=BB738_614 Depth=2
	s_or_b64 exec, exec, s[20:21]
	v_cmp_gt_u32_e32 vcc, s22, v77
	s_and_saveexec_b64 s[20:21], vcc
	s_cbranch_execnz .LBB738_655
.LBB738_640:                            ;   in Loop: Header=BB738_614 Depth=2
	s_or_b64 exec, exec, s[20:21]
	v_cmp_gt_u32_e32 vcc, s22, v78
	s_and_saveexec_b64 s[20:21], vcc
	s_cbranch_execnz .LBB738_656
.LBB738_641:                            ;   in Loop: Header=BB738_614 Depth=2
	s_or_b64 exec, exec, s[20:21]
	v_cmp_gt_u32_e32 vcc, s22, v79
	s_and_saveexec_b64 s[20:21], vcc
	s_cbranch_execnz .LBB738_657
.LBB738_642:                            ;   in Loop: Header=BB738_614 Depth=2
	s_or_b64 exec, exec, s[20:21]
	v_cmp_gt_u32_e32 vcc, s22, v80
	s_and_saveexec_b64 s[20:21], vcc
	s_cbranch_execnz .LBB738_658
.LBB738_643:                            ;   in Loop: Header=BB738_614 Depth=2
	s_or_b64 exec, exec, s[20:21]
	v_cmp_gt_u32_e32 vcc, s22, v81
	s_and_saveexec_b64 s[20:21], vcc
	s_cbranch_execnz .LBB738_659
.LBB738_644:                            ;   in Loop: Header=BB738_614 Depth=2
	s_or_b64 exec, exec, s[20:21]
	v_cmp_gt_u32_e32 vcc, s22, v82
	s_and_saveexec_b64 s[20:21], vcc
	s_cbranch_execnz .LBB738_660
.LBB738_645:                            ;   in Loop: Header=BB738_614 Depth=2
	s_or_b64 exec, exec, s[20:21]
	v_cmp_gt_u32_e32 vcc, s22, v83
	s_and_saveexec_b64 s[20:21], vcc
	s_cbranch_execnz .LBB738_661
.LBB738_646:                            ;   in Loop: Header=BB738_614 Depth=2
	s_or_b64 exec, exec, s[20:21]
	v_cmp_gt_u32_e32 vcc, s22, v84
	s_and_saveexec_b64 s[20:21], vcc
	s_cbranch_execnz .LBB738_662
.LBB738_647:                            ;   in Loop: Header=BB738_614 Depth=2
	s_or_b64 exec, exec, s[20:21]
	v_cmp_gt_u32_e32 vcc, s22, v85
	s_and_saveexec_b64 s[20:21], vcc
	s_cbranch_execnz .LBB738_663
.LBB738_648:                            ;   in Loop: Header=BB738_614 Depth=2
	s_or_b64 exec, exec, s[20:21]
	v_cmp_gt_u32_e32 vcc, s22, v86
	s_and_saveexec_b64 s[20:21], vcc
	s_cbranch_execnz .LBB738_664
.LBB738_649:                            ;   in Loop: Header=BB738_614 Depth=2
	s_or_b64 exec, exec, s[20:21]
	v_cmp_gt_u32_e32 vcc, s22, v87
	s_and_saveexec_b64 s[20:21], vcc
	s_cbranch_execnz .LBB738_665
.LBB738_650:                            ;   in Loop: Header=BB738_614 Depth=2
	s_or_b64 exec, exec, s[20:21]
	v_cmp_gt_u32_e32 vcc, s22, v88
	s_and_saveexec_b64 s[20:21], vcc
	s_cbranch_execz .LBB738_613
	s_branch .LBB738_666
.LBB738_651:                            ;   in Loop: Header=BB738_614 Depth=2
	v_xor_b32_e32 v38, 0x7fffffff, v36
	v_not_b32_e32 v37, v35
	v_lshrrev_b64 v[37:38], s88, v[37:38]
	v_and_b32_e32 v37, s98, v37
	v_lshl_or_b32 v37, v37, 4, v89
	ds_add_u32 v37, v117
	s_or_b64 exec, exec, s[20:21]
	v_cmp_gt_u32_e32 vcc, s22, v72
	s_and_saveexec_b64 s[20:21], vcc
	s_cbranch_execz .LBB738_637
.LBB738_652:                            ;   in Loop: Header=BB738_614 Depth=2
	v_xor_b32_e32 v38, 0x7fffffff, v34
	v_not_b32_e32 v37, v33
	v_lshrrev_b64 v[37:38], s88, v[37:38]
	v_and_b32_e32 v37, s98, v37
	v_lshl_or_b32 v37, v37, 4, v89
	ds_add_u32 v37, v117
	s_or_b64 exec, exec, s[20:21]
	v_cmp_gt_u32_e32 vcc, s22, v75
	s_and_saveexec_b64 s[20:21], vcc
	s_cbranch_execz .LBB738_638
.LBB738_653:                            ;   in Loop: Header=BB738_614 Depth=2
	v_xor_b32_e32 v38, 0x7fffffff, v32
	v_not_b32_e32 v37, v31
	v_lshrrev_b64 v[37:38], s88, v[37:38]
	v_and_b32_e32 v37, s98, v37
	v_lshl_or_b32 v37, v37, 4, v89
	ds_add_u32 v37, v117
	s_or_b64 exec, exec, s[20:21]
	v_cmp_gt_u32_e32 vcc, s22, v76
	s_and_saveexec_b64 s[20:21], vcc
	s_cbranch_execz .LBB738_639
.LBB738_654:                            ;   in Loop: Header=BB738_614 Depth=2
	v_xor_b32_e32 v38, 0x7fffffff, v30
	v_not_b32_e32 v37, v29
	v_lshrrev_b64 v[37:38], s88, v[37:38]
	v_and_b32_e32 v37, s98, v37
	v_lshl_or_b32 v37, v37, 4, v89
	ds_add_u32 v37, v117
	s_or_b64 exec, exec, s[20:21]
	v_cmp_gt_u32_e32 vcc, s22, v77
	s_and_saveexec_b64 s[20:21], vcc
	s_cbranch_execz .LBB738_640
.LBB738_655:                            ;   in Loop: Header=BB738_614 Depth=2
	v_xor_b32_e32 v38, 0x7fffffff, v28
	v_not_b32_e32 v37, v27
	v_lshrrev_b64 v[37:38], s88, v[37:38]
	v_and_b32_e32 v37, s98, v37
	v_lshl_or_b32 v37, v37, 4, v89
	ds_add_u32 v37, v117
	s_or_b64 exec, exec, s[20:21]
	v_cmp_gt_u32_e32 vcc, s22, v78
	s_and_saveexec_b64 s[20:21], vcc
	s_cbranch_execz .LBB738_641
.LBB738_656:                            ;   in Loop: Header=BB738_614 Depth=2
	v_xor_b32_e32 v38, 0x7fffffff, v26
	v_not_b32_e32 v37, v25
	v_lshrrev_b64 v[37:38], s88, v[37:38]
	v_and_b32_e32 v37, s98, v37
	v_lshl_or_b32 v37, v37, 4, v89
	ds_add_u32 v37, v117
	s_or_b64 exec, exec, s[20:21]
	v_cmp_gt_u32_e32 vcc, s22, v79
	s_and_saveexec_b64 s[20:21], vcc
	s_cbranch_execz .LBB738_642
.LBB738_657:                            ;   in Loop: Header=BB738_614 Depth=2
	v_xor_b32_e32 v38, 0x7fffffff, v24
	v_not_b32_e32 v37, v23
	v_lshrrev_b64 v[37:38], s88, v[37:38]
	v_and_b32_e32 v37, s98, v37
	v_lshl_or_b32 v37, v37, 4, v89
	ds_add_u32 v37, v117
	s_or_b64 exec, exec, s[20:21]
	v_cmp_gt_u32_e32 vcc, s22, v80
	s_and_saveexec_b64 s[20:21], vcc
	s_cbranch_execz .LBB738_643
.LBB738_658:                            ;   in Loop: Header=BB738_614 Depth=2
	v_xor_b32_e32 v38, 0x7fffffff, v22
	v_not_b32_e32 v37, v21
	v_lshrrev_b64 v[37:38], s88, v[37:38]
	v_and_b32_e32 v37, s98, v37
	v_lshl_or_b32 v37, v37, 4, v89
	ds_add_u32 v37, v117
	s_or_b64 exec, exec, s[20:21]
	v_cmp_gt_u32_e32 vcc, s22, v81
	s_and_saveexec_b64 s[20:21], vcc
	s_cbranch_execz .LBB738_644
.LBB738_659:                            ;   in Loop: Header=BB738_614 Depth=2
	v_xor_b32_e32 v38, 0x7fffffff, v20
	v_not_b32_e32 v37, v19
	v_lshrrev_b64 v[37:38], s88, v[37:38]
	v_and_b32_e32 v37, s98, v37
	v_lshl_or_b32 v37, v37, 4, v89
	ds_add_u32 v37, v117
	s_or_b64 exec, exec, s[20:21]
	v_cmp_gt_u32_e32 vcc, s22, v82
	s_and_saveexec_b64 s[20:21], vcc
	s_cbranch_execz .LBB738_645
.LBB738_660:                            ;   in Loop: Header=BB738_614 Depth=2
	v_xor_b32_e32 v38, 0x7fffffff, v18
	v_not_b32_e32 v37, v17
	v_lshrrev_b64 v[37:38], s88, v[37:38]
	v_and_b32_e32 v37, s98, v37
	v_lshl_or_b32 v37, v37, 4, v89
	ds_add_u32 v37, v117
	s_or_b64 exec, exec, s[20:21]
	v_cmp_gt_u32_e32 vcc, s22, v83
	s_and_saveexec_b64 s[20:21], vcc
	s_cbranch_execz .LBB738_646
.LBB738_661:                            ;   in Loop: Header=BB738_614 Depth=2
	v_xor_b32_e32 v38, 0x7fffffff, v16
	v_not_b32_e32 v37, v15
	v_lshrrev_b64 v[37:38], s88, v[37:38]
	v_and_b32_e32 v37, s98, v37
	v_lshl_or_b32 v37, v37, 4, v89
	ds_add_u32 v37, v117
	s_or_b64 exec, exec, s[20:21]
	v_cmp_gt_u32_e32 vcc, s22, v84
	s_and_saveexec_b64 s[20:21], vcc
	s_cbranch_execz .LBB738_647
.LBB738_662:                            ;   in Loop: Header=BB738_614 Depth=2
	v_xor_b32_e32 v38, 0x7fffffff, v14
	v_not_b32_e32 v37, v13
	v_lshrrev_b64 v[37:38], s88, v[37:38]
	v_and_b32_e32 v37, s98, v37
	v_lshl_or_b32 v37, v37, 4, v89
	ds_add_u32 v37, v117
	s_or_b64 exec, exec, s[20:21]
	v_cmp_gt_u32_e32 vcc, s22, v85
	s_and_saveexec_b64 s[20:21], vcc
	s_cbranch_execz .LBB738_648
.LBB738_663:                            ;   in Loop: Header=BB738_614 Depth=2
	v_xor_b32_e32 v38, 0x7fffffff, v12
	v_not_b32_e32 v37, v11
	v_lshrrev_b64 v[37:38], s88, v[37:38]
	v_and_b32_e32 v37, s98, v37
	v_lshl_or_b32 v37, v37, 4, v89
	ds_add_u32 v37, v117
	s_or_b64 exec, exec, s[20:21]
	v_cmp_gt_u32_e32 vcc, s22, v86
	s_and_saveexec_b64 s[20:21], vcc
	s_cbranch_execz .LBB738_649
.LBB738_664:                            ;   in Loop: Header=BB738_614 Depth=2
	v_xor_b32_e32 v38, 0x7fffffff, v10
	v_not_b32_e32 v37, v9
	v_lshrrev_b64 v[37:38], s88, v[37:38]
	v_and_b32_e32 v37, s98, v37
	v_lshl_or_b32 v37, v37, 4, v89
	ds_add_u32 v37, v117
	s_or_b64 exec, exec, s[20:21]
	v_cmp_gt_u32_e32 vcc, s22, v87
	s_and_saveexec_b64 s[20:21], vcc
	s_cbranch_execz .LBB738_650
.LBB738_665:                            ;   in Loop: Header=BB738_614 Depth=2
	v_xor_b32_e32 v38, 0x7fffffff, v8
	v_not_b32_e32 v37, v7
	v_lshrrev_b64 v[37:38], s88, v[37:38]
	v_and_b32_e32 v37, s98, v37
	v_lshl_or_b32 v37, v37, 4, v89
	ds_add_u32 v37, v117
	s_or_b64 exec, exec, s[20:21]
	v_cmp_gt_u32_e32 vcc, s22, v88
	s_and_saveexec_b64 s[20:21], vcc
	s_cbranch_execz .LBB738_613
.LBB738_666:                            ;   in Loop: Header=BB738_614 Depth=2
	v_xor_b32_e32 v38, 0x7fffffff, v6
	v_not_b32_e32 v37, v5
	v_lshrrev_b64 v[37:38], s88, v[37:38]
	v_and_b32_e32 v37, s98, v37
	v_lshl_or_b32 v37, v37, 4, v89
	ds_add_u32 v37, v117
	s_branch .LBB738_613
.LBB738_667:                            ;   in Loop: Header=BB738_614 Depth=2
	global_load_dwordx2 v[35:36], v118, s[20:21]
	s_or_b64 exec, exec, s[22:23]
	v_cmp_gt_u32_e32 vcc, s6, v72
	s_and_saveexec_b64 s[22:23], vcc
	s_cbranch_execz .LBB738_619
.LBB738_668:                            ;   in Loop: Header=BB738_614 Depth=2
	global_load_dwordx2 v[33:34], v118, s[20:21] offset:2048
	s_or_b64 exec, exec, s[22:23]
	v_cmp_gt_u32_e32 vcc, s6, v75
	s_and_saveexec_b64 s[22:23], vcc
	s_cbranch_execz .LBB738_620
.LBB738_669:                            ;   in Loop: Header=BB738_614 Depth=2
	global_load_dwordx2 v[31:32], v119, s[20:21]
	s_or_b64 exec, exec, s[22:23]
	v_cmp_gt_u32_e32 vcc, s6, v76
	s_and_saveexec_b64 s[22:23], vcc
	s_cbranch_execz .LBB738_621
.LBB738_670:                            ;   in Loop: Header=BB738_614 Depth=2
	global_load_dwordx2 v[29:30], v120, s[20:21]
	s_or_b64 exec, exec, s[22:23]
	v_cmp_gt_u32_e32 vcc, s6, v77
	s_and_saveexec_b64 s[22:23], vcc
	s_cbranch_execz .LBB738_622
.LBB738_671:                            ;   in Loop: Header=BB738_614 Depth=2
	global_load_dwordx2 v[27:28], v121, s[20:21]
	s_or_b64 exec, exec, s[22:23]
	v_cmp_gt_u32_e32 vcc, s6, v78
	s_and_saveexec_b64 s[22:23], vcc
	s_cbranch_execz .LBB738_623
.LBB738_672:                            ;   in Loop: Header=BB738_614 Depth=2
	global_load_dwordx2 v[25:26], v122, s[20:21]
	s_or_b64 exec, exec, s[22:23]
	v_cmp_gt_u32_e32 vcc, s6, v79
	s_and_saveexec_b64 s[22:23], vcc
	s_cbranch_execz .LBB738_624
.LBB738_673:                            ;   in Loop: Header=BB738_614 Depth=2
	global_load_dwordx2 v[23:24], v123, s[20:21]
	s_or_b64 exec, exec, s[22:23]
	v_cmp_gt_u32_e32 vcc, s6, v80
	s_and_saveexec_b64 s[22:23], vcc
	s_cbranch_execz .LBB738_625
.LBB738_674:                            ;   in Loop: Header=BB738_614 Depth=2
	global_load_dwordx2 v[21:22], v124, s[20:21]
	s_or_b64 exec, exec, s[22:23]
	v_cmp_gt_u32_e32 vcc, s6, v81
	s_and_saveexec_b64 s[22:23], vcc
	s_cbranch_execz .LBB738_626
.LBB738_675:                            ;   in Loop: Header=BB738_614 Depth=2
	global_load_dwordx2 v[19:20], v125, s[20:21]
	s_or_b64 exec, exec, s[22:23]
	v_cmp_gt_u32_e32 vcc, s6, v82
	s_and_saveexec_b64 s[22:23], vcc
	s_cbranch_execz .LBB738_627
.LBB738_676:                            ;   in Loop: Header=BB738_614 Depth=2
	global_load_dwordx2 v[17:18], v126, s[20:21]
	s_or_b64 exec, exec, s[22:23]
	v_cmp_gt_u32_e32 vcc, s6, v83
	s_and_saveexec_b64 s[22:23], vcc
	s_cbranch_execz .LBB738_628
.LBB738_677:                            ;   in Loop: Header=BB738_614 Depth=2
	global_load_dwordx2 v[15:16], v127, s[20:21]
	s_or_b64 exec, exec, s[22:23]
	v_cmp_gt_u32_e32 vcc, s6, v84
	s_and_saveexec_b64 s[22:23], vcc
	s_cbranch_execz .LBB738_629
.LBB738_678:                            ;   in Loop: Header=BB738_614 Depth=2
	global_load_dwordx2 v[13:14], v128, s[20:21]
	s_or_b64 exec, exec, s[22:23]
	v_cmp_gt_u32_e32 vcc, s6, v85
	s_and_saveexec_b64 s[22:23], vcc
	s_cbranch_execz .LBB738_630
.LBB738_679:                            ;   in Loop: Header=BB738_614 Depth=2
	global_load_dwordx2 v[11:12], v129, s[20:21]
	s_or_b64 exec, exec, s[22:23]
	v_cmp_gt_u32_e32 vcc, s6, v86
	s_and_saveexec_b64 s[22:23], vcc
	s_cbranch_execz .LBB738_631
.LBB738_680:                            ;   in Loop: Header=BB738_614 Depth=2
	global_load_dwordx2 v[9:10], v130, s[20:21]
	s_or_b64 exec, exec, s[22:23]
	v_cmp_gt_u32_e32 vcc, s6, v87
	s_and_saveexec_b64 s[22:23], vcc
	s_cbranch_execz .LBB738_632
.LBB738_681:                            ;   in Loop: Header=BB738_614 Depth=2
	global_load_dwordx2 v[7:8], v131, s[20:21]
	s_or_b64 exec, exec, s[22:23]
	v_cmp_gt_u32_e32 vcc, s6, v88
	s_and_saveexec_b64 s[22:23], vcc
	s_cbranch_execnz .LBB738_633
	s_branch .LBB738_634
.LBB738_682:                            ;   in Loop: Header=BB738_20 Depth=1
	v_mov_b32_e32 v5, 0
	s_waitcnt lgkmcnt(0)
	s_barrier
	s_and_saveexec_b64 s[20:21], s[4:5]
	s_cbranch_execz .LBB738_684
; %bb.683:                              ;   in Loop: Header=BB738_20 Depth=1
	ds_read2_b64 v[5:8], v91 offset1:1
	s_waitcnt lgkmcnt(0)
	v_add_u32_e32 v5, v6, v5
	v_add3_u32 v5, v5, v7, v8
.LBB738_684:                            ;   in Loop: Header=BB738_20 Depth=1
	s_or_b64 exec, exec, s[20:21]
	v_and_b32_e32 v6, 15, v133
	v_mov_b32_dpp v7, v5 row_shr:1 row_mask:0xf bank_mask:0xf
	v_cmp_eq_u32_e64 s[20:21], 0, v6
	v_cndmask_b32_e64 v7, v7, 0, s[20:21]
	v_add_u32_e32 v5, v7, v5
	v_cmp_lt_u32_e64 s[22:23], 1, v6
	v_cmp_lt_u32_e64 s[24:25], 3, v6
	v_mov_b32_dpp v7, v5 row_shr:2 row_mask:0xf bank_mask:0xf
	v_cndmask_b32_e64 v7, 0, v7, s[22:23]
	v_add_u32_e32 v5, v5, v7
	v_cmp_lt_u32_e64 s[26:27], 7, v6
	v_cmp_lt_u32_e64 s[30:31], 31, v133
	v_mov_b32_dpp v7, v5 row_shr:4 row_mask:0xf bank_mask:0xf
	v_cndmask_b32_e64 v7, 0, v7, s[24:25]
	v_add_u32_e32 v5, v5, v7
	v_and_b32_e32 v8, 16, v133
	v_cmp_eq_u32_e64 s[28:29], 0, v8
	v_mov_b32_dpp v7, v5 row_shr:8 row_mask:0xf bank_mask:0xf
	v_cndmask_b32_e64 v6, 0, v7, s[26:27]
	v_add_u32_e32 v5, v5, v6
	v_bfe_i32 v7, v133, 4, 1
	s_nop 0
	v_mov_b32_dpp v6, v5 row_bcast:15 row_mask:0xf bank_mask:0xf
	v_and_b32_e32 v6, v7, v6
	v_add_u32_e32 v5, v5, v6
	s_nop 1
	v_mov_b32_dpp v6, v5 row_bcast:31 row_mask:0xf bank_mask:0xf
	v_cndmask_b32_e64 v6, 0, v6, s[30:31]
	v_add_u32_e32 v5, v5, v6
	s_mov_b64 s[34:35], exec
	v_readlane_b32 s6, v232, 1
	v_readlane_b32 s7, v232, 2
	s_and_b64 s[6:7], s[34:35], s[6:7]
	s_mov_b64 exec, s[6:7]
; %bb.685:                              ;   in Loop: Header=BB738_20 Depth=1
	ds_write_b32 v93, v5
; %bb.686:                              ;   in Loop: Header=BB738_20 Depth=1
	s_or_b64 exec, exec, s[34:35]
	s_waitcnt lgkmcnt(0)
	s_barrier
	s_and_saveexec_b64 s[34:35], s[8:9]
	s_cbranch_execz .LBB738_688
; %bb.687:                              ;   in Loop: Header=BB738_20 Depth=1
	ds_read_b32 v6, v94
	v_bfe_i32 v7, v133, 0, 1
	s_waitcnt lgkmcnt(0)
	v_mov_b32_dpp v8, v6 row_shr:1 row_mask:0xf bank_mask:0xf
	v_and_b32_e32 v7, v7, v8
	v_add_u32_e32 v6, v7, v6
	ds_write_b32 v94, v6
.LBB738_688:                            ;   in Loop: Header=BB738_20 Depth=1
	s_or_b64 exec, exec, s[34:35]
	v_mov_b32_e32 v6, 0
	s_waitcnt lgkmcnt(0)
	s_barrier
	s_and_saveexec_b64 s[34:35], s[10:11]
; %bb.689:                              ;   in Loop: Header=BB738_20 Depth=1
	ds_read_b32 v6, v95
; %bb.690:                              ;   in Loop: Header=BB738_20 Depth=1
	s_or_b64 exec, exec, s[34:35]
	v_subrev_co_u32_e64 v7, s[34:35], 1, v133
	v_and_b32_e32 v8, 64, v133
	v_cmp_lt_i32_e32 vcc, v7, v8
	v_cndmask_b32_e32 v7, v7, v133, vcc
	s_waitcnt lgkmcnt(0)
	v_add_u32_e32 v5, v6, v5
	v_lshlrev_b32_e32 v134, 2, v7
	ds_bpermute_b32 v5, v134, v5
	s_waitcnt lgkmcnt(0)
	s_barrier
	s_and_saveexec_b64 s[36:37], s[4:5]
; %bb.691:                              ;   in Loop: Header=BB738_20 Depth=1
	v_cndmask_b32_e64 v5, v5, v6, s[34:35]
	v_add_u32_e32 v5, s73, v5
	ds_write_b32 v71, v5
; %bb.692:                              ;   in Loop: Header=BB738_20 Depth=1
	s_or_b64 exec, exec, s[36:37]
	s_load_dwordx2 s[6:7], s[94:95], 0x0
	v_readlane_b32 s36, v232, 0
	v_and_b32_e32 v39, 3, v133
	v_and_b32_e32 v40, 63, v133
	v_cmp_lt_u32_e64 s[38:39], 1, v39
	s_waitcnt lgkmcnt(0)
	s_cmp_lt_u32 s36, s7
	s_cselect_b32 s7, 14, 20
	s_add_u32 s36, s94, s7
	s_addc_u32 s37, s95, 0
	s_cmp_lt_u32 s72, s6
	s_cselect_b32 s6, 12, 18
	s_add_u32 s6, s94, s6
	global_load_ushort v37, v3, s[36:37]
	s_addc_u32 s7, s95, 0
	global_load_ushort v38, v3, s[6:7]
	v_cmp_eq_u32_e64 s[36:37], 0, v39
	v_lshlrev_b32_e32 v39, 3, v40
	v_add_co_u32_e32 v152, vcc, v113, v39
	v_addc_co_u32_e32 v153, vcc, 0, v114, vcc
	v_or_b32_e32 v151, v40, v96
	v_add_co_u32_e32 v169, vcc, v115, v39
	s_mov_b32 s91, s33
	v_or_b32_e32 v154, 64, v151
	v_or_b32_e32 v155, 0x80, v151
	;; [unrolled: 1-line block ×15, first 2 shown]
	v_addc_co_u32_e32 v170, vcc, 0, v116, vcc
	s_mov_b32 s92, s73
                                        ; implicit-def: $vgpr5_vgpr6
                                        ; implicit-def: $vgpr7_vgpr8
                                        ; implicit-def: $vgpr9_vgpr10
                                        ; implicit-def: $vgpr13_vgpr14
                                        ; implicit-def: $vgpr17_vgpr18
                                        ; implicit-def: $vgpr21_vgpr22
                                        ; implicit-def: $vgpr25_vgpr26
                                        ; implicit-def: $vgpr29_vgpr30
                                        ; implicit-def: $vgpr11_vgpr12
                                        ; implicit-def: $vgpr15_vgpr16
                                        ; implicit-def: $vgpr19_vgpr20
                                        ; implicit-def: $vgpr23_vgpr24
                                        ; implicit-def: $vgpr27_vgpr28
                                        ; implicit-def: $vgpr31_vgpr32
                                        ; implicit-def: $vgpr33_vgpr34
                                        ; implicit-def: $vgpr35_vgpr36
                                        ; implicit-def: $vgpr135
                                        ; implicit-def: $vgpr136
                                        ; implicit-def: $vgpr137
                                        ; implicit-def: $vgpr138
                                        ; implicit-def: $vgpr139
                                        ; implicit-def: $vgpr140
                                        ; implicit-def: $vgpr141
                                        ; implicit-def: $vgpr142
                                        ; implicit-def: $vgpr143
                                        ; implicit-def: $vgpr144
                                        ; implicit-def: $vgpr145
                                        ; implicit-def: $vgpr146
                                        ; implicit-def: $vgpr147
                                        ; implicit-def: $vgpr148
                                        ; implicit-def: $vgpr149
                                        ; implicit-def: $vgpr150
                                        ; implicit-def: $vgpr172
                                        ; implicit-def: $vgpr173
	s_waitcnt vmcnt(1)
	v_mad_u32_u24 v37, v2, v37, v1
	s_waitcnt vmcnt(0)
	v_mad_u64_u32 v[37:38], s[6:7], v37, v38, v[0:1]
	v_lshrrev_b32_e32 v37, 4, v37
	v_and_b32_e32 v171, 0xffffffc, v37
	s_branch .LBB738_694
.LBB738_693:                            ;   in Loop: Header=BB738_694 Depth=2
	s_or_b64 exec, exec, s[40:41]
	s_addk_i32 s91, 0xf000
	s_cmp_lt_u32 s99, s96
	s_mov_b32 s92, s99
	s_cbranch_scc0 .LBB738_904
.LBB738_694:                            ;   Parent Loop BB738_20 Depth=1
                                        ; =>  This Inner Loop Header: Depth=2
	s_add_i32 s99, s92, 0x1000
	s_cmp_gt_u32 s99, s96
	s_cbranch_scc1 .LBB738_696
; %bb.695:                              ;   in Loop: Header=BB738_694 Depth=2
	s_lshl_b64 s[6:7], s[92:93], 3
	v_mov_b32_e32 v38, s7
	v_add_co_u32_e32 v37, vcc, s6, v169
	v_addc_co_u32_e32 v38, vcc, v170, v38, vcc
	global_load_dwordx2 v[39:40], v[37:38], off
	global_load_dwordx2 v[41:42], v[37:38], off offset:512
	global_load_dwordx2 v[45:46], v[37:38], off offset:1024
	;; [unrolled: 1-line block ×7, first 2 shown]
	v_add_co_u32_e32 v37, vcc, 0x1000, v37
	v_addc_co_u32_e32 v38, vcc, 0, v38, vcc
	global_load_dwordx2 v[65:66], v[37:38], off
	global_load_dwordx2 v[63:64], v[37:38], off offset:512
	global_load_dwordx2 v[59:60], v[37:38], off offset:1024
	;; [unrolled: 1-line block ×6, first 2 shown]
	s_mov_b64 s[40:41], -1
	s_movk_i32 s6, 0x1000
	s_cbranch_execz .LBB738_697
	s_branch .LBB738_728
.LBB738_696:                            ;   in Loop: Header=BB738_694 Depth=2
	s_mov_b64 s[40:41], 0
                                        ; implicit-def: $vgpr39_vgpr40
                                        ; implicit-def: $vgpr41_vgpr42
                                        ; implicit-def: $vgpr45_vgpr46
                                        ; implicit-def: $vgpr49_vgpr50
                                        ; implicit-def: $vgpr53_vgpr54
                                        ; implicit-def: $vgpr57_vgpr58
                                        ; implicit-def: $vgpr61_vgpr62
                                        ; implicit-def: $vgpr67_vgpr68
                                        ; implicit-def: $vgpr65_vgpr66
                                        ; implicit-def: $vgpr63_vgpr64
                                        ; implicit-def: $vgpr59_vgpr60
                                        ; implicit-def: $vgpr55_vgpr56
                                        ; implicit-def: $vgpr51_vgpr52
                                        ; implicit-def: $vgpr47_vgpr48
                                        ; implicit-def: $vgpr43_vgpr44
	s_movk_i32 s6, 0x1000
.LBB738_697:                            ;   in Loop: Header=BB738_694 Depth=2
	s_lshl_b64 s[6:7], s[92:93], 3
	v_mov_b32_e32 v38, s7
	v_add_co_u32_e32 v37, vcc, s6, v169
	s_waitcnt vmcnt(13)
	v_mov_b32_e32 v41, v3
	v_addc_co_u32_e32 v38, vcc, v170, v38, vcc
	v_mov_b32_e32 v42, v4
	v_mov_b32_e32 v39, v41
	v_cmp_gt_u32_e32 vcc, s91, v151
	v_mov_b32_e32 v40, v42
	s_and_saveexec_b64 s[40:41], vcc
	s_cbranch_execz .LBB738_699
; %bb.698:                              ;   in Loop: Header=BB738_694 Depth=2
	global_load_dwordx2 v[39:40], v[37:38], off
.LBB738_699:                            ;   in Loop: Header=BB738_694 Depth=2
	s_or_b64 exec, exec, s[40:41]
	v_cmp_gt_u32_e32 vcc, s91, v154
	s_and_saveexec_b64 s[40:41], vcc
	s_cbranch_execz .LBB738_701
; %bb.700:                              ;   in Loop: Header=BB738_694 Depth=2
	global_load_dwordx2 v[41:42], v[37:38], off offset:512
.LBB738_701:                            ;   in Loop: Header=BB738_694 Depth=2
	s_or_b64 exec, exec, s[40:41]
	s_waitcnt vmcnt(12)
	v_mov_b32_e32 v46, v4
	v_cmp_gt_u32_e32 vcc, s91, v155
	v_mov_b32_e32 v45, v3
	s_and_saveexec_b64 s[40:41], vcc
	s_cbranch_execz .LBB738_703
; %bb.702:                              ;   in Loop: Header=BB738_694 Depth=2
	global_load_dwordx2 v[45:46], v[37:38], off offset:1024
.LBB738_703:                            ;   in Loop: Header=BB738_694 Depth=2
	s_or_b64 exec, exec, s[40:41]
	s_waitcnt vmcnt(11)
	v_mov_b32_e32 v50, v4
	v_cmp_gt_u32_e32 vcc, s91, v156
	v_mov_b32_e32 v49, v3
	;; [unrolled: 10-line block ×7, first 2 shown]
	s_and_saveexec_b64 s[40:41], vcc
	s_cbranch_execz .LBB738_715
; %bb.714:                              ;   in Loop: Header=BB738_694 Depth=2
	s_waitcnt vmcnt(0)
	v_add_co_u32_e32 v43, vcc, 0x1000, v37
	v_addc_co_u32_e32 v44, vcc, 0, v38, vcc
	global_load_dwordx2 v[65:66], v[43:44], off
.LBB738_715:                            ;   in Loop: Header=BB738_694 Depth=2
	s_or_b64 exec, exec, s[40:41]
	s_waitcnt vmcnt(5)
	v_mov_b32_e32 v64, v4
	v_cmp_gt_u32_e32 vcc, s91, v162
	v_mov_b32_e32 v63, v3
	s_and_saveexec_b64 s[40:41], vcc
	s_cbranch_execz .LBB738_717
; %bb.716:                              ;   in Loop: Header=BB738_694 Depth=2
	s_waitcnt vmcnt(0)
	v_add_co_u32_e32 v43, vcc, 0x1000, v37
	v_addc_co_u32_e32 v44, vcc, 0, v38, vcc
	global_load_dwordx2 v[63:64], v[43:44], off offset:512
.LBB738_717:                            ;   in Loop: Header=BB738_694 Depth=2
	s_or_b64 exec, exec, s[40:41]
	s_waitcnt vmcnt(4)
	v_mov_b32_e32 v60, v4
	v_cmp_gt_u32_e32 vcc, s91, v163
	v_mov_b32_e32 v59, v3
	s_and_saveexec_b64 s[40:41], vcc
	s_cbranch_execz .LBB738_719
; %bb.718:                              ;   in Loop: Header=BB738_694 Depth=2
	s_waitcnt vmcnt(0)
	v_add_co_u32_e32 v43, vcc, 0x1000, v37
	v_addc_co_u32_e32 v44, vcc, 0, v38, vcc
	global_load_dwordx2 v[59:60], v[43:44], off offset:1024
.LBB738_719:                            ;   in Loop: Header=BB738_694 Depth=2
	;; [unrolled: 13-line block ×5, first 2 shown]
	s_or_b64 exec, exec, s[40:41]
	s_waitcnt vmcnt(0)
	v_mov_b32_e32 v44, v4
	v_cmp_gt_u32_e32 vcc, s91, v167
	v_mov_b32_e32 v43, v3
	s_and_saveexec_b64 s[40:41], vcc
	s_cbranch_execz .LBB738_727
; %bb.726:                              ;   in Loop: Header=BB738_694 Depth=2
	v_add_co_u32_e32 v37, vcc, 0x1000, v37
	v_addc_co_u32_e32 v38, vcc, 0, v38, vcc
	global_load_dwordx2 v[43:44], v[37:38], off offset:3072
.LBB738_727:                            ;   in Loop: Header=BB738_694 Depth=2
	s_or_b64 exec, exec, s[40:41]
	s_sub_i32 s6, s96, s92
	v_cmp_gt_u32_e64 s[40:41], s91, v168
.LBB738_728:                            ;   in Loop: Header=BB738_694 Depth=2
	v_mov_b32_e32 v37, -1
	v_mov_b32_e32 v38, -1
	v_mov_b32_e32 v174, s91
	s_and_saveexec_b64 s[42:43], s[40:41]
	s_cbranch_execz .LBB738_730
; %bb.729:                              ;   in Loop: Header=BB738_694 Depth=2
	s_lshl_b64 s[40:41], s[92:93], 3
	v_mov_b32_e32 v37, s41
	v_add_co_u32_e32 v38, vcc, s40, v169
	v_addc_co_u32_e32 v69, vcc, v170, v37, vcc
	v_add_co_u32_e32 v37, vcc, 0x1000, v38
	v_addc_co_u32_e32 v38, vcc, 0, v69, vcc
	global_load_dwordx2 v[37:38], v[37:38], off offset:3584
	v_mov_b32_e32 v174, s6
	s_waitcnt vmcnt(0)
	v_xor_b32_e32 v38, 0x7fffffff, v38
	v_not_b32_e32 v37, v37
.LBB738_730:                            ;   in Loop: Header=BB738_694 Depth=2
	s_or_b64 exec, exec, s[42:43]
	s_waitcnt vmcnt(14)
	v_xor_b32_e32 v40, 0x7fffffff, v40
	v_not_b32_e32 v39, v39
	v_lshrrev_b64 v[69:70], s88, v[39:40]
	ds_write2_b32 v90, v3, v3 offset0:132 offset1:133
	ds_write_b32 v90, v3 offset:536
	v_and_b32_e32 v175, s98, v69
	v_and_b32_e32 v69, 1, v175
	v_add_co_u32_e32 v70, vcc, -1, v69
	v_addc_co_u32_e64 v177, s[6:7], 0, -1, vcc
	v_cmp_ne_u32_e32 vcc, 0, v69
	v_xor_b32_e32 v69, vcc_hi, v177
	v_xor_b32_e32 v70, vcc_lo, v70
	v_and_b32_e32 v177, exec_hi, v69
	v_and_b32_e32 v178, exec_lo, v70
	v_lshlrev_b32_e32 v70, 30, v175
	v_mov_b32_e32 v69, v3
	v_cmp_gt_i64_e32 vcc, 0, v[69:70]
	v_not_b32_e32 v69, v70
	v_ashrrev_i32_e32 v69, 31, v69
	v_xor_b32_e32 v70, vcc_hi, v69
	v_xor_b32_e32 v69, vcc_lo, v69
	v_and_b32_e32 v177, v177, v70
	v_and_b32_e32 v178, v178, v69
	v_lshlrev_b32_e32 v70, 29, v175
	v_mov_b32_e32 v69, v3
	v_cmp_gt_i64_e32 vcc, 0, v[69:70]
	v_not_b32_e32 v69, v70
	v_ashrrev_i32_e32 v69, 31, v69
	v_xor_b32_e32 v70, vcc_hi, v69
	v_xor_b32_e32 v69, vcc_lo, v69
	v_and_b32_e32 v177, v177, v70
	v_and_b32_e32 v178, v178, v69
	;; [unrolled: 9-line block ×5, first 2 shown]
	v_lshlrev_b32_e32 v70, 25, v175
	v_mov_b32_e32 v69, v3
	v_cmp_gt_i64_e32 vcc, 0, v[69:70]
	v_not_b32_e32 v69, v70
	v_ashrrev_i32_e32 v69, 31, v69
	v_xor_b32_e32 v70, vcc_hi, v69
	v_xor_b32_e32 v69, vcc_lo, v69
	v_and_b32_e32 v69, v178, v69
	v_mul_u32_u24_e32 v176, 20, v175
	v_and_b32_e32 v70, v177, v70
	v_mbcnt_lo_u32_b32 v175, v69, 0
	v_mbcnt_hi_u32_b32 v175, v70, v175
	v_cmp_ne_u64_e32 vcc, 0, v[69:70]
	v_cmp_eq_u32_e64 s[40:41], 0, v175
	s_and_b64 s[6:7], vcc, s[40:41]
	v_add_u32_e32 v177, v171, v176
	s_waitcnt vmcnt(0) lgkmcnt(0)
	s_barrier
	; wave barrier
	s_and_saveexec_b64 s[40:41], s[6:7]
; %bb.731:                              ;   in Loop: Header=BB738_694 Depth=2
	v_bcnt_u32_b32 v69, v69, 0
	v_bcnt_u32_b32 v69, v70, v69
	ds_write_b32 v177, v69 offset:528
; %bb.732:                              ;   in Loop: Header=BB738_694 Depth=2
	s_or_b64 exec, exec, s[40:41]
	v_xor_b32_e32 v42, 0x7fffffff, v42
	v_not_b32_e32 v41, v41
	v_lshrrev_b64 v[69:70], s88, v[41:42]
	v_and_b32_e32 v178, s98, v69
	v_mad_u32_u24 v69, v178, 20, v171
	; wave barrier
	ds_read_b32 v176, v69 offset:528
	v_and_b32_e32 v69, 1, v178
	v_add_co_u32_e32 v70, vcc, -1, v69
	v_addc_co_u32_e64 v180, s[6:7], 0, -1, vcc
	v_cmp_ne_u32_e32 vcc, 0, v69
	v_xor_b32_e32 v69, vcc_hi, v180
	v_xor_b32_e32 v70, vcc_lo, v70
	v_and_b32_e32 v180, exec_hi, v69
	v_and_b32_e32 v181, exec_lo, v70
	v_lshlrev_b32_e32 v70, 30, v178
	v_mov_b32_e32 v69, v3
	v_cmp_gt_i64_e32 vcc, 0, v[69:70]
	v_not_b32_e32 v69, v70
	v_ashrrev_i32_e32 v69, 31, v69
	v_xor_b32_e32 v70, vcc_hi, v69
	v_xor_b32_e32 v69, vcc_lo, v69
	v_and_b32_e32 v180, v180, v70
	v_and_b32_e32 v181, v181, v69
	v_lshlrev_b32_e32 v70, 29, v178
	v_mov_b32_e32 v69, v3
	v_cmp_gt_i64_e32 vcc, 0, v[69:70]
	v_not_b32_e32 v69, v70
	v_ashrrev_i32_e32 v69, 31, v69
	v_xor_b32_e32 v70, vcc_hi, v69
	v_xor_b32_e32 v69, vcc_lo, v69
	v_and_b32_e32 v180, v180, v70
	v_and_b32_e32 v181, v181, v69
	;; [unrolled: 9-line block ×5, first 2 shown]
	v_lshlrev_b32_e32 v70, 25, v178
	v_mov_b32_e32 v69, v3
	v_cmp_gt_i64_e32 vcc, 0, v[69:70]
	v_not_b32_e32 v69, v70
	v_ashrrev_i32_e32 v69, 31, v69
	v_xor_b32_e32 v70, vcc_hi, v69
	v_xor_b32_e32 v69, vcc_lo, v69
	v_and_b32_e32 v69, v181, v69
	v_mul_u32_u24_e32 v179, 20, v178
	v_and_b32_e32 v70, v180, v70
	v_mbcnt_lo_u32_b32 v178, v69, 0
	v_mbcnt_hi_u32_b32 v178, v70, v178
	v_cmp_ne_u64_e32 vcc, 0, v[69:70]
	v_cmp_eq_u32_e64 s[40:41], 0, v178
	s_and_b64 s[6:7], vcc, s[40:41]
	v_add_u32_e32 v180, v171, v179
	; wave barrier
	s_and_saveexec_b64 s[40:41], s[6:7]
	s_cbranch_execz .LBB738_734
; %bb.733:                              ;   in Loop: Header=BB738_694 Depth=2
	v_bcnt_u32_b32 v69, v69, 0
	v_bcnt_u32_b32 v69, v70, v69
	s_waitcnt lgkmcnt(0)
	v_add_u32_e32 v69, v176, v69
	ds_write_b32 v180, v69 offset:528
.LBB738_734:                            ;   in Loop: Header=BB738_694 Depth=2
	s_or_b64 exec, exec, s[40:41]
	v_xor_b32_e32 v46, 0x7fffffff, v46
	v_not_b32_e32 v45, v45
	v_lshrrev_b64 v[69:70], s88, v[45:46]
	v_and_b32_e32 v181, s98, v69
	v_mad_u32_u24 v69, v181, 20, v171
	; wave barrier
	ds_read_b32 v179, v69 offset:528
	v_and_b32_e32 v69, 1, v181
	v_add_co_u32_e32 v70, vcc, -1, v69
	v_addc_co_u32_e64 v183, s[6:7], 0, -1, vcc
	v_cmp_ne_u32_e32 vcc, 0, v69
	v_xor_b32_e32 v69, vcc_hi, v183
	v_xor_b32_e32 v70, vcc_lo, v70
	v_and_b32_e32 v183, exec_hi, v69
	v_and_b32_e32 v184, exec_lo, v70
	v_lshlrev_b32_e32 v70, 30, v181
	v_mov_b32_e32 v69, v3
	v_cmp_gt_i64_e32 vcc, 0, v[69:70]
	v_not_b32_e32 v69, v70
	v_ashrrev_i32_e32 v69, 31, v69
	v_xor_b32_e32 v70, vcc_hi, v69
	v_xor_b32_e32 v69, vcc_lo, v69
	v_and_b32_e32 v183, v183, v70
	v_and_b32_e32 v184, v184, v69
	v_lshlrev_b32_e32 v70, 29, v181
	v_mov_b32_e32 v69, v3
	v_cmp_gt_i64_e32 vcc, 0, v[69:70]
	v_not_b32_e32 v69, v70
	v_ashrrev_i32_e32 v69, 31, v69
	v_xor_b32_e32 v70, vcc_hi, v69
	v_xor_b32_e32 v69, vcc_lo, v69
	v_and_b32_e32 v183, v183, v70
	v_and_b32_e32 v184, v184, v69
	;; [unrolled: 9-line block ×5, first 2 shown]
	v_lshlrev_b32_e32 v70, 25, v181
	v_mov_b32_e32 v69, v3
	v_cmp_gt_i64_e32 vcc, 0, v[69:70]
	v_not_b32_e32 v69, v70
	v_ashrrev_i32_e32 v69, 31, v69
	v_xor_b32_e32 v70, vcc_hi, v69
	v_xor_b32_e32 v69, vcc_lo, v69
	v_and_b32_e32 v69, v184, v69
	v_mul_u32_u24_e32 v182, 20, v181
	v_and_b32_e32 v70, v183, v70
	v_mbcnt_lo_u32_b32 v181, v69, 0
	v_mbcnt_hi_u32_b32 v181, v70, v181
	v_cmp_ne_u64_e32 vcc, 0, v[69:70]
	v_cmp_eq_u32_e64 s[40:41], 0, v181
	s_and_b64 s[6:7], vcc, s[40:41]
	v_add_u32_e32 v183, v171, v182
	; wave barrier
	s_and_saveexec_b64 s[40:41], s[6:7]
	s_cbranch_execz .LBB738_736
; %bb.735:                              ;   in Loop: Header=BB738_694 Depth=2
	v_bcnt_u32_b32 v69, v69, 0
	v_bcnt_u32_b32 v69, v70, v69
	s_waitcnt lgkmcnt(0)
	v_add_u32_e32 v69, v179, v69
	ds_write_b32 v183, v69 offset:528
.LBB738_736:                            ;   in Loop: Header=BB738_694 Depth=2
	s_or_b64 exec, exec, s[40:41]
	v_xor_b32_e32 v50, 0x7fffffff, v50
	v_not_b32_e32 v49, v49
	v_lshrrev_b64 v[69:70], s88, v[49:50]
	v_and_b32_e32 v184, s98, v69
	v_mad_u32_u24 v69, v184, 20, v171
	; wave barrier
	ds_read_b32 v182, v69 offset:528
	v_and_b32_e32 v69, 1, v184
	v_add_co_u32_e32 v70, vcc, -1, v69
	v_addc_co_u32_e64 v186, s[6:7], 0, -1, vcc
	v_cmp_ne_u32_e32 vcc, 0, v69
	v_xor_b32_e32 v69, vcc_hi, v186
	v_xor_b32_e32 v70, vcc_lo, v70
	v_and_b32_e32 v186, exec_hi, v69
	v_and_b32_e32 v187, exec_lo, v70
	v_lshlrev_b32_e32 v70, 30, v184
	v_mov_b32_e32 v69, v3
	v_cmp_gt_i64_e32 vcc, 0, v[69:70]
	v_not_b32_e32 v69, v70
	v_ashrrev_i32_e32 v69, 31, v69
	v_xor_b32_e32 v70, vcc_hi, v69
	v_xor_b32_e32 v69, vcc_lo, v69
	v_and_b32_e32 v186, v186, v70
	v_and_b32_e32 v187, v187, v69
	v_lshlrev_b32_e32 v70, 29, v184
	v_mov_b32_e32 v69, v3
	v_cmp_gt_i64_e32 vcc, 0, v[69:70]
	v_not_b32_e32 v69, v70
	v_ashrrev_i32_e32 v69, 31, v69
	v_xor_b32_e32 v70, vcc_hi, v69
	v_xor_b32_e32 v69, vcc_lo, v69
	v_and_b32_e32 v186, v186, v70
	v_and_b32_e32 v187, v187, v69
	v_lshlrev_b32_e32 v70, 28, v184
	v_mov_b32_e32 v69, v3
	v_cmp_gt_i64_e32 vcc, 0, v[69:70]
	v_not_b32_e32 v69, v70
	v_ashrrev_i32_e32 v69, 31, v69
	v_xor_b32_e32 v70, vcc_hi, v69
	v_xor_b32_e32 v69, vcc_lo, v69
	v_and_b32_e32 v186, v186, v70
	v_and_b32_e32 v187, v187, v69
	v_lshlrev_b32_e32 v70, 27, v184
	v_mov_b32_e32 v69, v3
	v_cmp_gt_i64_e32 vcc, 0, v[69:70]
	v_not_b32_e32 v69, v70
	v_ashrrev_i32_e32 v69, 31, v69
	v_xor_b32_e32 v70, vcc_hi, v69
	v_xor_b32_e32 v69, vcc_lo, v69
	v_and_b32_e32 v186, v186, v70
	v_and_b32_e32 v187, v187, v69
	v_lshlrev_b32_e32 v70, 26, v184
	v_mov_b32_e32 v69, v3
	v_cmp_gt_i64_e32 vcc, 0, v[69:70]
	v_not_b32_e32 v69, v70
	v_ashrrev_i32_e32 v69, 31, v69
	v_xor_b32_e32 v70, vcc_hi, v69
	v_xor_b32_e32 v69, vcc_lo, v69
	v_and_b32_e32 v186, v186, v70
	v_and_b32_e32 v187, v187, v69
	v_lshlrev_b32_e32 v70, 25, v184
	v_mov_b32_e32 v69, v3
	v_cmp_gt_i64_e32 vcc, 0, v[69:70]
	v_not_b32_e32 v69, v70
	v_ashrrev_i32_e32 v69, 31, v69
	v_xor_b32_e32 v70, vcc_hi, v69
	v_xor_b32_e32 v69, vcc_lo, v69
	v_and_b32_e32 v69, v187, v69
	v_mul_u32_u24_e32 v185, 20, v184
	v_and_b32_e32 v70, v186, v70
	v_mbcnt_lo_u32_b32 v184, v69, 0
	v_mbcnt_hi_u32_b32 v184, v70, v184
	v_cmp_ne_u64_e32 vcc, 0, v[69:70]
	v_cmp_eq_u32_e64 s[40:41], 0, v184
	s_and_b64 s[6:7], vcc, s[40:41]
	v_add_u32_e32 v186, v171, v185
	; wave barrier
	s_and_saveexec_b64 s[40:41], s[6:7]
	s_cbranch_execz .LBB738_738
; %bb.737:                              ;   in Loop: Header=BB738_694 Depth=2
	v_bcnt_u32_b32 v69, v69, 0
	v_bcnt_u32_b32 v69, v70, v69
	s_waitcnt lgkmcnt(0)
	v_add_u32_e32 v69, v182, v69
	ds_write_b32 v186, v69 offset:528
.LBB738_738:                            ;   in Loop: Header=BB738_694 Depth=2
	s_or_b64 exec, exec, s[40:41]
	v_xor_b32_e32 v54, 0x7fffffff, v54
	v_not_b32_e32 v53, v53
	v_lshrrev_b64 v[69:70], s88, v[53:54]
	v_and_b32_e32 v187, s98, v69
	v_mad_u32_u24 v69, v187, 20, v171
	; wave barrier
	ds_read_b32 v185, v69 offset:528
	v_and_b32_e32 v69, 1, v187
	v_add_co_u32_e32 v70, vcc, -1, v69
	v_addc_co_u32_e64 v189, s[6:7], 0, -1, vcc
	v_cmp_ne_u32_e32 vcc, 0, v69
	v_xor_b32_e32 v69, vcc_hi, v189
	v_xor_b32_e32 v70, vcc_lo, v70
	v_and_b32_e32 v189, exec_hi, v69
	v_and_b32_e32 v190, exec_lo, v70
	v_lshlrev_b32_e32 v70, 30, v187
	v_mov_b32_e32 v69, v3
	v_cmp_gt_i64_e32 vcc, 0, v[69:70]
	v_not_b32_e32 v69, v70
	v_ashrrev_i32_e32 v69, 31, v69
	v_xor_b32_e32 v70, vcc_hi, v69
	v_xor_b32_e32 v69, vcc_lo, v69
	v_and_b32_e32 v189, v189, v70
	v_and_b32_e32 v190, v190, v69
	v_lshlrev_b32_e32 v70, 29, v187
	v_mov_b32_e32 v69, v3
	v_cmp_gt_i64_e32 vcc, 0, v[69:70]
	v_not_b32_e32 v69, v70
	v_ashrrev_i32_e32 v69, 31, v69
	v_xor_b32_e32 v70, vcc_hi, v69
	v_xor_b32_e32 v69, vcc_lo, v69
	v_and_b32_e32 v189, v189, v70
	v_and_b32_e32 v190, v190, v69
	;; [unrolled: 9-line block ×5, first 2 shown]
	v_lshlrev_b32_e32 v70, 25, v187
	v_mov_b32_e32 v69, v3
	v_cmp_gt_i64_e32 vcc, 0, v[69:70]
	v_not_b32_e32 v69, v70
	v_ashrrev_i32_e32 v69, 31, v69
	v_xor_b32_e32 v70, vcc_hi, v69
	v_xor_b32_e32 v69, vcc_lo, v69
	v_and_b32_e32 v69, v190, v69
	v_mul_u32_u24_e32 v188, 20, v187
	v_and_b32_e32 v70, v189, v70
	v_mbcnt_lo_u32_b32 v187, v69, 0
	v_mbcnt_hi_u32_b32 v187, v70, v187
	v_cmp_ne_u64_e32 vcc, 0, v[69:70]
	v_cmp_eq_u32_e64 s[40:41], 0, v187
	s_and_b64 s[6:7], vcc, s[40:41]
	v_add_u32_e32 v189, v171, v188
	; wave barrier
	s_and_saveexec_b64 s[40:41], s[6:7]
	s_cbranch_execz .LBB738_740
; %bb.739:                              ;   in Loop: Header=BB738_694 Depth=2
	v_bcnt_u32_b32 v69, v69, 0
	v_bcnt_u32_b32 v69, v70, v69
	s_waitcnt lgkmcnt(0)
	v_add_u32_e32 v69, v185, v69
	ds_write_b32 v189, v69 offset:528
.LBB738_740:                            ;   in Loop: Header=BB738_694 Depth=2
	s_or_b64 exec, exec, s[40:41]
	v_xor_b32_e32 v58, 0x7fffffff, v58
	v_not_b32_e32 v57, v57
	v_lshrrev_b64 v[69:70], s88, v[57:58]
	v_and_b32_e32 v190, s98, v69
	v_mad_u32_u24 v69, v190, 20, v171
	; wave barrier
	ds_read_b32 v188, v69 offset:528
	v_and_b32_e32 v69, 1, v190
	v_add_co_u32_e32 v70, vcc, -1, v69
	v_addc_co_u32_e64 v192, s[6:7], 0, -1, vcc
	v_cmp_ne_u32_e32 vcc, 0, v69
	v_xor_b32_e32 v69, vcc_hi, v192
	v_xor_b32_e32 v70, vcc_lo, v70
	v_and_b32_e32 v192, exec_hi, v69
	v_and_b32_e32 v193, exec_lo, v70
	v_lshlrev_b32_e32 v70, 30, v190
	v_mov_b32_e32 v69, v3
	v_cmp_gt_i64_e32 vcc, 0, v[69:70]
	v_not_b32_e32 v69, v70
	v_ashrrev_i32_e32 v69, 31, v69
	v_xor_b32_e32 v70, vcc_hi, v69
	v_xor_b32_e32 v69, vcc_lo, v69
	v_and_b32_e32 v192, v192, v70
	v_and_b32_e32 v193, v193, v69
	v_lshlrev_b32_e32 v70, 29, v190
	v_mov_b32_e32 v69, v3
	v_cmp_gt_i64_e32 vcc, 0, v[69:70]
	v_not_b32_e32 v69, v70
	v_ashrrev_i32_e32 v69, 31, v69
	v_xor_b32_e32 v70, vcc_hi, v69
	v_xor_b32_e32 v69, vcc_lo, v69
	v_and_b32_e32 v192, v192, v70
	v_and_b32_e32 v193, v193, v69
	;; [unrolled: 9-line block ×5, first 2 shown]
	v_lshlrev_b32_e32 v70, 25, v190
	v_mov_b32_e32 v69, v3
	v_cmp_gt_i64_e32 vcc, 0, v[69:70]
	v_not_b32_e32 v69, v70
	v_ashrrev_i32_e32 v69, 31, v69
	v_xor_b32_e32 v70, vcc_hi, v69
	v_xor_b32_e32 v69, vcc_lo, v69
	v_and_b32_e32 v69, v193, v69
	v_mul_u32_u24_e32 v191, 20, v190
	v_and_b32_e32 v70, v192, v70
	v_mbcnt_lo_u32_b32 v190, v69, 0
	v_mbcnt_hi_u32_b32 v190, v70, v190
	v_cmp_ne_u64_e32 vcc, 0, v[69:70]
	v_cmp_eq_u32_e64 s[40:41], 0, v190
	s_and_b64 s[6:7], vcc, s[40:41]
	v_add_u32_e32 v192, v171, v191
	; wave barrier
	s_and_saveexec_b64 s[40:41], s[6:7]
	s_cbranch_execz .LBB738_742
; %bb.741:                              ;   in Loop: Header=BB738_694 Depth=2
	v_bcnt_u32_b32 v69, v69, 0
	v_bcnt_u32_b32 v69, v70, v69
	s_waitcnt lgkmcnt(0)
	v_add_u32_e32 v69, v188, v69
	ds_write_b32 v192, v69 offset:528
.LBB738_742:                            ;   in Loop: Header=BB738_694 Depth=2
	s_or_b64 exec, exec, s[40:41]
	v_xor_b32_e32 v62, 0x7fffffff, v62
	v_not_b32_e32 v61, v61
	v_lshrrev_b64 v[69:70], s88, v[61:62]
	v_and_b32_e32 v193, s98, v69
	v_mad_u32_u24 v69, v193, 20, v171
	; wave barrier
	ds_read_b32 v191, v69 offset:528
	v_and_b32_e32 v69, 1, v193
	v_add_co_u32_e32 v70, vcc, -1, v69
	v_addc_co_u32_e64 v195, s[6:7], 0, -1, vcc
	v_cmp_ne_u32_e32 vcc, 0, v69
	v_xor_b32_e32 v69, vcc_hi, v195
	v_xor_b32_e32 v70, vcc_lo, v70
	v_and_b32_e32 v195, exec_hi, v69
	v_and_b32_e32 v196, exec_lo, v70
	v_lshlrev_b32_e32 v70, 30, v193
	v_mov_b32_e32 v69, v3
	v_cmp_gt_i64_e32 vcc, 0, v[69:70]
	v_not_b32_e32 v69, v70
	v_ashrrev_i32_e32 v69, 31, v69
	v_xor_b32_e32 v70, vcc_hi, v69
	v_xor_b32_e32 v69, vcc_lo, v69
	v_and_b32_e32 v195, v195, v70
	v_and_b32_e32 v196, v196, v69
	v_lshlrev_b32_e32 v70, 29, v193
	v_mov_b32_e32 v69, v3
	v_cmp_gt_i64_e32 vcc, 0, v[69:70]
	v_not_b32_e32 v69, v70
	v_ashrrev_i32_e32 v69, 31, v69
	v_xor_b32_e32 v70, vcc_hi, v69
	v_xor_b32_e32 v69, vcc_lo, v69
	v_and_b32_e32 v195, v195, v70
	v_and_b32_e32 v196, v196, v69
	;; [unrolled: 9-line block ×5, first 2 shown]
	v_lshlrev_b32_e32 v70, 25, v193
	v_mov_b32_e32 v69, v3
	v_cmp_gt_i64_e32 vcc, 0, v[69:70]
	v_not_b32_e32 v69, v70
	v_ashrrev_i32_e32 v69, 31, v69
	v_xor_b32_e32 v70, vcc_hi, v69
	v_xor_b32_e32 v69, vcc_lo, v69
	v_and_b32_e32 v69, v196, v69
	v_mul_u32_u24_e32 v194, 20, v193
	v_and_b32_e32 v70, v195, v70
	v_mbcnt_lo_u32_b32 v193, v69, 0
	v_mbcnt_hi_u32_b32 v193, v70, v193
	v_cmp_ne_u64_e32 vcc, 0, v[69:70]
	v_cmp_eq_u32_e64 s[40:41], 0, v193
	s_and_b64 s[6:7], vcc, s[40:41]
	v_add_u32_e32 v195, v171, v194
	; wave barrier
	s_and_saveexec_b64 s[40:41], s[6:7]
	s_cbranch_execz .LBB738_744
; %bb.743:                              ;   in Loop: Header=BB738_694 Depth=2
	v_bcnt_u32_b32 v69, v69, 0
	v_bcnt_u32_b32 v69, v70, v69
	s_waitcnt lgkmcnt(0)
	v_add_u32_e32 v69, v191, v69
	ds_write_b32 v195, v69 offset:528
.LBB738_744:                            ;   in Loop: Header=BB738_694 Depth=2
	s_or_b64 exec, exec, s[40:41]
	v_xor_b32_e32 v68, 0x7fffffff, v68
	v_not_b32_e32 v67, v67
	v_lshrrev_b64 v[69:70], s88, v[67:68]
	v_and_b32_e32 v196, s98, v69
	v_mad_u32_u24 v69, v196, 20, v171
	; wave barrier
	ds_read_b32 v194, v69 offset:528
	v_and_b32_e32 v69, 1, v196
	v_add_co_u32_e32 v70, vcc, -1, v69
	v_addc_co_u32_e64 v198, s[6:7], 0, -1, vcc
	v_cmp_ne_u32_e32 vcc, 0, v69
	v_xor_b32_e32 v69, vcc_hi, v198
	v_xor_b32_e32 v70, vcc_lo, v70
	v_and_b32_e32 v198, exec_hi, v69
	v_and_b32_e32 v199, exec_lo, v70
	v_lshlrev_b32_e32 v70, 30, v196
	v_mov_b32_e32 v69, v3
	v_cmp_gt_i64_e32 vcc, 0, v[69:70]
	v_not_b32_e32 v69, v70
	v_ashrrev_i32_e32 v69, 31, v69
	v_xor_b32_e32 v70, vcc_hi, v69
	v_xor_b32_e32 v69, vcc_lo, v69
	v_and_b32_e32 v198, v198, v70
	v_and_b32_e32 v199, v199, v69
	v_lshlrev_b32_e32 v70, 29, v196
	v_mov_b32_e32 v69, v3
	v_cmp_gt_i64_e32 vcc, 0, v[69:70]
	v_not_b32_e32 v69, v70
	v_ashrrev_i32_e32 v69, 31, v69
	v_xor_b32_e32 v70, vcc_hi, v69
	v_xor_b32_e32 v69, vcc_lo, v69
	v_and_b32_e32 v198, v198, v70
	v_and_b32_e32 v199, v199, v69
	;; [unrolled: 9-line block ×5, first 2 shown]
	v_lshlrev_b32_e32 v70, 25, v196
	v_mov_b32_e32 v69, v3
	v_cmp_gt_i64_e32 vcc, 0, v[69:70]
	v_not_b32_e32 v69, v70
	v_ashrrev_i32_e32 v69, 31, v69
	v_xor_b32_e32 v70, vcc_hi, v69
	v_xor_b32_e32 v69, vcc_lo, v69
	v_and_b32_e32 v69, v199, v69
	v_mul_u32_u24_e32 v197, 20, v196
	v_and_b32_e32 v70, v198, v70
	v_mbcnt_lo_u32_b32 v196, v69, 0
	v_mbcnt_hi_u32_b32 v196, v70, v196
	v_cmp_ne_u64_e32 vcc, 0, v[69:70]
	v_cmp_eq_u32_e64 s[40:41], 0, v196
	s_and_b64 s[6:7], vcc, s[40:41]
	v_add_u32_e32 v198, v171, v197
	; wave barrier
	s_and_saveexec_b64 s[40:41], s[6:7]
	s_cbranch_execz .LBB738_746
; %bb.745:                              ;   in Loop: Header=BB738_694 Depth=2
	v_bcnt_u32_b32 v69, v69, 0
	v_bcnt_u32_b32 v69, v70, v69
	s_waitcnt lgkmcnt(0)
	v_add_u32_e32 v69, v194, v69
	ds_write_b32 v198, v69 offset:528
.LBB738_746:                            ;   in Loop: Header=BB738_694 Depth=2
	s_or_b64 exec, exec, s[40:41]
	v_xor_b32_e32 v66, 0x7fffffff, v66
	v_not_b32_e32 v65, v65
	v_lshrrev_b64 v[69:70], s88, v[65:66]
	v_and_b32_e32 v199, s98, v69
	v_mad_u32_u24 v69, v199, 20, v171
	; wave barrier
	ds_read_b32 v197, v69 offset:528
	v_and_b32_e32 v69, 1, v199
	v_add_co_u32_e32 v70, vcc, -1, v69
	v_addc_co_u32_e64 v201, s[6:7], 0, -1, vcc
	v_cmp_ne_u32_e32 vcc, 0, v69
	v_xor_b32_e32 v69, vcc_hi, v201
	v_xor_b32_e32 v70, vcc_lo, v70
	v_and_b32_e32 v201, exec_hi, v69
	v_and_b32_e32 v202, exec_lo, v70
	v_lshlrev_b32_e32 v70, 30, v199
	v_mov_b32_e32 v69, v3
	v_cmp_gt_i64_e32 vcc, 0, v[69:70]
	v_not_b32_e32 v69, v70
	v_ashrrev_i32_e32 v69, 31, v69
	v_xor_b32_e32 v70, vcc_hi, v69
	v_xor_b32_e32 v69, vcc_lo, v69
	v_and_b32_e32 v201, v201, v70
	v_and_b32_e32 v202, v202, v69
	v_lshlrev_b32_e32 v70, 29, v199
	v_mov_b32_e32 v69, v3
	v_cmp_gt_i64_e32 vcc, 0, v[69:70]
	v_not_b32_e32 v69, v70
	v_ashrrev_i32_e32 v69, 31, v69
	v_xor_b32_e32 v70, vcc_hi, v69
	v_xor_b32_e32 v69, vcc_lo, v69
	v_and_b32_e32 v201, v201, v70
	v_and_b32_e32 v202, v202, v69
	;; [unrolled: 9-line block ×5, first 2 shown]
	v_lshlrev_b32_e32 v70, 25, v199
	v_mov_b32_e32 v69, v3
	v_cmp_gt_i64_e32 vcc, 0, v[69:70]
	v_not_b32_e32 v69, v70
	v_ashrrev_i32_e32 v69, 31, v69
	v_xor_b32_e32 v70, vcc_hi, v69
	v_xor_b32_e32 v69, vcc_lo, v69
	v_and_b32_e32 v69, v202, v69
	v_mul_u32_u24_e32 v200, 20, v199
	v_and_b32_e32 v70, v201, v70
	v_mbcnt_lo_u32_b32 v199, v69, 0
	v_mbcnt_hi_u32_b32 v199, v70, v199
	v_cmp_ne_u64_e32 vcc, 0, v[69:70]
	v_cmp_eq_u32_e64 s[40:41], 0, v199
	s_and_b64 s[6:7], vcc, s[40:41]
	v_add_u32_e32 v201, v171, v200
	; wave barrier
	s_and_saveexec_b64 s[40:41], s[6:7]
	s_cbranch_execz .LBB738_748
; %bb.747:                              ;   in Loop: Header=BB738_694 Depth=2
	v_bcnt_u32_b32 v69, v69, 0
	v_bcnt_u32_b32 v69, v70, v69
	s_waitcnt lgkmcnt(0)
	v_add_u32_e32 v69, v197, v69
	ds_write_b32 v201, v69 offset:528
.LBB738_748:                            ;   in Loop: Header=BB738_694 Depth=2
	s_or_b64 exec, exec, s[40:41]
	v_xor_b32_e32 v64, 0x7fffffff, v64
	v_not_b32_e32 v63, v63
	v_lshrrev_b64 v[69:70], s88, v[63:64]
	v_and_b32_e32 v202, s98, v69
	v_mad_u32_u24 v69, v202, 20, v171
	; wave barrier
	ds_read_b32 v200, v69 offset:528
	v_and_b32_e32 v69, 1, v202
	v_add_co_u32_e32 v70, vcc, -1, v69
	v_addc_co_u32_e64 v204, s[6:7], 0, -1, vcc
	v_cmp_ne_u32_e32 vcc, 0, v69
	v_xor_b32_e32 v69, vcc_hi, v204
	v_xor_b32_e32 v70, vcc_lo, v70
	v_and_b32_e32 v204, exec_hi, v69
	v_and_b32_e32 v205, exec_lo, v70
	v_lshlrev_b32_e32 v70, 30, v202
	v_mov_b32_e32 v69, v3
	v_cmp_gt_i64_e32 vcc, 0, v[69:70]
	v_not_b32_e32 v69, v70
	v_ashrrev_i32_e32 v69, 31, v69
	v_xor_b32_e32 v70, vcc_hi, v69
	v_xor_b32_e32 v69, vcc_lo, v69
	v_and_b32_e32 v204, v204, v70
	v_and_b32_e32 v205, v205, v69
	v_lshlrev_b32_e32 v70, 29, v202
	v_mov_b32_e32 v69, v3
	v_cmp_gt_i64_e32 vcc, 0, v[69:70]
	v_not_b32_e32 v69, v70
	v_ashrrev_i32_e32 v69, 31, v69
	v_xor_b32_e32 v70, vcc_hi, v69
	v_xor_b32_e32 v69, vcc_lo, v69
	v_and_b32_e32 v204, v204, v70
	v_and_b32_e32 v205, v205, v69
	;; [unrolled: 9-line block ×5, first 2 shown]
	v_lshlrev_b32_e32 v70, 25, v202
	v_mov_b32_e32 v69, v3
	v_cmp_gt_i64_e32 vcc, 0, v[69:70]
	v_not_b32_e32 v69, v70
	v_ashrrev_i32_e32 v69, 31, v69
	v_xor_b32_e32 v70, vcc_hi, v69
	v_xor_b32_e32 v69, vcc_lo, v69
	v_and_b32_e32 v69, v205, v69
	v_mul_u32_u24_e32 v203, 20, v202
	v_and_b32_e32 v70, v204, v70
	v_mbcnt_lo_u32_b32 v202, v69, 0
	v_mbcnt_hi_u32_b32 v202, v70, v202
	v_cmp_ne_u64_e32 vcc, 0, v[69:70]
	v_cmp_eq_u32_e64 s[40:41], 0, v202
	s_and_b64 s[6:7], vcc, s[40:41]
	v_add_u32_e32 v205, v171, v203
	; wave barrier
	s_and_saveexec_b64 s[40:41], s[6:7]
	s_cbranch_execz .LBB738_750
; %bb.749:                              ;   in Loop: Header=BB738_694 Depth=2
	v_bcnt_u32_b32 v69, v69, 0
	v_bcnt_u32_b32 v69, v70, v69
	s_waitcnt lgkmcnt(0)
	v_add_u32_e32 v69, v200, v69
	ds_write_b32 v205, v69 offset:528
.LBB738_750:                            ;   in Loop: Header=BB738_694 Depth=2
	s_or_b64 exec, exec, s[40:41]
	v_xor_b32_e32 v60, 0x7fffffff, v60
	v_not_b32_e32 v59, v59
	v_lshrrev_b64 v[69:70], s88, v[59:60]
	v_and_b32_e32 v204, s98, v69
	v_mad_u32_u24 v69, v204, 20, v171
	; wave barrier
	ds_read_b32 v203, v69 offset:528
	v_and_b32_e32 v69, 1, v204
	v_add_co_u32_e32 v70, vcc, -1, v69
	v_addc_co_u32_e64 v207, s[6:7], 0, -1, vcc
	v_cmp_ne_u32_e32 vcc, 0, v69
	v_xor_b32_e32 v69, vcc_hi, v207
	v_xor_b32_e32 v70, vcc_lo, v70
	v_and_b32_e32 v207, exec_hi, v69
	v_and_b32_e32 v208, exec_lo, v70
	v_lshlrev_b32_e32 v70, 30, v204
	v_mov_b32_e32 v69, v3
	v_cmp_gt_i64_e32 vcc, 0, v[69:70]
	v_not_b32_e32 v69, v70
	v_ashrrev_i32_e32 v69, 31, v69
	v_xor_b32_e32 v70, vcc_hi, v69
	v_xor_b32_e32 v69, vcc_lo, v69
	v_and_b32_e32 v207, v207, v70
	v_and_b32_e32 v208, v208, v69
	v_lshlrev_b32_e32 v70, 29, v204
	v_mov_b32_e32 v69, v3
	v_cmp_gt_i64_e32 vcc, 0, v[69:70]
	v_not_b32_e32 v69, v70
	v_ashrrev_i32_e32 v69, 31, v69
	v_xor_b32_e32 v70, vcc_hi, v69
	v_xor_b32_e32 v69, vcc_lo, v69
	v_and_b32_e32 v207, v207, v70
	v_and_b32_e32 v208, v208, v69
	;; [unrolled: 9-line block ×5, first 2 shown]
	v_lshlrev_b32_e32 v70, 25, v204
	v_mov_b32_e32 v69, v3
	v_cmp_gt_i64_e32 vcc, 0, v[69:70]
	v_not_b32_e32 v69, v70
	v_ashrrev_i32_e32 v69, 31, v69
	v_xor_b32_e32 v70, vcc_hi, v69
	v_xor_b32_e32 v69, vcc_lo, v69
	v_and_b32_e32 v69, v208, v69
	v_mul_u32_u24_e32 v206, 20, v204
	v_and_b32_e32 v70, v207, v70
	v_mbcnt_lo_u32_b32 v204, v69, 0
	v_mbcnt_hi_u32_b32 v204, v70, v204
	v_cmp_ne_u64_e32 vcc, 0, v[69:70]
	v_cmp_eq_u32_e64 s[40:41], 0, v204
	s_and_b64 s[6:7], vcc, s[40:41]
	v_add_u32_e32 v208, v171, v206
	; wave barrier
	s_and_saveexec_b64 s[40:41], s[6:7]
	s_cbranch_execz .LBB738_752
; %bb.751:                              ;   in Loop: Header=BB738_694 Depth=2
	v_bcnt_u32_b32 v69, v69, 0
	v_bcnt_u32_b32 v69, v70, v69
	s_waitcnt lgkmcnt(0)
	v_add_u32_e32 v69, v203, v69
	ds_write_b32 v208, v69 offset:528
.LBB738_752:                            ;   in Loop: Header=BB738_694 Depth=2
	s_or_b64 exec, exec, s[40:41]
	v_xor_b32_e32 v56, 0x7fffffff, v56
	v_not_b32_e32 v55, v55
	v_lshrrev_b64 v[69:70], s88, v[55:56]
	v_and_b32_e32 v207, s98, v69
	v_mad_u32_u24 v69, v207, 20, v171
	; wave barrier
	ds_read_b32 v206, v69 offset:528
	v_and_b32_e32 v69, 1, v207
	v_add_co_u32_e32 v70, vcc, -1, v69
	v_addc_co_u32_e64 v210, s[6:7], 0, -1, vcc
	v_cmp_ne_u32_e32 vcc, 0, v69
	v_xor_b32_e32 v69, vcc_hi, v210
	v_xor_b32_e32 v70, vcc_lo, v70
	v_and_b32_e32 v210, exec_hi, v69
	v_and_b32_e32 v211, exec_lo, v70
	v_lshlrev_b32_e32 v70, 30, v207
	v_mov_b32_e32 v69, v3
	v_cmp_gt_i64_e32 vcc, 0, v[69:70]
	v_not_b32_e32 v69, v70
	v_ashrrev_i32_e32 v69, 31, v69
	v_xor_b32_e32 v70, vcc_hi, v69
	v_xor_b32_e32 v69, vcc_lo, v69
	v_and_b32_e32 v210, v210, v70
	v_and_b32_e32 v211, v211, v69
	v_lshlrev_b32_e32 v70, 29, v207
	v_mov_b32_e32 v69, v3
	v_cmp_gt_i64_e32 vcc, 0, v[69:70]
	v_not_b32_e32 v69, v70
	v_ashrrev_i32_e32 v69, 31, v69
	v_xor_b32_e32 v70, vcc_hi, v69
	v_xor_b32_e32 v69, vcc_lo, v69
	v_and_b32_e32 v210, v210, v70
	v_and_b32_e32 v211, v211, v69
	v_lshlrev_b32_e32 v70, 28, v207
	v_mov_b32_e32 v69, v3
	v_cmp_gt_i64_e32 vcc, 0, v[69:70]
	v_not_b32_e32 v69, v70
	v_ashrrev_i32_e32 v69, 31, v69
	v_xor_b32_e32 v70, vcc_hi, v69
	v_xor_b32_e32 v69, vcc_lo, v69
	v_and_b32_e32 v210, v210, v70
	v_and_b32_e32 v211, v211, v69
	v_lshlrev_b32_e32 v70, 27, v207
	v_mov_b32_e32 v69, v3
	v_cmp_gt_i64_e32 vcc, 0, v[69:70]
	v_not_b32_e32 v69, v70
	v_ashrrev_i32_e32 v69, 31, v69
	v_xor_b32_e32 v70, vcc_hi, v69
	v_xor_b32_e32 v69, vcc_lo, v69
	v_and_b32_e32 v210, v210, v70
	v_and_b32_e32 v211, v211, v69
	v_lshlrev_b32_e32 v70, 26, v207
	v_mov_b32_e32 v69, v3
	v_cmp_gt_i64_e32 vcc, 0, v[69:70]
	v_not_b32_e32 v69, v70
	v_ashrrev_i32_e32 v69, 31, v69
	v_xor_b32_e32 v70, vcc_hi, v69
	v_xor_b32_e32 v69, vcc_lo, v69
	v_and_b32_e32 v210, v210, v70
	v_and_b32_e32 v211, v211, v69
	v_lshlrev_b32_e32 v70, 25, v207
	v_mov_b32_e32 v69, v3
	v_cmp_gt_i64_e32 vcc, 0, v[69:70]
	v_not_b32_e32 v69, v70
	v_ashrrev_i32_e32 v69, 31, v69
	v_xor_b32_e32 v70, vcc_hi, v69
	v_xor_b32_e32 v69, vcc_lo, v69
	v_and_b32_e32 v69, v211, v69
	v_mul_u32_u24_e32 v209, 20, v207
	v_and_b32_e32 v70, v210, v70
	v_mbcnt_lo_u32_b32 v207, v69, 0
	v_mbcnt_hi_u32_b32 v207, v70, v207
	v_cmp_ne_u64_e32 vcc, 0, v[69:70]
	v_cmp_eq_u32_e64 s[40:41], 0, v207
	s_and_b64 s[6:7], vcc, s[40:41]
	v_add_u32_e32 v211, v171, v209
	; wave barrier
	s_and_saveexec_b64 s[40:41], s[6:7]
	s_cbranch_execz .LBB738_754
; %bb.753:                              ;   in Loop: Header=BB738_694 Depth=2
	v_bcnt_u32_b32 v69, v69, 0
	v_bcnt_u32_b32 v69, v70, v69
	s_waitcnt lgkmcnt(0)
	v_add_u32_e32 v69, v206, v69
	ds_write_b32 v211, v69 offset:528
.LBB738_754:                            ;   in Loop: Header=BB738_694 Depth=2
	s_or_b64 exec, exec, s[40:41]
	v_xor_b32_e32 v52, 0x7fffffff, v52
	v_not_b32_e32 v51, v51
	v_lshrrev_b64 v[69:70], s88, v[51:52]
	v_and_b32_e32 v210, s98, v69
	v_mad_u32_u24 v69, v210, 20, v171
	; wave barrier
	ds_read_b32 v209, v69 offset:528
	v_and_b32_e32 v69, 1, v210
	v_add_co_u32_e32 v70, vcc, -1, v69
	v_addc_co_u32_e64 v213, s[6:7], 0, -1, vcc
	v_cmp_ne_u32_e32 vcc, 0, v69
	v_xor_b32_e32 v69, vcc_hi, v213
	v_xor_b32_e32 v70, vcc_lo, v70
	v_and_b32_e32 v213, exec_hi, v69
	v_and_b32_e32 v214, exec_lo, v70
	v_lshlrev_b32_e32 v70, 30, v210
	v_mov_b32_e32 v69, v3
	v_cmp_gt_i64_e32 vcc, 0, v[69:70]
	v_not_b32_e32 v69, v70
	v_ashrrev_i32_e32 v69, 31, v69
	v_xor_b32_e32 v70, vcc_hi, v69
	v_xor_b32_e32 v69, vcc_lo, v69
	v_and_b32_e32 v213, v213, v70
	v_and_b32_e32 v214, v214, v69
	v_lshlrev_b32_e32 v70, 29, v210
	v_mov_b32_e32 v69, v3
	v_cmp_gt_i64_e32 vcc, 0, v[69:70]
	v_not_b32_e32 v69, v70
	v_ashrrev_i32_e32 v69, 31, v69
	v_xor_b32_e32 v70, vcc_hi, v69
	v_xor_b32_e32 v69, vcc_lo, v69
	v_and_b32_e32 v213, v213, v70
	v_and_b32_e32 v214, v214, v69
	;; [unrolled: 9-line block ×5, first 2 shown]
	v_lshlrev_b32_e32 v70, 25, v210
	v_mov_b32_e32 v69, v3
	v_cmp_gt_i64_e32 vcc, 0, v[69:70]
	v_not_b32_e32 v69, v70
	v_ashrrev_i32_e32 v69, 31, v69
	v_xor_b32_e32 v70, vcc_hi, v69
	v_xor_b32_e32 v69, vcc_lo, v69
	v_and_b32_e32 v69, v214, v69
	v_mul_u32_u24_e32 v212, 20, v210
	v_and_b32_e32 v70, v213, v70
	v_mbcnt_lo_u32_b32 v210, v69, 0
	v_mbcnt_hi_u32_b32 v210, v70, v210
	v_cmp_ne_u64_e32 vcc, 0, v[69:70]
	v_cmp_eq_u32_e64 s[40:41], 0, v210
	s_and_b64 s[6:7], vcc, s[40:41]
	v_add_u32_e32 v214, v171, v212
	; wave barrier
	s_and_saveexec_b64 s[40:41], s[6:7]
	s_cbranch_execz .LBB738_756
; %bb.755:                              ;   in Loop: Header=BB738_694 Depth=2
	v_bcnt_u32_b32 v69, v69, 0
	v_bcnt_u32_b32 v69, v70, v69
	s_waitcnt lgkmcnt(0)
	v_add_u32_e32 v69, v209, v69
	ds_write_b32 v214, v69 offset:528
.LBB738_756:                            ;   in Loop: Header=BB738_694 Depth=2
	s_or_b64 exec, exec, s[40:41]
	v_xor_b32_e32 v48, 0x7fffffff, v48
	v_not_b32_e32 v47, v47
	v_lshrrev_b64 v[69:70], s88, v[47:48]
	v_and_b32_e32 v213, s98, v69
	v_mad_u32_u24 v69, v213, 20, v171
	; wave barrier
	ds_read_b32 v212, v69 offset:528
	v_and_b32_e32 v69, 1, v213
	v_add_co_u32_e32 v70, vcc, -1, v69
	v_addc_co_u32_e64 v216, s[6:7], 0, -1, vcc
	v_cmp_ne_u32_e32 vcc, 0, v69
	v_xor_b32_e32 v69, vcc_hi, v216
	v_xor_b32_e32 v70, vcc_lo, v70
	v_and_b32_e32 v216, exec_hi, v69
	v_and_b32_e32 v217, exec_lo, v70
	v_lshlrev_b32_e32 v70, 30, v213
	v_mov_b32_e32 v69, v3
	v_cmp_gt_i64_e32 vcc, 0, v[69:70]
	v_not_b32_e32 v69, v70
	v_ashrrev_i32_e32 v69, 31, v69
	v_xor_b32_e32 v70, vcc_hi, v69
	v_xor_b32_e32 v69, vcc_lo, v69
	v_and_b32_e32 v216, v216, v70
	v_and_b32_e32 v217, v217, v69
	v_lshlrev_b32_e32 v70, 29, v213
	v_mov_b32_e32 v69, v3
	v_cmp_gt_i64_e32 vcc, 0, v[69:70]
	v_not_b32_e32 v69, v70
	v_ashrrev_i32_e32 v69, 31, v69
	v_xor_b32_e32 v70, vcc_hi, v69
	v_xor_b32_e32 v69, vcc_lo, v69
	v_and_b32_e32 v216, v216, v70
	v_and_b32_e32 v217, v217, v69
	;; [unrolled: 9-line block ×5, first 2 shown]
	v_lshlrev_b32_e32 v70, 25, v213
	v_mov_b32_e32 v69, v3
	v_cmp_gt_i64_e32 vcc, 0, v[69:70]
	v_not_b32_e32 v69, v70
	v_ashrrev_i32_e32 v69, 31, v69
	v_xor_b32_e32 v70, vcc_hi, v69
	v_xor_b32_e32 v69, vcc_lo, v69
	v_and_b32_e32 v69, v217, v69
	v_mul_u32_u24_e32 v215, 20, v213
	v_and_b32_e32 v70, v216, v70
	v_mbcnt_lo_u32_b32 v213, v69, 0
	v_mbcnt_hi_u32_b32 v213, v70, v213
	v_cmp_ne_u64_e32 vcc, 0, v[69:70]
	v_cmp_eq_u32_e64 s[40:41], 0, v213
	s_and_b64 s[6:7], vcc, s[40:41]
	v_add_u32_e32 v217, v171, v215
	; wave barrier
	s_and_saveexec_b64 s[40:41], s[6:7]
	s_cbranch_execz .LBB738_758
; %bb.757:                              ;   in Loop: Header=BB738_694 Depth=2
	v_bcnt_u32_b32 v69, v69, 0
	v_bcnt_u32_b32 v69, v70, v69
	s_waitcnt lgkmcnt(0)
	v_add_u32_e32 v69, v212, v69
	ds_write_b32 v217, v69 offset:528
.LBB738_758:                            ;   in Loop: Header=BB738_694 Depth=2
	s_or_b64 exec, exec, s[40:41]
	v_xor_b32_e32 v44, 0x7fffffff, v44
	v_not_b32_e32 v43, v43
	v_lshrrev_b64 v[69:70], s88, v[43:44]
	v_and_b32_e32 v216, s98, v69
	v_mad_u32_u24 v69, v216, 20, v171
	; wave barrier
	ds_read_b32 v215, v69 offset:528
	v_and_b32_e32 v69, 1, v216
	v_add_co_u32_e32 v70, vcc, -1, v69
	v_addc_co_u32_e64 v219, s[6:7], 0, -1, vcc
	v_cmp_ne_u32_e32 vcc, 0, v69
	v_xor_b32_e32 v69, vcc_hi, v219
	v_xor_b32_e32 v70, vcc_lo, v70
	v_and_b32_e32 v219, exec_hi, v69
	v_and_b32_e32 v220, exec_lo, v70
	v_lshlrev_b32_e32 v70, 30, v216
	v_mov_b32_e32 v69, v3
	v_cmp_gt_i64_e32 vcc, 0, v[69:70]
	v_not_b32_e32 v69, v70
	v_ashrrev_i32_e32 v69, 31, v69
	v_xor_b32_e32 v70, vcc_hi, v69
	v_xor_b32_e32 v69, vcc_lo, v69
	v_and_b32_e32 v219, v219, v70
	v_and_b32_e32 v220, v220, v69
	v_lshlrev_b32_e32 v70, 29, v216
	v_mov_b32_e32 v69, v3
	v_cmp_gt_i64_e32 vcc, 0, v[69:70]
	v_not_b32_e32 v69, v70
	v_ashrrev_i32_e32 v69, 31, v69
	v_xor_b32_e32 v70, vcc_hi, v69
	v_xor_b32_e32 v69, vcc_lo, v69
	v_and_b32_e32 v219, v219, v70
	v_and_b32_e32 v220, v220, v69
	;; [unrolled: 9-line block ×5, first 2 shown]
	v_lshlrev_b32_e32 v70, 25, v216
	v_mov_b32_e32 v69, v3
	v_cmp_gt_i64_e32 vcc, 0, v[69:70]
	v_not_b32_e32 v69, v70
	v_ashrrev_i32_e32 v69, 31, v69
	v_xor_b32_e32 v70, vcc_hi, v69
	v_xor_b32_e32 v69, vcc_lo, v69
	v_and_b32_e32 v69, v220, v69
	v_mul_u32_u24_e32 v218, 20, v216
	v_and_b32_e32 v70, v219, v70
	v_mbcnt_lo_u32_b32 v216, v69, 0
	v_mbcnt_hi_u32_b32 v216, v70, v216
	v_cmp_ne_u64_e32 vcc, 0, v[69:70]
	v_cmp_eq_u32_e64 s[40:41], 0, v216
	s_and_b64 s[6:7], vcc, s[40:41]
	v_add_u32_e32 v220, v171, v218
	; wave barrier
	s_and_saveexec_b64 s[40:41], s[6:7]
	s_cbranch_execz .LBB738_760
; %bb.759:                              ;   in Loop: Header=BB738_694 Depth=2
	v_bcnt_u32_b32 v69, v69, 0
	v_bcnt_u32_b32 v69, v70, v69
	s_waitcnt lgkmcnt(0)
	v_add_u32_e32 v69, v215, v69
	ds_write_b32 v220, v69 offset:528
.LBB738_760:                            ;   in Loop: Header=BB738_694 Depth=2
	s_or_b64 exec, exec, s[40:41]
	v_lshrrev_b64 v[69:70], s88, v[37:38]
	v_and_b32_e32 v219, s98, v69
	v_mad_u32_u24 v69, v219, 20, v171
	; wave barrier
	ds_read_b32 v218, v69 offset:528
	v_and_b32_e32 v69, 1, v219
	v_add_co_u32_e32 v70, vcc, -1, v69
	v_addc_co_u32_e64 v222, s[6:7], 0, -1, vcc
	v_cmp_ne_u32_e32 vcc, 0, v69
	v_xor_b32_e32 v69, vcc_hi, v222
	v_xor_b32_e32 v70, vcc_lo, v70
	v_and_b32_e32 v222, exec_hi, v69
	v_and_b32_e32 v223, exec_lo, v70
	v_lshlrev_b32_e32 v70, 30, v219
	v_mov_b32_e32 v69, v3
	v_cmp_gt_i64_e32 vcc, 0, v[69:70]
	v_not_b32_e32 v69, v70
	v_ashrrev_i32_e32 v69, 31, v69
	v_xor_b32_e32 v70, vcc_hi, v69
	v_xor_b32_e32 v69, vcc_lo, v69
	v_and_b32_e32 v222, v222, v70
	v_and_b32_e32 v223, v223, v69
	v_lshlrev_b32_e32 v70, 29, v219
	v_mov_b32_e32 v69, v3
	v_cmp_gt_i64_e32 vcc, 0, v[69:70]
	v_not_b32_e32 v69, v70
	v_ashrrev_i32_e32 v69, 31, v69
	v_xor_b32_e32 v70, vcc_hi, v69
	v_xor_b32_e32 v69, vcc_lo, v69
	v_and_b32_e32 v222, v222, v70
	v_and_b32_e32 v223, v223, v69
	;; [unrolled: 9-line block ×5, first 2 shown]
	v_lshlrev_b32_e32 v70, 25, v219
	v_mov_b32_e32 v69, v3
	v_cmp_gt_i64_e32 vcc, 0, v[69:70]
	v_not_b32_e32 v69, v70
	v_ashrrev_i32_e32 v69, 31, v69
	v_xor_b32_e32 v70, vcc_hi, v69
	v_xor_b32_e32 v69, vcc_lo, v69
	v_and_b32_e32 v69, v223, v69
	v_mul_u32_u24_e32 v221, 20, v219
	v_and_b32_e32 v70, v222, v70
	v_mbcnt_lo_u32_b32 v219, v69, 0
	v_mbcnt_hi_u32_b32 v219, v70, v219
	v_cmp_ne_u64_e32 vcc, 0, v[69:70]
	v_cmp_eq_u32_e64 s[40:41], 0, v219
	s_and_b64 s[6:7], vcc, s[40:41]
	v_add_u32_e32 v221, v171, v221
	; wave barrier
	s_and_saveexec_b64 s[40:41], s[6:7]
	s_cbranch_execz .LBB738_762
; %bb.761:                              ;   in Loop: Header=BB738_694 Depth=2
	v_bcnt_u32_b32 v69, v69, 0
	v_bcnt_u32_b32 v69, v70, v69
	s_waitcnt lgkmcnt(0)
	v_add_u32_e32 v69, v218, v69
	ds_write_b32 v221, v69 offset:528
.LBB738_762:                            ;   in Loop: Header=BB738_694 Depth=2
	s_or_b64 exec, exec, s[40:41]
	; wave barrier
	s_waitcnt lgkmcnt(0)
	s_barrier
	ds_read2_b32 v[69:70], v90 offset0:132 offset1:133
	ds_read_b32 v222, v90 offset:536
	s_waitcnt lgkmcnt(0)
	v_add3_u32 v222, v70, v69, v222
	s_nop 1
	v_mov_b32_dpp v223, v222 row_shr:1 row_mask:0xf bank_mask:0xf
	v_cndmask_b32_e64 v223, v223, 0, s[20:21]
	v_add_u32_e32 v222, v223, v222
	s_nop 1
	v_mov_b32_dpp v223, v222 row_shr:2 row_mask:0xf bank_mask:0xf
	v_cndmask_b32_e64 v223, 0, v223, s[22:23]
	v_add_u32_e32 v222, v222, v223
	;; [unrolled: 4-line block ×4, first 2 shown]
	s_nop 1
	v_mov_b32_dpp v223, v222 row_bcast:15 row_mask:0xf bank_mask:0xf
	v_cndmask_b32_e64 v223, v223, 0, s[28:29]
	v_add_u32_e32 v222, v222, v223
	s_nop 1
	v_mov_b32_dpp v223, v222 row_bcast:31 row_mask:0xf bank_mask:0xf
	v_cndmask_b32_e64 v223, 0, v223, s[30:31]
	v_add_u32_e32 v222, v222, v223
	s_and_saveexec_b64 s[40:41], s[12:13]
; %bb.763:                              ;   in Loop: Header=BB738_694 Depth=2
	ds_write_b32 v92, v222 offset:512
; %bb.764:                              ;   in Loop: Header=BB738_694 Depth=2
	s_or_b64 exec, exec, s[40:41]
	s_waitcnt lgkmcnt(0)
	s_barrier
	s_and_saveexec_b64 s[40:41], s[14:15]
	s_cbranch_execz .LBB738_766
; %bb.765:                              ;   in Loop: Header=BB738_694 Depth=2
	ds_read_b32 v223, v97 offset:512
	s_waitcnt lgkmcnt(0)
	s_nop 0
	v_mov_b32_dpp v224, v223 row_shr:1 row_mask:0xf bank_mask:0xf
	v_cndmask_b32_e64 v224, v224, 0, s[36:37]
	v_add_u32_e32 v223, v224, v223
	s_nop 1
	v_mov_b32_dpp v224, v223 row_shr:2 row_mask:0xf bank_mask:0xf
	v_cndmask_b32_e64 v224, 0, v224, s[38:39]
	v_add_u32_e32 v223, v223, v224
	ds_write_b32 v97, v223 offset:512
.LBB738_766:                            ;   in Loop: Header=BB738_694 Depth=2
	s_or_b64 exec, exec, s[40:41]
	v_mov_b32_e32 v223, 0
	s_waitcnt lgkmcnt(0)
	s_barrier
	s_and_saveexec_b64 s[40:41], s[10:11]
; %bb.767:                              ;   in Loop: Header=BB738_694 Depth=2
	ds_read_b32 v223, v92 offset:508
; %bb.768:                              ;   in Loop: Header=BB738_694 Depth=2
	s_or_b64 exec, exec, s[40:41]
	s_waitcnt lgkmcnt(0)
	v_add_u32_e32 v222, v223, v222
	ds_bpermute_b32 v222, v134, v222
	s_waitcnt lgkmcnt(0)
	v_cndmask_b32_e64 v222, v222, v223, s[34:35]
	v_cndmask_b32_e64 v222, v222, 0, s[16:17]
	v_add_u32_e32 v69, v222, v69
	v_add_u32_e32 v70, v69, v70
	ds_write2_b32 v90, v222, v69 offset0:132 offset1:133
	ds_write_b32 v90, v70 offset:536
	s_waitcnt lgkmcnt(0)
	s_barrier
	ds_read_b32 v69, v177 offset:528
	ds_read_b32 v227, v180 offset:528
	;; [unrolled: 1-line block ×16, first 2 shown]
	s_and_saveexec_b64 s[40:41], s[4:5]
	s_cbranch_execz .LBB738_772
; %bb.769:                              ;   in Loop: Header=BB738_694 Depth=2
	ds_read_b32 v172, v99 offset:528
	v_mov_b32_e32 v173, 0x1000
	s_and_saveexec_b64 s[42:43], s[18:19]
; %bb.770:                              ;   in Loop: Header=BB738_694 Depth=2
	ds_read_b32 v173, v98 offset:528
; %bb.771:                              ;   in Loop: Header=BB738_694 Depth=2
	s_or_b64 exec, exec, s[42:43]
	s_waitcnt lgkmcnt(0)
	v_sub_u32_e32 v173, v173, v172
.LBB738_772:                            ;   in Loop: Header=BB738_694 Depth=2
	s_or_b64 exec, exec, s[40:41]
	s_waitcnt lgkmcnt(0)
	s_barrier
	s_and_saveexec_b64 s[40:41], s[4:5]
	s_cbranch_execz .LBB738_774
; %bb.773:                              ;   in Loop: Header=BB738_694 Depth=2
	ds_read_b32 v201, v71
	s_waitcnt lgkmcnt(0)
	v_sub_u32_e32 v201, v201, v172
	ds_write_b32 v71, v201
.LBB738_774:                            ;   in Loop: Header=BB738_694 Depth=2
	s_or_b64 exec, exec, s[40:41]
	v_lshlrev_b32_e32 v175, 3, v175
	v_lshl_add_u32 v69, v69, 3, v175
	ds_write_b64 v69, v[39:40] offset:512
	v_lshlrev_b32_e32 v39, 3, v178
	v_lshlrev_b32_e32 v40, 3, v176
	v_lshlrev_b32_e32 v175, 3, v227
	v_add3_u32 v39, v39, v40, v175
	ds_write_b64 v39, v[41:42] offset:512
	v_lshlrev_b32_e32 v40, 3, v181
	v_lshlrev_b32_e32 v41, 3, v179
	v_lshlrev_b32_e32 v42, 3, v226
	v_add3_u32 v40, v40, v41, v42
	;; [unrolled: 5-line block ×3, first 2 shown]
	v_lshlrev_b32_e32 v42, 3, v187
	v_lshlrev_b32_e32 v45, 3, v185
	v_lshlrev_b32_e32 v46, 3, v224
	ds_write_b64 v41, v[49:50] offset:512
	v_add3_u32 v42, v42, v45, v46
	v_lshlrev_b32_e32 v45, 3, v190
	v_lshlrev_b32_e32 v46, 3, v188
	v_lshlrev_b32_e32 v49, 3, v223
	v_add3_u32 v45, v45, v46, v49
	v_lshlrev_b32_e32 v46, 3, v193
	v_lshlrev_b32_e32 v49, 3, v191
	v_lshlrev_b32_e32 v50, 3, v222
	ds_write_b64 v42, v[53:54] offset:512
	v_add3_u32 v46, v46, v49, v50
	v_lshlrev_b32_e32 v49, 3, v196
	v_lshlrev_b32_e32 v50, 3, v194
	v_lshlrev_b32_e32 v53, 3, v198
	v_add3_u32 v49, v49, v50, v53
	;; [unrolled: 9-line block ×3, first 2 shown]
	v_lshlrev_b32_e32 v54, 3, v204
	v_lshlrev_b32_e32 v57, 3, v203
	;; [unrolled: 1-line block ×3, first 2 shown]
	v_add3_u32 v54, v54, v57, v58
	ds_write_b64 v46, v[61:62] offset:512
	ds_write_b64 v49, v[67:68] offset:512
	;; [unrolled: 1-line block ×5, first 2 shown]
	v_lshlrev_b32_e32 v57, 3, v207
	v_lshlrev_b32_e32 v58, 3, v206
	v_lshlrev_b32_e32 v59, 3, v186
	v_add3_u32 v57, v57, v58, v59
	ds_write_b64 v57, v[55:56] offset:512
	v_lshlrev_b32_e32 v55, 3, v210
	v_lshlrev_b32_e32 v56, 3, v209
	v_lshlrev_b32_e32 v58, 3, v183
	v_add3_u32 v55, v55, v56, v58
	ds_write_b64 v55, v[51:52] offset:512
	;; [unrolled: 5-line block ×4, first 2 shown]
	v_lshlrev_b32_e32 v43, 3, v219
	v_lshlrev_b32_e32 v44, 3, v218
	;; [unrolled: 1-line block ×3, first 2 shown]
	v_add3_u32 v43, v43, v44, v48
	v_cmp_lt_u32_e64 s[40:41], v0, v174
	ds_write_b64 v43, v[37:38] offset:512
	s_waitcnt lgkmcnt(0)
	s_barrier
	s_and_saveexec_b64 s[42:43], s[40:41]
	s_cbranch_execnz .LBB738_843
; %bb.775:                              ;   in Loop: Header=BB738_694 Depth=2
	s_or_b64 exec, exec, s[42:43]
	v_cmp_lt_u32_e64 s[42:43], v72, v174
	s_and_saveexec_b64 s[44:45], s[42:43]
	s_cbranch_execnz .LBB738_844
.LBB738_776:                            ;   in Loop: Header=BB738_694 Depth=2
	s_or_b64 exec, exec, s[44:45]
	v_cmp_lt_u32_e64 s[44:45], v75, v174
	s_and_saveexec_b64 s[46:47], s[44:45]
	s_cbranch_execnz .LBB738_845
.LBB738_777:                            ;   in Loop: Header=BB738_694 Depth=2
	s_or_b64 exec, exec, s[46:47]
	v_cmp_lt_u32_e64 s[46:47], v76, v174
	s_and_saveexec_b64 s[48:49], s[46:47]
	s_cbranch_execnz .LBB738_846
.LBB738_778:                            ;   in Loop: Header=BB738_694 Depth=2
	s_or_b64 exec, exec, s[48:49]
	v_cmp_lt_u32_e64 s[48:49], v77, v174
	s_and_saveexec_b64 s[50:51], s[48:49]
	s_cbranch_execnz .LBB738_847
.LBB738_779:                            ;   in Loop: Header=BB738_694 Depth=2
	s_or_b64 exec, exec, s[50:51]
	v_cmp_lt_u32_e64 s[50:51], v78, v174
	s_and_saveexec_b64 s[52:53], s[50:51]
	s_cbranch_execnz .LBB738_848
.LBB738_780:                            ;   in Loop: Header=BB738_694 Depth=2
	s_or_b64 exec, exec, s[52:53]
	v_cmp_lt_u32_e64 s[52:53], v79, v174
	s_and_saveexec_b64 s[54:55], s[52:53]
	s_cbranch_execnz .LBB738_849
.LBB738_781:                            ;   in Loop: Header=BB738_694 Depth=2
	s_or_b64 exec, exec, s[54:55]
	v_cmp_lt_u32_e64 s[54:55], v80, v174
	s_and_saveexec_b64 s[56:57], s[54:55]
	s_cbranch_execnz .LBB738_850
.LBB738_782:                            ;   in Loop: Header=BB738_694 Depth=2
	s_or_b64 exec, exec, s[56:57]
	v_cmp_lt_u32_e64 s[56:57], v81, v174
	s_and_saveexec_b64 s[58:59], s[56:57]
	s_cbranch_execnz .LBB738_851
.LBB738_783:                            ;   in Loop: Header=BB738_694 Depth=2
	s_or_b64 exec, exec, s[58:59]
	v_cmp_lt_u32_e64 s[58:59], v82, v174
	s_and_saveexec_b64 s[60:61], s[58:59]
	s_cbranch_execnz .LBB738_852
.LBB738_784:                            ;   in Loop: Header=BB738_694 Depth=2
	s_or_b64 exec, exec, s[60:61]
	v_cmp_lt_u32_e64 s[60:61], v83, v174
	s_and_saveexec_b64 s[62:63], s[60:61]
	s_cbranch_execnz .LBB738_853
.LBB738_785:                            ;   in Loop: Header=BB738_694 Depth=2
	s_or_b64 exec, exec, s[62:63]
	v_cmp_lt_u32_e64 s[62:63], v84, v174
	s_and_saveexec_b64 s[64:65], s[62:63]
	s_cbranch_execnz .LBB738_854
.LBB738_786:                            ;   in Loop: Header=BB738_694 Depth=2
	s_or_b64 exec, exec, s[64:65]
	v_cmp_lt_u32_e64 s[64:65], v85, v174
	s_and_saveexec_b64 s[66:67], s[64:65]
	s_cbranch_execnz .LBB738_855
.LBB738_787:                            ;   in Loop: Header=BB738_694 Depth=2
	s_or_b64 exec, exec, s[66:67]
	v_cmp_lt_u32_e64 s[66:67], v86, v174
	s_and_saveexec_b64 s[68:69], s[66:67]
	s_cbranch_execnz .LBB738_856
.LBB738_788:                            ;   in Loop: Header=BB738_694 Depth=2
	s_or_b64 exec, exec, s[68:69]
	v_cmp_lt_u32_e64 s[68:69], v87, v174
	s_and_saveexec_b64 s[70:71], s[68:69]
	s_cbranch_execnz .LBB738_857
.LBB738_789:                            ;   in Loop: Header=BB738_694 Depth=2
	s_or_b64 exec, exec, s[70:71]
	v_cmp_lt_u32_e64 s[70:71], v88, v174
	s_and_saveexec_b64 s[82:83], s[70:71]
	s_cbranch_execz .LBB738_791
.LBB738_790:                            ;   in Loop: Header=BB738_694 Depth=2
	ds_read_b64 v[37:38], v104 offset:31232
	v_mov_b32_e32 v48, s79
	s_waitcnt lgkmcnt(0)
	v_lshrrev_b64 v[58:59], s88, v[37:38]
	v_mov_b32_e32 v59, v3
	v_and_b32_e32 v44, s98, v58
	v_lshlrev_b32_e32 v44, 2, v44
	ds_read_b32 v44, v44
	v_xor_b32_e32 v38, 0x7fffffff, v38
	v_not_b32_e32 v37, v37
	s_waitcnt lgkmcnt(0)
	v_add_u32_e32 v58, v44, v88
	v_lshlrev_b64 v[58:59], 3, v[58:59]
	v_add_co_u32_e32 v58, vcc, s78, v58
	v_addc_co_u32_e32 v59, vcc, v48, v59, vcc
	global_store_dwordx2 v[58:59], v[37:38], off
.LBB738_791:                            ;   in Loop: Header=BB738_694 Depth=2
	s_or_b64 exec, exec, s[82:83]
	s_lshl_b64 s[6:7], s[92:93], 3
	v_mov_b32_e32 v38, s7
	v_add_co_u32_e32 v37, vcc, s6, v152
	v_addc_co_u32_e32 v38, vcc, v153, v38, vcc
	v_cmp_lt_u32_e32 vcc, v151, v174
	s_and_saveexec_b64 s[6:7], vcc
	s_xor_b64 s[82:83], exec, s[6:7]
	s_cbranch_execnz .LBB738_858
; %bb.792:                              ;   in Loop: Header=BB738_694 Depth=2
	s_or_b64 exec, exec, s[82:83]
	v_cmp_lt_u32_e32 vcc, v154, v174
	s_and_saveexec_b64 s[82:83], vcc
	s_cbranch_execnz .LBB738_859
.LBB738_793:                            ;   in Loop: Header=BB738_694 Depth=2
	s_or_b64 exec, exec, s[82:83]
	v_cmp_lt_u32_e32 vcc, v155, v174
	s_and_saveexec_b64 s[82:83], vcc
	s_cbranch_execnz .LBB738_860
.LBB738_794:                            ;   in Loop: Header=BB738_694 Depth=2
	s_or_b64 exec, exec, s[82:83]
	v_cmp_lt_u32_e32 vcc, v156, v174
	s_and_saveexec_b64 s[82:83], vcc
	s_cbranch_execnz .LBB738_861
.LBB738_795:                            ;   in Loop: Header=BB738_694 Depth=2
	s_or_b64 exec, exec, s[82:83]
	v_cmp_lt_u32_e32 vcc, v157, v174
	s_and_saveexec_b64 s[82:83], vcc
	s_cbranch_execnz .LBB738_862
.LBB738_796:                            ;   in Loop: Header=BB738_694 Depth=2
	s_or_b64 exec, exec, s[82:83]
	v_cmp_lt_u32_e32 vcc, v158, v174
	s_and_saveexec_b64 s[82:83], vcc
	s_cbranch_execnz .LBB738_863
.LBB738_797:                            ;   in Loop: Header=BB738_694 Depth=2
	s_or_b64 exec, exec, s[82:83]
	v_cmp_lt_u32_e32 vcc, v159, v174
	s_and_saveexec_b64 s[82:83], vcc
	s_cbranch_execnz .LBB738_864
.LBB738_798:                            ;   in Loop: Header=BB738_694 Depth=2
	s_or_b64 exec, exec, s[82:83]
	v_cmp_lt_u32_e32 vcc, v160, v174
	s_and_saveexec_b64 s[82:83], vcc
	s_cbranch_execnz .LBB738_865
.LBB738_799:                            ;   in Loop: Header=BB738_694 Depth=2
	s_or_b64 exec, exec, s[82:83]
	v_cmp_lt_u32_e32 vcc, v161, v174
	s_and_saveexec_b64 s[82:83], vcc
	s_cbranch_execnz .LBB738_866
.LBB738_800:                            ;   in Loop: Header=BB738_694 Depth=2
	s_or_b64 exec, exec, s[82:83]
	v_cmp_lt_u32_e32 vcc, v162, v174
	s_and_saveexec_b64 s[82:83], vcc
	s_cbranch_execnz .LBB738_867
.LBB738_801:                            ;   in Loop: Header=BB738_694 Depth=2
	s_or_b64 exec, exec, s[82:83]
	v_cmp_lt_u32_e32 vcc, v163, v174
	s_and_saveexec_b64 s[82:83], vcc
	s_cbranch_execnz .LBB738_868
.LBB738_802:                            ;   in Loop: Header=BB738_694 Depth=2
	s_or_b64 exec, exec, s[82:83]
	v_cmp_lt_u32_e32 vcc, v164, v174
	s_and_saveexec_b64 s[82:83], vcc
	s_cbranch_execnz .LBB738_869
.LBB738_803:                            ;   in Loop: Header=BB738_694 Depth=2
	s_or_b64 exec, exec, s[82:83]
	v_cmp_lt_u32_e32 vcc, v165, v174
	s_and_saveexec_b64 s[82:83], vcc
	s_cbranch_execnz .LBB738_870
.LBB738_804:                            ;   in Loop: Header=BB738_694 Depth=2
	s_or_b64 exec, exec, s[82:83]
	v_cmp_lt_u32_e32 vcc, v166, v174
	s_and_saveexec_b64 s[82:83], vcc
	s_cbranch_execnz .LBB738_871
.LBB738_805:                            ;   in Loop: Header=BB738_694 Depth=2
	s_or_b64 exec, exec, s[82:83]
	v_cmp_lt_u32_e32 vcc, v167, v174
	s_and_saveexec_b64 s[82:83], vcc
	s_cbranch_execnz .LBB738_872
.LBB738_806:                            ;   in Loop: Header=BB738_694 Depth=2
	s_or_b64 exec, exec, s[82:83]
	v_cmp_lt_u32_e32 vcc, v168, v174
	s_and_saveexec_b64 s[82:83], vcc
	s_cbranch_execnz .LBB738_873
.LBB738_807:                            ;   in Loop: Header=BB738_694 Depth=2
	s_or_b64 exec, exec, s[82:83]
	s_and_saveexec_b64 s[82:83], s[40:41]
	s_cbranch_execnz .LBB738_874
.LBB738_808:                            ;   in Loop: Header=BB738_694 Depth=2
	s_or_b64 exec, exec, s[82:83]
	s_and_saveexec_b64 s[82:83], s[42:43]
	s_cbranch_execnz .LBB738_875
.LBB738_809:                            ;   in Loop: Header=BB738_694 Depth=2
	s_or_b64 exec, exec, s[82:83]
	s_and_saveexec_b64 s[82:83], s[44:45]
	s_cbranch_execnz .LBB738_876
.LBB738_810:                            ;   in Loop: Header=BB738_694 Depth=2
	s_or_b64 exec, exec, s[82:83]
	s_and_saveexec_b64 s[82:83], s[46:47]
	s_cbranch_execnz .LBB738_877
.LBB738_811:                            ;   in Loop: Header=BB738_694 Depth=2
	s_or_b64 exec, exec, s[82:83]
	s_and_saveexec_b64 s[82:83], s[48:49]
	s_cbranch_execnz .LBB738_878
.LBB738_812:                            ;   in Loop: Header=BB738_694 Depth=2
	s_or_b64 exec, exec, s[82:83]
	s_and_saveexec_b64 s[82:83], s[50:51]
	s_cbranch_execnz .LBB738_879
.LBB738_813:                            ;   in Loop: Header=BB738_694 Depth=2
	s_or_b64 exec, exec, s[82:83]
	s_and_saveexec_b64 s[82:83], s[52:53]
	s_cbranch_execnz .LBB738_880
.LBB738_814:                            ;   in Loop: Header=BB738_694 Depth=2
	s_or_b64 exec, exec, s[82:83]
	s_and_saveexec_b64 s[82:83], s[54:55]
	s_cbranch_execnz .LBB738_881
.LBB738_815:                            ;   in Loop: Header=BB738_694 Depth=2
	s_or_b64 exec, exec, s[82:83]
	s_and_saveexec_b64 s[82:83], s[56:57]
	s_cbranch_execnz .LBB738_882
.LBB738_816:                            ;   in Loop: Header=BB738_694 Depth=2
	s_or_b64 exec, exec, s[82:83]
	s_and_saveexec_b64 s[82:83], s[58:59]
	s_cbranch_execnz .LBB738_883
.LBB738_817:                            ;   in Loop: Header=BB738_694 Depth=2
	s_or_b64 exec, exec, s[82:83]
	s_and_saveexec_b64 s[82:83], s[60:61]
	s_cbranch_execnz .LBB738_884
.LBB738_818:                            ;   in Loop: Header=BB738_694 Depth=2
	s_or_b64 exec, exec, s[82:83]
	s_and_saveexec_b64 s[82:83], s[62:63]
	s_cbranch_execnz .LBB738_885
.LBB738_819:                            ;   in Loop: Header=BB738_694 Depth=2
	s_or_b64 exec, exec, s[82:83]
	s_and_saveexec_b64 s[82:83], s[64:65]
	s_cbranch_execnz .LBB738_886
.LBB738_820:                            ;   in Loop: Header=BB738_694 Depth=2
	s_or_b64 exec, exec, s[82:83]
	s_and_saveexec_b64 s[82:83], s[66:67]
	s_cbranch_execnz .LBB738_887
.LBB738_821:                            ;   in Loop: Header=BB738_694 Depth=2
	s_or_b64 exec, exec, s[82:83]
	s_and_saveexec_b64 s[82:83], s[68:69]
	s_cbranch_execnz .LBB738_888
.LBB738_822:                            ;   in Loop: Header=BB738_694 Depth=2
	s_or_b64 exec, exec, s[82:83]
	s_and_saveexec_b64 s[82:83], s[70:71]
	s_cbranch_execz .LBB738_824
.LBB738_823:                            ;   in Loop: Header=BB738_694 Depth=2
	ds_read_b64 v[37:38], v104 offset:31232
	s_waitcnt lgkmcnt(0)
	v_lshrrev_b64 v[37:38], s88, v[37:38]
	v_and_b32_e32 v135, s98, v37
.LBB738_824:                            ;   in Loop: Header=BB738_694 Depth=2
	s_or_b64 exec, exec, s[82:83]
	s_waitcnt vmcnt(0)
	s_barrier
	ds_write_b64 v69, v[35:36] offset:512
	ds_write_b64 v39, v[33:34] offset:512
	;; [unrolled: 1-line block ×16, first 2 shown]
	s_waitcnt lgkmcnt(0)
	s_barrier
	s_and_saveexec_b64 s[82:83], s[40:41]
	s_cbranch_execnz .LBB738_889
; %bb.825:                              ;   in Loop: Header=BB738_694 Depth=2
	s_or_b64 exec, exec, s[82:83]
	s_and_saveexec_b64 s[40:41], s[42:43]
	s_cbranch_execnz .LBB738_890
.LBB738_826:                            ;   in Loop: Header=BB738_694 Depth=2
	s_or_b64 exec, exec, s[40:41]
	s_and_saveexec_b64 s[40:41], s[44:45]
	s_cbranch_execnz .LBB738_891
.LBB738_827:                            ;   in Loop: Header=BB738_694 Depth=2
	s_or_b64 exec, exec, s[40:41]
	s_and_saveexec_b64 s[40:41], s[46:47]
	s_cbranch_execnz .LBB738_892
.LBB738_828:                            ;   in Loop: Header=BB738_694 Depth=2
	s_or_b64 exec, exec, s[40:41]
	s_and_saveexec_b64 s[40:41], s[48:49]
	s_cbranch_execnz .LBB738_893
.LBB738_829:                            ;   in Loop: Header=BB738_694 Depth=2
	s_or_b64 exec, exec, s[40:41]
	s_and_saveexec_b64 s[40:41], s[50:51]
	s_cbranch_execnz .LBB738_894
.LBB738_830:                            ;   in Loop: Header=BB738_694 Depth=2
	s_or_b64 exec, exec, s[40:41]
	s_and_saveexec_b64 s[40:41], s[52:53]
	s_cbranch_execnz .LBB738_895
.LBB738_831:                            ;   in Loop: Header=BB738_694 Depth=2
	s_or_b64 exec, exec, s[40:41]
	s_and_saveexec_b64 s[40:41], s[54:55]
	s_cbranch_execnz .LBB738_896
.LBB738_832:                            ;   in Loop: Header=BB738_694 Depth=2
	s_or_b64 exec, exec, s[40:41]
	s_and_saveexec_b64 s[40:41], s[56:57]
	s_cbranch_execnz .LBB738_897
.LBB738_833:                            ;   in Loop: Header=BB738_694 Depth=2
	s_or_b64 exec, exec, s[40:41]
	s_and_saveexec_b64 s[40:41], s[58:59]
	s_cbranch_execnz .LBB738_898
.LBB738_834:                            ;   in Loop: Header=BB738_694 Depth=2
	s_or_b64 exec, exec, s[40:41]
	s_and_saveexec_b64 s[40:41], s[60:61]
	s_cbranch_execnz .LBB738_899
.LBB738_835:                            ;   in Loop: Header=BB738_694 Depth=2
	s_or_b64 exec, exec, s[40:41]
	s_and_saveexec_b64 s[40:41], s[62:63]
	s_cbranch_execnz .LBB738_900
.LBB738_836:                            ;   in Loop: Header=BB738_694 Depth=2
	s_or_b64 exec, exec, s[40:41]
	s_and_saveexec_b64 s[40:41], s[64:65]
	s_cbranch_execnz .LBB738_901
.LBB738_837:                            ;   in Loop: Header=BB738_694 Depth=2
	s_or_b64 exec, exec, s[40:41]
	s_and_saveexec_b64 s[40:41], s[66:67]
	s_cbranch_execnz .LBB738_902
.LBB738_838:                            ;   in Loop: Header=BB738_694 Depth=2
	s_or_b64 exec, exec, s[40:41]
	s_and_saveexec_b64 s[40:41], s[68:69]
	s_cbranch_execnz .LBB738_903
.LBB738_839:                            ;   in Loop: Header=BB738_694 Depth=2
	s_or_b64 exec, exec, s[40:41]
	s_and_saveexec_b64 s[40:41], s[70:71]
	s_cbranch_execz .LBB738_841
.LBB738_840:                            ;   in Loop: Header=BB738_694 Depth=2
	v_lshlrev_b32_e32 v37, 2, v135
	ds_read_b32 v39, v37
	ds_read_b64 v[37:38], v104 offset:31232
	v_mov_b32_e32 v40, v3
	v_mov_b32_e32 v41, s85
	s_waitcnt lgkmcnt(1)
	v_add_u32_e32 v39, v39, v88
	v_lshlrev_b64 v[39:40], 3, v[39:40]
	v_add_co_u32_e32 v39, vcc, s84, v39
	v_addc_co_u32_e32 v40, vcc, v41, v40, vcc
	s_waitcnt lgkmcnt(0)
	global_store_dwordx2 v[39:40], v[37:38], off
.LBB738_841:                            ;   in Loop: Header=BB738_694 Depth=2
	s_or_b64 exec, exec, s[40:41]
	s_waitcnt vmcnt(0)
	s_barrier
	s_and_saveexec_b64 s[40:41], s[4:5]
	s_cbranch_execz .LBB738_693
; %bb.842:                              ;   in Loop: Header=BB738_694 Depth=2
	ds_read_b32 v37, v71
	s_waitcnt lgkmcnt(0)
	v_add3_u32 v37, v172, v173, v37
	ds_write_b32 v71, v37
	s_branch .LBB738_693
.LBB738_843:                            ;   in Loop: Header=BB738_694 Depth=2
	ds_read_b64 v[37:38], v104 offset:512
	v_mov_b32_e32 v48, s79
	s_waitcnt lgkmcnt(0)
	v_lshrrev_b64 v[58:59], s88, v[37:38]
	v_mov_b32_e32 v59, v3
	v_and_b32_e32 v44, s98, v58
	v_lshlrev_b32_e32 v44, 2, v44
	ds_read_b32 v44, v44
	v_xor_b32_e32 v38, 0x7fffffff, v38
	v_not_b32_e32 v37, v37
	s_waitcnt lgkmcnt(0)
	v_add_u32_e32 v58, v44, v0
	v_lshlrev_b64 v[58:59], 3, v[58:59]
	v_add_co_u32_e32 v58, vcc, s78, v58
	v_addc_co_u32_e32 v59, vcc, v48, v59, vcc
	global_store_dwordx2 v[58:59], v[37:38], off
	s_or_b64 exec, exec, s[42:43]
	v_cmp_lt_u32_e64 s[42:43], v72, v174
	s_and_saveexec_b64 s[44:45], s[42:43]
	s_cbranch_execz .LBB738_776
.LBB738_844:                            ;   in Loop: Header=BB738_694 Depth=2
	ds_read_b64 v[37:38], v104 offset:2560
	v_mov_b32_e32 v48, s79
	s_waitcnt lgkmcnt(0)
	v_lshrrev_b64 v[58:59], s88, v[37:38]
	v_mov_b32_e32 v59, v3
	v_and_b32_e32 v44, s98, v58
	v_lshlrev_b32_e32 v44, 2, v44
	ds_read_b32 v44, v44
	v_xor_b32_e32 v38, 0x7fffffff, v38
	v_not_b32_e32 v37, v37
	s_waitcnt lgkmcnt(0)
	v_add_u32_e32 v58, v44, v72
	v_lshlrev_b64 v[58:59], 3, v[58:59]
	v_add_co_u32_e32 v58, vcc, s78, v58
	v_addc_co_u32_e32 v59, vcc, v48, v59, vcc
	global_store_dwordx2 v[58:59], v[37:38], off
	s_or_b64 exec, exec, s[44:45]
	v_cmp_lt_u32_e64 s[44:45], v75, v174
	s_and_saveexec_b64 s[46:47], s[44:45]
	s_cbranch_execz .LBB738_777
.LBB738_845:                            ;   in Loop: Header=BB738_694 Depth=2
	ds_read_b64 v[37:38], v104 offset:4608
	v_mov_b32_e32 v48, s79
	s_waitcnt lgkmcnt(0)
	v_lshrrev_b64 v[58:59], s88, v[37:38]
	v_mov_b32_e32 v59, v3
	v_and_b32_e32 v44, s98, v58
	v_lshlrev_b32_e32 v44, 2, v44
	ds_read_b32 v44, v44
	v_xor_b32_e32 v38, 0x7fffffff, v38
	v_not_b32_e32 v37, v37
	s_waitcnt lgkmcnt(0)
	v_add_u32_e32 v58, v44, v75
	v_lshlrev_b64 v[58:59], 3, v[58:59]
	v_add_co_u32_e32 v58, vcc, s78, v58
	v_addc_co_u32_e32 v59, vcc, v48, v59, vcc
	global_store_dwordx2 v[58:59], v[37:38], off
	s_or_b64 exec, exec, s[46:47]
	v_cmp_lt_u32_e64 s[46:47], v76, v174
	s_and_saveexec_b64 s[48:49], s[46:47]
	s_cbranch_execz .LBB738_778
.LBB738_846:                            ;   in Loop: Header=BB738_694 Depth=2
	ds_read_b64 v[37:38], v104 offset:6656
	v_mov_b32_e32 v48, s79
	s_waitcnt lgkmcnt(0)
	v_lshrrev_b64 v[58:59], s88, v[37:38]
	v_mov_b32_e32 v59, v3
	v_and_b32_e32 v44, s98, v58
	v_lshlrev_b32_e32 v44, 2, v44
	ds_read_b32 v44, v44
	v_xor_b32_e32 v38, 0x7fffffff, v38
	v_not_b32_e32 v37, v37
	s_waitcnt lgkmcnt(0)
	v_add_u32_e32 v58, v44, v76
	v_lshlrev_b64 v[58:59], 3, v[58:59]
	v_add_co_u32_e32 v58, vcc, s78, v58
	v_addc_co_u32_e32 v59, vcc, v48, v59, vcc
	global_store_dwordx2 v[58:59], v[37:38], off
	s_or_b64 exec, exec, s[48:49]
	v_cmp_lt_u32_e64 s[48:49], v77, v174
	s_and_saveexec_b64 s[50:51], s[48:49]
	s_cbranch_execz .LBB738_779
.LBB738_847:                            ;   in Loop: Header=BB738_694 Depth=2
	ds_read_b64 v[37:38], v104 offset:8704
	v_mov_b32_e32 v48, s79
	s_waitcnt lgkmcnt(0)
	v_lshrrev_b64 v[58:59], s88, v[37:38]
	v_mov_b32_e32 v59, v3
	v_and_b32_e32 v44, s98, v58
	v_lshlrev_b32_e32 v44, 2, v44
	ds_read_b32 v44, v44
	v_xor_b32_e32 v38, 0x7fffffff, v38
	v_not_b32_e32 v37, v37
	s_waitcnt lgkmcnt(0)
	v_add_u32_e32 v58, v44, v77
	v_lshlrev_b64 v[58:59], 3, v[58:59]
	v_add_co_u32_e32 v58, vcc, s78, v58
	v_addc_co_u32_e32 v59, vcc, v48, v59, vcc
	global_store_dwordx2 v[58:59], v[37:38], off
	s_or_b64 exec, exec, s[50:51]
	v_cmp_lt_u32_e64 s[50:51], v78, v174
	s_and_saveexec_b64 s[52:53], s[50:51]
	s_cbranch_execz .LBB738_780
.LBB738_848:                            ;   in Loop: Header=BB738_694 Depth=2
	ds_read_b64 v[37:38], v104 offset:10752
	v_mov_b32_e32 v48, s79
	s_waitcnt lgkmcnt(0)
	v_lshrrev_b64 v[58:59], s88, v[37:38]
	v_mov_b32_e32 v59, v3
	v_and_b32_e32 v44, s98, v58
	v_lshlrev_b32_e32 v44, 2, v44
	ds_read_b32 v44, v44
	v_xor_b32_e32 v38, 0x7fffffff, v38
	v_not_b32_e32 v37, v37
	s_waitcnt lgkmcnt(0)
	v_add_u32_e32 v58, v44, v78
	v_lshlrev_b64 v[58:59], 3, v[58:59]
	v_add_co_u32_e32 v58, vcc, s78, v58
	v_addc_co_u32_e32 v59, vcc, v48, v59, vcc
	global_store_dwordx2 v[58:59], v[37:38], off
	s_or_b64 exec, exec, s[52:53]
	v_cmp_lt_u32_e64 s[52:53], v79, v174
	s_and_saveexec_b64 s[54:55], s[52:53]
	s_cbranch_execz .LBB738_781
.LBB738_849:                            ;   in Loop: Header=BB738_694 Depth=2
	ds_read_b64 v[37:38], v104 offset:12800
	v_mov_b32_e32 v48, s79
	s_waitcnt lgkmcnt(0)
	v_lshrrev_b64 v[58:59], s88, v[37:38]
	v_mov_b32_e32 v59, v3
	v_and_b32_e32 v44, s98, v58
	v_lshlrev_b32_e32 v44, 2, v44
	ds_read_b32 v44, v44
	v_xor_b32_e32 v38, 0x7fffffff, v38
	v_not_b32_e32 v37, v37
	s_waitcnt lgkmcnt(0)
	v_add_u32_e32 v58, v44, v79
	v_lshlrev_b64 v[58:59], 3, v[58:59]
	v_add_co_u32_e32 v58, vcc, s78, v58
	v_addc_co_u32_e32 v59, vcc, v48, v59, vcc
	global_store_dwordx2 v[58:59], v[37:38], off
	s_or_b64 exec, exec, s[54:55]
	v_cmp_lt_u32_e64 s[54:55], v80, v174
	s_and_saveexec_b64 s[56:57], s[54:55]
	s_cbranch_execz .LBB738_782
.LBB738_850:                            ;   in Loop: Header=BB738_694 Depth=2
	ds_read_b64 v[37:38], v104 offset:14848
	v_mov_b32_e32 v48, s79
	s_waitcnt lgkmcnt(0)
	v_lshrrev_b64 v[58:59], s88, v[37:38]
	v_mov_b32_e32 v59, v3
	v_and_b32_e32 v44, s98, v58
	v_lshlrev_b32_e32 v44, 2, v44
	ds_read_b32 v44, v44
	v_xor_b32_e32 v38, 0x7fffffff, v38
	v_not_b32_e32 v37, v37
	s_waitcnt lgkmcnt(0)
	v_add_u32_e32 v58, v44, v80
	v_lshlrev_b64 v[58:59], 3, v[58:59]
	v_add_co_u32_e32 v58, vcc, s78, v58
	v_addc_co_u32_e32 v59, vcc, v48, v59, vcc
	global_store_dwordx2 v[58:59], v[37:38], off
	s_or_b64 exec, exec, s[56:57]
	v_cmp_lt_u32_e64 s[56:57], v81, v174
	s_and_saveexec_b64 s[58:59], s[56:57]
	s_cbranch_execz .LBB738_783
.LBB738_851:                            ;   in Loop: Header=BB738_694 Depth=2
	ds_read_b64 v[37:38], v104 offset:16896
	v_mov_b32_e32 v48, s79
	s_waitcnt lgkmcnt(0)
	v_lshrrev_b64 v[58:59], s88, v[37:38]
	v_mov_b32_e32 v59, v3
	v_and_b32_e32 v44, s98, v58
	v_lshlrev_b32_e32 v44, 2, v44
	ds_read_b32 v44, v44
	v_xor_b32_e32 v38, 0x7fffffff, v38
	v_not_b32_e32 v37, v37
	s_waitcnt lgkmcnt(0)
	v_add_u32_e32 v58, v44, v81
	v_lshlrev_b64 v[58:59], 3, v[58:59]
	v_add_co_u32_e32 v58, vcc, s78, v58
	v_addc_co_u32_e32 v59, vcc, v48, v59, vcc
	global_store_dwordx2 v[58:59], v[37:38], off
	s_or_b64 exec, exec, s[58:59]
	v_cmp_lt_u32_e64 s[58:59], v82, v174
	s_and_saveexec_b64 s[60:61], s[58:59]
	s_cbranch_execz .LBB738_784
.LBB738_852:                            ;   in Loop: Header=BB738_694 Depth=2
	ds_read_b64 v[37:38], v104 offset:18944
	v_mov_b32_e32 v48, s79
	s_waitcnt lgkmcnt(0)
	v_lshrrev_b64 v[58:59], s88, v[37:38]
	v_mov_b32_e32 v59, v3
	v_and_b32_e32 v44, s98, v58
	v_lshlrev_b32_e32 v44, 2, v44
	ds_read_b32 v44, v44
	v_xor_b32_e32 v38, 0x7fffffff, v38
	v_not_b32_e32 v37, v37
	s_waitcnt lgkmcnt(0)
	v_add_u32_e32 v58, v44, v82
	v_lshlrev_b64 v[58:59], 3, v[58:59]
	v_add_co_u32_e32 v58, vcc, s78, v58
	v_addc_co_u32_e32 v59, vcc, v48, v59, vcc
	global_store_dwordx2 v[58:59], v[37:38], off
	s_or_b64 exec, exec, s[60:61]
	v_cmp_lt_u32_e64 s[60:61], v83, v174
	s_and_saveexec_b64 s[62:63], s[60:61]
	s_cbranch_execz .LBB738_785
.LBB738_853:                            ;   in Loop: Header=BB738_694 Depth=2
	ds_read_b64 v[37:38], v104 offset:20992
	v_mov_b32_e32 v48, s79
	s_waitcnt lgkmcnt(0)
	v_lshrrev_b64 v[58:59], s88, v[37:38]
	v_mov_b32_e32 v59, v3
	v_and_b32_e32 v44, s98, v58
	v_lshlrev_b32_e32 v44, 2, v44
	ds_read_b32 v44, v44
	v_xor_b32_e32 v38, 0x7fffffff, v38
	v_not_b32_e32 v37, v37
	s_waitcnt lgkmcnt(0)
	v_add_u32_e32 v58, v44, v83
	v_lshlrev_b64 v[58:59], 3, v[58:59]
	v_add_co_u32_e32 v58, vcc, s78, v58
	v_addc_co_u32_e32 v59, vcc, v48, v59, vcc
	global_store_dwordx2 v[58:59], v[37:38], off
	s_or_b64 exec, exec, s[62:63]
	v_cmp_lt_u32_e64 s[62:63], v84, v174
	s_and_saveexec_b64 s[64:65], s[62:63]
	s_cbranch_execz .LBB738_786
.LBB738_854:                            ;   in Loop: Header=BB738_694 Depth=2
	ds_read_b64 v[37:38], v104 offset:23040
	v_mov_b32_e32 v48, s79
	s_waitcnt lgkmcnt(0)
	v_lshrrev_b64 v[58:59], s88, v[37:38]
	v_mov_b32_e32 v59, v3
	v_and_b32_e32 v44, s98, v58
	v_lshlrev_b32_e32 v44, 2, v44
	ds_read_b32 v44, v44
	v_xor_b32_e32 v38, 0x7fffffff, v38
	v_not_b32_e32 v37, v37
	s_waitcnt lgkmcnt(0)
	v_add_u32_e32 v58, v44, v84
	v_lshlrev_b64 v[58:59], 3, v[58:59]
	v_add_co_u32_e32 v58, vcc, s78, v58
	v_addc_co_u32_e32 v59, vcc, v48, v59, vcc
	global_store_dwordx2 v[58:59], v[37:38], off
	s_or_b64 exec, exec, s[64:65]
	v_cmp_lt_u32_e64 s[64:65], v85, v174
	s_and_saveexec_b64 s[66:67], s[64:65]
	s_cbranch_execz .LBB738_787
.LBB738_855:                            ;   in Loop: Header=BB738_694 Depth=2
	ds_read_b64 v[37:38], v104 offset:25088
	v_mov_b32_e32 v48, s79
	s_waitcnt lgkmcnt(0)
	v_lshrrev_b64 v[58:59], s88, v[37:38]
	v_mov_b32_e32 v59, v3
	v_and_b32_e32 v44, s98, v58
	v_lshlrev_b32_e32 v44, 2, v44
	ds_read_b32 v44, v44
	v_xor_b32_e32 v38, 0x7fffffff, v38
	v_not_b32_e32 v37, v37
	s_waitcnt lgkmcnt(0)
	v_add_u32_e32 v58, v44, v85
	v_lshlrev_b64 v[58:59], 3, v[58:59]
	v_add_co_u32_e32 v58, vcc, s78, v58
	v_addc_co_u32_e32 v59, vcc, v48, v59, vcc
	global_store_dwordx2 v[58:59], v[37:38], off
	s_or_b64 exec, exec, s[66:67]
	v_cmp_lt_u32_e64 s[66:67], v86, v174
	s_and_saveexec_b64 s[68:69], s[66:67]
	s_cbranch_execz .LBB738_788
.LBB738_856:                            ;   in Loop: Header=BB738_694 Depth=2
	ds_read_b64 v[37:38], v104 offset:27136
	v_mov_b32_e32 v48, s79
	s_waitcnt lgkmcnt(0)
	v_lshrrev_b64 v[58:59], s88, v[37:38]
	v_mov_b32_e32 v59, v3
	v_and_b32_e32 v44, s98, v58
	v_lshlrev_b32_e32 v44, 2, v44
	ds_read_b32 v44, v44
	v_xor_b32_e32 v38, 0x7fffffff, v38
	v_not_b32_e32 v37, v37
	s_waitcnt lgkmcnt(0)
	v_add_u32_e32 v58, v44, v86
	v_lshlrev_b64 v[58:59], 3, v[58:59]
	v_add_co_u32_e32 v58, vcc, s78, v58
	v_addc_co_u32_e32 v59, vcc, v48, v59, vcc
	global_store_dwordx2 v[58:59], v[37:38], off
	s_or_b64 exec, exec, s[68:69]
	v_cmp_lt_u32_e64 s[68:69], v87, v174
	s_and_saveexec_b64 s[70:71], s[68:69]
	s_cbranch_execz .LBB738_789
.LBB738_857:                            ;   in Loop: Header=BB738_694 Depth=2
	ds_read_b64 v[37:38], v104 offset:29184
	v_mov_b32_e32 v48, s79
	s_waitcnt lgkmcnt(0)
	v_lshrrev_b64 v[58:59], s88, v[37:38]
	v_mov_b32_e32 v59, v3
	v_and_b32_e32 v44, s98, v58
	v_lshlrev_b32_e32 v44, 2, v44
	ds_read_b32 v44, v44
	v_xor_b32_e32 v38, 0x7fffffff, v38
	v_not_b32_e32 v37, v37
	s_waitcnt lgkmcnt(0)
	v_add_u32_e32 v58, v44, v87
	v_lshlrev_b64 v[58:59], 3, v[58:59]
	v_add_co_u32_e32 v58, vcc, s78, v58
	v_addc_co_u32_e32 v59, vcc, v48, v59, vcc
	global_store_dwordx2 v[58:59], v[37:38], off
	s_or_b64 exec, exec, s[70:71]
	v_cmp_lt_u32_e64 s[70:71], v88, v174
	s_and_saveexec_b64 s[82:83], s[70:71]
	s_cbranch_execnz .LBB738_790
	s_branch .LBB738_791
.LBB738_858:                            ;   in Loop: Header=BB738_694 Depth=2
	global_load_dwordx2 v[35:36], v[37:38], off
	s_or_b64 exec, exec, s[82:83]
	v_cmp_lt_u32_e32 vcc, v154, v174
	s_and_saveexec_b64 s[82:83], vcc
	s_cbranch_execz .LBB738_793
.LBB738_859:                            ;   in Loop: Header=BB738_694 Depth=2
	global_load_dwordx2 v[33:34], v[37:38], off offset:512
	s_or_b64 exec, exec, s[82:83]
	v_cmp_lt_u32_e32 vcc, v155, v174
	s_and_saveexec_b64 s[82:83], vcc
	s_cbranch_execz .LBB738_794
.LBB738_860:                            ;   in Loop: Header=BB738_694 Depth=2
	global_load_dwordx2 v[31:32], v[37:38], off offset:1024
	s_or_b64 exec, exec, s[82:83]
	v_cmp_lt_u32_e32 vcc, v156, v174
	s_and_saveexec_b64 s[82:83], vcc
	s_cbranch_execz .LBB738_795
.LBB738_861:                            ;   in Loop: Header=BB738_694 Depth=2
	global_load_dwordx2 v[27:28], v[37:38], off offset:1536
	s_or_b64 exec, exec, s[82:83]
	v_cmp_lt_u32_e32 vcc, v157, v174
	s_and_saveexec_b64 s[82:83], vcc
	s_cbranch_execz .LBB738_796
.LBB738_862:                            ;   in Loop: Header=BB738_694 Depth=2
	global_load_dwordx2 v[23:24], v[37:38], off offset:2048
	s_or_b64 exec, exec, s[82:83]
	v_cmp_lt_u32_e32 vcc, v158, v174
	s_and_saveexec_b64 s[82:83], vcc
	s_cbranch_execz .LBB738_797
.LBB738_863:                            ;   in Loop: Header=BB738_694 Depth=2
	global_load_dwordx2 v[19:20], v[37:38], off offset:2560
	s_or_b64 exec, exec, s[82:83]
	v_cmp_lt_u32_e32 vcc, v159, v174
	s_and_saveexec_b64 s[82:83], vcc
	s_cbranch_execz .LBB738_798
.LBB738_864:                            ;   in Loop: Header=BB738_694 Depth=2
	global_load_dwordx2 v[15:16], v[37:38], off offset:3072
	s_or_b64 exec, exec, s[82:83]
	v_cmp_lt_u32_e32 vcc, v160, v174
	s_and_saveexec_b64 s[82:83], vcc
	s_cbranch_execz .LBB738_799
.LBB738_865:                            ;   in Loop: Header=BB738_694 Depth=2
	global_load_dwordx2 v[11:12], v[37:38], off offset:3584
	s_or_b64 exec, exec, s[82:83]
	v_cmp_lt_u32_e32 vcc, v161, v174
	s_and_saveexec_b64 s[82:83], vcc
	s_cbranch_execz .LBB738_800
.LBB738_866:                            ;   in Loop: Header=BB738_694 Depth=2
	v_add_co_u32_e32 v29, vcc, 0x1000, v37
	v_addc_co_u32_e32 v30, vcc, 0, v38, vcc
	global_load_dwordx2 v[29:30], v[29:30], off
	s_or_b64 exec, exec, s[82:83]
	v_cmp_lt_u32_e32 vcc, v162, v174
	s_and_saveexec_b64 s[82:83], vcc
	s_cbranch_execz .LBB738_801
.LBB738_867:                            ;   in Loop: Header=BB738_694 Depth=2
	v_add_co_u32_e32 v25, vcc, 0x1000, v37
	v_addc_co_u32_e32 v26, vcc, 0, v38, vcc
	global_load_dwordx2 v[25:26], v[25:26], off offset:512
	s_or_b64 exec, exec, s[82:83]
	v_cmp_lt_u32_e32 vcc, v163, v174
	s_and_saveexec_b64 s[82:83], vcc
	s_cbranch_execz .LBB738_802
.LBB738_868:                            ;   in Loop: Header=BB738_694 Depth=2
	v_add_co_u32_e32 v21, vcc, 0x1000, v37
	v_addc_co_u32_e32 v22, vcc, 0, v38, vcc
	global_load_dwordx2 v[21:22], v[21:22], off offset:1024
	s_or_b64 exec, exec, s[82:83]
	v_cmp_lt_u32_e32 vcc, v164, v174
	s_and_saveexec_b64 s[82:83], vcc
	s_cbranch_execz .LBB738_803
.LBB738_869:                            ;   in Loop: Header=BB738_694 Depth=2
	v_add_co_u32_e32 v17, vcc, 0x1000, v37
	v_addc_co_u32_e32 v18, vcc, 0, v38, vcc
	global_load_dwordx2 v[17:18], v[17:18], off offset:1536
	s_or_b64 exec, exec, s[82:83]
	v_cmp_lt_u32_e32 vcc, v165, v174
	s_and_saveexec_b64 s[82:83], vcc
	s_cbranch_execz .LBB738_804
.LBB738_870:                            ;   in Loop: Header=BB738_694 Depth=2
	v_add_co_u32_e32 v13, vcc, 0x1000, v37
	v_addc_co_u32_e32 v14, vcc, 0, v38, vcc
	global_load_dwordx2 v[13:14], v[13:14], off offset:2048
	s_or_b64 exec, exec, s[82:83]
	v_cmp_lt_u32_e32 vcc, v166, v174
	s_and_saveexec_b64 s[82:83], vcc
	s_cbranch_execz .LBB738_805
.LBB738_871:                            ;   in Loop: Header=BB738_694 Depth=2
	v_add_co_u32_e32 v9, vcc, 0x1000, v37
	v_addc_co_u32_e32 v10, vcc, 0, v38, vcc
	global_load_dwordx2 v[9:10], v[9:10], off offset:2560
	s_or_b64 exec, exec, s[82:83]
	v_cmp_lt_u32_e32 vcc, v167, v174
	s_and_saveexec_b64 s[82:83], vcc
	s_cbranch_execz .LBB738_806
.LBB738_872:                            ;   in Loop: Header=BB738_694 Depth=2
	v_add_co_u32_e32 v7, vcc, 0x1000, v37
	v_addc_co_u32_e32 v8, vcc, 0, v38, vcc
	global_load_dwordx2 v[7:8], v[7:8], off offset:3072
	s_or_b64 exec, exec, s[82:83]
	v_cmp_lt_u32_e32 vcc, v168, v174
	s_and_saveexec_b64 s[82:83], vcc
	s_cbranch_execz .LBB738_807
.LBB738_873:                            ;   in Loop: Header=BB738_694 Depth=2
	v_add_co_u32_e32 v5, vcc, 0x1000, v37
	v_addc_co_u32_e32 v6, vcc, 0, v38, vcc
	global_load_dwordx2 v[5:6], v[5:6], off offset:3584
	s_or_b64 exec, exec, s[82:83]
	s_and_saveexec_b64 s[82:83], s[40:41]
	s_cbranch_execz .LBB738_808
.LBB738_874:                            ;   in Loop: Header=BB738_694 Depth=2
	ds_read_b64 v[37:38], v104 offset:512
	s_waitcnt lgkmcnt(0)
	v_lshrrev_b64 v[37:38], s88, v[37:38]
	v_and_b32_e32 v150, s98, v37
	s_or_b64 exec, exec, s[82:83]
	s_and_saveexec_b64 s[82:83], s[42:43]
	s_cbranch_execz .LBB738_809
.LBB738_875:                            ;   in Loop: Header=BB738_694 Depth=2
	ds_read_b64 v[37:38], v104 offset:2560
	s_waitcnt lgkmcnt(0)
	v_lshrrev_b64 v[37:38], s88, v[37:38]
	v_and_b32_e32 v149, s98, v37
	s_or_b64 exec, exec, s[82:83]
	s_and_saveexec_b64 s[82:83], s[44:45]
	s_cbranch_execz .LBB738_810
.LBB738_876:                            ;   in Loop: Header=BB738_694 Depth=2
	ds_read_b64 v[37:38], v104 offset:4608
	s_waitcnt lgkmcnt(0)
	v_lshrrev_b64 v[37:38], s88, v[37:38]
	v_and_b32_e32 v148, s98, v37
	s_or_b64 exec, exec, s[82:83]
	s_and_saveexec_b64 s[82:83], s[46:47]
	s_cbranch_execz .LBB738_811
.LBB738_877:                            ;   in Loop: Header=BB738_694 Depth=2
	ds_read_b64 v[37:38], v104 offset:6656
	s_waitcnt lgkmcnt(0)
	v_lshrrev_b64 v[37:38], s88, v[37:38]
	v_and_b32_e32 v147, s98, v37
	s_or_b64 exec, exec, s[82:83]
	s_and_saveexec_b64 s[82:83], s[48:49]
	s_cbranch_execz .LBB738_812
.LBB738_878:                            ;   in Loop: Header=BB738_694 Depth=2
	ds_read_b64 v[37:38], v104 offset:8704
	s_waitcnt lgkmcnt(0)
	v_lshrrev_b64 v[37:38], s88, v[37:38]
	v_and_b32_e32 v146, s98, v37
	s_or_b64 exec, exec, s[82:83]
	s_and_saveexec_b64 s[82:83], s[50:51]
	s_cbranch_execz .LBB738_813
.LBB738_879:                            ;   in Loop: Header=BB738_694 Depth=2
	ds_read_b64 v[37:38], v104 offset:10752
	s_waitcnt lgkmcnt(0)
	v_lshrrev_b64 v[37:38], s88, v[37:38]
	v_and_b32_e32 v145, s98, v37
	s_or_b64 exec, exec, s[82:83]
	s_and_saveexec_b64 s[82:83], s[52:53]
	s_cbranch_execz .LBB738_814
.LBB738_880:                            ;   in Loop: Header=BB738_694 Depth=2
	ds_read_b64 v[37:38], v104 offset:12800
	s_waitcnt lgkmcnt(0)
	v_lshrrev_b64 v[37:38], s88, v[37:38]
	v_and_b32_e32 v144, s98, v37
	s_or_b64 exec, exec, s[82:83]
	s_and_saveexec_b64 s[82:83], s[54:55]
	s_cbranch_execz .LBB738_815
.LBB738_881:                            ;   in Loop: Header=BB738_694 Depth=2
	ds_read_b64 v[37:38], v104 offset:14848
	s_waitcnt lgkmcnt(0)
	v_lshrrev_b64 v[37:38], s88, v[37:38]
	v_and_b32_e32 v143, s98, v37
	s_or_b64 exec, exec, s[82:83]
	s_and_saveexec_b64 s[82:83], s[56:57]
	s_cbranch_execz .LBB738_816
.LBB738_882:                            ;   in Loop: Header=BB738_694 Depth=2
	ds_read_b64 v[37:38], v104 offset:16896
	s_waitcnt lgkmcnt(0)
	v_lshrrev_b64 v[37:38], s88, v[37:38]
	v_and_b32_e32 v142, s98, v37
	s_or_b64 exec, exec, s[82:83]
	s_and_saveexec_b64 s[82:83], s[58:59]
	s_cbranch_execz .LBB738_817
.LBB738_883:                            ;   in Loop: Header=BB738_694 Depth=2
	ds_read_b64 v[37:38], v104 offset:18944
	s_waitcnt lgkmcnt(0)
	v_lshrrev_b64 v[37:38], s88, v[37:38]
	v_and_b32_e32 v141, s98, v37
	s_or_b64 exec, exec, s[82:83]
	s_and_saveexec_b64 s[82:83], s[60:61]
	s_cbranch_execz .LBB738_818
.LBB738_884:                            ;   in Loop: Header=BB738_694 Depth=2
	ds_read_b64 v[37:38], v104 offset:20992
	s_waitcnt lgkmcnt(0)
	v_lshrrev_b64 v[37:38], s88, v[37:38]
	v_and_b32_e32 v140, s98, v37
	s_or_b64 exec, exec, s[82:83]
	s_and_saveexec_b64 s[82:83], s[62:63]
	s_cbranch_execz .LBB738_819
.LBB738_885:                            ;   in Loop: Header=BB738_694 Depth=2
	ds_read_b64 v[37:38], v104 offset:23040
	s_waitcnt lgkmcnt(0)
	v_lshrrev_b64 v[37:38], s88, v[37:38]
	v_and_b32_e32 v139, s98, v37
	s_or_b64 exec, exec, s[82:83]
	s_and_saveexec_b64 s[82:83], s[64:65]
	s_cbranch_execz .LBB738_820
.LBB738_886:                            ;   in Loop: Header=BB738_694 Depth=2
	ds_read_b64 v[37:38], v104 offset:25088
	s_waitcnt lgkmcnt(0)
	v_lshrrev_b64 v[37:38], s88, v[37:38]
	v_and_b32_e32 v138, s98, v37
	s_or_b64 exec, exec, s[82:83]
	s_and_saveexec_b64 s[82:83], s[66:67]
	s_cbranch_execz .LBB738_821
.LBB738_887:                            ;   in Loop: Header=BB738_694 Depth=2
	ds_read_b64 v[37:38], v104 offset:27136
	s_waitcnt lgkmcnt(0)
	v_lshrrev_b64 v[37:38], s88, v[37:38]
	v_and_b32_e32 v137, s98, v37
	s_or_b64 exec, exec, s[82:83]
	s_and_saveexec_b64 s[82:83], s[68:69]
	s_cbranch_execz .LBB738_822
.LBB738_888:                            ;   in Loop: Header=BB738_694 Depth=2
	ds_read_b64 v[37:38], v104 offset:29184
	s_waitcnt lgkmcnt(0)
	v_lshrrev_b64 v[37:38], s88, v[37:38]
	v_and_b32_e32 v136, s98, v37
	s_or_b64 exec, exec, s[82:83]
	s_and_saveexec_b64 s[82:83], s[70:71]
	s_cbranch_execnz .LBB738_823
	s_branch .LBB738_824
.LBB738_889:                            ;   in Loop: Header=BB738_694 Depth=2
	v_lshlrev_b32_e32 v37, 2, v150
	ds_read_b32 v39, v37
	ds_read_b64 v[37:38], v104 offset:512
	v_mov_b32_e32 v40, v3
	v_mov_b32_e32 v41, s85
	s_waitcnt lgkmcnt(1)
	v_add_u32_e32 v39, v39, v0
	v_lshlrev_b64 v[39:40], 3, v[39:40]
	v_add_co_u32_e32 v39, vcc, s84, v39
	v_addc_co_u32_e32 v40, vcc, v41, v40, vcc
	s_waitcnt lgkmcnt(0)
	global_store_dwordx2 v[39:40], v[37:38], off
	s_or_b64 exec, exec, s[82:83]
	s_and_saveexec_b64 s[40:41], s[42:43]
	s_cbranch_execz .LBB738_826
.LBB738_890:                            ;   in Loop: Header=BB738_694 Depth=2
	v_lshlrev_b32_e32 v37, 2, v149
	ds_read_b32 v39, v37
	ds_read_b64 v[37:38], v104 offset:2560
	v_mov_b32_e32 v40, v3
	v_mov_b32_e32 v41, s85
	s_waitcnt lgkmcnt(1)
	v_add_u32_e32 v39, v39, v72
	v_lshlrev_b64 v[39:40], 3, v[39:40]
	v_add_co_u32_e32 v39, vcc, s84, v39
	v_addc_co_u32_e32 v40, vcc, v41, v40, vcc
	s_waitcnt lgkmcnt(0)
	global_store_dwordx2 v[39:40], v[37:38], off
	s_or_b64 exec, exec, s[40:41]
	s_and_saveexec_b64 s[40:41], s[44:45]
	s_cbranch_execz .LBB738_827
.LBB738_891:                            ;   in Loop: Header=BB738_694 Depth=2
	v_lshlrev_b32_e32 v37, 2, v148
	ds_read_b32 v39, v37
	ds_read_b64 v[37:38], v104 offset:4608
	v_mov_b32_e32 v40, v3
	v_mov_b32_e32 v41, s85
	s_waitcnt lgkmcnt(1)
	v_add_u32_e32 v39, v39, v75
	v_lshlrev_b64 v[39:40], 3, v[39:40]
	v_add_co_u32_e32 v39, vcc, s84, v39
	v_addc_co_u32_e32 v40, vcc, v41, v40, vcc
	s_waitcnt lgkmcnt(0)
	global_store_dwordx2 v[39:40], v[37:38], off
	s_or_b64 exec, exec, s[40:41]
	s_and_saveexec_b64 s[40:41], s[46:47]
	s_cbranch_execz .LBB738_828
.LBB738_892:                            ;   in Loop: Header=BB738_694 Depth=2
	v_lshlrev_b32_e32 v37, 2, v147
	ds_read_b32 v39, v37
	ds_read_b64 v[37:38], v104 offset:6656
	v_mov_b32_e32 v40, v3
	v_mov_b32_e32 v41, s85
	s_waitcnt lgkmcnt(1)
	v_add_u32_e32 v39, v39, v76
	v_lshlrev_b64 v[39:40], 3, v[39:40]
	v_add_co_u32_e32 v39, vcc, s84, v39
	v_addc_co_u32_e32 v40, vcc, v41, v40, vcc
	s_waitcnt lgkmcnt(0)
	global_store_dwordx2 v[39:40], v[37:38], off
	s_or_b64 exec, exec, s[40:41]
	s_and_saveexec_b64 s[40:41], s[48:49]
	s_cbranch_execz .LBB738_829
.LBB738_893:                            ;   in Loop: Header=BB738_694 Depth=2
	v_lshlrev_b32_e32 v37, 2, v146
	ds_read_b32 v39, v37
	ds_read_b64 v[37:38], v104 offset:8704
	v_mov_b32_e32 v40, v3
	v_mov_b32_e32 v41, s85
	s_waitcnt lgkmcnt(1)
	v_add_u32_e32 v39, v39, v77
	v_lshlrev_b64 v[39:40], 3, v[39:40]
	v_add_co_u32_e32 v39, vcc, s84, v39
	v_addc_co_u32_e32 v40, vcc, v41, v40, vcc
	s_waitcnt lgkmcnt(0)
	global_store_dwordx2 v[39:40], v[37:38], off
	s_or_b64 exec, exec, s[40:41]
	s_and_saveexec_b64 s[40:41], s[50:51]
	s_cbranch_execz .LBB738_830
.LBB738_894:                            ;   in Loop: Header=BB738_694 Depth=2
	v_lshlrev_b32_e32 v37, 2, v145
	ds_read_b32 v39, v37
	ds_read_b64 v[37:38], v104 offset:10752
	v_mov_b32_e32 v40, v3
	v_mov_b32_e32 v41, s85
	s_waitcnt lgkmcnt(1)
	v_add_u32_e32 v39, v39, v78
	v_lshlrev_b64 v[39:40], 3, v[39:40]
	v_add_co_u32_e32 v39, vcc, s84, v39
	v_addc_co_u32_e32 v40, vcc, v41, v40, vcc
	s_waitcnt lgkmcnt(0)
	global_store_dwordx2 v[39:40], v[37:38], off
	s_or_b64 exec, exec, s[40:41]
	s_and_saveexec_b64 s[40:41], s[52:53]
	s_cbranch_execz .LBB738_831
.LBB738_895:                            ;   in Loop: Header=BB738_694 Depth=2
	v_lshlrev_b32_e32 v37, 2, v144
	ds_read_b32 v39, v37
	ds_read_b64 v[37:38], v104 offset:12800
	v_mov_b32_e32 v40, v3
	v_mov_b32_e32 v41, s85
	s_waitcnt lgkmcnt(1)
	v_add_u32_e32 v39, v39, v79
	v_lshlrev_b64 v[39:40], 3, v[39:40]
	v_add_co_u32_e32 v39, vcc, s84, v39
	v_addc_co_u32_e32 v40, vcc, v41, v40, vcc
	s_waitcnt lgkmcnt(0)
	global_store_dwordx2 v[39:40], v[37:38], off
	s_or_b64 exec, exec, s[40:41]
	s_and_saveexec_b64 s[40:41], s[54:55]
	s_cbranch_execz .LBB738_832
.LBB738_896:                            ;   in Loop: Header=BB738_694 Depth=2
	v_lshlrev_b32_e32 v37, 2, v143
	ds_read_b32 v39, v37
	ds_read_b64 v[37:38], v104 offset:14848
	v_mov_b32_e32 v40, v3
	v_mov_b32_e32 v41, s85
	s_waitcnt lgkmcnt(1)
	v_add_u32_e32 v39, v39, v80
	v_lshlrev_b64 v[39:40], 3, v[39:40]
	v_add_co_u32_e32 v39, vcc, s84, v39
	v_addc_co_u32_e32 v40, vcc, v41, v40, vcc
	s_waitcnt lgkmcnt(0)
	global_store_dwordx2 v[39:40], v[37:38], off
	s_or_b64 exec, exec, s[40:41]
	s_and_saveexec_b64 s[40:41], s[56:57]
	s_cbranch_execz .LBB738_833
.LBB738_897:                            ;   in Loop: Header=BB738_694 Depth=2
	v_lshlrev_b32_e32 v37, 2, v142
	ds_read_b32 v39, v37
	ds_read_b64 v[37:38], v104 offset:16896
	v_mov_b32_e32 v40, v3
	v_mov_b32_e32 v41, s85
	s_waitcnt lgkmcnt(1)
	v_add_u32_e32 v39, v39, v81
	v_lshlrev_b64 v[39:40], 3, v[39:40]
	v_add_co_u32_e32 v39, vcc, s84, v39
	v_addc_co_u32_e32 v40, vcc, v41, v40, vcc
	s_waitcnt lgkmcnt(0)
	global_store_dwordx2 v[39:40], v[37:38], off
	s_or_b64 exec, exec, s[40:41]
	s_and_saveexec_b64 s[40:41], s[58:59]
	s_cbranch_execz .LBB738_834
.LBB738_898:                            ;   in Loop: Header=BB738_694 Depth=2
	v_lshlrev_b32_e32 v37, 2, v141
	ds_read_b32 v39, v37
	ds_read_b64 v[37:38], v104 offset:18944
	v_mov_b32_e32 v40, v3
	v_mov_b32_e32 v41, s85
	s_waitcnt lgkmcnt(1)
	v_add_u32_e32 v39, v39, v82
	v_lshlrev_b64 v[39:40], 3, v[39:40]
	v_add_co_u32_e32 v39, vcc, s84, v39
	v_addc_co_u32_e32 v40, vcc, v41, v40, vcc
	s_waitcnt lgkmcnt(0)
	global_store_dwordx2 v[39:40], v[37:38], off
	s_or_b64 exec, exec, s[40:41]
	s_and_saveexec_b64 s[40:41], s[60:61]
	s_cbranch_execz .LBB738_835
.LBB738_899:                            ;   in Loop: Header=BB738_694 Depth=2
	v_lshlrev_b32_e32 v37, 2, v140
	ds_read_b32 v39, v37
	ds_read_b64 v[37:38], v104 offset:20992
	v_mov_b32_e32 v40, v3
	v_mov_b32_e32 v41, s85
	s_waitcnt lgkmcnt(1)
	v_add_u32_e32 v39, v39, v83
	v_lshlrev_b64 v[39:40], 3, v[39:40]
	v_add_co_u32_e32 v39, vcc, s84, v39
	v_addc_co_u32_e32 v40, vcc, v41, v40, vcc
	s_waitcnt lgkmcnt(0)
	global_store_dwordx2 v[39:40], v[37:38], off
	s_or_b64 exec, exec, s[40:41]
	s_and_saveexec_b64 s[40:41], s[62:63]
	s_cbranch_execz .LBB738_836
.LBB738_900:                            ;   in Loop: Header=BB738_694 Depth=2
	v_lshlrev_b32_e32 v37, 2, v139
	ds_read_b32 v39, v37
	ds_read_b64 v[37:38], v104 offset:23040
	v_mov_b32_e32 v40, v3
	v_mov_b32_e32 v41, s85
	s_waitcnt lgkmcnt(1)
	v_add_u32_e32 v39, v39, v84
	v_lshlrev_b64 v[39:40], 3, v[39:40]
	v_add_co_u32_e32 v39, vcc, s84, v39
	v_addc_co_u32_e32 v40, vcc, v41, v40, vcc
	s_waitcnt lgkmcnt(0)
	global_store_dwordx2 v[39:40], v[37:38], off
	s_or_b64 exec, exec, s[40:41]
	s_and_saveexec_b64 s[40:41], s[64:65]
	s_cbranch_execz .LBB738_837
.LBB738_901:                            ;   in Loop: Header=BB738_694 Depth=2
	v_lshlrev_b32_e32 v37, 2, v138
	ds_read_b32 v39, v37
	ds_read_b64 v[37:38], v104 offset:25088
	v_mov_b32_e32 v40, v3
	v_mov_b32_e32 v41, s85
	s_waitcnt lgkmcnt(1)
	v_add_u32_e32 v39, v39, v85
	v_lshlrev_b64 v[39:40], 3, v[39:40]
	v_add_co_u32_e32 v39, vcc, s84, v39
	v_addc_co_u32_e32 v40, vcc, v41, v40, vcc
	s_waitcnt lgkmcnt(0)
	global_store_dwordx2 v[39:40], v[37:38], off
	s_or_b64 exec, exec, s[40:41]
	s_and_saveexec_b64 s[40:41], s[66:67]
	s_cbranch_execz .LBB738_838
.LBB738_902:                            ;   in Loop: Header=BB738_694 Depth=2
	v_lshlrev_b32_e32 v37, 2, v137
	ds_read_b32 v39, v37
	ds_read_b64 v[37:38], v104 offset:27136
	v_mov_b32_e32 v40, v3
	v_mov_b32_e32 v41, s85
	s_waitcnt lgkmcnt(1)
	v_add_u32_e32 v39, v39, v86
	v_lshlrev_b64 v[39:40], 3, v[39:40]
	v_add_co_u32_e32 v39, vcc, s84, v39
	v_addc_co_u32_e32 v40, vcc, v41, v40, vcc
	s_waitcnt lgkmcnt(0)
	global_store_dwordx2 v[39:40], v[37:38], off
	s_or_b64 exec, exec, s[40:41]
	s_and_saveexec_b64 s[40:41], s[68:69]
	s_cbranch_execz .LBB738_839
.LBB738_903:                            ;   in Loop: Header=BB738_694 Depth=2
	v_lshlrev_b32_e32 v37, 2, v136
	ds_read_b32 v39, v37
	ds_read_b64 v[37:38], v104 offset:29184
	v_mov_b32_e32 v40, v3
	v_mov_b32_e32 v41, s85
	s_waitcnt lgkmcnt(1)
	v_add_u32_e32 v39, v39, v87
	v_lshlrev_b64 v[39:40], 3, v[39:40]
	v_add_co_u32_e32 v39, vcc, s84, v39
	v_addc_co_u32_e32 v40, vcc, v41, v40, vcc
	s_waitcnt lgkmcnt(0)
	global_store_dwordx2 v[39:40], v[37:38], off
	s_or_b64 exec, exec, s[40:41]
	s_and_saveexec_b64 s[40:41], s[70:71]
	s_cbranch_execnz .LBB738_840
	s_branch .LBB738_841
.LBB738_904:                            ;   in Loop: Header=BB738_20 Depth=1
	s_waitcnt lgkmcnt(0)
	s_barrier
	s_mov_b64 s[20:21], 0
.LBB738_905:                            ;   in Loop: Header=BB738_20 Depth=1
	s_and_b64 vcc, exec, s[20:21]
	s_cbranch_vccz .LBB738_19
; %bb.906:                              ;   in Loop: Header=BB738_20 Depth=1
	s_mov_b32 s6, s33
	s_mov_b32 s92, s73
	s_barrier
                                        ; implicit-def: $vgpr5_vgpr6
                                        ; implicit-def: $vgpr7_vgpr8
                                        ; implicit-def: $vgpr9_vgpr10
                                        ; implicit-def: $vgpr11_vgpr12
                                        ; implicit-def: $vgpr13_vgpr14
                                        ; implicit-def: $vgpr15_vgpr16
                                        ; implicit-def: $vgpr17_vgpr18
                                        ; implicit-def: $vgpr19_vgpr20
                                        ; implicit-def: $vgpr21_vgpr22
                                        ; implicit-def: $vgpr23_vgpr24
                                        ; implicit-def: $vgpr25_vgpr26
                                        ; implicit-def: $vgpr27_vgpr28
                                        ; implicit-def: $vgpr29_vgpr30
                                        ; implicit-def: $vgpr31_vgpr32
                                        ; implicit-def: $vgpr33_vgpr34
                                        ; implicit-def: $vgpr35_vgpr36
	s_branch .LBB738_908
.LBB738_907:                            ;   in Loop: Header=BB738_908 Depth=2
	s_or_b64 exec, exec, s[20:21]
	s_addk_i32 s6, 0xf000
	s_cmp_ge_u32 s7, s96
	s_mov_b32 s92, s7
	s_cbranch_scc1 .LBB738_976
.LBB738_908:                            ;   Parent Loop BB738_20 Depth=1
                                        ; =>  This Inner Loop Header: Depth=2
	s_add_i32 s7, s92, 0x1000
	s_cmp_gt_u32 s7, s96
	s_mov_b64 s[20:21], -1
                                        ; implicit-def: $vgpr37_vgpr38
                                        ; implicit-def: $vgpr39_vgpr40
                                        ; implicit-def: $vgpr41_vgpr42
                                        ; implicit-def: $vgpr43_vgpr44
                                        ; implicit-def: $vgpr45_vgpr46
                                        ; implicit-def: $vgpr47_vgpr48
                                        ; implicit-def: $vgpr49_vgpr50
                                        ; implicit-def: $vgpr51_vgpr52
                                        ; implicit-def: $vgpr53_vgpr54
                                        ; implicit-def: $vgpr55_vgpr56
                                        ; implicit-def: $vgpr57_vgpr58
                                        ; implicit-def: $vgpr59_vgpr60
                                        ; implicit-def: $vgpr61_vgpr62
                                        ; implicit-def: $vgpr63_vgpr64
                                        ; implicit-def: $vgpr65_vgpr66
                                        ; implicit-def: $vgpr67_vgpr68
	s_cbranch_scc1 .LBB738_910
; %bb.909:                              ;   in Loop: Header=BB738_908 Depth=2
	s_lshl_b64 s[20:21], s[92:93], 3
	v_mov_b32_e32 v37, s21
	v_add_co_u32_e32 v61, vcc, s20, v111
	v_addc_co_u32_e32 v62, vcc, v112, v37, vcc
	v_add_co_u32_e32 v45, vcc, 0x1000, v61
	v_addc_co_u32_e32 v46, vcc, 0, v62, vcc
	;; [unrolled: 2-line block ×6, first 2 shown]
	global_load_dwordx2 v[37:38], v[61:62], off
	global_load_dwordx2 v[39:40], v[61:62], off offset:2048
	global_load_dwordx2 v[41:42], v[45:46], off
	global_load_dwordx2 v[43:44], v[45:46], off offset:2048
	s_nop 0
	global_load_dwordx2 v[45:46], v[53:54], off
	global_load_dwordx2 v[47:48], v[53:54], off offset:2048
	global_load_dwordx2 v[49:50], v[55:56], off
	global_load_dwordx2 v[51:52], v[55:56], off offset:2048
	s_nop 0
	global_load_dwordx2 v[53:54], v[59:60], off
	global_load_dwordx2 v[55:56], v[59:60], off offset:2048
	global_load_dwordx2 v[57:58], v[63:64], off
                                        ; kill: killed $vgpr59 killed $vgpr60
	s_nop 0
	global_load_dwordx2 v[59:60], v[63:64], off offset:2048
	v_add_co_u32_e32 v63, vcc, 0x6000, v61
	v_addc_co_u32_e32 v64, vcc, 0, v62, vcc
	v_add_co_u32_e32 v67, vcc, 0x7000, v61
	v_addc_co_u32_e32 v68, vcc, 0, v62, vcc
	global_load_dwordx2 v[61:62], v[63:64], off
	s_nop 0
	global_load_dwordx2 v[63:64], v[63:64], off offset:2048
	s_nop 0
	global_load_dwordx2 v[65:66], v[67:68], off
	s_nop 0
	global_load_dwordx2 v[67:68], v[67:68], off offset:2048
	s_mov_b64 s[20:21], 0
.LBB738_910:                            ;   in Loop: Header=BB738_908 Depth=2
	s_andn2_b64 vcc, exec, s[20:21]
	s_movk_i32 s22, 0x1000
	s_cbranch_vccnz .LBB738_929
; %bb.911:                              ;   in Loop: Header=BB738_908 Depth=2
	s_lshl_b64 s[20:21], s[92:93], 3
	s_add_u32 s20, s76, s20
	s_addc_u32 s21, s77, s21
	v_cmp_gt_u32_e32 vcc, s6, v0
	s_and_saveexec_b64 s[22:23], vcc
	s_cbranch_execnz .LBB738_961
; %bb.912:                              ;   in Loop: Header=BB738_908 Depth=2
	s_or_b64 exec, exec, s[22:23]
	v_cmp_gt_u32_e32 vcc, s6, v72
	s_and_saveexec_b64 s[22:23], vcc
	s_cbranch_execnz .LBB738_962
.LBB738_913:                            ;   in Loop: Header=BB738_908 Depth=2
	s_or_b64 exec, exec, s[22:23]
	v_cmp_gt_u32_e32 vcc, s6, v75
	s_and_saveexec_b64 s[22:23], vcc
	s_cbranch_execnz .LBB738_963
.LBB738_914:                            ;   in Loop: Header=BB738_908 Depth=2
	s_or_b64 exec, exec, s[22:23]
	v_cmp_gt_u32_e32 vcc, s6, v76
	s_and_saveexec_b64 s[22:23], vcc
	s_cbranch_execnz .LBB738_964
.LBB738_915:                            ;   in Loop: Header=BB738_908 Depth=2
	s_or_b64 exec, exec, s[22:23]
	v_cmp_gt_u32_e32 vcc, s6, v77
	s_and_saveexec_b64 s[22:23], vcc
	s_cbranch_execnz .LBB738_965
.LBB738_916:                            ;   in Loop: Header=BB738_908 Depth=2
	s_or_b64 exec, exec, s[22:23]
	v_cmp_gt_u32_e32 vcc, s6, v78
	s_and_saveexec_b64 s[22:23], vcc
	s_cbranch_execnz .LBB738_966
.LBB738_917:                            ;   in Loop: Header=BB738_908 Depth=2
	s_or_b64 exec, exec, s[22:23]
	v_cmp_gt_u32_e32 vcc, s6, v79
	s_and_saveexec_b64 s[22:23], vcc
	s_cbranch_execnz .LBB738_967
.LBB738_918:                            ;   in Loop: Header=BB738_908 Depth=2
	s_or_b64 exec, exec, s[22:23]
	v_cmp_gt_u32_e32 vcc, s6, v80
	s_and_saveexec_b64 s[22:23], vcc
	s_cbranch_execnz .LBB738_968
.LBB738_919:                            ;   in Loop: Header=BB738_908 Depth=2
	s_or_b64 exec, exec, s[22:23]
	v_cmp_gt_u32_e32 vcc, s6, v81
	s_and_saveexec_b64 s[22:23], vcc
	s_cbranch_execnz .LBB738_969
.LBB738_920:                            ;   in Loop: Header=BB738_908 Depth=2
	s_or_b64 exec, exec, s[22:23]
	v_cmp_gt_u32_e32 vcc, s6, v82
	s_and_saveexec_b64 s[22:23], vcc
	s_cbranch_execnz .LBB738_970
.LBB738_921:                            ;   in Loop: Header=BB738_908 Depth=2
	s_or_b64 exec, exec, s[22:23]
	v_cmp_gt_u32_e32 vcc, s6, v83
	s_and_saveexec_b64 s[22:23], vcc
	s_cbranch_execnz .LBB738_971
.LBB738_922:                            ;   in Loop: Header=BB738_908 Depth=2
	s_or_b64 exec, exec, s[22:23]
	v_cmp_gt_u32_e32 vcc, s6, v84
	s_and_saveexec_b64 s[22:23], vcc
	s_cbranch_execnz .LBB738_972
.LBB738_923:                            ;   in Loop: Header=BB738_908 Depth=2
	s_or_b64 exec, exec, s[22:23]
	v_cmp_gt_u32_e32 vcc, s6, v85
	s_and_saveexec_b64 s[22:23], vcc
	s_cbranch_execnz .LBB738_973
.LBB738_924:                            ;   in Loop: Header=BB738_908 Depth=2
	s_or_b64 exec, exec, s[22:23]
	v_cmp_gt_u32_e32 vcc, s6, v86
	s_and_saveexec_b64 s[22:23], vcc
	s_cbranch_execnz .LBB738_974
.LBB738_925:                            ;   in Loop: Header=BB738_908 Depth=2
	s_or_b64 exec, exec, s[22:23]
	v_cmp_gt_u32_e32 vcc, s6, v87
	s_and_saveexec_b64 s[22:23], vcc
	s_cbranch_execnz .LBB738_975
.LBB738_926:                            ;   in Loop: Header=BB738_908 Depth=2
	s_or_b64 exec, exec, s[22:23]
	v_cmp_gt_u32_e32 vcc, s6, v88
	s_and_saveexec_b64 s[22:23], vcc
	s_cbranch_execz .LBB738_928
.LBB738_927:                            ;   in Loop: Header=BB738_908 Depth=2
	global_load_dwordx2 v[5:6], v132, s[20:21]
.LBB738_928:                            ;   in Loop: Header=BB738_908 Depth=2
	s_or_b64 exec, exec, s[22:23]
	s_waitcnt vmcnt(0)
	v_mov_b32_e32 v38, v36
	v_mov_b32_e32 v40, v34
	;; [unrolled: 1-line block ×16, first 2 shown]
	s_mov_b32 s22, s6
	v_mov_b32_e32 v37, v35
	v_mov_b32_e32 v39, v33
	;; [unrolled: 1-line block ×16, first 2 shown]
.LBB738_929:                            ;   in Loop: Header=BB738_908 Depth=2
	s_waitcnt vmcnt(0)
	v_mov_b32_e32 v5, v67
	v_mov_b32_e32 v7, v65
	;; [unrolled: 1-line block ×32, first 2 shown]
	v_cmp_gt_u32_e32 vcc, s22, v0
	s_and_saveexec_b64 s[20:21], vcc
	s_cbranch_execnz .LBB738_945
; %bb.930:                              ;   in Loop: Header=BB738_908 Depth=2
	s_or_b64 exec, exec, s[20:21]
	v_cmp_gt_u32_e32 vcc, s22, v72
	s_and_saveexec_b64 s[20:21], vcc
	s_cbranch_execnz .LBB738_946
.LBB738_931:                            ;   in Loop: Header=BB738_908 Depth=2
	s_or_b64 exec, exec, s[20:21]
	v_cmp_gt_u32_e32 vcc, s22, v75
	s_and_saveexec_b64 s[20:21], vcc
	s_cbranch_execnz .LBB738_947
.LBB738_932:                            ;   in Loop: Header=BB738_908 Depth=2
	s_or_b64 exec, exec, s[20:21]
	v_cmp_gt_u32_e32 vcc, s22, v76
	s_and_saveexec_b64 s[20:21], vcc
	s_cbranch_execnz .LBB738_948
.LBB738_933:                            ;   in Loop: Header=BB738_908 Depth=2
	s_or_b64 exec, exec, s[20:21]
	v_cmp_gt_u32_e32 vcc, s22, v77
	s_and_saveexec_b64 s[20:21], vcc
	s_cbranch_execnz .LBB738_949
.LBB738_934:                            ;   in Loop: Header=BB738_908 Depth=2
	s_or_b64 exec, exec, s[20:21]
	v_cmp_gt_u32_e32 vcc, s22, v78
	s_and_saveexec_b64 s[20:21], vcc
	s_cbranch_execnz .LBB738_950
.LBB738_935:                            ;   in Loop: Header=BB738_908 Depth=2
	s_or_b64 exec, exec, s[20:21]
	v_cmp_gt_u32_e32 vcc, s22, v79
	s_and_saveexec_b64 s[20:21], vcc
	s_cbranch_execnz .LBB738_951
.LBB738_936:                            ;   in Loop: Header=BB738_908 Depth=2
	s_or_b64 exec, exec, s[20:21]
	v_cmp_gt_u32_e32 vcc, s22, v80
	s_and_saveexec_b64 s[20:21], vcc
	s_cbranch_execnz .LBB738_952
.LBB738_937:                            ;   in Loop: Header=BB738_908 Depth=2
	s_or_b64 exec, exec, s[20:21]
	v_cmp_gt_u32_e32 vcc, s22, v81
	s_and_saveexec_b64 s[20:21], vcc
	s_cbranch_execnz .LBB738_953
.LBB738_938:                            ;   in Loop: Header=BB738_908 Depth=2
	s_or_b64 exec, exec, s[20:21]
	v_cmp_gt_u32_e32 vcc, s22, v82
	s_and_saveexec_b64 s[20:21], vcc
	s_cbranch_execnz .LBB738_954
.LBB738_939:                            ;   in Loop: Header=BB738_908 Depth=2
	s_or_b64 exec, exec, s[20:21]
	v_cmp_gt_u32_e32 vcc, s22, v83
	s_and_saveexec_b64 s[20:21], vcc
	s_cbranch_execnz .LBB738_955
.LBB738_940:                            ;   in Loop: Header=BB738_908 Depth=2
	s_or_b64 exec, exec, s[20:21]
	v_cmp_gt_u32_e32 vcc, s22, v84
	s_and_saveexec_b64 s[20:21], vcc
	s_cbranch_execnz .LBB738_956
.LBB738_941:                            ;   in Loop: Header=BB738_908 Depth=2
	s_or_b64 exec, exec, s[20:21]
	v_cmp_gt_u32_e32 vcc, s22, v85
	s_and_saveexec_b64 s[20:21], vcc
	s_cbranch_execnz .LBB738_957
.LBB738_942:                            ;   in Loop: Header=BB738_908 Depth=2
	s_or_b64 exec, exec, s[20:21]
	v_cmp_gt_u32_e32 vcc, s22, v86
	s_and_saveexec_b64 s[20:21], vcc
	s_cbranch_execnz .LBB738_958
.LBB738_943:                            ;   in Loop: Header=BB738_908 Depth=2
	s_or_b64 exec, exec, s[20:21]
	v_cmp_gt_u32_e32 vcc, s22, v87
	s_and_saveexec_b64 s[20:21], vcc
	s_cbranch_execnz .LBB738_959
.LBB738_944:                            ;   in Loop: Header=BB738_908 Depth=2
	s_or_b64 exec, exec, s[20:21]
	v_cmp_gt_u32_e32 vcc, s22, v88
	s_and_saveexec_b64 s[20:21], vcc
	s_cbranch_execz .LBB738_907
	s_branch .LBB738_960
.LBB738_945:                            ;   in Loop: Header=BB738_908 Depth=2
	v_xor_b32_e32 v38, 0x7fffffff, v36
	v_not_b32_e32 v37, v35
	v_lshrrev_b64 v[37:38], s88, v[37:38]
	v_and_b32_e32 v37, s98, v37
	v_lshl_or_b32 v37, v37, 4, v89
	ds_add_u32 v37, v117
	s_or_b64 exec, exec, s[20:21]
	v_cmp_gt_u32_e32 vcc, s22, v72
	s_and_saveexec_b64 s[20:21], vcc
	s_cbranch_execz .LBB738_931
.LBB738_946:                            ;   in Loop: Header=BB738_908 Depth=2
	v_xor_b32_e32 v38, 0x7fffffff, v34
	v_not_b32_e32 v37, v33
	v_lshrrev_b64 v[37:38], s88, v[37:38]
	v_and_b32_e32 v37, s98, v37
	v_lshl_or_b32 v37, v37, 4, v89
	ds_add_u32 v37, v117
	s_or_b64 exec, exec, s[20:21]
	v_cmp_gt_u32_e32 vcc, s22, v75
	s_and_saveexec_b64 s[20:21], vcc
	s_cbranch_execz .LBB738_932
.LBB738_947:                            ;   in Loop: Header=BB738_908 Depth=2
	v_xor_b32_e32 v38, 0x7fffffff, v32
	v_not_b32_e32 v37, v31
	v_lshrrev_b64 v[37:38], s88, v[37:38]
	v_and_b32_e32 v37, s98, v37
	v_lshl_or_b32 v37, v37, 4, v89
	ds_add_u32 v37, v117
	s_or_b64 exec, exec, s[20:21]
	v_cmp_gt_u32_e32 vcc, s22, v76
	s_and_saveexec_b64 s[20:21], vcc
	s_cbranch_execz .LBB738_933
.LBB738_948:                            ;   in Loop: Header=BB738_908 Depth=2
	v_xor_b32_e32 v38, 0x7fffffff, v30
	v_not_b32_e32 v37, v29
	v_lshrrev_b64 v[37:38], s88, v[37:38]
	v_and_b32_e32 v37, s98, v37
	v_lshl_or_b32 v37, v37, 4, v89
	ds_add_u32 v37, v117
	s_or_b64 exec, exec, s[20:21]
	v_cmp_gt_u32_e32 vcc, s22, v77
	s_and_saveexec_b64 s[20:21], vcc
	s_cbranch_execz .LBB738_934
.LBB738_949:                            ;   in Loop: Header=BB738_908 Depth=2
	v_xor_b32_e32 v38, 0x7fffffff, v28
	v_not_b32_e32 v37, v27
	v_lshrrev_b64 v[37:38], s88, v[37:38]
	v_and_b32_e32 v37, s98, v37
	v_lshl_or_b32 v37, v37, 4, v89
	ds_add_u32 v37, v117
	s_or_b64 exec, exec, s[20:21]
	v_cmp_gt_u32_e32 vcc, s22, v78
	s_and_saveexec_b64 s[20:21], vcc
	s_cbranch_execz .LBB738_935
.LBB738_950:                            ;   in Loop: Header=BB738_908 Depth=2
	v_xor_b32_e32 v38, 0x7fffffff, v26
	v_not_b32_e32 v37, v25
	v_lshrrev_b64 v[37:38], s88, v[37:38]
	v_and_b32_e32 v37, s98, v37
	v_lshl_or_b32 v37, v37, 4, v89
	ds_add_u32 v37, v117
	s_or_b64 exec, exec, s[20:21]
	v_cmp_gt_u32_e32 vcc, s22, v79
	s_and_saveexec_b64 s[20:21], vcc
	s_cbranch_execz .LBB738_936
.LBB738_951:                            ;   in Loop: Header=BB738_908 Depth=2
	v_xor_b32_e32 v38, 0x7fffffff, v24
	v_not_b32_e32 v37, v23
	v_lshrrev_b64 v[37:38], s88, v[37:38]
	v_and_b32_e32 v37, s98, v37
	v_lshl_or_b32 v37, v37, 4, v89
	ds_add_u32 v37, v117
	s_or_b64 exec, exec, s[20:21]
	v_cmp_gt_u32_e32 vcc, s22, v80
	s_and_saveexec_b64 s[20:21], vcc
	s_cbranch_execz .LBB738_937
.LBB738_952:                            ;   in Loop: Header=BB738_908 Depth=2
	v_xor_b32_e32 v38, 0x7fffffff, v22
	v_not_b32_e32 v37, v21
	v_lshrrev_b64 v[37:38], s88, v[37:38]
	v_and_b32_e32 v37, s98, v37
	v_lshl_or_b32 v37, v37, 4, v89
	ds_add_u32 v37, v117
	s_or_b64 exec, exec, s[20:21]
	v_cmp_gt_u32_e32 vcc, s22, v81
	s_and_saveexec_b64 s[20:21], vcc
	s_cbranch_execz .LBB738_938
.LBB738_953:                            ;   in Loop: Header=BB738_908 Depth=2
	v_xor_b32_e32 v38, 0x7fffffff, v20
	v_not_b32_e32 v37, v19
	v_lshrrev_b64 v[37:38], s88, v[37:38]
	v_and_b32_e32 v37, s98, v37
	v_lshl_or_b32 v37, v37, 4, v89
	ds_add_u32 v37, v117
	s_or_b64 exec, exec, s[20:21]
	v_cmp_gt_u32_e32 vcc, s22, v82
	s_and_saveexec_b64 s[20:21], vcc
	s_cbranch_execz .LBB738_939
.LBB738_954:                            ;   in Loop: Header=BB738_908 Depth=2
	v_xor_b32_e32 v38, 0x7fffffff, v18
	v_not_b32_e32 v37, v17
	v_lshrrev_b64 v[37:38], s88, v[37:38]
	v_and_b32_e32 v37, s98, v37
	v_lshl_or_b32 v37, v37, 4, v89
	ds_add_u32 v37, v117
	s_or_b64 exec, exec, s[20:21]
	v_cmp_gt_u32_e32 vcc, s22, v83
	s_and_saveexec_b64 s[20:21], vcc
	s_cbranch_execz .LBB738_940
.LBB738_955:                            ;   in Loop: Header=BB738_908 Depth=2
	v_xor_b32_e32 v38, 0x7fffffff, v16
	v_not_b32_e32 v37, v15
	v_lshrrev_b64 v[37:38], s88, v[37:38]
	v_and_b32_e32 v37, s98, v37
	v_lshl_or_b32 v37, v37, 4, v89
	ds_add_u32 v37, v117
	s_or_b64 exec, exec, s[20:21]
	v_cmp_gt_u32_e32 vcc, s22, v84
	s_and_saveexec_b64 s[20:21], vcc
	s_cbranch_execz .LBB738_941
.LBB738_956:                            ;   in Loop: Header=BB738_908 Depth=2
	v_xor_b32_e32 v38, 0x7fffffff, v14
	v_not_b32_e32 v37, v13
	v_lshrrev_b64 v[37:38], s88, v[37:38]
	v_and_b32_e32 v37, s98, v37
	v_lshl_or_b32 v37, v37, 4, v89
	ds_add_u32 v37, v117
	s_or_b64 exec, exec, s[20:21]
	v_cmp_gt_u32_e32 vcc, s22, v85
	s_and_saveexec_b64 s[20:21], vcc
	s_cbranch_execz .LBB738_942
.LBB738_957:                            ;   in Loop: Header=BB738_908 Depth=2
	v_xor_b32_e32 v38, 0x7fffffff, v12
	v_not_b32_e32 v37, v11
	v_lshrrev_b64 v[37:38], s88, v[37:38]
	v_and_b32_e32 v37, s98, v37
	v_lshl_or_b32 v37, v37, 4, v89
	ds_add_u32 v37, v117
	s_or_b64 exec, exec, s[20:21]
	v_cmp_gt_u32_e32 vcc, s22, v86
	s_and_saveexec_b64 s[20:21], vcc
	s_cbranch_execz .LBB738_943
.LBB738_958:                            ;   in Loop: Header=BB738_908 Depth=2
	v_xor_b32_e32 v38, 0x7fffffff, v10
	v_not_b32_e32 v37, v9
	v_lshrrev_b64 v[37:38], s88, v[37:38]
	v_and_b32_e32 v37, s98, v37
	v_lshl_or_b32 v37, v37, 4, v89
	ds_add_u32 v37, v117
	s_or_b64 exec, exec, s[20:21]
	v_cmp_gt_u32_e32 vcc, s22, v87
	s_and_saveexec_b64 s[20:21], vcc
	s_cbranch_execz .LBB738_944
.LBB738_959:                            ;   in Loop: Header=BB738_908 Depth=2
	v_xor_b32_e32 v38, 0x7fffffff, v8
	v_not_b32_e32 v37, v7
	v_lshrrev_b64 v[37:38], s88, v[37:38]
	v_and_b32_e32 v37, s98, v37
	v_lshl_or_b32 v37, v37, 4, v89
	ds_add_u32 v37, v117
	s_or_b64 exec, exec, s[20:21]
	v_cmp_gt_u32_e32 vcc, s22, v88
	s_and_saveexec_b64 s[20:21], vcc
	s_cbranch_execz .LBB738_907
.LBB738_960:                            ;   in Loop: Header=BB738_908 Depth=2
	v_xor_b32_e32 v38, 0x7fffffff, v6
	v_not_b32_e32 v37, v5
	v_lshrrev_b64 v[37:38], s88, v[37:38]
	v_and_b32_e32 v37, s98, v37
	v_lshl_or_b32 v37, v37, 4, v89
	ds_add_u32 v37, v117
	s_branch .LBB738_907
.LBB738_961:                            ;   in Loop: Header=BB738_908 Depth=2
	global_load_dwordx2 v[35:36], v118, s[20:21]
	s_or_b64 exec, exec, s[22:23]
	v_cmp_gt_u32_e32 vcc, s6, v72
	s_and_saveexec_b64 s[22:23], vcc
	s_cbranch_execz .LBB738_913
.LBB738_962:                            ;   in Loop: Header=BB738_908 Depth=2
	global_load_dwordx2 v[33:34], v118, s[20:21] offset:2048
	s_or_b64 exec, exec, s[22:23]
	v_cmp_gt_u32_e32 vcc, s6, v75
	s_and_saveexec_b64 s[22:23], vcc
	s_cbranch_execz .LBB738_914
.LBB738_963:                            ;   in Loop: Header=BB738_908 Depth=2
	global_load_dwordx2 v[31:32], v119, s[20:21]
	s_or_b64 exec, exec, s[22:23]
	v_cmp_gt_u32_e32 vcc, s6, v76
	s_and_saveexec_b64 s[22:23], vcc
	s_cbranch_execz .LBB738_915
.LBB738_964:                            ;   in Loop: Header=BB738_908 Depth=2
	global_load_dwordx2 v[29:30], v120, s[20:21]
	s_or_b64 exec, exec, s[22:23]
	v_cmp_gt_u32_e32 vcc, s6, v77
	s_and_saveexec_b64 s[22:23], vcc
	s_cbranch_execz .LBB738_916
.LBB738_965:                            ;   in Loop: Header=BB738_908 Depth=2
	global_load_dwordx2 v[27:28], v121, s[20:21]
	s_or_b64 exec, exec, s[22:23]
	v_cmp_gt_u32_e32 vcc, s6, v78
	s_and_saveexec_b64 s[22:23], vcc
	s_cbranch_execz .LBB738_917
.LBB738_966:                            ;   in Loop: Header=BB738_908 Depth=2
	global_load_dwordx2 v[25:26], v122, s[20:21]
	s_or_b64 exec, exec, s[22:23]
	v_cmp_gt_u32_e32 vcc, s6, v79
	s_and_saveexec_b64 s[22:23], vcc
	s_cbranch_execz .LBB738_918
.LBB738_967:                            ;   in Loop: Header=BB738_908 Depth=2
	global_load_dwordx2 v[23:24], v123, s[20:21]
	s_or_b64 exec, exec, s[22:23]
	v_cmp_gt_u32_e32 vcc, s6, v80
	s_and_saveexec_b64 s[22:23], vcc
	s_cbranch_execz .LBB738_919
.LBB738_968:                            ;   in Loop: Header=BB738_908 Depth=2
	global_load_dwordx2 v[21:22], v124, s[20:21]
	s_or_b64 exec, exec, s[22:23]
	v_cmp_gt_u32_e32 vcc, s6, v81
	s_and_saveexec_b64 s[22:23], vcc
	s_cbranch_execz .LBB738_920
.LBB738_969:                            ;   in Loop: Header=BB738_908 Depth=2
	global_load_dwordx2 v[19:20], v125, s[20:21]
	s_or_b64 exec, exec, s[22:23]
	v_cmp_gt_u32_e32 vcc, s6, v82
	s_and_saveexec_b64 s[22:23], vcc
	s_cbranch_execz .LBB738_921
.LBB738_970:                            ;   in Loop: Header=BB738_908 Depth=2
	global_load_dwordx2 v[17:18], v126, s[20:21]
	s_or_b64 exec, exec, s[22:23]
	v_cmp_gt_u32_e32 vcc, s6, v83
	s_and_saveexec_b64 s[22:23], vcc
	s_cbranch_execz .LBB738_922
.LBB738_971:                            ;   in Loop: Header=BB738_908 Depth=2
	global_load_dwordx2 v[15:16], v127, s[20:21]
	s_or_b64 exec, exec, s[22:23]
	v_cmp_gt_u32_e32 vcc, s6, v84
	s_and_saveexec_b64 s[22:23], vcc
	s_cbranch_execz .LBB738_923
.LBB738_972:                            ;   in Loop: Header=BB738_908 Depth=2
	global_load_dwordx2 v[13:14], v128, s[20:21]
	s_or_b64 exec, exec, s[22:23]
	v_cmp_gt_u32_e32 vcc, s6, v85
	s_and_saveexec_b64 s[22:23], vcc
	s_cbranch_execz .LBB738_924
.LBB738_973:                            ;   in Loop: Header=BB738_908 Depth=2
	global_load_dwordx2 v[11:12], v129, s[20:21]
	s_or_b64 exec, exec, s[22:23]
	v_cmp_gt_u32_e32 vcc, s6, v86
	s_and_saveexec_b64 s[22:23], vcc
	s_cbranch_execz .LBB738_925
.LBB738_974:                            ;   in Loop: Header=BB738_908 Depth=2
	global_load_dwordx2 v[9:10], v130, s[20:21]
	s_or_b64 exec, exec, s[22:23]
	v_cmp_gt_u32_e32 vcc, s6, v87
	s_and_saveexec_b64 s[22:23], vcc
	s_cbranch_execz .LBB738_926
.LBB738_975:                            ;   in Loop: Header=BB738_908 Depth=2
	global_load_dwordx2 v[7:8], v131, s[20:21]
	s_or_b64 exec, exec, s[22:23]
	v_cmp_gt_u32_e32 vcc, s6, v88
	s_and_saveexec_b64 s[22:23], vcc
	s_cbranch_execnz .LBB738_927
	s_branch .LBB738_928
.LBB738_976:                            ;   in Loop: Header=BB738_20 Depth=1
	v_mov_b32_e32 v5, 0
	s_waitcnt lgkmcnt(0)
	s_barrier
	s_and_saveexec_b64 s[20:21], s[4:5]
	s_cbranch_execz .LBB738_978
; %bb.977:                              ;   in Loop: Header=BB738_20 Depth=1
	ds_read2_b64 v[5:8], v91 offset1:1
	s_waitcnt lgkmcnt(0)
	v_add_u32_e32 v5, v6, v5
	v_add3_u32 v5, v5, v7, v8
.LBB738_978:                            ;   in Loop: Header=BB738_20 Depth=1
	s_or_b64 exec, exec, s[20:21]
	v_and_b32_e32 v6, 15, v133
	v_mov_b32_dpp v7, v5 row_shr:1 row_mask:0xf bank_mask:0xf
	v_cmp_eq_u32_e64 s[20:21], 0, v6
	v_cndmask_b32_e64 v7, v7, 0, s[20:21]
	v_add_u32_e32 v5, v7, v5
	v_cmp_lt_u32_e64 s[22:23], 1, v6
	v_cmp_lt_u32_e64 s[24:25], 3, v6
	v_mov_b32_dpp v7, v5 row_shr:2 row_mask:0xf bank_mask:0xf
	v_cndmask_b32_e64 v7, 0, v7, s[22:23]
	v_add_u32_e32 v5, v5, v7
	v_cmp_lt_u32_e64 s[26:27], 7, v6
	v_cmp_lt_u32_e64 s[30:31], 31, v133
	v_mov_b32_dpp v7, v5 row_shr:4 row_mask:0xf bank_mask:0xf
	v_cndmask_b32_e64 v7, 0, v7, s[24:25]
	v_add_u32_e32 v5, v5, v7
	v_and_b32_e32 v8, 16, v133
	v_cmp_eq_u32_e64 s[28:29], 0, v8
	v_mov_b32_dpp v7, v5 row_shr:8 row_mask:0xf bank_mask:0xf
	v_cndmask_b32_e64 v6, 0, v7, s[26:27]
	v_add_u32_e32 v5, v5, v6
	v_bfe_i32 v7, v133, 4, 1
	s_nop 0
	v_mov_b32_dpp v6, v5 row_bcast:15 row_mask:0xf bank_mask:0xf
	v_and_b32_e32 v6, v7, v6
	v_add_u32_e32 v5, v5, v6
	s_nop 1
	v_mov_b32_dpp v6, v5 row_bcast:31 row_mask:0xf bank_mask:0xf
	v_cndmask_b32_e64 v6, 0, v6, s[30:31]
	v_add_u32_e32 v5, v5, v6
	s_mov_b64 s[34:35], exec
	v_readlane_b32 s6, v232, 1
	v_readlane_b32 s7, v232, 2
	s_and_b64 s[6:7], s[34:35], s[6:7]
	s_mov_b64 exec, s[6:7]
; %bb.979:                              ;   in Loop: Header=BB738_20 Depth=1
	ds_write_b32 v93, v5
; %bb.980:                              ;   in Loop: Header=BB738_20 Depth=1
	s_or_b64 exec, exec, s[34:35]
	s_waitcnt lgkmcnt(0)
	s_barrier
	s_and_saveexec_b64 s[34:35], s[8:9]
	s_cbranch_execz .LBB738_982
; %bb.981:                              ;   in Loop: Header=BB738_20 Depth=1
	ds_read_b32 v6, v94
	v_bfe_i32 v7, v133, 0, 1
	s_waitcnt lgkmcnt(0)
	v_mov_b32_dpp v8, v6 row_shr:1 row_mask:0xf bank_mask:0xf
	v_and_b32_e32 v7, v7, v8
	v_add_u32_e32 v6, v7, v6
	ds_write_b32 v94, v6
.LBB738_982:                            ;   in Loop: Header=BB738_20 Depth=1
	s_or_b64 exec, exec, s[34:35]
	v_mov_b32_e32 v6, 0
	s_waitcnt lgkmcnt(0)
	s_barrier
	s_and_saveexec_b64 s[34:35], s[10:11]
; %bb.983:                              ;   in Loop: Header=BB738_20 Depth=1
	ds_read_b32 v6, v95
; %bb.984:                              ;   in Loop: Header=BB738_20 Depth=1
	s_or_b64 exec, exec, s[34:35]
	v_subrev_co_u32_e64 v7, s[34:35], 1, v133
	v_and_b32_e32 v8, 64, v133
	v_cmp_lt_i32_e32 vcc, v7, v8
	v_cndmask_b32_e32 v7, v7, v133, vcc
	s_waitcnt lgkmcnt(0)
	v_add_u32_e32 v5, v6, v5
	v_lshlrev_b32_e32 v134, 2, v7
	ds_bpermute_b32 v5, v134, v5
	s_waitcnt lgkmcnt(0)
	s_barrier
	s_and_saveexec_b64 s[36:37], s[4:5]
; %bb.985:                              ;   in Loop: Header=BB738_20 Depth=1
	v_cndmask_b32_e64 v5, v5, v6, s[34:35]
	v_add_u32_e32 v5, s73, v5
	ds_write_b32 v71, v5
; %bb.986:                              ;   in Loop: Header=BB738_20 Depth=1
	s_or_b64 exec, exec, s[36:37]
	s_load_dwordx2 s[6:7], s[94:95], 0x0
	v_readlane_b32 s36, v232, 0
	v_and_b32_e32 v39, 3, v133
	v_and_b32_e32 v40, 63, v133
	v_cmp_lt_u32_e64 s[38:39], 1, v39
	s_waitcnt lgkmcnt(0)
	s_cmp_lt_u32 s36, s7
	s_cselect_b32 s7, 14, 20
	s_add_u32 s36, s94, s7
	s_addc_u32 s37, s95, 0
	s_cmp_lt_u32 s72, s6
	s_cselect_b32 s6, 12, 18
	s_add_u32 s6, s94, s6
	global_load_ushort v37, v3, s[36:37]
	s_addc_u32 s7, s95, 0
	global_load_ushort v38, v3, s[6:7]
	v_cmp_eq_u32_e64 s[36:37], 0, v39
	v_lshlrev_b32_e32 v39, 3, v40
	v_add_co_u32_e32 v152, vcc, v113, v39
	v_addc_co_u32_e32 v153, vcc, 0, v114, vcc
	v_or_b32_e32 v151, v40, v96
	v_add_co_u32_e32 v169, vcc, v115, v39
	s_mov_b32 s91, s33
	v_or_b32_e32 v154, 64, v151
	v_or_b32_e32 v155, 0x80, v151
	;; [unrolled: 1-line block ×15, first 2 shown]
	v_addc_co_u32_e32 v170, vcc, 0, v116, vcc
	s_mov_b32 s92, s73
                                        ; implicit-def: $vgpr5_vgpr6
                                        ; implicit-def: $vgpr7_vgpr8
                                        ; implicit-def: $vgpr9_vgpr10
                                        ; implicit-def: $vgpr13_vgpr14
                                        ; implicit-def: $vgpr17_vgpr18
                                        ; implicit-def: $vgpr21_vgpr22
                                        ; implicit-def: $vgpr25_vgpr26
                                        ; implicit-def: $vgpr29_vgpr30
                                        ; implicit-def: $vgpr11_vgpr12
                                        ; implicit-def: $vgpr15_vgpr16
                                        ; implicit-def: $vgpr19_vgpr20
                                        ; implicit-def: $vgpr23_vgpr24
                                        ; implicit-def: $vgpr27_vgpr28
                                        ; implicit-def: $vgpr31_vgpr32
                                        ; implicit-def: $vgpr33_vgpr34
                                        ; implicit-def: $vgpr35_vgpr36
                                        ; implicit-def: $vgpr135
                                        ; implicit-def: $vgpr136
                                        ; implicit-def: $vgpr137
                                        ; implicit-def: $vgpr138
                                        ; implicit-def: $vgpr139
                                        ; implicit-def: $vgpr140
                                        ; implicit-def: $vgpr141
                                        ; implicit-def: $vgpr142
                                        ; implicit-def: $vgpr143
                                        ; implicit-def: $vgpr144
                                        ; implicit-def: $vgpr145
                                        ; implicit-def: $vgpr146
                                        ; implicit-def: $vgpr147
                                        ; implicit-def: $vgpr148
                                        ; implicit-def: $vgpr149
                                        ; implicit-def: $vgpr150
                                        ; implicit-def: $vgpr172
                                        ; implicit-def: $vgpr173
	s_waitcnt vmcnt(1)
	v_mad_u32_u24 v37, v2, v37, v1
	s_waitcnt vmcnt(0)
	v_mad_u64_u32 v[37:38], s[6:7], v37, v38, v[0:1]
	v_lshrrev_b32_e32 v37, 4, v37
	v_and_b32_e32 v171, 0xffffffc, v37
	s_branch .LBB738_988
.LBB738_987:                            ;   in Loop: Header=BB738_988 Depth=2
	s_or_b64 exec, exec, s[40:41]
	s_addk_i32 s91, 0xf000
	s_cmp_lt_u32 s99, s96
	s_mov_b32 s92, s99
	s_cbranch_scc0 .LBB738_18
.LBB738_988:                            ;   Parent Loop BB738_20 Depth=1
                                        ; =>  This Inner Loop Header: Depth=2
	s_add_i32 s99, s92, 0x1000
	s_cmp_gt_u32 s99, s96
	s_cbranch_scc1 .LBB738_990
; %bb.989:                              ;   in Loop: Header=BB738_988 Depth=2
	s_lshl_b64 s[6:7], s[92:93], 3
	v_mov_b32_e32 v38, s7
	v_add_co_u32_e32 v37, vcc, s6, v169
	v_addc_co_u32_e32 v38, vcc, v170, v38, vcc
	global_load_dwordx2 v[39:40], v[37:38], off
	global_load_dwordx2 v[41:42], v[37:38], off offset:512
	global_load_dwordx2 v[45:46], v[37:38], off offset:1024
	;; [unrolled: 1-line block ×7, first 2 shown]
	v_add_co_u32_e32 v37, vcc, 0x1000, v37
	v_addc_co_u32_e32 v38, vcc, 0, v38, vcc
	global_load_dwordx2 v[65:66], v[37:38], off
	global_load_dwordx2 v[63:64], v[37:38], off offset:512
	global_load_dwordx2 v[59:60], v[37:38], off offset:1024
	;; [unrolled: 1-line block ×6, first 2 shown]
	s_mov_b64 s[40:41], -1
	s_movk_i32 s6, 0x1000
	s_cbranch_execz .LBB738_991
	s_branch .LBB738_1022
.LBB738_990:                            ;   in Loop: Header=BB738_988 Depth=2
	s_mov_b64 s[40:41], 0
                                        ; implicit-def: $vgpr39_vgpr40
                                        ; implicit-def: $vgpr41_vgpr42
                                        ; implicit-def: $vgpr45_vgpr46
                                        ; implicit-def: $vgpr49_vgpr50
                                        ; implicit-def: $vgpr53_vgpr54
                                        ; implicit-def: $vgpr57_vgpr58
                                        ; implicit-def: $vgpr61_vgpr62
                                        ; implicit-def: $vgpr67_vgpr68
                                        ; implicit-def: $vgpr65_vgpr66
                                        ; implicit-def: $vgpr63_vgpr64
                                        ; implicit-def: $vgpr59_vgpr60
                                        ; implicit-def: $vgpr55_vgpr56
                                        ; implicit-def: $vgpr51_vgpr52
                                        ; implicit-def: $vgpr47_vgpr48
                                        ; implicit-def: $vgpr43_vgpr44
	s_movk_i32 s6, 0x1000
.LBB738_991:                            ;   in Loop: Header=BB738_988 Depth=2
	s_lshl_b64 s[6:7], s[92:93], 3
	v_mov_b32_e32 v38, s7
	v_add_co_u32_e32 v37, vcc, s6, v169
	s_waitcnt vmcnt(13)
	v_mov_b32_e32 v41, v3
	v_addc_co_u32_e32 v38, vcc, v170, v38, vcc
	v_mov_b32_e32 v42, v4
	v_mov_b32_e32 v39, v41
	v_cmp_gt_u32_e32 vcc, s91, v151
	v_mov_b32_e32 v40, v42
	s_and_saveexec_b64 s[40:41], vcc
	s_cbranch_execz .LBB738_993
; %bb.992:                              ;   in Loop: Header=BB738_988 Depth=2
	global_load_dwordx2 v[39:40], v[37:38], off
.LBB738_993:                            ;   in Loop: Header=BB738_988 Depth=2
	s_or_b64 exec, exec, s[40:41]
	v_cmp_gt_u32_e32 vcc, s91, v154
	s_and_saveexec_b64 s[40:41], vcc
	s_cbranch_execz .LBB738_995
; %bb.994:                              ;   in Loop: Header=BB738_988 Depth=2
	global_load_dwordx2 v[41:42], v[37:38], off offset:512
.LBB738_995:                            ;   in Loop: Header=BB738_988 Depth=2
	s_or_b64 exec, exec, s[40:41]
	s_waitcnt vmcnt(12)
	v_mov_b32_e32 v46, v4
	v_cmp_gt_u32_e32 vcc, s91, v155
	v_mov_b32_e32 v45, v3
	s_and_saveexec_b64 s[40:41], vcc
	s_cbranch_execz .LBB738_997
; %bb.996:                              ;   in Loop: Header=BB738_988 Depth=2
	global_load_dwordx2 v[45:46], v[37:38], off offset:1024
.LBB738_997:                            ;   in Loop: Header=BB738_988 Depth=2
	s_or_b64 exec, exec, s[40:41]
	s_waitcnt vmcnt(11)
	v_mov_b32_e32 v50, v4
	v_cmp_gt_u32_e32 vcc, s91, v156
	v_mov_b32_e32 v49, v3
	;; [unrolled: 10-line block ×3, first 2 shown]
	s_and_saveexec_b64 s[40:41], vcc
	s_cbranch_execz .LBB738_1001
; %bb.1000:                             ;   in Loop: Header=BB738_988 Depth=2
	global_load_dwordx2 v[53:54], v[37:38], off offset:2048
.LBB738_1001:                           ;   in Loop: Header=BB738_988 Depth=2
	s_or_b64 exec, exec, s[40:41]
	s_waitcnt vmcnt(9)
	v_mov_b32_e32 v58, v4
	v_cmp_gt_u32_e32 vcc, s91, v158
	v_mov_b32_e32 v57, v3
	s_and_saveexec_b64 s[40:41], vcc
	s_cbranch_execz .LBB738_1003
; %bb.1002:                             ;   in Loop: Header=BB738_988 Depth=2
	global_load_dwordx2 v[57:58], v[37:38], off offset:2560
.LBB738_1003:                           ;   in Loop: Header=BB738_988 Depth=2
	s_or_b64 exec, exec, s[40:41]
	s_waitcnt vmcnt(8)
	v_mov_b32_e32 v62, v4
	v_cmp_gt_u32_e32 vcc, s91, v159
	v_mov_b32_e32 v61, v3
	;; [unrolled: 10-line block ×4, first 2 shown]
	s_and_saveexec_b64 s[40:41], vcc
	s_cbranch_execz .LBB738_1009
; %bb.1008:                             ;   in Loop: Header=BB738_988 Depth=2
	s_waitcnt vmcnt(0)
	v_add_co_u32_e32 v43, vcc, 0x1000, v37
	v_addc_co_u32_e32 v44, vcc, 0, v38, vcc
	global_load_dwordx2 v[65:66], v[43:44], off
.LBB738_1009:                           ;   in Loop: Header=BB738_988 Depth=2
	s_or_b64 exec, exec, s[40:41]
	s_waitcnt vmcnt(5)
	v_mov_b32_e32 v64, v4
	v_cmp_gt_u32_e32 vcc, s91, v162
	v_mov_b32_e32 v63, v3
	s_and_saveexec_b64 s[40:41], vcc
	s_cbranch_execz .LBB738_1011
; %bb.1010:                             ;   in Loop: Header=BB738_988 Depth=2
	s_waitcnt vmcnt(0)
	v_add_co_u32_e32 v43, vcc, 0x1000, v37
	v_addc_co_u32_e32 v44, vcc, 0, v38, vcc
	global_load_dwordx2 v[63:64], v[43:44], off offset:512
.LBB738_1011:                           ;   in Loop: Header=BB738_988 Depth=2
	s_or_b64 exec, exec, s[40:41]
	s_waitcnt vmcnt(4)
	v_mov_b32_e32 v60, v4
	v_cmp_gt_u32_e32 vcc, s91, v163
	v_mov_b32_e32 v59, v3
	s_and_saveexec_b64 s[40:41], vcc
	s_cbranch_execz .LBB738_1013
; %bb.1012:                             ;   in Loop: Header=BB738_988 Depth=2
	s_waitcnt vmcnt(0)
	v_add_co_u32_e32 v43, vcc, 0x1000, v37
	v_addc_co_u32_e32 v44, vcc, 0, v38, vcc
	global_load_dwordx2 v[59:60], v[43:44], off offset:1024
.LBB738_1013:                           ;   in Loop: Header=BB738_988 Depth=2
	;; [unrolled: 13-line block ×5, first 2 shown]
	s_or_b64 exec, exec, s[40:41]
	s_waitcnt vmcnt(0)
	v_mov_b32_e32 v44, v4
	v_cmp_gt_u32_e32 vcc, s91, v167
	v_mov_b32_e32 v43, v3
	s_and_saveexec_b64 s[40:41], vcc
	s_cbranch_execz .LBB738_1021
; %bb.1020:                             ;   in Loop: Header=BB738_988 Depth=2
	v_add_co_u32_e32 v37, vcc, 0x1000, v37
	v_addc_co_u32_e32 v38, vcc, 0, v38, vcc
	global_load_dwordx2 v[43:44], v[37:38], off offset:3072
.LBB738_1021:                           ;   in Loop: Header=BB738_988 Depth=2
	s_or_b64 exec, exec, s[40:41]
	s_sub_i32 s6, s96, s92
	v_cmp_gt_u32_e64 s[40:41], s91, v168
.LBB738_1022:                           ;   in Loop: Header=BB738_988 Depth=2
	v_mov_b32_e32 v37, -1
	v_mov_b32_e32 v38, -1
	v_mov_b32_e32 v174, s91
	s_and_saveexec_b64 s[42:43], s[40:41]
	s_cbranch_execz .LBB738_1024
; %bb.1023:                             ;   in Loop: Header=BB738_988 Depth=2
	s_lshl_b64 s[40:41], s[92:93], 3
	v_mov_b32_e32 v37, s41
	v_add_co_u32_e32 v38, vcc, s40, v169
	v_addc_co_u32_e32 v69, vcc, v170, v37, vcc
	v_add_co_u32_e32 v37, vcc, 0x1000, v38
	v_addc_co_u32_e32 v38, vcc, 0, v69, vcc
	global_load_dwordx2 v[37:38], v[37:38], off offset:3584
	v_mov_b32_e32 v174, s6
	s_waitcnt vmcnt(0)
	v_xor_b32_e32 v38, 0x7fffffff, v38
	v_not_b32_e32 v37, v37
.LBB738_1024:                           ;   in Loop: Header=BB738_988 Depth=2
	s_or_b64 exec, exec, s[42:43]
	s_waitcnt vmcnt(14)
	v_xor_b32_e32 v40, 0x7fffffff, v40
	v_not_b32_e32 v39, v39
	v_lshrrev_b64 v[69:70], s88, v[39:40]
	ds_write2_b32 v90, v3, v3 offset0:132 offset1:133
	ds_write_b32 v90, v3 offset:536
	v_and_b32_e32 v175, s98, v69
	v_and_b32_e32 v69, 1, v175
	v_add_co_u32_e32 v70, vcc, -1, v69
	v_addc_co_u32_e64 v177, s[6:7], 0, -1, vcc
	v_cmp_ne_u32_e32 vcc, 0, v69
	v_xor_b32_e32 v69, vcc_hi, v177
	v_xor_b32_e32 v70, vcc_lo, v70
	v_and_b32_e32 v177, exec_hi, v69
	v_and_b32_e32 v178, exec_lo, v70
	v_lshlrev_b32_e32 v70, 30, v175
	v_mov_b32_e32 v69, v3
	v_cmp_gt_i64_e32 vcc, 0, v[69:70]
	v_not_b32_e32 v69, v70
	v_ashrrev_i32_e32 v69, 31, v69
	v_xor_b32_e32 v70, vcc_hi, v69
	v_xor_b32_e32 v69, vcc_lo, v69
	v_and_b32_e32 v177, v177, v70
	v_and_b32_e32 v178, v178, v69
	v_lshlrev_b32_e32 v70, 29, v175
	v_mov_b32_e32 v69, v3
	v_cmp_gt_i64_e32 vcc, 0, v[69:70]
	v_not_b32_e32 v69, v70
	v_ashrrev_i32_e32 v69, 31, v69
	v_xor_b32_e32 v70, vcc_hi, v69
	v_xor_b32_e32 v69, vcc_lo, v69
	v_and_b32_e32 v177, v177, v70
	v_and_b32_e32 v178, v178, v69
	;; [unrolled: 9-line block ×5, first 2 shown]
	v_lshlrev_b32_e32 v70, 25, v175
	v_mov_b32_e32 v69, v3
	v_cmp_gt_i64_e32 vcc, 0, v[69:70]
	v_not_b32_e32 v69, v70
	v_ashrrev_i32_e32 v69, 31, v69
	v_xor_b32_e32 v70, vcc_hi, v69
	v_xor_b32_e32 v69, vcc_lo, v69
	v_and_b32_e32 v69, v178, v69
	v_mul_u32_u24_e32 v176, 20, v175
	v_and_b32_e32 v70, v177, v70
	v_mbcnt_lo_u32_b32 v175, v69, 0
	v_mbcnt_hi_u32_b32 v175, v70, v175
	v_cmp_ne_u64_e32 vcc, 0, v[69:70]
	v_cmp_eq_u32_e64 s[40:41], 0, v175
	s_and_b64 s[6:7], vcc, s[40:41]
	v_add_u32_e32 v177, v171, v176
	s_waitcnt vmcnt(0) lgkmcnt(0)
	s_barrier
	; wave barrier
	s_and_saveexec_b64 s[40:41], s[6:7]
; %bb.1025:                             ;   in Loop: Header=BB738_988 Depth=2
	v_bcnt_u32_b32 v69, v69, 0
	v_bcnt_u32_b32 v69, v70, v69
	ds_write_b32 v177, v69 offset:528
; %bb.1026:                             ;   in Loop: Header=BB738_988 Depth=2
	s_or_b64 exec, exec, s[40:41]
	v_xor_b32_e32 v42, 0x7fffffff, v42
	v_not_b32_e32 v41, v41
	v_lshrrev_b64 v[69:70], s88, v[41:42]
	v_and_b32_e32 v178, s98, v69
	v_mad_u32_u24 v69, v178, 20, v171
	; wave barrier
	ds_read_b32 v176, v69 offset:528
	v_and_b32_e32 v69, 1, v178
	v_add_co_u32_e32 v70, vcc, -1, v69
	v_addc_co_u32_e64 v180, s[6:7], 0, -1, vcc
	v_cmp_ne_u32_e32 vcc, 0, v69
	v_xor_b32_e32 v69, vcc_hi, v180
	v_xor_b32_e32 v70, vcc_lo, v70
	v_and_b32_e32 v180, exec_hi, v69
	v_and_b32_e32 v181, exec_lo, v70
	v_lshlrev_b32_e32 v70, 30, v178
	v_mov_b32_e32 v69, v3
	v_cmp_gt_i64_e32 vcc, 0, v[69:70]
	v_not_b32_e32 v69, v70
	v_ashrrev_i32_e32 v69, 31, v69
	v_xor_b32_e32 v70, vcc_hi, v69
	v_xor_b32_e32 v69, vcc_lo, v69
	v_and_b32_e32 v180, v180, v70
	v_and_b32_e32 v181, v181, v69
	v_lshlrev_b32_e32 v70, 29, v178
	v_mov_b32_e32 v69, v3
	v_cmp_gt_i64_e32 vcc, 0, v[69:70]
	v_not_b32_e32 v69, v70
	v_ashrrev_i32_e32 v69, 31, v69
	v_xor_b32_e32 v70, vcc_hi, v69
	v_xor_b32_e32 v69, vcc_lo, v69
	v_and_b32_e32 v180, v180, v70
	v_and_b32_e32 v181, v181, v69
	;; [unrolled: 9-line block ×5, first 2 shown]
	v_lshlrev_b32_e32 v70, 25, v178
	v_mov_b32_e32 v69, v3
	v_cmp_gt_i64_e32 vcc, 0, v[69:70]
	v_not_b32_e32 v69, v70
	v_ashrrev_i32_e32 v69, 31, v69
	v_xor_b32_e32 v70, vcc_hi, v69
	v_xor_b32_e32 v69, vcc_lo, v69
	v_and_b32_e32 v69, v181, v69
	v_mul_u32_u24_e32 v179, 20, v178
	v_and_b32_e32 v70, v180, v70
	v_mbcnt_lo_u32_b32 v178, v69, 0
	v_mbcnt_hi_u32_b32 v178, v70, v178
	v_cmp_ne_u64_e32 vcc, 0, v[69:70]
	v_cmp_eq_u32_e64 s[40:41], 0, v178
	s_and_b64 s[6:7], vcc, s[40:41]
	v_add_u32_e32 v180, v171, v179
	; wave barrier
	s_and_saveexec_b64 s[40:41], s[6:7]
	s_cbranch_execz .LBB738_1028
; %bb.1027:                             ;   in Loop: Header=BB738_988 Depth=2
	v_bcnt_u32_b32 v69, v69, 0
	v_bcnt_u32_b32 v69, v70, v69
	s_waitcnt lgkmcnt(0)
	v_add_u32_e32 v69, v176, v69
	ds_write_b32 v180, v69 offset:528
.LBB738_1028:                           ;   in Loop: Header=BB738_988 Depth=2
	s_or_b64 exec, exec, s[40:41]
	v_xor_b32_e32 v46, 0x7fffffff, v46
	v_not_b32_e32 v45, v45
	v_lshrrev_b64 v[69:70], s88, v[45:46]
	v_and_b32_e32 v181, s98, v69
	v_mad_u32_u24 v69, v181, 20, v171
	; wave barrier
	ds_read_b32 v179, v69 offset:528
	v_and_b32_e32 v69, 1, v181
	v_add_co_u32_e32 v70, vcc, -1, v69
	v_addc_co_u32_e64 v183, s[6:7], 0, -1, vcc
	v_cmp_ne_u32_e32 vcc, 0, v69
	v_xor_b32_e32 v69, vcc_hi, v183
	v_xor_b32_e32 v70, vcc_lo, v70
	v_and_b32_e32 v183, exec_hi, v69
	v_and_b32_e32 v184, exec_lo, v70
	v_lshlrev_b32_e32 v70, 30, v181
	v_mov_b32_e32 v69, v3
	v_cmp_gt_i64_e32 vcc, 0, v[69:70]
	v_not_b32_e32 v69, v70
	v_ashrrev_i32_e32 v69, 31, v69
	v_xor_b32_e32 v70, vcc_hi, v69
	v_xor_b32_e32 v69, vcc_lo, v69
	v_and_b32_e32 v183, v183, v70
	v_and_b32_e32 v184, v184, v69
	v_lshlrev_b32_e32 v70, 29, v181
	v_mov_b32_e32 v69, v3
	v_cmp_gt_i64_e32 vcc, 0, v[69:70]
	v_not_b32_e32 v69, v70
	v_ashrrev_i32_e32 v69, 31, v69
	v_xor_b32_e32 v70, vcc_hi, v69
	v_xor_b32_e32 v69, vcc_lo, v69
	v_and_b32_e32 v183, v183, v70
	v_and_b32_e32 v184, v184, v69
	;; [unrolled: 9-line block ×5, first 2 shown]
	v_lshlrev_b32_e32 v70, 25, v181
	v_mov_b32_e32 v69, v3
	v_cmp_gt_i64_e32 vcc, 0, v[69:70]
	v_not_b32_e32 v69, v70
	v_ashrrev_i32_e32 v69, 31, v69
	v_xor_b32_e32 v70, vcc_hi, v69
	v_xor_b32_e32 v69, vcc_lo, v69
	v_and_b32_e32 v69, v184, v69
	v_mul_u32_u24_e32 v182, 20, v181
	v_and_b32_e32 v70, v183, v70
	v_mbcnt_lo_u32_b32 v181, v69, 0
	v_mbcnt_hi_u32_b32 v181, v70, v181
	v_cmp_ne_u64_e32 vcc, 0, v[69:70]
	v_cmp_eq_u32_e64 s[40:41], 0, v181
	s_and_b64 s[6:7], vcc, s[40:41]
	v_add_u32_e32 v183, v171, v182
	; wave barrier
	s_and_saveexec_b64 s[40:41], s[6:7]
	s_cbranch_execz .LBB738_1030
; %bb.1029:                             ;   in Loop: Header=BB738_988 Depth=2
	v_bcnt_u32_b32 v69, v69, 0
	v_bcnt_u32_b32 v69, v70, v69
	s_waitcnt lgkmcnt(0)
	v_add_u32_e32 v69, v179, v69
	ds_write_b32 v183, v69 offset:528
.LBB738_1030:                           ;   in Loop: Header=BB738_988 Depth=2
	s_or_b64 exec, exec, s[40:41]
	v_xor_b32_e32 v50, 0x7fffffff, v50
	v_not_b32_e32 v49, v49
	v_lshrrev_b64 v[69:70], s88, v[49:50]
	v_and_b32_e32 v184, s98, v69
	v_mad_u32_u24 v69, v184, 20, v171
	; wave barrier
	ds_read_b32 v182, v69 offset:528
	v_and_b32_e32 v69, 1, v184
	v_add_co_u32_e32 v70, vcc, -1, v69
	v_addc_co_u32_e64 v186, s[6:7], 0, -1, vcc
	v_cmp_ne_u32_e32 vcc, 0, v69
	v_xor_b32_e32 v69, vcc_hi, v186
	v_xor_b32_e32 v70, vcc_lo, v70
	v_and_b32_e32 v186, exec_hi, v69
	v_and_b32_e32 v187, exec_lo, v70
	v_lshlrev_b32_e32 v70, 30, v184
	v_mov_b32_e32 v69, v3
	v_cmp_gt_i64_e32 vcc, 0, v[69:70]
	v_not_b32_e32 v69, v70
	v_ashrrev_i32_e32 v69, 31, v69
	v_xor_b32_e32 v70, vcc_hi, v69
	v_xor_b32_e32 v69, vcc_lo, v69
	v_and_b32_e32 v186, v186, v70
	v_and_b32_e32 v187, v187, v69
	v_lshlrev_b32_e32 v70, 29, v184
	v_mov_b32_e32 v69, v3
	v_cmp_gt_i64_e32 vcc, 0, v[69:70]
	v_not_b32_e32 v69, v70
	v_ashrrev_i32_e32 v69, 31, v69
	v_xor_b32_e32 v70, vcc_hi, v69
	v_xor_b32_e32 v69, vcc_lo, v69
	v_and_b32_e32 v186, v186, v70
	v_and_b32_e32 v187, v187, v69
	;; [unrolled: 9-line block ×5, first 2 shown]
	v_lshlrev_b32_e32 v70, 25, v184
	v_mov_b32_e32 v69, v3
	v_cmp_gt_i64_e32 vcc, 0, v[69:70]
	v_not_b32_e32 v69, v70
	v_ashrrev_i32_e32 v69, 31, v69
	v_xor_b32_e32 v70, vcc_hi, v69
	v_xor_b32_e32 v69, vcc_lo, v69
	v_and_b32_e32 v69, v187, v69
	v_mul_u32_u24_e32 v185, 20, v184
	v_and_b32_e32 v70, v186, v70
	v_mbcnt_lo_u32_b32 v184, v69, 0
	v_mbcnt_hi_u32_b32 v184, v70, v184
	v_cmp_ne_u64_e32 vcc, 0, v[69:70]
	v_cmp_eq_u32_e64 s[40:41], 0, v184
	s_and_b64 s[6:7], vcc, s[40:41]
	v_add_u32_e32 v186, v171, v185
	; wave barrier
	s_and_saveexec_b64 s[40:41], s[6:7]
	s_cbranch_execz .LBB738_1032
; %bb.1031:                             ;   in Loop: Header=BB738_988 Depth=2
	v_bcnt_u32_b32 v69, v69, 0
	v_bcnt_u32_b32 v69, v70, v69
	s_waitcnt lgkmcnt(0)
	v_add_u32_e32 v69, v182, v69
	ds_write_b32 v186, v69 offset:528
.LBB738_1032:                           ;   in Loop: Header=BB738_988 Depth=2
	s_or_b64 exec, exec, s[40:41]
	v_xor_b32_e32 v54, 0x7fffffff, v54
	v_not_b32_e32 v53, v53
	v_lshrrev_b64 v[69:70], s88, v[53:54]
	v_and_b32_e32 v187, s98, v69
	v_mad_u32_u24 v69, v187, 20, v171
	; wave barrier
	ds_read_b32 v185, v69 offset:528
	v_and_b32_e32 v69, 1, v187
	v_add_co_u32_e32 v70, vcc, -1, v69
	v_addc_co_u32_e64 v189, s[6:7], 0, -1, vcc
	v_cmp_ne_u32_e32 vcc, 0, v69
	v_xor_b32_e32 v69, vcc_hi, v189
	v_xor_b32_e32 v70, vcc_lo, v70
	v_and_b32_e32 v189, exec_hi, v69
	v_and_b32_e32 v190, exec_lo, v70
	v_lshlrev_b32_e32 v70, 30, v187
	v_mov_b32_e32 v69, v3
	v_cmp_gt_i64_e32 vcc, 0, v[69:70]
	v_not_b32_e32 v69, v70
	v_ashrrev_i32_e32 v69, 31, v69
	v_xor_b32_e32 v70, vcc_hi, v69
	v_xor_b32_e32 v69, vcc_lo, v69
	v_and_b32_e32 v189, v189, v70
	v_and_b32_e32 v190, v190, v69
	v_lshlrev_b32_e32 v70, 29, v187
	v_mov_b32_e32 v69, v3
	v_cmp_gt_i64_e32 vcc, 0, v[69:70]
	v_not_b32_e32 v69, v70
	v_ashrrev_i32_e32 v69, 31, v69
	v_xor_b32_e32 v70, vcc_hi, v69
	v_xor_b32_e32 v69, vcc_lo, v69
	v_and_b32_e32 v189, v189, v70
	v_and_b32_e32 v190, v190, v69
	;; [unrolled: 9-line block ×5, first 2 shown]
	v_lshlrev_b32_e32 v70, 25, v187
	v_mov_b32_e32 v69, v3
	v_cmp_gt_i64_e32 vcc, 0, v[69:70]
	v_not_b32_e32 v69, v70
	v_ashrrev_i32_e32 v69, 31, v69
	v_xor_b32_e32 v70, vcc_hi, v69
	v_xor_b32_e32 v69, vcc_lo, v69
	v_and_b32_e32 v69, v190, v69
	v_mul_u32_u24_e32 v188, 20, v187
	v_and_b32_e32 v70, v189, v70
	v_mbcnt_lo_u32_b32 v187, v69, 0
	v_mbcnt_hi_u32_b32 v187, v70, v187
	v_cmp_ne_u64_e32 vcc, 0, v[69:70]
	v_cmp_eq_u32_e64 s[40:41], 0, v187
	s_and_b64 s[6:7], vcc, s[40:41]
	v_add_u32_e32 v189, v171, v188
	; wave barrier
	s_and_saveexec_b64 s[40:41], s[6:7]
	s_cbranch_execz .LBB738_1034
; %bb.1033:                             ;   in Loop: Header=BB738_988 Depth=2
	v_bcnt_u32_b32 v69, v69, 0
	v_bcnt_u32_b32 v69, v70, v69
	s_waitcnt lgkmcnt(0)
	v_add_u32_e32 v69, v185, v69
	ds_write_b32 v189, v69 offset:528
.LBB738_1034:                           ;   in Loop: Header=BB738_988 Depth=2
	s_or_b64 exec, exec, s[40:41]
	v_xor_b32_e32 v58, 0x7fffffff, v58
	v_not_b32_e32 v57, v57
	v_lshrrev_b64 v[69:70], s88, v[57:58]
	v_and_b32_e32 v190, s98, v69
	v_mad_u32_u24 v69, v190, 20, v171
	; wave barrier
	ds_read_b32 v188, v69 offset:528
	v_and_b32_e32 v69, 1, v190
	v_add_co_u32_e32 v70, vcc, -1, v69
	v_addc_co_u32_e64 v192, s[6:7], 0, -1, vcc
	v_cmp_ne_u32_e32 vcc, 0, v69
	v_xor_b32_e32 v69, vcc_hi, v192
	v_xor_b32_e32 v70, vcc_lo, v70
	v_and_b32_e32 v192, exec_hi, v69
	v_and_b32_e32 v193, exec_lo, v70
	v_lshlrev_b32_e32 v70, 30, v190
	v_mov_b32_e32 v69, v3
	v_cmp_gt_i64_e32 vcc, 0, v[69:70]
	v_not_b32_e32 v69, v70
	v_ashrrev_i32_e32 v69, 31, v69
	v_xor_b32_e32 v70, vcc_hi, v69
	v_xor_b32_e32 v69, vcc_lo, v69
	v_and_b32_e32 v192, v192, v70
	v_and_b32_e32 v193, v193, v69
	v_lshlrev_b32_e32 v70, 29, v190
	v_mov_b32_e32 v69, v3
	v_cmp_gt_i64_e32 vcc, 0, v[69:70]
	v_not_b32_e32 v69, v70
	v_ashrrev_i32_e32 v69, 31, v69
	v_xor_b32_e32 v70, vcc_hi, v69
	v_xor_b32_e32 v69, vcc_lo, v69
	v_and_b32_e32 v192, v192, v70
	v_and_b32_e32 v193, v193, v69
	v_lshlrev_b32_e32 v70, 28, v190
	v_mov_b32_e32 v69, v3
	v_cmp_gt_i64_e32 vcc, 0, v[69:70]
	v_not_b32_e32 v69, v70
	v_ashrrev_i32_e32 v69, 31, v69
	v_xor_b32_e32 v70, vcc_hi, v69
	v_xor_b32_e32 v69, vcc_lo, v69
	v_and_b32_e32 v192, v192, v70
	v_and_b32_e32 v193, v193, v69
	v_lshlrev_b32_e32 v70, 27, v190
	v_mov_b32_e32 v69, v3
	v_cmp_gt_i64_e32 vcc, 0, v[69:70]
	v_not_b32_e32 v69, v70
	v_ashrrev_i32_e32 v69, 31, v69
	v_xor_b32_e32 v70, vcc_hi, v69
	v_xor_b32_e32 v69, vcc_lo, v69
	v_and_b32_e32 v192, v192, v70
	v_and_b32_e32 v193, v193, v69
	v_lshlrev_b32_e32 v70, 26, v190
	v_mov_b32_e32 v69, v3
	v_cmp_gt_i64_e32 vcc, 0, v[69:70]
	v_not_b32_e32 v69, v70
	v_ashrrev_i32_e32 v69, 31, v69
	v_xor_b32_e32 v70, vcc_hi, v69
	v_xor_b32_e32 v69, vcc_lo, v69
	v_and_b32_e32 v192, v192, v70
	v_and_b32_e32 v193, v193, v69
	v_lshlrev_b32_e32 v70, 25, v190
	v_mov_b32_e32 v69, v3
	v_cmp_gt_i64_e32 vcc, 0, v[69:70]
	v_not_b32_e32 v69, v70
	v_ashrrev_i32_e32 v69, 31, v69
	v_xor_b32_e32 v70, vcc_hi, v69
	v_xor_b32_e32 v69, vcc_lo, v69
	v_and_b32_e32 v69, v193, v69
	v_mul_u32_u24_e32 v191, 20, v190
	v_and_b32_e32 v70, v192, v70
	v_mbcnt_lo_u32_b32 v190, v69, 0
	v_mbcnt_hi_u32_b32 v190, v70, v190
	v_cmp_ne_u64_e32 vcc, 0, v[69:70]
	v_cmp_eq_u32_e64 s[40:41], 0, v190
	s_and_b64 s[6:7], vcc, s[40:41]
	v_add_u32_e32 v192, v171, v191
	; wave barrier
	s_and_saveexec_b64 s[40:41], s[6:7]
	s_cbranch_execz .LBB738_1036
; %bb.1035:                             ;   in Loop: Header=BB738_988 Depth=2
	v_bcnt_u32_b32 v69, v69, 0
	v_bcnt_u32_b32 v69, v70, v69
	s_waitcnt lgkmcnt(0)
	v_add_u32_e32 v69, v188, v69
	ds_write_b32 v192, v69 offset:528
.LBB738_1036:                           ;   in Loop: Header=BB738_988 Depth=2
	s_or_b64 exec, exec, s[40:41]
	v_xor_b32_e32 v62, 0x7fffffff, v62
	v_not_b32_e32 v61, v61
	v_lshrrev_b64 v[69:70], s88, v[61:62]
	v_and_b32_e32 v193, s98, v69
	v_mad_u32_u24 v69, v193, 20, v171
	; wave barrier
	ds_read_b32 v191, v69 offset:528
	v_and_b32_e32 v69, 1, v193
	v_add_co_u32_e32 v70, vcc, -1, v69
	v_addc_co_u32_e64 v195, s[6:7], 0, -1, vcc
	v_cmp_ne_u32_e32 vcc, 0, v69
	v_xor_b32_e32 v69, vcc_hi, v195
	v_xor_b32_e32 v70, vcc_lo, v70
	v_and_b32_e32 v195, exec_hi, v69
	v_and_b32_e32 v196, exec_lo, v70
	v_lshlrev_b32_e32 v70, 30, v193
	v_mov_b32_e32 v69, v3
	v_cmp_gt_i64_e32 vcc, 0, v[69:70]
	v_not_b32_e32 v69, v70
	v_ashrrev_i32_e32 v69, 31, v69
	v_xor_b32_e32 v70, vcc_hi, v69
	v_xor_b32_e32 v69, vcc_lo, v69
	v_and_b32_e32 v195, v195, v70
	v_and_b32_e32 v196, v196, v69
	v_lshlrev_b32_e32 v70, 29, v193
	v_mov_b32_e32 v69, v3
	v_cmp_gt_i64_e32 vcc, 0, v[69:70]
	v_not_b32_e32 v69, v70
	v_ashrrev_i32_e32 v69, 31, v69
	v_xor_b32_e32 v70, vcc_hi, v69
	v_xor_b32_e32 v69, vcc_lo, v69
	v_and_b32_e32 v195, v195, v70
	v_and_b32_e32 v196, v196, v69
	v_lshlrev_b32_e32 v70, 28, v193
	v_mov_b32_e32 v69, v3
	v_cmp_gt_i64_e32 vcc, 0, v[69:70]
	v_not_b32_e32 v69, v70
	v_ashrrev_i32_e32 v69, 31, v69
	v_xor_b32_e32 v70, vcc_hi, v69
	v_xor_b32_e32 v69, vcc_lo, v69
	v_and_b32_e32 v195, v195, v70
	v_and_b32_e32 v196, v196, v69
	v_lshlrev_b32_e32 v70, 27, v193
	v_mov_b32_e32 v69, v3
	v_cmp_gt_i64_e32 vcc, 0, v[69:70]
	v_not_b32_e32 v69, v70
	v_ashrrev_i32_e32 v69, 31, v69
	v_xor_b32_e32 v70, vcc_hi, v69
	v_xor_b32_e32 v69, vcc_lo, v69
	v_and_b32_e32 v195, v195, v70
	v_and_b32_e32 v196, v196, v69
	v_lshlrev_b32_e32 v70, 26, v193
	v_mov_b32_e32 v69, v3
	v_cmp_gt_i64_e32 vcc, 0, v[69:70]
	v_not_b32_e32 v69, v70
	v_ashrrev_i32_e32 v69, 31, v69
	v_xor_b32_e32 v70, vcc_hi, v69
	v_xor_b32_e32 v69, vcc_lo, v69
	v_and_b32_e32 v195, v195, v70
	v_and_b32_e32 v196, v196, v69
	v_lshlrev_b32_e32 v70, 25, v193
	v_mov_b32_e32 v69, v3
	v_cmp_gt_i64_e32 vcc, 0, v[69:70]
	v_not_b32_e32 v69, v70
	v_ashrrev_i32_e32 v69, 31, v69
	v_xor_b32_e32 v70, vcc_hi, v69
	v_xor_b32_e32 v69, vcc_lo, v69
	v_and_b32_e32 v69, v196, v69
	v_mul_u32_u24_e32 v194, 20, v193
	v_and_b32_e32 v70, v195, v70
	v_mbcnt_lo_u32_b32 v193, v69, 0
	v_mbcnt_hi_u32_b32 v193, v70, v193
	v_cmp_ne_u64_e32 vcc, 0, v[69:70]
	v_cmp_eq_u32_e64 s[40:41], 0, v193
	s_and_b64 s[6:7], vcc, s[40:41]
	v_add_u32_e32 v195, v171, v194
	; wave barrier
	s_and_saveexec_b64 s[40:41], s[6:7]
	s_cbranch_execz .LBB738_1038
; %bb.1037:                             ;   in Loop: Header=BB738_988 Depth=2
	v_bcnt_u32_b32 v69, v69, 0
	v_bcnt_u32_b32 v69, v70, v69
	s_waitcnt lgkmcnt(0)
	v_add_u32_e32 v69, v191, v69
	ds_write_b32 v195, v69 offset:528
.LBB738_1038:                           ;   in Loop: Header=BB738_988 Depth=2
	s_or_b64 exec, exec, s[40:41]
	v_xor_b32_e32 v68, 0x7fffffff, v68
	v_not_b32_e32 v67, v67
	v_lshrrev_b64 v[69:70], s88, v[67:68]
	v_and_b32_e32 v196, s98, v69
	v_mad_u32_u24 v69, v196, 20, v171
	; wave barrier
	ds_read_b32 v194, v69 offset:528
	v_and_b32_e32 v69, 1, v196
	v_add_co_u32_e32 v70, vcc, -1, v69
	v_addc_co_u32_e64 v198, s[6:7], 0, -1, vcc
	v_cmp_ne_u32_e32 vcc, 0, v69
	v_xor_b32_e32 v69, vcc_hi, v198
	v_xor_b32_e32 v70, vcc_lo, v70
	v_and_b32_e32 v198, exec_hi, v69
	v_and_b32_e32 v199, exec_lo, v70
	v_lshlrev_b32_e32 v70, 30, v196
	v_mov_b32_e32 v69, v3
	v_cmp_gt_i64_e32 vcc, 0, v[69:70]
	v_not_b32_e32 v69, v70
	v_ashrrev_i32_e32 v69, 31, v69
	v_xor_b32_e32 v70, vcc_hi, v69
	v_xor_b32_e32 v69, vcc_lo, v69
	v_and_b32_e32 v198, v198, v70
	v_and_b32_e32 v199, v199, v69
	v_lshlrev_b32_e32 v70, 29, v196
	v_mov_b32_e32 v69, v3
	v_cmp_gt_i64_e32 vcc, 0, v[69:70]
	v_not_b32_e32 v69, v70
	v_ashrrev_i32_e32 v69, 31, v69
	v_xor_b32_e32 v70, vcc_hi, v69
	v_xor_b32_e32 v69, vcc_lo, v69
	v_and_b32_e32 v198, v198, v70
	v_and_b32_e32 v199, v199, v69
	;; [unrolled: 9-line block ×5, first 2 shown]
	v_lshlrev_b32_e32 v70, 25, v196
	v_mov_b32_e32 v69, v3
	v_cmp_gt_i64_e32 vcc, 0, v[69:70]
	v_not_b32_e32 v69, v70
	v_ashrrev_i32_e32 v69, 31, v69
	v_xor_b32_e32 v70, vcc_hi, v69
	v_xor_b32_e32 v69, vcc_lo, v69
	v_and_b32_e32 v69, v199, v69
	v_mul_u32_u24_e32 v197, 20, v196
	v_and_b32_e32 v70, v198, v70
	v_mbcnt_lo_u32_b32 v196, v69, 0
	v_mbcnt_hi_u32_b32 v196, v70, v196
	v_cmp_ne_u64_e32 vcc, 0, v[69:70]
	v_cmp_eq_u32_e64 s[40:41], 0, v196
	s_and_b64 s[6:7], vcc, s[40:41]
	v_add_u32_e32 v198, v171, v197
	; wave barrier
	s_and_saveexec_b64 s[40:41], s[6:7]
	s_cbranch_execz .LBB738_1040
; %bb.1039:                             ;   in Loop: Header=BB738_988 Depth=2
	v_bcnt_u32_b32 v69, v69, 0
	v_bcnt_u32_b32 v69, v70, v69
	s_waitcnt lgkmcnt(0)
	v_add_u32_e32 v69, v194, v69
	ds_write_b32 v198, v69 offset:528
.LBB738_1040:                           ;   in Loop: Header=BB738_988 Depth=2
	s_or_b64 exec, exec, s[40:41]
	v_xor_b32_e32 v66, 0x7fffffff, v66
	v_not_b32_e32 v65, v65
	v_lshrrev_b64 v[69:70], s88, v[65:66]
	v_and_b32_e32 v199, s98, v69
	v_mad_u32_u24 v69, v199, 20, v171
	; wave barrier
	ds_read_b32 v197, v69 offset:528
	v_and_b32_e32 v69, 1, v199
	v_add_co_u32_e32 v70, vcc, -1, v69
	v_addc_co_u32_e64 v201, s[6:7], 0, -1, vcc
	v_cmp_ne_u32_e32 vcc, 0, v69
	v_xor_b32_e32 v69, vcc_hi, v201
	v_xor_b32_e32 v70, vcc_lo, v70
	v_and_b32_e32 v201, exec_hi, v69
	v_and_b32_e32 v202, exec_lo, v70
	v_lshlrev_b32_e32 v70, 30, v199
	v_mov_b32_e32 v69, v3
	v_cmp_gt_i64_e32 vcc, 0, v[69:70]
	v_not_b32_e32 v69, v70
	v_ashrrev_i32_e32 v69, 31, v69
	v_xor_b32_e32 v70, vcc_hi, v69
	v_xor_b32_e32 v69, vcc_lo, v69
	v_and_b32_e32 v201, v201, v70
	v_and_b32_e32 v202, v202, v69
	v_lshlrev_b32_e32 v70, 29, v199
	v_mov_b32_e32 v69, v3
	v_cmp_gt_i64_e32 vcc, 0, v[69:70]
	v_not_b32_e32 v69, v70
	v_ashrrev_i32_e32 v69, 31, v69
	v_xor_b32_e32 v70, vcc_hi, v69
	v_xor_b32_e32 v69, vcc_lo, v69
	v_and_b32_e32 v201, v201, v70
	v_and_b32_e32 v202, v202, v69
	;; [unrolled: 9-line block ×5, first 2 shown]
	v_lshlrev_b32_e32 v70, 25, v199
	v_mov_b32_e32 v69, v3
	v_cmp_gt_i64_e32 vcc, 0, v[69:70]
	v_not_b32_e32 v69, v70
	v_ashrrev_i32_e32 v69, 31, v69
	v_xor_b32_e32 v70, vcc_hi, v69
	v_xor_b32_e32 v69, vcc_lo, v69
	v_and_b32_e32 v69, v202, v69
	v_mul_u32_u24_e32 v200, 20, v199
	v_and_b32_e32 v70, v201, v70
	v_mbcnt_lo_u32_b32 v199, v69, 0
	v_mbcnt_hi_u32_b32 v199, v70, v199
	v_cmp_ne_u64_e32 vcc, 0, v[69:70]
	v_cmp_eq_u32_e64 s[40:41], 0, v199
	s_and_b64 s[6:7], vcc, s[40:41]
	v_add_u32_e32 v201, v171, v200
	; wave barrier
	s_and_saveexec_b64 s[40:41], s[6:7]
	s_cbranch_execz .LBB738_1042
; %bb.1041:                             ;   in Loop: Header=BB738_988 Depth=2
	v_bcnt_u32_b32 v69, v69, 0
	v_bcnt_u32_b32 v69, v70, v69
	s_waitcnt lgkmcnt(0)
	v_add_u32_e32 v69, v197, v69
	ds_write_b32 v201, v69 offset:528
.LBB738_1042:                           ;   in Loop: Header=BB738_988 Depth=2
	s_or_b64 exec, exec, s[40:41]
	v_xor_b32_e32 v64, 0x7fffffff, v64
	v_not_b32_e32 v63, v63
	v_lshrrev_b64 v[69:70], s88, v[63:64]
	v_and_b32_e32 v202, s98, v69
	v_mad_u32_u24 v69, v202, 20, v171
	; wave barrier
	ds_read_b32 v200, v69 offset:528
	v_and_b32_e32 v69, 1, v202
	v_add_co_u32_e32 v70, vcc, -1, v69
	v_addc_co_u32_e64 v204, s[6:7], 0, -1, vcc
	v_cmp_ne_u32_e32 vcc, 0, v69
	v_xor_b32_e32 v69, vcc_hi, v204
	v_xor_b32_e32 v70, vcc_lo, v70
	v_and_b32_e32 v204, exec_hi, v69
	v_and_b32_e32 v205, exec_lo, v70
	v_lshlrev_b32_e32 v70, 30, v202
	v_mov_b32_e32 v69, v3
	v_cmp_gt_i64_e32 vcc, 0, v[69:70]
	v_not_b32_e32 v69, v70
	v_ashrrev_i32_e32 v69, 31, v69
	v_xor_b32_e32 v70, vcc_hi, v69
	v_xor_b32_e32 v69, vcc_lo, v69
	v_and_b32_e32 v204, v204, v70
	v_and_b32_e32 v205, v205, v69
	v_lshlrev_b32_e32 v70, 29, v202
	v_mov_b32_e32 v69, v3
	v_cmp_gt_i64_e32 vcc, 0, v[69:70]
	v_not_b32_e32 v69, v70
	v_ashrrev_i32_e32 v69, 31, v69
	v_xor_b32_e32 v70, vcc_hi, v69
	v_xor_b32_e32 v69, vcc_lo, v69
	v_and_b32_e32 v204, v204, v70
	v_and_b32_e32 v205, v205, v69
	;; [unrolled: 9-line block ×5, first 2 shown]
	v_lshlrev_b32_e32 v70, 25, v202
	v_mov_b32_e32 v69, v3
	v_cmp_gt_i64_e32 vcc, 0, v[69:70]
	v_not_b32_e32 v69, v70
	v_ashrrev_i32_e32 v69, 31, v69
	v_xor_b32_e32 v70, vcc_hi, v69
	v_xor_b32_e32 v69, vcc_lo, v69
	v_and_b32_e32 v69, v205, v69
	v_mul_u32_u24_e32 v203, 20, v202
	v_and_b32_e32 v70, v204, v70
	v_mbcnt_lo_u32_b32 v202, v69, 0
	v_mbcnt_hi_u32_b32 v202, v70, v202
	v_cmp_ne_u64_e32 vcc, 0, v[69:70]
	v_cmp_eq_u32_e64 s[40:41], 0, v202
	s_and_b64 s[6:7], vcc, s[40:41]
	v_add_u32_e32 v205, v171, v203
	; wave barrier
	s_and_saveexec_b64 s[40:41], s[6:7]
	s_cbranch_execz .LBB738_1044
; %bb.1043:                             ;   in Loop: Header=BB738_988 Depth=2
	v_bcnt_u32_b32 v69, v69, 0
	v_bcnt_u32_b32 v69, v70, v69
	s_waitcnt lgkmcnt(0)
	v_add_u32_e32 v69, v200, v69
	ds_write_b32 v205, v69 offset:528
.LBB738_1044:                           ;   in Loop: Header=BB738_988 Depth=2
	s_or_b64 exec, exec, s[40:41]
	v_xor_b32_e32 v60, 0x7fffffff, v60
	v_not_b32_e32 v59, v59
	v_lshrrev_b64 v[69:70], s88, v[59:60]
	v_and_b32_e32 v204, s98, v69
	v_mad_u32_u24 v69, v204, 20, v171
	; wave barrier
	ds_read_b32 v203, v69 offset:528
	v_and_b32_e32 v69, 1, v204
	v_add_co_u32_e32 v70, vcc, -1, v69
	v_addc_co_u32_e64 v207, s[6:7], 0, -1, vcc
	v_cmp_ne_u32_e32 vcc, 0, v69
	v_xor_b32_e32 v69, vcc_hi, v207
	v_xor_b32_e32 v70, vcc_lo, v70
	v_and_b32_e32 v207, exec_hi, v69
	v_and_b32_e32 v208, exec_lo, v70
	v_lshlrev_b32_e32 v70, 30, v204
	v_mov_b32_e32 v69, v3
	v_cmp_gt_i64_e32 vcc, 0, v[69:70]
	v_not_b32_e32 v69, v70
	v_ashrrev_i32_e32 v69, 31, v69
	v_xor_b32_e32 v70, vcc_hi, v69
	v_xor_b32_e32 v69, vcc_lo, v69
	v_and_b32_e32 v207, v207, v70
	v_and_b32_e32 v208, v208, v69
	v_lshlrev_b32_e32 v70, 29, v204
	v_mov_b32_e32 v69, v3
	v_cmp_gt_i64_e32 vcc, 0, v[69:70]
	v_not_b32_e32 v69, v70
	v_ashrrev_i32_e32 v69, 31, v69
	v_xor_b32_e32 v70, vcc_hi, v69
	v_xor_b32_e32 v69, vcc_lo, v69
	v_and_b32_e32 v207, v207, v70
	v_and_b32_e32 v208, v208, v69
	;; [unrolled: 9-line block ×5, first 2 shown]
	v_lshlrev_b32_e32 v70, 25, v204
	v_mov_b32_e32 v69, v3
	v_cmp_gt_i64_e32 vcc, 0, v[69:70]
	v_not_b32_e32 v69, v70
	v_ashrrev_i32_e32 v69, 31, v69
	v_xor_b32_e32 v70, vcc_hi, v69
	v_xor_b32_e32 v69, vcc_lo, v69
	v_and_b32_e32 v69, v208, v69
	v_mul_u32_u24_e32 v206, 20, v204
	v_and_b32_e32 v70, v207, v70
	v_mbcnt_lo_u32_b32 v204, v69, 0
	v_mbcnt_hi_u32_b32 v204, v70, v204
	v_cmp_ne_u64_e32 vcc, 0, v[69:70]
	v_cmp_eq_u32_e64 s[40:41], 0, v204
	s_and_b64 s[6:7], vcc, s[40:41]
	v_add_u32_e32 v208, v171, v206
	; wave barrier
	s_and_saveexec_b64 s[40:41], s[6:7]
	s_cbranch_execz .LBB738_1046
; %bb.1045:                             ;   in Loop: Header=BB738_988 Depth=2
	v_bcnt_u32_b32 v69, v69, 0
	v_bcnt_u32_b32 v69, v70, v69
	s_waitcnt lgkmcnt(0)
	v_add_u32_e32 v69, v203, v69
	ds_write_b32 v208, v69 offset:528
.LBB738_1046:                           ;   in Loop: Header=BB738_988 Depth=2
	s_or_b64 exec, exec, s[40:41]
	v_xor_b32_e32 v56, 0x7fffffff, v56
	v_not_b32_e32 v55, v55
	v_lshrrev_b64 v[69:70], s88, v[55:56]
	v_and_b32_e32 v207, s98, v69
	v_mad_u32_u24 v69, v207, 20, v171
	; wave barrier
	ds_read_b32 v206, v69 offset:528
	v_and_b32_e32 v69, 1, v207
	v_add_co_u32_e32 v70, vcc, -1, v69
	v_addc_co_u32_e64 v210, s[6:7], 0, -1, vcc
	v_cmp_ne_u32_e32 vcc, 0, v69
	v_xor_b32_e32 v69, vcc_hi, v210
	v_xor_b32_e32 v70, vcc_lo, v70
	v_and_b32_e32 v210, exec_hi, v69
	v_and_b32_e32 v211, exec_lo, v70
	v_lshlrev_b32_e32 v70, 30, v207
	v_mov_b32_e32 v69, v3
	v_cmp_gt_i64_e32 vcc, 0, v[69:70]
	v_not_b32_e32 v69, v70
	v_ashrrev_i32_e32 v69, 31, v69
	v_xor_b32_e32 v70, vcc_hi, v69
	v_xor_b32_e32 v69, vcc_lo, v69
	v_and_b32_e32 v210, v210, v70
	v_and_b32_e32 v211, v211, v69
	v_lshlrev_b32_e32 v70, 29, v207
	v_mov_b32_e32 v69, v3
	v_cmp_gt_i64_e32 vcc, 0, v[69:70]
	v_not_b32_e32 v69, v70
	v_ashrrev_i32_e32 v69, 31, v69
	v_xor_b32_e32 v70, vcc_hi, v69
	v_xor_b32_e32 v69, vcc_lo, v69
	v_and_b32_e32 v210, v210, v70
	v_and_b32_e32 v211, v211, v69
	;; [unrolled: 9-line block ×5, first 2 shown]
	v_lshlrev_b32_e32 v70, 25, v207
	v_mov_b32_e32 v69, v3
	v_cmp_gt_i64_e32 vcc, 0, v[69:70]
	v_not_b32_e32 v69, v70
	v_ashrrev_i32_e32 v69, 31, v69
	v_xor_b32_e32 v70, vcc_hi, v69
	v_xor_b32_e32 v69, vcc_lo, v69
	v_and_b32_e32 v69, v211, v69
	v_mul_u32_u24_e32 v209, 20, v207
	v_and_b32_e32 v70, v210, v70
	v_mbcnt_lo_u32_b32 v207, v69, 0
	v_mbcnt_hi_u32_b32 v207, v70, v207
	v_cmp_ne_u64_e32 vcc, 0, v[69:70]
	v_cmp_eq_u32_e64 s[40:41], 0, v207
	s_and_b64 s[6:7], vcc, s[40:41]
	v_add_u32_e32 v211, v171, v209
	; wave barrier
	s_and_saveexec_b64 s[40:41], s[6:7]
	s_cbranch_execz .LBB738_1048
; %bb.1047:                             ;   in Loop: Header=BB738_988 Depth=2
	v_bcnt_u32_b32 v69, v69, 0
	v_bcnt_u32_b32 v69, v70, v69
	s_waitcnt lgkmcnt(0)
	v_add_u32_e32 v69, v206, v69
	ds_write_b32 v211, v69 offset:528
.LBB738_1048:                           ;   in Loop: Header=BB738_988 Depth=2
	s_or_b64 exec, exec, s[40:41]
	v_xor_b32_e32 v52, 0x7fffffff, v52
	v_not_b32_e32 v51, v51
	v_lshrrev_b64 v[69:70], s88, v[51:52]
	v_and_b32_e32 v210, s98, v69
	v_mad_u32_u24 v69, v210, 20, v171
	; wave barrier
	ds_read_b32 v209, v69 offset:528
	v_and_b32_e32 v69, 1, v210
	v_add_co_u32_e32 v70, vcc, -1, v69
	v_addc_co_u32_e64 v213, s[6:7], 0, -1, vcc
	v_cmp_ne_u32_e32 vcc, 0, v69
	v_xor_b32_e32 v69, vcc_hi, v213
	v_xor_b32_e32 v70, vcc_lo, v70
	v_and_b32_e32 v213, exec_hi, v69
	v_and_b32_e32 v214, exec_lo, v70
	v_lshlrev_b32_e32 v70, 30, v210
	v_mov_b32_e32 v69, v3
	v_cmp_gt_i64_e32 vcc, 0, v[69:70]
	v_not_b32_e32 v69, v70
	v_ashrrev_i32_e32 v69, 31, v69
	v_xor_b32_e32 v70, vcc_hi, v69
	v_xor_b32_e32 v69, vcc_lo, v69
	v_and_b32_e32 v213, v213, v70
	v_and_b32_e32 v214, v214, v69
	v_lshlrev_b32_e32 v70, 29, v210
	v_mov_b32_e32 v69, v3
	v_cmp_gt_i64_e32 vcc, 0, v[69:70]
	v_not_b32_e32 v69, v70
	v_ashrrev_i32_e32 v69, 31, v69
	v_xor_b32_e32 v70, vcc_hi, v69
	v_xor_b32_e32 v69, vcc_lo, v69
	v_and_b32_e32 v213, v213, v70
	v_and_b32_e32 v214, v214, v69
	;; [unrolled: 9-line block ×5, first 2 shown]
	v_lshlrev_b32_e32 v70, 25, v210
	v_mov_b32_e32 v69, v3
	v_cmp_gt_i64_e32 vcc, 0, v[69:70]
	v_not_b32_e32 v69, v70
	v_ashrrev_i32_e32 v69, 31, v69
	v_xor_b32_e32 v70, vcc_hi, v69
	v_xor_b32_e32 v69, vcc_lo, v69
	v_and_b32_e32 v69, v214, v69
	v_mul_u32_u24_e32 v212, 20, v210
	v_and_b32_e32 v70, v213, v70
	v_mbcnt_lo_u32_b32 v210, v69, 0
	v_mbcnt_hi_u32_b32 v210, v70, v210
	v_cmp_ne_u64_e32 vcc, 0, v[69:70]
	v_cmp_eq_u32_e64 s[40:41], 0, v210
	s_and_b64 s[6:7], vcc, s[40:41]
	v_add_u32_e32 v214, v171, v212
	; wave barrier
	s_and_saveexec_b64 s[40:41], s[6:7]
	s_cbranch_execz .LBB738_1050
; %bb.1049:                             ;   in Loop: Header=BB738_988 Depth=2
	v_bcnt_u32_b32 v69, v69, 0
	v_bcnt_u32_b32 v69, v70, v69
	s_waitcnt lgkmcnt(0)
	v_add_u32_e32 v69, v209, v69
	ds_write_b32 v214, v69 offset:528
.LBB738_1050:                           ;   in Loop: Header=BB738_988 Depth=2
	s_or_b64 exec, exec, s[40:41]
	v_xor_b32_e32 v48, 0x7fffffff, v48
	v_not_b32_e32 v47, v47
	v_lshrrev_b64 v[69:70], s88, v[47:48]
	v_and_b32_e32 v213, s98, v69
	v_mad_u32_u24 v69, v213, 20, v171
	; wave barrier
	ds_read_b32 v212, v69 offset:528
	v_and_b32_e32 v69, 1, v213
	v_add_co_u32_e32 v70, vcc, -1, v69
	v_addc_co_u32_e64 v216, s[6:7], 0, -1, vcc
	v_cmp_ne_u32_e32 vcc, 0, v69
	v_xor_b32_e32 v69, vcc_hi, v216
	v_xor_b32_e32 v70, vcc_lo, v70
	v_and_b32_e32 v216, exec_hi, v69
	v_and_b32_e32 v217, exec_lo, v70
	v_lshlrev_b32_e32 v70, 30, v213
	v_mov_b32_e32 v69, v3
	v_cmp_gt_i64_e32 vcc, 0, v[69:70]
	v_not_b32_e32 v69, v70
	v_ashrrev_i32_e32 v69, 31, v69
	v_xor_b32_e32 v70, vcc_hi, v69
	v_xor_b32_e32 v69, vcc_lo, v69
	v_and_b32_e32 v216, v216, v70
	v_and_b32_e32 v217, v217, v69
	v_lshlrev_b32_e32 v70, 29, v213
	v_mov_b32_e32 v69, v3
	v_cmp_gt_i64_e32 vcc, 0, v[69:70]
	v_not_b32_e32 v69, v70
	v_ashrrev_i32_e32 v69, 31, v69
	v_xor_b32_e32 v70, vcc_hi, v69
	v_xor_b32_e32 v69, vcc_lo, v69
	v_and_b32_e32 v216, v216, v70
	v_and_b32_e32 v217, v217, v69
	;; [unrolled: 9-line block ×5, first 2 shown]
	v_lshlrev_b32_e32 v70, 25, v213
	v_mov_b32_e32 v69, v3
	v_cmp_gt_i64_e32 vcc, 0, v[69:70]
	v_not_b32_e32 v69, v70
	v_ashrrev_i32_e32 v69, 31, v69
	v_xor_b32_e32 v70, vcc_hi, v69
	v_xor_b32_e32 v69, vcc_lo, v69
	v_and_b32_e32 v69, v217, v69
	v_mul_u32_u24_e32 v215, 20, v213
	v_and_b32_e32 v70, v216, v70
	v_mbcnt_lo_u32_b32 v213, v69, 0
	v_mbcnt_hi_u32_b32 v213, v70, v213
	v_cmp_ne_u64_e32 vcc, 0, v[69:70]
	v_cmp_eq_u32_e64 s[40:41], 0, v213
	s_and_b64 s[6:7], vcc, s[40:41]
	v_add_u32_e32 v217, v171, v215
	; wave barrier
	s_and_saveexec_b64 s[40:41], s[6:7]
	s_cbranch_execz .LBB738_1052
; %bb.1051:                             ;   in Loop: Header=BB738_988 Depth=2
	v_bcnt_u32_b32 v69, v69, 0
	v_bcnt_u32_b32 v69, v70, v69
	s_waitcnt lgkmcnt(0)
	v_add_u32_e32 v69, v212, v69
	ds_write_b32 v217, v69 offset:528
.LBB738_1052:                           ;   in Loop: Header=BB738_988 Depth=2
	s_or_b64 exec, exec, s[40:41]
	v_xor_b32_e32 v44, 0x7fffffff, v44
	v_not_b32_e32 v43, v43
	v_lshrrev_b64 v[69:70], s88, v[43:44]
	v_and_b32_e32 v216, s98, v69
	v_mad_u32_u24 v69, v216, 20, v171
	; wave barrier
	ds_read_b32 v215, v69 offset:528
	v_and_b32_e32 v69, 1, v216
	v_add_co_u32_e32 v70, vcc, -1, v69
	v_addc_co_u32_e64 v219, s[6:7], 0, -1, vcc
	v_cmp_ne_u32_e32 vcc, 0, v69
	v_xor_b32_e32 v69, vcc_hi, v219
	v_xor_b32_e32 v70, vcc_lo, v70
	v_and_b32_e32 v219, exec_hi, v69
	v_and_b32_e32 v220, exec_lo, v70
	v_lshlrev_b32_e32 v70, 30, v216
	v_mov_b32_e32 v69, v3
	v_cmp_gt_i64_e32 vcc, 0, v[69:70]
	v_not_b32_e32 v69, v70
	v_ashrrev_i32_e32 v69, 31, v69
	v_xor_b32_e32 v70, vcc_hi, v69
	v_xor_b32_e32 v69, vcc_lo, v69
	v_and_b32_e32 v219, v219, v70
	v_and_b32_e32 v220, v220, v69
	v_lshlrev_b32_e32 v70, 29, v216
	v_mov_b32_e32 v69, v3
	v_cmp_gt_i64_e32 vcc, 0, v[69:70]
	v_not_b32_e32 v69, v70
	v_ashrrev_i32_e32 v69, 31, v69
	v_xor_b32_e32 v70, vcc_hi, v69
	v_xor_b32_e32 v69, vcc_lo, v69
	v_and_b32_e32 v219, v219, v70
	v_and_b32_e32 v220, v220, v69
	;; [unrolled: 9-line block ×5, first 2 shown]
	v_lshlrev_b32_e32 v70, 25, v216
	v_mov_b32_e32 v69, v3
	v_cmp_gt_i64_e32 vcc, 0, v[69:70]
	v_not_b32_e32 v69, v70
	v_ashrrev_i32_e32 v69, 31, v69
	v_xor_b32_e32 v70, vcc_hi, v69
	v_xor_b32_e32 v69, vcc_lo, v69
	v_and_b32_e32 v69, v220, v69
	v_mul_u32_u24_e32 v218, 20, v216
	v_and_b32_e32 v70, v219, v70
	v_mbcnt_lo_u32_b32 v216, v69, 0
	v_mbcnt_hi_u32_b32 v216, v70, v216
	v_cmp_ne_u64_e32 vcc, 0, v[69:70]
	v_cmp_eq_u32_e64 s[40:41], 0, v216
	s_and_b64 s[6:7], vcc, s[40:41]
	v_add_u32_e32 v220, v171, v218
	; wave barrier
	s_and_saveexec_b64 s[40:41], s[6:7]
	s_cbranch_execz .LBB738_1054
; %bb.1053:                             ;   in Loop: Header=BB738_988 Depth=2
	v_bcnt_u32_b32 v69, v69, 0
	v_bcnt_u32_b32 v69, v70, v69
	s_waitcnt lgkmcnt(0)
	v_add_u32_e32 v69, v215, v69
	ds_write_b32 v220, v69 offset:528
.LBB738_1054:                           ;   in Loop: Header=BB738_988 Depth=2
	s_or_b64 exec, exec, s[40:41]
	v_lshrrev_b64 v[69:70], s88, v[37:38]
	v_and_b32_e32 v219, s98, v69
	v_mad_u32_u24 v69, v219, 20, v171
	; wave barrier
	ds_read_b32 v218, v69 offset:528
	v_and_b32_e32 v69, 1, v219
	v_add_co_u32_e32 v70, vcc, -1, v69
	v_addc_co_u32_e64 v222, s[6:7], 0, -1, vcc
	v_cmp_ne_u32_e32 vcc, 0, v69
	v_xor_b32_e32 v69, vcc_hi, v222
	v_xor_b32_e32 v70, vcc_lo, v70
	v_and_b32_e32 v222, exec_hi, v69
	v_and_b32_e32 v223, exec_lo, v70
	v_lshlrev_b32_e32 v70, 30, v219
	v_mov_b32_e32 v69, v3
	v_cmp_gt_i64_e32 vcc, 0, v[69:70]
	v_not_b32_e32 v69, v70
	v_ashrrev_i32_e32 v69, 31, v69
	v_xor_b32_e32 v70, vcc_hi, v69
	v_xor_b32_e32 v69, vcc_lo, v69
	v_and_b32_e32 v222, v222, v70
	v_and_b32_e32 v223, v223, v69
	v_lshlrev_b32_e32 v70, 29, v219
	v_mov_b32_e32 v69, v3
	v_cmp_gt_i64_e32 vcc, 0, v[69:70]
	v_not_b32_e32 v69, v70
	v_ashrrev_i32_e32 v69, 31, v69
	v_xor_b32_e32 v70, vcc_hi, v69
	v_xor_b32_e32 v69, vcc_lo, v69
	v_and_b32_e32 v222, v222, v70
	v_and_b32_e32 v223, v223, v69
	;; [unrolled: 9-line block ×5, first 2 shown]
	v_lshlrev_b32_e32 v70, 25, v219
	v_mov_b32_e32 v69, v3
	v_cmp_gt_i64_e32 vcc, 0, v[69:70]
	v_not_b32_e32 v69, v70
	v_ashrrev_i32_e32 v69, 31, v69
	v_xor_b32_e32 v70, vcc_hi, v69
	v_xor_b32_e32 v69, vcc_lo, v69
	v_and_b32_e32 v69, v223, v69
	v_mul_u32_u24_e32 v221, 20, v219
	v_and_b32_e32 v70, v222, v70
	v_mbcnt_lo_u32_b32 v219, v69, 0
	v_mbcnt_hi_u32_b32 v219, v70, v219
	v_cmp_ne_u64_e32 vcc, 0, v[69:70]
	v_cmp_eq_u32_e64 s[40:41], 0, v219
	s_and_b64 s[6:7], vcc, s[40:41]
	v_add_u32_e32 v221, v171, v221
	; wave barrier
	s_and_saveexec_b64 s[40:41], s[6:7]
	s_cbranch_execz .LBB738_1056
; %bb.1055:                             ;   in Loop: Header=BB738_988 Depth=2
	v_bcnt_u32_b32 v69, v69, 0
	v_bcnt_u32_b32 v69, v70, v69
	s_waitcnt lgkmcnt(0)
	v_add_u32_e32 v69, v218, v69
	ds_write_b32 v221, v69 offset:528
.LBB738_1056:                           ;   in Loop: Header=BB738_988 Depth=2
	s_or_b64 exec, exec, s[40:41]
	; wave barrier
	s_waitcnt lgkmcnt(0)
	s_barrier
	ds_read2_b32 v[69:70], v90 offset0:132 offset1:133
	ds_read_b32 v222, v90 offset:536
	s_waitcnt lgkmcnt(0)
	v_add3_u32 v222, v70, v69, v222
	s_nop 1
	v_mov_b32_dpp v223, v222 row_shr:1 row_mask:0xf bank_mask:0xf
	v_cndmask_b32_e64 v223, v223, 0, s[20:21]
	v_add_u32_e32 v222, v223, v222
	s_nop 1
	v_mov_b32_dpp v223, v222 row_shr:2 row_mask:0xf bank_mask:0xf
	v_cndmask_b32_e64 v223, 0, v223, s[22:23]
	v_add_u32_e32 v222, v222, v223
	;; [unrolled: 4-line block ×4, first 2 shown]
	s_nop 1
	v_mov_b32_dpp v223, v222 row_bcast:15 row_mask:0xf bank_mask:0xf
	v_cndmask_b32_e64 v223, v223, 0, s[28:29]
	v_add_u32_e32 v222, v222, v223
	s_nop 1
	v_mov_b32_dpp v223, v222 row_bcast:31 row_mask:0xf bank_mask:0xf
	v_cndmask_b32_e64 v223, 0, v223, s[30:31]
	v_add_u32_e32 v222, v222, v223
	s_and_saveexec_b64 s[40:41], s[12:13]
; %bb.1057:                             ;   in Loop: Header=BB738_988 Depth=2
	ds_write_b32 v92, v222 offset:512
; %bb.1058:                             ;   in Loop: Header=BB738_988 Depth=2
	s_or_b64 exec, exec, s[40:41]
	s_waitcnt lgkmcnt(0)
	s_barrier
	s_and_saveexec_b64 s[40:41], s[14:15]
	s_cbranch_execz .LBB738_1060
; %bb.1059:                             ;   in Loop: Header=BB738_988 Depth=2
	ds_read_b32 v223, v97 offset:512
	s_waitcnt lgkmcnt(0)
	s_nop 0
	v_mov_b32_dpp v224, v223 row_shr:1 row_mask:0xf bank_mask:0xf
	v_cndmask_b32_e64 v224, v224, 0, s[36:37]
	v_add_u32_e32 v223, v224, v223
	s_nop 1
	v_mov_b32_dpp v224, v223 row_shr:2 row_mask:0xf bank_mask:0xf
	v_cndmask_b32_e64 v224, 0, v224, s[38:39]
	v_add_u32_e32 v223, v223, v224
	ds_write_b32 v97, v223 offset:512
.LBB738_1060:                           ;   in Loop: Header=BB738_988 Depth=2
	s_or_b64 exec, exec, s[40:41]
	v_mov_b32_e32 v223, 0
	s_waitcnt lgkmcnt(0)
	s_barrier
	s_and_saveexec_b64 s[40:41], s[10:11]
; %bb.1061:                             ;   in Loop: Header=BB738_988 Depth=2
	ds_read_b32 v223, v92 offset:508
; %bb.1062:                             ;   in Loop: Header=BB738_988 Depth=2
	s_or_b64 exec, exec, s[40:41]
	s_waitcnt lgkmcnt(0)
	v_add_u32_e32 v222, v223, v222
	ds_bpermute_b32 v222, v134, v222
	s_waitcnt lgkmcnt(0)
	v_cndmask_b32_e64 v222, v222, v223, s[34:35]
	v_cndmask_b32_e64 v222, v222, 0, s[16:17]
	v_add_u32_e32 v69, v222, v69
	v_add_u32_e32 v70, v69, v70
	ds_write2_b32 v90, v222, v69 offset0:132 offset1:133
	ds_write_b32 v90, v70 offset:536
	s_waitcnt lgkmcnt(0)
	s_barrier
	ds_read_b32 v69, v177 offset:528
	ds_read_b32 v227, v180 offset:528
	;; [unrolled: 1-line block ×16, first 2 shown]
	s_and_saveexec_b64 s[40:41], s[4:5]
	s_cbranch_execz .LBB738_1066
; %bb.1063:                             ;   in Loop: Header=BB738_988 Depth=2
	ds_read_b32 v172, v99 offset:528
	v_mov_b32_e32 v173, 0x1000
	s_and_saveexec_b64 s[42:43], s[18:19]
; %bb.1064:                             ;   in Loop: Header=BB738_988 Depth=2
	ds_read_b32 v173, v98 offset:528
; %bb.1065:                             ;   in Loop: Header=BB738_988 Depth=2
	s_or_b64 exec, exec, s[42:43]
	s_waitcnt lgkmcnt(0)
	v_sub_u32_e32 v173, v173, v172
.LBB738_1066:                           ;   in Loop: Header=BB738_988 Depth=2
	s_or_b64 exec, exec, s[40:41]
	s_waitcnt lgkmcnt(0)
	s_barrier
	s_and_saveexec_b64 s[40:41], s[4:5]
	s_cbranch_execz .LBB738_1068
; %bb.1067:                             ;   in Loop: Header=BB738_988 Depth=2
	ds_read_b32 v201, v71
	s_waitcnt lgkmcnt(0)
	v_sub_u32_e32 v201, v201, v172
	ds_write_b32 v71, v201
.LBB738_1068:                           ;   in Loop: Header=BB738_988 Depth=2
	s_or_b64 exec, exec, s[40:41]
	v_lshlrev_b32_e32 v175, 3, v175
	v_lshl_add_u32 v69, v69, 3, v175
	ds_write_b64 v69, v[39:40] offset:512
	v_lshlrev_b32_e32 v39, 3, v178
	v_lshlrev_b32_e32 v40, 3, v176
	v_lshlrev_b32_e32 v175, 3, v227
	v_add3_u32 v39, v39, v40, v175
	ds_write_b64 v39, v[41:42] offset:512
	v_lshlrev_b32_e32 v40, 3, v181
	v_lshlrev_b32_e32 v41, 3, v179
	v_lshlrev_b32_e32 v42, 3, v226
	v_add3_u32 v40, v40, v41, v42
	;; [unrolled: 5-line block ×3, first 2 shown]
	v_lshlrev_b32_e32 v42, 3, v187
	v_lshlrev_b32_e32 v45, 3, v185
	v_lshlrev_b32_e32 v46, 3, v224
	ds_write_b64 v41, v[49:50] offset:512
	v_add3_u32 v42, v42, v45, v46
	v_lshlrev_b32_e32 v45, 3, v190
	v_lshlrev_b32_e32 v46, 3, v188
	v_lshlrev_b32_e32 v49, 3, v223
	v_add3_u32 v45, v45, v46, v49
	v_lshlrev_b32_e32 v46, 3, v193
	v_lshlrev_b32_e32 v49, 3, v191
	v_lshlrev_b32_e32 v50, 3, v222
	ds_write_b64 v42, v[53:54] offset:512
	v_add3_u32 v46, v46, v49, v50
	v_lshlrev_b32_e32 v49, 3, v196
	v_lshlrev_b32_e32 v50, 3, v194
	v_lshlrev_b32_e32 v53, 3, v198
	v_add3_u32 v49, v49, v50, v53
	;; [unrolled: 9-line block ×3, first 2 shown]
	v_lshlrev_b32_e32 v54, 3, v204
	v_lshlrev_b32_e32 v57, 3, v203
	;; [unrolled: 1-line block ×3, first 2 shown]
	v_add3_u32 v54, v54, v57, v58
	ds_write_b64 v46, v[61:62] offset:512
	ds_write_b64 v49, v[67:68] offset:512
	;; [unrolled: 1-line block ×5, first 2 shown]
	v_lshlrev_b32_e32 v57, 3, v207
	v_lshlrev_b32_e32 v58, 3, v206
	v_lshlrev_b32_e32 v59, 3, v186
	v_add3_u32 v57, v57, v58, v59
	ds_write_b64 v57, v[55:56] offset:512
	v_lshlrev_b32_e32 v55, 3, v210
	v_lshlrev_b32_e32 v56, 3, v209
	v_lshlrev_b32_e32 v58, 3, v183
	v_add3_u32 v55, v55, v56, v58
	ds_write_b64 v55, v[51:52] offset:512
	v_lshlrev_b32_e32 v51, 3, v213
	v_lshlrev_b32_e32 v52, 3, v212
	v_lshlrev_b32_e32 v56, 3, v180
	v_add3_u32 v51, v51, v52, v56
	ds_write_b64 v51, v[47:48] offset:512
	v_lshlrev_b32_e32 v47, 3, v216
	v_lshlrev_b32_e32 v48, 3, v215
	v_lshlrev_b32_e32 v52, 3, v177
	v_add3_u32 v47, v47, v48, v52
	ds_write_b64 v47, v[43:44] offset:512
	v_lshlrev_b32_e32 v43, 3, v219
	v_lshlrev_b32_e32 v44, 3, v218
	;; [unrolled: 1-line block ×3, first 2 shown]
	v_add3_u32 v43, v43, v44, v48
	v_cmp_lt_u32_e64 s[40:41], v0, v174
	ds_write_b64 v43, v[37:38] offset:512
	s_waitcnt lgkmcnt(0)
	s_barrier
	s_and_saveexec_b64 s[42:43], s[40:41]
	s_cbranch_execnz .LBB738_1137
; %bb.1069:                             ;   in Loop: Header=BB738_988 Depth=2
	s_or_b64 exec, exec, s[42:43]
	v_cmp_lt_u32_e64 s[42:43], v72, v174
	s_and_saveexec_b64 s[44:45], s[42:43]
	s_cbranch_execnz .LBB738_1138
.LBB738_1070:                           ;   in Loop: Header=BB738_988 Depth=2
	s_or_b64 exec, exec, s[44:45]
	v_cmp_lt_u32_e64 s[44:45], v75, v174
	s_and_saveexec_b64 s[46:47], s[44:45]
	s_cbranch_execnz .LBB738_1139
.LBB738_1071:                           ;   in Loop: Header=BB738_988 Depth=2
	s_or_b64 exec, exec, s[46:47]
	v_cmp_lt_u32_e64 s[46:47], v76, v174
	s_and_saveexec_b64 s[48:49], s[46:47]
	s_cbranch_execnz .LBB738_1140
.LBB738_1072:                           ;   in Loop: Header=BB738_988 Depth=2
	s_or_b64 exec, exec, s[48:49]
	v_cmp_lt_u32_e64 s[48:49], v77, v174
	s_and_saveexec_b64 s[50:51], s[48:49]
	s_cbranch_execnz .LBB738_1141
.LBB738_1073:                           ;   in Loop: Header=BB738_988 Depth=2
	s_or_b64 exec, exec, s[50:51]
	v_cmp_lt_u32_e64 s[50:51], v78, v174
	s_and_saveexec_b64 s[52:53], s[50:51]
	s_cbranch_execnz .LBB738_1142
.LBB738_1074:                           ;   in Loop: Header=BB738_988 Depth=2
	s_or_b64 exec, exec, s[52:53]
	v_cmp_lt_u32_e64 s[52:53], v79, v174
	s_and_saveexec_b64 s[54:55], s[52:53]
	s_cbranch_execnz .LBB738_1143
.LBB738_1075:                           ;   in Loop: Header=BB738_988 Depth=2
	s_or_b64 exec, exec, s[54:55]
	v_cmp_lt_u32_e64 s[54:55], v80, v174
	s_and_saveexec_b64 s[56:57], s[54:55]
	s_cbranch_execnz .LBB738_1144
.LBB738_1076:                           ;   in Loop: Header=BB738_988 Depth=2
	s_or_b64 exec, exec, s[56:57]
	v_cmp_lt_u32_e64 s[56:57], v81, v174
	s_and_saveexec_b64 s[58:59], s[56:57]
	s_cbranch_execnz .LBB738_1145
.LBB738_1077:                           ;   in Loop: Header=BB738_988 Depth=2
	s_or_b64 exec, exec, s[58:59]
	v_cmp_lt_u32_e64 s[58:59], v82, v174
	s_and_saveexec_b64 s[60:61], s[58:59]
	s_cbranch_execnz .LBB738_1146
.LBB738_1078:                           ;   in Loop: Header=BB738_988 Depth=2
	s_or_b64 exec, exec, s[60:61]
	v_cmp_lt_u32_e64 s[60:61], v83, v174
	s_and_saveexec_b64 s[62:63], s[60:61]
	s_cbranch_execnz .LBB738_1147
.LBB738_1079:                           ;   in Loop: Header=BB738_988 Depth=2
	s_or_b64 exec, exec, s[62:63]
	v_cmp_lt_u32_e64 s[62:63], v84, v174
	s_and_saveexec_b64 s[64:65], s[62:63]
	s_cbranch_execnz .LBB738_1148
.LBB738_1080:                           ;   in Loop: Header=BB738_988 Depth=2
	s_or_b64 exec, exec, s[64:65]
	v_cmp_lt_u32_e64 s[64:65], v85, v174
	s_and_saveexec_b64 s[66:67], s[64:65]
	s_cbranch_execnz .LBB738_1149
.LBB738_1081:                           ;   in Loop: Header=BB738_988 Depth=2
	s_or_b64 exec, exec, s[66:67]
	v_cmp_lt_u32_e64 s[66:67], v86, v174
	s_and_saveexec_b64 s[68:69], s[66:67]
	s_cbranch_execnz .LBB738_1150
.LBB738_1082:                           ;   in Loop: Header=BB738_988 Depth=2
	s_or_b64 exec, exec, s[68:69]
	v_cmp_lt_u32_e64 s[68:69], v87, v174
	s_and_saveexec_b64 s[70:71], s[68:69]
	s_cbranch_execnz .LBB738_1151
.LBB738_1083:                           ;   in Loop: Header=BB738_988 Depth=2
	s_or_b64 exec, exec, s[70:71]
	v_cmp_lt_u32_e64 s[70:71], v88, v174
	s_and_saveexec_b64 s[82:83], s[70:71]
	s_cbranch_execz .LBB738_1085
.LBB738_1084:                           ;   in Loop: Header=BB738_988 Depth=2
	ds_read_b64 v[37:38], v104 offset:31232
	v_mov_b32_e32 v48, s81
	s_waitcnt lgkmcnt(0)
	v_lshrrev_b64 v[58:59], s88, v[37:38]
	v_mov_b32_e32 v59, v3
	v_and_b32_e32 v44, s98, v58
	v_lshlrev_b32_e32 v44, 2, v44
	ds_read_b32 v44, v44
	v_xor_b32_e32 v38, 0x7fffffff, v38
	v_not_b32_e32 v37, v37
	s_waitcnt lgkmcnt(0)
	v_add_u32_e32 v58, v44, v88
	v_lshlrev_b64 v[58:59], 3, v[58:59]
	v_add_co_u32_e32 v58, vcc, s80, v58
	v_addc_co_u32_e32 v59, vcc, v48, v59, vcc
	global_store_dwordx2 v[58:59], v[37:38], off
.LBB738_1085:                           ;   in Loop: Header=BB738_988 Depth=2
	s_or_b64 exec, exec, s[82:83]
	s_lshl_b64 s[6:7], s[92:93], 3
	v_mov_b32_e32 v38, s7
	v_add_co_u32_e32 v37, vcc, s6, v152
	v_addc_co_u32_e32 v38, vcc, v153, v38, vcc
	v_cmp_lt_u32_e32 vcc, v151, v174
	s_and_saveexec_b64 s[6:7], vcc
	s_xor_b64 s[82:83], exec, s[6:7]
	s_cbranch_execnz .LBB738_1152
; %bb.1086:                             ;   in Loop: Header=BB738_988 Depth=2
	s_or_b64 exec, exec, s[82:83]
	v_cmp_lt_u32_e32 vcc, v154, v174
	s_and_saveexec_b64 s[82:83], vcc
	s_cbranch_execnz .LBB738_1153
.LBB738_1087:                           ;   in Loop: Header=BB738_988 Depth=2
	s_or_b64 exec, exec, s[82:83]
	v_cmp_lt_u32_e32 vcc, v155, v174
	s_and_saveexec_b64 s[82:83], vcc
	s_cbranch_execnz .LBB738_1154
.LBB738_1088:                           ;   in Loop: Header=BB738_988 Depth=2
	s_or_b64 exec, exec, s[82:83]
	v_cmp_lt_u32_e32 vcc, v156, v174
	s_and_saveexec_b64 s[82:83], vcc
	s_cbranch_execnz .LBB738_1155
.LBB738_1089:                           ;   in Loop: Header=BB738_988 Depth=2
	s_or_b64 exec, exec, s[82:83]
	v_cmp_lt_u32_e32 vcc, v157, v174
	s_and_saveexec_b64 s[82:83], vcc
	s_cbranch_execnz .LBB738_1156
.LBB738_1090:                           ;   in Loop: Header=BB738_988 Depth=2
	s_or_b64 exec, exec, s[82:83]
	v_cmp_lt_u32_e32 vcc, v158, v174
	s_and_saveexec_b64 s[82:83], vcc
	s_cbranch_execnz .LBB738_1157
.LBB738_1091:                           ;   in Loop: Header=BB738_988 Depth=2
	s_or_b64 exec, exec, s[82:83]
	v_cmp_lt_u32_e32 vcc, v159, v174
	s_and_saveexec_b64 s[82:83], vcc
	s_cbranch_execnz .LBB738_1158
.LBB738_1092:                           ;   in Loop: Header=BB738_988 Depth=2
	s_or_b64 exec, exec, s[82:83]
	v_cmp_lt_u32_e32 vcc, v160, v174
	s_and_saveexec_b64 s[82:83], vcc
	s_cbranch_execnz .LBB738_1159
.LBB738_1093:                           ;   in Loop: Header=BB738_988 Depth=2
	s_or_b64 exec, exec, s[82:83]
	v_cmp_lt_u32_e32 vcc, v161, v174
	s_and_saveexec_b64 s[82:83], vcc
	s_cbranch_execnz .LBB738_1160
.LBB738_1094:                           ;   in Loop: Header=BB738_988 Depth=2
	s_or_b64 exec, exec, s[82:83]
	v_cmp_lt_u32_e32 vcc, v162, v174
	s_and_saveexec_b64 s[82:83], vcc
	s_cbranch_execnz .LBB738_1161
.LBB738_1095:                           ;   in Loop: Header=BB738_988 Depth=2
	s_or_b64 exec, exec, s[82:83]
	v_cmp_lt_u32_e32 vcc, v163, v174
	s_and_saveexec_b64 s[82:83], vcc
	s_cbranch_execnz .LBB738_1162
.LBB738_1096:                           ;   in Loop: Header=BB738_988 Depth=2
	s_or_b64 exec, exec, s[82:83]
	v_cmp_lt_u32_e32 vcc, v164, v174
	s_and_saveexec_b64 s[82:83], vcc
	s_cbranch_execnz .LBB738_1163
.LBB738_1097:                           ;   in Loop: Header=BB738_988 Depth=2
	s_or_b64 exec, exec, s[82:83]
	v_cmp_lt_u32_e32 vcc, v165, v174
	s_and_saveexec_b64 s[82:83], vcc
	s_cbranch_execnz .LBB738_1164
.LBB738_1098:                           ;   in Loop: Header=BB738_988 Depth=2
	s_or_b64 exec, exec, s[82:83]
	v_cmp_lt_u32_e32 vcc, v166, v174
	s_and_saveexec_b64 s[82:83], vcc
	s_cbranch_execnz .LBB738_1165
.LBB738_1099:                           ;   in Loop: Header=BB738_988 Depth=2
	s_or_b64 exec, exec, s[82:83]
	v_cmp_lt_u32_e32 vcc, v167, v174
	s_and_saveexec_b64 s[82:83], vcc
	s_cbranch_execnz .LBB738_1166
.LBB738_1100:                           ;   in Loop: Header=BB738_988 Depth=2
	s_or_b64 exec, exec, s[82:83]
	v_cmp_lt_u32_e32 vcc, v168, v174
	s_and_saveexec_b64 s[82:83], vcc
	s_cbranch_execnz .LBB738_1167
.LBB738_1101:                           ;   in Loop: Header=BB738_988 Depth=2
	s_or_b64 exec, exec, s[82:83]
	s_and_saveexec_b64 s[82:83], s[40:41]
	s_cbranch_execnz .LBB738_1168
.LBB738_1102:                           ;   in Loop: Header=BB738_988 Depth=2
	s_or_b64 exec, exec, s[82:83]
	s_and_saveexec_b64 s[82:83], s[42:43]
	s_cbranch_execnz .LBB738_1169
.LBB738_1103:                           ;   in Loop: Header=BB738_988 Depth=2
	s_or_b64 exec, exec, s[82:83]
	s_and_saveexec_b64 s[82:83], s[44:45]
	s_cbranch_execnz .LBB738_1170
.LBB738_1104:                           ;   in Loop: Header=BB738_988 Depth=2
	s_or_b64 exec, exec, s[82:83]
	s_and_saveexec_b64 s[82:83], s[46:47]
	s_cbranch_execnz .LBB738_1171
.LBB738_1105:                           ;   in Loop: Header=BB738_988 Depth=2
	s_or_b64 exec, exec, s[82:83]
	s_and_saveexec_b64 s[82:83], s[48:49]
	s_cbranch_execnz .LBB738_1172
.LBB738_1106:                           ;   in Loop: Header=BB738_988 Depth=2
	s_or_b64 exec, exec, s[82:83]
	s_and_saveexec_b64 s[82:83], s[50:51]
	s_cbranch_execnz .LBB738_1173
.LBB738_1107:                           ;   in Loop: Header=BB738_988 Depth=2
	s_or_b64 exec, exec, s[82:83]
	s_and_saveexec_b64 s[82:83], s[52:53]
	s_cbranch_execnz .LBB738_1174
.LBB738_1108:                           ;   in Loop: Header=BB738_988 Depth=2
	s_or_b64 exec, exec, s[82:83]
	s_and_saveexec_b64 s[82:83], s[54:55]
	s_cbranch_execnz .LBB738_1175
.LBB738_1109:                           ;   in Loop: Header=BB738_988 Depth=2
	s_or_b64 exec, exec, s[82:83]
	s_and_saveexec_b64 s[82:83], s[56:57]
	s_cbranch_execnz .LBB738_1176
.LBB738_1110:                           ;   in Loop: Header=BB738_988 Depth=2
	s_or_b64 exec, exec, s[82:83]
	s_and_saveexec_b64 s[82:83], s[58:59]
	s_cbranch_execnz .LBB738_1177
.LBB738_1111:                           ;   in Loop: Header=BB738_988 Depth=2
	s_or_b64 exec, exec, s[82:83]
	s_and_saveexec_b64 s[82:83], s[60:61]
	s_cbranch_execnz .LBB738_1178
.LBB738_1112:                           ;   in Loop: Header=BB738_988 Depth=2
	s_or_b64 exec, exec, s[82:83]
	s_and_saveexec_b64 s[82:83], s[62:63]
	s_cbranch_execnz .LBB738_1179
.LBB738_1113:                           ;   in Loop: Header=BB738_988 Depth=2
	s_or_b64 exec, exec, s[82:83]
	s_and_saveexec_b64 s[82:83], s[64:65]
	s_cbranch_execnz .LBB738_1180
.LBB738_1114:                           ;   in Loop: Header=BB738_988 Depth=2
	s_or_b64 exec, exec, s[82:83]
	s_and_saveexec_b64 s[82:83], s[66:67]
	s_cbranch_execnz .LBB738_1181
.LBB738_1115:                           ;   in Loop: Header=BB738_988 Depth=2
	s_or_b64 exec, exec, s[82:83]
	s_and_saveexec_b64 s[82:83], s[68:69]
	s_cbranch_execnz .LBB738_1182
.LBB738_1116:                           ;   in Loop: Header=BB738_988 Depth=2
	s_or_b64 exec, exec, s[82:83]
	s_and_saveexec_b64 s[82:83], s[70:71]
	s_cbranch_execz .LBB738_1118
.LBB738_1117:                           ;   in Loop: Header=BB738_988 Depth=2
	ds_read_b64 v[37:38], v104 offset:31232
	s_waitcnt lgkmcnt(0)
	v_lshrrev_b64 v[37:38], s88, v[37:38]
	v_and_b32_e32 v135, s98, v37
.LBB738_1118:                           ;   in Loop: Header=BB738_988 Depth=2
	s_or_b64 exec, exec, s[82:83]
	s_waitcnt vmcnt(0)
	s_barrier
	ds_write_b64 v69, v[35:36] offset:512
	ds_write_b64 v39, v[33:34] offset:512
	;; [unrolled: 1-line block ×16, first 2 shown]
	s_waitcnt lgkmcnt(0)
	s_barrier
	s_and_saveexec_b64 s[82:83], s[40:41]
	s_cbranch_execnz .LBB738_1183
; %bb.1119:                             ;   in Loop: Header=BB738_988 Depth=2
	s_or_b64 exec, exec, s[82:83]
	s_and_saveexec_b64 s[40:41], s[42:43]
	s_cbranch_execnz .LBB738_1184
.LBB738_1120:                           ;   in Loop: Header=BB738_988 Depth=2
	s_or_b64 exec, exec, s[40:41]
	s_and_saveexec_b64 s[40:41], s[44:45]
	s_cbranch_execnz .LBB738_1185
.LBB738_1121:                           ;   in Loop: Header=BB738_988 Depth=2
	s_or_b64 exec, exec, s[40:41]
	s_and_saveexec_b64 s[40:41], s[46:47]
	s_cbranch_execnz .LBB738_1186
.LBB738_1122:                           ;   in Loop: Header=BB738_988 Depth=2
	s_or_b64 exec, exec, s[40:41]
	s_and_saveexec_b64 s[40:41], s[48:49]
	s_cbranch_execnz .LBB738_1187
.LBB738_1123:                           ;   in Loop: Header=BB738_988 Depth=2
	s_or_b64 exec, exec, s[40:41]
	s_and_saveexec_b64 s[40:41], s[50:51]
	s_cbranch_execnz .LBB738_1188
.LBB738_1124:                           ;   in Loop: Header=BB738_988 Depth=2
	s_or_b64 exec, exec, s[40:41]
	s_and_saveexec_b64 s[40:41], s[52:53]
	s_cbranch_execnz .LBB738_1189
.LBB738_1125:                           ;   in Loop: Header=BB738_988 Depth=2
	s_or_b64 exec, exec, s[40:41]
	s_and_saveexec_b64 s[40:41], s[54:55]
	s_cbranch_execnz .LBB738_1190
.LBB738_1126:                           ;   in Loop: Header=BB738_988 Depth=2
	s_or_b64 exec, exec, s[40:41]
	s_and_saveexec_b64 s[40:41], s[56:57]
	s_cbranch_execnz .LBB738_1191
.LBB738_1127:                           ;   in Loop: Header=BB738_988 Depth=2
	s_or_b64 exec, exec, s[40:41]
	s_and_saveexec_b64 s[40:41], s[58:59]
	s_cbranch_execnz .LBB738_1192
.LBB738_1128:                           ;   in Loop: Header=BB738_988 Depth=2
	s_or_b64 exec, exec, s[40:41]
	s_and_saveexec_b64 s[40:41], s[60:61]
	s_cbranch_execnz .LBB738_1193
.LBB738_1129:                           ;   in Loop: Header=BB738_988 Depth=2
	s_or_b64 exec, exec, s[40:41]
	s_and_saveexec_b64 s[40:41], s[62:63]
	s_cbranch_execnz .LBB738_1194
.LBB738_1130:                           ;   in Loop: Header=BB738_988 Depth=2
	s_or_b64 exec, exec, s[40:41]
	s_and_saveexec_b64 s[40:41], s[64:65]
	s_cbranch_execnz .LBB738_1195
.LBB738_1131:                           ;   in Loop: Header=BB738_988 Depth=2
	s_or_b64 exec, exec, s[40:41]
	s_and_saveexec_b64 s[40:41], s[66:67]
	s_cbranch_execnz .LBB738_1196
.LBB738_1132:                           ;   in Loop: Header=BB738_988 Depth=2
	s_or_b64 exec, exec, s[40:41]
	s_and_saveexec_b64 s[40:41], s[68:69]
	s_cbranch_execnz .LBB738_1197
.LBB738_1133:                           ;   in Loop: Header=BB738_988 Depth=2
	s_or_b64 exec, exec, s[40:41]
	s_and_saveexec_b64 s[40:41], s[70:71]
	s_cbranch_execz .LBB738_1135
.LBB738_1134:                           ;   in Loop: Header=BB738_988 Depth=2
	v_lshlrev_b32_e32 v37, 2, v135
	ds_read_b32 v39, v37
	ds_read_b64 v[37:38], v104 offset:31232
	v_mov_b32_e32 v40, v3
	v_mov_b32_e32 v41, s87
	s_waitcnt lgkmcnt(1)
	v_add_u32_e32 v39, v39, v88
	v_lshlrev_b64 v[39:40], 3, v[39:40]
	v_add_co_u32_e32 v39, vcc, s86, v39
	v_addc_co_u32_e32 v40, vcc, v41, v40, vcc
	s_waitcnt lgkmcnt(0)
	global_store_dwordx2 v[39:40], v[37:38], off
.LBB738_1135:                           ;   in Loop: Header=BB738_988 Depth=2
	s_or_b64 exec, exec, s[40:41]
	s_waitcnt vmcnt(0)
	s_barrier
	s_and_saveexec_b64 s[40:41], s[4:5]
	s_cbranch_execz .LBB738_987
; %bb.1136:                             ;   in Loop: Header=BB738_988 Depth=2
	ds_read_b32 v37, v71
	s_waitcnt lgkmcnt(0)
	v_add3_u32 v37, v172, v173, v37
	ds_write_b32 v71, v37
	s_branch .LBB738_987
.LBB738_1137:                           ;   in Loop: Header=BB738_988 Depth=2
	ds_read_b64 v[37:38], v104 offset:512
	v_mov_b32_e32 v48, s81
	s_waitcnt lgkmcnt(0)
	v_lshrrev_b64 v[58:59], s88, v[37:38]
	v_mov_b32_e32 v59, v3
	v_and_b32_e32 v44, s98, v58
	v_lshlrev_b32_e32 v44, 2, v44
	ds_read_b32 v44, v44
	v_xor_b32_e32 v38, 0x7fffffff, v38
	v_not_b32_e32 v37, v37
	s_waitcnt lgkmcnt(0)
	v_add_u32_e32 v58, v44, v0
	v_lshlrev_b64 v[58:59], 3, v[58:59]
	v_add_co_u32_e32 v58, vcc, s80, v58
	v_addc_co_u32_e32 v59, vcc, v48, v59, vcc
	global_store_dwordx2 v[58:59], v[37:38], off
	s_or_b64 exec, exec, s[42:43]
	v_cmp_lt_u32_e64 s[42:43], v72, v174
	s_and_saveexec_b64 s[44:45], s[42:43]
	s_cbranch_execz .LBB738_1070
.LBB738_1138:                           ;   in Loop: Header=BB738_988 Depth=2
	ds_read_b64 v[37:38], v104 offset:2560
	v_mov_b32_e32 v48, s81
	s_waitcnt lgkmcnt(0)
	v_lshrrev_b64 v[58:59], s88, v[37:38]
	v_mov_b32_e32 v59, v3
	v_and_b32_e32 v44, s98, v58
	v_lshlrev_b32_e32 v44, 2, v44
	ds_read_b32 v44, v44
	v_xor_b32_e32 v38, 0x7fffffff, v38
	v_not_b32_e32 v37, v37
	s_waitcnt lgkmcnt(0)
	v_add_u32_e32 v58, v44, v72
	v_lshlrev_b64 v[58:59], 3, v[58:59]
	v_add_co_u32_e32 v58, vcc, s80, v58
	v_addc_co_u32_e32 v59, vcc, v48, v59, vcc
	global_store_dwordx2 v[58:59], v[37:38], off
	s_or_b64 exec, exec, s[44:45]
	v_cmp_lt_u32_e64 s[44:45], v75, v174
	s_and_saveexec_b64 s[46:47], s[44:45]
	s_cbranch_execz .LBB738_1071
.LBB738_1139:                           ;   in Loop: Header=BB738_988 Depth=2
	ds_read_b64 v[37:38], v104 offset:4608
	v_mov_b32_e32 v48, s81
	s_waitcnt lgkmcnt(0)
	v_lshrrev_b64 v[58:59], s88, v[37:38]
	v_mov_b32_e32 v59, v3
	v_and_b32_e32 v44, s98, v58
	v_lshlrev_b32_e32 v44, 2, v44
	ds_read_b32 v44, v44
	v_xor_b32_e32 v38, 0x7fffffff, v38
	v_not_b32_e32 v37, v37
	s_waitcnt lgkmcnt(0)
	v_add_u32_e32 v58, v44, v75
	v_lshlrev_b64 v[58:59], 3, v[58:59]
	v_add_co_u32_e32 v58, vcc, s80, v58
	v_addc_co_u32_e32 v59, vcc, v48, v59, vcc
	global_store_dwordx2 v[58:59], v[37:38], off
	s_or_b64 exec, exec, s[46:47]
	v_cmp_lt_u32_e64 s[46:47], v76, v174
	s_and_saveexec_b64 s[48:49], s[46:47]
	s_cbranch_execz .LBB738_1072
.LBB738_1140:                           ;   in Loop: Header=BB738_988 Depth=2
	ds_read_b64 v[37:38], v104 offset:6656
	v_mov_b32_e32 v48, s81
	s_waitcnt lgkmcnt(0)
	v_lshrrev_b64 v[58:59], s88, v[37:38]
	v_mov_b32_e32 v59, v3
	v_and_b32_e32 v44, s98, v58
	v_lshlrev_b32_e32 v44, 2, v44
	ds_read_b32 v44, v44
	v_xor_b32_e32 v38, 0x7fffffff, v38
	v_not_b32_e32 v37, v37
	s_waitcnt lgkmcnt(0)
	v_add_u32_e32 v58, v44, v76
	v_lshlrev_b64 v[58:59], 3, v[58:59]
	v_add_co_u32_e32 v58, vcc, s80, v58
	v_addc_co_u32_e32 v59, vcc, v48, v59, vcc
	global_store_dwordx2 v[58:59], v[37:38], off
	s_or_b64 exec, exec, s[48:49]
	v_cmp_lt_u32_e64 s[48:49], v77, v174
	s_and_saveexec_b64 s[50:51], s[48:49]
	s_cbranch_execz .LBB738_1073
.LBB738_1141:                           ;   in Loop: Header=BB738_988 Depth=2
	ds_read_b64 v[37:38], v104 offset:8704
	v_mov_b32_e32 v48, s81
	s_waitcnt lgkmcnt(0)
	v_lshrrev_b64 v[58:59], s88, v[37:38]
	v_mov_b32_e32 v59, v3
	v_and_b32_e32 v44, s98, v58
	v_lshlrev_b32_e32 v44, 2, v44
	ds_read_b32 v44, v44
	v_xor_b32_e32 v38, 0x7fffffff, v38
	v_not_b32_e32 v37, v37
	s_waitcnt lgkmcnt(0)
	v_add_u32_e32 v58, v44, v77
	v_lshlrev_b64 v[58:59], 3, v[58:59]
	v_add_co_u32_e32 v58, vcc, s80, v58
	v_addc_co_u32_e32 v59, vcc, v48, v59, vcc
	global_store_dwordx2 v[58:59], v[37:38], off
	s_or_b64 exec, exec, s[50:51]
	v_cmp_lt_u32_e64 s[50:51], v78, v174
	s_and_saveexec_b64 s[52:53], s[50:51]
	s_cbranch_execz .LBB738_1074
.LBB738_1142:                           ;   in Loop: Header=BB738_988 Depth=2
	ds_read_b64 v[37:38], v104 offset:10752
	v_mov_b32_e32 v48, s81
	s_waitcnt lgkmcnt(0)
	v_lshrrev_b64 v[58:59], s88, v[37:38]
	v_mov_b32_e32 v59, v3
	v_and_b32_e32 v44, s98, v58
	v_lshlrev_b32_e32 v44, 2, v44
	ds_read_b32 v44, v44
	v_xor_b32_e32 v38, 0x7fffffff, v38
	v_not_b32_e32 v37, v37
	s_waitcnt lgkmcnt(0)
	v_add_u32_e32 v58, v44, v78
	v_lshlrev_b64 v[58:59], 3, v[58:59]
	v_add_co_u32_e32 v58, vcc, s80, v58
	v_addc_co_u32_e32 v59, vcc, v48, v59, vcc
	global_store_dwordx2 v[58:59], v[37:38], off
	s_or_b64 exec, exec, s[52:53]
	v_cmp_lt_u32_e64 s[52:53], v79, v174
	s_and_saveexec_b64 s[54:55], s[52:53]
	s_cbranch_execz .LBB738_1075
.LBB738_1143:                           ;   in Loop: Header=BB738_988 Depth=2
	ds_read_b64 v[37:38], v104 offset:12800
	v_mov_b32_e32 v48, s81
	s_waitcnt lgkmcnt(0)
	v_lshrrev_b64 v[58:59], s88, v[37:38]
	v_mov_b32_e32 v59, v3
	v_and_b32_e32 v44, s98, v58
	v_lshlrev_b32_e32 v44, 2, v44
	ds_read_b32 v44, v44
	v_xor_b32_e32 v38, 0x7fffffff, v38
	v_not_b32_e32 v37, v37
	s_waitcnt lgkmcnt(0)
	v_add_u32_e32 v58, v44, v79
	v_lshlrev_b64 v[58:59], 3, v[58:59]
	v_add_co_u32_e32 v58, vcc, s80, v58
	v_addc_co_u32_e32 v59, vcc, v48, v59, vcc
	global_store_dwordx2 v[58:59], v[37:38], off
	s_or_b64 exec, exec, s[54:55]
	v_cmp_lt_u32_e64 s[54:55], v80, v174
	s_and_saveexec_b64 s[56:57], s[54:55]
	s_cbranch_execz .LBB738_1076
.LBB738_1144:                           ;   in Loop: Header=BB738_988 Depth=2
	ds_read_b64 v[37:38], v104 offset:14848
	v_mov_b32_e32 v48, s81
	s_waitcnt lgkmcnt(0)
	v_lshrrev_b64 v[58:59], s88, v[37:38]
	v_mov_b32_e32 v59, v3
	v_and_b32_e32 v44, s98, v58
	v_lshlrev_b32_e32 v44, 2, v44
	ds_read_b32 v44, v44
	v_xor_b32_e32 v38, 0x7fffffff, v38
	v_not_b32_e32 v37, v37
	s_waitcnt lgkmcnt(0)
	v_add_u32_e32 v58, v44, v80
	v_lshlrev_b64 v[58:59], 3, v[58:59]
	v_add_co_u32_e32 v58, vcc, s80, v58
	v_addc_co_u32_e32 v59, vcc, v48, v59, vcc
	global_store_dwordx2 v[58:59], v[37:38], off
	s_or_b64 exec, exec, s[56:57]
	v_cmp_lt_u32_e64 s[56:57], v81, v174
	s_and_saveexec_b64 s[58:59], s[56:57]
	s_cbranch_execz .LBB738_1077
.LBB738_1145:                           ;   in Loop: Header=BB738_988 Depth=2
	ds_read_b64 v[37:38], v104 offset:16896
	v_mov_b32_e32 v48, s81
	s_waitcnt lgkmcnt(0)
	v_lshrrev_b64 v[58:59], s88, v[37:38]
	v_mov_b32_e32 v59, v3
	v_and_b32_e32 v44, s98, v58
	v_lshlrev_b32_e32 v44, 2, v44
	ds_read_b32 v44, v44
	v_xor_b32_e32 v38, 0x7fffffff, v38
	v_not_b32_e32 v37, v37
	s_waitcnt lgkmcnt(0)
	v_add_u32_e32 v58, v44, v81
	v_lshlrev_b64 v[58:59], 3, v[58:59]
	v_add_co_u32_e32 v58, vcc, s80, v58
	v_addc_co_u32_e32 v59, vcc, v48, v59, vcc
	global_store_dwordx2 v[58:59], v[37:38], off
	s_or_b64 exec, exec, s[58:59]
	v_cmp_lt_u32_e64 s[58:59], v82, v174
	s_and_saveexec_b64 s[60:61], s[58:59]
	s_cbranch_execz .LBB738_1078
.LBB738_1146:                           ;   in Loop: Header=BB738_988 Depth=2
	ds_read_b64 v[37:38], v104 offset:18944
	v_mov_b32_e32 v48, s81
	s_waitcnt lgkmcnt(0)
	v_lshrrev_b64 v[58:59], s88, v[37:38]
	v_mov_b32_e32 v59, v3
	v_and_b32_e32 v44, s98, v58
	v_lshlrev_b32_e32 v44, 2, v44
	ds_read_b32 v44, v44
	v_xor_b32_e32 v38, 0x7fffffff, v38
	v_not_b32_e32 v37, v37
	s_waitcnt lgkmcnt(0)
	v_add_u32_e32 v58, v44, v82
	v_lshlrev_b64 v[58:59], 3, v[58:59]
	v_add_co_u32_e32 v58, vcc, s80, v58
	v_addc_co_u32_e32 v59, vcc, v48, v59, vcc
	global_store_dwordx2 v[58:59], v[37:38], off
	s_or_b64 exec, exec, s[60:61]
	v_cmp_lt_u32_e64 s[60:61], v83, v174
	s_and_saveexec_b64 s[62:63], s[60:61]
	s_cbranch_execz .LBB738_1079
.LBB738_1147:                           ;   in Loop: Header=BB738_988 Depth=2
	ds_read_b64 v[37:38], v104 offset:20992
	v_mov_b32_e32 v48, s81
	s_waitcnt lgkmcnt(0)
	v_lshrrev_b64 v[58:59], s88, v[37:38]
	v_mov_b32_e32 v59, v3
	v_and_b32_e32 v44, s98, v58
	v_lshlrev_b32_e32 v44, 2, v44
	ds_read_b32 v44, v44
	v_xor_b32_e32 v38, 0x7fffffff, v38
	v_not_b32_e32 v37, v37
	s_waitcnt lgkmcnt(0)
	v_add_u32_e32 v58, v44, v83
	v_lshlrev_b64 v[58:59], 3, v[58:59]
	v_add_co_u32_e32 v58, vcc, s80, v58
	v_addc_co_u32_e32 v59, vcc, v48, v59, vcc
	global_store_dwordx2 v[58:59], v[37:38], off
	s_or_b64 exec, exec, s[62:63]
	v_cmp_lt_u32_e64 s[62:63], v84, v174
	s_and_saveexec_b64 s[64:65], s[62:63]
	s_cbranch_execz .LBB738_1080
.LBB738_1148:                           ;   in Loop: Header=BB738_988 Depth=2
	ds_read_b64 v[37:38], v104 offset:23040
	v_mov_b32_e32 v48, s81
	s_waitcnt lgkmcnt(0)
	v_lshrrev_b64 v[58:59], s88, v[37:38]
	v_mov_b32_e32 v59, v3
	v_and_b32_e32 v44, s98, v58
	v_lshlrev_b32_e32 v44, 2, v44
	ds_read_b32 v44, v44
	v_xor_b32_e32 v38, 0x7fffffff, v38
	v_not_b32_e32 v37, v37
	s_waitcnt lgkmcnt(0)
	v_add_u32_e32 v58, v44, v84
	v_lshlrev_b64 v[58:59], 3, v[58:59]
	v_add_co_u32_e32 v58, vcc, s80, v58
	v_addc_co_u32_e32 v59, vcc, v48, v59, vcc
	global_store_dwordx2 v[58:59], v[37:38], off
	s_or_b64 exec, exec, s[64:65]
	v_cmp_lt_u32_e64 s[64:65], v85, v174
	s_and_saveexec_b64 s[66:67], s[64:65]
	s_cbranch_execz .LBB738_1081
.LBB738_1149:                           ;   in Loop: Header=BB738_988 Depth=2
	ds_read_b64 v[37:38], v104 offset:25088
	v_mov_b32_e32 v48, s81
	s_waitcnt lgkmcnt(0)
	v_lshrrev_b64 v[58:59], s88, v[37:38]
	v_mov_b32_e32 v59, v3
	v_and_b32_e32 v44, s98, v58
	v_lshlrev_b32_e32 v44, 2, v44
	ds_read_b32 v44, v44
	v_xor_b32_e32 v38, 0x7fffffff, v38
	v_not_b32_e32 v37, v37
	s_waitcnt lgkmcnt(0)
	v_add_u32_e32 v58, v44, v85
	v_lshlrev_b64 v[58:59], 3, v[58:59]
	v_add_co_u32_e32 v58, vcc, s80, v58
	v_addc_co_u32_e32 v59, vcc, v48, v59, vcc
	global_store_dwordx2 v[58:59], v[37:38], off
	s_or_b64 exec, exec, s[66:67]
	v_cmp_lt_u32_e64 s[66:67], v86, v174
	s_and_saveexec_b64 s[68:69], s[66:67]
	s_cbranch_execz .LBB738_1082
.LBB738_1150:                           ;   in Loop: Header=BB738_988 Depth=2
	ds_read_b64 v[37:38], v104 offset:27136
	v_mov_b32_e32 v48, s81
	s_waitcnt lgkmcnt(0)
	v_lshrrev_b64 v[58:59], s88, v[37:38]
	v_mov_b32_e32 v59, v3
	v_and_b32_e32 v44, s98, v58
	v_lshlrev_b32_e32 v44, 2, v44
	ds_read_b32 v44, v44
	v_xor_b32_e32 v38, 0x7fffffff, v38
	v_not_b32_e32 v37, v37
	s_waitcnt lgkmcnt(0)
	v_add_u32_e32 v58, v44, v86
	v_lshlrev_b64 v[58:59], 3, v[58:59]
	v_add_co_u32_e32 v58, vcc, s80, v58
	v_addc_co_u32_e32 v59, vcc, v48, v59, vcc
	global_store_dwordx2 v[58:59], v[37:38], off
	s_or_b64 exec, exec, s[68:69]
	v_cmp_lt_u32_e64 s[68:69], v87, v174
	s_and_saveexec_b64 s[70:71], s[68:69]
	s_cbranch_execz .LBB738_1083
.LBB738_1151:                           ;   in Loop: Header=BB738_988 Depth=2
	ds_read_b64 v[37:38], v104 offset:29184
	v_mov_b32_e32 v48, s81
	s_waitcnt lgkmcnt(0)
	v_lshrrev_b64 v[58:59], s88, v[37:38]
	v_mov_b32_e32 v59, v3
	v_and_b32_e32 v44, s98, v58
	v_lshlrev_b32_e32 v44, 2, v44
	ds_read_b32 v44, v44
	v_xor_b32_e32 v38, 0x7fffffff, v38
	v_not_b32_e32 v37, v37
	s_waitcnt lgkmcnt(0)
	v_add_u32_e32 v58, v44, v87
	v_lshlrev_b64 v[58:59], 3, v[58:59]
	v_add_co_u32_e32 v58, vcc, s80, v58
	v_addc_co_u32_e32 v59, vcc, v48, v59, vcc
	global_store_dwordx2 v[58:59], v[37:38], off
	s_or_b64 exec, exec, s[70:71]
	v_cmp_lt_u32_e64 s[70:71], v88, v174
	s_and_saveexec_b64 s[82:83], s[70:71]
	s_cbranch_execnz .LBB738_1084
	s_branch .LBB738_1085
.LBB738_1152:                           ;   in Loop: Header=BB738_988 Depth=2
	global_load_dwordx2 v[35:36], v[37:38], off
	s_or_b64 exec, exec, s[82:83]
	v_cmp_lt_u32_e32 vcc, v154, v174
	s_and_saveexec_b64 s[82:83], vcc
	s_cbranch_execz .LBB738_1087
.LBB738_1153:                           ;   in Loop: Header=BB738_988 Depth=2
	global_load_dwordx2 v[33:34], v[37:38], off offset:512
	s_or_b64 exec, exec, s[82:83]
	v_cmp_lt_u32_e32 vcc, v155, v174
	s_and_saveexec_b64 s[82:83], vcc
	s_cbranch_execz .LBB738_1088
.LBB738_1154:                           ;   in Loop: Header=BB738_988 Depth=2
	global_load_dwordx2 v[31:32], v[37:38], off offset:1024
	s_or_b64 exec, exec, s[82:83]
	v_cmp_lt_u32_e32 vcc, v156, v174
	s_and_saveexec_b64 s[82:83], vcc
	s_cbranch_execz .LBB738_1089
.LBB738_1155:                           ;   in Loop: Header=BB738_988 Depth=2
	global_load_dwordx2 v[27:28], v[37:38], off offset:1536
	s_or_b64 exec, exec, s[82:83]
	v_cmp_lt_u32_e32 vcc, v157, v174
	s_and_saveexec_b64 s[82:83], vcc
	s_cbranch_execz .LBB738_1090
.LBB738_1156:                           ;   in Loop: Header=BB738_988 Depth=2
	global_load_dwordx2 v[23:24], v[37:38], off offset:2048
	s_or_b64 exec, exec, s[82:83]
	v_cmp_lt_u32_e32 vcc, v158, v174
	s_and_saveexec_b64 s[82:83], vcc
	s_cbranch_execz .LBB738_1091
.LBB738_1157:                           ;   in Loop: Header=BB738_988 Depth=2
	global_load_dwordx2 v[19:20], v[37:38], off offset:2560
	s_or_b64 exec, exec, s[82:83]
	v_cmp_lt_u32_e32 vcc, v159, v174
	s_and_saveexec_b64 s[82:83], vcc
	s_cbranch_execz .LBB738_1092
.LBB738_1158:                           ;   in Loop: Header=BB738_988 Depth=2
	global_load_dwordx2 v[15:16], v[37:38], off offset:3072
	s_or_b64 exec, exec, s[82:83]
	v_cmp_lt_u32_e32 vcc, v160, v174
	s_and_saveexec_b64 s[82:83], vcc
	s_cbranch_execz .LBB738_1093
.LBB738_1159:                           ;   in Loop: Header=BB738_988 Depth=2
	global_load_dwordx2 v[11:12], v[37:38], off offset:3584
	s_or_b64 exec, exec, s[82:83]
	v_cmp_lt_u32_e32 vcc, v161, v174
	s_and_saveexec_b64 s[82:83], vcc
	s_cbranch_execz .LBB738_1094
.LBB738_1160:                           ;   in Loop: Header=BB738_988 Depth=2
	v_add_co_u32_e32 v29, vcc, 0x1000, v37
	v_addc_co_u32_e32 v30, vcc, 0, v38, vcc
	global_load_dwordx2 v[29:30], v[29:30], off
	s_or_b64 exec, exec, s[82:83]
	v_cmp_lt_u32_e32 vcc, v162, v174
	s_and_saveexec_b64 s[82:83], vcc
	s_cbranch_execz .LBB738_1095
.LBB738_1161:                           ;   in Loop: Header=BB738_988 Depth=2
	v_add_co_u32_e32 v25, vcc, 0x1000, v37
	v_addc_co_u32_e32 v26, vcc, 0, v38, vcc
	global_load_dwordx2 v[25:26], v[25:26], off offset:512
	s_or_b64 exec, exec, s[82:83]
	v_cmp_lt_u32_e32 vcc, v163, v174
	s_and_saveexec_b64 s[82:83], vcc
	s_cbranch_execz .LBB738_1096
.LBB738_1162:                           ;   in Loop: Header=BB738_988 Depth=2
	v_add_co_u32_e32 v21, vcc, 0x1000, v37
	v_addc_co_u32_e32 v22, vcc, 0, v38, vcc
	global_load_dwordx2 v[21:22], v[21:22], off offset:1024
	s_or_b64 exec, exec, s[82:83]
	v_cmp_lt_u32_e32 vcc, v164, v174
	s_and_saveexec_b64 s[82:83], vcc
	s_cbranch_execz .LBB738_1097
.LBB738_1163:                           ;   in Loop: Header=BB738_988 Depth=2
	v_add_co_u32_e32 v17, vcc, 0x1000, v37
	v_addc_co_u32_e32 v18, vcc, 0, v38, vcc
	global_load_dwordx2 v[17:18], v[17:18], off offset:1536
	s_or_b64 exec, exec, s[82:83]
	v_cmp_lt_u32_e32 vcc, v165, v174
	s_and_saveexec_b64 s[82:83], vcc
	s_cbranch_execz .LBB738_1098
.LBB738_1164:                           ;   in Loop: Header=BB738_988 Depth=2
	v_add_co_u32_e32 v13, vcc, 0x1000, v37
	v_addc_co_u32_e32 v14, vcc, 0, v38, vcc
	global_load_dwordx2 v[13:14], v[13:14], off offset:2048
	s_or_b64 exec, exec, s[82:83]
	v_cmp_lt_u32_e32 vcc, v166, v174
	s_and_saveexec_b64 s[82:83], vcc
	s_cbranch_execz .LBB738_1099
.LBB738_1165:                           ;   in Loop: Header=BB738_988 Depth=2
	v_add_co_u32_e32 v9, vcc, 0x1000, v37
	v_addc_co_u32_e32 v10, vcc, 0, v38, vcc
	global_load_dwordx2 v[9:10], v[9:10], off offset:2560
	s_or_b64 exec, exec, s[82:83]
	v_cmp_lt_u32_e32 vcc, v167, v174
	s_and_saveexec_b64 s[82:83], vcc
	s_cbranch_execz .LBB738_1100
.LBB738_1166:                           ;   in Loop: Header=BB738_988 Depth=2
	v_add_co_u32_e32 v7, vcc, 0x1000, v37
	v_addc_co_u32_e32 v8, vcc, 0, v38, vcc
	global_load_dwordx2 v[7:8], v[7:8], off offset:3072
	s_or_b64 exec, exec, s[82:83]
	v_cmp_lt_u32_e32 vcc, v168, v174
	s_and_saveexec_b64 s[82:83], vcc
	s_cbranch_execz .LBB738_1101
.LBB738_1167:                           ;   in Loop: Header=BB738_988 Depth=2
	v_add_co_u32_e32 v5, vcc, 0x1000, v37
	v_addc_co_u32_e32 v6, vcc, 0, v38, vcc
	global_load_dwordx2 v[5:6], v[5:6], off offset:3584
	s_or_b64 exec, exec, s[82:83]
	s_and_saveexec_b64 s[82:83], s[40:41]
	s_cbranch_execz .LBB738_1102
.LBB738_1168:                           ;   in Loop: Header=BB738_988 Depth=2
	ds_read_b64 v[37:38], v104 offset:512
	s_waitcnt lgkmcnt(0)
	v_lshrrev_b64 v[37:38], s88, v[37:38]
	v_and_b32_e32 v150, s98, v37
	s_or_b64 exec, exec, s[82:83]
	s_and_saveexec_b64 s[82:83], s[42:43]
	s_cbranch_execz .LBB738_1103
.LBB738_1169:                           ;   in Loop: Header=BB738_988 Depth=2
	ds_read_b64 v[37:38], v104 offset:2560
	s_waitcnt lgkmcnt(0)
	v_lshrrev_b64 v[37:38], s88, v[37:38]
	v_and_b32_e32 v149, s98, v37
	s_or_b64 exec, exec, s[82:83]
	s_and_saveexec_b64 s[82:83], s[44:45]
	s_cbranch_execz .LBB738_1104
.LBB738_1170:                           ;   in Loop: Header=BB738_988 Depth=2
	ds_read_b64 v[37:38], v104 offset:4608
	s_waitcnt lgkmcnt(0)
	v_lshrrev_b64 v[37:38], s88, v[37:38]
	v_and_b32_e32 v148, s98, v37
	s_or_b64 exec, exec, s[82:83]
	s_and_saveexec_b64 s[82:83], s[46:47]
	s_cbranch_execz .LBB738_1105
.LBB738_1171:                           ;   in Loop: Header=BB738_988 Depth=2
	ds_read_b64 v[37:38], v104 offset:6656
	s_waitcnt lgkmcnt(0)
	v_lshrrev_b64 v[37:38], s88, v[37:38]
	v_and_b32_e32 v147, s98, v37
	s_or_b64 exec, exec, s[82:83]
	s_and_saveexec_b64 s[82:83], s[48:49]
	s_cbranch_execz .LBB738_1106
.LBB738_1172:                           ;   in Loop: Header=BB738_988 Depth=2
	ds_read_b64 v[37:38], v104 offset:8704
	s_waitcnt lgkmcnt(0)
	v_lshrrev_b64 v[37:38], s88, v[37:38]
	v_and_b32_e32 v146, s98, v37
	s_or_b64 exec, exec, s[82:83]
	s_and_saveexec_b64 s[82:83], s[50:51]
	s_cbranch_execz .LBB738_1107
.LBB738_1173:                           ;   in Loop: Header=BB738_988 Depth=2
	ds_read_b64 v[37:38], v104 offset:10752
	s_waitcnt lgkmcnt(0)
	v_lshrrev_b64 v[37:38], s88, v[37:38]
	v_and_b32_e32 v145, s98, v37
	s_or_b64 exec, exec, s[82:83]
	s_and_saveexec_b64 s[82:83], s[52:53]
	s_cbranch_execz .LBB738_1108
.LBB738_1174:                           ;   in Loop: Header=BB738_988 Depth=2
	ds_read_b64 v[37:38], v104 offset:12800
	s_waitcnt lgkmcnt(0)
	v_lshrrev_b64 v[37:38], s88, v[37:38]
	v_and_b32_e32 v144, s98, v37
	s_or_b64 exec, exec, s[82:83]
	s_and_saveexec_b64 s[82:83], s[54:55]
	s_cbranch_execz .LBB738_1109
.LBB738_1175:                           ;   in Loop: Header=BB738_988 Depth=2
	ds_read_b64 v[37:38], v104 offset:14848
	s_waitcnt lgkmcnt(0)
	v_lshrrev_b64 v[37:38], s88, v[37:38]
	v_and_b32_e32 v143, s98, v37
	s_or_b64 exec, exec, s[82:83]
	s_and_saveexec_b64 s[82:83], s[56:57]
	s_cbranch_execz .LBB738_1110
.LBB738_1176:                           ;   in Loop: Header=BB738_988 Depth=2
	ds_read_b64 v[37:38], v104 offset:16896
	s_waitcnt lgkmcnt(0)
	v_lshrrev_b64 v[37:38], s88, v[37:38]
	v_and_b32_e32 v142, s98, v37
	s_or_b64 exec, exec, s[82:83]
	s_and_saveexec_b64 s[82:83], s[58:59]
	s_cbranch_execz .LBB738_1111
.LBB738_1177:                           ;   in Loop: Header=BB738_988 Depth=2
	ds_read_b64 v[37:38], v104 offset:18944
	s_waitcnt lgkmcnt(0)
	v_lshrrev_b64 v[37:38], s88, v[37:38]
	v_and_b32_e32 v141, s98, v37
	s_or_b64 exec, exec, s[82:83]
	s_and_saveexec_b64 s[82:83], s[60:61]
	s_cbranch_execz .LBB738_1112
.LBB738_1178:                           ;   in Loop: Header=BB738_988 Depth=2
	ds_read_b64 v[37:38], v104 offset:20992
	s_waitcnt lgkmcnt(0)
	v_lshrrev_b64 v[37:38], s88, v[37:38]
	v_and_b32_e32 v140, s98, v37
	s_or_b64 exec, exec, s[82:83]
	s_and_saveexec_b64 s[82:83], s[62:63]
	s_cbranch_execz .LBB738_1113
.LBB738_1179:                           ;   in Loop: Header=BB738_988 Depth=2
	ds_read_b64 v[37:38], v104 offset:23040
	s_waitcnt lgkmcnt(0)
	v_lshrrev_b64 v[37:38], s88, v[37:38]
	v_and_b32_e32 v139, s98, v37
	s_or_b64 exec, exec, s[82:83]
	s_and_saveexec_b64 s[82:83], s[64:65]
	s_cbranch_execz .LBB738_1114
.LBB738_1180:                           ;   in Loop: Header=BB738_988 Depth=2
	ds_read_b64 v[37:38], v104 offset:25088
	s_waitcnt lgkmcnt(0)
	v_lshrrev_b64 v[37:38], s88, v[37:38]
	v_and_b32_e32 v138, s98, v37
	s_or_b64 exec, exec, s[82:83]
	s_and_saveexec_b64 s[82:83], s[66:67]
	s_cbranch_execz .LBB738_1115
.LBB738_1181:                           ;   in Loop: Header=BB738_988 Depth=2
	ds_read_b64 v[37:38], v104 offset:27136
	s_waitcnt lgkmcnt(0)
	v_lshrrev_b64 v[37:38], s88, v[37:38]
	v_and_b32_e32 v137, s98, v37
	s_or_b64 exec, exec, s[82:83]
	s_and_saveexec_b64 s[82:83], s[68:69]
	s_cbranch_execz .LBB738_1116
.LBB738_1182:                           ;   in Loop: Header=BB738_988 Depth=2
	ds_read_b64 v[37:38], v104 offset:29184
	s_waitcnt lgkmcnt(0)
	v_lshrrev_b64 v[37:38], s88, v[37:38]
	v_and_b32_e32 v136, s98, v37
	s_or_b64 exec, exec, s[82:83]
	s_and_saveexec_b64 s[82:83], s[70:71]
	s_cbranch_execnz .LBB738_1117
	s_branch .LBB738_1118
.LBB738_1183:                           ;   in Loop: Header=BB738_988 Depth=2
	v_lshlrev_b32_e32 v37, 2, v150
	ds_read_b32 v39, v37
	ds_read_b64 v[37:38], v104 offset:512
	v_mov_b32_e32 v40, v3
	v_mov_b32_e32 v41, s87
	s_waitcnt lgkmcnt(1)
	v_add_u32_e32 v39, v39, v0
	v_lshlrev_b64 v[39:40], 3, v[39:40]
	v_add_co_u32_e32 v39, vcc, s86, v39
	v_addc_co_u32_e32 v40, vcc, v41, v40, vcc
	s_waitcnt lgkmcnt(0)
	global_store_dwordx2 v[39:40], v[37:38], off
	s_or_b64 exec, exec, s[82:83]
	s_and_saveexec_b64 s[40:41], s[42:43]
	s_cbranch_execz .LBB738_1120
.LBB738_1184:                           ;   in Loop: Header=BB738_988 Depth=2
	v_lshlrev_b32_e32 v37, 2, v149
	ds_read_b32 v39, v37
	ds_read_b64 v[37:38], v104 offset:2560
	v_mov_b32_e32 v40, v3
	v_mov_b32_e32 v41, s87
	s_waitcnt lgkmcnt(1)
	v_add_u32_e32 v39, v39, v72
	v_lshlrev_b64 v[39:40], 3, v[39:40]
	v_add_co_u32_e32 v39, vcc, s86, v39
	v_addc_co_u32_e32 v40, vcc, v41, v40, vcc
	s_waitcnt lgkmcnt(0)
	global_store_dwordx2 v[39:40], v[37:38], off
	s_or_b64 exec, exec, s[40:41]
	s_and_saveexec_b64 s[40:41], s[44:45]
	s_cbranch_execz .LBB738_1121
.LBB738_1185:                           ;   in Loop: Header=BB738_988 Depth=2
	v_lshlrev_b32_e32 v37, 2, v148
	ds_read_b32 v39, v37
	ds_read_b64 v[37:38], v104 offset:4608
	v_mov_b32_e32 v40, v3
	v_mov_b32_e32 v41, s87
	s_waitcnt lgkmcnt(1)
	v_add_u32_e32 v39, v39, v75
	v_lshlrev_b64 v[39:40], 3, v[39:40]
	v_add_co_u32_e32 v39, vcc, s86, v39
	v_addc_co_u32_e32 v40, vcc, v41, v40, vcc
	s_waitcnt lgkmcnt(0)
	global_store_dwordx2 v[39:40], v[37:38], off
	s_or_b64 exec, exec, s[40:41]
	s_and_saveexec_b64 s[40:41], s[46:47]
	s_cbranch_execz .LBB738_1122
.LBB738_1186:                           ;   in Loop: Header=BB738_988 Depth=2
	v_lshlrev_b32_e32 v37, 2, v147
	ds_read_b32 v39, v37
	ds_read_b64 v[37:38], v104 offset:6656
	v_mov_b32_e32 v40, v3
	v_mov_b32_e32 v41, s87
	s_waitcnt lgkmcnt(1)
	v_add_u32_e32 v39, v39, v76
	v_lshlrev_b64 v[39:40], 3, v[39:40]
	v_add_co_u32_e32 v39, vcc, s86, v39
	v_addc_co_u32_e32 v40, vcc, v41, v40, vcc
	s_waitcnt lgkmcnt(0)
	global_store_dwordx2 v[39:40], v[37:38], off
	s_or_b64 exec, exec, s[40:41]
	s_and_saveexec_b64 s[40:41], s[48:49]
	s_cbranch_execz .LBB738_1123
.LBB738_1187:                           ;   in Loop: Header=BB738_988 Depth=2
	v_lshlrev_b32_e32 v37, 2, v146
	ds_read_b32 v39, v37
	ds_read_b64 v[37:38], v104 offset:8704
	v_mov_b32_e32 v40, v3
	v_mov_b32_e32 v41, s87
	s_waitcnt lgkmcnt(1)
	v_add_u32_e32 v39, v39, v77
	v_lshlrev_b64 v[39:40], 3, v[39:40]
	v_add_co_u32_e32 v39, vcc, s86, v39
	v_addc_co_u32_e32 v40, vcc, v41, v40, vcc
	s_waitcnt lgkmcnt(0)
	global_store_dwordx2 v[39:40], v[37:38], off
	s_or_b64 exec, exec, s[40:41]
	s_and_saveexec_b64 s[40:41], s[50:51]
	s_cbranch_execz .LBB738_1124
.LBB738_1188:                           ;   in Loop: Header=BB738_988 Depth=2
	v_lshlrev_b32_e32 v37, 2, v145
	ds_read_b32 v39, v37
	ds_read_b64 v[37:38], v104 offset:10752
	v_mov_b32_e32 v40, v3
	v_mov_b32_e32 v41, s87
	s_waitcnt lgkmcnt(1)
	v_add_u32_e32 v39, v39, v78
	v_lshlrev_b64 v[39:40], 3, v[39:40]
	v_add_co_u32_e32 v39, vcc, s86, v39
	v_addc_co_u32_e32 v40, vcc, v41, v40, vcc
	s_waitcnt lgkmcnt(0)
	global_store_dwordx2 v[39:40], v[37:38], off
	s_or_b64 exec, exec, s[40:41]
	s_and_saveexec_b64 s[40:41], s[52:53]
	s_cbranch_execz .LBB738_1125
.LBB738_1189:                           ;   in Loop: Header=BB738_988 Depth=2
	v_lshlrev_b32_e32 v37, 2, v144
	ds_read_b32 v39, v37
	ds_read_b64 v[37:38], v104 offset:12800
	v_mov_b32_e32 v40, v3
	v_mov_b32_e32 v41, s87
	s_waitcnt lgkmcnt(1)
	v_add_u32_e32 v39, v39, v79
	v_lshlrev_b64 v[39:40], 3, v[39:40]
	v_add_co_u32_e32 v39, vcc, s86, v39
	v_addc_co_u32_e32 v40, vcc, v41, v40, vcc
	s_waitcnt lgkmcnt(0)
	global_store_dwordx2 v[39:40], v[37:38], off
	s_or_b64 exec, exec, s[40:41]
	s_and_saveexec_b64 s[40:41], s[54:55]
	s_cbranch_execz .LBB738_1126
.LBB738_1190:                           ;   in Loop: Header=BB738_988 Depth=2
	v_lshlrev_b32_e32 v37, 2, v143
	ds_read_b32 v39, v37
	ds_read_b64 v[37:38], v104 offset:14848
	v_mov_b32_e32 v40, v3
	v_mov_b32_e32 v41, s87
	s_waitcnt lgkmcnt(1)
	v_add_u32_e32 v39, v39, v80
	v_lshlrev_b64 v[39:40], 3, v[39:40]
	v_add_co_u32_e32 v39, vcc, s86, v39
	v_addc_co_u32_e32 v40, vcc, v41, v40, vcc
	s_waitcnt lgkmcnt(0)
	global_store_dwordx2 v[39:40], v[37:38], off
	s_or_b64 exec, exec, s[40:41]
	s_and_saveexec_b64 s[40:41], s[56:57]
	s_cbranch_execz .LBB738_1127
.LBB738_1191:                           ;   in Loop: Header=BB738_988 Depth=2
	v_lshlrev_b32_e32 v37, 2, v142
	ds_read_b32 v39, v37
	ds_read_b64 v[37:38], v104 offset:16896
	v_mov_b32_e32 v40, v3
	v_mov_b32_e32 v41, s87
	s_waitcnt lgkmcnt(1)
	v_add_u32_e32 v39, v39, v81
	v_lshlrev_b64 v[39:40], 3, v[39:40]
	v_add_co_u32_e32 v39, vcc, s86, v39
	v_addc_co_u32_e32 v40, vcc, v41, v40, vcc
	s_waitcnt lgkmcnt(0)
	global_store_dwordx2 v[39:40], v[37:38], off
	s_or_b64 exec, exec, s[40:41]
	s_and_saveexec_b64 s[40:41], s[58:59]
	s_cbranch_execz .LBB738_1128
.LBB738_1192:                           ;   in Loop: Header=BB738_988 Depth=2
	v_lshlrev_b32_e32 v37, 2, v141
	ds_read_b32 v39, v37
	ds_read_b64 v[37:38], v104 offset:18944
	v_mov_b32_e32 v40, v3
	v_mov_b32_e32 v41, s87
	s_waitcnt lgkmcnt(1)
	v_add_u32_e32 v39, v39, v82
	v_lshlrev_b64 v[39:40], 3, v[39:40]
	v_add_co_u32_e32 v39, vcc, s86, v39
	v_addc_co_u32_e32 v40, vcc, v41, v40, vcc
	s_waitcnt lgkmcnt(0)
	global_store_dwordx2 v[39:40], v[37:38], off
	s_or_b64 exec, exec, s[40:41]
	s_and_saveexec_b64 s[40:41], s[60:61]
	s_cbranch_execz .LBB738_1129
.LBB738_1193:                           ;   in Loop: Header=BB738_988 Depth=2
	v_lshlrev_b32_e32 v37, 2, v140
	ds_read_b32 v39, v37
	ds_read_b64 v[37:38], v104 offset:20992
	v_mov_b32_e32 v40, v3
	v_mov_b32_e32 v41, s87
	s_waitcnt lgkmcnt(1)
	v_add_u32_e32 v39, v39, v83
	v_lshlrev_b64 v[39:40], 3, v[39:40]
	v_add_co_u32_e32 v39, vcc, s86, v39
	v_addc_co_u32_e32 v40, vcc, v41, v40, vcc
	s_waitcnt lgkmcnt(0)
	global_store_dwordx2 v[39:40], v[37:38], off
	s_or_b64 exec, exec, s[40:41]
	s_and_saveexec_b64 s[40:41], s[62:63]
	s_cbranch_execz .LBB738_1130
.LBB738_1194:                           ;   in Loop: Header=BB738_988 Depth=2
	v_lshlrev_b32_e32 v37, 2, v139
	ds_read_b32 v39, v37
	ds_read_b64 v[37:38], v104 offset:23040
	v_mov_b32_e32 v40, v3
	v_mov_b32_e32 v41, s87
	s_waitcnt lgkmcnt(1)
	v_add_u32_e32 v39, v39, v84
	v_lshlrev_b64 v[39:40], 3, v[39:40]
	v_add_co_u32_e32 v39, vcc, s86, v39
	v_addc_co_u32_e32 v40, vcc, v41, v40, vcc
	s_waitcnt lgkmcnt(0)
	global_store_dwordx2 v[39:40], v[37:38], off
	s_or_b64 exec, exec, s[40:41]
	s_and_saveexec_b64 s[40:41], s[64:65]
	s_cbranch_execz .LBB738_1131
.LBB738_1195:                           ;   in Loop: Header=BB738_988 Depth=2
	v_lshlrev_b32_e32 v37, 2, v138
	ds_read_b32 v39, v37
	ds_read_b64 v[37:38], v104 offset:25088
	v_mov_b32_e32 v40, v3
	v_mov_b32_e32 v41, s87
	s_waitcnt lgkmcnt(1)
	v_add_u32_e32 v39, v39, v85
	v_lshlrev_b64 v[39:40], 3, v[39:40]
	v_add_co_u32_e32 v39, vcc, s86, v39
	v_addc_co_u32_e32 v40, vcc, v41, v40, vcc
	s_waitcnt lgkmcnt(0)
	global_store_dwordx2 v[39:40], v[37:38], off
	s_or_b64 exec, exec, s[40:41]
	s_and_saveexec_b64 s[40:41], s[66:67]
	s_cbranch_execz .LBB738_1132
.LBB738_1196:                           ;   in Loop: Header=BB738_988 Depth=2
	v_lshlrev_b32_e32 v37, 2, v137
	ds_read_b32 v39, v37
	ds_read_b64 v[37:38], v104 offset:27136
	v_mov_b32_e32 v40, v3
	v_mov_b32_e32 v41, s87
	s_waitcnt lgkmcnt(1)
	v_add_u32_e32 v39, v39, v86
	v_lshlrev_b64 v[39:40], 3, v[39:40]
	v_add_co_u32_e32 v39, vcc, s86, v39
	v_addc_co_u32_e32 v40, vcc, v41, v40, vcc
	s_waitcnt lgkmcnt(0)
	global_store_dwordx2 v[39:40], v[37:38], off
	s_or_b64 exec, exec, s[40:41]
	s_and_saveexec_b64 s[40:41], s[68:69]
	s_cbranch_execz .LBB738_1133
.LBB738_1197:                           ;   in Loop: Header=BB738_988 Depth=2
	v_lshlrev_b32_e32 v37, 2, v136
	ds_read_b32 v39, v37
	ds_read_b64 v[37:38], v104 offset:29184
	v_mov_b32_e32 v40, v3
	v_mov_b32_e32 v41, s87
	s_waitcnt lgkmcnt(1)
	v_add_u32_e32 v39, v39, v87
	v_lshlrev_b64 v[39:40], 3, v[39:40]
	v_add_co_u32_e32 v39, vcc, s86, v39
	v_addc_co_u32_e32 v40, vcc, v41, v40, vcc
	s_waitcnt lgkmcnt(0)
	global_store_dwordx2 v[39:40], v[37:38], off
	s_or_b64 exec, exec, s[40:41]
	s_and_saveexec_b64 s[40:41], s[70:71]
	s_cbranch_execnz .LBB738_1134
	s_branch .LBB738_1135
.LBB738_1198:
	s_endpgm
	.section	.rodata,"a",@progbits
	.p2align	6, 0x0
	.amdhsa_kernel _ZN7rocprim17ROCPRIM_400000_NS6detail17trampoline_kernelINS0_14default_configENS1_36segmented_radix_sort_config_selectorIllEEZNS1_25segmented_radix_sort_implIS3_Lb1EPKlPlS8_S9_N2at6native12_GLOBAL__N_18offset_tEEE10hipError_tPvRmT1_PNSt15iterator_traitsISH_E10value_typeET2_T3_PNSI_ISN_E10value_typeET4_jRbjT5_ST_jjP12ihipStream_tbEUlT_E2_NS1_11comp_targetILNS1_3genE2ELNS1_11target_archE906ELNS1_3gpuE6ELNS1_3repE0EEENS1_30default_config_static_selectorELNS0_4arch9wavefront6targetE1EEEvSH_
		.amdhsa_group_segment_fixed_size 33288
		.amdhsa_private_segment_fixed_size 160
		.amdhsa_kernarg_size 336
		.amdhsa_user_sgpr_count 6
		.amdhsa_user_sgpr_private_segment_buffer 1
		.amdhsa_user_sgpr_dispatch_ptr 0
		.amdhsa_user_sgpr_queue_ptr 0
		.amdhsa_user_sgpr_kernarg_segment_ptr 1
		.amdhsa_user_sgpr_dispatch_id 0
		.amdhsa_user_sgpr_flat_scratch_init 0
		.amdhsa_user_sgpr_private_segment_size 0
		.amdhsa_uses_dynamic_stack 0
		.amdhsa_system_sgpr_private_segment_wavefront_offset 1
		.amdhsa_system_sgpr_workgroup_id_x 1
		.amdhsa_system_sgpr_workgroup_id_y 1
		.amdhsa_system_sgpr_workgroup_id_z 0
		.amdhsa_system_sgpr_workgroup_info 0
		.amdhsa_system_vgpr_workitem_id 2
		.amdhsa_next_free_vgpr 248
		.amdhsa_next_free_sgpr 100
		.amdhsa_reserve_vcc 1
		.amdhsa_reserve_flat_scratch 0
		.amdhsa_float_round_mode_32 0
		.amdhsa_float_round_mode_16_64 0
		.amdhsa_float_denorm_mode_32 3
		.amdhsa_float_denorm_mode_16_64 3
		.amdhsa_dx10_clamp 1
		.amdhsa_ieee_mode 1
		.amdhsa_fp16_overflow 0
		.amdhsa_exception_fp_ieee_invalid_op 0
		.amdhsa_exception_fp_denorm_src 0
		.amdhsa_exception_fp_ieee_div_zero 0
		.amdhsa_exception_fp_ieee_overflow 0
		.amdhsa_exception_fp_ieee_underflow 0
		.amdhsa_exception_fp_ieee_inexact 0
		.amdhsa_exception_int_div_zero 0
	.end_amdhsa_kernel
	.section	.text._ZN7rocprim17ROCPRIM_400000_NS6detail17trampoline_kernelINS0_14default_configENS1_36segmented_radix_sort_config_selectorIllEEZNS1_25segmented_radix_sort_implIS3_Lb1EPKlPlS8_S9_N2at6native12_GLOBAL__N_18offset_tEEE10hipError_tPvRmT1_PNSt15iterator_traitsISH_E10value_typeET2_T3_PNSI_ISN_E10value_typeET4_jRbjT5_ST_jjP12ihipStream_tbEUlT_E2_NS1_11comp_targetILNS1_3genE2ELNS1_11target_archE906ELNS1_3gpuE6ELNS1_3repE0EEENS1_30default_config_static_selectorELNS0_4arch9wavefront6targetE1EEEvSH_,"axG",@progbits,_ZN7rocprim17ROCPRIM_400000_NS6detail17trampoline_kernelINS0_14default_configENS1_36segmented_radix_sort_config_selectorIllEEZNS1_25segmented_radix_sort_implIS3_Lb1EPKlPlS8_S9_N2at6native12_GLOBAL__N_18offset_tEEE10hipError_tPvRmT1_PNSt15iterator_traitsISH_E10value_typeET2_T3_PNSI_ISN_E10value_typeET4_jRbjT5_ST_jjP12ihipStream_tbEUlT_E2_NS1_11comp_targetILNS1_3genE2ELNS1_11target_archE906ELNS1_3gpuE6ELNS1_3repE0EEENS1_30default_config_static_selectorELNS0_4arch9wavefront6targetE1EEEvSH_,comdat
.Lfunc_end738:
	.size	_ZN7rocprim17ROCPRIM_400000_NS6detail17trampoline_kernelINS0_14default_configENS1_36segmented_radix_sort_config_selectorIllEEZNS1_25segmented_radix_sort_implIS3_Lb1EPKlPlS8_S9_N2at6native12_GLOBAL__N_18offset_tEEE10hipError_tPvRmT1_PNSt15iterator_traitsISH_E10value_typeET2_T3_PNSI_ISN_E10value_typeET4_jRbjT5_ST_jjP12ihipStream_tbEUlT_E2_NS1_11comp_targetILNS1_3genE2ELNS1_11target_archE906ELNS1_3gpuE6ELNS1_3repE0EEENS1_30default_config_static_selectorELNS0_4arch9wavefront6targetE1EEEvSH_, .Lfunc_end738-_ZN7rocprim17ROCPRIM_400000_NS6detail17trampoline_kernelINS0_14default_configENS1_36segmented_radix_sort_config_selectorIllEEZNS1_25segmented_radix_sort_implIS3_Lb1EPKlPlS8_S9_N2at6native12_GLOBAL__N_18offset_tEEE10hipError_tPvRmT1_PNSt15iterator_traitsISH_E10value_typeET2_T3_PNSI_ISN_E10value_typeET4_jRbjT5_ST_jjP12ihipStream_tbEUlT_E2_NS1_11comp_targetILNS1_3genE2ELNS1_11target_archE906ELNS1_3gpuE6ELNS1_3repE0EEENS1_30default_config_static_selectorELNS0_4arch9wavefront6targetE1EEEvSH_
                                        ; -- End function
	.set _ZN7rocprim17ROCPRIM_400000_NS6detail17trampoline_kernelINS0_14default_configENS1_36segmented_radix_sort_config_selectorIllEEZNS1_25segmented_radix_sort_implIS3_Lb1EPKlPlS8_S9_N2at6native12_GLOBAL__N_18offset_tEEE10hipError_tPvRmT1_PNSt15iterator_traitsISH_E10value_typeET2_T3_PNSI_ISN_E10value_typeET4_jRbjT5_ST_jjP12ihipStream_tbEUlT_E2_NS1_11comp_targetILNS1_3genE2ELNS1_11target_archE906ELNS1_3gpuE6ELNS1_3repE0EEENS1_30default_config_static_selectorELNS0_4arch9wavefront6targetE1EEEvSH_.num_vgpr, max(233, .L_ZN7rocprim17ROCPRIM_400000_NS6detail26segmented_warp_sort_helperINS1_20WarpSortHelperConfigILj8ELj8ELj256EEEllLi256ELb1EvE4sortIPKlPlS8_S9_EEvT_T0_T1_T2_jjjjRNS5_12storage_typeE.num_vgpr, .L_ZN7rocprim17ROCPRIM_400000_NS6detail40segmented_radix_sort_single_block_helperIllLj256ELj16ELb1EE4sortIPKlPlS6_S7_EEbT_T0_T1_T2_jjjjRNS3_12storage_typeE.num_vgpr)
	.set _ZN7rocprim17ROCPRIM_400000_NS6detail17trampoline_kernelINS0_14default_configENS1_36segmented_radix_sort_config_selectorIllEEZNS1_25segmented_radix_sort_implIS3_Lb1EPKlPlS8_S9_N2at6native12_GLOBAL__N_18offset_tEEE10hipError_tPvRmT1_PNSt15iterator_traitsISH_E10value_typeET2_T3_PNSI_ISN_E10value_typeET4_jRbjT5_ST_jjP12ihipStream_tbEUlT_E2_NS1_11comp_targetILNS1_3genE2ELNS1_11target_archE906ELNS1_3gpuE6ELNS1_3repE0EEENS1_30default_config_static_selectorELNS0_4arch9wavefront6targetE1EEEvSH_.num_agpr, max(0, .L_ZN7rocprim17ROCPRIM_400000_NS6detail26segmented_warp_sort_helperINS1_20WarpSortHelperConfigILj8ELj8ELj256EEEllLi256ELb1EvE4sortIPKlPlS8_S9_EEvT_T0_T1_T2_jjjjRNS5_12storage_typeE.num_agpr, .L_ZN7rocprim17ROCPRIM_400000_NS6detail40segmented_radix_sort_single_block_helperIllLj256ELj16ELb1EE4sortIPKlPlS6_S7_EEbT_T0_T1_T2_jjjjRNS3_12storage_typeE.num_agpr)
	.set _ZN7rocprim17ROCPRIM_400000_NS6detail17trampoline_kernelINS0_14default_configENS1_36segmented_radix_sort_config_selectorIllEEZNS1_25segmented_radix_sort_implIS3_Lb1EPKlPlS8_S9_N2at6native12_GLOBAL__N_18offset_tEEE10hipError_tPvRmT1_PNSt15iterator_traitsISH_E10value_typeET2_T3_PNSI_ISN_E10value_typeET4_jRbjT5_ST_jjP12ihipStream_tbEUlT_E2_NS1_11comp_targetILNS1_3genE2ELNS1_11target_archE906ELNS1_3gpuE6ELNS1_3repE0EEENS1_30default_config_static_selectorELNS0_4arch9wavefront6targetE1EEEvSH_.numbered_sgpr, max(100, .L_ZN7rocprim17ROCPRIM_400000_NS6detail26segmented_warp_sort_helperINS1_20WarpSortHelperConfigILj8ELj8ELj256EEEllLi256ELb1EvE4sortIPKlPlS8_S9_EEvT_T0_T1_T2_jjjjRNS5_12storage_typeE.numbered_sgpr, .L_ZN7rocprim17ROCPRIM_400000_NS6detail40segmented_radix_sort_single_block_helperIllLj256ELj16ELb1EE4sortIPKlPlS6_S7_EEbT_T0_T1_T2_jjjjRNS3_12storage_typeE.numbered_sgpr)
	.set _ZN7rocprim17ROCPRIM_400000_NS6detail17trampoline_kernelINS0_14default_configENS1_36segmented_radix_sort_config_selectorIllEEZNS1_25segmented_radix_sort_implIS3_Lb1EPKlPlS8_S9_N2at6native12_GLOBAL__N_18offset_tEEE10hipError_tPvRmT1_PNSt15iterator_traitsISH_E10value_typeET2_T3_PNSI_ISN_E10value_typeET4_jRbjT5_ST_jjP12ihipStream_tbEUlT_E2_NS1_11comp_targetILNS1_3genE2ELNS1_11target_archE906ELNS1_3gpuE6ELNS1_3repE0EEENS1_30default_config_static_selectorELNS0_4arch9wavefront6targetE1EEEvSH_.num_named_barrier, max(0, .L_ZN7rocprim17ROCPRIM_400000_NS6detail26segmented_warp_sort_helperINS1_20WarpSortHelperConfigILj8ELj8ELj256EEEllLi256ELb1EvE4sortIPKlPlS8_S9_EEvT_T0_T1_T2_jjjjRNS5_12storage_typeE.num_named_barrier, .L_ZN7rocprim17ROCPRIM_400000_NS6detail40segmented_radix_sort_single_block_helperIllLj256ELj16ELb1EE4sortIPKlPlS6_S7_EEbT_T0_T1_T2_jjjjRNS3_12storage_typeE.num_named_barrier)
	.set _ZN7rocprim17ROCPRIM_400000_NS6detail17trampoline_kernelINS0_14default_configENS1_36segmented_radix_sort_config_selectorIllEEZNS1_25segmented_radix_sort_implIS3_Lb1EPKlPlS8_S9_N2at6native12_GLOBAL__N_18offset_tEEE10hipError_tPvRmT1_PNSt15iterator_traitsISH_E10value_typeET2_T3_PNSI_ISN_E10value_typeET4_jRbjT5_ST_jjP12ihipStream_tbEUlT_E2_NS1_11comp_targetILNS1_3genE2ELNS1_11target_archE906ELNS1_3gpuE6ELNS1_3repE0EEENS1_30default_config_static_selectorELNS0_4arch9wavefront6targetE1EEEvSH_.private_seg_size, 0+max(.L_ZN7rocprim17ROCPRIM_400000_NS6detail26segmented_warp_sort_helperINS1_20WarpSortHelperConfigILj8ELj8ELj256EEEllLi256ELb1EvE4sortIPKlPlS8_S9_EEvT_T0_T1_T2_jjjjRNS5_12storage_typeE.private_seg_size, .L_ZN7rocprim17ROCPRIM_400000_NS6detail40segmented_radix_sort_single_block_helperIllLj256ELj16ELb1EE4sortIPKlPlS6_S7_EEbT_T0_T1_T2_jjjjRNS3_12storage_typeE.private_seg_size)
	.set _ZN7rocprim17ROCPRIM_400000_NS6detail17trampoline_kernelINS0_14default_configENS1_36segmented_radix_sort_config_selectorIllEEZNS1_25segmented_radix_sort_implIS3_Lb1EPKlPlS8_S9_N2at6native12_GLOBAL__N_18offset_tEEE10hipError_tPvRmT1_PNSt15iterator_traitsISH_E10value_typeET2_T3_PNSI_ISN_E10value_typeET4_jRbjT5_ST_jjP12ihipStream_tbEUlT_E2_NS1_11comp_targetILNS1_3genE2ELNS1_11target_archE906ELNS1_3gpuE6ELNS1_3repE0EEENS1_30default_config_static_selectorELNS0_4arch9wavefront6targetE1EEEvSH_.uses_vcc, or(1, .L_ZN7rocprim17ROCPRIM_400000_NS6detail26segmented_warp_sort_helperINS1_20WarpSortHelperConfigILj8ELj8ELj256EEEllLi256ELb1EvE4sortIPKlPlS8_S9_EEvT_T0_T1_T2_jjjjRNS5_12storage_typeE.uses_vcc, .L_ZN7rocprim17ROCPRIM_400000_NS6detail40segmented_radix_sort_single_block_helperIllLj256ELj16ELb1EE4sortIPKlPlS6_S7_EEbT_T0_T1_T2_jjjjRNS3_12storage_typeE.uses_vcc)
	.set _ZN7rocprim17ROCPRIM_400000_NS6detail17trampoline_kernelINS0_14default_configENS1_36segmented_radix_sort_config_selectorIllEEZNS1_25segmented_radix_sort_implIS3_Lb1EPKlPlS8_S9_N2at6native12_GLOBAL__N_18offset_tEEE10hipError_tPvRmT1_PNSt15iterator_traitsISH_E10value_typeET2_T3_PNSI_ISN_E10value_typeET4_jRbjT5_ST_jjP12ihipStream_tbEUlT_E2_NS1_11comp_targetILNS1_3genE2ELNS1_11target_archE906ELNS1_3gpuE6ELNS1_3repE0EEENS1_30default_config_static_selectorELNS0_4arch9wavefront6targetE1EEEvSH_.uses_flat_scratch, or(0, .L_ZN7rocprim17ROCPRIM_400000_NS6detail26segmented_warp_sort_helperINS1_20WarpSortHelperConfigILj8ELj8ELj256EEEllLi256ELb1EvE4sortIPKlPlS8_S9_EEvT_T0_T1_T2_jjjjRNS5_12storage_typeE.uses_flat_scratch, .L_ZN7rocprim17ROCPRIM_400000_NS6detail40segmented_radix_sort_single_block_helperIllLj256ELj16ELb1EE4sortIPKlPlS6_S7_EEbT_T0_T1_T2_jjjjRNS3_12storage_typeE.uses_flat_scratch)
	.set _ZN7rocprim17ROCPRIM_400000_NS6detail17trampoline_kernelINS0_14default_configENS1_36segmented_radix_sort_config_selectorIllEEZNS1_25segmented_radix_sort_implIS3_Lb1EPKlPlS8_S9_N2at6native12_GLOBAL__N_18offset_tEEE10hipError_tPvRmT1_PNSt15iterator_traitsISH_E10value_typeET2_T3_PNSI_ISN_E10value_typeET4_jRbjT5_ST_jjP12ihipStream_tbEUlT_E2_NS1_11comp_targetILNS1_3genE2ELNS1_11target_archE906ELNS1_3gpuE6ELNS1_3repE0EEENS1_30default_config_static_selectorELNS0_4arch9wavefront6targetE1EEEvSH_.has_dyn_sized_stack, or(0, .L_ZN7rocprim17ROCPRIM_400000_NS6detail26segmented_warp_sort_helperINS1_20WarpSortHelperConfigILj8ELj8ELj256EEEllLi256ELb1EvE4sortIPKlPlS8_S9_EEvT_T0_T1_T2_jjjjRNS5_12storage_typeE.has_dyn_sized_stack, .L_ZN7rocprim17ROCPRIM_400000_NS6detail40segmented_radix_sort_single_block_helperIllLj256ELj16ELb1EE4sortIPKlPlS6_S7_EEbT_T0_T1_T2_jjjjRNS3_12storage_typeE.has_dyn_sized_stack)
	.set _ZN7rocprim17ROCPRIM_400000_NS6detail17trampoline_kernelINS0_14default_configENS1_36segmented_radix_sort_config_selectorIllEEZNS1_25segmented_radix_sort_implIS3_Lb1EPKlPlS8_S9_N2at6native12_GLOBAL__N_18offset_tEEE10hipError_tPvRmT1_PNSt15iterator_traitsISH_E10value_typeET2_T3_PNSI_ISN_E10value_typeET4_jRbjT5_ST_jjP12ihipStream_tbEUlT_E2_NS1_11comp_targetILNS1_3genE2ELNS1_11target_archE906ELNS1_3gpuE6ELNS1_3repE0EEENS1_30default_config_static_selectorELNS0_4arch9wavefront6targetE1EEEvSH_.has_recursion, or(0, .L_ZN7rocprim17ROCPRIM_400000_NS6detail26segmented_warp_sort_helperINS1_20WarpSortHelperConfigILj8ELj8ELj256EEEllLi256ELb1EvE4sortIPKlPlS8_S9_EEvT_T0_T1_T2_jjjjRNS5_12storage_typeE.has_recursion, .L_ZN7rocprim17ROCPRIM_400000_NS6detail40segmented_radix_sort_single_block_helperIllLj256ELj16ELb1EE4sortIPKlPlS6_S7_EEbT_T0_T1_T2_jjjjRNS3_12storage_typeE.has_recursion)
	.set _ZN7rocprim17ROCPRIM_400000_NS6detail17trampoline_kernelINS0_14default_configENS1_36segmented_radix_sort_config_selectorIllEEZNS1_25segmented_radix_sort_implIS3_Lb1EPKlPlS8_S9_N2at6native12_GLOBAL__N_18offset_tEEE10hipError_tPvRmT1_PNSt15iterator_traitsISH_E10value_typeET2_T3_PNSI_ISN_E10value_typeET4_jRbjT5_ST_jjP12ihipStream_tbEUlT_E2_NS1_11comp_targetILNS1_3genE2ELNS1_11target_archE906ELNS1_3gpuE6ELNS1_3repE0EEENS1_30default_config_static_selectorELNS0_4arch9wavefront6targetE1EEEvSH_.has_indirect_call, or(0, .L_ZN7rocprim17ROCPRIM_400000_NS6detail26segmented_warp_sort_helperINS1_20WarpSortHelperConfigILj8ELj8ELj256EEEllLi256ELb1EvE4sortIPKlPlS8_S9_EEvT_T0_T1_T2_jjjjRNS5_12storage_typeE.has_indirect_call, .L_ZN7rocprim17ROCPRIM_400000_NS6detail40segmented_radix_sort_single_block_helperIllLj256ELj16ELb1EE4sortIPKlPlS6_S7_EEbT_T0_T1_T2_jjjjRNS3_12storage_typeE.has_indirect_call)
	.section	.AMDGPU.csdata,"",@progbits
; Kernel info:
; codeLenInByte = 66592
; TotalNumSgprs: 104
; NumVgprs: 248
; ScratchSize: 160
; MemoryBound: 0
; FloatMode: 240
; IeeeMode: 1
; LDSByteSize: 33288 bytes/workgroup (compile time only)
; SGPRBlocks: 12
; VGPRBlocks: 61
; NumSGPRsForWavesPerEU: 104
; NumVGPRsForWavesPerEU: 248
; Occupancy: 1
; WaveLimiterHint : 1
; COMPUTE_PGM_RSRC2:SCRATCH_EN: 1
; COMPUTE_PGM_RSRC2:USER_SGPR: 6
; COMPUTE_PGM_RSRC2:TRAP_HANDLER: 0
; COMPUTE_PGM_RSRC2:TGID_X_EN: 1
; COMPUTE_PGM_RSRC2:TGID_Y_EN: 1
; COMPUTE_PGM_RSRC2:TGID_Z_EN: 0
; COMPUTE_PGM_RSRC2:TIDIG_COMP_CNT: 2
	.section	.text._ZN7rocprim17ROCPRIM_400000_NS6detail17trampoline_kernelINS0_14default_configENS1_36segmented_radix_sort_config_selectorIllEEZNS1_25segmented_radix_sort_implIS3_Lb1EPKlPlS8_S9_N2at6native12_GLOBAL__N_18offset_tEEE10hipError_tPvRmT1_PNSt15iterator_traitsISH_E10value_typeET2_T3_PNSI_ISN_E10value_typeET4_jRbjT5_ST_jjP12ihipStream_tbEUlT_E2_NS1_11comp_targetILNS1_3genE10ELNS1_11target_archE1201ELNS1_3gpuE5ELNS1_3repE0EEENS1_30default_config_static_selectorELNS0_4arch9wavefront6targetE1EEEvSH_,"axG",@progbits,_ZN7rocprim17ROCPRIM_400000_NS6detail17trampoline_kernelINS0_14default_configENS1_36segmented_radix_sort_config_selectorIllEEZNS1_25segmented_radix_sort_implIS3_Lb1EPKlPlS8_S9_N2at6native12_GLOBAL__N_18offset_tEEE10hipError_tPvRmT1_PNSt15iterator_traitsISH_E10value_typeET2_T3_PNSI_ISN_E10value_typeET4_jRbjT5_ST_jjP12ihipStream_tbEUlT_E2_NS1_11comp_targetILNS1_3genE10ELNS1_11target_archE1201ELNS1_3gpuE5ELNS1_3repE0EEENS1_30default_config_static_selectorELNS0_4arch9wavefront6targetE1EEEvSH_,comdat
	.globl	_ZN7rocprim17ROCPRIM_400000_NS6detail17trampoline_kernelINS0_14default_configENS1_36segmented_radix_sort_config_selectorIllEEZNS1_25segmented_radix_sort_implIS3_Lb1EPKlPlS8_S9_N2at6native12_GLOBAL__N_18offset_tEEE10hipError_tPvRmT1_PNSt15iterator_traitsISH_E10value_typeET2_T3_PNSI_ISN_E10value_typeET4_jRbjT5_ST_jjP12ihipStream_tbEUlT_E2_NS1_11comp_targetILNS1_3genE10ELNS1_11target_archE1201ELNS1_3gpuE5ELNS1_3repE0EEENS1_30default_config_static_selectorELNS0_4arch9wavefront6targetE1EEEvSH_ ; -- Begin function _ZN7rocprim17ROCPRIM_400000_NS6detail17trampoline_kernelINS0_14default_configENS1_36segmented_radix_sort_config_selectorIllEEZNS1_25segmented_radix_sort_implIS3_Lb1EPKlPlS8_S9_N2at6native12_GLOBAL__N_18offset_tEEE10hipError_tPvRmT1_PNSt15iterator_traitsISH_E10value_typeET2_T3_PNSI_ISN_E10value_typeET4_jRbjT5_ST_jjP12ihipStream_tbEUlT_E2_NS1_11comp_targetILNS1_3genE10ELNS1_11target_archE1201ELNS1_3gpuE5ELNS1_3repE0EEENS1_30default_config_static_selectorELNS0_4arch9wavefront6targetE1EEEvSH_
	.p2align	8
	.type	_ZN7rocprim17ROCPRIM_400000_NS6detail17trampoline_kernelINS0_14default_configENS1_36segmented_radix_sort_config_selectorIllEEZNS1_25segmented_radix_sort_implIS3_Lb1EPKlPlS8_S9_N2at6native12_GLOBAL__N_18offset_tEEE10hipError_tPvRmT1_PNSt15iterator_traitsISH_E10value_typeET2_T3_PNSI_ISN_E10value_typeET4_jRbjT5_ST_jjP12ihipStream_tbEUlT_E2_NS1_11comp_targetILNS1_3genE10ELNS1_11target_archE1201ELNS1_3gpuE5ELNS1_3repE0EEENS1_30default_config_static_selectorELNS0_4arch9wavefront6targetE1EEEvSH_,@function
_ZN7rocprim17ROCPRIM_400000_NS6detail17trampoline_kernelINS0_14default_configENS1_36segmented_radix_sort_config_selectorIllEEZNS1_25segmented_radix_sort_implIS3_Lb1EPKlPlS8_S9_N2at6native12_GLOBAL__N_18offset_tEEE10hipError_tPvRmT1_PNSt15iterator_traitsISH_E10value_typeET2_T3_PNSI_ISN_E10value_typeET4_jRbjT5_ST_jjP12ihipStream_tbEUlT_E2_NS1_11comp_targetILNS1_3genE10ELNS1_11target_archE1201ELNS1_3gpuE5ELNS1_3repE0EEENS1_30default_config_static_selectorELNS0_4arch9wavefront6targetE1EEEvSH_: ; @_ZN7rocprim17ROCPRIM_400000_NS6detail17trampoline_kernelINS0_14default_configENS1_36segmented_radix_sort_config_selectorIllEEZNS1_25segmented_radix_sort_implIS3_Lb1EPKlPlS8_S9_N2at6native12_GLOBAL__N_18offset_tEEE10hipError_tPvRmT1_PNSt15iterator_traitsISH_E10value_typeET2_T3_PNSI_ISN_E10value_typeET4_jRbjT5_ST_jjP12ihipStream_tbEUlT_E2_NS1_11comp_targetILNS1_3genE10ELNS1_11target_archE1201ELNS1_3gpuE5ELNS1_3repE0EEENS1_30default_config_static_selectorELNS0_4arch9wavefront6targetE1EEEvSH_
; %bb.0:
	.section	.rodata,"a",@progbits
	.p2align	6, 0x0
	.amdhsa_kernel _ZN7rocprim17ROCPRIM_400000_NS6detail17trampoline_kernelINS0_14default_configENS1_36segmented_radix_sort_config_selectorIllEEZNS1_25segmented_radix_sort_implIS3_Lb1EPKlPlS8_S9_N2at6native12_GLOBAL__N_18offset_tEEE10hipError_tPvRmT1_PNSt15iterator_traitsISH_E10value_typeET2_T3_PNSI_ISN_E10value_typeET4_jRbjT5_ST_jjP12ihipStream_tbEUlT_E2_NS1_11comp_targetILNS1_3genE10ELNS1_11target_archE1201ELNS1_3gpuE5ELNS1_3repE0EEENS1_30default_config_static_selectorELNS0_4arch9wavefront6targetE1EEEvSH_
		.amdhsa_group_segment_fixed_size 0
		.amdhsa_private_segment_fixed_size 0
		.amdhsa_kernarg_size 80
		.amdhsa_user_sgpr_count 6
		.amdhsa_user_sgpr_private_segment_buffer 1
		.amdhsa_user_sgpr_dispatch_ptr 0
		.amdhsa_user_sgpr_queue_ptr 0
		.amdhsa_user_sgpr_kernarg_segment_ptr 1
		.amdhsa_user_sgpr_dispatch_id 0
		.amdhsa_user_sgpr_flat_scratch_init 0
		.amdhsa_user_sgpr_private_segment_size 0
		.amdhsa_uses_dynamic_stack 0
		.amdhsa_system_sgpr_private_segment_wavefront_offset 0
		.amdhsa_system_sgpr_workgroup_id_x 1
		.amdhsa_system_sgpr_workgroup_id_y 0
		.amdhsa_system_sgpr_workgroup_id_z 0
		.amdhsa_system_sgpr_workgroup_info 0
		.amdhsa_system_vgpr_workitem_id 0
		.amdhsa_next_free_vgpr 1
		.amdhsa_next_free_sgpr 0
		.amdhsa_reserve_vcc 0
		.amdhsa_reserve_flat_scratch 0
		.amdhsa_float_round_mode_32 0
		.amdhsa_float_round_mode_16_64 0
		.amdhsa_float_denorm_mode_32 3
		.amdhsa_float_denorm_mode_16_64 3
		.amdhsa_dx10_clamp 1
		.amdhsa_ieee_mode 1
		.amdhsa_fp16_overflow 0
		.amdhsa_exception_fp_ieee_invalid_op 0
		.amdhsa_exception_fp_denorm_src 0
		.amdhsa_exception_fp_ieee_div_zero 0
		.amdhsa_exception_fp_ieee_overflow 0
		.amdhsa_exception_fp_ieee_underflow 0
		.amdhsa_exception_fp_ieee_inexact 0
		.amdhsa_exception_int_div_zero 0
	.end_amdhsa_kernel
	.section	.text._ZN7rocprim17ROCPRIM_400000_NS6detail17trampoline_kernelINS0_14default_configENS1_36segmented_radix_sort_config_selectorIllEEZNS1_25segmented_radix_sort_implIS3_Lb1EPKlPlS8_S9_N2at6native12_GLOBAL__N_18offset_tEEE10hipError_tPvRmT1_PNSt15iterator_traitsISH_E10value_typeET2_T3_PNSI_ISN_E10value_typeET4_jRbjT5_ST_jjP12ihipStream_tbEUlT_E2_NS1_11comp_targetILNS1_3genE10ELNS1_11target_archE1201ELNS1_3gpuE5ELNS1_3repE0EEENS1_30default_config_static_selectorELNS0_4arch9wavefront6targetE1EEEvSH_,"axG",@progbits,_ZN7rocprim17ROCPRIM_400000_NS6detail17trampoline_kernelINS0_14default_configENS1_36segmented_radix_sort_config_selectorIllEEZNS1_25segmented_radix_sort_implIS3_Lb1EPKlPlS8_S9_N2at6native12_GLOBAL__N_18offset_tEEE10hipError_tPvRmT1_PNSt15iterator_traitsISH_E10value_typeET2_T3_PNSI_ISN_E10value_typeET4_jRbjT5_ST_jjP12ihipStream_tbEUlT_E2_NS1_11comp_targetILNS1_3genE10ELNS1_11target_archE1201ELNS1_3gpuE5ELNS1_3repE0EEENS1_30default_config_static_selectorELNS0_4arch9wavefront6targetE1EEEvSH_,comdat
.Lfunc_end739:
	.size	_ZN7rocprim17ROCPRIM_400000_NS6detail17trampoline_kernelINS0_14default_configENS1_36segmented_radix_sort_config_selectorIllEEZNS1_25segmented_radix_sort_implIS3_Lb1EPKlPlS8_S9_N2at6native12_GLOBAL__N_18offset_tEEE10hipError_tPvRmT1_PNSt15iterator_traitsISH_E10value_typeET2_T3_PNSI_ISN_E10value_typeET4_jRbjT5_ST_jjP12ihipStream_tbEUlT_E2_NS1_11comp_targetILNS1_3genE10ELNS1_11target_archE1201ELNS1_3gpuE5ELNS1_3repE0EEENS1_30default_config_static_selectorELNS0_4arch9wavefront6targetE1EEEvSH_, .Lfunc_end739-_ZN7rocprim17ROCPRIM_400000_NS6detail17trampoline_kernelINS0_14default_configENS1_36segmented_radix_sort_config_selectorIllEEZNS1_25segmented_radix_sort_implIS3_Lb1EPKlPlS8_S9_N2at6native12_GLOBAL__N_18offset_tEEE10hipError_tPvRmT1_PNSt15iterator_traitsISH_E10value_typeET2_T3_PNSI_ISN_E10value_typeET4_jRbjT5_ST_jjP12ihipStream_tbEUlT_E2_NS1_11comp_targetILNS1_3genE10ELNS1_11target_archE1201ELNS1_3gpuE5ELNS1_3repE0EEENS1_30default_config_static_selectorELNS0_4arch9wavefront6targetE1EEEvSH_
                                        ; -- End function
	.set _ZN7rocprim17ROCPRIM_400000_NS6detail17trampoline_kernelINS0_14default_configENS1_36segmented_radix_sort_config_selectorIllEEZNS1_25segmented_radix_sort_implIS3_Lb1EPKlPlS8_S9_N2at6native12_GLOBAL__N_18offset_tEEE10hipError_tPvRmT1_PNSt15iterator_traitsISH_E10value_typeET2_T3_PNSI_ISN_E10value_typeET4_jRbjT5_ST_jjP12ihipStream_tbEUlT_E2_NS1_11comp_targetILNS1_3genE10ELNS1_11target_archE1201ELNS1_3gpuE5ELNS1_3repE0EEENS1_30default_config_static_selectorELNS0_4arch9wavefront6targetE1EEEvSH_.num_vgpr, 0
	.set _ZN7rocprim17ROCPRIM_400000_NS6detail17trampoline_kernelINS0_14default_configENS1_36segmented_radix_sort_config_selectorIllEEZNS1_25segmented_radix_sort_implIS3_Lb1EPKlPlS8_S9_N2at6native12_GLOBAL__N_18offset_tEEE10hipError_tPvRmT1_PNSt15iterator_traitsISH_E10value_typeET2_T3_PNSI_ISN_E10value_typeET4_jRbjT5_ST_jjP12ihipStream_tbEUlT_E2_NS1_11comp_targetILNS1_3genE10ELNS1_11target_archE1201ELNS1_3gpuE5ELNS1_3repE0EEENS1_30default_config_static_selectorELNS0_4arch9wavefront6targetE1EEEvSH_.num_agpr, 0
	.set _ZN7rocprim17ROCPRIM_400000_NS6detail17trampoline_kernelINS0_14default_configENS1_36segmented_radix_sort_config_selectorIllEEZNS1_25segmented_radix_sort_implIS3_Lb1EPKlPlS8_S9_N2at6native12_GLOBAL__N_18offset_tEEE10hipError_tPvRmT1_PNSt15iterator_traitsISH_E10value_typeET2_T3_PNSI_ISN_E10value_typeET4_jRbjT5_ST_jjP12ihipStream_tbEUlT_E2_NS1_11comp_targetILNS1_3genE10ELNS1_11target_archE1201ELNS1_3gpuE5ELNS1_3repE0EEENS1_30default_config_static_selectorELNS0_4arch9wavefront6targetE1EEEvSH_.numbered_sgpr, 0
	.set _ZN7rocprim17ROCPRIM_400000_NS6detail17trampoline_kernelINS0_14default_configENS1_36segmented_radix_sort_config_selectorIllEEZNS1_25segmented_radix_sort_implIS3_Lb1EPKlPlS8_S9_N2at6native12_GLOBAL__N_18offset_tEEE10hipError_tPvRmT1_PNSt15iterator_traitsISH_E10value_typeET2_T3_PNSI_ISN_E10value_typeET4_jRbjT5_ST_jjP12ihipStream_tbEUlT_E2_NS1_11comp_targetILNS1_3genE10ELNS1_11target_archE1201ELNS1_3gpuE5ELNS1_3repE0EEENS1_30default_config_static_selectorELNS0_4arch9wavefront6targetE1EEEvSH_.num_named_barrier, 0
	.set _ZN7rocprim17ROCPRIM_400000_NS6detail17trampoline_kernelINS0_14default_configENS1_36segmented_radix_sort_config_selectorIllEEZNS1_25segmented_radix_sort_implIS3_Lb1EPKlPlS8_S9_N2at6native12_GLOBAL__N_18offset_tEEE10hipError_tPvRmT1_PNSt15iterator_traitsISH_E10value_typeET2_T3_PNSI_ISN_E10value_typeET4_jRbjT5_ST_jjP12ihipStream_tbEUlT_E2_NS1_11comp_targetILNS1_3genE10ELNS1_11target_archE1201ELNS1_3gpuE5ELNS1_3repE0EEENS1_30default_config_static_selectorELNS0_4arch9wavefront6targetE1EEEvSH_.private_seg_size, 0
	.set _ZN7rocprim17ROCPRIM_400000_NS6detail17trampoline_kernelINS0_14default_configENS1_36segmented_radix_sort_config_selectorIllEEZNS1_25segmented_radix_sort_implIS3_Lb1EPKlPlS8_S9_N2at6native12_GLOBAL__N_18offset_tEEE10hipError_tPvRmT1_PNSt15iterator_traitsISH_E10value_typeET2_T3_PNSI_ISN_E10value_typeET4_jRbjT5_ST_jjP12ihipStream_tbEUlT_E2_NS1_11comp_targetILNS1_3genE10ELNS1_11target_archE1201ELNS1_3gpuE5ELNS1_3repE0EEENS1_30default_config_static_selectorELNS0_4arch9wavefront6targetE1EEEvSH_.uses_vcc, 0
	.set _ZN7rocprim17ROCPRIM_400000_NS6detail17trampoline_kernelINS0_14default_configENS1_36segmented_radix_sort_config_selectorIllEEZNS1_25segmented_radix_sort_implIS3_Lb1EPKlPlS8_S9_N2at6native12_GLOBAL__N_18offset_tEEE10hipError_tPvRmT1_PNSt15iterator_traitsISH_E10value_typeET2_T3_PNSI_ISN_E10value_typeET4_jRbjT5_ST_jjP12ihipStream_tbEUlT_E2_NS1_11comp_targetILNS1_3genE10ELNS1_11target_archE1201ELNS1_3gpuE5ELNS1_3repE0EEENS1_30default_config_static_selectorELNS0_4arch9wavefront6targetE1EEEvSH_.uses_flat_scratch, 0
	.set _ZN7rocprim17ROCPRIM_400000_NS6detail17trampoline_kernelINS0_14default_configENS1_36segmented_radix_sort_config_selectorIllEEZNS1_25segmented_radix_sort_implIS3_Lb1EPKlPlS8_S9_N2at6native12_GLOBAL__N_18offset_tEEE10hipError_tPvRmT1_PNSt15iterator_traitsISH_E10value_typeET2_T3_PNSI_ISN_E10value_typeET4_jRbjT5_ST_jjP12ihipStream_tbEUlT_E2_NS1_11comp_targetILNS1_3genE10ELNS1_11target_archE1201ELNS1_3gpuE5ELNS1_3repE0EEENS1_30default_config_static_selectorELNS0_4arch9wavefront6targetE1EEEvSH_.has_dyn_sized_stack, 0
	.set _ZN7rocprim17ROCPRIM_400000_NS6detail17trampoline_kernelINS0_14default_configENS1_36segmented_radix_sort_config_selectorIllEEZNS1_25segmented_radix_sort_implIS3_Lb1EPKlPlS8_S9_N2at6native12_GLOBAL__N_18offset_tEEE10hipError_tPvRmT1_PNSt15iterator_traitsISH_E10value_typeET2_T3_PNSI_ISN_E10value_typeET4_jRbjT5_ST_jjP12ihipStream_tbEUlT_E2_NS1_11comp_targetILNS1_3genE10ELNS1_11target_archE1201ELNS1_3gpuE5ELNS1_3repE0EEENS1_30default_config_static_selectorELNS0_4arch9wavefront6targetE1EEEvSH_.has_recursion, 0
	.set _ZN7rocprim17ROCPRIM_400000_NS6detail17trampoline_kernelINS0_14default_configENS1_36segmented_radix_sort_config_selectorIllEEZNS1_25segmented_radix_sort_implIS3_Lb1EPKlPlS8_S9_N2at6native12_GLOBAL__N_18offset_tEEE10hipError_tPvRmT1_PNSt15iterator_traitsISH_E10value_typeET2_T3_PNSI_ISN_E10value_typeET4_jRbjT5_ST_jjP12ihipStream_tbEUlT_E2_NS1_11comp_targetILNS1_3genE10ELNS1_11target_archE1201ELNS1_3gpuE5ELNS1_3repE0EEENS1_30default_config_static_selectorELNS0_4arch9wavefront6targetE1EEEvSH_.has_indirect_call, 0
	.section	.AMDGPU.csdata,"",@progbits
; Kernel info:
; codeLenInByte = 0
; TotalNumSgprs: 4
; NumVgprs: 0
; ScratchSize: 0
; MemoryBound: 0
; FloatMode: 240
; IeeeMode: 1
; LDSByteSize: 0 bytes/workgroup (compile time only)
; SGPRBlocks: 0
; VGPRBlocks: 0
; NumSGPRsForWavesPerEU: 4
; NumVGPRsForWavesPerEU: 1
; Occupancy: 10
; WaveLimiterHint : 0
; COMPUTE_PGM_RSRC2:SCRATCH_EN: 0
; COMPUTE_PGM_RSRC2:USER_SGPR: 6
; COMPUTE_PGM_RSRC2:TRAP_HANDLER: 0
; COMPUTE_PGM_RSRC2:TGID_X_EN: 1
; COMPUTE_PGM_RSRC2:TGID_Y_EN: 0
; COMPUTE_PGM_RSRC2:TGID_Z_EN: 0
; COMPUTE_PGM_RSRC2:TIDIG_COMP_CNT: 0
	.section	.text._ZN7rocprim17ROCPRIM_400000_NS6detail17trampoline_kernelINS0_14default_configENS1_36segmented_radix_sort_config_selectorIllEEZNS1_25segmented_radix_sort_implIS3_Lb1EPKlPlS8_S9_N2at6native12_GLOBAL__N_18offset_tEEE10hipError_tPvRmT1_PNSt15iterator_traitsISH_E10value_typeET2_T3_PNSI_ISN_E10value_typeET4_jRbjT5_ST_jjP12ihipStream_tbEUlT_E2_NS1_11comp_targetILNS1_3genE10ELNS1_11target_archE1200ELNS1_3gpuE4ELNS1_3repE0EEENS1_30default_config_static_selectorELNS0_4arch9wavefront6targetE1EEEvSH_,"axG",@progbits,_ZN7rocprim17ROCPRIM_400000_NS6detail17trampoline_kernelINS0_14default_configENS1_36segmented_radix_sort_config_selectorIllEEZNS1_25segmented_radix_sort_implIS3_Lb1EPKlPlS8_S9_N2at6native12_GLOBAL__N_18offset_tEEE10hipError_tPvRmT1_PNSt15iterator_traitsISH_E10value_typeET2_T3_PNSI_ISN_E10value_typeET4_jRbjT5_ST_jjP12ihipStream_tbEUlT_E2_NS1_11comp_targetILNS1_3genE10ELNS1_11target_archE1200ELNS1_3gpuE4ELNS1_3repE0EEENS1_30default_config_static_selectorELNS0_4arch9wavefront6targetE1EEEvSH_,comdat
	.globl	_ZN7rocprim17ROCPRIM_400000_NS6detail17trampoline_kernelINS0_14default_configENS1_36segmented_radix_sort_config_selectorIllEEZNS1_25segmented_radix_sort_implIS3_Lb1EPKlPlS8_S9_N2at6native12_GLOBAL__N_18offset_tEEE10hipError_tPvRmT1_PNSt15iterator_traitsISH_E10value_typeET2_T3_PNSI_ISN_E10value_typeET4_jRbjT5_ST_jjP12ihipStream_tbEUlT_E2_NS1_11comp_targetILNS1_3genE10ELNS1_11target_archE1200ELNS1_3gpuE4ELNS1_3repE0EEENS1_30default_config_static_selectorELNS0_4arch9wavefront6targetE1EEEvSH_ ; -- Begin function _ZN7rocprim17ROCPRIM_400000_NS6detail17trampoline_kernelINS0_14default_configENS1_36segmented_radix_sort_config_selectorIllEEZNS1_25segmented_radix_sort_implIS3_Lb1EPKlPlS8_S9_N2at6native12_GLOBAL__N_18offset_tEEE10hipError_tPvRmT1_PNSt15iterator_traitsISH_E10value_typeET2_T3_PNSI_ISN_E10value_typeET4_jRbjT5_ST_jjP12ihipStream_tbEUlT_E2_NS1_11comp_targetILNS1_3genE10ELNS1_11target_archE1200ELNS1_3gpuE4ELNS1_3repE0EEENS1_30default_config_static_selectorELNS0_4arch9wavefront6targetE1EEEvSH_
	.p2align	8
	.type	_ZN7rocprim17ROCPRIM_400000_NS6detail17trampoline_kernelINS0_14default_configENS1_36segmented_radix_sort_config_selectorIllEEZNS1_25segmented_radix_sort_implIS3_Lb1EPKlPlS8_S9_N2at6native12_GLOBAL__N_18offset_tEEE10hipError_tPvRmT1_PNSt15iterator_traitsISH_E10value_typeET2_T3_PNSI_ISN_E10value_typeET4_jRbjT5_ST_jjP12ihipStream_tbEUlT_E2_NS1_11comp_targetILNS1_3genE10ELNS1_11target_archE1200ELNS1_3gpuE4ELNS1_3repE0EEENS1_30default_config_static_selectorELNS0_4arch9wavefront6targetE1EEEvSH_,@function
_ZN7rocprim17ROCPRIM_400000_NS6detail17trampoline_kernelINS0_14default_configENS1_36segmented_radix_sort_config_selectorIllEEZNS1_25segmented_radix_sort_implIS3_Lb1EPKlPlS8_S9_N2at6native12_GLOBAL__N_18offset_tEEE10hipError_tPvRmT1_PNSt15iterator_traitsISH_E10value_typeET2_T3_PNSI_ISN_E10value_typeET4_jRbjT5_ST_jjP12ihipStream_tbEUlT_E2_NS1_11comp_targetILNS1_3genE10ELNS1_11target_archE1200ELNS1_3gpuE4ELNS1_3repE0EEENS1_30default_config_static_selectorELNS0_4arch9wavefront6targetE1EEEvSH_: ; @_ZN7rocprim17ROCPRIM_400000_NS6detail17trampoline_kernelINS0_14default_configENS1_36segmented_radix_sort_config_selectorIllEEZNS1_25segmented_radix_sort_implIS3_Lb1EPKlPlS8_S9_N2at6native12_GLOBAL__N_18offset_tEEE10hipError_tPvRmT1_PNSt15iterator_traitsISH_E10value_typeET2_T3_PNSI_ISN_E10value_typeET4_jRbjT5_ST_jjP12ihipStream_tbEUlT_E2_NS1_11comp_targetILNS1_3genE10ELNS1_11target_archE1200ELNS1_3gpuE4ELNS1_3repE0EEENS1_30default_config_static_selectorELNS0_4arch9wavefront6targetE1EEEvSH_
; %bb.0:
	.section	.rodata,"a",@progbits
	.p2align	6, 0x0
	.amdhsa_kernel _ZN7rocprim17ROCPRIM_400000_NS6detail17trampoline_kernelINS0_14default_configENS1_36segmented_radix_sort_config_selectorIllEEZNS1_25segmented_radix_sort_implIS3_Lb1EPKlPlS8_S9_N2at6native12_GLOBAL__N_18offset_tEEE10hipError_tPvRmT1_PNSt15iterator_traitsISH_E10value_typeET2_T3_PNSI_ISN_E10value_typeET4_jRbjT5_ST_jjP12ihipStream_tbEUlT_E2_NS1_11comp_targetILNS1_3genE10ELNS1_11target_archE1200ELNS1_3gpuE4ELNS1_3repE0EEENS1_30default_config_static_selectorELNS0_4arch9wavefront6targetE1EEEvSH_
		.amdhsa_group_segment_fixed_size 0
		.amdhsa_private_segment_fixed_size 0
		.amdhsa_kernarg_size 80
		.amdhsa_user_sgpr_count 6
		.amdhsa_user_sgpr_private_segment_buffer 1
		.amdhsa_user_sgpr_dispatch_ptr 0
		.amdhsa_user_sgpr_queue_ptr 0
		.amdhsa_user_sgpr_kernarg_segment_ptr 1
		.amdhsa_user_sgpr_dispatch_id 0
		.amdhsa_user_sgpr_flat_scratch_init 0
		.amdhsa_user_sgpr_private_segment_size 0
		.amdhsa_uses_dynamic_stack 0
		.amdhsa_system_sgpr_private_segment_wavefront_offset 0
		.amdhsa_system_sgpr_workgroup_id_x 1
		.amdhsa_system_sgpr_workgroup_id_y 0
		.amdhsa_system_sgpr_workgroup_id_z 0
		.amdhsa_system_sgpr_workgroup_info 0
		.amdhsa_system_vgpr_workitem_id 0
		.amdhsa_next_free_vgpr 1
		.amdhsa_next_free_sgpr 0
		.amdhsa_reserve_vcc 0
		.amdhsa_reserve_flat_scratch 0
		.amdhsa_float_round_mode_32 0
		.amdhsa_float_round_mode_16_64 0
		.amdhsa_float_denorm_mode_32 3
		.amdhsa_float_denorm_mode_16_64 3
		.amdhsa_dx10_clamp 1
		.amdhsa_ieee_mode 1
		.amdhsa_fp16_overflow 0
		.amdhsa_exception_fp_ieee_invalid_op 0
		.amdhsa_exception_fp_denorm_src 0
		.amdhsa_exception_fp_ieee_div_zero 0
		.amdhsa_exception_fp_ieee_overflow 0
		.amdhsa_exception_fp_ieee_underflow 0
		.amdhsa_exception_fp_ieee_inexact 0
		.amdhsa_exception_int_div_zero 0
	.end_amdhsa_kernel
	.section	.text._ZN7rocprim17ROCPRIM_400000_NS6detail17trampoline_kernelINS0_14default_configENS1_36segmented_radix_sort_config_selectorIllEEZNS1_25segmented_radix_sort_implIS3_Lb1EPKlPlS8_S9_N2at6native12_GLOBAL__N_18offset_tEEE10hipError_tPvRmT1_PNSt15iterator_traitsISH_E10value_typeET2_T3_PNSI_ISN_E10value_typeET4_jRbjT5_ST_jjP12ihipStream_tbEUlT_E2_NS1_11comp_targetILNS1_3genE10ELNS1_11target_archE1200ELNS1_3gpuE4ELNS1_3repE0EEENS1_30default_config_static_selectorELNS0_4arch9wavefront6targetE1EEEvSH_,"axG",@progbits,_ZN7rocprim17ROCPRIM_400000_NS6detail17trampoline_kernelINS0_14default_configENS1_36segmented_radix_sort_config_selectorIllEEZNS1_25segmented_radix_sort_implIS3_Lb1EPKlPlS8_S9_N2at6native12_GLOBAL__N_18offset_tEEE10hipError_tPvRmT1_PNSt15iterator_traitsISH_E10value_typeET2_T3_PNSI_ISN_E10value_typeET4_jRbjT5_ST_jjP12ihipStream_tbEUlT_E2_NS1_11comp_targetILNS1_3genE10ELNS1_11target_archE1200ELNS1_3gpuE4ELNS1_3repE0EEENS1_30default_config_static_selectorELNS0_4arch9wavefront6targetE1EEEvSH_,comdat
.Lfunc_end740:
	.size	_ZN7rocprim17ROCPRIM_400000_NS6detail17trampoline_kernelINS0_14default_configENS1_36segmented_radix_sort_config_selectorIllEEZNS1_25segmented_radix_sort_implIS3_Lb1EPKlPlS8_S9_N2at6native12_GLOBAL__N_18offset_tEEE10hipError_tPvRmT1_PNSt15iterator_traitsISH_E10value_typeET2_T3_PNSI_ISN_E10value_typeET4_jRbjT5_ST_jjP12ihipStream_tbEUlT_E2_NS1_11comp_targetILNS1_3genE10ELNS1_11target_archE1200ELNS1_3gpuE4ELNS1_3repE0EEENS1_30default_config_static_selectorELNS0_4arch9wavefront6targetE1EEEvSH_, .Lfunc_end740-_ZN7rocprim17ROCPRIM_400000_NS6detail17trampoline_kernelINS0_14default_configENS1_36segmented_radix_sort_config_selectorIllEEZNS1_25segmented_radix_sort_implIS3_Lb1EPKlPlS8_S9_N2at6native12_GLOBAL__N_18offset_tEEE10hipError_tPvRmT1_PNSt15iterator_traitsISH_E10value_typeET2_T3_PNSI_ISN_E10value_typeET4_jRbjT5_ST_jjP12ihipStream_tbEUlT_E2_NS1_11comp_targetILNS1_3genE10ELNS1_11target_archE1200ELNS1_3gpuE4ELNS1_3repE0EEENS1_30default_config_static_selectorELNS0_4arch9wavefront6targetE1EEEvSH_
                                        ; -- End function
	.set _ZN7rocprim17ROCPRIM_400000_NS6detail17trampoline_kernelINS0_14default_configENS1_36segmented_radix_sort_config_selectorIllEEZNS1_25segmented_radix_sort_implIS3_Lb1EPKlPlS8_S9_N2at6native12_GLOBAL__N_18offset_tEEE10hipError_tPvRmT1_PNSt15iterator_traitsISH_E10value_typeET2_T3_PNSI_ISN_E10value_typeET4_jRbjT5_ST_jjP12ihipStream_tbEUlT_E2_NS1_11comp_targetILNS1_3genE10ELNS1_11target_archE1200ELNS1_3gpuE4ELNS1_3repE0EEENS1_30default_config_static_selectorELNS0_4arch9wavefront6targetE1EEEvSH_.num_vgpr, 0
	.set _ZN7rocprim17ROCPRIM_400000_NS6detail17trampoline_kernelINS0_14default_configENS1_36segmented_radix_sort_config_selectorIllEEZNS1_25segmented_radix_sort_implIS3_Lb1EPKlPlS8_S9_N2at6native12_GLOBAL__N_18offset_tEEE10hipError_tPvRmT1_PNSt15iterator_traitsISH_E10value_typeET2_T3_PNSI_ISN_E10value_typeET4_jRbjT5_ST_jjP12ihipStream_tbEUlT_E2_NS1_11comp_targetILNS1_3genE10ELNS1_11target_archE1200ELNS1_3gpuE4ELNS1_3repE0EEENS1_30default_config_static_selectorELNS0_4arch9wavefront6targetE1EEEvSH_.num_agpr, 0
	.set _ZN7rocprim17ROCPRIM_400000_NS6detail17trampoline_kernelINS0_14default_configENS1_36segmented_radix_sort_config_selectorIllEEZNS1_25segmented_radix_sort_implIS3_Lb1EPKlPlS8_S9_N2at6native12_GLOBAL__N_18offset_tEEE10hipError_tPvRmT1_PNSt15iterator_traitsISH_E10value_typeET2_T3_PNSI_ISN_E10value_typeET4_jRbjT5_ST_jjP12ihipStream_tbEUlT_E2_NS1_11comp_targetILNS1_3genE10ELNS1_11target_archE1200ELNS1_3gpuE4ELNS1_3repE0EEENS1_30default_config_static_selectorELNS0_4arch9wavefront6targetE1EEEvSH_.numbered_sgpr, 0
	.set _ZN7rocprim17ROCPRIM_400000_NS6detail17trampoline_kernelINS0_14default_configENS1_36segmented_radix_sort_config_selectorIllEEZNS1_25segmented_radix_sort_implIS3_Lb1EPKlPlS8_S9_N2at6native12_GLOBAL__N_18offset_tEEE10hipError_tPvRmT1_PNSt15iterator_traitsISH_E10value_typeET2_T3_PNSI_ISN_E10value_typeET4_jRbjT5_ST_jjP12ihipStream_tbEUlT_E2_NS1_11comp_targetILNS1_3genE10ELNS1_11target_archE1200ELNS1_3gpuE4ELNS1_3repE0EEENS1_30default_config_static_selectorELNS0_4arch9wavefront6targetE1EEEvSH_.num_named_barrier, 0
	.set _ZN7rocprim17ROCPRIM_400000_NS6detail17trampoline_kernelINS0_14default_configENS1_36segmented_radix_sort_config_selectorIllEEZNS1_25segmented_radix_sort_implIS3_Lb1EPKlPlS8_S9_N2at6native12_GLOBAL__N_18offset_tEEE10hipError_tPvRmT1_PNSt15iterator_traitsISH_E10value_typeET2_T3_PNSI_ISN_E10value_typeET4_jRbjT5_ST_jjP12ihipStream_tbEUlT_E2_NS1_11comp_targetILNS1_3genE10ELNS1_11target_archE1200ELNS1_3gpuE4ELNS1_3repE0EEENS1_30default_config_static_selectorELNS0_4arch9wavefront6targetE1EEEvSH_.private_seg_size, 0
	.set _ZN7rocprim17ROCPRIM_400000_NS6detail17trampoline_kernelINS0_14default_configENS1_36segmented_radix_sort_config_selectorIllEEZNS1_25segmented_radix_sort_implIS3_Lb1EPKlPlS8_S9_N2at6native12_GLOBAL__N_18offset_tEEE10hipError_tPvRmT1_PNSt15iterator_traitsISH_E10value_typeET2_T3_PNSI_ISN_E10value_typeET4_jRbjT5_ST_jjP12ihipStream_tbEUlT_E2_NS1_11comp_targetILNS1_3genE10ELNS1_11target_archE1200ELNS1_3gpuE4ELNS1_3repE0EEENS1_30default_config_static_selectorELNS0_4arch9wavefront6targetE1EEEvSH_.uses_vcc, 0
	.set _ZN7rocprim17ROCPRIM_400000_NS6detail17trampoline_kernelINS0_14default_configENS1_36segmented_radix_sort_config_selectorIllEEZNS1_25segmented_radix_sort_implIS3_Lb1EPKlPlS8_S9_N2at6native12_GLOBAL__N_18offset_tEEE10hipError_tPvRmT1_PNSt15iterator_traitsISH_E10value_typeET2_T3_PNSI_ISN_E10value_typeET4_jRbjT5_ST_jjP12ihipStream_tbEUlT_E2_NS1_11comp_targetILNS1_3genE10ELNS1_11target_archE1200ELNS1_3gpuE4ELNS1_3repE0EEENS1_30default_config_static_selectorELNS0_4arch9wavefront6targetE1EEEvSH_.uses_flat_scratch, 0
	.set _ZN7rocprim17ROCPRIM_400000_NS6detail17trampoline_kernelINS0_14default_configENS1_36segmented_radix_sort_config_selectorIllEEZNS1_25segmented_radix_sort_implIS3_Lb1EPKlPlS8_S9_N2at6native12_GLOBAL__N_18offset_tEEE10hipError_tPvRmT1_PNSt15iterator_traitsISH_E10value_typeET2_T3_PNSI_ISN_E10value_typeET4_jRbjT5_ST_jjP12ihipStream_tbEUlT_E2_NS1_11comp_targetILNS1_3genE10ELNS1_11target_archE1200ELNS1_3gpuE4ELNS1_3repE0EEENS1_30default_config_static_selectorELNS0_4arch9wavefront6targetE1EEEvSH_.has_dyn_sized_stack, 0
	.set _ZN7rocprim17ROCPRIM_400000_NS6detail17trampoline_kernelINS0_14default_configENS1_36segmented_radix_sort_config_selectorIllEEZNS1_25segmented_radix_sort_implIS3_Lb1EPKlPlS8_S9_N2at6native12_GLOBAL__N_18offset_tEEE10hipError_tPvRmT1_PNSt15iterator_traitsISH_E10value_typeET2_T3_PNSI_ISN_E10value_typeET4_jRbjT5_ST_jjP12ihipStream_tbEUlT_E2_NS1_11comp_targetILNS1_3genE10ELNS1_11target_archE1200ELNS1_3gpuE4ELNS1_3repE0EEENS1_30default_config_static_selectorELNS0_4arch9wavefront6targetE1EEEvSH_.has_recursion, 0
	.set _ZN7rocprim17ROCPRIM_400000_NS6detail17trampoline_kernelINS0_14default_configENS1_36segmented_radix_sort_config_selectorIllEEZNS1_25segmented_radix_sort_implIS3_Lb1EPKlPlS8_S9_N2at6native12_GLOBAL__N_18offset_tEEE10hipError_tPvRmT1_PNSt15iterator_traitsISH_E10value_typeET2_T3_PNSI_ISN_E10value_typeET4_jRbjT5_ST_jjP12ihipStream_tbEUlT_E2_NS1_11comp_targetILNS1_3genE10ELNS1_11target_archE1200ELNS1_3gpuE4ELNS1_3repE0EEENS1_30default_config_static_selectorELNS0_4arch9wavefront6targetE1EEEvSH_.has_indirect_call, 0
	.section	.AMDGPU.csdata,"",@progbits
; Kernel info:
; codeLenInByte = 0
; TotalNumSgprs: 4
; NumVgprs: 0
; ScratchSize: 0
; MemoryBound: 0
; FloatMode: 240
; IeeeMode: 1
; LDSByteSize: 0 bytes/workgroup (compile time only)
; SGPRBlocks: 0
; VGPRBlocks: 0
; NumSGPRsForWavesPerEU: 4
; NumVGPRsForWavesPerEU: 1
; Occupancy: 10
; WaveLimiterHint : 0
; COMPUTE_PGM_RSRC2:SCRATCH_EN: 0
; COMPUTE_PGM_RSRC2:USER_SGPR: 6
; COMPUTE_PGM_RSRC2:TRAP_HANDLER: 0
; COMPUTE_PGM_RSRC2:TGID_X_EN: 1
; COMPUTE_PGM_RSRC2:TGID_Y_EN: 0
; COMPUTE_PGM_RSRC2:TGID_Z_EN: 0
; COMPUTE_PGM_RSRC2:TIDIG_COMP_CNT: 0
	.section	.text._ZN7rocprim17ROCPRIM_400000_NS6detail17trampoline_kernelINS0_14default_configENS1_36segmented_radix_sort_config_selectorIllEEZNS1_25segmented_radix_sort_implIS3_Lb1EPKlPlS8_S9_N2at6native12_GLOBAL__N_18offset_tEEE10hipError_tPvRmT1_PNSt15iterator_traitsISH_E10value_typeET2_T3_PNSI_ISN_E10value_typeET4_jRbjT5_ST_jjP12ihipStream_tbEUlT_E2_NS1_11comp_targetILNS1_3genE9ELNS1_11target_archE1100ELNS1_3gpuE3ELNS1_3repE0EEENS1_30default_config_static_selectorELNS0_4arch9wavefront6targetE1EEEvSH_,"axG",@progbits,_ZN7rocprim17ROCPRIM_400000_NS6detail17trampoline_kernelINS0_14default_configENS1_36segmented_radix_sort_config_selectorIllEEZNS1_25segmented_radix_sort_implIS3_Lb1EPKlPlS8_S9_N2at6native12_GLOBAL__N_18offset_tEEE10hipError_tPvRmT1_PNSt15iterator_traitsISH_E10value_typeET2_T3_PNSI_ISN_E10value_typeET4_jRbjT5_ST_jjP12ihipStream_tbEUlT_E2_NS1_11comp_targetILNS1_3genE9ELNS1_11target_archE1100ELNS1_3gpuE3ELNS1_3repE0EEENS1_30default_config_static_selectorELNS0_4arch9wavefront6targetE1EEEvSH_,comdat
	.globl	_ZN7rocprim17ROCPRIM_400000_NS6detail17trampoline_kernelINS0_14default_configENS1_36segmented_radix_sort_config_selectorIllEEZNS1_25segmented_radix_sort_implIS3_Lb1EPKlPlS8_S9_N2at6native12_GLOBAL__N_18offset_tEEE10hipError_tPvRmT1_PNSt15iterator_traitsISH_E10value_typeET2_T3_PNSI_ISN_E10value_typeET4_jRbjT5_ST_jjP12ihipStream_tbEUlT_E2_NS1_11comp_targetILNS1_3genE9ELNS1_11target_archE1100ELNS1_3gpuE3ELNS1_3repE0EEENS1_30default_config_static_selectorELNS0_4arch9wavefront6targetE1EEEvSH_ ; -- Begin function _ZN7rocprim17ROCPRIM_400000_NS6detail17trampoline_kernelINS0_14default_configENS1_36segmented_radix_sort_config_selectorIllEEZNS1_25segmented_radix_sort_implIS3_Lb1EPKlPlS8_S9_N2at6native12_GLOBAL__N_18offset_tEEE10hipError_tPvRmT1_PNSt15iterator_traitsISH_E10value_typeET2_T3_PNSI_ISN_E10value_typeET4_jRbjT5_ST_jjP12ihipStream_tbEUlT_E2_NS1_11comp_targetILNS1_3genE9ELNS1_11target_archE1100ELNS1_3gpuE3ELNS1_3repE0EEENS1_30default_config_static_selectorELNS0_4arch9wavefront6targetE1EEEvSH_
	.p2align	8
	.type	_ZN7rocprim17ROCPRIM_400000_NS6detail17trampoline_kernelINS0_14default_configENS1_36segmented_radix_sort_config_selectorIllEEZNS1_25segmented_radix_sort_implIS3_Lb1EPKlPlS8_S9_N2at6native12_GLOBAL__N_18offset_tEEE10hipError_tPvRmT1_PNSt15iterator_traitsISH_E10value_typeET2_T3_PNSI_ISN_E10value_typeET4_jRbjT5_ST_jjP12ihipStream_tbEUlT_E2_NS1_11comp_targetILNS1_3genE9ELNS1_11target_archE1100ELNS1_3gpuE3ELNS1_3repE0EEENS1_30default_config_static_selectorELNS0_4arch9wavefront6targetE1EEEvSH_,@function
_ZN7rocprim17ROCPRIM_400000_NS6detail17trampoline_kernelINS0_14default_configENS1_36segmented_radix_sort_config_selectorIllEEZNS1_25segmented_radix_sort_implIS3_Lb1EPKlPlS8_S9_N2at6native12_GLOBAL__N_18offset_tEEE10hipError_tPvRmT1_PNSt15iterator_traitsISH_E10value_typeET2_T3_PNSI_ISN_E10value_typeET4_jRbjT5_ST_jjP12ihipStream_tbEUlT_E2_NS1_11comp_targetILNS1_3genE9ELNS1_11target_archE1100ELNS1_3gpuE3ELNS1_3repE0EEENS1_30default_config_static_selectorELNS0_4arch9wavefront6targetE1EEEvSH_: ; @_ZN7rocprim17ROCPRIM_400000_NS6detail17trampoline_kernelINS0_14default_configENS1_36segmented_radix_sort_config_selectorIllEEZNS1_25segmented_radix_sort_implIS3_Lb1EPKlPlS8_S9_N2at6native12_GLOBAL__N_18offset_tEEE10hipError_tPvRmT1_PNSt15iterator_traitsISH_E10value_typeET2_T3_PNSI_ISN_E10value_typeET4_jRbjT5_ST_jjP12ihipStream_tbEUlT_E2_NS1_11comp_targetILNS1_3genE9ELNS1_11target_archE1100ELNS1_3gpuE3ELNS1_3repE0EEENS1_30default_config_static_selectorELNS0_4arch9wavefront6targetE1EEEvSH_
; %bb.0:
	.section	.rodata,"a",@progbits
	.p2align	6, 0x0
	.amdhsa_kernel _ZN7rocprim17ROCPRIM_400000_NS6detail17trampoline_kernelINS0_14default_configENS1_36segmented_radix_sort_config_selectorIllEEZNS1_25segmented_radix_sort_implIS3_Lb1EPKlPlS8_S9_N2at6native12_GLOBAL__N_18offset_tEEE10hipError_tPvRmT1_PNSt15iterator_traitsISH_E10value_typeET2_T3_PNSI_ISN_E10value_typeET4_jRbjT5_ST_jjP12ihipStream_tbEUlT_E2_NS1_11comp_targetILNS1_3genE9ELNS1_11target_archE1100ELNS1_3gpuE3ELNS1_3repE0EEENS1_30default_config_static_selectorELNS0_4arch9wavefront6targetE1EEEvSH_
		.amdhsa_group_segment_fixed_size 0
		.amdhsa_private_segment_fixed_size 0
		.amdhsa_kernarg_size 80
		.amdhsa_user_sgpr_count 6
		.amdhsa_user_sgpr_private_segment_buffer 1
		.amdhsa_user_sgpr_dispatch_ptr 0
		.amdhsa_user_sgpr_queue_ptr 0
		.amdhsa_user_sgpr_kernarg_segment_ptr 1
		.amdhsa_user_sgpr_dispatch_id 0
		.amdhsa_user_sgpr_flat_scratch_init 0
		.amdhsa_user_sgpr_private_segment_size 0
		.amdhsa_uses_dynamic_stack 0
		.amdhsa_system_sgpr_private_segment_wavefront_offset 0
		.amdhsa_system_sgpr_workgroup_id_x 1
		.amdhsa_system_sgpr_workgroup_id_y 0
		.amdhsa_system_sgpr_workgroup_id_z 0
		.amdhsa_system_sgpr_workgroup_info 0
		.amdhsa_system_vgpr_workitem_id 0
		.amdhsa_next_free_vgpr 1
		.amdhsa_next_free_sgpr 0
		.amdhsa_reserve_vcc 0
		.amdhsa_reserve_flat_scratch 0
		.amdhsa_float_round_mode_32 0
		.amdhsa_float_round_mode_16_64 0
		.amdhsa_float_denorm_mode_32 3
		.amdhsa_float_denorm_mode_16_64 3
		.amdhsa_dx10_clamp 1
		.amdhsa_ieee_mode 1
		.amdhsa_fp16_overflow 0
		.amdhsa_exception_fp_ieee_invalid_op 0
		.amdhsa_exception_fp_denorm_src 0
		.amdhsa_exception_fp_ieee_div_zero 0
		.amdhsa_exception_fp_ieee_overflow 0
		.amdhsa_exception_fp_ieee_underflow 0
		.amdhsa_exception_fp_ieee_inexact 0
		.amdhsa_exception_int_div_zero 0
	.end_amdhsa_kernel
	.section	.text._ZN7rocprim17ROCPRIM_400000_NS6detail17trampoline_kernelINS0_14default_configENS1_36segmented_radix_sort_config_selectorIllEEZNS1_25segmented_radix_sort_implIS3_Lb1EPKlPlS8_S9_N2at6native12_GLOBAL__N_18offset_tEEE10hipError_tPvRmT1_PNSt15iterator_traitsISH_E10value_typeET2_T3_PNSI_ISN_E10value_typeET4_jRbjT5_ST_jjP12ihipStream_tbEUlT_E2_NS1_11comp_targetILNS1_3genE9ELNS1_11target_archE1100ELNS1_3gpuE3ELNS1_3repE0EEENS1_30default_config_static_selectorELNS0_4arch9wavefront6targetE1EEEvSH_,"axG",@progbits,_ZN7rocprim17ROCPRIM_400000_NS6detail17trampoline_kernelINS0_14default_configENS1_36segmented_radix_sort_config_selectorIllEEZNS1_25segmented_radix_sort_implIS3_Lb1EPKlPlS8_S9_N2at6native12_GLOBAL__N_18offset_tEEE10hipError_tPvRmT1_PNSt15iterator_traitsISH_E10value_typeET2_T3_PNSI_ISN_E10value_typeET4_jRbjT5_ST_jjP12ihipStream_tbEUlT_E2_NS1_11comp_targetILNS1_3genE9ELNS1_11target_archE1100ELNS1_3gpuE3ELNS1_3repE0EEENS1_30default_config_static_selectorELNS0_4arch9wavefront6targetE1EEEvSH_,comdat
.Lfunc_end741:
	.size	_ZN7rocprim17ROCPRIM_400000_NS6detail17trampoline_kernelINS0_14default_configENS1_36segmented_radix_sort_config_selectorIllEEZNS1_25segmented_radix_sort_implIS3_Lb1EPKlPlS8_S9_N2at6native12_GLOBAL__N_18offset_tEEE10hipError_tPvRmT1_PNSt15iterator_traitsISH_E10value_typeET2_T3_PNSI_ISN_E10value_typeET4_jRbjT5_ST_jjP12ihipStream_tbEUlT_E2_NS1_11comp_targetILNS1_3genE9ELNS1_11target_archE1100ELNS1_3gpuE3ELNS1_3repE0EEENS1_30default_config_static_selectorELNS0_4arch9wavefront6targetE1EEEvSH_, .Lfunc_end741-_ZN7rocprim17ROCPRIM_400000_NS6detail17trampoline_kernelINS0_14default_configENS1_36segmented_radix_sort_config_selectorIllEEZNS1_25segmented_radix_sort_implIS3_Lb1EPKlPlS8_S9_N2at6native12_GLOBAL__N_18offset_tEEE10hipError_tPvRmT1_PNSt15iterator_traitsISH_E10value_typeET2_T3_PNSI_ISN_E10value_typeET4_jRbjT5_ST_jjP12ihipStream_tbEUlT_E2_NS1_11comp_targetILNS1_3genE9ELNS1_11target_archE1100ELNS1_3gpuE3ELNS1_3repE0EEENS1_30default_config_static_selectorELNS0_4arch9wavefront6targetE1EEEvSH_
                                        ; -- End function
	.set _ZN7rocprim17ROCPRIM_400000_NS6detail17trampoline_kernelINS0_14default_configENS1_36segmented_radix_sort_config_selectorIllEEZNS1_25segmented_radix_sort_implIS3_Lb1EPKlPlS8_S9_N2at6native12_GLOBAL__N_18offset_tEEE10hipError_tPvRmT1_PNSt15iterator_traitsISH_E10value_typeET2_T3_PNSI_ISN_E10value_typeET4_jRbjT5_ST_jjP12ihipStream_tbEUlT_E2_NS1_11comp_targetILNS1_3genE9ELNS1_11target_archE1100ELNS1_3gpuE3ELNS1_3repE0EEENS1_30default_config_static_selectorELNS0_4arch9wavefront6targetE1EEEvSH_.num_vgpr, 0
	.set _ZN7rocprim17ROCPRIM_400000_NS6detail17trampoline_kernelINS0_14default_configENS1_36segmented_radix_sort_config_selectorIllEEZNS1_25segmented_radix_sort_implIS3_Lb1EPKlPlS8_S9_N2at6native12_GLOBAL__N_18offset_tEEE10hipError_tPvRmT1_PNSt15iterator_traitsISH_E10value_typeET2_T3_PNSI_ISN_E10value_typeET4_jRbjT5_ST_jjP12ihipStream_tbEUlT_E2_NS1_11comp_targetILNS1_3genE9ELNS1_11target_archE1100ELNS1_3gpuE3ELNS1_3repE0EEENS1_30default_config_static_selectorELNS0_4arch9wavefront6targetE1EEEvSH_.num_agpr, 0
	.set _ZN7rocprim17ROCPRIM_400000_NS6detail17trampoline_kernelINS0_14default_configENS1_36segmented_radix_sort_config_selectorIllEEZNS1_25segmented_radix_sort_implIS3_Lb1EPKlPlS8_S9_N2at6native12_GLOBAL__N_18offset_tEEE10hipError_tPvRmT1_PNSt15iterator_traitsISH_E10value_typeET2_T3_PNSI_ISN_E10value_typeET4_jRbjT5_ST_jjP12ihipStream_tbEUlT_E2_NS1_11comp_targetILNS1_3genE9ELNS1_11target_archE1100ELNS1_3gpuE3ELNS1_3repE0EEENS1_30default_config_static_selectorELNS0_4arch9wavefront6targetE1EEEvSH_.numbered_sgpr, 0
	.set _ZN7rocprim17ROCPRIM_400000_NS6detail17trampoline_kernelINS0_14default_configENS1_36segmented_radix_sort_config_selectorIllEEZNS1_25segmented_radix_sort_implIS3_Lb1EPKlPlS8_S9_N2at6native12_GLOBAL__N_18offset_tEEE10hipError_tPvRmT1_PNSt15iterator_traitsISH_E10value_typeET2_T3_PNSI_ISN_E10value_typeET4_jRbjT5_ST_jjP12ihipStream_tbEUlT_E2_NS1_11comp_targetILNS1_3genE9ELNS1_11target_archE1100ELNS1_3gpuE3ELNS1_3repE0EEENS1_30default_config_static_selectorELNS0_4arch9wavefront6targetE1EEEvSH_.num_named_barrier, 0
	.set _ZN7rocprim17ROCPRIM_400000_NS6detail17trampoline_kernelINS0_14default_configENS1_36segmented_radix_sort_config_selectorIllEEZNS1_25segmented_radix_sort_implIS3_Lb1EPKlPlS8_S9_N2at6native12_GLOBAL__N_18offset_tEEE10hipError_tPvRmT1_PNSt15iterator_traitsISH_E10value_typeET2_T3_PNSI_ISN_E10value_typeET4_jRbjT5_ST_jjP12ihipStream_tbEUlT_E2_NS1_11comp_targetILNS1_3genE9ELNS1_11target_archE1100ELNS1_3gpuE3ELNS1_3repE0EEENS1_30default_config_static_selectorELNS0_4arch9wavefront6targetE1EEEvSH_.private_seg_size, 0
	.set _ZN7rocprim17ROCPRIM_400000_NS6detail17trampoline_kernelINS0_14default_configENS1_36segmented_radix_sort_config_selectorIllEEZNS1_25segmented_radix_sort_implIS3_Lb1EPKlPlS8_S9_N2at6native12_GLOBAL__N_18offset_tEEE10hipError_tPvRmT1_PNSt15iterator_traitsISH_E10value_typeET2_T3_PNSI_ISN_E10value_typeET4_jRbjT5_ST_jjP12ihipStream_tbEUlT_E2_NS1_11comp_targetILNS1_3genE9ELNS1_11target_archE1100ELNS1_3gpuE3ELNS1_3repE0EEENS1_30default_config_static_selectorELNS0_4arch9wavefront6targetE1EEEvSH_.uses_vcc, 0
	.set _ZN7rocprim17ROCPRIM_400000_NS6detail17trampoline_kernelINS0_14default_configENS1_36segmented_radix_sort_config_selectorIllEEZNS1_25segmented_radix_sort_implIS3_Lb1EPKlPlS8_S9_N2at6native12_GLOBAL__N_18offset_tEEE10hipError_tPvRmT1_PNSt15iterator_traitsISH_E10value_typeET2_T3_PNSI_ISN_E10value_typeET4_jRbjT5_ST_jjP12ihipStream_tbEUlT_E2_NS1_11comp_targetILNS1_3genE9ELNS1_11target_archE1100ELNS1_3gpuE3ELNS1_3repE0EEENS1_30default_config_static_selectorELNS0_4arch9wavefront6targetE1EEEvSH_.uses_flat_scratch, 0
	.set _ZN7rocprim17ROCPRIM_400000_NS6detail17trampoline_kernelINS0_14default_configENS1_36segmented_radix_sort_config_selectorIllEEZNS1_25segmented_radix_sort_implIS3_Lb1EPKlPlS8_S9_N2at6native12_GLOBAL__N_18offset_tEEE10hipError_tPvRmT1_PNSt15iterator_traitsISH_E10value_typeET2_T3_PNSI_ISN_E10value_typeET4_jRbjT5_ST_jjP12ihipStream_tbEUlT_E2_NS1_11comp_targetILNS1_3genE9ELNS1_11target_archE1100ELNS1_3gpuE3ELNS1_3repE0EEENS1_30default_config_static_selectorELNS0_4arch9wavefront6targetE1EEEvSH_.has_dyn_sized_stack, 0
	.set _ZN7rocprim17ROCPRIM_400000_NS6detail17trampoline_kernelINS0_14default_configENS1_36segmented_radix_sort_config_selectorIllEEZNS1_25segmented_radix_sort_implIS3_Lb1EPKlPlS8_S9_N2at6native12_GLOBAL__N_18offset_tEEE10hipError_tPvRmT1_PNSt15iterator_traitsISH_E10value_typeET2_T3_PNSI_ISN_E10value_typeET4_jRbjT5_ST_jjP12ihipStream_tbEUlT_E2_NS1_11comp_targetILNS1_3genE9ELNS1_11target_archE1100ELNS1_3gpuE3ELNS1_3repE0EEENS1_30default_config_static_selectorELNS0_4arch9wavefront6targetE1EEEvSH_.has_recursion, 0
	.set _ZN7rocprim17ROCPRIM_400000_NS6detail17trampoline_kernelINS0_14default_configENS1_36segmented_radix_sort_config_selectorIllEEZNS1_25segmented_radix_sort_implIS3_Lb1EPKlPlS8_S9_N2at6native12_GLOBAL__N_18offset_tEEE10hipError_tPvRmT1_PNSt15iterator_traitsISH_E10value_typeET2_T3_PNSI_ISN_E10value_typeET4_jRbjT5_ST_jjP12ihipStream_tbEUlT_E2_NS1_11comp_targetILNS1_3genE9ELNS1_11target_archE1100ELNS1_3gpuE3ELNS1_3repE0EEENS1_30default_config_static_selectorELNS0_4arch9wavefront6targetE1EEEvSH_.has_indirect_call, 0
	.section	.AMDGPU.csdata,"",@progbits
; Kernel info:
; codeLenInByte = 0
; TotalNumSgprs: 4
; NumVgprs: 0
; ScratchSize: 0
; MemoryBound: 0
; FloatMode: 240
; IeeeMode: 1
; LDSByteSize: 0 bytes/workgroup (compile time only)
; SGPRBlocks: 0
; VGPRBlocks: 0
; NumSGPRsForWavesPerEU: 4
; NumVGPRsForWavesPerEU: 1
; Occupancy: 10
; WaveLimiterHint : 0
; COMPUTE_PGM_RSRC2:SCRATCH_EN: 0
; COMPUTE_PGM_RSRC2:USER_SGPR: 6
; COMPUTE_PGM_RSRC2:TRAP_HANDLER: 0
; COMPUTE_PGM_RSRC2:TGID_X_EN: 1
; COMPUTE_PGM_RSRC2:TGID_Y_EN: 0
; COMPUTE_PGM_RSRC2:TGID_Z_EN: 0
; COMPUTE_PGM_RSRC2:TIDIG_COMP_CNT: 0
	.section	.text._ZN7rocprim17ROCPRIM_400000_NS6detail17trampoline_kernelINS0_14default_configENS1_36segmented_radix_sort_config_selectorIllEEZNS1_25segmented_radix_sort_implIS3_Lb1EPKlPlS8_S9_N2at6native12_GLOBAL__N_18offset_tEEE10hipError_tPvRmT1_PNSt15iterator_traitsISH_E10value_typeET2_T3_PNSI_ISN_E10value_typeET4_jRbjT5_ST_jjP12ihipStream_tbEUlT_E2_NS1_11comp_targetILNS1_3genE8ELNS1_11target_archE1030ELNS1_3gpuE2ELNS1_3repE0EEENS1_30default_config_static_selectorELNS0_4arch9wavefront6targetE1EEEvSH_,"axG",@progbits,_ZN7rocprim17ROCPRIM_400000_NS6detail17trampoline_kernelINS0_14default_configENS1_36segmented_radix_sort_config_selectorIllEEZNS1_25segmented_radix_sort_implIS3_Lb1EPKlPlS8_S9_N2at6native12_GLOBAL__N_18offset_tEEE10hipError_tPvRmT1_PNSt15iterator_traitsISH_E10value_typeET2_T3_PNSI_ISN_E10value_typeET4_jRbjT5_ST_jjP12ihipStream_tbEUlT_E2_NS1_11comp_targetILNS1_3genE8ELNS1_11target_archE1030ELNS1_3gpuE2ELNS1_3repE0EEENS1_30default_config_static_selectorELNS0_4arch9wavefront6targetE1EEEvSH_,comdat
	.globl	_ZN7rocprim17ROCPRIM_400000_NS6detail17trampoline_kernelINS0_14default_configENS1_36segmented_radix_sort_config_selectorIllEEZNS1_25segmented_radix_sort_implIS3_Lb1EPKlPlS8_S9_N2at6native12_GLOBAL__N_18offset_tEEE10hipError_tPvRmT1_PNSt15iterator_traitsISH_E10value_typeET2_T3_PNSI_ISN_E10value_typeET4_jRbjT5_ST_jjP12ihipStream_tbEUlT_E2_NS1_11comp_targetILNS1_3genE8ELNS1_11target_archE1030ELNS1_3gpuE2ELNS1_3repE0EEENS1_30default_config_static_selectorELNS0_4arch9wavefront6targetE1EEEvSH_ ; -- Begin function _ZN7rocprim17ROCPRIM_400000_NS6detail17trampoline_kernelINS0_14default_configENS1_36segmented_radix_sort_config_selectorIllEEZNS1_25segmented_radix_sort_implIS3_Lb1EPKlPlS8_S9_N2at6native12_GLOBAL__N_18offset_tEEE10hipError_tPvRmT1_PNSt15iterator_traitsISH_E10value_typeET2_T3_PNSI_ISN_E10value_typeET4_jRbjT5_ST_jjP12ihipStream_tbEUlT_E2_NS1_11comp_targetILNS1_3genE8ELNS1_11target_archE1030ELNS1_3gpuE2ELNS1_3repE0EEENS1_30default_config_static_selectorELNS0_4arch9wavefront6targetE1EEEvSH_
	.p2align	8
	.type	_ZN7rocprim17ROCPRIM_400000_NS6detail17trampoline_kernelINS0_14default_configENS1_36segmented_radix_sort_config_selectorIllEEZNS1_25segmented_radix_sort_implIS3_Lb1EPKlPlS8_S9_N2at6native12_GLOBAL__N_18offset_tEEE10hipError_tPvRmT1_PNSt15iterator_traitsISH_E10value_typeET2_T3_PNSI_ISN_E10value_typeET4_jRbjT5_ST_jjP12ihipStream_tbEUlT_E2_NS1_11comp_targetILNS1_3genE8ELNS1_11target_archE1030ELNS1_3gpuE2ELNS1_3repE0EEENS1_30default_config_static_selectorELNS0_4arch9wavefront6targetE1EEEvSH_,@function
_ZN7rocprim17ROCPRIM_400000_NS6detail17trampoline_kernelINS0_14default_configENS1_36segmented_radix_sort_config_selectorIllEEZNS1_25segmented_radix_sort_implIS3_Lb1EPKlPlS8_S9_N2at6native12_GLOBAL__N_18offset_tEEE10hipError_tPvRmT1_PNSt15iterator_traitsISH_E10value_typeET2_T3_PNSI_ISN_E10value_typeET4_jRbjT5_ST_jjP12ihipStream_tbEUlT_E2_NS1_11comp_targetILNS1_3genE8ELNS1_11target_archE1030ELNS1_3gpuE2ELNS1_3repE0EEENS1_30default_config_static_selectorELNS0_4arch9wavefront6targetE1EEEvSH_: ; @_ZN7rocprim17ROCPRIM_400000_NS6detail17trampoline_kernelINS0_14default_configENS1_36segmented_radix_sort_config_selectorIllEEZNS1_25segmented_radix_sort_implIS3_Lb1EPKlPlS8_S9_N2at6native12_GLOBAL__N_18offset_tEEE10hipError_tPvRmT1_PNSt15iterator_traitsISH_E10value_typeET2_T3_PNSI_ISN_E10value_typeET4_jRbjT5_ST_jjP12ihipStream_tbEUlT_E2_NS1_11comp_targetILNS1_3genE8ELNS1_11target_archE1030ELNS1_3gpuE2ELNS1_3repE0EEENS1_30default_config_static_selectorELNS0_4arch9wavefront6targetE1EEEvSH_
; %bb.0:
	.section	.rodata,"a",@progbits
	.p2align	6, 0x0
	.amdhsa_kernel _ZN7rocprim17ROCPRIM_400000_NS6detail17trampoline_kernelINS0_14default_configENS1_36segmented_radix_sort_config_selectorIllEEZNS1_25segmented_radix_sort_implIS3_Lb1EPKlPlS8_S9_N2at6native12_GLOBAL__N_18offset_tEEE10hipError_tPvRmT1_PNSt15iterator_traitsISH_E10value_typeET2_T3_PNSI_ISN_E10value_typeET4_jRbjT5_ST_jjP12ihipStream_tbEUlT_E2_NS1_11comp_targetILNS1_3genE8ELNS1_11target_archE1030ELNS1_3gpuE2ELNS1_3repE0EEENS1_30default_config_static_selectorELNS0_4arch9wavefront6targetE1EEEvSH_
		.amdhsa_group_segment_fixed_size 0
		.amdhsa_private_segment_fixed_size 0
		.amdhsa_kernarg_size 80
		.amdhsa_user_sgpr_count 6
		.amdhsa_user_sgpr_private_segment_buffer 1
		.amdhsa_user_sgpr_dispatch_ptr 0
		.amdhsa_user_sgpr_queue_ptr 0
		.amdhsa_user_sgpr_kernarg_segment_ptr 1
		.amdhsa_user_sgpr_dispatch_id 0
		.amdhsa_user_sgpr_flat_scratch_init 0
		.amdhsa_user_sgpr_private_segment_size 0
		.amdhsa_uses_dynamic_stack 0
		.amdhsa_system_sgpr_private_segment_wavefront_offset 0
		.amdhsa_system_sgpr_workgroup_id_x 1
		.amdhsa_system_sgpr_workgroup_id_y 0
		.amdhsa_system_sgpr_workgroup_id_z 0
		.amdhsa_system_sgpr_workgroup_info 0
		.amdhsa_system_vgpr_workitem_id 0
		.amdhsa_next_free_vgpr 1
		.amdhsa_next_free_sgpr 0
		.amdhsa_reserve_vcc 0
		.amdhsa_reserve_flat_scratch 0
		.amdhsa_float_round_mode_32 0
		.amdhsa_float_round_mode_16_64 0
		.amdhsa_float_denorm_mode_32 3
		.amdhsa_float_denorm_mode_16_64 3
		.amdhsa_dx10_clamp 1
		.amdhsa_ieee_mode 1
		.amdhsa_fp16_overflow 0
		.amdhsa_exception_fp_ieee_invalid_op 0
		.amdhsa_exception_fp_denorm_src 0
		.amdhsa_exception_fp_ieee_div_zero 0
		.amdhsa_exception_fp_ieee_overflow 0
		.amdhsa_exception_fp_ieee_underflow 0
		.amdhsa_exception_fp_ieee_inexact 0
		.amdhsa_exception_int_div_zero 0
	.end_amdhsa_kernel
	.section	.text._ZN7rocprim17ROCPRIM_400000_NS6detail17trampoline_kernelINS0_14default_configENS1_36segmented_radix_sort_config_selectorIllEEZNS1_25segmented_radix_sort_implIS3_Lb1EPKlPlS8_S9_N2at6native12_GLOBAL__N_18offset_tEEE10hipError_tPvRmT1_PNSt15iterator_traitsISH_E10value_typeET2_T3_PNSI_ISN_E10value_typeET4_jRbjT5_ST_jjP12ihipStream_tbEUlT_E2_NS1_11comp_targetILNS1_3genE8ELNS1_11target_archE1030ELNS1_3gpuE2ELNS1_3repE0EEENS1_30default_config_static_selectorELNS0_4arch9wavefront6targetE1EEEvSH_,"axG",@progbits,_ZN7rocprim17ROCPRIM_400000_NS6detail17trampoline_kernelINS0_14default_configENS1_36segmented_radix_sort_config_selectorIllEEZNS1_25segmented_radix_sort_implIS3_Lb1EPKlPlS8_S9_N2at6native12_GLOBAL__N_18offset_tEEE10hipError_tPvRmT1_PNSt15iterator_traitsISH_E10value_typeET2_T3_PNSI_ISN_E10value_typeET4_jRbjT5_ST_jjP12ihipStream_tbEUlT_E2_NS1_11comp_targetILNS1_3genE8ELNS1_11target_archE1030ELNS1_3gpuE2ELNS1_3repE0EEENS1_30default_config_static_selectorELNS0_4arch9wavefront6targetE1EEEvSH_,comdat
.Lfunc_end742:
	.size	_ZN7rocprim17ROCPRIM_400000_NS6detail17trampoline_kernelINS0_14default_configENS1_36segmented_radix_sort_config_selectorIllEEZNS1_25segmented_radix_sort_implIS3_Lb1EPKlPlS8_S9_N2at6native12_GLOBAL__N_18offset_tEEE10hipError_tPvRmT1_PNSt15iterator_traitsISH_E10value_typeET2_T3_PNSI_ISN_E10value_typeET4_jRbjT5_ST_jjP12ihipStream_tbEUlT_E2_NS1_11comp_targetILNS1_3genE8ELNS1_11target_archE1030ELNS1_3gpuE2ELNS1_3repE0EEENS1_30default_config_static_selectorELNS0_4arch9wavefront6targetE1EEEvSH_, .Lfunc_end742-_ZN7rocprim17ROCPRIM_400000_NS6detail17trampoline_kernelINS0_14default_configENS1_36segmented_radix_sort_config_selectorIllEEZNS1_25segmented_radix_sort_implIS3_Lb1EPKlPlS8_S9_N2at6native12_GLOBAL__N_18offset_tEEE10hipError_tPvRmT1_PNSt15iterator_traitsISH_E10value_typeET2_T3_PNSI_ISN_E10value_typeET4_jRbjT5_ST_jjP12ihipStream_tbEUlT_E2_NS1_11comp_targetILNS1_3genE8ELNS1_11target_archE1030ELNS1_3gpuE2ELNS1_3repE0EEENS1_30default_config_static_selectorELNS0_4arch9wavefront6targetE1EEEvSH_
                                        ; -- End function
	.set _ZN7rocprim17ROCPRIM_400000_NS6detail17trampoline_kernelINS0_14default_configENS1_36segmented_radix_sort_config_selectorIllEEZNS1_25segmented_radix_sort_implIS3_Lb1EPKlPlS8_S9_N2at6native12_GLOBAL__N_18offset_tEEE10hipError_tPvRmT1_PNSt15iterator_traitsISH_E10value_typeET2_T3_PNSI_ISN_E10value_typeET4_jRbjT5_ST_jjP12ihipStream_tbEUlT_E2_NS1_11comp_targetILNS1_3genE8ELNS1_11target_archE1030ELNS1_3gpuE2ELNS1_3repE0EEENS1_30default_config_static_selectorELNS0_4arch9wavefront6targetE1EEEvSH_.num_vgpr, 0
	.set _ZN7rocprim17ROCPRIM_400000_NS6detail17trampoline_kernelINS0_14default_configENS1_36segmented_radix_sort_config_selectorIllEEZNS1_25segmented_radix_sort_implIS3_Lb1EPKlPlS8_S9_N2at6native12_GLOBAL__N_18offset_tEEE10hipError_tPvRmT1_PNSt15iterator_traitsISH_E10value_typeET2_T3_PNSI_ISN_E10value_typeET4_jRbjT5_ST_jjP12ihipStream_tbEUlT_E2_NS1_11comp_targetILNS1_3genE8ELNS1_11target_archE1030ELNS1_3gpuE2ELNS1_3repE0EEENS1_30default_config_static_selectorELNS0_4arch9wavefront6targetE1EEEvSH_.num_agpr, 0
	.set _ZN7rocprim17ROCPRIM_400000_NS6detail17trampoline_kernelINS0_14default_configENS1_36segmented_radix_sort_config_selectorIllEEZNS1_25segmented_radix_sort_implIS3_Lb1EPKlPlS8_S9_N2at6native12_GLOBAL__N_18offset_tEEE10hipError_tPvRmT1_PNSt15iterator_traitsISH_E10value_typeET2_T3_PNSI_ISN_E10value_typeET4_jRbjT5_ST_jjP12ihipStream_tbEUlT_E2_NS1_11comp_targetILNS1_3genE8ELNS1_11target_archE1030ELNS1_3gpuE2ELNS1_3repE0EEENS1_30default_config_static_selectorELNS0_4arch9wavefront6targetE1EEEvSH_.numbered_sgpr, 0
	.set _ZN7rocprim17ROCPRIM_400000_NS6detail17trampoline_kernelINS0_14default_configENS1_36segmented_radix_sort_config_selectorIllEEZNS1_25segmented_radix_sort_implIS3_Lb1EPKlPlS8_S9_N2at6native12_GLOBAL__N_18offset_tEEE10hipError_tPvRmT1_PNSt15iterator_traitsISH_E10value_typeET2_T3_PNSI_ISN_E10value_typeET4_jRbjT5_ST_jjP12ihipStream_tbEUlT_E2_NS1_11comp_targetILNS1_3genE8ELNS1_11target_archE1030ELNS1_3gpuE2ELNS1_3repE0EEENS1_30default_config_static_selectorELNS0_4arch9wavefront6targetE1EEEvSH_.num_named_barrier, 0
	.set _ZN7rocprim17ROCPRIM_400000_NS6detail17trampoline_kernelINS0_14default_configENS1_36segmented_radix_sort_config_selectorIllEEZNS1_25segmented_radix_sort_implIS3_Lb1EPKlPlS8_S9_N2at6native12_GLOBAL__N_18offset_tEEE10hipError_tPvRmT1_PNSt15iterator_traitsISH_E10value_typeET2_T3_PNSI_ISN_E10value_typeET4_jRbjT5_ST_jjP12ihipStream_tbEUlT_E2_NS1_11comp_targetILNS1_3genE8ELNS1_11target_archE1030ELNS1_3gpuE2ELNS1_3repE0EEENS1_30default_config_static_selectorELNS0_4arch9wavefront6targetE1EEEvSH_.private_seg_size, 0
	.set _ZN7rocprim17ROCPRIM_400000_NS6detail17trampoline_kernelINS0_14default_configENS1_36segmented_radix_sort_config_selectorIllEEZNS1_25segmented_radix_sort_implIS3_Lb1EPKlPlS8_S9_N2at6native12_GLOBAL__N_18offset_tEEE10hipError_tPvRmT1_PNSt15iterator_traitsISH_E10value_typeET2_T3_PNSI_ISN_E10value_typeET4_jRbjT5_ST_jjP12ihipStream_tbEUlT_E2_NS1_11comp_targetILNS1_3genE8ELNS1_11target_archE1030ELNS1_3gpuE2ELNS1_3repE0EEENS1_30default_config_static_selectorELNS0_4arch9wavefront6targetE1EEEvSH_.uses_vcc, 0
	.set _ZN7rocprim17ROCPRIM_400000_NS6detail17trampoline_kernelINS0_14default_configENS1_36segmented_radix_sort_config_selectorIllEEZNS1_25segmented_radix_sort_implIS3_Lb1EPKlPlS8_S9_N2at6native12_GLOBAL__N_18offset_tEEE10hipError_tPvRmT1_PNSt15iterator_traitsISH_E10value_typeET2_T3_PNSI_ISN_E10value_typeET4_jRbjT5_ST_jjP12ihipStream_tbEUlT_E2_NS1_11comp_targetILNS1_3genE8ELNS1_11target_archE1030ELNS1_3gpuE2ELNS1_3repE0EEENS1_30default_config_static_selectorELNS0_4arch9wavefront6targetE1EEEvSH_.uses_flat_scratch, 0
	.set _ZN7rocprim17ROCPRIM_400000_NS6detail17trampoline_kernelINS0_14default_configENS1_36segmented_radix_sort_config_selectorIllEEZNS1_25segmented_radix_sort_implIS3_Lb1EPKlPlS8_S9_N2at6native12_GLOBAL__N_18offset_tEEE10hipError_tPvRmT1_PNSt15iterator_traitsISH_E10value_typeET2_T3_PNSI_ISN_E10value_typeET4_jRbjT5_ST_jjP12ihipStream_tbEUlT_E2_NS1_11comp_targetILNS1_3genE8ELNS1_11target_archE1030ELNS1_3gpuE2ELNS1_3repE0EEENS1_30default_config_static_selectorELNS0_4arch9wavefront6targetE1EEEvSH_.has_dyn_sized_stack, 0
	.set _ZN7rocprim17ROCPRIM_400000_NS6detail17trampoline_kernelINS0_14default_configENS1_36segmented_radix_sort_config_selectorIllEEZNS1_25segmented_radix_sort_implIS3_Lb1EPKlPlS8_S9_N2at6native12_GLOBAL__N_18offset_tEEE10hipError_tPvRmT1_PNSt15iterator_traitsISH_E10value_typeET2_T3_PNSI_ISN_E10value_typeET4_jRbjT5_ST_jjP12ihipStream_tbEUlT_E2_NS1_11comp_targetILNS1_3genE8ELNS1_11target_archE1030ELNS1_3gpuE2ELNS1_3repE0EEENS1_30default_config_static_selectorELNS0_4arch9wavefront6targetE1EEEvSH_.has_recursion, 0
	.set _ZN7rocprim17ROCPRIM_400000_NS6detail17trampoline_kernelINS0_14default_configENS1_36segmented_radix_sort_config_selectorIllEEZNS1_25segmented_radix_sort_implIS3_Lb1EPKlPlS8_S9_N2at6native12_GLOBAL__N_18offset_tEEE10hipError_tPvRmT1_PNSt15iterator_traitsISH_E10value_typeET2_T3_PNSI_ISN_E10value_typeET4_jRbjT5_ST_jjP12ihipStream_tbEUlT_E2_NS1_11comp_targetILNS1_3genE8ELNS1_11target_archE1030ELNS1_3gpuE2ELNS1_3repE0EEENS1_30default_config_static_selectorELNS0_4arch9wavefront6targetE1EEEvSH_.has_indirect_call, 0
	.section	.AMDGPU.csdata,"",@progbits
; Kernel info:
; codeLenInByte = 0
; TotalNumSgprs: 4
; NumVgprs: 0
; ScratchSize: 0
; MemoryBound: 0
; FloatMode: 240
; IeeeMode: 1
; LDSByteSize: 0 bytes/workgroup (compile time only)
; SGPRBlocks: 0
; VGPRBlocks: 0
; NumSGPRsForWavesPerEU: 4
; NumVGPRsForWavesPerEU: 1
; Occupancy: 10
; WaveLimiterHint : 0
; COMPUTE_PGM_RSRC2:SCRATCH_EN: 0
; COMPUTE_PGM_RSRC2:USER_SGPR: 6
; COMPUTE_PGM_RSRC2:TRAP_HANDLER: 0
; COMPUTE_PGM_RSRC2:TGID_X_EN: 1
; COMPUTE_PGM_RSRC2:TGID_Y_EN: 0
; COMPUTE_PGM_RSRC2:TGID_Z_EN: 0
; COMPUTE_PGM_RSRC2:TIDIG_COMP_CNT: 0
	.section	.text._ZN7rocprim17ROCPRIM_400000_NS6detail17trampoline_kernelINS0_13select_configILj256ELj13ELNS0_17block_load_methodE3ELS4_3ELS4_3ELNS0_20block_scan_algorithmE0ELj4294967295EEENS1_25partition_config_selectorILNS1_17partition_subalgoE4EjNS0_10empty_typeEbEEZZNS1_14partition_implILS8_4ELb0ES6_15HIP_vector_typeIjLj2EENS0_17counting_iteratorIjlEEPS9_SG_NS0_5tupleIJPjSI_NS0_16reverse_iteratorISI_EEEEENSH_IJSG_SG_SG_EEES9_SI_JZNS1_25segmented_radix_sort_implINS0_14default_configELb0EPKlPlSQ_SR_N2at6native12_GLOBAL__N_18offset_tEEE10hipError_tPvRmT1_PNSt15iterator_traitsISZ_E10value_typeET2_T3_PNS10_IS15_E10value_typeET4_jRbjT5_S1B_jjP12ihipStream_tbEUljE_ZNSN_ISO_Lb0ESQ_SR_SQ_SR_SV_EESW_SX_SY_SZ_S13_S14_S15_S18_S19_jS1A_jS1B_S1B_jjS1D_bEUljE0_EEESW_SX_SY_S15_S19_S1B_T6_T7_T9_mT8_S1D_bDpT10_ENKUlT_T0_E_clISt17integral_constantIbLb0EES1R_EEDaS1M_S1N_EUlS1M_E_NS1_11comp_targetILNS1_3genE0ELNS1_11target_archE4294967295ELNS1_3gpuE0ELNS1_3repE0EEENS1_30default_config_static_selectorELNS0_4arch9wavefront6targetE1EEEvSZ_,"axG",@progbits,_ZN7rocprim17ROCPRIM_400000_NS6detail17trampoline_kernelINS0_13select_configILj256ELj13ELNS0_17block_load_methodE3ELS4_3ELS4_3ELNS0_20block_scan_algorithmE0ELj4294967295EEENS1_25partition_config_selectorILNS1_17partition_subalgoE4EjNS0_10empty_typeEbEEZZNS1_14partition_implILS8_4ELb0ES6_15HIP_vector_typeIjLj2EENS0_17counting_iteratorIjlEEPS9_SG_NS0_5tupleIJPjSI_NS0_16reverse_iteratorISI_EEEEENSH_IJSG_SG_SG_EEES9_SI_JZNS1_25segmented_radix_sort_implINS0_14default_configELb0EPKlPlSQ_SR_N2at6native12_GLOBAL__N_18offset_tEEE10hipError_tPvRmT1_PNSt15iterator_traitsISZ_E10value_typeET2_T3_PNS10_IS15_E10value_typeET4_jRbjT5_S1B_jjP12ihipStream_tbEUljE_ZNSN_ISO_Lb0ESQ_SR_SQ_SR_SV_EESW_SX_SY_SZ_S13_S14_S15_S18_S19_jS1A_jS1B_S1B_jjS1D_bEUljE0_EEESW_SX_SY_S15_S19_S1B_T6_T7_T9_mT8_S1D_bDpT10_ENKUlT_T0_E_clISt17integral_constantIbLb0EES1R_EEDaS1M_S1N_EUlS1M_E_NS1_11comp_targetILNS1_3genE0ELNS1_11target_archE4294967295ELNS1_3gpuE0ELNS1_3repE0EEENS1_30default_config_static_selectorELNS0_4arch9wavefront6targetE1EEEvSZ_,comdat
	.globl	_ZN7rocprim17ROCPRIM_400000_NS6detail17trampoline_kernelINS0_13select_configILj256ELj13ELNS0_17block_load_methodE3ELS4_3ELS4_3ELNS0_20block_scan_algorithmE0ELj4294967295EEENS1_25partition_config_selectorILNS1_17partition_subalgoE4EjNS0_10empty_typeEbEEZZNS1_14partition_implILS8_4ELb0ES6_15HIP_vector_typeIjLj2EENS0_17counting_iteratorIjlEEPS9_SG_NS0_5tupleIJPjSI_NS0_16reverse_iteratorISI_EEEEENSH_IJSG_SG_SG_EEES9_SI_JZNS1_25segmented_radix_sort_implINS0_14default_configELb0EPKlPlSQ_SR_N2at6native12_GLOBAL__N_18offset_tEEE10hipError_tPvRmT1_PNSt15iterator_traitsISZ_E10value_typeET2_T3_PNS10_IS15_E10value_typeET4_jRbjT5_S1B_jjP12ihipStream_tbEUljE_ZNSN_ISO_Lb0ESQ_SR_SQ_SR_SV_EESW_SX_SY_SZ_S13_S14_S15_S18_S19_jS1A_jS1B_S1B_jjS1D_bEUljE0_EEESW_SX_SY_S15_S19_S1B_T6_T7_T9_mT8_S1D_bDpT10_ENKUlT_T0_E_clISt17integral_constantIbLb0EES1R_EEDaS1M_S1N_EUlS1M_E_NS1_11comp_targetILNS1_3genE0ELNS1_11target_archE4294967295ELNS1_3gpuE0ELNS1_3repE0EEENS1_30default_config_static_selectorELNS0_4arch9wavefront6targetE1EEEvSZ_ ; -- Begin function _ZN7rocprim17ROCPRIM_400000_NS6detail17trampoline_kernelINS0_13select_configILj256ELj13ELNS0_17block_load_methodE3ELS4_3ELS4_3ELNS0_20block_scan_algorithmE0ELj4294967295EEENS1_25partition_config_selectorILNS1_17partition_subalgoE4EjNS0_10empty_typeEbEEZZNS1_14partition_implILS8_4ELb0ES6_15HIP_vector_typeIjLj2EENS0_17counting_iteratorIjlEEPS9_SG_NS0_5tupleIJPjSI_NS0_16reverse_iteratorISI_EEEEENSH_IJSG_SG_SG_EEES9_SI_JZNS1_25segmented_radix_sort_implINS0_14default_configELb0EPKlPlSQ_SR_N2at6native12_GLOBAL__N_18offset_tEEE10hipError_tPvRmT1_PNSt15iterator_traitsISZ_E10value_typeET2_T3_PNS10_IS15_E10value_typeET4_jRbjT5_S1B_jjP12ihipStream_tbEUljE_ZNSN_ISO_Lb0ESQ_SR_SQ_SR_SV_EESW_SX_SY_SZ_S13_S14_S15_S18_S19_jS1A_jS1B_S1B_jjS1D_bEUljE0_EEESW_SX_SY_S15_S19_S1B_T6_T7_T9_mT8_S1D_bDpT10_ENKUlT_T0_E_clISt17integral_constantIbLb0EES1R_EEDaS1M_S1N_EUlS1M_E_NS1_11comp_targetILNS1_3genE0ELNS1_11target_archE4294967295ELNS1_3gpuE0ELNS1_3repE0EEENS1_30default_config_static_selectorELNS0_4arch9wavefront6targetE1EEEvSZ_
	.p2align	8
	.type	_ZN7rocprim17ROCPRIM_400000_NS6detail17trampoline_kernelINS0_13select_configILj256ELj13ELNS0_17block_load_methodE3ELS4_3ELS4_3ELNS0_20block_scan_algorithmE0ELj4294967295EEENS1_25partition_config_selectorILNS1_17partition_subalgoE4EjNS0_10empty_typeEbEEZZNS1_14partition_implILS8_4ELb0ES6_15HIP_vector_typeIjLj2EENS0_17counting_iteratorIjlEEPS9_SG_NS0_5tupleIJPjSI_NS0_16reverse_iteratorISI_EEEEENSH_IJSG_SG_SG_EEES9_SI_JZNS1_25segmented_radix_sort_implINS0_14default_configELb0EPKlPlSQ_SR_N2at6native12_GLOBAL__N_18offset_tEEE10hipError_tPvRmT1_PNSt15iterator_traitsISZ_E10value_typeET2_T3_PNS10_IS15_E10value_typeET4_jRbjT5_S1B_jjP12ihipStream_tbEUljE_ZNSN_ISO_Lb0ESQ_SR_SQ_SR_SV_EESW_SX_SY_SZ_S13_S14_S15_S18_S19_jS1A_jS1B_S1B_jjS1D_bEUljE0_EEESW_SX_SY_S15_S19_S1B_T6_T7_T9_mT8_S1D_bDpT10_ENKUlT_T0_E_clISt17integral_constantIbLb0EES1R_EEDaS1M_S1N_EUlS1M_E_NS1_11comp_targetILNS1_3genE0ELNS1_11target_archE4294967295ELNS1_3gpuE0ELNS1_3repE0EEENS1_30default_config_static_selectorELNS0_4arch9wavefront6targetE1EEEvSZ_,@function
_ZN7rocprim17ROCPRIM_400000_NS6detail17trampoline_kernelINS0_13select_configILj256ELj13ELNS0_17block_load_methodE3ELS4_3ELS4_3ELNS0_20block_scan_algorithmE0ELj4294967295EEENS1_25partition_config_selectorILNS1_17partition_subalgoE4EjNS0_10empty_typeEbEEZZNS1_14partition_implILS8_4ELb0ES6_15HIP_vector_typeIjLj2EENS0_17counting_iteratorIjlEEPS9_SG_NS0_5tupleIJPjSI_NS0_16reverse_iteratorISI_EEEEENSH_IJSG_SG_SG_EEES9_SI_JZNS1_25segmented_radix_sort_implINS0_14default_configELb0EPKlPlSQ_SR_N2at6native12_GLOBAL__N_18offset_tEEE10hipError_tPvRmT1_PNSt15iterator_traitsISZ_E10value_typeET2_T3_PNS10_IS15_E10value_typeET4_jRbjT5_S1B_jjP12ihipStream_tbEUljE_ZNSN_ISO_Lb0ESQ_SR_SQ_SR_SV_EESW_SX_SY_SZ_S13_S14_S15_S18_S19_jS1A_jS1B_S1B_jjS1D_bEUljE0_EEESW_SX_SY_S15_S19_S1B_T6_T7_T9_mT8_S1D_bDpT10_ENKUlT_T0_E_clISt17integral_constantIbLb0EES1R_EEDaS1M_S1N_EUlS1M_E_NS1_11comp_targetILNS1_3genE0ELNS1_11target_archE4294967295ELNS1_3gpuE0ELNS1_3repE0EEENS1_30default_config_static_selectorELNS0_4arch9wavefront6targetE1EEEvSZ_: ; @_ZN7rocprim17ROCPRIM_400000_NS6detail17trampoline_kernelINS0_13select_configILj256ELj13ELNS0_17block_load_methodE3ELS4_3ELS4_3ELNS0_20block_scan_algorithmE0ELj4294967295EEENS1_25partition_config_selectorILNS1_17partition_subalgoE4EjNS0_10empty_typeEbEEZZNS1_14partition_implILS8_4ELb0ES6_15HIP_vector_typeIjLj2EENS0_17counting_iteratorIjlEEPS9_SG_NS0_5tupleIJPjSI_NS0_16reverse_iteratorISI_EEEEENSH_IJSG_SG_SG_EEES9_SI_JZNS1_25segmented_radix_sort_implINS0_14default_configELb0EPKlPlSQ_SR_N2at6native12_GLOBAL__N_18offset_tEEE10hipError_tPvRmT1_PNSt15iterator_traitsISZ_E10value_typeET2_T3_PNS10_IS15_E10value_typeET4_jRbjT5_S1B_jjP12ihipStream_tbEUljE_ZNSN_ISO_Lb0ESQ_SR_SQ_SR_SV_EESW_SX_SY_SZ_S13_S14_S15_S18_S19_jS1A_jS1B_S1B_jjS1D_bEUljE0_EEESW_SX_SY_S15_S19_S1B_T6_T7_T9_mT8_S1D_bDpT10_ENKUlT_T0_E_clISt17integral_constantIbLb0EES1R_EEDaS1M_S1N_EUlS1M_E_NS1_11comp_targetILNS1_3genE0ELNS1_11target_archE4294967295ELNS1_3gpuE0ELNS1_3repE0EEENS1_30default_config_static_selectorELNS0_4arch9wavefront6targetE1EEEvSZ_
; %bb.0:
	.section	.rodata,"a",@progbits
	.p2align	6, 0x0
	.amdhsa_kernel _ZN7rocprim17ROCPRIM_400000_NS6detail17trampoline_kernelINS0_13select_configILj256ELj13ELNS0_17block_load_methodE3ELS4_3ELS4_3ELNS0_20block_scan_algorithmE0ELj4294967295EEENS1_25partition_config_selectorILNS1_17partition_subalgoE4EjNS0_10empty_typeEbEEZZNS1_14partition_implILS8_4ELb0ES6_15HIP_vector_typeIjLj2EENS0_17counting_iteratorIjlEEPS9_SG_NS0_5tupleIJPjSI_NS0_16reverse_iteratorISI_EEEEENSH_IJSG_SG_SG_EEES9_SI_JZNS1_25segmented_radix_sort_implINS0_14default_configELb0EPKlPlSQ_SR_N2at6native12_GLOBAL__N_18offset_tEEE10hipError_tPvRmT1_PNSt15iterator_traitsISZ_E10value_typeET2_T3_PNS10_IS15_E10value_typeET4_jRbjT5_S1B_jjP12ihipStream_tbEUljE_ZNSN_ISO_Lb0ESQ_SR_SQ_SR_SV_EESW_SX_SY_SZ_S13_S14_S15_S18_S19_jS1A_jS1B_S1B_jjS1D_bEUljE0_EEESW_SX_SY_S15_S19_S1B_T6_T7_T9_mT8_S1D_bDpT10_ENKUlT_T0_E_clISt17integral_constantIbLb0EES1R_EEDaS1M_S1N_EUlS1M_E_NS1_11comp_targetILNS1_3genE0ELNS1_11target_archE4294967295ELNS1_3gpuE0ELNS1_3repE0EEENS1_30default_config_static_selectorELNS0_4arch9wavefront6targetE1EEEvSZ_
		.amdhsa_group_segment_fixed_size 0
		.amdhsa_private_segment_fixed_size 0
		.amdhsa_kernarg_size 176
		.amdhsa_user_sgpr_count 6
		.amdhsa_user_sgpr_private_segment_buffer 1
		.amdhsa_user_sgpr_dispatch_ptr 0
		.amdhsa_user_sgpr_queue_ptr 0
		.amdhsa_user_sgpr_kernarg_segment_ptr 1
		.amdhsa_user_sgpr_dispatch_id 0
		.amdhsa_user_sgpr_flat_scratch_init 0
		.amdhsa_user_sgpr_private_segment_size 0
		.amdhsa_uses_dynamic_stack 0
		.amdhsa_system_sgpr_private_segment_wavefront_offset 0
		.amdhsa_system_sgpr_workgroup_id_x 1
		.amdhsa_system_sgpr_workgroup_id_y 0
		.amdhsa_system_sgpr_workgroup_id_z 0
		.amdhsa_system_sgpr_workgroup_info 0
		.amdhsa_system_vgpr_workitem_id 0
		.amdhsa_next_free_vgpr 1
		.amdhsa_next_free_sgpr 0
		.amdhsa_reserve_vcc 0
		.amdhsa_reserve_flat_scratch 0
		.amdhsa_float_round_mode_32 0
		.amdhsa_float_round_mode_16_64 0
		.amdhsa_float_denorm_mode_32 3
		.amdhsa_float_denorm_mode_16_64 3
		.amdhsa_dx10_clamp 1
		.amdhsa_ieee_mode 1
		.amdhsa_fp16_overflow 0
		.amdhsa_exception_fp_ieee_invalid_op 0
		.amdhsa_exception_fp_denorm_src 0
		.amdhsa_exception_fp_ieee_div_zero 0
		.amdhsa_exception_fp_ieee_overflow 0
		.amdhsa_exception_fp_ieee_underflow 0
		.amdhsa_exception_fp_ieee_inexact 0
		.amdhsa_exception_int_div_zero 0
	.end_amdhsa_kernel
	.section	.text._ZN7rocprim17ROCPRIM_400000_NS6detail17trampoline_kernelINS0_13select_configILj256ELj13ELNS0_17block_load_methodE3ELS4_3ELS4_3ELNS0_20block_scan_algorithmE0ELj4294967295EEENS1_25partition_config_selectorILNS1_17partition_subalgoE4EjNS0_10empty_typeEbEEZZNS1_14partition_implILS8_4ELb0ES6_15HIP_vector_typeIjLj2EENS0_17counting_iteratorIjlEEPS9_SG_NS0_5tupleIJPjSI_NS0_16reverse_iteratorISI_EEEEENSH_IJSG_SG_SG_EEES9_SI_JZNS1_25segmented_radix_sort_implINS0_14default_configELb0EPKlPlSQ_SR_N2at6native12_GLOBAL__N_18offset_tEEE10hipError_tPvRmT1_PNSt15iterator_traitsISZ_E10value_typeET2_T3_PNS10_IS15_E10value_typeET4_jRbjT5_S1B_jjP12ihipStream_tbEUljE_ZNSN_ISO_Lb0ESQ_SR_SQ_SR_SV_EESW_SX_SY_SZ_S13_S14_S15_S18_S19_jS1A_jS1B_S1B_jjS1D_bEUljE0_EEESW_SX_SY_S15_S19_S1B_T6_T7_T9_mT8_S1D_bDpT10_ENKUlT_T0_E_clISt17integral_constantIbLb0EES1R_EEDaS1M_S1N_EUlS1M_E_NS1_11comp_targetILNS1_3genE0ELNS1_11target_archE4294967295ELNS1_3gpuE0ELNS1_3repE0EEENS1_30default_config_static_selectorELNS0_4arch9wavefront6targetE1EEEvSZ_,"axG",@progbits,_ZN7rocprim17ROCPRIM_400000_NS6detail17trampoline_kernelINS0_13select_configILj256ELj13ELNS0_17block_load_methodE3ELS4_3ELS4_3ELNS0_20block_scan_algorithmE0ELj4294967295EEENS1_25partition_config_selectorILNS1_17partition_subalgoE4EjNS0_10empty_typeEbEEZZNS1_14partition_implILS8_4ELb0ES6_15HIP_vector_typeIjLj2EENS0_17counting_iteratorIjlEEPS9_SG_NS0_5tupleIJPjSI_NS0_16reverse_iteratorISI_EEEEENSH_IJSG_SG_SG_EEES9_SI_JZNS1_25segmented_radix_sort_implINS0_14default_configELb0EPKlPlSQ_SR_N2at6native12_GLOBAL__N_18offset_tEEE10hipError_tPvRmT1_PNSt15iterator_traitsISZ_E10value_typeET2_T3_PNS10_IS15_E10value_typeET4_jRbjT5_S1B_jjP12ihipStream_tbEUljE_ZNSN_ISO_Lb0ESQ_SR_SQ_SR_SV_EESW_SX_SY_SZ_S13_S14_S15_S18_S19_jS1A_jS1B_S1B_jjS1D_bEUljE0_EEESW_SX_SY_S15_S19_S1B_T6_T7_T9_mT8_S1D_bDpT10_ENKUlT_T0_E_clISt17integral_constantIbLb0EES1R_EEDaS1M_S1N_EUlS1M_E_NS1_11comp_targetILNS1_3genE0ELNS1_11target_archE4294967295ELNS1_3gpuE0ELNS1_3repE0EEENS1_30default_config_static_selectorELNS0_4arch9wavefront6targetE1EEEvSZ_,comdat
.Lfunc_end743:
	.size	_ZN7rocprim17ROCPRIM_400000_NS6detail17trampoline_kernelINS0_13select_configILj256ELj13ELNS0_17block_load_methodE3ELS4_3ELS4_3ELNS0_20block_scan_algorithmE0ELj4294967295EEENS1_25partition_config_selectorILNS1_17partition_subalgoE4EjNS0_10empty_typeEbEEZZNS1_14partition_implILS8_4ELb0ES6_15HIP_vector_typeIjLj2EENS0_17counting_iteratorIjlEEPS9_SG_NS0_5tupleIJPjSI_NS0_16reverse_iteratorISI_EEEEENSH_IJSG_SG_SG_EEES9_SI_JZNS1_25segmented_radix_sort_implINS0_14default_configELb0EPKlPlSQ_SR_N2at6native12_GLOBAL__N_18offset_tEEE10hipError_tPvRmT1_PNSt15iterator_traitsISZ_E10value_typeET2_T3_PNS10_IS15_E10value_typeET4_jRbjT5_S1B_jjP12ihipStream_tbEUljE_ZNSN_ISO_Lb0ESQ_SR_SQ_SR_SV_EESW_SX_SY_SZ_S13_S14_S15_S18_S19_jS1A_jS1B_S1B_jjS1D_bEUljE0_EEESW_SX_SY_S15_S19_S1B_T6_T7_T9_mT8_S1D_bDpT10_ENKUlT_T0_E_clISt17integral_constantIbLb0EES1R_EEDaS1M_S1N_EUlS1M_E_NS1_11comp_targetILNS1_3genE0ELNS1_11target_archE4294967295ELNS1_3gpuE0ELNS1_3repE0EEENS1_30default_config_static_selectorELNS0_4arch9wavefront6targetE1EEEvSZ_, .Lfunc_end743-_ZN7rocprim17ROCPRIM_400000_NS6detail17trampoline_kernelINS0_13select_configILj256ELj13ELNS0_17block_load_methodE3ELS4_3ELS4_3ELNS0_20block_scan_algorithmE0ELj4294967295EEENS1_25partition_config_selectorILNS1_17partition_subalgoE4EjNS0_10empty_typeEbEEZZNS1_14partition_implILS8_4ELb0ES6_15HIP_vector_typeIjLj2EENS0_17counting_iteratorIjlEEPS9_SG_NS0_5tupleIJPjSI_NS0_16reverse_iteratorISI_EEEEENSH_IJSG_SG_SG_EEES9_SI_JZNS1_25segmented_radix_sort_implINS0_14default_configELb0EPKlPlSQ_SR_N2at6native12_GLOBAL__N_18offset_tEEE10hipError_tPvRmT1_PNSt15iterator_traitsISZ_E10value_typeET2_T3_PNS10_IS15_E10value_typeET4_jRbjT5_S1B_jjP12ihipStream_tbEUljE_ZNSN_ISO_Lb0ESQ_SR_SQ_SR_SV_EESW_SX_SY_SZ_S13_S14_S15_S18_S19_jS1A_jS1B_S1B_jjS1D_bEUljE0_EEESW_SX_SY_S15_S19_S1B_T6_T7_T9_mT8_S1D_bDpT10_ENKUlT_T0_E_clISt17integral_constantIbLb0EES1R_EEDaS1M_S1N_EUlS1M_E_NS1_11comp_targetILNS1_3genE0ELNS1_11target_archE4294967295ELNS1_3gpuE0ELNS1_3repE0EEENS1_30default_config_static_selectorELNS0_4arch9wavefront6targetE1EEEvSZ_
                                        ; -- End function
	.set _ZN7rocprim17ROCPRIM_400000_NS6detail17trampoline_kernelINS0_13select_configILj256ELj13ELNS0_17block_load_methodE3ELS4_3ELS4_3ELNS0_20block_scan_algorithmE0ELj4294967295EEENS1_25partition_config_selectorILNS1_17partition_subalgoE4EjNS0_10empty_typeEbEEZZNS1_14partition_implILS8_4ELb0ES6_15HIP_vector_typeIjLj2EENS0_17counting_iteratorIjlEEPS9_SG_NS0_5tupleIJPjSI_NS0_16reverse_iteratorISI_EEEEENSH_IJSG_SG_SG_EEES9_SI_JZNS1_25segmented_radix_sort_implINS0_14default_configELb0EPKlPlSQ_SR_N2at6native12_GLOBAL__N_18offset_tEEE10hipError_tPvRmT1_PNSt15iterator_traitsISZ_E10value_typeET2_T3_PNS10_IS15_E10value_typeET4_jRbjT5_S1B_jjP12ihipStream_tbEUljE_ZNSN_ISO_Lb0ESQ_SR_SQ_SR_SV_EESW_SX_SY_SZ_S13_S14_S15_S18_S19_jS1A_jS1B_S1B_jjS1D_bEUljE0_EEESW_SX_SY_S15_S19_S1B_T6_T7_T9_mT8_S1D_bDpT10_ENKUlT_T0_E_clISt17integral_constantIbLb0EES1R_EEDaS1M_S1N_EUlS1M_E_NS1_11comp_targetILNS1_3genE0ELNS1_11target_archE4294967295ELNS1_3gpuE0ELNS1_3repE0EEENS1_30default_config_static_selectorELNS0_4arch9wavefront6targetE1EEEvSZ_.num_vgpr, 0
	.set _ZN7rocprim17ROCPRIM_400000_NS6detail17trampoline_kernelINS0_13select_configILj256ELj13ELNS0_17block_load_methodE3ELS4_3ELS4_3ELNS0_20block_scan_algorithmE0ELj4294967295EEENS1_25partition_config_selectorILNS1_17partition_subalgoE4EjNS0_10empty_typeEbEEZZNS1_14partition_implILS8_4ELb0ES6_15HIP_vector_typeIjLj2EENS0_17counting_iteratorIjlEEPS9_SG_NS0_5tupleIJPjSI_NS0_16reverse_iteratorISI_EEEEENSH_IJSG_SG_SG_EEES9_SI_JZNS1_25segmented_radix_sort_implINS0_14default_configELb0EPKlPlSQ_SR_N2at6native12_GLOBAL__N_18offset_tEEE10hipError_tPvRmT1_PNSt15iterator_traitsISZ_E10value_typeET2_T3_PNS10_IS15_E10value_typeET4_jRbjT5_S1B_jjP12ihipStream_tbEUljE_ZNSN_ISO_Lb0ESQ_SR_SQ_SR_SV_EESW_SX_SY_SZ_S13_S14_S15_S18_S19_jS1A_jS1B_S1B_jjS1D_bEUljE0_EEESW_SX_SY_S15_S19_S1B_T6_T7_T9_mT8_S1D_bDpT10_ENKUlT_T0_E_clISt17integral_constantIbLb0EES1R_EEDaS1M_S1N_EUlS1M_E_NS1_11comp_targetILNS1_3genE0ELNS1_11target_archE4294967295ELNS1_3gpuE0ELNS1_3repE0EEENS1_30default_config_static_selectorELNS0_4arch9wavefront6targetE1EEEvSZ_.num_agpr, 0
	.set _ZN7rocprim17ROCPRIM_400000_NS6detail17trampoline_kernelINS0_13select_configILj256ELj13ELNS0_17block_load_methodE3ELS4_3ELS4_3ELNS0_20block_scan_algorithmE0ELj4294967295EEENS1_25partition_config_selectorILNS1_17partition_subalgoE4EjNS0_10empty_typeEbEEZZNS1_14partition_implILS8_4ELb0ES6_15HIP_vector_typeIjLj2EENS0_17counting_iteratorIjlEEPS9_SG_NS0_5tupleIJPjSI_NS0_16reverse_iteratorISI_EEEEENSH_IJSG_SG_SG_EEES9_SI_JZNS1_25segmented_radix_sort_implINS0_14default_configELb0EPKlPlSQ_SR_N2at6native12_GLOBAL__N_18offset_tEEE10hipError_tPvRmT1_PNSt15iterator_traitsISZ_E10value_typeET2_T3_PNS10_IS15_E10value_typeET4_jRbjT5_S1B_jjP12ihipStream_tbEUljE_ZNSN_ISO_Lb0ESQ_SR_SQ_SR_SV_EESW_SX_SY_SZ_S13_S14_S15_S18_S19_jS1A_jS1B_S1B_jjS1D_bEUljE0_EEESW_SX_SY_S15_S19_S1B_T6_T7_T9_mT8_S1D_bDpT10_ENKUlT_T0_E_clISt17integral_constantIbLb0EES1R_EEDaS1M_S1N_EUlS1M_E_NS1_11comp_targetILNS1_3genE0ELNS1_11target_archE4294967295ELNS1_3gpuE0ELNS1_3repE0EEENS1_30default_config_static_selectorELNS0_4arch9wavefront6targetE1EEEvSZ_.numbered_sgpr, 0
	.set _ZN7rocprim17ROCPRIM_400000_NS6detail17trampoline_kernelINS0_13select_configILj256ELj13ELNS0_17block_load_methodE3ELS4_3ELS4_3ELNS0_20block_scan_algorithmE0ELj4294967295EEENS1_25partition_config_selectorILNS1_17partition_subalgoE4EjNS0_10empty_typeEbEEZZNS1_14partition_implILS8_4ELb0ES6_15HIP_vector_typeIjLj2EENS0_17counting_iteratorIjlEEPS9_SG_NS0_5tupleIJPjSI_NS0_16reverse_iteratorISI_EEEEENSH_IJSG_SG_SG_EEES9_SI_JZNS1_25segmented_radix_sort_implINS0_14default_configELb0EPKlPlSQ_SR_N2at6native12_GLOBAL__N_18offset_tEEE10hipError_tPvRmT1_PNSt15iterator_traitsISZ_E10value_typeET2_T3_PNS10_IS15_E10value_typeET4_jRbjT5_S1B_jjP12ihipStream_tbEUljE_ZNSN_ISO_Lb0ESQ_SR_SQ_SR_SV_EESW_SX_SY_SZ_S13_S14_S15_S18_S19_jS1A_jS1B_S1B_jjS1D_bEUljE0_EEESW_SX_SY_S15_S19_S1B_T6_T7_T9_mT8_S1D_bDpT10_ENKUlT_T0_E_clISt17integral_constantIbLb0EES1R_EEDaS1M_S1N_EUlS1M_E_NS1_11comp_targetILNS1_3genE0ELNS1_11target_archE4294967295ELNS1_3gpuE0ELNS1_3repE0EEENS1_30default_config_static_selectorELNS0_4arch9wavefront6targetE1EEEvSZ_.num_named_barrier, 0
	.set _ZN7rocprim17ROCPRIM_400000_NS6detail17trampoline_kernelINS0_13select_configILj256ELj13ELNS0_17block_load_methodE3ELS4_3ELS4_3ELNS0_20block_scan_algorithmE0ELj4294967295EEENS1_25partition_config_selectorILNS1_17partition_subalgoE4EjNS0_10empty_typeEbEEZZNS1_14partition_implILS8_4ELb0ES6_15HIP_vector_typeIjLj2EENS0_17counting_iteratorIjlEEPS9_SG_NS0_5tupleIJPjSI_NS0_16reverse_iteratorISI_EEEEENSH_IJSG_SG_SG_EEES9_SI_JZNS1_25segmented_radix_sort_implINS0_14default_configELb0EPKlPlSQ_SR_N2at6native12_GLOBAL__N_18offset_tEEE10hipError_tPvRmT1_PNSt15iterator_traitsISZ_E10value_typeET2_T3_PNS10_IS15_E10value_typeET4_jRbjT5_S1B_jjP12ihipStream_tbEUljE_ZNSN_ISO_Lb0ESQ_SR_SQ_SR_SV_EESW_SX_SY_SZ_S13_S14_S15_S18_S19_jS1A_jS1B_S1B_jjS1D_bEUljE0_EEESW_SX_SY_S15_S19_S1B_T6_T7_T9_mT8_S1D_bDpT10_ENKUlT_T0_E_clISt17integral_constantIbLb0EES1R_EEDaS1M_S1N_EUlS1M_E_NS1_11comp_targetILNS1_3genE0ELNS1_11target_archE4294967295ELNS1_3gpuE0ELNS1_3repE0EEENS1_30default_config_static_selectorELNS0_4arch9wavefront6targetE1EEEvSZ_.private_seg_size, 0
	.set _ZN7rocprim17ROCPRIM_400000_NS6detail17trampoline_kernelINS0_13select_configILj256ELj13ELNS0_17block_load_methodE3ELS4_3ELS4_3ELNS0_20block_scan_algorithmE0ELj4294967295EEENS1_25partition_config_selectorILNS1_17partition_subalgoE4EjNS0_10empty_typeEbEEZZNS1_14partition_implILS8_4ELb0ES6_15HIP_vector_typeIjLj2EENS0_17counting_iteratorIjlEEPS9_SG_NS0_5tupleIJPjSI_NS0_16reverse_iteratorISI_EEEEENSH_IJSG_SG_SG_EEES9_SI_JZNS1_25segmented_radix_sort_implINS0_14default_configELb0EPKlPlSQ_SR_N2at6native12_GLOBAL__N_18offset_tEEE10hipError_tPvRmT1_PNSt15iterator_traitsISZ_E10value_typeET2_T3_PNS10_IS15_E10value_typeET4_jRbjT5_S1B_jjP12ihipStream_tbEUljE_ZNSN_ISO_Lb0ESQ_SR_SQ_SR_SV_EESW_SX_SY_SZ_S13_S14_S15_S18_S19_jS1A_jS1B_S1B_jjS1D_bEUljE0_EEESW_SX_SY_S15_S19_S1B_T6_T7_T9_mT8_S1D_bDpT10_ENKUlT_T0_E_clISt17integral_constantIbLb0EES1R_EEDaS1M_S1N_EUlS1M_E_NS1_11comp_targetILNS1_3genE0ELNS1_11target_archE4294967295ELNS1_3gpuE0ELNS1_3repE0EEENS1_30default_config_static_selectorELNS0_4arch9wavefront6targetE1EEEvSZ_.uses_vcc, 0
	.set _ZN7rocprim17ROCPRIM_400000_NS6detail17trampoline_kernelINS0_13select_configILj256ELj13ELNS0_17block_load_methodE3ELS4_3ELS4_3ELNS0_20block_scan_algorithmE0ELj4294967295EEENS1_25partition_config_selectorILNS1_17partition_subalgoE4EjNS0_10empty_typeEbEEZZNS1_14partition_implILS8_4ELb0ES6_15HIP_vector_typeIjLj2EENS0_17counting_iteratorIjlEEPS9_SG_NS0_5tupleIJPjSI_NS0_16reverse_iteratorISI_EEEEENSH_IJSG_SG_SG_EEES9_SI_JZNS1_25segmented_radix_sort_implINS0_14default_configELb0EPKlPlSQ_SR_N2at6native12_GLOBAL__N_18offset_tEEE10hipError_tPvRmT1_PNSt15iterator_traitsISZ_E10value_typeET2_T3_PNS10_IS15_E10value_typeET4_jRbjT5_S1B_jjP12ihipStream_tbEUljE_ZNSN_ISO_Lb0ESQ_SR_SQ_SR_SV_EESW_SX_SY_SZ_S13_S14_S15_S18_S19_jS1A_jS1B_S1B_jjS1D_bEUljE0_EEESW_SX_SY_S15_S19_S1B_T6_T7_T9_mT8_S1D_bDpT10_ENKUlT_T0_E_clISt17integral_constantIbLb0EES1R_EEDaS1M_S1N_EUlS1M_E_NS1_11comp_targetILNS1_3genE0ELNS1_11target_archE4294967295ELNS1_3gpuE0ELNS1_3repE0EEENS1_30default_config_static_selectorELNS0_4arch9wavefront6targetE1EEEvSZ_.uses_flat_scratch, 0
	.set _ZN7rocprim17ROCPRIM_400000_NS6detail17trampoline_kernelINS0_13select_configILj256ELj13ELNS0_17block_load_methodE3ELS4_3ELS4_3ELNS0_20block_scan_algorithmE0ELj4294967295EEENS1_25partition_config_selectorILNS1_17partition_subalgoE4EjNS0_10empty_typeEbEEZZNS1_14partition_implILS8_4ELb0ES6_15HIP_vector_typeIjLj2EENS0_17counting_iteratorIjlEEPS9_SG_NS0_5tupleIJPjSI_NS0_16reverse_iteratorISI_EEEEENSH_IJSG_SG_SG_EEES9_SI_JZNS1_25segmented_radix_sort_implINS0_14default_configELb0EPKlPlSQ_SR_N2at6native12_GLOBAL__N_18offset_tEEE10hipError_tPvRmT1_PNSt15iterator_traitsISZ_E10value_typeET2_T3_PNS10_IS15_E10value_typeET4_jRbjT5_S1B_jjP12ihipStream_tbEUljE_ZNSN_ISO_Lb0ESQ_SR_SQ_SR_SV_EESW_SX_SY_SZ_S13_S14_S15_S18_S19_jS1A_jS1B_S1B_jjS1D_bEUljE0_EEESW_SX_SY_S15_S19_S1B_T6_T7_T9_mT8_S1D_bDpT10_ENKUlT_T0_E_clISt17integral_constantIbLb0EES1R_EEDaS1M_S1N_EUlS1M_E_NS1_11comp_targetILNS1_3genE0ELNS1_11target_archE4294967295ELNS1_3gpuE0ELNS1_3repE0EEENS1_30default_config_static_selectorELNS0_4arch9wavefront6targetE1EEEvSZ_.has_dyn_sized_stack, 0
	.set _ZN7rocprim17ROCPRIM_400000_NS6detail17trampoline_kernelINS0_13select_configILj256ELj13ELNS0_17block_load_methodE3ELS4_3ELS4_3ELNS0_20block_scan_algorithmE0ELj4294967295EEENS1_25partition_config_selectorILNS1_17partition_subalgoE4EjNS0_10empty_typeEbEEZZNS1_14partition_implILS8_4ELb0ES6_15HIP_vector_typeIjLj2EENS0_17counting_iteratorIjlEEPS9_SG_NS0_5tupleIJPjSI_NS0_16reverse_iteratorISI_EEEEENSH_IJSG_SG_SG_EEES9_SI_JZNS1_25segmented_radix_sort_implINS0_14default_configELb0EPKlPlSQ_SR_N2at6native12_GLOBAL__N_18offset_tEEE10hipError_tPvRmT1_PNSt15iterator_traitsISZ_E10value_typeET2_T3_PNS10_IS15_E10value_typeET4_jRbjT5_S1B_jjP12ihipStream_tbEUljE_ZNSN_ISO_Lb0ESQ_SR_SQ_SR_SV_EESW_SX_SY_SZ_S13_S14_S15_S18_S19_jS1A_jS1B_S1B_jjS1D_bEUljE0_EEESW_SX_SY_S15_S19_S1B_T6_T7_T9_mT8_S1D_bDpT10_ENKUlT_T0_E_clISt17integral_constantIbLb0EES1R_EEDaS1M_S1N_EUlS1M_E_NS1_11comp_targetILNS1_3genE0ELNS1_11target_archE4294967295ELNS1_3gpuE0ELNS1_3repE0EEENS1_30default_config_static_selectorELNS0_4arch9wavefront6targetE1EEEvSZ_.has_recursion, 0
	.set _ZN7rocprim17ROCPRIM_400000_NS6detail17trampoline_kernelINS0_13select_configILj256ELj13ELNS0_17block_load_methodE3ELS4_3ELS4_3ELNS0_20block_scan_algorithmE0ELj4294967295EEENS1_25partition_config_selectorILNS1_17partition_subalgoE4EjNS0_10empty_typeEbEEZZNS1_14partition_implILS8_4ELb0ES6_15HIP_vector_typeIjLj2EENS0_17counting_iteratorIjlEEPS9_SG_NS0_5tupleIJPjSI_NS0_16reverse_iteratorISI_EEEEENSH_IJSG_SG_SG_EEES9_SI_JZNS1_25segmented_radix_sort_implINS0_14default_configELb0EPKlPlSQ_SR_N2at6native12_GLOBAL__N_18offset_tEEE10hipError_tPvRmT1_PNSt15iterator_traitsISZ_E10value_typeET2_T3_PNS10_IS15_E10value_typeET4_jRbjT5_S1B_jjP12ihipStream_tbEUljE_ZNSN_ISO_Lb0ESQ_SR_SQ_SR_SV_EESW_SX_SY_SZ_S13_S14_S15_S18_S19_jS1A_jS1B_S1B_jjS1D_bEUljE0_EEESW_SX_SY_S15_S19_S1B_T6_T7_T9_mT8_S1D_bDpT10_ENKUlT_T0_E_clISt17integral_constantIbLb0EES1R_EEDaS1M_S1N_EUlS1M_E_NS1_11comp_targetILNS1_3genE0ELNS1_11target_archE4294967295ELNS1_3gpuE0ELNS1_3repE0EEENS1_30default_config_static_selectorELNS0_4arch9wavefront6targetE1EEEvSZ_.has_indirect_call, 0
	.section	.AMDGPU.csdata,"",@progbits
; Kernel info:
; codeLenInByte = 0
; TotalNumSgprs: 4
; NumVgprs: 0
; ScratchSize: 0
; MemoryBound: 0
; FloatMode: 240
; IeeeMode: 1
; LDSByteSize: 0 bytes/workgroup (compile time only)
; SGPRBlocks: 0
; VGPRBlocks: 0
; NumSGPRsForWavesPerEU: 4
; NumVGPRsForWavesPerEU: 1
; Occupancy: 10
; WaveLimiterHint : 0
; COMPUTE_PGM_RSRC2:SCRATCH_EN: 0
; COMPUTE_PGM_RSRC2:USER_SGPR: 6
; COMPUTE_PGM_RSRC2:TRAP_HANDLER: 0
; COMPUTE_PGM_RSRC2:TGID_X_EN: 1
; COMPUTE_PGM_RSRC2:TGID_Y_EN: 0
; COMPUTE_PGM_RSRC2:TGID_Z_EN: 0
; COMPUTE_PGM_RSRC2:TIDIG_COMP_CNT: 0
	.section	.text._ZN7rocprim17ROCPRIM_400000_NS6detail17trampoline_kernelINS0_13select_configILj256ELj13ELNS0_17block_load_methodE3ELS4_3ELS4_3ELNS0_20block_scan_algorithmE0ELj4294967295EEENS1_25partition_config_selectorILNS1_17partition_subalgoE4EjNS0_10empty_typeEbEEZZNS1_14partition_implILS8_4ELb0ES6_15HIP_vector_typeIjLj2EENS0_17counting_iteratorIjlEEPS9_SG_NS0_5tupleIJPjSI_NS0_16reverse_iteratorISI_EEEEENSH_IJSG_SG_SG_EEES9_SI_JZNS1_25segmented_radix_sort_implINS0_14default_configELb0EPKlPlSQ_SR_N2at6native12_GLOBAL__N_18offset_tEEE10hipError_tPvRmT1_PNSt15iterator_traitsISZ_E10value_typeET2_T3_PNS10_IS15_E10value_typeET4_jRbjT5_S1B_jjP12ihipStream_tbEUljE_ZNSN_ISO_Lb0ESQ_SR_SQ_SR_SV_EESW_SX_SY_SZ_S13_S14_S15_S18_S19_jS1A_jS1B_S1B_jjS1D_bEUljE0_EEESW_SX_SY_S15_S19_S1B_T6_T7_T9_mT8_S1D_bDpT10_ENKUlT_T0_E_clISt17integral_constantIbLb0EES1R_EEDaS1M_S1N_EUlS1M_E_NS1_11comp_targetILNS1_3genE5ELNS1_11target_archE942ELNS1_3gpuE9ELNS1_3repE0EEENS1_30default_config_static_selectorELNS0_4arch9wavefront6targetE1EEEvSZ_,"axG",@progbits,_ZN7rocprim17ROCPRIM_400000_NS6detail17trampoline_kernelINS0_13select_configILj256ELj13ELNS0_17block_load_methodE3ELS4_3ELS4_3ELNS0_20block_scan_algorithmE0ELj4294967295EEENS1_25partition_config_selectorILNS1_17partition_subalgoE4EjNS0_10empty_typeEbEEZZNS1_14partition_implILS8_4ELb0ES6_15HIP_vector_typeIjLj2EENS0_17counting_iteratorIjlEEPS9_SG_NS0_5tupleIJPjSI_NS0_16reverse_iteratorISI_EEEEENSH_IJSG_SG_SG_EEES9_SI_JZNS1_25segmented_radix_sort_implINS0_14default_configELb0EPKlPlSQ_SR_N2at6native12_GLOBAL__N_18offset_tEEE10hipError_tPvRmT1_PNSt15iterator_traitsISZ_E10value_typeET2_T3_PNS10_IS15_E10value_typeET4_jRbjT5_S1B_jjP12ihipStream_tbEUljE_ZNSN_ISO_Lb0ESQ_SR_SQ_SR_SV_EESW_SX_SY_SZ_S13_S14_S15_S18_S19_jS1A_jS1B_S1B_jjS1D_bEUljE0_EEESW_SX_SY_S15_S19_S1B_T6_T7_T9_mT8_S1D_bDpT10_ENKUlT_T0_E_clISt17integral_constantIbLb0EES1R_EEDaS1M_S1N_EUlS1M_E_NS1_11comp_targetILNS1_3genE5ELNS1_11target_archE942ELNS1_3gpuE9ELNS1_3repE0EEENS1_30default_config_static_selectorELNS0_4arch9wavefront6targetE1EEEvSZ_,comdat
	.globl	_ZN7rocprim17ROCPRIM_400000_NS6detail17trampoline_kernelINS0_13select_configILj256ELj13ELNS0_17block_load_methodE3ELS4_3ELS4_3ELNS0_20block_scan_algorithmE0ELj4294967295EEENS1_25partition_config_selectorILNS1_17partition_subalgoE4EjNS0_10empty_typeEbEEZZNS1_14partition_implILS8_4ELb0ES6_15HIP_vector_typeIjLj2EENS0_17counting_iteratorIjlEEPS9_SG_NS0_5tupleIJPjSI_NS0_16reverse_iteratorISI_EEEEENSH_IJSG_SG_SG_EEES9_SI_JZNS1_25segmented_radix_sort_implINS0_14default_configELb0EPKlPlSQ_SR_N2at6native12_GLOBAL__N_18offset_tEEE10hipError_tPvRmT1_PNSt15iterator_traitsISZ_E10value_typeET2_T3_PNS10_IS15_E10value_typeET4_jRbjT5_S1B_jjP12ihipStream_tbEUljE_ZNSN_ISO_Lb0ESQ_SR_SQ_SR_SV_EESW_SX_SY_SZ_S13_S14_S15_S18_S19_jS1A_jS1B_S1B_jjS1D_bEUljE0_EEESW_SX_SY_S15_S19_S1B_T6_T7_T9_mT8_S1D_bDpT10_ENKUlT_T0_E_clISt17integral_constantIbLb0EES1R_EEDaS1M_S1N_EUlS1M_E_NS1_11comp_targetILNS1_3genE5ELNS1_11target_archE942ELNS1_3gpuE9ELNS1_3repE0EEENS1_30default_config_static_selectorELNS0_4arch9wavefront6targetE1EEEvSZ_ ; -- Begin function _ZN7rocprim17ROCPRIM_400000_NS6detail17trampoline_kernelINS0_13select_configILj256ELj13ELNS0_17block_load_methodE3ELS4_3ELS4_3ELNS0_20block_scan_algorithmE0ELj4294967295EEENS1_25partition_config_selectorILNS1_17partition_subalgoE4EjNS0_10empty_typeEbEEZZNS1_14partition_implILS8_4ELb0ES6_15HIP_vector_typeIjLj2EENS0_17counting_iteratorIjlEEPS9_SG_NS0_5tupleIJPjSI_NS0_16reverse_iteratorISI_EEEEENSH_IJSG_SG_SG_EEES9_SI_JZNS1_25segmented_radix_sort_implINS0_14default_configELb0EPKlPlSQ_SR_N2at6native12_GLOBAL__N_18offset_tEEE10hipError_tPvRmT1_PNSt15iterator_traitsISZ_E10value_typeET2_T3_PNS10_IS15_E10value_typeET4_jRbjT5_S1B_jjP12ihipStream_tbEUljE_ZNSN_ISO_Lb0ESQ_SR_SQ_SR_SV_EESW_SX_SY_SZ_S13_S14_S15_S18_S19_jS1A_jS1B_S1B_jjS1D_bEUljE0_EEESW_SX_SY_S15_S19_S1B_T6_T7_T9_mT8_S1D_bDpT10_ENKUlT_T0_E_clISt17integral_constantIbLb0EES1R_EEDaS1M_S1N_EUlS1M_E_NS1_11comp_targetILNS1_3genE5ELNS1_11target_archE942ELNS1_3gpuE9ELNS1_3repE0EEENS1_30default_config_static_selectorELNS0_4arch9wavefront6targetE1EEEvSZ_
	.p2align	8
	.type	_ZN7rocprim17ROCPRIM_400000_NS6detail17trampoline_kernelINS0_13select_configILj256ELj13ELNS0_17block_load_methodE3ELS4_3ELS4_3ELNS0_20block_scan_algorithmE0ELj4294967295EEENS1_25partition_config_selectorILNS1_17partition_subalgoE4EjNS0_10empty_typeEbEEZZNS1_14partition_implILS8_4ELb0ES6_15HIP_vector_typeIjLj2EENS0_17counting_iteratorIjlEEPS9_SG_NS0_5tupleIJPjSI_NS0_16reverse_iteratorISI_EEEEENSH_IJSG_SG_SG_EEES9_SI_JZNS1_25segmented_radix_sort_implINS0_14default_configELb0EPKlPlSQ_SR_N2at6native12_GLOBAL__N_18offset_tEEE10hipError_tPvRmT1_PNSt15iterator_traitsISZ_E10value_typeET2_T3_PNS10_IS15_E10value_typeET4_jRbjT5_S1B_jjP12ihipStream_tbEUljE_ZNSN_ISO_Lb0ESQ_SR_SQ_SR_SV_EESW_SX_SY_SZ_S13_S14_S15_S18_S19_jS1A_jS1B_S1B_jjS1D_bEUljE0_EEESW_SX_SY_S15_S19_S1B_T6_T7_T9_mT8_S1D_bDpT10_ENKUlT_T0_E_clISt17integral_constantIbLb0EES1R_EEDaS1M_S1N_EUlS1M_E_NS1_11comp_targetILNS1_3genE5ELNS1_11target_archE942ELNS1_3gpuE9ELNS1_3repE0EEENS1_30default_config_static_selectorELNS0_4arch9wavefront6targetE1EEEvSZ_,@function
_ZN7rocprim17ROCPRIM_400000_NS6detail17trampoline_kernelINS0_13select_configILj256ELj13ELNS0_17block_load_methodE3ELS4_3ELS4_3ELNS0_20block_scan_algorithmE0ELj4294967295EEENS1_25partition_config_selectorILNS1_17partition_subalgoE4EjNS0_10empty_typeEbEEZZNS1_14partition_implILS8_4ELb0ES6_15HIP_vector_typeIjLj2EENS0_17counting_iteratorIjlEEPS9_SG_NS0_5tupleIJPjSI_NS0_16reverse_iteratorISI_EEEEENSH_IJSG_SG_SG_EEES9_SI_JZNS1_25segmented_radix_sort_implINS0_14default_configELb0EPKlPlSQ_SR_N2at6native12_GLOBAL__N_18offset_tEEE10hipError_tPvRmT1_PNSt15iterator_traitsISZ_E10value_typeET2_T3_PNS10_IS15_E10value_typeET4_jRbjT5_S1B_jjP12ihipStream_tbEUljE_ZNSN_ISO_Lb0ESQ_SR_SQ_SR_SV_EESW_SX_SY_SZ_S13_S14_S15_S18_S19_jS1A_jS1B_S1B_jjS1D_bEUljE0_EEESW_SX_SY_S15_S19_S1B_T6_T7_T9_mT8_S1D_bDpT10_ENKUlT_T0_E_clISt17integral_constantIbLb0EES1R_EEDaS1M_S1N_EUlS1M_E_NS1_11comp_targetILNS1_3genE5ELNS1_11target_archE942ELNS1_3gpuE9ELNS1_3repE0EEENS1_30default_config_static_selectorELNS0_4arch9wavefront6targetE1EEEvSZ_: ; @_ZN7rocprim17ROCPRIM_400000_NS6detail17trampoline_kernelINS0_13select_configILj256ELj13ELNS0_17block_load_methodE3ELS4_3ELS4_3ELNS0_20block_scan_algorithmE0ELj4294967295EEENS1_25partition_config_selectorILNS1_17partition_subalgoE4EjNS0_10empty_typeEbEEZZNS1_14partition_implILS8_4ELb0ES6_15HIP_vector_typeIjLj2EENS0_17counting_iteratorIjlEEPS9_SG_NS0_5tupleIJPjSI_NS0_16reverse_iteratorISI_EEEEENSH_IJSG_SG_SG_EEES9_SI_JZNS1_25segmented_radix_sort_implINS0_14default_configELb0EPKlPlSQ_SR_N2at6native12_GLOBAL__N_18offset_tEEE10hipError_tPvRmT1_PNSt15iterator_traitsISZ_E10value_typeET2_T3_PNS10_IS15_E10value_typeET4_jRbjT5_S1B_jjP12ihipStream_tbEUljE_ZNSN_ISO_Lb0ESQ_SR_SQ_SR_SV_EESW_SX_SY_SZ_S13_S14_S15_S18_S19_jS1A_jS1B_S1B_jjS1D_bEUljE0_EEESW_SX_SY_S15_S19_S1B_T6_T7_T9_mT8_S1D_bDpT10_ENKUlT_T0_E_clISt17integral_constantIbLb0EES1R_EEDaS1M_S1N_EUlS1M_E_NS1_11comp_targetILNS1_3genE5ELNS1_11target_archE942ELNS1_3gpuE9ELNS1_3repE0EEENS1_30default_config_static_selectorELNS0_4arch9wavefront6targetE1EEEvSZ_
; %bb.0:
	.section	.rodata,"a",@progbits
	.p2align	6, 0x0
	.amdhsa_kernel _ZN7rocprim17ROCPRIM_400000_NS6detail17trampoline_kernelINS0_13select_configILj256ELj13ELNS0_17block_load_methodE3ELS4_3ELS4_3ELNS0_20block_scan_algorithmE0ELj4294967295EEENS1_25partition_config_selectorILNS1_17partition_subalgoE4EjNS0_10empty_typeEbEEZZNS1_14partition_implILS8_4ELb0ES6_15HIP_vector_typeIjLj2EENS0_17counting_iteratorIjlEEPS9_SG_NS0_5tupleIJPjSI_NS0_16reverse_iteratorISI_EEEEENSH_IJSG_SG_SG_EEES9_SI_JZNS1_25segmented_radix_sort_implINS0_14default_configELb0EPKlPlSQ_SR_N2at6native12_GLOBAL__N_18offset_tEEE10hipError_tPvRmT1_PNSt15iterator_traitsISZ_E10value_typeET2_T3_PNS10_IS15_E10value_typeET4_jRbjT5_S1B_jjP12ihipStream_tbEUljE_ZNSN_ISO_Lb0ESQ_SR_SQ_SR_SV_EESW_SX_SY_SZ_S13_S14_S15_S18_S19_jS1A_jS1B_S1B_jjS1D_bEUljE0_EEESW_SX_SY_S15_S19_S1B_T6_T7_T9_mT8_S1D_bDpT10_ENKUlT_T0_E_clISt17integral_constantIbLb0EES1R_EEDaS1M_S1N_EUlS1M_E_NS1_11comp_targetILNS1_3genE5ELNS1_11target_archE942ELNS1_3gpuE9ELNS1_3repE0EEENS1_30default_config_static_selectorELNS0_4arch9wavefront6targetE1EEEvSZ_
		.amdhsa_group_segment_fixed_size 0
		.amdhsa_private_segment_fixed_size 0
		.amdhsa_kernarg_size 176
		.amdhsa_user_sgpr_count 6
		.amdhsa_user_sgpr_private_segment_buffer 1
		.amdhsa_user_sgpr_dispatch_ptr 0
		.amdhsa_user_sgpr_queue_ptr 0
		.amdhsa_user_sgpr_kernarg_segment_ptr 1
		.amdhsa_user_sgpr_dispatch_id 0
		.amdhsa_user_sgpr_flat_scratch_init 0
		.amdhsa_user_sgpr_private_segment_size 0
		.amdhsa_uses_dynamic_stack 0
		.amdhsa_system_sgpr_private_segment_wavefront_offset 0
		.amdhsa_system_sgpr_workgroup_id_x 1
		.amdhsa_system_sgpr_workgroup_id_y 0
		.amdhsa_system_sgpr_workgroup_id_z 0
		.amdhsa_system_sgpr_workgroup_info 0
		.amdhsa_system_vgpr_workitem_id 0
		.amdhsa_next_free_vgpr 1
		.amdhsa_next_free_sgpr 0
		.amdhsa_reserve_vcc 0
		.amdhsa_reserve_flat_scratch 0
		.amdhsa_float_round_mode_32 0
		.amdhsa_float_round_mode_16_64 0
		.amdhsa_float_denorm_mode_32 3
		.amdhsa_float_denorm_mode_16_64 3
		.amdhsa_dx10_clamp 1
		.amdhsa_ieee_mode 1
		.amdhsa_fp16_overflow 0
		.amdhsa_exception_fp_ieee_invalid_op 0
		.amdhsa_exception_fp_denorm_src 0
		.amdhsa_exception_fp_ieee_div_zero 0
		.amdhsa_exception_fp_ieee_overflow 0
		.amdhsa_exception_fp_ieee_underflow 0
		.amdhsa_exception_fp_ieee_inexact 0
		.amdhsa_exception_int_div_zero 0
	.end_amdhsa_kernel
	.section	.text._ZN7rocprim17ROCPRIM_400000_NS6detail17trampoline_kernelINS0_13select_configILj256ELj13ELNS0_17block_load_methodE3ELS4_3ELS4_3ELNS0_20block_scan_algorithmE0ELj4294967295EEENS1_25partition_config_selectorILNS1_17partition_subalgoE4EjNS0_10empty_typeEbEEZZNS1_14partition_implILS8_4ELb0ES6_15HIP_vector_typeIjLj2EENS0_17counting_iteratorIjlEEPS9_SG_NS0_5tupleIJPjSI_NS0_16reverse_iteratorISI_EEEEENSH_IJSG_SG_SG_EEES9_SI_JZNS1_25segmented_radix_sort_implINS0_14default_configELb0EPKlPlSQ_SR_N2at6native12_GLOBAL__N_18offset_tEEE10hipError_tPvRmT1_PNSt15iterator_traitsISZ_E10value_typeET2_T3_PNS10_IS15_E10value_typeET4_jRbjT5_S1B_jjP12ihipStream_tbEUljE_ZNSN_ISO_Lb0ESQ_SR_SQ_SR_SV_EESW_SX_SY_SZ_S13_S14_S15_S18_S19_jS1A_jS1B_S1B_jjS1D_bEUljE0_EEESW_SX_SY_S15_S19_S1B_T6_T7_T9_mT8_S1D_bDpT10_ENKUlT_T0_E_clISt17integral_constantIbLb0EES1R_EEDaS1M_S1N_EUlS1M_E_NS1_11comp_targetILNS1_3genE5ELNS1_11target_archE942ELNS1_3gpuE9ELNS1_3repE0EEENS1_30default_config_static_selectorELNS0_4arch9wavefront6targetE1EEEvSZ_,"axG",@progbits,_ZN7rocprim17ROCPRIM_400000_NS6detail17trampoline_kernelINS0_13select_configILj256ELj13ELNS0_17block_load_methodE3ELS4_3ELS4_3ELNS0_20block_scan_algorithmE0ELj4294967295EEENS1_25partition_config_selectorILNS1_17partition_subalgoE4EjNS0_10empty_typeEbEEZZNS1_14partition_implILS8_4ELb0ES6_15HIP_vector_typeIjLj2EENS0_17counting_iteratorIjlEEPS9_SG_NS0_5tupleIJPjSI_NS0_16reverse_iteratorISI_EEEEENSH_IJSG_SG_SG_EEES9_SI_JZNS1_25segmented_radix_sort_implINS0_14default_configELb0EPKlPlSQ_SR_N2at6native12_GLOBAL__N_18offset_tEEE10hipError_tPvRmT1_PNSt15iterator_traitsISZ_E10value_typeET2_T3_PNS10_IS15_E10value_typeET4_jRbjT5_S1B_jjP12ihipStream_tbEUljE_ZNSN_ISO_Lb0ESQ_SR_SQ_SR_SV_EESW_SX_SY_SZ_S13_S14_S15_S18_S19_jS1A_jS1B_S1B_jjS1D_bEUljE0_EEESW_SX_SY_S15_S19_S1B_T6_T7_T9_mT8_S1D_bDpT10_ENKUlT_T0_E_clISt17integral_constantIbLb0EES1R_EEDaS1M_S1N_EUlS1M_E_NS1_11comp_targetILNS1_3genE5ELNS1_11target_archE942ELNS1_3gpuE9ELNS1_3repE0EEENS1_30default_config_static_selectorELNS0_4arch9wavefront6targetE1EEEvSZ_,comdat
.Lfunc_end744:
	.size	_ZN7rocprim17ROCPRIM_400000_NS6detail17trampoline_kernelINS0_13select_configILj256ELj13ELNS0_17block_load_methodE3ELS4_3ELS4_3ELNS0_20block_scan_algorithmE0ELj4294967295EEENS1_25partition_config_selectorILNS1_17partition_subalgoE4EjNS0_10empty_typeEbEEZZNS1_14partition_implILS8_4ELb0ES6_15HIP_vector_typeIjLj2EENS0_17counting_iteratorIjlEEPS9_SG_NS0_5tupleIJPjSI_NS0_16reverse_iteratorISI_EEEEENSH_IJSG_SG_SG_EEES9_SI_JZNS1_25segmented_radix_sort_implINS0_14default_configELb0EPKlPlSQ_SR_N2at6native12_GLOBAL__N_18offset_tEEE10hipError_tPvRmT1_PNSt15iterator_traitsISZ_E10value_typeET2_T3_PNS10_IS15_E10value_typeET4_jRbjT5_S1B_jjP12ihipStream_tbEUljE_ZNSN_ISO_Lb0ESQ_SR_SQ_SR_SV_EESW_SX_SY_SZ_S13_S14_S15_S18_S19_jS1A_jS1B_S1B_jjS1D_bEUljE0_EEESW_SX_SY_S15_S19_S1B_T6_T7_T9_mT8_S1D_bDpT10_ENKUlT_T0_E_clISt17integral_constantIbLb0EES1R_EEDaS1M_S1N_EUlS1M_E_NS1_11comp_targetILNS1_3genE5ELNS1_11target_archE942ELNS1_3gpuE9ELNS1_3repE0EEENS1_30default_config_static_selectorELNS0_4arch9wavefront6targetE1EEEvSZ_, .Lfunc_end744-_ZN7rocprim17ROCPRIM_400000_NS6detail17trampoline_kernelINS0_13select_configILj256ELj13ELNS0_17block_load_methodE3ELS4_3ELS4_3ELNS0_20block_scan_algorithmE0ELj4294967295EEENS1_25partition_config_selectorILNS1_17partition_subalgoE4EjNS0_10empty_typeEbEEZZNS1_14partition_implILS8_4ELb0ES6_15HIP_vector_typeIjLj2EENS0_17counting_iteratorIjlEEPS9_SG_NS0_5tupleIJPjSI_NS0_16reverse_iteratorISI_EEEEENSH_IJSG_SG_SG_EEES9_SI_JZNS1_25segmented_radix_sort_implINS0_14default_configELb0EPKlPlSQ_SR_N2at6native12_GLOBAL__N_18offset_tEEE10hipError_tPvRmT1_PNSt15iterator_traitsISZ_E10value_typeET2_T3_PNS10_IS15_E10value_typeET4_jRbjT5_S1B_jjP12ihipStream_tbEUljE_ZNSN_ISO_Lb0ESQ_SR_SQ_SR_SV_EESW_SX_SY_SZ_S13_S14_S15_S18_S19_jS1A_jS1B_S1B_jjS1D_bEUljE0_EEESW_SX_SY_S15_S19_S1B_T6_T7_T9_mT8_S1D_bDpT10_ENKUlT_T0_E_clISt17integral_constantIbLb0EES1R_EEDaS1M_S1N_EUlS1M_E_NS1_11comp_targetILNS1_3genE5ELNS1_11target_archE942ELNS1_3gpuE9ELNS1_3repE0EEENS1_30default_config_static_selectorELNS0_4arch9wavefront6targetE1EEEvSZ_
                                        ; -- End function
	.set _ZN7rocprim17ROCPRIM_400000_NS6detail17trampoline_kernelINS0_13select_configILj256ELj13ELNS0_17block_load_methodE3ELS4_3ELS4_3ELNS0_20block_scan_algorithmE0ELj4294967295EEENS1_25partition_config_selectorILNS1_17partition_subalgoE4EjNS0_10empty_typeEbEEZZNS1_14partition_implILS8_4ELb0ES6_15HIP_vector_typeIjLj2EENS0_17counting_iteratorIjlEEPS9_SG_NS0_5tupleIJPjSI_NS0_16reverse_iteratorISI_EEEEENSH_IJSG_SG_SG_EEES9_SI_JZNS1_25segmented_radix_sort_implINS0_14default_configELb0EPKlPlSQ_SR_N2at6native12_GLOBAL__N_18offset_tEEE10hipError_tPvRmT1_PNSt15iterator_traitsISZ_E10value_typeET2_T3_PNS10_IS15_E10value_typeET4_jRbjT5_S1B_jjP12ihipStream_tbEUljE_ZNSN_ISO_Lb0ESQ_SR_SQ_SR_SV_EESW_SX_SY_SZ_S13_S14_S15_S18_S19_jS1A_jS1B_S1B_jjS1D_bEUljE0_EEESW_SX_SY_S15_S19_S1B_T6_T7_T9_mT8_S1D_bDpT10_ENKUlT_T0_E_clISt17integral_constantIbLb0EES1R_EEDaS1M_S1N_EUlS1M_E_NS1_11comp_targetILNS1_3genE5ELNS1_11target_archE942ELNS1_3gpuE9ELNS1_3repE0EEENS1_30default_config_static_selectorELNS0_4arch9wavefront6targetE1EEEvSZ_.num_vgpr, 0
	.set _ZN7rocprim17ROCPRIM_400000_NS6detail17trampoline_kernelINS0_13select_configILj256ELj13ELNS0_17block_load_methodE3ELS4_3ELS4_3ELNS0_20block_scan_algorithmE0ELj4294967295EEENS1_25partition_config_selectorILNS1_17partition_subalgoE4EjNS0_10empty_typeEbEEZZNS1_14partition_implILS8_4ELb0ES6_15HIP_vector_typeIjLj2EENS0_17counting_iteratorIjlEEPS9_SG_NS0_5tupleIJPjSI_NS0_16reverse_iteratorISI_EEEEENSH_IJSG_SG_SG_EEES9_SI_JZNS1_25segmented_radix_sort_implINS0_14default_configELb0EPKlPlSQ_SR_N2at6native12_GLOBAL__N_18offset_tEEE10hipError_tPvRmT1_PNSt15iterator_traitsISZ_E10value_typeET2_T3_PNS10_IS15_E10value_typeET4_jRbjT5_S1B_jjP12ihipStream_tbEUljE_ZNSN_ISO_Lb0ESQ_SR_SQ_SR_SV_EESW_SX_SY_SZ_S13_S14_S15_S18_S19_jS1A_jS1B_S1B_jjS1D_bEUljE0_EEESW_SX_SY_S15_S19_S1B_T6_T7_T9_mT8_S1D_bDpT10_ENKUlT_T0_E_clISt17integral_constantIbLb0EES1R_EEDaS1M_S1N_EUlS1M_E_NS1_11comp_targetILNS1_3genE5ELNS1_11target_archE942ELNS1_3gpuE9ELNS1_3repE0EEENS1_30default_config_static_selectorELNS0_4arch9wavefront6targetE1EEEvSZ_.num_agpr, 0
	.set _ZN7rocprim17ROCPRIM_400000_NS6detail17trampoline_kernelINS0_13select_configILj256ELj13ELNS0_17block_load_methodE3ELS4_3ELS4_3ELNS0_20block_scan_algorithmE0ELj4294967295EEENS1_25partition_config_selectorILNS1_17partition_subalgoE4EjNS0_10empty_typeEbEEZZNS1_14partition_implILS8_4ELb0ES6_15HIP_vector_typeIjLj2EENS0_17counting_iteratorIjlEEPS9_SG_NS0_5tupleIJPjSI_NS0_16reverse_iteratorISI_EEEEENSH_IJSG_SG_SG_EEES9_SI_JZNS1_25segmented_radix_sort_implINS0_14default_configELb0EPKlPlSQ_SR_N2at6native12_GLOBAL__N_18offset_tEEE10hipError_tPvRmT1_PNSt15iterator_traitsISZ_E10value_typeET2_T3_PNS10_IS15_E10value_typeET4_jRbjT5_S1B_jjP12ihipStream_tbEUljE_ZNSN_ISO_Lb0ESQ_SR_SQ_SR_SV_EESW_SX_SY_SZ_S13_S14_S15_S18_S19_jS1A_jS1B_S1B_jjS1D_bEUljE0_EEESW_SX_SY_S15_S19_S1B_T6_T7_T9_mT8_S1D_bDpT10_ENKUlT_T0_E_clISt17integral_constantIbLb0EES1R_EEDaS1M_S1N_EUlS1M_E_NS1_11comp_targetILNS1_3genE5ELNS1_11target_archE942ELNS1_3gpuE9ELNS1_3repE0EEENS1_30default_config_static_selectorELNS0_4arch9wavefront6targetE1EEEvSZ_.numbered_sgpr, 0
	.set _ZN7rocprim17ROCPRIM_400000_NS6detail17trampoline_kernelINS0_13select_configILj256ELj13ELNS0_17block_load_methodE3ELS4_3ELS4_3ELNS0_20block_scan_algorithmE0ELj4294967295EEENS1_25partition_config_selectorILNS1_17partition_subalgoE4EjNS0_10empty_typeEbEEZZNS1_14partition_implILS8_4ELb0ES6_15HIP_vector_typeIjLj2EENS0_17counting_iteratorIjlEEPS9_SG_NS0_5tupleIJPjSI_NS0_16reverse_iteratorISI_EEEEENSH_IJSG_SG_SG_EEES9_SI_JZNS1_25segmented_radix_sort_implINS0_14default_configELb0EPKlPlSQ_SR_N2at6native12_GLOBAL__N_18offset_tEEE10hipError_tPvRmT1_PNSt15iterator_traitsISZ_E10value_typeET2_T3_PNS10_IS15_E10value_typeET4_jRbjT5_S1B_jjP12ihipStream_tbEUljE_ZNSN_ISO_Lb0ESQ_SR_SQ_SR_SV_EESW_SX_SY_SZ_S13_S14_S15_S18_S19_jS1A_jS1B_S1B_jjS1D_bEUljE0_EEESW_SX_SY_S15_S19_S1B_T6_T7_T9_mT8_S1D_bDpT10_ENKUlT_T0_E_clISt17integral_constantIbLb0EES1R_EEDaS1M_S1N_EUlS1M_E_NS1_11comp_targetILNS1_3genE5ELNS1_11target_archE942ELNS1_3gpuE9ELNS1_3repE0EEENS1_30default_config_static_selectorELNS0_4arch9wavefront6targetE1EEEvSZ_.num_named_barrier, 0
	.set _ZN7rocprim17ROCPRIM_400000_NS6detail17trampoline_kernelINS0_13select_configILj256ELj13ELNS0_17block_load_methodE3ELS4_3ELS4_3ELNS0_20block_scan_algorithmE0ELj4294967295EEENS1_25partition_config_selectorILNS1_17partition_subalgoE4EjNS0_10empty_typeEbEEZZNS1_14partition_implILS8_4ELb0ES6_15HIP_vector_typeIjLj2EENS0_17counting_iteratorIjlEEPS9_SG_NS0_5tupleIJPjSI_NS0_16reverse_iteratorISI_EEEEENSH_IJSG_SG_SG_EEES9_SI_JZNS1_25segmented_radix_sort_implINS0_14default_configELb0EPKlPlSQ_SR_N2at6native12_GLOBAL__N_18offset_tEEE10hipError_tPvRmT1_PNSt15iterator_traitsISZ_E10value_typeET2_T3_PNS10_IS15_E10value_typeET4_jRbjT5_S1B_jjP12ihipStream_tbEUljE_ZNSN_ISO_Lb0ESQ_SR_SQ_SR_SV_EESW_SX_SY_SZ_S13_S14_S15_S18_S19_jS1A_jS1B_S1B_jjS1D_bEUljE0_EEESW_SX_SY_S15_S19_S1B_T6_T7_T9_mT8_S1D_bDpT10_ENKUlT_T0_E_clISt17integral_constantIbLb0EES1R_EEDaS1M_S1N_EUlS1M_E_NS1_11comp_targetILNS1_3genE5ELNS1_11target_archE942ELNS1_3gpuE9ELNS1_3repE0EEENS1_30default_config_static_selectorELNS0_4arch9wavefront6targetE1EEEvSZ_.private_seg_size, 0
	.set _ZN7rocprim17ROCPRIM_400000_NS6detail17trampoline_kernelINS0_13select_configILj256ELj13ELNS0_17block_load_methodE3ELS4_3ELS4_3ELNS0_20block_scan_algorithmE0ELj4294967295EEENS1_25partition_config_selectorILNS1_17partition_subalgoE4EjNS0_10empty_typeEbEEZZNS1_14partition_implILS8_4ELb0ES6_15HIP_vector_typeIjLj2EENS0_17counting_iteratorIjlEEPS9_SG_NS0_5tupleIJPjSI_NS0_16reverse_iteratorISI_EEEEENSH_IJSG_SG_SG_EEES9_SI_JZNS1_25segmented_radix_sort_implINS0_14default_configELb0EPKlPlSQ_SR_N2at6native12_GLOBAL__N_18offset_tEEE10hipError_tPvRmT1_PNSt15iterator_traitsISZ_E10value_typeET2_T3_PNS10_IS15_E10value_typeET4_jRbjT5_S1B_jjP12ihipStream_tbEUljE_ZNSN_ISO_Lb0ESQ_SR_SQ_SR_SV_EESW_SX_SY_SZ_S13_S14_S15_S18_S19_jS1A_jS1B_S1B_jjS1D_bEUljE0_EEESW_SX_SY_S15_S19_S1B_T6_T7_T9_mT8_S1D_bDpT10_ENKUlT_T0_E_clISt17integral_constantIbLb0EES1R_EEDaS1M_S1N_EUlS1M_E_NS1_11comp_targetILNS1_3genE5ELNS1_11target_archE942ELNS1_3gpuE9ELNS1_3repE0EEENS1_30default_config_static_selectorELNS0_4arch9wavefront6targetE1EEEvSZ_.uses_vcc, 0
	.set _ZN7rocprim17ROCPRIM_400000_NS6detail17trampoline_kernelINS0_13select_configILj256ELj13ELNS0_17block_load_methodE3ELS4_3ELS4_3ELNS0_20block_scan_algorithmE0ELj4294967295EEENS1_25partition_config_selectorILNS1_17partition_subalgoE4EjNS0_10empty_typeEbEEZZNS1_14partition_implILS8_4ELb0ES6_15HIP_vector_typeIjLj2EENS0_17counting_iteratorIjlEEPS9_SG_NS0_5tupleIJPjSI_NS0_16reverse_iteratorISI_EEEEENSH_IJSG_SG_SG_EEES9_SI_JZNS1_25segmented_radix_sort_implINS0_14default_configELb0EPKlPlSQ_SR_N2at6native12_GLOBAL__N_18offset_tEEE10hipError_tPvRmT1_PNSt15iterator_traitsISZ_E10value_typeET2_T3_PNS10_IS15_E10value_typeET4_jRbjT5_S1B_jjP12ihipStream_tbEUljE_ZNSN_ISO_Lb0ESQ_SR_SQ_SR_SV_EESW_SX_SY_SZ_S13_S14_S15_S18_S19_jS1A_jS1B_S1B_jjS1D_bEUljE0_EEESW_SX_SY_S15_S19_S1B_T6_T7_T9_mT8_S1D_bDpT10_ENKUlT_T0_E_clISt17integral_constantIbLb0EES1R_EEDaS1M_S1N_EUlS1M_E_NS1_11comp_targetILNS1_3genE5ELNS1_11target_archE942ELNS1_3gpuE9ELNS1_3repE0EEENS1_30default_config_static_selectorELNS0_4arch9wavefront6targetE1EEEvSZ_.uses_flat_scratch, 0
	.set _ZN7rocprim17ROCPRIM_400000_NS6detail17trampoline_kernelINS0_13select_configILj256ELj13ELNS0_17block_load_methodE3ELS4_3ELS4_3ELNS0_20block_scan_algorithmE0ELj4294967295EEENS1_25partition_config_selectorILNS1_17partition_subalgoE4EjNS0_10empty_typeEbEEZZNS1_14partition_implILS8_4ELb0ES6_15HIP_vector_typeIjLj2EENS0_17counting_iteratorIjlEEPS9_SG_NS0_5tupleIJPjSI_NS0_16reverse_iteratorISI_EEEEENSH_IJSG_SG_SG_EEES9_SI_JZNS1_25segmented_radix_sort_implINS0_14default_configELb0EPKlPlSQ_SR_N2at6native12_GLOBAL__N_18offset_tEEE10hipError_tPvRmT1_PNSt15iterator_traitsISZ_E10value_typeET2_T3_PNS10_IS15_E10value_typeET4_jRbjT5_S1B_jjP12ihipStream_tbEUljE_ZNSN_ISO_Lb0ESQ_SR_SQ_SR_SV_EESW_SX_SY_SZ_S13_S14_S15_S18_S19_jS1A_jS1B_S1B_jjS1D_bEUljE0_EEESW_SX_SY_S15_S19_S1B_T6_T7_T9_mT8_S1D_bDpT10_ENKUlT_T0_E_clISt17integral_constantIbLb0EES1R_EEDaS1M_S1N_EUlS1M_E_NS1_11comp_targetILNS1_3genE5ELNS1_11target_archE942ELNS1_3gpuE9ELNS1_3repE0EEENS1_30default_config_static_selectorELNS0_4arch9wavefront6targetE1EEEvSZ_.has_dyn_sized_stack, 0
	.set _ZN7rocprim17ROCPRIM_400000_NS6detail17trampoline_kernelINS0_13select_configILj256ELj13ELNS0_17block_load_methodE3ELS4_3ELS4_3ELNS0_20block_scan_algorithmE0ELj4294967295EEENS1_25partition_config_selectorILNS1_17partition_subalgoE4EjNS0_10empty_typeEbEEZZNS1_14partition_implILS8_4ELb0ES6_15HIP_vector_typeIjLj2EENS0_17counting_iteratorIjlEEPS9_SG_NS0_5tupleIJPjSI_NS0_16reverse_iteratorISI_EEEEENSH_IJSG_SG_SG_EEES9_SI_JZNS1_25segmented_radix_sort_implINS0_14default_configELb0EPKlPlSQ_SR_N2at6native12_GLOBAL__N_18offset_tEEE10hipError_tPvRmT1_PNSt15iterator_traitsISZ_E10value_typeET2_T3_PNS10_IS15_E10value_typeET4_jRbjT5_S1B_jjP12ihipStream_tbEUljE_ZNSN_ISO_Lb0ESQ_SR_SQ_SR_SV_EESW_SX_SY_SZ_S13_S14_S15_S18_S19_jS1A_jS1B_S1B_jjS1D_bEUljE0_EEESW_SX_SY_S15_S19_S1B_T6_T7_T9_mT8_S1D_bDpT10_ENKUlT_T0_E_clISt17integral_constantIbLb0EES1R_EEDaS1M_S1N_EUlS1M_E_NS1_11comp_targetILNS1_3genE5ELNS1_11target_archE942ELNS1_3gpuE9ELNS1_3repE0EEENS1_30default_config_static_selectorELNS0_4arch9wavefront6targetE1EEEvSZ_.has_recursion, 0
	.set _ZN7rocprim17ROCPRIM_400000_NS6detail17trampoline_kernelINS0_13select_configILj256ELj13ELNS0_17block_load_methodE3ELS4_3ELS4_3ELNS0_20block_scan_algorithmE0ELj4294967295EEENS1_25partition_config_selectorILNS1_17partition_subalgoE4EjNS0_10empty_typeEbEEZZNS1_14partition_implILS8_4ELb0ES6_15HIP_vector_typeIjLj2EENS0_17counting_iteratorIjlEEPS9_SG_NS0_5tupleIJPjSI_NS0_16reverse_iteratorISI_EEEEENSH_IJSG_SG_SG_EEES9_SI_JZNS1_25segmented_radix_sort_implINS0_14default_configELb0EPKlPlSQ_SR_N2at6native12_GLOBAL__N_18offset_tEEE10hipError_tPvRmT1_PNSt15iterator_traitsISZ_E10value_typeET2_T3_PNS10_IS15_E10value_typeET4_jRbjT5_S1B_jjP12ihipStream_tbEUljE_ZNSN_ISO_Lb0ESQ_SR_SQ_SR_SV_EESW_SX_SY_SZ_S13_S14_S15_S18_S19_jS1A_jS1B_S1B_jjS1D_bEUljE0_EEESW_SX_SY_S15_S19_S1B_T6_T7_T9_mT8_S1D_bDpT10_ENKUlT_T0_E_clISt17integral_constantIbLb0EES1R_EEDaS1M_S1N_EUlS1M_E_NS1_11comp_targetILNS1_3genE5ELNS1_11target_archE942ELNS1_3gpuE9ELNS1_3repE0EEENS1_30default_config_static_selectorELNS0_4arch9wavefront6targetE1EEEvSZ_.has_indirect_call, 0
	.section	.AMDGPU.csdata,"",@progbits
; Kernel info:
; codeLenInByte = 0
; TotalNumSgprs: 4
; NumVgprs: 0
; ScratchSize: 0
; MemoryBound: 0
; FloatMode: 240
; IeeeMode: 1
; LDSByteSize: 0 bytes/workgroup (compile time only)
; SGPRBlocks: 0
; VGPRBlocks: 0
; NumSGPRsForWavesPerEU: 4
; NumVGPRsForWavesPerEU: 1
; Occupancy: 10
; WaveLimiterHint : 0
; COMPUTE_PGM_RSRC2:SCRATCH_EN: 0
; COMPUTE_PGM_RSRC2:USER_SGPR: 6
; COMPUTE_PGM_RSRC2:TRAP_HANDLER: 0
; COMPUTE_PGM_RSRC2:TGID_X_EN: 1
; COMPUTE_PGM_RSRC2:TGID_Y_EN: 0
; COMPUTE_PGM_RSRC2:TGID_Z_EN: 0
; COMPUTE_PGM_RSRC2:TIDIG_COMP_CNT: 0
	.section	.text._ZN7rocprim17ROCPRIM_400000_NS6detail17trampoline_kernelINS0_13select_configILj256ELj13ELNS0_17block_load_methodE3ELS4_3ELS4_3ELNS0_20block_scan_algorithmE0ELj4294967295EEENS1_25partition_config_selectorILNS1_17partition_subalgoE4EjNS0_10empty_typeEbEEZZNS1_14partition_implILS8_4ELb0ES6_15HIP_vector_typeIjLj2EENS0_17counting_iteratorIjlEEPS9_SG_NS0_5tupleIJPjSI_NS0_16reverse_iteratorISI_EEEEENSH_IJSG_SG_SG_EEES9_SI_JZNS1_25segmented_radix_sort_implINS0_14default_configELb0EPKlPlSQ_SR_N2at6native12_GLOBAL__N_18offset_tEEE10hipError_tPvRmT1_PNSt15iterator_traitsISZ_E10value_typeET2_T3_PNS10_IS15_E10value_typeET4_jRbjT5_S1B_jjP12ihipStream_tbEUljE_ZNSN_ISO_Lb0ESQ_SR_SQ_SR_SV_EESW_SX_SY_SZ_S13_S14_S15_S18_S19_jS1A_jS1B_S1B_jjS1D_bEUljE0_EEESW_SX_SY_S15_S19_S1B_T6_T7_T9_mT8_S1D_bDpT10_ENKUlT_T0_E_clISt17integral_constantIbLb0EES1R_EEDaS1M_S1N_EUlS1M_E_NS1_11comp_targetILNS1_3genE4ELNS1_11target_archE910ELNS1_3gpuE8ELNS1_3repE0EEENS1_30default_config_static_selectorELNS0_4arch9wavefront6targetE1EEEvSZ_,"axG",@progbits,_ZN7rocprim17ROCPRIM_400000_NS6detail17trampoline_kernelINS0_13select_configILj256ELj13ELNS0_17block_load_methodE3ELS4_3ELS4_3ELNS0_20block_scan_algorithmE0ELj4294967295EEENS1_25partition_config_selectorILNS1_17partition_subalgoE4EjNS0_10empty_typeEbEEZZNS1_14partition_implILS8_4ELb0ES6_15HIP_vector_typeIjLj2EENS0_17counting_iteratorIjlEEPS9_SG_NS0_5tupleIJPjSI_NS0_16reverse_iteratorISI_EEEEENSH_IJSG_SG_SG_EEES9_SI_JZNS1_25segmented_radix_sort_implINS0_14default_configELb0EPKlPlSQ_SR_N2at6native12_GLOBAL__N_18offset_tEEE10hipError_tPvRmT1_PNSt15iterator_traitsISZ_E10value_typeET2_T3_PNS10_IS15_E10value_typeET4_jRbjT5_S1B_jjP12ihipStream_tbEUljE_ZNSN_ISO_Lb0ESQ_SR_SQ_SR_SV_EESW_SX_SY_SZ_S13_S14_S15_S18_S19_jS1A_jS1B_S1B_jjS1D_bEUljE0_EEESW_SX_SY_S15_S19_S1B_T6_T7_T9_mT8_S1D_bDpT10_ENKUlT_T0_E_clISt17integral_constantIbLb0EES1R_EEDaS1M_S1N_EUlS1M_E_NS1_11comp_targetILNS1_3genE4ELNS1_11target_archE910ELNS1_3gpuE8ELNS1_3repE0EEENS1_30default_config_static_selectorELNS0_4arch9wavefront6targetE1EEEvSZ_,comdat
	.globl	_ZN7rocprim17ROCPRIM_400000_NS6detail17trampoline_kernelINS0_13select_configILj256ELj13ELNS0_17block_load_methodE3ELS4_3ELS4_3ELNS0_20block_scan_algorithmE0ELj4294967295EEENS1_25partition_config_selectorILNS1_17partition_subalgoE4EjNS0_10empty_typeEbEEZZNS1_14partition_implILS8_4ELb0ES6_15HIP_vector_typeIjLj2EENS0_17counting_iteratorIjlEEPS9_SG_NS0_5tupleIJPjSI_NS0_16reverse_iteratorISI_EEEEENSH_IJSG_SG_SG_EEES9_SI_JZNS1_25segmented_radix_sort_implINS0_14default_configELb0EPKlPlSQ_SR_N2at6native12_GLOBAL__N_18offset_tEEE10hipError_tPvRmT1_PNSt15iterator_traitsISZ_E10value_typeET2_T3_PNS10_IS15_E10value_typeET4_jRbjT5_S1B_jjP12ihipStream_tbEUljE_ZNSN_ISO_Lb0ESQ_SR_SQ_SR_SV_EESW_SX_SY_SZ_S13_S14_S15_S18_S19_jS1A_jS1B_S1B_jjS1D_bEUljE0_EEESW_SX_SY_S15_S19_S1B_T6_T7_T9_mT8_S1D_bDpT10_ENKUlT_T0_E_clISt17integral_constantIbLb0EES1R_EEDaS1M_S1N_EUlS1M_E_NS1_11comp_targetILNS1_3genE4ELNS1_11target_archE910ELNS1_3gpuE8ELNS1_3repE0EEENS1_30default_config_static_selectorELNS0_4arch9wavefront6targetE1EEEvSZ_ ; -- Begin function _ZN7rocprim17ROCPRIM_400000_NS6detail17trampoline_kernelINS0_13select_configILj256ELj13ELNS0_17block_load_methodE3ELS4_3ELS4_3ELNS0_20block_scan_algorithmE0ELj4294967295EEENS1_25partition_config_selectorILNS1_17partition_subalgoE4EjNS0_10empty_typeEbEEZZNS1_14partition_implILS8_4ELb0ES6_15HIP_vector_typeIjLj2EENS0_17counting_iteratorIjlEEPS9_SG_NS0_5tupleIJPjSI_NS0_16reverse_iteratorISI_EEEEENSH_IJSG_SG_SG_EEES9_SI_JZNS1_25segmented_radix_sort_implINS0_14default_configELb0EPKlPlSQ_SR_N2at6native12_GLOBAL__N_18offset_tEEE10hipError_tPvRmT1_PNSt15iterator_traitsISZ_E10value_typeET2_T3_PNS10_IS15_E10value_typeET4_jRbjT5_S1B_jjP12ihipStream_tbEUljE_ZNSN_ISO_Lb0ESQ_SR_SQ_SR_SV_EESW_SX_SY_SZ_S13_S14_S15_S18_S19_jS1A_jS1B_S1B_jjS1D_bEUljE0_EEESW_SX_SY_S15_S19_S1B_T6_T7_T9_mT8_S1D_bDpT10_ENKUlT_T0_E_clISt17integral_constantIbLb0EES1R_EEDaS1M_S1N_EUlS1M_E_NS1_11comp_targetILNS1_3genE4ELNS1_11target_archE910ELNS1_3gpuE8ELNS1_3repE0EEENS1_30default_config_static_selectorELNS0_4arch9wavefront6targetE1EEEvSZ_
	.p2align	8
	.type	_ZN7rocprim17ROCPRIM_400000_NS6detail17trampoline_kernelINS0_13select_configILj256ELj13ELNS0_17block_load_methodE3ELS4_3ELS4_3ELNS0_20block_scan_algorithmE0ELj4294967295EEENS1_25partition_config_selectorILNS1_17partition_subalgoE4EjNS0_10empty_typeEbEEZZNS1_14partition_implILS8_4ELb0ES6_15HIP_vector_typeIjLj2EENS0_17counting_iteratorIjlEEPS9_SG_NS0_5tupleIJPjSI_NS0_16reverse_iteratorISI_EEEEENSH_IJSG_SG_SG_EEES9_SI_JZNS1_25segmented_radix_sort_implINS0_14default_configELb0EPKlPlSQ_SR_N2at6native12_GLOBAL__N_18offset_tEEE10hipError_tPvRmT1_PNSt15iterator_traitsISZ_E10value_typeET2_T3_PNS10_IS15_E10value_typeET4_jRbjT5_S1B_jjP12ihipStream_tbEUljE_ZNSN_ISO_Lb0ESQ_SR_SQ_SR_SV_EESW_SX_SY_SZ_S13_S14_S15_S18_S19_jS1A_jS1B_S1B_jjS1D_bEUljE0_EEESW_SX_SY_S15_S19_S1B_T6_T7_T9_mT8_S1D_bDpT10_ENKUlT_T0_E_clISt17integral_constantIbLb0EES1R_EEDaS1M_S1N_EUlS1M_E_NS1_11comp_targetILNS1_3genE4ELNS1_11target_archE910ELNS1_3gpuE8ELNS1_3repE0EEENS1_30default_config_static_selectorELNS0_4arch9wavefront6targetE1EEEvSZ_,@function
_ZN7rocprim17ROCPRIM_400000_NS6detail17trampoline_kernelINS0_13select_configILj256ELj13ELNS0_17block_load_methodE3ELS4_3ELS4_3ELNS0_20block_scan_algorithmE0ELj4294967295EEENS1_25partition_config_selectorILNS1_17partition_subalgoE4EjNS0_10empty_typeEbEEZZNS1_14partition_implILS8_4ELb0ES6_15HIP_vector_typeIjLj2EENS0_17counting_iteratorIjlEEPS9_SG_NS0_5tupleIJPjSI_NS0_16reverse_iteratorISI_EEEEENSH_IJSG_SG_SG_EEES9_SI_JZNS1_25segmented_radix_sort_implINS0_14default_configELb0EPKlPlSQ_SR_N2at6native12_GLOBAL__N_18offset_tEEE10hipError_tPvRmT1_PNSt15iterator_traitsISZ_E10value_typeET2_T3_PNS10_IS15_E10value_typeET4_jRbjT5_S1B_jjP12ihipStream_tbEUljE_ZNSN_ISO_Lb0ESQ_SR_SQ_SR_SV_EESW_SX_SY_SZ_S13_S14_S15_S18_S19_jS1A_jS1B_S1B_jjS1D_bEUljE0_EEESW_SX_SY_S15_S19_S1B_T6_T7_T9_mT8_S1D_bDpT10_ENKUlT_T0_E_clISt17integral_constantIbLb0EES1R_EEDaS1M_S1N_EUlS1M_E_NS1_11comp_targetILNS1_3genE4ELNS1_11target_archE910ELNS1_3gpuE8ELNS1_3repE0EEENS1_30default_config_static_selectorELNS0_4arch9wavefront6targetE1EEEvSZ_: ; @_ZN7rocprim17ROCPRIM_400000_NS6detail17trampoline_kernelINS0_13select_configILj256ELj13ELNS0_17block_load_methodE3ELS4_3ELS4_3ELNS0_20block_scan_algorithmE0ELj4294967295EEENS1_25partition_config_selectorILNS1_17partition_subalgoE4EjNS0_10empty_typeEbEEZZNS1_14partition_implILS8_4ELb0ES6_15HIP_vector_typeIjLj2EENS0_17counting_iteratorIjlEEPS9_SG_NS0_5tupleIJPjSI_NS0_16reverse_iteratorISI_EEEEENSH_IJSG_SG_SG_EEES9_SI_JZNS1_25segmented_radix_sort_implINS0_14default_configELb0EPKlPlSQ_SR_N2at6native12_GLOBAL__N_18offset_tEEE10hipError_tPvRmT1_PNSt15iterator_traitsISZ_E10value_typeET2_T3_PNS10_IS15_E10value_typeET4_jRbjT5_S1B_jjP12ihipStream_tbEUljE_ZNSN_ISO_Lb0ESQ_SR_SQ_SR_SV_EESW_SX_SY_SZ_S13_S14_S15_S18_S19_jS1A_jS1B_S1B_jjS1D_bEUljE0_EEESW_SX_SY_S15_S19_S1B_T6_T7_T9_mT8_S1D_bDpT10_ENKUlT_T0_E_clISt17integral_constantIbLb0EES1R_EEDaS1M_S1N_EUlS1M_E_NS1_11comp_targetILNS1_3genE4ELNS1_11target_archE910ELNS1_3gpuE8ELNS1_3repE0EEENS1_30default_config_static_selectorELNS0_4arch9wavefront6targetE1EEEvSZ_
; %bb.0:
	.section	.rodata,"a",@progbits
	.p2align	6, 0x0
	.amdhsa_kernel _ZN7rocprim17ROCPRIM_400000_NS6detail17trampoline_kernelINS0_13select_configILj256ELj13ELNS0_17block_load_methodE3ELS4_3ELS4_3ELNS0_20block_scan_algorithmE0ELj4294967295EEENS1_25partition_config_selectorILNS1_17partition_subalgoE4EjNS0_10empty_typeEbEEZZNS1_14partition_implILS8_4ELb0ES6_15HIP_vector_typeIjLj2EENS0_17counting_iteratorIjlEEPS9_SG_NS0_5tupleIJPjSI_NS0_16reverse_iteratorISI_EEEEENSH_IJSG_SG_SG_EEES9_SI_JZNS1_25segmented_radix_sort_implINS0_14default_configELb0EPKlPlSQ_SR_N2at6native12_GLOBAL__N_18offset_tEEE10hipError_tPvRmT1_PNSt15iterator_traitsISZ_E10value_typeET2_T3_PNS10_IS15_E10value_typeET4_jRbjT5_S1B_jjP12ihipStream_tbEUljE_ZNSN_ISO_Lb0ESQ_SR_SQ_SR_SV_EESW_SX_SY_SZ_S13_S14_S15_S18_S19_jS1A_jS1B_S1B_jjS1D_bEUljE0_EEESW_SX_SY_S15_S19_S1B_T6_T7_T9_mT8_S1D_bDpT10_ENKUlT_T0_E_clISt17integral_constantIbLb0EES1R_EEDaS1M_S1N_EUlS1M_E_NS1_11comp_targetILNS1_3genE4ELNS1_11target_archE910ELNS1_3gpuE8ELNS1_3repE0EEENS1_30default_config_static_selectorELNS0_4arch9wavefront6targetE1EEEvSZ_
		.amdhsa_group_segment_fixed_size 0
		.amdhsa_private_segment_fixed_size 0
		.amdhsa_kernarg_size 176
		.amdhsa_user_sgpr_count 6
		.amdhsa_user_sgpr_private_segment_buffer 1
		.amdhsa_user_sgpr_dispatch_ptr 0
		.amdhsa_user_sgpr_queue_ptr 0
		.amdhsa_user_sgpr_kernarg_segment_ptr 1
		.amdhsa_user_sgpr_dispatch_id 0
		.amdhsa_user_sgpr_flat_scratch_init 0
		.amdhsa_user_sgpr_private_segment_size 0
		.amdhsa_uses_dynamic_stack 0
		.amdhsa_system_sgpr_private_segment_wavefront_offset 0
		.amdhsa_system_sgpr_workgroup_id_x 1
		.amdhsa_system_sgpr_workgroup_id_y 0
		.amdhsa_system_sgpr_workgroup_id_z 0
		.amdhsa_system_sgpr_workgroup_info 0
		.amdhsa_system_vgpr_workitem_id 0
		.amdhsa_next_free_vgpr 1
		.amdhsa_next_free_sgpr 0
		.amdhsa_reserve_vcc 0
		.amdhsa_reserve_flat_scratch 0
		.amdhsa_float_round_mode_32 0
		.amdhsa_float_round_mode_16_64 0
		.amdhsa_float_denorm_mode_32 3
		.amdhsa_float_denorm_mode_16_64 3
		.amdhsa_dx10_clamp 1
		.amdhsa_ieee_mode 1
		.amdhsa_fp16_overflow 0
		.amdhsa_exception_fp_ieee_invalid_op 0
		.amdhsa_exception_fp_denorm_src 0
		.amdhsa_exception_fp_ieee_div_zero 0
		.amdhsa_exception_fp_ieee_overflow 0
		.amdhsa_exception_fp_ieee_underflow 0
		.amdhsa_exception_fp_ieee_inexact 0
		.amdhsa_exception_int_div_zero 0
	.end_amdhsa_kernel
	.section	.text._ZN7rocprim17ROCPRIM_400000_NS6detail17trampoline_kernelINS0_13select_configILj256ELj13ELNS0_17block_load_methodE3ELS4_3ELS4_3ELNS0_20block_scan_algorithmE0ELj4294967295EEENS1_25partition_config_selectorILNS1_17partition_subalgoE4EjNS0_10empty_typeEbEEZZNS1_14partition_implILS8_4ELb0ES6_15HIP_vector_typeIjLj2EENS0_17counting_iteratorIjlEEPS9_SG_NS0_5tupleIJPjSI_NS0_16reverse_iteratorISI_EEEEENSH_IJSG_SG_SG_EEES9_SI_JZNS1_25segmented_radix_sort_implINS0_14default_configELb0EPKlPlSQ_SR_N2at6native12_GLOBAL__N_18offset_tEEE10hipError_tPvRmT1_PNSt15iterator_traitsISZ_E10value_typeET2_T3_PNS10_IS15_E10value_typeET4_jRbjT5_S1B_jjP12ihipStream_tbEUljE_ZNSN_ISO_Lb0ESQ_SR_SQ_SR_SV_EESW_SX_SY_SZ_S13_S14_S15_S18_S19_jS1A_jS1B_S1B_jjS1D_bEUljE0_EEESW_SX_SY_S15_S19_S1B_T6_T7_T9_mT8_S1D_bDpT10_ENKUlT_T0_E_clISt17integral_constantIbLb0EES1R_EEDaS1M_S1N_EUlS1M_E_NS1_11comp_targetILNS1_3genE4ELNS1_11target_archE910ELNS1_3gpuE8ELNS1_3repE0EEENS1_30default_config_static_selectorELNS0_4arch9wavefront6targetE1EEEvSZ_,"axG",@progbits,_ZN7rocprim17ROCPRIM_400000_NS6detail17trampoline_kernelINS0_13select_configILj256ELj13ELNS0_17block_load_methodE3ELS4_3ELS4_3ELNS0_20block_scan_algorithmE0ELj4294967295EEENS1_25partition_config_selectorILNS1_17partition_subalgoE4EjNS0_10empty_typeEbEEZZNS1_14partition_implILS8_4ELb0ES6_15HIP_vector_typeIjLj2EENS0_17counting_iteratorIjlEEPS9_SG_NS0_5tupleIJPjSI_NS0_16reverse_iteratorISI_EEEEENSH_IJSG_SG_SG_EEES9_SI_JZNS1_25segmented_radix_sort_implINS0_14default_configELb0EPKlPlSQ_SR_N2at6native12_GLOBAL__N_18offset_tEEE10hipError_tPvRmT1_PNSt15iterator_traitsISZ_E10value_typeET2_T3_PNS10_IS15_E10value_typeET4_jRbjT5_S1B_jjP12ihipStream_tbEUljE_ZNSN_ISO_Lb0ESQ_SR_SQ_SR_SV_EESW_SX_SY_SZ_S13_S14_S15_S18_S19_jS1A_jS1B_S1B_jjS1D_bEUljE0_EEESW_SX_SY_S15_S19_S1B_T6_T7_T9_mT8_S1D_bDpT10_ENKUlT_T0_E_clISt17integral_constantIbLb0EES1R_EEDaS1M_S1N_EUlS1M_E_NS1_11comp_targetILNS1_3genE4ELNS1_11target_archE910ELNS1_3gpuE8ELNS1_3repE0EEENS1_30default_config_static_selectorELNS0_4arch9wavefront6targetE1EEEvSZ_,comdat
.Lfunc_end745:
	.size	_ZN7rocprim17ROCPRIM_400000_NS6detail17trampoline_kernelINS0_13select_configILj256ELj13ELNS0_17block_load_methodE3ELS4_3ELS4_3ELNS0_20block_scan_algorithmE0ELj4294967295EEENS1_25partition_config_selectorILNS1_17partition_subalgoE4EjNS0_10empty_typeEbEEZZNS1_14partition_implILS8_4ELb0ES6_15HIP_vector_typeIjLj2EENS0_17counting_iteratorIjlEEPS9_SG_NS0_5tupleIJPjSI_NS0_16reverse_iteratorISI_EEEEENSH_IJSG_SG_SG_EEES9_SI_JZNS1_25segmented_radix_sort_implINS0_14default_configELb0EPKlPlSQ_SR_N2at6native12_GLOBAL__N_18offset_tEEE10hipError_tPvRmT1_PNSt15iterator_traitsISZ_E10value_typeET2_T3_PNS10_IS15_E10value_typeET4_jRbjT5_S1B_jjP12ihipStream_tbEUljE_ZNSN_ISO_Lb0ESQ_SR_SQ_SR_SV_EESW_SX_SY_SZ_S13_S14_S15_S18_S19_jS1A_jS1B_S1B_jjS1D_bEUljE0_EEESW_SX_SY_S15_S19_S1B_T6_T7_T9_mT8_S1D_bDpT10_ENKUlT_T0_E_clISt17integral_constantIbLb0EES1R_EEDaS1M_S1N_EUlS1M_E_NS1_11comp_targetILNS1_3genE4ELNS1_11target_archE910ELNS1_3gpuE8ELNS1_3repE0EEENS1_30default_config_static_selectorELNS0_4arch9wavefront6targetE1EEEvSZ_, .Lfunc_end745-_ZN7rocprim17ROCPRIM_400000_NS6detail17trampoline_kernelINS0_13select_configILj256ELj13ELNS0_17block_load_methodE3ELS4_3ELS4_3ELNS0_20block_scan_algorithmE0ELj4294967295EEENS1_25partition_config_selectorILNS1_17partition_subalgoE4EjNS0_10empty_typeEbEEZZNS1_14partition_implILS8_4ELb0ES6_15HIP_vector_typeIjLj2EENS0_17counting_iteratorIjlEEPS9_SG_NS0_5tupleIJPjSI_NS0_16reverse_iteratorISI_EEEEENSH_IJSG_SG_SG_EEES9_SI_JZNS1_25segmented_radix_sort_implINS0_14default_configELb0EPKlPlSQ_SR_N2at6native12_GLOBAL__N_18offset_tEEE10hipError_tPvRmT1_PNSt15iterator_traitsISZ_E10value_typeET2_T3_PNS10_IS15_E10value_typeET4_jRbjT5_S1B_jjP12ihipStream_tbEUljE_ZNSN_ISO_Lb0ESQ_SR_SQ_SR_SV_EESW_SX_SY_SZ_S13_S14_S15_S18_S19_jS1A_jS1B_S1B_jjS1D_bEUljE0_EEESW_SX_SY_S15_S19_S1B_T6_T7_T9_mT8_S1D_bDpT10_ENKUlT_T0_E_clISt17integral_constantIbLb0EES1R_EEDaS1M_S1N_EUlS1M_E_NS1_11comp_targetILNS1_3genE4ELNS1_11target_archE910ELNS1_3gpuE8ELNS1_3repE0EEENS1_30default_config_static_selectorELNS0_4arch9wavefront6targetE1EEEvSZ_
                                        ; -- End function
	.set _ZN7rocprim17ROCPRIM_400000_NS6detail17trampoline_kernelINS0_13select_configILj256ELj13ELNS0_17block_load_methodE3ELS4_3ELS4_3ELNS0_20block_scan_algorithmE0ELj4294967295EEENS1_25partition_config_selectorILNS1_17partition_subalgoE4EjNS0_10empty_typeEbEEZZNS1_14partition_implILS8_4ELb0ES6_15HIP_vector_typeIjLj2EENS0_17counting_iteratorIjlEEPS9_SG_NS0_5tupleIJPjSI_NS0_16reverse_iteratorISI_EEEEENSH_IJSG_SG_SG_EEES9_SI_JZNS1_25segmented_radix_sort_implINS0_14default_configELb0EPKlPlSQ_SR_N2at6native12_GLOBAL__N_18offset_tEEE10hipError_tPvRmT1_PNSt15iterator_traitsISZ_E10value_typeET2_T3_PNS10_IS15_E10value_typeET4_jRbjT5_S1B_jjP12ihipStream_tbEUljE_ZNSN_ISO_Lb0ESQ_SR_SQ_SR_SV_EESW_SX_SY_SZ_S13_S14_S15_S18_S19_jS1A_jS1B_S1B_jjS1D_bEUljE0_EEESW_SX_SY_S15_S19_S1B_T6_T7_T9_mT8_S1D_bDpT10_ENKUlT_T0_E_clISt17integral_constantIbLb0EES1R_EEDaS1M_S1N_EUlS1M_E_NS1_11comp_targetILNS1_3genE4ELNS1_11target_archE910ELNS1_3gpuE8ELNS1_3repE0EEENS1_30default_config_static_selectorELNS0_4arch9wavefront6targetE1EEEvSZ_.num_vgpr, 0
	.set _ZN7rocprim17ROCPRIM_400000_NS6detail17trampoline_kernelINS0_13select_configILj256ELj13ELNS0_17block_load_methodE3ELS4_3ELS4_3ELNS0_20block_scan_algorithmE0ELj4294967295EEENS1_25partition_config_selectorILNS1_17partition_subalgoE4EjNS0_10empty_typeEbEEZZNS1_14partition_implILS8_4ELb0ES6_15HIP_vector_typeIjLj2EENS0_17counting_iteratorIjlEEPS9_SG_NS0_5tupleIJPjSI_NS0_16reverse_iteratorISI_EEEEENSH_IJSG_SG_SG_EEES9_SI_JZNS1_25segmented_radix_sort_implINS0_14default_configELb0EPKlPlSQ_SR_N2at6native12_GLOBAL__N_18offset_tEEE10hipError_tPvRmT1_PNSt15iterator_traitsISZ_E10value_typeET2_T3_PNS10_IS15_E10value_typeET4_jRbjT5_S1B_jjP12ihipStream_tbEUljE_ZNSN_ISO_Lb0ESQ_SR_SQ_SR_SV_EESW_SX_SY_SZ_S13_S14_S15_S18_S19_jS1A_jS1B_S1B_jjS1D_bEUljE0_EEESW_SX_SY_S15_S19_S1B_T6_T7_T9_mT8_S1D_bDpT10_ENKUlT_T0_E_clISt17integral_constantIbLb0EES1R_EEDaS1M_S1N_EUlS1M_E_NS1_11comp_targetILNS1_3genE4ELNS1_11target_archE910ELNS1_3gpuE8ELNS1_3repE0EEENS1_30default_config_static_selectorELNS0_4arch9wavefront6targetE1EEEvSZ_.num_agpr, 0
	.set _ZN7rocprim17ROCPRIM_400000_NS6detail17trampoline_kernelINS0_13select_configILj256ELj13ELNS0_17block_load_methodE3ELS4_3ELS4_3ELNS0_20block_scan_algorithmE0ELj4294967295EEENS1_25partition_config_selectorILNS1_17partition_subalgoE4EjNS0_10empty_typeEbEEZZNS1_14partition_implILS8_4ELb0ES6_15HIP_vector_typeIjLj2EENS0_17counting_iteratorIjlEEPS9_SG_NS0_5tupleIJPjSI_NS0_16reverse_iteratorISI_EEEEENSH_IJSG_SG_SG_EEES9_SI_JZNS1_25segmented_radix_sort_implINS0_14default_configELb0EPKlPlSQ_SR_N2at6native12_GLOBAL__N_18offset_tEEE10hipError_tPvRmT1_PNSt15iterator_traitsISZ_E10value_typeET2_T3_PNS10_IS15_E10value_typeET4_jRbjT5_S1B_jjP12ihipStream_tbEUljE_ZNSN_ISO_Lb0ESQ_SR_SQ_SR_SV_EESW_SX_SY_SZ_S13_S14_S15_S18_S19_jS1A_jS1B_S1B_jjS1D_bEUljE0_EEESW_SX_SY_S15_S19_S1B_T6_T7_T9_mT8_S1D_bDpT10_ENKUlT_T0_E_clISt17integral_constantIbLb0EES1R_EEDaS1M_S1N_EUlS1M_E_NS1_11comp_targetILNS1_3genE4ELNS1_11target_archE910ELNS1_3gpuE8ELNS1_3repE0EEENS1_30default_config_static_selectorELNS0_4arch9wavefront6targetE1EEEvSZ_.numbered_sgpr, 0
	.set _ZN7rocprim17ROCPRIM_400000_NS6detail17trampoline_kernelINS0_13select_configILj256ELj13ELNS0_17block_load_methodE3ELS4_3ELS4_3ELNS0_20block_scan_algorithmE0ELj4294967295EEENS1_25partition_config_selectorILNS1_17partition_subalgoE4EjNS0_10empty_typeEbEEZZNS1_14partition_implILS8_4ELb0ES6_15HIP_vector_typeIjLj2EENS0_17counting_iteratorIjlEEPS9_SG_NS0_5tupleIJPjSI_NS0_16reverse_iteratorISI_EEEEENSH_IJSG_SG_SG_EEES9_SI_JZNS1_25segmented_radix_sort_implINS0_14default_configELb0EPKlPlSQ_SR_N2at6native12_GLOBAL__N_18offset_tEEE10hipError_tPvRmT1_PNSt15iterator_traitsISZ_E10value_typeET2_T3_PNS10_IS15_E10value_typeET4_jRbjT5_S1B_jjP12ihipStream_tbEUljE_ZNSN_ISO_Lb0ESQ_SR_SQ_SR_SV_EESW_SX_SY_SZ_S13_S14_S15_S18_S19_jS1A_jS1B_S1B_jjS1D_bEUljE0_EEESW_SX_SY_S15_S19_S1B_T6_T7_T9_mT8_S1D_bDpT10_ENKUlT_T0_E_clISt17integral_constantIbLb0EES1R_EEDaS1M_S1N_EUlS1M_E_NS1_11comp_targetILNS1_3genE4ELNS1_11target_archE910ELNS1_3gpuE8ELNS1_3repE0EEENS1_30default_config_static_selectorELNS0_4arch9wavefront6targetE1EEEvSZ_.num_named_barrier, 0
	.set _ZN7rocprim17ROCPRIM_400000_NS6detail17trampoline_kernelINS0_13select_configILj256ELj13ELNS0_17block_load_methodE3ELS4_3ELS4_3ELNS0_20block_scan_algorithmE0ELj4294967295EEENS1_25partition_config_selectorILNS1_17partition_subalgoE4EjNS0_10empty_typeEbEEZZNS1_14partition_implILS8_4ELb0ES6_15HIP_vector_typeIjLj2EENS0_17counting_iteratorIjlEEPS9_SG_NS0_5tupleIJPjSI_NS0_16reverse_iteratorISI_EEEEENSH_IJSG_SG_SG_EEES9_SI_JZNS1_25segmented_radix_sort_implINS0_14default_configELb0EPKlPlSQ_SR_N2at6native12_GLOBAL__N_18offset_tEEE10hipError_tPvRmT1_PNSt15iterator_traitsISZ_E10value_typeET2_T3_PNS10_IS15_E10value_typeET4_jRbjT5_S1B_jjP12ihipStream_tbEUljE_ZNSN_ISO_Lb0ESQ_SR_SQ_SR_SV_EESW_SX_SY_SZ_S13_S14_S15_S18_S19_jS1A_jS1B_S1B_jjS1D_bEUljE0_EEESW_SX_SY_S15_S19_S1B_T6_T7_T9_mT8_S1D_bDpT10_ENKUlT_T0_E_clISt17integral_constantIbLb0EES1R_EEDaS1M_S1N_EUlS1M_E_NS1_11comp_targetILNS1_3genE4ELNS1_11target_archE910ELNS1_3gpuE8ELNS1_3repE0EEENS1_30default_config_static_selectorELNS0_4arch9wavefront6targetE1EEEvSZ_.private_seg_size, 0
	.set _ZN7rocprim17ROCPRIM_400000_NS6detail17trampoline_kernelINS0_13select_configILj256ELj13ELNS0_17block_load_methodE3ELS4_3ELS4_3ELNS0_20block_scan_algorithmE0ELj4294967295EEENS1_25partition_config_selectorILNS1_17partition_subalgoE4EjNS0_10empty_typeEbEEZZNS1_14partition_implILS8_4ELb0ES6_15HIP_vector_typeIjLj2EENS0_17counting_iteratorIjlEEPS9_SG_NS0_5tupleIJPjSI_NS0_16reverse_iteratorISI_EEEEENSH_IJSG_SG_SG_EEES9_SI_JZNS1_25segmented_radix_sort_implINS0_14default_configELb0EPKlPlSQ_SR_N2at6native12_GLOBAL__N_18offset_tEEE10hipError_tPvRmT1_PNSt15iterator_traitsISZ_E10value_typeET2_T3_PNS10_IS15_E10value_typeET4_jRbjT5_S1B_jjP12ihipStream_tbEUljE_ZNSN_ISO_Lb0ESQ_SR_SQ_SR_SV_EESW_SX_SY_SZ_S13_S14_S15_S18_S19_jS1A_jS1B_S1B_jjS1D_bEUljE0_EEESW_SX_SY_S15_S19_S1B_T6_T7_T9_mT8_S1D_bDpT10_ENKUlT_T0_E_clISt17integral_constantIbLb0EES1R_EEDaS1M_S1N_EUlS1M_E_NS1_11comp_targetILNS1_3genE4ELNS1_11target_archE910ELNS1_3gpuE8ELNS1_3repE0EEENS1_30default_config_static_selectorELNS0_4arch9wavefront6targetE1EEEvSZ_.uses_vcc, 0
	.set _ZN7rocprim17ROCPRIM_400000_NS6detail17trampoline_kernelINS0_13select_configILj256ELj13ELNS0_17block_load_methodE3ELS4_3ELS4_3ELNS0_20block_scan_algorithmE0ELj4294967295EEENS1_25partition_config_selectorILNS1_17partition_subalgoE4EjNS0_10empty_typeEbEEZZNS1_14partition_implILS8_4ELb0ES6_15HIP_vector_typeIjLj2EENS0_17counting_iteratorIjlEEPS9_SG_NS0_5tupleIJPjSI_NS0_16reverse_iteratorISI_EEEEENSH_IJSG_SG_SG_EEES9_SI_JZNS1_25segmented_radix_sort_implINS0_14default_configELb0EPKlPlSQ_SR_N2at6native12_GLOBAL__N_18offset_tEEE10hipError_tPvRmT1_PNSt15iterator_traitsISZ_E10value_typeET2_T3_PNS10_IS15_E10value_typeET4_jRbjT5_S1B_jjP12ihipStream_tbEUljE_ZNSN_ISO_Lb0ESQ_SR_SQ_SR_SV_EESW_SX_SY_SZ_S13_S14_S15_S18_S19_jS1A_jS1B_S1B_jjS1D_bEUljE0_EEESW_SX_SY_S15_S19_S1B_T6_T7_T9_mT8_S1D_bDpT10_ENKUlT_T0_E_clISt17integral_constantIbLb0EES1R_EEDaS1M_S1N_EUlS1M_E_NS1_11comp_targetILNS1_3genE4ELNS1_11target_archE910ELNS1_3gpuE8ELNS1_3repE0EEENS1_30default_config_static_selectorELNS0_4arch9wavefront6targetE1EEEvSZ_.uses_flat_scratch, 0
	.set _ZN7rocprim17ROCPRIM_400000_NS6detail17trampoline_kernelINS0_13select_configILj256ELj13ELNS0_17block_load_methodE3ELS4_3ELS4_3ELNS0_20block_scan_algorithmE0ELj4294967295EEENS1_25partition_config_selectorILNS1_17partition_subalgoE4EjNS0_10empty_typeEbEEZZNS1_14partition_implILS8_4ELb0ES6_15HIP_vector_typeIjLj2EENS0_17counting_iteratorIjlEEPS9_SG_NS0_5tupleIJPjSI_NS0_16reverse_iteratorISI_EEEEENSH_IJSG_SG_SG_EEES9_SI_JZNS1_25segmented_radix_sort_implINS0_14default_configELb0EPKlPlSQ_SR_N2at6native12_GLOBAL__N_18offset_tEEE10hipError_tPvRmT1_PNSt15iterator_traitsISZ_E10value_typeET2_T3_PNS10_IS15_E10value_typeET4_jRbjT5_S1B_jjP12ihipStream_tbEUljE_ZNSN_ISO_Lb0ESQ_SR_SQ_SR_SV_EESW_SX_SY_SZ_S13_S14_S15_S18_S19_jS1A_jS1B_S1B_jjS1D_bEUljE0_EEESW_SX_SY_S15_S19_S1B_T6_T7_T9_mT8_S1D_bDpT10_ENKUlT_T0_E_clISt17integral_constantIbLb0EES1R_EEDaS1M_S1N_EUlS1M_E_NS1_11comp_targetILNS1_3genE4ELNS1_11target_archE910ELNS1_3gpuE8ELNS1_3repE0EEENS1_30default_config_static_selectorELNS0_4arch9wavefront6targetE1EEEvSZ_.has_dyn_sized_stack, 0
	.set _ZN7rocprim17ROCPRIM_400000_NS6detail17trampoline_kernelINS0_13select_configILj256ELj13ELNS0_17block_load_methodE3ELS4_3ELS4_3ELNS0_20block_scan_algorithmE0ELj4294967295EEENS1_25partition_config_selectorILNS1_17partition_subalgoE4EjNS0_10empty_typeEbEEZZNS1_14partition_implILS8_4ELb0ES6_15HIP_vector_typeIjLj2EENS0_17counting_iteratorIjlEEPS9_SG_NS0_5tupleIJPjSI_NS0_16reverse_iteratorISI_EEEEENSH_IJSG_SG_SG_EEES9_SI_JZNS1_25segmented_radix_sort_implINS0_14default_configELb0EPKlPlSQ_SR_N2at6native12_GLOBAL__N_18offset_tEEE10hipError_tPvRmT1_PNSt15iterator_traitsISZ_E10value_typeET2_T3_PNS10_IS15_E10value_typeET4_jRbjT5_S1B_jjP12ihipStream_tbEUljE_ZNSN_ISO_Lb0ESQ_SR_SQ_SR_SV_EESW_SX_SY_SZ_S13_S14_S15_S18_S19_jS1A_jS1B_S1B_jjS1D_bEUljE0_EEESW_SX_SY_S15_S19_S1B_T6_T7_T9_mT8_S1D_bDpT10_ENKUlT_T0_E_clISt17integral_constantIbLb0EES1R_EEDaS1M_S1N_EUlS1M_E_NS1_11comp_targetILNS1_3genE4ELNS1_11target_archE910ELNS1_3gpuE8ELNS1_3repE0EEENS1_30default_config_static_selectorELNS0_4arch9wavefront6targetE1EEEvSZ_.has_recursion, 0
	.set _ZN7rocprim17ROCPRIM_400000_NS6detail17trampoline_kernelINS0_13select_configILj256ELj13ELNS0_17block_load_methodE3ELS4_3ELS4_3ELNS0_20block_scan_algorithmE0ELj4294967295EEENS1_25partition_config_selectorILNS1_17partition_subalgoE4EjNS0_10empty_typeEbEEZZNS1_14partition_implILS8_4ELb0ES6_15HIP_vector_typeIjLj2EENS0_17counting_iteratorIjlEEPS9_SG_NS0_5tupleIJPjSI_NS0_16reverse_iteratorISI_EEEEENSH_IJSG_SG_SG_EEES9_SI_JZNS1_25segmented_radix_sort_implINS0_14default_configELb0EPKlPlSQ_SR_N2at6native12_GLOBAL__N_18offset_tEEE10hipError_tPvRmT1_PNSt15iterator_traitsISZ_E10value_typeET2_T3_PNS10_IS15_E10value_typeET4_jRbjT5_S1B_jjP12ihipStream_tbEUljE_ZNSN_ISO_Lb0ESQ_SR_SQ_SR_SV_EESW_SX_SY_SZ_S13_S14_S15_S18_S19_jS1A_jS1B_S1B_jjS1D_bEUljE0_EEESW_SX_SY_S15_S19_S1B_T6_T7_T9_mT8_S1D_bDpT10_ENKUlT_T0_E_clISt17integral_constantIbLb0EES1R_EEDaS1M_S1N_EUlS1M_E_NS1_11comp_targetILNS1_3genE4ELNS1_11target_archE910ELNS1_3gpuE8ELNS1_3repE0EEENS1_30default_config_static_selectorELNS0_4arch9wavefront6targetE1EEEvSZ_.has_indirect_call, 0
	.section	.AMDGPU.csdata,"",@progbits
; Kernel info:
; codeLenInByte = 0
; TotalNumSgprs: 4
; NumVgprs: 0
; ScratchSize: 0
; MemoryBound: 0
; FloatMode: 240
; IeeeMode: 1
; LDSByteSize: 0 bytes/workgroup (compile time only)
; SGPRBlocks: 0
; VGPRBlocks: 0
; NumSGPRsForWavesPerEU: 4
; NumVGPRsForWavesPerEU: 1
; Occupancy: 10
; WaveLimiterHint : 0
; COMPUTE_PGM_RSRC2:SCRATCH_EN: 0
; COMPUTE_PGM_RSRC2:USER_SGPR: 6
; COMPUTE_PGM_RSRC2:TRAP_HANDLER: 0
; COMPUTE_PGM_RSRC2:TGID_X_EN: 1
; COMPUTE_PGM_RSRC2:TGID_Y_EN: 0
; COMPUTE_PGM_RSRC2:TGID_Z_EN: 0
; COMPUTE_PGM_RSRC2:TIDIG_COMP_CNT: 0
	.section	.text._ZN7rocprim17ROCPRIM_400000_NS6detail17trampoline_kernelINS0_13select_configILj256ELj13ELNS0_17block_load_methodE3ELS4_3ELS4_3ELNS0_20block_scan_algorithmE0ELj4294967295EEENS1_25partition_config_selectorILNS1_17partition_subalgoE4EjNS0_10empty_typeEbEEZZNS1_14partition_implILS8_4ELb0ES6_15HIP_vector_typeIjLj2EENS0_17counting_iteratorIjlEEPS9_SG_NS0_5tupleIJPjSI_NS0_16reverse_iteratorISI_EEEEENSH_IJSG_SG_SG_EEES9_SI_JZNS1_25segmented_radix_sort_implINS0_14default_configELb0EPKlPlSQ_SR_N2at6native12_GLOBAL__N_18offset_tEEE10hipError_tPvRmT1_PNSt15iterator_traitsISZ_E10value_typeET2_T3_PNS10_IS15_E10value_typeET4_jRbjT5_S1B_jjP12ihipStream_tbEUljE_ZNSN_ISO_Lb0ESQ_SR_SQ_SR_SV_EESW_SX_SY_SZ_S13_S14_S15_S18_S19_jS1A_jS1B_S1B_jjS1D_bEUljE0_EEESW_SX_SY_S15_S19_S1B_T6_T7_T9_mT8_S1D_bDpT10_ENKUlT_T0_E_clISt17integral_constantIbLb0EES1R_EEDaS1M_S1N_EUlS1M_E_NS1_11comp_targetILNS1_3genE3ELNS1_11target_archE908ELNS1_3gpuE7ELNS1_3repE0EEENS1_30default_config_static_selectorELNS0_4arch9wavefront6targetE1EEEvSZ_,"axG",@progbits,_ZN7rocprim17ROCPRIM_400000_NS6detail17trampoline_kernelINS0_13select_configILj256ELj13ELNS0_17block_load_methodE3ELS4_3ELS4_3ELNS0_20block_scan_algorithmE0ELj4294967295EEENS1_25partition_config_selectorILNS1_17partition_subalgoE4EjNS0_10empty_typeEbEEZZNS1_14partition_implILS8_4ELb0ES6_15HIP_vector_typeIjLj2EENS0_17counting_iteratorIjlEEPS9_SG_NS0_5tupleIJPjSI_NS0_16reverse_iteratorISI_EEEEENSH_IJSG_SG_SG_EEES9_SI_JZNS1_25segmented_radix_sort_implINS0_14default_configELb0EPKlPlSQ_SR_N2at6native12_GLOBAL__N_18offset_tEEE10hipError_tPvRmT1_PNSt15iterator_traitsISZ_E10value_typeET2_T3_PNS10_IS15_E10value_typeET4_jRbjT5_S1B_jjP12ihipStream_tbEUljE_ZNSN_ISO_Lb0ESQ_SR_SQ_SR_SV_EESW_SX_SY_SZ_S13_S14_S15_S18_S19_jS1A_jS1B_S1B_jjS1D_bEUljE0_EEESW_SX_SY_S15_S19_S1B_T6_T7_T9_mT8_S1D_bDpT10_ENKUlT_T0_E_clISt17integral_constantIbLb0EES1R_EEDaS1M_S1N_EUlS1M_E_NS1_11comp_targetILNS1_3genE3ELNS1_11target_archE908ELNS1_3gpuE7ELNS1_3repE0EEENS1_30default_config_static_selectorELNS0_4arch9wavefront6targetE1EEEvSZ_,comdat
	.globl	_ZN7rocprim17ROCPRIM_400000_NS6detail17trampoline_kernelINS0_13select_configILj256ELj13ELNS0_17block_load_methodE3ELS4_3ELS4_3ELNS0_20block_scan_algorithmE0ELj4294967295EEENS1_25partition_config_selectorILNS1_17partition_subalgoE4EjNS0_10empty_typeEbEEZZNS1_14partition_implILS8_4ELb0ES6_15HIP_vector_typeIjLj2EENS0_17counting_iteratorIjlEEPS9_SG_NS0_5tupleIJPjSI_NS0_16reverse_iteratorISI_EEEEENSH_IJSG_SG_SG_EEES9_SI_JZNS1_25segmented_radix_sort_implINS0_14default_configELb0EPKlPlSQ_SR_N2at6native12_GLOBAL__N_18offset_tEEE10hipError_tPvRmT1_PNSt15iterator_traitsISZ_E10value_typeET2_T3_PNS10_IS15_E10value_typeET4_jRbjT5_S1B_jjP12ihipStream_tbEUljE_ZNSN_ISO_Lb0ESQ_SR_SQ_SR_SV_EESW_SX_SY_SZ_S13_S14_S15_S18_S19_jS1A_jS1B_S1B_jjS1D_bEUljE0_EEESW_SX_SY_S15_S19_S1B_T6_T7_T9_mT8_S1D_bDpT10_ENKUlT_T0_E_clISt17integral_constantIbLb0EES1R_EEDaS1M_S1N_EUlS1M_E_NS1_11comp_targetILNS1_3genE3ELNS1_11target_archE908ELNS1_3gpuE7ELNS1_3repE0EEENS1_30default_config_static_selectorELNS0_4arch9wavefront6targetE1EEEvSZ_ ; -- Begin function _ZN7rocprim17ROCPRIM_400000_NS6detail17trampoline_kernelINS0_13select_configILj256ELj13ELNS0_17block_load_methodE3ELS4_3ELS4_3ELNS0_20block_scan_algorithmE0ELj4294967295EEENS1_25partition_config_selectorILNS1_17partition_subalgoE4EjNS0_10empty_typeEbEEZZNS1_14partition_implILS8_4ELb0ES6_15HIP_vector_typeIjLj2EENS0_17counting_iteratorIjlEEPS9_SG_NS0_5tupleIJPjSI_NS0_16reverse_iteratorISI_EEEEENSH_IJSG_SG_SG_EEES9_SI_JZNS1_25segmented_radix_sort_implINS0_14default_configELb0EPKlPlSQ_SR_N2at6native12_GLOBAL__N_18offset_tEEE10hipError_tPvRmT1_PNSt15iterator_traitsISZ_E10value_typeET2_T3_PNS10_IS15_E10value_typeET4_jRbjT5_S1B_jjP12ihipStream_tbEUljE_ZNSN_ISO_Lb0ESQ_SR_SQ_SR_SV_EESW_SX_SY_SZ_S13_S14_S15_S18_S19_jS1A_jS1B_S1B_jjS1D_bEUljE0_EEESW_SX_SY_S15_S19_S1B_T6_T7_T9_mT8_S1D_bDpT10_ENKUlT_T0_E_clISt17integral_constantIbLb0EES1R_EEDaS1M_S1N_EUlS1M_E_NS1_11comp_targetILNS1_3genE3ELNS1_11target_archE908ELNS1_3gpuE7ELNS1_3repE0EEENS1_30default_config_static_selectorELNS0_4arch9wavefront6targetE1EEEvSZ_
	.p2align	8
	.type	_ZN7rocprim17ROCPRIM_400000_NS6detail17trampoline_kernelINS0_13select_configILj256ELj13ELNS0_17block_load_methodE3ELS4_3ELS4_3ELNS0_20block_scan_algorithmE0ELj4294967295EEENS1_25partition_config_selectorILNS1_17partition_subalgoE4EjNS0_10empty_typeEbEEZZNS1_14partition_implILS8_4ELb0ES6_15HIP_vector_typeIjLj2EENS0_17counting_iteratorIjlEEPS9_SG_NS0_5tupleIJPjSI_NS0_16reverse_iteratorISI_EEEEENSH_IJSG_SG_SG_EEES9_SI_JZNS1_25segmented_radix_sort_implINS0_14default_configELb0EPKlPlSQ_SR_N2at6native12_GLOBAL__N_18offset_tEEE10hipError_tPvRmT1_PNSt15iterator_traitsISZ_E10value_typeET2_T3_PNS10_IS15_E10value_typeET4_jRbjT5_S1B_jjP12ihipStream_tbEUljE_ZNSN_ISO_Lb0ESQ_SR_SQ_SR_SV_EESW_SX_SY_SZ_S13_S14_S15_S18_S19_jS1A_jS1B_S1B_jjS1D_bEUljE0_EEESW_SX_SY_S15_S19_S1B_T6_T7_T9_mT8_S1D_bDpT10_ENKUlT_T0_E_clISt17integral_constantIbLb0EES1R_EEDaS1M_S1N_EUlS1M_E_NS1_11comp_targetILNS1_3genE3ELNS1_11target_archE908ELNS1_3gpuE7ELNS1_3repE0EEENS1_30default_config_static_selectorELNS0_4arch9wavefront6targetE1EEEvSZ_,@function
_ZN7rocprim17ROCPRIM_400000_NS6detail17trampoline_kernelINS0_13select_configILj256ELj13ELNS0_17block_load_methodE3ELS4_3ELS4_3ELNS0_20block_scan_algorithmE0ELj4294967295EEENS1_25partition_config_selectorILNS1_17partition_subalgoE4EjNS0_10empty_typeEbEEZZNS1_14partition_implILS8_4ELb0ES6_15HIP_vector_typeIjLj2EENS0_17counting_iteratorIjlEEPS9_SG_NS0_5tupleIJPjSI_NS0_16reverse_iteratorISI_EEEEENSH_IJSG_SG_SG_EEES9_SI_JZNS1_25segmented_radix_sort_implINS0_14default_configELb0EPKlPlSQ_SR_N2at6native12_GLOBAL__N_18offset_tEEE10hipError_tPvRmT1_PNSt15iterator_traitsISZ_E10value_typeET2_T3_PNS10_IS15_E10value_typeET4_jRbjT5_S1B_jjP12ihipStream_tbEUljE_ZNSN_ISO_Lb0ESQ_SR_SQ_SR_SV_EESW_SX_SY_SZ_S13_S14_S15_S18_S19_jS1A_jS1B_S1B_jjS1D_bEUljE0_EEESW_SX_SY_S15_S19_S1B_T6_T7_T9_mT8_S1D_bDpT10_ENKUlT_T0_E_clISt17integral_constantIbLb0EES1R_EEDaS1M_S1N_EUlS1M_E_NS1_11comp_targetILNS1_3genE3ELNS1_11target_archE908ELNS1_3gpuE7ELNS1_3repE0EEENS1_30default_config_static_selectorELNS0_4arch9wavefront6targetE1EEEvSZ_: ; @_ZN7rocprim17ROCPRIM_400000_NS6detail17trampoline_kernelINS0_13select_configILj256ELj13ELNS0_17block_load_methodE3ELS4_3ELS4_3ELNS0_20block_scan_algorithmE0ELj4294967295EEENS1_25partition_config_selectorILNS1_17partition_subalgoE4EjNS0_10empty_typeEbEEZZNS1_14partition_implILS8_4ELb0ES6_15HIP_vector_typeIjLj2EENS0_17counting_iteratorIjlEEPS9_SG_NS0_5tupleIJPjSI_NS0_16reverse_iteratorISI_EEEEENSH_IJSG_SG_SG_EEES9_SI_JZNS1_25segmented_radix_sort_implINS0_14default_configELb0EPKlPlSQ_SR_N2at6native12_GLOBAL__N_18offset_tEEE10hipError_tPvRmT1_PNSt15iterator_traitsISZ_E10value_typeET2_T3_PNS10_IS15_E10value_typeET4_jRbjT5_S1B_jjP12ihipStream_tbEUljE_ZNSN_ISO_Lb0ESQ_SR_SQ_SR_SV_EESW_SX_SY_SZ_S13_S14_S15_S18_S19_jS1A_jS1B_S1B_jjS1D_bEUljE0_EEESW_SX_SY_S15_S19_S1B_T6_T7_T9_mT8_S1D_bDpT10_ENKUlT_T0_E_clISt17integral_constantIbLb0EES1R_EEDaS1M_S1N_EUlS1M_E_NS1_11comp_targetILNS1_3genE3ELNS1_11target_archE908ELNS1_3gpuE7ELNS1_3repE0EEENS1_30default_config_static_selectorELNS0_4arch9wavefront6targetE1EEEvSZ_
; %bb.0:
	.section	.rodata,"a",@progbits
	.p2align	6, 0x0
	.amdhsa_kernel _ZN7rocprim17ROCPRIM_400000_NS6detail17trampoline_kernelINS0_13select_configILj256ELj13ELNS0_17block_load_methodE3ELS4_3ELS4_3ELNS0_20block_scan_algorithmE0ELj4294967295EEENS1_25partition_config_selectorILNS1_17partition_subalgoE4EjNS0_10empty_typeEbEEZZNS1_14partition_implILS8_4ELb0ES6_15HIP_vector_typeIjLj2EENS0_17counting_iteratorIjlEEPS9_SG_NS0_5tupleIJPjSI_NS0_16reverse_iteratorISI_EEEEENSH_IJSG_SG_SG_EEES9_SI_JZNS1_25segmented_radix_sort_implINS0_14default_configELb0EPKlPlSQ_SR_N2at6native12_GLOBAL__N_18offset_tEEE10hipError_tPvRmT1_PNSt15iterator_traitsISZ_E10value_typeET2_T3_PNS10_IS15_E10value_typeET4_jRbjT5_S1B_jjP12ihipStream_tbEUljE_ZNSN_ISO_Lb0ESQ_SR_SQ_SR_SV_EESW_SX_SY_SZ_S13_S14_S15_S18_S19_jS1A_jS1B_S1B_jjS1D_bEUljE0_EEESW_SX_SY_S15_S19_S1B_T6_T7_T9_mT8_S1D_bDpT10_ENKUlT_T0_E_clISt17integral_constantIbLb0EES1R_EEDaS1M_S1N_EUlS1M_E_NS1_11comp_targetILNS1_3genE3ELNS1_11target_archE908ELNS1_3gpuE7ELNS1_3repE0EEENS1_30default_config_static_selectorELNS0_4arch9wavefront6targetE1EEEvSZ_
		.amdhsa_group_segment_fixed_size 0
		.amdhsa_private_segment_fixed_size 0
		.amdhsa_kernarg_size 176
		.amdhsa_user_sgpr_count 6
		.amdhsa_user_sgpr_private_segment_buffer 1
		.amdhsa_user_sgpr_dispatch_ptr 0
		.amdhsa_user_sgpr_queue_ptr 0
		.amdhsa_user_sgpr_kernarg_segment_ptr 1
		.amdhsa_user_sgpr_dispatch_id 0
		.amdhsa_user_sgpr_flat_scratch_init 0
		.amdhsa_user_sgpr_private_segment_size 0
		.amdhsa_uses_dynamic_stack 0
		.amdhsa_system_sgpr_private_segment_wavefront_offset 0
		.amdhsa_system_sgpr_workgroup_id_x 1
		.amdhsa_system_sgpr_workgroup_id_y 0
		.amdhsa_system_sgpr_workgroup_id_z 0
		.amdhsa_system_sgpr_workgroup_info 0
		.amdhsa_system_vgpr_workitem_id 0
		.amdhsa_next_free_vgpr 1
		.amdhsa_next_free_sgpr 0
		.amdhsa_reserve_vcc 0
		.amdhsa_reserve_flat_scratch 0
		.amdhsa_float_round_mode_32 0
		.amdhsa_float_round_mode_16_64 0
		.amdhsa_float_denorm_mode_32 3
		.amdhsa_float_denorm_mode_16_64 3
		.amdhsa_dx10_clamp 1
		.amdhsa_ieee_mode 1
		.amdhsa_fp16_overflow 0
		.amdhsa_exception_fp_ieee_invalid_op 0
		.amdhsa_exception_fp_denorm_src 0
		.amdhsa_exception_fp_ieee_div_zero 0
		.amdhsa_exception_fp_ieee_overflow 0
		.amdhsa_exception_fp_ieee_underflow 0
		.amdhsa_exception_fp_ieee_inexact 0
		.amdhsa_exception_int_div_zero 0
	.end_amdhsa_kernel
	.section	.text._ZN7rocprim17ROCPRIM_400000_NS6detail17trampoline_kernelINS0_13select_configILj256ELj13ELNS0_17block_load_methodE3ELS4_3ELS4_3ELNS0_20block_scan_algorithmE0ELj4294967295EEENS1_25partition_config_selectorILNS1_17partition_subalgoE4EjNS0_10empty_typeEbEEZZNS1_14partition_implILS8_4ELb0ES6_15HIP_vector_typeIjLj2EENS0_17counting_iteratorIjlEEPS9_SG_NS0_5tupleIJPjSI_NS0_16reverse_iteratorISI_EEEEENSH_IJSG_SG_SG_EEES9_SI_JZNS1_25segmented_radix_sort_implINS0_14default_configELb0EPKlPlSQ_SR_N2at6native12_GLOBAL__N_18offset_tEEE10hipError_tPvRmT1_PNSt15iterator_traitsISZ_E10value_typeET2_T3_PNS10_IS15_E10value_typeET4_jRbjT5_S1B_jjP12ihipStream_tbEUljE_ZNSN_ISO_Lb0ESQ_SR_SQ_SR_SV_EESW_SX_SY_SZ_S13_S14_S15_S18_S19_jS1A_jS1B_S1B_jjS1D_bEUljE0_EEESW_SX_SY_S15_S19_S1B_T6_T7_T9_mT8_S1D_bDpT10_ENKUlT_T0_E_clISt17integral_constantIbLb0EES1R_EEDaS1M_S1N_EUlS1M_E_NS1_11comp_targetILNS1_3genE3ELNS1_11target_archE908ELNS1_3gpuE7ELNS1_3repE0EEENS1_30default_config_static_selectorELNS0_4arch9wavefront6targetE1EEEvSZ_,"axG",@progbits,_ZN7rocprim17ROCPRIM_400000_NS6detail17trampoline_kernelINS0_13select_configILj256ELj13ELNS0_17block_load_methodE3ELS4_3ELS4_3ELNS0_20block_scan_algorithmE0ELj4294967295EEENS1_25partition_config_selectorILNS1_17partition_subalgoE4EjNS0_10empty_typeEbEEZZNS1_14partition_implILS8_4ELb0ES6_15HIP_vector_typeIjLj2EENS0_17counting_iteratorIjlEEPS9_SG_NS0_5tupleIJPjSI_NS0_16reverse_iteratorISI_EEEEENSH_IJSG_SG_SG_EEES9_SI_JZNS1_25segmented_radix_sort_implINS0_14default_configELb0EPKlPlSQ_SR_N2at6native12_GLOBAL__N_18offset_tEEE10hipError_tPvRmT1_PNSt15iterator_traitsISZ_E10value_typeET2_T3_PNS10_IS15_E10value_typeET4_jRbjT5_S1B_jjP12ihipStream_tbEUljE_ZNSN_ISO_Lb0ESQ_SR_SQ_SR_SV_EESW_SX_SY_SZ_S13_S14_S15_S18_S19_jS1A_jS1B_S1B_jjS1D_bEUljE0_EEESW_SX_SY_S15_S19_S1B_T6_T7_T9_mT8_S1D_bDpT10_ENKUlT_T0_E_clISt17integral_constantIbLb0EES1R_EEDaS1M_S1N_EUlS1M_E_NS1_11comp_targetILNS1_3genE3ELNS1_11target_archE908ELNS1_3gpuE7ELNS1_3repE0EEENS1_30default_config_static_selectorELNS0_4arch9wavefront6targetE1EEEvSZ_,comdat
.Lfunc_end746:
	.size	_ZN7rocprim17ROCPRIM_400000_NS6detail17trampoline_kernelINS0_13select_configILj256ELj13ELNS0_17block_load_methodE3ELS4_3ELS4_3ELNS0_20block_scan_algorithmE0ELj4294967295EEENS1_25partition_config_selectorILNS1_17partition_subalgoE4EjNS0_10empty_typeEbEEZZNS1_14partition_implILS8_4ELb0ES6_15HIP_vector_typeIjLj2EENS0_17counting_iteratorIjlEEPS9_SG_NS0_5tupleIJPjSI_NS0_16reverse_iteratorISI_EEEEENSH_IJSG_SG_SG_EEES9_SI_JZNS1_25segmented_radix_sort_implINS0_14default_configELb0EPKlPlSQ_SR_N2at6native12_GLOBAL__N_18offset_tEEE10hipError_tPvRmT1_PNSt15iterator_traitsISZ_E10value_typeET2_T3_PNS10_IS15_E10value_typeET4_jRbjT5_S1B_jjP12ihipStream_tbEUljE_ZNSN_ISO_Lb0ESQ_SR_SQ_SR_SV_EESW_SX_SY_SZ_S13_S14_S15_S18_S19_jS1A_jS1B_S1B_jjS1D_bEUljE0_EEESW_SX_SY_S15_S19_S1B_T6_T7_T9_mT8_S1D_bDpT10_ENKUlT_T0_E_clISt17integral_constantIbLb0EES1R_EEDaS1M_S1N_EUlS1M_E_NS1_11comp_targetILNS1_3genE3ELNS1_11target_archE908ELNS1_3gpuE7ELNS1_3repE0EEENS1_30default_config_static_selectorELNS0_4arch9wavefront6targetE1EEEvSZ_, .Lfunc_end746-_ZN7rocprim17ROCPRIM_400000_NS6detail17trampoline_kernelINS0_13select_configILj256ELj13ELNS0_17block_load_methodE3ELS4_3ELS4_3ELNS0_20block_scan_algorithmE0ELj4294967295EEENS1_25partition_config_selectorILNS1_17partition_subalgoE4EjNS0_10empty_typeEbEEZZNS1_14partition_implILS8_4ELb0ES6_15HIP_vector_typeIjLj2EENS0_17counting_iteratorIjlEEPS9_SG_NS0_5tupleIJPjSI_NS0_16reverse_iteratorISI_EEEEENSH_IJSG_SG_SG_EEES9_SI_JZNS1_25segmented_radix_sort_implINS0_14default_configELb0EPKlPlSQ_SR_N2at6native12_GLOBAL__N_18offset_tEEE10hipError_tPvRmT1_PNSt15iterator_traitsISZ_E10value_typeET2_T3_PNS10_IS15_E10value_typeET4_jRbjT5_S1B_jjP12ihipStream_tbEUljE_ZNSN_ISO_Lb0ESQ_SR_SQ_SR_SV_EESW_SX_SY_SZ_S13_S14_S15_S18_S19_jS1A_jS1B_S1B_jjS1D_bEUljE0_EEESW_SX_SY_S15_S19_S1B_T6_T7_T9_mT8_S1D_bDpT10_ENKUlT_T0_E_clISt17integral_constantIbLb0EES1R_EEDaS1M_S1N_EUlS1M_E_NS1_11comp_targetILNS1_3genE3ELNS1_11target_archE908ELNS1_3gpuE7ELNS1_3repE0EEENS1_30default_config_static_selectorELNS0_4arch9wavefront6targetE1EEEvSZ_
                                        ; -- End function
	.set _ZN7rocprim17ROCPRIM_400000_NS6detail17trampoline_kernelINS0_13select_configILj256ELj13ELNS0_17block_load_methodE3ELS4_3ELS4_3ELNS0_20block_scan_algorithmE0ELj4294967295EEENS1_25partition_config_selectorILNS1_17partition_subalgoE4EjNS0_10empty_typeEbEEZZNS1_14partition_implILS8_4ELb0ES6_15HIP_vector_typeIjLj2EENS0_17counting_iteratorIjlEEPS9_SG_NS0_5tupleIJPjSI_NS0_16reverse_iteratorISI_EEEEENSH_IJSG_SG_SG_EEES9_SI_JZNS1_25segmented_radix_sort_implINS0_14default_configELb0EPKlPlSQ_SR_N2at6native12_GLOBAL__N_18offset_tEEE10hipError_tPvRmT1_PNSt15iterator_traitsISZ_E10value_typeET2_T3_PNS10_IS15_E10value_typeET4_jRbjT5_S1B_jjP12ihipStream_tbEUljE_ZNSN_ISO_Lb0ESQ_SR_SQ_SR_SV_EESW_SX_SY_SZ_S13_S14_S15_S18_S19_jS1A_jS1B_S1B_jjS1D_bEUljE0_EEESW_SX_SY_S15_S19_S1B_T6_T7_T9_mT8_S1D_bDpT10_ENKUlT_T0_E_clISt17integral_constantIbLb0EES1R_EEDaS1M_S1N_EUlS1M_E_NS1_11comp_targetILNS1_3genE3ELNS1_11target_archE908ELNS1_3gpuE7ELNS1_3repE0EEENS1_30default_config_static_selectorELNS0_4arch9wavefront6targetE1EEEvSZ_.num_vgpr, 0
	.set _ZN7rocprim17ROCPRIM_400000_NS6detail17trampoline_kernelINS0_13select_configILj256ELj13ELNS0_17block_load_methodE3ELS4_3ELS4_3ELNS0_20block_scan_algorithmE0ELj4294967295EEENS1_25partition_config_selectorILNS1_17partition_subalgoE4EjNS0_10empty_typeEbEEZZNS1_14partition_implILS8_4ELb0ES6_15HIP_vector_typeIjLj2EENS0_17counting_iteratorIjlEEPS9_SG_NS0_5tupleIJPjSI_NS0_16reverse_iteratorISI_EEEEENSH_IJSG_SG_SG_EEES9_SI_JZNS1_25segmented_radix_sort_implINS0_14default_configELb0EPKlPlSQ_SR_N2at6native12_GLOBAL__N_18offset_tEEE10hipError_tPvRmT1_PNSt15iterator_traitsISZ_E10value_typeET2_T3_PNS10_IS15_E10value_typeET4_jRbjT5_S1B_jjP12ihipStream_tbEUljE_ZNSN_ISO_Lb0ESQ_SR_SQ_SR_SV_EESW_SX_SY_SZ_S13_S14_S15_S18_S19_jS1A_jS1B_S1B_jjS1D_bEUljE0_EEESW_SX_SY_S15_S19_S1B_T6_T7_T9_mT8_S1D_bDpT10_ENKUlT_T0_E_clISt17integral_constantIbLb0EES1R_EEDaS1M_S1N_EUlS1M_E_NS1_11comp_targetILNS1_3genE3ELNS1_11target_archE908ELNS1_3gpuE7ELNS1_3repE0EEENS1_30default_config_static_selectorELNS0_4arch9wavefront6targetE1EEEvSZ_.num_agpr, 0
	.set _ZN7rocprim17ROCPRIM_400000_NS6detail17trampoline_kernelINS0_13select_configILj256ELj13ELNS0_17block_load_methodE3ELS4_3ELS4_3ELNS0_20block_scan_algorithmE0ELj4294967295EEENS1_25partition_config_selectorILNS1_17partition_subalgoE4EjNS0_10empty_typeEbEEZZNS1_14partition_implILS8_4ELb0ES6_15HIP_vector_typeIjLj2EENS0_17counting_iteratorIjlEEPS9_SG_NS0_5tupleIJPjSI_NS0_16reverse_iteratorISI_EEEEENSH_IJSG_SG_SG_EEES9_SI_JZNS1_25segmented_radix_sort_implINS0_14default_configELb0EPKlPlSQ_SR_N2at6native12_GLOBAL__N_18offset_tEEE10hipError_tPvRmT1_PNSt15iterator_traitsISZ_E10value_typeET2_T3_PNS10_IS15_E10value_typeET4_jRbjT5_S1B_jjP12ihipStream_tbEUljE_ZNSN_ISO_Lb0ESQ_SR_SQ_SR_SV_EESW_SX_SY_SZ_S13_S14_S15_S18_S19_jS1A_jS1B_S1B_jjS1D_bEUljE0_EEESW_SX_SY_S15_S19_S1B_T6_T7_T9_mT8_S1D_bDpT10_ENKUlT_T0_E_clISt17integral_constantIbLb0EES1R_EEDaS1M_S1N_EUlS1M_E_NS1_11comp_targetILNS1_3genE3ELNS1_11target_archE908ELNS1_3gpuE7ELNS1_3repE0EEENS1_30default_config_static_selectorELNS0_4arch9wavefront6targetE1EEEvSZ_.numbered_sgpr, 0
	.set _ZN7rocprim17ROCPRIM_400000_NS6detail17trampoline_kernelINS0_13select_configILj256ELj13ELNS0_17block_load_methodE3ELS4_3ELS4_3ELNS0_20block_scan_algorithmE0ELj4294967295EEENS1_25partition_config_selectorILNS1_17partition_subalgoE4EjNS0_10empty_typeEbEEZZNS1_14partition_implILS8_4ELb0ES6_15HIP_vector_typeIjLj2EENS0_17counting_iteratorIjlEEPS9_SG_NS0_5tupleIJPjSI_NS0_16reverse_iteratorISI_EEEEENSH_IJSG_SG_SG_EEES9_SI_JZNS1_25segmented_radix_sort_implINS0_14default_configELb0EPKlPlSQ_SR_N2at6native12_GLOBAL__N_18offset_tEEE10hipError_tPvRmT1_PNSt15iterator_traitsISZ_E10value_typeET2_T3_PNS10_IS15_E10value_typeET4_jRbjT5_S1B_jjP12ihipStream_tbEUljE_ZNSN_ISO_Lb0ESQ_SR_SQ_SR_SV_EESW_SX_SY_SZ_S13_S14_S15_S18_S19_jS1A_jS1B_S1B_jjS1D_bEUljE0_EEESW_SX_SY_S15_S19_S1B_T6_T7_T9_mT8_S1D_bDpT10_ENKUlT_T0_E_clISt17integral_constantIbLb0EES1R_EEDaS1M_S1N_EUlS1M_E_NS1_11comp_targetILNS1_3genE3ELNS1_11target_archE908ELNS1_3gpuE7ELNS1_3repE0EEENS1_30default_config_static_selectorELNS0_4arch9wavefront6targetE1EEEvSZ_.num_named_barrier, 0
	.set _ZN7rocprim17ROCPRIM_400000_NS6detail17trampoline_kernelINS0_13select_configILj256ELj13ELNS0_17block_load_methodE3ELS4_3ELS4_3ELNS0_20block_scan_algorithmE0ELj4294967295EEENS1_25partition_config_selectorILNS1_17partition_subalgoE4EjNS0_10empty_typeEbEEZZNS1_14partition_implILS8_4ELb0ES6_15HIP_vector_typeIjLj2EENS0_17counting_iteratorIjlEEPS9_SG_NS0_5tupleIJPjSI_NS0_16reverse_iteratorISI_EEEEENSH_IJSG_SG_SG_EEES9_SI_JZNS1_25segmented_radix_sort_implINS0_14default_configELb0EPKlPlSQ_SR_N2at6native12_GLOBAL__N_18offset_tEEE10hipError_tPvRmT1_PNSt15iterator_traitsISZ_E10value_typeET2_T3_PNS10_IS15_E10value_typeET4_jRbjT5_S1B_jjP12ihipStream_tbEUljE_ZNSN_ISO_Lb0ESQ_SR_SQ_SR_SV_EESW_SX_SY_SZ_S13_S14_S15_S18_S19_jS1A_jS1B_S1B_jjS1D_bEUljE0_EEESW_SX_SY_S15_S19_S1B_T6_T7_T9_mT8_S1D_bDpT10_ENKUlT_T0_E_clISt17integral_constantIbLb0EES1R_EEDaS1M_S1N_EUlS1M_E_NS1_11comp_targetILNS1_3genE3ELNS1_11target_archE908ELNS1_3gpuE7ELNS1_3repE0EEENS1_30default_config_static_selectorELNS0_4arch9wavefront6targetE1EEEvSZ_.private_seg_size, 0
	.set _ZN7rocprim17ROCPRIM_400000_NS6detail17trampoline_kernelINS0_13select_configILj256ELj13ELNS0_17block_load_methodE3ELS4_3ELS4_3ELNS0_20block_scan_algorithmE0ELj4294967295EEENS1_25partition_config_selectorILNS1_17partition_subalgoE4EjNS0_10empty_typeEbEEZZNS1_14partition_implILS8_4ELb0ES6_15HIP_vector_typeIjLj2EENS0_17counting_iteratorIjlEEPS9_SG_NS0_5tupleIJPjSI_NS0_16reverse_iteratorISI_EEEEENSH_IJSG_SG_SG_EEES9_SI_JZNS1_25segmented_radix_sort_implINS0_14default_configELb0EPKlPlSQ_SR_N2at6native12_GLOBAL__N_18offset_tEEE10hipError_tPvRmT1_PNSt15iterator_traitsISZ_E10value_typeET2_T3_PNS10_IS15_E10value_typeET4_jRbjT5_S1B_jjP12ihipStream_tbEUljE_ZNSN_ISO_Lb0ESQ_SR_SQ_SR_SV_EESW_SX_SY_SZ_S13_S14_S15_S18_S19_jS1A_jS1B_S1B_jjS1D_bEUljE0_EEESW_SX_SY_S15_S19_S1B_T6_T7_T9_mT8_S1D_bDpT10_ENKUlT_T0_E_clISt17integral_constantIbLb0EES1R_EEDaS1M_S1N_EUlS1M_E_NS1_11comp_targetILNS1_3genE3ELNS1_11target_archE908ELNS1_3gpuE7ELNS1_3repE0EEENS1_30default_config_static_selectorELNS0_4arch9wavefront6targetE1EEEvSZ_.uses_vcc, 0
	.set _ZN7rocprim17ROCPRIM_400000_NS6detail17trampoline_kernelINS0_13select_configILj256ELj13ELNS0_17block_load_methodE3ELS4_3ELS4_3ELNS0_20block_scan_algorithmE0ELj4294967295EEENS1_25partition_config_selectorILNS1_17partition_subalgoE4EjNS0_10empty_typeEbEEZZNS1_14partition_implILS8_4ELb0ES6_15HIP_vector_typeIjLj2EENS0_17counting_iteratorIjlEEPS9_SG_NS0_5tupleIJPjSI_NS0_16reverse_iteratorISI_EEEEENSH_IJSG_SG_SG_EEES9_SI_JZNS1_25segmented_radix_sort_implINS0_14default_configELb0EPKlPlSQ_SR_N2at6native12_GLOBAL__N_18offset_tEEE10hipError_tPvRmT1_PNSt15iterator_traitsISZ_E10value_typeET2_T3_PNS10_IS15_E10value_typeET4_jRbjT5_S1B_jjP12ihipStream_tbEUljE_ZNSN_ISO_Lb0ESQ_SR_SQ_SR_SV_EESW_SX_SY_SZ_S13_S14_S15_S18_S19_jS1A_jS1B_S1B_jjS1D_bEUljE0_EEESW_SX_SY_S15_S19_S1B_T6_T7_T9_mT8_S1D_bDpT10_ENKUlT_T0_E_clISt17integral_constantIbLb0EES1R_EEDaS1M_S1N_EUlS1M_E_NS1_11comp_targetILNS1_3genE3ELNS1_11target_archE908ELNS1_3gpuE7ELNS1_3repE0EEENS1_30default_config_static_selectorELNS0_4arch9wavefront6targetE1EEEvSZ_.uses_flat_scratch, 0
	.set _ZN7rocprim17ROCPRIM_400000_NS6detail17trampoline_kernelINS0_13select_configILj256ELj13ELNS0_17block_load_methodE3ELS4_3ELS4_3ELNS0_20block_scan_algorithmE0ELj4294967295EEENS1_25partition_config_selectorILNS1_17partition_subalgoE4EjNS0_10empty_typeEbEEZZNS1_14partition_implILS8_4ELb0ES6_15HIP_vector_typeIjLj2EENS0_17counting_iteratorIjlEEPS9_SG_NS0_5tupleIJPjSI_NS0_16reverse_iteratorISI_EEEEENSH_IJSG_SG_SG_EEES9_SI_JZNS1_25segmented_radix_sort_implINS0_14default_configELb0EPKlPlSQ_SR_N2at6native12_GLOBAL__N_18offset_tEEE10hipError_tPvRmT1_PNSt15iterator_traitsISZ_E10value_typeET2_T3_PNS10_IS15_E10value_typeET4_jRbjT5_S1B_jjP12ihipStream_tbEUljE_ZNSN_ISO_Lb0ESQ_SR_SQ_SR_SV_EESW_SX_SY_SZ_S13_S14_S15_S18_S19_jS1A_jS1B_S1B_jjS1D_bEUljE0_EEESW_SX_SY_S15_S19_S1B_T6_T7_T9_mT8_S1D_bDpT10_ENKUlT_T0_E_clISt17integral_constantIbLb0EES1R_EEDaS1M_S1N_EUlS1M_E_NS1_11comp_targetILNS1_3genE3ELNS1_11target_archE908ELNS1_3gpuE7ELNS1_3repE0EEENS1_30default_config_static_selectorELNS0_4arch9wavefront6targetE1EEEvSZ_.has_dyn_sized_stack, 0
	.set _ZN7rocprim17ROCPRIM_400000_NS6detail17trampoline_kernelINS0_13select_configILj256ELj13ELNS0_17block_load_methodE3ELS4_3ELS4_3ELNS0_20block_scan_algorithmE0ELj4294967295EEENS1_25partition_config_selectorILNS1_17partition_subalgoE4EjNS0_10empty_typeEbEEZZNS1_14partition_implILS8_4ELb0ES6_15HIP_vector_typeIjLj2EENS0_17counting_iteratorIjlEEPS9_SG_NS0_5tupleIJPjSI_NS0_16reverse_iteratorISI_EEEEENSH_IJSG_SG_SG_EEES9_SI_JZNS1_25segmented_radix_sort_implINS0_14default_configELb0EPKlPlSQ_SR_N2at6native12_GLOBAL__N_18offset_tEEE10hipError_tPvRmT1_PNSt15iterator_traitsISZ_E10value_typeET2_T3_PNS10_IS15_E10value_typeET4_jRbjT5_S1B_jjP12ihipStream_tbEUljE_ZNSN_ISO_Lb0ESQ_SR_SQ_SR_SV_EESW_SX_SY_SZ_S13_S14_S15_S18_S19_jS1A_jS1B_S1B_jjS1D_bEUljE0_EEESW_SX_SY_S15_S19_S1B_T6_T7_T9_mT8_S1D_bDpT10_ENKUlT_T0_E_clISt17integral_constantIbLb0EES1R_EEDaS1M_S1N_EUlS1M_E_NS1_11comp_targetILNS1_3genE3ELNS1_11target_archE908ELNS1_3gpuE7ELNS1_3repE0EEENS1_30default_config_static_selectorELNS0_4arch9wavefront6targetE1EEEvSZ_.has_recursion, 0
	.set _ZN7rocprim17ROCPRIM_400000_NS6detail17trampoline_kernelINS0_13select_configILj256ELj13ELNS0_17block_load_methodE3ELS4_3ELS4_3ELNS0_20block_scan_algorithmE0ELj4294967295EEENS1_25partition_config_selectorILNS1_17partition_subalgoE4EjNS0_10empty_typeEbEEZZNS1_14partition_implILS8_4ELb0ES6_15HIP_vector_typeIjLj2EENS0_17counting_iteratorIjlEEPS9_SG_NS0_5tupleIJPjSI_NS0_16reverse_iteratorISI_EEEEENSH_IJSG_SG_SG_EEES9_SI_JZNS1_25segmented_radix_sort_implINS0_14default_configELb0EPKlPlSQ_SR_N2at6native12_GLOBAL__N_18offset_tEEE10hipError_tPvRmT1_PNSt15iterator_traitsISZ_E10value_typeET2_T3_PNS10_IS15_E10value_typeET4_jRbjT5_S1B_jjP12ihipStream_tbEUljE_ZNSN_ISO_Lb0ESQ_SR_SQ_SR_SV_EESW_SX_SY_SZ_S13_S14_S15_S18_S19_jS1A_jS1B_S1B_jjS1D_bEUljE0_EEESW_SX_SY_S15_S19_S1B_T6_T7_T9_mT8_S1D_bDpT10_ENKUlT_T0_E_clISt17integral_constantIbLb0EES1R_EEDaS1M_S1N_EUlS1M_E_NS1_11comp_targetILNS1_3genE3ELNS1_11target_archE908ELNS1_3gpuE7ELNS1_3repE0EEENS1_30default_config_static_selectorELNS0_4arch9wavefront6targetE1EEEvSZ_.has_indirect_call, 0
	.section	.AMDGPU.csdata,"",@progbits
; Kernel info:
; codeLenInByte = 0
; TotalNumSgprs: 4
; NumVgprs: 0
; ScratchSize: 0
; MemoryBound: 0
; FloatMode: 240
; IeeeMode: 1
; LDSByteSize: 0 bytes/workgroup (compile time only)
; SGPRBlocks: 0
; VGPRBlocks: 0
; NumSGPRsForWavesPerEU: 4
; NumVGPRsForWavesPerEU: 1
; Occupancy: 10
; WaveLimiterHint : 0
; COMPUTE_PGM_RSRC2:SCRATCH_EN: 0
; COMPUTE_PGM_RSRC2:USER_SGPR: 6
; COMPUTE_PGM_RSRC2:TRAP_HANDLER: 0
; COMPUTE_PGM_RSRC2:TGID_X_EN: 1
; COMPUTE_PGM_RSRC2:TGID_Y_EN: 0
; COMPUTE_PGM_RSRC2:TGID_Z_EN: 0
; COMPUTE_PGM_RSRC2:TIDIG_COMP_CNT: 0
	.section	.text._ZN7rocprim17ROCPRIM_400000_NS6detail17trampoline_kernelINS0_13select_configILj256ELj13ELNS0_17block_load_methodE3ELS4_3ELS4_3ELNS0_20block_scan_algorithmE0ELj4294967295EEENS1_25partition_config_selectorILNS1_17partition_subalgoE4EjNS0_10empty_typeEbEEZZNS1_14partition_implILS8_4ELb0ES6_15HIP_vector_typeIjLj2EENS0_17counting_iteratorIjlEEPS9_SG_NS0_5tupleIJPjSI_NS0_16reverse_iteratorISI_EEEEENSH_IJSG_SG_SG_EEES9_SI_JZNS1_25segmented_radix_sort_implINS0_14default_configELb0EPKlPlSQ_SR_N2at6native12_GLOBAL__N_18offset_tEEE10hipError_tPvRmT1_PNSt15iterator_traitsISZ_E10value_typeET2_T3_PNS10_IS15_E10value_typeET4_jRbjT5_S1B_jjP12ihipStream_tbEUljE_ZNSN_ISO_Lb0ESQ_SR_SQ_SR_SV_EESW_SX_SY_SZ_S13_S14_S15_S18_S19_jS1A_jS1B_S1B_jjS1D_bEUljE0_EEESW_SX_SY_S15_S19_S1B_T6_T7_T9_mT8_S1D_bDpT10_ENKUlT_T0_E_clISt17integral_constantIbLb0EES1R_EEDaS1M_S1N_EUlS1M_E_NS1_11comp_targetILNS1_3genE2ELNS1_11target_archE906ELNS1_3gpuE6ELNS1_3repE0EEENS1_30default_config_static_selectorELNS0_4arch9wavefront6targetE1EEEvSZ_,"axG",@progbits,_ZN7rocprim17ROCPRIM_400000_NS6detail17trampoline_kernelINS0_13select_configILj256ELj13ELNS0_17block_load_methodE3ELS4_3ELS4_3ELNS0_20block_scan_algorithmE0ELj4294967295EEENS1_25partition_config_selectorILNS1_17partition_subalgoE4EjNS0_10empty_typeEbEEZZNS1_14partition_implILS8_4ELb0ES6_15HIP_vector_typeIjLj2EENS0_17counting_iteratorIjlEEPS9_SG_NS0_5tupleIJPjSI_NS0_16reverse_iteratorISI_EEEEENSH_IJSG_SG_SG_EEES9_SI_JZNS1_25segmented_radix_sort_implINS0_14default_configELb0EPKlPlSQ_SR_N2at6native12_GLOBAL__N_18offset_tEEE10hipError_tPvRmT1_PNSt15iterator_traitsISZ_E10value_typeET2_T3_PNS10_IS15_E10value_typeET4_jRbjT5_S1B_jjP12ihipStream_tbEUljE_ZNSN_ISO_Lb0ESQ_SR_SQ_SR_SV_EESW_SX_SY_SZ_S13_S14_S15_S18_S19_jS1A_jS1B_S1B_jjS1D_bEUljE0_EEESW_SX_SY_S15_S19_S1B_T6_T7_T9_mT8_S1D_bDpT10_ENKUlT_T0_E_clISt17integral_constantIbLb0EES1R_EEDaS1M_S1N_EUlS1M_E_NS1_11comp_targetILNS1_3genE2ELNS1_11target_archE906ELNS1_3gpuE6ELNS1_3repE0EEENS1_30default_config_static_selectorELNS0_4arch9wavefront6targetE1EEEvSZ_,comdat
	.globl	_ZN7rocprim17ROCPRIM_400000_NS6detail17trampoline_kernelINS0_13select_configILj256ELj13ELNS0_17block_load_methodE3ELS4_3ELS4_3ELNS0_20block_scan_algorithmE0ELj4294967295EEENS1_25partition_config_selectorILNS1_17partition_subalgoE4EjNS0_10empty_typeEbEEZZNS1_14partition_implILS8_4ELb0ES6_15HIP_vector_typeIjLj2EENS0_17counting_iteratorIjlEEPS9_SG_NS0_5tupleIJPjSI_NS0_16reverse_iteratorISI_EEEEENSH_IJSG_SG_SG_EEES9_SI_JZNS1_25segmented_radix_sort_implINS0_14default_configELb0EPKlPlSQ_SR_N2at6native12_GLOBAL__N_18offset_tEEE10hipError_tPvRmT1_PNSt15iterator_traitsISZ_E10value_typeET2_T3_PNS10_IS15_E10value_typeET4_jRbjT5_S1B_jjP12ihipStream_tbEUljE_ZNSN_ISO_Lb0ESQ_SR_SQ_SR_SV_EESW_SX_SY_SZ_S13_S14_S15_S18_S19_jS1A_jS1B_S1B_jjS1D_bEUljE0_EEESW_SX_SY_S15_S19_S1B_T6_T7_T9_mT8_S1D_bDpT10_ENKUlT_T0_E_clISt17integral_constantIbLb0EES1R_EEDaS1M_S1N_EUlS1M_E_NS1_11comp_targetILNS1_3genE2ELNS1_11target_archE906ELNS1_3gpuE6ELNS1_3repE0EEENS1_30default_config_static_selectorELNS0_4arch9wavefront6targetE1EEEvSZ_ ; -- Begin function _ZN7rocprim17ROCPRIM_400000_NS6detail17trampoline_kernelINS0_13select_configILj256ELj13ELNS0_17block_load_methodE3ELS4_3ELS4_3ELNS0_20block_scan_algorithmE0ELj4294967295EEENS1_25partition_config_selectorILNS1_17partition_subalgoE4EjNS0_10empty_typeEbEEZZNS1_14partition_implILS8_4ELb0ES6_15HIP_vector_typeIjLj2EENS0_17counting_iteratorIjlEEPS9_SG_NS0_5tupleIJPjSI_NS0_16reverse_iteratorISI_EEEEENSH_IJSG_SG_SG_EEES9_SI_JZNS1_25segmented_radix_sort_implINS0_14default_configELb0EPKlPlSQ_SR_N2at6native12_GLOBAL__N_18offset_tEEE10hipError_tPvRmT1_PNSt15iterator_traitsISZ_E10value_typeET2_T3_PNS10_IS15_E10value_typeET4_jRbjT5_S1B_jjP12ihipStream_tbEUljE_ZNSN_ISO_Lb0ESQ_SR_SQ_SR_SV_EESW_SX_SY_SZ_S13_S14_S15_S18_S19_jS1A_jS1B_S1B_jjS1D_bEUljE0_EEESW_SX_SY_S15_S19_S1B_T6_T7_T9_mT8_S1D_bDpT10_ENKUlT_T0_E_clISt17integral_constantIbLb0EES1R_EEDaS1M_S1N_EUlS1M_E_NS1_11comp_targetILNS1_3genE2ELNS1_11target_archE906ELNS1_3gpuE6ELNS1_3repE0EEENS1_30default_config_static_selectorELNS0_4arch9wavefront6targetE1EEEvSZ_
	.p2align	8
	.type	_ZN7rocprim17ROCPRIM_400000_NS6detail17trampoline_kernelINS0_13select_configILj256ELj13ELNS0_17block_load_methodE3ELS4_3ELS4_3ELNS0_20block_scan_algorithmE0ELj4294967295EEENS1_25partition_config_selectorILNS1_17partition_subalgoE4EjNS0_10empty_typeEbEEZZNS1_14partition_implILS8_4ELb0ES6_15HIP_vector_typeIjLj2EENS0_17counting_iteratorIjlEEPS9_SG_NS0_5tupleIJPjSI_NS0_16reverse_iteratorISI_EEEEENSH_IJSG_SG_SG_EEES9_SI_JZNS1_25segmented_radix_sort_implINS0_14default_configELb0EPKlPlSQ_SR_N2at6native12_GLOBAL__N_18offset_tEEE10hipError_tPvRmT1_PNSt15iterator_traitsISZ_E10value_typeET2_T3_PNS10_IS15_E10value_typeET4_jRbjT5_S1B_jjP12ihipStream_tbEUljE_ZNSN_ISO_Lb0ESQ_SR_SQ_SR_SV_EESW_SX_SY_SZ_S13_S14_S15_S18_S19_jS1A_jS1B_S1B_jjS1D_bEUljE0_EEESW_SX_SY_S15_S19_S1B_T6_T7_T9_mT8_S1D_bDpT10_ENKUlT_T0_E_clISt17integral_constantIbLb0EES1R_EEDaS1M_S1N_EUlS1M_E_NS1_11comp_targetILNS1_3genE2ELNS1_11target_archE906ELNS1_3gpuE6ELNS1_3repE0EEENS1_30default_config_static_selectorELNS0_4arch9wavefront6targetE1EEEvSZ_,@function
_ZN7rocprim17ROCPRIM_400000_NS6detail17trampoline_kernelINS0_13select_configILj256ELj13ELNS0_17block_load_methodE3ELS4_3ELS4_3ELNS0_20block_scan_algorithmE0ELj4294967295EEENS1_25partition_config_selectorILNS1_17partition_subalgoE4EjNS0_10empty_typeEbEEZZNS1_14partition_implILS8_4ELb0ES6_15HIP_vector_typeIjLj2EENS0_17counting_iteratorIjlEEPS9_SG_NS0_5tupleIJPjSI_NS0_16reverse_iteratorISI_EEEEENSH_IJSG_SG_SG_EEES9_SI_JZNS1_25segmented_radix_sort_implINS0_14default_configELb0EPKlPlSQ_SR_N2at6native12_GLOBAL__N_18offset_tEEE10hipError_tPvRmT1_PNSt15iterator_traitsISZ_E10value_typeET2_T3_PNS10_IS15_E10value_typeET4_jRbjT5_S1B_jjP12ihipStream_tbEUljE_ZNSN_ISO_Lb0ESQ_SR_SQ_SR_SV_EESW_SX_SY_SZ_S13_S14_S15_S18_S19_jS1A_jS1B_S1B_jjS1D_bEUljE0_EEESW_SX_SY_S15_S19_S1B_T6_T7_T9_mT8_S1D_bDpT10_ENKUlT_T0_E_clISt17integral_constantIbLb0EES1R_EEDaS1M_S1N_EUlS1M_E_NS1_11comp_targetILNS1_3genE2ELNS1_11target_archE906ELNS1_3gpuE6ELNS1_3repE0EEENS1_30default_config_static_selectorELNS0_4arch9wavefront6targetE1EEEvSZ_: ; @_ZN7rocprim17ROCPRIM_400000_NS6detail17trampoline_kernelINS0_13select_configILj256ELj13ELNS0_17block_load_methodE3ELS4_3ELS4_3ELNS0_20block_scan_algorithmE0ELj4294967295EEENS1_25partition_config_selectorILNS1_17partition_subalgoE4EjNS0_10empty_typeEbEEZZNS1_14partition_implILS8_4ELb0ES6_15HIP_vector_typeIjLj2EENS0_17counting_iteratorIjlEEPS9_SG_NS0_5tupleIJPjSI_NS0_16reverse_iteratorISI_EEEEENSH_IJSG_SG_SG_EEES9_SI_JZNS1_25segmented_radix_sort_implINS0_14default_configELb0EPKlPlSQ_SR_N2at6native12_GLOBAL__N_18offset_tEEE10hipError_tPvRmT1_PNSt15iterator_traitsISZ_E10value_typeET2_T3_PNS10_IS15_E10value_typeET4_jRbjT5_S1B_jjP12ihipStream_tbEUljE_ZNSN_ISO_Lb0ESQ_SR_SQ_SR_SV_EESW_SX_SY_SZ_S13_S14_S15_S18_S19_jS1A_jS1B_S1B_jjS1D_bEUljE0_EEESW_SX_SY_S15_S19_S1B_T6_T7_T9_mT8_S1D_bDpT10_ENKUlT_T0_E_clISt17integral_constantIbLb0EES1R_EEDaS1M_S1N_EUlS1M_E_NS1_11comp_targetILNS1_3genE2ELNS1_11target_archE906ELNS1_3gpuE6ELNS1_3repE0EEENS1_30default_config_static_selectorELNS0_4arch9wavefront6targetE1EEEvSZ_
; %bb.0:
	s_load_dwordx2 s[0:1], s[4:5], 0x68
	s_load_dwordx4 s[44:47], s[4:5], 0x58
	s_load_dword s8, s[4:5], 0x8
	s_load_dwordx2 s[56:57], s[4:5], 0x10
	s_load_dword s7, s[4:5], 0x80
	s_load_dwordx2 s[58:59], s[4:5], 0xa8
	s_load_dwordx8 s[36:43], s[4:5], 0x88
	s_waitcnt lgkmcnt(0)
	s_load_dwordx4 s[48:51], s[46:47], 0x0
	s_mul_i32 s33, s6, 0xd00
	s_add_i32 s9, s7, -1
	s_mulk_i32 s7, 0xd00
	s_add_u32 s2, s56, s7
	s_addc_u32 s3, s57, 0
	v_mov_b32_e32 v1, s2
	v_mov_b32_e32 v2, s3
	s_cmp_eq_u32 s6, s9
	v_cmp_gt_u64_e32 vcc, s[0:1], v[1:2]
	s_cselect_b64 s[34:35], -1, 0
	s_cmp_lg_u32 s6, s9
	s_cselect_b64 s[2:3], -1, 0
	s_add_i32 s1, s8, s33
	s_or_b64 s[2:3], s[2:3], vcc
	s_add_i32 s1, s1, s56
	s_mov_b64 s[8:9], -1
	s_and_b64 vcc, exec, s[2:3]
	v_add_u32_e32 v1, s1, v0
	s_cbranch_vccz .LBB747_2
; %bb.1:
	v_add_u32_e32 v2, 0x100, v1
	v_lshlrev_b32_e32 v14, 2, v0
	v_add_u32_e32 v3, 0x200, v1
	v_add_u32_e32 v4, 0x300, v1
	;; [unrolled: 1-line block ×11, first 2 shown]
	ds_write2st64_b32 v14, v1, v2 offset1:4
	ds_write2st64_b32 v14, v3, v4 offset0:8 offset1:12
	ds_write2st64_b32 v14, v5, v6 offset0:16 offset1:20
	;; [unrolled: 1-line block ×5, first 2 shown]
	ds_write_b32 v14, v13 offset:12288
	s_waitcnt lgkmcnt(0)
	s_barrier
	s_mov_b64 s[8:9], 0
.LBB747_2:
	s_andn2_b64 vcc, exec, s[8:9]
	s_add_i32 s7, s7, s56
	s_cbranch_vccnz .LBB747_4
; %bb.3:
	v_add_u32_e32 v2, 0x100, v1
	v_lshlrev_b32_e32 v14, 2, v0
	v_add_u32_e32 v3, 0x200, v1
	v_add_u32_e32 v4, 0x300, v1
	;; [unrolled: 1-line block ×11, first 2 shown]
	ds_write2st64_b32 v14, v1, v2 offset1:4
	ds_write2st64_b32 v14, v3, v4 offset0:8 offset1:12
	ds_write2st64_b32 v14, v5, v6 offset0:16 offset1:20
	;; [unrolled: 1-line block ×5, first 2 shown]
	ds_write_b32 v14, v13 offset:12288
	s_waitcnt lgkmcnt(0)
	s_barrier
.LBB747_4:
	v_mul_u32_u24_e32 v30, 13, v0
	v_lshlrev_b32_e32 v1, 2, v30
	s_load_dwordx4 s[52:55], s[4:5], 0x28
	s_load_dwordx2 s[46:47], s[4:5], 0x38
	s_waitcnt lgkmcnt(0)
	ds_read_b32 v29, v1 offset:48
	ds_read2_b32 v[9:10], v1 offset0:10 offset1:11
	ds_read2_b32 v[11:12], v1 offset0:8 offset1:9
	;; [unrolled: 1-line block ×4, first 2 shown]
	ds_read2_b32 v[19:20], v1 offset1:1
	ds_read2_b32 v[17:18], v1 offset0:2 offset1:3
	v_cndmask_b32_e64 v1, 0, 1, s[2:3]
	s_sub_i32 s7, s0, s7
	v_cmp_ne_u32_e64 s[0:1], 1, v1
	s_andn2_b64 vcc, exec, s[2:3]
	s_waitcnt lgkmcnt(0)
	s_barrier
	s_cbranch_vccnz .LBB747_32
; %bb.5:
	v_add_u32_e32 v1, s37, v19
	v_add_u32_e32 v2, s39, v19
	v_mul_lo_u32 v1, v1, s36
	v_mul_lo_u32 v2, v2, s38
	s_mov_b64 s[62:63], 0
	s_mov_b64 s[60:61], 0
	v_sub_u32_e32 v1, v1, v2
	v_cmp_lt_u32_e32 vcc, s40, v1
	v_cmp_ge_u32_e64 s[2:3], s40, v1
	s_and_saveexec_b64 s[8:9], s[2:3]
	s_cbranch_execz .LBB747_7
; %bb.6:
	v_add_u32_e32 v1, s42, v19
	v_add_u32_e32 v2, s58, v19
	v_mul_lo_u32 v1, v1, s41
	v_mul_lo_u32 v2, v2, s43
	v_sub_u32_e32 v1, v1, v2
	v_cmp_lt_u32_e64 s[2:3], s59, v1
	s_and_b64 s[60:61], s[2:3], exec
.LBB747_7:
	s_or_b64 exec, exec, s[8:9]
	v_add_u32_e32 v1, s37, v20
	v_add_u32_e32 v2, s39, v20
	v_mul_lo_u32 v1, v1, s36
	v_mul_lo_u32 v2, v2, s38
	v_sub_u32_e32 v1, v1, v2
	v_cmp_lt_u32_e64 s[2:3], s40, v1
	v_cmp_ge_u32_e64 s[8:9], s40, v1
	s_and_saveexec_b64 s[10:11], s[8:9]
	s_cbranch_execz .LBB747_9
; %bb.8:
	v_add_u32_e32 v1, s42, v20
	v_add_u32_e32 v2, s58, v20
	v_mul_lo_u32 v1, v1, s41
	v_mul_lo_u32 v2, v2, s43
	v_sub_u32_e32 v1, v1, v2
	v_cmp_lt_u32_e64 s[8:9], s59, v1
	s_and_b64 s[62:63], s[8:9], exec
.LBB747_9:
	s_or_b64 exec, exec, s[10:11]
	v_add_u32_e32 v1, s37, v17
	v_add_u32_e32 v2, s39, v17
	v_mul_lo_u32 v1, v1, s36
	v_mul_lo_u32 v2, v2, s38
	s_mov_b64 s[66:67], 0
	s_mov_b64 s[64:65], 0
	v_sub_u32_e32 v1, v1, v2
	v_cmp_lt_u32_e64 s[28:29], s40, v1
	v_cmp_ge_u32_e64 s[8:9], s40, v1
	s_and_saveexec_b64 s[10:11], s[8:9]
	s_cbranch_execz .LBB747_11
; %bb.10:
	v_add_u32_e32 v1, s42, v17
	v_add_u32_e32 v2, s58, v17
	v_mul_lo_u32 v1, v1, s41
	v_mul_lo_u32 v2, v2, s43
	v_sub_u32_e32 v1, v1, v2
	v_cmp_lt_u32_e64 s[8:9], s59, v1
	s_and_b64 s[64:65], s[8:9], exec
.LBB747_11:
	s_or_b64 exec, exec, s[10:11]
	v_add_u32_e32 v1, s37, v18
	v_add_u32_e32 v2, s39, v18
	v_mul_lo_u32 v1, v1, s36
	v_mul_lo_u32 v2, v2, s38
	v_sub_u32_e32 v1, v1, v2
	v_cmp_lt_u32_e64 s[8:9], s40, v1
	v_cmp_ge_u32_e64 s[10:11], s40, v1
	s_and_saveexec_b64 s[12:13], s[10:11]
	s_cbranch_execz .LBB747_13
; %bb.12:
	v_add_u32_e32 v1, s42, v18
	v_add_u32_e32 v2, s58, v18
	v_mul_lo_u32 v1, v1, s41
	v_mul_lo_u32 v2, v2, s43
	v_sub_u32_e32 v1, v1, v2
	v_cmp_lt_u32_e64 s[10:11], s59, v1
	s_and_b64 s[66:67], s[10:11], exec
.LBB747_13:
	s_or_b64 exec, exec, s[12:13]
	v_add_u32_e32 v1, s37, v15
	v_add_u32_e32 v2, s39, v15
	v_mul_lo_u32 v1, v1, s36
	v_mul_lo_u32 v2, v2, s38
	s_mov_b64 s[70:71], 0
	s_mov_b64 s[68:69], 0
	v_sub_u32_e32 v1, v1, v2
	v_cmp_lt_u32_e64 s[10:11], s40, v1
	;; [unrolled: 40-line block ×6, first 2 shown]
	v_cmp_ge_u32_e64 s[30:31], s40, v1
	s_and_saveexec_b64 s[88:89], s[30:31]
	s_cbranch_execz .LBB747_31
; %bb.30:
	v_add_u32_e32 v1, s42, v29
	v_add_u32_e32 v2, s58, v29
	v_mul_lo_u32 v1, v1, s41
	v_mul_lo_u32 v2, v2, s43
	v_sub_u32_e32 v1, v1, v2
	v_cmp_lt_u32_e64 s[30:31], s59, v1
	s_and_b64 s[86:87], s[30:31], exec
.LBB747_31:
	s_or_b64 exec, exec, s[88:89]
	v_cndmask_b32_e64 v2, 0, 1, s[2:3]
	v_cndmask_b32_e64 v1, 0, 1, vcc
	v_cndmask_b32_e64 v4, 0, 1, s[8:9]
	v_lshlrev_b16_e32 v2, 8, v2
	v_cndmask_b32_e64 v3, 0, 1, s[28:29]
	v_or_b32_e32 v1, v1, v2
	v_lshlrev_b16_e32 v2, 8, v4
	v_cndmask_b32_e64 v6, 0, 1, s[12:13]
	v_cndmask_b32_e64 v8, 0, 1, s[16:17]
	v_or_b32_sdwa v2, v3, v2 dst_sel:WORD_1 dst_unused:UNUSED_PAD src0_sel:DWORD src1_sel:DWORD
	v_cndmask_b32_e64 v5, 0, 1, s[10:11]
	v_cndmask_b32_e64 v7, 0, 1, s[14:15]
	v_or_b32_sdwa v31, v1, v2 dst_sel:DWORD dst_unused:UNUSED_PAD src0_sel:WORD_0 src1_sel:DWORD
	v_lshlrev_b16_e32 v1, 8, v6
	v_lshlrev_b16_e32 v2, 8, v8
	v_cndmask_b32_e64 v22, 0, 1, s[20:21]
	v_cndmask_b32_e64 v25, 0, 1, s[24:25]
	v_or_b32_e32 v1, v5, v1
	v_or_b32_sdwa v2, v7, v2 dst_sel:WORD_1 dst_unused:UNUSED_PAD src0_sel:DWORD src1_sel:DWORD
	v_cndmask_b32_e64 v21, 0, 1, s[18:19]
	v_cndmask_b32_e64 v23, 0, 1, s[22:23]
	v_or_b32_sdwa v33, v1, v2 dst_sel:DWORD dst_unused:UNUSED_PAD src0_sel:WORD_0 src1_sel:DWORD
	v_lshlrev_b16_e32 v1, 8, v22
	v_lshlrev_b16_e32 v2, 8, v25
	v_cndmask_b32_e64 v37, 0, 1, s[64:65]
	v_cndmask_b32_e64 v42, 0, 1, s[60:61]
	v_or_b32_e32 v1, v21, v1
	;; [unrolled: 9-line block ×4, first 2 shown]
	v_or_b32_sdwa v2, v34, v2 dst_sel:WORD_1 dst_unused:UNUSED_PAD src0_sel:DWORD src1_sel:DWORD
	v_cndmask_b32_e64 v26, 0, 1, s[78:79]
	v_cndmask_b32_e64 v28, 0, 1, s[74:75]
	v_or_b32_sdwa v32, v1, v2 dst_sel:DWORD dst_unused:UNUSED_PAD src0_sel:WORD_0 src1_sel:DWORD
	v_lshlrev_b16_e32 v1, 8, v27
	v_lshlrev_b16_e32 v2, 8, v24
	v_or_b32_e32 v1, v28, v1
	v_or_b32_sdwa v2, v26, v2 dst_sel:WORD_1 dst_unused:UNUSED_PAD src0_sel:DWORD src1_sel:DWORD
	v_cndmask_b32_e64 v35, 0, 1, s[82:83]
	v_cndmask_b32_e64 v38, 0, 1, s[86:87]
	v_or_b32_sdwa v34, v1, v2 dst_sel:DWORD dst_unused:UNUSED_PAD src0_sel:WORD_0 src1_sel:DWORD
	s_load_dwordx2 s[12:13], s[4:5], 0x78
	s_add_i32 s18, s7, 0xd00
	s_and_b64 vcc, exec, s[80:81]
	s_cbranch_vccnz .LBB747_33
	s_branch .LBB747_110
.LBB747_32:
                                        ; implicit-def: $vgpr38
                                        ; implicit-def: $vgpr35
                                        ; implicit-def: $vgpr34
                                        ; implicit-def: $vgpr32
                                        ; implicit-def: $vgpr37
                                        ; implicit-def: $vgpr36
                                        ; implicit-def: $vgpr33
                                        ; implicit-def: $vgpr31
	s_load_dwordx2 s[12:13], s[4:5], 0x78
	s_add_i32 s18, s7, 0xd00
	s_cbranch_execz .LBB747_110
.LBB747_33:
	v_cmp_gt_u32_e32 vcc, s18, v30
	v_mov_b32_e32 v2, 0
	v_mov_b32_e32 v1, 0
	s_and_saveexec_b64 s[4:5], vcc
	s_cbranch_execz .LBB747_37
; %bb.34:
	v_add_u32_e32 v1, s37, v19
	v_add_u32_e32 v2, s39, v19
	v_mul_lo_u32 v1, v1, s36
	v_mul_lo_u32 v2, v2, s38
	s_mov_b64 s[10:11], 0
	v_sub_u32_e32 v1, v1, v2
	v_cmp_lt_u32_e32 vcc, s40, v1
	v_cmp_ge_u32_e64 s[2:3], s40, v1
	s_and_saveexec_b64 s[8:9], s[2:3]
	s_cbranch_execz .LBB747_36
; %bb.35:
	v_add_u32_e32 v1, s42, v19
	v_add_u32_e32 v2, s58, v19
	v_mul_lo_u32 v1, v1, s41
	v_mul_lo_u32 v2, v2, s43
	v_sub_u32_e32 v1, v1, v2
	v_cmp_lt_u32_e64 s[2:3], s59, v1
	s_and_b64 s[10:11], s[2:3], exec
.LBB747_36:
	s_or_b64 exec, exec, s[8:9]
	v_cndmask_b32_e64 v2, 0, 1, s[10:11]
	v_cndmask_b32_e64 v1, 0, 1, vcc
.LBB747_37:
	s_or_b64 exec, exec, s[4:5]
	v_lshlrev_b16_e32 v7, 8, v2
	v_add_u32_e32 v2, 1, v30
	v_cmp_le_u32_e32 vcc, s18, v2
	v_lshlrev_b16_e64 v4, 8, 0
                                        ; implicit-def: $vgpr3
                                        ; implicit-def: $vgpr5
                                        ; implicit-def: $vgpr6
                                        ; implicit-def: $vgpr2
                                        ; implicit-def: $vgpr8
	s_and_saveexec_b64 s[2:3], vcc
	s_xor_b64 s[2:3], exec, s[2:3]
; %bb.38:
	v_mov_b32_e32 v2, 8
	v_lshrrev_b32_sdwa v3, v2, v7 dst_sel:BYTE_1 dst_unused:UNUSED_PAD src0_sel:DWORD src1_sel:DWORD
	v_and_b32_e32 v8, 0xff, v1
	v_or_b32_sdwa v1, v7, v3 dst_sel:DWORD dst_unused:UNUSED_PAD src0_sel:BYTE_0 src1_sel:DWORD
	v_mov_b32_e32 v5, 0
	v_lshlrev_b16_e64 v4, 8, 0
	v_lshlrev_b16_e64 v2, 8, 0
	v_and_b32_e32 v6, 0xffff, v1
	v_lshlrev_b16_e64 v3, 8, 0
                                        ; implicit-def: $vgpr1
                                        ; implicit-def: $vgpr7
; %bb.39:
	s_andn2_saveexec_b64 s[4:5], s[2:3]
	s_cbranch_execz .LBB747_43
; %bb.40:
	v_add_u32_e32 v2, s37, v20
	v_add_u32_e32 v3, s39, v20
	v_mul_lo_u32 v2, v2, s36
	v_mul_lo_u32 v3, v3, s38
	s_mov_b64 s[8:9], 0
	v_sub_u32_e32 v2, v2, v3
	v_cmp_lt_u32_e32 vcc, s40, v2
	v_cmp_ge_u32_e64 s[2:3], s40, v2
	s_and_saveexec_b64 s[10:11], s[2:3]
	s_cbranch_execz .LBB747_42
; %bb.41:
	v_add_u32_e32 v2, s42, v20
	v_add_u32_e32 v3, s58, v20
	v_mul_lo_u32 v2, v2, s41
	v_mul_lo_u32 v3, v3, s43
	v_sub_u32_e32 v2, v2, v3
	v_cmp_lt_u32_e64 s[2:3], s59, v2
	s_and_b64 s[8:9], s[2:3], exec
.LBB747_42:
	s_or_b64 exec, exec, s[10:11]
	v_cndmask_b32_e64 v3, 0, 1, vcc
	v_lshlrev_b16_e32 v3, 8, v3
	v_or_b32_sdwa v1, v1, v3 dst_sel:DWORD dst_unused:UNUSED_PAD src0_sel:BYTE_0 src1_sel:DWORD
	v_and_b32_e32 v8, 0xffff, v1
	v_mov_b32_e32 v1, 8
	v_lshrrev_b32_sdwa v1, v1, v7 dst_sel:BYTE_1 dst_unused:UNUSED_PAD src0_sel:DWORD src1_sel:DWORD
	v_or_b32_sdwa v1, v7, v1 dst_sel:DWORD dst_unused:UNUSED_PAD src0_sel:BYTE_0 src1_sel:DWORD
	v_and_b32_e32 v1, 0xffff, v1
	v_cndmask_b32_e64 v3, 0, 1, s[8:9]
	v_mov_b32_e32 v2, 0
	v_mov_b32_e32 v5, 0
	v_lshl_or_b32 v6, v3, 16, v1
	v_lshlrev_b16_e64 v3, 8, 0
.LBB747_43:
	s_or_b64 exec, exec, s[4:5]
	v_add_u32_e32 v1, 2, v30
	v_cmp_le_u32_e32 vcc, s18, v1
	v_lshrrev_b32_e32 v21, 24, v8
                                        ; implicit-def: $vgpr1
                                        ; implicit-def: $vgpr7
	s_and_saveexec_b64 s[2:3], vcc
	s_xor_b64 s[2:3], exec, s[2:3]
	s_cbranch_execz .LBB747_45
; %bb.44:
	s_mov_b32 s4, 0x40c0100
	v_perm_b32 v7, v21, v8, s4
	v_mov_b32_e32 v8, 8
	v_lshrrev_b32_sdwa v8, v8, v7 dst_sel:BYTE_1 dst_unused:UNUSED_PAD src0_sel:DWORD src1_sel:DWORD
	v_or_b32_sdwa v8, v7, v8 dst_sel:DWORD dst_unused:UNUSED_PAD src0_sel:BYTE_0 src1_sel:DWORD
	v_and_b32_e32 v8, 0xffff, v8
	s_mov_b32 s4, 0xff000000
	v_and_or_b32 v7, v7, s4, v8
	s_mov_b32 s4, 0x3060504
	v_and_b32_e32 v1, 0xff0000, v6
	v_perm_b32 v4, v4, v4, s4
	s_mov_b32 s4, 0x3020504
	v_perm_b32 v1, v6, v1, s4
                                        ; implicit-def: $vgpr8
                                        ; implicit-def: $vgpr21
                                        ; implicit-def: $vgpr6
.LBB747_45:
	s_andn2_saveexec_b64 s[4:5], s[2:3]
	s_cbranch_execz .LBB747_49
; %bb.46:
	v_add_u32_e32 v1, s37, v17
	v_add_u32_e32 v7, s39, v17
	v_mul_lo_u32 v1, v1, s36
	v_mul_lo_u32 v7, v7, s38
	s_mov_b64 s[8:9], 0
	v_sub_u32_e32 v1, v1, v7
	v_cmp_lt_u32_e32 vcc, s40, v1
	v_cmp_ge_u32_e64 s[2:3], s40, v1
	s_and_saveexec_b64 s[10:11], s[2:3]
	s_cbranch_execz .LBB747_48
; %bb.47:
	v_add_u32_e32 v1, s42, v17
	v_add_u32_e32 v7, s58, v17
	v_mul_lo_u32 v1, v1, s41
	v_mul_lo_u32 v7, v7, s43
	v_sub_u32_e32 v1, v1, v7
	v_cmp_lt_u32_e64 s[2:3], s59, v1
	s_and_b64 s[8:9], s[2:3], exec
.LBB747_48:
	s_or_b64 exec, exec, s[10:11]
	v_mov_b32_e32 v23, 8
	v_lshrrev_b32_sdwa v7, v23, v8 dst_sel:BYTE_1 dst_unused:UNUSED_PAD src0_sel:DWORD src1_sel:DWORD
	v_cndmask_b32_e64 v1, 0, 1, vcc
	v_or_b32_sdwa v7, v8, v7 dst_sel:DWORD dst_unused:UNUSED_PAD src0_sel:BYTE_0 src1_sel:DWORD
	v_lshlrev_b16_e32 v8, 8, v21
	v_or_b32_sdwa v1, v1, v8 dst_sel:WORD_1 dst_unused:UNUSED_PAD src0_sel:DWORD src1_sel:DWORD
	v_cndmask_b32_e64 v22, 0, 1, s[8:9]
	s_movk_i32 s2, 0xff
	v_or_b32_sdwa v7, v7, v1 dst_sel:DWORD dst_unused:UNUSED_PAD src0_sel:WORD_0 src1_sel:DWORD
	v_lshrrev_b32_sdwa v1, v23, v6 dst_sel:BYTE_1 dst_unused:UNUSED_PAD src0_sel:DWORD src1_sel:DWORD
	v_or_b32_sdwa v1, v6, v1 dst_sel:DWORD dst_unused:UNUSED_PAD src0_sel:BYTE_0 src1_sel:DWORD
	v_lshlrev_b16_e32 v8, 8, v22
	v_and_b32_sdwa v6, v6, s2 dst_sel:DWORD dst_unused:UNUSED_PAD src0_sel:WORD_1 src1_sel:DWORD
	v_or_b32_sdwa v6, v6, v8 dst_sel:WORD_1 dst_unused:UNUSED_PAD src0_sel:DWORD src1_sel:DWORD
	v_or_b32_sdwa v1, v1, v6 dst_sel:DWORD dst_unused:UNUSED_PAD src0_sel:WORD_0 src1_sel:DWORD
.LBB747_49:
	s_or_b64 exec, exec, s[4:5]
	v_add_u32_e32 v6, 3, v30
	v_cmp_le_u32_e32 vcc, s18, v6
	v_lshrrev_b32_e32 v8, 24, v5
                                        ; implicit-def: $vgpr6
                                        ; implicit-def: $vgpr31
	s_and_saveexec_b64 s[2:3], vcc
	s_xor_b64 s[2:3], exec, s[2:3]
	s_cbranch_execz .LBB747_51
; %bb.50:
	v_and_b32_e32 v6, 0xff0000, v7
	s_mov_b32 s4, 0x3020504
	s_movk_i32 s5, 0xff
	v_perm_b32 v31, v7, v6, s4
	v_lshlrev_b16_e32 v6, 8, v8
	v_and_b32_sdwa v7, v5, s5 dst_sel:DWORD dst_unused:UNUSED_PAD src0_sel:WORD_1 src1_sel:DWORD
	s_mov_b32 s4, 0x3060504
	v_or_b32_sdwa v6, v7, v6 dst_sel:WORD_1 dst_unused:UNUSED_PAD src0_sel:DWORD src1_sel:DWORD
	v_mov_b32_e32 v7, 8
	v_perm_b32 v4, v4, v4, s4
	v_lshrrev_b32_sdwa v6, v7, v5 dst_sel:BYTE_1 dst_unused:UNUSED_PRESERVE src0_sel:DWORD src1_sel:DWORD
	v_perm_b32 v3, v3, v3, s4
                                        ; implicit-def: $vgpr7
                                        ; implicit-def: $vgpr8
                                        ; implicit-def: $vgpr5
.LBB747_51:
	s_andn2_saveexec_b64 s[4:5], s[2:3]
	s_cbranch_execz .LBB747_55
; %bb.52:
	v_add_u32_e32 v6, s37, v18
	v_add_u32_e32 v21, s39, v18
	v_mul_lo_u32 v6, v6, s36
	v_mul_lo_u32 v21, v21, s38
	s_mov_b64 s[8:9], 0
	v_sub_u32_e32 v6, v6, v21
	v_cmp_lt_u32_e32 vcc, s40, v6
	v_cmp_ge_u32_e64 s[2:3], s40, v6
	s_and_saveexec_b64 s[10:11], s[2:3]
	s_cbranch_execz .LBB747_54
; %bb.53:
	v_add_u32_e32 v6, s42, v18
	v_add_u32_e32 v21, s58, v18
	v_mul_lo_u32 v6, v6, s41
	v_mul_lo_u32 v21, v21, s43
	v_sub_u32_e32 v6, v6, v21
	v_cmp_lt_u32_e64 s[2:3], s59, v6
	s_and_b64 s[8:9], s[2:3], exec
.LBB747_54:
	s_or_b64 exec, exec, s[10:11]
	v_mov_b32_e32 v22, 8
	v_cndmask_b32_e64 v6, 0, 1, vcc
	s_movk_i32 s2, 0xff
	v_lshrrev_b32_sdwa v23, v22, v7 dst_sel:BYTE_1 dst_unused:UNUSED_PAD src0_sel:DWORD src1_sel:DWORD
	v_or_b32_sdwa v23, v7, v23 dst_sel:DWORD dst_unused:UNUSED_PAD src0_sel:BYTE_0 src1_sel:DWORD
	v_lshlrev_b16_e32 v6, 8, v6
	v_and_b32_sdwa v7, v7, s2 dst_sel:DWORD dst_unused:UNUSED_PAD src0_sel:WORD_1 src1_sel:DWORD
	v_or_b32_sdwa v6, v7, v6 dst_sel:WORD_1 dst_unused:UNUSED_PAD src0_sel:DWORD src1_sel:DWORD
	v_cndmask_b32_e64 v21, 0, 1, s[8:9]
	v_or_b32_sdwa v31, v23, v6 dst_sel:DWORD dst_unused:UNUSED_PAD src0_sel:WORD_0 src1_sel:DWORD
	v_lshlrev_b16_e32 v6, 8, v8
	v_and_b32_sdwa v7, v5, s2 dst_sel:DWORD dst_unused:UNUSED_PAD src0_sel:WORD_1 src1_sel:DWORD
	v_lshrrev_b32_sdwa v5, v22, v5 dst_sel:BYTE_1 dst_unused:UNUSED_PAD src0_sel:DWORD src1_sel:DWORD
	v_or_b32_sdwa v6, v7, v6 dst_sel:WORD_1 dst_unused:UNUSED_PAD src0_sel:DWORD src1_sel:DWORD
	v_or_b32_e32 v5, v21, v5
	v_or_b32_sdwa v6, v5, v6 dst_sel:DWORD dst_unused:UNUSED_PAD src0_sel:WORD_0 src1_sel:DWORD
.LBB747_55:
	s_or_b64 exec, exec, s[4:5]
	v_add_u32_e32 v5, 4, v30
	v_cmp_le_u32_e32 vcc, s18, v5
	v_lshrrev_b32_e32 v21, 24, v4
	v_lshrrev_b32_e32 v8, 24, v6
                                        ; implicit-def: $vgpr7
                                        ; implicit-def: $vgpr5
	s_and_saveexec_b64 s[2:3], vcc
	s_xor_b64 s[2:3], exec, s[2:3]
	s_cbranch_execz .LBB747_57
; %bb.56:
	s_movk_i32 s4, 0xff
	v_lshlrev_b16_e32 v5, 8, v21
	v_and_b32_sdwa v21, v4, s4 dst_sel:DWORD dst_unused:UNUSED_PAD src0_sel:WORD_1 src1_sel:DWORD
	v_mov_b32_e32 v7, 8
	v_or_b32_sdwa v5, v21, v5 dst_sel:WORD_1 dst_unused:UNUSED_PAD src0_sel:DWORD src1_sel:DWORD
	v_lshrrev_b32_sdwa v5, v7, v4 dst_sel:BYTE_1 dst_unused:UNUSED_PRESERVE src0_sel:DWORD src1_sel:DWORD
	v_lshlrev_b16_e32 v4, 8, v8
	v_and_b32_sdwa v7, v6, s4 dst_sel:DWORD dst_unused:UNUSED_PAD src0_sel:WORD_1 src1_sel:DWORD
	v_or_b32_e32 v4, v7, v4
	s_mov_b32 s4, 0x5040c00
	v_perm_b32 v7, v4, v6, s4
	s_mov_b32 s4, 0x3060504
	v_perm_b32 v3, v3, v3, s4
                                        ; implicit-def: $vgpr21
                                        ; implicit-def: $vgpr4
                                        ; implicit-def: $vgpr6
                                        ; implicit-def: $vgpr8
.LBB747_57:
	s_andn2_saveexec_b64 s[4:5], s[2:3]
	s_cbranch_execz .LBB747_61
; %bb.58:
	v_add_u32_e32 v5, s37, v15
	v_add_u32_e32 v7, s39, v15
	v_mul_lo_u32 v5, v5, s36
	v_mul_lo_u32 v7, v7, s38
	s_mov_b64 s[8:9], 0
	v_sub_u32_e32 v5, v5, v7
	v_cmp_lt_u32_e32 vcc, s40, v5
	v_cmp_ge_u32_e64 s[2:3], s40, v5
	s_and_saveexec_b64 s[10:11], s[2:3]
	s_cbranch_execz .LBB747_60
; %bb.59:
	v_add_u32_e32 v5, s42, v15
	v_add_u32_e32 v7, s58, v15
	v_mul_lo_u32 v5, v5, s41
	v_mul_lo_u32 v7, v7, s43
	v_sub_u32_e32 v5, v5, v7
	v_cmp_lt_u32_e64 s[2:3], s59, v5
	s_and_b64 s[8:9], s[2:3], exec
.LBB747_60:
	s_or_b64 exec, exec, s[10:11]
	s_movk_i32 s2, 0xff
	v_lshlrev_b16_e32 v21, 8, v21
	v_and_b32_sdwa v22, v4, s2 dst_sel:DWORD dst_unused:UNUSED_PAD src0_sel:WORD_1 src1_sel:DWORD
	v_or_b32_sdwa v21, v22, v21 dst_sel:WORD_1 dst_unused:UNUSED_PAD src0_sel:DWORD src1_sel:DWORD
	v_mov_b32_e32 v22, 8
	v_cndmask_b32_e64 v5, 0, 1, vcc
	v_lshrrev_b32_sdwa v4, v22, v4 dst_sel:BYTE_1 dst_unused:UNUSED_PAD src0_sel:DWORD src1_sel:DWORD
	v_cndmask_b32_e64 v7, 0, 1, s[8:9]
	v_or_b32_e32 v4, v5, v4
	v_or_b32_sdwa v5, v4, v21 dst_sel:DWORD dst_unused:UNUSED_PAD src0_sel:WORD_0 src1_sel:DWORD
	v_lshlrev_b16_e32 v4, 8, v7
	v_or_b32_sdwa v4, v6, v4 dst_sel:DWORD dst_unused:UNUSED_PAD src0_sel:BYTE_0 src1_sel:DWORD
	v_lshlrev_b16_e32 v7, 8, v8
	v_and_b32_sdwa v6, v6, s2 dst_sel:DWORD dst_unused:UNUSED_PAD src0_sel:WORD_1 src1_sel:DWORD
	v_or_b32_sdwa v6, v6, v7 dst_sel:WORD_1 dst_unused:UNUSED_PAD src0_sel:DWORD src1_sel:DWORD
	v_or_b32_sdwa v7, v4, v6 dst_sel:DWORD dst_unused:UNUSED_PAD src0_sel:WORD_0 src1_sel:DWORD
.LBB747_61:
	s_or_b64 exec, exec, s[4:5]
	v_add_u32_e32 v4, 5, v30
	v_cmp_le_u32_e32 vcc, s18, v4
	v_lshrrev_b32_e32 v8, 24, v7
	v_lshrrev_b32_e32 v21, 24, v5
                                        ; implicit-def: $vgpr4
                                        ; implicit-def: $vgpr6
	s_and_saveexec_b64 s[2:3], vcc
	s_xor_b64 s[2:3], exec, s[2:3]
	s_cbranch_execz .LBB747_63
; %bb.62:
	s_mov_b32 s4, 0x40c0100
	v_perm_b32 v4, v8, v7, s4
	s_movk_i32 s4, 0xff
	v_lshlrev_b16_e32 v6, 8, v21
	v_and_b32_sdwa v7, v5, s4 dst_sel:DWORD dst_unused:UNUSED_PAD src0_sel:WORD_1 src1_sel:DWORD
	v_or_b32_e32 v6, v7, v6
	s_mov_b32 s4, 0x5040c00
	v_perm_b32 v6, v6, v5, s4
	v_mov_b32_e32 v5, 8
	v_lshrrev_b32_sdwa v5, v5, v4 dst_sel:BYTE_1 dst_unused:UNUSED_PAD src0_sel:DWORD src1_sel:DWORD
	v_or_b32_sdwa v5, v4, v5 dst_sel:DWORD dst_unused:UNUSED_PAD src0_sel:BYTE_0 src1_sel:DWORD
	v_and_b32_e32 v5, 0xffff, v5
	s_mov_b32 s4, 0xff000000
	v_and_or_b32 v4, v4, s4, v5
	s_mov_b32 s4, 0x3060504
	v_perm_b32 v3, v3, v3, s4
                                        ; implicit-def: $vgpr5
                                        ; implicit-def: $vgpr21
                                        ; implicit-def: $vgpr7
                                        ; implicit-def: $vgpr8
.LBB747_63:
	s_andn2_saveexec_b64 s[4:5], s[2:3]
	s_cbranch_execz .LBB747_67
; %bb.64:
	v_add_u32_e32 v4, s37, v16
	v_add_u32_e32 v6, s39, v16
	v_mul_lo_u32 v4, v4, s36
	v_mul_lo_u32 v6, v6, s38
	s_mov_b64 s[8:9], 0
	v_sub_u32_e32 v4, v4, v6
	v_cmp_lt_u32_e32 vcc, s40, v4
	v_cmp_ge_u32_e64 s[2:3], s40, v4
	s_and_saveexec_b64 s[10:11], s[2:3]
	s_cbranch_execz .LBB747_66
; %bb.65:
	v_add_u32_e32 v4, s42, v16
	v_add_u32_e32 v6, s58, v16
	v_mul_lo_u32 v4, v4, s41
	v_mul_lo_u32 v6, v6, s43
	v_sub_u32_e32 v4, v4, v6
	v_cmp_lt_u32_e64 s[2:3], s59, v4
	s_and_b64 s[8:9], s[2:3], exec
.LBB747_66:
	s_or_b64 exec, exec, s[10:11]
	v_cndmask_b32_e64 v4, 0, 1, vcc
	v_lshlrev_b16_e32 v4, 8, v4
	s_movk_i32 s2, 0xff
	v_or_b32_sdwa v4, v5, v4 dst_sel:DWORD dst_unused:UNUSED_PAD src0_sel:BYTE_0 src1_sel:DWORD
	v_lshlrev_b16_e32 v6, 8, v21
	v_and_b32_sdwa v5, v5, s2 dst_sel:DWORD dst_unused:UNUSED_PAD src0_sel:WORD_1 src1_sel:DWORD
	v_or_b32_sdwa v5, v5, v6 dst_sel:WORD_1 dst_unused:UNUSED_PAD src0_sel:DWORD src1_sel:DWORD
	v_or_b32_sdwa v6, v4, v5 dst_sel:DWORD dst_unused:UNUSED_PAD src0_sel:WORD_0 src1_sel:DWORD
	v_mov_b32_e32 v4, 8
	v_cndmask_b32_e64 v22, 0, 1, s[8:9]
	v_lshrrev_b32_sdwa v4, v4, v7 dst_sel:BYTE_1 dst_unused:UNUSED_PAD src0_sel:DWORD src1_sel:DWORD
	v_lshlrev_b16_e32 v5, 8, v8
	v_or_b32_sdwa v4, v7, v4 dst_sel:DWORD dst_unused:UNUSED_PAD src0_sel:BYTE_0 src1_sel:DWORD
	v_or_b32_sdwa v5, v22, v5 dst_sel:WORD_1 dst_unused:UNUSED_PAD src0_sel:DWORD src1_sel:DWORD
	v_or_b32_sdwa v4, v4, v5 dst_sel:DWORD dst_unused:UNUSED_PAD src0_sel:WORD_0 src1_sel:DWORD
.LBB747_67:
	s_or_b64 exec, exec, s[4:5]
	v_add_u32_e32 v5, 6, v30
	v_cmp_le_u32_e32 vcc, s18, v5
	v_lshrrev_b32_e32 v7, 24, v6
                                        ; implicit-def: $vgpr32
                                        ; implicit-def: $vgpr5
	s_and_saveexec_b64 s[2:3], vcc
	s_xor_b64 s[2:3], exec, s[2:3]
	s_cbranch_execz .LBB747_69
; %bb.68:
	s_mov_b32 s4, 0x40c0100
	v_perm_b32 v5, v7, v6, s4
	v_mov_b32_e32 v6, 8
	v_lshrrev_b32_sdwa v6, v6, v5 dst_sel:BYTE_1 dst_unused:UNUSED_PAD src0_sel:DWORD src1_sel:DWORD
	v_or_b32_sdwa v6, v5, v6 dst_sel:DWORD dst_unused:UNUSED_PAD src0_sel:BYTE_0 src1_sel:DWORD
	v_and_b32_e32 v6, 0xffff, v6
	s_mov_b32 s4, 0xff000000
	v_and_b32_e32 v8, 0xff0000, v4
	v_and_or_b32 v5, v5, s4, v6
	s_mov_b32 s4, 0x3020504
	v_perm_b32 v32, v4, v8, s4
	s_mov_b32 s4, 0x3060504
	v_perm_b32 v3, v3, v3, s4
                                        ; implicit-def: $vgpr6
                                        ; implicit-def: $vgpr7
                                        ; implicit-def: $vgpr4
.LBB747_69:
	s_andn2_saveexec_b64 s[4:5], s[2:3]
	s_cbranch_execz .LBB747_73
; %bb.70:
	v_add_u32_e32 v5, s37, v13
	v_add_u32_e32 v8, s39, v13
	v_mul_lo_u32 v5, v5, s36
	v_mul_lo_u32 v8, v8, s38
	s_mov_b64 s[8:9], 0
	v_sub_u32_e32 v5, v5, v8
	v_cmp_lt_u32_e32 vcc, s40, v5
	v_cmp_ge_u32_e64 s[2:3], s40, v5
	s_and_saveexec_b64 s[10:11], s[2:3]
	s_cbranch_execz .LBB747_72
; %bb.71:
	v_add_u32_e32 v5, s42, v13
	v_add_u32_e32 v8, s58, v13
	v_mul_lo_u32 v5, v5, s41
	v_mul_lo_u32 v8, v8, s43
	v_sub_u32_e32 v5, v5, v8
	v_cmp_lt_u32_e64 s[2:3], s59, v5
	s_and_b64 s[8:9], s[2:3], exec
.LBB747_72:
	s_or_b64 exec, exec, s[10:11]
	v_mov_b32_e32 v21, 8
	v_cndmask_b32_e64 v5, 0, 1, vcc
	v_lshrrev_b32_sdwa v22, v21, v6 dst_sel:BYTE_1 dst_unused:UNUSED_PAD src0_sel:DWORD src1_sel:DWORD
	v_lshlrev_b16_e32 v7, 8, v7
	v_or_b32_sdwa v6, v6, v22 dst_sel:DWORD dst_unused:UNUSED_PAD src0_sel:BYTE_0 src1_sel:DWORD
	v_or_b32_sdwa v5, v5, v7 dst_sel:WORD_1 dst_unused:UNUSED_PAD src0_sel:DWORD src1_sel:DWORD
	v_cndmask_b32_e64 v8, 0, 1, s[8:9]
	s_movk_i32 s2, 0xff
	v_or_b32_sdwa v5, v6, v5 dst_sel:DWORD dst_unused:UNUSED_PAD src0_sel:WORD_0 src1_sel:DWORD
	v_lshrrev_b32_sdwa v6, v21, v4 dst_sel:BYTE_1 dst_unused:UNUSED_PAD src0_sel:DWORD src1_sel:DWORD
	v_or_b32_sdwa v6, v4, v6 dst_sel:DWORD dst_unused:UNUSED_PAD src0_sel:BYTE_0 src1_sel:DWORD
	v_lshlrev_b16_e32 v7, 8, v8
	v_and_b32_sdwa v4, v4, s2 dst_sel:DWORD dst_unused:UNUSED_PAD src0_sel:WORD_1 src1_sel:DWORD
	v_or_b32_sdwa v4, v4, v7 dst_sel:WORD_1 dst_unused:UNUSED_PAD src0_sel:DWORD src1_sel:DWORD
	v_or_b32_sdwa v32, v6, v4 dst_sel:DWORD dst_unused:UNUSED_PAD src0_sel:WORD_0 src1_sel:DWORD
.LBB747_73:
	s_or_b64 exec, exec, s[4:5]
	v_add_u32_e32 v4, 7, v30
	v_cmp_le_u32_e32 vcc, s18, v4
	v_lshrrev_b32_e32 v6, 24, v3
                                        ; implicit-def: $vgpr4
                                        ; implicit-def: $vgpr33
	s_and_saveexec_b64 s[2:3], vcc
	s_xor_b64 s[2:3], exec, s[2:3]
; %bb.74:
	v_and_b32_e32 v4, 0xff0000, v5
	s_mov_b32 s4, 0x3020504
	v_perm_b32 v33, v5, v4, s4
	s_movk_i32 s4, 0xff
	v_lshlrev_b16_e32 v4, 8, v6
	v_and_b32_sdwa v5, v3, s4 dst_sel:DWORD dst_unused:UNUSED_PAD src0_sel:WORD_1 src1_sel:DWORD
	v_mov_b32_e32 v7, 8
	v_or_b32_sdwa v4, v5, v4 dst_sel:WORD_1 dst_unused:UNUSED_PAD src0_sel:DWORD src1_sel:DWORD
	v_lshrrev_b32_sdwa v4, v7, v3 dst_sel:BYTE_1 dst_unused:UNUSED_PRESERVE src0_sel:DWORD src1_sel:DWORD
                                        ; implicit-def: $vgpr5
                                        ; implicit-def: $vgpr6
                                        ; implicit-def: $vgpr3
; %bb.75:
	s_andn2_saveexec_b64 s[4:5], s[2:3]
	s_cbranch_execz .LBB747_79
; %bb.76:
	v_add_u32_e32 v4, s37, v14
	v_add_u32_e32 v7, s39, v14
	v_mul_lo_u32 v4, v4, s36
	v_mul_lo_u32 v7, v7, s38
	s_mov_b64 s[8:9], 0
	v_sub_u32_e32 v4, v4, v7
	v_cmp_lt_u32_e32 vcc, s40, v4
	v_cmp_ge_u32_e64 s[2:3], s40, v4
	s_and_saveexec_b64 s[10:11], s[2:3]
	s_cbranch_execz .LBB747_78
; %bb.77:
	v_add_u32_e32 v4, s42, v14
	v_add_u32_e32 v7, s58, v14
	v_mul_lo_u32 v4, v4, s41
	v_mul_lo_u32 v7, v7, s43
	v_sub_u32_e32 v4, v4, v7
	v_cmp_lt_u32_e64 s[2:3], s59, v4
	s_and_b64 s[8:9], s[2:3], exec
.LBB747_78:
	s_or_b64 exec, exec, s[10:11]
	v_mov_b32_e32 v8, 8
	v_cndmask_b32_e64 v4, 0, 1, vcc
	s_movk_i32 s2, 0xff
	v_lshrrev_b32_sdwa v21, v8, v5 dst_sel:BYTE_1 dst_unused:UNUSED_PAD src0_sel:DWORD src1_sel:DWORD
	v_or_b32_sdwa v21, v5, v21 dst_sel:DWORD dst_unused:UNUSED_PAD src0_sel:BYTE_0 src1_sel:DWORD
	v_lshlrev_b16_e32 v4, 8, v4
	v_and_b32_sdwa v5, v5, s2 dst_sel:DWORD dst_unused:UNUSED_PAD src0_sel:WORD_1 src1_sel:DWORD
	v_or_b32_sdwa v4, v5, v4 dst_sel:WORD_1 dst_unused:UNUSED_PAD src0_sel:DWORD src1_sel:DWORD
	v_cndmask_b32_e64 v7, 0, 1, s[8:9]
	v_or_b32_sdwa v33, v21, v4 dst_sel:DWORD dst_unused:UNUSED_PAD src0_sel:WORD_0 src1_sel:DWORD
	v_lshlrev_b16_e32 v4, 8, v6
	v_and_b32_sdwa v5, v3, s2 dst_sel:DWORD dst_unused:UNUSED_PAD src0_sel:WORD_1 src1_sel:DWORD
	v_lshrrev_b32_sdwa v3, v8, v3 dst_sel:BYTE_1 dst_unused:UNUSED_PAD src0_sel:DWORD src1_sel:DWORD
	v_or_b32_sdwa v4, v5, v4 dst_sel:WORD_1 dst_unused:UNUSED_PAD src0_sel:DWORD src1_sel:DWORD
	v_or_b32_e32 v3, v7, v3
	v_or_b32_sdwa v4, v3, v4 dst_sel:DWORD dst_unused:UNUSED_PAD src0_sel:WORD_0 src1_sel:DWORD
.LBB747_79:
	s_or_b64 exec, exec, s[4:5]
	v_add_u32_e32 v3, 8, v30
	v_cmp_le_u32_e32 vcc, s18, v3
	v_lshrrev_b32_e32 v6, 24, v4
	v_lshrrev_b32_e32 v7, 24, v2
                                        ; implicit-def: $vgpr5
                                        ; implicit-def: $vgpr3
	s_and_saveexec_b64 s[2:3], vcc
	s_xor_b64 s[2:3], exec, s[2:3]
	s_cbranch_execz .LBB747_81
; %bb.80:
	s_movk_i32 s4, 0xff
	v_lshlrev_b16_e32 v3, 8, v7
	v_and_b32_sdwa v5, v2, s4 dst_sel:DWORD dst_unused:UNUSED_PAD src0_sel:WORD_1 src1_sel:DWORD
	v_or_b32_sdwa v3, v5, v3 dst_sel:WORD_1 dst_unused:UNUSED_PAD src0_sel:DWORD src1_sel:DWORD
	v_mov_b32_e32 v5, 8
	v_lshrrev_b32_sdwa v3, v5, v2 dst_sel:BYTE_1 dst_unused:UNUSED_PRESERVE src0_sel:DWORD src1_sel:DWORD
	v_lshlrev_b16_e32 v2, 8, v6
	v_and_b32_sdwa v5, v4, s4 dst_sel:DWORD dst_unused:UNUSED_PAD src0_sel:WORD_1 src1_sel:DWORD
	s_mov_b32 s5, 0x3060504
	v_or_b32_e32 v2, v5, v2
	s_mov_b32 s4, 0x5040c00
	v_perm_b32 v1, v1, v1, s5
	v_perm_b32 v5, v2, v4, s4
                                        ; implicit-def: $vgpr7
                                        ; implicit-def: $vgpr2
                                        ; implicit-def: $vgpr4
                                        ; implicit-def: $vgpr6
.LBB747_81:
	s_andn2_saveexec_b64 s[4:5], s[2:3]
	s_cbranch_execz .LBB747_85
; %bb.82:
	v_add_u32_e32 v3, s37, v11
	v_add_u32_e32 v5, s39, v11
	v_mul_lo_u32 v3, v3, s36
	v_mul_lo_u32 v5, v5, s38
	s_mov_b64 s[8:9], 0
	v_sub_u32_e32 v3, v3, v5
	v_cmp_lt_u32_e32 vcc, s40, v3
	v_cmp_ge_u32_e64 s[2:3], s40, v3
	s_and_saveexec_b64 s[10:11], s[2:3]
	s_cbranch_execz .LBB747_84
; %bb.83:
	v_add_u32_e32 v3, s42, v11
	v_add_u32_e32 v5, s58, v11
	v_mul_lo_u32 v3, v3, s41
	v_mul_lo_u32 v5, v5, s43
	v_sub_u32_e32 v3, v3, v5
	v_cmp_lt_u32_e64 s[2:3], s59, v3
	s_and_b64 s[8:9], s[2:3], exec
.LBB747_84:
	s_or_b64 exec, exec, s[10:11]
	s_movk_i32 s2, 0xff
	v_lshlrev_b16_e32 v7, 8, v7
	v_and_b32_sdwa v8, v2, s2 dst_sel:DWORD dst_unused:UNUSED_PAD src0_sel:WORD_1 src1_sel:DWORD
	v_or_b32_sdwa v7, v8, v7 dst_sel:WORD_1 dst_unused:UNUSED_PAD src0_sel:DWORD src1_sel:DWORD
	v_mov_b32_e32 v8, 8
	v_cndmask_b32_e64 v3, 0, 1, vcc
	v_lshrrev_b32_sdwa v2, v8, v2 dst_sel:BYTE_1 dst_unused:UNUSED_PAD src0_sel:DWORD src1_sel:DWORD
	v_cndmask_b32_e64 v5, 0, 1, s[8:9]
	v_or_b32_e32 v2, v3, v2
	v_or_b32_sdwa v3, v2, v7 dst_sel:DWORD dst_unused:UNUSED_PAD src0_sel:WORD_0 src1_sel:DWORD
	v_lshlrev_b16_e32 v2, 8, v5
	v_or_b32_sdwa v2, v4, v2 dst_sel:DWORD dst_unused:UNUSED_PAD src0_sel:BYTE_0 src1_sel:DWORD
	v_lshlrev_b16_e32 v5, 8, v6
	v_and_b32_sdwa v4, v4, s2 dst_sel:DWORD dst_unused:UNUSED_PAD src0_sel:WORD_1 src1_sel:DWORD
	v_or_b32_sdwa v4, v4, v5 dst_sel:WORD_1 dst_unused:UNUSED_PAD src0_sel:DWORD src1_sel:DWORD
	v_or_b32_sdwa v5, v2, v4 dst_sel:DWORD dst_unused:UNUSED_PAD src0_sel:WORD_0 src1_sel:DWORD
.LBB747_85:
	s_or_b64 exec, exec, s[4:5]
	v_add_u32_e32 v2, 9, v30
	v_cmp_le_u32_e32 vcc, s18, v2
	v_lshrrev_b32_e32 v6, 24, v5
	v_lshrrev_b32_e32 v7, 24, v3
                                        ; implicit-def: $vgpr2
                                        ; implicit-def: $vgpr4
	s_and_saveexec_b64 s[2:3], vcc
	s_xor_b64 s[2:3], exec, s[2:3]
	s_cbranch_execz .LBB747_87
; %bb.86:
	s_mov_b32 s4, 0x40c0100
	v_perm_b32 v2, v6, v5, s4
	v_mov_b32_e32 v4, 8
	s_movk_i32 s4, 0xff
	v_lshrrev_b32_sdwa v5, v4, v2 dst_sel:BYTE_1 dst_unused:UNUSED_PAD src0_sel:DWORD src1_sel:DWORD
	v_lshlrev_b16_e32 v4, 8, v7
	v_and_b32_sdwa v6, v3, s4 dst_sel:DWORD dst_unused:UNUSED_PAD src0_sel:WORD_1 src1_sel:DWORD
	v_or_b32_e32 v4, v6, v4
	s_mov_b32 s4, 0x5040c00
	v_perm_b32 v4, v4, v3, s4
	s_mov_b32 s4, 0x3060504
	v_or_b32_sdwa v3, v2, v5 dst_sel:DWORD dst_unused:UNUSED_PAD src0_sel:BYTE_0 src1_sel:DWORD
	v_perm_b32 v1, v1, v1, s4
	v_and_b32_e32 v3, 0xffff, v3
	s_mov_b32 s4, 0xff000000
	v_and_or_b32 v2, v2, s4, v3
                                        ; implicit-def: $vgpr3
                                        ; implicit-def: $vgpr7
                                        ; implicit-def: $vgpr5
                                        ; implicit-def: $vgpr6
.LBB747_87:
	s_andn2_saveexec_b64 s[4:5], s[2:3]
	s_cbranch_execz .LBB747_91
; %bb.88:
	v_add_u32_e32 v2, s37, v12
	v_add_u32_e32 v4, s39, v12
	v_mul_lo_u32 v2, v2, s36
	v_mul_lo_u32 v4, v4, s38
	s_mov_b64 s[8:9], 0
	v_sub_u32_e32 v2, v2, v4
	v_cmp_lt_u32_e32 vcc, s40, v2
	v_cmp_ge_u32_e64 s[2:3], s40, v2
	s_and_saveexec_b64 s[10:11], s[2:3]
	s_cbranch_execz .LBB747_90
; %bb.89:
	v_add_u32_e32 v2, s42, v12
	v_add_u32_e32 v4, s58, v12
	v_mul_lo_u32 v2, v2, s41
	v_mul_lo_u32 v4, v4, s43
	v_sub_u32_e32 v2, v2, v4
	v_cmp_lt_u32_e64 s[2:3], s59, v2
	s_and_b64 s[8:9], s[2:3], exec
.LBB747_90:
	s_or_b64 exec, exec, s[10:11]
	v_cndmask_b32_e64 v2, 0, 1, vcc
	v_lshlrev_b16_e32 v2, 8, v2
	s_movk_i32 s2, 0xff
	v_or_b32_sdwa v2, v3, v2 dst_sel:DWORD dst_unused:UNUSED_PAD src0_sel:BYTE_0 src1_sel:DWORD
	v_lshlrev_b16_e32 v4, 8, v7
	v_and_b32_sdwa v3, v3, s2 dst_sel:DWORD dst_unused:UNUSED_PAD src0_sel:WORD_1 src1_sel:DWORD
	v_or_b32_sdwa v3, v3, v4 dst_sel:WORD_1 dst_unused:UNUSED_PAD src0_sel:DWORD src1_sel:DWORD
	v_or_b32_sdwa v4, v2, v3 dst_sel:DWORD dst_unused:UNUSED_PAD src0_sel:WORD_0 src1_sel:DWORD
	v_mov_b32_e32 v2, 8
	v_cndmask_b32_e64 v8, 0, 1, s[8:9]
	v_lshrrev_b32_sdwa v2, v2, v5 dst_sel:BYTE_1 dst_unused:UNUSED_PAD src0_sel:DWORD src1_sel:DWORD
	v_lshlrev_b16_e32 v3, 8, v6
	v_or_b32_sdwa v2, v5, v2 dst_sel:DWORD dst_unused:UNUSED_PAD src0_sel:BYTE_0 src1_sel:DWORD
	v_or_b32_sdwa v3, v8, v3 dst_sel:WORD_1 dst_unused:UNUSED_PAD src0_sel:DWORD src1_sel:DWORD
	v_or_b32_sdwa v2, v2, v3 dst_sel:DWORD dst_unused:UNUSED_PAD src0_sel:WORD_0 src1_sel:DWORD
.LBB747_91:
	s_or_b64 exec, exec, s[4:5]
	v_add_u32_e32 v3, 10, v30
	v_cmp_le_u32_e32 vcc, s18, v3
	v_lshrrev_b32_e32 v5, 24, v4
                                        ; implicit-def: $vgpr34
                                        ; implicit-def: $vgpr3
	s_and_saveexec_b64 s[2:3], vcc
	s_xor_b64 s[2:3], exec, s[2:3]
	s_cbranch_execz .LBB747_93
; %bb.92:
	s_mov_b32 s4, 0x40c0100
	v_perm_b32 v3, v5, v4, s4
	v_mov_b32_e32 v4, 8
	v_lshrrev_b32_sdwa v4, v4, v3 dst_sel:BYTE_1 dst_unused:UNUSED_PAD src0_sel:DWORD src1_sel:DWORD
	v_or_b32_sdwa v4, v3, v4 dst_sel:DWORD dst_unused:UNUSED_PAD src0_sel:BYTE_0 src1_sel:DWORD
	v_and_b32_e32 v4, 0xffff, v4
	s_mov_b32 s4, 0xff000000
	v_and_or_b32 v3, v3, s4, v4
	s_mov_b32 s4, 0x3060504
	v_and_b32_e32 v6, 0xff0000, v2
	v_perm_b32 v1, v1, v1, s4
	s_mov_b32 s4, 0x3020504
	v_perm_b32 v34, v2, v6, s4
                                        ; implicit-def: $vgpr4
                                        ; implicit-def: $vgpr5
                                        ; implicit-def: $vgpr2
.LBB747_93:
	s_andn2_saveexec_b64 s[4:5], s[2:3]
	s_cbranch_execz .LBB747_97
; %bb.94:
	v_add_u32_e32 v3, s37, v9
	v_add_u32_e32 v6, s39, v9
	v_mul_lo_u32 v3, v3, s36
	v_mul_lo_u32 v6, v6, s38
	s_mov_b64 s[8:9], 0
	v_sub_u32_e32 v3, v3, v6
	v_cmp_lt_u32_e32 vcc, s40, v3
	v_cmp_ge_u32_e64 s[2:3], s40, v3
	s_and_saveexec_b64 s[10:11], s[2:3]
	s_cbranch_execz .LBB747_96
; %bb.95:
	v_add_u32_e32 v3, s42, v9
	v_add_u32_e32 v6, s58, v9
	v_mul_lo_u32 v3, v3, s41
	v_mul_lo_u32 v6, v6, s43
	v_sub_u32_e32 v3, v3, v6
	v_cmp_lt_u32_e64 s[2:3], s59, v3
	s_and_b64 s[8:9], s[2:3], exec
.LBB747_96:
	s_or_b64 exec, exec, s[10:11]
	v_mov_b32_e32 v7, 8
	v_cndmask_b32_e64 v3, 0, 1, vcc
	v_lshrrev_b32_sdwa v8, v7, v4 dst_sel:BYTE_1 dst_unused:UNUSED_PAD src0_sel:DWORD src1_sel:DWORD
	v_lshlrev_b16_e32 v5, 8, v5
	v_or_b32_sdwa v4, v4, v8 dst_sel:DWORD dst_unused:UNUSED_PAD src0_sel:BYTE_0 src1_sel:DWORD
	v_or_b32_sdwa v3, v3, v5 dst_sel:WORD_1 dst_unused:UNUSED_PAD src0_sel:DWORD src1_sel:DWORD
	v_cndmask_b32_e64 v6, 0, 1, s[8:9]
	s_movk_i32 s2, 0xff
	v_or_b32_sdwa v3, v4, v3 dst_sel:DWORD dst_unused:UNUSED_PAD src0_sel:WORD_0 src1_sel:DWORD
	v_lshrrev_b32_sdwa v4, v7, v2 dst_sel:BYTE_1 dst_unused:UNUSED_PAD src0_sel:DWORD src1_sel:DWORD
	v_or_b32_sdwa v4, v2, v4 dst_sel:DWORD dst_unused:UNUSED_PAD src0_sel:BYTE_0 src1_sel:DWORD
	v_lshlrev_b16_e32 v5, 8, v6
	v_and_b32_sdwa v2, v2, s2 dst_sel:DWORD dst_unused:UNUSED_PAD src0_sel:WORD_1 src1_sel:DWORD
	v_or_b32_sdwa v2, v2, v5 dst_sel:WORD_1 dst_unused:UNUSED_PAD src0_sel:DWORD src1_sel:DWORD
	v_or_b32_sdwa v34, v4, v2 dst_sel:DWORD dst_unused:UNUSED_PAD src0_sel:WORD_0 src1_sel:DWORD
.LBB747_97:
	s_or_b64 exec, exec, s[4:5]
	v_add_u32_e32 v2, 11, v30
	v_mov_b32_e32 v35, 0
	v_cmp_le_u32_e32 vcc, s18, v2
                                        ; implicit-def: $vgpr36
	s_and_saveexec_b64 s[2:3], vcc
	s_xor_b64 s[2:3], exec, s[2:3]
; %bb.98:
	v_and_b32_e32 v2, 0xff0000, v3
	s_mov_b32 s4, 0x3020504
	v_perm_b32 v36, v3, v2, s4
	s_mov_b32 s4, 0x3060504
	v_perm_b32 v1, v1, v1, s4
                                        ; implicit-def: $vgpr3
; %bb.99:
	s_andn2_saveexec_b64 s[4:5], s[2:3]
	s_cbranch_execz .LBB747_103
; %bb.100:
	v_add_u32_e32 v2, s37, v10
	v_add_u32_e32 v4, s39, v10
	v_mul_lo_u32 v2, v2, s36
	v_mul_lo_u32 v4, v4, s38
	s_mov_b64 s[8:9], 0
	v_sub_u32_e32 v2, v2, v4
	v_cmp_lt_u32_e32 vcc, s40, v2
	v_cmp_ge_u32_e64 s[2:3], s40, v2
	s_and_saveexec_b64 s[10:11], s[2:3]
	s_cbranch_execz .LBB747_102
; %bb.101:
	v_add_u32_e32 v2, s42, v10
	v_add_u32_e32 v4, s58, v10
	v_mul_lo_u32 v2, v2, s41
	v_mul_lo_u32 v4, v4, s43
	v_sub_u32_e32 v2, v2, v4
	v_cmp_lt_u32_e64 s[2:3], s59, v2
	s_and_b64 s[8:9], s[2:3], exec
.LBB747_102:
	s_or_b64 exec, exec, s[10:11]
	v_mov_b32_e32 v4, 8
	v_cndmask_b32_e64 v2, 0, 1, vcc
	s_movk_i32 s2, 0xff
	v_lshrrev_b32_sdwa v4, v4, v3 dst_sel:BYTE_1 dst_unused:UNUSED_PAD src0_sel:DWORD src1_sel:DWORD
	v_or_b32_sdwa v4, v3, v4 dst_sel:DWORD dst_unused:UNUSED_PAD src0_sel:BYTE_0 src1_sel:DWORD
	v_lshlrev_b16_e32 v2, 8, v2
	v_and_b32_sdwa v3, v3, s2 dst_sel:DWORD dst_unused:UNUSED_PAD src0_sel:WORD_1 src1_sel:DWORD
	v_or_b32_sdwa v2, v3, v2 dst_sel:WORD_1 dst_unused:UNUSED_PAD src0_sel:DWORD src1_sel:DWORD
	v_cndmask_b32_e64 v35, 0, 1, s[8:9]
	v_or_b32_sdwa v36, v4, v2 dst_sel:DWORD dst_unused:UNUSED_PAD src0_sel:WORD_0 src1_sel:DWORD
.LBB747_103:
	s_or_b64 exec, exec, s[4:5]
	v_add_u32_e32 v2, 12, v30
	v_cmp_le_u32_e32 vcc, s18, v2
	v_lshrrev_b32_e32 v2, 24, v1
                                        ; implicit-def: $vgpr37
	s_and_saveexec_b64 s[2:3], vcc
	s_xor_b64 s[2:3], exec, s[2:3]
; %bb.104:
	s_movk_i32 s4, 0xff
	v_lshlrev_b16_e32 v2, 8, v2
	v_and_b32_sdwa v4, v1, s4 dst_sel:DWORD dst_unused:UNUSED_PAD src0_sel:WORD_1 src1_sel:DWORD
	v_mov_b32_e32 v3, 8
	v_or_b32_sdwa v37, v4, v2 dst_sel:WORD_1 dst_unused:UNUSED_PAD src0_sel:DWORD src1_sel:DWORD
	v_lshrrev_b32_sdwa v37, v3, v1 dst_sel:BYTE_1 dst_unused:UNUSED_PRESERVE src0_sel:DWORD src1_sel:DWORD
                                        ; implicit-def: $vgpr2
                                        ; implicit-def: $vgpr1
; %bb.105:
	s_or_saveexec_b64 s[4:5], s[2:3]
	v_mov_b32_e32 v38, 0
	s_xor_b64 exec, exec, s[4:5]
	s_cbranch_execz .LBB747_109
; %bb.106:
	v_add_u32_e32 v3, s37, v29
	v_add_u32_e32 v4, s39, v29
	v_mul_lo_u32 v3, v3, s36
	v_mul_lo_u32 v4, v4, s38
	s_mov_b64 s[8:9], 0
	v_sub_u32_e32 v3, v3, v4
	v_cmp_lt_u32_e32 vcc, s40, v3
	v_cmp_ge_u32_e64 s[2:3], s40, v3
	s_and_saveexec_b64 s[10:11], s[2:3]
	s_cbranch_execz .LBB747_108
; %bb.107:
	v_add_u32_e32 v3, s42, v29
	v_add_u32_e32 v4, s58, v29
	v_mul_lo_u32 v3, v3, s41
	v_mul_lo_u32 v4, v4, s43
	v_sub_u32_e32 v3, v3, v4
	v_cmp_lt_u32_e64 s[2:3], s59, v3
	s_and_b64 s[8:9], s[2:3], exec
.LBB747_108:
	s_or_b64 exec, exec, s[10:11]
	s_movk_i32 s2, 0xff
	v_lshlrev_b16_e32 v2, 8, v2
	v_and_b32_sdwa v4, v1, s2 dst_sel:DWORD dst_unused:UNUSED_PAD src0_sel:WORD_1 src1_sel:DWORD
	v_or_b32_sdwa v2, v4, v2 dst_sel:WORD_1 dst_unused:UNUSED_PAD src0_sel:DWORD src1_sel:DWORD
	v_mov_b32_e32 v4, 8
	v_cndmask_b32_e64 v3, 0, 1, vcc
	v_lshrrev_b32_sdwa v1, v4, v1 dst_sel:BYTE_1 dst_unused:UNUSED_PAD src0_sel:DWORD src1_sel:DWORD
	v_or_b32_e32 v1, v3, v1
	v_cndmask_b32_e64 v38, 0, 1, s[8:9]
	v_or_b32_sdwa v37, v1, v2 dst_sel:DWORD dst_unused:UNUSED_PAD src0_sel:WORD_0 src1_sel:DWORD
.LBB747_109:
	s_or_b64 exec, exec, s[4:5]
.LBB747_110:
	v_and_b32_e32 v48, 0xff, v31
	v_bfe_u32 v45, v31, 8, 8
	v_bfe_u32 v50, v31, 16, 8
	v_lshrrev_b32_e32 v43, 24, v31
	v_and_b32_e32 v51, 0xff, v33
	v_add3_u32 v4, v45, v48, v50
	v_bfe_u32 v46, v33, 8, 8
	v_bfe_u32 v53, v33, 16, 8
	v_add3_u32 v4, v4, v43, v51
	v_bfe_u32 v49, v37, 8, 8
	v_bfe_u32 v57, v37, 16, 8
	v_lshrrev_b32_e32 v44, 24, v37
	v_lshrrev_b32_e32 v41, 24, v33
	v_and_b32_e32 v54, 0xff, v36
	v_add3_u32 v4, v4, v46, v53
	v_and_b32_e32 v58, 0xff, v32
	v_bfe_u32 v52, v32, 8, 8
	v_bfe_u32 v47, v36, 8, 8
	v_bfe_u32 v56, v36, 16, 8
	v_add3_u32 v3, v57, v49, v44
	v_add3_u32 v4, v4, v41, v54
	v_bfe_u32 v59, v32, 16, 8
	v_lshrrev_b32_e32 v42, 24, v32
	v_lshrrev_b32_e32 v39, 24, v36
	v_and_b32_e32 v1, 0xff, v37
	v_add3_u32 v3, v3, v58, v52
	v_add3_u32 v4, v4, v47, v56
	v_and_b32_e32 v60, 0xff, v34
	v_bfe_u32 v55, v34, 8, 8
	v_add3_u32 v3, v3, v59, v42
	v_add3_u32 v68, v4, v39, v1
	v_mbcnt_lo_u32_b32 v1, -1, 0
	v_bfe_u32 v61, v34, 16, 8
	v_lshrrev_b32_e32 v40, 24, v34
	v_add3_u32 v3, v3, v60, v55
	v_mbcnt_hi_u32_b32 v63, -1, v1
	v_and_b32_e32 v62, 0xff, v35
	v_and_b32_e32 v2, 0xff, v38
	v_add3_u32 v3, v3, v61, v40
	v_and_b32_e32 v67, 15, v63
	s_cmp_lg_u32 s6, 0
	v_add3_u32 v69, v3, v62, v2
	v_cmp_eq_u32_e64 s[4:5], 0, v67
	v_cmp_lt_u32_e64 s[2:3], 1, v67
	v_cmp_lt_u32_e64 s[8:9], 3, v67
	;; [unrolled: 1-line block ×3, first 2 shown]
	v_and_b32_e32 v66, 16, v63
	v_cmp_lt_u32_e32 vcc, 31, v63
	v_lshrrev_b32_e32 v64, 6, v0
	v_or_b32_e32 v65, 63, v0
	s_cbranch_scc0 .LBB747_132
; %bb.111:
	v_mov_b32_dpp v1, v68 row_shr:1 row_mask:0xf bank_mask:0xf
	v_mov_b32_dpp v2, v69 row_shr:1 row_mask:0xf bank_mask:0xf
	v_add_u32_e32 v1, v1, v68
	v_add_u32_e32 v2, v2, v69
	v_cndmask_b32_e64 v2, v2, v69, s[4:5]
	v_cndmask_b32_e64 v1, v1, v68, s[4:5]
	s_nop 0
	v_mov_b32_dpp v4, v2 row_shr:2 row_mask:0xf bank_mask:0xf
	v_mov_b32_dpp v3, v1 row_shr:2 row_mask:0xf bank_mask:0xf
	v_add_u32_e32 v3, v1, v3
	v_add_u32_e32 v4, v2, v4
	v_cndmask_b32_e64 v2, v2, v4, s[2:3]
	v_cndmask_b32_e64 v1, v1, v3, s[2:3]
	s_nop 0
	v_mov_b32_dpp v4, v2 row_shr:4 row_mask:0xf bank_mask:0xf
	v_mov_b32_dpp v3, v1 row_shr:4 row_mask:0xf bank_mask:0xf
	v_add_u32_e32 v3, v1, v3
	v_add_u32_e32 v4, v2, v4
	v_cndmask_b32_e64 v2, v2, v4, s[8:9]
	v_cndmask_b32_e64 v1, v1, v3, s[8:9]
	v_cmp_eq_u32_e64 s[8:9], 0, v66
	v_mov_b32_dpp v4, v2 row_shr:8 row_mask:0xf bank_mask:0xf
	v_mov_b32_dpp v3, v1 row_shr:8 row_mask:0xf bank_mask:0xf
	v_add_u32_e32 v3, v1, v3
	v_add_u32_e32 v4, v2, v4
	v_cndmask_b32_e64 v2, v2, v4, s[10:11]
	v_cndmask_b32_e64 v3, v1, v3, s[10:11]
	s_nop 0
	v_mov_b32_dpp v4, v2 row_bcast:15 row_mask:0xf bank_mask:0xf
	v_mov_b32_dpp v1, v3 row_bcast:15 row_mask:0xf bank_mask:0xf
	v_add_u32_e32 v5, v3, v1
	v_add_u32_e32 v1, v2, v4
	v_cndmask_b32_e64 v1, v1, v2, s[8:9]
	v_cndmask_b32_e64 v2, v5, v3, s[8:9]
	v_cmp_eq_u32_e64 s[8:9], v0, v65
	v_mov_b32_dpp v3, v1 row_bcast:31 row_mask:0xf bank_mask:0xf
	v_mov_b32_dpp v4, v2 row_bcast:31 row_mask:0xf bank_mask:0xf
	v_add_u32_e32 v3, v1, v3
	v_add_u32_e32 v4, v2, v4
	s_and_saveexec_b64 s[10:11], s[8:9]
; %bb.112:
	v_lshlrev_b32_e32 v7, 3, v64
	v_cndmask_b32_e32 v6, v1, v3, vcc
	v_cndmask_b32_e32 v5, v2, v4, vcc
	ds_write_b64 v7, v[5:6]
; %bb.113:
	s_or_b64 exec, exec, s[10:11]
	v_cmp_gt_u32_e64 s[8:9], 4, v0
	s_waitcnt lgkmcnt(0)
	s_barrier
	s_and_saveexec_b64 s[10:11], s[8:9]
	s_cbranch_execz .LBB747_115
; %bb.114:
	v_lshlrev_b32_e32 v7, 3, v0
	ds_read_b64 v[5:6], v7
	v_and_b32_e32 v8, 3, v63
	v_cmp_eq_u32_e64 s[8:9], 0, v8
	s_waitcnt lgkmcnt(0)
	v_mov_b32_dpp v21, v5 row_shr:1 row_mask:0xf bank_mask:0xf
	v_mov_b32_dpp v22, v6 row_shr:1 row_mask:0xf bank_mask:0xf
	v_add_u32_e32 v21, v21, v5
	v_add_u32_e32 v22, v22, v6
	v_cndmask_b32_e64 v6, v22, v6, s[8:9]
	v_cndmask_b32_e64 v5, v21, v5, s[8:9]
	v_cmp_lt_u32_e64 s[8:9], 1, v8
	v_mov_b32_dpp v22, v6 row_shr:2 row_mask:0xf bank_mask:0xf
	v_mov_b32_dpp v21, v5 row_shr:2 row_mask:0xf bank_mask:0xf
	v_cndmask_b32_e64 v8, 0, v21, s[8:9]
	v_cndmask_b32_e64 v21, 0, v22, s[8:9]
	v_add_u32_e32 v6, v21, v6
	v_add_u32_e32 v5, v8, v5
	ds_write_b64 v7, v[5:6]
.LBB747_115:
	s_or_b64 exec, exec, s[10:11]
	v_cndmask_b32_e32 v1, v1, v3, vcc
	v_cndmask_b32_e32 v2, v2, v4, vcc
	v_cmp_gt_u32_e32 vcc, 64, v0
	v_cmp_lt_u32_e64 s[8:9], 63, v0
	s_waitcnt lgkmcnt(0)
	s_barrier
                                        ; implicit-def: $vgpr21
	s_and_saveexec_b64 s[10:11], s[8:9]
	s_cbranch_execz .LBB747_117
; %bb.116:
	v_lshl_add_u32 v3, v64, 3, -8
	ds_read_b64 v[21:22], v3
	s_waitcnt lgkmcnt(0)
	v_add_u32_e32 v1, v22, v1
	v_add_u32_e32 v2, v21, v2
.LBB747_117:
	s_or_b64 exec, exec, s[10:11]
	v_subrev_co_u32_e64 v3, s[8:9], 1, v63
	v_and_b32_e32 v4, 64, v63
	v_cmp_lt_i32_e64 s[10:11], v3, v4
	v_cndmask_b32_e64 v3, v3, v63, s[10:11]
	v_lshlrev_b32_e32 v3, 2, v3
	ds_bpermute_b32 v70, v3, v2
	ds_bpermute_b32 v71, v3, v1
	s_and_saveexec_b64 s[10:11], vcc
	s_cbranch_execz .LBB747_137
; %bb.118:
	v_mov_b32_e32 v4, 0
	ds_read_b64 v[1:2], v4 offset:24
	s_and_saveexec_b64 s[14:15], s[8:9]
	s_cbranch_execz .LBB747_120
; %bb.119:
	s_add_i32 s16, s6, 64
	s_mov_b32 s17, 0
	s_lshl_b64 s[16:17], s[16:17], 4
	s_add_u32 s16, s12, s16
	s_addc_u32 s17, s13, s17
	v_mov_b32_e32 v5, s16
	v_mov_b32_e32 v3, 1
	;; [unrolled: 1-line block ×3, first 2 shown]
	s_waitcnt lgkmcnt(0)
	;;#ASMSTART
	global_store_dwordx4 v[5:6], v[1:4] off	
s_waitcnt vmcnt(0)
	;;#ASMEND
.LBB747_120:
	s_or_b64 exec, exec, s[14:15]
	v_xad_u32 v23, v63, -1, s6
	v_add_u32_e32 v3, 64, v23
	v_lshlrev_b64 v[5:6], 4, v[3:4]
	v_mov_b32_e32 v3, s13
	v_add_co_u32_e32 v24, vcc, s12, v5
	v_addc_co_u32_e32 v25, vcc, v3, v6, vcc
	;;#ASMSTART
	global_load_dwordx4 v[5:8], v[24:25] off glc	
s_waitcnt vmcnt(0)
	;;#ASMEND
	v_cmp_eq_u16_sdwa s[16:17], v7, v4 src0_sel:BYTE_0 src1_sel:DWORD
	s_and_saveexec_b64 s[14:15], s[16:17]
	s_cbranch_execz .LBB747_124
; %bb.121:
	s_mov_b64 s[16:17], 0
	v_mov_b32_e32 v3, 0
.LBB747_122:                            ; =>This Inner Loop Header: Depth=1
	;;#ASMSTART
	global_load_dwordx4 v[5:8], v[24:25] off glc	
s_waitcnt vmcnt(0)
	;;#ASMEND
	v_cmp_ne_u16_sdwa s[20:21], v7, v3 src0_sel:BYTE_0 src1_sel:DWORD
	s_or_b64 s[16:17], s[20:21], s[16:17]
	s_andn2_b64 exec, exec, s[16:17]
	s_cbranch_execnz .LBB747_122
; %bb.123:
	s_or_b64 exec, exec, s[16:17]
.LBB747_124:
	s_or_b64 exec, exec, s[14:15]
	v_and_b32_e32 v73, 63, v63
	v_cmp_ne_u32_e32 vcc, 63, v73
	v_mov_b32_e32 v72, 2
	v_lshlrev_b64 v[25:26], v63, -1
	v_addc_co_u32_e32 v8, vcc, 0, v63, vcc
	v_cmp_eq_u16_sdwa s[14:15], v7, v72 src0_sel:BYTE_0 src1_sel:DWORD
	v_lshlrev_b32_e32 v74, 2, v8
	v_and_b32_e32 v3, s15, v26
	ds_bpermute_b32 v8, v74, v5
	ds_bpermute_b32 v24, v74, v6
	v_or_b32_e32 v3, 0x80000000, v3
	v_and_b32_e32 v4, s14, v25
	v_ffbl_b32_e32 v3, v3
	v_add_u32_e32 v3, 32, v3
	v_ffbl_b32_e32 v4, v4
	v_min_u32_e32 v3, v4, v3
	s_waitcnt lgkmcnt(1)
	v_add_u32_e32 v4, v8, v5
	s_waitcnt lgkmcnt(0)
	v_add_u32_e32 v8, v24, v6
	v_cmp_lt_u32_e32 vcc, v73, v3
	v_cndmask_b32_e32 v6, v6, v8, vcc
	v_cndmask_b32_e32 v4, v5, v4, vcc
	v_cmp_gt_u32_e32 vcc, 62, v73
	v_cndmask_b32_e64 v5, 0, 2, vcc
	v_add_lshl_u32 v75, v5, v63, 2
	ds_bpermute_b32 v5, v75, v4
	ds_bpermute_b32 v8, v75, v6
	v_add_u32_e32 v76, 2, v73
	v_cmp_gt_u32_e32 vcc, v76, v3
	v_add_u32_e32 v78, 4, v73
	s_waitcnt lgkmcnt(1)
	v_add_u32_e32 v5, v4, v5
	s_waitcnt lgkmcnt(0)
	v_add_u32_e32 v8, v6, v8
	v_cndmask_b32_e32 v6, v8, v6, vcc
	v_cndmask_b32_e32 v4, v5, v4, vcc
	v_cmp_gt_u32_e32 vcc, 60, v73
	v_cndmask_b32_e64 v5, 0, 4, vcc
	v_add_lshl_u32 v77, v5, v63, 2
	ds_bpermute_b32 v5, v77, v4
	ds_bpermute_b32 v8, v77, v6
	v_cmp_gt_u32_e32 vcc, v78, v3
	v_add_u32_e32 v80, 8, v73
	v_add_u32_e32 v82, 16, v73
	s_waitcnt lgkmcnt(1)
	v_add_u32_e32 v5, v4, v5
	s_waitcnt lgkmcnt(0)
	v_add_u32_e32 v8, v6, v8
	v_cndmask_b32_e32 v6, v8, v6, vcc
	v_cndmask_b32_e32 v4, v5, v4, vcc
	v_cmp_gt_u32_e32 vcc, 56, v73
	v_cndmask_b32_e64 v5, 0, 8, vcc
	v_add_lshl_u32 v79, v5, v63, 2
	ds_bpermute_b32 v5, v79, v4
	ds_bpermute_b32 v8, v79, v6
	v_cmp_gt_u32_e32 vcc, v80, v3
	v_add_u32_e32 v84, 32, v73
	v_mov_b32_e32 v24, 0
	s_waitcnt lgkmcnt(1)
	v_add_u32_e32 v5, v4, v5
	s_waitcnt lgkmcnt(0)
	v_add_u32_e32 v8, v6, v8
	v_cndmask_b32_e32 v6, v8, v6, vcc
	v_cndmask_b32_e32 v4, v5, v4, vcc
	v_cmp_gt_u32_e32 vcc, 48, v73
	v_cndmask_b32_e64 v5, 0, 16, vcc
	v_add_lshl_u32 v81, v5, v63, 2
	ds_bpermute_b32 v5, v81, v4
	ds_bpermute_b32 v8, v81, v6
	v_cmp_gt_u32_e32 vcc, v82, v3
	s_waitcnt lgkmcnt(1)
	v_add_u32_e32 v5, v4, v5
	s_waitcnt lgkmcnt(0)
	v_add_u32_e32 v8, v6, v8
	v_cndmask_b32_e32 v4, v5, v4, vcc
	v_mov_b32_e32 v5, 0x80
	v_cndmask_b32_e32 v6, v8, v6, vcc
	v_lshl_or_b32 v83, v63, 2, v5
	ds_bpermute_b32 v5, v83, v4
	ds_bpermute_b32 v8, v83, v6
	v_cmp_le_u32_e32 vcc, v84, v3
	s_waitcnt lgkmcnt(1)
	v_cndmask_b32_e32 v3, 0, v5, vcc
	s_waitcnt lgkmcnt(0)
	v_cndmask_b32_e32 v5, 0, v8, vcc
	v_add_u32_e32 v6, v6, v5
	v_add_u32_e32 v5, v4, v3
	s_branch .LBB747_128
.LBB747_125:                            ;   in Loop: Header=BB747_128 Depth=1
	s_or_b64 exec, exec, s[16:17]
.LBB747_126:                            ;   in Loop: Header=BB747_128 Depth=1
	s_or_b64 exec, exec, s[14:15]
	v_cmp_eq_u16_sdwa s[14:15], v7, v72 src0_sel:BYTE_0 src1_sel:DWORD
	v_and_b32_e32 v8, s15, v26
	ds_bpermute_b32 v28, v74, v5
	ds_bpermute_b32 v85, v74, v6
	v_or_b32_e32 v8, 0x80000000, v8
	v_and_b32_e32 v27, s14, v25
	v_ffbl_b32_e32 v8, v8
	v_add_u32_e32 v8, 32, v8
	v_ffbl_b32_e32 v27, v27
	v_min_u32_e32 v8, v27, v8
	s_waitcnt lgkmcnt(1)
	v_add_u32_e32 v27, v28, v5
	s_waitcnt lgkmcnt(0)
	v_add_u32_e32 v28, v85, v6
	v_cmp_lt_u32_e32 vcc, v73, v8
	v_cndmask_b32_e32 v6, v6, v28, vcc
	v_cndmask_b32_e32 v5, v5, v27, vcc
	ds_bpermute_b32 v27, v75, v5
	ds_bpermute_b32 v28, v75, v6
	v_cmp_gt_u32_e32 vcc, v76, v8
	v_subrev_u32_e32 v23, 64, v23
	s_mov_b64 s[14:15], 0
	s_waitcnt lgkmcnt(1)
	v_add_u32_e32 v27, v5, v27
	s_waitcnt lgkmcnt(0)
	v_add_u32_e32 v28, v6, v28
	v_cndmask_b32_e32 v6, v28, v6, vcc
	v_cndmask_b32_e32 v5, v27, v5, vcc
	ds_bpermute_b32 v27, v77, v5
	ds_bpermute_b32 v28, v77, v6
	v_cmp_gt_u32_e32 vcc, v78, v8
	s_waitcnt lgkmcnt(1)
	v_add_u32_e32 v27, v5, v27
	s_waitcnt lgkmcnt(0)
	v_add_u32_e32 v28, v6, v28
	v_cndmask_b32_e32 v6, v28, v6, vcc
	v_cndmask_b32_e32 v5, v27, v5, vcc
	ds_bpermute_b32 v27, v79, v5
	ds_bpermute_b32 v28, v79, v6
	v_cmp_gt_u32_e32 vcc, v80, v8
	;; [unrolled: 9-line block ×3, first 2 shown]
	s_waitcnt lgkmcnt(1)
	v_add_u32_e32 v27, v5, v27
	s_waitcnt lgkmcnt(0)
	v_add_u32_e32 v28, v6, v28
	v_cndmask_b32_e32 v6, v28, v6, vcc
	v_cndmask_b32_e32 v5, v27, v5, vcc
	ds_bpermute_b32 v27, v83, v5
	ds_bpermute_b32 v28, v83, v6
	v_cmp_le_u32_e32 vcc, v84, v8
	s_waitcnt lgkmcnt(1)
	v_cndmask_b32_e32 v8, 0, v27, vcc
	s_waitcnt lgkmcnt(0)
	v_cndmask_b32_e32 v27, 0, v28, vcc
	v_add3_u32 v6, v27, v4, v6
	v_add3_u32 v5, v8, v3, v5
.LBB747_127:                            ;   in Loop: Header=BB747_128 Depth=1
	s_and_b64 vcc, exec, s[14:15]
	s_cbranch_vccnz .LBB747_133
.LBB747_128:                            ; =>This Loop Header: Depth=1
                                        ;     Child Loop BB747_131 Depth 2
	v_mov_b32_e32 v3, v5
	v_cmp_ne_u16_sdwa s[14:15], v7, v72 src0_sel:BYTE_0 src1_sel:DWORD
	v_mov_b32_e32 v4, v6
	s_cmp_lg_u64 s[14:15], exec
	s_mov_b64 s[14:15], -1
                                        ; implicit-def: $vgpr7
                                        ; implicit-def: $vgpr5_vgpr6
	s_cbranch_scc1 .LBB747_127
; %bb.129:                              ;   in Loop: Header=BB747_128 Depth=1
	v_lshlrev_b64 v[5:6], 4, v[23:24]
	v_mov_b32_e32 v7, s13
	v_add_co_u32_e32 v27, vcc, s12, v5
	v_addc_co_u32_e32 v28, vcc, v7, v6, vcc
	;;#ASMSTART
	global_load_dwordx4 v[5:8], v[27:28] off glc	
s_waitcnt vmcnt(0)
	;;#ASMEND
	v_cmp_eq_u16_sdwa s[16:17], v7, v24 src0_sel:BYTE_0 src1_sel:DWORD
	s_and_saveexec_b64 s[14:15], s[16:17]
	s_cbranch_execz .LBB747_126
; %bb.130:                              ;   in Loop: Header=BB747_128 Depth=1
	s_mov_b64 s[16:17], 0
.LBB747_131:                            ;   Parent Loop BB747_128 Depth=1
                                        ; =>  This Inner Loop Header: Depth=2
	;;#ASMSTART
	global_load_dwordx4 v[5:8], v[27:28] off glc	
s_waitcnt vmcnt(0)
	;;#ASMEND
	v_cmp_ne_u16_sdwa s[20:21], v7, v24 src0_sel:BYTE_0 src1_sel:DWORD
	s_or_b64 s[16:17], s[20:21], s[16:17]
	s_andn2_b64 exec, exec, s[16:17]
	s_cbranch_execnz .LBB747_131
	s_branch .LBB747_125
.LBB747_132:
                                        ; implicit-def: $vgpr22
                                        ; implicit-def: $vgpr3
                                        ; implicit-def: $vgpr23
	s_cbranch_execnz .LBB747_138
	s_branch .LBB747_147
.LBB747_133:
	s_and_saveexec_b64 s[14:15], s[8:9]
	s_cbranch_execnz .LBB747_375
; %bb.134:
	s_or_b64 exec, exec, s[14:15]
	s_and_saveexec_b64 s[6:7], s[8:9]
	s_cbranch_execnz .LBB747_376
.LBB747_135:
	s_or_b64 exec, exec, s[6:7]
	v_cmp_eq_u32_e32 vcc, 0, v0
	s_and_b64 exec, exec, vcc
.LBB747_136:
	v_mov_b32_e32 v1, 0
	ds_write_b64 v1, v[3:4] offset:24
.LBB747_137:
	s_or_b64 exec, exec, s[10:11]
	v_mov_b32_e32 v1, 0
	s_waitcnt lgkmcnt(0)
	s_barrier
	ds_read_b64 v[5:6], v1 offset:24
	v_cndmask_b32_e64 v2, v71, v22, s[8:9]
	v_cndmask_b32_e64 v3, v70, v21, s[8:9]
	s_waitcnt lgkmcnt(0)
	s_barrier
	v_add_u32_e32 v7, v5, v3
	v_add_u32_e32 v8, v6, v2
	ds_read_b128 v[1:4], v1 offset:13312
	v_cmp_eq_u32_e32 vcc, 0, v0
	v_cndmask_b32_e32 v22, v8, v6, vcc
	v_cndmask_b32_e32 v23, v7, v5, vcc
	s_branch .LBB747_147
.LBB747_138:
	s_waitcnt lgkmcnt(0)
	v_mov_b32_dpp v1, v68 row_shr:1 row_mask:0xf bank_mask:0xf
	v_mov_b32_dpp v2, v69 row_shr:1 row_mask:0xf bank_mask:0xf
	v_add_u32_e32 v1, v1, v68
	v_add_u32_e32 v2, v2, v69
	v_cndmask_b32_e64 v2, v2, v69, s[4:5]
	v_cndmask_b32_e64 v1, v1, v68, s[4:5]
	v_cmp_lt_u32_e32 vcc, 3, v67
	v_mov_b32_dpp v4, v2 row_shr:2 row_mask:0xf bank_mask:0xf
	v_mov_b32_dpp v3, v1 row_shr:2 row_mask:0xf bank_mask:0xf
	v_add_u32_e32 v3, v1, v3
	v_add_u32_e32 v4, v2, v4
	v_cndmask_b32_e64 v2, v2, v4, s[2:3]
	v_cndmask_b32_e64 v1, v1, v3, s[2:3]
	v_cmp_eq_u32_e64 s[2:3], v0, v65
	v_mov_b32_dpp v4, v2 row_shr:4 row_mask:0xf bank_mask:0xf
	v_mov_b32_dpp v3, v1 row_shr:4 row_mask:0xf bank_mask:0xf
	v_add_u32_e32 v3, v1, v3
	v_add_u32_e32 v4, v2, v4
	v_cndmask_b32_e32 v2, v2, v4, vcc
	v_cndmask_b32_e32 v1, v1, v3, vcc
	v_cmp_lt_u32_e32 vcc, 7, v67
	v_mov_b32_dpp v4, v2 row_shr:8 row_mask:0xf bank_mask:0xf
	v_mov_b32_dpp v3, v1 row_shr:8 row_mask:0xf bank_mask:0xf
	v_add_u32_e32 v3, v1, v3
	v_add_u32_e32 v4, v2, v4
	v_cndmask_b32_e32 v2, v2, v4, vcc
	v_cndmask_b32_e32 v3, v1, v3, vcc
	v_cmp_eq_u32_e32 vcc, 0, v66
	v_mov_b32_dpp v4, v2 row_bcast:15 row_mask:0xf bank_mask:0xf
	v_mov_b32_dpp v1, v3 row_bcast:15 row_mask:0xf bank_mask:0xf
	v_add_u32_e32 v5, v3, v1
	v_add_u32_e32 v1, v2, v4
	v_cndmask_b32_e32 v1, v1, v2, vcc
	v_cndmask_b32_e32 v2, v5, v3, vcc
	v_cmp_lt_u32_e32 vcc, 31, v63
	v_mov_b32_dpp v3, v1 row_bcast:31 row_mask:0xf bank_mask:0xf
	v_mov_b32_dpp v4, v2 row_bcast:31 row_mask:0xf bank_mask:0xf
	v_add_u32_e32 v3, v1, v3
	v_add_u32_e32 v4, v2, v4
	s_and_saveexec_b64 s[4:5], s[2:3]
; %bb.139:
	v_cndmask_b32_e32 v5, v2, v4, vcc
	v_cndmask_b32_e32 v6, v1, v3, vcc
	v_lshlrev_b32_e32 v7, 3, v64
	ds_write_b64 v7, v[5:6]
; %bb.140:
	s_or_b64 exec, exec, s[4:5]
	v_cmp_gt_u32_e64 s[2:3], 4, v0
	s_waitcnt lgkmcnt(0)
	s_barrier
	s_and_saveexec_b64 s[4:5], s[2:3]
	s_cbranch_execz .LBB747_142
; %bb.141:
	v_lshlrev_b32_e32 v7, 3, v0
	ds_read_b64 v[5:6], v7
	v_and_b32_e32 v8, 3, v63
	v_cmp_eq_u32_e64 s[2:3], 0, v8
	s_waitcnt lgkmcnt(0)
	v_mov_b32_dpp v21, v5 row_shr:1 row_mask:0xf bank_mask:0xf
	v_mov_b32_dpp v22, v6 row_shr:1 row_mask:0xf bank_mask:0xf
	v_add_u32_e32 v21, v21, v5
	v_add_u32_e32 v22, v22, v6
	v_cndmask_b32_e64 v6, v22, v6, s[2:3]
	v_cndmask_b32_e64 v5, v21, v5, s[2:3]
	v_cmp_lt_u32_e64 s[2:3], 1, v8
	v_mov_b32_dpp v22, v6 row_shr:2 row_mask:0xf bank_mask:0xf
	v_mov_b32_dpp v21, v5 row_shr:2 row_mask:0xf bank_mask:0xf
	v_cndmask_b32_e64 v8, 0, v21, s[2:3]
	v_cndmask_b32_e64 v21, 0, v22, s[2:3]
	v_add_u32_e32 v6, v21, v6
	v_add_u32_e32 v5, v8, v5
	ds_write_b64 v7, v[5:6]
.LBB747_142:
	s_or_b64 exec, exec, s[4:5]
	v_cmp_lt_u32_e64 s[2:3], 63, v0
	v_mov_b32_e32 v7, 0
	v_mov_b32_e32 v5, 0
	;; [unrolled: 1-line block ×3, first 2 shown]
	s_waitcnt lgkmcnt(0)
	s_barrier
	s_and_saveexec_b64 s[4:5], s[2:3]
; %bb.143:
	v_lshl_add_u32 v5, v64, 3, -8
	ds_read_b64 v[5:6], v5
; %bb.144:
	s_or_b64 exec, exec, s[4:5]
	v_cndmask_b32_e32 v2, v2, v4, vcc
	v_cndmask_b32_e32 v1, v1, v3, vcc
	v_subrev_co_u32_e32 v3, vcc, 1, v63
	v_and_b32_e32 v4, 64, v63
	v_cmp_lt_i32_e64 s[2:3], v3, v4
	v_cndmask_b32_e64 v3, v3, v63, s[2:3]
	s_waitcnt lgkmcnt(0)
	v_add_u32_e32 v1, v6, v1
	v_add_u32_e32 v2, v5, v2
	v_lshlrev_b32_e32 v3, 2, v3
	ds_bpermute_b32 v8, v3, v2
	ds_bpermute_b32 v21, v3, v1
	ds_read_b64 v[1:2], v7 offset:24
	v_cmp_eq_u32_e64 s[2:3], 0, v0
	s_and_saveexec_b64 s[4:5], s[2:3]
	s_cbranch_execz .LBB747_146
; %bb.145:
	s_add_u32 s6, s12, 0x400
	s_addc_u32 s7, s13, 0
	v_mov_b32_e32 v23, s7
	v_mov_b32_e32 v3, 2
	;; [unrolled: 1-line block ×4, first 2 shown]
	s_waitcnt lgkmcnt(0)
	;;#ASMSTART
	global_store_dwordx4 v[22:23], v[1:4] off	
s_waitcnt vmcnt(0)
	;;#ASMEND
.LBB747_146:
	s_or_b64 exec, exec, s[4:5]
	s_waitcnt lgkmcnt(2)
	v_cndmask_b32_e32 v3, v8, v5, vcc
	s_waitcnt lgkmcnt(1)
	v_cndmask_b32_e32 v4, v21, v6, vcc
	v_cndmask_b32_e64 v22, v4, 0, s[2:3]
	v_cndmask_b32_e64 v23, v3, 0, s[2:3]
	v_mov_b32_e32 v4, 0
	v_mov_b32_e32 v3, 0
	s_waitcnt lgkmcnt(0)
	s_barrier
.LBB747_147:
	v_mov_b32_e32 v6, s49
	s_waitcnt lgkmcnt(0)
	v_add_co_u32_e32 v5, vcc, s48, v3
	v_addc_co_u32_e32 v6, vcc, 0, v6, vcc
	v_mov_b32_e32 v27, s51
	v_sub_co_u32_e32 v28, vcc, s50, v1
	v_subbrev_co_u32_e32 v69, vcc, 0, v27, vcc
	v_add_co_u32_e32 v27, vcc, v28, v4
	v_add_u32_e32 v49, v22, v49
	v_addc_co_u32_e32 v28, vcc, 0, v69, vcc
	v_lshlrev_b32_e32 v69, 1, v1
	v_sub_u32_e32 v22, v22, v4
	v_lshrrev_b32_e32 v26, 8, v37
	v_add_u32_e32 v48, v23, v48
	v_add_u32_e32 v70, v69, v2
	v_sub_u32_e32 v23, v23, v3
	v_add_u32_e32 v22, v22, v1
	v_add_u32_e32 v30, v70, v30
	v_and_b32_e32 v26, 1, v26
	v_add_u32_e32 v71, v23, v22
	v_and_b32_e32 v70, 1, v31
	v_sub_u32_e32 v71, v30, v71
	v_cmp_eq_u32_e32 vcc, 1, v26
	v_cndmask_b32_e32 v22, v71, v22, vcc
	v_cmp_eq_u32_e32 vcc, 1, v70
	v_cndmask_b32_e32 v22, v22, v23, vcc
	v_lshlrev_b32_e32 v22, 2, v22
	v_sub_u32_e32 v23, v49, v4
	v_lshrrev_b32_e32 v25, 8, v31
	ds_write_b32 v22, v19
	v_sub_u32_e32 v19, v48, v3
	v_add_u32_e32 v23, v23, v1
	v_add_u32_e32 v45, v48, v45
	v_and_b32_e32 v22, 1, v25
	v_mov_b32_e32 v25, 1
	v_add_u32_e32 v48, v23, v19
	v_and_b32_sdwa v26, v25, v37 dst_sel:DWORD dst_unused:UNUSED_PAD src0_sel:DWORD src1_sel:WORD_1
	v_sub_u32_e32 v48, v30, v48
	v_add_u32_e32 v48, 1, v48
	v_cmp_eq_u32_e32 vcc, 1, v26
	v_cndmask_b32_e32 v23, v48, v23, vcc
	v_cmp_eq_u32_e32 vcc, 1, v22
	v_add_u32_e32 v57, v49, v57
	v_cndmask_b32_e32 v19, v23, v19, vcc
	v_lshlrev_b32_e32 v19, 2, v19
	v_sub_u32_e32 v22, v57, v4
	ds_write_b32 v19, v20
	v_sub_u32_e32 v19, v45, v3
	v_add_u32_e32 v22, v22, v1
	v_add_u32_e32 v26, v22, v19
	v_and_b32_e32 v23, 1, v44
	v_sub_u32_e32 v26, v30, v26
	v_and_b32_sdwa v20, v25, v31 dst_sel:DWORD dst_unused:UNUSED_PAD src0_sel:DWORD src1_sel:WORD_1
	v_add_u32_e32 v26, 2, v26
	v_cmp_eq_u32_e32 vcc, 1, v23
	v_cndmask_b32_e32 v22, v26, v22, vcc
	v_cmp_eq_u32_e32 vcc, 1, v20
	v_add_u32_e32 v63, v57, v44
	v_cndmask_b32_e32 v19, v22, v19, vcc
	v_add_u32_e32 v50, v45, v50
	v_lshlrev_b32_e32 v19, 2, v19
	v_sub_u32_e32 v20, v63, v4
	ds_write_b32 v19, v17
	v_sub_u32_e32 v17, v50, v3
	v_add_u32_e32 v20, v20, v1
	v_add_u32_e32 v23, v17, v20
	v_and_b32_e32 v22, 1, v32
	v_sub_u32_e32 v23, v30, v23
	v_and_b32_e32 v19, 1, v43
	v_add_u32_e32 v23, 3, v23
	v_cmp_eq_u32_e32 vcc, 1, v22
	v_cndmask_b32_e32 v20, v23, v20, vcc
	v_cmp_eq_u32_e32 vcc, 1, v19
	v_add_u32_e32 v58, v63, v58
	v_cndmask_b32_e32 v17, v20, v17, vcc
	v_add_u32_e32 v64, v50, v43
	v_lshlrev_b32_e32 v17, 2, v17
	v_sub_u32_e32 v19, v58, v4
	ds_write_b32 v17, v18
	v_sub_u32_e32 v17, v64, v3
	v_add_u32_e32 v19, v19, v1
	v_lshrrev_b32_e32 v24, 8, v32
	v_add_u32_e32 v22, v17, v19
	v_and_b32_e32 v20, 1, v24
	v_sub_u32_e32 v22, v30, v22
	v_and_b32_e32 v18, 1, v33
	v_add_u32_e32 v22, 4, v22
	v_cmp_eq_u32_e32 vcc, 1, v20
	v_cndmask_b32_e32 v19, v22, v19, vcc
	v_cmp_eq_u32_e32 vcc, 1, v18
	v_add_u32_e32 v52, v58, v52
	v_cndmask_b32_e32 v17, v19, v17, vcc
	v_add_u32_e32 v51, v64, v51
	v_lshlrev_b32_e32 v17, 2, v17
	v_sub_u32_e32 v18, v52, v4
	ds_write_b32 v17, v15
	v_sub_u32_e32 v15, v51, v3
	v_add_u32_e32 v18, v18, v1
	v_add_u32_e32 v20, v15, v18
	v_lshrrev_b32_e32 v21, 8, v33
	v_and_b32_sdwa v19, v25, v32 dst_sel:DWORD dst_unused:UNUSED_PAD src0_sel:DWORD src1_sel:WORD_1
	v_sub_u32_e32 v20, v30, v20
	v_and_b32_e32 v17, 1, v21
	v_add_u32_e32 v20, 5, v20
	v_cmp_eq_u32_e32 vcc, 1, v19
	v_cndmask_b32_e32 v18, v20, v18, vcc
	v_cmp_eq_u32_e32 vcc, 1, v17
	v_add_u32_e32 v59, v52, v59
	v_cndmask_b32_e32 v15, v18, v15, vcc
	v_add_u32_e32 v46, v51, v46
	v_lshlrev_b32_e32 v15, 2, v15
	v_sub_u32_e32 v17, v59, v4
	ds_write_b32 v15, v16
	v_sub_u32_e32 v15, v46, v3
	v_add_u32_e32 v17, v17, v1
	v_add_u32_e32 v19, v15, v17
	v_and_b32_e32 v18, 1, v42
	v_sub_u32_e32 v19, v30, v19
	v_and_b32_sdwa v16, v25, v33 dst_sel:DWORD dst_unused:UNUSED_PAD src0_sel:DWORD src1_sel:WORD_1
	v_add_u32_e32 v19, 6, v19
	v_cmp_eq_u32_e32 vcc, 1, v18
	v_cndmask_b32_e32 v17, v19, v17, vcc
	v_cmp_eq_u32_e32 vcc, 1, v16
	v_add_u32_e32 v65, v59, v42
	v_cndmask_b32_e32 v15, v17, v15, vcc
	v_add_u32_e32 v53, v46, v53
	v_lshlrev_b32_e32 v15, 2, v15
	v_sub_u32_e32 v16, v65, v4
	ds_write_b32 v15, v13
	v_sub_u32_e32 v13, v53, v3
	v_add_u32_e32 v16, v16, v1
	v_add_u32_e32 v18, v13, v16
	v_and_b32_e32 v17, 1, v34
	v_sub_u32_e32 v18, v30, v18
	v_and_b32_e32 v15, 1, v41
	v_add_u32_e32 v18, 7, v18
	v_cmp_eq_u32_e32 vcc, 1, v17
	v_cndmask_b32_e32 v16, v18, v16, vcc
	v_cmp_eq_u32_e32 vcc, 1, v15
	v_add_u32_e32 v60, v65, v60
	v_cndmask_b32_e32 v13, v16, v13, vcc
	v_add_u32_e32 v66, v53, v41
	v_lshlrev_b32_e32 v13, 2, v13
	v_sub_u32_e32 v15, v60, v4
	ds_write_b32 v13, v14
	v_sub_u32_e32 v13, v66, v3
	v_add_u32_e32 v15, v15, v1
	v_lshrrev_b32_e32 v8, 8, v34
	v_add_u32_e32 v16, v13, v15
	v_and_b32_e32 v8, 1, v8
	v_sub_u32_e32 v16, v30, v16
	v_and_b32_e32 v14, 1, v36
	v_add_u32_e32 v16, 8, v16
	v_cmp_eq_u32_e32 vcc, 1, v8
	v_cndmask_b32_e32 v8, v16, v15, vcc
	v_cmp_eq_u32_e32 vcc, 1, v14
	v_cndmask_b32_e32 v8, v8, v13, vcc
	v_add_u32_e32 v55, v60, v55
	v_lshlrev_b32_e32 v8, 2, v8
	v_add_u32_e32 v54, v66, v54
	ds_write_b32 v8, v11
	v_sub_u32_e32 v11, v55, v4
	v_sub_u32_e32 v8, v54, v3
	v_add_u32_e32 v11, v11, v1
	v_add_u32_e32 v14, v8, v11
	v_lshrrev_b32_e32 v7, 8, v36
	v_and_b32_sdwa v13, v25, v34 dst_sel:DWORD dst_unused:UNUSED_PAD src0_sel:DWORD src1_sel:WORD_1
	v_sub_u32_e32 v14, v30, v14
	v_and_b32_e32 v7, 1, v7
	v_add_u32_e32 v14, 9, v14
	v_cmp_eq_u32_e32 vcc, 1, v13
	v_cndmask_b32_e32 v11, v14, v11, vcc
	v_cmp_eq_u32_e32 vcc, 1, v7
	v_add_u32_e32 v61, v55, v61
	v_cndmask_b32_e32 v7, v11, v8, vcc
	v_add_u32_e32 v47, v54, v47
	v_lshlrev_b32_e32 v7, 2, v7
	v_sub_u32_e32 v11, v61, v4
	ds_write_b32 v7, v12
	v_sub_u32_e32 v7, v47, v3
	v_add_u32_e32 v11, v11, v1
	v_add_u32_e32 v13, v7, v11
	v_and_b32_e32 v12, 1, v40
	v_sub_u32_e32 v13, v30, v13
	v_and_b32_sdwa v8, v25, v36 dst_sel:DWORD dst_unused:UNUSED_PAD src0_sel:DWORD src1_sel:WORD_1
	v_add_u32_e32 v13, 10, v13
	v_cmp_eq_u32_e32 vcc, 1, v12
	v_cndmask_b32_e32 v11, v13, v11, vcc
	v_cmp_eq_u32_e32 vcc, 1, v8
	v_cndmask_b32_e32 v7, v11, v7, vcc
	v_add_u32_e32 v67, v61, v40
	v_lshlrev_b32_e32 v7, 2, v7
	v_add_u32_e32 v56, v47, v56
	ds_write_b32 v7, v9
	v_sub_u32_e32 v9, v67, v4
	v_sub_u32_e32 v7, v56, v3
	v_add_u32_e32 v9, v9, v1
	v_add_u32_e32 v12, v7, v9
	v_and_b32_e32 v11, 1, v35
	v_sub_u32_e32 v12, v30, v12
	v_and_b32_e32 v8, 1, v39
	v_add_u32_e32 v12, 11, v12
	v_cmp_eq_u32_e32 vcc, 1, v11
	v_add_u32_e32 v62, v67, v62
	v_cndmask_b32_e32 v9, v12, v9, vcc
	v_cmp_eq_u32_e32 vcc, 1, v8
	v_add_u32_e32 v68, v56, v39
	v_cndmask_b32_e32 v7, v9, v7, vcc
	v_sub_u32_e32 v8, v62, v4
	v_lshlrev_b32_e32 v7, 2, v7
	v_sub_u32_e32 v3, v68, v3
	v_add_u32_e32 v8, v8, v1
	ds_write_b32 v7, v10
	v_add_u32_e32 v10, v3, v8
	v_and_b32_e32 v9, 1, v38
	v_sub_u32_e32 v10, v30, v10
	v_and_b32_e32 v7, 1, v37
	v_add_u32_e32 v10, 12, v10
	v_cmp_eq_u32_e32 vcc, 1, v9
	v_cndmask_b32_e32 v8, v10, v8, vcc
	v_cmp_eq_u32_e32 vcc, 1, v7
	v_cndmask_b32_e32 v3, v8, v3, vcc
	v_lshlrev_b32_e32 v3, 2, v3
	ds_write_b32 v3, v29
	v_add_co_u32_e32 v3, vcc, v2, v69
	v_addc_co_u32_e64 v7, s[2:3], 0, 0, vcc
	v_add_co_u32_e32 v3, vcc, v3, v27
	v_addc_co_u32_e32 v7, vcc, v7, v28, vcc
	s_add_u32 s4, s56, s33
	v_add_co_u32_e32 v3, vcc, v3, v5
	s_addc_u32 s5, s57, 0
	v_addc_co_u32_e32 v7, vcc, v7, v6, vcc
	v_mov_b32_e32 v8, s5
	v_sub_co_u32_e32 v3, vcc, s4, v3
	v_subb_co_u32_e32 v11, vcc, v8, v7, vcc
	v_lshlrev_b64 v[7:8], 2, v[27:28]
	v_mov_b32_e32 v9, s55
	v_add_co_u32_e32 v7, vcc, s54, v7
	v_addc_co_u32_e32 v8, vcc, v9, v8, vcc
	v_lshlrev_b64 v[9:10], 2, v[5:6]
	v_mov_b32_e32 v13, s53
	v_add_co_u32_e32 v9, vcc, s52, v9
	v_addc_co_u32_e32 v10, vcc, v13, v10, vcc
	v_add_u32_e32 v12, v1, v2
	s_and_b64 vcc, exec, s[0:1]
	s_mov_b64 s[0:1], -1
	s_waitcnt lgkmcnt(0)
	s_barrier
	s_cbranch_vccz .LBB747_151
; %bb.148:
	s_and_b64 vcc, exec, s[0:1]
	s_cbranch_vccnz .LBB747_256
.LBB747_149:
	v_cmp_eq_u32_e32 vcc, 0, v0
	s_and_b64 s[0:1], vcc, s[34:35]
	s_and_saveexec_b64 s[2:3], s[0:1]
	s_cbranch_execnz .LBB747_374
.LBB747_150:
	s_endpgm
.LBB747_151:
	v_cmp_ge_u32_e32 vcc, v0, v1
	s_and_saveexec_b64 s[0:1], vcc
	s_xor_b64 s[0:1], exec, s[0:1]
	s_cbranch_execz .LBB747_157
; %bb.152:
	v_cmp_ge_u32_e32 vcc, v0, v12
	s_and_saveexec_b64 s[2:3], vcc
	s_xor_b64 s[2:3], exec, s[2:3]
	s_cbranch_execz .LBB747_154
; %bb.153:
	v_add_co_u32_e32 v13, vcc, v3, v0
	v_lshlrev_b32_e32 v15, 2, v0
	v_addc_co_u32_e32 v14, vcc, 0, v11, vcc
	ds_read_b32 v15, v15
	v_lshlrev_b64 v[13:14], 2, v[13:14]
	v_mov_b32_e32 v16, s47
	v_sub_co_u32_e32 v13, vcc, s46, v13
	v_subb_co_u32_e32 v14, vcc, v16, v14, vcc
	s_waitcnt lgkmcnt(0)
	global_store_dword v[13:14], v15, off offset:-4
.LBB747_154:
	s_andn2_saveexec_b64 s[2:3], s[2:3]
	s_cbranch_execz .LBB747_156
; %bb.155:
	v_lshlrev_b32_e32 v13, 2, v0
	ds_read_b32 v14, v13
	v_readfirstlane_b32 s4, v7
	v_readfirstlane_b32 s5, v8
	s_waitcnt lgkmcnt(0)
	s_nop 3
	global_store_dword v13, v14, s[4:5]
.LBB747_156:
	s_or_b64 exec, exec, s[2:3]
.LBB747_157:
	s_andn2_saveexec_b64 s[0:1], s[0:1]
	s_cbranch_execz .LBB747_159
; %bb.158:
	v_lshlrev_b32_e32 v13, 2, v0
	ds_read_b32 v14, v13
	v_readfirstlane_b32 s2, v9
	v_readfirstlane_b32 s3, v10
	s_waitcnt lgkmcnt(0)
	s_nop 3
	global_store_dword v13, v14, s[2:3]
.LBB747_159:
	s_or_b64 exec, exec, s[0:1]
	v_or_b32_e32 v13, 0x100, v0
	v_cmp_ge_u32_e32 vcc, v13, v1
	s_and_saveexec_b64 s[0:1], vcc
	s_xor_b64 s[0:1], exec, s[0:1]
	s_cbranch_execz .LBB747_165
; %bb.160:
	v_cmp_ge_u32_e32 vcc, v13, v12
	s_and_saveexec_b64 s[2:3], vcc
	s_xor_b64 s[2:3], exec, s[2:3]
	s_cbranch_execz .LBB747_162
; %bb.161:
	v_lshlrev_b32_e32 v13, 2, v0
	ds_read_b32 v15, v13 offset:1024
	v_add_co_u32_e32 v13, vcc, v3, v0
	v_addc_co_u32_e32 v14, vcc, 0, v11, vcc
	v_lshlrev_b64 v[13:14], 2, v[13:14]
	v_mov_b32_e32 v16, s47
	v_sub_co_u32_e32 v13, vcc, s46, v13
	v_subb_co_u32_e32 v14, vcc, v16, v14, vcc
	s_waitcnt lgkmcnt(0)
	global_store_dword v[13:14], v15, off offset:-1028
.LBB747_162:
	s_andn2_saveexec_b64 s[2:3], s[2:3]
	s_cbranch_execz .LBB747_164
; %bb.163:
	v_lshlrev_b32_e32 v13, 2, v0
	ds_read_b32 v14, v13 offset:1024
	v_readfirstlane_b32 s4, v7
	v_readfirstlane_b32 s5, v8
	s_waitcnt lgkmcnt(0)
	s_nop 3
	global_store_dword v13, v14, s[4:5] offset:1024
.LBB747_164:
	s_or_b64 exec, exec, s[2:3]
.LBB747_165:
	s_andn2_saveexec_b64 s[0:1], s[0:1]
	s_cbranch_execz .LBB747_167
; %bb.166:
	v_lshlrev_b32_e32 v13, 2, v0
	ds_read_b32 v14, v13 offset:1024
	v_readfirstlane_b32 s2, v9
	v_readfirstlane_b32 s3, v10
	s_waitcnt lgkmcnt(0)
	s_nop 3
	global_store_dword v13, v14, s[2:3] offset:1024
.LBB747_167:
	s_or_b64 exec, exec, s[0:1]
	v_or_b32_e32 v13, 0x200, v0
	v_cmp_ge_u32_e32 vcc, v13, v1
	s_and_saveexec_b64 s[0:1], vcc
	s_xor_b64 s[0:1], exec, s[0:1]
	s_cbranch_execz .LBB747_173
; %bb.168:
	v_cmp_ge_u32_e32 vcc, v13, v12
	s_and_saveexec_b64 s[2:3], vcc
	s_xor_b64 s[2:3], exec, s[2:3]
	s_cbranch_execz .LBB747_170
; %bb.169:
	v_lshlrev_b32_e32 v13, 2, v0
	ds_read_b32 v15, v13 offset:2048
	v_add_co_u32_e32 v13, vcc, v3, v0
	v_addc_co_u32_e32 v14, vcc, 0, v11, vcc
	v_lshlrev_b64 v[13:14], 2, v[13:14]
	v_mov_b32_e32 v16, s47
	v_sub_co_u32_e32 v13, vcc, s46, v13
	v_subb_co_u32_e32 v14, vcc, v16, v14, vcc
	s_waitcnt lgkmcnt(0)
	global_store_dword v[13:14], v15, off offset:-2052
.LBB747_170:
	s_andn2_saveexec_b64 s[2:3], s[2:3]
	s_cbranch_execz .LBB747_172
; %bb.171:
	v_lshlrev_b32_e32 v13, 2, v0
	ds_read_b32 v14, v13 offset:2048
	v_readfirstlane_b32 s4, v7
	v_readfirstlane_b32 s5, v8
	s_waitcnt lgkmcnt(0)
	s_nop 3
	global_store_dword v13, v14, s[4:5] offset:2048
.LBB747_172:
	s_or_b64 exec, exec, s[2:3]
.LBB747_173:
	s_andn2_saveexec_b64 s[0:1], s[0:1]
	s_cbranch_execz .LBB747_175
; %bb.174:
	v_lshlrev_b32_e32 v13, 2, v0
	ds_read_b32 v14, v13 offset:2048
	v_readfirstlane_b32 s2, v9
	v_readfirstlane_b32 s3, v10
	s_waitcnt lgkmcnt(0)
	s_nop 3
	global_store_dword v13, v14, s[2:3] offset:2048
.LBB747_175:
	;; [unrolled: 47-line block ×3, first 2 shown]
	s_or_b64 exec, exec, s[0:1]
	v_or_b32_e32 v13, 0x400, v0
	v_cmp_ge_u32_e32 vcc, v13, v1
	s_and_saveexec_b64 s[0:1], vcc
	s_xor_b64 s[0:1], exec, s[0:1]
	s_cbranch_execz .LBB747_189
; %bb.184:
	v_cmp_ge_u32_e32 vcc, v13, v12
	s_and_saveexec_b64 s[2:3], vcc
	s_xor_b64 s[2:3], exec, s[2:3]
	s_cbranch_execz .LBB747_186
; %bb.185:
	v_lshlrev_b32_e32 v13, 2, v0
	ds_read_b32 v15, v13 offset:4096
	v_add_co_u32_e32 v13, vcc, v3, v0
	v_addc_co_u32_e32 v14, vcc, 0, v11, vcc
	v_lshlrev_b64 v[13:14], 2, v[13:14]
	v_mov_b32_e32 v16, s47
	v_sub_co_u32_e32 v13, vcc, s46, v13
	v_subb_co_u32_e32 v14, vcc, v16, v14, vcc
	v_add_co_u32_e32 v13, vcc, 0xfffff000, v13
	v_addc_co_u32_e32 v14, vcc, -1, v14, vcc
	s_waitcnt lgkmcnt(0)
	global_store_dword v[13:14], v15, off offset:-4
                                        ; implicit-def: $vgpr13
.LBB747_186:
	s_andn2_saveexec_b64 s[2:3], s[2:3]
	s_cbranch_execz .LBB747_188
; %bb.187:
	v_lshlrev_b32_e32 v14, 2, v0
	ds_read_b32 v14, v14 offset:4096
	v_lshlrev_b32_e32 v13, 2, v13
	v_readfirstlane_b32 s4, v7
	v_readfirstlane_b32 s5, v8
	s_waitcnt lgkmcnt(0)
	s_nop 3
	global_store_dword v13, v14, s[4:5]
.LBB747_188:
	s_or_b64 exec, exec, s[2:3]
                                        ; implicit-def: $vgpr13
.LBB747_189:
	s_andn2_saveexec_b64 s[0:1], s[0:1]
	s_cbranch_execz .LBB747_191
; %bb.190:
	v_lshlrev_b32_e32 v14, 2, v0
	ds_read_b32 v14, v14 offset:4096
	v_lshlrev_b32_e32 v13, 2, v13
	v_readfirstlane_b32 s2, v9
	v_readfirstlane_b32 s3, v10
	s_waitcnt lgkmcnt(0)
	s_nop 3
	global_store_dword v13, v14, s[2:3]
.LBB747_191:
	s_or_b64 exec, exec, s[0:1]
	v_or_b32_e32 v13, 0x500, v0
	v_cmp_ge_u32_e32 vcc, v13, v1
	s_and_saveexec_b64 s[0:1], vcc
	s_xor_b64 s[0:1], exec, s[0:1]
	s_cbranch_execz .LBB747_197
; %bb.192:
	v_cmp_ge_u32_e32 vcc, v13, v12
	s_and_saveexec_b64 s[2:3], vcc
	s_xor_b64 s[2:3], exec, s[2:3]
	s_cbranch_execz .LBB747_194
; %bb.193:
	v_add_co_u32_e32 v13, vcc, v3, v13
	v_lshlrev_b32_e32 v15, 2, v0
	v_addc_co_u32_e32 v14, vcc, 0, v11, vcc
	ds_read_b32 v15, v15 offset:5120
	v_lshlrev_b64 v[13:14], 2, v[13:14]
	v_mov_b32_e32 v16, s47
	v_sub_co_u32_e32 v13, vcc, s46, v13
	v_subb_co_u32_e32 v14, vcc, v16, v14, vcc
	s_waitcnt lgkmcnt(0)
	global_store_dword v[13:14], v15, off offset:-4
                                        ; implicit-def: $vgpr13
.LBB747_194:
	s_andn2_saveexec_b64 s[2:3], s[2:3]
	s_cbranch_execz .LBB747_196
; %bb.195:
	v_lshlrev_b32_e32 v14, 2, v0
	ds_read_b32 v14, v14 offset:5120
	v_lshlrev_b32_e32 v13, 2, v13
	v_readfirstlane_b32 s4, v7
	v_readfirstlane_b32 s5, v8
	s_waitcnt lgkmcnt(0)
	s_nop 3
	global_store_dword v13, v14, s[4:5]
.LBB747_196:
	s_or_b64 exec, exec, s[2:3]
                                        ; implicit-def: $vgpr13
.LBB747_197:
	s_andn2_saveexec_b64 s[0:1], s[0:1]
	s_cbranch_execz .LBB747_199
; %bb.198:
	v_lshlrev_b32_e32 v14, 2, v0
	ds_read_b32 v14, v14 offset:5120
	v_lshlrev_b32_e32 v13, 2, v13
	v_readfirstlane_b32 s2, v9
	v_readfirstlane_b32 s3, v10
	s_waitcnt lgkmcnt(0)
	s_nop 3
	global_store_dword v13, v14, s[2:3]
.LBB747_199:
	s_or_b64 exec, exec, s[0:1]
	v_or_b32_e32 v13, 0x600, v0
	v_cmp_ge_u32_e32 vcc, v13, v1
	s_and_saveexec_b64 s[0:1], vcc
	s_xor_b64 s[0:1], exec, s[0:1]
	s_cbranch_execz .LBB747_205
; %bb.200:
	v_cmp_ge_u32_e32 vcc, v13, v12
	s_and_saveexec_b64 s[2:3], vcc
	s_xor_b64 s[2:3], exec, s[2:3]
	s_cbranch_execz .LBB747_202
; %bb.201:
	v_add_co_u32_e32 v13, vcc, v3, v13
	v_lshlrev_b32_e32 v15, 2, v0
	v_addc_co_u32_e32 v14, vcc, 0, v11, vcc
	ds_read_b32 v15, v15 offset:6144
	v_lshlrev_b64 v[13:14], 2, v[13:14]
	v_mov_b32_e32 v16, s47
	v_sub_co_u32_e32 v13, vcc, s46, v13
	v_subb_co_u32_e32 v14, vcc, v16, v14, vcc
	s_waitcnt lgkmcnt(0)
	global_store_dword v[13:14], v15, off offset:-4
                                        ; implicit-def: $vgpr13
.LBB747_202:
	s_andn2_saveexec_b64 s[2:3], s[2:3]
	s_cbranch_execz .LBB747_204
; %bb.203:
	v_lshlrev_b32_e32 v14, 2, v0
	ds_read_b32 v14, v14 offset:6144
	v_lshlrev_b32_e32 v13, 2, v13
	v_readfirstlane_b32 s4, v7
	v_readfirstlane_b32 s5, v8
	s_waitcnt lgkmcnt(0)
	s_nop 3
	global_store_dword v13, v14, s[4:5]
.LBB747_204:
	s_or_b64 exec, exec, s[2:3]
                                        ; implicit-def: $vgpr13
.LBB747_205:
	;; [unrolled: 51-line block ×8, first 2 shown]
	s_andn2_saveexec_b64 s[0:1], s[0:1]
	s_cbranch_execz .LBB747_255
; %bb.254:
	v_lshlrev_b32_e32 v14, 2, v0
	ds_read_b32 v14, v14 offset:12288
	v_lshlrev_b32_e32 v13, 2, v13
	v_readfirstlane_b32 s2, v9
	v_readfirstlane_b32 s3, v10
	s_waitcnt lgkmcnt(0)
	s_nop 3
	global_store_dword v13, v14, s[2:3]
.LBB747_255:
	s_or_b64 exec, exec, s[0:1]
	s_branch .LBB747_149
.LBB747_256:
	v_cmp_gt_u32_e32 vcc, s18, v0
	s_and_saveexec_b64 s[0:1], vcc
	s_cbranch_execz .LBB747_265
; %bb.257:
	v_cmp_ge_u32_e32 vcc, v0, v1
	s_and_saveexec_b64 s[2:3], vcc
	s_xor_b64 s[2:3], exec, s[2:3]
	s_cbranch_execz .LBB747_263
; %bb.258:
	v_cmp_ge_u32_e32 vcc, v0, v12
	s_and_saveexec_b64 s[4:5], vcc
	s_xor_b64 s[4:5], exec, s[4:5]
	s_cbranch_execz .LBB747_260
; %bb.259:
	v_add_co_u32_e32 v13, vcc, v3, v0
	v_lshlrev_b32_e32 v15, 2, v0
	v_addc_co_u32_e32 v14, vcc, 0, v11, vcc
	ds_read_b32 v15, v15
	v_lshlrev_b64 v[13:14], 2, v[13:14]
	v_mov_b32_e32 v16, s47
	v_sub_co_u32_e32 v13, vcc, s46, v13
	v_subb_co_u32_e32 v14, vcc, v16, v14, vcc
	s_waitcnt lgkmcnt(0)
	global_store_dword v[13:14], v15, off offset:-4
.LBB747_260:
	s_andn2_saveexec_b64 s[4:5], s[4:5]
	s_cbranch_execz .LBB747_262
; %bb.261:
	v_lshlrev_b32_e32 v13, 2, v0
	ds_read_b32 v14, v13
	v_readfirstlane_b32 s6, v7
	v_readfirstlane_b32 s7, v8
	s_waitcnt lgkmcnt(0)
	s_nop 3
	global_store_dword v13, v14, s[6:7]
.LBB747_262:
	s_or_b64 exec, exec, s[4:5]
.LBB747_263:
	s_andn2_saveexec_b64 s[2:3], s[2:3]
	s_cbranch_execz .LBB747_265
; %bb.264:
	v_lshlrev_b32_e32 v13, 2, v0
	ds_read_b32 v14, v13
	v_readfirstlane_b32 s2, v9
	v_readfirstlane_b32 s3, v10
	s_waitcnt lgkmcnt(0)
	s_nop 3
	global_store_dword v13, v14, s[2:3]
.LBB747_265:
	s_or_b64 exec, exec, s[0:1]
	v_or_b32_e32 v13, 0x100, v0
	v_cmp_gt_u32_e32 vcc, s18, v13
	s_and_saveexec_b64 s[0:1], vcc
	s_cbranch_execz .LBB747_274
; %bb.266:
	v_cmp_ge_u32_e32 vcc, v13, v1
	s_and_saveexec_b64 s[2:3], vcc
	s_xor_b64 s[2:3], exec, s[2:3]
	s_cbranch_execz .LBB747_272
; %bb.267:
	v_cmp_ge_u32_e32 vcc, v13, v12
	s_and_saveexec_b64 s[4:5], vcc
	s_xor_b64 s[4:5], exec, s[4:5]
	s_cbranch_execz .LBB747_269
; %bb.268:
	v_lshlrev_b32_e32 v13, 2, v0
	ds_read_b32 v15, v13 offset:1024
	v_add_co_u32_e32 v13, vcc, v3, v0
	v_addc_co_u32_e32 v14, vcc, 0, v11, vcc
	v_lshlrev_b64 v[13:14], 2, v[13:14]
	v_mov_b32_e32 v16, s47
	v_sub_co_u32_e32 v13, vcc, s46, v13
	v_subb_co_u32_e32 v14, vcc, v16, v14, vcc
	s_waitcnt lgkmcnt(0)
	global_store_dword v[13:14], v15, off offset:-1028
.LBB747_269:
	s_andn2_saveexec_b64 s[4:5], s[4:5]
	s_cbranch_execz .LBB747_271
; %bb.270:
	v_lshlrev_b32_e32 v13, 2, v0
	ds_read_b32 v14, v13 offset:1024
	v_readfirstlane_b32 s6, v7
	v_readfirstlane_b32 s7, v8
	s_waitcnt lgkmcnt(0)
	s_nop 3
	global_store_dword v13, v14, s[6:7] offset:1024
.LBB747_271:
	s_or_b64 exec, exec, s[4:5]
.LBB747_272:
	s_andn2_saveexec_b64 s[2:3], s[2:3]
	s_cbranch_execz .LBB747_274
; %bb.273:
	v_lshlrev_b32_e32 v13, 2, v0
	ds_read_b32 v14, v13 offset:1024
	v_readfirstlane_b32 s2, v9
	v_readfirstlane_b32 s3, v10
	s_waitcnt lgkmcnt(0)
	s_nop 3
	global_store_dword v13, v14, s[2:3] offset:1024
.LBB747_274:
	s_or_b64 exec, exec, s[0:1]
	v_or_b32_e32 v13, 0x200, v0
	v_cmp_gt_u32_e32 vcc, s18, v13
	s_and_saveexec_b64 s[0:1], vcc
	s_cbranch_execz .LBB747_283
; %bb.275:
	v_cmp_ge_u32_e32 vcc, v13, v1
	s_and_saveexec_b64 s[2:3], vcc
	s_xor_b64 s[2:3], exec, s[2:3]
	s_cbranch_execz .LBB747_281
; %bb.276:
	v_cmp_ge_u32_e32 vcc, v13, v12
	s_and_saveexec_b64 s[4:5], vcc
	s_xor_b64 s[4:5], exec, s[4:5]
	s_cbranch_execz .LBB747_278
; %bb.277:
	v_lshlrev_b32_e32 v13, 2, v0
	ds_read_b32 v15, v13 offset:2048
	v_add_co_u32_e32 v13, vcc, v3, v0
	v_addc_co_u32_e32 v14, vcc, 0, v11, vcc
	v_lshlrev_b64 v[13:14], 2, v[13:14]
	v_mov_b32_e32 v16, s47
	v_sub_co_u32_e32 v13, vcc, s46, v13
	v_subb_co_u32_e32 v14, vcc, v16, v14, vcc
	s_waitcnt lgkmcnt(0)
	global_store_dword v[13:14], v15, off offset:-2052
.LBB747_278:
	s_andn2_saveexec_b64 s[4:5], s[4:5]
	s_cbranch_execz .LBB747_280
; %bb.279:
	v_lshlrev_b32_e32 v13, 2, v0
	ds_read_b32 v14, v13 offset:2048
	v_readfirstlane_b32 s6, v7
	v_readfirstlane_b32 s7, v8
	s_waitcnt lgkmcnt(0)
	s_nop 3
	global_store_dword v13, v14, s[6:7] offset:2048
.LBB747_280:
	s_or_b64 exec, exec, s[4:5]
.LBB747_281:
	s_andn2_saveexec_b64 s[2:3], s[2:3]
	s_cbranch_execz .LBB747_283
; %bb.282:
	v_lshlrev_b32_e32 v13, 2, v0
	ds_read_b32 v14, v13 offset:2048
	v_readfirstlane_b32 s2, v9
	v_readfirstlane_b32 s3, v10
	s_waitcnt lgkmcnt(0)
	s_nop 3
	global_store_dword v13, v14, s[2:3] offset:2048
.LBB747_283:
	;; [unrolled: 51-line block ×3, first 2 shown]
	s_or_b64 exec, exec, s[0:1]
	v_or_b32_e32 v13, 0x400, v0
	v_cmp_gt_u32_e32 vcc, s18, v13
	s_and_saveexec_b64 s[0:1], vcc
	s_cbranch_execz .LBB747_301
; %bb.293:
	v_cmp_ge_u32_e32 vcc, v13, v1
	s_and_saveexec_b64 s[2:3], vcc
	s_xor_b64 s[2:3], exec, s[2:3]
	s_cbranch_execz .LBB747_299
; %bb.294:
	v_cmp_ge_u32_e32 vcc, v13, v12
	s_and_saveexec_b64 s[4:5], vcc
	s_xor_b64 s[4:5], exec, s[4:5]
	s_cbranch_execz .LBB747_296
; %bb.295:
	v_lshlrev_b32_e32 v13, 2, v0
	ds_read_b32 v15, v13 offset:4096
	v_add_co_u32_e32 v13, vcc, v3, v0
	v_addc_co_u32_e32 v14, vcc, 0, v11, vcc
	v_lshlrev_b64 v[13:14], 2, v[13:14]
	v_mov_b32_e32 v16, s47
	v_sub_co_u32_e32 v13, vcc, s46, v13
	v_subb_co_u32_e32 v14, vcc, v16, v14, vcc
	v_add_co_u32_e32 v13, vcc, 0xfffff000, v13
	v_addc_co_u32_e32 v14, vcc, -1, v14, vcc
	s_waitcnt lgkmcnt(0)
	global_store_dword v[13:14], v15, off offset:-4
                                        ; implicit-def: $vgpr13
.LBB747_296:
	s_andn2_saveexec_b64 s[4:5], s[4:5]
	s_cbranch_execz .LBB747_298
; %bb.297:
	v_lshlrev_b32_e32 v14, 2, v0
	ds_read_b32 v14, v14 offset:4096
	v_lshlrev_b32_e32 v13, 2, v13
	v_readfirstlane_b32 s6, v7
	v_readfirstlane_b32 s7, v8
	s_waitcnt lgkmcnt(0)
	s_nop 3
	global_store_dword v13, v14, s[6:7]
.LBB747_298:
	s_or_b64 exec, exec, s[4:5]
                                        ; implicit-def: $vgpr13
.LBB747_299:
	s_andn2_saveexec_b64 s[2:3], s[2:3]
	s_cbranch_execz .LBB747_301
; %bb.300:
	v_lshlrev_b32_e32 v14, 2, v0
	ds_read_b32 v14, v14 offset:4096
	v_lshlrev_b32_e32 v13, 2, v13
	v_readfirstlane_b32 s2, v9
	v_readfirstlane_b32 s3, v10
	s_waitcnt lgkmcnt(0)
	s_nop 3
	global_store_dword v13, v14, s[2:3]
.LBB747_301:
	s_or_b64 exec, exec, s[0:1]
	v_or_b32_e32 v13, 0x500, v0
	v_cmp_gt_u32_e32 vcc, s18, v13
	s_and_saveexec_b64 s[0:1], vcc
	s_cbranch_execz .LBB747_310
; %bb.302:
	v_cmp_ge_u32_e32 vcc, v13, v1
	s_and_saveexec_b64 s[2:3], vcc
	s_xor_b64 s[2:3], exec, s[2:3]
	s_cbranch_execz .LBB747_308
; %bb.303:
	v_cmp_ge_u32_e32 vcc, v13, v12
	s_and_saveexec_b64 s[4:5], vcc
	s_xor_b64 s[4:5], exec, s[4:5]
	s_cbranch_execz .LBB747_305
; %bb.304:
	v_add_co_u32_e32 v13, vcc, v3, v13
	v_lshlrev_b32_e32 v15, 2, v0
	v_addc_co_u32_e32 v14, vcc, 0, v11, vcc
	ds_read_b32 v15, v15 offset:5120
	v_lshlrev_b64 v[13:14], 2, v[13:14]
	v_mov_b32_e32 v16, s47
	v_sub_co_u32_e32 v13, vcc, s46, v13
	v_subb_co_u32_e32 v14, vcc, v16, v14, vcc
	s_waitcnt lgkmcnt(0)
	global_store_dword v[13:14], v15, off offset:-4
                                        ; implicit-def: $vgpr13
.LBB747_305:
	s_andn2_saveexec_b64 s[4:5], s[4:5]
	s_cbranch_execz .LBB747_307
; %bb.306:
	v_lshlrev_b32_e32 v14, 2, v0
	ds_read_b32 v14, v14 offset:5120
	v_lshlrev_b32_e32 v13, 2, v13
	v_readfirstlane_b32 s6, v7
	v_readfirstlane_b32 s7, v8
	s_waitcnt lgkmcnt(0)
	s_nop 3
	global_store_dword v13, v14, s[6:7]
.LBB747_307:
	s_or_b64 exec, exec, s[4:5]
                                        ; implicit-def: $vgpr13
.LBB747_308:
	s_andn2_saveexec_b64 s[2:3], s[2:3]
	s_cbranch_execz .LBB747_310
; %bb.309:
	v_lshlrev_b32_e32 v14, 2, v0
	ds_read_b32 v14, v14 offset:5120
	v_lshlrev_b32_e32 v13, 2, v13
	v_readfirstlane_b32 s2, v9
	v_readfirstlane_b32 s3, v10
	s_waitcnt lgkmcnt(0)
	s_nop 3
	global_store_dword v13, v14, s[2:3]
.LBB747_310:
	s_or_b64 exec, exec, s[0:1]
	v_or_b32_e32 v13, 0x600, v0
	v_cmp_gt_u32_e32 vcc, s18, v13
	s_and_saveexec_b64 s[0:1], vcc
	s_cbranch_execz .LBB747_319
; %bb.311:
	v_cmp_ge_u32_e32 vcc, v13, v1
	s_and_saveexec_b64 s[2:3], vcc
	s_xor_b64 s[2:3], exec, s[2:3]
	s_cbranch_execz .LBB747_317
; %bb.312:
	v_cmp_ge_u32_e32 vcc, v13, v12
	s_and_saveexec_b64 s[4:5], vcc
	s_xor_b64 s[4:5], exec, s[4:5]
	s_cbranch_execz .LBB747_314
; %bb.313:
	v_add_co_u32_e32 v13, vcc, v3, v13
	v_lshlrev_b32_e32 v15, 2, v0
	v_addc_co_u32_e32 v14, vcc, 0, v11, vcc
	ds_read_b32 v15, v15 offset:6144
	v_lshlrev_b64 v[13:14], 2, v[13:14]
	v_mov_b32_e32 v16, s47
	v_sub_co_u32_e32 v13, vcc, s46, v13
	v_subb_co_u32_e32 v14, vcc, v16, v14, vcc
	s_waitcnt lgkmcnt(0)
	global_store_dword v[13:14], v15, off offset:-4
                                        ; implicit-def: $vgpr13
.LBB747_314:
	s_andn2_saveexec_b64 s[4:5], s[4:5]
	s_cbranch_execz .LBB747_316
; %bb.315:
	v_lshlrev_b32_e32 v14, 2, v0
	ds_read_b32 v14, v14 offset:6144
	v_lshlrev_b32_e32 v13, 2, v13
	v_readfirstlane_b32 s6, v7
	v_readfirstlane_b32 s7, v8
	s_waitcnt lgkmcnt(0)
	s_nop 3
	global_store_dword v13, v14, s[6:7]
.LBB747_316:
	s_or_b64 exec, exec, s[4:5]
                                        ; implicit-def: $vgpr13
.LBB747_317:
	s_andn2_saveexec_b64 s[2:3], s[2:3]
	s_cbranch_execz .LBB747_319
; %bb.318:
	v_lshlrev_b32_e32 v14, 2, v0
	ds_read_b32 v14, v14 offset:6144
	v_lshlrev_b32_e32 v13, 2, v13
	v_readfirstlane_b32 s2, v9
	v_readfirstlane_b32 s3, v10
	s_waitcnt lgkmcnt(0)
	s_nop 3
	global_store_dword v13, v14, s[2:3]
.LBB747_319:
	;; [unrolled: 55-line block ×7, first 2 shown]
	s_or_b64 exec, exec, s[0:1]
	v_or_b32_e32 v13, 0xc00, v0
	v_cmp_gt_u32_e32 vcc, s18, v13
	s_and_saveexec_b64 s[0:1], vcc
	s_cbranch_execz .LBB747_373
; %bb.365:
	v_cmp_ge_u32_e32 vcc, v13, v1
	s_and_saveexec_b64 s[2:3], vcc
	s_xor_b64 s[2:3], exec, s[2:3]
	s_cbranch_execz .LBB747_371
; %bb.366:
	v_cmp_ge_u32_e32 vcc, v13, v12
	s_and_saveexec_b64 s[4:5], vcc
	s_xor_b64 s[4:5], exec, s[4:5]
	s_cbranch_execz .LBB747_368
; %bb.367:
	v_add_co_u32_e32 v7, vcc, v3, v13
	v_lshlrev_b32_e32 v3, 2, v0
	v_addc_co_u32_e32 v8, vcc, 0, v11, vcc
	ds_read_b32 v3, v3 offset:12288
	v_lshlrev_b64 v[7:8], 2, v[7:8]
	v_mov_b32_e32 v9, s47
	v_sub_co_u32_e32 v7, vcc, s46, v7
	v_subb_co_u32_e32 v8, vcc, v9, v8, vcc
	s_waitcnt lgkmcnt(0)
	global_store_dword v[7:8], v3, off offset:-4
                                        ; implicit-def: $vgpr13
                                        ; implicit-def: $vgpr7_vgpr8
.LBB747_368:
	s_andn2_saveexec_b64 s[4:5], s[4:5]
	s_cbranch_execz .LBB747_370
; %bb.369:
	v_lshlrev_b32_e32 v3, 2, v0
	ds_read_b32 v3, v3 offset:12288
	v_lshlrev_b32_e32 v9, 2, v13
	v_readfirstlane_b32 s6, v7
	v_readfirstlane_b32 s7, v8
	s_waitcnt lgkmcnt(0)
	s_nop 3
	global_store_dword v9, v3, s[6:7]
.LBB747_370:
	s_or_b64 exec, exec, s[4:5]
                                        ; implicit-def: $vgpr13
                                        ; implicit-def: $vgpr9_vgpr10
.LBB747_371:
	s_andn2_saveexec_b64 s[2:3], s[2:3]
	s_cbranch_execz .LBB747_373
; %bb.372:
	v_lshlrev_b32_e32 v3, 2, v0
	ds_read_b32 v3, v3 offset:12288
	v_lshlrev_b32_e32 v7, 2, v13
	v_readfirstlane_b32 s2, v9
	v_readfirstlane_b32 s3, v10
	s_waitcnt lgkmcnt(0)
	s_nop 3
	global_store_dword v7, v3, s[2:3]
.LBB747_373:
	s_or_b64 exec, exec, s[0:1]
	v_cmp_eq_u32_e32 vcc, 0, v0
	s_and_b64 s[0:1], vcc, s[34:35]
	s_and_saveexec_b64 s[2:3], s[0:1]
	s_cbranch_execz .LBB747_150
.LBB747_374:
	v_mov_b32_e32 v0, s51
	v_add_co_u32_e32 v2, vcc, s50, v2
	v_addc_co_u32_e32 v0, vcc, 0, v0, vcc
	v_add_co_u32_e32 v2, vcc, v2, v4
	v_addc_co_u32_e32 v3, vcc, 0, v0, vcc
	v_add_co_u32_e32 v0, vcc, v5, v1
	v_mov_b32_e32 v7, 0
	v_addc_co_u32_e32 v1, vcc, 0, v6, vcc
	global_store_dwordx4 v7, v[0:3], s[44:45]
	s_endpgm
.LBB747_375:
	s_add_i32 s6, s6, 64
	s_mov_b32 s7, 0
	s_lshl_b64 s[6:7], s[6:7], 4
	s_add_u32 s6, s12, s6
	s_addc_u32 s7, s13, s7
	v_mov_b32_e32 v24, s7
	v_add_u32_e32 v6, v4, v2
	v_add_u32_e32 v5, v3, v1
	v_mov_b32_e32 v7, 2
	v_mov_b32_e32 v8, 0
	;; [unrolled: 1-line block ×3, first 2 shown]
	;;#ASMSTART
	global_store_dwordx4 v[23:24], v[5:8] off	
s_waitcnt vmcnt(0)
	;;#ASMEND
	s_or_b64 exec, exec, s[14:15]
	s_and_saveexec_b64 s[6:7], s[8:9]
	s_cbranch_execz .LBB747_135
.LBB747_376:
	v_mov_b32_e32 v5, 0
	ds_write_b128 v5, v[1:4] offset:13312
	s_or_b64 exec, exec, s[6:7]
	v_cmp_eq_u32_e32 vcc, 0, v0
	s_and_b64 exec, exec, vcc
	s_cbranch_execnz .LBB747_136
	s_branch .LBB747_137
	.section	.rodata,"a",@progbits
	.p2align	6, 0x0
	.amdhsa_kernel _ZN7rocprim17ROCPRIM_400000_NS6detail17trampoline_kernelINS0_13select_configILj256ELj13ELNS0_17block_load_methodE3ELS4_3ELS4_3ELNS0_20block_scan_algorithmE0ELj4294967295EEENS1_25partition_config_selectorILNS1_17partition_subalgoE4EjNS0_10empty_typeEbEEZZNS1_14partition_implILS8_4ELb0ES6_15HIP_vector_typeIjLj2EENS0_17counting_iteratorIjlEEPS9_SG_NS0_5tupleIJPjSI_NS0_16reverse_iteratorISI_EEEEENSH_IJSG_SG_SG_EEES9_SI_JZNS1_25segmented_radix_sort_implINS0_14default_configELb0EPKlPlSQ_SR_N2at6native12_GLOBAL__N_18offset_tEEE10hipError_tPvRmT1_PNSt15iterator_traitsISZ_E10value_typeET2_T3_PNS10_IS15_E10value_typeET4_jRbjT5_S1B_jjP12ihipStream_tbEUljE_ZNSN_ISO_Lb0ESQ_SR_SQ_SR_SV_EESW_SX_SY_SZ_S13_S14_S15_S18_S19_jS1A_jS1B_S1B_jjS1D_bEUljE0_EEESW_SX_SY_S15_S19_S1B_T6_T7_T9_mT8_S1D_bDpT10_ENKUlT_T0_E_clISt17integral_constantIbLb0EES1R_EEDaS1M_S1N_EUlS1M_E_NS1_11comp_targetILNS1_3genE2ELNS1_11target_archE906ELNS1_3gpuE6ELNS1_3repE0EEENS1_30default_config_static_selectorELNS0_4arch9wavefront6targetE1EEEvSZ_
		.amdhsa_group_segment_fixed_size 13328
		.amdhsa_private_segment_fixed_size 0
		.amdhsa_kernarg_size 176
		.amdhsa_user_sgpr_count 6
		.amdhsa_user_sgpr_private_segment_buffer 1
		.amdhsa_user_sgpr_dispatch_ptr 0
		.amdhsa_user_sgpr_queue_ptr 0
		.amdhsa_user_sgpr_kernarg_segment_ptr 1
		.amdhsa_user_sgpr_dispatch_id 0
		.amdhsa_user_sgpr_flat_scratch_init 0
		.amdhsa_user_sgpr_private_segment_size 0
		.amdhsa_uses_dynamic_stack 0
		.amdhsa_system_sgpr_private_segment_wavefront_offset 0
		.amdhsa_system_sgpr_workgroup_id_x 1
		.amdhsa_system_sgpr_workgroup_id_y 0
		.amdhsa_system_sgpr_workgroup_id_z 0
		.amdhsa_system_sgpr_workgroup_info 0
		.amdhsa_system_vgpr_workitem_id 0
		.amdhsa_next_free_vgpr 86
		.amdhsa_next_free_sgpr 98
		.amdhsa_reserve_vcc 1
		.amdhsa_reserve_flat_scratch 0
		.amdhsa_float_round_mode_32 0
		.amdhsa_float_round_mode_16_64 0
		.amdhsa_float_denorm_mode_32 3
		.amdhsa_float_denorm_mode_16_64 3
		.amdhsa_dx10_clamp 1
		.amdhsa_ieee_mode 1
		.amdhsa_fp16_overflow 0
		.amdhsa_exception_fp_ieee_invalid_op 0
		.amdhsa_exception_fp_denorm_src 0
		.amdhsa_exception_fp_ieee_div_zero 0
		.amdhsa_exception_fp_ieee_overflow 0
		.amdhsa_exception_fp_ieee_underflow 0
		.amdhsa_exception_fp_ieee_inexact 0
		.amdhsa_exception_int_div_zero 0
	.end_amdhsa_kernel
	.section	.text._ZN7rocprim17ROCPRIM_400000_NS6detail17trampoline_kernelINS0_13select_configILj256ELj13ELNS0_17block_load_methodE3ELS4_3ELS4_3ELNS0_20block_scan_algorithmE0ELj4294967295EEENS1_25partition_config_selectorILNS1_17partition_subalgoE4EjNS0_10empty_typeEbEEZZNS1_14partition_implILS8_4ELb0ES6_15HIP_vector_typeIjLj2EENS0_17counting_iteratorIjlEEPS9_SG_NS0_5tupleIJPjSI_NS0_16reverse_iteratorISI_EEEEENSH_IJSG_SG_SG_EEES9_SI_JZNS1_25segmented_radix_sort_implINS0_14default_configELb0EPKlPlSQ_SR_N2at6native12_GLOBAL__N_18offset_tEEE10hipError_tPvRmT1_PNSt15iterator_traitsISZ_E10value_typeET2_T3_PNS10_IS15_E10value_typeET4_jRbjT5_S1B_jjP12ihipStream_tbEUljE_ZNSN_ISO_Lb0ESQ_SR_SQ_SR_SV_EESW_SX_SY_SZ_S13_S14_S15_S18_S19_jS1A_jS1B_S1B_jjS1D_bEUljE0_EEESW_SX_SY_S15_S19_S1B_T6_T7_T9_mT8_S1D_bDpT10_ENKUlT_T0_E_clISt17integral_constantIbLb0EES1R_EEDaS1M_S1N_EUlS1M_E_NS1_11comp_targetILNS1_3genE2ELNS1_11target_archE906ELNS1_3gpuE6ELNS1_3repE0EEENS1_30default_config_static_selectorELNS0_4arch9wavefront6targetE1EEEvSZ_,"axG",@progbits,_ZN7rocprim17ROCPRIM_400000_NS6detail17trampoline_kernelINS0_13select_configILj256ELj13ELNS0_17block_load_methodE3ELS4_3ELS4_3ELNS0_20block_scan_algorithmE0ELj4294967295EEENS1_25partition_config_selectorILNS1_17partition_subalgoE4EjNS0_10empty_typeEbEEZZNS1_14partition_implILS8_4ELb0ES6_15HIP_vector_typeIjLj2EENS0_17counting_iteratorIjlEEPS9_SG_NS0_5tupleIJPjSI_NS0_16reverse_iteratorISI_EEEEENSH_IJSG_SG_SG_EEES9_SI_JZNS1_25segmented_radix_sort_implINS0_14default_configELb0EPKlPlSQ_SR_N2at6native12_GLOBAL__N_18offset_tEEE10hipError_tPvRmT1_PNSt15iterator_traitsISZ_E10value_typeET2_T3_PNS10_IS15_E10value_typeET4_jRbjT5_S1B_jjP12ihipStream_tbEUljE_ZNSN_ISO_Lb0ESQ_SR_SQ_SR_SV_EESW_SX_SY_SZ_S13_S14_S15_S18_S19_jS1A_jS1B_S1B_jjS1D_bEUljE0_EEESW_SX_SY_S15_S19_S1B_T6_T7_T9_mT8_S1D_bDpT10_ENKUlT_T0_E_clISt17integral_constantIbLb0EES1R_EEDaS1M_S1N_EUlS1M_E_NS1_11comp_targetILNS1_3genE2ELNS1_11target_archE906ELNS1_3gpuE6ELNS1_3repE0EEENS1_30default_config_static_selectorELNS0_4arch9wavefront6targetE1EEEvSZ_,comdat
.Lfunc_end747:
	.size	_ZN7rocprim17ROCPRIM_400000_NS6detail17trampoline_kernelINS0_13select_configILj256ELj13ELNS0_17block_load_methodE3ELS4_3ELS4_3ELNS0_20block_scan_algorithmE0ELj4294967295EEENS1_25partition_config_selectorILNS1_17partition_subalgoE4EjNS0_10empty_typeEbEEZZNS1_14partition_implILS8_4ELb0ES6_15HIP_vector_typeIjLj2EENS0_17counting_iteratorIjlEEPS9_SG_NS0_5tupleIJPjSI_NS0_16reverse_iteratorISI_EEEEENSH_IJSG_SG_SG_EEES9_SI_JZNS1_25segmented_radix_sort_implINS0_14default_configELb0EPKlPlSQ_SR_N2at6native12_GLOBAL__N_18offset_tEEE10hipError_tPvRmT1_PNSt15iterator_traitsISZ_E10value_typeET2_T3_PNS10_IS15_E10value_typeET4_jRbjT5_S1B_jjP12ihipStream_tbEUljE_ZNSN_ISO_Lb0ESQ_SR_SQ_SR_SV_EESW_SX_SY_SZ_S13_S14_S15_S18_S19_jS1A_jS1B_S1B_jjS1D_bEUljE0_EEESW_SX_SY_S15_S19_S1B_T6_T7_T9_mT8_S1D_bDpT10_ENKUlT_T0_E_clISt17integral_constantIbLb0EES1R_EEDaS1M_S1N_EUlS1M_E_NS1_11comp_targetILNS1_3genE2ELNS1_11target_archE906ELNS1_3gpuE6ELNS1_3repE0EEENS1_30default_config_static_selectorELNS0_4arch9wavefront6targetE1EEEvSZ_, .Lfunc_end747-_ZN7rocprim17ROCPRIM_400000_NS6detail17trampoline_kernelINS0_13select_configILj256ELj13ELNS0_17block_load_methodE3ELS4_3ELS4_3ELNS0_20block_scan_algorithmE0ELj4294967295EEENS1_25partition_config_selectorILNS1_17partition_subalgoE4EjNS0_10empty_typeEbEEZZNS1_14partition_implILS8_4ELb0ES6_15HIP_vector_typeIjLj2EENS0_17counting_iteratorIjlEEPS9_SG_NS0_5tupleIJPjSI_NS0_16reverse_iteratorISI_EEEEENSH_IJSG_SG_SG_EEES9_SI_JZNS1_25segmented_radix_sort_implINS0_14default_configELb0EPKlPlSQ_SR_N2at6native12_GLOBAL__N_18offset_tEEE10hipError_tPvRmT1_PNSt15iterator_traitsISZ_E10value_typeET2_T3_PNS10_IS15_E10value_typeET4_jRbjT5_S1B_jjP12ihipStream_tbEUljE_ZNSN_ISO_Lb0ESQ_SR_SQ_SR_SV_EESW_SX_SY_SZ_S13_S14_S15_S18_S19_jS1A_jS1B_S1B_jjS1D_bEUljE0_EEESW_SX_SY_S15_S19_S1B_T6_T7_T9_mT8_S1D_bDpT10_ENKUlT_T0_E_clISt17integral_constantIbLb0EES1R_EEDaS1M_S1N_EUlS1M_E_NS1_11comp_targetILNS1_3genE2ELNS1_11target_archE906ELNS1_3gpuE6ELNS1_3repE0EEENS1_30default_config_static_selectorELNS0_4arch9wavefront6targetE1EEEvSZ_
                                        ; -- End function
	.set _ZN7rocprim17ROCPRIM_400000_NS6detail17trampoline_kernelINS0_13select_configILj256ELj13ELNS0_17block_load_methodE3ELS4_3ELS4_3ELNS0_20block_scan_algorithmE0ELj4294967295EEENS1_25partition_config_selectorILNS1_17partition_subalgoE4EjNS0_10empty_typeEbEEZZNS1_14partition_implILS8_4ELb0ES6_15HIP_vector_typeIjLj2EENS0_17counting_iteratorIjlEEPS9_SG_NS0_5tupleIJPjSI_NS0_16reverse_iteratorISI_EEEEENSH_IJSG_SG_SG_EEES9_SI_JZNS1_25segmented_radix_sort_implINS0_14default_configELb0EPKlPlSQ_SR_N2at6native12_GLOBAL__N_18offset_tEEE10hipError_tPvRmT1_PNSt15iterator_traitsISZ_E10value_typeET2_T3_PNS10_IS15_E10value_typeET4_jRbjT5_S1B_jjP12ihipStream_tbEUljE_ZNSN_ISO_Lb0ESQ_SR_SQ_SR_SV_EESW_SX_SY_SZ_S13_S14_S15_S18_S19_jS1A_jS1B_S1B_jjS1D_bEUljE0_EEESW_SX_SY_S15_S19_S1B_T6_T7_T9_mT8_S1D_bDpT10_ENKUlT_T0_E_clISt17integral_constantIbLb0EES1R_EEDaS1M_S1N_EUlS1M_E_NS1_11comp_targetILNS1_3genE2ELNS1_11target_archE906ELNS1_3gpuE6ELNS1_3repE0EEENS1_30default_config_static_selectorELNS0_4arch9wavefront6targetE1EEEvSZ_.num_vgpr, 86
	.set _ZN7rocprim17ROCPRIM_400000_NS6detail17trampoline_kernelINS0_13select_configILj256ELj13ELNS0_17block_load_methodE3ELS4_3ELS4_3ELNS0_20block_scan_algorithmE0ELj4294967295EEENS1_25partition_config_selectorILNS1_17partition_subalgoE4EjNS0_10empty_typeEbEEZZNS1_14partition_implILS8_4ELb0ES6_15HIP_vector_typeIjLj2EENS0_17counting_iteratorIjlEEPS9_SG_NS0_5tupleIJPjSI_NS0_16reverse_iteratorISI_EEEEENSH_IJSG_SG_SG_EEES9_SI_JZNS1_25segmented_radix_sort_implINS0_14default_configELb0EPKlPlSQ_SR_N2at6native12_GLOBAL__N_18offset_tEEE10hipError_tPvRmT1_PNSt15iterator_traitsISZ_E10value_typeET2_T3_PNS10_IS15_E10value_typeET4_jRbjT5_S1B_jjP12ihipStream_tbEUljE_ZNSN_ISO_Lb0ESQ_SR_SQ_SR_SV_EESW_SX_SY_SZ_S13_S14_S15_S18_S19_jS1A_jS1B_S1B_jjS1D_bEUljE0_EEESW_SX_SY_S15_S19_S1B_T6_T7_T9_mT8_S1D_bDpT10_ENKUlT_T0_E_clISt17integral_constantIbLb0EES1R_EEDaS1M_S1N_EUlS1M_E_NS1_11comp_targetILNS1_3genE2ELNS1_11target_archE906ELNS1_3gpuE6ELNS1_3repE0EEENS1_30default_config_static_selectorELNS0_4arch9wavefront6targetE1EEEvSZ_.num_agpr, 0
	.set _ZN7rocprim17ROCPRIM_400000_NS6detail17trampoline_kernelINS0_13select_configILj256ELj13ELNS0_17block_load_methodE3ELS4_3ELS4_3ELNS0_20block_scan_algorithmE0ELj4294967295EEENS1_25partition_config_selectorILNS1_17partition_subalgoE4EjNS0_10empty_typeEbEEZZNS1_14partition_implILS8_4ELb0ES6_15HIP_vector_typeIjLj2EENS0_17counting_iteratorIjlEEPS9_SG_NS0_5tupleIJPjSI_NS0_16reverse_iteratorISI_EEEEENSH_IJSG_SG_SG_EEES9_SI_JZNS1_25segmented_radix_sort_implINS0_14default_configELb0EPKlPlSQ_SR_N2at6native12_GLOBAL__N_18offset_tEEE10hipError_tPvRmT1_PNSt15iterator_traitsISZ_E10value_typeET2_T3_PNS10_IS15_E10value_typeET4_jRbjT5_S1B_jjP12ihipStream_tbEUljE_ZNSN_ISO_Lb0ESQ_SR_SQ_SR_SV_EESW_SX_SY_SZ_S13_S14_S15_S18_S19_jS1A_jS1B_S1B_jjS1D_bEUljE0_EEESW_SX_SY_S15_S19_S1B_T6_T7_T9_mT8_S1D_bDpT10_ENKUlT_T0_E_clISt17integral_constantIbLb0EES1R_EEDaS1M_S1N_EUlS1M_E_NS1_11comp_targetILNS1_3genE2ELNS1_11target_archE906ELNS1_3gpuE6ELNS1_3repE0EEENS1_30default_config_static_selectorELNS0_4arch9wavefront6targetE1EEEvSZ_.numbered_sgpr, 90
	.set _ZN7rocprim17ROCPRIM_400000_NS6detail17trampoline_kernelINS0_13select_configILj256ELj13ELNS0_17block_load_methodE3ELS4_3ELS4_3ELNS0_20block_scan_algorithmE0ELj4294967295EEENS1_25partition_config_selectorILNS1_17partition_subalgoE4EjNS0_10empty_typeEbEEZZNS1_14partition_implILS8_4ELb0ES6_15HIP_vector_typeIjLj2EENS0_17counting_iteratorIjlEEPS9_SG_NS0_5tupleIJPjSI_NS0_16reverse_iteratorISI_EEEEENSH_IJSG_SG_SG_EEES9_SI_JZNS1_25segmented_radix_sort_implINS0_14default_configELb0EPKlPlSQ_SR_N2at6native12_GLOBAL__N_18offset_tEEE10hipError_tPvRmT1_PNSt15iterator_traitsISZ_E10value_typeET2_T3_PNS10_IS15_E10value_typeET4_jRbjT5_S1B_jjP12ihipStream_tbEUljE_ZNSN_ISO_Lb0ESQ_SR_SQ_SR_SV_EESW_SX_SY_SZ_S13_S14_S15_S18_S19_jS1A_jS1B_S1B_jjS1D_bEUljE0_EEESW_SX_SY_S15_S19_S1B_T6_T7_T9_mT8_S1D_bDpT10_ENKUlT_T0_E_clISt17integral_constantIbLb0EES1R_EEDaS1M_S1N_EUlS1M_E_NS1_11comp_targetILNS1_3genE2ELNS1_11target_archE906ELNS1_3gpuE6ELNS1_3repE0EEENS1_30default_config_static_selectorELNS0_4arch9wavefront6targetE1EEEvSZ_.num_named_barrier, 0
	.set _ZN7rocprim17ROCPRIM_400000_NS6detail17trampoline_kernelINS0_13select_configILj256ELj13ELNS0_17block_load_methodE3ELS4_3ELS4_3ELNS0_20block_scan_algorithmE0ELj4294967295EEENS1_25partition_config_selectorILNS1_17partition_subalgoE4EjNS0_10empty_typeEbEEZZNS1_14partition_implILS8_4ELb0ES6_15HIP_vector_typeIjLj2EENS0_17counting_iteratorIjlEEPS9_SG_NS0_5tupleIJPjSI_NS0_16reverse_iteratorISI_EEEEENSH_IJSG_SG_SG_EEES9_SI_JZNS1_25segmented_radix_sort_implINS0_14default_configELb0EPKlPlSQ_SR_N2at6native12_GLOBAL__N_18offset_tEEE10hipError_tPvRmT1_PNSt15iterator_traitsISZ_E10value_typeET2_T3_PNS10_IS15_E10value_typeET4_jRbjT5_S1B_jjP12ihipStream_tbEUljE_ZNSN_ISO_Lb0ESQ_SR_SQ_SR_SV_EESW_SX_SY_SZ_S13_S14_S15_S18_S19_jS1A_jS1B_S1B_jjS1D_bEUljE0_EEESW_SX_SY_S15_S19_S1B_T6_T7_T9_mT8_S1D_bDpT10_ENKUlT_T0_E_clISt17integral_constantIbLb0EES1R_EEDaS1M_S1N_EUlS1M_E_NS1_11comp_targetILNS1_3genE2ELNS1_11target_archE906ELNS1_3gpuE6ELNS1_3repE0EEENS1_30default_config_static_selectorELNS0_4arch9wavefront6targetE1EEEvSZ_.private_seg_size, 0
	.set _ZN7rocprim17ROCPRIM_400000_NS6detail17trampoline_kernelINS0_13select_configILj256ELj13ELNS0_17block_load_methodE3ELS4_3ELS4_3ELNS0_20block_scan_algorithmE0ELj4294967295EEENS1_25partition_config_selectorILNS1_17partition_subalgoE4EjNS0_10empty_typeEbEEZZNS1_14partition_implILS8_4ELb0ES6_15HIP_vector_typeIjLj2EENS0_17counting_iteratorIjlEEPS9_SG_NS0_5tupleIJPjSI_NS0_16reverse_iteratorISI_EEEEENSH_IJSG_SG_SG_EEES9_SI_JZNS1_25segmented_radix_sort_implINS0_14default_configELb0EPKlPlSQ_SR_N2at6native12_GLOBAL__N_18offset_tEEE10hipError_tPvRmT1_PNSt15iterator_traitsISZ_E10value_typeET2_T3_PNS10_IS15_E10value_typeET4_jRbjT5_S1B_jjP12ihipStream_tbEUljE_ZNSN_ISO_Lb0ESQ_SR_SQ_SR_SV_EESW_SX_SY_SZ_S13_S14_S15_S18_S19_jS1A_jS1B_S1B_jjS1D_bEUljE0_EEESW_SX_SY_S15_S19_S1B_T6_T7_T9_mT8_S1D_bDpT10_ENKUlT_T0_E_clISt17integral_constantIbLb0EES1R_EEDaS1M_S1N_EUlS1M_E_NS1_11comp_targetILNS1_3genE2ELNS1_11target_archE906ELNS1_3gpuE6ELNS1_3repE0EEENS1_30default_config_static_selectorELNS0_4arch9wavefront6targetE1EEEvSZ_.uses_vcc, 1
	.set _ZN7rocprim17ROCPRIM_400000_NS6detail17trampoline_kernelINS0_13select_configILj256ELj13ELNS0_17block_load_methodE3ELS4_3ELS4_3ELNS0_20block_scan_algorithmE0ELj4294967295EEENS1_25partition_config_selectorILNS1_17partition_subalgoE4EjNS0_10empty_typeEbEEZZNS1_14partition_implILS8_4ELb0ES6_15HIP_vector_typeIjLj2EENS0_17counting_iteratorIjlEEPS9_SG_NS0_5tupleIJPjSI_NS0_16reverse_iteratorISI_EEEEENSH_IJSG_SG_SG_EEES9_SI_JZNS1_25segmented_radix_sort_implINS0_14default_configELb0EPKlPlSQ_SR_N2at6native12_GLOBAL__N_18offset_tEEE10hipError_tPvRmT1_PNSt15iterator_traitsISZ_E10value_typeET2_T3_PNS10_IS15_E10value_typeET4_jRbjT5_S1B_jjP12ihipStream_tbEUljE_ZNSN_ISO_Lb0ESQ_SR_SQ_SR_SV_EESW_SX_SY_SZ_S13_S14_S15_S18_S19_jS1A_jS1B_S1B_jjS1D_bEUljE0_EEESW_SX_SY_S15_S19_S1B_T6_T7_T9_mT8_S1D_bDpT10_ENKUlT_T0_E_clISt17integral_constantIbLb0EES1R_EEDaS1M_S1N_EUlS1M_E_NS1_11comp_targetILNS1_3genE2ELNS1_11target_archE906ELNS1_3gpuE6ELNS1_3repE0EEENS1_30default_config_static_selectorELNS0_4arch9wavefront6targetE1EEEvSZ_.uses_flat_scratch, 0
	.set _ZN7rocprim17ROCPRIM_400000_NS6detail17trampoline_kernelINS0_13select_configILj256ELj13ELNS0_17block_load_methodE3ELS4_3ELS4_3ELNS0_20block_scan_algorithmE0ELj4294967295EEENS1_25partition_config_selectorILNS1_17partition_subalgoE4EjNS0_10empty_typeEbEEZZNS1_14partition_implILS8_4ELb0ES6_15HIP_vector_typeIjLj2EENS0_17counting_iteratorIjlEEPS9_SG_NS0_5tupleIJPjSI_NS0_16reverse_iteratorISI_EEEEENSH_IJSG_SG_SG_EEES9_SI_JZNS1_25segmented_radix_sort_implINS0_14default_configELb0EPKlPlSQ_SR_N2at6native12_GLOBAL__N_18offset_tEEE10hipError_tPvRmT1_PNSt15iterator_traitsISZ_E10value_typeET2_T3_PNS10_IS15_E10value_typeET4_jRbjT5_S1B_jjP12ihipStream_tbEUljE_ZNSN_ISO_Lb0ESQ_SR_SQ_SR_SV_EESW_SX_SY_SZ_S13_S14_S15_S18_S19_jS1A_jS1B_S1B_jjS1D_bEUljE0_EEESW_SX_SY_S15_S19_S1B_T6_T7_T9_mT8_S1D_bDpT10_ENKUlT_T0_E_clISt17integral_constantIbLb0EES1R_EEDaS1M_S1N_EUlS1M_E_NS1_11comp_targetILNS1_3genE2ELNS1_11target_archE906ELNS1_3gpuE6ELNS1_3repE0EEENS1_30default_config_static_selectorELNS0_4arch9wavefront6targetE1EEEvSZ_.has_dyn_sized_stack, 0
	.set _ZN7rocprim17ROCPRIM_400000_NS6detail17trampoline_kernelINS0_13select_configILj256ELj13ELNS0_17block_load_methodE3ELS4_3ELS4_3ELNS0_20block_scan_algorithmE0ELj4294967295EEENS1_25partition_config_selectorILNS1_17partition_subalgoE4EjNS0_10empty_typeEbEEZZNS1_14partition_implILS8_4ELb0ES6_15HIP_vector_typeIjLj2EENS0_17counting_iteratorIjlEEPS9_SG_NS0_5tupleIJPjSI_NS0_16reverse_iteratorISI_EEEEENSH_IJSG_SG_SG_EEES9_SI_JZNS1_25segmented_radix_sort_implINS0_14default_configELb0EPKlPlSQ_SR_N2at6native12_GLOBAL__N_18offset_tEEE10hipError_tPvRmT1_PNSt15iterator_traitsISZ_E10value_typeET2_T3_PNS10_IS15_E10value_typeET4_jRbjT5_S1B_jjP12ihipStream_tbEUljE_ZNSN_ISO_Lb0ESQ_SR_SQ_SR_SV_EESW_SX_SY_SZ_S13_S14_S15_S18_S19_jS1A_jS1B_S1B_jjS1D_bEUljE0_EEESW_SX_SY_S15_S19_S1B_T6_T7_T9_mT8_S1D_bDpT10_ENKUlT_T0_E_clISt17integral_constantIbLb0EES1R_EEDaS1M_S1N_EUlS1M_E_NS1_11comp_targetILNS1_3genE2ELNS1_11target_archE906ELNS1_3gpuE6ELNS1_3repE0EEENS1_30default_config_static_selectorELNS0_4arch9wavefront6targetE1EEEvSZ_.has_recursion, 0
	.set _ZN7rocprim17ROCPRIM_400000_NS6detail17trampoline_kernelINS0_13select_configILj256ELj13ELNS0_17block_load_methodE3ELS4_3ELS4_3ELNS0_20block_scan_algorithmE0ELj4294967295EEENS1_25partition_config_selectorILNS1_17partition_subalgoE4EjNS0_10empty_typeEbEEZZNS1_14partition_implILS8_4ELb0ES6_15HIP_vector_typeIjLj2EENS0_17counting_iteratorIjlEEPS9_SG_NS0_5tupleIJPjSI_NS0_16reverse_iteratorISI_EEEEENSH_IJSG_SG_SG_EEES9_SI_JZNS1_25segmented_radix_sort_implINS0_14default_configELb0EPKlPlSQ_SR_N2at6native12_GLOBAL__N_18offset_tEEE10hipError_tPvRmT1_PNSt15iterator_traitsISZ_E10value_typeET2_T3_PNS10_IS15_E10value_typeET4_jRbjT5_S1B_jjP12ihipStream_tbEUljE_ZNSN_ISO_Lb0ESQ_SR_SQ_SR_SV_EESW_SX_SY_SZ_S13_S14_S15_S18_S19_jS1A_jS1B_S1B_jjS1D_bEUljE0_EEESW_SX_SY_S15_S19_S1B_T6_T7_T9_mT8_S1D_bDpT10_ENKUlT_T0_E_clISt17integral_constantIbLb0EES1R_EEDaS1M_S1N_EUlS1M_E_NS1_11comp_targetILNS1_3genE2ELNS1_11target_archE906ELNS1_3gpuE6ELNS1_3repE0EEENS1_30default_config_static_selectorELNS0_4arch9wavefront6targetE1EEEvSZ_.has_indirect_call, 0
	.section	.AMDGPU.csdata,"",@progbits
; Kernel info:
; codeLenInByte = 15480
; TotalNumSgprs: 94
; NumVgprs: 86
; ScratchSize: 0
; MemoryBound: 0
; FloatMode: 240
; IeeeMode: 1
; LDSByteSize: 13328 bytes/workgroup (compile time only)
; SGPRBlocks: 12
; VGPRBlocks: 21
; NumSGPRsForWavesPerEU: 102
; NumVGPRsForWavesPerEU: 86
; Occupancy: 2
; WaveLimiterHint : 1
; COMPUTE_PGM_RSRC2:SCRATCH_EN: 0
; COMPUTE_PGM_RSRC2:USER_SGPR: 6
; COMPUTE_PGM_RSRC2:TRAP_HANDLER: 0
; COMPUTE_PGM_RSRC2:TGID_X_EN: 1
; COMPUTE_PGM_RSRC2:TGID_Y_EN: 0
; COMPUTE_PGM_RSRC2:TGID_Z_EN: 0
; COMPUTE_PGM_RSRC2:TIDIG_COMP_CNT: 0
	.section	.text._ZN7rocprim17ROCPRIM_400000_NS6detail17trampoline_kernelINS0_13select_configILj256ELj13ELNS0_17block_load_methodE3ELS4_3ELS4_3ELNS0_20block_scan_algorithmE0ELj4294967295EEENS1_25partition_config_selectorILNS1_17partition_subalgoE4EjNS0_10empty_typeEbEEZZNS1_14partition_implILS8_4ELb0ES6_15HIP_vector_typeIjLj2EENS0_17counting_iteratorIjlEEPS9_SG_NS0_5tupleIJPjSI_NS0_16reverse_iteratorISI_EEEEENSH_IJSG_SG_SG_EEES9_SI_JZNS1_25segmented_radix_sort_implINS0_14default_configELb0EPKlPlSQ_SR_N2at6native12_GLOBAL__N_18offset_tEEE10hipError_tPvRmT1_PNSt15iterator_traitsISZ_E10value_typeET2_T3_PNS10_IS15_E10value_typeET4_jRbjT5_S1B_jjP12ihipStream_tbEUljE_ZNSN_ISO_Lb0ESQ_SR_SQ_SR_SV_EESW_SX_SY_SZ_S13_S14_S15_S18_S19_jS1A_jS1B_S1B_jjS1D_bEUljE0_EEESW_SX_SY_S15_S19_S1B_T6_T7_T9_mT8_S1D_bDpT10_ENKUlT_T0_E_clISt17integral_constantIbLb0EES1R_EEDaS1M_S1N_EUlS1M_E_NS1_11comp_targetILNS1_3genE10ELNS1_11target_archE1200ELNS1_3gpuE4ELNS1_3repE0EEENS1_30default_config_static_selectorELNS0_4arch9wavefront6targetE1EEEvSZ_,"axG",@progbits,_ZN7rocprim17ROCPRIM_400000_NS6detail17trampoline_kernelINS0_13select_configILj256ELj13ELNS0_17block_load_methodE3ELS4_3ELS4_3ELNS0_20block_scan_algorithmE0ELj4294967295EEENS1_25partition_config_selectorILNS1_17partition_subalgoE4EjNS0_10empty_typeEbEEZZNS1_14partition_implILS8_4ELb0ES6_15HIP_vector_typeIjLj2EENS0_17counting_iteratorIjlEEPS9_SG_NS0_5tupleIJPjSI_NS0_16reverse_iteratorISI_EEEEENSH_IJSG_SG_SG_EEES9_SI_JZNS1_25segmented_radix_sort_implINS0_14default_configELb0EPKlPlSQ_SR_N2at6native12_GLOBAL__N_18offset_tEEE10hipError_tPvRmT1_PNSt15iterator_traitsISZ_E10value_typeET2_T3_PNS10_IS15_E10value_typeET4_jRbjT5_S1B_jjP12ihipStream_tbEUljE_ZNSN_ISO_Lb0ESQ_SR_SQ_SR_SV_EESW_SX_SY_SZ_S13_S14_S15_S18_S19_jS1A_jS1B_S1B_jjS1D_bEUljE0_EEESW_SX_SY_S15_S19_S1B_T6_T7_T9_mT8_S1D_bDpT10_ENKUlT_T0_E_clISt17integral_constantIbLb0EES1R_EEDaS1M_S1N_EUlS1M_E_NS1_11comp_targetILNS1_3genE10ELNS1_11target_archE1200ELNS1_3gpuE4ELNS1_3repE0EEENS1_30default_config_static_selectorELNS0_4arch9wavefront6targetE1EEEvSZ_,comdat
	.globl	_ZN7rocprim17ROCPRIM_400000_NS6detail17trampoline_kernelINS0_13select_configILj256ELj13ELNS0_17block_load_methodE3ELS4_3ELS4_3ELNS0_20block_scan_algorithmE0ELj4294967295EEENS1_25partition_config_selectorILNS1_17partition_subalgoE4EjNS0_10empty_typeEbEEZZNS1_14partition_implILS8_4ELb0ES6_15HIP_vector_typeIjLj2EENS0_17counting_iteratorIjlEEPS9_SG_NS0_5tupleIJPjSI_NS0_16reverse_iteratorISI_EEEEENSH_IJSG_SG_SG_EEES9_SI_JZNS1_25segmented_radix_sort_implINS0_14default_configELb0EPKlPlSQ_SR_N2at6native12_GLOBAL__N_18offset_tEEE10hipError_tPvRmT1_PNSt15iterator_traitsISZ_E10value_typeET2_T3_PNS10_IS15_E10value_typeET4_jRbjT5_S1B_jjP12ihipStream_tbEUljE_ZNSN_ISO_Lb0ESQ_SR_SQ_SR_SV_EESW_SX_SY_SZ_S13_S14_S15_S18_S19_jS1A_jS1B_S1B_jjS1D_bEUljE0_EEESW_SX_SY_S15_S19_S1B_T6_T7_T9_mT8_S1D_bDpT10_ENKUlT_T0_E_clISt17integral_constantIbLb0EES1R_EEDaS1M_S1N_EUlS1M_E_NS1_11comp_targetILNS1_3genE10ELNS1_11target_archE1200ELNS1_3gpuE4ELNS1_3repE0EEENS1_30default_config_static_selectorELNS0_4arch9wavefront6targetE1EEEvSZ_ ; -- Begin function _ZN7rocprim17ROCPRIM_400000_NS6detail17trampoline_kernelINS0_13select_configILj256ELj13ELNS0_17block_load_methodE3ELS4_3ELS4_3ELNS0_20block_scan_algorithmE0ELj4294967295EEENS1_25partition_config_selectorILNS1_17partition_subalgoE4EjNS0_10empty_typeEbEEZZNS1_14partition_implILS8_4ELb0ES6_15HIP_vector_typeIjLj2EENS0_17counting_iteratorIjlEEPS9_SG_NS0_5tupleIJPjSI_NS0_16reverse_iteratorISI_EEEEENSH_IJSG_SG_SG_EEES9_SI_JZNS1_25segmented_radix_sort_implINS0_14default_configELb0EPKlPlSQ_SR_N2at6native12_GLOBAL__N_18offset_tEEE10hipError_tPvRmT1_PNSt15iterator_traitsISZ_E10value_typeET2_T3_PNS10_IS15_E10value_typeET4_jRbjT5_S1B_jjP12ihipStream_tbEUljE_ZNSN_ISO_Lb0ESQ_SR_SQ_SR_SV_EESW_SX_SY_SZ_S13_S14_S15_S18_S19_jS1A_jS1B_S1B_jjS1D_bEUljE0_EEESW_SX_SY_S15_S19_S1B_T6_T7_T9_mT8_S1D_bDpT10_ENKUlT_T0_E_clISt17integral_constantIbLb0EES1R_EEDaS1M_S1N_EUlS1M_E_NS1_11comp_targetILNS1_3genE10ELNS1_11target_archE1200ELNS1_3gpuE4ELNS1_3repE0EEENS1_30default_config_static_selectorELNS0_4arch9wavefront6targetE1EEEvSZ_
	.p2align	8
	.type	_ZN7rocprim17ROCPRIM_400000_NS6detail17trampoline_kernelINS0_13select_configILj256ELj13ELNS0_17block_load_methodE3ELS4_3ELS4_3ELNS0_20block_scan_algorithmE0ELj4294967295EEENS1_25partition_config_selectorILNS1_17partition_subalgoE4EjNS0_10empty_typeEbEEZZNS1_14partition_implILS8_4ELb0ES6_15HIP_vector_typeIjLj2EENS0_17counting_iteratorIjlEEPS9_SG_NS0_5tupleIJPjSI_NS0_16reverse_iteratorISI_EEEEENSH_IJSG_SG_SG_EEES9_SI_JZNS1_25segmented_radix_sort_implINS0_14default_configELb0EPKlPlSQ_SR_N2at6native12_GLOBAL__N_18offset_tEEE10hipError_tPvRmT1_PNSt15iterator_traitsISZ_E10value_typeET2_T3_PNS10_IS15_E10value_typeET4_jRbjT5_S1B_jjP12ihipStream_tbEUljE_ZNSN_ISO_Lb0ESQ_SR_SQ_SR_SV_EESW_SX_SY_SZ_S13_S14_S15_S18_S19_jS1A_jS1B_S1B_jjS1D_bEUljE0_EEESW_SX_SY_S15_S19_S1B_T6_T7_T9_mT8_S1D_bDpT10_ENKUlT_T0_E_clISt17integral_constantIbLb0EES1R_EEDaS1M_S1N_EUlS1M_E_NS1_11comp_targetILNS1_3genE10ELNS1_11target_archE1200ELNS1_3gpuE4ELNS1_3repE0EEENS1_30default_config_static_selectorELNS0_4arch9wavefront6targetE1EEEvSZ_,@function
_ZN7rocprim17ROCPRIM_400000_NS6detail17trampoline_kernelINS0_13select_configILj256ELj13ELNS0_17block_load_methodE3ELS4_3ELS4_3ELNS0_20block_scan_algorithmE0ELj4294967295EEENS1_25partition_config_selectorILNS1_17partition_subalgoE4EjNS0_10empty_typeEbEEZZNS1_14partition_implILS8_4ELb0ES6_15HIP_vector_typeIjLj2EENS0_17counting_iteratorIjlEEPS9_SG_NS0_5tupleIJPjSI_NS0_16reverse_iteratorISI_EEEEENSH_IJSG_SG_SG_EEES9_SI_JZNS1_25segmented_radix_sort_implINS0_14default_configELb0EPKlPlSQ_SR_N2at6native12_GLOBAL__N_18offset_tEEE10hipError_tPvRmT1_PNSt15iterator_traitsISZ_E10value_typeET2_T3_PNS10_IS15_E10value_typeET4_jRbjT5_S1B_jjP12ihipStream_tbEUljE_ZNSN_ISO_Lb0ESQ_SR_SQ_SR_SV_EESW_SX_SY_SZ_S13_S14_S15_S18_S19_jS1A_jS1B_S1B_jjS1D_bEUljE0_EEESW_SX_SY_S15_S19_S1B_T6_T7_T9_mT8_S1D_bDpT10_ENKUlT_T0_E_clISt17integral_constantIbLb0EES1R_EEDaS1M_S1N_EUlS1M_E_NS1_11comp_targetILNS1_3genE10ELNS1_11target_archE1200ELNS1_3gpuE4ELNS1_3repE0EEENS1_30default_config_static_selectorELNS0_4arch9wavefront6targetE1EEEvSZ_: ; @_ZN7rocprim17ROCPRIM_400000_NS6detail17trampoline_kernelINS0_13select_configILj256ELj13ELNS0_17block_load_methodE3ELS4_3ELS4_3ELNS0_20block_scan_algorithmE0ELj4294967295EEENS1_25partition_config_selectorILNS1_17partition_subalgoE4EjNS0_10empty_typeEbEEZZNS1_14partition_implILS8_4ELb0ES6_15HIP_vector_typeIjLj2EENS0_17counting_iteratorIjlEEPS9_SG_NS0_5tupleIJPjSI_NS0_16reverse_iteratorISI_EEEEENSH_IJSG_SG_SG_EEES9_SI_JZNS1_25segmented_radix_sort_implINS0_14default_configELb0EPKlPlSQ_SR_N2at6native12_GLOBAL__N_18offset_tEEE10hipError_tPvRmT1_PNSt15iterator_traitsISZ_E10value_typeET2_T3_PNS10_IS15_E10value_typeET4_jRbjT5_S1B_jjP12ihipStream_tbEUljE_ZNSN_ISO_Lb0ESQ_SR_SQ_SR_SV_EESW_SX_SY_SZ_S13_S14_S15_S18_S19_jS1A_jS1B_S1B_jjS1D_bEUljE0_EEESW_SX_SY_S15_S19_S1B_T6_T7_T9_mT8_S1D_bDpT10_ENKUlT_T0_E_clISt17integral_constantIbLb0EES1R_EEDaS1M_S1N_EUlS1M_E_NS1_11comp_targetILNS1_3genE10ELNS1_11target_archE1200ELNS1_3gpuE4ELNS1_3repE0EEENS1_30default_config_static_selectorELNS0_4arch9wavefront6targetE1EEEvSZ_
; %bb.0:
	.section	.rodata,"a",@progbits
	.p2align	6, 0x0
	.amdhsa_kernel _ZN7rocprim17ROCPRIM_400000_NS6detail17trampoline_kernelINS0_13select_configILj256ELj13ELNS0_17block_load_methodE3ELS4_3ELS4_3ELNS0_20block_scan_algorithmE0ELj4294967295EEENS1_25partition_config_selectorILNS1_17partition_subalgoE4EjNS0_10empty_typeEbEEZZNS1_14partition_implILS8_4ELb0ES6_15HIP_vector_typeIjLj2EENS0_17counting_iteratorIjlEEPS9_SG_NS0_5tupleIJPjSI_NS0_16reverse_iteratorISI_EEEEENSH_IJSG_SG_SG_EEES9_SI_JZNS1_25segmented_radix_sort_implINS0_14default_configELb0EPKlPlSQ_SR_N2at6native12_GLOBAL__N_18offset_tEEE10hipError_tPvRmT1_PNSt15iterator_traitsISZ_E10value_typeET2_T3_PNS10_IS15_E10value_typeET4_jRbjT5_S1B_jjP12ihipStream_tbEUljE_ZNSN_ISO_Lb0ESQ_SR_SQ_SR_SV_EESW_SX_SY_SZ_S13_S14_S15_S18_S19_jS1A_jS1B_S1B_jjS1D_bEUljE0_EEESW_SX_SY_S15_S19_S1B_T6_T7_T9_mT8_S1D_bDpT10_ENKUlT_T0_E_clISt17integral_constantIbLb0EES1R_EEDaS1M_S1N_EUlS1M_E_NS1_11comp_targetILNS1_3genE10ELNS1_11target_archE1200ELNS1_3gpuE4ELNS1_3repE0EEENS1_30default_config_static_selectorELNS0_4arch9wavefront6targetE1EEEvSZ_
		.amdhsa_group_segment_fixed_size 0
		.amdhsa_private_segment_fixed_size 0
		.amdhsa_kernarg_size 176
		.amdhsa_user_sgpr_count 6
		.amdhsa_user_sgpr_private_segment_buffer 1
		.amdhsa_user_sgpr_dispatch_ptr 0
		.amdhsa_user_sgpr_queue_ptr 0
		.amdhsa_user_sgpr_kernarg_segment_ptr 1
		.amdhsa_user_sgpr_dispatch_id 0
		.amdhsa_user_sgpr_flat_scratch_init 0
		.amdhsa_user_sgpr_private_segment_size 0
		.amdhsa_uses_dynamic_stack 0
		.amdhsa_system_sgpr_private_segment_wavefront_offset 0
		.amdhsa_system_sgpr_workgroup_id_x 1
		.amdhsa_system_sgpr_workgroup_id_y 0
		.amdhsa_system_sgpr_workgroup_id_z 0
		.amdhsa_system_sgpr_workgroup_info 0
		.amdhsa_system_vgpr_workitem_id 0
		.amdhsa_next_free_vgpr 1
		.amdhsa_next_free_sgpr 0
		.amdhsa_reserve_vcc 0
		.amdhsa_reserve_flat_scratch 0
		.amdhsa_float_round_mode_32 0
		.amdhsa_float_round_mode_16_64 0
		.amdhsa_float_denorm_mode_32 3
		.amdhsa_float_denorm_mode_16_64 3
		.amdhsa_dx10_clamp 1
		.amdhsa_ieee_mode 1
		.amdhsa_fp16_overflow 0
		.amdhsa_exception_fp_ieee_invalid_op 0
		.amdhsa_exception_fp_denorm_src 0
		.amdhsa_exception_fp_ieee_div_zero 0
		.amdhsa_exception_fp_ieee_overflow 0
		.amdhsa_exception_fp_ieee_underflow 0
		.amdhsa_exception_fp_ieee_inexact 0
		.amdhsa_exception_int_div_zero 0
	.end_amdhsa_kernel
	.section	.text._ZN7rocprim17ROCPRIM_400000_NS6detail17trampoline_kernelINS0_13select_configILj256ELj13ELNS0_17block_load_methodE3ELS4_3ELS4_3ELNS0_20block_scan_algorithmE0ELj4294967295EEENS1_25partition_config_selectorILNS1_17partition_subalgoE4EjNS0_10empty_typeEbEEZZNS1_14partition_implILS8_4ELb0ES6_15HIP_vector_typeIjLj2EENS0_17counting_iteratorIjlEEPS9_SG_NS0_5tupleIJPjSI_NS0_16reverse_iteratorISI_EEEEENSH_IJSG_SG_SG_EEES9_SI_JZNS1_25segmented_radix_sort_implINS0_14default_configELb0EPKlPlSQ_SR_N2at6native12_GLOBAL__N_18offset_tEEE10hipError_tPvRmT1_PNSt15iterator_traitsISZ_E10value_typeET2_T3_PNS10_IS15_E10value_typeET4_jRbjT5_S1B_jjP12ihipStream_tbEUljE_ZNSN_ISO_Lb0ESQ_SR_SQ_SR_SV_EESW_SX_SY_SZ_S13_S14_S15_S18_S19_jS1A_jS1B_S1B_jjS1D_bEUljE0_EEESW_SX_SY_S15_S19_S1B_T6_T7_T9_mT8_S1D_bDpT10_ENKUlT_T0_E_clISt17integral_constantIbLb0EES1R_EEDaS1M_S1N_EUlS1M_E_NS1_11comp_targetILNS1_3genE10ELNS1_11target_archE1200ELNS1_3gpuE4ELNS1_3repE0EEENS1_30default_config_static_selectorELNS0_4arch9wavefront6targetE1EEEvSZ_,"axG",@progbits,_ZN7rocprim17ROCPRIM_400000_NS6detail17trampoline_kernelINS0_13select_configILj256ELj13ELNS0_17block_load_methodE3ELS4_3ELS4_3ELNS0_20block_scan_algorithmE0ELj4294967295EEENS1_25partition_config_selectorILNS1_17partition_subalgoE4EjNS0_10empty_typeEbEEZZNS1_14partition_implILS8_4ELb0ES6_15HIP_vector_typeIjLj2EENS0_17counting_iteratorIjlEEPS9_SG_NS0_5tupleIJPjSI_NS0_16reverse_iteratorISI_EEEEENSH_IJSG_SG_SG_EEES9_SI_JZNS1_25segmented_radix_sort_implINS0_14default_configELb0EPKlPlSQ_SR_N2at6native12_GLOBAL__N_18offset_tEEE10hipError_tPvRmT1_PNSt15iterator_traitsISZ_E10value_typeET2_T3_PNS10_IS15_E10value_typeET4_jRbjT5_S1B_jjP12ihipStream_tbEUljE_ZNSN_ISO_Lb0ESQ_SR_SQ_SR_SV_EESW_SX_SY_SZ_S13_S14_S15_S18_S19_jS1A_jS1B_S1B_jjS1D_bEUljE0_EEESW_SX_SY_S15_S19_S1B_T6_T7_T9_mT8_S1D_bDpT10_ENKUlT_T0_E_clISt17integral_constantIbLb0EES1R_EEDaS1M_S1N_EUlS1M_E_NS1_11comp_targetILNS1_3genE10ELNS1_11target_archE1200ELNS1_3gpuE4ELNS1_3repE0EEENS1_30default_config_static_selectorELNS0_4arch9wavefront6targetE1EEEvSZ_,comdat
.Lfunc_end748:
	.size	_ZN7rocprim17ROCPRIM_400000_NS6detail17trampoline_kernelINS0_13select_configILj256ELj13ELNS0_17block_load_methodE3ELS4_3ELS4_3ELNS0_20block_scan_algorithmE0ELj4294967295EEENS1_25partition_config_selectorILNS1_17partition_subalgoE4EjNS0_10empty_typeEbEEZZNS1_14partition_implILS8_4ELb0ES6_15HIP_vector_typeIjLj2EENS0_17counting_iteratorIjlEEPS9_SG_NS0_5tupleIJPjSI_NS0_16reverse_iteratorISI_EEEEENSH_IJSG_SG_SG_EEES9_SI_JZNS1_25segmented_radix_sort_implINS0_14default_configELb0EPKlPlSQ_SR_N2at6native12_GLOBAL__N_18offset_tEEE10hipError_tPvRmT1_PNSt15iterator_traitsISZ_E10value_typeET2_T3_PNS10_IS15_E10value_typeET4_jRbjT5_S1B_jjP12ihipStream_tbEUljE_ZNSN_ISO_Lb0ESQ_SR_SQ_SR_SV_EESW_SX_SY_SZ_S13_S14_S15_S18_S19_jS1A_jS1B_S1B_jjS1D_bEUljE0_EEESW_SX_SY_S15_S19_S1B_T6_T7_T9_mT8_S1D_bDpT10_ENKUlT_T0_E_clISt17integral_constantIbLb0EES1R_EEDaS1M_S1N_EUlS1M_E_NS1_11comp_targetILNS1_3genE10ELNS1_11target_archE1200ELNS1_3gpuE4ELNS1_3repE0EEENS1_30default_config_static_selectorELNS0_4arch9wavefront6targetE1EEEvSZ_, .Lfunc_end748-_ZN7rocprim17ROCPRIM_400000_NS6detail17trampoline_kernelINS0_13select_configILj256ELj13ELNS0_17block_load_methodE3ELS4_3ELS4_3ELNS0_20block_scan_algorithmE0ELj4294967295EEENS1_25partition_config_selectorILNS1_17partition_subalgoE4EjNS0_10empty_typeEbEEZZNS1_14partition_implILS8_4ELb0ES6_15HIP_vector_typeIjLj2EENS0_17counting_iteratorIjlEEPS9_SG_NS0_5tupleIJPjSI_NS0_16reverse_iteratorISI_EEEEENSH_IJSG_SG_SG_EEES9_SI_JZNS1_25segmented_radix_sort_implINS0_14default_configELb0EPKlPlSQ_SR_N2at6native12_GLOBAL__N_18offset_tEEE10hipError_tPvRmT1_PNSt15iterator_traitsISZ_E10value_typeET2_T3_PNS10_IS15_E10value_typeET4_jRbjT5_S1B_jjP12ihipStream_tbEUljE_ZNSN_ISO_Lb0ESQ_SR_SQ_SR_SV_EESW_SX_SY_SZ_S13_S14_S15_S18_S19_jS1A_jS1B_S1B_jjS1D_bEUljE0_EEESW_SX_SY_S15_S19_S1B_T6_T7_T9_mT8_S1D_bDpT10_ENKUlT_T0_E_clISt17integral_constantIbLb0EES1R_EEDaS1M_S1N_EUlS1M_E_NS1_11comp_targetILNS1_3genE10ELNS1_11target_archE1200ELNS1_3gpuE4ELNS1_3repE0EEENS1_30default_config_static_selectorELNS0_4arch9wavefront6targetE1EEEvSZ_
                                        ; -- End function
	.set _ZN7rocprim17ROCPRIM_400000_NS6detail17trampoline_kernelINS0_13select_configILj256ELj13ELNS0_17block_load_methodE3ELS4_3ELS4_3ELNS0_20block_scan_algorithmE0ELj4294967295EEENS1_25partition_config_selectorILNS1_17partition_subalgoE4EjNS0_10empty_typeEbEEZZNS1_14partition_implILS8_4ELb0ES6_15HIP_vector_typeIjLj2EENS0_17counting_iteratorIjlEEPS9_SG_NS0_5tupleIJPjSI_NS0_16reverse_iteratorISI_EEEEENSH_IJSG_SG_SG_EEES9_SI_JZNS1_25segmented_radix_sort_implINS0_14default_configELb0EPKlPlSQ_SR_N2at6native12_GLOBAL__N_18offset_tEEE10hipError_tPvRmT1_PNSt15iterator_traitsISZ_E10value_typeET2_T3_PNS10_IS15_E10value_typeET4_jRbjT5_S1B_jjP12ihipStream_tbEUljE_ZNSN_ISO_Lb0ESQ_SR_SQ_SR_SV_EESW_SX_SY_SZ_S13_S14_S15_S18_S19_jS1A_jS1B_S1B_jjS1D_bEUljE0_EEESW_SX_SY_S15_S19_S1B_T6_T7_T9_mT8_S1D_bDpT10_ENKUlT_T0_E_clISt17integral_constantIbLb0EES1R_EEDaS1M_S1N_EUlS1M_E_NS1_11comp_targetILNS1_3genE10ELNS1_11target_archE1200ELNS1_3gpuE4ELNS1_3repE0EEENS1_30default_config_static_selectorELNS0_4arch9wavefront6targetE1EEEvSZ_.num_vgpr, 0
	.set _ZN7rocprim17ROCPRIM_400000_NS6detail17trampoline_kernelINS0_13select_configILj256ELj13ELNS0_17block_load_methodE3ELS4_3ELS4_3ELNS0_20block_scan_algorithmE0ELj4294967295EEENS1_25partition_config_selectorILNS1_17partition_subalgoE4EjNS0_10empty_typeEbEEZZNS1_14partition_implILS8_4ELb0ES6_15HIP_vector_typeIjLj2EENS0_17counting_iteratorIjlEEPS9_SG_NS0_5tupleIJPjSI_NS0_16reverse_iteratorISI_EEEEENSH_IJSG_SG_SG_EEES9_SI_JZNS1_25segmented_radix_sort_implINS0_14default_configELb0EPKlPlSQ_SR_N2at6native12_GLOBAL__N_18offset_tEEE10hipError_tPvRmT1_PNSt15iterator_traitsISZ_E10value_typeET2_T3_PNS10_IS15_E10value_typeET4_jRbjT5_S1B_jjP12ihipStream_tbEUljE_ZNSN_ISO_Lb0ESQ_SR_SQ_SR_SV_EESW_SX_SY_SZ_S13_S14_S15_S18_S19_jS1A_jS1B_S1B_jjS1D_bEUljE0_EEESW_SX_SY_S15_S19_S1B_T6_T7_T9_mT8_S1D_bDpT10_ENKUlT_T0_E_clISt17integral_constantIbLb0EES1R_EEDaS1M_S1N_EUlS1M_E_NS1_11comp_targetILNS1_3genE10ELNS1_11target_archE1200ELNS1_3gpuE4ELNS1_3repE0EEENS1_30default_config_static_selectorELNS0_4arch9wavefront6targetE1EEEvSZ_.num_agpr, 0
	.set _ZN7rocprim17ROCPRIM_400000_NS6detail17trampoline_kernelINS0_13select_configILj256ELj13ELNS0_17block_load_methodE3ELS4_3ELS4_3ELNS0_20block_scan_algorithmE0ELj4294967295EEENS1_25partition_config_selectorILNS1_17partition_subalgoE4EjNS0_10empty_typeEbEEZZNS1_14partition_implILS8_4ELb0ES6_15HIP_vector_typeIjLj2EENS0_17counting_iteratorIjlEEPS9_SG_NS0_5tupleIJPjSI_NS0_16reverse_iteratorISI_EEEEENSH_IJSG_SG_SG_EEES9_SI_JZNS1_25segmented_radix_sort_implINS0_14default_configELb0EPKlPlSQ_SR_N2at6native12_GLOBAL__N_18offset_tEEE10hipError_tPvRmT1_PNSt15iterator_traitsISZ_E10value_typeET2_T3_PNS10_IS15_E10value_typeET4_jRbjT5_S1B_jjP12ihipStream_tbEUljE_ZNSN_ISO_Lb0ESQ_SR_SQ_SR_SV_EESW_SX_SY_SZ_S13_S14_S15_S18_S19_jS1A_jS1B_S1B_jjS1D_bEUljE0_EEESW_SX_SY_S15_S19_S1B_T6_T7_T9_mT8_S1D_bDpT10_ENKUlT_T0_E_clISt17integral_constantIbLb0EES1R_EEDaS1M_S1N_EUlS1M_E_NS1_11comp_targetILNS1_3genE10ELNS1_11target_archE1200ELNS1_3gpuE4ELNS1_3repE0EEENS1_30default_config_static_selectorELNS0_4arch9wavefront6targetE1EEEvSZ_.numbered_sgpr, 0
	.set _ZN7rocprim17ROCPRIM_400000_NS6detail17trampoline_kernelINS0_13select_configILj256ELj13ELNS0_17block_load_methodE3ELS4_3ELS4_3ELNS0_20block_scan_algorithmE0ELj4294967295EEENS1_25partition_config_selectorILNS1_17partition_subalgoE4EjNS0_10empty_typeEbEEZZNS1_14partition_implILS8_4ELb0ES6_15HIP_vector_typeIjLj2EENS0_17counting_iteratorIjlEEPS9_SG_NS0_5tupleIJPjSI_NS0_16reverse_iteratorISI_EEEEENSH_IJSG_SG_SG_EEES9_SI_JZNS1_25segmented_radix_sort_implINS0_14default_configELb0EPKlPlSQ_SR_N2at6native12_GLOBAL__N_18offset_tEEE10hipError_tPvRmT1_PNSt15iterator_traitsISZ_E10value_typeET2_T3_PNS10_IS15_E10value_typeET4_jRbjT5_S1B_jjP12ihipStream_tbEUljE_ZNSN_ISO_Lb0ESQ_SR_SQ_SR_SV_EESW_SX_SY_SZ_S13_S14_S15_S18_S19_jS1A_jS1B_S1B_jjS1D_bEUljE0_EEESW_SX_SY_S15_S19_S1B_T6_T7_T9_mT8_S1D_bDpT10_ENKUlT_T0_E_clISt17integral_constantIbLb0EES1R_EEDaS1M_S1N_EUlS1M_E_NS1_11comp_targetILNS1_3genE10ELNS1_11target_archE1200ELNS1_3gpuE4ELNS1_3repE0EEENS1_30default_config_static_selectorELNS0_4arch9wavefront6targetE1EEEvSZ_.num_named_barrier, 0
	.set _ZN7rocprim17ROCPRIM_400000_NS6detail17trampoline_kernelINS0_13select_configILj256ELj13ELNS0_17block_load_methodE3ELS4_3ELS4_3ELNS0_20block_scan_algorithmE0ELj4294967295EEENS1_25partition_config_selectorILNS1_17partition_subalgoE4EjNS0_10empty_typeEbEEZZNS1_14partition_implILS8_4ELb0ES6_15HIP_vector_typeIjLj2EENS0_17counting_iteratorIjlEEPS9_SG_NS0_5tupleIJPjSI_NS0_16reverse_iteratorISI_EEEEENSH_IJSG_SG_SG_EEES9_SI_JZNS1_25segmented_radix_sort_implINS0_14default_configELb0EPKlPlSQ_SR_N2at6native12_GLOBAL__N_18offset_tEEE10hipError_tPvRmT1_PNSt15iterator_traitsISZ_E10value_typeET2_T3_PNS10_IS15_E10value_typeET4_jRbjT5_S1B_jjP12ihipStream_tbEUljE_ZNSN_ISO_Lb0ESQ_SR_SQ_SR_SV_EESW_SX_SY_SZ_S13_S14_S15_S18_S19_jS1A_jS1B_S1B_jjS1D_bEUljE0_EEESW_SX_SY_S15_S19_S1B_T6_T7_T9_mT8_S1D_bDpT10_ENKUlT_T0_E_clISt17integral_constantIbLb0EES1R_EEDaS1M_S1N_EUlS1M_E_NS1_11comp_targetILNS1_3genE10ELNS1_11target_archE1200ELNS1_3gpuE4ELNS1_3repE0EEENS1_30default_config_static_selectorELNS0_4arch9wavefront6targetE1EEEvSZ_.private_seg_size, 0
	.set _ZN7rocprim17ROCPRIM_400000_NS6detail17trampoline_kernelINS0_13select_configILj256ELj13ELNS0_17block_load_methodE3ELS4_3ELS4_3ELNS0_20block_scan_algorithmE0ELj4294967295EEENS1_25partition_config_selectorILNS1_17partition_subalgoE4EjNS0_10empty_typeEbEEZZNS1_14partition_implILS8_4ELb0ES6_15HIP_vector_typeIjLj2EENS0_17counting_iteratorIjlEEPS9_SG_NS0_5tupleIJPjSI_NS0_16reverse_iteratorISI_EEEEENSH_IJSG_SG_SG_EEES9_SI_JZNS1_25segmented_radix_sort_implINS0_14default_configELb0EPKlPlSQ_SR_N2at6native12_GLOBAL__N_18offset_tEEE10hipError_tPvRmT1_PNSt15iterator_traitsISZ_E10value_typeET2_T3_PNS10_IS15_E10value_typeET4_jRbjT5_S1B_jjP12ihipStream_tbEUljE_ZNSN_ISO_Lb0ESQ_SR_SQ_SR_SV_EESW_SX_SY_SZ_S13_S14_S15_S18_S19_jS1A_jS1B_S1B_jjS1D_bEUljE0_EEESW_SX_SY_S15_S19_S1B_T6_T7_T9_mT8_S1D_bDpT10_ENKUlT_T0_E_clISt17integral_constantIbLb0EES1R_EEDaS1M_S1N_EUlS1M_E_NS1_11comp_targetILNS1_3genE10ELNS1_11target_archE1200ELNS1_3gpuE4ELNS1_3repE0EEENS1_30default_config_static_selectorELNS0_4arch9wavefront6targetE1EEEvSZ_.uses_vcc, 0
	.set _ZN7rocprim17ROCPRIM_400000_NS6detail17trampoline_kernelINS0_13select_configILj256ELj13ELNS0_17block_load_methodE3ELS4_3ELS4_3ELNS0_20block_scan_algorithmE0ELj4294967295EEENS1_25partition_config_selectorILNS1_17partition_subalgoE4EjNS0_10empty_typeEbEEZZNS1_14partition_implILS8_4ELb0ES6_15HIP_vector_typeIjLj2EENS0_17counting_iteratorIjlEEPS9_SG_NS0_5tupleIJPjSI_NS0_16reverse_iteratorISI_EEEEENSH_IJSG_SG_SG_EEES9_SI_JZNS1_25segmented_radix_sort_implINS0_14default_configELb0EPKlPlSQ_SR_N2at6native12_GLOBAL__N_18offset_tEEE10hipError_tPvRmT1_PNSt15iterator_traitsISZ_E10value_typeET2_T3_PNS10_IS15_E10value_typeET4_jRbjT5_S1B_jjP12ihipStream_tbEUljE_ZNSN_ISO_Lb0ESQ_SR_SQ_SR_SV_EESW_SX_SY_SZ_S13_S14_S15_S18_S19_jS1A_jS1B_S1B_jjS1D_bEUljE0_EEESW_SX_SY_S15_S19_S1B_T6_T7_T9_mT8_S1D_bDpT10_ENKUlT_T0_E_clISt17integral_constantIbLb0EES1R_EEDaS1M_S1N_EUlS1M_E_NS1_11comp_targetILNS1_3genE10ELNS1_11target_archE1200ELNS1_3gpuE4ELNS1_3repE0EEENS1_30default_config_static_selectorELNS0_4arch9wavefront6targetE1EEEvSZ_.uses_flat_scratch, 0
	.set _ZN7rocprim17ROCPRIM_400000_NS6detail17trampoline_kernelINS0_13select_configILj256ELj13ELNS0_17block_load_methodE3ELS4_3ELS4_3ELNS0_20block_scan_algorithmE0ELj4294967295EEENS1_25partition_config_selectorILNS1_17partition_subalgoE4EjNS0_10empty_typeEbEEZZNS1_14partition_implILS8_4ELb0ES6_15HIP_vector_typeIjLj2EENS0_17counting_iteratorIjlEEPS9_SG_NS0_5tupleIJPjSI_NS0_16reverse_iteratorISI_EEEEENSH_IJSG_SG_SG_EEES9_SI_JZNS1_25segmented_radix_sort_implINS0_14default_configELb0EPKlPlSQ_SR_N2at6native12_GLOBAL__N_18offset_tEEE10hipError_tPvRmT1_PNSt15iterator_traitsISZ_E10value_typeET2_T3_PNS10_IS15_E10value_typeET4_jRbjT5_S1B_jjP12ihipStream_tbEUljE_ZNSN_ISO_Lb0ESQ_SR_SQ_SR_SV_EESW_SX_SY_SZ_S13_S14_S15_S18_S19_jS1A_jS1B_S1B_jjS1D_bEUljE0_EEESW_SX_SY_S15_S19_S1B_T6_T7_T9_mT8_S1D_bDpT10_ENKUlT_T0_E_clISt17integral_constantIbLb0EES1R_EEDaS1M_S1N_EUlS1M_E_NS1_11comp_targetILNS1_3genE10ELNS1_11target_archE1200ELNS1_3gpuE4ELNS1_3repE0EEENS1_30default_config_static_selectorELNS0_4arch9wavefront6targetE1EEEvSZ_.has_dyn_sized_stack, 0
	.set _ZN7rocprim17ROCPRIM_400000_NS6detail17trampoline_kernelINS0_13select_configILj256ELj13ELNS0_17block_load_methodE3ELS4_3ELS4_3ELNS0_20block_scan_algorithmE0ELj4294967295EEENS1_25partition_config_selectorILNS1_17partition_subalgoE4EjNS0_10empty_typeEbEEZZNS1_14partition_implILS8_4ELb0ES6_15HIP_vector_typeIjLj2EENS0_17counting_iteratorIjlEEPS9_SG_NS0_5tupleIJPjSI_NS0_16reverse_iteratorISI_EEEEENSH_IJSG_SG_SG_EEES9_SI_JZNS1_25segmented_radix_sort_implINS0_14default_configELb0EPKlPlSQ_SR_N2at6native12_GLOBAL__N_18offset_tEEE10hipError_tPvRmT1_PNSt15iterator_traitsISZ_E10value_typeET2_T3_PNS10_IS15_E10value_typeET4_jRbjT5_S1B_jjP12ihipStream_tbEUljE_ZNSN_ISO_Lb0ESQ_SR_SQ_SR_SV_EESW_SX_SY_SZ_S13_S14_S15_S18_S19_jS1A_jS1B_S1B_jjS1D_bEUljE0_EEESW_SX_SY_S15_S19_S1B_T6_T7_T9_mT8_S1D_bDpT10_ENKUlT_T0_E_clISt17integral_constantIbLb0EES1R_EEDaS1M_S1N_EUlS1M_E_NS1_11comp_targetILNS1_3genE10ELNS1_11target_archE1200ELNS1_3gpuE4ELNS1_3repE0EEENS1_30default_config_static_selectorELNS0_4arch9wavefront6targetE1EEEvSZ_.has_recursion, 0
	.set _ZN7rocprim17ROCPRIM_400000_NS6detail17trampoline_kernelINS0_13select_configILj256ELj13ELNS0_17block_load_methodE3ELS4_3ELS4_3ELNS0_20block_scan_algorithmE0ELj4294967295EEENS1_25partition_config_selectorILNS1_17partition_subalgoE4EjNS0_10empty_typeEbEEZZNS1_14partition_implILS8_4ELb0ES6_15HIP_vector_typeIjLj2EENS0_17counting_iteratorIjlEEPS9_SG_NS0_5tupleIJPjSI_NS0_16reverse_iteratorISI_EEEEENSH_IJSG_SG_SG_EEES9_SI_JZNS1_25segmented_radix_sort_implINS0_14default_configELb0EPKlPlSQ_SR_N2at6native12_GLOBAL__N_18offset_tEEE10hipError_tPvRmT1_PNSt15iterator_traitsISZ_E10value_typeET2_T3_PNS10_IS15_E10value_typeET4_jRbjT5_S1B_jjP12ihipStream_tbEUljE_ZNSN_ISO_Lb0ESQ_SR_SQ_SR_SV_EESW_SX_SY_SZ_S13_S14_S15_S18_S19_jS1A_jS1B_S1B_jjS1D_bEUljE0_EEESW_SX_SY_S15_S19_S1B_T6_T7_T9_mT8_S1D_bDpT10_ENKUlT_T0_E_clISt17integral_constantIbLb0EES1R_EEDaS1M_S1N_EUlS1M_E_NS1_11comp_targetILNS1_3genE10ELNS1_11target_archE1200ELNS1_3gpuE4ELNS1_3repE0EEENS1_30default_config_static_selectorELNS0_4arch9wavefront6targetE1EEEvSZ_.has_indirect_call, 0
	.section	.AMDGPU.csdata,"",@progbits
; Kernel info:
; codeLenInByte = 0
; TotalNumSgprs: 4
; NumVgprs: 0
; ScratchSize: 0
; MemoryBound: 0
; FloatMode: 240
; IeeeMode: 1
; LDSByteSize: 0 bytes/workgroup (compile time only)
; SGPRBlocks: 0
; VGPRBlocks: 0
; NumSGPRsForWavesPerEU: 4
; NumVGPRsForWavesPerEU: 1
; Occupancy: 10
; WaveLimiterHint : 0
; COMPUTE_PGM_RSRC2:SCRATCH_EN: 0
; COMPUTE_PGM_RSRC2:USER_SGPR: 6
; COMPUTE_PGM_RSRC2:TRAP_HANDLER: 0
; COMPUTE_PGM_RSRC2:TGID_X_EN: 1
; COMPUTE_PGM_RSRC2:TGID_Y_EN: 0
; COMPUTE_PGM_RSRC2:TGID_Z_EN: 0
; COMPUTE_PGM_RSRC2:TIDIG_COMP_CNT: 0
	.section	.text._ZN7rocprim17ROCPRIM_400000_NS6detail17trampoline_kernelINS0_13select_configILj256ELj13ELNS0_17block_load_methodE3ELS4_3ELS4_3ELNS0_20block_scan_algorithmE0ELj4294967295EEENS1_25partition_config_selectorILNS1_17partition_subalgoE4EjNS0_10empty_typeEbEEZZNS1_14partition_implILS8_4ELb0ES6_15HIP_vector_typeIjLj2EENS0_17counting_iteratorIjlEEPS9_SG_NS0_5tupleIJPjSI_NS0_16reverse_iteratorISI_EEEEENSH_IJSG_SG_SG_EEES9_SI_JZNS1_25segmented_radix_sort_implINS0_14default_configELb0EPKlPlSQ_SR_N2at6native12_GLOBAL__N_18offset_tEEE10hipError_tPvRmT1_PNSt15iterator_traitsISZ_E10value_typeET2_T3_PNS10_IS15_E10value_typeET4_jRbjT5_S1B_jjP12ihipStream_tbEUljE_ZNSN_ISO_Lb0ESQ_SR_SQ_SR_SV_EESW_SX_SY_SZ_S13_S14_S15_S18_S19_jS1A_jS1B_S1B_jjS1D_bEUljE0_EEESW_SX_SY_S15_S19_S1B_T6_T7_T9_mT8_S1D_bDpT10_ENKUlT_T0_E_clISt17integral_constantIbLb0EES1R_EEDaS1M_S1N_EUlS1M_E_NS1_11comp_targetILNS1_3genE9ELNS1_11target_archE1100ELNS1_3gpuE3ELNS1_3repE0EEENS1_30default_config_static_selectorELNS0_4arch9wavefront6targetE1EEEvSZ_,"axG",@progbits,_ZN7rocprim17ROCPRIM_400000_NS6detail17trampoline_kernelINS0_13select_configILj256ELj13ELNS0_17block_load_methodE3ELS4_3ELS4_3ELNS0_20block_scan_algorithmE0ELj4294967295EEENS1_25partition_config_selectorILNS1_17partition_subalgoE4EjNS0_10empty_typeEbEEZZNS1_14partition_implILS8_4ELb0ES6_15HIP_vector_typeIjLj2EENS0_17counting_iteratorIjlEEPS9_SG_NS0_5tupleIJPjSI_NS0_16reverse_iteratorISI_EEEEENSH_IJSG_SG_SG_EEES9_SI_JZNS1_25segmented_radix_sort_implINS0_14default_configELb0EPKlPlSQ_SR_N2at6native12_GLOBAL__N_18offset_tEEE10hipError_tPvRmT1_PNSt15iterator_traitsISZ_E10value_typeET2_T3_PNS10_IS15_E10value_typeET4_jRbjT5_S1B_jjP12ihipStream_tbEUljE_ZNSN_ISO_Lb0ESQ_SR_SQ_SR_SV_EESW_SX_SY_SZ_S13_S14_S15_S18_S19_jS1A_jS1B_S1B_jjS1D_bEUljE0_EEESW_SX_SY_S15_S19_S1B_T6_T7_T9_mT8_S1D_bDpT10_ENKUlT_T0_E_clISt17integral_constantIbLb0EES1R_EEDaS1M_S1N_EUlS1M_E_NS1_11comp_targetILNS1_3genE9ELNS1_11target_archE1100ELNS1_3gpuE3ELNS1_3repE0EEENS1_30default_config_static_selectorELNS0_4arch9wavefront6targetE1EEEvSZ_,comdat
	.globl	_ZN7rocprim17ROCPRIM_400000_NS6detail17trampoline_kernelINS0_13select_configILj256ELj13ELNS0_17block_load_methodE3ELS4_3ELS4_3ELNS0_20block_scan_algorithmE0ELj4294967295EEENS1_25partition_config_selectorILNS1_17partition_subalgoE4EjNS0_10empty_typeEbEEZZNS1_14partition_implILS8_4ELb0ES6_15HIP_vector_typeIjLj2EENS0_17counting_iteratorIjlEEPS9_SG_NS0_5tupleIJPjSI_NS0_16reverse_iteratorISI_EEEEENSH_IJSG_SG_SG_EEES9_SI_JZNS1_25segmented_radix_sort_implINS0_14default_configELb0EPKlPlSQ_SR_N2at6native12_GLOBAL__N_18offset_tEEE10hipError_tPvRmT1_PNSt15iterator_traitsISZ_E10value_typeET2_T3_PNS10_IS15_E10value_typeET4_jRbjT5_S1B_jjP12ihipStream_tbEUljE_ZNSN_ISO_Lb0ESQ_SR_SQ_SR_SV_EESW_SX_SY_SZ_S13_S14_S15_S18_S19_jS1A_jS1B_S1B_jjS1D_bEUljE0_EEESW_SX_SY_S15_S19_S1B_T6_T7_T9_mT8_S1D_bDpT10_ENKUlT_T0_E_clISt17integral_constantIbLb0EES1R_EEDaS1M_S1N_EUlS1M_E_NS1_11comp_targetILNS1_3genE9ELNS1_11target_archE1100ELNS1_3gpuE3ELNS1_3repE0EEENS1_30default_config_static_selectorELNS0_4arch9wavefront6targetE1EEEvSZ_ ; -- Begin function _ZN7rocprim17ROCPRIM_400000_NS6detail17trampoline_kernelINS0_13select_configILj256ELj13ELNS0_17block_load_methodE3ELS4_3ELS4_3ELNS0_20block_scan_algorithmE0ELj4294967295EEENS1_25partition_config_selectorILNS1_17partition_subalgoE4EjNS0_10empty_typeEbEEZZNS1_14partition_implILS8_4ELb0ES6_15HIP_vector_typeIjLj2EENS0_17counting_iteratorIjlEEPS9_SG_NS0_5tupleIJPjSI_NS0_16reverse_iteratorISI_EEEEENSH_IJSG_SG_SG_EEES9_SI_JZNS1_25segmented_radix_sort_implINS0_14default_configELb0EPKlPlSQ_SR_N2at6native12_GLOBAL__N_18offset_tEEE10hipError_tPvRmT1_PNSt15iterator_traitsISZ_E10value_typeET2_T3_PNS10_IS15_E10value_typeET4_jRbjT5_S1B_jjP12ihipStream_tbEUljE_ZNSN_ISO_Lb0ESQ_SR_SQ_SR_SV_EESW_SX_SY_SZ_S13_S14_S15_S18_S19_jS1A_jS1B_S1B_jjS1D_bEUljE0_EEESW_SX_SY_S15_S19_S1B_T6_T7_T9_mT8_S1D_bDpT10_ENKUlT_T0_E_clISt17integral_constantIbLb0EES1R_EEDaS1M_S1N_EUlS1M_E_NS1_11comp_targetILNS1_3genE9ELNS1_11target_archE1100ELNS1_3gpuE3ELNS1_3repE0EEENS1_30default_config_static_selectorELNS0_4arch9wavefront6targetE1EEEvSZ_
	.p2align	8
	.type	_ZN7rocprim17ROCPRIM_400000_NS6detail17trampoline_kernelINS0_13select_configILj256ELj13ELNS0_17block_load_methodE3ELS4_3ELS4_3ELNS0_20block_scan_algorithmE0ELj4294967295EEENS1_25partition_config_selectorILNS1_17partition_subalgoE4EjNS0_10empty_typeEbEEZZNS1_14partition_implILS8_4ELb0ES6_15HIP_vector_typeIjLj2EENS0_17counting_iteratorIjlEEPS9_SG_NS0_5tupleIJPjSI_NS0_16reverse_iteratorISI_EEEEENSH_IJSG_SG_SG_EEES9_SI_JZNS1_25segmented_radix_sort_implINS0_14default_configELb0EPKlPlSQ_SR_N2at6native12_GLOBAL__N_18offset_tEEE10hipError_tPvRmT1_PNSt15iterator_traitsISZ_E10value_typeET2_T3_PNS10_IS15_E10value_typeET4_jRbjT5_S1B_jjP12ihipStream_tbEUljE_ZNSN_ISO_Lb0ESQ_SR_SQ_SR_SV_EESW_SX_SY_SZ_S13_S14_S15_S18_S19_jS1A_jS1B_S1B_jjS1D_bEUljE0_EEESW_SX_SY_S15_S19_S1B_T6_T7_T9_mT8_S1D_bDpT10_ENKUlT_T0_E_clISt17integral_constantIbLb0EES1R_EEDaS1M_S1N_EUlS1M_E_NS1_11comp_targetILNS1_3genE9ELNS1_11target_archE1100ELNS1_3gpuE3ELNS1_3repE0EEENS1_30default_config_static_selectorELNS0_4arch9wavefront6targetE1EEEvSZ_,@function
_ZN7rocprim17ROCPRIM_400000_NS6detail17trampoline_kernelINS0_13select_configILj256ELj13ELNS0_17block_load_methodE3ELS4_3ELS4_3ELNS0_20block_scan_algorithmE0ELj4294967295EEENS1_25partition_config_selectorILNS1_17partition_subalgoE4EjNS0_10empty_typeEbEEZZNS1_14partition_implILS8_4ELb0ES6_15HIP_vector_typeIjLj2EENS0_17counting_iteratorIjlEEPS9_SG_NS0_5tupleIJPjSI_NS0_16reverse_iteratorISI_EEEEENSH_IJSG_SG_SG_EEES9_SI_JZNS1_25segmented_radix_sort_implINS0_14default_configELb0EPKlPlSQ_SR_N2at6native12_GLOBAL__N_18offset_tEEE10hipError_tPvRmT1_PNSt15iterator_traitsISZ_E10value_typeET2_T3_PNS10_IS15_E10value_typeET4_jRbjT5_S1B_jjP12ihipStream_tbEUljE_ZNSN_ISO_Lb0ESQ_SR_SQ_SR_SV_EESW_SX_SY_SZ_S13_S14_S15_S18_S19_jS1A_jS1B_S1B_jjS1D_bEUljE0_EEESW_SX_SY_S15_S19_S1B_T6_T7_T9_mT8_S1D_bDpT10_ENKUlT_T0_E_clISt17integral_constantIbLb0EES1R_EEDaS1M_S1N_EUlS1M_E_NS1_11comp_targetILNS1_3genE9ELNS1_11target_archE1100ELNS1_3gpuE3ELNS1_3repE0EEENS1_30default_config_static_selectorELNS0_4arch9wavefront6targetE1EEEvSZ_: ; @_ZN7rocprim17ROCPRIM_400000_NS6detail17trampoline_kernelINS0_13select_configILj256ELj13ELNS0_17block_load_methodE3ELS4_3ELS4_3ELNS0_20block_scan_algorithmE0ELj4294967295EEENS1_25partition_config_selectorILNS1_17partition_subalgoE4EjNS0_10empty_typeEbEEZZNS1_14partition_implILS8_4ELb0ES6_15HIP_vector_typeIjLj2EENS0_17counting_iteratorIjlEEPS9_SG_NS0_5tupleIJPjSI_NS0_16reverse_iteratorISI_EEEEENSH_IJSG_SG_SG_EEES9_SI_JZNS1_25segmented_radix_sort_implINS0_14default_configELb0EPKlPlSQ_SR_N2at6native12_GLOBAL__N_18offset_tEEE10hipError_tPvRmT1_PNSt15iterator_traitsISZ_E10value_typeET2_T3_PNS10_IS15_E10value_typeET4_jRbjT5_S1B_jjP12ihipStream_tbEUljE_ZNSN_ISO_Lb0ESQ_SR_SQ_SR_SV_EESW_SX_SY_SZ_S13_S14_S15_S18_S19_jS1A_jS1B_S1B_jjS1D_bEUljE0_EEESW_SX_SY_S15_S19_S1B_T6_T7_T9_mT8_S1D_bDpT10_ENKUlT_T0_E_clISt17integral_constantIbLb0EES1R_EEDaS1M_S1N_EUlS1M_E_NS1_11comp_targetILNS1_3genE9ELNS1_11target_archE1100ELNS1_3gpuE3ELNS1_3repE0EEENS1_30default_config_static_selectorELNS0_4arch9wavefront6targetE1EEEvSZ_
; %bb.0:
	.section	.rodata,"a",@progbits
	.p2align	6, 0x0
	.amdhsa_kernel _ZN7rocprim17ROCPRIM_400000_NS6detail17trampoline_kernelINS0_13select_configILj256ELj13ELNS0_17block_load_methodE3ELS4_3ELS4_3ELNS0_20block_scan_algorithmE0ELj4294967295EEENS1_25partition_config_selectorILNS1_17partition_subalgoE4EjNS0_10empty_typeEbEEZZNS1_14partition_implILS8_4ELb0ES6_15HIP_vector_typeIjLj2EENS0_17counting_iteratorIjlEEPS9_SG_NS0_5tupleIJPjSI_NS0_16reverse_iteratorISI_EEEEENSH_IJSG_SG_SG_EEES9_SI_JZNS1_25segmented_radix_sort_implINS0_14default_configELb0EPKlPlSQ_SR_N2at6native12_GLOBAL__N_18offset_tEEE10hipError_tPvRmT1_PNSt15iterator_traitsISZ_E10value_typeET2_T3_PNS10_IS15_E10value_typeET4_jRbjT5_S1B_jjP12ihipStream_tbEUljE_ZNSN_ISO_Lb0ESQ_SR_SQ_SR_SV_EESW_SX_SY_SZ_S13_S14_S15_S18_S19_jS1A_jS1B_S1B_jjS1D_bEUljE0_EEESW_SX_SY_S15_S19_S1B_T6_T7_T9_mT8_S1D_bDpT10_ENKUlT_T0_E_clISt17integral_constantIbLb0EES1R_EEDaS1M_S1N_EUlS1M_E_NS1_11comp_targetILNS1_3genE9ELNS1_11target_archE1100ELNS1_3gpuE3ELNS1_3repE0EEENS1_30default_config_static_selectorELNS0_4arch9wavefront6targetE1EEEvSZ_
		.amdhsa_group_segment_fixed_size 0
		.amdhsa_private_segment_fixed_size 0
		.amdhsa_kernarg_size 176
		.amdhsa_user_sgpr_count 6
		.amdhsa_user_sgpr_private_segment_buffer 1
		.amdhsa_user_sgpr_dispatch_ptr 0
		.amdhsa_user_sgpr_queue_ptr 0
		.amdhsa_user_sgpr_kernarg_segment_ptr 1
		.amdhsa_user_sgpr_dispatch_id 0
		.amdhsa_user_sgpr_flat_scratch_init 0
		.amdhsa_user_sgpr_private_segment_size 0
		.amdhsa_uses_dynamic_stack 0
		.amdhsa_system_sgpr_private_segment_wavefront_offset 0
		.amdhsa_system_sgpr_workgroup_id_x 1
		.amdhsa_system_sgpr_workgroup_id_y 0
		.amdhsa_system_sgpr_workgroup_id_z 0
		.amdhsa_system_sgpr_workgroup_info 0
		.amdhsa_system_vgpr_workitem_id 0
		.amdhsa_next_free_vgpr 1
		.amdhsa_next_free_sgpr 0
		.amdhsa_reserve_vcc 0
		.amdhsa_reserve_flat_scratch 0
		.amdhsa_float_round_mode_32 0
		.amdhsa_float_round_mode_16_64 0
		.amdhsa_float_denorm_mode_32 3
		.amdhsa_float_denorm_mode_16_64 3
		.amdhsa_dx10_clamp 1
		.amdhsa_ieee_mode 1
		.amdhsa_fp16_overflow 0
		.amdhsa_exception_fp_ieee_invalid_op 0
		.amdhsa_exception_fp_denorm_src 0
		.amdhsa_exception_fp_ieee_div_zero 0
		.amdhsa_exception_fp_ieee_overflow 0
		.amdhsa_exception_fp_ieee_underflow 0
		.amdhsa_exception_fp_ieee_inexact 0
		.amdhsa_exception_int_div_zero 0
	.end_amdhsa_kernel
	.section	.text._ZN7rocprim17ROCPRIM_400000_NS6detail17trampoline_kernelINS0_13select_configILj256ELj13ELNS0_17block_load_methodE3ELS4_3ELS4_3ELNS0_20block_scan_algorithmE0ELj4294967295EEENS1_25partition_config_selectorILNS1_17partition_subalgoE4EjNS0_10empty_typeEbEEZZNS1_14partition_implILS8_4ELb0ES6_15HIP_vector_typeIjLj2EENS0_17counting_iteratorIjlEEPS9_SG_NS0_5tupleIJPjSI_NS0_16reverse_iteratorISI_EEEEENSH_IJSG_SG_SG_EEES9_SI_JZNS1_25segmented_radix_sort_implINS0_14default_configELb0EPKlPlSQ_SR_N2at6native12_GLOBAL__N_18offset_tEEE10hipError_tPvRmT1_PNSt15iterator_traitsISZ_E10value_typeET2_T3_PNS10_IS15_E10value_typeET4_jRbjT5_S1B_jjP12ihipStream_tbEUljE_ZNSN_ISO_Lb0ESQ_SR_SQ_SR_SV_EESW_SX_SY_SZ_S13_S14_S15_S18_S19_jS1A_jS1B_S1B_jjS1D_bEUljE0_EEESW_SX_SY_S15_S19_S1B_T6_T7_T9_mT8_S1D_bDpT10_ENKUlT_T0_E_clISt17integral_constantIbLb0EES1R_EEDaS1M_S1N_EUlS1M_E_NS1_11comp_targetILNS1_3genE9ELNS1_11target_archE1100ELNS1_3gpuE3ELNS1_3repE0EEENS1_30default_config_static_selectorELNS0_4arch9wavefront6targetE1EEEvSZ_,"axG",@progbits,_ZN7rocprim17ROCPRIM_400000_NS6detail17trampoline_kernelINS0_13select_configILj256ELj13ELNS0_17block_load_methodE3ELS4_3ELS4_3ELNS0_20block_scan_algorithmE0ELj4294967295EEENS1_25partition_config_selectorILNS1_17partition_subalgoE4EjNS0_10empty_typeEbEEZZNS1_14partition_implILS8_4ELb0ES6_15HIP_vector_typeIjLj2EENS0_17counting_iteratorIjlEEPS9_SG_NS0_5tupleIJPjSI_NS0_16reverse_iteratorISI_EEEEENSH_IJSG_SG_SG_EEES9_SI_JZNS1_25segmented_radix_sort_implINS0_14default_configELb0EPKlPlSQ_SR_N2at6native12_GLOBAL__N_18offset_tEEE10hipError_tPvRmT1_PNSt15iterator_traitsISZ_E10value_typeET2_T3_PNS10_IS15_E10value_typeET4_jRbjT5_S1B_jjP12ihipStream_tbEUljE_ZNSN_ISO_Lb0ESQ_SR_SQ_SR_SV_EESW_SX_SY_SZ_S13_S14_S15_S18_S19_jS1A_jS1B_S1B_jjS1D_bEUljE0_EEESW_SX_SY_S15_S19_S1B_T6_T7_T9_mT8_S1D_bDpT10_ENKUlT_T0_E_clISt17integral_constantIbLb0EES1R_EEDaS1M_S1N_EUlS1M_E_NS1_11comp_targetILNS1_3genE9ELNS1_11target_archE1100ELNS1_3gpuE3ELNS1_3repE0EEENS1_30default_config_static_selectorELNS0_4arch9wavefront6targetE1EEEvSZ_,comdat
.Lfunc_end749:
	.size	_ZN7rocprim17ROCPRIM_400000_NS6detail17trampoline_kernelINS0_13select_configILj256ELj13ELNS0_17block_load_methodE3ELS4_3ELS4_3ELNS0_20block_scan_algorithmE0ELj4294967295EEENS1_25partition_config_selectorILNS1_17partition_subalgoE4EjNS0_10empty_typeEbEEZZNS1_14partition_implILS8_4ELb0ES6_15HIP_vector_typeIjLj2EENS0_17counting_iteratorIjlEEPS9_SG_NS0_5tupleIJPjSI_NS0_16reverse_iteratorISI_EEEEENSH_IJSG_SG_SG_EEES9_SI_JZNS1_25segmented_radix_sort_implINS0_14default_configELb0EPKlPlSQ_SR_N2at6native12_GLOBAL__N_18offset_tEEE10hipError_tPvRmT1_PNSt15iterator_traitsISZ_E10value_typeET2_T3_PNS10_IS15_E10value_typeET4_jRbjT5_S1B_jjP12ihipStream_tbEUljE_ZNSN_ISO_Lb0ESQ_SR_SQ_SR_SV_EESW_SX_SY_SZ_S13_S14_S15_S18_S19_jS1A_jS1B_S1B_jjS1D_bEUljE0_EEESW_SX_SY_S15_S19_S1B_T6_T7_T9_mT8_S1D_bDpT10_ENKUlT_T0_E_clISt17integral_constantIbLb0EES1R_EEDaS1M_S1N_EUlS1M_E_NS1_11comp_targetILNS1_3genE9ELNS1_11target_archE1100ELNS1_3gpuE3ELNS1_3repE0EEENS1_30default_config_static_selectorELNS0_4arch9wavefront6targetE1EEEvSZ_, .Lfunc_end749-_ZN7rocprim17ROCPRIM_400000_NS6detail17trampoline_kernelINS0_13select_configILj256ELj13ELNS0_17block_load_methodE3ELS4_3ELS4_3ELNS0_20block_scan_algorithmE0ELj4294967295EEENS1_25partition_config_selectorILNS1_17partition_subalgoE4EjNS0_10empty_typeEbEEZZNS1_14partition_implILS8_4ELb0ES6_15HIP_vector_typeIjLj2EENS0_17counting_iteratorIjlEEPS9_SG_NS0_5tupleIJPjSI_NS0_16reverse_iteratorISI_EEEEENSH_IJSG_SG_SG_EEES9_SI_JZNS1_25segmented_radix_sort_implINS0_14default_configELb0EPKlPlSQ_SR_N2at6native12_GLOBAL__N_18offset_tEEE10hipError_tPvRmT1_PNSt15iterator_traitsISZ_E10value_typeET2_T3_PNS10_IS15_E10value_typeET4_jRbjT5_S1B_jjP12ihipStream_tbEUljE_ZNSN_ISO_Lb0ESQ_SR_SQ_SR_SV_EESW_SX_SY_SZ_S13_S14_S15_S18_S19_jS1A_jS1B_S1B_jjS1D_bEUljE0_EEESW_SX_SY_S15_S19_S1B_T6_T7_T9_mT8_S1D_bDpT10_ENKUlT_T0_E_clISt17integral_constantIbLb0EES1R_EEDaS1M_S1N_EUlS1M_E_NS1_11comp_targetILNS1_3genE9ELNS1_11target_archE1100ELNS1_3gpuE3ELNS1_3repE0EEENS1_30default_config_static_selectorELNS0_4arch9wavefront6targetE1EEEvSZ_
                                        ; -- End function
	.set _ZN7rocprim17ROCPRIM_400000_NS6detail17trampoline_kernelINS0_13select_configILj256ELj13ELNS0_17block_load_methodE3ELS4_3ELS4_3ELNS0_20block_scan_algorithmE0ELj4294967295EEENS1_25partition_config_selectorILNS1_17partition_subalgoE4EjNS0_10empty_typeEbEEZZNS1_14partition_implILS8_4ELb0ES6_15HIP_vector_typeIjLj2EENS0_17counting_iteratorIjlEEPS9_SG_NS0_5tupleIJPjSI_NS0_16reverse_iteratorISI_EEEEENSH_IJSG_SG_SG_EEES9_SI_JZNS1_25segmented_radix_sort_implINS0_14default_configELb0EPKlPlSQ_SR_N2at6native12_GLOBAL__N_18offset_tEEE10hipError_tPvRmT1_PNSt15iterator_traitsISZ_E10value_typeET2_T3_PNS10_IS15_E10value_typeET4_jRbjT5_S1B_jjP12ihipStream_tbEUljE_ZNSN_ISO_Lb0ESQ_SR_SQ_SR_SV_EESW_SX_SY_SZ_S13_S14_S15_S18_S19_jS1A_jS1B_S1B_jjS1D_bEUljE0_EEESW_SX_SY_S15_S19_S1B_T6_T7_T9_mT8_S1D_bDpT10_ENKUlT_T0_E_clISt17integral_constantIbLb0EES1R_EEDaS1M_S1N_EUlS1M_E_NS1_11comp_targetILNS1_3genE9ELNS1_11target_archE1100ELNS1_3gpuE3ELNS1_3repE0EEENS1_30default_config_static_selectorELNS0_4arch9wavefront6targetE1EEEvSZ_.num_vgpr, 0
	.set _ZN7rocprim17ROCPRIM_400000_NS6detail17trampoline_kernelINS0_13select_configILj256ELj13ELNS0_17block_load_methodE3ELS4_3ELS4_3ELNS0_20block_scan_algorithmE0ELj4294967295EEENS1_25partition_config_selectorILNS1_17partition_subalgoE4EjNS0_10empty_typeEbEEZZNS1_14partition_implILS8_4ELb0ES6_15HIP_vector_typeIjLj2EENS0_17counting_iteratorIjlEEPS9_SG_NS0_5tupleIJPjSI_NS0_16reverse_iteratorISI_EEEEENSH_IJSG_SG_SG_EEES9_SI_JZNS1_25segmented_radix_sort_implINS0_14default_configELb0EPKlPlSQ_SR_N2at6native12_GLOBAL__N_18offset_tEEE10hipError_tPvRmT1_PNSt15iterator_traitsISZ_E10value_typeET2_T3_PNS10_IS15_E10value_typeET4_jRbjT5_S1B_jjP12ihipStream_tbEUljE_ZNSN_ISO_Lb0ESQ_SR_SQ_SR_SV_EESW_SX_SY_SZ_S13_S14_S15_S18_S19_jS1A_jS1B_S1B_jjS1D_bEUljE0_EEESW_SX_SY_S15_S19_S1B_T6_T7_T9_mT8_S1D_bDpT10_ENKUlT_T0_E_clISt17integral_constantIbLb0EES1R_EEDaS1M_S1N_EUlS1M_E_NS1_11comp_targetILNS1_3genE9ELNS1_11target_archE1100ELNS1_3gpuE3ELNS1_3repE0EEENS1_30default_config_static_selectorELNS0_4arch9wavefront6targetE1EEEvSZ_.num_agpr, 0
	.set _ZN7rocprim17ROCPRIM_400000_NS6detail17trampoline_kernelINS0_13select_configILj256ELj13ELNS0_17block_load_methodE3ELS4_3ELS4_3ELNS0_20block_scan_algorithmE0ELj4294967295EEENS1_25partition_config_selectorILNS1_17partition_subalgoE4EjNS0_10empty_typeEbEEZZNS1_14partition_implILS8_4ELb0ES6_15HIP_vector_typeIjLj2EENS0_17counting_iteratorIjlEEPS9_SG_NS0_5tupleIJPjSI_NS0_16reverse_iteratorISI_EEEEENSH_IJSG_SG_SG_EEES9_SI_JZNS1_25segmented_radix_sort_implINS0_14default_configELb0EPKlPlSQ_SR_N2at6native12_GLOBAL__N_18offset_tEEE10hipError_tPvRmT1_PNSt15iterator_traitsISZ_E10value_typeET2_T3_PNS10_IS15_E10value_typeET4_jRbjT5_S1B_jjP12ihipStream_tbEUljE_ZNSN_ISO_Lb0ESQ_SR_SQ_SR_SV_EESW_SX_SY_SZ_S13_S14_S15_S18_S19_jS1A_jS1B_S1B_jjS1D_bEUljE0_EEESW_SX_SY_S15_S19_S1B_T6_T7_T9_mT8_S1D_bDpT10_ENKUlT_T0_E_clISt17integral_constantIbLb0EES1R_EEDaS1M_S1N_EUlS1M_E_NS1_11comp_targetILNS1_3genE9ELNS1_11target_archE1100ELNS1_3gpuE3ELNS1_3repE0EEENS1_30default_config_static_selectorELNS0_4arch9wavefront6targetE1EEEvSZ_.numbered_sgpr, 0
	.set _ZN7rocprim17ROCPRIM_400000_NS6detail17trampoline_kernelINS0_13select_configILj256ELj13ELNS0_17block_load_methodE3ELS4_3ELS4_3ELNS0_20block_scan_algorithmE0ELj4294967295EEENS1_25partition_config_selectorILNS1_17partition_subalgoE4EjNS0_10empty_typeEbEEZZNS1_14partition_implILS8_4ELb0ES6_15HIP_vector_typeIjLj2EENS0_17counting_iteratorIjlEEPS9_SG_NS0_5tupleIJPjSI_NS0_16reverse_iteratorISI_EEEEENSH_IJSG_SG_SG_EEES9_SI_JZNS1_25segmented_radix_sort_implINS0_14default_configELb0EPKlPlSQ_SR_N2at6native12_GLOBAL__N_18offset_tEEE10hipError_tPvRmT1_PNSt15iterator_traitsISZ_E10value_typeET2_T3_PNS10_IS15_E10value_typeET4_jRbjT5_S1B_jjP12ihipStream_tbEUljE_ZNSN_ISO_Lb0ESQ_SR_SQ_SR_SV_EESW_SX_SY_SZ_S13_S14_S15_S18_S19_jS1A_jS1B_S1B_jjS1D_bEUljE0_EEESW_SX_SY_S15_S19_S1B_T6_T7_T9_mT8_S1D_bDpT10_ENKUlT_T0_E_clISt17integral_constantIbLb0EES1R_EEDaS1M_S1N_EUlS1M_E_NS1_11comp_targetILNS1_3genE9ELNS1_11target_archE1100ELNS1_3gpuE3ELNS1_3repE0EEENS1_30default_config_static_selectorELNS0_4arch9wavefront6targetE1EEEvSZ_.num_named_barrier, 0
	.set _ZN7rocprim17ROCPRIM_400000_NS6detail17trampoline_kernelINS0_13select_configILj256ELj13ELNS0_17block_load_methodE3ELS4_3ELS4_3ELNS0_20block_scan_algorithmE0ELj4294967295EEENS1_25partition_config_selectorILNS1_17partition_subalgoE4EjNS0_10empty_typeEbEEZZNS1_14partition_implILS8_4ELb0ES6_15HIP_vector_typeIjLj2EENS0_17counting_iteratorIjlEEPS9_SG_NS0_5tupleIJPjSI_NS0_16reverse_iteratorISI_EEEEENSH_IJSG_SG_SG_EEES9_SI_JZNS1_25segmented_radix_sort_implINS0_14default_configELb0EPKlPlSQ_SR_N2at6native12_GLOBAL__N_18offset_tEEE10hipError_tPvRmT1_PNSt15iterator_traitsISZ_E10value_typeET2_T3_PNS10_IS15_E10value_typeET4_jRbjT5_S1B_jjP12ihipStream_tbEUljE_ZNSN_ISO_Lb0ESQ_SR_SQ_SR_SV_EESW_SX_SY_SZ_S13_S14_S15_S18_S19_jS1A_jS1B_S1B_jjS1D_bEUljE0_EEESW_SX_SY_S15_S19_S1B_T6_T7_T9_mT8_S1D_bDpT10_ENKUlT_T0_E_clISt17integral_constantIbLb0EES1R_EEDaS1M_S1N_EUlS1M_E_NS1_11comp_targetILNS1_3genE9ELNS1_11target_archE1100ELNS1_3gpuE3ELNS1_3repE0EEENS1_30default_config_static_selectorELNS0_4arch9wavefront6targetE1EEEvSZ_.private_seg_size, 0
	.set _ZN7rocprim17ROCPRIM_400000_NS6detail17trampoline_kernelINS0_13select_configILj256ELj13ELNS0_17block_load_methodE3ELS4_3ELS4_3ELNS0_20block_scan_algorithmE0ELj4294967295EEENS1_25partition_config_selectorILNS1_17partition_subalgoE4EjNS0_10empty_typeEbEEZZNS1_14partition_implILS8_4ELb0ES6_15HIP_vector_typeIjLj2EENS0_17counting_iteratorIjlEEPS9_SG_NS0_5tupleIJPjSI_NS0_16reverse_iteratorISI_EEEEENSH_IJSG_SG_SG_EEES9_SI_JZNS1_25segmented_radix_sort_implINS0_14default_configELb0EPKlPlSQ_SR_N2at6native12_GLOBAL__N_18offset_tEEE10hipError_tPvRmT1_PNSt15iterator_traitsISZ_E10value_typeET2_T3_PNS10_IS15_E10value_typeET4_jRbjT5_S1B_jjP12ihipStream_tbEUljE_ZNSN_ISO_Lb0ESQ_SR_SQ_SR_SV_EESW_SX_SY_SZ_S13_S14_S15_S18_S19_jS1A_jS1B_S1B_jjS1D_bEUljE0_EEESW_SX_SY_S15_S19_S1B_T6_T7_T9_mT8_S1D_bDpT10_ENKUlT_T0_E_clISt17integral_constantIbLb0EES1R_EEDaS1M_S1N_EUlS1M_E_NS1_11comp_targetILNS1_3genE9ELNS1_11target_archE1100ELNS1_3gpuE3ELNS1_3repE0EEENS1_30default_config_static_selectorELNS0_4arch9wavefront6targetE1EEEvSZ_.uses_vcc, 0
	.set _ZN7rocprim17ROCPRIM_400000_NS6detail17trampoline_kernelINS0_13select_configILj256ELj13ELNS0_17block_load_methodE3ELS4_3ELS4_3ELNS0_20block_scan_algorithmE0ELj4294967295EEENS1_25partition_config_selectorILNS1_17partition_subalgoE4EjNS0_10empty_typeEbEEZZNS1_14partition_implILS8_4ELb0ES6_15HIP_vector_typeIjLj2EENS0_17counting_iteratorIjlEEPS9_SG_NS0_5tupleIJPjSI_NS0_16reverse_iteratorISI_EEEEENSH_IJSG_SG_SG_EEES9_SI_JZNS1_25segmented_radix_sort_implINS0_14default_configELb0EPKlPlSQ_SR_N2at6native12_GLOBAL__N_18offset_tEEE10hipError_tPvRmT1_PNSt15iterator_traitsISZ_E10value_typeET2_T3_PNS10_IS15_E10value_typeET4_jRbjT5_S1B_jjP12ihipStream_tbEUljE_ZNSN_ISO_Lb0ESQ_SR_SQ_SR_SV_EESW_SX_SY_SZ_S13_S14_S15_S18_S19_jS1A_jS1B_S1B_jjS1D_bEUljE0_EEESW_SX_SY_S15_S19_S1B_T6_T7_T9_mT8_S1D_bDpT10_ENKUlT_T0_E_clISt17integral_constantIbLb0EES1R_EEDaS1M_S1N_EUlS1M_E_NS1_11comp_targetILNS1_3genE9ELNS1_11target_archE1100ELNS1_3gpuE3ELNS1_3repE0EEENS1_30default_config_static_selectorELNS0_4arch9wavefront6targetE1EEEvSZ_.uses_flat_scratch, 0
	.set _ZN7rocprim17ROCPRIM_400000_NS6detail17trampoline_kernelINS0_13select_configILj256ELj13ELNS0_17block_load_methodE3ELS4_3ELS4_3ELNS0_20block_scan_algorithmE0ELj4294967295EEENS1_25partition_config_selectorILNS1_17partition_subalgoE4EjNS0_10empty_typeEbEEZZNS1_14partition_implILS8_4ELb0ES6_15HIP_vector_typeIjLj2EENS0_17counting_iteratorIjlEEPS9_SG_NS0_5tupleIJPjSI_NS0_16reverse_iteratorISI_EEEEENSH_IJSG_SG_SG_EEES9_SI_JZNS1_25segmented_radix_sort_implINS0_14default_configELb0EPKlPlSQ_SR_N2at6native12_GLOBAL__N_18offset_tEEE10hipError_tPvRmT1_PNSt15iterator_traitsISZ_E10value_typeET2_T3_PNS10_IS15_E10value_typeET4_jRbjT5_S1B_jjP12ihipStream_tbEUljE_ZNSN_ISO_Lb0ESQ_SR_SQ_SR_SV_EESW_SX_SY_SZ_S13_S14_S15_S18_S19_jS1A_jS1B_S1B_jjS1D_bEUljE0_EEESW_SX_SY_S15_S19_S1B_T6_T7_T9_mT8_S1D_bDpT10_ENKUlT_T0_E_clISt17integral_constantIbLb0EES1R_EEDaS1M_S1N_EUlS1M_E_NS1_11comp_targetILNS1_3genE9ELNS1_11target_archE1100ELNS1_3gpuE3ELNS1_3repE0EEENS1_30default_config_static_selectorELNS0_4arch9wavefront6targetE1EEEvSZ_.has_dyn_sized_stack, 0
	.set _ZN7rocprim17ROCPRIM_400000_NS6detail17trampoline_kernelINS0_13select_configILj256ELj13ELNS0_17block_load_methodE3ELS4_3ELS4_3ELNS0_20block_scan_algorithmE0ELj4294967295EEENS1_25partition_config_selectorILNS1_17partition_subalgoE4EjNS0_10empty_typeEbEEZZNS1_14partition_implILS8_4ELb0ES6_15HIP_vector_typeIjLj2EENS0_17counting_iteratorIjlEEPS9_SG_NS0_5tupleIJPjSI_NS0_16reverse_iteratorISI_EEEEENSH_IJSG_SG_SG_EEES9_SI_JZNS1_25segmented_radix_sort_implINS0_14default_configELb0EPKlPlSQ_SR_N2at6native12_GLOBAL__N_18offset_tEEE10hipError_tPvRmT1_PNSt15iterator_traitsISZ_E10value_typeET2_T3_PNS10_IS15_E10value_typeET4_jRbjT5_S1B_jjP12ihipStream_tbEUljE_ZNSN_ISO_Lb0ESQ_SR_SQ_SR_SV_EESW_SX_SY_SZ_S13_S14_S15_S18_S19_jS1A_jS1B_S1B_jjS1D_bEUljE0_EEESW_SX_SY_S15_S19_S1B_T6_T7_T9_mT8_S1D_bDpT10_ENKUlT_T0_E_clISt17integral_constantIbLb0EES1R_EEDaS1M_S1N_EUlS1M_E_NS1_11comp_targetILNS1_3genE9ELNS1_11target_archE1100ELNS1_3gpuE3ELNS1_3repE0EEENS1_30default_config_static_selectorELNS0_4arch9wavefront6targetE1EEEvSZ_.has_recursion, 0
	.set _ZN7rocprim17ROCPRIM_400000_NS6detail17trampoline_kernelINS0_13select_configILj256ELj13ELNS0_17block_load_methodE3ELS4_3ELS4_3ELNS0_20block_scan_algorithmE0ELj4294967295EEENS1_25partition_config_selectorILNS1_17partition_subalgoE4EjNS0_10empty_typeEbEEZZNS1_14partition_implILS8_4ELb0ES6_15HIP_vector_typeIjLj2EENS0_17counting_iteratorIjlEEPS9_SG_NS0_5tupleIJPjSI_NS0_16reverse_iteratorISI_EEEEENSH_IJSG_SG_SG_EEES9_SI_JZNS1_25segmented_radix_sort_implINS0_14default_configELb0EPKlPlSQ_SR_N2at6native12_GLOBAL__N_18offset_tEEE10hipError_tPvRmT1_PNSt15iterator_traitsISZ_E10value_typeET2_T3_PNS10_IS15_E10value_typeET4_jRbjT5_S1B_jjP12ihipStream_tbEUljE_ZNSN_ISO_Lb0ESQ_SR_SQ_SR_SV_EESW_SX_SY_SZ_S13_S14_S15_S18_S19_jS1A_jS1B_S1B_jjS1D_bEUljE0_EEESW_SX_SY_S15_S19_S1B_T6_T7_T9_mT8_S1D_bDpT10_ENKUlT_T0_E_clISt17integral_constantIbLb0EES1R_EEDaS1M_S1N_EUlS1M_E_NS1_11comp_targetILNS1_3genE9ELNS1_11target_archE1100ELNS1_3gpuE3ELNS1_3repE0EEENS1_30default_config_static_selectorELNS0_4arch9wavefront6targetE1EEEvSZ_.has_indirect_call, 0
	.section	.AMDGPU.csdata,"",@progbits
; Kernel info:
; codeLenInByte = 0
; TotalNumSgprs: 4
; NumVgprs: 0
; ScratchSize: 0
; MemoryBound: 0
; FloatMode: 240
; IeeeMode: 1
; LDSByteSize: 0 bytes/workgroup (compile time only)
; SGPRBlocks: 0
; VGPRBlocks: 0
; NumSGPRsForWavesPerEU: 4
; NumVGPRsForWavesPerEU: 1
; Occupancy: 10
; WaveLimiterHint : 0
; COMPUTE_PGM_RSRC2:SCRATCH_EN: 0
; COMPUTE_PGM_RSRC2:USER_SGPR: 6
; COMPUTE_PGM_RSRC2:TRAP_HANDLER: 0
; COMPUTE_PGM_RSRC2:TGID_X_EN: 1
; COMPUTE_PGM_RSRC2:TGID_Y_EN: 0
; COMPUTE_PGM_RSRC2:TGID_Z_EN: 0
; COMPUTE_PGM_RSRC2:TIDIG_COMP_CNT: 0
	.section	.text._ZN7rocprim17ROCPRIM_400000_NS6detail17trampoline_kernelINS0_13select_configILj256ELj13ELNS0_17block_load_methodE3ELS4_3ELS4_3ELNS0_20block_scan_algorithmE0ELj4294967295EEENS1_25partition_config_selectorILNS1_17partition_subalgoE4EjNS0_10empty_typeEbEEZZNS1_14partition_implILS8_4ELb0ES6_15HIP_vector_typeIjLj2EENS0_17counting_iteratorIjlEEPS9_SG_NS0_5tupleIJPjSI_NS0_16reverse_iteratorISI_EEEEENSH_IJSG_SG_SG_EEES9_SI_JZNS1_25segmented_radix_sort_implINS0_14default_configELb0EPKlPlSQ_SR_N2at6native12_GLOBAL__N_18offset_tEEE10hipError_tPvRmT1_PNSt15iterator_traitsISZ_E10value_typeET2_T3_PNS10_IS15_E10value_typeET4_jRbjT5_S1B_jjP12ihipStream_tbEUljE_ZNSN_ISO_Lb0ESQ_SR_SQ_SR_SV_EESW_SX_SY_SZ_S13_S14_S15_S18_S19_jS1A_jS1B_S1B_jjS1D_bEUljE0_EEESW_SX_SY_S15_S19_S1B_T6_T7_T9_mT8_S1D_bDpT10_ENKUlT_T0_E_clISt17integral_constantIbLb0EES1R_EEDaS1M_S1N_EUlS1M_E_NS1_11comp_targetILNS1_3genE8ELNS1_11target_archE1030ELNS1_3gpuE2ELNS1_3repE0EEENS1_30default_config_static_selectorELNS0_4arch9wavefront6targetE1EEEvSZ_,"axG",@progbits,_ZN7rocprim17ROCPRIM_400000_NS6detail17trampoline_kernelINS0_13select_configILj256ELj13ELNS0_17block_load_methodE3ELS4_3ELS4_3ELNS0_20block_scan_algorithmE0ELj4294967295EEENS1_25partition_config_selectorILNS1_17partition_subalgoE4EjNS0_10empty_typeEbEEZZNS1_14partition_implILS8_4ELb0ES6_15HIP_vector_typeIjLj2EENS0_17counting_iteratorIjlEEPS9_SG_NS0_5tupleIJPjSI_NS0_16reverse_iteratorISI_EEEEENSH_IJSG_SG_SG_EEES9_SI_JZNS1_25segmented_radix_sort_implINS0_14default_configELb0EPKlPlSQ_SR_N2at6native12_GLOBAL__N_18offset_tEEE10hipError_tPvRmT1_PNSt15iterator_traitsISZ_E10value_typeET2_T3_PNS10_IS15_E10value_typeET4_jRbjT5_S1B_jjP12ihipStream_tbEUljE_ZNSN_ISO_Lb0ESQ_SR_SQ_SR_SV_EESW_SX_SY_SZ_S13_S14_S15_S18_S19_jS1A_jS1B_S1B_jjS1D_bEUljE0_EEESW_SX_SY_S15_S19_S1B_T6_T7_T9_mT8_S1D_bDpT10_ENKUlT_T0_E_clISt17integral_constantIbLb0EES1R_EEDaS1M_S1N_EUlS1M_E_NS1_11comp_targetILNS1_3genE8ELNS1_11target_archE1030ELNS1_3gpuE2ELNS1_3repE0EEENS1_30default_config_static_selectorELNS0_4arch9wavefront6targetE1EEEvSZ_,comdat
	.globl	_ZN7rocprim17ROCPRIM_400000_NS6detail17trampoline_kernelINS0_13select_configILj256ELj13ELNS0_17block_load_methodE3ELS4_3ELS4_3ELNS0_20block_scan_algorithmE0ELj4294967295EEENS1_25partition_config_selectorILNS1_17partition_subalgoE4EjNS0_10empty_typeEbEEZZNS1_14partition_implILS8_4ELb0ES6_15HIP_vector_typeIjLj2EENS0_17counting_iteratorIjlEEPS9_SG_NS0_5tupleIJPjSI_NS0_16reverse_iteratorISI_EEEEENSH_IJSG_SG_SG_EEES9_SI_JZNS1_25segmented_radix_sort_implINS0_14default_configELb0EPKlPlSQ_SR_N2at6native12_GLOBAL__N_18offset_tEEE10hipError_tPvRmT1_PNSt15iterator_traitsISZ_E10value_typeET2_T3_PNS10_IS15_E10value_typeET4_jRbjT5_S1B_jjP12ihipStream_tbEUljE_ZNSN_ISO_Lb0ESQ_SR_SQ_SR_SV_EESW_SX_SY_SZ_S13_S14_S15_S18_S19_jS1A_jS1B_S1B_jjS1D_bEUljE0_EEESW_SX_SY_S15_S19_S1B_T6_T7_T9_mT8_S1D_bDpT10_ENKUlT_T0_E_clISt17integral_constantIbLb0EES1R_EEDaS1M_S1N_EUlS1M_E_NS1_11comp_targetILNS1_3genE8ELNS1_11target_archE1030ELNS1_3gpuE2ELNS1_3repE0EEENS1_30default_config_static_selectorELNS0_4arch9wavefront6targetE1EEEvSZ_ ; -- Begin function _ZN7rocprim17ROCPRIM_400000_NS6detail17trampoline_kernelINS0_13select_configILj256ELj13ELNS0_17block_load_methodE3ELS4_3ELS4_3ELNS0_20block_scan_algorithmE0ELj4294967295EEENS1_25partition_config_selectorILNS1_17partition_subalgoE4EjNS0_10empty_typeEbEEZZNS1_14partition_implILS8_4ELb0ES6_15HIP_vector_typeIjLj2EENS0_17counting_iteratorIjlEEPS9_SG_NS0_5tupleIJPjSI_NS0_16reverse_iteratorISI_EEEEENSH_IJSG_SG_SG_EEES9_SI_JZNS1_25segmented_radix_sort_implINS0_14default_configELb0EPKlPlSQ_SR_N2at6native12_GLOBAL__N_18offset_tEEE10hipError_tPvRmT1_PNSt15iterator_traitsISZ_E10value_typeET2_T3_PNS10_IS15_E10value_typeET4_jRbjT5_S1B_jjP12ihipStream_tbEUljE_ZNSN_ISO_Lb0ESQ_SR_SQ_SR_SV_EESW_SX_SY_SZ_S13_S14_S15_S18_S19_jS1A_jS1B_S1B_jjS1D_bEUljE0_EEESW_SX_SY_S15_S19_S1B_T6_T7_T9_mT8_S1D_bDpT10_ENKUlT_T0_E_clISt17integral_constantIbLb0EES1R_EEDaS1M_S1N_EUlS1M_E_NS1_11comp_targetILNS1_3genE8ELNS1_11target_archE1030ELNS1_3gpuE2ELNS1_3repE0EEENS1_30default_config_static_selectorELNS0_4arch9wavefront6targetE1EEEvSZ_
	.p2align	8
	.type	_ZN7rocprim17ROCPRIM_400000_NS6detail17trampoline_kernelINS0_13select_configILj256ELj13ELNS0_17block_load_methodE3ELS4_3ELS4_3ELNS0_20block_scan_algorithmE0ELj4294967295EEENS1_25partition_config_selectorILNS1_17partition_subalgoE4EjNS0_10empty_typeEbEEZZNS1_14partition_implILS8_4ELb0ES6_15HIP_vector_typeIjLj2EENS0_17counting_iteratorIjlEEPS9_SG_NS0_5tupleIJPjSI_NS0_16reverse_iteratorISI_EEEEENSH_IJSG_SG_SG_EEES9_SI_JZNS1_25segmented_radix_sort_implINS0_14default_configELb0EPKlPlSQ_SR_N2at6native12_GLOBAL__N_18offset_tEEE10hipError_tPvRmT1_PNSt15iterator_traitsISZ_E10value_typeET2_T3_PNS10_IS15_E10value_typeET4_jRbjT5_S1B_jjP12ihipStream_tbEUljE_ZNSN_ISO_Lb0ESQ_SR_SQ_SR_SV_EESW_SX_SY_SZ_S13_S14_S15_S18_S19_jS1A_jS1B_S1B_jjS1D_bEUljE0_EEESW_SX_SY_S15_S19_S1B_T6_T7_T9_mT8_S1D_bDpT10_ENKUlT_T0_E_clISt17integral_constantIbLb0EES1R_EEDaS1M_S1N_EUlS1M_E_NS1_11comp_targetILNS1_3genE8ELNS1_11target_archE1030ELNS1_3gpuE2ELNS1_3repE0EEENS1_30default_config_static_selectorELNS0_4arch9wavefront6targetE1EEEvSZ_,@function
_ZN7rocprim17ROCPRIM_400000_NS6detail17trampoline_kernelINS0_13select_configILj256ELj13ELNS0_17block_load_methodE3ELS4_3ELS4_3ELNS0_20block_scan_algorithmE0ELj4294967295EEENS1_25partition_config_selectorILNS1_17partition_subalgoE4EjNS0_10empty_typeEbEEZZNS1_14partition_implILS8_4ELb0ES6_15HIP_vector_typeIjLj2EENS0_17counting_iteratorIjlEEPS9_SG_NS0_5tupleIJPjSI_NS0_16reverse_iteratorISI_EEEEENSH_IJSG_SG_SG_EEES9_SI_JZNS1_25segmented_radix_sort_implINS0_14default_configELb0EPKlPlSQ_SR_N2at6native12_GLOBAL__N_18offset_tEEE10hipError_tPvRmT1_PNSt15iterator_traitsISZ_E10value_typeET2_T3_PNS10_IS15_E10value_typeET4_jRbjT5_S1B_jjP12ihipStream_tbEUljE_ZNSN_ISO_Lb0ESQ_SR_SQ_SR_SV_EESW_SX_SY_SZ_S13_S14_S15_S18_S19_jS1A_jS1B_S1B_jjS1D_bEUljE0_EEESW_SX_SY_S15_S19_S1B_T6_T7_T9_mT8_S1D_bDpT10_ENKUlT_T0_E_clISt17integral_constantIbLb0EES1R_EEDaS1M_S1N_EUlS1M_E_NS1_11comp_targetILNS1_3genE8ELNS1_11target_archE1030ELNS1_3gpuE2ELNS1_3repE0EEENS1_30default_config_static_selectorELNS0_4arch9wavefront6targetE1EEEvSZ_: ; @_ZN7rocprim17ROCPRIM_400000_NS6detail17trampoline_kernelINS0_13select_configILj256ELj13ELNS0_17block_load_methodE3ELS4_3ELS4_3ELNS0_20block_scan_algorithmE0ELj4294967295EEENS1_25partition_config_selectorILNS1_17partition_subalgoE4EjNS0_10empty_typeEbEEZZNS1_14partition_implILS8_4ELb0ES6_15HIP_vector_typeIjLj2EENS0_17counting_iteratorIjlEEPS9_SG_NS0_5tupleIJPjSI_NS0_16reverse_iteratorISI_EEEEENSH_IJSG_SG_SG_EEES9_SI_JZNS1_25segmented_radix_sort_implINS0_14default_configELb0EPKlPlSQ_SR_N2at6native12_GLOBAL__N_18offset_tEEE10hipError_tPvRmT1_PNSt15iterator_traitsISZ_E10value_typeET2_T3_PNS10_IS15_E10value_typeET4_jRbjT5_S1B_jjP12ihipStream_tbEUljE_ZNSN_ISO_Lb0ESQ_SR_SQ_SR_SV_EESW_SX_SY_SZ_S13_S14_S15_S18_S19_jS1A_jS1B_S1B_jjS1D_bEUljE0_EEESW_SX_SY_S15_S19_S1B_T6_T7_T9_mT8_S1D_bDpT10_ENKUlT_T0_E_clISt17integral_constantIbLb0EES1R_EEDaS1M_S1N_EUlS1M_E_NS1_11comp_targetILNS1_3genE8ELNS1_11target_archE1030ELNS1_3gpuE2ELNS1_3repE0EEENS1_30default_config_static_selectorELNS0_4arch9wavefront6targetE1EEEvSZ_
; %bb.0:
	.section	.rodata,"a",@progbits
	.p2align	6, 0x0
	.amdhsa_kernel _ZN7rocprim17ROCPRIM_400000_NS6detail17trampoline_kernelINS0_13select_configILj256ELj13ELNS0_17block_load_methodE3ELS4_3ELS4_3ELNS0_20block_scan_algorithmE0ELj4294967295EEENS1_25partition_config_selectorILNS1_17partition_subalgoE4EjNS0_10empty_typeEbEEZZNS1_14partition_implILS8_4ELb0ES6_15HIP_vector_typeIjLj2EENS0_17counting_iteratorIjlEEPS9_SG_NS0_5tupleIJPjSI_NS0_16reverse_iteratorISI_EEEEENSH_IJSG_SG_SG_EEES9_SI_JZNS1_25segmented_radix_sort_implINS0_14default_configELb0EPKlPlSQ_SR_N2at6native12_GLOBAL__N_18offset_tEEE10hipError_tPvRmT1_PNSt15iterator_traitsISZ_E10value_typeET2_T3_PNS10_IS15_E10value_typeET4_jRbjT5_S1B_jjP12ihipStream_tbEUljE_ZNSN_ISO_Lb0ESQ_SR_SQ_SR_SV_EESW_SX_SY_SZ_S13_S14_S15_S18_S19_jS1A_jS1B_S1B_jjS1D_bEUljE0_EEESW_SX_SY_S15_S19_S1B_T6_T7_T9_mT8_S1D_bDpT10_ENKUlT_T0_E_clISt17integral_constantIbLb0EES1R_EEDaS1M_S1N_EUlS1M_E_NS1_11comp_targetILNS1_3genE8ELNS1_11target_archE1030ELNS1_3gpuE2ELNS1_3repE0EEENS1_30default_config_static_selectorELNS0_4arch9wavefront6targetE1EEEvSZ_
		.amdhsa_group_segment_fixed_size 0
		.amdhsa_private_segment_fixed_size 0
		.amdhsa_kernarg_size 176
		.amdhsa_user_sgpr_count 6
		.amdhsa_user_sgpr_private_segment_buffer 1
		.amdhsa_user_sgpr_dispatch_ptr 0
		.amdhsa_user_sgpr_queue_ptr 0
		.amdhsa_user_sgpr_kernarg_segment_ptr 1
		.amdhsa_user_sgpr_dispatch_id 0
		.amdhsa_user_sgpr_flat_scratch_init 0
		.amdhsa_user_sgpr_private_segment_size 0
		.amdhsa_uses_dynamic_stack 0
		.amdhsa_system_sgpr_private_segment_wavefront_offset 0
		.amdhsa_system_sgpr_workgroup_id_x 1
		.amdhsa_system_sgpr_workgroup_id_y 0
		.amdhsa_system_sgpr_workgroup_id_z 0
		.amdhsa_system_sgpr_workgroup_info 0
		.amdhsa_system_vgpr_workitem_id 0
		.amdhsa_next_free_vgpr 1
		.amdhsa_next_free_sgpr 0
		.amdhsa_reserve_vcc 0
		.amdhsa_reserve_flat_scratch 0
		.amdhsa_float_round_mode_32 0
		.amdhsa_float_round_mode_16_64 0
		.amdhsa_float_denorm_mode_32 3
		.amdhsa_float_denorm_mode_16_64 3
		.amdhsa_dx10_clamp 1
		.amdhsa_ieee_mode 1
		.amdhsa_fp16_overflow 0
		.amdhsa_exception_fp_ieee_invalid_op 0
		.amdhsa_exception_fp_denorm_src 0
		.amdhsa_exception_fp_ieee_div_zero 0
		.amdhsa_exception_fp_ieee_overflow 0
		.amdhsa_exception_fp_ieee_underflow 0
		.amdhsa_exception_fp_ieee_inexact 0
		.amdhsa_exception_int_div_zero 0
	.end_amdhsa_kernel
	.section	.text._ZN7rocprim17ROCPRIM_400000_NS6detail17trampoline_kernelINS0_13select_configILj256ELj13ELNS0_17block_load_methodE3ELS4_3ELS4_3ELNS0_20block_scan_algorithmE0ELj4294967295EEENS1_25partition_config_selectorILNS1_17partition_subalgoE4EjNS0_10empty_typeEbEEZZNS1_14partition_implILS8_4ELb0ES6_15HIP_vector_typeIjLj2EENS0_17counting_iteratorIjlEEPS9_SG_NS0_5tupleIJPjSI_NS0_16reverse_iteratorISI_EEEEENSH_IJSG_SG_SG_EEES9_SI_JZNS1_25segmented_radix_sort_implINS0_14default_configELb0EPKlPlSQ_SR_N2at6native12_GLOBAL__N_18offset_tEEE10hipError_tPvRmT1_PNSt15iterator_traitsISZ_E10value_typeET2_T3_PNS10_IS15_E10value_typeET4_jRbjT5_S1B_jjP12ihipStream_tbEUljE_ZNSN_ISO_Lb0ESQ_SR_SQ_SR_SV_EESW_SX_SY_SZ_S13_S14_S15_S18_S19_jS1A_jS1B_S1B_jjS1D_bEUljE0_EEESW_SX_SY_S15_S19_S1B_T6_T7_T9_mT8_S1D_bDpT10_ENKUlT_T0_E_clISt17integral_constantIbLb0EES1R_EEDaS1M_S1N_EUlS1M_E_NS1_11comp_targetILNS1_3genE8ELNS1_11target_archE1030ELNS1_3gpuE2ELNS1_3repE0EEENS1_30default_config_static_selectorELNS0_4arch9wavefront6targetE1EEEvSZ_,"axG",@progbits,_ZN7rocprim17ROCPRIM_400000_NS6detail17trampoline_kernelINS0_13select_configILj256ELj13ELNS0_17block_load_methodE3ELS4_3ELS4_3ELNS0_20block_scan_algorithmE0ELj4294967295EEENS1_25partition_config_selectorILNS1_17partition_subalgoE4EjNS0_10empty_typeEbEEZZNS1_14partition_implILS8_4ELb0ES6_15HIP_vector_typeIjLj2EENS0_17counting_iteratorIjlEEPS9_SG_NS0_5tupleIJPjSI_NS0_16reverse_iteratorISI_EEEEENSH_IJSG_SG_SG_EEES9_SI_JZNS1_25segmented_radix_sort_implINS0_14default_configELb0EPKlPlSQ_SR_N2at6native12_GLOBAL__N_18offset_tEEE10hipError_tPvRmT1_PNSt15iterator_traitsISZ_E10value_typeET2_T3_PNS10_IS15_E10value_typeET4_jRbjT5_S1B_jjP12ihipStream_tbEUljE_ZNSN_ISO_Lb0ESQ_SR_SQ_SR_SV_EESW_SX_SY_SZ_S13_S14_S15_S18_S19_jS1A_jS1B_S1B_jjS1D_bEUljE0_EEESW_SX_SY_S15_S19_S1B_T6_T7_T9_mT8_S1D_bDpT10_ENKUlT_T0_E_clISt17integral_constantIbLb0EES1R_EEDaS1M_S1N_EUlS1M_E_NS1_11comp_targetILNS1_3genE8ELNS1_11target_archE1030ELNS1_3gpuE2ELNS1_3repE0EEENS1_30default_config_static_selectorELNS0_4arch9wavefront6targetE1EEEvSZ_,comdat
.Lfunc_end750:
	.size	_ZN7rocprim17ROCPRIM_400000_NS6detail17trampoline_kernelINS0_13select_configILj256ELj13ELNS0_17block_load_methodE3ELS4_3ELS4_3ELNS0_20block_scan_algorithmE0ELj4294967295EEENS1_25partition_config_selectorILNS1_17partition_subalgoE4EjNS0_10empty_typeEbEEZZNS1_14partition_implILS8_4ELb0ES6_15HIP_vector_typeIjLj2EENS0_17counting_iteratorIjlEEPS9_SG_NS0_5tupleIJPjSI_NS0_16reverse_iteratorISI_EEEEENSH_IJSG_SG_SG_EEES9_SI_JZNS1_25segmented_radix_sort_implINS0_14default_configELb0EPKlPlSQ_SR_N2at6native12_GLOBAL__N_18offset_tEEE10hipError_tPvRmT1_PNSt15iterator_traitsISZ_E10value_typeET2_T3_PNS10_IS15_E10value_typeET4_jRbjT5_S1B_jjP12ihipStream_tbEUljE_ZNSN_ISO_Lb0ESQ_SR_SQ_SR_SV_EESW_SX_SY_SZ_S13_S14_S15_S18_S19_jS1A_jS1B_S1B_jjS1D_bEUljE0_EEESW_SX_SY_S15_S19_S1B_T6_T7_T9_mT8_S1D_bDpT10_ENKUlT_T0_E_clISt17integral_constantIbLb0EES1R_EEDaS1M_S1N_EUlS1M_E_NS1_11comp_targetILNS1_3genE8ELNS1_11target_archE1030ELNS1_3gpuE2ELNS1_3repE0EEENS1_30default_config_static_selectorELNS0_4arch9wavefront6targetE1EEEvSZ_, .Lfunc_end750-_ZN7rocprim17ROCPRIM_400000_NS6detail17trampoline_kernelINS0_13select_configILj256ELj13ELNS0_17block_load_methodE3ELS4_3ELS4_3ELNS0_20block_scan_algorithmE0ELj4294967295EEENS1_25partition_config_selectorILNS1_17partition_subalgoE4EjNS0_10empty_typeEbEEZZNS1_14partition_implILS8_4ELb0ES6_15HIP_vector_typeIjLj2EENS0_17counting_iteratorIjlEEPS9_SG_NS0_5tupleIJPjSI_NS0_16reverse_iteratorISI_EEEEENSH_IJSG_SG_SG_EEES9_SI_JZNS1_25segmented_radix_sort_implINS0_14default_configELb0EPKlPlSQ_SR_N2at6native12_GLOBAL__N_18offset_tEEE10hipError_tPvRmT1_PNSt15iterator_traitsISZ_E10value_typeET2_T3_PNS10_IS15_E10value_typeET4_jRbjT5_S1B_jjP12ihipStream_tbEUljE_ZNSN_ISO_Lb0ESQ_SR_SQ_SR_SV_EESW_SX_SY_SZ_S13_S14_S15_S18_S19_jS1A_jS1B_S1B_jjS1D_bEUljE0_EEESW_SX_SY_S15_S19_S1B_T6_T7_T9_mT8_S1D_bDpT10_ENKUlT_T0_E_clISt17integral_constantIbLb0EES1R_EEDaS1M_S1N_EUlS1M_E_NS1_11comp_targetILNS1_3genE8ELNS1_11target_archE1030ELNS1_3gpuE2ELNS1_3repE0EEENS1_30default_config_static_selectorELNS0_4arch9wavefront6targetE1EEEvSZ_
                                        ; -- End function
	.set _ZN7rocprim17ROCPRIM_400000_NS6detail17trampoline_kernelINS0_13select_configILj256ELj13ELNS0_17block_load_methodE3ELS4_3ELS4_3ELNS0_20block_scan_algorithmE0ELj4294967295EEENS1_25partition_config_selectorILNS1_17partition_subalgoE4EjNS0_10empty_typeEbEEZZNS1_14partition_implILS8_4ELb0ES6_15HIP_vector_typeIjLj2EENS0_17counting_iteratorIjlEEPS9_SG_NS0_5tupleIJPjSI_NS0_16reverse_iteratorISI_EEEEENSH_IJSG_SG_SG_EEES9_SI_JZNS1_25segmented_radix_sort_implINS0_14default_configELb0EPKlPlSQ_SR_N2at6native12_GLOBAL__N_18offset_tEEE10hipError_tPvRmT1_PNSt15iterator_traitsISZ_E10value_typeET2_T3_PNS10_IS15_E10value_typeET4_jRbjT5_S1B_jjP12ihipStream_tbEUljE_ZNSN_ISO_Lb0ESQ_SR_SQ_SR_SV_EESW_SX_SY_SZ_S13_S14_S15_S18_S19_jS1A_jS1B_S1B_jjS1D_bEUljE0_EEESW_SX_SY_S15_S19_S1B_T6_T7_T9_mT8_S1D_bDpT10_ENKUlT_T0_E_clISt17integral_constantIbLb0EES1R_EEDaS1M_S1N_EUlS1M_E_NS1_11comp_targetILNS1_3genE8ELNS1_11target_archE1030ELNS1_3gpuE2ELNS1_3repE0EEENS1_30default_config_static_selectorELNS0_4arch9wavefront6targetE1EEEvSZ_.num_vgpr, 0
	.set _ZN7rocprim17ROCPRIM_400000_NS6detail17trampoline_kernelINS0_13select_configILj256ELj13ELNS0_17block_load_methodE3ELS4_3ELS4_3ELNS0_20block_scan_algorithmE0ELj4294967295EEENS1_25partition_config_selectorILNS1_17partition_subalgoE4EjNS0_10empty_typeEbEEZZNS1_14partition_implILS8_4ELb0ES6_15HIP_vector_typeIjLj2EENS0_17counting_iteratorIjlEEPS9_SG_NS0_5tupleIJPjSI_NS0_16reverse_iteratorISI_EEEEENSH_IJSG_SG_SG_EEES9_SI_JZNS1_25segmented_radix_sort_implINS0_14default_configELb0EPKlPlSQ_SR_N2at6native12_GLOBAL__N_18offset_tEEE10hipError_tPvRmT1_PNSt15iterator_traitsISZ_E10value_typeET2_T3_PNS10_IS15_E10value_typeET4_jRbjT5_S1B_jjP12ihipStream_tbEUljE_ZNSN_ISO_Lb0ESQ_SR_SQ_SR_SV_EESW_SX_SY_SZ_S13_S14_S15_S18_S19_jS1A_jS1B_S1B_jjS1D_bEUljE0_EEESW_SX_SY_S15_S19_S1B_T6_T7_T9_mT8_S1D_bDpT10_ENKUlT_T0_E_clISt17integral_constantIbLb0EES1R_EEDaS1M_S1N_EUlS1M_E_NS1_11comp_targetILNS1_3genE8ELNS1_11target_archE1030ELNS1_3gpuE2ELNS1_3repE0EEENS1_30default_config_static_selectorELNS0_4arch9wavefront6targetE1EEEvSZ_.num_agpr, 0
	.set _ZN7rocprim17ROCPRIM_400000_NS6detail17trampoline_kernelINS0_13select_configILj256ELj13ELNS0_17block_load_methodE3ELS4_3ELS4_3ELNS0_20block_scan_algorithmE0ELj4294967295EEENS1_25partition_config_selectorILNS1_17partition_subalgoE4EjNS0_10empty_typeEbEEZZNS1_14partition_implILS8_4ELb0ES6_15HIP_vector_typeIjLj2EENS0_17counting_iteratorIjlEEPS9_SG_NS0_5tupleIJPjSI_NS0_16reverse_iteratorISI_EEEEENSH_IJSG_SG_SG_EEES9_SI_JZNS1_25segmented_radix_sort_implINS0_14default_configELb0EPKlPlSQ_SR_N2at6native12_GLOBAL__N_18offset_tEEE10hipError_tPvRmT1_PNSt15iterator_traitsISZ_E10value_typeET2_T3_PNS10_IS15_E10value_typeET4_jRbjT5_S1B_jjP12ihipStream_tbEUljE_ZNSN_ISO_Lb0ESQ_SR_SQ_SR_SV_EESW_SX_SY_SZ_S13_S14_S15_S18_S19_jS1A_jS1B_S1B_jjS1D_bEUljE0_EEESW_SX_SY_S15_S19_S1B_T6_T7_T9_mT8_S1D_bDpT10_ENKUlT_T0_E_clISt17integral_constantIbLb0EES1R_EEDaS1M_S1N_EUlS1M_E_NS1_11comp_targetILNS1_3genE8ELNS1_11target_archE1030ELNS1_3gpuE2ELNS1_3repE0EEENS1_30default_config_static_selectorELNS0_4arch9wavefront6targetE1EEEvSZ_.numbered_sgpr, 0
	.set _ZN7rocprim17ROCPRIM_400000_NS6detail17trampoline_kernelINS0_13select_configILj256ELj13ELNS0_17block_load_methodE3ELS4_3ELS4_3ELNS0_20block_scan_algorithmE0ELj4294967295EEENS1_25partition_config_selectorILNS1_17partition_subalgoE4EjNS0_10empty_typeEbEEZZNS1_14partition_implILS8_4ELb0ES6_15HIP_vector_typeIjLj2EENS0_17counting_iteratorIjlEEPS9_SG_NS0_5tupleIJPjSI_NS0_16reverse_iteratorISI_EEEEENSH_IJSG_SG_SG_EEES9_SI_JZNS1_25segmented_radix_sort_implINS0_14default_configELb0EPKlPlSQ_SR_N2at6native12_GLOBAL__N_18offset_tEEE10hipError_tPvRmT1_PNSt15iterator_traitsISZ_E10value_typeET2_T3_PNS10_IS15_E10value_typeET4_jRbjT5_S1B_jjP12ihipStream_tbEUljE_ZNSN_ISO_Lb0ESQ_SR_SQ_SR_SV_EESW_SX_SY_SZ_S13_S14_S15_S18_S19_jS1A_jS1B_S1B_jjS1D_bEUljE0_EEESW_SX_SY_S15_S19_S1B_T6_T7_T9_mT8_S1D_bDpT10_ENKUlT_T0_E_clISt17integral_constantIbLb0EES1R_EEDaS1M_S1N_EUlS1M_E_NS1_11comp_targetILNS1_3genE8ELNS1_11target_archE1030ELNS1_3gpuE2ELNS1_3repE0EEENS1_30default_config_static_selectorELNS0_4arch9wavefront6targetE1EEEvSZ_.num_named_barrier, 0
	.set _ZN7rocprim17ROCPRIM_400000_NS6detail17trampoline_kernelINS0_13select_configILj256ELj13ELNS0_17block_load_methodE3ELS4_3ELS4_3ELNS0_20block_scan_algorithmE0ELj4294967295EEENS1_25partition_config_selectorILNS1_17partition_subalgoE4EjNS0_10empty_typeEbEEZZNS1_14partition_implILS8_4ELb0ES6_15HIP_vector_typeIjLj2EENS0_17counting_iteratorIjlEEPS9_SG_NS0_5tupleIJPjSI_NS0_16reverse_iteratorISI_EEEEENSH_IJSG_SG_SG_EEES9_SI_JZNS1_25segmented_radix_sort_implINS0_14default_configELb0EPKlPlSQ_SR_N2at6native12_GLOBAL__N_18offset_tEEE10hipError_tPvRmT1_PNSt15iterator_traitsISZ_E10value_typeET2_T3_PNS10_IS15_E10value_typeET4_jRbjT5_S1B_jjP12ihipStream_tbEUljE_ZNSN_ISO_Lb0ESQ_SR_SQ_SR_SV_EESW_SX_SY_SZ_S13_S14_S15_S18_S19_jS1A_jS1B_S1B_jjS1D_bEUljE0_EEESW_SX_SY_S15_S19_S1B_T6_T7_T9_mT8_S1D_bDpT10_ENKUlT_T0_E_clISt17integral_constantIbLb0EES1R_EEDaS1M_S1N_EUlS1M_E_NS1_11comp_targetILNS1_3genE8ELNS1_11target_archE1030ELNS1_3gpuE2ELNS1_3repE0EEENS1_30default_config_static_selectorELNS0_4arch9wavefront6targetE1EEEvSZ_.private_seg_size, 0
	.set _ZN7rocprim17ROCPRIM_400000_NS6detail17trampoline_kernelINS0_13select_configILj256ELj13ELNS0_17block_load_methodE3ELS4_3ELS4_3ELNS0_20block_scan_algorithmE0ELj4294967295EEENS1_25partition_config_selectorILNS1_17partition_subalgoE4EjNS0_10empty_typeEbEEZZNS1_14partition_implILS8_4ELb0ES6_15HIP_vector_typeIjLj2EENS0_17counting_iteratorIjlEEPS9_SG_NS0_5tupleIJPjSI_NS0_16reverse_iteratorISI_EEEEENSH_IJSG_SG_SG_EEES9_SI_JZNS1_25segmented_radix_sort_implINS0_14default_configELb0EPKlPlSQ_SR_N2at6native12_GLOBAL__N_18offset_tEEE10hipError_tPvRmT1_PNSt15iterator_traitsISZ_E10value_typeET2_T3_PNS10_IS15_E10value_typeET4_jRbjT5_S1B_jjP12ihipStream_tbEUljE_ZNSN_ISO_Lb0ESQ_SR_SQ_SR_SV_EESW_SX_SY_SZ_S13_S14_S15_S18_S19_jS1A_jS1B_S1B_jjS1D_bEUljE0_EEESW_SX_SY_S15_S19_S1B_T6_T7_T9_mT8_S1D_bDpT10_ENKUlT_T0_E_clISt17integral_constantIbLb0EES1R_EEDaS1M_S1N_EUlS1M_E_NS1_11comp_targetILNS1_3genE8ELNS1_11target_archE1030ELNS1_3gpuE2ELNS1_3repE0EEENS1_30default_config_static_selectorELNS0_4arch9wavefront6targetE1EEEvSZ_.uses_vcc, 0
	.set _ZN7rocprim17ROCPRIM_400000_NS6detail17trampoline_kernelINS0_13select_configILj256ELj13ELNS0_17block_load_methodE3ELS4_3ELS4_3ELNS0_20block_scan_algorithmE0ELj4294967295EEENS1_25partition_config_selectorILNS1_17partition_subalgoE4EjNS0_10empty_typeEbEEZZNS1_14partition_implILS8_4ELb0ES6_15HIP_vector_typeIjLj2EENS0_17counting_iteratorIjlEEPS9_SG_NS0_5tupleIJPjSI_NS0_16reverse_iteratorISI_EEEEENSH_IJSG_SG_SG_EEES9_SI_JZNS1_25segmented_radix_sort_implINS0_14default_configELb0EPKlPlSQ_SR_N2at6native12_GLOBAL__N_18offset_tEEE10hipError_tPvRmT1_PNSt15iterator_traitsISZ_E10value_typeET2_T3_PNS10_IS15_E10value_typeET4_jRbjT5_S1B_jjP12ihipStream_tbEUljE_ZNSN_ISO_Lb0ESQ_SR_SQ_SR_SV_EESW_SX_SY_SZ_S13_S14_S15_S18_S19_jS1A_jS1B_S1B_jjS1D_bEUljE0_EEESW_SX_SY_S15_S19_S1B_T6_T7_T9_mT8_S1D_bDpT10_ENKUlT_T0_E_clISt17integral_constantIbLb0EES1R_EEDaS1M_S1N_EUlS1M_E_NS1_11comp_targetILNS1_3genE8ELNS1_11target_archE1030ELNS1_3gpuE2ELNS1_3repE0EEENS1_30default_config_static_selectorELNS0_4arch9wavefront6targetE1EEEvSZ_.uses_flat_scratch, 0
	.set _ZN7rocprim17ROCPRIM_400000_NS6detail17trampoline_kernelINS0_13select_configILj256ELj13ELNS0_17block_load_methodE3ELS4_3ELS4_3ELNS0_20block_scan_algorithmE0ELj4294967295EEENS1_25partition_config_selectorILNS1_17partition_subalgoE4EjNS0_10empty_typeEbEEZZNS1_14partition_implILS8_4ELb0ES6_15HIP_vector_typeIjLj2EENS0_17counting_iteratorIjlEEPS9_SG_NS0_5tupleIJPjSI_NS0_16reverse_iteratorISI_EEEEENSH_IJSG_SG_SG_EEES9_SI_JZNS1_25segmented_radix_sort_implINS0_14default_configELb0EPKlPlSQ_SR_N2at6native12_GLOBAL__N_18offset_tEEE10hipError_tPvRmT1_PNSt15iterator_traitsISZ_E10value_typeET2_T3_PNS10_IS15_E10value_typeET4_jRbjT5_S1B_jjP12ihipStream_tbEUljE_ZNSN_ISO_Lb0ESQ_SR_SQ_SR_SV_EESW_SX_SY_SZ_S13_S14_S15_S18_S19_jS1A_jS1B_S1B_jjS1D_bEUljE0_EEESW_SX_SY_S15_S19_S1B_T6_T7_T9_mT8_S1D_bDpT10_ENKUlT_T0_E_clISt17integral_constantIbLb0EES1R_EEDaS1M_S1N_EUlS1M_E_NS1_11comp_targetILNS1_3genE8ELNS1_11target_archE1030ELNS1_3gpuE2ELNS1_3repE0EEENS1_30default_config_static_selectorELNS0_4arch9wavefront6targetE1EEEvSZ_.has_dyn_sized_stack, 0
	.set _ZN7rocprim17ROCPRIM_400000_NS6detail17trampoline_kernelINS0_13select_configILj256ELj13ELNS0_17block_load_methodE3ELS4_3ELS4_3ELNS0_20block_scan_algorithmE0ELj4294967295EEENS1_25partition_config_selectorILNS1_17partition_subalgoE4EjNS0_10empty_typeEbEEZZNS1_14partition_implILS8_4ELb0ES6_15HIP_vector_typeIjLj2EENS0_17counting_iteratorIjlEEPS9_SG_NS0_5tupleIJPjSI_NS0_16reverse_iteratorISI_EEEEENSH_IJSG_SG_SG_EEES9_SI_JZNS1_25segmented_radix_sort_implINS0_14default_configELb0EPKlPlSQ_SR_N2at6native12_GLOBAL__N_18offset_tEEE10hipError_tPvRmT1_PNSt15iterator_traitsISZ_E10value_typeET2_T3_PNS10_IS15_E10value_typeET4_jRbjT5_S1B_jjP12ihipStream_tbEUljE_ZNSN_ISO_Lb0ESQ_SR_SQ_SR_SV_EESW_SX_SY_SZ_S13_S14_S15_S18_S19_jS1A_jS1B_S1B_jjS1D_bEUljE0_EEESW_SX_SY_S15_S19_S1B_T6_T7_T9_mT8_S1D_bDpT10_ENKUlT_T0_E_clISt17integral_constantIbLb0EES1R_EEDaS1M_S1N_EUlS1M_E_NS1_11comp_targetILNS1_3genE8ELNS1_11target_archE1030ELNS1_3gpuE2ELNS1_3repE0EEENS1_30default_config_static_selectorELNS0_4arch9wavefront6targetE1EEEvSZ_.has_recursion, 0
	.set _ZN7rocprim17ROCPRIM_400000_NS6detail17trampoline_kernelINS0_13select_configILj256ELj13ELNS0_17block_load_methodE3ELS4_3ELS4_3ELNS0_20block_scan_algorithmE0ELj4294967295EEENS1_25partition_config_selectorILNS1_17partition_subalgoE4EjNS0_10empty_typeEbEEZZNS1_14partition_implILS8_4ELb0ES6_15HIP_vector_typeIjLj2EENS0_17counting_iteratorIjlEEPS9_SG_NS0_5tupleIJPjSI_NS0_16reverse_iteratorISI_EEEEENSH_IJSG_SG_SG_EEES9_SI_JZNS1_25segmented_radix_sort_implINS0_14default_configELb0EPKlPlSQ_SR_N2at6native12_GLOBAL__N_18offset_tEEE10hipError_tPvRmT1_PNSt15iterator_traitsISZ_E10value_typeET2_T3_PNS10_IS15_E10value_typeET4_jRbjT5_S1B_jjP12ihipStream_tbEUljE_ZNSN_ISO_Lb0ESQ_SR_SQ_SR_SV_EESW_SX_SY_SZ_S13_S14_S15_S18_S19_jS1A_jS1B_S1B_jjS1D_bEUljE0_EEESW_SX_SY_S15_S19_S1B_T6_T7_T9_mT8_S1D_bDpT10_ENKUlT_T0_E_clISt17integral_constantIbLb0EES1R_EEDaS1M_S1N_EUlS1M_E_NS1_11comp_targetILNS1_3genE8ELNS1_11target_archE1030ELNS1_3gpuE2ELNS1_3repE0EEENS1_30default_config_static_selectorELNS0_4arch9wavefront6targetE1EEEvSZ_.has_indirect_call, 0
	.section	.AMDGPU.csdata,"",@progbits
; Kernel info:
; codeLenInByte = 0
; TotalNumSgprs: 4
; NumVgprs: 0
; ScratchSize: 0
; MemoryBound: 0
; FloatMode: 240
; IeeeMode: 1
; LDSByteSize: 0 bytes/workgroup (compile time only)
; SGPRBlocks: 0
; VGPRBlocks: 0
; NumSGPRsForWavesPerEU: 4
; NumVGPRsForWavesPerEU: 1
; Occupancy: 10
; WaveLimiterHint : 0
; COMPUTE_PGM_RSRC2:SCRATCH_EN: 0
; COMPUTE_PGM_RSRC2:USER_SGPR: 6
; COMPUTE_PGM_RSRC2:TRAP_HANDLER: 0
; COMPUTE_PGM_RSRC2:TGID_X_EN: 1
; COMPUTE_PGM_RSRC2:TGID_Y_EN: 0
; COMPUTE_PGM_RSRC2:TGID_Z_EN: 0
; COMPUTE_PGM_RSRC2:TIDIG_COMP_CNT: 0
	.section	.text._ZN7rocprim17ROCPRIM_400000_NS6detail17trampoline_kernelINS0_13select_configILj256ELj13ELNS0_17block_load_methodE3ELS4_3ELS4_3ELNS0_20block_scan_algorithmE0ELj4294967295EEENS1_25partition_config_selectorILNS1_17partition_subalgoE4EjNS0_10empty_typeEbEEZZNS1_14partition_implILS8_4ELb0ES6_15HIP_vector_typeIjLj2EENS0_17counting_iteratorIjlEEPS9_SG_NS0_5tupleIJPjSI_NS0_16reverse_iteratorISI_EEEEENSH_IJSG_SG_SG_EEES9_SI_JZNS1_25segmented_radix_sort_implINS0_14default_configELb0EPKlPlSQ_SR_N2at6native12_GLOBAL__N_18offset_tEEE10hipError_tPvRmT1_PNSt15iterator_traitsISZ_E10value_typeET2_T3_PNS10_IS15_E10value_typeET4_jRbjT5_S1B_jjP12ihipStream_tbEUljE_ZNSN_ISO_Lb0ESQ_SR_SQ_SR_SV_EESW_SX_SY_SZ_S13_S14_S15_S18_S19_jS1A_jS1B_S1B_jjS1D_bEUljE0_EEESW_SX_SY_S15_S19_S1B_T6_T7_T9_mT8_S1D_bDpT10_ENKUlT_T0_E_clISt17integral_constantIbLb1EES1R_EEDaS1M_S1N_EUlS1M_E_NS1_11comp_targetILNS1_3genE0ELNS1_11target_archE4294967295ELNS1_3gpuE0ELNS1_3repE0EEENS1_30default_config_static_selectorELNS0_4arch9wavefront6targetE1EEEvSZ_,"axG",@progbits,_ZN7rocprim17ROCPRIM_400000_NS6detail17trampoline_kernelINS0_13select_configILj256ELj13ELNS0_17block_load_methodE3ELS4_3ELS4_3ELNS0_20block_scan_algorithmE0ELj4294967295EEENS1_25partition_config_selectorILNS1_17partition_subalgoE4EjNS0_10empty_typeEbEEZZNS1_14partition_implILS8_4ELb0ES6_15HIP_vector_typeIjLj2EENS0_17counting_iteratorIjlEEPS9_SG_NS0_5tupleIJPjSI_NS0_16reverse_iteratorISI_EEEEENSH_IJSG_SG_SG_EEES9_SI_JZNS1_25segmented_radix_sort_implINS0_14default_configELb0EPKlPlSQ_SR_N2at6native12_GLOBAL__N_18offset_tEEE10hipError_tPvRmT1_PNSt15iterator_traitsISZ_E10value_typeET2_T3_PNS10_IS15_E10value_typeET4_jRbjT5_S1B_jjP12ihipStream_tbEUljE_ZNSN_ISO_Lb0ESQ_SR_SQ_SR_SV_EESW_SX_SY_SZ_S13_S14_S15_S18_S19_jS1A_jS1B_S1B_jjS1D_bEUljE0_EEESW_SX_SY_S15_S19_S1B_T6_T7_T9_mT8_S1D_bDpT10_ENKUlT_T0_E_clISt17integral_constantIbLb1EES1R_EEDaS1M_S1N_EUlS1M_E_NS1_11comp_targetILNS1_3genE0ELNS1_11target_archE4294967295ELNS1_3gpuE0ELNS1_3repE0EEENS1_30default_config_static_selectorELNS0_4arch9wavefront6targetE1EEEvSZ_,comdat
	.globl	_ZN7rocprim17ROCPRIM_400000_NS6detail17trampoline_kernelINS0_13select_configILj256ELj13ELNS0_17block_load_methodE3ELS4_3ELS4_3ELNS0_20block_scan_algorithmE0ELj4294967295EEENS1_25partition_config_selectorILNS1_17partition_subalgoE4EjNS0_10empty_typeEbEEZZNS1_14partition_implILS8_4ELb0ES6_15HIP_vector_typeIjLj2EENS0_17counting_iteratorIjlEEPS9_SG_NS0_5tupleIJPjSI_NS0_16reverse_iteratorISI_EEEEENSH_IJSG_SG_SG_EEES9_SI_JZNS1_25segmented_radix_sort_implINS0_14default_configELb0EPKlPlSQ_SR_N2at6native12_GLOBAL__N_18offset_tEEE10hipError_tPvRmT1_PNSt15iterator_traitsISZ_E10value_typeET2_T3_PNS10_IS15_E10value_typeET4_jRbjT5_S1B_jjP12ihipStream_tbEUljE_ZNSN_ISO_Lb0ESQ_SR_SQ_SR_SV_EESW_SX_SY_SZ_S13_S14_S15_S18_S19_jS1A_jS1B_S1B_jjS1D_bEUljE0_EEESW_SX_SY_S15_S19_S1B_T6_T7_T9_mT8_S1D_bDpT10_ENKUlT_T0_E_clISt17integral_constantIbLb1EES1R_EEDaS1M_S1N_EUlS1M_E_NS1_11comp_targetILNS1_3genE0ELNS1_11target_archE4294967295ELNS1_3gpuE0ELNS1_3repE0EEENS1_30default_config_static_selectorELNS0_4arch9wavefront6targetE1EEEvSZ_ ; -- Begin function _ZN7rocprim17ROCPRIM_400000_NS6detail17trampoline_kernelINS0_13select_configILj256ELj13ELNS0_17block_load_methodE3ELS4_3ELS4_3ELNS0_20block_scan_algorithmE0ELj4294967295EEENS1_25partition_config_selectorILNS1_17partition_subalgoE4EjNS0_10empty_typeEbEEZZNS1_14partition_implILS8_4ELb0ES6_15HIP_vector_typeIjLj2EENS0_17counting_iteratorIjlEEPS9_SG_NS0_5tupleIJPjSI_NS0_16reverse_iteratorISI_EEEEENSH_IJSG_SG_SG_EEES9_SI_JZNS1_25segmented_radix_sort_implINS0_14default_configELb0EPKlPlSQ_SR_N2at6native12_GLOBAL__N_18offset_tEEE10hipError_tPvRmT1_PNSt15iterator_traitsISZ_E10value_typeET2_T3_PNS10_IS15_E10value_typeET4_jRbjT5_S1B_jjP12ihipStream_tbEUljE_ZNSN_ISO_Lb0ESQ_SR_SQ_SR_SV_EESW_SX_SY_SZ_S13_S14_S15_S18_S19_jS1A_jS1B_S1B_jjS1D_bEUljE0_EEESW_SX_SY_S15_S19_S1B_T6_T7_T9_mT8_S1D_bDpT10_ENKUlT_T0_E_clISt17integral_constantIbLb1EES1R_EEDaS1M_S1N_EUlS1M_E_NS1_11comp_targetILNS1_3genE0ELNS1_11target_archE4294967295ELNS1_3gpuE0ELNS1_3repE0EEENS1_30default_config_static_selectorELNS0_4arch9wavefront6targetE1EEEvSZ_
	.p2align	8
	.type	_ZN7rocprim17ROCPRIM_400000_NS6detail17trampoline_kernelINS0_13select_configILj256ELj13ELNS0_17block_load_methodE3ELS4_3ELS4_3ELNS0_20block_scan_algorithmE0ELj4294967295EEENS1_25partition_config_selectorILNS1_17partition_subalgoE4EjNS0_10empty_typeEbEEZZNS1_14partition_implILS8_4ELb0ES6_15HIP_vector_typeIjLj2EENS0_17counting_iteratorIjlEEPS9_SG_NS0_5tupleIJPjSI_NS0_16reverse_iteratorISI_EEEEENSH_IJSG_SG_SG_EEES9_SI_JZNS1_25segmented_radix_sort_implINS0_14default_configELb0EPKlPlSQ_SR_N2at6native12_GLOBAL__N_18offset_tEEE10hipError_tPvRmT1_PNSt15iterator_traitsISZ_E10value_typeET2_T3_PNS10_IS15_E10value_typeET4_jRbjT5_S1B_jjP12ihipStream_tbEUljE_ZNSN_ISO_Lb0ESQ_SR_SQ_SR_SV_EESW_SX_SY_SZ_S13_S14_S15_S18_S19_jS1A_jS1B_S1B_jjS1D_bEUljE0_EEESW_SX_SY_S15_S19_S1B_T6_T7_T9_mT8_S1D_bDpT10_ENKUlT_T0_E_clISt17integral_constantIbLb1EES1R_EEDaS1M_S1N_EUlS1M_E_NS1_11comp_targetILNS1_3genE0ELNS1_11target_archE4294967295ELNS1_3gpuE0ELNS1_3repE0EEENS1_30default_config_static_selectorELNS0_4arch9wavefront6targetE1EEEvSZ_,@function
_ZN7rocprim17ROCPRIM_400000_NS6detail17trampoline_kernelINS0_13select_configILj256ELj13ELNS0_17block_load_methodE3ELS4_3ELS4_3ELNS0_20block_scan_algorithmE0ELj4294967295EEENS1_25partition_config_selectorILNS1_17partition_subalgoE4EjNS0_10empty_typeEbEEZZNS1_14partition_implILS8_4ELb0ES6_15HIP_vector_typeIjLj2EENS0_17counting_iteratorIjlEEPS9_SG_NS0_5tupleIJPjSI_NS0_16reverse_iteratorISI_EEEEENSH_IJSG_SG_SG_EEES9_SI_JZNS1_25segmented_radix_sort_implINS0_14default_configELb0EPKlPlSQ_SR_N2at6native12_GLOBAL__N_18offset_tEEE10hipError_tPvRmT1_PNSt15iterator_traitsISZ_E10value_typeET2_T3_PNS10_IS15_E10value_typeET4_jRbjT5_S1B_jjP12ihipStream_tbEUljE_ZNSN_ISO_Lb0ESQ_SR_SQ_SR_SV_EESW_SX_SY_SZ_S13_S14_S15_S18_S19_jS1A_jS1B_S1B_jjS1D_bEUljE0_EEESW_SX_SY_S15_S19_S1B_T6_T7_T9_mT8_S1D_bDpT10_ENKUlT_T0_E_clISt17integral_constantIbLb1EES1R_EEDaS1M_S1N_EUlS1M_E_NS1_11comp_targetILNS1_3genE0ELNS1_11target_archE4294967295ELNS1_3gpuE0ELNS1_3repE0EEENS1_30default_config_static_selectorELNS0_4arch9wavefront6targetE1EEEvSZ_: ; @_ZN7rocprim17ROCPRIM_400000_NS6detail17trampoline_kernelINS0_13select_configILj256ELj13ELNS0_17block_load_methodE3ELS4_3ELS4_3ELNS0_20block_scan_algorithmE0ELj4294967295EEENS1_25partition_config_selectorILNS1_17partition_subalgoE4EjNS0_10empty_typeEbEEZZNS1_14partition_implILS8_4ELb0ES6_15HIP_vector_typeIjLj2EENS0_17counting_iteratorIjlEEPS9_SG_NS0_5tupleIJPjSI_NS0_16reverse_iteratorISI_EEEEENSH_IJSG_SG_SG_EEES9_SI_JZNS1_25segmented_radix_sort_implINS0_14default_configELb0EPKlPlSQ_SR_N2at6native12_GLOBAL__N_18offset_tEEE10hipError_tPvRmT1_PNSt15iterator_traitsISZ_E10value_typeET2_T3_PNS10_IS15_E10value_typeET4_jRbjT5_S1B_jjP12ihipStream_tbEUljE_ZNSN_ISO_Lb0ESQ_SR_SQ_SR_SV_EESW_SX_SY_SZ_S13_S14_S15_S18_S19_jS1A_jS1B_S1B_jjS1D_bEUljE0_EEESW_SX_SY_S15_S19_S1B_T6_T7_T9_mT8_S1D_bDpT10_ENKUlT_T0_E_clISt17integral_constantIbLb1EES1R_EEDaS1M_S1N_EUlS1M_E_NS1_11comp_targetILNS1_3genE0ELNS1_11target_archE4294967295ELNS1_3gpuE0ELNS1_3repE0EEENS1_30default_config_static_selectorELNS0_4arch9wavefront6targetE1EEEvSZ_
; %bb.0:
	.section	.rodata,"a",@progbits
	.p2align	6, 0x0
	.amdhsa_kernel _ZN7rocprim17ROCPRIM_400000_NS6detail17trampoline_kernelINS0_13select_configILj256ELj13ELNS0_17block_load_methodE3ELS4_3ELS4_3ELNS0_20block_scan_algorithmE0ELj4294967295EEENS1_25partition_config_selectorILNS1_17partition_subalgoE4EjNS0_10empty_typeEbEEZZNS1_14partition_implILS8_4ELb0ES6_15HIP_vector_typeIjLj2EENS0_17counting_iteratorIjlEEPS9_SG_NS0_5tupleIJPjSI_NS0_16reverse_iteratorISI_EEEEENSH_IJSG_SG_SG_EEES9_SI_JZNS1_25segmented_radix_sort_implINS0_14default_configELb0EPKlPlSQ_SR_N2at6native12_GLOBAL__N_18offset_tEEE10hipError_tPvRmT1_PNSt15iterator_traitsISZ_E10value_typeET2_T3_PNS10_IS15_E10value_typeET4_jRbjT5_S1B_jjP12ihipStream_tbEUljE_ZNSN_ISO_Lb0ESQ_SR_SQ_SR_SV_EESW_SX_SY_SZ_S13_S14_S15_S18_S19_jS1A_jS1B_S1B_jjS1D_bEUljE0_EEESW_SX_SY_S15_S19_S1B_T6_T7_T9_mT8_S1D_bDpT10_ENKUlT_T0_E_clISt17integral_constantIbLb1EES1R_EEDaS1M_S1N_EUlS1M_E_NS1_11comp_targetILNS1_3genE0ELNS1_11target_archE4294967295ELNS1_3gpuE0ELNS1_3repE0EEENS1_30default_config_static_selectorELNS0_4arch9wavefront6targetE1EEEvSZ_
		.amdhsa_group_segment_fixed_size 0
		.amdhsa_private_segment_fixed_size 0
		.amdhsa_kernarg_size 184
		.amdhsa_user_sgpr_count 6
		.amdhsa_user_sgpr_private_segment_buffer 1
		.amdhsa_user_sgpr_dispatch_ptr 0
		.amdhsa_user_sgpr_queue_ptr 0
		.amdhsa_user_sgpr_kernarg_segment_ptr 1
		.amdhsa_user_sgpr_dispatch_id 0
		.amdhsa_user_sgpr_flat_scratch_init 0
		.amdhsa_user_sgpr_private_segment_size 0
		.amdhsa_uses_dynamic_stack 0
		.amdhsa_system_sgpr_private_segment_wavefront_offset 0
		.amdhsa_system_sgpr_workgroup_id_x 1
		.amdhsa_system_sgpr_workgroup_id_y 0
		.amdhsa_system_sgpr_workgroup_id_z 0
		.amdhsa_system_sgpr_workgroup_info 0
		.amdhsa_system_vgpr_workitem_id 0
		.amdhsa_next_free_vgpr 1
		.amdhsa_next_free_sgpr 0
		.amdhsa_reserve_vcc 0
		.amdhsa_reserve_flat_scratch 0
		.amdhsa_float_round_mode_32 0
		.amdhsa_float_round_mode_16_64 0
		.amdhsa_float_denorm_mode_32 3
		.amdhsa_float_denorm_mode_16_64 3
		.amdhsa_dx10_clamp 1
		.amdhsa_ieee_mode 1
		.amdhsa_fp16_overflow 0
		.amdhsa_exception_fp_ieee_invalid_op 0
		.amdhsa_exception_fp_denorm_src 0
		.amdhsa_exception_fp_ieee_div_zero 0
		.amdhsa_exception_fp_ieee_overflow 0
		.amdhsa_exception_fp_ieee_underflow 0
		.amdhsa_exception_fp_ieee_inexact 0
		.amdhsa_exception_int_div_zero 0
	.end_amdhsa_kernel
	.section	.text._ZN7rocprim17ROCPRIM_400000_NS6detail17trampoline_kernelINS0_13select_configILj256ELj13ELNS0_17block_load_methodE3ELS4_3ELS4_3ELNS0_20block_scan_algorithmE0ELj4294967295EEENS1_25partition_config_selectorILNS1_17partition_subalgoE4EjNS0_10empty_typeEbEEZZNS1_14partition_implILS8_4ELb0ES6_15HIP_vector_typeIjLj2EENS0_17counting_iteratorIjlEEPS9_SG_NS0_5tupleIJPjSI_NS0_16reverse_iteratorISI_EEEEENSH_IJSG_SG_SG_EEES9_SI_JZNS1_25segmented_radix_sort_implINS0_14default_configELb0EPKlPlSQ_SR_N2at6native12_GLOBAL__N_18offset_tEEE10hipError_tPvRmT1_PNSt15iterator_traitsISZ_E10value_typeET2_T3_PNS10_IS15_E10value_typeET4_jRbjT5_S1B_jjP12ihipStream_tbEUljE_ZNSN_ISO_Lb0ESQ_SR_SQ_SR_SV_EESW_SX_SY_SZ_S13_S14_S15_S18_S19_jS1A_jS1B_S1B_jjS1D_bEUljE0_EEESW_SX_SY_S15_S19_S1B_T6_T7_T9_mT8_S1D_bDpT10_ENKUlT_T0_E_clISt17integral_constantIbLb1EES1R_EEDaS1M_S1N_EUlS1M_E_NS1_11comp_targetILNS1_3genE0ELNS1_11target_archE4294967295ELNS1_3gpuE0ELNS1_3repE0EEENS1_30default_config_static_selectorELNS0_4arch9wavefront6targetE1EEEvSZ_,"axG",@progbits,_ZN7rocprim17ROCPRIM_400000_NS6detail17trampoline_kernelINS0_13select_configILj256ELj13ELNS0_17block_load_methodE3ELS4_3ELS4_3ELNS0_20block_scan_algorithmE0ELj4294967295EEENS1_25partition_config_selectorILNS1_17partition_subalgoE4EjNS0_10empty_typeEbEEZZNS1_14partition_implILS8_4ELb0ES6_15HIP_vector_typeIjLj2EENS0_17counting_iteratorIjlEEPS9_SG_NS0_5tupleIJPjSI_NS0_16reverse_iteratorISI_EEEEENSH_IJSG_SG_SG_EEES9_SI_JZNS1_25segmented_radix_sort_implINS0_14default_configELb0EPKlPlSQ_SR_N2at6native12_GLOBAL__N_18offset_tEEE10hipError_tPvRmT1_PNSt15iterator_traitsISZ_E10value_typeET2_T3_PNS10_IS15_E10value_typeET4_jRbjT5_S1B_jjP12ihipStream_tbEUljE_ZNSN_ISO_Lb0ESQ_SR_SQ_SR_SV_EESW_SX_SY_SZ_S13_S14_S15_S18_S19_jS1A_jS1B_S1B_jjS1D_bEUljE0_EEESW_SX_SY_S15_S19_S1B_T6_T7_T9_mT8_S1D_bDpT10_ENKUlT_T0_E_clISt17integral_constantIbLb1EES1R_EEDaS1M_S1N_EUlS1M_E_NS1_11comp_targetILNS1_3genE0ELNS1_11target_archE4294967295ELNS1_3gpuE0ELNS1_3repE0EEENS1_30default_config_static_selectorELNS0_4arch9wavefront6targetE1EEEvSZ_,comdat
.Lfunc_end751:
	.size	_ZN7rocprim17ROCPRIM_400000_NS6detail17trampoline_kernelINS0_13select_configILj256ELj13ELNS0_17block_load_methodE3ELS4_3ELS4_3ELNS0_20block_scan_algorithmE0ELj4294967295EEENS1_25partition_config_selectorILNS1_17partition_subalgoE4EjNS0_10empty_typeEbEEZZNS1_14partition_implILS8_4ELb0ES6_15HIP_vector_typeIjLj2EENS0_17counting_iteratorIjlEEPS9_SG_NS0_5tupleIJPjSI_NS0_16reverse_iteratorISI_EEEEENSH_IJSG_SG_SG_EEES9_SI_JZNS1_25segmented_radix_sort_implINS0_14default_configELb0EPKlPlSQ_SR_N2at6native12_GLOBAL__N_18offset_tEEE10hipError_tPvRmT1_PNSt15iterator_traitsISZ_E10value_typeET2_T3_PNS10_IS15_E10value_typeET4_jRbjT5_S1B_jjP12ihipStream_tbEUljE_ZNSN_ISO_Lb0ESQ_SR_SQ_SR_SV_EESW_SX_SY_SZ_S13_S14_S15_S18_S19_jS1A_jS1B_S1B_jjS1D_bEUljE0_EEESW_SX_SY_S15_S19_S1B_T6_T7_T9_mT8_S1D_bDpT10_ENKUlT_T0_E_clISt17integral_constantIbLb1EES1R_EEDaS1M_S1N_EUlS1M_E_NS1_11comp_targetILNS1_3genE0ELNS1_11target_archE4294967295ELNS1_3gpuE0ELNS1_3repE0EEENS1_30default_config_static_selectorELNS0_4arch9wavefront6targetE1EEEvSZ_, .Lfunc_end751-_ZN7rocprim17ROCPRIM_400000_NS6detail17trampoline_kernelINS0_13select_configILj256ELj13ELNS0_17block_load_methodE3ELS4_3ELS4_3ELNS0_20block_scan_algorithmE0ELj4294967295EEENS1_25partition_config_selectorILNS1_17partition_subalgoE4EjNS0_10empty_typeEbEEZZNS1_14partition_implILS8_4ELb0ES6_15HIP_vector_typeIjLj2EENS0_17counting_iteratorIjlEEPS9_SG_NS0_5tupleIJPjSI_NS0_16reverse_iteratorISI_EEEEENSH_IJSG_SG_SG_EEES9_SI_JZNS1_25segmented_radix_sort_implINS0_14default_configELb0EPKlPlSQ_SR_N2at6native12_GLOBAL__N_18offset_tEEE10hipError_tPvRmT1_PNSt15iterator_traitsISZ_E10value_typeET2_T3_PNS10_IS15_E10value_typeET4_jRbjT5_S1B_jjP12ihipStream_tbEUljE_ZNSN_ISO_Lb0ESQ_SR_SQ_SR_SV_EESW_SX_SY_SZ_S13_S14_S15_S18_S19_jS1A_jS1B_S1B_jjS1D_bEUljE0_EEESW_SX_SY_S15_S19_S1B_T6_T7_T9_mT8_S1D_bDpT10_ENKUlT_T0_E_clISt17integral_constantIbLb1EES1R_EEDaS1M_S1N_EUlS1M_E_NS1_11comp_targetILNS1_3genE0ELNS1_11target_archE4294967295ELNS1_3gpuE0ELNS1_3repE0EEENS1_30default_config_static_selectorELNS0_4arch9wavefront6targetE1EEEvSZ_
                                        ; -- End function
	.set _ZN7rocprim17ROCPRIM_400000_NS6detail17trampoline_kernelINS0_13select_configILj256ELj13ELNS0_17block_load_methodE3ELS4_3ELS4_3ELNS0_20block_scan_algorithmE0ELj4294967295EEENS1_25partition_config_selectorILNS1_17partition_subalgoE4EjNS0_10empty_typeEbEEZZNS1_14partition_implILS8_4ELb0ES6_15HIP_vector_typeIjLj2EENS0_17counting_iteratorIjlEEPS9_SG_NS0_5tupleIJPjSI_NS0_16reverse_iteratorISI_EEEEENSH_IJSG_SG_SG_EEES9_SI_JZNS1_25segmented_radix_sort_implINS0_14default_configELb0EPKlPlSQ_SR_N2at6native12_GLOBAL__N_18offset_tEEE10hipError_tPvRmT1_PNSt15iterator_traitsISZ_E10value_typeET2_T3_PNS10_IS15_E10value_typeET4_jRbjT5_S1B_jjP12ihipStream_tbEUljE_ZNSN_ISO_Lb0ESQ_SR_SQ_SR_SV_EESW_SX_SY_SZ_S13_S14_S15_S18_S19_jS1A_jS1B_S1B_jjS1D_bEUljE0_EEESW_SX_SY_S15_S19_S1B_T6_T7_T9_mT8_S1D_bDpT10_ENKUlT_T0_E_clISt17integral_constantIbLb1EES1R_EEDaS1M_S1N_EUlS1M_E_NS1_11comp_targetILNS1_3genE0ELNS1_11target_archE4294967295ELNS1_3gpuE0ELNS1_3repE0EEENS1_30default_config_static_selectorELNS0_4arch9wavefront6targetE1EEEvSZ_.num_vgpr, 0
	.set _ZN7rocprim17ROCPRIM_400000_NS6detail17trampoline_kernelINS0_13select_configILj256ELj13ELNS0_17block_load_methodE3ELS4_3ELS4_3ELNS0_20block_scan_algorithmE0ELj4294967295EEENS1_25partition_config_selectorILNS1_17partition_subalgoE4EjNS0_10empty_typeEbEEZZNS1_14partition_implILS8_4ELb0ES6_15HIP_vector_typeIjLj2EENS0_17counting_iteratorIjlEEPS9_SG_NS0_5tupleIJPjSI_NS0_16reverse_iteratorISI_EEEEENSH_IJSG_SG_SG_EEES9_SI_JZNS1_25segmented_radix_sort_implINS0_14default_configELb0EPKlPlSQ_SR_N2at6native12_GLOBAL__N_18offset_tEEE10hipError_tPvRmT1_PNSt15iterator_traitsISZ_E10value_typeET2_T3_PNS10_IS15_E10value_typeET4_jRbjT5_S1B_jjP12ihipStream_tbEUljE_ZNSN_ISO_Lb0ESQ_SR_SQ_SR_SV_EESW_SX_SY_SZ_S13_S14_S15_S18_S19_jS1A_jS1B_S1B_jjS1D_bEUljE0_EEESW_SX_SY_S15_S19_S1B_T6_T7_T9_mT8_S1D_bDpT10_ENKUlT_T0_E_clISt17integral_constantIbLb1EES1R_EEDaS1M_S1N_EUlS1M_E_NS1_11comp_targetILNS1_3genE0ELNS1_11target_archE4294967295ELNS1_3gpuE0ELNS1_3repE0EEENS1_30default_config_static_selectorELNS0_4arch9wavefront6targetE1EEEvSZ_.num_agpr, 0
	.set _ZN7rocprim17ROCPRIM_400000_NS6detail17trampoline_kernelINS0_13select_configILj256ELj13ELNS0_17block_load_methodE3ELS4_3ELS4_3ELNS0_20block_scan_algorithmE0ELj4294967295EEENS1_25partition_config_selectorILNS1_17partition_subalgoE4EjNS0_10empty_typeEbEEZZNS1_14partition_implILS8_4ELb0ES6_15HIP_vector_typeIjLj2EENS0_17counting_iteratorIjlEEPS9_SG_NS0_5tupleIJPjSI_NS0_16reverse_iteratorISI_EEEEENSH_IJSG_SG_SG_EEES9_SI_JZNS1_25segmented_radix_sort_implINS0_14default_configELb0EPKlPlSQ_SR_N2at6native12_GLOBAL__N_18offset_tEEE10hipError_tPvRmT1_PNSt15iterator_traitsISZ_E10value_typeET2_T3_PNS10_IS15_E10value_typeET4_jRbjT5_S1B_jjP12ihipStream_tbEUljE_ZNSN_ISO_Lb0ESQ_SR_SQ_SR_SV_EESW_SX_SY_SZ_S13_S14_S15_S18_S19_jS1A_jS1B_S1B_jjS1D_bEUljE0_EEESW_SX_SY_S15_S19_S1B_T6_T7_T9_mT8_S1D_bDpT10_ENKUlT_T0_E_clISt17integral_constantIbLb1EES1R_EEDaS1M_S1N_EUlS1M_E_NS1_11comp_targetILNS1_3genE0ELNS1_11target_archE4294967295ELNS1_3gpuE0ELNS1_3repE0EEENS1_30default_config_static_selectorELNS0_4arch9wavefront6targetE1EEEvSZ_.numbered_sgpr, 0
	.set _ZN7rocprim17ROCPRIM_400000_NS6detail17trampoline_kernelINS0_13select_configILj256ELj13ELNS0_17block_load_methodE3ELS4_3ELS4_3ELNS0_20block_scan_algorithmE0ELj4294967295EEENS1_25partition_config_selectorILNS1_17partition_subalgoE4EjNS0_10empty_typeEbEEZZNS1_14partition_implILS8_4ELb0ES6_15HIP_vector_typeIjLj2EENS0_17counting_iteratorIjlEEPS9_SG_NS0_5tupleIJPjSI_NS0_16reverse_iteratorISI_EEEEENSH_IJSG_SG_SG_EEES9_SI_JZNS1_25segmented_radix_sort_implINS0_14default_configELb0EPKlPlSQ_SR_N2at6native12_GLOBAL__N_18offset_tEEE10hipError_tPvRmT1_PNSt15iterator_traitsISZ_E10value_typeET2_T3_PNS10_IS15_E10value_typeET4_jRbjT5_S1B_jjP12ihipStream_tbEUljE_ZNSN_ISO_Lb0ESQ_SR_SQ_SR_SV_EESW_SX_SY_SZ_S13_S14_S15_S18_S19_jS1A_jS1B_S1B_jjS1D_bEUljE0_EEESW_SX_SY_S15_S19_S1B_T6_T7_T9_mT8_S1D_bDpT10_ENKUlT_T0_E_clISt17integral_constantIbLb1EES1R_EEDaS1M_S1N_EUlS1M_E_NS1_11comp_targetILNS1_3genE0ELNS1_11target_archE4294967295ELNS1_3gpuE0ELNS1_3repE0EEENS1_30default_config_static_selectorELNS0_4arch9wavefront6targetE1EEEvSZ_.num_named_barrier, 0
	.set _ZN7rocprim17ROCPRIM_400000_NS6detail17trampoline_kernelINS0_13select_configILj256ELj13ELNS0_17block_load_methodE3ELS4_3ELS4_3ELNS0_20block_scan_algorithmE0ELj4294967295EEENS1_25partition_config_selectorILNS1_17partition_subalgoE4EjNS0_10empty_typeEbEEZZNS1_14partition_implILS8_4ELb0ES6_15HIP_vector_typeIjLj2EENS0_17counting_iteratorIjlEEPS9_SG_NS0_5tupleIJPjSI_NS0_16reverse_iteratorISI_EEEEENSH_IJSG_SG_SG_EEES9_SI_JZNS1_25segmented_radix_sort_implINS0_14default_configELb0EPKlPlSQ_SR_N2at6native12_GLOBAL__N_18offset_tEEE10hipError_tPvRmT1_PNSt15iterator_traitsISZ_E10value_typeET2_T3_PNS10_IS15_E10value_typeET4_jRbjT5_S1B_jjP12ihipStream_tbEUljE_ZNSN_ISO_Lb0ESQ_SR_SQ_SR_SV_EESW_SX_SY_SZ_S13_S14_S15_S18_S19_jS1A_jS1B_S1B_jjS1D_bEUljE0_EEESW_SX_SY_S15_S19_S1B_T6_T7_T9_mT8_S1D_bDpT10_ENKUlT_T0_E_clISt17integral_constantIbLb1EES1R_EEDaS1M_S1N_EUlS1M_E_NS1_11comp_targetILNS1_3genE0ELNS1_11target_archE4294967295ELNS1_3gpuE0ELNS1_3repE0EEENS1_30default_config_static_selectorELNS0_4arch9wavefront6targetE1EEEvSZ_.private_seg_size, 0
	.set _ZN7rocprim17ROCPRIM_400000_NS6detail17trampoline_kernelINS0_13select_configILj256ELj13ELNS0_17block_load_methodE3ELS4_3ELS4_3ELNS0_20block_scan_algorithmE0ELj4294967295EEENS1_25partition_config_selectorILNS1_17partition_subalgoE4EjNS0_10empty_typeEbEEZZNS1_14partition_implILS8_4ELb0ES6_15HIP_vector_typeIjLj2EENS0_17counting_iteratorIjlEEPS9_SG_NS0_5tupleIJPjSI_NS0_16reverse_iteratorISI_EEEEENSH_IJSG_SG_SG_EEES9_SI_JZNS1_25segmented_radix_sort_implINS0_14default_configELb0EPKlPlSQ_SR_N2at6native12_GLOBAL__N_18offset_tEEE10hipError_tPvRmT1_PNSt15iterator_traitsISZ_E10value_typeET2_T3_PNS10_IS15_E10value_typeET4_jRbjT5_S1B_jjP12ihipStream_tbEUljE_ZNSN_ISO_Lb0ESQ_SR_SQ_SR_SV_EESW_SX_SY_SZ_S13_S14_S15_S18_S19_jS1A_jS1B_S1B_jjS1D_bEUljE0_EEESW_SX_SY_S15_S19_S1B_T6_T7_T9_mT8_S1D_bDpT10_ENKUlT_T0_E_clISt17integral_constantIbLb1EES1R_EEDaS1M_S1N_EUlS1M_E_NS1_11comp_targetILNS1_3genE0ELNS1_11target_archE4294967295ELNS1_3gpuE0ELNS1_3repE0EEENS1_30default_config_static_selectorELNS0_4arch9wavefront6targetE1EEEvSZ_.uses_vcc, 0
	.set _ZN7rocprim17ROCPRIM_400000_NS6detail17trampoline_kernelINS0_13select_configILj256ELj13ELNS0_17block_load_methodE3ELS4_3ELS4_3ELNS0_20block_scan_algorithmE0ELj4294967295EEENS1_25partition_config_selectorILNS1_17partition_subalgoE4EjNS0_10empty_typeEbEEZZNS1_14partition_implILS8_4ELb0ES6_15HIP_vector_typeIjLj2EENS0_17counting_iteratorIjlEEPS9_SG_NS0_5tupleIJPjSI_NS0_16reverse_iteratorISI_EEEEENSH_IJSG_SG_SG_EEES9_SI_JZNS1_25segmented_radix_sort_implINS0_14default_configELb0EPKlPlSQ_SR_N2at6native12_GLOBAL__N_18offset_tEEE10hipError_tPvRmT1_PNSt15iterator_traitsISZ_E10value_typeET2_T3_PNS10_IS15_E10value_typeET4_jRbjT5_S1B_jjP12ihipStream_tbEUljE_ZNSN_ISO_Lb0ESQ_SR_SQ_SR_SV_EESW_SX_SY_SZ_S13_S14_S15_S18_S19_jS1A_jS1B_S1B_jjS1D_bEUljE0_EEESW_SX_SY_S15_S19_S1B_T6_T7_T9_mT8_S1D_bDpT10_ENKUlT_T0_E_clISt17integral_constantIbLb1EES1R_EEDaS1M_S1N_EUlS1M_E_NS1_11comp_targetILNS1_3genE0ELNS1_11target_archE4294967295ELNS1_3gpuE0ELNS1_3repE0EEENS1_30default_config_static_selectorELNS0_4arch9wavefront6targetE1EEEvSZ_.uses_flat_scratch, 0
	.set _ZN7rocprim17ROCPRIM_400000_NS6detail17trampoline_kernelINS0_13select_configILj256ELj13ELNS0_17block_load_methodE3ELS4_3ELS4_3ELNS0_20block_scan_algorithmE0ELj4294967295EEENS1_25partition_config_selectorILNS1_17partition_subalgoE4EjNS0_10empty_typeEbEEZZNS1_14partition_implILS8_4ELb0ES6_15HIP_vector_typeIjLj2EENS0_17counting_iteratorIjlEEPS9_SG_NS0_5tupleIJPjSI_NS0_16reverse_iteratorISI_EEEEENSH_IJSG_SG_SG_EEES9_SI_JZNS1_25segmented_radix_sort_implINS0_14default_configELb0EPKlPlSQ_SR_N2at6native12_GLOBAL__N_18offset_tEEE10hipError_tPvRmT1_PNSt15iterator_traitsISZ_E10value_typeET2_T3_PNS10_IS15_E10value_typeET4_jRbjT5_S1B_jjP12ihipStream_tbEUljE_ZNSN_ISO_Lb0ESQ_SR_SQ_SR_SV_EESW_SX_SY_SZ_S13_S14_S15_S18_S19_jS1A_jS1B_S1B_jjS1D_bEUljE0_EEESW_SX_SY_S15_S19_S1B_T6_T7_T9_mT8_S1D_bDpT10_ENKUlT_T0_E_clISt17integral_constantIbLb1EES1R_EEDaS1M_S1N_EUlS1M_E_NS1_11comp_targetILNS1_3genE0ELNS1_11target_archE4294967295ELNS1_3gpuE0ELNS1_3repE0EEENS1_30default_config_static_selectorELNS0_4arch9wavefront6targetE1EEEvSZ_.has_dyn_sized_stack, 0
	.set _ZN7rocprim17ROCPRIM_400000_NS6detail17trampoline_kernelINS0_13select_configILj256ELj13ELNS0_17block_load_methodE3ELS4_3ELS4_3ELNS0_20block_scan_algorithmE0ELj4294967295EEENS1_25partition_config_selectorILNS1_17partition_subalgoE4EjNS0_10empty_typeEbEEZZNS1_14partition_implILS8_4ELb0ES6_15HIP_vector_typeIjLj2EENS0_17counting_iteratorIjlEEPS9_SG_NS0_5tupleIJPjSI_NS0_16reverse_iteratorISI_EEEEENSH_IJSG_SG_SG_EEES9_SI_JZNS1_25segmented_radix_sort_implINS0_14default_configELb0EPKlPlSQ_SR_N2at6native12_GLOBAL__N_18offset_tEEE10hipError_tPvRmT1_PNSt15iterator_traitsISZ_E10value_typeET2_T3_PNS10_IS15_E10value_typeET4_jRbjT5_S1B_jjP12ihipStream_tbEUljE_ZNSN_ISO_Lb0ESQ_SR_SQ_SR_SV_EESW_SX_SY_SZ_S13_S14_S15_S18_S19_jS1A_jS1B_S1B_jjS1D_bEUljE0_EEESW_SX_SY_S15_S19_S1B_T6_T7_T9_mT8_S1D_bDpT10_ENKUlT_T0_E_clISt17integral_constantIbLb1EES1R_EEDaS1M_S1N_EUlS1M_E_NS1_11comp_targetILNS1_3genE0ELNS1_11target_archE4294967295ELNS1_3gpuE0ELNS1_3repE0EEENS1_30default_config_static_selectorELNS0_4arch9wavefront6targetE1EEEvSZ_.has_recursion, 0
	.set _ZN7rocprim17ROCPRIM_400000_NS6detail17trampoline_kernelINS0_13select_configILj256ELj13ELNS0_17block_load_methodE3ELS4_3ELS4_3ELNS0_20block_scan_algorithmE0ELj4294967295EEENS1_25partition_config_selectorILNS1_17partition_subalgoE4EjNS0_10empty_typeEbEEZZNS1_14partition_implILS8_4ELb0ES6_15HIP_vector_typeIjLj2EENS0_17counting_iteratorIjlEEPS9_SG_NS0_5tupleIJPjSI_NS0_16reverse_iteratorISI_EEEEENSH_IJSG_SG_SG_EEES9_SI_JZNS1_25segmented_radix_sort_implINS0_14default_configELb0EPKlPlSQ_SR_N2at6native12_GLOBAL__N_18offset_tEEE10hipError_tPvRmT1_PNSt15iterator_traitsISZ_E10value_typeET2_T3_PNS10_IS15_E10value_typeET4_jRbjT5_S1B_jjP12ihipStream_tbEUljE_ZNSN_ISO_Lb0ESQ_SR_SQ_SR_SV_EESW_SX_SY_SZ_S13_S14_S15_S18_S19_jS1A_jS1B_S1B_jjS1D_bEUljE0_EEESW_SX_SY_S15_S19_S1B_T6_T7_T9_mT8_S1D_bDpT10_ENKUlT_T0_E_clISt17integral_constantIbLb1EES1R_EEDaS1M_S1N_EUlS1M_E_NS1_11comp_targetILNS1_3genE0ELNS1_11target_archE4294967295ELNS1_3gpuE0ELNS1_3repE0EEENS1_30default_config_static_selectorELNS0_4arch9wavefront6targetE1EEEvSZ_.has_indirect_call, 0
	.section	.AMDGPU.csdata,"",@progbits
; Kernel info:
; codeLenInByte = 0
; TotalNumSgprs: 4
; NumVgprs: 0
; ScratchSize: 0
; MemoryBound: 0
; FloatMode: 240
; IeeeMode: 1
; LDSByteSize: 0 bytes/workgroup (compile time only)
; SGPRBlocks: 0
; VGPRBlocks: 0
; NumSGPRsForWavesPerEU: 4
; NumVGPRsForWavesPerEU: 1
; Occupancy: 10
; WaveLimiterHint : 0
; COMPUTE_PGM_RSRC2:SCRATCH_EN: 0
; COMPUTE_PGM_RSRC2:USER_SGPR: 6
; COMPUTE_PGM_RSRC2:TRAP_HANDLER: 0
; COMPUTE_PGM_RSRC2:TGID_X_EN: 1
; COMPUTE_PGM_RSRC2:TGID_Y_EN: 0
; COMPUTE_PGM_RSRC2:TGID_Z_EN: 0
; COMPUTE_PGM_RSRC2:TIDIG_COMP_CNT: 0
	.section	.text._ZN7rocprim17ROCPRIM_400000_NS6detail17trampoline_kernelINS0_13select_configILj256ELj13ELNS0_17block_load_methodE3ELS4_3ELS4_3ELNS0_20block_scan_algorithmE0ELj4294967295EEENS1_25partition_config_selectorILNS1_17partition_subalgoE4EjNS0_10empty_typeEbEEZZNS1_14partition_implILS8_4ELb0ES6_15HIP_vector_typeIjLj2EENS0_17counting_iteratorIjlEEPS9_SG_NS0_5tupleIJPjSI_NS0_16reverse_iteratorISI_EEEEENSH_IJSG_SG_SG_EEES9_SI_JZNS1_25segmented_radix_sort_implINS0_14default_configELb0EPKlPlSQ_SR_N2at6native12_GLOBAL__N_18offset_tEEE10hipError_tPvRmT1_PNSt15iterator_traitsISZ_E10value_typeET2_T3_PNS10_IS15_E10value_typeET4_jRbjT5_S1B_jjP12ihipStream_tbEUljE_ZNSN_ISO_Lb0ESQ_SR_SQ_SR_SV_EESW_SX_SY_SZ_S13_S14_S15_S18_S19_jS1A_jS1B_S1B_jjS1D_bEUljE0_EEESW_SX_SY_S15_S19_S1B_T6_T7_T9_mT8_S1D_bDpT10_ENKUlT_T0_E_clISt17integral_constantIbLb1EES1R_EEDaS1M_S1N_EUlS1M_E_NS1_11comp_targetILNS1_3genE5ELNS1_11target_archE942ELNS1_3gpuE9ELNS1_3repE0EEENS1_30default_config_static_selectorELNS0_4arch9wavefront6targetE1EEEvSZ_,"axG",@progbits,_ZN7rocprim17ROCPRIM_400000_NS6detail17trampoline_kernelINS0_13select_configILj256ELj13ELNS0_17block_load_methodE3ELS4_3ELS4_3ELNS0_20block_scan_algorithmE0ELj4294967295EEENS1_25partition_config_selectorILNS1_17partition_subalgoE4EjNS0_10empty_typeEbEEZZNS1_14partition_implILS8_4ELb0ES6_15HIP_vector_typeIjLj2EENS0_17counting_iteratorIjlEEPS9_SG_NS0_5tupleIJPjSI_NS0_16reverse_iteratorISI_EEEEENSH_IJSG_SG_SG_EEES9_SI_JZNS1_25segmented_radix_sort_implINS0_14default_configELb0EPKlPlSQ_SR_N2at6native12_GLOBAL__N_18offset_tEEE10hipError_tPvRmT1_PNSt15iterator_traitsISZ_E10value_typeET2_T3_PNS10_IS15_E10value_typeET4_jRbjT5_S1B_jjP12ihipStream_tbEUljE_ZNSN_ISO_Lb0ESQ_SR_SQ_SR_SV_EESW_SX_SY_SZ_S13_S14_S15_S18_S19_jS1A_jS1B_S1B_jjS1D_bEUljE0_EEESW_SX_SY_S15_S19_S1B_T6_T7_T9_mT8_S1D_bDpT10_ENKUlT_T0_E_clISt17integral_constantIbLb1EES1R_EEDaS1M_S1N_EUlS1M_E_NS1_11comp_targetILNS1_3genE5ELNS1_11target_archE942ELNS1_3gpuE9ELNS1_3repE0EEENS1_30default_config_static_selectorELNS0_4arch9wavefront6targetE1EEEvSZ_,comdat
	.globl	_ZN7rocprim17ROCPRIM_400000_NS6detail17trampoline_kernelINS0_13select_configILj256ELj13ELNS0_17block_load_methodE3ELS4_3ELS4_3ELNS0_20block_scan_algorithmE0ELj4294967295EEENS1_25partition_config_selectorILNS1_17partition_subalgoE4EjNS0_10empty_typeEbEEZZNS1_14partition_implILS8_4ELb0ES6_15HIP_vector_typeIjLj2EENS0_17counting_iteratorIjlEEPS9_SG_NS0_5tupleIJPjSI_NS0_16reverse_iteratorISI_EEEEENSH_IJSG_SG_SG_EEES9_SI_JZNS1_25segmented_radix_sort_implINS0_14default_configELb0EPKlPlSQ_SR_N2at6native12_GLOBAL__N_18offset_tEEE10hipError_tPvRmT1_PNSt15iterator_traitsISZ_E10value_typeET2_T3_PNS10_IS15_E10value_typeET4_jRbjT5_S1B_jjP12ihipStream_tbEUljE_ZNSN_ISO_Lb0ESQ_SR_SQ_SR_SV_EESW_SX_SY_SZ_S13_S14_S15_S18_S19_jS1A_jS1B_S1B_jjS1D_bEUljE0_EEESW_SX_SY_S15_S19_S1B_T6_T7_T9_mT8_S1D_bDpT10_ENKUlT_T0_E_clISt17integral_constantIbLb1EES1R_EEDaS1M_S1N_EUlS1M_E_NS1_11comp_targetILNS1_3genE5ELNS1_11target_archE942ELNS1_3gpuE9ELNS1_3repE0EEENS1_30default_config_static_selectorELNS0_4arch9wavefront6targetE1EEEvSZ_ ; -- Begin function _ZN7rocprim17ROCPRIM_400000_NS6detail17trampoline_kernelINS0_13select_configILj256ELj13ELNS0_17block_load_methodE3ELS4_3ELS4_3ELNS0_20block_scan_algorithmE0ELj4294967295EEENS1_25partition_config_selectorILNS1_17partition_subalgoE4EjNS0_10empty_typeEbEEZZNS1_14partition_implILS8_4ELb0ES6_15HIP_vector_typeIjLj2EENS0_17counting_iteratorIjlEEPS9_SG_NS0_5tupleIJPjSI_NS0_16reverse_iteratorISI_EEEEENSH_IJSG_SG_SG_EEES9_SI_JZNS1_25segmented_radix_sort_implINS0_14default_configELb0EPKlPlSQ_SR_N2at6native12_GLOBAL__N_18offset_tEEE10hipError_tPvRmT1_PNSt15iterator_traitsISZ_E10value_typeET2_T3_PNS10_IS15_E10value_typeET4_jRbjT5_S1B_jjP12ihipStream_tbEUljE_ZNSN_ISO_Lb0ESQ_SR_SQ_SR_SV_EESW_SX_SY_SZ_S13_S14_S15_S18_S19_jS1A_jS1B_S1B_jjS1D_bEUljE0_EEESW_SX_SY_S15_S19_S1B_T6_T7_T9_mT8_S1D_bDpT10_ENKUlT_T0_E_clISt17integral_constantIbLb1EES1R_EEDaS1M_S1N_EUlS1M_E_NS1_11comp_targetILNS1_3genE5ELNS1_11target_archE942ELNS1_3gpuE9ELNS1_3repE0EEENS1_30default_config_static_selectorELNS0_4arch9wavefront6targetE1EEEvSZ_
	.p2align	8
	.type	_ZN7rocprim17ROCPRIM_400000_NS6detail17trampoline_kernelINS0_13select_configILj256ELj13ELNS0_17block_load_methodE3ELS4_3ELS4_3ELNS0_20block_scan_algorithmE0ELj4294967295EEENS1_25partition_config_selectorILNS1_17partition_subalgoE4EjNS0_10empty_typeEbEEZZNS1_14partition_implILS8_4ELb0ES6_15HIP_vector_typeIjLj2EENS0_17counting_iteratorIjlEEPS9_SG_NS0_5tupleIJPjSI_NS0_16reverse_iteratorISI_EEEEENSH_IJSG_SG_SG_EEES9_SI_JZNS1_25segmented_radix_sort_implINS0_14default_configELb0EPKlPlSQ_SR_N2at6native12_GLOBAL__N_18offset_tEEE10hipError_tPvRmT1_PNSt15iterator_traitsISZ_E10value_typeET2_T3_PNS10_IS15_E10value_typeET4_jRbjT5_S1B_jjP12ihipStream_tbEUljE_ZNSN_ISO_Lb0ESQ_SR_SQ_SR_SV_EESW_SX_SY_SZ_S13_S14_S15_S18_S19_jS1A_jS1B_S1B_jjS1D_bEUljE0_EEESW_SX_SY_S15_S19_S1B_T6_T7_T9_mT8_S1D_bDpT10_ENKUlT_T0_E_clISt17integral_constantIbLb1EES1R_EEDaS1M_S1N_EUlS1M_E_NS1_11comp_targetILNS1_3genE5ELNS1_11target_archE942ELNS1_3gpuE9ELNS1_3repE0EEENS1_30default_config_static_selectorELNS0_4arch9wavefront6targetE1EEEvSZ_,@function
_ZN7rocprim17ROCPRIM_400000_NS6detail17trampoline_kernelINS0_13select_configILj256ELj13ELNS0_17block_load_methodE3ELS4_3ELS4_3ELNS0_20block_scan_algorithmE0ELj4294967295EEENS1_25partition_config_selectorILNS1_17partition_subalgoE4EjNS0_10empty_typeEbEEZZNS1_14partition_implILS8_4ELb0ES6_15HIP_vector_typeIjLj2EENS0_17counting_iteratorIjlEEPS9_SG_NS0_5tupleIJPjSI_NS0_16reverse_iteratorISI_EEEEENSH_IJSG_SG_SG_EEES9_SI_JZNS1_25segmented_radix_sort_implINS0_14default_configELb0EPKlPlSQ_SR_N2at6native12_GLOBAL__N_18offset_tEEE10hipError_tPvRmT1_PNSt15iterator_traitsISZ_E10value_typeET2_T3_PNS10_IS15_E10value_typeET4_jRbjT5_S1B_jjP12ihipStream_tbEUljE_ZNSN_ISO_Lb0ESQ_SR_SQ_SR_SV_EESW_SX_SY_SZ_S13_S14_S15_S18_S19_jS1A_jS1B_S1B_jjS1D_bEUljE0_EEESW_SX_SY_S15_S19_S1B_T6_T7_T9_mT8_S1D_bDpT10_ENKUlT_T0_E_clISt17integral_constantIbLb1EES1R_EEDaS1M_S1N_EUlS1M_E_NS1_11comp_targetILNS1_3genE5ELNS1_11target_archE942ELNS1_3gpuE9ELNS1_3repE0EEENS1_30default_config_static_selectorELNS0_4arch9wavefront6targetE1EEEvSZ_: ; @_ZN7rocprim17ROCPRIM_400000_NS6detail17trampoline_kernelINS0_13select_configILj256ELj13ELNS0_17block_load_methodE3ELS4_3ELS4_3ELNS0_20block_scan_algorithmE0ELj4294967295EEENS1_25partition_config_selectorILNS1_17partition_subalgoE4EjNS0_10empty_typeEbEEZZNS1_14partition_implILS8_4ELb0ES6_15HIP_vector_typeIjLj2EENS0_17counting_iteratorIjlEEPS9_SG_NS0_5tupleIJPjSI_NS0_16reverse_iteratorISI_EEEEENSH_IJSG_SG_SG_EEES9_SI_JZNS1_25segmented_radix_sort_implINS0_14default_configELb0EPKlPlSQ_SR_N2at6native12_GLOBAL__N_18offset_tEEE10hipError_tPvRmT1_PNSt15iterator_traitsISZ_E10value_typeET2_T3_PNS10_IS15_E10value_typeET4_jRbjT5_S1B_jjP12ihipStream_tbEUljE_ZNSN_ISO_Lb0ESQ_SR_SQ_SR_SV_EESW_SX_SY_SZ_S13_S14_S15_S18_S19_jS1A_jS1B_S1B_jjS1D_bEUljE0_EEESW_SX_SY_S15_S19_S1B_T6_T7_T9_mT8_S1D_bDpT10_ENKUlT_T0_E_clISt17integral_constantIbLb1EES1R_EEDaS1M_S1N_EUlS1M_E_NS1_11comp_targetILNS1_3genE5ELNS1_11target_archE942ELNS1_3gpuE9ELNS1_3repE0EEENS1_30default_config_static_selectorELNS0_4arch9wavefront6targetE1EEEvSZ_
; %bb.0:
	.section	.rodata,"a",@progbits
	.p2align	6, 0x0
	.amdhsa_kernel _ZN7rocprim17ROCPRIM_400000_NS6detail17trampoline_kernelINS0_13select_configILj256ELj13ELNS0_17block_load_methodE3ELS4_3ELS4_3ELNS0_20block_scan_algorithmE0ELj4294967295EEENS1_25partition_config_selectorILNS1_17partition_subalgoE4EjNS0_10empty_typeEbEEZZNS1_14partition_implILS8_4ELb0ES6_15HIP_vector_typeIjLj2EENS0_17counting_iteratorIjlEEPS9_SG_NS0_5tupleIJPjSI_NS0_16reverse_iteratorISI_EEEEENSH_IJSG_SG_SG_EEES9_SI_JZNS1_25segmented_radix_sort_implINS0_14default_configELb0EPKlPlSQ_SR_N2at6native12_GLOBAL__N_18offset_tEEE10hipError_tPvRmT1_PNSt15iterator_traitsISZ_E10value_typeET2_T3_PNS10_IS15_E10value_typeET4_jRbjT5_S1B_jjP12ihipStream_tbEUljE_ZNSN_ISO_Lb0ESQ_SR_SQ_SR_SV_EESW_SX_SY_SZ_S13_S14_S15_S18_S19_jS1A_jS1B_S1B_jjS1D_bEUljE0_EEESW_SX_SY_S15_S19_S1B_T6_T7_T9_mT8_S1D_bDpT10_ENKUlT_T0_E_clISt17integral_constantIbLb1EES1R_EEDaS1M_S1N_EUlS1M_E_NS1_11comp_targetILNS1_3genE5ELNS1_11target_archE942ELNS1_3gpuE9ELNS1_3repE0EEENS1_30default_config_static_selectorELNS0_4arch9wavefront6targetE1EEEvSZ_
		.amdhsa_group_segment_fixed_size 0
		.amdhsa_private_segment_fixed_size 0
		.amdhsa_kernarg_size 184
		.amdhsa_user_sgpr_count 6
		.amdhsa_user_sgpr_private_segment_buffer 1
		.amdhsa_user_sgpr_dispatch_ptr 0
		.amdhsa_user_sgpr_queue_ptr 0
		.amdhsa_user_sgpr_kernarg_segment_ptr 1
		.amdhsa_user_sgpr_dispatch_id 0
		.amdhsa_user_sgpr_flat_scratch_init 0
		.amdhsa_user_sgpr_private_segment_size 0
		.amdhsa_uses_dynamic_stack 0
		.amdhsa_system_sgpr_private_segment_wavefront_offset 0
		.amdhsa_system_sgpr_workgroup_id_x 1
		.amdhsa_system_sgpr_workgroup_id_y 0
		.amdhsa_system_sgpr_workgroup_id_z 0
		.amdhsa_system_sgpr_workgroup_info 0
		.amdhsa_system_vgpr_workitem_id 0
		.amdhsa_next_free_vgpr 1
		.amdhsa_next_free_sgpr 0
		.amdhsa_reserve_vcc 0
		.amdhsa_reserve_flat_scratch 0
		.amdhsa_float_round_mode_32 0
		.amdhsa_float_round_mode_16_64 0
		.amdhsa_float_denorm_mode_32 3
		.amdhsa_float_denorm_mode_16_64 3
		.amdhsa_dx10_clamp 1
		.amdhsa_ieee_mode 1
		.amdhsa_fp16_overflow 0
		.amdhsa_exception_fp_ieee_invalid_op 0
		.amdhsa_exception_fp_denorm_src 0
		.amdhsa_exception_fp_ieee_div_zero 0
		.amdhsa_exception_fp_ieee_overflow 0
		.amdhsa_exception_fp_ieee_underflow 0
		.amdhsa_exception_fp_ieee_inexact 0
		.amdhsa_exception_int_div_zero 0
	.end_amdhsa_kernel
	.section	.text._ZN7rocprim17ROCPRIM_400000_NS6detail17trampoline_kernelINS0_13select_configILj256ELj13ELNS0_17block_load_methodE3ELS4_3ELS4_3ELNS0_20block_scan_algorithmE0ELj4294967295EEENS1_25partition_config_selectorILNS1_17partition_subalgoE4EjNS0_10empty_typeEbEEZZNS1_14partition_implILS8_4ELb0ES6_15HIP_vector_typeIjLj2EENS0_17counting_iteratorIjlEEPS9_SG_NS0_5tupleIJPjSI_NS0_16reverse_iteratorISI_EEEEENSH_IJSG_SG_SG_EEES9_SI_JZNS1_25segmented_radix_sort_implINS0_14default_configELb0EPKlPlSQ_SR_N2at6native12_GLOBAL__N_18offset_tEEE10hipError_tPvRmT1_PNSt15iterator_traitsISZ_E10value_typeET2_T3_PNS10_IS15_E10value_typeET4_jRbjT5_S1B_jjP12ihipStream_tbEUljE_ZNSN_ISO_Lb0ESQ_SR_SQ_SR_SV_EESW_SX_SY_SZ_S13_S14_S15_S18_S19_jS1A_jS1B_S1B_jjS1D_bEUljE0_EEESW_SX_SY_S15_S19_S1B_T6_T7_T9_mT8_S1D_bDpT10_ENKUlT_T0_E_clISt17integral_constantIbLb1EES1R_EEDaS1M_S1N_EUlS1M_E_NS1_11comp_targetILNS1_3genE5ELNS1_11target_archE942ELNS1_3gpuE9ELNS1_3repE0EEENS1_30default_config_static_selectorELNS0_4arch9wavefront6targetE1EEEvSZ_,"axG",@progbits,_ZN7rocprim17ROCPRIM_400000_NS6detail17trampoline_kernelINS0_13select_configILj256ELj13ELNS0_17block_load_methodE3ELS4_3ELS4_3ELNS0_20block_scan_algorithmE0ELj4294967295EEENS1_25partition_config_selectorILNS1_17partition_subalgoE4EjNS0_10empty_typeEbEEZZNS1_14partition_implILS8_4ELb0ES6_15HIP_vector_typeIjLj2EENS0_17counting_iteratorIjlEEPS9_SG_NS0_5tupleIJPjSI_NS0_16reverse_iteratorISI_EEEEENSH_IJSG_SG_SG_EEES9_SI_JZNS1_25segmented_radix_sort_implINS0_14default_configELb0EPKlPlSQ_SR_N2at6native12_GLOBAL__N_18offset_tEEE10hipError_tPvRmT1_PNSt15iterator_traitsISZ_E10value_typeET2_T3_PNS10_IS15_E10value_typeET4_jRbjT5_S1B_jjP12ihipStream_tbEUljE_ZNSN_ISO_Lb0ESQ_SR_SQ_SR_SV_EESW_SX_SY_SZ_S13_S14_S15_S18_S19_jS1A_jS1B_S1B_jjS1D_bEUljE0_EEESW_SX_SY_S15_S19_S1B_T6_T7_T9_mT8_S1D_bDpT10_ENKUlT_T0_E_clISt17integral_constantIbLb1EES1R_EEDaS1M_S1N_EUlS1M_E_NS1_11comp_targetILNS1_3genE5ELNS1_11target_archE942ELNS1_3gpuE9ELNS1_3repE0EEENS1_30default_config_static_selectorELNS0_4arch9wavefront6targetE1EEEvSZ_,comdat
.Lfunc_end752:
	.size	_ZN7rocprim17ROCPRIM_400000_NS6detail17trampoline_kernelINS0_13select_configILj256ELj13ELNS0_17block_load_methodE3ELS4_3ELS4_3ELNS0_20block_scan_algorithmE0ELj4294967295EEENS1_25partition_config_selectorILNS1_17partition_subalgoE4EjNS0_10empty_typeEbEEZZNS1_14partition_implILS8_4ELb0ES6_15HIP_vector_typeIjLj2EENS0_17counting_iteratorIjlEEPS9_SG_NS0_5tupleIJPjSI_NS0_16reverse_iteratorISI_EEEEENSH_IJSG_SG_SG_EEES9_SI_JZNS1_25segmented_radix_sort_implINS0_14default_configELb0EPKlPlSQ_SR_N2at6native12_GLOBAL__N_18offset_tEEE10hipError_tPvRmT1_PNSt15iterator_traitsISZ_E10value_typeET2_T3_PNS10_IS15_E10value_typeET4_jRbjT5_S1B_jjP12ihipStream_tbEUljE_ZNSN_ISO_Lb0ESQ_SR_SQ_SR_SV_EESW_SX_SY_SZ_S13_S14_S15_S18_S19_jS1A_jS1B_S1B_jjS1D_bEUljE0_EEESW_SX_SY_S15_S19_S1B_T6_T7_T9_mT8_S1D_bDpT10_ENKUlT_T0_E_clISt17integral_constantIbLb1EES1R_EEDaS1M_S1N_EUlS1M_E_NS1_11comp_targetILNS1_3genE5ELNS1_11target_archE942ELNS1_3gpuE9ELNS1_3repE0EEENS1_30default_config_static_selectorELNS0_4arch9wavefront6targetE1EEEvSZ_, .Lfunc_end752-_ZN7rocprim17ROCPRIM_400000_NS6detail17trampoline_kernelINS0_13select_configILj256ELj13ELNS0_17block_load_methodE3ELS4_3ELS4_3ELNS0_20block_scan_algorithmE0ELj4294967295EEENS1_25partition_config_selectorILNS1_17partition_subalgoE4EjNS0_10empty_typeEbEEZZNS1_14partition_implILS8_4ELb0ES6_15HIP_vector_typeIjLj2EENS0_17counting_iteratorIjlEEPS9_SG_NS0_5tupleIJPjSI_NS0_16reverse_iteratorISI_EEEEENSH_IJSG_SG_SG_EEES9_SI_JZNS1_25segmented_radix_sort_implINS0_14default_configELb0EPKlPlSQ_SR_N2at6native12_GLOBAL__N_18offset_tEEE10hipError_tPvRmT1_PNSt15iterator_traitsISZ_E10value_typeET2_T3_PNS10_IS15_E10value_typeET4_jRbjT5_S1B_jjP12ihipStream_tbEUljE_ZNSN_ISO_Lb0ESQ_SR_SQ_SR_SV_EESW_SX_SY_SZ_S13_S14_S15_S18_S19_jS1A_jS1B_S1B_jjS1D_bEUljE0_EEESW_SX_SY_S15_S19_S1B_T6_T7_T9_mT8_S1D_bDpT10_ENKUlT_T0_E_clISt17integral_constantIbLb1EES1R_EEDaS1M_S1N_EUlS1M_E_NS1_11comp_targetILNS1_3genE5ELNS1_11target_archE942ELNS1_3gpuE9ELNS1_3repE0EEENS1_30default_config_static_selectorELNS0_4arch9wavefront6targetE1EEEvSZ_
                                        ; -- End function
	.set _ZN7rocprim17ROCPRIM_400000_NS6detail17trampoline_kernelINS0_13select_configILj256ELj13ELNS0_17block_load_methodE3ELS4_3ELS4_3ELNS0_20block_scan_algorithmE0ELj4294967295EEENS1_25partition_config_selectorILNS1_17partition_subalgoE4EjNS0_10empty_typeEbEEZZNS1_14partition_implILS8_4ELb0ES6_15HIP_vector_typeIjLj2EENS0_17counting_iteratorIjlEEPS9_SG_NS0_5tupleIJPjSI_NS0_16reverse_iteratorISI_EEEEENSH_IJSG_SG_SG_EEES9_SI_JZNS1_25segmented_radix_sort_implINS0_14default_configELb0EPKlPlSQ_SR_N2at6native12_GLOBAL__N_18offset_tEEE10hipError_tPvRmT1_PNSt15iterator_traitsISZ_E10value_typeET2_T3_PNS10_IS15_E10value_typeET4_jRbjT5_S1B_jjP12ihipStream_tbEUljE_ZNSN_ISO_Lb0ESQ_SR_SQ_SR_SV_EESW_SX_SY_SZ_S13_S14_S15_S18_S19_jS1A_jS1B_S1B_jjS1D_bEUljE0_EEESW_SX_SY_S15_S19_S1B_T6_T7_T9_mT8_S1D_bDpT10_ENKUlT_T0_E_clISt17integral_constantIbLb1EES1R_EEDaS1M_S1N_EUlS1M_E_NS1_11comp_targetILNS1_3genE5ELNS1_11target_archE942ELNS1_3gpuE9ELNS1_3repE0EEENS1_30default_config_static_selectorELNS0_4arch9wavefront6targetE1EEEvSZ_.num_vgpr, 0
	.set _ZN7rocprim17ROCPRIM_400000_NS6detail17trampoline_kernelINS0_13select_configILj256ELj13ELNS0_17block_load_methodE3ELS4_3ELS4_3ELNS0_20block_scan_algorithmE0ELj4294967295EEENS1_25partition_config_selectorILNS1_17partition_subalgoE4EjNS0_10empty_typeEbEEZZNS1_14partition_implILS8_4ELb0ES6_15HIP_vector_typeIjLj2EENS0_17counting_iteratorIjlEEPS9_SG_NS0_5tupleIJPjSI_NS0_16reverse_iteratorISI_EEEEENSH_IJSG_SG_SG_EEES9_SI_JZNS1_25segmented_radix_sort_implINS0_14default_configELb0EPKlPlSQ_SR_N2at6native12_GLOBAL__N_18offset_tEEE10hipError_tPvRmT1_PNSt15iterator_traitsISZ_E10value_typeET2_T3_PNS10_IS15_E10value_typeET4_jRbjT5_S1B_jjP12ihipStream_tbEUljE_ZNSN_ISO_Lb0ESQ_SR_SQ_SR_SV_EESW_SX_SY_SZ_S13_S14_S15_S18_S19_jS1A_jS1B_S1B_jjS1D_bEUljE0_EEESW_SX_SY_S15_S19_S1B_T6_T7_T9_mT8_S1D_bDpT10_ENKUlT_T0_E_clISt17integral_constantIbLb1EES1R_EEDaS1M_S1N_EUlS1M_E_NS1_11comp_targetILNS1_3genE5ELNS1_11target_archE942ELNS1_3gpuE9ELNS1_3repE0EEENS1_30default_config_static_selectorELNS0_4arch9wavefront6targetE1EEEvSZ_.num_agpr, 0
	.set _ZN7rocprim17ROCPRIM_400000_NS6detail17trampoline_kernelINS0_13select_configILj256ELj13ELNS0_17block_load_methodE3ELS4_3ELS4_3ELNS0_20block_scan_algorithmE0ELj4294967295EEENS1_25partition_config_selectorILNS1_17partition_subalgoE4EjNS0_10empty_typeEbEEZZNS1_14partition_implILS8_4ELb0ES6_15HIP_vector_typeIjLj2EENS0_17counting_iteratorIjlEEPS9_SG_NS0_5tupleIJPjSI_NS0_16reverse_iteratorISI_EEEEENSH_IJSG_SG_SG_EEES9_SI_JZNS1_25segmented_radix_sort_implINS0_14default_configELb0EPKlPlSQ_SR_N2at6native12_GLOBAL__N_18offset_tEEE10hipError_tPvRmT1_PNSt15iterator_traitsISZ_E10value_typeET2_T3_PNS10_IS15_E10value_typeET4_jRbjT5_S1B_jjP12ihipStream_tbEUljE_ZNSN_ISO_Lb0ESQ_SR_SQ_SR_SV_EESW_SX_SY_SZ_S13_S14_S15_S18_S19_jS1A_jS1B_S1B_jjS1D_bEUljE0_EEESW_SX_SY_S15_S19_S1B_T6_T7_T9_mT8_S1D_bDpT10_ENKUlT_T0_E_clISt17integral_constantIbLb1EES1R_EEDaS1M_S1N_EUlS1M_E_NS1_11comp_targetILNS1_3genE5ELNS1_11target_archE942ELNS1_3gpuE9ELNS1_3repE0EEENS1_30default_config_static_selectorELNS0_4arch9wavefront6targetE1EEEvSZ_.numbered_sgpr, 0
	.set _ZN7rocprim17ROCPRIM_400000_NS6detail17trampoline_kernelINS0_13select_configILj256ELj13ELNS0_17block_load_methodE3ELS4_3ELS4_3ELNS0_20block_scan_algorithmE0ELj4294967295EEENS1_25partition_config_selectorILNS1_17partition_subalgoE4EjNS0_10empty_typeEbEEZZNS1_14partition_implILS8_4ELb0ES6_15HIP_vector_typeIjLj2EENS0_17counting_iteratorIjlEEPS9_SG_NS0_5tupleIJPjSI_NS0_16reverse_iteratorISI_EEEEENSH_IJSG_SG_SG_EEES9_SI_JZNS1_25segmented_radix_sort_implINS0_14default_configELb0EPKlPlSQ_SR_N2at6native12_GLOBAL__N_18offset_tEEE10hipError_tPvRmT1_PNSt15iterator_traitsISZ_E10value_typeET2_T3_PNS10_IS15_E10value_typeET4_jRbjT5_S1B_jjP12ihipStream_tbEUljE_ZNSN_ISO_Lb0ESQ_SR_SQ_SR_SV_EESW_SX_SY_SZ_S13_S14_S15_S18_S19_jS1A_jS1B_S1B_jjS1D_bEUljE0_EEESW_SX_SY_S15_S19_S1B_T6_T7_T9_mT8_S1D_bDpT10_ENKUlT_T0_E_clISt17integral_constantIbLb1EES1R_EEDaS1M_S1N_EUlS1M_E_NS1_11comp_targetILNS1_3genE5ELNS1_11target_archE942ELNS1_3gpuE9ELNS1_3repE0EEENS1_30default_config_static_selectorELNS0_4arch9wavefront6targetE1EEEvSZ_.num_named_barrier, 0
	.set _ZN7rocprim17ROCPRIM_400000_NS6detail17trampoline_kernelINS0_13select_configILj256ELj13ELNS0_17block_load_methodE3ELS4_3ELS4_3ELNS0_20block_scan_algorithmE0ELj4294967295EEENS1_25partition_config_selectorILNS1_17partition_subalgoE4EjNS0_10empty_typeEbEEZZNS1_14partition_implILS8_4ELb0ES6_15HIP_vector_typeIjLj2EENS0_17counting_iteratorIjlEEPS9_SG_NS0_5tupleIJPjSI_NS0_16reverse_iteratorISI_EEEEENSH_IJSG_SG_SG_EEES9_SI_JZNS1_25segmented_radix_sort_implINS0_14default_configELb0EPKlPlSQ_SR_N2at6native12_GLOBAL__N_18offset_tEEE10hipError_tPvRmT1_PNSt15iterator_traitsISZ_E10value_typeET2_T3_PNS10_IS15_E10value_typeET4_jRbjT5_S1B_jjP12ihipStream_tbEUljE_ZNSN_ISO_Lb0ESQ_SR_SQ_SR_SV_EESW_SX_SY_SZ_S13_S14_S15_S18_S19_jS1A_jS1B_S1B_jjS1D_bEUljE0_EEESW_SX_SY_S15_S19_S1B_T6_T7_T9_mT8_S1D_bDpT10_ENKUlT_T0_E_clISt17integral_constantIbLb1EES1R_EEDaS1M_S1N_EUlS1M_E_NS1_11comp_targetILNS1_3genE5ELNS1_11target_archE942ELNS1_3gpuE9ELNS1_3repE0EEENS1_30default_config_static_selectorELNS0_4arch9wavefront6targetE1EEEvSZ_.private_seg_size, 0
	.set _ZN7rocprim17ROCPRIM_400000_NS6detail17trampoline_kernelINS0_13select_configILj256ELj13ELNS0_17block_load_methodE3ELS4_3ELS4_3ELNS0_20block_scan_algorithmE0ELj4294967295EEENS1_25partition_config_selectorILNS1_17partition_subalgoE4EjNS0_10empty_typeEbEEZZNS1_14partition_implILS8_4ELb0ES6_15HIP_vector_typeIjLj2EENS0_17counting_iteratorIjlEEPS9_SG_NS0_5tupleIJPjSI_NS0_16reverse_iteratorISI_EEEEENSH_IJSG_SG_SG_EEES9_SI_JZNS1_25segmented_radix_sort_implINS0_14default_configELb0EPKlPlSQ_SR_N2at6native12_GLOBAL__N_18offset_tEEE10hipError_tPvRmT1_PNSt15iterator_traitsISZ_E10value_typeET2_T3_PNS10_IS15_E10value_typeET4_jRbjT5_S1B_jjP12ihipStream_tbEUljE_ZNSN_ISO_Lb0ESQ_SR_SQ_SR_SV_EESW_SX_SY_SZ_S13_S14_S15_S18_S19_jS1A_jS1B_S1B_jjS1D_bEUljE0_EEESW_SX_SY_S15_S19_S1B_T6_T7_T9_mT8_S1D_bDpT10_ENKUlT_T0_E_clISt17integral_constantIbLb1EES1R_EEDaS1M_S1N_EUlS1M_E_NS1_11comp_targetILNS1_3genE5ELNS1_11target_archE942ELNS1_3gpuE9ELNS1_3repE0EEENS1_30default_config_static_selectorELNS0_4arch9wavefront6targetE1EEEvSZ_.uses_vcc, 0
	.set _ZN7rocprim17ROCPRIM_400000_NS6detail17trampoline_kernelINS0_13select_configILj256ELj13ELNS0_17block_load_methodE3ELS4_3ELS4_3ELNS0_20block_scan_algorithmE0ELj4294967295EEENS1_25partition_config_selectorILNS1_17partition_subalgoE4EjNS0_10empty_typeEbEEZZNS1_14partition_implILS8_4ELb0ES6_15HIP_vector_typeIjLj2EENS0_17counting_iteratorIjlEEPS9_SG_NS0_5tupleIJPjSI_NS0_16reverse_iteratorISI_EEEEENSH_IJSG_SG_SG_EEES9_SI_JZNS1_25segmented_radix_sort_implINS0_14default_configELb0EPKlPlSQ_SR_N2at6native12_GLOBAL__N_18offset_tEEE10hipError_tPvRmT1_PNSt15iterator_traitsISZ_E10value_typeET2_T3_PNS10_IS15_E10value_typeET4_jRbjT5_S1B_jjP12ihipStream_tbEUljE_ZNSN_ISO_Lb0ESQ_SR_SQ_SR_SV_EESW_SX_SY_SZ_S13_S14_S15_S18_S19_jS1A_jS1B_S1B_jjS1D_bEUljE0_EEESW_SX_SY_S15_S19_S1B_T6_T7_T9_mT8_S1D_bDpT10_ENKUlT_T0_E_clISt17integral_constantIbLb1EES1R_EEDaS1M_S1N_EUlS1M_E_NS1_11comp_targetILNS1_3genE5ELNS1_11target_archE942ELNS1_3gpuE9ELNS1_3repE0EEENS1_30default_config_static_selectorELNS0_4arch9wavefront6targetE1EEEvSZ_.uses_flat_scratch, 0
	.set _ZN7rocprim17ROCPRIM_400000_NS6detail17trampoline_kernelINS0_13select_configILj256ELj13ELNS0_17block_load_methodE3ELS4_3ELS4_3ELNS0_20block_scan_algorithmE0ELj4294967295EEENS1_25partition_config_selectorILNS1_17partition_subalgoE4EjNS0_10empty_typeEbEEZZNS1_14partition_implILS8_4ELb0ES6_15HIP_vector_typeIjLj2EENS0_17counting_iteratorIjlEEPS9_SG_NS0_5tupleIJPjSI_NS0_16reverse_iteratorISI_EEEEENSH_IJSG_SG_SG_EEES9_SI_JZNS1_25segmented_radix_sort_implINS0_14default_configELb0EPKlPlSQ_SR_N2at6native12_GLOBAL__N_18offset_tEEE10hipError_tPvRmT1_PNSt15iterator_traitsISZ_E10value_typeET2_T3_PNS10_IS15_E10value_typeET4_jRbjT5_S1B_jjP12ihipStream_tbEUljE_ZNSN_ISO_Lb0ESQ_SR_SQ_SR_SV_EESW_SX_SY_SZ_S13_S14_S15_S18_S19_jS1A_jS1B_S1B_jjS1D_bEUljE0_EEESW_SX_SY_S15_S19_S1B_T6_T7_T9_mT8_S1D_bDpT10_ENKUlT_T0_E_clISt17integral_constantIbLb1EES1R_EEDaS1M_S1N_EUlS1M_E_NS1_11comp_targetILNS1_3genE5ELNS1_11target_archE942ELNS1_3gpuE9ELNS1_3repE0EEENS1_30default_config_static_selectorELNS0_4arch9wavefront6targetE1EEEvSZ_.has_dyn_sized_stack, 0
	.set _ZN7rocprim17ROCPRIM_400000_NS6detail17trampoline_kernelINS0_13select_configILj256ELj13ELNS0_17block_load_methodE3ELS4_3ELS4_3ELNS0_20block_scan_algorithmE0ELj4294967295EEENS1_25partition_config_selectorILNS1_17partition_subalgoE4EjNS0_10empty_typeEbEEZZNS1_14partition_implILS8_4ELb0ES6_15HIP_vector_typeIjLj2EENS0_17counting_iteratorIjlEEPS9_SG_NS0_5tupleIJPjSI_NS0_16reverse_iteratorISI_EEEEENSH_IJSG_SG_SG_EEES9_SI_JZNS1_25segmented_radix_sort_implINS0_14default_configELb0EPKlPlSQ_SR_N2at6native12_GLOBAL__N_18offset_tEEE10hipError_tPvRmT1_PNSt15iterator_traitsISZ_E10value_typeET2_T3_PNS10_IS15_E10value_typeET4_jRbjT5_S1B_jjP12ihipStream_tbEUljE_ZNSN_ISO_Lb0ESQ_SR_SQ_SR_SV_EESW_SX_SY_SZ_S13_S14_S15_S18_S19_jS1A_jS1B_S1B_jjS1D_bEUljE0_EEESW_SX_SY_S15_S19_S1B_T6_T7_T9_mT8_S1D_bDpT10_ENKUlT_T0_E_clISt17integral_constantIbLb1EES1R_EEDaS1M_S1N_EUlS1M_E_NS1_11comp_targetILNS1_3genE5ELNS1_11target_archE942ELNS1_3gpuE9ELNS1_3repE0EEENS1_30default_config_static_selectorELNS0_4arch9wavefront6targetE1EEEvSZ_.has_recursion, 0
	.set _ZN7rocprim17ROCPRIM_400000_NS6detail17trampoline_kernelINS0_13select_configILj256ELj13ELNS0_17block_load_methodE3ELS4_3ELS4_3ELNS0_20block_scan_algorithmE0ELj4294967295EEENS1_25partition_config_selectorILNS1_17partition_subalgoE4EjNS0_10empty_typeEbEEZZNS1_14partition_implILS8_4ELb0ES6_15HIP_vector_typeIjLj2EENS0_17counting_iteratorIjlEEPS9_SG_NS0_5tupleIJPjSI_NS0_16reverse_iteratorISI_EEEEENSH_IJSG_SG_SG_EEES9_SI_JZNS1_25segmented_radix_sort_implINS0_14default_configELb0EPKlPlSQ_SR_N2at6native12_GLOBAL__N_18offset_tEEE10hipError_tPvRmT1_PNSt15iterator_traitsISZ_E10value_typeET2_T3_PNS10_IS15_E10value_typeET4_jRbjT5_S1B_jjP12ihipStream_tbEUljE_ZNSN_ISO_Lb0ESQ_SR_SQ_SR_SV_EESW_SX_SY_SZ_S13_S14_S15_S18_S19_jS1A_jS1B_S1B_jjS1D_bEUljE0_EEESW_SX_SY_S15_S19_S1B_T6_T7_T9_mT8_S1D_bDpT10_ENKUlT_T0_E_clISt17integral_constantIbLb1EES1R_EEDaS1M_S1N_EUlS1M_E_NS1_11comp_targetILNS1_3genE5ELNS1_11target_archE942ELNS1_3gpuE9ELNS1_3repE0EEENS1_30default_config_static_selectorELNS0_4arch9wavefront6targetE1EEEvSZ_.has_indirect_call, 0
	.section	.AMDGPU.csdata,"",@progbits
; Kernel info:
; codeLenInByte = 0
; TotalNumSgprs: 4
; NumVgprs: 0
; ScratchSize: 0
; MemoryBound: 0
; FloatMode: 240
; IeeeMode: 1
; LDSByteSize: 0 bytes/workgroup (compile time only)
; SGPRBlocks: 0
; VGPRBlocks: 0
; NumSGPRsForWavesPerEU: 4
; NumVGPRsForWavesPerEU: 1
; Occupancy: 10
; WaveLimiterHint : 0
; COMPUTE_PGM_RSRC2:SCRATCH_EN: 0
; COMPUTE_PGM_RSRC2:USER_SGPR: 6
; COMPUTE_PGM_RSRC2:TRAP_HANDLER: 0
; COMPUTE_PGM_RSRC2:TGID_X_EN: 1
; COMPUTE_PGM_RSRC2:TGID_Y_EN: 0
; COMPUTE_PGM_RSRC2:TGID_Z_EN: 0
; COMPUTE_PGM_RSRC2:TIDIG_COMP_CNT: 0
	.section	.text._ZN7rocprim17ROCPRIM_400000_NS6detail17trampoline_kernelINS0_13select_configILj256ELj13ELNS0_17block_load_methodE3ELS4_3ELS4_3ELNS0_20block_scan_algorithmE0ELj4294967295EEENS1_25partition_config_selectorILNS1_17partition_subalgoE4EjNS0_10empty_typeEbEEZZNS1_14partition_implILS8_4ELb0ES6_15HIP_vector_typeIjLj2EENS0_17counting_iteratorIjlEEPS9_SG_NS0_5tupleIJPjSI_NS0_16reverse_iteratorISI_EEEEENSH_IJSG_SG_SG_EEES9_SI_JZNS1_25segmented_radix_sort_implINS0_14default_configELb0EPKlPlSQ_SR_N2at6native12_GLOBAL__N_18offset_tEEE10hipError_tPvRmT1_PNSt15iterator_traitsISZ_E10value_typeET2_T3_PNS10_IS15_E10value_typeET4_jRbjT5_S1B_jjP12ihipStream_tbEUljE_ZNSN_ISO_Lb0ESQ_SR_SQ_SR_SV_EESW_SX_SY_SZ_S13_S14_S15_S18_S19_jS1A_jS1B_S1B_jjS1D_bEUljE0_EEESW_SX_SY_S15_S19_S1B_T6_T7_T9_mT8_S1D_bDpT10_ENKUlT_T0_E_clISt17integral_constantIbLb1EES1R_EEDaS1M_S1N_EUlS1M_E_NS1_11comp_targetILNS1_3genE4ELNS1_11target_archE910ELNS1_3gpuE8ELNS1_3repE0EEENS1_30default_config_static_selectorELNS0_4arch9wavefront6targetE1EEEvSZ_,"axG",@progbits,_ZN7rocprim17ROCPRIM_400000_NS6detail17trampoline_kernelINS0_13select_configILj256ELj13ELNS0_17block_load_methodE3ELS4_3ELS4_3ELNS0_20block_scan_algorithmE0ELj4294967295EEENS1_25partition_config_selectorILNS1_17partition_subalgoE4EjNS0_10empty_typeEbEEZZNS1_14partition_implILS8_4ELb0ES6_15HIP_vector_typeIjLj2EENS0_17counting_iteratorIjlEEPS9_SG_NS0_5tupleIJPjSI_NS0_16reverse_iteratorISI_EEEEENSH_IJSG_SG_SG_EEES9_SI_JZNS1_25segmented_radix_sort_implINS0_14default_configELb0EPKlPlSQ_SR_N2at6native12_GLOBAL__N_18offset_tEEE10hipError_tPvRmT1_PNSt15iterator_traitsISZ_E10value_typeET2_T3_PNS10_IS15_E10value_typeET4_jRbjT5_S1B_jjP12ihipStream_tbEUljE_ZNSN_ISO_Lb0ESQ_SR_SQ_SR_SV_EESW_SX_SY_SZ_S13_S14_S15_S18_S19_jS1A_jS1B_S1B_jjS1D_bEUljE0_EEESW_SX_SY_S15_S19_S1B_T6_T7_T9_mT8_S1D_bDpT10_ENKUlT_T0_E_clISt17integral_constantIbLb1EES1R_EEDaS1M_S1N_EUlS1M_E_NS1_11comp_targetILNS1_3genE4ELNS1_11target_archE910ELNS1_3gpuE8ELNS1_3repE0EEENS1_30default_config_static_selectorELNS0_4arch9wavefront6targetE1EEEvSZ_,comdat
	.globl	_ZN7rocprim17ROCPRIM_400000_NS6detail17trampoline_kernelINS0_13select_configILj256ELj13ELNS0_17block_load_methodE3ELS4_3ELS4_3ELNS0_20block_scan_algorithmE0ELj4294967295EEENS1_25partition_config_selectorILNS1_17partition_subalgoE4EjNS0_10empty_typeEbEEZZNS1_14partition_implILS8_4ELb0ES6_15HIP_vector_typeIjLj2EENS0_17counting_iteratorIjlEEPS9_SG_NS0_5tupleIJPjSI_NS0_16reverse_iteratorISI_EEEEENSH_IJSG_SG_SG_EEES9_SI_JZNS1_25segmented_radix_sort_implINS0_14default_configELb0EPKlPlSQ_SR_N2at6native12_GLOBAL__N_18offset_tEEE10hipError_tPvRmT1_PNSt15iterator_traitsISZ_E10value_typeET2_T3_PNS10_IS15_E10value_typeET4_jRbjT5_S1B_jjP12ihipStream_tbEUljE_ZNSN_ISO_Lb0ESQ_SR_SQ_SR_SV_EESW_SX_SY_SZ_S13_S14_S15_S18_S19_jS1A_jS1B_S1B_jjS1D_bEUljE0_EEESW_SX_SY_S15_S19_S1B_T6_T7_T9_mT8_S1D_bDpT10_ENKUlT_T0_E_clISt17integral_constantIbLb1EES1R_EEDaS1M_S1N_EUlS1M_E_NS1_11comp_targetILNS1_3genE4ELNS1_11target_archE910ELNS1_3gpuE8ELNS1_3repE0EEENS1_30default_config_static_selectorELNS0_4arch9wavefront6targetE1EEEvSZ_ ; -- Begin function _ZN7rocprim17ROCPRIM_400000_NS6detail17trampoline_kernelINS0_13select_configILj256ELj13ELNS0_17block_load_methodE3ELS4_3ELS4_3ELNS0_20block_scan_algorithmE0ELj4294967295EEENS1_25partition_config_selectorILNS1_17partition_subalgoE4EjNS0_10empty_typeEbEEZZNS1_14partition_implILS8_4ELb0ES6_15HIP_vector_typeIjLj2EENS0_17counting_iteratorIjlEEPS9_SG_NS0_5tupleIJPjSI_NS0_16reverse_iteratorISI_EEEEENSH_IJSG_SG_SG_EEES9_SI_JZNS1_25segmented_radix_sort_implINS0_14default_configELb0EPKlPlSQ_SR_N2at6native12_GLOBAL__N_18offset_tEEE10hipError_tPvRmT1_PNSt15iterator_traitsISZ_E10value_typeET2_T3_PNS10_IS15_E10value_typeET4_jRbjT5_S1B_jjP12ihipStream_tbEUljE_ZNSN_ISO_Lb0ESQ_SR_SQ_SR_SV_EESW_SX_SY_SZ_S13_S14_S15_S18_S19_jS1A_jS1B_S1B_jjS1D_bEUljE0_EEESW_SX_SY_S15_S19_S1B_T6_T7_T9_mT8_S1D_bDpT10_ENKUlT_T0_E_clISt17integral_constantIbLb1EES1R_EEDaS1M_S1N_EUlS1M_E_NS1_11comp_targetILNS1_3genE4ELNS1_11target_archE910ELNS1_3gpuE8ELNS1_3repE0EEENS1_30default_config_static_selectorELNS0_4arch9wavefront6targetE1EEEvSZ_
	.p2align	8
	.type	_ZN7rocprim17ROCPRIM_400000_NS6detail17trampoline_kernelINS0_13select_configILj256ELj13ELNS0_17block_load_methodE3ELS4_3ELS4_3ELNS0_20block_scan_algorithmE0ELj4294967295EEENS1_25partition_config_selectorILNS1_17partition_subalgoE4EjNS0_10empty_typeEbEEZZNS1_14partition_implILS8_4ELb0ES6_15HIP_vector_typeIjLj2EENS0_17counting_iteratorIjlEEPS9_SG_NS0_5tupleIJPjSI_NS0_16reverse_iteratorISI_EEEEENSH_IJSG_SG_SG_EEES9_SI_JZNS1_25segmented_radix_sort_implINS0_14default_configELb0EPKlPlSQ_SR_N2at6native12_GLOBAL__N_18offset_tEEE10hipError_tPvRmT1_PNSt15iterator_traitsISZ_E10value_typeET2_T3_PNS10_IS15_E10value_typeET4_jRbjT5_S1B_jjP12ihipStream_tbEUljE_ZNSN_ISO_Lb0ESQ_SR_SQ_SR_SV_EESW_SX_SY_SZ_S13_S14_S15_S18_S19_jS1A_jS1B_S1B_jjS1D_bEUljE0_EEESW_SX_SY_S15_S19_S1B_T6_T7_T9_mT8_S1D_bDpT10_ENKUlT_T0_E_clISt17integral_constantIbLb1EES1R_EEDaS1M_S1N_EUlS1M_E_NS1_11comp_targetILNS1_3genE4ELNS1_11target_archE910ELNS1_3gpuE8ELNS1_3repE0EEENS1_30default_config_static_selectorELNS0_4arch9wavefront6targetE1EEEvSZ_,@function
_ZN7rocprim17ROCPRIM_400000_NS6detail17trampoline_kernelINS0_13select_configILj256ELj13ELNS0_17block_load_methodE3ELS4_3ELS4_3ELNS0_20block_scan_algorithmE0ELj4294967295EEENS1_25partition_config_selectorILNS1_17partition_subalgoE4EjNS0_10empty_typeEbEEZZNS1_14partition_implILS8_4ELb0ES6_15HIP_vector_typeIjLj2EENS0_17counting_iteratorIjlEEPS9_SG_NS0_5tupleIJPjSI_NS0_16reverse_iteratorISI_EEEEENSH_IJSG_SG_SG_EEES9_SI_JZNS1_25segmented_radix_sort_implINS0_14default_configELb0EPKlPlSQ_SR_N2at6native12_GLOBAL__N_18offset_tEEE10hipError_tPvRmT1_PNSt15iterator_traitsISZ_E10value_typeET2_T3_PNS10_IS15_E10value_typeET4_jRbjT5_S1B_jjP12ihipStream_tbEUljE_ZNSN_ISO_Lb0ESQ_SR_SQ_SR_SV_EESW_SX_SY_SZ_S13_S14_S15_S18_S19_jS1A_jS1B_S1B_jjS1D_bEUljE0_EEESW_SX_SY_S15_S19_S1B_T6_T7_T9_mT8_S1D_bDpT10_ENKUlT_T0_E_clISt17integral_constantIbLb1EES1R_EEDaS1M_S1N_EUlS1M_E_NS1_11comp_targetILNS1_3genE4ELNS1_11target_archE910ELNS1_3gpuE8ELNS1_3repE0EEENS1_30default_config_static_selectorELNS0_4arch9wavefront6targetE1EEEvSZ_: ; @_ZN7rocprim17ROCPRIM_400000_NS6detail17trampoline_kernelINS0_13select_configILj256ELj13ELNS0_17block_load_methodE3ELS4_3ELS4_3ELNS0_20block_scan_algorithmE0ELj4294967295EEENS1_25partition_config_selectorILNS1_17partition_subalgoE4EjNS0_10empty_typeEbEEZZNS1_14partition_implILS8_4ELb0ES6_15HIP_vector_typeIjLj2EENS0_17counting_iteratorIjlEEPS9_SG_NS0_5tupleIJPjSI_NS0_16reverse_iteratorISI_EEEEENSH_IJSG_SG_SG_EEES9_SI_JZNS1_25segmented_radix_sort_implINS0_14default_configELb0EPKlPlSQ_SR_N2at6native12_GLOBAL__N_18offset_tEEE10hipError_tPvRmT1_PNSt15iterator_traitsISZ_E10value_typeET2_T3_PNS10_IS15_E10value_typeET4_jRbjT5_S1B_jjP12ihipStream_tbEUljE_ZNSN_ISO_Lb0ESQ_SR_SQ_SR_SV_EESW_SX_SY_SZ_S13_S14_S15_S18_S19_jS1A_jS1B_S1B_jjS1D_bEUljE0_EEESW_SX_SY_S15_S19_S1B_T6_T7_T9_mT8_S1D_bDpT10_ENKUlT_T0_E_clISt17integral_constantIbLb1EES1R_EEDaS1M_S1N_EUlS1M_E_NS1_11comp_targetILNS1_3genE4ELNS1_11target_archE910ELNS1_3gpuE8ELNS1_3repE0EEENS1_30default_config_static_selectorELNS0_4arch9wavefront6targetE1EEEvSZ_
; %bb.0:
	.section	.rodata,"a",@progbits
	.p2align	6, 0x0
	.amdhsa_kernel _ZN7rocprim17ROCPRIM_400000_NS6detail17trampoline_kernelINS0_13select_configILj256ELj13ELNS0_17block_load_methodE3ELS4_3ELS4_3ELNS0_20block_scan_algorithmE0ELj4294967295EEENS1_25partition_config_selectorILNS1_17partition_subalgoE4EjNS0_10empty_typeEbEEZZNS1_14partition_implILS8_4ELb0ES6_15HIP_vector_typeIjLj2EENS0_17counting_iteratorIjlEEPS9_SG_NS0_5tupleIJPjSI_NS0_16reverse_iteratorISI_EEEEENSH_IJSG_SG_SG_EEES9_SI_JZNS1_25segmented_radix_sort_implINS0_14default_configELb0EPKlPlSQ_SR_N2at6native12_GLOBAL__N_18offset_tEEE10hipError_tPvRmT1_PNSt15iterator_traitsISZ_E10value_typeET2_T3_PNS10_IS15_E10value_typeET4_jRbjT5_S1B_jjP12ihipStream_tbEUljE_ZNSN_ISO_Lb0ESQ_SR_SQ_SR_SV_EESW_SX_SY_SZ_S13_S14_S15_S18_S19_jS1A_jS1B_S1B_jjS1D_bEUljE0_EEESW_SX_SY_S15_S19_S1B_T6_T7_T9_mT8_S1D_bDpT10_ENKUlT_T0_E_clISt17integral_constantIbLb1EES1R_EEDaS1M_S1N_EUlS1M_E_NS1_11comp_targetILNS1_3genE4ELNS1_11target_archE910ELNS1_3gpuE8ELNS1_3repE0EEENS1_30default_config_static_selectorELNS0_4arch9wavefront6targetE1EEEvSZ_
		.amdhsa_group_segment_fixed_size 0
		.amdhsa_private_segment_fixed_size 0
		.amdhsa_kernarg_size 184
		.amdhsa_user_sgpr_count 6
		.amdhsa_user_sgpr_private_segment_buffer 1
		.amdhsa_user_sgpr_dispatch_ptr 0
		.amdhsa_user_sgpr_queue_ptr 0
		.amdhsa_user_sgpr_kernarg_segment_ptr 1
		.amdhsa_user_sgpr_dispatch_id 0
		.amdhsa_user_sgpr_flat_scratch_init 0
		.amdhsa_user_sgpr_private_segment_size 0
		.amdhsa_uses_dynamic_stack 0
		.amdhsa_system_sgpr_private_segment_wavefront_offset 0
		.amdhsa_system_sgpr_workgroup_id_x 1
		.amdhsa_system_sgpr_workgroup_id_y 0
		.amdhsa_system_sgpr_workgroup_id_z 0
		.amdhsa_system_sgpr_workgroup_info 0
		.amdhsa_system_vgpr_workitem_id 0
		.amdhsa_next_free_vgpr 1
		.amdhsa_next_free_sgpr 0
		.amdhsa_reserve_vcc 0
		.amdhsa_reserve_flat_scratch 0
		.amdhsa_float_round_mode_32 0
		.amdhsa_float_round_mode_16_64 0
		.amdhsa_float_denorm_mode_32 3
		.amdhsa_float_denorm_mode_16_64 3
		.amdhsa_dx10_clamp 1
		.amdhsa_ieee_mode 1
		.amdhsa_fp16_overflow 0
		.amdhsa_exception_fp_ieee_invalid_op 0
		.amdhsa_exception_fp_denorm_src 0
		.amdhsa_exception_fp_ieee_div_zero 0
		.amdhsa_exception_fp_ieee_overflow 0
		.amdhsa_exception_fp_ieee_underflow 0
		.amdhsa_exception_fp_ieee_inexact 0
		.amdhsa_exception_int_div_zero 0
	.end_amdhsa_kernel
	.section	.text._ZN7rocprim17ROCPRIM_400000_NS6detail17trampoline_kernelINS0_13select_configILj256ELj13ELNS0_17block_load_methodE3ELS4_3ELS4_3ELNS0_20block_scan_algorithmE0ELj4294967295EEENS1_25partition_config_selectorILNS1_17partition_subalgoE4EjNS0_10empty_typeEbEEZZNS1_14partition_implILS8_4ELb0ES6_15HIP_vector_typeIjLj2EENS0_17counting_iteratorIjlEEPS9_SG_NS0_5tupleIJPjSI_NS0_16reverse_iteratorISI_EEEEENSH_IJSG_SG_SG_EEES9_SI_JZNS1_25segmented_radix_sort_implINS0_14default_configELb0EPKlPlSQ_SR_N2at6native12_GLOBAL__N_18offset_tEEE10hipError_tPvRmT1_PNSt15iterator_traitsISZ_E10value_typeET2_T3_PNS10_IS15_E10value_typeET4_jRbjT5_S1B_jjP12ihipStream_tbEUljE_ZNSN_ISO_Lb0ESQ_SR_SQ_SR_SV_EESW_SX_SY_SZ_S13_S14_S15_S18_S19_jS1A_jS1B_S1B_jjS1D_bEUljE0_EEESW_SX_SY_S15_S19_S1B_T6_T7_T9_mT8_S1D_bDpT10_ENKUlT_T0_E_clISt17integral_constantIbLb1EES1R_EEDaS1M_S1N_EUlS1M_E_NS1_11comp_targetILNS1_3genE4ELNS1_11target_archE910ELNS1_3gpuE8ELNS1_3repE0EEENS1_30default_config_static_selectorELNS0_4arch9wavefront6targetE1EEEvSZ_,"axG",@progbits,_ZN7rocprim17ROCPRIM_400000_NS6detail17trampoline_kernelINS0_13select_configILj256ELj13ELNS0_17block_load_methodE3ELS4_3ELS4_3ELNS0_20block_scan_algorithmE0ELj4294967295EEENS1_25partition_config_selectorILNS1_17partition_subalgoE4EjNS0_10empty_typeEbEEZZNS1_14partition_implILS8_4ELb0ES6_15HIP_vector_typeIjLj2EENS0_17counting_iteratorIjlEEPS9_SG_NS0_5tupleIJPjSI_NS0_16reverse_iteratorISI_EEEEENSH_IJSG_SG_SG_EEES9_SI_JZNS1_25segmented_radix_sort_implINS0_14default_configELb0EPKlPlSQ_SR_N2at6native12_GLOBAL__N_18offset_tEEE10hipError_tPvRmT1_PNSt15iterator_traitsISZ_E10value_typeET2_T3_PNS10_IS15_E10value_typeET4_jRbjT5_S1B_jjP12ihipStream_tbEUljE_ZNSN_ISO_Lb0ESQ_SR_SQ_SR_SV_EESW_SX_SY_SZ_S13_S14_S15_S18_S19_jS1A_jS1B_S1B_jjS1D_bEUljE0_EEESW_SX_SY_S15_S19_S1B_T6_T7_T9_mT8_S1D_bDpT10_ENKUlT_T0_E_clISt17integral_constantIbLb1EES1R_EEDaS1M_S1N_EUlS1M_E_NS1_11comp_targetILNS1_3genE4ELNS1_11target_archE910ELNS1_3gpuE8ELNS1_3repE0EEENS1_30default_config_static_selectorELNS0_4arch9wavefront6targetE1EEEvSZ_,comdat
.Lfunc_end753:
	.size	_ZN7rocprim17ROCPRIM_400000_NS6detail17trampoline_kernelINS0_13select_configILj256ELj13ELNS0_17block_load_methodE3ELS4_3ELS4_3ELNS0_20block_scan_algorithmE0ELj4294967295EEENS1_25partition_config_selectorILNS1_17partition_subalgoE4EjNS0_10empty_typeEbEEZZNS1_14partition_implILS8_4ELb0ES6_15HIP_vector_typeIjLj2EENS0_17counting_iteratorIjlEEPS9_SG_NS0_5tupleIJPjSI_NS0_16reverse_iteratorISI_EEEEENSH_IJSG_SG_SG_EEES9_SI_JZNS1_25segmented_radix_sort_implINS0_14default_configELb0EPKlPlSQ_SR_N2at6native12_GLOBAL__N_18offset_tEEE10hipError_tPvRmT1_PNSt15iterator_traitsISZ_E10value_typeET2_T3_PNS10_IS15_E10value_typeET4_jRbjT5_S1B_jjP12ihipStream_tbEUljE_ZNSN_ISO_Lb0ESQ_SR_SQ_SR_SV_EESW_SX_SY_SZ_S13_S14_S15_S18_S19_jS1A_jS1B_S1B_jjS1D_bEUljE0_EEESW_SX_SY_S15_S19_S1B_T6_T7_T9_mT8_S1D_bDpT10_ENKUlT_T0_E_clISt17integral_constantIbLb1EES1R_EEDaS1M_S1N_EUlS1M_E_NS1_11comp_targetILNS1_3genE4ELNS1_11target_archE910ELNS1_3gpuE8ELNS1_3repE0EEENS1_30default_config_static_selectorELNS0_4arch9wavefront6targetE1EEEvSZ_, .Lfunc_end753-_ZN7rocprim17ROCPRIM_400000_NS6detail17trampoline_kernelINS0_13select_configILj256ELj13ELNS0_17block_load_methodE3ELS4_3ELS4_3ELNS0_20block_scan_algorithmE0ELj4294967295EEENS1_25partition_config_selectorILNS1_17partition_subalgoE4EjNS0_10empty_typeEbEEZZNS1_14partition_implILS8_4ELb0ES6_15HIP_vector_typeIjLj2EENS0_17counting_iteratorIjlEEPS9_SG_NS0_5tupleIJPjSI_NS0_16reverse_iteratorISI_EEEEENSH_IJSG_SG_SG_EEES9_SI_JZNS1_25segmented_radix_sort_implINS0_14default_configELb0EPKlPlSQ_SR_N2at6native12_GLOBAL__N_18offset_tEEE10hipError_tPvRmT1_PNSt15iterator_traitsISZ_E10value_typeET2_T3_PNS10_IS15_E10value_typeET4_jRbjT5_S1B_jjP12ihipStream_tbEUljE_ZNSN_ISO_Lb0ESQ_SR_SQ_SR_SV_EESW_SX_SY_SZ_S13_S14_S15_S18_S19_jS1A_jS1B_S1B_jjS1D_bEUljE0_EEESW_SX_SY_S15_S19_S1B_T6_T7_T9_mT8_S1D_bDpT10_ENKUlT_T0_E_clISt17integral_constantIbLb1EES1R_EEDaS1M_S1N_EUlS1M_E_NS1_11comp_targetILNS1_3genE4ELNS1_11target_archE910ELNS1_3gpuE8ELNS1_3repE0EEENS1_30default_config_static_selectorELNS0_4arch9wavefront6targetE1EEEvSZ_
                                        ; -- End function
	.set _ZN7rocprim17ROCPRIM_400000_NS6detail17trampoline_kernelINS0_13select_configILj256ELj13ELNS0_17block_load_methodE3ELS4_3ELS4_3ELNS0_20block_scan_algorithmE0ELj4294967295EEENS1_25partition_config_selectorILNS1_17partition_subalgoE4EjNS0_10empty_typeEbEEZZNS1_14partition_implILS8_4ELb0ES6_15HIP_vector_typeIjLj2EENS0_17counting_iteratorIjlEEPS9_SG_NS0_5tupleIJPjSI_NS0_16reverse_iteratorISI_EEEEENSH_IJSG_SG_SG_EEES9_SI_JZNS1_25segmented_radix_sort_implINS0_14default_configELb0EPKlPlSQ_SR_N2at6native12_GLOBAL__N_18offset_tEEE10hipError_tPvRmT1_PNSt15iterator_traitsISZ_E10value_typeET2_T3_PNS10_IS15_E10value_typeET4_jRbjT5_S1B_jjP12ihipStream_tbEUljE_ZNSN_ISO_Lb0ESQ_SR_SQ_SR_SV_EESW_SX_SY_SZ_S13_S14_S15_S18_S19_jS1A_jS1B_S1B_jjS1D_bEUljE0_EEESW_SX_SY_S15_S19_S1B_T6_T7_T9_mT8_S1D_bDpT10_ENKUlT_T0_E_clISt17integral_constantIbLb1EES1R_EEDaS1M_S1N_EUlS1M_E_NS1_11comp_targetILNS1_3genE4ELNS1_11target_archE910ELNS1_3gpuE8ELNS1_3repE0EEENS1_30default_config_static_selectorELNS0_4arch9wavefront6targetE1EEEvSZ_.num_vgpr, 0
	.set _ZN7rocprim17ROCPRIM_400000_NS6detail17trampoline_kernelINS0_13select_configILj256ELj13ELNS0_17block_load_methodE3ELS4_3ELS4_3ELNS0_20block_scan_algorithmE0ELj4294967295EEENS1_25partition_config_selectorILNS1_17partition_subalgoE4EjNS0_10empty_typeEbEEZZNS1_14partition_implILS8_4ELb0ES6_15HIP_vector_typeIjLj2EENS0_17counting_iteratorIjlEEPS9_SG_NS0_5tupleIJPjSI_NS0_16reverse_iteratorISI_EEEEENSH_IJSG_SG_SG_EEES9_SI_JZNS1_25segmented_radix_sort_implINS0_14default_configELb0EPKlPlSQ_SR_N2at6native12_GLOBAL__N_18offset_tEEE10hipError_tPvRmT1_PNSt15iterator_traitsISZ_E10value_typeET2_T3_PNS10_IS15_E10value_typeET4_jRbjT5_S1B_jjP12ihipStream_tbEUljE_ZNSN_ISO_Lb0ESQ_SR_SQ_SR_SV_EESW_SX_SY_SZ_S13_S14_S15_S18_S19_jS1A_jS1B_S1B_jjS1D_bEUljE0_EEESW_SX_SY_S15_S19_S1B_T6_T7_T9_mT8_S1D_bDpT10_ENKUlT_T0_E_clISt17integral_constantIbLb1EES1R_EEDaS1M_S1N_EUlS1M_E_NS1_11comp_targetILNS1_3genE4ELNS1_11target_archE910ELNS1_3gpuE8ELNS1_3repE0EEENS1_30default_config_static_selectorELNS0_4arch9wavefront6targetE1EEEvSZ_.num_agpr, 0
	.set _ZN7rocprim17ROCPRIM_400000_NS6detail17trampoline_kernelINS0_13select_configILj256ELj13ELNS0_17block_load_methodE3ELS4_3ELS4_3ELNS0_20block_scan_algorithmE0ELj4294967295EEENS1_25partition_config_selectorILNS1_17partition_subalgoE4EjNS0_10empty_typeEbEEZZNS1_14partition_implILS8_4ELb0ES6_15HIP_vector_typeIjLj2EENS0_17counting_iteratorIjlEEPS9_SG_NS0_5tupleIJPjSI_NS0_16reverse_iteratorISI_EEEEENSH_IJSG_SG_SG_EEES9_SI_JZNS1_25segmented_radix_sort_implINS0_14default_configELb0EPKlPlSQ_SR_N2at6native12_GLOBAL__N_18offset_tEEE10hipError_tPvRmT1_PNSt15iterator_traitsISZ_E10value_typeET2_T3_PNS10_IS15_E10value_typeET4_jRbjT5_S1B_jjP12ihipStream_tbEUljE_ZNSN_ISO_Lb0ESQ_SR_SQ_SR_SV_EESW_SX_SY_SZ_S13_S14_S15_S18_S19_jS1A_jS1B_S1B_jjS1D_bEUljE0_EEESW_SX_SY_S15_S19_S1B_T6_T7_T9_mT8_S1D_bDpT10_ENKUlT_T0_E_clISt17integral_constantIbLb1EES1R_EEDaS1M_S1N_EUlS1M_E_NS1_11comp_targetILNS1_3genE4ELNS1_11target_archE910ELNS1_3gpuE8ELNS1_3repE0EEENS1_30default_config_static_selectorELNS0_4arch9wavefront6targetE1EEEvSZ_.numbered_sgpr, 0
	.set _ZN7rocprim17ROCPRIM_400000_NS6detail17trampoline_kernelINS0_13select_configILj256ELj13ELNS0_17block_load_methodE3ELS4_3ELS4_3ELNS0_20block_scan_algorithmE0ELj4294967295EEENS1_25partition_config_selectorILNS1_17partition_subalgoE4EjNS0_10empty_typeEbEEZZNS1_14partition_implILS8_4ELb0ES6_15HIP_vector_typeIjLj2EENS0_17counting_iteratorIjlEEPS9_SG_NS0_5tupleIJPjSI_NS0_16reverse_iteratorISI_EEEEENSH_IJSG_SG_SG_EEES9_SI_JZNS1_25segmented_radix_sort_implINS0_14default_configELb0EPKlPlSQ_SR_N2at6native12_GLOBAL__N_18offset_tEEE10hipError_tPvRmT1_PNSt15iterator_traitsISZ_E10value_typeET2_T3_PNS10_IS15_E10value_typeET4_jRbjT5_S1B_jjP12ihipStream_tbEUljE_ZNSN_ISO_Lb0ESQ_SR_SQ_SR_SV_EESW_SX_SY_SZ_S13_S14_S15_S18_S19_jS1A_jS1B_S1B_jjS1D_bEUljE0_EEESW_SX_SY_S15_S19_S1B_T6_T7_T9_mT8_S1D_bDpT10_ENKUlT_T0_E_clISt17integral_constantIbLb1EES1R_EEDaS1M_S1N_EUlS1M_E_NS1_11comp_targetILNS1_3genE4ELNS1_11target_archE910ELNS1_3gpuE8ELNS1_3repE0EEENS1_30default_config_static_selectorELNS0_4arch9wavefront6targetE1EEEvSZ_.num_named_barrier, 0
	.set _ZN7rocprim17ROCPRIM_400000_NS6detail17trampoline_kernelINS0_13select_configILj256ELj13ELNS0_17block_load_methodE3ELS4_3ELS4_3ELNS0_20block_scan_algorithmE0ELj4294967295EEENS1_25partition_config_selectorILNS1_17partition_subalgoE4EjNS0_10empty_typeEbEEZZNS1_14partition_implILS8_4ELb0ES6_15HIP_vector_typeIjLj2EENS0_17counting_iteratorIjlEEPS9_SG_NS0_5tupleIJPjSI_NS0_16reverse_iteratorISI_EEEEENSH_IJSG_SG_SG_EEES9_SI_JZNS1_25segmented_radix_sort_implINS0_14default_configELb0EPKlPlSQ_SR_N2at6native12_GLOBAL__N_18offset_tEEE10hipError_tPvRmT1_PNSt15iterator_traitsISZ_E10value_typeET2_T3_PNS10_IS15_E10value_typeET4_jRbjT5_S1B_jjP12ihipStream_tbEUljE_ZNSN_ISO_Lb0ESQ_SR_SQ_SR_SV_EESW_SX_SY_SZ_S13_S14_S15_S18_S19_jS1A_jS1B_S1B_jjS1D_bEUljE0_EEESW_SX_SY_S15_S19_S1B_T6_T7_T9_mT8_S1D_bDpT10_ENKUlT_T0_E_clISt17integral_constantIbLb1EES1R_EEDaS1M_S1N_EUlS1M_E_NS1_11comp_targetILNS1_3genE4ELNS1_11target_archE910ELNS1_3gpuE8ELNS1_3repE0EEENS1_30default_config_static_selectorELNS0_4arch9wavefront6targetE1EEEvSZ_.private_seg_size, 0
	.set _ZN7rocprim17ROCPRIM_400000_NS6detail17trampoline_kernelINS0_13select_configILj256ELj13ELNS0_17block_load_methodE3ELS4_3ELS4_3ELNS0_20block_scan_algorithmE0ELj4294967295EEENS1_25partition_config_selectorILNS1_17partition_subalgoE4EjNS0_10empty_typeEbEEZZNS1_14partition_implILS8_4ELb0ES6_15HIP_vector_typeIjLj2EENS0_17counting_iteratorIjlEEPS9_SG_NS0_5tupleIJPjSI_NS0_16reverse_iteratorISI_EEEEENSH_IJSG_SG_SG_EEES9_SI_JZNS1_25segmented_radix_sort_implINS0_14default_configELb0EPKlPlSQ_SR_N2at6native12_GLOBAL__N_18offset_tEEE10hipError_tPvRmT1_PNSt15iterator_traitsISZ_E10value_typeET2_T3_PNS10_IS15_E10value_typeET4_jRbjT5_S1B_jjP12ihipStream_tbEUljE_ZNSN_ISO_Lb0ESQ_SR_SQ_SR_SV_EESW_SX_SY_SZ_S13_S14_S15_S18_S19_jS1A_jS1B_S1B_jjS1D_bEUljE0_EEESW_SX_SY_S15_S19_S1B_T6_T7_T9_mT8_S1D_bDpT10_ENKUlT_T0_E_clISt17integral_constantIbLb1EES1R_EEDaS1M_S1N_EUlS1M_E_NS1_11comp_targetILNS1_3genE4ELNS1_11target_archE910ELNS1_3gpuE8ELNS1_3repE0EEENS1_30default_config_static_selectorELNS0_4arch9wavefront6targetE1EEEvSZ_.uses_vcc, 0
	.set _ZN7rocprim17ROCPRIM_400000_NS6detail17trampoline_kernelINS0_13select_configILj256ELj13ELNS0_17block_load_methodE3ELS4_3ELS4_3ELNS0_20block_scan_algorithmE0ELj4294967295EEENS1_25partition_config_selectorILNS1_17partition_subalgoE4EjNS0_10empty_typeEbEEZZNS1_14partition_implILS8_4ELb0ES6_15HIP_vector_typeIjLj2EENS0_17counting_iteratorIjlEEPS9_SG_NS0_5tupleIJPjSI_NS0_16reverse_iteratorISI_EEEEENSH_IJSG_SG_SG_EEES9_SI_JZNS1_25segmented_radix_sort_implINS0_14default_configELb0EPKlPlSQ_SR_N2at6native12_GLOBAL__N_18offset_tEEE10hipError_tPvRmT1_PNSt15iterator_traitsISZ_E10value_typeET2_T3_PNS10_IS15_E10value_typeET4_jRbjT5_S1B_jjP12ihipStream_tbEUljE_ZNSN_ISO_Lb0ESQ_SR_SQ_SR_SV_EESW_SX_SY_SZ_S13_S14_S15_S18_S19_jS1A_jS1B_S1B_jjS1D_bEUljE0_EEESW_SX_SY_S15_S19_S1B_T6_T7_T9_mT8_S1D_bDpT10_ENKUlT_T0_E_clISt17integral_constantIbLb1EES1R_EEDaS1M_S1N_EUlS1M_E_NS1_11comp_targetILNS1_3genE4ELNS1_11target_archE910ELNS1_3gpuE8ELNS1_3repE0EEENS1_30default_config_static_selectorELNS0_4arch9wavefront6targetE1EEEvSZ_.uses_flat_scratch, 0
	.set _ZN7rocprim17ROCPRIM_400000_NS6detail17trampoline_kernelINS0_13select_configILj256ELj13ELNS0_17block_load_methodE3ELS4_3ELS4_3ELNS0_20block_scan_algorithmE0ELj4294967295EEENS1_25partition_config_selectorILNS1_17partition_subalgoE4EjNS0_10empty_typeEbEEZZNS1_14partition_implILS8_4ELb0ES6_15HIP_vector_typeIjLj2EENS0_17counting_iteratorIjlEEPS9_SG_NS0_5tupleIJPjSI_NS0_16reverse_iteratorISI_EEEEENSH_IJSG_SG_SG_EEES9_SI_JZNS1_25segmented_radix_sort_implINS0_14default_configELb0EPKlPlSQ_SR_N2at6native12_GLOBAL__N_18offset_tEEE10hipError_tPvRmT1_PNSt15iterator_traitsISZ_E10value_typeET2_T3_PNS10_IS15_E10value_typeET4_jRbjT5_S1B_jjP12ihipStream_tbEUljE_ZNSN_ISO_Lb0ESQ_SR_SQ_SR_SV_EESW_SX_SY_SZ_S13_S14_S15_S18_S19_jS1A_jS1B_S1B_jjS1D_bEUljE0_EEESW_SX_SY_S15_S19_S1B_T6_T7_T9_mT8_S1D_bDpT10_ENKUlT_T0_E_clISt17integral_constantIbLb1EES1R_EEDaS1M_S1N_EUlS1M_E_NS1_11comp_targetILNS1_3genE4ELNS1_11target_archE910ELNS1_3gpuE8ELNS1_3repE0EEENS1_30default_config_static_selectorELNS0_4arch9wavefront6targetE1EEEvSZ_.has_dyn_sized_stack, 0
	.set _ZN7rocprim17ROCPRIM_400000_NS6detail17trampoline_kernelINS0_13select_configILj256ELj13ELNS0_17block_load_methodE3ELS4_3ELS4_3ELNS0_20block_scan_algorithmE0ELj4294967295EEENS1_25partition_config_selectorILNS1_17partition_subalgoE4EjNS0_10empty_typeEbEEZZNS1_14partition_implILS8_4ELb0ES6_15HIP_vector_typeIjLj2EENS0_17counting_iteratorIjlEEPS9_SG_NS0_5tupleIJPjSI_NS0_16reverse_iteratorISI_EEEEENSH_IJSG_SG_SG_EEES9_SI_JZNS1_25segmented_radix_sort_implINS0_14default_configELb0EPKlPlSQ_SR_N2at6native12_GLOBAL__N_18offset_tEEE10hipError_tPvRmT1_PNSt15iterator_traitsISZ_E10value_typeET2_T3_PNS10_IS15_E10value_typeET4_jRbjT5_S1B_jjP12ihipStream_tbEUljE_ZNSN_ISO_Lb0ESQ_SR_SQ_SR_SV_EESW_SX_SY_SZ_S13_S14_S15_S18_S19_jS1A_jS1B_S1B_jjS1D_bEUljE0_EEESW_SX_SY_S15_S19_S1B_T6_T7_T9_mT8_S1D_bDpT10_ENKUlT_T0_E_clISt17integral_constantIbLb1EES1R_EEDaS1M_S1N_EUlS1M_E_NS1_11comp_targetILNS1_3genE4ELNS1_11target_archE910ELNS1_3gpuE8ELNS1_3repE0EEENS1_30default_config_static_selectorELNS0_4arch9wavefront6targetE1EEEvSZ_.has_recursion, 0
	.set _ZN7rocprim17ROCPRIM_400000_NS6detail17trampoline_kernelINS0_13select_configILj256ELj13ELNS0_17block_load_methodE3ELS4_3ELS4_3ELNS0_20block_scan_algorithmE0ELj4294967295EEENS1_25partition_config_selectorILNS1_17partition_subalgoE4EjNS0_10empty_typeEbEEZZNS1_14partition_implILS8_4ELb0ES6_15HIP_vector_typeIjLj2EENS0_17counting_iteratorIjlEEPS9_SG_NS0_5tupleIJPjSI_NS0_16reverse_iteratorISI_EEEEENSH_IJSG_SG_SG_EEES9_SI_JZNS1_25segmented_radix_sort_implINS0_14default_configELb0EPKlPlSQ_SR_N2at6native12_GLOBAL__N_18offset_tEEE10hipError_tPvRmT1_PNSt15iterator_traitsISZ_E10value_typeET2_T3_PNS10_IS15_E10value_typeET4_jRbjT5_S1B_jjP12ihipStream_tbEUljE_ZNSN_ISO_Lb0ESQ_SR_SQ_SR_SV_EESW_SX_SY_SZ_S13_S14_S15_S18_S19_jS1A_jS1B_S1B_jjS1D_bEUljE0_EEESW_SX_SY_S15_S19_S1B_T6_T7_T9_mT8_S1D_bDpT10_ENKUlT_T0_E_clISt17integral_constantIbLb1EES1R_EEDaS1M_S1N_EUlS1M_E_NS1_11comp_targetILNS1_3genE4ELNS1_11target_archE910ELNS1_3gpuE8ELNS1_3repE0EEENS1_30default_config_static_selectorELNS0_4arch9wavefront6targetE1EEEvSZ_.has_indirect_call, 0
	.section	.AMDGPU.csdata,"",@progbits
; Kernel info:
; codeLenInByte = 0
; TotalNumSgprs: 4
; NumVgprs: 0
; ScratchSize: 0
; MemoryBound: 0
; FloatMode: 240
; IeeeMode: 1
; LDSByteSize: 0 bytes/workgroup (compile time only)
; SGPRBlocks: 0
; VGPRBlocks: 0
; NumSGPRsForWavesPerEU: 4
; NumVGPRsForWavesPerEU: 1
; Occupancy: 10
; WaveLimiterHint : 0
; COMPUTE_PGM_RSRC2:SCRATCH_EN: 0
; COMPUTE_PGM_RSRC2:USER_SGPR: 6
; COMPUTE_PGM_RSRC2:TRAP_HANDLER: 0
; COMPUTE_PGM_RSRC2:TGID_X_EN: 1
; COMPUTE_PGM_RSRC2:TGID_Y_EN: 0
; COMPUTE_PGM_RSRC2:TGID_Z_EN: 0
; COMPUTE_PGM_RSRC2:TIDIG_COMP_CNT: 0
	.section	.text._ZN7rocprim17ROCPRIM_400000_NS6detail17trampoline_kernelINS0_13select_configILj256ELj13ELNS0_17block_load_methodE3ELS4_3ELS4_3ELNS0_20block_scan_algorithmE0ELj4294967295EEENS1_25partition_config_selectorILNS1_17partition_subalgoE4EjNS0_10empty_typeEbEEZZNS1_14partition_implILS8_4ELb0ES6_15HIP_vector_typeIjLj2EENS0_17counting_iteratorIjlEEPS9_SG_NS0_5tupleIJPjSI_NS0_16reverse_iteratorISI_EEEEENSH_IJSG_SG_SG_EEES9_SI_JZNS1_25segmented_radix_sort_implINS0_14default_configELb0EPKlPlSQ_SR_N2at6native12_GLOBAL__N_18offset_tEEE10hipError_tPvRmT1_PNSt15iterator_traitsISZ_E10value_typeET2_T3_PNS10_IS15_E10value_typeET4_jRbjT5_S1B_jjP12ihipStream_tbEUljE_ZNSN_ISO_Lb0ESQ_SR_SQ_SR_SV_EESW_SX_SY_SZ_S13_S14_S15_S18_S19_jS1A_jS1B_S1B_jjS1D_bEUljE0_EEESW_SX_SY_S15_S19_S1B_T6_T7_T9_mT8_S1D_bDpT10_ENKUlT_T0_E_clISt17integral_constantIbLb1EES1R_EEDaS1M_S1N_EUlS1M_E_NS1_11comp_targetILNS1_3genE3ELNS1_11target_archE908ELNS1_3gpuE7ELNS1_3repE0EEENS1_30default_config_static_selectorELNS0_4arch9wavefront6targetE1EEEvSZ_,"axG",@progbits,_ZN7rocprim17ROCPRIM_400000_NS6detail17trampoline_kernelINS0_13select_configILj256ELj13ELNS0_17block_load_methodE3ELS4_3ELS4_3ELNS0_20block_scan_algorithmE0ELj4294967295EEENS1_25partition_config_selectorILNS1_17partition_subalgoE4EjNS0_10empty_typeEbEEZZNS1_14partition_implILS8_4ELb0ES6_15HIP_vector_typeIjLj2EENS0_17counting_iteratorIjlEEPS9_SG_NS0_5tupleIJPjSI_NS0_16reverse_iteratorISI_EEEEENSH_IJSG_SG_SG_EEES9_SI_JZNS1_25segmented_radix_sort_implINS0_14default_configELb0EPKlPlSQ_SR_N2at6native12_GLOBAL__N_18offset_tEEE10hipError_tPvRmT1_PNSt15iterator_traitsISZ_E10value_typeET2_T3_PNS10_IS15_E10value_typeET4_jRbjT5_S1B_jjP12ihipStream_tbEUljE_ZNSN_ISO_Lb0ESQ_SR_SQ_SR_SV_EESW_SX_SY_SZ_S13_S14_S15_S18_S19_jS1A_jS1B_S1B_jjS1D_bEUljE0_EEESW_SX_SY_S15_S19_S1B_T6_T7_T9_mT8_S1D_bDpT10_ENKUlT_T0_E_clISt17integral_constantIbLb1EES1R_EEDaS1M_S1N_EUlS1M_E_NS1_11comp_targetILNS1_3genE3ELNS1_11target_archE908ELNS1_3gpuE7ELNS1_3repE0EEENS1_30default_config_static_selectorELNS0_4arch9wavefront6targetE1EEEvSZ_,comdat
	.globl	_ZN7rocprim17ROCPRIM_400000_NS6detail17trampoline_kernelINS0_13select_configILj256ELj13ELNS0_17block_load_methodE3ELS4_3ELS4_3ELNS0_20block_scan_algorithmE0ELj4294967295EEENS1_25partition_config_selectorILNS1_17partition_subalgoE4EjNS0_10empty_typeEbEEZZNS1_14partition_implILS8_4ELb0ES6_15HIP_vector_typeIjLj2EENS0_17counting_iteratorIjlEEPS9_SG_NS0_5tupleIJPjSI_NS0_16reverse_iteratorISI_EEEEENSH_IJSG_SG_SG_EEES9_SI_JZNS1_25segmented_radix_sort_implINS0_14default_configELb0EPKlPlSQ_SR_N2at6native12_GLOBAL__N_18offset_tEEE10hipError_tPvRmT1_PNSt15iterator_traitsISZ_E10value_typeET2_T3_PNS10_IS15_E10value_typeET4_jRbjT5_S1B_jjP12ihipStream_tbEUljE_ZNSN_ISO_Lb0ESQ_SR_SQ_SR_SV_EESW_SX_SY_SZ_S13_S14_S15_S18_S19_jS1A_jS1B_S1B_jjS1D_bEUljE0_EEESW_SX_SY_S15_S19_S1B_T6_T7_T9_mT8_S1D_bDpT10_ENKUlT_T0_E_clISt17integral_constantIbLb1EES1R_EEDaS1M_S1N_EUlS1M_E_NS1_11comp_targetILNS1_3genE3ELNS1_11target_archE908ELNS1_3gpuE7ELNS1_3repE0EEENS1_30default_config_static_selectorELNS0_4arch9wavefront6targetE1EEEvSZ_ ; -- Begin function _ZN7rocprim17ROCPRIM_400000_NS6detail17trampoline_kernelINS0_13select_configILj256ELj13ELNS0_17block_load_methodE3ELS4_3ELS4_3ELNS0_20block_scan_algorithmE0ELj4294967295EEENS1_25partition_config_selectorILNS1_17partition_subalgoE4EjNS0_10empty_typeEbEEZZNS1_14partition_implILS8_4ELb0ES6_15HIP_vector_typeIjLj2EENS0_17counting_iteratorIjlEEPS9_SG_NS0_5tupleIJPjSI_NS0_16reverse_iteratorISI_EEEEENSH_IJSG_SG_SG_EEES9_SI_JZNS1_25segmented_radix_sort_implINS0_14default_configELb0EPKlPlSQ_SR_N2at6native12_GLOBAL__N_18offset_tEEE10hipError_tPvRmT1_PNSt15iterator_traitsISZ_E10value_typeET2_T3_PNS10_IS15_E10value_typeET4_jRbjT5_S1B_jjP12ihipStream_tbEUljE_ZNSN_ISO_Lb0ESQ_SR_SQ_SR_SV_EESW_SX_SY_SZ_S13_S14_S15_S18_S19_jS1A_jS1B_S1B_jjS1D_bEUljE0_EEESW_SX_SY_S15_S19_S1B_T6_T7_T9_mT8_S1D_bDpT10_ENKUlT_T0_E_clISt17integral_constantIbLb1EES1R_EEDaS1M_S1N_EUlS1M_E_NS1_11comp_targetILNS1_3genE3ELNS1_11target_archE908ELNS1_3gpuE7ELNS1_3repE0EEENS1_30default_config_static_selectorELNS0_4arch9wavefront6targetE1EEEvSZ_
	.p2align	8
	.type	_ZN7rocprim17ROCPRIM_400000_NS6detail17trampoline_kernelINS0_13select_configILj256ELj13ELNS0_17block_load_methodE3ELS4_3ELS4_3ELNS0_20block_scan_algorithmE0ELj4294967295EEENS1_25partition_config_selectorILNS1_17partition_subalgoE4EjNS0_10empty_typeEbEEZZNS1_14partition_implILS8_4ELb0ES6_15HIP_vector_typeIjLj2EENS0_17counting_iteratorIjlEEPS9_SG_NS0_5tupleIJPjSI_NS0_16reverse_iteratorISI_EEEEENSH_IJSG_SG_SG_EEES9_SI_JZNS1_25segmented_radix_sort_implINS0_14default_configELb0EPKlPlSQ_SR_N2at6native12_GLOBAL__N_18offset_tEEE10hipError_tPvRmT1_PNSt15iterator_traitsISZ_E10value_typeET2_T3_PNS10_IS15_E10value_typeET4_jRbjT5_S1B_jjP12ihipStream_tbEUljE_ZNSN_ISO_Lb0ESQ_SR_SQ_SR_SV_EESW_SX_SY_SZ_S13_S14_S15_S18_S19_jS1A_jS1B_S1B_jjS1D_bEUljE0_EEESW_SX_SY_S15_S19_S1B_T6_T7_T9_mT8_S1D_bDpT10_ENKUlT_T0_E_clISt17integral_constantIbLb1EES1R_EEDaS1M_S1N_EUlS1M_E_NS1_11comp_targetILNS1_3genE3ELNS1_11target_archE908ELNS1_3gpuE7ELNS1_3repE0EEENS1_30default_config_static_selectorELNS0_4arch9wavefront6targetE1EEEvSZ_,@function
_ZN7rocprim17ROCPRIM_400000_NS6detail17trampoline_kernelINS0_13select_configILj256ELj13ELNS0_17block_load_methodE3ELS4_3ELS4_3ELNS0_20block_scan_algorithmE0ELj4294967295EEENS1_25partition_config_selectorILNS1_17partition_subalgoE4EjNS0_10empty_typeEbEEZZNS1_14partition_implILS8_4ELb0ES6_15HIP_vector_typeIjLj2EENS0_17counting_iteratorIjlEEPS9_SG_NS0_5tupleIJPjSI_NS0_16reverse_iteratorISI_EEEEENSH_IJSG_SG_SG_EEES9_SI_JZNS1_25segmented_radix_sort_implINS0_14default_configELb0EPKlPlSQ_SR_N2at6native12_GLOBAL__N_18offset_tEEE10hipError_tPvRmT1_PNSt15iterator_traitsISZ_E10value_typeET2_T3_PNS10_IS15_E10value_typeET4_jRbjT5_S1B_jjP12ihipStream_tbEUljE_ZNSN_ISO_Lb0ESQ_SR_SQ_SR_SV_EESW_SX_SY_SZ_S13_S14_S15_S18_S19_jS1A_jS1B_S1B_jjS1D_bEUljE0_EEESW_SX_SY_S15_S19_S1B_T6_T7_T9_mT8_S1D_bDpT10_ENKUlT_T0_E_clISt17integral_constantIbLb1EES1R_EEDaS1M_S1N_EUlS1M_E_NS1_11comp_targetILNS1_3genE3ELNS1_11target_archE908ELNS1_3gpuE7ELNS1_3repE0EEENS1_30default_config_static_selectorELNS0_4arch9wavefront6targetE1EEEvSZ_: ; @_ZN7rocprim17ROCPRIM_400000_NS6detail17trampoline_kernelINS0_13select_configILj256ELj13ELNS0_17block_load_methodE3ELS4_3ELS4_3ELNS0_20block_scan_algorithmE0ELj4294967295EEENS1_25partition_config_selectorILNS1_17partition_subalgoE4EjNS0_10empty_typeEbEEZZNS1_14partition_implILS8_4ELb0ES6_15HIP_vector_typeIjLj2EENS0_17counting_iteratorIjlEEPS9_SG_NS0_5tupleIJPjSI_NS0_16reverse_iteratorISI_EEEEENSH_IJSG_SG_SG_EEES9_SI_JZNS1_25segmented_radix_sort_implINS0_14default_configELb0EPKlPlSQ_SR_N2at6native12_GLOBAL__N_18offset_tEEE10hipError_tPvRmT1_PNSt15iterator_traitsISZ_E10value_typeET2_T3_PNS10_IS15_E10value_typeET4_jRbjT5_S1B_jjP12ihipStream_tbEUljE_ZNSN_ISO_Lb0ESQ_SR_SQ_SR_SV_EESW_SX_SY_SZ_S13_S14_S15_S18_S19_jS1A_jS1B_S1B_jjS1D_bEUljE0_EEESW_SX_SY_S15_S19_S1B_T6_T7_T9_mT8_S1D_bDpT10_ENKUlT_T0_E_clISt17integral_constantIbLb1EES1R_EEDaS1M_S1N_EUlS1M_E_NS1_11comp_targetILNS1_3genE3ELNS1_11target_archE908ELNS1_3gpuE7ELNS1_3repE0EEENS1_30default_config_static_selectorELNS0_4arch9wavefront6targetE1EEEvSZ_
; %bb.0:
	.section	.rodata,"a",@progbits
	.p2align	6, 0x0
	.amdhsa_kernel _ZN7rocprim17ROCPRIM_400000_NS6detail17trampoline_kernelINS0_13select_configILj256ELj13ELNS0_17block_load_methodE3ELS4_3ELS4_3ELNS0_20block_scan_algorithmE0ELj4294967295EEENS1_25partition_config_selectorILNS1_17partition_subalgoE4EjNS0_10empty_typeEbEEZZNS1_14partition_implILS8_4ELb0ES6_15HIP_vector_typeIjLj2EENS0_17counting_iteratorIjlEEPS9_SG_NS0_5tupleIJPjSI_NS0_16reverse_iteratorISI_EEEEENSH_IJSG_SG_SG_EEES9_SI_JZNS1_25segmented_radix_sort_implINS0_14default_configELb0EPKlPlSQ_SR_N2at6native12_GLOBAL__N_18offset_tEEE10hipError_tPvRmT1_PNSt15iterator_traitsISZ_E10value_typeET2_T3_PNS10_IS15_E10value_typeET4_jRbjT5_S1B_jjP12ihipStream_tbEUljE_ZNSN_ISO_Lb0ESQ_SR_SQ_SR_SV_EESW_SX_SY_SZ_S13_S14_S15_S18_S19_jS1A_jS1B_S1B_jjS1D_bEUljE0_EEESW_SX_SY_S15_S19_S1B_T6_T7_T9_mT8_S1D_bDpT10_ENKUlT_T0_E_clISt17integral_constantIbLb1EES1R_EEDaS1M_S1N_EUlS1M_E_NS1_11comp_targetILNS1_3genE3ELNS1_11target_archE908ELNS1_3gpuE7ELNS1_3repE0EEENS1_30default_config_static_selectorELNS0_4arch9wavefront6targetE1EEEvSZ_
		.amdhsa_group_segment_fixed_size 0
		.amdhsa_private_segment_fixed_size 0
		.amdhsa_kernarg_size 184
		.amdhsa_user_sgpr_count 6
		.amdhsa_user_sgpr_private_segment_buffer 1
		.amdhsa_user_sgpr_dispatch_ptr 0
		.amdhsa_user_sgpr_queue_ptr 0
		.amdhsa_user_sgpr_kernarg_segment_ptr 1
		.amdhsa_user_sgpr_dispatch_id 0
		.amdhsa_user_sgpr_flat_scratch_init 0
		.amdhsa_user_sgpr_private_segment_size 0
		.amdhsa_uses_dynamic_stack 0
		.amdhsa_system_sgpr_private_segment_wavefront_offset 0
		.amdhsa_system_sgpr_workgroup_id_x 1
		.amdhsa_system_sgpr_workgroup_id_y 0
		.amdhsa_system_sgpr_workgroup_id_z 0
		.amdhsa_system_sgpr_workgroup_info 0
		.amdhsa_system_vgpr_workitem_id 0
		.amdhsa_next_free_vgpr 1
		.amdhsa_next_free_sgpr 0
		.amdhsa_reserve_vcc 0
		.amdhsa_reserve_flat_scratch 0
		.amdhsa_float_round_mode_32 0
		.amdhsa_float_round_mode_16_64 0
		.amdhsa_float_denorm_mode_32 3
		.amdhsa_float_denorm_mode_16_64 3
		.amdhsa_dx10_clamp 1
		.amdhsa_ieee_mode 1
		.amdhsa_fp16_overflow 0
		.amdhsa_exception_fp_ieee_invalid_op 0
		.amdhsa_exception_fp_denorm_src 0
		.amdhsa_exception_fp_ieee_div_zero 0
		.amdhsa_exception_fp_ieee_overflow 0
		.amdhsa_exception_fp_ieee_underflow 0
		.amdhsa_exception_fp_ieee_inexact 0
		.amdhsa_exception_int_div_zero 0
	.end_amdhsa_kernel
	.section	.text._ZN7rocprim17ROCPRIM_400000_NS6detail17trampoline_kernelINS0_13select_configILj256ELj13ELNS0_17block_load_methodE3ELS4_3ELS4_3ELNS0_20block_scan_algorithmE0ELj4294967295EEENS1_25partition_config_selectorILNS1_17partition_subalgoE4EjNS0_10empty_typeEbEEZZNS1_14partition_implILS8_4ELb0ES6_15HIP_vector_typeIjLj2EENS0_17counting_iteratorIjlEEPS9_SG_NS0_5tupleIJPjSI_NS0_16reverse_iteratorISI_EEEEENSH_IJSG_SG_SG_EEES9_SI_JZNS1_25segmented_radix_sort_implINS0_14default_configELb0EPKlPlSQ_SR_N2at6native12_GLOBAL__N_18offset_tEEE10hipError_tPvRmT1_PNSt15iterator_traitsISZ_E10value_typeET2_T3_PNS10_IS15_E10value_typeET4_jRbjT5_S1B_jjP12ihipStream_tbEUljE_ZNSN_ISO_Lb0ESQ_SR_SQ_SR_SV_EESW_SX_SY_SZ_S13_S14_S15_S18_S19_jS1A_jS1B_S1B_jjS1D_bEUljE0_EEESW_SX_SY_S15_S19_S1B_T6_T7_T9_mT8_S1D_bDpT10_ENKUlT_T0_E_clISt17integral_constantIbLb1EES1R_EEDaS1M_S1N_EUlS1M_E_NS1_11comp_targetILNS1_3genE3ELNS1_11target_archE908ELNS1_3gpuE7ELNS1_3repE0EEENS1_30default_config_static_selectorELNS0_4arch9wavefront6targetE1EEEvSZ_,"axG",@progbits,_ZN7rocprim17ROCPRIM_400000_NS6detail17trampoline_kernelINS0_13select_configILj256ELj13ELNS0_17block_load_methodE3ELS4_3ELS4_3ELNS0_20block_scan_algorithmE0ELj4294967295EEENS1_25partition_config_selectorILNS1_17partition_subalgoE4EjNS0_10empty_typeEbEEZZNS1_14partition_implILS8_4ELb0ES6_15HIP_vector_typeIjLj2EENS0_17counting_iteratorIjlEEPS9_SG_NS0_5tupleIJPjSI_NS0_16reverse_iteratorISI_EEEEENSH_IJSG_SG_SG_EEES9_SI_JZNS1_25segmented_radix_sort_implINS0_14default_configELb0EPKlPlSQ_SR_N2at6native12_GLOBAL__N_18offset_tEEE10hipError_tPvRmT1_PNSt15iterator_traitsISZ_E10value_typeET2_T3_PNS10_IS15_E10value_typeET4_jRbjT5_S1B_jjP12ihipStream_tbEUljE_ZNSN_ISO_Lb0ESQ_SR_SQ_SR_SV_EESW_SX_SY_SZ_S13_S14_S15_S18_S19_jS1A_jS1B_S1B_jjS1D_bEUljE0_EEESW_SX_SY_S15_S19_S1B_T6_T7_T9_mT8_S1D_bDpT10_ENKUlT_T0_E_clISt17integral_constantIbLb1EES1R_EEDaS1M_S1N_EUlS1M_E_NS1_11comp_targetILNS1_3genE3ELNS1_11target_archE908ELNS1_3gpuE7ELNS1_3repE0EEENS1_30default_config_static_selectorELNS0_4arch9wavefront6targetE1EEEvSZ_,comdat
.Lfunc_end754:
	.size	_ZN7rocprim17ROCPRIM_400000_NS6detail17trampoline_kernelINS0_13select_configILj256ELj13ELNS0_17block_load_methodE3ELS4_3ELS4_3ELNS0_20block_scan_algorithmE0ELj4294967295EEENS1_25partition_config_selectorILNS1_17partition_subalgoE4EjNS0_10empty_typeEbEEZZNS1_14partition_implILS8_4ELb0ES6_15HIP_vector_typeIjLj2EENS0_17counting_iteratorIjlEEPS9_SG_NS0_5tupleIJPjSI_NS0_16reverse_iteratorISI_EEEEENSH_IJSG_SG_SG_EEES9_SI_JZNS1_25segmented_radix_sort_implINS0_14default_configELb0EPKlPlSQ_SR_N2at6native12_GLOBAL__N_18offset_tEEE10hipError_tPvRmT1_PNSt15iterator_traitsISZ_E10value_typeET2_T3_PNS10_IS15_E10value_typeET4_jRbjT5_S1B_jjP12ihipStream_tbEUljE_ZNSN_ISO_Lb0ESQ_SR_SQ_SR_SV_EESW_SX_SY_SZ_S13_S14_S15_S18_S19_jS1A_jS1B_S1B_jjS1D_bEUljE0_EEESW_SX_SY_S15_S19_S1B_T6_T7_T9_mT8_S1D_bDpT10_ENKUlT_T0_E_clISt17integral_constantIbLb1EES1R_EEDaS1M_S1N_EUlS1M_E_NS1_11comp_targetILNS1_3genE3ELNS1_11target_archE908ELNS1_3gpuE7ELNS1_3repE0EEENS1_30default_config_static_selectorELNS0_4arch9wavefront6targetE1EEEvSZ_, .Lfunc_end754-_ZN7rocprim17ROCPRIM_400000_NS6detail17trampoline_kernelINS0_13select_configILj256ELj13ELNS0_17block_load_methodE3ELS4_3ELS4_3ELNS0_20block_scan_algorithmE0ELj4294967295EEENS1_25partition_config_selectorILNS1_17partition_subalgoE4EjNS0_10empty_typeEbEEZZNS1_14partition_implILS8_4ELb0ES6_15HIP_vector_typeIjLj2EENS0_17counting_iteratorIjlEEPS9_SG_NS0_5tupleIJPjSI_NS0_16reverse_iteratorISI_EEEEENSH_IJSG_SG_SG_EEES9_SI_JZNS1_25segmented_radix_sort_implINS0_14default_configELb0EPKlPlSQ_SR_N2at6native12_GLOBAL__N_18offset_tEEE10hipError_tPvRmT1_PNSt15iterator_traitsISZ_E10value_typeET2_T3_PNS10_IS15_E10value_typeET4_jRbjT5_S1B_jjP12ihipStream_tbEUljE_ZNSN_ISO_Lb0ESQ_SR_SQ_SR_SV_EESW_SX_SY_SZ_S13_S14_S15_S18_S19_jS1A_jS1B_S1B_jjS1D_bEUljE0_EEESW_SX_SY_S15_S19_S1B_T6_T7_T9_mT8_S1D_bDpT10_ENKUlT_T0_E_clISt17integral_constantIbLb1EES1R_EEDaS1M_S1N_EUlS1M_E_NS1_11comp_targetILNS1_3genE3ELNS1_11target_archE908ELNS1_3gpuE7ELNS1_3repE0EEENS1_30default_config_static_selectorELNS0_4arch9wavefront6targetE1EEEvSZ_
                                        ; -- End function
	.set _ZN7rocprim17ROCPRIM_400000_NS6detail17trampoline_kernelINS0_13select_configILj256ELj13ELNS0_17block_load_methodE3ELS4_3ELS4_3ELNS0_20block_scan_algorithmE0ELj4294967295EEENS1_25partition_config_selectorILNS1_17partition_subalgoE4EjNS0_10empty_typeEbEEZZNS1_14partition_implILS8_4ELb0ES6_15HIP_vector_typeIjLj2EENS0_17counting_iteratorIjlEEPS9_SG_NS0_5tupleIJPjSI_NS0_16reverse_iteratorISI_EEEEENSH_IJSG_SG_SG_EEES9_SI_JZNS1_25segmented_radix_sort_implINS0_14default_configELb0EPKlPlSQ_SR_N2at6native12_GLOBAL__N_18offset_tEEE10hipError_tPvRmT1_PNSt15iterator_traitsISZ_E10value_typeET2_T3_PNS10_IS15_E10value_typeET4_jRbjT5_S1B_jjP12ihipStream_tbEUljE_ZNSN_ISO_Lb0ESQ_SR_SQ_SR_SV_EESW_SX_SY_SZ_S13_S14_S15_S18_S19_jS1A_jS1B_S1B_jjS1D_bEUljE0_EEESW_SX_SY_S15_S19_S1B_T6_T7_T9_mT8_S1D_bDpT10_ENKUlT_T0_E_clISt17integral_constantIbLb1EES1R_EEDaS1M_S1N_EUlS1M_E_NS1_11comp_targetILNS1_3genE3ELNS1_11target_archE908ELNS1_3gpuE7ELNS1_3repE0EEENS1_30default_config_static_selectorELNS0_4arch9wavefront6targetE1EEEvSZ_.num_vgpr, 0
	.set _ZN7rocprim17ROCPRIM_400000_NS6detail17trampoline_kernelINS0_13select_configILj256ELj13ELNS0_17block_load_methodE3ELS4_3ELS4_3ELNS0_20block_scan_algorithmE0ELj4294967295EEENS1_25partition_config_selectorILNS1_17partition_subalgoE4EjNS0_10empty_typeEbEEZZNS1_14partition_implILS8_4ELb0ES6_15HIP_vector_typeIjLj2EENS0_17counting_iteratorIjlEEPS9_SG_NS0_5tupleIJPjSI_NS0_16reverse_iteratorISI_EEEEENSH_IJSG_SG_SG_EEES9_SI_JZNS1_25segmented_radix_sort_implINS0_14default_configELb0EPKlPlSQ_SR_N2at6native12_GLOBAL__N_18offset_tEEE10hipError_tPvRmT1_PNSt15iterator_traitsISZ_E10value_typeET2_T3_PNS10_IS15_E10value_typeET4_jRbjT5_S1B_jjP12ihipStream_tbEUljE_ZNSN_ISO_Lb0ESQ_SR_SQ_SR_SV_EESW_SX_SY_SZ_S13_S14_S15_S18_S19_jS1A_jS1B_S1B_jjS1D_bEUljE0_EEESW_SX_SY_S15_S19_S1B_T6_T7_T9_mT8_S1D_bDpT10_ENKUlT_T0_E_clISt17integral_constantIbLb1EES1R_EEDaS1M_S1N_EUlS1M_E_NS1_11comp_targetILNS1_3genE3ELNS1_11target_archE908ELNS1_3gpuE7ELNS1_3repE0EEENS1_30default_config_static_selectorELNS0_4arch9wavefront6targetE1EEEvSZ_.num_agpr, 0
	.set _ZN7rocprim17ROCPRIM_400000_NS6detail17trampoline_kernelINS0_13select_configILj256ELj13ELNS0_17block_load_methodE3ELS4_3ELS4_3ELNS0_20block_scan_algorithmE0ELj4294967295EEENS1_25partition_config_selectorILNS1_17partition_subalgoE4EjNS0_10empty_typeEbEEZZNS1_14partition_implILS8_4ELb0ES6_15HIP_vector_typeIjLj2EENS0_17counting_iteratorIjlEEPS9_SG_NS0_5tupleIJPjSI_NS0_16reverse_iteratorISI_EEEEENSH_IJSG_SG_SG_EEES9_SI_JZNS1_25segmented_radix_sort_implINS0_14default_configELb0EPKlPlSQ_SR_N2at6native12_GLOBAL__N_18offset_tEEE10hipError_tPvRmT1_PNSt15iterator_traitsISZ_E10value_typeET2_T3_PNS10_IS15_E10value_typeET4_jRbjT5_S1B_jjP12ihipStream_tbEUljE_ZNSN_ISO_Lb0ESQ_SR_SQ_SR_SV_EESW_SX_SY_SZ_S13_S14_S15_S18_S19_jS1A_jS1B_S1B_jjS1D_bEUljE0_EEESW_SX_SY_S15_S19_S1B_T6_T7_T9_mT8_S1D_bDpT10_ENKUlT_T0_E_clISt17integral_constantIbLb1EES1R_EEDaS1M_S1N_EUlS1M_E_NS1_11comp_targetILNS1_3genE3ELNS1_11target_archE908ELNS1_3gpuE7ELNS1_3repE0EEENS1_30default_config_static_selectorELNS0_4arch9wavefront6targetE1EEEvSZ_.numbered_sgpr, 0
	.set _ZN7rocprim17ROCPRIM_400000_NS6detail17trampoline_kernelINS0_13select_configILj256ELj13ELNS0_17block_load_methodE3ELS4_3ELS4_3ELNS0_20block_scan_algorithmE0ELj4294967295EEENS1_25partition_config_selectorILNS1_17partition_subalgoE4EjNS0_10empty_typeEbEEZZNS1_14partition_implILS8_4ELb0ES6_15HIP_vector_typeIjLj2EENS0_17counting_iteratorIjlEEPS9_SG_NS0_5tupleIJPjSI_NS0_16reverse_iteratorISI_EEEEENSH_IJSG_SG_SG_EEES9_SI_JZNS1_25segmented_radix_sort_implINS0_14default_configELb0EPKlPlSQ_SR_N2at6native12_GLOBAL__N_18offset_tEEE10hipError_tPvRmT1_PNSt15iterator_traitsISZ_E10value_typeET2_T3_PNS10_IS15_E10value_typeET4_jRbjT5_S1B_jjP12ihipStream_tbEUljE_ZNSN_ISO_Lb0ESQ_SR_SQ_SR_SV_EESW_SX_SY_SZ_S13_S14_S15_S18_S19_jS1A_jS1B_S1B_jjS1D_bEUljE0_EEESW_SX_SY_S15_S19_S1B_T6_T7_T9_mT8_S1D_bDpT10_ENKUlT_T0_E_clISt17integral_constantIbLb1EES1R_EEDaS1M_S1N_EUlS1M_E_NS1_11comp_targetILNS1_3genE3ELNS1_11target_archE908ELNS1_3gpuE7ELNS1_3repE0EEENS1_30default_config_static_selectorELNS0_4arch9wavefront6targetE1EEEvSZ_.num_named_barrier, 0
	.set _ZN7rocprim17ROCPRIM_400000_NS6detail17trampoline_kernelINS0_13select_configILj256ELj13ELNS0_17block_load_methodE3ELS4_3ELS4_3ELNS0_20block_scan_algorithmE0ELj4294967295EEENS1_25partition_config_selectorILNS1_17partition_subalgoE4EjNS0_10empty_typeEbEEZZNS1_14partition_implILS8_4ELb0ES6_15HIP_vector_typeIjLj2EENS0_17counting_iteratorIjlEEPS9_SG_NS0_5tupleIJPjSI_NS0_16reverse_iteratorISI_EEEEENSH_IJSG_SG_SG_EEES9_SI_JZNS1_25segmented_radix_sort_implINS0_14default_configELb0EPKlPlSQ_SR_N2at6native12_GLOBAL__N_18offset_tEEE10hipError_tPvRmT1_PNSt15iterator_traitsISZ_E10value_typeET2_T3_PNS10_IS15_E10value_typeET4_jRbjT5_S1B_jjP12ihipStream_tbEUljE_ZNSN_ISO_Lb0ESQ_SR_SQ_SR_SV_EESW_SX_SY_SZ_S13_S14_S15_S18_S19_jS1A_jS1B_S1B_jjS1D_bEUljE0_EEESW_SX_SY_S15_S19_S1B_T6_T7_T9_mT8_S1D_bDpT10_ENKUlT_T0_E_clISt17integral_constantIbLb1EES1R_EEDaS1M_S1N_EUlS1M_E_NS1_11comp_targetILNS1_3genE3ELNS1_11target_archE908ELNS1_3gpuE7ELNS1_3repE0EEENS1_30default_config_static_selectorELNS0_4arch9wavefront6targetE1EEEvSZ_.private_seg_size, 0
	.set _ZN7rocprim17ROCPRIM_400000_NS6detail17trampoline_kernelINS0_13select_configILj256ELj13ELNS0_17block_load_methodE3ELS4_3ELS4_3ELNS0_20block_scan_algorithmE0ELj4294967295EEENS1_25partition_config_selectorILNS1_17partition_subalgoE4EjNS0_10empty_typeEbEEZZNS1_14partition_implILS8_4ELb0ES6_15HIP_vector_typeIjLj2EENS0_17counting_iteratorIjlEEPS9_SG_NS0_5tupleIJPjSI_NS0_16reverse_iteratorISI_EEEEENSH_IJSG_SG_SG_EEES9_SI_JZNS1_25segmented_radix_sort_implINS0_14default_configELb0EPKlPlSQ_SR_N2at6native12_GLOBAL__N_18offset_tEEE10hipError_tPvRmT1_PNSt15iterator_traitsISZ_E10value_typeET2_T3_PNS10_IS15_E10value_typeET4_jRbjT5_S1B_jjP12ihipStream_tbEUljE_ZNSN_ISO_Lb0ESQ_SR_SQ_SR_SV_EESW_SX_SY_SZ_S13_S14_S15_S18_S19_jS1A_jS1B_S1B_jjS1D_bEUljE0_EEESW_SX_SY_S15_S19_S1B_T6_T7_T9_mT8_S1D_bDpT10_ENKUlT_T0_E_clISt17integral_constantIbLb1EES1R_EEDaS1M_S1N_EUlS1M_E_NS1_11comp_targetILNS1_3genE3ELNS1_11target_archE908ELNS1_3gpuE7ELNS1_3repE0EEENS1_30default_config_static_selectorELNS0_4arch9wavefront6targetE1EEEvSZ_.uses_vcc, 0
	.set _ZN7rocprim17ROCPRIM_400000_NS6detail17trampoline_kernelINS0_13select_configILj256ELj13ELNS0_17block_load_methodE3ELS4_3ELS4_3ELNS0_20block_scan_algorithmE0ELj4294967295EEENS1_25partition_config_selectorILNS1_17partition_subalgoE4EjNS0_10empty_typeEbEEZZNS1_14partition_implILS8_4ELb0ES6_15HIP_vector_typeIjLj2EENS0_17counting_iteratorIjlEEPS9_SG_NS0_5tupleIJPjSI_NS0_16reverse_iteratorISI_EEEEENSH_IJSG_SG_SG_EEES9_SI_JZNS1_25segmented_radix_sort_implINS0_14default_configELb0EPKlPlSQ_SR_N2at6native12_GLOBAL__N_18offset_tEEE10hipError_tPvRmT1_PNSt15iterator_traitsISZ_E10value_typeET2_T3_PNS10_IS15_E10value_typeET4_jRbjT5_S1B_jjP12ihipStream_tbEUljE_ZNSN_ISO_Lb0ESQ_SR_SQ_SR_SV_EESW_SX_SY_SZ_S13_S14_S15_S18_S19_jS1A_jS1B_S1B_jjS1D_bEUljE0_EEESW_SX_SY_S15_S19_S1B_T6_T7_T9_mT8_S1D_bDpT10_ENKUlT_T0_E_clISt17integral_constantIbLb1EES1R_EEDaS1M_S1N_EUlS1M_E_NS1_11comp_targetILNS1_3genE3ELNS1_11target_archE908ELNS1_3gpuE7ELNS1_3repE0EEENS1_30default_config_static_selectorELNS0_4arch9wavefront6targetE1EEEvSZ_.uses_flat_scratch, 0
	.set _ZN7rocprim17ROCPRIM_400000_NS6detail17trampoline_kernelINS0_13select_configILj256ELj13ELNS0_17block_load_methodE3ELS4_3ELS4_3ELNS0_20block_scan_algorithmE0ELj4294967295EEENS1_25partition_config_selectorILNS1_17partition_subalgoE4EjNS0_10empty_typeEbEEZZNS1_14partition_implILS8_4ELb0ES6_15HIP_vector_typeIjLj2EENS0_17counting_iteratorIjlEEPS9_SG_NS0_5tupleIJPjSI_NS0_16reverse_iteratorISI_EEEEENSH_IJSG_SG_SG_EEES9_SI_JZNS1_25segmented_radix_sort_implINS0_14default_configELb0EPKlPlSQ_SR_N2at6native12_GLOBAL__N_18offset_tEEE10hipError_tPvRmT1_PNSt15iterator_traitsISZ_E10value_typeET2_T3_PNS10_IS15_E10value_typeET4_jRbjT5_S1B_jjP12ihipStream_tbEUljE_ZNSN_ISO_Lb0ESQ_SR_SQ_SR_SV_EESW_SX_SY_SZ_S13_S14_S15_S18_S19_jS1A_jS1B_S1B_jjS1D_bEUljE0_EEESW_SX_SY_S15_S19_S1B_T6_T7_T9_mT8_S1D_bDpT10_ENKUlT_T0_E_clISt17integral_constantIbLb1EES1R_EEDaS1M_S1N_EUlS1M_E_NS1_11comp_targetILNS1_3genE3ELNS1_11target_archE908ELNS1_3gpuE7ELNS1_3repE0EEENS1_30default_config_static_selectorELNS0_4arch9wavefront6targetE1EEEvSZ_.has_dyn_sized_stack, 0
	.set _ZN7rocprim17ROCPRIM_400000_NS6detail17trampoline_kernelINS0_13select_configILj256ELj13ELNS0_17block_load_methodE3ELS4_3ELS4_3ELNS0_20block_scan_algorithmE0ELj4294967295EEENS1_25partition_config_selectorILNS1_17partition_subalgoE4EjNS0_10empty_typeEbEEZZNS1_14partition_implILS8_4ELb0ES6_15HIP_vector_typeIjLj2EENS0_17counting_iteratorIjlEEPS9_SG_NS0_5tupleIJPjSI_NS0_16reverse_iteratorISI_EEEEENSH_IJSG_SG_SG_EEES9_SI_JZNS1_25segmented_radix_sort_implINS0_14default_configELb0EPKlPlSQ_SR_N2at6native12_GLOBAL__N_18offset_tEEE10hipError_tPvRmT1_PNSt15iterator_traitsISZ_E10value_typeET2_T3_PNS10_IS15_E10value_typeET4_jRbjT5_S1B_jjP12ihipStream_tbEUljE_ZNSN_ISO_Lb0ESQ_SR_SQ_SR_SV_EESW_SX_SY_SZ_S13_S14_S15_S18_S19_jS1A_jS1B_S1B_jjS1D_bEUljE0_EEESW_SX_SY_S15_S19_S1B_T6_T7_T9_mT8_S1D_bDpT10_ENKUlT_T0_E_clISt17integral_constantIbLb1EES1R_EEDaS1M_S1N_EUlS1M_E_NS1_11comp_targetILNS1_3genE3ELNS1_11target_archE908ELNS1_3gpuE7ELNS1_3repE0EEENS1_30default_config_static_selectorELNS0_4arch9wavefront6targetE1EEEvSZ_.has_recursion, 0
	.set _ZN7rocprim17ROCPRIM_400000_NS6detail17trampoline_kernelINS0_13select_configILj256ELj13ELNS0_17block_load_methodE3ELS4_3ELS4_3ELNS0_20block_scan_algorithmE0ELj4294967295EEENS1_25partition_config_selectorILNS1_17partition_subalgoE4EjNS0_10empty_typeEbEEZZNS1_14partition_implILS8_4ELb0ES6_15HIP_vector_typeIjLj2EENS0_17counting_iteratorIjlEEPS9_SG_NS0_5tupleIJPjSI_NS0_16reverse_iteratorISI_EEEEENSH_IJSG_SG_SG_EEES9_SI_JZNS1_25segmented_radix_sort_implINS0_14default_configELb0EPKlPlSQ_SR_N2at6native12_GLOBAL__N_18offset_tEEE10hipError_tPvRmT1_PNSt15iterator_traitsISZ_E10value_typeET2_T3_PNS10_IS15_E10value_typeET4_jRbjT5_S1B_jjP12ihipStream_tbEUljE_ZNSN_ISO_Lb0ESQ_SR_SQ_SR_SV_EESW_SX_SY_SZ_S13_S14_S15_S18_S19_jS1A_jS1B_S1B_jjS1D_bEUljE0_EEESW_SX_SY_S15_S19_S1B_T6_T7_T9_mT8_S1D_bDpT10_ENKUlT_T0_E_clISt17integral_constantIbLb1EES1R_EEDaS1M_S1N_EUlS1M_E_NS1_11comp_targetILNS1_3genE3ELNS1_11target_archE908ELNS1_3gpuE7ELNS1_3repE0EEENS1_30default_config_static_selectorELNS0_4arch9wavefront6targetE1EEEvSZ_.has_indirect_call, 0
	.section	.AMDGPU.csdata,"",@progbits
; Kernel info:
; codeLenInByte = 0
; TotalNumSgprs: 4
; NumVgprs: 0
; ScratchSize: 0
; MemoryBound: 0
; FloatMode: 240
; IeeeMode: 1
; LDSByteSize: 0 bytes/workgroup (compile time only)
; SGPRBlocks: 0
; VGPRBlocks: 0
; NumSGPRsForWavesPerEU: 4
; NumVGPRsForWavesPerEU: 1
; Occupancy: 10
; WaveLimiterHint : 0
; COMPUTE_PGM_RSRC2:SCRATCH_EN: 0
; COMPUTE_PGM_RSRC2:USER_SGPR: 6
; COMPUTE_PGM_RSRC2:TRAP_HANDLER: 0
; COMPUTE_PGM_RSRC2:TGID_X_EN: 1
; COMPUTE_PGM_RSRC2:TGID_Y_EN: 0
; COMPUTE_PGM_RSRC2:TGID_Z_EN: 0
; COMPUTE_PGM_RSRC2:TIDIG_COMP_CNT: 0
	.section	.text._ZN7rocprim17ROCPRIM_400000_NS6detail17trampoline_kernelINS0_13select_configILj256ELj13ELNS0_17block_load_methodE3ELS4_3ELS4_3ELNS0_20block_scan_algorithmE0ELj4294967295EEENS1_25partition_config_selectorILNS1_17partition_subalgoE4EjNS0_10empty_typeEbEEZZNS1_14partition_implILS8_4ELb0ES6_15HIP_vector_typeIjLj2EENS0_17counting_iteratorIjlEEPS9_SG_NS0_5tupleIJPjSI_NS0_16reverse_iteratorISI_EEEEENSH_IJSG_SG_SG_EEES9_SI_JZNS1_25segmented_radix_sort_implINS0_14default_configELb0EPKlPlSQ_SR_N2at6native12_GLOBAL__N_18offset_tEEE10hipError_tPvRmT1_PNSt15iterator_traitsISZ_E10value_typeET2_T3_PNS10_IS15_E10value_typeET4_jRbjT5_S1B_jjP12ihipStream_tbEUljE_ZNSN_ISO_Lb0ESQ_SR_SQ_SR_SV_EESW_SX_SY_SZ_S13_S14_S15_S18_S19_jS1A_jS1B_S1B_jjS1D_bEUljE0_EEESW_SX_SY_S15_S19_S1B_T6_T7_T9_mT8_S1D_bDpT10_ENKUlT_T0_E_clISt17integral_constantIbLb1EES1R_EEDaS1M_S1N_EUlS1M_E_NS1_11comp_targetILNS1_3genE2ELNS1_11target_archE906ELNS1_3gpuE6ELNS1_3repE0EEENS1_30default_config_static_selectorELNS0_4arch9wavefront6targetE1EEEvSZ_,"axG",@progbits,_ZN7rocprim17ROCPRIM_400000_NS6detail17trampoline_kernelINS0_13select_configILj256ELj13ELNS0_17block_load_methodE3ELS4_3ELS4_3ELNS0_20block_scan_algorithmE0ELj4294967295EEENS1_25partition_config_selectorILNS1_17partition_subalgoE4EjNS0_10empty_typeEbEEZZNS1_14partition_implILS8_4ELb0ES6_15HIP_vector_typeIjLj2EENS0_17counting_iteratorIjlEEPS9_SG_NS0_5tupleIJPjSI_NS0_16reverse_iteratorISI_EEEEENSH_IJSG_SG_SG_EEES9_SI_JZNS1_25segmented_radix_sort_implINS0_14default_configELb0EPKlPlSQ_SR_N2at6native12_GLOBAL__N_18offset_tEEE10hipError_tPvRmT1_PNSt15iterator_traitsISZ_E10value_typeET2_T3_PNS10_IS15_E10value_typeET4_jRbjT5_S1B_jjP12ihipStream_tbEUljE_ZNSN_ISO_Lb0ESQ_SR_SQ_SR_SV_EESW_SX_SY_SZ_S13_S14_S15_S18_S19_jS1A_jS1B_S1B_jjS1D_bEUljE0_EEESW_SX_SY_S15_S19_S1B_T6_T7_T9_mT8_S1D_bDpT10_ENKUlT_T0_E_clISt17integral_constantIbLb1EES1R_EEDaS1M_S1N_EUlS1M_E_NS1_11comp_targetILNS1_3genE2ELNS1_11target_archE906ELNS1_3gpuE6ELNS1_3repE0EEENS1_30default_config_static_selectorELNS0_4arch9wavefront6targetE1EEEvSZ_,comdat
	.globl	_ZN7rocprim17ROCPRIM_400000_NS6detail17trampoline_kernelINS0_13select_configILj256ELj13ELNS0_17block_load_methodE3ELS4_3ELS4_3ELNS0_20block_scan_algorithmE0ELj4294967295EEENS1_25partition_config_selectorILNS1_17partition_subalgoE4EjNS0_10empty_typeEbEEZZNS1_14partition_implILS8_4ELb0ES6_15HIP_vector_typeIjLj2EENS0_17counting_iteratorIjlEEPS9_SG_NS0_5tupleIJPjSI_NS0_16reverse_iteratorISI_EEEEENSH_IJSG_SG_SG_EEES9_SI_JZNS1_25segmented_radix_sort_implINS0_14default_configELb0EPKlPlSQ_SR_N2at6native12_GLOBAL__N_18offset_tEEE10hipError_tPvRmT1_PNSt15iterator_traitsISZ_E10value_typeET2_T3_PNS10_IS15_E10value_typeET4_jRbjT5_S1B_jjP12ihipStream_tbEUljE_ZNSN_ISO_Lb0ESQ_SR_SQ_SR_SV_EESW_SX_SY_SZ_S13_S14_S15_S18_S19_jS1A_jS1B_S1B_jjS1D_bEUljE0_EEESW_SX_SY_S15_S19_S1B_T6_T7_T9_mT8_S1D_bDpT10_ENKUlT_T0_E_clISt17integral_constantIbLb1EES1R_EEDaS1M_S1N_EUlS1M_E_NS1_11comp_targetILNS1_3genE2ELNS1_11target_archE906ELNS1_3gpuE6ELNS1_3repE0EEENS1_30default_config_static_selectorELNS0_4arch9wavefront6targetE1EEEvSZ_ ; -- Begin function _ZN7rocprim17ROCPRIM_400000_NS6detail17trampoline_kernelINS0_13select_configILj256ELj13ELNS0_17block_load_methodE3ELS4_3ELS4_3ELNS0_20block_scan_algorithmE0ELj4294967295EEENS1_25partition_config_selectorILNS1_17partition_subalgoE4EjNS0_10empty_typeEbEEZZNS1_14partition_implILS8_4ELb0ES6_15HIP_vector_typeIjLj2EENS0_17counting_iteratorIjlEEPS9_SG_NS0_5tupleIJPjSI_NS0_16reverse_iteratorISI_EEEEENSH_IJSG_SG_SG_EEES9_SI_JZNS1_25segmented_radix_sort_implINS0_14default_configELb0EPKlPlSQ_SR_N2at6native12_GLOBAL__N_18offset_tEEE10hipError_tPvRmT1_PNSt15iterator_traitsISZ_E10value_typeET2_T3_PNS10_IS15_E10value_typeET4_jRbjT5_S1B_jjP12ihipStream_tbEUljE_ZNSN_ISO_Lb0ESQ_SR_SQ_SR_SV_EESW_SX_SY_SZ_S13_S14_S15_S18_S19_jS1A_jS1B_S1B_jjS1D_bEUljE0_EEESW_SX_SY_S15_S19_S1B_T6_T7_T9_mT8_S1D_bDpT10_ENKUlT_T0_E_clISt17integral_constantIbLb1EES1R_EEDaS1M_S1N_EUlS1M_E_NS1_11comp_targetILNS1_3genE2ELNS1_11target_archE906ELNS1_3gpuE6ELNS1_3repE0EEENS1_30default_config_static_selectorELNS0_4arch9wavefront6targetE1EEEvSZ_
	.p2align	8
	.type	_ZN7rocprim17ROCPRIM_400000_NS6detail17trampoline_kernelINS0_13select_configILj256ELj13ELNS0_17block_load_methodE3ELS4_3ELS4_3ELNS0_20block_scan_algorithmE0ELj4294967295EEENS1_25partition_config_selectorILNS1_17partition_subalgoE4EjNS0_10empty_typeEbEEZZNS1_14partition_implILS8_4ELb0ES6_15HIP_vector_typeIjLj2EENS0_17counting_iteratorIjlEEPS9_SG_NS0_5tupleIJPjSI_NS0_16reverse_iteratorISI_EEEEENSH_IJSG_SG_SG_EEES9_SI_JZNS1_25segmented_radix_sort_implINS0_14default_configELb0EPKlPlSQ_SR_N2at6native12_GLOBAL__N_18offset_tEEE10hipError_tPvRmT1_PNSt15iterator_traitsISZ_E10value_typeET2_T3_PNS10_IS15_E10value_typeET4_jRbjT5_S1B_jjP12ihipStream_tbEUljE_ZNSN_ISO_Lb0ESQ_SR_SQ_SR_SV_EESW_SX_SY_SZ_S13_S14_S15_S18_S19_jS1A_jS1B_S1B_jjS1D_bEUljE0_EEESW_SX_SY_S15_S19_S1B_T6_T7_T9_mT8_S1D_bDpT10_ENKUlT_T0_E_clISt17integral_constantIbLb1EES1R_EEDaS1M_S1N_EUlS1M_E_NS1_11comp_targetILNS1_3genE2ELNS1_11target_archE906ELNS1_3gpuE6ELNS1_3repE0EEENS1_30default_config_static_selectorELNS0_4arch9wavefront6targetE1EEEvSZ_,@function
_ZN7rocprim17ROCPRIM_400000_NS6detail17trampoline_kernelINS0_13select_configILj256ELj13ELNS0_17block_load_methodE3ELS4_3ELS4_3ELNS0_20block_scan_algorithmE0ELj4294967295EEENS1_25partition_config_selectorILNS1_17partition_subalgoE4EjNS0_10empty_typeEbEEZZNS1_14partition_implILS8_4ELb0ES6_15HIP_vector_typeIjLj2EENS0_17counting_iteratorIjlEEPS9_SG_NS0_5tupleIJPjSI_NS0_16reverse_iteratorISI_EEEEENSH_IJSG_SG_SG_EEES9_SI_JZNS1_25segmented_radix_sort_implINS0_14default_configELb0EPKlPlSQ_SR_N2at6native12_GLOBAL__N_18offset_tEEE10hipError_tPvRmT1_PNSt15iterator_traitsISZ_E10value_typeET2_T3_PNS10_IS15_E10value_typeET4_jRbjT5_S1B_jjP12ihipStream_tbEUljE_ZNSN_ISO_Lb0ESQ_SR_SQ_SR_SV_EESW_SX_SY_SZ_S13_S14_S15_S18_S19_jS1A_jS1B_S1B_jjS1D_bEUljE0_EEESW_SX_SY_S15_S19_S1B_T6_T7_T9_mT8_S1D_bDpT10_ENKUlT_T0_E_clISt17integral_constantIbLb1EES1R_EEDaS1M_S1N_EUlS1M_E_NS1_11comp_targetILNS1_3genE2ELNS1_11target_archE906ELNS1_3gpuE6ELNS1_3repE0EEENS1_30default_config_static_selectorELNS0_4arch9wavefront6targetE1EEEvSZ_: ; @_ZN7rocprim17ROCPRIM_400000_NS6detail17trampoline_kernelINS0_13select_configILj256ELj13ELNS0_17block_load_methodE3ELS4_3ELS4_3ELNS0_20block_scan_algorithmE0ELj4294967295EEENS1_25partition_config_selectorILNS1_17partition_subalgoE4EjNS0_10empty_typeEbEEZZNS1_14partition_implILS8_4ELb0ES6_15HIP_vector_typeIjLj2EENS0_17counting_iteratorIjlEEPS9_SG_NS0_5tupleIJPjSI_NS0_16reverse_iteratorISI_EEEEENSH_IJSG_SG_SG_EEES9_SI_JZNS1_25segmented_radix_sort_implINS0_14default_configELb0EPKlPlSQ_SR_N2at6native12_GLOBAL__N_18offset_tEEE10hipError_tPvRmT1_PNSt15iterator_traitsISZ_E10value_typeET2_T3_PNS10_IS15_E10value_typeET4_jRbjT5_S1B_jjP12ihipStream_tbEUljE_ZNSN_ISO_Lb0ESQ_SR_SQ_SR_SV_EESW_SX_SY_SZ_S13_S14_S15_S18_S19_jS1A_jS1B_S1B_jjS1D_bEUljE0_EEESW_SX_SY_S15_S19_S1B_T6_T7_T9_mT8_S1D_bDpT10_ENKUlT_T0_E_clISt17integral_constantIbLb1EES1R_EEDaS1M_S1N_EUlS1M_E_NS1_11comp_targetILNS1_3genE2ELNS1_11target_archE906ELNS1_3gpuE6ELNS1_3repE0EEENS1_30default_config_static_selectorELNS0_4arch9wavefront6targetE1EEEvSZ_
; %bb.0:
	s_endpgm
	.section	.rodata,"a",@progbits
	.p2align	6, 0x0
	.amdhsa_kernel _ZN7rocprim17ROCPRIM_400000_NS6detail17trampoline_kernelINS0_13select_configILj256ELj13ELNS0_17block_load_methodE3ELS4_3ELS4_3ELNS0_20block_scan_algorithmE0ELj4294967295EEENS1_25partition_config_selectorILNS1_17partition_subalgoE4EjNS0_10empty_typeEbEEZZNS1_14partition_implILS8_4ELb0ES6_15HIP_vector_typeIjLj2EENS0_17counting_iteratorIjlEEPS9_SG_NS0_5tupleIJPjSI_NS0_16reverse_iteratorISI_EEEEENSH_IJSG_SG_SG_EEES9_SI_JZNS1_25segmented_radix_sort_implINS0_14default_configELb0EPKlPlSQ_SR_N2at6native12_GLOBAL__N_18offset_tEEE10hipError_tPvRmT1_PNSt15iterator_traitsISZ_E10value_typeET2_T3_PNS10_IS15_E10value_typeET4_jRbjT5_S1B_jjP12ihipStream_tbEUljE_ZNSN_ISO_Lb0ESQ_SR_SQ_SR_SV_EESW_SX_SY_SZ_S13_S14_S15_S18_S19_jS1A_jS1B_S1B_jjS1D_bEUljE0_EEESW_SX_SY_S15_S19_S1B_T6_T7_T9_mT8_S1D_bDpT10_ENKUlT_T0_E_clISt17integral_constantIbLb1EES1R_EEDaS1M_S1N_EUlS1M_E_NS1_11comp_targetILNS1_3genE2ELNS1_11target_archE906ELNS1_3gpuE6ELNS1_3repE0EEENS1_30default_config_static_selectorELNS0_4arch9wavefront6targetE1EEEvSZ_
		.amdhsa_group_segment_fixed_size 0
		.amdhsa_private_segment_fixed_size 0
		.amdhsa_kernarg_size 184
		.amdhsa_user_sgpr_count 6
		.amdhsa_user_sgpr_private_segment_buffer 1
		.amdhsa_user_sgpr_dispatch_ptr 0
		.amdhsa_user_sgpr_queue_ptr 0
		.amdhsa_user_sgpr_kernarg_segment_ptr 1
		.amdhsa_user_sgpr_dispatch_id 0
		.amdhsa_user_sgpr_flat_scratch_init 0
		.amdhsa_user_sgpr_private_segment_size 0
		.amdhsa_uses_dynamic_stack 0
		.amdhsa_system_sgpr_private_segment_wavefront_offset 0
		.amdhsa_system_sgpr_workgroup_id_x 1
		.amdhsa_system_sgpr_workgroup_id_y 0
		.amdhsa_system_sgpr_workgroup_id_z 0
		.amdhsa_system_sgpr_workgroup_info 0
		.amdhsa_system_vgpr_workitem_id 0
		.amdhsa_next_free_vgpr 1
		.amdhsa_next_free_sgpr 0
		.amdhsa_reserve_vcc 0
		.amdhsa_reserve_flat_scratch 0
		.amdhsa_float_round_mode_32 0
		.amdhsa_float_round_mode_16_64 0
		.amdhsa_float_denorm_mode_32 3
		.amdhsa_float_denorm_mode_16_64 3
		.amdhsa_dx10_clamp 1
		.amdhsa_ieee_mode 1
		.amdhsa_fp16_overflow 0
		.amdhsa_exception_fp_ieee_invalid_op 0
		.amdhsa_exception_fp_denorm_src 0
		.amdhsa_exception_fp_ieee_div_zero 0
		.amdhsa_exception_fp_ieee_overflow 0
		.amdhsa_exception_fp_ieee_underflow 0
		.amdhsa_exception_fp_ieee_inexact 0
		.amdhsa_exception_int_div_zero 0
	.end_amdhsa_kernel
	.section	.text._ZN7rocprim17ROCPRIM_400000_NS6detail17trampoline_kernelINS0_13select_configILj256ELj13ELNS0_17block_load_methodE3ELS4_3ELS4_3ELNS0_20block_scan_algorithmE0ELj4294967295EEENS1_25partition_config_selectorILNS1_17partition_subalgoE4EjNS0_10empty_typeEbEEZZNS1_14partition_implILS8_4ELb0ES6_15HIP_vector_typeIjLj2EENS0_17counting_iteratorIjlEEPS9_SG_NS0_5tupleIJPjSI_NS0_16reverse_iteratorISI_EEEEENSH_IJSG_SG_SG_EEES9_SI_JZNS1_25segmented_radix_sort_implINS0_14default_configELb0EPKlPlSQ_SR_N2at6native12_GLOBAL__N_18offset_tEEE10hipError_tPvRmT1_PNSt15iterator_traitsISZ_E10value_typeET2_T3_PNS10_IS15_E10value_typeET4_jRbjT5_S1B_jjP12ihipStream_tbEUljE_ZNSN_ISO_Lb0ESQ_SR_SQ_SR_SV_EESW_SX_SY_SZ_S13_S14_S15_S18_S19_jS1A_jS1B_S1B_jjS1D_bEUljE0_EEESW_SX_SY_S15_S19_S1B_T6_T7_T9_mT8_S1D_bDpT10_ENKUlT_T0_E_clISt17integral_constantIbLb1EES1R_EEDaS1M_S1N_EUlS1M_E_NS1_11comp_targetILNS1_3genE2ELNS1_11target_archE906ELNS1_3gpuE6ELNS1_3repE0EEENS1_30default_config_static_selectorELNS0_4arch9wavefront6targetE1EEEvSZ_,"axG",@progbits,_ZN7rocprim17ROCPRIM_400000_NS6detail17trampoline_kernelINS0_13select_configILj256ELj13ELNS0_17block_load_methodE3ELS4_3ELS4_3ELNS0_20block_scan_algorithmE0ELj4294967295EEENS1_25partition_config_selectorILNS1_17partition_subalgoE4EjNS0_10empty_typeEbEEZZNS1_14partition_implILS8_4ELb0ES6_15HIP_vector_typeIjLj2EENS0_17counting_iteratorIjlEEPS9_SG_NS0_5tupleIJPjSI_NS0_16reverse_iteratorISI_EEEEENSH_IJSG_SG_SG_EEES9_SI_JZNS1_25segmented_radix_sort_implINS0_14default_configELb0EPKlPlSQ_SR_N2at6native12_GLOBAL__N_18offset_tEEE10hipError_tPvRmT1_PNSt15iterator_traitsISZ_E10value_typeET2_T3_PNS10_IS15_E10value_typeET4_jRbjT5_S1B_jjP12ihipStream_tbEUljE_ZNSN_ISO_Lb0ESQ_SR_SQ_SR_SV_EESW_SX_SY_SZ_S13_S14_S15_S18_S19_jS1A_jS1B_S1B_jjS1D_bEUljE0_EEESW_SX_SY_S15_S19_S1B_T6_T7_T9_mT8_S1D_bDpT10_ENKUlT_T0_E_clISt17integral_constantIbLb1EES1R_EEDaS1M_S1N_EUlS1M_E_NS1_11comp_targetILNS1_3genE2ELNS1_11target_archE906ELNS1_3gpuE6ELNS1_3repE0EEENS1_30default_config_static_selectorELNS0_4arch9wavefront6targetE1EEEvSZ_,comdat
.Lfunc_end755:
	.size	_ZN7rocprim17ROCPRIM_400000_NS6detail17trampoline_kernelINS0_13select_configILj256ELj13ELNS0_17block_load_methodE3ELS4_3ELS4_3ELNS0_20block_scan_algorithmE0ELj4294967295EEENS1_25partition_config_selectorILNS1_17partition_subalgoE4EjNS0_10empty_typeEbEEZZNS1_14partition_implILS8_4ELb0ES6_15HIP_vector_typeIjLj2EENS0_17counting_iteratorIjlEEPS9_SG_NS0_5tupleIJPjSI_NS0_16reverse_iteratorISI_EEEEENSH_IJSG_SG_SG_EEES9_SI_JZNS1_25segmented_radix_sort_implINS0_14default_configELb0EPKlPlSQ_SR_N2at6native12_GLOBAL__N_18offset_tEEE10hipError_tPvRmT1_PNSt15iterator_traitsISZ_E10value_typeET2_T3_PNS10_IS15_E10value_typeET4_jRbjT5_S1B_jjP12ihipStream_tbEUljE_ZNSN_ISO_Lb0ESQ_SR_SQ_SR_SV_EESW_SX_SY_SZ_S13_S14_S15_S18_S19_jS1A_jS1B_S1B_jjS1D_bEUljE0_EEESW_SX_SY_S15_S19_S1B_T6_T7_T9_mT8_S1D_bDpT10_ENKUlT_T0_E_clISt17integral_constantIbLb1EES1R_EEDaS1M_S1N_EUlS1M_E_NS1_11comp_targetILNS1_3genE2ELNS1_11target_archE906ELNS1_3gpuE6ELNS1_3repE0EEENS1_30default_config_static_selectorELNS0_4arch9wavefront6targetE1EEEvSZ_, .Lfunc_end755-_ZN7rocprim17ROCPRIM_400000_NS6detail17trampoline_kernelINS0_13select_configILj256ELj13ELNS0_17block_load_methodE3ELS4_3ELS4_3ELNS0_20block_scan_algorithmE0ELj4294967295EEENS1_25partition_config_selectorILNS1_17partition_subalgoE4EjNS0_10empty_typeEbEEZZNS1_14partition_implILS8_4ELb0ES6_15HIP_vector_typeIjLj2EENS0_17counting_iteratorIjlEEPS9_SG_NS0_5tupleIJPjSI_NS0_16reverse_iteratorISI_EEEEENSH_IJSG_SG_SG_EEES9_SI_JZNS1_25segmented_radix_sort_implINS0_14default_configELb0EPKlPlSQ_SR_N2at6native12_GLOBAL__N_18offset_tEEE10hipError_tPvRmT1_PNSt15iterator_traitsISZ_E10value_typeET2_T3_PNS10_IS15_E10value_typeET4_jRbjT5_S1B_jjP12ihipStream_tbEUljE_ZNSN_ISO_Lb0ESQ_SR_SQ_SR_SV_EESW_SX_SY_SZ_S13_S14_S15_S18_S19_jS1A_jS1B_S1B_jjS1D_bEUljE0_EEESW_SX_SY_S15_S19_S1B_T6_T7_T9_mT8_S1D_bDpT10_ENKUlT_T0_E_clISt17integral_constantIbLb1EES1R_EEDaS1M_S1N_EUlS1M_E_NS1_11comp_targetILNS1_3genE2ELNS1_11target_archE906ELNS1_3gpuE6ELNS1_3repE0EEENS1_30default_config_static_selectorELNS0_4arch9wavefront6targetE1EEEvSZ_
                                        ; -- End function
	.set _ZN7rocprim17ROCPRIM_400000_NS6detail17trampoline_kernelINS0_13select_configILj256ELj13ELNS0_17block_load_methodE3ELS4_3ELS4_3ELNS0_20block_scan_algorithmE0ELj4294967295EEENS1_25partition_config_selectorILNS1_17partition_subalgoE4EjNS0_10empty_typeEbEEZZNS1_14partition_implILS8_4ELb0ES6_15HIP_vector_typeIjLj2EENS0_17counting_iteratorIjlEEPS9_SG_NS0_5tupleIJPjSI_NS0_16reverse_iteratorISI_EEEEENSH_IJSG_SG_SG_EEES9_SI_JZNS1_25segmented_radix_sort_implINS0_14default_configELb0EPKlPlSQ_SR_N2at6native12_GLOBAL__N_18offset_tEEE10hipError_tPvRmT1_PNSt15iterator_traitsISZ_E10value_typeET2_T3_PNS10_IS15_E10value_typeET4_jRbjT5_S1B_jjP12ihipStream_tbEUljE_ZNSN_ISO_Lb0ESQ_SR_SQ_SR_SV_EESW_SX_SY_SZ_S13_S14_S15_S18_S19_jS1A_jS1B_S1B_jjS1D_bEUljE0_EEESW_SX_SY_S15_S19_S1B_T6_T7_T9_mT8_S1D_bDpT10_ENKUlT_T0_E_clISt17integral_constantIbLb1EES1R_EEDaS1M_S1N_EUlS1M_E_NS1_11comp_targetILNS1_3genE2ELNS1_11target_archE906ELNS1_3gpuE6ELNS1_3repE0EEENS1_30default_config_static_selectorELNS0_4arch9wavefront6targetE1EEEvSZ_.num_vgpr, 0
	.set _ZN7rocprim17ROCPRIM_400000_NS6detail17trampoline_kernelINS0_13select_configILj256ELj13ELNS0_17block_load_methodE3ELS4_3ELS4_3ELNS0_20block_scan_algorithmE0ELj4294967295EEENS1_25partition_config_selectorILNS1_17partition_subalgoE4EjNS0_10empty_typeEbEEZZNS1_14partition_implILS8_4ELb0ES6_15HIP_vector_typeIjLj2EENS0_17counting_iteratorIjlEEPS9_SG_NS0_5tupleIJPjSI_NS0_16reverse_iteratorISI_EEEEENSH_IJSG_SG_SG_EEES9_SI_JZNS1_25segmented_radix_sort_implINS0_14default_configELb0EPKlPlSQ_SR_N2at6native12_GLOBAL__N_18offset_tEEE10hipError_tPvRmT1_PNSt15iterator_traitsISZ_E10value_typeET2_T3_PNS10_IS15_E10value_typeET4_jRbjT5_S1B_jjP12ihipStream_tbEUljE_ZNSN_ISO_Lb0ESQ_SR_SQ_SR_SV_EESW_SX_SY_SZ_S13_S14_S15_S18_S19_jS1A_jS1B_S1B_jjS1D_bEUljE0_EEESW_SX_SY_S15_S19_S1B_T6_T7_T9_mT8_S1D_bDpT10_ENKUlT_T0_E_clISt17integral_constantIbLb1EES1R_EEDaS1M_S1N_EUlS1M_E_NS1_11comp_targetILNS1_3genE2ELNS1_11target_archE906ELNS1_3gpuE6ELNS1_3repE0EEENS1_30default_config_static_selectorELNS0_4arch9wavefront6targetE1EEEvSZ_.num_agpr, 0
	.set _ZN7rocprim17ROCPRIM_400000_NS6detail17trampoline_kernelINS0_13select_configILj256ELj13ELNS0_17block_load_methodE3ELS4_3ELS4_3ELNS0_20block_scan_algorithmE0ELj4294967295EEENS1_25partition_config_selectorILNS1_17partition_subalgoE4EjNS0_10empty_typeEbEEZZNS1_14partition_implILS8_4ELb0ES6_15HIP_vector_typeIjLj2EENS0_17counting_iteratorIjlEEPS9_SG_NS0_5tupleIJPjSI_NS0_16reverse_iteratorISI_EEEEENSH_IJSG_SG_SG_EEES9_SI_JZNS1_25segmented_radix_sort_implINS0_14default_configELb0EPKlPlSQ_SR_N2at6native12_GLOBAL__N_18offset_tEEE10hipError_tPvRmT1_PNSt15iterator_traitsISZ_E10value_typeET2_T3_PNS10_IS15_E10value_typeET4_jRbjT5_S1B_jjP12ihipStream_tbEUljE_ZNSN_ISO_Lb0ESQ_SR_SQ_SR_SV_EESW_SX_SY_SZ_S13_S14_S15_S18_S19_jS1A_jS1B_S1B_jjS1D_bEUljE0_EEESW_SX_SY_S15_S19_S1B_T6_T7_T9_mT8_S1D_bDpT10_ENKUlT_T0_E_clISt17integral_constantIbLb1EES1R_EEDaS1M_S1N_EUlS1M_E_NS1_11comp_targetILNS1_3genE2ELNS1_11target_archE906ELNS1_3gpuE6ELNS1_3repE0EEENS1_30default_config_static_selectorELNS0_4arch9wavefront6targetE1EEEvSZ_.numbered_sgpr, 0
	.set _ZN7rocprim17ROCPRIM_400000_NS6detail17trampoline_kernelINS0_13select_configILj256ELj13ELNS0_17block_load_methodE3ELS4_3ELS4_3ELNS0_20block_scan_algorithmE0ELj4294967295EEENS1_25partition_config_selectorILNS1_17partition_subalgoE4EjNS0_10empty_typeEbEEZZNS1_14partition_implILS8_4ELb0ES6_15HIP_vector_typeIjLj2EENS0_17counting_iteratorIjlEEPS9_SG_NS0_5tupleIJPjSI_NS0_16reverse_iteratorISI_EEEEENSH_IJSG_SG_SG_EEES9_SI_JZNS1_25segmented_radix_sort_implINS0_14default_configELb0EPKlPlSQ_SR_N2at6native12_GLOBAL__N_18offset_tEEE10hipError_tPvRmT1_PNSt15iterator_traitsISZ_E10value_typeET2_T3_PNS10_IS15_E10value_typeET4_jRbjT5_S1B_jjP12ihipStream_tbEUljE_ZNSN_ISO_Lb0ESQ_SR_SQ_SR_SV_EESW_SX_SY_SZ_S13_S14_S15_S18_S19_jS1A_jS1B_S1B_jjS1D_bEUljE0_EEESW_SX_SY_S15_S19_S1B_T6_T7_T9_mT8_S1D_bDpT10_ENKUlT_T0_E_clISt17integral_constantIbLb1EES1R_EEDaS1M_S1N_EUlS1M_E_NS1_11comp_targetILNS1_3genE2ELNS1_11target_archE906ELNS1_3gpuE6ELNS1_3repE0EEENS1_30default_config_static_selectorELNS0_4arch9wavefront6targetE1EEEvSZ_.num_named_barrier, 0
	.set _ZN7rocprim17ROCPRIM_400000_NS6detail17trampoline_kernelINS0_13select_configILj256ELj13ELNS0_17block_load_methodE3ELS4_3ELS4_3ELNS0_20block_scan_algorithmE0ELj4294967295EEENS1_25partition_config_selectorILNS1_17partition_subalgoE4EjNS0_10empty_typeEbEEZZNS1_14partition_implILS8_4ELb0ES6_15HIP_vector_typeIjLj2EENS0_17counting_iteratorIjlEEPS9_SG_NS0_5tupleIJPjSI_NS0_16reverse_iteratorISI_EEEEENSH_IJSG_SG_SG_EEES9_SI_JZNS1_25segmented_radix_sort_implINS0_14default_configELb0EPKlPlSQ_SR_N2at6native12_GLOBAL__N_18offset_tEEE10hipError_tPvRmT1_PNSt15iterator_traitsISZ_E10value_typeET2_T3_PNS10_IS15_E10value_typeET4_jRbjT5_S1B_jjP12ihipStream_tbEUljE_ZNSN_ISO_Lb0ESQ_SR_SQ_SR_SV_EESW_SX_SY_SZ_S13_S14_S15_S18_S19_jS1A_jS1B_S1B_jjS1D_bEUljE0_EEESW_SX_SY_S15_S19_S1B_T6_T7_T9_mT8_S1D_bDpT10_ENKUlT_T0_E_clISt17integral_constantIbLb1EES1R_EEDaS1M_S1N_EUlS1M_E_NS1_11comp_targetILNS1_3genE2ELNS1_11target_archE906ELNS1_3gpuE6ELNS1_3repE0EEENS1_30default_config_static_selectorELNS0_4arch9wavefront6targetE1EEEvSZ_.private_seg_size, 0
	.set _ZN7rocprim17ROCPRIM_400000_NS6detail17trampoline_kernelINS0_13select_configILj256ELj13ELNS0_17block_load_methodE3ELS4_3ELS4_3ELNS0_20block_scan_algorithmE0ELj4294967295EEENS1_25partition_config_selectorILNS1_17partition_subalgoE4EjNS0_10empty_typeEbEEZZNS1_14partition_implILS8_4ELb0ES6_15HIP_vector_typeIjLj2EENS0_17counting_iteratorIjlEEPS9_SG_NS0_5tupleIJPjSI_NS0_16reverse_iteratorISI_EEEEENSH_IJSG_SG_SG_EEES9_SI_JZNS1_25segmented_radix_sort_implINS0_14default_configELb0EPKlPlSQ_SR_N2at6native12_GLOBAL__N_18offset_tEEE10hipError_tPvRmT1_PNSt15iterator_traitsISZ_E10value_typeET2_T3_PNS10_IS15_E10value_typeET4_jRbjT5_S1B_jjP12ihipStream_tbEUljE_ZNSN_ISO_Lb0ESQ_SR_SQ_SR_SV_EESW_SX_SY_SZ_S13_S14_S15_S18_S19_jS1A_jS1B_S1B_jjS1D_bEUljE0_EEESW_SX_SY_S15_S19_S1B_T6_T7_T9_mT8_S1D_bDpT10_ENKUlT_T0_E_clISt17integral_constantIbLb1EES1R_EEDaS1M_S1N_EUlS1M_E_NS1_11comp_targetILNS1_3genE2ELNS1_11target_archE906ELNS1_3gpuE6ELNS1_3repE0EEENS1_30default_config_static_selectorELNS0_4arch9wavefront6targetE1EEEvSZ_.uses_vcc, 0
	.set _ZN7rocprim17ROCPRIM_400000_NS6detail17trampoline_kernelINS0_13select_configILj256ELj13ELNS0_17block_load_methodE3ELS4_3ELS4_3ELNS0_20block_scan_algorithmE0ELj4294967295EEENS1_25partition_config_selectorILNS1_17partition_subalgoE4EjNS0_10empty_typeEbEEZZNS1_14partition_implILS8_4ELb0ES6_15HIP_vector_typeIjLj2EENS0_17counting_iteratorIjlEEPS9_SG_NS0_5tupleIJPjSI_NS0_16reverse_iteratorISI_EEEEENSH_IJSG_SG_SG_EEES9_SI_JZNS1_25segmented_radix_sort_implINS0_14default_configELb0EPKlPlSQ_SR_N2at6native12_GLOBAL__N_18offset_tEEE10hipError_tPvRmT1_PNSt15iterator_traitsISZ_E10value_typeET2_T3_PNS10_IS15_E10value_typeET4_jRbjT5_S1B_jjP12ihipStream_tbEUljE_ZNSN_ISO_Lb0ESQ_SR_SQ_SR_SV_EESW_SX_SY_SZ_S13_S14_S15_S18_S19_jS1A_jS1B_S1B_jjS1D_bEUljE0_EEESW_SX_SY_S15_S19_S1B_T6_T7_T9_mT8_S1D_bDpT10_ENKUlT_T0_E_clISt17integral_constantIbLb1EES1R_EEDaS1M_S1N_EUlS1M_E_NS1_11comp_targetILNS1_3genE2ELNS1_11target_archE906ELNS1_3gpuE6ELNS1_3repE0EEENS1_30default_config_static_selectorELNS0_4arch9wavefront6targetE1EEEvSZ_.uses_flat_scratch, 0
	.set _ZN7rocprim17ROCPRIM_400000_NS6detail17trampoline_kernelINS0_13select_configILj256ELj13ELNS0_17block_load_methodE3ELS4_3ELS4_3ELNS0_20block_scan_algorithmE0ELj4294967295EEENS1_25partition_config_selectorILNS1_17partition_subalgoE4EjNS0_10empty_typeEbEEZZNS1_14partition_implILS8_4ELb0ES6_15HIP_vector_typeIjLj2EENS0_17counting_iteratorIjlEEPS9_SG_NS0_5tupleIJPjSI_NS0_16reverse_iteratorISI_EEEEENSH_IJSG_SG_SG_EEES9_SI_JZNS1_25segmented_radix_sort_implINS0_14default_configELb0EPKlPlSQ_SR_N2at6native12_GLOBAL__N_18offset_tEEE10hipError_tPvRmT1_PNSt15iterator_traitsISZ_E10value_typeET2_T3_PNS10_IS15_E10value_typeET4_jRbjT5_S1B_jjP12ihipStream_tbEUljE_ZNSN_ISO_Lb0ESQ_SR_SQ_SR_SV_EESW_SX_SY_SZ_S13_S14_S15_S18_S19_jS1A_jS1B_S1B_jjS1D_bEUljE0_EEESW_SX_SY_S15_S19_S1B_T6_T7_T9_mT8_S1D_bDpT10_ENKUlT_T0_E_clISt17integral_constantIbLb1EES1R_EEDaS1M_S1N_EUlS1M_E_NS1_11comp_targetILNS1_3genE2ELNS1_11target_archE906ELNS1_3gpuE6ELNS1_3repE0EEENS1_30default_config_static_selectorELNS0_4arch9wavefront6targetE1EEEvSZ_.has_dyn_sized_stack, 0
	.set _ZN7rocprim17ROCPRIM_400000_NS6detail17trampoline_kernelINS0_13select_configILj256ELj13ELNS0_17block_load_methodE3ELS4_3ELS4_3ELNS0_20block_scan_algorithmE0ELj4294967295EEENS1_25partition_config_selectorILNS1_17partition_subalgoE4EjNS0_10empty_typeEbEEZZNS1_14partition_implILS8_4ELb0ES6_15HIP_vector_typeIjLj2EENS0_17counting_iteratorIjlEEPS9_SG_NS0_5tupleIJPjSI_NS0_16reverse_iteratorISI_EEEEENSH_IJSG_SG_SG_EEES9_SI_JZNS1_25segmented_radix_sort_implINS0_14default_configELb0EPKlPlSQ_SR_N2at6native12_GLOBAL__N_18offset_tEEE10hipError_tPvRmT1_PNSt15iterator_traitsISZ_E10value_typeET2_T3_PNS10_IS15_E10value_typeET4_jRbjT5_S1B_jjP12ihipStream_tbEUljE_ZNSN_ISO_Lb0ESQ_SR_SQ_SR_SV_EESW_SX_SY_SZ_S13_S14_S15_S18_S19_jS1A_jS1B_S1B_jjS1D_bEUljE0_EEESW_SX_SY_S15_S19_S1B_T6_T7_T9_mT8_S1D_bDpT10_ENKUlT_T0_E_clISt17integral_constantIbLb1EES1R_EEDaS1M_S1N_EUlS1M_E_NS1_11comp_targetILNS1_3genE2ELNS1_11target_archE906ELNS1_3gpuE6ELNS1_3repE0EEENS1_30default_config_static_selectorELNS0_4arch9wavefront6targetE1EEEvSZ_.has_recursion, 0
	.set _ZN7rocprim17ROCPRIM_400000_NS6detail17trampoline_kernelINS0_13select_configILj256ELj13ELNS0_17block_load_methodE3ELS4_3ELS4_3ELNS0_20block_scan_algorithmE0ELj4294967295EEENS1_25partition_config_selectorILNS1_17partition_subalgoE4EjNS0_10empty_typeEbEEZZNS1_14partition_implILS8_4ELb0ES6_15HIP_vector_typeIjLj2EENS0_17counting_iteratorIjlEEPS9_SG_NS0_5tupleIJPjSI_NS0_16reverse_iteratorISI_EEEEENSH_IJSG_SG_SG_EEES9_SI_JZNS1_25segmented_radix_sort_implINS0_14default_configELb0EPKlPlSQ_SR_N2at6native12_GLOBAL__N_18offset_tEEE10hipError_tPvRmT1_PNSt15iterator_traitsISZ_E10value_typeET2_T3_PNS10_IS15_E10value_typeET4_jRbjT5_S1B_jjP12ihipStream_tbEUljE_ZNSN_ISO_Lb0ESQ_SR_SQ_SR_SV_EESW_SX_SY_SZ_S13_S14_S15_S18_S19_jS1A_jS1B_S1B_jjS1D_bEUljE0_EEESW_SX_SY_S15_S19_S1B_T6_T7_T9_mT8_S1D_bDpT10_ENKUlT_T0_E_clISt17integral_constantIbLb1EES1R_EEDaS1M_S1N_EUlS1M_E_NS1_11comp_targetILNS1_3genE2ELNS1_11target_archE906ELNS1_3gpuE6ELNS1_3repE0EEENS1_30default_config_static_selectorELNS0_4arch9wavefront6targetE1EEEvSZ_.has_indirect_call, 0
	.section	.AMDGPU.csdata,"",@progbits
; Kernel info:
; codeLenInByte = 4
; TotalNumSgprs: 4
; NumVgprs: 0
; ScratchSize: 0
; MemoryBound: 0
; FloatMode: 240
; IeeeMode: 1
; LDSByteSize: 0 bytes/workgroup (compile time only)
; SGPRBlocks: 0
; VGPRBlocks: 0
; NumSGPRsForWavesPerEU: 4
; NumVGPRsForWavesPerEU: 1
; Occupancy: 10
; WaveLimiterHint : 0
; COMPUTE_PGM_RSRC2:SCRATCH_EN: 0
; COMPUTE_PGM_RSRC2:USER_SGPR: 6
; COMPUTE_PGM_RSRC2:TRAP_HANDLER: 0
; COMPUTE_PGM_RSRC2:TGID_X_EN: 1
; COMPUTE_PGM_RSRC2:TGID_Y_EN: 0
; COMPUTE_PGM_RSRC2:TGID_Z_EN: 0
; COMPUTE_PGM_RSRC2:TIDIG_COMP_CNT: 0
	.section	.text._ZN7rocprim17ROCPRIM_400000_NS6detail17trampoline_kernelINS0_13select_configILj256ELj13ELNS0_17block_load_methodE3ELS4_3ELS4_3ELNS0_20block_scan_algorithmE0ELj4294967295EEENS1_25partition_config_selectorILNS1_17partition_subalgoE4EjNS0_10empty_typeEbEEZZNS1_14partition_implILS8_4ELb0ES6_15HIP_vector_typeIjLj2EENS0_17counting_iteratorIjlEEPS9_SG_NS0_5tupleIJPjSI_NS0_16reverse_iteratorISI_EEEEENSH_IJSG_SG_SG_EEES9_SI_JZNS1_25segmented_radix_sort_implINS0_14default_configELb0EPKlPlSQ_SR_N2at6native12_GLOBAL__N_18offset_tEEE10hipError_tPvRmT1_PNSt15iterator_traitsISZ_E10value_typeET2_T3_PNS10_IS15_E10value_typeET4_jRbjT5_S1B_jjP12ihipStream_tbEUljE_ZNSN_ISO_Lb0ESQ_SR_SQ_SR_SV_EESW_SX_SY_SZ_S13_S14_S15_S18_S19_jS1A_jS1B_S1B_jjS1D_bEUljE0_EEESW_SX_SY_S15_S19_S1B_T6_T7_T9_mT8_S1D_bDpT10_ENKUlT_T0_E_clISt17integral_constantIbLb1EES1R_EEDaS1M_S1N_EUlS1M_E_NS1_11comp_targetILNS1_3genE10ELNS1_11target_archE1200ELNS1_3gpuE4ELNS1_3repE0EEENS1_30default_config_static_selectorELNS0_4arch9wavefront6targetE1EEEvSZ_,"axG",@progbits,_ZN7rocprim17ROCPRIM_400000_NS6detail17trampoline_kernelINS0_13select_configILj256ELj13ELNS0_17block_load_methodE3ELS4_3ELS4_3ELNS0_20block_scan_algorithmE0ELj4294967295EEENS1_25partition_config_selectorILNS1_17partition_subalgoE4EjNS0_10empty_typeEbEEZZNS1_14partition_implILS8_4ELb0ES6_15HIP_vector_typeIjLj2EENS0_17counting_iteratorIjlEEPS9_SG_NS0_5tupleIJPjSI_NS0_16reverse_iteratorISI_EEEEENSH_IJSG_SG_SG_EEES9_SI_JZNS1_25segmented_radix_sort_implINS0_14default_configELb0EPKlPlSQ_SR_N2at6native12_GLOBAL__N_18offset_tEEE10hipError_tPvRmT1_PNSt15iterator_traitsISZ_E10value_typeET2_T3_PNS10_IS15_E10value_typeET4_jRbjT5_S1B_jjP12ihipStream_tbEUljE_ZNSN_ISO_Lb0ESQ_SR_SQ_SR_SV_EESW_SX_SY_SZ_S13_S14_S15_S18_S19_jS1A_jS1B_S1B_jjS1D_bEUljE0_EEESW_SX_SY_S15_S19_S1B_T6_T7_T9_mT8_S1D_bDpT10_ENKUlT_T0_E_clISt17integral_constantIbLb1EES1R_EEDaS1M_S1N_EUlS1M_E_NS1_11comp_targetILNS1_3genE10ELNS1_11target_archE1200ELNS1_3gpuE4ELNS1_3repE0EEENS1_30default_config_static_selectorELNS0_4arch9wavefront6targetE1EEEvSZ_,comdat
	.globl	_ZN7rocprim17ROCPRIM_400000_NS6detail17trampoline_kernelINS0_13select_configILj256ELj13ELNS0_17block_load_methodE3ELS4_3ELS4_3ELNS0_20block_scan_algorithmE0ELj4294967295EEENS1_25partition_config_selectorILNS1_17partition_subalgoE4EjNS0_10empty_typeEbEEZZNS1_14partition_implILS8_4ELb0ES6_15HIP_vector_typeIjLj2EENS0_17counting_iteratorIjlEEPS9_SG_NS0_5tupleIJPjSI_NS0_16reverse_iteratorISI_EEEEENSH_IJSG_SG_SG_EEES9_SI_JZNS1_25segmented_radix_sort_implINS0_14default_configELb0EPKlPlSQ_SR_N2at6native12_GLOBAL__N_18offset_tEEE10hipError_tPvRmT1_PNSt15iterator_traitsISZ_E10value_typeET2_T3_PNS10_IS15_E10value_typeET4_jRbjT5_S1B_jjP12ihipStream_tbEUljE_ZNSN_ISO_Lb0ESQ_SR_SQ_SR_SV_EESW_SX_SY_SZ_S13_S14_S15_S18_S19_jS1A_jS1B_S1B_jjS1D_bEUljE0_EEESW_SX_SY_S15_S19_S1B_T6_T7_T9_mT8_S1D_bDpT10_ENKUlT_T0_E_clISt17integral_constantIbLb1EES1R_EEDaS1M_S1N_EUlS1M_E_NS1_11comp_targetILNS1_3genE10ELNS1_11target_archE1200ELNS1_3gpuE4ELNS1_3repE0EEENS1_30default_config_static_selectorELNS0_4arch9wavefront6targetE1EEEvSZ_ ; -- Begin function _ZN7rocprim17ROCPRIM_400000_NS6detail17trampoline_kernelINS0_13select_configILj256ELj13ELNS0_17block_load_methodE3ELS4_3ELS4_3ELNS0_20block_scan_algorithmE0ELj4294967295EEENS1_25partition_config_selectorILNS1_17partition_subalgoE4EjNS0_10empty_typeEbEEZZNS1_14partition_implILS8_4ELb0ES6_15HIP_vector_typeIjLj2EENS0_17counting_iteratorIjlEEPS9_SG_NS0_5tupleIJPjSI_NS0_16reverse_iteratorISI_EEEEENSH_IJSG_SG_SG_EEES9_SI_JZNS1_25segmented_radix_sort_implINS0_14default_configELb0EPKlPlSQ_SR_N2at6native12_GLOBAL__N_18offset_tEEE10hipError_tPvRmT1_PNSt15iterator_traitsISZ_E10value_typeET2_T3_PNS10_IS15_E10value_typeET4_jRbjT5_S1B_jjP12ihipStream_tbEUljE_ZNSN_ISO_Lb0ESQ_SR_SQ_SR_SV_EESW_SX_SY_SZ_S13_S14_S15_S18_S19_jS1A_jS1B_S1B_jjS1D_bEUljE0_EEESW_SX_SY_S15_S19_S1B_T6_T7_T9_mT8_S1D_bDpT10_ENKUlT_T0_E_clISt17integral_constantIbLb1EES1R_EEDaS1M_S1N_EUlS1M_E_NS1_11comp_targetILNS1_3genE10ELNS1_11target_archE1200ELNS1_3gpuE4ELNS1_3repE0EEENS1_30default_config_static_selectorELNS0_4arch9wavefront6targetE1EEEvSZ_
	.p2align	8
	.type	_ZN7rocprim17ROCPRIM_400000_NS6detail17trampoline_kernelINS0_13select_configILj256ELj13ELNS0_17block_load_methodE3ELS4_3ELS4_3ELNS0_20block_scan_algorithmE0ELj4294967295EEENS1_25partition_config_selectorILNS1_17partition_subalgoE4EjNS0_10empty_typeEbEEZZNS1_14partition_implILS8_4ELb0ES6_15HIP_vector_typeIjLj2EENS0_17counting_iteratorIjlEEPS9_SG_NS0_5tupleIJPjSI_NS0_16reverse_iteratorISI_EEEEENSH_IJSG_SG_SG_EEES9_SI_JZNS1_25segmented_radix_sort_implINS0_14default_configELb0EPKlPlSQ_SR_N2at6native12_GLOBAL__N_18offset_tEEE10hipError_tPvRmT1_PNSt15iterator_traitsISZ_E10value_typeET2_T3_PNS10_IS15_E10value_typeET4_jRbjT5_S1B_jjP12ihipStream_tbEUljE_ZNSN_ISO_Lb0ESQ_SR_SQ_SR_SV_EESW_SX_SY_SZ_S13_S14_S15_S18_S19_jS1A_jS1B_S1B_jjS1D_bEUljE0_EEESW_SX_SY_S15_S19_S1B_T6_T7_T9_mT8_S1D_bDpT10_ENKUlT_T0_E_clISt17integral_constantIbLb1EES1R_EEDaS1M_S1N_EUlS1M_E_NS1_11comp_targetILNS1_3genE10ELNS1_11target_archE1200ELNS1_3gpuE4ELNS1_3repE0EEENS1_30default_config_static_selectorELNS0_4arch9wavefront6targetE1EEEvSZ_,@function
_ZN7rocprim17ROCPRIM_400000_NS6detail17trampoline_kernelINS0_13select_configILj256ELj13ELNS0_17block_load_methodE3ELS4_3ELS4_3ELNS0_20block_scan_algorithmE0ELj4294967295EEENS1_25partition_config_selectorILNS1_17partition_subalgoE4EjNS0_10empty_typeEbEEZZNS1_14partition_implILS8_4ELb0ES6_15HIP_vector_typeIjLj2EENS0_17counting_iteratorIjlEEPS9_SG_NS0_5tupleIJPjSI_NS0_16reverse_iteratorISI_EEEEENSH_IJSG_SG_SG_EEES9_SI_JZNS1_25segmented_radix_sort_implINS0_14default_configELb0EPKlPlSQ_SR_N2at6native12_GLOBAL__N_18offset_tEEE10hipError_tPvRmT1_PNSt15iterator_traitsISZ_E10value_typeET2_T3_PNS10_IS15_E10value_typeET4_jRbjT5_S1B_jjP12ihipStream_tbEUljE_ZNSN_ISO_Lb0ESQ_SR_SQ_SR_SV_EESW_SX_SY_SZ_S13_S14_S15_S18_S19_jS1A_jS1B_S1B_jjS1D_bEUljE0_EEESW_SX_SY_S15_S19_S1B_T6_T7_T9_mT8_S1D_bDpT10_ENKUlT_T0_E_clISt17integral_constantIbLb1EES1R_EEDaS1M_S1N_EUlS1M_E_NS1_11comp_targetILNS1_3genE10ELNS1_11target_archE1200ELNS1_3gpuE4ELNS1_3repE0EEENS1_30default_config_static_selectorELNS0_4arch9wavefront6targetE1EEEvSZ_: ; @_ZN7rocprim17ROCPRIM_400000_NS6detail17trampoline_kernelINS0_13select_configILj256ELj13ELNS0_17block_load_methodE3ELS4_3ELS4_3ELNS0_20block_scan_algorithmE0ELj4294967295EEENS1_25partition_config_selectorILNS1_17partition_subalgoE4EjNS0_10empty_typeEbEEZZNS1_14partition_implILS8_4ELb0ES6_15HIP_vector_typeIjLj2EENS0_17counting_iteratorIjlEEPS9_SG_NS0_5tupleIJPjSI_NS0_16reverse_iteratorISI_EEEEENSH_IJSG_SG_SG_EEES9_SI_JZNS1_25segmented_radix_sort_implINS0_14default_configELb0EPKlPlSQ_SR_N2at6native12_GLOBAL__N_18offset_tEEE10hipError_tPvRmT1_PNSt15iterator_traitsISZ_E10value_typeET2_T3_PNS10_IS15_E10value_typeET4_jRbjT5_S1B_jjP12ihipStream_tbEUljE_ZNSN_ISO_Lb0ESQ_SR_SQ_SR_SV_EESW_SX_SY_SZ_S13_S14_S15_S18_S19_jS1A_jS1B_S1B_jjS1D_bEUljE0_EEESW_SX_SY_S15_S19_S1B_T6_T7_T9_mT8_S1D_bDpT10_ENKUlT_T0_E_clISt17integral_constantIbLb1EES1R_EEDaS1M_S1N_EUlS1M_E_NS1_11comp_targetILNS1_3genE10ELNS1_11target_archE1200ELNS1_3gpuE4ELNS1_3repE0EEENS1_30default_config_static_selectorELNS0_4arch9wavefront6targetE1EEEvSZ_
; %bb.0:
	.section	.rodata,"a",@progbits
	.p2align	6, 0x0
	.amdhsa_kernel _ZN7rocprim17ROCPRIM_400000_NS6detail17trampoline_kernelINS0_13select_configILj256ELj13ELNS0_17block_load_methodE3ELS4_3ELS4_3ELNS0_20block_scan_algorithmE0ELj4294967295EEENS1_25partition_config_selectorILNS1_17partition_subalgoE4EjNS0_10empty_typeEbEEZZNS1_14partition_implILS8_4ELb0ES6_15HIP_vector_typeIjLj2EENS0_17counting_iteratorIjlEEPS9_SG_NS0_5tupleIJPjSI_NS0_16reverse_iteratorISI_EEEEENSH_IJSG_SG_SG_EEES9_SI_JZNS1_25segmented_radix_sort_implINS0_14default_configELb0EPKlPlSQ_SR_N2at6native12_GLOBAL__N_18offset_tEEE10hipError_tPvRmT1_PNSt15iterator_traitsISZ_E10value_typeET2_T3_PNS10_IS15_E10value_typeET4_jRbjT5_S1B_jjP12ihipStream_tbEUljE_ZNSN_ISO_Lb0ESQ_SR_SQ_SR_SV_EESW_SX_SY_SZ_S13_S14_S15_S18_S19_jS1A_jS1B_S1B_jjS1D_bEUljE0_EEESW_SX_SY_S15_S19_S1B_T6_T7_T9_mT8_S1D_bDpT10_ENKUlT_T0_E_clISt17integral_constantIbLb1EES1R_EEDaS1M_S1N_EUlS1M_E_NS1_11comp_targetILNS1_3genE10ELNS1_11target_archE1200ELNS1_3gpuE4ELNS1_3repE0EEENS1_30default_config_static_selectorELNS0_4arch9wavefront6targetE1EEEvSZ_
		.amdhsa_group_segment_fixed_size 0
		.amdhsa_private_segment_fixed_size 0
		.amdhsa_kernarg_size 184
		.amdhsa_user_sgpr_count 6
		.amdhsa_user_sgpr_private_segment_buffer 1
		.amdhsa_user_sgpr_dispatch_ptr 0
		.amdhsa_user_sgpr_queue_ptr 0
		.amdhsa_user_sgpr_kernarg_segment_ptr 1
		.amdhsa_user_sgpr_dispatch_id 0
		.amdhsa_user_sgpr_flat_scratch_init 0
		.amdhsa_user_sgpr_private_segment_size 0
		.amdhsa_uses_dynamic_stack 0
		.amdhsa_system_sgpr_private_segment_wavefront_offset 0
		.amdhsa_system_sgpr_workgroup_id_x 1
		.amdhsa_system_sgpr_workgroup_id_y 0
		.amdhsa_system_sgpr_workgroup_id_z 0
		.amdhsa_system_sgpr_workgroup_info 0
		.amdhsa_system_vgpr_workitem_id 0
		.amdhsa_next_free_vgpr 1
		.amdhsa_next_free_sgpr 0
		.amdhsa_reserve_vcc 0
		.amdhsa_reserve_flat_scratch 0
		.amdhsa_float_round_mode_32 0
		.amdhsa_float_round_mode_16_64 0
		.amdhsa_float_denorm_mode_32 3
		.amdhsa_float_denorm_mode_16_64 3
		.amdhsa_dx10_clamp 1
		.amdhsa_ieee_mode 1
		.amdhsa_fp16_overflow 0
		.amdhsa_exception_fp_ieee_invalid_op 0
		.amdhsa_exception_fp_denorm_src 0
		.amdhsa_exception_fp_ieee_div_zero 0
		.amdhsa_exception_fp_ieee_overflow 0
		.amdhsa_exception_fp_ieee_underflow 0
		.amdhsa_exception_fp_ieee_inexact 0
		.amdhsa_exception_int_div_zero 0
	.end_amdhsa_kernel
	.section	.text._ZN7rocprim17ROCPRIM_400000_NS6detail17trampoline_kernelINS0_13select_configILj256ELj13ELNS0_17block_load_methodE3ELS4_3ELS4_3ELNS0_20block_scan_algorithmE0ELj4294967295EEENS1_25partition_config_selectorILNS1_17partition_subalgoE4EjNS0_10empty_typeEbEEZZNS1_14partition_implILS8_4ELb0ES6_15HIP_vector_typeIjLj2EENS0_17counting_iteratorIjlEEPS9_SG_NS0_5tupleIJPjSI_NS0_16reverse_iteratorISI_EEEEENSH_IJSG_SG_SG_EEES9_SI_JZNS1_25segmented_radix_sort_implINS0_14default_configELb0EPKlPlSQ_SR_N2at6native12_GLOBAL__N_18offset_tEEE10hipError_tPvRmT1_PNSt15iterator_traitsISZ_E10value_typeET2_T3_PNS10_IS15_E10value_typeET4_jRbjT5_S1B_jjP12ihipStream_tbEUljE_ZNSN_ISO_Lb0ESQ_SR_SQ_SR_SV_EESW_SX_SY_SZ_S13_S14_S15_S18_S19_jS1A_jS1B_S1B_jjS1D_bEUljE0_EEESW_SX_SY_S15_S19_S1B_T6_T7_T9_mT8_S1D_bDpT10_ENKUlT_T0_E_clISt17integral_constantIbLb1EES1R_EEDaS1M_S1N_EUlS1M_E_NS1_11comp_targetILNS1_3genE10ELNS1_11target_archE1200ELNS1_3gpuE4ELNS1_3repE0EEENS1_30default_config_static_selectorELNS0_4arch9wavefront6targetE1EEEvSZ_,"axG",@progbits,_ZN7rocprim17ROCPRIM_400000_NS6detail17trampoline_kernelINS0_13select_configILj256ELj13ELNS0_17block_load_methodE3ELS4_3ELS4_3ELNS0_20block_scan_algorithmE0ELj4294967295EEENS1_25partition_config_selectorILNS1_17partition_subalgoE4EjNS0_10empty_typeEbEEZZNS1_14partition_implILS8_4ELb0ES6_15HIP_vector_typeIjLj2EENS0_17counting_iteratorIjlEEPS9_SG_NS0_5tupleIJPjSI_NS0_16reverse_iteratorISI_EEEEENSH_IJSG_SG_SG_EEES9_SI_JZNS1_25segmented_radix_sort_implINS0_14default_configELb0EPKlPlSQ_SR_N2at6native12_GLOBAL__N_18offset_tEEE10hipError_tPvRmT1_PNSt15iterator_traitsISZ_E10value_typeET2_T3_PNS10_IS15_E10value_typeET4_jRbjT5_S1B_jjP12ihipStream_tbEUljE_ZNSN_ISO_Lb0ESQ_SR_SQ_SR_SV_EESW_SX_SY_SZ_S13_S14_S15_S18_S19_jS1A_jS1B_S1B_jjS1D_bEUljE0_EEESW_SX_SY_S15_S19_S1B_T6_T7_T9_mT8_S1D_bDpT10_ENKUlT_T0_E_clISt17integral_constantIbLb1EES1R_EEDaS1M_S1N_EUlS1M_E_NS1_11comp_targetILNS1_3genE10ELNS1_11target_archE1200ELNS1_3gpuE4ELNS1_3repE0EEENS1_30default_config_static_selectorELNS0_4arch9wavefront6targetE1EEEvSZ_,comdat
.Lfunc_end756:
	.size	_ZN7rocprim17ROCPRIM_400000_NS6detail17trampoline_kernelINS0_13select_configILj256ELj13ELNS0_17block_load_methodE3ELS4_3ELS4_3ELNS0_20block_scan_algorithmE0ELj4294967295EEENS1_25partition_config_selectorILNS1_17partition_subalgoE4EjNS0_10empty_typeEbEEZZNS1_14partition_implILS8_4ELb0ES6_15HIP_vector_typeIjLj2EENS0_17counting_iteratorIjlEEPS9_SG_NS0_5tupleIJPjSI_NS0_16reverse_iteratorISI_EEEEENSH_IJSG_SG_SG_EEES9_SI_JZNS1_25segmented_radix_sort_implINS0_14default_configELb0EPKlPlSQ_SR_N2at6native12_GLOBAL__N_18offset_tEEE10hipError_tPvRmT1_PNSt15iterator_traitsISZ_E10value_typeET2_T3_PNS10_IS15_E10value_typeET4_jRbjT5_S1B_jjP12ihipStream_tbEUljE_ZNSN_ISO_Lb0ESQ_SR_SQ_SR_SV_EESW_SX_SY_SZ_S13_S14_S15_S18_S19_jS1A_jS1B_S1B_jjS1D_bEUljE0_EEESW_SX_SY_S15_S19_S1B_T6_T7_T9_mT8_S1D_bDpT10_ENKUlT_T0_E_clISt17integral_constantIbLb1EES1R_EEDaS1M_S1N_EUlS1M_E_NS1_11comp_targetILNS1_3genE10ELNS1_11target_archE1200ELNS1_3gpuE4ELNS1_3repE0EEENS1_30default_config_static_selectorELNS0_4arch9wavefront6targetE1EEEvSZ_, .Lfunc_end756-_ZN7rocprim17ROCPRIM_400000_NS6detail17trampoline_kernelINS0_13select_configILj256ELj13ELNS0_17block_load_methodE3ELS4_3ELS4_3ELNS0_20block_scan_algorithmE0ELj4294967295EEENS1_25partition_config_selectorILNS1_17partition_subalgoE4EjNS0_10empty_typeEbEEZZNS1_14partition_implILS8_4ELb0ES6_15HIP_vector_typeIjLj2EENS0_17counting_iteratorIjlEEPS9_SG_NS0_5tupleIJPjSI_NS0_16reverse_iteratorISI_EEEEENSH_IJSG_SG_SG_EEES9_SI_JZNS1_25segmented_radix_sort_implINS0_14default_configELb0EPKlPlSQ_SR_N2at6native12_GLOBAL__N_18offset_tEEE10hipError_tPvRmT1_PNSt15iterator_traitsISZ_E10value_typeET2_T3_PNS10_IS15_E10value_typeET4_jRbjT5_S1B_jjP12ihipStream_tbEUljE_ZNSN_ISO_Lb0ESQ_SR_SQ_SR_SV_EESW_SX_SY_SZ_S13_S14_S15_S18_S19_jS1A_jS1B_S1B_jjS1D_bEUljE0_EEESW_SX_SY_S15_S19_S1B_T6_T7_T9_mT8_S1D_bDpT10_ENKUlT_T0_E_clISt17integral_constantIbLb1EES1R_EEDaS1M_S1N_EUlS1M_E_NS1_11comp_targetILNS1_3genE10ELNS1_11target_archE1200ELNS1_3gpuE4ELNS1_3repE0EEENS1_30default_config_static_selectorELNS0_4arch9wavefront6targetE1EEEvSZ_
                                        ; -- End function
	.set _ZN7rocprim17ROCPRIM_400000_NS6detail17trampoline_kernelINS0_13select_configILj256ELj13ELNS0_17block_load_methodE3ELS4_3ELS4_3ELNS0_20block_scan_algorithmE0ELj4294967295EEENS1_25partition_config_selectorILNS1_17partition_subalgoE4EjNS0_10empty_typeEbEEZZNS1_14partition_implILS8_4ELb0ES6_15HIP_vector_typeIjLj2EENS0_17counting_iteratorIjlEEPS9_SG_NS0_5tupleIJPjSI_NS0_16reverse_iteratorISI_EEEEENSH_IJSG_SG_SG_EEES9_SI_JZNS1_25segmented_radix_sort_implINS0_14default_configELb0EPKlPlSQ_SR_N2at6native12_GLOBAL__N_18offset_tEEE10hipError_tPvRmT1_PNSt15iterator_traitsISZ_E10value_typeET2_T3_PNS10_IS15_E10value_typeET4_jRbjT5_S1B_jjP12ihipStream_tbEUljE_ZNSN_ISO_Lb0ESQ_SR_SQ_SR_SV_EESW_SX_SY_SZ_S13_S14_S15_S18_S19_jS1A_jS1B_S1B_jjS1D_bEUljE0_EEESW_SX_SY_S15_S19_S1B_T6_T7_T9_mT8_S1D_bDpT10_ENKUlT_T0_E_clISt17integral_constantIbLb1EES1R_EEDaS1M_S1N_EUlS1M_E_NS1_11comp_targetILNS1_3genE10ELNS1_11target_archE1200ELNS1_3gpuE4ELNS1_3repE0EEENS1_30default_config_static_selectorELNS0_4arch9wavefront6targetE1EEEvSZ_.num_vgpr, 0
	.set _ZN7rocprim17ROCPRIM_400000_NS6detail17trampoline_kernelINS0_13select_configILj256ELj13ELNS0_17block_load_methodE3ELS4_3ELS4_3ELNS0_20block_scan_algorithmE0ELj4294967295EEENS1_25partition_config_selectorILNS1_17partition_subalgoE4EjNS0_10empty_typeEbEEZZNS1_14partition_implILS8_4ELb0ES6_15HIP_vector_typeIjLj2EENS0_17counting_iteratorIjlEEPS9_SG_NS0_5tupleIJPjSI_NS0_16reverse_iteratorISI_EEEEENSH_IJSG_SG_SG_EEES9_SI_JZNS1_25segmented_radix_sort_implINS0_14default_configELb0EPKlPlSQ_SR_N2at6native12_GLOBAL__N_18offset_tEEE10hipError_tPvRmT1_PNSt15iterator_traitsISZ_E10value_typeET2_T3_PNS10_IS15_E10value_typeET4_jRbjT5_S1B_jjP12ihipStream_tbEUljE_ZNSN_ISO_Lb0ESQ_SR_SQ_SR_SV_EESW_SX_SY_SZ_S13_S14_S15_S18_S19_jS1A_jS1B_S1B_jjS1D_bEUljE0_EEESW_SX_SY_S15_S19_S1B_T6_T7_T9_mT8_S1D_bDpT10_ENKUlT_T0_E_clISt17integral_constantIbLb1EES1R_EEDaS1M_S1N_EUlS1M_E_NS1_11comp_targetILNS1_3genE10ELNS1_11target_archE1200ELNS1_3gpuE4ELNS1_3repE0EEENS1_30default_config_static_selectorELNS0_4arch9wavefront6targetE1EEEvSZ_.num_agpr, 0
	.set _ZN7rocprim17ROCPRIM_400000_NS6detail17trampoline_kernelINS0_13select_configILj256ELj13ELNS0_17block_load_methodE3ELS4_3ELS4_3ELNS0_20block_scan_algorithmE0ELj4294967295EEENS1_25partition_config_selectorILNS1_17partition_subalgoE4EjNS0_10empty_typeEbEEZZNS1_14partition_implILS8_4ELb0ES6_15HIP_vector_typeIjLj2EENS0_17counting_iteratorIjlEEPS9_SG_NS0_5tupleIJPjSI_NS0_16reverse_iteratorISI_EEEEENSH_IJSG_SG_SG_EEES9_SI_JZNS1_25segmented_radix_sort_implINS0_14default_configELb0EPKlPlSQ_SR_N2at6native12_GLOBAL__N_18offset_tEEE10hipError_tPvRmT1_PNSt15iterator_traitsISZ_E10value_typeET2_T3_PNS10_IS15_E10value_typeET4_jRbjT5_S1B_jjP12ihipStream_tbEUljE_ZNSN_ISO_Lb0ESQ_SR_SQ_SR_SV_EESW_SX_SY_SZ_S13_S14_S15_S18_S19_jS1A_jS1B_S1B_jjS1D_bEUljE0_EEESW_SX_SY_S15_S19_S1B_T6_T7_T9_mT8_S1D_bDpT10_ENKUlT_T0_E_clISt17integral_constantIbLb1EES1R_EEDaS1M_S1N_EUlS1M_E_NS1_11comp_targetILNS1_3genE10ELNS1_11target_archE1200ELNS1_3gpuE4ELNS1_3repE0EEENS1_30default_config_static_selectorELNS0_4arch9wavefront6targetE1EEEvSZ_.numbered_sgpr, 0
	.set _ZN7rocprim17ROCPRIM_400000_NS6detail17trampoline_kernelINS0_13select_configILj256ELj13ELNS0_17block_load_methodE3ELS4_3ELS4_3ELNS0_20block_scan_algorithmE0ELj4294967295EEENS1_25partition_config_selectorILNS1_17partition_subalgoE4EjNS0_10empty_typeEbEEZZNS1_14partition_implILS8_4ELb0ES6_15HIP_vector_typeIjLj2EENS0_17counting_iteratorIjlEEPS9_SG_NS0_5tupleIJPjSI_NS0_16reverse_iteratorISI_EEEEENSH_IJSG_SG_SG_EEES9_SI_JZNS1_25segmented_radix_sort_implINS0_14default_configELb0EPKlPlSQ_SR_N2at6native12_GLOBAL__N_18offset_tEEE10hipError_tPvRmT1_PNSt15iterator_traitsISZ_E10value_typeET2_T3_PNS10_IS15_E10value_typeET4_jRbjT5_S1B_jjP12ihipStream_tbEUljE_ZNSN_ISO_Lb0ESQ_SR_SQ_SR_SV_EESW_SX_SY_SZ_S13_S14_S15_S18_S19_jS1A_jS1B_S1B_jjS1D_bEUljE0_EEESW_SX_SY_S15_S19_S1B_T6_T7_T9_mT8_S1D_bDpT10_ENKUlT_T0_E_clISt17integral_constantIbLb1EES1R_EEDaS1M_S1N_EUlS1M_E_NS1_11comp_targetILNS1_3genE10ELNS1_11target_archE1200ELNS1_3gpuE4ELNS1_3repE0EEENS1_30default_config_static_selectorELNS0_4arch9wavefront6targetE1EEEvSZ_.num_named_barrier, 0
	.set _ZN7rocprim17ROCPRIM_400000_NS6detail17trampoline_kernelINS0_13select_configILj256ELj13ELNS0_17block_load_methodE3ELS4_3ELS4_3ELNS0_20block_scan_algorithmE0ELj4294967295EEENS1_25partition_config_selectorILNS1_17partition_subalgoE4EjNS0_10empty_typeEbEEZZNS1_14partition_implILS8_4ELb0ES6_15HIP_vector_typeIjLj2EENS0_17counting_iteratorIjlEEPS9_SG_NS0_5tupleIJPjSI_NS0_16reverse_iteratorISI_EEEEENSH_IJSG_SG_SG_EEES9_SI_JZNS1_25segmented_radix_sort_implINS0_14default_configELb0EPKlPlSQ_SR_N2at6native12_GLOBAL__N_18offset_tEEE10hipError_tPvRmT1_PNSt15iterator_traitsISZ_E10value_typeET2_T3_PNS10_IS15_E10value_typeET4_jRbjT5_S1B_jjP12ihipStream_tbEUljE_ZNSN_ISO_Lb0ESQ_SR_SQ_SR_SV_EESW_SX_SY_SZ_S13_S14_S15_S18_S19_jS1A_jS1B_S1B_jjS1D_bEUljE0_EEESW_SX_SY_S15_S19_S1B_T6_T7_T9_mT8_S1D_bDpT10_ENKUlT_T0_E_clISt17integral_constantIbLb1EES1R_EEDaS1M_S1N_EUlS1M_E_NS1_11comp_targetILNS1_3genE10ELNS1_11target_archE1200ELNS1_3gpuE4ELNS1_3repE0EEENS1_30default_config_static_selectorELNS0_4arch9wavefront6targetE1EEEvSZ_.private_seg_size, 0
	.set _ZN7rocprim17ROCPRIM_400000_NS6detail17trampoline_kernelINS0_13select_configILj256ELj13ELNS0_17block_load_methodE3ELS4_3ELS4_3ELNS0_20block_scan_algorithmE0ELj4294967295EEENS1_25partition_config_selectorILNS1_17partition_subalgoE4EjNS0_10empty_typeEbEEZZNS1_14partition_implILS8_4ELb0ES6_15HIP_vector_typeIjLj2EENS0_17counting_iteratorIjlEEPS9_SG_NS0_5tupleIJPjSI_NS0_16reverse_iteratorISI_EEEEENSH_IJSG_SG_SG_EEES9_SI_JZNS1_25segmented_radix_sort_implINS0_14default_configELb0EPKlPlSQ_SR_N2at6native12_GLOBAL__N_18offset_tEEE10hipError_tPvRmT1_PNSt15iterator_traitsISZ_E10value_typeET2_T3_PNS10_IS15_E10value_typeET4_jRbjT5_S1B_jjP12ihipStream_tbEUljE_ZNSN_ISO_Lb0ESQ_SR_SQ_SR_SV_EESW_SX_SY_SZ_S13_S14_S15_S18_S19_jS1A_jS1B_S1B_jjS1D_bEUljE0_EEESW_SX_SY_S15_S19_S1B_T6_T7_T9_mT8_S1D_bDpT10_ENKUlT_T0_E_clISt17integral_constantIbLb1EES1R_EEDaS1M_S1N_EUlS1M_E_NS1_11comp_targetILNS1_3genE10ELNS1_11target_archE1200ELNS1_3gpuE4ELNS1_3repE0EEENS1_30default_config_static_selectorELNS0_4arch9wavefront6targetE1EEEvSZ_.uses_vcc, 0
	.set _ZN7rocprim17ROCPRIM_400000_NS6detail17trampoline_kernelINS0_13select_configILj256ELj13ELNS0_17block_load_methodE3ELS4_3ELS4_3ELNS0_20block_scan_algorithmE0ELj4294967295EEENS1_25partition_config_selectorILNS1_17partition_subalgoE4EjNS0_10empty_typeEbEEZZNS1_14partition_implILS8_4ELb0ES6_15HIP_vector_typeIjLj2EENS0_17counting_iteratorIjlEEPS9_SG_NS0_5tupleIJPjSI_NS0_16reverse_iteratorISI_EEEEENSH_IJSG_SG_SG_EEES9_SI_JZNS1_25segmented_radix_sort_implINS0_14default_configELb0EPKlPlSQ_SR_N2at6native12_GLOBAL__N_18offset_tEEE10hipError_tPvRmT1_PNSt15iterator_traitsISZ_E10value_typeET2_T3_PNS10_IS15_E10value_typeET4_jRbjT5_S1B_jjP12ihipStream_tbEUljE_ZNSN_ISO_Lb0ESQ_SR_SQ_SR_SV_EESW_SX_SY_SZ_S13_S14_S15_S18_S19_jS1A_jS1B_S1B_jjS1D_bEUljE0_EEESW_SX_SY_S15_S19_S1B_T6_T7_T9_mT8_S1D_bDpT10_ENKUlT_T0_E_clISt17integral_constantIbLb1EES1R_EEDaS1M_S1N_EUlS1M_E_NS1_11comp_targetILNS1_3genE10ELNS1_11target_archE1200ELNS1_3gpuE4ELNS1_3repE0EEENS1_30default_config_static_selectorELNS0_4arch9wavefront6targetE1EEEvSZ_.uses_flat_scratch, 0
	.set _ZN7rocprim17ROCPRIM_400000_NS6detail17trampoline_kernelINS0_13select_configILj256ELj13ELNS0_17block_load_methodE3ELS4_3ELS4_3ELNS0_20block_scan_algorithmE0ELj4294967295EEENS1_25partition_config_selectorILNS1_17partition_subalgoE4EjNS0_10empty_typeEbEEZZNS1_14partition_implILS8_4ELb0ES6_15HIP_vector_typeIjLj2EENS0_17counting_iteratorIjlEEPS9_SG_NS0_5tupleIJPjSI_NS0_16reverse_iteratorISI_EEEEENSH_IJSG_SG_SG_EEES9_SI_JZNS1_25segmented_radix_sort_implINS0_14default_configELb0EPKlPlSQ_SR_N2at6native12_GLOBAL__N_18offset_tEEE10hipError_tPvRmT1_PNSt15iterator_traitsISZ_E10value_typeET2_T3_PNS10_IS15_E10value_typeET4_jRbjT5_S1B_jjP12ihipStream_tbEUljE_ZNSN_ISO_Lb0ESQ_SR_SQ_SR_SV_EESW_SX_SY_SZ_S13_S14_S15_S18_S19_jS1A_jS1B_S1B_jjS1D_bEUljE0_EEESW_SX_SY_S15_S19_S1B_T6_T7_T9_mT8_S1D_bDpT10_ENKUlT_T0_E_clISt17integral_constantIbLb1EES1R_EEDaS1M_S1N_EUlS1M_E_NS1_11comp_targetILNS1_3genE10ELNS1_11target_archE1200ELNS1_3gpuE4ELNS1_3repE0EEENS1_30default_config_static_selectorELNS0_4arch9wavefront6targetE1EEEvSZ_.has_dyn_sized_stack, 0
	.set _ZN7rocprim17ROCPRIM_400000_NS6detail17trampoline_kernelINS0_13select_configILj256ELj13ELNS0_17block_load_methodE3ELS4_3ELS4_3ELNS0_20block_scan_algorithmE0ELj4294967295EEENS1_25partition_config_selectorILNS1_17partition_subalgoE4EjNS0_10empty_typeEbEEZZNS1_14partition_implILS8_4ELb0ES6_15HIP_vector_typeIjLj2EENS0_17counting_iteratorIjlEEPS9_SG_NS0_5tupleIJPjSI_NS0_16reverse_iteratorISI_EEEEENSH_IJSG_SG_SG_EEES9_SI_JZNS1_25segmented_radix_sort_implINS0_14default_configELb0EPKlPlSQ_SR_N2at6native12_GLOBAL__N_18offset_tEEE10hipError_tPvRmT1_PNSt15iterator_traitsISZ_E10value_typeET2_T3_PNS10_IS15_E10value_typeET4_jRbjT5_S1B_jjP12ihipStream_tbEUljE_ZNSN_ISO_Lb0ESQ_SR_SQ_SR_SV_EESW_SX_SY_SZ_S13_S14_S15_S18_S19_jS1A_jS1B_S1B_jjS1D_bEUljE0_EEESW_SX_SY_S15_S19_S1B_T6_T7_T9_mT8_S1D_bDpT10_ENKUlT_T0_E_clISt17integral_constantIbLb1EES1R_EEDaS1M_S1N_EUlS1M_E_NS1_11comp_targetILNS1_3genE10ELNS1_11target_archE1200ELNS1_3gpuE4ELNS1_3repE0EEENS1_30default_config_static_selectorELNS0_4arch9wavefront6targetE1EEEvSZ_.has_recursion, 0
	.set _ZN7rocprim17ROCPRIM_400000_NS6detail17trampoline_kernelINS0_13select_configILj256ELj13ELNS0_17block_load_methodE3ELS4_3ELS4_3ELNS0_20block_scan_algorithmE0ELj4294967295EEENS1_25partition_config_selectorILNS1_17partition_subalgoE4EjNS0_10empty_typeEbEEZZNS1_14partition_implILS8_4ELb0ES6_15HIP_vector_typeIjLj2EENS0_17counting_iteratorIjlEEPS9_SG_NS0_5tupleIJPjSI_NS0_16reverse_iteratorISI_EEEEENSH_IJSG_SG_SG_EEES9_SI_JZNS1_25segmented_radix_sort_implINS0_14default_configELb0EPKlPlSQ_SR_N2at6native12_GLOBAL__N_18offset_tEEE10hipError_tPvRmT1_PNSt15iterator_traitsISZ_E10value_typeET2_T3_PNS10_IS15_E10value_typeET4_jRbjT5_S1B_jjP12ihipStream_tbEUljE_ZNSN_ISO_Lb0ESQ_SR_SQ_SR_SV_EESW_SX_SY_SZ_S13_S14_S15_S18_S19_jS1A_jS1B_S1B_jjS1D_bEUljE0_EEESW_SX_SY_S15_S19_S1B_T6_T7_T9_mT8_S1D_bDpT10_ENKUlT_T0_E_clISt17integral_constantIbLb1EES1R_EEDaS1M_S1N_EUlS1M_E_NS1_11comp_targetILNS1_3genE10ELNS1_11target_archE1200ELNS1_3gpuE4ELNS1_3repE0EEENS1_30default_config_static_selectorELNS0_4arch9wavefront6targetE1EEEvSZ_.has_indirect_call, 0
	.section	.AMDGPU.csdata,"",@progbits
; Kernel info:
; codeLenInByte = 0
; TotalNumSgprs: 4
; NumVgprs: 0
; ScratchSize: 0
; MemoryBound: 0
; FloatMode: 240
; IeeeMode: 1
; LDSByteSize: 0 bytes/workgroup (compile time only)
; SGPRBlocks: 0
; VGPRBlocks: 0
; NumSGPRsForWavesPerEU: 4
; NumVGPRsForWavesPerEU: 1
; Occupancy: 10
; WaveLimiterHint : 0
; COMPUTE_PGM_RSRC2:SCRATCH_EN: 0
; COMPUTE_PGM_RSRC2:USER_SGPR: 6
; COMPUTE_PGM_RSRC2:TRAP_HANDLER: 0
; COMPUTE_PGM_RSRC2:TGID_X_EN: 1
; COMPUTE_PGM_RSRC2:TGID_Y_EN: 0
; COMPUTE_PGM_RSRC2:TGID_Z_EN: 0
; COMPUTE_PGM_RSRC2:TIDIG_COMP_CNT: 0
	.section	.text._ZN7rocprim17ROCPRIM_400000_NS6detail17trampoline_kernelINS0_13select_configILj256ELj13ELNS0_17block_load_methodE3ELS4_3ELS4_3ELNS0_20block_scan_algorithmE0ELj4294967295EEENS1_25partition_config_selectorILNS1_17partition_subalgoE4EjNS0_10empty_typeEbEEZZNS1_14partition_implILS8_4ELb0ES6_15HIP_vector_typeIjLj2EENS0_17counting_iteratorIjlEEPS9_SG_NS0_5tupleIJPjSI_NS0_16reverse_iteratorISI_EEEEENSH_IJSG_SG_SG_EEES9_SI_JZNS1_25segmented_radix_sort_implINS0_14default_configELb0EPKlPlSQ_SR_N2at6native12_GLOBAL__N_18offset_tEEE10hipError_tPvRmT1_PNSt15iterator_traitsISZ_E10value_typeET2_T3_PNS10_IS15_E10value_typeET4_jRbjT5_S1B_jjP12ihipStream_tbEUljE_ZNSN_ISO_Lb0ESQ_SR_SQ_SR_SV_EESW_SX_SY_SZ_S13_S14_S15_S18_S19_jS1A_jS1B_S1B_jjS1D_bEUljE0_EEESW_SX_SY_S15_S19_S1B_T6_T7_T9_mT8_S1D_bDpT10_ENKUlT_T0_E_clISt17integral_constantIbLb1EES1R_EEDaS1M_S1N_EUlS1M_E_NS1_11comp_targetILNS1_3genE9ELNS1_11target_archE1100ELNS1_3gpuE3ELNS1_3repE0EEENS1_30default_config_static_selectorELNS0_4arch9wavefront6targetE1EEEvSZ_,"axG",@progbits,_ZN7rocprim17ROCPRIM_400000_NS6detail17trampoline_kernelINS0_13select_configILj256ELj13ELNS0_17block_load_methodE3ELS4_3ELS4_3ELNS0_20block_scan_algorithmE0ELj4294967295EEENS1_25partition_config_selectorILNS1_17partition_subalgoE4EjNS0_10empty_typeEbEEZZNS1_14partition_implILS8_4ELb0ES6_15HIP_vector_typeIjLj2EENS0_17counting_iteratorIjlEEPS9_SG_NS0_5tupleIJPjSI_NS0_16reverse_iteratorISI_EEEEENSH_IJSG_SG_SG_EEES9_SI_JZNS1_25segmented_radix_sort_implINS0_14default_configELb0EPKlPlSQ_SR_N2at6native12_GLOBAL__N_18offset_tEEE10hipError_tPvRmT1_PNSt15iterator_traitsISZ_E10value_typeET2_T3_PNS10_IS15_E10value_typeET4_jRbjT5_S1B_jjP12ihipStream_tbEUljE_ZNSN_ISO_Lb0ESQ_SR_SQ_SR_SV_EESW_SX_SY_SZ_S13_S14_S15_S18_S19_jS1A_jS1B_S1B_jjS1D_bEUljE0_EEESW_SX_SY_S15_S19_S1B_T6_T7_T9_mT8_S1D_bDpT10_ENKUlT_T0_E_clISt17integral_constantIbLb1EES1R_EEDaS1M_S1N_EUlS1M_E_NS1_11comp_targetILNS1_3genE9ELNS1_11target_archE1100ELNS1_3gpuE3ELNS1_3repE0EEENS1_30default_config_static_selectorELNS0_4arch9wavefront6targetE1EEEvSZ_,comdat
	.globl	_ZN7rocprim17ROCPRIM_400000_NS6detail17trampoline_kernelINS0_13select_configILj256ELj13ELNS0_17block_load_methodE3ELS4_3ELS4_3ELNS0_20block_scan_algorithmE0ELj4294967295EEENS1_25partition_config_selectorILNS1_17partition_subalgoE4EjNS0_10empty_typeEbEEZZNS1_14partition_implILS8_4ELb0ES6_15HIP_vector_typeIjLj2EENS0_17counting_iteratorIjlEEPS9_SG_NS0_5tupleIJPjSI_NS0_16reverse_iteratorISI_EEEEENSH_IJSG_SG_SG_EEES9_SI_JZNS1_25segmented_radix_sort_implINS0_14default_configELb0EPKlPlSQ_SR_N2at6native12_GLOBAL__N_18offset_tEEE10hipError_tPvRmT1_PNSt15iterator_traitsISZ_E10value_typeET2_T3_PNS10_IS15_E10value_typeET4_jRbjT5_S1B_jjP12ihipStream_tbEUljE_ZNSN_ISO_Lb0ESQ_SR_SQ_SR_SV_EESW_SX_SY_SZ_S13_S14_S15_S18_S19_jS1A_jS1B_S1B_jjS1D_bEUljE0_EEESW_SX_SY_S15_S19_S1B_T6_T7_T9_mT8_S1D_bDpT10_ENKUlT_T0_E_clISt17integral_constantIbLb1EES1R_EEDaS1M_S1N_EUlS1M_E_NS1_11comp_targetILNS1_3genE9ELNS1_11target_archE1100ELNS1_3gpuE3ELNS1_3repE0EEENS1_30default_config_static_selectorELNS0_4arch9wavefront6targetE1EEEvSZ_ ; -- Begin function _ZN7rocprim17ROCPRIM_400000_NS6detail17trampoline_kernelINS0_13select_configILj256ELj13ELNS0_17block_load_methodE3ELS4_3ELS4_3ELNS0_20block_scan_algorithmE0ELj4294967295EEENS1_25partition_config_selectorILNS1_17partition_subalgoE4EjNS0_10empty_typeEbEEZZNS1_14partition_implILS8_4ELb0ES6_15HIP_vector_typeIjLj2EENS0_17counting_iteratorIjlEEPS9_SG_NS0_5tupleIJPjSI_NS0_16reverse_iteratorISI_EEEEENSH_IJSG_SG_SG_EEES9_SI_JZNS1_25segmented_radix_sort_implINS0_14default_configELb0EPKlPlSQ_SR_N2at6native12_GLOBAL__N_18offset_tEEE10hipError_tPvRmT1_PNSt15iterator_traitsISZ_E10value_typeET2_T3_PNS10_IS15_E10value_typeET4_jRbjT5_S1B_jjP12ihipStream_tbEUljE_ZNSN_ISO_Lb0ESQ_SR_SQ_SR_SV_EESW_SX_SY_SZ_S13_S14_S15_S18_S19_jS1A_jS1B_S1B_jjS1D_bEUljE0_EEESW_SX_SY_S15_S19_S1B_T6_T7_T9_mT8_S1D_bDpT10_ENKUlT_T0_E_clISt17integral_constantIbLb1EES1R_EEDaS1M_S1N_EUlS1M_E_NS1_11comp_targetILNS1_3genE9ELNS1_11target_archE1100ELNS1_3gpuE3ELNS1_3repE0EEENS1_30default_config_static_selectorELNS0_4arch9wavefront6targetE1EEEvSZ_
	.p2align	8
	.type	_ZN7rocprim17ROCPRIM_400000_NS6detail17trampoline_kernelINS0_13select_configILj256ELj13ELNS0_17block_load_methodE3ELS4_3ELS4_3ELNS0_20block_scan_algorithmE0ELj4294967295EEENS1_25partition_config_selectorILNS1_17partition_subalgoE4EjNS0_10empty_typeEbEEZZNS1_14partition_implILS8_4ELb0ES6_15HIP_vector_typeIjLj2EENS0_17counting_iteratorIjlEEPS9_SG_NS0_5tupleIJPjSI_NS0_16reverse_iteratorISI_EEEEENSH_IJSG_SG_SG_EEES9_SI_JZNS1_25segmented_radix_sort_implINS0_14default_configELb0EPKlPlSQ_SR_N2at6native12_GLOBAL__N_18offset_tEEE10hipError_tPvRmT1_PNSt15iterator_traitsISZ_E10value_typeET2_T3_PNS10_IS15_E10value_typeET4_jRbjT5_S1B_jjP12ihipStream_tbEUljE_ZNSN_ISO_Lb0ESQ_SR_SQ_SR_SV_EESW_SX_SY_SZ_S13_S14_S15_S18_S19_jS1A_jS1B_S1B_jjS1D_bEUljE0_EEESW_SX_SY_S15_S19_S1B_T6_T7_T9_mT8_S1D_bDpT10_ENKUlT_T0_E_clISt17integral_constantIbLb1EES1R_EEDaS1M_S1N_EUlS1M_E_NS1_11comp_targetILNS1_3genE9ELNS1_11target_archE1100ELNS1_3gpuE3ELNS1_3repE0EEENS1_30default_config_static_selectorELNS0_4arch9wavefront6targetE1EEEvSZ_,@function
_ZN7rocprim17ROCPRIM_400000_NS6detail17trampoline_kernelINS0_13select_configILj256ELj13ELNS0_17block_load_methodE3ELS4_3ELS4_3ELNS0_20block_scan_algorithmE0ELj4294967295EEENS1_25partition_config_selectorILNS1_17partition_subalgoE4EjNS0_10empty_typeEbEEZZNS1_14partition_implILS8_4ELb0ES6_15HIP_vector_typeIjLj2EENS0_17counting_iteratorIjlEEPS9_SG_NS0_5tupleIJPjSI_NS0_16reverse_iteratorISI_EEEEENSH_IJSG_SG_SG_EEES9_SI_JZNS1_25segmented_radix_sort_implINS0_14default_configELb0EPKlPlSQ_SR_N2at6native12_GLOBAL__N_18offset_tEEE10hipError_tPvRmT1_PNSt15iterator_traitsISZ_E10value_typeET2_T3_PNS10_IS15_E10value_typeET4_jRbjT5_S1B_jjP12ihipStream_tbEUljE_ZNSN_ISO_Lb0ESQ_SR_SQ_SR_SV_EESW_SX_SY_SZ_S13_S14_S15_S18_S19_jS1A_jS1B_S1B_jjS1D_bEUljE0_EEESW_SX_SY_S15_S19_S1B_T6_T7_T9_mT8_S1D_bDpT10_ENKUlT_T0_E_clISt17integral_constantIbLb1EES1R_EEDaS1M_S1N_EUlS1M_E_NS1_11comp_targetILNS1_3genE9ELNS1_11target_archE1100ELNS1_3gpuE3ELNS1_3repE0EEENS1_30default_config_static_selectorELNS0_4arch9wavefront6targetE1EEEvSZ_: ; @_ZN7rocprim17ROCPRIM_400000_NS6detail17trampoline_kernelINS0_13select_configILj256ELj13ELNS0_17block_load_methodE3ELS4_3ELS4_3ELNS0_20block_scan_algorithmE0ELj4294967295EEENS1_25partition_config_selectorILNS1_17partition_subalgoE4EjNS0_10empty_typeEbEEZZNS1_14partition_implILS8_4ELb0ES6_15HIP_vector_typeIjLj2EENS0_17counting_iteratorIjlEEPS9_SG_NS0_5tupleIJPjSI_NS0_16reverse_iteratorISI_EEEEENSH_IJSG_SG_SG_EEES9_SI_JZNS1_25segmented_radix_sort_implINS0_14default_configELb0EPKlPlSQ_SR_N2at6native12_GLOBAL__N_18offset_tEEE10hipError_tPvRmT1_PNSt15iterator_traitsISZ_E10value_typeET2_T3_PNS10_IS15_E10value_typeET4_jRbjT5_S1B_jjP12ihipStream_tbEUljE_ZNSN_ISO_Lb0ESQ_SR_SQ_SR_SV_EESW_SX_SY_SZ_S13_S14_S15_S18_S19_jS1A_jS1B_S1B_jjS1D_bEUljE0_EEESW_SX_SY_S15_S19_S1B_T6_T7_T9_mT8_S1D_bDpT10_ENKUlT_T0_E_clISt17integral_constantIbLb1EES1R_EEDaS1M_S1N_EUlS1M_E_NS1_11comp_targetILNS1_3genE9ELNS1_11target_archE1100ELNS1_3gpuE3ELNS1_3repE0EEENS1_30default_config_static_selectorELNS0_4arch9wavefront6targetE1EEEvSZ_
; %bb.0:
	.section	.rodata,"a",@progbits
	.p2align	6, 0x0
	.amdhsa_kernel _ZN7rocprim17ROCPRIM_400000_NS6detail17trampoline_kernelINS0_13select_configILj256ELj13ELNS0_17block_load_methodE3ELS4_3ELS4_3ELNS0_20block_scan_algorithmE0ELj4294967295EEENS1_25partition_config_selectorILNS1_17partition_subalgoE4EjNS0_10empty_typeEbEEZZNS1_14partition_implILS8_4ELb0ES6_15HIP_vector_typeIjLj2EENS0_17counting_iteratorIjlEEPS9_SG_NS0_5tupleIJPjSI_NS0_16reverse_iteratorISI_EEEEENSH_IJSG_SG_SG_EEES9_SI_JZNS1_25segmented_radix_sort_implINS0_14default_configELb0EPKlPlSQ_SR_N2at6native12_GLOBAL__N_18offset_tEEE10hipError_tPvRmT1_PNSt15iterator_traitsISZ_E10value_typeET2_T3_PNS10_IS15_E10value_typeET4_jRbjT5_S1B_jjP12ihipStream_tbEUljE_ZNSN_ISO_Lb0ESQ_SR_SQ_SR_SV_EESW_SX_SY_SZ_S13_S14_S15_S18_S19_jS1A_jS1B_S1B_jjS1D_bEUljE0_EEESW_SX_SY_S15_S19_S1B_T6_T7_T9_mT8_S1D_bDpT10_ENKUlT_T0_E_clISt17integral_constantIbLb1EES1R_EEDaS1M_S1N_EUlS1M_E_NS1_11comp_targetILNS1_3genE9ELNS1_11target_archE1100ELNS1_3gpuE3ELNS1_3repE0EEENS1_30default_config_static_selectorELNS0_4arch9wavefront6targetE1EEEvSZ_
		.amdhsa_group_segment_fixed_size 0
		.amdhsa_private_segment_fixed_size 0
		.amdhsa_kernarg_size 184
		.amdhsa_user_sgpr_count 6
		.amdhsa_user_sgpr_private_segment_buffer 1
		.amdhsa_user_sgpr_dispatch_ptr 0
		.amdhsa_user_sgpr_queue_ptr 0
		.amdhsa_user_sgpr_kernarg_segment_ptr 1
		.amdhsa_user_sgpr_dispatch_id 0
		.amdhsa_user_sgpr_flat_scratch_init 0
		.amdhsa_user_sgpr_private_segment_size 0
		.amdhsa_uses_dynamic_stack 0
		.amdhsa_system_sgpr_private_segment_wavefront_offset 0
		.amdhsa_system_sgpr_workgroup_id_x 1
		.amdhsa_system_sgpr_workgroup_id_y 0
		.amdhsa_system_sgpr_workgroup_id_z 0
		.amdhsa_system_sgpr_workgroup_info 0
		.amdhsa_system_vgpr_workitem_id 0
		.amdhsa_next_free_vgpr 1
		.amdhsa_next_free_sgpr 0
		.amdhsa_reserve_vcc 0
		.amdhsa_reserve_flat_scratch 0
		.amdhsa_float_round_mode_32 0
		.amdhsa_float_round_mode_16_64 0
		.amdhsa_float_denorm_mode_32 3
		.amdhsa_float_denorm_mode_16_64 3
		.amdhsa_dx10_clamp 1
		.amdhsa_ieee_mode 1
		.amdhsa_fp16_overflow 0
		.amdhsa_exception_fp_ieee_invalid_op 0
		.amdhsa_exception_fp_denorm_src 0
		.amdhsa_exception_fp_ieee_div_zero 0
		.amdhsa_exception_fp_ieee_overflow 0
		.amdhsa_exception_fp_ieee_underflow 0
		.amdhsa_exception_fp_ieee_inexact 0
		.amdhsa_exception_int_div_zero 0
	.end_amdhsa_kernel
	.section	.text._ZN7rocprim17ROCPRIM_400000_NS6detail17trampoline_kernelINS0_13select_configILj256ELj13ELNS0_17block_load_methodE3ELS4_3ELS4_3ELNS0_20block_scan_algorithmE0ELj4294967295EEENS1_25partition_config_selectorILNS1_17partition_subalgoE4EjNS0_10empty_typeEbEEZZNS1_14partition_implILS8_4ELb0ES6_15HIP_vector_typeIjLj2EENS0_17counting_iteratorIjlEEPS9_SG_NS0_5tupleIJPjSI_NS0_16reverse_iteratorISI_EEEEENSH_IJSG_SG_SG_EEES9_SI_JZNS1_25segmented_radix_sort_implINS0_14default_configELb0EPKlPlSQ_SR_N2at6native12_GLOBAL__N_18offset_tEEE10hipError_tPvRmT1_PNSt15iterator_traitsISZ_E10value_typeET2_T3_PNS10_IS15_E10value_typeET4_jRbjT5_S1B_jjP12ihipStream_tbEUljE_ZNSN_ISO_Lb0ESQ_SR_SQ_SR_SV_EESW_SX_SY_SZ_S13_S14_S15_S18_S19_jS1A_jS1B_S1B_jjS1D_bEUljE0_EEESW_SX_SY_S15_S19_S1B_T6_T7_T9_mT8_S1D_bDpT10_ENKUlT_T0_E_clISt17integral_constantIbLb1EES1R_EEDaS1M_S1N_EUlS1M_E_NS1_11comp_targetILNS1_3genE9ELNS1_11target_archE1100ELNS1_3gpuE3ELNS1_3repE0EEENS1_30default_config_static_selectorELNS0_4arch9wavefront6targetE1EEEvSZ_,"axG",@progbits,_ZN7rocprim17ROCPRIM_400000_NS6detail17trampoline_kernelINS0_13select_configILj256ELj13ELNS0_17block_load_methodE3ELS4_3ELS4_3ELNS0_20block_scan_algorithmE0ELj4294967295EEENS1_25partition_config_selectorILNS1_17partition_subalgoE4EjNS0_10empty_typeEbEEZZNS1_14partition_implILS8_4ELb0ES6_15HIP_vector_typeIjLj2EENS0_17counting_iteratorIjlEEPS9_SG_NS0_5tupleIJPjSI_NS0_16reverse_iteratorISI_EEEEENSH_IJSG_SG_SG_EEES9_SI_JZNS1_25segmented_radix_sort_implINS0_14default_configELb0EPKlPlSQ_SR_N2at6native12_GLOBAL__N_18offset_tEEE10hipError_tPvRmT1_PNSt15iterator_traitsISZ_E10value_typeET2_T3_PNS10_IS15_E10value_typeET4_jRbjT5_S1B_jjP12ihipStream_tbEUljE_ZNSN_ISO_Lb0ESQ_SR_SQ_SR_SV_EESW_SX_SY_SZ_S13_S14_S15_S18_S19_jS1A_jS1B_S1B_jjS1D_bEUljE0_EEESW_SX_SY_S15_S19_S1B_T6_T7_T9_mT8_S1D_bDpT10_ENKUlT_T0_E_clISt17integral_constantIbLb1EES1R_EEDaS1M_S1N_EUlS1M_E_NS1_11comp_targetILNS1_3genE9ELNS1_11target_archE1100ELNS1_3gpuE3ELNS1_3repE0EEENS1_30default_config_static_selectorELNS0_4arch9wavefront6targetE1EEEvSZ_,comdat
.Lfunc_end757:
	.size	_ZN7rocprim17ROCPRIM_400000_NS6detail17trampoline_kernelINS0_13select_configILj256ELj13ELNS0_17block_load_methodE3ELS4_3ELS4_3ELNS0_20block_scan_algorithmE0ELj4294967295EEENS1_25partition_config_selectorILNS1_17partition_subalgoE4EjNS0_10empty_typeEbEEZZNS1_14partition_implILS8_4ELb0ES6_15HIP_vector_typeIjLj2EENS0_17counting_iteratorIjlEEPS9_SG_NS0_5tupleIJPjSI_NS0_16reverse_iteratorISI_EEEEENSH_IJSG_SG_SG_EEES9_SI_JZNS1_25segmented_radix_sort_implINS0_14default_configELb0EPKlPlSQ_SR_N2at6native12_GLOBAL__N_18offset_tEEE10hipError_tPvRmT1_PNSt15iterator_traitsISZ_E10value_typeET2_T3_PNS10_IS15_E10value_typeET4_jRbjT5_S1B_jjP12ihipStream_tbEUljE_ZNSN_ISO_Lb0ESQ_SR_SQ_SR_SV_EESW_SX_SY_SZ_S13_S14_S15_S18_S19_jS1A_jS1B_S1B_jjS1D_bEUljE0_EEESW_SX_SY_S15_S19_S1B_T6_T7_T9_mT8_S1D_bDpT10_ENKUlT_T0_E_clISt17integral_constantIbLb1EES1R_EEDaS1M_S1N_EUlS1M_E_NS1_11comp_targetILNS1_3genE9ELNS1_11target_archE1100ELNS1_3gpuE3ELNS1_3repE0EEENS1_30default_config_static_selectorELNS0_4arch9wavefront6targetE1EEEvSZ_, .Lfunc_end757-_ZN7rocprim17ROCPRIM_400000_NS6detail17trampoline_kernelINS0_13select_configILj256ELj13ELNS0_17block_load_methodE3ELS4_3ELS4_3ELNS0_20block_scan_algorithmE0ELj4294967295EEENS1_25partition_config_selectorILNS1_17partition_subalgoE4EjNS0_10empty_typeEbEEZZNS1_14partition_implILS8_4ELb0ES6_15HIP_vector_typeIjLj2EENS0_17counting_iteratorIjlEEPS9_SG_NS0_5tupleIJPjSI_NS0_16reverse_iteratorISI_EEEEENSH_IJSG_SG_SG_EEES9_SI_JZNS1_25segmented_radix_sort_implINS0_14default_configELb0EPKlPlSQ_SR_N2at6native12_GLOBAL__N_18offset_tEEE10hipError_tPvRmT1_PNSt15iterator_traitsISZ_E10value_typeET2_T3_PNS10_IS15_E10value_typeET4_jRbjT5_S1B_jjP12ihipStream_tbEUljE_ZNSN_ISO_Lb0ESQ_SR_SQ_SR_SV_EESW_SX_SY_SZ_S13_S14_S15_S18_S19_jS1A_jS1B_S1B_jjS1D_bEUljE0_EEESW_SX_SY_S15_S19_S1B_T6_T7_T9_mT8_S1D_bDpT10_ENKUlT_T0_E_clISt17integral_constantIbLb1EES1R_EEDaS1M_S1N_EUlS1M_E_NS1_11comp_targetILNS1_3genE9ELNS1_11target_archE1100ELNS1_3gpuE3ELNS1_3repE0EEENS1_30default_config_static_selectorELNS0_4arch9wavefront6targetE1EEEvSZ_
                                        ; -- End function
	.set _ZN7rocprim17ROCPRIM_400000_NS6detail17trampoline_kernelINS0_13select_configILj256ELj13ELNS0_17block_load_methodE3ELS4_3ELS4_3ELNS0_20block_scan_algorithmE0ELj4294967295EEENS1_25partition_config_selectorILNS1_17partition_subalgoE4EjNS0_10empty_typeEbEEZZNS1_14partition_implILS8_4ELb0ES6_15HIP_vector_typeIjLj2EENS0_17counting_iteratorIjlEEPS9_SG_NS0_5tupleIJPjSI_NS0_16reverse_iteratorISI_EEEEENSH_IJSG_SG_SG_EEES9_SI_JZNS1_25segmented_radix_sort_implINS0_14default_configELb0EPKlPlSQ_SR_N2at6native12_GLOBAL__N_18offset_tEEE10hipError_tPvRmT1_PNSt15iterator_traitsISZ_E10value_typeET2_T3_PNS10_IS15_E10value_typeET4_jRbjT5_S1B_jjP12ihipStream_tbEUljE_ZNSN_ISO_Lb0ESQ_SR_SQ_SR_SV_EESW_SX_SY_SZ_S13_S14_S15_S18_S19_jS1A_jS1B_S1B_jjS1D_bEUljE0_EEESW_SX_SY_S15_S19_S1B_T6_T7_T9_mT8_S1D_bDpT10_ENKUlT_T0_E_clISt17integral_constantIbLb1EES1R_EEDaS1M_S1N_EUlS1M_E_NS1_11comp_targetILNS1_3genE9ELNS1_11target_archE1100ELNS1_3gpuE3ELNS1_3repE0EEENS1_30default_config_static_selectorELNS0_4arch9wavefront6targetE1EEEvSZ_.num_vgpr, 0
	.set _ZN7rocprim17ROCPRIM_400000_NS6detail17trampoline_kernelINS0_13select_configILj256ELj13ELNS0_17block_load_methodE3ELS4_3ELS4_3ELNS0_20block_scan_algorithmE0ELj4294967295EEENS1_25partition_config_selectorILNS1_17partition_subalgoE4EjNS0_10empty_typeEbEEZZNS1_14partition_implILS8_4ELb0ES6_15HIP_vector_typeIjLj2EENS0_17counting_iteratorIjlEEPS9_SG_NS0_5tupleIJPjSI_NS0_16reverse_iteratorISI_EEEEENSH_IJSG_SG_SG_EEES9_SI_JZNS1_25segmented_radix_sort_implINS0_14default_configELb0EPKlPlSQ_SR_N2at6native12_GLOBAL__N_18offset_tEEE10hipError_tPvRmT1_PNSt15iterator_traitsISZ_E10value_typeET2_T3_PNS10_IS15_E10value_typeET4_jRbjT5_S1B_jjP12ihipStream_tbEUljE_ZNSN_ISO_Lb0ESQ_SR_SQ_SR_SV_EESW_SX_SY_SZ_S13_S14_S15_S18_S19_jS1A_jS1B_S1B_jjS1D_bEUljE0_EEESW_SX_SY_S15_S19_S1B_T6_T7_T9_mT8_S1D_bDpT10_ENKUlT_T0_E_clISt17integral_constantIbLb1EES1R_EEDaS1M_S1N_EUlS1M_E_NS1_11comp_targetILNS1_3genE9ELNS1_11target_archE1100ELNS1_3gpuE3ELNS1_3repE0EEENS1_30default_config_static_selectorELNS0_4arch9wavefront6targetE1EEEvSZ_.num_agpr, 0
	.set _ZN7rocprim17ROCPRIM_400000_NS6detail17trampoline_kernelINS0_13select_configILj256ELj13ELNS0_17block_load_methodE3ELS4_3ELS4_3ELNS0_20block_scan_algorithmE0ELj4294967295EEENS1_25partition_config_selectorILNS1_17partition_subalgoE4EjNS0_10empty_typeEbEEZZNS1_14partition_implILS8_4ELb0ES6_15HIP_vector_typeIjLj2EENS0_17counting_iteratorIjlEEPS9_SG_NS0_5tupleIJPjSI_NS0_16reverse_iteratorISI_EEEEENSH_IJSG_SG_SG_EEES9_SI_JZNS1_25segmented_radix_sort_implINS0_14default_configELb0EPKlPlSQ_SR_N2at6native12_GLOBAL__N_18offset_tEEE10hipError_tPvRmT1_PNSt15iterator_traitsISZ_E10value_typeET2_T3_PNS10_IS15_E10value_typeET4_jRbjT5_S1B_jjP12ihipStream_tbEUljE_ZNSN_ISO_Lb0ESQ_SR_SQ_SR_SV_EESW_SX_SY_SZ_S13_S14_S15_S18_S19_jS1A_jS1B_S1B_jjS1D_bEUljE0_EEESW_SX_SY_S15_S19_S1B_T6_T7_T9_mT8_S1D_bDpT10_ENKUlT_T0_E_clISt17integral_constantIbLb1EES1R_EEDaS1M_S1N_EUlS1M_E_NS1_11comp_targetILNS1_3genE9ELNS1_11target_archE1100ELNS1_3gpuE3ELNS1_3repE0EEENS1_30default_config_static_selectorELNS0_4arch9wavefront6targetE1EEEvSZ_.numbered_sgpr, 0
	.set _ZN7rocprim17ROCPRIM_400000_NS6detail17trampoline_kernelINS0_13select_configILj256ELj13ELNS0_17block_load_methodE3ELS4_3ELS4_3ELNS0_20block_scan_algorithmE0ELj4294967295EEENS1_25partition_config_selectorILNS1_17partition_subalgoE4EjNS0_10empty_typeEbEEZZNS1_14partition_implILS8_4ELb0ES6_15HIP_vector_typeIjLj2EENS0_17counting_iteratorIjlEEPS9_SG_NS0_5tupleIJPjSI_NS0_16reverse_iteratorISI_EEEEENSH_IJSG_SG_SG_EEES9_SI_JZNS1_25segmented_radix_sort_implINS0_14default_configELb0EPKlPlSQ_SR_N2at6native12_GLOBAL__N_18offset_tEEE10hipError_tPvRmT1_PNSt15iterator_traitsISZ_E10value_typeET2_T3_PNS10_IS15_E10value_typeET4_jRbjT5_S1B_jjP12ihipStream_tbEUljE_ZNSN_ISO_Lb0ESQ_SR_SQ_SR_SV_EESW_SX_SY_SZ_S13_S14_S15_S18_S19_jS1A_jS1B_S1B_jjS1D_bEUljE0_EEESW_SX_SY_S15_S19_S1B_T6_T7_T9_mT8_S1D_bDpT10_ENKUlT_T0_E_clISt17integral_constantIbLb1EES1R_EEDaS1M_S1N_EUlS1M_E_NS1_11comp_targetILNS1_3genE9ELNS1_11target_archE1100ELNS1_3gpuE3ELNS1_3repE0EEENS1_30default_config_static_selectorELNS0_4arch9wavefront6targetE1EEEvSZ_.num_named_barrier, 0
	.set _ZN7rocprim17ROCPRIM_400000_NS6detail17trampoline_kernelINS0_13select_configILj256ELj13ELNS0_17block_load_methodE3ELS4_3ELS4_3ELNS0_20block_scan_algorithmE0ELj4294967295EEENS1_25partition_config_selectorILNS1_17partition_subalgoE4EjNS0_10empty_typeEbEEZZNS1_14partition_implILS8_4ELb0ES6_15HIP_vector_typeIjLj2EENS0_17counting_iteratorIjlEEPS9_SG_NS0_5tupleIJPjSI_NS0_16reverse_iteratorISI_EEEEENSH_IJSG_SG_SG_EEES9_SI_JZNS1_25segmented_radix_sort_implINS0_14default_configELb0EPKlPlSQ_SR_N2at6native12_GLOBAL__N_18offset_tEEE10hipError_tPvRmT1_PNSt15iterator_traitsISZ_E10value_typeET2_T3_PNS10_IS15_E10value_typeET4_jRbjT5_S1B_jjP12ihipStream_tbEUljE_ZNSN_ISO_Lb0ESQ_SR_SQ_SR_SV_EESW_SX_SY_SZ_S13_S14_S15_S18_S19_jS1A_jS1B_S1B_jjS1D_bEUljE0_EEESW_SX_SY_S15_S19_S1B_T6_T7_T9_mT8_S1D_bDpT10_ENKUlT_T0_E_clISt17integral_constantIbLb1EES1R_EEDaS1M_S1N_EUlS1M_E_NS1_11comp_targetILNS1_3genE9ELNS1_11target_archE1100ELNS1_3gpuE3ELNS1_3repE0EEENS1_30default_config_static_selectorELNS0_4arch9wavefront6targetE1EEEvSZ_.private_seg_size, 0
	.set _ZN7rocprim17ROCPRIM_400000_NS6detail17trampoline_kernelINS0_13select_configILj256ELj13ELNS0_17block_load_methodE3ELS4_3ELS4_3ELNS0_20block_scan_algorithmE0ELj4294967295EEENS1_25partition_config_selectorILNS1_17partition_subalgoE4EjNS0_10empty_typeEbEEZZNS1_14partition_implILS8_4ELb0ES6_15HIP_vector_typeIjLj2EENS0_17counting_iteratorIjlEEPS9_SG_NS0_5tupleIJPjSI_NS0_16reverse_iteratorISI_EEEEENSH_IJSG_SG_SG_EEES9_SI_JZNS1_25segmented_radix_sort_implINS0_14default_configELb0EPKlPlSQ_SR_N2at6native12_GLOBAL__N_18offset_tEEE10hipError_tPvRmT1_PNSt15iterator_traitsISZ_E10value_typeET2_T3_PNS10_IS15_E10value_typeET4_jRbjT5_S1B_jjP12ihipStream_tbEUljE_ZNSN_ISO_Lb0ESQ_SR_SQ_SR_SV_EESW_SX_SY_SZ_S13_S14_S15_S18_S19_jS1A_jS1B_S1B_jjS1D_bEUljE0_EEESW_SX_SY_S15_S19_S1B_T6_T7_T9_mT8_S1D_bDpT10_ENKUlT_T0_E_clISt17integral_constantIbLb1EES1R_EEDaS1M_S1N_EUlS1M_E_NS1_11comp_targetILNS1_3genE9ELNS1_11target_archE1100ELNS1_3gpuE3ELNS1_3repE0EEENS1_30default_config_static_selectorELNS0_4arch9wavefront6targetE1EEEvSZ_.uses_vcc, 0
	.set _ZN7rocprim17ROCPRIM_400000_NS6detail17trampoline_kernelINS0_13select_configILj256ELj13ELNS0_17block_load_methodE3ELS4_3ELS4_3ELNS0_20block_scan_algorithmE0ELj4294967295EEENS1_25partition_config_selectorILNS1_17partition_subalgoE4EjNS0_10empty_typeEbEEZZNS1_14partition_implILS8_4ELb0ES6_15HIP_vector_typeIjLj2EENS0_17counting_iteratorIjlEEPS9_SG_NS0_5tupleIJPjSI_NS0_16reverse_iteratorISI_EEEEENSH_IJSG_SG_SG_EEES9_SI_JZNS1_25segmented_radix_sort_implINS0_14default_configELb0EPKlPlSQ_SR_N2at6native12_GLOBAL__N_18offset_tEEE10hipError_tPvRmT1_PNSt15iterator_traitsISZ_E10value_typeET2_T3_PNS10_IS15_E10value_typeET4_jRbjT5_S1B_jjP12ihipStream_tbEUljE_ZNSN_ISO_Lb0ESQ_SR_SQ_SR_SV_EESW_SX_SY_SZ_S13_S14_S15_S18_S19_jS1A_jS1B_S1B_jjS1D_bEUljE0_EEESW_SX_SY_S15_S19_S1B_T6_T7_T9_mT8_S1D_bDpT10_ENKUlT_T0_E_clISt17integral_constantIbLb1EES1R_EEDaS1M_S1N_EUlS1M_E_NS1_11comp_targetILNS1_3genE9ELNS1_11target_archE1100ELNS1_3gpuE3ELNS1_3repE0EEENS1_30default_config_static_selectorELNS0_4arch9wavefront6targetE1EEEvSZ_.uses_flat_scratch, 0
	.set _ZN7rocprim17ROCPRIM_400000_NS6detail17trampoline_kernelINS0_13select_configILj256ELj13ELNS0_17block_load_methodE3ELS4_3ELS4_3ELNS0_20block_scan_algorithmE0ELj4294967295EEENS1_25partition_config_selectorILNS1_17partition_subalgoE4EjNS0_10empty_typeEbEEZZNS1_14partition_implILS8_4ELb0ES6_15HIP_vector_typeIjLj2EENS0_17counting_iteratorIjlEEPS9_SG_NS0_5tupleIJPjSI_NS0_16reverse_iteratorISI_EEEEENSH_IJSG_SG_SG_EEES9_SI_JZNS1_25segmented_radix_sort_implINS0_14default_configELb0EPKlPlSQ_SR_N2at6native12_GLOBAL__N_18offset_tEEE10hipError_tPvRmT1_PNSt15iterator_traitsISZ_E10value_typeET2_T3_PNS10_IS15_E10value_typeET4_jRbjT5_S1B_jjP12ihipStream_tbEUljE_ZNSN_ISO_Lb0ESQ_SR_SQ_SR_SV_EESW_SX_SY_SZ_S13_S14_S15_S18_S19_jS1A_jS1B_S1B_jjS1D_bEUljE0_EEESW_SX_SY_S15_S19_S1B_T6_T7_T9_mT8_S1D_bDpT10_ENKUlT_T0_E_clISt17integral_constantIbLb1EES1R_EEDaS1M_S1N_EUlS1M_E_NS1_11comp_targetILNS1_3genE9ELNS1_11target_archE1100ELNS1_3gpuE3ELNS1_3repE0EEENS1_30default_config_static_selectorELNS0_4arch9wavefront6targetE1EEEvSZ_.has_dyn_sized_stack, 0
	.set _ZN7rocprim17ROCPRIM_400000_NS6detail17trampoline_kernelINS0_13select_configILj256ELj13ELNS0_17block_load_methodE3ELS4_3ELS4_3ELNS0_20block_scan_algorithmE0ELj4294967295EEENS1_25partition_config_selectorILNS1_17partition_subalgoE4EjNS0_10empty_typeEbEEZZNS1_14partition_implILS8_4ELb0ES6_15HIP_vector_typeIjLj2EENS0_17counting_iteratorIjlEEPS9_SG_NS0_5tupleIJPjSI_NS0_16reverse_iteratorISI_EEEEENSH_IJSG_SG_SG_EEES9_SI_JZNS1_25segmented_radix_sort_implINS0_14default_configELb0EPKlPlSQ_SR_N2at6native12_GLOBAL__N_18offset_tEEE10hipError_tPvRmT1_PNSt15iterator_traitsISZ_E10value_typeET2_T3_PNS10_IS15_E10value_typeET4_jRbjT5_S1B_jjP12ihipStream_tbEUljE_ZNSN_ISO_Lb0ESQ_SR_SQ_SR_SV_EESW_SX_SY_SZ_S13_S14_S15_S18_S19_jS1A_jS1B_S1B_jjS1D_bEUljE0_EEESW_SX_SY_S15_S19_S1B_T6_T7_T9_mT8_S1D_bDpT10_ENKUlT_T0_E_clISt17integral_constantIbLb1EES1R_EEDaS1M_S1N_EUlS1M_E_NS1_11comp_targetILNS1_3genE9ELNS1_11target_archE1100ELNS1_3gpuE3ELNS1_3repE0EEENS1_30default_config_static_selectorELNS0_4arch9wavefront6targetE1EEEvSZ_.has_recursion, 0
	.set _ZN7rocprim17ROCPRIM_400000_NS6detail17trampoline_kernelINS0_13select_configILj256ELj13ELNS0_17block_load_methodE3ELS4_3ELS4_3ELNS0_20block_scan_algorithmE0ELj4294967295EEENS1_25partition_config_selectorILNS1_17partition_subalgoE4EjNS0_10empty_typeEbEEZZNS1_14partition_implILS8_4ELb0ES6_15HIP_vector_typeIjLj2EENS0_17counting_iteratorIjlEEPS9_SG_NS0_5tupleIJPjSI_NS0_16reverse_iteratorISI_EEEEENSH_IJSG_SG_SG_EEES9_SI_JZNS1_25segmented_radix_sort_implINS0_14default_configELb0EPKlPlSQ_SR_N2at6native12_GLOBAL__N_18offset_tEEE10hipError_tPvRmT1_PNSt15iterator_traitsISZ_E10value_typeET2_T3_PNS10_IS15_E10value_typeET4_jRbjT5_S1B_jjP12ihipStream_tbEUljE_ZNSN_ISO_Lb0ESQ_SR_SQ_SR_SV_EESW_SX_SY_SZ_S13_S14_S15_S18_S19_jS1A_jS1B_S1B_jjS1D_bEUljE0_EEESW_SX_SY_S15_S19_S1B_T6_T7_T9_mT8_S1D_bDpT10_ENKUlT_T0_E_clISt17integral_constantIbLb1EES1R_EEDaS1M_S1N_EUlS1M_E_NS1_11comp_targetILNS1_3genE9ELNS1_11target_archE1100ELNS1_3gpuE3ELNS1_3repE0EEENS1_30default_config_static_selectorELNS0_4arch9wavefront6targetE1EEEvSZ_.has_indirect_call, 0
	.section	.AMDGPU.csdata,"",@progbits
; Kernel info:
; codeLenInByte = 0
; TotalNumSgprs: 4
; NumVgprs: 0
; ScratchSize: 0
; MemoryBound: 0
; FloatMode: 240
; IeeeMode: 1
; LDSByteSize: 0 bytes/workgroup (compile time only)
; SGPRBlocks: 0
; VGPRBlocks: 0
; NumSGPRsForWavesPerEU: 4
; NumVGPRsForWavesPerEU: 1
; Occupancy: 10
; WaveLimiterHint : 0
; COMPUTE_PGM_RSRC2:SCRATCH_EN: 0
; COMPUTE_PGM_RSRC2:USER_SGPR: 6
; COMPUTE_PGM_RSRC2:TRAP_HANDLER: 0
; COMPUTE_PGM_RSRC2:TGID_X_EN: 1
; COMPUTE_PGM_RSRC2:TGID_Y_EN: 0
; COMPUTE_PGM_RSRC2:TGID_Z_EN: 0
; COMPUTE_PGM_RSRC2:TIDIG_COMP_CNT: 0
	.section	.text._ZN7rocprim17ROCPRIM_400000_NS6detail17trampoline_kernelINS0_13select_configILj256ELj13ELNS0_17block_load_methodE3ELS4_3ELS4_3ELNS0_20block_scan_algorithmE0ELj4294967295EEENS1_25partition_config_selectorILNS1_17partition_subalgoE4EjNS0_10empty_typeEbEEZZNS1_14partition_implILS8_4ELb0ES6_15HIP_vector_typeIjLj2EENS0_17counting_iteratorIjlEEPS9_SG_NS0_5tupleIJPjSI_NS0_16reverse_iteratorISI_EEEEENSH_IJSG_SG_SG_EEES9_SI_JZNS1_25segmented_radix_sort_implINS0_14default_configELb0EPKlPlSQ_SR_N2at6native12_GLOBAL__N_18offset_tEEE10hipError_tPvRmT1_PNSt15iterator_traitsISZ_E10value_typeET2_T3_PNS10_IS15_E10value_typeET4_jRbjT5_S1B_jjP12ihipStream_tbEUljE_ZNSN_ISO_Lb0ESQ_SR_SQ_SR_SV_EESW_SX_SY_SZ_S13_S14_S15_S18_S19_jS1A_jS1B_S1B_jjS1D_bEUljE0_EEESW_SX_SY_S15_S19_S1B_T6_T7_T9_mT8_S1D_bDpT10_ENKUlT_T0_E_clISt17integral_constantIbLb1EES1R_EEDaS1M_S1N_EUlS1M_E_NS1_11comp_targetILNS1_3genE8ELNS1_11target_archE1030ELNS1_3gpuE2ELNS1_3repE0EEENS1_30default_config_static_selectorELNS0_4arch9wavefront6targetE1EEEvSZ_,"axG",@progbits,_ZN7rocprim17ROCPRIM_400000_NS6detail17trampoline_kernelINS0_13select_configILj256ELj13ELNS0_17block_load_methodE3ELS4_3ELS4_3ELNS0_20block_scan_algorithmE0ELj4294967295EEENS1_25partition_config_selectorILNS1_17partition_subalgoE4EjNS0_10empty_typeEbEEZZNS1_14partition_implILS8_4ELb0ES6_15HIP_vector_typeIjLj2EENS0_17counting_iteratorIjlEEPS9_SG_NS0_5tupleIJPjSI_NS0_16reverse_iteratorISI_EEEEENSH_IJSG_SG_SG_EEES9_SI_JZNS1_25segmented_radix_sort_implINS0_14default_configELb0EPKlPlSQ_SR_N2at6native12_GLOBAL__N_18offset_tEEE10hipError_tPvRmT1_PNSt15iterator_traitsISZ_E10value_typeET2_T3_PNS10_IS15_E10value_typeET4_jRbjT5_S1B_jjP12ihipStream_tbEUljE_ZNSN_ISO_Lb0ESQ_SR_SQ_SR_SV_EESW_SX_SY_SZ_S13_S14_S15_S18_S19_jS1A_jS1B_S1B_jjS1D_bEUljE0_EEESW_SX_SY_S15_S19_S1B_T6_T7_T9_mT8_S1D_bDpT10_ENKUlT_T0_E_clISt17integral_constantIbLb1EES1R_EEDaS1M_S1N_EUlS1M_E_NS1_11comp_targetILNS1_3genE8ELNS1_11target_archE1030ELNS1_3gpuE2ELNS1_3repE0EEENS1_30default_config_static_selectorELNS0_4arch9wavefront6targetE1EEEvSZ_,comdat
	.globl	_ZN7rocprim17ROCPRIM_400000_NS6detail17trampoline_kernelINS0_13select_configILj256ELj13ELNS0_17block_load_methodE3ELS4_3ELS4_3ELNS0_20block_scan_algorithmE0ELj4294967295EEENS1_25partition_config_selectorILNS1_17partition_subalgoE4EjNS0_10empty_typeEbEEZZNS1_14partition_implILS8_4ELb0ES6_15HIP_vector_typeIjLj2EENS0_17counting_iteratorIjlEEPS9_SG_NS0_5tupleIJPjSI_NS0_16reverse_iteratorISI_EEEEENSH_IJSG_SG_SG_EEES9_SI_JZNS1_25segmented_radix_sort_implINS0_14default_configELb0EPKlPlSQ_SR_N2at6native12_GLOBAL__N_18offset_tEEE10hipError_tPvRmT1_PNSt15iterator_traitsISZ_E10value_typeET2_T3_PNS10_IS15_E10value_typeET4_jRbjT5_S1B_jjP12ihipStream_tbEUljE_ZNSN_ISO_Lb0ESQ_SR_SQ_SR_SV_EESW_SX_SY_SZ_S13_S14_S15_S18_S19_jS1A_jS1B_S1B_jjS1D_bEUljE0_EEESW_SX_SY_S15_S19_S1B_T6_T7_T9_mT8_S1D_bDpT10_ENKUlT_T0_E_clISt17integral_constantIbLb1EES1R_EEDaS1M_S1N_EUlS1M_E_NS1_11comp_targetILNS1_3genE8ELNS1_11target_archE1030ELNS1_3gpuE2ELNS1_3repE0EEENS1_30default_config_static_selectorELNS0_4arch9wavefront6targetE1EEEvSZ_ ; -- Begin function _ZN7rocprim17ROCPRIM_400000_NS6detail17trampoline_kernelINS0_13select_configILj256ELj13ELNS0_17block_load_methodE3ELS4_3ELS4_3ELNS0_20block_scan_algorithmE0ELj4294967295EEENS1_25partition_config_selectorILNS1_17partition_subalgoE4EjNS0_10empty_typeEbEEZZNS1_14partition_implILS8_4ELb0ES6_15HIP_vector_typeIjLj2EENS0_17counting_iteratorIjlEEPS9_SG_NS0_5tupleIJPjSI_NS0_16reverse_iteratorISI_EEEEENSH_IJSG_SG_SG_EEES9_SI_JZNS1_25segmented_radix_sort_implINS0_14default_configELb0EPKlPlSQ_SR_N2at6native12_GLOBAL__N_18offset_tEEE10hipError_tPvRmT1_PNSt15iterator_traitsISZ_E10value_typeET2_T3_PNS10_IS15_E10value_typeET4_jRbjT5_S1B_jjP12ihipStream_tbEUljE_ZNSN_ISO_Lb0ESQ_SR_SQ_SR_SV_EESW_SX_SY_SZ_S13_S14_S15_S18_S19_jS1A_jS1B_S1B_jjS1D_bEUljE0_EEESW_SX_SY_S15_S19_S1B_T6_T7_T9_mT8_S1D_bDpT10_ENKUlT_T0_E_clISt17integral_constantIbLb1EES1R_EEDaS1M_S1N_EUlS1M_E_NS1_11comp_targetILNS1_3genE8ELNS1_11target_archE1030ELNS1_3gpuE2ELNS1_3repE0EEENS1_30default_config_static_selectorELNS0_4arch9wavefront6targetE1EEEvSZ_
	.p2align	8
	.type	_ZN7rocprim17ROCPRIM_400000_NS6detail17trampoline_kernelINS0_13select_configILj256ELj13ELNS0_17block_load_methodE3ELS4_3ELS4_3ELNS0_20block_scan_algorithmE0ELj4294967295EEENS1_25partition_config_selectorILNS1_17partition_subalgoE4EjNS0_10empty_typeEbEEZZNS1_14partition_implILS8_4ELb0ES6_15HIP_vector_typeIjLj2EENS0_17counting_iteratorIjlEEPS9_SG_NS0_5tupleIJPjSI_NS0_16reverse_iteratorISI_EEEEENSH_IJSG_SG_SG_EEES9_SI_JZNS1_25segmented_radix_sort_implINS0_14default_configELb0EPKlPlSQ_SR_N2at6native12_GLOBAL__N_18offset_tEEE10hipError_tPvRmT1_PNSt15iterator_traitsISZ_E10value_typeET2_T3_PNS10_IS15_E10value_typeET4_jRbjT5_S1B_jjP12ihipStream_tbEUljE_ZNSN_ISO_Lb0ESQ_SR_SQ_SR_SV_EESW_SX_SY_SZ_S13_S14_S15_S18_S19_jS1A_jS1B_S1B_jjS1D_bEUljE0_EEESW_SX_SY_S15_S19_S1B_T6_T7_T9_mT8_S1D_bDpT10_ENKUlT_T0_E_clISt17integral_constantIbLb1EES1R_EEDaS1M_S1N_EUlS1M_E_NS1_11comp_targetILNS1_3genE8ELNS1_11target_archE1030ELNS1_3gpuE2ELNS1_3repE0EEENS1_30default_config_static_selectorELNS0_4arch9wavefront6targetE1EEEvSZ_,@function
_ZN7rocprim17ROCPRIM_400000_NS6detail17trampoline_kernelINS0_13select_configILj256ELj13ELNS0_17block_load_methodE3ELS4_3ELS4_3ELNS0_20block_scan_algorithmE0ELj4294967295EEENS1_25partition_config_selectorILNS1_17partition_subalgoE4EjNS0_10empty_typeEbEEZZNS1_14partition_implILS8_4ELb0ES6_15HIP_vector_typeIjLj2EENS0_17counting_iteratorIjlEEPS9_SG_NS0_5tupleIJPjSI_NS0_16reverse_iteratorISI_EEEEENSH_IJSG_SG_SG_EEES9_SI_JZNS1_25segmented_radix_sort_implINS0_14default_configELb0EPKlPlSQ_SR_N2at6native12_GLOBAL__N_18offset_tEEE10hipError_tPvRmT1_PNSt15iterator_traitsISZ_E10value_typeET2_T3_PNS10_IS15_E10value_typeET4_jRbjT5_S1B_jjP12ihipStream_tbEUljE_ZNSN_ISO_Lb0ESQ_SR_SQ_SR_SV_EESW_SX_SY_SZ_S13_S14_S15_S18_S19_jS1A_jS1B_S1B_jjS1D_bEUljE0_EEESW_SX_SY_S15_S19_S1B_T6_T7_T9_mT8_S1D_bDpT10_ENKUlT_T0_E_clISt17integral_constantIbLb1EES1R_EEDaS1M_S1N_EUlS1M_E_NS1_11comp_targetILNS1_3genE8ELNS1_11target_archE1030ELNS1_3gpuE2ELNS1_3repE0EEENS1_30default_config_static_selectorELNS0_4arch9wavefront6targetE1EEEvSZ_: ; @_ZN7rocprim17ROCPRIM_400000_NS6detail17trampoline_kernelINS0_13select_configILj256ELj13ELNS0_17block_load_methodE3ELS4_3ELS4_3ELNS0_20block_scan_algorithmE0ELj4294967295EEENS1_25partition_config_selectorILNS1_17partition_subalgoE4EjNS0_10empty_typeEbEEZZNS1_14partition_implILS8_4ELb0ES6_15HIP_vector_typeIjLj2EENS0_17counting_iteratorIjlEEPS9_SG_NS0_5tupleIJPjSI_NS0_16reverse_iteratorISI_EEEEENSH_IJSG_SG_SG_EEES9_SI_JZNS1_25segmented_radix_sort_implINS0_14default_configELb0EPKlPlSQ_SR_N2at6native12_GLOBAL__N_18offset_tEEE10hipError_tPvRmT1_PNSt15iterator_traitsISZ_E10value_typeET2_T3_PNS10_IS15_E10value_typeET4_jRbjT5_S1B_jjP12ihipStream_tbEUljE_ZNSN_ISO_Lb0ESQ_SR_SQ_SR_SV_EESW_SX_SY_SZ_S13_S14_S15_S18_S19_jS1A_jS1B_S1B_jjS1D_bEUljE0_EEESW_SX_SY_S15_S19_S1B_T6_T7_T9_mT8_S1D_bDpT10_ENKUlT_T0_E_clISt17integral_constantIbLb1EES1R_EEDaS1M_S1N_EUlS1M_E_NS1_11comp_targetILNS1_3genE8ELNS1_11target_archE1030ELNS1_3gpuE2ELNS1_3repE0EEENS1_30default_config_static_selectorELNS0_4arch9wavefront6targetE1EEEvSZ_
; %bb.0:
	.section	.rodata,"a",@progbits
	.p2align	6, 0x0
	.amdhsa_kernel _ZN7rocprim17ROCPRIM_400000_NS6detail17trampoline_kernelINS0_13select_configILj256ELj13ELNS0_17block_load_methodE3ELS4_3ELS4_3ELNS0_20block_scan_algorithmE0ELj4294967295EEENS1_25partition_config_selectorILNS1_17partition_subalgoE4EjNS0_10empty_typeEbEEZZNS1_14partition_implILS8_4ELb0ES6_15HIP_vector_typeIjLj2EENS0_17counting_iteratorIjlEEPS9_SG_NS0_5tupleIJPjSI_NS0_16reverse_iteratorISI_EEEEENSH_IJSG_SG_SG_EEES9_SI_JZNS1_25segmented_radix_sort_implINS0_14default_configELb0EPKlPlSQ_SR_N2at6native12_GLOBAL__N_18offset_tEEE10hipError_tPvRmT1_PNSt15iterator_traitsISZ_E10value_typeET2_T3_PNS10_IS15_E10value_typeET4_jRbjT5_S1B_jjP12ihipStream_tbEUljE_ZNSN_ISO_Lb0ESQ_SR_SQ_SR_SV_EESW_SX_SY_SZ_S13_S14_S15_S18_S19_jS1A_jS1B_S1B_jjS1D_bEUljE0_EEESW_SX_SY_S15_S19_S1B_T6_T7_T9_mT8_S1D_bDpT10_ENKUlT_T0_E_clISt17integral_constantIbLb1EES1R_EEDaS1M_S1N_EUlS1M_E_NS1_11comp_targetILNS1_3genE8ELNS1_11target_archE1030ELNS1_3gpuE2ELNS1_3repE0EEENS1_30default_config_static_selectorELNS0_4arch9wavefront6targetE1EEEvSZ_
		.amdhsa_group_segment_fixed_size 0
		.amdhsa_private_segment_fixed_size 0
		.amdhsa_kernarg_size 184
		.amdhsa_user_sgpr_count 6
		.amdhsa_user_sgpr_private_segment_buffer 1
		.amdhsa_user_sgpr_dispatch_ptr 0
		.amdhsa_user_sgpr_queue_ptr 0
		.amdhsa_user_sgpr_kernarg_segment_ptr 1
		.amdhsa_user_sgpr_dispatch_id 0
		.amdhsa_user_sgpr_flat_scratch_init 0
		.amdhsa_user_sgpr_private_segment_size 0
		.amdhsa_uses_dynamic_stack 0
		.amdhsa_system_sgpr_private_segment_wavefront_offset 0
		.amdhsa_system_sgpr_workgroup_id_x 1
		.amdhsa_system_sgpr_workgroup_id_y 0
		.amdhsa_system_sgpr_workgroup_id_z 0
		.amdhsa_system_sgpr_workgroup_info 0
		.amdhsa_system_vgpr_workitem_id 0
		.amdhsa_next_free_vgpr 1
		.amdhsa_next_free_sgpr 0
		.amdhsa_reserve_vcc 0
		.amdhsa_reserve_flat_scratch 0
		.amdhsa_float_round_mode_32 0
		.amdhsa_float_round_mode_16_64 0
		.amdhsa_float_denorm_mode_32 3
		.amdhsa_float_denorm_mode_16_64 3
		.amdhsa_dx10_clamp 1
		.amdhsa_ieee_mode 1
		.amdhsa_fp16_overflow 0
		.amdhsa_exception_fp_ieee_invalid_op 0
		.amdhsa_exception_fp_denorm_src 0
		.amdhsa_exception_fp_ieee_div_zero 0
		.amdhsa_exception_fp_ieee_overflow 0
		.amdhsa_exception_fp_ieee_underflow 0
		.amdhsa_exception_fp_ieee_inexact 0
		.amdhsa_exception_int_div_zero 0
	.end_amdhsa_kernel
	.section	.text._ZN7rocprim17ROCPRIM_400000_NS6detail17trampoline_kernelINS0_13select_configILj256ELj13ELNS0_17block_load_methodE3ELS4_3ELS4_3ELNS0_20block_scan_algorithmE0ELj4294967295EEENS1_25partition_config_selectorILNS1_17partition_subalgoE4EjNS0_10empty_typeEbEEZZNS1_14partition_implILS8_4ELb0ES6_15HIP_vector_typeIjLj2EENS0_17counting_iteratorIjlEEPS9_SG_NS0_5tupleIJPjSI_NS0_16reverse_iteratorISI_EEEEENSH_IJSG_SG_SG_EEES9_SI_JZNS1_25segmented_radix_sort_implINS0_14default_configELb0EPKlPlSQ_SR_N2at6native12_GLOBAL__N_18offset_tEEE10hipError_tPvRmT1_PNSt15iterator_traitsISZ_E10value_typeET2_T3_PNS10_IS15_E10value_typeET4_jRbjT5_S1B_jjP12ihipStream_tbEUljE_ZNSN_ISO_Lb0ESQ_SR_SQ_SR_SV_EESW_SX_SY_SZ_S13_S14_S15_S18_S19_jS1A_jS1B_S1B_jjS1D_bEUljE0_EEESW_SX_SY_S15_S19_S1B_T6_T7_T9_mT8_S1D_bDpT10_ENKUlT_T0_E_clISt17integral_constantIbLb1EES1R_EEDaS1M_S1N_EUlS1M_E_NS1_11comp_targetILNS1_3genE8ELNS1_11target_archE1030ELNS1_3gpuE2ELNS1_3repE0EEENS1_30default_config_static_selectorELNS0_4arch9wavefront6targetE1EEEvSZ_,"axG",@progbits,_ZN7rocprim17ROCPRIM_400000_NS6detail17trampoline_kernelINS0_13select_configILj256ELj13ELNS0_17block_load_methodE3ELS4_3ELS4_3ELNS0_20block_scan_algorithmE0ELj4294967295EEENS1_25partition_config_selectorILNS1_17partition_subalgoE4EjNS0_10empty_typeEbEEZZNS1_14partition_implILS8_4ELb0ES6_15HIP_vector_typeIjLj2EENS0_17counting_iteratorIjlEEPS9_SG_NS0_5tupleIJPjSI_NS0_16reverse_iteratorISI_EEEEENSH_IJSG_SG_SG_EEES9_SI_JZNS1_25segmented_radix_sort_implINS0_14default_configELb0EPKlPlSQ_SR_N2at6native12_GLOBAL__N_18offset_tEEE10hipError_tPvRmT1_PNSt15iterator_traitsISZ_E10value_typeET2_T3_PNS10_IS15_E10value_typeET4_jRbjT5_S1B_jjP12ihipStream_tbEUljE_ZNSN_ISO_Lb0ESQ_SR_SQ_SR_SV_EESW_SX_SY_SZ_S13_S14_S15_S18_S19_jS1A_jS1B_S1B_jjS1D_bEUljE0_EEESW_SX_SY_S15_S19_S1B_T6_T7_T9_mT8_S1D_bDpT10_ENKUlT_T0_E_clISt17integral_constantIbLb1EES1R_EEDaS1M_S1N_EUlS1M_E_NS1_11comp_targetILNS1_3genE8ELNS1_11target_archE1030ELNS1_3gpuE2ELNS1_3repE0EEENS1_30default_config_static_selectorELNS0_4arch9wavefront6targetE1EEEvSZ_,comdat
.Lfunc_end758:
	.size	_ZN7rocprim17ROCPRIM_400000_NS6detail17trampoline_kernelINS0_13select_configILj256ELj13ELNS0_17block_load_methodE3ELS4_3ELS4_3ELNS0_20block_scan_algorithmE0ELj4294967295EEENS1_25partition_config_selectorILNS1_17partition_subalgoE4EjNS0_10empty_typeEbEEZZNS1_14partition_implILS8_4ELb0ES6_15HIP_vector_typeIjLj2EENS0_17counting_iteratorIjlEEPS9_SG_NS0_5tupleIJPjSI_NS0_16reverse_iteratorISI_EEEEENSH_IJSG_SG_SG_EEES9_SI_JZNS1_25segmented_radix_sort_implINS0_14default_configELb0EPKlPlSQ_SR_N2at6native12_GLOBAL__N_18offset_tEEE10hipError_tPvRmT1_PNSt15iterator_traitsISZ_E10value_typeET2_T3_PNS10_IS15_E10value_typeET4_jRbjT5_S1B_jjP12ihipStream_tbEUljE_ZNSN_ISO_Lb0ESQ_SR_SQ_SR_SV_EESW_SX_SY_SZ_S13_S14_S15_S18_S19_jS1A_jS1B_S1B_jjS1D_bEUljE0_EEESW_SX_SY_S15_S19_S1B_T6_T7_T9_mT8_S1D_bDpT10_ENKUlT_T0_E_clISt17integral_constantIbLb1EES1R_EEDaS1M_S1N_EUlS1M_E_NS1_11comp_targetILNS1_3genE8ELNS1_11target_archE1030ELNS1_3gpuE2ELNS1_3repE0EEENS1_30default_config_static_selectorELNS0_4arch9wavefront6targetE1EEEvSZ_, .Lfunc_end758-_ZN7rocprim17ROCPRIM_400000_NS6detail17trampoline_kernelINS0_13select_configILj256ELj13ELNS0_17block_load_methodE3ELS4_3ELS4_3ELNS0_20block_scan_algorithmE0ELj4294967295EEENS1_25partition_config_selectorILNS1_17partition_subalgoE4EjNS0_10empty_typeEbEEZZNS1_14partition_implILS8_4ELb0ES6_15HIP_vector_typeIjLj2EENS0_17counting_iteratorIjlEEPS9_SG_NS0_5tupleIJPjSI_NS0_16reverse_iteratorISI_EEEEENSH_IJSG_SG_SG_EEES9_SI_JZNS1_25segmented_radix_sort_implINS0_14default_configELb0EPKlPlSQ_SR_N2at6native12_GLOBAL__N_18offset_tEEE10hipError_tPvRmT1_PNSt15iterator_traitsISZ_E10value_typeET2_T3_PNS10_IS15_E10value_typeET4_jRbjT5_S1B_jjP12ihipStream_tbEUljE_ZNSN_ISO_Lb0ESQ_SR_SQ_SR_SV_EESW_SX_SY_SZ_S13_S14_S15_S18_S19_jS1A_jS1B_S1B_jjS1D_bEUljE0_EEESW_SX_SY_S15_S19_S1B_T6_T7_T9_mT8_S1D_bDpT10_ENKUlT_T0_E_clISt17integral_constantIbLb1EES1R_EEDaS1M_S1N_EUlS1M_E_NS1_11comp_targetILNS1_3genE8ELNS1_11target_archE1030ELNS1_3gpuE2ELNS1_3repE0EEENS1_30default_config_static_selectorELNS0_4arch9wavefront6targetE1EEEvSZ_
                                        ; -- End function
	.set _ZN7rocprim17ROCPRIM_400000_NS6detail17trampoline_kernelINS0_13select_configILj256ELj13ELNS0_17block_load_methodE3ELS4_3ELS4_3ELNS0_20block_scan_algorithmE0ELj4294967295EEENS1_25partition_config_selectorILNS1_17partition_subalgoE4EjNS0_10empty_typeEbEEZZNS1_14partition_implILS8_4ELb0ES6_15HIP_vector_typeIjLj2EENS0_17counting_iteratorIjlEEPS9_SG_NS0_5tupleIJPjSI_NS0_16reverse_iteratorISI_EEEEENSH_IJSG_SG_SG_EEES9_SI_JZNS1_25segmented_radix_sort_implINS0_14default_configELb0EPKlPlSQ_SR_N2at6native12_GLOBAL__N_18offset_tEEE10hipError_tPvRmT1_PNSt15iterator_traitsISZ_E10value_typeET2_T3_PNS10_IS15_E10value_typeET4_jRbjT5_S1B_jjP12ihipStream_tbEUljE_ZNSN_ISO_Lb0ESQ_SR_SQ_SR_SV_EESW_SX_SY_SZ_S13_S14_S15_S18_S19_jS1A_jS1B_S1B_jjS1D_bEUljE0_EEESW_SX_SY_S15_S19_S1B_T6_T7_T9_mT8_S1D_bDpT10_ENKUlT_T0_E_clISt17integral_constantIbLb1EES1R_EEDaS1M_S1N_EUlS1M_E_NS1_11comp_targetILNS1_3genE8ELNS1_11target_archE1030ELNS1_3gpuE2ELNS1_3repE0EEENS1_30default_config_static_selectorELNS0_4arch9wavefront6targetE1EEEvSZ_.num_vgpr, 0
	.set _ZN7rocprim17ROCPRIM_400000_NS6detail17trampoline_kernelINS0_13select_configILj256ELj13ELNS0_17block_load_methodE3ELS4_3ELS4_3ELNS0_20block_scan_algorithmE0ELj4294967295EEENS1_25partition_config_selectorILNS1_17partition_subalgoE4EjNS0_10empty_typeEbEEZZNS1_14partition_implILS8_4ELb0ES6_15HIP_vector_typeIjLj2EENS0_17counting_iteratorIjlEEPS9_SG_NS0_5tupleIJPjSI_NS0_16reverse_iteratorISI_EEEEENSH_IJSG_SG_SG_EEES9_SI_JZNS1_25segmented_radix_sort_implINS0_14default_configELb0EPKlPlSQ_SR_N2at6native12_GLOBAL__N_18offset_tEEE10hipError_tPvRmT1_PNSt15iterator_traitsISZ_E10value_typeET2_T3_PNS10_IS15_E10value_typeET4_jRbjT5_S1B_jjP12ihipStream_tbEUljE_ZNSN_ISO_Lb0ESQ_SR_SQ_SR_SV_EESW_SX_SY_SZ_S13_S14_S15_S18_S19_jS1A_jS1B_S1B_jjS1D_bEUljE0_EEESW_SX_SY_S15_S19_S1B_T6_T7_T9_mT8_S1D_bDpT10_ENKUlT_T0_E_clISt17integral_constantIbLb1EES1R_EEDaS1M_S1N_EUlS1M_E_NS1_11comp_targetILNS1_3genE8ELNS1_11target_archE1030ELNS1_3gpuE2ELNS1_3repE0EEENS1_30default_config_static_selectorELNS0_4arch9wavefront6targetE1EEEvSZ_.num_agpr, 0
	.set _ZN7rocprim17ROCPRIM_400000_NS6detail17trampoline_kernelINS0_13select_configILj256ELj13ELNS0_17block_load_methodE3ELS4_3ELS4_3ELNS0_20block_scan_algorithmE0ELj4294967295EEENS1_25partition_config_selectorILNS1_17partition_subalgoE4EjNS0_10empty_typeEbEEZZNS1_14partition_implILS8_4ELb0ES6_15HIP_vector_typeIjLj2EENS0_17counting_iteratorIjlEEPS9_SG_NS0_5tupleIJPjSI_NS0_16reverse_iteratorISI_EEEEENSH_IJSG_SG_SG_EEES9_SI_JZNS1_25segmented_radix_sort_implINS0_14default_configELb0EPKlPlSQ_SR_N2at6native12_GLOBAL__N_18offset_tEEE10hipError_tPvRmT1_PNSt15iterator_traitsISZ_E10value_typeET2_T3_PNS10_IS15_E10value_typeET4_jRbjT5_S1B_jjP12ihipStream_tbEUljE_ZNSN_ISO_Lb0ESQ_SR_SQ_SR_SV_EESW_SX_SY_SZ_S13_S14_S15_S18_S19_jS1A_jS1B_S1B_jjS1D_bEUljE0_EEESW_SX_SY_S15_S19_S1B_T6_T7_T9_mT8_S1D_bDpT10_ENKUlT_T0_E_clISt17integral_constantIbLb1EES1R_EEDaS1M_S1N_EUlS1M_E_NS1_11comp_targetILNS1_3genE8ELNS1_11target_archE1030ELNS1_3gpuE2ELNS1_3repE0EEENS1_30default_config_static_selectorELNS0_4arch9wavefront6targetE1EEEvSZ_.numbered_sgpr, 0
	.set _ZN7rocprim17ROCPRIM_400000_NS6detail17trampoline_kernelINS0_13select_configILj256ELj13ELNS0_17block_load_methodE3ELS4_3ELS4_3ELNS0_20block_scan_algorithmE0ELj4294967295EEENS1_25partition_config_selectorILNS1_17partition_subalgoE4EjNS0_10empty_typeEbEEZZNS1_14partition_implILS8_4ELb0ES6_15HIP_vector_typeIjLj2EENS0_17counting_iteratorIjlEEPS9_SG_NS0_5tupleIJPjSI_NS0_16reverse_iteratorISI_EEEEENSH_IJSG_SG_SG_EEES9_SI_JZNS1_25segmented_radix_sort_implINS0_14default_configELb0EPKlPlSQ_SR_N2at6native12_GLOBAL__N_18offset_tEEE10hipError_tPvRmT1_PNSt15iterator_traitsISZ_E10value_typeET2_T3_PNS10_IS15_E10value_typeET4_jRbjT5_S1B_jjP12ihipStream_tbEUljE_ZNSN_ISO_Lb0ESQ_SR_SQ_SR_SV_EESW_SX_SY_SZ_S13_S14_S15_S18_S19_jS1A_jS1B_S1B_jjS1D_bEUljE0_EEESW_SX_SY_S15_S19_S1B_T6_T7_T9_mT8_S1D_bDpT10_ENKUlT_T0_E_clISt17integral_constantIbLb1EES1R_EEDaS1M_S1N_EUlS1M_E_NS1_11comp_targetILNS1_3genE8ELNS1_11target_archE1030ELNS1_3gpuE2ELNS1_3repE0EEENS1_30default_config_static_selectorELNS0_4arch9wavefront6targetE1EEEvSZ_.num_named_barrier, 0
	.set _ZN7rocprim17ROCPRIM_400000_NS6detail17trampoline_kernelINS0_13select_configILj256ELj13ELNS0_17block_load_methodE3ELS4_3ELS4_3ELNS0_20block_scan_algorithmE0ELj4294967295EEENS1_25partition_config_selectorILNS1_17partition_subalgoE4EjNS0_10empty_typeEbEEZZNS1_14partition_implILS8_4ELb0ES6_15HIP_vector_typeIjLj2EENS0_17counting_iteratorIjlEEPS9_SG_NS0_5tupleIJPjSI_NS0_16reverse_iteratorISI_EEEEENSH_IJSG_SG_SG_EEES9_SI_JZNS1_25segmented_radix_sort_implINS0_14default_configELb0EPKlPlSQ_SR_N2at6native12_GLOBAL__N_18offset_tEEE10hipError_tPvRmT1_PNSt15iterator_traitsISZ_E10value_typeET2_T3_PNS10_IS15_E10value_typeET4_jRbjT5_S1B_jjP12ihipStream_tbEUljE_ZNSN_ISO_Lb0ESQ_SR_SQ_SR_SV_EESW_SX_SY_SZ_S13_S14_S15_S18_S19_jS1A_jS1B_S1B_jjS1D_bEUljE0_EEESW_SX_SY_S15_S19_S1B_T6_T7_T9_mT8_S1D_bDpT10_ENKUlT_T0_E_clISt17integral_constantIbLb1EES1R_EEDaS1M_S1N_EUlS1M_E_NS1_11comp_targetILNS1_3genE8ELNS1_11target_archE1030ELNS1_3gpuE2ELNS1_3repE0EEENS1_30default_config_static_selectorELNS0_4arch9wavefront6targetE1EEEvSZ_.private_seg_size, 0
	.set _ZN7rocprim17ROCPRIM_400000_NS6detail17trampoline_kernelINS0_13select_configILj256ELj13ELNS0_17block_load_methodE3ELS4_3ELS4_3ELNS0_20block_scan_algorithmE0ELj4294967295EEENS1_25partition_config_selectorILNS1_17partition_subalgoE4EjNS0_10empty_typeEbEEZZNS1_14partition_implILS8_4ELb0ES6_15HIP_vector_typeIjLj2EENS0_17counting_iteratorIjlEEPS9_SG_NS0_5tupleIJPjSI_NS0_16reverse_iteratorISI_EEEEENSH_IJSG_SG_SG_EEES9_SI_JZNS1_25segmented_radix_sort_implINS0_14default_configELb0EPKlPlSQ_SR_N2at6native12_GLOBAL__N_18offset_tEEE10hipError_tPvRmT1_PNSt15iterator_traitsISZ_E10value_typeET2_T3_PNS10_IS15_E10value_typeET4_jRbjT5_S1B_jjP12ihipStream_tbEUljE_ZNSN_ISO_Lb0ESQ_SR_SQ_SR_SV_EESW_SX_SY_SZ_S13_S14_S15_S18_S19_jS1A_jS1B_S1B_jjS1D_bEUljE0_EEESW_SX_SY_S15_S19_S1B_T6_T7_T9_mT8_S1D_bDpT10_ENKUlT_T0_E_clISt17integral_constantIbLb1EES1R_EEDaS1M_S1N_EUlS1M_E_NS1_11comp_targetILNS1_3genE8ELNS1_11target_archE1030ELNS1_3gpuE2ELNS1_3repE0EEENS1_30default_config_static_selectorELNS0_4arch9wavefront6targetE1EEEvSZ_.uses_vcc, 0
	.set _ZN7rocprim17ROCPRIM_400000_NS6detail17trampoline_kernelINS0_13select_configILj256ELj13ELNS0_17block_load_methodE3ELS4_3ELS4_3ELNS0_20block_scan_algorithmE0ELj4294967295EEENS1_25partition_config_selectorILNS1_17partition_subalgoE4EjNS0_10empty_typeEbEEZZNS1_14partition_implILS8_4ELb0ES6_15HIP_vector_typeIjLj2EENS0_17counting_iteratorIjlEEPS9_SG_NS0_5tupleIJPjSI_NS0_16reverse_iteratorISI_EEEEENSH_IJSG_SG_SG_EEES9_SI_JZNS1_25segmented_radix_sort_implINS0_14default_configELb0EPKlPlSQ_SR_N2at6native12_GLOBAL__N_18offset_tEEE10hipError_tPvRmT1_PNSt15iterator_traitsISZ_E10value_typeET2_T3_PNS10_IS15_E10value_typeET4_jRbjT5_S1B_jjP12ihipStream_tbEUljE_ZNSN_ISO_Lb0ESQ_SR_SQ_SR_SV_EESW_SX_SY_SZ_S13_S14_S15_S18_S19_jS1A_jS1B_S1B_jjS1D_bEUljE0_EEESW_SX_SY_S15_S19_S1B_T6_T7_T9_mT8_S1D_bDpT10_ENKUlT_T0_E_clISt17integral_constantIbLb1EES1R_EEDaS1M_S1N_EUlS1M_E_NS1_11comp_targetILNS1_3genE8ELNS1_11target_archE1030ELNS1_3gpuE2ELNS1_3repE0EEENS1_30default_config_static_selectorELNS0_4arch9wavefront6targetE1EEEvSZ_.uses_flat_scratch, 0
	.set _ZN7rocprim17ROCPRIM_400000_NS6detail17trampoline_kernelINS0_13select_configILj256ELj13ELNS0_17block_load_methodE3ELS4_3ELS4_3ELNS0_20block_scan_algorithmE0ELj4294967295EEENS1_25partition_config_selectorILNS1_17partition_subalgoE4EjNS0_10empty_typeEbEEZZNS1_14partition_implILS8_4ELb0ES6_15HIP_vector_typeIjLj2EENS0_17counting_iteratorIjlEEPS9_SG_NS0_5tupleIJPjSI_NS0_16reverse_iteratorISI_EEEEENSH_IJSG_SG_SG_EEES9_SI_JZNS1_25segmented_radix_sort_implINS0_14default_configELb0EPKlPlSQ_SR_N2at6native12_GLOBAL__N_18offset_tEEE10hipError_tPvRmT1_PNSt15iterator_traitsISZ_E10value_typeET2_T3_PNS10_IS15_E10value_typeET4_jRbjT5_S1B_jjP12ihipStream_tbEUljE_ZNSN_ISO_Lb0ESQ_SR_SQ_SR_SV_EESW_SX_SY_SZ_S13_S14_S15_S18_S19_jS1A_jS1B_S1B_jjS1D_bEUljE0_EEESW_SX_SY_S15_S19_S1B_T6_T7_T9_mT8_S1D_bDpT10_ENKUlT_T0_E_clISt17integral_constantIbLb1EES1R_EEDaS1M_S1N_EUlS1M_E_NS1_11comp_targetILNS1_3genE8ELNS1_11target_archE1030ELNS1_3gpuE2ELNS1_3repE0EEENS1_30default_config_static_selectorELNS0_4arch9wavefront6targetE1EEEvSZ_.has_dyn_sized_stack, 0
	.set _ZN7rocprim17ROCPRIM_400000_NS6detail17trampoline_kernelINS0_13select_configILj256ELj13ELNS0_17block_load_methodE3ELS4_3ELS4_3ELNS0_20block_scan_algorithmE0ELj4294967295EEENS1_25partition_config_selectorILNS1_17partition_subalgoE4EjNS0_10empty_typeEbEEZZNS1_14partition_implILS8_4ELb0ES6_15HIP_vector_typeIjLj2EENS0_17counting_iteratorIjlEEPS9_SG_NS0_5tupleIJPjSI_NS0_16reverse_iteratorISI_EEEEENSH_IJSG_SG_SG_EEES9_SI_JZNS1_25segmented_radix_sort_implINS0_14default_configELb0EPKlPlSQ_SR_N2at6native12_GLOBAL__N_18offset_tEEE10hipError_tPvRmT1_PNSt15iterator_traitsISZ_E10value_typeET2_T3_PNS10_IS15_E10value_typeET4_jRbjT5_S1B_jjP12ihipStream_tbEUljE_ZNSN_ISO_Lb0ESQ_SR_SQ_SR_SV_EESW_SX_SY_SZ_S13_S14_S15_S18_S19_jS1A_jS1B_S1B_jjS1D_bEUljE0_EEESW_SX_SY_S15_S19_S1B_T6_T7_T9_mT8_S1D_bDpT10_ENKUlT_T0_E_clISt17integral_constantIbLb1EES1R_EEDaS1M_S1N_EUlS1M_E_NS1_11comp_targetILNS1_3genE8ELNS1_11target_archE1030ELNS1_3gpuE2ELNS1_3repE0EEENS1_30default_config_static_selectorELNS0_4arch9wavefront6targetE1EEEvSZ_.has_recursion, 0
	.set _ZN7rocprim17ROCPRIM_400000_NS6detail17trampoline_kernelINS0_13select_configILj256ELj13ELNS0_17block_load_methodE3ELS4_3ELS4_3ELNS0_20block_scan_algorithmE0ELj4294967295EEENS1_25partition_config_selectorILNS1_17partition_subalgoE4EjNS0_10empty_typeEbEEZZNS1_14partition_implILS8_4ELb0ES6_15HIP_vector_typeIjLj2EENS0_17counting_iteratorIjlEEPS9_SG_NS0_5tupleIJPjSI_NS0_16reverse_iteratorISI_EEEEENSH_IJSG_SG_SG_EEES9_SI_JZNS1_25segmented_radix_sort_implINS0_14default_configELb0EPKlPlSQ_SR_N2at6native12_GLOBAL__N_18offset_tEEE10hipError_tPvRmT1_PNSt15iterator_traitsISZ_E10value_typeET2_T3_PNS10_IS15_E10value_typeET4_jRbjT5_S1B_jjP12ihipStream_tbEUljE_ZNSN_ISO_Lb0ESQ_SR_SQ_SR_SV_EESW_SX_SY_SZ_S13_S14_S15_S18_S19_jS1A_jS1B_S1B_jjS1D_bEUljE0_EEESW_SX_SY_S15_S19_S1B_T6_T7_T9_mT8_S1D_bDpT10_ENKUlT_T0_E_clISt17integral_constantIbLb1EES1R_EEDaS1M_S1N_EUlS1M_E_NS1_11comp_targetILNS1_3genE8ELNS1_11target_archE1030ELNS1_3gpuE2ELNS1_3repE0EEENS1_30default_config_static_selectorELNS0_4arch9wavefront6targetE1EEEvSZ_.has_indirect_call, 0
	.section	.AMDGPU.csdata,"",@progbits
; Kernel info:
; codeLenInByte = 0
; TotalNumSgprs: 4
; NumVgprs: 0
; ScratchSize: 0
; MemoryBound: 0
; FloatMode: 240
; IeeeMode: 1
; LDSByteSize: 0 bytes/workgroup (compile time only)
; SGPRBlocks: 0
; VGPRBlocks: 0
; NumSGPRsForWavesPerEU: 4
; NumVGPRsForWavesPerEU: 1
; Occupancy: 10
; WaveLimiterHint : 0
; COMPUTE_PGM_RSRC2:SCRATCH_EN: 0
; COMPUTE_PGM_RSRC2:USER_SGPR: 6
; COMPUTE_PGM_RSRC2:TRAP_HANDLER: 0
; COMPUTE_PGM_RSRC2:TGID_X_EN: 1
; COMPUTE_PGM_RSRC2:TGID_Y_EN: 0
; COMPUTE_PGM_RSRC2:TGID_Z_EN: 0
; COMPUTE_PGM_RSRC2:TIDIG_COMP_CNT: 0
	.section	.text._ZN7rocprim17ROCPRIM_400000_NS6detail17trampoline_kernelINS0_13select_configILj256ELj13ELNS0_17block_load_methodE3ELS4_3ELS4_3ELNS0_20block_scan_algorithmE0ELj4294967295EEENS1_25partition_config_selectorILNS1_17partition_subalgoE4EjNS0_10empty_typeEbEEZZNS1_14partition_implILS8_4ELb0ES6_15HIP_vector_typeIjLj2EENS0_17counting_iteratorIjlEEPS9_SG_NS0_5tupleIJPjSI_NS0_16reverse_iteratorISI_EEEEENSH_IJSG_SG_SG_EEES9_SI_JZNS1_25segmented_radix_sort_implINS0_14default_configELb0EPKlPlSQ_SR_N2at6native12_GLOBAL__N_18offset_tEEE10hipError_tPvRmT1_PNSt15iterator_traitsISZ_E10value_typeET2_T3_PNS10_IS15_E10value_typeET4_jRbjT5_S1B_jjP12ihipStream_tbEUljE_ZNSN_ISO_Lb0ESQ_SR_SQ_SR_SV_EESW_SX_SY_SZ_S13_S14_S15_S18_S19_jS1A_jS1B_S1B_jjS1D_bEUljE0_EEESW_SX_SY_S15_S19_S1B_T6_T7_T9_mT8_S1D_bDpT10_ENKUlT_T0_E_clISt17integral_constantIbLb1EES1Q_IbLb0EEEEDaS1M_S1N_EUlS1M_E_NS1_11comp_targetILNS1_3genE0ELNS1_11target_archE4294967295ELNS1_3gpuE0ELNS1_3repE0EEENS1_30default_config_static_selectorELNS0_4arch9wavefront6targetE1EEEvSZ_,"axG",@progbits,_ZN7rocprim17ROCPRIM_400000_NS6detail17trampoline_kernelINS0_13select_configILj256ELj13ELNS0_17block_load_methodE3ELS4_3ELS4_3ELNS0_20block_scan_algorithmE0ELj4294967295EEENS1_25partition_config_selectorILNS1_17partition_subalgoE4EjNS0_10empty_typeEbEEZZNS1_14partition_implILS8_4ELb0ES6_15HIP_vector_typeIjLj2EENS0_17counting_iteratorIjlEEPS9_SG_NS0_5tupleIJPjSI_NS0_16reverse_iteratorISI_EEEEENSH_IJSG_SG_SG_EEES9_SI_JZNS1_25segmented_radix_sort_implINS0_14default_configELb0EPKlPlSQ_SR_N2at6native12_GLOBAL__N_18offset_tEEE10hipError_tPvRmT1_PNSt15iterator_traitsISZ_E10value_typeET2_T3_PNS10_IS15_E10value_typeET4_jRbjT5_S1B_jjP12ihipStream_tbEUljE_ZNSN_ISO_Lb0ESQ_SR_SQ_SR_SV_EESW_SX_SY_SZ_S13_S14_S15_S18_S19_jS1A_jS1B_S1B_jjS1D_bEUljE0_EEESW_SX_SY_S15_S19_S1B_T6_T7_T9_mT8_S1D_bDpT10_ENKUlT_T0_E_clISt17integral_constantIbLb1EES1Q_IbLb0EEEEDaS1M_S1N_EUlS1M_E_NS1_11comp_targetILNS1_3genE0ELNS1_11target_archE4294967295ELNS1_3gpuE0ELNS1_3repE0EEENS1_30default_config_static_selectorELNS0_4arch9wavefront6targetE1EEEvSZ_,comdat
	.globl	_ZN7rocprim17ROCPRIM_400000_NS6detail17trampoline_kernelINS0_13select_configILj256ELj13ELNS0_17block_load_methodE3ELS4_3ELS4_3ELNS0_20block_scan_algorithmE0ELj4294967295EEENS1_25partition_config_selectorILNS1_17partition_subalgoE4EjNS0_10empty_typeEbEEZZNS1_14partition_implILS8_4ELb0ES6_15HIP_vector_typeIjLj2EENS0_17counting_iteratorIjlEEPS9_SG_NS0_5tupleIJPjSI_NS0_16reverse_iteratorISI_EEEEENSH_IJSG_SG_SG_EEES9_SI_JZNS1_25segmented_radix_sort_implINS0_14default_configELb0EPKlPlSQ_SR_N2at6native12_GLOBAL__N_18offset_tEEE10hipError_tPvRmT1_PNSt15iterator_traitsISZ_E10value_typeET2_T3_PNS10_IS15_E10value_typeET4_jRbjT5_S1B_jjP12ihipStream_tbEUljE_ZNSN_ISO_Lb0ESQ_SR_SQ_SR_SV_EESW_SX_SY_SZ_S13_S14_S15_S18_S19_jS1A_jS1B_S1B_jjS1D_bEUljE0_EEESW_SX_SY_S15_S19_S1B_T6_T7_T9_mT8_S1D_bDpT10_ENKUlT_T0_E_clISt17integral_constantIbLb1EES1Q_IbLb0EEEEDaS1M_S1N_EUlS1M_E_NS1_11comp_targetILNS1_3genE0ELNS1_11target_archE4294967295ELNS1_3gpuE0ELNS1_3repE0EEENS1_30default_config_static_selectorELNS0_4arch9wavefront6targetE1EEEvSZ_ ; -- Begin function _ZN7rocprim17ROCPRIM_400000_NS6detail17trampoline_kernelINS0_13select_configILj256ELj13ELNS0_17block_load_methodE3ELS4_3ELS4_3ELNS0_20block_scan_algorithmE0ELj4294967295EEENS1_25partition_config_selectorILNS1_17partition_subalgoE4EjNS0_10empty_typeEbEEZZNS1_14partition_implILS8_4ELb0ES6_15HIP_vector_typeIjLj2EENS0_17counting_iteratorIjlEEPS9_SG_NS0_5tupleIJPjSI_NS0_16reverse_iteratorISI_EEEEENSH_IJSG_SG_SG_EEES9_SI_JZNS1_25segmented_radix_sort_implINS0_14default_configELb0EPKlPlSQ_SR_N2at6native12_GLOBAL__N_18offset_tEEE10hipError_tPvRmT1_PNSt15iterator_traitsISZ_E10value_typeET2_T3_PNS10_IS15_E10value_typeET4_jRbjT5_S1B_jjP12ihipStream_tbEUljE_ZNSN_ISO_Lb0ESQ_SR_SQ_SR_SV_EESW_SX_SY_SZ_S13_S14_S15_S18_S19_jS1A_jS1B_S1B_jjS1D_bEUljE0_EEESW_SX_SY_S15_S19_S1B_T6_T7_T9_mT8_S1D_bDpT10_ENKUlT_T0_E_clISt17integral_constantIbLb1EES1Q_IbLb0EEEEDaS1M_S1N_EUlS1M_E_NS1_11comp_targetILNS1_3genE0ELNS1_11target_archE4294967295ELNS1_3gpuE0ELNS1_3repE0EEENS1_30default_config_static_selectorELNS0_4arch9wavefront6targetE1EEEvSZ_
	.p2align	8
	.type	_ZN7rocprim17ROCPRIM_400000_NS6detail17trampoline_kernelINS0_13select_configILj256ELj13ELNS0_17block_load_methodE3ELS4_3ELS4_3ELNS0_20block_scan_algorithmE0ELj4294967295EEENS1_25partition_config_selectorILNS1_17partition_subalgoE4EjNS0_10empty_typeEbEEZZNS1_14partition_implILS8_4ELb0ES6_15HIP_vector_typeIjLj2EENS0_17counting_iteratorIjlEEPS9_SG_NS0_5tupleIJPjSI_NS0_16reverse_iteratorISI_EEEEENSH_IJSG_SG_SG_EEES9_SI_JZNS1_25segmented_radix_sort_implINS0_14default_configELb0EPKlPlSQ_SR_N2at6native12_GLOBAL__N_18offset_tEEE10hipError_tPvRmT1_PNSt15iterator_traitsISZ_E10value_typeET2_T3_PNS10_IS15_E10value_typeET4_jRbjT5_S1B_jjP12ihipStream_tbEUljE_ZNSN_ISO_Lb0ESQ_SR_SQ_SR_SV_EESW_SX_SY_SZ_S13_S14_S15_S18_S19_jS1A_jS1B_S1B_jjS1D_bEUljE0_EEESW_SX_SY_S15_S19_S1B_T6_T7_T9_mT8_S1D_bDpT10_ENKUlT_T0_E_clISt17integral_constantIbLb1EES1Q_IbLb0EEEEDaS1M_S1N_EUlS1M_E_NS1_11comp_targetILNS1_3genE0ELNS1_11target_archE4294967295ELNS1_3gpuE0ELNS1_3repE0EEENS1_30default_config_static_selectorELNS0_4arch9wavefront6targetE1EEEvSZ_,@function
_ZN7rocprim17ROCPRIM_400000_NS6detail17trampoline_kernelINS0_13select_configILj256ELj13ELNS0_17block_load_methodE3ELS4_3ELS4_3ELNS0_20block_scan_algorithmE0ELj4294967295EEENS1_25partition_config_selectorILNS1_17partition_subalgoE4EjNS0_10empty_typeEbEEZZNS1_14partition_implILS8_4ELb0ES6_15HIP_vector_typeIjLj2EENS0_17counting_iteratorIjlEEPS9_SG_NS0_5tupleIJPjSI_NS0_16reverse_iteratorISI_EEEEENSH_IJSG_SG_SG_EEES9_SI_JZNS1_25segmented_radix_sort_implINS0_14default_configELb0EPKlPlSQ_SR_N2at6native12_GLOBAL__N_18offset_tEEE10hipError_tPvRmT1_PNSt15iterator_traitsISZ_E10value_typeET2_T3_PNS10_IS15_E10value_typeET4_jRbjT5_S1B_jjP12ihipStream_tbEUljE_ZNSN_ISO_Lb0ESQ_SR_SQ_SR_SV_EESW_SX_SY_SZ_S13_S14_S15_S18_S19_jS1A_jS1B_S1B_jjS1D_bEUljE0_EEESW_SX_SY_S15_S19_S1B_T6_T7_T9_mT8_S1D_bDpT10_ENKUlT_T0_E_clISt17integral_constantIbLb1EES1Q_IbLb0EEEEDaS1M_S1N_EUlS1M_E_NS1_11comp_targetILNS1_3genE0ELNS1_11target_archE4294967295ELNS1_3gpuE0ELNS1_3repE0EEENS1_30default_config_static_selectorELNS0_4arch9wavefront6targetE1EEEvSZ_: ; @_ZN7rocprim17ROCPRIM_400000_NS6detail17trampoline_kernelINS0_13select_configILj256ELj13ELNS0_17block_load_methodE3ELS4_3ELS4_3ELNS0_20block_scan_algorithmE0ELj4294967295EEENS1_25partition_config_selectorILNS1_17partition_subalgoE4EjNS0_10empty_typeEbEEZZNS1_14partition_implILS8_4ELb0ES6_15HIP_vector_typeIjLj2EENS0_17counting_iteratorIjlEEPS9_SG_NS0_5tupleIJPjSI_NS0_16reverse_iteratorISI_EEEEENSH_IJSG_SG_SG_EEES9_SI_JZNS1_25segmented_radix_sort_implINS0_14default_configELb0EPKlPlSQ_SR_N2at6native12_GLOBAL__N_18offset_tEEE10hipError_tPvRmT1_PNSt15iterator_traitsISZ_E10value_typeET2_T3_PNS10_IS15_E10value_typeET4_jRbjT5_S1B_jjP12ihipStream_tbEUljE_ZNSN_ISO_Lb0ESQ_SR_SQ_SR_SV_EESW_SX_SY_SZ_S13_S14_S15_S18_S19_jS1A_jS1B_S1B_jjS1D_bEUljE0_EEESW_SX_SY_S15_S19_S1B_T6_T7_T9_mT8_S1D_bDpT10_ENKUlT_T0_E_clISt17integral_constantIbLb1EES1Q_IbLb0EEEEDaS1M_S1N_EUlS1M_E_NS1_11comp_targetILNS1_3genE0ELNS1_11target_archE4294967295ELNS1_3gpuE0ELNS1_3repE0EEENS1_30default_config_static_selectorELNS0_4arch9wavefront6targetE1EEEvSZ_
; %bb.0:
	.section	.rodata,"a",@progbits
	.p2align	6, 0x0
	.amdhsa_kernel _ZN7rocprim17ROCPRIM_400000_NS6detail17trampoline_kernelINS0_13select_configILj256ELj13ELNS0_17block_load_methodE3ELS4_3ELS4_3ELNS0_20block_scan_algorithmE0ELj4294967295EEENS1_25partition_config_selectorILNS1_17partition_subalgoE4EjNS0_10empty_typeEbEEZZNS1_14partition_implILS8_4ELb0ES6_15HIP_vector_typeIjLj2EENS0_17counting_iteratorIjlEEPS9_SG_NS0_5tupleIJPjSI_NS0_16reverse_iteratorISI_EEEEENSH_IJSG_SG_SG_EEES9_SI_JZNS1_25segmented_radix_sort_implINS0_14default_configELb0EPKlPlSQ_SR_N2at6native12_GLOBAL__N_18offset_tEEE10hipError_tPvRmT1_PNSt15iterator_traitsISZ_E10value_typeET2_T3_PNS10_IS15_E10value_typeET4_jRbjT5_S1B_jjP12ihipStream_tbEUljE_ZNSN_ISO_Lb0ESQ_SR_SQ_SR_SV_EESW_SX_SY_SZ_S13_S14_S15_S18_S19_jS1A_jS1B_S1B_jjS1D_bEUljE0_EEESW_SX_SY_S15_S19_S1B_T6_T7_T9_mT8_S1D_bDpT10_ENKUlT_T0_E_clISt17integral_constantIbLb1EES1Q_IbLb0EEEEDaS1M_S1N_EUlS1M_E_NS1_11comp_targetILNS1_3genE0ELNS1_11target_archE4294967295ELNS1_3gpuE0ELNS1_3repE0EEENS1_30default_config_static_selectorELNS0_4arch9wavefront6targetE1EEEvSZ_
		.amdhsa_group_segment_fixed_size 0
		.amdhsa_private_segment_fixed_size 0
		.amdhsa_kernarg_size 176
		.amdhsa_user_sgpr_count 6
		.amdhsa_user_sgpr_private_segment_buffer 1
		.amdhsa_user_sgpr_dispatch_ptr 0
		.amdhsa_user_sgpr_queue_ptr 0
		.amdhsa_user_sgpr_kernarg_segment_ptr 1
		.amdhsa_user_sgpr_dispatch_id 0
		.amdhsa_user_sgpr_flat_scratch_init 0
		.amdhsa_user_sgpr_private_segment_size 0
		.amdhsa_uses_dynamic_stack 0
		.amdhsa_system_sgpr_private_segment_wavefront_offset 0
		.amdhsa_system_sgpr_workgroup_id_x 1
		.amdhsa_system_sgpr_workgroup_id_y 0
		.amdhsa_system_sgpr_workgroup_id_z 0
		.amdhsa_system_sgpr_workgroup_info 0
		.amdhsa_system_vgpr_workitem_id 0
		.amdhsa_next_free_vgpr 1
		.amdhsa_next_free_sgpr 0
		.amdhsa_reserve_vcc 0
		.amdhsa_reserve_flat_scratch 0
		.amdhsa_float_round_mode_32 0
		.amdhsa_float_round_mode_16_64 0
		.amdhsa_float_denorm_mode_32 3
		.amdhsa_float_denorm_mode_16_64 3
		.amdhsa_dx10_clamp 1
		.amdhsa_ieee_mode 1
		.amdhsa_fp16_overflow 0
		.amdhsa_exception_fp_ieee_invalid_op 0
		.amdhsa_exception_fp_denorm_src 0
		.amdhsa_exception_fp_ieee_div_zero 0
		.amdhsa_exception_fp_ieee_overflow 0
		.amdhsa_exception_fp_ieee_underflow 0
		.amdhsa_exception_fp_ieee_inexact 0
		.amdhsa_exception_int_div_zero 0
	.end_amdhsa_kernel
	.section	.text._ZN7rocprim17ROCPRIM_400000_NS6detail17trampoline_kernelINS0_13select_configILj256ELj13ELNS0_17block_load_methodE3ELS4_3ELS4_3ELNS0_20block_scan_algorithmE0ELj4294967295EEENS1_25partition_config_selectorILNS1_17partition_subalgoE4EjNS0_10empty_typeEbEEZZNS1_14partition_implILS8_4ELb0ES6_15HIP_vector_typeIjLj2EENS0_17counting_iteratorIjlEEPS9_SG_NS0_5tupleIJPjSI_NS0_16reverse_iteratorISI_EEEEENSH_IJSG_SG_SG_EEES9_SI_JZNS1_25segmented_radix_sort_implINS0_14default_configELb0EPKlPlSQ_SR_N2at6native12_GLOBAL__N_18offset_tEEE10hipError_tPvRmT1_PNSt15iterator_traitsISZ_E10value_typeET2_T3_PNS10_IS15_E10value_typeET4_jRbjT5_S1B_jjP12ihipStream_tbEUljE_ZNSN_ISO_Lb0ESQ_SR_SQ_SR_SV_EESW_SX_SY_SZ_S13_S14_S15_S18_S19_jS1A_jS1B_S1B_jjS1D_bEUljE0_EEESW_SX_SY_S15_S19_S1B_T6_T7_T9_mT8_S1D_bDpT10_ENKUlT_T0_E_clISt17integral_constantIbLb1EES1Q_IbLb0EEEEDaS1M_S1N_EUlS1M_E_NS1_11comp_targetILNS1_3genE0ELNS1_11target_archE4294967295ELNS1_3gpuE0ELNS1_3repE0EEENS1_30default_config_static_selectorELNS0_4arch9wavefront6targetE1EEEvSZ_,"axG",@progbits,_ZN7rocprim17ROCPRIM_400000_NS6detail17trampoline_kernelINS0_13select_configILj256ELj13ELNS0_17block_load_methodE3ELS4_3ELS4_3ELNS0_20block_scan_algorithmE0ELj4294967295EEENS1_25partition_config_selectorILNS1_17partition_subalgoE4EjNS0_10empty_typeEbEEZZNS1_14partition_implILS8_4ELb0ES6_15HIP_vector_typeIjLj2EENS0_17counting_iteratorIjlEEPS9_SG_NS0_5tupleIJPjSI_NS0_16reverse_iteratorISI_EEEEENSH_IJSG_SG_SG_EEES9_SI_JZNS1_25segmented_radix_sort_implINS0_14default_configELb0EPKlPlSQ_SR_N2at6native12_GLOBAL__N_18offset_tEEE10hipError_tPvRmT1_PNSt15iterator_traitsISZ_E10value_typeET2_T3_PNS10_IS15_E10value_typeET4_jRbjT5_S1B_jjP12ihipStream_tbEUljE_ZNSN_ISO_Lb0ESQ_SR_SQ_SR_SV_EESW_SX_SY_SZ_S13_S14_S15_S18_S19_jS1A_jS1B_S1B_jjS1D_bEUljE0_EEESW_SX_SY_S15_S19_S1B_T6_T7_T9_mT8_S1D_bDpT10_ENKUlT_T0_E_clISt17integral_constantIbLb1EES1Q_IbLb0EEEEDaS1M_S1N_EUlS1M_E_NS1_11comp_targetILNS1_3genE0ELNS1_11target_archE4294967295ELNS1_3gpuE0ELNS1_3repE0EEENS1_30default_config_static_selectorELNS0_4arch9wavefront6targetE1EEEvSZ_,comdat
.Lfunc_end759:
	.size	_ZN7rocprim17ROCPRIM_400000_NS6detail17trampoline_kernelINS0_13select_configILj256ELj13ELNS0_17block_load_methodE3ELS4_3ELS4_3ELNS0_20block_scan_algorithmE0ELj4294967295EEENS1_25partition_config_selectorILNS1_17partition_subalgoE4EjNS0_10empty_typeEbEEZZNS1_14partition_implILS8_4ELb0ES6_15HIP_vector_typeIjLj2EENS0_17counting_iteratorIjlEEPS9_SG_NS0_5tupleIJPjSI_NS0_16reverse_iteratorISI_EEEEENSH_IJSG_SG_SG_EEES9_SI_JZNS1_25segmented_radix_sort_implINS0_14default_configELb0EPKlPlSQ_SR_N2at6native12_GLOBAL__N_18offset_tEEE10hipError_tPvRmT1_PNSt15iterator_traitsISZ_E10value_typeET2_T3_PNS10_IS15_E10value_typeET4_jRbjT5_S1B_jjP12ihipStream_tbEUljE_ZNSN_ISO_Lb0ESQ_SR_SQ_SR_SV_EESW_SX_SY_SZ_S13_S14_S15_S18_S19_jS1A_jS1B_S1B_jjS1D_bEUljE0_EEESW_SX_SY_S15_S19_S1B_T6_T7_T9_mT8_S1D_bDpT10_ENKUlT_T0_E_clISt17integral_constantIbLb1EES1Q_IbLb0EEEEDaS1M_S1N_EUlS1M_E_NS1_11comp_targetILNS1_3genE0ELNS1_11target_archE4294967295ELNS1_3gpuE0ELNS1_3repE0EEENS1_30default_config_static_selectorELNS0_4arch9wavefront6targetE1EEEvSZ_, .Lfunc_end759-_ZN7rocprim17ROCPRIM_400000_NS6detail17trampoline_kernelINS0_13select_configILj256ELj13ELNS0_17block_load_methodE3ELS4_3ELS4_3ELNS0_20block_scan_algorithmE0ELj4294967295EEENS1_25partition_config_selectorILNS1_17partition_subalgoE4EjNS0_10empty_typeEbEEZZNS1_14partition_implILS8_4ELb0ES6_15HIP_vector_typeIjLj2EENS0_17counting_iteratorIjlEEPS9_SG_NS0_5tupleIJPjSI_NS0_16reverse_iteratorISI_EEEEENSH_IJSG_SG_SG_EEES9_SI_JZNS1_25segmented_radix_sort_implINS0_14default_configELb0EPKlPlSQ_SR_N2at6native12_GLOBAL__N_18offset_tEEE10hipError_tPvRmT1_PNSt15iterator_traitsISZ_E10value_typeET2_T3_PNS10_IS15_E10value_typeET4_jRbjT5_S1B_jjP12ihipStream_tbEUljE_ZNSN_ISO_Lb0ESQ_SR_SQ_SR_SV_EESW_SX_SY_SZ_S13_S14_S15_S18_S19_jS1A_jS1B_S1B_jjS1D_bEUljE0_EEESW_SX_SY_S15_S19_S1B_T6_T7_T9_mT8_S1D_bDpT10_ENKUlT_T0_E_clISt17integral_constantIbLb1EES1Q_IbLb0EEEEDaS1M_S1N_EUlS1M_E_NS1_11comp_targetILNS1_3genE0ELNS1_11target_archE4294967295ELNS1_3gpuE0ELNS1_3repE0EEENS1_30default_config_static_selectorELNS0_4arch9wavefront6targetE1EEEvSZ_
                                        ; -- End function
	.set _ZN7rocprim17ROCPRIM_400000_NS6detail17trampoline_kernelINS0_13select_configILj256ELj13ELNS0_17block_load_methodE3ELS4_3ELS4_3ELNS0_20block_scan_algorithmE0ELj4294967295EEENS1_25partition_config_selectorILNS1_17partition_subalgoE4EjNS0_10empty_typeEbEEZZNS1_14partition_implILS8_4ELb0ES6_15HIP_vector_typeIjLj2EENS0_17counting_iteratorIjlEEPS9_SG_NS0_5tupleIJPjSI_NS0_16reverse_iteratorISI_EEEEENSH_IJSG_SG_SG_EEES9_SI_JZNS1_25segmented_radix_sort_implINS0_14default_configELb0EPKlPlSQ_SR_N2at6native12_GLOBAL__N_18offset_tEEE10hipError_tPvRmT1_PNSt15iterator_traitsISZ_E10value_typeET2_T3_PNS10_IS15_E10value_typeET4_jRbjT5_S1B_jjP12ihipStream_tbEUljE_ZNSN_ISO_Lb0ESQ_SR_SQ_SR_SV_EESW_SX_SY_SZ_S13_S14_S15_S18_S19_jS1A_jS1B_S1B_jjS1D_bEUljE0_EEESW_SX_SY_S15_S19_S1B_T6_T7_T9_mT8_S1D_bDpT10_ENKUlT_T0_E_clISt17integral_constantIbLb1EES1Q_IbLb0EEEEDaS1M_S1N_EUlS1M_E_NS1_11comp_targetILNS1_3genE0ELNS1_11target_archE4294967295ELNS1_3gpuE0ELNS1_3repE0EEENS1_30default_config_static_selectorELNS0_4arch9wavefront6targetE1EEEvSZ_.num_vgpr, 0
	.set _ZN7rocprim17ROCPRIM_400000_NS6detail17trampoline_kernelINS0_13select_configILj256ELj13ELNS0_17block_load_methodE3ELS4_3ELS4_3ELNS0_20block_scan_algorithmE0ELj4294967295EEENS1_25partition_config_selectorILNS1_17partition_subalgoE4EjNS0_10empty_typeEbEEZZNS1_14partition_implILS8_4ELb0ES6_15HIP_vector_typeIjLj2EENS0_17counting_iteratorIjlEEPS9_SG_NS0_5tupleIJPjSI_NS0_16reverse_iteratorISI_EEEEENSH_IJSG_SG_SG_EEES9_SI_JZNS1_25segmented_radix_sort_implINS0_14default_configELb0EPKlPlSQ_SR_N2at6native12_GLOBAL__N_18offset_tEEE10hipError_tPvRmT1_PNSt15iterator_traitsISZ_E10value_typeET2_T3_PNS10_IS15_E10value_typeET4_jRbjT5_S1B_jjP12ihipStream_tbEUljE_ZNSN_ISO_Lb0ESQ_SR_SQ_SR_SV_EESW_SX_SY_SZ_S13_S14_S15_S18_S19_jS1A_jS1B_S1B_jjS1D_bEUljE0_EEESW_SX_SY_S15_S19_S1B_T6_T7_T9_mT8_S1D_bDpT10_ENKUlT_T0_E_clISt17integral_constantIbLb1EES1Q_IbLb0EEEEDaS1M_S1N_EUlS1M_E_NS1_11comp_targetILNS1_3genE0ELNS1_11target_archE4294967295ELNS1_3gpuE0ELNS1_3repE0EEENS1_30default_config_static_selectorELNS0_4arch9wavefront6targetE1EEEvSZ_.num_agpr, 0
	.set _ZN7rocprim17ROCPRIM_400000_NS6detail17trampoline_kernelINS0_13select_configILj256ELj13ELNS0_17block_load_methodE3ELS4_3ELS4_3ELNS0_20block_scan_algorithmE0ELj4294967295EEENS1_25partition_config_selectorILNS1_17partition_subalgoE4EjNS0_10empty_typeEbEEZZNS1_14partition_implILS8_4ELb0ES6_15HIP_vector_typeIjLj2EENS0_17counting_iteratorIjlEEPS9_SG_NS0_5tupleIJPjSI_NS0_16reverse_iteratorISI_EEEEENSH_IJSG_SG_SG_EEES9_SI_JZNS1_25segmented_radix_sort_implINS0_14default_configELb0EPKlPlSQ_SR_N2at6native12_GLOBAL__N_18offset_tEEE10hipError_tPvRmT1_PNSt15iterator_traitsISZ_E10value_typeET2_T3_PNS10_IS15_E10value_typeET4_jRbjT5_S1B_jjP12ihipStream_tbEUljE_ZNSN_ISO_Lb0ESQ_SR_SQ_SR_SV_EESW_SX_SY_SZ_S13_S14_S15_S18_S19_jS1A_jS1B_S1B_jjS1D_bEUljE0_EEESW_SX_SY_S15_S19_S1B_T6_T7_T9_mT8_S1D_bDpT10_ENKUlT_T0_E_clISt17integral_constantIbLb1EES1Q_IbLb0EEEEDaS1M_S1N_EUlS1M_E_NS1_11comp_targetILNS1_3genE0ELNS1_11target_archE4294967295ELNS1_3gpuE0ELNS1_3repE0EEENS1_30default_config_static_selectorELNS0_4arch9wavefront6targetE1EEEvSZ_.numbered_sgpr, 0
	.set _ZN7rocprim17ROCPRIM_400000_NS6detail17trampoline_kernelINS0_13select_configILj256ELj13ELNS0_17block_load_methodE3ELS4_3ELS4_3ELNS0_20block_scan_algorithmE0ELj4294967295EEENS1_25partition_config_selectorILNS1_17partition_subalgoE4EjNS0_10empty_typeEbEEZZNS1_14partition_implILS8_4ELb0ES6_15HIP_vector_typeIjLj2EENS0_17counting_iteratorIjlEEPS9_SG_NS0_5tupleIJPjSI_NS0_16reverse_iteratorISI_EEEEENSH_IJSG_SG_SG_EEES9_SI_JZNS1_25segmented_radix_sort_implINS0_14default_configELb0EPKlPlSQ_SR_N2at6native12_GLOBAL__N_18offset_tEEE10hipError_tPvRmT1_PNSt15iterator_traitsISZ_E10value_typeET2_T3_PNS10_IS15_E10value_typeET4_jRbjT5_S1B_jjP12ihipStream_tbEUljE_ZNSN_ISO_Lb0ESQ_SR_SQ_SR_SV_EESW_SX_SY_SZ_S13_S14_S15_S18_S19_jS1A_jS1B_S1B_jjS1D_bEUljE0_EEESW_SX_SY_S15_S19_S1B_T6_T7_T9_mT8_S1D_bDpT10_ENKUlT_T0_E_clISt17integral_constantIbLb1EES1Q_IbLb0EEEEDaS1M_S1N_EUlS1M_E_NS1_11comp_targetILNS1_3genE0ELNS1_11target_archE4294967295ELNS1_3gpuE0ELNS1_3repE0EEENS1_30default_config_static_selectorELNS0_4arch9wavefront6targetE1EEEvSZ_.num_named_barrier, 0
	.set _ZN7rocprim17ROCPRIM_400000_NS6detail17trampoline_kernelINS0_13select_configILj256ELj13ELNS0_17block_load_methodE3ELS4_3ELS4_3ELNS0_20block_scan_algorithmE0ELj4294967295EEENS1_25partition_config_selectorILNS1_17partition_subalgoE4EjNS0_10empty_typeEbEEZZNS1_14partition_implILS8_4ELb0ES6_15HIP_vector_typeIjLj2EENS0_17counting_iteratorIjlEEPS9_SG_NS0_5tupleIJPjSI_NS0_16reverse_iteratorISI_EEEEENSH_IJSG_SG_SG_EEES9_SI_JZNS1_25segmented_radix_sort_implINS0_14default_configELb0EPKlPlSQ_SR_N2at6native12_GLOBAL__N_18offset_tEEE10hipError_tPvRmT1_PNSt15iterator_traitsISZ_E10value_typeET2_T3_PNS10_IS15_E10value_typeET4_jRbjT5_S1B_jjP12ihipStream_tbEUljE_ZNSN_ISO_Lb0ESQ_SR_SQ_SR_SV_EESW_SX_SY_SZ_S13_S14_S15_S18_S19_jS1A_jS1B_S1B_jjS1D_bEUljE0_EEESW_SX_SY_S15_S19_S1B_T6_T7_T9_mT8_S1D_bDpT10_ENKUlT_T0_E_clISt17integral_constantIbLb1EES1Q_IbLb0EEEEDaS1M_S1N_EUlS1M_E_NS1_11comp_targetILNS1_3genE0ELNS1_11target_archE4294967295ELNS1_3gpuE0ELNS1_3repE0EEENS1_30default_config_static_selectorELNS0_4arch9wavefront6targetE1EEEvSZ_.private_seg_size, 0
	.set _ZN7rocprim17ROCPRIM_400000_NS6detail17trampoline_kernelINS0_13select_configILj256ELj13ELNS0_17block_load_methodE3ELS4_3ELS4_3ELNS0_20block_scan_algorithmE0ELj4294967295EEENS1_25partition_config_selectorILNS1_17partition_subalgoE4EjNS0_10empty_typeEbEEZZNS1_14partition_implILS8_4ELb0ES6_15HIP_vector_typeIjLj2EENS0_17counting_iteratorIjlEEPS9_SG_NS0_5tupleIJPjSI_NS0_16reverse_iteratorISI_EEEEENSH_IJSG_SG_SG_EEES9_SI_JZNS1_25segmented_radix_sort_implINS0_14default_configELb0EPKlPlSQ_SR_N2at6native12_GLOBAL__N_18offset_tEEE10hipError_tPvRmT1_PNSt15iterator_traitsISZ_E10value_typeET2_T3_PNS10_IS15_E10value_typeET4_jRbjT5_S1B_jjP12ihipStream_tbEUljE_ZNSN_ISO_Lb0ESQ_SR_SQ_SR_SV_EESW_SX_SY_SZ_S13_S14_S15_S18_S19_jS1A_jS1B_S1B_jjS1D_bEUljE0_EEESW_SX_SY_S15_S19_S1B_T6_T7_T9_mT8_S1D_bDpT10_ENKUlT_T0_E_clISt17integral_constantIbLb1EES1Q_IbLb0EEEEDaS1M_S1N_EUlS1M_E_NS1_11comp_targetILNS1_3genE0ELNS1_11target_archE4294967295ELNS1_3gpuE0ELNS1_3repE0EEENS1_30default_config_static_selectorELNS0_4arch9wavefront6targetE1EEEvSZ_.uses_vcc, 0
	.set _ZN7rocprim17ROCPRIM_400000_NS6detail17trampoline_kernelINS0_13select_configILj256ELj13ELNS0_17block_load_methodE3ELS4_3ELS4_3ELNS0_20block_scan_algorithmE0ELj4294967295EEENS1_25partition_config_selectorILNS1_17partition_subalgoE4EjNS0_10empty_typeEbEEZZNS1_14partition_implILS8_4ELb0ES6_15HIP_vector_typeIjLj2EENS0_17counting_iteratorIjlEEPS9_SG_NS0_5tupleIJPjSI_NS0_16reverse_iteratorISI_EEEEENSH_IJSG_SG_SG_EEES9_SI_JZNS1_25segmented_radix_sort_implINS0_14default_configELb0EPKlPlSQ_SR_N2at6native12_GLOBAL__N_18offset_tEEE10hipError_tPvRmT1_PNSt15iterator_traitsISZ_E10value_typeET2_T3_PNS10_IS15_E10value_typeET4_jRbjT5_S1B_jjP12ihipStream_tbEUljE_ZNSN_ISO_Lb0ESQ_SR_SQ_SR_SV_EESW_SX_SY_SZ_S13_S14_S15_S18_S19_jS1A_jS1B_S1B_jjS1D_bEUljE0_EEESW_SX_SY_S15_S19_S1B_T6_T7_T9_mT8_S1D_bDpT10_ENKUlT_T0_E_clISt17integral_constantIbLb1EES1Q_IbLb0EEEEDaS1M_S1N_EUlS1M_E_NS1_11comp_targetILNS1_3genE0ELNS1_11target_archE4294967295ELNS1_3gpuE0ELNS1_3repE0EEENS1_30default_config_static_selectorELNS0_4arch9wavefront6targetE1EEEvSZ_.uses_flat_scratch, 0
	.set _ZN7rocprim17ROCPRIM_400000_NS6detail17trampoline_kernelINS0_13select_configILj256ELj13ELNS0_17block_load_methodE3ELS4_3ELS4_3ELNS0_20block_scan_algorithmE0ELj4294967295EEENS1_25partition_config_selectorILNS1_17partition_subalgoE4EjNS0_10empty_typeEbEEZZNS1_14partition_implILS8_4ELb0ES6_15HIP_vector_typeIjLj2EENS0_17counting_iteratorIjlEEPS9_SG_NS0_5tupleIJPjSI_NS0_16reverse_iteratorISI_EEEEENSH_IJSG_SG_SG_EEES9_SI_JZNS1_25segmented_radix_sort_implINS0_14default_configELb0EPKlPlSQ_SR_N2at6native12_GLOBAL__N_18offset_tEEE10hipError_tPvRmT1_PNSt15iterator_traitsISZ_E10value_typeET2_T3_PNS10_IS15_E10value_typeET4_jRbjT5_S1B_jjP12ihipStream_tbEUljE_ZNSN_ISO_Lb0ESQ_SR_SQ_SR_SV_EESW_SX_SY_SZ_S13_S14_S15_S18_S19_jS1A_jS1B_S1B_jjS1D_bEUljE0_EEESW_SX_SY_S15_S19_S1B_T6_T7_T9_mT8_S1D_bDpT10_ENKUlT_T0_E_clISt17integral_constantIbLb1EES1Q_IbLb0EEEEDaS1M_S1N_EUlS1M_E_NS1_11comp_targetILNS1_3genE0ELNS1_11target_archE4294967295ELNS1_3gpuE0ELNS1_3repE0EEENS1_30default_config_static_selectorELNS0_4arch9wavefront6targetE1EEEvSZ_.has_dyn_sized_stack, 0
	.set _ZN7rocprim17ROCPRIM_400000_NS6detail17trampoline_kernelINS0_13select_configILj256ELj13ELNS0_17block_load_methodE3ELS4_3ELS4_3ELNS0_20block_scan_algorithmE0ELj4294967295EEENS1_25partition_config_selectorILNS1_17partition_subalgoE4EjNS0_10empty_typeEbEEZZNS1_14partition_implILS8_4ELb0ES6_15HIP_vector_typeIjLj2EENS0_17counting_iteratorIjlEEPS9_SG_NS0_5tupleIJPjSI_NS0_16reverse_iteratorISI_EEEEENSH_IJSG_SG_SG_EEES9_SI_JZNS1_25segmented_radix_sort_implINS0_14default_configELb0EPKlPlSQ_SR_N2at6native12_GLOBAL__N_18offset_tEEE10hipError_tPvRmT1_PNSt15iterator_traitsISZ_E10value_typeET2_T3_PNS10_IS15_E10value_typeET4_jRbjT5_S1B_jjP12ihipStream_tbEUljE_ZNSN_ISO_Lb0ESQ_SR_SQ_SR_SV_EESW_SX_SY_SZ_S13_S14_S15_S18_S19_jS1A_jS1B_S1B_jjS1D_bEUljE0_EEESW_SX_SY_S15_S19_S1B_T6_T7_T9_mT8_S1D_bDpT10_ENKUlT_T0_E_clISt17integral_constantIbLb1EES1Q_IbLb0EEEEDaS1M_S1N_EUlS1M_E_NS1_11comp_targetILNS1_3genE0ELNS1_11target_archE4294967295ELNS1_3gpuE0ELNS1_3repE0EEENS1_30default_config_static_selectorELNS0_4arch9wavefront6targetE1EEEvSZ_.has_recursion, 0
	.set _ZN7rocprim17ROCPRIM_400000_NS6detail17trampoline_kernelINS0_13select_configILj256ELj13ELNS0_17block_load_methodE3ELS4_3ELS4_3ELNS0_20block_scan_algorithmE0ELj4294967295EEENS1_25partition_config_selectorILNS1_17partition_subalgoE4EjNS0_10empty_typeEbEEZZNS1_14partition_implILS8_4ELb0ES6_15HIP_vector_typeIjLj2EENS0_17counting_iteratorIjlEEPS9_SG_NS0_5tupleIJPjSI_NS0_16reverse_iteratorISI_EEEEENSH_IJSG_SG_SG_EEES9_SI_JZNS1_25segmented_radix_sort_implINS0_14default_configELb0EPKlPlSQ_SR_N2at6native12_GLOBAL__N_18offset_tEEE10hipError_tPvRmT1_PNSt15iterator_traitsISZ_E10value_typeET2_T3_PNS10_IS15_E10value_typeET4_jRbjT5_S1B_jjP12ihipStream_tbEUljE_ZNSN_ISO_Lb0ESQ_SR_SQ_SR_SV_EESW_SX_SY_SZ_S13_S14_S15_S18_S19_jS1A_jS1B_S1B_jjS1D_bEUljE0_EEESW_SX_SY_S15_S19_S1B_T6_T7_T9_mT8_S1D_bDpT10_ENKUlT_T0_E_clISt17integral_constantIbLb1EES1Q_IbLb0EEEEDaS1M_S1N_EUlS1M_E_NS1_11comp_targetILNS1_3genE0ELNS1_11target_archE4294967295ELNS1_3gpuE0ELNS1_3repE0EEENS1_30default_config_static_selectorELNS0_4arch9wavefront6targetE1EEEvSZ_.has_indirect_call, 0
	.section	.AMDGPU.csdata,"",@progbits
; Kernel info:
; codeLenInByte = 0
; TotalNumSgprs: 4
; NumVgprs: 0
; ScratchSize: 0
; MemoryBound: 0
; FloatMode: 240
; IeeeMode: 1
; LDSByteSize: 0 bytes/workgroup (compile time only)
; SGPRBlocks: 0
; VGPRBlocks: 0
; NumSGPRsForWavesPerEU: 4
; NumVGPRsForWavesPerEU: 1
; Occupancy: 10
; WaveLimiterHint : 0
; COMPUTE_PGM_RSRC2:SCRATCH_EN: 0
; COMPUTE_PGM_RSRC2:USER_SGPR: 6
; COMPUTE_PGM_RSRC2:TRAP_HANDLER: 0
; COMPUTE_PGM_RSRC2:TGID_X_EN: 1
; COMPUTE_PGM_RSRC2:TGID_Y_EN: 0
; COMPUTE_PGM_RSRC2:TGID_Z_EN: 0
; COMPUTE_PGM_RSRC2:TIDIG_COMP_CNT: 0
	.section	.text._ZN7rocprim17ROCPRIM_400000_NS6detail17trampoline_kernelINS0_13select_configILj256ELj13ELNS0_17block_load_methodE3ELS4_3ELS4_3ELNS0_20block_scan_algorithmE0ELj4294967295EEENS1_25partition_config_selectorILNS1_17partition_subalgoE4EjNS0_10empty_typeEbEEZZNS1_14partition_implILS8_4ELb0ES6_15HIP_vector_typeIjLj2EENS0_17counting_iteratorIjlEEPS9_SG_NS0_5tupleIJPjSI_NS0_16reverse_iteratorISI_EEEEENSH_IJSG_SG_SG_EEES9_SI_JZNS1_25segmented_radix_sort_implINS0_14default_configELb0EPKlPlSQ_SR_N2at6native12_GLOBAL__N_18offset_tEEE10hipError_tPvRmT1_PNSt15iterator_traitsISZ_E10value_typeET2_T3_PNS10_IS15_E10value_typeET4_jRbjT5_S1B_jjP12ihipStream_tbEUljE_ZNSN_ISO_Lb0ESQ_SR_SQ_SR_SV_EESW_SX_SY_SZ_S13_S14_S15_S18_S19_jS1A_jS1B_S1B_jjS1D_bEUljE0_EEESW_SX_SY_S15_S19_S1B_T6_T7_T9_mT8_S1D_bDpT10_ENKUlT_T0_E_clISt17integral_constantIbLb1EES1Q_IbLb0EEEEDaS1M_S1N_EUlS1M_E_NS1_11comp_targetILNS1_3genE5ELNS1_11target_archE942ELNS1_3gpuE9ELNS1_3repE0EEENS1_30default_config_static_selectorELNS0_4arch9wavefront6targetE1EEEvSZ_,"axG",@progbits,_ZN7rocprim17ROCPRIM_400000_NS6detail17trampoline_kernelINS0_13select_configILj256ELj13ELNS0_17block_load_methodE3ELS4_3ELS4_3ELNS0_20block_scan_algorithmE0ELj4294967295EEENS1_25partition_config_selectorILNS1_17partition_subalgoE4EjNS0_10empty_typeEbEEZZNS1_14partition_implILS8_4ELb0ES6_15HIP_vector_typeIjLj2EENS0_17counting_iteratorIjlEEPS9_SG_NS0_5tupleIJPjSI_NS0_16reverse_iteratorISI_EEEEENSH_IJSG_SG_SG_EEES9_SI_JZNS1_25segmented_radix_sort_implINS0_14default_configELb0EPKlPlSQ_SR_N2at6native12_GLOBAL__N_18offset_tEEE10hipError_tPvRmT1_PNSt15iterator_traitsISZ_E10value_typeET2_T3_PNS10_IS15_E10value_typeET4_jRbjT5_S1B_jjP12ihipStream_tbEUljE_ZNSN_ISO_Lb0ESQ_SR_SQ_SR_SV_EESW_SX_SY_SZ_S13_S14_S15_S18_S19_jS1A_jS1B_S1B_jjS1D_bEUljE0_EEESW_SX_SY_S15_S19_S1B_T6_T7_T9_mT8_S1D_bDpT10_ENKUlT_T0_E_clISt17integral_constantIbLb1EES1Q_IbLb0EEEEDaS1M_S1N_EUlS1M_E_NS1_11comp_targetILNS1_3genE5ELNS1_11target_archE942ELNS1_3gpuE9ELNS1_3repE0EEENS1_30default_config_static_selectorELNS0_4arch9wavefront6targetE1EEEvSZ_,comdat
	.globl	_ZN7rocprim17ROCPRIM_400000_NS6detail17trampoline_kernelINS0_13select_configILj256ELj13ELNS0_17block_load_methodE3ELS4_3ELS4_3ELNS0_20block_scan_algorithmE0ELj4294967295EEENS1_25partition_config_selectorILNS1_17partition_subalgoE4EjNS0_10empty_typeEbEEZZNS1_14partition_implILS8_4ELb0ES6_15HIP_vector_typeIjLj2EENS0_17counting_iteratorIjlEEPS9_SG_NS0_5tupleIJPjSI_NS0_16reverse_iteratorISI_EEEEENSH_IJSG_SG_SG_EEES9_SI_JZNS1_25segmented_radix_sort_implINS0_14default_configELb0EPKlPlSQ_SR_N2at6native12_GLOBAL__N_18offset_tEEE10hipError_tPvRmT1_PNSt15iterator_traitsISZ_E10value_typeET2_T3_PNS10_IS15_E10value_typeET4_jRbjT5_S1B_jjP12ihipStream_tbEUljE_ZNSN_ISO_Lb0ESQ_SR_SQ_SR_SV_EESW_SX_SY_SZ_S13_S14_S15_S18_S19_jS1A_jS1B_S1B_jjS1D_bEUljE0_EEESW_SX_SY_S15_S19_S1B_T6_T7_T9_mT8_S1D_bDpT10_ENKUlT_T0_E_clISt17integral_constantIbLb1EES1Q_IbLb0EEEEDaS1M_S1N_EUlS1M_E_NS1_11comp_targetILNS1_3genE5ELNS1_11target_archE942ELNS1_3gpuE9ELNS1_3repE0EEENS1_30default_config_static_selectorELNS0_4arch9wavefront6targetE1EEEvSZ_ ; -- Begin function _ZN7rocprim17ROCPRIM_400000_NS6detail17trampoline_kernelINS0_13select_configILj256ELj13ELNS0_17block_load_methodE3ELS4_3ELS4_3ELNS0_20block_scan_algorithmE0ELj4294967295EEENS1_25partition_config_selectorILNS1_17partition_subalgoE4EjNS0_10empty_typeEbEEZZNS1_14partition_implILS8_4ELb0ES6_15HIP_vector_typeIjLj2EENS0_17counting_iteratorIjlEEPS9_SG_NS0_5tupleIJPjSI_NS0_16reverse_iteratorISI_EEEEENSH_IJSG_SG_SG_EEES9_SI_JZNS1_25segmented_radix_sort_implINS0_14default_configELb0EPKlPlSQ_SR_N2at6native12_GLOBAL__N_18offset_tEEE10hipError_tPvRmT1_PNSt15iterator_traitsISZ_E10value_typeET2_T3_PNS10_IS15_E10value_typeET4_jRbjT5_S1B_jjP12ihipStream_tbEUljE_ZNSN_ISO_Lb0ESQ_SR_SQ_SR_SV_EESW_SX_SY_SZ_S13_S14_S15_S18_S19_jS1A_jS1B_S1B_jjS1D_bEUljE0_EEESW_SX_SY_S15_S19_S1B_T6_T7_T9_mT8_S1D_bDpT10_ENKUlT_T0_E_clISt17integral_constantIbLb1EES1Q_IbLb0EEEEDaS1M_S1N_EUlS1M_E_NS1_11comp_targetILNS1_3genE5ELNS1_11target_archE942ELNS1_3gpuE9ELNS1_3repE0EEENS1_30default_config_static_selectorELNS0_4arch9wavefront6targetE1EEEvSZ_
	.p2align	8
	.type	_ZN7rocprim17ROCPRIM_400000_NS6detail17trampoline_kernelINS0_13select_configILj256ELj13ELNS0_17block_load_methodE3ELS4_3ELS4_3ELNS0_20block_scan_algorithmE0ELj4294967295EEENS1_25partition_config_selectorILNS1_17partition_subalgoE4EjNS0_10empty_typeEbEEZZNS1_14partition_implILS8_4ELb0ES6_15HIP_vector_typeIjLj2EENS0_17counting_iteratorIjlEEPS9_SG_NS0_5tupleIJPjSI_NS0_16reverse_iteratorISI_EEEEENSH_IJSG_SG_SG_EEES9_SI_JZNS1_25segmented_radix_sort_implINS0_14default_configELb0EPKlPlSQ_SR_N2at6native12_GLOBAL__N_18offset_tEEE10hipError_tPvRmT1_PNSt15iterator_traitsISZ_E10value_typeET2_T3_PNS10_IS15_E10value_typeET4_jRbjT5_S1B_jjP12ihipStream_tbEUljE_ZNSN_ISO_Lb0ESQ_SR_SQ_SR_SV_EESW_SX_SY_SZ_S13_S14_S15_S18_S19_jS1A_jS1B_S1B_jjS1D_bEUljE0_EEESW_SX_SY_S15_S19_S1B_T6_T7_T9_mT8_S1D_bDpT10_ENKUlT_T0_E_clISt17integral_constantIbLb1EES1Q_IbLb0EEEEDaS1M_S1N_EUlS1M_E_NS1_11comp_targetILNS1_3genE5ELNS1_11target_archE942ELNS1_3gpuE9ELNS1_3repE0EEENS1_30default_config_static_selectorELNS0_4arch9wavefront6targetE1EEEvSZ_,@function
_ZN7rocprim17ROCPRIM_400000_NS6detail17trampoline_kernelINS0_13select_configILj256ELj13ELNS0_17block_load_methodE3ELS4_3ELS4_3ELNS0_20block_scan_algorithmE0ELj4294967295EEENS1_25partition_config_selectorILNS1_17partition_subalgoE4EjNS0_10empty_typeEbEEZZNS1_14partition_implILS8_4ELb0ES6_15HIP_vector_typeIjLj2EENS0_17counting_iteratorIjlEEPS9_SG_NS0_5tupleIJPjSI_NS0_16reverse_iteratorISI_EEEEENSH_IJSG_SG_SG_EEES9_SI_JZNS1_25segmented_radix_sort_implINS0_14default_configELb0EPKlPlSQ_SR_N2at6native12_GLOBAL__N_18offset_tEEE10hipError_tPvRmT1_PNSt15iterator_traitsISZ_E10value_typeET2_T3_PNS10_IS15_E10value_typeET4_jRbjT5_S1B_jjP12ihipStream_tbEUljE_ZNSN_ISO_Lb0ESQ_SR_SQ_SR_SV_EESW_SX_SY_SZ_S13_S14_S15_S18_S19_jS1A_jS1B_S1B_jjS1D_bEUljE0_EEESW_SX_SY_S15_S19_S1B_T6_T7_T9_mT8_S1D_bDpT10_ENKUlT_T0_E_clISt17integral_constantIbLb1EES1Q_IbLb0EEEEDaS1M_S1N_EUlS1M_E_NS1_11comp_targetILNS1_3genE5ELNS1_11target_archE942ELNS1_3gpuE9ELNS1_3repE0EEENS1_30default_config_static_selectorELNS0_4arch9wavefront6targetE1EEEvSZ_: ; @_ZN7rocprim17ROCPRIM_400000_NS6detail17trampoline_kernelINS0_13select_configILj256ELj13ELNS0_17block_load_methodE3ELS4_3ELS4_3ELNS0_20block_scan_algorithmE0ELj4294967295EEENS1_25partition_config_selectorILNS1_17partition_subalgoE4EjNS0_10empty_typeEbEEZZNS1_14partition_implILS8_4ELb0ES6_15HIP_vector_typeIjLj2EENS0_17counting_iteratorIjlEEPS9_SG_NS0_5tupleIJPjSI_NS0_16reverse_iteratorISI_EEEEENSH_IJSG_SG_SG_EEES9_SI_JZNS1_25segmented_radix_sort_implINS0_14default_configELb0EPKlPlSQ_SR_N2at6native12_GLOBAL__N_18offset_tEEE10hipError_tPvRmT1_PNSt15iterator_traitsISZ_E10value_typeET2_T3_PNS10_IS15_E10value_typeET4_jRbjT5_S1B_jjP12ihipStream_tbEUljE_ZNSN_ISO_Lb0ESQ_SR_SQ_SR_SV_EESW_SX_SY_SZ_S13_S14_S15_S18_S19_jS1A_jS1B_S1B_jjS1D_bEUljE0_EEESW_SX_SY_S15_S19_S1B_T6_T7_T9_mT8_S1D_bDpT10_ENKUlT_T0_E_clISt17integral_constantIbLb1EES1Q_IbLb0EEEEDaS1M_S1N_EUlS1M_E_NS1_11comp_targetILNS1_3genE5ELNS1_11target_archE942ELNS1_3gpuE9ELNS1_3repE0EEENS1_30default_config_static_selectorELNS0_4arch9wavefront6targetE1EEEvSZ_
; %bb.0:
	.section	.rodata,"a",@progbits
	.p2align	6, 0x0
	.amdhsa_kernel _ZN7rocprim17ROCPRIM_400000_NS6detail17trampoline_kernelINS0_13select_configILj256ELj13ELNS0_17block_load_methodE3ELS4_3ELS4_3ELNS0_20block_scan_algorithmE0ELj4294967295EEENS1_25partition_config_selectorILNS1_17partition_subalgoE4EjNS0_10empty_typeEbEEZZNS1_14partition_implILS8_4ELb0ES6_15HIP_vector_typeIjLj2EENS0_17counting_iteratorIjlEEPS9_SG_NS0_5tupleIJPjSI_NS0_16reverse_iteratorISI_EEEEENSH_IJSG_SG_SG_EEES9_SI_JZNS1_25segmented_radix_sort_implINS0_14default_configELb0EPKlPlSQ_SR_N2at6native12_GLOBAL__N_18offset_tEEE10hipError_tPvRmT1_PNSt15iterator_traitsISZ_E10value_typeET2_T3_PNS10_IS15_E10value_typeET4_jRbjT5_S1B_jjP12ihipStream_tbEUljE_ZNSN_ISO_Lb0ESQ_SR_SQ_SR_SV_EESW_SX_SY_SZ_S13_S14_S15_S18_S19_jS1A_jS1B_S1B_jjS1D_bEUljE0_EEESW_SX_SY_S15_S19_S1B_T6_T7_T9_mT8_S1D_bDpT10_ENKUlT_T0_E_clISt17integral_constantIbLb1EES1Q_IbLb0EEEEDaS1M_S1N_EUlS1M_E_NS1_11comp_targetILNS1_3genE5ELNS1_11target_archE942ELNS1_3gpuE9ELNS1_3repE0EEENS1_30default_config_static_selectorELNS0_4arch9wavefront6targetE1EEEvSZ_
		.amdhsa_group_segment_fixed_size 0
		.amdhsa_private_segment_fixed_size 0
		.amdhsa_kernarg_size 176
		.amdhsa_user_sgpr_count 6
		.amdhsa_user_sgpr_private_segment_buffer 1
		.amdhsa_user_sgpr_dispatch_ptr 0
		.amdhsa_user_sgpr_queue_ptr 0
		.amdhsa_user_sgpr_kernarg_segment_ptr 1
		.amdhsa_user_sgpr_dispatch_id 0
		.amdhsa_user_sgpr_flat_scratch_init 0
		.amdhsa_user_sgpr_private_segment_size 0
		.amdhsa_uses_dynamic_stack 0
		.amdhsa_system_sgpr_private_segment_wavefront_offset 0
		.amdhsa_system_sgpr_workgroup_id_x 1
		.amdhsa_system_sgpr_workgroup_id_y 0
		.amdhsa_system_sgpr_workgroup_id_z 0
		.amdhsa_system_sgpr_workgroup_info 0
		.amdhsa_system_vgpr_workitem_id 0
		.amdhsa_next_free_vgpr 1
		.amdhsa_next_free_sgpr 0
		.amdhsa_reserve_vcc 0
		.amdhsa_reserve_flat_scratch 0
		.amdhsa_float_round_mode_32 0
		.amdhsa_float_round_mode_16_64 0
		.amdhsa_float_denorm_mode_32 3
		.amdhsa_float_denorm_mode_16_64 3
		.amdhsa_dx10_clamp 1
		.amdhsa_ieee_mode 1
		.amdhsa_fp16_overflow 0
		.amdhsa_exception_fp_ieee_invalid_op 0
		.amdhsa_exception_fp_denorm_src 0
		.amdhsa_exception_fp_ieee_div_zero 0
		.amdhsa_exception_fp_ieee_overflow 0
		.amdhsa_exception_fp_ieee_underflow 0
		.amdhsa_exception_fp_ieee_inexact 0
		.amdhsa_exception_int_div_zero 0
	.end_amdhsa_kernel
	.section	.text._ZN7rocprim17ROCPRIM_400000_NS6detail17trampoline_kernelINS0_13select_configILj256ELj13ELNS0_17block_load_methodE3ELS4_3ELS4_3ELNS0_20block_scan_algorithmE0ELj4294967295EEENS1_25partition_config_selectorILNS1_17partition_subalgoE4EjNS0_10empty_typeEbEEZZNS1_14partition_implILS8_4ELb0ES6_15HIP_vector_typeIjLj2EENS0_17counting_iteratorIjlEEPS9_SG_NS0_5tupleIJPjSI_NS0_16reverse_iteratorISI_EEEEENSH_IJSG_SG_SG_EEES9_SI_JZNS1_25segmented_radix_sort_implINS0_14default_configELb0EPKlPlSQ_SR_N2at6native12_GLOBAL__N_18offset_tEEE10hipError_tPvRmT1_PNSt15iterator_traitsISZ_E10value_typeET2_T3_PNS10_IS15_E10value_typeET4_jRbjT5_S1B_jjP12ihipStream_tbEUljE_ZNSN_ISO_Lb0ESQ_SR_SQ_SR_SV_EESW_SX_SY_SZ_S13_S14_S15_S18_S19_jS1A_jS1B_S1B_jjS1D_bEUljE0_EEESW_SX_SY_S15_S19_S1B_T6_T7_T9_mT8_S1D_bDpT10_ENKUlT_T0_E_clISt17integral_constantIbLb1EES1Q_IbLb0EEEEDaS1M_S1N_EUlS1M_E_NS1_11comp_targetILNS1_3genE5ELNS1_11target_archE942ELNS1_3gpuE9ELNS1_3repE0EEENS1_30default_config_static_selectorELNS0_4arch9wavefront6targetE1EEEvSZ_,"axG",@progbits,_ZN7rocprim17ROCPRIM_400000_NS6detail17trampoline_kernelINS0_13select_configILj256ELj13ELNS0_17block_load_methodE3ELS4_3ELS4_3ELNS0_20block_scan_algorithmE0ELj4294967295EEENS1_25partition_config_selectorILNS1_17partition_subalgoE4EjNS0_10empty_typeEbEEZZNS1_14partition_implILS8_4ELb0ES6_15HIP_vector_typeIjLj2EENS0_17counting_iteratorIjlEEPS9_SG_NS0_5tupleIJPjSI_NS0_16reverse_iteratorISI_EEEEENSH_IJSG_SG_SG_EEES9_SI_JZNS1_25segmented_radix_sort_implINS0_14default_configELb0EPKlPlSQ_SR_N2at6native12_GLOBAL__N_18offset_tEEE10hipError_tPvRmT1_PNSt15iterator_traitsISZ_E10value_typeET2_T3_PNS10_IS15_E10value_typeET4_jRbjT5_S1B_jjP12ihipStream_tbEUljE_ZNSN_ISO_Lb0ESQ_SR_SQ_SR_SV_EESW_SX_SY_SZ_S13_S14_S15_S18_S19_jS1A_jS1B_S1B_jjS1D_bEUljE0_EEESW_SX_SY_S15_S19_S1B_T6_T7_T9_mT8_S1D_bDpT10_ENKUlT_T0_E_clISt17integral_constantIbLb1EES1Q_IbLb0EEEEDaS1M_S1N_EUlS1M_E_NS1_11comp_targetILNS1_3genE5ELNS1_11target_archE942ELNS1_3gpuE9ELNS1_3repE0EEENS1_30default_config_static_selectorELNS0_4arch9wavefront6targetE1EEEvSZ_,comdat
.Lfunc_end760:
	.size	_ZN7rocprim17ROCPRIM_400000_NS6detail17trampoline_kernelINS0_13select_configILj256ELj13ELNS0_17block_load_methodE3ELS4_3ELS4_3ELNS0_20block_scan_algorithmE0ELj4294967295EEENS1_25partition_config_selectorILNS1_17partition_subalgoE4EjNS0_10empty_typeEbEEZZNS1_14partition_implILS8_4ELb0ES6_15HIP_vector_typeIjLj2EENS0_17counting_iteratorIjlEEPS9_SG_NS0_5tupleIJPjSI_NS0_16reverse_iteratorISI_EEEEENSH_IJSG_SG_SG_EEES9_SI_JZNS1_25segmented_radix_sort_implINS0_14default_configELb0EPKlPlSQ_SR_N2at6native12_GLOBAL__N_18offset_tEEE10hipError_tPvRmT1_PNSt15iterator_traitsISZ_E10value_typeET2_T3_PNS10_IS15_E10value_typeET4_jRbjT5_S1B_jjP12ihipStream_tbEUljE_ZNSN_ISO_Lb0ESQ_SR_SQ_SR_SV_EESW_SX_SY_SZ_S13_S14_S15_S18_S19_jS1A_jS1B_S1B_jjS1D_bEUljE0_EEESW_SX_SY_S15_S19_S1B_T6_T7_T9_mT8_S1D_bDpT10_ENKUlT_T0_E_clISt17integral_constantIbLb1EES1Q_IbLb0EEEEDaS1M_S1N_EUlS1M_E_NS1_11comp_targetILNS1_3genE5ELNS1_11target_archE942ELNS1_3gpuE9ELNS1_3repE0EEENS1_30default_config_static_selectorELNS0_4arch9wavefront6targetE1EEEvSZ_, .Lfunc_end760-_ZN7rocprim17ROCPRIM_400000_NS6detail17trampoline_kernelINS0_13select_configILj256ELj13ELNS0_17block_load_methodE3ELS4_3ELS4_3ELNS0_20block_scan_algorithmE0ELj4294967295EEENS1_25partition_config_selectorILNS1_17partition_subalgoE4EjNS0_10empty_typeEbEEZZNS1_14partition_implILS8_4ELb0ES6_15HIP_vector_typeIjLj2EENS0_17counting_iteratorIjlEEPS9_SG_NS0_5tupleIJPjSI_NS0_16reverse_iteratorISI_EEEEENSH_IJSG_SG_SG_EEES9_SI_JZNS1_25segmented_radix_sort_implINS0_14default_configELb0EPKlPlSQ_SR_N2at6native12_GLOBAL__N_18offset_tEEE10hipError_tPvRmT1_PNSt15iterator_traitsISZ_E10value_typeET2_T3_PNS10_IS15_E10value_typeET4_jRbjT5_S1B_jjP12ihipStream_tbEUljE_ZNSN_ISO_Lb0ESQ_SR_SQ_SR_SV_EESW_SX_SY_SZ_S13_S14_S15_S18_S19_jS1A_jS1B_S1B_jjS1D_bEUljE0_EEESW_SX_SY_S15_S19_S1B_T6_T7_T9_mT8_S1D_bDpT10_ENKUlT_T0_E_clISt17integral_constantIbLb1EES1Q_IbLb0EEEEDaS1M_S1N_EUlS1M_E_NS1_11comp_targetILNS1_3genE5ELNS1_11target_archE942ELNS1_3gpuE9ELNS1_3repE0EEENS1_30default_config_static_selectorELNS0_4arch9wavefront6targetE1EEEvSZ_
                                        ; -- End function
	.set _ZN7rocprim17ROCPRIM_400000_NS6detail17trampoline_kernelINS0_13select_configILj256ELj13ELNS0_17block_load_methodE3ELS4_3ELS4_3ELNS0_20block_scan_algorithmE0ELj4294967295EEENS1_25partition_config_selectorILNS1_17partition_subalgoE4EjNS0_10empty_typeEbEEZZNS1_14partition_implILS8_4ELb0ES6_15HIP_vector_typeIjLj2EENS0_17counting_iteratorIjlEEPS9_SG_NS0_5tupleIJPjSI_NS0_16reverse_iteratorISI_EEEEENSH_IJSG_SG_SG_EEES9_SI_JZNS1_25segmented_radix_sort_implINS0_14default_configELb0EPKlPlSQ_SR_N2at6native12_GLOBAL__N_18offset_tEEE10hipError_tPvRmT1_PNSt15iterator_traitsISZ_E10value_typeET2_T3_PNS10_IS15_E10value_typeET4_jRbjT5_S1B_jjP12ihipStream_tbEUljE_ZNSN_ISO_Lb0ESQ_SR_SQ_SR_SV_EESW_SX_SY_SZ_S13_S14_S15_S18_S19_jS1A_jS1B_S1B_jjS1D_bEUljE0_EEESW_SX_SY_S15_S19_S1B_T6_T7_T9_mT8_S1D_bDpT10_ENKUlT_T0_E_clISt17integral_constantIbLb1EES1Q_IbLb0EEEEDaS1M_S1N_EUlS1M_E_NS1_11comp_targetILNS1_3genE5ELNS1_11target_archE942ELNS1_3gpuE9ELNS1_3repE0EEENS1_30default_config_static_selectorELNS0_4arch9wavefront6targetE1EEEvSZ_.num_vgpr, 0
	.set _ZN7rocprim17ROCPRIM_400000_NS6detail17trampoline_kernelINS0_13select_configILj256ELj13ELNS0_17block_load_methodE3ELS4_3ELS4_3ELNS0_20block_scan_algorithmE0ELj4294967295EEENS1_25partition_config_selectorILNS1_17partition_subalgoE4EjNS0_10empty_typeEbEEZZNS1_14partition_implILS8_4ELb0ES6_15HIP_vector_typeIjLj2EENS0_17counting_iteratorIjlEEPS9_SG_NS0_5tupleIJPjSI_NS0_16reverse_iteratorISI_EEEEENSH_IJSG_SG_SG_EEES9_SI_JZNS1_25segmented_radix_sort_implINS0_14default_configELb0EPKlPlSQ_SR_N2at6native12_GLOBAL__N_18offset_tEEE10hipError_tPvRmT1_PNSt15iterator_traitsISZ_E10value_typeET2_T3_PNS10_IS15_E10value_typeET4_jRbjT5_S1B_jjP12ihipStream_tbEUljE_ZNSN_ISO_Lb0ESQ_SR_SQ_SR_SV_EESW_SX_SY_SZ_S13_S14_S15_S18_S19_jS1A_jS1B_S1B_jjS1D_bEUljE0_EEESW_SX_SY_S15_S19_S1B_T6_T7_T9_mT8_S1D_bDpT10_ENKUlT_T0_E_clISt17integral_constantIbLb1EES1Q_IbLb0EEEEDaS1M_S1N_EUlS1M_E_NS1_11comp_targetILNS1_3genE5ELNS1_11target_archE942ELNS1_3gpuE9ELNS1_3repE0EEENS1_30default_config_static_selectorELNS0_4arch9wavefront6targetE1EEEvSZ_.num_agpr, 0
	.set _ZN7rocprim17ROCPRIM_400000_NS6detail17trampoline_kernelINS0_13select_configILj256ELj13ELNS0_17block_load_methodE3ELS4_3ELS4_3ELNS0_20block_scan_algorithmE0ELj4294967295EEENS1_25partition_config_selectorILNS1_17partition_subalgoE4EjNS0_10empty_typeEbEEZZNS1_14partition_implILS8_4ELb0ES6_15HIP_vector_typeIjLj2EENS0_17counting_iteratorIjlEEPS9_SG_NS0_5tupleIJPjSI_NS0_16reverse_iteratorISI_EEEEENSH_IJSG_SG_SG_EEES9_SI_JZNS1_25segmented_radix_sort_implINS0_14default_configELb0EPKlPlSQ_SR_N2at6native12_GLOBAL__N_18offset_tEEE10hipError_tPvRmT1_PNSt15iterator_traitsISZ_E10value_typeET2_T3_PNS10_IS15_E10value_typeET4_jRbjT5_S1B_jjP12ihipStream_tbEUljE_ZNSN_ISO_Lb0ESQ_SR_SQ_SR_SV_EESW_SX_SY_SZ_S13_S14_S15_S18_S19_jS1A_jS1B_S1B_jjS1D_bEUljE0_EEESW_SX_SY_S15_S19_S1B_T6_T7_T9_mT8_S1D_bDpT10_ENKUlT_T0_E_clISt17integral_constantIbLb1EES1Q_IbLb0EEEEDaS1M_S1N_EUlS1M_E_NS1_11comp_targetILNS1_3genE5ELNS1_11target_archE942ELNS1_3gpuE9ELNS1_3repE0EEENS1_30default_config_static_selectorELNS0_4arch9wavefront6targetE1EEEvSZ_.numbered_sgpr, 0
	.set _ZN7rocprim17ROCPRIM_400000_NS6detail17trampoline_kernelINS0_13select_configILj256ELj13ELNS0_17block_load_methodE3ELS4_3ELS4_3ELNS0_20block_scan_algorithmE0ELj4294967295EEENS1_25partition_config_selectorILNS1_17partition_subalgoE4EjNS0_10empty_typeEbEEZZNS1_14partition_implILS8_4ELb0ES6_15HIP_vector_typeIjLj2EENS0_17counting_iteratorIjlEEPS9_SG_NS0_5tupleIJPjSI_NS0_16reverse_iteratorISI_EEEEENSH_IJSG_SG_SG_EEES9_SI_JZNS1_25segmented_radix_sort_implINS0_14default_configELb0EPKlPlSQ_SR_N2at6native12_GLOBAL__N_18offset_tEEE10hipError_tPvRmT1_PNSt15iterator_traitsISZ_E10value_typeET2_T3_PNS10_IS15_E10value_typeET4_jRbjT5_S1B_jjP12ihipStream_tbEUljE_ZNSN_ISO_Lb0ESQ_SR_SQ_SR_SV_EESW_SX_SY_SZ_S13_S14_S15_S18_S19_jS1A_jS1B_S1B_jjS1D_bEUljE0_EEESW_SX_SY_S15_S19_S1B_T6_T7_T9_mT8_S1D_bDpT10_ENKUlT_T0_E_clISt17integral_constantIbLb1EES1Q_IbLb0EEEEDaS1M_S1N_EUlS1M_E_NS1_11comp_targetILNS1_3genE5ELNS1_11target_archE942ELNS1_3gpuE9ELNS1_3repE0EEENS1_30default_config_static_selectorELNS0_4arch9wavefront6targetE1EEEvSZ_.num_named_barrier, 0
	.set _ZN7rocprim17ROCPRIM_400000_NS6detail17trampoline_kernelINS0_13select_configILj256ELj13ELNS0_17block_load_methodE3ELS4_3ELS4_3ELNS0_20block_scan_algorithmE0ELj4294967295EEENS1_25partition_config_selectorILNS1_17partition_subalgoE4EjNS0_10empty_typeEbEEZZNS1_14partition_implILS8_4ELb0ES6_15HIP_vector_typeIjLj2EENS0_17counting_iteratorIjlEEPS9_SG_NS0_5tupleIJPjSI_NS0_16reverse_iteratorISI_EEEEENSH_IJSG_SG_SG_EEES9_SI_JZNS1_25segmented_radix_sort_implINS0_14default_configELb0EPKlPlSQ_SR_N2at6native12_GLOBAL__N_18offset_tEEE10hipError_tPvRmT1_PNSt15iterator_traitsISZ_E10value_typeET2_T3_PNS10_IS15_E10value_typeET4_jRbjT5_S1B_jjP12ihipStream_tbEUljE_ZNSN_ISO_Lb0ESQ_SR_SQ_SR_SV_EESW_SX_SY_SZ_S13_S14_S15_S18_S19_jS1A_jS1B_S1B_jjS1D_bEUljE0_EEESW_SX_SY_S15_S19_S1B_T6_T7_T9_mT8_S1D_bDpT10_ENKUlT_T0_E_clISt17integral_constantIbLb1EES1Q_IbLb0EEEEDaS1M_S1N_EUlS1M_E_NS1_11comp_targetILNS1_3genE5ELNS1_11target_archE942ELNS1_3gpuE9ELNS1_3repE0EEENS1_30default_config_static_selectorELNS0_4arch9wavefront6targetE1EEEvSZ_.private_seg_size, 0
	.set _ZN7rocprim17ROCPRIM_400000_NS6detail17trampoline_kernelINS0_13select_configILj256ELj13ELNS0_17block_load_methodE3ELS4_3ELS4_3ELNS0_20block_scan_algorithmE0ELj4294967295EEENS1_25partition_config_selectorILNS1_17partition_subalgoE4EjNS0_10empty_typeEbEEZZNS1_14partition_implILS8_4ELb0ES6_15HIP_vector_typeIjLj2EENS0_17counting_iteratorIjlEEPS9_SG_NS0_5tupleIJPjSI_NS0_16reverse_iteratorISI_EEEEENSH_IJSG_SG_SG_EEES9_SI_JZNS1_25segmented_radix_sort_implINS0_14default_configELb0EPKlPlSQ_SR_N2at6native12_GLOBAL__N_18offset_tEEE10hipError_tPvRmT1_PNSt15iterator_traitsISZ_E10value_typeET2_T3_PNS10_IS15_E10value_typeET4_jRbjT5_S1B_jjP12ihipStream_tbEUljE_ZNSN_ISO_Lb0ESQ_SR_SQ_SR_SV_EESW_SX_SY_SZ_S13_S14_S15_S18_S19_jS1A_jS1B_S1B_jjS1D_bEUljE0_EEESW_SX_SY_S15_S19_S1B_T6_T7_T9_mT8_S1D_bDpT10_ENKUlT_T0_E_clISt17integral_constantIbLb1EES1Q_IbLb0EEEEDaS1M_S1N_EUlS1M_E_NS1_11comp_targetILNS1_3genE5ELNS1_11target_archE942ELNS1_3gpuE9ELNS1_3repE0EEENS1_30default_config_static_selectorELNS0_4arch9wavefront6targetE1EEEvSZ_.uses_vcc, 0
	.set _ZN7rocprim17ROCPRIM_400000_NS6detail17trampoline_kernelINS0_13select_configILj256ELj13ELNS0_17block_load_methodE3ELS4_3ELS4_3ELNS0_20block_scan_algorithmE0ELj4294967295EEENS1_25partition_config_selectorILNS1_17partition_subalgoE4EjNS0_10empty_typeEbEEZZNS1_14partition_implILS8_4ELb0ES6_15HIP_vector_typeIjLj2EENS0_17counting_iteratorIjlEEPS9_SG_NS0_5tupleIJPjSI_NS0_16reverse_iteratorISI_EEEEENSH_IJSG_SG_SG_EEES9_SI_JZNS1_25segmented_radix_sort_implINS0_14default_configELb0EPKlPlSQ_SR_N2at6native12_GLOBAL__N_18offset_tEEE10hipError_tPvRmT1_PNSt15iterator_traitsISZ_E10value_typeET2_T3_PNS10_IS15_E10value_typeET4_jRbjT5_S1B_jjP12ihipStream_tbEUljE_ZNSN_ISO_Lb0ESQ_SR_SQ_SR_SV_EESW_SX_SY_SZ_S13_S14_S15_S18_S19_jS1A_jS1B_S1B_jjS1D_bEUljE0_EEESW_SX_SY_S15_S19_S1B_T6_T7_T9_mT8_S1D_bDpT10_ENKUlT_T0_E_clISt17integral_constantIbLb1EES1Q_IbLb0EEEEDaS1M_S1N_EUlS1M_E_NS1_11comp_targetILNS1_3genE5ELNS1_11target_archE942ELNS1_3gpuE9ELNS1_3repE0EEENS1_30default_config_static_selectorELNS0_4arch9wavefront6targetE1EEEvSZ_.uses_flat_scratch, 0
	.set _ZN7rocprim17ROCPRIM_400000_NS6detail17trampoline_kernelINS0_13select_configILj256ELj13ELNS0_17block_load_methodE3ELS4_3ELS4_3ELNS0_20block_scan_algorithmE0ELj4294967295EEENS1_25partition_config_selectorILNS1_17partition_subalgoE4EjNS0_10empty_typeEbEEZZNS1_14partition_implILS8_4ELb0ES6_15HIP_vector_typeIjLj2EENS0_17counting_iteratorIjlEEPS9_SG_NS0_5tupleIJPjSI_NS0_16reverse_iteratorISI_EEEEENSH_IJSG_SG_SG_EEES9_SI_JZNS1_25segmented_radix_sort_implINS0_14default_configELb0EPKlPlSQ_SR_N2at6native12_GLOBAL__N_18offset_tEEE10hipError_tPvRmT1_PNSt15iterator_traitsISZ_E10value_typeET2_T3_PNS10_IS15_E10value_typeET4_jRbjT5_S1B_jjP12ihipStream_tbEUljE_ZNSN_ISO_Lb0ESQ_SR_SQ_SR_SV_EESW_SX_SY_SZ_S13_S14_S15_S18_S19_jS1A_jS1B_S1B_jjS1D_bEUljE0_EEESW_SX_SY_S15_S19_S1B_T6_T7_T9_mT8_S1D_bDpT10_ENKUlT_T0_E_clISt17integral_constantIbLb1EES1Q_IbLb0EEEEDaS1M_S1N_EUlS1M_E_NS1_11comp_targetILNS1_3genE5ELNS1_11target_archE942ELNS1_3gpuE9ELNS1_3repE0EEENS1_30default_config_static_selectorELNS0_4arch9wavefront6targetE1EEEvSZ_.has_dyn_sized_stack, 0
	.set _ZN7rocprim17ROCPRIM_400000_NS6detail17trampoline_kernelINS0_13select_configILj256ELj13ELNS0_17block_load_methodE3ELS4_3ELS4_3ELNS0_20block_scan_algorithmE0ELj4294967295EEENS1_25partition_config_selectorILNS1_17partition_subalgoE4EjNS0_10empty_typeEbEEZZNS1_14partition_implILS8_4ELb0ES6_15HIP_vector_typeIjLj2EENS0_17counting_iteratorIjlEEPS9_SG_NS0_5tupleIJPjSI_NS0_16reverse_iteratorISI_EEEEENSH_IJSG_SG_SG_EEES9_SI_JZNS1_25segmented_radix_sort_implINS0_14default_configELb0EPKlPlSQ_SR_N2at6native12_GLOBAL__N_18offset_tEEE10hipError_tPvRmT1_PNSt15iterator_traitsISZ_E10value_typeET2_T3_PNS10_IS15_E10value_typeET4_jRbjT5_S1B_jjP12ihipStream_tbEUljE_ZNSN_ISO_Lb0ESQ_SR_SQ_SR_SV_EESW_SX_SY_SZ_S13_S14_S15_S18_S19_jS1A_jS1B_S1B_jjS1D_bEUljE0_EEESW_SX_SY_S15_S19_S1B_T6_T7_T9_mT8_S1D_bDpT10_ENKUlT_T0_E_clISt17integral_constantIbLb1EES1Q_IbLb0EEEEDaS1M_S1N_EUlS1M_E_NS1_11comp_targetILNS1_3genE5ELNS1_11target_archE942ELNS1_3gpuE9ELNS1_3repE0EEENS1_30default_config_static_selectorELNS0_4arch9wavefront6targetE1EEEvSZ_.has_recursion, 0
	.set _ZN7rocprim17ROCPRIM_400000_NS6detail17trampoline_kernelINS0_13select_configILj256ELj13ELNS0_17block_load_methodE3ELS4_3ELS4_3ELNS0_20block_scan_algorithmE0ELj4294967295EEENS1_25partition_config_selectorILNS1_17partition_subalgoE4EjNS0_10empty_typeEbEEZZNS1_14partition_implILS8_4ELb0ES6_15HIP_vector_typeIjLj2EENS0_17counting_iteratorIjlEEPS9_SG_NS0_5tupleIJPjSI_NS0_16reverse_iteratorISI_EEEEENSH_IJSG_SG_SG_EEES9_SI_JZNS1_25segmented_radix_sort_implINS0_14default_configELb0EPKlPlSQ_SR_N2at6native12_GLOBAL__N_18offset_tEEE10hipError_tPvRmT1_PNSt15iterator_traitsISZ_E10value_typeET2_T3_PNS10_IS15_E10value_typeET4_jRbjT5_S1B_jjP12ihipStream_tbEUljE_ZNSN_ISO_Lb0ESQ_SR_SQ_SR_SV_EESW_SX_SY_SZ_S13_S14_S15_S18_S19_jS1A_jS1B_S1B_jjS1D_bEUljE0_EEESW_SX_SY_S15_S19_S1B_T6_T7_T9_mT8_S1D_bDpT10_ENKUlT_T0_E_clISt17integral_constantIbLb1EES1Q_IbLb0EEEEDaS1M_S1N_EUlS1M_E_NS1_11comp_targetILNS1_3genE5ELNS1_11target_archE942ELNS1_3gpuE9ELNS1_3repE0EEENS1_30default_config_static_selectorELNS0_4arch9wavefront6targetE1EEEvSZ_.has_indirect_call, 0
	.section	.AMDGPU.csdata,"",@progbits
; Kernel info:
; codeLenInByte = 0
; TotalNumSgprs: 4
; NumVgprs: 0
; ScratchSize: 0
; MemoryBound: 0
; FloatMode: 240
; IeeeMode: 1
; LDSByteSize: 0 bytes/workgroup (compile time only)
; SGPRBlocks: 0
; VGPRBlocks: 0
; NumSGPRsForWavesPerEU: 4
; NumVGPRsForWavesPerEU: 1
; Occupancy: 10
; WaveLimiterHint : 0
; COMPUTE_PGM_RSRC2:SCRATCH_EN: 0
; COMPUTE_PGM_RSRC2:USER_SGPR: 6
; COMPUTE_PGM_RSRC2:TRAP_HANDLER: 0
; COMPUTE_PGM_RSRC2:TGID_X_EN: 1
; COMPUTE_PGM_RSRC2:TGID_Y_EN: 0
; COMPUTE_PGM_RSRC2:TGID_Z_EN: 0
; COMPUTE_PGM_RSRC2:TIDIG_COMP_CNT: 0
	.section	.text._ZN7rocprim17ROCPRIM_400000_NS6detail17trampoline_kernelINS0_13select_configILj256ELj13ELNS0_17block_load_methodE3ELS4_3ELS4_3ELNS0_20block_scan_algorithmE0ELj4294967295EEENS1_25partition_config_selectorILNS1_17partition_subalgoE4EjNS0_10empty_typeEbEEZZNS1_14partition_implILS8_4ELb0ES6_15HIP_vector_typeIjLj2EENS0_17counting_iteratorIjlEEPS9_SG_NS0_5tupleIJPjSI_NS0_16reverse_iteratorISI_EEEEENSH_IJSG_SG_SG_EEES9_SI_JZNS1_25segmented_radix_sort_implINS0_14default_configELb0EPKlPlSQ_SR_N2at6native12_GLOBAL__N_18offset_tEEE10hipError_tPvRmT1_PNSt15iterator_traitsISZ_E10value_typeET2_T3_PNS10_IS15_E10value_typeET4_jRbjT5_S1B_jjP12ihipStream_tbEUljE_ZNSN_ISO_Lb0ESQ_SR_SQ_SR_SV_EESW_SX_SY_SZ_S13_S14_S15_S18_S19_jS1A_jS1B_S1B_jjS1D_bEUljE0_EEESW_SX_SY_S15_S19_S1B_T6_T7_T9_mT8_S1D_bDpT10_ENKUlT_T0_E_clISt17integral_constantIbLb1EES1Q_IbLb0EEEEDaS1M_S1N_EUlS1M_E_NS1_11comp_targetILNS1_3genE4ELNS1_11target_archE910ELNS1_3gpuE8ELNS1_3repE0EEENS1_30default_config_static_selectorELNS0_4arch9wavefront6targetE1EEEvSZ_,"axG",@progbits,_ZN7rocprim17ROCPRIM_400000_NS6detail17trampoline_kernelINS0_13select_configILj256ELj13ELNS0_17block_load_methodE3ELS4_3ELS4_3ELNS0_20block_scan_algorithmE0ELj4294967295EEENS1_25partition_config_selectorILNS1_17partition_subalgoE4EjNS0_10empty_typeEbEEZZNS1_14partition_implILS8_4ELb0ES6_15HIP_vector_typeIjLj2EENS0_17counting_iteratorIjlEEPS9_SG_NS0_5tupleIJPjSI_NS0_16reverse_iteratorISI_EEEEENSH_IJSG_SG_SG_EEES9_SI_JZNS1_25segmented_radix_sort_implINS0_14default_configELb0EPKlPlSQ_SR_N2at6native12_GLOBAL__N_18offset_tEEE10hipError_tPvRmT1_PNSt15iterator_traitsISZ_E10value_typeET2_T3_PNS10_IS15_E10value_typeET4_jRbjT5_S1B_jjP12ihipStream_tbEUljE_ZNSN_ISO_Lb0ESQ_SR_SQ_SR_SV_EESW_SX_SY_SZ_S13_S14_S15_S18_S19_jS1A_jS1B_S1B_jjS1D_bEUljE0_EEESW_SX_SY_S15_S19_S1B_T6_T7_T9_mT8_S1D_bDpT10_ENKUlT_T0_E_clISt17integral_constantIbLb1EES1Q_IbLb0EEEEDaS1M_S1N_EUlS1M_E_NS1_11comp_targetILNS1_3genE4ELNS1_11target_archE910ELNS1_3gpuE8ELNS1_3repE0EEENS1_30default_config_static_selectorELNS0_4arch9wavefront6targetE1EEEvSZ_,comdat
	.globl	_ZN7rocprim17ROCPRIM_400000_NS6detail17trampoline_kernelINS0_13select_configILj256ELj13ELNS0_17block_load_methodE3ELS4_3ELS4_3ELNS0_20block_scan_algorithmE0ELj4294967295EEENS1_25partition_config_selectorILNS1_17partition_subalgoE4EjNS0_10empty_typeEbEEZZNS1_14partition_implILS8_4ELb0ES6_15HIP_vector_typeIjLj2EENS0_17counting_iteratorIjlEEPS9_SG_NS0_5tupleIJPjSI_NS0_16reverse_iteratorISI_EEEEENSH_IJSG_SG_SG_EEES9_SI_JZNS1_25segmented_radix_sort_implINS0_14default_configELb0EPKlPlSQ_SR_N2at6native12_GLOBAL__N_18offset_tEEE10hipError_tPvRmT1_PNSt15iterator_traitsISZ_E10value_typeET2_T3_PNS10_IS15_E10value_typeET4_jRbjT5_S1B_jjP12ihipStream_tbEUljE_ZNSN_ISO_Lb0ESQ_SR_SQ_SR_SV_EESW_SX_SY_SZ_S13_S14_S15_S18_S19_jS1A_jS1B_S1B_jjS1D_bEUljE0_EEESW_SX_SY_S15_S19_S1B_T6_T7_T9_mT8_S1D_bDpT10_ENKUlT_T0_E_clISt17integral_constantIbLb1EES1Q_IbLb0EEEEDaS1M_S1N_EUlS1M_E_NS1_11comp_targetILNS1_3genE4ELNS1_11target_archE910ELNS1_3gpuE8ELNS1_3repE0EEENS1_30default_config_static_selectorELNS0_4arch9wavefront6targetE1EEEvSZ_ ; -- Begin function _ZN7rocprim17ROCPRIM_400000_NS6detail17trampoline_kernelINS0_13select_configILj256ELj13ELNS0_17block_load_methodE3ELS4_3ELS4_3ELNS0_20block_scan_algorithmE0ELj4294967295EEENS1_25partition_config_selectorILNS1_17partition_subalgoE4EjNS0_10empty_typeEbEEZZNS1_14partition_implILS8_4ELb0ES6_15HIP_vector_typeIjLj2EENS0_17counting_iteratorIjlEEPS9_SG_NS0_5tupleIJPjSI_NS0_16reverse_iteratorISI_EEEEENSH_IJSG_SG_SG_EEES9_SI_JZNS1_25segmented_radix_sort_implINS0_14default_configELb0EPKlPlSQ_SR_N2at6native12_GLOBAL__N_18offset_tEEE10hipError_tPvRmT1_PNSt15iterator_traitsISZ_E10value_typeET2_T3_PNS10_IS15_E10value_typeET4_jRbjT5_S1B_jjP12ihipStream_tbEUljE_ZNSN_ISO_Lb0ESQ_SR_SQ_SR_SV_EESW_SX_SY_SZ_S13_S14_S15_S18_S19_jS1A_jS1B_S1B_jjS1D_bEUljE0_EEESW_SX_SY_S15_S19_S1B_T6_T7_T9_mT8_S1D_bDpT10_ENKUlT_T0_E_clISt17integral_constantIbLb1EES1Q_IbLb0EEEEDaS1M_S1N_EUlS1M_E_NS1_11comp_targetILNS1_3genE4ELNS1_11target_archE910ELNS1_3gpuE8ELNS1_3repE0EEENS1_30default_config_static_selectorELNS0_4arch9wavefront6targetE1EEEvSZ_
	.p2align	8
	.type	_ZN7rocprim17ROCPRIM_400000_NS6detail17trampoline_kernelINS0_13select_configILj256ELj13ELNS0_17block_load_methodE3ELS4_3ELS4_3ELNS0_20block_scan_algorithmE0ELj4294967295EEENS1_25partition_config_selectorILNS1_17partition_subalgoE4EjNS0_10empty_typeEbEEZZNS1_14partition_implILS8_4ELb0ES6_15HIP_vector_typeIjLj2EENS0_17counting_iteratorIjlEEPS9_SG_NS0_5tupleIJPjSI_NS0_16reverse_iteratorISI_EEEEENSH_IJSG_SG_SG_EEES9_SI_JZNS1_25segmented_radix_sort_implINS0_14default_configELb0EPKlPlSQ_SR_N2at6native12_GLOBAL__N_18offset_tEEE10hipError_tPvRmT1_PNSt15iterator_traitsISZ_E10value_typeET2_T3_PNS10_IS15_E10value_typeET4_jRbjT5_S1B_jjP12ihipStream_tbEUljE_ZNSN_ISO_Lb0ESQ_SR_SQ_SR_SV_EESW_SX_SY_SZ_S13_S14_S15_S18_S19_jS1A_jS1B_S1B_jjS1D_bEUljE0_EEESW_SX_SY_S15_S19_S1B_T6_T7_T9_mT8_S1D_bDpT10_ENKUlT_T0_E_clISt17integral_constantIbLb1EES1Q_IbLb0EEEEDaS1M_S1N_EUlS1M_E_NS1_11comp_targetILNS1_3genE4ELNS1_11target_archE910ELNS1_3gpuE8ELNS1_3repE0EEENS1_30default_config_static_selectorELNS0_4arch9wavefront6targetE1EEEvSZ_,@function
_ZN7rocprim17ROCPRIM_400000_NS6detail17trampoline_kernelINS0_13select_configILj256ELj13ELNS0_17block_load_methodE3ELS4_3ELS4_3ELNS0_20block_scan_algorithmE0ELj4294967295EEENS1_25partition_config_selectorILNS1_17partition_subalgoE4EjNS0_10empty_typeEbEEZZNS1_14partition_implILS8_4ELb0ES6_15HIP_vector_typeIjLj2EENS0_17counting_iteratorIjlEEPS9_SG_NS0_5tupleIJPjSI_NS0_16reverse_iteratorISI_EEEEENSH_IJSG_SG_SG_EEES9_SI_JZNS1_25segmented_radix_sort_implINS0_14default_configELb0EPKlPlSQ_SR_N2at6native12_GLOBAL__N_18offset_tEEE10hipError_tPvRmT1_PNSt15iterator_traitsISZ_E10value_typeET2_T3_PNS10_IS15_E10value_typeET4_jRbjT5_S1B_jjP12ihipStream_tbEUljE_ZNSN_ISO_Lb0ESQ_SR_SQ_SR_SV_EESW_SX_SY_SZ_S13_S14_S15_S18_S19_jS1A_jS1B_S1B_jjS1D_bEUljE0_EEESW_SX_SY_S15_S19_S1B_T6_T7_T9_mT8_S1D_bDpT10_ENKUlT_T0_E_clISt17integral_constantIbLb1EES1Q_IbLb0EEEEDaS1M_S1N_EUlS1M_E_NS1_11comp_targetILNS1_3genE4ELNS1_11target_archE910ELNS1_3gpuE8ELNS1_3repE0EEENS1_30default_config_static_selectorELNS0_4arch9wavefront6targetE1EEEvSZ_: ; @_ZN7rocprim17ROCPRIM_400000_NS6detail17trampoline_kernelINS0_13select_configILj256ELj13ELNS0_17block_load_methodE3ELS4_3ELS4_3ELNS0_20block_scan_algorithmE0ELj4294967295EEENS1_25partition_config_selectorILNS1_17partition_subalgoE4EjNS0_10empty_typeEbEEZZNS1_14partition_implILS8_4ELb0ES6_15HIP_vector_typeIjLj2EENS0_17counting_iteratorIjlEEPS9_SG_NS0_5tupleIJPjSI_NS0_16reverse_iteratorISI_EEEEENSH_IJSG_SG_SG_EEES9_SI_JZNS1_25segmented_radix_sort_implINS0_14default_configELb0EPKlPlSQ_SR_N2at6native12_GLOBAL__N_18offset_tEEE10hipError_tPvRmT1_PNSt15iterator_traitsISZ_E10value_typeET2_T3_PNS10_IS15_E10value_typeET4_jRbjT5_S1B_jjP12ihipStream_tbEUljE_ZNSN_ISO_Lb0ESQ_SR_SQ_SR_SV_EESW_SX_SY_SZ_S13_S14_S15_S18_S19_jS1A_jS1B_S1B_jjS1D_bEUljE0_EEESW_SX_SY_S15_S19_S1B_T6_T7_T9_mT8_S1D_bDpT10_ENKUlT_T0_E_clISt17integral_constantIbLb1EES1Q_IbLb0EEEEDaS1M_S1N_EUlS1M_E_NS1_11comp_targetILNS1_3genE4ELNS1_11target_archE910ELNS1_3gpuE8ELNS1_3repE0EEENS1_30default_config_static_selectorELNS0_4arch9wavefront6targetE1EEEvSZ_
; %bb.0:
	.section	.rodata,"a",@progbits
	.p2align	6, 0x0
	.amdhsa_kernel _ZN7rocprim17ROCPRIM_400000_NS6detail17trampoline_kernelINS0_13select_configILj256ELj13ELNS0_17block_load_methodE3ELS4_3ELS4_3ELNS0_20block_scan_algorithmE0ELj4294967295EEENS1_25partition_config_selectorILNS1_17partition_subalgoE4EjNS0_10empty_typeEbEEZZNS1_14partition_implILS8_4ELb0ES6_15HIP_vector_typeIjLj2EENS0_17counting_iteratorIjlEEPS9_SG_NS0_5tupleIJPjSI_NS0_16reverse_iteratorISI_EEEEENSH_IJSG_SG_SG_EEES9_SI_JZNS1_25segmented_radix_sort_implINS0_14default_configELb0EPKlPlSQ_SR_N2at6native12_GLOBAL__N_18offset_tEEE10hipError_tPvRmT1_PNSt15iterator_traitsISZ_E10value_typeET2_T3_PNS10_IS15_E10value_typeET4_jRbjT5_S1B_jjP12ihipStream_tbEUljE_ZNSN_ISO_Lb0ESQ_SR_SQ_SR_SV_EESW_SX_SY_SZ_S13_S14_S15_S18_S19_jS1A_jS1B_S1B_jjS1D_bEUljE0_EEESW_SX_SY_S15_S19_S1B_T6_T7_T9_mT8_S1D_bDpT10_ENKUlT_T0_E_clISt17integral_constantIbLb1EES1Q_IbLb0EEEEDaS1M_S1N_EUlS1M_E_NS1_11comp_targetILNS1_3genE4ELNS1_11target_archE910ELNS1_3gpuE8ELNS1_3repE0EEENS1_30default_config_static_selectorELNS0_4arch9wavefront6targetE1EEEvSZ_
		.amdhsa_group_segment_fixed_size 0
		.amdhsa_private_segment_fixed_size 0
		.amdhsa_kernarg_size 176
		.amdhsa_user_sgpr_count 6
		.amdhsa_user_sgpr_private_segment_buffer 1
		.amdhsa_user_sgpr_dispatch_ptr 0
		.amdhsa_user_sgpr_queue_ptr 0
		.amdhsa_user_sgpr_kernarg_segment_ptr 1
		.amdhsa_user_sgpr_dispatch_id 0
		.amdhsa_user_sgpr_flat_scratch_init 0
		.amdhsa_user_sgpr_private_segment_size 0
		.amdhsa_uses_dynamic_stack 0
		.amdhsa_system_sgpr_private_segment_wavefront_offset 0
		.amdhsa_system_sgpr_workgroup_id_x 1
		.amdhsa_system_sgpr_workgroup_id_y 0
		.amdhsa_system_sgpr_workgroup_id_z 0
		.amdhsa_system_sgpr_workgroup_info 0
		.amdhsa_system_vgpr_workitem_id 0
		.amdhsa_next_free_vgpr 1
		.amdhsa_next_free_sgpr 0
		.amdhsa_reserve_vcc 0
		.amdhsa_reserve_flat_scratch 0
		.amdhsa_float_round_mode_32 0
		.amdhsa_float_round_mode_16_64 0
		.amdhsa_float_denorm_mode_32 3
		.amdhsa_float_denorm_mode_16_64 3
		.amdhsa_dx10_clamp 1
		.amdhsa_ieee_mode 1
		.amdhsa_fp16_overflow 0
		.amdhsa_exception_fp_ieee_invalid_op 0
		.amdhsa_exception_fp_denorm_src 0
		.amdhsa_exception_fp_ieee_div_zero 0
		.amdhsa_exception_fp_ieee_overflow 0
		.amdhsa_exception_fp_ieee_underflow 0
		.amdhsa_exception_fp_ieee_inexact 0
		.amdhsa_exception_int_div_zero 0
	.end_amdhsa_kernel
	.section	.text._ZN7rocprim17ROCPRIM_400000_NS6detail17trampoline_kernelINS0_13select_configILj256ELj13ELNS0_17block_load_methodE3ELS4_3ELS4_3ELNS0_20block_scan_algorithmE0ELj4294967295EEENS1_25partition_config_selectorILNS1_17partition_subalgoE4EjNS0_10empty_typeEbEEZZNS1_14partition_implILS8_4ELb0ES6_15HIP_vector_typeIjLj2EENS0_17counting_iteratorIjlEEPS9_SG_NS0_5tupleIJPjSI_NS0_16reverse_iteratorISI_EEEEENSH_IJSG_SG_SG_EEES9_SI_JZNS1_25segmented_radix_sort_implINS0_14default_configELb0EPKlPlSQ_SR_N2at6native12_GLOBAL__N_18offset_tEEE10hipError_tPvRmT1_PNSt15iterator_traitsISZ_E10value_typeET2_T3_PNS10_IS15_E10value_typeET4_jRbjT5_S1B_jjP12ihipStream_tbEUljE_ZNSN_ISO_Lb0ESQ_SR_SQ_SR_SV_EESW_SX_SY_SZ_S13_S14_S15_S18_S19_jS1A_jS1B_S1B_jjS1D_bEUljE0_EEESW_SX_SY_S15_S19_S1B_T6_T7_T9_mT8_S1D_bDpT10_ENKUlT_T0_E_clISt17integral_constantIbLb1EES1Q_IbLb0EEEEDaS1M_S1N_EUlS1M_E_NS1_11comp_targetILNS1_3genE4ELNS1_11target_archE910ELNS1_3gpuE8ELNS1_3repE0EEENS1_30default_config_static_selectorELNS0_4arch9wavefront6targetE1EEEvSZ_,"axG",@progbits,_ZN7rocprim17ROCPRIM_400000_NS6detail17trampoline_kernelINS0_13select_configILj256ELj13ELNS0_17block_load_methodE3ELS4_3ELS4_3ELNS0_20block_scan_algorithmE0ELj4294967295EEENS1_25partition_config_selectorILNS1_17partition_subalgoE4EjNS0_10empty_typeEbEEZZNS1_14partition_implILS8_4ELb0ES6_15HIP_vector_typeIjLj2EENS0_17counting_iteratorIjlEEPS9_SG_NS0_5tupleIJPjSI_NS0_16reverse_iteratorISI_EEEEENSH_IJSG_SG_SG_EEES9_SI_JZNS1_25segmented_radix_sort_implINS0_14default_configELb0EPKlPlSQ_SR_N2at6native12_GLOBAL__N_18offset_tEEE10hipError_tPvRmT1_PNSt15iterator_traitsISZ_E10value_typeET2_T3_PNS10_IS15_E10value_typeET4_jRbjT5_S1B_jjP12ihipStream_tbEUljE_ZNSN_ISO_Lb0ESQ_SR_SQ_SR_SV_EESW_SX_SY_SZ_S13_S14_S15_S18_S19_jS1A_jS1B_S1B_jjS1D_bEUljE0_EEESW_SX_SY_S15_S19_S1B_T6_T7_T9_mT8_S1D_bDpT10_ENKUlT_T0_E_clISt17integral_constantIbLb1EES1Q_IbLb0EEEEDaS1M_S1N_EUlS1M_E_NS1_11comp_targetILNS1_3genE4ELNS1_11target_archE910ELNS1_3gpuE8ELNS1_3repE0EEENS1_30default_config_static_selectorELNS0_4arch9wavefront6targetE1EEEvSZ_,comdat
.Lfunc_end761:
	.size	_ZN7rocprim17ROCPRIM_400000_NS6detail17trampoline_kernelINS0_13select_configILj256ELj13ELNS0_17block_load_methodE3ELS4_3ELS4_3ELNS0_20block_scan_algorithmE0ELj4294967295EEENS1_25partition_config_selectorILNS1_17partition_subalgoE4EjNS0_10empty_typeEbEEZZNS1_14partition_implILS8_4ELb0ES6_15HIP_vector_typeIjLj2EENS0_17counting_iteratorIjlEEPS9_SG_NS0_5tupleIJPjSI_NS0_16reverse_iteratorISI_EEEEENSH_IJSG_SG_SG_EEES9_SI_JZNS1_25segmented_radix_sort_implINS0_14default_configELb0EPKlPlSQ_SR_N2at6native12_GLOBAL__N_18offset_tEEE10hipError_tPvRmT1_PNSt15iterator_traitsISZ_E10value_typeET2_T3_PNS10_IS15_E10value_typeET4_jRbjT5_S1B_jjP12ihipStream_tbEUljE_ZNSN_ISO_Lb0ESQ_SR_SQ_SR_SV_EESW_SX_SY_SZ_S13_S14_S15_S18_S19_jS1A_jS1B_S1B_jjS1D_bEUljE0_EEESW_SX_SY_S15_S19_S1B_T6_T7_T9_mT8_S1D_bDpT10_ENKUlT_T0_E_clISt17integral_constantIbLb1EES1Q_IbLb0EEEEDaS1M_S1N_EUlS1M_E_NS1_11comp_targetILNS1_3genE4ELNS1_11target_archE910ELNS1_3gpuE8ELNS1_3repE0EEENS1_30default_config_static_selectorELNS0_4arch9wavefront6targetE1EEEvSZ_, .Lfunc_end761-_ZN7rocprim17ROCPRIM_400000_NS6detail17trampoline_kernelINS0_13select_configILj256ELj13ELNS0_17block_load_methodE3ELS4_3ELS4_3ELNS0_20block_scan_algorithmE0ELj4294967295EEENS1_25partition_config_selectorILNS1_17partition_subalgoE4EjNS0_10empty_typeEbEEZZNS1_14partition_implILS8_4ELb0ES6_15HIP_vector_typeIjLj2EENS0_17counting_iteratorIjlEEPS9_SG_NS0_5tupleIJPjSI_NS0_16reverse_iteratorISI_EEEEENSH_IJSG_SG_SG_EEES9_SI_JZNS1_25segmented_radix_sort_implINS0_14default_configELb0EPKlPlSQ_SR_N2at6native12_GLOBAL__N_18offset_tEEE10hipError_tPvRmT1_PNSt15iterator_traitsISZ_E10value_typeET2_T3_PNS10_IS15_E10value_typeET4_jRbjT5_S1B_jjP12ihipStream_tbEUljE_ZNSN_ISO_Lb0ESQ_SR_SQ_SR_SV_EESW_SX_SY_SZ_S13_S14_S15_S18_S19_jS1A_jS1B_S1B_jjS1D_bEUljE0_EEESW_SX_SY_S15_S19_S1B_T6_T7_T9_mT8_S1D_bDpT10_ENKUlT_T0_E_clISt17integral_constantIbLb1EES1Q_IbLb0EEEEDaS1M_S1N_EUlS1M_E_NS1_11comp_targetILNS1_3genE4ELNS1_11target_archE910ELNS1_3gpuE8ELNS1_3repE0EEENS1_30default_config_static_selectorELNS0_4arch9wavefront6targetE1EEEvSZ_
                                        ; -- End function
	.set _ZN7rocprim17ROCPRIM_400000_NS6detail17trampoline_kernelINS0_13select_configILj256ELj13ELNS0_17block_load_methodE3ELS4_3ELS4_3ELNS0_20block_scan_algorithmE0ELj4294967295EEENS1_25partition_config_selectorILNS1_17partition_subalgoE4EjNS0_10empty_typeEbEEZZNS1_14partition_implILS8_4ELb0ES6_15HIP_vector_typeIjLj2EENS0_17counting_iteratorIjlEEPS9_SG_NS0_5tupleIJPjSI_NS0_16reverse_iteratorISI_EEEEENSH_IJSG_SG_SG_EEES9_SI_JZNS1_25segmented_radix_sort_implINS0_14default_configELb0EPKlPlSQ_SR_N2at6native12_GLOBAL__N_18offset_tEEE10hipError_tPvRmT1_PNSt15iterator_traitsISZ_E10value_typeET2_T3_PNS10_IS15_E10value_typeET4_jRbjT5_S1B_jjP12ihipStream_tbEUljE_ZNSN_ISO_Lb0ESQ_SR_SQ_SR_SV_EESW_SX_SY_SZ_S13_S14_S15_S18_S19_jS1A_jS1B_S1B_jjS1D_bEUljE0_EEESW_SX_SY_S15_S19_S1B_T6_T7_T9_mT8_S1D_bDpT10_ENKUlT_T0_E_clISt17integral_constantIbLb1EES1Q_IbLb0EEEEDaS1M_S1N_EUlS1M_E_NS1_11comp_targetILNS1_3genE4ELNS1_11target_archE910ELNS1_3gpuE8ELNS1_3repE0EEENS1_30default_config_static_selectorELNS0_4arch9wavefront6targetE1EEEvSZ_.num_vgpr, 0
	.set _ZN7rocprim17ROCPRIM_400000_NS6detail17trampoline_kernelINS0_13select_configILj256ELj13ELNS0_17block_load_methodE3ELS4_3ELS4_3ELNS0_20block_scan_algorithmE0ELj4294967295EEENS1_25partition_config_selectorILNS1_17partition_subalgoE4EjNS0_10empty_typeEbEEZZNS1_14partition_implILS8_4ELb0ES6_15HIP_vector_typeIjLj2EENS0_17counting_iteratorIjlEEPS9_SG_NS0_5tupleIJPjSI_NS0_16reverse_iteratorISI_EEEEENSH_IJSG_SG_SG_EEES9_SI_JZNS1_25segmented_radix_sort_implINS0_14default_configELb0EPKlPlSQ_SR_N2at6native12_GLOBAL__N_18offset_tEEE10hipError_tPvRmT1_PNSt15iterator_traitsISZ_E10value_typeET2_T3_PNS10_IS15_E10value_typeET4_jRbjT5_S1B_jjP12ihipStream_tbEUljE_ZNSN_ISO_Lb0ESQ_SR_SQ_SR_SV_EESW_SX_SY_SZ_S13_S14_S15_S18_S19_jS1A_jS1B_S1B_jjS1D_bEUljE0_EEESW_SX_SY_S15_S19_S1B_T6_T7_T9_mT8_S1D_bDpT10_ENKUlT_T0_E_clISt17integral_constantIbLb1EES1Q_IbLb0EEEEDaS1M_S1N_EUlS1M_E_NS1_11comp_targetILNS1_3genE4ELNS1_11target_archE910ELNS1_3gpuE8ELNS1_3repE0EEENS1_30default_config_static_selectorELNS0_4arch9wavefront6targetE1EEEvSZ_.num_agpr, 0
	.set _ZN7rocprim17ROCPRIM_400000_NS6detail17trampoline_kernelINS0_13select_configILj256ELj13ELNS0_17block_load_methodE3ELS4_3ELS4_3ELNS0_20block_scan_algorithmE0ELj4294967295EEENS1_25partition_config_selectorILNS1_17partition_subalgoE4EjNS0_10empty_typeEbEEZZNS1_14partition_implILS8_4ELb0ES6_15HIP_vector_typeIjLj2EENS0_17counting_iteratorIjlEEPS9_SG_NS0_5tupleIJPjSI_NS0_16reverse_iteratorISI_EEEEENSH_IJSG_SG_SG_EEES9_SI_JZNS1_25segmented_radix_sort_implINS0_14default_configELb0EPKlPlSQ_SR_N2at6native12_GLOBAL__N_18offset_tEEE10hipError_tPvRmT1_PNSt15iterator_traitsISZ_E10value_typeET2_T3_PNS10_IS15_E10value_typeET4_jRbjT5_S1B_jjP12ihipStream_tbEUljE_ZNSN_ISO_Lb0ESQ_SR_SQ_SR_SV_EESW_SX_SY_SZ_S13_S14_S15_S18_S19_jS1A_jS1B_S1B_jjS1D_bEUljE0_EEESW_SX_SY_S15_S19_S1B_T6_T7_T9_mT8_S1D_bDpT10_ENKUlT_T0_E_clISt17integral_constantIbLb1EES1Q_IbLb0EEEEDaS1M_S1N_EUlS1M_E_NS1_11comp_targetILNS1_3genE4ELNS1_11target_archE910ELNS1_3gpuE8ELNS1_3repE0EEENS1_30default_config_static_selectorELNS0_4arch9wavefront6targetE1EEEvSZ_.numbered_sgpr, 0
	.set _ZN7rocprim17ROCPRIM_400000_NS6detail17trampoline_kernelINS0_13select_configILj256ELj13ELNS0_17block_load_methodE3ELS4_3ELS4_3ELNS0_20block_scan_algorithmE0ELj4294967295EEENS1_25partition_config_selectorILNS1_17partition_subalgoE4EjNS0_10empty_typeEbEEZZNS1_14partition_implILS8_4ELb0ES6_15HIP_vector_typeIjLj2EENS0_17counting_iteratorIjlEEPS9_SG_NS0_5tupleIJPjSI_NS0_16reverse_iteratorISI_EEEEENSH_IJSG_SG_SG_EEES9_SI_JZNS1_25segmented_radix_sort_implINS0_14default_configELb0EPKlPlSQ_SR_N2at6native12_GLOBAL__N_18offset_tEEE10hipError_tPvRmT1_PNSt15iterator_traitsISZ_E10value_typeET2_T3_PNS10_IS15_E10value_typeET4_jRbjT5_S1B_jjP12ihipStream_tbEUljE_ZNSN_ISO_Lb0ESQ_SR_SQ_SR_SV_EESW_SX_SY_SZ_S13_S14_S15_S18_S19_jS1A_jS1B_S1B_jjS1D_bEUljE0_EEESW_SX_SY_S15_S19_S1B_T6_T7_T9_mT8_S1D_bDpT10_ENKUlT_T0_E_clISt17integral_constantIbLb1EES1Q_IbLb0EEEEDaS1M_S1N_EUlS1M_E_NS1_11comp_targetILNS1_3genE4ELNS1_11target_archE910ELNS1_3gpuE8ELNS1_3repE0EEENS1_30default_config_static_selectorELNS0_4arch9wavefront6targetE1EEEvSZ_.num_named_barrier, 0
	.set _ZN7rocprim17ROCPRIM_400000_NS6detail17trampoline_kernelINS0_13select_configILj256ELj13ELNS0_17block_load_methodE3ELS4_3ELS4_3ELNS0_20block_scan_algorithmE0ELj4294967295EEENS1_25partition_config_selectorILNS1_17partition_subalgoE4EjNS0_10empty_typeEbEEZZNS1_14partition_implILS8_4ELb0ES6_15HIP_vector_typeIjLj2EENS0_17counting_iteratorIjlEEPS9_SG_NS0_5tupleIJPjSI_NS0_16reverse_iteratorISI_EEEEENSH_IJSG_SG_SG_EEES9_SI_JZNS1_25segmented_radix_sort_implINS0_14default_configELb0EPKlPlSQ_SR_N2at6native12_GLOBAL__N_18offset_tEEE10hipError_tPvRmT1_PNSt15iterator_traitsISZ_E10value_typeET2_T3_PNS10_IS15_E10value_typeET4_jRbjT5_S1B_jjP12ihipStream_tbEUljE_ZNSN_ISO_Lb0ESQ_SR_SQ_SR_SV_EESW_SX_SY_SZ_S13_S14_S15_S18_S19_jS1A_jS1B_S1B_jjS1D_bEUljE0_EEESW_SX_SY_S15_S19_S1B_T6_T7_T9_mT8_S1D_bDpT10_ENKUlT_T0_E_clISt17integral_constantIbLb1EES1Q_IbLb0EEEEDaS1M_S1N_EUlS1M_E_NS1_11comp_targetILNS1_3genE4ELNS1_11target_archE910ELNS1_3gpuE8ELNS1_3repE0EEENS1_30default_config_static_selectorELNS0_4arch9wavefront6targetE1EEEvSZ_.private_seg_size, 0
	.set _ZN7rocprim17ROCPRIM_400000_NS6detail17trampoline_kernelINS0_13select_configILj256ELj13ELNS0_17block_load_methodE3ELS4_3ELS4_3ELNS0_20block_scan_algorithmE0ELj4294967295EEENS1_25partition_config_selectorILNS1_17partition_subalgoE4EjNS0_10empty_typeEbEEZZNS1_14partition_implILS8_4ELb0ES6_15HIP_vector_typeIjLj2EENS0_17counting_iteratorIjlEEPS9_SG_NS0_5tupleIJPjSI_NS0_16reverse_iteratorISI_EEEEENSH_IJSG_SG_SG_EEES9_SI_JZNS1_25segmented_radix_sort_implINS0_14default_configELb0EPKlPlSQ_SR_N2at6native12_GLOBAL__N_18offset_tEEE10hipError_tPvRmT1_PNSt15iterator_traitsISZ_E10value_typeET2_T3_PNS10_IS15_E10value_typeET4_jRbjT5_S1B_jjP12ihipStream_tbEUljE_ZNSN_ISO_Lb0ESQ_SR_SQ_SR_SV_EESW_SX_SY_SZ_S13_S14_S15_S18_S19_jS1A_jS1B_S1B_jjS1D_bEUljE0_EEESW_SX_SY_S15_S19_S1B_T6_T7_T9_mT8_S1D_bDpT10_ENKUlT_T0_E_clISt17integral_constantIbLb1EES1Q_IbLb0EEEEDaS1M_S1N_EUlS1M_E_NS1_11comp_targetILNS1_3genE4ELNS1_11target_archE910ELNS1_3gpuE8ELNS1_3repE0EEENS1_30default_config_static_selectorELNS0_4arch9wavefront6targetE1EEEvSZ_.uses_vcc, 0
	.set _ZN7rocprim17ROCPRIM_400000_NS6detail17trampoline_kernelINS0_13select_configILj256ELj13ELNS0_17block_load_methodE3ELS4_3ELS4_3ELNS0_20block_scan_algorithmE0ELj4294967295EEENS1_25partition_config_selectorILNS1_17partition_subalgoE4EjNS0_10empty_typeEbEEZZNS1_14partition_implILS8_4ELb0ES6_15HIP_vector_typeIjLj2EENS0_17counting_iteratorIjlEEPS9_SG_NS0_5tupleIJPjSI_NS0_16reverse_iteratorISI_EEEEENSH_IJSG_SG_SG_EEES9_SI_JZNS1_25segmented_radix_sort_implINS0_14default_configELb0EPKlPlSQ_SR_N2at6native12_GLOBAL__N_18offset_tEEE10hipError_tPvRmT1_PNSt15iterator_traitsISZ_E10value_typeET2_T3_PNS10_IS15_E10value_typeET4_jRbjT5_S1B_jjP12ihipStream_tbEUljE_ZNSN_ISO_Lb0ESQ_SR_SQ_SR_SV_EESW_SX_SY_SZ_S13_S14_S15_S18_S19_jS1A_jS1B_S1B_jjS1D_bEUljE0_EEESW_SX_SY_S15_S19_S1B_T6_T7_T9_mT8_S1D_bDpT10_ENKUlT_T0_E_clISt17integral_constantIbLb1EES1Q_IbLb0EEEEDaS1M_S1N_EUlS1M_E_NS1_11comp_targetILNS1_3genE4ELNS1_11target_archE910ELNS1_3gpuE8ELNS1_3repE0EEENS1_30default_config_static_selectorELNS0_4arch9wavefront6targetE1EEEvSZ_.uses_flat_scratch, 0
	.set _ZN7rocprim17ROCPRIM_400000_NS6detail17trampoline_kernelINS0_13select_configILj256ELj13ELNS0_17block_load_methodE3ELS4_3ELS4_3ELNS0_20block_scan_algorithmE0ELj4294967295EEENS1_25partition_config_selectorILNS1_17partition_subalgoE4EjNS0_10empty_typeEbEEZZNS1_14partition_implILS8_4ELb0ES6_15HIP_vector_typeIjLj2EENS0_17counting_iteratorIjlEEPS9_SG_NS0_5tupleIJPjSI_NS0_16reverse_iteratorISI_EEEEENSH_IJSG_SG_SG_EEES9_SI_JZNS1_25segmented_radix_sort_implINS0_14default_configELb0EPKlPlSQ_SR_N2at6native12_GLOBAL__N_18offset_tEEE10hipError_tPvRmT1_PNSt15iterator_traitsISZ_E10value_typeET2_T3_PNS10_IS15_E10value_typeET4_jRbjT5_S1B_jjP12ihipStream_tbEUljE_ZNSN_ISO_Lb0ESQ_SR_SQ_SR_SV_EESW_SX_SY_SZ_S13_S14_S15_S18_S19_jS1A_jS1B_S1B_jjS1D_bEUljE0_EEESW_SX_SY_S15_S19_S1B_T6_T7_T9_mT8_S1D_bDpT10_ENKUlT_T0_E_clISt17integral_constantIbLb1EES1Q_IbLb0EEEEDaS1M_S1N_EUlS1M_E_NS1_11comp_targetILNS1_3genE4ELNS1_11target_archE910ELNS1_3gpuE8ELNS1_3repE0EEENS1_30default_config_static_selectorELNS0_4arch9wavefront6targetE1EEEvSZ_.has_dyn_sized_stack, 0
	.set _ZN7rocprim17ROCPRIM_400000_NS6detail17trampoline_kernelINS0_13select_configILj256ELj13ELNS0_17block_load_methodE3ELS4_3ELS4_3ELNS0_20block_scan_algorithmE0ELj4294967295EEENS1_25partition_config_selectorILNS1_17partition_subalgoE4EjNS0_10empty_typeEbEEZZNS1_14partition_implILS8_4ELb0ES6_15HIP_vector_typeIjLj2EENS0_17counting_iteratorIjlEEPS9_SG_NS0_5tupleIJPjSI_NS0_16reverse_iteratorISI_EEEEENSH_IJSG_SG_SG_EEES9_SI_JZNS1_25segmented_radix_sort_implINS0_14default_configELb0EPKlPlSQ_SR_N2at6native12_GLOBAL__N_18offset_tEEE10hipError_tPvRmT1_PNSt15iterator_traitsISZ_E10value_typeET2_T3_PNS10_IS15_E10value_typeET4_jRbjT5_S1B_jjP12ihipStream_tbEUljE_ZNSN_ISO_Lb0ESQ_SR_SQ_SR_SV_EESW_SX_SY_SZ_S13_S14_S15_S18_S19_jS1A_jS1B_S1B_jjS1D_bEUljE0_EEESW_SX_SY_S15_S19_S1B_T6_T7_T9_mT8_S1D_bDpT10_ENKUlT_T0_E_clISt17integral_constantIbLb1EES1Q_IbLb0EEEEDaS1M_S1N_EUlS1M_E_NS1_11comp_targetILNS1_3genE4ELNS1_11target_archE910ELNS1_3gpuE8ELNS1_3repE0EEENS1_30default_config_static_selectorELNS0_4arch9wavefront6targetE1EEEvSZ_.has_recursion, 0
	.set _ZN7rocprim17ROCPRIM_400000_NS6detail17trampoline_kernelINS0_13select_configILj256ELj13ELNS0_17block_load_methodE3ELS4_3ELS4_3ELNS0_20block_scan_algorithmE0ELj4294967295EEENS1_25partition_config_selectorILNS1_17partition_subalgoE4EjNS0_10empty_typeEbEEZZNS1_14partition_implILS8_4ELb0ES6_15HIP_vector_typeIjLj2EENS0_17counting_iteratorIjlEEPS9_SG_NS0_5tupleIJPjSI_NS0_16reverse_iteratorISI_EEEEENSH_IJSG_SG_SG_EEES9_SI_JZNS1_25segmented_radix_sort_implINS0_14default_configELb0EPKlPlSQ_SR_N2at6native12_GLOBAL__N_18offset_tEEE10hipError_tPvRmT1_PNSt15iterator_traitsISZ_E10value_typeET2_T3_PNS10_IS15_E10value_typeET4_jRbjT5_S1B_jjP12ihipStream_tbEUljE_ZNSN_ISO_Lb0ESQ_SR_SQ_SR_SV_EESW_SX_SY_SZ_S13_S14_S15_S18_S19_jS1A_jS1B_S1B_jjS1D_bEUljE0_EEESW_SX_SY_S15_S19_S1B_T6_T7_T9_mT8_S1D_bDpT10_ENKUlT_T0_E_clISt17integral_constantIbLb1EES1Q_IbLb0EEEEDaS1M_S1N_EUlS1M_E_NS1_11comp_targetILNS1_3genE4ELNS1_11target_archE910ELNS1_3gpuE8ELNS1_3repE0EEENS1_30default_config_static_selectorELNS0_4arch9wavefront6targetE1EEEvSZ_.has_indirect_call, 0
	.section	.AMDGPU.csdata,"",@progbits
; Kernel info:
; codeLenInByte = 0
; TotalNumSgprs: 4
; NumVgprs: 0
; ScratchSize: 0
; MemoryBound: 0
; FloatMode: 240
; IeeeMode: 1
; LDSByteSize: 0 bytes/workgroup (compile time only)
; SGPRBlocks: 0
; VGPRBlocks: 0
; NumSGPRsForWavesPerEU: 4
; NumVGPRsForWavesPerEU: 1
; Occupancy: 10
; WaveLimiterHint : 0
; COMPUTE_PGM_RSRC2:SCRATCH_EN: 0
; COMPUTE_PGM_RSRC2:USER_SGPR: 6
; COMPUTE_PGM_RSRC2:TRAP_HANDLER: 0
; COMPUTE_PGM_RSRC2:TGID_X_EN: 1
; COMPUTE_PGM_RSRC2:TGID_Y_EN: 0
; COMPUTE_PGM_RSRC2:TGID_Z_EN: 0
; COMPUTE_PGM_RSRC2:TIDIG_COMP_CNT: 0
	.section	.text._ZN7rocprim17ROCPRIM_400000_NS6detail17trampoline_kernelINS0_13select_configILj256ELj13ELNS0_17block_load_methodE3ELS4_3ELS4_3ELNS0_20block_scan_algorithmE0ELj4294967295EEENS1_25partition_config_selectorILNS1_17partition_subalgoE4EjNS0_10empty_typeEbEEZZNS1_14partition_implILS8_4ELb0ES6_15HIP_vector_typeIjLj2EENS0_17counting_iteratorIjlEEPS9_SG_NS0_5tupleIJPjSI_NS0_16reverse_iteratorISI_EEEEENSH_IJSG_SG_SG_EEES9_SI_JZNS1_25segmented_radix_sort_implINS0_14default_configELb0EPKlPlSQ_SR_N2at6native12_GLOBAL__N_18offset_tEEE10hipError_tPvRmT1_PNSt15iterator_traitsISZ_E10value_typeET2_T3_PNS10_IS15_E10value_typeET4_jRbjT5_S1B_jjP12ihipStream_tbEUljE_ZNSN_ISO_Lb0ESQ_SR_SQ_SR_SV_EESW_SX_SY_SZ_S13_S14_S15_S18_S19_jS1A_jS1B_S1B_jjS1D_bEUljE0_EEESW_SX_SY_S15_S19_S1B_T6_T7_T9_mT8_S1D_bDpT10_ENKUlT_T0_E_clISt17integral_constantIbLb1EES1Q_IbLb0EEEEDaS1M_S1N_EUlS1M_E_NS1_11comp_targetILNS1_3genE3ELNS1_11target_archE908ELNS1_3gpuE7ELNS1_3repE0EEENS1_30default_config_static_selectorELNS0_4arch9wavefront6targetE1EEEvSZ_,"axG",@progbits,_ZN7rocprim17ROCPRIM_400000_NS6detail17trampoline_kernelINS0_13select_configILj256ELj13ELNS0_17block_load_methodE3ELS4_3ELS4_3ELNS0_20block_scan_algorithmE0ELj4294967295EEENS1_25partition_config_selectorILNS1_17partition_subalgoE4EjNS0_10empty_typeEbEEZZNS1_14partition_implILS8_4ELb0ES6_15HIP_vector_typeIjLj2EENS0_17counting_iteratorIjlEEPS9_SG_NS0_5tupleIJPjSI_NS0_16reverse_iteratorISI_EEEEENSH_IJSG_SG_SG_EEES9_SI_JZNS1_25segmented_radix_sort_implINS0_14default_configELb0EPKlPlSQ_SR_N2at6native12_GLOBAL__N_18offset_tEEE10hipError_tPvRmT1_PNSt15iterator_traitsISZ_E10value_typeET2_T3_PNS10_IS15_E10value_typeET4_jRbjT5_S1B_jjP12ihipStream_tbEUljE_ZNSN_ISO_Lb0ESQ_SR_SQ_SR_SV_EESW_SX_SY_SZ_S13_S14_S15_S18_S19_jS1A_jS1B_S1B_jjS1D_bEUljE0_EEESW_SX_SY_S15_S19_S1B_T6_T7_T9_mT8_S1D_bDpT10_ENKUlT_T0_E_clISt17integral_constantIbLb1EES1Q_IbLb0EEEEDaS1M_S1N_EUlS1M_E_NS1_11comp_targetILNS1_3genE3ELNS1_11target_archE908ELNS1_3gpuE7ELNS1_3repE0EEENS1_30default_config_static_selectorELNS0_4arch9wavefront6targetE1EEEvSZ_,comdat
	.globl	_ZN7rocprim17ROCPRIM_400000_NS6detail17trampoline_kernelINS0_13select_configILj256ELj13ELNS0_17block_load_methodE3ELS4_3ELS4_3ELNS0_20block_scan_algorithmE0ELj4294967295EEENS1_25partition_config_selectorILNS1_17partition_subalgoE4EjNS0_10empty_typeEbEEZZNS1_14partition_implILS8_4ELb0ES6_15HIP_vector_typeIjLj2EENS0_17counting_iteratorIjlEEPS9_SG_NS0_5tupleIJPjSI_NS0_16reverse_iteratorISI_EEEEENSH_IJSG_SG_SG_EEES9_SI_JZNS1_25segmented_radix_sort_implINS0_14default_configELb0EPKlPlSQ_SR_N2at6native12_GLOBAL__N_18offset_tEEE10hipError_tPvRmT1_PNSt15iterator_traitsISZ_E10value_typeET2_T3_PNS10_IS15_E10value_typeET4_jRbjT5_S1B_jjP12ihipStream_tbEUljE_ZNSN_ISO_Lb0ESQ_SR_SQ_SR_SV_EESW_SX_SY_SZ_S13_S14_S15_S18_S19_jS1A_jS1B_S1B_jjS1D_bEUljE0_EEESW_SX_SY_S15_S19_S1B_T6_T7_T9_mT8_S1D_bDpT10_ENKUlT_T0_E_clISt17integral_constantIbLb1EES1Q_IbLb0EEEEDaS1M_S1N_EUlS1M_E_NS1_11comp_targetILNS1_3genE3ELNS1_11target_archE908ELNS1_3gpuE7ELNS1_3repE0EEENS1_30default_config_static_selectorELNS0_4arch9wavefront6targetE1EEEvSZ_ ; -- Begin function _ZN7rocprim17ROCPRIM_400000_NS6detail17trampoline_kernelINS0_13select_configILj256ELj13ELNS0_17block_load_methodE3ELS4_3ELS4_3ELNS0_20block_scan_algorithmE0ELj4294967295EEENS1_25partition_config_selectorILNS1_17partition_subalgoE4EjNS0_10empty_typeEbEEZZNS1_14partition_implILS8_4ELb0ES6_15HIP_vector_typeIjLj2EENS0_17counting_iteratorIjlEEPS9_SG_NS0_5tupleIJPjSI_NS0_16reverse_iteratorISI_EEEEENSH_IJSG_SG_SG_EEES9_SI_JZNS1_25segmented_radix_sort_implINS0_14default_configELb0EPKlPlSQ_SR_N2at6native12_GLOBAL__N_18offset_tEEE10hipError_tPvRmT1_PNSt15iterator_traitsISZ_E10value_typeET2_T3_PNS10_IS15_E10value_typeET4_jRbjT5_S1B_jjP12ihipStream_tbEUljE_ZNSN_ISO_Lb0ESQ_SR_SQ_SR_SV_EESW_SX_SY_SZ_S13_S14_S15_S18_S19_jS1A_jS1B_S1B_jjS1D_bEUljE0_EEESW_SX_SY_S15_S19_S1B_T6_T7_T9_mT8_S1D_bDpT10_ENKUlT_T0_E_clISt17integral_constantIbLb1EES1Q_IbLb0EEEEDaS1M_S1N_EUlS1M_E_NS1_11comp_targetILNS1_3genE3ELNS1_11target_archE908ELNS1_3gpuE7ELNS1_3repE0EEENS1_30default_config_static_selectorELNS0_4arch9wavefront6targetE1EEEvSZ_
	.p2align	8
	.type	_ZN7rocprim17ROCPRIM_400000_NS6detail17trampoline_kernelINS0_13select_configILj256ELj13ELNS0_17block_load_methodE3ELS4_3ELS4_3ELNS0_20block_scan_algorithmE0ELj4294967295EEENS1_25partition_config_selectorILNS1_17partition_subalgoE4EjNS0_10empty_typeEbEEZZNS1_14partition_implILS8_4ELb0ES6_15HIP_vector_typeIjLj2EENS0_17counting_iteratorIjlEEPS9_SG_NS0_5tupleIJPjSI_NS0_16reverse_iteratorISI_EEEEENSH_IJSG_SG_SG_EEES9_SI_JZNS1_25segmented_radix_sort_implINS0_14default_configELb0EPKlPlSQ_SR_N2at6native12_GLOBAL__N_18offset_tEEE10hipError_tPvRmT1_PNSt15iterator_traitsISZ_E10value_typeET2_T3_PNS10_IS15_E10value_typeET4_jRbjT5_S1B_jjP12ihipStream_tbEUljE_ZNSN_ISO_Lb0ESQ_SR_SQ_SR_SV_EESW_SX_SY_SZ_S13_S14_S15_S18_S19_jS1A_jS1B_S1B_jjS1D_bEUljE0_EEESW_SX_SY_S15_S19_S1B_T6_T7_T9_mT8_S1D_bDpT10_ENKUlT_T0_E_clISt17integral_constantIbLb1EES1Q_IbLb0EEEEDaS1M_S1N_EUlS1M_E_NS1_11comp_targetILNS1_3genE3ELNS1_11target_archE908ELNS1_3gpuE7ELNS1_3repE0EEENS1_30default_config_static_selectorELNS0_4arch9wavefront6targetE1EEEvSZ_,@function
_ZN7rocprim17ROCPRIM_400000_NS6detail17trampoline_kernelINS0_13select_configILj256ELj13ELNS0_17block_load_methodE3ELS4_3ELS4_3ELNS0_20block_scan_algorithmE0ELj4294967295EEENS1_25partition_config_selectorILNS1_17partition_subalgoE4EjNS0_10empty_typeEbEEZZNS1_14partition_implILS8_4ELb0ES6_15HIP_vector_typeIjLj2EENS0_17counting_iteratorIjlEEPS9_SG_NS0_5tupleIJPjSI_NS0_16reverse_iteratorISI_EEEEENSH_IJSG_SG_SG_EEES9_SI_JZNS1_25segmented_radix_sort_implINS0_14default_configELb0EPKlPlSQ_SR_N2at6native12_GLOBAL__N_18offset_tEEE10hipError_tPvRmT1_PNSt15iterator_traitsISZ_E10value_typeET2_T3_PNS10_IS15_E10value_typeET4_jRbjT5_S1B_jjP12ihipStream_tbEUljE_ZNSN_ISO_Lb0ESQ_SR_SQ_SR_SV_EESW_SX_SY_SZ_S13_S14_S15_S18_S19_jS1A_jS1B_S1B_jjS1D_bEUljE0_EEESW_SX_SY_S15_S19_S1B_T6_T7_T9_mT8_S1D_bDpT10_ENKUlT_T0_E_clISt17integral_constantIbLb1EES1Q_IbLb0EEEEDaS1M_S1N_EUlS1M_E_NS1_11comp_targetILNS1_3genE3ELNS1_11target_archE908ELNS1_3gpuE7ELNS1_3repE0EEENS1_30default_config_static_selectorELNS0_4arch9wavefront6targetE1EEEvSZ_: ; @_ZN7rocprim17ROCPRIM_400000_NS6detail17trampoline_kernelINS0_13select_configILj256ELj13ELNS0_17block_load_methodE3ELS4_3ELS4_3ELNS0_20block_scan_algorithmE0ELj4294967295EEENS1_25partition_config_selectorILNS1_17partition_subalgoE4EjNS0_10empty_typeEbEEZZNS1_14partition_implILS8_4ELb0ES6_15HIP_vector_typeIjLj2EENS0_17counting_iteratorIjlEEPS9_SG_NS0_5tupleIJPjSI_NS0_16reverse_iteratorISI_EEEEENSH_IJSG_SG_SG_EEES9_SI_JZNS1_25segmented_radix_sort_implINS0_14default_configELb0EPKlPlSQ_SR_N2at6native12_GLOBAL__N_18offset_tEEE10hipError_tPvRmT1_PNSt15iterator_traitsISZ_E10value_typeET2_T3_PNS10_IS15_E10value_typeET4_jRbjT5_S1B_jjP12ihipStream_tbEUljE_ZNSN_ISO_Lb0ESQ_SR_SQ_SR_SV_EESW_SX_SY_SZ_S13_S14_S15_S18_S19_jS1A_jS1B_S1B_jjS1D_bEUljE0_EEESW_SX_SY_S15_S19_S1B_T6_T7_T9_mT8_S1D_bDpT10_ENKUlT_T0_E_clISt17integral_constantIbLb1EES1Q_IbLb0EEEEDaS1M_S1N_EUlS1M_E_NS1_11comp_targetILNS1_3genE3ELNS1_11target_archE908ELNS1_3gpuE7ELNS1_3repE0EEENS1_30default_config_static_selectorELNS0_4arch9wavefront6targetE1EEEvSZ_
; %bb.0:
	.section	.rodata,"a",@progbits
	.p2align	6, 0x0
	.amdhsa_kernel _ZN7rocprim17ROCPRIM_400000_NS6detail17trampoline_kernelINS0_13select_configILj256ELj13ELNS0_17block_load_methodE3ELS4_3ELS4_3ELNS0_20block_scan_algorithmE0ELj4294967295EEENS1_25partition_config_selectorILNS1_17partition_subalgoE4EjNS0_10empty_typeEbEEZZNS1_14partition_implILS8_4ELb0ES6_15HIP_vector_typeIjLj2EENS0_17counting_iteratorIjlEEPS9_SG_NS0_5tupleIJPjSI_NS0_16reverse_iteratorISI_EEEEENSH_IJSG_SG_SG_EEES9_SI_JZNS1_25segmented_radix_sort_implINS0_14default_configELb0EPKlPlSQ_SR_N2at6native12_GLOBAL__N_18offset_tEEE10hipError_tPvRmT1_PNSt15iterator_traitsISZ_E10value_typeET2_T3_PNS10_IS15_E10value_typeET4_jRbjT5_S1B_jjP12ihipStream_tbEUljE_ZNSN_ISO_Lb0ESQ_SR_SQ_SR_SV_EESW_SX_SY_SZ_S13_S14_S15_S18_S19_jS1A_jS1B_S1B_jjS1D_bEUljE0_EEESW_SX_SY_S15_S19_S1B_T6_T7_T9_mT8_S1D_bDpT10_ENKUlT_T0_E_clISt17integral_constantIbLb1EES1Q_IbLb0EEEEDaS1M_S1N_EUlS1M_E_NS1_11comp_targetILNS1_3genE3ELNS1_11target_archE908ELNS1_3gpuE7ELNS1_3repE0EEENS1_30default_config_static_selectorELNS0_4arch9wavefront6targetE1EEEvSZ_
		.amdhsa_group_segment_fixed_size 0
		.amdhsa_private_segment_fixed_size 0
		.amdhsa_kernarg_size 176
		.amdhsa_user_sgpr_count 6
		.amdhsa_user_sgpr_private_segment_buffer 1
		.amdhsa_user_sgpr_dispatch_ptr 0
		.amdhsa_user_sgpr_queue_ptr 0
		.amdhsa_user_sgpr_kernarg_segment_ptr 1
		.amdhsa_user_sgpr_dispatch_id 0
		.amdhsa_user_sgpr_flat_scratch_init 0
		.amdhsa_user_sgpr_private_segment_size 0
		.amdhsa_uses_dynamic_stack 0
		.amdhsa_system_sgpr_private_segment_wavefront_offset 0
		.amdhsa_system_sgpr_workgroup_id_x 1
		.amdhsa_system_sgpr_workgroup_id_y 0
		.amdhsa_system_sgpr_workgroup_id_z 0
		.amdhsa_system_sgpr_workgroup_info 0
		.amdhsa_system_vgpr_workitem_id 0
		.amdhsa_next_free_vgpr 1
		.amdhsa_next_free_sgpr 0
		.amdhsa_reserve_vcc 0
		.amdhsa_reserve_flat_scratch 0
		.amdhsa_float_round_mode_32 0
		.amdhsa_float_round_mode_16_64 0
		.amdhsa_float_denorm_mode_32 3
		.amdhsa_float_denorm_mode_16_64 3
		.amdhsa_dx10_clamp 1
		.amdhsa_ieee_mode 1
		.amdhsa_fp16_overflow 0
		.amdhsa_exception_fp_ieee_invalid_op 0
		.amdhsa_exception_fp_denorm_src 0
		.amdhsa_exception_fp_ieee_div_zero 0
		.amdhsa_exception_fp_ieee_overflow 0
		.amdhsa_exception_fp_ieee_underflow 0
		.amdhsa_exception_fp_ieee_inexact 0
		.amdhsa_exception_int_div_zero 0
	.end_amdhsa_kernel
	.section	.text._ZN7rocprim17ROCPRIM_400000_NS6detail17trampoline_kernelINS0_13select_configILj256ELj13ELNS0_17block_load_methodE3ELS4_3ELS4_3ELNS0_20block_scan_algorithmE0ELj4294967295EEENS1_25partition_config_selectorILNS1_17partition_subalgoE4EjNS0_10empty_typeEbEEZZNS1_14partition_implILS8_4ELb0ES6_15HIP_vector_typeIjLj2EENS0_17counting_iteratorIjlEEPS9_SG_NS0_5tupleIJPjSI_NS0_16reverse_iteratorISI_EEEEENSH_IJSG_SG_SG_EEES9_SI_JZNS1_25segmented_radix_sort_implINS0_14default_configELb0EPKlPlSQ_SR_N2at6native12_GLOBAL__N_18offset_tEEE10hipError_tPvRmT1_PNSt15iterator_traitsISZ_E10value_typeET2_T3_PNS10_IS15_E10value_typeET4_jRbjT5_S1B_jjP12ihipStream_tbEUljE_ZNSN_ISO_Lb0ESQ_SR_SQ_SR_SV_EESW_SX_SY_SZ_S13_S14_S15_S18_S19_jS1A_jS1B_S1B_jjS1D_bEUljE0_EEESW_SX_SY_S15_S19_S1B_T6_T7_T9_mT8_S1D_bDpT10_ENKUlT_T0_E_clISt17integral_constantIbLb1EES1Q_IbLb0EEEEDaS1M_S1N_EUlS1M_E_NS1_11comp_targetILNS1_3genE3ELNS1_11target_archE908ELNS1_3gpuE7ELNS1_3repE0EEENS1_30default_config_static_selectorELNS0_4arch9wavefront6targetE1EEEvSZ_,"axG",@progbits,_ZN7rocprim17ROCPRIM_400000_NS6detail17trampoline_kernelINS0_13select_configILj256ELj13ELNS0_17block_load_methodE3ELS4_3ELS4_3ELNS0_20block_scan_algorithmE0ELj4294967295EEENS1_25partition_config_selectorILNS1_17partition_subalgoE4EjNS0_10empty_typeEbEEZZNS1_14partition_implILS8_4ELb0ES6_15HIP_vector_typeIjLj2EENS0_17counting_iteratorIjlEEPS9_SG_NS0_5tupleIJPjSI_NS0_16reverse_iteratorISI_EEEEENSH_IJSG_SG_SG_EEES9_SI_JZNS1_25segmented_radix_sort_implINS0_14default_configELb0EPKlPlSQ_SR_N2at6native12_GLOBAL__N_18offset_tEEE10hipError_tPvRmT1_PNSt15iterator_traitsISZ_E10value_typeET2_T3_PNS10_IS15_E10value_typeET4_jRbjT5_S1B_jjP12ihipStream_tbEUljE_ZNSN_ISO_Lb0ESQ_SR_SQ_SR_SV_EESW_SX_SY_SZ_S13_S14_S15_S18_S19_jS1A_jS1B_S1B_jjS1D_bEUljE0_EEESW_SX_SY_S15_S19_S1B_T6_T7_T9_mT8_S1D_bDpT10_ENKUlT_T0_E_clISt17integral_constantIbLb1EES1Q_IbLb0EEEEDaS1M_S1N_EUlS1M_E_NS1_11comp_targetILNS1_3genE3ELNS1_11target_archE908ELNS1_3gpuE7ELNS1_3repE0EEENS1_30default_config_static_selectorELNS0_4arch9wavefront6targetE1EEEvSZ_,comdat
.Lfunc_end762:
	.size	_ZN7rocprim17ROCPRIM_400000_NS6detail17trampoline_kernelINS0_13select_configILj256ELj13ELNS0_17block_load_methodE3ELS4_3ELS4_3ELNS0_20block_scan_algorithmE0ELj4294967295EEENS1_25partition_config_selectorILNS1_17partition_subalgoE4EjNS0_10empty_typeEbEEZZNS1_14partition_implILS8_4ELb0ES6_15HIP_vector_typeIjLj2EENS0_17counting_iteratorIjlEEPS9_SG_NS0_5tupleIJPjSI_NS0_16reverse_iteratorISI_EEEEENSH_IJSG_SG_SG_EEES9_SI_JZNS1_25segmented_radix_sort_implINS0_14default_configELb0EPKlPlSQ_SR_N2at6native12_GLOBAL__N_18offset_tEEE10hipError_tPvRmT1_PNSt15iterator_traitsISZ_E10value_typeET2_T3_PNS10_IS15_E10value_typeET4_jRbjT5_S1B_jjP12ihipStream_tbEUljE_ZNSN_ISO_Lb0ESQ_SR_SQ_SR_SV_EESW_SX_SY_SZ_S13_S14_S15_S18_S19_jS1A_jS1B_S1B_jjS1D_bEUljE0_EEESW_SX_SY_S15_S19_S1B_T6_T7_T9_mT8_S1D_bDpT10_ENKUlT_T0_E_clISt17integral_constantIbLb1EES1Q_IbLb0EEEEDaS1M_S1N_EUlS1M_E_NS1_11comp_targetILNS1_3genE3ELNS1_11target_archE908ELNS1_3gpuE7ELNS1_3repE0EEENS1_30default_config_static_selectorELNS0_4arch9wavefront6targetE1EEEvSZ_, .Lfunc_end762-_ZN7rocprim17ROCPRIM_400000_NS6detail17trampoline_kernelINS0_13select_configILj256ELj13ELNS0_17block_load_methodE3ELS4_3ELS4_3ELNS0_20block_scan_algorithmE0ELj4294967295EEENS1_25partition_config_selectorILNS1_17partition_subalgoE4EjNS0_10empty_typeEbEEZZNS1_14partition_implILS8_4ELb0ES6_15HIP_vector_typeIjLj2EENS0_17counting_iteratorIjlEEPS9_SG_NS0_5tupleIJPjSI_NS0_16reverse_iteratorISI_EEEEENSH_IJSG_SG_SG_EEES9_SI_JZNS1_25segmented_radix_sort_implINS0_14default_configELb0EPKlPlSQ_SR_N2at6native12_GLOBAL__N_18offset_tEEE10hipError_tPvRmT1_PNSt15iterator_traitsISZ_E10value_typeET2_T3_PNS10_IS15_E10value_typeET4_jRbjT5_S1B_jjP12ihipStream_tbEUljE_ZNSN_ISO_Lb0ESQ_SR_SQ_SR_SV_EESW_SX_SY_SZ_S13_S14_S15_S18_S19_jS1A_jS1B_S1B_jjS1D_bEUljE0_EEESW_SX_SY_S15_S19_S1B_T6_T7_T9_mT8_S1D_bDpT10_ENKUlT_T0_E_clISt17integral_constantIbLb1EES1Q_IbLb0EEEEDaS1M_S1N_EUlS1M_E_NS1_11comp_targetILNS1_3genE3ELNS1_11target_archE908ELNS1_3gpuE7ELNS1_3repE0EEENS1_30default_config_static_selectorELNS0_4arch9wavefront6targetE1EEEvSZ_
                                        ; -- End function
	.set _ZN7rocprim17ROCPRIM_400000_NS6detail17trampoline_kernelINS0_13select_configILj256ELj13ELNS0_17block_load_methodE3ELS4_3ELS4_3ELNS0_20block_scan_algorithmE0ELj4294967295EEENS1_25partition_config_selectorILNS1_17partition_subalgoE4EjNS0_10empty_typeEbEEZZNS1_14partition_implILS8_4ELb0ES6_15HIP_vector_typeIjLj2EENS0_17counting_iteratorIjlEEPS9_SG_NS0_5tupleIJPjSI_NS0_16reverse_iteratorISI_EEEEENSH_IJSG_SG_SG_EEES9_SI_JZNS1_25segmented_radix_sort_implINS0_14default_configELb0EPKlPlSQ_SR_N2at6native12_GLOBAL__N_18offset_tEEE10hipError_tPvRmT1_PNSt15iterator_traitsISZ_E10value_typeET2_T3_PNS10_IS15_E10value_typeET4_jRbjT5_S1B_jjP12ihipStream_tbEUljE_ZNSN_ISO_Lb0ESQ_SR_SQ_SR_SV_EESW_SX_SY_SZ_S13_S14_S15_S18_S19_jS1A_jS1B_S1B_jjS1D_bEUljE0_EEESW_SX_SY_S15_S19_S1B_T6_T7_T9_mT8_S1D_bDpT10_ENKUlT_T0_E_clISt17integral_constantIbLb1EES1Q_IbLb0EEEEDaS1M_S1N_EUlS1M_E_NS1_11comp_targetILNS1_3genE3ELNS1_11target_archE908ELNS1_3gpuE7ELNS1_3repE0EEENS1_30default_config_static_selectorELNS0_4arch9wavefront6targetE1EEEvSZ_.num_vgpr, 0
	.set _ZN7rocprim17ROCPRIM_400000_NS6detail17trampoline_kernelINS0_13select_configILj256ELj13ELNS0_17block_load_methodE3ELS4_3ELS4_3ELNS0_20block_scan_algorithmE0ELj4294967295EEENS1_25partition_config_selectorILNS1_17partition_subalgoE4EjNS0_10empty_typeEbEEZZNS1_14partition_implILS8_4ELb0ES6_15HIP_vector_typeIjLj2EENS0_17counting_iteratorIjlEEPS9_SG_NS0_5tupleIJPjSI_NS0_16reverse_iteratorISI_EEEEENSH_IJSG_SG_SG_EEES9_SI_JZNS1_25segmented_radix_sort_implINS0_14default_configELb0EPKlPlSQ_SR_N2at6native12_GLOBAL__N_18offset_tEEE10hipError_tPvRmT1_PNSt15iterator_traitsISZ_E10value_typeET2_T3_PNS10_IS15_E10value_typeET4_jRbjT5_S1B_jjP12ihipStream_tbEUljE_ZNSN_ISO_Lb0ESQ_SR_SQ_SR_SV_EESW_SX_SY_SZ_S13_S14_S15_S18_S19_jS1A_jS1B_S1B_jjS1D_bEUljE0_EEESW_SX_SY_S15_S19_S1B_T6_T7_T9_mT8_S1D_bDpT10_ENKUlT_T0_E_clISt17integral_constantIbLb1EES1Q_IbLb0EEEEDaS1M_S1N_EUlS1M_E_NS1_11comp_targetILNS1_3genE3ELNS1_11target_archE908ELNS1_3gpuE7ELNS1_3repE0EEENS1_30default_config_static_selectorELNS0_4arch9wavefront6targetE1EEEvSZ_.num_agpr, 0
	.set _ZN7rocprim17ROCPRIM_400000_NS6detail17trampoline_kernelINS0_13select_configILj256ELj13ELNS0_17block_load_methodE3ELS4_3ELS4_3ELNS0_20block_scan_algorithmE0ELj4294967295EEENS1_25partition_config_selectorILNS1_17partition_subalgoE4EjNS0_10empty_typeEbEEZZNS1_14partition_implILS8_4ELb0ES6_15HIP_vector_typeIjLj2EENS0_17counting_iteratorIjlEEPS9_SG_NS0_5tupleIJPjSI_NS0_16reverse_iteratorISI_EEEEENSH_IJSG_SG_SG_EEES9_SI_JZNS1_25segmented_radix_sort_implINS0_14default_configELb0EPKlPlSQ_SR_N2at6native12_GLOBAL__N_18offset_tEEE10hipError_tPvRmT1_PNSt15iterator_traitsISZ_E10value_typeET2_T3_PNS10_IS15_E10value_typeET4_jRbjT5_S1B_jjP12ihipStream_tbEUljE_ZNSN_ISO_Lb0ESQ_SR_SQ_SR_SV_EESW_SX_SY_SZ_S13_S14_S15_S18_S19_jS1A_jS1B_S1B_jjS1D_bEUljE0_EEESW_SX_SY_S15_S19_S1B_T6_T7_T9_mT8_S1D_bDpT10_ENKUlT_T0_E_clISt17integral_constantIbLb1EES1Q_IbLb0EEEEDaS1M_S1N_EUlS1M_E_NS1_11comp_targetILNS1_3genE3ELNS1_11target_archE908ELNS1_3gpuE7ELNS1_3repE0EEENS1_30default_config_static_selectorELNS0_4arch9wavefront6targetE1EEEvSZ_.numbered_sgpr, 0
	.set _ZN7rocprim17ROCPRIM_400000_NS6detail17trampoline_kernelINS0_13select_configILj256ELj13ELNS0_17block_load_methodE3ELS4_3ELS4_3ELNS0_20block_scan_algorithmE0ELj4294967295EEENS1_25partition_config_selectorILNS1_17partition_subalgoE4EjNS0_10empty_typeEbEEZZNS1_14partition_implILS8_4ELb0ES6_15HIP_vector_typeIjLj2EENS0_17counting_iteratorIjlEEPS9_SG_NS0_5tupleIJPjSI_NS0_16reverse_iteratorISI_EEEEENSH_IJSG_SG_SG_EEES9_SI_JZNS1_25segmented_radix_sort_implINS0_14default_configELb0EPKlPlSQ_SR_N2at6native12_GLOBAL__N_18offset_tEEE10hipError_tPvRmT1_PNSt15iterator_traitsISZ_E10value_typeET2_T3_PNS10_IS15_E10value_typeET4_jRbjT5_S1B_jjP12ihipStream_tbEUljE_ZNSN_ISO_Lb0ESQ_SR_SQ_SR_SV_EESW_SX_SY_SZ_S13_S14_S15_S18_S19_jS1A_jS1B_S1B_jjS1D_bEUljE0_EEESW_SX_SY_S15_S19_S1B_T6_T7_T9_mT8_S1D_bDpT10_ENKUlT_T0_E_clISt17integral_constantIbLb1EES1Q_IbLb0EEEEDaS1M_S1N_EUlS1M_E_NS1_11comp_targetILNS1_3genE3ELNS1_11target_archE908ELNS1_3gpuE7ELNS1_3repE0EEENS1_30default_config_static_selectorELNS0_4arch9wavefront6targetE1EEEvSZ_.num_named_barrier, 0
	.set _ZN7rocprim17ROCPRIM_400000_NS6detail17trampoline_kernelINS0_13select_configILj256ELj13ELNS0_17block_load_methodE3ELS4_3ELS4_3ELNS0_20block_scan_algorithmE0ELj4294967295EEENS1_25partition_config_selectorILNS1_17partition_subalgoE4EjNS0_10empty_typeEbEEZZNS1_14partition_implILS8_4ELb0ES6_15HIP_vector_typeIjLj2EENS0_17counting_iteratorIjlEEPS9_SG_NS0_5tupleIJPjSI_NS0_16reverse_iteratorISI_EEEEENSH_IJSG_SG_SG_EEES9_SI_JZNS1_25segmented_radix_sort_implINS0_14default_configELb0EPKlPlSQ_SR_N2at6native12_GLOBAL__N_18offset_tEEE10hipError_tPvRmT1_PNSt15iterator_traitsISZ_E10value_typeET2_T3_PNS10_IS15_E10value_typeET4_jRbjT5_S1B_jjP12ihipStream_tbEUljE_ZNSN_ISO_Lb0ESQ_SR_SQ_SR_SV_EESW_SX_SY_SZ_S13_S14_S15_S18_S19_jS1A_jS1B_S1B_jjS1D_bEUljE0_EEESW_SX_SY_S15_S19_S1B_T6_T7_T9_mT8_S1D_bDpT10_ENKUlT_T0_E_clISt17integral_constantIbLb1EES1Q_IbLb0EEEEDaS1M_S1N_EUlS1M_E_NS1_11comp_targetILNS1_3genE3ELNS1_11target_archE908ELNS1_3gpuE7ELNS1_3repE0EEENS1_30default_config_static_selectorELNS0_4arch9wavefront6targetE1EEEvSZ_.private_seg_size, 0
	.set _ZN7rocprim17ROCPRIM_400000_NS6detail17trampoline_kernelINS0_13select_configILj256ELj13ELNS0_17block_load_methodE3ELS4_3ELS4_3ELNS0_20block_scan_algorithmE0ELj4294967295EEENS1_25partition_config_selectorILNS1_17partition_subalgoE4EjNS0_10empty_typeEbEEZZNS1_14partition_implILS8_4ELb0ES6_15HIP_vector_typeIjLj2EENS0_17counting_iteratorIjlEEPS9_SG_NS0_5tupleIJPjSI_NS0_16reverse_iteratorISI_EEEEENSH_IJSG_SG_SG_EEES9_SI_JZNS1_25segmented_radix_sort_implINS0_14default_configELb0EPKlPlSQ_SR_N2at6native12_GLOBAL__N_18offset_tEEE10hipError_tPvRmT1_PNSt15iterator_traitsISZ_E10value_typeET2_T3_PNS10_IS15_E10value_typeET4_jRbjT5_S1B_jjP12ihipStream_tbEUljE_ZNSN_ISO_Lb0ESQ_SR_SQ_SR_SV_EESW_SX_SY_SZ_S13_S14_S15_S18_S19_jS1A_jS1B_S1B_jjS1D_bEUljE0_EEESW_SX_SY_S15_S19_S1B_T6_T7_T9_mT8_S1D_bDpT10_ENKUlT_T0_E_clISt17integral_constantIbLb1EES1Q_IbLb0EEEEDaS1M_S1N_EUlS1M_E_NS1_11comp_targetILNS1_3genE3ELNS1_11target_archE908ELNS1_3gpuE7ELNS1_3repE0EEENS1_30default_config_static_selectorELNS0_4arch9wavefront6targetE1EEEvSZ_.uses_vcc, 0
	.set _ZN7rocprim17ROCPRIM_400000_NS6detail17trampoline_kernelINS0_13select_configILj256ELj13ELNS0_17block_load_methodE3ELS4_3ELS4_3ELNS0_20block_scan_algorithmE0ELj4294967295EEENS1_25partition_config_selectorILNS1_17partition_subalgoE4EjNS0_10empty_typeEbEEZZNS1_14partition_implILS8_4ELb0ES6_15HIP_vector_typeIjLj2EENS0_17counting_iteratorIjlEEPS9_SG_NS0_5tupleIJPjSI_NS0_16reverse_iteratorISI_EEEEENSH_IJSG_SG_SG_EEES9_SI_JZNS1_25segmented_radix_sort_implINS0_14default_configELb0EPKlPlSQ_SR_N2at6native12_GLOBAL__N_18offset_tEEE10hipError_tPvRmT1_PNSt15iterator_traitsISZ_E10value_typeET2_T3_PNS10_IS15_E10value_typeET4_jRbjT5_S1B_jjP12ihipStream_tbEUljE_ZNSN_ISO_Lb0ESQ_SR_SQ_SR_SV_EESW_SX_SY_SZ_S13_S14_S15_S18_S19_jS1A_jS1B_S1B_jjS1D_bEUljE0_EEESW_SX_SY_S15_S19_S1B_T6_T7_T9_mT8_S1D_bDpT10_ENKUlT_T0_E_clISt17integral_constantIbLb1EES1Q_IbLb0EEEEDaS1M_S1N_EUlS1M_E_NS1_11comp_targetILNS1_3genE3ELNS1_11target_archE908ELNS1_3gpuE7ELNS1_3repE0EEENS1_30default_config_static_selectorELNS0_4arch9wavefront6targetE1EEEvSZ_.uses_flat_scratch, 0
	.set _ZN7rocprim17ROCPRIM_400000_NS6detail17trampoline_kernelINS0_13select_configILj256ELj13ELNS0_17block_load_methodE3ELS4_3ELS4_3ELNS0_20block_scan_algorithmE0ELj4294967295EEENS1_25partition_config_selectorILNS1_17partition_subalgoE4EjNS0_10empty_typeEbEEZZNS1_14partition_implILS8_4ELb0ES6_15HIP_vector_typeIjLj2EENS0_17counting_iteratorIjlEEPS9_SG_NS0_5tupleIJPjSI_NS0_16reverse_iteratorISI_EEEEENSH_IJSG_SG_SG_EEES9_SI_JZNS1_25segmented_radix_sort_implINS0_14default_configELb0EPKlPlSQ_SR_N2at6native12_GLOBAL__N_18offset_tEEE10hipError_tPvRmT1_PNSt15iterator_traitsISZ_E10value_typeET2_T3_PNS10_IS15_E10value_typeET4_jRbjT5_S1B_jjP12ihipStream_tbEUljE_ZNSN_ISO_Lb0ESQ_SR_SQ_SR_SV_EESW_SX_SY_SZ_S13_S14_S15_S18_S19_jS1A_jS1B_S1B_jjS1D_bEUljE0_EEESW_SX_SY_S15_S19_S1B_T6_T7_T9_mT8_S1D_bDpT10_ENKUlT_T0_E_clISt17integral_constantIbLb1EES1Q_IbLb0EEEEDaS1M_S1N_EUlS1M_E_NS1_11comp_targetILNS1_3genE3ELNS1_11target_archE908ELNS1_3gpuE7ELNS1_3repE0EEENS1_30default_config_static_selectorELNS0_4arch9wavefront6targetE1EEEvSZ_.has_dyn_sized_stack, 0
	.set _ZN7rocprim17ROCPRIM_400000_NS6detail17trampoline_kernelINS0_13select_configILj256ELj13ELNS0_17block_load_methodE3ELS4_3ELS4_3ELNS0_20block_scan_algorithmE0ELj4294967295EEENS1_25partition_config_selectorILNS1_17partition_subalgoE4EjNS0_10empty_typeEbEEZZNS1_14partition_implILS8_4ELb0ES6_15HIP_vector_typeIjLj2EENS0_17counting_iteratorIjlEEPS9_SG_NS0_5tupleIJPjSI_NS0_16reverse_iteratorISI_EEEEENSH_IJSG_SG_SG_EEES9_SI_JZNS1_25segmented_radix_sort_implINS0_14default_configELb0EPKlPlSQ_SR_N2at6native12_GLOBAL__N_18offset_tEEE10hipError_tPvRmT1_PNSt15iterator_traitsISZ_E10value_typeET2_T3_PNS10_IS15_E10value_typeET4_jRbjT5_S1B_jjP12ihipStream_tbEUljE_ZNSN_ISO_Lb0ESQ_SR_SQ_SR_SV_EESW_SX_SY_SZ_S13_S14_S15_S18_S19_jS1A_jS1B_S1B_jjS1D_bEUljE0_EEESW_SX_SY_S15_S19_S1B_T6_T7_T9_mT8_S1D_bDpT10_ENKUlT_T0_E_clISt17integral_constantIbLb1EES1Q_IbLb0EEEEDaS1M_S1N_EUlS1M_E_NS1_11comp_targetILNS1_3genE3ELNS1_11target_archE908ELNS1_3gpuE7ELNS1_3repE0EEENS1_30default_config_static_selectorELNS0_4arch9wavefront6targetE1EEEvSZ_.has_recursion, 0
	.set _ZN7rocprim17ROCPRIM_400000_NS6detail17trampoline_kernelINS0_13select_configILj256ELj13ELNS0_17block_load_methodE3ELS4_3ELS4_3ELNS0_20block_scan_algorithmE0ELj4294967295EEENS1_25partition_config_selectorILNS1_17partition_subalgoE4EjNS0_10empty_typeEbEEZZNS1_14partition_implILS8_4ELb0ES6_15HIP_vector_typeIjLj2EENS0_17counting_iteratorIjlEEPS9_SG_NS0_5tupleIJPjSI_NS0_16reverse_iteratorISI_EEEEENSH_IJSG_SG_SG_EEES9_SI_JZNS1_25segmented_radix_sort_implINS0_14default_configELb0EPKlPlSQ_SR_N2at6native12_GLOBAL__N_18offset_tEEE10hipError_tPvRmT1_PNSt15iterator_traitsISZ_E10value_typeET2_T3_PNS10_IS15_E10value_typeET4_jRbjT5_S1B_jjP12ihipStream_tbEUljE_ZNSN_ISO_Lb0ESQ_SR_SQ_SR_SV_EESW_SX_SY_SZ_S13_S14_S15_S18_S19_jS1A_jS1B_S1B_jjS1D_bEUljE0_EEESW_SX_SY_S15_S19_S1B_T6_T7_T9_mT8_S1D_bDpT10_ENKUlT_T0_E_clISt17integral_constantIbLb1EES1Q_IbLb0EEEEDaS1M_S1N_EUlS1M_E_NS1_11comp_targetILNS1_3genE3ELNS1_11target_archE908ELNS1_3gpuE7ELNS1_3repE0EEENS1_30default_config_static_selectorELNS0_4arch9wavefront6targetE1EEEvSZ_.has_indirect_call, 0
	.section	.AMDGPU.csdata,"",@progbits
; Kernel info:
; codeLenInByte = 0
; TotalNumSgprs: 4
; NumVgprs: 0
; ScratchSize: 0
; MemoryBound: 0
; FloatMode: 240
; IeeeMode: 1
; LDSByteSize: 0 bytes/workgroup (compile time only)
; SGPRBlocks: 0
; VGPRBlocks: 0
; NumSGPRsForWavesPerEU: 4
; NumVGPRsForWavesPerEU: 1
; Occupancy: 10
; WaveLimiterHint : 0
; COMPUTE_PGM_RSRC2:SCRATCH_EN: 0
; COMPUTE_PGM_RSRC2:USER_SGPR: 6
; COMPUTE_PGM_RSRC2:TRAP_HANDLER: 0
; COMPUTE_PGM_RSRC2:TGID_X_EN: 1
; COMPUTE_PGM_RSRC2:TGID_Y_EN: 0
; COMPUTE_PGM_RSRC2:TGID_Z_EN: 0
; COMPUTE_PGM_RSRC2:TIDIG_COMP_CNT: 0
	.section	.text._ZN7rocprim17ROCPRIM_400000_NS6detail17trampoline_kernelINS0_13select_configILj256ELj13ELNS0_17block_load_methodE3ELS4_3ELS4_3ELNS0_20block_scan_algorithmE0ELj4294967295EEENS1_25partition_config_selectorILNS1_17partition_subalgoE4EjNS0_10empty_typeEbEEZZNS1_14partition_implILS8_4ELb0ES6_15HIP_vector_typeIjLj2EENS0_17counting_iteratorIjlEEPS9_SG_NS0_5tupleIJPjSI_NS0_16reverse_iteratorISI_EEEEENSH_IJSG_SG_SG_EEES9_SI_JZNS1_25segmented_radix_sort_implINS0_14default_configELb0EPKlPlSQ_SR_N2at6native12_GLOBAL__N_18offset_tEEE10hipError_tPvRmT1_PNSt15iterator_traitsISZ_E10value_typeET2_T3_PNS10_IS15_E10value_typeET4_jRbjT5_S1B_jjP12ihipStream_tbEUljE_ZNSN_ISO_Lb0ESQ_SR_SQ_SR_SV_EESW_SX_SY_SZ_S13_S14_S15_S18_S19_jS1A_jS1B_S1B_jjS1D_bEUljE0_EEESW_SX_SY_S15_S19_S1B_T6_T7_T9_mT8_S1D_bDpT10_ENKUlT_T0_E_clISt17integral_constantIbLb1EES1Q_IbLb0EEEEDaS1M_S1N_EUlS1M_E_NS1_11comp_targetILNS1_3genE2ELNS1_11target_archE906ELNS1_3gpuE6ELNS1_3repE0EEENS1_30default_config_static_selectorELNS0_4arch9wavefront6targetE1EEEvSZ_,"axG",@progbits,_ZN7rocprim17ROCPRIM_400000_NS6detail17trampoline_kernelINS0_13select_configILj256ELj13ELNS0_17block_load_methodE3ELS4_3ELS4_3ELNS0_20block_scan_algorithmE0ELj4294967295EEENS1_25partition_config_selectorILNS1_17partition_subalgoE4EjNS0_10empty_typeEbEEZZNS1_14partition_implILS8_4ELb0ES6_15HIP_vector_typeIjLj2EENS0_17counting_iteratorIjlEEPS9_SG_NS0_5tupleIJPjSI_NS0_16reverse_iteratorISI_EEEEENSH_IJSG_SG_SG_EEES9_SI_JZNS1_25segmented_radix_sort_implINS0_14default_configELb0EPKlPlSQ_SR_N2at6native12_GLOBAL__N_18offset_tEEE10hipError_tPvRmT1_PNSt15iterator_traitsISZ_E10value_typeET2_T3_PNS10_IS15_E10value_typeET4_jRbjT5_S1B_jjP12ihipStream_tbEUljE_ZNSN_ISO_Lb0ESQ_SR_SQ_SR_SV_EESW_SX_SY_SZ_S13_S14_S15_S18_S19_jS1A_jS1B_S1B_jjS1D_bEUljE0_EEESW_SX_SY_S15_S19_S1B_T6_T7_T9_mT8_S1D_bDpT10_ENKUlT_T0_E_clISt17integral_constantIbLb1EES1Q_IbLb0EEEEDaS1M_S1N_EUlS1M_E_NS1_11comp_targetILNS1_3genE2ELNS1_11target_archE906ELNS1_3gpuE6ELNS1_3repE0EEENS1_30default_config_static_selectorELNS0_4arch9wavefront6targetE1EEEvSZ_,comdat
	.globl	_ZN7rocprim17ROCPRIM_400000_NS6detail17trampoline_kernelINS0_13select_configILj256ELj13ELNS0_17block_load_methodE3ELS4_3ELS4_3ELNS0_20block_scan_algorithmE0ELj4294967295EEENS1_25partition_config_selectorILNS1_17partition_subalgoE4EjNS0_10empty_typeEbEEZZNS1_14partition_implILS8_4ELb0ES6_15HIP_vector_typeIjLj2EENS0_17counting_iteratorIjlEEPS9_SG_NS0_5tupleIJPjSI_NS0_16reverse_iteratorISI_EEEEENSH_IJSG_SG_SG_EEES9_SI_JZNS1_25segmented_radix_sort_implINS0_14default_configELb0EPKlPlSQ_SR_N2at6native12_GLOBAL__N_18offset_tEEE10hipError_tPvRmT1_PNSt15iterator_traitsISZ_E10value_typeET2_T3_PNS10_IS15_E10value_typeET4_jRbjT5_S1B_jjP12ihipStream_tbEUljE_ZNSN_ISO_Lb0ESQ_SR_SQ_SR_SV_EESW_SX_SY_SZ_S13_S14_S15_S18_S19_jS1A_jS1B_S1B_jjS1D_bEUljE0_EEESW_SX_SY_S15_S19_S1B_T6_T7_T9_mT8_S1D_bDpT10_ENKUlT_T0_E_clISt17integral_constantIbLb1EES1Q_IbLb0EEEEDaS1M_S1N_EUlS1M_E_NS1_11comp_targetILNS1_3genE2ELNS1_11target_archE906ELNS1_3gpuE6ELNS1_3repE0EEENS1_30default_config_static_selectorELNS0_4arch9wavefront6targetE1EEEvSZ_ ; -- Begin function _ZN7rocprim17ROCPRIM_400000_NS6detail17trampoline_kernelINS0_13select_configILj256ELj13ELNS0_17block_load_methodE3ELS4_3ELS4_3ELNS0_20block_scan_algorithmE0ELj4294967295EEENS1_25partition_config_selectorILNS1_17partition_subalgoE4EjNS0_10empty_typeEbEEZZNS1_14partition_implILS8_4ELb0ES6_15HIP_vector_typeIjLj2EENS0_17counting_iteratorIjlEEPS9_SG_NS0_5tupleIJPjSI_NS0_16reverse_iteratorISI_EEEEENSH_IJSG_SG_SG_EEES9_SI_JZNS1_25segmented_radix_sort_implINS0_14default_configELb0EPKlPlSQ_SR_N2at6native12_GLOBAL__N_18offset_tEEE10hipError_tPvRmT1_PNSt15iterator_traitsISZ_E10value_typeET2_T3_PNS10_IS15_E10value_typeET4_jRbjT5_S1B_jjP12ihipStream_tbEUljE_ZNSN_ISO_Lb0ESQ_SR_SQ_SR_SV_EESW_SX_SY_SZ_S13_S14_S15_S18_S19_jS1A_jS1B_S1B_jjS1D_bEUljE0_EEESW_SX_SY_S15_S19_S1B_T6_T7_T9_mT8_S1D_bDpT10_ENKUlT_T0_E_clISt17integral_constantIbLb1EES1Q_IbLb0EEEEDaS1M_S1N_EUlS1M_E_NS1_11comp_targetILNS1_3genE2ELNS1_11target_archE906ELNS1_3gpuE6ELNS1_3repE0EEENS1_30default_config_static_selectorELNS0_4arch9wavefront6targetE1EEEvSZ_
	.p2align	8
	.type	_ZN7rocprim17ROCPRIM_400000_NS6detail17trampoline_kernelINS0_13select_configILj256ELj13ELNS0_17block_load_methodE3ELS4_3ELS4_3ELNS0_20block_scan_algorithmE0ELj4294967295EEENS1_25partition_config_selectorILNS1_17partition_subalgoE4EjNS0_10empty_typeEbEEZZNS1_14partition_implILS8_4ELb0ES6_15HIP_vector_typeIjLj2EENS0_17counting_iteratorIjlEEPS9_SG_NS0_5tupleIJPjSI_NS0_16reverse_iteratorISI_EEEEENSH_IJSG_SG_SG_EEES9_SI_JZNS1_25segmented_radix_sort_implINS0_14default_configELb0EPKlPlSQ_SR_N2at6native12_GLOBAL__N_18offset_tEEE10hipError_tPvRmT1_PNSt15iterator_traitsISZ_E10value_typeET2_T3_PNS10_IS15_E10value_typeET4_jRbjT5_S1B_jjP12ihipStream_tbEUljE_ZNSN_ISO_Lb0ESQ_SR_SQ_SR_SV_EESW_SX_SY_SZ_S13_S14_S15_S18_S19_jS1A_jS1B_S1B_jjS1D_bEUljE0_EEESW_SX_SY_S15_S19_S1B_T6_T7_T9_mT8_S1D_bDpT10_ENKUlT_T0_E_clISt17integral_constantIbLb1EES1Q_IbLb0EEEEDaS1M_S1N_EUlS1M_E_NS1_11comp_targetILNS1_3genE2ELNS1_11target_archE906ELNS1_3gpuE6ELNS1_3repE0EEENS1_30default_config_static_selectorELNS0_4arch9wavefront6targetE1EEEvSZ_,@function
_ZN7rocprim17ROCPRIM_400000_NS6detail17trampoline_kernelINS0_13select_configILj256ELj13ELNS0_17block_load_methodE3ELS4_3ELS4_3ELNS0_20block_scan_algorithmE0ELj4294967295EEENS1_25partition_config_selectorILNS1_17partition_subalgoE4EjNS0_10empty_typeEbEEZZNS1_14partition_implILS8_4ELb0ES6_15HIP_vector_typeIjLj2EENS0_17counting_iteratorIjlEEPS9_SG_NS0_5tupleIJPjSI_NS0_16reverse_iteratorISI_EEEEENSH_IJSG_SG_SG_EEES9_SI_JZNS1_25segmented_radix_sort_implINS0_14default_configELb0EPKlPlSQ_SR_N2at6native12_GLOBAL__N_18offset_tEEE10hipError_tPvRmT1_PNSt15iterator_traitsISZ_E10value_typeET2_T3_PNS10_IS15_E10value_typeET4_jRbjT5_S1B_jjP12ihipStream_tbEUljE_ZNSN_ISO_Lb0ESQ_SR_SQ_SR_SV_EESW_SX_SY_SZ_S13_S14_S15_S18_S19_jS1A_jS1B_S1B_jjS1D_bEUljE0_EEESW_SX_SY_S15_S19_S1B_T6_T7_T9_mT8_S1D_bDpT10_ENKUlT_T0_E_clISt17integral_constantIbLb1EES1Q_IbLb0EEEEDaS1M_S1N_EUlS1M_E_NS1_11comp_targetILNS1_3genE2ELNS1_11target_archE906ELNS1_3gpuE6ELNS1_3repE0EEENS1_30default_config_static_selectorELNS0_4arch9wavefront6targetE1EEEvSZ_: ; @_ZN7rocprim17ROCPRIM_400000_NS6detail17trampoline_kernelINS0_13select_configILj256ELj13ELNS0_17block_load_methodE3ELS4_3ELS4_3ELNS0_20block_scan_algorithmE0ELj4294967295EEENS1_25partition_config_selectorILNS1_17partition_subalgoE4EjNS0_10empty_typeEbEEZZNS1_14partition_implILS8_4ELb0ES6_15HIP_vector_typeIjLj2EENS0_17counting_iteratorIjlEEPS9_SG_NS0_5tupleIJPjSI_NS0_16reverse_iteratorISI_EEEEENSH_IJSG_SG_SG_EEES9_SI_JZNS1_25segmented_radix_sort_implINS0_14default_configELb0EPKlPlSQ_SR_N2at6native12_GLOBAL__N_18offset_tEEE10hipError_tPvRmT1_PNSt15iterator_traitsISZ_E10value_typeET2_T3_PNS10_IS15_E10value_typeET4_jRbjT5_S1B_jjP12ihipStream_tbEUljE_ZNSN_ISO_Lb0ESQ_SR_SQ_SR_SV_EESW_SX_SY_SZ_S13_S14_S15_S18_S19_jS1A_jS1B_S1B_jjS1D_bEUljE0_EEESW_SX_SY_S15_S19_S1B_T6_T7_T9_mT8_S1D_bDpT10_ENKUlT_T0_E_clISt17integral_constantIbLb1EES1Q_IbLb0EEEEDaS1M_S1N_EUlS1M_E_NS1_11comp_targetILNS1_3genE2ELNS1_11target_archE906ELNS1_3gpuE6ELNS1_3repE0EEENS1_30default_config_static_selectorELNS0_4arch9wavefront6targetE1EEEvSZ_
; %bb.0:
	s_endpgm
	.section	.rodata,"a",@progbits
	.p2align	6, 0x0
	.amdhsa_kernel _ZN7rocprim17ROCPRIM_400000_NS6detail17trampoline_kernelINS0_13select_configILj256ELj13ELNS0_17block_load_methodE3ELS4_3ELS4_3ELNS0_20block_scan_algorithmE0ELj4294967295EEENS1_25partition_config_selectorILNS1_17partition_subalgoE4EjNS0_10empty_typeEbEEZZNS1_14partition_implILS8_4ELb0ES6_15HIP_vector_typeIjLj2EENS0_17counting_iteratorIjlEEPS9_SG_NS0_5tupleIJPjSI_NS0_16reverse_iteratorISI_EEEEENSH_IJSG_SG_SG_EEES9_SI_JZNS1_25segmented_radix_sort_implINS0_14default_configELb0EPKlPlSQ_SR_N2at6native12_GLOBAL__N_18offset_tEEE10hipError_tPvRmT1_PNSt15iterator_traitsISZ_E10value_typeET2_T3_PNS10_IS15_E10value_typeET4_jRbjT5_S1B_jjP12ihipStream_tbEUljE_ZNSN_ISO_Lb0ESQ_SR_SQ_SR_SV_EESW_SX_SY_SZ_S13_S14_S15_S18_S19_jS1A_jS1B_S1B_jjS1D_bEUljE0_EEESW_SX_SY_S15_S19_S1B_T6_T7_T9_mT8_S1D_bDpT10_ENKUlT_T0_E_clISt17integral_constantIbLb1EES1Q_IbLb0EEEEDaS1M_S1N_EUlS1M_E_NS1_11comp_targetILNS1_3genE2ELNS1_11target_archE906ELNS1_3gpuE6ELNS1_3repE0EEENS1_30default_config_static_selectorELNS0_4arch9wavefront6targetE1EEEvSZ_
		.amdhsa_group_segment_fixed_size 0
		.amdhsa_private_segment_fixed_size 0
		.amdhsa_kernarg_size 176
		.amdhsa_user_sgpr_count 6
		.amdhsa_user_sgpr_private_segment_buffer 1
		.amdhsa_user_sgpr_dispatch_ptr 0
		.amdhsa_user_sgpr_queue_ptr 0
		.amdhsa_user_sgpr_kernarg_segment_ptr 1
		.amdhsa_user_sgpr_dispatch_id 0
		.amdhsa_user_sgpr_flat_scratch_init 0
		.amdhsa_user_sgpr_private_segment_size 0
		.amdhsa_uses_dynamic_stack 0
		.amdhsa_system_sgpr_private_segment_wavefront_offset 0
		.amdhsa_system_sgpr_workgroup_id_x 1
		.amdhsa_system_sgpr_workgroup_id_y 0
		.amdhsa_system_sgpr_workgroup_id_z 0
		.amdhsa_system_sgpr_workgroup_info 0
		.amdhsa_system_vgpr_workitem_id 0
		.amdhsa_next_free_vgpr 1
		.amdhsa_next_free_sgpr 0
		.amdhsa_reserve_vcc 0
		.amdhsa_reserve_flat_scratch 0
		.amdhsa_float_round_mode_32 0
		.amdhsa_float_round_mode_16_64 0
		.amdhsa_float_denorm_mode_32 3
		.amdhsa_float_denorm_mode_16_64 3
		.amdhsa_dx10_clamp 1
		.amdhsa_ieee_mode 1
		.amdhsa_fp16_overflow 0
		.amdhsa_exception_fp_ieee_invalid_op 0
		.amdhsa_exception_fp_denorm_src 0
		.amdhsa_exception_fp_ieee_div_zero 0
		.amdhsa_exception_fp_ieee_overflow 0
		.amdhsa_exception_fp_ieee_underflow 0
		.amdhsa_exception_fp_ieee_inexact 0
		.amdhsa_exception_int_div_zero 0
	.end_amdhsa_kernel
	.section	.text._ZN7rocprim17ROCPRIM_400000_NS6detail17trampoline_kernelINS0_13select_configILj256ELj13ELNS0_17block_load_methodE3ELS4_3ELS4_3ELNS0_20block_scan_algorithmE0ELj4294967295EEENS1_25partition_config_selectorILNS1_17partition_subalgoE4EjNS0_10empty_typeEbEEZZNS1_14partition_implILS8_4ELb0ES6_15HIP_vector_typeIjLj2EENS0_17counting_iteratorIjlEEPS9_SG_NS0_5tupleIJPjSI_NS0_16reverse_iteratorISI_EEEEENSH_IJSG_SG_SG_EEES9_SI_JZNS1_25segmented_radix_sort_implINS0_14default_configELb0EPKlPlSQ_SR_N2at6native12_GLOBAL__N_18offset_tEEE10hipError_tPvRmT1_PNSt15iterator_traitsISZ_E10value_typeET2_T3_PNS10_IS15_E10value_typeET4_jRbjT5_S1B_jjP12ihipStream_tbEUljE_ZNSN_ISO_Lb0ESQ_SR_SQ_SR_SV_EESW_SX_SY_SZ_S13_S14_S15_S18_S19_jS1A_jS1B_S1B_jjS1D_bEUljE0_EEESW_SX_SY_S15_S19_S1B_T6_T7_T9_mT8_S1D_bDpT10_ENKUlT_T0_E_clISt17integral_constantIbLb1EES1Q_IbLb0EEEEDaS1M_S1N_EUlS1M_E_NS1_11comp_targetILNS1_3genE2ELNS1_11target_archE906ELNS1_3gpuE6ELNS1_3repE0EEENS1_30default_config_static_selectorELNS0_4arch9wavefront6targetE1EEEvSZ_,"axG",@progbits,_ZN7rocprim17ROCPRIM_400000_NS6detail17trampoline_kernelINS0_13select_configILj256ELj13ELNS0_17block_load_methodE3ELS4_3ELS4_3ELNS0_20block_scan_algorithmE0ELj4294967295EEENS1_25partition_config_selectorILNS1_17partition_subalgoE4EjNS0_10empty_typeEbEEZZNS1_14partition_implILS8_4ELb0ES6_15HIP_vector_typeIjLj2EENS0_17counting_iteratorIjlEEPS9_SG_NS0_5tupleIJPjSI_NS0_16reverse_iteratorISI_EEEEENSH_IJSG_SG_SG_EEES9_SI_JZNS1_25segmented_radix_sort_implINS0_14default_configELb0EPKlPlSQ_SR_N2at6native12_GLOBAL__N_18offset_tEEE10hipError_tPvRmT1_PNSt15iterator_traitsISZ_E10value_typeET2_T3_PNS10_IS15_E10value_typeET4_jRbjT5_S1B_jjP12ihipStream_tbEUljE_ZNSN_ISO_Lb0ESQ_SR_SQ_SR_SV_EESW_SX_SY_SZ_S13_S14_S15_S18_S19_jS1A_jS1B_S1B_jjS1D_bEUljE0_EEESW_SX_SY_S15_S19_S1B_T6_T7_T9_mT8_S1D_bDpT10_ENKUlT_T0_E_clISt17integral_constantIbLb1EES1Q_IbLb0EEEEDaS1M_S1N_EUlS1M_E_NS1_11comp_targetILNS1_3genE2ELNS1_11target_archE906ELNS1_3gpuE6ELNS1_3repE0EEENS1_30default_config_static_selectorELNS0_4arch9wavefront6targetE1EEEvSZ_,comdat
.Lfunc_end763:
	.size	_ZN7rocprim17ROCPRIM_400000_NS6detail17trampoline_kernelINS0_13select_configILj256ELj13ELNS0_17block_load_methodE3ELS4_3ELS4_3ELNS0_20block_scan_algorithmE0ELj4294967295EEENS1_25partition_config_selectorILNS1_17partition_subalgoE4EjNS0_10empty_typeEbEEZZNS1_14partition_implILS8_4ELb0ES6_15HIP_vector_typeIjLj2EENS0_17counting_iteratorIjlEEPS9_SG_NS0_5tupleIJPjSI_NS0_16reverse_iteratorISI_EEEEENSH_IJSG_SG_SG_EEES9_SI_JZNS1_25segmented_radix_sort_implINS0_14default_configELb0EPKlPlSQ_SR_N2at6native12_GLOBAL__N_18offset_tEEE10hipError_tPvRmT1_PNSt15iterator_traitsISZ_E10value_typeET2_T3_PNS10_IS15_E10value_typeET4_jRbjT5_S1B_jjP12ihipStream_tbEUljE_ZNSN_ISO_Lb0ESQ_SR_SQ_SR_SV_EESW_SX_SY_SZ_S13_S14_S15_S18_S19_jS1A_jS1B_S1B_jjS1D_bEUljE0_EEESW_SX_SY_S15_S19_S1B_T6_T7_T9_mT8_S1D_bDpT10_ENKUlT_T0_E_clISt17integral_constantIbLb1EES1Q_IbLb0EEEEDaS1M_S1N_EUlS1M_E_NS1_11comp_targetILNS1_3genE2ELNS1_11target_archE906ELNS1_3gpuE6ELNS1_3repE0EEENS1_30default_config_static_selectorELNS0_4arch9wavefront6targetE1EEEvSZ_, .Lfunc_end763-_ZN7rocprim17ROCPRIM_400000_NS6detail17trampoline_kernelINS0_13select_configILj256ELj13ELNS0_17block_load_methodE3ELS4_3ELS4_3ELNS0_20block_scan_algorithmE0ELj4294967295EEENS1_25partition_config_selectorILNS1_17partition_subalgoE4EjNS0_10empty_typeEbEEZZNS1_14partition_implILS8_4ELb0ES6_15HIP_vector_typeIjLj2EENS0_17counting_iteratorIjlEEPS9_SG_NS0_5tupleIJPjSI_NS0_16reverse_iteratorISI_EEEEENSH_IJSG_SG_SG_EEES9_SI_JZNS1_25segmented_radix_sort_implINS0_14default_configELb0EPKlPlSQ_SR_N2at6native12_GLOBAL__N_18offset_tEEE10hipError_tPvRmT1_PNSt15iterator_traitsISZ_E10value_typeET2_T3_PNS10_IS15_E10value_typeET4_jRbjT5_S1B_jjP12ihipStream_tbEUljE_ZNSN_ISO_Lb0ESQ_SR_SQ_SR_SV_EESW_SX_SY_SZ_S13_S14_S15_S18_S19_jS1A_jS1B_S1B_jjS1D_bEUljE0_EEESW_SX_SY_S15_S19_S1B_T6_T7_T9_mT8_S1D_bDpT10_ENKUlT_T0_E_clISt17integral_constantIbLb1EES1Q_IbLb0EEEEDaS1M_S1N_EUlS1M_E_NS1_11comp_targetILNS1_3genE2ELNS1_11target_archE906ELNS1_3gpuE6ELNS1_3repE0EEENS1_30default_config_static_selectorELNS0_4arch9wavefront6targetE1EEEvSZ_
                                        ; -- End function
	.set _ZN7rocprim17ROCPRIM_400000_NS6detail17trampoline_kernelINS0_13select_configILj256ELj13ELNS0_17block_load_methodE3ELS4_3ELS4_3ELNS0_20block_scan_algorithmE0ELj4294967295EEENS1_25partition_config_selectorILNS1_17partition_subalgoE4EjNS0_10empty_typeEbEEZZNS1_14partition_implILS8_4ELb0ES6_15HIP_vector_typeIjLj2EENS0_17counting_iteratorIjlEEPS9_SG_NS0_5tupleIJPjSI_NS0_16reverse_iteratorISI_EEEEENSH_IJSG_SG_SG_EEES9_SI_JZNS1_25segmented_radix_sort_implINS0_14default_configELb0EPKlPlSQ_SR_N2at6native12_GLOBAL__N_18offset_tEEE10hipError_tPvRmT1_PNSt15iterator_traitsISZ_E10value_typeET2_T3_PNS10_IS15_E10value_typeET4_jRbjT5_S1B_jjP12ihipStream_tbEUljE_ZNSN_ISO_Lb0ESQ_SR_SQ_SR_SV_EESW_SX_SY_SZ_S13_S14_S15_S18_S19_jS1A_jS1B_S1B_jjS1D_bEUljE0_EEESW_SX_SY_S15_S19_S1B_T6_T7_T9_mT8_S1D_bDpT10_ENKUlT_T0_E_clISt17integral_constantIbLb1EES1Q_IbLb0EEEEDaS1M_S1N_EUlS1M_E_NS1_11comp_targetILNS1_3genE2ELNS1_11target_archE906ELNS1_3gpuE6ELNS1_3repE0EEENS1_30default_config_static_selectorELNS0_4arch9wavefront6targetE1EEEvSZ_.num_vgpr, 0
	.set _ZN7rocprim17ROCPRIM_400000_NS6detail17trampoline_kernelINS0_13select_configILj256ELj13ELNS0_17block_load_methodE3ELS4_3ELS4_3ELNS0_20block_scan_algorithmE0ELj4294967295EEENS1_25partition_config_selectorILNS1_17partition_subalgoE4EjNS0_10empty_typeEbEEZZNS1_14partition_implILS8_4ELb0ES6_15HIP_vector_typeIjLj2EENS0_17counting_iteratorIjlEEPS9_SG_NS0_5tupleIJPjSI_NS0_16reverse_iteratorISI_EEEEENSH_IJSG_SG_SG_EEES9_SI_JZNS1_25segmented_radix_sort_implINS0_14default_configELb0EPKlPlSQ_SR_N2at6native12_GLOBAL__N_18offset_tEEE10hipError_tPvRmT1_PNSt15iterator_traitsISZ_E10value_typeET2_T3_PNS10_IS15_E10value_typeET4_jRbjT5_S1B_jjP12ihipStream_tbEUljE_ZNSN_ISO_Lb0ESQ_SR_SQ_SR_SV_EESW_SX_SY_SZ_S13_S14_S15_S18_S19_jS1A_jS1B_S1B_jjS1D_bEUljE0_EEESW_SX_SY_S15_S19_S1B_T6_T7_T9_mT8_S1D_bDpT10_ENKUlT_T0_E_clISt17integral_constantIbLb1EES1Q_IbLb0EEEEDaS1M_S1N_EUlS1M_E_NS1_11comp_targetILNS1_3genE2ELNS1_11target_archE906ELNS1_3gpuE6ELNS1_3repE0EEENS1_30default_config_static_selectorELNS0_4arch9wavefront6targetE1EEEvSZ_.num_agpr, 0
	.set _ZN7rocprim17ROCPRIM_400000_NS6detail17trampoline_kernelINS0_13select_configILj256ELj13ELNS0_17block_load_methodE3ELS4_3ELS4_3ELNS0_20block_scan_algorithmE0ELj4294967295EEENS1_25partition_config_selectorILNS1_17partition_subalgoE4EjNS0_10empty_typeEbEEZZNS1_14partition_implILS8_4ELb0ES6_15HIP_vector_typeIjLj2EENS0_17counting_iteratorIjlEEPS9_SG_NS0_5tupleIJPjSI_NS0_16reverse_iteratorISI_EEEEENSH_IJSG_SG_SG_EEES9_SI_JZNS1_25segmented_radix_sort_implINS0_14default_configELb0EPKlPlSQ_SR_N2at6native12_GLOBAL__N_18offset_tEEE10hipError_tPvRmT1_PNSt15iterator_traitsISZ_E10value_typeET2_T3_PNS10_IS15_E10value_typeET4_jRbjT5_S1B_jjP12ihipStream_tbEUljE_ZNSN_ISO_Lb0ESQ_SR_SQ_SR_SV_EESW_SX_SY_SZ_S13_S14_S15_S18_S19_jS1A_jS1B_S1B_jjS1D_bEUljE0_EEESW_SX_SY_S15_S19_S1B_T6_T7_T9_mT8_S1D_bDpT10_ENKUlT_T0_E_clISt17integral_constantIbLb1EES1Q_IbLb0EEEEDaS1M_S1N_EUlS1M_E_NS1_11comp_targetILNS1_3genE2ELNS1_11target_archE906ELNS1_3gpuE6ELNS1_3repE0EEENS1_30default_config_static_selectorELNS0_4arch9wavefront6targetE1EEEvSZ_.numbered_sgpr, 0
	.set _ZN7rocprim17ROCPRIM_400000_NS6detail17trampoline_kernelINS0_13select_configILj256ELj13ELNS0_17block_load_methodE3ELS4_3ELS4_3ELNS0_20block_scan_algorithmE0ELj4294967295EEENS1_25partition_config_selectorILNS1_17partition_subalgoE4EjNS0_10empty_typeEbEEZZNS1_14partition_implILS8_4ELb0ES6_15HIP_vector_typeIjLj2EENS0_17counting_iteratorIjlEEPS9_SG_NS0_5tupleIJPjSI_NS0_16reverse_iteratorISI_EEEEENSH_IJSG_SG_SG_EEES9_SI_JZNS1_25segmented_radix_sort_implINS0_14default_configELb0EPKlPlSQ_SR_N2at6native12_GLOBAL__N_18offset_tEEE10hipError_tPvRmT1_PNSt15iterator_traitsISZ_E10value_typeET2_T3_PNS10_IS15_E10value_typeET4_jRbjT5_S1B_jjP12ihipStream_tbEUljE_ZNSN_ISO_Lb0ESQ_SR_SQ_SR_SV_EESW_SX_SY_SZ_S13_S14_S15_S18_S19_jS1A_jS1B_S1B_jjS1D_bEUljE0_EEESW_SX_SY_S15_S19_S1B_T6_T7_T9_mT8_S1D_bDpT10_ENKUlT_T0_E_clISt17integral_constantIbLb1EES1Q_IbLb0EEEEDaS1M_S1N_EUlS1M_E_NS1_11comp_targetILNS1_3genE2ELNS1_11target_archE906ELNS1_3gpuE6ELNS1_3repE0EEENS1_30default_config_static_selectorELNS0_4arch9wavefront6targetE1EEEvSZ_.num_named_barrier, 0
	.set _ZN7rocprim17ROCPRIM_400000_NS6detail17trampoline_kernelINS0_13select_configILj256ELj13ELNS0_17block_load_methodE3ELS4_3ELS4_3ELNS0_20block_scan_algorithmE0ELj4294967295EEENS1_25partition_config_selectorILNS1_17partition_subalgoE4EjNS0_10empty_typeEbEEZZNS1_14partition_implILS8_4ELb0ES6_15HIP_vector_typeIjLj2EENS0_17counting_iteratorIjlEEPS9_SG_NS0_5tupleIJPjSI_NS0_16reverse_iteratorISI_EEEEENSH_IJSG_SG_SG_EEES9_SI_JZNS1_25segmented_radix_sort_implINS0_14default_configELb0EPKlPlSQ_SR_N2at6native12_GLOBAL__N_18offset_tEEE10hipError_tPvRmT1_PNSt15iterator_traitsISZ_E10value_typeET2_T3_PNS10_IS15_E10value_typeET4_jRbjT5_S1B_jjP12ihipStream_tbEUljE_ZNSN_ISO_Lb0ESQ_SR_SQ_SR_SV_EESW_SX_SY_SZ_S13_S14_S15_S18_S19_jS1A_jS1B_S1B_jjS1D_bEUljE0_EEESW_SX_SY_S15_S19_S1B_T6_T7_T9_mT8_S1D_bDpT10_ENKUlT_T0_E_clISt17integral_constantIbLb1EES1Q_IbLb0EEEEDaS1M_S1N_EUlS1M_E_NS1_11comp_targetILNS1_3genE2ELNS1_11target_archE906ELNS1_3gpuE6ELNS1_3repE0EEENS1_30default_config_static_selectorELNS0_4arch9wavefront6targetE1EEEvSZ_.private_seg_size, 0
	.set _ZN7rocprim17ROCPRIM_400000_NS6detail17trampoline_kernelINS0_13select_configILj256ELj13ELNS0_17block_load_methodE3ELS4_3ELS4_3ELNS0_20block_scan_algorithmE0ELj4294967295EEENS1_25partition_config_selectorILNS1_17partition_subalgoE4EjNS0_10empty_typeEbEEZZNS1_14partition_implILS8_4ELb0ES6_15HIP_vector_typeIjLj2EENS0_17counting_iteratorIjlEEPS9_SG_NS0_5tupleIJPjSI_NS0_16reverse_iteratorISI_EEEEENSH_IJSG_SG_SG_EEES9_SI_JZNS1_25segmented_radix_sort_implINS0_14default_configELb0EPKlPlSQ_SR_N2at6native12_GLOBAL__N_18offset_tEEE10hipError_tPvRmT1_PNSt15iterator_traitsISZ_E10value_typeET2_T3_PNS10_IS15_E10value_typeET4_jRbjT5_S1B_jjP12ihipStream_tbEUljE_ZNSN_ISO_Lb0ESQ_SR_SQ_SR_SV_EESW_SX_SY_SZ_S13_S14_S15_S18_S19_jS1A_jS1B_S1B_jjS1D_bEUljE0_EEESW_SX_SY_S15_S19_S1B_T6_T7_T9_mT8_S1D_bDpT10_ENKUlT_T0_E_clISt17integral_constantIbLb1EES1Q_IbLb0EEEEDaS1M_S1N_EUlS1M_E_NS1_11comp_targetILNS1_3genE2ELNS1_11target_archE906ELNS1_3gpuE6ELNS1_3repE0EEENS1_30default_config_static_selectorELNS0_4arch9wavefront6targetE1EEEvSZ_.uses_vcc, 0
	.set _ZN7rocprim17ROCPRIM_400000_NS6detail17trampoline_kernelINS0_13select_configILj256ELj13ELNS0_17block_load_methodE3ELS4_3ELS4_3ELNS0_20block_scan_algorithmE0ELj4294967295EEENS1_25partition_config_selectorILNS1_17partition_subalgoE4EjNS0_10empty_typeEbEEZZNS1_14partition_implILS8_4ELb0ES6_15HIP_vector_typeIjLj2EENS0_17counting_iteratorIjlEEPS9_SG_NS0_5tupleIJPjSI_NS0_16reverse_iteratorISI_EEEEENSH_IJSG_SG_SG_EEES9_SI_JZNS1_25segmented_radix_sort_implINS0_14default_configELb0EPKlPlSQ_SR_N2at6native12_GLOBAL__N_18offset_tEEE10hipError_tPvRmT1_PNSt15iterator_traitsISZ_E10value_typeET2_T3_PNS10_IS15_E10value_typeET4_jRbjT5_S1B_jjP12ihipStream_tbEUljE_ZNSN_ISO_Lb0ESQ_SR_SQ_SR_SV_EESW_SX_SY_SZ_S13_S14_S15_S18_S19_jS1A_jS1B_S1B_jjS1D_bEUljE0_EEESW_SX_SY_S15_S19_S1B_T6_T7_T9_mT8_S1D_bDpT10_ENKUlT_T0_E_clISt17integral_constantIbLb1EES1Q_IbLb0EEEEDaS1M_S1N_EUlS1M_E_NS1_11comp_targetILNS1_3genE2ELNS1_11target_archE906ELNS1_3gpuE6ELNS1_3repE0EEENS1_30default_config_static_selectorELNS0_4arch9wavefront6targetE1EEEvSZ_.uses_flat_scratch, 0
	.set _ZN7rocprim17ROCPRIM_400000_NS6detail17trampoline_kernelINS0_13select_configILj256ELj13ELNS0_17block_load_methodE3ELS4_3ELS4_3ELNS0_20block_scan_algorithmE0ELj4294967295EEENS1_25partition_config_selectorILNS1_17partition_subalgoE4EjNS0_10empty_typeEbEEZZNS1_14partition_implILS8_4ELb0ES6_15HIP_vector_typeIjLj2EENS0_17counting_iteratorIjlEEPS9_SG_NS0_5tupleIJPjSI_NS0_16reverse_iteratorISI_EEEEENSH_IJSG_SG_SG_EEES9_SI_JZNS1_25segmented_radix_sort_implINS0_14default_configELb0EPKlPlSQ_SR_N2at6native12_GLOBAL__N_18offset_tEEE10hipError_tPvRmT1_PNSt15iterator_traitsISZ_E10value_typeET2_T3_PNS10_IS15_E10value_typeET4_jRbjT5_S1B_jjP12ihipStream_tbEUljE_ZNSN_ISO_Lb0ESQ_SR_SQ_SR_SV_EESW_SX_SY_SZ_S13_S14_S15_S18_S19_jS1A_jS1B_S1B_jjS1D_bEUljE0_EEESW_SX_SY_S15_S19_S1B_T6_T7_T9_mT8_S1D_bDpT10_ENKUlT_T0_E_clISt17integral_constantIbLb1EES1Q_IbLb0EEEEDaS1M_S1N_EUlS1M_E_NS1_11comp_targetILNS1_3genE2ELNS1_11target_archE906ELNS1_3gpuE6ELNS1_3repE0EEENS1_30default_config_static_selectorELNS0_4arch9wavefront6targetE1EEEvSZ_.has_dyn_sized_stack, 0
	.set _ZN7rocprim17ROCPRIM_400000_NS6detail17trampoline_kernelINS0_13select_configILj256ELj13ELNS0_17block_load_methodE3ELS4_3ELS4_3ELNS0_20block_scan_algorithmE0ELj4294967295EEENS1_25partition_config_selectorILNS1_17partition_subalgoE4EjNS0_10empty_typeEbEEZZNS1_14partition_implILS8_4ELb0ES6_15HIP_vector_typeIjLj2EENS0_17counting_iteratorIjlEEPS9_SG_NS0_5tupleIJPjSI_NS0_16reverse_iteratorISI_EEEEENSH_IJSG_SG_SG_EEES9_SI_JZNS1_25segmented_radix_sort_implINS0_14default_configELb0EPKlPlSQ_SR_N2at6native12_GLOBAL__N_18offset_tEEE10hipError_tPvRmT1_PNSt15iterator_traitsISZ_E10value_typeET2_T3_PNS10_IS15_E10value_typeET4_jRbjT5_S1B_jjP12ihipStream_tbEUljE_ZNSN_ISO_Lb0ESQ_SR_SQ_SR_SV_EESW_SX_SY_SZ_S13_S14_S15_S18_S19_jS1A_jS1B_S1B_jjS1D_bEUljE0_EEESW_SX_SY_S15_S19_S1B_T6_T7_T9_mT8_S1D_bDpT10_ENKUlT_T0_E_clISt17integral_constantIbLb1EES1Q_IbLb0EEEEDaS1M_S1N_EUlS1M_E_NS1_11comp_targetILNS1_3genE2ELNS1_11target_archE906ELNS1_3gpuE6ELNS1_3repE0EEENS1_30default_config_static_selectorELNS0_4arch9wavefront6targetE1EEEvSZ_.has_recursion, 0
	.set _ZN7rocprim17ROCPRIM_400000_NS6detail17trampoline_kernelINS0_13select_configILj256ELj13ELNS0_17block_load_methodE3ELS4_3ELS4_3ELNS0_20block_scan_algorithmE0ELj4294967295EEENS1_25partition_config_selectorILNS1_17partition_subalgoE4EjNS0_10empty_typeEbEEZZNS1_14partition_implILS8_4ELb0ES6_15HIP_vector_typeIjLj2EENS0_17counting_iteratorIjlEEPS9_SG_NS0_5tupleIJPjSI_NS0_16reverse_iteratorISI_EEEEENSH_IJSG_SG_SG_EEES9_SI_JZNS1_25segmented_radix_sort_implINS0_14default_configELb0EPKlPlSQ_SR_N2at6native12_GLOBAL__N_18offset_tEEE10hipError_tPvRmT1_PNSt15iterator_traitsISZ_E10value_typeET2_T3_PNS10_IS15_E10value_typeET4_jRbjT5_S1B_jjP12ihipStream_tbEUljE_ZNSN_ISO_Lb0ESQ_SR_SQ_SR_SV_EESW_SX_SY_SZ_S13_S14_S15_S18_S19_jS1A_jS1B_S1B_jjS1D_bEUljE0_EEESW_SX_SY_S15_S19_S1B_T6_T7_T9_mT8_S1D_bDpT10_ENKUlT_T0_E_clISt17integral_constantIbLb1EES1Q_IbLb0EEEEDaS1M_S1N_EUlS1M_E_NS1_11comp_targetILNS1_3genE2ELNS1_11target_archE906ELNS1_3gpuE6ELNS1_3repE0EEENS1_30default_config_static_selectorELNS0_4arch9wavefront6targetE1EEEvSZ_.has_indirect_call, 0
	.section	.AMDGPU.csdata,"",@progbits
; Kernel info:
; codeLenInByte = 4
; TotalNumSgprs: 4
; NumVgprs: 0
; ScratchSize: 0
; MemoryBound: 0
; FloatMode: 240
; IeeeMode: 1
; LDSByteSize: 0 bytes/workgroup (compile time only)
; SGPRBlocks: 0
; VGPRBlocks: 0
; NumSGPRsForWavesPerEU: 4
; NumVGPRsForWavesPerEU: 1
; Occupancy: 10
; WaveLimiterHint : 0
; COMPUTE_PGM_RSRC2:SCRATCH_EN: 0
; COMPUTE_PGM_RSRC2:USER_SGPR: 6
; COMPUTE_PGM_RSRC2:TRAP_HANDLER: 0
; COMPUTE_PGM_RSRC2:TGID_X_EN: 1
; COMPUTE_PGM_RSRC2:TGID_Y_EN: 0
; COMPUTE_PGM_RSRC2:TGID_Z_EN: 0
; COMPUTE_PGM_RSRC2:TIDIG_COMP_CNT: 0
	.section	.text._ZN7rocprim17ROCPRIM_400000_NS6detail17trampoline_kernelINS0_13select_configILj256ELj13ELNS0_17block_load_methodE3ELS4_3ELS4_3ELNS0_20block_scan_algorithmE0ELj4294967295EEENS1_25partition_config_selectorILNS1_17partition_subalgoE4EjNS0_10empty_typeEbEEZZNS1_14partition_implILS8_4ELb0ES6_15HIP_vector_typeIjLj2EENS0_17counting_iteratorIjlEEPS9_SG_NS0_5tupleIJPjSI_NS0_16reverse_iteratorISI_EEEEENSH_IJSG_SG_SG_EEES9_SI_JZNS1_25segmented_radix_sort_implINS0_14default_configELb0EPKlPlSQ_SR_N2at6native12_GLOBAL__N_18offset_tEEE10hipError_tPvRmT1_PNSt15iterator_traitsISZ_E10value_typeET2_T3_PNS10_IS15_E10value_typeET4_jRbjT5_S1B_jjP12ihipStream_tbEUljE_ZNSN_ISO_Lb0ESQ_SR_SQ_SR_SV_EESW_SX_SY_SZ_S13_S14_S15_S18_S19_jS1A_jS1B_S1B_jjS1D_bEUljE0_EEESW_SX_SY_S15_S19_S1B_T6_T7_T9_mT8_S1D_bDpT10_ENKUlT_T0_E_clISt17integral_constantIbLb1EES1Q_IbLb0EEEEDaS1M_S1N_EUlS1M_E_NS1_11comp_targetILNS1_3genE10ELNS1_11target_archE1200ELNS1_3gpuE4ELNS1_3repE0EEENS1_30default_config_static_selectorELNS0_4arch9wavefront6targetE1EEEvSZ_,"axG",@progbits,_ZN7rocprim17ROCPRIM_400000_NS6detail17trampoline_kernelINS0_13select_configILj256ELj13ELNS0_17block_load_methodE3ELS4_3ELS4_3ELNS0_20block_scan_algorithmE0ELj4294967295EEENS1_25partition_config_selectorILNS1_17partition_subalgoE4EjNS0_10empty_typeEbEEZZNS1_14partition_implILS8_4ELb0ES6_15HIP_vector_typeIjLj2EENS0_17counting_iteratorIjlEEPS9_SG_NS0_5tupleIJPjSI_NS0_16reverse_iteratorISI_EEEEENSH_IJSG_SG_SG_EEES9_SI_JZNS1_25segmented_radix_sort_implINS0_14default_configELb0EPKlPlSQ_SR_N2at6native12_GLOBAL__N_18offset_tEEE10hipError_tPvRmT1_PNSt15iterator_traitsISZ_E10value_typeET2_T3_PNS10_IS15_E10value_typeET4_jRbjT5_S1B_jjP12ihipStream_tbEUljE_ZNSN_ISO_Lb0ESQ_SR_SQ_SR_SV_EESW_SX_SY_SZ_S13_S14_S15_S18_S19_jS1A_jS1B_S1B_jjS1D_bEUljE0_EEESW_SX_SY_S15_S19_S1B_T6_T7_T9_mT8_S1D_bDpT10_ENKUlT_T0_E_clISt17integral_constantIbLb1EES1Q_IbLb0EEEEDaS1M_S1N_EUlS1M_E_NS1_11comp_targetILNS1_3genE10ELNS1_11target_archE1200ELNS1_3gpuE4ELNS1_3repE0EEENS1_30default_config_static_selectorELNS0_4arch9wavefront6targetE1EEEvSZ_,comdat
	.globl	_ZN7rocprim17ROCPRIM_400000_NS6detail17trampoline_kernelINS0_13select_configILj256ELj13ELNS0_17block_load_methodE3ELS4_3ELS4_3ELNS0_20block_scan_algorithmE0ELj4294967295EEENS1_25partition_config_selectorILNS1_17partition_subalgoE4EjNS0_10empty_typeEbEEZZNS1_14partition_implILS8_4ELb0ES6_15HIP_vector_typeIjLj2EENS0_17counting_iteratorIjlEEPS9_SG_NS0_5tupleIJPjSI_NS0_16reverse_iteratorISI_EEEEENSH_IJSG_SG_SG_EEES9_SI_JZNS1_25segmented_radix_sort_implINS0_14default_configELb0EPKlPlSQ_SR_N2at6native12_GLOBAL__N_18offset_tEEE10hipError_tPvRmT1_PNSt15iterator_traitsISZ_E10value_typeET2_T3_PNS10_IS15_E10value_typeET4_jRbjT5_S1B_jjP12ihipStream_tbEUljE_ZNSN_ISO_Lb0ESQ_SR_SQ_SR_SV_EESW_SX_SY_SZ_S13_S14_S15_S18_S19_jS1A_jS1B_S1B_jjS1D_bEUljE0_EEESW_SX_SY_S15_S19_S1B_T6_T7_T9_mT8_S1D_bDpT10_ENKUlT_T0_E_clISt17integral_constantIbLb1EES1Q_IbLb0EEEEDaS1M_S1N_EUlS1M_E_NS1_11comp_targetILNS1_3genE10ELNS1_11target_archE1200ELNS1_3gpuE4ELNS1_3repE0EEENS1_30default_config_static_selectorELNS0_4arch9wavefront6targetE1EEEvSZ_ ; -- Begin function _ZN7rocprim17ROCPRIM_400000_NS6detail17trampoline_kernelINS0_13select_configILj256ELj13ELNS0_17block_load_methodE3ELS4_3ELS4_3ELNS0_20block_scan_algorithmE0ELj4294967295EEENS1_25partition_config_selectorILNS1_17partition_subalgoE4EjNS0_10empty_typeEbEEZZNS1_14partition_implILS8_4ELb0ES6_15HIP_vector_typeIjLj2EENS0_17counting_iteratorIjlEEPS9_SG_NS0_5tupleIJPjSI_NS0_16reverse_iteratorISI_EEEEENSH_IJSG_SG_SG_EEES9_SI_JZNS1_25segmented_radix_sort_implINS0_14default_configELb0EPKlPlSQ_SR_N2at6native12_GLOBAL__N_18offset_tEEE10hipError_tPvRmT1_PNSt15iterator_traitsISZ_E10value_typeET2_T3_PNS10_IS15_E10value_typeET4_jRbjT5_S1B_jjP12ihipStream_tbEUljE_ZNSN_ISO_Lb0ESQ_SR_SQ_SR_SV_EESW_SX_SY_SZ_S13_S14_S15_S18_S19_jS1A_jS1B_S1B_jjS1D_bEUljE0_EEESW_SX_SY_S15_S19_S1B_T6_T7_T9_mT8_S1D_bDpT10_ENKUlT_T0_E_clISt17integral_constantIbLb1EES1Q_IbLb0EEEEDaS1M_S1N_EUlS1M_E_NS1_11comp_targetILNS1_3genE10ELNS1_11target_archE1200ELNS1_3gpuE4ELNS1_3repE0EEENS1_30default_config_static_selectorELNS0_4arch9wavefront6targetE1EEEvSZ_
	.p2align	8
	.type	_ZN7rocprim17ROCPRIM_400000_NS6detail17trampoline_kernelINS0_13select_configILj256ELj13ELNS0_17block_load_methodE3ELS4_3ELS4_3ELNS0_20block_scan_algorithmE0ELj4294967295EEENS1_25partition_config_selectorILNS1_17partition_subalgoE4EjNS0_10empty_typeEbEEZZNS1_14partition_implILS8_4ELb0ES6_15HIP_vector_typeIjLj2EENS0_17counting_iteratorIjlEEPS9_SG_NS0_5tupleIJPjSI_NS0_16reverse_iteratorISI_EEEEENSH_IJSG_SG_SG_EEES9_SI_JZNS1_25segmented_radix_sort_implINS0_14default_configELb0EPKlPlSQ_SR_N2at6native12_GLOBAL__N_18offset_tEEE10hipError_tPvRmT1_PNSt15iterator_traitsISZ_E10value_typeET2_T3_PNS10_IS15_E10value_typeET4_jRbjT5_S1B_jjP12ihipStream_tbEUljE_ZNSN_ISO_Lb0ESQ_SR_SQ_SR_SV_EESW_SX_SY_SZ_S13_S14_S15_S18_S19_jS1A_jS1B_S1B_jjS1D_bEUljE0_EEESW_SX_SY_S15_S19_S1B_T6_T7_T9_mT8_S1D_bDpT10_ENKUlT_T0_E_clISt17integral_constantIbLb1EES1Q_IbLb0EEEEDaS1M_S1N_EUlS1M_E_NS1_11comp_targetILNS1_3genE10ELNS1_11target_archE1200ELNS1_3gpuE4ELNS1_3repE0EEENS1_30default_config_static_selectorELNS0_4arch9wavefront6targetE1EEEvSZ_,@function
_ZN7rocprim17ROCPRIM_400000_NS6detail17trampoline_kernelINS0_13select_configILj256ELj13ELNS0_17block_load_methodE3ELS4_3ELS4_3ELNS0_20block_scan_algorithmE0ELj4294967295EEENS1_25partition_config_selectorILNS1_17partition_subalgoE4EjNS0_10empty_typeEbEEZZNS1_14partition_implILS8_4ELb0ES6_15HIP_vector_typeIjLj2EENS0_17counting_iteratorIjlEEPS9_SG_NS0_5tupleIJPjSI_NS0_16reverse_iteratorISI_EEEEENSH_IJSG_SG_SG_EEES9_SI_JZNS1_25segmented_radix_sort_implINS0_14default_configELb0EPKlPlSQ_SR_N2at6native12_GLOBAL__N_18offset_tEEE10hipError_tPvRmT1_PNSt15iterator_traitsISZ_E10value_typeET2_T3_PNS10_IS15_E10value_typeET4_jRbjT5_S1B_jjP12ihipStream_tbEUljE_ZNSN_ISO_Lb0ESQ_SR_SQ_SR_SV_EESW_SX_SY_SZ_S13_S14_S15_S18_S19_jS1A_jS1B_S1B_jjS1D_bEUljE0_EEESW_SX_SY_S15_S19_S1B_T6_T7_T9_mT8_S1D_bDpT10_ENKUlT_T0_E_clISt17integral_constantIbLb1EES1Q_IbLb0EEEEDaS1M_S1N_EUlS1M_E_NS1_11comp_targetILNS1_3genE10ELNS1_11target_archE1200ELNS1_3gpuE4ELNS1_3repE0EEENS1_30default_config_static_selectorELNS0_4arch9wavefront6targetE1EEEvSZ_: ; @_ZN7rocprim17ROCPRIM_400000_NS6detail17trampoline_kernelINS0_13select_configILj256ELj13ELNS0_17block_load_methodE3ELS4_3ELS4_3ELNS0_20block_scan_algorithmE0ELj4294967295EEENS1_25partition_config_selectorILNS1_17partition_subalgoE4EjNS0_10empty_typeEbEEZZNS1_14partition_implILS8_4ELb0ES6_15HIP_vector_typeIjLj2EENS0_17counting_iteratorIjlEEPS9_SG_NS0_5tupleIJPjSI_NS0_16reverse_iteratorISI_EEEEENSH_IJSG_SG_SG_EEES9_SI_JZNS1_25segmented_radix_sort_implINS0_14default_configELb0EPKlPlSQ_SR_N2at6native12_GLOBAL__N_18offset_tEEE10hipError_tPvRmT1_PNSt15iterator_traitsISZ_E10value_typeET2_T3_PNS10_IS15_E10value_typeET4_jRbjT5_S1B_jjP12ihipStream_tbEUljE_ZNSN_ISO_Lb0ESQ_SR_SQ_SR_SV_EESW_SX_SY_SZ_S13_S14_S15_S18_S19_jS1A_jS1B_S1B_jjS1D_bEUljE0_EEESW_SX_SY_S15_S19_S1B_T6_T7_T9_mT8_S1D_bDpT10_ENKUlT_T0_E_clISt17integral_constantIbLb1EES1Q_IbLb0EEEEDaS1M_S1N_EUlS1M_E_NS1_11comp_targetILNS1_3genE10ELNS1_11target_archE1200ELNS1_3gpuE4ELNS1_3repE0EEENS1_30default_config_static_selectorELNS0_4arch9wavefront6targetE1EEEvSZ_
; %bb.0:
	.section	.rodata,"a",@progbits
	.p2align	6, 0x0
	.amdhsa_kernel _ZN7rocprim17ROCPRIM_400000_NS6detail17trampoline_kernelINS0_13select_configILj256ELj13ELNS0_17block_load_methodE3ELS4_3ELS4_3ELNS0_20block_scan_algorithmE0ELj4294967295EEENS1_25partition_config_selectorILNS1_17partition_subalgoE4EjNS0_10empty_typeEbEEZZNS1_14partition_implILS8_4ELb0ES6_15HIP_vector_typeIjLj2EENS0_17counting_iteratorIjlEEPS9_SG_NS0_5tupleIJPjSI_NS0_16reverse_iteratorISI_EEEEENSH_IJSG_SG_SG_EEES9_SI_JZNS1_25segmented_radix_sort_implINS0_14default_configELb0EPKlPlSQ_SR_N2at6native12_GLOBAL__N_18offset_tEEE10hipError_tPvRmT1_PNSt15iterator_traitsISZ_E10value_typeET2_T3_PNS10_IS15_E10value_typeET4_jRbjT5_S1B_jjP12ihipStream_tbEUljE_ZNSN_ISO_Lb0ESQ_SR_SQ_SR_SV_EESW_SX_SY_SZ_S13_S14_S15_S18_S19_jS1A_jS1B_S1B_jjS1D_bEUljE0_EEESW_SX_SY_S15_S19_S1B_T6_T7_T9_mT8_S1D_bDpT10_ENKUlT_T0_E_clISt17integral_constantIbLb1EES1Q_IbLb0EEEEDaS1M_S1N_EUlS1M_E_NS1_11comp_targetILNS1_3genE10ELNS1_11target_archE1200ELNS1_3gpuE4ELNS1_3repE0EEENS1_30default_config_static_selectorELNS0_4arch9wavefront6targetE1EEEvSZ_
		.amdhsa_group_segment_fixed_size 0
		.amdhsa_private_segment_fixed_size 0
		.amdhsa_kernarg_size 176
		.amdhsa_user_sgpr_count 6
		.amdhsa_user_sgpr_private_segment_buffer 1
		.amdhsa_user_sgpr_dispatch_ptr 0
		.amdhsa_user_sgpr_queue_ptr 0
		.amdhsa_user_sgpr_kernarg_segment_ptr 1
		.amdhsa_user_sgpr_dispatch_id 0
		.amdhsa_user_sgpr_flat_scratch_init 0
		.amdhsa_user_sgpr_private_segment_size 0
		.amdhsa_uses_dynamic_stack 0
		.amdhsa_system_sgpr_private_segment_wavefront_offset 0
		.amdhsa_system_sgpr_workgroup_id_x 1
		.amdhsa_system_sgpr_workgroup_id_y 0
		.amdhsa_system_sgpr_workgroup_id_z 0
		.amdhsa_system_sgpr_workgroup_info 0
		.amdhsa_system_vgpr_workitem_id 0
		.amdhsa_next_free_vgpr 1
		.amdhsa_next_free_sgpr 0
		.amdhsa_reserve_vcc 0
		.amdhsa_reserve_flat_scratch 0
		.amdhsa_float_round_mode_32 0
		.amdhsa_float_round_mode_16_64 0
		.amdhsa_float_denorm_mode_32 3
		.amdhsa_float_denorm_mode_16_64 3
		.amdhsa_dx10_clamp 1
		.amdhsa_ieee_mode 1
		.amdhsa_fp16_overflow 0
		.amdhsa_exception_fp_ieee_invalid_op 0
		.amdhsa_exception_fp_denorm_src 0
		.amdhsa_exception_fp_ieee_div_zero 0
		.amdhsa_exception_fp_ieee_overflow 0
		.amdhsa_exception_fp_ieee_underflow 0
		.amdhsa_exception_fp_ieee_inexact 0
		.amdhsa_exception_int_div_zero 0
	.end_amdhsa_kernel
	.section	.text._ZN7rocprim17ROCPRIM_400000_NS6detail17trampoline_kernelINS0_13select_configILj256ELj13ELNS0_17block_load_methodE3ELS4_3ELS4_3ELNS0_20block_scan_algorithmE0ELj4294967295EEENS1_25partition_config_selectorILNS1_17partition_subalgoE4EjNS0_10empty_typeEbEEZZNS1_14partition_implILS8_4ELb0ES6_15HIP_vector_typeIjLj2EENS0_17counting_iteratorIjlEEPS9_SG_NS0_5tupleIJPjSI_NS0_16reverse_iteratorISI_EEEEENSH_IJSG_SG_SG_EEES9_SI_JZNS1_25segmented_radix_sort_implINS0_14default_configELb0EPKlPlSQ_SR_N2at6native12_GLOBAL__N_18offset_tEEE10hipError_tPvRmT1_PNSt15iterator_traitsISZ_E10value_typeET2_T3_PNS10_IS15_E10value_typeET4_jRbjT5_S1B_jjP12ihipStream_tbEUljE_ZNSN_ISO_Lb0ESQ_SR_SQ_SR_SV_EESW_SX_SY_SZ_S13_S14_S15_S18_S19_jS1A_jS1B_S1B_jjS1D_bEUljE0_EEESW_SX_SY_S15_S19_S1B_T6_T7_T9_mT8_S1D_bDpT10_ENKUlT_T0_E_clISt17integral_constantIbLb1EES1Q_IbLb0EEEEDaS1M_S1N_EUlS1M_E_NS1_11comp_targetILNS1_3genE10ELNS1_11target_archE1200ELNS1_3gpuE4ELNS1_3repE0EEENS1_30default_config_static_selectorELNS0_4arch9wavefront6targetE1EEEvSZ_,"axG",@progbits,_ZN7rocprim17ROCPRIM_400000_NS6detail17trampoline_kernelINS0_13select_configILj256ELj13ELNS0_17block_load_methodE3ELS4_3ELS4_3ELNS0_20block_scan_algorithmE0ELj4294967295EEENS1_25partition_config_selectorILNS1_17partition_subalgoE4EjNS0_10empty_typeEbEEZZNS1_14partition_implILS8_4ELb0ES6_15HIP_vector_typeIjLj2EENS0_17counting_iteratorIjlEEPS9_SG_NS0_5tupleIJPjSI_NS0_16reverse_iteratorISI_EEEEENSH_IJSG_SG_SG_EEES9_SI_JZNS1_25segmented_radix_sort_implINS0_14default_configELb0EPKlPlSQ_SR_N2at6native12_GLOBAL__N_18offset_tEEE10hipError_tPvRmT1_PNSt15iterator_traitsISZ_E10value_typeET2_T3_PNS10_IS15_E10value_typeET4_jRbjT5_S1B_jjP12ihipStream_tbEUljE_ZNSN_ISO_Lb0ESQ_SR_SQ_SR_SV_EESW_SX_SY_SZ_S13_S14_S15_S18_S19_jS1A_jS1B_S1B_jjS1D_bEUljE0_EEESW_SX_SY_S15_S19_S1B_T6_T7_T9_mT8_S1D_bDpT10_ENKUlT_T0_E_clISt17integral_constantIbLb1EES1Q_IbLb0EEEEDaS1M_S1N_EUlS1M_E_NS1_11comp_targetILNS1_3genE10ELNS1_11target_archE1200ELNS1_3gpuE4ELNS1_3repE0EEENS1_30default_config_static_selectorELNS0_4arch9wavefront6targetE1EEEvSZ_,comdat
.Lfunc_end764:
	.size	_ZN7rocprim17ROCPRIM_400000_NS6detail17trampoline_kernelINS0_13select_configILj256ELj13ELNS0_17block_load_methodE3ELS4_3ELS4_3ELNS0_20block_scan_algorithmE0ELj4294967295EEENS1_25partition_config_selectorILNS1_17partition_subalgoE4EjNS0_10empty_typeEbEEZZNS1_14partition_implILS8_4ELb0ES6_15HIP_vector_typeIjLj2EENS0_17counting_iteratorIjlEEPS9_SG_NS0_5tupleIJPjSI_NS0_16reverse_iteratorISI_EEEEENSH_IJSG_SG_SG_EEES9_SI_JZNS1_25segmented_radix_sort_implINS0_14default_configELb0EPKlPlSQ_SR_N2at6native12_GLOBAL__N_18offset_tEEE10hipError_tPvRmT1_PNSt15iterator_traitsISZ_E10value_typeET2_T3_PNS10_IS15_E10value_typeET4_jRbjT5_S1B_jjP12ihipStream_tbEUljE_ZNSN_ISO_Lb0ESQ_SR_SQ_SR_SV_EESW_SX_SY_SZ_S13_S14_S15_S18_S19_jS1A_jS1B_S1B_jjS1D_bEUljE0_EEESW_SX_SY_S15_S19_S1B_T6_T7_T9_mT8_S1D_bDpT10_ENKUlT_T0_E_clISt17integral_constantIbLb1EES1Q_IbLb0EEEEDaS1M_S1N_EUlS1M_E_NS1_11comp_targetILNS1_3genE10ELNS1_11target_archE1200ELNS1_3gpuE4ELNS1_3repE0EEENS1_30default_config_static_selectorELNS0_4arch9wavefront6targetE1EEEvSZ_, .Lfunc_end764-_ZN7rocprim17ROCPRIM_400000_NS6detail17trampoline_kernelINS0_13select_configILj256ELj13ELNS0_17block_load_methodE3ELS4_3ELS4_3ELNS0_20block_scan_algorithmE0ELj4294967295EEENS1_25partition_config_selectorILNS1_17partition_subalgoE4EjNS0_10empty_typeEbEEZZNS1_14partition_implILS8_4ELb0ES6_15HIP_vector_typeIjLj2EENS0_17counting_iteratorIjlEEPS9_SG_NS0_5tupleIJPjSI_NS0_16reverse_iteratorISI_EEEEENSH_IJSG_SG_SG_EEES9_SI_JZNS1_25segmented_radix_sort_implINS0_14default_configELb0EPKlPlSQ_SR_N2at6native12_GLOBAL__N_18offset_tEEE10hipError_tPvRmT1_PNSt15iterator_traitsISZ_E10value_typeET2_T3_PNS10_IS15_E10value_typeET4_jRbjT5_S1B_jjP12ihipStream_tbEUljE_ZNSN_ISO_Lb0ESQ_SR_SQ_SR_SV_EESW_SX_SY_SZ_S13_S14_S15_S18_S19_jS1A_jS1B_S1B_jjS1D_bEUljE0_EEESW_SX_SY_S15_S19_S1B_T6_T7_T9_mT8_S1D_bDpT10_ENKUlT_T0_E_clISt17integral_constantIbLb1EES1Q_IbLb0EEEEDaS1M_S1N_EUlS1M_E_NS1_11comp_targetILNS1_3genE10ELNS1_11target_archE1200ELNS1_3gpuE4ELNS1_3repE0EEENS1_30default_config_static_selectorELNS0_4arch9wavefront6targetE1EEEvSZ_
                                        ; -- End function
	.set _ZN7rocprim17ROCPRIM_400000_NS6detail17trampoline_kernelINS0_13select_configILj256ELj13ELNS0_17block_load_methodE3ELS4_3ELS4_3ELNS0_20block_scan_algorithmE0ELj4294967295EEENS1_25partition_config_selectorILNS1_17partition_subalgoE4EjNS0_10empty_typeEbEEZZNS1_14partition_implILS8_4ELb0ES6_15HIP_vector_typeIjLj2EENS0_17counting_iteratorIjlEEPS9_SG_NS0_5tupleIJPjSI_NS0_16reverse_iteratorISI_EEEEENSH_IJSG_SG_SG_EEES9_SI_JZNS1_25segmented_radix_sort_implINS0_14default_configELb0EPKlPlSQ_SR_N2at6native12_GLOBAL__N_18offset_tEEE10hipError_tPvRmT1_PNSt15iterator_traitsISZ_E10value_typeET2_T3_PNS10_IS15_E10value_typeET4_jRbjT5_S1B_jjP12ihipStream_tbEUljE_ZNSN_ISO_Lb0ESQ_SR_SQ_SR_SV_EESW_SX_SY_SZ_S13_S14_S15_S18_S19_jS1A_jS1B_S1B_jjS1D_bEUljE0_EEESW_SX_SY_S15_S19_S1B_T6_T7_T9_mT8_S1D_bDpT10_ENKUlT_T0_E_clISt17integral_constantIbLb1EES1Q_IbLb0EEEEDaS1M_S1N_EUlS1M_E_NS1_11comp_targetILNS1_3genE10ELNS1_11target_archE1200ELNS1_3gpuE4ELNS1_3repE0EEENS1_30default_config_static_selectorELNS0_4arch9wavefront6targetE1EEEvSZ_.num_vgpr, 0
	.set _ZN7rocprim17ROCPRIM_400000_NS6detail17trampoline_kernelINS0_13select_configILj256ELj13ELNS0_17block_load_methodE3ELS4_3ELS4_3ELNS0_20block_scan_algorithmE0ELj4294967295EEENS1_25partition_config_selectorILNS1_17partition_subalgoE4EjNS0_10empty_typeEbEEZZNS1_14partition_implILS8_4ELb0ES6_15HIP_vector_typeIjLj2EENS0_17counting_iteratorIjlEEPS9_SG_NS0_5tupleIJPjSI_NS0_16reverse_iteratorISI_EEEEENSH_IJSG_SG_SG_EEES9_SI_JZNS1_25segmented_radix_sort_implINS0_14default_configELb0EPKlPlSQ_SR_N2at6native12_GLOBAL__N_18offset_tEEE10hipError_tPvRmT1_PNSt15iterator_traitsISZ_E10value_typeET2_T3_PNS10_IS15_E10value_typeET4_jRbjT5_S1B_jjP12ihipStream_tbEUljE_ZNSN_ISO_Lb0ESQ_SR_SQ_SR_SV_EESW_SX_SY_SZ_S13_S14_S15_S18_S19_jS1A_jS1B_S1B_jjS1D_bEUljE0_EEESW_SX_SY_S15_S19_S1B_T6_T7_T9_mT8_S1D_bDpT10_ENKUlT_T0_E_clISt17integral_constantIbLb1EES1Q_IbLb0EEEEDaS1M_S1N_EUlS1M_E_NS1_11comp_targetILNS1_3genE10ELNS1_11target_archE1200ELNS1_3gpuE4ELNS1_3repE0EEENS1_30default_config_static_selectorELNS0_4arch9wavefront6targetE1EEEvSZ_.num_agpr, 0
	.set _ZN7rocprim17ROCPRIM_400000_NS6detail17trampoline_kernelINS0_13select_configILj256ELj13ELNS0_17block_load_methodE3ELS4_3ELS4_3ELNS0_20block_scan_algorithmE0ELj4294967295EEENS1_25partition_config_selectorILNS1_17partition_subalgoE4EjNS0_10empty_typeEbEEZZNS1_14partition_implILS8_4ELb0ES6_15HIP_vector_typeIjLj2EENS0_17counting_iteratorIjlEEPS9_SG_NS0_5tupleIJPjSI_NS0_16reverse_iteratorISI_EEEEENSH_IJSG_SG_SG_EEES9_SI_JZNS1_25segmented_radix_sort_implINS0_14default_configELb0EPKlPlSQ_SR_N2at6native12_GLOBAL__N_18offset_tEEE10hipError_tPvRmT1_PNSt15iterator_traitsISZ_E10value_typeET2_T3_PNS10_IS15_E10value_typeET4_jRbjT5_S1B_jjP12ihipStream_tbEUljE_ZNSN_ISO_Lb0ESQ_SR_SQ_SR_SV_EESW_SX_SY_SZ_S13_S14_S15_S18_S19_jS1A_jS1B_S1B_jjS1D_bEUljE0_EEESW_SX_SY_S15_S19_S1B_T6_T7_T9_mT8_S1D_bDpT10_ENKUlT_T0_E_clISt17integral_constantIbLb1EES1Q_IbLb0EEEEDaS1M_S1N_EUlS1M_E_NS1_11comp_targetILNS1_3genE10ELNS1_11target_archE1200ELNS1_3gpuE4ELNS1_3repE0EEENS1_30default_config_static_selectorELNS0_4arch9wavefront6targetE1EEEvSZ_.numbered_sgpr, 0
	.set _ZN7rocprim17ROCPRIM_400000_NS6detail17trampoline_kernelINS0_13select_configILj256ELj13ELNS0_17block_load_methodE3ELS4_3ELS4_3ELNS0_20block_scan_algorithmE0ELj4294967295EEENS1_25partition_config_selectorILNS1_17partition_subalgoE4EjNS0_10empty_typeEbEEZZNS1_14partition_implILS8_4ELb0ES6_15HIP_vector_typeIjLj2EENS0_17counting_iteratorIjlEEPS9_SG_NS0_5tupleIJPjSI_NS0_16reverse_iteratorISI_EEEEENSH_IJSG_SG_SG_EEES9_SI_JZNS1_25segmented_radix_sort_implINS0_14default_configELb0EPKlPlSQ_SR_N2at6native12_GLOBAL__N_18offset_tEEE10hipError_tPvRmT1_PNSt15iterator_traitsISZ_E10value_typeET2_T3_PNS10_IS15_E10value_typeET4_jRbjT5_S1B_jjP12ihipStream_tbEUljE_ZNSN_ISO_Lb0ESQ_SR_SQ_SR_SV_EESW_SX_SY_SZ_S13_S14_S15_S18_S19_jS1A_jS1B_S1B_jjS1D_bEUljE0_EEESW_SX_SY_S15_S19_S1B_T6_T7_T9_mT8_S1D_bDpT10_ENKUlT_T0_E_clISt17integral_constantIbLb1EES1Q_IbLb0EEEEDaS1M_S1N_EUlS1M_E_NS1_11comp_targetILNS1_3genE10ELNS1_11target_archE1200ELNS1_3gpuE4ELNS1_3repE0EEENS1_30default_config_static_selectorELNS0_4arch9wavefront6targetE1EEEvSZ_.num_named_barrier, 0
	.set _ZN7rocprim17ROCPRIM_400000_NS6detail17trampoline_kernelINS0_13select_configILj256ELj13ELNS0_17block_load_methodE3ELS4_3ELS4_3ELNS0_20block_scan_algorithmE0ELj4294967295EEENS1_25partition_config_selectorILNS1_17partition_subalgoE4EjNS0_10empty_typeEbEEZZNS1_14partition_implILS8_4ELb0ES6_15HIP_vector_typeIjLj2EENS0_17counting_iteratorIjlEEPS9_SG_NS0_5tupleIJPjSI_NS0_16reverse_iteratorISI_EEEEENSH_IJSG_SG_SG_EEES9_SI_JZNS1_25segmented_radix_sort_implINS0_14default_configELb0EPKlPlSQ_SR_N2at6native12_GLOBAL__N_18offset_tEEE10hipError_tPvRmT1_PNSt15iterator_traitsISZ_E10value_typeET2_T3_PNS10_IS15_E10value_typeET4_jRbjT5_S1B_jjP12ihipStream_tbEUljE_ZNSN_ISO_Lb0ESQ_SR_SQ_SR_SV_EESW_SX_SY_SZ_S13_S14_S15_S18_S19_jS1A_jS1B_S1B_jjS1D_bEUljE0_EEESW_SX_SY_S15_S19_S1B_T6_T7_T9_mT8_S1D_bDpT10_ENKUlT_T0_E_clISt17integral_constantIbLb1EES1Q_IbLb0EEEEDaS1M_S1N_EUlS1M_E_NS1_11comp_targetILNS1_3genE10ELNS1_11target_archE1200ELNS1_3gpuE4ELNS1_3repE0EEENS1_30default_config_static_selectorELNS0_4arch9wavefront6targetE1EEEvSZ_.private_seg_size, 0
	.set _ZN7rocprim17ROCPRIM_400000_NS6detail17trampoline_kernelINS0_13select_configILj256ELj13ELNS0_17block_load_methodE3ELS4_3ELS4_3ELNS0_20block_scan_algorithmE0ELj4294967295EEENS1_25partition_config_selectorILNS1_17partition_subalgoE4EjNS0_10empty_typeEbEEZZNS1_14partition_implILS8_4ELb0ES6_15HIP_vector_typeIjLj2EENS0_17counting_iteratorIjlEEPS9_SG_NS0_5tupleIJPjSI_NS0_16reverse_iteratorISI_EEEEENSH_IJSG_SG_SG_EEES9_SI_JZNS1_25segmented_radix_sort_implINS0_14default_configELb0EPKlPlSQ_SR_N2at6native12_GLOBAL__N_18offset_tEEE10hipError_tPvRmT1_PNSt15iterator_traitsISZ_E10value_typeET2_T3_PNS10_IS15_E10value_typeET4_jRbjT5_S1B_jjP12ihipStream_tbEUljE_ZNSN_ISO_Lb0ESQ_SR_SQ_SR_SV_EESW_SX_SY_SZ_S13_S14_S15_S18_S19_jS1A_jS1B_S1B_jjS1D_bEUljE0_EEESW_SX_SY_S15_S19_S1B_T6_T7_T9_mT8_S1D_bDpT10_ENKUlT_T0_E_clISt17integral_constantIbLb1EES1Q_IbLb0EEEEDaS1M_S1N_EUlS1M_E_NS1_11comp_targetILNS1_3genE10ELNS1_11target_archE1200ELNS1_3gpuE4ELNS1_3repE0EEENS1_30default_config_static_selectorELNS0_4arch9wavefront6targetE1EEEvSZ_.uses_vcc, 0
	.set _ZN7rocprim17ROCPRIM_400000_NS6detail17trampoline_kernelINS0_13select_configILj256ELj13ELNS0_17block_load_methodE3ELS4_3ELS4_3ELNS0_20block_scan_algorithmE0ELj4294967295EEENS1_25partition_config_selectorILNS1_17partition_subalgoE4EjNS0_10empty_typeEbEEZZNS1_14partition_implILS8_4ELb0ES6_15HIP_vector_typeIjLj2EENS0_17counting_iteratorIjlEEPS9_SG_NS0_5tupleIJPjSI_NS0_16reverse_iteratorISI_EEEEENSH_IJSG_SG_SG_EEES9_SI_JZNS1_25segmented_radix_sort_implINS0_14default_configELb0EPKlPlSQ_SR_N2at6native12_GLOBAL__N_18offset_tEEE10hipError_tPvRmT1_PNSt15iterator_traitsISZ_E10value_typeET2_T3_PNS10_IS15_E10value_typeET4_jRbjT5_S1B_jjP12ihipStream_tbEUljE_ZNSN_ISO_Lb0ESQ_SR_SQ_SR_SV_EESW_SX_SY_SZ_S13_S14_S15_S18_S19_jS1A_jS1B_S1B_jjS1D_bEUljE0_EEESW_SX_SY_S15_S19_S1B_T6_T7_T9_mT8_S1D_bDpT10_ENKUlT_T0_E_clISt17integral_constantIbLb1EES1Q_IbLb0EEEEDaS1M_S1N_EUlS1M_E_NS1_11comp_targetILNS1_3genE10ELNS1_11target_archE1200ELNS1_3gpuE4ELNS1_3repE0EEENS1_30default_config_static_selectorELNS0_4arch9wavefront6targetE1EEEvSZ_.uses_flat_scratch, 0
	.set _ZN7rocprim17ROCPRIM_400000_NS6detail17trampoline_kernelINS0_13select_configILj256ELj13ELNS0_17block_load_methodE3ELS4_3ELS4_3ELNS0_20block_scan_algorithmE0ELj4294967295EEENS1_25partition_config_selectorILNS1_17partition_subalgoE4EjNS0_10empty_typeEbEEZZNS1_14partition_implILS8_4ELb0ES6_15HIP_vector_typeIjLj2EENS0_17counting_iteratorIjlEEPS9_SG_NS0_5tupleIJPjSI_NS0_16reverse_iteratorISI_EEEEENSH_IJSG_SG_SG_EEES9_SI_JZNS1_25segmented_radix_sort_implINS0_14default_configELb0EPKlPlSQ_SR_N2at6native12_GLOBAL__N_18offset_tEEE10hipError_tPvRmT1_PNSt15iterator_traitsISZ_E10value_typeET2_T3_PNS10_IS15_E10value_typeET4_jRbjT5_S1B_jjP12ihipStream_tbEUljE_ZNSN_ISO_Lb0ESQ_SR_SQ_SR_SV_EESW_SX_SY_SZ_S13_S14_S15_S18_S19_jS1A_jS1B_S1B_jjS1D_bEUljE0_EEESW_SX_SY_S15_S19_S1B_T6_T7_T9_mT8_S1D_bDpT10_ENKUlT_T0_E_clISt17integral_constantIbLb1EES1Q_IbLb0EEEEDaS1M_S1N_EUlS1M_E_NS1_11comp_targetILNS1_3genE10ELNS1_11target_archE1200ELNS1_3gpuE4ELNS1_3repE0EEENS1_30default_config_static_selectorELNS0_4arch9wavefront6targetE1EEEvSZ_.has_dyn_sized_stack, 0
	.set _ZN7rocprim17ROCPRIM_400000_NS6detail17trampoline_kernelINS0_13select_configILj256ELj13ELNS0_17block_load_methodE3ELS4_3ELS4_3ELNS0_20block_scan_algorithmE0ELj4294967295EEENS1_25partition_config_selectorILNS1_17partition_subalgoE4EjNS0_10empty_typeEbEEZZNS1_14partition_implILS8_4ELb0ES6_15HIP_vector_typeIjLj2EENS0_17counting_iteratorIjlEEPS9_SG_NS0_5tupleIJPjSI_NS0_16reverse_iteratorISI_EEEEENSH_IJSG_SG_SG_EEES9_SI_JZNS1_25segmented_radix_sort_implINS0_14default_configELb0EPKlPlSQ_SR_N2at6native12_GLOBAL__N_18offset_tEEE10hipError_tPvRmT1_PNSt15iterator_traitsISZ_E10value_typeET2_T3_PNS10_IS15_E10value_typeET4_jRbjT5_S1B_jjP12ihipStream_tbEUljE_ZNSN_ISO_Lb0ESQ_SR_SQ_SR_SV_EESW_SX_SY_SZ_S13_S14_S15_S18_S19_jS1A_jS1B_S1B_jjS1D_bEUljE0_EEESW_SX_SY_S15_S19_S1B_T6_T7_T9_mT8_S1D_bDpT10_ENKUlT_T0_E_clISt17integral_constantIbLb1EES1Q_IbLb0EEEEDaS1M_S1N_EUlS1M_E_NS1_11comp_targetILNS1_3genE10ELNS1_11target_archE1200ELNS1_3gpuE4ELNS1_3repE0EEENS1_30default_config_static_selectorELNS0_4arch9wavefront6targetE1EEEvSZ_.has_recursion, 0
	.set _ZN7rocprim17ROCPRIM_400000_NS6detail17trampoline_kernelINS0_13select_configILj256ELj13ELNS0_17block_load_methodE3ELS4_3ELS4_3ELNS0_20block_scan_algorithmE0ELj4294967295EEENS1_25partition_config_selectorILNS1_17partition_subalgoE4EjNS0_10empty_typeEbEEZZNS1_14partition_implILS8_4ELb0ES6_15HIP_vector_typeIjLj2EENS0_17counting_iteratorIjlEEPS9_SG_NS0_5tupleIJPjSI_NS0_16reverse_iteratorISI_EEEEENSH_IJSG_SG_SG_EEES9_SI_JZNS1_25segmented_radix_sort_implINS0_14default_configELb0EPKlPlSQ_SR_N2at6native12_GLOBAL__N_18offset_tEEE10hipError_tPvRmT1_PNSt15iterator_traitsISZ_E10value_typeET2_T3_PNS10_IS15_E10value_typeET4_jRbjT5_S1B_jjP12ihipStream_tbEUljE_ZNSN_ISO_Lb0ESQ_SR_SQ_SR_SV_EESW_SX_SY_SZ_S13_S14_S15_S18_S19_jS1A_jS1B_S1B_jjS1D_bEUljE0_EEESW_SX_SY_S15_S19_S1B_T6_T7_T9_mT8_S1D_bDpT10_ENKUlT_T0_E_clISt17integral_constantIbLb1EES1Q_IbLb0EEEEDaS1M_S1N_EUlS1M_E_NS1_11comp_targetILNS1_3genE10ELNS1_11target_archE1200ELNS1_3gpuE4ELNS1_3repE0EEENS1_30default_config_static_selectorELNS0_4arch9wavefront6targetE1EEEvSZ_.has_indirect_call, 0
	.section	.AMDGPU.csdata,"",@progbits
; Kernel info:
; codeLenInByte = 0
; TotalNumSgprs: 4
; NumVgprs: 0
; ScratchSize: 0
; MemoryBound: 0
; FloatMode: 240
; IeeeMode: 1
; LDSByteSize: 0 bytes/workgroup (compile time only)
; SGPRBlocks: 0
; VGPRBlocks: 0
; NumSGPRsForWavesPerEU: 4
; NumVGPRsForWavesPerEU: 1
; Occupancy: 10
; WaveLimiterHint : 0
; COMPUTE_PGM_RSRC2:SCRATCH_EN: 0
; COMPUTE_PGM_RSRC2:USER_SGPR: 6
; COMPUTE_PGM_RSRC2:TRAP_HANDLER: 0
; COMPUTE_PGM_RSRC2:TGID_X_EN: 1
; COMPUTE_PGM_RSRC2:TGID_Y_EN: 0
; COMPUTE_PGM_RSRC2:TGID_Z_EN: 0
; COMPUTE_PGM_RSRC2:TIDIG_COMP_CNT: 0
	.section	.text._ZN7rocprim17ROCPRIM_400000_NS6detail17trampoline_kernelINS0_13select_configILj256ELj13ELNS0_17block_load_methodE3ELS4_3ELS4_3ELNS0_20block_scan_algorithmE0ELj4294967295EEENS1_25partition_config_selectorILNS1_17partition_subalgoE4EjNS0_10empty_typeEbEEZZNS1_14partition_implILS8_4ELb0ES6_15HIP_vector_typeIjLj2EENS0_17counting_iteratorIjlEEPS9_SG_NS0_5tupleIJPjSI_NS0_16reverse_iteratorISI_EEEEENSH_IJSG_SG_SG_EEES9_SI_JZNS1_25segmented_radix_sort_implINS0_14default_configELb0EPKlPlSQ_SR_N2at6native12_GLOBAL__N_18offset_tEEE10hipError_tPvRmT1_PNSt15iterator_traitsISZ_E10value_typeET2_T3_PNS10_IS15_E10value_typeET4_jRbjT5_S1B_jjP12ihipStream_tbEUljE_ZNSN_ISO_Lb0ESQ_SR_SQ_SR_SV_EESW_SX_SY_SZ_S13_S14_S15_S18_S19_jS1A_jS1B_S1B_jjS1D_bEUljE0_EEESW_SX_SY_S15_S19_S1B_T6_T7_T9_mT8_S1D_bDpT10_ENKUlT_T0_E_clISt17integral_constantIbLb1EES1Q_IbLb0EEEEDaS1M_S1N_EUlS1M_E_NS1_11comp_targetILNS1_3genE9ELNS1_11target_archE1100ELNS1_3gpuE3ELNS1_3repE0EEENS1_30default_config_static_selectorELNS0_4arch9wavefront6targetE1EEEvSZ_,"axG",@progbits,_ZN7rocprim17ROCPRIM_400000_NS6detail17trampoline_kernelINS0_13select_configILj256ELj13ELNS0_17block_load_methodE3ELS4_3ELS4_3ELNS0_20block_scan_algorithmE0ELj4294967295EEENS1_25partition_config_selectorILNS1_17partition_subalgoE4EjNS0_10empty_typeEbEEZZNS1_14partition_implILS8_4ELb0ES6_15HIP_vector_typeIjLj2EENS0_17counting_iteratorIjlEEPS9_SG_NS0_5tupleIJPjSI_NS0_16reverse_iteratorISI_EEEEENSH_IJSG_SG_SG_EEES9_SI_JZNS1_25segmented_radix_sort_implINS0_14default_configELb0EPKlPlSQ_SR_N2at6native12_GLOBAL__N_18offset_tEEE10hipError_tPvRmT1_PNSt15iterator_traitsISZ_E10value_typeET2_T3_PNS10_IS15_E10value_typeET4_jRbjT5_S1B_jjP12ihipStream_tbEUljE_ZNSN_ISO_Lb0ESQ_SR_SQ_SR_SV_EESW_SX_SY_SZ_S13_S14_S15_S18_S19_jS1A_jS1B_S1B_jjS1D_bEUljE0_EEESW_SX_SY_S15_S19_S1B_T6_T7_T9_mT8_S1D_bDpT10_ENKUlT_T0_E_clISt17integral_constantIbLb1EES1Q_IbLb0EEEEDaS1M_S1N_EUlS1M_E_NS1_11comp_targetILNS1_3genE9ELNS1_11target_archE1100ELNS1_3gpuE3ELNS1_3repE0EEENS1_30default_config_static_selectorELNS0_4arch9wavefront6targetE1EEEvSZ_,comdat
	.globl	_ZN7rocprim17ROCPRIM_400000_NS6detail17trampoline_kernelINS0_13select_configILj256ELj13ELNS0_17block_load_methodE3ELS4_3ELS4_3ELNS0_20block_scan_algorithmE0ELj4294967295EEENS1_25partition_config_selectorILNS1_17partition_subalgoE4EjNS0_10empty_typeEbEEZZNS1_14partition_implILS8_4ELb0ES6_15HIP_vector_typeIjLj2EENS0_17counting_iteratorIjlEEPS9_SG_NS0_5tupleIJPjSI_NS0_16reverse_iteratorISI_EEEEENSH_IJSG_SG_SG_EEES9_SI_JZNS1_25segmented_radix_sort_implINS0_14default_configELb0EPKlPlSQ_SR_N2at6native12_GLOBAL__N_18offset_tEEE10hipError_tPvRmT1_PNSt15iterator_traitsISZ_E10value_typeET2_T3_PNS10_IS15_E10value_typeET4_jRbjT5_S1B_jjP12ihipStream_tbEUljE_ZNSN_ISO_Lb0ESQ_SR_SQ_SR_SV_EESW_SX_SY_SZ_S13_S14_S15_S18_S19_jS1A_jS1B_S1B_jjS1D_bEUljE0_EEESW_SX_SY_S15_S19_S1B_T6_T7_T9_mT8_S1D_bDpT10_ENKUlT_T0_E_clISt17integral_constantIbLb1EES1Q_IbLb0EEEEDaS1M_S1N_EUlS1M_E_NS1_11comp_targetILNS1_3genE9ELNS1_11target_archE1100ELNS1_3gpuE3ELNS1_3repE0EEENS1_30default_config_static_selectorELNS0_4arch9wavefront6targetE1EEEvSZ_ ; -- Begin function _ZN7rocprim17ROCPRIM_400000_NS6detail17trampoline_kernelINS0_13select_configILj256ELj13ELNS0_17block_load_methodE3ELS4_3ELS4_3ELNS0_20block_scan_algorithmE0ELj4294967295EEENS1_25partition_config_selectorILNS1_17partition_subalgoE4EjNS0_10empty_typeEbEEZZNS1_14partition_implILS8_4ELb0ES6_15HIP_vector_typeIjLj2EENS0_17counting_iteratorIjlEEPS9_SG_NS0_5tupleIJPjSI_NS0_16reverse_iteratorISI_EEEEENSH_IJSG_SG_SG_EEES9_SI_JZNS1_25segmented_radix_sort_implINS0_14default_configELb0EPKlPlSQ_SR_N2at6native12_GLOBAL__N_18offset_tEEE10hipError_tPvRmT1_PNSt15iterator_traitsISZ_E10value_typeET2_T3_PNS10_IS15_E10value_typeET4_jRbjT5_S1B_jjP12ihipStream_tbEUljE_ZNSN_ISO_Lb0ESQ_SR_SQ_SR_SV_EESW_SX_SY_SZ_S13_S14_S15_S18_S19_jS1A_jS1B_S1B_jjS1D_bEUljE0_EEESW_SX_SY_S15_S19_S1B_T6_T7_T9_mT8_S1D_bDpT10_ENKUlT_T0_E_clISt17integral_constantIbLb1EES1Q_IbLb0EEEEDaS1M_S1N_EUlS1M_E_NS1_11comp_targetILNS1_3genE9ELNS1_11target_archE1100ELNS1_3gpuE3ELNS1_3repE0EEENS1_30default_config_static_selectorELNS0_4arch9wavefront6targetE1EEEvSZ_
	.p2align	8
	.type	_ZN7rocprim17ROCPRIM_400000_NS6detail17trampoline_kernelINS0_13select_configILj256ELj13ELNS0_17block_load_methodE3ELS4_3ELS4_3ELNS0_20block_scan_algorithmE0ELj4294967295EEENS1_25partition_config_selectorILNS1_17partition_subalgoE4EjNS0_10empty_typeEbEEZZNS1_14partition_implILS8_4ELb0ES6_15HIP_vector_typeIjLj2EENS0_17counting_iteratorIjlEEPS9_SG_NS0_5tupleIJPjSI_NS0_16reverse_iteratorISI_EEEEENSH_IJSG_SG_SG_EEES9_SI_JZNS1_25segmented_radix_sort_implINS0_14default_configELb0EPKlPlSQ_SR_N2at6native12_GLOBAL__N_18offset_tEEE10hipError_tPvRmT1_PNSt15iterator_traitsISZ_E10value_typeET2_T3_PNS10_IS15_E10value_typeET4_jRbjT5_S1B_jjP12ihipStream_tbEUljE_ZNSN_ISO_Lb0ESQ_SR_SQ_SR_SV_EESW_SX_SY_SZ_S13_S14_S15_S18_S19_jS1A_jS1B_S1B_jjS1D_bEUljE0_EEESW_SX_SY_S15_S19_S1B_T6_T7_T9_mT8_S1D_bDpT10_ENKUlT_T0_E_clISt17integral_constantIbLb1EES1Q_IbLb0EEEEDaS1M_S1N_EUlS1M_E_NS1_11comp_targetILNS1_3genE9ELNS1_11target_archE1100ELNS1_3gpuE3ELNS1_3repE0EEENS1_30default_config_static_selectorELNS0_4arch9wavefront6targetE1EEEvSZ_,@function
_ZN7rocprim17ROCPRIM_400000_NS6detail17trampoline_kernelINS0_13select_configILj256ELj13ELNS0_17block_load_methodE3ELS4_3ELS4_3ELNS0_20block_scan_algorithmE0ELj4294967295EEENS1_25partition_config_selectorILNS1_17partition_subalgoE4EjNS0_10empty_typeEbEEZZNS1_14partition_implILS8_4ELb0ES6_15HIP_vector_typeIjLj2EENS0_17counting_iteratorIjlEEPS9_SG_NS0_5tupleIJPjSI_NS0_16reverse_iteratorISI_EEEEENSH_IJSG_SG_SG_EEES9_SI_JZNS1_25segmented_radix_sort_implINS0_14default_configELb0EPKlPlSQ_SR_N2at6native12_GLOBAL__N_18offset_tEEE10hipError_tPvRmT1_PNSt15iterator_traitsISZ_E10value_typeET2_T3_PNS10_IS15_E10value_typeET4_jRbjT5_S1B_jjP12ihipStream_tbEUljE_ZNSN_ISO_Lb0ESQ_SR_SQ_SR_SV_EESW_SX_SY_SZ_S13_S14_S15_S18_S19_jS1A_jS1B_S1B_jjS1D_bEUljE0_EEESW_SX_SY_S15_S19_S1B_T6_T7_T9_mT8_S1D_bDpT10_ENKUlT_T0_E_clISt17integral_constantIbLb1EES1Q_IbLb0EEEEDaS1M_S1N_EUlS1M_E_NS1_11comp_targetILNS1_3genE9ELNS1_11target_archE1100ELNS1_3gpuE3ELNS1_3repE0EEENS1_30default_config_static_selectorELNS0_4arch9wavefront6targetE1EEEvSZ_: ; @_ZN7rocprim17ROCPRIM_400000_NS6detail17trampoline_kernelINS0_13select_configILj256ELj13ELNS0_17block_load_methodE3ELS4_3ELS4_3ELNS0_20block_scan_algorithmE0ELj4294967295EEENS1_25partition_config_selectorILNS1_17partition_subalgoE4EjNS0_10empty_typeEbEEZZNS1_14partition_implILS8_4ELb0ES6_15HIP_vector_typeIjLj2EENS0_17counting_iteratorIjlEEPS9_SG_NS0_5tupleIJPjSI_NS0_16reverse_iteratorISI_EEEEENSH_IJSG_SG_SG_EEES9_SI_JZNS1_25segmented_radix_sort_implINS0_14default_configELb0EPKlPlSQ_SR_N2at6native12_GLOBAL__N_18offset_tEEE10hipError_tPvRmT1_PNSt15iterator_traitsISZ_E10value_typeET2_T3_PNS10_IS15_E10value_typeET4_jRbjT5_S1B_jjP12ihipStream_tbEUljE_ZNSN_ISO_Lb0ESQ_SR_SQ_SR_SV_EESW_SX_SY_SZ_S13_S14_S15_S18_S19_jS1A_jS1B_S1B_jjS1D_bEUljE0_EEESW_SX_SY_S15_S19_S1B_T6_T7_T9_mT8_S1D_bDpT10_ENKUlT_T0_E_clISt17integral_constantIbLb1EES1Q_IbLb0EEEEDaS1M_S1N_EUlS1M_E_NS1_11comp_targetILNS1_3genE9ELNS1_11target_archE1100ELNS1_3gpuE3ELNS1_3repE0EEENS1_30default_config_static_selectorELNS0_4arch9wavefront6targetE1EEEvSZ_
; %bb.0:
	.section	.rodata,"a",@progbits
	.p2align	6, 0x0
	.amdhsa_kernel _ZN7rocprim17ROCPRIM_400000_NS6detail17trampoline_kernelINS0_13select_configILj256ELj13ELNS0_17block_load_methodE3ELS4_3ELS4_3ELNS0_20block_scan_algorithmE0ELj4294967295EEENS1_25partition_config_selectorILNS1_17partition_subalgoE4EjNS0_10empty_typeEbEEZZNS1_14partition_implILS8_4ELb0ES6_15HIP_vector_typeIjLj2EENS0_17counting_iteratorIjlEEPS9_SG_NS0_5tupleIJPjSI_NS0_16reverse_iteratorISI_EEEEENSH_IJSG_SG_SG_EEES9_SI_JZNS1_25segmented_radix_sort_implINS0_14default_configELb0EPKlPlSQ_SR_N2at6native12_GLOBAL__N_18offset_tEEE10hipError_tPvRmT1_PNSt15iterator_traitsISZ_E10value_typeET2_T3_PNS10_IS15_E10value_typeET4_jRbjT5_S1B_jjP12ihipStream_tbEUljE_ZNSN_ISO_Lb0ESQ_SR_SQ_SR_SV_EESW_SX_SY_SZ_S13_S14_S15_S18_S19_jS1A_jS1B_S1B_jjS1D_bEUljE0_EEESW_SX_SY_S15_S19_S1B_T6_T7_T9_mT8_S1D_bDpT10_ENKUlT_T0_E_clISt17integral_constantIbLb1EES1Q_IbLb0EEEEDaS1M_S1N_EUlS1M_E_NS1_11comp_targetILNS1_3genE9ELNS1_11target_archE1100ELNS1_3gpuE3ELNS1_3repE0EEENS1_30default_config_static_selectorELNS0_4arch9wavefront6targetE1EEEvSZ_
		.amdhsa_group_segment_fixed_size 0
		.amdhsa_private_segment_fixed_size 0
		.amdhsa_kernarg_size 176
		.amdhsa_user_sgpr_count 6
		.amdhsa_user_sgpr_private_segment_buffer 1
		.amdhsa_user_sgpr_dispatch_ptr 0
		.amdhsa_user_sgpr_queue_ptr 0
		.amdhsa_user_sgpr_kernarg_segment_ptr 1
		.amdhsa_user_sgpr_dispatch_id 0
		.amdhsa_user_sgpr_flat_scratch_init 0
		.amdhsa_user_sgpr_private_segment_size 0
		.amdhsa_uses_dynamic_stack 0
		.amdhsa_system_sgpr_private_segment_wavefront_offset 0
		.amdhsa_system_sgpr_workgroup_id_x 1
		.amdhsa_system_sgpr_workgroup_id_y 0
		.amdhsa_system_sgpr_workgroup_id_z 0
		.amdhsa_system_sgpr_workgroup_info 0
		.amdhsa_system_vgpr_workitem_id 0
		.amdhsa_next_free_vgpr 1
		.amdhsa_next_free_sgpr 0
		.amdhsa_reserve_vcc 0
		.amdhsa_reserve_flat_scratch 0
		.amdhsa_float_round_mode_32 0
		.amdhsa_float_round_mode_16_64 0
		.amdhsa_float_denorm_mode_32 3
		.amdhsa_float_denorm_mode_16_64 3
		.amdhsa_dx10_clamp 1
		.amdhsa_ieee_mode 1
		.amdhsa_fp16_overflow 0
		.amdhsa_exception_fp_ieee_invalid_op 0
		.amdhsa_exception_fp_denorm_src 0
		.amdhsa_exception_fp_ieee_div_zero 0
		.amdhsa_exception_fp_ieee_overflow 0
		.amdhsa_exception_fp_ieee_underflow 0
		.amdhsa_exception_fp_ieee_inexact 0
		.amdhsa_exception_int_div_zero 0
	.end_amdhsa_kernel
	.section	.text._ZN7rocprim17ROCPRIM_400000_NS6detail17trampoline_kernelINS0_13select_configILj256ELj13ELNS0_17block_load_methodE3ELS4_3ELS4_3ELNS0_20block_scan_algorithmE0ELj4294967295EEENS1_25partition_config_selectorILNS1_17partition_subalgoE4EjNS0_10empty_typeEbEEZZNS1_14partition_implILS8_4ELb0ES6_15HIP_vector_typeIjLj2EENS0_17counting_iteratorIjlEEPS9_SG_NS0_5tupleIJPjSI_NS0_16reverse_iteratorISI_EEEEENSH_IJSG_SG_SG_EEES9_SI_JZNS1_25segmented_radix_sort_implINS0_14default_configELb0EPKlPlSQ_SR_N2at6native12_GLOBAL__N_18offset_tEEE10hipError_tPvRmT1_PNSt15iterator_traitsISZ_E10value_typeET2_T3_PNS10_IS15_E10value_typeET4_jRbjT5_S1B_jjP12ihipStream_tbEUljE_ZNSN_ISO_Lb0ESQ_SR_SQ_SR_SV_EESW_SX_SY_SZ_S13_S14_S15_S18_S19_jS1A_jS1B_S1B_jjS1D_bEUljE0_EEESW_SX_SY_S15_S19_S1B_T6_T7_T9_mT8_S1D_bDpT10_ENKUlT_T0_E_clISt17integral_constantIbLb1EES1Q_IbLb0EEEEDaS1M_S1N_EUlS1M_E_NS1_11comp_targetILNS1_3genE9ELNS1_11target_archE1100ELNS1_3gpuE3ELNS1_3repE0EEENS1_30default_config_static_selectorELNS0_4arch9wavefront6targetE1EEEvSZ_,"axG",@progbits,_ZN7rocprim17ROCPRIM_400000_NS6detail17trampoline_kernelINS0_13select_configILj256ELj13ELNS0_17block_load_methodE3ELS4_3ELS4_3ELNS0_20block_scan_algorithmE0ELj4294967295EEENS1_25partition_config_selectorILNS1_17partition_subalgoE4EjNS0_10empty_typeEbEEZZNS1_14partition_implILS8_4ELb0ES6_15HIP_vector_typeIjLj2EENS0_17counting_iteratorIjlEEPS9_SG_NS0_5tupleIJPjSI_NS0_16reverse_iteratorISI_EEEEENSH_IJSG_SG_SG_EEES9_SI_JZNS1_25segmented_radix_sort_implINS0_14default_configELb0EPKlPlSQ_SR_N2at6native12_GLOBAL__N_18offset_tEEE10hipError_tPvRmT1_PNSt15iterator_traitsISZ_E10value_typeET2_T3_PNS10_IS15_E10value_typeET4_jRbjT5_S1B_jjP12ihipStream_tbEUljE_ZNSN_ISO_Lb0ESQ_SR_SQ_SR_SV_EESW_SX_SY_SZ_S13_S14_S15_S18_S19_jS1A_jS1B_S1B_jjS1D_bEUljE0_EEESW_SX_SY_S15_S19_S1B_T6_T7_T9_mT8_S1D_bDpT10_ENKUlT_T0_E_clISt17integral_constantIbLb1EES1Q_IbLb0EEEEDaS1M_S1N_EUlS1M_E_NS1_11comp_targetILNS1_3genE9ELNS1_11target_archE1100ELNS1_3gpuE3ELNS1_3repE0EEENS1_30default_config_static_selectorELNS0_4arch9wavefront6targetE1EEEvSZ_,comdat
.Lfunc_end765:
	.size	_ZN7rocprim17ROCPRIM_400000_NS6detail17trampoline_kernelINS0_13select_configILj256ELj13ELNS0_17block_load_methodE3ELS4_3ELS4_3ELNS0_20block_scan_algorithmE0ELj4294967295EEENS1_25partition_config_selectorILNS1_17partition_subalgoE4EjNS0_10empty_typeEbEEZZNS1_14partition_implILS8_4ELb0ES6_15HIP_vector_typeIjLj2EENS0_17counting_iteratorIjlEEPS9_SG_NS0_5tupleIJPjSI_NS0_16reverse_iteratorISI_EEEEENSH_IJSG_SG_SG_EEES9_SI_JZNS1_25segmented_radix_sort_implINS0_14default_configELb0EPKlPlSQ_SR_N2at6native12_GLOBAL__N_18offset_tEEE10hipError_tPvRmT1_PNSt15iterator_traitsISZ_E10value_typeET2_T3_PNS10_IS15_E10value_typeET4_jRbjT5_S1B_jjP12ihipStream_tbEUljE_ZNSN_ISO_Lb0ESQ_SR_SQ_SR_SV_EESW_SX_SY_SZ_S13_S14_S15_S18_S19_jS1A_jS1B_S1B_jjS1D_bEUljE0_EEESW_SX_SY_S15_S19_S1B_T6_T7_T9_mT8_S1D_bDpT10_ENKUlT_T0_E_clISt17integral_constantIbLb1EES1Q_IbLb0EEEEDaS1M_S1N_EUlS1M_E_NS1_11comp_targetILNS1_3genE9ELNS1_11target_archE1100ELNS1_3gpuE3ELNS1_3repE0EEENS1_30default_config_static_selectorELNS0_4arch9wavefront6targetE1EEEvSZ_, .Lfunc_end765-_ZN7rocprim17ROCPRIM_400000_NS6detail17trampoline_kernelINS0_13select_configILj256ELj13ELNS0_17block_load_methodE3ELS4_3ELS4_3ELNS0_20block_scan_algorithmE0ELj4294967295EEENS1_25partition_config_selectorILNS1_17partition_subalgoE4EjNS0_10empty_typeEbEEZZNS1_14partition_implILS8_4ELb0ES6_15HIP_vector_typeIjLj2EENS0_17counting_iteratorIjlEEPS9_SG_NS0_5tupleIJPjSI_NS0_16reverse_iteratorISI_EEEEENSH_IJSG_SG_SG_EEES9_SI_JZNS1_25segmented_radix_sort_implINS0_14default_configELb0EPKlPlSQ_SR_N2at6native12_GLOBAL__N_18offset_tEEE10hipError_tPvRmT1_PNSt15iterator_traitsISZ_E10value_typeET2_T3_PNS10_IS15_E10value_typeET4_jRbjT5_S1B_jjP12ihipStream_tbEUljE_ZNSN_ISO_Lb0ESQ_SR_SQ_SR_SV_EESW_SX_SY_SZ_S13_S14_S15_S18_S19_jS1A_jS1B_S1B_jjS1D_bEUljE0_EEESW_SX_SY_S15_S19_S1B_T6_T7_T9_mT8_S1D_bDpT10_ENKUlT_T0_E_clISt17integral_constantIbLb1EES1Q_IbLb0EEEEDaS1M_S1N_EUlS1M_E_NS1_11comp_targetILNS1_3genE9ELNS1_11target_archE1100ELNS1_3gpuE3ELNS1_3repE0EEENS1_30default_config_static_selectorELNS0_4arch9wavefront6targetE1EEEvSZ_
                                        ; -- End function
	.set _ZN7rocprim17ROCPRIM_400000_NS6detail17trampoline_kernelINS0_13select_configILj256ELj13ELNS0_17block_load_methodE3ELS4_3ELS4_3ELNS0_20block_scan_algorithmE0ELj4294967295EEENS1_25partition_config_selectorILNS1_17partition_subalgoE4EjNS0_10empty_typeEbEEZZNS1_14partition_implILS8_4ELb0ES6_15HIP_vector_typeIjLj2EENS0_17counting_iteratorIjlEEPS9_SG_NS0_5tupleIJPjSI_NS0_16reverse_iteratorISI_EEEEENSH_IJSG_SG_SG_EEES9_SI_JZNS1_25segmented_radix_sort_implINS0_14default_configELb0EPKlPlSQ_SR_N2at6native12_GLOBAL__N_18offset_tEEE10hipError_tPvRmT1_PNSt15iterator_traitsISZ_E10value_typeET2_T3_PNS10_IS15_E10value_typeET4_jRbjT5_S1B_jjP12ihipStream_tbEUljE_ZNSN_ISO_Lb0ESQ_SR_SQ_SR_SV_EESW_SX_SY_SZ_S13_S14_S15_S18_S19_jS1A_jS1B_S1B_jjS1D_bEUljE0_EEESW_SX_SY_S15_S19_S1B_T6_T7_T9_mT8_S1D_bDpT10_ENKUlT_T0_E_clISt17integral_constantIbLb1EES1Q_IbLb0EEEEDaS1M_S1N_EUlS1M_E_NS1_11comp_targetILNS1_3genE9ELNS1_11target_archE1100ELNS1_3gpuE3ELNS1_3repE0EEENS1_30default_config_static_selectorELNS0_4arch9wavefront6targetE1EEEvSZ_.num_vgpr, 0
	.set _ZN7rocprim17ROCPRIM_400000_NS6detail17trampoline_kernelINS0_13select_configILj256ELj13ELNS0_17block_load_methodE3ELS4_3ELS4_3ELNS0_20block_scan_algorithmE0ELj4294967295EEENS1_25partition_config_selectorILNS1_17partition_subalgoE4EjNS0_10empty_typeEbEEZZNS1_14partition_implILS8_4ELb0ES6_15HIP_vector_typeIjLj2EENS0_17counting_iteratorIjlEEPS9_SG_NS0_5tupleIJPjSI_NS0_16reverse_iteratorISI_EEEEENSH_IJSG_SG_SG_EEES9_SI_JZNS1_25segmented_radix_sort_implINS0_14default_configELb0EPKlPlSQ_SR_N2at6native12_GLOBAL__N_18offset_tEEE10hipError_tPvRmT1_PNSt15iterator_traitsISZ_E10value_typeET2_T3_PNS10_IS15_E10value_typeET4_jRbjT5_S1B_jjP12ihipStream_tbEUljE_ZNSN_ISO_Lb0ESQ_SR_SQ_SR_SV_EESW_SX_SY_SZ_S13_S14_S15_S18_S19_jS1A_jS1B_S1B_jjS1D_bEUljE0_EEESW_SX_SY_S15_S19_S1B_T6_T7_T9_mT8_S1D_bDpT10_ENKUlT_T0_E_clISt17integral_constantIbLb1EES1Q_IbLb0EEEEDaS1M_S1N_EUlS1M_E_NS1_11comp_targetILNS1_3genE9ELNS1_11target_archE1100ELNS1_3gpuE3ELNS1_3repE0EEENS1_30default_config_static_selectorELNS0_4arch9wavefront6targetE1EEEvSZ_.num_agpr, 0
	.set _ZN7rocprim17ROCPRIM_400000_NS6detail17trampoline_kernelINS0_13select_configILj256ELj13ELNS0_17block_load_methodE3ELS4_3ELS4_3ELNS0_20block_scan_algorithmE0ELj4294967295EEENS1_25partition_config_selectorILNS1_17partition_subalgoE4EjNS0_10empty_typeEbEEZZNS1_14partition_implILS8_4ELb0ES6_15HIP_vector_typeIjLj2EENS0_17counting_iteratorIjlEEPS9_SG_NS0_5tupleIJPjSI_NS0_16reverse_iteratorISI_EEEEENSH_IJSG_SG_SG_EEES9_SI_JZNS1_25segmented_radix_sort_implINS0_14default_configELb0EPKlPlSQ_SR_N2at6native12_GLOBAL__N_18offset_tEEE10hipError_tPvRmT1_PNSt15iterator_traitsISZ_E10value_typeET2_T3_PNS10_IS15_E10value_typeET4_jRbjT5_S1B_jjP12ihipStream_tbEUljE_ZNSN_ISO_Lb0ESQ_SR_SQ_SR_SV_EESW_SX_SY_SZ_S13_S14_S15_S18_S19_jS1A_jS1B_S1B_jjS1D_bEUljE0_EEESW_SX_SY_S15_S19_S1B_T6_T7_T9_mT8_S1D_bDpT10_ENKUlT_T0_E_clISt17integral_constantIbLb1EES1Q_IbLb0EEEEDaS1M_S1N_EUlS1M_E_NS1_11comp_targetILNS1_3genE9ELNS1_11target_archE1100ELNS1_3gpuE3ELNS1_3repE0EEENS1_30default_config_static_selectorELNS0_4arch9wavefront6targetE1EEEvSZ_.numbered_sgpr, 0
	.set _ZN7rocprim17ROCPRIM_400000_NS6detail17trampoline_kernelINS0_13select_configILj256ELj13ELNS0_17block_load_methodE3ELS4_3ELS4_3ELNS0_20block_scan_algorithmE0ELj4294967295EEENS1_25partition_config_selectorILNS1_17partition_subalgoE4EjNS0_10empty_typeEbEEZZNS1_14partition_implILS8_4ELb0ES6_15HIP_vector_typeIjLj2EENS0_17counting_iteratorIjlEEPS9_SG_NS0_5tupleIJPjSI_NS0_16reverse_iteratorISI_EEEEENSH_IJSG_SG_SG_EEES9_SI_JZNS1_25segmented_radix_sort_implINS0_14default_configELb0EPKlPlSQ_SR_N2at6native12_GLOBAL__N_18offset_tEEE10hipError_tPvRmT1_PNSt15iterator_traitsISZ_E10value_typeET2_T3_PNS10_IS15_E10value_typeET4_jRbjT5_S1B_jjP12ihipStream_tbEUljE_ZNSN_ISO_Lb0ESQ_SR_SQ_SR_SV_EESW_SX_SY_SZ_S13_S14_S15_S18_S19_jS1A_jS1B_S1B_jjS1D_bEUljE0_EEESW_SX_SY_S15_S19_S1B_T6_T7_T9_mT8_S1D_bDpT10_ENKUlT_T0_E_clISt17integral_constantIbLb1EES1Q_IbLb0EEEEDaS1M_S1N_EUlS1M_E_NS1_11comp_targetILNS1_3genE9ELNS1_11target_archE1100ELNS1_3gpuE3ELNS1_3repE0EEENS1_30default_config_static_selectorELNS0_4arch9wavefront6targetE1EEEvSZ_.num_named_barrier, 0
	.set _ZN7rocprim17ROCPRIM_400000_NS6detail17trampoline_kernelINS0_13select_configILj256ELj13ELNS0_17block_load_methodE3ELS4_3ELS4_3ELNS0_20block_scan_algorithmE0ELj4294967295EEENS1_25partition_config_selectorILNS1_17partition_subalgoE4EjNS0_10empty_typeEbEEZZNS1_14partition_implILS8_4ELb0ES6_15HIP_vector_typeIjLj2EENS0_17counting_iteratorIjlEEPS9_SG_NS0_5tupleIJPjSI_NS0_16reverse_iteratorISI_EEEEENSH_IJSG_SG_SG_EEES9_SI_JZNS1_25segmented_radix_sort_implINS0_14default_configELb0EPKlPlSQ_SR_N2at6native12_GLOBAL__N_18offset_tEEE10hipError_tPvRmT1_PNSt15iterator_traitsISZ_E10value_typeET2_T3_PNS10_IS15_E10value_typeET4_jRbjT5_S1B_jjP12ihipStream_tbEUljE_ZNSN_ISO_Lb0ESQ_SR_SQ_SR_SV_EESW_SX_SY_SZ_S13_S14_S15_S18_S19_jS1A_jS1B_S1B_jjS1D_bEUljE0_EEESW_SX_SY_S15_S19_S1B_T6_T7_T9_mT8_S1D_bDpT10_ENKUlT_T0_E_clISt17integral_constantIbLb1EES1Q_IbLb0EEEEDaS1M_S1N_EUlS1M_E_NS1_11comp_targetILNS1_3genE9ELNS1_11target_archE1100ELNS1_3gpuE3ELNS1_3repE0EEENS1_30default_config_static_selectorELNS0_4arch9wavefront6targetE1EEEvSZ_.private_seg_size, 0
	.set _ZN7rocprim17ROCPRIM_400000_NS6detail17trampoline_kernelINS0_13select_configILj256ELj13ELNS0_17block_load_methodE3ELS4_3ELS4_3ELNS0_20block_scan_algorithmE0ELj4294967295EEENS1_25partition_config_selectorILNS1_17partition_subalgoE4EjNS0_10empty_typeEbEEZZNS1_14partition_implILS8_4ELb0ES6_15HIP_vector_typeIjLj2EENS0_17counting_iteratorIjlEEPS9_SG_NS0_5tupleIJPjSI_NS0_16reverse_iteratorISI_EEEEENSH_IJSG_SG_SG_EEES9_SI_JZNS1_25segmented_radix_sort_implINS0_14default_configELb0EPKlPlSQ_SR_N2at6native12_GLOBAL__N_18offset_tEEE10hipError_tPvRmT1_PNSt15iterator_traitsISZ_E10value_typeET2_T3_PNS10_IS15_E10value_typeET4_jRbjT5_S1B_jjP12ihipStream_tbEUljE_ZNSN_ISO_Lb0ESQ_SR_SQ_SR_SV_EESW_SX_SY_SZ_S13_S14_S15_S18_S19_jS1A_jS1B_S1B_jjS1D_bEUljE0_EEESW_SX_SY_S15_S19_S1B_T6_T7_T9_mT8_S1D_bDpT10_ENKUlT_T0_E_clISt17integral_constantIbLb1EES1Q_IbLb0EEEEDaS1M_S1N_EUlS1M_E_NS1_11comp_targetILNS1_3genE9ELNS1_11target_archE1100ELNS1_3gpuE3ELNS1_3repE0EEENS1_30default_config_static_selectorELNS0_4arch9wavefront6targetE1EEEvSZ_.uses_vcc, 0
	.set _ZN7rocprim17ROCPRIM_400000_NS6detail17trampoline_kernelINS0_13select_configILj256ELj13ELNS0_17block_load_methodE3ELS4_3ELS4_3ELNS0_20block_scan_algorithmE0ELj4294967295EEENS1_25partition_config_selectorILNS1_17partition_subalgoE4EjNS0_10empty_typeEbEEZZNS1_14partition_implILS8_4ELb0ES6_15HIP_vector_typeIjLj2EENS0_17counting_iteratorIjlEEPS9_SG_NS0_5tupleIJPjSI_NS0_16reverse_iteratorISI_EEEEENSH_IJSG_SG_SG_EEES9_SI_JZNS1_25segmented_radix_sort_implINS0_14default_configELb0EPKlPlSQ_SR_N2at6native12_GLOBAL__N_18offset_tEEE10hipError_tPvRmT1_PNSt15iterator_traitsISZ_E10value_typeET2_T3_PNS10_IS15_E10value_typeET4_jRbjT5_S1B_jjP12ihipStream_tbEUljE_ZNSN_ISO_Lb0ESQ_SR_SQ_SR_SV_EESW_SX_SY_SZ_S13_S14_S15_S18_S19_jS1A_jS1B_S1B_jjS1D_bEUljE0_EEESW_SX_SY_S15_S19_S1B_T6_T7_T9_mT8_S1D_bDpT10_ENKUlT_T0_E_clISt17integral_constantIbLb1EES1Q_IbLb0EEEEDaS1M_S1N_EUlS1M_E_NS1_11comp_targetILNS1_3genE9ELNS1_11target_archE1100ELNS1_3gpuE3ELNS1_3repE0EEENS1_30default_config_static_selectorELNS0_4arch9wavefront6targetE1EEEvSZ_.uses_flat_scratch, 0
	.set _ZN7rocprim17ROCPRIM_400000_NS6detail17trampoline_kernelINS0_13select_configILj256ELj13ELNS0_17block_load_methodE3ELS4_3ELS4_3ELNS0_20block_scan_algorithmE0ELj4294967295EEENS1_25partition_config_selectorILNS1_17partition_subalgoE4EjNS0_10empty_typeEbEEZZNS1_14partition_implILS8_4ELb0ES6_15HIP_vector_typeIjLj2EENS0_17counting_iteratorIjlEEPS9_SG_NS0_5tupleIJPjSI_NS0_16reverse_iteratorISI_EEEEENSH_IJSG_SG_SG_EEES9_SI_JZNS1_25segmented_radix_sort_implINS0_14default_configELb0EPKlPlSQ_SR_N2at6native12_GLOBAL__N_18offset_tEEE10hipError_tPvRmT1_PNSt15iterator_traitsISZ_E10value_typeET2_T3_PNS10_IS15_E10value_typeET4_jRbjT5_S1B_jjP12ihipStream_tbEUljE_ZNSN_ISO_Lb0ESQ_SR_SQ_SR_SV_EESW_SX_SY_SZ_S13_S14_S15_S18_S19_jS1A_jS1B_S1B_jjS1D_bEUljE0_EEESW_SX_SY_S15_S19_S1B_T6_T7_T9_mT8_S1D_bDpT10_ENKUlT_T0_E_clISt17integral_constantIbLb1EES1Q_IbLb0EEEEDaS1M_S1N_EUlS1M_E_NS1_11comp_targetILNS1_3genE9ELNS1_11target_archE1100ELNS1_3gpuE3ELNS1_3repE0EEENS1_30default_config_static_selectorELNS0_4arch9wavefront6targetE1EEEvSZ_.has_dyn_sized_stack, 0
	.set _ZN7rocprim17ROCPRIM_400000_NS6detail17trampoline_kernelINS0_13select_configILj256ELj13ELNS0_17block_load_methodE3ELS4_3ELS4_3ELNS0_20block_scan_algorithmE0ELj4294967295EEENS1_25partition_config_selectorILNS1_17partition_subalgoE4EjNS0_10empty_typeEbEEZZNS1_14partition_implILS8_4ELb0ES6_15HIP_vector_typeIjLj2EENS0_17counting_iteratorIjlEEPS9_SG_NS0_5tupleIJPjSI_NS0_16reverse_iteratorISI_EEEEENSH_IJSG_SG_SG_EEES9_SI_JZNS1_25segmented_radix_sort_implINS0_14default_configELb0EPKlPlSQ_SR_N2at6native12_GLOBAL__N_18offset_tEEE10hipError_tPvRmT1_PNSt15iterator_traitsISZ_E10value_typeET2_T3_PNS10_IS15_E10value_typeET4_jRbjT5_S1B_jjP12ihipStream_tbEUljE_ZNSN_ISO_Lb0ESQ_SR_SQ_SR_SV_EESW_SX_SY_SZ_S13_S14_S15_S18_S19_jS1A_jS1B_S1B_jjS1D_bEUljE0_EEESW_SX_SY_S15_S19_S1B_T6_T7_T9_mT8_S1D_bDpT10_ENKUlT_T0_E_clISt17integral_constantIbLb1EES1Q_IbLb0EEEEDaS1M_S1N_EUlS1M_E_NS1_11comp_targetILNS1_3genE9ELNS1_11target_archE1100ELNS1_3gpuE3ELNS1_3repE0EEENS1_30default_config_static_selectorELNS0_4arch9wavefront6targetE1EEEvSZ_.has_recursion, 0
	.set _ZN7rocprim17ROCPRIM_400000_NS6detail17trampoline_kernelINS0_13select_configILj256ELj13ELNS0_17block_load_methodE3ELS4_3ELS4_3ELNS0_20block_scan_algorithmE0ELj4294967295EEENS1_25partition_config_selectorILNS1_17partition_subalgoE4EjNS0_10empty_typeEbEEZZNS1_14partition_implILS8_4ELb0ES6_15HIP_vector_typeIjLj2EENS0_17counting_iteratorIjlEEPS9_SG_NS0_5tupleIJPjSI_NS0_16reverse_iteratorISI_EEEEENSH_IJSG_SG_SG_EEES9_SI_JZNS1_25segmented_radix_sort_implINS0_14default_configELb0EPKlPlSQ_SR_N2at6native12_GLOBAL__N_18offset_tEEE10hipError_tPvRmT1_PNSt15iterator_traitsISZ_E10value_typeET2_T3_PNS10_IS15_E10value_typeET4_jRbjT5_S1B_jjP12ihipStream_tbEUljE_ZNSN_ISO_Lb0ESQ_SR_SQ_SR_SV_EESW_SX_SY_SZ_S13_S14_S15_S18_S19_jS1A_jS1B_S1B_jjS1D_bEUljE0_EEESW_SX_SY_S15_S19_S1B_T6_T7_T9_mT8_S1D_bDpT10_ENKUlT_T0_E_clISt17integral_constantIbLb1EES1Q_IbLb0EEEEDaS1M_S1N_EUlS1M_E_NS1_11comp_targetILNS1_3genE9ELNS1_11target_archE1100ELNS1_3gpuE3ELNS1_3repE0EEENS1_30default_config_static_selectorELNS0_4arch9wavefront6targetE1EEEvSZ_.has_indirect_call, 0
	.section	.AMDGPU.csdata,"",@progbits
; Kernel info:
; codeLenInByte = 0
; TotalNumSgprs: 4
; NumVgprs: 0
; ScratchSize: 0
; MemoryBound: 0
; FloatMode: 240
; IeeeMode: 1
; LDSByteSize: 0 bytes/workgroup (compile time only)
; SGPRBlocks: 0
; VGPRBlocks: 0
; NumSGPRsForWavesPerEU: 4
; NumVGPRsForWavesPerEU: 1
; Occupancy: 10
; WaveLimiterHint : 0
; COMPUTE_PGM_RSRC2:SCRATCH_EN: 0
; COMPUTE_PGM_RSRC2:USER_SGPR: 6
; COMPUTE_PGM_RSRC2:TRAP_HANDLER: 0
; COMPUTE_PGM_RSRC2:TGID_X_EN: 1
; COMPUTE_PGM_RSRC2:TGID_Y_EN: 0
; COMPUTE_PGM_RSRC2:TGID_Z_EN: 0
; COMPUTE_PGM_RSRC2:TIDIG_COMP_CNT: 0
	.section	.text._ZN7rocprim17ROCPRIM_400000_NS6detail17trampoline_kernelINS0_13select_configILj256ELj13ELNS0_17block_load_methodE3ELS4_3ELS4_3ELNS0_20block_scan_algorithmE0ELj4294967295EEENS1_25partition_config_selectorILNS1_17partition_subalgoE4EjNS0_10empty_typeEbEEZZNS1_14partition_implILS8_4ELb0ES6_15HIP_vector_typeIjLj2EENS0_17counting_iteratorIjlEEPS9_SG_NS0_5tupleIJPjSI_NS0_16reverse_iteratorISI_EEEEENSH_IJSG_SG_SG_EEES9_SI_JZNS1_25segmented_radix_sort_implINS0_14default_configELb0EPKlPlSQ_SR_N2at6native12_GLOBAL__N_18offset_tEEE10hipError_tPvRmT1_PNSt15iterator_traitsISZ_E10value_typeET2_T3_PNS10_IS15_E10value_typeET4_jRbjT5_S1B_jjP12ihipStream_tbEUljE_ZNSN_ISO_Lb0ESQ_SR_SQ_SR_SV_EESW_SX_SY_SZ_S13_S14_S15_S18_S19_jS1A_jS1B_S1B_jjS1D_bEUljE0_EEESW_SX_SY_S15_S19_S1B_T6_T7_T9_mT8_S1D_bDpT10_ENKUlT_T0_E_clISt17integral_constantIbLb1EES1Q_IbLb0EEEEDaS1M_S1N_EUlS1M_E_NS1_11comp_targetILNS1_3genE8ELNS1_11target_archE1030ELNS1_3gpuE2ELNS1_3repE0EEENS1_30default_config_static_selectorELNS0_4arch9wavefront6targetE1EEEvSZ_,"axG",@progbits,_ZN7rocprim17ROCPRIM_400000_NS6detail17trampoline_kernelINS0_13select_configILj256ELj13ELNS0_17block_load_methodE3ELS4_3ELS4_3ELNS0_20block_scan_algorithmE0ELj4294967295EEENS1_25partition_config_selectorILNS1_17partition_subalgoE4EjNS0_10empty_typeEbEEZZNS1_14partition_implILS8_4ELb0ES6_15HIP_vector_typeIjLj2EENS0_17counting_iteratorIjlEEPS9_SG_NS0_5tupleIJPjSI_NS0_16reverse_iteratorISI_EEEEENSH_IJSG_SG_SG_EEES9_SI_JZNS1_25segmented_radix_sort_implINS0_14default_configELb0EPKlPlSQ_SR_N2at6native12_GLOBAL__N_18offset_tEEE10hipError_tPvRmT1_PNSt15iterator_traitsISZ_E10value_typeET2_T3_PNS10_IS15_E10value_typeET4_jRbjT5_S1B_jjP12ihipStream_tbEUljE_ZNSN_ISO_Lb0ESQ_SR_SQ_SR_SV_EESW_SX_SY_SZ_S13_S14_S15_S18_S19_jS1A_jS1B_S1B_jjS1D_bEUljE0_EEESW_SX_SY_S15_S19_S1B_T6_T7_T9_mT8_S1D_bDpT10_ENKUlT_T0_E_clISt17integral_constantIbLb1EES1Q_IbLb0EEEEDaS1M_S1N_EUlS1M_E_NS1_11comp_targetILNS1_3genE8ELNS1_11target_archE1030ELNS1_3gpuE2ELNS1_3repE0EEENS1_30default_config_static_selectorELNS0_4arch9wavefront6targetE1EEEvSZ_,comdat
	.globl	_ZN7rocprim17ROCPRIM_400000_NS6detail17trampoline_kernelINS0_13select_configILj256ELj13ELNS0_17block_load_methodE3ELS4_3ELS4_3ELNS0_20block_scan_algorithmE0ELj4294967295EEENS1_25partition_config_selectorILNS1_17partition_subalgoE4EjNS0_10empty_typeEbEEZZNS1_14partition_implILS8_4ELb0ES6_15HIP_vector_typeIjLj2EENS0_17counting_iteratorIjlEEPS9_SG_NS0_5tupleIJPjSI_NS0_16reverse_iteratorISI_EEEEENSH_IJSG_SG_SG_EEES9_SI_JZNS1_25segmented_radix_sort_implINS0_14default_configELb0EPKlPlSQ_SR_N2at6native12_GLOBAL__N_18offset_tEEE10hipError_tPvRmT1_PNSt15iterator_traitsISZ_E10value_typeET2_T3_PNS10_IS15_E10value_typeET4_jRbjT5_S1B_jjP12ihipStream_tbEUljE_ZNSN_ISO_Lb0ESQ_SR_SQ_SR_SV_EESW_SX_SY_SZ_S13_S14_S15_S18_S19_jS1A_jS1B_S1B_jjS1D_bEUljE0_EEESW_SX_SY_S15_S19_S1B_T6_T7_T9_mT8_S1D_bDpT10_ENKUlT_T0_E_clISt17integral_constantIbLb1EES1Q_IbLb0EEEEDaS1M_S1N_EUlS1M_E_NS1_11comp_targetILNS1_3genE8ELNS1_11target_archE1030ELNS1_3gpuE2ELNS1_3repE0EEENS1_30default_config_static_selectorELNS0_4arch9wavefront6targetE1EEEvSZ_ ; -- Begin function _ZN7rocprim17ROCPRIM_400000_NS6detail17trampoline_kernelINS0_13select_configILj256ELj13ELNS0_17block_load_methodE3ELS4_3ELS4_3ELNS0_20block_scan_algorithmE0ELj4294967295EEENS1_25partition_config_selectorILNS1_17partition_subalgoE4EjNS0_10empty_typeEbEEZZNS1_14partition_implILS8_4ELb0ES6_15HIP_vector_typeIjLj2EENS0_17counting_iteratorIjlEEPS9_SG_NS0_5tupleIJPjSI_NS0_16reverse_iteratorISI_EEEEENSH_IJSG_SG_SG_EEES9_SI_JZNS1_25segmented_radix_sort_implINS0_14default_configELb0EPKlPlSQ_SR_N2at6native12_GLOBAL__N_18offset_tEEE10hipError_tPvRmT1_PNSt15iterator_traitsISZ_E10value_typeET2_T3_PNS10_IS15_E10value_typeET4_jRbjT5_S1B_jjP12ihipStream_tbEUljE_ZNSN_ISO_Lb0ESQ_SR_SQ_SR_SV_EESW_SX_SY_SZ_S13_S14_S15_S18_S19_jS1A_jS1B_S1B_jjS1D_bEUljE0_EEESW_SX_SY_S15_S19_S1B_T6_T7_T9_mT8_S1D_bDpT10_ENKUlT_T0_E_clISt17integral_constantIbLb1EES1Q_IbLb0EEEEDaS1M_S1N_EUlS1M_E_NS1_11comp_targetILNS1_3genE8ELNS1_11target_archE1030ELNS1_3gpuE2ELNS1_3repE0EEENS1_30default_config_static_selectorELNS0_4arch9wavefront6targetE1EEEvSZ_
	.p2align	8
	.type	_ZN7rocprim17ROCPRIM_400000_NS6detail17trampoline_kernelINS0_13select_configILj256ELj13ELNS0_17block_load_methodE3ELS4_3ELS4_3ELNS0_20block_scan_algorithmE0ELj4294967295EEENS1_25partition_config_selectorILNS1_17partition_subalgoE4EjNS0_10empty_typeEbEEZZNS1_14partition_implILS8_4ELb0ES6_15HIP_vector_typeIjLj2EENS0_17counting_iteratorIjlEEPS9_SG_NS0_5tupleIJPjSI_NS0_16reverse_iteratorISI_EEEEENSH_IJSG_SG_SG_EEES9_SI_JZNS1_25segmented_radix_sort_implINS0_14default_configELb0EPKlPlSQ_SR_N2at6native12_GLOBAL__N_18offset_tEEE10hipError_tPvRmT1_PNSt15iterator_traitsISZ_E10value_typeET2_T3_PNS10_IS15_E10value_typeET4_jRbjT5_S1B_jjP12ihipStream_tbEUljE_ZNSN_ISO_Lb0ESQ_SR_SQ_SR_SV_EESW_SX_SY_SZ_S13_S14_S15_S18_S19_jS1A_jS1B_S1B_jjS1D_bEUljE0_EEESW_SX_SY_S15_S19_S1B_T6_T7_T9_mT8_S1D_bDpT10_ENKUlT_T0_E_clISt17integral_constantIbLb1EES1Q_IbLb0EEEEDaS1M_S1N_EUlS1M_E_NS1_11comp_targetILNS1_3genE8ELNS1_11target_archE1030ELNS1_3gpuE2ELNS1_3repE0EEENS1_30default_config_static_selectorELNS0_4arch9wavefront6targetE1EEEvSZ_,@function
_ZN7rocprim17ROCPRIM_400000_NS6detail17trampoline_kernelINS0_13select_configILj256ELj13ELNS0_17block_load_methodE3ELS4_3ELS4_3ELNS0_20block_scan_algorithmE0ELj4294967295EEENS1_25partition_config_selectorILNS1_17partition_subalgoE4EjNS0_10empty_typeEbEEZZNS1_14partition_implILS8_4ELb0ES6_15HIP_vector_typeIjLj2EENS0_17counting_iteratorIjlEEPS9_SG_NS0_5tupleIJPjSI_NS0_16reverse_iteratorISI_EEEEENSH_IJSG_SG_SG_EEES9_SI_JZNS1_25segmented_radix_sort_implINS0_14default_configELb0EPKlPlSQ_SR_N2at6native12_GLOBAL__N_18offset_tEEE10hipError_tPvRmT1_PNSt15iterator_traitsISZ_E10value_typeET2_T3_PNS10_IS15_E10value_typeET4_jRbjT5_S1B_jjP12ihipStream_tbEUljE_ZNSN_ISO_Lb0ESQ_SR_SQ_SR_SV_EESW_SX_SY_SZ_S13_S14_S15_S18_S19_jS1A_jS1B_S1B_jjS1D_bEUljE0_EEESW_SX_SY_S15_S19_S1B_T6_T7_T9_mT8_S1D_bDpT10_ENKUlT_T0_E_clISt17integral_constantIbLb1EES1Q_IbLb0EEEEDaS1M_S1N_EUlS1M_E_NS1_11comp_targetILNS1_3genE8ELNS1_11target_archE1030ELNS1_3gpuE2ELNS1_3repE0EEENS1_30default_config_static_selectorELNS0_4arch9wavefront6targetE1EEEvSZ_: ; @_ZN7rocprim17ROCPRIM_400000_NS6detail17trampoline_kernelINS0_13select_configILj256ELj13ELNS0_17block_load_methodE3ELS4_3ELS4_3ELNS0_20block_scan_algorithmE0ELj4294967295EEENS1_25partition_config_selectorILNS1_17partition_subalgoE4EjNS0_10empty_typeEbEEZZNS1_14partition_implILS8_4ELb0ES6_15HIP_vector_typeIjLj2EENS0_17counting_iteratorIjlEEPS9_SG_NS0_5tupleIJPjSI_NS0_16reverse_iteratorISI_EEEEENSH_IJSG_SG_SG_EEES9_SI_JZNS1_25segmented_radix_sort_implINS0_14default_configELb0EPKlPlSQ_SR_N2at6native12_GLOBAL__N_18offset_tEEE10hipError_tPvRmT1_PNSt15iterator_traitsISZ_E10value_typeET2_T3_PNS10_IS15_E10value_typeET4_jRbjT5_S1B_jjP12ihipStream_tbEUljE_ZNSN_ISO_Lb0ESQ_SR_SQ_SR_SV_EESW_SX_SY_SZ_S13_S14_S15_S18_S19_jS1A_jS1B_S1B_jjS1D_bEUljE0_EEESW_SX_SY_S15_S19_S1B_T6_T7_T9_mT8_S1D_bDpT10_ENKUlT_T0_E_clISt17integral_constantIbLb1EES1Q_IbLb0EEEEDaS1M_S1N_EUlS1M_E_NS1_11comp_targetILNS1_3genE8ELNS1_11target_archE1030ELNS1_3gpuE2ELNS1_3repE0EEENS1_30default_config_static_selectorELNS0_4arch9wavefront6targetE1EEEvSZ_
; %bb.0:
	.section	.rodata,"a",@progbits
	.p2align	6, 0x0
	.amdhsa_kernel _ZN7rocprim17ROCPRIM_400000_NS6detail17trampoline_kernelINS0_13select_configILj256ELj13ELNS0_17block_load_methodE3ELS4_3ELS4_3ELNS0_20block_scan_algorithmE0ELj4294967295EEENS1_25partition_config_selectorILNS1_17partition_subalgoE4EjNS0_10empty_typeEbEEZZNS1_14partition_implILS8_4ELb0ES6_15HIP_vector_typeIjLj2EENS0_17counting_iteratorIjlEEPS9_SG_NS0_5tupleIJPjSI_NS0_16reverse_iteratorISI_EEEEENSH_IJSG_SG_SG_EEES9_SI_JZNS1_25segmented_radix_sort_implINS0_14default_configELb0EPKlPlSQ_SR_N2at6native12_GLOBAL__N_18offset_tEEE10hipError_tPvRmT1_PNSt15iterator_traitsISZ_E10value_typeET2_T3_PNS10_IS15_E10value_typeET4_jRbjT5_S1B_jjP12ihipStream_tbEUljE_ZNSN_ISO_Lb0ESQ_SR_SQ_SR_SV_EESW_SX_SY_SZ_S13_S14_S15_S18_S19_jS1A_jS1B_S1B_jjS1D_bEUljE0_EEESW_SX_SY_S15_S19_S1B_T6_T7_T9_mT8_S1D_bDpT10_ENKUlT_T0_E_clISt17integral_constantIbLb1EES1Q_IbLb0EEEEDaS1M_S1N_EUlS1M_E_NS1_11comp_targetILNS1_3genE8ELNS1_11target_archE1030ELNS1_3gpuE2ELNS1_3repE0EEENS1_30default_config_static_selectorELNS0_4arch9wavefront6targetE1EEEvSZ_
		.amdhsa_group_segment_fixed_size 0
		.amdhsa_private_segment_fixed_size 0
		.amdhsa_kernarg_size 176
		.amdhsa_user_sgpr_count 6
		.amdhsa_user_sgpr_private_segment_buffer 1
		.amdhsa_user_sgpr_dispatch_ptr 0
		.amdhsa_user_sgpr_queue_ptr 0
		.amdhsa_user_sgpr_kernarg_segment_ptr 1
		.amdhsa_user_sgpr_dispatch_id 0
		.amdhsa_user_sgpr_flat_scratch_init 0
		.amdhsa_user_sgpr_private_segment_size 0
		.amdhsa_uses_dynamic_stack 0
		.amdhsa_system_sgpr_private_segment_wavefront_offset 0
		.amdhsa_system_sgpr_workgroup_id_x 1
		.amdhsa_system_sgpr_workgroup_id_y 0
		.amdhsa_system_sgpr_workgroup_id_z 0
		.amdhsa_system_sgpr_workgroup_info 0
		.amdhsa_system_vgpr_workitem_id 0
		.amdhsa_next_free_vgpr 1
		.amdhsa_next_free_sgpr 0
		.amdhsa_reserve_vcc 0
		.amdhsa_reserve_flat_scratch 0
		.amdhsa_float_round_mode_32 0
		.amdhsa_float_round_mode_16_64 0
		.amdhsa_float_denorm_mode_32 3
		.amdhsa_float_denorm_mode_16_64 3
		.amdhsa_dx10_clamp 1
		.amdhsa_ieee_mode 1
		.amdhsa_fp16_overflow 0
		.amdhsa_exception_fp_ieee_invalid_op 0
		.amdhsa_exception_fp_denorm_src 0
		.amdhsa_exception_fp_ieee_div_zero 0
		.amdhsa_exception_fp_ieee_overflow 0
		.amdhsa_exception_fp_ieee_underflow 0
		.amdhsa_exception_fp_ieee_inexact 0
		.amdhsa_exception_int_div_zero 0
	.end_amdhsa_kernel
	.section	.text._ZN7rocprim17ROCPRIM_400000_NS6detail17trampoline_kernelINS0_13select_configILj256ELj13ELNS0_17block_load_methodE3ELS4_3ELS4_3ELNS0_20block_scan_algorithmE0ELj4294967295EEENS1_25partition_config_selectorILNS1_17partition_subalgoE4EjNS0_10empty_typeEbEEZZNS1_14partition_implILS8_4ELb0ES6_15HIP_vector_typeIjLj2EENS0_17counting_iteratorIjlEEPS9_SG_NS0_5tupleIJPjSI_NS0_16reverse_iteratorISI_EEEEENSH_IJSG_SG_SG_EEES9_SI_JZNS1_25segmented_radix_sort_implINS0_14default_configELb0EPKlPlSQ_SR_N2at6native12_GLOBAL__N_18offset_tEEE10hipError_tPvRmT1_PNSt15iterator_traitsISZ_E10value_typeET2_T3_PNS10_IS15_E10value_typeET4_jRbjT5_S1B_jjP12ihipStream_tbEUljE_ZNSN_ISO_Lb0ESQ_SR_SQ_SR_SV_EESW_SX_SY_SZ_S13_S14_S15_S18_S19_jS1A_jS1B_S1B_jjS1D_bEUljE0_EEESW_SX_SY_S15_S19_S1B_T6_T7_T9_mT8_S1D_bDpT10_ENKUlT_T0_E_clISt17integral_constantIbLb1EES1Q_IbLb0EEEEDaS1M_S1N_EUlS1M_E_NS1_11comp_targetILNS1_3genE8ELNS1_11target_archE1030ELNS1_3gpuE2ELNS1_3repE0EEENS1_30default_config_static_selectorELNS0_4arch9wavefront6targetE1EEEvSZ_,"axG",@progbits,_ZN7rocprim17ROCPRIM_400000_NS6detail17trampoline_kernelINS0_13select_configILj256ELj13ELNS0_17block_load_methodE3ELS4_3ELS4_3ELNS0_20block_scan_algorithmE0ELj4294967295EEENS1_25partition_config_selectorILNS1_17partition_subalgoE4EjNS0_10empty_typeEbEEZZNS1_14partition_implILS8_4ELb0ES6_15HIP_vector_typeIjLj2EENS0_17counting_iteratorIjlEEPS9_SG_NS0_5tupleIJPjSI_NS0_16reverse_iteratorISI_EEEEENSH_IJSG_SG_SG_EEES9_SI_JZNS1_25segmented_radix_sort_implINS0_14default_configELb0EPKlPlSQ_SR_N2at6native12_GLOBAL__N_18offset_tEEE10hipError_tPvRmT1_PNSt15iterator_traitsISZ_E10value_typeET2_T3_PNS10_IS15_E10value_typeET4_jRbjT5_S1B_jjP12ihipStream_tbEUljE_ZNSN_ISO_Lb0ESQ_SR_SQ_SR_SV_EESW_SX_SY_SZ_S13_S14_S15_S18_S19_jS1A_jS1B_S1B_jjS1D_bEUljE0_EEESW_SX_SY_S15_S19_S1B_T6_T7_T9_mT8_S1D_bDpT10_ENKUlT_T0_E_clISt17integral_constantIbLb1EES1Q_IbLb0EEEEDaS1M_S1N_EUlS1M_E_NS1_11comp_targetILNS1_3genE8ELNS1_11target_archE1030ELNS1_3gpuE2ELNS1_3repE0EEENS1_30default_config_static_selectorELNS0_4arch9wavefront6targetE1EEEvSZ_,comdat
.Lfunc_end766:
	.size	_ZN7rocprim17ROCPRIM_400000_NS6detail17trampoline_kernelINS0_13select_configILj256ELj13ELNS0_17block_load_methodE3ELS4_3ELS4_3ELNS0_20block_scan_algorithmE0ELj4294967295EEENS1_25partition_config_selectorILNS1_17partition_subalgoE4EjNS0_10empty_typeEbEEZZNS1_14partition_implILS8_4ELb0ES6_15HIP_vector_typeIjLj2EENS0_17counting_iteratorIjlEEPS9_SG_NS0_5tupleIJPjSI_NS0_16reverse_iteratorISI_EEEEENSH_IJSG_SG_SG_EEES9_SI_JZNS1_25segmented_radix_sort_implINS0_14default_configELb0EPKlPlSQ_SR_N2at6native12_GLOBAL__N_18offset_tEEE10hipError_tPvRmT1_PNSt15iterator_traitsISZ_E10value_typeET2_T3_PNS10_IS15_E10value_typeET4_jRbjT5_S1B_jjP12ihipStream_tbEUljE_ZNSN_ISO_Lb0ESQ_SR_SQ_SR_SV_EESW_SX_SY_SZ_S13_S14_S15_S18_S19_jS1A_jS1B_S1B_jjS1D_bEUljE0_EEESW_SX_SY_S15_S19_S1B_T6_T7_T9_mT8_S1D_bDpT10_ENKUlT_T0_E_clISt17integral_constantIbLb1EES1Q_IbLb0EEEEDaS1M_S1N_EUlS1M_E_NS1_11comp_targetILNS1_3genE8ELNS1_11target_archE1030ELNS1_3gpuE2ELNS1_3repE0EEENS1_30default_config_static_selectorELNS0_4arch9wavefront6targetE1EEEvSZ_, .Lfunc_end766-_ZN7rocprim17ROCPRIM_400000_NS6detail17trampoline_kernelINS0_13select_configILj256ELj13ELNS0_17block_load_methodE3ELS4_3ELS4_3ELNS0_20block_scan_algorithmE0ELj4294967295EEENS1_25partition_config_selectorILNS1_17partition_subalgoE4EjNS0_10empty_typeEbEEZZNS1_14partition_implILS8_4ELb0ES6_15HIP_vector_typeIjLj2EENS0_17counting_iteratorIjlEEPS9_SG_NS0_5tupleIJPjSI_NS0_16reverse_iteratorISI_EEEEENSH_IJSG_SG_SG_EEES9_SI_JZNS1_25segmented_radix_sort_implINS0_14default_configELb0EPKlPlSQ_SR_N2at6native12_GLOBAL__N_18offset_tEEE10hipError_tPvRmT1_PNSt15iterator_traitsISZ_E10value_typeET2_T3_PNS10_IS15_E10value_typeET4_jRbjT5_S1B_jjP12ihipStream_tbEUljE_ZNSN_ISO_Lb0ESQ_SR_SQ_SR_SV_EESW_SX_SY_SZ_S13_S14_S15_S18_S19_jS1A_jS1B_S1B_jjS1D_bEUljE0_EEESW_SX_SY_S15_S19_S1B_T6_T7_T9_mT8_S1D_bDpT10_ENKUlT_T0_E_clISt17integral_constantIbLb1EES1Q_IbLb0EEEEDaS1M_S1N_EUlS1M_E_NS1_11comp_targetILNS1_3genE8ELNS1_11target_archE1030ELNS1_3gpuE2ELNS1_3repE0EEENS1_30default_config_static_selectorELNS0_4arch9wavefront6targetE1EEEvSZ_
                                        ; -- End function
	.set _ZN7rocprim17ROCPRIM_400000_NS6detail17trampoline_kernelINS0_13select_configILj256ELj13ELNS0_17block_load_methodE3ELS4_3ELS4_3ELNS0_20block_scan_algorithmE0ELj4294967295EEENS1_25partition_config_selectorILNS1_17partition_subalgoE4EjNS0_10empty_typeEbEEZZNS1_14partition_implILS8_4ELb0ES6_15HIP_vector_typeIjLj2EENS0_17counting_iteratorIjlEEPS9_SG_NS0_5tupleIJPjSI_NS0_16reverse_iteratorISI_EEEEENSH_IJSG_SG_SG_EEES9_SI_JZNS1_25segmented_radix_sort_implINS0_14default_configELb0EPKlPlSQ_SR_N2at6native12_GLOBAL__N_18offset_tEEE10hipError_tPvRmT1_PNSt15iterator_traitsISZ_E10value_typeET2_T3_PNS10_IS15_E10value_typeET4_jRbjT5_S1B_jjP12ihipStream_tbEUljE_ZNSN_ISO_Lb0ESQ_SR_SQ_SR_SV_EESW_SX_SY_SZ_S13_S14_S15_S18_S19_jS1A_jS1B_S1B_jjS1D_bEUljE0_EEESW_SX_SY_S15_S19_S1B_T6_T7_T9_mT8_S1D_bDpT10_ENKUlT_T0_E_clISt17integral_constantIbLb1EES1Q_IbLb0EEEEDaS1M_S1N_EUlS1M_E_NS1_11comp_targetILNS1_3genE8ELNS1_11target_archE1030ELNS1_3gpuE2ELNS1_3repE0EEENS1_30default_config_static_selectorELNS0_4arch9wavefront6targetE1EEEvSZ_.num_vgpr, 0
	.set _ZN7rocprim17ROCPRIM_400000_NS6detail17trampoline_kernelINS0_13select_configILj256ELj13ELNS0_17block_load_methodE3ELS4_3ELS4_3ELNS0_20block_scan_algorithmE0ELj4294967295EEENS1_25partition_config_selectorILNS1_17partition_subalgoE4EjNS0_10empty_typeEbEEZZNS1_14partition_implILS8_4ELb0ES6_15HIP_vector_typeIjLj2EENS0_17counting_iteratorIjlEEPS9_SG_NS0_5tupleIJPjSI_NS0_16reverse_iteratorISI_EEEEENSH_IJSG_SG_SG_EEES9_SI_JZNS1_25segmented_radix_sort_implINS0_14default_configELb0EPKlPlSQ_SR_N2at6native12_GLOBAL__N_18offset_tEEE10hipError_tPvRmT1_PNSt15iterator_traitsISZ_E10value_typeET2_T3_PNS10_IS15_E10value_typeET4_jRbjT5_S1B_jjP12ihipStream_tbEUljE_ZNSN_ISO_Lb0ESQ_SR_SQ_SR_SV_EESW_SX_SY_SZ_S13_S14_S15_S18_S19_jS1A_jS1B_S1B_jjS1D_bEUljE0_EEESW_SX_SY_S15_S19_S1B_T6_T7_T9_mT8_S1D_bDpT10_ENKUlT_T0_E_clISt17integral_constantIbLb1EES1Q_IbLb0EEEEDaS1M_S1N_EUlS1M_E_NS1_11comp_targetILNS1_3genE8ELNS1_11target_archE1030ELNS1_3gpuE2ELNS1_3repE0EEENS1_30default_config_static_selectorELNS0_4arch9wavefront6targetE1EEEvSZ_.num_agpr, 0
	.set _ZN7rocprim17ROCPRIM_400000_NS6detail17trampoline_kernelINS0_13select_configILj256ELj13ELNS0_17block_load_methodE3ELS4_3ELS4_3ELNS0_20block_scan_algorithmE0ELj4294967295EEENS1_25partition_config_selectorILNS1_17partition_subalgoE4EjNS0_10empty_typeEbEEZZNS1_14partition_implILS8_4ELb0ES6_15HIP_vector_typeIjLj2EENS0_17counting_iteratorIjlEEPS9_SG_NS0_5tupleIJPjSI_NS0_16reverse_iteratorISI_EEEEENSH_IJSG_SG_SG_EEES9_SI_JZNS1_25segmented_radix_sort_implINS0_14default_configELb0EPKlPlSQ_SR_N2at6native12_GLOBAL__N_18offset_tEEE10hipError_tPvRmT1_PNSt15iterator_traitsISZ_E10value_typeET2_T3_PNS10_IS15_E10value_typeET4_jRbjT5_S1B_jjP12ihipStream_tbEUljE_ZNSN_ISO_Lb0ESQ_SR_SQ_SR_SV_EESW_SX_SY_SZ_S13_S14_S15_S18_S19_jS1A_jS1B_S1B_jjS1D_bEUljE0_EEESW_SX_SY_S15_S19_S1B_T6_T7_T9_mT8_S1D_bDpT10_ENKUlT_T0_E_clISt17integral_constantIbLb1EES1Q_IbLb0EEEEDaS1M_S1N_EUlS1M_E_NS1_11comp_targetILNS1_3genE8ELNS1_11target_archE1030ELNS1_3gpuE2ELNS1_3repE0EEENS1_30default_config_static_selectorELNS0_4arch9wavefront6targetE1EEEvSZ_.numbered_sgpr, 0
	.set _ZN7rocprim17ROCPRIM_400000_NS6detail17trampoline_kernelINS0_13select_configILj256ELj13ELNS0_17block_load_methodE3ELS4_3ELS4_3ELNS0_20block_scan_algorithmE0ELj4294967295EEENS1_25partition_config_selectorILNS1_17partition_subalgoE4EjNS0_10empty_typeEbEEZZNS1_14partition_implILS8_4ELb0ES6_15HIP_vector_typeIjLj2EENS0_17counting_iteratorIjlEEPS9_SG_NS0_5tupleIJPjSI_NS0_16reverse_iteratorISI_EEEEENSH_IJSG_SG_SG_EEES9_SI_JZNS1_25segmented_radix_sort_implINS0_14default_configELb0EPKlPlSQ_SR_N2at6native12_GLOBAL__N_18offset_tEEE10hipError_tPvRmT1_PNSt15iterator_traitsISZ_E10value_typeET2_T3_PNS10_IS15_E10value_typeET4_jRbjT5_S1B_jjP12ihipStream_tbEUljE_ZNSN_ISO_Lb0ESQ_SR_SQ_SR_SV_EESW_SX_SY_SZ_S13_S14_S15_S18_S19_jS1A_jS1B_S1B_jjS1D_bEUljE0_EEESW_SX_SY_S15_S19_S1B_T6_T7_T9_mT8_S1D_bDpT10_ENKUlT_T0_E_clISt17integral_constantIbLb1EES1Q_IbLb0EEEEDaS1M_S1N_EUlS1M_E_NS1_11comp_targetILNS1_3genE8ELNS1_11target_archE1030ELNS1_3gpuE2ELNS1_3repE0EEENS1_30default_config_static_selectorELNS0_4arch9wavefront6targetE1EEEvSZ_.num_named_barrier, 0
	.set _ZN7rocprim17ROCPRIM_400000_NS6detail17trampoline_kernelINS0_13select_configILj256ELj13ELNS0_17block_load_methodE3ELS4_3ELS4_3ELNS0_20block_scan_algorithmE0ELj4294967295EEENS1_25partition_config_selectorILNS1_17partition_subalgoE4EjNS0_10empty_typeEbEEZZNS1_14partition_implILS8_4ELb0ES6_15HIP_vector_typeIjLj2EENS0_17counting_iteratorIjlEEPS9_SG_NS0_5tupleIJPjSI_NS0_16reverse_iteratorISI_EEEEENSH_IJSG_SG_SG_EEES9_SI_JZNS1_25segmented_radix_sort_implINS0_14default_configELb0EPKlPlSQ_SR_N2at6native12_GLOBAL__N_18offset_tEEE10hipError_tPvRmT1_PNSt15iterator_traitsISZ_E10value_typeET2_T3_PNS10_IS15_E10value_typeET4_jRbjT5_S1B_jjP12ihipStream_tbEUljE_ZNSN_ISO_Lb0ESQ_SR_SQ_SR_SV_EESW_SX_SY_SZ_S13_S14_S15_S18_S19_jS1A_jS1B_S1B_jjS1D_bEUljE0_EEESW_SX_SY_S15_S19_S1B_T6_T7_T9_mT8_S1D_bDpT10_ENKUlT_T0_E_clISt17integral_constantIbLb1EES1Q_IbLb0EEEEDaS1M_S1N_EUlS1M_E_NS1_11comp_targetILNS1_3genE8ELNS1_11target_archE1030ELNS1_3gpuE2ELNS1_3repE0EEENS1_30default_config_static_selectorELNS0_4arch9wavefront6targetE1EEEvSZ_.private_seg_size, 0
	.set _ZN7rocprim17ROCPRIM_400000_NS6detail17trampoline_kernelINS0_13select_configILj256ELj13ELNS0_17block_load_methodE3ELS4_3ELS4_3ELNS0_20block_scan_algorithmE0ELj4294967295EEENS1_25partition_config_selectorILNS1_17partition_subalgoE4EjNS0_10empty_typeEbEEZZNS1_14partition_implILS8_4ELb0ES6_15HIP_vector_typeIjLj2EENS0_17counting_iteratorIjlEEPS9_SG_NS0_5tupleIJPjSI_NS0_16reverse_iteratorISI_EEEEENSH_IJSG_SG_SG_EEES9_SI_JZNS1_25segmented_radix_sort_implINS0_14default_configELb0EPKlPlSQ_SR_N2at6native12_GLOBAL__N_18offset_tEEE10hipError_tPvRmT1_PNSt15iterator_traitsISZ_E10value_typeET2_T3_PNS10_IS15_E10value_typeET4_jRbjT5_S1B_jjP12ihipStream_tbEUljE_ZNSN_ISO_Lb0ESQ_SR_SQ_SR_SV_EESW_SX_SY_SZ_S13_S14_S15_S18_S19_jS1A_jS1B_S1B_jjS1D_bEUljE0_EEESW_SX_SY_S15_S19_S1B_T6_T7_T9_mT8_S1D_bDpT10_ENKUlT_T0_E_clISt17integral_constantIbLb1EES1Q_IbLb0EEEEDaS1M_S1N_EUlS1M_E_NS1_11comp_targetILNS1_3genE8ELNS1_11target_archE1030ELNS1_3gpuE2ELNS1_3repE0EEENS1_30default_config_static_selectorELNS0_4arch9wavefront6targetE1EEEvSZ_.uses_vcc, 0
	.set _ZN7rocprim17ROCPRIM_400000_NS6detail17trampoline_kernelINS0_13select_configILj256ELj13ELNS0_17block_load_methodE3ELS4_3ELS4_3ELNS0_20block_scan_algorithmE0ELj4294967295EEENS1_25partition_config_selectorILNS1_17partition_subalgoE4EjNS0_10empty_typeEbEEZZNS1_14partition_implILS8_4ELb0ES6_15HIP_vector_typeIjLj2EENS0_17counting_iteratorIjlEEPS9_SG_NS0_5tupleIJPjSI_NS0_16reverse_iteratorISI_EEEEENSH_IJSG_SG_SG_EEES9_SI_JZNS1_25segmented_radix_sort_implINS0_14default_configELb0EPKlPlSQ_SR_N2at6native12_GLOBAL__N_18offset_tEEE10hipError_tPvRmT1_PNSt15iterator_traitsISZ_E10value_typeET2_T3_PNS10_IS15_E10value_typeET4_jRbjT5_S1B_jjP12ihipStream_tbEUljE_ZNSN_ISO_Lb0ESQ_SR_SQ_SR_SV_EESW_SX_SY_SZ_S13_S14_S15_S18_S19_jS1A_jS1B_S1B_jjS1D_bEUljE0_EEESW_SX_SY_S15_S19_S1B_T6_T7_T9_mT8_S1D_bDpT10_ENKUlT_T0_E_clISt17integral_constantIbLb1EES1Q_IbLb0EEEEDaS1M_S1N_EUlS1M_E_NS1_11comp_targetILNS1_3genE8ELNS1_11target_archE1030ELNS1_3gpuE2ELNS1_3repE0EEENS1_30default_config_static_selectorELNS0_4arch9wavefront6targetE1EEEvSZ_.uses_flat_scratch, 0
	.set _ZN7rocprim17ROCPRIM_400000_NS6detail17trampoline_kernelINS0_13select_configILj256ELj13ELNS0_17block_load_methodE3ELS4_3ELS4_3ELNS0_20block_scan_algorithmE0ELj4294967295EEENS1_25partition_config_selectorILNS1_17partition_subalgoE4EjNS0_10empty_typeEbEEZZNS1_14partition_implILS8_4ELb0ES6_15HIP_vector_typeIjLj2EENS0_17counting_iteratorIjlEEPS9_SG_NS0_5tupleIJPjSI_NS0_16reverse_iteratorISI_EEEEENSH_IJSG_SG_SG_EEES9_SI_JZNS1_25segmented_radix_sort_implINS0_14default_configELb0EPKlPlSQ_SR_N2at6native12_GLOBAL__N_18offset_tEEE10hipError_tPvRmT1_PNSt15iterator_traitsISZ_E10value_typeET2_T3_PNS10_IS15_E10value_typeET4_jRbjT5_S1B_jjP12ihipStream_tbEUljE_ZNSN_ISO_Lb0ESQ_SR_SQ_SR_SV_EESW_SX_SY_SZ_S13_S14_S15_S18_S19_jS1A_jS1B_S1B_jjS1D_bEUljE0_EEESW_SX_SY_S15_S19_S1B_T6_T7_T9_mT8_S1D_bDpT10_ENKUlT_T0_E_clISt17integral_constantIbLb1EES1Q_IbLb0EEEEDaS1M_S1N_EUlS1M_E_NS1_11comp_targetILNS1_3genE8ELNS1_11target_archE1030ELNS1_3gpuE2ELNS1_3repE0EEENS1_30default_config_static_selectorELNS0_4arch9wavefront6targetE1EEEvSZ_.has_dyn_sized_stack, 0
	.set _ZN7rocprim17ROCPRIM_400000_NS6detail17trampoline_kernelINS0_13select_configILj256ELj13ELNS0_17block_load_methodE3ELS4_3ELS4_3ELNS0_20block_scan_algorithmE0ELj4294967295EEENS1_25partition_config_selectorILNS1_17partition_subalgoE4EjNS0_10empty_typeEbEEZZNS1_14partition_implILS8_4ELb0ES6_15HIP_vector_typeIjLj2EENS0_17counting_iteratorIjlEEPS9_SG_NS0_5tupleIJPjSI_NS0_16reverse_iteratorISI_EEEEENSH_IJSG_SG_SG_EEES9_SI_JZNS1_25segmented_radix_sort_implINS0_14default_configELb0EPKlPlSQ_SR_N2at6native12_GLOBAL__N_18offset_tEEE10hipError_tPvRmT1_PNSt15iterator_traitsISZ_E10value_typeET2_T3_PNS10_IS15_E10value_typeET4_jRbjT5_S1B_jjP12ihipStream_tbEUljE_ZNSN_ISO_Lb0ESQ_SR_SQ_SR_SV_EESW_SX_SY_SZ_S13_S14_S15_S18_S19_jS1A_jS1B_S1B_jjS1D_bEUljE0_EEESW_SX_SY_S15_S19_S1B_T6_T7_T9_mT8_S1D_bDpT10_ENKUlT_T0_E_clISt17integral_constantIbLb1EES1Q_IbLb0EEEEDaS1M_S1N_EUlS1M_E_NS1_11comp_targetILNS1_3genE8ELNS1_11target_archE1030ELNS1_3gpuE2ELNS1_3repE0EEENS1_30default_config_static_selectorELNS0_4arch9wavefront6targetE1EEEvSZ_.has_recursion, 0
	.set _ZN7rocprim17ROCPRIM_400000_NS6detail17trampoline_kernelINS0_13select_configILj256ELj13ELNS0_17block_load_methodE3ELS4_3ELS4_3ELNS0_20block_scan_algorithmE0ELj4294967295EEENS1_25partition_config_selectorILNS1_17partition_subalgoE4EjNS0_10empty_typeEbEEZZNS1_14partition_implILS8_4ELb0ES6_15HIP_vector_typeIjLj2EENS0_17counting_iteratorIjlEEPS9_SG_NS0_5tupleIJPjSI_NS0_16reverse_iteratorISI_EEEEENSH_IJSG_SG_SG_EEES9_SI_JZNS1_25segmented_radix_sort_implINS0_14default_configELb0EPKlPlSQ_SR_N2at6native12_GLOBAL__N_18offset_tEEE10hipError_tPvRmT1_PNSt15iterator_traitsISZ_E10value_typeET2_T3_PNS10_IS15_E10value_typeET4_jRbjT5_S1B_jjP12ihipStream_tbEUljE_ZNSN_ISO_Lb0ESQ_SR_SQ_SR_SV_EESW_SX_SY_SZ_S13_S14_S15_S18_S19_jS1A_jS1B_S1B_jjS1D_bEUljE0_EEESW_SX_SY_S15_S19_S1B_T6_T7_T9_mT8_S1D_bDpT10_ENKUlT_T0_E_clISt17integral_constantIbLb1EES1Q_IbLb0EEEEDaS1M_S1N_EUlS1M_E_NS1_11comp_targetILNS1_3genE8ELNS1_11target_archE1030ELNS1_3gpuE2ELNS1_3repE0EEENS1_30default_config_static_selectorELNS0_4arch9wavefront6targetE1EEEvSZ_.has_indirect_call, 0
	.section	.AMDGPU.csdata,"",@progbits
; Kernel info:
; codeLenInByte = 0
; TotalNumSgprs: 4
; NumVgprs: 0
; ScratchSize: 0
; MemoryBound: 0
; FloatMode: 240
; IeeeMode: 1
; LDSByteSize: 0 bytes/workgroup (compile time only)
; SGPRBlocks: 0
; VGPRBlocks: 0
; NumSGPRsForWavesPerEU: 4
; NumVGPRsForWavesPerEU: 1
; Occupancy: 10
; WaveLimiterHint : 0
; COMPUTE_PGM_RSRC2:SCRATCH_EN: 0
; COMPUTE_PGM_RSRC2:USER_SGPR: 6
; COMPUTE_PGM_RSRC2:TRAP_HANDLER: 0
; COMPUTE_PGM_RSRC2:TGID_X_EN: 1
; COMPUTE_PGM_RSRC2:TGID_Y_EN: 0
; COMPUTE_PGM_RSRC2:TGID_Z_EN: 0
; COMPUTE_PGM_RSRC2:TIDIG_COMP_CNT: 0
	.section	.text._ZN7rocprim17ROCPRIM_400000_NS6detail17trampoline_kernelINS0_13select_configILj256ELj13ELNS0_17block_load_methodE3ELS4_3ELS4_3ELNS0_20block_scan_algorithmE0ELj4294967295EEENS1_25partition_config_selectorILNS1_17partition_subalgoE4EjNS0_10empty_typeEbEEZZNS1_14partition_implILS8_4ELb0ES6_15HIP_vector_typeIjLj2EENS0_17counting_iteratorIjlEEPS9_SG_NS0_5tupleIJPjSI_NS0_16reverse_iteratorISI_EEEEENSH_IJSG_SG_SG_EEES9_SI_JZNS1_25segmented_radix_sort_implINS0_14default_configELb0EPKlPlSQ_SR_N2at6native12_GLOBAL__N_18offset_tEEE10hipError_tPvRmT1_PNSt15iterator_traitsISZ_E10value_typeET2_T3_PNS10_IS15_E10value_typeET4_jRbjT5_S1B_jjP12ihipStream_tbEUljE_ZNSN_ISO_Lb0ESQ_SR_SQ_SR_SV_EESW_SX_SY_SZ_S13_S14_S15_S18_S19_jS1A_jS1B_S1B_jjS1D_bEUljE0_EEESW_SX_SY_S15_S19_S1B_T6_T7_T9_mT8_S1D_bDpT10_ENKUlT_T0_E_clISt17integral_constantIbLb0EES1Q_IbLb1EEEEDaS1M_S1N_EUlS1M_E_NS1_11comp_targetILNS1_3genE0ELNS1_11target_archE4294967295ELNS1_3gpuE0ELNS1_3repE0EEENS1_30default_config_static_selectorELNS0_4arch9wavefront6targetE1EEEvSZ_,"axG",@progbits,_ZN7rocprim17ROCPRIM_400000_NS6detail17trampoline_kernelINS0_13select_configILj256ELj13ELNS0_17block_load_methodE3ELS4_3ELS4_3ELNS0_20block_scan_algorithmE0ELj4294967295EEENS1_25partition_config_selectorILNS1_17partition_subalgoE4EjNS0_10empty_typeEbEEZZNS1_14partition_implILS8_4ELb0ES6_15HIP_vector_typeIjLj2EENS0_17counting_iteratorIjlEEPS9_SG_NS0_5tupleIJPjSI_NS0_16reverse_iteratorISI_EEEEENSH_IJSG_SG_SG_EEES9_SI_JZNS1_25segmented_radix_sort_implINS0_14default_configELb0EPKlPlSQ_SR_N2at6native12_GLOBAL__N_18offset_tEEE10hipError_tPvRmT1_PNSt15iterator_traitsISZ_E10value_typeET2_T3_PNS10_IS15_E10value_typeET4_jRbjT5_S1B_jjP12ihipStream_tbEUljE_ZNSN_ISO_Lb0ESQ_SR_SQ_SR_SV_EESW_SX_SY_SZ_S13_S14_S15_S18_S19_jS1A_jS1B_S1B_jjS1D_bEUljE0_EEESW_SX_SY_S15_S19_S1B_T6_T7_T9_mT8_S1D_bDpT10_ENKUlT_T0_E_clISt17integral_constantIbLb0EES1Q_IbLb1EEEEDaS1M_S1N_EUlS1M_E_NS1_11comp_targetILNS1_3genE0ELNS1_11target_archE4294967295ELNS1_3gpuE0ELNS1_3repE0EEENS1_30default_config_static_selectorELNS0_4arch9wavefront6targetE1EEEvSZ_,comdat
	.globl	_ZN7rocprim17ROCPRIM_400000_NS6detail17trampoline_kernelINS0_13select_configILj256ELj13ELNS0_17block_load_methodE3ELS4_3ELS4_3ELNS0_20block_scan_algorithmE0ELj4294967295EEENS1_25partition_config_selectorILNS1_17partition_subalgoE4EjNS0_10empty_typeEbEEZZNS1_14partition_implILS8_4ELb0ES6_15HIP_vector_typeIjLj2EENS0_17counting_iteratorIjlEEPS9_SG_NS0_5tupleIJPjSI_NS0_16reverse_iteratorISI_EEEEENSH_IJSG_SG_SG_EEES9_SI_JZNS1_25segmented_radix_sort_implINS0_14default_configELb0EPKlPlSQ_SR_N2at6native12_GLOBAL__N_18offset_tEEE10hipError_tPvRmT1_PNSt15iterator_traitsISZ_E10value_typeET2_T3_PNS10_IS15_E10value_typeET4_jRbjT5_S1B_jjP12ihipStream_tbEUljE_ZNSN_ISO_Lb0ESQ_SR_SQ_SR_SV_EESW_SX_SY_SZ_S13_S14_S15_S18_S19_jS1A_jS1B_S1B_jjS1D_bEUljE0_EEESW_SX_SY_S15_S19_S1B_T6_T7_T9_mT8_S1D_bDpT10_ENKUlT_T0_E_clISt17integral_constantIbLb0EES1Q_IbLb1EEEEDaS1M_S1N_EUlS1M_E_NS1_11comp_targetILNS1_3genE0ELNS1_11target_archE4294967295ELNS1_3gpuE0ELNS1_3repE0EEENS1_30default_config_static_selectorELNS0_4arch9wavefront6targetE1EEEvSZ_ ; -- Begin function _ZN7rocprim17ROCPRIM_400000_NS6detail17trampoline_kernelINS0_13select_configILj256ELj13ELNS0_17block_load_methodE3ELS4_3ELS4_3ELNS0_20block_scan_algorithmE0ELj4294967295EEENS1_25partition_config_selectorILNS1_17partition_subalgoE4EjNS0_10empty_typeEbEEZZNS1_14partition_implILS8_4ELb0ES6_15HIP_vector_typeIjLj2EENS0_17counting_iteratorIjlEEPS9_SG_NS0_5tupleIJPjSI_NS0_16reverse_iteratorISI_EEEEENSH_IJSG_SG_SG_EEES9_SI_JZNS1_25segmented_radix_sort_implINS0_14default_configELb0EPKlPlSQ_SR_N2at6native12_GLOBAL__N_18offset_tEEE10hipError_tPvRmT1_PNSt15iterator_traitsISZ_E10value_typeET2_T3_PNS10_IS15_E10value_typeET4_jRbjT5_S1B_jjP12ihipStream_tbEUljE_ZNSN_ISO_Lb0ESQ_SR_SQ_SR_SV_EESW_SX_SY_SZ_S13_S14_S15_S18_S19_jS1A_jS1B_S1B_jjS1D_bEUljE0_EEESW_SX_SY_S15_S19_S1B_T6_T7_T9_mT8_S1D_bDpT10_ENKUlT_T0_E_clISt17integral_constantIbLb0EES1Q_IbLb1EEEEDaS1M_S1N_EUlS1M_E_NS1_11comp_targetILNS1_3genE0ELNS1_11target_archE4294967295ELNS1_3gpuE0ELNS1_3repE0EEENS1_30default_config_static_selectorELNS0_4arch9wavefront6targetE1EEEvSZ_
	.p2align	8
	.type	_ZN7rocprim17ROCPRIM_400000_NS6detail17trampoline_kernelINS0_13select_configILj256ELj13ELNS0_17block_load_methodE3ELS4_3ELS4_3ELNS0_20block_scan_algorithmE0ELj4294967295EEENS1_25partition_config_selectorILNS1_17partition_subalgoE4EjNS0_10empty_typeEbEEZZNS1_14partition_implILS8_4ELb0ES6_15HIP_vector_typeIjLj2EENS0_17counting_iteratorIjlEEPS9_SG_NS0_5tupleIJPjSI_NS0_16reverse_iteratorISI_EEEEENSH_IJSG_SG_SG_EEES9_SI_JZNS1_25segmented_radix_sort_implINS0_14default_configELb0EPKlPlSQ_SR_N2at6native12_GLOBAL__N_18offset_tEEE10hipError_tPvRmT1_PNSt15iterator_traitsISZ_E10value_typeET2_T3_PNS10_IS15_E10value_typeET4_jRbjT5_S1B_jjP12ihipStream_tbEUljE_ZNSN_ISO_Lb0ESQ_SR_SQ_SR_SV_EESW_SX_SY_SZ_S13_S14_S15_S18_S19_jS1A_jS1B_S1B_jjS1D_bEUljE0_EEESW_SX_SY_S15_S19_S1B_T6_T7_T9_mT8_S1D_bDpT10_ENKUlT_T0_E_clISt17integral_constantIbLb0EES1Q_IbLb1EEEEDaS1M_S1N_EUlS1M_E_NS1_11comp_targetILNS1_3genE0ELNS1_11target_archE4294967295ELNS1_3gpuE0ELNS1_3repE0EEENS1_30default_config_static_selectorELNS0_4arch9wavefront6targetE1EEEvSZ_,@function
_ZN7rocprim17ROCPRIM_400000_NS6detail17trampoline_kernelINS0_13select_configILj256ELj13ELNS0_17block_load_methodE3ELS4_3ELS4_3ELNS0_20block_scan_algorithmE0ELj4294967295EEENS1_25partition_config_selectorILNS1_17partition_subalgoE4EjNS0_10empty_typeEbEEZZNS1_14partition_implILS8_4ELb0ES6_15HIP_vector_typeIjLj2EENS0_17counting_iteratorIjlEEPS9_SG_NS0_5tupleIJPjSI_NS0_16reverse_iteratorISI_EEEEENSH_IJSG_SG_SG_EEES9_SI_JZNS1_25segmented_radix_sort_implINS0_14default_configELb0EPKlPlSQ_SR_N2at6native12_GLOBAL__N_18offset_tEEE10hipError_tPvRmT1_PNSt15iterator_traitsISZ_E10value_typeET2_T3_PNS10_IS15_E10value_typeET4_jRbjT5_S1B_jjP12ihipStream_tbEUljE_ZNSN_ISO_Lb0ESQ_SR_SQ_SR_SV_EESW_SX_SY_SZ_S13_S14_S15_S18_S19_jS1A_jS1B_S1B_jjS1D_bEUljE0_EEESW_SX_SY_S15_S19_S1B_T6_T7_T9_mT8_S1D_bDpT10_ENKUlT_T0_E_clISt17integral_constantIbLb0EES1Q_IbLb1EEEEDaS1M_S1N_EUlS1M_E_NS1_11comp_targetILNS1_3genE0ELNS1_11target_archE4294967295ELNS1_3gpuE0ELNS1_3repE0EEENS1_30default_config_static_selectorELNS0_4arch9wavefront6targetE1EEEvSZ_: ; @_ZN7rocprim17ROCPRIM_400000_NS6detail17trampoline_kernelINS0_13select_configILj256ELj13ELNS0_17block_load_methodE3ELS4_3ELS4_3ELNS0_20block_scan_algorithmE0ELj4294967295EEENS1_25partition_config_selectorILNS1_17partition_subalgoE4EjNS0_10empty_typeEbEEZZNS1_14partition_implILS8_4ELb0ES6_15HIP_vector_typeIjLj2EENS0_17counting_iteratorIjlEEPS9_SG_NS0_5tupleIJPjSI_NS0_16reverse_iteratorISI_EEEEENSH_IJSG_SG_SG_EEES9_SI_JZNS1_25segmented_radix_sort_implINS0_14default_configELb0EPKlPlSQ_SR_N2at6native12_GLOBAL__N_18offset_tEEE10hipError_tPvRmT1_PNSt15iterator_traitsISZ_E10value_typeET2_T3_PNS10_IS15_E10value_typeET4_jRbjT5_S1B_jjP12ihipStream_tbEUljE_ZNSN_ISO_Lb0ESQ_SR_SQ_SR_SV_EESW_SX_SY_SZ_S13_S14_S15_S18_S19_jS1A_jS1B_S1B_jjS1D_bEUljE0_EEESW_SX_SY_S15_S19_S1B_T6_T7_T9_mT8_S1D_bDpT10_ENKUlT_T0_E_clISt17integral_constantIbLb0EES1Q_IbLb1EEEEDaS1M_S1N_EUlS1M_E_NS1_11comp_targetILNS1_3genE0ELNS1_11target_archE4294967295ELNS1_3gpuE0ELNS1_3repE0EEENS1_30default_config_static_selectorELNS0_4arch9wavefront6targetE1EEEvSZ_
; %bb.0:
	.section	.rodata,"a",@progbits
	.p2align	6, 0x0
	.amdhsa_kernel _ZN7rocprim17ROCPRIM_400000_NS6detail17trampoline_kernelINS0_13select_configILj256ELj13ELNS0_17block_load_methodE3ELS4_3ELS4_3ELNS0_20block_scan_algorithmE0ELj4294967295EEENS1_25partition_config_selectorILNS1_17partition_subalgoE4EjNS0_10empty_typeEbEEZZNS1_14partition_implILS8_4ELb0ES6_15HIP_vector_typeIjLj2EENS0_17counting_iteratorIjlEEPS9_SG_NS0_5tupleIJPjSI_NS0_16reverse_iteratorISI_EEEEENSH_IJSG_SG_SG_EEES9_SI_JZNS1_25segmented_radix_sort_implINS0_14default_configELb0EPKlPlSQ_SR_N2at6native12_GLOBAL__N_18offset_tEEE10hipError_tPvRmT1_PNSt15iterator_traitsISZ_E10value_typeET2_T3_PNS10_IS15_E10value_typeET4_jRbjT5_S1B_jjP12ihipStream_tbEUljE_ZNSN_ISO_Lb0ESQ_SR_SQ_SR_SV_EESW_SX_SY_SZ_S13_S14_S15_S18_S19_jS1A_jS1B_S1B_jjS1D_bEUljE0_EEESW_SX_SY_S15_S19_S1B_T6_T7_T9_mT8_S1D_bDpT10_ENKUlT_T0_E_clISt17integral_constantIbLb0EES1Q_IbLb1EEEEDaS1M_S1N_EUlS1M_E_NS1_11comp_targetILNS1_3genE0ELNS1_11target_archE4294967295ELNS1_3gpuE0ELNS1_3repE0EEENS1_30default_config_static_selectorELNS0_4arch9wavefront6targetE1EEEvSZ_
		.amdhsa_group_segment_fixed_size 0
		.amdhsa_private_segment_fixed_size 0
		.amdhsa_kernarg_size 184
		.amdhsa_user_sgpr_count 6
		.amdhsa_user_sgpr_private_segment_buffer 1
		.amdhsa_user_sgpr_dispatch_ptr 0
		.amdhsa_user_sgpr_queue_ptr 0
		.amdhsa_user_sgpr_kernarg_segment_ptr 1
		.amdhsa_user_sgpr_dispatch_id 0
		.amdhsa_user_sgpr_flat_scratch_init 0
		.amdhsa_user_sgpr_private_segment_size 0
		.amdhsa_uses_dynamic_stack 0
		.amdhsa_system_sgpr_private_segment_wavefront_offset 0
		.amdhsa_system_sgpr_workgroup_id_x 1
		.amdhsa_system_sgpr_workgroup_id_y 0
		.amdhsa_system_sgpr_workgroup_id_z 0
		.amdhsa_system_sgpr_workgroup_info 0
		.amdhsa_system_vgpr_workitem_id 0
		.amdhsa_next_free_vgpr 1
		.amdhsa_next_free_sgpr 0
		.amdhsa_reserve_vcc 0
		.amdhsa_reserve_flat_scratch 0
		.amdhsa_float_round_mode_32 0
		.amdhsa_float_round_mode_16_64 0
		.amdhsa_float_denorm_mode_32 3
		.amdhsa_float_denorm_mode_16_64 3
		.amdhsa_dx10_clamp 1
		.amdhsa_ieee_mode 1
		.amdhsa_fp16_overflow 0
		.amdhsa_exception_fp_ieee_invalid_op 0
		.amdhsa_exception_fp_denorm_src 0
		.amdhsa_exception_fp_ieee_div_zero 0
		.amdhsa_exception_fp_ieee_overflow 0
		.amdhsa_exception_fp_ieee_underflow 0
		.amdhsa_exception_fp_ieee_inexact 0
		.amdhsa_exception_int_div_zero 0
	.end_amdhsa_kernel
	.section	.text._ZN7rocprim17ROCPRIM_400000_NS6detail17trampoline_kernelINS0_13select_configILj256ELj13ELNS0_17block_load_methodE3ELS4_3ELS4_3ELNS0_20block_scan_algorithmE0ELj4294967295EEENS1_25partition_config_selectorILNS1_17partition_subalgoE4EjNS0_10empty_typeEbEEZZNS1_14partition_implILS8_4ELb0ES6_15HIP_vector_typeIjLj2EENS0_17counting_iteratorIjlEEPS9_SG_NS0_5tupleIJPjSI_NS0_16reverse_iteratorISI_EEEEENSH_IJSG_SG_SG_EEES9_SI_JZNS1_25segmented_radix_sort_implINS0_14default_configELb0EPKlPlSQ_SR_N2at6native12_GLOBAL__N_18offset_tEEE10hipError_tPvRmT1_PNSt15iterator_traitsISZ_E10value_typeET2_T3_PNS10_IS15_E10value_typeET4_jRbjT5_S1B_jjP12ihipStream_tbEUljE_ZNSN_ISO_Lb0ESQ_SR_SQ_SR_SV_EESW_SX_SY_SZ_S13_S14_S15_S18_S19_jS1A_jS1B_S1B_jjS1D_bEUljE0_EEESW_SX_SY_S15_S19_S1B_T6_T7_T9_mT8_S1D_bDpT10_ENKUlT_T0_E_clISt17integral_constantIbLb0EES1Q_IbLb1EEEEDaS1M_S1N_EUlS1M_E_NS1_11comp_targetILNS1_3genE0ELNS1_11target_archE4294967295ELNS1_3gpuE0ELNS1_3repE0EEENS1_30default_config_static_selectorELNS0_4arch9wavefront6targetE1EEEvSZ_,"axG",@progbits,_ZN7rocprim17ROCPRIM_400000_NS6detail17trampoline_kernelINS0_13select_configILj256ELj13ELNS0_17block_load_methodE3ELS4_3ELS4_3ELNS0_20block_scan_algorithmE0ELj4294967295EEENS1_25partition_config_selectorILNS1_17partition_subalgoE4EjNS0_10empty_typeEbEEZZNS1_14partition_implILS8_4ELb0ES6_15HIP_vector_typeIjLj2EENS0_17counting_iteratorIjlEEPS9_SG_NS0_5tupleIJPjSI_NS0_16reverse_iteratorISI_EEEEENSH_IJSG_SG_SG_EEES9_SI_JZNS1_25segmented_radix_sort_implINS0_14default_configELb0EPKlPlSQ_SR_N2at6native12_GLOBAL__N_18offset_tEEE10hipError_tPvRmT1_PNSt15iterator_traitsISZ_E10value_typeET2_T3_PNS10_IS15_E10value_typeET4_jRbjT5_S1B_jjP12ihipStream_tbEUljE_ZNSN_ISO_Lb0ESQ_SR_SQ_SR_SV_EESW_SX_SY_SZ_S13_S14_S15_S18_S19_jS1A_jS1B_S1B_jjS1D_bEUljE0_EEESW_SX_SY_S15_S19_S1B_T6_T7_T9_mT8_S1D_bDpT10_ENKUlT_T0_E_clISt17integral_constantIbLb0EES1Q_IbLb1EEEEDaS1M_S1N_EUlS1M_E_NS1_11comp_targetILNS1_3genE0ELNS1_11target_archE4294967295ELNS1_3gpuE0ELNS1_3repE0EEENS1_30default_config_static_selectorELNS0_4arch9wavefront6targetE1EEEvSZ_,comdat
.Lfunc_end767:
	.size	_ZN7rocprim17ROCPRIM_400000_NS6detail17trampoline_kernelINS0_13select_configILj256ELj13ELNS0_17block_load_methodE3ELS4_3ELS4_3ELNS0_20block_scan_algorithmE0ELj4294967295EEENS1_25partition_config_selectorILNS1_17partition_subalgoE4EjNS0_10empty_typeEbEEZZNS1_14partition_implILS8_4ELb0ES6_15HIP_vector_typeIjLj2EENS0_17counting_iteratorIjlEEPS9_SG_NS0_5tupleIJPjSI_NS0_16reverse_iteratorISI_EEEEENSH_IJSG_SG_SG_EEES9_SI_JZNS1_25segmented_radix_sort_implINS0_14default_configELb0EPKlPlSQ_SR_N2at6native12_GLOBAL__N_18offset_tEEE10hipError_tPvRmT1_PNSt15iterator_traitsISZ_E10value_typeET2_T3_PNS10_IS15_E10value_typeET4_jRbjT5_S1B_jjP12ihipStream_tbEUljE_ZNSN_ISO_Lb0ESQ_SR_SQ_SR_SV_EESW_SX_SY_SZ_S13_S14_S15_S18_S19_jS1A_jS1B_S1B_jjS1D_bEUljE0_EEESW_SX_SY_S15_S19_S1B_T6_T7_T9_mT8_S1D_bDpT10_ENKUlT_T0_E_clISt17integral_constantIbLb0EES1Q_IbLb1EEEEDaS1M_S1N_EUlS1M_E_NS1_11comp_targetILNS1_3genE0ELNS1_11target_archE4294967295ELNS1_3gpuE0ELNS1_3repE0EEENS1_30default_config_static_selectorELNS0_4arch9wavefront6targetE1EEEvSZ_, .Lfunc_end767-_ZN7rocprim17ROCPRIM_400000_NS6detail17trampoline_kernelINS0_13select_configILj256ELj13ELNS0_17block_load_methodE3ELS4_3ELS4_3ELNS0_20block_scan_algorithmE0ELj4294967295EEENS1_25partition_config_selectorILNS1_17partition_subalgoE4EjNS0_10empty_typeEbEEZZNS1_14partition_implILS8_4ELb0ES6_15HIP_vector_typeIjLj2EENS0_17counting_iteratorIjlEEPS9_SG_NS0_5tupleIJPjSI_NS0_16reverse_iteratorISI_EEEEENSH_IJSG_SG_SG_EEES9_SI_JZNS1_25segmented_radix_sort_implINS0_14default_configELb0EPKlPlSQ_SR_N2at6native12_GLOBAL__N_18offset_tEEE10hipError_tPvRmT1_PNSt15iterator_traitsISZ_E10value_typeET2_T3_PNS10_IS15_E10value_typeET4_jRbjT5_S1B_jjP12ihipStream_tbEUljE_ZNSN_ISO_Lb0ESQ_SR_SQ_SR_SV_EESW_SX_SY_SZ_S13_S14_S15_S18_S19_jS1A_jS1B_S1B_jjS1D_bEUljE0_EEESW_SX_SY_S15_S19_S1B_T6_T7_T9_mT8_S1D_bDpT10_ENKUlT_T0_E_clISt17integral_constantIbLb0EES1Q_IbLb1EEEEDaS1M_S1N_EUlS1M_E_NS1_11comp_targetILNS1_3genE0ELNS1_11target_archE4294967295ELNS1_3gpuE0ELNS1_3repE0EEENS1_30default_config_static_selectorELNS0_4arch9wavefront6targetE1EEEvSZ_
                                        ; -- End function
	.set _ZN7rocprim17ROCPRIM_400000_NS6detail17trampoline_kernelINS0_13select_configILj256ELj13ELNS0_17block_load_methodE3ELS4_3ELS4_3ELNS0_20block_scan_algorithmE0ELj4294967295EEENS1_25partition_config_selectorILNS1_17partition_subalgoE4EjNS0_10empty_typeEbEEZZNS1_14partition_implILS8_4ELb0ES6_15HIP_vector_typeIjLj2EENS0_17counting_iteratorIjlEEPS9_SG_NS0_5tupleIJPjSI_NS0_16reverse_iteratorISI_EEEEENSH_IJSG_SG_SG_EEES9_SI_JZNS1_25segmented_radix_sort_implINS0_14default_configELb0EPKlPlSQ_SR_N2at6native12_GLOBAL__N_18offset_tEEE10hipError_tPvRmT1_PNSt15iterator_traitsISZ_E10value_typeET2_T3_PNS10_IS15_E10value_typeET4_jRbjT5_S1B_jjP12ihipStream_tbEUljE_ZNSN_ISO_Lb0ESQ_SR_SQ_SR_SV_EESW_SX_SY_SZ_S13_S14_S15_S18_S19_jS1A_jS1B_S1B_jjS1D_bEUljE0_EEESW_SX_SY_S15_S19_S1B_T6_T7_T9_mT8_S1D_bDpT10_ENKUlT_T0_E_clISt17integral_constantIbLb0EES1Q_IbLb1EEEEDaS1M_S1N_EUlS1M_E_NS1_11comp_targetILNS1_3genE0ELNS1_11target_archE4294967295ELNS1_3gpuE0ELNS1_3repE0EEENS1_30default_config_static_selectorELNS0_4arch9wavefront6targetE1EEEvSZ_.num_vgpr, 0
	.set _ZN7rocprim17ROCPRIM_400000_NS6detail17trampoline_kernelINS0_13select_configILj256ELj13ELNS0_17block_load_methodE3ELS4_3ELS4_3ELNS0_20block_scan_algorithmE0ELj4294967295EEENS1_25partition_config_selectorILNS1_17partition_subalgoE4EjNS0_10empty_typeEbEEZZNS1_14partition_implILS8_4ELb0ES6_15HIP_vector_typeIjLj2EENS0_17counting_iteratorIjlEEPS9_SG_NS0_5tupleIJPjSI_NS0_16reverse_iteratorISI_EEEEENSH_IJSG_SG_SG_EEES9_SI_JZNS1_25segmented_radix_sort_implINS0_14default_configELb0EPKlPlSQ_SR_N2at6native12_GLOBAL__N_18offset_tEEE10hipError_tPvRmT1_PNSt15iterator_traitsISZ_E10value_typeET2_T3_PNS10_IS15_E10value_typeET4_jRbjT5_S1B_jjP12ihipStream_tbEUljE_ZNSN_ISO_Lb0ESQ_SR_SQ_SR_SV_EESW_SX_SY_SZ_S13_S14_S15_S18_S19_jS1A_jS1B_S1B_jjS1D_bEUljE0_EEESW_SX_SY_S15_S19_S1B_T6_T7_T9_mT8_S1D_bDpT10_ENKUlT_T0_E_clISt17integral_constantIbLb0EES1Q_IbLb1EEEEDaS1M_S1N_EUlS1M_E_NS1_11comp_targetILNS1_3genE0ELNS1_11target_archE4294967295ELNS1_3gpuE0ELNS1_3repE0EEENS1_30default_config_static_selectorELNS0_4arch9wavefront6targetE1EEEvSZ_.num_agpr, 0
	.set _ZN7rocprim17ROCPRIM_400000_NS6detail17trampoline_kernelINS0_13select_configILj256ELj13ELNS0_17block_load_methodE3ELS4_3ELS4_3ELNS0_20block_scan_algorithmE0ELj4294967295EEENS1_25partition_config_selectorILNS1_17partition_subalgoE4EjNS0_10empty_typeEbEEZZNS1_14partition_implILS8_4ELb0ES6_15HIP_vector_typeIjLj2EENS0_17counting_iteratorIjlEEPS9_SG_NS0_5tupleIJPjSI_NS0_16reverse_iteratorISI_EEEEENSH_IJSG_SG_SG_EEES9_SI_JZNS1_25segmented_radix_sort_implINS0_14default_configELb0EPKlPlSQ_SR_N2at6native12_GLOBAL__N_18offset_tEEE10hipError_tPvRmT1_PNSt15iterator_traitsISZ_E10value_typeET2_T3_PNS10_IS15_E10value_typeET4_jRbjT5_S1B_jjP12ihipStream_tbEUljE_ZNSN_ISO_Lb0ESQ_SR_SQ_SR_SV_EESW_SX_SY_SZ_S13_S14_S15_S18_S19_jS1A_jS1B_S1B_jjS1D_bEUljE0_EEESW_SX_SY_S15_S19_S1B_T6_T7_T9_mT8_S1D_bDpT10_ENKUlT_T0_E_clISt17integral_constantIbLb0EES1Q_IbLb1EEEEDaS1M_S1N_EUlS1M_E_NS1_11comp_targetILNS1_3genE0ELNS1_11target_archE4294967295ELNS1_3gpuE0ELNS1_3repE0EEENS1_30default_config_static_selectorELNS0_4arch9wavefront6targetE1EEEvSZ_.numbered_sgpr, 0
	.set _ZN7rocprim17ROCPRIM_400000_NS6detail17trampoline_kernelINS0_13select_configILj256ELj13ELNS0_17block_load_methodE3ELS4_3ELS4_3ELNS0_20block_scan_algorithmE0ELj4294967295EEENS1_25partition_config_selectorILNS1_17partition_subalgoE4EjNS0_10empty_typeEbEEZZNS1_14partition_implILS8_4ELb0ES6_15HIP_vector_typeIjLj2EENS0_17counting_iteratorIjlEEPS9_SG_NS0_5tupleIJPjSI_NS0_16reverse_iteratorISI_EEEEENSH_IJSG_SG_SG_EEES9_SI_JZNS1_25segmented_radix_sort_implINS0_14default_configELb0EPKlPlSQ_SR_N2at6native12_GLOBAL__N_18offset_tEEE10hipError_tPvRmT1_PNSt15iterator_traitsISZ_E10value_typeET2_T3_PNS10_IS15_E10value_typeET4_jRbjT5_S1B_jjP12ihipStream_tbEUljE_ZNSN_ISO_Lb0ESQ_SR_SQ_SR_SV_EESW_SX_SY_SZ_S13_S14_S15_S18_S19_jS1A_jS1B_S1B_jjS1D_bEUljE0_EEESW_SX_SY_S15_S19_S1B_T6_T7_T9_mT8_S1D_bDpT10_ENKUlT_T0_E_clISt17integral_constantIbLb0EES1Q_IbLb1EEEEDaS1M_S1N_EUlS1M_E_NS1_11comp_targetILNS1_3genE0ELNS1_11target_archE4294967295ELNS1_3gpuE0ELNS1_3repE0EEENS1_30default_config_static_selectorELNS0_4arch9wavefront6targetE1EEEvSZ_.num_named_barrier, 0
	.set _ZN7rocprim17ROCPRIM_400000_NS6detail17trampoline_kernelINS0_13select_configILj256ELj13ELNS0_17block_load_methodE3ELS4_3ELS4_3ELNS0_20block_scan_algorithmE0ELj4294967295EEENS1_25partition_config_selectorILNS1_17partition_subalgoE4EjNS0_10empty_typeEbEEZZNS1_14partition_implILS8_4ELb0ES6_15HIP_vector_typeIjLj2EENS0_17counting_iteratorIjlEEPS9_SG_NS0_5tupleIJPjSI_NS0_16reverse_iteratorISI_EEEEENSH_IJSG_SG_SG_EEES9_SI_JZNS1_25segmented_radix_sort_implINS0_14default_configELb0EPKlPlSQ_SR_N2at6native12_GLOBAL__N_18offset_tEEE10hipError_tPvRmT1_PNSt15iterator_traitsISZ_E10value_typeET2_T3_PNS10_IS15_E10value_typeET4_jRbjT5_S1B_jjP12ihipStream_tbEUljE_ZNSN_ISO_Lb0ESQ_SR_SQ_SR_SV_EESW_SX_SY_SZ_S13_S14_S15_S18_S19_jS1A_jS1B_S1B_jjS1D_bEUljE0_EEESW_SX_SY_S15_S19_S1B_T6_T7_T9_mT8_S1D_bDpT10_ENKUlT_T0_E_clISt17integral_constantIbLb0EES1Q_IbLb1EEEEDaS1M_S1N_EUlS1M_E_NS1_11comp_targetILNS1_3genE0ELNS1_11target_archE4294967295ELNS1_3gpuE0ELNS1_3repE0EEENS1_30default_config_static_selectorELNS0_4arch9wavefront6targetE1EEEvSZ_.private_seg_size, 0
	.set _ZN7rocprim17ROCPRIM_400000_NS6detail17trampoline_kernelINS0_13select_configILj256ELj13ELNS0_17block_load_methodE3ELS4_3ELS4_3ELNS0_20block_scan_algorithmE0ELj4294967295EEENS1_25partition_config_selectorILNS1_17partition_subalgoE4EjNS0_10empty_typeEbEEZZNS1_14partition_implILS8_4ELb0ES6_15HIP_vector_typeIjLj2EENS0_17counting_iteratorIjlEEPS9_SG_NS0_5tupleIJPjSI_NS0_16reverse_iteratorISI_EEEEENSH_IJSG_SG_SG_EEES9_SI_JZNS1_25segmented_radix_sort_implINS0_14default_configELb0EPKlPlSQ_SR_N2at6native12_GLOBAL__N_18offset_tEEE10hipError_tPvRmT1_PNSt15iterator_traitsISZ_E10value_typeET2_T3_PNS10_IS15_E10value_typeET4_jRbjT5_S1B_jjP12ihipStream_tbEUljE_ZNSN_ISO_Lb0ESQ_SR_SQ_SR_SV_EESW_SX_SY_SZ_S13_S14_S15_S18_S19_jS1A_jS1B_S1B_jjS1D_bEUljE0_EEESW_SX_SY_S15_S19_S1B_T6_T7_T9_mT8_S1D_bDpT10_ENKUlT_T0_E_clISt17integral_constantIbLb0EES1Q_IbLb1EEEEDaS1M_S1N_EUlS1M_E_NS1_11comp_targetILNS1_3genE0ELNS1_11target_archE4294967295ELNS1_3gpuE0ELNS1_3repE0EEENS1_30default_config_static_selectorELNS0_4arch9wavefront6targetE1EEEvSZ_.uses_vcc, 0
	.set _ZN7rocprim17ROCPRIM_400000_NS6detail17trampoline_kernelINS0_13select_configILj256ELj13ELNS0_17block_load_methodE3ELS4_3ELS4_3ELNS0_20block_scan_algorithmE0ELj4294967295EEENS1_25partition_config_selectorILNS1_17partition_subalgoE4EjNS0_10empty_typeEbEEZZNS1_14partition_implILS8_4ELb0ES6_15HIP_vector_typeIjLj2EENS0_17counting_iteratorIjlEEPS9_SG_NS0_5tupleIJPjSI_NS0_16reverse_iteratorISI_EEEEENSH_IJSG_SG_SG_EEES9_SI_JZNS1_25segmented_radix_sort_implINS0_14default_configELb0EPKlPlSQ_SR_N2at6native12_GLOBAL__N_18offset_tEEE10hipError_tPvRmT1_PNSt15iterator_traitsISZ_E10value_typeET2_T3_PNS10_IS15_E10value_typeET4_jRbjT5_S1B_jjP12ihipStream_tbEUljE_ZNSN_ISO_Lb0ESQ_SR_SQ_SR_SV_EESW_SX_SY_SZ_S13_S14_S15_S18_S19_jS1A_jS1B_S1B_jjS1D_bEUljE0_EEESW_SX_SY_S15_S19_S1B_T6_T7_T9_mT8_S1D_bDpT10_ENKUlT_T0_E_clISt17integral_constantIbLb0EES1Q_IbLb1EEEEDaS1M_S1N_EUlS1M_E_NS1_11comp_targetILNS1_3genE0ELNS1_11target_archE4294967295ELNS1_3gpuE0ELNS1_3repE0EEENS1_30default_config_static_selectorELNS0_4arch9wavefront6targetE1EEEvSZ_.uses_flat_scratch, 0
	.set _ZN7rocprim17ROCPRIM_400000_NS6detail17trampoline_kernelINS0_13select_configILj256ELj13ELNS0_17block_load_methodE3ELS4_3ELS4_3ELNS0_20block_scan_algorithmE0ELj4294967295EEENS1_25partition_config_selectorILNS1_17partition_subalgoE4EjNS0_10empty_typeEbEEZZNS1_14partition_implILS8_4ELb0ES6_15HIP_vector_typeIjLj2EENS0_17counting_iteratorIjlEEPS9_SG_NS0_5tupleIJPjSI_NS0_16reverse_iteratorISI_EEEEENSH_IJSG_SG_SG_EEES9_SI_JZNS1_25segmented_radix_sort_implINS0_14default_configELb0EPKlPlSQ_SR_N2at6native12_GLOBAL__N_18offset_tEEE10hipError_tPvRmT1_PNSt15iterator_traitsISZ_E10value_typeET2_T3_PNS10_IS15_E10value_typeET4_jRbjT5_S1B_jjP12ihipStream_tbEUljE_ZNSN_ISO_Lb0ESQ_SR_SQ_SR_SV_EESW_SX_SY_SZ_S13_S14_S15_S18_S19_jS1A_jS1B_S1B_jjS1D_bEUljE0_EEESW_SX_SY_S15_S19_S1B_T6_T7_T9_mT8_S1D_bDpT10_ENKUlT_T0_E_clISt17integral_constantIbLb0EES1Q_IbLb1EEEEDaS1M_S1N_EUlS1M_E_NS1_11comp_targetILNS1_3genE0ELNS1_11target_archE4294967295ELNS1_3gpuE0ELNS1_3repE0EEENS1_30default_config_static_selectorELNS0_4arch9wavefront6targetE1EEEvSZ_.has_dyn_sized_stack, 0
	.set _ZN7rocprim17ROCPRIM_400000_NS6detail17trampoline_kernelINS0_13select_configILj256ELj13ELNS0_17block_load_methodE3ELS4_3ELS4_3ELNS0_20block_scan_algorithmE0ELj4294967295EEENS1_25partition_config_selectorILNS1_17partition_subalgoE4EjNS0_10empty_typeEbEEZZNS1_14partition_implILS8_4ELb0ES6_15HIP_vector_typeIjLj2EENS0_17counting_iteratorIjlEEPS9_SG_NS0_5tupleIJPjSI_NS0_16reverse_iteratorISI_EEEEENSH_IJSG_SG_SG_EEES9_SI_JZNS1_25segmented_radix_sort_implINS0_14default_configELb0EPKlPlSQ_SR_N2at6native12_GLOBAL__N_18offset_tEEE10hipError_tPvRmT1_PNSt15iterator_traitsISZ_E10value_typeET2_T3_PNS10_IS15_E10value_typeET4_jRbjT5_S1B_jjP12ihipStream_tbEUljE_ZNSN_ISO_Lb0ESQ_SR_SQ_SR_SV_EESW_SX_SY_SZ_S13_S14_S15_S18_S19_jS1A_jS1B_S1B_jjS1D_bEUljE0_EEESW_SX_SY_S15_S19_S1B_T6_T7_T9_mT8_S1D_bDpT10_ENKUlT_T0_E_clISt17integral_constantIbLb0EES1Q_IbLb1EEEEDaS1M_S1N_EUlS1M_E_NS1_11comp_targetILNS1_3genE0ELNS1_11target_archE4294967295ELNS1_3gpuE0ELNS1_3repE0EEENS1_30default_config_static_selectorELNS0_4arch9wavefront6targetE1EEEvSZ_.has_recursion, 0
	.set _ZN7rocprim17ROCPRIM_400000_NS6detail17trampoline_kernelINS0_13select_configILj256ELj13ELNS0_17block_load_methodE3ELS4_3ELS4_3ELNS0_20block_scan_algorithmE0ELj4294967295EEENS1_25partition_config_selectorILNS1_17partition_subalgoE4EjNS0_10empty_typeEbEEZZNS1_14partition_implILS8_4ELb0ES6_15HIP_vector_typeIjLj2EENS0_17counting_iteratorIjlEEPS9_SG_NS0_5tupleIJPjSI_NS0_16reverse_iteratorISI_EEEEENSH_IJSG_SG_SG_EEES9_SI_JZNS1_25segmented_radix_sort_implINS0_14default_configELb0EPKlPlSQ_SR_N2at6native12_GLOBAL__N_18offset_tEEE10hipError_tPvRmT1_PNSt15iterator_traitsISZ_E10value_typeET2_T3_PNS10_IS15_E10value_typeET4_jRbjT5_S1B_jjP12ihipStream_tbEUljE_ZNSN_ISO_Lb0ESQ_SR_SQ_SR_SV_EESW_SX_SY_SZ_S13_S14_S15_S18_S19_jS1A_jS1B_S1B_jjS1D_bEUljE0_EEESW_SX_SY_S15_S19_S1B_T6_T7_T9_mT8_S1D_bDpT10_ENKUlT_T0_E_clISt17integral_constantIbLb0EES1Q_IbLb1EEEEDaS1M_S1N_EUlS1M_E_NS1_11comp_targetILNS1_3genE0ELNS1_11target_archE4294967295ELNS1_3gpuE0ELNS1_3repE0EEENS1_30default_config_static_selectorELNS0_4arch9wavefront6targetE1EEEvSZ_.has_indirect_call, 0
	.section	.AMDGPU.csdata,"",@progbits
; Kernel info:
; codeLenInByte = 0
; TotalNumSgprs: 4
; NumVgprs: 0
; ScratchSize: 0
; MemoryBound: 0
; FloatMode: 240
; IeeeMode: 1
; LDSByteSize: 0 bytes/workgroup (compile time only)
; SGPRBlocks: 0
; VGPRBlocks: 0
; NumSGPRsForWavesPerEU: 4
; NumVGPRsForWavesPerEU: 1
; Occupancy: 10
; WaveLimiterHint : 0
; COMPUTE_PGM_RSRC2:SCRATCH_EN: 0
; COMPUTE_PGM_RSRC2:USER_SGPR: 6
; COMPUTE_PGM_RSRC2:TRAP_HANDLER: 0
; COMPUTE_PGM_RSRC2:TGID_X_EN: 1
; COMPUTE_PGM_RSRC2:TGID_Y_EN: 0
; COMPUTE_PGM_RSRC2:TGID_Z_EN: 0
; COMPUTE_PGM_RSRC2:TIDIG_COMP_CNT: 0
	.section	.text._ZN7rocprim17ROCPRIM_400000_NS6detail17trampoline_kernelINS0_13select_configILj256ELj13ELNS0_17block_load_methodE3ELS4_3ELS4_3ELNS0_20block_scan_algorithmE0ELj4294967295EEENS1_25partition_config_selectorILNS1_17partition_subalgoE4EjNS0_10empty_typeEbEEZZNS1_14partition_implILS8_4ELb0ES6_15HIP_vector_typeIjLj2EENS0_17counting_iteratorIjlEEPS9_SG_NS0_5tupleIJPjSI_NS0_16reverse_iteratorISI_EEEEENSH_IJSG_SG_SG_EEES9_SI_JZNS1_25segmented_radix_sort_implINS0_14default_configELb0EPKlPlSQ_SR_N2at6native12_GLOBAL__N_18offset_tEEE10hipError_tPvRmT1_PNSt15iterator_traitsISZ_E10value_typeET2_T3_PNS10_IS15_E10value_typeET4_jRbjT5_S1B_jjP12ihipStream_tbEUljE_ZNSN_ISO_Lb0ESQ_SR_SQ_SR_SV_EESW_SX_SY_SZ_S13_S14_S15_S18_S19_jS1A_jS1B_S1B_jjS1D_bEUljE0_EEESW_SX_SY_S15_S19_S1B_T6_T7_T9_mT8_S1D_bDpT10_ENKUlT_T0_E_clISt17integral_constantIbLb0EES1Q_IbLb1EEEEDaS1M_S1N_EUlS1M_E_NS1_11comp_targetILNS1_3genE5ELNS1_11target_archE942ELNS1_3gpuE9ELNS1_3repE0EEENS1_30default_config_static_selectorELNS0_4arch9wavefront6targetE1EEEvSZ_,"axG",@progbits,_ZN7rocprim17ROCPRIM_400000_NS6detail17trampoline_kernelINS0_13select_configILj256ELj13ELNS0_17block_load_methodE3ELS4_3ELS4_3ELNS0_20block_scan_algorithmE0ELj4294967295EEENS1_25partition_config_selectorILNS1_17partition_subalgoE4EjNS0_10empty_typeEbEEZZNS1_14partition_implILS8_4ELb0ES6_15HIP_vector_typeIjLj2EENS0_17counting_iteratorIjlEEPS9_SG_NS0_5tupleIJPjSI_NS0_16reverse_iteratorISI_EEEEENSH_IJSG_SG_SG_EEES9_SI_JZNS1_25segmented_radix_sort_implINS0_14default_configELb0EPKlPlSQ_SR_N2at6native12_GLOBAL__N_18offset_tEEE10hipError_tPvRmT1_PNSt15iterator_traitsISZ_E10value_typeET2_T3_PNS10_IS15_E10value_typeET4_jRbjT5_S1B_jjP12ihipStream_tbEUljE_ZNSN_ISO_Lb0ESQ_SR_SQ_SR_SV_EESW_SX_SY_SZ_S13_S14_S15_S18_S19_jS1A_jS1B_S1B_jjS1D_bEUljE0_EEESW_SX_SY_S15_S19_S1B_T6_T7_T9_mT8_S1D_bDpT10_ENKUlT_T0_E_clISt17integral_constantIbLb0EES1Q_IbLb1EEEEDaS1M_S1N_EUlS1M_E_NS1_11comp_targetILNS1_3genE5ELNS1_11target_archE942ELNS1_3gpuE9ELNS1_3repE0EEENS1_30default_config_static_selectorELNS0_4arch9wavefront6targetE1EEEvSZ_,comdat
	.globl	_ZN7rocprim17ROCPRIM_400000_NS6detail17trampoline_kernelINS0_13select_configILj256ELj13ELNS0_17block_load_methodE3ELS4_3ELS4_3ELNS0_20block_scan_algorithmE0ELj4294967295EEENS1_25partition_config_selectorILNS1_17partition_subalgoE4EjNS0_10empty_typeEbEEZZNS1_14partition_implILS8_4ELb0ES6_15HIP_vector_typeIjLj2EENS0_17counting_iteratorIjlEEPS9_SG_NS0_5tupleIJPjSI_NS0_16reverse_iteratorISI_EEEEENSH_IJSG_SG_SG_EEES9_SI_JZNS1_25segmented_radix_sort_implINS0_14default_configELb0EPKlPlSQ_SR_N2at6native12_GLOBAL__N_18offset_tEEE10hipError_tPvRmT1_PNSt15iterator_traitsISZ_E10value_typeET2_T3_PNS10_IS15_E10value_typeET4_jRbjT5_S1B_jjP12ihipStream_tbEUljE_ZNSN_ISO_Lb0ESQ_SR_SQ_SR_SV_EESW_SX_SY_SZ_S13_S14_S15_S18_S19_jS1A_jS1B_S1B_jjS1D_bEUljE0_EEESW_SX_SY_S15_S19_S1B_T6_T7_T9_mT8_S1D_bDpT10_ENKUlT_T0_E_clISt17integral_constantIbLb0EES1Q_IbLb1EEEEDaS1M_S1N_EUlS1M_E_NS1_11comp_targetILNS1_3genE5ELNS1_11target_archE942ELNS1_3gpuE9ELNS1_3repE0EEENS1_30default_config_static_selectorELNS0_4arch9wavefront6targetE1EEEvSZ_ ; -- Begin function _ZN7rocprim17ROCPRIM_400000_NS6detail17trampoline_kernelINS0_13select_configILj256ELj13ELNS0_17block_load_methodE3ELS4_3ELS4_3ELNS0_20block_scan_algorithmE0ELj4294967295EEENS1_25partition_config_selectorILNS1_17partition_subalgoE4EjNS0_10empty_typeEbEEZZNS1_14partition_implILS8_4ELb0ES6_15HIP_vector_typeIjLj2EENS0_17counting_iteratorIjlEEPS9_SG_NS0_5tupleIJPjSI_NS0_16reverse_iteratorISI_EEEEENSH_IJSG_SG_SG_EEES9_SI_JZNS1_25segmented_radix_sort_implINS0_14default_configELb0EPKlPlSQ_SR_N2at6native12_GLOBAL__N_18offset_tEEE10hipError_tPvRmT1_PNSt15iterator_traitsISZ_E10value_typeET2_T3_PNS10_IS15_E10value_typeET4_jRbjT5_S1B_jjP12ihipStream_tbEUljE_ZNSN_ISO_Lb0ESQ_SR_SQ_SR_SV_EESW_SX_SY_SZ_S13_S14_S15_S18_S19_jS1A_jS1B_S1B_jjS1D_bEUljE0_EEESW_SX_SY_S15_S19_S1B_T6_T7_T9_mT8_S1D_bDpT10_ENKUlT_T0_E_clISt17integral_constantIbLb0EES1Q_IbLb1EEEEDaS1M_S1N_EUlS1M_E_NS1_11comp_targetILNS1_3genE5ELNS1_11target_archE942ELNS1_3gpuE9ELNS1_3repE0EEENS1_30default_config_static_selectorELNS0_4arch9wavefront6targetE1EEEvSZ_
	.p2align	8
	.type	_ZN7rocprim17ROCPRIM_400000_NS6detail17trampoline_kernelINS0_13select_configILj256ELj13ELNS0_17block_load_methodE3ELS4_3ELS4_3ELNS0_20block_scan_algorithmE0ELj4294967295EEENS1_25partition_config_selectorILNS1_17partition_subalgoE4EjNS0_10empty_typeEbEEZZNS1_14partition_implILS8_4ELb0ES6_15HIP_vector_typeIjLj2EENS0_17counting_iteratorIjlEEPS9_SG_NS0_5tupleIJPjSI_NS0_16reverse_iteratorISI_EEEEENSH_IJSG_SG_SG_EEES9_SI_JZNS1_25segmented_radix_sort_implINS0_14default_configELb0EPKlPlSQ_SR_N2at6native12_GLOBAL__N_18offset_tEEE10hipError_tPvRmT1_PNSt15iterator_traitsISZ_E10value_typeET2_T3_PNS10_IS15_E10value_typeET4_jRbjT5_S1B_jjP12ihipStream_tbEUljE_ZNSN_ISO_Lb0ESQ_SR_SQ_SR_SV_EESW_SX_SY_SZ_S13_S14_S15_S18_S19_jS1A_jS1B_S1B_jjS1D_bEUljE0_EEESW_SX_SY_S15_S19_S1B_T6_T7_T9_mT8_S1D_bDpT10_ENKUlT_T0_E_clISt17integral_constantIbLb0EES1Q_IbLb1EEEEDaS1M_S1N_EUlS1M_E_NS1_11comp_targetILNS1_3genE5ELNS1_11target_archE942ELNS1_3gpuE9ELNS1_3repE0EEENS1_30default_config_static_selectorELNS0_4arch9wavefront6targetE1EEEvSZ_,@function
_ZN7rocprim17ROCPRIM_400000_NS6detail17trampoline_kernelINS0_13select_configILj256ELj13ELNS0_17block_load_methodE3ELS4_3ELS4_3ELNS0_20block_scan_algorithmE0ELj4294967295EEENS1_25partition_config_selectorILNS1_17partition_subalgoE4EjNS0_10empty_typeEbEEZZNS1_14partition_implILS8_4ELb0ES6_15HIP_vector_typeIjLj2EENS0_17counting_iteratorIjlEEPS9_SG_NS0_5tupleIJPjSI_NS0_16reverse_iteratorISI_EEEEENSH_IJSG_SG_SG_EEES9_SI_JZNS1_25segmented_radix_sort_implINS0_14default_configELb0EPKlPlSQ_SR_N2at6native12_GLOBAL__N_18offset_tEEE10hipError_tPvRmT1_PNSt15iterator_traitsISZ_E10value_typeET2_T3_PNS10_IS15_E10value_typeET4_jRbjT5_S1B_jjP12ihipStream_tbEUljE_ZNSN_ISO_Lb0ESQ_SR_SQ_SR_SV_EESW_SX_SY_SZ_S13_S14_S15_S18_S19_jS1A_jS1B_S1B_jjS1D_bEUljE0_EEESW_SX_SY_S15_S19_S1B_T6_T7_T9_mT8_S1D_bDpT10_ENKUlT_T0_E_clISt17integral_constantIbLb0EES1Q_IbLb1EEEEDaS1M_S1N_EUlS1M_E_NS1_11comp_targetILNS1_3genE5ELNS1_11target_archE942ELNS1_3gpuE9ELNS1_3repE0EEENS1_30default_config_static_selectorELNS0_4arch9wavefront6targetE1EEEvSZ_: ; @_ZN7rocprim17ROCPRIM_400000_NS6detail17trampoline_kernelINS0_13select_configILj256ELj13ELNS0_17block_load_methodE3ELS4_3ELS4_3ELNS0_20block_scan_algorithmE0ELj4294967295EEENS1_25partition_config_selectorILNS1_17partition_subalgoE4EjNS0_10empty_typeEbEEZZNS1_14partition_implILS8_4ELb0ES6_15HIP_vector_typeIjLj2EENS0_17counting_iteratorIjlEEPS9_SG_NS0_5tupleIJPjSI_NS0_16reverse_iteratorISI_EEEEENSH_IJSG_SG_SG_EEES9_SI_JZNS1_25segmented_radix_sort_implINS0_14default_configELb0EPKlPlSQ_SR_N2at6native12_GLOBAL__N_18offset_tEEE10hipError_tPvRmT1_PNSt15iterator_traitsISZ_E10value_typeET2_T3_PNS10_IS15_E10value_typeET4_jRbjT5_S1B_jjP12ihipStream_tbEUljE_ZNSN_ISO_Lb0ESQ_SR_SQ_SR_SV_EESW_SX_SY_SZ_S13_S14_S15_S18_S19_jS1A_jS1B_S1B_jjS1D_bEUljE0_EEESW_SX_SY_S15_S19_S1B_T6_T7_T9_mT8_S1D_bDpT10_ENKUlT_T0_E_clISt17integral_constantIbLb0EES1Q_IbLb1EEEEDaS1M_S1N_EUlS1M_E_NS1_11comp_targetILNS1_3genE5ELNS1_11target_archE942ELNS1_3gpuE9ELNS1_3repE0EEENS1_30default_config_static_selectorELNS0_4arch9wavefront6targetE1EEEvSZ_
; %bb.0:
	.section	.rodata,"a",@progbits
	.p2align	6, 0x0
	.amdhsa_kernel _ZN7rocprim17ROCPRIM_400000_NS6detail17trampoline_kernelINS0_13select_configILj256ELj13ELNS0_17block_load_methodE3ELS4_3ELS4_3ELNS0_20block_scan_algorithmE0ELj4294967295EEENS1_25partition_config_selectorILNS1_17partition_subalgoE4EjNS0_10empty_typeEbEEZZNS1_14partition_implILS8_4ELb0ES6_15HIP_vector_typeIjLj2EENS0_17counting_iteratorIjlEEPS9_SG_NS0_5tupleIJPjSI_NS0_16reverse_iteratorISI_EEEEENSH_IJSG_SG_SG_EEES9_SI_JZNS1_25segmented_radix_sort_implINS0_14default_configELb0EPKlPlSQ_SR_N2at6native12_GLOBAL__N_18offset_tEEE10hipError_tPvRmT1_PNSt15iterator_traitsISZ_E10value_typeET2_T3_PNS10_IS15_E10value_typeET4_jRbjT5_S1B_jjP12ihipStream_tbEUljE_ZNSN_ISO_Lb0ESQ_SR_SQ_SR_SV_EESW_SX_SY_SZ_S13_S14_S15_S18_S19_jS1A_jS1B_S1B_jjS1D_bEUljE0_EEESW_SX_SY_S15_S19_S1B_T6_T7_T9_mT8_S1D_bDpT10_ENKUlT_T0_E_clISt17integral_constantIbLb0EES1Q_IbLb1EEEEDaS1M_S1N_EUlS1M_E_NS1_11comp_targetILNS1_3genE5ELNS1_11target_archE942ELNS1_3gpuE9ELNS1_3repE0EEENS1_30default_config_static_selectorELNS0_4arch9wavefront6targetE1EEEvSZ_
		.amdhsa_group_segment_fixed_size 0
		.amdhsa_private_segment_fixed_size 0
		.amdhsa_kernarg_size 184
		.amdhsa_user_sgpr_count 6
		.amdhsa_user_sgpr_private_segment_buffer 1
		.amdhsa_user_sgpr_dispatch_ptr 0
		.amdhsa_user_sgpr_queue_ptr 0
		.amdhsa_user_sgpr_kernarg_segment_ptr 1
		.amdhsa_user_sgpr_dispatch_id 0
		.amdhsa_user_sgpr_flat_scratch_init 0
		.amdhsa_user_sgpr_private_segment_size 0
		.amdhsa_uses_dynamic_stack 0
		.amdhsa_system_sgpr_private_segment_wavefront_offset 0
		.amdhsa_system_sgpr_workgroup_id_x 1
		.amdhsa_system_sgpr_workgroup_id_y 0
		.amdhsa_system_sgpr_workgroup_id_z 0
		.amdhsa_system_sgpr_workgroup_info 0
		.amdhsa_system_vgpr_workitem_id 0
		.amdhsa_next_free_vgpr 1
		.amdhsa_next_free_sgpr 0
		.amdhsa_reserve_vcc 0
		.amdhsa_reserve_flat_scratch 0
		.amdhsa_float_round_mode_32 0
		.amdhsa_float_round_mode_16_64 0
		.amdhsa_float_denorm_mode_32 3
		.amdhsa_float_denorm_mode_16_64 3
		.amdhsa_dx10_clamp 1
		.amdhsa_ieee_mode 1
		.amdhsa_fp16_overflow 0
		.amdhsa_exception_fp_ieee_invalid_op 0
		.amdhsa_exception_fp_denorm_src 0
		.amdhsa_exception_fp_ieee_div_zero 0
		.amdhsa_exception_fp_ieee_overflow 0
		.amdhsa_exception_fp_ieee_underflow 0
		.amdhsa_exception_fp_ieee_inexact 0
		.amdhsa_exception_int_div_zero 0
	.end_amdhsa_kernel
	.section	.text._ZN7rocprim17ROCPRIM_400000_NS6detail17trampoline_kernelINS0_13select_configILj256ELj13ELNS0_17block_load_methodE3ELS4_3ELS4_3ELNS0_20block_scan_algorithmE0ELj4294967295EEENS1_25partition_config_selectorILNS1_17partition_subalgoE4EjNS0_10empty_typeEbEEZZNS1_14partition_implILS8_4ELb0ES6_15HIP_vector_typeIjLj2EENS0_17counting_iteratorIjlEEPS9_SG_NS0_5tupleIJPjSI_NS0_16reverse_iteratorISI_EEEEENSH_IJSG_SG_SG_EEES9_SI_JZNS1_25segmented_radix_sort_implINS0_14default_configELb0EPKlPlSQ_SR_N2at6native12_GLOBAL__N_18offset_tEEE10hipError_tPvRmT1_PNSt15iterator_traitsISZ_E10value_typeET2_T3_PNS10_IS15_E10value_typeET4_jRbjT5_S1B_jjP12ihipStream_tbEUljE_ZNSN_ISO_Lb0ESQ_SR_SQ_SR_SV_EESW_SX_SY_SZ_S13_S14_S15_S18_S19_jS1A_jS1B_S1B_jjS1D_bEUljE0_EEESW_SX_SY_S15_S19_S1B_T6_T7_T9_mT8_S1D_bDpT10_ENKUlT_T0_E_clISt17integral_constantIbLb0EES1Q_IbLb1EEEEDaS1M_S1N_EUlS1M_E_NS1_11comp_targetILNS1_3genE5ELNS1_11target_archE942ELNS1_3gpuE9ELNS1_3repE0EEENS1_30default_config_static_selectorELNS0_4arch9wavefront6targetE1EEEvSZ_,"axG",@progbits,_ZN7rocprim17ROCPRIM_400000_NS6detail17trampoline_kernelINS0_13select_configILj256ELj13ELNS0_17block_load_methodE3ELS4_3ELS4_3ELNS0_20block_scan_algorithmE0ELj4294967295EEENS1_25partition_config_selectorILNS1_17partition_subalgoE4EjNS0_10empty_typeEbEEZZNS1_14partition_implILS8_4ELb0ES6_15HIP_vector_typeIjLj2EENS0_17counting_iteratorIjlEEPS9_SG_NS0_5tupleIJPjSI_NS0_16reverse_iteratorISI_EEEEENSH_IJSG_SG_SG_EEES9_SI_JZNS1_25segmented_radix_sort_implINS0_14default_configELb0EPKlPlSQ_SR_N2at6native12_GLOBAL__N_18offset_tEEE10hipError_tPvRmT1_PNSt15iterator_traitsISZ_E10value_typeET2_T3_PNS10_IS15_E10value_typeET4_jRbjT5_S1B_jjP12ihipStream_tbEUljE_ZNSN_ISO_Lb0ESQ_SR_SQ_SR_SV_EESW_SX_SY_SZ_S13_S14_S15_S18_S19_jS1A_jS1B_S1B_jjS1D_bEUljE0_EEESW_SX_SY_S15_S19_S1B_T6_T7_T9_mT8_S1D_bDpT10_ENKUlT_T0_E_clISt17integral_constantIbLb0EES1Q_IbLb1EEEEDaS1M_S1N_EUlS1M_E_NS1_11comp_targetILNS1_3genE5ELNS1_11target_archE942ELNS1_3gpuE9ELNS1_3repE0EEENS1_30default_config_static_selectorELNS0_4arch9wavefront6targetE1EEEvSZ_,comdat
.Lfunc_end768:
	.size	_ZN7rocprim17ROCPRIM_400000_NS6detail17trampoline_kernelINS0_13select_configILj256ELj13ELNS0_17block_load_methodE3ELS4_3ELS4_3ELNS0_20block_scan_algorithmE0ELj4294967295EEENS1_25partition_config_selectorILNS1_17partition_subalgoE4EjNS0_10empty_typeEbEEZZNS1_14partition_implILS8_4ELb0ES6_15HIP_vector_typeIjLj2EENS0_17counting_iteratorIjlEEPS9_SG_NS0_5tupleIJPjSI_NS0_16reverse_iteratorISI_EEEEENSH_IJSG_SG_SG_EEES9_SI_JZNS1_25segmented_radix_sort_implINS0_14default_configELb0EPKlPlSQ_SR_N2at6native12_GLOBAL__N_18offset_tEEE10hipError_tPvRmT1_PNSt15iterator_traitsISZ_E10value_typeET2_T3_PNS10_IS15_E10value_typeET4_jRbjT5_S1B_jjP12ihipStream_tbEUljE_ZNSN_ISO_Lb0ESQ_SR_SQ_SR_SV_EESW_SX_SY_SZ_S13_S14_S15_S18_S19_jS1A_jS1B_S1B_jjS1D_bEUljE0_EEESW_SX_SY_S15_S19_S1B_T6_T7_T9_mT8_S1D_bDpT10_ENKUlT_T0_E_clISt17integral_constantIbLb0EES1Q_IbLb1EEEEDaS1M_S1N_EUlS1M_E_NS1_11comp_targetILNS1_3genE5ELNS1_11target_archE942ELNS1_3gpuE9ELNS1_3repE0EEENS1_30default_config_static_selectorELNS0_4arch9wavefront6targetE1EEEvSZ_, .Lfunc_end768-_ZN7rocprim17ROCPRIM_400000_NS6detail17trampoline_kernelINS0_13select_configILj256ELj13ELNS0_17block_load_methodE3ELS4_3ELS4_3ELNS0_20block_scan_algorithmE0ELj4294967295EEENS1_25partition_config_selectorILNS1_17partition_subalgoE4EjNS0_10empty_typeEbEEZZNS1_14partition_implILS8_4ELb0ES6_15HIP_vector_typeIjLj2EENS0_17counting_iteratorIjlEEPS9_SG_NS0_5tupleIJPjSI_NS0_16reverse_iteratorISI_EEEEENSH_IJSG_SG_SG_EEES9_SI_JZNS1_25segmented_radix_sort_implINS0_14default_configELb0EPKlPlSQ_SR_N2at6native12_GLOBAL__N_18offset_tEEE10hipError_tPvRmT1_PNSt15iterator_traitsISZ_E10value_typeET2_T3_PNS10_IS15_E10value_typeET4_jRbjT5_S1B_jjP12ihipStream_tbEUljE_ZNSN_ISO_Lb0ESQ_SR_SQ_SR_SV_EESW_SX_SY_SZ_S13_S14_S15_S18_S19_jS1A_jS1B_S1B_jjS1D_bEUljE0_EEESW_SX_SY_S15_S19_S1B_T6_T7_T9_mT8_S1D_bDpT10_ENKUlT_T0_E_clISt17integral_constantIbLb0EES1Q_IbLb1EEEEDaS1M_S1N_EUlS1M_E_NS1_11comp_targetILNS1_3genE5ELNS1_11target_archE942ELNS1_3gpuE9ELNS1_3repE0EEENS1_30default_config_static_selectorELNS0_4arch9wavefront6targetE1EEEvSZ_
                                        ; -- End function
	.set _ZN7rocprim17ROCPRIM_400000_NS6detail17trampoline_kernelINS0_13select_configILj256ELj13ELNS0_17block_load_methodE3ELS4_3ELS4_3ELNS0_20block_scan_algorithmE0ELj4294967295EEENS1_25partition_config_selectorILNS1_17partition_subalgoE4EjNS0_10empty_typeEbEEZZNS1_14partition_implILS8_4ELb0ES6_15HIP_vector_typeIjLj2EENS0_17counting_iteratorIjlEEPS9_SG_NS0_5tupleIJPjSI_NS0_16reverse_iteratorISI_EEEEENSH_IJSG_SG_SG_EEES9_SI_JZNS1_25segmented_radix_sort_implINS0_14default_configELb0EPKlPlSQ_SR_N2at6native12_GLOBAL__N_18offset_tEEE10hipError_tPvRmT1_PNSt15iterator_traitsISZ_E10value_typeET2_T3_PNS10_IS15_E10value_typeET4_jRbjT5_S1B_jjP12ihipStream_tbEUljE_ZNSN_ISO_Lb0ESQ_SR_SQ_SR_SV_EESW_SX_SY_SZ_S13_S14_S15_S18_S19_jS1A_jS1B_S1B_jjS1D_bEUljE0_EEESW_SX_SY_S15_S19_S1B_T6_T7_T9_mT8_S1D_bDpT10_ENKUlT_T0_E_clISt17integral_constantIbLb0EES1Q_IbLb1EEEEDaS1M_S1N_EUlS1M_E_NS1_11comp_targetILNS1_3genE5ELNS1_11target_archE942ELNS1_3gpuE9ELNS1_3repE0EEENS1_30default_config_static_selectorELNS0_4arch9wavefront6targetE1EEEvSZ_.num_vgpr, 0
	.set _ZN7rocprim17ROCPRIM_400000_NS6detail17trampoline_kernelINS0_13select_configILj256ELj13ELNS0_17block_load_methodE3ELS4_3ELS4_3ELNS0_20block_scan_algorithmE0ELj4294967295EEENS1_25partition_config_selectorILNS1_17partition_subalgoE4EjNS0_10empty_typeEbEEZZNS1_14partition_implILS8_4ELb0ES6_15HIP_vector_typeIjLj2EENS0_17counting_iteratorIjlEEPS9_SG_NS0_5tupleIJPjSI_NS0_16reverse_iteratorISI_EEEEENSH_IJSG_SG_SG_EEES9_SI_JZNS1_25segmented_radix_sort_implINS0_14default_configELb0EPKlPlSQ_SR_N2at6native12_GLOBAL__N_18offset_tEEE10hipError_tPvRmT1_PNSt15iterator_traitsISZ_E10value_typeET2_T3_PNS10_IS15_E10value_typeET4_jRbjT5_S1B_jjP12ihipStream_tbEUljE_ZNSN_ISO_Lb0ESQ_SR_SQ_SR_SV_EESW_SX_SY_SZ_S13_S14_S15_S18_S19_jS1A_jS1B_S1B_jjS1D_bEUljE0_EEESW_SX_SY_S15_S19_S1B_T6_T7_T9_mT8_S1D_bDpT10_ENKUlT_T0_E_clISt17integral_constantIbLb0EES1Q_IbLb1EEEEDaS1M_S1N_EUlS1M_E_NS1_11comp_targetILNS1_3genE5ELNS1_11target_archE942ELNS1_3gpuE9ELNS1_3repE0EEENS1_30default_config_static_selectorELNS0_4arch9wavefront6targetE1EEEvSZ_.num_agpr, 0
	.set _ZN7rocprim17ROCPRIM_400000_NS6detail17trampoline_kernelINS0_13select_configILj256ELj13ELNS0_17block_load_methodE3ELS4_3ELS4_3ELNS0_20block_scan_algorithmE0ELj4294967295EEENS1_25partition_config_selectorILNS1_17partition_subalgoE4EjNS0_10empty_typeEbEEZZNS1_14partition_implILS8_4ELb0ES6_15HIP_vector_typeIjLj2EENS0_17counting_iteratorIjlEEPS9_SG_NS0_5tupleIJPjSI_NS0_16reverse_iteratorISI_EEEEENSH_IJSG_SG_SG_EEES9_SI_JZNS1_25segmented_radix_sort_implINS0_14default_configELb0EPKlPlSQ_SR_N2at6native12_GLOBAL__N_18offset_tEEE10hipError_tPvRmT1_PNSt15iterator_traitsISZ_E10value_typeET2_T3_PNS10_IS15_E10value_typeET4_jRbjT5_S1B_jjP12ihipStream_tbEUljE_ZNSN_ISO_Lb0ESQ_SR_SQ_SR_SV_EESW_SX_SY_SZ_S13_S14_S15_S18_S19_jS1A_jS1B_S1B_jjS1D_bEUljE0_EEESW_SX_SY_S15_S19_S1B_T6_T7_T9_mT8_S1D_bDpT10_ENKUlT_T0_E_clISt17integral_constantIbLb0EES1Q_IbLb1EEEEDaS1M_S1N_EUlS1M_E_NS1_11comp_targetILNS1_3genE5ELNS1_11target_archE942ELNS1_3gpuE9ELNS1_3repE0EEENS1_30default_config_static_selectorELNS0_4arch9wavefront6targetE1EEEvSZ_.numbered_sgpr, 0
	.set _ZN7rocprim17ROCPRIM_400000_NS6detail17trampoline_kernelINS0_13select_configILj256ELj13ELNS0_17block_load_methodE3ELS4_3ELS4_3ELNS0_20block_scan_algorithmE0ELj4294967295EEENS1_25partition_config_selectorILNS1_17partition_subalgoE4EjNS0_10empty_typeEbEEZZNS1_14partition_implILS8_4ELb0ES6_15HIP_vector_typeIjLj2EENS0_17counting_iteratorIjlEEPS9_SG_NS0_5tupleIJPjSI_NS0_16reverse_iteratorISI_EEEEENSH_IJSG_SG_SG_EEES9_SI_JZNS1_25segmented_radix_sort_implINS0_14default_configELb0EPKlPlSQ_SR_N2at6native12_GLOBAL__N_18offset_tEEE10hipError_tPvRmT1_PNSt15iterator_traitsISZ_E10value_typeET2_T3_PNS10_IS15_E10value_typeET4_jRbjT5_S1B_jjP12ihipStream_tbEUljE_ZNSN_ISO_Lb0ESQ_SR_SQ_SR_SV_EESW_SX_SY_SZ_S13_S14_S15_S18_S19_jS1A_jS1B_S1B_jjS1D_bEUljE0_EEESW_SX_SY_S15_S19_S1B_T6_T7_T9_mT8_S1D_bDpT10_ENKUlT_T0_E_clISt17integral_constantIbLb0EES1Q_IbLb1EEEEDaS1M_S1N_EUlS1M_E_NS1_11comp_targetILNS1_3genE5ELNS1_11target_archE942ELNS1_3gpuE9ELNS1_3repE0EEENS1_30default_config_static_selectorELNS0_4arch9wavefront6targetE1EEEvSZ_.num_named_barrier, 0
	.set _ZN7rocprim17ROCPRIM_400000_NS6detail17trampoline_kernelINS0_13select_configILj256ELj13ELNS0_17block_load_methodE3ELS4_3ELS4_3ELNS0_20block_scan_algorithmE0ELj4294967295EEENS1_25partition_config_selectorILNS1_17partition_subalgoE4EjNS0_10empty_typeEbEEZZNS1_14partition_implILS8_4ELb0ES6_15HIP_vector_typeIjLj2EENS0_17counting_iteratorIjlEEPS9_SG_NS0_5tupleIJPjSI_NS0_16reverse_iteratorISI_EEEEENSH_IJSG_SG_SG_EEES9_SI_JZNS1_25segmented_radix_sort_implINS0_14default_configELb0EPKlPlSQ_SR_N2at6native12_GLOBAL__N_18offset_tEEE10hipError_tPvRmT1_PNSt15iterator_traitsISZ_E10value_typeET2_T3_PNS10_IS15_E10value_typeET4_jRbjT5_S1B_jjP12ihipStream_tbEUljE_ZNSN_ISO_Lb0ESQ_SR_SQ_SR_SV_EESW_SX_SY_SZ_S13_S14_S15_S18_S19_jS1A_jS1B_S1B_jjS1D_bEUljE0_EEESW_SX_SY_S15_S19_S1B_T6_T7_T9_mT8_S1D_bDpT10_ENKUlT_T0_E_clISt17integral_constantIbLb0EES1Q_IbLb1EEEEDaS1M_S1N_EUlS1M_E_NS1_11comp_targetILNS1_3genE5ELNS1_11target_archE942ELNS1_3gpuE9ELNS1_3repE0EEENS1_30default_config_static_selectorELNS0_4arch9wavefront6targetE1EEEvSZ_.private_seg_size, 0
	.set _ZN7rocprim17ROCPRIM_400000_NS6detail17trampoline_kernelINS0_13select_configILj256ELj13ELNS0_17block_load_methodE3ELS4_3ELS4_3ELNS0_20block_scan_algorithmE0ELj4294967295EEENS1_25partition_config_selectorILNS1_17partition_subalgoE4EjNS0_10empty_typeEbEEZZNS1_14partition_implILS8_4ELb0ES6_15HIP_vector_typeIjLj2EENS0_17counting_iteratorIjlEEPS9_SG_NS0_5tupleIJPjSI_NS0_16reverse_iteratorISI_EEEEENSH_IJSG_SG_SG_EEES9_SI_JZNS1_25segmented_radix_sort_implINS0_14default_configELb0EPKlPlSQ_SR_N2at6native12_GLOBAL__N_18offset_tEEE10hipError_tPvRmT1_PNSt15iterator_traitsISZ_E10value_typeET2_T3_PNS10_IS15_E10value_typeET4_jRbjT5_S1B_jjP12ihipStream_tbEUljE_ZNSN_ISO_Lb0ESQ_SR_SQ_SR_SV_EESW_SX_SY_SZ_S13_S14_S15_S18_S19_jS1A_jS1B_S1B_jjS1D_bEUljE0_EEESW_SX_SY_S15_S19_S1B_T6_T7_T9_mT8_S1D_bDpT10_ENKUlT_T0_E_clISt17integral_constantIbLb0EES1Q_IbLb1EEEEDaS1M_S1N_EUlS1M_E_NS1_11comp_targetILNS1_3genE5ELNS1_11target_archE942ELNS1_3gpuE9ELNS1_3repE0EEENS1_30default_config_static_selectorELNS0_4arch9wavefront6targetE1EEEvSZ_.uses_vcc, 0
	.set _ZN7rocprim17ROCPRIM_400000_NS6detail17trampoline_kernelINS0_13select_configILj256ELj13ELNS0_17block_load_methodE3ELS4_3ELS4_3ELNS0_20block_scan_algorithmE0ELj4294967295EEENS1_25partition_config_selectorILNS1_17partition_subalgoE4EjNS0_10empty_typeEbEEZZNS1_14partition_implILS8_4ELb0ES6_15HIP_vector_typeIjLj2EENS0_17counting_iteratorIjlEEPS9_SG_NS0_5tupleIJPjSI_NS0_16reverse_iteratorISI_EEEEENSH_IJSG_SG_SG_EEES9_SI_JZNS1_25segmented_radix_sort_implINS0_14default_configELb0EPKlPlSQ_SR_N2at6native12_GLOBAL__N_18offset_tEEE10hipError_tPvRmT1_PNSt15iterator_traitsISZ_E10value_typeET2_T3_PNS10_IS15_E10value_typeET4_jRbjT5_S1B_jjP12ihipStream_tbEUljE_ZNSN_ISO_Lb0ESQ_SR_SQ_SR_SV_EESW_SX_SY_SZ_S13_S14_S15_S18_S19_jS1A_jS1B_S1B_jjS1D_bEUljE0_EEESW_SX_SY_S15_S19_S1B_T6_T7_T9_mT8_S1D_bDpT10_ENKUlT_T0_E_clISt17integral_constantIbLb0EES1Q_IbLb1EEEEDaS1M_S1N_EUlS1M_E_NS1_11comp_targetILNS1_3genE5ELNS1_11target_archE942ELNS1_3gpuE9ELNS1_3repE0EEENS1_30default_config_static_selectorELNS0_4arch9wavefront6targetE1EEEvSZ_.uses_flat_scratch, 0
	.set _ZN7rocprim17ROCPRIM_400000_NS6detail17trampoline_kernelINS0_13select_configILj256ELj13ELNS0_17block_load_methodE3ELS4_3ELS4_3ELNS0_20block_scan_algorithmE0ELj4294967295EEENS1_25partition_config_selectorILNS1_17partition_subalgoE4EjNS0_10empty_typeEbEEZZNS1_14partition_implILS8_4ELb0ES6_15HIP_vector_typeIjLj2EENS0_17counting_iteratorIjlEEPS9_SG_NS0_5tupleIJPjSI_NS0_16reverse_iteratorISI_EEEEENSH_IJSG_SG_SG_EEES9_SI_JZNS1_25segmented_radix_sort_implINS0_14default_configELb0EPKlPlSQ_SR_N2at6native12_GLOBAL__N_18offset_tEEE10hipError_tPvRmT1_PNSt15iterator_traitsISZ_E10value_typeET2_T3_PNS10_IS15_E10value_typeET4_jRbjT5_S1B_jjP12ihipStream_tbEUljE_ZNSN_ISO_Lb0ESQ_SR_SQ_SR_SV_EESW_SX_SY_SZ_S13_S14_S15_S18_S19_jS1A_jS1B_S1B_jjS1D_bEUljE0_EEESW_SX_SY_S15_S19_S1B_T6_T7_T9_mT8_S1D_bDpT10_ENKUlT_T0_E_clISt17integral_constantIbLb0EES1Q_IbLb1EEEEDaS1M_S1N_EUlS1M_E_NS1_11comp_targetILNS1_3genE5ELNS1_11target_archE942ELNS1_3gpuE9ELNS1_3repE0EEENS1_30default_config_static_selectorELNS0_4arch9wavefront6targetE1EEEvSZ_.has_dyn_sized_stack, 0
	.set _ZN7rocprim17ROCPRIM_400000_NS6detail17trampoline_kernelINS0_13select_configILj256ELj13ELNS0_17block_load_methodE3ELS4_3ELS4_3ELNS0_20block_scan_algorithmE0ELj4294967295EEENS1_25partition_config_selectorILNS1_17partition_subalgoE4EjNS0_10empty_typeEbEEZZNS1_14partition_implILS8_4ELb0ES6_15HIP_vector_typeIjLj2EENS0_17counting_iteratorIjlEEPS9_SG_NS0_5tupleIJPjSI_NS0_16reverse_iteratorISI_EEEEENSH_IJSG_SG_SG_EEES9_SI_JZNS1_25segmented_radix_sort_implINS0_14default_configELb0EPKlPlSQ_SR_N2at6native12_GLOBAL__N_18offset_tEEE10hipError_tPvRmT1_PNSt15iterator_traitsISZ_E10value_typeET2_T3_PNS10_IS15_E10value_typeET4_jRbjT5_S1B_jjP12ihipStream_tbEUljE_ZNSN_ISO_Lb0ESQ_SR_SQ_SR_SV_EESW_SX_SY_SZ_S13_S14_S15_S18_S19_jS1A_jS1B_S1B_jjS1D_bEUljE0_EEESW_SX_SY_S15_S19_S1B_T6_T7_T9_mT8_S1D_bDpT10_ENKUlT_T0_E_clISt17integral_constantIbLb0EES1Q_IbLb1EEEEDaS1M_S1N_EUlS1M_E_NS1_11comp_targetILNS1_3genE5ELNS1_11target_archE942ELNS1_3gpuE9ELNS1_3repE0EEENS1_30default_config_static_selectorELNS0_4arch9wavefront6targetE1EEEvSZ_.has_recursion, 0
	.set _ZN7rocprim17ROCPRIM_400000_NS6detail17trampoline_kernelINS0_13select_configILj256ELj13ELNS0_17block_load_methodE3ELS4_3ELS4_3ELNS0_20block_scan_algorithmE0ELj4294967295EEENS1_25partition_config_selectorILNS1_17partition_subalgoE4EjNS0_10empty_typeEbEEZZNS1_14partition_implILS8_4ELb0ES6_15HIP_vector_typeIjLj2EENS0_17counting_iteratorIjlEEPS9_SG_NS0_5tupleIJPjSI_NS0_16reverse_iteratorISI_EEEEENSH_IJSG_SG_SG_EEES9_SI_JZNS1_25segmented_radix_sort_implINS0_14default_configELb0EPKlPlSQ_SR_N2at6native12_GLOBAL__N_18offset_tEEE10hipError_tPvRmT1_PNSt15iterator_traitsISZ_E10value_typeET2_T3_PNS10_IS15_E10value_typeET4_jRbjT5_S1B_jjP12ihipStream_tbEUljE_ZNSN_ISO_Lb0ESQ_SR_SQ_SR_SV_EESW_SX_SY_SZ_S13_S14_S15_S18_S19_jS1A_jS1B_S1B_jjS1D_bEUljE0_EEESW_SX_SY_S15_S19_S1B_T6_T7_T9_mT8_S1D_bDpT10_ENKUlT_T0_E_clISt17integral_constantIbLb0EES1Q_IbLb1EEEEDaS1M_S1N_EUlS1M_E_NS1_11comp_targetILNS1_3genE5ELNS1_11target_archE942ELNS1_3gpuE9ELNS1_3repE0EEENS1_30default_config_static_selectorELNS0_4arch9wavefront6targetE1EEEvSZ_.has_indirect_call, 0
	.section	.AMDGPU.csdata,"",@progbits
; Kernel info:
; codeLenInByte = 0
; TotalNumSgprs: 4
; NumVgprs: 0
; ScratchSize: 0
; MemoryBound: 0
; FloatMode: 240
; IeeeMode: 1
; LDSByteSize: 0 bytes/workgroup (compile time only)
; SGPRBlocks: 0
; VGPRBlocks: 0
; NumSGPRsForWavesPerEU: 4
; NumVGPRsForWavesPerEU: 1
; Occupancy: 10
; WaveLimiterHint : 0
; COMPUTE_PGM_RSRC2:SCRATCH_EN: 0
; COMPUTE_PGM_RSRC2:USER_SGPR: 6
; COMPUTE_PGM_RSRC2:TRAP_HANDLER: 0
; COMPUTE_PGM_RSRC2:TGID_X_EN: 1
; COMPUTE_PGM_RSRC2:TGID_Y_EN: 0
; COMPUTE_PGM_RSRC2:TGID_Z_EN: 0
; COMPUTE_PGM_RSRC2:TIDIG_COMP_CNT: 0
	.section	.text._ZN7rocprim17ROCPRIM_400000_NS6detail17trampoline_kernelINS0_13select_configILj256ELj13ELNS0_17block_load_methodE3ELS4_3ELS4_3ELNS0_20block_scan_algorithmE0ELj4294967295EEENS1_25partition_config_selectorILNS1_17partition_subalgoE4EjNS0_10empty_typeEbEEZZNS1_14partition_implILS8_4ELb0ES6_15HIP_vector_typeIjLj2EENS0_17counting_iteratorIjlEEPS9_SG_NS0_5tupleIJPjSI_NS0_16reverse_iteratorISI_EEEEENSH_IJSG_SG_SG_EEES9_SI_JZNS1_25segmented_radix_sort_implINS0_14default_configELb0EPKlPlSQ_SR_N2at6native12_GLOBAL__N_18offset_tEEE10hipError_tPvRmT1_PNSt15iterator_traitsISZ_E10value_typeET2_T3_PNS10_IS15_E10value_typeET4_jRbjT5_S1B_jjP12ihipStream_tbEUljE_ZNSN_ISO_Lb0ESQ_SR_SQ_SR_SV_EESW_SX_SY_SZ_S13_S14_S15_S18_S19_jS1A_jS1B_S1B_jjS1D_bEUljE0_EEESW_SX_SY_S15_S19_S1B_T6_T7_T9_mT8_S1D_bDpT10_ENKUlT_T0_E_clISt17integral_constantIbLb0EES1Q_IbLb1EEEEDaS1M_S1N_EUlS1M_E_NS1_11comp_targetILNS1_3genE4ELNS1_11target_archE910ELNS1_3gpuE8ELNS1_3repE0EEENS1_30default_config_static_selectorELNS0_4arch9wavefront6targetE1EEEvSZ_,"axG",@progbits,_ZN7rocprim17ROCPRIM_400000_NS6detail17trampoline_kernelINS0_13select_configILj256ELj13ELNS0_17block_load_methodE3ELS4_3ELS4_3ELNS0_20block_scan_algorithmE0ELj4294967295EEENS1_25partition_config_selectorILNS1_17partition_subalgoE4EjNS0_10empty_typeEbEEZZNS1_14partition_implILS8_4ELb0ES6_15HIP_vector_typeIjLj2EENS0_17counting_iteratorIjlEEPS9_SG_NS0_5tupleIJPjSI_NS0_16reverse_iteratorISI_EEEEENSH_IJSG_SG_SG_EEES9_SI_JZNS1_25segmented_radix_sort_implINS0_14default_configELb0EPKlPlSQ_SR_N2at6native12_GLOBAL__N_18offset_tEEE10hipError_tPvRmT1_PNSt15iterator_traitsISZ_E10value_typeET2_T3_PNS10_IS15_E10value_typeET4_jRbjT5_S1B_jjP12ihipStream_tbEUljE_ZNSN_ISO_Lb0ESQ_SR_SQ_SR_SV_EESW_SX_SY_SZ_S13_S14_S15_S18_S19_jS1A_jS1B_S1B_jjS1D_bEUljE0_EEESW_SX_SY_S15_S19_S1B_T6_T7_T9_mT8_S1D_bDpT10_ENKUlT_T0_E_clISt17integral_constantIbLb0EES1Q_IbLb1EEEEDaS1M_S1N_EUlS1M_E_NS1_11comp_targetILNS1_3genE4ELNS1_11target_archE910ELNS1_3gpuE8ELNS1_3repE0EEENS1_30default_config_static_selectorELNS0_4arch9wavefront6targetE1EEEvSZ_,comdat
	.globl	_ZN7rocprim17ROCPRIM_400000_NS6detail17trampoline_kernelINS0_13select_configILj256ELj13ELNS0_17block_load_methodE3ELS4_3ELS4_3ELNS0_20block_scan_algorithmE0ELj4294967295EEENS1_25partition_config_selectorILNS1_17partition_subalgoE4EjNS0_10empty_typeEbEEZZNS1_14partition_implILS8_4ELb0ES6_15HIP_vector_typeIjLj2EENS0_17counting_iteratorIjlEEPS9_SG_NS0_5tupleIJPjSI_NS0_16reverse_iteratorISI_EEEEENSH_IJSG_SG_SG_EEES9_SI_JZNS1_25segmented_radix_sort_implINS0_14default_configELb0EPKlPlSQ_SR_N2at6native12_GLOBAL__N_18offset_tEEE10hipError_tPvRmT1_PNSt15iterator_traitsISZ_E10value_typeET2_T3_PNS10_IS15_E10value_typeET4_jRbjT5_S1B_jjP12ihipStream_tbEUljE_ZNSN_ISO_Lb0ESQ_SR_SQ_SR_SV_EESW_SX_SY_SZ_S13_S14_S15_S18_S19_jS1A_jS1B_S1B_jjS1D_bEUljE0_EEESW_SX_SY_S15_S19_S1B_T6_T7_T9_mT8_S1D_bDpT10_ENKUlT_T0_E_clISt17integral_constantIbLb0EES1Q_IbLb1EEEEDaS1M_S1N_EUlS1M_E_NS1_11comp_targetILNS1_3genE4ELNS1_11target_archE910ELNS1_3gpuE8ELNS1_3repE0EEENS1_30default_config_static_selectorELNS0_4arch9wavefront6targetE1EEEvSZ_ ; -- Begin function _ZN7rocprim17ROCPRIM_400000_NS6detail17trampoline_kernelINS0_13select_configILj256ELj13ELNS0_17block_load_methodE3ELS4_3ELS4_3ELNS0_20block_scan_algorithmE0ELj4294967295EEENS1_25partition_config_selectorILNS1_17partition_subalgoE4EjNS0_10empty_typeEbEEZZNS1_14partition_implILS8_4ELb0ES6_15HIP_vector_typeIjLj2EENS0_17counting_iteratorIjlEEPS9_SG_NS0_5tupleIJPjSI_NS0_16reverse_iteratorISI_EEEEENSH_IJSG_SG_SG_EEES9_SI_JZNS1_25segmented_radix_sort_implINS0_14default_configELb0EPKlPlSQ_SR_N2at6native12_GLOBAL__N_18offset_tEEE10hipError_tPvRmT1_PNSt15iterator_traitsISZ_E10value_typeET2_T3_PNS10_IS15_E10value_typeET4_jRbjT5_S1B_jjP12ihipStream_tbEUljE_ZNSN_ISO_Lb0ESQ_SR_SQ_SR_SV_EESW_SX_SY_SZ_S13_S14_S15_S18_S19_jS1A_jS1B_S1B_jjS1D_bEUljE0_EEESW_SX_SY_S15_S19_S1B_T6_T7_T9_mT8_S1D_bDpT10_ENKUlT_T0_E_clISt17integral_constantIbLb0EES1Q_IbLb1EEEEDaS1M_S1N_EUlS1M_E_NS1_11comp_targetILNS1_3genE4ELNS1_11target_archE910ELNS1_3gpuE8ELNS1_3repE0EEENS1_30default_config_static_selectorELNS0_4arch9wavefront6targetE1EEEvSZ_
	.p2align	8
	.type	_ZN7rocprim17ROCPRIM_400000_NS6detail17trampoline_kernelINS0_13select_configILj256ELj13ELNS0_17block_load_methodE3ELS4_3ELS4_3ELNS0_20block_scan_algorithmE0ELj4294967295EEENS1_25partition_config_selectorILNS1_17partition_subalgoE4EjNS0_10empty_typeEbEEZZNS1_14partition_implILS8_4ELb0ES6_15HIP_vector_typeIjLj2EENS0_17counting_iteratorIjlEEPS9_SG_NS0_5tupleIJPjSI_NS0_16reverse_iteratorISI_EEEEENSH_IJSG_SG_SG_EEES9_SI_JZNS1_25segmented_radix_sort_implINS0_14default_configELb0EPKlPlSQ_SR_N2at6native12_GLOBAL__N_18offset_tEEE10hipError_tPvRmT1_PNSt15iterator_traitsISZ_E10value_typeET2_T3_PNS10_IS15_E10value_typeET4_jRbjT5_S1B_jjP12ihipStream_tbEUljE_ZNSN_ISO_Lb0ESQ_SR_SQ_SR_SV_EESW_SX_SY_SZ_S13_S14_S15_S18_S19_jS1A_jS1B_S1B_jjS1D_bEUljE0_EEESW_SX_SY_S15_S19_S1B_T6_T7_T9_mT8_S1D_bDpT10_ENKUlT_T0_E_clISt17integral_constantIbLb0EES1Q_IbLb1EEEEDaS1M_S1N_EUlS1M_E_NS1_11comp_targetILNS1_3genE4ELNS1_11target_archE910ELNS1_3gpuE8ELNS1_3repE0EEENS1_30default_config_static_selectorELNS0_4arch9wavefront6targetE1EEEvSZ_,@function
_ZN7rocprim17ROCPRIM_400000_NS6detail17trampoline_kernelINS0_13select_configILj256ELj13ELNS0_17block_load_methodE3ELS4_3ELS4_3ELNS0_20block_scan_algorithmE0ELj4294967295EEENS1_25partition_config_selectorILNS1_17partition_subalgoE4EjNS0_10empty_typeEbEEZZNS1_14partition_implILS8_4ELb0ES6_15HIP_vector_typeIjLj2EENS0_17counting_iteratorIjlEEPS9_SG_NS0_5tupleIJPjSI_NS0_16reverse_iteratorISI_EEEEENSH_IJSG_SG_SG_EEES9_SI_JZNS1_25segmented_radix_sort_implINS0_14default_configELb0EPKlPlSQ_SR_N2at6native12_GLOBAL__N_18offset_tEEE10hipError_tPvRmT1_PNSt15iterator_traitsISZ_E10value_typeET2_T3_PNS10_IS15_E10value_typeET4_jRbjT5_S1B_jjP12ihipStream_tbEUljE_ZNSN_ISO_Lb0ESQ_SR_SQ_SR_SV_EESW_SX_SY_SZ_S13_S14_S15_S18_S19_jS1A_jS1B_S1B_jjS1D_bEUljE0_EEESW_SX_SY_S15_S19_S1B_T6_T7_T9_mT8_S1D_bDpT10_ENKUlT_T0_E_clISt17integral_constantIbLb0EES1Q_IbLb1EEEEDaS1M_S1N_EUlS1M_E_NS1_11comp_targetILNS1_3genE4ELNS1_11target_archE910ELNS1_3gpuE8ELNS1_3repE0EEENS1_30default_config_static_selectorELNS0_4arch9wavefront6targetE1EEEvSZ_: ; @_ZN7rocprim17ROCPRIM_400000_NS6detail17trampoline_kernelINS0_13select_configILj256ELj13ELNS0_17block_load_methodE3ELS4_3ELS4_3ELNS0_20block_scan_algorithmE0ELj4294967295EEENS1_25partition_config_selectorILNS1_17partition_subalgoE4EjNS0_10empty_typeEbEEZZNS1_14partition_implILS8_4ELb0ES6_15HIP_vector_typeIjLj2EENS0_17counting_iteratorIjlEEPS9_SG_NS0_5tupleIJPjSI_NS0_16reverse_iteratorISI_EEEEENSH_IJSG_SG_SG_EEES9_SI_JZNS1_25segmented_radix_sort_implINS0_14default_configELb0EPKlPlSQ_SR_N2at6native12_GLOBAL__N_18offset_tEEE10hipError_tPvRmT1_PNSt15iterator_traitsISZ_E10value_typeET2_T3_PNS10_IS15_E10value_typeET4_jRbjT5_S1B_jjP12ihipStream_tbEUljE_ZNSN_ISO_Lb0ESQ_SR_SQ_SR_SV_EESW_SX_SY_SZ_S13_S14_S15_S18_S19_jS1A_jS1B_S1B_jjS1D_bEUljE0_EEESW_SX_SY_S15_S19_S1B_T6_T7_T9_mT8_S1D_bDpT10_ENKUlT_T0_E_clISt17integral_constantIbLb0EES1Q_IbLb1EEEEDaS1M_S1N_EUlS1M_E_NS1_11comp_targetILNS1_3genE4ELNS1_11target_archE910ELNS1_3gpuE8ELNS1_3repE0EEENS1_30default_config_static_selectorELNS0_4arch9wavefront6targetE1EEEvSZ_
; %bb.0:
	.section	.rodata,"a",@progbits
	.p2align	6, 0x0
	.amdhsa_kernel _ZN7rocprim17ROCPRIM_400000_NS6detail17trampoline_kernelINS0_13select_configILj256ELj13ELNS0_17block_load_methodE3ELS4_3ELS4_3ELNS0_20block_scan_algorithmE0ELj4294967295EEENS1_25partition_config_selectorILNS1_17partition_subalgoE4EjNS0_10empty_typeEbEEZZNS1_14partition_implILS8_4ELb0ES6_15HIP_vector_typeIjLj2EENS0_17counting_iteratorIjlEEPS9_SG_NS0_5tupleIJPjSI_NS0_16reverse_iteratorISI_EEEEENSH_IJSG_SG_SG_EEES9_SI_JZNS1_25segmented_radix_sort_implINS0_14default_configELb0EPKlPlSQ_SR_N2at6native12_GLOBAL__N_18offset_tEEE10hipError_tPvRmT1_PNSt15iterator_traitsISZ_E10value_typeET2_T3_PNS10_IS15_E10value_typeET4_jRbjT5_S1B_jjP12ihipStream_tbEUljE_ZNSN_ISO_Lb0ESQ_SR_SQ_SR_SV_EESW_SX_SY_SZ_S13_S14_S15_S18_S19_jS1A_jS1B_S1B_jjS1D_bEUljE0_EEESW_SX_SY_S15_S19_S1B_T6_T7_T9_mT8_S1D_bDpT10_ENKUlT_T0_E_clISt17integral_constantIbLb0EES1Q_IbLb1EEEEDaS1M_S1N_EUlS1M_E_NS1_11comp_targetILNS1_3genE4ELNS1_11target_archE910ELNS1_3gpuE8ELNS1_3repE0EEENS1_30default_config_static_selectorELNS0_4arch9wavefront6targetE1EEEvSZ_
		.amdhsa_group_segment_fixed_size 0
		.amdhsa_private_segment_fixed_size 0
		.amdhsa_kernarg_size 184
		.amdhsa_user_sgpr_count 6
		.amdhsa_user_sgpr_private_segment_buffer 1
		.amdhsa_user_sgpr_dispatch_ptr 0
		.amdhsa_user_sgpr_queue_ptr 0
		.amdhsa_user_sgpr_kernarg_segment_ptr 1
		.amdhsa_user_sgpr_dispatch_id 0
		.amdhsa_user_sgpr_flat_scratch_init 0
		.amdhsa_user_sgpr_private_segment_size 0
		.amdhsa_uses_dynamic_stack 0
		.amdhsa_system_sgpr_private_segment_wavefront_offset 0
		.amdhsa_system_sgpr_workgroup_id_x 1
		.amdhsa_system_sgpr_workgroup_id_y 0
		.amdhsa_system_sgpr_workgroup_id_z 0
		.amdhsa_system_sgpr_workgroup_info 0
		.amdhsa_system_vgpr_workitem_id 0
		.amdhsa_next_free_vgpr 1
		.amdhsa_next_free_sgpr 0
		.amdhsa_reserve_vcc 0
		.amdhsa_reserve_flat_scratch 0
		.amdhsa_float_round_mode_32 0
		.amdhsa_float_round_mode_16_64 0
		.amdhsa_float_denorm_mode_32 3
		.amdhsa_float_denorm_mode_16_64 3
		.amdhsa_dx10_clamp 1
		.amdhsa_ieee_mode 1
		.amdhsa_fp16_overflow 0
		.amdhsa_exception_fp_ieee_invalid_op 0
		.amdhsa_exception_fp_denorm_src 0
		.amdhsa_exception_fp_ieee_div_zero 0
		.amdhsa_exception_fp_ieee_overflow 0
		.amdhsa_exception_fp_ieee_underflow 0
		.amdhsa_exception_fp_ieee_inexact 0
		.amdhsa_exception_int_div_zero 0
	.end_amdhsa_kernel
	.section	.text._ZN7rocprim17ROCPRIM_400000_NS6detail17trampoline_kernelINS0_13select_configILj256ELj13ELNS0_17block_load_methodE3ELS4_3ELS4_3ELNS0_20block_scan_algorithmE0ELj4294967295EEENS1_25partition_config_selectorILNS1_17partition_subalgoE4EjNS0_10empty_typeEbEEZZNS1_14partition_implILS8_4ELb0ES6_15HIP_vector_typeIjLj2EENS0_17counting_iteratorIjlEEPS9_SG_NS0_5tupleIJPjSI_NS0_16reverse_iteratorISI_EEEEENSH_IJSG_SG_SG_EEES9_SI_JZNS1_25segmented_radix_sort_implINS0_14default_configELb0EPKlPlSQ_SR_N2at6native12_GLOBAL__N_18offset_tEEE10hipError_tPvRmT1_PNSt15iterator_traitsISZ_E10value_typeET2_T3_PNS10_IS15_E10value_typeET4_jRbjT5_S1B_jjP12ihipStream_tbEUljE_ZNSN_ISO_Lb0ESQ_SR_SQ_SR_SV_EESW_SX_SY_SZ_S13_S14_S15_S18_S19_jS1A_jS1B_S1B_jjS1D_bEUljE0_EEESW_SX_SY_S15_S19_S1B_T6_T7_T9_mT8_S1D_bDpT10_ENKUlT_T0_E_clISt17integral_constantIbLb0EES1Q_IbLb1EEEEDaS1M_S1N_EUlS1M_E_NS1_11comp_targetILNS1_3genE4ELNS1_11target_archE910ELNS1_3gpuE8ELNS1_3repE0EEENS1_30default_config_static_selectorELNS0_4arch9wavefront6targetE1EEEvSZ_,"axG",@progbits,_ZN7rocprim17ROCPRIM_400000_NS6detail17trampoline_kernelINS0_13select_configILj256ELj13ELNS0_17block_load_methodE3ELS4_3ELS4_3ELNS0_20block_scan_algorithmE0ELj4294967295EEENS1_25partition_config_selectorILNS1_17partition_subalgoE4EjNS0_10empty_typeEbEEZZNS1_14partition_implILS8_4ELb0ES6_15HIP_vector_typeIjLj2EENS0_17counting_iteratorIjlEEPS9_SG_NS0_5tupleIJPjSI_NS0_16reverse_iteratorISI_EEEEENSH_IJSG_SG_SG_EEES9_SI_JZNS1_25segmented_radix_sort_implINS0_14default_configELb0EPKlPlSQ_SR_N2at6native12_GLOBAL__N_18offset_tEEE10hipError_tPvRmT1_PNSt15iterator_traitsISZ_E10value_typeET2_T3_PNS10_IS15_E10value_typeET4_jRbjT5_S1B_jjP12ihipStream_tbEUljE_ZNSN_ISO_Lb0ESQ_SR_SQ_SR_SV_EESW_SX_SY_SZ_S13_S14_S15_S18_S19_jS1A_jS1B_S1B_jjS1D_bEUljE0_EEESW_SX_SY_S15_S19_S1B_T6_T7_T9_mT8_S1D_bDpT10_ENKUlT_T0_E_clISt17integral_constantIbLb0EES1Q_IbLb1EEEEDaS1M_S1N_EUlS1M_E_NS1_11comp_targetILNS1_3genE4ELNS1_11target_archE910ELNS1_3gpuE8ELNS1_3repE0EEENS1_30default_config_static_selectorELNS0_4arch9wavefront6targetE1EEEvSZ_,comdat
.Lfunc_end769:
	.size	_ZN7rocprim17ROCPRIM_400000_NS6detail17trampoline_kernelINS0_13select_configILj256ELj13ELNS0_17block_load_methodE3ELS4_3ELS4_3ELNS0_20block_scan_algorithmE0ELj4294967295EEENS1_25partition_config_selectorILNS1_17partition_subalgoE4EjNS0_10empty_typeEbEEZZNS1_14partition_implILS8_4ELb0ES6_15HIP_vector_typeIjLj2EENS0_17counting_iteratorIjlEEPS9_SG_NS0_5tupleIJPjSI_NS0_16reverse_iteratorISI_EEEEENSH_IJSG_SG_SG_EEES9_SI_JZNS1_25segmented_radix_sort_implINS0_14default_configELb0EPKlPlSQ_SR_N2at6native12_GLOBAL__N_18offset_tEEE10hipError_tPvRmT1_PNSt15iterator_traitsISZ_E10value_typeET2_T3_PNS10_IS15_E10value_typeET4_jRbjT5_S1B_jjP12ihipStream_tbEUljE_ZNSN_ISO_Lb0ESQ_SR_SQ_SR_SV_EESW_SX_SY_SZ_S13_S14_S15_S18_S19_jS1A_jS1B_S1B_jjS1D_bEUljE0_EEESW_SX_SY_S15_S19_S1B_T6_T7_T9_mT8_S1D_bDpT10_ENKUlT_T0_E_clISt17integral_constantIbLb0EES1Q_IbLb1EEEEDaS1M_S1N_EUlS1M_E_NS1_11comp_targetILNS1_3genE4ELNS1_11target_archE910ELNS1_3gpuE8ELNS1_3repE0EEENS1_30default_config_static_selectorELNS0_4arch9wavefront6targetE1EEEvSZ_, .Lfunc_end769-_ZN7rocprim17ROCPRIM_400000_NS6detail17trampoline_kernelINS0_13select_configILj256ELj13ELNS0_17block_load_methodE3ELS4_3ELS4_3ELNS0_20block_scan_algorithmE0ELj4294967295EEENS1_25partition_config_selectorILNS1_17partition_subalgoE4EjNS0_10empty_typeEbEEZZNS1_14partition_implILS8_4ELb0ES6_15HIP_vector_typeIjLj2EENS0_17counting_iteratorIjlEEPS9_SG_NS0_5tupleIJPjSI_NS0_16reverse_iteratorISI_EEEEENSH_IJSG_SG_SG_EEES9_SI_JZNS1_25segmented_radix_sort_implINS0_14default_configELb0EPKlPlSQ_SR_N2at6native12_GLOBAL__N_18offset_tEEE10hipError_tPvRmT1_PNSt15iterator_traitsISZ_E10value_typeET2_T3_PNS10_IS15_E10value_typeET4_jRbjT5_S1B_jjP12ihipStream_tbEUljE_ZNSN_ISO_Lb0ESQ_SR_SQ_SR_SV_EESW_SX_SY_SZ_S13_S14_S15_S18_S19_jS1A_jS1B_S1B_jjS1D_bEUljE0_EEESW_SX_SY_S15_S19_S1B_T6_T7_T9_mT8_S1D_bDpT10_ENKUlT_T0_E_clISt17integral_constantIbLb0EES1Q_IbLb1EEEEDaS1M_S1N_EUlS1M_E_NS1_11comp_targetILNS1_3genE4ELNS1_11target_archE910ELNS1_3gpuE8ELNS1_3repE0EEENS1_30default_config_static_selectorELNS0_4arch9wavefront6targetE1EEEvSZ_
                                        ; -- End function
	.set _ZN7rocprim17ROCPRIM_400000_NS6detail17trampoline_kernelINS0_13select_configILj256ELj13ELNS0_17block_load_methodE3ELS4_3ELS4_3ELNS0_20block_scan_algorithmE0ELj4294967295EEENS1_25partition_config_selectorILNS1_17partition_subalgoE4EjNS0_10empty_typeEbEEZZNS1_14partition_implILS8_4ELb0ES6_15HIP_vector_typeIjLj2EENS0_17counting_iteratorIjlEEPS9_SG_NS0_5tupleIJPjSI_NS0_16reverse_iteratorISI_EEEEENSH_IJSG_SG_SG_EEES9_SI_JZNS1_25segmented_radix_sort_implINS0_14default_configELb0EPKlPlSQ_SR_N2at6native12_GLOBAL__N_18offset_tEEE10hipError_tPvRmT1_PNSt15iterator_traitsISZ_E10value_typeET2_T3_PNS10_IS15_E10value_typeET4_jRbjT5_S1B_jjP12ihipStream_tbEUljE_ZNSN_ISO_Lb0ESQ_SR_SQ_SR_SV_EESW_SX_SY_SZ_S13_S14_S15_S18_S19_jS1A_jS1B_S1B_jjS1D_bEUljE0_EEESW_SX_SY_S15_S19_S1B_T6_T7_T9_mT8_S1D_bDpT10_ENKUlT_T0_E_clISt17integral_constantIbLb0EES1Q_IbLb1EEEEDaS1M_S1N_EUlS1M_E_NS1_11comp_targetILNS1_3genE4ELNS1_11target_archE910ELNS1_3gpuE8ELNS1_3repE0EEENS1_30default_config_static_selectorELNS0_4arch9wavefront6targetE1EEEvSZ_.num_vgpr, 0
	.set _ZN7rocprim17ROCPRIM_400000_NS6detail17trampoline_kernelINS0_13select_configILj256ELj13ELNS0_17block_load_methodE3ELS4_3ELS4_3ELNS0_20block_scan_algorithmE0ELj4294967295EEENS1_25partition_config_selectorILNS1_17partition_subalgoE4EjNS0_10empty_typeEbEEZZNS1_14partition_implILS8_4ELb0ES6_15HIP_vector_typeIjLj2EENS0_17counting_iteratorIjlEEPS9_SG_NS0_5tupleIJPjSI_NS0_16reverse_iteratorISI_EEEEENSH_IJSG_SG_SG_EEES9_SI_JZNS1_25segmented_radix_sort_implINS0_14default_configELb0EPKlPlSQ_SR_N2at6native12_GLOBAL__N_18offset_tEEE10hipError_tPvRmT1_PNSt15iterator_traitsISZ_E10value_typeET2_T3_PNS10_IS15_E10value_typeET4_jRbjT5_S1B_jjP12ihipStream_tbEUljE_ZNSN_ISO_Lb0ESQ_SR_SQ_SR_SV_EESW_SX_SY_SZ_S13_S14_S15_S18_S19_jS1A_jS1B_S1B_jjS1D_bEUljE0_EEESW_SX_SY_S15_S19_S1B_T6_T7_T9_mT8_S1D_bDpT10_ENKUlT_T0_E_clISt17integral_constantIbLb0EES1Q_IbLb1EEEEDaS1M_S1N_EUlS1M_E_NS1_11comp_targetILNS1_3genE4ELNS1_11target_archE910ELNS1_3gpuE8ELNS1_3repE0EEENS1_30default_config_static_selectorELNS0_4arch9wavefront6targetE1EEEvSZ_.num_agpr, 0
	.set _ZN7rocprim17ROCPRIM_400000_NS6detail17trampoline_kernelINS0_13select_configILj256ELj13ELNS0_17block_load_methodE3ELS4_3ELS4_3ELNS0_20block_scan_algorithmE0ELj4294967295EEENS1_25partition_config_selectorILNS1_17partition_subalgoE4EjNS0_10empty_typeEbEEZZNS1_14partition_implILS8_4ELb0ES6_15HIP_vector_typeIjLj2EENS0_17counting_iteratorIjlEEPS9_SG_NS0_5tupleIJPjSI_NS0_16reverse_iteratorISI_EEEEENSH_IJSG_SG_SG_EEES9_SI_JZNS1_25segmented_radix_sort_implINS0_14default_configELb0EPKlPlSQ_SR_N2at6native12_GLOBAL__N_18offset_tEEE10hipError_tPvRmT1_PNSt15iterator_traitsISZ_E10value_typeET2_T3_PNS10_IS15_E10value_typeET4_jRbjT5_S1B_jjP12ihipStream_tbEUljE_ZNSN_ISO_Lb0ESQ_SR_SQ_SR_SV_EESW_SX_SY_SZ_S13_S14_S15_S18_S19_jS1A_jS1B_S1B_jjS1D_bEUljE0_EEESW_SX_SY_S15_S19_S1B_T6_T7_T9_mT8_S1D_bDpT10_ENKUlT_T0_E_clISt17integral_constantIbLb0EES1Q_IbLb1EEEEDaS1M_S1N_EUlS1M_E_NS1_11comp_targetILNS1_3genE4ELNS1_11target_archE910ELNS1_3gpuE8ELNS1_3repE0EEENS1_30default_config_static_selectorELNS0_4arch9wavefront6targetE1EEEvSZ_.numbered_sgpr, 0
	.set _ZN7rocprim17ROCPRIM_400000_NS6detail17trampoline_kernelINS0_13select_configILj256ELj13ELNS0_17block_load_methodE3ELS4_3ELS4_3ELNS0_20block_scan_algorithmE0ELj4294967295EEENS1_25partition_config_selectorILNS1_17partition_subalgoE4EjNS0_10empty_typeEbEEZZNS1_14partition_implILS8_4ELb0ES6_15HIP_vector_typeIjLj2EENS0_17counting_iteratorIjlEEPS9_SG_NS0_5tupleIJPjSI_NS0_16reverse_iteratorISI_EEEEENSH_IJSG_SG_SG_EEES9_SI_JZNS1_25segmented_radix_sort_implINS0_14default_configELb0EPKlPlSQ_SR_N2at6native12_GLOBAL__N_18offset_tEEE10hipError_tPvRmT1_PNSt15iterator_traitsISZ_E10value_typeET2_T3_PNS10_IS15_E10value_typeET4_jRbjT5_S1B_jjP12ihipStream_tbEUljE_ZNSN_ISO_Lb0ESQ_SR_SQ_SR_SV_EESW_SX_SY_SZ_S13_S14_S15_S18_S19_jS1A_jS1B_S1B_jjS1D_bEUljE0_EEESW_SX_SY_S15_S19_S1B_T6_T7_T9_mT8_S1D_bDpT10_ENKUlT_T0_E_clISt17integral_constantIbLb0EES1Q_IbLb1EEEEDaS1M_S1N_EUlS1M_E_NS1_11comp_targetILNS1_3genE4ELNS1_11target_archE910ELNS1_3gpuE8ELNS1_3repE0EEENS1_30default_config_static_selectorELNS0_4arch9wavefront6targetE1EEEvSZ_.num_named_barrier, 0
	.set _ZN7rocprim17ROCPRIM_400000_NS6detail17trampoline_kernelINS0_13select_configILj256ELj13ELNS0_17block_load_methodE3ELS4_3ELS4_3ELNS0_20block_scan_algorithmE0ELj4294967295EEENS1_25partition_config_selectorILNS1_17partition_subalgoE4EjNS0_10empty_typeEbEEZZNS1_14partition_implILS8_4ELb0ES6_15HIP_vector_typeIjLj2EENS0_17counting_iteratorIjlEEPS9_SG_NS0_5tupleIJPjSI_NS0_16reverse_iteratorISI_EEEEENSH_IJSG_SG_SG_EEES9_SI_JZNS1_25segmented_radix_sort_implINS0_14default_configELb0EPKlPlSQ_SR_N2at6native12_GLOBAL__N_18offset_tEEE10hipError_tPvRmT1_PNSt15iterator_traitsISZ_E10value_typeET2_T3_PNS10_IS15_E10value_typeET4_jRbjT5_S1B_jjP12ihipStream_tbEUljE_ZNSN_ISO_Lb0ESQ_SR_SQ_SR_SV_EESW_SX_SY_SZ_S13_S14_S15_S18_S19_jS1A_jS1B_S1B_jjS1D_bEUljE0_EEESW_SX_SY_S15_S19_S1B_T6_T7_T9_mT8_S1D_bDpT10_ENKUlT_T0_E_clISt17integral_constantIbLb0EES1Q_IbLb1EEEEDaS1M_S1N_EUlS1M_E_NS1_11comp_targetILNS1_3genE4ELNS1_11target_archE910ELNS1_3gpuE8ELNS1_3repE0EEENS1_30default_config_static_selectorELNS0_4arch9wavefront6targetE1EEEvSZ_.private_seg_size, 0
	.set _ZN7rocprim17ROCPRIM_400000_NS6detail17trampoline_kernelINS0_13select_configILj256ELj13ELNS0_17block_load_methodE3ELS4_3ELS4_3ELNS0_20block_scan_algorithmE0ELj4294967295EEENS1_25partition_config_selectorILNS1_17partition_subalgoE4EjNS0_10empty_typeEbEEZZNS1_14partition_implILS8_4ELb0ES6_15HIP_vector_typeIjLj2EENS0_17counting_iteratorIjlEEPS9_SG_NS0_5tupleIJPjSI_NS0_16reverse_iteratorISI_EEEEENSH_IJSG_SG_SG_EEES9_SI_JZNS1_25segmented_radix_sort_implINS0_14default_configELb0EPKlPlSQ_SR_N2at6native12_GLOBAL__N_18offset_tEEE10hipError_tPvRmT1_PNSt15iterator_traitsISZ_E10value_typeET2_T3_PNS10_IS15_E10value_typeET4_jRbjT5_S1B_jjP12ihipStream_tbEUljE_ZNSN_ISO_Lb0ESQ_SR_SQ_SR_SV_EESW_SX_SY_SZ_S13_S14_S15_S18_S19_jS1A_jS1B_S1B_jjS1D_bEUljE0_EEESW_SX_SY_S15_S19_S1B_T6_T7_T9_mT8_S1D_bDpT10_ENKUlT_T0_E_clISt17integral_constantIbLb0EES1Q_IbLb1EEEEDaS1M_S1N_EUlS1M_E_NS1_11comp_targetILNS1_3genE4ELNS1_11target_archE910ELNS1_3gpuE8ELNS1_3repE0EEENS1_30default_config_static_selectorELNS0_4arch9wavefront6targetE1EEEvSZ_.uses_vcc, 0
	.set _ZN7rocprim17ROCPRIM_400000_NS6detail17trampoline_kernelINS0_13select_configILj256ELj13ELNS0_17block_load_methodE3ELS4_3ELS4_3ELNS0_20block_scan_algorithmE0ELj4294967295EEENS1_25partition_config_selectorILNS1_17partition_subalgoE4EjNS0_10empty_typeEbEEZZNS1_14partition_implILS8_4ELb0ES6_15HIP_vector_typeIjLj2EENS0_17counting_iteratorIjlEEPS9_SG_NS0_5tupleIJPjSI_NS0_16reverse_iteratorISI_EEEEENSH_IJSG_SG_SG_EEES9_SI_JZNS1_25segmented_radix_sort_implINS0_14default_configELb0EPKlPlSQ_SR_N2at6native12_GLOBAL__N_18offset_tEEE10hipError_tPvRmT1_PNSt15iterator_traitsISZ_E10value_typeET2_T3_PNS10_IS15_E10value_typeET4_jRbjT5_S1B_jjP12ihipStream_tbEUljE_ZNSN_ISO_Lb0ESQ_SR_SQ_SR_SV_EESW_SX_SY_SZ_S13_S14_S15_S18_S19_jS1A_jS1B_S1B_jjS1D_bEUljE0_EEESW_SX_SY_S15_S19_S1B_T6_T7_T9_mT8_S1D_bDpT10_ENKUlT_T0_E_clISt17integral_constantIbLb0EES1Q_IbLb1EEEEDaS1M_S1N_EUlS1M_E_NS1_11comp_targetILNS1_3genE4ELNS1_11target_archE910ELNS1_3gpuE8ELNS1_3repE0EEENS1_30default_config_static_selectorELNS0_4arch9wavefront6targetE1EEEvSZ_.uses_flat_scratch, 0
	.set _ZN7rocprim17ROCPRIM_400000_NS6detail17trampoline_kernelINS0_13select_configILj256ELj13ELNS0_17block_load_methodE3ELS4_3ELS4_3ELNS0_20block_scan_algorithmE0ELj4294967295EEENS1_25partition_config_selectorILNS1_17partition_subalgoE4EjNS0_10empty_typeEbEEZZNS1_14partition_implILS8_4ELb0ES6_15HIP_vector_typeIjLj2EENS0_17counting_iteratorIjlEEPS9_SG_NS0_5tupleIJPjSI_NS0_16reverse_iteratorISI_EEEEENSH_IJSG_SG_SG_EEES9_SI_JZNS1_25segmented_radix_sort_implINS0_14default_configELb0EPKlPlSQ_SR_N2at6native12_GLOBAL__N_18offset_tEEE10hipError_tPvRmT1_PNSt15iterator_traitsISZ_E10value_typeET2_T3_PNS10_IS15_E10value_typeET4_jRbjT5_S1B_jjP12ihipStream_tbEUljE_ZNSN_ISO_Lb0ESQ_SR_SQ_SR_SV_EESW_SX_SY_SZ_S13_S14_S15_S18_S19_jS1A_jS1B_S1B_jjS1D_bEUljE0_EEESW_SX_SY_S15_S19_S1B_T6_T7_T9_mT8_S1D_bDpT10_ENKUlT_T0_E_clISt17integral_constantIbLb0EES1Q_IbLb1EEEEDaS1M_S1N_EUlS1M_E_NS1_11comp_targetILNS1_3genE4ELNS1_11target_archE910ELNS1_3gpuE8ELNS1_3repE0EEENS1_30default_config_static_selectorELNS0_4arch9wavefront6targetE1EEEvSZ_.has_dyn_sized_stack, 0
	.set _ZN7rocprim17ROCPRIM_400000_NS6detail17trampoline_kernelINS0_13select_configILj256ELj13ELNS0_17block_load_methodE3ELS4_3ELS4_3ELNS0_20block_scan_algorithmE0ELj4294967295EEENS1_25partition_config_selectorILNS1_17partition_subalgoE4EjNS0_10empty_typeEbEEZZNS1_14partition_implILS8_4ELb0ES6_15HIP_vector_typeIjLj2EENS0_17counting_iteratorIjlEEPS9_SG_NS0_5tupleIJPjSI_NS0_16reverse_iteratorISI_EEEEENSH_IJSG_SG_SG_EEES9_SI_JZNS1_25segmented_radix_sort_implINS0_14default_configELb0EPKlPlSQ_SR_N2at6native12_GLOBAL__N_18offset_tEEE10hipError_tPvRmT1_PNSt15iterator_traitsISZ_E10value_typeET2_T3_PNS10_IS15_E10value_typeET4_jRbjT5_S1B_jjP12ihipStream_tbEUljE_ZNSN_ISO_Lb0ESQ_SR_SQ_SR_SV_EESW_SX_SY_SZ_S13_S14_S15_S18_S19_jS1A_jS1B_S1B_jjS1D_bEUljE0_EEESW_SX_SY_S15_S19_S1B_T6_T7_T9_mT8_S1D_bDpT10_ENKUlT_T0_E_clISt17integral_constantIbLb0EES1Q_IbLb1EEEEDaS1M_S1N_EUlS1M_E_NS1_11comp_targetILNS1_3genE4ELNS1_11target_archE910ELNS1_3gpuE8ELNS1_3repE0EEENS1_30default_config_static_selectorELNS0_4arch9wavefront6targetE1EEEvSZ_.has_recursion, 0
	.set _ZN7rocprim17ROCPRIM_400000_NS6detail17trampoline_kernelINS0_13select_configILj256ELj13ELNS0_17block_load_methodE3ELS4_3ELS4_3ELNS0_20block_scan_algorithmE0ELj4294967295EEENS1_25partition_config_selectorILNS1_17partition_subalgoE4EjNS0_10empty_typeEbEEZZNS1_14partition_implILS8_4ELb0ES6_15HIP_vector_typeIjLj2EENS0_17counting_iteratorIjlEEPS9_SG_NS0_5tupleIJPjSI_NS0_16reverse_iteratorISI_EEEEENSH_IJSG_SG_SG_EEES9_SI_JZNS1_25segmented_radix_sort_implINS0_14default_configELb0EPKlPlSQ_SR_N2at6native12_GLOBAL__N_18offset_tEEE10hipError_tPvRmT1_PNSt15iterator_traitsISZ_E10value_typeET2_T3_PNS10_IS15_E10value_typeET4_jRbjT5_S1B_jjP12ihipStream_tbEUljE_ZNSN_ISO_Lb0ESQ_SR_SQ_SR_SV_EESW_SX_SY_SZ_S13_S14_S15_S18_S19_jS1A_jS1B_S1B_jjS1D_bEUljE0_EEESW_SX_SY_S15_S19_S1B_T6_T7_T9_mT8_S1D_bDpT10_ENKUlT_T0_E_clISt17integral_constantIbLb0EES1Q_IbLb1EEEEDaS1M_S1N_EUlS1M_E_NS1_11comp_targetILNS1_3genE4ELNS1_11target_archE910ELNS1_3gpuE8ELNS1_3repE0EEENS1_30default_config_static_selectorELNS0_4arch9wavefront6targetE1EEEvSZ_.has_indirect_call, 0
	.section	.AMDGPU.csdata,"",@progbits
; Kernel info:
; codeLenInByte = 0
; TotalNumSgprs: 4
; NumVgprs: 0
; ScratchSize: 0
; MemoryBound: 0
; FloatMode: 240
; IeeeMode: 1
; LDSByteSize: 0 bytes/workgroup (compile time only)
; SGPRBlocks: 0
; VGPRBlocks: 0
; NumSGPRsForWavesPerEU: 4
; NumVGPRsForWavesPerEU: 1
; Occupancy: 10
; WaveLimiterHint : 0
; COMPUTE_PGM_RSRC2:SCRATCH_EN: 0
; COMPUTE_PGM_RSRC2:USER_SGPR: 6
; COMPUTE_PGM_RSRC2:TRAP_HANDLER: 0
; COMPUTE_PGM_RSRC2:TGID_X_EN: 1
; COMPUTE_PGM_RSRC2:TGID_Y_EN: 0
; COMPUTE_PGM_RSRC2:TGID_Z_EN: 0
; COMPUTE_PGM_RSRC2:TIDIG_COMP_CNT: 0
	.section	.text._ZN7rocprim17ROCPRIM_400000_NS6detail17trampoline_kernelINS0_13select_configILj256ELj13ELNS0_17block_load_methodE3ELS4_3ELS4_3ELNS0_20block_scan_algorithmE0ELj4294967295EEENS1_25partition_config_selectorILNS1_17partition_subalgoE4EjNS0_10empty_typeEbEEZZNS1_14partition_implILS8_4ELb0ES6_15HIP_vector_typeIjLj2EENS0_17counting_iteratorIjlEEPS9_SG_NS0_5tupleIJPjSI_NS0_16reverse_iteratorISI_EEEEENSH_IJSG_SG_SG_EEES9_SI_JZNS1_25segmented_radix_sort_implINS0_14default_configELb0EPKlPlSQ_SR_N2at6native12_GLOBAL__N_18offset_tEEE10hipError_tPvRmT1_PNSt15iterator_traitsISZ_E10value_typeET2_T3_PNS10_IS15_E10value_typeET4_jRbjT5_S1B_jjP12ihipStream_tbEUljE_ZNSN_ISO_Lb0ESQ_SR_SQ_SR_SV_EESW_SX_SY_SZ_S13_S14_S15_S18_S19_jS1A_jS1B_S1B_jjS1D_bEUljE0_EEESW_SX_SY_S15_S19_S1B_T6_T7_T9_mT8_S1D_bDpT10_ENKUlT_T0_E_clISt17integral_constantIbLb0EES1Q_IbLb1EEEEDaS1M_S1N_EUlS1M_E_NS1_11comp_targetILNS1_3genE3ELNS1_11target_archE908ELNS1_3gpuE7ELNS1_3repE0EEENS1_30default_config_static_selectorELNS0_4arch9wavefront6targetE1EEEvSZ_,"axG",@progbits,_ZN7rocprim17ROCPRIM_400000_NS6detail17trampoline_kernelINS0_13select_configILj256ELj13ELNS0_17block_load_methodE3ELS4_3ELS4_3ELNS0_20block_scan_algorithmE0ELj4294967295EEENS1_25partition_config_selectorILNS1_17partition_subalgoE4EjNS0_10empty_typeEbEEZZNS1_14partition_implILS8_4ELb0ES6_15HIP_vector_typeIjLj2EENS0_17counting_iteratorIjlEEPS9_SG_NS0_5tupleIJPjSI_NS0_16reverse_iteratorISI_EEEEENSH_IJSG_SG_SG_EEES9_SI_JZNS1_25segmented_radix_sort_implINS0_14default_configELb0EPKlPlSQ_SR_N2at6native12_GLOBAL__N_18offset_tEEE10hipError_tPvRmT1_PNSt15iterator_traitsISZ_E10value_typeET2_T3_PNS10_IS15_E10value_typeET4_jRbjT5_S1B_jjP12ihipStream_tbEUljE_ZNSN_ISO_Lb0ESQ_SR_SQ_SR_SV_EESW_SX_SY_SZ_S13_S14_S15_S18_S19_jS1A_jS1B_S1B_jjS1D_bEUljE0_EEESW_SX_SY_S15_S19_S1B_T6_T7_T9_mT8_S1D_bDpT10_ENKUlT_T0_E_clISt17integral_constantIbLb0EES1Q_IbLb1EEEEDaS1M_S1N_EUlS1M_E_NS1_11comp_targetILNS1_3genE3ELNS1_11target_archE908ELNS1_3gpuE7ELNS1_3repE0EEENS1_30default_config_static_selectorELNS0_4arch9wavefront6targetE1EEEvSZ_,comdat
	.globl	_ZN7rocprim17ROCPRIM_400000_NS6detail17trampoline_kernelINS0_13select_configILj256ELj13ELNS0_17block_load_methodE3ELS4_3ELS4_3ELNS0_20block_scan_algorithmE0ELj4294967295EEENS1_25partition_config_selectorILNS1_17partition_subalgoE4EjNS0_10empty_typeEbEEZZNS1_14partition_implILS8_4ELb0ES6_15HIP_vector_typeIjLj2EENS0_17counting_iteratorIjlEEPS9_SG_NS0_5tupleIJPjSI_NS0_16reverse_iteratorISI_EEEEENSH_IJSG_SG_SG_EEES9_SI_JZNS1_25segmented_radix_sort_implINS0_14default_configELb0EPKlPlSQ_SR_N2at6native12_GLOBAL__N_18offset_tEEE10hipError_tPvRmT1_PNSt15iterator_traitsISZ_E10value_typeET2_T3_PNS10_IS15_E10value_typeET4_jRbjT5_S1B_jjP12ihipStream_tbEUljE_ZNSN_ISO_Lb0ESQ_SR_SQ_SR_SV_EESW_SX_SY_SZ_S13_S14_S15_S18_S19_jS1A_jS1B_S1B_jjS1D_bEUljE0_EEESW_SX_SY_S15_S19_S1B_T6_T7_T9_mT8_S1D_bDpT10_ENKUlT_T0_E_clISt17integral_constantIbLb0EES1Q_IbLb1EEEEDaS1M_S1N_EUlS1M_E_NS1_11comp_targetILNS1_3genE3ELNS1_11target_archE908ELNS1_3gpuE7ELNS1_3repE0EEENS1_30default_config_static_selectorELNS0_4arch9wavefront6targetE1EEEvSZ_ ; -- Begin function _ZN7rocprim17ROCPRIM_400000_NS6detail17trampoline_kernelINS0_13select_configILj256ELj13ELNS0_17block_load_methodE3ELS4_3ELS4_3ELNS0_20block_scan_algorithmE0ELj4294967295EEENS1_25partition_config_selectorILNS1_17partition_subalgoE4EjNS0_10empty_typeEbEEZZNS1_14partition_implILS8_4ELb0ES6_15HIP_vector_typeIjLj2EENS0_17counting_iteratorIjlEEPS9_SG_NS0_5tupleIJPjSI_NS0_16reverse_iteratorISI_EEEEENSH_IJSG_SG_SG_EEES9_SI_JZNS1_25segmented_radix_sort_implINS0_14default_configELb0EPKlPlSQ_SR_N2at6native12_GLOBAL__N_18offset_tEEE10hipError_tPvRmT1_PNSt15iterator_traitsISZ_E10value_typeET2_T3_PNS10_IS15_E10value_typeET4_jRbjT5_S1B_jjP12ihipStream_tbEUljE_ZNSN_ISO_Lb0ESQ_SR_SQ_SR_SV_EESW_SX_SY_SZ_S13_S14_S15_S18_S19_jS1A_jS1B_S1B_jjS1D_bEUljE0_EEESW_SX_SY_S15_S19_S1B_T6_T7_T9_mT8_S1D_bDpT10_ENKUlT_T0_E_clISt17integral_constantIbLb0EES1Q_IbLb1EEEEDaS1M_S1N_EUlS1M_E_NS1_11comp_targetILNS1_3genE3ELNS1_11target_archE908ELNS1_3gpuE7ELNS1_3repE0EEENS1_30default_config_static_selectorELNS0_4arch9wavefront6targetE1EEEvSZ_
	.p2align	8
	.type	_ZN7rocprim17ROCPRIM_400000_NS6detail17trampoline_kernelINS0_13select_configILj256ELj13ELNS0_17block_load_methodE3ELS4_3ELS4_3ELNS0_20block_scan_algorithmE0ELj4294967295EEENS1_25partition_config_selectorILNS1_17partition_subalgoE4EjNS0_10empty_typeEbEEZZNS1_14partition_implILS8_4ELb0ES6_15HIP_vector_typeIjLj2EENS0_17counting_iteratorIjlEEPS9_SG_NS0_5tupleIJPjSI_NS0_16reverse_iteratorISI_EEEEENSH_IJSG_SG_SG_EEES9_SI_JZNS1_25segmented_radix_sort_implINS0_14default_configELb0EPKlPlSQ_SR_N2at6native12_GLOBAL__N_18offset_tEEE10hipError_tPvRmT1_PNSt15iterator_traitsISZ_E10value_typeET2_T3_PNS10_IS15_E10value_typeET4_jRbjT5_S1B_jjP12ihipStream_tbEUljE_ZNSN_ISO_Lb0ESQ_SR_SQ_SR_SV_EESW_SX_SY_SZ_S13_S14_S15_S18_S19_jS1A_jS1B_S1B_jjS1D_bEUljE0_EEESW_SX_SY_S15_S19_S1B_T6_T7_T9_mT8_S1D_bDpT10_ENKUlT_T0_E_clISt17integral_constantIbLb0EES1Q_IbLb1EEEEDaS1M_S1N_EUlS1M_E_NS1_11comp_targetILNS1_3genE3ELNS1_11target_archE908ELNS1_3gpuE7ELNS1_3repE0EEENS1_30default_config_static_selectorELNS0_4arch9wavefront6targetE1EEEvSZ_,@function
_ZN7rocprim17ROCPRIM_400000_NS6detail17trampoline_kernelINS0_13select_configILj256ELj13ELNS0_17block_load_methodE3ELS4_3ELS4_3ELNS0_20block_scan_algorithmE0ELj4294967295EEENS1_25partition_config_selectorILNS1_17partition_subalgoE4EjNS0_10empty_typeEbEEZZNS1_14partition_implILS8_4ELb0ES6_15HIP_vector_typeIjLj2EENS0_17counting_iteratorIjlEEPS9_SG_NS0_5tupleIJPjSI_NS0_16reverse_iteratorISI_EEEEENSH_IJSG_SG_SG_EEES9_SI_JZNS1_25segmented_radix_sort_implINS0_14default_configELb0EPKlPlSQ_SR_N2at6native12_GLOBAL__N_18offset_tEEE10hipError_tPvRmT1_PNSt15iterator_traitsISZ_E10value_typeET2_T3_PNS10_IS15_E10value_typeET4_jRbjT5_S1B_jjP12ihipStream_tbEUljE_ZNSN_ISO_Lb0ESQ_SR_SQ_SR_SV_EESW_SX_SY_SZ_S13_S14_S15_S18_S19_jS1A_jS1B_S1B_jjS1D_bEUljE0_EEESW_SX_SY_S15_S19_S1B_T6_T7_T9_mT8_S1D_bDpT10_ENKUlT_T0_E_clISt17integral_constantIbLb0EES1Q_IbLb1EEEEDaS1M_S1N_EUlS1M_E_NS1_11comp_targetILNS1_3genE3ELNS1_11target_archE908ELNS1_3gpuE7ELNS1_3repE0EEENS1_30default_config_static_selectorELNS0_4arch9wavefront6targetE1EEEvSZ_: ; @_ZN7rocprim17ROCPRIM_400000_NS6detail17trampoline_kernelINS0_13select_configILj256ELj13ELNS0_17block_load_methodE3ELS4_3ELS4_3ELNS0_20block_scan_algorithmE0ELj4294967295EEENS1_25partition_config_selectorILNS1_17partition_subalgoE4EjNS0_10empty_typeEbEEZZNS1_14partition_implILS8_4ELb0ES6_15HIP_vector_typeIjLj2EENS0_17counting_iteratorIjlEEPS9_SG_NS0_5tupleIJPjSI_NS0_16reverse_iteratorISI_EEEEENSH_IJSG_SG_SG_EEES9_SI_JZNS1_25segmented_radix_sort_implINS0_14default_configELb0EPKlPlSQ_SR_N2at6native12_GLOBAL__N_18offset_tEEE10hipError_tPvRmT1_PNSt15iterator_traitsISZ_E10value_typeET2_T3_PNS10_IS15_E10value_typeET4_jRbjT5_S1B_jjP12ihipStream_tbEUljE_ZNSN_ISO_Lb0ESQ_SR_SQ_SR_SV_EESW_SX_SY_SZ_S13_S14_S15_S18_S19_jS1A_jS1B_S1B_jjS1D_bEUljE0_EEESW_SX_SY_S15_S19_S1B_T6_T7_T9_mT8_S1D_bDpT10_ENKUlT_T0_E_clISt17integral_constantIbLb0EES1Q_IbLb1EEEEDaS1M_S1N_EUlS1M_E_NS1_11comp_targetILNS1_3genE3ELNS1_11target_archE908ELNS1_3gpuE7ELNS1_3repE0EEENS1_30default_config_static_selectorELNS0_4arch9wavefront6targetE1EEEvSZ_
; %bb.0:
	.section	.rodata,"a",@progbits
	.p2align	6, 0x0
	.amdhsa_kernel _ZN7rocprim17ROCPRIM_400000_NS6detail17trampoline_kernelINS0_13select_configILj256ELj13ELNS0_17block_load_methodE3ELS4_3ELS4_3ELNS0_20block_scan_algorithmE0ELj4294967295EEENS1_25partition_config_selectorILNS1_17partition_subalgoE4EjNS0_10empty_typeEbEEZZNS1_14partition_implILS8_4ELb0ES6_15HIP_vector_typeIjLj2EENS0_17counting_iteratorIjlEEPS9_SG_NS0_5tupleIJPjSI_NS0_16reverse_iteratorISI_EEEEENSH_IJSG_SG_SG_EEES9_SI_JZNS1_25segmented_radix_sort_implINS0_14default_configELb0EPKlPlSQ_SR_N2at6native12_GLOBAL__N_18offset_tEEE10hipError_tPvRmT1_PNSt15iterator_traitsISZ_E10value_typeET2_T3_PNS10_IS15_E10value_typeET4_jRbjT5_S1B_jjP12ihipStream_tbEUljE_ZNSN_ISO_Lb0ESQ_SR_SQ_SR_SV_EESW_SX_SY_SZ_S13_S14_S15_S18_S19_jS1A_jS1B_S1B_jjS1D_bEUljE0_EEESW_SX_SY_S15_S19_S1B_T6_T7_T9_mT8_S1D_bDpT10_ENKUlT_T0_E_clISt17integral_constantIbLb0EES1Q_IbLb1EEEEDaS1M_S1N_EUlS1M_E_NS1_11comp_targetILNS1_3genE3ELNS1_11target_archE908ELNS1_3gpuE7ELNS1_3repE0EEENS1_30default_config_static_selectorELNS0_4arch9wavefront6targetE1EEEvSZ_
		.amdhsa_group_segment_fixed_size 0
		.amdhsa_private_segment_fixed_size 0
		.amdhsa_kernarg_size 184
		.amdhsa_user_sgpr_count 6
		.amdhsa_user_sgpr_private_segment_buffer 1
		.amdhsa_user_sgpr_dispatch_ptr 0
		.amdhsa_user_sgpr_queue_ptr 0
		.amdhsa_user_sgpr_kernarg_segment_ptr 1
		.amdhsa_user_sgpr_dispatch_id 0
		.amdhsa_user_sgpr_flat_scratch_init 0
		.amdhsa_user_sgpr_private_segment_size 0
		.amdhsa_uses_dynamic_stack 0
		.amdhsa_system_sgpr_private_segment_wavefront_offset 0
		.amdhsa_system_sgpr_workgroup_id_x 1
		.amdhsa_system_sgpr_workgroup_id_y 0
		.amdhsa_system_sgpr_workgroup_id_z 0
		.amdhsa_system_sgpr_workgroup_info 0
		.amdhsa_system_vgpr_workitem_id 0
		.amdhsa_next_free_vgpr 1
		.amdhsa_next_free_sgpr 0
		.amdhsa_reserve_vcc 0
		.amdhsa_reserve_flat_scratch 0
		.amdhsa_float_round_mode_32 0
		.amdhsa_float_round_mode_16_64 0
		.amdhsa_float_denorm_mode_32 3
		.amdhsa_float_denorm_mode_16_64 3
		.amdhsa_dx10_clamp 1
		.amdhsa_ieee_mode 1
		.amdhsa_fp16_overflow 0
		.amdhsa_exception_fp_ieee_invalid_op 0
		.amdhsa_exception_fp_denorm_src 0
		.amdhsa_exception_fp_ieee_div_zero 0
		.amdhsa_exception_fp_ieee_overflow 0
		.amdhsa_exception_fp_ieee_underflow 0
		.amdhsa_exception_fp_ieee_inexact 0
		.amdhsa_exception_int_div_zero 0
	.end_amdhsa_kernel
	.section	.text._ZN7rocprim17ROCPRIM_400000_NS6detail17trampoline_kernelINS0_13select_configILj256ELj13ELNS0_17block_load_methodE3ELS4_3ELS4_3ELNS0_20block_scan_algorithmE0ELj4294967295EEENS1_25partition_config_selectorILNS1_17partition_subalgoE4EjNS0_10empty_typeEbEEZZNS1_14partition_implILS8_4ELb0ES6_15HIP_vector_typeIjLj2EENS0_17counting_iteratorIjlEEPS9_SG_NS0_5tupleIJPjSI_NS0_16reverse_iteratorISI_EEEEENSH_IJSG_SG_SG_EEES9_SI_JZNS1_25segmented_radix_sort_implINS0_14default_configELb0EPKlPlSQ_SR_N2at6native12_GLOBAL__N_18offset_tEEE10hipError_tPvRmT1_PNSt15iterator_traitsISZ_E10value_typeET2_T3_PNS10_IS15_E10value_typeET4_jRbjT5_S1B_jjP12ihipStream_tbEUljE_ZNSN_ISO_Lb0ESQ_SR_SQ_SR_SV_EESW_SX_SY_SZ_S13_S14_S15_S18_S19_jS1A_jS1B_S1B_jjS1D_bEUljE0_EEESW_SX_SY_S15_S19_S1B_T6_T7_T9_mT8_S1D_bDpT10_ENKUlT_T0_E_clISt17integral_constantIbLb0EES1Q_IbLb1EEEEDaS1M_S1N_EUlS1M_E_NS1_11comp_targetILNS1_3genE3ELNS1_11target_archE908ELNS1_3gpuE7ELNS1_3repE0EEENS1_30default_config_static_selectorELNS0_4arch9wavefront6targetE1EEEvSZ_,"axG",@progbits,_ZN7rocprim17ROCPRIM_400000_NS6detail17trampoline_kernelINS0_13select_configILj256ELj13ELNS0_17block_load_methodE3ELS4_3ELS4_3ELNS0_20block_scan_algorithmE0ELj4294967295EEENS1_25partition_config_selectorILNS1_17partition_subalgoE4EjNS0_10empty_typeEbEEZZNS1_14partition_implILS8_4ELb0ES6_15HIP_vector_typeIjLj2EENS0_17counting_iteratorIjlEEPS9_SG_NS0_5tupleIJPjSI_NS0_16reverse_iteratorISI_EEEEENSH_IJSG_SG_SG_EEES9_SI_JZNS1_25segmented_radix_sort_implINS0_14default_configELb0EPKlPlSQ_SR_N2at6native12_GLOBAL__N_18offset_tEEE10hipError_tPvRmT1_PNSt15iterator_traitsISZ_E10value_typeET2_T3_PNS10_IS15_E10value_typeET4_jRbjT5_S1B_jjP12ihipStream_tbEUljE_ZNSN_ISO_Lb0ESQ_SR_SQ_SR_SV_EESW_SX_SY_SZ_S13_S14_S15_S18_S19_jS1A_jS1B_S1B_jjS1D_bEUljE0_EEESW_SX_SY_S15_S19_S1B_T6_T7_T9_mT8_S1D_bDpT10_ENKUlT_T0_E_clISt17integral_constantIbLb0EES1Q_IbLb1EEEEDaS1M_S1N_EUlS1M_E_NS1_11comp_targetILNS1_3genE3ELNS1_11target_archE908ELNS1_3gpuE7ELNS1_3repE0EEENS1_30default_config_static_selectorELNS0_4arch9wavefront6targetE1EEEvSZ_,comdat
.Lfunc_end770:
	.size	_ZN7rocprim17ROCPRIM_400000_NS6detail17trampoline_kernelINS0_13select_configILj256ELj13ELNS0_17block_load_methodE3ELS4_3ELS4_3ELNS0_20block_scan_algorithmE0ELj4294967295EEENS1_25partition_config_selectorILNS1_17partition_subalgoE4EjNS0_10empty_typeEbEEZZNS1_14partition_implILS8_4ELb0ES6_15HIP_vector_typeIjLj2EENS0_17counting_iteratorIjlEEPS9_SG_NS0_5tupleIJPjSI_NS0_16reverse_iteratorISI_EEEEENSH_IJSG_SG_SG_EEES9_SI_JZNS1_25segmented_radix_sort_implINS0_14default_configELb0EPKlPlSQ_SR_N2at6native12_GLOBAL__N_18offset_tEEE10hipError_tPvRmT1_PNSt15iterator_traitsISZ_E10value_typeET2_T3_PNS10_IS15_E10value_typeET4_jRbjT5_S1B_jjP12ihipStream_tbEUljE_ZNSN_ISO_Lb0ESQ_SR_SQ_SR_SV_EESW_SX_SY_SZ_S13_S14_S15_S18_S19_jS1A_jS1B_S1B_jjS1D_bEUljE0_EEESW_SX_SY_S15_S19_S1B_T6_T7_T9_mT8_S1D_bDpT10_ENKUlT_T0_E_clISt17integral_constantIbLb0EES1Q_IbLb1EEEEDaS1M_S1N_EUlS1M_E_NS1_11comp_targetILNS1_3genE3ELNS1_11target_archE908ELNS1_3gpuE7ELNS1_3repE0EEENS1_30default_config_static_selectorELNS0_4arch9wavefront6targetE1EEEvSZ_, .Lfunc_end770-_ZN7rocprim17ROCPRIM_400000_NS6detail17trampoline_kernelINS0_13select_configILj256ELj13ELNS0_17block_load_methodE3ELS4_3ELS4_3ELNS0_20block_scan_algorithmE0ELj4294967295EEENS1_25partition_config_selectorILNS1_17partition_subalgoE4EjNS0_10empty_typeEbEEZZNS1_14partition_implILS8_4ELb0ES6_15HIP_vector_typeIjLj2EENS0_17counting_iteratorIjlEEPS9_SG_NS0_5tupleIJPjSI_NS0_16reverse_iteratorISI_EEEEENSH_IJSG_SG_SG_EEES9_SI_JZNS1_25segmented_radix_sort_implINS0_14default_configELb0EPKlPlSQ_SR_N2at6native12_GLOBAL__N_18offset_tEEE10hipError_tPvRmT1_PNSt15iterator_traitsISZ_E10value_typeET2_T3_PNS10_IS15_E10value_typeET4_jRbjT5_S1B_jjP12ihipStream_tbEUljE_ZNSN_ISO_Lb0ESQ_SR_SQ_SR_SV_EESW_SX_SY_SZ_S13_S14_S15_S18_S19_jS1A_jS1B_S1B_jjS1D_bEUljE0_EEESW_SX_SY_S15_S19_S1B_T6_T7_T9_mT8_S1D_bDpT10_ENKUlT_T0_E_clISt17integral_constantIbLb0EES1Q_IbLb1EEEEDaS1M_S1N_EUlS1M_E_NS1_11comp_targetILNS1_3genE3ELNS1_11target_archE908ELNS1_3gpuE7ELNS1_3repE0EEENS1_30default_config_static_selectorELNS0_4arch9wavefront6targetE1EEEvSZ_
                                        ; -- End function
	.set _ZN7rocprim17ROCPRIM_400000_NS6detail17trampoline_kernelINS0_13select_configILj256ELj13ELNS0_17block_load_methodE3ELS4_3ELS4_3ELNS0_20block_scan_algorithmE0ELj4294967295EEENS1_25partition_config_selectorILNS1_17partition_subalgoE4EjNS0_10empty_typeEbEEZZNS1_14partition_implILS8_4ELb0ES6_15HIP_vector_typeIjLj2EENS0_17counting_iteratorIjlEEPS9_SG_NS0_5tupleIJPjSI_NS0_16reverse_iteratorISI_EEEEENSH_IJSG_SG_SG_EEES9_SI_JZNS1_25segmented_radix_sort_implINS0_14default_configELb0EPKlPlSQ_SR_N2at6native12_GLOBAL__N_18offset_tEEE10hipError_tPvRmT1_PNSt15iterator_traitsISZ_E10value_typeET2_T3_PNS10_IS15_E10value_typeET4_jRbjT5_S1B_jjP12ihipStream_tbEUljE_ZNSN_ISO_Lb0ESQ_SR_SQ_SR_SV_EESW_SX_SY_SZ_S13_S14_S15_S18_S19_jS1A_jS1B_S1B_jjS1D_bEUljE0_EEESW_SX_SY_S15_S19_S1B_T6_T7_T9_mT8_S1D_bDpT10_ENKUlT_T0_E_clISt17integral_constantIbLb0EES1Q_IbLb1EEEEDaS1M_S1N_EUlS1M_E_NS1_11comp_targetILNS1_3genE3ELNS1_11target_archE908ELNS1_3gpuE7ELNS1_3repE0EEENS1_30default_config_static_selectorELNS0_4arch9wavefront6targetE1EEEvSZ_.num_vgpr, 0
	.set _ZN7rocprim17ROCPRIM_400000_NS6detail17trampoline_kernelINS0_13select_configILj256ELj13ELNS0_17block_load_methodE3ELS4_3ELS4_3ELNS0_20block_scan_algorithmE0ELj4294967295EEENS1_25partition_config_selectorILNS1_17partition_subalgoE4EjNS0_10empty_typeEbEEZZNS1_14partition_implILS8_4ELb0ES6_15HIP_vector_typeIjLj2EENS0_17counting_iteratorIjlEEPS9_SG_NS0_5tupleIJPjSI_NS0_16reverse_iteratorISI_EEEEENSH_IJSG_SG_SG_EEES9_SI_JZNS1_25segmented_radix_sort_implINS0_14default_configELb0EPKlPlSQ_SR_N2at6native12_GLOBAL__N_18offset_tEEE10hipError_tPvRmT1_PNSt15iterator_traitsISZ_E10value_typeET2_T3_PNS10_IS15_E10value_typeET4_jRbjT5_S1B_jjP12ihipStream_tbEUljE_ZNSN_ISO_Lb0ESQ_SR_SQ_SR_SV_EESW_SX_SY_SZ_S13_S14_S15_S18_S19_jS1A_jS1B_S1B_jjS1D_bEUljE0_EEESW_SX_SY_S15_S19_S1B_T6_T7_T9_mT8_S1D_bDpT10_ENKUlT_T0_E_clISt17integral_constantIbLb0EES1Q_IbLb1EEEEDaS1M_S1N_EUlS1M_E_NS1_11comp_targetILNS1_3genE3ELNS1_11target_archE908ELNS1_3gpuE7ELNS1_3repE0EEENS1_30default_config_static_selectorELNS0_4arch9wavefront6targetE1EEEvSZ_.num_agpr, 0
	.set _ZN7rocprim17ROCPRIM_400000_NS6detail17trampoline_kernelINS0_13select_configILj256ELj13ELNS0_17block_load_methodE3ELS4_3ELS4_3ELNS0_20block_scan_algorithmE0ELj4294967295EEENS1_25partition_config_selectorILNS1_17partition_subalgoE4EjNS0_10empty_typeEbEEZZNS1_14partition_implILS8_4ELb0ES6_15HIP_vector_typeIjLj2EENS0_17counting_iteratorIjlEEPS9_SG_NS0_5tupleIJPjSI_NS0_16reverse_iteratorISI_EEEEENSH_IJSG_SG_SG_EEES9_SI_JZNS1_25segmented_radix_sort_implINS0_14default_configELb0EPKlPlSQ_SR_N2at6native12_GLOBAL__N_18offset_tEEE10hipError_tPvRmT1_PNSt15iterator_traitsISZ_E10value_typeET2_T3_PNS10_IS15_E10value_typeET4_jRbjT5_S1B_jjP12ihipStream_tbEUljE_ZNSN_ISO_Lb0ESQ_SR_SQ_SR_SV_EESW_SX_SY_SZ_S13_S14_S15_S18_S19_jS1A_jS1B_S1B_jjS1D_bEUljE0_EEESW_SX_SY_S15_S19_S1B_T6_T7_T9_mT8_S1D_bDpT10_ENKUlT_T0_E_clISt17integral_constantIbLb0EES1Q_IbLb1EEEEDaS1M_S1N_EUlS1M_E_NS1_11comp_targetILNS1_3genE3ELNS1_11target_archE908ELNS1_3gpuE7ELNS1_3repE0EEENS1_30default_config_static_selectorELNS0_4arch9wavefront6targetE1EEEvSZ_.numbered_sgpr, 0
	.set _ZN7rocprim17ROCPRIM_400000_NS6detail17trampoline_kernelINS0_13select_configILj256ELj13ELNS0_17block_load_methodE3ELS4_3ELS4_3ELNS0_20block_scan_algorithmE0ELj4294967295EEENS1_25partition_config_selectorILNS1_17partition_subalgoE4EjNS0_10empty_typeEbEEZZNS1_14partition_implILS8_4ELb0ES6_15HIP_vector_typeIjLj2EENS0_17counting_iteratorIjlEEPS9_SG_NS0_5tupleIJPjSI_NS0_16reverse_iteratorISI_EEEEENSH_IJSG_SG_SG_EEES9_SI_JZNS1_25segmented_radix_sort_implINS0_14default_configELb0EPKlPlSQ_SR_N2at6native12_GLOBAL__N_18offset_tEEE10hipError_tPvRmT1_PNSt15iterator_traitsISZ_E10value_typeET2_T3_PNS10_IS15_E10value_typeET4_jRbjT5_S1B_jjP12ihipStream_tbEUljE_ZNSN_ISO_Lb0ESQ_SR_SQ_SR_SV_EESW_SX_SY_SZ_S13_S14_S15_S18_S19_jS1A_jS1B_S1B_jjS1D_bEUljE0_EEESW_SX_SY_S15_S19_S1B_T6_T7_T9_mT8_S1D_bDpT10_ENKUlT_T0_E_clISt17integral_constantIbLb0EES1Q_IbLb1EEEEDaS1M_S1N_EUlS1M_E_NS1_11comp_targetILNS1_3genE3ELNS1_11target_archE908ELNS1_3gpuE7ELNS1_3repE0EEENS1_30default_config_static_selectorELNS0_4arch9wavefront6targetE1EEEvSZ_.num_named_barrier, 0
	.set _ZN7rocprim17ROCPRIM_400000_NS6detail17trampoline_kernelINS0_13select_configILj256ELj13ELNS0_17block_load_methodE3ELS4_3ELS4_3ELNS0_20block_scan_algorithmE0ELj4294967295EEENS1_25partition_config_selectorILNS1_17partition_subalgoE4EjNS0_10empty_typeEbEEZZNS1_14partition_implILS8_4ELb0ES6_15HIP_vector_typeIjLj2EENS0_17counting_iteratorIjlEEPS9_SG_NS0_5tupleIJPjSI_NS0_16reverse_iteratorISI_EEEEENSH_IJSG_SG_SG_EEES9_SI_JZNS1_25segmented_radix_sort_implINS0_14default_configELb0EPKlPlSQ_SR_N2at6native12_GLOBAL__N_18offset_tEEE10hipError_tPvRmT1_PNSt15iterator_traitsISZ_E10value_typeET2_T3_PNS10_IS15_E10value_typeET4_jRbjT5_S1B_jjP12ihipStream_tbEUljE_ZNSN_ISO_Lb0ESQ_SR_SQ_SR_SV_EESW_SX_SY_SZ_S13_S14_S15_S18_S19_jS1A_jS1B_S1B_jjS1D_bEUljE0_EEESW_SX_SY_S15_S19_S1B_T6_T7_T9_mT8_S1D_bDpT10_ENKUlT_T0_E_clISt17integral_constantIbLb0EES1Q_IbLb1EEEEDaS1M_S1N_EUlS1M_E_NS1_11comp_targetILNS1_3genE3ELNS1_11target_archE908ELNS1_3gpuE7ELNS1_3repE0EEENS1_30default_config_static_selectorELNS0_4arch9wavefront6targetE1EEEvSZ_.private_seg_size, 0
	.set _ZN7rocprim17ROCPRIM_400000_NS6detail17trampoline_kernelINS0_13select_configILj256ELj13ELNS0_17block_load_methodE3ELS4_3ELS4_3ELNS0_20block_scan_algorithmE0ELj4294967295EEENS1_25partition_config_selectorILNS1_17partition_subalgoE4EjNS0_10empty_typeEbEEZZNS1_14partition_implILS8_4ELb0ES6_15HIP_vector_typeIjLj2EENS0_17counting_iteratorIjlEEPS9_SG_NS0_5tupleIJPjSI_NS0_16reverse_iteratorISI_EEEEENSH_IJSG_SG_SG_EEES9_SI_JZNS1_25segmented_radix_sort_implINS0_14default_configELb0EPKlPlSQ_SR_N2at6native12_GLOBAL__N_18offset_tEEE10hipError_tPvRmT1_PNSt15iterator_traitsISZ_E10value_typeET2_T3_PNS10_IS15_E10value_typeET4_jRbjT5_S1B_jjP12ihipStream_tbEUljE_ZNSN_ISO_Lb0ESQ_SR_SQ_SR_SV_EESW_SX_SY_SZ_S13_S14_S15_S18_S19_jS1A_jS1B_S1B_jjS1D_bEUljE0_EEESW_SX_SY_S15_S19_S1B_T6_T7_T9_mT8_S1D_bDpT10_ENKUlT_T0_E_clISt17integral_constantIbLb0EES1Q_IbLb1EEEEDaS1M_S1N_EUlS1M_E_NS1_11comp_targetILNS1_3genE3ELNS1_11target_archE908ELNS1_3gpuE7ELNS1_3repE0EEENS1_30default_config_static_selectorELNS0_4arch9wavefront6targetE1EEEvSZ_.uses_vcc, 0
	.set _ZN7rocprim17ROCPRIM_400000_NS6detail17trampoline_kernelINS0_13select_configILj256ELj13ELNS0_17block_load_methodE3ELS4_3ELS4_3ELNS0_20block_scan_algorithmE0ELj4294967295EEENS1_25partition_config_selectorILNS1_17partition_subalgoE4EjNS0_10empty_typeEbEEZZNS1_14partition_implILS8_4ELb0ES6_15HIP_vector_typeIjLj2EENS0_17counting_iteratorIjlEEPS9_SG_NS0_5tupleIJPjSI_NS0_16reverse_iteratorISI_EEEEENSH_IJSG_SG_SG_EEES9_SI_JZNS1_25segmented_radix_sort_implINS0_14default_configELb0EPKlPlSQ_SR_N2at6native12_GLOBAL__N_18offset_tEEE10hipError_tPvRmT1_PNSt15iterator_traitsISZ_E10value_typeET2_T3_PNS10_IS15_E10value_typeET4_jRbjT5_S1B_jjP12ihipStream_tbEUljE_ZNSN_ISO_Lb0ESQ_SR_SQ_SR_SV_EESW_SX_SY_SZ_S13_S14_S15_S18_S19_jS1A_jS1B_S1B_jjS1D_bEUljE0_EEESW_SX_SY_S15_S19_S1B_T6_T7_T9_mT8_S1D_bDpT10_ENKUlT_T0_E_clISt17integral_constantIbLb0EES1Q_IbLb1EEEEDaS1M_S1N_EUlS1M_E_NS1_11comp_targetILNS1_3genE3ELNS1_11target_archE908ELNS1_3gpuE7ELNS1_3repE0EEENS1_30default_config_static_selectorELNS0_4arch9wavefront6targetE1EEEvSZ_.uses_flat_scratch, 0
	.set _ZN7rocprim17ROCPRIM_400000_NS6detail17trampoline_kernelINS0_13select_configILj256ELj13ELNS0_17block_load_methodE3ELS4_3ELS4_3ELNS0_20block_scan_algorithmE0ELj4294967295EEENS1_25partition_config_selectorILNS1_17partition_subalgoE4EjNS0_10empty_typeEbEEZZNS1_14partition_implILS8_4ELb0ES6_15HIP_vector_typeIjLj2EENS0_17counting_iteratorIjlEEPS9_SG_NS0_5tupleIJPjSI_NS0_16reverse_iteratorISI_EEEEENSH_IJSG_SG_SG_EEES9_SI_JZNS1_25segmented_radix_sort_implINS0_14default_configELb0EPKlPlSQ_SR_N2at6native12_GLOBAL__N_18offset_tEEE10hipError_tPvRmT1_PNSt15iterator_traitsISZ_E10value_typeET2_T3_PNS10_IS15_E10value_typeET4_jRbjT5_S1B_jjP12ihipStream_tbEUljE_ZNSN_ISO_Lb0ESQ_SR_SQ_SR_SV_EESW_SX_SY_SZ_S13_S14_S15_S18_S19_jS1A_jS1B_S1B_jjS1D_bEUljE0_EEESW_SX_SY_S15_S19_S1B_T6_T7_T9_mT8_S1D_bDpT10_ENKUlT_T0_E_clISt17integral_constantIbLb0EES1Q_IbLb1EEEEDaS1M_S1N_EUlS1M_E_NS1_11comp_targetILNS1_3genE3ELNS1_11target_archE908ELNS1_3gpuE7ELNS1_3repE0EEENS1_30default_config_static_selectorELNS0_4arch9wavefront6targetE1EEEvSZ_.has_dyn_sized_stack, 0
	.set _ZN7rocprim17ROCPRIM_400000_NS6detail17trampoline_kernelINS0_13select_configILj256ELj13ELNS0_17block_load_methodE3ELS4_3ELS4_3ELNS0_20block_scan_algorithmE0ELj4294967295EEENS1_25partition_config_selectorILNS1_17partition_subalgoE4EjNS0_10empty_typeEbEEZZNS1_14partition_implILS8_4ELb0ES6_15HIP_vector_typeIjLj2EENS0_17counting_iteratorIjlEEPS9_SG_NS0_5tupleIJPjSI_NS0_16reverse_iteratorISI_EEEEENSH_IJSG_SG_SG_EEES9_SI_JZNS1_25segmented_radix_sort_implINS0_14default_configELb0EPKlPlSQ_SR_N2at6native12_GLOBAL__N_18offset_tEEE10hipError_tPvRmT1_PNSt15iterator_traitsISZ_E10value_typeET2_T3_PNS10_IS15_E10value_typeET4_jRbjT5_S1B_jjP12ihipStream_tbEUljE_ZNSN_ISO_Lb0ESQ_SR_SQ_SR_SV_EESW_SX_SY_SZ_S13_S14_S15_S18_S19_jS1A_jS1B_S1B_jjS1D_bEUljE0_EEESW_SX_SY_S15_S19_S1B_T6_T7_T9_mT8_S1D_bDpT10_ENKUlT_T0_E_clISt17integral_constantIbLb0EES1Q_IbLb1EEEEDaS1M_S1N_EUlS1M_E_NS1_11comp_targetILNS1_3genE3ELNS1_11target_archE908ELNS1_3gpuE7ELNS1_3repE0EEENS1_30default_config_static_selectorELNS0_4arch9wavefront6targetE1EEEvSZ_.has_recursion, 0
	.set _ZN7rocprim17ROCPRIM_400000_NS6detail17trampoline_kernelINS0_13select_configILj256ELj13ELNS0_17block_load_methodE3ELS4_3ELS4_3ELNS0_20block_scan_algorithmE0ELj4294967295EEENS1_25partition_config_selectorILNS1_17partition_subalgoE4EjNS0_10empty_typeEbEEZZNS1_14partition_implILS8_4ELb0ES6_15HIP_vector_typeIjLj2EENS0_17counting_iteratorIjlEEPS9_SG_NS0_5tupleIJPjSI_NS0_16reverse_iteratorISI_EEEEENSH_IJSG_SG_SG_EEES9_SI_JZNS1_25segmented_radix_sort_implINS0_14default_configELb0EPKlPlSQ_SR_N2at6native12_GLOBAL__N_18offset_tEEE10hipError_tPvRmT1_PNSt15iterator_traitsISZ_E10value_typeET2_T3_PNS10_IS15_E10value_typeET4_jRbjT5_S1B_jjP12ihipStream_tbEUljE_ZNSN_ISO_Lb0ESQ_SR_SQ_SR_SV_EESW_SX_SY_SZ_S13_S14_S15_S18_S19_jS1A_jS1B_S1B_jjS1D_bEUljE0_EEESW_SX_SY_S15_S19_S1B_T6_T7_T9_mT8_S1D_bDpT10_ENKUlT_T0_E_clISt17integral_constantIbLb0EES1Q_IbLb1EEEEDaS1M_S1N_EUlS1M_E_NS1_11comp_targetILNS1_3genE3ELNS1_11target_archE908ELNS1_3gpuE7ELNS1_3repE0EEENS1_30default_config_static_selectorELNS0_4arch9wavefront6targetE1EEEvSZ_.has_indirect_call, 0
	.section	.AMDGPU.csdata,"",@progbits
; Kernel info:
; codeLenInByte = 0
; TotalNumSgprs: 4
; NumVgprs: 0
; ScratchSize: 0
; MemoryBound: 0
; FloatMode: 240
; IeeeMode: 1
; LDSByteSize: 0 bytes/workgroup (compile time only)
; SGPRBlocks: 0
; VGPRBlocks: 0
; NumSGPRsForWavesPerEU: 4
; NumVGPRsForWavesPerEU: 1
; Occupancy: 10
; WaveLimiterHint : 0
; COMPUTE_PGM_RSRC2:SCRATCH_EN: 0
; COMPUTE_PGM_RSRC2:USER_SGPR: 6
; COMPUTE_PGM_RSRC2:TRAP_HANDLER: 0
; COMPUTE_PGM_RSRC2:TGID_X_EN: 1
; COMPUTE_PGM_RSRC2:TGID_Y_EN: 0
; COMPUTE_PGM_RSRC2:TGID_Z_EN: 0
; COMPUTE_PGM_RSRC2:TIDIG_COMP_CNT: 0
	.section	.text._ZN7rocprim17ROCPRIM_400000_NS6detail17trampoline_kernelINS0_13select_configILj256ELj13ELNS0_17block_load_methodE3ELS4_3ELS4_3ELNS0_20block_scan_algorithmE0ELj4294967295EEENS1_25partition_config_selectorILNS1_17partition_subalgoE4EjNS0_10empty_typeEbEEZZNS1_14partition_implILS8_4ELb0ES6_15HIP_vector_typeIjLj2EENS0_17counting_iteratorIjlEEPS9_SG_NS0_5tupleIJPjSI_NS0_16reverse_iteratorISI_EEEEENSH_IJSG_SG_SG_EEES9_SI_JZNS1_25segmented_radix_sort_implINS0_14default_configELb0EPKlPlSQ_SR_N2at6native12_GLOBAL__N_18offset_tEEE10hipError_tPvRmT1_PNSt15iterator_traitsISZ_E10value_typeET2_T3_PNS10_IS15_E10value_typeET4_jRbjT5_S1B_jjP12ihipStream_tbEUljE_ZNSN_ISO_Lb0ESQ_SR_SQ_SR_SV_EESW_SX_SY_SZ_S13_S14_S15_S18_S19_jS1A_jS1B_S1B_jjS1D_bEUljE0_EEESW_SX_SY_S15_S19_S1B_T6_T7_T9_mT8_S1D_bDpT10_ENKUlT_T0_E_clISt17integral_constantIbLb0EES1Q_IbLb1EEEEDaS1M_S1N_EUlS1M_E_NS1_11comp_targetILNS1_3genE2ELNS1_11target_archE906ELNS1_3gpuE6ELNS1_3repE0EEENS1_30default_config_static_selectorELNS0_4arch9wavefront6targetE1EEEvSZ_,"axG",@progbits,_ZN7rocprim17ROCPRIM_400000_NS6detail17trampoline_kernelINS0_13select_configILj256ELj13ELNS0_17block_load_methodE3ELS4_3ELS4_3ELNS0_20block_scan_algorithmE0ELj4294967295EEENS1_25partition_config_selectorILNS1_17partition_subalgoE4EjNS0_10empty_typeEbEEZZNS1_14partition_implILS8_4ELb0ES6_15HIP_vector_typeIjLj2EENS0_17counting_iteratorIjlEEPS9_SG_NS0_5tupleIJPjSI_NS0_16reverse_iteratorISI_EEEEENSH_IJSG_SG_SG_EEES9_SI_JZNS1_25segmented_radix_sort_implINS0_14default_configELb0EPKlPlSQ_SR_N2at6native12_GLOBAL__N_18offset_tEEE10hipError_tPvRmT1_PNSt15iterator_traitsISZ_E10value_typeET2_T3_PNS10_IS15_E10value_typeET4_jRbjT5_S1B_jjP12ihipStream_tbEUljE_ZNSN_ISO_Lb0ESQ_SR_SQ_SR_SV_EESW_SX_SY_SZ_S13_S14_S15_S18_S19_jS1A_jS1B_S1B_jjS1D_bEUljE0_EEESW_SX_SY_S15_S19_S1B_T6_T7_T9_mT8_S1D_bDpT10_ENKUlT_T0_E_clISt17integral_constantIbLb0EES1Q_IbLb1EEEEDaS1M_S1N_EUlS1M_E_NS1_11comp_targetILNS1_3genE2ELNS1_11target_archE906ELNS1_3gpuE6ELNS1_3repE0EEENS1_30default_config_static_selectorELNS0_4arch9wavefront6targetE1EEEvSZ_,comdat
	.globl	_ZN7rocprim17ROCPRIM_400000_NS6detail17trampoline_kernelINS0_13select_configILj256ELj13ELNS0_17block_load_methodE3ELS4_3ELS4_3ELNS0_20block_scan_algorithmE0ELj4294967295EEENS1_25partition_config_selectorILNS1_17partition_subalgoE4EjNS0_10empty_typeEbEEZZNS1_14partition_implILS8_4ELb0ES6_15HIP_vector_typeIjLj2EENS0_17counting_iteratorIjlEEPS9_SG_NS0_5tupleIJPjSI_NS0_16reverse_iteratorISI_EEEEENSH_IJSG_SG_SG_EEES9_SI_JZNS1_25segmented_radix_sort_implINS0_14default_configELb0EPKlPlSQ_SR_N2at6native12_GLOBAL__N_18offset_tEEE10hipError_tPvRmT1_PNSt15iterator_traitsISZ_E10value_typeET2_T3_PNS10_IS15_E10value_typeET4_jRbjT5_S1B_jjP12ihipStream_tbEUljE_ZNSN_ISO_Lb0ESQ_SR_SQ_SR_SV_EESW_SX_SY_SZ_S13_S14_S15_S18_S19_jS1A_jS1B_S1B_jjS1D_bEUljE0_EEESW_SX_SY_S15_S19_S1B_T6_T7_T9_mT8_S1D_bDpT10_ENKUlT_T0_E_clISt17integral_constantIbLb0EES1Q_IbLb1EEEEDaS1M_S1N_EUlS1M_E_NS1_11comp_targetILNS1_3genE2ELNS1_11target_archE906ELNS1_3gpuE6ELNS1_3repE0EEENS1_30default_config_static_selectorELNS0_4arch9wavefront6targetE1EEEvSZ_ ; -- Begin function _ZN7rocprim17ROCPRIM_400000_NS6detail17trampoline_kernelINS0_13select_configILj256ELj13ELNS0_17block_load_methodE3ELS4_3ELS4_3ELNS0_20block_scan_algorithmE0ELj4294967295EEENS1_25partition_config_selectorILNS1_17partition_subalgoE4EjNS0_10empty_typeEbEEZZNS1_14partition_implILS8_4ELb0ES6_15HIP_vector_typeIjLj2EENS0_17counting_iteratorIjlEEPS9_SG_NS0_5tupleIJPjSI_NS0_16reverse_iteratorISI_EEEEENSH_IJSG_SG_SG_EEES9_SI_JZNS1_25segmented_radix_sort_implINS0_14default_configELb0EPKlPlSQ_SR_N2at6native12_GLOBAL__N_18offset_tEEE10hipError_tPvRmT1_PNSt15iterator_traitsISZ_E10value_typeET2_T3_PNS10_IS15_E10value_typeET4_jRbjT5_S1B_jjP12ihipStream_tbEUljE_ZNSN_ISO_Lb0ESQ_SR_SQ_SR_SV_EESW_SX_SY_SZ_S13_S14_S15_S18_S19_jS1A_jS1B_S1B_jjS1D_bEUljE0_EEESW_SX_SY_S15_S19_S1B_T6_T7_T9_mT8_S1D_bDpT10_ENKUlT_T0_E_clISt17integral_constantIbLb0EES1Q_IbLb1EEEEDaS1M_S1N_EUlS1M_E_NS1_11comp_targetILNS1_3genE2ELNS1_11target_archE906ELNS1_3gpuE6ELNS1_3repE0EEENS1_30default_config_static_selectorELNS0_4arch9wavefront6targetE1EEEvSZ_
	.p2align	8
	.type	_ZN7rocprim17ROCPRIM_400000_NS6detail17trampoline_kernelINS0_13select_configILj256ELj13ELNS0_17block_load_methodE3ELS4_3ELS4_3ELNS0_20block_scan_algorithmE0ELj4294967295EEENS1_25partition_config_selectorILNS1_17partition_subalgoE4EjNS0_10empty_typeEbEEZZNS1_14partition_implILS8_4ELb0ES6_15HIP_vector_typeIjLj2EENS0_17counting_iteratorIjlEEPS9_SG_NS0_5tupleIJPjSI_NS0_16reverse_iteratorISI_EEEEENSH_IJSG_SG_SG_EEES9_SI_JZNS1_25segmented_radix_sort_implINS0_14default_configELb0EPKlPlSQ_SR_N2at6native12_GLOBAL__N_18offset_tEEE10hipError_tPvRmT1_PNSt15iterator_traitsISZ_E10value_typeET2_T3_PNS10_IS15_E10value_typeET4_jRbjT5_S1B_jjP12ihipStream_tbEUljE_ZNSN_ISO_Lb0ESQ_SR_SQ_SR_SV_EESW_SX_SY_SZ_S13_S14_S15_S18_S19_jS1A_jS1B_S1B_jjS1D_bEUljE0_EEESW_SX_SY_S15_S19_S1B_T6_T7_T9_mT8_S1D_bDpT10_ENKUlT_T0_E_clISt17integral_constantIbLb0EES1Q_IbLb1EEEEDaS1M_S1N_EUlS1M_E_NS1_11comp_targetILNS1_3genE2ELNS1_11target_archE906ELNS1_3gpuE6ELNS1_3repE0EEENS1_30default_config_static_selectorELNS0_4arch9wavefront6targetE1EEEvSZ_,@function
_ZN7rocprim17ROCPRIM_400000_NS6detail17trampoline_kernelINS0_13select_configILj256ELj13ELNS0_17block_load_methodE3ELS4_3ELS4_3ELNS0_20block_scan_algorithmE0ELj4294967295EEENS1_25partition_config_selectorILNS1_17partition_subalgoE4EjNS0_10empty_typeEbEEZZNS1_14partition_implILS8_4ELb0ES6_15HIP_vector_typeIjLj2EENS0_17counting_iteratorIjlEEPS9_SG_NS0_5tupleIJPjSI_NS0_16reverse_iteratorISI_EEEEENSH_IJSG_SG_SG_EEES9_SI_JZNS1_25segmented_radix_sort_implINS0_14default_configELb0EPKlPlSQ_SR_N2at6native12_GLOBAL__N_18offset_tEEE10hipError_tPvRmT1_PNSt15iterator_traitsISZ_E10value_typeET2_T3_PNS10_IS15_E10value_typeET4_jRbjT5_S1B_jjP12ihipStream_tbEUljE_ZNSN_ISO_Lb0ESQ_SR_SQ_SR_SV_EESW_SX_SY_SZ_S13_S14_S15_S18_S19_jS1A_jS1B_S1B_jjS1D_bEUljE0_EEESW_SX_SY_S15_S19_S1B_T6_T7_T9_mT8_S1D_bDpT10_ENKUlT_T0_E_clISt17integral_constantIbLb0EES1Q_IbLb1EEEEDaS1M_S1N_EUlS1M_E_NS1_11comp_targetILNS1_3genE2ELNS1_11target_archE906ELNS1_3gpuE6ELNS1_3repE0EEENS1_30default_config_static_selectorELNS0_4arch9wavefront6targetE1EEEvSZ_: ; @_ZN7rocprim17ROCPRIM_400000_NS6detail17trampoline_kernelINS0_13select_configILj256ELj13ELNS0_17block_load_methodE3ELS4_3ELS4_3ELNS0_20block_scan_algorithmE0ELj4294967295EEENS1_25partition_config_selectorILNS1_17partition_subalgoE4EjNS0_10empty_typeEbEEZZNS1_14partition_implILS8_4ELb0ES6_15HIP_vector_typeIjLj2EENS0_17counting_iteratorIjlEEPS9_SG_NS0_5tupleIJPjSI_NS0_16reverse_iteratorISI_EEEEENSH_IJSG_SG_SG_EEES9_SI_JZNS1_25segmented_radix_sort_implINS0_14default_configELb0EPKlPlSQ_SR_N2at6native12_GLOBAL__N_18offset_tEEE10hipError_tPvRmT1_PNSt15iterator_traitsISZ_E10value_typeET2_T3_PNS10_IS15_E10value_typeET4_jRbjT5_S1B_jjP12ihipStream_tbEUljE_ZNSN_ISO_Lb0ESQ_SR_SQ_SR_SV_EESW_SX_SY_SZ_S13_S14_S15_S18_S19_jS1A_jS1B_S1B_jjS1D_bEUljE0_EEESW_SX_SY_S15_S19_S1B_T6_T7_T9_mT8_S1D_bDpT10_ENKUlT_T0_E_clISt17integral_constantIbLb0EES1Q_IbLb1EEEEDaS1M_S1N_EUlS1M_E_NS1_11comp_targetILNS1_3genE2ELNS1_11target_archE906ELNS1_3gpuE6ELNS1_3repE0EEENS1_30default_config_static_selectorELNS0_4arch9wavefront6targetE1EEEvSZ_
; %bb.0:
	s_load_dwordx2 s[52:53], s[4:5], 0x10
	s_load_dwordx4 s[48:51], s[4:5], 0x28
	s_load_dwordx2 s[30:31], s[4:5], 0x38
	s_load_dwordx4 s[44:47], s[4:5], 0x58
	s_load_dwordx2 s[6:7], s[4:5], 0x68
	s_load_dwordx2 s[54:55], s[4:5], 0x78
	;; [unrolled: 1-line block ×3, first 2 shown]
	s_load_dwordx8 s[36:43], s[4:5], 0x90
	v_cmp_eq_u32_e64 s[0:1], 0, v0
	s_and_saveexec_b64 s[2:3], s[0:1]
	s_cbranch_execz .LBB771_4
; %bb.1:
	s_mov_b64 s[10:11], exec
	v_mbcnt_lo_u32_b32 v1, s10, 0
	v_mbcnt_hi_u32_b32 v1, s11, v1
	v_cmp_eq_u32_e32 vcc, 0, v1
                                        ; implicit-def: $vgpr2
	s_and_saveexec_b64 s[8:9], vcc
	s_cbranch_execz .LBB771_3
; %bb.2:
	s_load_dwordx2 s[12:13], s[4:5], 0x88
	s_bcnt1_i32_b64 s10, s[10:11]
	v_mov_b32_e32 v2, 0
	v_mov_b32_e32 v3, s10
	s_waitcnt lgkmcnt(0)
	global_atomic_add v2, v2, v3, s[12:13] glc
.LBB771_3:
	s_or_b64 exec, exec, s[8:9]
	s_waitcnt vmcnt(0)
	v_readfirstlane_b32 s8, v2
	v_add_u32_e32 v1, s8, v1
	v_mov_b32_e32 v2, 0
	ds_write_b32 v2, v1
.LBB771_4:
	s_or_b64 exec, exec, s[2:3]
	v_mov_b32_e32 v1, 0
	s_load_dword s2, s[4:5], 0x8
	s_load_dword s8, s[4:5], 0x80
	s_waitcnt lgkmcnt(0)
	s_barrier
	ds_read_b32 v7, v1
	s_waitcnt lgkmcnt(0)
	s_barrier
	global_load_dwordx4 v[1:4], v1, s[46:47]
	s_add_i32 s9, s2, s52
	s_movk_i32 s2, 0xd00
	s_add_i32 s4, s8, -1
	s_mulk_i32 s8, 0xd00
	v_mul_lo_u32 v33, v7, s2
	s_add_u32 s2, s52, s8
	s_addc_u32 s3, s53, 0
	v_mov_b32_e32 v6, s3
	v_mov_b32_e32 v5, s2
	v_readfirstlane_b32 s33, v7
	v_cmp_gt_u64_e32 vcc, s[6:7], v[5:6]
	s_cmp_eq_u32 s33, s4
	v_cmp_ne_u32_e64 s[2:3], s4, v7
	s_cselect_b64 s[34:35], -1, 0
	s_or_b64 s[4:5], vcc, s[2:3]
	v_add_u32_e32 v5, s9, v33
	s_mov_b64 s[2:3], -1
	s_and_b64 vcc, exec, s[4:5]
	v_add_u32_e32 v5, v5, v0
	s_cbranch_vccz .LBB771_6
; %bb.5:
	v_add_u32_e32 v6, 0x100, v5
	v_lshlrev_b32_e32 v18, 2, v0
	v_add_u32_e32 v7, 0x200, v5
	v_add_u32_e32 v8, 0x300, v5
	v_add_u32_e32 v9, 0x400, v5
	v_add_u32_e32 v10, 0x500, v5
	v_add_u32_e32 v11, 0x600, v5
	v_add_u32_e32 v12, 0x700, v5
	v_add_u32_e32 v13, 0x800, v5
	v_add_u32_e32 v14, 0x900, v5
	v_add_u32_e32 v15, 0xa00, v5
	v_add_u32_e32 v16, 0xb00, v5
	v_add_u32_e32 v17, 0xc00, v5
	ds_write2st64_b32 v18, v5, v6 offset1:4
	ds_write2st64_b32 v18, v7, v8 offset0:8 offset1:12
	ds_write2st64_b32 v18, v9, v10 offset0:16 offset1:20
	;; [unrolled: 1-line block ×5, first 2 shown]
	ds_write_b32 v18, v17 offset:12288
	s_waitcnt vmcnt(0) lgkmcnt(0)
	s_barrier
	s_mov_b64 s[2:3], 0
.LBB771_6:
	s_andn2_b64 vcc, exec, s[2:3]
	s_add_i32 s8, s8, s52
	s_cbranch_vccnz .LBB771_8
; %bb.7:
	v_add_u32_e32 v6, 0x100, v5
	v_lshlrev_b32_e32 v18, 2, v0
	v_add_u32_e32 v7, 0x200, v5
	v_add_u32_e32 v8, 0x300, v5
	;; [unrolled: 1-line block ×11, first 2 shown]
	ds_write2st64_b32 v18, v5, v6 offset1:4
	ds_write2st64_b32 v18, v7, v8 offset0:8 offset1:12
	ds_write2st64_b32 v18, v9, v10 offset0:16 offset1:20
	;; [unrolled: 1-line block ×5, first 2 shown]
	ds_write_b32 v18, v17 offset:12288
	s_waitcnt vmcnt(0) lgkmcnt(0)
	s_barrier
.LBB771_8:
	v_mul_u32_u24_e32 v35, 13, v0
	v_lshlrev_b32_e32 v5, 2, v35
	ds_read_b32 v34, v5 offset:48
	ds_read2_b32 v[13:14], v5 offset0:10 offset1:11
	ds_read2_b32 v[15:16], v5 offset0:8 offset1:9
	;; [unrolled: 1-line block ×4, first 2 shown]
	ds_read2_b32 v[23:24], v5 offset1:1
	ds_read2_b32 v[21:22], v5 offset0:2 offset1:3
	v_cndmask_b32_e64 v5, 0, 1, s[4:5]
	s_sub_i32 s86, s6, s8
	v_cmp_ne_u32_e64 s[2:3], 1, v5
	s_andn2_b64 vcc, exec, s[4:5]
	s_waitcnt vmcnt(0) lgkmcnt(0)
	s_barrier
	s_cbranch_vccnz .LBB771_36
; %bb.9:
	v_add_u32_e32 v5, s37, v23
	v_add_u32_e32 v6, s39, v23
	v_mul_lo_u32 v5, v5, s36
	v_mul_lo_u32 v6, v6, s38
	s_mov_b64 s[58:59], 0
	s_mov_b64 s[46:47], 0
	v_sub_u32_e32 v5, v5, v6
	v_cmp_lt_u32_e32 vcc, s40, v5
	v_cmp_ge_u32_e64 s[4:5], s40, v5
	s_and_saveexec_b64 s[6:7], s[4:5]
	s_cbranch_execz .LBB771_11
; %bb.10:
	v_add_u32_e32 v5, s42, v23
	v_add_u32_e32 v6, s56, v23
	v_mul_lo_u32 v5, v5, s41
	v_mul_lo_u32 v6, v6, s43
	v_sub_u32_e32 v5, v5, v6
	v_cmp_lt_u32_e64 s[4:5], s57, v5
	s_and_b64 s[46:47], s[4:5], exec
.LBB771_11:
	s_or_b64 exec, exec, s[6:7]
	v_add_u32_e32 v5, s37, v24
	v_add_u32_e32 v6, s39, v24
	v_mul_lo_u32 v5, v5, s36
	v_mul_lo_u32 v6, v6, s38
	v_sub_u32_e32 v5, v5, v6
	v_cmp_lt_u32_e64 s[4:5], s40, v5
	v_cmp_ge_u32_e64 s[6:7], s40, v5
	s_and_saveexec_b64 s[8:9], s[6:7]
	s_cbranch_execz .LBB771_13
; %bb.12:
	v_add_u32_e32 v5, s42, v24
	v_add_u32_e32 v6, s56, v24
	v_mul_lo_u32 v5, v5, s41
	v_mul_lo_u32 v6, v6, s43
	v_sub_u32_e32 v5, v5, v6
	v_cmp_lt_u32_e64 s[6:7], s57, v5
	s_and_b64 s[58:59], s[6:7], exec
.LBB771_13:
	s_or_b64 exec, exec, s[8:9]
	v_add_u32_e32 v5, s37, v21
	v_add_u32_e32 v6, s39, v21
	v_mul_lo_u32 v5, v5, s36
	v_mul_lo_u32 v6, v6, s38
	s_mov_b64 s[62:63], 0
	s_mov_b64 s[60:61], 0
	v_sub_u32_e32 v5, v5, v6
	v_cmp_lt_u32_e64 s[6:7], s40, v5
	v_cmp_ge_u32_e64 s[8:9], s40, v5
	s_and_saveexec_b64 s[10:11], s[8:9]
	s_cbranch_execz .LBB771_15
; %bb.14:
	v_add_u32_e32 v5, s42, v21
	v_add_u32_e32 v6, s56, v21
	v_mul_lo_u32 v5, v5, s41
	v_mul_lo_u32 v6, v6, s43
	v_sub_u32_e32 v5, v5, v6
	v_cmp_lt_u32_e64 s[8:9], s57, v5
	s_and_b64 s[60:61], s[8:9], exec
.LBB771_15:
	s_or_b64 exec, exec, s[10:11]
	v_add_u32_e32 v5, s37, v22
	v_add_u32_e32 v6, s39, v22
	v_mul_lo_u32 v5, v5, s36
	v_mul_lo_u32 v6, v6, s38
	v_sub_u32_e32 v5, v5, v6
	v_cmp_lt_u32_e64 s[8:9], s40, v5
	v_cmp_ge_u32_e64 s[10:11], s40, v5
	s_and_saveexec_b64 s[12:13], s[10:11]
	s_cbranch_execz .LBB771_17
; %bb.16:
	v_add_u32_e32 v5, s42, v22
	v_add_u32_e32 v6, s56, v22
	v_mul_lo_u32 v5, v5, s41
	v_mul_lo_u32 v6, v6, s43
	v_sub_u32_e32 v5, v5, v6
	v_cmp_lt_u32_e64 s[10:11], s57, v5
	s_and_b64 s[62:63], s[10:11], exec
.LBB771_17:
	s_or_b64 exec, exec, s[12:13]
	v_add_u32_e32 v5, s37, v19
	v_add_u32_e32 v6, s39, v19
	v_mul_lo_u32 v5, v5, s36
	v_mul_lo_u32 v6, v6, s38
	s_mov_b64 s[66:67], 0
	s_mov_b64 s[64:65], 0
	v_sub_u32_e32 v5, v5, v6
	v_cmp_lt_u32_e64 s[10:11], s40, v5
	;; [unrolled: 40-line block ×6, first 2 shown]
	v_cmp_ge_u32_e64 s[28:29], s40, v5
	s_and_saveexec_b64 s[84:85], s[28:29]
	s_cbranch_execz .LBB771_35
; %bb.34:
	v_add_u32_e32 v5, s42, v34
	v_add_u32_e32 v6, s56, v34
	v_mul_lo_u32 v5, v5, s41
	v_mul_lo_u32 v6, v6, s43
	v_sub_u32_e32 v5, v5, v6
	v_cmp_lt_u32_e64 s[28:29], s57, v5
	s_and_b64 s[82:83], s[28:29], exec
.LBB771_35:
	s_or_b64 exec, exec, s[84:85]
	v_cndmask_b32_e64 v6, 0, 1, s[4:5]
	v_cndmask_b32_e64 v5, 0, 1, vcc
	v_cndmask_b32_e64 v8, 0, 1, s[8:9]
	v_lshlrev_b16_e32 v6, 8, v6
	v_cndmask_b32_e64 v7, 0, 1, s[6:7]
	v_or_b32_e32 v5, v5, v6
	v_lshlrev_b16_e32 v6, 8, v8
	v_cndmask_b32_e64 v10, 0, 1, s[12:13]
	v_cndmask_b32_e64 v12, 0, 1, s[16:17]
	v_or_b32_sdwa v6, v7, v6 dst_sel:WORD_1 dst_unused:UNUSED_PAD src0_sel:DWORD src1_sel:DWORD
	v_cndmask_b32_e64 v9, 0, 1, s[10:11]
	v_cndmask_b32_e64 v11, 0, 1, s[14:15]
	v_or_b32_sdwa v36, v5, v6 dst_sel:DWORD dst_unused:UNUSED_PAD src0_sel:WORD_0 src1_sel:DWORD
	v_lshlrev_b16_e32 v5, 8, v10
	v_lshlrev_b16_e32 v6, 8, v12
	v_cndmask_b32_e64 v26, 0, 1, s[20:21]
	v_cndmask_b32_e64 v29, 0, 1, s[24:25]
	v_or_b32_e32 v5, v9, v5
	v_or_b32_sdwa v6, v11, v6 dst_sel:WORD_1 dst_unused:UNUSED_PAD src0_sel:DWORD src1_sel:DWORD
	v_cndmask_b32_e64 v25, 0, 1, s[18:19]
	v_cndmask_b32_e64 v27, 0, 1, s[22:23]
	v_or_b32_sdwa v38, v5, v6 dst_sel:DWORD dst_unused:UNUSED_PAD src0_sel:WORD_0 src1_sel:DWORD
	v_lshlrev_b16_e32 v5, 8, v26
	v_lshlrev_b16_e32 v6, 8, v29
	v_cndmask_b32_e64 v42, 0, 1, s[60:61]
	v_cndmask_b32_e64 v47, 0, 1, s[46:47]
	v_or_b32_e32 v5, v25, v5
	;; [unrolled: 9-line block ×4, first 2 shown]
	v_or_b32_sdwa v6, v39, v6 dst_sel:WORD_1 dst_unused:UNUSED_PAD src0_sel:DWORD src1_sel:DWORD
	v_cndmask_b32_e64 v30, 0, 1, s[74:75]
	v_cndmask_b32_e64 v32, 0, 1, s[70:71]
	v_or_b32_sdwa v37, v5, v6 dst_sel:DWORD dst_unused:UNUSED_PAD src0_sel:WORD_0 src1_sel:DWORD
	v_lshlrev_b16_e32 v5, 8, v31
	v_lshlrev_b16_e32 v6, 8, v28
	v_or_b32_e32 v5, v32, v5
	v_or_b32_sdwa v6, v30, v6 dst_sel:WORD_1 dst_unused:UNUSED_PAD src0_sel:DWORD src1_sel:DWORD
	v_cndmask_b32_e64 v40, 0, 1, s[78:79]
	v_cndmask_b32_e64 v43, 0, 1, s[82:83]
	v_or_b32_sdwa v39, v5, v6 dst_sel:DWORD dst_unused:UNUSED_PAD src0_sel:WORD_0 src1_sel:DWORD
	s_add_i32 s16, s86, 0xd00
	s_and_b64 vcc, exec, s[76:77]
	s_cbranch_vccnz .LBB771_37
	s_branch .LBB771_114
.LBB771_36:
                                        ; implicit-def: $vgpr43
                                        ; implicit-def: $vgpr40
                                        ; implicit-def: $vgpr39
                                        ; implicit-def: $vgpr37
                                        ; implicit-def: $vgpr42
                                        ; implicit-def: $vgpr41
                                        ; implicit-def: $vgpr38
                                        ; implicit-def: $vgpr36
	s_add_i32 s16, s86, 0xd00
	s_cbranch_execz .LBB771_114
.LBB771_37:
	v_cmp_gt_u32_e32 vcc, s16, v35
	v_mov_b32_e32 v6, 0
	v_mov_b32_e32 v5, 0
	s_and_saveexec_b64 s[6:7], vcc
	s_cbranch_execz .LBB771_41
; %bb.38:
	v_add_u32_e32 v5, s37, v23
	v_add_u32_e32 v6, s39, v23
	v_mul_lo_u32 v5, v5, s36
	v_mul_lo_u32 v6, v6, s38
	s_mov_b64 s[10:11], 0
	v_sub_u32_e32 v5, v5, v6
	v_cmp_lt_u32_e32 vcc, s40, v5
	v_cmp_ge_u32_e64 s[4:5], s40, v5
	s_and_saveexec_b64 s[8:9], s[4:5]
	s_cbranch_execz .LBB771_40
; %bb.39:
	v_add_u32_e32 v5, s42, v23
	v_add_u32_e32 v6, s56, v23
	v_mul_lo_u32 v5, v5, s41
	v_mul_lo_u32 v6, v6, s43
	v_sub_u32_e32 v5, v5, v6
	v_cmp_lt_u32_e64 s[4:5], s57, v5
	s_and_b64 s[10:11], s[4:5], exec
.LBB771_40:
	s_or_b64 exec, exec, s[8:9]
	v_cndmask_b32_e64 v6, 0, 1, s[10:11]
	v_cndmask_b32_e64 v5, 0, 1, vcc
.LBB771_41:
	s_or_b64 exec, exec, s[6:7]
	v_lshlrev_b16_e32 v11, 8, v6
	v_add_u32_e32 v6, 1, v35
	v_cmp_le_u32_e32 vcc, s16, v6
	v_lshlrev_b16_e64 v8, 8, 0
                                        ; implicit-def: $vgpr7
                                        ; implicit-def: $vgpr9
                                        ; implicit-def: $vgpr10
                                        ; implicit-def: $vgpr6
                                        ; implicit-def: $vgpr12
	s_and_saveexec_b64 s[4:5], vcc
	s_xor_b64 s[4:5], exec, s[4:5]
; %bb.42:
	v_mov_b32_e32 v6, 8
	v_lshrrev_b32_sdwa v7, v6, v11 dst_sel:BYTE_1 dst_unused:UNUSED_PAD src0_sel:DWORD src1_sel:DWORD
	v_and_b32_e32 v12, 0xff, v5
	v_or_b32_sdwa v5, v11, v7 dst_sel:DWORD dst_unused:UNUSED_PAD src0_sel:BYTE_0 src1_sel:DWORD
	v_mov_b32_e32 v9, 0
	v_lshlrev_b16_e64 v8, 8, 0
	v_lshlrev_b16_e64 v6, 8, 0
	v_and_b32_e32 v10, 0xffff, v5
	v_lshlrev_b16_e64 v7, 8, 0
                                        ; implicit-def: $vgpr5
                                        ; implicit-def: $vgpr11
; %bb.43:
	s_andn2_saveexec_b64 s[6:7], s[4:5]
	s_cbranch_execz .LBB771_47
; %bb.44:
	v_add_u32_e32 v6, s37, v24
	v_add_u32_e32 v7, s39, v24
	v_mul_lo_u32 v6, v6, s36
	v_mul_lo_u32 v7, v7, s38
	s_mov_b64 s[8:9], 0
	v_sub_u32_e32 v6, v6, v7
	v_cmp_lt_u32_e32 vcc, s40, v6
	v_cmp_ge_u32_e64 s[4:5], s40, v6
	s_and_saveexec_b64 s[10:11], s[4:5]
	s_cbranch_execz .LBB771_46
; %bb.45:
	v_add_u32_e32 v6, s42, v24
	v_add_u32_e32 v7, s56, v24
	v_mul_lo_u32 v6, v6, s41
	v_mul_lo_u32 v7, v7, s43
	v_sub_u32_e32 v6, v6, v7
	v_cmp_lt_u32_e64 s[4:5], s57, v6
	s_and_b64 s[8:9], s[4:5], exec
.LBB771_46:
	s_or_b64 exec, exec, s[10:11]
	v_cndmask_b32_e64 v7, 0, 1, vcc
	v_lshlrev_b16_e32 v7, 8, v7
	v_or_b32_sdwa v5, v5, v7 dst_sel:DWORD dst_unused:UNUSED_PAD src0_sel:BYTE_0 src1_sel:DWORD
	v_and_b32_e32 v12, 0xffff, v5
	v_mov_b32_e32 v5, 8
	v_lshrrev_b32_sdwa v5, v5, v11 dst_sel:BYTE_1 dst_unused:UNUSED_PAD src0_sel:DWORD src1_sel:DWORD
	v_or_b32_sdwa v5, v11, v5 dst_sel:DWORD dst_unused:UNUSED_PAD src0_sel:BYTE_0 src1_sel:DWORD
	v_and_b32_e32 v5, 0xffff, v5
	v_cndmask_b32_e64 v7, 0, 1, s[8:9]
	v_mov_b32_e32 v6, 0
	v_mov_b32_e32 v9, 0
	v_lshl_or_b32 v10, v7, 16, v5
	v_lshlrev_b16_e64 v7, 8, 0
.LBB771_47:
	s_or_b64 exec, exec, s[6:7]
	v_add_u32_e32 v5, 2, v35
	v_cmp_le_u32_e32 vcc, s16, v5
	v_lshrrev_b32_e32 v25, 24, v12
                                        ; implicit-def: $vgpr5
                                        ; implicit-def: $vgpr11
	s_and_saveexec_b64 s[4:5], vcc
	s_xor_b64 s[4:5], exec, s[4:5]
	s_cbranch_execz .LBB771_49
; %bb.48:
	s_mov_b32 s6, 0x40c0100
	v_perm_b32 v11, v25, v12, s6
	v_mov_b32_e32 v12, 8
	v_lshrrev_b32_sdwa v12, v12, v11 dst_sel:BYTE_1 dst_unused:UNUSED_PAD src0_sel:DWORD src1_sel:DWORD
	v_or_b32_sdwa v12, v11, v12 dst_sel:DWORD dst_unused:UNUSED_PAD src0_sel:BYTE_0 src1_sel:DWORD
	v_and_b32_e32 v12, 0xffff, v12
	s_mov_b32 s6, 0xff000000
	v_and_or_b32 v11, v11, s6, v12
	s_mov_b32 s6, 0x3060504
	v_and_b32_e32 v5, 0xff0000, v10
	v_perm_b32 v8, v8, v8, s6
	s_mov_b32 s6, 0x3020504
	v_perm_b32 v5, v10, v5, s6
                                        ; implicit-def: $vgpr12
                                        ; implicit-def: $vgpr25
                                        ; implicit-def: $vgpr10
.LBB771_49:
	s_andn2_saveexec_b64 s[6:7], s[4:5]
	s_cbranch_execz .LBB771_53
; %bb.50:
	v_add_u32_e32 v5, s37, v21
	v_add_u32_e32 v11, s39, v21
	v_mul_lo_u32 v5, v5, s36
	v_mul_lo_u32 v11, v11, s38
	s_mov_b64 s[8:9], 0
	v_sub_u32_e32 v5, v5, v11
	v_cmp_lt_u32_e32 vcc, s40, v5
	v_cmp_ge_u32_e64 s[4:5], s40, v5
	s_and_saveexec_b64 s[10:11], s[4:5]
	s_cbranch_execz .LBB771_52
; %bb.51:
	v_add_u32_e32 v5, s42, v21
	v_add_u32_e32 v11, s56, v21
	v_mul_lo_u32 v5, v5, s41
	v_mul_lo_u32 v11, v11, s43
	v_sub_u32_e32 v5, v5, v11
	v_cmp_lt_u32_e64 s[4:5], s57, v5
	s_and_b64 s[8:9], s[4:5], exec
.LBB771_52:
	s_or_b64 exec, exec, s[10:11]
	v_mov_b32_e32 v27, 8
	v_lshrrev_b32_sdwa v11, v27, v12 dst_sel:BYTE_1 dst_unused:UNUSED_PAD src0_sel:DWORD src1_sel:DWORD
	v_cndmask_b32_e64 v5, 0, 1, vcc
	v_or_b32_sdwa v11, v12, v11 dst_sel:DWORD dst_unused:UNUSED_PAD src0_sel:BYTE_0 src1_sel:DWORD
	v_lshlrev_b16_e32 v12, 8, v25
	v_or_b32_sdwa v5, v5, v12 dst_sel:WORD_1 dst_unused:UNUSED_PAD src0_sel:DWORD src1_sel:DWORD
	v_cndmask_b32_e64 v26, 0, 1, s[8:9]
	s_movk_i32 s4, 0xff
	v_or_b32_sdwa v11, v11, v5 dst_sel:DWORD dst_unused:UNUSED_PAD src0_sel:WORD_0 src1_sel:DWORD
	v_lshrrev_b32_sdwa v5, v27, v10 dst_sel:BYTE_1 dst_unused:UNUSED_PAD src0_sel:DWORD src1_sel:DWORD
	v_or_b32_sdwa v5, v10, v5 dst_sel:DWORD dst_unused:UNUSED_PAD src0_sel:BYTE_0 src1_sel:DWORD
	v_lshlrev_b16_e32 v12, 8, v26
	v_and_b32_sdwa v10, v10, s4 dst_sel:DWORD dst_unused:UNUSED_PAD src0_sel:WORD_1 src1_sel:DWORD
	v_or_b32_sdwa v10, v10, v12 dst_sel:WORD_1 dst_unused:UNUSED_PAD src0_sel:DWORD src1_sel:DWORD
	v_or_b32_sdwa v5, v5, v10 dst_sel:DWORD dst_unused:UNUSED_PAD src0_sel:WORD_0 src1_sel:DWORD
.LBB771_53:
	s_or_b64 exec, exec, s[6:7]
	v_add_u32_e32 v10, 3, v35
	v_cmp_le_u32_e32 vcc, s16, v10
	v_lshrrev_b32_e32 v12, 24, v9
                                        ; implicit-def: $vgpr10
                                        ; implicit-def: $vgpr36
	s_and_saveexec_b64 s[4:5], vcc
	s_xor_b64 s[4:5], exec, s[4:5]
	s_cbranch_execz .LBB771_55
; %bb.54:
	v_and_b32_e32 v10, 0xff0000, v11
	s_mov_b32 s6, 0x3020504
	s_movk_i32 s7, 0xff
	v_perm_b32 v36, v11, v10, s6
	v_lshlrev_b16_e32 v10, 8, v12
	v_and_b32_sdwa v11, v9, s7 dst_sel:DWORD dst_unused:UNUSED_PAD src0_sel:WORD_1 src1_sel:DWORD
	s_mov_b32 s6, 0x3060504
	v_or_b32_sdwa v10, v11, v10 dst_sel:WORD_1 dst_unused:UNUSED_PAD src0_sel:DWORD src1_sel:DWORD
	v_mov_b32_e32 v11, 8
	v_perm_b32 v8, v8, v8, s6
	v_lshrrev_b32_sdwa v10, v11, v9 dst_sel:BYTE_1 dst_unused:UNUSED_PRESERVE src0_sel:DWORD src1_sel:DWORD
	v_perm_b32 v7, v7, v7, s6
                                        ; implicit-def: $vgpr11
                                        ; implicit-def: $vgpr12
                                        ; implicit-def: $vgpr9
.LBB771_55:
	s_andn2_saveexec_b64 s[6:7], s[4:5]
	s_cbranch_execz .LBB771_59
; %bb.56:
	v_add_u32_e32 v10, s37, v22
	v_add_u32_e32 v25, s39, v22
	v_mul_lo_u32 v10, v10, s36
	v_mul_lo_u32 v25, v25, s38
	s_mov_b64 s[8:9], 0
	v_sub_u32_e32 v10, v10, v25
	v_cmp_lt_u32_e32 vcc, s40, v10
	v_cmp_ge_u32_e64 s[4:5], s40, v10
	s_and_saveexec_b64 s[10:11], s[4:5]
	s_cbranch_execz .LBB771_58
; %bb.57:
	v_add_u32_e32 v10, s42, v22
	v_add_u32_e32 v25, s56, v22
	v_mul_lo_u32 v10, v10, s41
	v_mul_lo_u32 v25, v25, s43
	v_sub_u32_e32 v10, v10, v25
	v_cmp_lt_u32_e64 s[4:5], s57, v10
	s_and_b64 s[8:9], s[4:5], exec
.LBB771_58:
	s_or_b64 exec, exec, s[10:11]
	v_mov_b32_e32 v26, 8
	v_cndmask_b32_e64 v10, 0, 1, vcc
	s_movk_i32 s4, 0xff
	v_lshrrev_b32_sdwa v27, v26, v11 dst_sel:BYTE_1 dst_unused:UNUSED_PAD src0_sel:DWORD src1_sel:DWORD
	v_or_b32_sdwa v27, v11, v27 dst_sel:DWORD dst_unused:UNUSED_PAD src0_sel:BYTE_0 src1_sel:DWORD
	v_lshlrev_b16_e32 v10, 8, v10
	v_and_b32_sdwa v11, v11, s4 dst_sel:DWORD dst_unused:UNUSED_PAD src0_sel:WORD_1 src1_sel:DWORD
	v_or_b32_sdwa v10, v11, v10 dst_sel:WORD_1 dst_unused:UNUSED_PAD src0_sel:DWORD src1_sel:DWORD
	v_cndmask_b32_e64 v25, 0, 1, s[8:9]
	v_or_b32_sdwa v36, v27, v10 dst_sel:DWORD dst_unused:UNUSED_PAD src0_sel:WORD_0 src1_sel:DWORD
	v_lshlrev_b16_e32 v10, 8, v12
	v_and_b32_sdwa v11, v9, s4 dst_sel:DWORD dst_unused:UNUSED_PAD src0_sel:WORD_1 src1_sel:DWORD
	v_lshrrev_b32_sdwa v9, v26, v9 dst_sel:BYTE_1 dst_unused:UNUSED_PAD src0_sel:DWORD src1_sel:DWORD
	v_or_b32_sdwa v10, v11, v10 dst_sel:WORD_1 dst_unused:UNUSED_PAD src0_sel:DWORD src1_sel:DWORD
	v_or_b32_e32 v9, v25, v9
	v_or_b32_sdwa v10, v9, v10 dst_sel:DWORD dst_unused:UNUSED_PAD src0_sel:WORD_0 src1_sel:DWORD
.LBB771_59:
	s_or_b64 exec, exec, s[6:7]
	v_add_u32_e32 v9, 4, v35
	v_cmp_le_u32_e32 vcc, s16, v9
	v_lshrrev_b32_e32 v25, 24, v8
	v_lshrrev_b32_e32 v12, 24, v10
                                        ; implicit-def: $vgpr11
                                        ; implicit-def: $vgpr9
	s_and_saveexec_b64 s[4:5], vcc
	s_xor_b64 s[4:5], exec, s[4:5]
	s_cbranch_execz .LBB771_61
; %bb.60:
	s_movk_i32 s6, 0xff
	v_lshlrev_b16_e32 v9, 8, v25
	v_and_b32_sdwa v25, v8, s6 dst_sel:DWORD dst_unused:UNUSED_PAD src0_sel:WORD_1 src1_sel:DWORD
	v_mov_b32_e32 v11, 8
	v_or_b32_sdwa v9, v25, v9 dst_sel:WORD_1 dst_unused:UNUSED_PAD src0_sel:DWORD src1_sel:DWORD
	v_lshrrev_b32_sdwa v9, v11, v8 dst_sel:BYTE_1 dst_unused:UNUSED_PRESERVE src0_sel:DWORD src1_sel:DWORD
	v_lshlrev_b16_e32 v8, 8, v12
	v_and_b32_sdwa v11, v10, s6 dst_sel:DWORD dst_unused:UNUSED_PAD src0_sel:WORD_1 src1_sel:DWORD
	v_or_b32_e32 v8, v11, v8
	s_mov_b32 s6, 0x5040c00
	v_perm_b32 v11, v8, v10, s6
	s_mov_b32 s6, 0x3060504
	v_perm_b32 v7, v7, v7, s6
                                        ; implicit-def: $vgpr25
                                        ; implicit-def: $vgpr8
                                        ; implicit-def: $vgpr10
                                        ; implicit-def: $vgpr12
.LBB771_61:
	s_andn2_saveexec_b64 s[6:7], s[4:5]
	s_cbranch_execz .LBB771_65
; %bb.62:
	v_add_u32_e32 v9, s37, v19
	v_add_u32_e32 v11, s39, v19
	v_mul_lo_u32 v9, v9, s36
	v_mul_lo_u32 v11, v11, s38
	s_mov_b64 s[8:9], 0
	v_sub_u32_e32 v9, v9, v11
	v_cmp_lt_u32_e32 vcc, s40, v9
	v_cmp_ge_u32_e64 s[4:5], s40, v9
	s_and_saveexec_b64 s[10:11], s[4:5]
	s_cbranch_execz .LBB771_64
; %bb.63:
	v_add_u32_e32 v9, s42, v19
	v_add_u32_e32 v11, s56, v19
	v_mul_lo_u32 v9, v9, s41
	v_mul_lo_u32 v11, v11, s43
	v_sub_u32_e32 v9, v9, v11
	v_cmp_lt_u32_e64 s[4:5], s57, v9
	s_and_b64 s[8:9], s[4:5], exec
.LBB771_64:
	s_or_b64 exec, exec, s[10:11]
	s_movk_i32 s4, 0xff
	v_lshlrev_b16_e32 v25, 8, v25
	v_and_b32_sdwa v26, v8, s4 dst_sel:DWORD dst_unused:UNUSED_PAD src0_sel:WORD_1 src1_sel:DWORD
	v_or_b32_sdwa v25, v26, v25 dst_sel:WORD_1 dst_unused:UNUSED_PAD src0_sel:DWORD src1_sel:DWORD
	v_mov_b32_e32 v26, 8
	v_cndmask_b32_e64 v9, 0, 1, vcc
	v_lshrrev_b32_sdwa v8, v26, v8 dst_sel:BYTE_1 dst_unused:UNUSED_PAD src0_sel:DWORD src1_sel:DWORD
	v_cndmask_b32_e64 v11, 0, 1, s[8:9]
	v_or_b32_e32 v8, v9, v8
	v_or_b32_sdwa v9, v8, v25 dst_sel:DWORD dst_unused:UNUSED_PAD src0_sel:WORD_0 src1_sel:DWORD
	v_lshlrev_b16_e32 v8, 8, v11
	v_or_b32_sdwa v8, v10, v8 dst_sel:DWORD dst_unused:UNUSED_PAD src0_sel:BYTE_0 src1_sel:DWORD
	v_lshlrev_b16_e32 v11, 8, v12
	v_and_b32_sdwa v10, v10, s4 dst_sel:DWORD dst_unused:UNUSED_PAD src0_sel:WORD_1 src1_sel:DWORD
	v_or_b32_sdwa v10, v10, v11 dst_sel:WORD_1 dst_unused:UNUSED_PAD src0_sel:DWORD src1_sel:DWORD
	v_or_b32_sdwa v11, v8, v10 dst_sel:DWORD dst_unused:UNUSED_PAD src0_sel:WORD_0 src1_sel:DWORD
.LBB771_65:
	s_or_b64 exec, exec, s[6:7]
	v_add_u32_e32 v8, 5, v35
	v_cmp_le_u32_e32 vcc, s16, v8
	v_lshrrev_b32_e32 v12, 24, v11
	v_lshrrev_b32_e32 v25, 24, v9
                                        ; implicit-def: $vgpr8
                                        ; implicit-def: $vgpr10
	s_and_saveexec_b64 s[4:5], vcc
	s_xor_b64 s[4:5], exec, s[4:5]
	s_cbranch_execz .LBB771_67
; %bb.66:
	s_mov_b32 s6, 0x40c0100
	v_perm_b32 v8, v12, v11, s6
	s_movk_i32 s6, 0xff
	v_lshlrev_b16_e32 v10, 8, v25
	v_and_b32_sdwa v11, v9, s6 dst_sel:DWORD dst_unused:UNUSED_PAD src0_sel:WORD_1 src1_sel:DWORD
	v_or_b32_e32 v10, v11, v10
	s_mov_b32 s6, 0x5040c00
	v_perm_b32 v10, v10, v9, s6
	v_mov_b32_e32 v9, 8
	v_lshrrev_b32_sdwa v9, v9, v8 dst_sel:BYTE_1 dst_unused:UNUSED_PAD src0_sel:DWORD src1_sel:DWORD
	v_or_b32_sdwa v9, v8, v9 dst_sel:DWORD dst_unused:UNUSED_PAD src0_sel:BYTE_0 src1_sel:DWORD
	v_and_b32_e32 v9, 0xffff, v9
	s_mov_b32 s6, 0xff000000
	v_and_or_b32 v8, v8, s6, v9
	s_mov_b32 s6, 0x3060504
	v_perm_b32 v7, v7, v7, s6
                                        ; implicit-def: $vgpr9
                                        ; implicit-def: $vgpr25
                                        ; implicit-def: $vgpr11
                                        ; implicit-def: $vgpr12
.LBB771_67:
	s_andn2_saveexec_b64 s[6:7], s[4:5]
	s_cbranch_execz .LBB771_71
; %bb.68:
	v_add_u32_e32 v8, s37, v20
	v_add_u32_e32 v10, s39, v20
	v_mul_lo_u32 v8, v8, s36
	v_mul_lo_u32 v10, v10, s38
	s_mov_b64 s[8:9], 0
	v_sub_u32_e32 v8, v8, v10
	v_cmp_lt_u32_e32 vcc, s40, v8
	v_cmp_ge_u32_e64 s[4:5], s40, v8
	s_and_saveexec_b64 s[10:11], s[4:5]
	s_cbranch_execz .LBB771_70
; %bb.69:
	v_add_u32_e32 v8, s42, v20
	v_add_u32_e32 v10, s56, v20
	v_mul_lo_u32 v8, v8, s41
	v_mul_lo_u32 v10, v10, s43
	v_sub_u32_e32 v8, v8, v10
	v_cmp_lt_u32_e64 s[4:5], s57, v8
	s_and_b64 s[8:9], s[4:5], exec
.LBB771_70:
	s_or_b64 exec, exec, s[10:11]
	v_cndmask_b32_e64 v8, 0, 1, vcc
	v_lshlrev_b16_e32 v8, 8, v8
	s_movk_i32 s4, 0xff
	v_or_b32_sdwa v8, v9, v8 dst_sel:DWORD dst_unused:UNUSED_PAD src0_sel:BYTE_0 src1_sel:DWORD
	v_lshlrev_b16_e32 v10, 8, v25
	v_and_b32_sdwa v9, v9, s4 dst_sel:DWORD dst_unused:UNUSED_PAD src0_sel:WORD_1 src1_sel:DWORD
	v_or_b32_sdwa v9, v9, v10 dst_sel:WORD_1 dst_unused:UNUSED_PAD src0_sel:DWORD src1_sel:DWORD
	v_or_b32_sdwa v10, v8, v9 dst_sel:DWORD dst_unused:UNUSED_PAD src0_sel:WORD_0 src1_sel:DWORD
	v_mov_b32_e32 v8, 8
	v_cndmask_b32_e64 v26, 0, 1, s[8:9]
	v_lshrrev_b32_sdwa v8, v8, v11 dst_sel:BYTE_1 dst_unused:UNUSED_PAD src0_sel:DWORD src1_sel:DWORD
	v_lshlrev_b16_e32 v9, 8, v12
	v_or_b32_sdwa v8, v11, v8 dst_sel:DWORD dst_unused:UNUSED_PAD src0_sel:BYTE_0 src1_sel:DWORD
	v_or_b32_sdwa v9, v26, v9 dst_sel:WORD_1 dst_unused:UNUSED_PAD src0_sel:DWORD src1_sel:DWORD
	v_or_b32_sdwa v8, v8, v9 dst_sel:DWORD dst_unused:UNUSED_PAD src0_sel:WORD_0 src1_sel:DWORD
.LBB771_71:
	s_or_b64 exec, exec, s[6:7]
	v_add_u32_e32 v9, 6, v35
	v_cmp_le_u32_e32 vcc, s16, v9
	v_lshrrev_b32_e32 v11, 24, v10
                                        ; implicit-def: $vgpr37
                                        ; implicit-def: $vgpr9
	s_and_saveexec_b64 s[4:5], vcc
	s_xor_b64 s[4:5], exec, s[4:5]
	s_cbranch_execz .LBB771_73
; %bb.72:
	s_mov_b32 s6, 0x40c0100
	v_perm_b32 v9, v11, v10, s6
	v_mov_b32_e32 v10, 8
	v_lshrrev_b32_sdwa v10, v10, v9 dst_sel:BYTE_1 dst_unused:UNUSED_PAD src0_sel:DWORD src1_sel:DWORD
	v_or_b32_sdwa v10, v9, v10 dst_sel:DWORD dst_unused:UNUSED_PAD src0_sel:BYTE_0 src1_sel:DWORD
	v_and_b32_e32 v10, 0xffff, v10
	s_mov_b32 s6, 0xff000000
	v_and_b32_e32 v12, 0xff0000, v8
	v_and_or_b32 v9, v9, s6, v10
	s_mov_b32 s6, 0x3020504
	v_perm_b32 v37, v8, v12, s6
	s_mov_b32 s6, 0x3060504
	v_perm_b32 v7, v7, v7, s6
                                        ; implicit-def: $vgpr10
                                        ; implicit-def: $vgpr11
                                        ; implicit-def: $vgpr8
.LBB771_73:
	s_andn2_saveexec_b64 s[6:7], s[4:5]
	s_cbranch_execz .LBB771_77
; %bb.74:
	v_add_u32_e32 v9, s37, v17
	v_add_u32_e32 v12, s39, v17
	v_mul_lo_u32 v9, v9, s36
	v_mul_lo_u32 v12, v12, s38
	s_mov_b64 s[8:9], 0
	v_sub_u32_e32 v9, v9, v12
	v_cmp_lt_u32_e32 vcc, s40, v9
	v_cmp_ge_u32_e64 s[4:5], s40, v9
	s_and_saveexec_b64 s[10:11], s[4:5]
	s_cbranch_execz .LBB771_76
; %bb.75:
	v_add_u32_e32 v9, s42, v17
	v_add_u32_e32 v12, s56, v17
	v_mul_lo_u32 v9, v9, s41
	v_mul_lo_u32 v12, v12, s43
	v_sub_u32_e32 v9, v9, v12
	v_cmp_lt_u32_e64 s[4:5], s57, v9
	s_and_b64 s[8:9], s[4:5], exec
.LBB771_76:
	s_or_b64 exec, exec, s[10:11]
	v_mov_b32_e32 v25, 8
	v_cndmask_b32_e64 v9, 0, 1, vcc
	v_lshrrev_b32_sdwa v26, v25, v10 dst_sel:BYTE_1 dst_unused:UNUSED_PAD src0_sel:DWORD src1_sel:DWORD
	v_lshlrev_b16_e32 v11, 8, v11
	v_or_b32_sdwa v10, v10, v26 dst_sel:DWORD dst_unused:UNUSED_PAD src0_sel:BYTE_0 src1_sel:DWORD
	v_or_b32_sdwa v9, v9, v11 dst_sel:WORD_1 dst_unused:UNUSED_PAD src0_sel:DWORD src1_sel:DWORD
	v_cndmask_b32_e64 v12, 0, 1, s[8:9]
	s_movk_i32 s4, 0xff
	v_or_b32_sdwa v9, v10, v9 dst_sel:DWORD dst_unused:UNUSED_PAD src0_sel:WORD_0 src1_sel:DWORD
	v_lshrrev_b32_sdwa v10, v25, v8 dst_sel:BYTE_1 dst_unused:UNUSED_PAD src0_sel:DWORD src1_sel:DWORD
	v_or_b32_sdwa v10, v8, v10 dst_sel:DWORD dst_unused:UNUSED_PAD src0_sel:BYTE_0 src1_sel:DWORD
	v_lshlrev_b16_e32 v11, 8, v12
	v_and_b32_sdwa v8, v8, s4 dst_sel:DWORD dst_unused:UNUSED_PAD src0_sel:WORD_1 src1_sel:DWORD
	v_or_b32_sdwa v8, v8, v11 dst_sel:WORD_1 dst_unused:UNUSED_PAD src0_sel:DWORD src1_sel:DWORD
	v_or_b32_sdwa v37, v10, v8 dst_sel:DWORD dst_unused:UNUSED_PAD src0_sel:WORD_0 src1_sel:DWORD
.LBB771_77:
	s_or_b64 exec, exec, s[6:7]
	v_add_u32_e32 v8, 7, v35
	v_cmp_le_u32_e32 vcc, s16, v8
	v_lshrrev_b32_e32 v10, 24, v7
                                        ; implicit-def: $vgpr8
                                        ; implicit-def: $vgpr38
	s_and_saveexec_b64 s[4:5], vcc
	s_xor_b64 s[4:5], exec, s[4:5]
; %bb.78:
	v_and_b32_e32 v8, 0xff0000, v9
	s_mov_b32 s6, 0x3020504
	v_perm_b32 v38, v9, v8, s6
	s_movk_i32 s6, 0xff
	v_lshlrev_b16_e32 v8, 8, v10
	v_and_b32_sdwa v9, v7, s6 dst_sel:DWORD dst_unused:UNUSED_PAD src0_sel:WORD_1 src1_sel:DWORD
	v_mov_b32_e32 v11, 8
	v_or_b32_sdwa v8, v9, v8 dst_sel:WORD_1 dst_unused:UNUSED_PAD src0_sel:DWORD src1_sel:DWORD
	v_lshrrev_b32_sdwa v8, v11, v7 dst_sel:BYTE_1 dst_unused:UNUSED_PRESERVE src0_sel:DWORD src1_sel:DWORD
                                        ; implicit-def: $vgpr9
                                        ; implicit-def: $vgpr10
                                        ; implicit-def: $vgpr7
; %bb.79:
	s_andn2_saveexec_b64 s[6:7], s[4:5]
	s_cbranch_execz .LBB771_83
; %bb.80:
	v_add_u32_e32 v8, s37, v18
	v_add_u32_e32 v11, s39, v18
	v_mul_lo_u32 v8, v8, s36
	v_mul_lo_u32 v11, v11, s38
	s_mov_b64 s[8:9], 0
	v_sub_u32_e32 v8, v8, v11
	v_cmp_lt_u32_e32 vcc, s40, v8
	v_cmp_ge_u32_e64 s[4:5], s40, v8
	s_and_saveexec_b64 s[10:11], s[4:5]
	s_cbranch_execz .LBB771_82
; %bb.81:
	v_add_u32_e32 v8, s42, v18
	v_add_u32_e32 v11, s56, v18
	v_mul_lo_u32 v8, v8, s41
	v_mul_lo_u32 v11, v11, s43
	v_sub_u32_e32 v8, v8, v11
	v_cmp_lt_u32_e64 s[4:5], s57, v8
	s_and_b64 s[8:9], s[4:5], exec
.LBB771_82:
	s_or_b64 exec, exec, s[10:11]
	v_mov_b32_e32 v12, 8
	v_cndmask_b32_e64 v8, 0, 1, vcc
	s_movk_i32 s4, 0xff
	v_lshrrev_b32_sdwa v25, v12, v9 dst_sel:BYTE_1 dst_unused:UNUSED_PAD src0_sel:DWORD src1_sel:DWORD
	v_or_b32_sdwa v25, v9, v25 dst_sel:DWORD dst_unused:UNUSED_PAD src0_sel:BYTE_0 src1_sel:DWORD
	v_lshlrev_b16_e32 v8, 8, v8
	v_and_b32_sdwa v9, v9, s4 dst_sel:DWORD dst_unused:UNUSED_PAD src0_sel:WORD_1 src1_sel:DWORD
	v_or_b32_sdwa v8, v9, v8 dst_sel:WORD_1 dst_unused:UNUSED_PAD src0_sel:DWORD src1_sel:DWORD
	v_cndmask_b32_e64 v11, 0, 1, s[8:9]
	v_or_b32_sdwa v38, v25, v8 dst_sel:DWORD dst_unused:UNUSED_PAD src0_sel:WORD_0 src1_sel:DWORD
	v_lshlrev_b16_e32 v8, 8, v10
	v_and_b32_sdwa v9, v7, s4 dst_sel:DWORD dst_unused:UNUSED_PAD src0_sel:WORD_1 src1_sel:DWORD
	v_lshrrev_b32_sdwa v7, v12, v7 dst_sel:BYTE_1 dst_unused:UNUSED_PAD src0_sel:DWORD src1_sel:DWORD
	v_or_b32_sdwa v8, v9, v8 dst_sel:WORD_1 dst_unused:UNUSED_PAD src0_sel:DWORD src1_sel:DWORD
	v_or_b32_e32 v7, v11, v7
	v_or_b32_sdwa v8, v7, v8 dst_sel:DWORD dst_unused:UNUSED_PAD src0_sel:WORD_0 src1_sel:DWORD
.LBB771_83:
	s_or_b64 exec, exec, s[6:7]
	v_add_u32_e32 v7, 8, v35
	v_cmp_le_u32_e32 vcc, s16, v7
	v_lshrrev_b32_e32 v10, 24, v8
	v_lshrrev_b32_e32 v11, 24, v6
                                        ; implicit-def: $vgpr9
                                        ; implicit-def: $vgpr7
	s_and_saveexec_b64 s[4:5], vcc
	s_xor_b64 s[4:5], exec, s[4:5]
	s_cbranch_execz .LBB771_85
; %bb.84:
	s_movk_i32 s6, 0xff
	v_lshlrev_b16_e32 v7, 8, v11
	v_and_b32_sdwa v9, v6, s6 dst_sel:DWORD dst_unused:UNUSED_PAD src0_sel:WORD_1 src1_sel:DWORD
	v_or_b32_sdwa v7, v9, v7 dst_sel:WORD_1 dst_unused:UNUSED_PAD src0_sel:DWORD src1_sel:DWORD
	v_mov_b32_e32 v9, 8
	v_lshrrev_b32_sdwa v7, v9, v6 dst_sel:BYTE_1 dst_unused:UNUSED_PRESERVE src0_sel:DWORD src1_sel:DWORD
	v_lshlrev_b16_e32 v6, 8, v10
	v_and_b32_sdwa v9, v8, s6 dst_sel:DWORD dst_unused:UNUSED_PAD src0_sel:WORD_1 src1_sel:DWORD
	s_mov_b32 s7, 0x3060504
	v_or_b32_e32 v6, v9, v6
	s_mov_b32 s6, 0x5040c00
	v_perm_b32 v5, v5, v5, s7
	v_perm_b32 v9, v6, v8, s6
                                        ; implicit-def: $vgpr11
                                        ; implicit-def: $vgpr6
                                        ; implicit-def: $vgpr8
                                        ; implicit-def: $vgpr10
.LBB771_85:
	s_andn2_saveexec_b64 s[6:7], s[4:5]
	s_cbranch_execz .LBB771_89
; %bb.86:
	v_add_u32_e32 v7, s37, v15
	v_add_u32_e32 v9, s39, v15
	v_mul_lo_u32 v7, v7, s36
	v_mul_lo_u32 v9, v9, s38
	s_mov_b64 s[8:9], 0
	v_sub_u32_e32 v7, v7, v9
	v_cmp_lt_u32_e32 vcc, s40, v7
	v_cmp_ge_u32_e64 s[4:5], s40, v7
	s_and_saveexec_b64 s[10:11], s[4:5]
	s_cbranch_execz .LBB771_88
; %bb.87:
	v_add_u32_e32 v7, s42, v15
	v_add_u32_e32 v9, s56, v15
	v_mul_lo_u32 v7, v7, s41
	v_mul_lo_u32 v9, v9, s43
	v_sub_u32_e32 v7, v7, v9
	v_cmp_lt_u32_e64 s[4:5], s57, v7
	s_and_b64 s[8:9], s[4:5], exec
.LBB771_88:
	s_or_b64 exec, exec, s[10:11]
	s_movk_i32 s4, 0xff
	v_lshlrev_b16_e32 v11, 8, v11
	v_and_b32_sdwa v12, v6, s4 dst_sel:DWORD dst_unused:UNUSED_PAD src0_sel:WORD_1 src1_sel:DWORD
	v_or_b32_sdwa v11, v12, v11 dst_sel:WORD_1 dst_unused:UNUSED_PAD src0_sel:DWORD src1_sel:DWORD
	v_mov_b32_e32 v12, 8
	v_cndmask_b32_e64 v7, 0, 1, vcc
	v_lshrrev_b32_sdwa v6, v12, v6 dst_sel:BYTE_1 dst_unused:UNUSED_PAD src0_sel:DWORD src1_sel:DWORD
	v_cndmask_b32_e64 v9, 0, 1, s[8:9]
	v_or_b32_e32 v6, v7, v6
	v_or_b32_sdwa v7, v6, v11 dst_sel:DWORD dst_unused:UNUSED_PAD src0_sel:WORD_0 src1_sel:DWORD
	v_lshlrev_b16_e32 v6, 8, v9
	v_or_b32_sdwa v6, v8, v6 dst_sel:DWORD dst_unused:UNUSED_PAD src0_sel:BYTE_0 src1_sel:DWORD
	v_lshlrev_b16_e32 v9, 8, v10
	v_and_b32_sdwa v8, v8, s4 dst_sel:DWORD dst_unused:UNUSED_PAD src0_sel:WORD_1 src1_sel:DWORD
	v_or_b32_sdwa v8, v8, v9 dst_sel:WORD_1 dst_unused:UNUSED_PAD src0_sel:DWORD src1_sel:DWORD
	v_or_b32_sdwa v9, v6, v8 dst_sel:DWORD dst_unused:UNUSED_PAD src0_sel:WORD_0 src1_sel:DWORD
.LBB771_89:
	s_or_b64 exec, exec, s[6:7]
	v_add_u32_e32 v6, 9, v35
	v_cmp_le_u32_e32 vcc, s16, v6
	v_lshrrev_b32_e32 v10, 24, v9
	v_lshrrev_b32_e32 v11, 24, v7
                                        ; implicit-def: $vgpr6
                                        ; implicit-def: $vgpr8
	s_and_saveexec_b64 s[4:5], vcc
	s_xor_b64 s[4:5], exec, s[4:5]
	s_cbranch_execz .LBB771_91
; %bb.90:
	s_mov_b32 s6, 0x40c0100
	v_perm_b32 v6, v10, v9, s6
	v_mov_b32_e32 v8, 8
	s_movk_i32 s6, 0xff
	v_lshrrev_b32_sdwa v9, v8, v6 dst_sel:BYTE_1 dst_unused:UNUSED_PAD src0_sel:DWORD src1_sel:DWORD
	v_lshlrev_b16_e32 v8, 8, v11
	v_and_b32_sdwa v10, v7, s6 dst_sel:DWORD dst_unused:UNUSED_PAD src0_sel:WORD_1 src1_sel:DWORD
	v_or_b32_e32 v8, v10, v8
	s_mov_b32 s6, 0x5040c00
	v_perm_b32 v8, v8, v7, s6
	s_mov_b32 s6, 0x3060504
	v_or_b32_sdwa v7, v6, v9 dst_sel:DWORD dst_unused:UNUSED_PAD src0_sel:BYTE_0 src1_sel:DWORD
	v_perm_b32 v5, v5, v5, s6
	v_and_b32_e32 v7, 0xffff, v7
	s_mov_b32 s6, 0xff000000
	v_and_or_b32 v6, v6, s6, v7
                                        ; implicit-def: $vgpr7
                                        ; implicit-def: $vgpr11
                                        ; implicit-def: $vgpr9
                                        ; implicit-def: $vgpr10
.LBB771_91:
	s_andn2_saveexec_b64 s[6:7], s[4:5]
	s_cbranch_execz .LBB771_95
; %bb.92:
	v_add_u32_e32 v6, s37, v16
	v_add_u32_e32 v8, s39, v16
	v_mul_lo_u32 v6, v6, s36
	v_mul_lo_u32 v8, v8, s38
	s_mov_b64 s[8:9], 0
	v_sub_u32_e32 v6, v6, v8
	v_cmp_lt_u32_e32 vcc, s40, v6
	v_cmp_ge_u32_e64 s[4:5], s40, v6
	s_and_saveexec_b64 s[10:11], s[4:5]
	s_cbranch_execz .LBB771_94
; %bb.93:
	v_add_u32_e32 v6, s42, v16
	v_add_u32_e32 v8, s56, v16
	v_mul_lo_u32 v6, v6, s41
	v_mul_lo_u32 v8, v8, s43
	v_sub_u32_e32 v6, v6, v8
	v_cmp_lt_u32_e64 s[4:5], s57, v6
	s_and_b64 s[8:9], s[4:5], exec
.LBB771_94:
	s_or_b64 exec, exec, s[10:11]
	v_cndmask_b32_e64 v6, 0, 1, vcc
	v_lshlrev_b16_e32 v6, 8, v6
	s_movk_i32 s4, 0xff
	v_or_b32_sdwa v6, v7, v6 dst_sel:DWORD dst_unused:UNUSED_PAD src0_sel:BYTE_0 src1_sel:DWORD
	v_lshlrev_b16_e32 v8, 8, v11
	v_and_b32_sdwa v7, v7, s4 dst_sel:DWORD dst_unused:UNUSED_PAD src0_sel:WORD_1 src1_sel:DWORD
	v_or_b32_sdwa v7, v7, v8 dst_sel:WORD_1 dst_unused:UNUSED_PAD src0_sel:DWORD src1_sel:DWORD
	v_or_b32_sdwa v8, v6, v7 dst_sel:DWORD dst_unused:UNUSED_PAD src0_sel:WORD_0 src1_sel:DWORD
	v_mov_b32_e32 v6, 8
	v_cndmask_b32_e64 v12, 0, 1, s[8:9]
	v_lshrrev_b32_sdwa v6, v6, v9 dst_sel:BYTE_1 dst_unused:UNUSED_PAD src0_sel:DWORD src1_sel:DWORD
	v_lshlrev_b16_e32 v7, 8, v10
	v_or_b32_sdwa v6, v9, v6 dst_sel:DWORD dst_unused:UNUSED_PAD src0_sel:BYTE_0 src1_sel:DWORD
	v_or_b32_sdwa v7, v12, v7 dst_sel:WORD_1 dst_unused:UNUSED_PAD src0_sel:DWORD src1_sel:DWORD
	v_or_b32_sdwa v6, v6, v7 dst_sel:DWORD dst_unused:UNUSED_PAD src0_sel:WORD_0 src1_sel:DWORD
.LBB771_95:
	s_or_b64 exec, exec, s[6:7]
	v_add_u32_e32 v7, 10, v35
	v_cmp_le_u32_e32 vcc, s16, v7
	v_lshrrev_b32_e32 v9, 24, v8
                                        ; implicit-def: $vgpr39
                                        ; implicit-def: $vgpr7
	s_and_saveexec_b64 s[4:5], vcc
	s_xor_b64 s[4:5], exec, s[4:5]
	s_cbranch_execz .LBB771_97
; %bb.96:
	s_mov_b32 s6, 0x40c0100
	v_perm_b32 v7, v9, v8, s6
	v_mov_b32_e32 v8, 8
	v_lshrrev_b32_sdwa v8, v8, v7 dst_sel:BYTE_1 dst_unused:UNUSED_PAD src0_sel:DWORD src1_sel:DWORD
	v_or_b32_sdwa v8, v7, v8 dst_sel:DWORD dst_unused:UNUSED_PAD src0_sel:BYTE_0 src1_sel:DWORD
	v_and_b32_e32 v8, 0xffff, v8
	s_mov_b32 s6, 0xff000000
	v_and_or_b32 v7, v7, s6, v8
	s_mov_b32 s6, 0x3060504
	v_and_b32_e32 v10, 0xff0000, v6
	v_perm_b32 v5, v5, v5, s6
	s_mov_b32 s6, 0x3020504
	v_perm_b32 v39, v6, v10, s6
                                        ; implicit-def: $vgpr8
                                        ; implicit-def: $vgpr9
                                        ; implicit-def: $vgpr6
.LBB771_97:
	s_andn2_saveexec_b64 s[6:7], s[4:5]
	s_cbranch_execz .LBB771_101
; %bb.98:
	v_add_u32_e32 v7, s37, v13
	v_add_u32_e32 v10, s39, v13
	v_mul_lo_u32 v7, v7, s36
	v_mul_lo_u32 v10, v10, s38
	s_mov_b64 s[8:9], 0
	v_sub_u32_e32 v7, v7, v10
	v_cmp_lt_u32_e32 vcc, s40, v7
	v_cmp_ge_u32_e64 s[4:5], s40, v7
	s_and_saveexec_b64 s[10:11], s[4:5]
	s_cbranch_execz .LBB771_100
; %bb.99:
	v_add_u32_e32 v7, s42, v13
	v_add_u32_e32 v10, s56, v13
	v_mul_lo_u32 v7, v7, s41
	v_mul_lo_u32 v10, v10, s43
	v_sub_u32_e32 v7, v7, v10
	v_cmp_lt_u32_e64 s[4:5], s57, v7
	s_and_b64 s[8:9], s[4:5], exec
.LBB771_100:
	s_or_b64 exec, exec, s[10:11]
	v_mov_b32_e32 v11, 8
	v_cndmask_b32_e64 v7, 0, 1, vcc
	v_lshrrev_b32_sdwa v12, v11, v8 dst_sel:BYTE_1 dst_unused:UNUSED_PAD src0_sel:DWORD src1_sel:DWORD
	v_lshlrev_b16_e32 v9, 8, v9
	v_or_b32_sdwa v8, v8, v12 dst_sel:DWORD dst_unused:UNUSED_PAD src0_sel:BYTE_0 src1_sel:DWORD
	v_or_b32_sdwa v7, v7, v9 dst_sel:WORD_1 dst_unused:UNUSED_PAD src0_sel:DWORD src1_sel:DWORD
	v_cndmask_b32_e64 v10, 0, 1, s[8:9]
	s_movk_i32 s4, 0xff
	v_or_b32_sdwa v7, v8, v7 dst_sel:DWORD dst_unused:UNUSED_PAD src0_sel:WORD_0 src1_sel:DWORD
	v_lshrrev_b32_sdwa v8, v11, v6 dst_sel:BYTE_1 dst_unused:UNUSED_PAD src0_sel:DWORD src1_sel:DWORD
	v_or_b32_sdwa v8, v6, v8 dst_sel:DWORD dst_unused:UNUSED_PAD src0_sel:BYTE_0 src1_sel:DWORD
	v_lshlrev_b16_e32 v9, 8, v10
	v_and_b32_sdwa v6, v6, s4 dst_sel:DWORD dst_unused:UNUSED_PAD src0_sel:WORD_1 src1_sel:DWORD
	v_or_b32_sdwa v6, v6, v9 dst_sel:WORD_1 dst_unused:UNUSED_PAD src0_sel:DWORD src1_sel:DWORD
	v_or_b32_sdwa v39, v8, v6 dst_sel:DWORD dst_unused:UNUSED_PAD src0_sel:WORD_0 src1_sel:DWORD
.LBB771_101:
	s_or_b64 exec, exec, s[6:7]
	v_add_u32_e32 v6, 11, v35
	v_mov_b32_e32 v40, 0
	v_cmp_le_u32_e32 vcc, s16, v6
                                        ; implicit-def: $vgpr41
	s_and_saveexec_b64 s[4:5], vcc
	s_xor_b64 s[4:5], exec, s[4:5]
; %bb.102:
	v_and_b32_e32 v6, 0xff0000, v7
	s_mov_b32 s6, 0x3020504
	v_perm_b32 v41, v7, v6, s6
	s_mov_b32 s6, 0x3060504
	v_perm_b32 v5, v5, v5, s6
                                        ; implicit-def: $vgpr7
; %bb.103:
	s_andn2_saveexec_b64 s[6:7], s[4:5]
	s_cbranch_execz .LBB771_107
; %bb.104:
	v_add_u32_e32 v6, s37, v14
	v_add_u32_e32 v8, s39, v14
	v_mul_lo_u32 v6, v6, s36
	v_mul_lo_u32 v8, v8, s38
	s_mov_b64 s[8:9], 0
	v_sub_u32_e32 v6, v6, v8
	v_cmp_lt_u32_e32 vcc, s40, v6
	v_cmp_ge_u32_e64 s[4:5], s40, v6
	s_and_saveexec_b64 s[10:11], s[4:5]
	s_cbranch_execz .LBB771_106
; %bb.105:
	v_add_u32_e32 v6, s42, v14
	v_add_u32_e32 v8, s56, v14
	v_mul_lo_u32 v6, v6, s41
	v_mul_lo_u32 v8, v8, s43
	v_sub_u32_e32 v6, v6, v8
	v_cmp_lt_u32_e64 s[4:5], s57, v6
	s_and_b64 s[8:9], s[4:5], exec
.LBB771_106:
	s_or_b64 exec, exec, s[10:11]
	v_mov_b32_e32 v8, 8
	v_cndmask_b32_e64 v6, 0, 1, vcc
	s_movk_i32 s4, 0xff
	v_lshrrev_b32_sdwa v8, v8, v7 dst_sel:BYTE_1 dst_unused:UNUSED_PAD src0_sel:DWORD src1_sel:DWORD
	v_or_b32_sdwa v8, v7, v8 dst_sel:DWORD dst_unused:UNUSED_PAD src0_sel:BYTE_0 src1_sel:DWORD
	v_lshlrev_b16_e32 v6, 8, v6
	v_and_b32_sdwa v7, v7, s4 dst_sel:DWORD dst_unused:UNUSED_PAD src0_sel:WORD_1 src1_sel:DWORD
	v_or_b32_sdwa v6, v7, v6 dst_sel:WORD_1 dst_unused:UNUSED_PAD src0_sel:DWORD src1_sel:DWORD
	v_cndmask_b32_e64 v40, 0, 1, s[8:9]
	v_or_b32_sdwa v41, v8, v6 dst_sel:DWORD dst_unused:UNUSED_PAD src0_sel:WORD_0 src1_sel:DWORD
.LBB771_107:
	s_or_b64 exec, exec, s[6:7]
	v_add_u32_e32 v6, 12, v35
	v_cmp_le_u32_e32 vcc, s16, v6
	v_lshrrev_b32_e32 v6, 24, v5
                                        ; implicit-def: $vgpr42
	s_and_saveexec_b64 s[4:5], vcc
	s_xor_b64 s[4:5], exec, s[4:5]
; %bb.108:
	s_movk_i32 s6, 0xff
	v_lshlrev_b16_e32 v6, 8, v6
	v_and_b32_sdwa v8, v5, s6 dst_sel:DWORD dst_unused:UNUSED_PAD src0_sel:WORD_1 src1_sel:DWORD
	v_mov_b32_e32 v7, 8
	v_or_b32_sdwa v42, v8, v6 dst_sel:WORD_1 dst_unused:UNUSED_PAD src0_sel:DWORD src1_sel:DWORD
	v_lshrrev_b32_sdwa v42, v7, v5 dst_sel:BYTE_1 dst_unused:UNUSED_PRESERVE src0_sel:DWORD src1_sel:DWORD
                                        ; implicit-def: $vgpr6
                                        ; implicit-def: $vgpr5
; %bb.109:
	s_or_saveexec_b64 s[6:7], s[4:5]
	v_mov_b32_e32 v43, 0
	s_xor_b64 exec, exec, s[6:7]
	s_cbranch_execz .LBB771_113
; %bb.110:
	v_add_u32_e32 v7, s37, v34
	v_add_u32_e32 v8, s39, v34
	v_mul_lo_u32 v7, v7, s36
	v_mul_lo_u32 v8, v8, s38
	s_mov_b64 s[8:9], 0
	v_sub_u32_e32 v7, v7, v8
	v_cmp_lt_u32_e32 vcc, s40, v7
	v_cmp_ge_u32_e64 s[4:5], s40, v7
	s_and_saveexec_b64 s[10:11], s[4:5]
	s_cbranch_execz .LBB771_112
; %bb.111:
	v_add_u32_e32 v7, s42, v34
	v_add_u32_e32 v8, s56, v34
	v_mul_lo_u32 v7, v7, s41
	v_mul_lo_u32 v8, v8, s43
	v_sub_u32_e32 v7, v7, v8
	v_cmp_lt_u32_e64 s[4:5], s57, v7
	s_and_b64 s[8:9], s[4:5], exec
.LBB771_112:
	s_or_b64 exec, exec, s[10:11]
	s_movk_i32 s4, 0xff
	v_lshlrev_b16_e32 v6, 8, v6
	v_and_b32_sdwa v8, v5, s4 dst_sel:DWORD dst_unused:UNUSED_PAD src0_sel:WORD_1 src1_sel:DWORD
	v_or_b32_sdwa v6, v8, v6 dst_sel:WORD_1 dst_unused:UNUSED_PAD src0_sel:DWORD src1_sel:DWORD
	v_mov_b32_e32 v8, 8
	v_cndmask_b32_e64 v7, 0, 1, vcc
	v_lshrrev_b32_sdwa v5, v8, v5 dst_sel:BYTE_1 dst_unused:UNUSED_PAD src0_sel:DWORD src1_sel:DWORD
	v_or_b32_e32 v5, v7, v5
	v_cndmask_b32_e64 v43, 0, 1, s[8:9]
	v_or_b32_sdwa v42, v5, v6 dst_sel:DWORD dst_unused:UNUSED_PAD src0_sel:WORD_0 src1_sel:DWORD
.LBB771_113:
	s_or_b64 exec, exec, s[6:7]
.LBB771_114:
	v_and_b32_e32 v53, 0xff, v36
	v_bfe_u32 v50, v36, 8, 8
	v_bfe_u32 v55, v36, 16, 8
	v_lshrrev_b32_e32 v48, 24, v36
	v_and_b32_e32 v56, 0xff, v38
	v_add3_u32 v8, v50, v53, v55
	v_bfe_u32 v51, v38, 8, 8
	v_bfe_u32 v58, v38, 16, 8
	v_add3_u32 v8, v8, v48, v56
	v_bfe_u32 v54, v42, 8, 8
	v_bfe_u32 v62, v42, 16, 8
	v_lshrrev_b32_e32 v49, 24, v42
	v_lshrrev_b32_e32 v46, 24, v38
	v_and_b32_e32 v59, 0xff, v41
	v_add3_u32 v8, v8, v51, v58
	v_and_b32_e32 v63, 0xff, v37
	v_bfe_u32 v57, v37, 8, 8
	v_bfe_u32 v52, v41, 8, 8
	;; [unrolled: 1-line block ×3, first 2 shown]
	v_add3_u32 v7, v62, v54, v49
	v_add3_u32 v8, v8, v46, v59
	v_bfe_u32 v64, v37, 16, 8
	v_lshrrev_b32_e32 v47, 24, v37
	v_lshrrev_b32_e32 v44, 24, v41
	v_and_b32_e32 v5, 0xff, v42
	v_add3_u32 v7, v7, v63, v57
	v_add3_u32 v8, v8, v52, v61
	v_and_b32_e32 v65, 0xff, v39
	v_bfe_u32 v60, v39, 8, 8
	v_add3_u32 v7, v7, v64, v47
	v_add3_u32 v73, v8, v44, v5
	v_mbcnt_lo_u32_b32 v5, -1, 0
	v_bfe_u32 v66, v39, 16, 8
	v_lshrrev_b32_e32 v45, 24, v39
	v_add3_u32 v7, v7, v65, v60
	v_mbcnt_hi_u32_b32 v68, -1, v5
	v_and_b32_e32 v67, 0xff, v40
	v_and_b32_e32 v6, 0xff, v43
	v_add3_u32 v7, v7, v66, v45
	v_and_b32_e32 v72, 15, v68
	s_cmp_lg_u32 s33, 0
	v_add3_u32 v74, v7, v67, v6
	v_cmp_eq_u32_e64 s[6:7], 0, v72
	v_cmp_lt_u32_e64 s[4:5], 1, v72
	v_cmp_lt_u32_e64 s[10:11], 3, v72
	;; [unrolled: 1-line block ×3, first 2 shown]
	v_and_b32_e32 v71, 16, v68
	v_cmp_lt_u32_e32 vcc, 31, v68
	v_lshrrev_b32_e32 v69, 6, v0
	v_or_b32_e32 v70, 63, v0
	s_cbranch_scc0 .LBB771_136
; %bb.115:
	v_mov_b32_dpp v5, v73 row_shr:1 row_mask:0xf bank_mask:0xf
	v_mov_b32_dpp v6, v74 row_shr:1 row_mask:0xf bank_mask:0xf
	v_add_u32_e32 v5, v5, v73
	v_add_u32_e32 v6, v6, v74
	v_cndmask_b32_e64 v6, v6, v74, s[6:7]
	v_cndmask_b32_e64 v5, v5, v73, s[6:7]
	s_nop 0
	v_mov_b32_dpp v8, v6 row_shr:2 row_mask:0xf bank_mask:0xf
	v_mov_b32_dpp v7, v5 row_shr:2 row_mask:0xf bank_mask:0xf
	v_add_u32_e32 v7, v5, v7
	v_add_u32_e32 v8, v6, v8
	v_cndmask_b32_e64 v6, v6, v8, s[4:5]
	v_cndmask_b32_e64 v5, v5, v7, s[4:5]
	s_nop 0
	;; [unrolled: 7-line block ×3, first 2 shown]
	v_mov_b32_dpp v8, v6 row_shr:8 row_mask:0xf bank_mask:0xf
	v_mov_b32_dpp v7, v5 row_shr:8 row_mask:0xf bank_mask:0xf
	v_add_u32_e32 v7, v5, v7
	v_add_u32_e32 v8, v6, v8
	v_cndmask_b32_e64 v6, v6, v8, s[8:9]
	v_cndmask_b32_e64 v7, v5, v7, s[8:9]
	v_cmp_eq_u32_e64 s[8:9], 0, v71
	v_mov_b32_dpp v8, v6 row_bcast:15 row_mask:0xf bank_mask:0xf
	v_mov_b32_dpp v5, v7 row_bcast:15 row_mask:0xf bank_mask:0xf
	v_add_u32_e32 v9, v7, v5
	v_add_u32_e32 v5, v6, v8
	v_cndmask_b32_e64 v5, v5, v6, s[8:9]
	v_cndmask_b32_e64 v6, v9, v7, s[8:9]
	v_cmp_eq_u32_e64 s[8:9], v0, v70
	v_mov_b32_dpp v7, v5 row_bcast:31 row_mask:0xf bank_mask:0xf
	v_mov_b32_dpp v8, v6 row_bcast:31 row_mask:0xf bank_mask:0xf
	v_add_u32_e32 v7, v5, v7
	v_add_u32_e32 v8, v6, v8
	s_and_saveexec_b64 s[10:11], s[8:9]
; %bb.116:
	v_lshlrev_b32_e32 v11, 3, v69
	v_cndmask_b32_e32 v10, v5, v7, vcc
	v_cndmask_b32_e32 v9, v6, v8, vcc
	ds_write_b64 v11, v[9:10]
; %bb.117:
	s_or_b64 exec, exec, s[10:11]
	v_cmp_gt_u32_e64 s[8:9], 4, v0
	s_waitcnt lgkmcnt(0)
	s_barrier
	s_and_saveexec_b64 s[10:11], s[8:9]
	s_cbranch_execz .LBB771_119
; %bb.118:
	v_lshlrev_b32_e32 v11, 3, v0
	ds_read_b64 v[9:10], v11
	v_and_b32_e32 v12, 3, v68
	v_cmp_eq_u32_e64 s[8:9], 0, v12
	s_waitcnt lgkmcnt(0)
	v_mov_b32_dpp v25, v9 row_shr:1 row_mask:0xf bank_mask:0xf
	v_mov_b32_dpp v26, v10 row_shr:1 row_mask:0xf bank_mask:0xf
	v_add_u32_e32 v25, v25, v9
	v_add_u32_e32 v26, v26, v10
	v_cndmask_b32_e64 v10, v26, v10, s[8:9]
	v_cndmask_b32_e64 v9, v25, v9, s[8:9]
	v_cmp_lt_u32_e64 s[8:9], 1, v12
	v_mov_b32_dpp v26, v10 row_shr:2 row_mask:0xf bank_mask:0xf
	v_mov_b32_dpp v25, v9 row_shr:2 row_mask:0xf bank_mask:0xf
	v_cndmask_b32_e64 v12, 0, v25, s[8:9]
	v_cndmask_b32_e64 v25, 0, v26, s[8:9]
	v_add_u32_e32 v10, v25, v10
	v_add_u32_e32 v9, v12, v9
	ds_write_b64 v11, v[9:10]
.LBB771_119:
	s_or_b64 exec, exec, s[10:11]
	v_cndmask_b32_e32 v5, v5, v7, vcc
	v_cndmask_b32_e32 v6, v6, v8, vcc
	v_cmp_gt_u32_e32 vcc, 64, v0
	v_cmp_lt_u32_e64 s[8:9], 63, v0
	s_waitcnt lgkmcnt(0)
	s_barrier
                                        ; implicit-def: $vgpr25
	s_and_saveexec_b64 s[10:11], s[8:9]
	s_cbranch_execz .LBB771_121
; %bb.120:
	v_lshl_add_u32 v7, v69, 3, -8
	ds_read_b64 v[25:26], v7
	s_waitcnt lgkmcnt(0)
	v_add_u32_e32 v5, v26, v5
	v_add_u32_e32 v6, v25, v6
.LBB771_121:
	s_or_b64 exec, exec, s[10:11]
	v_subrev_co_u32_e64 v7, s[8:9], 1, v68
	v_and_b32_e32 v8, 64, v68
	v_cmp_lt_i32_e64 s[10:11], v7, v8
	v_cndmask_b32_e64 v7, v7, v68, s[10:11]
	v_lshlrev_b32_e32 v7, 2, v7
	ds_bpermute_b32 v75, v7, v6
	ds_bpermute_b32 v76, v7, v5
	s_and_saveexec_b64 s[10:11], vcc
	s_cbranch_execz .LBB771_141
; %bb.122:
	v_mov_b32_e32 v8, 0
	ds_read_b64 v[5:6], v8 offset:24
	s_and_saveexec_b64 s[12:13], s[8:9]
	s_cbranch_execz .LBB771_124
; %bb.123:
	s_add_i32 s14, s33, 64
	s_mov_b32 s15, 0
	s_lshl_b64 s[14:15], s[14:15], 4
	s_add_u32 s14, s54, s14
	s_addc_u32 s15, s55, s15
	v_mov_b32_e32 v9, s14
	v_mov_b32_e32 v7, 1
	;; [unrolled: 1-line block ×3, first 2 shown]
	s_waitcnt lgkmcnt(0)
	;;#ASMSTART
	global_store_dwordx4 v[9:10], v[5:8] off	
s_waitcnt vmcnt(0)
	;;#ASMEND
.LBB771_124:
	s_or_b64 exec, exec, s[12:13]
	v_xad_u32 v27, v68, -1, s33
	v_add_u32_e32 v7, 64, v27
	v_lshlrev_b64 v[9:10], 4, v[7:8]
	v_mov_b32_e32 v7, s55
	v_add_co_u32_e32 v28, vcc, s54, v9
	v_addc_co_u32_e32 v29, vcc, v7, v10, vcc
	;;#ASMSTART
	global_load_dwordx4 v[9:12], v[28:29] off glc	
s_waitcnt vmcnt(0)
	;;#ASMEND
	v_cmp_eq_u16_sdwa s[14:15], v11, v8 src0_sel:BYTE_0 src1_sel:DWORD
	s_and_saveexec_b64 s[12:13], s[14:15]
	s_cbranch_execz .LBB771_128
; %bb.125:
	s_mov_b64 s[14:15], 0
	v_mov_b32_e32 v7, 0
.LBB771_126:                            ; =>This Inner Loop Header: Depth=1
	;;#ASMSTART
	global_load_dwordx4 v[9:12], v[28:29] off glc	
s_waitcnt vmcnt(0)
	;;#ASMEND
	v_cmp_ne_u16_sdwa s[18:19], v11, v7 src0_sel:BYTE_0 src1_sel:DWORD
	s_or_b64 s[14:15], s[18:19], s[14:15]
	s_andn2_b64 exec, exec, s[14:15]
	s_cbranch_execnz .LBB771_126
; %bb.127:
	s_or_b64 exec, exec, s[14:15]
.LBB771_128:
	s_or_b64 exec, exec, s[12:13]
	v_and_b32_e32 v78, 63, v68
	v_cmp_ne_u32_e32 vcc, 63, v78
	v_mov_b32_e32 v77, 2
	v_lshlrev_b64 v[29:30], v68, -1
	v_addc_co_u32_e32 v12, vcc, 0, v68, vcc
	v_cmp_eq_u16_sdwa s[12:13], v11, v77 src0_sel:BYTE_0 src1_sel:DWORD
	v_lshlrev_b32_e32 v79, 2, v12
	v_and_b32_e32 v7, s13, v30
	ds_bpermute_b32 v12, v79, v9
	ds_bpermute_b32 v28, v79, v10
	v_or_b32_e32 v7, 0x80000000, v7
	v_and_b32_e32 v8, s12, v29
	v_ffbl_b32_e32 v7, v7
	v_add_u32_e32 v7, 32, v7
	v_ffbl_b32_e32 v8, v8
	v_min_u32_e32 v7, v8, v7
	s_waitcnt lgkmcnt(1)
	v_add_u32_e32 v8, v12, v9
	s_waitcnt lgkmcnt(0)
	v_add_u32_e32 v12, v28, v10
	v_cmp_lt_u32_e32 vcc, v78, v7
	v_cndmask_b32_e32 v10, v10, v12, vcc
	v_cndmask_b32_e32 v8, v9, v8, vcc
	v_cmp_gt_u32_e32 vcc, 62, v78
	v_cndmask_b32_e64 v9, 0, 2, vcc
	v_add_lshl_u32 v80, v9, v68, 2
	ds_bpermute_b32 v9, v80, v8
	ds_bpermute_b32 v12, v80, v10
	v_add_u32_e32 v81, 2, v78
	v_cmp_gt_u32_e32 vcc, v81, v7
	v_add_u32_e32 v83, 4, v78
	s_waitcnt lgkmcnt(1)
	v_add_u32_e32 v9, v8, v9
	s_waitcnt lgkmcnt(0)
	v_add_u32_e32 v12, v10, v12
	v_cndmask_b32_e32 v10, v12, v10, vcc
	v_cndmask_b32_e32 v8, v9, v8, vcc
	v_cmp_gt_u32_e32 vcc, 60, v78
	v_cndmask_b32_e64 v9, 0, 4, vcc
	v_add_lshl_u32 v82, v9, v68, 2
	ds_bpermute_b32 v9, v82, v8
	ds_bpermute_b32 v12, v82, v10
	v_cmp_gt_u32_e32 vcc, v83, v7
	v_add_u32_e32 v85, 8, v78
	v_add_u32_e32 v87, 16, v78
	s_waitcnt lgkmcnt(1)
	v_add_u32_e32 v9, v8, v9
	s_waitcnt lgkmcnt(0)
	v_add_u32_e32 v12, v10, v12
	v_cndmask_b32_e32 v10, v12, v10, vcc
	v_cndmask_b32_e32 v8, v9, v8, vcc
	v_cmp_gt_u32_e32 vcc, 56, v78
	v_cndmask_b32_e64 v9, 0, 8, vcc
	v_add_lshl_u32 v84, v9, v68, 2
	ds_bpermute_b32 v9, v84, v8
	ds_bpermute_b32 v12, v84, v10
	v_cmp_gt_u32_e32 vcc, v85, v7
	v_add_u32_e32 v89, 32, v78
	v_mov_b32_e32 v28, 0
	s_waitcnt lgkmcnt(1)
	v_add_u32_e32 v9, v8, v9
	s_waitcnt lgkmcnt(0)
	v_add_u32_e32 v12, v10, v12
	v_cndmask_b32_e32 v10, v12, v10, vcc
	v_cndmask_b32_e32 v8, v9, v8, vcc
	v_cmp_gt_u32_e32 vcc, 48, v78
	v_cndmask_b32_e64 v9, 0, 16, vcc
	v_add_lshl_u32 v86, v9, v68, 2
	ds_bpermute_b32 v9, v86, v8
	ds_bpermute_b32 v12, v86, v10
	v_cmp_gt_u32_e32 vcc, v87, v7
	s_waitcnt lgkmcnt(1)
	v_add_u32_e32 v9, v8, v9
	s_waitcnt lgkmcnt(0)
	v_add_u32_e32 v12, v10, v12
	v_cndmask_b32_e32 v8, v9, v8, vcc
	v_mov_b32_e32 v9, 0x80
	v_cndmask_b32_e32 v10, v12, v10, vcc
	v_lshl_or_b32 v88, v68, 2, v9
	ds_bpermute_b32 v9, v88, v8
	ds_bpermute_b32 v12, v88, v10
	v_cmp_le_u32_e32 vcc, v89, v7
	s_waitcnt lgkmcnt(1)
	v_cndmask_b32_e32 v7, 0, v9, vcc
	s_waitcnt lgkmcnt(0)
	v_cndmask_b32_e32 v9, 0, v12, vcc
	v_add_u32_e32 v10, v10, v9
	v_add_u32_e32 v9, v8, v7
	s_branch .LBB771_132
.LBB771_129:                            ;   in Loop: Header=BB771_132 Depth=1
	s_or_b64 exec, exec, s[14:15]
.LBB771_130:                            ;   in Loop: Header=BB771_132 Depth=1
	s_or_b64 exec, exec, s[12:13]
	v_cmp_eq_u16_sdwa s[12:13], v11, v77 src0_sel:BYTE_0 src1_sel:DWORD
	v_and_b32_e32 v12, s13, v30
	ds_bpermute_b32 v32, v79, v9
	ds_bpermute_b32 v90, v79, v10
	v_or_b32_e32 v12, 0x80000000, v12
	v_and_b32_e32 v31, s12, v29
	v_ffbl_b32_e32 v12, v12
	v_add_u32_e32 v12, 32, v12
	v_ffbl_b32_e32 v31, v31
	v_min_u32_e32 v12, v31, v12
	s_waitcnt lgkmcnt(1)
	v_add_u32_e32 v31, v32, v9
	s_waitcnt lgkmcnt(0)
	v_add_u32_e32 v32, v90, v10
	v_cmp_lt_u32_e32 vcc, v78, v12
	v_cndmask_b32_e32 v10, v10, v32, vcc
	v_cndmask_b32_e32 v9, v9, v31, vcc
	ds_bpermute_b32 v31, v80, v9
	ds_bpermute_b32 v32, v80, v10
	v_cmp_gt_u32_e32 vcc, v81, v12
	v_subrev_u32_e32 v27, 64, v27
	s_mov_b64 s[12:13], 0
	s_waitcnt lgkmcnt(1)
	v_add_u32_e32 v31, v9, v31
	s_waitcnt lgkmcnt(0)
	v_add_u32_e32 v32, v10, v32
	v_cndmask_b32_e32 v10, v32, v10, vcc
	v_cndmask_b32_e32 v9, v31, v9, vcc
	ds_bpermute_b32 v31, v82, v9
	ds_bpermute_b32 v32, v82, v10
	v_cmp_gt_u32_e32 vcc, v83, v12
	s_waitcnt lgkmcnt(1)
	v_add_u32_e32 v31, v9, v31
	s_waitcnt lgkmcnt(0)
	v_add_u32_e32 v32, v10, v32
	v_cndmask_b32_e32 v10, v32, v10, vcc
	v_cndmask_b32_e32 v9, v31, v9, vcc
	ds_bpermute_b32 v31, v84, v9
	ds_bpermute_b32 v32, v84, v10
	v_cmp_gt_u32_e32 vcc, v85, v12
	;; [unrolled: 9-line block ×3, first 2 shown]
	s_waitcnt lgkmcnt(1)
	v_add_u32_e32 v31, v9, v31
	s_waitcnt lgkmcnt(0)
	v_add_u32_e32 v32, v10, v32
	v_cndmask_b32_e32 v10, v32, v10, vcc
	v_cndmask_b32_e32 v9, v31, v9, vcc
	ds_bpermute_b32 v31, v88, v9
	ds_bpermute_b32 v32, v88, v10
	v_cmp_le_u32_e32 vcc, v89, v12
	s_waitcnt lgkmcnt(1)
	v_cndmask_b32_e32 v12, 0, v31, vcc
	s_waitcnt lgkmcnt(0)
	v_cndmask_b32_e32 v31, 0, v32, vcc
	v_add3_u32 v10, v31, v8, v10
	v_add3_u32 v9, v12, v7, v9
.LBB771_131:                            ;   in Loop: Header=BB771_132 Depth=1
	s_and_b64 vcc, exec, s[12:13]
	s_cbranch_vccnz .LBB771_137
.LBB771_132:                            ; =>This Loop Header: Depth=1
                                        ;     Child Loop BB771_135 Depth 2
	v_mov_b32_e32 v7, v9
	v_cmp_ne_u16_sdwa s[12:13], v11, v77 src0_sel:BYTE_0 src1_sel:DWORD
	v_mov_b32_e32 v8, v10
	s_cmp_lg_u64 s[12:13], exec
	s_mov_b64 s[12:13], -1
                                        ; implicit-def: $vgpr11
                                        ; implicit-def: $vgpr9_vgpr10
	s_cbranch_scc1 .LBB771_131
; %bb.133:                              ;   in Loop: Header=BB771_132 Depth=1
	v_lshlrev_b64 v[9:10], 4, v[27:28]
	v_mov_b32_e32 v11, s55
	v_add_co_u32_e32 v31, vcc, s54, v9
	v_addc_co_u32_e32 v32, vcc, v11, v10, vcc
	;;#ASMSTART
	global_load_dwordx4 v[9:12], v[31:32] off glc	
s_waitcnt vmcnt(0)
	;;#ASMEND
	v_cmp_eq_u16_sdwa s[14:15], v11, v28 src0_sel:BYTE_0 src1_sel:DWORD
	s_and_saveexec_b64 s[12:13], s[14:15]
	s_cbranch_execz .LBB771_130
; %bb.134:                              ;   in Loop: Header=BB771_132 Depth=1
	s_mov_b64 s[14:15], 0
.LBB771_135:                            ;   Parent Loop BB771_132 Depth=1
                                        ; =>  This Inner Loop Header: Depth=2
	;;#ASMSTART
	global_load_dwordx4 v[9:12], v[31:32] off glc	
s_waitcnt vmcnt(0)
	;;#ASMEND
	v_cmp_ne_u16_sdwa s[18:19], v11, v28 src0_sel:BYTE_0 src1_sel:DWORD
	s_or_b64 s[14:15], s[18:19], s[14:15]
	s_andn2_b64 exec, exec, s[14:15]
	s_cbranch_execnz .LBB771_135
	s_branch .LBB771_129
.LBB771_136:
                                        ; implicit-def: $vgpr12
                                        ; implicit-def: $vgpr7
                                        ; implicit-def: $vgpr25
	s_cbranch_execnz .LBB771_142
	s_branch .LBB771_151
.LBB771_137:
	s_and_saveexec_b64 s[12:13], s[8:9]
	s_cbranch_execnz .LBB771_379
; %bb.138:
	s_or_b64 exec, exec, s[12:13]
	s_and_saveexec_b64 s[12:13], s[8:9]
	s_cbranch_execnz .LBB771_380
.LBB771_139:
	s_or_b64 exec, exec, s[12:13]
	s_and_b64 exec, exec, s[0:1]
.LBB771_140:
	v_mov_b32_e32 v5, 0
	ds_write_b64 v5, v[7:8] offset:24
.LBB771_141:
	s_or_b64 exec, exec, s[10:11]
	v_mov_b32_e32 v5, 0
	s_waitcnt lgkmcnt(0)
	s_barrier
	ds_read_b64 v[9:10], v5 offset:24
	v_cndmask_b32_e64 v6, v75, v25, s[8:9]
	s_waitcnt lgkmcnt(0)
	s_barrier
	v_add_u32_e32 v25, v9, v6
	ds_read_b128 v[5:8], v5 offset:13312
	v_cndmask_b32_e64 v11, v76, v26, s[8:9]
	v_add_u32_e32 v11, v10, v11
	v_cndmask_b32_e64 v12, v11, v10, s[0:1]
	v_cndmask_b32_e64 v25, v25, v9, s[0:1]
	s_branch .LBB771_151
.LBB771_142:
	s_waitcnt lgkmcnt(0)
	v_mov_b32_dpp v5, v73 row_shr:1 row_mask:0xf bank_mask:0xf
	v_mov_b32_dpp v6, v74 row_shr:1 row_mask:0xf bank_mask:0xf
	v_add_u32_e32 v5, v5, v73
	v_add_u32_e32 v6, v6, v74
	v_cndmask_b32_e64 v6, v6, v74, s[6:7]
	v_cndmask_b32_e64 v5, v5, v73, s[6:7]
	v_cmp_lt_u32_e32 vcc, 3, v72
	v_mov_b32_dpp v8, v6 row_shr:2 row_mask:0xf bank_mask:0xf
	v_mov_b32_dpp v7, v5 row_shr:2 row_mask:0xf bank_mask:0xf
	v_add_u32_e32 v7, v5, v7
	v_add_u32_e32 v8, v6, v8
	v_cndmask_b32_e64 v6, v6, v8, s[4:5]
	v_cndmask_b32_e64 v5, v5, v7, s[4:5]
	v_cmp_eq_u32_e64 s[4:5], v0, v70
	v_mov_b32_dpp v8, v6 row_shr:4 row_mask:0xf bank_mask:0xf
	v_mov_b32_dpp v7, v5 row_shr:4 row_mask:0xf bank_mask:0xf
	v_add_u32_e32 v7, v5, v7
	v_add_u32_e32 v8, v6, v8
	v_cndmask_b32_e32 v6, v6, v8, vcc
	v_cndmask_b32_e32 v5, v5, v7, vcc
	v_cmp_lt_u32_e32 vcc, 7, v72
	v_mov_b32_dpp v8, v6 row_shr:8 row_mask:0xf bank_mask:0xf
	v_mov_b32_dpp v7, v5 row_shr:8 row_mask:0xf bank_mask:0xf
	v_add_u32_e32 v7, v5, v7
	v_add_u32_e32 v8, v6, v8
	v_cndmask_b32_e32 v6, v6, v8, vcc
	v_cndmask_b32_e32 v7, v5, v7, vcc
	v_cmp_eq_u32_e32 vcc, 0, v71
	v_mov_b32_dpp v8, v6 row_bcast:15 row_mask:0xf bank_mask:0xf
	v_mov_b32_dpp v5, v7 row_bcast:15 row_mask:0xf bank_mask:0xf
	v_add_u32_e32 v9, v7, v5
	v_add_u32_e32 v5, v6, v8
	v_cndmask_b32_e32 v5, v5, v6, vcc
	v_cndmask_b32_e32 v6, v9, v7, vcc
	v_cmp_lt_u32_e32 vcc, 31, v68
	v_mov_b32_dpp v7, v5 row_bcast:31 row_mask:0xf bank_mask:0xf
	v_mov_b32_dpp v8, v6 row_bcast:31 row_mask:0xf bank_mask:0xf
	v_add_u32_e32 v7, v5, v7
	v_add_u32_e32 v8, v6, v8
	s_and_saveexec_b64 s[6:7], s[4:5]
; %bb.143:
	v_cndmask_b32_e32 v9, v6, v8, vcc
	v_cndmask_b32_e32 v10, v5, v7, vcc
	v_lshlrev_b32_e32 v11, 3, v69
	ds_write_b64 v11, v[9:10]
; %bb.144:
	s_or_b64 exec, exec, s[6:7]
	v_cmp_gt_u32_e64 s[4:5], 4, v0
	s_waitcnt lgkmcnt(0)
	s_barrier
	s_and_saveexec_b64 s[6:7], s[4:5]
	s_cbranch_execz .LBB771_146
; %bb.145:
	v_lshlrev_b32_e32 v11, 3, v0
	ds_read_b64 v[9:10], v11
	v_and_b32_e32 v12, 3, v68
	v_cmp_eq_u32_e64 s[4:5], 0, v12
	s_waitcnt lgkmcnt(0)
	v_mov_b32_dpp v25, v9 row_shr:1 row_mask:0xf bank_mask:0xf
	v_mov_b32_dpp v26, v10 row_shr:1 row_mask:0xf bank_mask:0xf
	v_add_u32_e32 v25, v25, v9
	v_add_u32_e32 v26, v26, v10
	v_cndmask_b32_e64 v10, v26, v10, s[4:5]
	v_cndmask_b32_e64 v9, v25, v9, s[4:5]
	v_cmp_lt_u32_e64 s[4:5], 1, v12
	v_mov_b32_dpp v26, v10 row_shr:2 row_mask:0xf bank_mask:0xf
	v_mov_b32_dpp v25, v9 row_shr:2 row_mask:0xf bank_mask:0xf
	v_cndmask_b32_e64 v12, 0, v25, s[4:5]
	v_cndmask_b32_e64 v25, 0, v26, s[4:5]
	v_add_u32_e32 v10, v25, v10
	v_add_u32_e32 v9, v12, v9
	ds_write_b64 v11, v[9:10]
.LBB771_146:
	s_or_b64 exec, exec, s[6:7]
	v_cmp_lt_u32_e64 s[4:5], 63, v0
	v_mov_b32_e32 v11, 0
	v_mov_b32_e32 v9, 0
	;; [unrolled: 1-line block ×3, first 2 shown]
	s_waitcnt lgkmcnt(0)
	s_barrier
	s_and_saveexec_b64 s[6:7], s[4:5]
; %bb.147:
	v_lshl_add_u32 v9, v69, 3, -8
	ds_read_b64 v[9:10], v9
; %bb.148:
	s_or_b64 exec, exec, s[6:7]
	v_cndmask_b32_e32 v6, v6, v8, vcc
	v_cndmask_b32_e32 v5, v5, v7, vcc
	v_subrev_co_u32_e32 v7, vcc, 1, v68
	v_and_b32_e32 v8, 64, v68
	v_cmp_lt_i32_e64 s[4:5], v7, v8
	v_cndmask_b32_e64 v7, v7, v68, s[4:5]
	s_waitcnt lgkmcnt(0)
	v_add_u32_e32 v5, v10, v5
	v_add_u32_e32 v6, v9, v6
	v_lshlrev_b32_e32 v7, 2, v7
	ds_bpermute_b32 v12, v7, v6
	ds_bpermute_b32 v25, v7, v5
	ds_read_b64 v[5:6], v11 offset:24
	s_and_saveexec_b64 s[4:5], s[0:1]
	s_cbranch_execz .LBB771_150
; %bb.149:
	s_add_u32 s6, s54, 0x400
	s_addc_u32 s7, s55, 0
	v_mov_b32_e32 v27, s7
	v_mov_b32_e32 v7, 2
	;; [unrolled: 1-line block ×4, first 2 shown]
	s_waitcnt lgkmcnt(0)
	;;#ASMSTART
	global_store_dwordx4 v[26:27], v[5:8] off	
s_waitcnt vmcnt(0)
	;;#ASMEND
.LBB771_150:
	s_or_b64 exec, exec, s[4:5]
	s_waitcnt lgkmcnt(2)
	v_cndmask_b32_e32 v7, v12, v9, vcc
	s_waitcnt lgkmcnt(1)
	v_cndmask_b32_e32 v8, v25, v10, vcc
	v_cndmask_b32_e64 v12, v8, 0, s[0:1]
	v_cndmask_b32_e64 v25, v7, 0, s[0:1]
	v_mov_b32_e32 v8, 0
	v_mov_b32_e32 v7, 0
	s_waitcnt lgkmcnt(0)
	s_barrier
.LBB771_151:
	s_waitcnt lgkmcnt(0)
	v_add_co_u32_e32 v1, vcc, v1, v7
	v_addc_co_u32_e32 v2, vcc, 0, v2, vcc
	v_sub_co_u32_e32 v29, vcc, v3, v5
	v_add_u32_e32 v32, v12, v54
	v_subbrev_co_u32_e32 v30, vcc, 0, v4, vcc
	v_lshlrev_b32_e32 v72, 1, v5
	v_sub_u32_e32 v12, v12, v8
	v_lshrrev_b32_e32 v28, 8, v42
	v_add_u32_e32 v31, v25, v53
	v_add_co_u32_e32 v29, vcc, v29, v8
	v_add_u32_e32 v73, v72, v6
	v_sub_u32_e32 v25, v25, v7
	v_add_u32_e32 v12, v12, v5
	v_addc_co_u32_e32 v30, vcc, 0, v30, vcc
	v_add_u32_e32 v35, v73, v35
	v_and_b32_e32 v28, 1, v28
	v_add_u32_e32 v74, v25, v12
	v_and_b32_e32 v73, 1, v36
	v_sub_u32_e32 v74, v35, v74
	v_cmp_eq_u32_e32 vcc, 1, v28
	v_cndmask_b32_e32 v12, v74, v12, vcc
	v_cmp_eq_u32_e32 vcc, 1, v73
	v_cndmask_b32_e32 v12, v12, v25, vcc
	v_lshlrev_b32_e32 v12, 2, v12
	v_sub_u32_e32 v25, v32, v8
	v_lshrrev_b32_e32 v27, 8, v36
	ds_write_b32 v12, v23
	v_sub_u32_e32 v12, v31, v7
	v_add_u32_e32 v25, v25, v5
	v_add_u32_e32 v50, v31, v50
	v_and_b32_e32 v23, 1, v27
	v_mov_b32_e32 v27, 1
	v_add_u32_e32 v31, v25, v12
	v_and_b32_sdwa v28, v27, v42 dst_sel:DWORD dst_unused:UNUSED_PAD src0_sel:DWORD src1_sel:WORD_1
	v_sub_u32_e32 v31, v35, v31
	v_add_u32_e32 v31, 1, v31
	v_cmp_eq_u32_e32 vcc, 1, v28
	v_cndmask_b32_e32 v25, v31, v25, vcc
	v_cmp_eq_u32_e32 vcc, 1, v23
	v_cndmask_b32_e32 v12, v25, v12, vcc
	v_add_u32_e32 v53, v32, v62
	v_lshlrev_b32_e32 v12, 2, v12
	ds_write_b32 v12, v24
	v_sub_u32_e32 v24, v53, v8
	v_sub_u32_e32 v12, v50, v7
	v_add_u32_e32 v24, v24, v5
	v_add_u32_e32 v28, v24, v12
	v_and_b32_e32 v25, 1, v49
	v_sub_u32_e32 v28, v35, v28
	v_and_b32_sdwa v23, v27, v36 dst_sel:DWORD dst_unused:UNUSED_PAD src0_sel:DWORD src1_sel:WORD_1
	v_add_u32_e32 v28, 2, v28
	v_cmp_eq_u32_e32 vcc, 1, v25
	v_cndmask_b32_e32 v24, v28, v24, vcc
	v_cmp_eq_u32_e32 vcc, 1, v23
	v_add_u32_e32 v54, v50, v55
	v_add_u32_e32 v55, v53, v49
	v_cndmask_b32_e32 v12, v24, v12, vcc
	v_lshlrev_b32_e32 v12, 2, v12
	v_sub_u32_e32 v23, v55, v8
	ds_write_b32 v12, v21
	v_sub_u32_e32 v12, v54, v7
	v_add_u32_e32 v23, v23, v5
	v_add_u32_e32 v25, v12, v23
	v_and_b32_e32 v24, 1, v37
	v_sub_u32_e32 v25, v35, v25
	v_and_b32_e32 v21, 1, v48
	v_add_u32_e32 v25, 3, v25
	v_cmp_eq_u32_e32 vcc, 1, v24
	v_cndmask_b32_e32 v23, v25, v23, vcc
	v_cmp_eq_u32_e32 vcc, 1, v21
	v_cndmask_b32_e32 v12, v23, v12, vcc
	v_add_u32_e32 v62, v55, v63
	v_lshlrev_b32_e32 v12, 2, v12
	v_add_u32_e32 v63, v54, v48
	ds_write_b32 v12, v22
	v_sub_u32_e32 v22, v62, v8
	v_sub_u32_e32 v12, v63, v7
	v_add_u32_e32 v22, v22, v5
	v_lshrrev_b32_e32 v26, 8, v37
	v_add_u32_e32 v24, v12, v22
	v_and_b32_e32 v23, 1, v26
	v_sub_u32_e32 v24, v35, v24
	v_and_b32_e32 v21, 1, v38
	v_add_u32_e32 v24, 4, v24
	v_cmp_eq_u32_e32 vcc, 1, v23
	v_cndmask_b32_e32 v22, v24, v22, vcc
	v_cmp_eq_u32_e32 vcc, 1, v21
	v_cndmask_b32_e32 v12, v22, v12, vcc
	v_add_u32_e32 v57, v62, v57
	v_lshlrev_b32_e32 v12, 2, v12
	v_add_u32_e32 v56, v63, v56
	ds_write_b32 v12, v19
	v_sub_u32_e32 v19, v57, v8
	v_sub_u32_e32 v12, v56, v7
	v_add_u32_e32 v19, v19, v5
	v_add_u32_e32 v22, v12, v19
	v_lshrrev_b32_e32 v11, 8, v38
	v_and_b32_sdwa v21, v27, v37 dst_sel:DWORD dst_unused:UNUSED_PAD src0_sel:DWORD src1_sel:WORD_1
	v_sub_u32_e32 v22, v35, v22
	v_and_b32_e32 v11, 1, v11
	v_add_u32_e32 v22, 5, v22
	v_cmp_eq_u32_e32 vcc, 1, v21
	v_cndmask_b32_e32 v19, v22, v19, vcc
	v_cmp_eq_u32_e32 vcc, 1, v11
	v_add_u32_e32 v64, v57, v64
	v_cndmask_b32_e32 v11, v19, v12, vcc
	v_add_u32_e32 v51, v56, v51
	v_lshlrev_b32_e32 v11, 2, v11
	v_sub_u32_e32 v19, v64, v8
	ds_write_b32 v11, v20
	v_sub_u32_e32 v11, v51, v7
	v_add_u32_e32 v19, v19, v5
	v_add_u32_e32 v21, v11, v19
	v_and_b32_e32 v20, 1, v47
	v_sub_u32_e32 v21, v35, v21
	v_and_b32_sdwa v12, v27, v38 dst_sel:DWORD dst_unused:UNUSED_PAD src0_sel:DWORD src1_sel:WORD_1
	v_add_u32_e32 v21, 6, v21
	v_cmp_eq_u32_e32 vcc, 1, v20
	v_cndmask_b32_e32 v19, v21, v19, vcc
	v_cmp_eq_u32_e32 vcc, 1, v12
	v_cndmask_b32_e32 v11, v19, v11, vcc
	v_add_u32_e32 v68, v64, v47
	v_lshlrev_b32_e32 v11, 2, v11
	v_add_u32_e32 v58, v51, v58
	ds_write_b32 v11, v17
	v_sub_u32_e32 v17, v68, v8
	v_sub_u32_e32 v11, v58, v7
	v_add_u32_e32 v17, v17, v5
	v_add_u32_e32 v20, v11, v17
	v_and_b32_e32 v19, 1, v39
	v_sub_u32_e32 v20, v35, v20
	v_and_b32_e32 v12, 1, v46
	v_add_u32_e32 v20, 7, v20
	v_cmp_eq_u32_e32 vcc, 1, v19
	v_cndmask_b32_e32 v17, v20, v17, vcc
	v_cmp_eq_u32_e32 vcc, 1, v12
	v_add_u32_e32 v65, v68, v65
	v_cndmask_b32_e32 v11, v17, v11, vcc
	v_add_u32_e32 v69, v58, v46
	v_lshlrev_b32_e32 v11, 2, v11
	v_sub_u32_e32 v17, v65, v8
	ds_write_b32 v11, v18
	v_sub_u32_e32 v11, v69, v7
	v_add_u32_e32 v17, v17, v5
	v_lshrrev_b32_e32 v10, 8, v39
	v_add_u32_e32 v18, v11, v17
	v_and_b32_e32 v10, 1, v10
	v_sub_u32_e32 v18, v35, v18
	v_and_b32_e32 v12, 1, v41
	v_add_u32_e32 v18, 8, v18
	v_cmp_eq_u32_e32 vcc, 1, v10
	v_cndmask_b32_e32 v10, v18, v17, vcc
	v_cmp_eq_u32_e32 vcc, 1, v12
	v_add_u32_e32 v60, v65, v60
	v_cndmask_b32_e32 v10, v10, v11, vcc
	v_add_u32_e32 v59, v69, v59
	v_lshlrev_b32_e32 v10, 2, v10
	v_sub_u32_e32 v11, v60, v8
	ds_write_b32 v10, v15
	v_sub_u32_e32 v10, v59, v7
	v_add_u32_e32 v11, v11, v5
	v_add_u32_e32 v15, v10, v11
	v_lshrrev_b32_e32 v9, 8, v41
	v_and_b32_sdwa v12, v27, v39 dst_sel:DWORD dst_unused:UNUSED_PAD src0_sel:DWORD src1_sel:WORD_1
	v_sub_u32_e32 v15, v35, v15
	v_and_b32_e32 v9, 1, v9
	v_add_u32_e32 v15, 9, v15
	v_cmp_eq_u32_e32 vcc, 1, v12
	v_cndmask_b32_e32 v11, v15, v11, vcc
	v_cmp_eq_u32_e32 vcc, 1, v9
	v_add_u32_e32 v66, v60, v66
	v_cndmask_b32_e32 v9, v11, v10, vcc
	v_add_u32_e32 v52, v59, v52
	v_lshlrev_b32_e32 v9, 2, v9
	v_sub_u32_e32 v11, v66, v8
	ds_write_b32 v9, v16
	v_sub_u32_e32 v9, v52, v7
	v_add_u32_e32 v11, v11, v5
	v_add_u32_e32 v15, v9, v11
	v_and_b32_e32 v12, 1, v45
	v_sub_u32_e32 v15, v35, v15
	v_and_b32_sdwa v10, v27, v41 dst_sel:DWORD dst_unused:UNUSED_PAD src0_sel:DWORD src1_sel:WORD_1
	v_add_u32_e32 v15, 10, v15
	v_cmp_eq_u32_e32 vcc, 1, v12
	v_cndmask_b32_e32 v11, v15, v11, vcc
	v_cmp_eq_u32_e32 vcc, 1, v10
	v_add_u32_e32 v70, v66, v45
	v_cndmask_b32_e32 v9, v11, v9, vcc
	v_add_u32_e32 v61, v52, v61
	v_lshlrev_b32_e32 v9, 2, v9
	v_sub_u32_e32 v11, v70, v8
	ds_write_b32 v9, v13
	v_sub_u32_e32 v9, v61, v7
	v_add_u32_e32 v11, v11, v5
	v_add_u32_e32 v13, v9, v11
	v_and_b32_e32 v12, 1, v40
	v_sub_u32_e32 v13, v35, v13
	v_add_u32_e32 v67, v70, v67
	v_and_b32_e32 v10, 1, v44
	v_add_u32_e32 v13, 11, v13
	v_cmp_eq_u32_e32 vcc, 1, v12
	v_add_u32_e32 v71, v61, v44
	v_cndmask_b32_e32 v11, v13, v11, vcc
	v_cmp_eq_u32_e32 vcc, 1, v10
	v_sub_u32_e32 v10, v67, v8
	v_sub_u32_e32 v7, v71, v7
	v_add_u32_e32 v10, v10, v5
	v_cndmask_b32_e32 v9, v11, v9, vcc
	v_add_u32_e32 v12, v7, v10
	v_lshlrev_b32_e32 v9, 2, v9
	v_and_b32_e32 v11, 1, v43
	v_sub_u32_e32 v12, v35, v12
	ds_write_b32 v9, v14
	v_and_b32_e32 v9, 1, v42
	v_add_u32_e32 v12, 12, v12
	v_cmp_eq_u32_e32 vcc, 1, v11
	v_cndmask_b32_e32 v10, v12, v10, vcc
	v_cmp_eq_u32_e32 vcc, 1, v9
	v_cndmask_b32_e32 v7, v10, v7, vcc
	v_lshlrev_b32_e32 v7, 2, v7
	ds_write_b32 v7, v34
	v_mov_b32_e32 v7, s53
	v_add_co_u32_e32 v9, vcc, s52, v33
	v_addc_co_u32_e32 v10, vcc, 0, v7, vcc
	v_add_co_u32_e32 v7, vcc, v6, v72
	v_addc_co_u32_e64 v11, s[4:5], 0, 0, vcc
	v_add_co_u32_e32 v7, vcc, v7, v29
	v_addc_co_u32_e32 v11, vcc, v11, v30, vcc
	v_add_co_u32_e32 v7, vcc, v7, v1
	v_addc_co_u32_e32 v11, vcc, v11, v2, vcc
	v_sub_co_u32_e32 v7, vcc, v9, v7
	v_subb_co_u32_e32 v13, vcc, v10, v11, vcc
	v_lshlrev_b64 v[9:10], 2, v[29:30]
	v_mov_b32_e32 v11, s51
	v_add_co_u32_e32 v9, vcc, s50, v9
	v_addc_co_u32_e32 v10, vcc, v11, v10, vcc
	v_lshlrev_b64 v[11:12], 2, v[1:2]
	v_mov_b32_e32 v15, s49
	v_add_co_u32_e32 v11, vcc, s48, v11
	v_addc_co_u32_e32 v12, vcc, v15, v12, vcc
	v_add_u32_e32 v14, v5, v6
	s_and_b64 vcc, exec, s[2:3]
	s_mov_b64 s[2:3], -1
	s_waitcnt lgkmcnt(0)
	s_barrier
	s_cbranch_vccz .LBB771_155
; %bb.152:
	s_and_b64 vcc, exec, s[2:3]
	s_cbranch_vccnz .LBB771_260
.LBB771_153:
	s_and_b64 s[0:1], s[0:1], s[34:35]
	s_and_saveexec_b64 s[2:3], s[0:1]
	s_cbranch_execnz .LBB771_378
.LBB771_154:
	s_endpgm
.LBB771_155:
	v_cmp_ge_u32_e32 vcc, v0, v5
	s_and_saveexec_b64 s[2:3], vcc
	s_xor_b64 s[2:3], exec, s[2:3]
	s_cbranch_execz .LBB771_161
; %bb.156:
	v_cmp_ge_u32_e32 vcc, v0, v14
	s_and_saveexec_b64 s[4:5], vcc
	s_xor_b64 s[4:5], exec, s[4:5]
	s_cbranch_execz .LBB771_158
; %bb.157:
	v_add_co_u32_e32 v15, vcc, v7, v0
	v_lshlrev_b32_e32 v17, 2, v0
	v_addc_co_u32_e32 v16, vcc, 0, v13, vcc
	ds_read_b32 v17, v17
	v_lshlrev_b64 v[15:16], 2, v[15:16]
	v_mov_b32_e32 v18, s31
	v_sub_co_u32_e32 v15, vcc, s30, v15
	v_subb_co_u32_e32 v16, vcc, v18, v16, vcc
	s_waitcnt lgkmcnt(0)
	global_store_dword v[15:16], v17, off offset:-4
.LBB771_158:
	s_andn2_saveexec_b64 s[4:5], s[4:5]
	s_cbranch_execz .LBB771_160
; %bb.159:
	v_lshlrev_b32_e32 v15, 2, v0
	ds_read_b32 v16, v15
	v_readfirstlane_b32 s6, v9
	v_readfirstlane_b32 s7, v10
	s_waitcnt lgkmcnt(0)
	s_nop 3
	global_store_dword v15, v16, s[6:7]
.LBB771_160:
	s_or_b64 exec, exec, s[4:5]
.LBB771_161:
	s_andn2_saveexec_b64 s[2:3], s[2:3]
	s_cbranch_execz .LBB771_163
; %bb.162:
	v_lshlrev_b32_e32 v15, 2, v0
	ds_read_b32 v16, v15
	v_readfirstlane_b32 s4, v11
	v_readfirstlane_b32 s5, v12
	s_waitcnt lgkmcnt(0)
	s_nop 3
	global_store_dword v15, v16, s[4:5]
.LBB771_163:
	s_or_b64 exec, exec, s[2:3]
	v_or_b32_e32 v15, 0x100, v0
	v_cmp_ge_u32_e32 vcc, v15, v5
	s_and_saveexec_b64 s[2:3], vcc
	s_xor_b64 s[2:3], exec, s[2:3]
	s_cbranch_execz .LBB771_169
; %bb.164:
	v_cmp_ge_u32_e32 vcc, v15, v14
	s_and_saveexec_b64 s[4:5], vcc
	s_xor_b64 s[4:5], exec, s[4:5]
	s_cbranch_execz .LBB771_166
; %bb.165:
	v_lshlrev_b32_e32 v15, 2, v0
	ds_read_b32 v17, v15 offset:1024
	v_add_co_u32_e32 v15, vcc, v7, v0
	v_addc_co_u32_e32 v16, vcc, 0, v13, vcc
	v_lshlrev_b64 v[15:16], 2, v[15:16]
	v_mov_b32_e32 v18, s31
	v_sub_co_u32_e32 v15, vcc, s30, v15
	v_subb_co_u32_e32 v16, vcc, v18, v16, vcc
	s_waitcnt lgkmcnt(0)
	global_store_dword v[15:16], v17, off offset:-1028
.LBB771_166:
	s_andn2_saveexec_b64 s[4:5], s[4:5]
	s_cbranch_execz .LBB771_168
; %bb.167:
	v_lshlrev_b32_e32 v15, 2, v0
	ds_read_b32 v16, v15 offset:1024
	v_readfirstlane_b32 s6, v9
	v_readfirstlane_b32 s7, v10
	s_waitcnt lgkmcnt(0)
	s_nop 3
	global_store_dword v15, v16, s[6:7] offset:1024
.LBB771_168:
	s_or_b64 exec, exec, s[4:5]
.LBB771_169:
	s_andn2_saveexec_b64 s[2:3], s[2:3]
	s_cbranch_execz .LBB771_171
; %bb.170:
	v_lshlrev_b32_e32 v15, 2, v0
	ds_read_b32 v16, v15 offset:1024
	v_readfirstlane_b32 s4, v11
	v_readfirstlane_b32 s5, v12
	s_waitcnt lgkmcnt(0)
	s_nop 3
	global_store_dword v15, v16, s[4:5] offset:1024
.LBB771_171:
	s_or_b64 exec, exec, s[2:3]
	v_or_b32_e32 v15, 0x200, v0
	v_cmp_ge_u32_e32 vcc, v15, v5
	s_and_saveexec_b64 s[2:3], vcc
	s_xor_b64 s[2:3], exec, s[2:3]
	s_cbranch_execz .LBB771_177
; %bb.172:
	v_cmp_ge_u32_e32 vcc, v15, v14
	s_and_saveexec_b64 s[4:5], vcc
	s_xor_b64 s[4:5], exec, s[4:5]
	s_cbranch_execz .LBB771_174
; %bb.173:
	v_lshlrev_b32_e32 v15, 2, v0
	ds_read_b32 v17, v15 offset:2048
	v_add_co_u32_e32 v15, vcc, v7, v0
	v_addc_co_u32_e32 v16, vcc, 0, v13, vcc
	v_lshlrev_b64 v[15:16], 2, v[15:16]
	v_mov_b32_e32 v18, s31
	v_sub_co_u32_e32 v15, vcc, s30, v15
	v_subb_co_u32_e32 v16, vcc, v18, v16, vcc
	s_waitcnt lgkmcnt(0)
	global_store_dword v[15:16], v17, off offset:-2052
.LBB771_174:
	s_andn2_saveexec_b64 s[4:5], s[4:5]
	s_cbranch_execz .LBB771_176
; %bb.175:
	v_lshlrev_b32_e32 v15, 2, v0
	ds_read_b32 v16, v15 offset:2048
	v_readfirstlane_b32 s6, v9
	v_readfirstlane_b32 s7, v10
	s_waitcnt lgkmcnt(0)
	s_nop 3
	global_store_dword v15, v16, s[6:7] offset:2048
.LBB771_176:
	s_or_b64 exec, exec, s[4:5]
.LBB771_177:
	s_andn2_saveexec_b64 s[2:3], s[2:3]
	s_cbranch_execz .LBB771_179
; %bb.178:
	v_lshlrev_b32_e32 v15, 2, v0
	ds_read_b32 v16, v15 offset:2048
	v_readfirstlane_b32 s4, v11
	v_readfirstlane_b32 s5, v12
	s_waitcnt lgkmcnt(0)
	s_nop 3
	global_store_dword v15, v16, s[4:5] offset:2048
.LBB771_179:
	;; [unrolled: 47-line block ×3, first 2 shown]
	s_or_b64 exec, exec, s[2:3]
	v_or_b32_e32 v15, 0x400, v0
	v_cmp_ge_u32_e32 vcc, v15, v5
	s_and_saveexec_b64 s[2:3], vcc
	s_xor_b64 s[2:3], exec, s[2:3]
	s_cbranch_execz .LBB771_193
; %bb.188:
	v_cmp_ge_u32_e32 vcc, v15, v14
	s_and_saveexec_b64 s[4:5], vcc
	s_xor_b64 s[4:5], exec, s[4:5]
	s_cbranch_execz .LBB771_190
; %bb.189:
	v_lshlrev_b32_e32 v15, 2, v0
	ds_read_b32 v17, v15 offset:4096
	v_add_co_u32_e32 v15, vcc, v7, v0
	v_addc_co_u32_e32 v16, vcc, 0, v13, vcc
	v_lshlrev_b64 v[15:16], 2, v[15:16]
	v_mov_b32_e32 v18, s31
	v_sub_co_u32_e32 v15, vcc, s30, v15
	v_subb_co_u32_e32 v16, vcc, v18, v16, vcc
	v_add_co_u32_e32 v15, vcc, 0xfffff000, v15
	v_addc_co_u32_e32 v16, vcc, -1, v16, vcc
	s_waitcnt lgkmcnt(0)
	global_store_dword v[15:16], v17, off offset:-4
                                        ; implicit-def: $vgpr15
.LBB771_190:
	s_andn2_saveexec_b64 s[4:5], s[4:5]
	s_cbranch_execz .LBB771_192
; %bb.191:
	v_lshlrev_b32_e32 v16, 2, v0
	ds_read_b32 v16, v16 offset:4096
	v_lshlrev_b32_e32 v15, 2, v15
	v_readfirstlane_b32 s6, v9
	v_readfirstlane_b32 s7, v10
	s_waitcnt lgkmcnt(0)
	s_nop 3
	global_store_dword v15, v16, s[6:7]
.LBB771_192:
	s_or_b64 exec, exec, s[4:5]
                                        ; implicit-def: $vgpr15
.LBB771_193:
	s_andn2_saveexec_b64 s[2:3], s[2:3]
	s_cbranch_execz .LBB771_195
; %bb.194:
	v_lshlrev_b32_e32 v16, 2, v0
	ds_read_b32 v16, v16 offset:4096
	v_lshlrev_b32_e32 v15, 2, v15
	v_readfirstlane_b32 s4, v11
	v_readfirstlane_b32 s5, v12
	s_waitcnt lgkmcnt(0)
	s_nop 3
	global_store_dword v15, v16, s[4:5]
.LBB771_195:
	s_or_b64 exec, exec, s[2:3]
	v_or_b32_e32 v15, 0x500, v0
	v_cmp_ge_u32_e32 vcc, v15, v5
	s_and_saveexec_b64 s[2:3], vcc
	s_xor_b64 s[2:3], exec, s[2:3]
	s_cbranch_execz .LBB771_201
; %bb.196:
	v_cmp_ge_u32_e32 vcc, v15, v14
	s_and_saveexec_b64 s[4:5], vcc
	s_xor_b64 s[4:5], exec, s[4:5]
	s_cbranch_execz .LBB771_198
; %bb.197:
	v_add_co_u32_e32 v15, vcc, v7, v15
	v_lshlrev_b32_e32 v17, 2, v0
	v_addc_co_u32_e32 v16, vcc, 0, v13, vcc
	ds_read_b32 v17, v17 offset:5120
	v_lshlrev_b64 v[15:16], 2, v[15:16]
	v_mov_b32_e32 v18, s31
	v_sub_co_u32_e32 v15, vcc, s30, v15
	v_subb_co_u32_e32 v16, vcc, v18, v16, vcc
	s_waitcnt lgkmcnt(0)
	global_store_dword v[15:16], v17, off offset:-4
                                        ; implicit-def: $vgpr15
.LBB771_198:
	s_andn2_saveexec_b64 s[4:5], s[4:5]
	s_cbranch_execz .LBB771_200
; %bb.199:
	v_lshlrev_b32_e32 v16, 2, v0
	ds_read_b32 v16, v16 offset:5120
	v_lshlrev_b32_e32 v15, 2, v15
	v_readfirstlane_b32 s6, v9
	v_readfirstlane_b32 s7, v10
	s_waitcnt lgkmcnt(0)
	s_nop 3
	global_store_dword v15, v16, s[6:7]
.LBB771_200:
	s_or_b64 exec, exec, s[4:5]
                                        ; implicit-def: $vgpr15
.LBB771_201:
	s_andn2_saveexec_b64 s[2:3], s[2:3]
	s_cbranch_execz .LBB771_203
; %bb.202:
	v_lshlrev_b32_e32 v16, 2, v0
	ds_read_b32 v16, v16 offset:5120
	v_lshlrev_b32_e32 v15, 2, v15
	v_readfirstlane_b32 s4, v11
	v_readfirstlane_b32 s5, v12
	s_waitcnt lgkmcnt(0)
	s_nop 3
	global_store_dword v15, v16, s[4:5]
.LBB771_203:
	s_or_b64 exec, exec, s[2:3]
	v_or_b32_e32 v15, 0x600, v0
	v_cmp_ge_u32_e32 vcc, v15, v5
	s_and_saveexec_b64 s[2:3], vcc
	s_xor_b64 s[2:3], exec, s[2:3]
	s_cbranch_execz .LBB771_209
; %bb.204:
	v_cmp_ge_u32_e32 vcc, v15, v14
	s_and_saveexec_b64 s[4:5], vcc
	s_xor_b64 s[4:5], exec, s[4:5]
	s_cbranch_execz .LBB771_206
; %bb.205:
	v_add_co_u32_e32 v15, vcc, v7, v15
	v_lshlrev_b32_e32 v17, 2, v0
	v_addc_co_u32_e32 v16, vcc, 0, v13, vcc
	ds_read_b32 v17, v17 offset:6144
	v_lshlrev_b64 v[15:16], 2, v[15:16]
	v_mov_b32_e32 v18, s31
	v_sub_co_u32_e32 v15, vcc, s30, v15
	v_subb_co_u32_e32 v16, vcc, v18, v16, vcc
	s_waitcnt lgkmcnt(0)
	global_store_dword v[15:16], v17, off offset:-4
                                        ; implicit-def: $vgpr15
.LBB771_206:
	s_andn2_saveexec_b64 s[4:5], s[4:5]
	s_cbranch_execz .LBB771_208
; %bb.207:
	v_lshlrev_b32_e32 v16, 2, v0
	ds_read_b32 v16, v16 offset:6144
	v_lshlrev_b32_e32 v15, 2, v15
	v_readfirstlane_b32 s6, v9
	v_readfirstlane_b32 s7, v10
	s_waitcnt lgkmcnt(0)
	s_nop 3
	global_store_dword v15, v16, s[6:7]
.LBB771_208:
	s_or_b64 exec, exec, s[4:5]
                                        ; implicit-def: $vgpr15
.LBB771_209:
	;; [unrolled: 51-line block ×8, first 2 shown]
	s_andn2_saveexec_b64 s[2:3], s[2:3]
	s_cbranch_execz .LBB771_259
; %bb.258:
	v_lshlrev_b32_e32 v16, 2, v0
	ds_read_b32 v16, v16 offset:12288
	v_lshlrev_b32_e32 v15, 2, v15
	v_readfirstlane_b32 s4, v11
	v_readfirstlane_b32 s5, v12
	s_waitcnt lgkmcnt(0)
	s_nop 3
	global_store_dword v15, v16, s[4:5]
.LBB771_259:
	s_or_b64 exec, exec, s[2:3]
	s_branch .LBB771_153
.LBB771_260:
	v_cmp_gt_u32_e32 vcc, s16, v0
	s_and_saveexec_b64 s[2:3], vcc
	s_cbranch_execz .LBB771_269
; %bb.261:
	v_cmp_ge_u32_e32 vcc, v0, v5
	s_and_saveexec_b64 s[4:5], vcc
	s_xor_b64 s[4:5], exec, s[4:5]
	s_cbranch_execz .LBB771_267
; %bb.262:
	v_cmp_ge_u32_e32 vcc, v0, v14
	s_and_saveexec_b64 s[6:7], vcc
	s_xor_b64 s[6:7], exec, s[6:7]
	s_cbranch_execz .LBB771_264
; %bb.263:
	v_add_co_u32_e32 v15, vcc, v7, v0
	v_lshlrev_b32_e32 v17, 2, v0
	v_addc_co_u32_e32 v16, vcc, 0, v13, vcc
	ds_read_b32 v17, v17
	v_lshlrev_b64 v[15:16], 2, v[15:16]
	v_mov_b32_e32 v18, s31
	v_sub_co_u32_e32 v15, vcc, s30, v15
	v_subb_co_u32_e32 v16, vcc, v18, v16, vcc
	s_waitcnt lgkmcnt(0)
	global_store_dword v[15:16], v17, off offset:-4
.LBB771_264:
	s_andn2_saveexec_b64 s[6:7], s[6:7]
	s_cbranch_execz .LBB771_266
; %bb.265:
	v_lshlrev_b32_e32 v15, 2, v0
	ds_read_b32 v16, v15
	v_readfirstlane_b32 s8, v9
	v_readfirstlane_b32 s9, v10
	s_waitcnt lgkmcnt(0)
	s_nop 3
	global_store_dword v15, v16, s[8:9]
.LBB771_266:
	s_or_b64 exec, exec, s[6:7]
.LBB771_267:
	s_andn2_saveexec_b64 s[4:5], s[4:5]
	s_cbranch_execz .LBB771_269
; %bb.268:
	v_lshlrev_b32_e32 v15, 2, v0
	ds_read_b32 v16, v15
	v_readfirstlane_b32 s4, v11
	v_readfirstlane_b32 s5, v12
	s_waitcnt lgkmcnt(0)
	s_nop 3
	global_store_dword v15, v16, s[4:5]
.LBB771_269:
	s_or_b64 exec, exec, s[2:3]
	v_or_b32_e32 v15, 0x100, v0
	v_cmp_gt_u32_e32 vcc, s16, v15
	s_and_saveexec_b64 s[2:3], vcc
	s_cbranch_execz .LBB771_278
; %bb.270:
	v_cmp_ge_u32_e32 vcc, v15, v5
	s_and_saveexec_b64 s[4:5], vcc
	s_xor_b64 s[4:5], exec, s[4:5]
	s_cbranch_execz .LBB771_276
; %bb.271:
	v_cmp_ge_u32_e32 vcc, v15, v14
	s_and_saveexec_b64 s[6:7], vcc
	s_xor_b64 s[6:7], exec, s[6:7]
	s_cbranch_execz .LBB771_273
; %bb.272:
	v_lshlrev_b32_e32 v15, 2, v0
	ds_read_b32 v17, v15 offset:1024
	v_add_co_u32_e32 v15, vcc, v7, v0
	v_addc_co_u32_e32 v16, vcc, 0, v13, vcc
	v_lshlrev_b64 v[15:16], 2, v[15:16]
	v_mov_b32_e32 v18, s31
	v_sub_co_u32_e32 v15, vcc, s30, v15
	v_subb_co_u32_e32 v16, vcc, v18, v16, vcc
	s_waitcnt lgkmcnt(0)
	global_store_dword v[15:16], v17, off offset:-1028
.LBB771_273:
	s_andn2_saveexec_b64 s[6:7], s[6:7]
	s_cbranch_execz .LBB771_275
; %bb.274:
	v_lshlrev_b32_e32 v15, 2, v0
	ds_read_b32 v16, v15 offset:1024
	v_readfirstlane_b32 s8, v9
	v_readfirstlane_b32 s9, v10
	s_waitcnt lgkmcnt(0)
	s_nop 3
	global_store_dword v15, v16, s[8:9] offset:1024
.LBB771_275:
	s_or_b64 exec, exec, s[6:7]
.LBB771_276:
	s_andn2_saveexec_b64 s[4:5], s[4:5]
	s_cbranch_execz .LBB771_278
; %bb.277:
	v_lshlrev_b32_e32 v15, 2, v0
	ds_read_b32 v16, v15 offset:1024
	v_readfirstlane_b32 s4, v11
	v_readfirstlane_b32 s5, v12
	s_waitcnt lgkmcnt(0)
	s_nop 3
	global_store_dword v15, v16, s[4:5] offset:1024
.LBB771_278:
	s_or_b64 exec, exec, s[2:3]
	v_or_b32_e32 v15, 0x200, v0
	v_cmp_gt_u32_e32 vcc, s16, v15
	s_and_saveexec_b64 s[2:3], vcc
	s_cbranch_execz .LBB771_287
; %bb.279:
	v_cmp_ge_u32_e32 vcc, v15, v5
	s_and_saveexec_b64 s[4:5], vcc
	s_xor_b64 s[4:5], exec, s[4:5]
	s_cbranch_execz .LBB771_285
; %bb.280:
	v_cmp_ge_u32_e32 vcc, v15, v14
	s_and_saveexec_b64 s[6:7], vcc
	s_xor_b64 s[6:7], exec, s[6:7]
	s_cbranch_execz .LBB771_282
; %bb.281:
	v_lshlrev_b32_e32 v15, 2, v0
	ds_read_b32 v17, v15 offset:2048
	v_add_co_u32_e32 v15, vcc, v7, v0
	v_addc_co_u32_e32 v16, vcc, 0, v13, vcc
	v_lshlrev_b64 v[15:16], 2, v[15:16]
	v_mov_b32_e32 v18, s31
	v_sub_co_u32_e32 v15, vcc, s30, v15
	v_subb_co_u32_e32 v16, vcc, v18, v16, vcc
	s_waitcnt lgkmcnt(0)
	global_store_dword v[15:16], v17, off offset:-2052
.LBB771_282:
	s_andn2_saveexec_b64 s[6:7], s[6:7]
	s_cbranch_execz .LBB771_284
; %bb.283:
	v_lshlrev_b32_e32 v15, 2, v0
	ds_read_b32 v16, v15 offset:2048
	v_readfirstlane_b32 s8, v9
	v_readfirstlane_b32 s9, v10
	s_waitcnt lgkmcnt(0)
	s_nop 3
	global_store_dword v15, v16, s[8:9] offset:2048
.LBB771_284:
	s_or_b64 exec, exec, s[6:7]
.LBB771_285:
	s_andn2_saveexec_b64 s[4:5], s[4:5]
	s_cbranch_execz .LBB771_287
; %bb.286:
	v_lshlrev_b32_e32 v15, 2, v0
	ds_read_b32 v16, v15 offset:2048
	v_readfirstlane_b32 s4, v11
	v_readfirstlane_b32 s5, v12
	s_waitcnt lgkmcnt(0)
	s_nop 3
	global_store_dword v15, v16, s[4:5] offset:2048
.LBB771_287:
	;; [unrolled: 51-line block ×3, first 2 shown]
	s_or_b64 exec, exec, s[2:3]
	v_or_b32_e32 v15, 0x400, v0
	v_cmp_gt_u32_e32 vcc, s16, v15
	s_and_saveexec_b64 s[2:3], vcc
	s_cbranch_execz .LBB771_305
; %bb.297:
	v_cmp_ge_u32_e32 vcc, v15, v5
	s_and_saveexec_b64 s[4:5], vcc
	s_xor_b64 s[4:5], exec, s[4:5]
	s_cbranch_execz .LBB771_303
; %bb.298:
	v_cmp_ge_u32_e32 vcc, v15, v14
	s_and_saveexec_b64 s[6:7], vcc
	s_xor_b64 s[6:7], exec, s[6:7]
	s_cbranch_execz .LBB771_300
; %bb.299:
	v_lshlrev_b32_e32 v15, 2, v0
	ds_read_b32 v17, v15 offset:4096
	v_add_co_u32_e32 v15, vcc, v7, v0
	v_addc_co_u32_e32 v16, vcc, 0, v13, vcc
	v_lshlrev_b64 v[15:16], 2, v[15:16]
	v_mov_b32_e32 v18, s31
	v_sub_co_u32_e32 v15, vcc, s30, v15
	v_subb_co_u32_e32 v16, vcc, v18, v16, vcc
	v_add_co_u32_e32 v15, vcc, 0xfffff000, v15
	v_addc_co_u32_e32 v16, vcc, -1, v16, vcc
	s_waitcnt lgkmcnt(0)
	global_store_dword v[15:16], v17, off offset:-4
                                        ; implicit-def: $vgpr15
.LBB771_300:
	s_andn2_saveexec_b64 s[6:7], s[6:7]
	s_cbranch_execz .LBB771_302
; %bb.301:
	v_lshlrev_b32_e32 v16, 2, v0
	ds_read_b32 v16, v16 offset:4096
	v_lshlrev_b32_e32 v15, 2, v15
	v_readfirstlane_b32 s8, v9
	v_readfirstlane_b32 s9, v10
	s_waitcnt lgkmcnt(0)
	s_nop 3
	global_store_dword v15, v16, s[8:9]
.LBB771_302:
	s_or_b64 exec, exec, s[6:7]
                                        ; implicit-def: $vgpr15
.LBB771_303:
	s_andn2_saveexec_b64 s[4:5], s[4:5]
	s_cbranch_execz .LBB771_305
; %bb.304:
	v_lshlrev_b32_e32 v16, 2, v0
	ds_read_b32 v16, v16 offset:4096
	v_lshlrev_b32_e32 v15, 2, v15
	v_readfirstlane_b32 s4, v11
	v_readfirstlane_b32 s5, v12
	s_waitcnt lgkmcnt(0)
	s_nop 3
	global_store_dword v15, v16, s[4:5]
.LBB771_305:
	s_or_b64 exec, exec, s[2:3]
	v_or_b32_e32 v15, 0x500, v0
	v_cmp_gt_u32_e32 vcc, s16, v15
	s_and_saveexec_b64 s[2:3], vcc
	s_cbranch_execz .LBB771_314
; %bb.306:
	v_cmp_ge_u32_e32 vcc, v15, v5
	s_and_saveexec_b64 s[4:5], vcc
	s_xor_b64 s[4:5], exec, s[4:5]
	s_cbranch_execz .LBB771_312
; %bb.307:
	v_cmp_ge_u32_e32 vcc, v15, v14
	s_and_saveexec_b64 s[6:7], vcc
	s_xor_b64 s[6:7], exec, s[6:7]
	s_cbranch_execz .LBB771_309
; %bb.308:
	v_add_co_u32_e32 v15, vcc, v7, v15
	v_lshlrev_b32_e32 v17, 2, v0
	v_addc_co_u32_e32 v16, vcc, 0, v13, vcc
	ds_read_b32 v17, v17 offset:5120
	v_lshlrev_b64 v[15:16], 2, v[15:16]
	v_mov_b32_e32 v18, s31
	v_sub_co_u32_e32 v15, vcc, s30, v15
	v_subb_co_u32_e32 v16, vcc, v18, v16, vcc
	s_waitcnt lgkmcnt(0)
	global_store_dword v[15:16], v17, off offset:-4
                                        ; implicit-def: $vgpr15
.LBB771_309:
	s_andn2_saveexec_b64 s[6:7], s[6:7]
	s_cbranch_execz .LBB771_311
; %bb.310:
	v_lshlrev_b32_e32 v16, 2, v0
	ds_read_b32 v16, v16 offset:5120
	v_lshlrev_b32_e32 v15, 2, v15
	v_readfirstlane_b32 s8, v9
	v_readfirstlane_b32 s9, v10
	s_waitcnt lgkmcnt(0)
	s_nop 3
	global_store_dword v15, v16, s[8:9]
.LBB771_311:
	s_or_b64 exec, exec, s[6:7]
                                        ; implicit-def: $vgpr15
.LBB771_312:
	s_andn2_saveexec_b64 s[4:5], s[4:5]
	s_cbranch_execz .LBB771_314
; %bb.313:
	v_lshlrev_b32_e32 v16, 2, v0
	ds_read_b32 v16, v16 offset:5120
	v_lshlrev_b32_e32 v15, 2, v15
	v_readfirstlane_b32 s4, v11
	v_readfirstlane_b32 s5, v12
	s_waitcnt lgkmcnt(0)
	s_nop 3
	global_store_dword v15, v16, s[4:5]
.LBB771_314:
	s_or_b64 exec, exec, s[2:3]
	v_or_b32_e32 v15, 0x600, v0
	v_cmp_gt_u32_e32 vcc, s16, v15
	s_and_saveexec_b64 s[2:3], vcc
	s_cbranch_execz .LBB771_323
; %bb.315:
	v_cmp_ge_u32_e32 vcc, v15, v5
	s_and_saveexec_b64 s[4:5], vcc
	s_xor_b64 s[4:5], exec, s[4:5]
	s_cbranch_execz .LBB771_321
; %bb.316:
	v_cmp_ge_u32_e32 vcc, v15, v14
	s_and_saveexec_b64 s[6:7], vcc
	s_xor_b64 s[6:7], exec, s[6:7]
	s_cbranch_execz .LBB771_318
; %bb.317:
	v_add_co_u32_e32 v15, vcc, v7, v15
	v_lshlrev_b32_e32 v17, 2, v0
	v_addc_co_u32_e32 v16, vcc, 0, v13, vcc
	ds_read_b32 v17, v17 offset:6144
	v_lshlrev_b64 v[15:16], 2, v[15:16]
	v_mov_b32_e32 v18, s31
	v_sub_co_u32_e32 v15, vcc, s30, v15
	v_subb_co_u32_e32 v16, vcc, v18, v16, vcc
	s_waitcnt lgkmcnt(0)
	global_store_dword v[15:16], v17, off offset:-4
                                        ; implicit-def: $vgpr15
.LBB771_318:
	s_andn2_saveexec_b64 s[6:7], s[6:7]
	s_cbranch_execz .LBB771_320
; %bb.319:
	v_lshlrev_b32_e32 v16, 2, v0
	ds_read_b32 v16, v16 offset:6144
	v_lshlrev_b32_e32 v15, 2, v15
	v_readfirstlane_b32 s8, v9
	v_readfirstlane_b32 s9, v10
	s_waitcnt lgkmcnt(0)
	s_nop 3
	global_store_dword v15, v16, s[8:9]
.LBB771_320:
	s_or_b64 exec, exec, s[6:7]
                                        ; implicit-def: $vgpr15
.LBB771_321:
	s_andn2_saveexec_b64 s[4:5], s[4:5]
	s_cbranch_execz .LBB771_323
; %bb.322:
	v_lshlrev_b32_e32 v16, 2, v0
	ds_read_b32 v16, v16 offset:6144
	v_lshlrev_b32_e32 v15, 2, v15
	v_readfirstlane_b32 s4, v11
	v_readfirstlane_b32 s5, v12
	s_waitcnt lgkmcnt(0)
	s_nop 3
	global_store_dword v15, v16, s[4:5]
.LBB771_323:
	s_or_b64 exec, exec, s[2:3]
	v_or_b32_e32 v15, 0x700, v0
	v_cmp_gt_u32_e32 vcc, s16, v15
	s_and_saveexec_b64 s[2:3], vcc
	s_cbranch_execz .LBB771_332
; %bb.324:
	v_cmp_ge_u32_e32 vcc, v15, v5
	s_and_saveexec_b64 s[4:5], vcc
	s_xor_b64 s[4:5], exec, s[4:5]
	s_cbranch_execz .LBB771_330
; %bb.325:
	v_cmp_ge_u32_e32 vcc, v15, v14
	s_and_saveexec_b64 s[6:7], vcc
	s_xor_b64 s[6:7], exec, s[6:7]
	s_cbranch_execz .LBB771_327
; %bb.326:
	v_add_co_u32_e32 v15, vcc, v7, v15
	v_lshlrev_b32_e32 v17, 2, v0
	v_addc_co_u32_e32 v16, vcc, 0, v13, vcc
	ds_read_b32 v17, v17 offset:7168
	v_lshlrev_b64 v[15:16], 2, v[15:16]
	v_mov_b32_e32 v18, s31
	v_sub_co_u32_e32 v15, vcc, s30, v15
	v_subb_co_u32_e32 v16, vcc, v18, v16, vcc
	s_waitcnt lgkmcnt(0)
	global_store_dword v[15:16], v17, off offset:-4
                                        ; implicit-def: $vgpr15
.LBB771_327:
	s_andn2_saveexec_b64 s[6:7], s[6:7]
	s_cbranch_execz .LBB771_329
; %bb.328:
	v_lshlrev_b32_e32 v16, 2, v0
	ds_read_b32 v16, v16 offset:7168
	v_lshlrev_b32_e32 v15, 2, v15
	v_readfirstlane_b32 s8, v9
	v_readfirstlane_b32 s9, v10
	s_waitcnt lgkmcnt(0)
	s_nop 3
	global_store_dword v15, v16, s[8:9]
.LBB771_329:
	s_or_b64 exec, exec, s[6:7]
                                        ; implicit-def: $vgpr15
.LBB771_330:
	s_andn2_saveexec_b64 s[4:5], s[4:5]
	s_cbranch_execz .LBB771_332
; %bb.331:
	v_lshlrev_b32_e32 v16, 2, v0
	ds_read_b32 v16, v16 offset:7168
	v_lshlrev_b32_e32 v15, 2, v15
	v_readfirstlane_b32 s4, v11
	v_readfirstlane_b32 s5, v12
	s_waitcnt lgkmcnt(0)
	s_nop 3
	global_store_dword v15, v16, s[4:5]
.LBB771_332:
	s_or_b64 exec, exec, s[2:3]
	v_or_b32_e32 v15, 0x800, v0
	v_cmp_gt_u32_e32 vcc, s16, v15
	s_and_saveexec_b64 s[2:3], vcc
	s_cbranch_execz .LBB771_341
; %bb.333:
	v_cmp_ge_u32_e32 vcc, v15, v5
	s_and_saveexec_b64 s[4:5], vcc
	s_xor_b64 s[4:5], exec, s[4:5]
	s_cbranch_execz .LBB771_339
; %bb.334:
	v_cmp_ge_u32_e32 vcc, v15, v14
	s_and_saveexec_b64 s[6:7], vcc
	s_xor_b64 s[6:7], exec, s[6:7]
	s_cbranch_execz .LBB771_336
; %bb.335:
	v_add_co_u32_e32 v15, vcc, v7, v15
	v_lshlrev_b32_e32 v17, 2, v0
	v_addc_co_u32_e32 v16, vcc, 0, v13, vcc
	ds_read_b32 v17, v17 offset:8192
	v_lshlrev_b64 v[15:16], 2, v[15:16]
	v_mov_b32_e32 v18, s31
	v_sub_co_u32_e32 v15, vcc, s30, v15
	v_subb_co_u32_e32 v16, vcc, v18, v16, vcc
	s_waitcnt lgkmcnt(0)
	global_store_dword v[15:16], v17, off offset:-4
                                        ; implicit-def: $vgpr15
.LBB771_336:
	s_andn2_saveexec_b64 s[6:7], s[6:7]
	s_cbranch_execz .LBB771_338
; %bb.337:
	v_lshlrev_b32_e32 v16, 2, v0
	ds_read_b32 v16, v16 offset:8192
	v_lshlrev_b32_e32 v15, 2, v15
	v_readfirstlane_b32 s8, v9
	v_readfirstlane_b32 s9, v10
	s_waitcnt lgkmcnt(0)
	s_nop 3
	global_store_dword v15, v16, s[8:9]
.LBB771_338:
	s_or_b64 exec, exec, s[6:7]
                                        ; implicit-def: $vgpr15
.LBB771_339:
	s_andn2_saveexec_b64 s[4:5], s[4:5]
	s_cbranch_execz .LBB771_341
; %bb.340:
	v_lshlrev_b32_e32 v16, 2, v0
	ds_read_b32 v16, v16 offset:8192
	v_lshlrev_b32_e32 v15, 2, v15
	v_readfirstlane_b32 s4, v11
	v_readfirstlane_b32 s5, v12
	s_waitcnt lgkmcnt(0)
	s_nop 3
	global_store_dword v15, v16, s[4:5]
.LBB771_341:
	s_or_b64 exec, exec, s[2:3]
	v_or_b32_e32 v15, 0x900, v0
	v_cmp_gt_u32_e32 vcc, s16, v15
	s_and_saveexec_b64 s[2:3], vcc
	s_cbranch_execz .LBB771_350
; %bb.342:
	v_cmp_ge_u32_e32 vcc, v15, v5
	s_and_saveexec_b64 s[4:5], vcc
	s_xor_b64 s[4:5], exec, s[4:5]
	s_cbranch_execz .LBB771_348
; %bb.343:
	v_cmp_ge_u32_e32 vcc, v15, v14
	s_and_saveexec_b64 s[6:7], vcc
	s_xor_b64 s[6:7], exec, s[6:7]
	s_cbranch_execz .LBB771_345
; %bb.344:
	v_add_co_u32_e32 v15, vcc, v7, v15
	v_lshlrev_b32_e32 v17, 2, v0
	v_addc_co_u32_e32 v16, vcc, 0, v13, vcc
	ds_read_b32 v17, v17 offset:9216
	v_lshlrev_b64 v[15:16], 2, v[15:16]
	v_mov_b32_e32 v18, s31
	v_sub_co_u32_e32 v15, vcc, s30, v15
	v_subb_co_u32_e32 v16, vcc, v18, v16, vcc
	s_waitcnt lgkmcnt(0)
	global_store_dword v[15:16], v17, off offset:-4
                                        ; implicit-def: $vgpr15
.LBB771_345:
	s_andn2_saveexec_b64 s[6:7], s[6:7]
	s_cbranch_execz .LBB771_347
; %bb.346:
	v_lshlrev_b32_e32 v16, 2, v0
	ds_read_b32 v16, v16 offset:9216
	v_lshlrev_b32_e32 v15, 2, v15
	v_readfirstlane_b32 s8, v9
	v_readfirstlane_b32 s9, v10
	s_waitcnt lgkmcnt(0)
	s_nop 3
	global_store_dword v15, v16, s[8:9]
.LBB771_347:
	s_or_b64 exec, exec, s[6:7]
                                        ; implicit-def: $vgpr15
.LBB771_348:
	s_andn2_saveexec_b64 s[4:5], s[4:5]
	s_cbranch_execz .LBB771_350
; %bb.349:
	v_lshlrev_b32_e32 v16, 2, v0
	ds_read_b32 v16, v16 offset:9216
	v_lshlrev_b32_e32 v15, 2, v15
	v_readfirstlane_b32 s4, v11
	v_readfirstlane_b32 s5, v12
	s_waitcnt lgkmcnt(0)
	s_nop 3
	global_store_dword v15, v16, s[4:5]
.LBB771_350:
	s_or_b64 exec, exec, s[2:3]
	v_or_b32_e32 v15, 0xa00, v0
	v_cmp_gt_u32_e32 vcc, s16, v15
	s_and_saveexec_b64 s[2:3], vcc
	s_cbranch_execz .LBB771_359
; %bb.351:
	v_cmp_ge_u32_e32 vcc, v15, v5
	s_and_saveexec_b64 s[4:5], vcc
	s_xor_b64 s[4:5], exec, s[4:5]
	s_cbranch_execz .LBB771_357
; %bb.352:
	v_cmp_ge_u32_e32 vcc, v15, v14
	s_and_saveexec_b64 s[6:7], vcc
	s_xor_b64 s[6:7], exec, s[6:7]
	s_cbranch_execz .LBB771_354
; %bb.353:
	v_add_co_u32_e32 v15, vcc, v7, v15
	v_lshlrev_b32_e32 v17, 2, v0
	v_addc_co_u32_e32 v16, vcc, 0, v13, vcc
	ds_read_b32 v17, v17 offset:10240
	v_lshlrev_b64 v[15:16], 2, v[15:16]
	v_mov_b32_e32 v18, s31
	v_sub_co_u32_e32 v15, vcc, s30, v15
	v_subb_co_u32_e32 v16, vcc, v18, v16, vcc
	s_waitcnt lgkmcnt(0)
	global_store_dword v[15:16], v17, off offset:-4
                                        ; implicit-def: $vgpr15
.LBB771_354:
	s_andn2_saveexec_b64 s[6:7], s[6:7]
	s_cbranch_execz .LBB771_356
; %bb.355:
	v_lshlrev_b32_e32 v16, 2, v0
	ds_read_b32 v16, v16 offset:10240
	v_lshlrev_b32_e32 v15, 2, v15
	v_readfirstlane_b32 s8, v9
	v_readfirstlane_b32 s9, v10
	s_waitcnt lgkmcnt(0)
	s_nop 3
	global_store_dword v15, v16, s[8:9]
.LBB771_356:
	s_or_b64 exec, exec, s[6:7]
                                        ; implicit-def: $vgpr15
.LBB771_357:
	s_andn2_saveexec_b64 s[4:5], s[4:5]
	s_cbranch_execz .LBB771_359
; %bb.358:
	v_lshlrev_b32_e32 v16, 2, v0
	ds_read_b32 v16, v16 offset:10240
	v_lshlrev_b32_e32 v15, 2, v15
	v_readfirstlane_b32 s4, v11
	v_readfirstlane_b32 s5, v12
	s_waitcnt lgkmcnt(0)
	s_nop 3
	global_store_dword v15, v16, s[4:5]
.LBB771_359:
	s_or_b64 exec, exec, s[2:3]
	v_or_b32_e32 v15, 0xb00, v0
	v_cmp_gt_u32_e32 vcc, s16, v15
	s_and_saveexec_b64 s[2:3], vcc
	s_cbranch_execz .LBB771_368
; %bb.360:
	v_cmp_ge_u32_e32 vcc, v15, v5
	s_and_saveexec_b64 s[4:5], vcc
	s_xor_b64 s[4:5], exec, s[4:5]
	s_cbranch_execz .LBB771_366
; %bb.361:
	v_cmp_ge_u32_e32 vcc, v15, v14
	s_and_saveexec_b64 s[6:7], vcc
	s_xor_b64 s[6:7], exec, s[6:7]
	s_cbranch_execz .LBB771_363
; %bb.362:
	v_add_co_u32_e32 v15, vcc, v7, v15
	v_lshlrev_b32_e32 v17, 2, v0
	v_addc_co_u32_e32 v16, vcc, 0, v13, vcc
	ds_read_b32 v17, v17 offset:11264
	v_lshlrev_b64 v[15:16], 2, v[15:16]
	v_mov_b32_e32 v18, s31
	v_sub_co_u32_e32 v15, vcc, s30, v15
	v_subb_co_u32_e32 v16, vcc, v18, v16, vcc
	s_waitcnt lgkmcnt(0)
	global_store_dword v[15:16], v17, off offset:-4
                                        ; implicit-def: $vgpr15
.LBB771_363:
	s_andn2_saveexec_b64 s[6:7], s[6:7]
	s_cbranch_execz .LBB771_365
; %bb.364:
	v_lshlrev_b32_e32 v16, 2, v0
	ds_read_b32 v16, v16 offset:11264
	v_lshlrev_b32_e32 v15, 2, v15
	v_readfirstlane_b32 s8, v9
	v_readfirstlane_b32 s9, v10
	s_waitcnt lgkmcnt(0)
	s_nop 3
	global_store_dword v15, v16, s[8:9]
.LBB771_365:
	s_or_b64 exec, exec, s[6:7]
                                        ; implicit-def: $vgpr15
.LBB771_366:
	s_andn2_saveexec_b64 s[4:5], s[4:5]
	s_cbranch_execz .LBB771_368
; %bb.367:
	v_lshlrev_b32_e32 v16, 2, v0
	ds_read_b32 v16, v16 offset:11264
	v_lshlrev_b32_e32 v15, 2, v15
	v_readfirstlane_b32 s4, v11
	v_readfirstlane_b32 s5, v12
	s_waitcnt lgkmcnt(0)
	s_nop 3
	global_store_dword v15, v16, s[4:5]
.LBB771_368:
	s_or_b64 exec, exec, s[2:3]
	v_or_b32_e32 v15, 0xc00, v0
	v_cmp_gt_u32_e32 vcc, s16, v15
	s_and_saveexec_b64 s[2:3], vcc
	s_cbranch_execz .LBB771_377
; %bb.369:
	v_cmp_ge_u32_e32 vcc, v15, v5
	s_and_saveexec_b64 s[4:5], vcc
	s_xor_b64 s[4:5], exec, s[4:5]
	s_cbranch_execz .LBB771_375
; %bb.370:
	v_cmp_ge_u32_e32 vcc, v15, v14
	s_and_saveexec_b64 s[6:7], vcc
	s_xor_b64 s[6:7], exec, s[6:7]
	s_cbranch_execz .LBB771_372
; %bb.371:
	v_add_co_u32_e32 v9, vcc, v7, v15
	v_lshlrev_b32_e32 v0, 2, v0
	v_addc_co_u32_e32 v10, vcc, 0, v13, vcc
	ds_read_b32 v0, v0 offset:12288
	v_lshlrev_b64 v[9:10], 2, v[9:10]
	v_mov_b32_e32 v7, s31
	v_sub_co_u32_e32 v9, vcc, s30, v9
	v_subb_co_u32_e32 v10, vcc, v7, v10, vcc
	s_waitcnt lgkmcnt(0)
	global_store_dword v[9:10], v0, off offset:-4
                                        ; implicit-def: $vgpr0
                                        ; implicit-def: $vgpr15
                                        ; implicit-def: $vgpr9_vgpr10
.LBB771_372:
	s_andn2_saveexec_b64 s[6:7], s[6:7]
	s_cbranch_execz .LBB771_374
; %bb.373:
	v_lshlrev_b32_e32 v0, 2, v0
	ds_read_b32 v0, v0 offset:12288
	v_lshlrev_b32_e32 v7, 2, v15
	v_readfirstlane_b32 s8, v9
	v_readfirstlane_b32 s9, v10
	s_waitcnt lgkmcnt(0)
	s_nop 3
	global_store_dword v7, v0, s[8:9]
.LBB771_374:
	s_or_b64 exec, exec, s[6:7]
                                        ; implicit-def: $vgpr0
                                        ; implicit-def: $vgpr15
                                        ; implicit-def: $vgpr11_vgpr12
.LBB771_375:
	s_andn2_saveexec_b64 s[4:5], s[4:5]
	s_cbranch_execz .LBB771_377
; %bb.376:
	v_lshlrev_b32_e32 v0, 2, v0
	ds_read_b32 v0, v0 offset:12288
	v_lshlrev_b32_e32 v7, 2, v15
	v_readfirstlane_b32 s4, v11
	v_readfirstlane_b32 s5, v12
	s_waitcnt lgkmcnt(0)
	s_nop 3
	global_store_dword v7, v0, s[4:5]
.LBB771_377:
	s_or_b64 exec, exec, s[2:3]
	s_and_b64 s[0:1], s[0:1], s[34:35]
	s_and_saveexec_b64 s[2:3], s[0:1]
	s_cbranch_execz .LBB771_154
.LBB771_378:
	v_add_co_u32_e32 v3, vcc, v3, v6
	v_addc_co_u32_e32 v4, vcc, 0, v4, vcc
	v_add_co_u32_e32 v3, vcc, v3, v8
	v_addc_co_u32_e32 v4, vcc, 0, v4, vcc
	v_add_co_u32_e32 v1, vcc, v1, v5
	v_mov_b32_e32 v0, 0
	v_addc_co_u32_e32 v2, vcc, 0, v2, vcc
	global_store_dwordx4 v0, v[1:4], s[44:45]
	s_endpgm
.LBB771_379:
	s_add_i32 s14, s33, 64
	s_mov_b32 s15, 0
	s_lshl_b64 s[14:15], s[14:15], 4
	s_add_u32 s14, s54, s14
	s_addc_u32 s15, s55, s15
	v_mov_b32_e32 v28, s15
	v_add_u32_e32 v10, v8, v6
	v_add_u32_e32 v9, v7, v5
	v_mov_b32_e32 v11, 2
	v_mov_b32_e32 v12, 0
	;; [unrolled: 1-line block ×3, first 2 shown]
	;;#ASMSTART
	global_store_dwordx4 v[27:28], v[9:12] off	
s_waitcnt vmcnt(0)
	;;#ASMEND
	s_or_b64 exec, exec, s[12:13]
	s_and_saveexec_b64 s[12:13], s[8:9]
	s_cbranch_execz .LBB771_139
.LBB771_380:
	v_mov_b32_e32 v9, 0
	ds_write_b128 v9, v[5:8] offset:13312
	s_or_b64 exec, exec, s[12:13]
	s_and_b64 exec, exec, s[0:1]
	s_cbranch_execnz .LBB771_140
	s_branch .LBB771_141
	.section	.rodata,"a",@progbits
	.p2align	6, 0x0
	.amdhsa_kernel _ZN7rocprim17ROCPRIM_400000_NS6detail17trampoline_kernelINS0_13select_configILj256ELj13ELNS0_17block_load_methodE3ELS4_3ELS4_3ELNS0_20block_scan_algorithmE0ELj4294967295EEENS1_25partition_config_selectorILNS1_17partition_subalgoE4EjNS0_10empty_typeEbEEZZNS1_14partition_implILS8_4ELb0ES6_15HIP_vector_typeIjLj2EENS0_17counting_iteratorIjlEEPS9_SG_NS0_5tupleIJPjSI_NS0_16reverse_iteratorISI_EEEEENSH_IJSG_SG_SG_EEES9_SI_JZNS1_25segmented_radix_sort_implINS0_14default_configELb0EPKlPlSQ_SR_N2at6native12_GLOBAL__N_18offset_tEEE10hipError_tPvRmT1_PNSt15iterator_traitsISZ_E10value_typeET2_T3_PNS10_IS15_E10value_typeET4_jRbjT5_S1B_jjP12ihipStream_tbEUljE_ZNSN_ISO_Lb0ESQ_SR_SQ_SR_SV_EESW_SX_SY_SZ_S13_S14_S15_S18_S19_jS1A_jS1B_S1B_jjS1D_bEUljE0_EEESW_SX_SY_S15_S19_S1B_T6_T7_T9_mT8_S1D_bDpT10_ENKUlT_T0_E_clISt17integral_constantIbLb0EES1Q_IbLb1EEEEDaS1M_S1N_EUlS1M_E_NS1_11comp_targetILNS1_3genE2ELNS1_11target_archE906ELNS1_3gpuE6ELNS1_3repE0EEENS1_30default_config_static_selectorELNS0_4arch9wavefront6targetE1EEEvSZ_
		.amdhsa_group_segment_fixed_size 13328
		.amdhsa_private_segment_fixed_size 0
		.amdhsa_kernarg_size 184
		.amdhsa_user_sgpr_count 6
		.amdhsa_user_sgpr_private_segment_buffer 1
		.amdhsa_user_sgpr_dispatch_ptr 0
		.amdhsa_user_sgpr_queue_ptr 0
		.amdhsa_user_sgpr_kernarg_segment_ptr 1
		.amdhsa_user_sgpr_dispatch_id 0
		.amdhsa_user_sgpr_flat_scratch_init 0
		.amdhsa_user_sgpr_private_segment_size 0
		.amdhsa_uses_dynamic_stack 0
		.amdhsa_system_sgpr_private_segment_wavefront_offset 0
		.amdhsa_system_sgpr_workgroup_id_x 1
		.amdhsa_system_sgpr_workgroup_id_y 0
		.amdhsa_system_sgpr_workgroup_id_z 0
		.amdhsa_system_sgpr_workgroup_info 0
		.amdhsa_system_vgpr_workitem_id 0
		.amdhsa_next_free_vgpr 91
		.amdhsa_next_free_sgpr 98
		.amdhsa_reserve_vcc 1
		.amdhsa_reserve_flat_scratch 0
		.amdhsa_float_round_mode_32 0
		.amdhsa_float_round_mode_16_64 0
		.amdhsa_float_denorm_mode_32 3
		.amdhsa_float_denorm_mode_16_64 3
		.amdhsa_dx10_clamp 1
		.amdhsa_ieee_mode 1
		.amdhsa_fp16_overflow 0
		.amdhsa_exception_fp_ieee_invalid_op 0
		.amdhsa_exception_fp_denorm_src 0
		.amdhsa_exception_fp_ieee_div_zero 0
		.amdhsa_exception_fp_ieee_overflow 0
		.amdhsa_exception_fp_ieee_underflow 0
		.amdhsa_exception_fp_ieee_inexact 0
		.amdhsa_exception_int_div_zero 0
	.end_amdhsa_kernel
	.section	.text._ZN7rocprim17ROCPRIM_400000_NS6detail17trampoline_kernelINS0_13select_configILj256ELj13ELNS0_17block_load_methodE3ELS4_3ELS4_3ELNS0_20block_scan_algorithmE0ELj4294967295EEENS1_25partition_config_selectorILNS1_17partition_subalgoE4EjNS0_10empty_typeEbEEZZNS1_14partition_implILS8_4ELb0ES6_15HIP_vector_typeIjLj2EENS0_17counting_iteratorIjlEEPS9_SG_NS0_5tupleIJPjSI_NS0_16reverse_iteratorISI_EEEEENSH_IJSG_SG_SG_EEES9_SI_JZNS1_25segmented_radix_sort_implINS0_14default_configELb0EPKlPlSQ_SR_N2at6native12_GLOBAL__N_18offset_tEEE10hipError_tPvRmT1_PNSt15iterator_traitsISZ_E10value_typeET2_T3_PNS10_IS15_E10value_typeET4_jRbjT5_S1B_jjP12ihipStream_tbEUljE_ZNSN_ISO_Lb0ESQ_SR_SQ_SR_SV_EESW_SX_SY_SZ_S13_S14_S15_S18_S19_jS1A_jS1B_S1B_jjS1D_bEUljE0_EEESW_SX_SY_S15_S19_S1B_T6_T7_T9_mT8_S1D_bDpT10_ENKUlT_T0_E_clISt17integral_constantIbLb0EES1Q_IbLb1EEEEDaS1M_S1N_EUlS1M_E_NS1_11comp_targetILNS1_3genE2ELNS1_11target_archE906ELNS1_3gpuE6ELNS1_3repE0EEENS1_30default_config_static_selectorELNS0_4arch9wavefront6targetE1EEEvSZ_,"axG",@progbits,_ZN7rocprim17ROCPRIM_400000_NS6detail17trampoline_kernelINS0_13select_configILj256ELj13ELNS0_17block_load_methodE3ELS4_3ELS4_3ELNS0_20block_scan_algorithmE0ELj4294967295EEENS1_25partition_config_selectorILNS1_17partition_subalgoE4EjNS0_10empty_typeEbEEZZNS1_14partition_implILS8_4ELb0ES6_15HIP_vector_typeIjLj2EENS0_17counting_iteratorIjlEEPS9_SG_NS0_5tupleIJPjSI_NS0_16reverse_iteratorISI_EEEEENSH_IJSG_SG_SG_EEES9_SI_JZNS1_25segmented_radix_sort_implINS0_14default_configELb0EPKlPlSQ_SR_N2at6native12_GLOBAL__N_18offset_tEEE10hipError_tPvRmT1_PNSt15iterator_traitsISZ_E10value_typeET2_T3_PNS10_IS15_E10value_typeET4_jRbjT5_S1B_jjP12ihipStream_tbEUljE_ZNSN_ISO_Lb0ESQ_SR_SQ_SR_SV_EESW_SX_SY_SZ_S13_S14_S15_S18_S19_jS1A_jS1B_S1B_jjS1D_bEUljE0_EEESW_SX_SY_S15_S19_S1B_T6_T7_T9_mT8_S1D_bDpT10_ENKUlT_T0_E_clISt17integral_constantIbLb0EES1Q_IbLb1EEEEDaS1M_S1N_EUlS1M_E_NS1_11comp_targetILNS1_3genE2ELNS1_11target_archE906ELNS1_3gpuE6ELNS1_3repE0EEENS1_30default_config_static_selectorELNS0_4arch9wavefront6targetE1EEEvSZ_,comdat
.Lfunc_end771:
	.size	_ZN7rocprim17ROCPRIM_400000_NS6detail17trampoline_kernelINS0_13select_configILj256ELj13ELNS0_17block_load_methodE3ELS4_3ELS4_3ELNS0_20block_scan_algorithmE0ELj4294967295EEENS1_25partition_config_selectorILNS1_17partition_subalgoE4EjNS0_10empty_typeEbEEZZNS1_14partition_implILS8_4ELb0ES6_15HIP_vector_typeIjLj2EENS0_17counting_iteratorIjlEEPS9_SG_NS0_5tupleIJPjSI_NS0_16reverse_iteratorISI_EEEEENSH_IJSG_SG_SG_EEES9_SI_JZNS1_25segmented_radix_sort_implINS0_14default_configELb0EPKlPlSQ_SR_N2at6native12_GLOBAL__N_18offset_tEEE10hipError_tPvRmT1_PNSt15iterator_traitsISZ_E10value_typeET2_T3_PNS10_IS15_E10value_typeET4_jRbjT5_S1B_jjP12ihipStream_tbEUljE_ZNSN_ISO_Lb0ESQ_SR_SQ_SR_SV_EESW_SX_SY_SZ_S13_S14_S15_S18_S19_jS1A_jS1B_S1B_jjS1D_bEUljE0_EEESW_SX_SY_S15_S19_S1B_T6_T7_T9_mT8_S1D_bDpT10_ENKUlT_T0_E_clISt17integral_constantIbLb0EES1Q_IbLb1EEEEDaS1M_S1N_EUlS1M_E_NS1_11comp_targetILNS1_3genE2ELNS1_11target_archE906ELNS1_3gpuE6ELNS1_3repE0EEENS1_30default_config_static_selectorELNS0_4arch9wavefront6targetE1EEEvSZ_, .Lfunc_end771-_ZN7rocprim17ROCPRIM_400000_NS6detail17trampoline_kernelINS0_13select_configILj256ELj13ELNS0_17block_load_methodE3ELS4_3ELS4_3ELNS0_20block_scan_algorithmE0ELj4294967295EEENS1_25partition_config_selectorILNS1_17partition_subalgoE4EjNS0_10empty_typeEbEEZZNS1_14partition_implILS8_4ELb0ES6_15HIP_vector_typeIjLj2EENS0_17counting_iteratorIjlEEPS9_SG_NS0_5tupleIJPjSI_NS0_16reverse_iteratorISI_EEEEENSH_IJSG_SG_SG_EEES9_SI_JZNS1_25segmented_radix_sort_implINS0_14default_configELb0EPKlPlSQ_SR_N2at6native12_GLOBAL__N_18offset_tEEE10hipError_tPvRmT1_PNSt15iterator_traitsISZ_E10value_typeET2_T3_PNS10_IS15_E10value_typeET4_jRbjT5_S1B_jjP12ihipStream_tbEUljE_ZNSN_ISO_Lb0ESQ_SR_SQ_SR_SV_EESW_SX_SY_SZ_S13_S14_S15_S18_S19_jS1A_jS1B_S1B_jjS1D_bEUljE0_EEESW_SX_SY_S15_S19_S1B_T6_T7_T9_mT8_S1D_bDpT10_ENKUlT_T0_E_clISt17integral_constantIbLb0EES1Q_IbLb1EEEEDaS1M_S1N_EUlS1M_E_NS1_11comp_targetILNS1_3genE2ELNS1_11target_archE906ELNS1_3gpuE6ELNS1_3repE0EEENS1_30default_config_static_selectorELNS0_4arch9wavefront6targetE1EEEvSZ_
                                        ; -- End function
	.set _ZN7rocprim17ROCPRIM_400000_NS6detail17trampoline_kernelINS0_13select_configILj256ELj13ELNS0_17block_load_methodE3ELS4_3ELS4_3ELNS0_20block_scan_algorithmE0ELj4294967295EEENS1_25partition_config_selectorILNS1_17partition_subalgoE4EjNS0_10empty_typeEbEEZZNS1_14partition_implILS8_4ELb0ES6_15HIP_vector_typeIjLj2EENS0_17counting_iteratorIjlEEPS9_SG_NS0_5tupleIJPjSI_NS0_16reverse_iteratorISI_EEEEENSH_IJSG_SG_SG_EEES9_SI_JZNS1_25segmented_radix_sort_implINS0_14default_configELb0EPKlPlSQ_SR_N2at6native12_GLOBAL__N_18offset_tEEE10hipError_tPvRmT1_PNSt15iterator_traitsISZ_E10value_typeET2_T3_PNS10_IS15_E10value_typeET4_jRbjT5_S1B_jjP12ihipStream_tbEUljE_ZNSN_ISO_Lb0ESQ_SR_SQ_SR_SV_EESW_SX_SY_SZ_S13_S14_S15_S18_S19_jS1A_jS1B_S1B_jjS1D_bEUljE0_EEESW_SX_SY_S15_S19_S1B_T6_T7_T9_mT8_S1D_bDpT10_ENKUlT_T0_E_clISt17integral_constantIbLb0EES1Q_IbLb1EEEEDaS1M_S1N_EUlS1M_E_NS1_11comp_targetILNS1_3genE2ELNS1_11target_archE906ELNS1_3gpuE6ELNS1_3repE0EEENS1_30default_config_static_selectorELNS0_4arch9wavefront6targetE1EEEvSZ_.num_vgpr, 91
	.set _ZN7rocprim17ROCPRIM_400000_NS6detail17trampoline_kernelINS0_13select_configILj256ELj13ELNS0_17block_load_methodE3ELS4_3ELS4_3ELNS0_20block_scan_algorithmE0ELj4294967295EEENS1_25partition_config_selectorILNS1_17partition_subalgoE4EjNS0_10empty_typeEbEEZZNS1_14partition_implILS8_4ELb0ES6_15HIP_vector_typeIjLj2EENS0_17counting_iteratorIjlEEPS9_SG_NS0_5tupleIJPjSI_NS0_16reverse_iteratorISI_EEEEENSH_IJSG_SG_SG_EEES9_SI_JZNS1_25segmented_radix_sort_implINS0_14default_configELb0EPKlPlSQ_SR_N2at6native12_GLOBAL__N_18offset_tEEE10hipError_tPvRmT1_PNSt15iterator_traitsISZ_E10value_typeET2_T3_PNS10_IS15_E10value_typeET4_jRbjT5_S1B_jjP12ihipStream_tbEUljE_ZNSN_ISO_Lb0ESQ_SR_SQ_SR_SV_EESW_SX_SY_SZ_S13_S14_S15_S18_S19_jS1A_jS1B_S1B_jjS1D_bEUljE0_EEESW_SX_SY_S15_S19_S1B_T6_T7_T9_mT8_S1D_bDpT10_ENKUlT_T0_E_clISt17integral_constantIbLb0EES1Q_IbLb1EEEEDaS1M_S1N_EUlS1M_E_NS1_11comp_targetILNS1_3genE2ELNS1_11target_archE906ELNS1_3gpuE6ELNS1_3repE0EEENS1_30default_config_static_selectorELNS0_4arch9wavefront6targetE1EEEvSZ_.num_agpr, 0
	.set _ZN7rocprim17ROCPRIM_400000_NS6detail17trampoline_kernelINS0_13select_configILj256ELj13ELNS0_17block_load_methodE3ELS4_3ELS4_3ELNS0_20block_scan_algorithmE0ELj4294967295EEENS1_25partition_config_selectorILNS1_17partition_subalgoE4EjNS0_10empty_typeEbEEZZNS1_14partition_implILS8_4ELb0ES6_15HIP_vector_typeIjLj2EENS0_17counting_iteratorIjlEEPS9_SG_NS0_5tupleIJPjSI_NS0_16reverse_iteratorISI_EEEEENSH_IJSG_SG_SG_EEES9_SI_JZNS1_25segmented_radix_sort_implINS0_14default_configELb0EPKlPlSQ_SR_N2at6native12_GLOBAL__N_18offset_tEEE10hipError_tPvRmT1_PNSt15iterator_traitsISZ_E10value_typeET2_T3_PNS10_IS15_E10value_typeET4_jRbjT5_S1B_jjP12ihipStream_tbEUljE_ZNSN_ISO_Lb0ESQ_SR_SQ_SR_SV_EESW_SX_SY_SZ_S13_S14_S15_S18_S19_jS1A_jS1B_S1B_jjS1D_bEUljE0_EEESW_SX_SY_S15_S19_S1B_T6_T7_T9_mT8_S1D_bDpT10_ENKUlT_T0_E_clISt17integral_constantIbLb0EES1Q_IbLb1EEEEDaS1M_S1N_EUlS1M_E_NS1_11comp_targetILNS1_3genE2ELNS1_11target_archE906ELNS1_3gpuE6ELNS1_3repE0EEENS1_30default_config_static_selectorELNS0_4arch9wavefront6targetE1EEEvSZ_.numbered_sgpr, 87
	.set _ZN7rocprim17ROCPRIM_400000_NS6detail17trampoline_kernelINS0_13select_configILj256ELj13ELNS0_17block_load_methodE3ELS4_3ELS4_3ELNS0_20block_scan_algorithmE0ELj4294967295EEENS1_25partition_config_selectorILNS1_17partition_subalgoE4EjNS0_10empty_typeEbEEZZNS1_14partition_implILS8_4ELb0ES6_15HIP_vector_typeIjLj2EENS0_17counting_iteratorIjlEEPS9_SG_NS0_5tupleIJPjSI_NS0_16reverse_iteratorISI_EEEEENSH_IJSG_SG_SG_EEES9_SI_JZNS1_25segmented_radix_sort_implINS0_14default_configELb0EPKlPlSQ_SR_N2at6native12_GLOBAL__N_18offset_tEEE10hipError_tPvRmT1_PNSt15iterator_traitsISZ_E10value_typeET2_T3_PNS10_IS15_E10value_typeET4_jRbjT5_S1B_jjP12ihipStream_tbEUljE_ZNSN_ISO_Lb0ESQ_SR_SQ_SR_SV_EESW_SX_SY_SZ_S13_S14_S15_S18_S19_jS1A_jS1B_S1B_jjS1D_bEUljE0_EEESW_SX_SY_S15_S19_S1B_T6_T7_T9_mT8_S1D_bDpT10_ENKUlT_T0_E_clISt17integral_constantIbLb0EES1Q_IbLb1EEEEDaS1M_S1N_EUlS1M_E_NS1_11comp_targetILNS1_3genE2ELNS1_11target_archE906ELNS1_3gpuE6ELNS1_3repE0EEENS1_30default_config_static_selectorELNS0_4arch9wavefront6targetE1EEEvSZ_.num_named_barrier, 0
	.set _ZN7rocprim17ROCPRIM_400000_NS6detail17trampoline_kernelINS0_13select_configILj256ELj13ELNS0_17block_load_methodE3ELS4_3ELS4_3ELNS0_20block_scan_algorithmE0ELj4294967295EEENS1_25partition_config_selectorILNS1_17partition_subalgoE4EjNS0_10empty_typeEbEEZZNS1_14partition_implILS8_4ELb0ES6_15HIP_vector_typeIjLj2EENS0_17counting_iteratorIjlEEPS9_SG_NS0_5tupleIJPjSI_NS0_16reverse_iteratorISI_EEEEENSH_IJSG_SG_SG_EEES9_SI_JZNS1_25segmented_radix_sort_implINS0_14default_configELb0EPKlPlSQ_SR_N2at6native12_GLOBAL__N_18offset_tEEE10hipError_tPvRmT1_PNSt15iterator_traitsISZ_E10value_typeET2_T3_PNS10_IS15_E10value_typeET4_jRbjT5_S1B_jjP12ihipStream_tbEUljE_ZNSN_ISO_Lb0ESQ_SR_SQ_SR_SV_EESW_SX_SY_SZ_S13_S14_S15_S18_S19_jS1A_jS1B_S1B_jjS1D_bEUljE0_EEESW_SX_SY_S15_S19_S1B_T6_T7_T9_mT8_S1D_bDpT10_ENKUlT_T0_E_clISt17integral_constantIbLb0EES1Q_IbLb1EEEEDaS1M_S1N_EUlS1M_E_NS1_11comp_targetILNS1_3genE2ELNS1_11target_archE906ELNS1_3gpuE6ELNS1_3repE0EEENS1_30default_config_static_selectorELNS0_4arch9wavefront6targetE1EEEvSZ_.private_seg_size, 0
	.set _ZN7rocprim17ROCPRIM_400000_NS6detail17trampoline_kernelINS0_13select_configILj256ELj13ELNS0_17block_load_methodE3ELS4_3ELS4_3ELNS0_20block_scan_algorithmE0ELj4294967295EEENS1_25partition_config_selectorILNS1_17partition_subalgoE4EjNS0_10empty_typeEbEEZZNS1_14partition_implILS8_4ELb0ES6_15HIP_vector_typeIjLj2EENS0_17counting_iteratorIjlEEPS9_SG_NS0_5tupleIJPjSI_NS0_16reverse_iteratorISI_EEEEENSH_IJSG_SG_SG_EEES9_SI_JZNS1_25segmented_radix_sort_implINS0_14default_configELb0EPKlPlSQ_SR_N2at6native12_GLOBAL__N_18offset_tEEE10hipError_tPvRmT1_PNSt15iterator_traitsISZ_E10value_typeET2_T3_PNS10_IS15_E10value_typeET4_jRbjT5_S1B_jjP12ihipStream_tbEUljE_ZNSN_ISO_Lb0ESQ_SR_SQ_SR_SV_EESW_SX_SY_SZ_S13_S14_S15_S18_S19_jS1A_jS1B_S1B_jjS1D_bEUljE0_EEESW_SX_SY_S15_S19_S1B_T6_T7_T9_mT8_S1D_bDpT10_ENKUlT_T0_E_clISt17integral_constantIbLb0EES1Q_IbLb1EEEEDaS1M_S1N_EUlS1M_E_NS1_11comp_targetILNS1_3genE2ELNS1_11target_archE906ELNS1_3gpuE6ELNS1_3repE0EEENS1_30default_config_static_selectorELNS0_4arch9wavefront6targetE1EEEvSZ_.uses_vcc, 1
	.set _ZN7rocprim17ROCPRIM_400000_NS6detail17trampoline_kernelINS0_13select_configILj256ELj13ELNS0_17block_load_methodE3ELS4_3ELS4_3ELNS0_20block_scan_algorithmE0ELj4294967295EEENS1_25partition_config_selectorILNS1_17partition_subalgoE4EjNS0_10empty_typeEbEEZZNS1_14partition_implILS8_4ELb0ES6_15HIP_vector_typeIjLj2EENS0_17counting_iteratorIjlEEPS9_SG_NS0_5tupleIJPjSI_NS0_16reverse_iteratorISI_EEEEENSH_IJSG_SG_SG_EEES9_SI_JZNS1_25segmented_radix_sort_implINS0_14default_configELb0EPKlPlSQ_SR_N2at6native12_GLOBAL__N_18offset_tEEE10hipError_tPvRmT1_PNSt15iterator_traitsISZ_E10value_typeET2_T3_PNS10_IS15_E10value_typeET4_jRbjT5_S1B_jjP12ihipStream_tbEUljE_ZNSN_ISO_Lb0ESQ_SR_SQ_SR_SV_EESW_SX_SY_SZ_S13_S14_S15_S18_S19_jS1A_jS1B_S1B_jjS1D_bEUljE0_EEESW_SX_SY_S15_S19_S1B_T6_T7_T9_mT8_S1D_bDpT10_ENKUlT_T0_E_clISt17integral_constantIbLb0EES1Q_IbLb1EEEEDaS1M_S1N_EUlS1M_E_NS1_11comp_targetILNS1_3genE2ELNS1_11target_archE906ELNS1_3gpuE6ELNS1_3repE0EEENS1_30default_config_static_selectorELNS0_4arch9wavefront6targetE1EEEvSZ_.uses_flat_scratch, 0
	.set _ZN7rocprim17ROCPRIM_400000_NS6detail17trampoline_kernelINS0_13select_configILj256ELj13ELNS0_17block_load_methodE3ELS4_3ELS4_3ELNS0_20block_scan_algorithmE0ELj4294967295EEENS1_25partition_config_selectorILNS1_17partition_subalgoE4EjNS0_10empty_typeEbEEZZNS1_14partition_implILS8_4ELb0ES6_15HIP_vector_typeIjLj2EENS0_17counting_iteratorIjlEEPS9_SG_NS0_5tupleIJPjSI_NS0_16reverse_iteratorISI_EEEEENSH_IJSG_SG_SG_EEES9_SI_JZNS1_25segmented_radix_sort_implINS0_14default_configELb0EPKlPlSQ_SR_N2at6native12_GLOBAL__N_18offset_tEEE10hipError_tPvRmT1_PNSt15iterator_traitsISZ_E10value_typeET2_T3_PNS10_IS15_E10value_typeET4_jRbjT5_S1B_jjP12ihipStream_tbEUljE_ZNSN_ISO_Lb0ESQ_SR_SQ_SR_SV_EESW_SX_SY_SZ_S13_S14_S15_S18_S19_jS1A_jS1B_S1B_jjS1D_bEUljE0_EEESW_SX_SY_S15_S19_S1B_T6_T7_T9_mT8_S1D_bDpT10_ENKUlT_T0_E_clISt17integral_constantIbLb0EES1Q_IbLb1EEEEDaS1M_S1N_EUlS1M_E_NS1_11comp_targetILNS1_3genE2ELNS1_11target_archE906ELNS1_3gpuE6ELNS1_3repE0EEENS1_30default_config_static_selectorELNS0_4arch9wavefront6targetE1EEEvSZ_.has_dyn_sized_stack, 0
	.set _ZN7rocprim17ROCPRIM_400000_NS6detail17trampoline_kernelINS0_13select_configILj256ELj13ELNS0_17block_load_methodE3ELS4_3ELS4_3ELNS0_20block_scan_algorithmE0ELj4294967295EEENS1_25partition_config_selectorILNS1_17partition_subalgoE4EjNS0_10empty_typeEbEEZZNS1_14partition_implILS8_4ELb0ES6_15HIP_vector_typeIjLj2EENS0_17counting_iteratorIjlEEPS9_SG_NS0_5tupleIJPjSI_NS0_16reverse_iteratorISI_EEEEENSH_IJSG_SG_SG_EEES9_SI_JZNS1_25segmented_radix_sort_implINS0_14default_configELb0EPKlPlSQ_SR_N2at6native12_GLOBAL__N_18offset_tEEE10hipError_tPvRmT1_PNSt15iterator_traitsISZ_E10value_typeET2_T3_PNS10_IS15_E10value_typeET4_jRbjT5_S1B_jjP12ihipStream_tbEUljE_ZNSN_ISO_Lb0ESQ_SR_SQ_SR_SV_EESW_SX_SY_SZ_S13_S14_S15_S18_S19_jS1A_jS1B_S1B_jjS1D_bEUljE0_EEESW_SX_SY_S15_S19_S1B_T6_T7_T9_mT8_S1D_bDpT10_ENKUlT_T0_E_clISt17integral_constantIbLb0EES1Q_IbLb1EEEEDaS1M_S1N_EUlS1M_E_NS1_11comp_targetILNS1_3genE2ELNS1_11target_archE906ELNS1_3gpuE6ELNS1_3repE0EEENS1_30default_config_static_selectorELNS0_4arch9wavefront6targetE1EEEvSZ_.has_recursion, 0
	.set _ZN7rocprim17ROCPRIM_400000_NS6detail17trampoline_kernelINS0_13select_configILj256ELj13ELNS0_17block_load_methodE3ELS4_3ELS4_3ELNS0_20block_scan_algorithmE0ELj4294967295EEENS1_25partition_config_selectorILNS1_17partition_subalgoE4EjNS0_10empty_typeEbEEZZNS1_14partition_implILS8_4ELb0ES6_15HIP_vector_typeIjLj2EENS0_17counting_iteratorIjlEEPS9_SG_NS0_5tupleIJPjSI_NS0_16reverse_iteratorISI_EEEEENSH_IJSG_SG_SG_EEES9_SI_JZNS1_25segmented_radix_sort_implINS0_14default_configELb0EPKlPlSQ_SR_N2at6native12_GLOBAL__N_18offset_tEEE10hipError_tPvRmT1_PNSt15iterator_traitsISZ_E10value_typeET2_T3_PNS10_IS15_E10value_typeET4_jRbjT5_S1B_jjP12ihipStream_tbEUljE_ZNSN_ISO_Lb0ESQ_SR_SQ_SR_SV_EESW_SX_SY_SZ_S13_S14_S15_S18_S19_jS1A_jS1B_S1B_jjS1D_bEUljE0_EEESW_SX_SY_S15_S19_S1B_T6_T7_T9_mT8_S1D_bDpT10_ENKUlT_T0_E_clISt17integral_constantIbLb0EES1Q_IbLb1EEEEDaS1M_S1N_EUlS1M_E_NS1_11comp_targetILNS1_3genE2ELNS1_11target_archE906ELNS1_3gpuE6ELNS1_3repE0EEENS1_30default_config_static_selectorELNS0_4arch9wavefront6targetE1EEEvSZ_.has_indirect_call, 0
	.section	.AMDGPU.csdata,"",@progbits
; Kernel info:
; codeLenInByte = 15580
; TotalNumSgprs: 91
; NumVgprs: 91
; ScratchSize: 0
; MemoryBound: 0
; FloatMode: 240
; IeeeMode: 1
; LDSByteSize: 13328 bytes/workgroup (compile time only)
; SGPRBlocks: 12
; VGPRBlocks: 22
; NumSGPRsForWavesPerEU: 102
; NumVGPRsForWavesPerEU: 91
; Occupancy: 2
; WaveLimiterHint : 1
; COMPUTE_PGM_RSRC2:SCRATCH_EN: 0
; COMPUTE_PGM_RSRC2:USER_SGPR: 6
; COMPUTE_PGM_RSRC2:TRAP_HANDLER: 0
; COMPUTE_PGM_RSRC2:TGID_X_EN: 1
; COMPUTE_PGM_RSRC2:TGID_Y_EN: 0
; COMPUTE_PGM_RSRC2:TGID_Z_EN: 0
; COMPUTE_PGM_RSRC2:TIDIG_COMP_CNT: 0
	.section	.text._ZN7rocprim17ROCPRIM_400000_NS6detail17trampoline_kernelINS0_13select_configILj256ELj13ELNS0_17block_load_methodE3ELS4_3ELS4_3ELNS0_20block_scan_algorithmE0ELj4294967295EEENS1_25partition_config_selectorILNS1_17partition_subalgoE4EjNS0_10empty_typeEbEEZZNS1_14partition_implILS8_4ELb0ES6_15HIP_vector_typeIjLj2EENS0_17counting_iteratorIjlEEPS9_SG_NS0_5tupleIJPjSI_NS0_16reverse_iteratorISI_EEEEENSH_IJSG_SG_SG_EEES9_SI_JZNS1_25segmented_radix_sort_implINS0_14default_configELb0EPKlPlSQ_SR_N2at6native12_GLOBAL__N_18offset_tEEE10hipError_tPvRmT1_PNSt15iterator_traitsISZ_E10value_typeET2_T3_PNS10_IS15_E10value_typeET4_jRbjT5_S1B_jjP12ihipStream_tbEUljE_ZNSN_ISO_Lb0ESQ_SR_SQ_SR_SV_EESW_SX_SY_SZ_S13_S14_S15_S18_S19_jS1A_jS1B_S1B_jjS1D_bEUljE0_EEESW_SX_SY_S15_S19_S1B_T6_T7_T9_mT8_S1D_bDpT10_ENKUlT_T0_E_clISt17integral_constantIbLb0EES1Q_IbLb1EEEEDaS1M_S1N_EUlS1M_E_NS1_11comp_targetILNS1_3genE10ELNS1_11target_archE1200ELNS1_3gpuE4ELNS1_3repE0EEENS1_30default_config_static_selectorELNS0_4arch9wavefront6targetE1EEEvSZ_,"axG",@progbits,_ZN7rocprim17ROCPRIM_400000_NS6detail17trampoline_kernelINS0_13select_configILj256ELj13ELNS0_17block_load_methodE3ELS4_3ELS4_3ELNS0_20block_scan_algorithmE0ELj4294967295EEENS1_25partition_config_selectorILNS1_17partition_subalgoE4EjNS0_10empty_typeEbEEZZNS1_14partition_implILS8_4ELb0ES6_15HIP_vector_typeIjLj2EENS0_17counting_iteratorIjlEEPS9_SG_NS0_5tupleIJPjSI_NS0_16reverse_iteratorISI_EEEEENSH_IJSG_SG_SG_EEES9_SI_JZNS1_25segmented_radix_sort_implINS0_14default_configELb0EPKlPlSQ_SR_N2at6native12_GLOBAL__N_18offset_tEEE10hipError_tPvRmT1_PNSt15iterator_traitsISZ_E10value_typeET2_T3_PNS10_IS15_E10value_typeET4_jRbjT5_S1B_jjP12ihipStream_tbEUljE_ZNSN_ISO_Lb0ESQ_SR_SQ_SR_SV_EESW_SX_SY_SZ_S13_S14_S15_S18_S19_jS1A_jS1B_S1B_jjS1D_bEUljE0_EEESW_SX_SY_S15_S19_S1B_T6_T7_T9_mT8_S1D_bDpT10_ENKUlT_T0_E_clISt17integral_constantIbLb0EES1Q_IbLb1EEEEDaS1M_S1N_EUlS1M_E_NS1_11comp_targetILNS1_3genE10ELNS1_11target_archE1200ELNS1_3gpuE4ELNS1_3repE0EEENS1_30default_config_static_selectorELNS0_4arch9wavefront6targetE1EEEvSZ_,comdat
	.globl	_ZN7rocprim17ROCPRIM_400000_NS6detail17trampoline_kernelINS0_13select_configILj256ELj13ELNS0_17block_load_methodE3ELS4_3ELS4_3ELNS0_20block_scan_algorithmE0ELj4294967295EEENS1_25partition_config_selectorILNS1_17partition_subalgoE4EjNS0_10empty_typeEbEEZZNS1_14partition_implILS8_4ELb0ES6_15HIP_vector_typeIjLj2EENS0_17counting_iteratorIjlEEPS9_SG_NS0_5tupleIJPjSI_NS0_16reverse_iteratorISI_EEEEENSH_IJSG_SG_SG_EEES9_SI_JZNS1_25segmented_radix_sort_implINS0_14default_configELb0EPKlPlSQ_SR_N2at6native12_GLOBAL__N_18offset_tEEE10hipError_tPvRmT1_PNSt15iterator_traitsISZ_E10value_typeET2_T3_PNS10_IS15_E10value_typeET4_jRbjT5_S1B_jjP12ihipStream_tbEUljE_ZNSN_ISO_Lb0ESQ_SR_SQ_SR_SV_EESW_SX_SY_SZ_S13_S14_S15_S18_S19_jS1A_jS1B_S1B_jjS1D_bEUljE0_EEESW_SX_SY_S15_S19_S1B_T6_T7_T9_mT8_S1D_bDpT10_ENKUlT_T0_E_clISt17integral_constantIbLb0EES1Q_IbLb1EEEEDaS1M_S1N_EUlS1M_E_NS1_11comp_targetILNS1_3genE10ELNS1_11target_archE1200ELNS1_3gpuE4ELNS1_3repE0EEENS1_30default_config_static_selectorELNS0_4arch9wavefront6targetE1EEEvSZ_ ; -- Begin function _ZN7rocprim17ROCPRIM_400000_NS6detail17trampoline_kernelINS0_13select_configILj256ELj13ELNS0_17block_load_methodE3ELS4_3ELS4_3ELNS0_20block_scan_algorithmE0ELj4294967295EEENS1_25partition_config_selectorILNS1_17partition_subalgoE4EjNS0_10empty_typeEbEEZZNS1_14partition_implILS8_4ELb0ES6_15HIP_vector_typeIjLj2EENS0_17counting_iteratorIjlEEPS9_SG_NS0_5tupleIJPjSI_NS0_16reverse_iteratorISI_EEEEENSH_IJSG_SG_SG_EEES9_SI_JZNS1_25segmented_radix_sort_implINS0_14default_configELb0EPKlPlSQ_SR_N2at6native12_GLOBAL__N_18offset_tEEE10hipError_tPvRmT1_PNSt15iterator_traitsISZ_E10value_typeET2_T3_PNS10_IS15_E10value_typeET4_jRbjT5_S1B_jjP12ihipStream_tbEUljE_ZNSN_ISO_Lb0ESQ_SR_SQ_SR_SV_EESW_SX_SY_SZ_S13_S14_S15_S18_S19_jS1A_jS1B_S1B_jjS1D_bEUljE0_EEESW_SX_SY_S15_S19_S1B_T6_T7_T9_mT8_S1D_bDpT10_ENKUlT_T0_E_clISt17integral_constantIbLb0EES1Q_IbLb1EEEEDaS1M_S1N_EUlS1M_E_NS1_11comp_targetILNS1_3genE10ELNS1_11target_archE1200ELNS1_3gpuE4ELNS1_3repE0EEENS1_30default_config_static_selectorELNS0_4arch9wavefront6targetE1EEEvSZ_
	.p2align	8
	.type	_ZN7rocprim17ROCPRIM_400000_NS6detail17trampoline_kernelINS0_13select_configILj256ELj13ELNS0_17block_load_methodE3ELS4_3ELS4_3ELNS0_20block_scan_algorithmE0ELj4294967295EEENS1_25partition_config_selectorILNS1_17partition_subalgoE4EjNS0_10empty_typeEbEEZZNS1_14partition_implILS8_4ELb0ES6_15HIP_vector_typeIjLj2EENS0_17counting_iteratorIjlEEPS9_SG_NS0_5tupleIJPjSI_NS0_16reverse_iteratorISI_EEEEENSH_IJSG_SG_SG_EEES9_SI_JZNS1_25segmented_radix_sort_implINS0_14default_configELb0EPKlPlSQ_SR_N2at6native12_GLOBAL__N_18offset_tEEE10hipError_tPvRmT1_PNSt15iterator_traitsISZ_E10value_typeET2_T3_PNS10_IS15_E10value_typeET4_jRbjT5_S1B_jjP12ihipStream_tbEUljE_ZNSN_ISO_Lb0ESQ_SR_SQ_SR_SV_EESW_SX_SY_SZ_S13_S14_S15_S18_S19_jS1A_jS1B_S1B_jjS1D_bEUljE0_EEESW_SX_SY_S15_S19_S1B_T6_T7_T9_mT8_S1D_bDpT10_ENKUlT_T0_E_clISt17integral_constantIbLb0EES1Q_IbLb1EEEEDaS1M_S1N_EUlS1M_E_NS1_11comp_targetILNS1_3genE10ELNS1_11target_archE1200ELNS1_3gpuE4ELNS1_3repE0EEENS1_30default_config_static_selectorELNS0_4arch9wavefront6targetE1EEEvSZ_,@function
_ZN7rocprim17ROCPRIM_400000_NS6detail17trampoline_kernelINS0_13select_configILj256ELj13ELNS0_17block_load_methodE3ELS4_3ELS4_3ELNS0_20block_scan_algorithmE0ELj4294967295EEENS1_25partition_config_selectorILNS1_17partition_subalgoE4EjNS0_10empty_typeEbEEZZNS1_14partition_implILS8_4ELb0ES6_15HIP_vector_typeIjLj2EENS0_17counting_iteratorIjlEEPS9_SG_NS0_5tupleIJPjSI_NS0_16reverse_iteratorISI_EEEEENSH_IJSG_SG_SG_EEES9_SI_JZNS1_25segmented_radix_sort_implINS0_14default_configELb0EPKlPlSQ_SR_N2at6native12_GLOBAL__N_18offset_tEEE10hipError_tPvRmT1_PNSt15iterator_traitsISZ_E10value_typeET2_T3_PNS10_IS15_E10value_typeET4_jRbjT5_S1B_jjP12ihipStream_tbEUljE_ZNSN_ISO_Lb0ESQ_SR_SQ_SR_SV_EESW_SX_SY_SZ_S13_S14_S15_S18_S19_jS1A_jS1B_S1B_jjS1D_bEUljE0_EEESW_SX_SY_S15_S19_S1B_T6_T7_T9_mT8_S1D_bDpT10_ENKUlT_T0_E_clISt17integral_constantIbLb0EES1Q_IbLb1EEEEDaS1M_S1N_EUlS1M_E_NS1_11comp_targetILNS1_3genE10ELNS1_11target_archE1200ELNS1_3gpuE4ELNS1_3repE0EEENS1_30default_config_static_selectorELNS0_4arch9wavefront6targetE1EEEvSZ_: ; @_ZN7rocprim17ROCPRIM_400000_NS6detail17trampoline_kernelINS0_13select_configILj256ELj13ELNS0_17block_load_methodE3ELS4_3ELS4_3ELNS0_20block_scan_algorithmE0ELj4294967295EEENS1_25partition_config_selectorILNS1_17partition_subalgoE4EjNS0_10empty_typeEbEEZZNS1_14partition_implILS8_4ELb0ES6_15HIP_vector_typeIjLj2EENS0_17counting_iteratorIjlEEPS9_SG_NS0_5tupleIJPjSI_NS0_16reverse_iteratorISI_EEEEENSH_IJSG_SG_SG_EEES9_SI_JZNS1_25segmented_radix_sort_implINS0_14default_configELb0EPKlPlSQ_SR_N2at6native12_GLOBAL__N_18offset_tEEE10hipError_tPvRmT1_PNSt15iterator_traitsISZ_E10value_typeET2_T3_PNS10_IS15_E10value_typeET4_jRbjT5_S1B_jjP12ihipStream_tbEUljE_ZNSN_ISO_Lb0ESQ_SR_SQ_SR_SV_EESW_SX_SY_SZ_S13_S14_S15_S18_S19_jS1A_jS1B_S1B_jjS1D_bEUljE0_EEESW_SX_SY_S15_S19_S1B_T6_T7_T9_mT8_S1D_bDpT10_ENKUlT_T0_E_clISt17integral_constantIbLb0EES1Q_IbLb1EEEEDaS1M_S1N_EUlS1M_E_NS1_11comp_targetILNS1_3genE10ELNS1_11target_archE1200ELNS1_3gpuE4ELNS1_3repE0EEENS1_30default_config_static_selectorELNS0_4arch9wavefront6targetE1EEEvSZ_
; %bb.0:
	.section	.rodata,"a",@progbits
	.p2align	6, 0x0
	.amdhsa_kernel _ZN7rocprim17ROCPRIM_400000_NS6detail17trampoline_kernelINS0_13select_configILj256ELj13ELNS0_17block_load_methodE3ELS4_3ELS4_3ELNS0_20block_scan_algorithmE0ELj4294967295EEENS1_25partition_config_selectorILNS1_17partition_subalgoE4EjNS0_10empty_typeEbEEZZNS1_14partition_implILS8_4ELb0ES6_15HIP_vector_typeIjLj2EENS0_17counting_iteratorIjlEEPS9_SG_NS0_5tupleIJPjSI_NS0_16reverse_iteratorISI_EEEEENSH_IJSG_SG_SG_EEES9_SI_JZNS1_25segmented_radix_sort_implINS0_14default_configELb0EPKlPlSQ_SR_N2at6native12_GLOBAL__N_18offset_tEEE10hipError_tPvRmT1_PNSt15iterator_traitsISZ_E10value_typeET2_T3_PNS10_IS15_E10value_typeET4_jRbjT5_S1B_jjP12ihipStream_tbEUljE_ZNSN_ISO_Lb0ESQ_SR_SQ_SR_SV_EESW_SX_SY_SZ_S13_S14_S15_S18_S19_jS1A_jS1B_S1B_jjS1D_bEUljE0_EEESW_SX_SY_S15_S19_S1B_T6_T7_T9_mT8_S1D_bDpT10_ENKUlT_T0_E_clISt17integral_constantIbLb0EES1Q_IbLb1EEEEDaS1M_S1N_EUlS1M_E_NS1_11comp_targetILNS1_3genE10ELNS1_11target_archE1200ELNS1_3gpuE4ELNS1_3repE0EEENS1_30default_config_static_selectorELNS0_4arch9wavefront6targetE1EEEvSZ_
		.amdhsa_group_segment_fixed_size 0
		.amdhsa_private_segment_fixed_size 0
		.amdhsa_kernarg_size 184
		.amdhsa_user_sgpr_count 6
		.amdhsa_user_sgpr_private_segment_buffer 1
		.amdhsa_user_sgpr_dispatch_ptr 0
		.amdhsa_user_sgpr_queue_ptr 0
		.amdhsa_user_sgpr_kernarg_segment_ptr 1
		.amdhsa_user_sgpr_dispatch_id 0
		.amdhsa_user_sgpr_flat_scratch_init 0
		.amdhsa_user_sgpr_private_segment_size 0
		.amdhsa_uses_dynamic_stack 0
		.amdhsa_system_sgpr_private_segment_wavefront_offset 0
		.amdhsa_system_sgpr_workgroup_id_x 1
		.amdhsa_system_sgpr_workgroup_id_y 0
		.amdhsa_system_sgpr_workgroup_id_z 0
		.amdhsa_system_sgpr_workgroup_info 0
		.amdhsa_system_vgpr_workitem_id 0
		.amdhsa_next_free_vgpr 1
		.amdhsa_next_free_sgpr 0
		.amdhsa_reserve_vcc 0
		.amdhsa_reserve_flat_scratch 0
		.amdhsa_float_round_mode_32 0
		.amdhsa_float_round_mode_16_64 0
		.amdhsa_float_denorm_mode_32 3
		.amdhsa_float_denorm_mode_16_64 3
		.amdhsa_dx10_clamp 1
		.amdhsa_ieee_mode 1
		.amdhsa_fp16_overflow 0
		.amdhsa_exception_fp_ieee_invalid_op 0
		.amdhsa_exception_fp_denorm_src 0
		.amdhsa_exception_fp_ieee_div_zero 0
		.amdhsa_exception_fp_ieee_overflow 0
		.amdhsa_exception_fp_ieee_underflow 0
		.amdhsa_exception_fp_ieee_inexact 0
		.amdhsa_exception_int_div_zero 0
	.end_amdhsa_kernel
	.section	.text._ZN7rocprim17ROCPRIM_400000_NS6detail17trampoline_kernelINS0_13select_configILj256ELj13ELNS0_17block_load_methodE3ELS4_3ELS4_3ELNS0_20block_scan_algorithmE0ELj4294967295EEENS1_25partition_config_selectorILNS1_17partition_subalgoE4EjNS0_10empty_typeEbEEZZNS1_14partition_implILS8_4ELb0ES6_15HIP_vector_typeIjLj2EENS0_17counting_iteratorIjlEEPS9_SG_NS0_5tupleIJPjSI_NS0_16reverse_iteratorISI_EEEEENSH_IJSG_SG_SG_EEES9_SI_JZNS1_25segmented_radix_sort_implINS0_14default_configELb0EPKlPlSQ_SR_N2at6native12_GLOBAL__N_18offset_tEEE10hipError_tPvRmT1_PNSt15iterator_traitsISZ_E10value_typeET2_T3_PNS10_IS15_E10value_typeET4_jRbjT5_S1B_jjP12ihipStream_tbEUljE_ZNSN_ISO_Lb0ESQ_SR_SQ_SR_SV_EESW_SX_SY_SZ_S13_S14_S15_S18_S19_jS1A_jS1B_S1B_jjS1D_bEUljE0_EEESW_SX_SY_S15_S19_S1B_T6_T7_T9_mT8_S1D_bDpT10_ENKUlT_T0_E_clISt17integral_constantIbLb0EES1Q_IbLb1EEEEDaS1M_S1N_EUlS1M_E_NS1_11comp_targetILNS1_3genE10ELNS1_11target_archE1200ELNS1_3gpuE4ELNS1_3repE0EEENS1_30default_config_static_selectorELNS0_4arch9wavefront6targetE1EEEvSZ_,"axG",@progbits,_ZN7rocprim17ROCPRIM_400000_NS6detail17trampoline_kernelINS0_13select_configILj256ELj13ELNS0_17block_load_methodE3ELS4_3ELS4_3ELNS0_20block_scan_algorithmE0ELj4294967295EEENS1_25partition_config_selectorILNS1_17partition_subalgoE4EjNS0_10empty_typeEbEEZZNS1_14partition_implILS8_4ELb0ES6_15HIP_vector_typeIjLj2EENS0_17counting_iteratorIjlEEPS9_SG_NS0_5tupleIJPjSI_NS0_16reverse_iteratorISI_EEEEENSH_IJSG_SG_SG_EEES9_SI_JZNS1_25segmented_radix_sort_implINS0_14default_configELb0EPKlPlSQ_SR_N2at6native12_GLOBAL__N_18offset_tEEE10hipError_tPvRmT1_PNSt15iterator_traitsISZ_E10value_typeET2_T3_PNS10_IS15_E10value_typeET4_jRbjT5_S1B_jjP12ihipStream_tbEUljE_ZNSN_ISO_Lb0ESQ_SR_SQ_SR_SV_EESW_SX_SY_SZ_S13_S14_S15_S18_S19_jS1A_jS1B_S1B_jjS1D_bEUljE0_EEESW_SX_SY_S15_S19_S1B_T6_T7_T9_mT8_S1D_bDpT10_ENKUlT_T0_E_clISt17integral_constantIbLb0EES1Q_IbLb1EEEEDaS1M_S1N_EUlS1M_E_NS1_11comp_targetILNS1_3genE10ELNS1_11target_archE1200ELNS1_3gpuE4ELNS1_3repE0EEENS1_30default_config_static_selectorELNS0_4arch9wavefront6targetE1EEEvSZ_,comdat
.Lfunc_end772:
	.size	_ZN7rocprim17ROCPRIM_400000_NS6detail17trampoline_kernelINS0_13select_configILj256ELj13ELNS0_17block_load_methodE3ELS4_3ELS4_3ELNS0_20block_scan_algorithmE0ELj4294967295EEENS1_25partition_config_selectorILNS1_17partition_subalgoE4EjNS0_10empty_typeEbEEZZNS1_14partition_implILS8_4ELb0ES6_15HIP_vector_typeIjLj2EENS0_17counting_iteratorIjlEEPS9_SG_NS0_5tupleIJPjSI_NS0_16reverse_iteratorISI_EEEEENSH_IJSG_SG_SG_EEES9_SI_JZNS1_25segmented_radix_sort_implINS0_14default_configELb0EPKlPlSQ_SR_N2at6native12_GLOBAL__N_18offset_tEEE10hipError_tPvRmT1_PNSt15iterator_traitsISZ_E10value_typeET2_T3_PNS10_IS15_E10value_typeET4_jRbjT5_S1B_jjP12ihipStream_tbEUljE_ZNSN_ISO_Lb0ESQ_SR_SQ_SR_SV_EESW_SX_SY_SZ_S13_S14_S15_S18_S19_jS1A_jS1B_S1B_jjS1D_bEUljE0_EEESW_SX_SY_S15_S19_S1B_T6_T7_T9_mT8_S1D_bDpT10_ENKUlT_T0_E_clISt17integral_constantIbLb0EES1Q_IbLb1EEEEDaS1M_S1N_EUlS1M_E_NS1_11comp_targetILNS1_3genE10ELNS1_11target_archE1200ELNS1_3gpuE4ELNS1_3repE0EEENS1_30default_config_static_selectorELNS0_4arch9wavefront6targetE1EEEvSZ_, .Lfunc_end772-_ZN7rocprim17ROCPRIM_400000_NS6detail17trampoline_kernelINS0_13select_configILj256ELj13ELNS0_17block_load_methodE3ELS4_3ELS4_3ELNS0_20block_scan_algorithmE0ELj4294967295EEENS1_25partition_config_selectorILNS1_17partition_subalgoE4EjNS0_10empty_typeEbEEZZNS1_14partition_implILS8_4ELb0ES6_15HIP_vector_typeIjLj2EENS0_17counting_iteratorIjlEEPS9_SG_NS0_5tupleIJPjSI_NS0_16reverse_iteratorISI_EEEEENSH_IJSG_SG_SG_EEES9_SI_JZNS1_25segmented_radix_sort_implINS0_14default_configELb0EPKlPlSQ_SR_N2at6native12_GLOBAL__N_18offset_tEEE10hipError_tPvRmT1_PNSt15iterator_traitsISZ_E10value_typeET2_T3_PNS10_IS15_E10value_typeET4_jRbjT5_S1B_jjP12ihipStream_tbEUljE_ZNSN_ISO_Lb0ESQ_SR_SQ_SR_SV_EESW_SX_SY_SZ_S13_S14_S15_S18_S19_jS1A_jS1B_S1B_jjS1D_bEUljE0_EEESW_SX_SY_S15_S19_S1B_T6_T7_T9_mT8_S1D_bDpT10_ENKUlT_T0_E_clISt17integral_constantIbLb0EES1Q_IbLb1EEEEDaS1M_S1N_EUlS1M_E_NS1_11comp_targetILNS1_3genE10ELNS1_11target_archE1200ELNS1_3gpuE4ELNS1_3repE0EEENS1_30default_config_static_selectorELNS0_4arch9wavefront6targetE1EEEvSZ_
                                        ; -- End function
	.set _ZN7rocprim17ROCPRIM_400000_NS6detail17trampoline_kernelINS0_13select_configILj256ELj13ELNS0_17block_load_methodE3ELS4_3ELS4_3ELNS0_20block_scan_algorithmE0ELj4294967295EEENS1_25partition_config_selectorILNS1_17partition_subalgoE4EjNS0_10empty_typeEbEEZZNS1_14partition_implILS8_4ELb0ES6_15HIP_vector_typeIjLj2EENS0_17counting_iteratorIjlEEPS9_SG_NS0_5tupleIJPjSI_NS0_16reverse_iteratorISI_EEEEENSH_IJSG_SG_SG_EEES9_SI_JZNS1_25segmented_radix_sort_implINS0_14default_configELb0EPKlPlSQ_SR_N2at6native12_GLOBAL__N_18offset_tEEE10hipError_tPvRmT1_PNSt15iterator_traitsISZ_E10value_typeET2_T3_PNS10_IS15_E10value_typeET4_jRbjT5_S1B_jjP12ihipStream_tbEUljE_ZNSN_ISO_Lb0ESQ_SR_SQ_SR_SV_EESW_SX_SY_SZ_S13_S14_S15_S18_S19_jS1A_jS1B_S1B_jjS1D_bEUljE0_EEESW_SX_SY_S15_S19_S1B_T6_T7_T9_mT8_S1D_bDpT10_ENKUlT_T0_E_clISt17integral_constantIbLb0EES1Q_IbLb1EEEEDaS1M_S1N_EUlS1M_E_NS1_11comp_targetILNS1_3genE10ELNS1_11target_archE1200ELNS1_3gpuE4ELNS1_3repE0EEENS1_30default_config_static_selectorELNS0_4arch9wavefront6targetE1EEEvSZ_.num_vgpr, 0
	.set _ZN7rocprim17ROCPRIM_400000_NS6detail17trampoline_kernelINS0_13select_configILj256ELj13ELNS0_17block_load_methodE3ELS4_3ELS4_3ELNS0_20block_scan_algorithmE0ELj4294967295EEENS1_25partition_config_selectorILNS1_17partition_subalgoE4EjNS0_10empty_typeEbEEZZNS1_14partition_implILS8_4ELb0ES6_15HIP_vector_typeIjLj2EENS0_17counting_iteratorIjlEEPS9_SG_NS0_5tupleIJPjSI_NS0_16reverse_iteratorISI_EEEEENSH_IJSG_SG_SG_EEES9_SI_JZNS1_25segmented_radix_sort_implINS0_14default_configELb0EPKlPlSQ_SR_N2at6native12_GLOBAL__N_18offset_tEEE10hipError_tPvRmT1_PNSt15iterator_traitsISZ_E10value_typeET2_T3_PNS10_IS15_E10value_typeET4_jRbjT5_S1B_jjP12ihipStream_tbEUljE_ZNSN_ISO_Lb0ESQ_SR_SQ_SR_SV_EESW_SX_SY_SZ_S13_S14_S15_S18_S19_jS1A_jS1B_S1B_jjS1D_bEUljE0_EEESW_SX_SY_S15_S19_S1B_T6_T7_T9_mT8_S1D_bDpT10_ENKUlT_T0_E_clISt17integral_constantIbLb0EES1Q_IbLb1EEEEDaS1M_S1N_EUlS1M_E_NS1_11comp_targetILNS1_3genE10ELNS1_11target_archE1200ELNS1_3gpuE4ELNS1_3repE0EEENS1_30default_config_static_selectorELNS0_4arch9wavefront6targetE1EEEvSZ_.num_agpr, 0
	.set _ZN7rocprim17ROCPRIM_400000_NS6detail17trampoline_kernelINS0_13select_configILj256ELj13ELNS0_17block_load_methodE3ELS4_3ELS4_3ELNS0_20block_scan_algorithmE0ELj4294967295EEENS1_25partition_config_selectorILNS1_17partition_subalgoE4EjNS0_10empty_typeEbEEZZNS1_14partition_implILS8_4ELb0ES6_15HIP_vector_typeIjLj2EENS0_17counting_iteratorIjlEEPS9_SG_NS0_5tupleIJPjSI_NS0_16reverse_iteratorISI_EEEEENSH_IJSG_SG_SG_EEES9_SI_JZNS1_25segmented_radix_sort_implINS0_14default_configELb0EPKlPlSQ_SR_N2at6native12_GLOBAL__N_18offset_tEEE10hipError_tPvRmT1_PNSt15iterator_traitsISZ_E10value_typeET2_T3_PNS10_IS15_E10value_typeET4_jRbjT5_S1B_jjP12ihipStream_tbEUljE_ZNSN_ISO_Lb0ESQ_SR_SQ_SR_SV_EESW_SX_SY_SZ_S13_S14_S15_S18_S19_jS1A_jS1B_S1B_jjS1D_bEUljE0_EEESW_SX_SY_S15_S19_S1B_T6_T7_T9_mT8_S1D_bDpT10_ENKUlT_T0_E_clISt17integral_constantIbLb0EES1Q_IbLb1EEEEDaS1M_S1N_EUlS1M_E_NS1_11comp_targetILNS1_3genE10ELNS1_11target_archE1200ELNS1_3gpuE4ELNS1_3repE0EEENS1_30default_config_static_selectorELNS0_4arch9wavefront6targetE1EEEvSZ_.numbered_sgpr, 0
	.set _ZN7rocprim17ROCPRIM_400000_NS6detail17trampoline_kernelINS0_13select_configILj256ELj13ELNS0_17block_load_methodE3ELS4_3ELS4_3ELNS0_20block_scan_algorithmE0ELj4294967295EEENS1_25partition_config_selectorILNS1_17partition_subalgoE4EjNS0_10empty_typeEbEEZZNS1_14partition_implILS8_4ELb0ES6_15HIP_vector_typeIjLj2EENS0_17counting_iteratorIjlEEPS9_SG_NS0_5tupleIJPjSI_NS0_16reverse_iteratorISI_EEEEENSH_IJSG_SG_SG_EEES9_SI_JZNS1_25segmented_radix_sort_implINS0_14default_configELb0EPKlPlSQ_SR_N2at6native12_GLOBAL__N_18offset_tEEE10hipError_tPvRmT1_PNSt15iterator_traitsISZ_E10value_typeET2_T3_PNS10_IS15_E10value_typeET4_jRbjT5_S1B_jjP12ihipStream_tbEUljE_ZNSN_ISO_Lb0ESQ_SR_SQ_SR_SV_EESW_SX_SY_SZ_S13_S14_S15_S18_S19_jS1A_jS1B_S1B_jjS1D_bEUljE0_EEESW_SX_SY_S15_S19_S1B_T6_T7_T9_mT8_S1D_bDpT10_ENKUlT_T0_E_clISt17integral_constantIbLb0EES1Q_IbLb1EEEEDaS1M_S1N_EUlS1M_E_NS1_11comp_targetILNS1_3genE10ELNS1_11target_archE1200ELNS1_3gpuE4ELNS1_3repE0EEENS1_30default_config_static_selectorELNS0_4arch9wavefront6targetE1EEEvSZ_.num_named_barrier, 0
	.set _ZN7rocprim17ROCPRIM_400000_NS6detail17trampoline_kernelINS0_13select_configILj256ELj13ELNS0_17block_load_methodE3ELS4_3ELS4_3ELNS0_20block_scan_algorithmE0ELj4294967295EEENS1_25partition_config_selectorILNS1_17partition_subalgoE4EjNS0_10empty_typeEbEEZZNS1_14partition_implILS8_4ELb0ES6_15HIP_vector_typeIjLj2EENS0_17counting_iteratorIjlEEPS9_SG_NS0_5tupleIJPjSI_NS0_16reverse_iteratorISI_EEEEENSH_IJSG_SG_SG_EEES9_SI_JZNS1_25segmented_radix_sort_implINS0_14default_configELb0EPKlPlSQ_SR_N2at6native12_GLOBAL__N_18offset_tEEE10hipError_tPvRmT1_PNSt15iterator_traitsISZ_E10value_typeET2_T3_PNS10_IS15_E10value_typeET4_jRbjT5_S1B_jjP12ihipStream_tbEUljE_ZNSN_ISO_Lb0ESQ_SR_SQ_SR_SV_EESW_SX_SY_SZ_S13_S14_S15_S18_S19_jS1A_jS1B_S1B_jjS1D_bEUljE0_EEESW_SX_SY_S15_S19_S1B_T6_T7_T9_mT8_S1D_bDpT10_ENKUlT_T0_E_clISt17integral_constantIbLb0EES1Q_IbLb1EEEEDaS1M_S1N_EUlS1M_E_NS1_11comp_targetILNS1_3genE10ELNS1_11target_archE1200ELNS1_3gpuE4ELNS1_3repE0EEENS1_30default_config_static_selectorELNS0_4arch9wavefront6targetE1EEEvSZ_.private_seg_size, 0
	.set _ZN7rocprim17ROCPRIM_400000_NS6detail17trampoline_kernelINS0_13select_configILj256ELj13ELNS0_17block_load_methodE3ELS4_3ELS4_3ELNS0_20block_scan_algorithmE0ELj4294967295EEENS1_25partition_config_selectorILNS1_17partition_subalgoE4EjNS0_10empty_typeEbEEZZNS1_14partition_implILS8_4ELb0ES6_15HIP_vector_typeIjLj2EENS0_17counting_iteratorIjlEEPS9_SG_NS0_5tupleIJPjSI_NS0_16reverse_iteratorISI_EEEEENSH_IJSG_SG_SG_EEES9_SI_JZNS1_25segmented_radix_sort_implINS0_14default_configELb0EPKlPlSQ_SR_N2at6native12_GLOBAL__N_18offset_tEEE10hipError_tPvRmT1_PNSt15iterator_traitsISZ_E10value_typeET2_T3_PNS10_IS15_E10value_typeET4_jRbjT5_S1B_jjP12ihipStream_tbEUljE_ZNSN_ISO_Lb0ESQ_SR_SQ_SR_SV_EESW_SX_SY_SZ_S13_S14_S15_S18_S19_jS1A_jS1B_S1B_jjS1D_bEUljE0_EEESW_SX_SY_S15_S19_S1B_T6_T7_T9_mT8_S1D_bDpT10_ENKUlT_T0_E_clISt17integral_constantIbLb0EES1Q_IbLb1EEEEDaS1M_S1N_EUlS1M_E_NS1_11comp_targetILNS1_3genE10ELNS1_11target_archE1200ELNS1_3gpuE4ELNS1_3repE0EEENS1_30default_config_static_selectorELNS0_4arch9wavefront6targetE1EEEvSZ_.uses_vcc, 0
	.set _ZN7rocprim17ROCPRIM_400000_NS6detail17trampoline_kernelINS0_13select_configILj256ELj13ELNS0_17block_load_methodE3ELS4_3ELS4_3ELNS0_20block_scan_algorithmE0ELj4294967295EEENS1_25partition_config_selectorILNS1_17partition_subalgoE4EjNS0_10empty_typeEbEEZZNS1_14partition_implILS8_4ELb0ES6_15HIP_vector_typeIjLj2EENS0_17counting_iteratorIjlEEPS9_SG_NS0_5tupleIJPjSI_NS0_16reverse_iteratorISI_EEEEENSH_IJSG_SG_SG_EEES9_SI_JZNS1_25segmented_radix_sort_implINS0_14default_configELb0EPKlPlSQ_SR_N2at6native12_GLOBAL__N_18offset_tEEE10hipError_tPvRmT1_PNSt15iterator_traitsISZ_E10value_typeET2_T3_PNS10_IS15_E10value_typeET4_jRbjT5_S1B_jjP12ihipStream_tbEUljE_ZNSN_ISO_Lb0ESQ_SR_SQ_SR_SV_EESW_SX_SY_SZ_S13_S14_S15_S18_S19_jS1A_jS1B_S1B_jjS1D_bEUljE0_EEESW_SX_SY_S15_S19_S1B_T6_T7_T9_mT8_S1D_bDpT10_ENKUlT_T0_E_clISt17integral_constantIbLb0EES1Q_IbLb1EEEEDaS1M_S1N_EUlS1M_E_NS1_11comp_targetILNS1_3genE10ELNS1_11target_archE1200ELNS1_3gpuE4ELNS1_3repE0EEENS1_30default_config_static_selectorELNS0_4arch9wavefront6targetE1EEEvSZ_.uses_flat_scratch, 0
	.set _ZN7rocprim17ROCPRIM_400000_NS6detail17trampoline_kernelINS0_13select_configILj256ELj13ELNS0_17block_load_methodE3ELS4_3ELS4_3ELNS0_20block_scan_algorithmE0ELj4294967295EEENS1_25partition_config_selectorILNS1_17partition_subalgoE4EjNS0_10empty_typeEbEEZZNS1_14partition_implILS8_4ELb0ES6_15HIP_vector_typeIjLj2EENS0_17counting_iteratorIjlEEPS9_SG_NS0_5tupleIJPjSI_NS0_16reverse_iteratorISI_EEEEENSH_IJSG_SG_SG_EEES9_SI_JZNS1_25segmented_radix_sort_implINS0_14default_configELb0EPKlPlSQ_SR_N2at6native12_GLOBAL__N_18offset_tEEE10hipError_tPvRmT1_PNSt15iterator_traitsISZ_E10value_typeET2_T3_PNS10_IS15_E10value_typeET4_jRbjT5_S1B_jjP12ihipStream_tbEUljE_ZNSN_ISO_Lb0ESQ_SR_SQ_SR_SV_EESW_SX_SY_SZ_S13_S14_S15_S18_S19_jS1A_jS1B_S1B_jjS1D_bEUljE0_EEESW_SX_SY_S15_S19_S1B_T6_T7_T9_mT8_S1D_bDpT10_ENKUlT_T0_E_clISt17integral_constantIbLb0EES1Q_IbLb1EEEEDaS1M_S1N_EUlS1M_E_NS1_11comp_targetILNS1_3genE10ELNS1_11target_archE1200ELNS1_3gpuE4ELNS1_3repE0EEENS1_30default_config_static_selectorELNS0_4arch9wavefront6targetE1EEEvSZ_.has_dyn_sized_stack, 0
	.set _ZN7rocprim17ROCPRIM_400000_NS6detail17trampoline_kernelINS0_13select_configILj256ELj13ELNS0_17block_load_methodE3ELS4_3ELS4_3ELNS0_20block_scan_algorithmE0ELj4294967295EEENS1_25partition_config_selectorILNS1_17partition_subalgoE4EjNS0_10empty_typeEbEEZZNS1_14partition_implILS8_4ELb0ES6_15HIP_vector_typeIjLj2EENS0_17counting_iteratorIjlEEPS9_SG_NS0_5tupleIJPjSI_NS0_16reverse_iteratorISI_EEEEENSH_IJSG_SG_SG_EEES9_SI_JZNS1_25segmented_radix_sort_implINS0_14default_configELb0EPKlPlSQ_SR_N2at6native12_GLOBAL__N_18offset_tEEE10hipError_tPvRmT1_PNSt15iterator_traitsISZ_E10value_typeET2_T3_PNS10_IS15_E10value_typeET4_jRbjT5_S1B_jjP12ihipStream_tbEUljE_ZNSN_ISO_Lb0ESQ_SR_SQ_SR_SV_EESW_SX_SY_SZ_S13_S14_S15_S18_S19_jS1A_jS1B_S1B_jjS1D_bEUljE0_EEESW_SX_SY_S15_S19_S1B_T6_T7_T9_mT8_S1D_bDpT10_ENKUlT_T0_E_clISt17integral_constantIbLb0EES1Q_IbLb1EEEEDaS1M_S1N_EUlS1M_E_NS1_11comp_targetILNS1_3genE10ELNS1_11target_archE1200ELNS1_3gpuE4ELNS1_3repE0EEENS1_30default_config_static_selectorELNS0_4arch9wavefront6targetE1EEEvSZ_.has_recursion, 0
	.set _ZN7rocprim17ROCPRIM_400000_NS6detail17trampoline_kernelINS0_13select_configILj256ELj13ELNS0_17block_load_methodE3ELS4_3ELS4_3ELNS0_20block_scan_algorithmE0ELj4294967295EEENS1_25partition_config_selectorILNS1_17partition_subalgoE4EjNS0_10empty_typeEbEEZZNS1_14partition_implILS8_4ELb0ES6_15HIP_vector_typeIjLj2EENS0_17counting_iteratorIjlEEPS9_SG_NS0_5tupleIJPjSI_NS0_16reverse_iteratorISI_EEEEENSH_IJSG_SG_SG_EEES9_SI_JZNS1_25segmented_radix_sort_implINS0_14default_configELb0EPKlPlSQ_SR_N2at6native12_GLOBAL__N_18offset_tEEE10hipError_tPvRmT1_PNSt15iterator_traitsISZ_E10value_typeET2_T3_PNS10_IS15_E10value_typeET4_jRbjT5_S1B_jjP12ihipStream_tbEUljE_ZNSN_ISO_Lb0ESQ_SR_SQ_SR_SV_EESW_SX_SY_SZ_S13_S14_S15_S18_S19_jS1A_jS1B_S1B_jjS1D_bEUljE0_EEESW_SX_SY_S15_S19_S1B_T6_T7_T9_mT8_S1D_bDpT10_ENKUlT_T0_E_clISt17integral_constantIbLb0EES1Q_IbLb1EEEEDaS1M_S1N_EUlS1M_E_NS1_11comp_targetILNS1_3genE10ELNS1_11target_archE1200ELNS1_3gpuE4ELNS1_3repE0EEENS1_30default_config_static_selectorELNS0_4arch9wavefront6targetE1EEEvSZ_.has_indirect_call, 0
	.section	.AMDGPU.csdata,"",@progbits
; Kernel info:
; codeLenInByte = 0
; TotalNumSgprs: 4
; NumVgprs: 0
; ScratchSize: 0
; MemoryBound: 0
; FloatMode: 240
; IeeeMode: 1
; LDSByteSize: 0 bytes/workgroup (compile time only)
; SGPRBlocks: 0
; VGPRBlocks: 0
; NumSGPRsForWavesPerEU: 4
; NumVGPRsForWavesPerEU: 1
; Occupancy: 10
; WaveLimiterHint : 0
; COMPUTE_PGM_RSRC2:SCRATCH_EN: 0
; COMPUTE_PGM_RSRC2:USER_SGPR: 6
; COMPUTE_PGM_RSRC2:TRAP_HANDLER: 0
; COMPUTE_PGM_RSRC2:TGID_X_EN: 1
; COMPUTE_PGM_RSRC2:TGID_Y_EN: 0
; COMPUTE_PGM_RSRC2:TGID_Z_EN: 0
; COMPUTE_PGM_RSRC2:TIDIG_COMP_CNT: 0
	.section	.text._ZN7rocprim17ROCPRIM_400000_NS6detail17trampoline_kernelINS0_13select_configILj256ELj13ELNS0_17block_load_methodE3ELS4_3ELS4_3ELNS0_20block_scan_algorithmE0ELj4294967295EEENS1_25partition_config_selectorILNS1_17partition_subalgoE4EjNS0_10empty_typeEbEEZZNS1_14partition_implILS8_4ELb0ES6_15HIP_vector_typeIjLj2EENS0_17counting_iteratorIjlEEPS9_SG_NS0_5tupleIJPjSI_NS0_16reverse_iteratorISI_EEEEENSH_IJSG_SG_SG_EEES9_SI_JZNS1_25segmented_radix_sort_implINS0_14default_configELb0EPKlPlSQ_SR_N2at6native12_GLOBAL__N_18offset_tEEE10hipError_tPvRmT1_PNSt15iterator_traitsISZ_E10value_typeET2_T3_PNS10_IS15_E10value_typeET4_jRbjT5_S1B_jjP12ihipStream_tbEUljE_ZNSN_ISO_Lb0ESQ_SR_SQ_SR_SV_EESW_SX_SY_SZ_S13_S14_S15_S18_S19_jS1A_jS1B_S1B_jjS1D_bEUljE0_EEESW_SX_SY_S15_S19_S1B_T6_T7_T9_mT8_S1D_bDpT10_ENKUlT_T0_E_clISt17integral_constantIbLb0EES1Q_IbLb1EEEEDaS1M_S1N_EUlS1M_E_NS1_11comp_targetILNS1_3genE9ELNS1_11target_archE1100ELNS1_3gpuE3ELNS1_3repE0EEENS1_30default_config_static_selectorELNS0_4arch9wavefront6targetE1EEEvSZ_,"axG",@progbits,_ZN7rocprim17ROCPRIM_400000_NS6detail17trampoline_kernelINS0_13select_configILj256ELj13ELNS0_17block_load_methodE3ELS4_3ELS4_3ELNS0_20block_scan_algorithmE0ELj4294967295EEENS1_25partition_config_selectorILNS1_17partition_subalgoE4EjNS0_10empty_typeEbEEZZNS1_14partition_implILS8_4ELb0ES6_15HIP_vector_typeIjLj2EENS0_17counting_iteratorIjlEEPS9_SG_NS0_5tupleIJPjSI_NS0_16reverse_iteratorISI_EEEEENSH_IJSG_SG_SG_EEES9_SI_JZNS1_25segmented_radix_sort_implINS0_14default_configELb0EPKlPlSQ_SR_N2at6native12_GLOBAL__N_18offset_tEEE10hipError_tPvRmT1_PNSt15iterator_traitsISZ_E10value_typeET2_T3_PNS10_IS15_E10value_typeET4_jRbjT5_S1B_jjP12ihipStream_tbEUljE_ZNSN_ISO_Lb0ESQ_SR_SQ_SR_SV_EESW_SX_SY_SZ_S13_S14_S15_S18_S19_jS1A_jS1B_S1B_jjS1D_bEUljE0_EEESW_SX_SY_S15_S19_S1B_T6_T7_T9_mT8_S1D_bDpT10_ENKUlT_T0_E_clISt17integral_constantIbLb0EES1Q_IbLb1EEEEDaS1M_S1N_EUlS1M_E_NS1_11comp_targetILNS1_3genE9ELNS1_11target_archE1100ELNS1_3gpuE3ELNS1_3repE0EEENS1_30default_config_static_selectorELNS0_4arch9wavefront6targetE1EEEvSZ_,comdat
	.globl	_ZN7rocprim17ROCPRIM_400000_NS6detail17trampoline_kernelINS0_13select_configILj256ELj13ELNS0_17block_load_methodE3ELS4_3ELS4_3ELNS0_20block_scan_algorithmE0ELj4294967295EEENS1_25partition_config_selectorILNS1_17partition_subalgoE4EjNS0_10empty_typeEbEEZZNS1_14partition_implILS8_4ELb0ES6_15HIP_vector_typeIjLj2EENS0_17counting_iteratorIjlEEPS9_SG_NS0_5tupleIJPjSI_NS0_16reverse_iteratorISI_EEEEENSH_IJSG_SG_SG_EEES9_SI_JZNS1_25segmented_radix_sort_implINS0_14default_configELb0EPKlPlSQ_SR_N2at6native12_GLOBAL__N_18offset_tEEE10hipError_tPvRmT1_PNSt15iterator_traitsISZ_E10value_typeET2_T3_PNS10_IS15_E10value_typeET4_jRbjT5_S1B_jjP12ihipStream_tbEUljE_ZNSN_ISO_Lb0ESQ_SR_SQ_SR_SV_EESW_SX_SY_SZ_S13_S14_S15_S18_S19_jS1A_jS1B_S1B_jjS1D_bEUljE0_EEESW_SX_SY_S15_S19_S1B_T6_T7_T9_mT8_S1D_bDpT10_ENKUlT_T0_E_clISt17integral_constantIbLb0EES1Q_IbLb1EEEEDaS1M_S1N_EUlS1M_E_NS1_11comp_targetILNS1_3genE9ELNS1_11target_archE1100ELNS1_3gpuE3ELNS1_3repE0EEENS1_30default_config_static_selectorELNS0_4arch9wavefront6targetE1EEEvSZ_ ; -- Begin function _ZN7rocprim17ROCPRIM_400000_NS6detail17trampoline_kernelINS0_13select_configILj256ELj13ELNS0_17block_load_methodE3ELS4_3ELS4_3ELNS0_20block_scan_algorithmE0ELj4294967295EEENS1_25partition_config_selectorILNS1_17partition_subalgoE4EjNS0_10empty_typeEbEEZZNS1_14partition_implILS8_4ELb0ES6_15HIP_vector_typeIjLj2EENS0_17counting_iteratorIjlEEPS9_SG_NS0_5tupleIJPjSI_NS0_16reverse_iteratorISI_EEEEENSH_IJSG_SG_SG_EEES9_SI_JZNS1_25segmented_radix_sort_implINS0_14default_configELb0EPKlPlSQ_SR_N2at6native12_GLOBAL__N_18offset_tEEE10hipError_tPvRmT1_PNSt15iterator_traitsISZ_E10value_typeET2_T3_PNS10_IS15_E10value_typeET4_jRbjT5_S1B_jjP12ihipStream_tbEUljE_ZNSN_ISO_Lb0ESQ_SR_SQ_SR_SV_EESW_SX_SY_SZ_S13_S14_S15_S18_S19_jS1A_jS1B_S1B_jjS1D_bEUljE0_EEESW_SX_SY_S15_S19_S1B_T6_T7_T9_mT8_S1D_bDpT10_ENKUlT_T0_E_clISt17integral_constantIbLb0EES1Q_IbLb1EEEEDaS1M_S1N_EUlS1M_E_NS1_11comp_targetILNS1_3genE9ELNS1_11target_archE1100ELNS1_3gpuE3ELNS1_3repE0EEENS1_30default_config_static_selectorELNS0_4arch9wavefront6targetE1EEEvSZ_
	.p2align	8
	.type	_ZN7rocprim17ROCPRIM_400000_NS6detail17trampoline_kernelINS0_13select_configILj256ELj13ELNS0_17block_load_methodE3ELS4_3ELS4_3ELNS0_20block_scan_algorithmE0ELj4294967295EEENS1_25partition_config_selectorILNS1_17partition_subalgoE4EjNS0_10empty_typeEbEEZZNS1_14partition_implILS8_4ELb0ES6_15HIP_vector_typeIjLj2EENS0_17counting_iteratorIjlEEPS9_SG_NS0_5tupleIJPjSI_NS0_16reverse_iteratorISI_EEEEENSH_IJSG_SG_SG_EEES9_SI_JZNS1_25segmented_radix_sort_implINS0_14default_configELb0EPKlPlSQ_SR_N2at6native12_GLOBAL__N_18offset_tEEE10hipError_tPvRmT1_PNSt15iterator_traitsISZ_E10value_typeET2_T3_PNS10_IS15_E10value_typeET4_jRbjT5_S1B_jjP12ihipStream_tbEUljE_ZNSN_ISO_Lb0ESQ_SR_SQ_SR_SV_EESW_SX_SY_SZ_S13_S14_S15_S18_S19_jS1A_jS1B_S1B_jjS1D_bEUljE0_EEESW_SX_SY_S15_S19_S1B_T6_T7_T9_mT8_S1D_bDpT10_ENKUlT_T0_E_clISt17integral_constantIbLb0EES1Q_IbLb1EEEEDaS1M_S1N_EUlS1M_E_NS1_11comp_targetILNS1_3genE9ELNS1_11target_archE1100ELNS1_3gpuE3ELNS1_3repE0EEENS1_30default_config_static_selectorELNS0_4arch9wavefront6targetE1EEEvSZ_,@function
_ZN7rocprim17ROCPRIM_400000_NS6detail17trampoline_kernelINS0_13select_configILj256ELj13ELNS0_17block_load_methodE3ELS4_3ELS4_3ELNS0_20block_scan_algorithmE0ELj4294967295EEENS1_25partition_config_selectorILNS1_17partition_subalgoE4EjNS0_10empty_typeEbEEZZNS1_14partition_implILS8_4ELb0ES6_15HIP_vector_typeIjLj2EENS0_17counting_iteratorIjlEEPS9_SG_NS0_5tupleIJPjSI_NS0_16reverse_iteratorISI_EEEEENSH_IJSG_SG_SG_EEES9_SI_JZNS1_25segmented_radix_sort_implINS0_14default_configELb0EPKlPlSQ_SR_N2at6native12_GLOBAL__N_18offset_tEEE10hipError_tPvRmT1_PNSt15iterator_traitsISZ_E10value_typeET2_T3_PNS10_IS15_E10value_typeET4_jRbjT5_S1B_jjP12ihipStream_tbEUljE_ZNSN_ISO_Lb0ESQ_SR_SQ_SR_SV_EESW_SX_SY_SZ_S13_S14_S15_S18_S19_jS1A_jS1B_S1B_jjS1D_bEUljE0_EEESW_SX_SY_S15_S19_S1B_T6_T7_T9_mT8_S1D_bDpT10_ENKUlT_T0_E_clISt17integral_constantIbLb0EES1Q_IbLb1EEEEDaS1M_S1N_EUlS1M_E_NS1_11comp_targetILNS1_3genE9ELNS1_11target_archE1100ELNS1_3gpuE3ELNS1_3repE0EEENS1_30default_config_static_selectorELNS0_4arch9wavefront6targetE1EEEvSZ_: ; @_ZN7rocprim17ROCPRIM_400000_NS6detail17trampoline_kernelINS0_13select_configILj256ELj13ELNS0_17block_load_methodE3ELS4_3ELS4_3ELNS0_20block_scan_algorithmE0ELj4294967295EEENS1_25partition_config_selectorILNS1_17partition_subalgoE4EjNS0_10empty_typeEbEEZZNS1_14partition_implILS8_4ELb0ES6_15HIP_vector_typeIjLj2EENS0_17counting_iteratorIjlEEPS9_SG_NS0_5tupleIJPjSI_NS0_16reverse_iteratorISI_EEEEENSH_IJSG_SG_SG_EEES9_SI_JZNS1_25segmented_radix_sort_implINS0_14default_configELb0EPKlPlSQ_SR_N2at6native12_GLOBAL__N_18offset_tEEE10hipError_tPvRmT1_PNSt15iterator_traitsISZ_E10value_typeET2_T3_PNS10_IS15_E10value_typeET4_jRbjT5_S1B_jjP12ihipStream_tbEUljE_ZNSN_ISO_Lb0ESQ_SR_SQ_SR_SV_EESW_SX_SY_SZ_S13_S14_S15_S18_S19_jS1A_jS1B_S1B_jjS1D_bEUljE0_EEESW_SX_SY_S15_S19_S1B_T6_T7_T9_mT8_S1D_bDpT10_ENKUlT_T0_E_clISt17integral_constantIbLb0EES1Q_IbLb1EEEEDaS1M_S1N_EUlS1M_E_NS1_11comp_targetILNS1_3genE9ELNS1_11target_archE1100ELNS1_3gpuE3ELNS1_3repE0EEENS1_30default_config_static_selectorELNS0_4arch9wavefront6targetE1EEEvSZ_
; %bb.0:
	.section	.rodata,"a",@progbits
	.p2align	6, 0x0
	.amdhsa_kernel _ZN7rocprim17ROCPRIM_400000_NS6detail17trampoline_kernelINS0_13select_configILj256ELj13ELNS0_17block_load_methodE3ELS4_3ELS4_3ELNS0_20block_scan_algorithmE0ELj4294967295EEENS1_25partition_config_selectorILNS1_17partition_subalgoE4EjNS0_10empty_typeEbEEZZNS1_14partition_implILS8_4ELb0ES6_15HIP_vector_typeIjLj2EENS0_17counting_iteratorIjlEEPS9_SG_NS0_5tupleIJPjSI_NS0_16reverse_iteratorISI_EEEEENSH_IJSG_SG_SG_EEES9_SI_JZNS1_25segmented_radix_sort_implINS0_14default_configELb0EPKlPlSQ_SR_N2at6native12_GLOBAL__N_18offset_tEEE10hipError_tPvRmT1_PNSt15iterator_traitsISZ_E10value_typeET2_T3_PNS10_IS15_E10value_typeET4_jRbjT5_S1B_jjP12ihipStream_tbEUljE_ZNSN_ISO_Lb0ESQ_SR_SQ_SR_SV_EESW_SX_SY_SZ_S13_S14_S15_S18_S19_jS1A_jS1B_S1B_jjS1D_bEUljE0_EEESW_SX_SY_S15_S19_S1B_T6_T7_T9_mT8_S1D_bDpT10_ENKUlT_T0_E_clISt17integral_constantIbLb0EES1Q_IbLb1EEEEDaS1M_S1N_EUlS1M_E_NS1_11comp_targetILNS1_3genE9ELNS1_11target_archE1100ELNS1_3gpuE3ELNS1_3repE0EEENS1_30default_config_static_selectorELNS0_4arch9wavefront6targetE1EEEvSZ_
		.amdhsa_group_segment_fixed_size 0
		.amdhsa_private_segment_fixed_size 0
		.amdhsa_kernarg_size 184
		.amdhsa_user_sgpr_count 6
		.amdhsa_user_sgpr_private_segment_buffer 1
		.amdhsa_user_sgpr_dispatch_ptr 0
		.amdhsa_user_sgpr_queue_ptr 0
		.amdhsa_user_sgpr_kernarg_segment_ptr 1
		.amdhsa_user_sgpr_dispatch_id 0
		.amdhsa_user_sgpr_flat_scratch_init 0
		.amdhsa_user_sgpr_private_segment_size 0
		.amdhsa_uses_dynamic_stack 0
		.amdhsa_system_sgpr_private_segment_wavefront_offset 0
		.amdhsa_system_sgpr_workgroup_id_x 1
		.amdhsa_system_sgpr_workgroup_id_y 0
		.amdhsa_system_sgpr_workgroup_id_z 0
		.amdhsa_system_sgpr_workgroup_info 0
		.amdhsa_system_vgpr_workitem_id 0
		.amdhsa_next_free_vgpr 1
		.amdhsa_next_free_sgpr 0
		.amdhsa_reserve_vcc 0
		.amdhsa_reserve_flat_scratch 0
		.amdhsa_float_round_mode_32 0
		.amdhsa_float_round_mode_16_64 0
		.amdhsa_float_denorm_mode_32 3
		.amdhsa_float_denorm_mode_16_64 3
		.amdhsa_dx10_clamp 1
		.amdhsa_ieee_mode 1
		.amdhsa_fp16_overflow 0
		.amdhsa_exception_fp_ieee_invalid_op 0
		.amdhsa_exception_fp_denorm_src 0
		.amdhsa_exception_fp_ieee_div_zero 0
		.amdhsa_exception_fp_ieee_overflow 0
		.amdhsa_exception_fp_ieee_underflow 0
		.amdhsa_exception_fp_ieee_inexact 0
		.amdhsa_exception_int_div_zero 0
	.end_amdhsa_kernel
	.section	.text._ZN7rocprim17ROCPRIM_400000_NS6detail17trampoline_kernelINS0_13select_configILj256ELj13ELNS0_17block_load_methodE3ELS4_3ELS4_3ELNS0_20block_scan_algorithmE0ELj4294967295EEENS1_25partition_config_selectorILNS1_17partition_subalgoE4EjNS0_10empty_typeEbEEZZNS1_14partition_implILS8_4ELb0ES6_15HIP_vector_typeIjLj2EENS0_17counting_iteratorIjlEEPS9_SG_NS0_5tupleIJPjSI_NS0_16reverse_iteratorISI_EEEEENSH_IJSG_SG_SG_EEES9_SI_JZNS1_25segmented_radix_sort_implINS0_14default_configELb0EPKlPlSQ_SR_N2at6native12_GLOBAL__N_18offset_tEEE10hipError_tPvRmT1_PNSt15iterator_traitsISZ_E10value_typeET2_T3_PNS10_IS15_E10value_typeET4_jRbjT5_S1B_jjP12ihipStream_tbEUljE_ZNSN_ISO_Lb0ESQ_SR_SQ_SR_SV_EESW_SX_SY_SZ_S13_S14_S15_S18_S19_jS1A_jS1B_S1B_jjS1D_bEUljE0_EEESW_SX_SY_S15_S19_S1B_T6_T7_T9_mT8_S1D_bDpT10_ENKUlT_T0_E_clISt17integral_constantIbLb0EES1Q_IbLb1EEEEDaS1M_S1N_EUlS1M_E_NS1_11comp_targetILNS1_3genE9ELNS1_11target_archE1100ELNS1_3gpuE3ELNS1_3repE0EEENS1_30default_config_static_selectorELNS0_4arch9wavefront6targetE1EEEvSZ_,"axG",@progbits,_ZN7rocprim17ROCPRIM_400000_NS6detail17trampoline_kernelINS0_13select_configILj256ELj13ELNS0_17block_load_methodE3ELS4_3ELS4_3ELNS0_20block_scan_algorithmE0ELj4294967295EEENS1_25partition_config_selectorILNS1_17partition_subalgoE4EjNS0_10empty_typeEbEEZZNS1_14partition_implILS8_4ELb0ES6_15HIP_vector_typeIjLj2EENS0_17counting_iteratorIjlEEPS9_SG_NS0_5tupleIJPjSI_NS0_16reverse_iteratorISI_EEEEENSH_IJSG_SG_SG_EEES9_SI_JZNS1_25segmented_radix_sort_implINS0_14default_configELb0EPKlPlSQ_SR_N2at6native12_GLOBAL__N_18offset_tEEE10hipError_tPvRmT1_PNSt15iterator_traitsISZ_E10value_typeET2_T3_PNS10_IS15_E10value_typeET4_jRbjT5_S1B_jjP12ihipStream_tbEUljE_ZNSN_ISO_Lb0ESQ_SR_SQ_SR_SV_EESW_SX_SY_SZ_S13_S14_S15_S18_S19_jS1A_jS1B_S1B_jjS1D_bEUljE0_EEESW_SX_SY_S15_S19_S1B_T6_T7_T9_mT8_S1D_bDpT10_ENKUlT_T0_E_clISt17integral_constantIbLb0EES1Q_IbLb1EEEEDaS1M_S1N_EUlS1M_E_NS1_11comp_targetILNS1_3genE9ELNS1_11target_archE1100ELNS1_3gpuE3ELNS1_3repE0EEENS1_30default_config_static_selectorELNS0_4arch9wavefront6targetE1EEEvSZ_,comdat
.Lfunc_end773:
	.size	_ZN7rocprim17ROCPRIM_400000_NS6detail17trampoline_kernelINS0_13select_configILj256ELj13ELNS0_17block_load_methodE3ELS4_3ELS4_3ELNS0_20block_scan_algorithmE0ELj4294967295EEENS1_25partition_config_selectorILNS1_17partition_subalgoE4EjNS0_10empty_typeEbEEZZNS1_14partition_implILS8_4ELb0ES6_15HIP_vector_typeIjLj2EENS0_17counting_iteratorIjlEEPS9_SG_NS0_5tupleIJPjSI_NS0_16reverse_iteratorISI_EEEEENSH_IJSG_SG_SG_EEES9_SI_JZNS1_25segmented_radix_sort_implINS0_14default_configELb0EPKlPlSQ_SR_N2at6native12_GLOBAL__N_18offset_tEEE10hipError_tPvRmT1_PNSt15iterator_traitsISZ_E10value_typeET2_T3_PNS10_IS15_E10value_typeET4_jRbjT5_S1B_jjP12ihipStream_tbEUljE_ZNSN_ISO_Lb0ESQ_SR_SQ_SR_SV_EESW_SX_SY_SZ_S13_S14_S15_S18_S19_jS1A_jS1B_S1B_jjS1D_bEUljE0_EEESW_SX_SY_S15_S19_S1B_T6_T7_T9_mT8_S1D_bDpT10_ENKUlT_T0_E_clISt17integral_constantIbLb0EES1Q_IbLb1EEEEDaS1M_S1N_EUlS1M_E_NS1_11comp_targetILNS1_3genE9ELNS1_11target_archE1100ELNS1_3gpuE3ELNS1_3repE0EEENS1_30default_config_static_selectorELNS0_4arch9wavefront6targetE1EEEvSZ_, .Lfunc_end773-_ZN7rocprim17ROCPRIM_400000_NS6detail17trampoline_kernelINS0_13select_configILj256ELj13ELNS0_17block_load_methodE3ELS4_3ELS4_3ELNS0_20block_scan_algorithmE0ELj4294967295EEENS1_25partition_config_selectorILNS1_17partition_subalgoE4EjNS0_10empty_typeEbEEZZNS1_14partition_implILS8_4ELb0ES6_15HIP_vector_typeIjLj2EENS0_17counting_iteratorIjlEEPS9_SG_NS0_5tupleIJPjSI_NS0_16reverse_iteratorISI_EEEEENSH_IJSG_SG_SG_EEES9_SI_JZNS1_25segmented_radix_sort_implINS0_14default_configELb0EPKlPlSQ_SR_N2at6native12_GLOBAL__N_18offset_tEEE10hipError_tPvRmT1_PNSt15iterator_traitsISZ_E10value_typeET2_T3_PNS10_IS15_E10value_typeET4_jRbjT5_S1B_jjP12ihipStream_tbEUljE_ZNSN_ISO_Lb0ESQ_SR_SQ_SR_SV_EESW_SX_SY_SZ_S13_S14_S15_S18_S19_jS1A_jS1B_S1B_jjS1D_bEUljE0_EEESW_SX_SY_S15_S19_S1B_T6_T7_T9_mT8_S1D_bDpT10_ENKUlT_T0_E_clISt17integral_constantIbLb0EES1Q_IbLb1EEEEDaS1M_S1N_EUlS1M_E_NS1_11comp_targetILNS1_3genE9ELNS1_11target_archE1100ELNS1_3gpuE3ELNS1_3repE0EEENS1_30default_config_static_selectorELNS0_4arch9wavefront6targetE1EEEvSZ_
                                        ; -- End function
	.set _ZN7rocprim17ROCPRIM_400000_NS6detail17trampoline_kernelINS0_13select_configILj256ELj13ELNS0_17block_load_methodE3ELS4_3ELS4_3ELNS0_20block_scan_algorithmE0ELj4294967295EEENS1_25partition_config_selectorILNS1_17partition_subalgoE4EjNS0_10empty_typeEbEEZZNS1_14partition_implILS8_4ELb0ES6_15HIP_vector_typeIjLj2EENS0_17counting_iteratorIjlEEPS9_SG_NS0_5tupleIJPjSI_NS0_16reverse_iteratorISI_EEEEENSH_IJSG_SG_SG_EEES9_SI_JZNS1_25segmented_radix_sort_implINS0_14default_configELb0EPKlPlSQ_SR_N2at6native12_GLOBAL__N_18offset_tEEE10hipError_tPvRmT1_PNSt15iterator_traitsISZ_E10value_typeET2_T3_PNS10_IS15_E10value_typeET4_jRbjT5_S1B_jjP12ihipStream_tbEUljE_ZNSN_ISO_Lb0ESQ_SR_SQ_SR_SV_EESW_SX_SY_SZ_S13_S14_S15_S18_S19_jS1A_jS1B_S1B_jjS1D_bEUljE0_EEESW_SX_SY_S15_S19_S1B_T6_T7_T9_mT8_S1D_bDpT10_ENKUlT_T0_E_clISt17integral_constantIbLb0EES1Q_IbLb1EEEEDaS1M_S1N_EUlS1M_E_NS1_11comp_targetILNS1_3genE9ELNS1_11target_archE1100ELNS1_3gpuE3ELNS1_3repE0EEENS1_30default_config_static_selectorELNS0_4arch9wavefront6targetE1EEEvSZ_.num_vgpr, 0
	.set _ZN7rocprim17ROCPRIM_400000_NS6detail17trampoline_kernelINS0_13select_configILj256ELj13ELNS0_17block_load_methodE3ELS4_3ELS4_3ELNS0_20block_scan_algorithmE0ELj4294967295EEENS1_25partition_config_selectorILNS1_17partition_subalgoE4EjNS0_10empty_typeEbEEZZNS1_14partition_implILS8_4ELb0ES6_15HIP_vector_typeIjLj2EENS0_17counting_iteratorIjlEEPS9_SG_NS0_5tupleIJPjSI_NS0_16reverse_iteratorISI_EEEEENSH_IJSG_SG_SG_EEES9_SI_JZNS1_25segmented_radix_sort_implINS0_14default_configELb0EPKlPlSQ_SR_N2at6native12_GLOBAL__N_18offset_tEEE10hipError_tPvRmT1_PNSt15iterator_traitsISZ_E10value_typeET2_T3_PNS10_IS15_E10value_typeET4_jRbjT5_S1B_jjP12ihipStream_tbEUljE_ZNSN_ISO_Lb0ESQ_SR_SQ_SR_SV_EESW_SX_SY_SZ_S13_S14_S15_S18_S19_jS1A_jS1B_S1B_jjS1D_bEUljE0_EEESW_SX_SY_S15_S19_S1B_T6_T7_T9_mT8_S1D_bDpT10_ENKUlT_T0_E_clISt17integral_constantIbLb0EES1Q_IbLb1EEEEDaS1M_S1N_EUlS1M_E_NS1_11comp_targetILNS1_3genE9ELNS1_11target_archE1100ELNS1_3gpuE3ELNS1_3repE0EEENS1_30default_config_static_selectorELNS0_4arch9wavefront6targetE1EEEvSZ_.num_agpr, 0
	.set _ZN7rocprim17ROCPRIM_400000_NS6detail17trampoline_kernelINS0_13select_configILj256ELj13ELNS0_17block_load_methodE3ELS4_3ELS4_3ELNS0_20block_scan_algorithmE0ELj4294967295EEENS1_25partition_config_selectorILNS1_17partition_subalgoE4EjNS0_10empty_typeEbEEZZNS1_14partition_implILS8_4ELb0ES6_15HIP_vector_typeIjLj2EENS0_17counting_iteratorIjlEEPS9_SG_NS0_5tupleIJPjSI_NS0_16reverse_iteratorISI_EEEEENSH_IJSG_SG_SG_EEES9_SI_JZNS1_25segmented_radix_sort_implINS0_14default_configELb0EPKlPlSQ_SR_N2at6native12_GLOBAL__N_18offset_tEEE10hipError_tPvRmT1_PNSt15iterator_traitsISZ_E10value_typeET2_T3_PNS10_IS15_E10value_typeET4_jRbjT5_S1B_jjP12ihipStream_tbEUljE_ZNSN_ISO_Lb0ESQ_SR_SQ_SR_SV_EESW_SX_SY_SZ_S13_S14_S15_S18_S19_jS1A_jS1B_S1B_jjS1D_bEUljE0_EEESW_SX_SY_S15_S19_S1B_T6_T7_T9_mT8_S1D_bDpT10_ENKUlT_T0_E_clISt17integral_constantIbLb0EES1Q_IbLb1EEEEDaS1M_S1N_EUlS1M_E_NS1_11comp_targetILNS1_3genE9ELNS1_11target_archE1100ELNS1_3gpuE3ELNS1_3repE0EEENS1_30default_config_static_selectorELNS0_4arch9wavefront6targetE1EEEvSZ_.numbered_sgpr, 0
	.set _ZN7rocprim17ROCPRIM_400000_NS6detail17trampoline_kernelINS0_13select_configILj256ELj13ELNS0_17block_load_methodE3ELS4_3ELS4_3ELNS0_20block_scan_algorithmE0ELj4294967295EEENS1_25partition_config_selectorILNS1_17partition_subalgoE4EjNS0_10empty_typeEbEEZZNS1_14partition_implILS8_4ELb0ES6_15HIP_vector_typeIjLj2EENS0_17counting_iteratorIjlEEPS9_SG_NS0_5tupleIJPjSI_NS0_16reverse_iteratorISI_EEEEENSH_IJSG_SG_SG_EEES9_SI_JZNS1_25segmented_radix_sort_implINS0_14default_configELb0EPKlPlSQ_SR_N2at6native12_GLOBAL__N_18offset_tEEE10hipError_tPvRmT1_PNSt15iterator_traitsISZ_E10value_typeET2_T3_PNS10_IS15_E10value_typeET4_jRbjT5_S1B_jjP12ihipStream_tbEUljE_ZNSN_ISO_Lb0ESQ_SR_SQ_SR_SV_EESW_SX_SY_SZ_S13_S14_S15_S18_S19_jS1A_jS1B_S1B_jjS1D_bEUljE0_EEESW_SX_SY_S15_S19_S1B_T6_T7_T9_mT8_S1D_bDpT10_ENKUlT_T0_E_clISt17integral_constantIbLb0EES1Q_IbLb1EEEEDaS1M_S1N_EUlS1M_E_NS1_11comp_targetILNS1_3genE9ELNS1_11target_archE1100ELNS1_3gpuE3ELNS1_3repE0EEENS1_30default_config_static_selectorELNS0_4arch9wavefront6targetE1EEEvSZ_.num_named_barrier, 0
	.set _ZN7rocprim17ROCPRIM_400000_NS6detail17trampoline_kernelINS0_13select_configILj256ELj13ELNS0_17block_load_methodE3ELS4_3ELS4_3ELNS0_20block_scan_algorithmE0ELj4294967295EEENS1_25partition_config_selectorILNS1_17partition_subalgoE4EjNS0_10empty_typeEbEEZZNS1_14partition_implILS8_4ELb0ES6_15HIP_vector_typeIjLj2EENS0_17counting_iteratorIjlEEPS9_SG_NS0_5tupleIJPjSI_NS0_16reverse_iteratorISI_EEEEENSH_IJSG_SG_SG_EEES9_SI_JZNS1_25segmented_radix_sort_implINS0_14default_configELb0EPKlPlSQ_SR_N2at6native12_GLOBAL__N_18offset_tEEE10hipError_tPvRmT1_PNSt15iterator_traitsISZ_E10value_typeET2_T3_PNS10_IS15_E10value_typeET4_jRbjT5_S1B_jjP12ihipStream_tbEUljE_ZNSN_ISO_Lb0ESQ_SR_SQ_SR_SV_EESW_SX_SY_SZ_S13_S14_S15_S18_S19_jS1A_jS1B_S1B_jjS1D_bEUljE0_EEESW_SX_SY_S15_S19_S1B_T6_T7_T9_mT8_S1D_bDpT10_ENKUlT_T0_E_clISt17integral_constantIbLb0EES1Q_IbLb1EEEEDaS1M_S1N_EUlS1M_E_NS1_11comp_targetILNS1_3genE9ELNS1_11target_archE1100ELNS1_3gpuE3ELNS1_3repE0EEENS1_30default_config_static_selectorELNS0_4arch9wavefront6targetE1EEEvSZ_.private_seg_size, 0
	.set _ZN7rocprim17ROCPRIM_400000_NS6detail17trampoline_kernelINS0_13select_configILj256ELj13ELNS0_17block_load_methodE3ELS4_3ELS4_3ELNS0_20block_scan_algorithmE0ELj4294967295EEENS1_25partition_config_selectorILNS1_17partition_subalgoE4EjNS0_10empty_typeEbEEZZNS1_14partition_implILS8_4ELb0ES6_15HIP_vector_typeIjLj2EENS0_17counting_iteratorIjlEEPS9_SG_NS0_5tupleIJPjSI_NS0_16reverse_iteratorISI_EEEEENSH_IJSG_SG_SG_EEES9_SI_JZNS1_25segmented_radix_sort_implINS0_14default_configELb0EPKlPlSQ_SR_N2at6native12_GLOBAL__N_18offset_tEEE10hipError_tPvRmT1_PNSt15iterator_traitsISZ_E10value_typeET2_T3_PNS10_IS15_E10value_typeET4_jRbjT5_S1B_jjP12ihipStream_tbEUljE_ZNSN_ISO_Lb0ESQ_SR_SQ_SR_SV_EESW_SX_SY_SZ_S13_S14_S15_S18_S19_jS1A_jS1B_S1B_jjS1D_bEUljE0_EEESW_SX_SY_S15_S19_S1B_T6_T7_T9_mT8_S1D_bDpT10_ENKUlT_T0_E_clISt17integral_constantIbLb0EES1Q_IbLb1EEEEDaS1M_S1N_EUlS1M_E_NS1_11comp_targetILNS1_3genE9ELNS1_11target_archE1100ELNS1_3gpuE3ELNS1_3repE0EEENS1_30default_config_static_selectorELNS0_4arch9wavefront6targetE1EEEvSZ_.uses_vcc, 0
	.set _ZN7rocprim17ROCPRIM_400000_NS6detail17trampoline_kernelINS0_13select_configILj256ELj13ELNS0_17block_load_methodE3ELS4_3ELS4_3ELNS0_20block_scan_algorithmE0ELj4294967295EEENS1_25partition_config_selectorILNS1_17partition_subalgoE4EjNS0_10empty_typeEbEEZZNS1_14partition_implILS8_4ELb0ES6_15HIP_vector_typeIjLj2EENS0_17counting_iteratorIjlEEPS9_SG_NS0_5tupleIJPjSI_NS0_16reverse_iteratorISI_EEEEENSH_IJSG_SG_SG_EEES9_SI_JZNS1_25segmented_radix_sort_implINS0_14default_configELb0EPKlPlSQ_SR_N2at6native12_GLOBAL__N_18offset_tEEE10hipError_tPvRmT1_PNSt15iterator_traitsISZ_E10value_typeET2_T3_PNS10_IS15_E10value_typeET4_jRbjT5_S1B_jjP12ihipStream_tbEUljE_ZNSN_ISO_Lb0ESQ_SR_SQ_SR_SV_EESW_SX_SY_SZ_S13_S14_S15_S18_S19_jS1A_jS1B_S1B_jjS1D_bEUljE0_EEESW_SX_SY_S15_S19_S1B_T6_T7_T9_mT8_S1D_bDpT10_ENKUlT_T0_E_clISt17integral_constantIbLb0EES1Q_IbLb1EEEEDaS1M_S1N_EUlS1M_E_NS1_11comp_targetILNS1_3genE9ELNS1_11target_archE1100ELNS1_3gpuE3ELNS1_3repE0EEENS1_30default_config_static_selectorELNS0_4arch9wavefront6targetE1EEEvSZ_.uses_flat_scratch, 0
	.set _ZN7rocprim17ROCPRIM_400000_NS6detail17trampoline_kernelINS0_13select_configILj256ELj13ELNS0_17block_load_methodE3ELS4_3ELS4_3ELNS0_20block_scan_algorithmE0ELj4294967295EEENS1_25partition_config_selectorILNS1_17partition_subalgoE4EjNS0_10empty_typeEbEEZZNS1_14partition_implILS8_4ELb0ES6_15HIP_vector_typeIjLj2EENS0_17counting_iteratorIjlEEPS9_SG_NS0_5tupleIJPjSI_NS0_16reverse_iteratorISI_EEEEENSH_IJSG_SG_SG_EEES9_SI_JZNS1_25segmented_radix_sort_implINS0_14default_configELb0EPKlPlSQ_SR_N2at6native12_GLOBAL__N_18offset_tEEE10hipError_tPvRmT1_PNSt15iterator_traitsISZ_E10value_typeET2_T3_PNS10_IS15_E10value_typeET4_jRbjT5_S1B_jjP12ihipStream_tbEUljE_ZNSN_ISO_Lb0ESQ_SR_SQ_SR_SV_EESW_SX_SY_SZ_S13_S14_S15_S18_S19_jS1A_jS1B_S1B_jjS1D_bEUljE0_EEESW_SX_SY_S15_S19_S1B_T6_T7_T9_mT8_S1D_bDpT10_ENKUlT_T0_E_clISt17integral_constantIbLb0EES1Q_IbLb1EEEEDaS1M_S1N_EUlS1M_E_NS1_11comp_targetILNS1_3genE9ELNS1_11target_archE1100ELNS1_3gpuE3ELNS1_3repE0EEENS1_30default_config_static_selectorELNS0_4arch9wavefront6targetE1EEEvSZ_.has_dyn_sized_stack, 0
	.set _ZN7rocprim17ROCPRIM_400000_NS6detail17trampoline_kernelINS0_13select_configILj256ELj13ELNS0_17block_load_methodE3ELS4_3ELS4_3ELNS0_20block_scan_algorithmE0ELj4294967295EEENS1_25partition_config_selectorILNS1_17partition_subalgoE4EjNS0_10empty_typeEbEEZZNS1_14partition_implILS8_4ELb0ES6_15HIP_vector_typeIjLj2EENS0_17counting_iteratorIjlEEPS9_SG_NS0_5tupleIJPjSI_NS0_16reverse_iteratorISI_EEEEENSH_IJSG_SG_SG_EEES9_SI_JZNS1_25segmented_radix_sort_implINS0_14default_configELb0EPKlPlSQ_SR_N2at6native12_GLOBAL__N_18offset_tEEE10hipError_tPvRmT1_PNSt15iterator_traitsISZ_E10value_typeET2_T3_PNS10_IS15_E10value_typeET4_jRbjT5_S1B_jjP12ihipStream_tbEUljE_ZNSN_ISO_Lb0ESQ_SR_SQ_SR_SV_EESW_SX_SY_SZ_S13_S14_S15_S18_S19_jS1A_jS1B_S1B_jjS1D_bEUljE0_EEESW_SX_SY_S15_S19_S1B_T6_T7_T9_mT8_S1D_bDpT10_ENKUlT_T0_E_clISt17integral_constantIbLb0EES1Q_IbLb1EEEEDaS1M_S1N_EUlS1M_E_NS1_11comp_targetILNS1_3genE9ELNS1_11target_archE1100ELNS1_3gpuE3ELNS1_3repE0EEENS1_30default_config_static_selectorELNS0_4arch9wavefront6targetE1EEEvSZ_.has_recursion, 0
	.set _ZN7rocprim17ROCPRIM_400000_NS6detail17trampoline_kernelINS0_13select_configILj256ELj13ELNS0_17block_load_methodE3ELS4_3ELS4_3ELNS0_20block_scan_algorithmE0ELj4294967295EEENS1_25partition_config_selectorILNS1_17partition_subalgoE4EjNS0_10empty_typeEbEEZZNS1_14partition_implILS8_4ELb0ES6_15HIP_vector_typeIjLj2EENS0_17counting_iteratorIjlEEPS9_SG_NS0_5tupleIJPjSI_NS0_16reverse_iteratorISI_EEEEENSH_IJSG_SG_SG_EEES9_SI_JZNS1_25segmented_radix_sort_implINS0_14default_configELb0EPKlPlSQ_SR_N2at6native12_GLOBAL__N_18offset_tEEE10hipError_tPvRmT1_PNSt15iterator_traitsISZ_E10value_typeET2_T3_PNS10_IS15_E10value_typeET4_jRbjT5_S1B_jjP12ihipStream_tbEUljE_ZNSN_ISO_Lb0ESQ_SR_SQ_SR_SV_EESW_SX_SY_SZ_S13_S14_S15_S18_S19_jS1A_jS1B_S1B_jjS1D_bEUljE0_EEESW_SX_SY_S15_S19_S1B_T6_T7_T9_mT8_S1D_bDpT10_ENKUlT_T0_E_clISt17integral_constantIbLb0EES1Q_IbLb1EEEEDaS1M_S1N_EUlS1M_E_NS1_11comp_targetILNS1_3genE9ELNS1_11target_archE1100ELNS1_3gpuE3ELNS1_3repE0EEENS1_30default_config_static_selectorELNS0_4arch9wavefront6targetE1EEEvSZ_.has_indirect_call, 0
	.section	.AMDGPU.csdata,"",@progbits
; Kernel info:
; codeLenInByte = 0
; TotalNumSgprs: 4
; NumVgprs: 0
; ScratchSize: 0
; MemoryBound: 0
; FloatMode: 240
; IeeeMode: 1
; LDSByteSize: 0 bytes/workgroup (compile time only)
; SGPRBlocks: 0
; VGPRBlocks: 0
; NumSGPRsForWavesPerEU: 4
; NumVGPRsForWavesPerEU: 1
; Occupancy: 10
; WaveLimiterHint : 0
; COMPUTE_PGM_RSRC2:SCRATCH_EN: 0
; COMPUTE_PGM_RSRC2:USER_SGPR: 6
; COMPUTE_PGM_RSRC2:TRAP_HANDLER: 0
; COMPUTE_PGM_RSRC2:TGID_X_EN: 1
; COMPUTE_PGM_RSRC2:TGID_Y_EN: 0
; COMPUTE_PGM_RSRC2:TGID_Z_EN: 0
; COMPUTE_PGM_RSRC2:TIDIG_COMP_CNT: 0
	.section	.text._ZN7rocprim17ROCPRIM_400000_NS6detail17trampoline_kernelINS0_13select_configILj256ELj13ELNS0_17block_load_methodE3ELS4_3ELS4_3ELNS0_20block_scan_algorithmE0ELj4294967295EEENS1_25partition_config_selectorILNS1_17partition_subalgoE4EjNS0_10empty_typeEbEEZZNS1_14partition_implILS8_4ELb0ES6_15HIP_vector_typeIjLj2EENS0_17counting_iteratorIjlEEPS9_SG_NS0_5tupleIJPjSI_NS0_16reverse_iteratorISI_EEEEENSH_IJSG_SG_SG_EEES9_SI_JZNS1_25segmented_radix_sort_implINS0_14default_configELb0EPKlPlSQ_SR_N2at6native12_GLOBAL__N_18offset_tEEE10hipError_tPvRmT1_PNSt15iterator_traitsISZ_E10value_typeET2_T3_PNS10_IS15_E10value_typeET4_jRbjT5_S1B_jjP12ihipStream_tbEUljE_ZNSN_ISO_Lb0ESQ_SR_SQ_SR_SV_EESW_SX_SY_SZ_S13_S14_S15_S18_S19_jS1A_jS1B_S1B_jjS1D_bEUljE0_EEESW_SX_SY_S15_S19_S1B_T6_T7_T9_mT8_S1D_bDpT10_ENKUlT_T0_E_clISt17integral_constantIbLb0EES1Q_IbLb1EEEEDaS1M_S1N_EUlS1M_E_NS1_11comp_targetILNS1_3genE8ELNS1_11target_archE1030ELNS1_3gpuE2ELNS1_3repE0EEENS1_30default_config_static_selectorELNS0_4arch9wavefront6targetE1EEEvSZ_,"axG",@progbits,_ZN7rocprim17ROCPRIM_400000_NS6detail17trampoline_kernelINS0_13select_configILj256ELj13ELNS0_17block_load_methodE3ELS4_3ELS4_3ELNS0_20block_scan_algorithmE0ELj4294967295EEENS1_25partition_config_selectorILNS1_17partition_subalgoE4EjNS0_10empty_typeEbEEZZNS1_14partition_implILS8_4ELb0ES6_15HIP_vector_typeIjLj2EENS0_17counting_iteratorIjlEEPS9_SG_NS0_5tupleIJPjSI_NS0_16reverse_iteratorISI_EEEEENSH_IJSG_SG_SG_EEES9_SI_JZNS1_25segmented_radix_sort_implINS0_14default_configELb0EPKlPlSQ_SR_N2at6native12_GLOBAL__N_18offset_tEEE10hipError_tPvRmT1_PNSt15iterator_traitsISZ_E10value_typeET2_T3_PNS10_IS15_E10value_typeET4_jRbjT5_S1B_jjP12ihipStream_tbEUljE_ZNSN_ISO_Lb0ESQ_SR_SQ_SR_SV_EESW_SX_SY_SZ_S13_S14_S15_S18_S19_jS1A_jS1B_S1B_jjS1D_bEUljE0_EEESW_SX_SY_S15_S19_S1B_T6_T7_T9_mT8_S1D_bDpT10_ENKUlT_T0_E_clISt17integral_constantIbLb0EES1Q_IbLb1EEEEDaS1M_S1N_EUlS1M_E_NS1_11comp_targetILNS1_3genE8ELNS1_11target_archE1030ELNS1_3gpuE2ELNS1_3repE0EEENS1_30default_config_static_selectorELNS0_4arch9wavefront6targetE1EEEvSZ_,comdat
	.globl	_ZN7rocprim17ROCPRIM_400000_NS6detail17trampoline_kernelINS0_13select_configILj256ELj13ELNS0_17block_load_methodE3ELS4_3ELS4_3ELNS0_20block_scan_algorithmE0ELj4294967295EEENS1_25partition_config_selectorILNS1_17partition_subalgoE4EjNS0_10empty_typeEbEEZZNS1_14partition_implILS8_4ELb0ES6_15HIP_vector_typeIjLj2EENS0_17counting_iteratorIjlEEPS9_SG_NS0_5tupleIJPjSI_NS0_16reverse_iteratorISI_EEEEENSH_IJSG_SG_SG_EEES9_SI_JZNS1_25segmented_radix_sort_implINS0_14default_configELb0EPKlPlSQ_SR_N2at6native12_GLOBAL__N_18offset_tEEE10hipError_tPvRmT1_PNSt15iterator_traitsISZ_E10value_typeET2_T3_PNS10_IS15_E10value_typeET4_jRbjT5_S1B_jjP12ihipStream_tbEUljE_ZNSN_ISO_Lb0ESQ_SR_SQ_SR_SV_EESW_SX_SY_SZ_S13_S14_S15_S18_S19_jS1A_jS1B_S1B_jjS1D_bEUljE0_EEESW_SX_SY_S15_S19_S1B_T6_T7_T9_mT8_S1D_bDpT10_ENKUlT_T0_E_clISt17integral_constantIbLb0EES1Q_IbLb1EEEEDaS1M_S1N_EUlS1M_E_NS1_11comp_targetILNS1_3genE8ELNS1_11target_archE1030ELNS1_3gpuE2ELNS1_3repE0EEENS1_30default_config_static_selectorELNS0_4arch9wavefront6targetE1EEEvSZ_ ; -- Begin function _ZN7rocprim17ROCPRIM_400000_NS6detail17trampoline_kernelINS0_13select_configILj256ELj13ELNS0_17block_load_methodE3ELS4_3ELS4_3ELNS0_20block_scan_algorithmE0ELj4294967295EEENS1_25partition_config_selectorILNS1_17partition_subalgoE4EjNS0_10empty_typeEbEEZZNS1_14partition_implILS8_4ELb0ES6_15HIP_vector_typeIjLj2EENS0_17counting_iteratorIjlEEPS9_SG_NS0_5tupleIJPjSI_NS0_16reverse_iteratorISI_EEEEENSH_IJSG_SG_SG_EEES9_SI_JZNS1_25segmented_radix_sort_implINS0_14default_configELb0EPKlPlSQ_SR_N2at6native12_GLOBAL__N_18offset_tEEE10hipError_tPvRmT1_PNSt15iterator_traitsISZ_E10value_typeET2_T3_PNS10_IS15_E10value_typeET4_jRbjT5_S1B_jjP12ihipStream_tbEUljE_ZNSN_ISO_Lb0ESQ_SR_SQ_SR_SV_EESW_SX_SY_SZ_S13_S14_S15_S18_S19_jS1A_jS1B_S1B_jjS1D_bEUljE0_EEESW_SX_SY_S15_S19_S1B_T6_T7_T9_mT8_S1D_bDpT10_ENKUlT_T0_E_clISt17integral_constantIbLb0EES1Q_IbLb1EEEEDaS1M_S1N_EUlS1M_E_NS1_11comp_targetILNS1_3genE8ELNS1_11target_archE1030ELNS1_3gpuE2ELNS1_3repE0EEENS1_30default_config_static_selectorELNS0_4arch9wavefront6targetE1EEEvSZ_
	.p2align	8
	.type	_ZN7rocprim17ROCPRIM_400000_NS6detail17trampoline_kernelINS0_13select_configILj256ELj13ELNS0_17block_load_methodE3ELS4_3ELS4_3ELNS0_20block_scan_algorithmE0ELj4294967295EEENS1_25partition_config_selectorILNS1_17partition_subalgoE4EjNS0_10empty_typeEbEEZZNS1_14partition_implILS8_4ELb0ES6_15HIP_vector_typeIjLj2EENS0_17counting_iteratorIjlEEPS9_SG_NS0_5tupleIJPjSI_NS0_16reverse_iteratorISI_EEEEENSH_IJSG_SG_SG_EEES9_SI_JZNS1_25segmented_radix_sort_implINS0_14default_configELb0EPKlPlSQ_SR_N2at6native12_GLOBAL__N_18offset_tEEE10hipError_tPvRmT1_PNSt15iterator_traitsISZ_E10value_typeET2_T3_PNS10_IS15_E10value_typeET4_jRbjT5_S1B_jjP12ihipStream_tbEUljE_ZNSN_ISO_Lb0ESQ_SR_SQ_SR_SV_EESW_SX_SY_SZ_S13_S14_S15_S18_S19_jS1A_jS1B_S1B_jjS1D_bEUljE0_EEESW_SX_SY_S15_S19_S1B_T6_T7_T9_mT8_S1D_bDpT10_ENKUlT_T0_E_clISt17integral_constantIbLb0EES1Q_IbLb1EEEEDaS1M_S1N_EUlS1M_E_NS1_11comp_targetILNS1_3genE8ELNS1_11target_archE1030ELNS1_3gpuE2ELNS1_3repE0EEENS1_30default_config_static_selectorELNS0_4arch9wavefront6targetE1EEEvSZ_,@function
_ZN7rocprim17ROCPRIM_400000_NS6detail17trampoline_kernelINS0_13select_configILj256ELj13ELNS0_17block_load_methodE3ELS4_3ELS4_3ELNS0_20block_scan_algorithmE0ELj4294967295EEENS1_25partition_config_selectorILNS1_17partition_subalgoE4EjNS0_10empty_typeEbEEZZNS1_14partition_implILS8_4ELb0ES6_15HIP_vector_typeIjLj2EENS0_17counting_iteratorIjlEEPS9_SG_NS0_5tupleIJPjSI_NS0_16reverse_iteratorISI_EEEEENSH_IJSG_SG_SG_EEES9_SI_JZNS1_25segmented_radix_sort_implINS0_14default_configELb0EPKlPlSQ_SR_N2at6native12_GLOBAL__N_18offset_tEEE10hipError_tPvRmT1_PNSt15iterator_traitsISZ_E10value_typeET2_T3_PNS10_IS15_E10value_typeET4_jRbjT5_S1B_jjP12ihipStream_tbEUljE_ZNSN_ISO_Lb0ESQ_SR_SQ_SR_SV_EESW_SX_SY_SZ_S13_S14_S15_S18_S19_jS1A_jS1B_S1B_jjS1D_bEUljE0_EEESW_SX_SY_S15_S19_S1B_T6_T7_T9_mT8_S1D_bDpT10_ENKUlT_T0_E_clISt17integral_constantIbLb0EES1Q_IbLb1EEEEDaS1M_S1N_EUlS1M_E_NS1_11comp_targetILNS1_3genE8ELNS1_11target_archE1030ELNS1_3gpuE2ELNS1_3repE0EEENS1_30default_config_static_selectorELNS0_4arch9wavefront6targetE1EEEvSZ_: ; @_ZN7rocprim17ROCPRIM_400000_NS6detail17trampoline_kernelINS0_13select_configILj256ELj13ELNS0_17block_load_methodE3ELS4_3ELS4_3ELNS0_20block_scan_algorithmE0ELj4294967295EEENS1_25partition_config_selectorILNS1_17partition_subalgoE4EjNS0_10empty_typeEbEEZZNS1_14partition_implILS8_4ELb0ES6_15HIP_vector_typeIjLj2EENS0_17counting_iteratorIjlEEPS9_SG_NS0_5tupleIJPjSI_NS0_16reverse_iteratorISI_EEEEENSH_IJSG_SG_SG_EEES9_SI_JZNS1_25segmented_radix_sort_implINS0_14default_configELb0EPKlPlSQ_SR_N2at6native12_GLOBAL__N_18offset_tEEE10hipError_tPvRmT1_PNSt15iterator_traitsISZ_E10value_typeET2_T3_PNS10_IS15_E10value_typeET4_jRbjT5_S1B_jjP12ihipStream_tbEUljE_ZNSN_ISO_Lb0ESQ_SR_SQ_SR_SV_EESW_SX_SY_SZ_S13_S14_S15_S18_S19_jS1A_jS1B_S1B_jjS1D_bEUljE0_EEESW_SX_SY_S15_S19_S1B_T6_T7_T9_mT8_S1D_bDpT10_ENKUlT_T0_E_clISt17integral_constantIbLb0EES1Q_IbLb1EEEEDaS1M_S1N_EUlS1M_E_NS1_11comp_targetILNS1_3genE8ELNS1_11target_archE1030ELNS1_3gpuE2ELNS1_3repE0EEENS1_30default_config_static_selectorELNS0_4arch9wavefront6targetE1EEEvSZ_
; %bb.0:
	.section	.rodata,"a",@progbits
	.p2align	6, 0x0
	.amdhsa_kernel _ZN7rocprim17ROCPRIM_400000_NS6detail17trampoline_kernelINS0_13select_configILj256ELj13ELNS0_17block_load_methodE3ELS4_3ELS4_3ELNS0_20block_scan_algorithmE0ELj4294967295EEENS1_25partition_config_selectorILNS1_17partition_subalgoE4EjNS0_10empty_typeEbEEZZNS1_14partition_implILS8_4ELb0ES6_15HIP_vector_typeIjLj2EENS0_17counting_iteratorIjlEEPS9_SG_NS0_5tupleIJPjSI_NS0_16reverse_iteratorISI_EEEEENSH_IJSG_SG_SG_EEES9_SI_JZNS1_25segmented_radix_sort_implINS0_14default_configELb0EPKlPlSQ_SR_N2at6native12_GLOBAL__N_18offset_tEEE10hipError_tPvRmT1_PNSt15iterator_traitsISZ_E10value_typeET2_T3_PNS10_IS15_E10value_typeET4_jRbjT5_S1B_jjP12ihipStream_tbEUljE_ZNSN_ISO_Lb0ESQ_SR_SQ_SR_SV_EESW_SX_SY_SZ_S13_S14_S15_S18_S19_jS1A_jS1B_S1B_jjS1D_bEUljE0_EEESW_SX_SY_S15_S19_S1B_T6_T7_T9_mT8_S1D_bDpT10_ENKUlT_T0_E_clISt17integral_constantIbLb0EES1Q_IbLb1EEEEDaS1M_S1N_EUlS1M_E_NS1_11comp_targetILNS1_3genE8ELNS1_11target_archE1030ELNS1_3gpuE2ELNS1_3repE0EEENS1_30default_config_static_selectorELNS0_4arch9wavefront6targetE1EEEvSZ_
		.amdhsa_group_segment_fixed_size 0
		.amdhsa_private_segment_fixed_size 0
		.amdhsa_kernarg_size 184
		.amdhsa_user_sgpr_count 6
		.amdhsa_user_sgpr_private_segment_buffer 1
		.amdhsa_user_sgpr_dispatch_ptr 0
		.amdhsa_user_sgpr_queue_ptr 0
		.amdhsa_user_sgpr_kernarg_segment_ptr 1
		.amdhsa_user_sgpr_dispatch_id 0
		.amdhsa_user_sgpr_flat_scratch_init 0
		.amdhsa_user_sgpr_private_segment_size 0
		.amdhsa_uses_dynamic_stack 0
		.amdhsa_system_sgpr_private_segment_wavefront_offset 0
		.amdhsa_system_sgpr_workgroup_id_x 1
		.amdhsa_system_sgpr_workgroup_id_y 0
		.amdhsa_system_sgpr_workgroup_id_z 0
		.amdhsa_system_sgpr_workgroup_info 0
		.amdhsa_system_vgpr_workitem_id 0
		.amdhsa_next_free_vgpr 1
		.amdhsa_next_free_sgpr 0
		.amdhsa_reserve_vcc 0
		.amdhsa_reserve_flat_scratch 0
		.amdhsa_float_round_mode_32 0
		.amdhsa_float_round_mode_16_64 0
		.amdhsa_float_denorm_mode_32 3
		.amdhsa_float_denorm_mode_16_64 3
		.amdhsa_dx10_clamp 1
		.amdhsa_ieee_mode 1
		.amdhsa_fp16_overflow 0
		.amdhsa_exception_fp_ieee_invalid_op 0
		.amdhsa_exception_fp_denorm_src 0
		.amdhsa_exception_fp_ieee_div_zero 0
		.amdhsa_exception_fp_ieee_overflow 0
		.amdhsa_exception_fp_ieee_underflow 0
		.amdhsa_exception_fp_ieee_inexact 0
		.amdhsa_exception_int_div_zero 0
	.end_amdhsa_kernel
	.section	.text._ZN7rocprim17ROCPRIM_400000_NS6detail17trampoline_kernelINS0_13select_configILj256ELj13ELNS0_17block_load_methodE3ELS4_3ELS4_3ELNS0_20block_scan_algorithmE0ELj4294967295EEENS1_25partition_config_selectorILNS1_17partition_subalgoE4EjNS0_10empty_typeEbEEZZNS1_14partition_implILS8_4ELb0ES6_15HIP_vector_typeIjLj2EENS0_17counting_iteratorIjlEEPS9_SG_NS0_5tupleIJPjSI_NS0_16reverse_iteratorISI_EEEEENSH_IJSG_SG_SG_EEES9_SI_JZNS1_25segmented_radix_sort_implINS0_14default_configELb0EPKlPlSQ_SR_N2at6native12_GLOBAL__N_18offset_tEEE10hipError_tPvRmT1_PNSt15iterator_traitsISZ_E10value_typeET2_T3_PNS10_IS15_E10value_typeET4_jRbjT5_S1B_jjP12ihipStream_tbEUljE_ZNSN_ISO_Lb0ESQ_SR_SQ_SR_SV_EESW_SX_SY_SZ_S13_S14_S15_S18_S19_jS1A_jS1B_S1B_jjS1D_bEUljE0_EEESW_SX_SY_S15_S19_S1B_T6_T7_T9_mT8_S1D_bDpT10_ENKUlT_T0_E_clISt17integral_constantIbLb0EES1Q_IbLb1EEEEDaS1M_S1N_EUlS1M_E_NS1_11comp_targetILNS1_3genE8ELNS1_11target_archE1030ELNS1_3gpuE2ELNS1_3repE0EEENS1_30default_config_static_selectorELNS0_4arch9wavefront6targetE1EEEvSZ_,"axG",@progbits,_ZN7rocprim17ROCPRIM_400000_NS6detail17trampoline_kernelINS0_13select_configILj256ELj13ELNS0_17block_load_methodE3ELS4_3ELS4_3ELNS0_20block_scan_algorithmE0ELj4294967295EEENS1_25partition_config_selectorILNS1_17partition_subalgoE4EjNS0_10empty_typeEbEEZZNS1_14partition_implILS8_4ELb0ES6_15HIP_vector_typeIjLj2EENS0_17counting_iteratorIjlEEPS9_SG_NS0_5tupleIJPjSI_NS0_16reverse_iteratorISI_EEEEENSH_IJSG_SG_SG_EEES9_SI_JZNS1_25segmented_radix_sort_implINS0_14default_configELb0EPKlPlSQ_SR_N2at6native12_GLOBAL__N_18offset_tEEE10hipError_tPvRmT1_PNSt15iterator_traitsISZ_E10value_typeET2_T3_PNS10_IS15_E10value_typeET4_jRbjT5_S1B_jjP12ihipStream_tbEUljE_ZNSN_ISO_Lb0ESQ_SR_SQ_SR_SV_EESW_SX_SY_SZ_S13_S14_S15_S18_S19_jS1A_jS1B_S1B_jjS1D_bEUljE0_EEESW_SX_SY_S15_S19_S1B_T6_T7_T9_mT8_S1D_bDpT10_ENKUlT_T0_E_clISt17integral_constantIbLb0EES1Q_IbLb1EEEEDaS1M_S1N_EUlS1M_E_NS1_11comp_targetILNS1_3genE8ELNS1_11target_archE1030ELNS1_3gpuE2ELNS1_3repE0EEENS1_30default_config_static_selectorELNS0_4arch9wavefront6targetE1EEEvSZ_,comdat
.Lfunc_end774:
	.size	_ZN7rocprim17ROCPRIM_400000_NS6detail17trampoline_kernelINS0_13select_configILj256ELj13ELNS0_17block_load_methodE3ELS4_3ELS4_3ELNS0_20block_scan_algorithmE0ELj4294967295EEENS1_25partition_config_selectorILNS1_17partition_subalgoE4EjNS0_10empty_typeEbEEZZNS1_14partition_implILS8_4ELb0ES6_15HIP_vector_typeIjLj2EENS0_17counting_iteratorIjlEEPS9_SG_NS0_5tupleIJPjSI_NS0_16reverse_iteratorISI_EEEEENSH_IJSG_SG_SG_EEES9_SI_JZNS1_25segmented_radix_sort_implINS0_14default_configELb0EPKlPlSQ_SR_N2at6native12_GLOBAL__N_18offset_tEEE10hipError_tPvRmT1_PNSt15iterator_traitsISZ_E10value_typeET2_T3_PNS10_IS15_E10value_typeET4_jRbjT5_S1B_jjP12ihipStream_tbEUljE_ZNSN_ISO_Lb0ESQ_SR_SQ_SR_SV_EESW_SX_SY_SZ_S13_S14_S15_S18_S19_jS1A_jS1B_S1B_jjS1D_bEUljE0_EEESW_SX_SY_S15_S19_S1B_T6_T7_T9_mT8_S1D_bDpT10_ENKUlT_T0_E_clISt17integral_constantIbLb0EES1Q_IbLb1EEEEDaS1M_S1N_EUlS1M_E_NS1_11comp_targetILNS1_3genE8ELNS1_11target_archE1030ELNS1_3gpuE2ELNS1_3repE0EEENS1_30default_config_static_selectorELNS0_4arch9wavefront6targetE1EEEvSZ_, .Lfunc_end774-_ZN7rocprim17ROCPRIM_400000_NS6detail17trampoline_kernelINS0_13select_configILj256ELj13ELNS0_17block_load_methodE3ELS4_3ELS4_3ELNS0_20block_scan_algorithmE0ELj4294967295EEENS1_25partition_config_selectorILNS1_17partition_subalgoE4EjNS0_10empty_typeEbEEZZNS1_14partition_implILS8_4ELb0ES6_15HIP_vector_typeIjLj2EENS0_17counting_iteratorIjlEEPS9_SG_NS0_5tupleIJPjSI_NS0_16reverse_iteratorISI_EEEEENSH_IJSG_SG_SG_EEES9_SI_JZNS1_25segmented_radix_sort_implINS0_14default_configELb0EPKlPlSQ_SR_N2at6native12_GLOBAL__N_18offset_tEEE10hipError_tPvRmT1_PNSt15iterator_traitsISZ_E10value_typeET2_T3_PNS10_IS15_E10value_typeET4_jRbjT5_S1B_jjP12ihipStream_tbEUljE_ZNSN_ISO_Lb0ESQ_SR_SQ_SR_SV_EESW_SX_SY_SZ_S13_S14_S15_S18_S19_jS1A_jS1B_S1B_jjS1D_bEUljE0_EEESW_SX_SY_S15_S19_S1B_T6_T7_T9_mT8_S1D_bDpT10_ENKUlT_T0_E_clISt17integral_constantIbLb0EES1Q_IbLb1EEEEDaS1M_S1N_EUlS1M_E_NS1_11comp_targetILNS1_3genE8ELNS1_11target_archE1030ELNS1_3gpuE2ELNS1_3repE0EEENS1_30default_config_static_selectorELNS0_4arch9wavefront6targetE1EEEvSZ_
                                        ; -- End function
	.set _ZN7rocprim17ROCPRIM_400000_NS6detail17trampoline_kernelINS0_13select_configILj256ELj13ELNS0_17block_load_methodE3ELS4_3ELS4_3ELNS0_20block_scan_algorithmE0ELj4294967295EEENS1_25partition_config_selectorILNS1_17partition_subalgoE4EjNS0_10empty_typeEbEEZZNS1_14partition_implILS8_4ELb0ES6_15HIP_vector_typeIjLj2EENS0_17counting_iteratorIjlEEPS9_SG_NS0_5tupleIJPjSI_NS0_16reverse_iteratorISI_EEEEENSH_IJSG_SG_SG_EEES9_SI_JZNS1_25segmented_radix_sort_implINS0_14default_configELb0EPKlPlSQ_SR_N2at6native12_GLOBAL__N_18offset_tEEE10hipError_tPvRmT1_PNSt15iterator_traitsISZ_E10value_typeET2_T3_PNS10_IS15_E10value_typeET4_jRbjT5_S1B_jjP12ihipStream_tbEUljE_ZNSN_ISO_Lb0ESQ_SR_SQ_SR_SV_EESW_SX_SY_SZ_S13_S14_S15_S18_S19_jS1A_jS1B_S1B_jjS1D_bEUljE0_EEESW_SX_SY_S15_S19_S1B_T6_T7_T9_mT8_S1D_bDpT10_ENKUlT_T0_E_clISt17integral_constantIbLb0EES1Q_IbLb1EEEEDaS1M_S1N_EUlS1M_E_NS1_11comp_targetILNS1_3genE8ELNS1_11target_archE1030ELNS1_3gpuE2ELNS1_3repE0EEENS1_30default_config_static_selectorELNS0_4arch9wavefront6targetE1EEEvSZ_.num_vgpr, 0
	.set _ZN7rocprim17ROCPRIM_400000_NS6detail17trampoline_kernelINS0_13select_configILj256ELj13ELNS0_17block_load_methodE3ELS4_3ELS4_3ELNS0_20block_scan_algorithmE0ELj4294967295EEENS1_25partition_config_selectorILNS1_17partition_subalgoE4EjNS0_10empty_typeEbEEZZNS1_14partition_implILS8_4ELb0ES6_15HIP_vector_typeIjLj2EENS0_17counting_iteratorIjlEEPS9_SG_NS0_5tupleIJPjSI_NS0_16reverse_iteratorISI_EEEEENSH_IJSG_SG_SG_EEES9_SI_JZNS1_25segmented_radix_sort_implINS0_14default_configELb0EPKlPlSQ_SR_N2at6native12_GLOBAL__N_18offset_tEEE10hipError_tPvRmT1_PNSt15iterator_traitsISZ_E10value_typeET2_T3_PNS10_IS15_E10value_typeET4_jRbjT5_S1B_jjP12ihipStream_tbEUljE_ZNSN_ISO_Lb0ESQ_SR_SQ_SR_SV_EESW_SX_SY_SZ_S13_S14_S15_S18_S19_jS1A_jS1B_S1B_jjS1D_bEUljE0_EEESW_SX_SY_S15_S19_S1B_T6_T7_T9_mT8_S1D_bDpT10_ENKUlT_T0_E_clISt17integral_constantIbLb0EES1Q_IbLb1EEEEDaS1M_S1N_EUlS1M_E_NS1_11comp_targetILNS1_3genE8ELNS1_11target_archE1030ELNS1_3gpuE2ELNS1_3repE0EEENS1_30default_config_static_selectorELNS0_4arch9wavefront6targetE1EEEvSZ_.num_agpr, 0
	.set _ZN7rocprim17ROCPRIM_400000_NS6detail17trampoline_kernelINS0_13select_configILj256ELj13ELNS0_17block_load_methodE3ELS4_3ELS4_3ELNS0_20block_scan_algorithmE0ELj4294967295EEENS1_25partition_config_selectorILNS1_17partition_subalgoE4EjNS0_10empty_typeEbEEZZNS1_14partition_implILS8_4ELb0ES6_15HIP_vector_typeIjLj2EENS0_17counting_iteratorIjlEEPS9_SG_NS0_5tupleIJPjSI_NS0_16reverse_iteratorISI_EEEEENSH_IJSG_SG_SG_EEES9_SI_JZNS1_25segmented_radix_sort_implINS0_14default_configELb0EPKlPlSQ_SR_N2at6native12_GLOBAL__N_18offset_tEEE10hipError_tPvRmT1_PNSt15iterator_traitsISZ_E10value_typeET2_T3_PNS10_IS15_E10value_typeET4_jRbjT5_S1B_jjP12ihipStream_tbEUljE_ZNSN_ISO_Lb0ESQ_SR_SQ_SR_SV_EESW_SX_SY_SZ_S13_S14_S15_S18_S19_jS1A_jS1B_S1B_jjS1D_bEUljE0_EEESW_SX_SY_S15_S19_S1B_T6_T7_T9_mT8_S1D_bDpT10_ENKUlT_T0_E_clISt17integral_constantIbLb0EES1Q_IbLb1EEEEDaS1M_S1N_EUlS1M_E_NS1_11comp_targetILNS1_3genE8ELNS1_11target_archE1030ELNS1_3gpuE2ELNS1_3repE0EEENS1_30default_config_static_selectorELNS0_4arch9wavefront6targetE1EEEvSZ_.numbered_sgpr, 0
	.set _ZN7rocprim17ROCPRIM_400000_NS6detail17trampoline_kernelINS0_13select_configILj256ELj13ELNS0_17block_load_methodE3ELS4_3ELS4_3ELNS0_20block_scan_algorithmE0ELj4294967295EEENS1_25partition_config_selectorILNS1_17partition_subalgoE4EjNS0_10empty_typeEbEEZZNS1_14partition_implILS8_4ELb0ES6_15HIP_vector_typeIjLj2EENS0_17counting_iteratorIjlEEPS9_SG_NS0_5tupleIJPjSI_NS0_16reverse_iteratorISI_EEEEENSH_IJSG_SG_SG_EEES9_SI_JZNS1_25segmented_radix_sort_implINS0_14default_configELb0EPKlPlSQ_SR_N2at6native12_GLOBAL__N_18offset_tEEE10hipError_tPvRmT1_PNSt15iterator_traitsISZ_E10value_typeET2_T3_PNS10_IS15_E10value_typeET4_jRbjT5_S1B_jjP12ihipStream_tbEUljE_ZNSN_ISO_Lb0ESQ_SR_SQ_SR_SV_EESW_SX_SY_SZ_S13_S14_S15_S18_S19_jS1A_jS1B_S1B_jjS1D_bEUljE0_EEESW_SX_SY_S15_S19_S1B_T6_T7_T9_mT8_S1D_bDpT10_ENKUlT_T0_E_clISt17integral_constantIbLb0EES1Q_IbLb1EEEEDaS1M_S1N_EUlS1M_E_NS1_11comp_targetILNS1_3genE8ELNS1_11target_archE1030ELNS1_3gpuE2ELNS1_3repE0EEENS1_30default_config_static_selectorELNS0_4arch9wavefront6targetE1EEEvSZ_.num_named_barrier, 0
	.set _ZN7rocprim17ROCPRIM_400000_NS6detail17trampoline_kernelINS0_13select_configILj256ELj13ELNS0_17block_load_methodE3ELS4_3ELS4_3ELNS0_20block_scan_algorithmE0ELj4294967295EEENS1_25partition_config_selectorILNS1_17partition_subalgoE4EjNS0_10empty_typeEbEEZZNS1_14partition_implILS8_4ELb0ES6_15HIP_vector_typeIjLj2EENS0_17counting_iteratorIjlEEPS9_SG_NS0_5tupleIJPjSI_NS0_16reverse_iteratorISI_EEEEENSH_IJSG_SG_SG_EEES9_SI_JZNS1_25segmented_radix_sort_implINS0_14default_configELb0EPKlPlSQ_SR_N2at6native12_GLOBAL__N_18offset_tEEE10hipError_tPvRmT1_PNSt15iterator_traitsISZ_E10value_typeET2_T3_PNS10_IS15_E10value_typeET4_jRbjT5_S1B_jjP12ihipStream_tbEUljE_ZNSN_ISO_Lb0ESQ_SR_SQ_SR_SV_EESW_SX_SY_SZ_S13_S14_S15_S18_S19_jS1A_jS1B_S1B_jjS1D_bEUljE0_EEESW_SX_SY_S15_S19_S1B_T6_T7_T9_mT8_S1D_bDpT10_ENKUlT_T0_E_clISt17integral_constantIbLb0EES1Q_IbLb1EEEEDaS1M_S1N_EUlS1M_E_NS1_11comp_targetILNS1_3genE8ELNS1_11target_archE1030ELNS1_3gpuE2ELNS1_3repE0EEENS1_30default_config_static_selectorELNS0_4arch9wavefront6targetE1EEEvSZ_.private_seg_size, 0
	.set _ZN7rocprim17ROCPRIM_400000_NS6detail17trampoline_kernelINS0_13select_configILj256ELj13ELNS0_17block_load_methodE3ELS4_3ELS4_3ELNS0_20block_scan_algorithmE0ELj4294967295EEENS1_25partition_config_selectorILNS1_17partition_subalgoE4EjNS0_10empty_typeEbEEZZNS1_14partition_implILS8_4ELb0ES6_15HIP_vector_typeIjLj2EENS0_17counting_iteratorIjlEEPS9_SG_NS0_5tupleIJPjSI_NS0_16reverse_iteratorISI_EEEEENSH_IJSG_SG_SG_EEES9_SI_JZNS1_25segmented_radix_sort_implINS0_14default_configELb0EPKlPlSQ_SR_N2at6native12_GLOBAL__N_18offset_tEEE10hipError_tPvRmT1_PNSt15iterator_traitsISZ_E10value_typeET2_T3_PNS10_IS15_E10value_typeET4_jRbjT5_S1B_jjP12ihipStream_tbEUljE_ZNSN_ISO_Lb0ESQ_SR_SQ_SR_SV_EESW_SX_SY_SZ_S13_S14_S15_S18_S19_jS1A_jS1B_S1B_jjS1D_bEUljE0_EEESW_SX_SY_S15_S19_S1B_T6_T7_T9_mT8_S1D_bDpT10_ENKUlT_T0_E_clISt17integral_constantIbLb0EES1Q_IbLb1EEEEDaS1M_S1N_EUlS1M_E_NS1_11comp_targetILNS1_3genE8ELNS1_11target_archE1030ELNS1_3gpuE2ELNS1_3repE0EEENS1_30default_config_static_selectorELNS0_4arch9wavefront6targetE1EEEvSZ_.uses_vcc, 0
	.set _ZN7rocprim17ROCPRIM_400000_NS6detail17trampoline_kernelINS0_13select_configILj256ELj13ELNS0_17block_load_methodE3ELS4_3ELS4_3ELNS0_20block_scan_algorithmE0ELj4294967295EEENS1_25partition_config_selectorILNS1_17partition_subalgoE4EjNS0_10empty_typeEbEEZZNS1_14partition_implILS8_4ELb0ES6_15HIP_vector_typeIjLj2EENS0_17counting_iteratorIjlEEPS9_SG_NS0_5tupleIJPjSI_NS0_16reverse_iteratorISI_EEEEENSH_IJSG_SG_SG_EEES9_SI_JZNS1_25segmented_radix_sort_implINS0_14default_configELb0EPKlPlSQ_SR_N2at6native12_GLOBAL__N_18offset_tEEE10hipError_tPvRmT1_PNSt15iterator_traitsISZ_E10value_typeET2_T3_PNS10_IS15_E10value_typeET4_jRbjT5_S1B_jjP12ihipStream_tbEUljE_ZNSN_ISO_Lb0ESQ_SR_SQ_SR_SV_EESW_SX_SY_SZ_S13_S14_S15_S18_S19_jS1A_jS1B_S1B_jjS1D_bEUljE0_EEESW_SX_SY_S15_S19_S1B_T6_T7_T9_mT8_S1D_bDpT10_ENKUlT_T0_E_clISt17integral_constantIbLb0EES1Q_IbLb1EEEEDaS1M_S1N_EUlS1M_E_NS1_11comp_targetILNS1_3genE8ELNS1_11target_archE1030ELNS1_3gpuE2ELNS1_3repE0EEENS1_30default_config_static_selectorELNS0_4arch9wavefront6targetE1EEEvSZ_.uses_flat_scratch, 0
	.set _ZN7rocprim17ROCPRIM_400000_NS6detail17trampoline_kernelINS0_13select_configILj256ELj13ELNS0_17block_load_methodE3ELS4_3ELS4_3ELNS0_20block_scan_algorithmE0ELj4294967295EEENS1_25partition_config_selectorILNS1_17partition_subalgoE4EjNS0_10empty_typeEbEEZZNS1_14partition_implILS8_4ELb0ES6_15HIP_vector_typeIjLj2EENS0_17counting_iteratorIjlEEPS9_SG_NS0_5tupleIJPjSI_NS0_16reverse_iteratorISI_EEEEENSH_IJSG_SG_SG_EEES9_SI_JZNS1_25segmented_radix_sort_implINS0_14default_configELb0EPKlPlSQ_SR_N2at6native12_GLOBAL__N_18offset_tEEE10hipError_tPvRmT1_PNSt15iterator_traitsISZ_E10value_typeET2_T3_PNS10_IS15_E10value_typeET4_jRbjT5_S1B_jjP12ihipStream_tbEUljE_ZNSN_ISO_Lb0ESQ_SR_SQ_SR_SV_EESW_SX_SY_SZ_S13_S14_S15_S18_S19_jS1A_jS1B_S1B_jjS1D_bEUljE0_EEESW_SX_SY_S15_S19_S1B_T6_T7_T9_mT8_S1D_bDpT10_ENKUlT_T0_E_clISt17integral_constantIbLb0EES1Q_IbLb1EEEEDaS1M_S1N_EUlS1M_E_NS1_11comp_targetILNS1_3genE8ELNS1_11target_archE1030ELNS1_3gpuE2ELNS1_3repE0EEENS1_30default_config_static_selectorELNS0_4arch9wavefront6targetE1EEEvSZ_.has_dyn_sized_stack, 0
	.set _ZN7rocprim17ROCPRIM_400000_NS6detail17trampoline_kernelINS0_13select_configILj256ELj13ELNS0_17block_load_methodE3ELS4_3ELS4_3ELNS0_20block_scan_algorithmE0ELj4294967295EEENS1_25partition_config_selectorILNS1_17partition_subalgoE4EjNS0_10empty_typeEbEEZZNS1_14partition_implILS8_4ELb0ES6_15HIP_vector_typeIjLj2EENS0_17counting_iteratorIjlEEPS9_SG_NS0_5tupleIJPjSI_NS0_16reverse_iteratorISI_EEEEENSH_IJSG_SG_SG_EEES9_SI_JZNS1_25segmented_radix_sort_implINS0_14default_configELb0EPKlPlSQ_SR_N2at6native12_GLOBAL__N_18offset_tEEE10hipError_tPvRmT1_PNSt15iterator_traitsISZ_E10value_typeET2_T3_PNS10_IS15_E10value_typeET4_jRbjT5_S1B_jjP12ihipStream_tbEUljE_ZNSN_ISO_Lb0ESQ_SR_SQ_SR_SV_EESW_SX_SY_SZ_S13_S14_S15_S18_S19_jS1A_jS1B_S1B_jjS1D_bEUljE0_EEESW_SX_SY_S15_S19_S1B_T6_T7_T9_mT8_S1D_bDpT10_ENKUlT_T0_E_clISt17integral_constantIbLb0EES1Q_IbLb1EEEEDaS1M_S1N_EUlS1M_E_NS1_11comp_targetILNS1_3genE8ELNS1_11target_archE1030ELNS1_3gpuE2ELNS1_3repE0EEENS1_30default_config_static_selectorELNS0_4arch9wavefront6targetE1EEEvSZ_.has_recursion, 0
	.set _ZN7rocprim17ROCPRIM_400000_NS6detail17trampoline_kernelINS0_13select_configILj256ELj13ELNS0_17block_load_methodE3ELS4_3ELS4_3ELNS0_20block_scan_algorithmE0ELj4294967295EEENS1_25partition_config_selectorILNS1_17partition_subalgoE4EjNS0_10empty_typeEbEEZZNS1_14partition_implILS8_4ELb0ES6_15HIP_vector_typeIjLj2EENS0_17counting_iteratorIjlEEPS9_SG_NS0_5tupleIJPjSI_NS0_16reverse_iteratorISI_EEEEENSH_IJSG_SG_SG_EEES9_SI_JZNS1_25segmented_radix_sort_implINS0_14default_configELb0EPKlPlSQ_SR_N2at6native12_GLOBAL__N_18offset_tEEE10hipError_tPvRmT1_PNSt15iterator_traitsISZ_E10value_typeET2_T3_PNS10_IS15_E10value_typeET4_jRbjT5_S1B_jjP12ihipStream_tbEUljE_ZNSN_ISO_Lb0ESQ_SR_SQ_SR_SV_EESW_SX_SY_SZ_S13_S14_S15_S18_S19_jS1A_jS1B_S1B_jjS1D_bEUljE0_EEESW_SX_SY_S15_S19_S1B_T6_T7_T9_mT8_S1D_bDpT10_ENKUlT_T0_E_clISt17integral_constantIbLb0EES1Q_IbLb1EEEEDaS1M_S1N_EUlS1M_E_NS1_11comp_targetILNS1_3genE8ELNS1_11target_archE1030ELNS1_3gpuE2ELNS1_3repE0EEENS1_30default_config_static_selectorELNS0_4arch9wavefront6targetE1EEEvSZ_.has_indirect_call, 0
	.section	.AMDGPU.csdata,"",@progbits
; Kernel info:
; codeLenInByte = 0
; TotalNumSgprs: 4
; NumVgprs: 0
; ScratchSize: 0
; MemoryBound: 0
; FloatMode: 240
; IeeeMode: 1
; LDSByteSize: 0 bytes/workgroup (compile time only)
; SGPRBlocks: 0
; VGPRBlocks: 0
; NumSGPRsForWavesPerEU: 4
; NumVGPRsForWavesPerEU: 1
; Occupancy: 10
; WaveLimiterHint : 0
; COMPUTE_PGM_RSRC2:SCRATCH_EN: 0
; COMPUTE_PGM_RSRC2:USER_SGPR: 6
; COMPUTE_PGM_RSRC2:TRAP_HANDLER: 0
; COMPUTE_PGM_RSRC2:TGID_X_EN: 1
; COMPUTE_PGM_RSRC2:TGID_Y_EN: 0
; COMPUTE_PGM_RSRC2:TGID_Z_EN: 0
; COMPUTE_PGM_RSRC2:TIDIG_COMP_CNT: 0
	.section	.text._ZN7rocprim17ROCPRIM_400000_NS6detail17trampoline_kernelINS0_13select_configILj256ELj13ELNS0_17block_load_methodE3ELS4_3ELS4_3ELNS0_20block_scan_algorithmE0ELj4294967295EEENS1_25partition_config_selectorILNS1_17partition_subalgoE3EjNS0_10empty_typeEbEEZZNS1_14partition_implILS8_3ELb0ES6_jNS0_17counting_iteratorIjlEEPS9_SE_NS0_5tupleIJPjSE_EEENSF_IJSE_SE_EEES9_SG_JZNS1_25segmented_radix_sort_implINS0_14default_configELb0EPKlPlSM_SN_N2at6native12_GLOBAL__N_18offset_tEEE10hipError_tPvRmT1_PNSt15iterator_traitsISV_E10value_typeET2_T3_PNSW_IS11_E10value_typeET4_jRbjT5_S17_jjP12ihipStream_tbEUljE_EEESS_ST_SU_S11_S15_S17_T6_T7_T9_mT8_S19_bDpT10_ENKUlT_T0_E_clISt17integral_constantIbLb0EES1M_EEDaS1H_S1I_EUlS1H_E_NS1_11comp_targetILNS1_3genE0ELNS1_11target_archE4294967295ELNS1_3gpuE0ELNS1_3repE0EEENS1_30default_config_static_selectorELNS0_4arch9wavefront6targetE1EEEvSV_,"axG",@progbits,_ZN7rocprim17ROCPRIM_400000_NS6detail17trampoline_kernelINS0_13select_configILj256ELj13ELNS0_17block_load_methodE3ELS4_3ELS4_3ELNS0_20block_scan_algorithmE0ELj4294967295EEENS1_25partition_config_selectorILNS1_17partition_subalgoE3EjNS0_10empty_typeEbEEZZNS1_14partition_implILS8_3ELb0ES6_jNS0_17counting_iteratorIjlEEPS9_SE_NS0_5tupleIJPjSE_EEENSF_IJSE_SE_EEES9_SG_JZNS1_25segmented_radix_sort_implINS0_14default_configELb0EPKlPlSM_SN_N2at6native12_GLOBAL__N_18offset_tEEE10hipError_tPvRmT1_PNSt15iterator_traitsISV_E10value_typeET2_T3_PNSW_IS11_E10value_typeET4_jRbjT5_S17_jjP12ihipStream_tbEUljE_EEESS_ST_SU_S11_S15_S17_T6_T7_T9_mT8_S19_bDpT10_ENKUlT_T0_E_clISt17integral_constantIbLb0EES1M_EEDaS1H_S1I_EUlS1H_E_NS1_11comp_targetILNS1_3genE0ELNS1_11target_archE4294967295ELNS1_3gpuE0ELNS1_3repE0EEENS1_30default_config_static_selectorELNS0_4arch9wavefront6targetE1EEEvSV_,comdat
	.globl	_ZN7rocprim17ROCPRIM_400000_NS6detail17trampoline_kernelINS0_13select_configILj256ELj13ELNS0_17block_load_methodE3ELS4_3ELS4_3ELNS0_20block_scan_algorithmE0ELj4294967295EEENS1_25partition_config_selectorILNS1_17partition_subalgoE3EjNS0_10empty_typeEbEEZZNS1_14partition_implILS8_3ELb0ES6_jNS0_17counting_iteratorIjlEEPS9_SE_NS0_5tupleIJPjSE_EEENSF_IJSE_SE_EEES9_SG_JZNS1_25segmented_radix_sort_implINS0_14default_configELb0EPKlPlSM_SN_N2at6native12_GLOBAL__N_18offset_tEEE10hipError_tPvRmT1_PNSt15iterator_traitsISV_E10value_typeET2_T3_PNSW_IS11_E10value_typeET4_jRbjT5_S17_jjP12ihipStream_tbEUljE_EEESS_ST_SU_S11_S15_S17_T6_T7_T9_mT8_S19_bDpT10_ENKUlT_T0_E_clISt17integral_constantIbLb0EES1M_EEDaS1H_S1I_EUlS1H_E_NS1_11comp_targetILNS1_3genE0ELNS1_11target_archE4294967295ELNS1_3gpuE0ELNS1_3repE0EEENS1_30default_config_static_selectorELNS0_4arch9wavefront6targetE1EEEvSV_ ; -- Begin function _ZN7rocprim17ROCPRIM_400000_NS6detail17trampoline_kernelINS0_13select_configILj256ELj13ELNS0_17block_load_methodE3ELS4_3ELS4_3ELNS0_20block_scan_algorithmE0ELj4294967295EEENS1_25partition_config_selectorILNS1_17partition_subalgoE3EjNS0_10empty_typeEbEEZZNS1_14partition_implILS8_3ELb0ES6_jNS0_17counting_iteratorIjlEEPS9_SE_NS0_5tupleIJPjSE_EEENSF_IJSE_SE_EEES9_SG_JZNS1_25segmented_radix_sort_implINS0_14default_configELb0EPKlPlSM_SN_N2at6native12_GLOBAL__N_18offset_tEEE10hipError_tPvRmT1_PNSt15iterator_traitsISV_E10value_typeET2_T3_PNSW_IS11_E10value_typeET4_jRbjT5_S17_jjP12ihipStream_tbEUljE_EEESS_ST_SU_S11_S15_S17_T6_T7_T9_mT8_S19_bDpT10_ENKUlT_T0_E_clISt17integral_constantIbLb0EES1M_EEDaS1H_S1I_EUlS1H_E_NS1_11comp_targetILNS1_3genE0ELNS1_11target_archE4294967295ELNS1_3gpuE0ELNS1_3repE0EEENS1_30default_config_static_selectorELNS0_4arch9wavefront6targetE1EEEvSV_
	.p2align	8
	.type	_ZN7rocprim17ROCPRIM_400000_NS6detail17trampoline_kernelINS0_13select_configILj256ELj13ELNS0_17block_load_methodE3ELS4_3ELS4_3ELNS0_20block_scan_algorithmE0ELj4294967295EEENS1_25partition_config_selectorILNS1_17partition_subalgoE3EjNS0_10empty_typeEbEEZZNS1_14partition_implILS8_3ELb0ES6_jNS0_17counting_iteratorIjlEEPS9_SE_NS0_5tupleIJPjSE_EEENSF_IJSE_SE_EEES9_SG_JZNS1_25segmented_radix_sort_implINS0_14default_configELb0EPKlPlSM_SN_N2at6native12_GLOBAL__N_18offset_tEEE10hipError_tPvRmT1_PNSt15iterator_traitsISV_E10value_typeET2_T3_PNSW_IS11_E10value_typeET4_jRbjT5_S17_jjP12ihipStream_tbEUljE_EEESS_ST_SU_S11_S15_S17_T6_T7_T9_mT8_S19_bDpT10_ENKUlT_T0_E_clISt17integral_constantIbLb0EES1M_EEDaS1H_S1I_EUlS1H_E_NS1_11comp_targetILNS1_3genE0ELNS1_11target_archE4294967295ELNS1_3gpuE0ELNS1_3repE0EEENS1_30default_config_static_selectorELNS0_4arch9wavefront6targetE1EEEvSV_,@function
_ZN7rocprim17ROCPRIM_400000_NS6detail17trampoline_kernelINS0_13select_configILj256ELj13ELNS0_17block_load_methodE3ELS4_3ELS4_3ELNS0_20block_scan_algorithmE0ELj4294967295EEENS1_25partition_config_selectorILNS1_17partition_subalgoE3EjNS0_10empty_typeEbEEZZNS1_14partition_implILS8_3ELb0ES6_jNS0_17counting_iteratorIjlEEPS9_SE_NS0_5tupleIJPjSE_EEENSF_IJSE_SE_EEES9_SG_JZNS1_25segmented_radix_sort_implINS0_14default_configELb0EPKlPlSM_SN_N2at6native12_GLOBAL__N_18offset_tEEE10hipError_tPvRmT1_PNSt15iterator_traitsISV_E10value_typeET2_T3_PNSW_IS11_E10value_typeET4_jRbjT5_S17_jjP12ihipStream_tbEUljE_EEESS_ST_SU_S11_S15_S17_T6_T7_T9_mT8_S19_bDpT10_ENKUlT_T0_E_clISt17integral_constantIbLb0EES1M_EEDaS1H_S1I_EUlS1H_E_NS1_11comp_targetILNS1_3genE0ELNS1_11target_archE4294967295ELNS1_3gpuE0ELNS1_3repE0EEENS1_30default_config_static_selectorELNS0_4arch9wavefront6targetE1EEEvSV_: ; @_ZN7rocprim17ROCPRIM_400000_NS6detail17trampoline_kernelINS0_13select_configILj256ELj13ELNS0_17block_load_methodE3ELS4_3ELS4_3ELNS0_20block_scan_algorithmE0ELj4294967295EEENS1_25partition_config_selectorILNS1_17partition_subalgoE3EjNS0_10empty_typeEbEEZZNS1_14partition_implILS8_3ELb0ES6_jNS0_17counting_iteratorIjlEEPS9_SE_NS0_5tupleIJPjSE_EEENSF_IJSE_SE_EEES9_SG_JZNS1_25segmented_radix_sort_implINS0_14default_configELb0EPKlPlSM_SN_N2at6native12_GLOBAL__N_18offset_tEEE10hipError_tPvRmT1_PNSt15iterator_traitsISV_E10value_typeET2_T3_PNSW_IS11_E10value_typeET4_jRbjT5_S17_jjP12ihipStream_tbEUljE_EEESS_ST_SU_S11_S15_S17_T6_T7_T9_mT8_S19_bDpT10_ENKUlT_T0_E_clISt17integral_constantIbLb0EES1M_EEDaS1H_S1I_EUlS1H_E_NS1_11comp_targetILNS1_3genE0ELNS1_11target_archE4294967295ELNS1_3gpuE0ELNS1_3repE0EEENS1_30default_config_static_selectorELNS0_4arch9wavefront6targetE1EEEvSV_
; %bb.0:
	.section	.rodata,"a",@progbits
	.p2align	6, 0x0
	.amdhsa_kernel _ZN7rocprim17ROCPRIM_400000_NS6detail17trampoline_kernelINS0_13select_configILj256ELj13ELNS0_17block_load_methodE3ELS4_3ELS4_3ELNS0_20block_scan_algorithmE0ELj4294967295EEENS1_25partition_config_selectorILNS1_17partition_subalgoE3EjNS0_10empty_typeEbEEZZNS1_14partition_implILS8_3ELb0ES6_jNS0_17counting_iteratorIjlEEPS9_SE_NS0_5tupleIJPjSE_EEENSF_IJSE_SE_EEES9_SG_JZNS1_25segmented_radix_sort_implINS0_14default_configELb0EPKlPlSM_SN_N2at6native12_GLOBAL__N_18offset_tEEE10hipError_tPvRmT1_PNSt15iterator_traitsISV_E10value_typeET2_T3_PNSW_IS11_E10value_typeET4_jRbjT5_S17_jjP12ihipStream_tbEUljE_EEESS_ST_SU_S11_S15_S17_T6_T7_T9_mT8_S19_bDpT10_ENKUlT_T0_E_clISt17integral_constantIbLb0EES1M_EEDaS1H_S1I_EUlS1H_E_NS1_11comp_targetILNS1_3genE0ELNS1_11target_archE4294967295ELNS1_3gpuE0ELNS1_3repE0EEENS1_30default_config_static_selectorELNS0_4arch9wavefront6targetE1EEEvSV_
		.amdhsa_group_segment_fixed_size 0
		.amdhsa_private_segment_fixed_size 0
		.amdhsa_kernarg_size 144
		.amdhsa_user_sgpr_count 6
		.amdhsa_user_sgpr_private_segment_buffer 1
		.amdhsa_user_sgpr_dispatch_ptr 0
		.amdhsa_user_sgpr_queue_ptr 0
		.amdhsa_user_sgpr_kernarg_segment_ptr 1
		.amdhsa_user_sgpr_dispatch_id 0
		.amdhsa_user_sgpr_flat_scratch_init 0
		.amdhsa_user_sgpr_private_segment_size 0
		.amdhsa_uses_dynamic_stack 0
		.amdhsa_system_sgpr_private_segment_wavefront_offset 0
		.amdhsa_system_sgpr_workgroup_id_x 1
		.amdhsa_system_sgpr_workgroup_id_y 0
		.amdhsa_system_sgpr_workgroup_id_z 0
		.amdhsa_system_sgpr_workgroup_info 0
		.amdhsa_system_vgpr_workitem_id 0
		.amdhsa_next_free_vgpr 1
		.amdhsa_next_free_sgpr 0
		.amdhsa_reserve_vcc 0
		.amdhsa_reserve_flat_scratch 0
		.amdhsa_float_round_mode_32 0
		.amdhsa_float_round_mode_16_64 0
		.amdhsa_float_denorm_mode_32 3
		.amdhsa_float_denorm_mode_16_64 3
		.amdhsa_dx10_clamp 1
		.amdhsa_ieee_mode 1
		.amdhsa_fp16_overflow 0
		.amdhsa_exception_fp_ieee_invalid_op 0
		.amdhsa_exception_fp_denorm_src 0
		.amdhsa_exception_fp_ieee_div_zero 0
		.amdhsa_exception_fp_ieee_overflow 0
		.amdhsa_exception_fp_ieee_underflow 0
		.amdhsa_exception_fp_ieee_inexact 0
		.amdhsa_exception_int_div_zero 0
	.end_amdhsa_kernel
	.section	.text._ZN7rocprim17ROCPRIM_400000_NS6detail17trampoline_kernelINS0_13select_configILj256ELj13ELNS0_17block_load_methodE3ELS4_3ELS4_3ELNS0_20block_scan_algorithmE0ELj4294967295EEENS1_25partition_config_selectorILNS1_17partition_subalgoE3EjNS0_10empty_typeEbEEZZNS1_14partition_implILS8_3ELb0ES6_jNS0_17counting_iteratorIjlEEPS9_SE_NS0_5tupleIJPjSE_EEENSF_IJSE_SE_EEES9_SG_JZNS1_25segmented_radix_sort_implINS0_14default_configELb0EPKlPlSM_SN_N2at6native12_GLOBAL__N_18offset_tEEE10hipError_tPvRmT1_PNSt15iterator_traitsISV_E10value_typeET2_T3_PNSW_IS11_E10value_typeET4_jRbjT5_S17_jjP12ihipStream_tbEUljE_EEESS_ST_SU_S11_S15_S17_T6_T7_T9_mT8_S19_bDpT10_ENKUlT_T0_E_clISt17integral_constantIbLb0EES1M_EEDaS1H_S1I_EUlS1H_E_NS1_11comp_targetILNS1_3genE0ELNS1_11target_archE4294967295ELNS1_3gpuE0ELNS1_3repE0EEENS1_30default_config_static_selectorELNS0_4arch9wavefront6targetE1EEEvSV_,"axG",@progbits,_ZN7rocprim17ROCPRIM_400000_NS6detail17trampoline_kernelINS0_13select_configILj256ELj13ELNS0_17block_load_methodE3ELS4_3ELS4_3ELNS0_20block_scan_algorithmE0ELj4294967295EEENS1_25partition_config_selectorILNS1_17partition_subalgoE3EjNS0_10empty_typeEbEEZZNS1_14partition_implILS8_3ELb0ES6_jNS0_17counting_iteratorIjlEEPS9_SE_NS0_5tupleIJPjSE_EEENSF_IJSE_SE_EEES9_SG_JZNS1_25segmented_radix_sort_implINS0_14default_configELb0EPKlPlSM_SN_N2at6native12_GLOBAL__N_18offset_tEEE10hipError_tPvRmT1_PNSt15iterator_traitsISV_E10value_typeET2_T3_PNSW_IS11_E10value_typeET4_jRbjT5_S17_jjP12ihipStream_tbEUljE_EEESS_ST_SU_S11_S15_S17_T6_T7_T9_mT8_S19_bDpT10_ENKUlT_T0_E_clISt17integral_constantIbLb0EES1M_EEDaS1H_S1I_EUlS1H_E_NS1_11comp_targetILNS1_3genE0ELNS1_11target_archE4294967295ELNS1_3gpuE0ELNS1_3repE0EEENS1_30default_config_static_selectorELNS0_4arch9wavefront6targetE1EEEvSV_,comdat
.Lfunc_end775:
	.size	_ZN7rocprim17ROCPRIM_400000_NS6detail17trampoline_kernelINS0_13select_configILj256ELj13ELNS0_17block_load_methodE3ELS4_3ELS4_3ELNS0_20block_scan_algorithmE0ELj4294967295EEENS1_25partition_config_selectorILNS1_17partition_subalgoE3EjNS0_10empty_typeEbEEZZNS1_14partition_implILS8_3ELb0ES6_jNS0_17counting_iteratorIjlEEPS9_SE_NS0_5tupleIJPjSE_EEENSF_IJSE_SE_EEES9_SG_JZNS1_25segmented_radix_sort_implINS0_14default_configELb0EPKlPlSM_SN_N2at6native12_GLOBAL__N_18offset_tEEE10hipError_tPvRmT1_PNSt15iterator_traitsISV_E10value_typeET2_T3_PNSW_IS11_E10value_typeET4_jRbjT5_S17_jjP12ihipStream_tbEUljE_EEESS_ST_SU_S11_S15_S17_T6_T7_T9_mT8_S19_bDpT10_ENKUlT_T0_E_clISt17integral_constantIbLb0EES1M_EEDaS1H_S1I_EUlS1H_E_NS1_11comp_targetILNS1_3genE0ELNS1_11target_archE4294967295ELNS1_3gpuE0ELNS1_3repE0EEENS1_30default_config_static_selectorELNS0_4arch9wavefront6targetE1EEEvSV_, .Lfunc_end775-_ZN7rocprim17ROCPRIM_400000_NS6detail17trampoline_kernelINS0_13select_configILj256ELj13ELNS0_17block_load_methodE3ELS4_3ELS4_3ELNS0_20block_scan_algorithmE0ELj4294967295EEENS1_25partition_config_selectorILNS1_17partition_subalgoE3EjNS0_10empty_typeEbEEZZNS1_14partition_implILS8_3ELb0ES6_jNS0_17counting_iteratorIjlEEPS9_SE_NS0_5tupleIJPjSE_EEENSF_IJSE_SE_EEES9_SG_JZNS1_25segmented_radix_sort_implINS0_14default_configELb0EPKlPlSM_SN_N2at6native12_GLOBAL__N_18offset_tEEE10hipError_tPvRmT1_PNSt15iterator_traitsISV_E10value_typeET2_T3_PNSW_IS11_E10value_typeET4_jRbjT5_S17_jjP12ihipStream_tbEUljE_EEESS_ST_SU_S11_S15_S17_T6_T7_T9_mT8_S19_bDpT10_ENKUlT_T0_E_clISt17integral_constantIbLb0EES1M_EEDaS1H_S1I_EUlS1H_E_NS1_11comp_targetILNS1_3genE0ELNS1_11target_archE4294967295ELNS1_3gpuE0ELNS1_3repE0EEENS1_30default_config_static_selectorELNS0_4arch9wavefront6targetE1EEEvSV_
                                        ; -- End function
	.set _ZN7rocprim17ROCPRIM_400000_NS6detail17trampoline_kernelINS0_13select_configILj256ELj13ELNS0_17block_load_methodE3ELS4_3ELS4_3ELNS0_20block_scan_algorithmE0ELj4294967295EEENS1_25partition_config_selectorILNS1_17partition_subalgoE3EjNS0_10empty_typeEbEEZZNS1_14partition_implILS8_3ELb0ES6_jNS0_17counting_iteratorIjlEEPS9_SE_NS0_5tupleIJPjSE_EEENSF_IJSE_SE_EEES9_SG_JZNS1_25segmented_radix_sort_implINS0_14default_configELb0EPKlPlSM_SN_N2at6native12_GLOBAL__N_18offset_tEEE10hipError_tPvRmT1_PNSt15iterator_traitsISV_E10value_typeET2_T3_PNSW_IS11_E10value_typeET4_jRbjT5_S17_jjP12ihipStream_tbEUljE_EEESS_ST_SU_S11_S15_S17_T6_T7_T9_mT8_S19_bDpT10_ENKUlT_T0_E_clISt17integral_constantIbLb0EES1M_EEDaS1H_S1I_EUlS1H_E_NS1_11comp_targetILNS1_3genE0ELNS1_11target_archE4294967295ELNS1_3gpuE0ELNS1_3repE0EEENS1_30default_config_static_selectorELNS0_4arch9wavefront6targetE1EEEvSV_.num_vgpr, 0
	.set _ZN7rocprim17ROCPRIM_400000_NS6detail17trampoline_kernelINS0_13select_configILj256ELj13ELNS0_17block_load_methodE3ELS4_3ELS4_3ELNS0_20block_scan_algorithmE0ELj4294967295EEENS1_25partition_config_selectorILNS1_17partition_subalgoE3EjNS0_10empty_typeEbEEZZNS1_14partition_implILS8_3ELb0ES6_jNS0_17counting_iteratorIjlEEPS9_SE_NS0_5tupleIJPjSE_EEENSF_IJSE_SE_EEES9_SG_JZNS1_25segmented_radix_sort_implINS0_14default_configELb0EPKlPlSM_SN_N2at6native12_GLOBAL__N_18offset_tEEE10hipError_tPvRmT1_PNSt15iterator_traitsISV_E10value_typeET2_T3_PNSW_IS11_E10value_typeET4_jRbjT5_S17_jjP12ihipStream_tbEUljE_EEESS_ST_SU_S11_S15_S17_T6_T7_T9_mT8_S19_bDpT10_ENKUlT_T0_E_clISt17integral_constantIbLb0EES1M_EEDaS1H_S1I_EUlS1H_E_NS1_11comp_targetILNS1_3genE0ELNS1_11target_archE4294967295ELNS1_3gpuE0ELNS1_3repE0EEENS1_30default_config_static_selectorELNS0_4arch9wavefront6targetE1EEEvSV_.num_agpr, 0
	.set _ZN7rocprim17ROCPRIM_400000_NS6detail17trampoline_kernelINS0_13select_configILj256ELj13ELNS0_17block_load_methodE3ELS4_3ELS4_3ELNS0_20block_scan_algorithmE0ELj4294967295EEENS1_25partition_config_selectorILNS1_17partition_subalgoE3EjNS0_10empty_typeEbEEZZNS1_14partition_implILS8_3ELb0ES6_jNS0_17counting_iteratorIjlEEPS9_SE_NS0_5tupleIJPjSE_EEENSF_IJSE_SE_EEES9_SG_JZNS1_25segmented_radix_sort_implINS0_14default_configELb0EPKlPlSM_SN_N2at6native12_GLOBAL__N_18offset_tEEE10hipError_tPvRmT1_PNSt15iterator_traitsISV_E10value_typeET2_T3_PNSW_IS11_E10value_typeET4_jRbjT5_S17_jjP12ihipStream_tbEUljE_EEESS_ST_SU_S11_S15_S17_T6_T7_T9_mT8_S19_bDpT10_ENKUlT_T0_E_clISt17integral_constantIbLb0EES1M_EEDaS1H_S1I_EUlS1H_E_NS1_11comp_targetILNS1_3genE0ELNS1_11target_archE4294967295ELNS1_3gpuE0ELNS1_3repE0EEENS1_30default_config_static_selectorELNS0_4arch9wavefront6targetE1EEEvSV_.numbered_sgpr, 0
	.set _ZN7rocprim17ROCPRIM_400000_NS6detail17trampoline_kernelINS0_13select_configILj256ELj13ELNS0_17block_load_methodE3ELS4_3ELS4_3ELNS0_20block_scan_algorithmE0ELj4294967295EEENS1_25partition_config_selectorILNS1_17partition_subalgoE3EjNS0_10empty_typeEbEEZZNS1_14partition_implILS8_3ELb0ES6_jNS0_17counting_iteratorIjlEEPS9_SE_NS0_5tupleIJPjSE_EEENSF_IJSE_SE_EEES9_SG_JZNS1_25segmented_radix_sort_implINS0_14default_configELb0EPKlPlSM_SN_N2at6native12_GLOBAL__N_18offset_tEEE10hipError_tPvRmT1_PNSt15iterator_traitsISV_E10value_typeET2_T3_PNSW_IS11_E10value_typeET4_jRbjT5_S17_jjP12ihipStream_tbEUljE_EEESS_ST_SU_S11_S15_S17_T6_T7_T9_mT8_S19_bDpT10_ENKUlT_T0_E_clISt17integral_constantIbLb0EES1M_EEDaS1H_S1I_EUlS1H_E_NS1_11comp_targetILNS1_3genE0ELNS1_11target_archE4294967295ELNS1_3gpuE0ELNS1_3repE0EEENS1_30default_config_static_selectorELNS0_4arch9wavefront6targetE1EEEvSV_.num_named_barrier, 0
	.set _ZN7rocprim17ROCPRIM_400000_NS6detail17trampoline_kernelINS0_13select_configILj256ELj13ELNS0_17block_load_methodE3ELS4_3ELS4_3ELNS0_20block_scan_algorithmE0ELj4294967295EEENS1_25partition_config_selectorILNS1_17partition_subalgoE3EjNS0_10empty_typeEbEEZZNS1_14partition_implILS8_3ELb0ES6_jNS0_17counting_iteratorIjlEEPS9_SE_NS0_5tupleIJPjSE_EEENSF_IJSE_SE_EEES9_SG_JZNS1_25segmented_radix_sort_implINS0_14default_configELb0EPKlPlSM_SN_N2at6native12_GLOBAL__N_18offset_tEEE10hipError_tPvRmT1_PNSt15iterator_traitsISV_E10value_typeET2_T3_PNSW_IS11_E10value_typeET4_jRbjT5_S17_jjP12ihipStream_tbEUljE_EEESS_ST_SU_S11_S15_S17_T6_T7_T9_mT8_S19_bDpT10_ENKUlT_T0_E_clISt17integral_constantIbLb0EES1M_EEDaS1H_S1I_EUlS1H_E_NS1_11comp_targetILNS1_3genE0ELNS1_11target_archE4294967295ELNS1_3gpuE0ELNS1_3repE0EEENS1_30default_config_static_selectorELNS0_4arch9wavefront6targetE1EEEvSV_.private_seg_size, 0
	.set _ZN7rocprim17ROCPRIM_400000_NS6detail17trampoline_kernelINS0_13select_configILj256ELj13ELNS0_17block_load_methodE3ELS4_3ELS4_3ELNS0_20block_scan_algorithmE0ELj4294967295EEENS1_25partition_config_selectorILNS1_17partition_subalgoE3EjNS0_10empty_typeEbEEZZNS1_14partition_implILS8_3ELb0ES6_jNS0_17counting_iteratorIjlEEPS9_SE_NS0_5tupleIJPjSE_EEENSF_IJSE_SE_EEES9_SG_JZNS1_25segmented_radix_sort_implINS0_14default_configELb0EPKlPlSM_SN_N2at6native12_GLOBAL__N_18offset_tEEE10hipError_tPvRmT1_PNSt15iterator_traitsISV_E10value_typeET2_T3_PNSW_IS11_E10value_typeET4_jRbjT5_S17_jjP12ihipStream_tbEUljE_EEESS_ST_SU_S11_S15_S17_T6_T7_T9_mT8_S19_bDpT10_ENKUlT_T0_E_clISt17integral_constantIbLb0EES1M_EEDaS1H_S1I_EUlS1H_E_NS1_11comp_targetILNS1_3genE0ELNS1_11target_archE4294967295ELNS1_3gpuE0ELNS1_3repE0EEENS1_30default_config_static_selectorELNS0_4arch9wavefront6targetE1EEEvSV_.uses_vcc, 0
	.set _ZN7rocprim17ROCPRIM_400000_NS6detail17trampoline_kernelINS0_13select_configILj256ELj13ELNS0_17block_load_methodE3ELS4_3ELS4_3ELNS0_20block_scan_algorithmE0ELj4294967295EEENS1_25partition_config_selectorILNS1_17partition_subalgoE3EjNS0_10empty_typeEbEEZZNS1_14partition_implILS8_3ELb0ES6_jNS0_17counting_iteratorIjlEEPS9_SE_NS0_5tupleIJPjSE_EEENSF_IJSE_SE_EEES9_SG_JZNS1_25segmented_radix_sort_implINS0_14default_configELb0EPKlPlSM_SN_N2at6native12_GLOBAL__N_18offset_tEEE10hipError_tPvRmT1_PNSt15iterator_traitsISV_E10value_typeET2_T3_PNSW_IS11_E10value_typeET4_jRbjT5_S17_jjP12ihipStream_tbEUljE_EEESS_ST_SU_S11_S15_S17_T6_T7_T9_mT8_S19_bDpT10_ENKUlT_T0_E_clISt17integral_constantIbLb0EES1M_EEDaS1H_S1I_EUlS1H_E_NS1_11comp_targetILNS1_3genE0ELNS1_11target_archE4294967295ELNS1_3gpuE0ELNS1_3repE0EEENS1_30default_config_static_selectorELNS0_4arch9wavefront6targetE1EEEvSV_.uses_flat_scratch, 0
	.set _ZN7rocprim17ROCPRIM_400000_NS6detail17trampoline_kernelINS0_13select_configILj256ELj13ELNS0_17block_load_methodE3ELS4_3ELS4_3ELNS0_20block_scan_algorithmE0ELj4294967295EEENS1_25partition_config_selectorILNS1_17partition_subalgoE3EjNS0_10empty_typeEbEEZZNS1_14partition_implILS8_3ELb0ES6_jNS0_17counting_iteratorIjlEEPS9_SE_NS0_5tupleIJPjSE_EEENSF_IJSE_SE_EEES9_SG_JZNS1_25segmented_radix_sort_implINS0_14default_configELb0EPKlPlSM_SN_N2at6native12_GLOBAL__N_18offset_tEEE10hipError_tPvRmT1_PNSt15iterator_traitsISV_E10value_typeET2_T3_PNSW_IS11_E10value_typeET4_jRbjT5_S17_jjP12ihipStream_tbEUljE_EEESS_ST_SU_S11_S15_S17_T6_T7_T9_mT8_S19_bDpT10_ENKUlT_T0_E_clISt17integral_constantIbLb0EES1M_EEDaS1H_S1I_EUlS1H_E_NS1_11comp_targetILNS1_3genE0ELNS1_11target_archE4294967295ELNS1_3gpuE0ELNS1_3repE0EEENS1_30default_config_static_selectorELNS0_4arch9wavefront6targetE1EEEvSV_.has_dyn_sized_stack, 0
	.set _ZN7rocprim17ROCPRIM_400000_NS6detail17trampoline_kernelINS0_13select_configILj256ELj13ELNS0_17block_load_methodE3ELS4_3ELS4_3ELNS0_20block_scan_algorithmE0ELj4294967295EEENS1_25partition_config_selectorILNS1_17partition_subalgoE3EjNS0_10empty_typeEbEEZZNS1_14partition_implILS8_3ELb0ES6_jNS0_17counting_iteratorIjlEEPS9_SE_NS0_5tupleIJPjSE_EEENSF_IJSE_SE_EEES9_SG_JZNS1_25segmented_radix_sort_implINS0_14default_configELb0EPKlPlSM_SN_N2at6native12_GLOBAL__N_18offset_tEEE10hipError_tPvRmT1_PNSt15iterator_traitsISV_E10value_typeET2_T3_PNSW_IS11_E10value_typeET4_jRbjT5_S17_jjP12ihipStream_tbEUljE_EEESS_ST_SU_S11_S15_S17_T6_T7_T9_mT8_S19_bDpT10_ENKUlT_T0_E_clISt17integral_constantIbLb0EES1M_EEDaS1H_S1I_EUlS1H_E_NS1_11comp_targetILNS1_3genE0ELNS1_11target_archE4294967295ELNS1_3gpuE0ELNS1_3repE0EEENS1_30default_config_static_selectorELNS0_4arch9wavefront6targetE1EEEvSV_.has_recursion, 0
	.set _ZN7rocprim17ROCPRIM_400000_NS6detail17trampoline_kernelINS0_13select_configILj256ELj13ELNS0_17block_load_methodE3ELS4_3ELS4_3ELNS0_20block_scan_algorithmE0ELj4294967295EEENS1_25partition_config_selectorILNS1_17partition_subalgoE3EjNS0_10empty_typeEbEEZZNS1_14partition_implILS8_3ELb0ES6_jNS0_17counting_iteratorIjlEEPS9_SE_NS0_5tupleIJPjSE_EEENSF_IJSE_SE_EEES9_SG_JZNS1_25segmented_radix_sort_implINS0_14default_configELb0EPKlPlSM_SN_N2at6native12_GLOBAL__N_18offset_tEEE10hipError_tPvRmT1_PNSt15iterator_traitsISV_E10value_typeET2_T3_PNSW_IS11_E10value_typeET4_jRbjT5_S17_jjP12ihipStream_tbEUljE_EEESS_ST_SU_S11_S15_S17_T6_T7_T9_mT8_S19_bDpT10_ENKUlT_T0_E_clISt17integral_constantIbLb0EES1M_EEDaS1H_S1I_EUlS1H_E_NS1_11comp_targetILNS1_3genE0ELNS1_11target_archE4294967295ELNS1_3gpuE0ELNS1_3repE0EEENS1_30default_config_static_selectorELNS0_4arch9wavefront6targetE1EEEvSV_.has_indirect_call, 0
	.section	.AMDGPU.csdata,"",@progbits
; Kernel info:
; codeLenInByte = 0
; TotalNumSgprs: 4
; NumVgprs: 0
; ScratchSize: 0
; MemoryBound: 0
; FloatMode: 240
; IeeeMode: 1
; LDSByteSize: 0 bytes/workgroup (compile time only)
; SGPRBlocks: 0
; VGPRBlocks: 0
; NumSGPRsForWavesPerEU: 4
; NumVGPRsForWavesPerEU: 1
; Occupancy: 10
; WaveLimiterHint : 0
; COMPUTE_PGM_RSRC2:SCRATCH_EN: 0
; COMPUTE_PGM_RSRC2:USER_SGPR: 6
; COMPUTE_PGM_RSRC2:TRAP_HANDLER: 0
; COMPUTE_PGM_RSRC2:TGID_X_EN: 1
; COMPUTE_PGM_RSRC2:TGID_Y_EN: 0
; COMPUTE_PGM_RSRC2:TGID_Z_EN: 0
; COMPUTE_PGM_RSRC2:TIDIG_COMP_CNT: 0
	.section	.text._ZN7rocprim17ROCPRIM_400000_NS6detail17trampoline_kernelINS0_13select_configILj256ELj13ELNS0_17block_load_methodE3ELS4_3ELS4_3ELNS0_20block_scan_algorithmE0ELj4294967295EEENS1_25partition_config_selectorILNS1_17partition_subalgoE3EjNS0_10empty_typeEbEEZZNS1_14partition_implILS8_3ELb0ES6_jNS0_17counting_iteratorIjlEEPS9_SE_NS0_5tupleIJPjSE_EEENSF_IJSE_SE_EEES9_SG_JZNS1_25segmented_radix_sort_implINS0_14default_configELb0EPKlPlSM_SN_N2at6native12_GLOBAL__N_18offset_tEEE10hipError_tPvRmT1_PNSt15iterator_traitsISV_E10value_typeET2_T3_PNSW_IS11_E10value_typeET4_jRbjT5_S17_jjP12ihipStream_tbEUljE_EEESS_ST_SU_S11_S15_S17_T6_T7_T9_mT8_S19_bDpT10_ENKUlT_T0_E_clISt17integral_constantIbLb0EES1M_EEDaS1H_S1I_EUlS1H_E_NS1_11comp_targetILNS1_3genE5ELNS1_11target_archE942ELNS1_3gpuE9ELNS1_3repE0EEENS1_30default_config_static_selectorELNS0_4arch9wavefront6targetE1EEEvSV_,"axG",@progbits,_ZN7rocprim17ROCPRIM_400000_NS6detail17trampoline_kernelINS0_13select_configILj256ELj13ELNS0_17block_load_methodE3ELS4_3ELS4_3ELNS0_20block_scan_algorithmE0ELj4294967295EEENS1_25partition_config_selectorILNS1_17partition_subalgoE3EjNS0_10empty_typeEbEEZZNS1_14partition_implILS8_3ELb0ES6_jNS0_17counting_iteratorIjlEEPS9_SE_NS0_5tupleIJPjSE_EEENSF_IJSE_SE_EEES9_SG_JZNS1_25segmented_radix_sort_implINS0_14default_configELb0EPKlPlSM_SN_N2at6native12_GLOBAL__N_18offset_tEEE10hipError_tPvRmT1_PNSt15iterator_traitsISV_E10value_typeET2_T3_PNSW_IS11_E10value_typeET4_jRbjT5_S17_jjP12ihipStream_tbEUljE_EEESS_ST_SU_S11_S15_S17_T6_T7_T9_mT8_S19_bDpT10_ENKUlT_T0_E_clISt17integral_constantIbLb0EES1M_EEDaS1H_S1I_EUlS1H_E_NS1_11comp_targetILNS1_3genE5ELNS1_11target_archE942ELNS1_3gpuE9ELNS1_3repE0EEENS1_30default_config_static_selectorELNS0_4arch9wavefront6targetE1EEEvSV_,comdat
	.globl	_ZN7rocprim17ROCPRIM_400000_NS6detail17trampoline_kernelINS0_13select_configILj256ELj13ELNS0_17block_load_methodE3ELS4_3ELS4_3ELNS0_20block_scan_algorithmE0ELj4294967295EEENS1_25partition_config_selectorILNS1_17partition_subalgoE3EjNS0_10empty_typeEbEEZZNS1_14partition_implILS8_3ELb0ES6_jNS0_17counting_iteratorIjlEEPS9_SE_NS0_5tupleIJPjSE_EEENSF_IJSE_SE_EEES9_SG_JZNS1_25segmented_radix_sort_implINS0_14default_configELb0EPKlPlSM_SN_N2at6native12_GLOBAL__N_18offset_tEEE10hipError_tPvRmT1_PNSt15iterator_traitsISV_E10value_typeET2_T3_PNSW_IS11_E10value_typeET4_jRbjT5_S17_jjP12ihipStream_tbEUljE_EEESS_ST_SU_S11_S15_S17_T6_T7_T9_mT8_S19_bDpT10_ENKUlT_T0_E_clISt17integral_constantIbLb0EES1M_EEDaS1H_S1I_EUlS1H_E_NS1_11comp_targetILNS1_3genE5ELNS1_11target_archE942ELNS1_3gpuE9ELNS1_3repE0EEENS1_30default_config_static_selectorELNS0_4arch9wavefront6targetE1EEEvSV_ ; -- Begin function _ZN7rocprim17ROCPRIM_400000_NS6detail17trampoline_kernelINS0_13select_configILj256ELj13ELNS0_17block_load_methodE3ELS4_3ELS4_3ELNS0_20block_scan_algorithmE0ELj4294967295EEENS1_25partition_config_selectorILNS1_17partition_subalgoE3EjNS0_10empty_typeEbEEZZNS1_14partition_implILS8_3ELb0ES6_jNS0_17counting_iteratorIjlEEPS9_SE_NS0_5tupleIJPjSE_EEENSF_IJSE_SE_EEES9_SG_JZNS1_25segmented_radix_sort_implINS0_14default_configELb0EPKlPlSM_SN_N2at6native12_GLOBAL__N_18offset_tEEE10hipError_tPvRmT1_PNSt15iterator_traitsISV_E10value_typeET2_T3_PNSW_IS11_E10value_typeET4_jRbjT5_S17_jjP12ihipStream_tbEUljE_EEESS_ST_SU_S11_S15_S17_T6_T7_T9_mT8_S19_bDpT10_ENKUlT_T0_E_clISt17integral_constantIbLb0EES1M_EEDaS1H_S1I_EUlS1H_E_NS1_11comp_targetILNS1_3genE5ELNS1_11target_archE942ELNS1_3gpuE9ELNS1_3repE0EEENS1_30default_config_static_selectorELNS0_4arch9wavefront6targetE1EEEvSV_
	.p2align	8
	.type	_ZN7rocprim17ROCPRIM_400000_NS6detail17trampoline_kernelINS0_13select_configILj256ELj13ELNS0_17block_load_methodE3ELS4_3ELS4_3ELNS0_20block_scan_algorithmE0ELj4294967295EEENS1_25partition_config_selectorILNS1_17partition_subalgoE3EjNS0_10empty_typeEbEEZZNS1_14partition_implILS8_3ELb0ES6_jNS0_17counting_iteratorIjlEEPS9_SE_NS0_5tupleIJPjSE_EEENSF_IJSE_SE_EEES9_SG_JZNS1_25segmented_radix_sort_implINS0_14default_configELb0EPKlPlSM_SN_N2at6native12_GLOBAL__N_18offset_tEEE10hipError_tPvRmT1_PNSt15iterator_traitsISV_E10value_typeET2_T3_PNSW_IS11_E10value_typeET4_jRbjT5_S17_jjP12ihipStream_tbEUljE_EEESS_ST_SU_S11_S15_S17_T6_T7_T9_mT8_S19_bDpT10_ENKUlT_T0_E_clISt17integral_constantIbLb0EES1M_EEDaS1H_S1I_EUlS1H_E_NS1_11comp_targetILNS1_3genE5ELNS1_11target_archE942ELNS1_3gpuE9ELNS1_3repE0EEENS1_30default_config_static_selectorELNS0_4arch9wavefront6targetE1EEEvSV_,@function
_ZN7rocprim17ROCPRIM_400000_NS6detail17trampoline_kernelINS0_13select_configILj256ELj13ELNS0_17block_load_methodE3ELS4_3ELS4_3ELNS0_20block_scan_algorithmE0ELj4294967295EEENS1_25partition_config_selectorILNS1_17partition_subalgoE3EjNS0_10empty_typeEbEEZZNS1_14partition_implILS8_3ELb0ES6_jNS0_17counting_iteratorIjlEEPS9_SE_NS0_5tupleIJPjSE_EEENSF_IJSE_SE_EEES9_SG_JZNS1_25segmented_radix_sort_implINS0_14default_configELb0EPKlPlSM_SN_N2at6native12_GLOBAL__N_18offset_tEEE10hipError_tPvRmT1_PNSt15iterator_traitsISV_E10value_typeET2_T3_PNSW_IS11_E10value_typeET4_jRbjT5_S17_jjP12ihipStream_tbEUljE_EEESS_ST_SU_S11_S15_S17_T6_T7_T9_mT8_S19_bDpT10_ENKUlT_T0_E_clISt17integral_constantIbLb0EES1M_EEDaS1H_S1I_EUlS1H_E_NS1_11comp_targetILNS1_3genE5ELNS1_11target_archE942ELNS1_3gpuE9ELNS1_3repE0EEENS1_30default_config_static_selectorELNS0_4arch9wavefront6targetE1EEEvSV_: ; @_ZN7rocprim17ROCPRIM_400000_NS6detail17trampoline_kernelINS0_13select_configILj256ELj13ELNS0_17block_load_methodE3ELS4_3ELS4_3ELNS0_20block_scan_algorithmE0ELj4294967295EEENS1_25partition_config_selectorILNS1_17partition_subalgoE3EjNS0_10empty_typeEbEEZZNS1_14partition_implILS8_3ELb0ES6_jNS0_17counting_iteratorIjlEEPS9_SE_NS0_5tupleIJPjSE_EEENSF_IJSE_SE_EEES9_SG_JZNS1_25segmented_radix_sort_implINS0_14default_configELb0EPKlPlSM_SN_N2at6native12_GLOBAL__N_18offset_tEEE10hipError_tPvRmT1_PNSt15iterator_traitsISV_E10value_typeET2_T3_PNSW_IS11_E10value_typeET4_jRbjT5_S17_jjP12ihipStream_tbEUljE_EEESS_ST_SU_S11_S15_S17_T6_T7_T9_mT8_S19_bDpT10_ENKUlT_T0_E_clISt17integral_constantIbLb0EES1M_EEDaS1H_S1I_EUlS1H_E_NS1_11comp_targetILNS1_3genE5ELNS1_11target_archE942ELNS1_3gpuE9ELNS1_3repE0EEENS1_30default_config_static_selectorELNS0_4arch9wavefront6targetE1EEEvSV_
; %bb.0:
	.section	.rodata,"a",@progbits
	.p2align	6, 0x0
	.amdhsa_kernel _ZN7rocprim17ROCPRIM_400000_NS6detail17trampoline_kernelINS0_13select_configILj256ELj13ELNS0_17block_load_methodE3ELS4_3ELS4_3ELNS0_20block_scan_algorithmE0ELj4294967295EEENS1_25partition_config_selectorILNS1_17partition_subalgoE3EjNS0_10empty_typeEbEEZZNS1_14partition_implILS8_3ELb0ES6_jNS0_17counting_iteratorIjlEEPS9_SE_NS0_5tupleIJPjSE_EEENSF_IJSE_SE_EEES9_SG_JZNS1_25segmented_radix_sort_implINS0_14default_configELb0EPKlPlSM_SN_N2at6native12_GLOBAL__N_18offset_tEEE10hipError_tPvRmT1_PNSt15iterator_traitsISV_E10value_typeET2_T3_PNSW_IS11_E10value_typeET4_jRbjT5_S17_jjP12ihipStream_tbEUljE_EEESS_ST_SU_S11_S15_S17_T6_T7_T9_mT8_S19_bDpT10_ENKUlT_T0_E_clISt17integral_constantIbLb0EES1M_EEDaS1H_S1I_EUlS1H_E_NS1_11comp_targetILNS1_3genE5ELNS1_11target_archE942ELNS1_3gpuE9ELNS1_3repE0EEENS1_30default_config_static_selectorELNS0_4arch9wavefront6targetE1EEEvSV_
		.amdhsa_group_segment_fixed_size 0
		.amdhsa_private_segment_fixed_size 0
		.amdhsa_kernarg_size 144
		.amdhsa_user_sgpr_count 6
		.amdhsa_user_sgpr_private_segment_buffer 1
		.amdhsa_user_sgpr_dispatch_ptr 0
		.amdhsa_user_sgpr_queue_ptr 0
		.amdhsa_user_sgpr_kernarg_segment_ptr 1
		.amdhsa_user_sgpr_dispatch_id 0
		.amdhsa_user_sgpr_flat_scratch_init 0
		.amdhsa_user_sgpr_private_segment_size 0
		.amdhsa_uses_dynamic_stack 0
		.amdhsa_system_sgpr_private_segment_wavefront_offset 0
		.amdhsa_system_sgpr_workgroup_id_x 1
		.amdhsa_system_sgpr_workgroup_id_y 0
		.amdhsa_system_sgpr_workgroup_id_z 0
		.amdhsa_system_sgpr_workgroup_info 0
		.amdhsa_system_vgpr_workitem_id 0
		.amdhsa_next_free_vgpr 1
		.amdhsa_next_free_sgpr 0
		.amdhsa_reserve_vcc 0
		.amdhsa_reserve_flat_scratch 0
		.amdhsa_float_round_mode_32 0
		.amdhsa_float_round_mode_16_64 0
		.amdhsa_float_denorm_mode_32 3
		.amdhsa_float_denorm_mode_16_64 3
		.amdhsa_dx10_clamp 1
		.amdhsa_ieee_mode 1
		.amdhsa_fp16_overflow 0
		.amdhsa_exception_fp_ieee_invalid_op 0
		.amdhsa_exception_fp_denorm_src 0
		.amdhsa_exception_fp_ieee_div_zero 0
		.amdhsa_exception_fp_ieee_overflow 0
		.amdhsa_exception_fp_ieee_underflow 0
		.amdhsa_exception_fp_ieee_inexact 0
		.amdhsa_exception_int_div_zero 0
	.end_amdhsa_kernel
	.section	.text._ZN7rocprim17ROCPRIM_400000_NS6detail17trampoline_kernelINS0_13select_configILj256ELj13ELNS0_17block_load_methodE3ELS4_3ELS4_3ELNS0_20block_scan_algorithmE0ELj4294967295EEENS1_25partition_config_selectorILNS1_17partition_subalgoE3EjNS0_10empty_typeEbEEZZNS1_14partition_implILS8_3ELb0ES6_jNS0_17counting_iteratorIjlEEPS9_SE_NS0_5tupleIJPjSE_EEENSF_IJSE_SE_EEES9_SG_JZNS1_25segmented_radix_sort_implINS0_14default_configELb0EPKlPlSM_SN_N2at6native12_GLOBAL__N_18offset_tEEE10hipError_tPvRmT1_PNSt15iterator_traitsISV_E10value_typeET2_T3_PNSW_IS11_E10value_typeET4_jRbjT5_S17_jjP12ihipStream_tbEUljE_EEESS_ST_SU_S11_S15_S17_T6_T7_T9_mT8_S19_bDpT10_ENKUlT_T0_E_clISt17integral_constantIbLb0EES1M_EEDaS1H_S1I_EUlS1H_E_NS1_11comp_targetILNS1_3genE5ELNS1_11target_archE942ELNS1_3gpuE9ELNS1_3repE0EEENS1_30default_config_static_selectorELNS0_4arch9wavefront6targetE1EEEvSV_,"axG",@progbits,_ZN7rocprim17ROCPRIM_400000_NS6detail17trampoline_kernelINS0_13select_configILj256ELj13ELNS0_17block_load_methodE3ELS4_3ELS4_3ELNS0_20block_scan_algorithmE0ELj4294967295EEENS1_25partition_config_selectorILNS1_17partition_subalgoE3EjNS0_10empty_typeEbEEZZNS1_14partition_implILS8_3ELb0ES6_jNS0_17counting_iteratorIjlEEPS9_SE_NS0_5tupleIJPjSE_EEENSF_IJSE_SE_EEES9_SG_JZNS1_25segmented_radix_sort_implINS0_14default_configELb0EPKlPlSM_SN_N2at6native12_GLOBAL__N_18offset_tEEE10hipError_tPvRmT1_PNSt15iterator_traitsISV_E10value_typeET2_T3_PNSW_IS11_E10value_typeET4_jRbjT5_S17_jjP12ihipStream_tbEUljE_EEESS_ST_SU_S11_S15_S17_T6_T7_T9_mT8_S19_bDpT10_ENKUlT_T0_E_clISt17integral_constantIbLb0EES1M_EEDaS1H_S1I_EUlS1H_E_NS1_11comp_targetILNS1_3genE5ELNS1_11target_archE942ELNS1_3gpuE9ELNS1_3repE0EEENS1_30default_config_static_selectorELNS0_4arch9wavefront6targetE1EEEvSV_,comdat
.Lfunc_end776:
	.size	_ZN7rocprim17ROCPRIM_400000_NS6detail17trampoline_kernelINS0_13select_configILj256ELj13ELNS0_17block_load_methodE3ELS4_3ELS4_3ELNS0_20block_scan_algorithmE0ELj4294967295EEENS1_25partition_config_selectorILNS1_17partition_subalgoE3EjNS0_10empty_typeEbEEZZNS1_14partition_implILS8_3ELb0ES6_jNS0_17counting_iteratorIjlEEPS9_SE_NS0_5tupleIJPjSE_EEENSF_IJSE_SE_EEES9_SG_JZNS1_25segmented_radix_sort_implINS0_14default_configELb0EPKlPlSM_SN_N2at6native12_GLOBAL__N_18offset_tEEE10hipError_tPvRmT1_PNSt15iterator_traitsISV_E10value_typeET2_T3_PNSW_IS11_E10value_typeET4_jRbjT5_S17_jjP12ihipStream_tbEUljE_EEESS_ST_SU_S11_S15_S17_T6_T7_T9_mT8_S19_bDpT10_ENKUlT_T0_E_clISt17integral_constantIbLb0EES1M_EEDaS1H_S1I_EUlS1H_E_NS1_11comp_targetILNS1_3genE5ELNS1_11target_archE942ELNS1_3gpuE9ELNS1_3repE0EEENS1_30default_config_static_selectorELNS0_4arch9wavefront6targetE1EEEvSV_, .Lfunc_end776-_ZN7rocprim17ROCPRIM_400000_NS6detail17trampoline_kernelINS0_13select_configILj256ELj13ELNS0_17block_load_methodE3ELS4_3ELS4_3ELNS0_20block_scan_algorithmE0ELj4294967295EEENS1_25partition_config_selectorILNS1_17partition_subalgoE3EjNS0_10empty_typeEbEEZZNS1_14partition_implILS8_3ELb0ES6_jNS0_17counting_iteratorIjlEEPS9_SE_NS0_5tupleIJPjSE_EEENSF_IJSE_SE_EEES9_SG_JZNS1_25segmented_radix_sort_implINS0_14default_configELb0EPKlPlSM_SN_N2at6native12_GLOBAL__N_18offset_tEEE10hipError_tPvRmT1_PNSt15iterator_traitsISV_E10value_typeET2_T3_PNSW_IS11_E10value_typeET4_jRbjT5_S17_jjP12ihipStream_tbEUljE_EEESS_ST_SU_S11_S15_S17_T6_T7_T9_mT8_S19_bDpT10_ENKUlT_T0_E_clISt17integral_constantIbLb0EES1M_EEDaS1H_S1I_EUlS1H_E_NS1_11comp_targetILNS1_3genE5ELNS1_11target_archE942ELNS1_3gpuE9ELNS1_3repE0EEENS1_30default_config_static_selectorELNS0_4arch9wavefront6targetE1EEEvSV_
                                        ; -- End function
	.set _ZN7rocprim17ROCPRIM_400000_NS6detail17trampoline_kernelINS0_13select_configILj256ELj13ELNS0_17block_load_methodE3ELS4_3ELS4_3ELNS0_20block_scan_algorithmE0ELj4294967295EEENS1_25partition_config_selectorILNS1_17partition_subalgoE3EjNS0_10empty_typeEbEEZZNS1_14partition_implILS8_3ELb0ES6_jNS0_17counting_iteratorIjlEEPS9_SE_NS0_5tupleIJPjSE_EEENSF_IJSE_SE_EEES9_SG_JZNS1_25segmented_radix_sort_implINS0_14default_configELb0EPKlPlSM_SN_N2at6native12_GLOBAL__N_18offset_tEEE10hipError_tPvRmT1_PNSt15iterator_traitsISV_E10value_typeET2_T3_PNSW_IS11_E10value_typeET4_jRbjT5_S17_jjP12ihipStream_tbEUljE_EEESS_ST_SU_S11_S15_S17_T6_T7_T9_mT8_S19_bDpT10_ENKUlT_T0_E_clISt17integral_constantIbLb0EES1M_EEDaS1H_S1I_EUlS1H_E_NS1_11comp_targetILNS1_3genE5ELNS1_11target_archE942ELNS1_3gpuE9ELNS1_3repE0EEENS1_30default_config_static_selectorELNS0_4arch9wavefront6targetE1EEEvSV_.num_vgpr, 0
	.set _ZN7rocprim17ROCPRIM_400000_NS6detail17trampoline_kernelINS0_13select_configILj256ELj13ELNS0_17block_load_methodE3ELS4_3ELS4_3ELNS0_20block_scan_algorithmE0ELj4294967295EEENS1_25partition_config_selectorILNS1_17partition_subalgoE3EjNS0_10empty_typeEbEEZZNS1_14partition_implILS8_3ELb0ES6_jNS0_17counting_iteratorIjlEEPS9_SE_NS0_5tupleIJPjSE_EEENSF_IJSE_SE_EEES9_SG_JZNS1_25segmented_radix_sort_implINS0_14default_configELb0EPKlPlSM_SN_N2at6native12_GLOBAL__N_18offset_tEEE10hipError_tPvRmT1_PNSt15iterator_traitsISV_E10value_typeET2_T3_PNSW_IS11_E10value_typeET4_jRbjT5_S17_jjP12ihipStream_tbEUljE_EEESS_ST_SU_S11_S15_S17_T6_T7_T9_mT8_S19_bDpT10_ENKUlT_T0_E_clISt17integral_constantIbLb0EES1M_EEDaS1H_S1I_EUlS1H_E_NS1_11comp_targetILNS1_3genE5ELNS1_11target_archE942ELNS1_3gpuE9ELNS1_3repE0EEENS1_30default_config_static_selectorELNS0_4arch9wavefront6targetE1EEEvSV_.num_agpr, 0
	.set _ZN7rocprim17ROCPRIM_400000_NS6detail17trampoline_kernelINS0_13select_configILj256ELj13ELNS0_17block_load_methodE3ELS4_3ELS4_3ELNS0_20block_scan_algorithmE0ELj4294967295EEENS1_25partition_config_selectorILNS1_17partition_subalgoE3EjNS0_10empty_typeEbEEZZNS1_14partition_implILS8_3ELb0ES6_jNS0_17counting_iteratorIjlEEPS9_SE_NS0_5tupleIJPjSE_EEENSF_IJSE_SE_EEES9_SG_JZNS1_25segmented_radix_sort_implINS0_14default_configELb0EPKlPlSM_SN_N2at6native12_GLOBAL__N_18offset_tEEE10hipError_tPvRmT1_PNSt15iterator_traitsISV_E10value_typeET2_T3_PNSW_IS11_E10value_typeET4_jRbjT5_S17_jjP12ihipStream_tbEUljE_EEESS_ST_SU_S11_S15_S17_T6_T7_T9_mT8_S19_bDpT10_ENKUlT_T0_E_clISt17integral_constantIbLb0EES1M_EEDaS1H_S1I_EUlS1H_E_NS1_11comp_targetILNS1_3genE5ELNS1_11target_archE942ELNS1_3gpuE9ELNS1_3repE0EEENS1_30default_config_static_selectorELNS0_4arch9wavefront6targetE1EEEvSV_.numbered_sgpr, 0
	.set _ZN7rocprim17ROCPRIM_400000_NS6detail17trampoline_kernelINS0_13select_configILj256ELj13ELNS0_17block_load_methodE3ELS4_3ELS4_3ELNS0_20block_scan_algorithmE0ELj4294967295EEENS1_25partition_config_selectorILNS1_17partition_subalgoE3EjNS0_10empty_typeEbEEZZNS1_14partition_implILS8_3ELb0ES6_jNS0_17counting_iteratorIjlEEPS9_SE_NS0_5tupleIJPjSE_EEENSF_IJSE_SE_EEES9_SG_JZNS1_25segmented_radix_sort_implINS0_14default_configELb0EPKlPlSM_SN_N2at6native12_GLOBAL__N_18offset_tEEE10hipError_tPvRmT1_PNSt15iterator_traitsISV_E10value_typeET2_T3_PNSW_IS11_E10value_typeET4_jRbjT5_S17_jjP12ihipStream_tbEUljE_EEESS_ST_SU_S11_S15_S17_T6_T7_T9_mT8_S19_bDpT10_ENKUlT_T0_E_clISt17integral_constantIbLb0EES1M_EEDaS1H_S1I_EUlS1H_E_NS1_11comp_targetILNS1_3genE5ELNS1_11target_archE942ELNS1_3gpuE9ELNS1_3repE0EEENS1_30default_config_static_selectorELNS0_4arch9wavefront6targetE1EEEvSV_.num_named_barrier, 0
	.set _ZN7rocprim17ROCPRIM_400000_NS6detail17trampoline_kernelINS0_13select_configILj256ELj13ELNS0_17block_load_methodE3ELS4_3ELS4_3ELNS0_20block_scan_algorithmE0ELj4294967295EEENS1_25partition_config_selectorILNS1_17partition_subalgoE3EjNS0_10empty_typeEbEEZZNS1_14partition_implILS8_3ELb0ES6_jNS0_17counting_iteratorIjlEEPS9_SE_NS0_5tupleIJPjSE_EEENSF_IJSE_SE_EEES9_SG_JZNS1_25segmented_radix_sort_implINS0_14default_configELb0EPKlPlSM_SN_N2at6native12_GLOBAL__N_18offset_tEEE10hipError_tPvRmT1_PNSt15iterator_traitsISV_E10value_typeET2_T3_PNSW_IS11_E10value_typeET4_jRbjT5_S17_jjP12ihipStream_tbEUljE_EEESS_ST_SU_S11_S15_S17_T6_T7_T9_mT8_S19_bDpT10_ENKUlT_T0_E_clISt17integral_constantIbLb0EES1M_EEDaS1H_S1I_EUlS1H_E_NS1_11comp_targetILNS1_3genE5ELNS1_11target_archE942ELNS1_3gpuE9ELNS1_3repE0EEENS1_30default_config_static_selectorELNS0_4arch9wavefront6targetE1EEEvSV_.private_seg_size, 0
	.set _ZN7rocprim17ROCPRIM_400000_NS6detail17trampoline_kernelINS0_13select_configILj256ELj13ELNS0_17block_load_methodE3ELS4_3ELS4_3ELNS0_20block_scan_algorithmE0ELj4294967295EEENS1_25partition_config_selectorILNS1_17partition_subalgoE3EjNS0_10empty_typeEbEEZZNS1_14partition_implILS8_3ELb0ES6_jNS0_17counting_iteratorIjlEEPS9_SE_NS0_5tupleIJPjSE_EEENSF_IJSE_SE_EEES9_SG_JZNS1_25segmented_radix_sort_implINS0_14default_configELb0EPKlPlSM_SN_N2at6native12_GLOBAL__N_18offset_tEEE10hipError_tPvRmT1_PNSt15iterator_traitsISV_E10value_typeET2_T3_PNSW_IS11_E10value_typeET4_jRbjT5_S17_jjP12ihipStream_tbEUljE_EEESS_ST_SU_S11_S15_S17_T6_T7_T9_mT8_S19_bDpT10_ENKUlT_T0_E_clISt17integral_constantIbLb0EES1M_EEDaS1H_S1I_EUlS1H_E_NS1_11comp_targetILNS1_3genE5ELNS1_11target_archE942ELNS1_3gpuE9ELNS1_3repE0EEENS1_30default_config_static_selectorELNS0_4arch9wavefront6targetE1EEEvSV_.uses_vcc, 0
	.set _ZN7rocprim17ROCPRIM_400000_NS6detail17trampoline_kernelINS0_13select_configILj256ELj13ELNS0_17block_load_methodE3ELS4_3ELS4_3ELNS0_20block_scan_algorithmE0ELj4294967295EEENS1_25partition_config_selectorILNS1_17partition_subalgoE3EjNS0_10empty_typeEbEEZZNS1_14partition_implILS8_3ELb0ES6_jNS0_17counting_iteratorIjlEEPS9_SE_NS0_5tupleIJPjSE_EEENSF_IJSE_SE_EEES9_SG_JZNS1_25segmented_radix_sort_implINS0_14default_configELb0EPKlPlSM_SN_N2at6native12_GLOBAL__N_18offset_tEEE10hipError_tPvRmT1_PNSt15iterator_traitsISV_E10value_typeET2_T3_PNSW_IS11_E10value_typeET4_jRbjT5_S17_jjP12ihipStream_tbEUljE_EEESS_ST_SU_S11_S15_S17_T6_T7_T9_mT8_S19_bDpT10_ENKUlT_T0_E_clISt17integral_constantIbLb0EES1M_EEDaS1H_S1I_EUlS1H_E_NS1_11comp_targetILNS1_3genE5ELNS1_11target_archE942ELNS1_3gpuE9ELNS1_3repE0EEENS1_30default_config_static_selectorELNS0_4arch9wavefront6targetE1EEEvSV_.uses_flat_scratch, 0
	.set _ZN7rocprim17ROCPRIM_400000_NS6detail17trampoline_kernelINS0_13select_configILj256ELj13ELNS0_17block_load_methodE3ELS4_3ELS4_3ELNS0_20block_scan_algorithmE0ELj4294967295EEENS1_25partition_config_selectorILNS1_17partition_subalgoE3EjNS0_10empty_typeEbEEZZNS1_14partition_implILS8_3ELb0ES6_jNS0_17counting_iteratorIjlEEPS9_SE_NS0_5tupleIJPjSE_EEENSF_IJSE_SE_EEES9_SG_JZNS1_25segmented_radix_sort_implINS0_14default_configELb0EPKlPlSM_SN_N2at6native12_GLOBAL__N_18offset_tEEE10hipError_tPvRmT1_PNSt15iterator_traitsISV_E10value_typeET2_T3_PNSW_IS11_E10value_typeET4_jRbjT5_S17_jjP12ihipStream_tbEUljE_EEESS_ST_SU_S11_S15_S17_T6_T7_T9_mT8_S19_bDpT10_ENKUlT_T0_E_clISt17integral_constantIbLb0EES1M_EEDaS1H_S1I_EUlS1H_E_NS1_11comp_targetILNS1_3genE5ELNS1_11target_archE942ELNS1_3gpuE9ELNS1_3repE0EEENS1_30default_config_static_selectorELNS0_4arch9wavefront6targetE1EEEvSV_.has_dyn_sized_stack, 0
	.set _ZN7rocprim17ROCPRIM_400000_NS6detail17trampoline_kernelINS0_13select_configILj256ELj13ELNS0_17block_load_methodE3ELS4_3ELS4_3ELNS0_20block_scan_algorithmE0ELj4294967295EEENS1_25partition_config_selectorILNS1_17partition_subalgoE3EjNS0_10empty_typeEbEEZZNS1_14partition_implILS8_3ELb0ES6_jNS0_17counting_iteratorIjlEEPS9_SE_NS0_5tupleIJPjSE_EEENSF_IJSE_SE_EEES9_SG_JZNS1_25segmented_radix_sort_implINS0_14default_configELb0EPKlPlSM_SN_N2at6native12_GLOBAL__N_18offset_tEEE10hipError_tPvRmT1_PNSt15iterator_traitsISV_E10value_typeET2_T3_PNSW_IS11_E10value_typeET4_jRbjT5_S17_jjP12ihipStream_tbEUljE_EEESS_ST_SU_S11_S15_S17_T6_T7_T9_mT8_S19_bDpT10_ENKUlT_T0_E_clISt17integral_constantIbLb0EES1M_EEDaS1H_S1I_EUlS1H_E_NS1_11comp_targetILNS1_3genE5ELNS1_11target_archE942ELNS1_3gpuE9ELNS1_3repE0EEENS1_30default_config_static_selectorELNS0_4arch9wavefront6targetE1EEEvSV_.has_recursion, 0
	.set _ZN7rocprim17ROCPRIM_400000_NS6detail17trampoline_kernelINS0_13select_configILj256ELj13ELNS0_17block_load_methodE3ELS4_3ELS4_3ELNS0_20block_scan_algorithmE0ELj4294967295EEENS1_25partition_config_selectorILNS1_17partition_subalgoE3EjNS0_10empty_typeEbEEZZNS1_14partition_implILS8_3ELb0ES6_jNS0_17counting_iteratorIjlEEPS9_SE_NS0_5tupleIJPjSE_EEENSF_IJSE_SE_EEES9_SG_JZNS1_25segmented_radix_sort_implINS0_14default_configELb0EPKlPlSM_SN_N2at6native12_GLOBAL__N_18offset_tEEE10hipError_tPvRmT1_PNSt15iterator_traitsISV_E10value_typeET2_T3_PNSW_IS11_E10value_typeET4_jRbjT5_S17_jjP12ihipStream_tbEUljE_EEESS_ST_SU_S11_S15_S17_T6_T7_T9_mT8_S19_bDpT10_ENKUlT_T0_E_clISt17integral_constantIbLb0EES1M_EEDaS1H_S1I_EUlS1H_E_NS1_11comp_targetILNS1_3genE5ELNS1_11target_archE942ELNS1_3gpuE9ELNS1_3repE0EEENS1_30default_config_static_selectorELNS0_4arch9wavefront6targetE1EEEvSV_.has_indirect_call, 0
	.section	.AMDGPU.csdata,"",@progbits
; Kernel info:
; codeLenInByte = 0
; TotalNumSgprs: 4
; NumVgprs: 0
; ScratchSize: 0
; MemoryBound: 0
; FloatMode: 240
; IeeeMode: 1
; LDSByteSize: 0 bytes/workgroup (compile time only)
; SGPRBlocks: 0
; VGPRBlocks: 0
; NumSGPRsForWavesPerEU: 4
; NumVGPRsForWavesPerEU: 1
; Occupancy: 10
; WaveLimiterHint : 0
; COMPUTE_PGM_RSRC2:SCRATCH_EN: 0
; COMPUTE_PGM_RSRC2:USER_SGPR: 6
; COMPUTE_PGM_RSRC2:TRAP_HANDLER: 0
; COMPUTE_PGM_RSRC2:TGID_X_EN: 1
; COMPUTE_PGM_RSRC2:TGID_Y_EN: 0
; COMPUTE_PGM_RSRC2:TGID_Z_EN: 0
; COMPUTE_PGM_RSRC2:TIDIG_COMP_CNT: 0
	.section	.text._ZN7rocprim17ROCPRIM_400000_NS6detail17trampoline_kernelINS0_13select_configILj256ELj13ELNS0_17block_load_methodE3ELS4_3ELS4_3ELNS0_20block_scan_algorithmE0ELj4294967295EEENS1_25partition_config_selectorILNS1_17partition_subalgoE3EjNS0_10empty_typeEbEEZZNS1_14partition_implILS8_3ELb0ES6_jNS0_17counting_iteratorIjlEEPS9_SE_NS0_5tupleIJPjSE_EEENSF_IJSE_SE_EEES9_SG_JZNS1_25segmented_radix_sort_implINS0_14default_configELb0EPKlPlSM_SN_N2at6native12_GLOBAL__N_18offset_tEEE10hipError_tPvRmT1_PNSt15iterator_traitsISV_E10value_typeET2_T3_PNSW_IS11_E10value_typeET4_jRbjT5_S17_jjP12ihipStream_tbEUljE_EEESS_ST_SU_S11_S15_S17_T6_T7_T9_mT8_S19_bDpT10_ENKUlT_T0_E_clISt17integral_constantIbLb0EES1M_EEDaS1H_S1I_EUlS1H_E_NS1_11comp_targetILNS1_3genE4ELNS1_11target_archE910ELNS1_3gpuE8ELNS1_3repE0EEENS1_30default_config_static_selectorELNS0_4arch9wavefront6targetE1EEEvSV_,"axG",@progbits,_ZN7rocprim17ROCPRIM_400000_NS6detail17trampoline_kernelINS0_13select_configILj256ELj13ELNS0_17block_load_methodE3ELS4_3ELS4_3ELNS0_20block_scan_algorithmE0ELj4294967295EEENS1_25partition_config_selectorILNS1_17partition_subalgoE3EjNS0_10empty_typeEbEEZZNS1_14partition_implILS8_3ELb0ES6_jNS0_17counting_iteratorIjlEEPS9_SE_NS0_5tupleIJPjSE_EEENSF_IJSE_SE_EEES9_SG_JZNS1_25segmented_radix_sort_implINS0_14default_configELb0EPKlPlSM_SN_N2at6native12_GLOBAL__N_18offset_tEEE10hipError_tPvRmT1_PNSt15iterator_traitsISV_E10value_typeET2_T3_PNSW_IS11_E10value_typeET4_jRbjT5_S17_jjP12ihipStream_tbEUljE_EEESS_ST_SU_S11_S15_S17_T6_T7_T9_mT8_S19_bDpT10_ENKUlT_T0_E_clISt17integral_constantIbLb0EES1M_EEDaS1H_S1I_EUlS1H_E_NS1_11comp_targetILNS1_3genE4ELNS1_11target_archE910ELNS1_3gpuE8ELNS1_3repE0EEENS1_30default_config_static_selectorELNS0_4arch9wavefront6targetE1EEEvSV_,comdat
	.globl	_ZN7rocprim17ROCPRIM_400000_NS6detail17trampoline_kernelINS0_13select_configILj256ELj13ELNS0_17block_load_methodE3ELS4_3ELS4_3ELNS0_20block_scan_algorithmE0ELj4294967295EEENS1_25partition_config_selectorILNS1_17partition_subalgoE3EjNS0_10empty_typeEbEEZZNS1_14partition_implILS8_3ELb0ES6_jNS0_17counting_iteratorIjlEEPS9_SE_NS0_5tupleIJPjSE_EEENSF_IJSE_SE_EEES9_SG_JZNS1_25segmented_radix_sort_implINS0_14default_configELb0EPKlPlSM_SN_N2at6native12_GLOBAL__N_18offset_tEEE10hipError_tPvRmT1_PNSt15iterator_traitsISV_E10value_typeET2_T3_PNSW_IS11_E10value_typeET4_jRbjT5_S17_jjP12ihipStream_tbEUljE_EEESS_ST_SU_S11_S15_S17_T6_T7_T9_mT8_S19_bDpT10_ENKUlT_T0_E_clISt17integral_constantIbLb0EES1M_EEDaS1H_S1I_EUlS1H_E_NS1_11comp_targetILNS1_3genE4ELNS1_11target_archE910ELNS1_3gpuE8ELNS1_3repE0EEENS1_30default_config_static_selectorELNS0_4arch9wavefront6targetE1EEEvSV_ ; -- Begin function _ZN7rocprim17ROCPRIM_400000_NS6detail17trampoline_kernelINS0_13select_configILj256ELj13ELNS0_17block_load_methodE3ELS4_3ELS4_3ELNS0_20block_scan_algorithmE0ELj4294967295EEENS1_25partition_config_selectorILNS1_17partition_subalgoE3EjNS0_10empty_typeEbEEZZNS1_14partition_implILS8_3ELb0ES6_jNS0_17counting_iteratorIjlEEPS9_SE_NS0_5tupleIJPjSE_EEENSF_IJSE_SE_EEES9_SG_JZNS1_25segmented_radix_sort_implINS0_14default_configELb0EPKlPlSM_SN_N2at6native12_GLOBAL__N_18offset_tEEE10hipError_tPvRmT1_PNSt15iterator_traitsISV_E10value_typeET2_T3_PNSW_IS11_E10value_typeET4_jRbjT5_S17_jjP12ihipStream_tbEUljE_EEESS_ST_SU_S11_S15_S17_T6_T7_T9_mT8_S19_bDpT10_ENKUlT_T0_E_clISt17integral_constantIbLb0EES1M_EEDaS1H_S1I_EUlS1H_E_NS1_11comp_targetILNS1_3genE4ELNS1_11target_archE910ELNS1_3gpuE8ELNS1_3repE0EEENS1_30default_config_static_selectorELNS0_4arch9wavefront6targetE1EEEvSV_
	.p2align	8
	.type	_ZN7rocprim17ROCPRIM_400000_NS6detail17trampoline_kernelINS0_13select_configILj256ELj13ELNS0_17block_load_methodE3ELS4_3ELS4_3ELNS0_20block_scan_algorithmE0ELj4294967295EEENS1_25partition_config_selectorILNS1_17partition_subalgoE3EjNS0_10empty_typeEbEEZZNS1_14partition_implILS8_3ELb0ES6_jNS0_17counting_iteratorIjlEEPS9_SE_NS0_5tupleIJPjSE_EEENSF_IJSE_SE_EEES9_SG_JZNS1_25segmented_radix_sort_implINS0_14default_configELb0EPKlPlSM_SN_N2at6native12_GLOBAL__N_18offset_tEEE10hipError_tPvRmT1_PNSt15iterator_traitsISV_E10value_typeET2_T3_PNSW_IS11_E10value_typeET4_jRbjT5_S17_jjP12ihipStream_tbEUljE_EEESS_ST_SU_S11_S15_S17_T6_T7_T9_mT8_S19_bDpT10_ENKUlT_T0_E_clISt17integral_constantIbLb0EES1M_EEDaS1H_S1I_EUlS1H_E_NS1_11comp_targetILNS1_3genE4ELNS1_11target_archE910ELNS1_3gpuE8ELNS1_3repE0EEENS1_30default_config_static_selectorELNS0_4arch9wavefront6targetE1EEEvSV_,@function
_ZN7rocprim17ROCPRIM_400000_NS6detail17trampoline_kernelINS0_13select_configILj256ELj13ELNS0_17block_load_methodE3ELS4_3ELS4_3ELNS0_20block_scan_algorithmE0ELj4294967295EEENS1_25partition_config_selectorILNS1_17partition_subalgoE3EjNS0_10empty_typeEbEEZZNS1_14partition_implILS8_3ELb0ES6_jNS0_17counting_iteratorIjlEEPS9_SE_NS0_5tupleIJPjSE_EEENSF_IJSE_SE_EEES9_SG_JZNS1_25segmented_radix_sort_implINS0_14default_configELb0EPKlPlSM_SN_N2at6native12_GLOBAL__N_18offset_tEEE10hipError_tPvRmT1_PNSt15iterator_traitsISV_E10value_typeET2_T3_PNSW_IS11_E10value_typeET4_jRbjT5_S17_jjP12ihipStream_tbEUljE_EEESS_ST_SU_S11_S15_S17_T6_T7_T9_mT8_S19_bDpT10_ENKUlT_T0_E_clISt17integral_constantIbLb0EES1M_EEDaS1H_S1I_EUlS1H_E_NS1_11comp_targetILNS1_3genE4ELNS1_11target_archE910ELNS1_3gpuE8ELNS1_3repE0EEENS1_30default_config_static_selectorELNS0_4arch9wavefront6targetE1EEEvSV_: ; @_ZN7rocprim17ROCPRIM_400000_NS6detail17trampoline_kernelINS0_13select_configILj256ELj13ELNS0_17block_load_methodE3ELS4_3ELS4_3ELNS0_20block_scan_algorithmE0ELj4294967295EEENS1_25partition_config_selectorILNS1_17partition_subalgoE3EjNS0_10empty_typeEbEEZZNS1_14partition_implILS8_3ELb0ES6_jNS0_17counting_iteratorIjlEEPS9_SE_NS0_5tupleIJPjSE_EEENSF_IJSE_SE_EEES9_SG_JZNS1_25segmented_radix_sort_implINS0_14default_configELb0EPKlPlSM_SN_N2at6native12_GLOBAL__N_18offset_tEEE10hipError_tPvRmT1_PNSt15iterator_traitsISV_E10value_typeET2_T3_PNSW_IS11_E10value_typeET4_jRbjT5_S17_jjP12ihipStream_tbEUljE_EEESS_ST_SU_S11_S15_S17_T6_T7_T9_mT8_S19_bDpT10_ENKUlT_T0_E_clISt17integral_constantIbLb0EES1M_EEDaS1H_S1I_EUlS1H_E_NS1_11comp_targetILNS1_3genE4ELNS1_11target_archE910ELNS1_3gpuE8ELNS1_3repE0EEENS1_30default_config_static_selectorELNS0_4arch9wavefront6targetE1EEEvSV_
; %bb.0:
	.section	.rodata,"a",@progbits
	.p2align	6, 0x0
	.amdhsa_kernel _ZN7rocprim17ROCPRIM_400000_NS6detail17trampoline_kernelINS0_13select_configILj256ELj13ELNS0_17block_load_methodE3ELS4_3ELS4_3ELNS0_20block_scan_algorithmE0ELj4294967295EEENS1_25partition_config_selectorILNS1_17partition_subalgoE3EjNS0_10empty_typeEbEEZZNS1_14partition_implILS8_3ELb0ES6_jNS0_17counting_iteratorIjlEEPS9_SE_NS0_5tupleIJPjSE_EEENSF_IJSE_SE_EEES9_SG_JZNS1_25segmented_radix_sort_implINS0_14default_configELb0EPKlPlSM_SN_N2at6native12_GLOBAL__N_18offset_tEEE10hipError_tPvRmT1_PNSt15iterator_traitsISV_E10value_typeET2_T3_PNSW_IS11_E10value_typeET4_jRbjT5_S17_jjP12ihipStream_tbEUljE_EEESS_ST_SU_S11_S15_S17_T6_T7_T9_mT8_S19_bDpT10_ENKUlT_T0_E_clISt17integral_constantIbLb0EES1M_EEDaS1H_S1I_EUlS1H_E_NS1_11comp_targetILNS1_3genE4ELNS1_11target_archE910ELNS1_3gpuE8ELNS1_3repE0EEENS1_30default_config_static_selectorELNS0_4arch9wavefront6targetE1EEEvSV_
		.amdhsa_group_segment_fixed_size 0
		.amdhsa_private_segment_fixed_size 0
		.amdhsa_kernarg_size 144
		.amdhsa_user_sgpr_count 6
		.amdhsa_user_sgpr_private_segment_buffer 1
		.amdhsa_user_sgpr_dispatch_ptr 0
		.amdhsa_user_sgpr_queue_ptr 0
		.amdhsa_user_sgpr_kernarg_segment_ptr 1
		.amdhsa_user_sgpr_dispatch_id 0
		.amdhsa_user_sgpr_flat_scratch_init 0
		.amdhsa_user_sgpr_private_segment_size 0
		.amdhsa_uses_dynamic_stack 0
		.amdhsa_system_sgpr_private_segment_wavefront_offset 0
		.amdhsa_system_sgpr_workgroup_id_x 1
		.amdhsa_system_sgpr_workgroup_id_y 0
		.amdhsa_system_sgpr_workgroup_id_z 0
		.amdhsa_system_sgpr_workgroup_info 0
		.amdhsa_system_vgpr_workitem_id 0
		.amdhsa_next_free_vgpr 1
		.amdhsa_next_free_sgpr 0
		.amdhsa_reserve_vcc 0
		.amdhsa_reserve_flat_scratch 0
		.amdhsa_float_round_mode_32 0
		.amdhsa_float_round_mode_16_64 0
		.amdhsa_float_denorm_mode_32 3
		.amdhsa_float_denorm_mode_16_64 3
		.amdhsa_dx10_clamp 1
		.amdhsa_ieee_mode 1
		.amdhsa_fp16_overflow 0
		.amdhsa_exception_fp_ieee_invalid_op 0
		.amdhsa_exception_fp_denorm_src 0
		.amdhsa_exception_fp_ieee_div_zero 0
		.amdhsa_exception_fp_ieee_overflow 0
		.amdhsa_exception_fp_ieee_underflow 0
		.amdhsa_exception_fp_ieee_inexact 0
		.amdhsa_exception_int_div_zero 0
	.end_amdhsa_kernel
	.section	.text._ZN7rocprim17ROCPRIM_400000_NS6detail17trampoline_kernelINS0_13select_configILj256ELj13ELNS0_17block_load_methodE3ELS4_3ELS4_3ELNS0_20block_scan_algorithmE0ELj4294967295EEENS1_25partition_config_selectorILNS1_17partition_subalgoE3EjNS0_10empty_typeEbEEZZNS1_14partition_implILS8_3ELb0ES6_jNS0_17counting_iteratorIjlEEPS9_SE_NS0_5tupleIJPjSE_EEENSF_IJSE_SE_EEES9_SG_JZNS1_25segmented_radix_sort_implINS0_14default_configELb0EPKlPlSM_SN_N2at6native12_GLOBAL__N_18offset_tEEE10hipError_tPvRmT1_PNSt15iterator_traitsISV_E10value_typeET2_T3_PNSW_IS11_E10value_typeET4_jRbjT5_S17_jjP12ihipStream_tbEUljE_EEESS_ST_SU_S11_S15_S17_T6_T7_T9_mT8_S19_bDpT10_ENKUlT_T0_E_clISt17integral_constantIbLb0EES1M_EEDaS1H_S1I_EUlS1H_E_NS1_11comp_targetILNS1_3genE4ELNS1_11target_archE910ELNS1_3gpuE8ELNS1_3repE0EEENS1_30default_config_static_selectorELNS0_4arch9wavefront6targetE1EEEvSV_,"axG",@progbits,_ZN7rocprim17ROCPRIM_400000_NS6detail17trampoline_kernelINS0_13select_configILj256ELj13ELNS0_17block_load_methodE3ELS4_3ELS4_3ELNS0_20block_scan_algorithmE0ELj4294967295EEENS1_25partition_config_selectorILNS1_17partition_subalgoE3EjNS0_10empty_typeEbEEZZNS1_14partition_implILS8_3ELb0ES6_jNS0_17counting_iteratorIjlEEPS9_SE_NS0_5tupleIJPjSE_EEENSF_IJSE_SE_EEES9_SG_JZNS1_25segmented_radix_sort_implINS0_14default_configELb0EPKlPlSM_SN_N2at6native12_GLOBAL__N_18offset_tEEE10hipError_tPvRmT1_PNSt15iterator_traitsISV_E10value_typeET2_T3_PNSW_IS11_E10value_typeET4_jRbjT5_S17_jjP12ihipStream_tbEUljE_EEESS_ST_SU_S11_S15_S17_T6_T7_T9_mT8_S19_bDpT10_ENKUlT_T0_E_clISt17integral_constantIbLb0EES1M_EEDaS1H_S1I_EUlS1H_E_NS1_11comp_targetILNS1_3genE4ELNS1_11target_archE910ELNS1_3gpuE8ELNS1_3repE0EEENS1_30default_config_static_selectorELNS0_4arch9wavefront6targetE1EEEvSV_,comdat
.Lfunc_end777:
	.size	_ZN7rocprim17ROCPRIM_400000_NS6detail17trampoline_kernelINS0_13select_configILj256ELj13ELNS0_17block_load_methodE3ELS4_3ELS4_3ELNS0_20block_scan_algorithmE0ELj4294967295EEENS1_25partition_config_selectorILNS1_17partition_subalgoE3EjNS0_10empty_typeEbEEZZNS1_14partition_implILS8_3ELb0ES6_jNS0_17counting_iteratorIjlEEPS9_SE_NS0_5tupleIJPjSE_EEENSF_IJSE_SE_EEES9_SG_JZNS1_25segmented_radix_sort_implINS0_14default_configELb0EPKlPlSM_SN_N2at6native12_GLOBAL__N_18offset_tEEE10hipError_tPvRmT1_PNSt15iterator_traitsISV_E10value_typeET2_T3_PNSW_IS11_E10value_typeET4_jRbjT5_S17_jjP12ihipStream_tbEUljE_EEESS_ST_SU_S11_S15_S17_T6_T7_T9_mT8_S19_bDpT10_ENKUlT_T0_E_clISt17integral_constantIbLb0EES1M_EEDaS1H_S1I_EUlS1H_E_NS1_11comp_targetILNS1_3genE4ELNS1_11target_archE910ELNS1_3gpuE8ELNS1_3repE0EEENS1_30default_config_static_selectorELNS0_4arch9wavefront6targetE1EEEvSV_, .Lfunc_end777-_ZN7rocprim17ROCPRIM_400000_NS6detail17trampoline_kernelINS0_13select_configILj256ELj13ELNS0_17block_load_methodE3ELS4_3ELS4_3ELNS0_20block_scan_algorithmE0ELj4294967295EEENS1_25partition_config_selectorILNS1_17partition_subalgoE3EjNS0_10empty_typeEbEEZZNS1_14partition_implILS8_3ELb0ES6_jNS0_17counting_iteratorIjlEEPS9_SE_NS0_5tupleIJPjSE_EEENSF_IJSE_SE_EEES9_SG_JZNS1_25segmented_radix_sort_implINS0_14default_configELb0EPKlPlSM_SN_N2at6native12_GLOBAL__N_18offset_tEEE10hipError_tPvRmT1_PNSt15iterator_traitsISV_E10value_typeET2_T3_PNSW_IS11_E10value_typeET4_jRbjT5_S17_jjP12ihipStream_tbEUljE_EEESS_ST_SU_S11_S15_S17_T6_T7_T9_mT8_S19_bDpT10_ENKUlT_T0_E_clISt17integral_constantIbLb0EES1M_EEDaS1H_S1I_EUlS1H_E_NS1_11comp_targetILNS1_3genE4ELNS1_11target_archE910ELNS1_3gpuE8ELNS1_3repE0EEENS1_30default_config_static_selectorELNS0_4arch9wavefront6targetE1EEEvSV_
                                        ; -- End function
	.set _ZN7rocprim17ROCPRIM_400000_NS6detail17trampoline_kernelINS0_13select_configILj256ELj13ELNS0_17block_load_methodE3ELS4_3ELS4_3ELNS0_20block_scan_algorithmE0ELj4294967295EEENS1_25partition_config_selectorILNS1_17partition_subalgoE3EjNS0_10empty_typeEbEEZZNS1_14partition_implILS8_3ELb0ES6_jNS0_17counting_iteratorIjlEEPS9_SE_NS0_5tupleIJPjSE_EEENSF_IJSE_SE_EEES9_SG_JZNS1_25segmented_radix_sort_implINS0_14default_configELb0EPKlPlSM_SN_N2at6native12_GLOBAL__N_18offset_tEEE10hipError_tPvRmT1_PNSt15iterator_traitsISV_E10value_typeET2_T3_PNSW_IS11_E10value_typeET4_jRbjT5_S17_jjP12ihipStream_tbEUljE_EEESS_ST_SU_S11_S15_S17_T6_T7_T9_mT8_S19_bDpT10_ENKUlT_T0_E_clISt17integral_constantIbLb0EES1M_EEDaS1H_S1I_EUlS1H_E_NS1_11comp_targetILNS1_3genE4ELNS1_11target_archE910ELNS1_3gpuE8ELNS1_3repE0EEENS1_30default_config_static_selectorELNS0_4arch9wavefront6targetE1EEEvSV_.num_vgpr, 0
	.set _ZN7rocprim17ROCPRIM_400000_NS6detail17trampoline_kernelINS0_13select_configILj256ELj13ELNS0_17block_load_methodE3ELS4_3ELS4_3ELNS0_20block_scan_algorithmE0ELj4294967295EEENS1_25partition_config_selectorILNS1_17partition_subalgoE3EjNS0_10empty_typeEbEEZZNS1_14partition_implILS8_3ELb0ES6_jNS0_17counting_iteratorIjlEEPS9_SE_NS0_5tupleIJPjSE_EEENSF_IJSE_SE_EEES9_SG_JZNS1_25segmented_radix_sort_implINS0_14default_configELb0EPKlPlSM_SN_N2at6native12_GLOBAL__N_18offset_tEEE10hipError_tPvRmT1_PNSt15iterator_traitsISV_E10value_typeET2_T3_PNSW_IS11_E10value_typeET4_jRbjT5_S17_jjP12ihipStream_tbEUljE_EEESS_ST_SU_S11_S15_S17_T6_T7_T9_mT8_S19_bDpT10_ENKUlT_T0_E_clISt17integral_constantIbLb0EES1M_EEDaS1H_S1I_EUlS1H_E_NS1_11comp_targetILNS1_3genE4ELNS1_11target_archE910ELNS1_3gpuE8ELNS1_3repE0EEENS1_30default_config_static_selectorELNS0_4arch9wavefront6targetE1EEEvSV_.num_agpr, 0
	.set _ZN7rocprim17ROCPRIM_400000_NS6detail17trampoline_kernelINS0_13select_configILj256ELj13ELNS0_17block_load_methodE3ELS4_3ELS4_3ELNS0_20block_scan_algorithmE0ELj4294967295EEENS1_25partition_config_selectorILNS1_17partition_subalgoE3EjNS0_10empty_typeEbEEZZNS1_14partition_implILS8_3ELb0ES6_jNS0_17counting_iteratorIjlEEPS9_SE_NS0_5tupleIJPjSE_EEENSF_IJSE_SE_EEES9_SG_JZNS1_25segmented_radix_sort_implINS0_14default_configELb0EPKlPlSM_SN_N2at6native12_GLOBAL__N_18offset_tEEE10hipError_tPvRmT1_PNSt15iterator_traitsISV_E10value_typeET2_T3_PNSW_IS11_E10value_typeET4_jRbjT5_S17_jjP12ihipStream_tbEUljE_EEESS_ST_SU_S11_S15_S17_T6_T7_T9_mT8_S19_bDpT10_ENKUlT_T0_E_clISt17integral_constantIbLb0EES1M_EEDaS1H_S1I_EUlS1H_E_NS1_11comp_targetILNS1_3genE4ELNS1_11target_archE910ELNS1_3gpuE8ELNS1_3repE0EEENS1_30default_config_static_selectorELNS0_4arch9wavefront6targetE1EEEvSV_.numbered_sgpr, 0
	.set _ZN7rocprim17ROCPRIM_400000_NS6detail17trampoline_kernelINS0_13select_configILj256ELj13ELNS0_17block_load_methodE3ELS4_3ELS4_3ELNS0_20block_scan_algorithmE0ELj4294967295EEENS1_25partition_config_selectorILNS1_17partition_subalgoE3EjNS0_10empty_typeEbEEZZNS1_14partition_implILS8_3ELb0ES6_jNS0_17counting_iteratorIjlEEPS9_SE_NS0_5tupleIJPjSE_EEENSF_IJSE_SE_EEES9_SG_JZNS1_25segmented_radix_sort_implINS0_14default_configELb0EPKlPlSM_SN_N2at6native12_GLOBAL__N_18offset_tEEE10hipError_tPvRmT1_PNSt15iterator_traitsISV_E10value_typeET2_T3_PNSW_IS11_E10value_typeET4_jRbjT5_S17_jjP12ihipStream_tbEUljE_EEESS_ST_SU_S11_S15_S17_T6_T7_T9_mT8_S19_bDpT10_ENKUlT_T0_E_clISt17integral_constantIbLb0EES1M_EEDaS1H_S1I_EUlS1H_E_NS1_11comp_targetILNS1_3genE4ELNS1_11target_archE910ELNS1_3gpuE8ELNS1_3repE0EEENS1_30default_config_static_selectorELNS0_4arch9wavefront6targetE1EEEvSV_.num_named_barrier, 0
	.set _ZN7rocprim17ROCPRIM_400000_NS6detail17trampoline_kernelINS0_13select_configILj256ELj13ELNS0_17block_load_methodE3ELS4_3ELS4_3ELNS0_20block_scan_algorithmE0ELj4294967295EEENS1_25partition_config_selectorILNS1_17partition_subalgoE3EjNS0_10empty_typeEbEEZZNS1_14partition_implILS8_3ELb0ES6_jNS0_17counting_iteratorIjlEEPS9_SE_NS0_5tupleIJPjSE_EEENSF_IJSE_SE_EEES9_SG_JZNS1_25segmented_radix_sort_implINS0_14default_configELb0EPKlPlSM_SN_N2at6native12_GLOBAL__N_18offset_tEEE10hipError_tPvRmT1_PNSt15iterator_traitsISV_E10value_typeET2_T3_PNSW_IS11_E10value_typeET4_jRbjT5_S17_jjP12ihipStream_tbEUljE_EEESS_ST_SU_S11_S15_S17_T6_T7_T9_mT8_S19_bDpT10_ENKUlT_T0_E_clISt17integral_constantIbLb0EES1M_EEDaS1H_S1I_EUlS1H_E_NS1_11comp_targetILNS1_3genE4ELNS1_11target_archE910ELNS1_3gpuE8ELNS1_3repE0EEENS1_30default_config_static_selectorELNS0_4arch9wavefront6targetE1EEEvSV_.private_seg_size, 0
	.set _ZN7rocprim17ROCPRIM_400000_NS6detail17trampoline_kernelINS0_13select_configILj256ELj13ELNS0_17block_load_methodE3ELS4_3ELS4_3ELNS0_20block_scan_algorithmE0ELj4294967295EEENS1_25partition_config_selectorILNS1_17partition_subalgoE3EjNS0_10empty_typeEbEEZZNS1_14partition_implILS8_3ELb0ES6_jNS0_17counting_iteratorIjlEEPS9_SE_NS0_5tupleIJPjSE_EEENSF_IJSE_SE_EEES9_SG_JZNS1_25segmented_radix_sort_implINS0_14default_configELb0EPKlPlSM_SN_N2at6native12_GLOBAL__N_18offset_tEEE10hipError_tPvRmT1_PNSt15iterator_traitsISV_E10value_typeET2_T3_PNSW_IS11_E10value_typeET4_jRbjT5_S17_jjP12ihipStream_tbEUljE_EEESS_ST_SU_S11_S15_S17_T6_T7_T9_mT8_S19_bDpT10_ENKUlT_T0_E_clISt17integral_constantIbLb0EES1M_EEDaS1H_S1I_EUlS1H_E_NS1_11comp_targetILNS1_3genE4ELNS1_11target_archE910ELNS1_3gpuE8ELNS1_3repE0EEENS1_30default_config_static_selectorELNS0_4arch9wavefront6targetE1EEEvSV_.uses_vcc, 0
	.set _ZN7rocprim17ROCPRIM_400000_NS6detail17trampoline_kernelINS0_13select_configILj256ELj13ELNS0_17block_load_methodE3ELS4_3ELS4_3ELNS0_20block_scan_algorithmE0ELj4294967295EEENS1_25partition_config_selectorILNS1_17partition_subalgoE3EjNS0_10empty_typeEbEEZZNS1_14partition_implILS8_3ELb0ES6_jNS0_17counting_iteratorIjlEEPS9_SE_NS0_5tupleIJPjSE_EEENSF_IJSE_SE_EEES9_SG_JZNS1_25segmented_radix_sort_implINS0_14default_configELb0EPKlPlSM_SN_N2at6native12_GLOBAL__N_18offset_tEEE10hipError_tPvRmT1_PNSt15iterator_traitsISV_E10value_typeET2_T3_PNSW_IS11_E10value_typeET4_jRbjT5_S17_jjP12ihipStream_tbEUljE_EEESS_ST_SU_S11_S15_S17_T6_T7_T9_mT8_S19_bDpT10_ENKUlT_T0_E_clISt17integral_constantIbLb0EES1M_EEDaS1H_S1I_EUlS1H_E_NS1_11comp_targetILNS1_3genE4ELNS1_11target_archE910ELNS1_3gpuE8ELNS1_3repE0EEENS1_30default_config_static_selectorELNS0_4arch9wavefront6targetE1EEEvSV_.uses_flat_scratch, 0
	.set _ZN7rocprim17ROCPRIM_400000_NS6detail17trampoline_kernelINS0_13select_configILj256ELj13ELNS0_17block_load_methodE3ELS4_3ELS4_3ELNS0_20block_scan_algorithmE0ELj4294967295EEENS1_25partition_config_selectorILNS1_17partition_subalgoE3EjNS0_10empty_typeEbEEZZNS1_14partition_implILS8_3ELb0ES6_jNS0_17counting_iteratorIjlEEPS9_SE_NS0_5tupleIJPjSE_EEENSF_IJSE_SE_EEES9_SG_JZNS1_25segmented_radix_sort_implINS0_14default_configELb0EPKlPlSM_SN_N2at6native12_GLOBAL__N_18offset_tEEE10hipError_tPvRmT1_PNSt15iterator_traitsISV_E10value_typeET2_T3_PNSW_IS11_E10value_typeET4_jRbjT5_S17_jjP12ihipStream_tbEUljE_EEESS_ST_SU_S11_S15_S17_T6_T7_T9_mT8_S19_bDpT10_ENKUlT_T0_E_clISt17integral_constantIbLb0EES1M_EEDaS1H_S1I_EUlS1H_E_NS1_11comp_targetILNS1_3genE4ELNS1_11target_archE910ELNS1_3gpuE8ELNS1_3repE0EEENS1_30default_config_static_selectorELNS0_4arch9wavefront6targetE1EEEvSV_.has_dyn_sized_stack, 0
	.set _ZN7rocprim17ROCPRIM_400000_NS6detail17trampoline_kernelINS0_13select_configILj256ELj13ELNS0_17block_load_methodE3ELS4_3ELS4_3ELNS0_20block_scan_algorithmE0ELj4294967295EEENS1_25partition_config_selectorILNS1_17partition_subalgoE3EjNS0_10empty_typeEbEEZZNS1_14partition_implILS8_3ELb0ES6_jNS0_17counting_iteratorIjlEEPS9_SE_NS0_5tupleIJPjSE_EEENSF_IJSE_SE_EEES9_SG_JZNS1_25segmented_radix_sort_implINS0_14default_configELb0EPKlPlSM_SN_N2at6native12_GLOBAL__N_18offset_tEEE10hipError_tPvRmT1_PNSt15iterator_traitsISV_E10value_typeET2_T3_PNSW_IS11_E10value_typeET4_jRbjT5_S17_jjP12ihipStream_tbEUljE_EEESS_ST_SU_S11_S15_S17_T6_T7_T9_mT8_S19_bDpT10_ENKUlT_T0_E_clISt17integral_constantIbLb0EES1M_EEDaS1H_S1I_EUlS1H_E_NS1_11comp_targetILNS1_3genE4ELNS1_11target_archE910ELNS1_3gpuE8ELNS1_3repE0EEENS1_30default_config_static_selectorELNS0_4arch9wavefront6targetE1EEEvSV_.has_recursion, 0
	.set _ZN7rocprim17ROCPRIM_400000_NS6detail17trampoline_kernelINS0_13select_configILj256ELj13ELNS0_17block_load_methodE3ELS4_3ELS4_3ELNS0_20block_scan_algorithmE0ELj4294967295EEENS1_25partition_config_selectorILNS1_17partition_subalgoE3EjNS0_10empty_typeEbEEZZNS1_14partition_implILS8_3ELb0ES6_jNS0_17counting_iteratorIjlEEPS9_SE_NS0_5tupleIJPjSE_EEENSF_IJSE_SE_EEES9_SG_JZNS1_25segmented_radix_sort_implINS0_14default_configELb0EPKlPlSM_SN_N2at6native12_GLOBAL__N_18offset_tEEE10hipError_tPvRmT1_PNSt15iterator_traitsISV_E10value_typeET2_T3_PNSW_IS11_E10value_typeET4_jRbjT5_S17_jjP12ihipStream_tbEUljE_EEESS_ST_SU_S11_S15_S17_T6_T7_T9_mT8_S19_bDpT10_ENKUlT_T0_E_clISt17integral_constantIbLb0EES1M_EEDaS1H_S1I_EUlS1H_E_NS1_11comp_targetILNS1_3genE4ELNS1_11target_archE910ELNS1_3gpuE8ELNS1_3repE0EEENS1_30default_config_static_selectorELNS0_4arch9wavefront6targetE1EEEvSV_.has_indirect_call, 0
	.section	.AMDGPU.csdata,"",@progbits
; Kernel info:
; codeLenInByte = 0
; TotalNumSgprs: 4
; NumVgprs: 0
; ScratchSize: 0
; MemoryBound: 0
; FloatMode: 240
; IeeeMode: 1
; LDSByteSize: 0 bytes/workgroup (compile time only)
; SGPRBlocks: 0
; VGPRBlocks: 0
; NumSGPRsForWavesPerEU: 4
; NumVGPRsForWavesPerEU: 1
; Occupancy: 10
; WaveLimiterHint : 0
; COMPUTE_PGM_RSRC2:SCRATCH_EN: 0
; COMPUTE_PGM_RSRC2:USER_SGPR: 6
; COMPUTE_PGM_RSRC2:TRAP_HANDLER: 0
; COMPUTE_PGM_RSRC2:TGID_X_EN: 1
; COMPUTE_PGM_RSRC2:TGID_Y_EN: 0
; COMPUTE_PGM_RSRC2:TGID_Z_EN: 0
; COMPUTE_PGM_RSRC2:TIDIG_COMP_CNT: 0
	.section	.text._ZN7rocprim17ROCPRIM_400000_NS6detail17trampoline_kernelINS0_13select_configILj256ELj13ELNS0_17block_load_methodE3ELS4_3ELS4_3ELNS0_20block_scan_algorithmE0ELj4294967295EEENS1_25partition_config_selectorILNS1_17partition_subalgoE3EjNS0_10empty_typeEbEEZZNS1_14partition_implILS8_3ELb0ES6_jNS0_17counting_iteratorIjlEEPS9_SE_NS0_5tupleIJPjSE_EEENSF_IJSE_SE_EEES9_SG_JZNS1_25segmented_radix_sort_implINS0_14default_configELb0EPKlPlSM_SN_N2at6native12_GLOBAL__N_18offset_tEEE10hipError_tPvRmT1_PNSt15iterator_traitsISV_E10value_typeET2_T3_PNSW_IS11_E10value_typeET4_jRbjT5_S17_jjP12ihipStream_tbEUljE_EEESS_ST_SU_S11_S15_S17_T6_T7_T9_mT8_S19_bDpT10_ENKUlT_T0_E_clISt17integral_constantIbLb0EES1M_EEDaS1H_S1I_EUlS1H_E_NS1_11comp_targetILNS1_3genE3ELNS1_11target_archE908ELNS1_3gpuE7ELNS1_3repE0EEENS1_30default_config_static_selectorELNS0_4arch9wavefront6targetE1EEEvSV_,"axG",@progbits,_ZN7rocprim17ROCPRIM_400000_NS6detail17trampoline_kernelINS0_13select_configILj256ELj13ELNS0_17block_load_methodE3ELS4_3ELS4_3ELNS0_20block_scan_algorithmE0ELj4294967295EEENS1_25partition_config_selectorILNS1_17partition_subalgoE3EjNS0_10empty_typeEbEEZZNS1_14partition_implILS8_3ELb0ES6_jNS0_17counting_iteratorIjlEEPS9_SE_NS0_5tupleIJPjSE_EEENSF_IJSE_SE_EEES9_SG_JZNS1_25segmented_radix_sort_implINS0_14default_configELb0EPKlPlSM_SN_N2at6native12_GLOBAL__N_18offset_tEEE10hipError_tPvRmT1_PNSt15iterator_traitsISV_E10value_typeET2_T3_PNSW_IS11_E10value_typeET4_jRbjT5_S17_jjP12ihipStream_tbEUljE_EEESS_ST_SU_S11_S15_S17_T6_T7_T9_mT8_S19_bDpT10_ENKUlT_T0_E_clISt17integral_constantIbLb0EES1M_EEDaS1H_S1I_EUlS1H_E_NS1_11comp_targetILNS1_3genE3ELNS1_11target_archE908ELNS1_3gpuE7ELNS1_3repE0EEENS1_30default_config_static_selectorELNS0_4arch9wavefront6targetE1EEEvSV_,comdat
	.globl	_ZN7rocprim17ROCPRIM_400000_NS6detail17trampoline_kernelINS0_13select_configILj256ELj13ELNS0_17block_load_methodE3ELS4_3ELS4_3ELNS0_20block_scan_algorithmE0ELj4294967295EEENS1_25partition_config_selectorILNS1_17partition_subalgoE3EjNS0_10empty_typeEbEEZZNS1_14partition_implILS8_3ELb0ES6_jNS0_17counting_iteratorIjlEEPS9_SE_NS0_5tupleIJPjSE_EEENSF_IJSE_SE_EEES9_SG_JZNS1_25segmented_radix_sort_implINS0_14default_configELb0EPKlPlSM_SN_N2at6native12_GLOBAL__N_18offset_tEEE10hipError_tPvRmT1_PNSt15iterator_traitsISV_E10value_typeET2_T3_PNSW_IS11_E10value_typeET4_jRbjT5_S17_jjP12ihipStream_tbEUljE_EEESS_ST_SU_S11_S15_S17_T6_T7_T9_mT8_S19_bDpT10_ENKUlT_T0_E_clISt17integral_constantIbLb0EES1M_EEDaS1H_S1I_EUlS1H_E_NS1_11comp_targetILNS1_3genE3ELNS1_11target_archE908ELNS1_3gpuE7ELNS1_3repE0EEENS1_30default_config_static_selectorELNS0_4arch9wavefront6targetE1EEEvSV_ ; -- Begin function _ZN7rocprim17ROCPRIM_400000_NS6detail17trampoline_kernelINS0_13select_configILj256ELj13ELNS0_17block_load_methodE3ELS4_3ELS4_3ELNS0_20block_scan_algorithmE0ELj4294967295EEENS1_25partition_config_selectorILNS1_17partition_subalgoE3EjNS0_10empty_typeEbEEZZNS1_14partition_implILS8_3ELb0ES6_jNS0_17counting_iteratorIjlEEPS9_SE_NS0_5tupleIJPjSE_EEENSF_IJSE_SE_EEES9_SG_JZNS1_25segmented_radix_sort_implINS0_14default_configELb0EPKlPlSM_SN_N2at6native12_GLOBAL__N_18offset_tEEE10hipError_tPvRmT1_PNSt15iterator_traitsISV_E10value_typeET2_T3_PNSW_IS11_E10value_typeET4_jRbjT5_S17_jjP12ihipStream_tbEUljE_EEESS_ST_SU_S11_S15_S17_T6_T7_T9_mT8_S19_bDpT10_ENKUlT_T0_E_clISt17integral_constantIbLb0EES1M_EEDaS1H_S1I_EUlS1H_E_NS1_11comp_targetILNS1_3genE3ELNS1_11target_archE908ELNS1_3gpuE7ELNS1_3repE0EEENS1_30default_config_static_selectorELNS0_4arch9wavefront6targetE1EEEvSV_
	.p2align	8
	.type	_ZN7rocprim17ROCPRIM_400000_NS6detail17trampoline_kernelINS0_13select_configILj256ELj13ELNS0_17block_load_methodE3ELS4_3ELS4_3ELNS0_20block_scan_algorithmE0ELj4294967295EEENS1_25partition_config_selectorILNS1_17partition_subalgoE3EjNS0_10empty_typeEbEEZZNS1_14partition_implILS8_3ELb0ES6_jNS0_17counting_iteratorIjlEEPS9_SE_NS0_5tupleIJPjSE_EEENSF_IJSE_SE_EEES9_SG_JZNS1_25segmented_radix_sort_implINS0_14default_configELb0EPKlPlSM_SN_N2at6native12_GLOBAL__N_18offset_tEEE10hipError_tPvRmT1_PNSt15iterator_traitsISV_E10value_typeET2_T3_PNSW_IS11_E10value_typeET4_jRbjT5_S17_jjP12ihipStream_tbEUljE_EEESS_ST_SU_S11_S15_S17_T6_T7_T9_mT8_S19_bDpT10_ENKUlT_T0_E_clISt17integral_constantIbLb0EES1M_EEDaS1H_S1I_EUlS1H_E_NS1_11comp_targetILNS1_3genE3ELNS1_11target_archE908ELNS1_3gpuE7ELNS1_3repE0EEENS1_30default_config_static_selectorELNS0_4arch9wavefront6targetE1EEEvSV_,@function
_ZN7rocprim17ROCPRIM_400000_NS6detail17trampoline_kernelINS0_13select_configILj256ELj13ELNS0_17block_load_methodE3ELS4_3ELS4_3ELNS0_20block_scan_algorithmE0ELj4294967295EEENS1_25partition_config_selectorILNS1_17partition_subalgoE3EjNS0_10empty_typeEbEEZZNS1_14partition_implILS8_3ELb0ES6_jNS0_17counting_iteratorIjlEEPS9_SE_NS0_5tupleIJPjSE_EEENSF_IJSE_SE_EEES9_SG_JZNS1_25segmented_radix_sort_implINS0_14default_configELb0EPKlPlSM_SN_N2at6native12_GLOBAL__N_18offset_tEEE10hipError_tPvRmT1_PNSt15iterator_traitsISV_E10value_typeET2_T3_PNSW_IS11_E10value_typeET4_jRbjT5_S17_jjP12ihipStream_tbEUljE_EEESS_ST_SU_S11_S15_S17_T6_T7_T9_mT8_S19_bDpT10_ENKUlT_T0_E_clISt17integral_constantIbLb0EES1M_EEDaS1H_S1I_EUlS1H_E_NS1_11comp_targetILNS1_3genE3ELNS1_11target_archE908ELNS1_3gpuE7ELNS1_3repE0EEENS1_30default_config_static_selectorELNS0_4arch9wavefront6targetE1EEEvSV_: ; @_ZN7rocprim17ROCPRIM_400000_NS6detail17trampoline_kernelINS0_13select_configILj256ELj13ELNS0_17block_load_methodE3ELS4_3ELS4_3ELNS0_20block_scan_algorithmE0ELj4294967295EEENS1_25partition_config_selectorILNS1_17partition_subalgoE3EjNS0_10empty_typeEbEEZZNS1_14partition_implILS8_3ELb0ES6_jNS0_17counting_iteratorIjlEEPS9_SE_NS0_5tupleIJPjSE_EEENSF_IJSE_SE_EEES9_SG_JZNS1_25segmented_radix_sort_implINS0_14default_configELb0EPKlPlSM_SN_N2at6native12_GLOBAL__N_18offset_tEEE10hipError_tPvRmT1_PNSt15iterator_traitsISV_E10value_typeET2_T3_PNSW_IS11_E10value_typeET4_jRbjT5_S17_jjP12ihipStream_tbEUljE_EEESS_ST_SU_S11_S15_S17_T6_T7_T9_mT8_S19_bDpT10_ENKUlT_T0_E_clISt17integral_constantIbLb0EES1M_EEDaS1H_S1I_EUlS1H_E_NS1_11comp_targetILNS1_3genE3ELNS1_11target_archE908ELNS1_3gpuE7ELNS1_3repE0EEENS1_30default_config_static_selectorELNS0_4arch9wavefront6targetE1EEEvSV_
; %bb.0:
	.section	.rodata,"a",@progbits
	.p2align	6, 0x0
	.amdhsa_kernel _ZN7rocprim17ROCPRIM_400000_NS6detail17trampoline_kernelINS0_13select_configILj256ELj13ELNS0_17block_load_methodE3ELS4_3ELS4_3ELNS0_20block_scan_algorithmE0ELj4294967295EEENS1_25partition_config_selectorILNS1_17partition_subalgoE3EjNS0_10empty_typeEbEEZZNS1_14partition_implILS8_3ELb0ES6_jNS0_17counting_iteratorIjlEEPS9_SE_NS0_5tupleIJPjSE_EEENSF_IJSE_SE_EEES9_SG_JZNS1_25segmented_radix_sort_implINS0_14default_configELb0EPKlPlSM_SN_N2at6native12_GLOBAL__N_18offset_tEEE10hipError_tPvRmT1_PNSt15iterator_traitsISV_E10value_typeET2_T3_PNSW_IS11_E10value_typeET4_jRbjT5_S17_jjP12ihipStream_tbEUljE_EEESS_ST_SU_S11_S15_S17_T6_T7_T9_mT8_S19_bDpT10_ENKUlT_T0_E_clISt17integral_constantIbLb0EES1M_EEDaS1H_S1I_EUlS1H_E_NS1_11comp_targetILNS1_3genE3ELNS1_11target_archE908ELNS1_3gpuE7ELNS1_3repE0EEENS1_30default_config_static_selectorELNS0_4arch9wavefront6targetE1EEEvSV_
		.amdhsa_group_segment_fixed_size 0
		.amdhsa_private_segment_fixed_size 0
		.amdhsa_kernarg_size 144
		.amdhsa_user_sgpr_count 6
		.amdhsa_user_sgpr_private_segment_buffer 1
		.amdhsa_user_sgpr_dispatch_ptr 0
		.amdhsa_user_sgpr_queue_ptr 0
		.amdhsa_user_sgpr_kernarg_segment_ptr 1
		.amdhsa_user_sgpr_dispatch_id 0
		.amdhsa_user_sgpr_flat_scratch_init 0
		.amdhsa_user_sgpr_private_segment_size 0
		.amdhsa_uses_dynamic_stack 0
		.amdhsa_system_sgpr_private_segment_wavefront_offset 0
		.amdhsa_system_sgpr_workgroup_id_x 1
		.amdhsa_system_sgpr_workgroup_id_y 0
		.amdhsa_system_sgpr_workgroup_id_z 0
		.amdhsa_system_sgpr_workgroup_info 0
		.amdhsa_system_vgpr_workitem_id 0
		.amdhsa_next_free_vgpr 1
		.amdhsa_next_free_sgpr 0
		.amdhsa_reserve_vcc 0
		.amdhsa_reserve_flat_scratch 0
		.amdhsa_float_round_mode_32 0
		.amdhsa_float_round_mode_16_64 0
		.amdhsa_float_denorm_mode_32 3
		.amdhsa_float_denorm_mode_16_64 3
		.amdhsa_dx10_clamp 1
		.amdhsa_ieee_mode 1
		.amdhsa_fp16_overflow 0
		.amdhsa_exception_fp_ieee_invalid_op 0
		.amdhsa_exception_fp_denorm_src 0
		.amdhsa_exception_fp_ieee_div_zero 0
		.amdhsa_exception_fp_ieee_overflow 0
		.amdhsa_exception_fp_ieee_underflow 0
		.amdhsa_exception_fp_ieee_inexact 0
		.amdhsa_exception_int_div_zero 0
	.end_amdhsa_kernel
	.section	.text._ZN7rocprim17ROCPRIM_400000_NS6detail17trampoline_kernelINS0_13select_configILj256ELj13ELNS0_17block_load_methodE3ELS4_3ELS4_3ELNS0_20block_scan_algorithmE0ELj4294967295EEENS1_25partition_config_selectorILNS1_17partition_subalgoE3EjNS0_10empty_typeEbEEZZNS1_14partition_implILS8_3ELb0ES6_jNS0_17counting_iteratorIjlEEPS9_SE_NS0_5tupleIJPjSE_EEENSF_IJSE_SE_EEES9_SG_JZNS1_25segmented_radix_sort_implINS0_14default_configELb0EPKlPlSM_SN_N2at6native12_GLOBAL__N_18offset_tEEE10hipError_tPvRmT1_PNSt15iterator_traitsISV_E10value_typeET2_T3_PNSW_IS11_E10value_typeET4_jRbjT5_S17_jjP12ihipStream_tbEUljE_EEESS_ST_SU_S11_S15_S17_T6_T7_T9_mT8_S19_bDpT10_ENKUlT_T0_E_clISt17integral_constantIbLb0EES1M_EEDaS1H_S1I_EUlS1H_E_NS1_11comp_targetILNS1_3genE3ELNS1_11target_archE908ELNS1_3gpuE7ELNS1_3repE0EEENS1_30default_config_static_selectorELNS0_4arch9wavefront6targetE1EEEvSV_,"axG",@progbits,_ZN7rocprim17ROCPRIM_400000_NS6detail17trampoline_kernelINS0_13select_configILj256ELj13ELNS0_17block_load_methodE3ELS4_3ELS4_3ELNS0_20block_scan_algorithmE0ELj4294967295EEENS1_25partition_config_selectorILNS1_17partition_subalgoE3EjNS0_10empty_typeEbEEZZNS1_14partition_implILS8_3ELb0ES6_jNS0_17counting_iteratorIjlEEPS9_SE_NS0_5tupleIJPjSE_EEENSF_IJSE_SE_EEES9_SG_JZNS1_25segmented_radix_sort_implINS0_14default_configELb0EPKlPlSM_SN_N2at6native12_GLOBAL__N_18offset_tEEE10hipError_tPvRmT1_PNSt15iterator_traitsISV_E10value_typeET2_T3_PNSW_IS11_E10value_typeET4_jRbjT5_S17_jjP12ihipStream_tbEUljE_EEESS_ST_SU_S11_S15_S17_T6_T7_T9_mT8_S19_bDpT10_ENKUlT_T0_E_clISt17integral_constantIbLb0EES1M_EEDaS1H_S1I_EUlS1H_E_NS1_11comp_targetILNS1_3genE3ELNS1_11target_archE908ELNS1_3gpuE7ELNS1_3repE0EEENS1_30default_config_static_selectorELNS0_4arch9wavefront6targetE1EEEvSV_,comdat
.Lfunc_end778:
	.size	_ZN7rocprim17ROCPRIM_400000_NS6detail17trampoline_kernelINS0_13select_configILj256ELj13ELNS0_17block_load_methodE3ELS4_3ELS4_3ELNS0_20block_scan_algorithmE0ELj4294967295EEENS1_25partition_config_selectorILNS1_17partition_subalgoE3EjNS0_10empty_typeEbEEZZNS1_14partition_implILS8_3ELb0ES6_jNS0_17counting_iteratorIjlEEPS9_SE_NS0_5tupleIJPjSE_EEENSF_IJSE_SE_EEES9_SG_JZNS1_25segmented_radix_sort_implINS0_14default_configELb0EPKlPlSM_SN_N2at6native12_GLOBAL__N_18offset_tEEE10hipError_tPvRmT1_PNSt15iterator_traitsISV_E10value_typeET2_T3_PNSW_IS11_E10value_typeET4_jRbjT5_S17_jjP12ihipStream_tbEUljE_EEESS_ST_SU_S11_S15_S17_T6_T7_T9_mT8_S19_bDpT10_ENKUlT_T0_E_clISt17integral_constantIbLb0EES1M_EEDaS1H_S1I_EUlS1H_E_NS1_11comp_targetILNS1_3genE3ELNS1_11target_archE908ELNS1_3gpuE7ELNS1_3repE0EEENS1_30default_config_static_selectorELNS0_4arch9wavefront6targetE1EEEvSV_, .Lfunc_end778-_ZN7rocprim17ROCPRIM_400000_NS6detail17trampoline_kernelINS0_13select_configILj256ELj13ELNS0_17block_load_methodE3ELS4_3ELS4_3ELNS0_20block_scan_algorithmE0ELj4294967295EEENS1_25partition_config_selectorILNS1_17partition_subalgoE3EjNS0_10empty_typeEbEEZZNS1_14partition_implILS8_3ELb0ES6_jNS0_17counting_iteratorIjlEEPS9_SE_NS0_5tupleIJPjSE_EEENSF_IJSE_SE_EEES9_SG_JZNS1_25segmented_radix_sort_implINS0_14default_configELb0EPKlPlSM_SN_N2at6native12_GLOBAL__N_18offset_tEEE10hipError_tPvRmT1_PNSt15iterator_traitsISV_E10value_typeET2_T3_PNSW_IS11_E10value_typeET4_jRbjT5_S17_jjP12ihipStream_tbEUljE_EEESS_ST_SU_S11_S15_S17_T6_T7_T9_mT8_S19_bDpT10_ENKUlT_T0_E_clISt17integral_constantIbLb0EES1M_EEDaS1H_S1I_EUlS1H_E_NS1_11comp_targetILNS1_3genE3ELNS1_11target_archE908ELNS1_3gpuE7ELNS1_3repE0EEENS1_30default_config_static_selectorELNS0_4arch9wavefront6targetE1EEEvSV_
                                        ; -- End function
	.set _ZN7rocprim17ROCPRIM_400000_NS6detail17trampoline_kernelINS0_13select_configILj256ELj13ELNS0_17block_load_methodE3ELS4_3ELS4_3ELNS0_20block_scan_algorithmE0ELj4294967295EEENS1_25partition_config_selectorILNS1_17partition_subalgoE3EjNS0_10empty_typeEbEEZZNS1_14partition_implILS8_3ELb0ES6_jNS0_17counting_iteratorIjlEEPS9_SE_NS0_5tupleIJPjSE_EEENSF_IJSE_SE_EEES9_SG_JZNS1_25segmented_radix_sort_implINS0_14default_configELb0EPKlPlSM_SN_N2at6native12_GLOBAL__N_18offset_tEEE10hipError_tPvRmT1_PNSt15iterator_traitsISV_E10value_typeET2_T3_PNSW_IS11_E10value_typeET4_jRbjT5_S17_jjP12ihipStream_tbEUljE_EEESS_ST_SU_S11_S15_S17_T6_T7_T9_mT8_S19_bDpT10_ENKUlT_T0_E_clISt17integral_constantIbLb0EES1M_EEDaS1H_S1I_EUlS1H_E_NS1_11comp_targetILNS1_3genE3ELNS1_11target_archE908ELNS1_3gpuE7ELNS1_3repE0EEENS1_30default_config_static_selectorELNS0_4arch9wavefront6targetE1EEEvSV_.num_vgpr, 0
	.set _ZN7rocprim17ROCPRIM_400000_NS6detail17trampoline_kernelINS0_13select_configILj256ELj13ELNS0_17block_load_methodE3ELS4_3ELS4_3ELNS0_20block_scan_algorithmE0ELj4294967295EEENS1_25partition_config_selectorILNS1_17partition_subalgoE3EjNS0_10empty_typeEbEEZZNS1_14partition_implILS8_3ELb0ES6_jNS0_17counting_iteratorIjlEEPS9_SE_NS0_5tupleIJPjSE_EEENSF_IJSE_SE_EEES9_SG_JZNS1_25segmented_radix_sort_implINS0_14default_configELb0EPKlPlSM_SN_N2at6native12_GLOBAL__N_18offset_tEEE10hipError_tPvRmT1_PNSt15iterator_traitsISV_E10value_typeET2_T3_PNSW_IS11_E10value_typeET4_jRbjT5_S17_jjP12ihipStream_tbEUljE_EEESS_ST_SU_S11_S15_S17_T6_T7_T9_mT8_S19_bDpT10_ENKUlT_T0_E_clISt17integral_constantIbLb0EES1M_EEDaS1H_S1I_EUlS1H_E_NS1_11comp_targetILNS1_3genE3ELNS1_11target_archE908ELNS1_3gpuE7ELNS1_3repE0EEENS1_30default_config_static_selectorELNS0_4arch9wavefront6targetE1EEEvSV_.num_agpr, 0
	.set _ZN7rocprim17ROCPRIM_400000_NS6detail17trampoline_kernelINS0_13select_configILj256ELj13ELNS0_17block_load_methodE3ELS4_3ELS4_3ELNS0_20block_scan_algorithmE0ELj4294967295EEENS1_25partition_config_selectorILNS1_17partition_subalgoE3EjNS0_10empty_typeEbEEZZNS1_14partition_implILS8_3ELb0ES6_jNS0_17counting_iteratorIjlEEPS9_SE_NS0_5tupleIJPjSE_EEENSF_IJSE_SE_EEES9_SG_JZNS1_25segmented_radix_sort_implINS0_14default_configELb0EPKlPlSM_SN_N2at6native12_GLOBAL__N_18offset_tEEE10hipError_tPvRmT1_PNSt15iterator_traitsISV_E10value_typeET2_T3_PNSW_IS11_E10value_typeET4_jRbjT5_S17_jjP12ihipStream_tbEUljE_EEESS_ST_SU_S11_S15_S17_T6_T7_T9_mT8_S19_bDpT10_ENKUlT_T0_E_clISt17integral_constantIbLb0EES1M_EEDaS1H_S1I_EUlS1H_E_NS1_11comp_targetILNS1_3genE3ELNS1_11target_archE908ELNS1_3gpuE7ELNS1_3repE0EEENS1_30default_config_static_selectorELNS0_4arch9wavefront6targetE1EEEvSV_.numbered_sgpr, 0
	.set _ZN7rocprim17ROCPRIM_400000_NS6detail17trampoline_kernelINS0_13select_configILj256ELj13ELNS0_17block_load_methodE3ELS4_3ELS4_3ELNS0_20block_scan_algorithmE0ELj4294967295EEENS1_25partition_config_selectorILNS1_17partition_subalgoE3EjNS0_10empty_typeEbEEZZNS1_14partition_implILS8_3ELb0ES6_jNS0_17counting_iteratorIjlEEPS9_SE_NS0_5tupleIJPjSE_EEENSF_IJSE_SE_EEES9_SG_JZNS1_25segmented_radix_sort_implINS0_14default_configELb0EPKlPlSM_SN_N2at6native12_GLOBAL__N_18offset_tEEE10hipError_tPvRmT1_PNSt15iterator_traitsISV_E10value_typeET2_T3_PNSW_IS11_E10value_typeET4_jRbjT5_S17_jjP12ihipStream_tbEUljE_EEESS_ST_SU_S11_S15_S17_T6_T7_T9_mT8_S19_bDpT10_ENKUlT_T0_E_clISt17integral_constantIbLb0EES1M_EEDaS1H_S1I_EUlS1H_E_NS1_11comp_targetILNS1_3genE3ELNS1_11target_archE908ELNS1_3gpuE7ELNS1_3repE0EEENS1_30default_config_static_selectorELNS0_4arch9wavefront6targetE1EEEvSV_.num_named_barrier, 0
	.set _ZN7rocprim17ROCPRIM_400000_NS6detail17trampoline_kernelINS0_13select_configILj256ELj13ELNS0_17block_load_methodE3ELS4_3ELS4_3ELNS0_20block_scan_algorithmE0ELj4294967295EEENS1_25partition_config_selectorILNS1_17partition_subalgoE3EjNS0_10empty_typeEbEEZZNS1_14partition_implILS8_3ELb0ES6_jNS0_17counting_iteratorIjlEEPS9_SE_NS0_5tupleIJPjSE_EEENSF_IJSE_SE_EEES9_SG_JZNS1_25segmented_radix_sort_implINS0_14default_configELb0EPKlPlSM_SN_N2at6native12_GLOBAL__N_18offset_tEEE10hipError_tPvRmT1_PNSt15iterator_traitsISV_E10value_typeET2_T3_PNSW_IS11_E10value_typeET4_jRbjT5_S17_jjP12ihipStream_tbEUljE_EEESS_ST_SU_S11_S15_S17_T6_T7_T9_mT8_S19_bDpT10_ENKUlT_T0_E_clISt17integral_constantIbLb0EES1M_EEDaS1H_S1I_EUlS1H_E_NS1_11comp_targetILNS1_3genE3ELNS1_11target_archE908ELNS1_3gpuE7ELNS1_3repE0EEENS1_30default_config_static_selectorELNS0_4arch9wavefront6targetE1EEEvSV_.private_seg_size, 0
	.set _ZN7rocprim17ROCPRIM_400000_NS6detail17trampoline_kernelINS0_13select_configILj256ELj13ELNS0_17block_load_methodE3ELS4_3ELS4_3ELNS0_20block_scan_algorithmE0ELj4294967295EEENS1_25partition_config_selectorILNS1_17partition_subalgoE3EjNS0_10empty_typeEbEEZZNS1_14partition_implILS8_3ELb0ES6_jNS0_17counting_iteratorIjlEEPS9_SE_NS0_5tupleIJPjSE_EEENSF_IJSE_SE_EEES9_SG_JZNS1_25segmented_radix_sort_implINS0_14default_configELb0EPKlPlSM_SN_N2at6native12_GLOBAL__N_18offset_tEEE10hipError_tPvRmT1_PNSt15iterator_traitsISV_E10value_typeET2_T3_PNSW_IS11_E10value_typeET4_jRbjT5_S17_jjP12ihipStream_tbEUljE_EEESS_ST_SU_S11_S15_S17_T6_T7_T9_mT8_S19_bDpT10_ENKUlT_T0_E_clISt17integral_constantIbLb0EES1M_EEDaS1H_S1I_EUlS1H_E_NS1_11comp_targetILNS1_3genE3ELNS1_11target_archE908ELNS1_3gpuE7ELNS1_3repE0EEENS1_30default_config_static_selectorELNS0_4arch9wavefront6targetE1EEEvSV_.uses_vcc, 0
	.set _ZN7rocprim17ROCPRIM_400000_NS6detail17trampoline_kernelINS0_13select_configILj256ELj13ELNS0_17block_load_methodE3ELS4_3ELS4_3ELNS0_20block_scan_algorithmE0ELj4294967295EEENS1_25partition_config_selectorILNS1_17partition_subalgoE3EjNS0_10empty_typeEbEEZZNS1_14partition_implILS8_3ELb0ES6_jNS0_17counting_iteratorIjlEEPS9_SE_NS0_5tupleIJPjSE_EEENSF_IJSE_SE_EEES9_SG_JZNS1_25segmented_radix_sort_implINS0_14default_configELb0EPKlPlSM_SN_N2at6native12_GLOBAL__N_18offset_tEEE10hipError_tPvRmT1_PNSt15iterator_traitsISV_E10value_typeET2_T3_PNSW_IS11_E10value_typeET4_jRbjT5_S17_jjP12ihipStream_tbEUljE_EEESS_ST_SU_S11_S15_S17_T6_T7_T9_mT8_S19_bDpT10_ENKUlT_T0_E_clISt17integral_constantIbLb0EES1M_EEDaS1H_S1I_EUlS1H_E_NS1_11comp_targetILNS1_3genE3ELNS1_11target_archE908ELNS1_3gpuE7ELNS1_3repE0EEENS1_30default_config_static_selectorELNS0_4arch9wavefront6targetE1EEEvSV_.uses_flat_scratch, 0
	.set _ZN7rocprim17ROCPRIM_400000_NS6detail17trampoline_kernelINS0_13select_configILj256ELj13ELNS0_17block_load_methodE3ELS4_3ELS4_3ELNS0_20block_scan_algorithmE0ELj4294967295EEENS1_25partition_config_selectorILNS1_17partition_subalgoE3EjNS0_10empty_typeEbEEZZNS1_14partition_implILS8_3ELb0ES6_jNS0_17counting_iteratorIjlEEPS9_SE_NS0_5tupleIJPjSE_EEENSF_IJSE_SE_EEES9_SG_JZNS1_25segmented_radix_sort_implINS0_14default_configELb0EPKlPlSM_SN_N2at6native12_GLOBAL__N_18offset_tEEE10hipError_tPvRmT1_PNSt15iterator_traitsISV_E10value_typeET2_T3_PNSW_IS11_E10value_typeET4_jRbjT5_S17_jjP12ihipStream_tbEUljE_EEESS_ST_SU_S11_S15_S17_T6_T7_T9_mT8_S19_bDpT10_ENKUlT_T0_E_clISt17integral_constantIbLb0EES1M_EEDaS1H_S1I_EUlS1H_E_NS1_11comp_targetILNS1_3genE3ELNS1_11target_archE908ELNS1_3gpuE7ELNS1_3repE0EEENS1_30default_config_static_selectorELNS0_4arch9wavefront6targetE1EEEvSV_.has_dyn_sized_stack, 0
	.set _ZN7rocprim17ROCPRIM_400000_NS6detail17trampoline_kernelINS0_13select_configILj256ELj13ELNS0_17block_load_methodE3ELS4_3ELS4_3ELNS0_20block_scan_algorithmE0ELj4294967295EEENS1_25partition_config_selectorILNS1_17partition_subalgoE3EjNS0_10empty_typeEbEEZZNS1_14partition_implILS8_3ELb0ES6_jNS0_17counting_iteratorIjlEEPS9_SE_NS0_5tupleIJPjSE_EEENSF_IJSE_SE_EEES9_SG_JZNS1_25segmented_radix_sort_implINS0_14default_configELb0EPKlPlSM_SN_N2at6native12_GLOBAL__N_18offset_tEEE10hipError_tPvRmT1_PNSt15iterator_traitsISV_E10value_typeET2_T3_PNSW_IS11_E10value_typeET4_jRbjT5_S17_jjP12ihipStream_tbEUljE_EEESS_ST_SU_S11_S15_S17_T6_T7_T9_mT8_S19_bDpT10_ENKUlT_T0_E_clISt17integral_constantIbLb0EES1M_EEDaS1H_S1I_EUlS1H_E_NS1_11comp_targetILNS1_3genE3ELNS1_11target_archE908ELNS1_3gpuE7ELNS1_3repE0EEENS1_30default_config_static_selectorELNS0_4arch9wavefront6targetE1EEEvSV_.has_recursion, 0
	.set _ZN7rocprim17ROCPRIM_400000_NS6detail17trampoline_kernelINS0_13select_configILj256ELj13ELNS0_17block_load_methodE3ELS4_3ELS4_3ELNS0_20block_scan_algorithmE0ELj4294967295EEENS1_25partition_config_selectorILNS1_17partition_subalgoE3EjNS0_10empty_typeEbEEZZNS1_14partition_implILS8_3ELb0ES6_jNS0_17counting_iteratorIjlEEPS9_SE_NS0_5tupleIJPjSE_EEENSF_IJSE_SE_EEES9_SG_JZNS1_25segmented_radix_sort_implINS0_14default_configELb0EPKlPlSM_SN_N2at6native12_GLOBAL__N_18offset_tEEE10hipError_tPvRmT1_PNSt15iterator_traitsISV_E10value_typeET2_T3_PNSW_IS11_E10value_typeET4_jRbjT5_S17_jjP12ihipStream_tbEUljE_EEESS_ST_SU_S11_S15_S17_T6_T7_T9_mT8_S19_bDpT10_ENKUlT_T0_E_clISt17integral_constantIbLb0EES1M_EEDaS1H_S1I_EUlS1H_E_NS1_11comp_targetILNS1_3genE3ELNS1_11target_archE908ELNS1_3gpuE7ELNS1_3repE0EEENS1_30default_config_static_selectorELNS0_4arch9wavefront6targetE1EEEvSV_.has_indirect_call, 0
	.section	.AMDGPU.csdata,"",@progbits
; Kernel info:
; codeLenInByte = 0
; TotalNumSgprs: 4
; NumVgprs: 0
; ScratchSize: 0
; MemoryBound: 0
; FloatMode: 240
; IeeeMode: 1
; LDSByteSize: 0 bytes/workgroup (compile time only)
; SGPRBlocks: 0
; VGPRBlocks: 0
; NumSGPRsForWavesPerEU: 4
; NumVGPRsForWavesPerEU: 1
; Occupancy: 10
; WaveLimiterHint : 0
; COMPUTE_PGM_RSRC2:SCRATCH_EN: 0
; COMPUTE_PGM_RSRC2:USER_SGPR: 6
; COMPUTE_PGM_RSRC2:TRAP_HANDLER: 0
; COMPUTE_PGM_RSRC2:TGID_X_EN: 1
; COMPUTE_PGM_RSRC2:TGID_Y_EN: 0
; COMPUTE_PGM_RSRC2:TGID_Z_EN: 0
; COMPUTE_PGM_RSRC2:TIDIG_COMP_CNT: 0
	.section	.text._ZN7rocprim17ROCPRIM_400000_NS6detail17trampoline_kernelINS0_13select_configILj256ELj13ELNS0_17block_load_methodE3ELS4_3ELS4_3ELNS0_20block_scan_algorithmE0ELj4294967295EEENS1_25partition_config_selectorILNS1_17partition_subalgoE3EjNS0_10empty_typeEbEEZZNS1_14partition_implILS8_3ELb0ES6_jNS0_17counting_iteratorIjlEEPS9_SE_NS0_5tupleIJPjSE_EEENSF_IJSE_SE_EEES9_SG_JZNS1_25segmented_radix_sort_implINS0_14default_configELb0EPKlPlSM_SN_N2at6native12_GLOBAL__N_18offset_tEEE10hipError_tPvRmT1_PNSt15iterator_traitsISV_E10value_typeET2_T3_PNSW_IS11_E10value_typeET4_jRbjT5_S17_jjP12ihipStream_tbEUljE_EEESS_ST_SU_S11_S15_S17_T6_T7_T9_mT8_S19_bDpT10_ENKUlT_T0_E_clISt17integral_constantIbLb0EES1M_EEDaS1H_S1I_EUlS1H_E_NS1_11comp_targetILNS1_3genE2ELNS1_11target_archE906ELNS1_3gpuE6ELNS1_3repE0EEENS1_30default_config_static_selectorELNS0_4arch9wavefront6targetE1EEEvSV_,"axG",@progbits,_ZN7rocprim17ROCPRIM_400000_NS6detail17trampoline_kernelINS0_13select_configILj256ELj13ELNS0_17block_load_methodE3ELS4_3ELS4_3ELNS0_20block_scan_algorithmE0ELj4294967295EEENS1_25partition_config_selectorILNS1_17partition_subalgoE3EjNS0_10empty_typeEbEEZZNS1_14partition_implILS8_3ELb0ES6_jNS0_17counting_iteratorIjlEEPS9_SE_NS0_5tupleIJPjSE_EEENSF_IJSE_SE_EEES9_SG_JZNS1_25segmented_radix_sort_implINS0_14default_configELb0EPKlPlSM_SN_N2at6native12_GLOBAL__N_18offset_tEEE10hipError_tPvRmT1_PNSt15iterator_traitsISV_E10value_typeET2_T3_PNSW_IS11_E10value_typeET4_jRbjT5_S17_jjP12ihipStream_tbEUljE_EEESS_ST_SU_S11_S15_S17_T6_T7_T9_mT8_S19_bDpT10_ENKUlT_T0_E_clISt17integral_constantIbLb0EES1M_EEDaS1H_S1I_EUlS1H_E_NS1_11comp_targetILNS1_3genE2ELNS1_11target_archE906ELNS1_3gpuE6ELNS1_3repE0EEENS1_30default_config_static_selectorELNS0_4arch9wavefront6targetE1EEEvSV_,comdat
	.globl	_ZN7rocprim17ROCPRIM_400000_NS6detail17trampoline_kernelINS0_13select_configILj256ELj13ELNS0_17block_load_methodE3ELS4_3ELS4_3ELNS0_20block_scan_algorithmE0ELj4294967295EEENS1_25partition_config_selectorILNS1_17partition_subalgoE3EjNS0_10empty_typeEbEEZZNS1_14partition_implILS8_3ELb0ES6_jNS0_17counting_iteratorIjlEEPS9_SE_NS0_5tupleIJPjSE_EEENSF_IJSE_SE_EEES9_SG_JZNS1_25segmented_radix_sort_implINS0_14default_configELb0EPKlPlSM_SN_N2at6native12_GLOBAL__N_18offset_tEEE10hipError_tPvRmT1_PNSt15iterator_traitsISV_E10value_typeET2_T3_PNSW_IS11_E10value_typeET4_jRbjT5_S17_jjP12ihipStream_tbEUljE_EEESS_ST_SU_S11_S15_S17_T6_T7_T9_mT8_S19_bDpT10_ENKUlT_T0_E_clISt17integral_constantIbLb0EES1M_EEDaS1H_S1I_EUlS1H_E_NS1_11comp_targetILNS1_3genE2ELNS1_11target_archE906ELNS1_3gpuE6ELNS1_3repE0EEENS1_30default_config_static_selectorELNS0_4arch9wavefront6targetE1EEEvSV_ ; -- Begin function _ZN7rocprim17ROCPRIM_400000_NS6detail17trampoline_kernelINS0_13select_configILj256ELj13ELNS0_17block_load_methodE3ELS4_3ELS4_3ELNS0_20block_scan_algorithmE0ELj4294967295EEENS1_25partition_config_selectorILNS1_17partition_subalgoE3EjNS0_10empty_typeEbEEZZNS1_14partition_implILS8_3ELb0ES6_jNS0_17counting_iteratorIjlEEPS9_SE_NS0_5tupleIJPjSE_EEENSF_IJSE_SE_EEES9_SG_JZNS1_25segmented_radix_sort_implINS0_14default_configELb0EPKlPlSM_SN_N2at6native12_GLOBAL__N_18offset_tEEE10hipError_tPvRmT1_PNSt15iterator_traitsISV_E10value_typeET2_T3_PNSW_IS11_E10value_typeET4_jRbjT5_S17_jjP12ihipStream_tbEUljE_EEESS_ST_SU_S11_S15_S17_T6_T7_T9_mT8_S19_bDpT10_ENKUlT_T0_E_clISt17integral_constantIbLb0EES1M_EEDaS1H_S1I_EUlS1H_E_NS1_11comp_targetILNS1_3genE2ELNS1_11target_archE906ELNS1_3gpuE6ELNS1_3repE0EEENS1_30default_config_static_selectorELNS0_4arch9wavefront6targetE1EEEvSV_
	.p2align	8
	.type	_ZN7rocprim17ROCPRIM_400000_NS6detail17trampoline_kernelINS0_13select_configILj256ELj13ELNS0_17block_load_methodE3ELS4_3ELS4_3ELNS0_20block_scan_algorithmE0ELj4294967295EEENS1_25partition_config_selectorILNS1_17partition_subalgoE3EjNS0_10empty_typeEbEEZZNS1_14partition_implILS8_3ELb0ES6_jNS0_17counting_iteratorIjlEEPS9_SE_NS0_5tupleIJPjSE_EEENSF_IJSE_SE_EEES9_SG_JZNS1_25segmented_radix_sort_implINS0_14default_configELb0EPKlPlSM_SN_N2at6native12_GLOBAL__N_18offset_tEEE10hipError_tPvRmT1_PNSt15iterator_traitsISV_E10value_typeET2_T3_PNSW_IS11_E10value_typeET4_jRbjT5_S17_jjP12ihipStream_tbEUljE_EEESS_ST_SU_S11_S15_S17_T6_T7_T9_mT8_S19_bDpT10_ENKUlT_T0_E_clISt17integral_constantIbLb0EES1M_EEDaS1H_S1I_EUlS1H_E_NS1_11comp_targetILNS1_3genE2ELNS1_11target_archE906ELNS1_3gpuE6ELNS1_3repE0EEENS1_30default_config_static_selectorELNS0_4arch9wavefront6targetE1EEEvSV_,@function
_ZN7rocprim17ROCPRIM_400000_NS6detail17trampoline_kernelINS0_13select_configILj256ELj13ELNS0_17block_load_methodE3ELS4_3ELS4_3ELNS0_20block_scan_algorithmE0ELj4294967295EEENS1_25partition_config_selectorILNS1_17partition_subalgoE3EjNS0_10empty_typeEbEEZZNS1_14partition_implILS8_3ELb0ES6_jNS0_17counting_iteratorIjlEEPS9_SE_NS0_5tupleIJPjSE_EEENSF_IJSE_SE_EEES9_SG_JZNS1_25segmented_radix_sort_implINS0_14default_configELb0EPKlPlSM_SN_N2at6native12_GLOBAL__N_18offset_tEEE10hipError_tPvRmT1_PNSt15iterator_traitsISV_E10value_typeET2_T3_PNSW_IS11_E10value_typeET4_jRbjT5_S17_jjP12ihipStream_tbEUljE_EEESS_ST_SU_S11_S15_S17_T6_T7_T9_mT8_S19_bDpT10_ENKUlT_T0_E_clISt17integral_constantIbLb0EES1M_EEDaS1H_S1I_EUlS1H_E_NS1_11comp_targetILNS1_3genE2ELNS1_11target_archE906ELNS1_3gpuE6ELNS1_3repE0EEENS1_30default_config_static_selectorELNS0_4arch9wavefront6targetE1EEEvSV_: ; @_ZN7rocprim17ROCPRIM_400000_NS6detail17trampoline_kernelINS0_13select_configILj256ELj13ELNS0_17block_load_methodE3ELS4_3ELS4_3ELNS0_20block_scan_algorithmE0ELj4294967295EEENS1_25partition_config_selectorILNS1_17partition_subalgoE3EjNS0_10empty_typeEbEEZZNS1_14partition_implILS8_3ELb0ES6_jNS0_17counting_iteratorIjlEEPS9_SE_NS0_5tupleIJPjSE_EEENSF_IJSE_SE_EEES9_SG_JZNS1_25segmented_radix_sort_implINS0_14default_configELb0EPKlPlSM_SN_N2at6native12_GLOBAL__N_18offset_tEEE10hipError_tPvRmT1_PNSt15iterator_traitsISV_E10value_typeET2_T3_PNSW_IS11_E10value_typeET4_jRbjT5_S17_jjP12ihipStream_tbEUljE_EEESS_ST_SU_S11_S15_S17_T6_T7_T9_mT8_S19_bDpT10_ENKUlT_T0_E_clISt17integral_constantIbLb0EES1M_EEDaS1H_S1I_EUlS1H_E_NS1_11comp_targetILNS1_3genE2ELNS1_11target_archE906ELNS1_3gpuE6ELNS1_3repE0EEENS1_30default_config_static_selectorELNS0_4arch9wavefront6targetE1EEEvSV_
; %bb.0:
	s_load_dwordx2 s[28:29], s[4:5], 0x58
	s_load_dwordx4 s[24:27], s[4:5], 0x48
	s_load_dword s12, s[4:5], 0x8
	s_load_dwordx2 s[30:31], s[4:5], 0x10
	s_load_dword s0, s[4:5], 0x70
	s_load_dword s7, s[4:5], 0x88
	s_load_dwordx4 s[8:11], s[4:5], 0x78
	s_waitcnt lgkmcnt(0)
	s_load_dwordx2 s[34:35], s[26:27], 0x0
	s_mul_i32 s44, s6, 0xd00
	s_add_i32 s2, s0, -1
	s_mulk_i32 s0, 0xd00
	s_add_i32 s1, s0, s30
	s_sub_i32 s33, s28, s1
	s_addk_i32 s33, 0xd00
	s_add_u32 s0, s30, s0
	s_addc_u32 s1, s31, 0
	v_mov_b32_e32 v2, s1
	v_mov_b32_e32 v1, s0
	s_cmp_eq_u32 s6, s2
	v_cmp_gt_u64_e32 vcc, s[28:29], v[1:2]
	s_cselect_b64 s[22:23], -1, 0
	s_cmp_lg_u32 s6, s2
	s_cselect_b64 s[0:1], -1, 0
	s_add_i32 s12, s12, s44
	s_or_b64 s[2:3], s[0:1], vcc
	s_add_i32 s12, s12, s30
	s_mov_b64 s[0:1], -1
	s_and_b64 vcc, exec, s[2:3]
	v_add_u32_e32 v1, s12, v0
	v_lshlrev_b32_e32 v23, 2, v0
	s_cbranch_vccz .LBB779_2
; %bb.1:
	v_add_u32_e32 v2, 0x100, v1
	v_add_u32_e32 v3, 0x200, v1
	;; [unrolled: 1-line block ×12, first 2 shown]
	ds_write2st64_b32 v23, v1, v2 offset1:4
	ds_write2st64_b32 v23, v3, v4 offset0:8 offset1:12
	ds_write2st64_b32 v23, v5, v6 offset0:16 offset1:20
	;; [unrolled: 1-line block ×5, first 2 shown]
	ds_write_b32 v23, v13 offset:12288
	s_waitcnt lgkmcnt(0)
	s_barrier
	s_mov_b64 s[0:1], 0
.LBB779_2:
	s_andn2_b64 vcc, exec, s[0:1]
	v_cmp_gt_u32_e64 s[0:1], s33, v0
	s_cbranch_vccnz .LBB779_4
; %bb.3:
	v_or_b32_e32 v2, 0x100, v0
	v_add_u32_e32 v3, s12, v2
	v_cmp_gt_u32_e32 vcc, s33, v2
	v_cndmask_b32_e32 v2, 0, v3, vcc
	v_or_b32_e32 v3, 0x200, v0
	v_add_u32_e32 v4, s12, v3
	v_cmp_gt_u32_e32 vcc, s33, v3
	v_cndmask_b32_e32 v3, 0, v4, vcc
	;; [unrolled: 4-line block ×11, first 2 shown]
	v_or_b32_e32 v13, 0xc00, v0
	v_cndmask_b32_e64 v1, 0, v1, s[0:1]
	v_add_u32_e32 v14, s12, v13
	v_cmp_gt_u32_e32 vcc, s33, v13
	v_cndmask_b32_e32 v13, 0, v14, vcc
	ds_write2st64_b32 v23, v1, v2 offset1:4
	ds_write2st64_b32 v23, v3, v4 offset0:8 offset1:12
	ds_write2st64_b32 v23, v5, v6 offset0:16 offset1:20
	ds_write2st64_b32 v23, v7, v8 offset0:24 offset1:28
	ds_write2st64_b32 v23, v9, v10 offset0:32 offset1:36
	ds_write2st64_b32 v23, v11, v12 offset0:40 offset1:44
	ds_write_b32 v23, v13 offset:12288
	s_waitcnt lgkmcnt(0)
	s_barrier
.LBB779_4:
	v_mul_u32_u24_e32 v25, 13, v0
	v_lshlrev_b32_e32 v1, 2, v25
	s_waitcnt lgkmcnt(0)
	ds_read2_b32 v[13:14], v1 offset1:1
	ds_read2_b32 v[11:12], v1 offset0:2 offset1:3
	ds_read2_b32 v[9:10], v1 offset0:4 offset1:5
	;; [unrolled: 1-line block ×5, first 2 shown]
	ds_read_b32 v24, v1 offset:48
	v_cndmask_b32_e64 v1, 0, 1, s[2:3]
	v_cmp_ne_u32_e64 s[0:1], 1, v1
	s_andn2_b64 vcc, exec, s[2:3]
	s_waitcnt lgkmcnt(0)
	s_barrier
	s_cbranch_vccnz .LBB779_6
; %bb.5:
	v_add_u32_e32 v1, s9, v13
	v_add_u32_e32 v2, s11, v13
	v_mul_lo_u32 v1, v1, s8
	v_mul_lo_u32 v2, v2, s10
	v_add_u32_e32 v15, s9, v11
	v_add_u32_e32 v16, s11, v11
	v_mul_lo_u32 v15, v15, s8
	v_sub_u32_e32 v1, v1, v2
	v_cmp_lt_u32_e32 vcc, s7, v1
	v_add_u32_e32 v1, s9, v14
	v_add_u32_e32 v2, s11, v14
	v_mul_lo_u32 v1, v1, s8
	v_mul_lo_u32 v2, v2, s10
	;; [unrolled: 1-line block ×3, first 2 shown]
	v_cndmask_b32_e64 v26, 0, 1, vcc
	v_sub_u32_e32 v1, v1, v2
	v_cmp_lt_u32_e32 vcc, s7, v1
	v_sub_u32_e32 v1, v15, v16
	v_cndmask_b32_e64 v27, 0, 1, vcc
	v_cmp_lt_u32_e32 vcc, s7, v1
	v_add_u32_e32 v1, s9, v12
	v_add_u32_e32 v2, s11, v12
	v_mul_lo_u32 v1, v1, s8
	v_mul_lo_u32 v2, v2, s10
	v_add_u32_e32 v15, s9, v9
	v_add_u32_e32 v16, s11, v9
	v_mul_lo_u32 v15, v15, s8
	v_mul_lo_u32 v16, v16, s10
	v_sub_u32_e32 v1, v1, v2
	v_cndmask_b32_e64 v28, 0, 1, vcc
	v_cmp_lt_u32_e32 vcc, s7, v1
	v_sub_u32_e32 v1, v15, v16
	v_cndmask_b32_e64 v29, 0, 1, vcc
	v_cmp_lt_u32_e32 vcc, s7, v1
	v_add_u32_e32 v1, s9, v10
	v_add_u32_e32 v2, s11, v10
	v_mul_lo_u32 v1, v1, s8
	v_mul_lo_u32 v2, v2, s10
	v_add_u32_e32 v15, s9, v7
	v_add_u32_e32 v16, s11, v7
	v_mul_lo_u32 v15, v15, s8
	v_mul_lo_u32 v16, v16, s10
	v_sub_u32_e32 v1, v1, v2
	v_cndmask_b32_e64 v30, 0, 1, vcc
	v_cmp_lt_u32_e32 vcc, s7, v1
	v_sub_u32_e32 v1, v15, v16
	v_cndmask_b32_e64 v31, 0, 1, vcc
	v_cmp_lt_u32_e32 vcc, s7, v1
	v_add_u32_e32 v1, s9, v8
	v_add_u32_e32 v2, s11, v8
	v_mul_lo_u32 v1, v1, s8
	v_mul_lo_u32 v2, v2, s10
	v_add_u32_e32 v15, s9, v5
	v_add_u32_e32 v16, s11, v5
	v_mul_lo_u32 v15, v15, s8
	v_mul_lo_u32 v16, v16, s10
	v_sub_u32_e32 v1, v1, v2
	v_cndmask_b32_e64 v32, 0, 1, vcc
	v_cmp_lt_u32_e32 vcc, s7, v1
	v_sub_u32_e32 v1, v15, v16
	v_cndmask_b32_e64 v33, 0, 1, vcc
	v_cmp_lt_u32_e32 vcc, s7, v1
	v_add_u32_e32 v1, s9, v6
	v_add_u32_e32 v2, s11, v6
	v_mul_lo_u32 v1, v1, s8
	v_mul_lo_u32 v2, v2, s10
	v_add_u32_e32 v15, s9, v3
	v_add_u32_e32 v16, s11, v3
	v_mul_lo_u32 v15, v15, s8
	v_mul_lo_u32 v16, v16, s10
	v_sub_u32_e32 v1, v1, v2
	v_cndmask_b32_e64 v34, 0, 1, vcc
	v_cmp_lt_u32_e32 vcc, s7, v1
	v_sub_u32_e32 v1, v15, v16
	v_cndmask_b32_e64 v35, 0, 1, vcc
	v_cmp_lt_u32_e32 vcc, s7, v1
	v_add_u32_e32 v1, s9, v4
	v_add_u32_e32 v2, s11, v4
	v_mul_lo_u32 v1, v1, s8
	v_mul_lo_u32 v2, v2, s10
	v_add_u32_e32 v15, s9, v24
	v_add_u32_e32 v16, s11, v24
	v_mul_lo_u32 v15, v15, s8
	v_mul_lo_u32 v16, v16, s10
	v_sub_u32_e32 v1, v1, v2
	v_cndmask_b32_e64 v36, 0, 1, vcc
	v_cmp_lt_u32_e32 vcc, s7, v1
	v_sub_u32_e32 v1, v15, v16
	v_cndmask_b32_e64 v37, 0, 1, vcc
	v_cmp_lt_u32_e64 s[38:39], s7, v1
	s_load_dwordx2 s[26:27], s[4:5], 0x28
	s_load_dwordx2 s[36:37], s[4:5], 0x68
	s_cbranch_execz .LBB779_7
	s_branch .LBB779_34
.LBB779_6:
                                        ; implicit-def: $sgpr38_sgpr39
                                        ; implicit-def: $vgpr37
                                        ; implicit-def: $vgpr36
                                        ; implicit-def: $vgpr35
                                        ; implicit-def: $vgpr34
                                        ; implicit-def: $vgpr33
                                        ; implicit-def: $vgpr32
                                        ; implicit-def: $vgpr31
                                        ; implicit-def: $vgpr30
                                        ; implicit-def: $vgpr26
                                        ; implicit-def: $vgpr27
                                        ; implicit-def: $vgpr28
                                        ; implicit-def: $vgpr29
	s_load_dwordx2 s[26:27], s[4:5], 0x28
	s_load_dwordx2 s[36:37], s[4:5], 0x68
.LBB779_7:
	v_cmp_gt_u32_e32 vcc, s33, v25
	v_mov_b32_e32 v27, 0
	v_mov_b32_e32 v26, 0
	s_and_saveexec_b64 s[2:3], vcc
	s_cbranch_execz .LBB779_9
; %bb.8:
	v_add_u32_e32 v1, s9, v13
	v_add_u32_e32 v2, s11, v13
	v_mul_lo_u32 v1, v1, s8
	v_mul_lo_u32 v2, v2, s10
	v_sub_u32_e32 v1, v1, v2
	v_cmp_lt_u32_e32 vcc, s7, v1
	v_cndmask_b32_e64 v26, 0, 1, vcc
.LBB779_9:
	s_or_b64 exec, exec, s[2:3]
	v_add_u32_e32 v1, 1, v25
	v_cmp_gt_u32_e32 vcc, s33, v1
	s_and_saveexec_b64 s[2:3], vcc
	s_cbranch_execz .LBB779_11
; %bb.10:
	v_add_u32_e32 v1, s9, v14
	v_add_u32_e32 v2, s11, v14
	v_mul_lo_u32 v1, v1, s8
	v_mul_lo_u32 v2, v2, s10
	v_sub_u32_e32 v1, v1, v2
	v_cmp_lt_u32_e32 vcc, s7, v1
	v_cndmask_b32_e64 v27, 0, 1, vcc
.LBB779_11:
	s_or_b64 exec, exec, s[2:3]
	v_add_u32_e32 v1, 2, v25
	v_cmp_gt_u32_e32 vcc, s33, v1
	v_mov_b32_e32 v29, 0
	v_mov_b32_e32 v28, 0
	s_and_saveexec_b64 s[2:3], vcc
	s_cbranch_execz .LBB779_13
; %bb.12:
	v_add_u32_e32 v1, s9, v11
	v_add_u32_e32 v2, s11, v11
	v_mul_lo_u32 v1, v1, s8
	v_mul_lo_u32 v2, v2, s10
	v_sub_u32_e32 v1, v1, v2
	v_cmp_lt_u32_e32 vcc, s7, v1
	v_cndmask_b32_e64 v28, 0, 1, vcc
.LBB779_13:
	s_or_b64 exec, exec, s[2:3]
	v_add_u32_e32 v1, 3, v25
	v_cmp_gt_u32_e32 vcc, s33, v1
	s_and_saveexec_b64 s[2:3], vcc
	s_cbranch_execz .LBB779_15
; %bb.14:
	v_add_u32_e32 v1, s9, v12
	v_add_u32_e32 v2, s11, v12
	v_mul_lo_u32 v1, v1, s8
	v_mul_lo_u32 v2, v2, s10
	v_sub_u32_e32 v1, v1, v2
	v_cmp_lt_u32_e32 vcc, s7, v1
	v_cndmask_b32_e64 v29, 0, 1, vcc
.LBB779_15:
	s_or_b64 exec, exec, s[2:3]
	v_add_u32_e32 v1, 4, v25
	;; [unrolled: 30-line block ×6, first 2 shown]
	v_cmp_gt_u32_e32 vcc, s33, v1
	s_mov_b64 s[38:39], 0
	s_and_saveexec_b64 s[2:3], vcc
	s_cbranch_execz .LBB779_33
; %bb.32:
	v_add_u32_e32 v1, s9, v24
	v_add_u32_e32 v2, s11, v24
	v_mul_lo_u32 v1, v1, s8
	v_mul_lo_u32 v2, v2, s10
	v_sub_u32_e32 v1, v1, v2
	v_cmp_lt_u32_e32 vcc, s7, v1
	s_and_b64 s[38:39], vcc, exec
.LBB779_33:
	s_or_b64 exec, exec, s[2:3]
.LBB779_34:
	v_and_b32_e32 v40, 0xff, v27
	v_and_b32_e32 v41, 0xff, v28
	v_and_b32_e32 v42, 0xff, v29
	v_and_b32_e32 v39, 0xff, v26
	v_and_b32_e32 v43, 0xff, v30
	v_add3_u32 v2, v41, v42, v40
	v_and_b32_e32 v44, 0xff, v31
	v_and_b32_e32 v45, 0xff, v32
	v_add3_u32 v2, v2, v39, v43
	v_and_b32_e32 v46, 0xff, v33
	v_and_b32_e32 v47, 0xff, v34
	;; [unrolled: 3-line block ×3, first 2 shown]
	v_add3_u32 v2, v2, v46, v47
	v_and_b32_e32 v38, 0xff, v37
	v_cndmask_b32_e64 v1, 0, 1, s[38:39]
	v_add3_u32 v2, v2, v48, v49
	v_add3_u32 v52, v2, v38, v1
	v_mbcnt_lo_u32_b32 v1, -1, 0
	v_mbcnt_hi_u32_b32 v50, -1, v1
	v_and_b32_e32 v1, 15, v50
	v_cmp_eq_u32_e64 s[14:15], 0, v1
	v_cmp_lt_u32_e64 s[12:13], 1, v1
	v_cmp_lt_u32_e64 s[10:11], 3, v1
	;; [unrolled: 1-line block ×3, first 2 shown]
	v_and_b32_e32 v1, 16, v50
	v_cmp_eq_u32_e64 s[18:19], 0, v1
	v_or_b32_e32 v1, 63, v0
	s_cmp_lg_u32 s6, 0
	v_cmp_lt_u32_e64 s[2:3], 31, v50
	v_lshrrev_b32_e32 v51, 6, v0
	v_cmp_eq_u32_e64 s[4:5], v0, v1
	s_cbranch_scc0 .LBB779_56
; %bb.35:
	v_mov_b32_dpp v1, v52 row_shr:1 row_mask:0xf bank_mask:0xf
	v_cndmask_b32_e64 v1, v1, 0, s[14:15]
	v_add_u32_e32 v1, v1, v52
	s_nop 1
	v_mov_b32_dpp v2, v1 row_shr:2 row_mask:0xf bank_mask:0xf
	v_cndmask_b32_e64 v2, 0, v2, s[12:13]
	v_add_u32_e32 v1, v1, v2
	s_nop 1
	;; [unrolled: 4-line block ×4, first 2 shown]
	v_mov_b32_dpp v2, v1 row_bcast:15 row_mask:0xf bank_mask:0xf
	v_cndmask_b32_e64 v2, v2, 0, s[18:19]
	v_add_u32_e32 v1, v1, v2
	s_nop 1
	v_mov_b32_dpp v2, v1 row_bcast:31 row_mask:0xf bank_mask:0xf
	v_cndmask_b32_e64 v2, 0, v2, s[2:3]
	v_add_u32_e32 v1, v1, v2
	s_and_saveexec_b64 s[16:17], s[4:5]
; %bb.36:
	v_lshlrev_b32_e32 v2, 2, v51
	ds_write_b32 v2, v1
; %bb.37:
	s_or_b64 exec, exec, s[16:17]
	v_cmp_gt_u32_e32 vcc, 4, v0
	s_waitcnt lgkmcnt(0)
	s_barrier
	s_and_saveexec_b64 s[16:17], vcc
	s_cbranch_execz .LBB779_39
; %bb.38:
	ds_read_b32 v2, v23
	v_and_b32_e32 v15, 3, v50
	v_cmp_ne_u32_e32 vcc, 0, v15
	s_waitcnt lgkmcnt(0)
	v_mov_b32_dpp v16, v2 row_shr:1 row_mask:0xf bank_mask:0xf
	v_cndmask_b32_e32 v16, 0, v16, vcc
	v_add_u32_e32 v2, v16, v2
	v_cmp_lt_u32_e32 vcc, 1, v15
	s_nop 0
	v_mov_b32_dpp v16, v2 row_shr:2 row_mask:0xf bank_mask:0xf
	v_cndmask_b32_e32 v15, 0, v16, vcc
	v_add_u32_e32 v2, v2, v15
	ds_write_b32 v23, v2
.LBB779_39:
	s_or_b64 exec, exec, s[16:17]
	v_cmp_gt_u32_e32 vcc, 64, v0
	v_cmp_lt_u32_e64 s[16:17], 63, v0
	s_waitcnt lgkmcnt(0)
	s_barrier
                                        ; implicit-def: $vgpr53
	s_and_saveexec_b64 s[20:21], s[16:17]
	s_cbranch_execz .LBB779_41
; %bb.40:
	v_lshl_add_u32 v2, v51, 2, -4
	ds_read_b32 v53, v2
	s_waitcnt lgkmcnt(0)
	v_add_u32_e32 v1, v53, v1
.LBB779_41:
	s_or_b64 exec, exec, s[20:21]
	v_subrev_co_u32_e64 v2, s[16:17], 1, v50
	v_and_b32_e32 v15, 64, v50
	v_cmp_lt_i32_e64 s[20:21], v2, v15
	v_cndmask_b32_e64 v2, v2, v50, s[20:21]
	v_lshlrev_b32_e32 v2, 2, v2
	ds_bpermute_b32 v54, v2, v1
	s_and_saveexec_b64 s[20:21], vcc
	s_cbranch_execz .LBB779_61
; %bb.42:
	v_mov_b32_e32 v19, 0
	ds_read_b32 v1, v19 offset:12
	s_and_saveexec_b64 s[40:41], s[16:17]
	s_cbranch_execz .LBB779_44
; %bb.43:
	s_add_i32 s42, s6, 64
	s_mov_b32 s43, 0
	s_lshl_b64 s[42:43], s[42:43], 3
	s_add_u32 s42, s36, s42
	v_mov_b32_e32 v2, 1
	s_addc_u32 s43, s37, s43
	s_waitcnt lgkmcnt(0)
	global_store_dwordx2 v19, v[1:2], s[42:43]
.LBB779_44:
	s_or_b64 exec, exec, s[40:41]
	v_xad_u32 v15, v50, -1, s6
	v_add_u32_e32 v18, 64, v15
	v_lshlrev_b64 v[16:17], 3, v[18:19]
	v_mov_b32_e32 v2, s37
	v_add_co_u32_e32 v20, vcc, s36, v16
	v_addc_co_u32_e32 v21, vcc, v2, v17, vcc
	global_load_dwordx2 v[17:18], v[20:21], off glc
	s_waitcnt vmcnt(0)
	v_cmp_eq_u16_sdwa s[42:43], v18, v19 src0_sel:BYTE_0 src1_sel:DWORD
	s_and_saveexec_b64 s[40:41], s[42:43]
	s_cbranch_execz .LBB779_48
; %bb.45:
	s_mov_b64 s[42:43], 0
	v_mov_b32_e32 v2, 0
.LBB779_46:                             ; =>This Inner Loop Header: Depth=1
	global_load_dwordx2 v[17:18], v[20:21], off glc
	s_waitcnt vmcnt(0)
	v_cmp_ne_u16_sdwa s[46:47], v18, v2 src0_sel:BYTE_0 src1_sel:DWORD
	s_or_b64 s[42:43], s[46:47], s[42:43]
	s_andn2_b64 exec, exec, s[42:43]
	s_cbranch_execnz .LBB779_46
; %bb.47:
	s_or_b64 exec, exec, s[42:43]
.LBB779_48:
	s_or_b64 exec, exec, s[40:41]
	v_and_b32_e32 v56, 63, v50
	v_mov_b32_e32 v55, 2
	v_lshlrev_b64 v[19:20], v50, -1
	v_cmp_ne_u32_e32 vcc, 63, v56
	v_cmp_eq_u16_sdwa s[40:41], v18, v55 src0_sel:BYTE_0 src1_sel:DWORD
	v_addc_co_u32_e32 v21, vcc, 0, v50, vcc
	v_and_b32_e32 v2, s41, v20
	v_lshlrev_b32_e32 v57, 2, v21
	v_or_b32_e32 v2, 0x80000000, v2
	ds_bpermute_b32 v21, v57, v17
	v_and_b32_e32 v16, s40, v19
	v_ffbl_b32_e32 v2, v2
	v_add_u32_e32 v2, 32, v2
	v_ffbl_b32_e32 v16, v16
	v_min_u32_e32 v2, v16, v2
	v_cmp_lt_u32_e32 vcc, v56, v2
	s_waitcnt lgkmcnt(0)
	v_cndmask_b32_e32 v16, 0, v21, vcc
	v_cmp_gt_u32_e32 vcc, 62, v56
	v_add_u32_e32 v16, v16, v17
	v_cndmask_b32_e64 v17, 0, 2, vcc
	v_add_lshl_u32 v58, v17, v50, 2
	ds_bpermute_b32 v17, v58, v16
	v_add_u32_e32 v59, 2, v56
	v_cmp_le_u32_e32 vcc, v59, v2
	v_add_u32_e32 v61, 4, v56
	v_add_u32_e32 v63, 8, v56
	s_waitcnt lgkmcnt(0)
	v_cndmask_b32_e32 v17, 0, v17, vcc
	v_cmp_gt_u32_e32 vcc, 60, v56
	v_add_u32_e32 v16, v16, v17
	v_cndmask_b32_e64 v17, 0, 4, vcc
	v_add_lshl_u32 v60, v17, v50, 2
	ds_bpermute_b32 v17, v60, v16
	v_cmp_le_u32_e32 vcc, v61, v2
	v_add_u32_e32 v65, 16, v56
	v_add_u32_e32 v67, 32, v56
	s_waitcnt lgkmcnt(0)
	v_cndmask_b32_e32 v17, 0, v17, vcc
	v_cmp_gt_u32_e32 vcc, 56, v56
	v_add_u32_e32 v16, v16, v17
	v_cndmask_b32_e64 v17, 0, 8, vcc
	v_add_lshl_u32 v62, v17, v50, 2
	ds_bpermute_b32 v17, v62, v16
	v_cmp_le_u32_e32 vcc, v63, v2
	s_waitcnt lgkmcnt(0)
	v_cndmask_b32_e32 v17, 0, v17, vcc
	v_cmp_gt_u32_e32 vcc, 48, v56
	v_add_u32_e32 v16, v16, v17
	v_cndmask_b32_e64 v17, 0, 16, vcc
	v_add_lshl_u32 v64, v17, v50, 2
	ds_bpermute_b32 v17, v64, v16
	v_cmp_le_u32_e32 vcc, v65, v2
	s_waitcnt lgkmcnt(0)
	v_cndmask_b32_e32 v17, 0, v17, vcc
	v_add_u32_e32 v16, v16, v17
	v_mov_b32_e32 v17, 0x80
	v_lshl_or_b32 v66, v50, 2, v17
	ds_bpermute_b32 v17, v66, v16
	v_cmp_le_u32_e32 vcc, v67, v2
	s_waitcnt lgkmcnt(0)
	v_cndmask_b32_e32 v2, 0, v17, vcc
	v_add_u32_e32 v17, v16, v2
	v_mov_b32_e32 v16, 0
	s_branch .LBB779_52
.LBB779_49:                             ;   in Loop: Header=BB779_52 Depth=1
	s_or_b64 exec, exec, s[42:43]
.LBB779_50:                             ;   in Loop: Header=BB779_52 Depth=1
	s_or_b64 exec, exec, s[40:41]
	v_cmp_eq_u16_sdwa s[40:41], v18, v55 src0_sel:BYTE_0 src1_sel:DWORD
	v_and_b32_e32 v21, s41, v20
	v_or_b32_e32 v21, 0x80000000, v21
	ds_bpermute_b32 v68, v57, v17
	v_and_b32_e32 v22, s40, v19
	v_ffbl_b32_e32 v21, v21
	v_add_u32_e32 v21, 32, v21
	v_ffbl_b32_e32 v22, v22
	v_min_u32_e32 v21, v22, v21
	v_cmp_lt_u32_e32 vcc, v56, v21
	s_waitcnt lgkmcnt(0)
	v_cndmask_b32_e32 v22, 0, v68, vcc
	v_add_u32_e32 v17, v22, v17
	ds_bpermute_b32 v22, v58, v17
	v_cmp_le_u32_e32 vcc, v59, v21
	v_subrev_u32_e32 v15, 64, v15
	s_mov_b64 s[40:41], 0
	s_waitcnt lgkmcnt(0)
	v_cndmask_b32_e32 v22, 0, v22, vcc
	v_add_u32_e32 v17, v17, v22
	ds_bpermute_b32 v22, v60, v17
	v_cmp_le_u32_e32 vcc, v61, v21
	s_waitcnt lgkmcnt(0)
	v_cndmask_b32_e32 v22, 0, v22, vcc
	v_add_u32_e32 v17, v17, v22
	ds_bpermute_b32 v22, v62, v17
	v_cmp_le_u32_e32 vcc, v63, v21
	;; [unrolled: 5-line block ×4, first 2 shown]
	s_waitcnt lgkmcnt(0)
	v_cndmask_b32_e32 v21, 0, v22, vcc
	v_add3_u32 v17, v21, v2, v17
.LBB779_51:                             ;   in Loop: Header=BB779_52 Depth=1
	s_and_b64 vcc, exec, s[40:41]
	s_cbranch_vccnz .LBB779_57
.LBB779_52:                             ; =>This Loop Header: Depth=1
                                        ;     Child Loop BB779_55 Depth 2
	v_cmp_ne_u16_sdwa s[40:41], v18, v55 src0_sel:BYTE_0 src1_sel:DWORD
	v_mov_b32_e32 v2, v17
	s_cmp_lg_u64 s[40:41], exec
	s_mov_b64 s[40:41], -1
                                        ; implicit-def: $vgpr17
                                        ; implicit-def: $vgpr18
	s_cbranch_scc1 .LBB779_51
; %bb.53:                               ;   in Loop: Header=BB779_52 Depth=1
	v_lshlrev_b64 v[17:18], 3, v[15:16]
	v_mov_b32_e32 v22, s37
	v_add_co_u32_e32 v21, vcc, s36, v17
	v_addc_co_u32_e32 v22, vcc, v22, v18, vcc
	global_load_dwordx2 v[17:18], v[21:22], off glc
	s_waitcnt vmcnt(0)
	v_cmp_eq_u16_sdwa s[42:43], v18, v16 src0_sel:BYTE_0 src1_sel:DWORD
	s_and_saveexec_b64 s[40:41], s[42:43]
	s_cbranch_execz .LBB779_50
; %bb.54:                               ;   in Loop: Header=BB779_52 Depth=1
	s_mov_b64 s[42:43], 0
.LBB779_55:                             ;   Parent Loop BB779_52 Depth=1
                                        ; =>  This Inner Loop Header: Depth=2
	global_load_dwordx2 v[17:18], v[21:22], off glc
	s_waitcnt vmcnt(0)
	v_cmp_ne_u16_sdwa s[46:47], v18, v16 src0_sel:BYTE_0 src1_sel:DWORD
	s_or_b64 s[42:43], s[46:47], s[42:43]
	s_andn2_b64 exec, exec, s[42:43]
	s_cbranch_execnz .LBB779_55
	s_branch .LBB779_49
.LBB779_56:
                                        ; implicit-def: $vgpr2
                                        ; implicit-def: $vgpr15
	s_cbranch_execnz .LBB779_62
	s_branch .LBB779_71
.LBB779_57:
	s_and_saveexec_b64 s[40:41], s[16:17]
	s_cbranch_execz .LBB779_59
; %bb.58:
	s_add_i32 s6, s6, 64
	s_mov_b32 s7, 0
	s_lshl_b64 s[6:7], s[6:7], 3
	s_add_u32 s6, s36, s6
	v_add_u32_e32 v15, v2, v1
	v_mov_b32_e32 v16, 2
	s_addc_u32 s7, s37, s7
	v_mov_b32_e32 v17, 0
	global_store_dwordx2 v17, v[15:16], s[6:7]
	ds_write_b64 v17, v[1:2] offset:13312
.LBB779_59:
	s_or_b64 exec, exec, s[40:41]
	v_cmp_eq_u32_e32 vcc, 0, v0
	s_and_b64 exec, exec, vcc
; %bb.60:
	v_mov_b32_e32 v1, 0
	ds_write_b32 v1, v2 offset:12
.LBB779_61:
	s_or_b64 exec, exec, s[20:21]
	v_mov_b32_e32 v1, 0
	s_waitcnt vmcnt(0) lgkmcnt(0)
	s_barrier
	ds_read_b32 v16, v1 offset:12
	s_waitcnt lgkmcnt(0)
	s_barrier
	ds_read_b64 v[1:2], v1 offset:13312
	v_cndmask_b32_e64 v15, v54, v53, s[16:17]
	v_cmp_ne_u32_e32 vcc, 0, v0
	v_cndmask_b32_e32 v15, 0, v15, vcc
	v_add_u32_e32 v15, v16, v15
	s_branch .LBB779_71
.LBB779_62:
	s_waitcnt lgkmcnt(0)
	v_mov_b32_dpp v1, v52 row_shr:1 row_mask:0xf bank_mask:0xf
	v_cndmask_b32_e64 v1, v1, 0, s[14:15]
	v_add_u32_e32 v1, v1, v52
	s_nop 1
	v_mov_b32_dpp v2, v1 row_shr:2 row_mask:0xf bank_mask:0xf
	v_cndmask_b32_e64 v2, 0, v2, s[12:13]
	v_add_u32_e32 v1, v1, v2
	s_nop 1
	;; [unrolled: 4-line block ×4, first 2 shown]
	v_mov_b32_dpp v2, v1 row_bcast:15 row_mask:0xf bank_mask:0xf
	v_cndmask_b32_e64 v2, v2, 0, s[18:19]
	v_add_u32_e32 v1, v1, v2
	s_nop 1
	v_mov_b32_dpp v2, v1 row_bcast:31 row_mask:0xf bank_mask:0xf
	v_cndmask_b32_e64 v2, 0, v2, s[2:3]
	v_add_u32_e32 v1, v1, v2
	s_and_saveexec_b64 s[2:3], s[4:5]
; %bb.63:
	v_lshlrev_b32_e32 v2, 2, v51
	ds_write_b32 v2, v1
; %bb.64:
	s_or_b64 exec, exec, s[2:3]
	v_cmp_gt_u32_e32 vcc, 4, v0
	s_waitcnt lgkmcnt(0)
	s_barrier
	s_and_saveexec_b64 s[2:3], vcc
	s_cbranch_execz .LBB779_66
; %bb.65:
	ds_read_b32 v2, v23
	v_and_b32_e32 v15, 3, v50
	v_cmp_ne_u32_e32 vcc, 0, v15
	s_waitcnt lgkmcnt(0)
	v_mov_b32_dpp v16, v2 row_shr:1 row_mask:0xf bank_mask:0xf
	v_cndmask_b32_e32 v16, 0, v16, vcc
	v_add_u32_e32 v2, v16, v2
	v_cmp_lt_u32_e32 vcc, 1, v15
	s_nop 0
	v_mov_b32_dpp v16, v2 row_shr:2 row_mask:0xf bank_mask:0xf
	v_cndmask_b32_e32 v15, 0, v16, vcc
	v_add_u32_e32 v2, v2, v15
	ds_write_b32 v23, v2
.LBB779_66:
	s_or_b64 exec, exec, s[2:3]
	v_cmp_lt_u32_e32 vcc, 63, v0
	v_mov_b32_e32 v2, 0
	v_mov_b32_e32 v15, 0
	s_waitcnt lgkmcnt(0)
	s_barrier
	s_and_saveexec_b64 s[2:3], vcc
; %bb.67:
	v_lshl_add_u32 v15, v51, 2, -4
	ds_read_b32 v15, v15
; %bb.68:
	s_or_b64 exec, exec, s[2:3]
	v_subrev_co_u32_e32 v16, vcc, 1, v50
	v_and_b32_e32 v17, 64, v50
	v_cmp_lt_i32_e64 s[2:3], v16, v17
	v_cndmask_b32_e64 v16, v16, v50, s[2:3]
	s_waitcnt lgkmcnt(0)
	v_add_u32_e32 v1, v15, v1
	v_lshlrev_b32_e32 v16, 2, v16
	ds_bpermute_b32 v16, v16, v1
	ds_read_b32 v1, v2 offset:12
	v_cmp_eq_u32_e64 s[2:3], 0, v0
	s_and_saveexec_b64 s[4:5], s[2:3]
	s_cbranch_execz .LBB779_70
; %bb.69:
	v_mov_b32_e32 v17, 0
	v_mov_b32_e32 v2, 2
	s_waitcnt lgkmcnt(0)
	global_store_dwordx2 v17, v[1:2], s[36:37] offset:512
.LBB779_70:
	s_or_b64 exec, exec, s[4:5]
	s_waitcnt lgkmcnt(1)
	v_cndmask_b32_e32 v2, v16, v15, vcc
	v_cndmask_b32_e64 v15, v2, 0, s[2:3]
	s_waitcnt vmcnt(0) lgkmcnt(0)
	s_barrier
	v_mov_b32_e32 v2, 0
.LBB779_71:
	v_add_u32_e32 v16, v15, v39
	v_add_u32_e32 v17, v16, v40
	;; [unrolled: 1-line block ×4, first 2 shown]
	s_waitcnt lgkmcnt(0)
	v_add_u32_e32 v25, v1, v25
	v_sub_u32_e32 v15, v15, v2
	v_and_b32_e32 v26, 1, v26
	v_add_u32_e32 v20, v19, v43
	v_sub_u32_e32 v43, v25, v15
	v_cmp_eq_u32_e32 vcc, 1, v26
	v_cndmask_b32_e32 v15, v43, v15, vcc
	v_lshlrev_b32_e32 v15, 2, v15
	ds_write_b32 v15, v13
	v_sub_u32_e32 v13, v16, v2
	v_sub_u32_e32 v15, v25, v13
	v_and_b32_e32 v16, 1, v27
	v_add_u32_e32 v15, 1, v15
	v_cmp_eq_u32_e32 vcc, 1, v16
	v_cndmask_b32_e32 v13, v15, v13, vcc
	v_lshlrev_b32_e32 v13, 2, v13
	ds_write_b32 v13, v14
	v_sub_u32_e32 v13, v17, v2
	v_sub_u32_e32 v14, v25, v13
	v_and_b32_e32 v15, 1, v28
	v_add_u32_e32 v14, 2, v14
	;; [unrolled: 8-line block ×5, first 2 shown]
	v_cmp_eq_u32_e32 vcc, 1, v12
	v_cndmask_b32_e32 v9, v11, v9, vcc
	v_add_u32_e32 v21, v20, v44
	v_lshlrev_b32_e32 v9, 2, v9
	ds_write_b32 v9, v10
	v_sub_u32_e32 v9, v21, v2
	v_sub_u32_e32 v10, v25, v9
	v_and_b32_e32 v11, 1, v32
	v_add_u32_e32 v10, 6, v10
	v_cmp_eq_u32_e32 vcc, 1, v11
	v_cndmask_b32_e32 v9, v10, v9, vcc
	v_add_u32_e32 v22, v21, v45
	v_lshlrev_b32_e32 v9, 2, v9
	ds_write_b32 v9, v7
	v_sub_u32_e32 v7, v22, v2
	v_sub_u32_e32 v9, v25, v7
	v_and_b32_e32 v10, 1, v33
	v_add_u32_e32 v9, 7, v9
	;; [unrolled: 9-line block ×6, first 2 shown]
	v_cmp_eq_u32_e32 vcc, 1, v6
	v_cndmask_b32_e32 v3, v5, v3, vcc
	v_lshlrev_b32_e32 v3, 2, v3
	ds_write_b32 v3, v4
	v_sub_u32_e32 v3, v38, v2
	v_add_u32_e32 v3, v42, v3
	v_sub_u32_e32 v4, v25, v3
	v_add_u32_e32 v4, 12, v4
	v_cndmask_b32_e64 v3, v4, v3, s[38:39]
	v_lshlrev_b32_e32 v3, 2, v3
	ds_write_b32 v3, v24
	s_waitcnt lgkmcnt(0)
	s_barrier
	ds_read2st64_b32 v[13:14], v23 offset1:4
	ds_read2st64_b32 v[11:12], v23 offset0:8 offset1:12
	ds_read2st64_b32 v[9:10], v23 offset0:16 offset1:20
	;; [unrolled: 1-line block ×5, first 2 shown]
	ds_read_b32 v19, v23 offset:12288
	v_mov_b32_e32 v15, s35
	s_and_b64 vcc, exec, s[0:1]
	v_add_co_u32_e64 v17, s[0:1], s34, v2
	v_or_b32_e32 v33, 0x100, v0
	v_or_b32_e32 v31, 0x200, v0
	;; [unrolled: 1-line block ×12, first 2 shown]
	v_addc_co_u32_e64 v18, s[0:1], 0, v15, s[0:1]
	s_cbranch_vccnz .LBB779_125
; %bb.72:
	v_mov_b32_e32 v2, s31
	v_subrev_co_u32_e32 v15, vcc, s30, v17
	s_sub_u32 s0, s28, s44
	v_subb_co_u32_e32 v16, vcc, v18, v2, vcc
	s_subb_u32 s1, s29, 0
	v_mov_b32_e32 v2, s1
	v_add_co_u32_e32 v23, vcc, s0, v1
	v_addc_co_u32_e32 v32, vcc, 0, v2, vcc
	v_add_co_u32_e32 v2, vcc, v23, v15
	v_addc_co_u32_e32 v23, vcc, v32, v16, vcc
	v_cmp_ge_u32_e32 vcc, v0, v1
                                        ; implicit-def: $vgpr15_vgpr16
	s_and_saveexec_b64 s[0:1], vcc
	s_xor_b64 s[0:1], exec, s[0:1]
; %bb.73:
	v_not_b32_e32 v15, v0
	v_ashrrev_i32_e32 v16, 31, v15
	v_add_co_u32_e32 v15, vcc, v2, v15
	v_addc_co_u32_e32 v16, vcc, v23, v16, vcc
; %bb.74:
	s_andn2_saveexec_b64 s[0:1], s[0:1]
; %bb.75:
	v_add_co_u32_e32 v15, vcc, v17, v0
	v_addc_co_u32_e32 v16, vcc, 0, v18, vcc
; %bb.76:
	s_or_b64 exec, exec, s[0:1]
	v_lshlrev_b64 v[15:16], 2, v[15:16]
	v_mov_b32_e32 v32, s27
	v_add_co_u32_e32 v15, vcc, s26, v15
	v_addc_co_u32_e32 v16, vcc, v32, v16, vcc
	v_cmp_ge_u32_e32 vcc, v33, v1
	s_waitcnt lgkmcnt(6)
	global_store_dword v[15:16], v13, off
                                        ; implicit-def: $vgpr15_vgpr16
	s_and_saveexec_b64 s[0:1], vcc
	s_xor_b64 s[0:1], exec, s[0:1]
; %bb.77:
	v_xor_b32_e32 v15, 0xfffffeff, v0
	v_ashrrev_i32_e32 v16, 31, v15
	v_add_co_u32_e32 v15, vcc, v2, v15
	v_addc_co_u32_e32 v16, vcc, v23, v16, vcc
; %bb.78:
	s_andn2_saveexec_b64 s[0:1], s[0:1]
; %bb.79:
	v_add_co_u32_e32 v15, vcc, v17, v33
	v_addc_co_u32_e32 v16, vcc, 0, v18, vcc
; %bb.80:
	s_or_b64 exec, exec, s[0:1]
	v_lshlrev_b64 v[15:16], 2, v[15:16]
	v_mov_b32_e32 v32, s27
	v_add_co_u32_e32 v15, vcc, s26, v15
	v_addc_co_u32_e32 v16, vcc, v32, v16, vcc
	v_cmp_ge_u32_e32 vcc, v31, v1
	global_store_dword v[15:16], v14, off
                                        ; implicit-def: $vgpr15_vgpr16
	s_and_saveexec_b64 s[0:1], vcc
	s_xor_b64 s[0:1], exec, s[0:1]
; %bb.81:
	v_xor_b32_e32 v15, 0xfffffdff, v0
	v_ashrrev_i32_e32 v16, 31, v15
	v_add_co_u32_e32 v15, vcc, v2, v15
	v_addc_co_u32_e32 v16, vcc, v23, v16, vcc
; %bb.82:
	s_andn2_saveexec_b64 s[0:1], s[0:1]
; %bb.83:
	v_add_co_u32_e32 v15, vcc, v17, v31
	v_addc_co_u32_e32 v16, vcc, 0, v18, vcc
; %bb.84:
	s_or_b64 exec, exec, s[0:1]
	v_lshlrev_b64 v[15:16], 2, v[15:16]
	v_mov_b32_e32 v32, s27
	v_add_co_u32_e32 v15, vcc, s26, v15
	v_addc_co_u32_e32 v16, vcc, v32, v16, vcc
	v_cmp_ge_u32_e32 vcc, v30, v1
	s_waitcnt lgkmcnt(5)
	global_store_dword v[15:16], v11, off
                                        ; implicit-def: $vgpr15_vgpr16
	s_and_saveexec_b64 s[0:1], vcc
	s_xor_b64 s[0:1], exec, s[0:1]
; %bb.85:
	v_xor_b32_e32 v15, 0xfffffcff, v0
	v_ashrrev_i32_e32 v16, 31, v15
	v_add_co_u32_e32 v15, vcc, v2, v15
	v_addc_co_u32_e32 v16, vcc, v23, v16, vcc
; %bb.86:
	s_andn2_saveexec_b64 s[0:1], s[0:1]
; %bb.87:
	v_add_co_u32_e32 v15, vcc, v17, v30
	v_addc_co_u32_e32 v16, vcc, 0, v18, vcc
; %bb.88:
	s_or_b64 exec, exec, s[0:1]
	v_lshlrev_b64 v[15:16], 2, v[15:16]
	v_mov_b32_e32 v32, s27
	v_add_co_u32_e32 v15, vcc, s26, v15
	v_addc_co_u32_e32 v16, vcc, v32, v16, vcc
	v_cmp_ge_u32_e32 vcc, v29, v1
	global_store_dword v[15:16], v12, off
                                        ; implicit-def: $vgpr15_vgpr16
	s_and_saveexec_b64 s[0:1], vcc
	s_xor_b64 s[0:1], exec, s[0:1]
; %bb.89:
	v_xor_b32_e32 v15, 0xfffffbff, v0
	;; [unrolled: 43-line block ×6, first 2 shown]
	v_ashrrev_i32_e32 v16, 31, v15
	v_add_co_u32_e32 v15, vcc, v2, v15
	v_addc_co_u32_e32 v16, vcc, v23, v16, vcc
; %bb.122:
	s_andn2_saveexec_b64 s[0:1], s[0:1]
; %bb.123:
	v_add_co_u32_e32 v15, vcc, v17, v20
	v_addc_co_u32_e32 v16, vcc, 0, v18, vcc
; %bb.124:
	s_or_b64 exec, exec, s[0:1]
	s_mov_b64 s[0:1], -1
	s_branch .LBB779_205
.LBB779_125:
	s_mov_b64 s[0:1], 0
                                        ; implicit-def: $vgpr15_vgpr16
	s_cbranch_execz .LBB779_205
; %bb.126:
	s_add_u32 s2, s30, s44
	s_addc_u32 s3, s31, 0
	s_sub_u32 s2, s28, s2
	s_subb_u32 s3, s29, s3
	v_mov_b32_e32 v2, s3
	v_add_co_u32_e32 v15, vcc, s2, v1
	v_addc_co_u32_e32 v2, vcc, 0, v2, vcc
	v_add_co_u32_e32 v23, vcc, v15, v17
	v_addc_co_u32_e32 v32, vcc, v2, v18, vcc
	v_cmp_gt_u32_e32 vcc, s33, v0
	s_and_saveexec_b64 s[2:3], vcc
	s_cbranch_execz .LBB779_162
; %bb.127:
	v_cmp_ge_u32_e32 vcc, v0, v1
                                        ; implicit-def: $vgpr15_vgpr16
	s_and_saveexec_b64 s[4:5], vcc
	s_xor_b64 s[4:5], exec, s[4:5]
; %bb.128:
	v_not_b32_e32 v2, v0
	v_ashrrev_i32_e32 v16, 31, v2
	v_add_co_u32_e32 v15, vcc, v23, v2
	v_addc_co_u32_e32 v16, vcc, v32, v16, vcc
; %bb.129:
	s_andn2_saveexec_b64 s[4:5], s[4:5]
; %bb.130:
	v_add_co_u32_e32 v15, vcc, v17, v0
	v_addc_co_u32_e32 v16, vcc, 0, v18, vcc
; %bb.131:
	s_or_b64 exec, exec, s[4:5]
	v_lshlrev_b64 v[15:16], 2, v[15:16]
	v_mov_b32_e32 v2, s27
	v_add_co_u32_e32 v15, vcc, s26, v15
	v_addc_co_u32_e32 v16, vcc, v2, v16, vcc
	s_waitcnt lgkmcnt(6)
	global_store_dword v[15:16], v13, off
	s_or_b64 exec, exec, s[2:3]
	v_cmp_gt_u32_e32 vcc, s33, v33
	s_and_saveexec_b64 s[2:3], vcc
	s_cbranch_execnz .LBB779_163
.LBB779_132:
	s_or_b64 exec, exec, s[2:3]
	v_cmp_gt_u32_e32 vcc, s33, v31
	s_and_saveexec_b64 s[2:3], vcc
	s_cbranch_execz .LBB779_168
.LBB779_133:
	v_cmp_ge_u32_e32 vcc, v31, v1
                                        ; implicit-def: $vgpr13_vgpr14
	s_and_saveexec_b64 s[4:5], vcc
	s_xor_b64 s[4:5], exec, s[4:5]
	s_cbranch_execz .LBB779_135
; %bb.134:
	v_xor_b32_e32 v2, 0xfffffdff, v0
	s_waitcnt lgkmcnt(6)
	v_ashrrev_i32_e32 v14, 31, v2
	v_add_co_u32_e32 v13, vcc, v23, v2
	v_addc_co_u32_e32 v14, vcc, v32, v14, vcc
                                        ; implicit-def: $vgpr31
.LBB779_135:
	s_andn2_saveexec_b64 s[4:5], s[4:5]
	s_cbranch_execz .LBB779_137
; %bb.136:
	s_waitcnt lgkmcnt(6)
	v_add_co_u32_e32 v13, vcc, v17, v31
	v_addc_co_u32_e32 v14, vcc, 0, v18, vcc
.LBB779_137:
	s_or_b64 exec, exec, s[4:5]
	s_waitcnt lgkmcnt(6)
	v_lshlrev_b64 v[13:14], 2, v[13:14]
	v_mov_b32_e32 v2, s27
	v_add_co_u32_e32 v13, vcc, s26, v13
	v_addc_co_u32_e32 v14, vcc, v2, v14, vcc
	s_waitcnt lgkmcnt(5)
	global_store_dword v[13:14], v11, off
	s_or_b64 exec, exec, s[2:3]
	v_cmp_gt_u32_e32 vcc, s33, v30
	s_and_saveexec_b64 s[2:3], vcc
	s_cbranch_execnz .LBB779_169
.LBB779_138:
	s_or_b64 exec, exec, s[2:3]
	v_cmp_gt_u32_e32 vcc, s33, v29
	s_and_saveexec_b64 s[2:3], vcc
	s_cbranch_execz .LBB779_174
.LBB779_139:
	v_cmp_ge_u32_e32 vcc, v29, v1
                                        ; implicit-def: $vgpr11_vgpr12
	s_and_saveexec_b64 s[4:5], vcc
	s_xor_b64 s[4:5], exec, s[4:5]
	s_cbranch_execz .LBB779_141
; %bb.140:
	v_xor_b32_e32 v2, 0xfffffbff, v0
	s_waitcnt lgkmcnt(5)
	v_ashrrev_i32_e32 v12, 31, v2
	v_add_co_u32_e32 v11, vcc, v23, v2
	v_addc_co_u32_e32 v12, vcc, v32, v12, vcc
                                        ; implicit-def: $vgpr29
.LBB779_141:
	s_andn2_saveexec_b64 s[4:5], s[4:5]
	s_cbranch_execz .LBB779_143
; %bb.142:
	s_waitcnt lgkmcnt(5)
	v_add_co_u32_e32 v11, vcc, v17, v29
	v_addc_co_u32_e32 v12, vcc, 0, v18, vcc
.LBB779_143:
	s_or_b64 exec, exec, s[4:5]
	s_waitcnt lgkmcnt(5)
	v_lshlrev_b64 v[11:12], 2, v[11:12]
	v_mov_b32_e32 v2, s27
	v_add_co_u32_e32 v11, vcc, s26, v11
	v_addc_co_u32_e32 v12, vcc, v2, v12, vcc
	s_waitcnt lgkmcnt(4)
	global_store_dword v[11:12], v9, off
	s_or_b64 exec, exec, s[2:3]
	v_cmp_gt_u32_e32 vcc, s33, v28
	s_and_saveexec_b64 s[2:3], vcc
	s_cbranch_execnz .LBB779_175
.LBB779_144:
	s_or_b64 exec, exec, s[2:3]
	v_cmp_gt_u32_e32 vcc, s33, v27
	s_and_saveexec_b64 s[2:3], vcc
	s_cbranch_execz .LBB779_180
.LBB779_145:
	v_cmp_ge_u32_e32 vcc, v27, v1
                                        ; implicit-def: $vgpr9_vgpr10
	s_and_saveexec_b64 s[4:5], vcc
	s_xor_b64 s[4:5], exec, s[4:5]
	s_cbranch_execz .LBB779_147
; %bb.146:
	v_xor_b32_e32 v2, 0xfffff9ff, v0
	s_waitcnt lgkmcnt(4)
	v_ashrrev_i32_e32 v10, 31, v2
	v_add_co_u32_e32 v9, vcc, v23, v2
	v_addc_co_u32_e32 v10, vcc, v32, v10, vcc
                                        ; implicit-def: $vgpr27
.LBB779_147:
	s_andn2_saveexec_b64 s[4:5], s[4:5]
	s_cbranch_execz .LBB779_149
; %bb.148:
	s_waitcnt lgkmcnt(4)
	v_add_co_u32_e32 v9, vcc, v17, v27
	v_addc_co_u32_e32 v10, vcc, 0, v18, vcc
.LBB779_149:
	s_or_b64 exec, exec, s[4:5]
	s_waitcnt lgkmcnt(4)
	v_lshlrev_b64 v[9:10], 2, v[9:10]
	v_mov_b32_e32 v2, s27
	v_add_co_u32_e32 v9, vcc, s26, v9
	v_addc_co_u32_e32 v10, vcc, v2, v10, vcc
	s_waitcnt lgkmcnt(3)
	global_store_dword v[9:10], v7, off
	s_or_b64 exec, exec, s[2:3]
	v_cmp_gt_u32_e32 vcc, s33, v26
	s_and_saveexec_b64 s[2:3], vcc
	s_cbranch_execnz .LBB779_181
.LBB779_150:
	s_or_b64 exec, exec, s[2:3]
	v_cmp_gt_u32_e32 vcc, s33, v25
	s_and_saveexec_b64 s[2:3], vcc
	s_cbranch_execz .LBB779_186
.LBB779_151:
	v_cmp_ge_u32_e32 vcc, v25, v1
                                        ; implicit-def: $vgpr7_vgpr8
	s_and_saveexec_b64 s[4:5], vcc
	s_xor_b64 s[4:5], exec, s[4:5]
	s_cbranch_execz .LBB779_153
; %bb.152:
	v_xor_b32_e32 v2, 0xfffff7ff, v0
	s_waitcnt lgkmcnt(3)
	v_ashrrev_i32_e32 v8, 31, v2
	v_add_co_u32_e32 v7, vcc, v23, v2
	v_addc_co_u32_e32 v8, vcc, v32, v8, vcc
                                        ; implicit-def: $vgpr25
.LBB779_153:
	s_andn2_saveexec_b64 s[4:5], s[4:5]
	s_cbranch_execz .LBB779_155
; %bb.154:
	s_waitcnt lgkmcnt(3)
	v_add_co_u32_e32 v7, vcc, v17, v25
	v_addc_co_u32_e32 v8, vcc, 0, v18, vcc
.LBB779_155:
	s_or_b64 exec, exec, s[4:5]
	s_waitcnt lgkmcnt(3)
	v_lshlrev_b64 v[7:8], 2, v[7:8]
	v_mov_b32_e32 v2, s27
	v_add_co_u32_e32 v7, vcc, s26, v7
	v_addc_co_u32_e32 v8, vcc, v2, v8, vcc
	s_waitcnt lgkmcnt(2)
	global_store_dword v[7:8], v5, off
	s_or_b64 exec, exec, s[2:3]
	v_cmp_gt_u32_e32 vcc, s33, v24
	s_and_saveexec_b64 s[2:3], vcc
	s_cbranch_execnz .LBB779_187
.LBB779_156:
	s_or_b64 exec, exec, s[2:3]
	v_cmp_gt_u32_e32 vcc, s33, v22
	s_and_saveexec_b64 s[2:3], vcc
	s_cbranch_execz .LBB779_192
.LBB779_157:
	v_cmp_ge_u32_e32 vcc, v22, v1
                                        ; implicit-def: $vgpr5_vgpr6
	s_and_saveexec_b64 s[4:5], vcc
	s_xor_b64 s[4:5], exec, s[4:5]
	s_cbranch_execz .LBB779_159
; %bb.158:
	v_xor_b32_e32 v2, 0xfffff5ff, v0
	s_waitcnt lgkmcnt(2)
	v_ashrrev_i32_e32 v6, 31, v2
	v_add_co_u32_e32 v5, vcc, v23, v2
	v_addc_co_u32_e32 v6, vcc, v32, v6, vcc
                                        ; implicit-def: $vgpr22
.LBB779_159:
	s_andn2_saveexec_b64 s[4:5], s[4:5]
	s_cbranch_execz .LBB779_161
; %bb.160:
	s_waitcnt lgkmcnt(2)
	v_add_co_u32_e32 v5, vcc, v17, v22
	v_addc_co_u32_e32 v6, vcc, 0, v18, vcc
.LBB779_161:
	s_or_b64 exec, exec, s[4:5]
	s_waitcnt lgkmcnt(2)
	v_lshlrev_b64 v[5:6], 2, v[5:6]
	v_mov_b32_e32 v2, s27
	v_add_co_u32_e32 v5, vcc, s26, v5
	v_addc_co_u32_e32 v6, vcc, v2, v6, vcc
	s_waitcnt lgkmcnt(1)
	global_store_dword v[5:6], v3, off
	s_or_b64 exec, exec, s[2:3]
	v_cmp_gt_u32_e32 vcc, s33, v21
	s_and_saveexec_b64 s[2:3], vcc
	s_cbranch_execz .LBB779_198
	s_branch .LBB779_193
.LBB779_162:
	s_or_b64 exec, exec, s[2:3]
	v_cmp_gt_u32_e32 vcc, s33, v33
	s_and_saveexec_b64 s[2:3], vcc
	s_cbranch_execz .LBB779_132
.LBB779_163:
	v_cmp_ge_u32_e32 vcc, v33, v1
                                        ; implicit-def: $vgpr15_vgpr16
	s_and_saveexec_b64 s[4:5], vcc
	s_xor_b64 s[4:5], exec, s[4:5]
	s_cbranch_execz .LBB779_165
; %bb.164:
	v_xor_b32_e32 v2, 0xfffffeff, v0
	s_waitcnt lgkmcnt(6)
	v_ashrrev_i32_e32 v13, 31, v2
	v_add_co_u32_e32 v15, vcc, v23, v2
	v_addc_co_u32_e32 v16, vcc, v32, v13, vcc
                                        ; implicit-def: $vgpr33
.LBB779_165:
	s_andn2_saveexec_b64 s[4:5], s[4:5]
; %bb.166:
	v_add_co_u32_e32 v15, vcc, v17, v33
	v_addc_co_u32_e32 v16, vcc, 0, v18, vcc
; %bb.167:
	s_or_b64 exec, exec, s[4:5]
	v_lshlrev_b64 v[15:16], 2, v[15:16]
	v_mov_b32_e32 v2, s27
	v_add_co_u32_e32 v15, vcc, s26, v15
	v_addc_co_u32_e32 v16, vcc, v2, v16, vcc
	s_waitcnt lgkmcnt(6)
	global_store_dword v[15:16], v14, off
	s_or_b64 exec, exec, s[2:3]
	v_cmp_gt_u32_e32 vcc, s33, v31
	s_and_saveexec_b64 s[2:3], vcc
	s_cbranch_execnz .LBB779_133
.LBB779_168:
	s_or_b64 exec, exec, s[2:3]
	v_cmp_gt_u32_e32 vcc, s33, v30
	s_and_saveexec_b64 s[2:3], vcc
	s_cbranch_execz .LBB779_138
.LBB779_169:
	v_cmp_ge_u32_e32 vcc, v30, v1
                                        ; implicit-def: $vgpr13_vgpr14
	s_and_saveexec_b64 s[4:5], vcc
	s_xor_b64 s[4:5], exec, s[4:5]
	s_cbranch_execz .LBB779_171
; %bb.170:
	v_xor_b32_e32 v2, 0xfffffcff, v0
	s_waitcnt lgkmcnt(5)
	v_ashrrev_i32_e32 v11, 31, v2
	v_add_co_u32_e32 v13, vcc, v23, v2
	v_addc_co_u32_e32 v14, vcc, v32, v11, vcc
                                        ; implicit-def: $vgpr30
.LBB779_171:
	s_andn2_saveexec_b64 s[4:5], s[4:5]
	s_cbranch_execz .LBB779_173
; %bb.172:
	s_waitcnt lgkmcnt(6)
	v_add_co_u32_e32 v13, vcc, v17, v30
	v_addc_co_u32_e32 v14, vcc, 0, v18, vcc
.LBB779_173:
	s_or_b64 exec, exec, s[4:5]
	s_waitcnt lgkmcnt(6)
	v_lshlrev_b64 v[13:14], 2, v[13:14]
	v_mov_b32_e32 v2, s27
	v_add_co_u32_e32 v13, vcc, s26, v13
	v_addc_co_u32_e32 v14, vcc, v2, v14, vcc
	s_waitcnt lgkmcnt(5)
	global_store_dword v[13:14], v12, off
	s_or_b64 exec, exec, s[2:3]
	v_cmp_gt_u32_e32 vcc, s33, v29
	s_and_saveexec_b64 s[2:3], vcc
	s_cbranch_execnz .LBB779_139
.LBB779_174:
	s_or_b64 exec, exec, s[2:3]
	v_cmp_gt_u32_e32 vcc, s33, v28
	s_and_saveexec_b64 s[2:3], vcc
	s_cbranch_execz .LBB779_144
.LBB779_175:
	v_cmp_ge_u32_e32 vcc, v28, v1
                                        ; implicit-def: $vgpr11_vgpr12
	s_and_saveexec_b64 s[4:5], vcc
	s_xor_b64 s[4:5], exec, s[4:5]
	s_cbranch_execz .LBB779_177
; %bb.176:
	v_xor_b32_e32 v2, 0xfffffaff, v0
	s_waitcnt lgkmcnt(4)
	v_ashrrev_i32_e32 v9, 31, v2
	v_add_co_u32_e32 v11, vcc, v23, v2
	v_addc_co_u32_e32 v12, vcc, v32, v9, vcc
                                        ; implicit-def: $vgpr28
.LBB779_177:
	s_andn2_saveexec_b64 s[4:5], s[4:5]
	s_cbranch_execz .LBB779_179
; %bb.178:
	s_waitcnt lgkmcnt(5)
	v_add_co_u32_e32 v11, vcc, v17, v28
	v_addc_co_u32_e32 v12, vcc, 0, v18, vcc
.LBB779_179:
	s_or_b64 exec, exec, s[4:5]
	s_waitcnt lgkmcnt(5)
	v_lshlrev_b64 v[11:12], 2, v[11:12]
	v_mov_b32_e32 v2, s27
	v_add_co_u32_e32 v11, vcc, s26, v11
	v_addc_co_u32_e32 v12, vcc, v2, v12, vcc
	s_waitcnt lgkmcnt(4)
	global_store_dword v[11:12], v10, off
	s_or_b64 exec, exec, s[2:3]
	v_cmp_gt_u32_e32 vcc, s33, v27
	s_and_saveexec_b64 s[2:3], vcc
	s_cbranch_execnz .LBB779_145
.LBB779_180:
	s_or_b64 exec, exec, s[2:3]
	v_cmp_gt_u32_e32 vcc, s33, v26
	s_and_saveexec_b64 s[2:3], vcc
	s_cbranch_execz .LBB779_150
.LBB779_181:
	v_cmp_ge_u32_e32 vcc, v26, v1
                                        ; implicit-def: $vgpr9_vgpr10
	s_and_saveexec_b64 s[4:5], vcc
	s_xor_b64 s[4:5], exec, s[4:5]
	s_cbranch_execz .LBB779_183
; %bb.182:
	v_xor_b32_e32 v2, 0xfffff8ff, v0
	s_waitcnt lgkmcnt(3)
	v_ashrrev_i32_e32 v7, 31, v2
	v_add_co_u32_e32 v9, vcc, v23, v2
	v_addc_co_u32_e32 v10, vcc, v32, v7, vcc
                                        ; implicit-def: $vgpr26
.LBB779_183:
	s_andn2_saveexec_b64 s[4:5], s[4:5]
	s_cbranch_execz .LBB779_185
; %bb.184:
	s_waitcnt lgkmcnt(4)
	v_add_co_u32_e32 v9, vcc, v17, v26
	v_addc_co_u32_e32 v10, vcc, 0, v18, vcc
.LBB779_185:
	s_or_b64 exec, exec, s[4:5]
	s_waitcnt lgkmcnt(4)
	v_lshlrev_b64 v[9:10], 2, v[9:10]
	v_mov_b32_e32 v2, s27
	v_add_co_u32_e32 v9, vcc, s26, v9
	v_addc_co_u32_e32 v10, vcc, v2, v10, vcc
	s_waitcnt lgkmcnt(3)
	global_store_dword v[9:10], v8, off
	s_or_b64 exec, exec, s[2:3]
	v_cmp_gt_u32_e32 vcc, s33, v25
	s_and_saveexec_b64 s[2:3], vcc
	s_cbranch_execnz .LBB779_151
.LBB779_186:
	s_or_b64 exec, exec, s[2:3]
	v_cmp_gt_u32_e32 vcc, s33, v24
	s_and_saveexec_b64 s[2:3], vcc
	s_cbranch_execz .LBB779_156
.LBB779_187:
	v_cmp_ge_u32_e32 vcc, v24, v1
                                        ; implicit-def: $vgpr7_vgpr8
	s_and_saveexec_b64 s[4:5], vcc
	s_xor_b64 s[4:5], exec, s[4:5]
	s_cbranch_execz .LBB779_189
; %bb.188:
	v_xor_b32_e32 v2, 0xfffff6ff, v0
	s_waitcnt lgkmcnt(2)
	v_ashrrev_i32_e32 v5, 31, v2
	v_add_co_u32_e32 v7, vcc, v23, v2
	v_addc_co_u32_e32 v8, vcc, v32, v5, vcc
                                        ; implicit-def: $vgpr24
.LBB779_189:
	s_andn2_saveexec_b64 s[4:5], s[4:5]
	s_cbranch_execz .LBB779_191
; %bb.190:
	s_waitcnt lgkmcnt(3)
	v_add_co_u32_e32 v7, vcc, v17, v24
	v_addc_co_u32_e32 v8, vcc, 0, v18, vcc
.LBB779_191:
	s_or_b64 exec, exec, s[4:5]
	s_waitcnt lgkmcnt(3)
	v_lshlrev_b64 v[7:8], 2, v[7:8]
	v_mov_b32_e32 v2, s27
	v_add_co_u32_e32 v7, vcc, s26, v7
	v_addc_co_u32_e32 v8, vcc, v2, v8, vcc
	s_waitcnt lgkmcnt(2)
	global_store_dword v[7:8], v6, off
	s_or_b64 exec, exec, s[2:3]
	v_cmp_gt_u32_e32 vcc, s33, v22
	s_and_saveexec_b64 s[2:3], vcc
	s_cbranch_execnz .LBB779_157
.LBB779_192:
	s_or_b64 exec, exec, s[2:3]
	v_cmp_gt_u32_e32 vcc, s33, v21
	s_and_saveexec_b64 s[2:3], vcc
	s_cbranch_execz .LBB779_198
.LBB779_193:
	v_cmp_ge_u32_e32 vcc, v21, v1
                                        ; implicit-def: $vgpr2_vgpr3
	s_and_saveexec_b64 s[4:5], vcc
	s_xor_b64 s[4:5], exec, s[4:5]
	s_cbranch_execz .LBB779_195
; %bb.194:
	v_xor_b32_e32 v2, 0xfffff4ff, v0
	s_waitcnt lgkmcnt(1)
	v_ashrrev_i32_e32 v3, 31, v2
	v_add_co_u32_e32 v2, vcc, v23, v2
	v_addc_co_u32_e32 v3, vcc, v32, v3, vcc
                                        ; implicit-def: $vgpr21
.LBB779_195:
	s_andn2_saveexec_b64 s[4:5], s[4:5]
	s_cbranch_execz .LBB779_197
; %bb.196:
	v_add_co_u32_e32 v2, vcc, v17, v21
	s_waitcnt lgkmcnt(1)
	v_addc_co_u32_e32 v3, vcc, 0, v18, vcc
.LBB779_197:
	s_or_b64 exec, exec, s[4:5]
	s_waitcnt lgkmcnt(1)
	v_lshlrev_b64 v[2:3], 2, v[2:3]
	v_mov_b32_e32 v5, s27
	v_add_co_u32_e32 v2, vcc, s26, v2
	v_addc_co_u32_e32 v3, vcc, v5, v3, vcc
	global_store_dword v[2:3], v4, off
.LBB779_198:
	s_or_b64 exec, exec, s[2:3]
	v_cmp_gt_u32_e32 vcc, s33, v20
                                        ; implicit-def: $vgpr15_vgpr16
	s_and_saveexec_b64 s[2:3], vcc
	s_cbranch_execz .LBB779_204
; %bb.199:
	v_cmp_ge_u32_e32 vcc, v20, v1
                                        ; implicit-def: $vgpr15_vgpr16
	s_and_saveexec_b64 s[4:5], vcc
	s_xor_b64 s[4:5], exec, s[4:5]
	s_cbranch_execz .LBB779_201
; %bb.200:
	v_xor_b32_e32 v2, 0xfffff3ff, v0
	s_waitcnt lgkmcnt(1)
	v_ashrrev_i32_e32 v3, 31, v2
	v_add_co_u32_e32 v15, vcc, v23, v2
	v_addc_co_u32_e32 v16, vcc, v32, v3, vcc
                                        ; implicit-def: $vgpr20
.LBB779_201:
	s_andn2_saveexec_b64 s[4:5], s[4:5]
; %bb.202:
	v_add_co_u32_e32 v15, vcc, v17, v20
	v_addc_co_u32_e32 v16, vcc, 0, v18, vcc
; %bb.203:
	s_or_b64 exec, exec, s[4:5]
	s_or_b64 s[0:1], s[0:1], exec
.LBB779_204:
	s_or_b64 exec, exec, s[2:3]
.LBB779_205:
	s_and_saveexec_b64 s[2:3], s[0:1]
	s_cbranch_execz .LBB779_207
; %bb.206:
	s_waitcnt lgkmcnt(1)
	v_lshlrev_b64 v[2:3], 2, v[15:16]
	v_mov_b32_e32 v4, s27
	v_add_co_u32_e32 v2, vcc, s26, v2
	v_addc_co_u32_e32 v3, vcc, v4, v3, vcc
	s_waitcnt lgkmcnt(0)
	global_store_dword v[2:3], v19, off
.LBB779_207:
	s_or_b64 exec, exec, s[2:3]
	v_cmp_eq_u32_e32 vcc, 0, v0
	s_and_b64 s[0:1], vcc, s[22:23]
	s_and_saveexec_b64 s[2:3], s[0:1]
	s_cbranch_execz .LBB779_209
; %bb.208:
	v_add_co_u32_e32 v0, vcc, v17, v1
	v_mov_b32_e32 v2, 0
	v_addc_co_u32_e32 v1, vcc, 0, v18, vcc
	global_store_dwordx2 v2, v[0:1], s[24:25]
.LBB779_209:
	s_endpgm
	.section	.rodata,"a",@progbits
	.p2align	6, 0x0
	.amdhsa_kernel _ZN7rocprim17ROCPRIM_400000_NS6detail17trampoline_kernelINS0_13select_configILj256ELj13ELNS0_17block_load_methodE3ELS4_3ELS4_3ELNS0_20block_scan_algorithmE0ELj4294967295EEENS1_25partition_config_selectorILNS1_17partition_subalgoE3EjNS0_10empty_typeEbEEZZNS1_14partition_implILS8_3ELb0ES6_jNS0_17counting_iteratorIjlEEPS9_SE_NS0_5tupleIJPjSE_EEENSF_IJSE_SE_EEES9_SG_JZNS1_25segmented_radix_sort_implINS0_14default_configELb0EPKlPlSM_SN_N2at6native12_GLOBAL__N_18offset_tEEE10hipError_tPvRmT1_PNSt15iterator_traitsISV_E10value_typeET2_T3_PNSW_IS11_E10value_typeET4_jRbjT5_S17_jjP12ihipStream_tbEUljE_EEESS_ST_SU_S11_S15_S17_T6_T7_T9_mT8_S19_bDpT10_ENKUlT_T0_E_clISt17integral_constantIbLb0EES1M_EEDaS1H_S1I_EUlS1H_E_NS1_11comp_targetILNS1_3genE2ELNS1_11target_archE906ELNS1_3gpuE6ELNS1_3repE0EEENS1_30default_config_static_selectorELNS0_4arch9wavefront6targetE1EEEvSV_
		.amdhsa_group_segment_fixed_size 13320
		.amdhsa_private_segment_fixed_size 0
		.amdhsa_kernarg_size 144
		.amdhsa_user_sgpr_count 6
		.amdhsa_user_sgpr_private_segment_buffer 1
		.amdhsa_user_sgpr_dispatch_ptr 0
		.amdhsa_user_sgpr_queue_ptr 0
		.amdhsa_user_sgpr_kernarg_segment_ptr 1
		.amdhsa_user_sgpr_dispatch_id 0
		.amdhsa_user_sgpr_flat_scratch_init 0
		.amdhsa_user_sgpr_private_segment_size 0
		.amdhsa_uses_dynamic_stack 0
		.amdhsa_system_sgpr_private_segment_wavefront_offset 0
		.amdhsa_system_sgpr_workgroup_id_x 1
		.amdhsa_system_sgpr_workgroup_id_y 0
		.amdhsa_system_sgpr_workgroup_id_z 0
		.amdhsa_system_sgpr_workgroup_info 0
		.amdhsa_system_vgpr_workitem_id 0
		.amdhsa_next_free_vgpr 69
		.amdhsa_next_free_sgpr 98
		.amdhsa_reserve_vcc 1
		.amdhsa_reserve_flat_scratch 0
		.amdhsa_float_round_mode_32 0
		.amdhsa_float_round_mode_16_64 0
		.amdhsa_float_denorm_mode_32 3
		.amdhsa_float_denorm_mode_16_64 3
		.amdhsa_dx10_clamp 1
		.amdhsa_ieee_mode 1
		.amdhsa_fp16_overflow 0
		.amdhsa_exception_fp_ieee_invalid_op 0
		.amdhsa_exception_fp_denorm_src 0
		.amdhsa_exception_fp_ieee_div_zero 0
		.amdhsa_exception_fp_ieee_overflow 0
		.amdhsa_exception_fp_ieee_underflow 0
		.amdhsa_exception_fp_ieee_inexact 0
		.amdhsa_exception_int_div_zero 0
	.end_amdhsa_kernel
	.section	.text._ZN7rocprim17ROCPRIM_400000_NS6detail17trampoline_kernelINS0_13select_configILj256ELj13ELNS0_17block_load_methodE3ELS4_3ELS4_3ELNS0_20block_scan_algorithmE0ELj4294967295EEENS1_25partition_config_selectorILNS1_17partition_subalgoE3EjNS0_10empty_typeEbEEZZNS1_14partition_implILS8_3ELb0ES6_jNS0_17counting_iteratorIjlEEPS9_SE_NS0_5tupleIJPjSE_EEENSF_IJSE_SE_EEES9_SG_JZNS1_25segmented_radix_sort_implINS0_14default_configELb0EPKlPlSM_SN_N2at6native12_GLOBAL__N_18offset_tEEE10hipError_tPvRmT1_PNSt15iterator_traitsISV_E10value_typeET2_T3_PNSW_IS11_E10value_typeET4_jRbjT5_S17_jjP12ihipStream_tbEUljE_EEESS_ST_SU_S11_S15_S17_T6_T7_T9_mT8_S19_bDpT10_ENKUlT_T0_E_clISt17integral_constantIbLb0EES1M_EEDaS1H_S1I_EUlS1H_E_NS1_11comp_targetILNS1_3genE2ELNS1_11target_archE906ELNS1_3gpuE6ELNS1_3repE0EEENS1_30default_config_static_selectorELNS0_4arch9wavefront6targetE1EEEvSV_,"axG",@progbits,_ZN7rocprim17ROCPRIM_400000_NS6detail17trampoline_kernelINS0_13select_configILj256ELj13ELNS0_17block_load_methodE3ELS4_3ELS4_3ELNS0_20block_scan_algorithmE0ELj4294967295EEENS1_25partition_config_selectorILNS1_17partition_subalgoE3EjNS0_10empty_typeEbEEZZNS1_14partition_implILS8_3ELb0ES6_jNS0_17counting_iteratorIjlEEPS9_SE_NS0_5tupleIJPjSE_EEENSF_IJSE_SE_EEES9_SG_JZNS1_25segmented_radix_sort_implINS0_14default_configELb0EPKlPlSM_SN_N2at6native12_GLOBAL__N_18offset_tEEE10hipError_tPvRmT1_PNSt15iterator_traitsISV_E10value_typeET2_T3_PNSW_IS11_E10value_typeET4_jRbjT5_S17_jjP12ihipStream_tbEUljE_EEESS_ST_SU_S11_S15_S17_T6_T7_T9_mT8_S19_bDpT10_ENKUlT_T0_E_clISt17integral_constantIbLb0EES1M_EEDaS1H_S1I_EUlS1H_E_NS1_11comp_targetILNS1_3genE2ELNS1_11target_archE906ELNS1_3gpuE6ELNS1_3repE0EEENS1_30default_config_static_selectorELNS0_4arch9wavefront6targetE1EEEvSV_,comdat
.Lfunc_end779:
	.size	_ZN7rocprim17ROCPRIM_400000_NS6detail17trampoline_kernelINS0_13select_configILj256ELj13ELNS0_17block_load_methodE3ELS4_3ELS4_3ELNS0_20block_scan_algorithmE0ELj4294967295EEENS1_25partition_config_selectorILNS1_17partition_subalgoE3EjNS0_10empty_typeEbEEZZNS1_14partition_implILS8_3ELb0ES6_jNS0_17counting_iteratorIjlEEPS9_SE_NS0_5tupleIJPjSE_EEENSF_IJSE_SE_EEES9_SG_JZNS1_25segmented_radix_sort_implINS0_14default_configELb0EPKlPlSM_SN_N2at6native12_GLOBAL__N_18offset_tEEE10hipError_tPvRmT1_PNSt15iterator_traitsISV_E10value_typeET2_T3_PNSW_IS11_E10value_typeET4_jRbjT5_S17_jjP12ihipStream_tbEUljE_EEESS_ST_SU_S11_S15_S17_T6_T7_T9_mT8_S19_bDpT10_ENKUlT_T0_E_clISt17integral_constantIbLb0EES1M_EEDaS1H_S1I_EUlS1H_E_NS1_11comp_targetILNS1_3genE2ELNS1_11target_archE906ELNS1_3gpuE6ELNS1_3repE0EEENS1_30default_config_static_selectorELNS0_4arch9wavefront6targetE1EEEvSV_, .Lfunc_end779-_ZN7rocprim17ROCPRIM_400000_NS6detail17trampoline_kernelINS0_13select_configILj256ELj13ELNS0_17block_load_methodE3ELS4_3ELS4_3ELNS0_20block_scan_algorithmE0ELj4294967295EEENS1_25partition_config_selectorILNS1_17partition_subalgoE3EjNS0_10empty_typeEbEEZZNS1_14partition_implILS8_3ELb0ES6_jNS0_17counting_iteratorIjlEEPS9_SE_NS0_5tupleIJPjSE_EEENSF_IJSE_SE_EEES9_SG_JZNS1_25segmented_radix_sort_implINS0_14default_configELb0EPKlPlSM_SN_N2at6native12_GLOBAL__N_18offset_tEEE10hipError_tPvRmT1_PNSt15iterator_traitsISV_E10value_typeET2_T3_PNSW_IS11_E10value_typeET4_jRbjT5_S17_jjP12ihipStream_tbEUljE_EEESS_ST_SU_S11_S15_S17_T6_T7_T9_mT8_S19_bDpT10_ENKUlT_T0_E_clISt17integral_constantIbLb0EES1M_EEDaS1H_S1I_EUlS1H_E_NS1_11comp_targetILNS1_3genE2ELNS1_11target_archE906ELNS1_3gpuE6ELNS1_3repE0EEENS1_30default_config_static_selectorELNS0_4arch9wavefront6targetE1EEEvSV_
                                        ; -- End function
	.set _ZN7rocprim17ROCPRIM_400000_NS6detail17trampoline_kernelINS0_13select_configILj256ELj13ELNS0_17block_load_methodE3ELS4_3ELS4_3ELNS0_20block_scan_algorithmE0ELj4294967295EEENS1_25partition_config_selectorILNS1_17partition_subalgoE3EjNS0_10empty_typeEbEEZZNS1_14partition_implILS8_3ELb0ES6_jNS0_17counting_iteratorIjlEEPS9_SE_NS0_5tupleIJPjSE_EEENSF_IJSE_SE_EEES9_SG_JZNS1_25segmented_radix_sort_implINS0_14default_configELb0EPKlPlSM_SN_N2at6native12_GLOBAL__N_18offset_tEEE10hipError_tPvRmT1_PNSt15iterator_traitsISV_E10value_typeET2_T3_PNSW_IS11_E10value_typeET4_jRbjT5_S17_jjP12ihipStream_tbEUljE_EEESS_ST_SU_S11_S15_S17_T6_T7_T9_mT8_S19_bDpT10_ENKUlT_T0_E_clISt17integral_constantIbLb0EES1M_EEDaS1H_S1I_EUlS1H_E_NS1_11comp_targetILNS1_3genE2ELNS1_11target_archE906ELNS1_3gpuE6ELNS1_3repE0EEENS1_30default_config_static_selectorELNS0_4arch9wavefront6targetE1EEEvSV_.num_vgpr, 69
	.set _ZN7rocprim17ROCPRIM_400000_NS6detail17trampoline_kernelINS0_13select_configILj256ELj13ELNS0_17block_load_methodE3ELS4_3ELS4_3ELNS0_20block_scan_algorithmE0ELj4294967295EEENS1_25partition_config_selectorILNS1_17partition_subalgoE3EjNS0_10empty_typeEbEEZZNS1_14partition_implILS8_3ELb0ES6_jNS0_17counting_iteratorIjlEEPS9_SE_NS0_5tupleIJPjSE_EEENSF_IJSE_SE_EEES9_SG_JZNS1_25segmented_radix_sort_implINS0_14default_configELb0EPKlPlSM_SN_N2at6native12_GLOBAL__N_18offset_tEEE10hipError_tPvRmT1_PNSt15iterator_traitsISV_E10value_typeET2_T3_PNSW_IS11_E10value_typeET4_jRbjT5_S17_jjP12ihipStream_tbEUljE_EEESS_ST_SU_S11_S15_S17_T6_T7_T9_mT8_S19_bDpT10_ENKUlT_T0_E_clISt17integral_constantIbLb0EES1M_EEDaS1H_S1I_EUlS1H_E_NS1_11comp_targetILNS1_3genE2ELNS1_11target_archE906ELNS1_3gpuE6ELNS1_3repE0EEENS1_30default_config_static_selectorELNS0_4arch9wavefront6targetE1EEEvSV_.num_agpr, 0
	.set _ZN7rocprim17ROCPRIM_400000_NS6detail17trampoline_kernelINS0_13select_configILj256ELj13ELNS0_17block_load_methodE3ELS4_3ELS4_3ELNS0_20block_scan_algorithmE0ELj4294967295EEENS1_25partition_config_selectorILNS1_17partition_subalgoE3EjNS0_10empty_typeEbEEZZNS1_14partition_implILS8_3ELb0ES6_jNS0_17counting_iteratorIjlEEPS9_SE_NS0_5tupleIJPjSE_EEENSF_IJSE_SE_EEES9_SG_JZNS1_25segmented_radix_sort_implINS0_14default_configELb0EPKlPlSM_SN_N2at6native12_GLOBAL__N_18offset_tEEE10hipError_tPvRmT1_PNSt15iterator_traitsISV_E10value_typeET2_T3_PNSW_IS11_E10value_typeET4_jRbjT5_S17_jjP12ihipStream_tbEUljE_EEESS_ST_SU_S11_S15_S17_T6_T7_T9_mT8_S19_bDpT10_ENKUlT_T0_E_clISt17integral_constantIbLb0EES1M_EEDaS1H_S1I_EUlS1H_E_NS1_11comp_targetILNS1_3genE2ELNS1_11target_archE906ELNS1_3gpuE6ELNS1_3repE0EEENS1_30default_config_static_selectorELNS0_4arch9wavefront6targetE1EEEvSV_.numbered_sgpr, 48
	.set _ZN7rocprim17ROCPRIM_400000_NS6detail17trampoline_kernelINS0_13select_configILj256ELj13ELNS0_17block_load_methodE3ELS4_3ELS4_3ELNS0_20block_scan_algorithmE0ELj4294967295EEENS1_25partition_config_selectorILNS1_17partition_subalgoE3EjNS0_10empty_typeEbEEZZNS1_14partition_implILS8_3ELb0ES6_jNS0_17counting_iteratorIjlEEPS9_SE_NS0_5tupleIJPjSE_EEENSF_IJSE_SE_EEES9_SG_JZNS1_25segmented_radix_sort_implINS0_14default_configELb0EPKlPlSM_SN_N2at6native12_GLOBAL__N_18offset_tEEE10hipError_tPvRmT1_PNSt15iterator_traitsISV_E10value_typeET2_T3_PNSW_IS11_E10value_typeET4_jRbjT5_S17_jjP12ihipStream_tbEUljE_EEESS_ST_SU_S11_S15_S17_T6_T7_T9_mT8_S19_bDpT10_ENKUlT_T0_E_clISt17integral_constantIbLb0EES1M_EEDaS1H_S1I_EUlS1H_E_NS1_11comp_targetILNS1_3genE2ELNS1_11target_archE906ELNS1_3gpuE6ELNS1_3repE0EEENS1_30default_config_static_selectorELNS0_4arch9wavefront6targetE1EEEvSV_.num_named_barrier, 0
	.set _ZN7rocprim17ROCPRIM_400000_NS6detail17trampoline_kernelINS0_13select_configILj256ELj13ELNS0_17block_load_methodE3ELS4_3ELS4_3ELNS0_20block_scan_algorithmE0ELj4294967295EEENS1_25partition_config_selectorILNS1_17partition_subalgoE3EjNS0_10empty_typeEbEEZZNS1_14partition_implILS8_3ELb0ES6_jNS0_17counting_iteratorIjlEEPS9_SE_NS0_5tupleIJPjSE_EEENSF_IJSE_SE_EEES9_SG_JZNS1_25segmented_radix_sort_implINS0_14default_configELb0EPKlPlSM_SN_N2at6native12_GLOBAL__N_18offset_tEEE10hipError_tPvRmT1_PNSt15iterator_traitsISV_E10value_typeET2_T3_PNSW_IS11_E10value_typeET4_jRbjT5_S17_jjP12ihipStream_tbEUljE_EEESS_ST_SU_S11_S15_S17_T6_T7_T9_mT8_S19_bDpT10_ENKUlT_T0_E_clISt17integral_constantIbLb0EES1M_EEDaS1H_S1I_EUlS1H_E_NS1_11comp_targetILNS1_3genE2ELNS1_11target_archE906ELNS1_3gpuE6ELNS1_3repE0EEENS1_30default_config_static_selectorELNS0_4arch9wavefront6targetE1EEEvSV_.private_seg_size, 0
	.set _ZN7rocprim17ROCPRIM_400000_NS6detail17trampoline_kernelINS0_13select_configILj256ELj13ELNS0_17block_load_methodE3ELS4_3ELS4_3ELNS0_20block_scan_algorithmE0ELj4294967295EEENS1_25partition_config_selectorILNS1_17partition_subalgoE3EjNS0_10empty_typeEbEEZZNS1_14partition_implILS8_3ELb0ES6_jNS0_17counting_iteratorIjlEEPS9_SE_NS0_5tupleIJPjSE_EEENSF_IJSE_SE_EEES9_SG_JZNS1_25segmented_radix_sort_implINS0_14default_configELb0EPKlPlSM_SN_N2at6native12_GLOBAL__N_18offset_tEEE10hipError_tPvRmT1_PNSt15iterator_traitsISV_E10value_typeET2_T3_PNSW_IS11_E10value_typeET4_jRbjT5_S17_jjP12ihipStream_tbEUljE_EEESS_ST_SU_S11_S15_S17_T6_T7_T9_mT8_S19_bDpT10_ENKUlT_T0_E_clISt17integral_constantIbLb0EES1M_EEDaS1H_S1I_EUlS1H_E_NS1_11comp_targetILNS1_3genE2ELNS1_11target_archE906ELNS1_3gpuE6ELNS1_3repE0EEENS1_30default_config_static_selectorELNS0_4arch9wavefront6targetE1EEEvSV_.uses_vcc, 1
	.set _ZN7rocprim17ROCPRIM_400000_NS6detail17trampoline_kernelINS0_13select_configILj256ELj13ELNS0_17block_load_methodE3ELS4_3ELS4_3ELNS0_20block_scan_algorithmE0ELj4294967295EEENS1_25partition_config_selectorILNS1_17partition_subalgoE3EjNS0_10empty_typeEbEEZZNS1_14partition_implILS8_3ELb0ES6_jNS0_17counting_iteratorIjlEEPS9_SE_NS0_5tupleIJPjSE_EEENSF_IJSE_SE_EEES9_SG_JZNS1_25segmented_radix_sort_implINS0_14default_configELb0EPKlPlSM_SN_N2at6native12_GLOBAL__N_18offset_tEEE10hipError_tPvRmT1_PNSt15iterator_traitsISV_E10value_typeET2_T3_PNSW_IS11_E10value_typeET4_jRbjT5_S17_jjP12ihipStream_tbEUljE_EEESS_ST_SU_S11_S15_S17_T6_T7_T9_mT8_S19_bDpT10_ENKUlT_T0_E_clISt17integral_constantIbLb0EES1M_EEDaS1H_S1I_EUlS1H_E_NS1_11comp_targetILNS1_3genE2ELNS1_11target_archE906ELNS1_3gpuE6ELNS1_3repE0EEENS1_30default_config_static_selectorELNS0_4arch9wavefront6targetE1EEEvSV_.uses_flat_scratch, 0
	.set _ZN7rocprim17ROCPRIM_400000_NS6detail17trampoline_kernelINS0_13select_configILj256ELj13ELNS0_17block_load_methodE3ELS4_3ELS4_3ELNS0_20block_scan_algorithmE0ELj4294967295EEENS1_25partition_config_selectorILNS1_17partition_subalgoE3EjNS0_10empty_typeEbEEZZNS1_14partition_implILS8_3ELb0ES6_jNS0_17counting_iteratorIjlEEPS9_SE_NS0_5tupleIJPjSE_EEENSF_IJSE_SE_EEES9_SG_JZNS1_25segmented_radix_sort_implINS0_14default_configELb0EPKlPlSM_SN_N2at6native12_GLOBAL__N_18offset_tEEE10hipError_tPvRmT1_PNSt15iterator_traitsISV_E10value_typeET2_T3_PNSW_IS11_E10value_typeET4_jRbjT5_S17_jjP12ihipStream_tbEUljE_EEESS_ST_SU_S11_S15_S17_T6_T7_T9_mT8_S19_bDpT10_ENKUlT_T0_E_clISt17integral_constantIbLb0EES1M_EEDaS1H_S1I_EUlS1H_E_NS1_11comp_targetILNS1_3genE2ELNS1_11target_archE906ELNS1_3gpuE6ELNS1_3repE0EEENS1_30default_config_static_selectorELNS0_4arch9wavefront6targetE1EEEvSV_.has_dyn_sized_stack, 0
	.set _ZN7rocprim17ROCPRIM_400000_NS6detail17trampoline_kernelINS0_13select_configILj256ELj13ELNS0_17block_load_methodE3ELS4_3ELS4_3ELNS0_20block_scan_algorithmE0ELj4294967295EEENS1_25partition_config_selectorILNS1_17partition_subalgoE3EjNS0_10empty_typeEbEEZZNS1_14partition_implILS8_3ELb0ES6_jNS0_17counting_iteratorIjlEEPS9_SE_NS0_5tupleIJPjSE_EEENSF_IJSE_SE_EEES9_SG_JZNS1_25segmented_radix_sort_implINS0_14default_configELb0EPKlPlSM_SN_N2at6native12_GLOBAL__N_18offset_tEEE10hipError_tPvRmT1_PNSt15iterator_traitsISV_E10value_typeET2_T3_PNSW_IS11_E10value_typeET4_jRbjT5_S17_jjP12ihipStream_tbEUljE_EEESS_ST_SU_S11_S15_S17_T6_T7_T9_mT8_S19_bDpT10_ENKUlT_T0_E_clISt17integral_constantIbLb0EES1M_EEDaS1H_S1I_EUlS1H_E_NS1_11comp_targetILNS1_3genE2ELNS1_11target_archE906ELNS1_3gpuE6ELNS1_3repE0EEENS1_30default_config_static_selectorELNS0_4arch9wavefront6targetE1EEEvSV_.has_recursion, 0
	.set _ZN7rocprim17ROCPRIM_400000_NS6detail17trampoline_kernelINS0_13select_configILj256ELj13ELNS0_17block_load_methodE3ELS4_3ELS4_3ELNS0_20block_scan_algorithmE0ELj4294967295EEENS1_25partition_config_selectorILNS1_17partition_subalgoE3EjNS0_10empty_typeEbEEZZNS1_14partition_implILS8_3ELb0ES6_jNS0_17counting_iteratorIjlEEPS9_SE_NS0_5tupleIJPjSE_EEENSF_IJSE_SE_EEES9_SG_JZNS1_25segmented_radix_sort_implINS0_14default_configELb0EPKlPlSM_SN_N2at6native12_GLOBAL__N_18offset_tEEE10hipError_tPvRmT1_PNSt15iterator_traitsISV_E10value_typeET2_T3_PNSW_IS11_E10value_typeET4_jRbjT5_S17_jjP12ihipStream_tbEUljE_EEESS_ST_SU_S11_S15_S17_T6_T7_T9_mT8_S19_bDpT10_ENKUlT_T0_E_clISt17integral_constantIbLb0EES1M_EEDaS1H_S1I_EUlS1H_E_NS1_11comp_targetILNS1_3genE2ELNS1_11target_archE906ELNS1_3gpuE6ELNS1_3repE0EEENS1_30default_config_static_selectorELNS0_4arch9wavefront6targetE1EEEvSV_.has_indirect_call, 0
	.section	.AMDGPU.csdata,"",@progbits
; Kernel info:
; codeLenInByte = 7612
; TotalNumSgprs: 52
; NumVgprs: 69
; ScratchSize: 0
; MemoryBound: 0
; FloatMode: 240
; IeeeMode: 1
; LDSByteSize: 13320 bytes/workgroup (compile time only)
; SGPRBlocks: 12
; VGPRBlocks: 17
; NumSGPRsForWavesPerEU: 102
; NumVGPRsForWavesPerEU: 69
; Occupancy: 3
; WaveLimiterHint : 0
; COMPUTE_PGM_RSRC2:SCRATCH_EN: 0
; COMPUTE_PGM_RSRC2:USER_SGPR: 6
; COMPUTE_PGM_RSRC2:TRAP_HANDLER: 0
; COMPUTE_PGM_RSRC2:TGID_X_EN: 1
; COMPUTE_PGM_RSRC2:TGID_Y_EN: 0
; COMPUTE_PGM_RSRC2:TGID_Z_EN: 0
; COMPUTE_PGM_RSRC2:TIDIG_COMP_CNT: 0
	.section	.text._ZN7rocprim17ROCPRIM_400000_NS6detail17trampoline_kernelINS0_13select_configILj256ELj13ELNS0_17block_load_methodE3ELS4_3ELS4_3ELNS0_20block_scan_algorithmE0ELj4294967295EEENS1_25partition_config_selectorILNS1_17partition_subalgoE3EjNS0_10empty_typeEbEEZZNS1_14partition_implILS8_3ELb0ES6_jNS0_17counting_iteratorIjlEEPS9_SE_NS0_5tupleIJPjSE_EEENSF_IJSE_SE_EEES9_SG_JZNS1_25segmented_radix_sort_implINS0_14default_configELb0EPKlPlSM_SN_N2at6native12_GLOBAL__N_18offset_tEEE10hipError_tPvRmT1_PNSt15iterator_traitsISV_E10value_typeET2_T3_PNSW_IS11_E10value_typeET4_jRbjT5_S17_jjP12ihipStream_tbEUljE_EEESS_ST_SU_S11_S15_S17_T6_T7_T9_mT8_S19_bDpT10_ENKUlT_T0_E_clISt17integral_constantIbLb0EES1M_EEDaS1H_S1I_EUlS1H_E_NS1_11comp_targetILNS1_3genE10ELNS1_11target_archE1200ELNS1_3gpuE4ELNS1_3repE0EEENS1_30default_config_static_selectorELNS0_4arch9wavefront6targetE1EEEvSV_,"axG",@progbits,_ZN7rocprim17ROCPRIM_400000_NS6detail17trampoline_kernelINS0_13select_configILj256ELj13ELNS0_17block_load_methodE3ELS4_3ELS4_3ELNS0_20block_scan_algorithmE0ELj4294967295EEENS1_25partition_config_selectorILNS1_17partition_subalgoE3EjNS0_10empty_typeEbEEZZNS1_14partition_implILS8_3ELb0ES6_jNS0_17counting_iteratorIjlEEPS9_SE_NS0_5tupleIJPjSE_EEENSF_IJSE_SE_EEES9_SG_JZNS1_25segmented_radix_sort_implINS0_14default_configELb0EPKlPlSM_SN_N2at6native12_GLOBAL__N_18offset_tEEE10hipError_tPvRmT1_PNSt15iterator_traitsISV_E10value_typeET2_T3_PNSW_IS11_E10value_typeET4_jRbjT5_S17_jjP12ihipStream_tbEUljE_EEESS_ST_SU_S11_S15_S17_T6_T7_T9_mT8_S19_bDpT10_ENKUlT_T0_E_clISt17integral_constantIbLb0EES1M_EEDaS1H_S1I_EUlS1H_E_NS1_11comp_targetILNS1_3genE10ELNS1_11target_archE1200ELNS1_3gpuE4ELNS1_3repE0EEENS1_30default_config_static_selectorELNS0_4arch9wavefront6targetE1EEEvSV_,comdat
	.globl	_ZN7rocprim17ROCPRIM_400000_NS6detail17trampoline_kernelINS0_13select_configILj256ELj13ELNS0_17block_load_methodE3ELS4_3ELS4_3ELNS0_20block_scan_algorithmE0ELj4294967295EEENS1_25partition_config_selectorILNS1_17partition_subalgoE3EjNS0_10empty_typeEbEEZZNS1_14partition_implILS8_3ELb0ES6_jNS0_17counting_iteratorIjlEEPS9_SE_NS0_5tupleIJPjSE_EEENSF_IJSE_SE_EEES9_SG_JZNS1_25segmented_radix_sort_implINS0_14default_configELb0EPKlPlSM_SN_N2at6native12_GLOBAL__N_18offset_tEEE10hipError_tPvRmT1_PNSt15iterator_traitsISV_E10value_typeET2_T3_PNSW_IS11_E10value_typeET4_jRbjT5_S17_jjP12ihipStream_tbEUljE_EEESS_ST_SU_S11_S15_S17_T6_T7_T9_mT8_S19_bDpT10_ENKUlT_T0_E_clISt17integral_constantIbLb0EES1M_EEDaS1H_S1I_EUlS1H_E_NS1_11comp_targetILNS1_3genE10ELNS1_11target_archE1200ELNS1_3gpuE4ELNS1_3repE0EEENS1_30default_config_static_selectorELNS0_4arch9wavefront6targetE1EEEvSV_ ; -- Begin function _ZN7rocprim17ROCPRIM_400000_NS6detail17trampoline_kernelINS0_13select_configILj256ELj13ELNS0_17block_load_methodE3ELS4_3ELS4_3ELNS0_20block_scan_algorithmE0ELj4294967295EEENS1_25partition_config_selectorILNS1_17partition_subalgoE3EjNS0_10empty_typeEbEEZZNS1_14partition_implILS8_3ELb0ES6_jNS0_17counting_iteratorIjlEEPS9_SE_NS0_5tupleIJPjSE_EEENSF_IJSE_SE_EEES9_SG_JZNS1_25segmented_radix_sort_implINS0_14default_configELb0EPKlPlSM_SN_N2at6native12_GLOBAL__N_18offset_tEEE10hipError_tPvRmT1_PNSt15iterator_traitsISV_E10value_typeET2_T3_PNSW_IS11_E10value_typeET4_jRbjT5_S17_jjP12ihipStream_tbEUljE_EEESS_ST_SU_S11_S15_S17_T6_T7_T9_mT8_S19_bDpT10_ENKUlT_T0_E_clISt17integral_constantIbLb0EES1M_EEDaS1H_S1I_EUlS1H_E_NS1_11comp_targetILNS1_3genE10ELNS1_11target_archE1200ELNS1_3gpuE4ELNS1_3repE0EEENS1_30default_config_static_selectorELNS0_4arch9wavefront6targetE1EEEvSV_
	.p2align	8
	.type	_ZN7rocprim17ROCPRIM_400000_NS6detail17trampoline_kernelINS0_13select_configILj256ELj13ELNS0_17block_load_methodE3ELS4_3ELS4_3ELNS0_20block_scan_algorithmE0ELj4294967295EEENS1_25partition_config_selectorILNS1_17partition_subalgoE3EjNS0_10empty_typeEbEEZZNS1_14partition_implILS8_3ELb0ES6_jNS0_17counting_iteratorIjlEEPS9_SE_NS0_5tupleIJPjSE_EEENSF_IJSE_SE_EEES9_SG_JZNS1_25segmented_radix_sort_implINS0_14default_configELb0EPKlPlSM_SN_N2at6native12_GLOBAL__N_18offset_tEEE10hipError_tPvRmT1_PNSt15iterator_traitsISV_E10value_typeET2_T3_PNSW_IS11_E10value_typeET4_jRbjT5_S17_jjP12ihipStream_tbEUljE_EEESS_ST_SU_S11_S15_S17_T6_T7_T9_mT8_S19_bDpT10_ENKUlT_T0_E_clISt17integral_constantIbLb0EES1M_EEDaS1H_S1I_EUlS1H_E_NS1_11comp_targetILNS1_3genE10ELNS1_11target_archE1200ELNS1_3gpuE4ELNS1_3repE0EEENS1_30default_config_static_selectorELNS0_4arch9wavefront6targetE1EEEvSV_,@function
_ZN7rocprim17ROCPRIM_400000_NS6detail17trampoline_kernelINS0_13select_configILj256ELj13ELNS0_17block_load_methodE3ELS4_3ELS4_3ELNS0_20block_scan_algorithmE0ELj4294967295EEENS1_25partition_config_selectorILNS1_17partition_subalgoE3EjNS0_10empty_typeEbEEZZNS1_14partition_implILS8_3ELb0ES6_jNS0_17counting_iteratorIjlEEPS9_SE_NS0_5tupleIJPjSE_EEENSF_IJSE_SE_EEES9_SG_JZNS1_25segmented_radix_sort_implINS0_14default_configELb0EPKlPlSM_SN_N2at6native12_GLOBAL__N_18offset_tEEE10hipError_tPvRmT1_PNSt15iterator_traitsISV_E10value_typeET2_T3_PNSW_IS11_E10value_typeET4_jRbjT5_S17_jjP12ihipStream_tbEUljE_EEESS_ST_SU_S11_S15_S17_T6_T7_T9_mT8_S19_bDpT10_ENKUlT_T0_E_clISt17integral_constantIbLb0EES1M_EEDaS1H_S1I_EUlS1H_E_NS1_11comp_targetILNS1_3genE10ELNS1_11target_archE1200ELNS1_3gpuE4ELNS1_3repE0EEENS1_30default_config_static_selectorELNS0_4arch9wavefront6targetE1EEEvSV_: ; @_ZN7rocprim17ROCPRIM_400000_NS6detail17trampoline_kernelINS0_13select_configILj256ELj13ELNS0_17block_load_methodE3ELS4_3ELS4_3ELNS0_20block_scan_algorithmE0ELj4294967295EEENS1_25partition_config_selectorILNS1_17partition_subalgoE3EjNS0_10empty_typeEbEEZZNS1_14partition_implILS8_3ELb0ES6_jNS0_17counting_iteratorIjlEEPS9_SE_NS0_5tupleIJPjSE_EEENSF_IJSE_SE_EEES9_SG_JZNS1_25segmented_radix_sort_implINS0_14default_configELb0EPKlPlSM_SN_N2at6native12_GLOBAL__N_18offset_tEEE10hipError_tPvRmT1_PNSt15iterator_traitsISV_E10value_typeET2_T3_PNSW_IS11_E10value_typeET4_jRbjT5_S17_jjP12ihipStream_tbEUljE_EEESS_ST_SU_S11_S15_S17_T6_T7_T9_mT8_S19_bDpT10_ENKUlT_T0_E_clISt17integral_constantIbLb0EES1M_EEDaS1H_S1I_EUlS1H_E_NS1_11comp_targetILNS1_3genE10ELNS1_11target_archE1200ELNS1_3gpuE4ELNS1_3repE0EEENS1_30default_config_static_selectorELNS0_4arch9wavefront6targetE1EEEvSV_
; %bb.0:
	.section	.rodata,"a",@progbits
	.p2align	6, 0x0
	.amdhsa_kernel _ZN7rocprim17ROCPRIM_400000_NS6detail17trampoline_kernelINS0_13select_configILj256ELj13ELNS0_17block_load_methodE3ELS4_3ELS4_3ELNS0_20block_scan_algorithmE0ELj4294967295EEENS1_25partition_config_selectorILNS1_17partition_subalgoE3EjNS0_10empty_typeEbEEZZNS1_14partition_implILS8_3ELb0ES6_jNS0_17counting_iteratorIjlEEPS9_SE_NS0_5tupleIJPjSE_EEENSF_IJSE_SE_EEES9_SG_JZNS1_25segmented_radix_sort_implINS0_14default_configELb0EPKlPlSM_SN_N2at6native12_GLOBAL__N_18offset_tEEE10hipError_tPvRmT1_PNSt15iterator_traitsISV_E10value_typeET2_T3_PNSW_IS11_E10value_typeET4_jRbjT5_S17_jjP12ihipStream_tbEUljE_EEESS_ST_SU_S11_S15_S17_T6_T7_T9_mT8_S19_bDpT10_ENKUlT_T0_E_clISt17integral_constantIbLb0EES1M_EEDaS1H_S1I_EUlS1H_E_NS1_11comp_targetILNS1_3genE10ELNS1_11target_archE1200ELNS1_3gpuE4ELNS1_3repE0EEENS1_30default_config_static_selectorELNS0_4arch9wavefront6targetE1EEEvSV_
		.amdhsa_group_segment_fixed_size 0
		.amdhsa_private_segment_fixed_size 0
		.amdhsa_kernarg_size 144
		.amdhsa_user_sgpr_count 6
		.amdhsa_user_sgpr_private_segment_buffer 1
		.amdhsa_user_sgpr_dispatch_ptr 0
		.amdhsa_user_sgpr_queue_ptr 0
		.amdhsa_user_sgpr_kernarg_segment_ptr 1
		.amdhsa_user_sgpr_dispatch_id 0
		.amdhsa_user_sgpr_flat_scratch_init 0
		.amdhsa_user_sgpr_private_segment_size 0
		.amdhsa_uses_dynamic_stack 0
		.amdhsa_system_sgpr_private_segment_wavefront_offset 0
		.amdhsa_system_sgpr_workgroup_id_x 1
		.amdhsa_system_sgpr_workgroup_id_y 0
		.amdhsa_system_sgpr_workgroup_id_z 0
		.amdhsa_system_sgpr_workgroup_info 0
		.amdhsa_system_vgpr_workitem_id 0
		.amdhsa_next_free_vgpr 1
		.amdhsa_next_free_sgpr 0
		.amdhsa_reserve_vcc 0
		.amdhsa_reserve_flat_scratch 0
		.amdhsa_float_round_mode_32 0
		.amdhsa_float_round_mode_16_64 0
		.amdhsa_float_denorm_mode_32 3
		.amdhsa_float_denorm_mode_16_64 3
		.amdhsa_dx10_clamp 1
		.amdhsa_ieee_mode 1
		.amdhsa_fp16_overflow 0
		.amdhsa_exception_fp_ieee_invalid_op 0
		.amdhsa_exception_fp_denorm_src 0
		.amdhsa_exception_fp_ieee_div_zero 0
		.amdhsa_exception_fp_ieee_overflow 0
		.amdhsa_exception_fp_ieee_underflow 0
		.amdhsa_exception_fp_ieee_inexact 0
		.amdhsa_exception_int_div_zero 0
	.end_amdhsa_kernel
	.section	.text._ZN7rocprim17ROCPRIM_400000_NS6detail17trampoline_kernelINS0_13select_configILj256ELj13ELNS0_17block_load_methodE3ELS4_3ELS4_3ELNS0_20block_scan_algorithmE0ELj4294967295EEENS1_25partition_config_selectorILNS1_17partition_subalgoE3EjNS0_10empty_typeEbEEZZNS1_14partition_implILS8_3ELb0ES6_jNS0_17counting_iteratorIjlEEPS9_SE_NS0_5tupleIJPjSE_EEENSF_IJSE_SE_EEES9_SG_JZNS1_25segmented_radix_sort_implINS0_14default_configELb0EPKlPlSM_SN_N2at6native12_GLOBAL__N_18offset_tEEE10hipError_tPvRmT1_PNSt15iterator_traitsISV_E10value_typeET2_T3_PNSW_IS11_E10value_typeET4_jRbjT5_S17_jjP12ihipStream_tbEUljE_EEESS_ST_SU_S11_S15_S17_T6_T7_T9_mT8_S19_bDpT10_ENKUlT_T0_E_clISt17integral_constantIbLb0EES1M_EEDaS1H_S1I_EUlS1H_E_NS1_11comp_targetILNS1_3genE10ELNS1_11target_archE1200ELNS1_3gpuE4ELNS1_3repE0EEENS1_30default_config_static_selectorELNS0_4arch9wavefront6targetE1EEEvSV_,"axG",@progbits,_ZN7rocprim17ROCPRIM_400000_NS6detail17trampoline_kernelINS0_13select_configILj256ELj13ELNS0_17block_load_methodE3ELS4_3ELS4_3ELNS0_20block_scan_algorithmE0ELj4294967295EEENS1_25partition_config_selectorILNS1_17partition_subalgoE3EjNS0_10empty_typeEbEEZZNS1_14partition_implILS8_3ELb0ES6_jNS0_17counting_iteratorIjlEEPS9_SE_NS0_5tupleIJPjSE_EEENSF_IJSE_SE_EEES9_SG_JZNS1_25segmented_radix_sort_implINS0_14default_configELb0EPKlPlSM_SN_N2at6native12_GLOBAL__N_18offset_tEEE10hipError_tPvRmT1_PNSt15iterator_traitsISV_E10value_typeET2_T3_PNSW_IS11_E10value_typeET4_jRbjT5_S17_jjP12ihipStream_tbEUljE_EEESS_ST_SU_S11_S15_S17_T6_T7_T9_mT8_S19_bDpT10_ENKUlT_T0_E_clISt17integral_constantIbLb0EES1M_EEDaS1H_S1I_EUlS1H_E_NS1_11comp_targetILNS1_3genE10ELNS1_11target_archE1200ELNS1_3gpuE4ELNS1_3repE0EEENS1_30default_config_static_selectorELNS0_4arch9wavefront6targetE1EEEvSV_,comdat
.Lfunc_end780:
	.size	_ZN7rocprim17ROCPRIM_400000_NS6detail17trampoline_kernelINS0_13select_configILj256ELj13ELNS0_17block_load_methodE3ELS4_3ELS4_3ELNS0_20block_scan_algorithmE0ELj4294967295EEENS1_25partition_config_selectorILNS1_17partition_subalgoE3EjNS0_10empty_typeEbEEZZNS1_14partition_implILS8_3ELb0ES6_jNS0_17counting_iteratorIjlEEPS9_SE_NS0_5tupleIJPjSE_EEENSF_IJSE_SE_EEES9_SG_JZNS1_25segmented_radix_sort_implINS0_14default_configELb0EPKlPlSM_SN_N2at6native12_GLOBAL__N_18offset_tEEE10hipError_tPvRmT1_PNSt15iterator_traitsISV_E10value_typeET2_T3_PNSW_IS11_E10value_typeET4_jRbjT5_S17_jjP12ihipStream_tbEUljE_EEESS_ST_SU_S11_S15_S17_T6_T7_T9_mT8_S19_bDpT10_ENKUlT_T0_E_clISt17integral_constantIbLb0EES1M_EEDaS1H_S1I_EUlS1H_E_NS1_11comp_targetILNS1_3genE10ELNS1_11target_archE1200ELNS1_3gpuE4ELNS1_3repE0EEENS1_30default_config_static_selectorELNS0_4arch9wavefront6targetE1EEEvSV_, .Lfunc_end780-_ZN7rocprim17ROCPRIM_400000_NS6detail17trampoline_kernelINS0_13select_configILj256ELj13ELNS0_17block_load_methodE3ELS4_3ELS4_3ELNS0_20block_scan_algorithmE0ELj4294967295EEENS1_25partition_config_selectorILNS1_17partition_subalgoE3EjNS0_10empty_typeEbEEZZNS1_14partition_implILS8_3ELb0ES6_jNS0_17counting_iteratorIjlEEPS9_SE_NS0_5tupleIJPjSE_EEENSF_IJSE_SE_EEES9_SG_JZNS1_25segmented_radix_sort_implINS0_14default_configELb0EPKlPlSM_SN_N2at6native12_GLOBAL__N_18offset_tEEE10hipError_tPvRmT1_PNSt15iterator_traitsISV_E10value_typeET2_T3_PNSW_IS11_E10value_typeET4_jRbjT5_S17_jjP12ihipStream_tbEUljE_EEESS_ST_SU_S11_S15_S17_T6_T7_T9_mT8_S19_bDpT10_ENKUlT_T0_E_clISt17integral_constantIbLb0EES1M_EEDaS1H_S1I_EUlS1H_E_NS1_11comp_targetILNS1_3genE10ELNS1_11target_archE1200ELNS1_3gpuE4ELNS1_3repE0EEENS1_30default_config_static_selectorELNS0_4arch9wavefront6targetE1EEEvSV_
                                        ; -- End function
	.set _ZN7rocprim17ROCPRIM_400000_NS6detail17trampoline_kernelINS0_13select_configILj256ELj13ELNS0_17block_load_methodE3ELS4_3ELS4_3ELNS0_20block_scan_algorithmE0ELj4294967295EEENS1_25partition_config_selectorILNS1_17partition_subalgoE3EjNS0_10empty_typeEbEEZZNS1_14partition_implILS8_3ELb0ES6_jNS0_17counting_iteratorIjlEEPS9_SE_NS0_5tupleIJPjSE_EEENSF_IJSE_SE_EEES9_SG_JZNS1_25segmented_radix_sort_implINS0_14default_configELb0EPKlPlSM_SN_N2at6native12_GLOBAL__N_18offset_tEEE10hipError_tPvRmT1_PNSt15iterator_traitsISV_E10value_typeET2_T3_PNSW_IS11_E10value_typeET4_jRbjT5_S17_jjP12ihipStream_tbEUljE_EEESS_ST_SU_S11_S15_S17_T6_T7_T9_mT8_S19_bDpT10_ENKUlT_T0_E_clISt17integral_constantIbLb0EES1M_EEDaS1H_S1I_EUlS1H_E_NS1_11comp_targetILNS1_3genE10ELNS1_11target_archE1200ELNS1_3gpuE4ELNS1_3repE0EEENS1_30default_config_static_selectorELNS0_4arch9wavefront6targetE1EEEvSV_.num_vgpr, 0
	.set _ZN7rocprim17ROCPRIM_400000_NS6detail17trampoline_kernelINS0_13select_configILj256ELj13ELNS0_17block_load_methodE3ELS4_3ELS4_3ELNS0_20block_scan_algorithmE0ELj4294967295EEENS1_25partition_config_selectorILNS1_17partition_subalgoE3EjNS0_10empty_typeEbEEZZNS1_14partition_implILS8_3ELb0ES6_jNS0_17counting_iteratorIjlEEPS9_SE_NS0_5tupleIJPjSE_EEENSF_IJSE_SE_EEES9_SG_JZNS1_25segmented_radix_sort_implINS0_14default_configELb0EPKlPlSM_SN_N2at6native12_GLOBAL__N_18offset_tEEE10hipError_tPvRmT1_PNSt15iterator_traitsISV_E10value_typeET2_T3_PNSW_IS11_E10value_typeET4_jRbjT5_S17_jjP12ihipStream_tbEUljE_EEESS_ST_SU_S11_S15_S17_T6_T7_T9_mT8_S19_bDpT10_ENKUlT_T0_E_clISt17integral_constantIbLb0EES1M_EEDaS1H_S1I_EUlS1H_E_NS1_11comp_targetILNS1_3genE10ELNS1_11target_archE1200ELNS1_3gpuE4ELNS1_3repE0EEENS1_30default_config_static_selectorELNS0_4arch9wavefront6targetE1EEEvSV_.num_agpr, 0
	.set _ZN7rocprim17ROCPRIM_400000_NS6detail17trampoline_kernelINS0_13select_configILj256ELj13ELNS0_17block_load_methodE3ELS4_3ELS4_3ELNS0_20block_scan_algorithmE0ELj4294967295EEENS1_25partition_config_selectorILNS1_17partition_subalgoE3EjNS0_10empty_typeEbEEZZNS1_14partition_implILS8_3ELb0ES6_jNS0_17counting_iteratorIjlEEPS9_SE_NS0_5tupleIJPjSE_EEENSF_IJSE_SE_EEES9_SG_JZNS1_25segmented_radix_sort_implINS0_14default_configELb0EPKlPlSM_SN_N2at6native12_GLOBAL__N_18offset_tEEE10hipError_tPvRmT1_PNSt15iterator_traitsISV_E10value_typeET2_T3_PNSW_IS11_E10value_typeET4_jRbjT5_S17_jjP12ihipStream_tbEUljE_EEESS_ST_SU_S11_S15_S17_T6_T7_T9_mT8_S19_bDpT10_ENKUlT_T0_E_clISt17integral_constantIbLb0EES1M_EEDaS1H_S1I_EUlS1H_E_NS1_11comp_targetILNS1_3genE10ELNS1_11target_archE1200ELNS1_3gpuE4ELNS1_3repE0EEENS1_30default_config_static_selectorELNS0_4arch9wavefront6targetE1EEEvSV_.numbered_sgpr, 0
	.set _ZN7rocprim17ROCPRIM_400000_NS6detail17trampoline_kernelINS0_13select_configILj256ELj13ELNS0_17block_load_methodE3ELS4_3ELS4_3ELNS0_20block_scan_algorithmE0ELj4294967295EEENS1_25partition_config_selectorILNS1_17partition_subalgoE3EjNS0_10empty_typeEbEEZZNS1_14partition_implILS8_3ELb0ES6_jNS0_17counting_iteratorIjlEEPS9_SE_NS0_5tupleIJPjSE_EEENSF_IJSE_SE_EEES9_SG_JZNS1_25segmented_radix_sort_implINS0_14default_configELb0EPKlPlSM_SN_N2at6native12_GLOBAL__N_18offset_tEEE10hipError_tPvRmT1_PNSt15iterator_traitsISV_E10value_typeET2_T3_PNSW_IS11_E10value_typeET4_jRbjT5_S17_jjP12ihipStream_tbEUljE_EEESS_ST_SU_S11_S15_S17_T6_T7_T9_mT8_S19_bDpT10_ENKUlT_T0_E_clISt17integral_constantIbLb0EES1M_EEDaS1H_S1I_EUlS1H_E_NS1_11comp_targetILNS1_3genE10ELNS1_11target_archE1200ELNS1_3gpuE4ELNS1_3repE0EEENS1_30default_config_static_selectorELNS0_4arch9wavefront6targetE1EEEvSV_.num_named_barrier, 0
	.set _ZN7rocprim17ROCPRIM_400000_NS6detail17trampoline_kernelINS0_13select_configILj256ELj13ELNS0_17block_load_methodE3ELS4_3ELS4_3ELNS0_20block_scan_algorithmE0ELj4294967295EEENS1_25partition_config_selectorILNS1_17partition_subalgoE3EjNS0_10empty_typeEbEEZZNS1_14partition_implILS8_3ELb0ES6_jNS0_17counting_iteratorIjlEEPS9_SE_NS0_5tupleIJPjSE_EEENSF_IJSE_SE_EEES9_SG_JZNS1_25segmented_radix_sort_implINS0_14default_configELb0EPKlPlSM_SN_N2at6native12_GLOBAL__N_18offset_tEEE10hipError_tPvRmT1_PNSt15iterator_traitsISV_E10value_typeET2_T3_PNSW_IS11_E10value_typeET4_jRbjT5_S17_jjP12ihipStream_tbEUljE_EEESS_ST_SU_S11_S15_S17_T6_T7_T9_mT8_S19_bDpT10_ENKUlT_T0_E_clISt17integral_constantIbLb0EES1M_EEDaS1H_S1I_EUlS1H_E_NS1_11comp_targetILNS1_3genE10ELNS1_11target_archE1200ELNS1_3gpuE4ELNS1_3repE0EEENS1_30default_config_static_selectorELNS0_4arch9wavefront6targetE1EEEvSV_.private_seg_size, 0
	.set _ZN7rocprim17ROCPRIM_400000_NS6detail17trampoline_kernelINS0_13select_configILj256ELj13ELNS0_17block_load_methodE3ELS4_3ELS4_3ELNS0_20block_scan_algorithmE0ELj4294967295EEENS1_25partition_config_selectorILNS1_17partition_subalgoE3EjNS0_10empty_typeEbEEZZNS1_14partition_implILS8_3ELb0ES6_jNS0_17counting_iteratorIjlEEPS9_SE_NS0_5tupleIJPjSE_EEENSF_IJSE_SE_EEES9_SG_JZNS1_25segmented_radix_sort_implINS0_14default_configELb0EPKlPlSM_SN_N2at6native12_GLOBAL__N_18offset_tEEE10hipError_tPvRmT1_PNSt15iterator_traitsISV_E10value_typeET2_T3_PNSW_IS11_E10value_typeET4_jRbjT5_S17_jjP12ihipStream_tbEUljE_EEESS_ST_SU_S11_S15_S17_T6_T7_T9_mT8_S19_bDpT10_ENKUlT_T0_E_clISt17integral_constantIbLb0EES1M_EEDaS1H_S1I_EUlS1H_E_NS1_11comp_targetILNS1_3genE10ELNS1_11target_archE1200ELNS1_3gpuE4ELNS1_3repE0EEENS1_30default_config_static_selectorELNS0_4arch9wavefront6targetE1EEEvSV_.uses_vcc, 0
	.set _ZN7rocprim17ROCPRIM_400000_NS6detail17trampoline_kernelINS0_13select_configILj256ELj13ELNS0_17block_load_methodE3ELS4_3ELS4_3ELNS0_20block_scan_algorithmE0ELj4294967295EEENS1_25partition_config_selectorILNS1_17partition_subalgoE3EjNS0_10empty_typeEbEEZZNS1_14partition_implILS8_3ELb0ES6_jNS0_17counting_iteratorIjlEEPS9_SE_NS0_5tupleIJPjSE_EEENSF_IJSE_SE_EEES9_SG_JZNS1_25segmented_radix_sort_implINS0_14default_configELb0EPKlPlSM_SN_N2at6native12_GLOBAL__N_18offset_tEEE10hipError_tPvRmT1_PNSt15iterator_traitsISV_E10value_typeET2_T3_PNSW_IS11_E10value_typeET4_jRbjT5_S17_jjP12ihipStream_tbEUljE_EEESS_ST_SU_S11_S15_S17_T6_T7_T9_mT8_S19_bDpT10_ENKUlT_T0_E_clISt17integral_constantIbLb0EES1M_EEDaS1H_S1I_EUlS1H_E_NS1_11comp_targetILNS1_3genE10ELNS1_11target_archE1200ELNS1_3gpuE4ELNS1_3repE0EEENS1_30default_config_static_selectorELNS0_4arch9wavefront6targetE1EEEvSV_.uses_flat_scratch, 0
	.set _ZN7rocprim17ROCPRIM_400000_NS6detail17trampoline_kernelINS0_13select_configILj256ELj13ELNS0_17block_load_methodE3ELS4_3ELS4_3ELNS0_20block_scan_algorithmE0ELj4294967295EEENS1_25partition_config_selectorILNS1_17partition_subalgoE3EjNS0_10empty_typeEbEEZZNS1_14partition_implILS8_3ELb0ES6_jNS0_17counting_iteratorIjlEEPS9_SE_NS0_5tupleIJPjSE_EEENSF_IJSE_SE_EEES9_SG_JZNS1_25segmented_radix_sort_implINS0_14default_configELb0EPKlPlSM_SN_N2at6native12_GLOBAL__N_18offset_tEEE10hipError_tPvRmT1_PNSt15iterator_traitsISV_E10value_typeET2_T3_PNSW_IS11_E10value_typeET4_jRbjT5_S17_jjP12ihipStream_tbEUljE_EEESS_ST_SU_S11_S15_S17_T6_T7_T9_mT8_S19_bDpT10_ENKUlT_T0_E_clISt17integral_constantIbLb0EES1M_EEDaS1H_S1I_EUlS1H_E_NS1_11comp_targetILNS1_3genE10ELNS1_11target_archE1200ELNS1_3gpuE4ELNS1_3repE0EEENS1_30default_config_static_selectorELNS0_4arch9wavefront6targetE1EEEvSV_.has_dyn_sized_stack, 0
	.set _ZN7rocprim17ROCPRIM_400000_NS6detail17trampoline_kernelINS0_13select_configILj256ELj13ELNS0_17block_load_methodE3ELS4_3ELS4_3ELNS0_20block_scan_algorithmE0ELj4294967295EEENS1_25partition_config_selectorILNS1_17partition_subalgoE3EjNS0_10empty_typeEbEEZZNS1_14partition_implILS8_3ELb0ES6_jNS0_17counting_iteratorIjlEEPS9_SE_NS0_5tupleIJPjSE_EEENSF_IJSE_SE_EEES9_SG_JZNS1_25segmented_radix_sort_implINS0_14default_configELb0EPKlPlSM_SN_N2at6native12_GLOBAL__N_18offset_tEEE10hipError_tPvRmT1_PNSt15iterator_traitsISV_E10value_typeET2_T3_PNSW_IS11_E10value_typeET4_jRbjT5_S17_jjP12ihipStream_tbEUljE_EEESS_ST_SU_S11_S15_S17_T6_T7_T9_mT8_S19_bDpT10_ENKUlT_T0_E_clISt17integral_constantIbLb0EES1M_EEDaS1H_S1I_EUlS1H_E_NS1_11comp_targetILNS1_3genE10ELNS1_11target_archE1200ELNS1_3gpuE4ELNS1_3repE0EEENS1_30default_config_static_selectorELNS0_4arch9wavefront6targetE1EEEvSV_.has_recursion, 0
	.set _ZN7rocprim17ROCPRIM_400000_NS6detail17trampoline_kernelINS0_13select_configILj256ELj13ELNS0_17block_load_methodE3ELS4_3ELS4_3ELNS0_20block_scan_algorithmE0ELj4294967295EEENS1_25partition_config_selectorILNS1_17partition_subalgoE3EjNS0_10empty_typeEbEEZZNS1_14partition_implILS8_3ELb0ES6_jNS0_17counting_iteratorIjlEEPS9_SE_NS0_5tupleIJPjSE_EEENSF_IJSE_SE_EEES9_SG_JZNS1_25segmented_radix_sort_implINS0_14default_configELb0EPKlPlSM_SN_N2at6native12_GLOBAL__N_18offset_tEEE10hipError_tPvRmT1_PNSt15iterator_traitsISV_E10value_typeET2_T3_PNSW_IS11_E10value_typeET4_jRbjT5_S17_jjP12ihipStream_tbEUljE_EEESS_ST_SU_S11_S15_S17_T6_T7_T9_mT8_S19_bDpT10_ENKUlT_T0_E_clISt17integral_constantIbLb0EES1M_EEDaS1H_S1I_EUlS1H_E_NS1_11comp_targetILNS1_3genE10ELNS1_11target_archE1200ELNS1_3gpuE4ELNS1_3repE0EEENS1_30default_config_static_selectorELNS0_4arch9wavefront6targetE1EEEvSV_.has_indirect_call, 0
	.section	.AMDGPU.csdata,"",@progbits
; Kernel info:
; codeLenInByte = 0
; TotalNumSgprs: 4
; NumVgprs: 0
; ScratchSize: 0
; MemoryBound: 0
; FloatMode: 240
; IeeeMode: 1
; LDSByteSize: 0 bytes/workgroup (compile time only)
; SGPRBlocks: 0
; VGPRBlocks: 0
; NumSGPRsForWavesPerEU: 4
; NumVGPRsForWavesPerEU: 1
; Occupancy: 10
; WaveLimiterHint : 0
; COMPUTE_PGM_RSRC2:SCRATCH_EN: 0
; COMPUTE_PGM_RSRC2:USER_SGPR: 6
; COMPUTE_PGM_RSRC2:TRAP_HANDLER: 0
; COMPUTE_PGM_RSRC2:TGID_X_EN: 1
; COMPUTE_PGM_RSRC2:TGID_Y_EN: 0
; COMPUTE_PGM_RSRC2:TGID_Z_EN: 0
; COMPUTE_PGM_RSRC2:TIDIG_COMP_CNT: 0
	.section	.text._ZN7rocprim17ROCPRIM_400000_NS6detail17trampoline_kernelINS0_13select_configILj256ELj13ELNS0_17block_load_methodE3ELS4_3ELS4_3ELNS0_20block_scan_algorithmE0ELj4294967295EEENS1_25partition_config_selectorILNS1_17partition_subalgoE3EjNS0_10empty_typeEbEEZZNS1_14partition_implILS8_3ELb0ES6_jNS0_17counting_iteratorIjlEEPS9_SE_NS0_5tupleIJPjSE_EEENSF_IJSE_SE_EEES9_SG_JZNS1_25segmented_radix_sort_implINS0_14default_configELb0EPKlPlSM_SN_N2at6native12_GLOBAL__N_18offset_tEEE10hipError_tPvRmT1_PNSt15iterator_traitsISV_E10value_typeET2_T3_PNSW_IS11_E10value_typeET4_jRbjT5_S17_jjP12ihipStream_tbEUljE_EEESS_ST_SU_S11_S15_S17_T6_T7_T9_mT8_S19_bDpT10_ENKUlT_T0_E_clISt17integral_constantIbLb0EES1M_EEDaS1H_S1I_EUlS1H_E_NS1_11comp_targetILNS1_3genE9ELNS1_11target_archE1100ELNS1_3gpuE3ELNS1_3repE0EEENS1_30default_config_static_selectorELNS0_4arch9wavefront6targetE1EEEvSV_,"axG",@progbits,_ZN7rocprim17ROCPRIM_400000_NS6detail17trampoline_kernelINS0_13select_configILj256ELj13ELNS0_17block_load_methodE3ELS4_3ELS4_3ELNS0_20block_scan_algorithmE0ELj4294967295EEENS1_25partition_config_selectorILNS1_17partition_subalgoE3EjNS0_10empty_typeEbEEZZNS1_14partition_implILS8_3ELb0ES6_jNS0_17counting_iteratorIjlEEPS9_SE_NS0_5tupleIJPjSE_EEENSF_IJSE_SE_EEES9_SG_JZNS1_25segmented_radix_sort_implINS0_14default_configELb0EPKlPlSM_SN_N2at6native12_GLOBAL__N_18offset_tEEE10hipError_tPvRmT1_PNSt15iterator_traitsISV_E10value_typeET2_T3_PNSW_IS11_E10value_typeET4_jRbjT5_S17_jjP12ihipStream_tbEUljE_EEESS_ST_SU_S11_S15_S17_T6_T7_T9_mT8_S19_bDpT10_ENKUlT_T0_E_clISt17integral_constantIbLb0EES1M_EEDaS1H_S1I_EUlS1H_E_NS1_11comp_targetILNS1_3genE9ELNS1_11target_archE1100ELNS1_3gpuE3ELNS1_3repE0EEENS1_30default_config_static_selectorELNS0_4arch9wavefront6targetE1EEEvSV_,comdat
	.globl	_ZN7rocprim17ROCPRIM_400000_NS6detail17trampoline_kernelINS0_13select_configILj256ELj13ELNS0_17block_load_methodE3ELS4_3ELS4_3ELNS0_20block_scan_algorithmE0ELj4294967295EEENS1_25partition_config_selectorILNS1_17partition_subalgoE3EjNS0_10empty_typeEbEEZZNS1_14partition_implILS8_3ELb0ES6_jNS0_17counting_iteratorIjlEEPS9_SE_NS0_5tupleIJPjSE_EEENSF_IJSE_SE_EEES9_SG_JZNS1_25segmented_radix_sort_implINS0_14default_configELb0EPKlPlSM_SN_N2at6native12_GLOBAL__N_18offset_tEEE10hipError_tPvRmT1_PNSt15iterator_traitsISV_E10value_typeET2_T3_PNSW_IS11_E10value_typeET4_jRbjT5_S17_jjP12ihipStream_tbEUljE_EEESS_ST_SU_S11_S15_S17_T6_T7_T9_mT8_S19_bDpT10_ENKUlT_T0_E_clISt17integral_constantIbLb0EES1M_EEDaS1H_S1I_EUlS1H_E_NS1_11comp_targetILNS1_3genE9ELNS1_11target_archE1100ELNS1_3gpuE3ELNS1_3repE0EEENS1_30default_config_static_selectorELNS0_4arch9wavefront6targetE1EEEvSV_ ; -- Begin function _ZN7rocprim17ROCPRIM_400000_NS6detail17trampoline_kernelINS0_13select_configILj256ELj13ELNS0_17block_load_methodE3ELS4_3ELS4_3ELNS0_20block_scan_algorithmE0ELj4294967295EEENS1_25partition_config_selectorILNS1_17partition_subalgoE3EjNS0_10empty_typeEbEEZZNS1_14partition_implILS8_3ELb0ES6_jNS0_17counting_iteratorIjlEEPS9_SE_NS0_5tupleIJPjSE_EEENSF_IJSE_SE_EEES9_SG_JZNS1_25segmented_radix_sort_implINS0_14default_configELb0EPKlPlSM_SN_N2at6native12_GLOBAL__N_18offset_tEEE10hipError_tPvRmT1_PNSt15iterator_traitsISV_E10value_typeET2_T3_PNSW_IS11_E10value_typeET4_jRbjT5_S17_jjP12ihipStream_tbEUljE_EEESS_ST_SU_S11_S15_S17_T6_T7_T9_mT8_S19_bDpT10_ENKUlT_T0_E_clISt17integral_constantIbLb0EES1M_EEDaS1H_S1I_EUlS1H_E_NS1_11comp_targetILNS1_3genE9ELNS1_11target_archE1100ELNS1_3gpuE3ELNS1_3repE0EEENS1_30default_config_static_selectorELNS0_4arch9wavefront6targetE1EEEvSV_
	.p2align	8
	.type	_ZN7rocprim17ROCPRIM_400000_NS6detail17trampoline_kernelINS0_13select_configILj256ELj13ELNS0_17block_load_methodE3ELS4_3ELS4_3ELNS0_20block_scan_algorithmE0ELj4294967295EEENS1_25partition_config_selectorILNS1_17partition_subalgoE3EjNS0_10empty_typeEbEEZZNS1_14partition_implILS8_3ELb0ES6_jNS0_17counting_iteratorIjlEEPS9_SE_NS0_5tupleIJPjSE_EEENSF_IJSE_SE_EEES9_SG_JZNS1_25segmented_radix_sort_implINS0_14default_configELb0EPKlPlSM_SN_N2at6native12_GLOBAL__N_18offset_tEEE10hipError_tPvRmT1_PNSt15iterator_traitsISV_E10value_typeET2_T3_PNSW_IS11_E10value_typeET4_jRbjT5_S17_jjP12ihipStream_tbEUljE_EEESS_ST_SU_S11_S15_S17_T6_T7_T9_mT8_S19_bDpT10_ENKUlT_T0_E_clISt17integral_constantIbLb0EES1M_EEDaS1H_S1I_EUlS1H_E_NS1_11comp_targetILNS1_3genE9ELNS1_11target_archE1100ELNS1_3gpuE3ELNS1_3repE0EEENS1_30default_config_static_selectorELNS0_4arch9wavefront6targetE1EEEvSV_,@function
_ZN7rocprim17ROCPRIM_400000_NS6detail17trampoline_kernelINS0_13select_configILj256ELj13ELNS0_17block_load_methodE3ELS4_3ELS4_3ELNS0_20block_scan_algorithmE0ELj4294967295EEENS1_25partition_config_selectorILNS1_17partition_subalgoE3EjNS0_10empty_typeEbEEZZNS1_14partition_implILS8_3ELb0ES6_jNS0_17counting_iteratorIjlEEPS9_SE_NS0_5tupleIJPjSE_EEENSF_IJSE_SE_EEES9_SG_JZNS1_25segmented_radix_sort_implINS0_14default_configELb0EPKlPlSM_SN_N2at6native12_GLOBAL__N_18offset_tEEE10hipError_tPvRmT1_PNSt15iterator_traitsISV_E10value_typeET2_T3_PNSW_IS11_E10value_typeET4_jRbjT5_S17_jjP12ihipStream_tbEUljE_EEESS_ST_SU_S11_S15_S17_T6_T7_T9_mT8_S19_bDpT10_ENKUlT_T0_E_clISt17integral_constantIbLb0EES1M_EEDaS1H_S1I_EUlS1H_E_NS1_11comp_targetILNS1_3genE9ELNS1_11target_archE1100ELNS1_3gpuE3ELNS1_3repE0EEENS1_30default_config_static_selectorELNS0_4arch9wavefront6targetE1EEEvSV_: ; @_ZN7rocprim17ROCPRIM_400000_NS6detail17trampoline_kernelINS0_13select_configILj256ELj13ELNS0_17block_load_methodE3ELS4_3ELS4_3ELNS0_20block_scan_algorithmE0ELj4294967295EEENS1_25partition_config_selectorILNS1_17partition_subalgoE3EjNS0_10empty_typeEbEEZZNS1_14partition_implILS8_3ELb0ES6_jNS0_17counting_iteratorIjlEEPS9_SE_NS0_5tupleIJPjSE_EEENSF_IJSE_SE_EEES9_SG_JZNS1_25segmented_radix_sort_implINS0_14default_configELb0EPKlPlSM_SN_N2at6native12_GLOBAL__N_18offset_tEEE10hipError_tPvRmT1_PNSt15iterator_traitsISV_E10value_typeET2_T3_PNSW_IS11_E10value_typeET4_jRbjT5_S17_jjP12ihipStream_tbEUljE_EEESS_ST_SU_S11_S15_S17_T6_T7_T9_mT8_S19_bDpT10_ENKUlT_T0_E_clISt17integral_constantIbLb0EES1M_EEDaS1H_S1I_EUlS1H_E_NS1_11comp_targetILNS1_3genE9ELNS1_11target_archE1100ELNS1_3gpuE3ELNS1_3repE0EEENS1_30default_config_static_selectorELNS0_4arch9wavefront6targetE1EEEvSV_
; %bb.0:
	.section	.rodata,"a",@progbits
	.p2align	6, 0x0
	.amdhsa_kernel _ZN7rocprim17ROCPRIM_400000_NS6detail17trampoline_kernelINS0_13select_configILj256ELj13ELNS0_17block_load_methodE3ELS4_3ELS4_3ELNS0_20block_scan_algorithmE0ELj4294967295EEENS1_25partition_config_selectorILNS1_17partition_subalgoE3EjNS0_10empty_typeEbEEZZNS1_14partition_implILS8_3ELb0ES6_jNS0_17counting_iteratorIjlEEPS9_SE_NS0_5tupleIJPjSE_EEENSF_IJSE_SE_EEES9_SG_JZNS1_25segmented_radix_sort_implINS0_14default_configELb0EPKlPlSM_SN_N2at6native12_GLOBAL__N_18offset_tEEE10hipError_tPvRmT1_PNSt15iterator_traitsISV_E10value_typeET2_T3_PNSW_IS11_E10value_typeET4_jRbjT5_S17_jjP12ihipStream_tbEUljE_EEESS_ST_SU_S11_S15_S17_T6_T7_T9_mT8_S19_bDpT10_ENKUlT_T0_E_clISt17integral_constantIbLb0EES1M_EEDaS1H_S1I_EUlS1H_E_NS1_11comp_targetILNS1_3genE9ELNS1_11target_archE1100ELNS1_3gpuE3ELNS1_3repE0EEENS1_30default_config_static_selectorELNS0_4arch9wavefront6targetE1EEEvSV_
		.amdhsa_group_segment_fixed_size 0
		.amdhsa_private_segment_fixed_size 0
		.amdhsa_kernarg_size 144
		.amdhsa_user_sgpr_count 6
		.amdhsa_user_sgpr_private_segment_buffer 1
		.amdhsa_user_sgpr_dispatch_ptr 0
		.amdhsa_user_sgpr_queue_ptr 0
		.amdhsa_user_sgpr_kernarg_segment_ptr 1
		.amdhsa_user_sgpr_dispatch_id 0
		.amdhsa_user_sgpr_flat_scratch_init 0
		.amdhsa_user_sgpr_private_segment_size 0
		.amdhsa_uses_dynamic_stack 0
		.amdhsa_system_sgpr_private_segment_wavefront_offset 0
		.amdhsa_system_sgpr_workgroup_id_x 1
		.amdhsa_system_sgpr_workgroup_id_y 0
		.amdhsa_system_sgpr_workgroup_id_z 0
		.amdhsa_system_sgpr_workgroup_info 0
		.amdhsa_system_vgpr_workitem_id 0
		.amdhsa_next_free_vgpr 1
		.amdhsa_next_free_sgpr 0
		.amdhsa_reserve_vcc 0
		.amdhsa_reserve_flat_scratch 0
		.amdhsa_float_round_mode_32 0
		.amdhsa_float_round_mode_16_64 0
		.amdhsa_float_denorm_mode_32 3
		.amdhsa_float_denorm_mode_16_64 3
		.amdhsa_dx10_clamp 1
		.amdhsa_ieee_mode 1
		.amdhsa_fp16_overflow 0
		.amdhsa_exception_fp_ieee_invalid_op 0
		.amdhsa_exception_fp_denorm_src 0
		.amdhsa_exception_fp_ieee_div_zero 0
		.amdhsa_exception_fp_ieee_overflow 0
		.amdhsa_exception_fp_ieee_underflow 0
		.amdhsa_exception_fp_ieee_inexact 0
		.amdhsa_exception_int_div_zero 0
	.end_amdhsa_kernel
	.section	.text._ZN7rocprim17ROCPRIM_400000_NS6detail17trampoline_kernelINS0_13select_configILj256ELj13ELNS0_17block_load_methodE3ELS4_3ELS4_3ELNS0_20block_scan_algorithmE0ELj4294967295EEENS1_25partition_config_selectorILNS1_17partition_subalgoE3EjNS0_10empty_typeEbEEZZNS1_14partition_implILS8_3ELb0ES6_jNS0_17counting_iteratorIjlEEPS9_SE_NS0_5tupleIJPjSE_EEENSF_IJSE_SE_EEES9_SG_JZNS1_25segmented_radix_sort_implINS0_14default_configELb0EPKlPlSM_SN_N2at6native12_GLOBAL__N_18offset_tEEE10hipError_tPvRmT1_PNSt15iterator_traitsISV_E10value_typeET2_T3_PNSW_IS11_E10value_typeET4_jRbjT5_S17_jjP12ihipStream_tbEUljE_EEESS_ST_SU_S11_S15_S17_T6_T7_T9_mT8_S19_bDpT10_ENKUlT_T0_E_clISt17integral_constantIbLb0EES1M_EEDaS1H_S1I_EUlS1H_E_NS1_11comp_targetILNS1_3genE9ELNS1_11target_archE1100ELNS1_3gpuE3ELNS1_3repE0EEENS1_30default_config_static_selectorELNS0_4arch9wavefront6targetE1EEEvSV_,"axG",@progbits,_ZN7rocprim17ROCPRIM_400000_NS6detail17trampoline_kernelINS0_13select_configILj256ELj13ELNS0_17block_load_methodE3ELS4_3ELS4_3ELNS0_20block_scan_algorithmE0ELj4294967295EEENS1_25partition_config_selectorILNS1_17partition_subalgoE3EjNS0_10empty_typeEbEEZZNS1_14partition_implILS8_3ELb0ES6_jNS0_17counting_iteratorIjlEEPS9_SE_NS0_5tupleIJPjSE_EEENSF_IJSE_SE_EEES9_SG_JZNS1_25segmented_radix_sort_implINS0_14default_configELb0EPKlPlSM_SN_N2at6native12_GLOBAL__N_18offset_tEEE10hipError_tPvRmT1_PNSt15iterator_traitsISV_E10value_typeET2_T3_PNSW_IS11_E10value_typeET4_jRbjT5_S17_jjP12ihipStream_tbEUljE_EEESS_ST_SU_S11_S15_S17_T6_T7_T9_mT8_S19_bDpT10_ENKUlT_T0_E_clISt17integral_constantIbLb0EES1M_EEDaS1H_S1I_EUlS1H_E_NS1_11comp_targetILNS1_3genE9ELNS1_11target_archE1100ELNS1_3gpuE3ELNS1_3repE0EEENS1_30default_config_static_selectorELNS0_4arch9wavefront6targetE1EEEvSV_,comdat
.Lfunc_end781:
	.size	_ZN7rocprim17ROCPRIM_400000_NS6detail17trampoline_kernelINS0_13select_configILj256ELj13ELNS0_17block_load_methodE3ELS4_3ELS4_3ELNS0_20block_scan_algorithmE0ELj4294967295EEENS1_25partition_config_selectorILNS1_17partition_subalgoE3EjNS0_10empty_typeEbEEZZNS1_14partition_implILS8_3ELb0ES6_jNS0_17counting_iteratorIjlEEPS9_SE_NS0_5tupleIJPjSE_EEENSF_IJSE_SE_EEES9_SG_JZNS1_25segmented_radix_sort_implINS0_14default_configELb0EPKlPlSM_SN_N2at6native12_GLOBAL__N_18offset_tEEE10hipError_tPvRmT1_PNSt15iterator_traitsISV_E10value_typeET2_T3_PNSW_IS11_E10value_typeET4_jRbjT5_S17_jjP12ihipStream_tbEUljE_EEESS_ST_SU_S11_S15_S17_T6_T7_T9_mT8_S19_bDpT10_ENKUlT_T0_E_clISt17integral_constantIbLb0EES1M_EEDaS1H_S1I_EUlS1H_E_NS1_11comp_targetILNS1_3genE9ELNS1_11target_archE1100ELNS1_3gpuE3ELNS1_3repE0EEENS1_30default_config_static_selectorELNS0_4arch9wavefront6targetE1EEEvSV_, .Lfunc_end781-_ZN7rocprim17ROCPRIM_400000_NS6detail17trampoline_kernelINS0_13select_configILj256ELj13ELNS0_17block_load_methodE3ELS4_3ELS4_3ELNS0_20block_scan_algorithmE0ELj4294967295EEENS1_25partition_config_selectorILNS1_17partition_subalgoE3EjNS0_10empty_typeEbEEZZNS1_14partition_implILS8_3ELb0ES6_jNS0_17counting_iteratorIjlEEPS9_SE_NS0_5tupleIJPjSE_EEENSF_IJSE_SE_EEES9_SG_JZNS1_25segmented_radix_sort_implINS0_14default_configELb0EPKlPlSM_SN_N2at6native12_GLOBAL__N_18offset_tEEE10hipError_tPvRmT1_PNSt15iterator_traitsISV_E10value_typeET2_T3_PNSW_IS11_E10value_typeET4_jRbjT5_S17_jjP12ihipStream_tbEUljE_EEESS_ST_SU_S11_S15_S17_T6_T7_T9_mT8_S19_bDpT10_ENKUlT_T0_E_clISt17integral_constantIbLb0EES1M_EEDaS1H_S1I_EUlS1H_E_NS1_11comp_targetILNS1_3genE9ELNS1_11target_archE1100ELNS1_3gpuE3ELNS1_3repE0EEENS1_30default_config_static_selectorELNS0_4arch9wavefront6targetE1EEEvSV_
                                        ; -- End function
	.set _ZN7rocprim17ROCPRIM_400000_NS6detail17trampoline_kernelINS0_13select_configILj256ELj13ELNS0_17block_load_methodE3ELS4_3ELS4_3ELNS0_20block_scan_algorithmE0ELj4294967295EEENS1_25partition_config_selectorILNS1_17partition_subalgoE3EjNS0_10empty_typeEbEEZZNS1_14partition_implILS8_3ELb0ES6_jNS0_17counting_iteratorIjlEEPS9_SE_NS0_5tupleIJPjSE_EEENSF_IJSE_SE_EEES9_SG_JZNS1_25segmented_radix_sort_implINS0_14default_configELb0EPKlPlSM_SN_N2at6native12_GLOBAL__N_18offset_tEEE10hipError_tPvRmT1_PNSt15iterator_traitsISV_E10value_typeET2_T3_PNSW_IS11_E10value_typeET4_jRbjT5_S17_jjP12ihipStream_tbEUljE_EEESS_ST_SU_S11_S15_S17_T6_T7_T9_mT8_S19_bDpT10_ENKUlT_T0_E_clISt17integral_constantIbLb0EES1M_EEDaS1H_S1I_EUlS1H_E_NS1_11comp_targetILNS1_3genE9ELNS1_11target_archE1100ELNS1_3gpuE3ELNS1_3repE0EEENS1_30default_config_static_selectorELNS0_4arch9wavefront6targetE1EEEvSV_.num_vgpr, 0
	.set _ZN7rocprim17ROCPRIM_400000_NS6detail17trampoline_kernelINS0_13select_configILj256ELj13ELNS0_17block_load_methodE3ELS4_3ELS4_3ELNS0_20block_scan_algorithmE0ELj4294967295EEENS1_25partition_config_selectorILNS1_17partition_subalgoE3EjNS0_10empty_typeEbEEZZNS1_14partition_implILS8_3ELb0ES6_jNS0_17counting_iteratorIjlEEPS9_SE_NS0_5tupleIJPjSE_EEENSF_IJSE_SE_EEES9_SG_JZNS1_25segmented_radix_sort_implINS0_14default_configELb0EPKlPlSM_SN_N2at6native12_GLOBAL__N_18offset_tEEE10hipError_tPvRmT1_PNSt15iterator_traitsISV_E10value_typeET2_T3_PNSW_IS11_E10value_typeET4_jRbjT5_S17_jjP12ihipStream_tbEUljE_EEESS_ST_SU_S11_S15_S17_T6_T7_T9_mT8_S19_bDpT10_ENKUlT_T0_E_clISt17integral_constantIbLb0EES1M_EEDaS1H_S1I_EUlS1H_E_NS1_11comp_targetILNS1_3genE9ELNS1_11target_archE1100ELNS1_3gpuE3ELNS1_3repE0EEENS1_30default_config_static_selectorELNS0_4arch9wavefront6targetE1EEEvSV_.num_agpr, 0
	.set _ZN7rocprim17ROCPRIM_400000_NS6detail17trampoline_kernelINS0_13select_configILj256ELj13ELNS0_17block_load_methodE3ELS4_3ELS4_3ELNS0_20block_scan_algorithmE0ELj4294967295EEENS1_25partition_config_selectorILNS1_17partition_subalgoE3EjNS0_10empty_typeEbEEZZNS1_14partition_implILS8_3ELb0ES6_jNS0_17counting_iteratorIjlEEPS9_SE_NS0_5tupleIJPjSE_EEENSF_IJSE_SE_EEES9_SG_JZNS1_25segmented_radix_sort_implINS0_14default_configELb0EPKlPlSM_SN_N2at6native12_GLOBAL__N_18offset_tEEE10hipError_tPvRmT1_PNSt15iterator_traitsISV_E10value_typeET2_T3_PNSW_IS11_E10value_typeET4_jRbjT5_S17_jjP12ihipStream_tbEUljE_EEESS_ST_SU_S11_S15_S17_T6_T7_T9_mT8_S19_bDpT10_ENKUlT_T0_E_clISt17integral_constantIbLb0EES1M_EEDaS1H_S1I_EUlS1H_E_NS1_11comp_targetILNS1_3genE9ELNS1_11target_archE1100ELNS1_3gpuE3ELNS1_3repE0EEENS1_30default_config_static_selectorELNS0_4arch9wavefront6targetE1EEEvSV_.numbered_sgpr, 0
	.set _ZN7rocprim17ROCPRIM_400000_NS6detail17trampoline_kernelINS0_13select_configILj256ELj13ELNS0_17block_load_methodE3ELS4_3ELS4_3ELNS0_20block_scan_algorithmE0ELj4294967295EEENS1_25partition_config_selectorILNS1_17partition_subalgoE3EjNS0_10empty_typeEbEEZZNS1_14partition_implILS8_3ELb0ES6_jNS0_17counting_iteratorIjlEEPS9_SE_NS0_5tupleIJPjSE_EEENSF_IJSE_SE_EEES9_SG_JZNS1_25segmented_radix_sort_implINS0_14default_configELb0EPKlPlSM_SN_N2at6native12_GLOBAL__N_18offset_tEEE10hipError_tPvRmT1_PNSt15iterator_traitsISV_E10value_typeET2_T3_PNSW_IS11_E10value_typeET4_jRbjT5_S17_jjP12ihipStream_tbEUljE_EEESS_ST_SU_S11_S15_S17_T6_T7_T9_mT8_S19_bDpT10_ENKUlT_T0_E_clISt17integral_constantIbLb0EES1M_EEDaS1H_S1I_EUlS1H_E_NS1_11comp_targetILNS1_3genE9ELNS1_11target_archE1100ELNS1_3gpuE3ELNS1_3repE0EEENS1_30default_config_static_selectorELNS0_4arch9wavefront6targetE1EEEvSV_.num_named_barrier, 0
	.set _ZN7rocprim17ROCPRIM_400000_NS6detail17trampoline_kernelINS0_13select_configILj256ELj13ELNS0_17block_load_methodE3ELS4_3ELS4_3ELNS0_20block_scan_algorithmE0ELj4294967295EEENS1_25partition_config_selectorILNS1_17partition_subalgoE3EjNS0_10empty_typeEbEEZZNS1_14partition_implILS8_3ELb0ES6_jNS0_17counting_iteratorIjlEEPS9_SE_NS0_5tupleIJPjSE_EEENSF_IJSE_SE_EEES9_SG_JZNS1_25segmented_radix_sort_implINS0_14default_configELb0EPKlPlSM_SN_N2at6native12_GLOBAL__N_18offset_tEEE10hipError_tPvRmT1_PNSt15iterator_traitsISV_E10value_typeET2_T3_PNSW_IS11_E10value_typeET4_jRbjT5_S17_jjP12ihipStream_tbEUljE_EEESS_ST_SU_S11_S15_S17_T6_T7_T9_mT8_S19_bDpT10_ENKUlT_T0_E_clISt17integral_constantIbLb0EES1M_EEDaS1H_S1I_EUlS1H_E_NS1_11comp_targetILNS1_3genE9ELNS1_11target_archE1100ELNS1_3gpuE3ELNS1_3repE0EEENS1_30default_config_static_selectorELNS0_4arch9wavefront6targetE1EEEvSV_.private_seg_size, 0
	.set _ZN7rocprim17ROCPRIM_400000_NS6detail17trampoline_kernelINS0_13select_configILj256ELj13ELNS0_17block_load_methodE3ELS4_3ELS4_3ELNS0_20block_scan_algorithmE0ELj4294967295EEENS1_25partition_config_selectorILNS1_17partition_subalgoE3EjNS0_10empty_typeEbEEZZNS1_14partition_implILS8_3ELb0ES6_jNS0_17counting_iteratorIjlEEPS9_SE_NS0_5tupleIJPjSE_EEENSF_IJSE_SE_EEES9_SG_JZNS1_25segmented_radix_sort_implINS0_14default_configELb0EPKlPlSM_SN_N2at6native12_GLOBAL__N_18offset_tEEE10hipError_tPvRmT1_PNSt15iterator_traitsISV_E10value_typeET2_T3_PNSW_IS11_E10value_typeET4_jRbjT5_S17_jjP12ihipStream_tbEUljE_EEESS_ST_SU_S11_S15_S17_T6_T7_T9_mT8_S19_bDpT10_ENKUlT_T0_E_clISt17integral_constantIbLb0EES1M_EEDaS1H_S1I_EUlS1H_E_NS1_11comp_targetILNS1_3genE9ELNS1_11target_archE1100ELNS1_3gpuE3ELNS1_3repE0EEENS1_30default_config_static_selectorELNS0_4arch9wavefront6targetE1EEEvSV_.uses_vcc, 0
	.set _ZN7rocprim17ROCPRIM_400000_NS6detail17trampoline_kernelINS0_13select_configILj256ELj13ELNS0_17block_load_methodE3ELS4_3ELS4_3ELNS0_20block_scan_algorithmE0ELj4294967295EEENS1_25partition_config_selectorILNS1_17partition_subalgoE3EjNS0_10empty_typeEbEEZZNS1_14partition_implILS8_3ELb0ES6_jNS0_17counting_iteratorIjlEEPS9_SE_NS0_5tupleIJPjSE_EEENSF_IJSE_SE_EEES9_SG_JZNS1_25segmented_radix_sort_implINS0_14default_configELb0EPKlPlSM_SN_N2at6native12_GLOBAL__N_18offset_tEEE10hipError_tPvRmT1_PNSt15iterator_traitsISV_E10value_typeET2_T3_PNSW_IS11_E10value_typeET4_jRbjT5_S17_jjP12ihipStream_tbEUljE_EEESS_ST_SU_S11_S15_S17_T6_T7_T9_mT8_S19_bDpT10_ENKUlT_T0_E_clISt17integral_constantIbLb0EES1M_EEDaS1H_S1I_EUlS1H_E_NS1_11comp_targetILNS1_3genE9ELNS1_11target_archE1100ELNS1_3gpuE3ELNS1_3repE0EEENS1_30default_config_static_selectorELNS0_4arch9wavefront6targetE1EEEvSV_.uses_flat_scratch, 0
	.set _ZN7rocprim17ROCPRIM_400000_NS6detail17trampoline_kernelINS0_13select_configILj256ELj13ELNS0_17block_load_methodE3ELS4_3ELS4_3ELNS0_20block_scan_algorithmE0ELj4294967295EEENS1_25partition_config_selectorILNS1_17partition_subalgoE3EjNS0_10empty_typeEbEEZZNS1_14partition_implILS8_3ELb0ES6_jNS0_17counting_iteratorIjlEEPS9_SE_NS0_5tupleIJPjSE_EEENSF_IJSE_SE_EEES9_SG_JZNS1_25segmented_radix_sort_implINS0_14default_configELb0EPKlPlSM_SN_N2at6native12_GLOBAL__N_18offset_tEEE10hipError_tPvRmT1_PNSt15iterator_traitsISV_E10value_typeET2_T3_PNSW_IS11_E10value_typeET4_jRbjT5_S17_jjP12ihipStream_tbEUljE_EEESS_ST_SU_S11_S15_S17_T6_T7_T9_mT8_S19_bDpT10_ENKUlT_T0_E_clISt17integral_constantIbLb0EES1M_EEDaS1H_S1I_EUlS1H_E_NS1_11comp_targetILNS1_3genE9ELNS1_11target_archE1100ELNS1_3gpuE3ELNS1_3repE0EEENS1_30default_config_static_selectorELNS0_4arch9wavefront6targetE1EEEvSV_.has_dyn_sized_stack, 0
	.set _ZN7rocprim17ROCPRIM_400000_NS6detail17trampoline_kernelINS0_13select_configILj256ELj13ELNS0_17block_load_methodE3ELS4_3ELS4_3ELNS0_20block_scan_algorithmE0ELj4294967295EEENS1_25partition_config_selectorILNS1_17partition_subalgoE3EjNS0_10empty_typeEbEEZZNS1_14partition_implILS8_3ELb0ES6_jNS0_17counting_iteratorIjlEEPS9_SE_NS0_5tupleIJPjSE_EEENSF_IJSE_SE_EEES9_SG_JZNS1_25segmented_radix_sort_implINS0_14default_configELb0EPKlPlSM_SN_N2at6native12_GLOBAL__N_18offset_tEEE10hipError_tPvRmT1_PNSt15iterator_traitsISV_E10value_typeET2_T3_PNSW_IS11_E10value_typeET4_jRbjT5_S17_jjP12ihipStream_tbEUljE_EEESS_ST_SU_S11_S15_S17_T6_T7_T9_mT8_S19_bDpT10_ENKUlT_T0_E_clISt17integral_constantIbLb0EES1M_EEDaS1H_S1I_EUlS1H_E_NS1_11comp_targetILNS1_3genE9ELNS1_11target_archE1100ELNS1_3gpuE3ELNS1_3repE0EEENS1_30default_config_static_selectorELNS0_4arch9wavefront6targetE1EEEvSV_.has_recursion, 0
	.set _ZN7rocprim17ROCPRIM_400000_NS6detail17trampoline_kernelINS0_13select_configILj256ELj13ELNS0_17block_load_methodE3ELS4_3ELS4_3ELNS0_20block_scan_algorithmE0ELj4294967295EEENS1_25partition_config_selectorILNS1_17partition_subalgoE3EjNS0_10empty_typeEbEEZZNS1_14partition_implILS8_3ELb0ES6_jNS0_17counting_iteratorIjlEEPS9_SE_NS0_5tupleIJPjSE_EEENSF_IJSE_SE_EEES9_SG_JZNS1_25segmented_radix_sort_implINS0_14default_configELb0EPKlPlSM_SN_N2at6native12_GLOBAL__N_18offset_tEEE10hipError_tPvRmT1_PNSt15iterator_traitsISV_E10value_typeET2_T3_PNSW_IS11_E10value_typeET4_jRbjT5_S17_jjP12ihipStream_tbEUljE_EEESS_ST_SU_S11_S15_S17_T6_T7_T9_mT8_S19_bDpT10_ENKUlT_T0_E_clISt17integral_constantIbLb0EES1M_EEDaS1H_S1I_EUlS1H_E_NS1_11comp_targetILNS1_3genE9ELNS1_11target_archE1100ELNS1_3gpuE3ELNS1_3repE0EEENS1_30default_config_static_selectorELNS0_4arch9wavefront6targetE1EEEvSV_.has_indirect_call, 0
	.section	.AMDGPU.csdata,"",@progbits
; Kernel info:
; codeLenInByte = 0
; TotalNumSgprs: 4
; NumVgprs: 0
; ScratchSize: 0
; MemoryBound: 0
; FloatMode: 240
; IeeeMode: 1
; LDSByteSize: 0 bytes/workgroup (compile time only)
; SGPRBlocks: 0
; VGPRBlocks: 0
; NumSGPRsForWavesPerEU: 4
; NumVGPRsForWavesPerEU: 1
; Occupancy: 10
; WaveLimiterHint : 0
; COMPUTE_PGM_RSRC2:SCRATCH_EN: 0
; COMPUTE_PGM_RSRC2:USER_SGPR: 6
; COMPUTE_PGM_RSRC2:TRAP_HANDLER: 0
; COMPUTE_PGM_RSRC2:TGID_X_EN: 1
; COMPUTE_PGM_RSRC2:TGID_Y_EN: 0
; COMPUTE_PGM_RSRC2:TGID_Z_EN: 0
; COMPUTE_PGM_RSRC2:TIDIG_COMP_CNT: 0
	.section	.text._ZN7rocprim17ROCPRIM_400000_NS6detail17trampoline_kernelINS0_13select_configILj256ELj13ELNS0_17block_load_methodE3ELS4_3ELS4_3ELNS0_20block_scan_algorithmE0ELj4294967295EEENS1_25partition_config_selectorILNS1_17partition_subalgoE3EjNS0_10empty_typeEbEEZZNS1_14partition_implILS8_3ELb0ES6_jNS0_17counting_iteratorIjlEEPS9_SE_NS0_5tupleIJPjSE_EEENSF_IJSE_SE_EEES9_SG_JZNS1_25segmented_radix_sort_implINS0_14default_configELb0EPKlPlSM_SN_N2at6native12_GLOBAL__N_18offset_tEEE10hipError_tPvRmT1_PNSt15iterator_traitsISV_E10value_typeET2_T3_PNSW_IS11_E10value_typeET4_jRbjT5_S17_jjP12ihipStream_tbEUljE_EEESS_ST_SU_S11_S15_S17_T6_T7_T9_mT8_S19_bDpT10_ENKUlT_T0_E_clISt17integral_constantIbLb0EES1M_EEDaS1H_S1I_EUlS1H_E_NS1_11comp_targetILNS1_3genE8ELNS1_11target_archE1030ELNS1_3gpuE2ELNS1_3repE0EEENS1_30default_config_static_selectorELNS0_4arch9wavefront6targetE1EEEvSV_,"axG",@progbits,_ZN7rocprim17ROCPRIM_400000_NS6detail17trampoline_kernelINS0_13select_configILj256ELj13ELNS0_17block_load_methodE3ELS4_3ELS4_3ELNS0_20block_scan_algorithmE0ELj4294967295EEENS1_25partition_config_selectorILNS1_17partition_subalgoE3EjNS0_10empty_typeEbEEZZNS1_14partition_implILS8_3ELb0ES6_jNS0_17counting_iteratorIjlEEPS9_SE_NS0_5tupleIJPjSE_EEENSF_IJSE_SE_EEES9_SG_JZNS1_25segmented_radix_sort_implINS0_14default_configELb0EPKlPlSM_SN_N2at6native12_GLOBAL__N_18offset_tEEE10hipError_tPvRmT1_PNSt15iterator_traitsISV_E10value_typeET2_T3_PNSW_IS11_E10value_typeET4_jRbjT5_S17_jjP12ihipStream_tbEUljE_EEESS_ST_SU_S11_S15_S17_T6_T7_T9_mT8_S19_bDpT10_ENKUlT_T0_E_clISt17integral_constantIbLb0EES1M_EEDaS1H_S1I_EUlS1H_E_NS1_11comp_targetILNS1_3genE8ELNS1_11target_archE1030ELNS1_3gpuE2ELNS1_3repE0EEENS1_30default_config_static_selectorELNS0_4arch9wavefront6targetE1EEEvSV_,comdat
	.globl	_ZN7rocprim17ROCPRIM_400000_NS6detail17trampoline_kernelINS0_13select_configILj256ELj13ELNS0_17block_load_methodE3ELS4_3ELS4_3ELNS0_20block_scan_algorithmE0ELj4294967295EEENS1_25partition_config_selectorILNS1_17partition_subalgoE3EjNS0_10empty_typeEbEEZZNS1_14partition_implILS8_3ELb0ES6_jNS0_17counting_iteratorIjlEEPS9_SE_NS0_5tupleIJPjSE_EEENSF_IJSE_SE_EEES9_SG_JZNS1_25segmented_radix_sort_implINS0_14default_configELb0EPKlPlSM_SN_N2at6native12_GLOBAL__N_18offset_tEEE10hipError_tPvRmT1_PNSt15iterator_traitsISV_E10value_typeET2_T3_PNSW_IS11_E10value_typeET4_jRbjT5_S17_jjP12ihipStream_tbEUljE_EEESS_ST_SU_S11_S15_S17_T6_T7_T9_mT8_S19_bDpT10_ENKUlT_T0_E_clISt17integral_constantIbLb0EES1M_EEDaS1H_S1I_EUlS1H_E_NS1_11comp_targetILNS1_3genE8ELNS1_11target_archE1030ELNS1_3gpuE2ELNS1_3repE0EEENS1_30default_config_static_selectorELNS0_4arch9wavefront6targetE1EEEvSV_ ; -- Begin function _ZN7rocprim17ROCPRIM_400000_NS6detail17trampoline_kernelINS0_13select_configILj256ELj13ELNS0_17block_load_methodE3ELS4_3ELS4_3ELNS0_20block_scan_algorithmE0ELj4294967295EEENS1_25partition_config_selectorILNS1_17partition_subalgoE3EjNS0_10empty_typeEbEEZZNS1_14partition_implILS8_3ELb0ES6_jNS0_17counting_iteratorIjlEEPS9_SE_NS0_5tupleIJPjSE_EEENSF_IJSE_SE_EEES9_SG_JZNS1_25segmented_radix_sort_implINS0_14default_configELb0EPKlPlSM_SN_N2at6native12_GLOBAL__N_18offset_tEEE10hipError_tPvRmT1_PNSt15iterator_traitsISV_E10value_typeET2_T3_PNSW_IS11_E10value_typeET4_jRbjT5_S17_jjP12ihipStream_tbEUljE_EEESS_ST_SU_S11_S15_S17_T6_T7_T9_mT8_S19_bDpT10_ENKUlT_T0_E_clISt17integral_constantIbLb0EES1M_EEDaS1H_S1I_EUlS1H_E_NS1_11comp_targetILNS1_3genE8ELNS1_11target_archE1030ELNS1_3gpuE2ELNS1_3repE0EEENS1_30default_config_static_selectorELNS0_4arch9wavefront6targetE1EEEvSV_
	.p2align	8
	.type	_ZN7rocprim17ROCPRIM_400000_NS6detail17trampoline_kernelINS0_13select_configILj256ELj13ELNS0_17block_load_methodE3ELS4_3ELS4_3ELNS0_20block_scan_algorithmE0ELj4294967295EEENS1_25partition_config_selectorILNS1_17partition_subalgoE3EjNS0_10empty_typeEbEEZZNS1_14partition_implILS8_3ELb0ES6_jNS0_17counting_iteratorIjlEEPS9_SE_NS0_5tupleIJPjSE_EEENSF_IJSE_SE_EEES9_SG_JZNS1_25segmented_radix_sort_implINS0_14default_configELb0EPKlPlSM_SN_N2at6native12_GLOBAL__N_18offset_tEEE10hipError_tPvRmT1_PNSt15iterator_traitsISV_E10value_typeET2_T3_PNSW_IS11_E10value_typeET4_jRbjT5_S17_jjP12ihipStream_tbEUljE_EEESS_ST_SU_S11_S15_S17_T6_T7_T9_mT8_S19_bDpT10_ENKUlT_T0_E_clISt17integral_constantIbLb0EES1M_EEDaS1H_S1I_EUlS1H_E_NS1_11comp_targetILNS1_3genE8ELNS1_11target_archE1030ELNS1_3gpuE2ELNS1_3repE0EEENS1_30default_config_static_selectorELNS0_4arch9wavefront6targetE1EEEvSV_,@function
_ZN7rocprim17ROCPRIM_400000_NS6detail17trampoline_kernelINS0_13select_configILj256ELj13ELNS0_17block_load_methodE3ELS4_3ELS4_3ELNS0_20block_scan_algorithmE0ELj4294967295EEENS1_25partition_config_selectorILNS1_17partition_subalgoE3EjNS0_10empty_typeEbEEZZNS1_14partition_implILS8_3ELb0ES6_jNS0_17counting_iteratorIjlEEPS9_SE_NS0_5tupleIJPjSE_EEENSF_IJSE_SE_EEES9_SG_JZNS1_25segmented_radix_sort_implINS0_14default_configELb0EPKlPlSM_SN_N2at6native12_GLOBAL__N_18offset_tEEE10hipError_tPvRmT1_PNSt15iterator_traitsISV_E10value_typeET2_T3_PNSW_IS11_E10value_typeET4_jRbjT5_S17_jjP12ihipStream_tbEUljE_EEESS_ST_SU_S11_S15_S17_T6_T7_T9_mT8_S19_bDpT10_ENKUlT_T0_E_clISt17integral_constantIbLb0EES1M_EEDaS1H_S1I_EUlS1H_E_NS1_11comp_targetILNS1_3genE8ELNS1_11target_archE1030ELNS1_3gpuE2ELNS1_3repE0EEENS1_30default_config_static_selectorELNS0_4arch9wavefront6targetE1EEEvSV_: ; @_ZN7rocprim17ROCPRIM_400000_NS6detail17trampoline_kernelINS0_13select_configILj256ELj13ELNS0_17block_load_methodE3ELS4_3ELS4_3ELNS0_20block_scan_algorithmE0ELj4294967295EEENS1_25partition_config_selectorILNS1_17partition_subalgoE3EjNS0_10empty_typeEbEEZZNS1_14partition_implILS8_3ELb0ES6_jNS0_17counting_iteratorIjlEEPS9_SE_NS0_5tupleIJPjSE_EEENSF_IJSE_SE_EEES9_SG_JZNS1_25segmented_radix_sort_implINS0_14default_configELb0EPKlPlSM_SN_N2at6native12_GLOBAL__N_18offset_tEEE10hipError_tPvRmT1_PNSt15iterator_traitsISV_E10value_typeET2_T3_PNSW_IS11_E10value_typeET4_jRbjT5_S17_jjP12ihipStream_tbEUljE_EEESS_ST_SU_S11_S15_S17_T6_T7_T9_mT8_S19_bDpT10_ENKUlT_T0_E_clISt17integral_constantIbLb0EES1M_EEDaS1H_S1I_EUlS1H_E_NS1_11comp_targetILNS1_3genE8ELNS1_11target_archE1030ELNS1_3gpuE2ELNS1_3repE0EEENS1_30default_config_static_selectorELNS0_4arch9wavefront6targetE1EEEvSV_
; %bb.0:
	.section	.rodata,"a",@progbits
	.p2align	6, 0x0
	.amdhsa_kernel _ZN7rocprim17ROCPRIM_400000_NS6detail17trampoline_kernelINS0_13select_configILj256ELj13ELNS0_17block_load_methodE3ELS4_3ELS4_3ELNS0_20block_scan_algorithmE0ELj4294967295EEENS1_25partition_config_selectorILNS1_17partition_subalgoE3EjNS0_10empty_typeEbEEZZNS1_14partition_implILS8_3ELb0ES6_jNS0_17counting_iteratorIjlEEPS9_SE_NS0_5tupleIJPjSE_EEENSF_IJSE_SE_EEES9_SG_JZNS1_25segmented_radix_sort_implINS0_14default_configELb0EPKlPlSM_SN_N2at6native12_GLOBAL__N_18offset_tEEE10hipError_tPvRmT1_PNSt15iterator_traitsISV_E10value_typeET2_T3_PNSW_IS11_E10value_typeET4_jRbjT5_S17_jjP12ihipStream_tbEUljE_EEESS_ST_SU_S11_S15_S17_T6_T7_T9_mT8_S19_bDpT10_ENKUlT_T0_E_clISt17integral_constantIbLb0EES1M_EEDaS1H_S1I_EUlS1H_E_NS1_11comp_targetILNS1_3genE8ELNS1_11target_archE1030ELNS1_3gpuE2ELNS1_3repE0EEENS1_30default_config_static_selectorELNS0_4arch9wavefront6targetE1EEEvSV_
		.amdhsa_group_segment_fixed_size 0
		.amdhsa_private_segment_fixed_size 0
		.amdhsa_kernarg_size 144
		.amdhsa_user_sgpr_count 6
		.amdhsa_user_sgpr_private_segment_buffer 1
		.amdhsa_user_sgpr_dispatch_ptr 0
		.amdhsa_user_sgpr_queue_ptr 0
		.amdhsa_user_sgpr_kernarg_segment_ptr 1
		.amdhsa_user_sgpr_dispatch_id 0
		.amdhsa_user_sgpr_flat_scratch_init 0
		.amdhsa_user_sgpr_private_segment_size 0
		.amdhsa_uses_dynamic_stack 0
		.amdhsa_system_sgpr_private_segment_wavefront_offset 0
		.amdhsa_system_sgpr_workgroup_id_x 1
		.amdhsa_system_sgpr_workgroup_id_y 0
		.amdhsa_system_sgpr_workgroup_id_z 0
		.amdhsa_system_sgpr_workgroup_info 0
		.amdhsa_system_vgpr_workitem_id 0
		.amdhsa_next_free_vgpr 1
		.amdhsa_next_free_sgpr 0
		.amdhsa_reserve_vcc 0
		.amdhsa_reserve_flat_scratch 0
		.amdhsa_float_round_mode_32 0
		.amdhsa_float_round_mode_16_64 0
		.amdhsa_float_denorm_mode_32 3
		.amdhsa_float_denorm_mode_16_64 3
		.amdhsa_dx10_clamp 1
		.amdhsa_ieee_mode 1
		.amdhsa_fp16_overflow 0
		.amdhsa_exception_fp_ieee_invalid_op 0
		.amdhsa_exception_fp_denorm_src 0
		.amdhsa_exception_fp_ieee_div_zero 0
		.amdhsa_exception_fp_ieee_overflow 0
		.amdhsa_exception_fp_ieee_underflow 0
		.amdhsa_exception_fp_ieee_inexact 0
		.amdhsa_exception_int_div_zero 0
	.end_amdhsa_kernel
	.section	.text._ZN7rocprim17ROCPRIM_400000_NS6detail17trampoline_kernelINS0_13select_configILj256ELj13ELNS0_17block_load_methodE3ELS4_3ELS4_3ELNS0_20block_scan_algorithmE0ELj4294967295EEENS1_25partition_config_selectorILNS1_17partition_subalgoE3EjNS0_10empty_typeEbEEZZNS1_14partition_implILS8_3ELb0ES6_jNS0_17counting_iteratorIjlEEPS9_SE_NS0_5tupleIJPjSE_EEENSF_IJSE_SE_EEES9_SG_JZNS1_25segmented_radix_sort_implINS0_14default_configELb0EPKlPlSM_SN_N2at6native12_GLOBAL__N_18offset_tEEE10hipError_tPvRmT1_PNSt15iterator_traitsISV_E10value_typeET2_T3_PNSW_IS11_E10value_typeET4_jRbjT5_S17_jjP12ihipStream_tbEUljE_EEESS_ST_SU_S11_S15_S17_T6_T7_T9_mT8_S19_bDpT10_ENKUlT_T0_E_clISt17integral_constantIbLb0EES1M_EEDaS1H_S1I_EUlS1H_E_NS1_11comp_targetILNS1_3genE8ELNS1_11target_archE1030ELNS1_3gpuE2ELNS1_3repE0EEENS1_30default_config_static_selectorELNS0_4arch9wavefront6targetE1EEEvSV_,"axG",@progbits,_ZN7rocprim17ROCPRIM_400000_NS6detail17trampoline_kernelINS0_13select_configILj256ELj13ELNS0_17block_load_methodE3ELS4_3ELS4_3ELNS0_20block_scan_algorithmE0ELj4294967295EEENS1_25partition_config_selectorILNS1_17partition_subalgoE3EjNS0_10empty_typeEbEEZZNS1_14partition_implILS8_3ELb0ES6_jNS0_17counting_iteratorIjlEEPS9_SE_NS0_5tupleIJPjSE_EEENSF_IJSE_SE_EEES9_SG_JZNS1_25segmented_radix_sort_implINS0_14default_configELb0EPKlPlSM_SN_N2at6native12_GLOBAL__N_18offset_tEEE10hipError_tPvRmT1_PNSt15iterator_traitsISV_E10value_typeET2_T3_PNSW_IS11_E10value_typeET4_jRbjT5_S17_jjP12ihipStream_tbEUljE_EEESS_ST_SU_S11_S15_S17_T6_T7_T9_mT8_S19_bDpT10_ENKUlT_T0_E_clISt17integral_constantIbLb0EES1M_EEDaS1H_S1I_EUlS1H_E_NS1_11comp_targetILNS1_3genE8ELNS1_11target_archE1030ELNS1_3gpuE2ELNS1_3repE0EEENS1_30default_config_static_selectorELNS0_4arch9wavefront6targetE1EEEvSV_,comdat
.Lfunc_end782:
	.size	_ZN7rocprim17ROCPRIM_400000_NS6detail17trampoline_kernelINS0_13select_configILj256ELj13ELNS0_17block_load_methodE3ELS4_3ELS4_3ELNS0_20block_scan_algorithmE0ELj4294967295EEENS1_25partition_config_selectorILNS1_17partition_subalgoE3EjNS0_10empty_typeEbEEZZNS1_14partition_implILS8_3ELb0ES6_jNS0_17counting_iteratorIjlEEPS9_SE_NS0_5tupleIJPjSE_EEENSF_IJSE_SE_EEES9_SG_JZNS1_25segmented_radix_sort_implINS0_14default_configELb0EPKlPlSM_SN_N2at6native12_GLOBAL__N_18offset_tEEE10hipError_tPvRmT1_PNSt15iterator_traitsISV_E10value_typeET2_T3_PNSW_IS11_E10value_typeET4_jRbjT5_S17_jjP12ihipStream_tbEUljE_EEESS_ST_SU_S11_S15_S17_T6_T7_T9_mT8_S19_bDpT10_ENKUlT_T0_E_clISt17integral_constantIbLb0EES1M_EEDaS1H_S1I_EUlS1H_E_NS1_11comp_targetILNS1_3genE8ELNS1_11target_archE1030ELNS1_3gpuE2ELNS1_3repE0EEENS1_30default_config_static_selectorELNS0_4arch9wavefront6targetE1EEEvSV_, .Lfunc_end782-_ZN7rocprim17ROCPRIM_400000_NS6detail17trampoline_kernelINS0_13select_configILj256ELj13ELNS0_17block_load_methodE3ELS4_3ELS4_3ELNS0_20block_scan_algorithmE0ELj4294967295EEENS1_25partition_config_selectorILNS1_17partition_subalgoE3EjNS0_10empty_typeEbEEZZNS1_14partition_implILS8_3ELb0ES6_jNS0_17counting_iteratorIjlEEPS9_SE_NS0_5tupleIJPjSE_EEENSF_IJSE_SE_EEES9_SG_JZNS1_25segmented_radix_sort_implINS0_14default_configELb0EPKlPlSM_SN_N2at6native12_GLOBAL__N_18offset_tEEE10hipError_tPvRmT1_PNSt15iterator_traitsISV_E10value_typeET2_T3_PNSW_IS11_E10value_typeET4_jRbjT5_S17_jjP12ihipStream_tbEUljE_EEESS_ST_SU_S11_S15_S17_T6_T7_T9_mT8_S19_bDpT10_ENKUlT_T0_E_clISt17integral_constantIbLb0EES1M_EEDaS1H_S1I_EUlS1H_E_NS1_11comp_targetILNS1_3genE8ELNS1_11target_archE1030ELNS1_3gpuE2ELNS1_3repE0EEENS1_30default_config_static_selectorELNS0_4arch9wavefront6targetE1EEEvSV_
                                        ; -- End function
	.set _ZN7rocprim17ROCPRIM_400000_NS6detail17trampoline_kernelINS0_13select_configILj256ELj13ELNS0_17block_load_methodE3ELS4_3ELS4_3ELNS0_20block_scan_algorithmE0ELj4294967295EEENS1_25partition_config_selectorILNS1_17partition_subalgoE3EjNS0_10empty_typeEbEEZZNS1_14partition_implILS8_3ELb0ES6_jNS0_17counting_iteratorIjlEEPS9_SE_NS0_5tupleIJPjSE_EEENSF_IJSE_SE_EEES9_SG_JZNS1_25segmented_radix_sort_implINS0_14default_configELb0EPKlPlSM_SN_N2at6native12_GLOBAL__N_18offset_tEEE10hipError_tPvRmT1_PNSt15iterator_traitsISV_E10value_typeET2_T3_PNSW_IS11_E10value_typeET4_jRbjT5_S17_jjP12ihipStream_tbEUljE_EEESS_ST_SU_S11_S15_S17_T6_T7_T9_mT8_S19_bDpT10_ENKUlT_T0_E_clISt17integral_constantIbLb0EES1M_EEDaS1H_S1I_EUlS1H_E_NS1_11comp_targetILNS1_3genE8ELNS1_11target_archE1030ELNS1_3gpuE2ELNS1_3repE0EEENS1_30default_config_static_selectorELNS0_4arch9wavefront6targetE1EEEvSV_.num_vgpr, 0
	.set _ZN7rocprim17ROCPRIM_400000_NS6detail17trampoline_kernelINS0_13select_configILj256ELj13ELNS0_17block_load_methodE3ELS4_3ELS4_3ELNS0_20block_scan_algorithmE0ELj4294967295EEENS1_25partition_config_selectorILNS1_17partition_subalgoE3EjNS0_10empty_typeEbEEZZNS1_14partition_implILS8_3ELb0ES6_jNS0_17counting_iteratorIjlEEPS9_SE_NS0_5tupleIJPjSE_EEENSF_IJSE_SE_EEES9_SG_JZNS1_25segmented_radix_sort_implINS0_14default_configELb0EPKlPlSM_SN_N2at6native12_GLOBAL__N_18offset_tEEE10hipError_tPvRmT1_PNSt15iterator_traitsISV_E10value_typeET2_T3_PNSW_IS11_E10value_typeET4_jRbjT5_S17_jjP12ihipStream_tbEUljE_EEESS_ST_SU_S11_S15_S17_T6_T7_T9_mT8_S19_bDpT10_ENKUlT_T0_E_clISt17integral_constantIbLb0EES1M_EEDaS1H_S1I_EUlS1H_E_NS1_11comp_targetILNS1_3genE8ELNS1_11target_archE1030ELNS1_3gpuE2ELNS1_3repE0EEENS1_30default_config_static_selectorELNS0_4arch9wavefront6targetE1EEEvSV_.num_agpr, 0
	.set _ZN7rocprim17ROCPRIM_400000_NS6detail17trampoline_kernelINS0_13select_configILj256ELj13ELNS0_17block_load_methodE3ELS4_3ELS4_3ELNS0_20block_scan_algorithmE0ELj4294967295EEENS1_25partition_config_selectorILNS1_17partition_subalgoE3EjNS0_10empty_typeEbEEZZNS1_14partition_implILS8_3ELb0ES6_jNS0_17counting_iteratorIjlEEPS9_SE_NS0_5tupleIJPjSE_EEENSF_IJSE_SE_EEES9_SG_JZNS1_25segmented_radix_sort_implINS0_14default_configELb0EPKlPlSM_SN_N2at6native12_GLOBAL__N_18offset_tEEE10hipError_tPvRmT1_PNSt15iterator_traitsISV_E10value_typeET2_T3_PNSW_IS11_E10value_typeET4_jRbjT5_S17_jjP12ihipStream_tbEUljE_EEESS_ST_SU_S11_S15_S17_T6_T7_T9_mT8_S19_bDpT10_ENKUlT_T0_E_clISt17integral_constantIbLb0EES1M_EEDaS1H_S1I_EUlS1H_E_NS1_11comp_targetILNS1_3genE8ELNS1_11target_archE1030ELNS1_3gpuE2ELNS1_3repE0EEENS1_30default_config_static_selectorELNS0_4arch9wavefront6targetE1EEEvSV_.numbered_sgpr, 0
	.set _ZN7rocprim17ROCPRIM_400000_NS6detail17trampoline_kernelINS0_13select_configILj256ELj13ELNS0_17block_load_methodE3ELS4_3ELS4_3ELNS0_20block_scan_algorithmE0ELj4294967295EEENS1_25partition_config_selectorILNS1_17partition_subalgoE3EjNS0_10empty_typeEbEEZZNS1_14partition_implILS8_3ELb0ES6_jNS0_17counting_iteratorIjlEEPS9_SE_NS0_5tupleIJPjSE_EEENSF_IJSE_SE_EEES9_SG_JZNS1_25segmented_radix_sort_implINS0_14default_configELb0EPKlPlSM_SN_N2at6native12_GLOBAL__N_18offset_tEEE10hipError_tPvRmT1_PNSt15iterator_traitsISV_E10value_typeET2_T3_PNSW_IS11_E10value_typeET4_jRbjT5_S17_jjP12ihipStream_tbEUljE_EEESS_ST_SU_S11_S15_S17_T6_T7_T9_mT8_S19_bDpT10_ENKUlT_T0_E_clISt17integral_constantIbLb0EES1M_EEDaS1H_S1I_EUlS1H_E_NS1_11comp_targetILNS1_3genE8ELNS1_11target_archE1030ELNS1_3gpuE2ELNS1_3repE0EEENS1_30default_config_static_selectorELNS0_4arch9wavefront6targetE1EEEvSV_.num_named_barrier, 0
	.set _ZN7rocprim17ROCPRIM_400000_NS6detail17trampoline_kernelINS0_13select_configILj256ELj13ELNS0_17block_load_methodE3ELS4_3ELS4_3ELNS0_20block_scan_algorithmE0ELj4294967295EEENS1_25partition_config_selectorILNS1_17partition_subalgoE3EjNS0_10empty_typeEbEEZZNS1_14partition_implILS8_3ELb0ES6_jNS0_17counting_iteratorIjlEEPS9_SE_NS0_5tupleIJPjSE_EEENSF_IJSE_SE_EEES9_SG_JZNS1_25segmented_radix_sort_implINS0_14default_configELb0EPKlPlSM_SN_N2at6native12_GLOBAL__N_18offset_tEEE10hipError_tPvRmT1_PNSt15iterator_traitsISV_E10value_typeET2_T3_PNSW_IS11_E10value_typeET4_jRbjT5_S17_jjP12ihipStream_tbEUljE_EEESS_ST_SU_S11_S15_S17_T6_T7_T9_mT8_S19_bDpT10_ENKUlT_T0_E_clISt17integral_constantIbLb0EES1M_EEDaS1H_S1I_EUlS1H_E_NS1_11comp_targetILNS1_3genE8ELNS1_11target_archE1030ELNS1_3gpuE2ELNS1_3repE0EEENS1_30default_config_static_selectorELNS0_4arch9wavefront6targetE1EEEvSV_.private_seg_size, 0
	.set _ZN7rocprim17ROCPRIM_400000_NS6detail17trampoline_kernelINS0_13select_configILj256ELj13ELNS0_17block_load_methodE3ELS4_3ELS4_3ELNS0_20block_scan_algorithmE0ELj4294967295EEENS1_25partition_config_selectorILNS1_17partition_subalgoE3EjNS0_10empty_typeEbEEZZNS1_14partition_implILS8_3ELb0ES6_jNS0_17counting_iteratorIjlEEPS9_SE_NS0_5tupleIJPjSE_EEENSF_IJSE_SE_EEES9_SG_JZNS1_25segmented_radix_sort_implINS0_14default_configELb0EPKlPlSM_SN_N2at6native12_GLOBAL__N_18offset_tEEE10hipError_tPvRmT1_PNSt15iterator_traitsISV_E10value_typeET2_T3_PNSW_IS11_E10value_typeET4_jRbjT5_S17_jjP12ihipStream_tbEUljE_EEESS_ST_SU_S11_S15_S17_T6_T7_T9_mT8_S19_bDpT10_ENKUlT_T0_E_clISt17integral_constantIbLb0EES1M_EEDaS1H_S1I_EUlS1H_E_NS1_11comp_targetILNS1_3genE8ELNS1_11target_archE1030ELNS1_3gpuE2ELNS1_3repE0EEENS1_30default_config_static_selectorELNS0_4arch9wavefront6targetE1EEEvSV_.uses_vcc, 0
	.set _ZN7rocprim17ROCPRIM_400000_NS6detail17trampoline_kernelINS0_13select_configILj256ELj13ELNS0_17block_load_methodE3ELS4_3ELS4_3ELNS0_20block_scan_algorithmE0ELj4294967295EEENS1_25partition_config_selectorILNS1_17partition_subalgoE3EjNS0_10empty_typeEbEEZZNS1_14partition_implILS8_3ELb0ES6_jNS0_17counting_iteratorIjlEEPS9_SE_NS0_5tupleIJPjSE_EEENSF_IJSE_SE_EEES9_SG_JZNS1_25segmented_radix_sort_implINS0_14default_configELb0EPKlPlSM_SN_N2at6native12_GLOBAL__N_18offset_tEEE10hipError_tPvRmT1_PNSt15iterator_traitsISV_E10value_typeET2_T3_PNSW_IS11_E10value_typeET4_jRbjT5_S17_jjP12ihipStream_tbEUljE_EEESS_ST_SU_S11_S15_S17_T6_T7_T9_mT8_S19_bDpT10_ENKUlT_T0_E_clISt17integral_constantIbLb0EES1M_EEDaS1H_S1I_EUlS1H_E_NS1_11comp_targetILNS1_3genE8ELNS1_11target_archE1030ELNS1_3gpuE2ELNS1_3repE0EEENS1_30default_config_static_selectorELNS0_4arch9wavefront6targetE1EEEvSV_.uses_flat_scratch, 0
	.set _ZN7rocprim17ROCPRIM_400000_NS6detail17trampoline_kernelINS0_13select_configILj256ELj13ELNS0_17block_load_methodE3ELS4_3ELS4_3ELNS0_20block_scan_algorithmE0ELj4294967295EEENS1_25partition_config_selectorILNS1_17partition_subalgoE3EjNS0_10empty_typeEbEEZZNS1_14partition_implILS8_3ELb0ES6_jNS0_17counting_iteratorIjlEEPS9_SE_NS0_5tupleIJPjSE_EEENSF_IJSE_SE_EEES9_SG_JZNS1_25segmented_radix_sort_implINS0_14default_configELb0EPKlPlSM_SN_N2at6native12_GLOBAL__N_18offset_tEEE10hipError_tPvRmT1_PNSt15iterator_traitsISV_E10value_typeET2_T3_PNSW_IS11_E10value_typeET4_jRbjT5_S17_jjP12ihipStream_tbEUljE_EEESS_ST_SU_S11_S15_S17_T6_T7_T9_mT8_S19_bDpT10_ENKUlT_T0_E_clISt17integral_constantIbLb0EES1M_EEDaS1H_S1I_EUlS1H_E_NS1_11comp_targetILNS1_3genE8ELNS1_11target_archE1030ELNS1_3gpuE2ELNS1_3repE0EEENS1_30default_config_static_selectorELNS0_4arch9wavefront6targetE1EEEvSV_.has_dyn_sized_stack, 0
	.set _ZN7rocprim17ROCPRIM_400000_NS6detail17trampoline_kernelINS0_13select_configILj256ELj13ELNS0_17block_load_methodE3ELS4_3ELS4_3ELNS0_20block_scan_algorithmE0ELj4294967295EEENS1_25partition_config_selectorILNS1_17partition_subalgoE3EjNS0_10empty_typeEbEEZZNS1_14partition_implILS8_3ELb0ES6_jNS0_17counting_iteratorIjlEEPS9_SE_NS0_5tupleIJPjSE_EEENSF_IJSE_SE_EEES9_SG_JZNS1_25segmented_radix_sort_implINS0_14default_configELb0EPKlPlSM_SN_N2at6native12_GLOBAL__N_18offset_tEEE10hipError_tPvRmT1_PNSt15iterator_traitsISV_E10value_typeET2_T3_PNSW_IS11_E10value_typeET4_jRbjT5_S17_jjP12ihipStream_tbEUljE_EEESS_ST_SU_S11_S15_S17_T6_T7_T9_mT8_S19_bDpT10_ENKUlT_T0_E_clISt17integral_constantIbLb0EES1M_EEDaS1H_S1I_EUlS1H_E_NS1_11comp_targetILNS1_3genE8ELNS1_11target_archE1030ELNS1_3gpuE2ELNS1_3repE0EEENS1_30default_config_static_selectorELNS0_4arch9wavefront6targetE1EEEvSV_.has_recursion, 0
	.set _ZN7rocprim17ROCPRIM_400000_NS6detail17trampoline_kernelINS0_13select_configILj256ELj13ELNS0_17block_load_methodE3ELS4_3ELS4_3ELNS0_20block_scan_algorithmE0ELj4294967295EEENS1_25partition_config_selectorILNS1_17partition_subalgoE3EjNS0_10empty_typeEbEEZZNS1_14partition_implILS8_3ELb0ES6_jNS0_17counting_iteratorIjlEEPS9_SE_NS0_5tupleIJPjSE_EEENSF_IJSE_SE_EEES9_SG_JZNS1_25segmented_radix_sort_implINS0_14default_configELb0EPKlPlSM_SN_N2at6native12_GLOBAL__N_18offset_tEEE10hipError_tPvRmT1_PNSt15iterator_traitsISV_E10value_typeET2_T3_PNSW_IS11_E10value_typeET4_jRbjT5_S17_jjP12ihipStream_tbEUljE_EEESS_ST_SU_S11_S15_S17_T6_T7_T9_mT8_S19_bDpT10_ENKUlT_T0_E_clISt17integral_constantIbLb0EES1M_EEDaS1H_S1I_EUlS1H_E_NS1_11comp_targetILNS1_3genE8ELNS1_11target_archE1030ELNS1_3gpuE2ELNS1_3repE0EEENS1_30default_config_static_selectorELNS0_4arch9wavefront6targetE1EEEvSV_.has_indirect_call, 0
	.section	.AMDGPU.csdata,"",@progbits
; Kernel info:
; codeLenInByte = 0
; TotalNumSgprs: 4
; NumVgprs: 0
; ScratchSize: 0
; MemoryBound: 0
; FloatMode: 240
; IeeeMode: 1
; LDSByteSize: 0 bytes/workgroup (compile time only)
; SGPRBlocks: 0
; VGPRBlocks: 0
; NumSGPRsForWavesPerEU: 4
; NumVGPRsForWavesPerEU: 1
; Occupancy: 10
; WaveLimiterHint : 0
; COMPUTE_PGM_RSRC2:SCRATCH_EN: 0
; COMPUTE_PGM_RSRC2:USER_SGPR: 6
; COMPUTE_PGM_RSRC2:TRAP_HANDLER: 0
; COMPUTE_PGM_RSRC2:TGID_X_EN: 1
; COMPUTE_PGM_RSRC2:TGID_Y_EN: 0
; COMPUTE_PGM_RSRC2:TGID_Z_EN: 0
; COMPUTE_PGM_RSRC2:TIDIG_COMP_CNT: 0
	.section	.text._ZN7rocprim17ROCPRIM_400000_NS6detail17trampoline_kernelINS0_13select_configILj256ELj13ELNS0_17block_load_methodE3ELS4_3ELS4_3ELNS0_20block_scan_algorithmE0ELj4294967295EEENS1_25partition_config_selectorILNS1_17partition_subalgoE3EjNS0_10empty_typeEbEEZZNS1_14partition_implILS8_3ELb0ES6_jNS0_17counting_iteratorIjlEEPS9_SE_NS0_5tupleIJPjSE_EEENSF_IJSE_SE_EEES9_SG_JZNS1_25segmented_radix_sort_implINS0_14default_configELb0EPKlPlSM_SN_N2at6native12_GLOBAL__N_18offset_tEEE10hipError_tPvRmT1_PNSt15iterator_traitsISV_E10value_typeET2_T3_PNSW_IS11_E10value_typeET4_jRbjT5_S17_jjP12ihipStream_tbEUljE_EEESS_ST_SU_S11_S15_S17_T6_T7_T9_mT8_S19_bDpT10_ENKUlT_T0_E_clISt17integral_constantIbLb1EES1M_EEDaS1H_S1I_EUlS1H_E_NS1_11comp_targetILNS1_3genE0ELNS1_11target_archE4294967295ELNS1_3gpuE0ELNS1_3repE0EEENS1_30default_config_static_selectorELNS0_4arch9wavefront6targetE1EEEvSV_,"axG",@progbits,_ZN7rocprim17ROCPRIM_400000_NS6detail17trampoline_kernelINS0_13select_configILj256ELj13ELNS0_17block_load_methodE3ELS4_3ELS4_3ELNS0_20block_scan_algorithmE0ELj4294967295EEENS1_25partition_config_selectorILNS1_17partition_subalgoE3EjNS0_10empty_typeEbEEZZNS1_14partition_implILS8_3ELb0ES6_jNS0_17counting_iteratorIjlEEPS9_SE_NS0_5tupleIJPjSE_EEENSF_IJSE_SE_EEES9_SG_JZNS1_25segmented_radix_sort_implINS0_14default_configELb0EPKlPlSM_SN_N2at6native12_GLOBAL__N_18offset_tEEE10hipError_tPvRmT1_PNSt15iterator_traitsISV_E10value_typeET2_T3_PNSW_IS11_E10value_typeET4_jRbjT5_S17_jjP12ihipStream_tbEUljE_EEESS_ST_SU_S11_S15_S17_T6_T7_T9_mT8_S19_bDpT10_ENKUlT_T0_E_clISt17integral_constantIbLb1EES1M_EEDaS1H_S1I_EUlS1H_E_NS1_11comp_targetILNS1_3genE0ELNS1_11target_archE4294967295ELNS1_3gpuE0ELNS1_3repE0EEENS1_30default_config_static_selectorELNS0_4arch9wavefront6targetE1EEEvSV_,comdat
	.globl	_ZN7rocprim17ROCPRIM_400000_NS6detail17trampoline_kernelINS0_13select_configILj256ELj13ELNS0_17block_load_methodE3ELS4_3ELS4_3ELNS0_20block_scan_algorithmE0ELj4294967295EEENS1_25partition_config_selectorILNS1_17partition_subalgoE3EjNS0_10empty_typeEbEEZZNS1_14partition_implILS8_3ELb0ES6_jNS0_17counting_iteratorIjlEEPS9_SE_NS0_5tupleIJPjSE_EEENSF_IJSE_SE_EEES9_SG_JZNS1_25segmented_radix_sort_implINS0_14default_configELb0EPKlPlSM_SN_N2at6native12_GLOBAL__N_18offset_tEEE10hipError_tPvRmT1_PNSt15iterator_traitsISV_E10value_typeET2_T3_PNSW_IS11_E10value_typeET4_jRbjT5_S17_jjP12ihipStream_tbEUljE_EEESS_ST_SU_S11_S15_S17_T6_T7_T9_mT8_S19_bDpT10_ENKUlT_T0_E_clISt17integral_constantIbLb1EES1M_EEDaS1H_S1I_EUlS1H_E_NS1_11comp_targetILNS1_3genE0ELNS1_11target_archE4294967295ELNS1_3gpuE0ELNS1_3repE0EEENS1_30default_config_static_selectorELNS0_4arch9wavefront6targetE1EEEvSV_ ; -- Begin function _ZN7rocprim17ROCPRIM_400000_NS6detail17trampoline_kernelINS0_13select_configILj256ELj13ELNS0_17block_load_methodE3ELS4_3ELS4_3ELNS0_20block_scan_algorithmE0ELj4294967295EEENS1_25partition_config_selectorILNS1_17partition_subalgoE3EjNS0_10empty_typeEbEEZZNS1_14partition_implILS8_3ELb0ES6_jNS0_17counting_iteratorIjlEEPS9_SE_NS0_5tupleIJPjSE_EEENSF_IJSE_SE_EEES9_SG_JZNS1_25segmented_radix_sort_implINS0_14default_configELb0EPKlPlSM_SN_N2at6native12_GLOBAL__N_18offset_tEEE10hipError_tPvRmT1_PNSt15iterator_traitsISV_E10value_typeET2_T3_PNSW_IS11_E10value_typeET4_jRbjT5_S17_jjP12ihipStream_tbEUljE_EEESS_ST_SU_S11_S15_S17_T6_T7_T9_mT8_S19_bDpT10_ENKUlT_T0_E_clISt17integral_constantIbLb1EES1M_EEDaS1H_S1I_EUlS1H_E_NS1_11comp_targetILNS1_3genE0ELNS1_11target_archE4294967295ELNS1_3gpuE0ELNS1_3repE0EEENS1_30default_config_static_selectorELNS0_4arch9wavefront6targetE1EEEvSV_
	.p2align	8
	.type	_ZN7rocprim17ROCPRIM_400000_NS6detail17trampoline_kernelINS0_13select_configILj256ELj13ELNS0_17block_load_methodE3ELS4_3ELS4_3ELNS0_20block_scan_algorithmE0ELj4294967295EEENS1_25partition_config_selectorILNS1_17partition_subalgoE3EjNS0_10empty_typeEbEEZZNS1_14partition_implILS8_3ELb0ES6_jNS0_17counting_iteratorIjlEEPS9_SE_NS0_5tupleIJPjSE_EEENSF_IJSE_SE_EEES9_SG_JZNS1_25segmented_radix_sort_implINS0_14default_configELb0EPKlPlSM_SN_N2at6native12_GLOBAL__N_18offset_tEEE10hipError_tPvRmT1_PNSt15iterator_traitsISV_E10value_typeET2_T3_PNSW_IS11_E10value_typeET4_jRbjT5_S17_jjP12ihipStream_tbEUljE_EEESS_ST_SU_S11_S15_S17_T6_T7_T9_mT8_S19_bDpT10_ENKUlT_T0_E_clISt17integral_constantIbLb1EES1M_EEDaS1H_S1I_EUlS1H_E_NS1_11comp_targetILNS1_3genE0ELNS1_11target_archE4294967295ELNS1_3gpuE0ELNS1_3repE0EEENS1_30default_config_static_selectorELNS0_4arch9wavefront6targetE1EEEvSV_,@function
_ZN7rocprim17ROCPRIM_400000_NS6detail17trampoline_kernelINS0_13select_configILj256ELj13ELNS0_17block_load_methodE3ELS4_3ELS4_3ELNS0_20block_scan_algorithmE0ELj4294967295EEENS1_25partition_config_selectorILNS1_17partition_subalgoE3EjNS0_10empty_typeEbEEZZNS1_14partition_implILS8_3ELb0ES6_jNS0_17counting_iteratorIjlEEPS9_SE_NS0_5tupleIJPjSE_EEENSF_IJSE_SE_EEES9_SG_JZNS1_25segmented_radix_sort_implINS0_14default_configELb0EPKlPlSM_SN_N2at6native12_GLOBAL__N_18offset_tEEE10hipError_tPvRmT1_PNSt15iterator_traitsISV_E10value_typeET2_T3_PNSW_IS11_E10value_typeET4_jRbjT5_S17_jjP12ihipStream_tbEUljE_EEESS_ST_SU_S11_S15_S17_T6_T7_T9_mT8_S19_bDpT10_ENKUlT_T0_E_clISt17integral_constantIbLb1EES1M_EEDaS1H_S1I_EUlS1H_E_NS1_11comp_targetILNS1_3genE0ELNS1_11target_archE4294967295ELNS1_3gpuE0ELNS1_3repE0EEENS1_30default_config_static_selectorELNS0_4arch9wavefront6targetE1EEEvSV_: ; @_ZN7rocprim17ROCPRIM_400000_NS6detail17trampoline_kernelINS0_13select_configILj256ELj13ELNS0_17block_load_methodE3ELS4_3ELS4_3ELNS0_20block_scan_algorithmE0ELj4294967295EEENS1_25partition_config_selectorILNS1_17partition_subalgoE3EjNS0_10empty_typeEbEEZZNS1_14partition_implILS8_3ELb0ES6_jNS0_17counting_iteratorIjlEEPS9_SE_NS0_5tupleIJPjSE_EEENSF_IJSE_SE_EEES9_SG_JZNS1_25segmented_radix_sort_implINS0_14default_configELb0EPKlPlSM_SN_N2at6native12_GLOBAL__N_18offset_tEEE10hipError_tPvRmT1_PNSt15iterator_traitsISV_E10value_typeET2_T3_PNSW_IS11_E10value_typeET4_jRbjT5_S17_jjP12ihipStream_tbEUljE_EEESS_ST_SU_S11_S15_S17_T6_T7_T9_mT8_S19_bDpT10_ENKUlT_T0_E_clISt17integral_constantIbLb1EES1M_EEDaS1H_S1I_EUlS1H_E_NS1_11comp_targetILNS1_3genE0ELNS1_11target_archE4294967295ELNS1_3gpuE0ELNS1_3repE0EEENS1_30default_config_static_selectorELNS0_4arch9wavefront6targetE1EEEvSV_
; %bb.0:
	.section	.rodata,"a",@progbits
	.p2align	6, 0x0
	.amdhsa_kernel _ZN7rocprim17ROCPRIM_400000_NS6detail17trampoline_kernelINS0_13select_configILj256ELj13ELNS0_17block_load_methodE3ELS4_3ELS4_3ELNS0_20block_scan_algorithmE0ELj4294967295EEENS1_25partition_config_selectorILNS1_17partition_subalgoE3EjNS0_10empty_typeEbEEZZNS1_14partition_implILS8_3ELb0ES6_jNS0_17counting_iteratorIjlEEPS9_SE_NS0_5tupleIJPjSE_EEENSF_IJSE_SE_EEES9_SG_JZNS1_25segmented_radix_sort_implINS0_14default_configELb0EPKlPlSM_SN_N2at6native12_GLOBAL__N_18offset_tEEE10hipError_tPvRmT1_PNSt15iterator_traitsISV_E10value_typeET2_T3_PNSW_IS11_E10value_typeET4_jRbjT5_S17_jjP12ihipStream_tbEUljE_EEESS_ST_SU_S11_S15_S17_T6_T7_T9_mT8_S19_bDpT10_ENKUlT_T0_E_clISt17integral_constantIbLb1EES1M_EEDaS1H_S1I_EUlS1H_E_NS1_11comp_targetILNS1_3genE0ELNS1_11target_archE4294967295ELNS1_3gpuE0ELNS1_3repE0EEENS1_30default_config_static_selectorELNS0_4arch9wavefront6targetE1EEEvSV_
		.amdhsa_group_segment_fixed_size 0
		.amdhsa_private_segment_fixed_size 0
		.amdhsa_kernarg_size 152
		.amdhsa_user_sgpr_count 6
		.amdhsa_user_sgpr_private_segment_buffer 1
		.amdhsa_user_sgpr_dispatch_ptr 0
		.amdhsa_user_sgpr_queue_ptr 0
		.amdhsa_user_sgpr_kernarg_segment_ptr 1
		.amdhsa_user_sgpr_dispatch_id 0
		.amdhsa_user_sgpr_flat_scratch_init 0
		.amdhsa_user_sgpr_private_segment_size 0
		.amdhsa_uses_dynamic_stack 0
		.amdhsa_system_sgpr_private_segment_wavefront_offset 0
		.amdhsa_system_sgpr_workgroup_id_x 1
		.amdhsa_system_sgpr_workgroup_id_y 0
		.amdhsa_system_sgpr_workgroup_id_z 0
		.amdhsa_system_sgpr_workgroup_info 0
		.amdhsa_system_vgpr_workitem_id 0
		.amdhsa_next_free_vgpr 1
		.amdhsa_next_free_sgpr 0
		.amdhsa_reserve_vcc 0
		.amdhsa_reserve_flat_scratch 0
		.amdhsa_float_round_mode_32 0
		.amdhsa_float_round_mode_16_64 0
		.amdhsa_float_denorm_mode_32 3
		.amdhsa_float_denorm_mode_16_64 3
		.amdhsa_dx10_clamp 1
		.amdhsa_ieee_mode 1
		.amdhsa_fp16_overflow 0
		.amdhsa_exception_fp_ieee_invalid_op 0
		.amdhsa_exception_fp_denorm_src 0
		.amdhsa_exception_fp_ieee_div_zero 0
		.amdhsa_exception_fp_ieee_overflow 0
		.amdhsa_exception_fp_ieee_underflow 0
		.amdhsa_exception_fp_ieee_inexact 0
		.amdhsa_exception_int_div_zero 0
	.end_amdhsa_kernel
	.section	.text._ZN7rocprim17ROCPRIM_400000_NS6detail17trampoline_kernelINS0_13select_configILj256ELj13ELNS0_17block_load_methodE3ELS4_3ELS4_3ELNS0_20block_scan_algorithmE0ELj4294967295EEENS1_25partition_config_selectorILNS1_17partition_subalgoE3EjNS0_10empty_typeEbEEZZNS1_14partition_implILS8_3ELb0ES6_jNS0_17counting_iteratorIjlEEPS9_SE_NS0_5tupleIJPjSE_EEENSF_IJSE_SE_EEES9_SG_JZNS1_25segmented_radix_sort_implINS0_14default_configELb0EPKlPlSM_SN_N2at6native12_GLOBAL__N_18offset_tEEE10hipError_tPvRmT1_PNSt15iterator_traitsISV_E10value_typeET2_T3_PNSW_IS11_E10value_typeET4_jRbjT5_S17_jjP12ihipStream_tbEUljE_EEESS_ST_SU_S11_S15_S17_T6_T7_T9_mT8_S19_bDpT10_ENKUlT_T0_E_clISt17integral_constantIbLb1EES1M_EEDaS1H_S1I_EUlS1H_E_NS1_11comp_targetILNS1_3genE0ELNS1_11target_archE4294967295ELNS1_3gpuE0ELNS1_3repE0EEENS1_30default_config_static_selectorELNS0_4arch9wavefront6targetE1EEEvSV_,"axG",@progbits,_ZN7rocprim17ROCPRIM_400000_NS6detail17trampoline_kernelINS0_13select_configILj256ELj13ELNS0_17block_load_methodE3ELS4_3ELS4_3ELNS0_20block_scan_algorithmE0ELj4294967295EEENS1_25partition_config_selectorILNS1_17partition_subalgoE3EjNS0_10empty_typeEbEEZZNS1_14partition_implILS8_3ELb0ES6_jNS0_17counting_iteratorIjlEEPS9_SE_NS0_5tupleIJPjSE_EEENSF_IJSE_SE_EEES9_SG_JZNS1_25segmented_radix_sort_implINS0_14default_configELb0EPKlPlSM_SN_N2at6native12_GLOBAL__N_18offset_tEEE10hipError_tPvRmT1_PNSt15iterator_traitsISV_E10value_typeET2_T3_PNSW_IS11_E10value_typeET4_jRbjT5_S17_jjP12ihipStream_tbEUljE_EEESS_ST_SU_S11_S15_S17_T6_T7_T9_mT8_S19_bDpT10_ENKUlT_T0_E_clISt17integral_constantIbLb1EES1M_EEDaS1H_S1I_EUlS1H_E_NS1_11comp_targetILNS1_3genE0ELNS1_11target_archE4294967295ELNS1_3gpuE0ELNS1_3repE0EEENS1_30default_config_static_selectorELNS0_4arch9wavefront6targetE1EEEvSV_,comdat
.Lfunc_end783:
	.size	_ZN7rocprim17ROCPRIM_400000_NS6detail17trampoline_kernelINS0_13select_configILj256ELj13ELNS0_17block_load_methodE3ELS4_3ELS4_3ELNS0_20block_scan_algorithmE0ELj4294967295EEENS1_25partition_config_selectorILNS1_17partition_subalgoE3EjNS0_10empty_typeEbEEZZNS1_14partition_implILS8_3ELb0ES6_jNS0_17counting_iteratorIjlEEPS9_SE_NS0_5tupleIJPjSE_EEENSF_IJSE_SE_EEES9_SG_JZNS1_25segmented_radix_sort_implINS0_14default_configELb0EPKlPlSM_SN_N2at6native12_GLOBAL__N_18offset_tEEE10hipError_tPvRmT1_PNSt15iterator_traitsISV_E10value_typeET2_T3_PNSW_IS11_E10value_typeET4_jRbjT5_S17_jjP12ihipStream_tbEUljE_EEESS_ST_SU_S11_S15_S17_T6_T7_T9_mT8_S19_bDpT10_ENKUlT_T0_E_clISt17integral_constantIbLb1EES1M_EEDaS1H_S1I_EUlS1H_E_NS1_11comp_targetILNS1_3genE0ELNS1_11target_archE4294967295ELNS1_3gpuE0ELNS1_3repE0EEENS1_30default_config_static_selectorELNS0_4arch9wavefront6targetE1EEEvSV_, .Lfunc_end783-_ZN7rocprim17ROCPRIM_400000_NS6detail17trampoline_kernelINS0_13select_configILj256ELj13ELNS0_17block_load_methodE3ELS4_3ELS4_3ELNS0_20block_scan_algorithmE0ELj4294967295EEENS1_25partition_config_selectorILNS1_17partition_subalgoE3EjNS0_10empty_typeEbEEZZNS1_14partition_implILS8_3ELb0ES6_jNS0_17counting_iteratorIjlEEPS9_SE_NS0_5tupleIJPjSE_EEENSF_IJSE_SE_EEES9_SG_JZNS1_25segmented_radix_sort_implINS0_14default_configELb0EPKlPlSM_SN_N2at6native12_GLOBAL__N_18offset_tEEE10hipError_tPvRmT1_PNSt15iterator_traitsISV_E10value_typeET2_T3_PNSW_IS11_E10value_typeET4_jRbjT5_S17_jjP12ihipStream_tbEUljE_EEESS_ST_SU_S11_S15_S17_T6_T7_T9_mT8_S19_bDpT10_ENKUlT_T0_E_clISt17integral_constantIbLb1EES1M_EEDaS1H_S1I_EUlS1H_E_NS1_11comp_targetILNS1_3genE0ELNS1_11target_archE4294967295ELNS1_3gpuE0ELNS1_3repE0EEENS1_30default_config_static_selectorELNS0_4arch9wavefront6targetE1EEEvSV_
                                        ; -- End function
	.set _ZN7rocprim17ROCPRIM_400000_NS6detail17trampoline_kernelINS0_13select_configILj256ELj13ELNS0_17block_load_methodE3ELS4_3ELS4_3ELNS0_20block_scan_algorithmE0ELj4294967295EEENS1_25partition_config_selectorILNS1_17partition_subalgoE3EjNS0_10empty_typeEbEEZZNS1_14partition_implILS8_3ELb0ES6_jNS0_17counting_iteratorIjlEEPS9_SE_NS0_5tupleIJPjSE_EEENSF_IJSE_SE_EEES9_SG_JZNS1_25segmented_radix_sort_implINS0_14default_configELb0EPKlPlSM_SN_N2at6native12_GLOBAL__N_18offset_tEEE10hipError_tPvRmT1_PNSt15iterator_traitsISV_E10value_typeET2_T3_PNSW_IS11_E10value_typeET4_jRbjT5_S17_jjP12ihipStream_tbEUljE_EEESS_ST_SU_S11_S15_S17_T6_T7_T9_mT8_S19_bDpT10_ENKUlT_T0_E_clISt17integral_constantIbLb1EES1M_EEDaS1H_S1I_EUlS1H_E_NS1_11comp_targetILNS1_3genE0ELNS1_11target_archE4294967295ELNS1_3gpuE0ELNS1_3repE0EEENS1_30default_config_static_selectorELNS0_4arch9wavefront6targetE1EEEvSV_.num_vgpr, 0
	.set _ZN7rocprim17ROCPRIM_400000_NS6detail17trampoline_kernelINS0_13select_configILj256ELj13ELNS0_17block_load_methodE3ELS4_3ELS4_3ELNS0_20block_scan_algorithmE0ELj4294967295EEENS1_25partition_config_selectorILNS1_17partition_subalgoE3EjNS0_10empty_typeEbEEZZNS1_14partition_implILS8_3ELb0ES6_jNS0_17counting_iteratorIjlEEPS9_SE_NS0_5tupleIJPjSE_EEENSF_IJSE_SE_EEES9_SG_JZNS1_25segmented_radix_sort_implINS0_14default_configELb0EPKlPlSM_SN_N2at6native12_GLOBAL__N_18offset_tEEE10hipError_tPvRmT1_PNSt15iterator_traitsISV_E10value_typeET2_T3_PNSW_IS11_E10value_typeET4_jRbjT5_S17_jjP12ihipStream_tbEUljE_EEESS_ST_SU_S11_S15_S17_T6_T7_T9_mT8_S19_bDpT10_ENKUlT_T0_E_clISt17integral_constantIbLb1EES1M_EEDaS1H_S1I_EUlS1H_E_NS1_11comp_targetILNS1_3genE0ELNS1_11target_archE4294967295ELNS1_3gpuE0ELNS1_3repE0EEENS1_30default_config_static_selectorELNS0_4arch9wavefront6targetE1EEEvSV_.num_agpr, 0
	.set _ZN7rocprim17ROCPRIM_400000_NS6detail17trampoline_kernelINS0_13select_configILj256ELj13ELNS0_17block_load_methodE3ELS4_3ELS4_3ELNS0_20block_scan_algorithmE0ELj4294967295EEENS1_25partition_config_selectorILNS1_17partition_subalgoE3EjNS0_10empty_typeEbEEZZNS1_14partition_implILS8_3ELb0ES6_jNS0_17counting_iteratorIjlEEPS9_SE_NS0_5tupleIJPjSE_EEENSF_IJSE_SE_EEES9_SG_JZNS1_25segmented_radix_sort_implINS0_14default_configELb0EPKlPlSM_SN_N2at6native12_GLOBAL__N_18offset_tEEE10hipError_tPvRmT1_PNSt15iterator_traitsISV_E10value_typeET2_T3_PNSW_IS11_E10value_typeET4_jRbjT5_S17_jjP12ihipStream_tbEUljE_EEESS_ST_SU_S11_S15_S17_T6_T7_T9_mT8_S19_bDpT10_ENKUlT_T0_E_clISt17integral_constantIbLb1EES1M_EEDaS1H_S1I_EUlS1H_E_NS1_11comp_targetILNS1_3genE0ELNS1_11target_archE4294967295ELNS1_3gpuE0ELNS1_3repE0EEENS1_30default_config_static_selectorELNS0_4arch9wavefront6targetE1EEEvSV_.numbered_sgpr, 0
	.set _ZN7rocprim17ROCPRIM_400000_NS6detail17trampoline_kernelINS0_13select_configILj256ELj13ELNS0_17block_load_methodE3ELS4_3ELS4_3ELNS0_20block_scan_algorithmE0ELj4294967295EEENS1_25partition_config_selectorILNS1_17partition_subalgoE3EjNS0_10empty_typeEbEEZZNS1_14partition_implILS8_3ELb0ES6_jNS0_17counting_iteratorIjlEEPS9_SE_NS0_5tupleIJPjSE_EEENSF_IJSE_SE_EEES9_SG_JZNS1_25segmented_radix_sort_implINS0_14default_configELb0EPKlPlSM_SN_N2at6native12_GLOBAL__N_18offset_tEEE10hipError_tPvRmT1_PNSt15iterator_traitsISV_E10value_typeET2_T3_PNSW_IS11_E10value_typeET4_jRbjT5_S17_jjP12ihipStream_tbEUljE_EEESS_ST_SU_S11_S15_S17_T6_T7_T9_mT8_S19_bDpT10_ENKUlT_T0_E_clISt17integral_constantIbLb1EES1M_EEDaS1H_S1I_EUlS1H_E_NS1_11comp_targetILNS1_3genE0ELNS1_11target_archE4294967295ELNS1_3gpuE0ELNS1_3repE0EEENS1_30default_config_static_selectorELNS0_4arch9wavefront6targetE1EEEvSV_.num_named_barrier, 0
	.set _ZN7rocprim17ROCPRIM_400000_NS6detail17trampoline_kernelINS0_13select_configILj256ELj13ELNS0_17block_load_methodE3ELS4_3ELS4_3ELNS0_20block_scan_algorithmE0ELj4294967295EEENS1_25partition_config_selectorILNS1_17partition_subalgoE3EjNS0_10empty_typeEbEEZZNS1_14partition_implILS8_3ELb0ES6_jNS0_17counting_iteratorIjlEEPS9_SE_NS0_5tupleIJPjSE_EEENSF_IJSE_SE_EEES9_SG_JZNS1_25segmented_radix_sort_implINS0_14default_configELb0EPKlPlSM_SN_N2at6native12_GLOBAL__N_18offset_tEEE10hipError_tPvRmT1_PNSt15iterator_traitsISV_E10value_typeET2_T3_PNSW_IS11_E10value_typeET4_jRbjT5_S17_jjP12ihipStream_tbEUljE_EEESS_ST_SU_S11_S15_S17_T6_T7_T9_mT8_S19_bDpT10_ENKUlT_T0_E_clISt17integral_constantIbLb1EES1M_EEDaS1H_S1I_EUlS1H_E_NS1_11comp_targetILNS1_3genE0ELNS1_11target_archE4294967295ELNS1_3gpuE0ELNS1_3repE0EEENS1_30default_config_static_selectorELNS0_4arch9wavefront6targetE1EEEvSV_.private_seg_size, 0
	.set _ZN7rocprim17ROCPRIM_400000_NS6detail17trampoline_kernelINS0_13select_configILj256ELj13ELNS0_17block_load_methodE3ELS4_3ELS4_3ELNS0_20block_scan_algorithmE0ELj4294967295EEENS1_25partition_config_selectorILNS1_17partition_subalgoE3EjNS0_10empty_typeEbEEZZNS1_14partition_implILS8_3ELb0ES6_jNS0_17counting_iteratorIjlEEPS9_SE_NS0_5tupleIJPjSE_EEENSF_IJSE_SE_EEES9_SG_JZNS1_25segmented_radix_sort_implINS0_14default_configELb0EPKlPlSM_SN_N2at6native12_GLOBAL__N_18offset_tEEE10hipError_tPvRmT1_PNSt15iterator_traitsISV_E10value_typeET2_T3_PNSW_IS11_E10value_typeET4_jRbjT5_S17_jjP12ihipStream_tbEUljE_EEESS_ST_SU_S11_S15_S17_T6_T7_T9_mT8_S19_bDpT10_ENKUlT_T0_E_clISt17integral_constantIbLb1EES1M_EEDaS1H_S1I_EUlS1H_E_NS1_11comp_targetILNS1_3genE0ELNS1_11target_archE4294967295ELNS1_3gpuE0ELNS1_3repE0EEENS1_30default_config_static_selectorELNS0_4arch9wavefront6targetE1EEEvSV_.uses_vcc, 0
	.set _ZN7rocprim17ROCPRIM_400000_NS6detail17trampoline_kernelINS0_13select_configILj256ELj13ELNS0_17block_load_methodE3ELS4_3ELS4_3ELNS0_20block_scan_algorithmE0ELj4294967295EEENS1_25partition_config_selectorILNS1_17partition_subalgoE3EjNS0_10empty_typeEbEEZZNS1_14partition_implILS8_3ELb0ES6_jNS0_17counting_iteratorIjlEEPS9_SE_NS0_5tupleIJPjSE_EEENSF_IJSE_SE_EEES9_SG_JZNS1_25segmented_radix_sort_implINS0_14default_configELb0EPKlPlSM_SN_N2at6native12_GLOBAL__N_18offset_tEEE10hipError_tPvRmT1_PNSt15iterator_traitsISV_E10value_typeET2_T3_PNSW_IS11_E10value_typeET4_jRbjT5_S17_jjP12ihipStream_tbEUljE_EEESS_ST_SU_S11_S15_S17_T6_T7_T9_mT8_S19_bDpT10_ENKUlT_T0_E_clISt17integral_constantIbLb1EES1M_EEDaS1H_S1I_EUlS1H_E_NS1_11comp_targetILNS1_3genE0ELNS1_11target_archE4294967295ELNS1_3gpuE0ELNS1_3repE0EEENS1_30default_config_static_selectorELNS0_4arch9wavefront6targetE1EEEvSV_.uses_flat_scratch, 0
	.set _ZN7rocprim17ROCPRIM_400000_NS6detail17trampoline_kernelINS0_13select_configILj256ELj13ELNS0_17block_load_methodE3ELS4_3ELS4_3ELNS0_20block_scan_algorithmE0ELj4294967295EEENS1_25partition_config_selectorILNS1_17partition_subalgoE3EjNS0_10empty_typeEbEEZZNS1_14partition_implILS8_3ELb0ES6_jNS0_17counting_iteratorIjlEEPS9_SE_NS0_5tupleIJPjSE_EEENSF_IJSE_SE_EEES9_SG_JZNS1_25segmented_radix_sort_implINS0_14default_configELb0EPKlPlSM_SN_N2at6native12_GLOBAL__N_18offset_tEEE10hipError_tPvRmT1_PNSt15iterator_traitsISV_E10value_typeET2_T3_PNSW_IS11_E10value_typeET4_jRbjT5_S17_jjP12ihipStream_tbEUljE_EEESS_ST_SU_S11_S15_S17_T6_T7_T9_mT8_S19_bDpT10_ENKUlT_T0_E_clISt17integral_constantIbLb1EES1M_EEDaS1H_S1I_EUlS1H_E_NS1_11comp_targetILNS1_3genE0ELNS1_11target_archE4294967295ELNS1_3gpuE0ELNS1_3repE0EEENS1_30default_config_static_selectorELNS0_4arch9wavefront6targetE1EEEvSV_.has_dyn_sized_stack, 0
	.set _ZN7rocprim17ROCPRIM_400000_NS6detail17trampoline_kernelINS0_13select_configILj256ELj13ELNS0_17block_load_methodE3ELS4_3ELS4_3ELNS0_20block_scan_algorithmE0ELj4294967295EEENS1_25partition_config_selectorILNS1_17partition_subalgoE3EjNS0_10empty_typeEbEEZZNS1_14partition_implILS8_3ELb0ES6_jNS0_17counting_iteratorIjlEEPS9_SE_NS0_5tupleIJPjSE_EEENSF_IJSE_SE_EEES9_SG_JZNS1_25segmented_radix_sort_implINS0_14default_configELb0EPKlPlSM_SN_N2at6native12_GLOBAL__N_18offset_tEEE10hipError_tPvRmT1_PNSt15iterator_traitsISV_E10value_typeET2_T3_PNSW_IS11_E10value_typeET4_jRbjT5_S17_jjP12ihipStream_tbEUljE_EEESS_ST_SU_S11_S15_S17_T6_T7_T9_mT8_S19_bDpT10_ENKUlT_T0_E_clISt17integral_constantIbLb1EES1M_EEDaS1H_S1I_EUlS1H_E_NS1_11comp_targetILNS1_3genE0ELNS1_11target_archE4294967295ELNS1_3gpuE0ELNS1_3repE0EEENS1_30default_config_static_selectorELNS0_4arch9wavefront6targetE1EEEvSV_.has_recursion, 0
	.set _ZN7rocprim17ROCPRIM_400000_NS6detail17trampoline_kernelINS0_13select_configILj256ELj13ELNS0_17block_load_methodE3ELS4_3ELS4_3ELNS0_20block_scan_algorithmE0ELj4294967295EEENS1_25partition_config_selectorILNS1_17partition_subalgoE3EjNS0_10empty_typeEbEEZZNS1_14partition_implILS8_3ELb0ES6_jNS0_17counting_iteratorIjlEEPS9_SE_NS0_5tupleIJPjSE_EEENSF_IJSE_SE_EEES9_SG_JZNS1_25segmented_radix_sort_implINS0_14default_configELb0EPKlPlSM_SN_N2at6native12_GLOBAL__N_18offset_tEEE10hipError_tPvRmT1_PNSt15iterator_traitsISV_E10value_typeET2_T3_PNSW_IS11_E10value_typeET4_jRbjT5_S17_jjP12ihipStream_tbEUljE_EEESS_ST_SU_S11_S15_S17_T6_T7_T9_mT8_S19_bDpT10_ENKUlT_T0_E_clISt17integral_constantIbLb1EES1M_EEDaS1H_S1I_EUlS1H_E_NS1_11comp_targetILNS1_3genE0ELNS1_11target_archE4294967295ELNS1_3gpuE0ELNS1_3repE0EEENS1_30default_config_static_selectorELNS0_4arch9wavefront6targetE1EEEvSV_.has_indirect_call, 0
	.section	.AMDGPU.csdata,"",@progbits
; Kernel info:
; codeLenInByte = 0
; TotalNumSgprs: 4
; NumVgprs: 0
; ScratchSize: 0
; MemoryBound: 0
; FloatMode: 240
; IeeeMode: 1
; LDSByteSize: 0 bytes/workgroup (compile time only)
; SGPRBlocks: 0
; VGPRBlocks: 0
; NumSGPRsForWavesPerEU: 4
; NumVGPRsForWavesPerEU: 1
; Occupancy: 10
; WaveLimiterHint : 0
; COMPUTE_PGM_RSRC2:SCRATCH_EN: 0
; COMPUTE_PGM_RSRC2:USER_SGPR: 6
; COMPUTE_PGM_RSRC2:TRAP_HANDLER: 0
; COMPUTE_PGM_RSRC2:TGID_X_EN: 1
; COMPUTE_PGM_RSRC2:TGID_Y_EN: 0
; COMPUTE_PGM_RSRC2:TGID_Z_EN: 0
; COMPUTE_PGM_RSRC2:TIDIG_COMP_CNT: 0
	.section	.text._ZN7rocprim17ROCPRIM_400000_NS6detail17trampoline_kernelINS0_13select_configILj256ELj13ELNS0_17block_load_methodE3ELS4_3ELS4_3ELNS0_20block_scan_algorithmE0ELj4294967295EEENS1_25partition_config_selectorILNS1_17partition_subalgoE3EjNS0_10empty_typeEbEEZZNS1_14partition_implILS8_3ELb0ES6_jNS0_17counting_iteratorIjlEEPS9_SE_NS0_5tupleIJPjSE_EEENSF_IJSE_SE_EEES9_SG_JZNS1_25segmented_radix_sort_implINS0_14default_configELb0EPKlPlSM_SN_N2at6native12_GLOBAL__N_18offset_tEEE10hipError_tPvRmT1_PNSt15iterator_traitsISV_E10value_typeET2_T3_PNSW_IS11_E10value_typeET4_jRbjT5_S17_jjP12ihipStream_tbEUljE_EEESS_ST_SU_S11_S15_S17_T6_T7_T9_mT8_S19_bDpT10_ENKUlT_T0_E_clISt17integral_constantIbLb1EES1M_EEDaS1H_S1I_EUlS1H_E_NS1_11comp_targetILNS1_3genE5ELNS1_11target_archE942ELNS1_3gpuE9ELNS1_3repE0EEENS1_30default_config_static_selectorELNS0_4arch9wavefront6targetE1EEEvSV_,"axG",@progbits,_ZN7rocprim17ROCPRIM_400000_NS6detail17trampoline_kernelINS0_13select_configILj256ELj13ELNS0_17block_load_methodE3ELS4_3ELS4_3ELNS0_20block_scan_algorithmE0ELj4294967295EEENS1_25partition_config_selectorILNS1_17partition_subalgoE3EjNS0_10empty_typeEbEEZZNS1_14partition_implILS8_3ELb0ES6_jNS0_17counting_iteratorIjlEEPS9_SE_NS0_5tupleIJPjSE_EEENSF_IJSE_SE_EEES9_SG_JZNS1_25segmented_radix_sort_implINS0_14default_configELb0EPKlPlSM_SN_N2at6native12_GLOBAL__N_18offset_tEEE10hipError_tPvRmT1_PNSt15iterator_traitsISV_E10value_typeET2_T3_PNSW_IS11_E10value_typeET4_jRbjT5_S17_jjP12ihipStream_tbEUljE_EEESS_ST_SU_S11_S15_S17_T6_T7_T9_mT8_S19_bDpT10_ENKUlT_T0_E_clISt17integral_constantIbLb1EES1M_EEDaS1H_S1I_EUlS1H_E_NS1_11comp_targetILNS1_3genE5ELNS1_11target_archE942ELNS1_3gpuE9ELNS1_3repE0EEENS1_30default_config_static_selectorELNS0_4arch9wavefront6targetE1EEEvSV_,comdat
	.globl	_ZN7rocprim17ROCPRIM_400000_NS6detail17trampoline_kernelINS0_13select_configILj256ELj13ELNS0_17block_load_methodE3ELS4_3ELS4_3ELNS0_20block_scan_algorithmE0ELj4294967295EEENS1_25partition_config_selectorILNS1_17partition_subalgoE3EjNS0_10empty_typeEbEEZZNS1_14partition_implILS8_3ELb0ES6_jNS0_17counting_iteratorIjlEEPS9_SE_NS0_5tupleIJPjSE_EEENSF_IJSE_SE_EEES9_SG_JZNS1_25segmented_radix_sort_implINS0_14default_configELb0EPKlPlSM_SN_N2at6native12_GLOBAL__N_18offset_tEEE10hipError_tPvRmT1_PNSt15iterator_traitsISV_E10value_typeET2_T3_PNSW_IS11_E10value_typeET4_jRbjT5_S17_jjP12ihipStream_tbEUljE_EEESS_ST_SU_S11_S15_S17_T6_T7_T9_mT8_S19_bDpT10_ENKUlT_T0_E_clISt17integral_constantIbLb1EES1M_EEDaS1H_S1I_EUlS1H_E_NS1_11comp_targetILNS1_3genE5ELNS1_11target_archE942ELNS1_3gpuE9ELNS1_3repE0EEENS1_30default_config_static_selectorELNS0_4arch9wavefront6targetE1EEEvSV_ ; -- Begin function _ZN7rocprim17ROCPRIM_400000_NS6detail17trampoline_kernelINS0_13select_configILj256ELj13ELNS0_17block_load_methodE3ELS4_3ELS4_3ELNS0_20block_scan_algorithmE0ELj4294967295EEENS1_25partition_config_selectorILNS1_17partition_subalgoE3EjNS0_10empty_typeEbEEZZNS1_14partition_implILS8_3ELb0ES6_jNS0_17counting_iteratorIjlEEPS9_SE_NS0_5tupleIJPjSE_EEENSF_IJSE_SE_EEES9_SG_JZNS1_25segmented_radix_sort_implINS0_14default_configELb0EPKlPlSM_SN_N2at6native12_GLOBAL__N_18offset_tEEE10hipError_tPvRmT1_PNSt15iterator_traitsISV_E10value_typeET2_T3_PNSW_IS11_E10value_typeET4_jRbjT5_S17_jjP12ihipStream_tbEUljE_EEESS_ST_SU_S11_S15_S17_T6_T7_T9_mT8_S19_bDpT10_ENKUlT_T0_E_clISt17integral_constantIbLb1EES1M_EEDaS1H_S1I_EUlS1H_E_NS1_11comp_targetILNS1_3genE5ELNS1_11target_archE942ELNS1_3gpuE9ELNS1_3repE0EEENS1_30default_config_static_selectorELNS0_4arch9wavefront6targetE1EEEvSV_
	.p2align	8
	.type	_ZN7rocprim17ROCPRIM_400000_NS6detail17trampoline_kernelINS0_13select_configILj256ELj13ELNS0_17block_load_methodE3ELS4_3ELS4_3ELNS0_20block_scan_algorithmE0ELj4294967295EEENS1_25partition_config_selectorILNS1_17partition_subalgoE3EjNS0_10empty_typeEbEEZZNS1_14partition_implILS8_3ELb0ES6_jNS0_17counting_iteratorIjlEEPS9_SE_NS0_5tupleIJPjSE_EEENSF_IJSE_SE_EEES9_SG_JZNS1_25segmented_radix_sort_implINS0_14default_configELb0EPKlPlSM_SN_N2at6native12_GLOBAL__N_18offset_tEEE10hipError_tPvRmT1_PNSt15iterator_traitsISV_E10value_typeET2_T3_PNSW_IS11_E10value_typeET4_jRbjT5_S17_jjP12ihipStream_tbEUljE_EEESS_ST_SU_S11_S15_S17_T6_T7_T9_mT8_S19_bDpT10_ENKUlT_T0_E_clISt17integral_constantIbLb1EES1M_EEDaS1H_S1I_EUlS1H_E_NS1_11comp_targetILNS1_3genE5ELNS1_11target_archE942ELNS1_3gpuE9ELNS1_3repE0EEENS1_30default_config_static_selectorELNS0_4arch9wavefront6targetE1EEEvSV_,@function
_ZN7rocprim17ROCPRIM_400000_NS6detail17trampoline_kernelINS0_13select_configILj256ELj13ELNS0_17block_load_methodE3ELS4_3ELS4_3ELNS0_20block_scan_algorithmE0ELj4294967295EEENS1_25partition_config_selectorILNS1_17partition_subalgoE3EjNS0_10empty_typeEbEEZZNS1_14partition_implILS8_3ELb0ES6_jNS0_17counting_iteratorIjlEEPS9_SE_NS0_5tupleIJPjSE_EEENSF_IJSE_SE_EEES9_SG_JZNS1_25segmented_radix_sort_implINS0_14default_configELb0EPKlPlSM_SN_N2at6native12_GLOBAL__N_18offset_tEEE10hipError_tPvRmT1_PNSt15iterator_traitsISV_E10value_typeET2_T3_PNSW_IS11_E10value_typeET4_jRbjT5_S17_jjP12ihipStream_tbEUljE_EEESS_ST_SU_S11_S15_S17_T6_T7_T9_mT8_S19_bDpT10_ENKUlT_T0_E_clISt17integral_constantIbLb1EES1M_EEDaS1H_S1I_EUlS1H_E_NS1_11comp_targetILNS1_3genE5ELNS1_11target_archE942ELNS1_3gpuE9ELNS1_3repE0EEENS1_30default_config_static_selectorELNS0_4arch9wavefront6targetE1EEEvSV_: ; @_ZN7rocprim17ROCPRIM_400000_NS6detail17trampoline_kernelINS0_13select_configILj256ELj13ELNS0_17block_load_methodE3ELS4_3ELS4_3ELNS0_20block_scan_algorithmE0ELj4294967295EEENS1_25partition_config_selectorILNS1_17partition_subalgoE3EjNS0_10empty_typeEbEEZZNS1_14partition_implILS8_3ELb0ES6_jNS0_17counting_iteratorIjlEEPS9_SE_NS0_5tupleIJPjSE_EEENSF_IJSE_SE_EEES9_SG_JZNS1_25segmented_radix_sort_implINS0_14default_configELb0EPKlPlSM_SN_N2at6native12_GLOBAL__N_18offset_tEEE10hipError_tPvRmT1_PNSt15iterator_traitsISV_E10value_typeET2_T3_PNSW_IS11_E10value_typeET4_jRbjT5_S17_jjP12ihipStream_tbEUljE_EEESS_ST_SU_S11_S15_S17_T6_T7_T9_mT8_S19_bDpT10_ENKUlT_T0_E_clISt17integral_constantIbLb1EES1M_EEDaS1H_S1I_EUlS1H_E_NS1_11comp_targetILNS1_3genE5ELNS1_11target_archE942ELNS1_3gpuE9ELNS1_3repE0EEENS1_30default_config_static_selectorELNS0_4arch9wavefront6targetE1EEEvSV_
; %bb.0:
	.section	.rodata,"a",@progbits
	.p2align	6, 0x0
	.amdhsa_kernel _ZN7rocprim17ROCPRIM_400000_NS6detail17trampoline_kernelINS0_13select_configILj256ELj13ELNS0_17block_load_methodE3ELS4_3ELS4_3ELNS0_20block_scan_algorithmE0ELj4294967295EEENS1_25partition_config_selectorILNS1_17partition_subalgoE3EjNS0_10empty_typeEbEEZZNS1_14partition_implILS8_3ELb0ES6_jNS0_17counting_iteratorIjlEEPS9_SE_NS0_5tupleIJPjSE_EEENSF_IJSE_SE_EEES9_SG_JZNS1_25segmented_radix_sort_implINS0_14default_configELb0EPKlPlSM_SN_N2at6native12_GLOBAL__N_18offset_tEEE10hipError_tPvRmT1_PNSt15iterator_traitsISV_E10value_typeET2_T3_PNSW_IS11_E10value_typeET4_jRbjT5_S17_jjP12ihipStream_tbEUljE_EEESS_ST_SU_S11_S15_S17_T6_T7_T9_mT8_S19_bDpT10_ENKUlT_T0_E_clISt17integral_constantIbLb1EES1M_EEDaS1H_S1I_EUlS1H_E_NS1_11comp_targetILNS1_3genE5ELNS1_11target_archE942ELNS1_3gpuE9ELNS1_3repE0EEENS1_30default_config_static_selectorELNS0_4arch9wavefront6targetE1EEEvSV_
		.amdhsa_group_segment_fixed_size 0
		.amdhsa_private_segment_fixed_size 0
		.amdhsa_kernarg_size 152
		.amdhsa_user_sgpr_count 6
		.amdhsa_user_sgpr_private_segment_buffer 1
		.amdhsa_user_sgpr_dispatch_ptr 0
		.amdhsa_user_sgpr_queue_ptr 0
		.amdhsa_user_sgpr_kernarg_segment_ptr 1
		.amdhsa_user_sgpr_dispatch_id 0
		.amdhsa_user_sgpr_flat_scratch_init 0
		.amdhsa_user_sgpr_private_segment_size 0
		.amdhsa_uses_dynamic_stack 0
		.amdhsa_system_sgpr_private_segment_wavefront_offset 0
		.amdhsa_system_sgpr_workgroup_id_x 1
		.amdhsa_system_sgpr_workgroup_id_y 0
		.amdhsa_system_sgpr_workgroup_id_z 0
		.amdhsa_system_sgpr_workgroup_info 0
		.amdhsa_system_vgpr_workitem_id 0
		.amdhsa_next_free_vgpr 1
		.amdhsa_next_free_sgpr 0
		.amdhsa_reserve_vcc 0
		.amdhsa_reserve_flat_scratch 0
		.amdhsa_float_round_mode_32 0
		.amdhsa_float_round_mode_16_64 0
		.amdhsa_float_denorm_mode_32 3
		.amdhsa_float_denorm_mode_16_64 3
		.amdhsa_dx10_clamp 1
		.amdhsa_ieee_mode 1
		.amdhsa_fp16_overflow 0
		.amdhsa_exception_fp_ieee_invalid_op 0
		.amdhsa_exception_fp_denorm_src 0
		.amdhsa_exception_fp_ieee_div_zero 0
		.amdhsa_exception_fp_ieee_overflow 0
		.amdhsa_exception_fp_ieee_underflow 0
		.amdhsa_exception_fp_ieee_inexact 0
		.amdhsa_exception_int_div_zero 0
	.end_amdhsa_kernel
	.section	.text._ZN7rocprim17ROCPRIM_400000_NS6detail17trampoline_kernelINS0_13select_configILj256ELj13ELNS0_17block_load_methodE3ELS4_3ELS4_3ELNS0_20block_scan_algorithmE0ELj4294967295EEENS1_25partition_config_selectorILNS1_17partition_subalgoE3EjNS0_10empty_typeEbEEZZNS1_14partition_implILS8_3ELb0ES6_jNS0_17counting_iteratorIjlEEPS9_SE_NS0_5tupleIJPjSE_EEENSF_IJSE_SE_EEES9_SG_JZNS1_25segmented_radix_sort_implINS0_14default_configELb0EPKlPlSM_SN_N2at6native12_GLOBAL__N_18offset_tEEE10hipError_tPvRmT1_PNSt15iterator_traitsISV_E10value_typeET2_T3_PNSW_IS11_E10value_typeET4_jRbjT5_S17_jjP12ihipStream_tbEUljE_EEESS_ST_SU_S11_S15_S17_T6_T7_T9_mT8_S19_bDpT10_ENKUlT_T0_E_clISt17integral_constantIbLb1EES1M_EEDaS1H_S1I_EUlS1H_E_NS1_11comp_targetILNS1_3genE5ELNS1_11target_archE942ELNS1_3gpuE9ELNS1_3repE0EEENS1_30default_config_static_selectorELNS0_4arch9wavefront6targetE1EEEvSV_,"axG",@progbits,_ZN7rocprim17ROCPRIM_400000_NS6detail17trampoline_kernelINS0_13select_configILj256ELj13ELNS0_17block_load_methodE3ELS4_3ELS4_3ELNS0_20block_scan_algorithmE0ELj4294967295EEENS1_25partition_config_selectorILNS1_17partition_subalgoE3EjNS0_10empty_typeEbEEZZNS1_14partition_implILS8_3ELb0ES6_jNS0_17counting_iteratorIjlEEPS9_SE_NS0_5tupleIJPjSE_EEENSF_IJSE_SE_EEES9_SG_JZNS1_25segmented_radix_sort_implINS0_14default_configELb0EPKlPlSM_SN_N2at6native12_GLOBAL__N_18offset_tEEE10hipError_tPvRmT1_PNSt15iterator_traitsISV_E10value_typeET2_T3_PNSW_IS11_E10value_typeET4_jRbjT5_S17_jjP12ihipStream_tbEUljE_EEESS_ST_SU_S11_S15_S17_T6_T7_T9_mT8_S19_bDpT10_ENKUlT_T0_E_clISt17integral_constantIbLb1EES1M_EEDaS1H_S1I_EUlS1H_E_NS1_11comp_targetILNS1_3genE5ELNS1_11target_archE942ELNS1_3gpuE9ELNS1_3repE0EEENS1_30default_config_static_selectorELNS0_4arch9wavefront6targetE1EEEvSV_,comdat
.Lfunc_end784:
	.size	_ZN7rocprim17ROCPRIM_400000_NS6detail17trampoline_kernelINS0_13select_configILj256ELj13ELNS0_17block_load_methodE3ELS4_3ELS4_3ELNS0_20block_scan_algorithmE0ELj4294967295EEENS1_25partition_config_selectorILNS1_17partition_subalgoE3EjNS0_10empty_typeEbEEZZNS1_14partition_implILS8_3ELb0ES6_jNS0_17counting_iteratorIjlEEPS9_SE_NS0_5tupleIJPjSE_EEENSF_IJSE_SE_EEES9_SG_JZNS1_25segmented_radix_sort_implINS0_14default_configELb0EPKlPlSM_SN_N2at6native12_GLOBAL__N_18offset_tEEE10hipError_tPvRmT1_PNSt15iterator_traitsISV_E10value_typeET2_T3_PNSW_IS11_E10value_typeET4_jRbjT5_S17_jjP12ihipStream_tbEUljE_EEESS_ST_SU_S11_S15_S17_T6_T7_T9_mT8_S19_bDpT10_ENKUlT_T0_E_clISt17integral_constantIbLb1EES1M_EEDaS1H_S1I_EUlS1H_E_NS1_11comp_targetILNS1_3genE5ELNS1_11target_archE942ELNS1_3gpuE9ELNS1_3repE0EEENS1_30default_config_static_selectorELNS0_4arch9wavefront6targetE1EEEvSV_, .Lfunc_end784-_ZN7rocprim17ROCPRIM_400000_NS6detail17trampoline_kernelINS0_13select_configILj256ELj13ELNS0_17block_load_methodE3ELS4_3ELS4_3ELNS0_20block_scan_algorithmE0ELj4294967295EEENS1_25partition_config_selectorILNS1_17partition_subalgoE3EjNS0_10empty_typeEbEEZZNS1_14partition_implILS8_3ELb0ES6_jNS0_17counting_iteratorIjlEEPS9_SE_NS0_5tupleIJPjSE_EEENSF_IJSE_SE_EEES9_SG_JZNS1_25segmented_radix_sort_implINS0_14default_configELb0EPKlPlSM_SN_N2at6native12_GLOBAL__N_18offset_tEEE10hipError_tPvRmT1_PNSt15iterator_traitsISV_E10value_typeET2_T3_PNSW_IS11_E10value_typeET4_jRbjT5_S17_jjP12ihipStream_tbEUljE_EEESS_ST_SU_S11_S15_S17_T6_T7_T9_mT8_S19_bDpT10_ENKUlT_T0_E_clISt17integral_constantIbLb1EES1M_EEDaS1H_S1I_EUlS1H_E_NS1_11comp_targetILNS1_3genE5ELNS1_11target_archE942ELNS1_3gpuE9ELNS1_3repE0EEENS1_30default_config_static_selectorELNS0_4arch9wavefront6targetE1EEEvSV_
                                        ; -- End function
	.set _ZN7rocprim17ROCPRIM_400000_NS6detail17trampoline_kernelINS0_13select_configILj256ELj13ELNS0_17block_load_methodE3ELS4_3ELS4_3ELNS0_20block_scan_algorithmE0ELj4294967295EEENS1_25partition_config_selectorILNS1_17partition_subalgoE3EjNS0_10empty_typeEbEEZZNS1_14partition_implILS8_3ELb0ES6_jNS0_17counting_iteratorIjlEEPS9_SE_NS0_5tupleIJPjSE_EEENSF_IJSE_SE_EEES9_SG_JZNS1_25segmented_radix_sort_implINS0_14default_configELb0EPKlPlSM_SN_N2at6native12_GLOBAL__N_18offset_tEEE10hipError_tPvRmT1_PNSt15iterator_traitsISV_E10value_typeET2_T3_PNSW_IS11_E10value_typeET4_jRbjT5_S17_jjP12ihipStream_tbEUljE_EEESS_ST_SU_S11_S15_S17_T6_T7_T9_mT8_S19_bDpT10_ENKUlT_T0_E_clISt17integral_constantIbLb1EES1M_EEDaS1H_S1I_EUlS1H_E_NS1_11comp_targetILNS1_3genE5ELNS1_11target_archE942ELNS1_3gpuE9ELNS1_3repE0EEENS1_30default_config_static_selectorELNS0_4arch9wavefront6targetE1EEEvSV_.num_vgpr, 0
	.set _ZN7rocprim17ROCPRIM_400000_NS6detail17trampoline_kernelINS0_13select_configILj256ELj13ELNS0_17block_load_methodE3ELS4_3ELS4_3ELNS0_20block_scan_algorithmE0ELj4294967295EEENS1_25partition_config_selectorILNS1_17partition_subalgoE3EjNS0_10empty_typeEbEEZZNS1_14partition_implILS8_3ELb0ES6_jNS0_17counting_iteratorIjlEEPS9_SE_NS0_5tupleIJPjSE_EEENSF_IJSE_SE_EEES9_SG_JZNS1_25segmented_radix_sort_implINS0_14default_configELb0EPKlPlSM_SN_N2at6native12_GLOBAL__N_18offset_tEEE10hipError_tPvRmT1_PNSt15iterator_traitsISV_E10value_typeET2_T3_PNSW_IS11_E10value_typeET4_jRbjT5_S17_jjP12ihipStream_tbEUljE_EEESS_ST_SU_S11_S15_S17_T6_T7_T9_mT8_S19_bDpT10_ENKUlT_T0_E_clISt17integral_constantIbLb1EES1M_EEDaS1H_S1I_EUlS1H_E_NS1_11comp_targetILNS1_3genE5ELNS1_11target_archE942ELNS1_3gpuE9ELNS1_3repE0EEENS1_30default_config_static_selectorELNS0_4arch9wavefront6targetE1EEEvSV_.num_agpr, 0
	.set _ZN7rocprim17ROCPRIM_400000_NS6detail17trampoline_kernelINS0_13select_configILj256ELj13ELNS0_17block_load_methodE3ELS4_3ELS4_3ELNS0_20block_scan_algorithmE0ELj4294967295EEENS1_25partition_config_selectorILNS1_17partition_subalgoE3EjNS0_10empty_typeEbEEZZNS1_14partition_implILS8_3ELb0ES6_jNS0_17counting_iteratorIjlEEPS9_SE_NS0_5tupleIJPjSE_EEENSF_IJSE_SE_EEES9_SG_JZNS1_25segmented_radix_sort_implINS0_14default_configELb0EPKlPlSM_SN_N2at6native12_GLOBAL__N_18offset_tEEE10hipError_tPvRmT1_PNSt15iterator_traitsISV_E10value_typeET2_T3_PNSW_IS11_E10value_typeET4_jRbjT5_S17_jjP12ihipStream_tbEUljE_EEESS_ST_SU_S11_S15_S17_T6_T7_T9_mT8_S19_bDpT10_ENKUlT_T0_E_clISt17integral_constantIbLb1EES1M_EEDaS1H_S1I_EUlS1H_E_NS1_11comp_targetILNS1_3genE5ELNS1_11target_archE942ELNS1_3gpuE9ELNS1_3repE0EEENS1_30default_config_static_selectorELNS0_4arch9wavefront6targetE1EEEvSV_.numbered_sgpr, 0
	.set _ZN7rocprim17ROCPRIM_400000_NS6detail17trampoline_kernelINS0_13select_configILj256ELj13ELNS0_17block_load_methodE3ELS4_3ELS4_3ELNS0_20block_scan_algorithmE0ELj4294967295EEENS1_25partition_config_selectorILNS1_17partition_subalgoE3EjNS0_10empty_typeEbEEZZNS1_14partition_implILS8_3ELb0ES6_jNS0_17counting_iteratorIjlEEPS9_SE_NS0_5tupleIJPjSE_EEENSF_IJSE_SE_EEES9_SG_JZNS1_25segmented_radix_sort_implINS0_14default_configELb0EPKlPlSM_SN_N2at6native12_GLOBAL__N_18offset_tEEE10hipError_tPvRmT1_PNSt15iterator_traitsISV_E10value_typeET2_T3_PNSW_IS11_E10value_typeET4_jRbjT5_S17_jjP12ihipStream_tbEUljE_EEESS_ST_SU_S11_S15_S17_T6_T7_T9_mT8_S19_bDpT10_ENKUlT_T0_E_clISt17integral_constantIbLb1EES1M_EEDaS1H_S1I_EUlS1H_E_NS1_11comp_targetILNS1_3genE5ELNS1_11target_archE942ELNS1_3gpuE9ELNS1_3repE0EEENS1_30default_config_static_selectorELNS0_4arch9wavefront6targetE1EEEvSV_.num_named_barrier, 0
	.set _ZN7rocprim17ROCPRIM_400000_NS6detail17trampoline_kernelINS0_13select_configILj256ELj13ELNS0_17block_load_methodE3ELS4_3ELS4_3ELNS0_20block_scan_algorithmE0ELj4294967295EEENS1_25partition_config_selectorILNS1_17partition_subalgoE3EjNS0_10empty_typeEbEEZZNS1_14partition_implILS8_3ELb0ES6_jNS0_17counting_iteratorIjlEEPS9_SE_NS0_5tupleIJPjSE_EEENSF_IJSE_SE_EEES9_SG_JZNS1_25segmented_radix_sort_implINS0_14default_configELb0EPKlPlSM_SN_N2at6native12_GLOBAL__N_18offset_tEEE10hipError_tPvRmT1_PNSt15iterator_traitsISV_E10value_typeET2_T3_PNSW_IS11_E10value_typeET4_jRbjT5_S17_jjP12ihipStream_tbEUljE_EEESS_ST_SU_S11_S15_S17_T6_T7_T9_mT8_S19_bDpT10_ENKUlT_T0_E_clISt17integral_constantIbLb1EES1M_EEDaS1H_S1I_EUlS1H_E_NS1_11comp_targetILNS1_3genE5ELNS1_11target_archE942ELNS1_3gpuE9ELNS1_3repE0EEENS1_30default_config_static_selectorELNS0_4arch9wavefront6targetE1EEEvSV_.private_seg_size, 0
	.set _ZN7rocprim17ROCPRIM_400000_NS6detail17trampoline_kernelINS0_13select_configILj256ELj13ELNS0_17block_load_methodE3ELS4_3ELS4_3ELNS0_20block_scan_algorithmE0ELj4294967295EEENS1_25partition_config_selectorILNS1_17partition_subalgoE3EjNS0_10empty_typeEbEEZZNS1_14partition_implILS8_3ELb0ES6_jNS0_17counting_iteratorIjlEEPS9_SE_NS0_5tupleIJPjSE_EEENSF_IJSE_SE_EEES9_SG_JZNS1_25segmented_radix_sort_implINS0_14default_configELb0EPKlPlSM_SN_N2at6native12_GLOBAL__N_18offset_tEEE10hipError_tPvRmT1_PNSt15iterator_traitsISV_E10value_typeET2_T3_PNSW_IS11_E10value_typeET4_jRbjT5_S17_jjP12ihipStream_tbEUljE_EEESS_ST_SU_S11_S15_S17_T6_T7_T9_mT8_S19_bDpT10_ENKUlT_T0_E_clISt17integral_constantIbLb1EES1M_EEDaS1H_S1I_EUlS1H_E_NS1_11comp_targetILNS1_3genE5ELNS1_11target_archE942ELNS1_3gpuE9ELNS1_3repE0EEENS1_30default_config_static_selectorELNS0_4arch9wavefront6targetE1EEEvSV_.uses_vcc, 0
	.set _ZN7rocprim17ROCPRIM_400000_NS6detail17trampoline_kernelINS0_13select_configILj256ELj13ELNS0_17block_load_methodE3ELS4_3ELS4_3ELNS0_20block_scan_algorithmE0ELj4294967295EEENS1_25partition_config_selectorILNS1_17partition_subalgoE3EjNS0_10empty_typeEbEEZZNS1_14partition_implILS8_3ELb0ES6_jNS0_17counting_iteratorIjlEEPS9_SE_NS0_5tupleIJPjSE_EEENSF_IJSE_SE_EEES9_SG_JZNS1_25segmented_radix_sort_implINS0_14default_configELb0EPKlPlSM_SN_N2at6native12_GLOBAL__N_18offset_tEEE10hipError_tPvRmT1_PNSt15iterator_traitsISV_E10value_typeET2_T3_PNSW_IS11_E10value_typeET4_jRbjT5_S17_jjP12ihipStream_tbEUljE_EEESS_ST_SU_S11_S15_S17_T6_T7_T9_mT8_S19_bDpT10_ENKUlT_T0_E_clISt17integral_constantIbLb1EES1M_EEDaS1H_S1I_EUlS1H_E_NS1_11comp_targetILNS1_3genE5ELNS1_11target_archE942ELNS1_3gpuE9ELNS1_3repE0EEENS1_30default_config_static_selectorELNS0_4arch9wavefront6targetE1EEEvSV_.uses_flat_scratch, 0
	.set _ZN7rocprim17ROCPRIM_400000_NS6detail17trampoline_kernelINS0_13select_configILj256ELj13ELNS0_17block_load_methodE3ELS4_3ELS4_3ELNS0_20block_scan_algorithmE0ELj4294967295EEENS1_25partition_config_selectorILNS1_17partition_subalgoE3EjNS0_10empty_typeEbEEZZNS1_14partition_implILS8_3ELb0ES6_jNS0_17counting_iteratorIjlEEPS9_SE_NS0_5tupleIJPjSE_EEENSF_IJSE_SE_EEES9_SG_JZNS1_25segmented_radix_sort_implINS0_14default_configELb0EPKlPlSM_SN_N2at6native12_GLOBAL__N_18offset_tEEE10hipError_tPvRmT1_PNSt15iterator_traitsISV_E10value_typeET2_T3_PNSW_IS11_E10value_typeET4_jRbjT5_S17_jjP12ihipStream_tbEUljE_EEESS_ST_SU_S11_S15_S17_T6_T7_T9_mT8_S19_bDpT10_ENKUlT_T0_E_clISt17integral_constantIbLb1EES1M_EEDaS1H_S1I_EUlS1H_E_NS1_11comp_targetILNS1_3genE5ELNS1_11target_archE942ELNS1_3gpuE9ELNS1_3repE0EEENS1_30default_config_static_selectorELNS0_4arch9wavefront6targetE1EEEvSV_.has_dyn_sized_stack, 0
	.set _ZN7rocprim17ROCPRIM_400000_NS6detail17trampoline_kernelINS0_13select_configILj256ELj13ELNS0_17block_load_methodE3ELS4_3ELS4_3ELNS0_20block_scan_algorithmE0ELj4294967295EEENS1_25partition_config_selectorILNS1_17partition_subalgoE3EjNS0_10empty_typeEbEEZZNS1_14partition_implILS8_3ELb0ES6_jNS0_17counting_iteratorIjlEEPS9_SE_NS0_5tupleIJPjSE_EEENSF_IJSE_SE_EEES9_SG_JZNS1_25segmented_radix_sort_implINS0_14default_configELb0EPKlPlSM_SN_N2at6native12_GLOBAL__N_18offset_tEEE10hipError_tPvRmT1_PNSt15iterator_traitsISV_E10value_typeET2_T3_PNSW_IS11_E10value_typeET4_jRbjT5_S17_jjP12ihipStream_tbEUljE_EEESS_ST_SU_S11_S15_S17_T6_T7_T9_mT8_S19_bDpT10_ENKUlT_T0_E_clISt17integral_constantIbLb1EES1M_EEDaS1H_S1I_EUlS1H_E_NS1_11comp_targetILNS1_3genE5ELNS1_11target_archE942ELNS1_3gpuE9ELNS1_3repE0EEENS1_30default_config_static_selectorELNS0_4arch9wavefront6targetE1EEEvSV_.has_recursion, 0
	.set _ZN7rocprim17ROCPRIM_400000_NS6detail17trampoline_kernelINS0_13select_configILj256ELj13ELNS0_17block_load_methodE3ELS4_3ELS4_3ELNS0_20block_scan_algorithmE0ELj4294967295EEENS1_25partition_config_selectorILNS1_17partition_subalgoE3EjNS0_10empty_typeEbEEZZNS1_14partition_implILS8_3ELb0ES6_jNS0_17counting_iteratorIjlEEPS9_SE_NS0_5tupleIJPjSE_EEENSF_IJSE_SE_EEES9_SG_JZNS1_25segmented_radix_sort_implINS0_14default_configELb0EPKlPlSM_SN_N2at6native12_GLOBAL__N_18offset_tEEE10hipError_tPvRmT1_PNSt15iterator_traitsISV_E10value_typeET2_T3_PNSW_IS11_E10value_typeET4_jRbjT5_S17_jjP12ihipStream_tbEUljE_EEESS_ST_SU_S11_S15_S17_T6_T7_T9_mT8_S19_bDpT10_ENKUlT_T0_E_clISt17integral_constantIbLb1EES1M_EEDaS1H_S1I_EUlS1H_E_NS1_11comp_targetILNS1_3genE5ELNS1_11target_archE942ELNS1_3gpuE9ELNS1_3repE0EEENS1_30default_config_static_selectorELNS0_4arch9wavefront6targetE1EEEvSV_.has_indirect_call, 0
	.section	.AMDGPU.csdata,"",@progbits
; Kernel info:
; codeLenInByte = 0
; TotalNumSgprs: 4
; NumVgprs: 0
; ScratchSize: 0
; MemoryBound: 0
; FloatMode: 240
; IeeeMode: 1
; LDSByteSize: 0 bytes/workgroup (compile time only)
; SGPRBlocks: 0
; VGPRBlocks: 0
; NumSGPRsForWavesPerEU: 4
; NumVGPRsForWavesPerEU: 1
; Occupancy: 10
; WaveLimiterHint : 0
; COMPUTE_PGM_RSRC2:SCRATCH_EN: 0
; COMPUTE_PGM_RSRC2:USER_SGPR: 6
; COMPUTE_PGM_RSRC2:TRAP_HANDLER: 0
; COMPUTE_PGM_RSRC2:TGID_X_EN: 1
; COMPUTE_PGM_RSRC2:TGID_Y_EN: 0
; COMPUTE_PGM_RSRC2:TGID_Z_EN: 0
; COMPUTE_PGM_RSRC2:TIDIG_COMP_CNT: 0
	.section	.text._ZN7rocprim17ROCPRIM_400000_NS6detail17trampoline_kernelINS0_13select_configILj256ELj13ELNS0_17block_load_methodE3ELS4_3ELS4_3ELNS0_20block_scan_algorithmE0ELj4294967295EEENS1_25partition_config_selectorILNS1_17partition_subalgoE3EjNS0_10empty_typeEbEEZZNS1_14partition_implILS8_3ELb0ES6_jNS0_17counting_iteratorIjlEEPS9_SE_NS0_5tupleIJPjSE_EEENSF_IJSE_SE_EEES9_SG_JZNS1_25segmented_radix_sort_implINS0_14default_configELb0EPKlPlSM_SN_N2at6native12_GLOBAL__N_18offset_tEEE10hipError_tPvRmT1_PNSt15iterator_traitsISV_E10value_typeET2_T3_PNSW_IS11_E10value_typeET4_jRbjT5_S17_jjP12ihipStream_tbEUljE_EEESS_ST_SU_S11_S15_S17_T6_T7_T9_mT8_S19_bDpT10_ENKUlT_T0_E_clISt17integral_constantIbLb1EES1M_EEDaS1H_S1I_EUlS1H_E_NS1_11comp_targetILNS1_3genE4ELNS1_11target_archE910ELNS1_3gpuE8ELNS1_3repE0EEENS1_30default_config_static_selectorELNS0_4arch9wavefront6targetE1EEEvSV_,"axG",@progbits,_ZN7rocprim17ROCPRIM_400000_NS6detail17trampoline_kernelINS0_13select_configILj256ELj13ELNS0_17block_load_methodE3ELS4_3ELS4_3ELNS0_20block_scan_algorithmE0ELj4294967295EEENS1_25partition_config_selectorILNS1_17partition_subalgoE3EjNS0_10empty_typeEbEEZZNS1_14partition_implILS8_3ELb0ES6_jNS0_17counting_iteratorIjlEEPS9_SE_NS0_5tupleIJPjSE_EEENSF_IJSE_SE_EEES9_SG_JZNS1_25segmented_radix_sort_implINS0_14default_configELb0EPKlPlSM_SN_N2at6native12_GLOBAL__N_18offset_tEEE10hipError_tPvRmT1_PNSt15iterator_traitsISV_E10value_typeET2_T3_PNSW_IS11_E10value_typeET4_jRbjT5_S17_jjP12ihipStream_tbEUljE_EEESS_ST_SU_S11_S15_S17_T6_T7_T9_mT8_S19_bDpT10_ENKUlT_T0_E_clISt17integral_constantIbLb1EES1M_EEDaS1H_S1I_EUlS1H_E_NS1_11comp_targetILNS1_3genE4ELNS1_11target_archE910ELNS1_3gpuE8ELNS1_3repE0EEENS1_30default_config_static_selectorELNS0_4arch9wavefront6targetE1EEEvSV_,comdat
	.globl	_ZN7rocprim17ROCPRIM_400000_NS6detail17trampoline_kernelINS0_13select_configILj256ELj13ELNS0_17block_load_methodE3ELS4_3ELS4_3ELNS0_20block_scan_algorithmE0ELj4294967295EEENS1_25partition_config_selectorILNS1_17partition_subalgoE3EjNS0_10empty_typeEbEEZZNS1_14partition_implILS8_3ELb0ES6_jNS0_17counting_iteratorIjlEEPS9_SE_NS0_5tupleIJPjSE_EEENSF_IJSE_SE_EEES9_SG_JZNS1_25segmented_radix_sort_implINS0_14default_configELb0EPKlPlSM_SN_N2at6native12_GLOBAL__N_18offset_tEEE10hipError_tPvRmT1_PNSt15iterator_traitsISV_E10value_typeET2_T3_PNSW_IS11_E10value_typeET4_jRbjT5_S17_jjP12ihipStream_tbEUljE_EEESS_ST_SU_S11_S15_S17_T6_T7_T9_mT8_S19_bDpT10_ENKUlT_T0_E_clISt17integral_constantIbLb1EES1M_EEDaS1H_S1I_EUlS1H_E_NS1_11comp_targetILNS1_3genE4ELNS1_11target_archE910ELNS1_3gpuE8ELNS1_3repE0EEENS1_30default_config_static_selectorELNS0_4arch9wavefront6targetE1EEEvSV_ ; -- Begin function _ZN7rocprim17ROCPRIM_400000_NS6detail17trampoline_kernelINS0_13select_configILj256ELj13ELNS0_17block_load_methodE3ELS4_3ELS4_3ELNS0_20block_scan_algorithmE0ELj4294967295EEENS1_25partition_config_selectorILNS1_17partition_subalgoE3EjNS0_10empty_typeEbEEZZNS1_14partition_implILS8_3ELb0ES6_jNS0_17counting_iteratorIjlEEPS9_SE_NS0_5tupleIJPjSE_EEENSF_IJSE_SE_EEES9_SG_JZNS1_25segmented_radix_sort_implINS0_14default_configELb0EPKlPlSM_SN_N2at6native12_GLOBAL__N_18offset_tEEE10hipError_tPvRmT1_PNSt15iterator_traitsISV_E10value_typeET2_T3_PNSW_IS11_E10value_typeET4_jRbjT5_S17_jjP12ihipStream_tbEUljE_EEESS_ST_SU_S11_S15_S17_T6_T7_T9_mT8_S19_bDpT10_ENKUlT_T0_E_clISt17integral_constantIbLb1EES1M_EEDaS1H_S1I_EUlS1H_E_NS1_11comp_targetILNS1_3genE4ELNS1_11target_archE910ELNS1_3gpuE8ELNS1_3repE0EEENS1_30default_config_static_selectorELNS0_4arch9wavefront6targetE1EEEvSV_
	.p2align	8
	.type	_ZN7rocprim17ROCPRIM_400000_NS6detail17trampoline_kernelINS0_13select_configILj256ELj13ELNS0_17block_load_methodE3ELS4_3ELS4_3ELNS0_20block_scan_algorithmE0ELj4294967295EEENS1_25partition_config_selectorILNS1_17partition_subalgoE3EjNS0_10empty_typeEbEEZZNS1_14partition_implILS8_3ELb0ES6_jNS0_17counting_iteratorIjlEEPS9_SE_NS0_5tupleIJPjSE_EEENSF_IJSE_SE_EEES9_SG_JZNS1_25segmented_radix_sort_implINS0_14default_configELb0EPKlPlSM_SN_N2at6native12_GLOBAL__N_18offset_tEEE10hipError_tPvRmT1_PNSt15iterator_traitsISV_E10value_typeET2_T3_PNSW_IS11_E10value_typeET4_jRbjT5_S17_jjP12ihipStream_tbEUljE_EEESS_ST_SU_S11_S15_S17_T6_T7_T9_mT8_S19_bDpT10_ENKUlT_T0_E_clISt17integral_constantIbLb1EES1M_EEDaS1H_S1I_EUlS1H_E_NS1_11comp_targetILNS1_3genE4ELNS1_11target_archE910ELNS1_3gpuE8ELNS1_3repE0EEENS1_30default_config_static_selectorELNS0_4arch9wavefront6targetE1EEEvSV_,@function
_ZN7rocprim17ROCPRIM_400000_NS6detail17trampoline_kernelINS0_13select_configILj256ELj13ELNS0_17block_load_methodE3ELS4_3ELS4_3ELNS0_20block_scan_algorithmE0ELj4294967295EEENS1_25partition_config_selectorILNS1_17partition_subalgoE3EjNS0_10empty_typeEbEEZZNS1_14partition_implILS8_3ELb0ES6_jNS0_17counting_iteratorIjlEEPS9_SE_NS0_5tupleIJPjSE_EEENSF_IJSE_SE_EEES9_SG_JZNS1_25segmented_radix_sort_implINS0_14default_configELb0EPKlPlSM_SN_N2at6native12_GLOBAL__N_18offset_tEEE10hipError_tPvRmT1_PNSt15iterator_traitsISV_E10value_typeET2_T3_PNSW_IS11_E10value_typeET4_jRbjT5_S17_jjP12ihipStream_tbEUljE_EEESS_ST_SU_S11_S15_S17_T6_T7_T9_mT8_S19_bDpT10_ENKUlT_T0_E_clISt17integral_constantIbLb1EES1M_EEDaS1H_S1I_EUlS1H_E_NS1_11comp_targetILNS1_3genE4ELNS1_11target_archE910ELNS1_3gpuE8ELNS1_3repE0EEENS1_30default_config_static_selectorELNS0_4arch9wavefront6targetE1EEEvSV_: ; @_ZN7rocprim17ROCPRIM_400000_NS6detail17trampoline_kernelINS0_13select_configILj256ELj13ELNS0_17block_load_methodE3ELS4_3ELS4_3ELNS0_20block_scan_algorithmE0ELj4294967295EEENS1_25partition_config_selectorILNS1_17partition_subalgoE3EjNS0_10empty_typeEbEEZZNS1_14partition_implILS8_3ELb0ES6_jNS0_17counting_iteratorIjlEEPS9_SE_NS0_5tupleIJPjSE_EEENSF_IJSE_SE_EEES9_SG_JZNS1_25segmented_radix_sort_implINS0_14default_configELb0EPKlPlSM_SN_N2at6native12_GLOBAL__N_18offset_tEEE10hipError_tPvRmT1_PNSt15iterator_traitsISV_E10value_typeET2_T3_PNSW_IS11_E10value_typeET4_jRbjT5_S17_jjP12ihipStream_tbEUljE_EEESS_ST_SU_S11_S15_S17_T6_T7_T9_mT8_S19_bDpT10_ENKUlT_T0_E_clISt17integral_constantIbLb1EES1M_EEDaS1H_S1I_EUlS1H_E_NS1_11comp_targetILNS1_3genE4ELNS1_11target_archE910ELNS1_3gpuE8ELNS1_3repE0EEENS1_30default_config_static_selectorELNS0_4arch9wavefront6targetE1EEEvSV_
; %bb.0:
	.section	.rodata,"a",@progbits
	.p2align	6, 0x0
	.amdhsa_kernel _ZN7rocprim17ROCPRIM_400000_NS6detail17trampoline_kernelINS0_13select_configILj256ELj13ELNS0_17block_load_methodE3ELS4_3ELS4_3ELNS0_20block_scan_algorithmE0ELj4294967295EEENS1_25partition_config_selectorILNS1_17partition_subalgoE3EjNS0_10empty_typeEbEEZZNS1_14partition_implILS8_3ELb0ES6_jNS0_17counting_iteratorIjlEEPS9_SE_NS0_5tupleIJPjSE_EEENSF_IJSE_SE_EEES9_SG_JZNS1_25segmented_radix_sort_implINS0_14default_configELb0EPKlPlSM_SN_N2at6native12_GLOBAL__N_18offset_tEEE10hipError_tPvRmT1_PNSt15iterator_traitsISV_E10value_typeET2_T3_PNSW_IS11_E10value_typeET4_jRbjT5_S17_jjP12ihipStream_tbEUljE_EEESS_ST_SU_S11_S15_S17_T6_T7_T9_mT8_S19_bDpT10_ENKUlT_T0_E_clISt17integral_constantIbLb1EES1M_EEDaS1H_S1I_EUlS1H_E_NS1_11comp_targetILNS1_3genE4ELNS1_11target_archE910ELNS1_3gpuE8ELNS1_3repE0EEENS1_30default_config_static_selectorELNS0_4arch9wavefront6targetE1EEEvSV_
		.amdhsa_group_segment_fixed_size 0
		.amdhsa_private_segment_fixed_size 0
		.amdhsa_kernarg_size 152
		.amdhsa_user_sgpr_count 6
		.amdhsa_user_sgpr_private_segment_buffer 1
		.amdhsa_user_sgpr_dispatch_ptr 0
		.amdhsa_user_sgpr_queue_ptr 0
		.amdhsa_user_sgpr_kernarg_segment_ptr 1
		.amdhsa_user_sgpr_dispatch_id 0
		.amdhsa_user_sgpr_flat_scratch_init 0
		.amdhsa_user_sgpr_private_segment_size 0
		.amdhsa_uses_dynamic_stack 0
		.amdhsa_system_sgpr_private_segment_wavefront_offset 0
		.amdhsa_system_sgpr_workgroup_id_x 1
		.amdhsa_system_sgpr_workgroup_id_y 0
		.amdhsa_system_sgpr_workgroup_id_z 0
		.amdhsa_system_sgpr_workgroup_info 0
		.amdhsa_system_vgpr_workitem_id 0
		.amdhsa_next_free_vgpr 1
		.amdhsa_next_free_sgpr 0
		.amdhsa_reserve_vcc 0
		.amdhsa_reserve_flat_scratch 0
		.amdhsa_float_round_mode_32 0
		.amdhsa_float_round_mode_16_64 0
		.amdhsa_float_denorm_mode_32 3
		.amdhsa_float_denorm_mode_16_64 3
		.amdhsa_dx10_clamp 1
		.amdhsa_ieee_mode 1
		.amdhsa_fp16_overflow 0
		.amdhsa_exception_fp_ieee_invalid_op 0
		.amdhsa_exception_fp_denorm_src 0
		.amdhsa_exception_fp_ieee_div_zero 0
		.amdhsa_exception_fp_ieee_overflow 0
		.amdhsa_exception_fp_ieee_underflow 0
		.amdhsa_exception_fp_ieee_inexact 0
		.amdhsa_exception_int_div_zero 0
	.end_amdhsa_kernel
	.section	.text._ZN7rocprim17ROCPRIM_400000_NS6detail17trampoline_kernelINS0_13select_configILj256ELj13ELNS0_17block_load_methodE3ELS4_3ELS4_3ELNS0_20block_scan_algorithmE0ELj4294967295EEENS1_25partition_config_selectorILNS1_17partition_subalgoE3EjNS0_10empty_typeEbEEZZNS1_14partition_implILS8_3ELb0ES6_jNS0_17counting_iteratorIjlEEPS9_SE_NS0_5tupleIJPjSE_EEENSF_IJSE_SE_EEES9_SG_JZNS1_25segmented_radix_sort_implINS0_14default_configELb0EPKlPlSM_SN_N2at6native12_GLOBAL__N_18offset_tEEE10hipError_tPvRmT1_PNSt15iterator_traitsISV_E10value_typeET2_T3_PNSW_IS11_E10value_typeET4_jRbjT5_S17_jjP12ihipStream_tbEUljE_EEESS_ST_SU_S11_S15_S17_T6_T7_T9_mT8_S19_bDpT10_ENKUlT_T0_E_clISt17integral_constantIbLb1EES1M_EEDaS1H_S1I_EUlS1H_E_NS1_11comp_targetILNS1_3genE4ELNS1_11target_archE910ELNS1_3gpuE8ELNS1_3repE0EEENS1_30default_config_static_selectorELNS0_4arch9wavefront6targetE1EEEvSV_,"axG",@progbits,_ZN7rocprim17ROCPRIM_400000_NS6detail17trampoline_kernelINS0_13select_configILj256ELj13ELNS0_17block_load_methodE3ELS4_3ELS4_3ELNS0_20block_scan_algorithmE0ELj4294967295EEENS1_25partition_config_selectorILNS1_17partition_subalgoE3EjNS0_10empty_typeEbEEZZNS1_14partition_implILS8_3ELb0ES6_jNS0_17counting_iteratorIjlEEPS9_SE_NS0_5tupleIJPjSE_EEENSF_IJSE_SE_EEES9_SG_JZNS1_25segmented_radix_sort_implINS0_14default_configELb0EPKlPlSM_SN_N2at6native12_GLOBAL__N_18offset_tEEE10hipError_tPvRmT1_PNSt15iterator_traitsISV_E10value_typeET2_T3_PNSW_IS11_E10value_typeET4_jRbjT5_S17_jjP12ihipStream_tbEUljE_EEESS_ST_SU_S11_S15_S17_T6_T7_T9_mT8_S19_bDpT10_ENKUlT_T0_E_clISt17integral_constantIbLb1EES1M_EEDaS1H_S1I_EUlS1H_E_NS1_11comp_targetILNS1_3genE4ELNS1_11target_archE910ELNS1_3gpuE8ELNS1_3repE0EEENS1_30default_config_static_selectorELNS0_4arch9wavefront6targetE1EEEvSV_,comdat
.Lfunc_end785:
	.size	_ZN7rocprim17ROCPRIM_400000_NS6detail17trampoline_kernelINS0_13select_configILj256ELj13ELNS0_17block_load_methodE3ELS4_3ELS4_3ELNS0_20block_scan_algorithmE0ELj4294967295EEENS1_25partition_config_selectorILNS1_17partition_subalgoE3EjNS0_10empty_typeEbEEZZNS1_14partition_implILS8_3ELb0ES6_jNS0_17counting_iteratorIjlEEPS9_SE_NS0_5tupleIJPjSE_EEENSF_IJSE_SE_EEES9_SG_JZNS1_25segmented_radix_sort_implINS0_14default_configELb0EPKlPlSM_SN_N2at6native12_GLOBAL__N_18offset_tEEE10hipError_tPvRmT1_PNSt15iterator_traitsISV_E10value_typeET2_T3_PNSW_IS11_E10value_typeET4_jRbjT5_S17_jjP12ihipStream_tbEUljE_EEESS_ST_SU_S11_S15_S17_T6_T7_T9_mT8_S19_bDpT10_ENKUlT_T0_E_clISt17integral_constantIbLb1EES1M_EEDaS1H_S1I_EUlS1H_E_NS1_11comp_targetILNS1_3genE4ELNS1_11target_archE910ELNS1_3gpuE8ELNS1_3repE0EEENS1_30default_config_static_selectorELNS0_4arch9wavefront6targetE1EEEvSV_, .Lfunc_end785-_ZN7rocprim17ROCPRIM_400000_NS6detail17trampoline_kernelINS0_13select_configILj256ELj13ELNS0_17block_load_methodE3ELS4_3ELS4_3ELNS0_20block_scan_algorithmE0ELj4294967295EEENS1_25partition_config_selectorILNS1_17partition_subalgoE3EjNS0_10empty_typeEbEEZZNS1_14partition_implILS8_3ELb0ES6_jNS0_17counting_iteratorIjlEEPS9_SE_NS0_5tupleIJPjSE_EEENSF_IJSE_SE_EEES9_SG_JZNS1_25segmented_radix_sort_implINS0_14default_configELb0EPKlPlSM_SN_N2at6native12_GLOBAL__N_18offset_tEEE10hipError_tPvRmT1_PNSt15iterator_traitsISV_E10value_typeET2_T3_PNSW_IS11_E10value_typeET4_jRbjT5_S17_jjP12ihipStream_tbEUljE_EEESS_ST_SU_S11_S15_S17_T6_T7_T9_mT8_S19_bDpT10_ENKUlT_T0_E_clISt17integral_constantIbLb1EES1M_EEDaS1H_S1I_EUlS1H_E_NS1_11comp_targetILNS1_3genE4ELNS1_11target_archE910ELNS1_3gpuE8ELNS1_3repE0EEENS1_30default_config_static_selectorELNS0_4arch9wavefront6targetE1EEEvSV_
                                        ; -- End function
	.set _ZN7rocprim17ROCPRIM_400000_NS6detail17trampoline_kernelINS0_13select_configILj256ELj13ELNS0_17block_load_methodE3ELS4_3ELS4_3ELNS0_20block_scan_algorithmE0ELj4294967295EEENS1_25partition_config_selectorILNS1_17partition_subalgoE3EjNS0_10empty_typeEbEEZZNS1_14partition_implILS8_3ELb0ES6_jNS0_17counting_iteratorIjlEEPS9_SE_NS0_5tupleIJPjSE_EEENSF_IJSE_SE_EEES9_SG_JZNS1_25segmented_radix_sort_implINS0_14default_configELb0EPKlPlSM_SN_N2at6native12_GLOBAL__N_18offset_tEEE10hipError_tPvRmT1_PNSt15iterator_traitsISV_E10value_typeET2_T3_PNSW_IS11_E10value_typeET4_jRbjT5_S17_jjP12ihipStream_tbEUljE_EEESS_ST_SU_S11_S15_S17_T6_T7_T9_mT8_S19_bDpT10_ENKUlT_T0_E_clISt17integral_constantIbLb1EES1M_EEDaS1H_S1I_EUlS1H_E_NS1_11comp_targetILNS1_3genE4ELNS1_11target_archE910ELNS1_3gpuE8ELNS1_3repE0EEENS1_30default_config_static_selectorELNS0_4arch9wavefront6targetE1EEEvSV_.num_vgpr, 0
	.set _ZN7rocprim17ROCPRIM_400000_NS6detail17trampoline_kernelINS0_13select_configILj256ELj13ELNS0_17block_load_methodE3ELS4_3ELS4_3ELNS0_20block_scan_algorithmE0ELj4294967295EEENS1_25partition_config_selectorILNS1_17partition_subalgoE3EjNS0_10empty_typeEbEEZZNS1_14partition_implILS8_3ELb0ES6_jNS0_17counting_iteratorIjlEEPS9_SE_NS0_5tupleIJPjSE_EEENSF_IJSE_SE_EEES9_SG_JZNS1_25segmented_radix_sort_implINS0_14default_configELb0EPKlPlSM_SN_N2at6native12_GLOBAL__N_18offset_tEEE10hipError_tPvRmT1_PNSt15iterator_traitsISV_E10value_typeET2_T3_PNSW_IS11_E10value_typeET4_jRbjT5_S17_jjP12ihipStream_tbEUljE_EEESS_ST_SU_S11_S15_S17_T6_T7_T9_mT8_S19_bDpT10_ENKUlT_T0_E_clISt17integral_constantIbLb1EES1M_EEDaS1H_S1I_EUlS1H_E_NS1_11comp_targetILNS1_3genE4ELNS1_11target_archE910ELNS1_3gpuE8ELNS1_3repE0EEENS1_30default_config_static_selectorELNS0_4arch9wavefront6targetE1EEEvSV_.num_agpr, 0
	.set _ZN7rocprim17ROCPRIM_400000_NS6detail17trampoline_kernelINS0_13select_configILj256ELj13ELNS0_17block_load_methodE3ELS4_3ELS4_3ELNS0_20block_scan_algorithmE0ELj4294967295EEENS1_25partition_config_selectorILNS1_17partition_subalgoE3EjNS0_10empty_typeEbEEZZNS1_14partition_implILS8_3ELb0ES6_jNS0_17counting_iteratorIjlEEPS9_SE_NS0_5tupleIJPjSE_EEENSF_IJSE_SE_EEES9_SG_JZNS1_25segmented_radix_sort_implINS0_14default_configELb0EPKlPlSM_SN_N2at6native12_GLOBAL__N_18offset_tEEE10hipError_tPvRmT1_PNSt15iterator_traitsISV_E10value_typeET2_T3_PNSW_IS11_E10value_typeET4_jRbjT5_S17_jjP12ihipStream_tbEUljE_EEESS_ST_SU_S11_S15_S17_T6_T7_T9_mT8_S19_bDpT10_ENKUlT_T0_E_clISt17integral_constantIbLb1EES1M_EEDaS1H_S1I_EUlS1H_E_NS1_11comp_targetILNS1_3genE4ELNS1_11target_archE910ELNS1_3gpuE8ELNS1_3repE0EEENS1_30default_config_static_selectorELNS0_4arch9wavefront6targetE1EEEvSV_.numbered_sgpr, 0
	.set _ZN7rocprim17ROCPRIM_400000_NS6detail17trampoline_kernelINS0_13select_configILj256ELj13ELNS0_17block_load_methodE3ELS4_3ELS4_3ELNS0_20block_scan_algorithmE0ELj4294967295EEENS1_25partition_config_selectorILNS1_17partition_subalgoE3EjNS0_10empty_typeEbEEZZNS1_14partition_implILS8_3ELb0ES6_jNS0_17counting_iteratorIjlEEPS9_SE_NS0_5tupleIJPjSE_EEENSF_IJSE_SE_EEES9_SG_JZNS1_25segmented_radix_sort_implINS0_14default_configELb0EPKlPlSM_SN_N2at6native12_GLOBAL__N_18offset_tEEE10hipError_tPvRmT1_PNSt15iterator_traitsISV_E10value_typeET2_T3_PNSW_IS11_E10value_typeET4_jRbjT5_S17_jjP12ihipStream_tbEUljE_EEESS_ST_SU_S11_S15_S17_T6_T7_T9_mT8_S19_bDpT10_ENKUlT_T0_E_clISt17integral_constantIbLb1EES1M_EEDaS1H_S1I_EUlS1H_E_NS1_11comp_targetILNS1_3genE4ELNS1_11target_archE910ELNS1_3gpuE8ELNS1_3repE0EEENS1_30default_config_static_selectorELNS0_4arch9wavefront6targetE1EEEvSV_.num_named_barrier, 0
	.set _ZN7rocprim17ROCPRIM_400000_NS6detail17trampoline_kernelINS0_13select_configILj256ELj13ELNS0_17block_load_methodE3ELS4_3ELS4_3ELNS0_20block_scan_algorithmE0ELj4294967295EEENS1_25partition_config_selectorILNS1_17partition_subalgoE3EjNS0_10empty_typeEbEEZZNS1_14partition_implILS8_3ELb0ES6_jNS0_17counting_iteratorIjlEEPS9_SE_NS0_5tupleIJPjSE_EEENSF_IJSE_SE_EEES9_SG_JZNS1_25segmented_radix_sort_implINS0_14default_configELb0EPKlPlSM_SN_N2at6native12_GLOBAL__N_18offset_tEEE10hipError_tPvRmT1_PNSt15iterator_traitsISV_E10value_typeET2_T3_PNSW_IS11_E10value_typeET4_jRbjT5_S17_jjP12ihipStream_tbEUljE_EEESS_ST_SU_S11_S15_S17_T6_T7_T9_mT8_S19_bDpT10_ENKUlT_T0_E_clISt17integral_constantIbLb1EES1M_EEDaS1H_S1I_EUlS1H_E_NS1_11comp_targetILNS1_3genE4ELNS1_11target_archE910ELNS1_3gpuE8ELNS1_3repE0EEENS1_30default_config_static_selectorELNS0_4arch9wavefront6targetE1EEEvSV_.private_seg_size, 0
	.set _ZN7rocprim17ROCPRIM_400000_NS6detail17trampoline_kernelINS0_13select_configILj256ELj13ELNS0_17block_load_methodE3ELS4_3ELS4_3ELNS0_20block_scan_algorithmE0ELj4294967295EEENS1_25partition_config_selectorILNS1_17partition_subalgoE3EjNS0_10empty_typeEbEEZZNS1_14partition_implILS8_3ELb0ES6_jNS0_17counting_iteratorIjlEEPS9_SE_NS0_5tupleIJPjSE_EEENSF_IJSE_SE_EEES9_SG_JZNS1_25segmented_radix_sort_implINS0_14default_configELb0EPKlPlSM_SN_N2at6native12_GLOBAL__N_18offset_tEEE10hipError_tPvRmT1_PNSt15iterator_traitsISV_E10value_typeET2_T3_PNSW_IS11_E10value_typeET4_jRbjT5_S17_jjP12ihipStream_tbEUljE_EEESS_ST_SU_S11_S15_S17_T6_T7_T9_mT8_S19_bDpT10_ENKUlT_T0_E_clISt17integral_constantIbLb1EES1M_EEDaS1H_S1I_EUlS1H_E_NS1_11comp_targetILNS1_3genE4ELNS1_11target_archE910ELNS1_3gpuE8ELNS1_3repE0EEENS1_30default_config_static_selectorELNS0_4arch9wavefront6targetE1EEEvSV_.uses_vcc, 0
	.set _ZN7rocprim17ROCPRIM_400000_NS6detail17trampoline_kernelINS0_13select_configILj256ELj13ELNS0_17block_load_methodE3ELS4_3ELS4_3ELNS0_20block_scan_algorithmE0ELj4294967295EEENS1_25partition_config_selectorILNS1_17partition_subalgoE3EjNS0_10empty_typeEbEEZZNS1_14partition_implILS8_3ELb0ES6_jNS0_17counting_iteratorIjlEEPS9_SE_NS0_5tupleIJPjSE_EEENSF_IJSE_SE_EEES9_SG_JZNS1_25segmented_radix_sort_implINS0_14default_configELb0EPKlPlSM_SN_N2at6native12_GLOBAL__N_18offset_tEEE10hipError_tPvRmT1_PNSt15iterator_traitsISV_E10value_typeET2_T3_PNSW_IS11_E10value_typeET4_jRbjT5_S17_jjP12ihipStream_tbEUljE_EEESS_ST_SU_S11_S15_S17_T6_T7_T9_mT8_S19_bDpT10_ENKUlT_T0_E_clISt17integral_constantIbLb1EES1M_EEDaS1H_S1I_EUlS1H_E_NS1_11comp_targetILNS1_3genE4ELNS1_11target_archE910ELNS1_3gpuE8ELNS1_3repE0EEENS1_30default_config_static_selectorELNS0_4arch9wavefront6targetE1EEEvSV_.uses_flat_scratch, 0
	.set _ZN7rocprim17ROCPRIM_400000_NS6detail17trampoline_kernelINS0_13select_configILj256ELj13ELNS0_17block_load_methodE3ELS4_3ELS4_3ELNS0_20block_scan_algorithmE0ELj4294967295EEENS1_25partition_config_selectorILNS1_17partition_subalgoE3EjNS0_10empty_typeEbEEZZNS1_14partition_implILS8_3ELb0ES6_jNS0_17counting_iteratorIjlEEPS9_SE_NS0_5tupleIJPjSE_EEENSF_IJSE_SE_EEES9_SG_JZNS1_25segmented_radix_sort_implINS0_14default_configELb0EPKlPlSM_SN_N2at6native12_GLOBAL__N_18offset_tEEE10hipError_tPvRmT1_PNSt15iterator_traitsISV_E10value_typeET2_T3_PNSW_IS11_E10value_typeET4_jRbjT5_S17_jjP12ihipStream_tbEUljE_EEESS_ST_SU_S11_S15_S17_T6_T7_T9_mT8_S19_bDpT10_ENKUlT_T0_E_clISt17integral_constantIbLb1EES1M_EEDaS1H_S1I_EUlS1H_E_NS1_11comp_targetILNS1_3genE4ELNS1_11target_archE910ELNS1_3gpuE8ELNS1_3repE0EEENS1_30default_config_static_selectorELNS0_4arch9wavefront6targetE1EEEvSV_.has_dyn_sized_stack, 0
	.set _ZN7rocprim17ROCPRIM_400000_NS6detail17trampoline_kernelINS0_13select_configILj256ELj13ELNS0_17block_load_methodE3ELS4_3ELS4_3ELNS0_20block_scan_algorithmE0ELj4294967295EEENS1_25partition_config_selectorILNS1_17partition_subalgoE3EjNS0_10empty_typeEbEEZZNS1_14partition_implILS8_3ELb0ES6_jNS0_17counting_iteratorIjlEEPS9_SE_NS0_5tupleIJPjSE_EEENSF_IJSE_SE_EEES9_SG_JZNS1_25segmented_radix_sort_implINS0_14default_configELb0EPKlPlSM_SN_N2at6native12_GLOBAL__N_18offset_tEEE10hipError_tPvRmT1_PNSt15iterator_traitsISV_E10value_typeET2_T3_PNSW_IS11_E10value_typeET4_jRbjT5_S17_jjP12ihipStream_tbEUljE_EEESS_ST_SU_S11_S15_S17_T6_T7_T9_mT8_S19_bDpT10_ENKUlT_T0_E_clISt17integral_constantIbLb1EES1M_EEDaS1H_S1I_EUlS1H_E_NS1_11comp_targetILNS1_3genE4ELNS1_11target_archE910ELNS1_3gpuE8ELNS1_3repE0EEENS1_30default_config_static_selectorELNS0_4arch9wavefront6targetE1EEEvSV_.has_recursion, 0
	.set _ZN7rocprim17ROCPRIM_400000_NS6detail17trampoline_kernelINS0_13select_configILj256ELj13ELNS0_17block_load_methodE3ELS4_3ELS4_3ELNS0_20block_scan_algorithmE0ELj4294967295EEENS1_25partition_config_selectorILNS1_17partition_subalgoE3EjNS0_10empty_typeEbEEZZNS1_14partition_implILS8_3ELb0ES6_jNS0_17counting_iteratorIjlEEPS9_SE_NS0_5tupleIJPjSE_EEENSF_IJSE_SE_EEES9_SG_JZNS1_25segmented_radix_sort_implINS0_14default_configELb0EPKlPlSM_SN_N2at6native12_GLOBAL__N_18offset_tEEE10hipError_tPvRmT1_PNSt15iterator_traitsISV_E10value_typeET2_T3_PNSW_IS11_E10value_typeET4_jRbjT5_S17_jjP12ihipStream_tbEUljE_EEESS_ST_SU_S11_S15_S17_T6_T7_T9_mT8_S19_bDpT10_ENKUlT_T0_E_clISt17integral_constantIbLb1EES1M_EEDaS1H_S1I_EUlS1H_E_NS1_11comp_targetILNS1_3genE4ELNS1_11target_archE910ELNS1_3gpuE8ELNS1_3repE0EEENS1_30default_config_static_selectorELNS0_4arch9wavefront6targetE1EEEvSV_.has_indirect_call, 0
	.section	.AMDGPU.csdata,"",@progbits
; Kernel info:
; codeLenInByte = 0
; TotalNumSgprs: 4
; NumVgprs: 0
; ScratchSize: 0
; MemoryBound: 0
; FloatMode: 240
; IeeeMode: 1
; LDSByteSize: 0 bytes/workgroup (compile time only)
; SGPRBlocks: 0
; VGPRBlocks: 0
; NumSGPRsForWavesPerEU: 4
; NumVGPRsForWavesPerEU: 1
; Occupancy: 10
; WaveLimiterHint : 0
; COMPUTE_PGM_RSRC2:SCRATCH_EN: 0
; COMPUTE_PGM_RSRC2:USER_SGPR: 6
; COMPUTE_PGM_RSRC2:TRAP_HANDLER: 0
; COMPUTE_PGM_RSRC2:TGID_X_EN: 1
; COMPUTE_PGM_RSRC2:TGID_Y_EN: 0
; COMPUTE_PGM_RSRC2:TGID_Z_EN: 0
; COMPUTE_PGM_RSRC2:TIDIG_COMP_CNT: 0
	.section	.text._ZN7rocprim17ROCPRIM_400000_NS6detail17trampoline_kernelINS0_13select_configILj256ELj13ELNS0_17block_load_methodE3ELS4_3ELS4_3ELNS0_20block_scan_algorithmE0ELj4294967295EEENS1_25partition_config_selectorILNS1_17partition_subalgoE3EjNS0_10empty_typeEbEEZZNS1_14partition_implILS8_3ELb0ES6_jNS0_17counting_iteratorIjlEEPS9_SE_NS0_5tupleIJPjSE_EEENSF_IJSE_SE_EEES9_SG_JZNS1_25segmented_radix_sort_implINS0_14default_configELb0EPKlPlSM_SN_N2at6native12_GLOBAL__N_18offset_tEEE10hipError_tPvRmT1_PNSt15iterator_traitsISV_E10value_typeET2_T3_PNSW_IS11_E10value_typeET4_jRbjT5_S17_jjP12ihipStream_tbEUljE_EEESS_ST_SU_S11_S15_S17_T6_T7_T9_mT8_S19_bDpT10_ENKUlT_T0_E_clISt17integral_constantIbLb1EES1M_EEDaS1H_S1I_EUlS1H_E_NS1_11comp_targetILNS1_3genE3ELNS1_11target_archE908ELNS1_3gpuE7ELNS1_3repE0EEENS1_30default_config_static_selectorELNS0_4arch9wavefront6targetE1EEEvSV_,"axG",@progbits,_ZN7rocprim17ROCPRIM_400000_NS6detail17trampoline_kernelINS0_13select_configILj256ELj13ELNS0_17block_load_methodE3ELS4_3ELS4_3ELNS0_20block_scan_algorithmE0ELj4294967295EEENS1_25partition_config_selectorILNS1_17partition_subalgoE3EjNS0_10empty_typeEbEEZZNS1_14partition_implILS8_3ELb0ES6_jNS0_17counting_iteratorIjlEEPS9_SE_NS0_5tupleIJPjSE_EEENSF_IJSE_SE_EEES9_SG_JZNS1_25segmented_radix_sort_implINS0_14default_configELb0EPKlPlSM_SN_N2at6native12_GLOBAL__N_18offset_tEEE10hipError_tPvRmT1_PNSt15iterator_traitsISV_E10value_typeET2_T3_PNSW_IS11_E10value_typeET4_jRbjT5_S17_jjP12ihipStream_tbEUljE_EEESS_ST_SU_S11_S15_S17_T6_T7_T9_mT8_S19_bDpT10_ENKUlT_T0_E_clISt17integral_constantIbLb1EES1M_EEDaS1H_S1I_EUlS1H_E_NS1_11comp_targetILNS1_3genE3ELNS1_11target_archE908ELNS1_3gpuE7ELNS1_3repE0EEENS1_30default_config_static_selectorELNS0_4arch9wavefront6targetE1EEEvSV_,comdat
	.globl	_ZN7rocprim17ROCPRIM_400000_NS6detail17trampoline_kernelINS0_13select_configILj256ELj13ELNS0_17block_load_methodE3ELS4_3ELS4_3ELNS0_20block_scan_algorithmE0ELj4294967295EEENS1_25partition_config_selectorILNS1_17partition_subalgoE3EjNS0_10empty_typeEbEEZZNS1_14partition_implILS8_3ELb0ES6_jNS0_17counting_iteratorIjlEEPS9_SE_NS0_5tupleIJPjSE_EEENSF_IJSE_SE_EEES9_SG_JZNS1_25segmented_radix_sort_implINS0_14default_configELb0EPKlPlSM_SN_N2at6native12_GLOBAL__N_18offset_tEEE10hipError_tPvRmT1_PNSt15iterator_traitsISV_E10value_typeET2_T3_PNSW_IS11_E10value_typeET4_jRbjT5_S17_jjP12ihipStream_tbEUljE_EEESS_ST_SU_S11_S15_S17_T6_T7_T9_mT8_S19_bDpT10_ENKUlT_T0_E_clISt17integral_constantIbLb1EES1M_EEDaS1H_S1I_EUlS1H_E_NS1_11comp_targetILNS1_3genE3ELNS1_11target_archE908ELNS1_3gpuE7ELNS1_3repE0EEENS1_30default_config_static_selectorELNS0_4arch9wavefront6targetE1EEEvSV_ ; -- Begin function _ZN7rocprim17ROCPRIM_400000_NS6detail17trampoline_kernelINS0_13select_configILj256ELj13ELNS0_17block_load_methodE3ELS4_3ELS4_3ELNS0_20block_scan_algorithmE0ELj4294967295EEENS1_25partition_config_selectorILNS1_17partition_subalgoE3EjNS0_10empty_typeEbEEZZNS1_14partition_implILS8_3ELb0ES6_jNS0_17counting_iteratorIjlEEPS9_SE_NS0_5tupleIJPjSE_EEENSF_IJSE_SE_EEES9_SG_JZNS1_25segmented_radix_sort_implINS0_14default_configELb0EPKlPlSM_SN_N2at6native12_GLOBAL__N_18offset_tEEE10hipError_tPvRmT1_PNSt15iterator_traitsISV_E10value_typeET2_T3_PNSW_IS11_E10value_typeET4_jRbjT5_S17_jjP12ihipStream_tbEUljE_EEESS_ST_SU_S11_S15_S17_T6_T7_T9_mT8_S19_bDpT10_ENKUlT_T0_E_clISt17integral_constantIbLb1EES1M_EEDaS1H_S1I_EUlS1H_E_NS1_11comp_targetILNS1_3genE3ELNS1_11target_archE908ELNS1_3gpuE7ELNS1_3repE0EEENS1_30default_config_static_selectorELNS0_4arch9wavefront6targetE1EEEvSV_
	.p2align	8
	.type	_ZN7rocprim17ROCPRIM_400000_NS6detail17trampoline_kernelINS0_13select_configILj256ELj13ELNS0_17block_load_methodE3ELS4_3ELS4_3ELNS0_20block_scan_algorithmE0ELj4294967295EEENS1_25partition_config_selectorILNS1_17partition_subalgoE3EjNS0_10empty_typeEbEEZZNS1_14partition_implILS8_3ELb0ES6_jNS0_17counting_iteratorIjlEEPS9_SE_NS0_5tupleIJPjSE_EEENSF_IJSE_SE_EEES9_SG_JZNS1_25segmented_radix_sort_implINS0_14default_configELb0EPKlPlSM_SN_N2at6native12_GLOBAL__N_18offset_tEEE10hipError_tPvRmT1_PNSt15iterator_traitsISV_E10value_typeET2_T3_PNSW_IS11_E10value_typeET4_jRbjT5_S17_jjP12ihipStream_tbEUljE_EEESS_ST_SU_S11_S15_S17_T6_T7_T9_mT8_S19_bDpT10_ENKUlT_T0_E_clISt17integral_constantIbLb1EES1M_EEDaS1H_S1I_EUlS1H_E_NS1_11comp_targetILNS1_3genE3ELNS1_11target_archE908ELNS1_3gpuE7ELNS1_3repE0EEENS1_30default_config_static_selectorELNS0_4arch9wavefront6targetE1EEEvSV_,@function
_ZN7rocprim17ROCPRIM_400000_NS6detail17trampoline_kernelINS0_13select_configILj256ELj13ELNS0_17block_load_methodE3ELS4_3ELS4_3ELNS0_20block_scan_algorithmE0ELj4294967295EEENS1_25partition_config_selectorILNS1_17partition_subalgoE3EjNS0_10empty_typeEbEEZZNS1_14partition_implILS8_3ELb0ES6_jNS0_17counting_iteratorIjlEEPS9_SE_NS0_5tupleIJPjSE_EEENSF_IJSE_SE_EEES9_SG_JZNS1_25segmented_radix_sort_implINS0_14default_configELb0EPKlPlSM_SN_N2at6native12_GLOBAL__N_18offset_tEEE10hipError_tPvRmT1_PNSt15iterator_traitsISV_E10value_typeET2_T3_PNSW_IS11_E10value_typeET4_jRbjT5_S17_jjP12ihipStream_tbEUljE_EEESS_ST_SU_S11_S15_S17_T6_T7_T9_mT8_S19_bDpT10_ENKUlT_T0_E_clISt17integral_constantIbLb1EES1M_EEDaS1H_S1I_EUlS1H_E_NS1_11comp_targetILNS1_3genE3ELNS1_11target_archE908ELNS1_3gpuE7ELNS1_3repE0EEENS1_30default_config_static_selectorELNS0_4arch9wavefront6targetE1EEEvSV_: ; @_ZN7rocprim17ROCPRIM_400000_NS6detail17trampoline_kernelINS0_13select_configILj256ELj13ELNS0_17block_load_methodE3ELS4_3ELS4_3ELNS0_20block_scan_algorithmE0ELj4294967295EEENS1_25partition_config_selectorILNS1_17partition_subalgoE3EjNS0_10empty_typeEbEEZZNS1_14partition_implILS8_3ELb0ES6_jNS0_17counting_iteratorIjlEEPS9_SE_NS0_5tupleIJPjSE_EEENSF_IJSE_SE_EEES9_SG_JZNS1_25segmented_radix_sort_implINS0_14default_configELb0EPKlPlSM_SN_N2at6native12_GLOBAL__N_18offset_tEEE10hipError_tPvRmT1_PNSt15iterator_traitsISV_E10value_typeET2_T3_PNSW_IS11_E10value_typeET4_jRbjT5_S17_jjP12ihipStream_tbEUljE_EEESS_ST_SU_S11_S15_S17_T6_T7_T9_mT8_S19_bDpT10_ENKUlT_T0_E_clISt17integral_constantIbLb1EES1M_EEDaS1H_S1I_EUlS1H_E_NS1_11comp_targetILNS1_3genE3ELNS1_11target_archE908ELNS1_3gpuE7ELNS1_3repE0EEENS1_30default_config_static_selectorELNS0_4arch9wavefront6targetE1EEEvSV_
; %bb.0:
	.section	.rodata,"a",@progbits
	.p2align	6, 0x0
	.amdhsa_kernel _ZN7rocprim17ROCPRIM_400000_NS6detail17trampoline_kernelINS0_13select_configILj256ELj13ELNS0_17block_load_methodE3ELS4_3ELS4_3ELNS0_20block_scan_algorithmE0ELj4294967295EEENS1_25partition_config_selectorILNS1_17partition_subalgoE3EjNS0_10empty_typeEbEEZZNS1_14partition_implILS8_3ELb0ES6_jNS0_17counting_iteratorIjlEEPS9_SE_NS0_5tupleIJPjSE_EEENSF_IJSE_SE_EEES9_SG_JZNS1_25segmented_radix_sort_implINS0_14default_configELb0EPKlPlSM_SN_N2at6native12_GLOBAL__N_18offset_tEEE10hipError_tPvRmT1_PNSt15iterator_traitsISV_E10value_typeET2_T3_PNSW_IS11_E10value_typeET4_jRbjT5_S17_jjP12ihipStream_tbEUljE_EEESS_ST_SU_S11_S15_S17_T6_T7_T9_mT8_S19_bDpT10_ENKUlT_T0_E_clISt17integral_constantIbLb1EES1M_EEDaS1H_S1I_EUlS1H_E_NS1_11comp_targetILNS1_3genE3ELNS1_11target_archE908ELNS1_3gpuE7ELNS1_3repE0EEENS1_30default_config_static_selectorELNS0_4arch9wavefront6targetE1EEEvSV_
		.amdhsa_group_segment_fixed_size 0
		.amdhsa_private_segment_fixed_size 0
		.amdhsa_kernarg_size 152
		.amdhsa_user_sgpr_count 6
		.amdhsa_user_sgpr_private_segment_buffer 1
		.amdhsa_user_sgpr_dispatch_ptr 0
		.amdhsa_user_sgpr_queue_ptr 0
		.amdhsa_user_sgpr_kernarg_segment_ptr 1
		.amdhsa_user_sgpr_dispatch_id 0
		.amdhsa_user_sgpr_flat_scratch_init 0
		.amdhsa_user_sgpr_private_segment_size 0
		.amdhsa_uses_dynamic_stack 0
		.amdhsa_system_sgpr_private_segment_wavefront_offset 0
		.amdhsa_system_sgpr_workgroup_id_x 1
		.amdhsa_system_sgpr_workgroup_id_y 0
		.amdhsa_system_sgpr_workgroup_id_z 0
		.amdhsa_system_sgpr_workgroup_info 0
		.amdhsa_system_vgpr_workitem_id 0
		.amdhsa_next_free_vgpr 1
		.amdhsa_next_free_sgpr 0
		.amdhsa_reserve_vcc 0
		.amdhsa_reserve_flat_scratch 0
		.amdhsa_float_round_mode_32 0
		.amdhsa_float_round_mode_16_64 0
		.amdhsa_float_denorm_mode_32 3
		.amdhsa_float_denorm_mode_16_64 3
		.amdhsa_dx10_clamp 1
		.amdhsa_ieee_mode 1
		.amdhsa_fp16_overflow 0
		.amdhsa_exception_fp_ieee_invalid_op 0
		.amdhsa_exception_fp_denorm_src 0
		.amdhsa_exception_fp_ieee_div_zero 0
		.amdhsa_exception_fp_ieee_overflow 0
		.amdhsa_exception_fp_ieee_underflow 0
		.amdhsa_exception_fp_ieee_inexact 0
		.amdhsa_exception_int_div_zero 0
	.end_amdhsa_kernel
	.section	.text._ZN7rocprim17ROCPRIM_400000_NS6detail17trampoline_kernelINS0_13select_configILj256ELj13ELNS0_17block_load_methodE3ELS4_3ELS4_3ELNS0_20block_scan_algorithmE0ELj4294967295EEENS1_25partition_config_selectorILNS1_17partition_subalgoE3EjNS0_10empty_typeEbEEZZNS1_14partition_implILS8_3ELb0ES6_jNS0_17counting_iteratorIjlEEPS9_SE_NS0_5tupleIJPjSE_EEENSF_IJSE_SE_EEES9_SG_JZNS1_25segmented_radix_sort_implINS0_14default_configELb0EPKlPlSM_SN_N2at6native12_GLOBAL__N_18offset_tEEE10hipError_tPvRmT1_PNSt15iterator_traitsISV_E10value_typeET2_T3_PNSW_IS11_E10value_typeET4_jRbjT5_S17_jjP12ihipStream_tbEUljE_EEESS_ST_SU_S11_S15_S17_T6_T7_T9_mT8_S19_bDpT10_ENKUlT_T0_E_clISt17integral_constantIbLb1EES1M_EEDaS1H_S1I_EUlS1H_E_NS1_11comp_targetILNS1_3genE3ELNS1_11target_archE908ELNS1_3gpuE7ELNS1_3repE0EEENS1_30default_config_static_selectorELNS0_4arch9wavefront6targetE1EEEvSV_,"axG",@progbits,_ZN7rocprim17ROCPRIM_400000_NS6detail17trampoline_kernelINS0_13select_configILj256ELj13ELNS0_17block_load_methodE3ELS4_3ELS4_3ELNS0_20block_scan_algorithmE0ELj4294967295EEENS1_25partition_config_selectorILNS1_17partition_subalgoE3EjNS0_10empty_typeEbEEZZNS1_14partition_implILS8_3ELb0ES6_jNS0_17counting_iteratorIjlEEPS9_SE_NS0_5tupleIJPjSE_EEENSF_IJSE_SE_EEES9_SG_JZNS1_25segmented_radix_sort_implINS0_14default_configELb0EPKlPlSM_SN_N2at6native12_GLOBAL__N_18offset_tEEE10hipError_tPvRmT1_PNSt15iterator_traitsISV_E10value_typeET2_T3_PNSW_IS11_E10value_typeET4_jRbjT5_S17_jjP12ihipStream_tbEUljE_EEESS_ST_SU_S11_S15_S17_T6_T7_T9_mT8_S19_bDpT10_ENKUlT_T0_E_clISt17integral_constantIbLb1EES1M_EEDaS1H_S1I_EUlS1H_E_NS1_11comp_targetILNS1_3genE3ELNS1_11target_archE908ELNS1_3gpuE7ELNS1_3repE0EEENS1_30default_config_static_selectorELNS0_4arch9wavefront6targetE1EEEvSV_,comdat
.Lfunc_end786:
	.size	_ZN7rocprim17ROCPRIM_400000_NS6detail17trampoline_kernelINS0_13select_configILj256ELj13ELNS0_17block_load_methodE3ELS4_3ELS4_3ELNS0_20block_scan_algorithmE0ELj4294967295EEENS1_25partition_config_selectorILNS1_17partition_subalgoE3EjNS0_10empty_typeEbEEZZNS1_14partition_implILS8_3ELb0ES6_jNS0_17counting_iteratorIjlEEPS9_SE_NS0_5tupleIJPjSE_EEENSF_IJSE_SE_EEES9_SG_JZNS1_25segmented_radix_sort_implINS0_14default_configELb0EPKlPlSM_SN_N2at6native12_GLOBAL__N_18offset_tEEE10hipError_tPvRmT1_PNSt15iterator_traitsISV_E10value_typeET2_T3_PNSW_IS11_E10value_typeET4_jRbjT5_S17_jjP12ihipStream_tbEUljE_EEESS_ST_SU_S11_S15_S17_T6_T7_T9_mT8_S19_bDpT10_ENKUlT_T0_E_clISt17integral_constantIbLb1EES1M_EEDaS1H_S1I_EUlS1H_E_NS1_11comp_targetILNS1_3genE3ELNS1_11target_archE908ELNS1_3gpuE7ELNS1_3repE0EEENS1_30default_config_static_selectorELNS0_4arch9wavefront6targetE1EEEvSV_, .Lfunc_end786-_ZN7rocprim17ROCPRIM_400000_NS6detail17trampoline_kernelINS0_13select_configILj256ELj13ELNS0_17block_load_methodE3ELS4_3ELS4_3ELNS0_20block_scan_algorithmE0ELj4294967295EEENS1_25partition_config_selectorILNS1_17partition_subalgoE3EjNS0_10empty_typeEbEEZZNS1_14partition_implILS8_3ELb0ES6_jNS0_17counting_iteratorIjlEEPS9_SE_NS0_5tupleIJPjSE_EEENSF_IJSE_SE_EEES9_SG_JZNS1_25segmented_radix_sort_implINS0_14default_configELb0EPKlPlSM_SN_N2at6native12_GLOBAL__N_18offset_tEEE10hipError_tPvRmT1_PNSt15iterator_traitsISV_E10value_typeET2_T3_PNSW_IS11_E10value_typeET4_jRbjT5_S17_jjP12ihipStream_tbEUljE_EEESS_ST_SU_S11_S15_S17_T6_T7_T9_mT8_S19_bDpT10_ENKUlT_T0_E_clISt17integral_constantIbLb1EES1M_EEDaS1H_S1I_EUlS1H_E_NS1_11comp_targetILNS1_3genE3ELNS1_11target_archE908ELNS1_3gpuE7ELNS1_3repE0EEENS1_30default_config_static_selectorELNS0_4arch9wavefront6targetE1EEEvSV_
                                        ; -- End function
	.set _ZN7rocprim17ROCPRIM_400000_NS6detail17trampoline_kernelINS0_13select_configILj256ELj13ELNS0_17block_load_methodE3ELS4_3ELS4_3ELNS0_20block_scan_algorithmE0ELj4294967295EEENS1_25partition_config_selectorILNS1_17partition_subalgoE3EjNS0_10empty_typeEbEEZZNS1_14partition_implILS8_3ELb0ES6_jNS0_17counting_iteratorIjlEEPS9_SE_NS0_5tupleIJPjSE_EEENSF_IJSE_SE_EEES9_SG_JZNS1_25segmented_radix_sort_implINS0_14default_configELb0EPKlPlSM_SN_N2at6native12_GLOBAL__N_18offset_tEEE10hipError_tPvRmT1_PNSt15iterator_traitsISV_E10value_typeET2_T3_PNSW_IS11_E10value_typeET4_jRbjT5_S17_jjP12ihipStream_tbEUljE_EEESS_ST_SU_S11_S15_S17_T6_T7_T9_mT8_S19_bDpT10_ENKUlT_T0_E_clISt17integral_constantIbLb1EES1M_EEDaS1H_S1I_EUlS1H_E_NS1_11comp_targetILNS1_3genE3ELNS1_11target_archE908ELNS1_3gpuE7ELNS1_3repE0EEENS1_30default_config_static_selectorELNS0_4arch9wavefront6targetE1EEEvSV_.num_vgpr, 0
	.set _ZN7rocprim17ROCPRIM_400000_NS6detail17trampoline_kernelINS0_13select_configILj256ELj13ELNS0_17block_load_methodE3ELS4_3ELS4_3ELNS0_20block_scan_algorithmE0ELj4294967295EEENS1_25partition_config_selectorILNS1_17partition_subalgoE3EjNS0_10empty_typeEbEEZZNS1_14partition_implILS8_3ELb0ES6_jNS0_17counting_iteratorIjlEEPS9_SE_NS0_5tupleIJPjSE_EEENSF_IJSE_SE_EEES9_SG_JZNS1_25segmented_radix_sort_implINS0_14default_configELb0EPKlPlSM_SN_N2at6native12_GLOBAL__N_18offset_tEEE10hipError_tPvRmT1_PNSt15iterator_traitsISV_E10value_typeET2_T3_PNSW_IS11_E10value_typeET4_jRbjT5_S17_jjP12ihipStream_tbEUljE_EEESS_ST_SU_S11_S15_S17_T6_T7_T9_mT8_S19_bDpT10_ENKUlT_T0_E_clISt17integral_constantIbLb1EES1M_EEDaS1H_S1I_EUlS1H_E_NS1_11comp_targetILNS1_3genE3ELNS1_11target_archE908ELNS1_3gpuE7ELNS1_3repE0EEENS1_30default_config_static_selectorELNS0_4arch9wavefront6targetE1EEEvSV_.num_agpr, 0
	.set _ZN7rocprim17ROCPRIM_400000_NS6detail17trampoline_kernelINS0_13select_configILj256ELj13ELNS0_17block_load_methodE3ELS4_3ELS4_3ELNS0_20block_scan_algorithmE0ELj4294967295EEENS1_25partition_config_selectorILNS1_17partition_subalgoE3EjNS0_10empty_typeEbEEZZNS1_14partition_implILS8_3ELb0ES6_jNS0_17counting_iteratorIjlEEPS9_SE_NS0_5tupleIJPjSE_EEENSF_IJSE_SE_EEES9_SG_JZNS1_25segmented_radix_sort_implINS0_14default_configELb0EPKlPlSM_SN_N2at6native12_GLOBAL__N_18offset_tEEE10hipError_tPvRmT1_PNSt15iterator_traitsISV_E10value_typeET2_T3_PNSW_IS11_E10value_typeET4_jRbjT5_S17_jjP12ihipStream_tbEUljE_EEESS_ST_SU_S11_S15_S17_T6_T7_T9_mT8_S19_bDpT10_ENKUlT_T0_E_clISt17integral_constantIbLb1EES1M_EEDaS1H_S1I_EUlS1H_E_NS1_11comp_targetILNS1_3genE3ELNS1_11target_archE908ELNS1_3gpuE7ELNS1_3repE0EEENS1_30default_config_static_selectorELNS0_4arch9wavefront6targetE1EEEvSV_.numbered_sgpr, 0
	.set _ZN7rocprim17ROCPRIM_400000_NS6detail17trampoline_kernelINS0_13select_configILj256ELj13ELNS0_17block_load_methodE3ELS4_3ELS4_3ELNS0_20block_scan_algorithmE0ELj4294967295EEENS1_25partition_config_selectorILNS1_17partition_subalgoE3EjNS0_10empty_typeEbEEZZNS1_14partition_implILS8_3ELb0ES6_jNS0_17counting_iteratorIjlEEPS9_SE_NS0_5tupleIJPjSE_EEENSF_IJSE_SE_EEES9_SG_JZNS1_25segmented_radix_sort_implINS0_14default_configELb0EPKlPlSM_SN_N2at6native12_GLOBAL__N_18offset_tEEE10hipError_tPvRmT1_PNSt15iterator_traitsISV_E10value_typeET2_T3_PNSW_IS11_E10value_typeET4_jRbjT5_S17_jjP12ihipStream_tbEUljE_EEESS_ST_SU_S11_S15_S17_T6_T7_T9_mT8_S19_bDpT10_ENKUlT_T0_E_clISt17integral_constantIbLb1EES1M_EEDaS1H_S1I_EUlS1H_E_NS1_11comp_targetILNS1_3genE3ELNS1_11target_archE908ELNS1_3gpuE7ELNS1_3repE0EEENS1_30default_config_static_selectorELNS0_4arch9wavefront6targetE1EEEvSV_.num_named_barrier, 0
	.set _ZN7rocprim17ROCPRIM_400000_NS6detail17trampoline_kernelINS0_13select_configILj256ELj13ELNS0_17block_load_methodE3ELS4_3ELS4_3ELNS0_20block_scan_algorithmE0ELj4294967295EEENS1_25partition_config_selectorILNS1_17partition_subalgoE3EjNS0_10empty_typeEbEEZZNS1_14partition_implILS8_3ELb0ES6_jNS0_17counting_iteratorIjlEEPS9_SE_NS0_5tupleIJPjSE_EEENSF_IJSE_SE_EEES9_SG_JZNS1_25segmented_radix_sort_implINS0_14default_configELb0EPKlPlSM_SN_N2at6native12_GLOBAL__N_18offset_tEEE10hipError_tPvRmT1_PNSt15iterator_traitsISV_E10value_typeET2_T3_PNSW_IS11_E10value_typeET4_jRbjT5_S17_jjP12ihipStream_tbEUljE_EEESS_ST_SU_S11_S15_S17_T6_T7_T9_mT8_S19_bDpT10_ENKUlT_T0_E_clISt17integral_constantIbLb1EES1M_EEDaS1H_S1I_EUlS1H_E_NS1_11comp_targetILNS1_3genE3ELNS1_11target_archE908ELNS1_3gpuE7ELNS1_3repE0EEENS1_30default_config_static_selectorELNS0_4arch9wavefront6targetE1EEEvSV_.private_seg_size, 0
	.set _ZN7rocprim17ROCPRIM_400000_NS6detail17trampoline_kernelINS0_13select_configILj256ELj13ELNS0_17block_load_methodE3ELS4_3ELS4_3ELNS0_20block_scan_algorithmE0ELj4294967295EEENS1_25partition_config_selectorILNS1_17partition_subalgoE3EjNS0_10empty_typeEbEEZZNS1_14partition_implILS8_3ELb0ES6_jNS0_17counting_iteratorIjlEEPS9_SE_NS0_5tupleIJPjSE_EEENSF_IJSE_SE_EEES9_SG_JZNS1_25segmented_radix_sort_implINS0_14default_configELb0EPKlPlSM_SN_N2at6native12_GLOBAL__N_18offset_tEEE10hipError_tPvRmT1_PNSt15iterator_traitsISV_E10value_typeET2_T3_PNSW_IS11_E10value_typeET4_jRbjT5_S17_jjP12ihipStream_tbEUljE_EEESS_ST_SU_S11_S15_S17_T6_T7_T9_mT8_S19_bDpT10_ENKUlT_T0_E_clISt17integral_constantIbLb1EES1M_EEDaS1H_S1I_EUlS1H_E_NS1_11comp_targetILNS1_3genE3ELNS1_11target_archE908ELNS1_3gpuE7ELNS1_3repE0EEENS1_30default_config_static_selectorELNS0_4arch9wavefront6targetE1EEEvSV_.uses_vcc, 0
	.set _ZN7rocprim17ROCPRIM_400000_NS6detail17trampoline_kernelINS0_13select_configILj256ELj13ELNS0_17block_load_methodE3ELS4_3ELS4_3ELNS0_20block_scan_algorithmE0ELj4294967295EEENS1_25partition_config_selectorILNS1_17partition_subalgoE3EjNS0_10empty_typeEbEEZZNS1_14partition_implILS8_3ELb0ES6_jNS0_17counting_iteratorIjlEEPS9_SE_NS0_5tupleIJPjSE_EEENSF_IJSE_SE_EEES9_SG_JZNS1_25segmented_radix_sort_implINS0_14default_configELb0EPKlPlSM_SN_N2at6native12_GLOBAL__N_18offset_tEEE10hipError_tPvRmT1_PNSt15iterator_traitsISV_E10value_typeET2_T3_PNSW_IS11_E10value_typeET4_jRbjT5_S17_jjP12ihipStream_tbEUljE_EEESS_ST_SU_S11_S15_S17_T6_T7_T9_mT8_S19_bDpT10_ENKUlT_T0_E_clISt17integral_constantIbLb1EES1M_EEDaS1H_S1I_EUlS1H_E_NS1_11comp_targetILNS1_3genE3ELNS1_11target_archE908ELNS1_3gpuE7ELNS1_3repE0EEENS1_30default_config_static_selectorELNS0_4arch9wavefront6targetE1EEEvSV_.uses_flat_scratch, 0
	.set _ZN7rocprim17ROCPRIM_400000_NS6detail17trampoline_kernelINS0_13select_configILj256ELj13ELNS0_17block_load_methodE3ELS4_3ELS4_3ELNS0_20block_scan_algorithmE0ELj4294967295EEENS1_25partition_config_selectorILNS1_17partition_subalgoE3EjNS0_10empty_typeEbEEZZNS1_14partition_implILS8_3ELb0ES6_jNS0_17counting_iteratorIjlEEPS9_SE_NS0_5tupleIJPjSE_EEENSF_IJSE_SE_EEES9_SG_JZNS1_25segmented_radix_sort_implINS0_14default_configELb0EPKlPlSM_SN_N2at6native12_GLOBAL__N_18offset_tEEE10hipError_tPvRmT1_PNSt15iterator_traitsISV_E10value_typeET2_T3_PNSW_IS11_E10value_typeET4_jRbjT5_S17_jjP12ihipStream_tbEUljE_EEESS_ST_SU_S11_S15_S17_T6_T7_T9_mT8_S19_bDpT10_ENKUlT_T0_E_clISt17integral_constantIbLb1EES1M_EEDaS1H_S1I_EUlS1H_E_NS1_11comp_targetILNS1_3genE3ELNS1_11target_archE908ELNS1_3gpuE7ELNS1_3repE0EEENS1_30default_config_static_selectorELNS0_4arch9wavefront6targetE1EEEvSV_.has_dyn_sized_stack, 0
	.set _ZN7rocprim17ROCPRIM_400000_NS6detail17trampoline_kernelINS0_13select_configILj256ELj13ELNS0_17block_load_methodE3ELS4_3ELS4_3ELNS0_20block_scan_algorithmE0ELj4294967295EEENS1_25partition_config_selectorILNS1_17partition_subalgoE3EjNS0_10empty_typeEbEEZZNS1_14partition_implILS8_3ELb0ES6_jNS0_17counting_iteratorIjlEEPS9_SE_NS0_5tupleIJPjSE_EEENSF_IJSE_SE_EEES9_SG_JZNS1_25segmented_radix_sort_implINS0_14default_configELb0EPKlPlSM_SN_N2at6native12_GLOBAL__N_18offset_tEEE10hipError_tPvRmT1_PNSt15iterator_traitsISV_E10value_typeET2_T3_PNSW_IS11_E10value_typeET4_jRbjT5_S17_jjP12ihipStream_tbEUljE_EEESS_ST_SU_S11_S15_S17_T6_T7_T9_mT8_S19_bDpT10_ENKUlT_T0_E_clISt17integral_constantIbLb1EES1M_EEDaS1H_S1I_EUlS1H_E_NS1_11comp_targetILNS1_3genE3ELNS1_11target_archE908ELNS1_3gpuE7ELNS1_3repE0EEENS1_30default_config_static_selectorELNS0_4arch9wavefront6targetE1EEEvSV_.has_recursion, 0
	.set _ZN7rocprim17ROCPRIM_400000_NS6detail17trampoline_kernelINS0_13select_configILj256ELj13ELNS0_17block_load_methodE3ELS4_3ELS4_3ELNS0_20block_scan_algorithmE0ELj4294967295EEENS1_25partition_config_selectorILNS1_17partition_subalgoE3EjNS0_10empty_typeEbEEZZNS1_14partition_implILS8_3ELb0ES6_jNS0_17counting_iteratorIjlEEPS9_SE_NS0_5tupleIJPjSE_EEENSF_IJSE_SE_EEES9_SG_JZNS1_25segmented_radix_sort_implINS0_14default_configELb0EPKlPlSM_SN_N2at6native12_GLOBAL__N_18offset_tEEE10hipError_tPvRmT1_PNSt15iterator_traitsISV_E10value_typeET2_T3_PNSW_IS11_E10value_typeET4_jRbjT5_S17_jjP12ihipStream_tbEUljE_EEESS_ST_SU_S11_S15_S17_T6_T7_T9_mT8_S19_bDpT10_ENKUlT_T0_E_clISt17integral_constantIbLb1EES1M_EEDaS1H_S1I_EUlS1H_E_NS1_11comp_targetILNS1_3genE3ELNS1_11target_archE908ELNS1_3gpuE7ELNS1_3repE0EEENS1_30default_config_static_selectorELNS0_4arch9wavefront6targetE1EEEvSV_.has_indirect_call, 0
	.section	.AMDGPU.csdata,"",@progbits
; Kernel info:
; codeLenInByte = 0
; TotalNumSgprs: 4
; NumVgprs: 0
; ScratchSize: 0
; MemoryBound: 0
; FloatMode: 240
; IeeeMode: 1
; LDSByteSize: 0 bytes/workgroup (compile time only)
; SGPRBlocks: 0
; VGPRBlocks: 0
; NumSGPRsForWavesPerEU: 4
; NumVGPRsForWavesPerEU: 1
; Occupancy: 10
; WaveLimiterHint : 0
; COMPUTE_PGM_RSRC2:SCRATCH_EN: 0
; COMPUTE_PGM_RSRC2:USER_SGPR: 6
; COMPUTE_PGM_RSRC2:TRAP_HANDLER: 0
; COMPUTE_PGM_RSRC2:TGID_X_EN: 1
; COMPUTE_PGM_RSRC2:TGID_Y_EN: 0
; COMPUTE_PGM_RSRC2:TGID_Z_EN: 0
; COMPUTE_PGM_RSRC2:TIDIG_COMP_CNT: 0
	.section	.text._ZN7rocprim17ROCPRIM_400000_NS6detail17trampoline_kernelINS0_13select_configILj256ELj13ELNS0_17block_load_methodE3ELS4_3ELS4_3ELNS0_20block_scan_algorithmE0ELj4294967295EEENS1_25partition_config_selectorILNS1_17partition_subalgoE3EjNS0_10empty_typeEbEEZZNS1_14partition_implILS8_3ELb0ES6_jNS0_17counting_iteratorIjlEEPS9_SE_NS0_5tupleIJPjSE_EEENSF_IJSE_SE_EEES9_SG_JZNS1_25segmented_radix_sort_implINS0_14default_configELb0EPKlPlSM_SN_N2at6native12_GLOBAL__N_18offset_tEEE10hipError_tPvRmT1_PNSt15iterator_traitsISV_E10value_typeET2_T3_PNSW_IS11_E10value_typeET4_jRbjT5_S17_jjP12ihipStream_tbEUljE_EEESS_ST_SU_S11_S15_S17_T6_T7_T9_mT8_S19_bDpT10_ENKUlT_T0_E_clISt17integral_constantIbLb1EES1M_EEDaS1H_S1I_EUlS1H_E_NS1_11comp_targetILNS1_3genE2ELNS1_11target_archE906ELNS1_3gpuE6ELNS1_3repE0EEENS1_30default_config_static_selectorELNS0_4arch9wavefront6targetE1EEEvSV_,"axG",@progbits,_ZN7rocprim17ROCPRIM_400000_NS6detail17trampoline_kernelINS0_13select_configILj256ELj13ELNS0_17block_load_methodE3ELS4_3ELS4_3ELNS0_20block_scan_algorithmE0ELj4294967295EEENS1_25partition_config_selectorILNS1_17partition_subalgoE3EjNS0_10empty_typeEbEEZZNS1_14partition_implILS8_3ELb0ES6_jNS0_17counting_iteratorIjlEEPS9_SE_NS0_5tupleIJPjSE_EEENSF_IJSE_SE_EEES9_SG_JZNS1_25segmented_radix_sort_implINS0_14default_configELb0EPKlPlSM_SN_N2at6native12_GLOBAL__N_18offset_tEEE10hipError_tPvRmT1_PNSt15iterator_traitsISV_E10value_typeET2_T3_PNSW_IS11_E10value_typeET4_jRbjT5_S17_jjP12ihipStream_tbEUljE_EEESS_ST_SU_S11_S15_S17_T6_T7_T9_mT8_S19_bDpT10_ENKUlT_T0_E_clISt17integral_constantIbLb1EES1M_EEDaS1H_S1I_EUlS1H_E_NS1_11comp_targetILNS1_3genE2ELNS1_11target_archE906ELNS1_3gpuE6ELNS1_3repE0EEENS1_30default_config_static_selectorELNS0_4arch9wavefront6targetE1EEEvSV_,comdat
	.globl	_ZN7rocprim17ROCPRIM_400000_NS6detail17trampoline_kernelINS0_13select_configILj256ELj13ELNS0_17block_load_methodE3ELS4_3ELS4_3ELNS0_20block_scan_algorithmE0ELj4294967295EEENS1_25partition_config_selectorILNS1_17partition_subalgoE3EjNS0_10empty_typeEbEEZZNS1_14partition_implILS8_3ELb0ES6_jNS0_17counting_iteratorIjlEEPS9_SE_NS0_5tupleIJPjSE_EEENSF_IJSE_SE_EEES9_SG_JZNS1_25segmented_radix_sort_implINS0_14default_configELb0EPKlPlSM_SN_N2at6native12_GLOBAL__N_18offset_tEEE10hipError_tPvRmT1_PNSt15iterator_traitsISV_E10value_typeET2_T3_PNSW_IS11_E10value_typeET4_jRbjT5_S17_jjP12ihipStream_tbEUljE_EEESS_ST_SU_S11_S15_S17_T6_T7_T9_mT8_S19_bDpT10_ENKUlT_T0_E_clISt17integral_constantIbLb1EES1M_EEDaS1H_S1I_EUlS1H_E_NS1_11comp_targetILNS1_3genE2ELNS1_11target_archE906ELNS1_3gpuE6ELNS1_3repE0EEENS1_30default_config_static_selectorELNS0_4arch9wavefront6targetE1EEEvSV_ ; -- Begin function _ZN7rocprim17ROCPRIM_400000_NS6detail17trampoline_kernelINS0_13select_configILj256ELj13ELNS0_17block_load_methodE3ELS4_3ELS4_3ELNS0_20block_scan_algorithmE0ELj4294967295EEENS1_25partition_config_selectorILNS1_17partition_subalgoE3EjNS0_10empty_typeEbEEZZNS1_14partition_implILS8_3ELb0ES6_jNS0_17counting_iteratorIjlEEPS9_SE_NS0_5tupleIJPjSE_EEENSF_IJSE_SE_EEES9_SG_JZNS1_25segmented_radix_sort_implINS0_14default_configELb0EPKlPlSM_SN_N2at6native12_GLOBAL__N_18offset_tEEE10hipError_tPvRmT1_PNSt15iterator_traitsISV_E10value_typeET2_T3_PNSW_IS11_E10value_typeET4_jRbjT5_S17_jjP12ihipStream_tbEUljE_EEESS_ST_SU_S11_S15_S17_T6_T7_T9_mT8_S19_bDpT10_ENKUlT_T0_E_clISt17integral_constantIbLb1EES1M_EEDaS1H_S1I_EUlS1H_E_NS1_11comp_targetILNS1_3genE2ELNS1_11target_archE906ELNS1_3gpuE6ELNS1_3repE0EEENS1_30default_config_static_selectorELNS0_4arch9wavefront6targetE1EEEvSV_
	.p2align	8
	.type	_ZN7rocprim17ROCPRIM_400000_NS6detail17trampoline_kernelINS0_13select_configILj256ELj13ELNS0_17block_load_methodE3ELS4_3ELS4_3ELNS0_20block_scan_algorithmE0ELj4294967295EEENS1_25partition_config_selectorILNS1_17partition_subalgoE3EjNS0_10empty_typeEbEEZZNS1_14partition_implILS8_3ELb0ES6_jNS0_17counting_iteratorIjlEEPS9_SE_NS0_5tupleIJPjSE_EEENSF_IJSE_SE_EEES9_SG_JZNS1_25segmented_radix_sort_implINS0_14default_configELb0EPKlPlSM_SN_N2at6native12_GLOBAL__N_18offset_tEEE10hipError_tPvRmT1_PNSt15iterator_traitsISV_E10value_typeET2_T3_PNSW_IS11_E10value_typeET4_jRbjT5_S17_jjP12ihipStream_tbEUljE_EEESS_ST_SU_S11_S15_S17_T6_T7_T9_mT8_S19_bDpT10_ENKUlT_T0_E_clISt17integral_constantIbLb1EES1M_EEDaS1H_S1I_EUlS1H_E_NS1_11comp_targetILNS1_3genE2ELNS1_11target_archE906ELNS1_3gpuE6ELNS1_3repE0EEENS1_30default_config_static_selectorELNS0_4arch9wavefront6targetE1EEEvSV_,@function
_ZN7rocprim17ROCPRIM_400000_NS6detail17trampoline_kernelINS0_13select_configILj256ELj13ELNS0_17block_load_methodE3ELS4_3ELS4_3ELNS0_20block_scan_algorithmE0ELj4294967295EEENS1_25partition_config_selectorILNS1_17partition_subalgoE3EjNS0_10empty_typeEbEEZZNS1_14partition_implILS8_3ELb0ES6_jNS0_17counting_iteratorIjlEEPS9_SE_NS0_5tupleIJPjSE_EEENSF_IJSE_SE_EEES9_SG_JZNS1_25segmented_radix_sort_implINS0_14default_configELb0EPKlPlSM_SN_N2at6native12_GLOBAL__N_18offset_tEEE10hipError_tPvRmT1_PNSt15iterator_traitsISV_E10value_typeET2_T3_PNSW_IS11_E10value_typeET4_jRbjT5_S17_jjP12ihipStream_tbEUljE_EEESS_ST_SU_S11_S15_S17_T6_T7_T9_mT8_S19_bDpT10_ENKUlT_T0_E_clISt17integral_constantIbLb1EES1M_EEDaS1H_S1I_EUlS1H_E_NS1_11comp_targetILNS1_3genE2ELNS1_11target_archE906ELNS1_3gpuE6ELNS1_3repE0EEENS1_30default_config_static_selectorELNS0_4arch9wavefront6targetE1EEEvSV_: ; @_ZN7rocprim17ROCPRIM_400000_NS6detail17trampoline_kernelINS0_13select_configILj256ELj13ELNS0_17block_load_methodE3ELS4_3ELS4_3ELNS0_20block_scan_algorithmE0ELj4294967295EEENS1_25partition_config_selectorILNS1_17partition_subalgoE3EjNS0_10empty_typeEbEEZZNS1_14partition_implILS8_3ELb0ES6_jNS0_17counting_iteratorIjlEEPS9_SE_NS0_5tupleIJPjSE_EEENSF_IJSE_SE_EEES9_SG_JZNS1_25segmented_radix_sort_implINS0_14default_configELb0EPKlPlSM_SN_N2at6native12_GLOBAL__N_18offset_tEEE10hipError_tPvRmT1_PNSt15iterator_traitsISV_E10value_typeET2_T3_PNSW_IS11_E10value_typeET4_jRbjT5_S17_jjP12ihipStream_tbEUljE_EEESS_ST_SU_S11_S15_S17_T6_T7_T9_mT8_S19_bDpT10_ENKUlT_T0_E_clISt17integral_constantIbLb1EES1M_EEDaS1H_S1I_EUlS1H_E_NS1_11comp_targetILNS1_3genE2ELNS1_11target_archE906ELNS1_3gpuE6ELNS1_3repE0EEENS1_30default_config_static_selectorELNS0_4arch9wavefront6targetE1EEEvSV_
; %bb.0:
	s_endpgm
	.section	.rodata,"a",@progbits
	.p2align	6, 0x0
	.amdhsa_kernel _ZN7rocprim17ROCPRIM_400000_NS6detail17trampoline_kernelINS0_13select_configILj256ELj13ELNS0_17block_load_methodE3ELS4_3ELS4_3ELNS0_20block_scan_algorithmE0ELj4294967295EEENS1_25partition_config_selectorILNS1_17partition_subalgoE3EjNS0_10empty_typeEbEEZZNS1_14partition_implILS8_3ELb0ES6_jNS0_17counting_iteratorIjlEEPS9_SE_NS0_5tupleIJPjSE_EEENSF_IJSE_SE_EEES9_SG_JZNS1_25segmented_radix_sort_implINS0_14default_configELb0EPKlPlSM_SN_N2at6native12_GLOBAL__N_18offset_tEEE10hipError_tPvRmT1_PNSt15iterator_traitsISV_E10value_typeET2_T3_PNSW_IS11_E10value_typeET4_jRbjT5_S17_jjP12ihipStream_tbEUljE_EEESS_ST_SU_S11_S15_S17_T6_T7_T9_mT8_S19_bDpT10_ENKUlT_T0_E_clISt17integral_constantIbLb1EES1M_EEDaS1H_S1I_EUlS1H_E_NS1_11comp_targetILNS1_3genE2ELNS1_11target_archE906ELNS1_3gpuE6ELNS1_3repE0EEENS1_30default_config_static_selectorELNS0_4arch9wavefront6targetE1EEEvSV_
		.amdhsa_group_segment_fixed_size 0
		.amdhsa_private_segment_fixed_size 0
		.amdhsa_kernarg_size 152
		.amdhsa_user_sgpr_count 6
		.amdhsa_user_sgpr_private_segment_buffer 1
		.amdhsa_user_sgpr_dispatch_ptr 0
		.amdhsa_user_sgpr_queue_ptr 0
		.amdhsa_user_sgpr_kernarg_segment_ptr 1
		.amdhsa_user_sgpr_dispatch_id 0
		.amdhsa_user_sgpr_flat_scratch_init 0
		.amdhsa_user_sgpr_private_segment_size 0
		.amdhsa_uses_dynamic_stack 0
		.amdhsa_system_sgpr_private_segment_wavefront_offset 0
		.amdhsa_system_sgpr_workgroup_id_x 1
		.amdhsa_system_sgpr_workgroup_id_y 0
		.amdhsa_system_sgpr_workgroup_id_z 0
		.amdhsa_system_sgpr_workgroup_info 0
		.amdhsa_system_vgpr_workitem_id 0
		.amdhsa_next_free_vgpr 1
		.amdhsa_next_free_sgpr 0
		.amdhsa_reserve_vcc 0
		.amdhsa_reserve_flat_scratch 0
		.amdhsa_float_round_mode_32 0
		.amdhsa_float_round_mode_16_64 0
		.amdhsa_float_denorm_mode_32 3
		.amdhsa_float_denorm_mode_16_64 3
		.amdhsa_dx10_clamp 1
		.amdhsa_ieee_mode 1
		.amdhsa_fp16_overflow 0
		.amdhsa_exception_fp_ieee_invalid_op 0
		.amdhsa_exception_fp_denorm_src 0
		.amdhsa_exception_fp_ieee_div_zero 0
		.amdhsa_exception_fp_ieee_overflow 0
		.amdhsa_exception_fp_ieee_underflow 0
		.amdhsa_exception_fp_ieee_inexact 0
		.amdhsa_exception_int_div_zero 0
	.end_amdhsa_kernel
	.section	.text._ZN7rocprim17ROCPRIM_400000_NS6detail17trampoline_kernelINS0_13select_configILj256ELj13ELNS0_17block_load_methodE3ELS4_3ELS4_3ELNS0_20block_scan_algorithmE0ELj4294967295EEENS1_25partition_config_selectorILNS1_17partition_subalgoE3EjNS0_10empty_typeEbEEZZNS1_14partition_implILS8_3ELb0ES6_jNS0_17counting_iteratorIjlEEPS9_SE_NS0_5tupleIJPjSE_EEENSF_IJSE_SE_EEES9_SG_JZNS1_25segmented_radix_sort_implINS0_14default_configELb0EPKlPlSM_SN_N2at6native12_GLOBAL__N_18offset_tEEE10hipError_tPvRmT1_PNSt15iterator_traitsISV_E10value_typeET2_T3_PNSW_IS11_E10value_typeET4_jRbjT5_S17_jjP12ihipStream_tbEUljE_EEESS_ST_SU_S11_S15_S17_T6_T7_T9_mT8_S19_bDpT10_ENKUlT_T0_E_clISt17integral_constantIbLb1EES1M_EEDaS1H_S1I_EUlS1H_E_NS1_11comp_targetILNS1_3genE2ELNS1_11target_archE906ELNS1_3gpuE6ELNS1_3repE0EEENS1_30default_config_static_selectorELNS0_4arch9wavefront6targetE1EEEvSV_,"axG",@progbits,_ZN7rocprim17ROCPRIM_400000_NS6detail17trampoline_kernelINS0_13select_configILj256ELj13ELNS0_17block_load_methodE3ELS4_3ELS4_3ELNS0_20block_scan_algorithmE0ELj4294967295EEENS1_25partition_config_selectorILNS1_17partition_subalgoE3EjNS0_10empty_typeEbEEZZNS1_14partition_implILS8_3ELb0ES6_jNS0_17counting_iteratorIjlEEPS9_SE_NS0_5tupleIJPjSE_EEENSF_IJSE_SE_EEES9_SG_JZNS1_25segmented_radix_sort_implINS0_14default_configELb0EPKlPlSM_SN_N2at6native12_GLOBAL__N_18offset_tEEE10hipError_tPvRmT1_PNSt15iterator_traitsISV_E10value_typeET2_T3_PNSW_IS11_E10value_typeET4_jRbjT5_S17_jjP12ihipStream_tbEUljE_EEESS_ST_SU_S11_S15_S17_T6_T7_T9_mT8_S19_bDpT10_ENKUlT_T0_E_clISt17integral_constantIbLb1EES1M_EEDaS1H_S1I_EUlS1H_E_NS1_11comp_targetILNS1_3genE2ELNS1_11target_archE906ELNS1_3gpuE6ELNS1_3repE0EEENS1_30default_config_static_selectorELNS0_4arch9wavefront6targetE1EEEvSV_,comdat
.Lfunc_end787:
	.size	_ZN7rocprim17ROCPRIM_400000_NS6detail17trampoline_kernelINS0_13select_configILj256ELj13ELNS0_17block_load_methodE3ELS4_3ELS4_3ELNS0_20block_scan_algorithmE0ELj4294967295EEENS1_25partition_config_selectorILNS1_17partition_subalgoE3EjNS0_10empty_typeEbEEZZNS1_14partition_implILS8_3ELb0ES6_jNS0_17counting_iteratorIjlEEPS9_SE_NS0_5tupleIJPjSE_EEENSF_IJSE_SE_EEES9_SG_JZNS1_25segmented_radix_sort_implINS0_14default_configELb0EPKlPlSM_SN_N2at6native12_GLOBAL__N_18offset_tEEE10hipError_tPvRmT1_PNSt15iterator_traitsISV_E10value_typeET2_T3_PNSW_IS11_E10value_typeET4_jRbjT5_S17_jjP12ihipStream_tbEUljE_EEESS_ST_SU_S11_S15_S17_T6_T7_T9_mT8_S19_bDpT10_ENKUlT_T0_E_clISt17integral_constantIbLb1EES1M_EEDaS1H_S1I_EUlS1H_E_NS1_11comp_targetILNS1_3genE2ELNS1_11target_archE906ELNS1_3gpuE6ELNS1_3repE0EEENS1_30default_config_static_selectorELNS0_4arch9wavefront6targetE1EEEvSV_, .Lfunc_end787-_ZN7rocprim17ROCPRIM_400000_NS6detail17trampoline_kernelINS0_13select_configILj256ELj13ELNS0_17block_load_methodE3ELS4_3ELS4_3ELNS0_20block_scan_algorithmE0ELj4294967295EEENS1_25partition_config_selectorILNS1_17partition_subalgoE3EjNS0_10empty_typeEbEEZZNS1_14partition_implILS8_3ELb0ES6_jNS0_17counting_iteratorIjlEEPS9_SE_NS0_5tupleIJPjSE_EEENSF_IJSE_SE_EEES9_SG_JZNS1_25segmented_radix_sort_implINS0_14default_configELb0EPKlPlSM_SN_N2at6native12_GLOBAL__N_18offset_tEEE10hipError_tPvRmT1_PNSt15iterator_traitsISV_E10value_typeET2_T3_PNSW_IS11_E10value_typeET4_jRbjT5_S17_jjP12ihipStream_tbEUljE_EEESS_ST_SU_S11_S15_S17_T6_T7_T9_mT8_S19_bDpT10_ENKUlT_T0_E_clISt17integral_constantIbLb1EES1M_EEDaS1H_S1I_EUlS1H_E_NS1_11comp_targetILNS1_3genE2ELNS1_11target_archE906ELNS1_3gpuE6ELNS1_3repE0EEENS1_30default_config_static_selectorELNS0_4arch9wavefront6targetE1EEEvSV_
                                        ; -- End function
	.set _ZN7rocprim17ROCPRIM_400000_NS6detail17trampoline_kernelINS0_13select_configILj256ELj13ELNS0_17block_load_methodE3ELS4_3ELS4_3ELNS0_20block_scan_algorithmE0ELj4294967295EEENS1_25partition_config_selectorILNS1_17partition_subalgoE3EjNS0_10empty_typeEbEEZZNS1_14partition_implILS8_3ELb0ES6_jNS0_17counting_iteratorIjlEEPS9_SE_NS0_5tupleIJPjSE_EEENSF_IJSE_SE_EEES9_SG_JZNS1_25segmented_radix_sort_implINS0_14default_configELb0EPKlPlSM_SN_N2at6native12_GLOBAL__N_18offset_tEEE10hipError_tPvRmT1_PNSt15iterator_traitsISV_E10value_typeET2_T3_PNSW_IS11_E10value_typeET4_jRbjT5_S17_jjP12ihipStream_tbEUljE_EEESS_ST_SU_S11_S15_S17_T6_T7_T9_mT8_S19_bDpT10_ENKUlT_T0_E_clISt17integral_constantIbLb1EES1M_EEDaS1H_S1I_EUlS1H_E_NS1_11comp_targetILNS1_3genE2ELNS1_11target_archE906ELNS1_3gpuE6ELNS1_3repE0EEENS1_30default_config_static_selectorELNS0_4arch9wavefront6targetE1EEEvSV_.num_vgpr, 0
	.set _ZN7rocprim17ROCPRIM_400000_NS6detail17trampoline_kernelINS0_13select_configILj256ELj13ELNS0_17block_load_methodE3ELS4_3ELS4_3ELNS0_20block_scan_algorithmE0ELj4294967295EEENS1_25partition_config_selectorILNS1_17partition_subalgoE3EjNS0_10empty_typeEbEEZZNS1_14partition_implILS8_3ELb0ES6_jNS0_17counting_iteratorIjlEEPS9_SE_NS0_5tupleIJPjSE_EEENSF_IJSE_SE_EEES9_SG_JZNS1_25segmented_radix_sort_implINS0_14default_configELb0EPKlPlSM_SN_N2at6native12_GLOBAL__N_18offset_tEEE10hipError_tPvRmT1_PNSt15iterator_traitsISV_E10value_typeET2_T3_PNSW_IS11_E10value_typeET4_jRbjT5_S17_jjP12ihipStream_tbEUljE_EEESS_ST_SU_S11_S15_S17_T6_T7_T9_mT8_S19_bDpT10_ENKUlT_T0_E_clISt17integral_constantIbLb1EES1M_EEDaS1H_S1I_EUlS1H_E_NS1_11comp_targetILNS1_3genE2ELNS1_11target_archE906ELNS1_3gpuE6ELNS1_3repE0EEENS1_30default_config_static_selectorELNS0_4arch9wavefront6targetE1EEEvSV_.num_agpr, 0
	.set _ZN7rocprim17ROCPRIM_400000_NS6detail17trampoline_kernelINS0_13select_configILj256ELj13ELNS0_17block_load_methodE3ELS4_3ELS4_3ELNS0_20block_scan_algorithmE0ELj4294967295EEENS1_25partition_config_selectorILNS1_17partition_subalgoE3EjNS0_10empty_typeEbEEZZNS1_14partition_implILS8_3ELb0ES6_jNS0_17counting_iteratorIjlEEPS9_SE_NS0_5tupleIJPjSE_EEENSF_IJSE_SE_EEES9_SG_JZNS1_25segmented_radix_sort_implINS0_14default_configELb0EPKlPlSM_SN_N2at6native12_GLOBAL__N_18offset_tEEE10hipError_tPvRmT1_PNSt15iterator_traitsISV_E10value_typeET2_T3_PNSW_IS11_E10value_typeET4_jRbjT5_S17_jjP12ihipStream_tbEUljE_EEESS_ST_SU_S11_S15_S17_T6_T7_T9_mT8_S19_bDpT10_ENKUlT_T0_E_clISt17integral_constantIbLb1EES1M_EEDaS1H_S1I_EUlS1H_E_NS1_11comp_targetILNS1_3genE2ELNS1_11target_archE906ELNS1_3gpuE6ELNS1_3repE0EEENS1_30default_config_static_selectorELNS0_4arch9wavefront6targetE1EEEvSV_.numbered_sgpr, 0
	.set _ZN7rocprim17ROCPRIM_400000_NS6detail17trampoline_kernelINS0_13select_configILj256ELj13ELNS0_17block_load_methodE3ELS4_3ELS4_3ELNS0_20block_scan_algorithmE0ELj4294967295EEENS1_25partition_config_selectorILNS1_17partition_subalgoE3EjNS0_10empty_typeEbEEZZNS1_14partition_implILS8_3ELb0ES6_jNS0_17counting_iteratorIjlEEPS9_SE_NS0_5tupleIJPjSE_EEENSF_IJSE_SE_EEES9_SG_JZNS1_25segmented_radix_sort_implINS0_14default_configELb0EPKlPlSM_SN_N2at6native12_GLOBAL__N_18offset_tEEE10hipError_tPvRmT1_PNSt15iterator_traitsISV_E10value_typeET2_T3_PNSW_IS11_E10value_typeET4_jRbjT5_S17_jjP12ihipStream_tbEUljE_EEESS_ST_SU_S11_S15_S17_T6_T7_T9_mT8_S19_bDpT10_ENKUlT_T0_E_clISt17integral_constantIbLb1EES1M_EEDaS1H_S1I_EUlS1H_E_NS1_11comp_targetILNS1_3genE2ELNS1_11target_archE906ELNS1_3gpuE6ELNS1_3repE0EEENS1_30default_config_static_selectorELNS0_4arch9wavefront6targetE1EEEvSV_.num_named_barrier, 0
	.set _ZN7rocprim17ROCPRIM_400000_NS6detail17trampoline_kernelINS0_13select_configILj256ELj13ELNS0_17block_load_methodE3ELS4_3ELS4_3ELNS0_20block_scan_algorithmE0ELj4294967295EEENS1_25partition_config_selectorILNS1_17partition_subalgoE3EjNS0_10empty_typeEbEEZZNS1_14partition_implILS8_3ELb0ES6_jNS0_17counting_iteratorIjlEEPS9_SE_NS0_5tupleIJPjSE_EEENSF_IJSE_SE_EEES9_SG_JZNS1_25segmented_radix_sort_implINS0_14default_configELb0EPKlPlSM_SN_N2at6native12_GLOBAL__N_18offset_tEEE10hipError_tPvRmT1_PNSt15iterator_traitsISV_E10value_typeET2_T3_PNSW_IS11_E10value_typeET4_jRbjT5_S17_jjP12ihipStream_tbEUljE_EEESS_ST_SU_S11_S15_S17_T6_T7_T9_mT8_S19_bDpT10_ENKUlT_T0_E_clISt17integral_constantIbLb1EES1M_EEDaS1H_S1I_EUlS1H_E_NS1_11comp_targetILNS1_3genE2ELNS1_11target_archE906ELNS1_3gpuE6ELNS1_3repE0EEENS1_30default_config_static_selectorELNS0_4arch9wavefront6targetE1EEEvSV_.private_seg_size, 0
	.set _ZN7rocprim17ROCPRIM_400000_NS6detail17trampoline_kernelINS0_13select_configILj256ELj13ELNS0_17block_load_methodE3ELS4_3ELS4_3ELNS0_20block_scan_algorithmE0ELj4294967295EEENS1_25partition_config_selectorILNS1_17partition_subalgoE3EjNS0_10empty_typeEbEEZZNS1_14partition_implILS8_3ELb0ES6_jNS0_17counting_iteratorIjlEEPS9_SE_NS0_5tupleIJPjSE_EEENSF_IJSE_SE_EEES9_SG_JZNS1_25segmented_radix_sort_implINS0_14default_configELb0EPKlPlSM_SN_N2at6native12_GLOBAL__N_18offset_tEEE10hipError_tPvRmT1_PNSt15iterator_traitsISV_E10value_typeET2_T3_PNSW_IS11_E10value_typeET4_jRbjT5_S17_jjP12ihipStream_tbEUljE_EEESS_ST_SU_S11_S15_S17_T6_T7_T9_mT8_S19_bDpT10_ENKUlT_T0_E_clISt17integral_constantIbLb1EES1M_EEDaS1H_S1I_EUlS1H_E_NS1_11comp_targetILNS1_3genE2ELNS1_11target_archE906ELNS1_3gpuE6ELNS1_3repE0EEENS1_30default_config_static_selectorELNS0_4arch9wavefront6targetE1EEEvSV_.uses_vcc, 0
	.set _ZN7rocprim17ROCPRIM_400000_NS6detail17trampoline_kernelINS0_13select_configILj256ELj13ELNS0_17block_load_methodE3ELS4_3ELS4_3ELNS0_20block_scan_algorithmE0ELj4294967295EEENS1_25partition_config_selectorILNS1_17partition_subalgoE3EjNS0_10empty_typeEbEEZZNS1_14partition_implILS8_3ELb0ES6_jNS0_17counting_iteratorIjlEEPS9_SE_NS0_5tupleIJPjSE_EEENSF_IJSE_SE_EEES9_SG_JZNS1_25segmented_radix_sort_implINS0_14default_configELb0EPKlPlSM_SN_N2at6native12_GLOBAL__N_18offset_tEEE10hipError_tPvRmT1_PNSt15iterator_traitsISV_E10value_typeET2_T3_PNSW_IS11_E10value_typeET4_jRbjT5_S17_jjP12ihipStream_tbEUljE_EEESS_ST_SU_S11_S15_S17_T6_T7_T9_mT8_S19_bDpT10_ENKUlT_T0_E_clISt17integral_constantIbLb1EES1M_EEDaS1H_S1I_EUlS1H_E_NS1_11comp_targetILNS1_3genE2ELNS1_11target_archE906ELNS1_3gpuE6ELNS1_3repE0EEENS1_30default_config_static_selectorELNS0_4arch9wavefront6targetE1EEEvSV_.uses_flat_scratch, 0
	.set _ZN7rocprim17ROCPRIM_400000_NS6detail17trampoline_kernelINS0_13select_configILj256ELj13ELNS0_17block_load_methodE3ELS4_3ELS4_3ELNS0_20block_scan_algorithmE0ELj4294967295EEENS1_25partition_config_selectorILNS1_17partition_subalgoE3EjNS0_10empty_typeEbEEZZNS1_14partition_implILS8_3ELb0ES6_jNS0_17counting_iteratorIjlEEPS9_SE_NS0_5tupleIJPjSE_EEENSF_IJSE_SE_EEES9_SG_JZNS1_25segmented_radix_sort_implINS0_14default_configELb0EPKlPlSM_SN_N2at6native12_GLOBAL__N_18offset_tEEE10hipError_tPvRmT1_PNSt15iterator_traitsISV_E10value_typeET2_T3_PNSW_IS11_E10value_typeET4_jRbjT5_S17_jjP12ihipStream_tbEUljE_EEESS_ST_SU_S11_S15_S17_T6_T7_T9_mT8_S19_bDpT10_ENKUlT_T0_E_clISt17integral_constantIbLb1EES1M_EEDaS1H_S1I_EUlS1H_E_NS1_11comp_targetILNS1_3genE2ELNS1_11target_archE906ELNS1_3gpuE6ELNS1_3repE0EEENS1_30default_config_static_selectorELNS0_4arch9wavefront6targetE1EEEvSV_.has_dyn_sized_stack, 0
	.set _ZN7rocprim17ROCPRIM_400000_NS6detail17trampoline_kernelINS0_13select_configILj256ELj13ELNS0_17block_load_methodE3ELS4_3ELS4_3ELNS0_20block_scan_algorithmE0ELj4294967295EEENS1_25partition_config_selectorILNS1_17partition_subalgoE3EjNS0_10empty_typeEbEEZZNS1_14partition_implILS8_3ELb0ES6_jNS0_17counting_iteratorIjlEEPS9_SE_NS0_5tupleIJPjSE_EEENSF_IJSE_SE_EEES9_SG_JZNS1_25segmented_radix_sort_implINS0_14default_configELb0EPKlPlSM_SN_N2at6native12_GLOBAL__N_18offset_tEEE10hipError_tPvRmT1_PNSt15iterator_traitsISV_E10value_typeET2_T3_PNSW_IS11_E10value_typeET4_jRbjT5_S17_jjP12ihipStream_tbEUljE_EEESS_ST_SU_S11_S15_S17_T6_T7_T9_mT8_S19_bDpT10_ENKUlT_T0_E_clISt17integral_constantIbLb1EES1M_EEDaS1H_S1I_EUlS1H_E_NS1_11comp_targetILNS1_3genE2ELNS1_11target_archE906ELNS1_3gpuE6ELNS1_3repE0EEENS1_30default_config_static_selectorELNS0_4arch9wavefront6targetE1EEEvSV_.has_recursion, 0
	.set _ZN7rocprim17ROCPRIM_400000_NS6detail17trampoline_kernelINS0_13select_configILj256ELj13ELNS0_17block_load_methodE3ELS4_3ELS4_3ELNS0_20block_scan_algorithmE0ELj4294967295EEENS1_25partition_config_selectorILNS1_17partition_subalgoE3EjNS0_10empty_typeEbEEZZNS1_14partition_implILS8_3ELb0ES6_jNS0_17counting_iteratorIjlEEPS9_SE_NS0_5tupleIJPjSE_EEENSF_IJSE_SE_EEES9_SG_JZNS1_25segmented_radix_sort_implINS0_14default_configELb0EPKlPlSM_SN_N2at6native12_GLOBAL__N_18offset_tEEE10hipError_tPvRmT1_PNSt15iterator_traitsISV_E10value_typeET2_T3_PNSW_IS11_E10value_typeET4_jRbjT5_S17_jjP12ihipStream_tbEUljE_EEESS_ST_SU_S11_S15_S17_T6_T7_T9_mT8_S19_bDpT10_ENKUlT_T0_E_clISt17integral_constantIbLb1EES1M_EEDaS1H_S1I_EUlS1H_E_NS1_11comp_targetILNS1_3genE2ELNS1_11target_archE906ELNS1_3gpuE6ELNS1_3repE0EEENS1_30default_config_static_selectorELNS0_4arch9wavefront6targetE1EEEvSV_.has_indirect_call, 0
	.section	.AMDGPU.csdata,"",@progbits
; Kernel info:
; codeLenInByte = 4
; TotalNumSgprs: 4
; NumVgprs: 0
; ScratchSize: 0
; MemoryBound: 0
; FloatMode: 240
; IeeeMode: 1
; LDSByteSize: 0 bytes/workgroup (compile time only)
; SGPRBlocks: 0
; VGPRBlocks: 0
; NumSGPRsForWavesPerEU: 4
; NumVGPRsForWavesPerEU: 1
; Occupancy: 10
; WaveLimiterHint : 0
; COMPUTE_PGM_RSRC2:SCRATCH_EN: 0
; COMPUTE_PGM_RSRC2:USER_SGPR: 6
; COMPUTE_PGM_RSRC2:TRAP_HANDLER: 0
; COMPUTE_PGM_RSRC2:TGID_X_EN: 1
; COMPUTE_PGM_RSRC2:TGID_Y_EN: 0
; COMPUTE_PGM_RSRC2:TGID_Z_EN: 0
; COMPUTE_PGM_RSRC2:TIDIG_COMP_CNT: 0
	.section	.text._ZN7rocprim17ROCPRIM_400000_NS6detail17trampoline_kernelINS0_13select_configILj256ELj13ELNS0_17block_load_methodE3ELS4_3ELS4_3ELNS0_20block_scan_algorithmE0ELj4294967295EEENS1_25partition_config_selectorILNS1_17partition_subalgoE3EjNS0_10empty_typeEbEEZZNS1_14partition_implILS8_3ELb0ES6_jNS0_17counting_iteratorIjlEEPS9_SE_NS0_5tupleIJPjSE_EEENSF_IJSE_SE_EEES9_SG_JZNS1_25segmented_radix_sort_implINS0_14default_configELb0EPKlPlSM_SN_N2at6native12_GLOBAL__N_18offset_tEEE10hipError_tPvRmT1_PNSt15iterator_traitsISV_E10value_typeET2_T3_PNSW_IS11_E10value_typeET4_jRbjT5_S17_jjP12ihipStream_tbEUljE_EEESS_ST_SU_S11_S15_S17_T6_T7_T9_mT8_S19_bDpT10_ENKUlT_T0_E_clISt17integral_constantIbLb1EES1M_EEDaS1H_S1I_EUlS1H_E_NS1_11comp_targetILNS1_3genE10ELNS1_11target_archE1200ELNS1_3gpuE4ELNS1_3repE0EEENS1_30default_config_static_selectorELNS0_4arch9wavefront6targetE1EEEvSV_,"axG",@progbits,_ZN7rocprim17ROCPRIM_400000_NS6detail17trampoline_kernelINS0_13select_configILj256ELj13ELNS0_17block_load_methodE3ELS4_3ELS4_3ELNS0_20block_scan_algorithmE0ELj4294967295EEENS1_25partition_config_selectorILNS1_17partition_subalgoE3EjNS0_10empty_typeEbEEZZNS1_14partition_implILS8_3ELb0ES6_jNS0_17counting_iteratorIjlEEPS9_SE_NS0_5tupleIJPjSE_EEENSF_IJSE_SE_EEES9_SG_JZNS1_25segmented_radix_sort_implINS0_14default_configELb0EPKlPlSM_SN_N2at6native12_GLOBAL__N_18offset_tEEE10hipError_tPvRmT1_PNSt15iterator_traitsISV_E10value_typeET2_T3_PNSW_IS11_E10value_typeET4_jRbjT5_S17_jjP12ihipStream_tbEUljE_EEESS_ST_SU_S11_S15_S17_T6_T7_T9_mT8_S19_bDpT10_ENKUlT_T0_E_clISt17integral_constantIbLb1EES1M_EEDaS1H_S1I_EUlS1H_E_NS1_11comp_targetILNS1_3genE10ELNS1_11target_archE1200ELNS1_3gpuE4ELNS1_3repE0EEENS1_30default_config_static_selectorELNS0_4arch9wavefront6targetE1EEEvSV_,comdat
	.globl	_ZN7rocprim17ROCPRIM_400000_NS6detail17trampoline_kernelINS0_13select_configILj256ELj13ELNS0_17block_load_methodE3ELS4_3ELS4_3ELNS0_20block_scan_algorithmE0ELj4294967295EEENS1_25partition_config_selectorILNS1_17partition_subalgoE3EjNS0_10empty_typeEbEEZZNS1_14partition_implILS8_3ELb0ES6_jNS0_17counting_iteratorIjlEEPS9_SE_NS0_5tupleIJPjSE_EEENSF_IJSE_SE_EEES9_SG_JZNS1_25segmented_radix_sort_implINS0_14default_configELb0EPKlPlSM_SN_N2at6native12_GLOBAL__N_18offset_tEEE10hipError_tPvRmT1_PNSt15iterator_traitsISV_E10value_typeET2_T3_PNSW_IS11_E10value_typeET4_jRbjT5_S17_jjP12ihipStream_tbEUljE_EEESS_ST_SU_S11_S15_S17_T6_T7_T9_mT8_S19_bDpT10_ENKUlT_T0_E_clISt17integral_constantIbLb1EES1M_EEDaS1H_S1I_EUlS1H_E_NS1_11comp_targetILNS1_3genE10ELNS1_11target_archE1200ELNS1_3gpuE4ELNS1_3repE0EEENS1_30default_config_static_selectorELNS0_4arch9wavefront6targetE1EEEvSV_ ; -- Begin function _ZN7rocprim17ROCPRIM_400000_NS6detail17trampoline_kernelINS0_13select_configILj256ELj13ELNS0_17block_load_methodE3ELS4_3ELS4_3ELNS0_20block_scan_algorithmE0ELj4294967295EEENS1_25partition_config_selectorILNS1_17partition_subalgoE3EjNS0_10empty_typeEbEEZZNS1_14partition_implILS8_3ELb0ES6_jNS0_17counting_iteratorIjlEEPS9_SE_NS0_5tupleIJPjSE_EEENSF_IJSE_SE_EEES9_SG_JZNS1_25segmented_radix_sort_implINS0_14default_configELb0EPKlPlSM_SN_N2at6native12_GLOBAL__N_18offset_tEEE10hipError_tPvRmT1_PNSt15iterator_traitsISV_E10value_typeET2_T3_PNSW_IS11_E10value_typeET4_jRbjT5_S17_jjP12ihipStream_tbEUljE_EEESS_ST_SU_S11_S15_S17_T6_T7_T9_mT8_S19_bDpT10_ENKUlT_T0_E_clISt17integral_constantIbLb1EES1M_EEDaS1H_S1I_EUlS1H_E_NS1_11comp_targetILNS1_3genE10ELNS1_11target_archE1200ELNS1_3gpuE4ELNS1_3repE0EEENS1_30default_config_static_selectorELNS0_4arch9wavefront6targetE1EEEvSV_
	.p2align	8
	.type	_ZN7rocprim17ROCPRIM_400000_NS6detail17trampoline_kernelINS0_13select_configILj256ELj13ELNS0_17block_load_methodE3ELS4_3ELS4_3ELNS0_20block_scan_algorithmE0ELj4294967295EEENS1_25partition_config_selectorILNS1_17partition_subalgoE3EjNS0_10empty_typeEbEEZZNS1_14partition_implILS8_3ELb0ES6_jNS0_17counting_iteratorIjlEEPS9_SE_NS0_5tupleIJPjSE_EEENSF_IJSE_SE_EEES9_SG_JZNS1_25segmented_radix_sort_implINS0_14default_configELb0EPKlPlSM_SN_N2at6native12_GLOBAL__N_18offset_tEEE10hipError_tPvRmT1_PNSt15iterator_traitsISV_E10value_typeET2_T3_PNSW_IS11_E10value_typeET4_jRbjT5_S17_jjP12ihipStream_tbEUljE_EEESS_ST_SU_S11_S15_S17_T6_T7_T9_mT8_S19_bDpT10_ENKUlT_T0_E_clISt17integral_constantIbLb1EES1M_EEDaS1H_S1I_EUlS1H_E_NS1_11comp_targetILNS1_3genE10ELNS1_11target_archE1200ELNS1_3gpuE4ELNS1_3repE0EEENS1_30default_config_static_selectorELNS0_4arch9wavefront6targetE1EEEvSV_,@function
_ZN7rocprim17ROCPRIM_400000_NS6detail17trampoline_kernelINS0_13select_configILj256ELj13ELNS0_17block_load_methodE3ELS4_3ELS4_3ELNS0_20block_scan_algorithmE0ELj4294967295EEENS1_25partition_config_selectorILNS1_17partition_subalgoE3EjNS0_10empty_typeEbEEZZNS1_14partition_implILS8_3ELb0ES6_jNS0_17counting_iteratorIjlEEPS9_SE_NS0_5tupleIJPjSE_EEENSF_IJSE_SE_EEES9_SG_JZNS1_25segmented_radix_sort_implINS0_14default_configELb0EPKlPlSM_SN_N2at6native12_GLOBAL__N_18offset_tEEE10hipError_tPvRmT1_PNSt15iterator_traitsISV_E10value_typeET2_T3_PNSW_IS11_E10value_typeET4_jRbjT5_S17_jjP12ihipStream_tbEUljE_EEESS_ST_SU_S11_S15_S17_T6_T7_T9_mT8_S19_bDpT10_ENKUlT_T0_E_clISt17integral_constantIbLb1EES1M_EEDaS1H_S1I_EUlS1H_E_NS1_11comp_targetILNS1_3genE10ELNS1_11target_archE1200ELNS1_3gpuE4ELNS1_3repE0EEENS1_30default_config_static_selectorELNS0_4arch9wavefront6targetE1EEEvSV_: ; @_ZN7rocprim17ROCPRIM_400000_NS6detail17trampoline_kernelINS0_13select_configILj256ELj13ELNS0_17block_load_methodE3ELS4_3ELS4_3ELNS0_20block_scan_algorithmE0ELj4294967295EEENS1_25partition_config_selectorILNS1_17partition_subalgoE3EjNS0_10empty_typeEbEEZZNS1_14partition_implILS8_3ELb0ES6_jNS0_17counting_iteratorIjlEEPS9_SE_NS0_5tupleIJPjSE_EEENSF_IJSE_SE_EEES9_SG_JZNS1_25segmented_radix_sort_implINS0_14default_configELb0EPKlPlSM_SN_N2at6native12_GLOBAL__N_18offset_tEEE10hipError_tPvRmT1_PNSt15iterator_traitsISV_E10value_typeET2_T3_PNSW_IS11_E10value_typeET4_jRbjT5_S17_jjP12ihipStream_tbEUljE_EEESS_ST_SU_S11_S15_S17_T6_T7_T9_mT8_S19_bDpT10_ENKUlT_T0_E_clISt17integral_constantIbLb1EES1M_EEDaS1H_S1I_EUlS1H_E_NS1_11comp_targetILNS1_3genE10ELNS1_11target_archE1200ELNS1_3gpuE4ELNS1_3repE0EEENS1_30default_config_static_selectorELNS0_4arch9wavefront6targetE1EEEvSV_
; %bb.0:
	.section	.rodata,"a",@progbits
	.p2align	6, 0x0
	.amdhsa_kernel _ZN7rocprim17ROCPRIM_400000_NS6detail17trampoline_kernelINS0_13select_configILj256ELj13ELNS0_17block_load_methodE3ELS4_3ELS4_3ELNS0_20block_scan_algorithmE0ELj4294967295EEENS1_25partition_config_selectorILNS1_17partition_subalgoE3EjNS0_10empty_typeEbEEZZNS1_14partition_implILS8_3ELb0ES6_jNS0_17counting_iteratorIjlEEPS9_SE_NS0_5tupleIJPjSE_EEENSF_IJSE_SE_EEES9_SG_JZNS1_25segmented_radix_sort_implINS0_14default_configELb0EPKlPlSM_SN_N2at6native12_GLOBAL__N_18offset_tEEE10hipError_tPvRmT1_PNSt15iterator_traitsISV_E10value_typeET2_T3_PNSW_IS11_E10value_typeET4_jRbjT5_S17_jjP12ihipStream_tbEUljE_EEESS_ST_SU_S11_S15_S17_T6_T7_T9_mT8_S19_bDpT10_ENKUlT_T0_E_clISt17integral_constantIbLb1EES1M_EEDaS1H_S1I_EUlS1H_E_NS1_11comp_targetILNS1_3genE10ELNS1_11target_archE1200ELNS1_3gpuE4ELNS1_3repE0EEENS1_30default_config_static_selectorELNS0_4arch9wavefront6targetE1EEEvSV_
		.amdhsa_group_segment_fixed_size 0
		.amdhsa_private_segment_fixed_size 0
		.amdhsa_kernarg_size 152
		.amdhsa_user_sgpr_count 6
		.amdhsa_user_sgpr_private_segment_buffer 1
		.amdhsa_user_sgpr_dispatch_ptr 0
		.amdhsa_user_sgpr_queue_ptr 0
		.amdhsa_user_sgpr_kernarg_segment_ptr 1
		.amdhsa_user_sgpr_dispatch_id 0
		.amdhsa_user_sgpr_flat_scratch_init 0
		.amdhsa_user_sgpr_private_segment_size 0
		.amdhsa_uses_dynamic_stack 0
		.amdhsa_system_sgpr_private_segment_wavefront_offset 0
		.amdhsa_system_sgpr_workgroup_id_x 1
		.amdhsa_system_sgpr_workgroup_id_y 0
		.amdhsa_system_sgpr_workgroup_id_z 0
		.amdhsa_system_sgpr_workgroup_info 0
		.amdhsa_system_vgpr_workitem_id 0
		.amdhsa_next_free_vgpr 1
		.amdhsa_next_free_sgpr 0
		.amdhsa_reserve_vcc 0
		.amdhsa_reserve_flat_scratch 0
		.amdhsa_float_round_mode_32 0
		.amdhsa_float_round_mode_16_64 0
		.amdhsa_float_denorm_mode_32 3
		.amdhsa_float_denorm_mode_16_64 3
		.amdhsa_dx10_clamp 1
		.amdhsa_ieee_mode 1
		.amdhsa_fp16_overflow 0
		.amdhsa_exception_fp_ieee_invalid_op 0
		.amdhsa_exception_fp_denorm_src 0
		.amdhsa_exception_fp_ieee_div_zero 0
		.amdhsa_exception_fp_ieee_overflow 0
		.amdhsa_exception_fp_ieee_underflow 0
		.amdhsa_exception_fp_ieee_inexact 0
		.amdhsa_exception_int_div_zero 0
	.end_amdhsa_kernel
	.section	.text._ZN7rocprim17ROCPRIM_400000_NS6detail17trampoline_kernelINS0_13select_configILj256ELj13ELNS0_17block_load_methodE3ELS4_3ELS4_3ELNS0_20block_scan_algorithmE0ELj4294967295EEENS1_25partition_config_selectorILNS1_17partition_subalgoE3EjNS0_10empty_typeEbEEZZNS1_14partition_implILS8_3ELb0ES6_jNS0_17counting_iteratorIjlEEPS9_SE_NS0_5tupleIJPjSE_EEENSF_IJSE_SE_EEES9_SG_JZNS1_25segmented_radix_sort_implINS0_14default_configELb0EPKlPlSM_SN_N2at6native12_GLOBAL__N_18offset_tEEE10hipError_tPvRmT1_PNSt15iterator_traitsISV_E10value_typeET2_T3_PNSW_IS11_E10value_typeET4_jRbjT5_S17_jjP12ihipStream_tbEUljE_EEESS_ST_SU_S11_S15_S17_T6_T7_T9_mT8_S19_bDpT10_ENKUlT_T0_E_clISt17integral_constantIbLb1EES1M_EEDaS1H_S1I_EUlS1H_E_NS1_11comp_targetILNS1_3genE10ELNS1_11target_archE1200ELNS1_3gpuE4ELNS1_3repE0EEENS1_30default_config_static_selectorELNS0_4arch9wavefront6targetE1EEEvSV_,"axG",@progbits,_ZN7rocprim17ROCPRIM_400000_NS6detail17trampoline_kernelINS0_13select_configILj256ELj13ELNS0_17block_load_methodE3ELS4_3ELS4_3ELNS0_20block_scan_algorithmE0ELj4294967295EEENS1_25partition_config_selectorILNS1_17partition_subalgoE3EjNS0_10empty_typeEbEEZZNS1_14partition_implILS8_3ELb0ES6_jNS0_17counting_iteratorIjlEEPS9_SE_NS0_5tupleIJPjSE_EEENSF_IJSE_SE_EEES9_SG_JZNS1_25segmented_radix_sort_implINS0_14default_configELb0EPKlPlSM_SN_N2at6native12_GLOBAL__N_18offset_tEEE10hipError_tPvRmT1_PNSt15iterator_traitsISV_E10value_typeET2_T3_PNSW_IS11_E10value_typeET4_jRbjT5_S17_jjP12ihipStream_tbEUljE_EEESS_ST_SU_S11_S15_S17_T6_T7_T9_mT8_S19_bDpT10_ENKUlT_T0_E_clISt17integral_constantIbLb1EES1M_EEDaS1H_S1I_EUlS1H_E_NS1_11comp_targetILNS1_3genE10ELNS1_11target_archE1200ELNS1_3gpuE4ELNS1_3repE0EEENS1_30default_config_static_selectorELNS0_4arch9wavefront6targetE1EEEvSV_,comdat
.Lfunc_end788:
	.size	_ZN7rocprim17ROCPRIM_400000_NS6detail17trampoline_kernelINS0_13select_configILj256ELj13ELNS0_17block_load_methodE3ELS4_3ELS4_3ELNS0_20block_scan_algorithmE0ELj4294967295EEENS1_25partition_config_selectorILNS1_17partition_subalgoE3EjNS0_10empty_typeEbEEZZNS1_14partition_implILS8_3ELb0ES6_jNS0_17counting_iteratorIjlEEPS9_SE_NS0_5tupleIJPjSE_EEENSF_IJSE_SE_EEES9_SG_JZNS1_25segmented_radix_sort_implINS0_14default_configELb0EPKlPlSM_SN_N2at6native12_GLOBAL__N_18offset_tEEE10hipError_tPvRmT1_PNSt15iterator_traitsISV_E10value_typeET2_T3_PNSW_IS11_E10value_typeET4_jRbjT5_S17_jjP12ihipStream_tbEUljE_EEESS_ST_SU_S11_S15_S17_T6_T7_T9_mT8_S19_bDpT10_ENKUlT_T0_E_clISt17integral_constantIbLb1EES1M_EEDaS1H_S1I_EUlS1H_E_NS1_11comp_targetILNS1_3genE10ELNS1_11target_archE1200ELNS1_3gpuE4ELNS1_3repE0EEENS1_30default_config_static_selectorELNS0_4arch9wavefront6targetE1EEEvSV_, .Lfunc_end788-_ZN7rocprim17ROCPRIM_400000_NS6detail17trampoline_kernelINS0_13select_configILj256ELj13ELNS0_17block_load_methodE3ELS4_3ELS4_3ELNS0_20block_scan_algorithmE0ELj4294967295EEENS1_25partition_config_selectorILNS1_17partition_subalgoE3EjNS0_10empty_typeEbEEZZNS1_14partition_implILS8_3ELb0ES6_jNS0_17counting_iteratorIjlEEPS9_SE_NS0_5tupleIJPjSE_EEENSF_IJSE_SE_EEES9_SG_JZNS1_25segmented_radix_sort_implINS0_14default_configELb0EPKlPlSM_SN_N2at6native12_GLOBAL__N_18offset_tEEE10hipError_tPvRmT1_PNSt15iterator_traitsISV_E10value_typeET2_T3_PNSW_IS11_E10value_typeET4_jRbjT5_S17_jjP12ihipStream_tbEUljE_EEESS_ST_SU_S11_S15_S17_T6_T7_T9_mT8_S19_bDpT10_ENKUlT_T0_E_clISt17integral_constantIbLb1EES1M_EEDaS1H_S1I_EUlS1H_E_NS1_11comp_targetILNS1_3genE10ELNS1_11target_archE1200ELNS1_3gpuE4ELNS1_3repE0EEENS1_30default_config_static_selectorELNS0_4arch9wavefront6targetE1EEEvSV_
                                        ; -- End function
	.set _ZN7rocprim17ROCPRIM_400000_NS6detail17trampoline_kernelINS0_13select_configILj256ELj13ELNS0_17block_load_methodE3ELS4_3ELS4_3ELNS0_20block_scan_algorithmE0ELj4294967295EEENS1_25partition_config_selectorILNS1_17partition_subalgoE3EjNS0_10empty_typeEbEEZZNS1_14partition_implILS8_3ELb0ES6_jNS0_17counting_iteratorIjlEEPS9_SE_NS0_5tupleIJPjSE_EEENSF_IJSE_SE_EEES9_SG_JZNS1_25segmented_radix_sort_implINS0_14default_configELb0EPKlPlSM_SN_N2at6native12_GLOBAL__N_18offset_tEEE10hipError_tPvRmT1_PNSt15iterator_traitsISV_E10value_typeET2_T3_PNSW_IS11_E10value_typeET4_jRbjT5_S17_jjP12ihipStream_tbEUljE_EEESS_ST_SU_S11_S15_S17_T6_T7_T9_mT8_S19_bDpT10_ENKUlT_T0_E_clISt17integral_constantIbLb1EES1M_EEDaS1H_S1I_EUlS1H_E_NS1_11comp_targetILNS1_3genE10ELNS1_11target_archE1200ELNS1_3gpuE4ELNS1_3repE0EEENS1_30default_config_static_selectorELNS0_4arch9wavefront6targetE1EEEvSV_.num_vgpr, 0
	.set _ZN7rocprim17ROCPRIM_400000_NS6detail17trampoline_kernelINS0_13select_configILj256ELj13ELNS0_17block_load_methodE3ELS4_3ELS4_3ELNS0_20block_scan_algorithmE0ELj4294967295EEENS1_25partition_config_selectorILNS1_17partition_subalgoE3EjNS0_10empty_typeEbEEZZNS1_14partition_implILS8_3ELb0ES6_jNS0_17counting_iteratorIjlEEPS9_SE_NS0_5tupleIJPjSE_EEENSF_IJSE_SE_EEES9_SG_JZNS1_25segmented_radix_sort_implINS0_14default_configELb0EPKlPlSM_SN_N2at6native12_GLOBAL__N_18offset_tEEE10hipError_tPvRmT1_PNSt15iterator_traitsISV_E10value_typeET2_T3_PNSW_IS11_E10value_typeET4_jRbjT5_S17_jjP12ihipStream_tbEUljE_EEESS_ST_SU_S11_S15_S17_T6_T7_T9_mT8_S19_bDpT10_ENKUlT_T0_E_clISt17integral_constantIbLb1EES1M_EEDaS1H_S1I_EUlS1H_E_NS1_11comp_targetILNS1_3genE10ELNS1_11target_archE1200ELNS1_3gpuE4ELNS1_3repE0EEENS1_30default_config_static_selectorELNS0_4arch9wavefront6targetE1EEEvSV_.num_agpr, 0
	.set _ZN7rocprim17ROCPRIM_400000_NS6detail17trampoline_kernelINS0_13select_configILj256ELj13ELNS0_17block_load_methodE3ELS4_3ELS4_3ELNS0_20block_scan_algorithmE0ELj4294967295EEENS1_25partition_config_selectorILNS1_17partition_subalgoE3EjNS0_10empty_typeEbEEZZNS1_14partition_implILS8_3ELb0ES6_jNS0_17counting_iteratorIjlEEPS9_SE_NS0_5tupleIJPjSE_EEENSF_IJSE_SE_EEES9_SG_JZNS1_25segmented_radix_sort_implINS0_14default_configELb0EPKlPlSM_SN_N2at6native12_GLOBAL__N_18offset_tEEE10hipError_tPvRmT1_PNSt15iterator_traitsISV_E10value_typeET2_T3_PNSW_IS11_E10value_typeET4_jRbjT5_S17_jjP12ihipStream_tbEUljE_EEESS_ST_SU_S11_S15_S17_T6_T7_T9_mT8_S19_bDpT10_ENKUlT_T0_E_clISt17integral_constantIbLb1EES1M_EEDaS1H_S1I_EUlS1H_E_NS1_11comp_targetILNS1_3genE10ELNS1_11target_archE1200ELNS1_3gpuE4ELNS1_3repE0EEENS1_30default_config_static_selectorELNS0_4arch9wavefront6targetE1EEEvSV_.numbered_sgpr, 0
	.set _ZN7rocprim17ROCPRIM_400000_NS6detail17trampoline_kernelINS0_13select_configILj256ELj13ELNS0_17block_load_methodE3ELS4_3ELS4_3ELNS0_20block_scan_algorithmE0ELj4294967295EEENS1_25partition_config_selectorILNS1_17partition_subalgoE3EjNS0_10empty_typeEbEEZZNS1_14partition_implILS8_3ELb0ES6_jNS0_17counting_iteratorIjlEEPS9_SE_NS0_5tupleIJPjSE_EEENSF_IJSE_SE_EEES9_SG_JZNS1_25segmented_radix_sort_implINS0_14default_configELb0EPKlPlSM_SN_N2at6native12_GLOBAL__N_18offset_tEEE10hipError_tPvRmT1_PNSt15iterator_traitsISV_E10value_typeET2_T3_PNSW_IS11_E10value_typeET4_jRbjT5_S17_jjP12ihipStream_tbEUljE_EEESS_ST_SU_S11_S15_S17_T6_T7_T9_mT8_S19_bDpT10_ENKUlT_T0_E_clISt17integral_constantIbLb1EES1M_EEDaS1H_S1I_EUlS1H_E_NS1_11comp_targetILNS1_3genE10ELNS1_11target_archE1200ELNS1_3gpuE4ELNS1_3repE0EEENS1_30default_config_static_selectorELNS0_4arch9wavefront6targetE1EEEvSV_.num_named_barrier, 0
	.set _ZN7rocprim17ROCPRIM_400000_NS6detail17trampoline_kernelINS0_13select_configILj256ELj13ELNS0_17block_load_methodE3ELS4_3ELS4_3ELNS0_20block_scan_algorithmE0ELj4294967295EEENS1_25partition_config_selectorILNS1_17partition_subalgoE3EjNS0_10empty_typeEbEEZZNS1_14partition_implILS8_3ELb0ES6_jNS0_17counting_iteratorIjlEEPS9_SE_NS0_5tupleIJPjSE_EEENSF_IJSE_SE_EEES9_SG_JZNS1_25segmented_radix_sort_implINS0_14default_configELb0EPKlPlSM_SN_N2at6native12_GLOBAL__N_18offset_tEEE10hipError_tPvRmT1_PNSt15iterator_traitsISV_E10value_typeET2_T3_PNSW_IS11_E10value_typeET4_jRbjT5_S17_jjP12ihipStream_tbEUljE_EEESS_ST_SU_S11_S15_S17_T6_T7_T9_mT8_S19_bDpT10_ENKUlT_T0_E_clISt17integral_constantIbLb1EES1M_EEDaS1H_S1I_EUlS1H_E_NS1_11comp_targetILNS1_3genE10ELNS1_11target_archE1200ELNS1_3gpuE4ELNS1_3repE0EEENS1_30default_config_static_selectorELNS0_4arch9wavefront6targetE1EEEvSV_.private_seg_size, 0
	.set _ZN7rocprim17ROCPRIM_400000_NS6detail17trampoline_kernelINS0_13select_configILj256ELj13ELNS0_17block_load_methodE3ELS4_3ELS4_3ELNS0_20block_scan_algorithmE0ELj4294967295EEENS1_25partition_config_selectorILNS1_17partition_subalgoE3EjNS0_10empty_typeEbEEZZNS1_14partition_implILS8_3ELb0ES6_jNS0_17counting_iteratorIjlEEPS9_SE_NS0_5tupleIJPjSE_EEENSF_IJSE_SE_EEES9_SG_JZNS1_25segmented_radix_sort_implINS0_14default_configELb0EPKlPlSM_SN_N2at6native12_GLOBAL__N_18offset_tEEE10hipError_tPvRmT1_PNSt15iterator_traitsISV_E10value_typeET2_T3_PNSW_IS11_E10value_typeET4_jRbjT5_S17_jjP12ihipStream_tbEUljE_EEESS_ST_SU_S11_S15_S17_T6_T7_T9_mT8_S19_bDpT10_ENKUlT_T0_E_clISt17integral_constantIbLb1EES1M_EEDaS1H_S1I_EUlS1H_E_NS1_11comp_targetILNS1_3genE10ELNS1_11target_archE1200ELNS1_3gpuE4ELNS1_3repE0EEENS1_30default_config_static_selectorELNS0_4arch9wavefront6targetE1EEEvSV_.uses_vcc, 0
	.set _ZN7rocprim17ROCPRIM_400000_NS6detail17trampoline_kernelINS0_13select_configILj256ELj13ELNS0_17block_load_methodE3ELS4_3ELS4_3ELNS0_20block_scan_algorithmE0ELj4294967295EEENS1_25partition_config_selectorILNS1_17partition_subalgoE3EjNS0_10empty_typeEbEEZZNS1_14partition_implILS8_3ELb0ES6_jNS0_17counting_iteratorIjlEEPS9_SE_NS0_5tupleIJPjSE_EEENSF_IJSE_SE_EEES9_SG_JZNS1_25segmented_radix_sort_implINS0_14default_configELb0EPKlPlSM_SN_N2at6native12_GLOBAL__N_18offset_tEEE10hipError_tPvRmT1_PNSt15iterator_traitsISV_E10value_typeET2_T3_PNSW_IS11_E10value_typeET4_jRbjT5_S17_jjP12ihipStream_tbEUljE_EEESS_ST_SU_S11_S15_S17_T6_T7_T9_mT8_S19_bDpT10_ENKUlT_T0_E_clISt17integral_constantIbLb1EES1M_EEDaS1H_S1I_EUlS1H_E_NS1_11comp_targetILNS1_3genE10ELNS1_11target_archE1200ELNS1_3gpuE4ELNS1_3repE0EEENS1_30default_config_static_selectorELNS0_4arch9wavefront6targetE1EEEvSV_.uses_flat_scratch, 0
	.set _ZN7rocprim17ROCPRIM_400000_NS6detail17trampoline_kernelINS0_13select_configILj256ELj13ELNS0_17block_load_methodE3ELS4_3ELS4_3ELNS0_20block_scan_algorithmE0ELj4294967295EEENS1_25partition_config_selectorILNS1_17partition_subalgoE3EjNS0_10empty_typeEbEEZZNS1_14partition_implILS8_3ELb0ES6_jNS0_17counting_iteratorIjlEEPS9_SE_NS0_5tupleIJPjSE_EEENSF_IJSE_SE_EEES9_SG_JZNS1_25segmented_radix_sort_implINS0_14default_configELb0EPKlPlSM_SN_N2at6native12_GLOBAL__N_18offset_tEEE10hipError_tPvRmT1_PNSt15iterator_traitsISV_E10value_typeET2_T3_PNSW_IS11_E10value_typeET4_jRbjT5_S17_jjP12ihipStream_tbEUljE_EEESS_ST_SU_S11_S15_S17_T6_T7_T9_mT8_S19_bDpT10_ENKUlT_T0_E_clISt17integral_constantIbLb1EES1M_EEDaS1H_S1I_EUlS1H_E_NS1_11comp_targetILNS1_3genE10ELNS1_11target_archE1200ELNS1_3gpuE4ELNS1_3repE0EEENS1_30default_config_static_selectorELNS0_4arch9wavefront6targetE1EEEvSV_.has_dyn_sized_stack, 0
	.set _ZN7rocprim17ROCPRIM_400000_NS6detail17trampoline_kernelINS0_13select_configILj256ELj13ELNS0_17block_load_methodE3ELS4_3ELS4_3ELNS0_20block_scan_algorithmE0ELj4294967295EEENS1_25partition_config_selectorILNS1_17partition_subalgoE3EjNS0_10empty_typeEbEEZZNS1_14partition_implILS8_3ELb0ES6_jNS0_17counting_iteratorIjlEEPS9_SE_NS0_5tupleIJPjSE_EEENSF_IJSE_SE_EEES9_SG_JZNS1_25segmented_radix_sort_implINS0_14default_configELb0EPKlPlSM_SN_N2at6native12_GLOBAL__N_18offset_tEEE10hipError_tPvRmT1_PNSt15iterator_traitsISV_E10value_typeET2_T3_PNSW_IS11_E10value_typeET4_jRbjT5_S17_jjP12ihipStream_tbEUljE_EEESS_ST_SU_S11_S15_S17_T6_T7_T9_mT8_S19_bDpT10_ENKUlT_T0_E_clISt17integral_constantIbLb1EES1M_EEDaS1H_S1I_EUlS1H_E_NS1_11comp_targetILNS1_3genE10ELNS1_11target_archE1200ELNS1_3gpuE4ELNS1_3repE0EEENS1_30default_config_static_selectorELNS0_4arch9wavefront6targetE1EEEvSV_.has_recursion, 0
	.set _ZN7rocprim17ROCPRIM_400000_NS6detail17trampoline_kernelINS0_13select_configILj256ELj13ELNS0_17block_load_methodE3ELS4_3ELS4_3ELNS0_20block_scan_algorithmE0ELj4294967295EEENS1_25partition_config_selectorILNS1_17partition_subalgoE3EjNS0_10empty_typeEbEEZZNS1_14partition_implILS8_3ELb0ES6_jNS0_17counting_iteratorIjlEEPS9_SE_NS0_5tupleIJPjSE_EEENSF_IJSE_SE_EEES9_SG_JZNS1_25segmented_radix_sort_implINS0_14default_configELb0EPKlPlSM_SN_N2at6native12_GLOBAL__N_18offset_tEEE10hipError_tPvRmT1_PNSt15iterator_traitsISV_E10value_typeET2_T3_PNSW_IS11_E10value_typeET4_jRbjT5_S17_jjP12ihipStream_tbEUljE_EEESS_ST_SU_S11_S15_S17_T6_T7_T9_mT8_S19_bDpT10_ENKUlT_T0_E_clISt17integral_constantIbLb1EES1M_EEDaS1H_S1I_EUlS1H_E_NS1_11comp_targetILNS1_3genE10ELNS1_11target_archE1200ELNS1_3gpuE4ELNS1_3repE0EEENS1_30default_config_static_selectorELNS0_4arch9wavefront6targetE1EEEvSV_.has_indirect_call, 0
	.section	.AMDGPU.csdata,"",@progbits
; Kernel info:
; codeLenInByte = 0
; TotalNumSgprs: 4
; NumVgprs: 0
; ScratchSize: 0
; MemoryBound: 0
; FloatMode: 240
; IeeeMode: 1
; LDSByteSize: 0 bytes/workgroup (compile time only)
; SGPRBlocks: 0
; VGPRBlocks: 0
; NumSGPRsForWavesPerEU: 4
; NumVGPRsForWavesPerEU: 1
; Occupancy: 10
; WaveLimiterHint : 0
; COMPUTE_PGM_RSRC2:SCRATCH_EN: 0
; COMPUTE_PGM_RSRC2:USER_SGPR: 6
; COMPUTE_PGM_RSRC2:TRAP_HANDLER: 0
; COMPUTE_PGM_RSRC2:TGID_X_EN: 1
; COMPUTE_PGM_RSRC2:TGID_Y_EN: 0
; COMPUTE_PGM_RSRC2:TGID_Z_EN: 0
; COMPUTE_PGM_RSRC2:TIDIG_COMP_CNT: 0
	.section	.text._ZN7rocprim17ROCPRIM_400000_NS6detail17trampoline_kernelINS0_13select_configILj256ELj13ELNS0_17block_load_methodE3ELS4_3ELS4_3ELNS0_20block_scan_algorithmE0ELj4294967295EEENS1_25partition_config_selectorILNS1_17partition_subalgoE3EjNS0_10empty_typeEbEEZZNS1_14partition_implILS8_3ELb0ES6_jNS0_17counting_iteratorIjlEEPS9_SE_NS0_5tupleIJPjSE_EEENSF_IJSE_SE_EEES9_SG_JZNS1_25segmented_radix_sort_implINS0_14default_configELb0EPKlPlSM_SN_N2at6native12_GLOBAL__N_18offset_tEEE10hipError_tPvRmT1_PNSt15iterator_traitsISV_E10value_typeET2_T3_PNSW_IS11_E10value_typeET4_jRbjT5_S17_jjP12ihipStream_tbEUljE_EEESS_ST_SU_S11_S15_S17_T6_T7_T9_mT8_S19_bDpT10_ENKUlT_T0_E_clISt17integral_constantIbLb1EES1M_EEDaS1H_S1I_EUlS1H_E_NS1_11comp_targetILNS1_3genE9ELNS1_11target_archE1100ELNS1_3gpuE3ELNS1_3repE0EEENS1_30default_config_static_selectorELNS0_4arch9wavefront6targetE1EEEvSV_,"axG",@progbits,_ZN7rocprim17ROCPRIM_400000_NS6detail17trampoline_kernelINS0_13select_configILj256ELj13ELNS0_17block_load_methodE3ELS4_3ELS4_3ELNS0_20block_scan_algorithmE0ELj4294967295EEENS1_25partition_config_selectorILNS1_17partition_subalgoE3EjNS0_10empty_typeEbEEZZNS1_14partition_implILS8_3ELb0ES6_jNS0_17counting_iteratorIjlEEPS9_SE_NS0_5tupleIJPjSE_EEENSF_IJSE_SE_EEES9_SG_JZNS1_25segmented_radix_sort_implINS0_14default_configELb0EPKlPlSM_SN_N2at6native12_GLOBAL__N_18offset_tEEE10hipError_tPvRmT1_PNSt15iterator_traitsISV_E10value_typeET2_T3_PNSW_IS11_E10value_typeET4_jRbjT5_S17_jjP12ihipStream_tbEUljE_EEESS_ST_SU_S11_S15_S17_T6_T7_T9_mT8_S19_bDpT10_ENKUlT_T0_E_clISt17integral_constantIbLb1EES1M_EEDaS1H_S1I_EUlS1H_E_NS1_11comp_targetILNS1_3genE9ELNS1_11target_archE1100ELNS1_3gpuE3ELNS1_3repE0EEENS1_30default_config_static_selectorELNS0_4arch9wavefront6targetE1EEEvSV_,comdat
	.globl	_ZN7rocprim17ROCPRIM_400000_NS6detail17trampoline_kernelINS0_13select_configILj256ELj13ELNS0_17block_load_methodE3ELS4_3ELS4_3ELNS0_20block_scan_algorithmE0ELj4294967295EEENS1_25partition_config_selectorILNS1_17partition_subalgoE3EjNS0_10empty_typeEbEEZZNS1_14partition_implILS8_3ELb0ES6_jNS0_17counting_iteratorIjlEEPS9_SE_NS0_5tupleIJPjSE_EEENSF_IJSE_SE_EEES9_SG_JZNS1_25segmented_radix_sort_implINS0_14default_configELb0EPKlPlSM_SN_N2at6native12_GLOBAL__N_18offset_tEEE10hipError_tPvRmT1_PNSt15iterator_traitsISV_E10value_typeET2_T3_PNSW_IS11_E10value_typeET4_jRbjT5_S17_jjP12ihipStream_tbEUljE_EEESS_ST_SU_S11_S15_S17_T6_T7_T9_mT8_S19_bDpT10_ENKUlT_T0_E_clISt17integral_constantIbLb1EES1M_EEDaS1H_S1I_EUlS1H_E_NS1_11comp_targetILNS1_3genE9ELNS1_11target_archE1100ELNS1_3gpuE3ELNS1_3repE0EEENS1_30default_config_static_selectorELNS0_4arch9wavefront6targetE1EEEvSV_ ; -- Begin function _ZN7rocprim17ROCPRIM_400000_NS6detail17trampoline_kernelINS0_13select_configILj256ELj13ELNS0_17block_load_methodE3ELS4_3ELS4_3ELNS0_20block_scan_algorithmE0ELj4294967295EEENS1_25partition_config_selectorILNS1_17partition_subalgoE3EjNS0_10empty_typeEbEEZZNS1_14partition_implILS8_3ELb0ES6_jNS0_17counting_iteratorIjlEEPS9_SE_NS0_5tupleIJPjSE_EEENSF_IJSE_SE_EEES9_SG_JZNS1_25segmented_radix_sort_implINS0_14default_configELb0EPKlPlSM_SN_N2at6native12_GLOBAL__N_18offset_tEEE10hipError_tPvRmT1_PNSt15iterator_traitsISV_E10value_typeET2_T3_PNSW_IS11_E10value_typeET4_jRbjT5_S17_jjP12ihipStream_tbEUljE_EEESS_ST_SU_S11_S15_S17_T6_T7_T9_mT8_S19_bDpT10_ENKUlT_T0_E_clISt17integral_constantIbLb1EES1M_EEDaS1H_S1I_EUlS1H_E_NS1_11comp_targetILNS1_3genE9ELNS1_11target_archE1100ELNS1_3gpuE3ELNS1_3repE0EEENS1_30default_config_static_selectorELNS0_4arch9wavefront6targetE1EEEvSV_
	.p2align	8
	.type	_ZN7rocprim17ROCPRIM_400000_NS6detail17trampoline_kernelINS0_13select_configILj256ELj13ELNS0_17block_load_methodE3ELS4_3ELS4_3ELNS0_20block_scan_algorithmE0ELj4294967295EEENS1_25partition_config_selectorILNS1_17partition_subalgoE3EjNS0_10empty_typeEbEEZZNS1_14partition_implILS8_3ELb0ES6_jNS0_17counting_iteratorIjlEEPS9_SE_NS0_5tupleIJPjSE_EEENSF_IJSE_SE_EEES9_SG_JZNS1_25segmented_radix_sort_implINS0_14default_configELb0EPKlPlSM_SN_N2at6native12_GLOBAL__N_18offset_tEEE10hipError_tPvRmT1_PNSt15iterator_traitsISV_E10value_typeET2_T3_PNSW_IS11_E10value_typeET4_jRbjT5_S17_jjP12ihipStream_tbEUljE_EEESS_ST_SU_S11_S15_S17_T6_T7_T9_mT8_S19_bDpT10_ENKUlT_T0_E_clISt17integral_constantIbLb1EES1M_EEDaS1H_S1I_EUlS1H_E_NS1_11comp_targetILNS1_3genE9ELNS1_11target_archE1100ELNS1_3gpuE3ELNS1_3repE0EEENS1_30default_config_static_selectorELNS0_4arch9wavefront6targetE1EEEvSV_,@function
_ZN7rocprim17ROCPRIM_400000_NS6detail17trampoline_kernelINS0_13select_configILj256ELj13ELNS0_17block_load_methodE3ELS4_3ELS4_3ELNS0_20block_scan_algorithmE0ELj4294967295EEENS1_25partition_config_selectorILNS1_17partition_subalgoE3EjNS0_10empty_typeEbEEZZNS1_14partition_implILS8_3ELb0ES6_jNS0_17counting_iteratorIjlEEPS9_SE_NS0_5tupleIJPjSE_EEENSF_IJSE_SE_EEES9_SG_JZNS1_25segmented_radix_sort_implINS0_14default_configELb0EPKlPlSM_SN_N2at6native12_GLOBAL__N_18offset_tEEE10hipError_tPvRmT1_PNSt15iterator_traitsISV_E10value_typeET2_T3_PNSW_IS11_E10value_typeET4_jRbjT5_S17_jjP12ihipStream_tbEUljE_EEESS_ST_SU_S11_S15_S17_T6_T7_T9_mT8_S19_bDpT10_ENKUlT_T0_E_clISt17integral_constantIbLb1EES1M_EEDaS1H_S1I_EUlS1H_E_NS1_11comp_targetILNS1_3genE9ELNS1_11target_archE1100ELNS1_3gpuE3ELNS1_3repE0EEENS1_30default_config_static_selectorELNS0_4arch9wavefront6targetE1EEEvSV_: ; @_ZN7rocprim17ROCPRIM_400000_NS6detail17trampoline_kernelINS0_13select_configILj256ELj13ELNS0_17block_load_methodE3ELS4_3ELS4_3ELNS0_20block_scan_algorithmE0ELj4294967295EEENS1_25partition_config_selectorILNS1_17partition_subalgoE3EjNS0_10empty_typeEbEEZZNS1_14partition_implILS8_3ELb0ES6_jNS0_17counting_iteratorIjlEEPS9_SE_NS0_5tupleIJPjSE_EEENSF_IJSE_SE_EEES9_SG_JZNS1_25segmented_radix_sort_implINS0_14default_configELb0EPKlPlSM_SN_N2at6native12_GLOBAL__N_18offset_tEEE10hipError_tPvRmT1_PNSt15iterator_traitsISV_E10value_typeET2_T3_PNSW_IS11_E10value_typeET4_jRbjT5_S17_jjP12ihipStream_tbEUljE_EEESS_ST_SU_S11_S15_S17_T6_T7_T9_mT8_S19_bDpT10_ENKUlT_T0_E_clISt17integral_constantIbLb1EES1M_EEDaS1H_S1I_EUlS1H_E_NS1_11comp_targetILNS1_3genE9ELNS1_11target_archE1100ELNS1_3gpuE3ELNS1_3repE0EEENS1_30default_config_static_selectorELNS0_4arch9wavefront6targetE1EEEvSV_
; %bb.0:
	.section	.rodata,"a",@progbits
	.p2align	6, 0x0
	.amdhsa_kernel _ZN7rocprim17ROCPRIM_400000_NS6detail17trampoline_kernelINS0_13select_configILj256ELj13ELNS0_17block_load_methodE3ELS4_3ELS4_3ELNS0_20block_scan_algorithmE0ELj4294967295EEENS1_25partition_config_selectorILNS1_17partition_subalgoE3EjNS0_10empty_typeEbEEZZNS1_14partition_implILS8_3ELb0ES6_jNS0_17counting_iteratorIjlEEPS9_SE_NS0_5tupleIJPjSE_EEENSF_IJSE_SE_EEES9_SG_JZNS1_25segmented_radix_sort_implINS0_14default_configELb0EPKlPlSM_SN_N2at6native12_GLOBAL__N_18offset_tEEE10hipError_tPvRmT1_PNSt15iterator_traitsISV_E10value_typeET2_T3_PNSW_IS11_E10value_typeET4_jRbjT5_S17_jjP12ihipStream_tbEUljE_EEESS_ST_SU_S11_S15_S17_T6_T7_T9_mT8_S19_bDpT10_ENKUlT_T0_E_clISt17integral_constantIbLb1EES1M_EEDaS1H_S1I_EUlS1H_E_NS1_11comp_targetILNS1_3genE9ELNS1_11target_archE1100ELNS1_3gpuE3ELNS1_3repE0EEENS1_30default_config_static_selectorELNS0_4arch9wavefront6targetE1EEEvSV_
		.amdhsa_group_segment_fixed_size 0
		.amdhsa_private_segment_fixed_size 0
		.amdhsa_kernarg_size 152
		.amdhsa_user_sgpr_count 6
		.amdhsa_user_sgpr_private_segment_buffer 1
		.amdhsa_user_sgpr_dispatch_ptr 0
		.amdhsa_user_sgpr_queue_ptr 0
		.amdhsa_user_sgpr_kernarg_segment_ptr 1
		.amdhsa_user_sgpr_dispatch_id 0
		.amdhsa_user_sgpr_flat_scratch_init 0
		.amdhsa_user_sgpr_private_segment_size 0
		.amdhsa_uses_dynamic_stack 0
		.amdhsa_system_sgpr_private_segment_wavefront_offset 0
		.amdhsa_system_sgpr_workgroup_id_x 1
		.amdhsa_system_sgpr_workgroup_id_y 0
		.amdhsa_system_sgpr_workgroup_id_z 0
		.amdhsa_system_sgpr_workgroup_info 0
		.amdhsa_system_vgpr_workitem_id 0
		.amdhsa_next_free_vgpr 1
		.amdhsa_next_free_sgpr 0
		.amdhsa_reserve_vcc 0
		.amdhsa_reserve_flat_scratch 0
		.amdhsa_float_round_mode_32 0
		.amdhsa_float_round_mode_16_64 0
		.amdhsa_float_denorm_mode_32 3
		.amdhsa_float_denorm_mode_16_64 3
		.amdhsa_dx10_clamp 1
		.amdhsa_ieee_mode 1
		.amdhsa_fp16_overflow 0
		.amdhsa_exception_fp_ieee_invalid_op 0
		.amdhsa_exception_fp_denorm_src 0
		.amdhsa_exception_fp_ieee_div_zero 0
		.amdhsa_exception_fp_ieee_overflow 0
		.amdhsa_exception_fp_ieee_underflow 0
		.amdhsa_exception_fp_ieee_inexact 0
		.amdhsa_exception_int_div_zero 0
	.end_amdhsa_kernel
	.section	.text._ZN7rocprim17ROCPRIM_400000_NS6detail17trampoline_kernelINS0_13select_configILj256ELj13ELNS0_17block_load_methodE3ELS4_3ELS4_3ELNS0_20block_scan_algorithmE0ELj4294967295EEENS1_25partition_config_selectorILNS1_17partition_subalgoE3EjNS0_10empty_typeEbEEZZNS1_14partition_implILS8_3ELb0ES6_jNS0_17counting_iteratorIjlEEPS9_SE_NS0_5tupleIJPjSE_EEENSF_IJSE_SE_EEES9_SG_JZNS1_25segmented_radix_sort_implINS0_14default_configELb0EPKlPlSM_SN_N2at6native12_GLOBAL__N_18offset_tEEE10hipError_tPvRmT1_PNSt15iterator_traitsISV_E10value_typeET2_T3_PNSW_IS11_E10value_typeET4_jRbjT5_S17_jjP12ihipStream_tbEUljE_EEESS_ST_SU_S11_S15_S17_T6_T7_T9_mT8_S19_bDpT10_ENKUlT_T0_E_clISt17integral_constantIbLb1EES1M_EEDaS1H_S1I_EUlS1H_E_NS1_11comp_targetILNS1_3genE9ELNS1_11target_archE1100ELNS1_3gpuE3ELNS1_3repE0EEENS1_30default_config_static_selectorELNS0_4arch9wavefront6targetE1EEEvSV_,"axG",@progbits,_ZN7rocprim17ROCPRIM_400000_NS6detail17trampoline_kernelINS0_13select_configILj256ELj13ELNS0_17block_load_methodE3ELS4_3ELS4_3ELNS0_20block_scan_algorithmE0ELj4294967295EEENS1_25partition_config_selectorILNS1_17partition_subalgoE3EjNS0_10empty_typeEbEEZZNS1_14partition_implILS8_3ELb0ES6_jNS0_17counting_iteratorIjlEEPS9_SE_NS0_5tupleIJPjSE_EEENSF_IJSE_SE_EEES9_SG_JZNS1_25segmented_radix_sort_implINS0_14default_configELb0EPKlPlSM_SN_N2at6native12_GLOBAL__N_18offset_tEEE10hipError_tPvRmT1_PNSt15iterator_traitsISV_E10value_typeET2_T3_PNSW_IS11_E10value_typeET4_jRbjT5_S17_jjP12ihipStream_tbEUljE_EEESS_ST_SU_S11_S15_S17_T6_T7_T9_mT8_S19_bDpT10_ENKUlT_T0_E_clISt17integral_constantIbLb1EES1M_EEDaS1H_S1I_EUlS1H_E_NS1_11comp_targetILNS1_3genE9ELNS1_11target_archE1100ELNS1_3gpuE3ELNS1_3repE0EEENS1_30default_config_static_selectorELNS0_4arch9wavefront6targetE1EEEvSV_,comdat
.Lfunc_end789:
	.size	_ZN7rocprim17ROCPRIM_400000_NS6detail17trampoline_kernelINS0_13select_configILj256ELj13ELNS0_17block_load_methodE3ELS4_3ELS4_3ELNS0_20block_scan_algorithmE0ELj4294967295EEENS1_25partition_config_selectorILNS1_17partition_subalgoE3EjNS0_10empty_typeEbEEZZNS1_14partition_implILS8_3ELb0ES6_jNS0_17counting_iteratorIjlEEPS9_SE_NS0_5tupleIJPjSE_EEENSF_IJSE_SE_EEES9_SG_JZNS1_25segmented_radix_sort_implINS0_14default_configELb0EPKlPlSM_SN_N2at6native12_GLOBAL__N_18offset_tEEE10hipError_tPvRmT1_PNSt15iterator_traitsISV_E10value_typeET2_T3_PNSW_IS11_E10value_typeET4_jRbjT5_S17_jjP12ihipStream_tbEUljE_EEESS_ST_SU_S11_S15_S17_T6_T7_T9_mT8_S19_bDpT10_ENKUlT_T0_E_clISt17integral_constantIbLb1EES1M_EEDaS1H_S1I_EUlS1H_E_NS1_11comp_targetILNS1_3genE9ELNS1_11target_archE1100ELNS1_3gpuE3ELNS1_3repE0EEENS1_30default_config_static_selectorELNS0_4arch9wavefront6targetE1EEEvSV_, .Lfunc_end789-_ZN7rocprim17ROCPRIM_400000_NS6detail17trampoline_kernelINS0_13select_configILj256ELj13ELNS0_17block_load_methodE3ELS4_3ELS4_3ELNS0_20block_scan_algorithmE0ELj4294967295EEENS1_25partition_config_selectorILNS1_17partition_subalgoE3EjNS0_10empty_typeEbEEZZNS1_14partition_implILS8_3ELb0ES6_jNS0_17counting_iteratorIjlEEPS9_SE_NS0_5tupleIJPjSE_EEENSF_IJSE_SE_EEES9_SG_JZNS1_25segmented_radix_sort_implINS0_14default_configELb0EPKlPlSM_SN_N2at6native12_GLOBAL__N_18offset_tEEE10hipError_tPvRmT1_PNSt15iterator_traitsISV_E10value_typeET2_T3_PNSW_IS11_E10value_typeET4_jRbjT5_S17_jjP12ihipStream_tbEUljE_EEESS_ST_SU_S11_S15_S17_T6_T7_T9_mT8_S19_bDpT10_ENKUlT_T0_E_clISt17integral_constantIbLb1EES1M_EEDaS1H_S1I_EUlS1H_E_NS1_11comp_targetILNS1_3genE9ELNS1_11target_archE1100ELNS1_3gpuE3ELNS1_3repE0EEENS1_30default_config_static_selectorELNS0_4arch9wavefront6targetE1EEEvSV_
                                        ; -- End function
	.set _ZN7rocprim17ROCPRIM_400000_NS6detail17trampoline_kernelINS0_13select_configILj256ELj13ELNS0_17block_load_methodE3ELS4_3ELS4_3ELNS0_20block_scan_algorithmE0ELj4294967295EEENS1_25partition_config_selectorILNS1_17partition_subalgoE3EjNS0_10empty_typeEbEEZZNS1_14partition_implILS8_3ELb0ES6_jNS0_17counting_iteratorIjlEEPS9_SE_NS0_5tupleIJPjSE_EEENSF_IJSE_SE_EEES9_SG_JZNS1_25segmented_radix_sort_implINS0_14default_configELb0EPKlPlSM_SN_N2at6native12_GLOBAL__N_18offset_tEEE10hipError_tPvRmT1_PNSt15iterator_traitsISV_E10value_typeET2_T3_PNSW_IS11_E10value_typeET4_jRbjT5_S17_jjP12ihipStream_tbEUljE_EEESS_ST_SU_S11_S15_S17_T6_T7_T9_mT8_S19_bDpT10_ENKUlT_T0_E_clISt17integral_constantIbLb1EES1M_EEDaS1H_S1I_EUlS1H_E_NS1_11comp_targetILNS1_3genE9ELNS1_11target_archE1100ELNS1_3gpuE3ELNS1_3repE0EEENS1_30default_config_static_selectorELNS0_4arch9wavefront6targetE1EEEvSV_.num_vgpr, 0
	.set _ZN7rocprim17ROCPRIM_400000_NS6detail17trampoline_kernelINS0_13select_configILj256ELj13ELNS0_17block_load_methodE3ELS4_3ELS4_3ELNS0_20block_scan_algorithmE0ELj4294967295EEENS1_25partition_config_selectorILNS1_17partition_subalgoE3EjNS0_10empty_typeEbEEZZNS1_14partition_implILS8_3ELb0ES6_jNS0_17counting_iteratorIjlEEPS9_SE_NS0_5tupleIJPjSE_EEENSF_IJSE_SE_EEES9_SG_JZNS1_25segmented_radix_sort_implINS0_14default_configELb0EPKlPlSM_SN_N2at6native12_GLOBAL__N_18offset_tEEE10hipError_tPvRmT1_PNSt15iterator_traitsISV_E10value_typeET2_T3_PNSW_IS11_E10value_typeET4_jRbjT5_S17_jjP12ihipStream_tbEUljE_EEESS_ST_SU_S11_S15_S17_T6_T7_T9_mT8_S19_bDpT10_ENKUlT_T0_E_clISt17integral_constantIbLb1EES1M_EEDaS1H_S1I_EUlS1H_E_NS1_11comp_targetILNS1_3genE9ELNS1_11target_archE1100ELNS1_3gpuE3ELNS1_3repE0EEENS1_30default_config_static_selectorELNS0_4arch9wavefront6targetE1EEEvSV_.num_agpr, 0
	.set _ZN7rocprim17ROCPRIM_400000_NS6detail17trampoline_kernelINS0_13select_configILj256ELj13ELNS0_17block_load_methodE3ELS4_3ELS4_3ELNS0_20block_scan_algorithmE0ELj4294967295EEENS1_25partition_config_selectorILNS1_17partition_subalgoE3EjNS0_10empty_typeEbEEZZNS1_14partition_implILS8_3ELb0ES6_jNS0_17counting_iteratorIjlEEPS9_SE_NS0_5tupleIJPjSE_EEENSF_IJSE_SE_EEES9_SG_JZNS1_25segmented_radix_sort_implINS0_14default_configELb0EPKlPlSM_SN_N2at6native12_GLOBAL__N_18offset_tEEE10hipError_tPvRmT1_PNSt15iterator_traitsISV_E10value_typeET2_T3_PNSW_IS11_E10value_typeET4_jRbjT5_S17_jjP12ihipStream_tbEUljE_EEESS_ST_SU_S11_S15_S17_T6_T7_T9_mT8_S19_bDpT10_ENKUlT_T0_E_clISt17integral_constantIbLb1EES1M_EEDaS1H_S1I_EUlS1H_E_NS1_11comp_targetILNS1_3genE9ELNS1_11target_archE1100ELNS1_3gpuE3ELNS1_3repE0EEENS1_30default_config_static_selectorELNS0_4arch9wavefront6targetE1EEEvSV_.numbered_sgpr, 0
	.set _ZN7rocprim17ROCPRIM_400000_NS6detail17trampoline_kernelINS0_13select_configILj256ELj13ELNS0_17block_load_methodE3ELS4_3ELS4_3ELNS0_20block_scan_algorithmE0ELj4294967295EEENS1_25partition_config_selectorILNS1_17partition_subalgoE3EjNS0_10empty_typeEbEEZZNS1_14partition_implILS8_3ELb0ES6_jNS0_17counting_iteratorIjlEEPS9_SE_NS0_5tupleIJPjSE_EEENSF_IJSE_SE_EEES9_SG_JZNS1_25segmented_radix_sort_implINS0_14default_configELb0EPKlPlSM_SN_N2at6native12_GLOBAL__N_18offset_tEEE10hipError_tPvRmT1_PNSt15iterator_traitsISV_E10value_typeET2_T3_PNSW_IS11_E10value_typeET4_jRbjT5_S17_jjP12ihipStream_tbEUljE_EEESS_ST_SU_S11_S15_S17_T6_T7_T9_mT8_S19_bDpT10_ENKUlT_T0_E_clISt17integral_constantIbLb1EES1M_EEDaS1H_S1I_EUlS1H_E_NS1_11comp_targetILNS1_3genE9ELNS1_11target_archE1100ELNS1_3gpuE3ELNS1_3repE0EEENS1_30default_config_static_selectorELNS0_4arch9wavefront6targetE1EEEvSV_.num_named_barrier, 0
	.set _ZN7rocprim17ROCPRIM_400000_NS6detail17trampoline_kernelINS0_13select_configILj256ELj13ELNS0_17block_load_methodE3ELS4_3ELS4_3ELNS0_20block_scan_algorithmE0ELj4294967295EEENS1_25partition_config_selectorILNS1_17partition_subalgoE3EjNS0_10empty_typeEbEEZZNS1_14partition_implILS8_3ELb0ES6_jNS0_17counting_iteratorIjlEEPS9_SE_NS0_5tupleIJPjSE_EEENSF_IJSE_SE_EEES9_SG_JZNS1_25segmented_radix_sort_implINS0_14default_configELb0EPKlPlSM_SN_N2at6native12_GLOBAL__N_18offset_tEEE10hipError_tPvRmT1_PNSt15iterator_traitsISV_E10value_typeET2_T3_PNSW_IS11_E10value_typeET4_jRbjT5_S17_jjP12ihipStream_tbEUljE_EEESS_ST_SU_S11_S15_S17_T6_T7_T9_mT8_S19_bDpT10_ENKUlT_T0_E_clISt17integral_constantIbLb1EES1M_EEDaS1H_S1I_EUlS1H_E_NS1_11comp_targetILNS1_3genE9ELNS1_11target_archE1100ELNS1_3gpuE3ELNS1_3repE0EEENS1_30default_config_static_selectorELNS0_4arch9wavefront6targetE1EEEvSV_.private_seg_size, 0
	.set _ZN7rocprim17ROCPRIM_400000_NS6detail17trampoline_kernelINS0_13select_configILj256ELj13ELNS0_17block_load_methodE3ELS4_3ELS4_3ELNS0_20block_scan_algorithmE0ELj4294967295EEENS1_25partition_config_selectorILNS1_17partition_subalgoE3EjNS0_10empty_typeEbEEZZNS1_14partition_implILS8_3ELb0ES6_jNS0_17counting_iteratorIjlEEPS9_SE_NS0_5tupleIJPjSE_EEENSF_IJSE_SE_EEES9_SG_JZNS1_25segmented_radix_sort_implINS0_14default_configELb0EPKlPlSM_SN_N2at6native12_GLOBAL__N_18offset_tEEE10hipError_tPvRmT1_PNSt15iterator_traitsISV_E10value_typeET2_T3_PNSW_IS11_E10value_typeET4_jRbjT5_S17_jjP12ihipStream_tbEUljE_EEESS_ST_SU_S11_S15_S17_T6_T7_T9_mT8_S19_bDpT10_ENKUlT_T0_E_clISt17integral_constantIbLb1EES1M_EEDaS1H_S1I_EUlS1H_E_NS1_11comp_targetILNS1_3genE9ELNS1_11target_archE1100ELNS1_3gpuE3ELNS1_3repE0EEENS1_30default_config_static_selectorELNS0_4arch9wavefront6targetE1EEEvSV_.uses_vcc, 0
	.set _ZN7rocprim17ROCPRIM_400000_NS6detail17trampoline_kernelINS0_13select_configILj256ELj13ELNS0_17block_load_methodE3ELS4_3ELS4_3ELNS0_20block_scan_algorithmE0ELj4294967295EEENS1_25partition_config_selectorILNS1_17partition_subalgoE3EjNS0_10empty_typeEbEEZZNS1_14partition_implILS8_3ELb0ES6_jNS0_17counting_iteratorIjlEEPS9_SE_NS0_5tupleIJPjSE_EEENSF_IJSE_SE_EEES9_SG_JZNS1_25segmented_radix_sort_implINS0_14default_configELb0EPKlPlSM_SN_N2at6native12_GLOBAL__N_18offset_tEEE10hipError_tPvRmT1_PNSt15iterator_traitsISV_E10value_typeET2_T3_PNSW_IS11_E10value_typeET4_jRbjT5_S17_jjP12ihipStream_tbEUljE_EEESS_ST_SU_S11_S15_S17_T6_T7_T9_mT8_S19_bDpT10_ENKUlT_T0_E_clISt17integral_constantIbLb1EES1M_EEDaS1H_S1I_EUlS1H_E_NS1_11comp_targetILNS1_3genE9ELNS1_11target_archE1100ELNS1_3gpuE3ELNS1_3repE0EEENS1_30default_config_static_selectorELNS0_4arch9wavefront6targetE1EEEvSV_.uses_flat_scratch, 0
	.set _ZN7rocprim17ROCPRIM_400000_NS6detail17trampoline_kernelINS0_13select_configILj256ELj13ELNS0_17block_load_methodE3ELS4_3ELS4_3ELNS0_20block_scan_algorithmE0ELj4294967295EEENS1_25partition_config_selectorILNS1_17partition_subalgoE3EjNS0_10empty_typeEbEEZZNS1_14partition_implILS8_3ELb0ES6_jNS0_17counting_iteratorIjlEEPS9_SE_NS0_5tupleIJPjSE_EEENSF_IJSE_SE_EEES9_SG_JZNS1_25segmented_radix_sort_implINS0_14default_configELb0EPKlPlSM_SN_N2at6native12_GLOBAL__N_18offset_tEEE10hipError_tPvRmT1_PNSt15iterator_traitsISV_E10value_typeET2_T3_PNSW_IS11_E10value_typeET4_jRbjT5_S17_jjP12ihipStream_tbEUljE_EEESS_ST_SU_S11_S15_S17_T6_T7_T9_mT8_S19_bDpT10_ENKUlT_T0_E_clISt17integral_constantIbLb1EES1M_EEDaS1H_S1I_EUlS1H_E_NS1_11comp_targetILNS1_3genE9ELNS1_11target_archE1100ELNS1_3gpuE3ELNS1_3repE0EEENS1_30default_config_static_selectorELNS0_4arch9wavefront6targetE1EEEvSV_.has_dyn_sized_stack, 0
	.set _ZN7rocprim17ROCPRIM_400000_NS6detail17trampoline_kernelINS0_13select_configILj256ELj13ELNS0_17block_load_methodE3ELS4_3ELS4_3ELNS0_20block_scan_algorithmE0ELj4294967295EEENS1_25partition_config_selectorILNS1_17partition_subalgoE3EjNS0_10empty_typeEbEEZZNS1_14partition_implILS8_3ELb0ES6_jNS0_17counting_iteratorIjlEEPS9_SE_NS0_5tupleIJPjSE_EEENSF_IJSE_SE_EEES9_SG_JZNS1_25segmented_radix_sort_implINS0_14default_configELb0EPKlPlSM_SN_N2at6native12_GLOBAL__N_18offset_tEEE10hipError_tPvRmT1_PNSt15iterator_traitsISV_E10value_typeET2_T3_PNSW_IS11_E10value_typeET4_jRbjT5_S17_jjP12ihipStream_tbEUljE_EEESS_ST_SU_S11_S15_S17_T6_T7_T9_mT8_S19_bDpT10_ENKUlT_T0_E_clISt17integral_constantIbLb1EES1M_EEDaS1H_S1I_EUlS1H_E_NS1_11comp_targetILNS1_3genE9ELNS1_11target_archE1100ELNS1_3gpuE3ELNS1_3repE0EEENS1_30default_config_static_selectorELNS0_4arch9wavefront6targetE1EEEvSV_.has_recursion, 0
	.set _ZN7rocprim17ROCPRIM_400000_NS6detail17trampoline_kernelINS0_13select_configILj256ELj13ELNS0_17block_load_methodE3ELS4_3ELS4_3ELNS0_20block_scan_algorithmE0ELj4294967295EEENS1_25partition_config_selectorILNS1_17partition_subalgoE3EjNS0_10empty_typeEbEEZZNS1_14partition_implILS8_3ELb0ES6_jNS0_17counting_iteratorIjlEEPS9_SE_NS0_5tupleIJPjSE_EEENSF_IJSE_SE_EEES9_SG_JZNS1_25segmented_radix_sort_implINS0_14default_configELb0EPKlPlSM_SN_N2at6native12_GLOBAL__N_18offset_tEEE10hipError_tPvRmT1_PNSt15iterator_traitsISV_E10value_typeET2_T3_PNSW_IS11_E10value_typeET4_jRbjT5_S17_jjP12ihipStream_tbEUljE_EEESS_ST_SU_S11_S15_S17_T6_T7_T9_mT8_S19_bDpT10_ENKUlT_T0_E_clISt17integral_constantIbLb1EES1M_EEDaS1H_S1I_EUlS1H_E_NS1_11comp_targetILNS1_3genE9ELNS1_11target_archE1100ELNS1_3gpuE3ELNS1_3repE0EEENS1_30default_config_static_selectorELNS0_4arch9wavefront6targetE1EEEvSV_.has_indirect_call, 0
	.section	.AMDGPU.csdata,"",@progbits
; Kernel info:
; codeLenInByte = 0
; TotalNumSgprs: 4
; NumVgprs: 0
; ScratchSize: 0
; MemoryBound: 0
; FloatMode: 240
; IeeeMode: 1
; LDSByteSize: 0 bytes/workgroup (compile time only)
; SGPRBlocks: 0
; VGPRBlocks: 0
; NumSGPRsForWavesPerEU: 4
; NumVGPRsForWavesPerEU: 1
; Occupancy: 10
; WaveLimiterHint : 0
; COMPUTE_PGM_RSRC2:SCRATCH_EN: 0
; COMPUTE_PGM_RSRC2:USER_SGPR: 6
; COMPUTE_PGM_RSRC2:TRAP_HANDLER: 0
; COMPUTE_PGM_RSRC2:TGID_X_EN: 1
; COMPUTE_PGM_RSRC2:TGID_Y_EN: 0
; COMPUTE_PGM_RSRC2:TGID_Z_EN: 0
; COMPUTE_PGM_RSRC2:TIDIG_COMP_CNT: 0
	.section	.text._ZN7rocprim17ROCPRIM_400000_NS6detail17trampoline_kernelINS0_13select_configILj256ELj13ELNS0_17block_load_methodE3ELS4_3ELS4_3ELNS0_20block_scan_algorithmE0ELj4294967295EEENS1_25partition_config_selectorILNS1_17partition_subalgoE3EjNS0_10empty_typeEbEEZZNS1_14partition_implILS8_3ELb0ES6_jNS0_17counting_iteratorIjlEEPS9_SE_NS0_5tupleIJPjSE_EEENSF_IJSE_SE_EEES9_SG_JZNS1_25segmented_radix_sort_implINS0_14default_configELb0EPKlPlSM_SN_N2at6native12_GLOBAL__N_18offset_tEEE10hipError_tPvRmT1_PNSt15iterator_traitsISV_E10value_typeET2_T3_PNSW_IS11_E10value_typeET4_jRbjT5_S17_jjP12ihipStream_tbEUljE_EEESS_ST_SU_S11_S15_S17_T6_T7_T9_mT8_S19_bDpT10_ENKUlT_T0_E_clISt17integral_constantIbLb1EES1M_EEDaS1H_S1I_EUlS1H_E_NS1_11comp_targetILNS1_3genE8ELNS1_11target_archE1030ELNS1_3gpuE2ELNS1_3repE0EEENS1_30default_config_static_selectorELNS0_4arch9wavefront6targetE1EEEvSV_,"axG",@progbits,_ZN7rocprim17ROCPRIM_400000_NS6detail17trampoline_kernelINS0_13select_configILj256ELj13ELNS0_17block_load_methodE3ELS4_3ELS4_3ELNS0_20block_scan_algorithmE0ELj4294967295EEENS1_25partition_config_selectorILNS1_17partition_subalgoE3EjNS0_10empty_typeEbEEZZNS1_14partition_implILS8_3ELb0ES6_jNS0_17counting_iteratorIjlEEPS9_SE_NS0_5tupleIJPjSE_EEENSF_IJSE_SE_EEES9_SG_JZNS1_25segmented_radix_sort_implINS0_14default_configELb0EPKlPlSM_SN_N2at6native12_GLOBAL__N_18offset_tEEE10hipError_tPvRmT1_PNSt15iterator_traitsISV_E10value_typeET2_T3_PNSW_IS11_E10value_typeET4_jRbjT5_S17_jjP12ihipStream_tbEUljE_EEESS_ST_SU_S11_S15_S17_T6_T7_T9_mT8_S19_bDpT10_ENKUlT_T0_E_clISt17integral_constantIbLb1EES1M_EEDaS1H_S1I_EUlS1H_E_NS1_11comp_targetILNS1_3genE8ELNS1_11target_archE1030ELNS1_3gpuE2ELNS1_3repE0EEENS1_30default_config_static_selectorELNS0_4arch9wavefront6targetE1EEEvSV_,comdat
	.globl	_ZN7rocprim17ROCPRIM_400000_NS6detail17trampoline_kernelINS0_13select_configILj256ELj13ELNS0_17block_load_methodE3ELS4_3ELS4_3ELNS0_20block_scan_algorithmE0ELj4294967295EEENS1_25partition_config_selectorILNS1_17partition_subalgoE3EjNS0_10empty_typeEbEEZZNS1_14partition_implILS8_3ELb0ES6_jNS0_17counting_iteratorIjlEEPS9_SE_NS0_5tupleIJPjSE_EEENSF_IJSE_SE_EEES9_SG_JZNS1_25segmented_radix_sort_implINS0_14default_configELb0EPKlPlSM_SN_N2at6native12_GLOBAL__N_18offset_tEEE10hipError_tPvRmT1_PNSt15iterator_traitsISV_E10value_typeET2_T3_PNSW_IS11_E10value_typeET4_jRbjT5_S17_jjP12ihipStream_tbEUljE_EEESS_ST_SU_S11_S15_S17_T6_T7_T9_mT8_S19_bDpT10_ENKUlT_T0_E_clISt17integral_constantIbLb1EES1M_EEDaS1H_S1I_EUlS1H_E_NS1_11comp_targetILNS1_3genE8ELNS1_11target_archE1030ELNS1_3gpuE2ELNS1_3repE0EEENS1_30default_config_static_selectorELNS0_4arch9wavefront6targetE1EEEvSV_ ; -- Begin function _ZN7rocprim17ROCPRIM_400000_NS6detail17trampoline_kernelINS0_13select_configILj256ELj13ELNS0_17block_load_methodE3ELS4_3ELS4_3ELNS0_20block_scan_algorithmE0ELj4294967295EEENS1_25partition_config_selectorILNS1_17partition_subalgoE3EjNS0_10empty_typeEbEEZZNS1_14partition_implILS8_3ELb0ES6_jNS0_17counting_iteratorIjlEEPS9_SE_NS0_5tupleIJPjSE_EEENSF_IJSE_SE_EEES9_SG_JZNS1_25segmented_radix_sort_implINS0_14default_configELb0EPKlPlSM_SN_N2at6native12_GLOBAL__N_18offset_tEEE10hipError_tPvRmT1_PNSt15iterator_traitsISV_E10value_typeET2_T3_PNSW_IS11_E10value_typeET4_jRbjT5_S17_jjP12ihipStream_tbEUljE_EEESS_ST_SU_S11_S15_S17_T6_T7_T9_mT8_S19_bDpT10_ENKUlT_T0_E_clISt17integral_constantIbLb1EES1M_EEDaS1H_S1I_EUlS1H_E_NS1_11comp_targetILNS1_3genE8ELNS1_11target_archE1030ELNS1_3gpuE2ELNS1_3repE0EEENS1_30default_config_static_selectorELNS0_4arch9wavefront6targetE1EEEvSV_
	.p2align	8
	.type	_ZN7rocprim17ROCPRIM_400000_NS6detail17trampoline_kernelINS0_13select_configILj256ELj13ELNS0_17block_load_methodE3ELS4_3ELS4_3ELNS0_20block_scan_algorithmE0ELj4294967295EEENS1_25partition_config_selectorILNS1_17partition_subalgoE3EjNS0_10empty_typeEbEEZZNS1_14partition_implILS8_3ELb0ES6_jNS0_17counting_iteratorIjlEEPS9_SE_NS0_5tupleIJPjSE_EEENSF_IJSE_SE_EEES9_SG_JZNS1_25segmented_radix_sort_implINS0_14default_configELb0EPKlPlSM_SN_N2at6native12_GLOBAL__N_18offset_tEEE10hipError_tPvRmT1_PNSt15iterator_traitsISV_E10value_typeET2_T3_PNSW_IS11_E10value_typeET4_jRbjT5_S17_jjP12ihipStream_tbEUljE_EEESS_ST_SU_S11_S15_S17_T6_T7_T9_mT8_S19_bDpT10_ENKUlT_T0_E_clISt17integral_constantIbLb1EES1M_EEDaS1H_S1I_EUlS1H_E_NS1_11comp_targetILNS1_3genE8ELNS1_11target_archE1030ELNS1_3gpuE2ELNS1_3repE0EEENS1_30default_config_static_selectorELNS0_4arch9wavefront6targetE1EEEvSV_,@function
_ZN7rocprim17ROCPRIM_400000_NS6detail17trampoline_kernelINS0_13select_configILj256ELj13ELNS0_17block_load_methodE3ELS4_3ELS4_3ELNS0_20block_scan_algorithmE0ELj4294967295EEENS1_25partition_config_selectorILNS1_17partition_subalgoE3EjNS0_10empty_typeEbEEZZNS1_14partition_implILS8_3ELb0ES6_jNS0_17counting_iteratorIjlEEPS9_SE_NS0_5tupleIJPjSE_EEENSF_IJSE_SE_EEES9_SG_JZNS1_25segmented_radix_sort_implINS0_14default_configELb0EPKlPlSM_SN_N2at6native12_GLOBAL__N_18offset_tEEE10hipError_tPvRmT1_PNSt15iterator_traitsISV_E10value_typeET2_T3_PNSW_IS11_E10value_typeET4_jRbjT5_S17_jjP12ihipStream_tbEUljE_EEESS_ST_SU_S11_S15_S17_T6_T7_T9_mT8_S19_bDpT10_ENKUlT_T0_E_clISt17integral_constantIbLb1EES1M_EEDaS1H_S1I_EUlS1H_E_NS1_11comp_targetILNS1_3genE8ELNS1_11target_archE1030ELNS1_3gpuE2ELNS1_3repE0EEENS1_30default_config_static_selectorELNS0_4arch9wavefront6targetE1EEEvSV_: ; @_ZN7rocprim17ROCPRIM_400000_NS6detail17trampoline_kernelINS0_13select_configILj256ELj13ELNS0_17block_load_methodE3ELS4_3ELS4_3ELNS0_20block_scan_algorithmE0ELj4294967295EEENS1_25partition_config_selectorILNS1_17partition_subalgoE3EjNS0_10empty_typeEbEEZZNS1_14partition_implILS8_3ELb0ES6_jNS0_17counting_iteratorIjlEEPS9_SE_NS0_5tupleIJPjSE_EEENSF_IJSE_SE_EEES9_SG_JZNS1_25segmented_radix_sort_implINS0_14default_configELb0EPKlPlSM_SN_N2at6native12_GLOBAL__N_18offset_tEEE10hipError_tPvRmT1_PNSt15iterator_traitsISV_E10value_typeET2_T3_PNSW_IS11_E10value_typeET4_jRbjT5_S17_jjP12ihipStream_tbEUljE_EEESS_ST_SU_S11_S15_S17_T6_T7_T9_mT8_S19_bDpT10_ENKUlT_T0_E_clISt17integral_constantIbLb1EES1M_EEDaS1H_S1I_EUlS1H_E_NS1_11comp_targetILNS1_3genE8ELNS1_11target_archE1030ELNS1_3gpuE2ELNS1_3repE0EEENS1_30default_config_static_selectorELNS0_4arch9wavefront6targetE1EEEvSV_
; %bb.0:
	.section	.rodata,"a",@progbits
	.p2align	6, 0x0
	.amdhsa_kernel _ZN7rocprim17ROCPRIM_400000_NS6detail17trampoline_kernelINS0_13select_configILj256ELj13ELNS0_17block_load_methodE3ELS4_3ELS4_3ELNS0_20block_scan_algorithmE0ELj4294967295EEENS1_25partition_config_selectorILNS1_17partition_subalgoE3EjNS0_10empty_typeEbEEZZNS1_14partition_implILS8_3ELb0ES6_jNS0_17counting_iteratorIjlEEPS9_SE_NS0_5tupleIJPjSE_EEENSF_IJSE_SE_EEES9_SG_JZNS1_25segmented_radix_sort_implINS0_14default_configELb0EPKlPlSM_SN_N2at6native12_GLOBAL__N_18offset_tEEE10hipError_tPvRmT1_PNSt15iterator_traitsISV_E10value_typeET2_T3_PNSW_IS11_E10value_typeET4_jRbjT5_S17_jjP12ihipStream_tbEUljE_EEESS_ST_SU_S11_S15_S17_T6_T7_T9_mT8_S19_bDpT10_ENKUlT_T0_E_clISt17integral_constantIbLb1EES1M_EEDaS1H_S1I_EUlS1H_E_NS1_11comp_targetILNS1_3genE8ELNS1_11target_archE1030ELNS1_3gpuE2ELNS1_3repE0EEENS1_30default_config_static_selectorELNS0_4arch9wavefront6targetE1EEEvSV_
		.amdhsa_group_segment_fixed_size 0
		.amdhsa_private_segment_fixed_size 0
		.amdhsa_kernarg_size 152
		.amdhsa_user_sgpr_count 6
		.amdhsa_user_sgpr_private_segment_buffer 1
		.amdhsa_user_sgpr_dispatch_ptr 0
		.amdhsa_user_sgpr_queue_ptr 0
		.amdhsa_user_sgpr_kernarg_segment_ptr 1
		.amdhsa_user_sgpr_dispatch_id 0
		.amdhsa_user_sgpr_flat_scratch_init 0
		.amdhsa_user_sgpr_private_segment_size 0
		.amdhsa_uses_dynamic_stack 0
		.amdhsa_system_sgpr_private_segment_wavefront_offset 0
		.amdhsa_system_sgpr_workgroup_id_x 1
		.amdhsa_system_sgpr_workgroup_id_y 0
		.amdhsa_system_sgpr_workgroup_id_z 0
		.amdhsa_system_sgpr_workgroup_info 0
		.amdhsa_system_vgpr_workitem_id 0
		.amdhsa_next_free_vgpr 1
		.amdhsa_next_free_sgpr 0
		.amdhsa_reserve_vcc 0
		.amdhsa_reserve_flat_scratch 0
		.amdhsa_float_round_mode_32 0
		.amdhsa_float_round_mode_16_64 0
		.amdhsa_float_denorm_mode_32 3
		.amdhsa_float_denorm_mode_16_64 3
		.amdhsa_dx10_clamp 1
		.amdhsa_ieee_mode 1
		.amdhsa_fp16_overflow 0
		.amdhsa_exception_fp_ieee_invalid_op 0
		.amdhsa_exception_fp_denorm_src 0
		.amdhsa_exception_fp_ieee_div_zero 0
		.amdhsa_exception_fp_ieee_overflow 0
		.amdhsa_exception_fp_ieee_underflow 0
		.amdhsa_exception_fp_ieee_inexact 0
		.amdhsa_exception_int_div_zero 0
	.end_amdhsa_kernel
	.section	.text._ZN7rocprim17ROCPRIM_400000_NS6detail17trampoline_kernelINS0_13select_configILj256ELj13ELNS0_17block_load_methodE3ELS4_3ELS4_3ELNS0_20block_scan_algorithmE0ELj4294967295EEENS1_25partition_config_selectorILNS1_17partition_subalgoE3EjNS0_10empty_typeEbEEZZNS1_14partition_implILS8_3ELb0ES6_jNS0_17counting_iteratorIjlEEPS9_SE_NS0_5tupleIJPjSE_EEENSF_IJSE_SE_EEES9_SG_JZNS1_25segmented_radix_sort_implINS0_14default_configELb0EPKlPlSM_SN_N2at6native12_GLOBAL__N_18offset_tEEE10hipError_tPvRmT1_PNSt15iterator_traitsISV_E10value_typeET2_T3_PNSW_IS11_E10value_typeET4_jRbjT5_S17_jjP12ihipStream_tbEUljE_EEESS_ST_SU_S11_S15_S17_T6_T7_T9_mT8_S19_bDpT10_ENKUlT_T0_E_clISt17integral_constantIbLb1EES1M_EEDaS1H_S1I_EUlS1H_E_NS1_11comp_targetILNS1_3genE8ELNS1_11target_archE1030ELNS1_3gpuE2ELNS1_3repE0EEENS1_30default_config_static_selectorELNS0_4arch9wavefront6targetE1EEEvSV_,"axG",@progbits,_ZN7rocprim17ROCPRIM_400000_NS6detail17trampoline_kernelINS0_13select_configILj256ELj13ELNS0_17block_load_methodE3ELS4_3ELS4_3ELNS0_20block_scan_algorithmE0ELj4294967295EEENS1_25partition_config_selectorILNS1_17partition_subalgoE3EjNS0_10empty_typeEbEEZZNS1_14partition_implILS8_3ELb0ES6_jNS0_17counting_iteratorIjlEEPS9_SE_NS0_5tupleIJPjSE_EEENSF_IJSE_SE_EEES9_SG_JZNS1_25segmented_radix_sort_implINS0_14default_configELb0EPKlPlSM_SN_N2at6native12_GLOBAL__N_18offset_tEEE10hipError_tPvRmT1_PNSt15iterator_traitsISV_E10value_typeET2_T3_PNSW_IS11_E10value_typeET4_jRbjT5_S17_jjP12ihipStream_tbEUljE_EEESS_ST_SU_S11_S15_S17_T6_T7_T9_mT8_S19_bDpT10_ENKUlT_T0_E_clISt17integral_constantIbLb1EES1M_EEDaS1H_S1I_EUlS1H_E_NS1_11comp_targetILNS1_3genE8ELNS1_11target_archE1030ELNS1_3gpuE2ELNS1_3repE0EEENS1_30default_config_static_selectorELNS0_4arch9wavefront6targetE1EEEvSV_,comdat
.Lfunc_end790:
	.size	_ZN7rocprim17ROCPRIM_400000_NS6detail17trampoline_kernelINS0_13select_configILj256ELj13ELNS0_17block_load_methodE3ELS4_3ELS4_3ELNS0_20block_scan_algorithmE0ELj4294967295EEENS1_25partition_config_selectorILNS1_17partition_subalgoE3EjNS0_10empty_typeEbEEZZNS1_14partition_implILS8_3ELb0ES6_jNS0_17counting_iteratorIjlEEPS9_SE_NS0_5tupleIJPjSE_EEENSF_IJSE_SE_EEES9_SG_JZNS1_25segmented_radix_sort_implINS0_14default_configELb0EPKlPlSM_SN_N2at6native12_GLOBAL__N_18offset_tEEE10hipError_tPvRmT1_PNSt15iterator_traitsISV_E10value_typeET2_T3_PNSW_IS11_E10value_typeET4_jRbjT5_S17_jjP12ihipStream_tbEUljE_EEESS_ST_SU_S11_S15_S17_T6_T7_T9_mT8_S19_bDpT10_ENKUlT_T0_E_clISt17integral_constantIbLb1EES1M_EEDaS1H_S1I_EUlS1H_E_NS1_11comp_targetILNS1_3genE8ELNS1_11target_archE1030ELNS1_3gpuE2ELNS1_3repE0EEENS1_30default_config_static_selectorELNS0_4arch9wavefront6targetE1EEEvSV_, .Lfunc_end790-_ZN7rocprim17ROCPRIM_400000_NS6detail17trampoline_kernelINS0_13select_configILj256ELj13ELNS0_17block_load_methodE3ELS4_3ELS4_3ELNS0_20block_scan_algorithmE0ELj4294967295EEENS1_25partition_config_selectorILNS1_17partition_subalgoE3EjNS0_10empty_typeEbEEZZNS1_14partition_implILS8_3ELb0ES6_jNS0_17counting_iteratorIjlEEPS9_SE_NS0_5tupleIJPjSE_EEENSF_IJSE_SE_EEES9_SG_JZNS1_25segmented_radix_sort_implINS0_14default_configELb0EPKlPlSM_SN_N2at6native12_GLOBAL__N_18offset_tEEE10hipError_tPvRmT1_PNSt15iterator_traitsISV_E10value_typeET2_T3_PNSW_IS11_E10value_typeET4_jRbjT5_S17_jjP12ihipStream_tbEUljE_EEESS_ST_SU_S11_S15_S17_T6_T7_T9_mT8_S19_bDpT10_ENKUlT_T0_E_clISt17integral_constantIbLb1EES1M_EEDaS1H_S1I_EUlS1H_E_NS1_11comp_targetILNS1_3genE8ELNS1_11target_archE1030ELNS1_3gpuE2ELNS1_3repE0EEENS1_30default_config_static_selectorELNS0_4arch9wavefront6targetE1EEEvSV_
                                        ; -- End function
	.set _ZN7rocprim17ROCPRIM_400000_NS6detail17trampoline_kernelINS0_13select_configILj256ELj13ELNS0_17block_load_methodE3ELS4_3ELS4_3ELNS0_20block_scan_algorithmE0ELj4294967295EEENS1_25partition_config_selectorILNS1_17partition_subalgoE3EjNS0_10empty_typeEbEEZZNS1_14partition_implILS8_3ELb0ES6_jNS0_17counting_iteratorIjlEEPS9_SE_NS0_5tupleIJPjSE_EEENSF_IJSE_SE_EEES9_SG_JZNS1_25segmented_radix_sort_implINS0_14default_configELb0EPKlPlSM_SN_N2at6native12_GLOBAL__N_18offset_tEEE10hipError_tPvRmT1_PNSt15iterator_traitsISV_E10value_typeET2_T3_PNSW_IS11_E10value_typeET4_jRbjT5_S17_jjP12ihipStream_tbEUljE_EEESS_ST_SU_S11_S15_S17_T6_T7_T9_mT8_S19_bDpT10_ENKUlT_T0_E_clISt17integral_constantIbLb1EES1M_EEDaS1H_S1I_EUlS1H_E_NS1_11comp_targetILNS1_3genE8ELNS1_11target_archE1030ELNS1_3gpuE2ELNS1_3repE0EEENS1_30default_config_static_selectorELNS0_4arch9wavefront6targetE1EEEvSV_.num_vgpr, 0
	.set _ZN7rocprim17ROCPRIM_400000_NS6detail17trampoline_kernelINS0_13select_configILj256ELj13ELNS0_17block_load_methodE3ELS4_3ELS4_3ELNS0_20block_scan_algorithmE0ELj4294967295EEENS1_25partition_config_selectorILNS1_17partition_subalgoE3EjNS0_10empty_typeEbEEZZNS1_14partition_implILS8_3ELb0ES6_jNS0_17counting_iteratorIjlEEPS9_SE_NS0_5tupleIJPjSE_EEENSF_IJSE_SE_EEES9_SG_JZNS1_25segmented_radix_sort_implINS0_14default_configELb0EPKlPlSM_SN_N2at6native12_GLOBAL__N_18offset_tEEE10hipError_tPvRmT1_PNSt15iterator_traitsISV_E10value_typeET2_T3_PNSW_IS11_E10value_typeET4_jRbjT5_S17_jjP12ihipStream_tbEUljE_EEESS_ST_SU_S11_S15_S17_T6_T7_T9_mT8_S19_bDpT10_ENKUlT_T0_E_clISt17integral_constantIbLb1EES1M_EEDaS1H_S1I_EUlS1H_E_NS1_11comp_targetILNS1_3genE8ELNS1_11target_archE1030ELNS1_3gpuE2ELNS1_3repE0EEENS1_30default_config_static_selectorELNS0_4arch9wavefront6targetE1EEEvSV_.num_agpr, 0
	.set _ZN7rocprim17ROCPRIM_400000_NS6detail17trampoline_kernelINS0_13select_configILj256ELj13ELNS0_17block_load_methodE3ELS4_3ELS4_3ELNS0_20block_scan_algorithmE0ELj4294967295EEENS1_25partition_config_selectorILNS1_17partition_subalgoE3EjNS0_10empty_typeEbEEZZNS1_14partition_implILS8_3ELb0ES6_jNS0_17counting_iteratorIjlEEPS9_SE_NS0_5tupleIJPjSE_EEENSF_IJSE_SE_EEES9_SG_JZNS1_25segmented_radix_sort_implINS0_14default_configELb0EPKlPlSM_SN_N2at6native12_GLOBAL__N_18offset_tEEE10hipError_tPvRmT1_PNSt15iterator_traitsISV_E10value_typeET2_T3_PNSW_IS11_E10value_typeET4_jRbjT5_S17_jjP12ihipStream_tbEUljE_EEESS_ST_SU_S11_S15_S17_T6_T7_T9_mT8_S19_bDpT10_ENKUlT_T0_E_clISt17integral_constantIbLb1EES1M_EEDaS1H_S1I_EUlS1H_E_NS1_11comp_targetILNS1_3genE8ELNS1_11target_archE1030ELNS1_3gpuE2ELNS1_3repE0EEENS1_30default_config_static_selectorELNS0_4arch9wavefront6targetE1EEEvSV_.numbered_sgpr, 0
	.set _ZN7rocprim17ROCPRIM_400000_NS6detail17trampoline_kernelINS0_13select_configILj256ELj13ELNS0_17block_load_methodE3ELS4_3ELS4_3ELNS0_20block_scan_algorithmE0ELj4294967295EEENS1_25partition_config_selectorILNS1_17partition_subalgoE3EjNS0_10empty_typeEbEEZZNS1_14partition_implILS8_3ELb0ES6_jNS0_17counting_iteratorIjlEEPS9_SE_NS0_5tupleIJPjSE_EEENSF_IJSE_SE_EEES9_SG_JZNS1_25segmented_radix_sort_implINS0_14default_configELb0EPKlPlSM_SN_N2at6native12_GLOBAL__N_18offset_tEEE10hipError_tPvRmT1_PNSt15iterator_traitsISV_E10value_typeET2_T3_PNSW_IS11_E10value_typeET4_jRbjT5_S17_jjP12ihipStream_tbEUljE_EEESS_ST_SU_S11_S15_S17_T6_T7_T9_mT8_S19_bDpT10_ENKUlT_T0_E_clISt17integral_constantIbLb1EES1M_EEDaS1H_S1I_EUlS1H_E_NS1_11comp_targetILNS1_3genE8ELNS1_11target_archE1030ELNS1_3gpuE2ELNS1_3repE0EEENS1_30default_config_static_selectorELNS0_4arch9wavefront6targetE1EEEvSV_.num_named_barrier, 0
	.set _ZN7rocprim17ROCPRIM_400000_NS6detail17trampoline_kernelINS0_13select_configILj256ELj13ELNS0_17block_load_methodE3ELS4_3ELS4_3ELNS0_20block_scan_algorithmE0ELj4294967295EEENS1_25partition_config_selectorILNS1_17partition_subalgoE3EjNS0_10empty_typeEbEEZZNS1_14partition_implILS8_3ELb0ES6_jNS0_17counting_iteratorIjlEEPS9_SE_NS0_5tupleIJPjSE_EEENSF_IJSE_SE_EEES9_SG_JZNS1_25segmented_radix_sort_implINS0_14default_configELb0EPKlPlSM_SN_N2at6native12_GLOBAL__N_18offset_tEEE10hipError_tPvRmT1_PNSt15iterator_traitsISV_E10value_typeET2_T3_PNSW_IS11_E10value_typeET4_jRbjT5_S17_jjP12ihipStream_tbEUljE_EEESS_ST_SU_S11_S15_S17_T6_T7_T9_mT8_S19_bDpT10_ENKUlT_T0_E_clISt17integral_constantIbLb1EES1M_EEDaS1H_S1I_EUlS1H_E_NS1_11comp_targetILNS1_3genE8ELNS1_11target_archE1030ELNS1_3gpuE2ELNS1_3repE0EEENS1_30default_config_static_selectorELNS0_4arch9wavefront6targetE1EEEvSV_.private_seg_size, 0
	.set _ZN7rocprim17ROCPRIM_400000_NS6detail17trampoline_kernelINS0_13select_configILj256ELj13ELNS0_17block_load_methodE3ELS4_3ELS4_3ELNS0_20block_scan_algorithmE0ELj4294967295EEENS1_25partition_config_selectorILNS1_17partition_subalgoE3EjNS0_10empty_typeEbEEZZNS1_14partition_implILS8_3ELb0ES6_jNS0_17counting_iteratorIjlEEPS9_SE_NS0_5tupleIJPjSE_EEENSF_IJSE_SE_EEES9_SG_JZNS1_25segmented_radix_sort_implINS0_14default_configELb0EPKlPlSM_SN_N2at6native12_GLOBAL__N_18offset_tEEE10hipError_tPvRmT1_PNSt15iterator_traitsISV_E10value_typeET2_T3_PNSW_IS11_E10value_typeET4_jRbjT5_S17_jjP12ihipStream_tbEUljE_EEESS_ST_SU_S11_S15_S17_T6_T7_T9_mT8_S19_bDpT10_ENKUlT_T0_E_clISt17integral_constantIbLb1EES1M_EEDaS1H_S1I_EUlS1H_E_NS1_11comp_targetILNS1_3genE8ELNS1_11target_archE1030ELNS1_3gpuE2ELNS1_3repE0EEENS1_30default_config_static_selectorELNS0_4arch9wavefront6targetE1EEEvSV_.uses_vcc, 0
	.set _ZN7rocprim17ROCPRIM_400000_NS6detail17trampoline_kernelINS0_13select_configILj256ELj13ELNS0_17block_load_methodE3ELS4_3ELS4_3ELNS0_20block_scan_algorithmE0ELj4294967295EEENS1_25partition_config_selectorILNS1_17partition_subalgoE3EjNS0_10empty_typeEbEEZZNS1_14partition_implILS8_3ELb0ES6_jNS0_17counting_iteratorIjlEEPS9_SE_NS0_5tupleIJPjSE_EEENSF_IJSE_SE_EEES9_SG_JZNS1_25segmented_radix_sort_implINS0_14default_configELb0EPKlPlSM_SN_N2at6native12_GLOBAL__N_18offset_tEEE10hipError_tPvRmT1_PNSt15iterator_traitsISV_E10value_typeET2_T3_PNSW_IS11_E10value_typeET4_jRbjT5_S17_jjP12ihipStream_tbEUljE_EEESS_ST_SU_S11_S15_S17_T6_T7_T9_mT8_S19_bDpT10_ENKUlT_T0_E_clISt17integral_constantIbLb1EES1M_EEDaS1H_S1I_EUlS1H_E_NS1_11comp_targetILNS1_3genE8ELNS1_11target_archE1030ELNS1_3gpuE2ELNS1_3repE0EEENS1_30default_config_static_selectorELNS0_4arch9wavefront6targetE1EEEvSV_.uses_flat_scratch, 0
	.set _ZN7rocprim17ROCPRIM_400000_NS6detail17trampoline_kernelINS0_13select_configILj256ELj13ELNS0_17block_load_methodE3ELS4_3ELS4_3ELNS0_20block_scan_algorithmE0ELj4294967295EEENS1_25partition_config_selectorILNS1_17partition_subalgoE3EjNS0_10empty_typeEbEEZZNS1_14partition_implILS8_3ELb0ES6_jNS0_17counting_iteratorIjlEEPS9_SE_NS0_5tupleIJPjSE_EEENSF_IJSE_SE_EEES9_SG_JZNS1_25segmented_radix_sort_implINS0_14default_configELb0EPKlPlSM_SN_N2at6native12_GLOBAL__N_18offset_tEEE10hipError_tPvRmT1_PNSt15iterator_traitsISV_E10value_typeET2_T3_PNSW_IS11_E10value_typeET4_jRbjT5_S17_jjP12ihipStream_tbEUljE_EEESS_ST_SU_S11_S15_S17_T6_T7_T9_mT8_S19_bDpT10_ENKUlT_T0_E_clISt17integral_constantIbLb1EES1M_EEDaS1H_S1I_EUlS1H_E_NS1_11comp_targetILNS1_3genE8ELNS1_11target_archE1030ELNS1_3gpuE2ELNS1_3repE0EEENS1_30default_config_static_selectorELNS0_4arch9wavefront6targetE1EEEvSV_.has_dyn_sized_stack, 0
	.set _ZN7rocprim17ROCPRIM_400000_NS6detail17trampoline_kernelINS0_13select_configILj256ELj13ELNS0_17block_load_methodE3ELS4_3ELS4_3ELNS0_20block_scan_algorithmE0ELj4294967295EEENS1_25partition_config_selectorILNS1_17partition_subalgoE3EjNS0_10empty_typeEbEEZZNS1_14partition_implILS8_3ELb0ES6_jNS0_17counting_iteratorIjlEEPS9_SE_NS0_5tupleIJPjSE_EEENSF_IJSE_SE_EEES9_SG_JZNS1_25segmented_radix_sort_implINS0_14default_configELb0EPKlPlSM_SN_N2at6native12_GLOBAL__N_18offset_tEEE10hipError_tPvRmT1_PNSt15iterator_traitsISV_E10value_typeET2_T3_PNSW_IS11_E10value_typeET4_jRbjT5_S17_jjP12ihipStream_tbEUljE_EEESS_ST_SU_S11_S15_S17_T6_T7_T9_mT8_S19_bDpT10_ENKUlT_T0_E_clISt17integral_constantIbLb1EES1M_EEDaS1H_S1I_EUlS1H_E_NS1_11comp_targetILNS1_3genE8ELNS1_11target_archE1030ELNS1_3gpuE2ELNS1_3repE0EEENS1_30default_config_static_selectorELNS0_4arch9wavefront6targetE1EEEvSV_.has_recursion, 0
	.set _ZN7rocprim17ROCPRIM_400000_NS6detail17trampoline_kernelINS0_13select_configILj256ELj13ELNS0_17block_load_methodE3ELS4_3ELS4_3ELNS0_20block_scan_algorithmE0ELj4294967295EEENS1_25partition_config_selectorILNS1_17partition_subalgoE3EjNS0_10empty_typeEbEEZZNS1_14partition_implILS8_3ELb0ES6_jNS0_17counting_iteratorIjlEEPS9_SE_NS0_5tupleIJPjSE_EEENSF_IJSE_SE_EEES9_SG_JZNS1_25segmented_radix_sort_implINS0_14default_configELb0EPKlPlSM_SN_N2at6native12_GLOBAL__N_18offset_tEEE10hipError_tPvRmT1_PNSt15iterator_traitsISV_E10value_typeET2_T3_PNSW_IS11_E10value_typeET4_jRbjT5_S17_jjP12ihipStream_tbEUljE_EEESS_ST_SU_S11_S15_S17_T6_T7_T9_mT8_S19_bDpT10_ENKUlT_T0_E_clISt17integral_constantIbLb1EES1M_EEDaS1H_S1I_EUlS1H_E_NS1_11comp_targetILNS1_3genE8ELNS1_11target_archE1030ELNS1_3gpuE2ELNS1_3repE0EEENS1_30default_config_static_selectorELNS0_4arch9wavefront6targetE1EEEvSV_.has_indirect_call, 0
	.section	.AMDGPU.csdata,"",@progbits
; Kernel info:
; codeLenInByte = 0
; TotalNumSgprs: 4
; NumVgprs: 0
; ScratchSize: 0
; MemoryBound: 0
; FloatMode: 240
; IeeeMode: 1
; LDSByteSize: 0 bytes/workgroup (compile time only)
; SGPRBlocks: 0
; VGPRBlocks: 0
; NumSGPRsForWavesPerEU: 4
; NumVGPRsForWavesPerEU: 1
; Occupancy: 10
; WaveLimiterHint : 0
; COMPUTE_PGM_RSRC2:SCRATCH_EN: 0
; COMPUTE_PGM_RSRC2:USER_SGPR: 6
; COMPUTE_PGM_RSRC2:TRAP_HANDLER: 0
; COMPUTE_PGM_RSRC2:TGID_X_EN: 1
; COMPUTE_PGM_RSRC2:TGID_Y_EN: 0
; COMPUTE_PGM_RSRC2:TGID_Z_EN: 0
; COMPUTE_PGM_RSRC2:TIDIG_COMP_CNT: 0
	.section	.text._ZN7rocprim17ROCPRIM_400000_NS6detail17trampoline_kernelINS0_13select_configILj256ELj13ELNS0_17block_load_methodE3ELS4_3ELS4_3ELNS0_20block_scan_algorithmE0ELj4294967295EEENS1_25partition_config_selectorILNS1_17partition_subalgoE3EjNS0_10empty_typeEbEEZZNS1_14partition_implILS8_3ELb0ES6_jNS0_17counting_iteratorIjlEEPS9_SE_NS0_5tupleIJPjSE_EEENSF_IJSE_SE_EEES9_SG_JZNS1_25segmented_radix_sort_implINS0_14default_configELb0EPKlPlSM_SN_N2at6native12_GLOBAL__N_18offset_tEEE10hipError_tPvRmT1_PNSt15iterator_traitsISV_E10value_typeET2_T3_PNSW_IS11_E10value_typeET4_jRbjT5_S17_jjP12ihipStream_tbEUljE_EEESS_ST_SU_S11_S15_S17_T6_T7_T9_mT8_S19_bDpT10_ENKUlT_T0_E_clISt17integral_constantIbLb1EES1L_IbLb0EEEEDaS1H_S1I_EUlS1H_E_NS1_11comp_targetILNS1_3genE0ELNS1_11target_archE4294967295ELNS1_3gpuE0ELNS1_3repE0EEENS1_30default_config_static_selectorELNS0_4arch9wavefront6targetE1EEEvSV_,"axG",@progbits,_ZN7rocprim17ROCPRIM_400000_NS6detail17trampoline_kernelINS0_13select_configILj256ELj13ELNS0_17block_load_methodE3ELS4_3ELS4_3ELNS0_20block_scan_algorithmE0ELj4294967295EEENS1_25partition_config_selectorILNS1_17partition_subalgoE3EjNS0_10empty_typeEbEEZZNS1_14partition_implILS8_3ELb0ES6_jNS0_17counting_iteratorIjlEEPS9_SE_NS0_5tupleIJPjSE_EEENSF_IJSE_SE_EEES9_SG_JZNS1_25segmented_radix_sort_implINS0_14default_configELb0EPKlPlSM_SN_N2at6native12_GLOBAL__N_18offset_tEEE10hipError_tPvRmT1_PNSt15iterator_traitsISV_E10value_typeET2_T3_PNSW_IS11_E10value_typeET4_jRbjT5_S17_jjP12ihipStream_tbEUljE_EEESS_ST_SU_S11_S15_S17_T6_T7_T9_mT8_S19_bDpT10_ENKUlT_T0_E_clISt17integral_constantIbLb1EES1L_IbLb0EEEEDaS1H_S1I_EUlS1H_E_NS1_11comp_targetILNS1_3genE0ELNS1_11target_archE4294967295ELNS1_3gpuE0ELNS1_3repE0EEENS1_30default_config_static_selectorELNS0_4arch9wavefront6targetE1EEEvSV_,comdat
	.globl	_ZN7rocprim17ROCPRIM_400000_NS6detail17trampoline_kernelINS0_13select_configILj256ELj13ELNS0_17block_load_methodE3ELS4_3ELS4_3ELNS0_20block_scan_algorithmE0ELj4294967295EEENS1_25partition_config_selectorILNS1_17partition_subalgoE3EjNS0_10empty_typeEbEEZZNS1_14partition_implILS8_3ELb0ES6_jNS0_17counting_iteratorIjlEEPS9_SE_NS0_5tupleIJPjSE_EEENSF_IJSE_SE_EEES9_SG_JZNS1_25segmented_radix_sort_implINS0_14default_configELb0EPKlPlSM_SN_N2at6native12_GLOBAL__N_18offset_tEEE10hipError_tPvRmT1_PNSt15iterator_traitsISV_E10value_typeET2_T3_PNSW_IS11_E10value_typeET4_jRbjT5_S17_jjP12ihipStream_tbEUljE_EEESS_ST_SU_S11_S15_S17_T6_T7_T9_mT8_S19_bDpT10_ENKUlT_T0_E_clISt17integral_constantIbLb1EES1L_IbLb0EEEEDaS1H_S1I_EUlS1H_E_NS1_11comp_targetILNS1_3genE0ELNS1_11target_archE4294967295ELNS1_3gpuE0ELNS1_3repE0EEENS1_30default_config_static_selectorELNS0_4arch9wavefront6targetE1EEEvSV_ ; -- Begin function _ZN7rocprim17ROCPRIM_400000_NS6detail17trampoline_kernelINS0_13select_configILj256ELj13ELNS0_17block_load_methodE3ELS4_3ELS4_3ELNS0_20block_scan_algorithmE0ELj4294967295EEENS1_25partition_config_selectorILNS1_17partition_subalgoE3EjNS0_10empty_typeEbEEZZNS1_14partition_implILS8_3ELb0ES6_jNS0_17counting_iteratorIjlEEPS9_SE_NS0_5tupleIJPjSE_EEENSF_IJSE_SE_EEES9_SG_JZNS1_25segmented_radix_sort_implINS0_14default_configELb0EPKlPlSM_SN_N2at6native12_GLOBAL__N_18offset_tEEE10hipError_tPvRmT1_PNSt15iterator_traitsISV_E10value_typeET2_T3_PNSW_IS11_E10value_typeET4_jRbjT5_S17_jjP12ihipStream_tbEUljE_EEESS_ST_SU_S11_S15_S17_T6_T7_T9_mT8_S19_bDpT10_ENKUlT_T0_E_clISt17integral_constantIbLb1EES1L_IbLb0EEEEDaS1H_S1I_EUlS1H_E_NS1_11comp_targetILNS1_3genE0ELNS1_11target_archE4294967295ELNS1_3gpuE0ELNS1_3repE0EEENS1_30default_config_static_selectorELNS0_4arch9wavefront6targetE1EEEvSV_
	.p2align	8
	.type	_ZN7rocprim17ROCPRIM_400000_NS6detail17trampoline_kernelINS0_13select_configILj256ELj13ELNS0_17block_load_methodE3ELS4_3ELS4_3ELNS0_20block_scan_algorithmE0ELj4294967295EEENS1_25partition_config_selectorILNS1_17partition_subalgoE3EjNS0_10empty_typeEbEEZZNS1_14partition_implILS8_3ELb0ES6_jNS0_17counting_iteratorIjlEEPS9_SE_NS0_5tupleIJPjSE_EEENSF_IJSE_SE_EEES9_SG_JZNS1_25segmented_radix_sort_implINS0_14default_configELb0EPKlPlSM_SN_N2at6native12_GLOBAL__N_18offset_tEEE10hipError_tPvRmT1_PNSt15iterator_traitsISV_E10value_typeET2_T3_PNSW_IS11_E10value_typeET4_jRbjT5_S17_jjP12ihipStream_tbEUljE_EEESS_ST_SU_S11_S15_S17_T6_T7_T9_mT8_S19_bDpT10_ENKUlT_T0_E_clISt17integral_constantIbLb1EES1L_IbLb0EEEEDaS1H_S1I_EUlS1H_E_NS1_11comp_targetILNS1_3genE0ELNS1_11target_archE4294967295ELNS1_3gpuE0ELNS1_3repE0EEENS1_30default_config_static_selectorELNS0_4arch9wavefront6targetE1EEEvSV_,@function
_ZN7rocprim17ROCPRIM_400000_NS6detail17trampoline_kernelINS0_13select_configILj256ELj13ELNS0_17block_load_methodE3ELS4_3ELS4_3ELNS0_20block_scan_algorithmE0ELj4294967295EEENS1_25partition_config_selectorILNS1_17partition_subalgoE3EjNS0_10empty_typeEbEEZZNS1_14partition_implILS8_3ELb0ES6_jNS0_17counting_iteratorIjlEEPS9_SE_NS0_5tupleIJPjSE_EEENSF_IJSE_SE_EEES9_SG_JZNS1_25segmented_radix_sort_implINS0_14default_configELb0EPKlPlSM_SN_N2at6native12_GLOBAL__N_18offset_tEEE10hipError_tPvRmT1_PNSt15iterator_traitsISV_E10value_typeET2_T3_PNSW_IS11_E10value_typeET4_jRbjT5_S17_jjP12ihipStream_tbEUljE_EEESS_ST_SU_S11_S15_S17_T6_T7_T9_mT8_S19_bDpT10_ENKUlT_T0_E_clISt17integral_constantIbLb1EES1L_IbLb0EEEEDaS1H_S1I_EUlS1H_E_NS1_11comp_targetILNS1_3genE0ELNS1_11target_archE4294967295ELNS1_3gpuE0ELNS1_3repE0EEENS1_30default_config_static_selectorELNS0_4arch9wavefront6targetE1EEEvSV_: ; @_ZN7rocprim17ROCPRIM_400000_NS6detail17trampoline_kernelINS0_13select_configILj256ELj13ELNS0_17block_load_methodE3ELS4_3ELS4_3ELNS0_20block_scan_algorithmE0ELj4294967295EEENS1_25partition_config_selectorILNS1_17partition_subalgoE3EjNS0_10empty_typeEbEEZZNS1_14partition_implILS8_3ELb0ES6_jNS0_17counting_iteratorIjlEEPS9_SE_NS0_5tupleIJPjSE_EEENSF_IJSE_SE_EEES9_SG_JZNS1_25segmented_radix_sort_implINS0_14default_configELb0EPKlPlSM_SN_N2at6native12_GLOBAL__N_18offset_tEEE10hipError_tPvRmT1_PNSt15iterator_traitsISV_E10value_typeET2_T3_PNSW_IS11_E10value_typeET4_jRbjT5_S17_jjP12ihipStream_tbEUljE_EEESS_ST_SU_S11_S15_S17_T6_T7_T9_mT8_S19_bDpT10_ENKUlT_T0_E_clISt17integral_constantIbLb1EES1L_IbLb0EEEEDaS1H_S1I_EUlS1H_E_NS1_11comp_targetILNS1_3genE0ELNS1_11target_archE4294967295ELNS1_3gpuE0ELNS1_3repE0EEENS1_30default_config_static_selectorELNS0_4arch9wavefront6targetE1EEEvSV_
; %bb.0:
	.section	.rodata,"a",@progbits
	.p2align	6, 0x0
	.amdhsa_kernel _ZN7rocprim17ROCPRIM_400000_NS6detail17trampoline_kernelINS0_13select_configILj256ELj13ELNS0_17block_load_methodE3ELS4_3ELS4_3ELNS0_20block_scan_algorithmE0ELj4294967295EEENS1_25partition_config_selectorILNS1_17partition_subalgoE3EjNS0_10empty_typeEbEEZZNS1_14partition_implILS8_3ELb0ES6_jNS0_17counting_iteratorIjlEEPS9_SE_NS0_5tupleIJPjSE_EEENSF_IJSE_SE_EEES9_SG_JZNS1_25segmented_radix_sort_implINS0_14default_configELb0EPKlPlSM_SN_N2at6native12_GLOBAL__N_18offset_tEEE10hipError_tPvRmT1_PNSt15iterator_traitsISV_E10value_typeET2_T3_PNSW_IS11_E10value_typeET4_jRbjT5_S17_jjP12ihipStream_tbEUljE_EEESS_ST_SU_S11_S15_S17_T6_T7_T9_mT8_S19_bDpT10_ENKUlT_T0_E_clISt17integral_constantIbLb1EES1L_IbLb0EEEEDaS1H_S1I_EUlS1H_E_NS1_11comp_targetILNS1_3genE0ELNS1_11target_archE4294967295ELNS1_3gpuE0ELNS1_3repE0EEENS1_30default_config_static_selectorELNS0_4arch9wavefront6targetE1EEEvSV_
		.amdhsa_group_segment_fixed_size 0
		.amdhsa_private_segment_fixed_size 0
		.amdhsa_kernarg_size 144
		.amdhsa_user_sgpr_count 6
		.amdhsa_user_sgpr_private_segment_buffer 1
		.amdhsa_user_sgpr_dispatch_ptr 0
		.amdhsa_user_sgpr_queue_ptr 0
		.amdhsa_user_sgpr_kernarg_segment_ptr 1
		.amdhsa_user_sgpr_dispatch_id 0
		.amdhsa_user_sgpr_flat_scratch_init 0
		.amdhsa_user_sgpr_private_segment_size 0
		.amdhsa_uses_dynamic_stack 0
		.amdhsa_system_sgpr_private_segment_wavefront_offset 0
		.amdhsa_system_sgpr_workgroup_id_x 1
		.amdhsa_system_sgpr_workgroup_id_y 0
		.amdhsa_system_sgpr_workgroup_id_z 0
		.amdhsa_system_sgpr_workgroup_info 0
		.amdhsa_system_vgpr_workitem_id 0
		.amdhsa_next_free_vgpr 1
		.amdhsa_next_free_sgpr 0
		.amdhsa_reserve_vcc 0
		.amdhsa_reserve_flat_scratch 0
		.amdhsa_float_round_mode_32 0
		.amdhsa_float_round_mode_16_64 0
		.amdhsa_float_denorm_mode_32 3
		.amdhsa_float_denorm_mode_16_64 3
		.amdhsa_dx10_clamp 1
		.amdhsa_ieee_mode 1
		.amdhsa_fp16_overflow 0
		.amdhsa_exception_fp_ieee_invalid_op 0
		.amdhsa_exception_fp_denorm_src 0
		.amdhsa_exception_fp_ieee_div_zero 0
		.amdhsa_exception_fp_ieee_overflow 0
		.amdhsa_exception_fp_ieee_underflow 0
		.amdhsa_exception_fp_ieee_inexact 0
		.amdhsa_exception_int_div_zero 0
	.end_amdhsa_kernel
	.section	.text._ZN7rocprim17ROCPRIM_400000_NS6detail17trampoline_kernelINS0_13select_configILj256ELj13ELNS0_17block_load_methodE3ELS4_3ELS4_3ELNS0_20block_scan_algorithmE0ELj4294967295EEENS1_25partition_config_selectorILNS1_17partition_subalgoE3EjNS0_10empty_typeEbEEZZNS1_14partition_implILS8_3ELb0ES6_jNS0_17counting_iteratorIjlEEPS9_SE_NS0_5tupleIJPjSE_EEENSF_IJSE_SE_EEES9_SG_JZNS1_25segmented_radix_sort_implINS0_14default_configELb0EPKlPlSM_SN_N2at6native12_GLOBAL__N_18offset_tEEE10hipError_tPvRmT1_PNSt15iterator_traitsISV_E10value_typeET2_T3_PNSW_IS11_E10value_typeET4_jRbjT5_S17_jjP12ihipStream_tbEUljE_EEESS_ST_SU_S11_S15_S17_T6_T7_T9_mT8_S19_bDpT10_ENKUlT_T0_E_clISt17integral_constantIbLb1EES1L_IbLb0EEEEDaS1H_S1I_EUlS1H_E_NS1_11comp_targetILNS1_3genE0ELNS1_11target_archE4294967295ELNS1_3gpuE0ELNS1_3repE0EEENS1_30default_config_static_selectorELNS0_4arch9wavefront6targetE1EEEvSV_,"axG",@progbits,_ZN7rocprim17ROCPRIM_400000_NS6detail17trampoline_kernelINS0_13select_configILj256ELj13ELNS0_17block_load_methodE3ELS4_3ELS4_3ELNS0_20block_scan_algorithmE0ELj4294967295EEENS1_25partition_config_selectorILNS1_17partition_subalgoE3EjNS0_10empty_typeEbEEZZNS1_14partition_implILS8_3ELb0ES6_jNS0_17counting_iteratorIjlEEPS9_SE_NS0_5tupleIJPjSE_EEENSF_IJSE_SE_EEES9_SG_JZNS1_25segmented_radix_sort_implINS0_14default_configELb0EPKlPlSM_SN_N2at6native12_GLOBAL__N_18offset_tEEE10hipError_tPvRmT1_PNSt15iterator_traitsISV_E10value_typeET2_T3_PNSW_IS11_E10value_typeET4_jRbjT5_S17_jjP12ihipStream_tbEUljE_EEESS_ST_SU_S11_S15_S17_T6_T7_T9_mT8_S19_bDpT10_ENKUlT_T0_E_clISt17integral_constantIbLb1EES1L_IbLb0EEEEDaS1H_S1I_EUlS1H_E_NS1_11comp_targetILNS1_3genE0ELNS1_11target_archE4294967295ELNS1_3gpuE0ELNS1_3repE0EEENS1_30default_config_static_selectorELNS0_4arch9wavefront6targetE1EEEvSV_,comdat
.Lfunc_end791:
	.size	_ZN7rocprim17ROCPRIM_400000_NS6detail17trampoline_kernelINS0_13select_configILj256ELj13ELNS0_17block_load_methodE3ELS4_3ELS4_3ELNS0_20block_scan_algorithmE0ELj4294967295EEENS1_25partition_config_selectorILNS1_17partition_subalgoE3EjNS0_10empty_typeEbEEZZNS1_14partition_implILS8_3ELb0ES6_jNS0_17counting_iteratorIjlEEPS9_SE_NS0_5tupleIJPjSE_EEENSF_IJSE_SE_EEES9_SG_JZNS1_25segmented_radix_sort_implINS0_14default_configELb0EPKlPlSM_SN_N2at6native12_GLOBAL__N_18offset_tEEE10hipError_tPvRmT1_PNSt15iterator_traitsISV_E10value_typeET2_T3_PNSW_IS11_E10value_typeET4_jRbjT5_S17_jjP12ihipStream_tbEUljE_EEESS_ST_SU_S11_S15_S17_T6_T7_T9_mT8_S19_bDpT10_ENKUlT_T0_E_clISt17integral_constantIbLb1EES1L_IbLb0EEEEDaS1H_S1I_EUlS1H_E_NS1_11comp_targetILNS1_3genE0ELNS1_11target_archE4294967295ELNS1_3gpuE0ELNS1_3repE0EEENS1_30default_config_static_selectorELNS0_4arch9wavefront6targetE1EEEvSV_, .Lfunc_end791-_ZN7rocprim17ROCPRIM_400000_NS6detail17trampoline_kernelINS0_13select_configILj256ELj13ELNS0_17block_load_methodE3ELS4_3ELS4_3ELNS0_20block_scan_algorithmE0ELj4294967295EEENS1_25partition_config_selectorILNS1_17partition_subalgoE3EjNS0_10empty_typeEbEEZZNS1_14partition_implILS8_3ELb0ES6_jNS0_17counting_iteratorIjlEEPS9_SE_NS0_5tupleIJPjSE_EEENSF_IJSE_SE_EEES9_SG_JZNS1_25segmented_radix_sort_implINS0_14default_configELb0EPKlPlSM_SN_N2at6native12_GLOBAL__N_18offset_tEEE10hipError_tPvRmT1_PNSt15iterator_traitsISV_E10value_typeET2_T3_PNSW_IS11_E10value_typeET4_jRbjT5_S17_jjP12ihipStream_tbEUljE_EEESS_ST_SU_S11_S15_S17_T6_T7_T9_mT8_S19_bDpT10_ENKUlT_T0_E_clISt17integral_constantIbLb1EES1L_IbLb0EEEEDaS1H_S1I_EUlS1H_E_NS1_11comp_targetILNS1_3genE0ELNS1_11target_archE4294967295ELNS1_3gpuE0ELNS1_3repE0EEENS1_30default_config_static_selectorELNS0_4arch9wavefront6targetE1EEEvSV_
                                        ; -- End function
	.set _ZN7rocprim17ROCPRIM_400000_NS6detail17trampoline_kernelINS0_13select_configILj256ELj13ELNS0_17block_load_methodE3ELS4_3ELS4_3ELNS0_20block_scan_algorithmE0ELj4294967295EEENS1_25partition_config_selectorILNS1_17partition_subalgoE3EjNS0_10empty_typeEbEEZZNS1_14partition_implILS8_3ELb0ES6_jNS0_17counting_iteratorIjlEEPS9_SE_NS0_5tupleIJPjSE_EEENSF_IJSE_SE_EEES9_SG_JZNS1_25segmented_radix_sort_implINS0_14default_configELb0EPKlPlSM_SN_N2at6native12_GLOBAL__N_18offset_tEEE10hipError_tPvRmT1_PNSt15iterator_traitsISV_E10value_typeET2_T3_PNSW_IS11_E10value_typeET4_jRbjT5_S17_jjP12ihipStream_tbEUljE_EEESS_ST_SU_S11_S15_S17_T6_T7_T9_mT8_S19_bDpT10_ENKUlT_T0_E_clISt17integral_constantIbLb1EES1L_IbLb0EEEEDaS1H_S1I_EUlS1H_E_NS1_11comp_targetILNS1_3genE0ELNS1_11target_archE4294967295ELNS1_3gpuE0ELNS1_3repE0EEENS1_30default_config_static_selectorELNS0_4arch9wavefront6targetE1EEEvSV_.num_vgpr, 0
	.set _ZN7rocprim17ROCPRIM_400000_NS6detail17trampoline_kernelINS0_13select_configILj256ELj13ELNS0_17block_load_methodE3ELS4_3ELS4_3ELNS0_20block_scan_algorithmE0ELj4294967295EEENS1_25partition_config_selectorILNS1_17partition_subalgoE3EjNS0_10empty_typeEbEEZZNS1_14partition_implILS8_3ELb0ES6_jNS0_17counting_iteratorIjlEEPS9_SE_NS0_5tupleIJPjSE_EEENSF_IJSE_SE_EEES9_SG_JZNS1_25segmented_radix_sort_implINS0_14default_configELb0EPKlPlSM_SN_N2at6native12_GLOBAL__N_18offset_tEEE10hipError_tPvRmT1_PNSt15iterator_traitsISV_E10value_typeET2_T3_PNSW_IS11_E10value_typeET4_jRbjT5_S17_jjP12ihipStream_tbEUljE_EEESS_ST_SU_S11_S15_S17_T6_T7_T9_mT8_S19_bDpT10_ENKUlT_T0_E_clISt17integral_constantIbLb1EES1L_IbLb0EEEEDaS1H_S1I_EUlS1H_E_NS1_11comp_targetILNS1_3genE0ELNS1_11target_archE4294967295ELNS1_3gpuE0ELNS1_3repE0EEENS1_30default_config_static_selectorELNS0_4arch9wavefront6targetE1EEEvSV_.num_agpr, 0
	.set _ZN7rocprim17ROCPRIM_400000_NS6detail17trampoline_kernelINS0_13select_configILj256ELj13ELNS0_17block_load_methodE3ELS4_3ELS4_3ELNS0_20block_scan_algorithmE0ELj4294967295EEENS1_25partition_config_selectorILNS1_17partition_subalgoE3EjNS0_10empty_typeEbEEZZNS1_14partition_implILS8_3ELb0ES6_jNS0_17counting_iteratorIjlEEPS9_SE_NS0_5tupleIJPjSE_EEENSF_IJSE_SE_EEES9_SG_JZNS1_25segmented_radix_sort_implINS0_14default_configELb0EPKlPlSM_SN_N2at6native12_GLOBAL__N_18offset_tEEE10hipError_tPvRmT1_PNSt15iterator_traitsISV_E10value_typeET2_T3_PNSW_IS11_E10value_typeET4_jRbjT5_S17_jjP12ihipStream_tbEUljE_EEESS_ST_SU_S11_S15_S17_T6_T7_T9_mT8_S19_bDpT10_ENKUlT_T0_E_clISt17integral_constantIbLb1EES1L_IbLb0EEEEDaS1H_S1I_EUlS1H_E_NS1_11comp_targetILNS1_3genE0ELNS1_11target_archE4294967295ELNS1_3gpuE0ELNS1_3repE0EEENS1_30default_config_static_selectorELNS0_4arch9wavefront6targetE1EEEvSV_.numbered_sgpr, 0
	.set _ZN7rocprim17ROCPRIM_400000_NS6detail17trampoline_kernelINS0_13select_configILj256ELj13ELNS0_17block_load_methodE3ELS4_3ELS4_3ELNS0_20block_scan_algorithmE0ELj4294967295EEENS1_25partition_config_selectorILNS1_17partition_subalgoE3EjNS0_10empty_typeEbEEZZNS1_14partition_implILS8_3ELb0ES6_jNS0_17counting_iteratorIjlEEPS9_SE_NS0_5tupleIJPjSE_EEENSF_IJSE_SE_EEES9_SG_JZNS1_25segmented_radix_sort_implINS0_14default_configELb0EPKlPlSM_SN_N2at6native12_GLOBAL__N_18offset_tEEE10hipError_tPvRmT1_PNSt15iterator_traitsISV_E10value_typeET2_T3_PNSW_IS11_E10value_typeET4_jRbjT5_S17_jjP12ihipStream_tbEUljE_EEESS_ST_SU_S11_S15_S17_T6_T7_T9_mT8_S19_bDpT10_ENKUlT_T0_E_clISt17integral_constantIbLb1EES1L_IbLb0EEEEDaS1H_S1I_EUlS1H_E_NS1_11comp_targetILNS1_3genE0ELNS1_11target_archE4294967295ELNS1_3gpuE0ELNS1_3repE0EEENS1_30default_config_static_selectorELNS0_4arch9wavefront6targetE1EEEvSV_.num_named_barrier, 0
	.set _ZN7rocprim17ROCPRIM_400000_NS6detail17trampoline_kernelINS0_13select_configILj256ELj13ELNS0_17block_load_methodE3ELS4_3ELS4_3ELNS0_20block_scan_algorithmE0ELj4294967295EEENS1_25partition_config_selectorILNS1_17partition_subalgoE3EjNS0_10empty_typeEbEEZZNS1_14partition_implILS8_3ELb0ES6_jNS0_17counting_iteratorIjlEEPS9_SE_NS0_5tupleIJPjSE_EEENSF_IJSE_SE_EEES9_SG_JZNS1_25segmented_radix_sort_implINS0_14default_configELb0EPKlPlSM_SN_N2at6native12_GLOBAL__N_18offset_tEEE10hipError_tPvRmT1_PNSt15iterator_traitsISV_E10value_typeET2_T3_PNSW_IS11_E10value_typeET4_jRbjT5_S17_jjP12ihipStream_tbEUljE_EEESS_ST_SU_S11_S15_S17_T6_T7_T9_mT8_S19_bDpT10_ENKUlT_T0_E_clISt17integral_constantIbLb1EES1L_IbLb0EEEEDaS1H_S1I_EUlS1H_E_NS1_11comp_targetILNS1_3genE0ELNS1_11target_archE4294967295ELNS1_3gpuE0ELNS1_3repE0EEENS1_30default_config_static_selectorELNS0_4arch9wavefront6targetE1EEEvSV_.private_seg_size, 0
	.set _ZN7rocprim17ROCPRIM_400000_NS6detail17trampoline_kernelINS0_13select_configILj256ELj13ELNS0_17block_load_methodE3ELS4_3ELS4_3ELNS0_20block_scan_algorithmE0ELj4294967295EEENS1_25partition_config_selectorILNS1_17partition_subalgoE3EjNS0_10empty_typeEbEEZZNS1_14partition_implILS8_3ELb0ES6_jNS0_17counting_iteratorIjlEEPS9_SE_NS0_5tupleIJPjSE_EEENSF_IJSE_SE_EEES9_SG_JZNS1_25segmented_radix_sort_implINS0_14default_configELb0EPKlPlSM_SN_N2at6native12_GLOBAL__N_18offset_tEEE10hipError_tPvRmT1_PNSt15iterator_traitsISV_E10value_typeET2_T3_PNSW_IS11_E10value_typeET4_jRbjT5_S17_jjP12ihipStream_tbEUljE_EEESS_ST_SU_S11_S15_S17_T6_T7_T9_mT8_S19_bDpT10_ENKUlT_T0_E_clISt17integral_constantIbLb1EES1L_IbLb0EEEEDaS1H_S1I_EUlS1H_E_NS1_11comp_targetILNS1_3genE0ELNS1_11target_archE4294967295ELNS1_3gpuE0ELNS1_3repE0EEENS1_30default_config_static_selectorELNS0_4arch9wavefront6targetE1EEEvSV_.uses_vcc, 0
	.set _ZN7rocprim17ROCPRIM_400000_NS6detail17trampoline_kernelINS0_13select_configILj256ELj13ELNS0_17block_load_methodE3ELS4_3ELS4_3ELNS0_20block_scan_algorithmE0ELj4294967295EEENS1_25partition_config_selectorILNS1_17partition_subalgoE3EjNS0_10empty_typeEbEEZZNS1_14partition_implILS8_3ELb0ES6_jNS0_17counting_iteratorIjlEEPS9_SE_NS0_5tupleIJPjSE_EEENSF_IJSE_SE_EEES9_SG_JZNS1_25segmented_radix_sort_implINS0_14default_configELb0EPKlPlSM_SN_N2at6native12_GLOBAL__N_18offset_tEEE10hipError_tPvRmT1_PNSt15iterator_traitsISV_E10value_typeET2_T3_PNSW_IS11_E10value_typeET4_jRbjT5_S17_jjP12ihipStream_tbEUljE_EEESS_ST_SU_S11_S15_S17_T6_T7_T9_mT8_S19_bDpT10_ENKUlT_T0_E_clISt17integral_constantIbLb1EES1L_IbLb0EEEEDaS1H_S1I_EUlS1H_E_NS1_11comp_targetILNS1_3genE0ELNS1_11target_archE4294967295ELNS1_3gpuE0ELNS1_3repE0EEENS1_30default_config_static_selectorELNS0_4arch9wavefront6targetE1EEEvSV_.uses_flat_scratch, 0
	.set _ZN7rocprim17ROCPRIM_400000_NS6detail17trampoline_kernelINS0_13select_configILj256ELj13ELNS0_17block_load_methodE3ELS4_3ELS4_3ELNS0_20block_scan_algorithmE0ELj4294967295EEENS1_25partition_config_selectorILNS1_17partition_subalgoE3EjNS0_10empty_typeEbEEZZNS1_14partition_implILS8_3ELb0ES6_jNS0_17counting_iteratorIjlEEPS9_SE_NS0_5tupleIJPjSE_EEENSF_IJSE_SE_EEES9_SG_JZNS1_25segmented_radix_sort_implINS0_14default_configELb0EPKlPlSM_SN_N2at6native12_GLOBAL__N_18offset_tEEE10hipError_tPvRmT1_PNSt15iterator_traitsISV_E10value_typeET2_T3_PNSW_IS11_E10value_typeET4_jRbjT5_S17_jjP12ihipStream_tbEUljE_EEESS_ST_SU_S11_S15_S17_T6_T7_T9_mT8_S19_bDpT10_ENKUlT_T0_E_clISt17integral_constantIbLb1EES1L_IbLb0EEEEDaS1H_S1I_EUlS1H_E_NS1_11comp_targetILNS1_3genE0ELNS1_11target_archE4294967295ELNS1_3gpuE0ELNS1_3repE0EEENS1_30default_config_static_selectorELNS0_4arch9wavefront6targetE1EEEvSV_.has_dyn_sized_stack, 0
	.set _ZN7rocprim17ROCPRIM_400000_NS6detail17trampoline_kernelINS0_13select_configILj256ELj13ELNS0_17block_load_methodE3ELS4_3ELS4_3ELNS0_20block_scan_algorithmE0ELj4294967295EEENS1_25partition_config_selectorILNS1_17partition_subalgoE3EjNS0_10empty_typeEbEEZZNS1_14partition_implILS8_3ELb0ES6_jNS0_17counting_iteratorIjlEEPS9_SE_NS0_5tupleIJPjSE_EEENSF_IJSE_SE_EEES9_SG_JZNS1_25segmented_radix_sort_implINS0_14default_configELb0EPKlPlSM_SN_N2at6native12_GLOBAL__N_18offset_tEEE10hipError_tPvRmT1_PNSt15iterator_traitsISV_E10value_typeET2_T3_PNSW_IS11_E10value_typeET4_jRbjT5_S17_jjP12ihipStream_tbEUljE_EEESS_ST_SU_S11_S15_S17_T6_T7_T9_mT8_S19_bDpT10_ENKUlT_T0_E_clISt17integral_constantIbLb1EES1L_IbLb0EEEEDaS1H_S1I_EUlS1H_E_NS1_11comp_targetILNS1_3genE0ELNS1_11target_archE4294967295ELNS1_3gpuE0ELNS1_3repE0EEENS1_30default_config_static_selectorELNS0_4arch9wavefront6targetE1EEEvSV_.has_recursion, 0
	.set _ZN7rocprim17ROCPRIM_400000_NS6detail17trampoline_kernelINS0_13select_configILj256ELj13ELNS0_17block_load_methodE3ELS4_3ELS4_3ELNS0_20block_scan_algorithmE0ELj4294967295EEENS1_25partition_config_selectorILNS1_17partition_subalgoE3EjNS0_10empty_typeEbEEZZNS1_14partition_implILS8_3ELb0ES6_jNS0_17counting_iteratorIjlEEPS9_SE_NS0_5tupleIJPjSE_EEENSF_IJSE_SE_EEES9_SG_JZNS1_25segmented_radix_sort_implINS0_14default_configELb0EPKlPlSM_SN_N2at6native12_GLOBAL__N_18offset_tEEE10hipError_tPvRmT1_PNSt15iterator_traitsISV_E10value_typeET2_T3_PNSW_IS11_E10value_typeET4_jRbjT5_S17_jjP12ihipStream_tbEUljE_EEESS_ST_SU_S11_S15_S17_T6_T7_T9_mT8_S19_bDpT10_ENKUlT_T0_E_clISt17integral_constantIbLb1EES1L_IbLb0EEEEDaS1H_S1I_EUlS1H_E_NS1_11comp_targetILNS1_3genE0ELNS1_11target_archE4294967295ELNS1_3gpuE0ELNS1_3repE0EEENS1_30default_config_static_selectorELNS0_4arch9wavefront6targetE1EEEvSV_.has_indirect_call, 0
	.section	.AMDGPU.csdata,"",@progbits
; Kernel info:
; codeLenInByte = 0
; TotalNumSgprs: 4
; NumVgprs: 0
; ScratchSize: 0
; MemoryBound: 0
; FloatMode: 240
; IeeeMode: 1
; LDSByteSize: 0 bytes/workgroup (compile time only)
; SGPRBlocks: 0
; VGPRBlocks: 0
; NumSGPRsForWavesPerEU: 4
; NumVGPRsForWavesPerEU: 1
; Occupancy: 10
; WaveLimiterHint : 0
; COMPUTE_PGM_RSRC2:SCRATCH_EN: 0
; COMPUTE_PGM_RSRC2:USER_SGPR: 6
; COMPUTE_PGM_RSRC2:TRAP_HANDLER: 0
; COMPUTE_PGM_RSRC2:TGID_X_EN: 1
; COMPUTE_PGM_RSRC2:TGID_Y_EN: 0
; COMPUTE_PGM_RSRC2:TGID_Z_EN: 0
; COMPUTE_PGM_RSRC2:TIDIG_COMP_CNT: 0
	.section	.text._ZN7rocprim17ROCPRIM_400000_NS6detail17trampoline_kernelINS0_13select_configILj256ELj13ELNS0_17block_load_methodE3ELS4_3ELS4_3ELNS0_20block_scan_algorithmE0ELj4294967295EEENS1_25partition_config_selectorILNS1_17partition_subalgoE3EjNS0_10empty_typeEbEEZZNS1_14partition_implILS8_3ELb0ES6_jNS0_17counting_iteratorIjlEEPS9_SE_NS0_5tupleIJPjSE_EEENSF_IJSE_SE_EEES9_SG_JZNS1_25segmented_radix_sort_implINS0_14default_configELb0EPKlPlSM_SN_N2at6native12_GLOBAL__N_18offset_tEEE10hipError_tPvRmT1_PNSt15iterator_traitsISV_E10value_typeET2_T3_PNSW_IS11_E10value_typeET4_jRbjT5_S17_jjP12ihipStream_tbEUljE_EEESS_ST_SU_S11_S15_S17_T6_T7_T9_mT8_S19_bDpT10_ENKUlT_T0_E_clISt17integral_constantIbLb1EES1L_IbLb0EEEEDaS1H_S1I_EUlS1H_E_NS1_11comp_targetILNS1_3genE5ELNS1_11target_archE942ELNS1_3gpuE9ELNS1_3repE0EEENS1_30default_config_static_selectorELNS0_4arch9wavefront6targetE1EEEvSV_,"axG",@progbits,_ZN7rocprim17ROCPRIM_400000_NS6detail17trampoline_kernelINS0_13select_configILj256ELj13ELNS0_17block_load_methodE3ELS4_3ELS4_3ELNS0_20block_scan_algorithmE0ELj4294967295EEENS1_25partition_config_selectorILNS1_17partition_subalgoE3EjNS0_10empty_typeEbEEZZNS1_14partition_implILS8_3ELb0ES6_jNS0_17counting_iteratorIjlEEPS9_SE_NS0_5tupleIJPjSE_EEENSF_IJSE_SE_EEES9_SG_JZNS1_25segmented_radix_sort_implINS0_14default_configELb0EPKlPlSM_SN_N2at6native12_GLOBAL__N_18offset_tEEE10hipError_tPvRmT1_PNSt15iterator_traitsISV_E10value_typeET2_T3_PNSW_IS11_E10value_typeET4_jRbjT5_S17_jjP12ihipStream_tbEUljE_EEESS_ST_SU_S11_S15_S17_T6_T7_T9_mT8_S19_bDpT10_ENKUlT_T0_E_clISt17integral_constantIbLb1EES1L_IbLb0EEEEDaS1H_S1I_EUlS1H_E_NS1_11comp_targetILNS1_3genE5ELNS1_11target_archE942ELNS1_3gpuE9ELNS1_3repE0EEENS1_30default_config_static_selectorELNS0_4arch9wavefront6targetE1EEEvSV_,comdat
	.globl	_ZN7rocprim17ROCPRIM_400000_NS6detail17trampoline_kernelINS0_13select_configILj256ELj13ELNS0_17block_load_methodE3ELS4_3ELS4_3ELNS0_20block_scan_algorithmE0ELj4294967295EEENS1_25partition_config_selectorILNS1_17partition_subalgoE3EjNS0_10empty_typeEbEEZZNS1_14partition_implILS8_3ELb0ES6_jNS0_17counting_iteratorIjlEEPS9_SE_NS0_5tupleIJPjSE_EEENSF_IJSE_SE_EEES9_SG_JZNS1_25segmented_radix_sort_implINS0_14default_configELb0EPKlPlSM_SN_N2at6native12_GLOBAL__N_18offset_tEEE10hipError_tPvRmT1_PNSt15iterator_traitsISV_E10value_typeET2_T3_PNSW_IS11_E10value_typeET4_jRbjT5_S17_jjP12ihipStream_tbEUljE_EEESS_ST_SU_S11_S15_S17_T6_T7_T9_mT8_S19_bDpT10_ENKUlT_T0_E_clISt17integral_constantIbLb1EES1L_IbLb0EEEEDaS1H_S1I_EUlS1H_E_NS1_11comp_targetILNS1_3genE5ELNS1_11target_archE942ELNS1_3gpuE9ELNS1_3repE0EEENS1_30default_config_static_selectorELNS0_4arch9wavefront6targetE1EEEvSV_ ; -- Begin function _ZN7rocprim17ROCPRIM_400000_NS6detail17trampoline_kernelINS0_13select_configILj256ELj13ELNS0_17block_load_methodE3ELS4_3ELS4_3ELNS0_20block_scan_algorithmE0ELj4294967295EEENS1_25partition_config_selectorILNS1_17partition_subalgoE3EjNS0_10empty_typeEbEEZZNS1_14partition_implILS8_3ELb0ES6_jNS0_17counting_iteratorIjlEEPS9_SE_NS0_5tupleIJPjSE_EEENSF_IJSE_SE_EEES9_SG_JZNS1_25segmented_radix_sort_implINS0_14default_configELb0EPKlPlSM_SN_N2at6native12_GLOBAL__N_18offset_tEEE10hipError_tPvRmT1_PNSt15iterator_traitsISV_E10value_typeET2_T3_PNSW_IS11_E10value_typeET4_jRbjT5_S17_jjP12ihipStream_tbEUljE_EEESS_ST_SU_S11_S15_S17_T6_T7_T9_mT8_S19_bDpT10_ENKUlT_T0_E_clISt17integral_constantIbLb1EES1L_IbLb0EEEEDaS1H_S1I_EUlS1H_E_NS1_11comp_targetILNS1_3genE5ELNS1_11target_archE942ELNS1_3gpuE9ELNS1_3repE0EEENS1_30default_config_static_selectorELNS0_4arch9wavefront6targetE1EEEvSV_
	.p2align	8
	.type	_ZN7rocprim17ROCPRIM_400000_NS6detail17trampoline_kernelINS0_13select_configILj256ELj13ELNS0_17block_load_methodE3ELS4_3ELS4_3ELNS0_20block_scan_algorithmE0ELj4294967295EEENS1_25partition_config_selectorILNS1_17partition_subalgoE3EjNS0_10empty_typeEbEEZZNS1_14partition_implILS8_3ELb0ES6_jNS0_17counting_iteratorIjlEEPS9_SE_NS0_5tupleIJPjSE_EEENSF_IJSE_SE_EEES9_SG_JZNS1_25segmented_radix_sort_implINS0_14default_configELb0EPKlPlSM_SN_N2at6native12_GLOBAL__N_18offset_tEEE10hipError_tPvRmT1_PNSt15iterator_traitsISV_E10value_typeET2_T3_PNSW_IS11_E10value_typeET4_jRbjT5_S17_jjP12ihipStream_tbEUljE_EEESS_ST_SU_S11_S15_S17_T6_T7_T9_mT8_S19_bDpT10_ENKUlT_T0_E_clISt17integral_constantIbLb1EES1L_IbLb0EEEEDaS1H_S1I_EUlS1H_E_NS1_11comp_targetILNS1_3genE5ELNS1_11target_archE942ELNS1_3gpuE9ELNS1_3repE0EEENS1_30default_config_static_selectorELNS0_4arch9wavefront6targetE1EEEvSV_,@function
_ZN7rocprim17ROCPRIM_400000_NS6detail17trampoline_kernelINS0_13select_configILj256ELj13ELNS0_17block_load_methodE3ELS4_3ELS4_3ELNS0_20block_scan_algorithmE0ELj4294967295EEENS1_25partition_config_selectorILNS1_17partition_subalgoE3EjNS0_10empty_typeEbEEZZNS1_14partition_implILS8_3ELb0ES6_jNS0_17counting_iteratorIjlEEPS9_SE_NS0_5tupleIJPjSE_EEENSF_IJSE_SE_EEES9_SG_JZNS1_25segmented_radix_sort_implINS0_14default_configELb0EPKlPlSM_SN_N2at6native12_GLOBAL__N_18offset_tEEE10hipError_tPvRmT1_PNSt15iterator_traitsISV_E10value_typeET2_T3_PNSW_IS11_E10value_typeET4_jRbjT5_S17_jjP12ihipStream_tbEUljE_EEESS_ST_SU_S11_S15_S17_T6_T7_T9_mT8_S19_bDpT10_ENKUlT_T0_E_clISt17integral_constantIbLb1EES1L_IbLb0EEEEDaS1H_S1I_EUlS1H_E_NS1_11comp_targetILNS1_3genE5ELNS1_11target_archE942ELNS1_3gpuE9ELNS1_3repE0EEENS1_30default_config_static_selectorELNS0_4arch9wavefront6targetE1EEEvSV_: ; @_ZN7rocprim17ROCPRIM_400000_NS6detail17trampoline_kernelINS0_13select_configILj256ELj13ELNS0_17block_load_methodE3ELS4_3ELS4_3ELNS0_20block_scan_algorithmE0ELj4294967295EEENS1_25partition_config_selectorILNS1_17partition_subalgoE3EjNS0_10empty_typeEbEEZZNS1_14partition_implILS8_3ELb0ES6_jNS0_17counting_iteratorIjlEEPS9_SE_NS0_5tupleIJPjSE_EEENSF_IJSE_SE_EEES9_SG_JZNS1_25segmented_radix_sort_implINS0_14default_configELb0EPKlPlSM_SN_N2at6native12_GLOBAL__N_18offset_tEEE10hipError_tPvRmT1_PNSt15iterator_traitsISV_E10value_typeET2_T3_PNSW_IS11_E10value_typeET4_jRbjT5_S17_jjP12ihipStream_tbEUljE_EEESS_ST_SU_S11_S15_S17_T6_T7_T9_mT8_S19_bDpT10_ENKUlT_T0_E_clISt17integral_constantIbLb1EES1L_IbLb0EEEEDaS1H_S1I_EUlS1H_E_NS1_11comp_targetILNS1_3genE5ELNS1_11target_archE942ELNS1_3gpuE9ELNS1_3repE0EEENS1_30default_config_static_selectorELNS0_4arch9wavefront6targetE1EEEvSV_
; %bb.0:
	.section	.rodata,"a",@progbits
	.p2align	6, 0x0
	.amdhsa_kernel _ZN7rocprim17ROCPRIM_400000_NS6detail17trampoline_kernelINS0_13select_configILj256ELj13ELNS0_17block_load_methodE3ELS4_3ELS4_3ELNS0_20block_scan_algorithmE0ELj4294967295EEENS1_25partition_config_selectorILNS1_17partition_subalgoE3EjNS0_10empty_typeEbEEZZNS1_14partition_implILS8_3ELb0ES6_jNS0_17counting_iteratorIjlEEPS9_SE_NS0_5tupleIJPjSE_EEENSF_IJSE_SE_EEES9_SG_JZNS1_25segmented_radix_sort_implINS0_14default_configELb0EPKlPlSM_SN_N2at6native12_GLOBAL__N_18offset_tEEE10hipError_tPvRmT1_PNSt15iterator_traitsISV_E10value_typeET2_T3_PNSW_IS11_E10value_typeET4_jRbjT5_S17_jjP12ihipStream_tbEUljE_EEESS_ST_SU_S11_S15_S17_T6_T7_T9_mT8_S19_bDpT10_ENKUlT_T0_E_clISt17integral_constantIbLb1EES1L_IbLb0EEEEDaS1H_S1I_EUlS1H_E_NS1_11comp_targetILNS1_3genE5ELNS1_11target_archE942ELNS1_3gpuE9ELNS1_3repE0EEENS1_30default_config_static_selectorELNS0_4arch9wavefront6targetE1EEEvSV_
		.amdhsa_group_segment_fixed_size 0
		.amdhsa_private_segment_fixed_size 0
		.amdhsa_kernarg_size 144
		.amdhsa_user_sgpr_count 6
		.amdhsa_user_sgpr_private_segment_buffer 1
		.amdhsa_user_sgpr_dispatch_ptr 0
		.amdhsa_user_sgpr_queue_ptr 0
		.amdhsa_user_sgpr_kernarg_segment_ptr 1
		.amdhsa_user_sgpr_dispatch_id 0
		.amdhsa_user_sgpr_flat_scratch_init 0
		.amdhsa_user_sgpr_private_segment_size 0
		.amdhsa_uses_dynamic_stack 0
		.amdhsa_system_sgpr_private_segment_wavefront_offset 0
		.amdhsa_system_sgpr_workgroup_id_x 1
		.amdhsa_system_sgpr_workgroup_id_y 0
		.amdhsa_system_sgpr_workgroup_id_z 0
		.amdhsa_system_sgpr_workgroup_info 0
		.amdhsa_system_vgpr_workitem_id 0
		.amdhsa_next_free_vgpr 1
		.amdhsa_next_free_sgpr 0
		.amdhsa_reserve_vcc 0
		.amdhsa_reserve_flat_scratch 0
		.amdhsa_float_round_mode_32 0
		.amdhsa_float_round_mode_16_64 0
		.amdhsa_float_denorm_mode_32 3
		.amdhsa_float_denorm_mode_16_64 3
		.amdhsa_dx10_clamp 1
		.amdhsa_ieee_mode 1
		.amdhsa_fp16_overflow 0
		.amdhsa_exception_fp_ieee_invalid_op 0
		.amdhsa_exception_fp_denorm_src 0
		.amdhsa_exception_fp_ieee_div_zero 0
		.amdhsa_exception_fp_ieee_overflow 0
		.amdhsa_exception_fp_ieee_underflow 0
		.amdhsa_exception_fp_ieee_inexact 0
		.amdhsa_exception_int_div_zero 0
	.end_amdhsa_kernel
	.section	.text._ZN7rocprim17ROCPRIM_400000_NS6detail17trampoline_kernelINS0_13select_configILj256ELj13ELNS0_17block_load_methodE3ELS4_3ELS4_3ELNS0_20block_scan_algorithmE0ELj4294967295EEENS1_25partition_config_selectorILNS1_17partition_subalgoE3EjNS0_10empty_typeEbEEZZNS1_14partition_implILS8_3ELb0ES6_jNS0_17counting_iteratorIjlEEPS9_SE_NS0_5tupleIJPjSE_EEENSF_IJSE_SE_EEES9_SG_JZNS1_25segmented_radix_sort_implINS0_14default_configELb0EPKlPlSM_SN_N2at6native12_GLOBAL__N_18offset_tEEE10hipError_tPvRmT1_PNSt15iterator_traitsISV_E10value_typeET2_T3_PNSW_IS11_E10value_typeET4_jRbjT5_S17_jjP12ihipStream_tbEUljE_EEESS_ST_SU_S11_S15_S17_T6_T7_T9_mT8_S19_bDpT10_ENKUlT_T0_E_clISt17integral_constantIbLb1EES1L_IbLb0EEEEDaS1H_S1I_EUlS1H_E_NS1_11comp_targetILNS1_3genE5ELNS1_11target_archE942ELNS1_3gpuE9ELNS1_3repE0EEENS1_30default_config_static_selectorELNS0_4arch9wavefront6targetE1EEEvSV_,"axG",@progbits,_ZN7rocprim17ROCPRIM_400000_NS6detail17trampoline_kernelINS0_13select_configILj256ELj13ELNS0_17block_load_methodE3ELS4_3ELS4_3ELNS0_20block_scan_algorithmE0ELj4294967295EEENS1_25partition_config_selectorILNS1_17partition_subalgoE3EjNS0_10empty_typeEbEEZZNS1_14partition_implILS8_3ELb0ES6_jNS0_17counting_iteratorIjlEEPS9_SE_NS0_5tupleIJPjSE_EEENSF_IJSE_SE_EEES9_SG_JZNS1_25segmented_radix_sort_implINS0_14default_configELb0EPKlPlSM_SN_N2at6native12_GLOBAL__N_18offset_tEEE10hipError_tPvRmT1_PNSt15iterator_traitsISV_E10value_typeET2_T3_PNSW_IS11_E10value_typeET4_jRbjT5_S17_jjP12ihipStream_tbEUljE_EEESS_ST_SU_S11_S15_S17_T6_T7_T9_mT8_S19_bDpT10_ENKUlT_T0_E_clISt17integral_constantIbLb1EES1L_IbLb0EEEEDaS1H_S1I_EUlS1H_E_NS1_11comp_targetILNS1_3genE5ELNS1_11target_archE942ELNS1_3gpuE9ELNS1_3repE0EEENS1_30default_config_static_selectorELNS0_4arch9wavefront6targetE1EEEvSV_,comdat
.Lfunc_end792:
	.size	_ZN7rocprim17ROCPRIM_400000_NS6detail17trampoline_kernelINS0_13select_configILj256ELj13ELNS0_17block_load_methodE3ELS4_3ELS4_3ELNS0_20block_scan_algorithmE0ELj4294967295EEENS1_25partition_config_selectorILNS1_17partition_subalgoE3EjNS0_10empty_typeEbEEZZNS1_14partition_implILS8_3ELb0ES6_jNS0_17counting_iteratorIjlEEPS9_SE_NS0_5tupleIJPjSE_EEENSF_IJSE_SE_EEES9_SG_JZNS1_25segmented_radix_sort_implINS0_14default_configELb0EPKlPlSM_SN_N2at6native12_GLOBAL__N_18offset_tEEE10hipError_tPvRmT1_PNSt15iterator_traitsISV_E10value_typeET2_T3_PNSW_IS11_E10value_typeET4_jRbjT5_S17_jjP12ihipStream_tbEUljE_EEESS_ST_SU_S11_S15_S17_T6_T7_T9_mT8_S19_bDpT10_ENKUlT_T0_E_clISt17integral_constantIbLb1EES1L_IbLb0EEEEDaS1H_S1I_EUlS1H_E_NS1_11comp_targetILNS1_3genE5ELNS1_11target_archE942ELNS1_3gpuE9ELNS1_3repE0EEENS1_30default_config_static_selectorELNS0_4arch9wavefront6targetE1EEEvSV_, .Lfunc_end792-_ZN7rocprim17ROCPRIM_400000_NS6detail17trampoline_kernelINS0_13select_configILj256ELj13ELNS0_17block_load_methodE3ELS4_3ELS4_3ELNS0_20block_scan_algorithmE0ELj4294967295EEENS1_25partition_config_selectorILNS1_17partition_subalgoE3EjNS0_10empty_typeEbEEZZNS1_14partition_implILS8_3ELb0ES6_jNS0_17counting_iteratorIjlEEPS9_SE_NS0_5tupleIJPjSE_EEENSF_IJSE_SE_EEES9_SG_JZNS1_25segmented_radix_sort_implINS0_14default_configELb0EPKlPlSM_SN_N2at6native12_GLOBAL__N_18offset_tEEE10hipError_tPvRmT1_PNSt15iterator_traitsISV_E10value_typeET2_T3_PNSW_IS11_E10value_typeET4_jRbjT5_S17_jjP12ihipStream_tbEUljE_EEESS_ST_SU_S11_S15_S17_T6_T7_T9_mT8_S19_bDpT10_ENKUlT_T0_E_clISt17integral_constantIbLb1EES1L_IbLb0EEEEDaS1H_S1I_EUlS1H_E_NS1_11comp_targetILNS1_3genE5ELNS1_11target_archE942ELNS1_3gpuE9ELNS1_3repE0EEENS1_30default_config_static_selectorELNS0_4arch9wavefront6targetE1EEEvSV_
                                        ; -- End function
	.set _ZN7rocprim17ROCPRIM_400000_NS6detail17trampoline_kernelINS0_13select_configILj256ELj13ELNS0_17block_load_methodE3ELS4_3ELS4_3ELNS0_20block_scan_algorithmE0ELj4294967295EEENS1_25partition_config_selectorILNS1_17partition_subalgoE3EjNS0_10empty_typeEbEEZZNS1_14partition_implILS8_3ELb0ES6_jNS0_17counting_iteratorIjlEEPS9_SE_NS0_5tupleIJPjSE_EEENSF_IJSE_SE_EEES9_SG_JZNS1_25segmented_radix_sort_implINS0_14default_configELb0EPKlPlSM_SN_N2at6native12_GLOBAL__N_18offset_tEEE10hipError_tPvRmT1_PNSt15iterator_traitsISV_E10value_typeET2_T3_PNSW_IS11_E10value_typeET4_jRbjT5_S17_jjP12ihipStream_tbEUljE_EEESS_ST_SU_S11_S15_S17_T6_T7_T9_mT8_S19_bDpT10_ENKUlT_T0_E_clISt17integral_constantIbLb1EES1L_IbLb0EEEEDaS1H_S1I_EUlS1H_E_NS1_11comp_targetILNS1_3genE5ELNS1_11target_archE942ELNS1_3gpuE9ELNS1_3repE0EEENS1_30default_config_static_selectorELNS0_4arch9wavefront6targetE1EEEvSV_.num_vgpr, 0
	.set _ZN7rocprim17ROCPRIM_400000_NS6detail17trampoline_kernelINS0_13select_configILj256ELj13ELNS0_17block_load_methodE3ELS4_3ELS4_3ELNS0_20block_scan_algorithmE0ELj4294967295EEENS1_25partition_config_selectorILNS1_17partition_subalgoE3EjNS0_10empty_typeEbEEZZNS1_14partition_implILS8_3ELb0ES6_jNS0_17counting_iteratorIjlEEPS9_SE_NS0_5tupleIJPjSE_EEENSF_IJSE_SE_EEES9_SG_JZNS1_25segmented_radix_sort_implINS0_14default_configELb0EPKlPlSM_SN_N2at6native12_GLOBAL__N_18offset_tEEE10hipError_tPvRmT1_PNSt15iterator_traitsISV_E10value_typeET2_T3_PNSW_IS11_E10value_typeET4_jRbjT5_S17_jjP12ihipStream_tbEUljE_EEESS_ST_SU_S11_S15_S17_T6_T7_T9_mT8_S19_bDpT10_ENKUlT_T0_E_clISt17integral_constantIbLb1EES1L_IbLb0EEEEDaS1H_S1I_EUlS1H_E_NS1_11comp_targetILNS1_3genE5ELNS1_11target_archE942ELNS1_3gpuE9ELNS1_3repE0EEENS1_30default_config_static_selectorELNS0_4arch9wavefront6targetE1EEEvSV_.num_agpr, 0
	.set _ZN7rocprim17ROCPRIM_400000_NS6detail17trampoline_kernelINS0_13select_configILj256ELj13ELNS0_17block_load_methodE3ELS4_3ELS4_3ELNS0_20block_scan_algorithmE0ELj4294967295EEENS1_25partition_config_selectorILNS1_17partition_subalgoE3EjNS0_10empty_typeEbEEZZNS1_14partition_implILS8_3ELb0ES6_jNS0_17counting_iteratorIjlEEPS9_SE_NS0_5tupleIJPjSE_EEENSF_IJSE_SE_EEES9_SG_JZNS1_25segmented_radix_sort_implINS0_14default_configELb0EPKlPlSM_SN_N2at6native12_GLOBAL__N_18offset_tEEE10hipError_tPvRmT1_PNSt15iterator_traitsISV_E10value_typeET2_T3_PNSW_IS11_E10value_typeET4_jRbjT5_S17_jjP12ihipStream_tbEUljE_EEESS_ST_SU_S11_S15_S17_T6_T7_T9_mT8_S19_bDpT10_ENKUlT_T0_E_clISt17integral_constantIbLb1EES1L_IbLb0EEEEDaS1H_S1I_EUlS1H_E_NS1_11comp_targetILNS1_3genE5ELNS1_11target_archE942ELNS1_3gpuE9ELNS1_3repE0EEENS1_30default_config_static_selectorELNS0_4arch9wavefront6targetE1EEEvSV_.numbered_sgpr, 0
	.set _ZN7rocprim17ROCPRIM_400000_NS6detail17trampoline_kernelINS0_13select_configILj256ELj13ELNS0_17block_load_methodE3ELS4_3ELS4_3ELNS0_20block_scan_algorithmE0ELj4294967295EEENS1_25partition_config_selectorILNS1_17partition_subalgoE3EjNS0_10empty_typeEbEEZZNS1_14partition_implILS8_3ELb0ES6_jNS0_17counting_iteratorIjlEEPS9_SE_NS0_5tupleIJPjSE_EEENSF_IJSE_SE_EEES9_SG_JZNS1_25segmented_radix_sort_implINS0_14default_configELb0EPKlPlSM_SN_N2at6native12_GLOBAL__N_18offset_tEEE10hipError_tPvRmT1_PNSt15iterator_traitsISV_E10value_typeET2_T3_PNSW_IS11_E10value_typeET4_jRbjT5_S17_jjP12ihipStream_tbEUljE_EEESS_ST_SU_S11_S15_S17_T6_T7_T9_mT8_S19_bDpT10_ENKUlT_T0_E_clISt17integral_constantIbLb1EES1L_IbLb0EEEEDaS1H_S1I_EUlS1H_E_NS1_11comp_targetILNS1_3genE5ELNS1_11target_archE942ELNS1_3gpuE9ELNS1_3repE0EEENS1_30default_config_static_selectorELNS0_4arch9wavefront6targetE1EEEvSV_.num_named_barrier, 0
	.set _ZN7rocprim17ROCPRIM_400000_NS6detail17trampoline_kernelINS0_13select_configILj256ELj13ELNS0_17block_load_methodE3ELS4_3ELS4_3ELNS0_20block_scan_algorithmE0ELj4294967295EEENS1_25partition_config_selectorILNS1_17partition_subalgoE3EjNS0_10empty_typeEbEEZZNS1_14partition_implILS8_3ELb0ES6_jNS0_17counting_iteratorIjlEEPS9_SE_NS0_5tupleIJPjSE_EEENSF_IJSE_SE_EEES9_SG_JZNS1_25segmented_radix_sort_implINS0_14default_configELb0EPKlPlSM_SN_N2at6native12_GLOBAL__N_18offset_tEEE10hipError_tPvRmT1_PNSt15iterator_traitsISV_E10value_typeET2_T3_PNSW_IS11_E10value_typeET4_jRbjT5_S17_jjP12ihipStream_tbEUljE_EEESS_ST_SU_S11_S15_S17_T6_T7_T9_mT8_S19_bDpT10_ENKUlT_T0_E_clISt17integral_constantIbLb1EES1L_IbLb0EEEEDaS1H_S1I_EUlS1H_E_NS1_11comp_targetILNS1_3genE5ELNS1_11target_archE942ELNS1_3gpuE9ELNS1_3repE0EEENS1_30default_config_static_selectorELNS0_4arch9wavefront6targetE1EEEvSV_.private_seg_size, 0
	.set _ZN7rocprim17ROCPRIM_400000_NS6detail17trampoline_kernelINS0_13select_configILj256ELj13ELNS0_17block_load_methodE3ELS4_3ELS4_3ELNS0_20block_scan_algorithmE0ELj4294967295EEENS1_25partition_config_selectorILNS1_17partition_subalgoE3EjNS0_10empty_typeEbEEZZNS1_14partition_implILS8_3ELb0ES6_jNS0_17counting_iteratorIjlEEPS9_SE_NS0_5tupleIJPjSE_EEENSF_IJSE_SE_EEES9_SG_JZNS1_25segmented_radix_sort_implINS0_14default_configELb0EPKlPlSM_SN_N2at6native12_GLOBAL__N_18offset_tEEE10hipError_tPvRmT1_PNSt15iterator_traitsISV_E10value_typeET2_T3_PNSW_IS11_E10value_typeET4_jRbjT5_S17_jjP12ihipStream_tbEUljE_EEESS_ST_SU_S11_S15_S17_T6_T7_T9_mT8_S19_bDpT10_ENKUlT_T0_E_clISt17integral_constantIbLb1EES1L_IbLb0EEEEDaS1H_S1I_EUlS1H_E_NS1_11comp_targetILNS1_3genE5ELNS1_11target_archE942ELNS1_3gpuE9ELNS1_3repE0EEENS1_30default_config_static_selectorELNS0_4arch9wavefront6targetE1EEEvSV_.uses_vcc, 0
	.set _ZN7rocprim17ROCPRIM_400000_NS6detail17trampoline_kernelINS0_13select_configILj256ELj13ELNS0_17block_load_methodE3ELS4_3ELS4_3ELNS0_20block_scan_algorithmE0ELj4294967295EEENS1_25partition_config_selectorILNS1_17partition_subalgoE3EjNS0_10empty_typeEbEEZZNS1_14partition_implILS8_3ELb0ES6_jNS0_17counting_iteratorIjlEEPS9_SE_NS0_5tupleIJPjSE_EEENSF_IJSE_SE_EEES9_SG_JZNS1_25segmented_radix_sort_implINS0_14default_configELb0EPKlPlSM_SN_N2at6native12_GLOBAL__N_18offset_tEEE10hipError_tPvRmT1_PNSt15iterator_traitsISV_E10value_typeET2_T3_PNSW_IS11_E10value_typeET4_jRbjT5_S17_jjP12ihipStream_tbEUljE_EEESS_ST_SU_S11_S15_S17_T6_T7_T9_mT8_S19_bDpT10_ENKUlT_T0_E_clISt17integral_constantIbLb1EES1L_IbLb0EEEEDaS1H_S1I_EUlS1H_E_NS1_11comp_targetILNS1_3genE5ELNS1_11target_archE942ELNS1_3gpuE9ELNS1_3repE0EEENS1_30default_config_static_selectorELNS0_4arch9wavefront6targetE1EEEvSV_.uses_flat_scratch, 0
	.set _ZN7rocprim17ROCPRIM_400000_NS6detail17trampoline_kernelINS0_13select_configILj256ELj13ELNS0_17block_load_methodE3ELS4_3ELS4_3ELNS0_20block_scan_algorithmE0ELj4294967295EEENS1_25partition_config_selectorILNS1_17partition_subalgoE3EjNS0_10empty_typeEbEEZZNS1_14partition_implILS8_3ELb0ES6_jNS0_17counting_iteratorIjlEEPS9_SE_NS0_5tupleIJPjSE_EEENSF_IJSE_SE_EEES9_SG_JZNS1_25segmented_radix_sort_implINS0_14default_configELb0EPKlPlSM_SN_N2at6native12_GLOBAL__N_18offset_tEEE10hipError_tPvRmT1_PNSt15iterator_traitsISV_E10value_typeET2_T3_PNSW_IS11_E10value_typeET4_jRbjT5_S17_jjP12ihipStream_tbEUljE_EEESS_ST_SU_S11_S15_S17_T6_T7_T9_mT8_S19_bDpT10_ENKUlT_T0_E_clISt17integral_constantIbLb1EES1L_IbLb0EEEEDaS1H_S1I_EUlS1H_E_NS1_11comp_targetILNS1_3genE5ELNS1_11target_archE942ELNS1_3gpuE9ELNS1_3repE0EEENS1_30default_config_static_selectorELNS0_4arch9wavefront6targetE1EEEvSV_.has_dyn_sized_stack, 0
	.set _ZN7rocprim17ROCPRIM_400000_NS6detail17trampoline_kernelINS0_13select_configILj256ELj13ELNS0_17block_load_methodE3ELS4_3ELS4_3ELNS0_20block_scan_algorithmE0ELj4294967295EEENS1_25partition_config_selectorILNS1_17partition_subalgoE3EjNS0_10empty_typeEbEEZZNS1_14partition_implILS8_3ELb0ES6_jNS0_17counting_iteratorIjlEEPS9_SE_NS0_5tupleIJPjSE_EEENSF_IJSE_SE_EEES9_SG_JZNS1_25segmented_radix_sort_implINS0_14default_configELb0EPKlPlSM_SN_N2at6native12_GLOBAL__N_18offset_tEEE10hipError_tPvRmT1_PNSt15iterator_traitsISV_E10value_typeET2_T3_PNSW_IS11_E10value_typeET4_jRbjT5_S17_jjP12ihipStream_tbEUljE_EEESS_ST_SU_S11_S15_S17_T6_T7_T9_mT8_S19_bDpT10_ENKUlT_T0_E_clISt17integral_constantIbLb1EES1L_IbLb0EEEEDaS1H_S1I_EUlS1H_E_NS1_11comp_targetILNS1_3genE5ELNS1_11target_archE942ELNS1_3gpuE9ELNS1_3repE0EEENS1_30default_config_static_selectorELNS0_4arch9wavefront6targetE1EEEvSV_.has_recursion, 0
	.set _ZN7rocprim17ROCPRIM_400000_NS6detail17trampoline_kernelINS0_13select_configILj256ELj13ELNS0_17block_load_methodE3ELS4_3ELS4_3ELNS0_20block_scan_algorithmE0ELj4294967295EEENS1_25partition_config_selectorILNS1_17partition_subalgoE3EjNS0_10empty_typeEbEEZZNS1_14partition_implILS8_3ELb0ES6_jNS0_17counting_iteratorIjlEEPS9_SE_NS0_5tupleIJPjSE_EEENSF_IJSE_SE_EEES9_SG_JZNS1_25segmented_radix_sort_implINS0_14default_configELb0EPKlPlSM_SN_N2at6native12_GLOBAL__N_18offset_tEEE10hipError_tPvRmT1_PNSt15iterator_traitsISV_E10value_typeET2_T3_PNSW_IS11_E10value_typeET4_jRbjT5_S17_jjP12ihipStream_tbEUljE_EEESS_ST_SU_S11_S15_S17_T6_T7_T9_mT8_S19_bDpT10_ENKUlT_T0_E_clISt17integral_constantIbLb1EES1L_IbLb0EEEEDaS1H_S1I_EUlS1H_E_NS1_11comp_targetILNS1_3genE5ELNS1_11target_archE942ELNS1_3gpuE9ELNS1_3repE0EEENS1_30default_config_static_selectorELNS0_4arch9wavefront6targetE1EEEvSV_.has_indirect_call, 0
	.section	.AMDGPU.csdata,"",@progbits
; Kernel info:
; codeLenInByte = 0
; TotalNumSgprs: 4
; NumVgprs: 0
; ScratchSize: 0
; MemoryBound: 0
; FloatMode: 240
; IeeeMode: 1
; LDSByteSize: 0 bytes/workgroup (compile time only)
; SGPRBlocks: 0
; VGPRBlocks: 0
; NumSGPRsForWavesPerEU: 4
; NumVGPRsForWavesPerEU: 1
; Occupancy: 10
; WaveLimiterHint : 0
; COMPUTE_PGM_RSRC2:SCRATCH_EN: 0
; COMPUTE_PGM_RSRC2:USER_SGPR: 6
; COMPUTE_PGM_RSRC2:TRAP_HANDLER: 0
; COMPUTE_PGM_RSRC2:TGID_X_EN: 1
; COMPUTE_PGM_RSRC2:TGID_Y_EN: 0
; COMPUTE_PGM_RSRC2:TGID_Z_EN: 0
; COMPUTE_PGM_RSRC2:TIDIG_COMP_CNT: 0
	.section	.text._ZN7rocprim17ROCPRIM_400000_NS6detail17trampoline_kernelINS0_13select_configILj256ELj13ELNS0_17block_load_methodE3ELS4_3ELS4_3ELNS0_20block_scan_algorithmE0ELj4294967295EEENS1_25partition_config_selectorILNS1_17partition_subalgoE3EjNS0_10empty_typeEbEEZZNS1_14partition_implILS8_3ELb0ES6_jNS0_17counting_iteratorIjlEEPS9_SE_NS0_5tupleIJPjSE_EEENSF_IJSE_SE_EEES9_SG_JZNS1_25segmented_radix_sort_implINS0_14default_configELb0EPKlPlSM_SN_N2at6native12_GLOBAL__N_18offset_tEEE10hipError_tPvRmT1_PNSt15iterator_traitsISV_E10value_typeET2_T3_PNSW_IS11_E10value_typeET4_jRbjT5_S17_jjP12ihipStream_tbEUljE_EEESS_ST_SU_S11_S15_S17_T6_T7_T9_mT8_S19_bDpT10_ENKUlT_T0_E_clISt17integral_constantIbLb1EES1L_IbLb0EEEEDaS1H_S1I_EUlS1H_E_NS1_11comp_targetILNS1_3genE4ELNS1_11target_archE910ELNS1_3gpuE8ELNS1_3repE0EEENS1_30default_config_static_selectorELNS0_4arch9wavefront6targetE1EEEvSV_,"axG",@progbits,_ZN7rocprim17ROCPRIM_400000_NS6detail17trampoline_kernelINS0_13select_configILj256ELj13ELNS0_17block_load_methodE3ELS4_3ELS4_3ELNS0_20block_scan_algorithmE0ELj4294967295EEENS1_25partition_config_selectorILNS1_17partition_subalgoE3EjNS0_10empty_typeEbEEZZNS1_14partition_implILS8_3ELb0ES6_jNS0_17counting_iteratorIjlEEPS9_SE_NS0_5tupleIJPjSE_EEENSF_IJSE_SE_EEES9_SG_JZNS1_25segmented_radix_sort_implINS0_14default_configELb0EPKlPlSM_SN_N2at6native12_GLOBAL__N_18offset_tEEE10hipError_tPvRmT1_PNSt15iterator_traitsISV_E10value_typeET2_T3_PNSW_IS11_E10value_typeET4_jRbjT5_S17_jjP12ihipStream_tbEUljE_EEESS_ST_SU_S11_S15_S17_T6_T7_T9_mT8_S19_bDpT10_ENKUlT_T0_E_clISt17integral_constantIbLb1EES1L_IbLb0EEEEDaS1H_S1I_EUlS1H_E_NS1_11comp_targetILNS1_3genE4ELNS1_11target_archE910ELNS1_3gpuE8ELNS1_3repE0EEENS1_30default_config_static_selectorELNS0_4arch9wavefront6targetE1EEEvSV_,comdat
	.globl	_ZN7rocprim17ROCPRIM_400000_NS6detail17trampoline_kernelINS0_13select_configILj256ELj13ELNS0_17block_load_methodE3ELS4_3ELS4_3ELNS0_20block_scan_algorithmE0ELj4294967295EEENS1_25partition_config_selectorILNS1_17partition_subalgoE3EjNS0_10empty_typeEbEEZZNS1_14partition_implILS8_3ELb0ES6_jNS0_17counting_iteratorIjlEEPS9_SE_NS0_5tupleIJPjSE_EEENSF_IJSE_SE_EEES9_SG_JZNS1_25segmented_radix_sort_implINS0_14default_configELb0EPKlPlSM_SN_N2at6native12_GLOBAL__N_18offset_tEEE10hipError_tPvRmT1_PNSt15iterator_traitsISV_E10value_typeET2_T3_PNSW_IS11_E10value_typeET4_jRbjT5_S17_jjP12ihipStream_tbEUljE_EEESS_ST_SU_S11_S15_S17_T6_T7_T9_mT8_S19_bDpT10_ENKUlT_T0_E_clISt17integral_constantIbLb1EES1L_IbLb0EEEEDaS1H_S1I_EUlS1H_E_NS1_11comp_targetILNS1_3genE4ELNS1_11target_archE910ELNS1_3gpuE8ELNS1_3repE0EEENS1_30default_config_static_selectorELNS0_4arch9wavefront6targetE1EEEvSV_ ; -- Begin function _ZN7rocprim17ROCPRIM_400000_NS6detail17trampoline_kernelINS0_13select_configILj256ELj13ELNS0_17block_load_methodE3ELS4_3ELS4_3ELNS0_20block_scan_algorithmE0ELj4294967295EEENS1_25partition_config_selectorILNS1_17partition_subalgoE3EjNS0_10empty_typeEbEEZZNS1_14partition_implILS8_3ELb0ES6_jNS0_17counting_iteratorIjlEEPS9_SE_NS0_5tupleIJPjSE_EEENSF_IJSE_SE_EEES9_SG_JZNS1_25segmented_radix_sort_implINS0_14default_configELb0EPKlPlSM_SN_N2at6native12_GLOBAL__N_18offset_tEEE10hipError_tPvRmT1_PNSt15iterator_traitsISV_E10value_typeET2_T3_PNSW_IS11_E10value_typeET4_jRbjT5_S17_jjP12ihipStream_tbEUljE_EEESS_ST_SU_S11_S15_S17_T6_T7_T9_mT8_S19_bDpT10_ENKUlT_T0_E_clISt17integral_constantIbLb1EES1L_IbLb0EEEEDaS1H_S1I_EUlS1H_E_NS1_11comp_targetILNS1_3genE4ELNS1_11target_archE910ELNS1_3gpuE8ELNS1_3repE0EEENS1_30default_config_static_selectorELNS0_4arch9wavefront6targetE1EEEvSV_
	.p2align	8
	.type	_ZN7rocprim17ROCPRIM_400000_NS6detail17trampoline_kernelINS0_13select_configILj256ELj13ELNS0_17block_load_methodE3ELS4_3ELS4_3ELNS0_20block_scan_algorithmE0ELj4294967295EEENS1_25partition_config_selectorILNS1_17partition_subalgoE3EjNS0_10empty_typeEbEEZZNS1_14partition_implILS8_3ELb0ES6_jNS0_17counting_iteratorIjlEEPS9_SE_NS0_5tupleIJPjSE_EEENSF_IJSE_SE_EEES9_SG_JZNS1_25segmented_radix_sort_implINS0_14default_configELb0EPKlPlSM_SN_N2at6native12_GLOBAL__N_18offset_tEEE10hipError_tPvRmT1_PNSt15iterator_traitsISV_E10value_typeET2_T3_PNSW_IS11_E10value_typeET4_jRbjT5_S17_jjP12ihipStream_tbEUljE_EEESS_ST_SU_S11_S15_S17_T6_T7_T9_mT8_S19_bDpT10_ENKUlT_T0_E_clISt17integral_constantIbLb1EES1L_IbLb0EEEEDaS1H_S1I_EUlS1H_E_NS1_11comp_targetILNS1_3genE4ELNS1_11target_archE910ELNS1_3gpuE8ELNS1_3repE0EEENS1_30default_config_static_selectorELNS0_4arch9wavefront6targetE1EEEvSV_,@function
_ZN7rocprim17ROCPRIM_400000_NS6detail17trampoline_kernelINS0_13select_configILj256ELj13ELNS0_17block_load_methodE3ELS4_3ELS4_3ELNS0_20block_scan_algorithmE0ELj4294967295EEENS1_25partition_config_selectorILNS1_17partition_subalgoE3EjNS0_10empty_typeEbEEZZNS1_14partition_implILS8_3ELb0ES6_jNS0_17counting_iteratorIjlEEPS9_SE_NS0_5tupleIJPjSE_EEENSF_IJSE_SE_EEES9_SG_JZNS1_25segmented_radix_sort_implINS0_14default_configELb0EPKlPlSM_SN_N2at6native12_GLOBAL__N_18offset_tEEE10hipError_tPvRmT1_PNSt15iterator_traitsISV_E10value_typeET2_T3_PNSW_IS11_E10value_typeET4_jRbjT5_S17_jjP12ihipStream_tbEUljE_EEESS_ST_SU_S11_S15_S17_T6_T7_T9_mT8_S19_bDpT10_ENKUlT_T0_E_clISt17integral_constantIbLb1EES1L_IbLb0EEEEDaS1H_S1I_EUlS1H_E_NS1_11comp_targetILNS1_3genE4ELNS1_11target_archE910ELNS1_3gpuE8ELNS1_3repE0EEENS1_30default_config_static_selectorELNS0_4arch9wavefront6targetE1EEEvSV_: ; @_ZN7rocprim17ROCPRIM_400000_NS6detail17trampoline_kernelINS0_13select_configILj256ELj13ELNS0_17block_load_methodE3ELS4_3ELS4_3ELNS0_20block_scan_algorithmE0ELj4294967295EEENS1_25partition_config_selectorILNS1_17partition_subalgoE3EjNS0_10empty_typeEbEEZZNS1_14partition_implILS8_3ELb0ES6_jNS0_17counting_iteratorIjlEEPS9_SE_NS0_5tupleIJPjSE_EEENSF_IJSE_SE_EEES9_SG_JZNS1_25segmented_radix_sort_implINS0_14default_configELb0EPKlPlSM_SN_N2at6native12_GLOBAL__N_18offset_tEEE10hipError_tPvRmT1_PNSt15iterator_traitsISV_E10value_typeET2_T3_PNSW_IS11_E10value_typeET4_jRbjT5_S17_jjP12ihipStream_tbEUljE_EEESS_ST_SU_S11_S15_S17_T6_T7_T9_mT8_S19_bDpT10_ENKUlT_T0_E_clISt17integral_constantIbLb1EES1L_IbLb0EEEEDaS1H_S1I_EUlS1H_E_NS1_11comp_targetILNS1_3genE4ELNS1_11target_archE910ELNS1_3gpuE8ELNS1_3repE0EEENS1_30default_config_static_selectorELNS0_4arch9wavefront6targetE1EEEvSV_
; %bb.0:
	.section	.rodata,"a",@progbits
	.p2align	6, 0x0
	.amdhsa_kernel _ZN7rocprim17ROCPRIM_400000_NS6detail17trampoline_kernelINS0_13select_configILj256ELj13ELNS0_17block_load_methodE3ELS4_3ELS4_3ELNS0_20block_scan_algorithmE0ELj4294967295EEENS1_25partition_config_selectorILNS1_17partition_subalgoE3EjNS0_10empty_typeEbEEZZNS1_14partition_implILS8_3ELb0ES6_jNS0_17counting_iteratorIjlEEPS9_SE_NS0_5tupleIJPjSE_EEENSF_IJSE_SE_EEES9_SG_JZNS1_25segmented_radix_sort_implINS0_14default_configELb0EPKlPlSM_SN_N2at6native12_GLOBAL__N_18offset_tEEE10hipError_tPvRmT1_PNSt15iterator_traitsISV_E10value_typeET2_T3_PNSW_IS11_E10value_typeET4_jRbjT5_S17_jjP12ihipStream_tbEUljE_EEESS_ST_SU_S11_S15_S17_T6_T7_T9_mT8_S19_bDpT10_ENKUlT_T0_E_clISt17integral_constantIbLb1EES1L_IbLb0EEEEDaS1H_S1I_EUlS1H_E_NS1_11comp_targetILNS1_3genE4ELNS1_11target_archE910ELNS1_3gpuE8ELNS1_3repE0EEENS1_30default_config_static_selectorELNS0_4arch9wavefront6targetE1EEEvSV_
		.amdhsa_group_segment_fixed_size 0
		.amdhsa_private_segment_fixed_size 0
		.amdhsa_kernarg_size 144
		.amdhsa_user_sgpr_count 6
		.amdhsa_user_sgpr_private_segment_buffer 1
		.amdhsa_user_sgpr_dispatch_ptr 0
		.amdhsa_user_sgpr_queue_ptr 0
		.amdhsa_user_sgpr_kernarg_segment_ptr 1
		.amdhsa_user_sgpr_dispatch_id 0
		.amdhsa_user_sgpr_flat_scratch_init 0
		.amdhsa_user_sgpr_private_segment_size 0
		.amdhsa_uses_dynamic_stack 0
		.amdhsa_system_sgpr_private_segment_wavefront_offset 0
		.amdhsa_system_sgpr_workgroup_id_x 1
		.amdhsa_system_sgpr_workgroup_id_y 0
		.amdhsa_system_sgpr_workgroup_id_z 0
		.amdhsa_system_sgpr_workgroup_info 0
		.amdhsa_system_vgpr_workitem_id 0
		.amdhsa_next_free_vgpr 1
		.amdhsa_next_free_sgpr 0
		.amdhsa_reserve_vcc 0
		.amdhsa_reserve_flat_scratch 0
		.amdhsa_float_round_mode_32 0
		.amdhsa_float_round_mode_16_64 0
		.amdhsa_float_denorm_mode_32 3
		.amdhsa_float_denorm_mode_16_64 3
		.amdhsa_dx10_clamp 1
		.amdhsa_ieee_mode 1
		.amdhsa_fp16_overflow 0
		.amdhsa_exception_fp_ieee_invalid_op 0
		.amdhsa_exception_fp_denorm_src 0
		.amdhsa_exception_fp_ieee_div_zero 0
		.amdhsa_exception_fp_ieee_overflow 0
		.amdhsa_exception_fp_ieee_underflow 0
		.amdhsa_exception_fp_ieee_inexact 0
		.amdhsa_exception_int_div_zero 0
	.end_amdhsa_kernel
	.section	.text._ZN7rocprim17ROCPRIM_400000_NS6detail17trampoline_kernelINS0_13select_configILj256ELj13ELNS0_17block_load_methodE3ELS4_3ELS4_3ELNS0_20block_scan_algorithmE0ELj4294967295EEENS1_25partition_config_selectorILNS1_17partition_subalgoE3EjNS0_10empty_typeEbEEZZNS1_14partition_implILS8_3ELb0ES6_jNS0_17counting_iteratorIjlEEPS9_SE_NS0_5tupleIJPjSE_EEENSF_IJSE_SE_EEES9_SG_JZNS1_25segmented_radix_sort_implINS0_14default_configELb0EPKlPlSM_SN_N2at6native12_GLOBAL__N_18offset_tEEE10hipError_tPvRmT1_PNSt15iterator_traitsISV_E10value_typeET2_T3_PNSW_IS11_E10value_typeET4_jRbjT5_S17_jjP12ihipStream_tbEUljE_EEESS_ST_SU_S11_S15_S17_T6_T7_T9_mT8_S19_bDpT10_ENKUlT_T0_E_clISt17integral_constantIbLb1EES1L_IbLb0EEEEDaS1H_S1I_EUlS1H_E_NS1_11comp_targetILNS1_3genE4ELNS1_11target_archE910ELNS1_3gpuE8ELNS1_3repE0EEENS1_30default_config_static_selectorELNS0_4arch9wavefront6targetE1EEEvSV_,"axG",@progbits,_ZN7rocprim17ROCPRIM_400000_NS6detail17trampoline_kernelINS0_13select_configILj256ELj13ELNS0_17block_load_methodE3ELS4_3ELS4_3ELNS0_20block_scan_algorithmE0ELj4294967295EEENS1_25partition_config_selectorILNS1_17partition_subalgoE3EjNS0_10empty_typeEbEEZZNS1_14partition_implILS8_3ELb0ES6_jNS0_17counting_iteratorIjlEEPS9_SE_NS0_5tupleIJPjSE_EEENSF_IJSE_SE_EEES9_SG_JZNS1_25segmented_radix_sort_implINS0_14default_configELb0EPKlPlSM_SN_N2at6native12_GLOBAL__N_18offset_tEEE10hipError_tPvRmT1_PNSt15iterator_traitsISV_E10value_typeET2_T3_PNSW_IS11_E10value_typeET4_jRbjT5_S17_jjP12ihipStream_tbEUljE_EEESS_ST_SU_S11_S15_S17_T6_T7_T9_mT8_S19_bDpT10_ENKUlT_T0_E_clISt17integral_constantIbLb1EES1L_IbLb0EEEEDaS1H_S1I_EUlS1H_E_NS1_11comp_targetILNS1_3genE4ELNS1_11target_archE910ELNS1_3gpuE8ELNS1_3repE0EEENS1_30default_config_static_selectorELNS0_4arch9wavefront6targetE1EEEvSV_,comdat
.Lfunc_end793:
	.size	_ZN7rocprim17ROCPRIM_400000_NS6detail17trampoline_kernelINS0_13select_configILj256ELj13ELNS0_17block_load_methodE3ELS4_3ELS4_3ELNS0_20block_scan_algorithmE0ELj4294967295EEENS1_25partition_config_selectorILNS1_17partition_subalgoE3EjNS0_10empty_typeEbEEZZNS1_14partition_implILS8_3ELb0ES6_jNS0_17counting_iteratorIjlEEPS9_SE_NS0_5tupleIJPjSE_EEENSF_IJSE_SE_EEES9_SG_JZNS1_25segmented_radix_sort_implINS0_14default_configELb0EPKlPlSM_SN_N2at6native12_GLOBAL__N_18offset_tEEE10hipError_tPvRmT1_PNSt15iterator_traitsISV_E10value_typeET2_T3_PNSW_IS11_E10value_typeET4_jRbjT5_S17_jjP12ihipStream_tbEUljE_EEESS_ST_SU_S11_S15_S17_T6_T7_T9_mT8_S19_bDpT10_ENKUlT_T0_E_clISt17integral_constantIbLb1EES1L_IbLb0EEEEDaS1H_S1I_EUlS1H_E_NS1_11comp_targetILNS1_3genE4ELNS1_11target_archE910ELNS1_3gpuE8ELNS1_3repE0EEENS1_30default_config_static_selectorELNS0_4arch9wavefront6targetE1EEEvSV_, .Lfunc_end793-_ZN7rocprim17ROCPRIM_400000_NS6detail17trampoline_kernelINS0_13select_configILj256ELj13ELNS0_17block_load_methodE3ELS4_3ELS4_3ELNS0_20block_scan_algorithmE0ELj4294967295EEENS1_25partition_config_selectorILNS1_17partition_subalgoE3EjNS0_10empty_typeEbEEZZNS1_14partition_implILS8_3ELb0ES6_jNS0_17counting_iteratorIjlEEPS9_SE_NS0_5tupleIJPjSE_EEENSF_IJSE_SE_EEES9_SG_JZNS1_25segmented_radix_sort_implINS0_14default_configELb0EPKlPlSM_SN_N2at6native12_GLOBAL__N_18offset_tEEE10hipError_tPvRmT1_PNSt15iterator_traitsISV_E10value_typeET2_T3_PNSW_IS11_E10value_typeET4_jRbjT5_S17_jjP12ihipStream_tbEUljE_EEESS_ST_SU_S11_S15_S17_T6_T7_T9_mT8_S19_bDpT10_ENKUlT_T0_E_clISt17integral_constantIbLb1EES1L_IbLb0EEEEDaS1H_S1I_EUlS1H_E_NS1_11comp_targetILNS1_3genE4ELNS1_11target_archE910ELNS1_3gpuE8ELNS1_3repE0EEENS1_30default_config_static_selectorELNS0_4arch9wavefront6targetE1EEEvSV_
                                        ; -- End function
	.set _ZN7rocprim17ROCPRIM_400000_NS6detail17trampoline_kernelINS0_13select_configILj256ELj13ELNS0_17block_load_methodE3ELS4_3ELS4_3ELNS0_20block_scan_algorithmE0ELj4294967295EEENS1_25partition_config_selectorILNS1_17partition_subalgoE3EjNS0_10empty_typeEbEEZZNS1_14partition_implILS8_3ELb0ES6_jNS0_17counting_iteratorIjlEEPS9_SE_NS0_5tupleIJPjSE_EEENSF_IJSE_SE_EEES9_SG_JZNS1_25segmented_radix_sort_implINS0_14default_configELb0EPKlPlSM_SN_N2at6native12_GLOBAL__N_18offset_tEEE10hipError_tPvRmT1_PNSt15iterator_traitsISV_E10value_typeET2_T3_PNSW_IS11_E10value_typeET4_jRbjT5_S17_jjP12ihipStream_tbEUljE_EEESS_ST_SU_S11_S15_S17_T6_T7_T9_mT8_S19_bDpT10_ENKUlT_T0_E_clISt17integral_constantIbLb1EES1L_IbLb0EEEEDaS1H_S1I_EUlS1H_E_NS1_11comp_targetILNS1_3genE4ELNS1_11target_archE910ELNS1_3gpuE8ELNS1_3repE0EEENS1_30default_config_static_selectorELNS0_4arch9wavefront6targetE1EEEvSV_.num_vgpr, 0
	.set _ZN7rocprim17ROCPRIM_400000_NS6detail17trampoline_kernelINS0_13select_configILj256ELj13ELNS0_17block_load_methodE3ELS4_3ELS4_3ELNS0_20block_scan_algorithmE0ELj4294967295EEENS1_25partition_config_selectorILNS1_17partition_subalgoE3EjNS0_10empty_typeEbEEZZNS1_14partition_implILS8_3ELb0ES6_jNS0_17counting_iteratorIjlEEPS9_SE_NS0_5tupleIJPjSE_EEENSF_IJSE_SE_EEES9_SG_JZNS1_25segmented_radix_sort_implINS0_14default_configELb0EPKlPlSM_SN_N2at6native12_GLOBAL__N_18offset_tEEE10hipError_tPvRmT1_PNSt15iterator_traitsISV_E10value_typeET2_T3_PNSW_IS11_E10value_typeET4_jRbjT5_S17_jjP12ihipStream_tbEUljE_EEESS_ST_SU_S11_S15_S17_T6_T7_T9_mT8_S19_bDpT10_ENKUlT_T0_E_clISt17integral_constantIbLb1EES1L_IbLb0EEEEDaS1H_S1I_EUlS1H_E_NS1_11comp_targetILNS1_3genE4ELNS1_11target_archE910ELNS1_3gpuE8ELNS1_3repE0EEENS1_30default_config_static_selectorELNS0_4arch9wavefront6targetE1EEEvSV_.num_agpr, 0
	.set _ZN7rocprim17ROCPRIM_400000_NS6detail17trampoline_kernelINS0_13select_configILj256ELj13ELNS0_17block_load_methodE3ELS4_3ELS4_3ELNS0_20block_scan_algorithmE0ELj4294967295EEENS1_25partition_config_selectorILNS1_17partition_subalgoE3EjNS0_10empty_typeEbEEZZNS1_14partition_implILS8_3ELb0ES6_jNS0_17counting_iteratorIjlEEPS9_SE_NS0_5tupleIJPjSE_EEENSF_IJSE_SE_EEES9_SG_JZNS1_25segmented_radix_sort_implINS0_14default_configELb0EPKlPlSM_SN_N2at6native12_GLOBAL__N_18offset_tEEE10hipError_tPvRmT1_PNSt15iterator_traitsISV_E10value_typeET2_T3_PNSW_IS11_E10value_typeET4_jRbjT5_S17_jjP12ihipStream_tbEUljE_EEESS_ST_SU_S11_S15_S17_T6_T7_T9_mT8_S19_bDpT10_ENKUlT_T0_E_clISt17integral_constantIbLb1EES1L_IbLb0EEEEDaS1H_S1I_EUlS1H_E_NS1_11comp_targetILNS1_3genE4ELNS1_11target_archE910ELNS1_3gpuE8ELNS1_3repE0EEENS1_30default_config_static_selectorELNS0_4arch9wavefront6targetE1EEEvSV_.numbered_sgpr, 0
	.set _ZN7rocprim17ROCPRIM_400000_NS6detail17trampoline_kernelINS0_13select_configILj256ELj13ELNS0_17block_load_methodE3ELS4_3ELS4_3ELNS0_20block_scan_algorithmE0ELj4294967295EEENS1_25partition_config_selectorILNS1_17partition_subalgoE3EjNS0_10empty_typeEbEEZZNS1_14partition_implILS8_3ELb0ES6_jNS0_17counting_iteratorIjlEEPS9_SE_NS0_5tupleIJPjSE_EEENSF_IJSE_SE_EEES9_SG_JZNS1_25segmented_radix_sort_implINS0_14default_configELb0EPKlPlSM_SN_N2at6native12_GLOBAL__N_18offset_tEEE10hipError_tPvRmT1_PNSt15iterator_traitsISV_E10value_typeET2_T3_PNSW_IS11_E10value_typeET4_jRbjT5_S17_jjP12ihipStream_tbEUljE_EEESS_ST_SU_S11_S15_S17_T6_T7_T9_mT8_S19_bDpT10_ENKUlT_T0_E_clISt17integral_constantIbLb1EES1L_IbLb0EEEEDaS1H_S1I_EUlS1H_E_NS1_11comp_targetILNS1_3genE4ELNS1_11target_archE910ELNS1_3gpuE8ELNS1_3repE0EEENS1_30default_config_static_selectorELNS0_4arch9wavefront6targetE1EEEvSV_.num_named_barrier, 0
	.set _ZN7rocprim17ROCPRIM_400000_NS6detail17trampoline_kernelINS0_13select_configILj256ELj13ELNS0_17block_load_methodE3ELS4_3ELS4_3ELNS0_20block_scan_algorithmE0ELj4294967295EEENS1_25partition_config_selectorILNS1_17partition_subalgoE3EjNS0_10empty_typeEbEEZZNS1_14partition_implILS8_3ELb0ES6_jNS0_17counting_iteratorIjlEEPS9_SE_NS0_5tupleIJPjSE_EEENSF_IJSE_SE_EEES9_SG_JZNS1_25segmented_radix_sort_implINS0_14default_configELb0EPKlPlSM_SN_N2at6native12_GLOBAL__N_18offset_tEEE10hipError_tPvRmT1_PNSt15iterator_traitsISV_E10value_typeET2_T3_PNSW_IS11_E10value_typeET4_jRbjT5_S17_jjP12ihipStream_tbEUljE_EEESS_ST_SU_S11_S15_S17_T6_T7_T9_mT8_S19_bDpT10_ENKUlT_T0_E_clISt17integral_constantIbLb1EES1L_IbLb0EEEEDaS1H_S1I_EUlS1H_E_NS1_11comp_targetILNS1_3genE4ELNS1_11target_archE910ELNS1_3gpuE8ELNS1_3repE0EEENS1_30default_config_static_selectorELNS0_4arch9wavefront6targetE1EEEvSV_.private_seg_size, 0
	.set _ZN7rocprim17ROCPRIM_400000_NS6detail17trampoline_kernelINS0_13select_configILj256ELj13ELNS0_17block_load_methodE3ELS4_3ELS4_3ELNS0_20block_scan_algorithmE0ELj4294967295EEENS1_25partition_config_selectorILNS1_17partition_subalgoE3EjNS0_10empty_typeEbEEZZNS1_14partition_implILS8_3ELb0ES6_jNS0_17counting_iteratorIjlEEPS9_SE_NS0_5tupleIJPjSE_EEENSF_IJSE_SE_EEES9_SG_JZNS1_25segmented_radix_sort_implINS0_14default_configELb0EPKlPlSM_SN_N2at6native12_GLOBAL__N_18offset_tEEE10hipError_tPvRmT1_PNSt15iterator_traitsISV_E10value_typeET2_T3_PNSW_IS11_E10value_typeET4_jRbjT5_S17_jjP12ihipStream_tbEUljE_EEESS_ST_SU_S11_S15_S17_T6_T7_T9_mT8_S19_bDpT10_ENKUlT_T0_E_clISt17integral_constantIbLb1EES1L_IbLb0EEEEDaS1H_S1I_EUlS1H_E_NS1_11comp_targetILNS1_3genE4ELNS1_11target_archE910ELNS1_3gpuE8ELNS1_3repE0EEENS1_30default_config_static_selectorELNS0_4arch9wavefront6targetE1EEEvSV_.uses_vcc, 0
	.set _ZN7rocprim17ROCPRIM_400000_NS6detail17trampoline_kernelINS0_13select_configILj256ELj13ELNS0_17block_load_methodE3ELS4_3ELS4_3ELNS0_20block_scan_algorithmE0ELj4294967295EEENS1_25partition_config_selectorILNS1_17partition_subalgoE3EjNS0_10empty_typeEbEEZZNS1_14partition_implILS8_3ELb0ES6_jNS0_17counting_iteratorIjlEEPS9_SE_NS0_5tupleIJPjSE_EEENSF_IJSE_SE_EEES9_SG_JZNS1_25segmented_radix_sort_implINS0_14default_configELb0EPKlPlSM_SN_N2at6native12_GLOBAL__N_18offset_tEEE10hipError_tPvRmT1_PNSt15iterator_traitsISV_E10value_typeET2_T3_PNSW_IS11_E10value_typeET4_jRbjT5_S17_jjP12ihipStream_tbEUljE_EEESS_ST_SU_S11_S15_S17_T6_T7_T9_mT8_S19_bDpT10_ENKUlT_T0_E_clISt17integral_constantIbLb1EES1L_IbLb0EEEEDaS1H_S1I_EUlS1H_E_NS1_11comp_targetILNS1_3genE4ELNS1_11target_archE910ELNS1_3gpuE8ELNS1_3repE0EEENS1_30default_config_static_selectorELNS0_4arch9wavefront6targetE1EEEvSV_.uses_flat_scratch, 0
	.set _ZN7rocprim17ROCPRIM_400000_NS6detail17trampoline_kernelINS0_13select_configILj256ELj13ELNS0_17block_load_methodE3ELS4_3ELS4_3ELNS0_20block_scan_algorithmE0ELj4294967295EEENS1_25partition_config_selectorILNS1_17partition_subalgoE3EjNS0_10empty_typeEbEEZZNS1_14partition_implILS8_3ELb0ES6_jNS0_17counting_iteratorIjlEEPS9_SE_NS0_5tupleIJPjSE_EEENSF_IJSE_SE_EEES9_SG_JZNS1_25segmented_radix_sort_implINS0_14default_configELb0EPKlPlSM_SN_N2at6native12_GLOBAL__N_18offset_tEEE10hipError_tPvRmT1_PNSt15iterator_traitsISV_E10value_typeET2_T3_PNSW_IS11_E10value_typeET4_jRbjT5_S17_jjP12ihipStream_tbEUljE_EEESS_ST_SU_S11_S15_S17_T6_T7_T9_mT8_S19_bDpT10_ENKUlT_T0_E_clISt17integral_constantIbLb1EES1L_IbLb0EEEEDaS1H_S1I_EUlS1H_E_NS1_11comp_targetILNS1_3genE4ELNS1_11target_archE910ELNS1_3gpuE8ELNS1_3repE0EEENS1_30default_config_static_selectorELNS0_4arch9wavefront6targetE1EEEvSV_.has_dyn_sized_stack, 0
	.set _ZN7rocprim17ROCPRIM_400000_NS6detail17trampoline_kernelINS0_13select_configILj256ELj13ELNS0_17block_load_methodE3ELS4_3ELS4_3ELNS0_20block_scan_algorithmE0ELj4294967295EEENS1_25partition_config_selectorILNS1_17partition_subalgoE3EjNS0_10empty_typeEbEEZZNS1_14partition_implILS8_3ELb0ES6_jNS0_17counting_iteratorIjlEEPS9_SE_NS0_5tupleIJPjSE_EEENSF_IJSE_SE_EEES9_SG_JZNS1_25segmented_radix_sort_implINS0_14default_configELb0EPKlPlSM_SN_N2at6native12_GLOBAL__N_18offset_tEEE10hipError_tPvRmT1_PNSt15iterator_traitsISV_E10value_typeET2_T3_PNSW_IS11_E10value_typeET4_jRbjT5_S17_jjP12ihipStream_tbEUljE_EEESS_ST_SU_S11_S15_S17_T6_T7_T9_mT8_S19_bDpT10_ENKUlT_T0_E_clISt17integral_constantIbLb1EES1L_IbLb0EEEEDaS1H_S1I_EUlS1H_E_NS1_11comp_targetILNS1_3genE4ELNS1_11target_archE910ELNS1_3gpuE8ELNS1_3repE0EEENS1_30default_config_static_selectorELNS0_4arch9wavefront6targetE1EEEvSV_.has_recursion, 0
	.set _ZN7rocprim17ROCPRIM_400000_NS6detail17trampoline_kernelINS0_13select_configILj256ELj13ELNS0_17block_load_methodE3ELS4_3ELS4_3ELNS0_20block_scan_algorithmE0ELj4294967295EEENS1_25partition_config_selectorILNS1_17partition_subalgoE3EjNS0_10empty_typeEbEEZZNS1_14partition_implILS8_3ELb0ES6_jNS0_17counting_iteratorIjlEEPS9_SE_NS0_5tupleIJPjSE_EEENSF_IJSE_SE_EEES9_SG_JZNS1_25segmented_radix_sort_implINS0_14default_configELb0EPKlPlSM_SN_N2at6native12_GLOBAL__N_18offset_tEEE10hipError_tPvRmT1_PNSt15iterator_traitsISV_E10value_typeET2_T3_PNSW_IS11_E10value_typeET4_jRbjT5_S17_jjP12ihipStream_tbEUljE_EEESS_ST_SU_S11_S15_S17_T6_T7_T9_mT8_S19_bDpT10_ENKUlT_T0_E_clISt17integral_constantIbLb1EES1L_IbLb0EEEEDaS1H_S1I_EUlS1H_E_NS1_11comp_targetILNS1_3genE4ELNS1_11target_archE910ELNS1_3gpuE8ELNS1_3repE0EEENS1_30default_config_static_selectorELNS0_4arch9wavefront6targetE1EEEvSV_.has_indirect_call, 0
	.section	.AMDGPU.csdata,"",@progbits
; Kernel info:
; codeLenInByte = 0
; TotalNumSgprs: 4
; NumVgprs: 0
; ScratchSize: 0
; MemoryBound: 0
; FloatMode: 240
; IeeeMode: 1
; LDSByteSize: 0 bytes/workgroup (compile time only)
; SGPRBlocks: 0
; VGPRBlocks: 0
; NumSGPRsForWavesPerEU: 4
; NumVGPRsForWavesPerEU: 1
; Occupancy: 10
; WaveLimiterHint : 0
; COMPUTE_PGM_RSRC2:SCRATCH_EN: 0
; COMPUTE_PGM_RSRC2:USER_SGPR: 6
; COMPUTE_PGM_RSRC2:TRAP_HANDLER: 0
; COMPUTE_PGM_RSRC2:TGID_X_EN: 1
; COMPUTE_PGM_RSRC2:TGID_Y_EN: 0
; COMPUTE_PGM_RSRC2:TGID_Z_EN: 0
; COMPUTE_PGM_RSRC2:TIDIG_COMP_CNT: 0
	.section	.text._ZN7rocprim17ROCPRIM_400000_NS6detail17trampoline_kernelINS0_13select_configILj256ELj13ELNS0_17block_load_methodE3ELS4_3ELS4_3ELNS0_20block_scan_algorithmE0ELj4294967295EEENS1_25partition_config_selectorILNS1_17partition_subalgoE3EjNS0_10empty_typeEbEEZZNS1_14partition_implILS8_3ELb0ES6_jNS0_17counting_iteratorIjlEEPS9_SE_NS0_5tupleIJPjSE_EEENSF_IJSE_SE_EEES9_SG_JZNS1_25segmented_radix_sort_implINS0_14default_configELb0EPKlPlSM_SN_N2at6native12_GLOBAL__N_18offset_tEEE10hipError_tPvRmT1_PNSt15iterator_traitsISV_E10value_typeET2_T3_PNSW_IS11_E10value_typeET4_jRbjT5_S17_jjP12ihipStream_tbEUljE_EEESS_ST_SU_S11_S15_S17_T6_T7_T9_mT8_S19_bDpT10_ENKUlT_T0_E_clISt17integral_constantIbLb1EES1L_IbLb0EEEEDaS1H_S1I_EUlS1H_E_NS1_11comp_targetILNS1_3genE3ELNS1_11target_archE908ELNS1_3gpuE7ELNS1_3repE0EEENS1_30default_config_static_selectorELNS0_4arch9wavefront6targetE1EEEvSV_,"axG",@progbits,_ZN7rocprim17ROCPRIM_400000_NS6detail17trampoline_kernelINS0_13select_configILj256ELj13ELNS0_17block_load_methodE3ELS4_3ELS4_3ELNS0_20block_scan_algorithmE0ELj4294967295EEENS1_25partition_config_selectorILNS1_17partition_subalgoE3EjNS0_10empty_typeEbEEZZNS1_14partition_implILS8_3ELb0ES6_jNS0_17counting_iteratorIjlEEPS9_SE_NS0_5tupleIJPjSE_EEENSF_IJSE_SE_EEES9_SG_JZNS1_25segmented_radix_sort_implINS0_14default_configELb0EPKlPlSM_SN_N2at6native12_GLOBAL__N_18offset_tEEE10hipError_tPvRmT1_PNSt15iterator_traitsISV_E10value_typeET2_T3_PNSW_IS11_E10value_typeET4_jRbjT5_S17_jjP12ihipStream_tbEUljE_EEESS_ST_SU_S11_S15_S17_T6_T7_T9_mT8_S19_bDpT10_ENKUlT_T0_E_clISt17integral_constantIbLb1EES1L_IbLb0EEEEDaS1H_S1I_EUlS1H_E_NS1_11comp_targetILNS1_3genE3ELNS1_11target_archE908ELNS1_3gpuE7ELNS1_3repE0EEENS1_30default_config_static_selectorELNS0_4arch9wavefront6targetE1EEEvSV_,comdat
	.globl	_ZN7rocprim17ROCPRIM_400000_NS6detail17trampoline_kernelINS0_13select_configILj256ELj13ELNS0_17block_load_methodE3ELS4_3ELS4_3ELNS0_20block_scan_algorithmE0ELj4294967295EEENS1_25partition_config_selectorILNS1_17partition_subalgoE3EjNS0_10empty_typeEbEEZZNS1_14partition_implILS8_3ELb0ES6_jNS0_17counting_iteratorIjlEEPS9_SE_NS0_5tupleIJPjSE_EEENSF_IJSE_SE_EEES9_SG_JZNS1_25segmented_radix_sort_implINS0_14default_configELb0EPKlPlSM_SN_N2at6native12_GLOBAL__N_18offset_tEEE10hipError_tPvRmT1_PNSt15iterator_traitsISV_E10value_typeET2_T3_PNSW_IS11_E10value_typeET4_jRbjT5_S17_jjP12ihipStream_tbEUljE_EEESS_ST_SU_S11_S15_S17_T6_T7_T9_mT8_S19_bDpT10_ENKUlT_T0_E_clISt17integral_constantIbLb1EES1L_IbLb0EEEEDaS1H_S1I_EUlS1H_E_NS1_11comp_targetILNS1_3genE3ELNS1_11target_archE908ELNS1_3gpuE7ELNS1_3repE0EEENS1_30default_config_static_selectorELNS0_4arch9wavefront6targetE1EEEvSV_ ; -- Begin function _ZN7rocprim17ROCPRIM_400000_NS6detail17trampoline_kernelINS0_13select_configILj256ELj13ELNS0_17block_load_methodE3ELS4_3ELS4_3ELNS0_20block_scan_algorithmE0ELj4294967295EEENS1_25partition_config_selectorILNS1_17partition_subalgoE3EjNS0_10empty_typeEbEEZZNS1_14partition_implILS8_3ELb0ES6_jNS0_17counting_iteratorIjlEEPS9_SE_NS0_5tupleIJPjSE_EEENSF_IJSE_SE_EEES9_SG_JZNS1_25segmented_radix_sort_implINS0_14default_configELb0EPKlPlSM_SN_N2at6native12_GLOBAL__N_18offset_tEEE10hipError_tPvRmT1_PNSt15iterator_traitsISV_E10value_typeET2_T3_PNSW_IS11_E10value_typeET4_jRbjT5_S17_jjP12ihipStream_tbEUljE_EEESS_ST_SU_S11_S15_S17_T6_T7_T9_mT8_S19_bDpT10_ENKUlT_T0_E_clISt17integral_constantIbLb1EES1L_IbLb0EEEEDaS1H_S1I_EUlS1H_E_NS1_11comp_targetILNS1_3genE3ELNS1_11target_archE908ELNS1_3gpuE7ELNS1_3repE0EEENS1_30default_config_static_selectorELNS0_4arch9wavefront6targetE1EEEvSV_
	.p2align	8
	.type	_ZN7rocprim17ROCPRIM_400000_NS6detail17trampoline_kernelINS0_13select_configILj256ELj13ELNS0_17block_load_methodE3ELS4_3ELS4_3ELNS0_20block_scan_algorithmE0ELj4294967295EEENS1_25partition_config_selectorILNS1_17partition_subalgoE3EjNS0_10empty_typeEbEEZZNS1_14partition_implILS8_3ELb0ES6_jNS0_17counting_iteratorIjlEEPS9_SE_NS0_5tupleIJPjSE_EEENSF_IJSE_SE_EEES9_SG_JZNS1_25segmented_radix_sort_implINS0_14default_configELb0EPKlPlSM_SN_N2at6native12_GLOBAL__N_18offset_tEEE10hipError_tPvRmT1_PNSt15iterator_traitsISV_E10value_typeET2_T3_PNSW_IS11_E10value_typeET4_jRbjT5_S17_jjP12ihipStream_tbEUljE_EEESS_ST_SU_S11_S15_S17_T6_T7_T9_mT8_S19_bDpT10_ENKUlT_T0_E_clISt17integral_constantIbLb1EES1L_IbLb0EEEEDaS1H_S1I_EUlS1H_E_NS1_11comp_targetILNS1_3genE3ELNS1_11target_archE908ELNS1_3gpuE7ELNS1_3repE0EEENS1_30default_config_static_selectorELNS0_4arch9wavefront6targetE1EEEvSV_,@function
_ZN7rocprim17ROCPRIM_400000_NS6detail17trampoline_kernelINS0_13select_configILj256ELj13ELNS0_17block_load_methodE3ELS4_3ELS4_3ELNS0_20block_scan_algorithmE0ELj4294967295EEENS1_25partition_config_selectorILNS1_17partition_subalgoE3EjNS0_10empty_typeEbEEZZNS1_14partition_implILS8_3ELb0ES6_jNS0_17counting_iteratorIjlEEPS9_SE_NS0_5tupleIJPjSE_EEENSF_IJSE_SE_EEES9_SG_JZNS1_25segmented_radix_sort_implINS0_14default_configELb0EPKlPlSM_SN_N2at6native12_GLOBAL__N_18offset_tEEE10hipError_tPvRmT1_PNSt15iterator_traitsISV_E10value_typeET2_T3_PNSW_IS11_E10value_typeET4_jRbjT5_S17_jjP12ihipStream_tbEUljE_EEESS_ST_SU_S11_S15_S17_T6_T7_T9_mT8_S19_bDpT10_ENKUlT_T0_E_clISt17integral_constantIbLb1EES1L_IbLb0EEEEDaS1H_S1I_EUlS1H_E_NS1_11comp_targetILNS1_3genE3ELNS1_11target_archE908ELNS1_3gpuE7ELNS1_3repE0EEENS1_30default_config_static_selectorELNS0_4arch9wavefront6targetE1EEEvSV_: ; @_ZN7rocprim17ROCPRIM_400000_NS6detail17trampoline_kernelINS0_13select_configILj256ELj13ELNS0_17block_load_methodE3ELS4_3ELS4_3ELNS0_20block_scan_algorithmE0ELj4294967295EEENS1_25partition_config_selectorILNS1_17partition_subalgoE3EjNS0_10empty_typeEbEEZZNS1_14partition_implILS8_3ELb0ES6_jNS0_17counting_iteratorIjlEEPS9_SE_NS0_5tupleIJPjSE_EEENSF_IJSE_SE_EEES9_SG_JZNS1_25segmented_radix_sort_implINS0_14default_configELb0EPKlPlSM_SN_N2at6native12_GLOBAL__N_18offset_tEEE10hipError_tPvRmT1_PNSt15iterator_traitsISV_E10value_typeET2_T3_PNSW_IS11_E10value_typeET4_jRbjT5_S17_jjP12ihipStream_tbEUljE_EEESS_ST_SU_S11_S15_S17_T6_T7_T9_mT8_S19_bDpT10_ENKUlT_T0_E_clISt17integral_constantIbLb1EES1L_IbLb0EEEEDaS1H_S1I_EUlS1H_E_NS1_11comp_targetILNS1_3genE3ELNS1_11target_archE908ELNS1_3gpuE7ELNS1_3repE0EEENS1_30default_config_static_selectorELNS0_4arch9wavefront6targetE1EEEvSV_
; %bb.0:
	.section	.rodata,"a",@progbits
	.p2align	6, 0x0
	.amdhsa_kernel _ZN7rocprim17ROCPRIM_400000_NS6detail17trampoline_kernelINS0_13select_configILj256ELj13ELNS0_17block_load_methodE3ELS4_3ELS4_3ELNS0_20block_scan_algorithmE0ELj4294967295EEENS1_25partition_config_selectorILNS1_17partition_subalgoE3EjNS0_10empty_typeEbEEZZNS1_14partition_implILS8_3ELb0ES6_jNS0_17counting_iteratorIjlEEPS9_SE_NS0_5tupleIJPjSE_EEENSF_IJSE_SE_EEES9_SG_JZNS1_25segmented_radix_sort_implINS0_14default_configELb0EPKlPlSM_SN_N2at6native12_GLOBAL__N_18offset_tEEE10hipError_tPvRmT1_PNSt15iterator_traitsISV_E10value_typeET2_T3_PNSW_IS11_E10value_typeET4_jRbjT5_S17_jjP12ihipStream_tbEUljE_EEESS_ST_SU_S11_S15_S17_T6_T7_T9_mT8_S19_bDpT10_ENKUlT_T0_E_clISt17integral_constantIbLb1EES1L_IbLb0EEEEDaS1H_S1I_EUlS1H_E_NS1_11comp_targetILNS1_3genE3ELNS1_11target_archE908ELNS1_3gpuE7ELNS1_3repE0EEENS1_30default_config_static_selectorELNS0_4arch9wavefront6targetE1EEEvSV_
		.amdhsa_group_segment_fixed_size 0
		.amdhsa_private_segment_fixed_size 0
		.amdhsa_kernarg_size 144
		.amdhsa_user_sgpr_count 6
		.amdhsa_user_sgpr_private_segment_buffer 1
		.amdhsa_user_sgpr_dispatch_ptr 0
		.amdhsa_user_sgpr_queue_ptr 0
		.amdhsa_user_sgpr_kernarg_segment_ptr 1
		.amdhsa_user_sgpr_dispatch_id 0
		.amdhsa_user_sgpr_flat_scratch_init 0
		.amdhsa_user_sgpr_private_segment_size 0
		.amdhsa_uses_dynamic_stack 0
		.amdhsa_system_sgpr_private_segment_wavefront_offset 0
		.amdhsa_system_sgpr_workgroup_id_x 1
		.amdhsa_system_sgpr_workgroup_id_y 0
		.amdhsa_system_sgpr_workgroup_id_z 0
		.amdhsa_system_sgpr_workgroup_info 0
		.amdhsa_system_vgpr_workitem_id 0
		.amdhsa_next_free_vgpr 1
		.amdhsa_next_free_sgpr 0
		.amdhsa_reserve_vcc 0
		.amdhsa_reserve_flat_scratch 0
		.amdhsa_float_round_mode_32 0
		.amdhsa_float_round_mode_16_64 0
		.amdhsa_float_denorm_mode_32 3
		.amdhsa_float_denorm_mode_16_64 3
		.amdhsa_dx10_clamp 1
		.amdhsa_ieee_mode 1
		.amdhsa_fp16_overflow 0
		.amdhsa_exception_fp_ieee_invalid_op 0
		.amdhsa_exception_fp_denorm_src 0
		.amdhsa_exception_fp_ieee_div_zero 0
		.amdhsa_exception_fp_ieee_overflow 0
		.amdhsa_exception_fp_ieee_underflow 0
		.amdhsa_exception_fp_ieee_inexact 0
		.amdhsa_exception_int_div_zero 0
	.end_amdhsa_kernel
	.section	.text._ZN7rocprim17ROCPRIM_400000_NS6detail17trampoline_kernelINS0_13select_configILj256ELj13ELNS0_17block_load_methodE3ELS4_3ELS4_3ELNS0_20block_scan_algorithmE0ELj4294967295EEENS1_25partition_config_selectorILNS1_17partition_subalgoE3EjNS0_10empty_typeEbEEZZNS1_14partition_implILS8_3ELb0ES6_jNS0_17counting_iteratorIjlEEPS9_SE_NS0_5tupleIJPjSE_EEENSF_IJSE_SE_EEES9_SG_JZNS1_25segmented_radix_sort_implINS0_14default_configELb0EPKlPlSM_SN_N2at6native12_GLOBAL__N_18offset_tEEE10hipError_tPvRmT1_PNSt15iterator_traitsISV_E10value_typeET2_T3_PNSW_IS11_E10value_typeET4_jRbjT5_S17_jjP12ihipStream_tbEUljE_EEESS_ST_SU_S11_S15_S17_T6_T7_T9_mT8_S19_bDpT10_ENKUlT_T0_E_clISt17integral_constantIbLb1EES1L_IbLb0EEEEDaS1H_S1I_EUlS1H_E_NS1_11comp_targetILNS1_3genE3ELNS1_11target_archE908ELNS1_3gpuE7ELNS1_3repE0EEENS1_30default_config_static_selectorELNS0_4arch9wavefront6targetE1EEEvSV_,"axG",@progbits,_ZN7rocprim17ROCPRIM_400000_NS6detail17trampoline_kernelINS0_13select_configILj256ELj13ELNS0_17block_load_methodE3ELS4_3ELS4_3ELNS0_20block_scan_algorithmE0ELj4294967295EEENS1_25partition_config_selectorILNS1_17partition_subalgoE3EjNS0_10empty_typeEbEEZZNS1_14partition_implILS8_3ELb0ES6_jNS0_17counting_iteratorIjlEEPS9_SE_NS0_5tupleIJPjSE_EEENSF_IJSE_SE_EEES9_SG_JZNS1_25segmented_radix_sort_implINS0_14default_configELb0EPKlPlSM_SN_N2at6native12_GLOBAL__N_18offset_tEEE10hipError_tPvRmT1_PNSt15iterator_traitsISV_E10value_typeET2_T3_PNSW_IS11_E10value_typeET4_jRbjT5_S17_jjP12ihipStream_tbEUljE_EEESS_ST_SU_S11_S15_S17_T6_T7_T9_mT8_S19_bDpT10_ENKUlT_T0_E_clISt17integral_constantIbLb1EES1L_IbLb0EEEEDaS1H_S1I_EUlS1H_E_NS1_11comp_targetILNS1_3genE3ELNS1_11target_archE908ELNS1_3gpuE7ELNS1_3repE0EEENS1_30default_config_static_selectorELNS0_4arch9wavefront6targetE1EEEvSV_,comdat
.Lfunc_end794:
	.size	_ZN7rocprim17ROCPRIM_400000_NS6detail17trampoline_kernelINS0_13select_configILj256ELj13ELNS0_17block_load_methodE3ELS4_3ELS4_3ELNS0_20block_scan_algorithmE0ELj4294967295EEENS1_25partition_config_selectorILNS1_17partition_subalgoE3EjNS0_10empty_typeEbEEZZNS1_14partition_implILS8_3ELb0ES6_jNS0_17counting_iteratorIjlEEPS9_SE_NS0_5tupleIJPjSE_EEENSF_IJSE_SE_EEES9_SG_JZNS1_25segmented_radix_sort_implINS0_14default_configELb0EPKlPlSM_SN_N2at6native12_GLOBAL__N_18offset_tEEE10hipError_tPvRmT1_PNSt15iterator_traitsISV_E10value_typeET2_T3_PNSW_IS11_E10value_typeET4_jRbjT5_S17_jjP12ihipStream_tbEUljE_EEESS_ST_SU_S11_S15_S17_T6_T7_T9_mT8_S19_bDpT10_ENKUlT_T0_E_clISt17integral_constantIbLb1EES1L_IbLb0EEEEDaS1H_S1I_EUlS1H_E_NS1_11comp_targetILNS1_3genE3ELNS1_11target_archE908ELNS1_3gpuE7ELNS1_3repE0EEENS1_30default_config_static_selectorELNS0_4arch9wavefront6targetE1EEEvSV_, .Lfunc_end794-_ZN7rocprim17ROCPRIM_400000_NS6detail17trampoline_kernelINS0_13select_configILj256ELj13ELNS0_17block_load_methodE3ELS4_3ELS4_3ELNS0_20block_scan_algorithmE0ELj4294967295EEENS1_25partition_config_selectorILNS1_17partition_subalgoE3EjNS0_10empty_typeEbEEZZNS1_14partition_implILS8_3ELb0ES6_jNS0_17counting_iteratorIjlEEPS9_SE_NS0_5tupleIJPjSE_EEENSF_IJSE_SE_EEES9_SG_JZNS1_25segmented_radix_sort_implINS0_14default_configELb0EPKlPlSM_SN_N2at6native12_GLOBAL__N_18offset_tEEE10hipError_tPvRmT1_PNSt15iterator_traitsISV_E10value_typeET2_T3_PNSW_IS11_E10value_typeET4_jRbjT5_S17_jjP12ihipStream_tbEUljE_EEESS_ST_SU_S11_S15_S17_T6_T7_T9_mT8_S19_bDpT10_ENKUlT_T0_E_clISt17integral_constantIbLb1EES1L_IbLb0EEEEDaS1H_S1I_EUlS1H_E_NS1_11comp_targetILNS1_3genE3ELNS1_11target_archE908ELNS1_3gpuE7ELNS1_3repE0EEENS1_30default_config_static_selectorELNS0_4arch9wavefront6targetE1EEEvSV_
                                        ; -- End function
	.set _ZN7rocprim17ROCPRIM_400000_NS6detail17trampoline_kernelINS0_13select_configILj256ELj13ELNS0_17block_load_methodE3ELS4_3ELS4_3ELNS0_20block_scan_algorithmE0ELj4294967295EEENS1_25partition_config_selectorILNS1_17partition_subalgoE3EjNS0_10empty_typeEbEEZZNS1_14partition_implILS8_3ELb0ES6_jNS0_17counting_iteratorIjlEEPS9_SE_NS0_5tupleIJPjSE_EEENSF_IJSE_SE_EEES9_SG_JZNS1_25segmented_radix_sort_implINS0_14default_configELb0EPKlPlSM_SN_N2at6native12_GLOBAL__N_18offset_tEEE10hipError_tPvRmT1_PNSt15iterator_traitsISV_E10value_typeET2_T3_PNSW_IS11_E10value_typeET4_jRbjT5_S17_jjP12ihipStream_tbEUljE_EEESS_ST_SU_S11_S15_S17_T6_T7_T9_mT8_S19_bDpT10_ENKUlT_T0_E_clISt17integral_constantIbLb1EES1L_IbLb0EEEEDaS1H_S1I_EUlS1H_E_NS1_11comp_targetILNS1_3genE3ELNS1_11target_archE908ELNS1_3gpuE7ELNS1_3repE0EEENS1_30default_config_static_selectorELNS0_4arch9wavefront6targetE1EEEvSV_.num_vgpr, 0
	.set _ZN7rocprim17ROCPRIM_400000_NS6detail17trampoline_kernelINS0_13select_configILj256ELj13ELNS0_17block_load_methodE3ELS4_3ELS4_3ELNS0_20block_scan_algorithmE0ELj4294967295EEENS1_25partition_config_selectorILNS1_17partition_subalgoE3EjNS0_10empty_typeEbEEZZNS1_14partition_implILS8_3ELb0ES6_jNS0_17counting_iteratorIjlEEPS9_SE_NS0_5tupleIJPjSE_EEENSF_IJSE_SE_EEES9_SG_JZNS1_25segmented_radix_sort_implINS0_14default_configELb0EPKlPlSM_SN_N2at6native12_GLOBAL__N_18offset_tEEE10hipError_tPvRmT1_PNSt15iterator_traitsISV_E10value_typeET2_T3_PNSW_IS11_E10value_typeET4_jRbjT5_S17_jjP12ihipStream_tbEUljE_EEESS_ST_SU_S11_S15_S17_T6_T7_T9_mT8_S19_bDpT10_ENKUlT_T0_E_clISt17integral_constantIbLb1EES1L_IbLb0EEEEDaS1H_S1I_EUlS1H_E_NS1_11comp_targetILNS1_3genE3ELNS1_11target_archE908ELNS1_3gpuE7ELNS1_3repE0EEENS1_30default_config_static_selectorELNS0_4arch9wavefront6targetE1EEEvSV_.num_agpr, 0
	.set _ZN7rocprim17ROCPRIM_400000_NS6detail17trampoline_kernelINS0_13select_configILj256ELj13ELNS0_17block_load_methodE3ELS4_3ELS4_3ELNS0_20block_scan_algorithmE0ELj4294967295EEENS1_25partition_config_selectorILNS1_17partition_subalgoE3EjNS0_10empty_typeEbEEZZNS1_14partition_implILS8_3ELb0ES6_jNS0_17counting_iteratorIjlEEPS9_SE_NS0_5tupleIJPjSE_EEENSF_IJSE_SE_EEES9_SG_JZNS1_25segmented_radix_sort_implINS0_14default_configELb0EPKlPlSM_SN_N2at6native12_GLOBAL__N_18offset_tEEE10hipError_tPvRmT1_PNSt15iterator_traitsISV_E10value_typeET2_T3_PNSW_IS11_E10value_typeET4_jRbjT5_S17_jjP12ihipStream_tbEUljE_EEESS_ST_SU_S11_S15_S17_T6_T7_T9_mT8_S19_bDpT10_ENKUlT_T0_E_clISt17integral_constantIbLb1EES1L_IbLb0EEEEDaS1H_S1I_EUlS1H_E_NS1_11comp_targetILNS1_3genE3ELNS1_11target_archE908ELNS1_3gpuE7ELNS1_3repE0EEENS1_30default_config_static_selectorELNS0_4arch9wavefront6targetE1EEEvSV_.numbered_sgpr, 0
	.set _ZN7rocprim17ROCPRIM_400000_NS6detail17trampoline_kernelINS0_13select_configILj256ELj13ELNS0_17block_load_methodE3ELS4_3ELS4_3ELNS0_20block_scan_algorithmE0ELj4294967295EEENS1_25partition_config_selectorILNS1_17partition_subalgoE3EjNS0_10empty_typeEbEEZZNS1_14partition_implILS8_3ELb0ES6_jNS0_17counting_iteratorIjlEEPS9_SE_NS0_5tupleIJPjSE_EEENSF_IJSE_SE_EEES9_SG_JZNS1_25segmented_radix_sort_implINS0_14default_configELb0EPKlPlSM_SN_N2at6native12_GLOBAL__N_18offset_tEEE10hipError_tPvRmT1_PNSt15iterator_traitsISV_E10value_typeET2_T3_PNSW_IS11_E10value_typeET4_jRbjT5_S17_jjP12ihipStream_tbEUljE_EEESS_ST_SU_S11_S15_S17_T6_T7_T9_mT8_S19_bDpT10_ENKUlT_T0_E_clISt17integral_constantIbLb1EES1L_IbLb0EEEEDaS1H_S1I_EUlS1H_E_NS1_11comp_targetILNS1_3genE3ELNS1_11target_archE908ELNS1_3gpuE7ELNS1_3repE0EEENS1_30default_config_static_selectorELNS0_4arch9wavefront6targetE1EEEvSV_.num_named_barrier, 0
	.set _ZN7rocprim17ROCPRIM_400000_NS6detail17trampoline_kernelINS0_13select_configILj256ELj13ELNS0_17block_load_methodE3ELS4_3ELS4_3ELNS0_20block_scan_algorithmE0ELj4294967295EEENS1_25partition_config_selectorILNS1_17partition_subalgoE3EjNS0_10empty_typeEbEEZZNS1_14partition_implILS8_3ELb0ES6_jNS0_17counting_iteratorIjlEEPS9_SE_NS0_5tupleIJPjSE_EEENSF_IJSE_SE_EEES9_SG_JZNS1_25segmented_radix_sort_implINS0_14default_configELb0EPKlPlSM_SN_N2at6native12_GLOBAL__N_18offset_tEEE10hipError_tPvRmT1_PNSt15iterator_traitsISV_E10value_typeET2_T3_PNSW_IS11_E10value_typeET4_jRbjT5_S17_jjP12ihipStream_tbEUljE_EEESS_ST_SU_S11_S15_S17_T6_T7_T9_mT8_S19_bDpT10_ENKUlT_T0_E_clISt17integral_constantIbLb1EES1L_IbLb0EEEEDaS1H_S1I_EUlS1H_E_NS1_11comp_targetILNS1_3genE3ELNS1_11target_archE908ELNS1_3gpuE7ELNS1_3repE0EEENS1_30default_config_static_selectorELNS0_4arch9wavefront6targetE1EEEvSV_.private_seg_size, 0
	.set _ZN7rocprim17ROCPRIM_400000_NS6detail17trampoline_kernelINS0_13select_configILj256ELj13ELNS0_17block_load_methodE3ELS4_3ELS4_3ELNS0_20block_scan_algorithmE0ELj4294967295EEENS1_25partition_config_selectorILNS1_17partition_subalgoE3EjNS0_10empty_typeEbEEZZNS1_14partition_implILS8_3ELb0ES6_jNS0_17counting_iteratorIjlEEPS9_SE_NS0_5tupleIJPjSE_EEENSF_IJSE_SE_EEES9_SG_JZNS1_25segmented_radix_sort_implINS0_14default_configELb0EPKlPlSM_SN_N2at6native12_GLOBAL__N_18offset_tEEE10hipError_tPvRmT1_PNSt15iterator_traitsISV_E10value_typeET2_T3_PNSW_IS11_E10value_typeET4_jRbjT5_S17_jjP12ihipStream_tbEUljE_EEESS_ST_SU_S11_S15_S17_T6_T7_T9_mT8_S19_bDpT10_ENKUlT_T0_E_clISt17integral_constantIbLb1EES1L_IbLb0EEEEDaS1H_S1I_EUlS1H_E_NS1_11comp_targetILNS1_3genE3ELNS1_11target_archE908ELNS1_3gpuE7ELNS1_3repE0EEENS1_30default_config_static_selectorELNS0_4arch9wavefront6targetE1EEEvSV_.uses_vcc, 0
	.set _ZN7rocprim17ROCPRIM_400000_NS6detail17trampoline_kernelINS0_13select_configILj256ELj13ELNS0_17block_load_methodE3ELS4_3ELS4_3ELNS0_20block_scan_algorithmE0ELj4294967295EEENS1_25partition_config_selectorILNS1_17partition_subalgoE3EjNS0_10empty_typeEbEEZZNS1_14partition_implILS8_3ELb0ES6_jNS0_17counting_iteratorIjlEEPS9_SE_NS0_5tupleIJPjSE_EEENSF_IJSE_SE_EEES9_SG_JZNS1_25segmented_radix_sort_implINS0_14default_configELb0EPKlPlSM_SN_N2at6native12_GLOBAL__N_18offset_tEEE10hipError_tPvRmT1_PNSt15iterator_traitsISV_E10value_typeET2_T3_PNSW_IS11_E10value_typeET4_jRbjT5_S17_jjP12ihipStream_tbEUljE_EEESS_ST_SU_S11_S15_S17_T6_T7_T9_mT8_S19_bDpT10_ENKUlT_T0_E_clISt17integral_constantIbLb1EES1L_IbLb0EEEEDaS1H_S1I_EUlS1H_E_NS1_11comp_targetILNS1_3genE3ELNS1_11target_archE908ELNS1_3gpuE7ELNS1_3repE0EEENS1_30default_config_static_selectorELNS0_4arch9wavefront6targetE1EEEvSV_.uses_flat_scratch, 0
	.set _ZN7rocprim17ROCPRIM_400000_NS6detail17trampoline_kernelINS0_13select_configILj256ELj13ELNS0_17block_load_methodE3ELS4_3ELS4_3ELNS0_20block_scan_algorithmE0ELj4294967295EEENS1_25partition_config_selectorILNS1_17partition_subalgoE3EjNS0_10empty_typeEbEEZZNS1_14partition_implILS8_3ELb0ES6_jNS0_17counting_iteratorIjlEEPS9_SE_NS0_5tupleIJPjSE_EEENSF_IJSE_SE_EEES9_SG_JZNS1_25segmented_radix_sort_implINS0_14default_configELb0EPKlPlSM_SN_N2at6native12_GLOBAL__N_18offset_tEEE10hipError_tPvRmT1_PNSt15iterator_traitsISV_E10value_typeET2_T3_PNSW_IS11_E10value_typeET4_jRbjT5_S17_jjP12ihipStream_tbEUljE_EEESS_ST_SU_S11_S15_S17_T6_T7_T9_mT8_S19_bDpT10_ENKUlT_T0_E_clISt17integral_constantIbLb1EES1L_IbLb0EEEEDaS1H_S1I_EUlS1H_E_NS1_11comp_targetILNS1_3genE3ELNS1_11target_archE908ELNS1_3gpuE7ELNS1_3repE0EEENS1_30default_config_static_selectorELNS0_4arch9wavefront6targetE1EEEvSV_.has_dyn_sized_stack, 0
	.set _ZN7rocprim17ROCPRIM_400000_NS6detail17trampoline_kernelINS0_13select_configILj256ELj13ELNS0_17block_load_methodE3ELS4_3ELS4_3ELNS0_20block_scan_algorithmE0ELj4294967295EEENS1_25partition_config_selectorILNS1_17partition_subalgoE3EjNS0_10empty_typeEbEEZZNS1_14partition_implILS8_3ELb0ES6_jNS0_17counting_iteratorIjlEEPS9_SE_NS0_5tupleIJPjSE_EEENSF_IJSE_SE_EEES9_SG_JZNS1_25segmented_radix_sort_implINS0_14default_configELb0EPKlPlSM_SN_N2at6native12_GLOBAL__N_18offset_tEEE10hipError_tPvRmT1_PNSt15iterator_traitsISV_E10value_typeET2_T3_PNSW_IS11_E10value_typeET4_jRbjT5_S17_jjP12ihipStream_tbEUljE_EEESS_ST_SU_S11_S15_S17_T6_T7_T9_mT8_S19_bDpT10_ENKUlT_T0_E_clISt17integral_constantIbLb1EES1L_IbLb0EEEEDaS1H_S1I_EUlS1H_E_NS1_11comp_targetILNS1_3genE3ELNS1_11target_archE908ELNS1_3gpuE7ELNS1_3repE0EEENS1_30default_config_static_selectorELNS0_4arch9wavefront6targetE1EEEvSV_.has_recursion, 0
	.set _ZN7rocprim17ROCPRIM_400000_NS6detail17trampoline_kernelINS0_13select_configILj256ELj13ELNS0_17block_load_methodE3ELS4_3ELS4_3ELNS0_20block_scan_algorithmE0ELj4294967295EEENS1_25partition_config_selectorILNS1_17partition_subalgoE3EjNS0_10empty_typeEbEEZZNS1_14partition_implILS8_3ELb0ES6_jNS0_17counting_iteratorIjlEEPS9_SE_NS0_5tupleIJPjSE_EEENSF_IJSE_SE_EEES9_SG_JZNS1_25segmented_radix_sort_implINS0_14default_configELb0EPKlPlSM_SN_N2at6native12_GLOBAL__N_18offset_tEEE10hipError_tPvRmT1_PNSt15iterator_traitsISV_E10value_typeET2_T3_PNSW_IS11_E10value_typeET4_jRbjT5_S17_jjP12ihipStream_tbEUljE_EEESS_ST_SU_S11_S15_S17_T6_T7_T9_mT8_S19_bDpT10_ENKUlT_T0_E_clISt17integral_constantIbLb1EES1L_IbLb0EEEEDaS1H_S1I_EUlS1H_E_NS1_11comp_targetILNS1_3genE3ELNS1_11target_archE908ELNS1_3gpuE7ELNS1_3repE0EEENS1_30default_config_static_selectorELNS0_4arch9wavefront6targetE1EEEvSV_.has_indirect_call, 0
	.section	.AMDGPU.csdata,"",@progbits
; Kernel info:
; codeLenInByte = 0
; TotalNumSgprs: 4
; NumVgprs: 0
; ScratchSize: 0
; MemoryBound: 0
; FloatMode: 240
; IeeeMode: 1
; LDSByteSize: 0 bytes/workgroup (compile time only)
; SGPRBlocks: 0
; VGPRBlocks: 0
; NumSGPRsForWavesPerEU: 4
; NumVGPRsForWavesPerEU: 1
; Occupancy: 10
; WaveLimiterHint : 0
; COMPUTE_PGM_RSRC2:SCRATCH_EN: 0
; COMPUTE_PGM_RSRC2:USER_SGPR: 6
; COMPUTE_PGM_RSRC2:TRAP_HANDLER: 0
; COMPUTE_PGM_RSRC2:TGID_X_EN: 1
; COMPUTE_PGM_RSRC2:TGID_Y_EN: 0
; COMPUTE_PGM_RSRC2:TGID_Z_EN: 0
; COMPUTE_PGM_RSRC2:TIDIG_COMP_CNT: 0
	.section	.text._ZN7rocprim17ROCPRIM_400000_NS6detail17trampoline_kernelINS0_13select_configILj256ELj13ELNS0_17block_load_methodE3ELS4_3ELS4_3ELNS0_20block_scan_algorithmE0ELj4294967295EEENS1_25partition_config_selectorILNS1_17partition_subalgoE3EjNS0_10empty_typeEbEEZZNS1_14partition_implILS8_3ELb0ES6_jNS0_17counting_iteratorIjlEEPS9_SE_NS0_5tupleIJPjSE_EEENSF_IJSE_SE_EEES9_SG_JZNS1_25segmented_radix_sort_implINS0_14default_configELb0EPKlPlSM_SN_N2at6native12_GLOBAL__N_18offset_tEEE10hipError_tPvRmT1_PNSt15iterator_traitsISV_E10value_typeET2_T3_PNSW_IS11_E10value_typeET4_jRbjT5_S17_jjP12ihipStream_tbEUljE_EEESS_ST_SU_S11_S15_S17_T6_T7_T9_mT8_S19_bDpT10_ENKUlT_T0_E_clISt17integral_constantIbLb1EES1L_IbLb0EEEEDaS1H_S1I_EUlS1H_E_NS1_11comp_targetILNS1_3genE2ELNS1_11target_archE906ELNS1_3gpuE6ELNS1_3repE0EEENS1_30default_config_static_selectorELNS0_4arch9wavefront6targetE1EEEvSV_,"axG",@progbits,_ZN7rocprim17ROCPRIM_400000_NS6detail17trampoline_kernelINS0_13select_configILj256ELj13ELNS0_17block_load_methodE3ELS4_3ELS4_3ELNS0_20block_scan_algorithmE0ELj4294967295EEENS1_25partition_config_selectorILNS1_17partition_subalgoE3EjNS0_10empty_typeEbEEZZNS1_14partition_implILS8_3ELb0ES6_jNS0_17counting_iteratorIjlEEPS9_SE_NS0_5tupleIJPjSE_EEENSF_IJSE_SE_EEES9_SG_JZNS1_25segmented_radix_sort_implINS0_14default_configELb0EPKlPlSM_SN_N2at6native12_GLOBAL__N_18offset_tEEE10hipError_tPvRmT1_PNSt15iterator_traitsISV_E10value_typeET2_T3_PNSW_IS11_E10value_typeET4_jRbjT5_S17_jjP12ihipStream_tbEUljE_EEESS_ST_SU_S11_S15_S17_T6_T7_T9_mT8_S19_bDpT10_ENKUlT_T0_E_clISt17integral_constantIbLb1EES1L_IbLb0EEEEDaS1H_S1I_EUlS1H_E_NS1_11comp_targetILNS1_3genE2ELNS1_11target_archE906ELNS1_3gpuE6ELNS1_3repE0EEENS1_30default_config_static_selectorELNS0_4arch9wavefront6targetE1EEEvSV_,comdat
	.globl	_ZN7rocprim17ROCPRIM_400000_NS6detail17trampoline_kernelINS0_13select_configILj256ELj13ELNS0_17block_load_methodE3ELS4_3ELS4_3ELNS0_20block_scan_algorithmE0ELj4294967295EEENS1_25partition_config_selectorILNS1_17partition_subalgoE3EjNS0_10empty_typeEbEEZZNS1_14partition_implILS8_3ELb0ES6_jNS0_17counting_iteratorIjlEEPS9_SE_NS0_5tupleIJPjSE_EEENSF_IJSE_SE_EEES9_SG_JZNS1_25segmented_radix_sort_implINS0_14default_configELb0EPKlPlSM_SN_N2at6native12_GLOBAL__N_18offset_tEEE10hipError_tPvRmT1_PNSt15iterator_traitsISV_E10value_typeET2_T3_PNSW_IS11_E10value_typeET4_jRbjT5_S17_jjP12ihipStream_tbEUljE_EEESS_ST_SU_S11_S15_S17_T6_T7_T9_mT8_S19_bDpT10_ENKUlT_T0_E_clISt17integral_constantIbLb1EES1L_IbLb0EEEEDaS1H_S1I_EUlS1H_E_NS1_11comp_targetILNS1_3genE2ELNS1_11target_archE906ELNS1_3gpuE6ELNS1_3repE0EEENS1_30default_config_static_selectorELNS0_4arch9wavefront6targetE1EEEvSV_ ; -- Begin function _ZN7rocprim17ROCPRIM_400000_NS6detail17trampoline_kernelINS0_13select_configILj256ELj13ELNS0_17block_load_methodE3ELS4_3ELS4_3ELNS0_20block_scan_algorithmE0ELj4294967295EEENS1_25partition_config_selectorILNS1_17partition_subalgoE3EjNS0_10empty_typeEbEEZZNS1_14partition_implILS8_3ELb0ES6_jNS0_17counting_iteratorIjlEEPS9_SE_NS0_5tupleIJPjSE_EEENSF_IJSE_SE_EEES9_SG_JZNS1_25segmented_radix_sort_implINS0_14default_configELb0EPKlPlSM_SN_N2at6native12_GLOBAL__N_18offset_tEEE10hipError_tPvRmT1_PNSt15iterator_traitsISV_E10value_typeET2_T3_PNSW_IS11_E10value_typeET4_jRbjT5_S17_jjP12ihipStream_tbEUljE_EEESS_ST_SU_S11_S15_S17_T6_T7_T9_mT8_S19_bDpT10_ENKUlT_T0_E_clISt17integral_constantIbLb1EES1L_IbLb0EEEEDaS1H_S1I_EUlS1H_E_NS1_11comp_targetILNS1_3genE2ELNS1_11target_archE906ELNS1_3gpuE6ELNS1_3repE0EEENS1_30default_config_static_selectorELNS0_4arch9wavefront6targetE1EEEvSV_
	.p2align	8
	.type	_ZN7rocprim17ROCPRIM_400000_NS6detail17trampoline_kernelINS0_13select_configILj256ELj13ELNS0_17block_load_methodE3ELS4_3ELS4_3ELNS0_20block_scan_algorithmE0ELj4294967295EEENS1_25partition_config_selectorILNS1_17partition_subalgoE3EjNS0_10empty_typeEbEEZZNS1_14partition_implILS8_3ELb0ES6_jNS0_17counting_iteratorIjlEEPS9_SE_NS0_5tupleIJPjSE_EEENSF_IJSE_SE_EEES9_SG_JZNS1_25segmented_radix_sort_implINS0_14default_configELb0EPKlPlSM_SN_N2at6native12_GLOBAL__N_18offset_tEEE10hipError_tPvRmT1_PNSt15iterator_traitsISV_E10value_typeET2_T3_PNSW_IS11_E10value_typeET4_jRbjT5_S17_jjP12ihipStream_tbEUljE_EEESS_ST_SU_S11_S15_S17_T6_T7_T9_mT8_S19_bDpT10_ENKUlT_T0_E_clISt17integral_constantIbLb1EES1L_IbLb0EEEEDaS1H_S1I_EUlS1H_E_NS1_11comp_targetILNS1_3genE2ELNS1_11target_archE906ELNS1_3gpuE6ELNS1_3repE0EEENS1_30default_config_static_selectorELNS0_4arch9wavefront6targetE1EEEvSV_,@function
_ZN7rocprim17ROCPRIM_400000_NS6detail17trampoline_kernelINS0_13select_configILj256ELj13ELNS0_17block_load_methodE3ELS4_3ELS4_3ELNS0_20block_scan_algorithmE0ELj4294967295EEENS1_25partition_config_selectorILNS1_17partition_subalgoE3EjNS0_10empty_typeEbEEZZNS1_14partition_implILS8_3ELb0ES6_jNS0_17counting_iteratorIjlEEPS9_SE_NS0_5tupleIJPjSE_EEENSF_IJSE_SE_EEES9_SG_JZNS1_25segmented_radix_sort_implINS0_14default_configELb0EPKlPlSM_SN_N2at6native12_GLOBAL__N_18offset_tEEE10hipError_tPvRmT1_PNSt15iterator_traitsISV_E10value_typeET2_T3_PNSW_IS11_E10value_typeET4_jRbjT5_S17_jjP12ihipStream_tbEUljE_EEESS_ST_SU_S11_S15_S17_T6_T7_T9_mT8_S19_bDpT10_ENKUlT_T0_E_clISt17integral_constantIbLb1EES1L_IbLb0EEEEDaS1H_S1I_EUlS1H_E_NS1_11comp_targetILNS1_3genE2ELNS1_11target_archE906ELNS1_3gpuE6ELNS1_3repE0EEENS1_30default_config_static_selectorELNS0_4arch9wavefront6targetE1EEEvSV_: ; @_ZN7rocprim17ROCPRIM_400000_NS6detail17trampoline_kernelINS0_13select_configILj256ELj13ELNS0_17block_load_methodE3ELS4_3ELS4_3ELNS0_20block_scan_algorithmE0ELj4294967295EEENS1_25partition_config_selectorILNS1_17partition_subalgoE3EjNS0_10empty_typeEbEEZZNS1_14partition_implILS8_3ELb0ES6_jNS0_17counting_iteratorIjlEEPS9_SE_NS0_5tupleIJPjSE_EEENSF_IJSE_SE_EEES9_SG_JZNS1_25segmented_radix_sort_implINS0_14default_configELb0EPKlPlSM_SN_N2at6native12_GLOBAL__N_18offset_tEEE10hipError_tPvRmT1_PNSt15iterator_traitsISV_E10value_typeET2_T3_PNSW_IS11_E10value_typeET4_jRbjT5_S17_jjP12ihipStream_tbEUljE_EEESS_ST_SU_S11_S15_S17_T6_T7_T9_mT8_S19_bDpT10_ENKUlT_T0_E_clISt17integral_constantIbLb1EES1L_IbLb0EEEEDaS1H_S1I_EUlS1H_E_NS1_11comp_targetILNS1_3genE2ELNS1_11target_archE906ELNS1_3gpuE6ELNS1_3repE0EEENS1_30default_config_static_selectorELNS0_4arch9wavefront6targetE1EEEvSV_
; %bb.0:
	s_endpgm
	.section	.rodata,"a",@progbits
	.p2align	6, 0x0
	.amdhsa_kernel _ZN7rocprim17ROCPRIM_400000_NS6detail17trampoline_kernelINS0_13select_configILj256ELj13ELNS0_17block_load_methodE3ELS4_3ELS4_3ELNS0_20block_scan_algorithmE0ELj4294967295EEENS1_25partition_config_selectorILNS1_17partition_subalgoE3EjNS0_10empty_typeEbEEZZNS1_14partition_implILS8_3ELb0ES6_jNS0_17counting_iteratorIjlEEPS9_SE_NS0_5tupleIJPjSE_EEENSF_IJSE_SE_EEES9_SG_JZNS1_25segmented_radix_sort_implINS0_14default_configELb0EPKlPlSM_SN_N2at6native12_GLOBAL__N_18offset_tEEE10hipError_tPvRmT1_PNSt15iterator_traitsISV_E10value_typeET2_T3_PNSW_IS11_E10value_typeET4_jRbjT5_S17_jjP12ihipStream_tbEUljE_EEESS_ST_SU_S11_S15_S17_T6_T7_T9_mT8_S19_bDpT10_ENKUlT_T0_E_clISt17integral_constantIbLb1EES1L_IbLb0EEEEDaS1H_S1I_EUlS1H_E_NS1_11comp_targetILNS1_3genE2ELNS1_11target_archE906ELNS1_3gpuE6ELNS1_3repE0EEENS1_30default_config_static_selectorELNS0_4arch9wavefront6targetE1EEEvSV_
		.amdhsa_group_segment_fixed_size 0
		.amdhsa_private_segment_fixed_size 0
		.amdhsa_kernarg_size 144
		.amdhsa_user_sgpr_count 6
		.amdhsa_user_sgpr_private_segment_buffer 1
		.amdhsa_user_sgpr_dispatch_ptr 0
		.amdhsa_user_sgpr_queue_ptr 0
		.amdhsa_user_sgpr_kernarg_segment_ptr 1
		.amdhsa_user_sgpr_dispatch_id 0
		.amdhsa_user_sgpr_flat_scratch_init 0
		.amdhsa_user_sgpr_private_segment_size 0
		.amdhsa_uses_dynamic_stack 0
		.amdhsa_system_sgpr_private_segment_wavefront_offset 0
		.amdhsa_system_sgpr_workgroup_id_x 1
		.amdhsa_system_sgpr_workgroup_id_y 0
		.amdhsa_system_sgpr_workgroup_id_z 0
		.amdhsa_system_sgpr_workgroup_info 0
		.amdhsa_system_vgpr_workitem_id 0
		.amdhsa_next_free_vgpr 1
		.amdhsa_next_free_sgpr 0
		.amdhsa_reserve_vcc 0
		.amdhsa_reserve_flat_scratch 0
		.amdhsa_float_round_mode_32 0
		.amdhsa_float_round_mode_16_64 0
		.amdhsa_float_denorm_mode_32 3
		.amdhsa_float_denorm_mode_16_64 3
		.amdhsa_dx10_clamp 1
		.amdhsa_ieee_mode 1
		.amdhsa_fp16_overflow 0
		.amdhsa_exception_fp_ieee_invalid_op 0
		.amdhsa_exception_fp_denorm_src 0
		.amdhsa_exception_fp_ieee_div_zero 0
		.amdhsa_exception_fp_ieee_overflow 0
		.amdhsa_exception_fp_ieee_underflow 0
		.amdhsa_exception_fp_ieee_inexact 0
		.amdhsa_exception_int_div_zero 0
	.end_amdhsa_kernel
	.section	.text._ZN7rocprim17ROCPRIM_400000_NS6detail17trampoline_kernelINS0_13select_configILj256ELj13ELNS0_17block_load_methodE3ELS4_3ELS4_3ELNS0_20block_scan_algorithmE0ELj4294967295EEENS1_25partition_config_selectorILNS1_17partition_subalgoE3EjNS0_10empty_typeEbEEZZNS1_14partition_implILS8_3ELb0ES6_jNS0_17counting_iteratorIjlEEPS9_SE_NS0_5tupleIJPjSE_EEENSF_IJSE_SE_EEES9_SG_JZNS1_25segmented_radix_sort_implINS0_14default_configELb0EPKlPlSM_SN_N2at6native12_GLOBAL__N_18offset_tEEE10hipError_tPvRmT1_PNSt15iterator_traitsISV_E10value_typeET2_T3_PNSW_IS11_E10value_typeET4_jRbjT5_S17_jjP12ihipStream_tbEUljE_EEESS_ST_SU_S11_S15_S17_T6_T7_T9_mT8_S19_bDpT10_ENKUlT_T0_E_clISt17integral_constantIbLb1EES1L_IbLb0EEEEDaS1H_S1I_EUlS1H_E_NS1_11comp_targetILNS1_3genE2ELNS1_11target_archE906ELNS1_3gpuE6ELNS1_3repE0EEENS1_30default_config_static_selectorELNS0_4arch9wavefront6targetE1EEEvSV_,"axG",@progbits,_ZN7rocprim17ROCPRIM_400000_NS6detail17trampoline_kernelINS0_13select_configILj256ELj13ELNS0_17block_load_methodE3ELS4_3ELS4_3ELNS0_20block_scan_algorithmE0ELj4294967295EEENS1_25partition_config_selectorILNS1_17partition_subalgoE3EjNS0_10empty_typeEbEEZZNS1_14partition_implILS8_3ELb0ES6_jNS0_17counting_iteratorIjlEEPS9_SE_NS0_5tupleIJPjSE_EEENSF_IJSE_SE_EEES9_SG_JZNS1_25segmented_radix_sort_implINS0_14default_configELb0EPKlPlSM_SN_N2at6native12_GLOBAL__N_18offset_tEEE10hipError_tPvRmT1_PNSt15iterator_traitsISV_E10value_typeET2_T3_PNSW_IS11_E10value_typeET4_jRbjT5_S17_jjP12ihipStream_tbEUljE_EEESS_ST_SU_S11_S15_S17_T6_T7_T9_mT8_S19_bDpT10_ENKUlT_T0_E_clISt17integral_constantIbLb1EES1L_IbLb0EEEEDaS1H_S1I_EUlS1H_E_NS1_11comp_targetILNS1_3genE2ELNS1_11target_archE906ELNS1_3gpuE6ELNS1_3repE0EEENS1_30default_config_static_selectorELNS0_4arch9wavefront6targetE1EEEvSV_,comdat
.Lfunc_end795:
	.size	_ZN7rocprim17ROCPRIM_400000_NS6detail17trampoline_kernelINS0_13select_configILj256ELj13ELNS0_17block_load_methodE3ELS4_3ELS4_3ELNS0_20block_scan_algorithmE0ELj4294967295EEENS1_25partition_config_selectorILNS1_17partition_subalgoE3EjNS0_10empty_typeEbEEZZNS1_14partition_implILS8_3ELb0ES6_jNS0_17counting_iteratorIjlEEPS9_SE_NS0_5tupleIJPjSE_EEENSF_IJSE_SE_EEES9_SG_JZNS1_25segmented_radix_sort_implINS0_14default_configELb0EPKlPlSM_SN_N2at6native12_GLOBAL__N_18offset_tEEE10hipError_tPvRmT1_PNSt15iterator_traitsISV_E10value_typeET2_T3_PNSW_IS11_E10value_typeET4_jRbjT5_S17_jjP12ihipStream_tbEUljE_EEESS_ST_SU_S11_S15_S17_T6_T7_T9_mT8_S19_bDpT10_ENKUlT_T0_E_clISt17integral_constantIbLb1EES1L_IbLb0EEEEDaS1H_S1I_EUlS1H_E_NS1_11comp_targetILNS1_3genE2ELNS1_11target_archE906ELNS1_3gpuE6ELNS1_3repE0EEENS1_30default_config_static_selectorELNS0_4arch9wavefront6targetE1EEEvSV_, .Lfunc_end795-_ZN7rocprim17ROCPRIM_400000_NS6detail17trampoline_kernelINS0_13select_configILj256ELj13ELNS0_17block_load_methodE3ELS4_3ELS4_3ELNS0_20block_scan_algorithmE0ELj4294967295EEENS1_25partition_config_selectorILNS1_17partition_subalgoE3EjNS0_10empty_typeEbEEZZNS1_14partition_implILS8_3ELb0ES6_jNS0_17counting_iteratorIjlEEPS9_SE_NS0_5tupleIJPjSE_EEENSF_IJSE_SE_EEES9_SG_JZNS1_25segmented_radix_sort_implINS0_14default_configELb0EPKlPlSM_SN_N2at6native12_GLOBAL__N_18offset_tEEE10hipError_tPvRmT1_PNSt15iterator_traitsISV_E10value_typeET2_T3_PNSW_IS11_E10value_typeET4_jRbjT5_S17_jjP12ihipStream_tbEUljE_EEESS_ST_SU_S11_S15_S17_T6_T7_T9_mT8_S19_bDpT10_ENKUlT_T0_E_clISt17integral_constantIbLb1EES1L_IbLb0EEEEDaS1H_S1I_EUlS1H_E_NS1_11comp_targetILNS1_3genE2ELNS1_11target_archE906ELNS1_3gpuE6ELNS1_3repE0EEENS1_30default_config_static_selectorELNS0_4arch9wavefront6targetE1EEEvSV_
                                        ; -- End function
	.set _ZN7rocprim17ROCPRIM_400000_NS6detail17trampoline_kernelINS0_13select_configILj256ELj13ELNS0_17block_load_methodE3ELS4_3ELS4_3ELNS0_20block_scan_algorithmE0ELj4294967295EEENS1_25partition_config_selectorILNS1_17partition_subalgoE3EjNS0_10empty_typeEbEEZZNS1_14partition_implILS8_3ELb0ES6_jNS0_17counting_iteratorIjlEEPS9_SE_NS0_5tupleIJPjSE_EEENSF_IJSE_SE_EEES9_SG_JZNS1_25segmented_radix_sort_implINS0_14default_configELb0EPKlPlSM_SN_N2at6native12_GLOBAL__N_18offset_tEEE10hipError_tPvRmT1_PNSt15iterator_traitsISV_E10value_typeET2_T3_PNSW_IS11_E10value_typeET4_jRbjT5_S17_jjP12ihipStream_tbEUljE_EEESS_ST_SU_S11_S15_S17_T6_T7_T9_mT8_S19_bDpT10_ENKUlT_T0_E_clISt17integral_constantIbLb1EES1L_IbLb0EEEEDaS1H_S1I_EUlS1H_E_NS1_11comp_targetILNS1_3genE2ELNS1_11target_archE906ELNS1_3gpuE6ELNS1_3repE0EEENS1_30default_config_static_selectorELNS0_4arch9wavefront6targetE1EEEvSV_.num_vgpr, 0
	.set _ZN7rocprim17ROCPRIM_400000_NS6detail17trampoline_kernelINS0_13select_configILj256ELj13ELNS0_17block_load_methodE3ELS4_3ELS4_3ELNS0_20block_scan_algorithmE0ELj4294967295EEENS1_25partition_config_selectorILNS1_17partition_subalgoE3EjNS0_10empty_typeEbEEZZNS1_14partition_implILS8_3ELb0ES6_jNS0_17counting_iteratorIjlEEPS9_SE_NS0_5tupleIJPjSE_EEENSF_IJSE_SE_EEES9_SG_JZNS1_25segmented_radix_sort_implINS0_14default_configELb0EPKlPlSM_SN_N2at6native12_GLOBAL__N_18offset_tEEE10hipError_tPvRmT1_PNSt15iterator_traitsISV_E10value_typeET2_T3_PNSW_IS11_E10value_typeET4_jRbjT5_S17_jjP12ihipStream_tbEUljE_EEESS_ST_SU_S11_S15_S17_T6_T7_T9_mT8_S19_bDpT10_ENKUlT_T0_E_clISt17integral_constantIbLb1EES1L_IbLb0EEEEDaS1H_S1I_EUlS1H_E_NS1_11comp_targetILNS1_3genE2ELNS1_11target_archE906ELNS1_3gpuE6ELNS1_3repE0EEENS1_30default_config_static_selectorELNS0_4arch9wavefront6targetE1EEEvSV_.num_agpr, 0
	.set _ZN7rocprim17ROCPRIM_400000_NS6detail17trampoline_kernelINS0_13select_configILj256ELj13ELNS0_17block_load_methodE3ELS4_3ELS4_3ELNS0_20block_scan_algorithmE0ELj4294967295EEENS1_25partition_config_selectorILNS1_17partition_subalgoE3EjNS0_10empty_typeEbEEZZNS1_14partition_implILS8_3ELb0ES6_jNS0_17counting_iteratorIjlEEPS9_SE_NS0_5tupleIJPjSE_EEENSF_IJSE_SE_EEES9_SG_JZNS1_25segmented_radix_sort_implINS0_14default_configELb0EPKlPlSM_SN_N2at6native12_GLOBAL__N_18offset_tEEE10hipError_tPvRmT1_PNSt15iterator_traitsISV_E10value_typeET2_T3_PNSW_IS11_E10value_typeET4_jRbjT5_S17_jjP12ihipStream_tbEUljE_EEESS_ST_SU_S11_S15_S17_T6_T7_T9_mT8_S19_bDpT10_ENKUlT_T0_E_clISt17integral_constantIbLb1EES1L_IbLb0EEEEDaS1H_S1I_EUlS1H_E_NS1_11comp_targetILNS1_3genE2ELNS1_11target_archE906ELNS1_3gpuE6ELNS1_3repE0EEENS1_30default_config_static_selectorELNS0_4arch9wavefront6targetE1EEEvSV_.numbered_sgpr, 0
	.set _ZN7rocprim17ROCPRIM_400000_NS6detail17trampoline_kernelINS0_13select_configILj256ELj13ELNS0_17block_load_methodE3ELS4_3ELS4_3ELNS0_20block_scan_algorithmE0ELj4294967295EEENS1_25partition_config_selectorILNS1_17partition_subalgoE3EjNS0_10empty_typeEbEEZZNS1_14partition_implILS8_3ELb0ES6_jNS0_17counting_iteratorIjlEEPS9_SE_NS0_5tupleIJPjSE_EEENSF_IJSE_SE_EEES9_SG_JZNS1_25segmented_radix_sort_implINS0_14default_configELb0EPKlPlSM_SN_N2at6native12_GLOBAL__N_18offset_tEEE10hipError_tPvRmT1_PNSt15iterator_traitsISV_E10value_typeET2_T3_PNSW_IS11_E10value_typeET4_jRbjT5_S17_jjP12ihipStream_tbEUljE_EEESS_ST_SU_S11_S15_S17_T6_T7_T9_mT8_S19_bDpT10_ENKUlT_T0_E_clISt17integral_constantIbLb1EES1L_IbLb0EEEEDaS1H_S1I_EUlS1H_E_NS1_11comp_targetILNS1_3genE2ELNS1_11target_archE906ELNS1_3gpuE6ELNS1_3repE0EEENS1_30default_config_static_selectorELNS0_4arch9wavefront6targetE1EEEvSV_.num_named_barrier, 0
	.set _ZN7rocprim17ROCPRIM_400000_NS6detail17trampoline_kernelINS0_13select_configILj256ELj13ELNS0_17block_load_methodE3ELS4_3ELS4_3ELNS0_20block_scan_algorithmE0ELj4294967295EEENS1_25partition_config_selectorILNS1_17partition_subalgoE3EjNS0_10empty_typeEbEEZZNS1_14partition_implILS8_3ELb0ES6_jNS0_17counting_iteratorIjlEEPS9_SE_NS0_5tupleIJPjSE_EEENSF_IJSE_SE_EEES9_SG_JZNS1_25segmented_radix_sort_implINS0_14default_configELb0EPKlPlSM_SN_N2at6native12_GLOBAL__N_18offset_tEEE10hipError_tPvRmT1_PNSt15iterator_traitsISV_E10value_typeET2_T3_PNSW_IS11_E10value_typeET4_jRbjT5_S17_jjP12ihipStream_tbEUljE_EEESS_ST_SU_S11_S15_S17_T6_T7_T9_mT8_S19_bDpT10_ENKUlT_T0_E_clISt17integral_constantIbLb1EES1L_IbLb0EEEEDaS1H_S1I_EUlS1H_E_NS1_11comp_targetILNS1_3genE2ELNS1_11target_archE906ELNS1_3gpuE6ELNS1_3repE0EEENS1_30default_config_static_selectorELNS0_4arch9wavefront6targetE1EEEvSV_.private_seg_size, 0
	.set _ZN7rocprim17ROCPRIM_400000_NS6detail17trampoline_kernelINS0_13select_configILj256ELj13ELNS0_17block_load_methodE3ELS4_3ELS4_3ELNS0_20block_scan_algorithmE0ELj4294967295EEENS1_25partition_config_selectorILNS1_17partition_subalgoE3EjNS0_10empty_typeEbEEZZNS1_14partition_implILS8_3ELb0ES6_jNS0_17counting_iteratorIjlEEPS9_SE_NS0_5tupleIJPjSE_EEENSF_IJSE_SE_EEES9_SG_JZNS1_25segmented_radix_sort_implINS0_14default_configELb0EPKlPlSM_SN_N2at6native12_GLOBAL__N_18offset_tEEE10hipError_tPvRmT1_PNSt15iterator_traitsISV_E10value_typeET2_T3_PNSW_IS11_E10value_typeET4_jRbjT5_S17_jjP12ihipStream_tbEUljE_EEESS_ST_SU_S11_S15_S17_T6_T7_T9_mT8_S19_bDpT10_ENKUlT_T0_E_clISt17integral_constantIbLb1EES1L_IbLb0EEEEDaS1H_S1I_EUlS1H_E_NS1_11comp_targetILNS1_3genE2ELNS1_11target_archE906ELNS1_3gpuE6ELNS1_3repE0EEENS1_30default_config_static_selectorELNS0_4arch9wavefront6targetE1EEEvSV_.uses_vcc, 0
	.set _ZN7rocprim17ROCPRIM_400000_NS6detail17trampoline_kernelINS0_13select_configILj256ELj13ELNS0_17block_load_methodE3ELS4_3ELS4_3ELNS0_20block_scan_algorithmE0ELj4294967295EEENS1_25partition_config_selectorILNS1_17partition_subalgoE3EjNS0_10empty_typeEbEEZZNS1_14partition_implILS8_3ELb0ES6_jNS0_17counting_iteratorIjlEEPS9_SE_NS0_5tupleIJPjSE_EEENSF_IJSE_SE_EEES9_SG_JZNS1_25segmented_radix_sort_implINS0_14default_configELb0EPKlPlSM_SN_N2at6native12_GLOBAL__N_18offset_tEEE10hipError_tPvRmT1_PNSt15iterator_traitsISV_E10value_typeET2_T3_PNSW_IS11_E10value_typeET4_jRbjT5_S17_jjP12ihipStream_tbEUljE_EEESS_ST_SU_S11_S15_S17_T6_T7_T9_mT8_S19_bDpT10_ENKUlT_T0_E_clISt17integral_constantIbLb1EES1L_IbLb0EEEEDaS1H_S1I_EUlS1H_E_NS1_11comp_targetILNS1_3genE2ELNS1_11target_archE906ELNS1_3gpuE6ELNS1_3repE0EEENS1_30default_config_static_selectorELNS0_4arch9wavefront6targetE1EEEvSV_.uses_flat_scratch, 0
	.set _ZN7rocprim17ROCPRIM_400000_NS6detail17trampoline_kernelINS0_13select_configILj256ELj13ELNS0_17block_load_methodE3ELS4_3ELS4_3ELNS0_20block_scan_algorithmE0ELj4294967295EEENS1_25partition_config_selectorILNS1_17partition_subalgoE3EjNS0_10empty_typeEbEEZZNS1_14partition_implILS8_3ELb0ES6_jNS0_17counting_iteratorIjlEEPS9_SE_NS0_5tupleIJPjSE_EEENSF_IJSE_SE_EEES9_SG_JZNS1_25segmented_radix_sort_implINS0_14default_configELb0EPKlPlSM_SN_N2at6native12_GLOBAL__N_18offset_tEEE10hipError_tPvRmT1_PNSt15iterator_traitsISV_E10value_typeET2_T3_PNSW_IS11_E10value_typeET4_jRbjT5_S17_jjP12ihipStream_tbEUljE_EEESS_ST_SU_S11_S15_S17_T6_T7_T9_mT8_S19_bDpT10_ENKUlT_T0_E_clISt17integral_constantIbLb1EES1L_IbLb0EEEEDaS1H_S1I_EUlS1H_E_NS1_11comp_targetILNS1_3genE2ELNS1_11target_archE906ELNS1_3gpuE6ELNS1_3repE0EEENS1_30default_config_static_selectorELNS0_4arch9wavefront6targetE1EEEvSV_.has_dyn_sized_stack, 0
	.set _ZN7rocprim17ROCPRIM_400000_NS6detail17trampoline_kernelINS0_13select_configILj256ELj13ELNS0_17block_load_methodE3ELS4_3ELS4_3ELNS0_20block_scan_algorithmE0ELj4294967295EEENS1_25partition_config_selectorILNS1_17partition_subalgoE3EjNS0_10empty_typeEbEEZZNS1_14partition_implILS8_3ELb0ES6_jNS0_17counting_iteratorIjlEEPS9_SE_NS0_5tupleIJPjSE_EEENSF_IJSE_SE_EEES9_SG_JZNS1_25segmented_radix_sort_implINS0_14default_configELb0EPKlPlSM_SN_N2at6native12_GLOBAL__N_18offset_tEEE10hipError_tPvRmT1_PNSt15iterator_traitsISV_E10value_typeET2_T3_PNSW_IS11_E10value_typeET4_jRbjT5_S17_jjP12ihipStream_tbEUljE_EEESS_ST_SU_S11_S15_S17_T6_T7_T9_mT8_S19_bDpT10_ENKUlT_T0_E_clISt17integral_constantIbLb1EES1L_IbLb0EEEEDaS1H_S1I_EUlS1H_E_NS1_11comp_targetILNS1_3genE2ELNS1_11target_archE906ELNS1_3gpuE6ELNS1_3repE0EEENS1_30default_config_static_selectorELNS0_4arch9wavefront6targetE1EEEvSV_.has_recursion, 0
	.set _ZN7rocprim17ROCPRIM_400000_NS6detail17trampoline_kernelINS0_13select_configILj256ELj13ELNS0_17block_load_methodE3ELS4_3ELS4_3ELNS0_20block_scan_algorithmE0ELj4294967295EEENS1_25partition_config_selectorILNS1_17partition_subalgoE3EjNS0_10empty_typeEbEEZZNS1_14partition_implILS8_3ELb0ES6_jNS0_17counting_iteratorIjlEEPS9_SE_NS0_5tupleIJPjSE_EEENSF_IJSE_SE_EEES9_SG_JZNS1_25segmented_radix_sort_implINS0_14default_configELb0EPKlPlSM_SN_N2at6native12_GLOBAL__N_18offset_tEEE10hipError_tPvRmT1_PNSt15iterator_traitsISV_E10value_typeET2_T3_PNSW_IS11_E10value_typeET4_jRbjT5_S17_jjP12ihipStream_tbEUljE_EEESS_ST_SU_S11_S15_S17_T6_T7_T9_mT8_S19_bDpT10_ENKUlT_T0_E_clISt17integral_constantIbLb1EES1L_IbLb0EEEEDaS1H_S1I_EUlS1H_E_NS1_11comp_targetILNS1_3genE2ELNS1_11target_archE906ELNS1_3gpuE6ELNS1_3repE0EEENS1_30default_config_static_selectorELNS0_4arch9wavefront6targetE1EEEvSV_.has_indirect_call, 0
	.section	.AMDGPU.csdata,"",@progbits
; Kernel info:
; codeLenInByte = 4
; TotalNumSgprs: 4
; NumVgprs: 0
; ScratchSize: 0
; MemoryBound: 0
; FloatMode: 240
; IeeeMode: 1
; LDSByteSize: 0 bytes/workgroup (compile time only)
; SGPRBlocks: 0
; VGPRBlocks: 0
; NumSGPRsForWavesPerEU: 4
; NumVGPRsForWavesPerEU: 1
; Occupancy: 10
; WaveLimiterHint : 0
; COMPUTE_PGM_RSRC2:SCRATCH_EN: 0
; COMPUTE_PGM_RSRC2:USER_SGPR: 6
; COMPUTE_PGM_RSRC2:TRAP_HANDLER: 0
; COMPUTE_PGM_RSRC2:TGID_X_EN: 1
; COMPUTE_PGM_RSRC2:TGID_Y_EN: 0
; COMPUTE_PGM_RSRC2:TGID_Z_EN: 0
; COMPUTE_PGM_RSRC2:TIDIG_COMP_CNT: 0
	.section	.text._ZN7rocprim17ROCPRIM_400000_NS6detail17trampoline_kernelINS0_13select_configILj256ELj13ELNS0_17block_load_methodE3ELS4_3ELS4_3ELNS0_20block_scan_algorithmE0ELj4294967295EEENS1_25partition_config_selectorILNS1_17partition_subalgoE3EjNS0_10empty_typeEbEEZZNS1_14partition_implILS8_3ELb0ES6_jNS0_17counting_iteratorIjlEEPS9_SE_NS0_5tupleIJPjSE_EEENSF_IJSE_SE_EEES9_SG_JZNS1_25segmented_radix_sort_implINS0_14default_configELb0EPKlPlSM_SN_N2at6native12_GLOBAL__N_18offset_tEEE10hipError_tPvRmT1_PNSt15iterator_traitsISV_E10value_typeET2_T3_PNSW_IS11_E10value_typeET4_jRbjT5_S17_jjP12ihipStream_tbEUljE_EEESS_ST_SU_S11_S15_S17_T6_T7_T9_mT8_S19_bDpT10_ENKUlT_T0_E_clISt17integral_constantIbLb1EES1L_IbLb0EEEEDaS1H_S1I_EUlS1H_E_NS1_11comp_targetILNS1_3genE10ELNS1_11target_archE1200ELNS1_3gpuE4ELNS1_3repE0EEENS1_30default_config_static_selectorELNS0_4arch9wavefront6targetE1EEEvSV_,"axG",@progbits,_ZN7rocprim17ROCPRIM_400000_NS6detail17trampoline_kernelINS0_13select_configILj256ELj13ELNS0_17block_load_methodE3ELS4_3ELS4_3ELNS0_20block_scan_algorithmE0ELj4294967295EEENS1_25partition_config_selectorILNS1_17partition_subalgoE3EjNS0_10empty_typeEbEEZZNS1_14partition_implILS8_3ELb0ES6_jNS0_17counting_iteratorIjlEEPS9_SE_NS0_5tupleIJPjSE_EEENSF_IJSE_SE_EEES9_SG_JZNS1_25segmented_radix_sort_implINS0_14default_configELb0EPKlPlSM_SN_N2at6native12_GLOBAL__N_18offset_tEEE10hipError_tPvRmT1_PNSt15iterator_traitsISV_E10value_typeET2_T3_PNSW_IS11_E10value_typeET4_jRbjT5_S17_jjP12ihipStream_tbEUljE_EEESS_ST_SU_S11_S15_S17_T6_T7_T9_mT8_S19_bDpT10_ENKUlT_T0_E_clISt17integral_constantIbLb1EES1L_IbLb0EEEEDaS1H_S1I_EUlS1H_E_NS1_11comp_targetILNS1_3genE10ELNS1_11target_archE1200ELNS1_3gpuE4ELNS1_3repE0EEENS1_30default_config_static_selectorELNS0_4arch9wavefront6targetE1EEEvSV_,comdat
	.globl	_ZN7rocprim17ROCPRIM_400000_NS6detail17trampoline_kernelINS0_13select_configILj256ELj13ELNS0_17block_load_methodE3ELS4_3ELS4_3ELNS0_20block_scan_algorithmE0ELj4294967295EEENS1_25partition_config_selectorILNS1_17partition_subalgoE3EjNS0_10empty_typeEbEEZZNS1_14partition_implILS8_3ELb0ES6_jNS0_17counting_iteratorIjlEEPS9_SE_NS0_5tupleIJPjSE_EEENSF_IJSE_SE_EEES9_SG_JZNS1_25segmented_radix_sort_implINS0_14default_configELb0EPKlPlSM_SN_N2at6native12_GLOBAL__N_18offset_tEEE10hipError_tPvRmT1_PNSt15iterator_traitsISV_E10value_typeET2_T3_PNSW_IS11_E10value_typeET4_jRbjT5_S17_jjP12ihipStream_tbEUljE_EEESS_ST_SU_S11_S15_S17_T6_T7_T9_mT8_S19_bDpT10_ENKUlT_T0_E_clISt17integral_constantIbLb1EES1L_IbLb0EEEEDaS1H_S1I_EUlS1H_E_NS1_11comp_targetILNS1_3genE10ELNS1_11target_archE1200ELNS1_3gpuE4ELNS1_3repE0EEENS1_30default_config_static_selectorELNS0_4arch9wavefront6targetE1EEEvSV_ ; -- Begin function _ZN7rocprim17ROCPRIM_400000_NS6detail17trampoline_kernelINS0_13select_configILj256ELj13ELNS0_17block_load_methodE3ELS4_3ELS4_3ELNS0_20block_scan_algorithmE0ELj4294967295EEENS1_25partition_config_selectorILNS1_17partition_subalgoE3EjNS0_10empty_typeEbEEZZNS1_14partition_implILS8_3ELb0ES6_jNS0_17counting_iteratorIjlEEPS9_SE_NS0_5tupleIJPjSE_EEENSF_IJSE_SE_EEES9_SG_JZNS1_25segmented_radix_sort_implINS0_14default_configELb0EPKlPlSM_SN_N2at6native12_GLOBAL__N_18offset_tEEE10hipError_tPvRmT1_PNSt15iterator_traitsISV_E10value_typeET2_T3_PNSW_IS11_E10value_typeET4_jRbjT5_S17_jjP12ihipStream_tbEUljE_EEESS_ST_SU_S11_S15_S17_T6_T7_T9_mT8_S19_bDpT10_ENKUlT_T0_E_clISt17integral_constantIbLb1EES1L_IbLb0EEEEDaS1H_S1I_EUlS1H_E_NS1_11comp_targetILNS1_3genE10ELNS1_11target_archE1200ELNS1_3gpuE4ELNS1_3repE0EEENS1_30default_config_static_selectorELNS0_4arch9wavefront6targetE1EEEvSV_
	.p2align	8
	.type	_ZN7rocprim17ROCPRIM_400000_NS6detail17trampoline_kernelINS0_13select_configILj256ELj13ELNS0_17block_load_methodE3ELS4_3ELS4_3ELNS0_20block_scan_algorithmE0ELj4294967295EEENS1_25partition_config_selectorILNS1_17partition_subalgoE3EjNS0_10empty_typeEbEEZZNS1_14partition_implILS8_3ELb0ES6_jNS0_17counting_iteratorIjlEEPS9_SE_NS0_5tupleIJPjSE_EEENSF_IJSE_SE_EEES9_SG_JZNS1_25segmented_radix_sort_implINS0_14default_configELb0EPKlPlSM_SN_N2at6native12_GLOBAL__N_18offset_tEEE10hipError_tPvRmT1_PNSt15iterator_traitsISV_E10value_typeET2_T3_PNSW_IS11_E10value_typeET4_jRbjT5_S17_jjP12ihipStream_tbEUljE_EEESS_ST_SU_S11_S15_S17_T6_T7_T9_mT8_S19_bDpT10_ENKUlT_T0_E_clISt17integral_constantIbLb1EES1L_IbLb0EEEEDaS1H_S1I_EUlS1H_E_NS1_11comp_targetILNS1_3genE10ELNS1_11target_archE1200ELNS1_3gpuE4ELNS1_3repE0EEENS1_30default_config_static_selectorELNS0_4arch9wavefront6targetE1EEEvSV_,@function
_ZN7rocprim17ROCPRIM_400000_NS6detail17trampoline_kernelINS0_13select_configILj256ELj13ELNS0_17block_load_methodE3ELS4_3ELS4_3ELNS0_20block_scan_algorithmE0ELj4294967295EEENS1_25partition_config_selectorILNS1_17partition_subalgoE3EjNS0_10empty_typeEbEEZZNS1_14partition_implILS8_3ELb0ES6_jNS0_17counting_iteratorIjlEEPS9_SE_NS0_5tupleIJPjSE_EEENSF_IJSE_SE_EEES9_SG_JZNS1_25segmented_radix_sort_implINS0_14default_configELb0EPKlPlSM_SN_N2at6native12_GLOBAL__N_18offset_tEEE10hipError_tPvRmT1_PNSt15iterator_traitsISV_E10value_typeET2_T3_PNSW_IS11_E10value_typeET4_jRbjT5_S17_jjP12ihipStream_tbEUljE_EEESS_ST_SU_S11_S15_S17_T6_T7_T9_mT8_S19_bDpT10_ENKUlT_T0_E_clISt17integral_constantIbLb1EES1L_IbLb0EEEEDaS1H_S1I_EUlS1H_E_NS1_11comp_targetILNS1_3genE10ELNS1_11target_archE1200ELNS1_3gpuE4ELNS1_3repE0EEENS1_30default_config_static_selectorELNS0_4arch9wavefront6targetE1EEEvSV_: ; @_ZN7rocprim17ROCPRIM_400000_NS6detail17trampoline_kernelINS0_13select_configILj256ELj13ELNS0_17block_load_methodE3ELS4_3ELS4_3ELNS0_20block_scan_algorithmE0ELj4294967295EEENS1_25partition_config_selectorILNS1_17partition_subalgoE3EjNS0_10empty_typeEbEEZZNS1_14partition_implILS8_3ELb0ES6_jNS0_17counting_iteratorIjlEEPS9_SE_NS0_5tupleIJPjSE_EEENSF_IJSE_SE_EEES9_SG_JZNS1_25segmented_radix_sort_implINS0_14default_configELb0EPKlPlSM_SN_N2at6native12_GLOBAL__N_18offset_tEEE10hipError_tPvRmT1_PNSt15iterator_traitsISV_E10value_typeET2_T3_PNSW_IS11_E10value_typeET4_jRbjT5_S17_jjP12ihipStream_tbEUljE_EEESS_ST_SU_S11_S15_S17_T6_T7_T9_mT8_S19_bDpT10_ENKUlT_T0_E_clISt17integral_constantIbLb1EES1L_IbLb0EEEEDaS1H_S1I_EUlS1H_E_NS1_11comp_targetILNS1_3genE10ELNS1_11target_archE1200ELNS1_3gpuE4ELNS1_3repE0EEENS1_30default_config_static_selectorELNS0_4arch9wavefront6targetE1EEEvSV_
; %bb.0:
	.section	.rodata,"a",@progbits
	.p2align	6, 0x0
	.amdhsa_kernel _ZN7rocprim17ROCPRIM_400000_NS6detail17trampoline_kernelINS0_13select_configILj256ELj13ELNS0_17block_load_methodE3ELS4_3ELS4_3ELNS0_20block_scan_algorithmE0ELj4294967295EEENS1_25partition_config_selectorILNS1_17partition_subalgoE3EjNS0_10empty_typeEbEEZZNS1_14partition_implILS8_3ELb0ES6_jNS0_17counting_iteratorIjlEEPS9_SE_NS0_5tupleIJPjSE_EEENSF_IJSE_SE_EEES9_SG_JZNS1_25segmented_radix_sort_implINS0_14default_configELb0EPKlPlSM_SN_N2at6native12_GLOBAL__N_18offset_tEEE10hipError_tPvRmT1_PNSt15iterator_traitsISV_E10value_typeET2_T3_PNSW_IS11_E10value_typeET4_jRbjT5_S17_jjP12ihipStream_tbEUljE_EEESS_ST_SU_S11_S15_S17_T6_T7_T9_mT8_S19_bDpT10_ENKUlT_T0_E_clISt17integral_constantIbLb1EES1L_IbLb0EEEEDaS1H_S1I_EUlS1H_E_NS1_11comp_targetILNS1_3genE10ELNS1_11target_archE1200ELNS1_3gpuE4ELNS1_3repE0EEENS1_30default_config_static_selectorELNS0_4arch9wavefront6targetE1EEEvSV_
		.amdhsa_group_segment_fixed_size 0
		.amdhsa_private_segment_fixed_size 0
		.amdhsa_kernarg_size 144
		.amdhsa_user_sgpr_count 6
		.amdhsa_user_sgpr_private_segment_buffer 1
		.amdhsa_user_sgpr_dispatch_ptr 0
		.amdhsa_user_sgpr_queue_ptr 0
		.amdhsa_user_sgpr_kernarg_segment_ptr 1
		.amdhsa_user_sgpr_dispatch_id 0
		.amdhsa_user_sgpr_flat_scratch_init 0
		.amdhsa_user_sgpr_private_segment_size 0
		.amdhsa_uses_dynamic_stack 0
		.amdhsa_system_sgpr_private_segment_wavefront_offset 0
		.amdhsa_system_sgpr_workgroup_id_x 1
		.amdhsa_system_sgpr_workgroup_id_y 0
		.amdhsa_system_sgpr_workgroup_id_z 0
		.amdhsa_system_sgpr_workgroup_info 0
		.amdhsa_system_vgpr_workitem_id 0
		.amdhsa_next_free_vgpr 1
		.amdhsa_next_free_sgpr 0
		.amdhsa_reserve_vcc 0
		.amdhsa_reserve_flat_scratch 0
		.amdhsa_float_round_mode_32 0
		.amdhsa_float_round_mode_16_64 0
		.amdhsa_float_denorm_mode_32 3
		.amdhsa_float_denorm_mode_16_64 3
		.amdhsa_dx10_clamp 1
		.amdhsa_ieee_mode 1
		.amdhsa_fp16_overflow 0
		.amdhsa_exception_fp_ieee_invalid_op 0
		.amdhsa_exception_fp_denorm_src 0
		.amdhsa_exception_fp_ieee_div_zero 0
		.amdhsa_exception_fp_ieee_overflow 0
		.amdhsa_exception_fp_ieee_underflow 0
		.amdhsa_exception_fp_ieee_inexact 0
		.amdhsa_exception_int_div_zero 0
	.end_amdhsa_kernel
	.section	.text._ZN7rocprim17ROCPRIM_400000_NS6detail17trampoline_kernelINS0_13select_configILj256ELj13ELNS0_17block_load_methodE3ELS4_3ELS4_3ELNS0_20block_scan_algorithmE0ELj4294967295EEENS1_25partition_config_selectorILNS1_17partition_subalgoE3EjNS0_10empty_typeEbEEZZNS1_14partition_implILS8_3ELb0ES6_jNS0_17counting_iteratorIjlEEPS9_SE_NS0_5tupleIJPjSE_EEENSF_IJSE_SE_EEES9_SG_JZNS1_25segmented_radix_sort_implINS0_14default_configELb0EPKlPlSM_SN_N2at6native12_GLOBAL__N_18offset_tEEE10hipError_tPvRmT1_PNSt15iterator_traitsISV_E10value_typeET2_T3_PNSW_IS11_E10value_typeET4_jRbjT5_S17_jjP12ihipStream_tbEUljE_EEESS_ST_SU_S11_S15_S17_T6_T7_T9_mT8_S19_bDpT10_ENKUlT_T0_E_clISt17integral_constantIbLb1EES1L_IbLb0EEEEDaS1H_S1I_EUlS1H_E_NS1_11comp_targetILNS1_3genE10ELNS1_11target_archE1200ELNS1_3gpuE4ELNS1_3repE0EEENS1_30default_config_static_selectorELNS0_4arch9wavefront6targetE1EEEvSV_,"axG",@progbits,_ZN7rocprim17ROCPRIM_400000_NS6detail17trampoline_kernelINS0_13select_configILj256ELj13ELNS0_17block_load_methodE3ELS4_3ELS4_3ELNS0_20block_scan_algorithmE0ELj4294967295EEENS1_25partition_config_selectorILNS1_17partition_subalgoE3EjNS0_10empty_typeEbEEZZNS1_14partition_implILS8_3ELb0ES6_jNS0_17counting_iteratorIjlEEPS9_SE_NS0_5tupleIJPjSE_EEENSF_IJSE_SE_EEES9_SG_JZNS1_25segmented_radix_sort_implINS0_14default_configELb0EPKlPlSM_SN_N2at6native12_GLOBAL__N_18offset_tEEE10hipError_tPvRmT1_PNSt15iterator_traitsISV_E10value_typeET2_T3_PNSW_IS11_E10value_typeET4_jRbjT5_S17_jjP12ihipStream_tbEUljE_EEESS_ST_SU_S11_S15_S17_T6_T7_T9_mT8_S19_bDpT10_ENKUlT_T0_E_clISt17integral_constantIbLb1EES1L_IbLb0EEEEDaS1H_S1I_EUlS1H_E_NS1_11comp_targetILNS1_3genE10ELNS1_11target_archE1200ELNS1_3gpuE4ELNS1_3repE0EEENS1_30default_config_static_selectorELNS0_4arch9wavefront6targetE1EEEvSV_,comdat
.Lfunc_end796:
	.size	_ZN7rocprim17ROCPRIM_400000_NS6detail17trampoline_kernelINS0_13select_configILj256ELj13ELNS0_17block_load_methodE3ELS4_3ELS4_3ELNS0_20block_scan_algorithmE0ELj4294967295EEENS1_25partition_config_selectorILNS1_17partition_subalgoE3EjNS0_10empty_typeEbEEZZNS1_14partition_implILS8_3ELb0ES6_jNS0_17counting_iteratorIjlEEPS9_SE_NS0_5tupleIJPjSE_EEENSF_IJSE_SE_EEES9_SG_JZNS1_25segmented_radix_sort_implINS0_14default_configELb0EPKlPlSM_SN_N2at6native12_GLOBAL__N_18offset_tEEE10hipError_tPvRmT1_PNSt15iterator_traitsISV_E10value_typeET2_T3_PNSW_IS11_E10value_typeET4_jRbjT5_S17_jjP12ihipStream_tbEUljE_EEESS_ST_SU_S11_S15_S17_T6_T7_T9_mT8_S19_bDpT10_ENKUlT_T0_E_clISt17integral_constantIbLb1EES1L_IbLb0EEEEDaS1H_S1I_EUlS1H_E_NS1_11comp_targetILNS1_3genE10ELNS1_11target_archE1200ELNS1_3gpuE4ELNS1_3repE0EEENS1_30default_config_static_selectorELNS0_4arch9wavefront6targetE1EEEvSV_, .Lfunc_end796-_ZN7rocprim17ROCPRIM_400000_NS6detail17trampoline_kernelINS0_13select_configILj256ELj13ELNS0_17block_load_methodE3ELS4_3ELS4_3ELNS0_20block_scan_algorithmE0ELj4294967295EEENS1_25partition_config_selectorILNS1_17partition_subalgoE3EjNS0_10empty_typeEbEEZZNS1_14partition_implILS8_3ELb0ES6_jNS0_17counting_iteratorIjlEEPS9_SE_NS0_5tupleIJPjSE_EEENSF_IJSE_SE_EEES9_SG_JZNS1_25segmented_radix_sort_implINS0_14default_configELb0EPKlPlSM_SN_N2at6native12_GLOBAL__N_18offset_tEEE10hipError_tPvRmT1_PNSt15iterator_traitsISV_E10value_typeET2_T3_PNSW_IS11_E10value_typeET4_jRbjT5_S17_jjP12ihipStream_tbEUljE_EEESS_ST_SU_S11_S15_S17_T6_T7_T9_mT8_S19_bDpT10_ENKUlT_T0_E_clISt17integral_constantIbLb1EES1L_IbLb0EEEEDaS1H_S1I_EUlS1H_E_NS1_11comp_targetILNS1_3genE10ELNS1_11target_archE1200ELNS1_3gpuE4ELNS1_3repE0EEENS1_30default_config_static_selectorELNS0_4arch9wavefront6targetE1EEEvSV_
                                        ; -- End function
	.set _ZN7rocprim17ROCPRIM_400000_NS6detail17trampoline_kernelINS0_13select_configILj256ELj13ELNS0_17block_load_methodE3ELS4_3ELS4_3ELNS0_20block_scan_algorithmE0ELj4294967295EEENS1_25partition_config_selectorILNS1_17partition_subalgoE3EjNS0_10empty_typeEbEEZZNS1_14partition_implILS8_3ELb0ES6_jNS0_17counting_iteratorIjlEEPS9_SE_NS0_5tupleIJPjSE_EEENSF_IJSE_SE_EEES9_SG_JZNS1_25segmented_radix_sort_implINS0_14default_configELb0EPKlPlSM_SN_N2at6native12_GLOBAL__N_18offset_tEEE10hipError_tPvRmT1_PNSt15iterator_traitsISV_E10value_typeET2_T3_PNSW_IS11_E10value_typeET4_jRbjT5_S17_jjP12ihipStream_tbEUljE_EEESS_ST_SU_S11_S15_S17_T6_T7_T9_mT8_S19_bDpT10_ENKUlT_T0_E_clISt17integral_constantIbLb1EES1L_IbLb0EEEEDaS1H_S1I_EUlS1H_E_NS1_11comp_targetILNS1_3genE10ELNS1_11target_archE1200ELNS1_3gpuE4ELNS1_3repE0EEENS1_30default_config_static_selectorELNS0_4arch9wavefront6targetE1EEEvSV_.num_vgpr, 0
	.set _ZN7rocprim17ROCPRIM_400000_NS6detail17trampoline_kernelINS0_13select_configILj256ELj13ELNS0_17block_load_methodE3ELS4_3ELS4_3ELNS0_20block_scan_algorithmE0ELj4294967295EEENS1_25partition_config_selectorILNS1_17partition_subalgoE3EjNS0_10empty_typeEbEEZZNS1_14partition_implILS8_3ELb0ES6_jNS0_17counting_iteratorIjlEEPS9_SE_NS0_5tupleIJPjSE_EEENSF_IJSE_SE_EEES9_SG_JZNS1_25segmented_radix_sort_implINS0_14default_configELb0EPKlPlSM_SN_N2at6native12_GLOBAL__N_18offset_tEEE10hipError_tPvRmT1_PNSt15iterator_traitsISV_E10value_typeET2_T3_PNSW_IS11_E10value_typeET4_jRbjT5_S17_jjP12ihipStream_tbEUljE_EEESS_ST_SU_S11_S15_S17_T6_T7_T9_mT8_S19_bDpT10_ENKUlT_T0_E_clISt17integral_constantIbLb1EES1L_IbLb0EEEEDaS1H_S1I_EUlS1H_E_NS1_11comp_targetILNS1_3genE10ELNS1_11target_archE1200ELNS1_3gpuE4ELNS1_3repE0EEENS1_30default_config_static_selectorELNS0_4arch9wavefront6targetE1EEEvSV_.num_agpr, 0
	.set _ZN7rocprim17ROCPRIM_400000_NS6detail17trampoline_kernelINS0_13select_configILj256ELj13ELNS0_17block_load_methodE3ELS4_3ELS4_3ELNS0_20block_scan_algorithmE0ELj4294967295EEENS1_25partition_config_selectorILNS1_17partition_subalgoE3EjNS0_10empty_typeEbEEZZNS1_14partition_implILS8_3ELb0ES6_jNS0_17counting_iteratorIjlEEPS9_SE_NS0_5tupleIJPjSE_EEENSF_IJSE_SE_EEES9_SG_JZNS1_25segmented_radix_sort_implINS0_14default_configELb0EPKlPlSM_SN_N2at6native12_GLOBAL__N_18offset_tEEE10hipError_tPvRmT1_PNSt15iterator_traitsISV_E10value_typeET2_T3_PNSW_IS11_E10value_typeET4_jRbjT5_S17_jjP12ihipStream_tbEUljE_EEESS_ST_SU_S11_S15_S17_T6_T7_T9_mT8_S19_bDpT10_ENKUlT_T0_E_clISt17integral_constantIbLb1EES1L_IbLb0EEEEDaS1H_S1I_EUlS1H_E_NS1_11comp_targetILNS1_3genE10ELNS1_11target_archE1200ELNS1_3gpuE4ELNS1_3repE0EEENS1_30default_config_static_selectorELNS0_4arch9wavefront6targetE1EEEvSV_.numbered_sgpr, 0
	.set _ZN7rocprim17ROCPRIM_400000_NS6detail17trampoline_kernelINS0_13select_configILj256ELj13ELNS0_17block_load_methodE3ELS4_3ELS4_3ELNS0_20block_scan_algorithmE0ELj4294967295EEENS1_25partition_config_selectorILNS1_17partition_subalgoE3EjNS0_10empty_typeEbEEZZNS1_14partition_implILS8_3ELb0ES6_jNS0_17counting_iteratorIjlEEPS9_SE_NS0_5tupleIJPjSE_EEENSF_IJSE_SE_EEES9_SG_JZNS1_25segmented_radix_sort_implINS0_14default_configELb0EPKlPlSM_SN_N2at6native12_GLOBAL__N_18offset_tEEE10hipError_tPvRmT1_PNSt15iterator_traitsISV_E10value_typeET2_T3_PNSW_IS11_E10value_typeET4_jRbjT5_S17_jjP12ihipStream_tbEUljE_EEESS_ST_SU_S11_S15_S17_T6_T7_T9_mT8_S19_bDpT10_ENKUlT_T0_E_clISt17integral_constantIbLb1EES1L_IbLb0EEEEDaS1H_S1I_EUlS1H_E_NS1_11comp_targetILNS1_3genE10ELNS1_11target_archE1200ELNS1_3gpuE4ELNS1_3repE0EEENS1_30default_config_static_selectorELNS0_4arch9wavefront6targetE1EEEvSV_.num_named_barrier, 0
	.set _ZN7rocprim17ROCPRIM_400000_NS6detail17trampoline_kernelINS0_13select_configILj256ELj13ELNS0_17block_load_methodE3ELS4_3ELS4_3ELNS0_20block_scan_algorithmE0ELj4294967295EEENS1_25partition_config_selectorILNS1_17partition_subalgoE3EjNS0_10empty_typeEbEEZZNS1_14partition_implILS8_3ELb0ES6_jNS0_17counting_iteratorIjlEEPS9_SE_NS0_5tupleIJPjSE_EEENSF_IJSE_SE_EEES9_SG_JZNS1_25segmented_radix_sort_implINS0_14default_configELb0EPKlPlSM_SN_N2at6native12_GLOBAL__N_18offset_tEEE10hipError_tPvRmT1_PNSt15iterator_traitsISV_E10value_typeET2_T3_PNSW_IS11_E10value_typeET4_jRbjT5_S17_jjP12ihipStream_tbEUljE_EEESS_ST_SU_S11_S15_S17_T6_T7_T9_mT8_S19_bDpT10_ENKUlT_T0_E_clISt17integral_constantIbLb1EES1L_IbLb0EEEEDaS1H_S1I_EUlS1H_E_NS1_11comp_targetILNS1_3genE10ELNS1_11target_archE1200ELNS1_3gpuE4ELNS1_3repE0EEENS1_30default_config_static_selectorELNS0_4arch9wavefront6targetE1EEEvSV_.private_seg_size, 0
	.set _ZN7rocprim17ROCPRIM_400000_NS6detail17trampoline_kernelINS0_13select_configILj256ELj13ELNS0_17block_load_methodE3ELS4_3ELS4_3ELNS0_20block_scan_algorithmE0ELj4294967295EEENS1_25partition_config_selectorILNS1_17partition_subalgoE3EjNS0_10empty_typeEbEEZZNS1_14partition_implILS8_3ELb0ES6_jNS0_17counting_iteratorIjlEEPS9_SE_NS0_5tupleIJPjSE_EEENSF_IJSE_SE_EEES9_SG_JZNS1_25segmented_radix_sort_implINS0_14default_configELb0EPKlPlSM_SN_N2at6native12_GLOBAL__N_18offset_tEEE10hipError_tPvRmT1_PNSt15iterator_traitsISV_E10value_typeET2_T3_PNSW_IS11_E10value_typeET4_jRbjT5_S17_jjP12ihipStream_tbEUljE_EEESS_ST_SU_S11_S15_S17_T6_T7_T9_mT8_S19_bDpT10_ENKUlT_T0_E_clISt17integral_constantIbLb1EES1L_IbLb0EEEEDaS1H_S1I_EUlS1H_E_NS1_11comp_targetILNS1_3genE10ELNS1_11target_archE1200ELNS1_3gpuE4ELNS1_3repE0EEENS1_30default_config_static_selectorELNS0_4arch9wavefront6targetE1EEEvSV_.uses_vcc, 0
	.set _ZN7rocprim17ROCPRIM_400000_NS6detail17trampoline_kernelINS0_13select_configILj256ELj13ELNS0_17block_load_methodE3ELS4_3ELS4_3ELNS0_20block_scan_algorithmE0ELj4294967295EEENS1_25partition_config_selectorILNS1_17partition_subalgoE3EjNS0_10empty_typeEbEEZZNS1_14partition_implILS8_3ELb0ES6_jNS0_17counting_iteratorIjlEEPS9_SE_NS0_5tupleIJPjSE_EEENSF_IJSE_SE_EEES9_SG_JZNS1_25segmented_radix_sort_implINS0_14default_configELb0EPKlPlSM_SN_N2at6native12_GLOBAL__N_18offset_tEEE10hipError_tPvRmT1_PNSt15iterator_traitsISV_E10value_typeET2_T3_PNSW_IS11_E10value_typeET4_jRbjT5_S17_jjP12ihipStream_tbEUljE_EEESS_ST_SU_S11_S15_S17_T6_T7_T9_mT8_S19_bDpT10_ENKUlT_T0_E_clISt17integral_constantIbLb1EES1L_IbLb0EEEEDaS1H_S1I_EUlS1H_E_NS1_11comp_targetILNS1_3genE10ELNS1_11target_archE1200ELNS1_3gpuE4ELNS1_3repE0EEENS1_30default_config_static_selectorELNS0_4arch9wavefront6targetE1EEEvSV_.uses_flat_scratch, 0
	.set _ZN7rocprim17ROCPRIM_400000_NS6detail17trampoline_kernelINS0_13select_configILj256ELj13ELNS0_17block_load_methodE3ELS4_3ELS4_3ELNS0_20block_scan_algorithmE0ELj4294967295EEENS1_25partition_config_selectorILNS1_17partition_subalgoE3EjNS0_10empty_typeEbEEZZNS1_14partition_implILS8_3ELb0ES6_jNS0_17counting_iteratorIjlEEPS9_SE_NS0_5tupleIJPjSE_EEENSF_IJSE_SE_EEES9_SG_JZNS1_25segmented_radix_sort_implINS0_14default_configELb0EPKlPlSM_SN_N2at6native12_GLOBAL__N_18offset_tEEE10hipError_tPvRmT1_PNSt15iterator_traitsISV_E10value_typeET2_T3_PNSW_IS11_E10value_typeET4_jRbjT5_S17_jjP12ihipStream_tbEUljE_EEESS_ST_SU_S11_S15_S17_T6_T7_T9_mT8_S19_bDpT10_ENKUlT_T0_E_clISt17integral_constantIbLb1EES1L_IbLb0EEEEDaS1H_S1I_EUlS1H_E_NS1_11comp_targetILNS1_3genE10ELNS1_11target_archE1200ELNS1_3gpuE4ELNS1_3repE0EEENS1_30default_config_static_selectorELNS0_4arch9wavefront6targetE1EEEvSV_.has_dyn_sized_stack, 0
	.set _ZN7rocprim17ROCPRIM_400000_NS6detail17trampoline_kernelINS0_13select_configILj256ELj13ELNS0_17block_load_methodE3ELS4_3ELS4_3ELNS0_20block_scan_algorithmE0ELj4294967295EEENS1_25partition_config_selectorILNS1_17partition_subalgoE3EjNS0_10empty_typeEbEEZZNS1_14partition_implILS8_3ELb0ES6_jNS0_17counting_iteratorIjlEEPS9_SE_NS0_5tupleIJPjSE_EEENSF_IJSE_SE_EEES9_SG_JZNS1_25segmented_radix_sort_implINS0_14default_configELb0EPKlPlSM_SN_N2at6native12_GLOBAL__N_18offset_tEEE10hipError_tPvRmT1_PNSt15iterator_traitsISV_E10value_typeET2_T3_PNSW_IS11_E10value_typeET4_jRbjT5_S17_jjP12ihipStream_tbEUljE_EEESS_ST_SU_S11_S15_S17_T6_T7_T9_mT8_S19_bDpT10_ENKUlT_T0_E_clISt17integral_constantIbLb1EES1L_IbLb0EEEEDaS1H_S1I_EUlS1H_E_NS1_11comp_targetILNS1_3genE10ELNS1_11target_archE1200ELNS1_3gpuE4ELNS1_3repE0EEENS1_30default_config_static_selectorELNS0_4arch9wavefront6targetE1EEEvSV_.has_recursion, 0
	.set _ZN7rocprim17ROCPRIM_400000_NS6detail17trampoline_kernelINS0_13select_configILj256ELj13ELNS0_17block_load_methodE3ELS4_3ELS4_3ELNS0_20block_scan_algorithmE0ELj4294967295EEENS1_25partition_config_selectorILNS1_17partition_subalgoE3EjNS0_10empty_typeEbEEZZNS1_14partition_implILS8_3ELb0ES6_jNS0_17counting_iteratorIjlEEPS9_SE_NS0_5tupleIJPjSE_EEENSF_IJSE_SE_EEES9_SG_JZNS1_25segmented_radix_sort_implINS0_14default_configELb0EPKlPlSM_SN_N2at6native12_GLOBAL__N_18offset_tEEE10hipError_tPvRmT1_PNSt15iterator_traitsISV_E10value_typeET2_T3_PNSW_IS11_E10value_typeET4_jRbjT5_S17_jjP12ihipStream_tbEUljE_EEESS_ST_SU_S11_S15_S17_T6_T7_T9_mT8_S19_bDpT10_ENKUlT_T0_E_clISt17integral_constantIbLb1EES1L_IbLb0EEEEDaS1H_S1I_EUlS1H_E_NS1_11comp_targetILNS1_3genE10ELNS1_11target_archE1200ELNS1_3gpuE4ELNS1_3repE0EEENS1_30default_config_static_selectorELNS0_4arch9wavefront6targetE1EEEvSV_.has_indirect_call, 0
	.section	.AMDGPU.csdata,"",@progbits
; Kernel info:
; codeLenInByte = 0
; TotalNumSgprs: 4
; NumVgprs: 0
; ScratchSize: 0
; MemoryBound: 0
; FloatMode: 240
; IeeeMode: 1
; LDSByteSize: 0 bytes/workgroup (compile time only)
; SGPRBlocks: 0
; VGPRBlocks: 0
; NumSGPRsForWavesPerEU: 4
; NumVGPRsForWavesPerEU: 1
; Occupancy: 10
; WaveLimiterHint : 0
; COMPUTE_PGM_RSRC2:SCRATCH_EN: 0
; COMPUTE_PGM_RSRC2:USER_SGPR: 6
; COMPUTE_PGM_RSRC2:TRAP_HANDLER: 0
; COMPUTE_PGM_RSRC2:TGID_X_EN: 1
; COMPUTE_PGM_RSRC2:TGID_Y_EN: 0
; COMPUTE_PGM_RSRC2:TGID_Z_EN: 0
; COMPUTE_PGM_RSRC2:TIDIG_COMP_CNT: 0
	.section	.text._ZN7rocprim17ROCPRIM_400000_NS6detail17trampoline_kernelINS0_13select_configILj256ELj13ELNS0_17block_load_methodE3ELS4_3ELS4_3ELNS0_20block_scan_algorithmE0ELj4294967295EEENS1_25partition_config_selectorILNS1_17partition_subalgoE3EjNS0_10empty_typeEbEEZZNS1_14partition_implILS8_3ELb0ES6_jNS0_17counting_iteratorIjlEEPS9_SE_NS0_5tupleIJPjSE_EEENSF_IJSE_SE_EEES9_SG_JZNS1_25segmented_radix_sort_implINS0_14default_configELb0EPKlPlSM_SN_N2at6native12_GLOBAL__N_18offset_tEEE10hipError_tPvRmT1_PNSt15iterator_traitsISV_E10value_typeET2_T3_PNSW_IS11_E10value_typeET4_jRbjT5_S17_jjP12ihipStream_tbEUljE_EEESS_ST_SU_S11_S15_S17_T6_T7_T9_mT8_S19_bDpT10_ENKUlT_T0_E_clISt17integral_constantIbLb1EES1L_IbLb0EEEEDaS1H_S1I_EUlS1H_E_NS1_11comp_targetILNS1_3genE9ELNS1_11target_archE1100ELNS1_3gpuE3ELNS1_3repE0EEENS1_30default_config_static_selectorELNS0_4arch9wavefront6targetE1EEEvSV_,"axG",@progbits,_ZN7rocprim17ROCPRIM_400000_NS6detail17trampoline_kernelINS0_13select_configILj256ELj13ELNS0_17block_load_methodE3ELS4_3ELS4_3ELNS0_20block_scan_algorithmE0ELj4294967295EEENS1_25partition_config_selectorILNS1_17partition_subalgoE3EjNS0_10empty_typeEbEEZZNS1_14partition_implILS8_3ELb0ES6_jNS0_17counting_iteratorIjlEEPS9_SE_NS0_5tupleIJPjSE_EEENSF_IJSE_SE_EEES9_SG_JZNS1_25segmented_radix_sort_implINS0_14default_configELb0EPKlPlSM_SN_N2at6native12_GLOBAL__N_18offset_tEEE10hipError_tPvRmT1_PNSt15iterator_traitsISV_E10value_typeET2_T3_PNSW_IS11_E10value_typeET4_jRbjT5_S17_jjP12ihipStream_tbEUljE_EEESS_ST_SU_S11_S15_S17_T6_T7_T9_mT8_S19_bDpT10_ENKUlT_T0_E_clISt17integral_constantIbLb1EES1L_IbLb0EEEEDaS1H_S1I_EUlS1H_E_NS1_11comp_targetILNS1_3genE9ELNS1_11target_archE1100ELNS1_3gpuE3ELNS1_3repE0EEENS1_30default_config_static_selectorELNS0_4arch9wavefront6targetE1EEEvSV_,comdat
	.globl	_ZN7rocprim17ROCPRIM_400000_NS6detail17trampoline_kernelINS0_13select_configILj256ELj13ELNS0_17block_load_methodE3ELS4_3ELS4_3ELNS0_20block_scan_algorithmE0ELj4294967295EEENS1_25partition_config_selectorILNS1_17partition_subalgoE3EjNS0_10empty_typeEbEEZZNS1_14partition_implILS8_3ELb0ES6_jNS0_17counting_iteratorIjlEEPS9_SE_NS0_5tupleIJPjSE_EEENSF_IJSE_SE_EEES9_SG_JZNS1_25segmented_radix_sort_implINS0_14default_configELb0EPKlPlSM_SN_N2at6native12_GLOBAL__N_18offset_tEEE10hipError_tPvRmT1_PNSt15iterator_traitsISV_E10value_typeET2_T3_PNSW_IS11_E10value_typeET4_jRbjT5_S17_jjP12ihipStream_tbEUljE_EEESS_ST_SU_S11_S15_S17_T6_T7_T9_mT8_S19_bDpT10_ENKUlT_T0_E_clISt17integral_constantIbLb1EES1L_IbLb0EEEEDaS1H_S1I_EUlS1H_E_NS1_11comp_targetILNS1_3genE9ELNS1_11target_archE1100ELNS1_3gpuE3ELNS1_3repE0EEENS1_30default_config_static_selectorELNS0_4arch9wavefront6targetE1EEEvSV_ ; -- Begin function _ZN7rocprim17ROCPRIM_400000_NS6detail17trampoline_kernelINS0_13select_configILj256ELj13ELNS0_17block_load_methodE3ELS4_3ELS4_3ELNS0_20block_scan_algorithmE0ELj4294967295EEENS1_25partition_config_selectorILNS1_17partition_subalgoE3EjNS0_10empty_typeEbEEZZNS1_14partition_implILS8_3ELb0ES6_jNS0_17counting_iteratorIjlEEPS9_SE_NS0_5tupleIJPjSE_EEENSF_IJSE_SE_EEES9_SG_JZNS1_25segmented_radix_sort_implINS0_14default_configELb0EPKlPlSM_SN_N2at6native12_GLOBAL__N_18offset_tEEE10hipError_tPvRmT1_PNSt15iterator_traitsISV_E10value_typeET2_T3_PNSW_IS11_E10value_typeET4_jRbjT5_S17_jjP12ihipStream_tbEUljE_EEESS_ST_SU_S11_S15_S17_T6_T7_T9_mT8_S19_bDpT10_ENKUlT_T0_E_clISt17integral_constantIbLb1EES1L_IbLb0EEEEDaS1H_S1I_EUlS1H_E_NS1_11comp_targetILNS1_3genE9ELNS1_11target_archE1100ELNS1_3gpuE3ELNS1_3repE0EEENS1_30default_config_static_selectorELNS0_4arch9wavefront6targetE1EEEvSV_
	.p2align	8
	.type	_ZN7rocprim17ROCPRIM_400000_NS6detail17trampoline_kernelINS0_13select_configILj256ELj13ELNS0_17block_load_methodE3ELS4_3ELS4_3ELNS0_20block_scan_algorithmE0ELj4294967295EEENS1_25partition_config_selectorILNS1_17partition_subalgoE3EjNS0_10empty_typeEbEEZZNS1_14partition_implILS8_3ELb0ES6_jNS0_17counting_iteratorIjlEEPS9_SE_NS0_5tupleIJPjSE_EEENSF_IJSE_SE_EEES9_SG_JZNS1_25segmented_radix_sort_implINS0_14default_configELb0EPKlPlSM_SN_N2at6native12_GLOBAL__N_18offset_tEEE10hipError_tPvRmT1_PNSt15iterator_traitsISV_E10value_typeET2_T3_PNSW_IS11_E10value_typeET4_jRbjT5_S17_jjP12ihipStream_tbEUljE_EEESS_ST_SU_S11_S15_S17_T6_T7_T9_mT8_S19_bDpT10_ENKUlT_T0_E_clISt17integral_constantIbLb1EES1L_IbLb0EEEEDaS1H_S1I_EUlS1H_E_NS1_11comp_targetILNS1_3genE9ELNS1_11target_archE1100ELNS1_3gpuE3ELNS1_3repE0EEENS1_30default_config_static_selectorELNS0_4arch9wavefront6targetE1EEEvSV_,@function
_ZN7rocprim17ROCPRIM_400000_NS6detail17trampoline_kernelINS0_13select_configILj256ELj13ELNS0_17block_load_methodE3ELS4_3ELS4_3ELNS0_20block_scan_algorithmE0ELj4294967295EEENS1_25partition_config_selectorILNS1_17partition_subalgoE3EjNS0_10empty_typeEbEEZZNS1_14partition_implILS8_3ELb0ES6_jNS0_17counting_iteratorIjlEEPS9_SE_NS0_5tupleIJPjSE_EEENSF_IJSE_SE_EEES9_SG_JZNS1_25segmented_radix_sort_implINS0_14default_configELb0EPKlPlSM_SN_N2at6native12_GLOBAL__N_18offset_tEEE10hipError_tPvRmT1_PNSt15iterator_traitsISV_E10value_typeET2_T3_PNSW_IS11_E10value_typeET4_jRbjT5_S17_jjP12ihipStream_tbEUljE_EEESS_ST_SU_S11_S15_S17_T6_T7_T9_mT8_S19_bDpT10_ENKUlT_T0_E_clISt17integral_constantIbLb1EES1L_IbLb0EEEEDaS1H_S1I_EUlS1H_E_NS1_11comp_targetILNS1_3genE9ELNS1_11target_archE1100ELNS1_3gpuE3ELNS1_3repE0EEENS1_30default_config_static_selectorELNS0_4arch9wavefront6targetE1EEEvSV_: ; @_ZN7rocprim17ROCPRIM_400000_NS6detail17trampoline_kernelINS0_13select_configILj256ELj13ELNS0_17block_load_methodE3ELS4_3ELS4_3ELNS0_20block_scan_algorithmE0ELj4294967295EEENS1_25partition_config_selectorILNS1_17partition_subalgoE3EjNS0_10empty_typeEbEEZZNS1_14partition_implILS8_3ELb0ES6_jNS0_17counting_iteratorIjlEEPS9_SE_NS0_5tupleIJPjSE_EEENSF_IJSE_SE_EEES9_SG_JZNS1_25segmented_radix_sort_implINS0_14default_configELb0EPKlPlSM_SN_N2at6native12_GLOBAL__N_18offset_tEEE10hipError_tPvRmT1_PNSt15iterator_traitsISV_E10value_typeET2_T3_PNSW_IS11_E10value_typeET4_jRbjT5_S17_jjP12ihipStream_tbEUljE_EEESS_ST_SU_S11_S15_S17_T6_T7_T9_mT8_S19_bDpT10_ENKUlT_T0_E_clISt17integral_constantIbLb1EES1L_IbLb0EEEEDaS1H_S1I_EUlS1H_E_NS1_11comp_targetILNS1_3genE9ELNS1_11target_archE1100ELNS1_3gpuE3ELNS1_3repE0EEENS1_30default_config_static_selectorELNS0_4arch9wavefront6targetE1EEEvSV_
; %bb.0:
	.section	.rodata,"a",@progbits
	.p2align	6, 0x0
	.amdhsa_kernel _ZN7rocprim17ROCPRIM_400000_NS6detail17trampoline_kernelINS0_13select_configILj256ELj13ELNS0_17block_load_methodE3ELS4_3ELS4_3ELNS0_20block_scan_algorithmE0ELj4294967295EEENS1_25partition_config_selectorILNS1_17partition_subalgoE3EjNS0_10empty_typeEbEEZZNS1_14partition_implILS8_3ELb0ES6_jNS0_17counting_iteratorIjlEEPS9_SE_NS0_5tupleIJPjSE_EEENSF_IJSE_SE_EEES9_SG_JZNS1_25segmented_radix_sort_implINS0_14default_configELb0EPKlPlSM_SN_N2at6native12_GLOBAL__N_18offset_tEEE10hipError_tPvRmT1_PNSt15iterator_traitsISV_E10value_typeET2_T3_PNSW_IS11_E10value_typeET4_jRbjT5_S17_jjP12ihipStream_tbEUljE_EEESS_ST_SU_S11_S15_S17_T6_T7_T9_mT8_S19_bDpT10_ENKUlT_T0_E_clISt17integral_constantIbLb1EES1L_IbLb0EEEEDaS1H_S1I_EUlS1H_E_NS1_11comp_targetILNS1_3genE9ELNS1_11target_archE1100ELNS1_3gpuE3ELNS1_3repE0EEENS1_30default_config_static_selectorELNS0_4arch9wavefront6targetE1EEEvSV_
		.amdhsa_group_segment_fixed_size 0
		.amdhsa_private_segment_fixed_size 0
		.amdhsa_kernarg_size 144
		.amdhsa_user_sgpr_count 6
		.amdhsa_user_sgpr_private_segment_buffer 1
		.amdhsa_user_sgpr_dispatch_ptr 0
		.amdhsa_user_sgpr_queue_ptr 0
		.amdhsa_user_sgpr_kernarg_segment_ptr 1
		.amdhsa_user_sgpr_dispatch_id 0
		.amdhsa_user_sgpr_flat_scratch_init 0
		.amdhsa_user_sgpr_private_segment_size 0
		.amdhsa_uses_dynamic_stack 0
		.amdhsa_system_sgpr_private_segment_wavefront_offset 0
		.amdhsa_system_sgpr_workgroup_id_x 1
		.amdhsa_system_sgpr_workgroup_id_y 0
		.amdhsa_system_sgpr_workgroup_id_z 0
		.amdhsa_system_sgpr_workgroup_info 0
		.amdhsa_system_vgpr_workitem_id 0
		.amdhsa_next_free_vgpr 1
		.amdhsa_next_free_sgpr 0
		.amdhsa_reserve_vcc 0
		.amdhsa_reserve_flat_scratch 0
		.amdhsa_float_round_mode_32 0
		.amdhsa_float_round_mode_16_64 0
		.amdhsa_float_denorm_mode_32 3
		.amdhsa_float_denorm_mode_16_64 3
		.amdhsa_dx10_clamp 1
		.amdhsa_ieee_mode 1
		.amdhsa_fp16_overflow 0
		.amdhsa_exception_fp_ieee_invalid_op 0
		.amdhsa_exception_fp_denorm_src 0
		.amdhsa_exception_fp_ieee_div_zero 0
		.amdhsa_exception_fp_ieee_overflow 0
		.amdhsa_exception_fp_ieee_underflow 0
		.amdhsa_exception_fp_ieee_inexact 0
		.amdhsa_exception_int_div_zero 0
	.end_amdhsa_kernel
	.section	.text._ZN7rocprim17ROCPRIM_400000_NS6detail17trampoline_kernelINS0_13select_configILj256ELj13ELNS0_17block_load_methodE3ELS4_3ELS4_3ELNS0_20block_scan_algorithmE0ELj4294967295EEENS1_25partition_config_selectorILNS1_17partition_subalgoE3EjNS0_10empty_typeEbEEZZNS1_14partition_implILS8_3ELb0ES6_jNS0_17counting_iteratorIjlEEPS9_SE_NS0_5tupleIJPjSE_EEENSF_IJSE_SE_EEES9_SG_JZNS1_25segmented_radix_sort_implINS0_14default_configELb0EPKlPlSM_SN_N2at6native12_GLOBAL__N_18offset_tEEE10hipError_tPvRmT1_PNSt15iterator_traitsISV_E10value_typeET2_T3_PNSW_IS11_E10value_typeET4_jRbjT5_S17_jjP12ihipStream_tbEUljE_EEESS_ST_SU_S11_S15_S17_T6_T7_T9_mT8_S19_bDpT10_ENKUlT_T0_E_clISt17integral_constantIbLb1EES1L_IbLb0EEEEDaS1H_S1I_EUlS1H_E_NS1_11comp_targetILNS1_3genE9ELNS1_11target_archE1100ELNS1_3gpuE3ELNS1_3repE0EEENS1_30default_config_static_selectorELNS0_4arch9wavefront6targetE1EEEvSV_,"axG",@progbits,_ZN7rocprim17ROCPRIM_400000_NS6detail17trampoline_kernelINS0_13select_configILj256ELj13ELNS0_17block_load_methodE3ELS4_3ELS4_3ELNS0_20block_scan_algorithmE0ELj4294967295EEENS1_25partition_config_selectorILNS1_17partition_subalgoE3EjNS0_10empty_typeEbEEZZNS1_14partition_implILS8_3ELb0ES6_jNS0_17counting_iteratorIjlEEPS9_SE_NS0_5tupleIJPjSE_EEENSF_IJSE_SE_EEES9_SG_JZNS1_25segmented_radix_sort_implINS0_14default_configELb0EPKlPlSM_SN_N2at6native12_GLOBAL__N_18offset_tEEE10hipError_tPvRmT1_PNSt15iterator_traitsISV_E10value_typeET2_T3_PNSW_IS11_E10value_typeET4_jRbjT5_S17_jjP12ihipStream_tbEUljE_EEESS_ST_SU_S11_S15_S17_T6_T7_T9_mT8_S19_bDpT10_ENKUlT_T0_E_clISt17integral_constantIbLb1EES1L_IbLb0EEEEDaS1H_S1I_EUlS1H_E_NS1_11comp_targetILNS1_3genE9ELNS1_11target_archE1100ELNS1_3gpuE3ELNS1_3repE0EEENS1_30default_config_static_selectorELNS0_4arch9wavefront6targetE1EEEvSV_,comdat
.Lfunc_end797:
	.size	_ZN7rocprim17ROCPRIM_400000_NS6detail17trampoline_kernelINS0_13select_configILj256ELj13ELNS0_17block_load_methodE3ELS4_3ELS4_3ELNS0_20block_scan_algorithmE0ELj4294967295EEENS1_25partition_config_selectorILNS1_17partition_subalgoE3EjNS0_10empty_typeEbEEZZNS1_14partition_implILS8_3ELb0ES6_jNS0_17counting_iteratorIjlEEPS9_SE_NS0_5tupleIJPjSE_EEENSF_IJSE_SE_EEES9_SG_JZNS1_25segmented_radix_sort_implINS0_14default_configELb0EPKlPlSM_SN_N2at6native12_GLOBAL__N_18offset_tEEE10hipError_tPvRmT1_PNSt15iterator_traitsISV_E10value_typeET2_T3_PNSW_IS11_E10value_typeET4_jRbjT5_S17_jjP12ihipStream_tbEUljE_EEESS_ST_SU_S11_S15_S17_T6_T7_T9_mT8_S19_bDpT10_ENKUlT_T0_E_clISt17integral_constantIbLb1EES1L_IbLb0EEEEDaS1H_S1I_EUlS1H_E_NS1_11comp_targetILNS1_3genE9ELNS1_11target_archE1100ELNS1_3gpuE3ELNS1_3repE0EEENS1_30default_config_static_selectorELNS0_4arch9wavefront6targetE1EEEvSV_, .Lfunc_end797-_ZN7rocprim17ROCPRIM_400000_NS6detail17trampoline_kernelINS0_13select_configILj256ELj13ELNS0_17block_load_methodE3ELS4_3ELS4_3ELNS0_20block_scan_algorithmE0ELj4294967295EEENS1_25partition_config_selectorILNS1_17partition_subalgoE3EjNS0_10empty_typeEbEEZZNS1_14partition_implILS8_3ELb0ES6_jNS0_17counting_iteratorIjlEEPS9_SE_NS0_5tupleIJPjSE_EEENSF_IJSE_SE_EEES9_SG_JZNS1_25segmented_radix_sort_implINS0_14default_configELb0EPKlPlSM_SN_N2at6native12_GLOBAL__N_18offset_tEEE10hipError_tPvRmT1_PNSt15iterator_traitsISV_E10value_typeET2_T3_PNSW_IS11_E10value_typeET4_jRbjT5_S17_jjP12ihipStream_tbEUljE_EEESS_ST_SU_S11_S15_S17_T6_T7_T9_mT8_S19_bDpT10_ENKUlT_T0_E_clISt17integral_constantIbLb1EES1L_IbLb0EEEEDaS1H_S1I_EUlS1H_E_NS1_11comp_targetILNS1_3genE9ELNS1_11target_archE1100ELNS1_3gpuE3ELNS1_3repE0EEENS1_30default_config_static_selectorELNS0_4arch9wavefront6targetE1EEEvSV_
                                        ; -- End function
	.set _ZN7rocprim17ROCPRIM_400000_NS6detail17trampoline_kernelINS0_13select_configILj256ELj13ELNS0_17block_load_methodE3ELS4_3ELS4_3ELNS0_20block_scan_algorithmE0ELj4294967295EEENS1_25partition_config_selectorILNS1_17partition_subalgoE3EjNS0_10empty_typeEbEEZZNS1_14partition_implILS8_3ELb0ES6_jNS0_17counting_iteratorIjlEEPS9_SE_NS0_5tupleIJPjSE_EEENSF_IJSE_SE_EEES9_SG_JZNS1_25segmented_radix_sort_implINS0_14default_configELb0EPKlPlSM_SN_N2at6native12_GLOBAL__N_18offset_tEEE10hipError_tPvRmT1_PNSt15iterator_traitsISV_E10value_typeET2_T3_PNSW_IS11_E10value_typeET4_jRbjT5_S17_jjP12ihipStream_tbEUljE_EEESS_ST_SU_S11_S15_S17_T6_T7_T9_mT8_S19_bDpT10_ENKUlT_T0_E_clISt17integral_constantIbLb1EES1L_IbLb0EEEEDaS1H_S1I_EUlS1H_E_NS1_11comp_targetILNS1_3genE9ELNS1_11target_archE1100ELNS1_3gpuE3ELNS1_3repE0EEENS1_30default_config_static_selectorELNS0_4arch9wavefront6targetE1EEEvSV_.num_vgpr, 0
	.set _ZN7rocprim17ROCPRIM_400000_NS6detail17trampoline_kernelINS0_13select_configILj256ELj13ELNS0_17block_load_methodE3ELS4_3ELS4_3ELNS0_20block_scan_algorithmE0ELj4294967295EEENS1_25partition_config_selectorILNS1_17partition_subalgoE3EjNS0_10empty_typeEbEEZZNS1_14partition_implILS8_3ELb0ES6_jNS0_17counting_iteratorIjlEEPS9_SE_NS0_5tupleIJPjSE_EEENSF_IJSE_SE_EEES9_SG_JZNS1_25segmented_radix_sort_implINS0_14default_configELb0EPKlPlSM_SN_N2at6native12_GLOBAL__N_18offset_tEEE10hipError_tPvRmT1_PNSt15iterator_traitsISV_E10value_typeET2_T3_PNSW_IS11_E10value_typeET4_jRbjT5_S17_jjP12ihipStream_tbEUljE_EEESS_ST_SU_S11_S15_S17_T6_T7_T9_mT8_S19_bDpT10_ENKUlT_T0_E_clISt17integral_constantIbLb1EES1L_IbLb0EEEEDaS1H_S1I_EUlS1H_E_NS1_11comp_targetILNS1_3genE9ELNS1_11target_archE1100ELNS1_3gpuE3ELNS1_3repE0EEENS1_30default_config_static_selectorELNS0_4arch9wavefront6targetE1EEEvSV_.num_agpr, 0
	.set _ZN7rocprim17ROCPRIM_400000_NS6detail17trampoline_kernelINS0_13select_configILj256ELj13ELNS0_17block_load_methodE3ELS4_3ELS4_3ELNS0_20block_scan_algorithmE0ELj4294967295EEENS1_25partition_config_selectorILNS1_17partition_subalgoE3EjNS0_10empty_typeEbEEZZNS1_14partition_implILS8_3ELb0ES6_jNS0_17counting_iteratorIjlEEPS9_SE_NS0_5tupleIJPjSE_EEENSF_IJSE_SE_EEES9_SG_JZNS1_25segmented_radix_sort_implINS0_14default_configELb0EPKlPlSM_SN_N2at6native12_GLOBAL__N_18offset_tEEE10hipError_tPvRmT1_PNSt15iterator_traitsISV_E10value_typeET2_T3_PNSW_IS11_E10value_typeET4_jRbjT5_S17_jjP12ihipStream_tbEUljE_EEESS_ST_SU_S11_S15_S17_T6_T7_T9_mT8_S19_bDpT10_ENKUlT_T0_E_clISt17integral_constantIbLb1EES1L_IbLb0EEEEDaS1H_S1I_EUlS1H_E_NS1_11comp_targetILNS1_3genE9ELNS1_11target_archE1100ELNS1_3gpuE3ELNS1_3repE0EEENS1_30default_config_static_selectorELNS0_4arch9wavefront6targetE1EEEvSV_.numbered_sgpr, 0
	.set _ZN7rocprim17ROCPRIM_400000_NS6detail17trampoline_kernelINS0_13select_configILj256ELj13ELNS0_17block_load_methodE3ELS4_3ELS4_3ELNS0_20block_scan_algorithmE0ELj4294967295EEENS1_25partition_config_selectorILNS1_17partition_subalgoE3EjNS0_10empty_typeEbEEZZNS1_14partition_implILS8_3ELb0ES6_jNS0_17counting_iteratorIjlEEPS9_SE_NS0_5tupleIJPjSE_EEENSF_IJSE_SE_EEES9_SG_JZNS1_25segmented_radix_sort_implINS0_14default_configELb0EPKlPlSM_SN_N2at6native12_GLOBAL__N_18offset_tEEE10hipError_tPvRmT1_PNSt15iterator_traitsISV_E10value_typeET2_T3_PNSW_IS11_E10value_typeET4_jRbjT5_S17_jjP12ihipStream_tbEUljE_EEESS_ST_SU_S11_S15_S17_T6_T7_T9_mT8_S19_bDpT10_ENKUlT_T0_E_clISt17integral_constantIbLb1EES1L_IbLb0EEEEDaS1H_S1I_EUlS1H_E_NS1_11comp_targetILNS1_3genE9ELNS1_11target_archE1100ELNS1_3gpuE3ELNS1_3repE0EEENS1_30default_config_static_selectorELNS0_4arch9wavefront6targetE1EEEvSV_.num_named_barrier, 0
	.set _ZN7rocprim17ROCPRIM_400000_NS6detail17trampoline_kernelINS0_13select_configILj256ELj13ELNS0_17block_load_methodE3ELS4_3ELS4_3ELNS0_20block_scan_algorithmE0ELj4294967295EEENS1_25partition_config_selectorILNS1_17partition_subalgoE3EjNS0_10empty_typeEbEEZZNS1_14partition_implILS8_3ELb0ES6_jNS0_17counting_iteratorIjlEEPS9_SE_NS0_5tupleIJPjSE_EEENSF_IJSE_SE_EEES9_SG_JZNS1_25segmented_radix_sort_implINS0_14default_configELb0EPKlPlSM_SN_N2at6native12_GLOBAL__N_18offset_tEEE10hipError_tPvRmT1_PNSt15iterator_traitsISV_E10value_typeET2_T3_PNSW_IS11_E10value_typeET4_jRbjT5_S17_jjP12ihipStream_tbEUljE_EEESS_ST_SU_S11_S15_S17_T6_T7_T9_mT8_S19_bDpT10_ENKUlT_T0_E_clISt17integral_constantIbLb1EES1L_IbLb0EEEEDaS1H_S1I_EUlS1H_E_NS1_11comp_targetILNS1_3genE9ELNS1_11target_archE1100ELNS1_3gpuE3ELNS1_3repE0EEENS1_30default_config_static_selectorELNS0_4arch9wavefront6targetE1EEEvSV_.private_seg_size, 0
	.set _ZN7rocprim17ROCPRIM_400000_NS6detail17trampoline_kernelINS0_13select_configILj256ELj13ELNS0_17block_load_methodE3ELS4_3ELS4_3ELNS0_20block_scan_algorithmE0ELj4294967295EEENS1_25partition_config_selectorILNS1_17partition_subalgoE3EjNS0_10empty_typeEbEEZZNS1_14partition_implILS8_3ELb0ES6_jNS0_17counting_iteratorIjlEEPS9_SE_NS0_5tupleIJPjSE_EEENSF_IJSE_SE_EEES9_SG_JZNS1_25segmented_radix_sort_implINS0_14default_configELb0EPKlPlSM_SN_N2at6native12_GLOBAL__N_18offset_tEEE10hipError_tPvRmT1_PNSt15iterator_traitsISV_E10value_typeET2_T3_PNSW_IS11_E10value_typeET4_jRbjT5_S17_jjP12ihipStream_tbEUljE_EEESS_ST_SU_S11_S15_S17_T6_T7_T9_mT8_S19_bDpT10_ENKUlT_T0_E_clISt17integral_constantIbLb1EES1L_IbLb0EEEEDaS1H_S1I_EUlS1H_E_NS1_11comp_targetILNS1_3genE9ELNS1_11target_archE1100ELNS1_3gpuE3ELNS1_3repE0EEENS1_30default_config_static_selectorELNS0_4arch9wavefront6targetE1EEEvSV_.uses_vcc, 0
	.set _ZN7rocprim17ROCPRIM_400000_NS6detail17trampoline_kernelINS0_13select_configILj256ELj13ELNS0_17block_load_methodE3ELS4_3ELS4_3ELNS0_20block_scan_algorithmE0ELj4294967295EEENS1_25partition_config_selectorILNS1_17partition_subalgoE3EjNS0_10empty_typeEbEEZZNS1_14partition_implILS8_3ELb0ES6_jNS0_17counting_iteratorIjlEEPS9_SE_NS0_5tupleIJPjSE_EEENSF_IJSE_SE_EEES9_SG_JZNS1_25segmented_radix_sort_implINS0_14default_configELb0EPKlPlSM_SN_N2at6native12_GLOBAL__N_18offset_tEEE10hipError_tPvRmT1_PNSt15iterator_traitsISV_E10value_typeET2_T3_PNSW_IS11_E10value_typeET4_jRbjT5_S17_jjP12ihipStream_tbEUljE_EEESS_ST_SU_S11_S15_S17_T6_T7_T9_mT8_S19_bDpT10_ENKUlT_T0_E_clISt17integral_constantIbLb1EES1L_IbLb0EEEEDaS1H_S1I_EUlS1H_E_NS1_11comp_targetILNS1_3genE9ELNS1_11target_archE1100ELNS1_3gpuE3ELNS1_3repE0EEENS1_30default_config_static_selectorELNS0_4arch9wavefront6targetE1EEEvSV_.uses_flat_scratch, 0
	.set _ZN7rocprim17ROCPRIM_400000_NS6detail17trampoline_kernelINS0_13select_configILj256ELj13ELNS0_17block_load_methodE3ELS4_3ELS4_3ELNS0_20block_scan_algorithmE0ELj4294967295EEENS1_25partition_config_selectorILNS1_17partition_subalgoE3EjNS0_10empty_typeEbEEZZNS1_14partition_implILS8_3ELb0ES6_jNS0_17counting_iteratorIjlEEPS9_SE_NS0_5tupleIJPjSE_EEENSF_IJSE_SE_EEES9_SG_JZNS1_25segmented_radix_sort_implINS0_14default_configELb0EPKlPlSM_SN_N2at6native12_GLOBAL__N_18offset_tEEE10hipError_tPvRmT1_PNSt15iterator_traitsISV_E10value_typeET2_T3_PNSW_IS11_E10value_typeET4_jRbjT5_S17_jjP12ihipStream_tbEUljE_EEESS_ST_SU_S11_S15_S17_T6_T7_T9_mT8_S19_bDpT10_ENKUlT_T0_E_clISt17integral_constantIbLb1EES1L_IbLb0EEEEDaS1H_S1I_EUlS1H_E_NS1_11comp_targetILNS1_3genE9ELNS1_11target_archE1100ELNS1_3gpuE3ELNS1_3repE0EEENS1_30default_config_static_selectorELNS0_4arch9wavefront6targetE1EEEvSV_.has_dyn_sized_stack, 0
	.set _ZN7rocprim17ROCPRIM_400000_NS6detail17trampoline_kernelINS0_13select_configILj256ELj13ELNS0_17block_load_methodE3ELS4_3ELS4_3ELNS0_20block_scan_algorithmE0ELj4294967295EEENS1_25partition_config_selectorILNS1_17partition_subalgoE3EjNS0_10empty_typeEbEEZZNS1_14partition_implILS8_3ELb0ES6_jNS0_17counting_iteratorIjlEEPS9_SE_NS0_5tupleIJPjSE_EEENSF_IJSE_SE_EEES9_SG_JZNS1_25segmented_radix_sort_implINS0_14default_configELb0EPKlPlSM_SN_N2at6native12_GLOBAL__N_18offset_tEEE10hipError_tPvRmT1_PNSt15iterator_traitsISV_E10value_typeET2_T3_PNSW_IS11_E10value_typeET4_jRbjT5_S17_jjP12ihipStream_tbEUljE_EEESS_ST_SU_S11_S15_S17_T6_T7_T9_mT8_S19_bDpT10_ENKUlT_T0_E_clISt17integral_constantIbLb1EES1L_IbLb0EEEEDaS1H_S1I_EUlS1H_E_NS1_11comp_targetILNS1_3genE9ELNS1_11target_archE1100ELNS1_3gpuE3ELNS1_3repE0EEENS1_30default_config_static_selectorELNS0_4arch9wavefront6targetE1EEEvSV_.has_recursion, 0
	.set _ZN7rocprim17ROCPRIM_400000_NS6detail17trampoline_kernelINS0_13select_configILj256ELj13ELNS0_17block_load_methodE3ELS4_3ELS4_3ELNS0_20block_scan_algorithmE0ELj4294967295EEENS1_25partition_config_selectorILNS1_17partition_subalgoE3EjNS0_10empty_typeEbEEZZNS1_14partition_implILS8_3ELb0ES6_jNS0_17counting_iteratorIjlEEPS9_SE_NS0_5tupleIJPjSE_EEENSF_IJSE_SE_EEES9_SG_JZNS1_25segmented_radix_sort_implINS0_14default_configELb0EPKlPlSM_SN_N2at6native12_GLOBAL__N_18offset_tEEE10hipError_tPvRmT1_PNSt15iterator_traitsISV_E10value_typeET2_T3_PNSW_IS11_E10value_typeET4_jRbjT5_S17_jjP12ihipStream_tbEUljE_EEESS_ST_SU_S11_S15_S17_T6_T7_T9_mT8_S19_bDpT10_ENKUlT_T0_E_clISt17integral_constantIbLb1EES1L_IbLb0EEEEDaS1H_S1I_EUlS1H_E_NS1_11comp_targetILNS1_3genE9ELNS1_11target_archE1100ELNS1_3gpuE3ELNS1_3repE0EEENS1_30default_config_static_selectorELNS0_4arch9wavefront6targetE1EEEvSV_.has_indirect_call, 0
	.section	.AMDGPU.csdata,"",@progbits
; Kernel info:
; codeLenInByte = 0
; TotalNumSgprs: 4
; NumVgprs: 0
; ScratchSize: 0
; MemoryBound: 0
; FloatMode: 240
; IeeeMode: 1
; LDSByteSize: 0 bytes/workgroup (compile time only)
; SGPRBlocks: 0
; VGPRBlocks: 0
; NumSGPRsForWavesPerEU: 4
; NumVGPRsForWavesPerEU: 1
; Occupancy: 10
; WaveLimiterHint : 0
; COMPUTE_PGM_RSRC2:SCRATCH_EN: 0
; COMPUTE_PGM_RSRC2:USER_SGPR: 6
; COMPUTE_PGM_RSRC2:TRAP_HANDLER: 0
; COMPUTE_PGM_RSRC2:TGID_X_EN: 1
; COMPUTE_PGM_RSRC2:TGID_Y_EN: 0
; COMPUTE_PGM_RSRC2:TGID_Z_EN: 0
; COMPUTE_PGM_RSRC2:TIDIG_COMP_CNT: 0
	.section	.text._ZN7rocprim17ROCPRIM_400000_NS6detail17trampoline_kernelINS0_13select_configILj256ELj13ELNS0_17block_load_methodE3ELS4_3ELS4_3ELNS0_20block_scan_algorithmE0ELj4294967295EEENS1_25partition_config_selectorILNS1_17partition_subalgoE3EjNS0_10empty_typeEbEEZZNS1_14partition_implILS8_3ELb0ES6_jNS0_17counting_iteratorIjlEEPS9_SE_NS0_5tupleIJPjSE_EEENSF_IJSE_SE_EEES9_SG_JZNS1_25segmented_radix_sort_implINS0_14default_configELb0EPKlPlSM_SN_N2at6native12_GLOBAL__N_18offset_tEEE10hipError_tPvRmT1_PNSt15iterator_traitsISV_E10value_typeET2_T3_PNSW_IS11_E10value_typeET4_jRbjT5_S17_jjP12ihipStream_tbEUljE_EEESS_ST_SU_S11_S15_S17_T6_T7_T9_mT8_S19_bDpT10_ENKUlT_T0_E_clISt17integral_constantIbLb1EES1L_IbLb0EEEEDaS1H_S1I_EUlS1H_E_NS1_11comp_targetILNS1_3genE8ELNS1_11target_archE1030ELNS1_3gpuE2ELNS1_3repE0EEENS1_30default_config_static_selectorELNS0_4arch9wavefront6targetE1EEEvSV_,"axG",@progbits,_ZN7rocprim17ROCPRIM_400000_NS6detail17trampoline_kernelINS0_13select_configILj256ELj13ELNS0_17block_load_methodE3ELS4_3ELS4_3ELNS0_20block_scan_algorithmE0ELj4294967295EEENS1_25partition_config_selectorILNS1_17partition_subalgoE3EjNS0_10empty_typeEbEEZZNS1_14partition_implILS8_3ELb0ES6_jNS0_17counting_iteratorIjlEEPS9_SE_NS0_5tupleIJPjSE_EEENSF_IJSE_SE_EEES9_SG_JZNS1_25segmented_radix_sort_implINS0_14default_configELb0EPKlPlSM_SN_N2at6native12_GLOBAL__N_18offset_tEEE10hipError_tPvRmT1_PNSt15iterator_traitsISV_E10value_typeET2_T3_PNSW_IS11_E10value_typeET4_jRbjT5_S17_jjP12ihipStream_tbEUljE_EEESS_ST_SU_S11_S15_S17_T6_T7_T9_mT8_S19_bDpT10_ENKUlT_T0_E_clISt17integral_constantIbLb1EES1L_IbLb0EEEEDaS1H_S1I_EUlS1H_E_NS1_11comp_targetILNS1_3genE8ELNS1_11target_archE1030ELNS1_3gpuE2ELNS1_3repE0EEENS1_30default_config_static_selectorELNS0_4arch9wavefront6targetE1EEEvSV_,comdat
	.globl	_ZN7rocprim17ROCPRIM_400000_NS6detail17trampoline_kernelINS0_13select_configILj256ELj13ELNS0_17block_load_methodE3ELS4_3ELS4_3ELNS0_20block_scan_algorithmE0ELj4294967295EEENS1_25partition_config_selectorILNS1_17partition_subalgoE3EjNS0_10empty_typeEbEEZZNS1_14partition_implILS8_3ELb0ES6_jNS0_17counting_iteratorIjlEEPS9_SE_NS0_5tupleIJPjSE_EEENSF_IJSE_SE_EEES9_SG_JZNS1_25segmented_radix_sort_implINS0_14default_configELb0EPKlPlSM_SN_N2at6native12_GLOBAL__N_18offset_tEEE10hipError_tPvRmT1_PNSt15iterator_traitsISV_E10value_typeET2_T3_PNSW_IS11_E10value_typeET4_jRbjT5_S17_jjP12ihipStream_tbEUljE_EEESS_ST_SU_S11_S15_S17_T6_T7_T9_mT8_S19_bDpT10_ENKUlT_T0_E_clISt17integral_constantIbLb1EES1L_IbLb0EEEEDaS1H_S1I_EUlS1H_E_NS1_11comp_targetILNS1_3genE8ELNS1_11target_archE1030ELNS1_3gpuE2ELNS1_3repE0EEENS1_30default_config_static_selectorELNS0_4arch9wavefront6targetE1EEEvSV_ ; -- Begin function _ZN7rocprim17ROCPRIM_400000_NS6detail17trampoline_kernelINS0_13select_configILj256ELj13ELNS0_17block_load_methodE3ELS4_3ELS4_3ELNS0_20block_scan_algorithmE0ELj4294967295EEENS1_25partition_config_selectorILNS1_17partition_subalgoE3EjNS0_10empty_typeEbEEZZNS1_14partition_implILS8_3ELb0ES6_jNS0_17counting_iteratorIjlEEPS9_SE_NS0_5tupleIJPjSE_EEENSF_IJSE_SE_EEES9_SG_JZNS1_25segmented_radix_sort_implINS0_14default_configELb0EPKlPlSM_SN_N2at6native12_GLOBAL__N_18offset_tEEE10hipError_tPvRmT1_PNSt15iterator_traitsISV_E10value_typeET2_T3_PNSW_IS11_E10value_typeET4_jRbjT5_S17_jjP12ihipStream_tbEUljE_EEESS_ST_SU_S11_S15_S17_T6_T7_T9_mT8_S19_bDpT10_ENKUlT_T0_E_clISt17integral_constantIbLb1EES1L_IbLb0EEEEDaS1H_S1I_EUlS1H_E_NS1_11comp_targetILNS1_3genE8ELNS1_11target_archE1030ELNS1_3gpuE2ELNS1_3repE0EEENS1_30default_config_static_selectorELNS0_4arch9wavefront6targetE1EEEvSV_
	.p2align	8
	.type	_ZN7rocprim17ROCPRIM_400000_NS6detail17trampoline_kernelINS0_13select_configILj256ELj13ELNS0_17block_load_methodE3ELS4_3ELS4_3ELNS0_20block_scan_algorithmE0ELj4294967295EEENS1_25partition_config_selectorILNS1_17partition_subalgoE3EjNS0_10empty_typeEbEEZZNS1_14partition_implILS8_3ELb0ES6_jNS0_17counting_iteratorIjlEEPS9_SE_NS0_5tupleIJPjSE_EEENSF_IJSE_SE_EEES9_SG_JZNS1_25segmented_radix_sort_implINS0_14default_configELb0EPKlPlSM_SN_N2at6native12_GLOBAL__N_18offset_tEEE10hipError_tPvRmT1_PNSt15iterator_traitsISV_E10value_typeET2_T3_PNSW_IS11_E10value_typeET4_jRbjT5_S17_jjP12ihipStream_tbEUljE_EEESS_ST_SU_S11_S15_S17_T6_T7_T9_mT8_S19_bDpT10_ENKUlT_T0_E_clISt17integral_constantIbLb1EES1L_IbLb0EEEEDaS1H_S1I_EUlS1H_E_NS1_11comp_targetILNS1_3genE8ELNS1_11target_archE1030ELNS1_3gpuE2ELNS1_3repE0EEENS1_30default_config_static_selectorELNS0_4arch9wavefront6targetE1EEEvSV_,@function
_ZN7rocprim17ROCPRIM_400000_NS6detail17trampoline_kernelINS0_13select_configILj256ELj13ELNS0_17block_load_methodE3ELS4_3ELS4_3ELNS0_20block_scan_algorithmE0ELj4294967295EEENS1_25partition_config_selectorILNS1_17partition_subalgoE3EjNS0_10empty_typeEbEEZZNS1_14partition_implILS8_3ELb0ES6_jNS0_17counting_iteratorIjlEEPS9_SE_NS0_5tupleIJPjSE_EEENSF_IJSE_SE_EEES9_SG_JZNS1_25segmented_radix_sort_implINS0_14default_configELb0EPKlPlSM_SN_N2at6native12_GLOBAL__N_18offset_tEEE10hipError_tPvRmT1_PNSt15iterator_traitsISV_E10value_typeET2_T3_PNSW_IS11_E10value_typeET4_jRbjT5_S17_jjP12ihipStream_tbEUljE_EEESS_ST_SU_S11_S15_S17_T6_T7_T9_mT8_S19_bDpT10_ENKUlT_T0_E_clISt17integral_constantIbLb1EES1L_IbLb0EEEEDaS1H_S1I_EUlS1H_E_NS1_11comp_targetILNS1_3genE8ELNS1_11target_archE1030ELNS1_3gpuE2ELNS1_3repE0EEENS1_30default_config_static_selectorELNS0_4arch9wavefront6targetE1EEEvSV_: ; @_ZN7rocprim17ROCPRIM_400000_NS6detail17trampoline_kernelINS0_13select_configILj256ELj13ELNS0_17block_load_methodE3ELS4_3ELS4_3ELNS0_20block_scan_algorithmE0ELj4294967295EEENS1_25partition_config_selectorILNS1_17partition_subalgoE3EjNS0_10empty_typeEbEEZZNS1_14partition_implILS8_3ELb0ES6_jNS0_17counting_iteratorIjlEEPS9_SE_NS0_5tupleIJPjSE_EEENSF_IJSE_SE_EEES9_SG_JZNS1_25segmented_radix_sort_implINS0_14default_configELb0EPKlPlSM_SN_N2at6native12_GLOBAL__N_18offset_tEEE10hipError_tPvRmT1_PNSt15iterator_traitsISV_E10value_typeET2_T3_PNSW_IS11_E10value_typeET4_jRbjT5_S17_jjP12ihipStream_tbEUljE_EEESS_ST_SU_S11_S15_S17_T6_T7_T9_mT8_S19_bDpT10_ENKUlT_T0_E_clISt17integral_constantIbLb1EES1L_IbLb0EEEEDaS1H_S1I_EUlS1H_E_NS1_11comp_targetILNS1_3genE8ELNS1_11target_archE1030ELNS1_3gpuE2ELNS1_3repE0EEENS1_30default_config_static_selectorELNS0_4arch9wavefront6targetE1EEEvSV_
; %bb.0:
	.section	.rodata,"a",@progbits
	.p2align	6, 0x0
	.amdhsa_kernel _ZN7rocprim17ROCPRIM_400000_NS6detail17trampoline_kernelINS0_13select_configILj256ELj13ELNS0_17block_load_methodE3ELS4_3ELS4_3ELNS0_20block_scan_algorithmE0ELj4294967295EEENS1_25partition_config_selectorILNS1_17partition_subalgoE3EjNS0_10empty_typeEbEEZZNS1_14partition_implILS8_3ELb0ES6_jNS0_17counting_iteratorIjlEEPS9_SE_NS0_5tupleIJPjSE_EEENSF_IJSE_SE_EEES9_SG_JZNS1_25segmented_radix_sort_implINS0_14default_configELb0EPKlPlSM_SN_N2at6native12_GLOBAL__N_18offset_tEEE10hipError_tPvRmT1_PNSt15iterator_traitsISV_E10value_typeET2_T3_PNSW_IS11_E10value_typeET4_jRbjT5_S17_jjP12ihipStream_tbEUljE_EEESS_ST_SU_S11_S15_S17_T6_T7_T9_mT8_S19_bDpT10_ENKUlT_T0_E_clISt17integral_constantIbLb1EES1L_IbLb0EEEEDaS1H_S1I_EUlS1H_E_NS1_11comp_targetILNS1_3genE8ELNS1_11target_archE1030ELNS1_3gpuE2ELNS1_3repE0EEENS1_30default_config_static_selectorELNS0_4arch9wavefront6targetE1EEEvSV_
		.amdhsa_group_segment_fixed_size 0
		.amdhsa_private_segment_fixed_size 0
		.amdhsa_kernarg_size 144
		.amdhsa_user_sgpr_count 6
		.amdhsa_user_sgpr_private_segment_buffer 1
		.amdhsa_user_sgpr_dispatch_ptr 0
		.amdhsa_user_sgpr_queue_ptr 0
		.amdhsa_user_sgpr_kernarg_segment_ptr 1
		.amdhsa_user_sgpr_dispatch_id 0
		.amdhsa_user_sgpr_flat_scratch_init 0
		.amdhsa_user_sgpr_private_segment_size 0
		.amdhsa_uses_dynamic_stack 0
		.amdhsa_system_sgpr_private_segment_wavefront_offset 0
		.amdhsa_system_sgpr_workgroup_id_x 1
		.amdhsa_system_sgpr_workgroup_id_y 0
		.amdhsa_system_sgpr_workgroup_id_z 0
		.amdhsa_system_sgpr_workgroup_info 0
		.amdhsa_system_vgpr_workitem_id 0
		.amdhsa_next_free_vgpr 1
		.amdhsa_next_free_sgpr 0
		.amdhsa_reserve_vcc 0
		.amdhsa_reserve_flat_scratch 0
		.amdhsa_float_round_mode_32 0
		.amdhsa_float_round_mode_16_64 0
		.amdhsa_float_denorm_mode_32 3
		.amdhsa_float_denorm_mode_16_64 3
		.amdhsa_dx10_clamp 1
		.amdhsa_ieee_mode 1
		.amdhsa_fp16_overflow 0
		.amdhsa_exception_fp_ieee_invalid_op 0
		.amdhsa_exception_fp_denorm_src 0
		.amdhsa_exception_fp_ieee_div_zero 0
		.amdhsa_exception_fp_ieee_overflow 0
		.amdhsa_exception_fp_ieee_underflow 0
		.amdhsa_exception_fp_ieee_inexact 0
		.amdhsa_exception_int_div_zero 0
	.end_amdhsa_kernel
	.section	.text._ZN7rocprim17ROCPRIM_400000_NS6detail17trampoline_kernelINS0_13select_configILj256ELj13ELNS0_17block_load_methodE3ELS4_3ELS4_3ELNS0_20block_scan_algorithmE0ELj4294967295EEENS1_25partition_config_selectorILNS1_17partition_subalgoE3EjNS0_10empty_typeEbEEZZNS1_14partition_implILS8_3ELb0ES6_jNS0_17counting_iteratorIjlEEPS9_SE_NS0_5tupleIJPjSE_EEENSF_IJSE_SE_EEES9_SG_JZNS1_25segmented_radix_sort_implINS0_14default_configELb0EPKlPlSM_SN_N2at6native12_GLOBAL__N_18offset_tEEE10hipError_tPvRmT1_PNSt15iterator_traitsISV_E10value_typeET2_T3_PNSW_IS11_E10value_typeET4_jRbjT5_S17_jjP12ihipStream_tbEUljE_EEESS_ST_SU_S11_S15_S17_T6_T7_T9_mT8_S19_bDpT10_ENKUlT_T0_E_clISt17integral_constantIbLb1EES1L_IbLb0EEEEDaS1H_S1I_EUlS1H_E_NS1_11comp_targetILNS1_3genE8ELNS1_11target_archE1030ELNS1_3gpuE2ELNS1_3repE0EEENS1_30default_config_static_selectorELNS0_4arch9wavefront6targetE1EEEvSV_,"axG",@progbits,_ZN7rocprim17ROCPRIM_400000_NS6detail17trampoline_kernelINS0_13select_configILj256ELj13ELNS0_17block_load_methodE3ELS4_3ELS4_3ELNS0_20block_scan_algorithmE0ELj4294967295EEENS1_25partition_config_selectorILNS1_17partition_subalgoE3EjNS0_10empty_typeEbEEZZNS1_14partition_implILS8_3ELb0ES6_jNS0_17counting_iteratorIjlEEPS9_SE_NS0_5tupleIJPjSE_EEENSF_IJSE_SE_EEES9_SG_JZNS1_25segmented_radix_sort_implINS0_14default_configELb0EPKlPlSM_SN_N2at6native12_GLOBAL__N_18offset_tEEE10hipError_tPvRmT1_PNSt15iterator_traitsISV_E10value_typeET2_T3_PNSW_IS11_E10value_typeET4_jRbjT5_S17_jjP12ihipStream_tbEUljE_EEESS_ST_SU_S11_S15_S17_T6_T7_T9_mT8_S19_bDpT10_ENKUlT_T0_E_clISt17integral_constantIbLb1EES1L_IbLb0EEEEDaS1H_S1I_EUlS1H_E_NS1_11comp_targetILNS1_3genE8ELNS1_11target_archE1030ELNS1_3gpuE2ELNS1_3repE0EEENS1_30default_config_static_selectorELNS0_4arch9wavefront6targetE1EEEvSV_,comdat
.Lfunc_end798:
	.size	_ZN7rocprim17ROCPRIM_400000_NS6detail17trampoline_kernelINS0_13select_configILj256ELj13ELNS0_17block_load_methodE3ELS4_3ELS4_3ELNS0_20block_scan_algorithmE0ELj4294967295EEENS1_25partition_config_selectorILNS1_17partition_subalgoE3EjNS0_10empty_typeEbEEZZNS1_14partition_implILS8_3ELb0ES6_jNS0_17counting_iteratorIjlEEPS9_SE_NS0_5tupleIJPjSE_EEENSF_IJSE_SE_EEES9_SG_JZNS1_25segmented_radix_sort_implINS0_14default_configELb0EPKlPlSM_SN_N2at6native12_GLOBAL__N_18offset_tEEE10hipError_tPvRmT1_PNSt15iterator_traitsISV_E10value_typeET2_T3_PNSW_IS11_E10value_typeET4_jRbjT5_S17_jjP12ihipStream_tbEUljE_EEESS_ST_SU_S11_S15_S17_T6_T7_T9_mT8_S19_bDpT10_ENKUlT_T0_E_clISt17integral_constantIbLb1EES1L_IbLb0EEEEDaS1H_S1I_EUlS1H_E_NS1_11comp_targetILNS1_3genE8ELNS1_11target_archE1030ELNS1_3gpuE2ELNS1_3repE0EEENS1_30default_config_static_selectorELNS0_4arch9wavefront6targetE1EEEvSV_, .Lfunc_end798-_ZN7rocprim17ROCPRIM_400000_NS6detail17trampoline_kernelINS0_13select_configILj256ELj13ELNS0_17block_load_methodE3ELS4_3ELS4_3ELNS0_20block_scan_algorithmE0ELj4294967295EEENS1_25partition_config_selectorILNS1_17partition_subalgoE3EjNS0_10empty_typeEbEEZZNS1_14partition_implILS8_3ELb0ES6_jNS0_17counting_iteratorIjlEEPS9_SE_NS0_5tupleIJPjSE_EEENSF_IJSE_SE_EEES9_SG_JZNS1_25segmented_radix_sort_implINS0_14default_configELb0EPKlPlSM_SN_N2at6native12_GLOBAL__N_18offset_tEEE10hipError_tPvRmT1_PNSt15iterator_traitsISV_E10value_typeET2_T3_PNSW_IS11_E10value_typeET4_jRbjT5_S17_jjP12ihipStream_tbEUljE_EEESS_ST_SU_S11_S15_S17_T6_T7_T9_mT8_S19_bDpT10_ENKUlT_T0_E_clISt17integral_constantIbLb1EES1L_IbLb0EEEEDaS1H_S1I_EUlS1H_E_NS1_11comp_targetILNS1_3genE8ELNS1_11target_archE1030ELNS1_3gpuE2ELNS1_3repE0EEENS1_30default_config_static_selectorELNS0_4arch9wavefront6targetE1EEEvSV_
                                        ; -- End function
	.set _ZN7rocprim17ROCPRIM_400000_NS6detail17trampoline_kernelINS0_13select_configILj256ELj13ELNS0_17block_load_methodE3ELS4_3ELS4_3ELNS0_20block_scan_algorithmE0ELj4294967295EEENS1_25partition_config_selectorILNS1_17partition_subalgoE3EjNS0_10empty_typeEbEEZZNS1_14partition_implILS8_3ELb0ES6_jNS0_17counting_iteratorIjlEEPS9_SE_NS0_5tupleIJPjSE_EEENSF_IJSE_SE_EEES9_SG_JZNS1_25segmented_radix_sort_implINS0_14default_configELb0EPKlPlSM_SN_N2at6native12_GLOBAL__N_18offset_tEEE10hipError_tPvRmT1_PNSt15iterator_traitsISV_E10value_typeET2_T3_PNSW_IS11_E10value_typeET4_jRbjT5_S17_jjP12ihipStream_tbEUljE_EEESS_ST_SU_S11_S15_S17_T6_T7_T9_mT8_S19_bDpT10_ENKUlT_T0_E_clISt17integral_constantIbLb1EES1L_IbLb0EEEEDaS1H_S1I_EUlS1H_E_NS1_11comp_targetILNS1_3genE8ELNS1_11target_archE1030ELNS1_3gpuE2ELNS1_3repE0EEENS1_30default_config_static_selectorELNS0_4arch9wavefront6targetE1EEEvSV_.num_vgpr, 0
	.set _ZN7rocprim17ROCPRIM_400000_NS6detail17trampoline_kernelINS0_13select_configILj256ELj13ELNS0_17block_load_methodE3ELS4_3ELS4_3ELNS0_20block_scan_algorithmE0ELj4294967295EEENS1_25partition_config_selectorILNS1_17partition_subalgoE3EjNS0_10empty_typeEbEEZZNS1_14partition_implILS8_3ELb0ES6_jNS0_17counting_iteratorIjlEEPS9_SE_NS0_5tupleIJPjSE_EEENSF_IJSE_SE_EEES9_SG_JZNS1_25segmented_radix_sort_implINS0_14default_configELb0EPKlPlSM_SN_N2at6native12_GLOBAL__N_18offset_tEEE10hipError_tPvRmT1_PNSt15iterator_traitsISV_E10value_typeET2_T3_PNSW_IS11_E10value_typeET4_jRbjT5_S17_jjP12ihipStream_tbEUljE_EEESS_ST_SU_S11_S15_S17_T6_T7_T9_mT8_S19_bDpT10_ENKUlT_T0_E_clISt17integral_constantIbLb1EES1L_IbLb0EEEEDaS1H_S1I_EUlS1H_E_NS1_11comp_targetILNS1_3genE8ELNS1_11target_archE1030ELNS1_3gpuE2ELNS1_3repE0EEENS1_30default_config_static_selectorELNS0_4arch9wavefront6targetE1EEEvSV_.num_agpr, 0
	.set _ZN7rocprim17ROCPRIM_400000_NS6detail17trampoline_kernelINS0_13select_configILj256ELj13ELNS0_17block_load_methodE3ELS4_3ELS4_3ELNS0_20block_scan_algorithmE0ELj4294967295EEENS1_25partition_config_selectorILNS1_17partition_subalgoE3EjNS0_10empty_typeEbEEZZNS1_14partition_implILS8_3ELb0ES6_jNS0_17counting_iteratorIjlEEPS9_SE_NS0_5tupleIJPjSE_EEENSF_IJSE_SE_EEES9_SG_JZNS1_25segmented_radix_sort_implINS0_14default_configELb0EPKlPlSM_SN_N2at6native12_GLOBAL__N_18offset_tEEE10hipError_tPvRmT1_PNSt15iterator_traitsISV_E10value_typeET2_T3_PNSW_IS11_E10value_typeET4_jRbjT5_S17_jjP12ihipStream_tbEUljE_EEESS_ST_SU_S11_S15_S17_T6_T7_T9_mT8_S19_bDpT10_ENKUlT_T0_E_clISt17integral_constantIbLb1EES1L_IbLb0EEEEDaS1H_S1I_EUlS1H_E_NS1_11comp_targetILNS1_3genE8ELNS1_11target_archE1030ELNS1_3gpuE2ELNS1_3repE0EEENS1_30default_config_static_selectorELNS0_4arch9wavefront6targetE1EEEvSV_.numbered_sgpr, 0
	.set _ZN7rocprim17ROCPRIM_400000_NS6detail17trampoline_kernelINS0_13select_configILj256ELj13ELNS0_17block_load_methodE3ELS4_3ELS4_3ELNS0_20block_scan_algorithmE0ELj4294967295EEENS1_25partition_config_selectorILNS1_17partition_subalgoE3EjNS0_10empty_typeEbEEZZNS1_14partition_implILS8_3ELb0ES6_jNS0_17counting_iteratorIjlEEPS9_SE_NS0_5tupleIJPjSE_EEENSF_IJSE_SE_EEES9_SG_JZNS1_25segmented_radix_sort_implINS0_14default_configELb0EPKlPlSM_SN_N2at6native12_GLOBAL__N_18offset_tEEE10hipError_tPvRmT1_PNSt15iterator_traitsISV_E10value_typeET2_T3_PNSW_IS11_E10value_typeET4_jRbjT5_S17_jjP12ihipStream_tbEUljE_EEESS_ST_SU_S11_S15_S17_T6_T7_T9_mT8_S19_bDpT10_ENKUlT_T0_E_clISt17integral_constantIbLb1EES1L_IbLb0EEEEDaS1H_S1I_EUlS1H_E_NS1_11comp_targetILNS1_3genE8ELNS1_11target_archE1030ELNS1_3gpuE2ELNS1_3repE0EEENS1_30default_config_static_selectorELNS0_4arch9wavefront6targetE1EEEvSV_.num_named_barrier, 0
	.set _ZN7rocprim17ROCPRIM_400000_NS6detail17trampoline_kernelINS0_13select_configILj256ELj13ELNS0_17block_load_methodE3ELS4_3ELS4_3ELNS0_20block_scan_algorithmE0ELj4294967295EEENS1_25partition_config_selectorILNS1_17partition_subalgoE3EjNS0_10empty_typeEbEEZZNS1_14partition_implILS8_3ELb0ES6_jNS0_17counting_iteratorIjlEEPS9_SE_NS0_5tupleIJPjSE_EEENSF_IJSE_SE_EEES9_SG_JZNS1_25segmented_radix_sort_implINS0_14default_configELb0EPKlPlSM_SN_N2at6native12_GLOBAL__N_18offset_tEEE10hipError_tPvRmT1_PNSt15iterator_traitsISV_E10value_typeET2_T3_PNSW_IS11_E10value_typeET4_jRbjT5_S17_jjP12ihipStream_tbEUljE_EEESS_ST_SU_S11_S15_S17_T6_T7_T9_mT8_S19_bDpT10_ENKUlT_T0_E_clISt17integral_constantIbLb1EES1L_IbLb0EEEEDaS1H_S1I_EUlS1H_E_NS1_11comp_targetILNS1_3genE8ELNS1_11target_archE1030ELNS1_3gpuE2ELNS1_3repE0EEENS1_30default_config_static_selectorELNS0_4arch9wavefront6targetE1EEEvSV_.private_seg_size, 0
	.set _ZN7rocprim17ROCPRIM_400000_NS6detail17trampoline_kernelINS0_13select_configILj256ELj13ELNS0_17block_load_methodE3ELS4_3ELS4_3ELNS0_20block_scan_algorithmE0ELj4294967295EEENS1_25partition_config_selectorILNS1_17partition_subalgoE3EjNS0_10empty_typeEbEEZZNS1_14partition_implILS8_3ELb0ES6_jNS0_17counting_iteratorIjlEEPS9_SE_NS0_5tupleIJPjSE_EEENSF_IJSE_SE_EEES9_SG_JZNS1_25segmented_radix_sort_implINS0_14default_configELb0EPKlPlSM_SN_N2at6native12_GLOBAL__N_18offset_tEEE10hipError_tPvRmT1_PNSt15iterator_traitsISV_E10value_typeET2_T3_PNSW_IS11_E10value_typeET4_jRbjT5_S17_jjP12ihipStream_tbEUljE_EEESS_ST_SU_S11_S15_S17_T6_T7_T9_mT8_S19_bDpT10_ENKUlT_T0_E_clISt17integral_constantIbLb1EES1L_IbLb0EEEEDaS1H_S1I_EUlS1H_E_NS1_11comp_targetILNS1_3genE8ELNS1_11target_archE1030ELNS1_3gpuE2ELNS1_3repE0EEENS1_30default_config_static_selectorELNS0_4arch9wavefront6targetE1EEEvSV_.uses_vcc, 0
	.set _ZN7rocprim17ROCPRIM_400000_NS6detail17trampoline_kernelINS0_13select_configILj256ELj13ELNS0_17block_load_methodE3ELS4_3ELS4_3ELNS0_20block_scan_algorithmE0ELj4294967295EEENS1_25partition_config_selectorILNS1_17partition_subalgoE3EjNS0_10empty_typeEbEEZZNS1_14partition_implILS8_3ELb0ES6_jNS0_17counting_iteratorIjlEEPS9_SE_NS0_5tupleIJPjSE_EEENSF_IJSE_SE_EEES9_SG_JZNS1_25segmented_radix_sort_implINS0_14default_configELb0EPKlPlSM_SN_N2at6native12_GLOBAL__N_18offset_tEEE10hipError_tPvRmT1_PNSt15iterator_traitsISV_E10value_typeET2_T3_PNSW_IS11_E10value_typeET4_jRbjT5_S17_jjP12ihipStream_tbEUljE_EEESS_ST_SU_S11_S15_S17_T6_T7_T9_mT8_S19_bDpT10_ENKUlT_T0_E_clISt17integral_constantIbLb1EES1L_IbLb0EEEEDaS1H_S1I_EUlS1H_E_NS1_11comp_targetILNS1_3genE8ELNS1_11target_archE1030ELNS1_3gpuE2ELNS1_3repE0EEENS1_30default_config_static_selectorELNS0_4arch9wavefront6targetE1EEEvSV_.uses_flat_scratch, 0
	.set _ZN7rocprim17ROCPRIM_400000_NS6detail17trampoline_kernelINS0_13select_configILj256ELj13ELNS0_17block_load_methodE3ELS4_3ELS4_3ELNS0_20block_scan_algorithmE0ELj4294967295EEENS1_25partition_config_selectorILNS1_17partition_subalgoE3EjNS0_10empty_typeEbEEZZNS1_14partition_implILS8_3ELb0ES6_jNS0_17counting_iteratorIjlEEPS9_SE_NS0_5tupleIJPjSE_EEENSF_IJSE_SE_EEES9_SG_JZNS1_25segmented_radix_sort_implINS0_14default_configELb0EPKlPlSM_SN_N2at6native12_GLOBAL__N_18offset_tEEE10hipError_tPvRmT1_PNSt15iterator_traitsISV_E10value_typeET2_T3_PNSW_IS11_E10value_typeET4_jRbjT5_S17_jjP12ihipStream_tbEUljE_EEESS_ST_SU_S11_S15_S17_T6_T7_T9_mT8_S19_bDpT10_ENKUlT_T0_E_clISt17integral_constantIbLb1EES1L_IbLb0EEEEDaS1H_S1I_EUlS1H_E_NS1_11comp_targetILNS1_3genE8ELNS1_11target_archE1030ELNS1_3gpuE2ELNS1_3repE0EEENS1_30default_config_static_selectorELNS0_4arch9wavefront6targetE1EEEvSV_.has_dyn_sized_stack, 0
	.set _ZN7rocprim17ROCPRIM_400000_NS6detail17trampoline_kernelINS0_13select_configILj256ELj13ELNS0_17block_load_methodE3ELS4_3ELS4_3ELNS0_20block_scan_algorithmE0ELj4294967295EEENS1_25partition_config_selectorILNS1_17partition_subalgoE3EjNS0_10empty_typeEbEEZZNS1_14partition_implILS8_3ELb0ES6_jNS0_17counting_iteratorIjlEEPS9_SE_NS0_5tupleIJPjSE_EEENSF_IJSE_SE_EEES9_SG_JZNS1_25segmented_radix_sort_implINS0_14default_configELb0EPKlPlSM_SN_N2at6native12_GLOBAL__N_18offset_tEEE10hipError_tPvRmT1_PNSt15iterator_traitsISV_E10value_typeET2_T3_PNSW_IS11_E10value_typeET4_jRbjT5_S17_jjP12ihipStream_tbEUljE_EEESS_ST_SU_S11_S15_S17_T6_T7_T9_mT8_S19_bDpT10_ENKUlT_T0_E_clISt17integral_constantIbLb1EES1L_IbLb0EEEEDaS1H_S1I_EUlS1H_E_NS1_11comp_targetILNS1_3genE8ELNS1_11target_archE1030ELNS1_3gpuE2ELNS1_3repE0EEENS1_30default_config_static_selectorELNS0_4arch9wavefront6targetE1EEEvSV_.has_recursion, 0
	.set _ZN7rocprim17ROCPRIM_400000_NS6detail17trampoline_kernelINS0_13select_configILj256ELj13ELNS0_17block_load_methodE3ELS4_3ELS4_3ELNS0_20block_scan_algorithmE0ELj4294967295EEENS1_25partition_config_selectorILNS1_17partition_subalgoE3EjNS0_10empty_typeEbEEZZNS1_14partition_implILS8_3ELb0ES6_jNS0_17counting_iteratorIjlEEPS9_SE_NS0_5tupleIJPjSE_EEENSF_IJSE_SE_EEES9_SG_JZNS1_25segmented_radix_sort_implINS0_14default_configELb0EPKlPlSM_SN_N2at6native12_GLOBAL__N_18offset_tEEE10hipError_tPvRmT1_PNSt15iterator_traitsISV_E10value_typeET2_T3_PNSW_IS11_E10value_typeET4_jRbjT5_S17_jjP12ihipStream_tbEUljE_EEESS_ST_SU_S11_S15_S17_T6_T7_T9_mT8_S19_bDpT10_ENKUlT_T0_E_clISt17integral_constantIbLb1EES1L_IbLb0EEEEDaS1H_S1I_EUlS1H_E_NS1_11comp_targetILNS1_3genE8ELNS1_11target_archE1030ELNS1_3gpuE2ELNS1_3repE0EEENS1_30default_config_static_selectorELNS0_4arch9wavefront6targetE1EEEvSV_.has_indirect_call, 0
	.section	.AMDGPU.csdata,"",@progbits
; Kernel info:
; codeLenInByte = 0
; TotalNumSgprs: 4
; NumVgprs: 0
; ScratchSize: 0
; MemoryBound: 0
; FloatMode: 240
; IeeeMode: 1
; LDSByteSize: 0 bytes/workgroup (compile time only)
; SGPRBlocks: 0
; VGPRBlocks: 0
; NumSGPRsForWavesPerEU: 4
; NumVGPRsForWavesPerEU: 1
; Occupancy: 10
; WaveLimiterHint : 0
; COMPUTE_PGM_RSRC2:SCRATCH_EN: 0
; COMPUTE_PGM_RSRC2:USER_SGPR: 6
; COMPUTE_PGM_RSRC2:TRAP_HANDLER: 0
; COMPUTE_PGM_RSRC2:TGID_X_EN: 1
; COMPUTE_PGM_RSRC2:TGID_Y_EN: 0
; COMPUTE_PGM_RSRC2:TGID_Z_EN: 0
; COMPUTE_PGM_RSRC2:TIDIG_COMP_CNT: 0
	.section	.text._ZN7rocprim17ROCPRIM_400000_NS6detail17trampoline_kernelINS0_13select_configILj256ELj13ELNS0_17block_load_methodE3ELS4_3ELS4_3ELNS0_20block_scan_algorithmE0ELj4294967295EEENS1_25partition_config_selectorILNS1_17partition_subalgoE3EjNS0_10empty_typeEbEEZZNS1_14partition_implILS8_3ELb0ES6_jNS0_17counting_iteratorIjlEEPS9_SE_NS0_5tupleIJPjSE_EEENSF_IJSE_SE_EEES9_SG_JZNS1_25segmented_radix_sort_implINS0_14default_configELb0EPKlPlSM_SN_N2at6native12_GLOBAL__N_18offset_tEEE10hipError_tPvRmT1_PNSt15iterator_traitsISV_E10value_typeET2_T3_PNSW_IS11_E10value_typeET4_jRbjT5_S17_jjP12ihipStream_tbEUljE_EEESS_ST_SU_S11_S15_S17_T6_T7_T9_mT8_S19_bDpT10_ENKUlT_T0_E_clISt17integral_constantIbLb0EES1L_IbLb1EEEEDaS1H_S1I_EUlS1H_E_NS1_11comp_targetILNS1_3genE0ELNS1_11target_archE4294967295ELNS1_3gpuE0ELNS1_3repE0EEENS1_30default_config_static_selectorELNS0_4arch9wavefront6targetE1EEEvSV_,"axG",@progbits,_ZN7rocprim17ROCPRIM_400000_NS6detail17trampoline_kernelINS0_13select_configILj256ELj13ELNS0_17block_load_methodE3ELS4_3ELS4_3ELNS0_20block_scan_algorithmE0ELj4294967295EEENS1_25partition_config_selectorILNS1_17partition_subalgoE3EjNS0_10empty_typeEbEEZZNS1_14partition_implILS8_3ELb0ES6_jNS0_17counting_iteratorIjlEEPS9_SE_NS0_5tupleIJPjSE_EEENSF_IJSE_SE_EEES9_SG_JZNS1_25segmented_radix_sort_implINS0_14default_configELb0EPKlPlSM_SN_N2at6native12_GLOBAL__N_18offset_tEEE10hipError_tPvRmT1_PNSt15iterator_traitsISV_E10value_typeET2_T3_PNSW_IS11_E10value_typeET4_jRbjT5_S17_jjP12ihipStream_tbEUljE_EEESS_ST_SU_S11_S15_S17_T6_T7_T9_mT8_S19_bDpT10_ENKUlT_T0_E_clISt17integral_constantIbLb0EES1L_IbLb1EEEEDaS1H_S1I_EUlS1H_E_NS1_11comp_targetILNS1_3genE0ELNS1_11target_archE4294967295ELNS1_3gpuE0ELNS1_3repE0EEENS1_30default_config_static_selectorELNS0_4arch9wavefront6targetE1EEEvSV_,comdat
	.globl	_ZN7rocprim17ROCPRIM_400000_NS6detail17trampoline_kernelINS0_13select_configILj256ELj13ELNS0_17block_load_methodE3ELS4_3ELS4_3ELNS0_20block_scan_algorithmE0ELj4294967295EEENS1_25partition_config_selectorILNS1_17partition_subalgoE3EjNS0_10empty_typeEbEEZZNS1_14partition_implILS8_3ELb0ES6_jNS0_17counting_iteratorIjlEEPS9_SE_NS0_5tupleIJPjSE_EEENSF_IJSE_SE_EEES9_SG_JZNS1_25segmented_radix_sort_implINS0_14default_configELb0EPKlPlSM_SN_N2at6native12_GLOBAL__N_18offset_tEEE10hipError_tPvRmT1_PNSt15iterator_traitsISV_E10value_typeET2_T3_PNSW_IS11_E10value_typeET4_jRbjT5_S17_jjP12ihipStream_tbEUljE_EEESS_ST_SU_S11_S15_S17_T6_T7_T9_mT8_S19_bDpT10_ENKUlT_T0_E_clISt17integral_constantIbLb0EES1L_IbLb1EEEEDaS1H_S1I_EUlS1H_E_NS1_11comp_targetILNS1_3genE0ELNS1_11target_archE4294967295ELNS1_3gpuE0ELNS1_3repE0EEENS1_30default_config_static_selectorELNS0_4arch9wavefront6targetE1EEEvSV_ ; -- Begin function _ZN7rocprim17ROCPRIM_400000_NS6detail17trampoline_kernelINS0_13select_configILj256ELj13ELNS0_17block_load_methodE3ELS4_3ELS4_3ELNS0_20block_scan_algorithmE0ELj4294967295EEENS1_25partition_config_selectorILNS1_17partition_subalgoE3EjNS0_10empty_typeEbEEZZNS1_14partition_implILS8_3ELb0ES6_jNS0_17counting_iteratorIjlEEPS9_SE_NS0_5tupleIJPjSE_EEENSF_IJSE_SE_EEES9_SG_JZNS1_25segmented_radix_sort_implINS0_14default_configELb0EPKlPlSM_SN_N2at6native12_GLOBAL__N_18offset_tEEE10hipError_tPvRmT1_PNSt15iterator_traitsISV_E10value_typeET2_T3_PNSW_IS11_E10value_typeET4_jRbjT5_S17_jjP12ihipStream_tbEUljE_EEESS_ST_SU_S11_S15_S17_T6_T7_T9_mT8_S19_bDpT10_ENKUlT_T0_E_clISt17integral_constantIbLb0EES1L_IbLb1EEEEDaS1H_S1I_EUlS1H_E_NS1_11comp_targetILNS1_3genE0ELNS1_11target_archE4294967295ELNS1_3gpuE0ELNS1_3repE0EEENS1_30default_config_static_selectorELNS0_4arch9wavefront6targetE1EEEvSV_
	.p2align	8
	.type	_ZN7rocprim17ROCPRIM_400000_NS6detail17trampoline_kernelINS0_13select_configILj256ELj13ELNS0_17block_load_methodE3ELS4_3ELS4_3ELNS0_20block_scan_algorithmE0ELj4294967295EEENS1_25partition_config_selectorILNS1_17partition_subalgoE3EjNS0_10empty_typeEbEEZZNS1_14partition_implILS8_3ELb0ES6_jNS0_17counting_iteratorIjlEEPS9_SE_NS0_5tupleIJPjSE_EEENSF_IJSE_SE_EEES9_SG_JZNS1_25segmented_radix_sort_implINS0_14default_configELb0EPKlPlSM_SN_N2at6native12_GLOBAL__N_18offset_tEEE10hipError_tPvRmT1_PNSt15iterator_traitsISV_E10value_typeET2_T3_PNSW_IS11_E10value_typeET4_jRbjT5_S17_jjP12ihipStream_tbEUljE_EEESS_ST_SU_S11_S15_S17_T6_T7_T9_mT8_S19_bDpT10_ENKUlT_T0_E_clISt17integral_constantIbLb0EES1L_IbLb1EEEEDaS1H_S1I_EUlS1H_E_NS1_11comp_targetILNS1_3genE0ELNS1_11target_archE4294967295ELNS1_3gpuE0ELNS1_3repE0EEENS1_30default_config_static_selectorELNS0_4arch9wavefront6targetE1EEEvSV_,@function
_ZN7rocprim17ROCPRIM_400000_NS6detail17trampoline_kernelINS0_13select_configILj256ELj13ELNS0_17block_load_methodE3ELS4_3ELS4_3ELNS0_20block_scan_algorithmE0ELj4294967295EEENS1_25partition_config_selectorILNS1_17partition_subalgoE3EjNS0_10empty_typeEbEEZZNS1_14partition_implILS8_3ELb0ES6_jNS0_17counting_iteratorIjlEEPS9_SE_NS0_5tupleIJPjSE_EEENSF_IJSE_SE_EEES9_SG_JZNS1_25segmented_radix_sort_implINS0_14default_configELb0EPKlPlSM_SN_N2at6native12_GLOBAL__N_18offset_tEEE10hipError_tPvRmT1_PNSt15iterator_traitsISV_E10value_typeET2_T3_PNSW_IS11_E10value_typeET4_jRbjT5_S17_jjP12ihipStream_tbEUljE_EEESS_ST_SU_S11_S15_S17_T6_T7_T9_mT8_S19_bDpT10_ENKUlT_T0_E_clISt17integral_constantIbLb0EES1L_IbLb1EEEEDaS1H_S1I_EUlS1H_E_NS1_11comp_targetILNS1_3genE0ELNS1_11target_archE4294967295ELNS1_3gpuE0ELNS1_3repE0EEENS1_30default_config_static_selectorELNS0_4arch9wavefront6targetE1EEEvSV_: ; @_ZN7rocprim17ROCPRIM_400000_NS6detail17trampoline_kernelINS0_13select_configILj256ELj13ELNS0_17block_load_methodE3ELS4_3ELS4_3ELNS0_20block_scan_algorithmE0ELj4294967295EEENS1_25partition_config_selectorILNS1_17partition_subalgoE3EjNS0_10empty_typeEbEEZZNS1_14partition_implILS8_3ELb0ES6_jNS0_17counting_iteratorIjlEEPS9_SE_NS0_5tupleIJPjSE_EEENSF_IJSE_SE_EEES9_SG_JZNS1_25segmented_radix_sort_implINS0_14default_configELb0EPKlPlSM_SN_N2at6native12_GLOBAL__N_18offset_tEEE10hipError_tPvRmT1_PNSt15iterator_traitsISV_E10value_typeET2_T3_PNSW_IS11_E10value_typeET4_jRbjT5_S17_jjP12ihipStream_tbEUljE_EEESS_ST_SU_S11_S15_S17_T6_T7_T9_mT8_S19_bDpT10_ENKUlT_T0_E_clISt17integral_constantIbLb0EES1L_IbLb1EEEEDaS1H_S1I_EUlS1H_E_NS1_11comp_targetILNS1_3genE0ELNS1_11target_archE4294967295ELNS1_3gpuE0ELNS1_3repE0EEENS1_30default_config_static_selectorELNS0_4arch9wavefront6targetE1EEEvSV_
; %bb.0:
	.section	.rodata,"a",@progbits
	.p2align	6, 0x0
	.amdhsa_kernel _ZN7rocprim17ROCPRIM_400000_NS6detail17trampoline_kernelINS0_13select_configILj256ELj13ELNS0_17block_load_methodE3ELS4_3ELS4_3ELNS0_20block_scan_algorithmE0ELj4294967295EEENS1_25partition_config_selectorILNS1_17partition_subalgoE3EjNS0_10empty_typeEbEEZZNS1_14partition_implILS8_3ELb0ES6_jNS0_17counting_iteratorIjlEEPS9_SE_NS0_5tupleIJPjSE_EEENSF_IJSE_SE_EEES9_SG_JZNS1_25segmented_radix_sort_implINS0_14default_configELb0EPKlPlSM_SN_N2at6native12_GLOBAL__N_18offset_tEEE10hipError_tPvRmT1_PNSt15iterator_traitsISV_E10value_typeET2_T3_PNSW_IS11_E10value_typeET4_jRbjT5_S17_jjP12ihipStream_tbEUljE_EEESS_ST_SU_S11_S15_S17_T6_T7_T9_mT8_S19_bDpT10_ENKUlT_T0_E_clISt17integral_constantIbLb0EES1L_IbLb1EEEEDaS1H_S1I_EUlS1H_E_NS1_11comp_targetILNS1_3genE0ELNS1_11target_archE4294967295ELNS1_3gpuE0ELNS1_3repE0EEENS1_30default_config_static_selectorELNS0_4arch9wavefront6targetE1EEEvSV_
		.amdhsa_group_segment_fixed_size 0
		.amdhsa_private_segment_fixed_size 0
		.amdhsa_kernarg_size 152
		.amdhsa_user_sgpr_count 6
		.amdhsa_user_sgpr_private_segment_buffer 1
		.amdhsa_user_sgpr_dispatch_ptr 0
		.amdhsa_user_sgpr_queue_ptr 0
		.amdhsa_user_sgpr_kernarg_segment_ptr 1
		.amdhsa_user_sgpr_dispatch_id 0
		.amdhsa_user_sgpr_flat_scratch_init 0
		.amdhsa_user_sgpr_private_segment_size 0
		.amdhsa_uses_dynamic_stack 0
		.amdhsa_system_sgpr_private_segment_wavefront_offset 0
		.amdhsa_system_sgpr_workgroup_id_x 1
		.amdhsa_system_sgpr_workgroup_id_y 0
		.amdhsa_system_sgpr_workgroup_id_z 0
		.amdhsa_system_sgpr_workgroup_info 0
		.amdhsa_system_vgpr_workitem_id 0
		.amdhsa_next_free_vgpr 1
		.amdhsa_next_free_sgpr 0
		.amdhsa_reserve_vcc 0
		.amdhsa_reserve_flat_scratch 0
		.amdhsa_float_round_mode_32 0
		.amdhsa_float_round_mode_16_64 0
		.amdhsa_float_denorm_mode_32 3
		.amdhsa_float_denorm_mode_16_64 3
		.amdhsa_dx10_clamp 1
		.amdhsa_ieee_mode 1
		.amdhsa_fp16_overflow 0
		.amdhsa_exception_fp_ieee_invalid_op 0
		.amdhsa_exception_fp_denorm_src 0
		.amdhsa_exception_fp_ieee_div_zero 0
		.amdhsa_exception_fp_ieee_overflow 0
		.amdhsa_exception_fp_ieee_underflow 0
		.amdhsa_exception_fp_ieee_inexact 0
		.amdhsa_exception_int_div_zero 0
	.end_amdhsa_kernel
	.section	.text._ZN7rocprim17ROCPRIM_400000_NS6detail17trampoline_kernelINS0_13select_configILj256ELj13ELNS0_17block_load_methodE3ELS4_3ELS4_3ELNS0_20block_scan_algorithmE0ELj4294967295EEENS1_25partition_config_selectorILNS1_17partition_subalgoE3EjNS0_10empty_typeEbEEZZNS1_14partition_implILS8_3ELb0ES6_jNS0_17counting_iteratorIjlEEPS9_SE_NS0_5tupleIJPjSE_EEENSF_IJSE_SE_EEES9_SG_JZNS1_25segmented_radix_sort_implINS0_14default_configELb0EPKlPlSM_SN_N2at6native12_GLOBAL__N_18offset_tEEE10hipError_tPvRmT1_PNSt15iterator_traitsISV_E10value_typeET2_T3_PNSW_IS11_E10value_typeET4_jRbjT5_S17_jjP12ihipStream_tbEUljE_EEESS_ST_SU_S11_S15_S17_T6_T7_T9_mT8_S19_bDpT10_ENKUlT_T0_E_clISt17integral_constantIbLb0EES1L_IbLb1EEEEDaS1H_S1I_EUlS1H_E_NS1_11comp_targetILNS1_3genE0ELNS1_11target_archE4294967295ELNS1_3gpuE0ELNS1_3repE0EEENS1_30default_config_static_selectorELNS0_4arch9wavefront6targetE1EEEvSV_,"axG",@progbits,_ZN7rocprim17ROCPRIM_400000_NS6detail17trampoline_kernelINS0_13select_configILj256ELj13ELNS0_17block_load_methodE3ELS4_3ELS4_3ELNS0_20block_scan_algorithmE0ELj4294967295EEENS1_25partition_config_selectorILNS1_17partition_subalgoE3EjNS0_10empty_typeEbEEZZNS1_14partition_implILS8_3ELb0ES6_jNS0_17counting_iteratorIjlEEPS9_SE_NS0_5tupleIJPjSE_EEENSF_IJSE_SE_EEES9_SG_JZNS1_25segmented_radix_sort_implINS0_14default_configELb0EPKlPlSM_SN_N2at6native12_GLOBAL__N_18offset_tEEE10hipError_tPvRmT1_PNSt15iterator_traitsISV_E10value_typeET2_T3_PNSW_IS11_E10value_typeET4_jRbjT5_S17_jjP12ihipStream_tbEUljE_EEESS_ST_SU_S11_S15_S17_T6_T7_T9_mT8_S19_bDpT10_ENKUlT_T0_E_clISt17integral_constantIbLb0EES1L_IbLb1EEEEDaS1H_S1I_EUlS1H_E_NS1_11comp_targetILNS1_3genE0ELNS1_11target_archE4294967295ELNS1_3gpuE0ELNS1_3repE0EEENS1_30default_config_static_selectorELNS0_4arch9wavefront6targetE1EEEvSV_,comdat
.Lfunc_end799:
	.size	_ZN7rocprim17ROCPRIM_400000_NS6detail17trampoline_kernelINS0_13select_configILj256ELj13ELNS0_17block_load_methodE3ELS4_3ELS4_3ELNS0_20block_scan_algorithmE0ELj4294967295EEENS1_25partition_config_selectorILNS1_17partition_subalgoE3EjNS0_10empty_typeEbEEZZNS1_14partition_implILS8_3ELb0ES6_jNS0_17counting_iteratorIjlEEPS9_SE_NS0_5tupleIJPjSE_EEENSF_IJSE_SE_EEES9_SG_JZNS1_25segmented_radix_sort_implINS0_14default_configELb0EPKlPlSM_SN_N2at6native12_GLOBAL__N_18offset_tEEE10hipError_tPvRmT1_PNSt15iterator_traitsISV_E10value_typeET2_T3_PNSW_IS11_E10value_typeET4_jRbjT5_S17_jjP12ihipStream_tbEUljE_EEESS_ST_SU_S11_S15_S17_T6_T7_T9_mT8_S19_bDpT10_ENKUlT_T0_E_clISt17integral_constantIbLb0EES1L_IbLb1EEEEDaS1H_S1I_EUlS1H_E_NS1_11comp_targetILNS1_3genE0ELNS1_11target_archE4294967295ELNS1_3gpuE0ELNS1_3repE0EEENS1_30default_config_static_selectorELNS0_4arch9wavefront6targetE1EEEvSV_, .Lfunc_end799-_ZN7rocprim17ROCPRIM_400000_NS6detail17trampoline_kernelINS0_13select_configILj256ELj13ELNS0_17block_load_methodE3ELS4_3ELS4_3ELNS0_20block_scan_algorithmE0ELj4294967295EEENS1_25partition_config_selectorILNS1_17partition_subalgoE3EjNS0_10empty_typeEbEEZZNS1_14partition_implILS8_3ELb0ES6_jNS0_17counting_iteratorIjlEEPS9_SE_NS0_5tupleIJPjSE_EEENSF_IJSE_SE_EEES9_SG_JZNS1_25segmented_radix_sort_implINS0_14default_configELb0EPKlPlSM_SN_N2at6native12_GLOBAL__N_18offset_tEEE10hipError_tPvRmT1_PNSt15iterator_traitsISV_E10value_typeET2_T3_PNSW_IS11_E10value_typeET4_jRbjT5_S17_jjP12ihipStream_tbEUljE_EEESS_ST_SU_S11_S15_S17_T6_T7_T9_mT8_S19_bDpT10_ENKUlT_T0_E_clISt17integral_constantIbLb0EES1L_IbLb1EEEEDaS1H_S1I_EUlS1H_E_NS1_11comp_targetILNS1_3genE0ELNS1_11target_archE4294967295ELNS1_3gpuE0ELNS1_3repE0EEENS1_30default_config_static_selectorELNS0_4arch9wavefront6targetE1EEEvSV_
                                        ; -- End function
	.set _ZN7rocprim17ROCPRIM_400000_NS6detail17trampoline_kernelINS0_13select_configILj256ELj13ELNS0_17block_load_methodE3ELS4_3ELS4_3ELNS0_20block_scan_algorithmE0ELj4294967295EEENS1_25partition_config_selectorILNS1_17partition_subalgoE3EjNS0_10empty_typeEbEEZZNS1_14partition_implILS8_3ELb0ES6_jNS0_17counting_iteratorIjlEEPS9_SE_NS0_5tupleIJPjSE_EEENSF_IJSE_SE_EEES9_SG_JZNS1_25segmented_radix_sort_implINS0_14default_configELb0EPKlPlSM_SN_N2at6native12_GLOBAL__N_18offset_tEEE10hipError_tPvRmT1_PNSt15iterator_traitsISV_E10value_typeET2_T3_PNSW_IS11_E10value_typeET4_jRbjT5_S17_jjP12ihipStream_tbEUljE_EEESS_ST_SU_S11_S15_S17_T6_T7_T9_mT8_S19_bDpT10_ENKUlT_T0_E_clISt17integral_constantIbLb0EES1L_IbLb1EEEEDaS1H_S1I_EUlS1H_E_NS1_11comp_targetILNS1_3genE0ELNS1_11target_archE4294967295ELNS1_3gpuE0ELNS1_3repE0EEENS1_30default_config_static_selectorELNS0_4arch9wavefront6targetE1EEEvSV_.num_vgpr, 0
	.set _ZN7rocprim17ROCPRIM_400000_NS6detail17trampoline_kernelINS0_13select_configILj256ELj13ELNS0_17block_load_methodE3ELS4_3ELS4_3ELNS0_20block_scan_algorithmE0ELj4294967295EEENS1_25partition_config_selectorILNS1_17partition_subalgoE3EjNS0_10empty_typeEbEEZZNS1_14partition_implILS8_3ELb0ES6_jNS0_17counting_iteratorIjlEEPS9_SE_NS0_5tupleIJPjSE_EEENSF_IJSE_SE_EEES9_SG_JZNS1_25segmented_radix_sort_implINS0_14default_configELb0EPKlPlSM_SN_N2at6native12_GLOBAL__N_18offset_tEEE10hipError_tPvRmT1_PNSt15iterator_traitsISV_E10value_typeET2_T3_PNSW_IS11_E10value_typeET4_jRbjT5_S17_jjP12ihipStream_tbEUljE_EEESS_ST_SU_S11_S15_S17_T6_T7_T9_mT8_S19_bDpT10_ENKUlT_T0_E_clISt17integral_constantIbLb0EES1L_IbLb1EEEEDaS1H_S1I_EUlS1H_E_NS1_11comp_targetILNS1_3genE0ELNS1_11target_archE4294967295ELNS1_3gpuE0ELNS1_3repE0EEENS1_30default_config_static_selectorELNS0_4arch9wavefront6targetE1EEEvSV_.num_agpr, 0
	.set _ZN7rocprim17ROCPRIM_400000_NS6detail17trampoline_kernelINS0_13select_configILj256ELj13ELNS0_17block_load_methodE3ELS4_3ELS4_3ELNS0_20block_scan_algorithmE0ELj4294967295EEENS1_25partition_config_selectorILNS1_17partition_subalgoE3EjNS0_10empty_typeEbEEZZNS1_14partition_implILS8_3ELb0ES6_jNS0_17counting_iteratorIjlEEPS9_SE_NS0_5tupleIJPjSE_EEENSF_IJSE_SE_EEES9_SG_JZNS1_25segmented_radix_sort_implINS0_14default_configELb0EPKlPlSM_SN_N2at6native12_GLOBAL__N_18offset_tEEE10hipError_tPvRmT1_PNSt15iterator_traitsISV_E10value_typeET2_T3_PNSW_IS11_E10value_typeET4_jRbjT5_S17_jjP12ihipStream_tbEUljE_EEESS_ST_SU_S11_S15_S17_T6_T7_T9_mT8_S19_bDpT10_ENKUlT_T0_E_clISt17integral_constantIbLb0EES1L_IbLb1EEEEDaS1H_S1I_EUlS1H_E_NS1_11comp_targetILNS1_3genE0ELNS1_11target_archE4294967295ELNS1_3gpuE0ELNS1_3repE0EEENS1_30default_config_static_selectorELNS0_4arch9wavefront6targetE1EEEvSV_.numbered_sgpr, 0
	.set _ZN7rocprim17ROCPRIM_400000_NS6detail17trampoline_kernelINS0_13select_configILj256ELj13ELNS0_17block_load_methodE3ELS4_3ELS4_3ELNS0_20block_scan_algorithmE0ELj4294967295EEENS1_25partition_config_selectorILNS1_17partition_subalgoE3EjNS0_10empty_typeEbEEZZNS1_14partition_implILS8_3ELb0ES6_jNS0_17counting_iteratorIjlEEPS9_SE_NS0_5tupleIJPjSE_EEENSF_IJSE_SE_EEES9_SG_JZNS1_25segmented_radix_sort_implINS0_14default_configELb0EPKlPlSM_SN_N2at6native12_GLOBAL__N_18offset_tEEE10hipError_tPvRmT1_PNSt15iterator_traitsISV_E10value_typeET2_T3_PNSW_IS11_E10value_typeET4_jRbjT5_S17_jjP12ihipStream_tbEUljE_EEESS_ST_SU_S11_S15_S17_T6_T7_T9_mT8_S19_bDpT10_ENKUlT_T0_E_clISt17integral_constantIbLb0EES1L_IbLb1EEEEDaS1H_S1I_EUlS1H_E_NS1_11comp_targetILNS1_3genE0ELNS1_11target_archE4294967295ELNS1_3gpuE0ELNS1_3repE0EEENS1_30default_config_static_selectorELNS0_4arch9wavefront6targetE1EEEvSV_.num_named_barrier, 0
	.set _ZN7rocprim17ROCPRIM_400000_NS6detail17trampoline_kernelINS0_13select_configILj256ELj13ELNS0_17block_load_methodE3ELS4_3ELS4_3ELNS0_20block_scan_algorithmE0ELj4294967295EEENS1_25partition_config_selectorILNS1_17partition_subalgoE3EjNS0_10empty_typeEbEEZZNS1_14partition_implILS8_3ELb0ES6_jNS0_17counting_iteratorIjlEEPS9_SE_NS0_5tupleIJPjSE_EEENSF_IJSE_SE_EEES9_SG_JZNS1_25segmented_radix_sort_implINS0_14default_configELb0EPKlPlSM_SN_N2at6native12_GLOBAL__N_18offset_tEEE10hipError_tPvRmT1_PNSt15iterator_traitsISV_E10value_typeET2_T3_PNSW_IS11_E10value_typeET4_jRbjT5_S17_jjP12ihipStream_tbEUljE_EEESS_ST_SU_S11_S15_S17_T6_T7_T9_mT8_S19_bDpT10_ENKUlT_T0_E_clISt17integral_constantIbLb0EES1L_IbLb1EEEEDaS1H_S1I_EUlS1H_E_NS1_11comp_targetILNS1_3genE0ELNS1_11target_archE4294967295ELNS1_3gpuE0ELNS1_3repE0EEENS1_30default_config_static_selectorELNS0_4arch9wavefront6targetE1EEEvSV_.private_seg_size, 0
	.set _ZN7rocprim17ROCPRIM_400000_NS6detail17trampoline_kernelINS0_13select_configILj256ELj13ELNS0_17block_load_methodE3ELS4_3ELS4_3ELNS0_20block_scan_algorithmE0ELj4294967295EEENS1_25partition_config_selectorILNS1_17partition_subalgoE3EjNS0_10empty_typeEbEEZZNS1_14partition_implILS8_3ELb0ES6_jNS0_17counting_iteratorIjlEEPS9_SE_NS0_5tupleIJPjSE_EEENSF_IJSE_SE_EEES9_SG_JZNS1_25segmented_radix_sort_implINS0_14default_configELb0EPKlPlSM_SN_N2at6native12_GLOBAL__N_18offset_tEEE10hipError_tPvRmT1_PNSt15iterator_traitsISV_E10value_typeET2_T3_PNSW_IS11_E10value_typeET4_jRbjT5_S17_jjP12ihipStream_tbEUljE_EEESS_ST_SU_S11_S15_S17_T6_T7_T9_mT8_S19_bDpT10_ENKUlT_T0_E_clISt17integral_constantIbLb0EES1L_IbLb1EEEEDaS1H_S1I_EUlS1H_E_NS1_11comp_targetILNS1_3genE0ELNS1_11target_archE4294967295ELNS1_3gpuE0ELNS1_3repE0EEENS1_30default_config_static_selectorELNS0_4arch9wavefront6targetE1EEEvSV_.uses_vcc, 0
	.set _ZN7rocprim17ROCPRIM_400000_NS6detail17trampoline_kernelINS0_13select_configILj256ELj13ELNS0_17block_load_methodE3ELS4_3ELS4_3ELNS0_20block_scan_algorithmE0ELj4294967295EEENS1_25partition_config_selectorILNS1_17partition_subalgoE3EjNS0_10empty_typeEbEEZZNS1_14partition_implILS8_3ELb0ES6_jNS0_17counting_iteratorIjlEEPS9_SE_NS0_5tupleIJPjSE_EEENSF_IJSE_SE_EEES9_SG_JZNS1_25segmented_radix_sort_implINS0_14default_configELb0EPKlPlSM_SN_N2at6native12_GLOBAL__N_18offset_tEEE10hipError_tPvRmT1_PNSt15iterator_traitsISV_E10value_typeET2_T3_PNSW_IS11_E10value_typeET4_jRbjT5_S17_jjP12ihipStream_tbEUljE_EEESS_ST_SU_S11_S15_S17_T6_T7_T9_mT8_S19_bDpT10_ENKUlT_T0_E_clISt17integral_constantIbLb0EES1L_IbLb1EEEEDaS1H_S1I_EUlS1H_E_NS1_11comp_targetILNS1_3genE0ELNS1_11target_archE4294967295ELNS1_3gpuE0ELNS1_3repE0EEENS1_30default_config_static_selectorELNS0_4arch9wavefront6targetE1EEEvSV_.uses_flat_scratch, 0
	.set _ZN7rocprim17ROCPRIM_400000_NS6detail17trampoline_kernelINS0_13select_configILj256ELj13ELNS0_17block_load_methodE3ELS4_3ELS4_3ELNS0_20block_scan_algorithmE0ELj4294967295EEENS1_25partition_config_selectorILNS1_17partition_subalgoE3EjNS0_10empty_typeEbEEZZNS1_14partition_implILS8_3ELb0ES6_jNS0_17counting_iteratorIjlEEPS9_SE_NS0_5tupleIJPjSE_EEENSF_IJSE_SE_EEES9_SG_JZNS1_25segmented_radix_sort_implINS0_14default_configELb0EPKlPlSM_SN_N2at6native12_GLOBAL__N_18offset_tEEE10hipError_tPvRmT1_PNSt15iterator_traitsISV_E10value_typeET2_T3_PNSW_IS11_E10value_typeET4_jRbjT5_S17_jjP12ihipStream_tbEUljE_EEESS_ST_SU_S11_S15_S17_T6_T7_T9_mT8_S19_bDpT10_ENKUlT_T0_E_clISt17integral_constantIbLb0EES1L_IbLb1EEEEDaS1H_S1I_EUlS1H_E_NS1_11comp_targetILNS1_3genE0ELNS1_11target_archE4294967295ELNS1_3gpuE0ELNS1_3repE0EEENS1_30default_config_static_selectorELNS0_4arch9wavefront6targetE1EEEvSV_.has_dyn_sized_stack, 0
	.set _ZN7rocprim17ROCPRIM_400000_NS6detail17trampoline_kernelINS0_13select_configILj256ELj13ELNS0_17block_load_methodE3ELS4_3ELS4_3ELNS0_20block_scan_algorithmE0ELj4294967295EEENS1_25partition_config_selectorILNS1_17partition_subalgoE3EjNS0_10empty_typeEbEEZZNS1_14partition_implILS8_3ELb0ES6_jNS0_17counting_iteratorIjlEEPS9_SE_NS0_5tupleIJPjSE_EEENSF_IJSE_SE_EEES9_SG_JZNS1_25segmented_radix_sort_implINS0_14default_configELb0EPKlPlSM_SN_N2at6native12_GLOBAL__N_18offset_tEEE10hipError_tPvRmT1_PNSt15iterator_traitsISV_E10value_typeET2_T3_PNSW_IS11_E10value_typeET4_jRbjT5_S17_jjP12ihipStream_tbEUljE_EEESS_ST_SU_S11_S15_S17_T6_T7_T9_mT8_S19_bDpT10_ENKUlT_T0_E_clISt17integral_constantIbLb0EES1L_IbLb1EEEEDaS1H_S1I_EUlS1H_E_NS1_11comp_targetILNS1_3genE0ELNS1_11target_archE4294967295ELNS1_3gpuE0ELNS1_3repE0EEENS1_30default_config_static_selectorELNS0_4arch9wavefront6targetE1EEEvSV_.has_recursion, 0
	.set _ZN7rocprim17ROCPRIM_400000_NS6detail17trampoline_kernelINS0_13select_configILj256ELj13ELNS0_17block_load_methodE3ELS4_3ELS4_3ELNS0_20block_scan_algorithmE0ELj4294967295EEENS1_25partition_config_selectorILNS1_17partition_subalgoE3EjNS0_10empty_typeEbEEZZNS1_14partition_implILS8_3ELb0ES6_jNS0_17counting_iteratorIjlEEPS9_SE_NS0_5tupleIJPjSE_EEENSF_IJSE_SE_EEES9_SG_JZNS1_25segmented_radix_sort_implINS0_14default_configELb0EPKlPlSM_SN_N2at6native12_GLOBAL__N_18offset_tEEE10hipError_tPvRmT1_PNSt15iterator_traitsISV_E10value_typeET2_T3_PNSW_IS11_E10value_typeET4_jRbjT5_S17_jjP12ihipStream_tbEUljE_EEESS_ST_SU_S11_S15_S17_T6_T7_T9_mT8_S19_bDpT10_ENKUlT_T0_E_clISt17integral_constantIbLb0EES1L_IbLb1EEEEDaS1H_S1I_EUlS1H_E_NS1_11comp_targetILNS1_3genE0ELNS1_11target_archE4294967295ELNS1_3gpuE0ELNS1_3repE0EEENS1_30default_config_static_selectorELNS0_4arch9wavefront6targetE1EEEvSV_.has_indirect_call, 0
	.section	.AMDGPU.csdata,"",@progbits
; Kernel info:
; codeLenInByte = 0
; TotalNumSgprs: 4
; NumVgprs: 0
; ScratchSize: 0
; MemoryBound: 0
; FloatMode: 240
; IeeeMode: 1
; LDSByteSize: 0 bytes/workgroup (compile time only)
; SGPRBlocks: 0
; VGPRBlocks: 0
; NumSGPRsForWavesPerEU: 4
; NumVGPRsForWavesPerEU: 1
; Occupancy: 10
; WaveLimiterHint : 0
; COMPUTE_PGM_RSRC2:SCRATCH_EN: 0
; COMPUTE_PGM_RSRC2:USER_SGPR: 6
; COMPUTE_PGM_RSRC2:TRAP_HANDLER: 0
; COMPUTE_PGM_RSRC2:TGID_X_EN: 1
; COMPUTE_PGM_RSRC2:TGID_Y_EN: 0
; COMPUTE_PGM_RSRC2:TGID_Z_EN: 0
; COMPUTE_PGM_RSRC2:TIDIG_COMP_CNT: 0
	.section	.text._ZN7rocprim17ROCPRIM_400000_NS6detail17trampoline_kernelINS0_13select_configILj256ELj13ELNS0_17block_load_methodE3ELS4_3ELS4_3ELNS0_20block_scan_algorithmE0ELj4294967295EEENS1_25partition_config_selectorILNS1_17partition_subalgoE3EjNS0_10empty_typeEbEEZZNS1_14partition_implILS8_3ELb0ES6_jNS0_17counting_iteratorIjlEEPS9_SE_NS0_5tupleIJPjSE_EEENSF_IJSE_SE_EEES9_SG_JZNS1_25segmented_radix_sort_implINS0_14default_configELb0EPKlPlSM_SN_N2at6native12_GLOBAL__N_18offset_tEEE10hipError_tPvRmT1_PNSt15iterator_traitsISV_E10value_typeET2_T3_PNSW_IS11_E10value_typeET4_jRbjT5_S17_jjP12ihipStream_tbEUljE_EEESS_ST_SU_S11_S15_S17_T6_T7_T9_mT8_S19_bDpT10_ENKUlT_T0_E_clISt17integral_constantIbLb0EES1L_IbLb1EEEEDaS1H_S1I_EUlS1H_E_NS1_11comp_targetILNS1_3genE5ELNS1_11target_archE942ELNS1_3gpuE9ELNS1_3repE0EEENS1_30default_config_static_selectorELNS0_4arch9wavefront6targetE1EEEvSV_,"axG",@progbits,_ZN7rocprim17ROCPRIM_400000_NS6detail17trampoline_kernelINS0_13select_configILj256ELj13ELNS0_17block_load_methodE3ELS4_3ELS4_3ELNS0_20block_scan_algorithmE0ELj4294967295EEENS1_25partition_config_selectorILNS1_17partition_subalgoE3EjNS0_10empty_typeEbEEZZNS1_14partition_implILS8_3ELb0ES6_jNS0_17counting_iteratorIjlEEPS9_SE_NS0_5tupleIJPjSE_EEENSF_IJSE_SE_EEES9_SG_JZNS1_25segmented_radix_sort_implINS0_14default_configELb0EPKlPlSM_SN_N2at6native12_GLOBAL__N_18offset_tEEE10hipError_tPvRmT1_PNSt15iterator_traitsISV_E10value_typeET2_T3_PNSW_IS11_E10value_typeET4_jRbjT5_S17_jjP12ihipStream_tbEUljE_EEESS_ST_SU_S11_S15_S17_T6_T7_T9_mT8_S19_bDpT10_ENKUlT_T0_E_clISt17integral_constantIbLb0EES1L_IbLb1EEEEDaS1H_S1I_EUlS1H_E_NS1_11comp_targetILNS1_3genE5ELNS1_11target_archE942ELNS1_3gpuE9ELNS1_3repE0EEENS1_30default_config_static_selectorELNS0_4arch9wavefront6targetE1EEEvSV_,comdat
	.globl	_ZN7rocprim17ROCPRIM_400000_NS6detail17trampoline_kernelINS0_13select_configILj256ELj13ELNS0_17block_load_methodE3ELS4_3ELS4_3ELNS0_20block_scan_algorithmE0ELj4294967295EEENS1_25partition_config_selectorILNS1_17partition_subalgoE3EjNS0_10empty_typeEbEEZZNS1_14partition_implILS8_3ELb0ES6_jNS0_17counting_iteratorIjlEEPS9_SE_NS0_5tupleIJPjSE_EEENSF_IJSE_SE_EEES9_SG_JZNS1_25segmented_radix_sort_implINS0_14default_configELb0EPKlPlSM_SN_N2at6native12_GLOBAL__N_18offset_tEEE10hipError_tPvRmT1_PNSt15iterator_traitsISV_E10value_typeET2_T3_PNSW_IS11_E10value_typeET4_jRbjT5_S17_jjP12ihipStream_tbEUljE_EEESS_ST_SU_S11_S15_S17_T6_T7_T9_mT8_S19_bDpT10_ENKUlT_T0_E_clISt17integral_constantIbLb0EES1L_IbLb1EEEEDaS1H_S1I_EUlS1H_E_NS1_11comp_targetILNS1_3genE5ELNS1_11target_archE942ELNS1_3gpuE9ELNS1_3repE0EEENS1_30default_config_static_selectorELNS0_4arch9wavefront6targetE1EEEvSV_ ; -- Begin function _ZN7rocprim17ROCPRIM_400000_NS6detail17trampoline_kernelINS0_13select_configILj256ELj13ELNS0_17block_load_methodE3ELS4_3ELS4_3ELNS0_20block_scan_algorithmE0ELj4294967295EEENS1_25partition_config_selectorILNS1_17partition_subalgoE3EjNS0_10empty_typeEbEEZZNS1_14partition_implILS8_3ELb0ES6_jNS0_17counting_iteratorIjlEEPS9_SE_NS0_5tupleIJPjSE_EEENSF_IJSE_SE_EEES9_SG_JZNS1_25segmented_radix_sort_implINS0_14default_configELb0EPKlPlSM_SN_N2at6native12_GLOBAL__N_18offset_tEEE10hipError_tPvRmT1_PNSt15iterator_traitsISV_E10value_typeET2_T3_PNSW_IS11_E10value_typeET4_jRbjT5_S17_jjP12ihipStream_tbEUljE_EEESS_ST_SU_S11_S15_S17_T6_T7_T9_mT8_S19_bDpT10_ENKUlT_T0_E_clISt17integral_constantIbLb0EES1L_IbLb1EEEEDaS1H_S1I_EUlS1H_E_NS1_11comp_targetILNS1_3genE5ELNS1_11target_archE942ELNS1_3gpuE9ELNS1_3repE0EEENS1_30default_config_static_selectorELNS0_4arch9wavefront6targetE1EEEvSV_
	.p2align	8
	.type	_ZN7rocprim17ROCPRIM_400000_NS6detail17trampoline_kernelINS0_13select_configILj256ELj13ELNS0_17block_load_methodE3ELS4_3ELS4_3ELNS0_20block_scan_algorithmE0ELj4294967295EEENS1_25partition_config_selectorILNS1_17partition_subalgoE3EjNS0_10empty_typeEbEEZZNS1_14partition_implILS8_3ELb0ES6_jNS0_17counting_iteratorIjlEEPS9_SE_NS0_5tupleIJPjSE_EEENSF_IJSE_SE_EEES9_SG_JZNS1_25segmented_radix_sort_implINS0_14default_configELb0EPKlPlSM_SN_N2at6native12_GLOBAL__N_18offset_tEEE10hipError_tPvRmT1_PNSt15iterator_traitsISV_E10value_typeET2_T3_PNSW_IS11_E10value_typeET4_jRbjT5_S17_jjP12ihipStream_tbEUljE_EEESS_ST_SU_S11_S15_S17_T6_T7_T9_mT8_S19_bDpT10_ENKUlT_T0_E_clISt17integral_constantIbLb0EES1L_IbLb1EEEEDaS1H_S1I_EUlS1H_E_NS1_11comp_targetILNS1_3genE5ELNS1_11target_archE942ELNS1_3gpuE9ELNS1_3repE0EEENS1_30default_config_static_selectorELNS0_4arch9wavefront6targetE1EEEvSV_,@function
_ZN7rocprim17ROCPRIM_400000_NS6detail17trampoline_kernelINS0_13select_configILj256ELj13ELNS0_17block_load_methodE3ELS4_3ELS4_3ELNS0_20block_scan_algorithmE0ELj4294967295EEENS1_25partition_config_selectorILNS1_17partition_subalgoE3EjNS0_10empty_typeEbEEZZNS1_14partition_implILS8_3ELb0ES6_jNS0_17counting_iteratorIjlEEPS9_SE_NS0_5tupleIJPjSE_EEENSF_IJSE_SE_EEES9_SG_JZNS1_25segmented_radix_sort_implINS0_14default_configELb0EPKlPlSM_SN_N2at6native12_GLOBAL__N_18offset_tEEE10hipError_tPvRmT1_PNSt15iterator_traitsISV_E10value_typeET2_T3_PNSW_IS11_E10value_typeET4_jRbjT5_S17_jjP12ihipStream_tbEUljE_EEESS_ST_SU_S11_S15_S17_T6_T7_T9_mT8_S19_bDpT10_ENKUlT_T0_E_clISt17integral_constantIbLb0EES1L_IbLb1EEEEDaS1H_S1I_EUlS1H_E_NS1_11comp_targetILNS1_3genE5ELNS1_11target_archE942ELNS1_3gpuE9ELNS1_3repE0EEENS1_30default_config_static_selectorELNS0_4arch9wavefront6targetE1EEEvSV_: ; @_ZN7rocprim17ROCPRIM_400000_NS6detail17trampoline_kernelINS0_13select_configILj256ELj13ELNS0_17block_load_methodE3ELS4_3ELS4_3ELNS0_20block_scan_algorithmE0ELj4294967295EEENS1_25partition_config_selectorILNS1_17partition_subalgoE3EjNS0_10empty_typeEbEEZZNS1_14partition_implILS8_3ELb0ES6_jNS0_17counting_iteratorIjlEEPS9_SE_NS0_5tupleIJPjSE_EEENSF_IJSE_SE_EEES9_SG_JZNS1_25segmented_radix_sort_implINS0_14default_configELb0EPKlPlSM_SN_N2at6native12_GLOBAL__N_18offset_tEEE10hipError_tPvRmT1_PNSt15iterator_traitsISV_E10value_typeET2_T3_PNSW_IS11_E10value_typeET4_jRbjT5_S17_jjP12ihipStream_tbEUljE_EEESS_ST_SU_S11_S15_S17_T6_T7_T9_mT8_S19_bDpT10_ENKUlT_T0_E_clISt17integral_constantIbLb0EES1L_IbLb1EEEEDaS1H_S1I_EUlS1H_E_NS1_11comp_targetILNS1_3genE5ELNS1_11target_archE942ELNS1_3gpuE9ELNS1_3repE0EEENS1_30default_config_static_selectorELNS0_4arch9wavefront6targetE1EEEvSV_
; %bb.0:
	.section	.rodata,"a",@progbits
	.p2align	6, 0x0
	.amdhsa_kernel _ZN7rocprim17ROCPRIM_400000_NS6detail17trampoline_kernelINS0_13select_configILj256ELj13ELNS0_17block_load_methodE3ELS4_3ELS4_3ELNS0_20block_scan_algorithmE0ELj4294967295EEENS1_25partition_config_selectorILNS1_17partition_subalgoE3EjNS0_10empty_typeEbEEZZNS1_14partition_implILS8_3ELb0ES6_jNS0_17counting_iteratorIjlEEPS9_SE_NS0_5tupleIJPjSE_EEENSF_IJSE_SE_EEES9_SG_JZNS1_25segmented_radix_sort_implINS0_14default_configELb0EPKlPlSM_SN_N2at6native12_GLOBAL__N_18offset_tEEE10hipError_tPvRmT1_PNSt15iterator_traitsISV_E10value_typeET2_T3_PNSW_IS11_E10value_typeET4_jRbjT5_S17_jjP12ihipStream_tbEUljE_EEESS_ST_SU_S11_S15_S17_T6_T7_T9_mT8_S19_bDpT10_ENKUlT_T0_E_clISt17integral_constantIbLb0EES1L_IbLb1EEEEDaS1H_S1I_EUlS1H_E_NS1_11comp_targetILNS1_3genE5ELNS1_11target_archE942ELNS1_3gpuE9ELNS1_3repE0EEENS1_30default_config_static_selectorELNS0_4arch9wavefront6targetE1EEEvSV_
		.amdhsa_group_segment_fixed_size 0
		.amdhsa_private_segment_fixed_size 0
		.amdhsa_kernarg_size 152
		.amdhsa_user_sgpr_count 6
		.amdhsa_user_sgpr_private_segment_buffer 1
		.amdhsa_user_sgpr_dispatch_ptr 0
		.amdhsa_user_sgpr_queue_ptr 0
		.amdhsa_user_sgpr_kernarg_segment_ptr 1
		.amdhsa_user_sgpr_dispatch_id 0
		.amdhsa_user_sgpr_flat_scratch_init 0
		.amdhsa_user_sgpr_private_segment_size 0
		.amdhsa_uses_dynamic_stack 0
		.amdhsa_system_sgpr_private_segment_wavefront_offset 0
		.amdhsa_system_sgpr_workgroup_id_x 1
		.amdhsa_system_sgpr_workgroup_id_y 0
		.amdhsa_system_sgpr_workgroup_id_z 0
		.amdhsa_system_sgpr_workgroup_info 0
		.amdhsa_system_vgpr_workitem_id 0
		.amdhsa_next_free_vgpr 1
		.amdhsa_next_free_sgpr 0
		.amdhsa_reserve_vcc 0
		.amdhsa_reserve_flat_scratch 0
		.amdhsa_float_round_mode_32 0
		.amdhsa_float_round_mode_16_64 0
		.amdhsa_float_denorm_mode_32 3
		.amdhsa_float_denorm_mode_16_64 3
		.amdhsa_dx10_clamp 1
		.amdhsa_ieee_mode 1
		.amdhsa_fp16_overflow 0
		.amdhsa_exception_fp_ieee_invalid_op 0
		.amdhsa_exception_fp_denorm_src 0
		.amdhsa_exception_fp_ieee_div_zero 0
		.amdhsa_exception_fp_ieee_overflow 0
		.amdhsa_exception_fp_ieee_underflow 0
		.amdhsa_exception_fp_ieee_inexact 0
		.amdhsa_exception_int_div_zero 0
	.end_amdhsa_kernel
	.section	.text._ZN7rocprim17ROCPRIM_400000_NS6detail17trampoline_kernelINS0_13select_configILj256ELj13ELNS0_17block_load_methodE3ELS4_3ELS4_3ELNS0_20block_scan_algorithmE0ELj4294967295EEENS1_25partition_config_selectorILNS1_17partition_subalgoE3EjNS0_10empty_typeEbEEZZNS1_14partition_implILS8_3ELb0ES6_jNS0_17counting_iteratorIjlEEPS9_SE_NS0_5tupleIJPjSE_EEENSF_IJSE_SE_EEES9_SG_JZNS1_25segmented_radix_sort_implINS0_14default_configELb0EPKlPlSM_SN_N2at6native12_GLOBAL__N_18offset_tEEE10hipError_tPvRmT1_PNSt15iterator_traitsISV_E10value_typeET2_T3_PNSW_IS11_E10value_typeET4_jRbjT5_S17_jjP12ihipStream_tbEUljE_EEESS_ST_SU_S11_S15_S17_T6_T7_T9_mT8_S19_bDpT10_ENKUlT_T0_E_clISt17integral_constantIbLb0EES1L_IbLb1EEEEDaS1H_S1I_EUlS1H_E_NS1_11comp_targetILNS1_3genE5ELNS1_11target_archE942ELNS1_3gpuE9ELNS1_3repE0EEENS1_30default_config_static_selectorELNS0_4arch9wavefront6targetE1EEEvSV_,"axG",@progbits,_ZN7rocprim17ROCPRIM_400000_NS6detail17trampoline_kernelINS0_13select_configILj256ELj13ELNS0_17block_load_methodE3ELS4_3ELS4_3ELNS0_20block_scan_algorithmE0ELj4294967295EEENS1_25partition_config_selectorILNS1_17partition_subalgoE3EjNS0_10empty_typeEbEEZZNS1_14partition_implILS8_3ELb0ES6_jNS0_17counting_iteratorIjlEEPS9_SE_NS0_5tupleIJPjSE_EEENSF_IJSE_SE_EEES9_SG_JZNS1_25segmented_radix_sort_implINS0_14default_configELb0EPKlPlSM_SN_N2at6native12_GLOBAL__N_18offset_tEEE10hipError_tPvRmT1_PNSt15iterator_traitsISV_E10value_typeET2_T3_PNSW_IS11_E10value_typeET4_jRbjT5_S17_jjP12ihipStream_tbEUljE_EEESS_ST_SU_S11_S15_S17_T6_T7_T9_mT8_S19_bDpT10_ENKUlT_T0_E_clISt17integral_constantIbLb0EES1L_IbLb1EEEEDaS1H_S1I_EUlS1H_E_NS1_11comp_targetILNS1_3genE5ELNS1_11target_archE942ELNS1_3gpuE9ELNS1_3repE0EEENS1_30default_config_static_selectorELNS0_4arch9wavefront6targetE1EEEvSV_,comdat
.Lfunc_end800:
	.size	_ZN7rocprim17ROCPRIM_400000_NS6detail17trampoline_kernelINS0_13select_configILj256ELj13ELNS0_17block_load_methodE3ELS4_3ELS4_3ELNS0_20block_scan_algorithmE0ELj4294967295EEENS1_25partition_config_selectorILNS1_17partition_subalgoE3EjNS0_10empty_typeEbEEZZNS1_14partition_implILS8_3ELb0ES6_jNS0_17counting_iteratorIjlEEPS9_SE_NS0_5tupleIJPjSE_EEENSF_IJSE_SE_EEES9_SG_JZNS1_25segmented_radix_sort_implINS0_14default_configELb0EPKlPlSM_SN_N2at6native12_GLOBAL__N_18offset_tEEE10hipError_tPvRmT1_PNSt15iterator_traitsISV_E10value_typeET2_T3_PNSW_IS11_E10value_typeET4_jRbjT5_S17_jjP12ihipStream_tbEUljE_EEESS_ST_SU_S11_S15_S17_T6_T7_T9_mT8_S19_bDpT10_ENKUlT_T0_E_clISt17integral_constantIbLb0EES1L_IbLb1EEEEDaS1H_S1I_EUlS1H_E_NS1_11comp_targetILNS1_3genE5ELNS1_11target_archE942ELNS1_3gpuE9ELNS1_3repE0EEENS1_30default_config_static_selectorELNS0_4arch9wavefront6targetE1EEEvSV_, .Lfunc_end800-_ZN7rocprim17ROCPRIM_400000_NS6detail17trampoline_kernelINS0_13select_configILj256ELj13ELNS0_17block_load_methodE3ELS4_3ELS4_3ELNS0_20block_scan_algorithmE0ELj4294967295EEENS1_25partition_config_selectorILNS1_17partition_subalgoE3EjNS0_10empty_typeEbEEZZNS1_14partition_implILS8_3ELb0ES6_jNS0_17counting_iteratorIjlEEPS9_SE_NS0_5tupleIJPjSE_EEENSF_IJSE_SE_EEES9_SG_JZNS1_25segmented_radix_sort_implINS0_14default_configELb0EPKlPlSM_SN_N2at6native12_GLOBAL__N_18offset_tEEE10hipError_tPvRmT1_PNSt15iterator_traitsISV_E10value_typeET2_T3_PNSW_IS11_E10value_typeET4_jRbjT5_S17_jjP12ihipStream_tbEUljE_EEESS_ST_SU_S11_S15_S17_T6_T7_T9_mT8_S19_bDpT10_ENKUlT_T0_E_clISt17integral_constantIbLb0EES1L_IbLb1EEEEDaS1H_S1I_EUlS1H_E_NS1_11comp_targetILNS1_3genE5ELNS1_11target_archE942ELNS1_3gpuE9ELNS1_3repE0EEENS1_30default_config_static_selectorELNS0_4arch9wavefront6targetE1EEEvSV_
                                        ; -- End function
	.set _ZN7rocprim17ROCPRIM_400000_NS6detail17trampoline_kernelINS0_13select_configILj256ELj13ELNS0_17block_load_methodE3ELS4_3ELS4_3ELNS0_20block_scan_algorithmE0ELj4294967295EEENS1_25partition_config_selectorILNS1_17partition_subalgoE3EjNS0_10empty_typeEbEEZZNS1_14partition_implILS8_3ELb0ES6_jNS0_17counting_iteratorIjlEEPS9_SE_NS0_5tupleIJPjSE_EEENSF_IJSE_SE_EEES9_SG_JZNS1_25segmented_radix_sort_implINS0_14default_configELb0EPKlPlSM_SN_N2at6native12_GLOBAL__N_18offset_tEEE10hipError_tPvRmT1_PNSt15iterator_traitsISV_E10value_typeET2_T3_PNSW_IS11_E10value_typeET4_jRbjT5_S17_jjP12ihipStream_tbEUljE_EEESS_ST_SU_S11_S15_S17_T6_T7_T9_mT8_S19_bDpT10_ENKUlT_T0_E_clISt17integral_constantIbLb0EES1L_IbLb1EEEEDaS1H_S1I_EUlS1H_E_NS1_11comp_targetILNS1_3genE5ELNS1_11target_archE942ELNS1_3gpuE9ELNS1_3repE0EEENS1_30default_config_static_selectorELNS0_4arch9wavefront6targetE1EEEvSV_.num_vgpr, 0
	.set _ZN7rocprim17ROCPRIM_400000_NS6detail17trampoline_kernelINS0_13select_configILj256ELj13ELNS0_17block_load_methodE3ELS4_3ELS4_3ELNS0_20block_scan_algorithmE0ELj4294967295EEENS1_25partition_config_selectorILNS1_17partition_subalgoE3EjNS0_10empty_typeEbEEZZNS1_14partition_implILS8_3ELb0ES6_jNS0_17counting_iteratorIjlEEPS9_SE_NS0_5tupleIJPjSE_EEENSF_IJSE_SE_EEES9_SG_JZNS1_25segmented_radix_sort_implINS0_14default_configELb0EPKlPlSM_SN_N2at6native12_GLOBAL__N_18offset_tEEE10hipError_tPvRmT1_PNSt15iterator_traitsISV_E10value_typeET2_T3_PNSW_IS11_E10value_typeET4_jRbjT5_S17_jjP12ihipStream_tbEUljE_EEESS_ST_SU_S11_S15_S17_T6_T7_T9_mT8_S19_bDpT10_ENKUlT_T0_E_clISt17integral_constantIbLb0EES1L_IbLb1EEEEDaS1H_S1I_EUlS1H_E_NS1_11comp_targetILNS1_3genE5ELNS1_11target_archE942ELNS1_3gpuE9ELNS1_3repE0EEENS1_30default_config_static_selectorELNS0_4arch9wavefront6targetE1EEEvSV_.num_agpr, 0
	.set _ZN7rocprim17ROCPRIM_400000_NS6detail17trampoline_kernelINS0_13select_configILj256ELj13ELNS0_17block_load_methodE3ELS4_3ELS4_3ELNS0_20block_scan_algorithmE0ELj4294967295EEENS1_25partition_config_selectorILNS1_17partition_subalgoE3EjNS0_10empty_typeEbEEZZNS1_14partition_implILS8_3ELb0ES6_jNS0_17counting_iteratorIjlEEPS9_SE_NS0_5tupleIJPjSE_EEENSF_IJSE_SE_EEES9_SG_JZNS1_25segmented_radix_sort_implINS0_14default_configELb0EPKlPlSM_SN_N2at6native12_GLOBAL__N_18offset_tEEE10hipError_tPvRmT1_PNSt15iterator_traitsISV_E10value_typeET2_T3_PNSW_IS11_E10value_typeET4_jRbjT5_S17_jjP12ihipStream_tbEUljE_EEESS_ST_SU_S11_S15_S17_T6_T7_T9_mT8_S19_bDpT10_ENKUlT_T0_E_clISt17integral_constantIbLb0EES1L_IbLb1EEEEDaS1H_S1I_EUlS1H_E_NS1_11comp_targetILNS1_3genE5ELNS1_11target_archE942ELNS1_3gpuE9ELNS1_3repE0EEENS1_30default_config_static_selectorELNS0_4arch9wavefront6targetE1EEEvSV_.numbered_sgpr, 0
	.set _ZN7rocprim17ROCPRIM_400000_NS6detail17trampoline_kernelINS0_13select_configILj256ELj13ELNS0_17block_load_methodE3ELS4_3ELS4_3ELNS0_20block_scan_algorithmE0ELj4294967295EEENS1_25partition_config_selectorILNS1_17partition_subalgoE3EjNS0_10empty_typeEbEEZZNS1_14partition_implILS8_3ELb0ES6_jNS0_17counting_iteratorIjlEEPS9_SE_NS0_5tupleIJPjSE_EEENSF_IJSE_SE_EEES9_SG_JZNS1_25segmented_radix_sort_implINS0_14default_configELb0EPKlPlSM_SN_N2at6native12_GLOBAL__N_18offset_tEEE10hipError_tPvRmT1_PNSt15iterator_traitsISV_E10value_typeET2_T3_PNSW_IS11_E10value_typeET4_jRbjT5_S17_jjP12ihipStream_tbEUljE_EEESS_ST_SU_S11_S15_S17_T6_T7_T9_mT8_S19_bDpT10_ENKUlT_T0_E_clISt17integral_constantIbLb0EES1L_IbLb1EEEEDaS1H_S1I_EUlS1H_E_NS1_11comp_targetILNS1_3genE5ELNS1_11target_archE942ELNS1_3gpuE9ELNS1_3repE0EEENS1_30default_config_static_selectorELNS0_4arch9wavefront6targetE1EEEvSV_.num_named_barrier, 0
	.set _ZN7rocprim17ROCPRIM_400000_NS6detail17trampoline_kernelINS0_13select_configILj256ELj13ELNS0_17block_load_methodE3ELS4_3ELS4_3ELNS0_20block_scan_algorithmE0ELj4294967295EEENS1_25partition_config_selectorILNS1_17partition_subalgoE3EjNS0_10empty_typeEbEEZZNS1_14partition_implILS8_3ELb0ES6_jNS0_17counting_iteratorIjlEEPS9_SE_NS0_5tupleIJPjSE_EEENSF_IJSE_SE_EEES9_SG_JZNS1_25segmented_radix_sort_implINS0_14default_configELb0EPKlPlSM_SN_N2at6native12_GLOBAL__N_18offset_tEEE10hipError_tPvRmT1_PNSt15iterator_traitsISV_E10value_typeET2_T3_PNSW_IS11_E10value_typeET4_jRbjT5_S17_jjP12ihipStream_tbEUljE_EEESS_ST_SU_S11_S15_S17_T6_T7_T9_mT8_S19_bDpT10_ENKUlT_T0_E_clISt17integral_constantIbLb0EES1L_IbLb1EEEEDaS1H_S1I_EUlS1H_E_NS1_11comp_targetILNS1_3genE5ELNS1_11target_archE942ELNS1_3gpuE9ELNS1_3repE0EEENS1_30default_config_static_selectorELNS0_4arch9wavefront6targetE1EEEvSV_.private_seg_size, 0
	.set _ZN7rocprim17ROCPRIM_400000_NS6detail17trampoline_kernelINS0_13select_configILj256ELj13ELNS0_17block_load_methodE3ELS4_3ELS4_3ELNS0_20block_scan_algorithmE0ELj4294967295EEENS1_25partition_config_selectorILNS1_17partition_subalgoE3EjNS0_10empty_typeEbEEZZNS1_14partition_implILS8_3ELb0ES6_jNS0_17counting_iteratorIjlEEPS9_SE_NS0_5tupleIJPjSE_EEENSF_IJSE_SE_EEES9_SG_JZNS1_25segmented_radix_sort_implINS0_14default_configELb0EPKlPlSM_SN_N2at6native12_GLOBAL__N_18offset_tEEE10hipError_tPvRmT1_PNSt15iterator_traitsISV_E10value_typeET2_T3_PNSW_IS11_E10value_typeET4_jRbjT5_S17_jjP12ihipStream_tbEUljE_EEESS_ST_SU_S11_S15_S17_T6_T7_T9_mT8_S19_bDpT10_ENKUlT_T0_E_clISt17integral_constantIbLb0EES1L_IbLb1EEEEDaS1H_S1I_EUlS1H_E_NS1_11comp_targetILNS1_3genE5ELNS1_11target_archE942ELNS1_3gpuE9ELNS1_3repE0EEENS1_30default_config_static_selectorELNS0_4arch9wavefront6targetE1EEEvSV_.uses_vcc, 0
	.set _ZN7rocprim17ROCPRIM_400000_NS6detail17trampoline_kernelINS0_13select_configILj256ELj13ELNS0_17block_load_methodE3ELS4_3ELS4_3ELNS0_20block_scan_algorithmE0ELj4294967295EEENS1_25partition_config_selectorILNS1_17partition_subalgoE3EjNS0_10empty_typeEbEEZZNS1_14partition_implILS8_3ELb0ES6_jNS0_17counting_iteratorIjlEEPS9_SE_NS0_5tupleIJPjSE_EEENSF_IJSE_SE_EEES9_SG_JZNS1_25segmented_radix_sort_implINS0_14default_configELb0EPKlPlSM_SN_N2at6native12_GLOBAL__N_18offset_tEEE10hipError_tPvRmT1_PNSt15iterator_traitsISV_E10value_typeET2_T3_PNSW_IS11_E10value_typeET4_jRbjT5_S17_jjP12ihipStream_tbEUljE_EEESS_ST_SU_S11_S15_S17_T6_T7_T9_mT8_S19_bDpT10_ENKUlT_T0_E_clISt17integral_constantIbLb0EES1L_IbLb1EEEEDaS1H_S1I_EUlS1H_E_NS1_11comp_targetILNS1_3genE5ELNS1_11target_archE942ELNS1_3gpuE9ELNS1_3repE0EEENS1_30default_config_static_selectorELNS0_4arch9wavefront6targetE1EEEvSV_.uses_flat_scratch, 0
	.set _ZN7rocprim17ROCPRIM_400000_NS6detail17trampoline_kernelINS0_13select_configILj256ELj13ELNS0_17block_load_methodE3ELS4_3ELS4_3ELNS0_20block_scan_algorithmE0ELj4294967295EEENS1_25partition_config_selectorILNS1_17partition_subalgoE3EjNS0_10empty_typeEbEEZZNS1_14partition_implILS8_3ELb0ES6_jNS0_17counting_iteratorIjlEEPS9_SE_NS0_5tupleIJPjSE_EEENSF_IJSE_SE_EEES9_SG_JZNS1_25segmented_radix_sort_implINS0_14default_configELb0EPKlPlSM_SN_N2at6native12_GLOBAL__N_18offset_tEEE10hipError_tPvRmT1_PNSt15iterator_traitsISV_E10value_typeET2_T3_PNSW_IS11_E10value_typeET4_jRbjT5_S17_jjP12ihipStream_tbEUljE_EEESS_ST_SU_S11_S15_S17_T6_T7_T9_mT8_S19_bDpT10_ENKUlT_T0_E_clISt17integral_constantIbLb0EES1L_IbLb1EEEEDaS1H_S1I_EUlS1H_E_NS1_11comp_targetILNS1_3genE5ELNS1_11target_archE942ELNS1_3gpuE9ELNS1_3repE0EEENS1_30default_config_static_selectorELNS0_4arch9wavefront6targetE1EEEvSV_.has_dyn_sized_stack, 0
	.set _ZN7rocprim17ROCPRIM_400000_NS6detail17trampoline_kernelINS0_13select_configILj256ELj13ELNS0_17block_load_methodE3ELS4_3ELS4_3ELNS0_20block_scan_algorithmE0ELj4294967295EEENS1_25partition_config_selectorILNS1_17partition_subalgoE3EjNS0_10empty_typeEbEEZZNS1_14partition_implILS8_3ELb0ES6_jNS0_17counting_iteratorIjlEEPS9_SE_NS0_5tupleIJPjSE_EEENSF_IJSE_SE_EEES9_SG_JZNS1_25segmented_radix_sort_implINS0_14default_configELb0EPKlPlSM_SN_N2at6native12_GLOBAL__N_18offset_tEEE10hipError_tPvRmT1_PNSt15iterator_traitsISV_E10value_typeET2_T3_PNSW_IS11_E10value_typeET4_jRbjT5_S17_jjP12ihipStream_tbEUljE_EEESS_ST_SU_S11_S15_S17_T6_T7_T9_mT8_S19_bDpT10_ENKUlT_T0_E_clISt17integral_constantIbLb0EES1L_IbLb1EEEEDaS1H_S1I_EUlS1H_E_NS1_11comp_targetILNS1_3genE5ELNS1_11target_archE942ELNS1_3gpuE9ELNS1_3repE0EEENS1_30default_config_static_selectorELNS0_4arch9wavefront6targetE1EEEvSV_.has_recursion, 0
	.set _ZN7rocprim17ROCPRIM_400000_NS6detail17trampoline_kernelINS0_13select_configILj256ELj13ELNS0_17block_load_methodE3ELS4_3ELS4_3ELNS0_20block_scan_algorithmE0ELj4294967295EEENS1_25partition_config_selectorILNS1_17partition_subalgoE3EjNS0_10empty_typeEbEEZZNS1_14partition_implILS8_3ELb0ES6_jNS0_17counting_iteratorIjlEEPS9_SE_NS0_5tupleIJPjSE_EEENSF_IJSE_SE_EEES9_SG_JZNS1_25segmented_radix_sort_implINS0_14default_configELb0EPKlPlSM_SN_N2at6native12_GLOBAL__N_18offset_tEEE10hipError_tPvRmT1_PNSt15iterator_traitsISV_E10value_typeET2_T3_PNSW_IS11_E10value_typeET4_jRbjT5_S17_jjP12ihipStream_tbEUljE_EEESS_ST_SU_S11_S15_S17_T6_T7_T9_mT8_S19_bDpT10_ENKUlT_T0_E_clISt17integral_constantIbLb0EES1L_IbLb1EEEEDaS1H_S1I_EUlS1H_E_NS1_11comp_targetILNS1_3genE5ELNS1_11target_archE942ELNS1_3gpuE9ELNS1_3repE0EEENS1_30default_config_static_selectorELNS0_4arch9wavefront6targetE1EEEvSV_.has_indirect_call, 0
	.section	.AMDGPU.csdata,"",@progbits
; Kernel info:
; codeLenInByte = 0
; TotalNumSgprs: 4
; NumVgprs: 0
; ScratchSize: 0
; MemoryBound: 0
; FloatMode: 240
; IeeeMode: 1
; LDSByteSize: 0 bytes/workgroup (compile time only)
; SGPRBlocks: 0
; VGPRBlocks: 0
; NumSGPRsForWavesPerEU: 4
; NumVGPRsForWavesPerEU: 1
; Occupancy: 10
; WaveLimiterHint : 0
; COMPUTE_PGM_RSRC2:SCRATCH_EN: 0
; COMPUTE_PGM_RSRC2:USER_SGPR: 6
; COMPUTE_PGM_RSRC2:TRAP_HANDLER: 0
; COMPUTE_PGM_RSRC2:TGID_X_EN: 1
; COMPUTE_PGM_RSRC2:TGID_Y_EN: 0
; COMPUTE_PGM_RSRC2:TGID_Z_EN: 0
; COMPUTE_PGM_RSRC2:TIDIG_COMP_CNT: 0
	.section	.text._ZN7rocprim17ROCPRIM_400000_NS6detail17trampoline_kernelINS0_13select_configILj256ELj13ELNS0_17block_load_methodE3ELS4_3ELS4_3ELNS0_20block_scan_algorithmE0ELj4294967295EEENS1_25partition_config_selectorILNS1_17partition_subalgoE3EjNS0_10empty_typeEbEEZZNS1_14partition_implILS8_3ELb0ES6_jNS0_17counting_iteratorIjlEEPS9_SE_NS0_5tupleIJPjSE_EEENSF_IJSE_SE_EEES9_SG_JZNS1_25segmented_radix_sort_implINS0_14default_configELb0EPKlPlSM_SN_N2at6native12_GLOBAL__N_18offset_tEEE10hipError_tPvRmT1_PNSt15iterator_traitsISV_E10value_typeET2_T3_PNSW_IS11_E10value_typeET4_jRbjT5_S17_jjP12ihipStream_tbEUljE_EEESS_ST_SU_S11_S15_S17_T6_T7_T9_mT8_S19_bDpT10_ENKUlT_T0_E_clISt17integral_constantIbLb0EES1L_IbLb1EEEEDaS1H_S1I_EUlS1H_E_NS1_11comp_targetILNS1_3genE4ELNS1_11target_archE910ELNS1_3gpuE8ELNS1_3repE0EEENS1_30default_config_static_selectorELNS0_4arch9wavefront6targetE1EEEvSV_,"axG",@progbits,_ZN7rocprim17ROCPRIM_400000_NS6detail17trampoline_kernelINS0_13select_configILj256ELj13ELNS0_17block_load_methodE3ELS4_3ELS4_3ELNS0_20block_scan_algorithmE0ELj4294967295EEENS1_25partition_config_selectorILNS1_17partition_subalgoE3EjNS0_10empty_typeEbEEZZNS1_14partition_implILS8_3ELb0ES6_jNS0_17counting_iteratorIjlEEPS9_SE_NS0_5tupleIJPjSE_EEENSF_IJSE_SE_EEES9_SG_JZNS1_25segmented_radix_sort_implINS0_14default_configELb0EPKlPlSM_SN_N2at6native12_GLOBAL__N_18offset_tEEE10hipError_tPvRmT1_PNSt15iterator_traitsISV_E10value_typeET2_T3_PNSW_IS11_E10value_typeET4_jRbjT5_S17_jjP12ihipStream_tbEUljE_EEESS_ST_SU_S11_S15_S17_T6_T7_T9_mT8_S19_bDpT10_ENKUlT_T0_E_clISt17integral_constantIbLb0EES1L_IbLb1EEEEDaS1H_S1I_EUlS1H_E_NS1_11comp_targetILNS1_3genE4ELNS1_11target_archE910ELNS1_3gpuE8ELNS1_3repE0EEENS1_30default_config_static_selectorELNS0_4arch9wavefront6targetE1EEEvSV_,comdat
	.globl	_ZN7rocprim17ROCPRIM_400000_NS6detail17trampoline_kernelINS0_13select_configILj256ELj13ELNS0_17block_load_methodE3ELS4_3ELS4_3ELNS0_20block_scan_algorithmE0ELj4294967295EEENS1_25partition_config_selectorILNS1_17partition_subalgoE3EjNS0_10empty_typeEbEEZZNS1_14partition_implILS8_3ELb0ES6_jNS0_17counting_iteratorIjlEEPS9_SE_NS0_5tupleIJPjSE_EEENSF_IJSE_SE_EEES9_SG_JZNS1_25segmented_radix_sort_implINS0_14default_configELb0EPKlPlSM_SN_N2at6native12_GLOBAL__N_18offset_tEEE10hipError_tPvRmT1_PNSt15iterator_traitsISV_E10value_typeET2_T3_PNSW_IS11_E10value_typeET4_jRbjT5_S17_jjP12ihipStream_tbEUljE_EEESS_ST_SU_S11_S15_S17_T6_T7_T9_mT8_S19_bDpT10_ENKUlT_T0_E_clISt17integral_constantIbLb0EES1L_IbLb1EEEEDaS1H_S1I_EUlS1H_E_NS1_11comp_targetILNS1_3genE4ELNS1_11target_archE910ELNS1_3gpuE8ELNS1_3repE0EEENS1_30default_config_static_selectorELNS0_4arch9wavefront6targetE1EEEvSV_ ; -- Begin function _ZN7rocprim17ROCPRIM_400000_NS6detail17trampoline_kernelINS0_13select_configILj256ELj13ELNS0_17block_load_methodE3ELS4_3ELS4_3ELNS0_20block_scan_algorithmE0ELj4294967295EEENS1_25partition_config_selectorILNS1_17partition_subalgoE3EjNS0_10empty_typeEbEEZZNS1_14partition_implILS8_3ELb0ES6_jNS0_17counting_iteratorIjlEEPS9_SE_NS0_5tupleIJPjSE_EEENSF_IJSE_SE_EEES9_SG_JZNS1_25segmented_radix_sort_implINS0_14default_configELb0EPKlPlSM_SN_N2at6native12_GLOBAL__N_18offset_tEEE10hipError_tPvRmT1_PNSt15iterator_traitsISV_E10value_typeET2_T3_PNSW_IS11_E10value_typeET4_jRbjT5_S17_jjP12ihipStream_tbEUljE_EEESS_ST_SU_S11_S15_S17_T6_T7_T9_mT8_S19_bDpT10_ENKUlT_T0_E_clISt17integral_constantIbLb0EES1L_IbLb1EEEEDaS1H_S1I_EUlS1H_E_NS1_11comp_targetILNS1_3genE4ELNS1_11target_archE910ELNS1_3gpuE8ELNS1_3repE0EEENS1_30default_config_static_selectorELNS0_4arch9wavefront6targetE1EEEvSV_
	.p2align	8
	.type	_ZN7rocprim17ROCPRIM_400000_NS6detail17trampoline_kernelINS0_13select_configILj256ELj13ELNS0_17block_load_methodE3ELS4_3ELS4_3ELNS0_20block_scan_algorithmE0ELj4294967295EEENS1_25partition_config_selectorILNS1_17partition_subalgoE3EjNS0_10empty_typeEbEEZZNS1_14partition_implILS8_3ELb0ES6_jNS0_17counting_iteratorIjlEEPS9_SE_NS0_5tupleIJPjSE_EEENSF_IJSE_SE_EEES9_SG_JZNS1_25segmented_radix_sort_implINS0_14default_configELb0EPKlPlSM_SN_N2at6native12_GLOBAL__N_18offset_tEEE10hipError_tPvRmT1_PNSt15iterator_traitsISV_E10value_typeET2_T3_PNSW_IS11_E10value_typeET4_jRbjT5_S17_jjP12ihipStream_tbEUljE_EEESS_ST_SU_S11_S15_S17_T6_T7_T9_mT8_S19_bDpT10_ENKUlT_T0_E_clISt17integral_constantIbLb0EES1L_IbLb1EEEEDaS1H_S1I_EUlS1H_E_NS1_11comp_targetILNS1_3genE4ELNS1_11target_archE910ELNS1_3gpuE8ELNS1_3repE0EEENS1_30default_config_static_selectorELNS0_4arch9wavefront6targetE1EEEvSV_,@function
_ZN7rocprim17ROCPRIM_400000_NS6detail17trampoline_kernelINS0_13select_configILj256ELj13ELNS0_17block_load_methodE3ELS4_3ELS4_3ELNS0_20block_scan_algorithmE0ELj4294967295EEENS1_25partition_config_selectorILNS1_17partition_subalgoE3EjNS0_10empty_typeEbEEZZNS1_14partition_implILS8_3ELb0ES6_jNS0_17counting_iteratorIjlEEPS9_SE_NS0_5tupleIJPjSE_EEENSF_IJSE_SE_EEES9_SG_JZNS1_25segmented_radix_sort_implINS0_14default_configELb0EPKlPlSM_SN_N2at6native12_GLOBAL__N_18offset_tEEE10hipError_tPvRmT1_PNSt15iterator_traitsISV_E10value_typeET2_T3_PNSW_IS11_E10value_typeET4_jRbjT5_S17_jjP12ihipStream_tbEUljE_EEESS_ST_SU_S11_S15_S17_T6_T7_T9_mT8_S19_bDpT10_ENKUlT_T0_E_clISt17integral_constantIbLb0EES1L_IbLb1EEEEDaS1H_S1I_EUlS1H_E_NS1_11comp_targetILNS1_3genE4ELNS1_11target_archE910ELNS1_3gpuE8ELNS1_3repE0EEENS1_30default_config_static_selectorELNS0_4arch9wavefront6targetE1EEEvSV_: ; @_ZN7rocprim17ROCPRIM_400000_NS6detail17trampoline_kernelINS0_13select_configILj256ELj13ELNS0_17block_load_methodE3ELS4_3ELS4_3ELNS0_20block_scan_algorithmE0ELj4294967295EEENS1_25partition_config_selectorILNS1_17partition_subalgoE3EjNS0_10empty_typeEbEEZZNS1_14partition_implILS8_3ELb0ES6_jNS0_17counting_iteratorIjlEEPS9_SE_NS0_5tupleIJPjSE_EEENSF_IJSE_SE_EEES9_SG_JZNS1_25segmented_radix_sort_implINS0_14default_configELb0EPKlPlSM_SN_N2at6native12_GLOBAL__N_18offset_tEEE10hipError_tPvRmT1_PNSt15iterator_traitsISV_E10value_typeET2_T3_PNSW_IS11_E10value_typeET4_jRbjT5_S17_jjP12ihipStream_tbEUljE_EEESS_ST_SU_S11_S15_S17_T6_T7_T9_mT8_S19_bDpT10_ENKUlT_T0_E_clISt17integral_constantIbLb0EES1L_IbLb1EEEEDaS1H_S1I_EUlS1H_E_NS1_11comp_targetILNS1_3genE4ELNS1_11target_archE910ELNS1_3gpuE8ELNS1_3repE0EEENS1_30default_config_static_selectorELNS0_4arch9wavefront6targetE1EEEvSV_
; %bb.0:
	.section	.rodata,"a",@progbits
	.p2align	6, 0x0
	.amdhsa_kernel _ZN7rocprim17ROCPRIM_400000_NS6detail17trampoline_kernelINS0_13select_configILj256ELj13ELNS0_17block_load_methodE3ELS4_3ELS4_3ELNS0_20block_scan_algorithmE0ELj4294967295EEENS1_25partition_config_selectorILNS1_17partition_subalgoE3EjNS0_10empty_typeEbEEZZNS1_14partition_implILS8_3ELb0ES6_jNS0_17counting_iteratorIjlEEPS9_SE_NS0_5tupleIJPjSE_EEENSF_IJSE_SE_EEES9_SG_JZNS1_25segmented_radix_sort_implINS0_14default_configELb0EPKlPlSM_SN_N2at6native12_GLOBAL__N_18offset_tEEE10hipError_tPvRmT1_PNSt15iterator_traitsISV_E10value_typeET2_T3_PNSW_IS11_E10value_typeET4_jRbjT5_S17_jjP12ihipStream_tbEUljE_EEESS_ST_SU_S11_S15_S17_T6_T7_T9_mT8_S19_bDpT10_ENKUlT_T0_E_clISt17integral_constantIbLb0EES1L_IbLb1EEEEDaS1H_S1I_EUlS1H_E_NS1_11comp_targetILNS1_3genE4ELNS1_11target_archE910ELNS1_3gpuE8ELNS1_3repE0EEENS1_30default_config_static_selectorELNS0_4arch9wavefront6targetE1EEEvSV_
		.amdhsa_group_segment_fixed_size 0
		.amdhsa_private_segment_fixed_size 0
		.amdhsa_kernarg_size 152
		.amdhsa_user_sgpr_count 6
		.amdhsa_user_sgpr_private_segment_buffer 1
		.amdhsa_user_sgpr_dispatch_ptr 0
		.amdhsa_user_sgpr_queue_ptr 0
		.amdhsa_user_sgpr_kernarg_segment_ptr 1
		.amdhsa_user_sgpr_dispatch_id 0
		.amdhsa_user_sgpr_flat_scratch_init 0
		.amdhsa_user_sgpr_private_segment_size 0
		.amdhsa_uses_dynamic_stack 0
		.amdhsa_system_sgpr_private_segment_wavefront_offset 0
		.amdhsa_system_sgpr_workgroup_id_x 1
		.amdhsa_system_sgpr_workgroup_id_y 0
		.amdhsa_system_sgpr_workgroup_id_z 0
		.amdhsa_system_sgpr_workgroup_info 0
		.amdhsa_system_vgpr_workitem_id 0
		.amdhsa_next_free_vgpr 1
		.amdhsa_next_free_sgpr 0
		.amdhsa_reserve_vcc 0
		.amdhsa_reserve_flat_scratch 0
		.amdhsa_float_round_mode_32 0
		.amdhsa_float_round_mode_16_64 0
		.amdhsa_float_denorm_mode_32 3
		.amdhsa_float_denorm_mode_16_64 3
		.amdhsa_dx10_clamp 1
		.amdhsa_ieee_mode 1
		.amdhsa_fp16_overflow 0
		.amdhsa_exception_fp_ieee_invalid_op 0
		.amdhsa_exception_fp_denorm_src 0
		.amdhsa_exception_fp_ieee_div_zero 0
		.amdhsa_exception_fp_ieee_overflow 0
		.amdhsa_exception_fp_ieee_underflow 0
		.amdhsa_exception_fp_ieee_inexact 0
		.amdhsa_exception_int_div_zero 0
	.end_amdhsa_kernel
	.section	.text._ZN7rocprim17ROCPRIM_400000_NS6detail17trampoline_kernelINS0_13select_configILj256ELj13ELNS0_17block_load_methodE3ELS4_3ELS4_3ELNS0_20block_scan_algorithmE0ELj4294967295EEENS1_25partition_config_selectorILNS1_17partition_subalgoE3EjNS0_10empty_typeEbEEZZNS1_14partition_implILS8_3ELb0ES6_jNS0_17counting_iteratorIjlEEPS9_SE_NS0_5tupleIJPjSE_EEENSF_IJSE_SE_EEES9_SG_JZNS1_25segmented_radix_sort_implINS0_14default_configELb0EPKlPlSM_SN_N2at6native12_GLOBAL__N_18offset_tEEE10hipError_tPvRmT1_PNSt15iterator_traitsISV_E10value_typeET2_T3_PNSW_IS11_E10value_typeET4_jRbjT5_S17_jjP12ihipStream_tbEUljE_EEESS_ST_SU_S11_S15_S17_T6_T7_T9_mT8_S19_bDpT10_ENKUlT_T0_E_clISt17integral_constantIbLb0EES1L_IbLb1EEEEDaS1H_S1I_EUlS1H_E_NS1_11comp_targetILNS1_3genE4ELNS1_11target_archE910ELNS1_3gpuE8ELNS1_3repE0EEENS1_30default_config_static_selectorELNS0_4arch9wavefront6targetE1EEEvSV_,"axG",@progbits,_ZN7rocprim17ROCPRIM_400000_NS6detail17trampoline_kernelINS0_13select_configILj256ELj13ELNS0_17block_load_methodE3ELS4_3ELS4_3ELNS0_20block_scan_algorithmE0ELj4294967295EEENS1_25partition_config_selectorILNS1_17partition_subalgoE3EjNS0_10empty_typeEbEEZZNS1_14partition_implILS8_3ELb0ES6_jNS0_17counting_iteratorIjlEEPS9_SE_NS0_5tupleIJPjSE_EEENSF_IJSE_SE_EEES9_SG_JZNS1_25segmented_radix_sort_implINS0_14default_configELb0EPKlPlSM_SN_N2at6native12_GLOBAL__N_18offset_tEEE10hipError_tPvRmT1_PNSt15iterator_traitsISV_E10value_typeET2_T3_PNSW_IS11_E10value_typeET4_jRbjT5_S17_jjP12ihipStream_tbEUljE_EEESS_ST_SU_S11_S15_S17_T6_T7_T9_mT8_S19_bDpT10_ENKUlT_T0_E_clISt17integral_constantIbLb0EES1L_IbLb1EEEEDaS1H_S1I_EUlS1H_E_NS1_11comp_targetILNS1_3genE4ELNS1_11target_archE910ELNS1_3gpuE8ELNS1_3repE0EEENS1_30default_config_static_selectorELNS0_4arch9wavefront6targetE1EEEvSV_,comdat
.Lfunc_end801:
	.size	_ZN7rocprim17ROCPRIM_400000_NS6detail17trampoline_kernelINS0_13select_configILj256ELj13ELNS0_17block_load_methodE3ELS4_3ELS4_3ELNS0_20block_scan_algorithmE0ELj4294967295EEENS1_25partition_config_selectorILNS1_17partition_subalgoE3EjNS0_10empty_typeEbEEZZNS1_14partition_implILS8_3ELb0ES6_jNS0_17counting_iteratorIjlEEPS9_SE_NS0_5tupleIJPjSE_EEENSF_IJSE_SE_EEES9_SG_JZNS1_25segmented_radix_sort_implINS0_14default_configELb0EPKlPlSM_SN_N2at6native12_GLOBAL__N_18offset_tEEE10hipError_tPvRmT1_PNSt15iterator_traitsISV_E10value_typeET2_T3_PNSW_IS11_E10value_typeET4_jRbjT5_S17_jjP12ihipStream_tbEUljE_EEESS_ST_SU_S11_S15_S17_T6_T7_T9_mT8_S19_bDpT10_ENKUlT_T0_E_clISt17integral_constantIbLb0EES1L_IbLb1EEEEDaS1H_S1I_EUlS1H_E_NS1_11comp_targetILNS1_3genE4ELNS1_11target_archE910ELNS1_3gpuE8ELNS1_3repE0EEENS1_30default_config_static_selectorELNS0_4arch9wavefront6targetE1EEEvSV_, .Lfunc_end801-_ZN7rocprim17ROCPRIM_400000_NS6detail17trampoline_kernelINS0_13select_configILj256ELj13ELNS0_17block_load_methodE3ELS4_3ELS4_3ELNS0_20block_scan_algorithmE0ELj4294967295EEENS1_25partition_config_selectorILNS1_17partition_subalgoE3EjNS0_10empty_typeEbEEZZNS1_14partition_implILS8_3ELb0ES6_jNS0_17counting_iteratorIjlEEPS9_SE_NS0_5tupleIJPjSE_EEENSF_IJSE_SE_EEES9_SG_JZNS1_25segmented_radix_sort_implINS0_14default_configELb0EPKlPlSM_SN_N2at6native12_GLOBAL__N_18offset_tEEE10hipError_tPvRmT1_PNSt15iterator_traitsISV_E10value_typeET2_T3_PNSW_IS11_E10value_typeET4_jRbjT5_S17_jjP12ihipStream_tbEUljE_EEESS_ST_SU_S11_S15_S17_T6_T7_T9_mT8_S19_bDpT10_ENKUlT_T0_E_clISt17integral_constantIbLb0EES1L_IbLb1EEEEDaS1H_S1I_EUlS1H_E_NS1_11comp_targetILNS1_3genE4ELNS1_11target_archE910ELNS1_3gpuE8ELNS1_3repE0EEENS1_30default_config_static_selectorELNS0_4arch9wavefront6targetE1EEEvSV_
                                        ; -- End function
	.set _ZN7rocprim17ROCPRIM_400000_NS6detail17trampoline_kernelINS0_13select_configILj256ELj13ELNS0_17block_load_methodE3ELS4_3ELS4_3ELNS0_20block_scan_algorithmE0ELj4294967295EEENS1_25partition_config_selectorILNS1_17partition_subalgoE3EjNS0_10empty_typeEbEEZZNS1_14partition_implILS8_3ELb0ES6_jNS0_17counting_iteratorIjlEEPS9_SE_NS0_5tupleIJPjSE_EEENSF_IJSE_SE_EEES9_SG_JZNS1_25segmented_radix_sort_implINS0_14default_configELb0EPKlPlSM_SN_N2at6native12_GLOBAL__N_18offset_tEEE10hipError_tPvRmT1_PNSt15iterator_traitsISV_E10value_typeET2_T3_PNSW_IS11_E10value_typeET4_jRbjT5_S17_jjP12ihipStream_tbEUljE_EEESS_ST_SU_S11_S15_S17_T6_T7_T9_mT8_S19_bDpT10_ENKUlT_T0_E_clISt17integral_constantIbLb0EES1L_IbLb1EEEEDaS1H_S1I_EUlS1H_E_NS1_11comp_targetILNS1_3genE4ELNS1_11target_archE910ELNS1_3gpuE8ELNS1_3repE0EEENS1_30default_config_static_selectorELNS0_4arch9wavefront6targetE1EEEvSV_.num_vgpr, 0
	.set _ZN7rocprim17ROCPRIM_400000_NS6detail17trampoline_kernelINS0_13select_configILj256ELj13ELNS0_17block_load_methodE3ELS4_3ELS4_3ELNS0_20block_scan_algorithmE0ELj4294967295EEENS1_25partition_config_selectorILNS1_17partition_subalgoE3EjNS0_10empty_typeEbEEZZNS1_14partition_implILS8_3ELb0ES6_jNS0_17counting_iteratorIjlEEPS9_SE_NS0_5tupleIJPjSE_EEENSF_IJSE_SE_EEES9_SG_JZNS1_25segmented_radix_sort_implINS0_14default_configELb0EPKlPlSM_SN_N2at6native12_GLOBAL__N_18offset_tEEE10hipError_tPvRmT1_PNSt15iterator_traitsISV_E10value_typeET2_T3_PNSW_IS11_E10value_typeET4_jRbjT5_S17_jjP12ihipStream_tbEUljE_EEESS_ST_SU_S11_S15_S17_T6_T7_T9_mT8_S19_bDpT10_ENKUlT_T0_E_clISt17integral_constantIbLb0EES1L_IbLb1EEEEDaS1H_S1I_EUlS1H_E_NS1_11comp_targetILNS1_3genE4ELNS1_11target_archE910ELNS1_3gpuE8ELNS1_3repE0EEENS1_30default_config_static_selectorELNS0_4arch9wavefront6targetE1EEEvSV_.num_agpr, 0
	.set _ZN7rocprim17ROCPRIM_400000_NS6detail17trampoline_kernelINS0_13select_configILj256ELj13ELNS0_17block_load_methodE3ELS4_3ELS4_3ELNS0_20block_scan_algorithmE0ELj4294967295EEENS1_25partition_config_selectorILNS1_17partition_subalgoE3EjNS0_10empty_typeEbEEZZNS1_14partition_implILS8_3ELb0ES6_jNS0_17counting_iteratorIjlEEPS9_SE_NS0_5tupleIJPjSE_EEENSF_IJSE_SE_EEES9_SG_JZNS1_25segmented_radix_sort_implINS0_14default_configELb0EPKlPlSM_SN_N2at6native12_GLOBAL__N_18offset_tEEE10hipError_tPvRmT1_PNSt15iterator_traitsISV_E10value_typeET2_T3_PNSW_IS11_E10value_typeET4_jRbjT5_S17_jjP12ihipStream_tbEUljE_EEESS_ST_SU_S11_S15_S17_T6_T7_T9_mT8_S19_bDpT10_ENKUlT_T0_E_clISt17integral_constantIbLb0EES1L_IbLb1EEEEDaS1H_S1I_EUlS1H_E_NS1_11comp_targetILNS1_3genE4ELNS1_11target_archE910ELNS1_3gpuE8ELNS1_3repE0EEENS1_30default_config_static_selectorELNS0_4arch9wavefront6targetE1EEEvSV_.numbered_sgpr, 0
	.set _ZN7rocprim17ROCPRIM_400000_NS6detail17trampoline_kernelINS0_13select_configILj256ELj13ELNS0_17block_load_methodE3ELS4_3ELS4_3ELNS0_20block_scan_algorithmE0ELj4294967295EEENS1_25partition_config_selectorILNS1_17partition_subalgoE3EjNS0_10empty_typeEbEEZZNS1_14partition_implILS8_3ELb0ES6_jNS0_17counting_iteratorIjlEEPS9_SE_NS0_5tupleIJPjSE_EEENSF_IJSE_SE_EEES9_SG_JZNS1_25segmented_radix_sort_implINS0_14default_configELb0EPKlPlSM_SN_N2at6native12_GLOBAL__N_18offset_tEEE10hipError_tPvRmT1_PNSt15iterator_traitsISV_E10value_typeET2_T3_PNSW_IS11_E10value_typeET4_jRbjT5_S17_jjP12ihipStream_tbEUljE_EEESS_ST_SU_S11_S15_S17_T6_T7_T9_mT8_S19_bDpT10_ENKUlT_T0_E_clISt17integral_constantIbLb0EES1L_IbLb1EEEEDaS1H_S1I_EUlS1H_E_NS1_11comp_targetILNS1_3genE4ELNS1_11target_archE910ELNS1_3gpuE8ELNS1_3repE0EEENS1_30default_config_static_selectorELNS0_4arch9wavefront6targetE1EEEvSV_.num_named_barrier, 0
	.set _ZN7rocprim17ROCPRIM_400000_NS6detail17trampoline_kernelINS0_13select_configILj256ELj13ELNS0_17block_load_methodE3ELS4_3ELS4_3ELNS0_20block_scan_algorithmE0ELj4294967295EEENS1_25partition_config_selectorILNS1_17partition_subalgoE3EjNS0_10empty_typeEbEEZZNS1_14partition_implILS8_3ELb0ES6_jNS0_17counting_iteratorIjlEEPS9_SE_NS0_5tupleIJPjSE_EEENSF_IJSE_SE_EEES9_SG_JZNS1_25segmented_radix_sort_implINS0_14default_configELb0EPKlPlSM_SN_N2at6native12_GLOBAL__N_18offset_tEEE10hipError_tPvRmT1_PNSt15iterator_traitsISV_E10value_typeET2_T3_PNSW_IS11_E10value_typeET4_jRbjT5_S17_jjP12ihipStream_tbEUljE_EEESS_ST_SU_S11_S15_S17_T6_T7_T9_mT8_S19_bDpT10_ENKUlT_T0_E_clISt17integral_constantIbLb0EES1L_IbLb1EEEEDaS1H_S1I_EUlS1H_E_NS1_11comp_targetILNS1_3genE4ELNS1_11target_archE910ELNS1_3gpuE8ELNS1_3repE0EEENS1_30default_config_static_selectorELNS0_4arch9wavefront6targetE1EEEvSV_.private_seg_size, 0
	.set _ZN7rocprim17ROCPRIM_400000_NS6detail17trampoline_kernelINS0_13select_configILj256ELj13ELNS0_17block_load_methodE3ELS4_3ELS4_3ELNS0_20block_scan_algorithmE0ELj4294967295EEENS1_25partition_config_selectorILNS1_17partition_subalgoE3EjNS0_10empty_typeEbEEZZNS1_14partition_implILS8_3ELb0ES6_jNS0_17counting_iteratorIjlEEPS9_SE_NS0_5tupleIJPjSE_EEENSF_IJSE_SE_EEES9_SG_JZNS1_25segmented_radix_sort_implINS0_14default_configELb0EPKlPlSM_SN_N2at6native12_GLOBAL__N_18offset_tEEE10hipError_tPvRmT1_PNSt15iterator_traitsISV_E10value_typeET2_T3_PNSW_IS11_E10value_typeET4_jRbjT5_S17_jjP12ihipStream_tbEUljE_EEESS_ST_SU_S11_S15_S17_T6_T7_T9_mT8_S19_bDpT10_ENKUlT_T0_E_clISt17integral_constantIbLb0EES1L_IbLb1EEEEDaS1H_S1I_EUlS1H_E_NS1_11comp_targetILNS1_3genE4ELNS1_11target_archE910ELNS1_3gpuE8ELNS1_3repE0EEENS1_30default_config_static_selectorELNS0_4arch9wavefront6targetE1EEEvSV_.uses_vcc, 0
	.set _ZN7rocprim17ROCPRIM_400000_NS6detail17trampoline_kernelINS0_13select_configILj256ELj13ELNS0_17block_load_methodE3ELS4_3ELS4_3ELNS0_20block_scan_algorithmE0ELj4294967295EEENS1_25partition_config_selectorILNS1_17partition_subalgoE3EjNS0_10empty_typeEbEEZZNS1_14partition_implILS8_3ELb0ES6_jNS0_17counting_iteratorIjlEEPS9_SE_NS0_5tupleIJPjSE_EEENSF_IJSE_SE_EEES9_SG_JZNS1_25segmented_radix_sort_implINS0_14default_configELb0EPKlPlSM_SN_N2at6native12_GLOBAL__N_18offset_tEEE10hipError_tPvRmT1_PNSt15iterator_traitsISV_E10value_typeET2_T3_PNSW_IS11_E10value_typeET4_jRbjT5_S17_jjP12ihipStream_tbEUljE_EEESS_ST_SU_S11_S15_S17_T6_T7_T9_mT8_S19_bDpT10_ENKUlT_T0_E_clISt17integral_constantIbLb0EES1L_IbLb1EEEEDaS1H_S1I_EUlS1H_E_NS1_11comp_targetILNS1_3genE4ELNS1_11target_archE910ELNS1_3gpuE8ELNS1_3repE0EEENS1_30default_config_static_selectorELNS0_4arch9wavefront6targetE1EEEvSV_.uses_flat_scratch, 0
	.set _ZN7rocprim17ROCPRIM_400000_NS6detail17trampoline_kernelINS0_13select_configILj256ELj13ELNS0_17block_load_methodE3ELS4_3ELS4_3ELNS0_20block_scan_algorithmE0ELj4294967295EEENS1_25partition_config_selectorILNS1_17partition_subalgoE3EjNS0_10empty_typeEbEEZZNS1_14partition_implILS8_3ELb0ES6_jNS0_17counting_iteratorIjlEEPS9_SE_NS0_5tupleIJPjSE_EEENSF_IJSE_SE_EEES9_SG_JZNS1_25segmented_radix_sort_implINS0_14default_configELb0EPKlPlSM_SN_N2at6native12_GLOBAL__N_18offset_tEEE10hipError_tPvRmT1_PNSt15iterator_traitsISV_E10value_typeET2_T3_PNSW_IS11_E10value_typeET4_jRbjT5_S17_jjP12ihipStream_tbEUljE_EEESS_ST_SU_S11_S15_S17_T6_T7_T9_mT8_S19_bDpT10_ENKUlT_T0_E_clISt17integral_constantIbLb0EES1L_IbLb1EEEEDaS1H_S1I_EUlS1H_E_NS1_11comp_targetILNS1_3genE4ELNS1_11target_archE910ELNS1_3gpuE8ELNS1_3repE0EEENS1_30default_config_static_selectorELNS0_4arch9wavefront6targetE1EEEvSV_.has_dyn_sized_stack, 0
	.set _ZN7rocprim17ROCPRIM_400000_NS6detail17trampoline_kernelINS0_13select_configILj256ELj13ELNS0_17block_load_methodE3ELS4_3ELS4_3ELNS0_20block_scan_algorithmE0ELj4294967295EEENS1_25partition_config_selectorILNS1_17partition_subalgoE3EjNS0_10empty_typeEbEEZZNS1_14partition_implILS8_3ELb0ES6_jNS0_17counting_iteratorIjlEEPS9_SE_NS0_5tupleIJPjSE_EEENSF_IJSE_SE_EEES9_SG_JZNS1_25segmented_radix_sort_implINS0_14default_configELb0EPKlPlSM_SN_N2at6native12_GLOBAL__N_18offset_tEEE10hipError_tPvRmT1_PNSt15iterator_traitsISV_E10value_typeET2_T3_PNSW_IS11_E10value_typeET4_jRbjT5_S17_jjP12ihipStream_tbEUljE_EEESS_ST_SU_S11_S15_S17_T6_T7_T9_mT8_S19_bDpT10_ENKUlT_T0_E_clISt17integral_constantIbLb0EES1L_IbLb1EEEEDaS1H_S1I_EUlS1H_E_NS1_11comp_targetILNS1_3genE4ELNS1_11target_archE910ELNS1_3gpuE8ELNS1_3repE0EEENS1_30default_config_static_selectorELNS0_4arch9wavefront6targetE1EEEvSV_.has_recursion, 0
	.set _ZN7rocprim17ROCPRIM_400000_NS6detail17trampoline_kernelINS0_13select_configILj256ELj13ELNS0_17block_load_methodE3ELS4_3ELS4_3ELNS0_20block_scan_algorithmE0ELj4294967295EEENS1_25partition_config_selectorILNS1_17partition_subalgoE3EjNS0_10empty_typeEbEEZZNS1_14partition_implILS8_3ELb0ES6_jNS0_17counting_iteratorIjlEEPS9_SE_NS0_5tupleIJPjSE_EEENSF_IJSE_SE_EEES9_SG_JZNS1_25segmented_radix_sort_implINS0_14default_configELb0EPKlPlSM_SN_N2at6native12_GLOBAL__N_18offset_tEEE10hipError_tPvRmT1_PNSt15iterator_traitsISV_E10value_typeET2_T3_PNSW_IS11_E10value_typeET4_jRbjT5_S17_jjP12ihipStream_tbEUljE_EEESS_ST_SU_S11_S15_S17_T6_T7_T9_mT8_S19_bDpT10_ENKUlT_T0_E_clISt17integral_constantIbLb0EES1L_IbLb1EEEEDaS1H_S1I_EUlS1H_E_NS1_11comp_targetILNS1_3genE4ELNS1_11target_archE910ELNS1_3gpuE8ELNS1_3repE0EEENS1_30default_config_static_selectorELNS0_4arch9wavefront6targetE1EEEvSV_.has_indirect_call, 0
	.section	.AMDGPU.csdata,"",@progbits
; Kernel info:
; codeLenInByte = 0
; TotalNumSgprs: 4
; NumVgprs: 0
; ScratchSize: 0
; MemoryBound: 0
; FloatMode: 240
; IeeeMode: 1
; LDSByteSize: 0 bytes/workgroup (compile time only)
; SGPRBlocks: 0
; VGPRBlocks: 0
; NumSGPRsForWavesPerEU: 4
; NumVGPRsForWavesPerEU: 1
; Occupancy: 10
; WaveLimiterHint : 0
; COMPUTE_PGM_RSRC2:SCRATCH_EN: 0
; COMPUTE_PGM_RSRC2:USER_SGPR: 6
; COMPUTE_PGM_RSRC2:TRAP_HANDLER: 0
; COMPUTE_PGM_RSRC2:TGID_X_EN: 1
; COMPUTE_PGM_RSRC2:TGID_Y_EN: 0
; COMPUTE_PGM_RSRC2:TGID_Z_EN: 0
; COMPUTE_PGM_RSRC2:TIDIG_COMP_CNT: 0
	.section	.text._ZN7rocprim17ROCPRIM_400000_NS6detail17trampoline_kernelINS0_13select_configILj256ELj13ELNS0_17block_load_methodE3ELS4_3ELS4_3ELNS0_20block_scan_algorithmE0ELj4294967295EEENS1_25partition_config_selectorILNS1_17partition_subalgoE3EjNS0_10empty_typeEbEEZZNS1_14partition_implILS8_3ELb0ES6_jNS0_17counting_iteratorIjlEEPS9_SE_NS0_5tupleIJPjSE_EEENSF_IJSE_SE_EEES9_SG_JZNS1_25segmented_radix_sort_implINS0_14default_configELb0EPKlPlSM_SN_N2at6native12_GLOBAL__N_18offset_tEEE10hipError_tPvRmT1_PNSt15iterator_traitsISV_E10value_typeET2_T3_PNSW_IS11_E10value_typeET4_jRbjT5_S17_jjP12ihipStream_tbEUljE_EEESS_ST_SU_S11_S15_S17_T6_T7_T9_mT8_S19_bDpT10_ENKUlT_T0_E_clISt17integral_constantIbLb0EES1L_IbLb1EEEEDaS1H_S1I_EUlS1H_E_NS1_11comp_targetILNS1_3genE3ELNS1_11target_archE908ELNS1_3gpuE7ELNS1_3repE0EEENS1_30default_config_static_selectorELNS0_4arch9wavefront6targetE1EEEvSV_,"axG",@progbits,_ZN7rocprim17ROCPRIM_400000_NS6detail17trampoline_kernelINS0_13select_configILj256ELj13ELNS0_17block_load_methodE3ELS4_3ELS4_3ELNS0_20block_scan_algorithmE0ELj4294967295EEENS1_25partition_config_selectorILNS1_17partition_subalgoE3EjNS0_10empty_typeEbEEZZNS1_14partition_implILS8_3ELb0ES6_jNS0_17counting_iteratorIjlEEPS9_SE_NS0_5tupleIJPjSE_EEENSF_IJSE_SE_EEES9_SG_JZNS1_25segmented_radix_sort_implINS0_14default_configELb0EPKlPlSM_SN_N2at6native12_GLOBAL__N_18offset_tEEE10hipError_tPvRmT1_PNSt15iterator_traitsISV_E10value_typeET2_T3_PNSW_IS11_E10value_typeET4_jRbjT5_S17_jjP12ihipStream_tbEUljE_EEESS_ST_SU_S11_S15_S17_T6_T7_T9_mT8_S19_bDpT10_ENKUlT_T0_E_clISt17integral_constantIbLb0EES1L_IbLb1EEEEDaS1H_S1I_EUlS1H_E_NS1_11comp_targetILNS1_3genE3ELNS1_11target_archE908ELNS1_3gpuE7ELNS1_3repE0EEENS1_30default_config_static_selectorELNS0_4arch9wavefront6targetE1EEEvSV_,comdat
	.globl	_ZN7rocprim17ROCPRIM_400000_NS6detail17trampoline_kernelINS0_13select_configILj256ELj13ELNS0_17block_load_methodE3ELS4_3ELS4_3ELNS0_20block_scan_algorithmE0ELj4294967295EEENS1_25partition_config_selectorILNS1_17partition_subalgoE3EjNS0_10empty_typeEbEEZZNS1_14partition_implILS8_3ELb0ES6_jNS0_17counting_iteratorIjlEEPS9_SE_NS0_5tupleIJPjSE_EEENSF_IJSE_SE_EEES9_SG_JZNS1_25segmented_radix_sort_implINS0_14default_configELb0EPKlPlSM_SN_N2at6native12_GLOBAL__N_18offset_tEEE10hipError_tPvRmT1_PNSt15iterator_traitsISV_E10value_typeET2_T3_PNSW_IS11_E10value_typeET4_jRbjT5_S17_jjP12ihipStream_tbEUljE_EEESS_ST_SU_S11_S15_S17_T6_T7_T9_mT8_S19_bDpT10_ENKUlT_T0_E_clISt17integral_constantIbLb0EES1L_IbLb1EEEEDaS1H_S1I_EUlS1H_E_NS1_11comp_targetILNS1_3genE3ELNS1_11target_archE908ELNS1_3gpuE7ELNS1_3repE0EEENS1_30default_config_static_selectorELNS0_4arch9wavefront6targetE1EEEvSV_ ; -- Begin function _ZN7rocprim17ROCPRIM_400000_NS6detail17trampoline_kernelINS0_13select_configILj256ELj13ELNS0_17block_load_methodE3ELS4_3ELS4_3ELNS0_20block_scan_algorithmE0ELj4294967295EEENS1_25partition_config_selectorILNS1_17partition_subalgoE3EjNS0_10empty_typeEbEEZZNS1_14partition_implILS8_3ELb0ES6_jNS0_17counting_iteratorIjlEEPS9_SE_NS0_5tupleIJPjSE_EEENSF_IJSE_SE_EEES9_SG_JZNS1_25segmented_radix_sort_implINS0_14default_configELb0EPKlPlSM_SN_N2at6native12_GLOBAL__N_18offset_tEEE10hipError_tPvRmT1_PNSt15iterator_traitsISV_E10value_typeET2_T3_PNSW_IS11_E10value_typeET4_jRbjT5_S17_jjP12ihipStream_tbEUljE_EEESS_ST_SU_S11_S15_S17_T6_T7_T9_mT8_S19_bDpT10_ENKUlT_T0_E_clISt17integral_constantIbLb0EES1L_IbLb1EEEEDaS1H_S1I_EUlS1H_E_NS1_11comp_targetILNS1_3genE3ELNS1_11target_archE908ELNS1_3gpuE7ELNS1_3repE0EEENS1_30default_config_static_selectorELNS0_4arch9wavefront6targetE1EEEvSV_
	.p2align	8
	.type	_ZN7rocprim17ROCPRIM_400000_NS6detail17trampoline_kernelINS0_13select_configILj256ELj13ELNS0_17block_load_methodE3ELS4_3ELS4_3ELNS0_20block_scan_algorithmE0ELj4294967295EEENS1_25partition_config_selectorILNS1_17partition_subalgoE3EjNS0_10empty_typeEbEEZZNS1_14partition_implILS8_3ELb0ES6_jNS0_17counting_iteratorIjlEEPS9_SE_NS0_5tupleIJPjSE_EEENSF_IJSE_SE_EEES9_SG_JZNS1_25segmented_radix_sort_implINS0_14default_configELb0EPKlPlSM_SN_N2at6native12_GLOBAL__N_18offset_tEEE10hipError_tPvRmT1_PNSt15iterator_traitsISV_E10value_typeET2_T3_PNSW_IS11_E10value_typeET4_jRbjT5_S17_jjP12ihipStream_tbEUljE_EEESS_ST_SU_S11_S15_S17_T6_T7_T9_mT8_S19_bDpT10_ENKUlT_T0_E_clISt17integral_constantIbLb0EES1L_IbLb1EEEEDaS1H_S1I_EUlS1H_E_NS1_11comp_targetILNS1_3genE3ELNS1_11target_archE908ELNS1_3gpuE7ELNS1_3repE0EEENS1_30default_config_static_selectorELNS0_4arch9wavefront6targetE1EEEvSV_,@function
_ZN7rocprim17ROCPRIM_400000_NS6detail17trampoline_kernelINS0_13select_configILj256ELj13ELNS0_17block_load_methodE3ELS4_3ELS4_3ELNS0_20block_scan_algorithmE0ELj4294967295EEENS1_25partition_config_selectorILNS1_17partition_subalgoE3EjNS0_10empty_typeEbEEZZNS1_14partition_implILS8_3ELb0ES6_jNS0_17counting_iteratorIjlEEPS9_SE_NS0_5tupleIJPjSE_EEENSF_IJSE_SE_EEES9_SG_JZNS1_25segmented_radix_sort_implINS0_14default_configELb0EPKlPlSM_SN_N2at6native12_GLOBAL__N_18offset_tEEE10hipError_tPvRmT1_PNSt15iterator_traitsISV_E10value_typeET2_T3_PNSW_IS11_E10value_typeET4_jRbjT5_S17_jjP12ihipStream_tbEUljE_EEESS_ST_SU_S11_S15_S17_T6_T7_T9_mT8_S19_bDpT10_ENKUlT_T0_E_clISt17integral_constantIbLb0EES1L_IbLb1EEEEDaS1H_S1I_EUlS1H_E_NS1_11comp_targetILNS1_3genE3ELNS1_11target_archE908ELNS1_3gpuE7ELNS1_3repE0EEENS1_30default_config_static_selectorELNS0_4arch9wavefront6targetE1EEEvSV_: ; @_ZN7rocprim17ROCPRIM_400000_NS6detail17trampoline_kernelINS0_13select_configILj256ELj13ELNS0_17block_load_methodE3ELS4_3ELS4_3ELNS0_20block_scan_algorithmE0ELj4294967295EEENS1_25partition_config_selectorILNS1_17partition_subalgoE3EjNS0_10empty_typeEbEEZZNS1_14partition_implILS8_3ELb0ES6_jNS0_17counting_iteratorIjlEEPS9_SE_NS0_5tupleIJPjSE_EEENSF_IJSE_SE_EEES9_SG_JZNS1_25segmented_radix_sort_implINS0_14default_configELb0EPKlPlSM_SN_N2at6native12_GLOBAL__N_18offset_tEEE10hipError_tPvRmT1_PNSt15iterator_traitsISV_E10value_typeET2_T3_PNSW_IS11_E10value_typeET4_jRbjT5_S17_jjP12ihipStream_tbEUljE_EEESS_ST_SU_S11_S15_S17_T6_T7_T9_mT8_S19_bDpT10_ENKUlT_T0_E_clISt17integral_constantIbLb0EES1L_IbLb1EEEEDaS1H_S1I_EUlS1H_E_NS1_11comp_targetILNS1_3genE3ELNS1_11target_archE908ELNS1_3gpuE7ELNS1_3repE0EEENS1_30default_config_static_selectorELNS0_4arch9wavefront6targetE1EEEvSV_
; %bb.0:
	.section	.rodata,"a",@progbits
	.p2align	6, 0x0
	.amdhsa_kernel _ZN7rocprim17ROCPRIM_400000_NS6detail17trampoline_kernelINS0_13select_configILj256ELj13ELNS0_17block_load_methodE3ELS4_3ELS4_3ELNS0_20block_scan_algorithmE0ELj4294967295EEENS1_25partition_config_selectorILNS1_17partition_subalgoE3EjNS0_10empty_typeEbEEZZNS1_14partition_implILS8_3ELb0ES6_jNS0_17counting_iteratorIjlEEPS9_SE_NS0_5tupleIJPjSE_EEENSF_IJSE_SE_EEES9_SG_JZNS1_25segmented_radix_sort_implINS0_14default_configELb0EPKlPlSM_SN_N2at6native12_GLOBAL__N_18offset_tEEE10hipError_tPvRmT1_PNSt15iterator_traitsISV_E10value_typeET2_T3_PNSW_IS11_E10value_typeET4_jRbjT5_S17_jjP12ihipStream_tbEUljE_EEESS_ST_SU_S11_S15_S17_T6_T7_T9_mT8_S19_bDpT10_ENKUlT_T0_E_clISt17integral_constantIbLb0EES1L_IbLb1EEEEDaS1H_S1I_EUlS1H_E_NS1_11comp_targetILNS1_3genE3ELNS1_11target_archE908ELNS1_3gpuE7ELNS1_3repE0EEENS1_30default_config_static_selectorELNS0_4arch9wavefront6targetE1EEEvSV_
		.amdhsa_group_segment_fixed_size 0
		.amdhsa_private_segment_fixed_size 0
		.amdhsa_kernarg_size 152
		.amdhsa_user_sgpr_count 6
		.amdhsa_user_sgpr_private_segment_buffer 1
		.amdhsa_user_sgpr_dispatch_ptr 0
		.amdhsa_user_sgpr_queue_ptr 0
		.amdhsa_user_sgpr_kernarg_segment_ptr 1
		.amdhsa_user_sgpr_dispatch_id 0
		.amdhsa_user_sgpr_flat_scratch_init 0
		.amdhsa_user_sgpr_private_segment_size 0
		.amdhsa_uses_dynamic_stack 0
		.amdhsa_system_sgpr_private_segment_wavefront_offset 0
		.amdhsa_system_sgpr_workgroup_id_x 1
		.amdhsa_system_sgpr_workgroup_id_y 0
		.amdhsa_system_sgpr_workgroup_id_z 0
		.amdhsa_system_sgpr_workgroup_info 0
		.amdhsa_system_vgpr_workitem_id 0
		.amdhsa_next_free_vgpr 1
		.amdhsa_next_free_sgpr 0
		.amdhsa_reserve_vcc 0
		.amdhsa_reserve_flat_scratch 0
		.amdhsa_float_round_mode_32 0
		.amdhsa_float_round_mode_16_64 0
		.amdhsa_float_denorm_mode_32 3
		.amdhsa_float_denorm_mode_16_64 3
		.amdhsa_dx10_clamp 1
		.amdhsa_ieee_mode 1
		.amdhsa_fp16_overflow 0
		.amdhsa_exception_fp_ieee_invalid_op 0
		.amdhsa_exception_fp_denorm_src 0
		.amdhsa_exception_fp_ieee_div_zero 0
		.amdhsa_exception_fp_ieee_overflow 0
		.amdhsa_exception_fp_ieee_underflow 0
		.amdhsa_exception_fp_ieee_inexact 0
		.amdhsa_exception_int_div_zero 0
	.end_amdhsa_kernel
	.section	.text._ZN7rocprim17ROCPRIM_400000_NS6detail17trampoline_kernelINS0_13select_configILj256ELj13ELNS0_17block_load_methodE3ELS4_3ELS4_3ELNS0_20block_scan_algorithmE0ELj4294967295EEENS1_25partition_config_selectorILNS1_17partition_subalgoE3EjNS0_10empty_typeEbEEZZNS1_14partition_implILS8_3ELb0ES6_jNS0_17counting_iteratorIjlEEPS9_SE_NS0_5tupleIJPjSE_EEENSF_IJSE_SE_EEES9_SG_JZNS1_25segmented_radix_sort_implINS0_14default_configELb0EPKlPlSM_SN_N2at6native12_GLOBAL__N_18offset_tEEE10hipError_tPvRmT1_PNSt15iterator_traitsISV_E10value_typeET2_T3_PNSW_IS11_E10value_typeET4_jRbjT5_S17_jjP12ihipStream_tbEUljE_EEESS_ST_SU_S11_S15_S17_T6_T7_T9_mT8_S19_bDpT10_ENKUlT_T0_E_clISt17integral_constantIbLb0EES1L_IbLb1EEEEDaS1H_S1I_EUlS1H_E_NS1_11comp_targetILNS1_3genE3ELNS1_11target_archE908ELNS1_3gpuE7ELNS1_3repE0EEENS1_30default_config_static_selectorELNS0_4arch9wavefront6targetE1EEEvSV_,"axG",@progbits,_ZN7rocprim17ROCPRIM_400000_NS6detail17trampoline_kernelINS0_13select_configILj256ELj13ELNS0_17block_load_methodE3ELS4_3ELS4_3ELNS0_20block_scan_algorithmE0ELj4294967295EEENS1_25partition_config_selectorILNS1_17partition_subalgoE3EjNS0_10empty_typeEbEEZZNS1_14partition_implILS8_3ELb0ES6_jNS0_17counting_iteratorIjlEEPS9_SE_NS0_5tupleIJPjSE_EEENSF_IJSE_SE_EEES9_SG_JZNS1_25segmented_radix_sort_implINS0_14default_configELb0EPKlPlSM_SN_N2at6native12_GLOBAL__N_18offset_tEEE10hipError_tPvRmT1_PNSt15iterator_traitsISV_E10value_typeET2_T3_PNSW_IS11_E10value_typeET4_jRbjT5_S17_jjP12ihipStream_tbEUljE_EEESS_ST_SU_S11_S15_S17_T6_T7_T9_mT8_S19_bDpT10_ENKUlT_T0_E_clISt17integral_constantIbLb0EES1L_IbLb1EEEEDaS1H_S1I_EUlS1H_E_NS1_11comp_targetILNS1_3genE3ELNS1_11target_archE908ELNS1_3gpuE7ELNS1_3repE0EEENS1_30default_config_static_selectorELNS0_4arch9wavefront6targetE1EEEvSV_,comdat
.Lfunc_end802:
	.size	_ZN7rocprim17ROCPRIM_400000_NS6detail17trampoline_kernelINS0_13select_configILj256ELj13ELNS0_17block_load_methodE3ELS4_3ELS4_3ELNS0_20block_scan_algorithmE0ELj4294967295EEENS1_25partition_config_selectorILNS1_17partition_subalgoE3EjNS0_10empty_typeEbEEZZNS1_14partition_implILS8_3ELb0ES6_jNS0_17counting_iteratorIjlEEPS9_SE_NS0_5tupleIJPjSE_EEENSF_IJSE_SE_EEES9_SG_JZNS1_25segmented_radix_sort_implINS0_14default_configELb0EPKlPlSM_SN_N2at6native12_GLOBAL__N_18offset_tEEE10hipError_tPvRmT1_PNSt15iterator_traitsISV_E10value_typeET2_T3_PNSW_IS11_E10value_typeET4_jRbjT5_S17_jjP12ihipStream_tbEUljE_EEESS_ST_SU_S11_S15_S17_T6_T7_T9_mT8_S19_bDpT10_ENKUlT_T0_E_clISt17integral_constantIbLb0EES1L_IbLb1EEEEDaS1H_S1I_EUlS1H_E_NS1_11comp_targetILNS1_3genE3ELNS1_11target_archE908ELNS1_3gpuE7ELNS1_3repE0EEENS1_30default_config_static_selectorELNS0_4arch9wavefront6targetE1EEEvSV_, .Lfunc_end802-_ZN7rocprim17ROCPRIM_400000_NS6detail17trampoline_kernelINS0_13select_configILj256ELj13ELNS0_17block_load_methodE3ELS4_3ELS4_3ELNS0_20block_scan_algorithmE0ELj4294967295EEENS1_25partition_config_selectorILNS1_17partition_subalgoE3EjNS0_10empty_typeEbEEZZNS1_14partition_implILS8_3ELb0ES6_jNS0_17counting_iteratorIjlEEPS9_SE_NS0_5tupleIJPjSE_EEENSF_IJSE_SE_EEES9_SG_JZNS1_25segmented_radix_sort_implINS0_14default_configELb0EPKlPlSM_SN_N2at6native12_GLOBAL__N_18offset_tEEE10hipError_tPvRmT1_PNSt15iterator_traitsISV_E10value_typeET2_T3_PNSW_IS11_E10value_typeET4_jRbjT5_S17_jjP12ihipStream_tbEUljE_EEESS_ST_SU_S11_S15_S17_T6_T7_T9_mT8_S19_bDpT10_ENKUlT_T0_E_clISt17integral_constantIbLb0EES1L_IbLb1EEEEDaS1H_S1I_EUlS1H_E_NS1_11comp_targetILNS1_3genE3ELNS1_11target_archE908ELNS1_3gpuE7ELNS1_3repE0EEENS1_30default_config_static_selectorELNS0_4arch9wavefront6targetE1EEEvSV_
                                        ; -- End function
	.set _ZN7rocprim17ROCPRIM_400000_NS6detail17trampoline_kernelINS0_13select_configILj256ELj13ELNS0_17block_load_methodE3ELS4_3ELS4_3ELNS0_20block_scan_algorithmE0ELj4294967295EEENS1_25partition_config_selectorILNS1_17partition_subalgoE3EjNS0_10empty_typeEbEEZZNS1_14partition_implILS8_3ELb0ES6_jNS0_17counting_iteratorIjlEEPS9_SE_NS0_5tupleIJPjSE_EEENSF_IJSE_SE_EEES9_SG_JZNS1_25segmented_radix_sort_implINS0_14default_configELb0EPKlPlSM_SN_N2at6native12_GLOBAL__N_18offset_tEEE10hipError_tPvRmT1_PNSt15iterator_traitsISV_E10value_typeET2_T3_PNSW_IS11_E10value_typeET4_jRbjT5_S17_jjP12ihipStream_tbEUljE_EEESS_ST_SU_S11_S15_S17_T6_T7_T9_mT8_S19_bDpT10_ENKUlT_T0_E_clISt17integral_constantIbLb0EES1L_IbLb1EEEEDaS1H_S1I_EUlS1H_E_NS1_11comp_targetILNS1_3genE3ELNS1_11target_archE908ELNS1_3gpuE7ELNS1_3repE0EEENS1_30default_config_static_selectorELNS0_4arch9wavefront6targetE1EEEvSV_.num_vgpr, 0
	.set _ZN7rocprim17ROCPRIM_400000_NS6detail17trampoline_kernelINS0_13select_configILj256ELj13ELNS0_17block_load_methodE3ELS4_3ELS4_3ELNS0_20block_scan_algorithmE0ELj4294967295EEENS1_25partition_config_selectorILNS1_17partition_subalgoE3EjNS0_10empty_typeEbEEZZNS1_14partition_implILS8_3ELb0ES6_jNS0_17counting_iteratorIjlEEPS9_SE_NS0_5tupleIJPjSE_EEENSF_IJSE_SE_EEES9_SG_JZNS1_25segmented_radix_sort_implINS0_14default_configELb0EPKlPlSM_SN_N2at6native12_GLOBAL__N_18offset_tEEE10hipError_tPvRmT1_PNSt15iterator_traitsISV_E10value_typeET2_T3_PNSW_IS11_E10value_typeET4_jRbjT5_S17_jjP12ihipStream_tbEUljE_EEESS_ST_SU_S11_S15_S17_T6_T7_T9_mT8_S19_bDpT10_ENKUlT_T0_E_clISt17integral_constantIbLb0EES1L_IbLb1EEEEDaS1H_S1I_EUlS1H_E_NS1_11comp_targetILNS1_3genE3ELNS1_11target_archE908ELNS1_3gpuE7ELNS1_3repE0EEENS1_30default_config_static_selectorELNS0_4arch9wavefront6targetE1EEEvSV_.num_agpr, 0
	.set _ZN7rocprim17ROCPRIM_400000_NS6detail17trampoline_kernelINS0_13select_configILj256ELj13ELNS0_17block_load_methodE3ELS4_3ELS4_3ELNS0_20block_scan_algorithmE0ELj4294967295EEENS1_25partition_config_selectorILNS1_17partition_subalgoE3EjNS0_10empty_typeEbEEZZNS1_14partition_implILS8_3ELb0ES6_jNS0_17counting_iteratorIjlEEPS9_SE_NS0_5tupleIJPjSE_EEENSF_IJSE_SE_EEES9_SG_JZNS1_25segmented_radix_sort_implINS0_14default_configELb0EPKlPlSM_SN_N2at6native12_GLOBAL__N_18offset_tEEE10hipError_tPvRmT1_PNSt15iterator_traitsISV_E10value_typeET2_T3_PNSW_IS11_E10value_typeET4_jRbjT5_S17_jjP12ihipStream_tbEUljE_EEESS_ST_SU_S11_S15_S17_T6_T7_T9_mT8_S19_bDpT10_ENKUlT_T0_E_clISt17integral_constantIbLb0EES1L_IbLb1EEEEDaS1H_S1I_EUlS1H_E_NS1_11comp_targetILNS1_3genE3ELNS1_11target_archE908ELNS1_3gpuE7ELNS1_3repE0EEENS1_30default_config_static_selectorELNS0_4arch9wavefront6targetE1EEEvSV_.numbered_sgpr, 0
	.set _ZN7rocprim17ROCPRIM_400000_NS6detail17trampoline_kernelINS0_13select_configILj256ELj13ELNS0_17block_load_methodE3ELS4_3ELS4_3ELNS0_20block_scan_algorithmE0ELj4294967295EEENS1_25partition_config_selectorILNS1_17partition_subalgoE3EjNS0_10empty_typeEbEEZZNS1_14partition_implILS8_3ELb0ES6_jNS0_17counting_iteratorIjlEEPS9_SE_NS0_5tupleIJPjSE_EEENSF_IJSE_SE_EEES9_SG_JZNS1_25segmented_radix_sort_implINS0_14default_configELb0EPKlPlSM_SN_N2at6native12_GLOBAL__N_18offset_tEEE10hipError_tPvRmT1_PNSt15iterator_traitsISV_E10value_typeET2_T3_PNSW_IS11_E10value_typeET4_jRbjT5_S17_jjP12ihipStream_tbEUljE_EEESS_ST_SU_S11_S15_S17_T6_T7_T9_mT8_S19_bDpT10_ENKUlT_T0_E_clISt17integral_constantIbLb0EES1L_IbLb1EEEEDaS1H_S1I_EUlS1H_E_NS1_11comp_targetILNS1_3genE3ELNS1_11target_archE908ELNS1_3gpuE7ELNS1_3repE0EEENS1_30default_config_static_selectorELNS0_4arch9wavefront6targetE1EEEvSV_.num_named_barrier, 0
	.set _ZN7rocprim17ROCPRIM_400000_NS6detail17trampoline_kernelINS0_13select_configILj256ELj13ELNS0_17block_load_methodE3ELS4_3ELS4_3ELNS0_20block_scan_algorithmE0ELj4294967295EEENS1_25partition_config_selectorILNS1_17partition_subalgoE3EjNS0_10empty_typeEbEEZZNS1_14partition_implILS8_3ELb0ES6_jNS0_17counting_iteratorIjlEEPS9_SE_NS0_5tupleIJPjSE_EEENSF_IJSE_SE_EEES9_SG_JZNS1_25segmented_radix_sort_implINS0_14default_configELb0EPKlPlSM_SN_N2at6native12_GLOBAL__N_18offset_tEEE10hipError_tPvRmT1_PNSt15iterator_traitsISV_E10value_typeET2_T3_PNSW_IS11_E10value_typeET4_jRbjT5_S17_jjP12ihipStream_tbEUljE_EEESS_ST_SU_S11_S15_S17_T6_T7_T9_mT8_S19_bDpT10_ENKUlT_T0_E_clISt17integral_constantIbLb0EES1L_IbLb1EEEEDaS1H_S1I_EUlS1H_E_NS1_11comp_targetILNS1_3genE3ELNS1_11target_archE908ELNS1_3gpuE7ELNS1_3repE0EEENS1_30default_config_static_selectorELNS0_4arch9wavefront6targetE1EEEvSV_.private_seg_size, 0
	.set _ZN7rocprim17ROCPRIM_400000_NS6detail17trampoline_kernelINS0_13select_configILj256ELj13ELNS0_17block_load_methodE3ELS4_3ELS4_3ELNS0_20block_scan_algorithmE0ELj4294967295EEENS1_25partition_config_selectorILNS1_17partition_subalgoE3EjNS0_10empty_typeEbEEZZNS1_14partition_implILS8_3ELb0ES6_jNS0_17counting_iteratorIjlEEPS9_SE_NS0_5tupleIJPjSE_EEENSF_IJSE_SE_EEES9_SG_JZNS1_25segmented_radix_sort_implINS0_14default_configELb0EPKlPlSM_SN_N2at6native12_GLOBAL__N_18offset_tEEE10hipError_tPvRmT1_PNSt15iterator_traitsISV_E10value_typeET2_T3_PNSW_IS11_E10value_typeET4_jRbjT5_S17_jjP12ihipStream_tbEUljE_EEESS_ST_SU_S11_S15_S17_T6_T7_T9_mT8_S19_bDpT10_ENKUlT_T0_E_clISt17integral_constantIbLb0EES1L_IbLb1EEEEDaS1H_S1I_EUlS1H_E_NS1_11comp_targetILNS1_3genE3ELNS1_11target_archE908ELNS1_3gpuE7ELNS1_3repE0EEENS1_30default_config_static_selectorELNS0_4arch9wavefront6targetE1EEEvSV_.uses_vcc, 0
	.set _ZN7rocprim17ROCPRIM_400000_NS6detail17trampoline_kernelINS0_13select_configILj256ELj13ELNS0_17block_load_methodE3ELS4_3ELS4_3ELNS0_20block_scan_algorithmE0ELj4294967295EEENS1_25partition_config_selectorILNS1_17partition_subalgoE3EjNS0_10empty_typeEbEEZZNS1_14partition_implILS8_3ELb0ES6_jNS0_17counting_iteratorIjlEEPS9_SE_NS0_5tupleIJPjSE_EEENSF_IJSE_SE_EEES9_SG_JZNS1_25segmented_radix_sort_implINS0_14default_configELb0EPKlPlSM_SN_N2at6native12_GLOBAL__N_18offset_tEEE10hipError_tPvRmT1_PNSt15iterator_traitsISV_E10value_typeET2_T3_PNSW_IS11_E10value_typeET4_jRbjT5_S17_jjP12ihipStream_tbEUljE_EEESS_ST_SU_S11_S15_S17_T6_T7_T9_mT8_S19_bDpT10_ENKUlT_T0_E_clISt17integral_constantIbLb0EES1L_IbLb1EEEEDaS1H_S1I_EUlS1H_E_NS1_11comp_targetILNS1_3genE3ELNS1_11target_archE908ELNS1_3gpuE7ELNS1_3repE0EEENS1_30default_config_static_selectorELNS0_4arch9wavefront6targetE1EEEvSV_.uses_flat_scratch, 0
	.set _ZN7rocprim17ROCPRIM_400000_NS6detail17trampoline_kernelINS0_13select_configILj256ELj13ELNS0_17block_load_methodE3ELS4_3ELS4_3ELNS0_20block_scan_algorithmE0ELj4294967295EEENS1_25partition_config_selectorILNS1_17partition_subalgoE3EjNS0_10empty_typeEbEEZZNS1_14partition_implILS8_3ELb0ES6_jNS0_17counting_iteratorIjlEEPS9_SE_NS0_5tupleIJPjSE_EEENSF_IJSE_SE_EEES9_SG_JZNS1_25segmented_radix_sort_implINS0_14default_configELb0EPKlPlSM_SN_N2at6native12_GLOBAL__N_18offset_tEEE10hipError_tPvRmT1_PNSt15iterator_traitsISV_E10value_typeET2_T3_PNSW_IS11_E10value_typeET4_jRbjT5_S17_jjP12ihipStream_tbEUljE_EEESS_ST_SU_S11_S15_S17_T6_T7_T9_mT8_S19_bDpT10_ENKUlT_T0_E_clISt17integral_constantIbLb0EES1L_IbLb1EEEEDaS1H_S1I_EUlS1H_E_NS1_11comp_targetILNS1_3genE3ELNS1_11target_archE908ELNS1_3gpuE7ELNS1_3repE0EEENS1_30default_config_static_selectorELNS0_4arch9wavefront6targetE1EEEvSV_.has_dyn_sized_stack, 0
	.set _ZN7rocprim17ROCPRIM_400000_NS6detail17trampoline_kernelINS0_13select_configILj256ELj13ELNS0_17block_load_methodE3ELS4_3ELS4_3ELNS0_20block_scan_algorithmE0ELj4294967295EEENS1_25partition_config_selectorILNS1_17partition_subalgoE3EjNS0_10empty_typeEbEEZZNS1_14partition_implILS8_3ELb0ES6_jNS0_17counting_iteratorIjlEEPS9_SE_NS0_5tupleIJPjSE_EEENSF_IJSE_SE_EEES9_SG_JZNS1_25segmented_radix_sort_implINS0_14default_configELb0EPKlPlSM_SN_N2at6native12_GLOBAL__N_18offset_tEEE10hipError_tPvRmT1_PNSt15iterator_traitsISV_E10value_typeET2_T3_PNSW_IS11_E10value_typeET4_jRbjT5_S17_jjP12ihipStream_tbEUljE_EEESS_ST_SU_S11_S15_S17_T6_T7_T9_mT8_S19_bDpT10_ENKUlT_T0_E_clISt17integral_constantIbLb0EES1L_IbLb1EEEEDaS1H_S1I_EUlS1H_E_NS1_11comp_targetILNS1_3genE3ELNS1_11target_archE908ELNS1_3gpuE7ELNS1_3repE0EEENS1_30default_config_static_selectorELNS0_4arch9wavefront6targetE1EEEvSV_.has_recursion, 0
	.set _ZN7rocprim17ROCPRIM_400000_NS6detail17trampoline_kernelINS0_13select_configILj256ELj13ELNS0_17block_load_methodE3ELS4_3ELS4_3ELNS0_20block_scan_algorithmE0ELj4294967295EEENS1_25partition_config_selectorILNS1_17partition_subalgoE3EjNS0_10empty_typeEbEEZZNS1_14partition_implILS8_3ELb0ES6_jNS0_17counting_iteratorIjlEEPS9_SE_NS0_5tupleIJPjSE_EEENSF_IJSE_SE_EEES9_SG_JZNS1_25segmented_radix_sort_implINS0_14default_configELb0EPKlPlSM_SN_N2at6native12_GLOBAL__N_18offset_tEEE10hipError_tPvRmT1_PNSt15iterator_traitsISV_E10value_typeET2_T3_PNSW_IS11_E10value_typeET4_jRbjT5_S17_jjP12ihipStream_tbEUljE_EEESS_ST_SU_S11_S15_S17_T6_T7_T9_mT8_S19_bDpT10_ENKUlT_T0_E_clISt17integral_constantIbLb0EES1L_IbLb1EEEEDaS1H_S1I_EUlS1H_E_NS1_11comp_targetILNS1_3genE3ELNS1_11target_archE908ELNS1_3gpuE7ELNS1_3repE0EEENS1_30default_config_static_selectorELNS0_4arch9wavefront6targetE1EEEvSV_.has_indirect_call, 0
	.section	.AMDGPU.csdata,"",@progbits
; Kernel info:
; codeLenInByte = 0
; TotalNumSgprs: 4
; NumVgprs: 0
; ScratchSize: 0
; MemoryBound: 0
; FloatMode: 240
; IeeeMode: 1
; LDSByteSize: 0 bytes/workgroup (compile time only)
; SGPRBlocks: 0
; VGPRBlocks: 0
; NumSGPRsForWavesPerEU: 4
; NumVGPRsForWavesPerEU: 1
; Occupancy: 10
; WaveLimiterHint : 0
; COMPUTE_PGM_RSRC2:SCRATCH_EN: 0
; COMPUTE_PGM_RSRC2:USER_SGPR: 6
; COMPUTE_PGM_RSRC2:TRAP_HANDLER: 0
; COMPUTE_PGM_RSRC2:TGID_X_EN: 1
; COMPUTE_PGM_RSRC2:TGID_Y_EN: 0
; COMPUTE_PGM_RSRC2:TGID_Z_EN: 0
; COMPUTE_PGM_RSRC2:TIDIG_COMP_CNT: 0
	.section	.text._ZN7rocprim17ROCPRIM_400000_NS6detail17trampoline_kernelINS0_13select_configILj256ELj13ELNS0_17block_load_methodE3ELS4_3ELS4_3ELNS0_20block_scan_algorithmE0ELj4294967295EEENS1_25partition_config_selectorILNS1_17partition_subalgoE3EjNS0_10empty_typeEbEEZZNS1_14partition_implILS8_3ELb0ES6_jNS0_17counting_iteratorIjlEEPS9_SE_NS0_5tupleIJPjSE_EEENSF_IJSE_SE_EEES9_SG_JZNS1_25segmented_radix_sort_implINS0_14default_configELb0EPKlPlSM_SN_N2at6native12_GLOBAL__N_18offset_tEEE10hipError_tPvRmT1_PNSt15iterator_traitsISV_E10value_typeET2_T3_PNSW_IS11_E10value_typeET4_jRbjT5_S17_jjP12ihipStream_tbEUljE_EEESS_ST_SU_S11_S15_S17_T6_T7_T9_mT8_S19_bDpT10_ENKUlT_T0_E_clISt17integral_constantIbLb0EES1L_IbLb1EEEEDaS1H_S1I_EUlS1H_E_NS1_11comp_targetILNS1_3genE2ELNS1_11target_archE906ELNS1_3gpuE6ELNS1_3repE0EEENS1_30default_config_static_selectorELNS0_4arch9wavefront6targetE1EEEvSV_,"axG",@progbits,_ZN7rocprim17ROCPRIM_400000_NS6detail17trampoline_kernelINS0_13select_configILj256ELj13ELNS0_17block_load_methodE3ELS4_3ELS4_3ELNS0_20block_scan_algorithmE0ELj4294967295EEENS1_25partition_config_selectorILNS1_17partition_subalgoE3EjNS0_10empty_typeEbEEZZNS1_14partition_implILS8_3ELb0ES6_jNS0_17counting_iteratorIjlEEPS9_SE_NS0_5tupleIJPjSE_EEENSF_IJSE_SE_EEES9_SG_JZNS1_25segmented_radix_sort_implINS0_14default_configELb0EPKlPlSM_SN_N2at6native12_GLOBAL__N_18offset_tEEE10hipError_tPvRmT1_PNSt15iterator_traitsISV_E10value_typeET2_T3_PNSW_IS11_E10value_typeET4_jRbjT5_S17_jjP12ihipStream_tbEUljE_EEESS_ST_SU_S11_S15_S17_T6_T7_T9_mT8_S19_bDpT10_ENKUlT_T0_E_clISt17integral_constantIbLb0EES1L_IbLb1EEEEDaS1H_S1I_EUlS1H_E_NS1_11comp_targetILNS1_3genE2ELNS1_11target_archE906ELNS1_3gpuE6ELNS1_3repE0EEENS1_30default_config_static_selectorELNS0_4arch9wavefront6targetE1EEEvSV_,comdat
	.globl	_ZN7rocprim17ROCPRIM_400000_NS6detail17trampoline_kernelINS0_13select_configILj256ELj13ELNS0_17block_load_methodE3ELS4_3ELS4_3ELNS0_20block_scan_algorithmE0ELj4294967295EEENS1_25partition_config_selectorILNS1_17partition_subalgoE3EjNS0_10empty_typeEbEEZZNS1_14partition_implILS8_3ELb0ES6_jNS0_17counting_iteratorIjlEEPS9_SE_NS0_5tupleIJPjSE_EEENSF_IJSE_SE_EEES9_SG_JZNS1_25segmented_radix_sort_implINS0_14default_configELb0EPKlPlSM_SN_N2at6native12_GLOBAL__N_18offset_tEEE10hipError_tPvRmT1_PNSt15iterator_traitsISV_E10value_typeET2_T3_PNSW_IS11_E10value_typeET4_jRbjT5_S17_jjP12ihipStream_tbEUljE_EEESS_ST_SU_S11_S15_S17_T6_T7_T9_mT8_S19_bDpT10_ENKUlT_T0_E_clISt17integral_constantIbLb0EES1L_IbLb1EEEEDaS1H_S1I_EUlS1H_E_NS1_11comp_targetILNS1_3genE2ELNS1_11target_archE906ELNS1_3gpuE6ELNS1_3repE0EEENS1_30default_config_static_selectorELNS0_4arch9wavefront6targetE1EEEvSV_ ; -- Begin function _ZN7rocprim17ROCPRIM_400000_NS6detail17trampoline_kernelINS0_13select_configILj256ELj13ELNS0_17block_load_methodE3ELS4_3ELS4_3ELNS0_20block_scan_algorithmE0ELj4294967295EEENS1_25partition_config_selectorILNS1_17partition_subalgoE3EjNS0_10empty_typeEbEEZZNS1_14partition_implILS8_3ELb0ES6_jNS0_17counting_iteratorIjlEEPS9_SE_NS0_5tupleIJPjSE_EEENSF_IJSE_SE_EEES9_SG_JZNS1_25segmented_radix_sort_implINS0_14default_configELb0EPKlPlSM_SN_N2at6native12_GLOBAL__N_18offset_tEEE10hipError_tPvRmT1_PNSt15iterator_traitsISV_E10value_typeET2_T3_PNSW_IS11_E10value_typeET4_jRbjT5_S17_jjP12ihipStream_tbEUljE_EEESS_ST_SU_S11_S15_S17_T6_T7_T9_mT8_S19_bDpT10_ENKUlT_T0_E_clISt17integral_constantIbLb0EES1L_IbLb1EEEEDaS1H_S1I_EUlS1H_E_NS1_11comp_targetILNS1_3genE2ELNS1_11target_archE906ELNS1_3gpuE6ELNS1_3repE0EEENS1_30default_config_static_selectorELNS0_4arch9wavefront6targetE1EEEvSV_
	.p2align	8
	.type	_ZN7rocprim17ROCPRIM_400000_NS6detail17trampoline_kernelINS0_13select_configILj256ELj13ELNS0_17block_load_methodE3ELS4_3ELS4_3ELNS0_20block_scan_algorithmE0ELj4294967295EEENS1_25partition_config_selectorILNS1_17partition_subalgoE3EjNS0_10empty_typeEbEEZZNS1_14partition_implILS8_3ELb0ES6_jNS0_17counting_iteratorIjlEEPS9_SE_NS0_5tupleIJPjSE_EEENSF_IJSE_SE_EEES9_SG_JZNS1_25segmented_radix_sort_implINS0_14default_configELb0EPKlPlSM_SN_N2at6native12_GLOBAL__N_18offset_tEEE10hipError_tPvRmT1_PNSt15iterator_traitsISV_E10value_typeET2_T3_PNSW_IS11_E10value_typeET4_jRbjT5_S17_jjP12ihipStream_tbEUljE_EEESS_ST_SU_S11_S15_S17_T6_T7_T9_mT8_S19_bDpT10_ENKUlT_T0_E_clISt17integral_constantIbLb0EES1L_IbLb1EEEEDaS1H_S1I_EUlS1H_E_NS1_11comp_targetILNS1_3genE2ELNS1_11target_archE906ELNS1_3gpuE6ELNS1_3repE0EEENS1_30default_config_static_selectorELNS0_4arch9wavefront6targetE1EEEvSV_,@function
_ZN7rocprim17ROCPRIM_400000_NS6detail17trampoline_kernelINS0_13select_configILj256ELj13ELNS0_17block_load_methodE3ELS4_3ELS4_3ELNS0_20block_scan_algorithmE0ELj4294967295EEENS1_25partition_config_selectorILNS1_17partition_subalgoE3EjNS0_10empty_typeEbEEZZNS1_14partition_implILS8_3ELb0ES6_jNS0_17counting_iteratorIjlEEPS9_SE_NS0_5tupleIJPjSE_EEENSF_IJSE_SE_EEES9_SG_JZNS1_25segmented_radix_sort_implINS0_14default_configELb0EPKlPlSM_SN_N2at6native12_GLOBAL__N_18offset_tEEE10hipError_tPvRmT1_PNSt15iterator_traitsISV_E10value_typeET2_T3_PNSW_IS11_E10value_typeET4_jRbjT5_S17_jjP12ihipStream_tbEUljE_EEESS_ST_SU_S11_S15_S17_T6_T7_T9_mT8_S19_bDpT10_ENKUlT_T0_E_clISt17integral_constantIbLb0EES1L_IbLb1EEEEDaS1H_S1I_EUlS1H_E_NS1_11comp_targetILNS1_3genE2ELNS1_11target_archE906ELNS1_3gpuE6ELNS1_3repE0EEENS1_30default_config_static_selectorELNS0_4arch9wavefront6targetE1EEEvSV_: ; @_ZN7rocprim17ROCPRIM_400000_NS6detail17trampoline_kernelINS0_13select_configILj256ELj13ELNS0_17block_load_methodE3ELS4_3ELS4_3ELNS0_20block_scan_algorithmE0ELj4294967295EEENS1_25partition_config_selectorILNS1_17partition_subalgoE3EjNS0_10empty_typeEbEEZZNS1_14partition_implILS8_3ELb0ES6_jNS0_17counting_iteratorIjlEEPS9_SE_NS0_5tupleIJPjSE_EEENSF_IJSE_SE_EEES9_SG_JZNS1_25segmented_radix_sort_implINS0_14default_configELb0EPKlPlSM_SN_N2at6native12_GLOBAL__N_18offset_tEEE10hipError_tPvRmT1_PNSt15iterator_traitsISV_E10value_typeET2_T3_PNSW_IS11_E10value_typeET4_jRbjT5_S17_jjP12ihipStream_tbEUljE_EEESS_ST_SU_S11_S15_S17_T6_T7_T9_mT8_S19_bDpT10_ENKUlT_T0_E_clISt17integral_constantIbLb0EES1L_IbLb1EEEEDaS1H_S1I_EUlS1H_E_NS1_11comp_targetILNS1_3genE2ELNS1_11target_archE906ELNS1_3gpuE6ELNS1_3repE0EEENS1_30default_config_static_selectorELNS0_4arch9wavefront6targetE1EEEvSV_
; %bb.0:
	s_load_dwordx2 s[28:29], s[4:5], 0x10
	s_load_dwordx2 s[22:23], s[4:5], 0x28
	;; [unrolled: 1-line block ×3, first 2 shown]
	s_load_dwordx4 s[24:27], s[4:5], 0x48
	s_load_dword s14, s[4:5], 0x90
	s_load_dwordx2 s[34:35], s[4:5], 0x68
	s_load_dwordx4 s[8:11], s[4:5], 0x80
	v_cmp_eq_u32_e64 s[0:1], 0, v0
	s_and_saveexec_b64 s[2:3], s[0:1]
	s_cbranch_execz .LBB803_4
; %bb.1:
	s_mov_b64 s[12:13], exec
	v_mbcnt_lo_u32_b32 v1, s12, 0
	v_mbcnt_hi_u32_b32 v1, s13, v1
	v_cmp_eq_u32_e32 vcc, 0, v1
                                        ; implicit-def: $vgpr2
	s_and_saveexec_b64 s[6:7], vcc
	s_cbranch_execz .LBB803_3
; %bb.2:
	s_load_dwordx2 s[16:17], s[4:5], 0x78
	s_bcnt1_i32_b64 s12, s[12:13]
	v_mov_b32_e32 v2, 0
	v_mov_b32_e32 v3, s12
	s_waitcnt lgkmcnt(0)
	global_atomic_add v2, v2, v3, s[16:17] glc
.LBB803_3:
	s_or_b64 exec, exec, s[6:7]
	s_waitcnt vmcnt(0)
	v_readfirstlane_b32 s6, v2
	v_add_u32_e32 v1, s6, v1
	v_mov_b32_e32 v2, 0
	ds_write_b32 v2, v1
.LBB803_4:
	s_or_b64 exec, exec, s[2:3]
	v_mov_b32_e32 v1, 0
	s_load_dword s6, s[4:5], 0x8
	s_load_dword s2, s[4:5], 0x70
	s_waitcnt lgkmcnt(0)
	s_barrier
	ds_read_b32 v5, v1
	s_waitcnt lgkmcnt(0)
	s_barrier
	global_load_dwordx2 v[3:4], v1, s[26:27]
	s_add_i32 s4, s2, -1
	s_mulk_i32 s2, 0xd00
	s_add_i32 s3, s2, s28
	s_sub_i32 s33, s30, s3
	s_add_i32 s6, s6, s28
	s_addk_i32 s33, 0xd00
	s_add_u32 s2, s28, s2
	s_addc_u32 s3, s29, 0
	v_mov_b32_e32 v1, s2
	v_mov_b32_e32 v2, s3
	v_readfirstlane_b32 s43, v5
	v_cmp_gt_u64_e32 vcc, s[30:31], v[1:2]
	s_cmp_eq_u32 s43, s4
	v_cmp_ne_u32_e64 s[2:3], s4, v5
	s_cselect_b64 s[26:27], -1, 0
	s_or_b64 s[4:5], vcc, s[2:3]
	s_mul_i32 s42, s43, 0xd00
	s_mov_b64 s[2:3], -1
	s_and_b64 vcc, exec, s[4:5]
	v_lshlrev_b32_e32 v25, 2, v0
	s_cbranch_vccz .LBB803_6
; %bb.5:
	s_add_i32 s2, s42, s6
	v_add_u32_e32 v1, s2, v0
	v_add_u32_e32 v2, 0x100, v1
	;; [unrolled: 1-line block ×13, first 2 shown]
	ds_write2st64_b32 v25, v1, v2 offset1:4
	ds_write2st64_b32 v25, v5, v6 offset0:8 offset1:12
	ds_write2st64_b32 v25, v7, v8 offset0:16 offset1:20
	;; [unrolled: 1-line block ×5, first 2 shown]
	ds_write_b32 v25, v15 offset:12288
	s_waitcnt vmcnt(0) lgkmcnt(0)
	s_barrier
	s_mov_b64 s[2:3], 0
.LBB803_6:
	s_andn2_b64 vcc, exec, s[2:3]
	v_cmp_gt_u32_e64 s[2:3], s33, v0
	s_cbranch_vccnz .LBB803_8
; %bb.7:
	s_add_i32 s6, s42, s6
	v_or_b32_e32 v2, 0x100, v0
	v_add_u32_e32 v5, s6, v2
	v_cmp_gt_u32_e32 vcc, s33, v2
	v_cndmask_b32_e32 v2, 0, v5, vcc
	v_or_b32_e32 v5, 0x200, v0
	v_add_u32_e32 v6, s6, v5
	v_cmp_gt_u32_e32 vcc, s33, v5
	v_cndmask_b32_e32 v5, 0, v6, vcc
	;; [unrolled: 4-line block ×10, first 2 shown]
	v_or_b32_e32 v14, 0xb00, v0
	v_add_u32_e32 v15, s6, v14
	v_cmp_gt_u32_e32 vcc, s33, v14
	v_add_u32_e32 v1, s6, v0
	v_cndmask_b32_e32 v14, 0, v15, vcc
	v_or_b32_e32 v15, 0xc00, v0
	v_cndmask_b32_e64 v1, 0, v1, s[2:3]
	v_add_u32_e32 v16, s6, v15
	v_cmp_gt_u32_e32 vcc, s33, v15
	v_cndmask_b32_e32 v15, 0, v16, vcc
	ds_write2st64_b32 v25, v1, v2 offset1:4
	ds_write2st64_b32 v25, v5, v6 offset0:8 offset1:12
	ds_write2st64_b32 v25, v7, v8 offset0:16 offset1:20
	;; [unrolled: 1-line block ×5, first 2 shown]
	ds_write_b32 v25, v15 offset:12288
	s_waitcnt vmcnt(0) lgkmcnt(0)
	s_barrier
.LBB803_8:
	v_mul_u32_u24_e32 v27, 13, v0
	v_lshlrev_b32_e32 v1, 2, v27
	ds_read2_b32 v[15:16], v1 offset1:1
	ds_read2_b32 v[13:14], v1 offset0:2 offset1:3
	ds_read2_b32 v[11:12], v1 offset0:4 offset1:5
	;; [unrolled: 1-line block ×5, first 2 shown]
	ds_read_b32 v26, v1 offset:48
	v_cndmask_b32_e64 v1, 0, 1, s[4:5]
	v_cmp_ne_u32_e64 s[2:3], 1, v1
	s_andn2_b64 vcc, exec, s[4:5]
	s_waitcnt vmcnt(0) lgkmcnt(0)
	s_barrier
	s_cbranch_vccnz .LBB803_10
; %bb.9:
	v_add_u32_e32 v1, s9, v15
	v_add_u32_e32 v2, s11, v15
	v_mul_lo_u32 v1, v1, s8
	v_mul_lo_u32 v2, v2, s10
	v_add_u32_e32 v17, s9, v13
	v_add_u32_e32 v18, s11, v13
	v_mul_lo_u32 v17, v17, s8
	v_sub_u32_e32 v1, v1, v2
	v_cmp_lt_u32_e32 vcc, s14, v1
	v_add_u32_e32 v1, s9, v16
	v_add_u32_e32 v2, s11, v16
	v_mul_lo_u32 v1, v1, s8
	v_mul_lo_u32 v2, v2, s10
	;; [unrolled: 1-line block ×3, first 2 shown]
	v_cndmask_b32_e64 v28, 0, 1, vcc
	v_sub_u32_e32 v1, v1, v2
	v_cmp_lt_u32_e32 vcc, s14, v1
	v_sub_u32_e32 v1, v17, v18
	v_cndmask_b32_e64 v29, 0, 1, vcc
	v_cmp_lt_u32_e32 vcc, s14, v1
	v_add_u32_e32 v1, s9, v14
	v_add_u32_e32 v2, s11, v14
	v_mul_lo_u32 v1, v1, s8
	v_mul_lo_u32 v2, v2, s10
	v_add_u32_e32 v17, s9, v11
	v_add_u32_e32 v18, s11, v11
	v_mul_lo_u32 v17, v17, s8
	v_mul_lo_u32 v18, v18, s10
	v_sub_u32_e32 v1, v1, v2
	v_cndmask_b32_e64 v30, 0, 1, vcc
	v_cmp_lt_u32_e32 vcc, s14, v1
	v_sub_u32_e32 v1, v17, v18
	v_cndmask_b32_e64 v31, 0, 1, vcc
	v_cmp_lt_u32_e32 vcc, s14, v1
	v_add_u32_e32 v1, s9, v12
	v_add_u32_e32 v2, s11, v12
	v_mul_lo_u32 v1, v1, s8
	v_mul_lo_u32 v2, v2, s10
	v_add_u32_e32 v17, s9, v9
	v_add_u32_e32 v18, s11, v9
	v_mul_lo_u32 v17, v17, s8
	v_mul_lo_u32 v18, v18, s10
	v_sub_u32_e32 v1, v1, v2
	v_cndmask_b32_e64 v32, 0, 1, vcc
	v_cmp_lt_u32_e32 vcc, s14, v1
	v_sub_u32_e32 v1, v17, v18
	v_cndmask_b32_e64 v33, 0, 1, vcc
	v_cmp_lt_u32_e32 vcc, s14, v1
	v_add_u32_e32 v1, s9, v10
	v_add_u32_e32 v2, s11, v10
	v_mul_lo_u32 v1, v1, s8
	v_mul_lo_u32 v2, v2, s10
	v_add_u32_e32 v17, s9, v7
	v_add_u32_e32 v18, s11, v7
	v_mul_lo_u32 v17, v17, s8
	v_mul_lo_u32 v18, v18, s10
	v_sub_u32_e32 v1, v1, v2
	v_cndmask_b32_e64 v34, 0, 1, vcc
	v_cmp_lt_u32_e32 vcc, s14, v1
	v_sub_u32_e32 v1, v17, v18
	v_cndmask_b32_e64 v35, 0, 1, vcc
	v_cmp_lt_u32_e32 vcc, s14, v1
	v_add_u32_e32 v1, s9, v8
	v_add_u32_e32 v2, s11, v8
	v_mul_lo_u32 v1, v1, s8
	v_mul_lo_u32 v2, v2, s10
	v_add_u32_e32 v17, s9, v5
	v_add_u32_e32 v18, s11, v5
	v_mul_lo_u32 v17, v17, s8
	v_mul_lo_u32 v18, v18, s10
	v_sub_u32_e32 v1, v1, v2
	v_cndmask_b32_e64 v36, 0, 1, vcc
	v_cmp_lt_u32_e32 vcc, s14, v1
	v_sub_u32_e32 v1, v17, v18
	v_cndmask_b32_e64 v37, 0, 1, vcc
	v_cmp_lt_u32_e32 vcc, s14, v1
	v_add_u32_e32 v1, s9, v6
	v_add_u32_e32 v2, s11, v6
	v_mul_lo_u32 v1, v1, s8
	v_mul_lo_u32 v2, v2, s10
	v_add_u32_e32 v17, s9, v26
	v_add_u32_e32 v18, s11, v26
	v_mul_lo_u32 v17, v17, s8
	v_mul_lo_u32 v18, v18, s10
	v_sub_u32_e32 v1, v1, v2
	v_cndmask_b32_e64 v38, 0, 1, vcc
	v_cmp_lt_u32_e32 vcc, s14, v1
	v_sub_u32_e32 v1, v17, v18
	v_cndmask_b32_e64 v39, 0, 1, vcc
	v_cmp_lt_u32_e64 s[36:37], s14, v1
	s_cbranch_execz .LBB803_11
	s_branch .LBB803_38
.LBB803_10:
                                        ; implicit-def: $sgpr36_sgpr37
                                        ; implicit-def: $vgpr39
                                        ; implicit-def: $vgpr38
                                        ; implicit-def: $vgpr37
                                        ; implicit-def: $vgpr36
                                        ; implicit-def: $vgpr35
                                        ; implicit-def: $vgpr34
                                        ; implicit-def: $vgpr33
                                        ; implicit-def: $vgpr32
                                        ; implicit-def: $vgpr28
                                        ; implicit-def: $vgpr29
                                        ; implicit-def: $vgpr30
                                        ; implicit-def: $vgpr31
.LBB803_11:
	v_cmp_gt_u32_e32 vcc, s33, v27
	v_mov_b32_e32 v29, 0
	v_mov_b32_e32 v28, 0
	s_and_saveexec_b64 s[4:5], vcc
	s_cbranch_execz .LBB803_13
; %bb.12:
	v_add_u32_e32 v1, s9, v15
	v_add_u32_e32 v2, s11, v15
	v_mul_lo_u32 v1, v1, s8
	v_mul_lo_u32 v2, v2, s10
	v_sub_u32_e32 v1, v1, v2
	v_cmp_lt_u32_e32 vcc, s14, v1
	v_cndmask_b32_e64 v28, 0, 1, vcc
.LBB803_13:
	s_or_b64 exec, exec, s[4:5]
	v_add_u32_e32 v1, 1, v27
	v_cmp_gt_u32_e32 vcc, s33, v1
	s_and_saveexec_b64 s[4:5], vcc
	s_cbranch_execz .LBB803_15
; %bb.14:
	v_add_u32_e32 v1, s9, v16
	v_add_u32_e32 v2, s11, v16
	v_mul_lo_u32 v1, v1, s8
	v_mul_lo_u32 v2, v2, s10
	v_sub_u32_e32 v1, v1, v2
	v_cmp_lt_u32_e32 vcc, s14, v1
	v_cndmask_b32_e64 v29, 0, 1, vcc
.LBB803_15:
	s_or_b64 exec, exec, s[4:5]
	v_add_u32_e32 v1, 2, v27
	v_cmp_gt_u32_e32 vcc, s33, v1
	v_mov_b32_e32 v31, 0
	v_mov_b32_e32 v30, 0
	s_and_saveexec_b64 s[4:5], vcc
	s_cbranch_execz .LBB803_17
; %bb.16:
	v_add_u32_e32 v1, s9, v13
	v_add_u32_e32 v2, s11, v13
	v_mul_lo_u32 v1, v1, s8
	v_mul_lo_u32 v2, v2, s10
	v_sub_u32_e32 v1, v1, v2
	v_cmp_lt_u32_e32 vcc, s14, v1
	v_cndmask_b32_e64 v30, 0, 1, vcc
.LBB803_17:
	s_or_b64 exec, exec, s[4:5]
	v_add_u32_e32 v1, 3, v27
	v_cmp_gt_u32_e32 vcc, s33, v1
	s_and_saveexec_b64 s[4:5], vcc
	s_cbranch_execz .LBB803_19
; %bb.18:
	v_add_u32_e32 v1, s9, v14
	v_add_u32_e32 v2, s11, v14
	v_mul_lo_u32 v1, v1, s8
	v_mul_lo_u32 v2, v2, s10
	v_sub_u32_e32 v1, v1, v2
	v_cmp_lt_u32_e32 vcc, s14, v1
	v_cndmask_b32_e64 v31, 0, 1, vcc
.LBB803_19:
	s_or_b64 exec, exec, s[4:5]
	v_add_u32_e32 v1, 4, v27
	;; [unrolled: 30-line block ×6, first 2 shown]
	v_cmp_gt_u32_e32 vcc, s33, v1
	s_mov_b64 s[36:37], 0
	s_and_saveexec_b64 s[4:5], vcc
	s_cbranch_execz .LBB803_37
; %bb.36:
	v_add_u32_e32 v1, s9, v26
	v_add_u32_e32 v2, s11, v26
	v_mul_lo_u32 v1, v1, s8
	v_mul_lo_u32 v2, v2, s10
	v_sub_u32_e32 v1, v1, v2
	v_cmp_lt_u32_e32 vcc, s14, v1
	s_and_b64 s[36:37], vcc, exec
.LBB803_37:
	s_or_b64 exec, exec, s[4:5]
.LBB803_38:
	v_and_b32_e32 v42, 0xff, v29
	v_and_b32_e32 v43, 0xff, v30
	;; [unrolled: 1-line block ×5, first 2 shown]
	v_add3_u32 v2, v43, v44, v42
	v_and_b32_e32 v46, 0xff, v33
	v_and_b32_e32 v47, 0xff, v34
	v_add3_u32 v2, v2, v41, v45
	v_and_b32_e32 v48, 0xff, v35
	v_and_b32_e32 v49, 0xff, v36
	;; [unrolled: 3-line block ×3, first 2 shown]
	v_add3_u32 v2, v2, v48, v49
	v_and_b32_e32 v40, 0xff, v39
	v_cndmask_b32_e64 v1, 0, 1, s[36:37]
	v_add3_u32 v2, v2, v50, v51
	v_add3_u32 v54, v2, v40, v1
	v_mbcnt_lo_u32_b32 v1, -1, 0
	v_mbcnt_hi_u32_b32 v52, -1, v1
	v_and_b32_e32 v1, 15, v52
	v_cmp_eq_u32_e64 s[16:17], 0, v1
	v_cmp_lt_u32_e64 s[14:15], 1, v1
	v_cmp_lt_u32_e64 s[12:13], 3, v1
	;; [unrolled: 1-line block ×3, first 2 shown]
	v_and_b32_e32 v1, 16, v52
	v_cmp_eq_u32_e64 s[8:9], 0, v1
	v_or_b32_e32 v1, 63, v0
	s_cmp_lg_u32 s43, 0
	v_cmp_lt_u32_e64 s[4:5], 31, v52
	v_lshrrev_b32_e32 v53, 6, v0
	v_cmp_eq_u32_e64 s[6:7], v0, v1
	s_cbranch_scc0 .LBB803_60
; %bb.39:
	v_mov_b32_dpp v1, v54 row_shr:1 row_mask:0xf bank_mask:0xf
	v_cndmask_b32_e64 v1, v1, 0, s[16:17]
	v_add_u32_e32 v1, v1, v54
	s_nop 1
	v_mov_b32_dpp v2, v1 row_shr:2 row_mask:0xf bank_mask:0xf
	v_cndmask_b32_e64 v2, 0, v2, s[14:15]
	v_add_u32_e32 v1, v1, v2
	s_nop 1
	;; [unrolled: 4-line block ×4, first 2 shown]
	v_mov_b32_dpp v2, v1 row_bcast:15 row_mask:0xf bank_mask:0xf
	v_cndmask_b32_e64 v2, v2, 0, s[8:9]
	v_add_u32_e32 v1, v1, v2
	s_nop 1
	v_mov_b32_dpp v2, v1 row_bcast:31 row_mask:0xf bank_mask:0xf
	v_cndmask_b32_e64 v2, 0, v2, s[4:5]
	v_add_u32_e32 v1, v1, v2
	s_and_saveexec_b64 s[18:19], s[6:7]
; %bb.40:
	v_lshlrev_b32_e32 v2, 2, v53
	ds_write_b32 v2, v1
; %bb.41:
	s_or_b64 exec, exec, s[18:19]
	v_cmp_gt_u32_e32 vcc, 4, v0
	s_waitcnt lgkmcnt(0)
	s_barrier
	s_and_saveexec_b64 s[18:19], vcc
	s_cbranch_execz .LBB803_43
; %bb.42:
	ds_read_b32 v2, v25
	v_and_b32_e32 v17, 3, v52
	v_cmp_ne_u32_e32 vcc, 0, v17
	s_waitcnt lgkmcnt(0)
	v_mov_b32_dpp v18, v2 row_shr:1 row_mask:0xf bank_mask:0xf
	v_cndmask_b32_e32 v18, 0, v18, vcc
	v_add_u32_e32 v2, v18, v2
	v_cmp_lt_u32_e32 vcc, 1, v17
	s_nop 0
	v_mov_b32_dpp v18, v2 row_shr:2 row_mask:0xf bank_mask:0xf
	v_cndmask_b32_e32 v17, 0, v18, vcc
	v_add_u32_e32 v2, v2, v17
	ds_write_b32 v25, v2
.LBB803_43:
	s_or_b64 exec, exec, s[18:19]
	v_cmp_gt_u32_e32 vcc, 64, v0
	v_cmp_lt_u32_e64 s[18:19], 63, v0
	s_waitcnt lgkmcnt(0)
	s_barrier
                                        ; implicit-def: $vgpr55
	s_and_saveexec_b64 s[20:21], s[18:19]
	s_cbranch_execz .LBB803_45
; %bb.44:
	v_lshl_add_u32 v2, v53, 2, -4
	ds_read_b32 v55, v2
	s_waitcnt lgkmcnt(0)
	v_add_u32_e32 v1, v55, v1
.LBB803_45:
	s_or_b64 exec, exec, s[20:21]
	v_subrev_co_u32_e64 v2, s[18:19], 1, v52
	v_and_b32_e32 v17, 64, v52
	v_cmp_lt_i32_e64 s[20:21], v2, v17
	v_cndmask_b32_e64 v2, v2, v52, s[20:21]
	v_lshlrev_b32_e32 v2, 2, v2
	ds_bpermute_b32 v56, v2, v1
	s_and_saveexec_b64 s[20:21], vcc
	s_cbranch_execz .LBB803_65
; %bb.46:
	v_mov_b32_e32 v21, 0
	ds_read_b32 v1, v21 offset:12
	s_and_saveexec_b64 s[38:39], s[18:19]
	s_cbranch_execz .LBB803_48
; %bb.47:
	s_add_i32 s40, s43, 64
	s_mov_b32 s41, 0
	s_lshl_b64 s[40:41], s[40:41], 3
	s_add_u32 s40, s34, s40
	v_mov_b32_e32 v2, 1
	s_addc_u32 s41, s35, s41
	s_waitcnt lgkmcnt(0)
	global_store_dwordx2 v21, v[1:2], s[40:41]
.LBB803_48:
	s_or_b64 exec, exec, s[38:39]
	v_xad_u32 v17, v52, -1, s43
	v_add_u32_e32 v20, 64, v17
	v_lshlrev_b64 v[18:19], 3, v[20:21]
	v_mov_b32_e32 v2, s35
	v_add_co_u32_e32 v22, vcc, s34, v18
	v_addc_co_u32_e32 v23, vcc, v2, v19, vcc
	global_load_dwordx2 v[19:20], v[22:23], off glc
	s_waitcnt vmcnt(0)
	v_cmp_eq_u16_sdwa s[40:41], v20, v21 src0_sel:BYTE_0 src1_sel:DWORD
	s_and_saveexec_b64 s[38:39], s[40:41]
	s_cbranch_execz .LBB803_52
; %bb.49:
	s_mov_b64 s[40:41], 0
	v_mov_b32_e32 v2, 0
.LBB803_50:                             ; =>This Inner Loop Header: Depth=1
	global_load_dwordx2 v[19:20], v[22:23], off glc
	s_waitcnt vmcnt(0)
	v_cmp_ne_u16_sdwa s[44:45], v20, v2 src0_sel:BYTE_0 src1_sel:DWORD
	s_or_b64 s[40:41], s[44:45], s[40:41]
	s_andn2_b64 exec, exec, s[40:41]
	s_cbranch_execnz .LBB803_50
; %bb.51:
	s_or_b64 exec, exec, s[40:41]
.LBB803_52:
	s_or_b64 exec, exec, s[38:39]
	v_and_b32_e32 v58, 63, v52
	v_mov_b32_e32 v57, 2
	v_lshlrev_b64 v[21:22], v52, -1
	v_cmp_ne_u32_e32 vcc, 63, v58
	v_cmp_eq_u16_sdwa s[38:39], v20, v57 src0_sel:BYTE_0 src1_sel:DWORD
	v_addc_co_u32_e32 v23, vcc, 0, v52, vcc
	v_and_b32_e32 v2, s39, v22
	v_lshlrev_b32_e32 v59, 2, v23
	v_or_b32_e32 v2, 0x80000000, v2
	ds_bpermute_b32 v23, v59, v19
	v_and_b32_e32 v18, s38, v21
	v_ffbl_b32_e32 v2, v2
	v_add_u32_e32 v2, 32, v2
	v_ffbl_b32_e32 v18, v18
	v_min_u32_e32 v2, v18, v2
	v_cmp_lt_u32_e32 vcc, v58, v2
	s_waitcnt lgkmcnt(0)
	v_cndmask_b32_e32 v18, 0, v23, vcc
	v_cmp_gt_u32_e32 vcc, 62, v58
	v_add_u32_e32 v18, v18, v19
	v_cndmask_b32_e64 v19, 0, 2, vcc
	v_add_lshl_u32 v60, v19, v52, 2
	ds_bpermute_b32 v19, v60, v18
	v_add_u32_e32 v61, 2, v58
	v_cmp_le_u32_e32 vcc, v61, v2
	v_add_u32_e32 v63, 4, v58
	v_add_u32_e32 v65, 8, v58
	s_waitcnt lgkmcnt(0)
	v_cndmask_b32_e32 v19, 0, v19, vcc
	v_cmp_gt_u32_e32 vcc, 60, v58
	v_add_u32_e32 v18, v18, v19
	v_cndmask_b32_e64 v19, 0, 4, vcc
	v_add_lshl_u32 v62, v19, v52, 2
	ds_bpermute_b32 v19, v62, v18
	v_cmp_le_u32_e32 vcc, v63, v2
	v_add_u32_e32 v67, 16, v58
	v_add_u32_e32 v69, 32, v58
	s_waitcnt lgkmcnt(0)
	v_cndmask_b32_e32 v19, 0, v19, vcc
	v_cmp_gt_u32_e32 vcc, 56, v58
	v_add_u32_e32 v18, v18, v19
	v_cndmask_b32_e64 v19, 0, 8, vcc
	v_add_lshl_u32 v64, v19, v52, 2
	ds_bpermute_b32 v19, v64, v18
	v_cmp_le_u32_e32 vcc, v65, v2
	s_waitcnt lgkmcnt(0)
	v_cndmask_b32_e32 v19, 0, v19, vcc
	v_cmp_gt_u32_e32 vcc, 48, v58
	v_add_u32_e32 v18, v18, v19
	v_cndmask_b32_e64 v19, 0, 16, vcc
	v_add_lshl_u32 v66, v19, v52, 2
	ds_bpermute_b32 v19, v66, v18
	v_cmp_le_u32_e32 vcc, v67, v2
	s_waitcnt lgkmcnt(0)
	v_cndmask_b32_e32 v19, 0, v19, vcc
	v_add_u32_e32 v18, v18, v19
	v_mov_b32_e32 v19, 0x80
	v_lshl_or_b32 v68, v52, 2, v19
	ds_bpermute_b32 v19, v68, v18
	v_cmp_le_u32_e32 vcc, v69, v2
	s_waitcnt lgkmcnt(0)
	v_cndmask_b32_e32 v2, 0, v19, vcc
	v_add_u32_e32 v19, v18, v2
	v_mov_b32_e32 v18, 0
	s_branch .LBB803_56
.LBB803_53:                             ;   in Loop: Header=BB803_56 Depth=1
	s_or_b64 exec, exec, s[40:41]
.LBB803_54:                             ;   in Loop: Header=BB803_56 Depth=1
	s_or_b64 exec, exec, s[38:39]
	v_cmp_eq_u16_sdwa s[38:39], v20, v57 src0_sel:BYTE_0 src1_sel:DWORD
	v_and_b32_e32 v23, s39, v22
	v_or_b32_e32 v23, 0x80000000, v23
	ds_bpermute_b32 v70, v59, v19
	v_and_b32_e32 v24, s38, v21
	v_ffbl_b32_e32 v23, v23
	v_add_u32_e32 v23, 32, v23
	v_ffbl_b32_e32 v24, v24
	v_min_u32_e32 v23, v24, v23
	v_cmp_lt_u32_e32 vcc, v58, v23
	s_waitcnt lgkmcnt(0)
	v_cndmask_b32_e32 v24, 0, v70, vcc
	v_add_u32_e32 v19, v24, v19
	ds_bpermute_b32 v24, v60, v19
	v_cmp_le_u32_e32 vcc, v61, v23
	v_subrev_u32_e32 v17, 64, v17
	s_mov_b64 s[38:39], 0
	s_waitcnt lgkmcnt(0)
	v_cndmask_b32_e32 v24, 0, v24, vcc
	v_add_u32_e32 v19, v19, v24
	ds_bpermute_b32 v24, v62, v19
	v_cmp_le_u32_e32 vcc, v63, v23
	s_waitcnt lgkmcnt(0)
	v_cndmask_b32_e32 v24, 0, v24, vcc
	v_add_u32_e32 v19, v19, v24
	ds_bpermute_b32 v24, v64, v19
	v_cmp_le_u32_e32 vcc, v65, v23
	;; [unrolled: 5-line block ×4, first 2 shown]
	s_waitcnt lgkmcnt(0)
	v_cndmask_b32_e32 v23, 0, v24, vcc
	v_add3_u32 v19, v23, v2, v19
.LBB803_55:                             ;   in Loop: Header=BB803_56 Depth=1
	s_and_b64 vcc, exec, s[38:39]
	s_cbranch_vccnz .LBB803_61
.LBB803_56:                             ; =>This Loop Header: Depth=1
                                        ;     Child Loop BB803_59 Depth 2
	v_cmp_ne_u16_sdwa s[38:39], v20, v57 src0_sel:BYTE_0 src1_sel:DWORD
	v_mov_b32_e32 v2, v19
	s_cmp_lg_u64 s[38:39], exec
	s_mov_b64 s[38:39], -1
                                        ; implicit-def: $vgpr19
                                        ; implicit-def: $vgpr20
	s_cbranch_scc1 .LBB803_55
; %bb.57:                               ;   in Loop: Header=BB803_56 Depth=1
	v_lshlrev_b64 v[19:20], 3, v[17:18]
	v_mov_b32_e32 v24, s35
	v_add_co_u32_e32 v23, vcc, s34, v19
	v_addc_co_u32_e32 v24, vcc, v24, v20, vcc
	global_load_dwordx2 v[19:20], v[23:24], off glc
	s_waitcnt vmcnt(0)
	v_cmp_eq_u16_sdwa s[40:41], v20, v18 src0_sel:BYTE_0 src1_sel:DWORD
	s_and_saveexec_b64 s[38:39], s[40:41]
	s_cbranch_execz .LBB803_54
; %bb.58:                               ;   in Loop: Header=BB803_56 Depth=1
	s_mov_b64 s[40:41], 0
.LBB803_59:                             ;   Parent Loop BB803_56 Depth=1
                                        ; =>  This Inner Loop Header: Depth=2
	global_load_dwordx2 v[19:20], v[23:24], off glc
	s_waitcnt vmcnt(0)
	v_cmp_ne_u16_sdwa s[44:45], v20, v18 src0_sel:BYTE_0 src1_sel:DWORD
	s_or_b64 s[40:41], s[44:45], s[40:41]
	s_andn2_b64 exec, exec, s[40:41]
	s_cbranch_execnz .LBB803_59
	s_branch .LBB803_53
.LBB803_60:
                                        ; implicit-def: $vgpr2
                                        ; implicit-def: $vgpr17
	s_cbranch_execnz .LBB803_66
	s_branch .LBB803_75
.LBB803_61:
	s_and_saveexec_b64 s[38:39], s[18:19]
	s_cbranch_execz .LBB803_63
; %bb.62:
	s_add_i32 s40, s43, 64
	s_mov_b32 s41, 0
	s_lshl_b64 s[40:41], s[40:41], 3
	s_add_u32 s40, s34, s40
	v_add_u32_e32 v17, v2, v1
	v_mov_b32_e32 v18, 2
	s_addc_u32 s41, s35, s41
	v_mov_b32_e32 v19, 0
	global_store_dwordx2 v19, v[17:18], s[40:41]
	ds_write_b64 v19, v[1:2] offset:13312
.LBB803_63:
	s_or_b64 exec, exec, s[38:39]
	s_and_b64 exec, exec, s[0:1]
; %bb.64:
	v_mov_b32_e32 v1, 0
	ds_write_b32 v1, v2 offset:12
.LBB803_65:
	s_or_b64 exec, exec, s[20:21]
	v_mov_b32_e32 v1, 0
	s_waitcnt vmcnt(0) lgkmcnt(0)
	s_barrier
	ds_read_b32 v17, v1 offset:12
	s_waitcnt lgkmcnt(0)
	s_barrier
	ds_read_b64 v[1:2], v1 offset:13312
	v_cndmask_b32_e64 v18, v56, v55, s[18:19]
	v_cndmask_b32_e64 v18, v18, 0, s[0:1]
	v_add_u32_e32 v17, v17, v18
	s_branch .LBB803_75
.LBB803_66:
	s_waitcnt lgkmcnt(0)
	v_mov_b32_dpp v1, v54 row_shr:1 row_mask:0xf bank_mask:0xf
	v_cndmask_b32_e64 v1, v1, 0, s[16:17]
	v_add_u32_e32 v1, v1, v54
	s_nop 1
	v_mov_b32_dpp v2, v1 row_shr:2 row_mask:0xf bank_mask:0xf
	v_cndmask_b32_e64 v2, 0, v2, s[14:15]
	v_add_u32_e32 v1, v1, v2
	s_nop 1
	;; [unrolled: 4-line block ×4, first 2 shown]
	v_mov_b32_dpp v2, v1 row_bcast:15 row_mask:0xf bank_mask:0xf
	v_cndmask_b32_e64 v2, v2, 0, s[8:9]
	v_add_u32_e32 v1, v1, v2
	s_nop 1
	v_mov_b32_dpp v2, v1 row_bcast:31 row_mask:0xf bank_mask:0xf
	v_cndmask_b32_e64 v2, 0, v2, s[4:5]
	v_add_u32_e32 v1, v1, v2
	s_and_saveexec_b64 s[4:5], s[6:7]
; %bb.67:
	v_lshlrev_b32_e32 v2, 2, v53
	ds_write_b32 v2, v1
; %bb.68:
	s_or_b64 exec, exec, s[4:5]
	v_cmp_gt_u32_e32 vcc, 4, v0
	s_waitcnt lgkmcnt(0)
	s_barrier
	s_and_saveexec_b64 s[4:5], vcc
	s_cbranch_execz .LBB803_70
; %bb.69:
	ds_read_b32 v2, v25
	v_and_b32_e32 v17, 3, v52
	v_cmp_ne_u32_e32 vcc, 0, v17
	s_waitcnt lgkmcnt(0)
	v_mov_b32_dpp v18, v2 row_shr:1 row_mask:0xf bank_mask:0xf
	v_cndmask_b32_e32 v18, 0, v18, vcc
	v_add_u32_e32 v2, v18, v2
	v_cmp_lt_u32_e32 vcc, 1, v17
	s_nop 0
	v_mov_b32_dpp v18, v2 row_shr:2 row_mask:0xf bank_mask:0xf
	v_cndmask_b32_e32 v17, 0, v18, vcc
	v_add_u32_e32 v2, v2, v17
	ds_write_b32 v25, v2
.LBB803_70:
	s_or_b64 exec, exec, s[4:5]
	v_cmp_lt_u32_e32 vcc, 63, v0
	v_mov_b32_e32 v2, 0
	v_mov_b32_e32 v17, 0
	s_waitcnt lgkmcnt(0)
	s_barrier
	s_and_saveexec_b64 s[4:5], vcc
; %bb.71:
	v_lshl_add_u32 v17, v53, 2, -4
	ds_read_b32 v17, v17
; %bb.72:
	s_or_b64 exec, exec, s[4:5]
	v_subrev_co_u32_e32 v18, vcc, 1, v52
	v_and_b32_e32 v19, 64, v52
	v_cmp_lt_i32_e64 s[4:5], v18, v19
	v_cndmask_b32_e64 v18, v18, v52, s[4:5]
	s_waitcnt lgkmcnt(0)
	v_add_u32_e32 v1, v17, v1
	v_lshlrev_b32_e32 v18, 2, v18
	ds_bpermute_b32 v18, v18, v1
	ds_read_b32 v1, v2 offset:12
	s_and_saveexec_b64 s[4:5], s[0:1]
	s_cbranch_execz .LBB803_74
; %bb.73:
	v_mov_b32_e32 v19, 0
	v_mov_b32_e32 v2, 2
	s_waitcnt lgkmcnt(0)
	global_store_dwordx2 v19, v[1:2], s[34:35] offset:512
.LBB803_74:
	s_or_b64 exec, exec, s[4:5]
	s_waitcnt lgkmcnt(1)
	v_cndmask_b32_e32 v2, v18, v17, vcc
	v_cndmask_b32_e64 v17, v2, 0, s[0:1]
	s_waitcnt vmcnt(0) lgkmcnt(0)
	s_barrier
	v_mov_b32_e32 v2, 0
.LBB803_75:
	v_add_u32_e32 v18, v17, v41
	v_add_u32_e32 v19, v18, v42
	;; [unrolled: 1-line block ×4, first 2 shown]
	s_waitcnt lgkmcnt(0)
	v_add_u32_e32 v27, v1, v27
	v_sub_u32_e32 v17, v17, v2
	v_and_b32_e32 v28, 1, v28
	v_add_u32_e32 v22, v21, v45
	v_sub_u32_e32 v45, v27, v17
	v_cmp_eq_u32_e32 vcc, 1, v28
	v_cndmask_b32_e32 v17, v45, v17, vcc
	v_lshlrev_b32_e32 v17, 2, v17
	ds_write_b32 v17, v15
	v_sub_u32_e32 v15, v18, v2
	v_sub_u32_e32 v17, v27, v15
	v_and_b32_e32 v18, 1, v29
	v_add_u32_e32 v17, 1, v17
	v_cmp_eq_u32_e32 vcc, 1, v18
	v_cndmask_b32_e32 v15, v17, v15, vcc
	v_lshlrev_b32_e32 v15, 2, v15
	ds_write_b32 v15, v16
	v_sub_u32_e32 v15, v19, v2
	v_sub_u32_e32 v16, v27, v15
	v_and_b32_e32 v17, 1, v30
	v_add_u32_e32 v16, 2, v16
	;; [unrolled: 8-line block ×5, first 2 shown]
	v_cmp_eq_u32_e32 vcc, 1, v14
	v_cndmask_b32_e32 v11, v13, v11, vcc
	v_add_u32_e32 v23, v22, v46
	v_lshlrev_b32_e32 v11, 2, v11
	ds_write_b32 v11, v12
	v_sub_u32_e32 v11, v23, v2
	v_sub_u32_e32 v12, v27, v11
	v_and_b32_e32 v13, 1, v34
	v_add_u32_e32 v12, 6, v12
	v_cmp_eq_u32_e32 vcc, 1, v13
	v_cndmask_b32_e32 v11, v12, v11, vcc
	v_add_u32_e32 v24, v23, v47
	v_lshlrev_b32_e32 v11, 2, v11
	ds_write_b32 v11, v9
	v_sub_u32_e32 v9, v24, v2
	v_sub_u32_e32 v11, v27, v9
	v_and_b32_e32 v12, 1, v35
	v_add_u32_e32 v11, 7, v11
	;; [unrolled: 9-line block ×6, first 2 shown]
	v_cmp_eq_u32_e32 vcc, 1, v8
	v_cndmask_b32_e32 v5, v7, v5, vcc
	v_lshlrev_b32_e32 v5, 2, v5
	ds_write_b32 v5, v6
	v_sub_u32_e32 v5, v40, v2
	v_add_u32_e32 v5, v44, v5
	v_sub_u32_e32 v6, v27, v5
	v_add_u32_e32 v6, 12, v6
	v_cndmask_b32_e64 v5, v6, v5, s[36:37]
	v_lshlrev_b32_e32 v5, 2, v5
	ds_write_b32 v5, v26
	s_waitcnt lgkmcnt(0)
	s_barrier
	ds_read2st64_b32 v[15:16], v25 offset1:4
	ds_read2st64_b32 v[13:14], v25 offset0:8 offset1:12
	ds_read2st64_b32 v[11:12], v25 offset0:16 offset1:20
	;; [unrolled: 1-line block ×5, first 2 shown]
	ds_read_b32 v18, v25 offset:12288
	s_and_b64 vcc, exec, s[2:3]
	v_add_co_u32_e64 v17, s[2:3], v3, v2
	v_or_b32_e32 v32, 0x100, v0
	v_or_b32_e32 v30, 0x200, v0
	;; [unrolled: 1-line block ×12, first 2 shown]
	v_addc_co_u32_e64 v4, s[2:3], 0, v4, s[2:3]
	s_cbranch_vccnz .LBB803_132
; %bb.76:
	v_mov_b32_e32 v2, s29
	v_subrev_co_u32_e32 v3, vcc, s28, v17
	s_sub_u32 s2, s30, s42
	v_subb_co_u32_e32 v2, vcc, v4, v2, vcc
	s_subb_u32 s3, s31, 0
	v_mov_b32_e32 v25, s3
	v_add_co_u32_e32 v31, vcc, s2, v1
	v_addc_co_u32_e32 v33, vcc, 0, v25, vcc
	v_add_co_u32_e32 v25, vcc, v31, v3
	v_addc_co_u32_e32 v31, vcc, v33, v2, vcc
	v_cmp_ge_u32_e32 vcc, v0, v1
                                        ; implicit-def: $vgpr2_vgpr3
	s_and_saveexec_b64 s[2:3], vcc
	s_xor_b64 s[2:3], exec, s[2:3]
; %bb.77:
	v_not_b32_e32 v2, v0
	v_ashrrev_i32_e32 v3, 31, v2
	v_add_co_u32_e32 v2, vcc, v25, v2
	v_addc_co_u32_e32 v3, vcc, v31, v3, vcc
; %bb.78:
	s_andn2_saveexec_b64 s[2:3], s[2:3]
; %bb.79:
	v_add_co_u32_e32 v2, vcc, v17, v0
	v_addc_co_u32_e32 v3, vcc, 0, v4, vcc
; %bb.80:
	s_or_b64 exec, exec, s[2:3]
	v_lshlrev_b64 v[2:3], 2, v[2:3]
	v_mov_b32_e32 v33, s23
	v_add_co_u32_e32 v2, vcc, s22, v2
	v_addc_co_u32_e32 v3, vcc, v33, v3, vcc
	v_cmp_ge_u32_e32 vcc, v32, v1
	s_waitcnt lgkmcnt(6)
	global_store_dword v[2:3], v15, off
                                        ; implicit-def: $vgpr2_vgpr3
	s_and_saveexec_b64 s[2:3], vcc
	s_xor_b64 s[2:3], exec, s[2:3]
; %bb.81:
	v_xor_b32_e32 v2, 0xfffffeff, v0
	v_ashrrev_i32_e32 v3, 31, v2
	v_add_co_u32_e32 v2, vcc, v25, v2
	v_addc_co_u32_e32 v3, vcc, v31, v3, vcc
; %bb.82:
	s_andn2_saveexec_b64 s[2:3], s[2:3]
; %bb.83:
	v_add_co_u32_e32 v2, vcc, v17, v32
	v_addc_co_u32_e32 v3, vcc, 0, v4, vcc
; %bb.84:
	s_or_b64 exec, exec, s[2:3]
	v_lshlrev_b64 v[2:3], 2, v[2:3]
	v_mov_b32_e32 v33, s23
	v_add_co_u32_e32 v2, vcc, s22, v2
	v_addc_co_u32_e32 v3, vcc, v33, v3, vcc
	v_cmp_ge_u32_e32 vcc, v30, v1
	global_store_dword v[2:3], v16, off
                                        ; implicit-def: $vgpr2_vgpr3
	s_and_saveexec_b64 s[2:3], vcc
	s_xor_b64 s[2:3], exec, s[2:3]
; %bb.85:
	v_xor_b32_e32 v2, 0xfffffdff, v0
	v_ashrrev_i32_e32 v3, 31, v2
	v_add_co_u32_e32 v2, vcc, v25, v2
	v_addc_co_u32_e32 v3, vcc, v31, v3, vcc
; %bb.86:
	s_andn2_saveexec_b64 s[2:3], s[2:3]
; %bb.87:
	v_add_co_u32_e32 v2, vcc, v17, v30
	v_addc_co_u32_e32 v3, vcc, 0, v4, vcc
; %bb.88:
	s_or_b64 exec, exec, s[2:3]
	v_lshlrev_b64 v[2:3], 2, v[2:3]
	v_mov_b32_e32 v33, s23
	v_add_co_u32_e32 v2, vcc, s22, v2
	v_addc_co_u32_e32 v3, vcc, v33, v3, vcc
	v_cmp_ge_u32_e32 vcc, v29, v1
	s_waitcnt lgkmcnt(5)
	global_store_dword v[2:3], v13, off
                                        ; implicit-def: $vgpr2_vgpr3
	s_and_saveexec_b64 s[2:3], vcc
	s_xor_b64 s[2:3], exec, s[2:3]
; %bb.89:
	v_xor_b32_e32 v2, 0xfffffcff, v0
	v_ashrrev_i32_e32 v3, 31, v2
	v_add_co_u32_e32 v2, vcc, v25, v2
	v_addc_co_u32_e32 v3, vcc, v31, v3, vcc
; %bb.90:
	s_andn2_saveexec_b64 s[2:3], s[2:3]
; %bb.91:
	v_add_co_u32_e32 v2, vcc, v17, v29
	v_addc_co_u32_e32 v3, vcc, 0, v4, vcc
; %bb.92:
	s_or_b64 exec, exec, s[2:3]
	v_lshlrev_b64 v[2:3], 2, v[2:3]
	v_mov_b32_e32 v33, s23
	v_add_co_u32_e32 v2, vcc, s22, v2
	v_addc_co_u32_e32 v3, vcc, v33, v3, vcc
	v_cmp_ge_u32_e32 vcc, v28, v1
	global_store_dword v[2:3], v14, off
                                        ; implicit-def: $vgpr2_vgpr3
	s_and_saveexec_b64 s[2:3], vcc
	s_xor_b64 s[2:3], exec, s[2:3]
; %bb.93:
	v_xor_b32_e32 v2, 0xfffffbff, v0
	;; [unrolled: 43-line block ×6, first 2 shown]
	v_ashrrev_i32_e32 v3, 31, v2
	v_add_co_u32_e32 v2, vcc, v25, v2
	v_addc_co_u32_e32 v3, vcc, v31, v3, vcc
; %bb.126:
	s_andn2_saveexec_b64 s[2:3], s[2:3]
; %bb.127:
	v_add_co_u32_e32 v2, vcc, v17, v19
	v_addc_co_u32_e32 v3, vcc, 0, v4, vcc
; %bb.128:
	s_or_b64 exec, exec, s[2:3]
	s_mov_b64 s[2:3], -1
.LBB803_129:
	s_and_saveexec_b64 s[4:5], s[2:3]
	s_cbranch_execz .LBB803_212
.LBB803_130:
	v_lshlrev_b64 v[2:3], 2, v[2:3]
	v_mov_b32_e32 v0, s23
	v_add_co_u32_e32 v2, vcc, s22, v2
	v_addc_co_u32_e32 v3, vcc, v0, v3, vcc
	s_waitcnt lgkmcnt(0)
	global_store_dword v[2:3], v18, off
	s_or_b64 exec, exec, s[4:5]
	s_and_b64 s[0:1], s[0:1], s[26:27]
	s_and_saveexec_b64 s[2:3], s[0:1]
	s_cbranch_execnz .LBB803_213
.LBB803_131:
	s_endpgm
.LBB803_132:
	s_mov_b64 s[2:3], 0
                                        ; implicit-def: $vgpr2_vgpr3
	s_cbranch_execz .LBB803_129
; %bb.133:
	s_add_u32 s4, s28, s42
	s_addc_u32 s5, s29, 0
	s_sub_u32 s4, s30, s4
	s_subb_u32 s5, s31, s5
	v_mov_b32_e32 v2, s5
	v_add_co_u32_e32 v3, vcc, s4, v1
	v_addc_co_u32_e32 v2, vcc, 0, v2, vcc
	v_add_co_u32_e32 v25, vcc, v3, v17
	v_addc_co_u32_e32 v31, vcc, v2, v4, vcc
	v_cmp_gt_u32_e32 vcc, s33, v0
	s_and_saveexec_b64 s[4:5], vcc
	s_cbranch_execz .LBB803_169
; %bb.134:
	v_cmp_ge_u32_e32 vcc, v0, v1
                                        ; implicit-def: $vgpr2_vgpr3
	s_and_saveexec_b64 s[6:7], vcc
	s_xor_b64 s[6:7], exec, s[6:7]
; %bb.135:
	v_not_b32_e32 v2, v0
	v_ashrrev_i32_e32 v3, 31, v2
	v_add_co_u32_e32 v2, vcc, v25, v2
	v_addc_co_u32_e32 v3, vcc, v31, v3, vcc
; %bb.136:
	s_andn2_saveexec_b64 s[6:7], s[6:7]
; %bb.137:
	v_add_co_u32_e32 v2, vcc, v17, v0
	v_addc_co_u32_e32 v3, vcc, 0, v4, vcc
; %bb.138:
	s_or_b64 exec, exec, s[6:7]
	v_lshlrev_b64 v[2:3], 2, v[2:3]
	v_mov_b32_e32 v33, s23
	v_add_co_u32_e32 v2, vcc, s22, v2
	v_addc_co_u32_e32 v3, vcc, v33, v3, vcc
	s_waitcnt lgkmcnt(6)
	global_store_dword v[2:3], v15, off
	s_or_b64 exec, exec, s[4:5]
	v_cmp_gt_u32_e32 vcc, s33, v32
	s_and_saveexec_b64 s[4:5], vcc
	s_cbranch_execnz .LBB803_170
.LBB803_139:
	s_or_b64 exec, exec, s[4:5]
	v_cmp_gt_u32_e32 vcc, s33, v30
	s_and_saveexec_b64 s[4:5], vcc
	s_cbranch_execz .LBB803_175
.LBB803_140:
	v_cmp_ge_u32_e32 vcc, v30, v1
                                        ; implicit-def: $vgpr2_vgpr3
	s_and_saveexec_b64 s[6:7], vcc
	s_xor_b64 s[6:7], exec, s[6:7]
; %bb.141:
	v_xor_b32_e32 v2, 0xfffffdff, v0
	v_ashrrev_i32_e32 v3, 31, v2
	v_add_co_u32_e32 v2, vcc, v25, v2
	v_addc_co_u32_e32 v3, vcc, v31, v3, vcc
                                        ; implicit-def: $vgpr30
; %bb.142:
	s_andn2_saveexec_b64 s[6:7], s[6:7]
; %bb.143:
	v_add_co_u32_e32 v2, vcc, v17, v30
	v_addc_co_u32_e32 v3, vcc, 0, v4, vcc
; %bb.144:
	s_or_b64 exec, exec, s[6:7]
	v_lshlrev_b64 v[2:3], 2, v[2:3]
	s_waitcnt lgkmcnt(6)
	v_mov_b32_e32 v15, s23
	v_add_co_u32_e32 v2, vcc, s22, v2
	v_addc_co_u32_e32 v3, vcc, v15, v3, vcc
	s_waitcnt lgkmcnt(5)
	global_store_dword v[2:3], v13, off
	s_or_b64 exec, exec, s[4:5]
	v_cmp_gt_u32_e32 vcc, s33, v29
	s_and_saveexec_b64 s[4:5], vcc
	s_cbranch_execnz .LBB803_176
.LBB803_145:
	s_or_b64 exec, exec, s[4:5]
	v_cmp_gt_u32_e32 vcc, s33, v28
	s_and_saveexec_b64 s[4:5], vcc
	s_cbranch_execz .LBB803_181
.LBB803_146:
	v_cmp_ge_u32_e32 vcc, v28, v1
                                        ; implicit-def: $vgpr2_vgpr3
	s_and_saveexec_b64 s[6:7], vcc
	s_xor_b64 s[6:7], exec, s[6:7]
; %bb.147:
	v_xor_b32_e32 v2, 0xfffffbff, v0
	v_ashrrev_i32_e32 v3, 31, v2
	v_add_co_u32_e32 v2, vcc, v25, v2
	v_addc_co_u32_e32 v3, vcc, v31, v3, vcc
                                        ; implicit-def: $vgpr28
; %bb.148:
	s_andn2_saveexec_b64 s[6:7], s[6:7]
; %bb.149:
	v_add_co_u32_e32 v2, vcc, v17, v28
	v_addc_co_u32_e32 v3, vcc, 0, v4, vcc
; %bb.150:
	s_or_b64 exec, exec, s[6:7]
	v_lshlrev_b64 v[2:3], 2, v[2:3]
	s_waitcnt lgkmcnt(5)
	v_mov_b32_e32 v13, s23
	v_add_co_u32_e32 v2, vcc, s22, v2
	v_addc_co_u32_e32 v3, vcc, v13, v3, vcc
	s_waitcnt lgkmcnt(4)
	global_store_dword v[2:3], v11, off
	s_or_b64 exec, exec, s[4:5]
	v_cmp_gt_u32_e32 vcc, s33, v27
	s_and_saveexec_b64 s[4:5], vcc
	s_cbranch_execnz .LBB803_182
.LBB803_151:
	s_or_b64 exec, exec, s[4:5]
	v_cmp_gt_u32_e32 vcc, s33, v26
	s_and_saveexec_b64 s[4:5], vcc
	s_cbranch_execz .LBB803_187
.LBB803_152:
	v_cmp_ge_u32_e32 vcc, v26, v1
                                        ; implicit-def: $vgpr2_vgpr3
	s_and_saveexec_b64 s[6:7], vcc
	s_xor_b64 s[6:7], exec, s[6:7]
; %bb.153:
	v_xor_b32_e32 v2, 0xfffff9ff, v0
	v_ashrrev_i32_e32 v3, 31, v2
	v_add_co_u32_e32 v2, vcc, v25, v2
	v_addc_co_u32_e32 v3, vcc, v31, v3, vcc
                                        ; implicit-def: $vgpr26
; %bb.154:
	s_andn2_saveexec_b64 s[6:7], s[6:7]
; %bb.155:
	v_add_co_u32_e32 v2, vcc, v17, v26
	v_addc_co_u32_e32 v3, vcc, 0, v4, vcc
; %bb.156:
	s_or_b64 exec, exec, s[6:7]
	v_lshlrev_b64 v[2:3], 2, v[2:3]
	s_waitcnt lgkmcnt(4)
	v_mov_b32_e32 v11, s23
	v_add_co_u32_e32 v2, vcc, s22, v2
	v_addc_co_u32_e32 v3, vcc, v11, v3, vcc
	s_waitcnt lgkmcnt(3)
	global_store_dword v[2:3], v9, off
	s_or_b64 exec, exec, s[4:5]
	v_cmp_gt_u32_e32 vcc, s33, v24
	s_and_saveexec_b64 s[4:5], vcc
	s_cbranch_execnz .LBB803_188
.LBB803_157:
	s_or_b64 exec, exec, s[4:5]
	v_cmp_gt_u32_e32 vcc, s33, v23
	s_and_saveexec_b64 s[4:5], vcc
	s_cbranch_execz .LBB803_193
.LBB803_158:
	v_cmp_ge_u32_e32 vcc, v23, v1
                                        ; implicit-def: $vgpr2_vgpr3
	s_and_saveexec_b64 s[6:7], vcc
	s_xor_b64 s[6:7], exec, s[6:7]
; %bb.159:
	v_xor_b32_e32 v2, 0xfffff7ff, v0
	v_ashrrev_i32_e32 v3, 31, v2
	v_add_co_u32_e32 v2, vcc, v25, v2
	v_addc_co_u32_e32 v3, vcc, v31, v3, vcc
                                        ; implicit-def: $vgpr23
; %bb.160:
	s_andn2_saveexec_b64 s[6:7], s[6:7]
; %bb.161:
	v_add_co_u32_e32 v2, vcc, v17, v23
	v_addc_co_u32_e32 v3, vcc, 0, v4, vcc
; %bb.162:
	s_or_b64 exec, exec, s[6:7]
	v_lshlrev_b64 v[2:3], 2, v[2:3]
	s_waitcnt lgkmcnt(3)
	v_mov_b32_e32 v9, s23
	v_add_co_u32_e32 v2, vcc, s22, v2
	v_addc_co_u32_e32 v3, vcc, v9, v3, vcc
	s_waitcnt lgkmcnt(2)
	global_store_dword v[2:3], v7, off
	s_or_b64 exec, exec, s[4:5]
	v_cmp_gt_u32_e32 vcc, s33, v22
	s_and_saveexec_b64 s[4:5], vcc
	s_cbranch_execnz .LBB803_194
.LBB803_163:
	s_or_b64 exec, exec, s[4:5]
	v_cmp_gt_u32_e32 vcc, s33, v21
	s_and_saveexec_b64 s[4:5], vcc
	s_cbranch_execz .LBB803_199
.LBB803_164:
	v_cmp_ge_u32_e32 vcc, v21, v1
                                        ; implicit-def: $vgpr2_vgpr3
	s_and_saveexec_b64 s[6:7], vcc
	s_xor_b64 s[6:7], exec, s[6:7]
; %bb.165:
	v_xor_b32_e32 v2, 0xfffff5ff, v0
	v_ashrrev_i32_e32 v3, 31, v2
	v_add_co_u32_e32 v2, vcc, v25, v2
	v_addc_co_u32_e32 v3, vcc, v31, v3, vcc
                                        ; implicit-def: $vgpr21
; %bb.166:
	s_andn2_saveexec_b64 s[6:7], s[6:7]
; %bb.167:
	v_add_co_u32_e32 v2, vcc, v17, v21
	v_addc_co_u32_e32 v3, vcc, 0, v4, vcc
; %bb.168:
	s_or_b64 exec, exec, s[6:7]
	v_lshlrev_b64 v[2:3], 2, v[2:3]
	s_waitcnt lgkmcnt(2)
	v_mov_b32_e32 v7, s23
	v_add_co_u32_e32 v2, vcc, s22, v2
	v_addc_co_u32_e32 v3, vcc, v7, v3, vcc
	s_waitcnt lgkmcnt(1)
	global_store_dword v[2:3], v5, off
	s_or_b64 exec, exec, s[4:5]
	v_cmp_gt_u32_e32 vcc, s33, v20
	s_and_saveexec_b64 s[4:5], vcc
	s_cbranch_execz .LBB803_205
	s_branch .LBB803_200
.LBB803_169:
	s_or_b64 exec, exec, s[4:5]
	v_cmp_gt_u32_e32 vcc, s33, v32
	s_and_saveexec_b64 s[4:5], vcc
	s_cbranch_execz .LBB803_139
.LBB803_170:
	v_cmp_ge_u32_e32 vcc, v32, v1
                                        ; implicit-def: $vgpr2_vgpr3
	s_and_saveexec_b64 s[6:7], vcc
	s_xor_b64 s[6:7], exec, s[6:7]
; %bb.171:
	v_xor_b32_e32 v2, 0xfffffeff, v0
	v_ashrrev_i32_e32 v3, 31, v2
	v_add_co_u32_e32 v2, vcc, v25, v2
	v_addc_co_u32_e32 v3, vcc, v31, v3, vcc
                                        ; implicit-def: $vgpr32
; %bb.172:
	s_andn2_saveexec_b64 s[6:7], s[6:7]
; %bb.173:
	v_add_co_u32_e32 v2, vcc, v17, v32
	v_addc_co_u32_e32 v3, vcc, 0, v4, vcc
; %bb.174:
	s_or_b64 exec, exec, s[6:7]
	v_lshlrev_b64 v[2:3], 2, v[2:3]
	s_waitcnt lgkmcnt(6)
	v_mov_b32_e32 v15, s23
	v_add_co_u32_e32 v2, vcc, s22, v2
	v_addc_co_u32_e32 v3, vcc, v15, v3, vcc
	global_store_dword v[2:3], v16, off
	s_or_b64 exec, exec, s[4:5]
	v_cmp_gt_u32_e32 vcc, s33, v30
	s_and_saveexec_b64 s[4:5], vcc
	s_cbranch_execnz .LBB803_140
.LBB803_175:
	s_or_b64 exec, exec, s[4:5]
	v_cmp_gt_u32_e32 vcc, s33, v29
	s_and_saveexec_b64 s[4:5], vcc
	s_cbranch_execz .LBB803_145
.LBB803_176:
	v_cmp_ge_u32_e32 vcc, v29, v1
                                        ; implicit-def: $vgpr2_vgpr3
	s_and_saveexec_b64 s[6:7], vcc
	s_xor_b64 s[6:7], exec, s[6:7]
; %bb.177:
	v_xor_b32_e32 v2, 0xfffffcff, v0
	v_ashrrev_i32_e32 v3, 31, v2
	v_add_co_u32_e32 v2, vcc, v25, v2
	v_addc_co_u32_e32 v3, vcc, v31, v3, vcc
                                        ; implicit-def: $vgpr29
; %bb.178:
	s_andn2_saveexec_b64 s[6:7], s[6:7]
; %bb.179:
	v_add_co_u32_e32 v2, vcc, v17, v29
	v_addc_co_u32_e32 v3, vcc, 0, v4, vcc
; %bb.180:
	s_or_b64 exec, exec, s[6:7]
	v_lshlrev_b64 v[2:3], 2, v[2:3]
	s_waitcnt lgkmcnt(5)
	v_mov_b32_e32 v13, s23
	v_add_co_u32_e32 v2, vcc, s22, v2
	v_addc_co_u32_e32 v3, vcc, v13, v3, vcc
	global_store_dword v[2:3], v14, off
	s_or_b64 exec, exec, s[4:5]
	v_cmp_gt_u32_e32 vcc, s33, v28
	s_and_saveexec_b64 s[4:5], vcc
	s_cbranch_execnz .LBB803_146
.LBB803_181:
	s_or_b64 exec, exec, s[4:5]
	v_cmp_gt_u32_e32 vcc, s33, v27
	s_and_saveexec_b64 s[4:5], vcc
	s_cbranch_execz .LBB803_151
.LBB803_182:
	v_cmp_ge_u32_e32 vcc, v27, v1
                                        ; implicit-def: $vgpr2_vgpr3
	s_and_saveexec_b64 s[6:7], vcc
	s_xor_b64 s[6:7], exec, s[6:7]
; %bb.183:
	v_xor_b32_e32 v2, 0xfffffaff, v0
	v_ashrrev_i32_e32 v3, 31, v2
	v_add_co_u32_e32 v2, vcc, v25, v2
	v_addc_co_u32_e32 v3, vcc, v31, v3, vcc
                                        ; implicit-def: $vgpr27
; %bb.184:
	s_andn2_saveexec_b64 s[6:7], s[6:7]
; %bb.185:
	v_add_co_u32_e32 v2, vcc, v17, v27
	v_addc_co_u32_e32 v3, vcc, 0, v4, vcc
; %bb.186:
	s_or_b64 exec, exec, s[6:7]
	v_lshlrev_b64 v[2:3], 2, v[2:3]
	s_waitcnt lgkmcnt(4)
	v_mov_b32_e32 v11, s23
	v_add_co_u32_e32 v2, vcc, s22, v2
	v_addc_co_u32_e32 v3, vcc, v11, v3, vcc
	global_store_dword v[2:3], v12, off
	s_or_b64 exec, exec, s[4:5]
	v_cmp_gt_u32_e32 vcc, s33, v26
	s_and_saveexec_b64 s[4:5], vcc
	s_cbranch_execnz .LBB803_152
.LBB803_187:
	s_or_b64 exec, exec, s[4:5]
	v_cmp_gt_u32_e32 vcc, s33, v24
	s_and_saveexec_b64 s[4:5], vcc
	s_cbranch_execz .LBB803_157
.LBB803_188:
	v_cmp_ge_u32_e32 vcc, v24, v1
                                        ; implicit-def: $vgpr2_vgpr3
	s_and_saveexec_b64 s[6:7], vcc
	s_xor_b64 s[6:7], exec, s[6:7]
; %bb.189:
	v_xor_b32_e32 v2, 0xfffff8ff, v0
	v_ashrrev_i32_e32 v3, 31, v2
	v_add_co_u32_e32 v2, vcc, v25, v2
	v_addc_co_u32_e32 v3, vcc, v31, v3, vcc
                                        ; implicit-def: $vgpr24
; %bb.190:
	s_andn2_saveexec_b64 s[6:7], s[6:7]
; %bb.191:
	v_add_co_u32_e32 v2, vcc, v17, v24
	v_addc_co_u32_e32 v3, vcc, 0, v4, vcc
; %bb.192:
	s_or_b64 exec, exec, s[6:7]
	v_lshlrev_b64 v[2:3], 2, v[2:3]
	s_waitcnt lgkmcnt(3)
	v_mov_b32_e32 v9, s23
	v_add_co_u32_e32 v2, vcc, s22, v2
	v_addc_co_u32_e32 v3, vcc, v9, v3, vcc
	global_store_dword v[2:3], v10, off
	s_or_b64 exec, exec, s[4:5]
	v_cmp_gt_u32_e32 vcc, s33, v23
	s_and_saveexec_b64 s[4:5], vcc
	s_cbranch_execnz .LBB803_158
.LBB803_193:
	s_or_b64 exec, exec, s[4:5]
	v_cmp_gt_u32_e32 vcc, s33, v22
	s_and_saveexec_b64 s[4:5], vcc
	s_cbranch_execz .LBB803_163
.LBB803_194:
	v_cmp_ge_u32_e32 vcc, v22, v1
                                        ; implicit-def: $vgpr2_vgpr3
	s_and_saveexec_b64 s[6:7], vcc
	s_xor_b64 s[6:7], exec, s[6:7]
; %bb.195:
	v_xor_b32_e32 v2, 0xfffff6ff, v0
	v_ashrrev_i32_e32 v3, 31, v2
	v_add_co_u32_e32 v2, vcc, v25, v2
	v_addc_co_u32_e32 v3, vcc, v31, v3, vcc
                                        ; implicit-def: $vgpr22
; %bb.196:
	s_andn2_saveexec_b64 s[6:7], s[6:7]
; %bb.197:
	v_add_co_u32_e32 v2, vcc, v17, v22
	v_addc_co_u32_e32 v3, vcc, 0, v4, vcc
; %bb.198:
	s_or_b64 exec, exec, s[6:7]
	v_lshlrev_b64 v[2:3], 2, v[2:3]
	s_waitcnt lgkmcnt(2)
	v_mov_b32_e32 v7, s23
	v_add_co_u32_e32 v2, vcc, s22, v2
	v_addc_co_u32_e32 v3, vcc, v7, v3, vcc
	global_store_dword v[2:3], v8, off
	s_or_b64 exec, exec, s[4:5]
	v_cmp_gt_u32_e32 vcc, s33, v21
	s_and_saveexec_b64 s[4:5], vcc
	s_cbranch_execnz .LBB803_164
.LBB803_199:
	s_or_b64 exec, exec, s[4:5]
	v_cmp_gt_u32_e32 vcc, s33, v20
	s_and_saveexec_b64 s[4:5], vcc
	s_cbranch_execz .LBB803_205
.LBB803_200:
	v_cmp_ge_u32_e32 vcc, v20, v1
                                        ; implicit-def: $vgpr2_vgpr3
	s_and_saveexec_b64 s[6:7], vcc
	s_xor_b64 s[6:7], exec, s[6:7]
; %bb.201:
	v_xor_b32_e32 v2, 0xfffff4ff, v0
	v_ashrrev_i32_e32 v3, 31, v2
	v_add_co_u32_e32 v2, vcc, v25, v2
	v_addc_co_u32_e32 v3, vcc, v31, v3, vcc
                                        ; implicit-def: $vgpr20
; %bb.202:
	s_andn2_saveexec_b64 s[6:7], s[6:7]
; %bb.203:
	v_add_co_u32_e32 v2, vcc, v17, v20
	v_addc_co_u32_e32 v3, vcc, 0, v4, vcc
; %bb.204:
	s_or_b64 exec, exec, s[6:7]
	v_lshlrev_b64 v[2:3], 2, v[2:3]
	s_waitcnt lgkmcnt(1)
	v_mov_b32_e32 v5, s23
	v_add_co_u32_e32 v2, vcc, s22, v2
	v_addc_co_u32_e32 v3, vcc, v5, v3, vcc
	global_store_dword v[2:3], v6, off
.LBB803_205:
	s_or_b64 exec, exec, s[4:5]
	v_cmp_gt_u32_e32 vcc, s33, v19
                                        ; implicit-def: $vgpr2_vgpr3
	s_and_saveexec_b64 s[4:5], vcc
	s_cbranch_execz .LBB803_211
; %bb.206:
	v_cmp_ge_u32_e32 vcc, v19, v1
                                        ; implicit-def: $vgpr2_vgpr3
	s_and_saveexec_b64 s[6:7], vcc
	s_xor_b64 s[6:7], exec, s[6:7]
; %bb.207:
	v_xor_b32_e32 v0, 0xfffff3ff, v0
	v_ashrrev_i32_e32 v3, 31, v0
	v_add_co_u32_e32 v2, vcc, v25, v0
	v_addc_co_u32_e32 v3, vcc, v31, v3, vcc
                                        ; implicit-def: $vgpr19
; %bb.208:
	s_andn2_saveexec_b64 s[6:7], s[6:7]
; %bb.209:
	v_add_co_u32_e32 v2, vcc, v17, v19
	v_addc_co_u32_e32 v3, vcc, 0, v4, vcc
; %bb.210:
	s_or_b64 exec, exec, s[6:7]
	s_or_b64 s[2:3], s[2:3], exec
.LBB803_211:
	s_or_b64 exec, exec, s[4:5]
	s_and_saveexec_b64 s[4:5], s[2:3]
	s_cbranch_execnz .LBB803_130
.LBB803_212:
	s_or_b64 exec, exec, s[4:5]
	s_and_b64 s[0:1], s[0:1], s[26:27]
	s_and_saveexec_b64 s[2:3], s[0:1]
	s_cbranch_execz .LBB803_131
.LBB803_213:
	v_add_co_u32_e32 v0, vcc, v17, v1
	v_mov_b32_e32 v2, 0
	v_addc_co_u32_e32 v1, vcc, 0, v4, vcc
	global_store_dwordx2 v2, v[0:1], s[24:25]
	s_endpgm
	.section	.rodata,"a",@progbits
	.p2align	6, 0x0
	.amdhsa_kernel _ZN7rocprim17ROCPRIM_400000_NS6detail17trampoline_kernelINS0_13select_configILj256ELj13ELNS0_17block_load_methodE3ELS4_3ELS4_3ELNS0_20block_scan_algorithmE0ELj4294967295EEENS1_25partition_config_selectorILNS1_17partition_subalgoE3EjNS0_10empty_typeEbEEZZNS1_14partition_implILS8_3ELb0ES6_jNS0_17counting_iteratorIjlEEPS9_SE_NS0_5tupleIJPjSE_EEENSF_IJSE_SE_EEES9_SG_JZNS1_25segmented_radix_sort_implINS0_14default_configELb0EPKlPlSM_SN_N2at6native12_GLOBAL__N_18offset_tEEE10hipError_tPvRmT1_PNSt15iterator_traitsISV_E10value_typeET2_T3_PNSW_IS11_E10value_typeET4_jRbjT5_S17_jjP12ihipStream_tbEUljE_EEESS_ST_SU_S11_S15_S17_T6_T7_T9_mT8_S19_bDpT10_ENKUlT_T0_E_clISt17integral_constantIbLb0EES1L_IbLb1EEEEDaS1H_S1I_EUlS1H_E_NS1_11comp_targetILNS1_3genE2ELNS1_11target_archE906ELNS1_3gpuE6ELNS1_3repE0EEENS1_30default_config_static_selectorELNS0_4arch9wavefront6targetE1EEEvSV_
		.amdhsa_group_segment_fixed_size 13320
		.amdhsa_private_segment_fixed_size 0
		.amdhsa_kernarg_size 152
		.amdhsa_user_sgpr_count 6
		.amdhsa_user_sgpr_private_segment_buffer 1
		.amdhsa_user_sgpr_dispatch_ptr 0
		.amdhsa_user_sgpr_queue_ptr 0
		.amdhsa_user_sgpr_kernarg_segment_ptr 1
		.amdhsa_user_sgpr_dispatch_id 0
		.amdhsa_user_sgpr_flat_scratch_init 0
		.amdhsa_user_sgpr_private_segment_size 0
		.amdhsa_uses_dynamic_stack 0
		.amdhsa_system_sgpr_private_segment_wavefront_offset 0
		.amdhsa_system_sgpr_workgroup_id_x 1
		.amdhsa_system_sgpr_workgroup_id_y 0
		.amdhsa_system_sgpr_workgroup_id_z 0
		.amdhsa_system_sgpr_workgroup_info 0
		.amdhsa_system_vgpr_workitem_id 0
		.amdhsa_next_free_vgpr 71
		.amdhsa_next_free_sgpr 98
		.amdhsa_reserve_vcc 1
		.amdhsa_reserve_flat_scratch 0
		.amdhsa_float_round_mode_32 0
		.amdhsa_float_round_mode_16_64 0
		.amdhsa_float_denorm_mode_32 3
		.amdhsa_float_denorm_mode_16_64 3
		.amdhsa_dx10_clamp 1
		.amdhsa_ieee_mode 1
		.amdhsa_fp16_overflow 0
		.amdhsa_exception_fp_ieee_invalid_op 0
		.amdhsa_exception_fp_denorm_src 0
		.amdhsa_exception_fp_ieee_div_zero 0
		.amdhsa_exception_fp_ieee_overflow 0
		.amdhsa_exception_fp_ieee_underflow 0
		.amdhsa_exception_fp_ieee_inexact 0
		.amdhsa_exception_int_div_zero 0
	.end_amdhsa_kernel
	.section	.text._ZN7rocprim17ROCPRIM_400000_NS6detail17trampoline_kernelINS0_13select_configILj256ELj13ELNS0_17block_load_methodE3ELS4_3ELS4_3ELNS0_20block_scan_algorithmE0ELj4294967295EEENS1_25partition_config_selectorILNS1_17partition_subalgoE3EjNS0_10empty_typeEbEEZZNS1_14partition_implILS8_3ELb0ES6_jNS0_17counting_iteratorIjlEEPS9_SE_NS0_5tupleIJPjSE_EEENSF_IJSE_SE_EEES9_SG_JZNS1_25segmented_radix_sort_implINS0_14default_configELb0EPKlPlSM_SN_N2at6native12_GLOBAL__N_18offset_tEEE10hipError_tPvRmT1_PNSt15iterator_traitsISV_E10value_typeET2_T3_PNSW_IS11_E10value_typeET4_jRbjT5_S17_jjP12ihipStream_tbEUljE_EEESS_ST_SU_S11_S15_S17_T6_T7_T9_mT8_S19_bDpT10_ENKUlT_T0_E_clISt17integral_constantIbLb0EES1L_IbLb1EEEEDaS1H_S1I_EUlS1H_E_NS1_11comp_targetILNS1_3genE2ELNS1_11target_archE906ELNS1_3gpuE6ELNS1_3repE0EEENS1_30default_config_static_selectorELNS0_4arch9wavefront6targetE1EEEvSV_,"axG",@progbits,_ZN7rocprim17ROCPRIM_400000_NS6detail17trampoline_kernelINS0_13select_configILj256ELj13ELNS0_17block_load_methodE3ELS4_3ELS4_3ELNS0_20block_scan_algorithmE0ELj4294967295EEENS1_25partition_config_selectorILNS1_17partition_subalgoE3EjNS0_10empty_typeEbEEZZNS1_14partition_implILS8_3ELb0ES6_jNS0_17counting_iteratorIjlEEPS9_SE_NS0_5tupleIJPjSE_EEENSF_IJSE_SE_EEES9_SG_JZNS1_25segmented_radix_sort_implINS0_14default_configELb0EPKlPlSM_SN_N2at6native12_GLOBAL__N_18offset_tEEE10hipError_tPvRmT1_PNSt15iterator_traitsISV_E10value_typeET2_T3_PNSW_IS11_E10value_typeET4_jRbjT5_S17_jjP12ihipStream_tbEUljE_EEESS_ST_SU_S11_S15_S17_T6_T7_T9_mT8_S19_bDpT10_ENKUlT_T0_E_clISt17integral_constantIbLb0EES1L_IbLb1EEEEDaS1H_S1I_EUlS1H_E_NS1_11comp_targetILNS1_3genE2ELNS1_11target_archE906ELNS1_3gpuE6ELNS1_3repE0EEENS1_30default_config_static_selectorELNS0_4arch9wavefront6targetE1EEEvSV_,comdat
.Lfunc_end803:
	.size	_ZN7rocprim17ROCPRIM_400000_NS6detail17trampoline_kernelINS0_13select_configILj256ELj13ELNS0_17block_load_methodE3ELS4_3ELS4_3ELNS0_20block_scan_algorithmE0ELj4294967295EEENS1_25partition_config_selectorILNS1_17partition_subalgoE3EjNS0_10empty_typeEbEEZZNS1_14partition_implILS8_3ELb0ES6_jNS0_17counting_iteratorIjlEEPS9_SE_NS0_5tupleIJPjSE_EEENSF_IJSE_SE_EEES9_SG_JZNS1_25segmented_radix_sort_implINS0_14default_configELb0EPKlPlSM_SN_N2at6native12_GLOBAL__N_18offset_tEEE10hipError_tPvRmT1_PNSt15iterator_traitsISV_E10value_typeET2_T3_PNSW_IS11_E10value_typeET4_jRbjT5_S17_jjP12ihipStream_tbEUljE_EEESS_ST_SU_S11_S15_S17_T6_T7_T9_mT8_S19_bDpT10_ENKUlT_T0_E_clISt17integral_constantIbLb0EES1L_IbLb1EEEEDaS1H_S1I_EUlS1H_E_NS1_11comp_targetILNS1_3genE2ELNS1_11target_archE906ELNS1_3gpuE6ELNS1_3repE0EEENS1_30default_config_static_selectorELNS0_4arch9wavefront6targetE1EEEvSV_, .Lfunc_end803-_ZN7rocprim17ROCPRIM_400000_NS6detail17trampoline_kernelINS0_13select_configILj256ELj13ELNS0_17block_load_methodE3ELS4_3ELS4_3ELNS0_20block_scan_algorithmE0ELj4294967295EEENS1_25partition_config_selectorILNS1_17partition_subalgoE3EjNS0_10empty_typeEbEEZZNS1_14partition_implILS8_3ELb0ES6_jNS0_17counting_iteratorIjlEEPS9_SE_NS0_5tupleIJPjSE_EEENSF_IJSE_SE_EEES9_SG_JZNS1_25segmented_radix_sort_implINS0_14default_configELb0EPKlPlSM_SN_N2at6native12_GLOBAL__N_18offset_tEEE10hipError_tPvRmT1_PNSt15iterator_traitsISV_E10value_typeET2_T3_PNSW_IS11_E10value_typeET4_jRbjT5_S17_jjP12ihipStream_tbEUljE_EEESS_ST_SU_S11_S15_S17_T6_T7_T9_mT8_S19_bDpT10_ENKUlT_T0_E_clISt17integral_constantIbLb0EES1L_IbLb1EEEEDaS1H_S1I_EUlS1H_E_NS1_11comp_targetILNS1_3genE2ELNS1_11target_archE906ELNS1_3gpuE6ELNS1_3repE0EEENS1_30default_config_static_selectorELNS0_4arch9wavefront6targetE1EEEvSV_
                                        ; -- End function
	.set _ZN7rocprim17ROCPRIM_400000_NS6detail17trampoline_kernelINS0_13select_configILj256ELj13ELNS0_17block_load_methodE3ELS4_3ELS4_3ELNS0_20block_scan_algorithmE0ELj4294967295EEENS1_25partition_config_selectorILNS1_17partition_subalgoE3EjNS0_10empty_typeEbEEZZNS1_14partition_implILS8_3ELb0ES6_jNS0_17counting_iteratorIjlEEPS9_SE_NS0_5tupleIJPjSE_EEENSF_IJSE_SE_EEES9_SG_JZNS1_25segmented_radix_sort_implINS0_14default_configELb0EPKlPlSM_SN_N2at6native12_GLOBAL__N_18offset_tEEE10hipError_tPvRmT1_PNSt15iterator_traitsISV_E10value_typeET2_T3_PNSW_IS11_E10value_typeET4_jRbjT5_S17_jjP12ihipStream_tbEUljE_EEESS_ST_SU_S11_S15_S17_T6_T7_T9_mT8_S19_bDpT10_ENKUlT_T0_E_clISt17integral_constantIbLb0EES1L_IbLb1EEEEDaS1H_S1I_EUlS1H_E_NS1_11comp_targetILNS1_3genE2ELNS1_11target_archE906ELNS1_3gpuE6ELNS1_3repE0EEENS1_30default_config_static_selectorELNS0_4arch9wavefront6targetE1EEEvSV_.num_vgpr, 71
	.set _ZN7rocprim17ROCPRIM_400000_NS6detail17trampoline_kernelINS0_13select_configILj256ELj13ELNS0_17block_load_methodE3ELS4_3ELS4_3ELNS0_20block_scan_algorithmE0ELj4294967295EEENS1_25partition_config_selectorILNS1_17partition_subalgoE3EjNS0_10empty_typeEbEEZZNS1_14partition_implILS8_3ELb0ES6_jNS0_17counting_iteratorIjlEEPS9_SE_NS0_5tupleIJPjSE_EEENSF_IJSE_SE_EEES9_SG_JZNS1_25segmented_radix_sort_implINS0_14default_configELb0EPKlPlSM_SN_N2at6native12_GLOBAL__N_18offset_tEEE10hipError_tPvRmT1_PNSt15iterator_traitsISV_E10value_typeET2_T3_PNSW_IS11_E10value_typeET4_jRbjT5_S17_jjP12ihipStream_tbEUljE_EEESS_ST_SU_S11_S15_S17_T6_T7_T9_mT8_S19_bDpT10_ENKUlT_T0_E_clISt17integral_constantIbLb0EES1L_IbLb1EEEEDaS1H_S1I_EUlS1H_E_NS1_11comp_targetILNS1_3genE2ELNS1_11target_archE906ELNS1_3gpuE6ELNS1_3repE0EEENS1_30default_config_static_selectorELNS0_4arch9wavefront6targetE1EEEvSV_.num_agpr, 0
	.set _ZN7rocprim17ROCPRIM_400000_NS6detail17trampoline_kernelINS0_13select_configILj256ELj13ELNS0_17block_load_methodE3ELS4_3ELS4_3ELNS0_20block_scan_algorithmE0ELj4294967295EEENS1_25partition_config_selectorILNS1_17partition_subalgoE3EjNS0_10empty_typeEbEEZZNS1_14partition_implILS8_3ELb0ES6_jNS0_17counting_iteratorIjlEEPS9_SE_NS0_5tupleIJPjSE_EEENSF_IJSE_SE_EEES9_SG_JZNS1_25segmented_radix_sort_implINS0_14default_configELb0EPKlPlSM_SN_N2at6native12_GLOBAL__N_18offset_tEEE10hipError_tPvRmT1_PNSt15iterator_traitsISV_E10value_typeET2_T3_PNSW_IS11_E10value_typeET4_jRbjT5_S17_jjP12ihipStream_tbEUljE_EEESS_ST_SU_S11_S15_S17_T6_T7_T9_mT8_S19_bDpT10_ENKUlT_T0_E_clISt17integral_constantIbLb0EES1L_IbLb1EEEEDaS1H_S1I_EUlS1H_E_NS1_11comp_targetILNS1_3genE2ELNS1_11target_archE906ELNS1_3gpuE6ELNS1_3repE0EEENS1_30default_config_static_selectorELNS0_4arch9wavefront6targetE1EEEvSV_.numbered_sgpr, 46
	.set _ZN7rocprim17ROCPRIM_400000_NS6detail17trampoline_kernelINS0_13select_configILj256ELj13ELNS0_17block_load_methodE3ELS4_3ELS4_3ELNS0_20block_scan_algorithmE0ELj4294967295EEENS1_25partition_config_selectorILNS1_17partition_subalgoE3EjNS0_10empty_typeEbEEZZNS1_14partition_implILS8_3ELb0ES6_jNS0_17counting_iteratorIjlEEPS9_SE_NS0_5tupleIJPjSE_EEENSF_IJSE_SE_EEES9_SG_JZNS1_25segmented_radix_sort_implINS0_14default_configELb0EPKlPlSM_SN_N2at6native12_GLOBAL__N_18offset_tEEE10hipError_tPvRmT1_PNSt15iterator_traitsISV_E10value_typeET2_T3_PNSW_IS11_E10value_typeET4_jRbjT5_S17_jjP12ihipStream_tbEUljE_EEESS_ST_SU_S11_S15_S17_T6_T7_T9_mT8_S19_bDpT10_ENKUlT_T0_E_clISt17integral_constantIbLb0EES1L_IbLb1EEEEDaS1H_S1I_EUlS1H_E_NS1_11comp_targetILNS1_3genE2ELNS1_11target_archE906ELNS1_3gpuE6ELNS1_3repE0EEENS1_30default_config_static_selectorELNS0_4arch9wavefront6targetE1EEEvSV_.num_named_barrier, 0
	.set _ZN7rocprim17ROCPRIM_400000_NS6detail17trampoline_kernelINS0_13select_configILj256ELj13ELNS0_17block_load_methodE3ELS4_3ELS4_3ELNS0_20block_scan_algorithmE0ELj4294967295EEENS1_25partition_config_selectorILNS1_17partition_subalgoE3EjNS0_10empty_typeEbEEZZNS1_14partition_implILS8_3ELb0ES6_jNS0_17counting_iteratorIjlEEPS9_SE_NS0_5tupleIJPjSE_EEENSF_IJSE_SE_EEES9_SG_JZNS1_25segmented_radix_sort_implINS0_14default_configELb0EPKlPlSM_SN_N2at6native12_GLOBAL__N_18offset_tEEE10hipError_tPvRmT1_PNSt15iterator_traitsISV_E10value_typeET2_T3_PNSW_IS11_E10value_typeET4_jRbjT5_S17_jjP12ihipStream_tbEUljE_EEESS_ST_SU_S11_S15_S17_T6_T7_T9_mT8_S19_bDpT10_ENKUlT_T0_E_clISt17integral_constantIbLb0EES1L_IbLb1EEEEDaS1H_S1I_EUlS1H_E_NS1_11comp_targetILNS1_3genE2ELNS1_11target_archE906ELNS1_3gpuE6ELNS1_3repE0EEENS1_30default_config_static_selectorELNS0_4arch9wavefront6targetE1EEEvSV_.private_seg_size, 0
	.set _ZN7rocprim17ROCPRIM_400000_NS6detail17trampoline_kernelINS0_13select_configILj256ELj13ELNS0_17block_load_methodE3ELS4_3ELS4_3ELNS0_20block_scan_algorithmE0ELj4294967295EEENS1_25partition_config_selectorILNS1_17partition_subalgoE3EjNS0_10empty_typeEbEEZZNS1_14partition_implILS8_3ELb0ES6_jNS0_17counting_iteratorIjlEEPS9_SE_NS0_5tupleIJPjSE_EEENSF_IJSE_SE_EEES9_SG_JZNS1_25segmented_radix_sort_implINS0_14default_configELb0EPKlPlSM_SN_N2at6native12_GLOBAL__N_18offset_tEEE10hipError_tPvRmT1_PNSt15iterator_traitsISV_E10value_typeET2_T3_PNSW_IS11_E10value_typeET4_jRbjT5_S17_jjP12ihipStream_tbEUljE_EEESS_ST_SU_S11_S15_S17_T6_T7_T9_mT8_S19_bDpT10_ENKUlT_T0_E_clISt17integral_constantIbLb0EES1L_IbLb1EEEEDaS1H_S1I_EUlS1H_E_NS1_11comp_targetILNS1_3genE2ELNS1_11target_archE906ELNS1_3gpuE6ELNS1_3repE0EEENS1_30default_config_static_selectorELNS0_4arch9wavefront6targetE1EEEvSV_.uses_vcc, 1
	.set _ZN7rocprim17ROCPRIM_400000_NS6detail17trampoline_kernelINS0_13select_configILj256ELj13ELNS0_17block_load_methodE3ELS4_3ELS4_3ELNS0_20block_scan_algorithmE0ELj4294967295EEENS1_25partition_config_selectorILNS1_17partition_subalgoE3EjNS0_10empty_typeEbEEZZNS1_14partition_implILS8_3ELb0ES6_jNS0_17counting_iteratorIjlEEPS9_SE_NS0_5tupleIJPjSE_EEENSF_IJSE_SE_EEES9_SG_JZNS1_25segmented_radix_sort_implINS0_14default_configELb0EPKlPlSM_SN_N2at6native12_GLOBAL__N_18offset_tEEE10hipError_tPvRmT1_PNSt15iterator_traitsISV_E10value_typeET2_T3_PNSW_IS11_E10value_typeET4_jRbjT5_S17_jjP12ihipStream_tbEUljE_EEESS_ST_SU_S11_S15_S17_T6_T7_T9_mT8_S19_bDpT10_ENKUlT_T0_E_clISt17integral_constantIbLb0EES1L_IbLb1EEEEDaS1H_S1I_EUlS1H_E_NS1_11comp_targetILNS1_3genE2ELNS1_11target_archE906ELNS1_3gpuE6ELNS1_3repE0EEENS1_30default_config_static_selectorELNS0_4arch9wavefront6targetE1EEEvSV_.uses_flat_scratch, 0
	.set _ZN7rocprim17ROCPRIM_400000_NS6detail17trampoline_kernelINS0_13select_configILj256ELj13ELNS0_17block_load_methodE3ELS4_3ELS4_3ELNS0_20block_scan_algorithmE0ELj4294967295EEENS1_25partition_config_selectorILNS1_17partition_subalgoE3EjNS0_10empty_typeEbEEZZNS1_14partition_implILS8_3ELb0ES6_jNS0_17counting_iteratorIjlEEPS9_SE_NS0_5tupleIJPjSE_EEENSF_IJSE_SE_EEES9_SG_JZNS1_25segmented_radix_sort_implINS0_14default_configELb0EPKlPlSM_SN_N2at6native12_GLOBAL__N_18offset_tEEE10hipError_tPvRmT1_PNSt15iterator_traitsISV_E10value_typeET2_T3_PNSW_IS11_E10value_typeET4_jRbjT5_S17_jjP12ihipStream_tbEUljE_EEESS_ST_SU_S11_S15_S17_T6_T7_T9_mT8_S19_bDpT10_ENKUlT_T0_E_clISt17integral_constantIbLb0EES1L_IbLb1EEEEDaS1H_S1I_EUlS1H_E_NS1_11comp_targetILNS1_3genE2ELNS1_11target_archE906ELNS1_3gpuE6ELNS1_3repE0EEENS1_30default_config_static_selectorELNS0_4arch9wavefront6targetE1EEEvSV_.has_dyn_sized_stack, 0
	.set _ZN7rocprim17ROCPRIM_400000_NS6detail17trampoline_kernelINS0_13select_configILj256ELj13ELNS0_17block_load_methodE3ELS4_3ELS4_3ELNS0_20block_scan_algorithmE0ELj4294967295EEENS1_25partition_config_selectorILNS1_17partition_subalgoE3EjNS0_10empty_typeEbEEZZNS1_14partition_implILS8_3ELb0ES6_jNS0_17counting_iteratorIjlEEPS9_SE_NS0_5tupleIJPjSE_EEENSF_IJSE_SE_EEES9_SG_JZNS1_25segmented_radix_sort_implINS0_14default_configELb0EPKlPlSM_SN_N2at6native12_GLOBAL__N_18offset_tEEE10hipError_tPvRmT1_PNSt15iterator_traitsISV_E10value_typeET2_T3_PNSW_IS11_E10value_typeET4_jRbjT5_S17_jjP12ihipStream_tbEUljE_EEESS_ST_SU_S11_S15_S17_T6_T7_T9_mT8_S19_bDpT10_ENKUlT_T0_E_clISt17integral_constantIbLb0EES1L_IbLb1EEEEDaS1H_S1I_EUlS1H_E_NS1_11comp_targetILNS1_3genE2ELNS1_11target_archE906ELNS1_3gpuE6ELNS1_3repE0EEENS1_30default_config_static_selectorELNS0_4arch9wavefront6targetE1EEEvSV_.has_recursion, 0
	.set _ZN7rocprim17ROCPRIM_400000_NS6detail17trampoline_kernelINS0_13select_configILj256ELj13ELNS0_17block_load_methodE3ELS4_3ELS4_3ELNS0_20block_scan_algorithmE0ELj4294967295EEENS1_25partition_config_selectorILNS1_17partition_subalgoE3EjNS0_10empty_typeEbEEZZNS1_14partition_implILS8_3ELb0ES6_jNS0_17counting_iteratorIjlEEPS9_SE_NS0_5tupleIJPjSE_EEENSF_IJSE_SE_EEES9_SG_JZNS1_25segmented_radix_sort_implINS0_14default_configELb0EPKlPlSM_SN_N2at6native12_GLOBAL__N_18offset_tEEE10hipError_tPvRmT1_PNSt15iterator_traitsISV_E10value_typeET2_T3_PNSW_IS11_E10value_typeET4_jRbjT5_S17_jjP12ihipStream_tbEUljE_EEESS_ST_SU_S11_S15_S17_T6_T7_T9_mT8_S19_bDpT10_ENKUlT_T0_E_clISt17integral_constantIbLb0EES1L_IbLb1EEEEDaS1H_S1I_EUlS1H_E_NS1_11comp_targetILNS1_3genE2ELNS1_11target_archE906ELNS1_3gpuE6ELNS1_3repE0EEENS1_30default_config_static_selectorELNS0_4arch9wavefront6targetE1EEEvSV_.has_indirect_call, 0
	.section	.AMDGPU.csdata,"",@progbits
; Kernel info:
; codeLenInByte = 7548
; TotalNumSgprs: 50
; NumVgprs: 71
; ScratchSize: 0
; MemoryBound: 0
; FloatMode: 240
; IeeeMode: 1
; LDSByteSize: 13320 bytes/workgroup (compile time only)
; SGPRBlocks: 12
; VGPRBlocks: 17
; NumSGPRsForWavesPerEU: 102
; NumVGPRsForWavesPerEU: 71
; Occupancy: 3
; WaveLimiterHint : 0
; COMPUTE_PGM_RSRC2:SCRATCH_EN: 0
; COMPUTE_PGM_RSRC2:USER_SGPR: 6
; COMPUTE_PGM_RSRC2:TRAP_HANDLER: 0
; COMPUTE_PGM_RSRC2:TGID_X_EN: 1
; COMPUTE_PGM_RSRC2:TGID_Y_EN: 0
; COMPUTE_PGM_RSRC2:TGID_Z_EN: 0
; COMPUTE_PGM_RSRC2:TIDIG_COMP_CNT: 0
	.section	.text._ZN7rocprim17ROCPRIM_400000_NS6detail17trampoline_kernelINS0_13select_configILj256ELj13ELNS0_17block_load_methodE3ELS4_3ELS4_3ELNS0_20block_scan_algorithmE0ELj4294967295EEENS1_25partition_config_selectorILNS1_17partition_subalgoE3EjNS0_10empty_typeEbEEZZNS1_14partition_implILS8_3ELb0ES6_jNS0_17counting_iteratorIjlEEPS9_SE_NS0_5tupleIJPjSE_EEENSF_IJSE_SE_EEES9_SG_JZNS1_25segmented_radix_sort_implINS0_14default_configELb0EPKlPlSM_SN_N2at6native12_GLOBAL__N_18offset_tEEE10hipError_tPvRmT1_PNSt15iterator_traitsISV_E10value_typeET2_T3_PNSW_IS11_E10value_typeET4_jRbjT5_S17_jjP12ihipStream_tbEUljE_EEESS_ST_SU_S11_S15_S17_T6_T7_T9_mT8_S19_bDpT10_ENKUlT_T0_E_clISt17integral_constantIbLb0EES1L_IbLb1EEEEDaS1H_S1I_EUlS1H_E_NS1_11comp_targetILNS1_3genE10ELNS1_11target_archE1200ELNS1_3gpuE4ELNS1_3repE0EEENS1_30default_config_static_selectorELNS0_4arch9wavefront6targetE1EEEvSV_,"axG",@progbits,_ZN7rocprim17ROCPRIM_400000_NS6detail17trampoline_kernelINS0_13select_configILj256ELj13ELNS0_17block_load_methodE3ELS4_3ELS4_3ELNS0_20block_scan_algorithmE0ELj4294967295EEENS1_25partition_config_selectorILNS1_17partition_subalgoE3EjNS0_10empty_typeEbEEZZNS1_14partition_implILS8_3ELb0ES6_jNS0_17counting_iteratorIjlEEPS9_SE_NS0_5tupleIJPjSE_EEENSF_IJSE_SE_EEES9_SG_JZNS1_25segmented_radix_sort_implINS0_14default_configELb0EPKlPlSM_SN_N2at6native12_GLOBAL__N_18offset_tEEE10hipError_tPvRmT1_PNSt15iterator_traitsISV_E10value_typeET2_T3_PNSW_IS11_E10value_typeET4_jRbjT5_S17_jjP12ihipStream_tbEUljE_EEESS_ST_SU_S11_S15_S17_T6_T7_T9_mT8_S19_bDpT10_ENKUlT_T0_E_clISt17integral_constantIbLb0EES1L_IbLb1EEEEDaS1H_S1I_EUlS1H_E_NS1_11comp_targetILNS1_3genE10ELNS1_11target_archE1200ELNS1_3gpuE4ELNS1_3repE0EEENS1_30default_config_static_selectorELNS0_4arch9wavefront6targetE1EEEvSV_,comdat
	.globl	_ZN7rocprim17ROCPRIM_400000_NS6detail17trampoline_kernelINS0_13select_configILj256ELj13ELNS0_17block_load_methodE3ELS4_3ELS4_3ELNS0_20block_scan_algorithmE0ELj4294967295EEENS1_25partition_config_selectorILNS1_17partition_subalgoE3EjNS0_10empty_typeEbEEZZNS1_14partition_implILS8_3ELb0ES6_jNS0_17counting_iteratorIjlEEPS9_SE_NS0_5tupleIJPjSE_EEENSF_IJSE_SE_EEES9_SG_JZNS1_25segmented_radix_sort_implINS0_14default_configELb0EPKlPlSM_SN_N2at6native12_GLOBAL__N_18offset_tEEE10hipError_tPvRmT1_PNSt15iterator_traitsISV_E10value_typeET2_T3_PNSW_IS11_E10value_typeET4_jRbjT5_S17_jjP12ihipStream_tbEUljE_EEESS_ST_SU_S11_S15_S17_T6_T7_T9_mT8_S19_bDpT10_ENKUlT_T0_E_clISt17integral_constantIbLb0EES1L_IbLb1EEEEDaS1H_S1I_EUlS1H_E_NS1_11comp_targetILNS1_3genE10ELNS1_11target_archE1200ELNS1_3gpuE4ELNS1_3repE0EEENS1_30default_config_static_selectorELNS0_4arch9wavefront6targetE1EEEvSV_ ; -- Begin function _ZN7rocprim17ROCPRIM_400000_NS6detail17trampoline_kernelINS0_13select_configILj256ELj13ELNS0_17block_load_methodE3ELS4_3ELS4_3ELNS0_20block_scan_algorithmE0ELj4294967295EEENS1_25partition_config_selectorILNS1_17partition_subalgoE3EjNS0_10empty_typeEbEEZZNS1_14partition_implILS8_3ELb0ES6_jNS0_17counting_iteratorIjlEEPS9_SE_NS0_5tupleIJPjSE_EEENSF_IJSE_SE_EEES9_SG_JZNS1_25segmented_radix_sort_implINS0_14default_configELb0EPKlPlSM_SN_N2at6native12_GLOBAL__N_18offset_tEEE10hipError_tPvRmT1_PNSt15iterator_traitsISV_E10value_typeET2_T3_PNSW_IS11_E10value_typeET4_jRbjT5_S17_jjP12ihipStream_tbEUljE_EEESS_ST_SU_S11_S15_S17_T6_T7_T9_mT8_S19_bDpT10_ENKUlT_T0_E_clISt17integral_constantIbLb0EES1L_IbLb1EEEEDaS1H_S1I_EUlS1H_E_NS1_11comp_targetILNS1_3genE10ELNS1_11target_archE1200ELNS1_3gpuE4ELNS1_3repE0EEENS1_30default_config_static_selectorELNS0_4arch9wavefront6targetE1EEEvSV_
	.p2align	8
	.type	_ZN7rocprim17ROCPRIM_400000_NS6detail17trampoline_kernelINS0_13select_configILj256ELj13ELNS0_17block_load_methodE3ELS4_3ELS4_3ELNS0_20block_scan_algorithmE0ELj4294967295EEENS1_25partition_config_selectorILNS1_17partition_subalgoE3EjNS0_10empty_typeEbEEZZNS1_14partition_implILS8_3ELb0ES6_jNS0_17counting_iteratorIjlEEPS9_SE_NS0_5tupleIJPjSE_EEENSF_IJSE_SE_EEES9_SG_JZNS1_25segmented_radix_sort_implINS0_14default_configELb0EPKlPlSM_SN_N2at6native12_GLOBAL__N_18offset_tEEE10hipError_tPvRmT1_PNSt15iterator_traitsISV_E10value_typeET2_T3_PNSW_IS11_E10value_typeET4_jRbjT5_S17_jjP12ihipStream_tbEUljE_EEESS_ST_SU_S11_S15_S17_T6_T7_T9_mT8_S19_bDpT10_ENKUlT_T0_E_clISt17integral_constantIbLb0EES1L_IbLb1EEEEDaS1H_S1I_EUlS1H_E_NS1_11comp_targetILNS1_3genE10ELNS1_11target_archE1200ELNS1_3gpuE4ELNS1_3repE0EEENS1_30default_config_static_selectorELNS0_4arch9wavefront6targetE1EEEvSV_,@function
_ZN7rocprim17ROCPRIM_400000_NS6detail17trampoline_kernelINS0_13select_configILj256ELj13ELNS0_17block_load_methodE3ELS4_3ELS4_3ELNS0_20block_scan_algorithmE0ELj4294967295EEENS1_25partition_config_selectorILNS1_17partition_subalgoE3EjNS0_10empty_typeEbEEZZNS1_14partition_implILS8_3ELb0ES6_jNS0_17counting_iteratorIjlEEPS9_SE_NS0_5tupleIJPjSE_EEENSF_IJSE_SE_EEES9_SG_JZNS1_25segmented_radix_sort_implINS0_14default_configELb0EPKlPlSM_SN_N2at6native12_GLOBAL__N_18offset_tEEE10hipError_tPvRmT1_PNSt15iterator_traitsISV_E10value_typeET2_T3_PNSW_IS11_E10value_typeET4_jRbjT5_S17_jjP12ihipStream_tbEUljE_EEESS_ST_SU_S11_S15_S17_T6_T7_T9_mT8_S19_bDpT10_ENKUlT_T0_E_clISt17integral_constantIbLb0EES1L_IbLb1EEEEDaS1H_S1I_EUlS1H_E_NS1_11comp_targetILNS1_3genE10ELNS1_11target_archE1200ELNS1_3gpuE4ELNS1_3repE0EEENS1_30default_config_static_selectorELNS0_4arch9wavefront6targetE1EEEvSV_: ; @_ZN7rocprim17ROCPRIM_400000_NS6detail17trampoline_kernelINS0_13select_configILj256ELj13ELNS0_17block_load_methodE3ELS4_3ELS4_3ELNS0_20block_scan_algorithmE0ELj4294967295EEENS1_25partition_config_selectorILNS1_17partition_subalgoE3EjNS0_10empty_typeEbEEZZNS1_14partition_implILS8_3ELb0ES6_jNS0_17counting_iteratorIjlEEPS9_SE_NS0_5tupleIJPjSE_EEENSF_IJSE_SE_EEES9_SG_JZNS1_25segmented_radix_sort_implINS0_14default_configELb0EPKlPlSM_SN_N2at6native12_GLOBAL__N_18offset_tEEE10hipError_tPvRmT1_PNSt15iterator_traitsISV_E10value_typeET2_T3_PNSW_IS11_E10value_typeET4_jRbjT5_S17_jjP12ihipStream_tbEUljE_EEESS_ST_SU_S11_S15_S17_T6_T7_T9_mT8_S19_bDpT10_ENKUlT_T0_E_clISt17integral_constantIbLb0EES1L_IbLb1EEEEDaS1H_S1I_EUlS1H_E_NS1_11comp_targetILNS1_3genE10ELNS1_11target_archE1200ELNS1_3gpuE4ELNS1_3repE0EEENS1_30default_config_static_selectorELNS0_4arch9wavefront6targetE1EEEvSV_
; %bb.0:
	.section	.rodata,"a",@progbits
	.p2align	6, 0x0
	.amdhsa_kernel _ZN7rocprim17ROCPRIM_400000_NS6detail17trampoline_kernelINS0_13select_configILj256ELj13ELNS0_17block_load_methodE3ELS4_3ELS4_3ELNS0_20block_scan_algorithmE0ELj4294967295EEENS1_25partition_config_selectorILNS1_17partition_subalgoE3EjNS0_10empty_typeEbEEZZNS1_14partition_implILS8_3ELb0ES6_jNS0_17counting_iteratorIjlEEPS9_SE_NS0_5tupleIJPjSE_EEENSF_IJSE_SE_EEES9_SG_JZNS1_25segmented_radix_sort_implINS0_14default_configELb0EPKlPlSM_SN_N2at6native12_GLOBAL__N_18offset_tEEE10hipError_tPvRmT1_PNSt15iterator_traitsISV_E10value_typeET2_T3_PNSW_IS11_E10value_typeET4_jRbjT5_S17_jjP12ihipStream_tbEUljE_EEESS_ST_SU_S11_S15_S17_T6_T7_T9_mT8_S19_bDpT10_ENKUlT_T0_E_clISt17integral_constantIbLb0EES1L_IbLb1EEEEDaS1H_S1I_EUlS1H_E_NS1_11comp_targetILNS1_3genE10ELNS1_11target_archE1200ELNS1_3gpuE4ELNS1_3repE0EEENS1_30default_config_static_selectorELNS0_4arch9wavefront6targetE1EEEvSV_
		.amdhsa_group_segment_fixed_size 0
		.amdhsa_private_segment_fixed_size 0
		.amdhsa_kernarg_size 152
		.amdhsa_user_sgpr_count 6
		.amdhsa_user_sgpr_private_segment_buffer 1
		.amdhsa_user_sgpr_dispatch_ptr 0
		.amdhsa_user_sgpr_queue_ptr 0
		.amdhsa_user_sgpr_kernarg_segment_ptr 1
		.amdhsa_user_sgpr_dispatch_id 0
		.amdhsa_user_sgpr_flat_scratch_init 0
		.amdhsa_user_sgpr_private_segment_size 0
		.amdhsa_uses_dynamic_stack 0
		.amdhsa_system_sgpr_private_segment_wavefront_offset 0
		.amdhsa_system_sgpr_workgroup_id_x 1
		.amdhsa_system_sgpr_workgroup_id_y 0
		.amdhsa_system_sgpr_workgroup_id_z 0
		.amdhsa_system_sgpr_workgroup_info 0
		.amdhsa_system_vgpr_workitem_id 0
		.amdhsa_next_free_vgpr 1
		.amdhsa_next_free_sgpr 0
		.amdhsa_reserve_vcc 0
		.amdhsa_reserve_flat_scratch 0
		.amdhsa_float_round_mode_32 0
		.amdhsa_float_round_mode_16_64 0
		.amdhsa_float_denorm_mode_32 3
		.amdhsa_float_denorm_mode_16_64 3
		.amdhsa_dx10_clamp 1
		.amdhsa_ieee_mode 1
		.amdhsa_fp16_overflow 0
		.amdhsa_exception_fp_ieee_invalid_op 0
		.amdhsa_exception_fp_denorm_src 0
		.amdhsa_exception_fp_ieee_div_zero 0
		.amdhsa_exception_fp_ieee_overflow 0
		.amdhsa_exception_fp_ieee_underflow 0
		.amdhsa_exception_fp_ieee_inexact 0
		.amdhsa_exception_int_div_zero 0
	.end_amdhsa_kernel
	.section	.text._ZN7rocprim17ROCPRIM_400000_NS6detail17trampoline_kernelINS0_13select_configILj256ELj13ELNS0_17block_load_methodE3ELS4_3ELS4_3ELNS0_20block_scan_algorithmE0ELj4294967295EEENS1_25partition_config_selectorILNS1_17partition_subalgoE3EjNS0_10empty_typeEbEEZZNS1_14partition_implILS8_3ELb0ES6_jNS0_17counting_iteratorIjlEEPS9_SE_NS0_5tupleIJPjSE_EEENSF_IJSE_SE_EEES9_SG_JZNS1_25segmented_radix_sort_implINS0_14default_configELb0EPKlPlSM_SN_N2at6native12_GLOBAL__N_18offset_tEEE10hipError_tPvRmT1_PNSt15iterator_traitsISV_E10value_typeET2_T3_PNSW_IS11_E10value_typeET4_jRbjT5_S17_jjP12ihipStream_tbEUljE_EEESS_ST_SU_S11_S15_S17_T6_T7_T9_mT8_S19_bDpT10_ENKUlT_T0_E_clISt17integral_constantIbLb0EES1L_IbLb1EEEEDaS1H_S1I_EUlS1H_E_NS1_11comp_targetILNS1_3genE10ELNS1_11target_archE1200ELNS1_3gpuE4ELNS1_3repE0EEENS1_30default_config_static_selectorELNS0_4arch9wavefront6targetE1EEEvSV_,"axG",@progbits,_ZN7rocprim17ROCPRIM_400000_NS6detail17trampoline_kernelINS0_13select_configILj256ELj13ELNS0_17block_load_methodE3ELS4_3ELS4_3ELNS0_20block_scan_algorithmE0ELj4294967295EEENS1_25partition_config_selectorILNS1_17partition_subalgoE3EjNS0_10empty_typeEbEEZZNS1_14partition_implILS8_3ELb0ES6_jNS0_17counting_iteratorIjlEEPS9_SE_NS0_5tupleIJPjSE_EEENSF_IJSE_SE_EEES9_SG_JZNS1_25segmented_radix_sort_implINS0_14default_configELb0EPKlPlSM_SN_N2at6native12_GLOBAL__N_18offset_tEEE10hipError_tPvRmT1_PNSt15iterator_traitsISV_E10value_typeET2_T3_PNSW_IS11_E10value_typeET4_jRbjT5_S17_jjP12ihipStream_tbEUljE_EEESS_ST_SU_S11_S15_S17_T6_T7_T9_mT8_S19_bDpT10_ENKUlT_T0_E_clISt17integral_constantIbLb0EES1L_IbLb1EEEEDaS1H_S1I_EUlS1H_E_NS1_11comp_targetILNS1_3genE10ELNS1_11target_archE1200ELNS1_3gpuE4ELNS1_3repE0EEENS1_30default_config_static_selectorELNS0_4arch9wavefront6targetE1EEEvSV_,comdat
.Lfunc_end804:
	.size	_ZN7rocprim17ROCPRIM_400000_NS6detail17trampoline_kernelINS0_13select_configILj256ELj13ELNS0_17block_load_methodE3ELS4_3ELS4_3ELNS0_20block_scan_algorithmE0ELj4294967295EEENS1_25partition_config_selectorILNS1_17partition_subalgoE3EjNS0_10empty_typeEbEEZZNS1_14partition_implILS8_3ELb0ES6_jNS0_17counting_iteratorIjlEEPS9_SE_NS0_5tupleIJPjSE_EEENSF_IJSE_SE_EEES9_SG_JZNS1_25segmented_radix_sort_implINS0_14default_configELb0EPKlPlSM_SN_N2at6native12_GLOBAL__N_18offset_tEEE10hipError_tPvRmT1_PNSt15iterator_traitsISV_E10value_typeET2_T3_PNSW_IS11_E10value_typeET4_jRbjT5_S17_jjP12ihipStream_tbEUljE_EEESS_ST_SU_S11_S15_S17_T6_T7_T9_mT8_S19_bDpT10_ENKUlT_T0_E_clISt17integral_constantIbLb0EES1L_IbLb1EEEEDaS1H_S1I_EUlS1H_E_NS1_11comp_targetILNS1_3genE10ELNS1_11target_archE1200ELNS1_3gpuE4ELNS1_3repE0EEENS1_30default_config_static_selectorELNS0_4arch9wavefront6targetE1EEEvSV_, .Lfunc_end804-_ZN7rocprim17ROCPRIM_400000_NS6detail17trampoline_kernelINS0_13select_configILj256ELj13ELNS0_17block_load_methodE3ELS4_3ELS4_3ELNS0_20block_scan_algorithmE0ELj4294967295EEENS1_25partition_config_selectorILNS1_17partition_subalgoE3EjNS0_10empty_typeEbEEZZNS1_14partition_implILS8_3ELb0ES6_jNS0_17counting_iteratorIjlEEPS9_SE_NS0_5tupleIJPjSE_EEENSF_IJSE_SE_EEES9_SG_JZNS1_25segmented_radix_sort_implINS0_14default_configELb0EPKlPlSM_SN_N2at6native12_GLOBAL__N_18offset_tEEE10hipError_tPvRmT1_PNSt15iterator_traitsISV_E10value_typeET2_T3_PNSW_IS11_E10value_typeET4_jRbjT5_S17_jjP12ihipStream_tbEUljE_EEESS_ST_SU_S11_S15_S17_T6_T7_T9_mT8_S19_bDpT10_ENKUlT_T0_E_clISt17integral_constantIbLb0EES1L_IbLb1EEEEDaS1H_S1I_EUlS1H_E_NS1_11comp_targetILNS1_3genE10ELNS1_11target_archE1200ELNS1_3gpuE4ELNS1_3repE0EEENS1_30default_config_static_selectorELNS0_4arch9wavefront6targetE1EEEvSV_
                                        ; -- End function
	.set _ZN7rocprim17ROCPRIM_400000_NS6detail17trampoline_kernelINS0_13select_configILj256ELj13ELNS0_17block_load_methodE3ELS4_3ELS4_3ELNS0_20block_scan_algorithmE0ELj4294967295EEENS1_25partition_config_selectorILNS1_17partition_subalgoE3EjNS0_10empty_typeEbEEZZNS1_14partition_implILS8_3ELb0ES6_jNS0_17counting_iteratorIjlEEPS9_SE_NS0_5tupleIJPjSE_EEENSF_IJSE_SE_EEES9_SG_JZNS1_25segmented_radix_sort_implINS0_14default_configELb0EPKlPlSM_SN_N2at6native12_GLOBAL__N_18offset_tEEE10hipError_tPvRmT1_PNSt15iterator_traitsISV_E10value_typeET2_T3_PNSW_IS11_E10value_typeET4_jRbjT5_S17_jjP12ihipStream_tbEUljE_EEESS_ST_SU_S11_S15_S17_T6_T7_T9_mT8_S19_bDpT10_ENKUlT_T0_E_clISt17integral_constantIbLb0EES1L_IbLb1EEEEDaS1H_S1I_EUlS1H_E_NS1_11comp_targetILNS1_3genE10ELNS1_11target_archE1200ELNS1_3gpuE4ELNS1_3repE0EEENS1_30default_config_static_selectorELNS0_4arch9wavefront6targetE1EEEvSV_.num_vgpr, 0
	.set _ZN7rocprim17ROCPRIM_400000_NS6detail17trampoline_kernelINS0_13select_configILj256ELj13ELNS0_17block_load_methodE3ELS4_3ELS4_3ELNS0_20block_scan_algorithmE0ELj4294967295EEENS1_25partition_config_selectorILNS1_17partition_subalgoE3EjNS0_10empty_typeEbEEZZNS1_14partition_implILS8_3ELb0ES6_jNS0_17counting_iteratorIjlEEPS9_SE_NS0_5tupleIJPjSE_EEENSF_IJSE_SE_EEES9_SG_JZNS1_25segmented_radix_sort_implINS0_14default_configELb0EPKlPlSM_SN_N2at6native12_GLOBAL__N_18offset_tEEE10hipError_tPvRmT1_PNSt15iterator_traitsISV_E10value_typeET2_T3_PNSW_IS11_E10value_typeET4_jRbjT5_S17_jjP12ihipStream_tbEUljE_EEESS_ST_SU_S11_S15_S17_T6_T7_T9_mT8_S19_bDpT10_ENKUlT_T0_E_clISt17integral_constantIbLb0EES1L_IbLb1EEEEDaS1H_S1I_EUlS1H_E_NS1_11comp_targetILNS1_3genE10ELNS1_11target_archE1200ELNS1_3gpuE4ELNS1_3repE0EEENS1_30default_config_static_selectorELNS0_4arch9wavefront6targetE1EEEvSV_.num_agpr, 0
	.set _ZN7rocprim17ROCPRIM_400000_NS6detail17trampoline_kernelINS0_13select_configILj256ELj13ELNS0_17block_load_methodE3ELS4_3ELS4_3ELNS0_20block_scan_algorithmE0ELj4294967295EEENS1_25partition_config_selectorILNS1_17partition_subalgoE3EjNS0_10empty_typeEbEEZZNS1_14partition_implILS8_3ELb0ES6_jNS0_17counting_iteratorIjlEEPS9_SE_NS0_5tupleIJPjSE_EEENSF_IJSE_SE_EEES9_SG_JZNS1_25segmented_radix_sort_implINS0_14default_configELb0EPKlPlSM_SN_N2at6native12_GLOBAL__N_18offset_tEEE10hipError_tPvRmT1_PNSt15iterator_traitsISV_E10value_typeET2_T3_PNSW_IS11_E10value_typeET4_jRbjT5_S17_jjP12ihipStream_tbEUljE_EEESS_ST_SU_S11_S15_S17_T6_T7_T9_mT8_S19_bDpT10_ENKUlT_T0_E_clISt17integral_constantIbLb0EES1L_IbLb1EEEEDaS1H_S1I_EUlS1H_E_NS1_11comp_targetILNS1_3genE10ELNS1_11target_archE1200ELNS1_3gpuE4ELNS1_3repE0EEENS1_30default_config_static_selectorELNS0_4arch9wavefront6targetE1EEEvSV_.numbered_sgpr, 0
	.set _ZN7rocprim17ROCPRIM_400000_NS6detail17trampoline_kernelINS0_13select_configILj256ELj13ELNS0_17block_load_methodE3ELS4_3ELS4_3ELNS0_20block_scan_algorithmE0ELj4294967295EEENS1_25partition_config_selectorILNS1_17partition_subalgoE3EjNS0_10empty_typeEbEEZZNS1_14partition_implILS8_3ELb0ES6_jNS0_17counting_iteratorIjlEEPS9_SE_NS0_5tupleIJPjSE_EEENSF_IJSE_SE_EEES9_SG_JZNS1_25segmented_radix_sort_implINS0_14default_configELb0EPKlPlSM_SN_N2at6native12_GLOBAL__N_18offset_tEEE10hipError_tPvRmT1_PNSt15iterator_traitsISV_E10value_typeET2_T3_PNSW_IS11_E10value_typeET4_jRbjT5_S17_jjP12ihipStream_tbEUljE_EEESS_ST_SU_S11_S15_S17_T6_T7_T9_mT8_S19_bDpT10_ENKUlT_T0_E_clISt17integral_constantIbLb0EES1L_IbLb1EEEEDaS1H_S1I_EUlS1H_E_NS1_11comp_targetILNS1_3genE10ELNS1_11target_archE1200ELNS1_3gpuE4ELNS1_3repE0EEENS1_30default_config_static_selectorELNS0_4arch9wavefront6targetE1EEEvSV_.num_named_barrier, 0
	.set _ZN7rocprim17ROCPRIM_400000_NS6detail17trampoline_kernelINS0_13select_configILj256ELj13ELNS0_17block_load_methodE3ELS4_3ELS4_3ELNS0_20block_scan_algorithmE0ELj4294967295EEENS1_25partition_config_selectorILNS1_17partition_subalgoE3EjNS0_10empty_typeEbEEZZNS1_14partition_implILS8_3ELb0ES6_jNS0_17counting_iteratorIjlEEPS9_SE_NS0_5tupleIJPjSE_EEENSF_IJSE_SE_EEES9_SG_JZNS1_25segmented_radix_sort_implINS0_14default_configELb0EPKlPlSM_SN_N2at6native12_GLOBAL__N_18offset_tEEE10hipError_tPvRmT1_PNSt15iterator_traitsISV_E10value_typeET2_T3_PNSW_IS11_E10value_typeET4_jRbjT5_S17_jjP12ihipStream_tbEUljE_EEESS_ST_SU_S11_S15_S17_T6_T7_T9_mT8_S19_bDpT10_ENKUlT_T0_E_clISt17integral_constantIbLb0EES1L_IbLb1EEEEDaS1H_S1I_EUlS1H_E_NS1_11comp_targetILNS1_3genE10ELNS1_11target_archE1200ELNS1_3gpuE4ELNS1_3repE0EEENS1_30default_config_static_selectorELNS0_4arch9wavefront6targetE1EEEvSV_.private_seg_size, 0
	.set _ZN7rocprim17ROCPRIM_400000_NS6detail17trampoline_kernelINS0_13select_configILj256ELj13ELNS0_17block_load_methodE3ELS4_3ELS4_3ELNS0_20block_scan_algorithmE0ELj4294967295EEENS1_25partition_config_selectorILNS1_17partition_subalgoE3EjNS0_10empty_typeEbEEZZNS1_14partition_implILS8_3ELb0ES6_jNS0_17counting_iteratorIjlEEPS9_SE_NS0_5tupleIJPjSE_EEENSF_IJSE_SE_EEES9_SG_JZNS1_25segmented_radix_sort_implINS0_14default_configELb0EPKlPlSM_SN_N2at6native12_GLOBAL__N_18offset_tEEE10hipError_tPvRmT1_PNSt15iterator_traitsISV_E10value_typeET2_T3_PNSW_IS11_E10value_typeET4_jRbjT5_S17_jjP12ihipStream_tbEUljE_EEESS_ST_SU_S11_S15_S17_T6_T7_T9_mT8_S19_bDpT10_ENKUlT_T0_E_clISt17integral_constantIbLb0EES1L_IbLb1EEEEDaS1H_S1I_EUlS1H_E_NS1_11comp_targetILNS1_3genE10ELNS1_11target_archE1200ELNS1_3gpuE4ELNS1_3repE0EEENS1_30default_config_static_selectorELNS0_4arch9wavefront6targetE1EEEvSV_.uses_vcc, 0
	.set _ZN7rocprim17ROCPRIM_400000_NS6detail17trampoline_kernelINS0_13select_configILj256ELj13ELNS0_17block_load_methodE3ELS4_3ELS4_3ELNS0_20block_scan_algorithmE0ELj4294967295EEENS1_25partition_config_selectorILNS1_17partition_subalgoE3EjNS0_10empty_typeEbEEZZNS1_14partition_implILS8_3ELb0ES6_jNS0_17counting_iteratorIjlEEPS9_SE_NS0_5tupleIJPjSE_EEENSF_IJSE_SE_EEES9_SG_JZNS1_25segmented_radix_sort_implINS0_14default_configELb0EPKlPlSM_SN_N2at6native12_GLOBAL__N_18offset_tEEE10hipError_tPvRmT1_PNSt15iterator_traitsISV_E10value_typeET2_T3_PNSW_IS11_E10value_typeET4_jRbjT5_S17_jjP12ihipStream_tbEUljE_EEESS_ST_SU_S11_S15_S17_T6_T7_T9_mT8_S19_bDpT10_ENKUlT_T0_E_clISt17integral_constantIbLb0EES1L_IbLb1EEEEDaS1H_S1I_EUlS1H_E_NS1_11comp_targetILNS1_3genE10ELNS1_11target_archE1200ELNS1_3gpuE4ELNS1_3repE0EEENS1_30default_config_static_selectorELNS0_4arch9wavefront6targetE1EEEvSV_.uses_flat_scratch, 0
	.set _ZN7rocprim17ROCPRIM_400000_NS6detail17trampoline_kernelINS0_13select_configILj256ELj13ELNS0_17block_load_methodE3ELS4_3ELS4_3ELNS0_20block_scan_algorithmE0ELj4294967295EEENS1_25partition_config_selectorILNS1_17partition_subalgoE3EjNS0_10empty_typeEbEEZZNS1_14partition_implILS8_3ELb0ES6_jNS0_17counting_iteratorIjlEEPS9_SE_NS0_5tupleIJPjSE_EEENSF_IJSE_SE_EEES9_SG_JZNS1_25segmented_radix_sort_implINS0_14default_configELb0EPKlPlSM_SN_N2at6native12_GLOBAL__N_18offset_tEEE10hipError_tPvRmT1_PNSt15iterator_traitsISV_E10value_typeET2_T3_PNSW_IS11_E10value_typeET4_jRbjT5_S17_jjP12ihipStream_tbEUljE_EEESS_ST_SU_S11_S15_S17_T6_T7_T9_mT8_S19_bDpT10_ENKUlT_T0_E_clISt17integral_constantIbLb0EES1L_IbLb1EEEEDaS1H_S1I_EUlS1H_E_NS1_11comp_targetILNS1_3genE10ELNS1_11target_archE1200ELNS1_3gpuE4ELNS1_3repE0EEENS1_30default_config_static_selectorELNS0_4arch9wavefront6targetE1EEEvSV_.has_dyn_sized_stack, 0
	.set _ZN7rocprim17ROCPRIM_400000_NS6detail17trampoline_kernelINS0_13select_configILj256ELj13ELNS0_17block_load_methodE3ELS4_3ELS4_3ELNS0_20block_scan_algorithmE0ELj4294967295EEENS1_25partition_config_selectorILNS1_17partition_subalgoE3EjNS0_10empty_typeEbEEZZNS1_14partition_implILS8_3ELb0ES6_jNS0_17counting_iteratorIjlEEPS9_SE_NS0_5tupleIJPjSE_EEENSF_IJSE_SE_EEES9_SG_JZNS1_25segmented_radix_sort_implINS0_14default_configELb0EPKlPlSM_SN_N2at6native12_GLOBAL__N_18offset_tEEE10hipError_tPvRmT1_PNSt15iterator_traitsISV_E10value_typeET2_T3_PNSW_IS11_E10value_typeET4_jRbjT5_S17_jjP12ihipStream_tbEUljE_EEESS_ST_SU_S11_S15_S17_T6_T7_T9_mT8_S19_bDpT10_ENKUlT_T0_E_clISt17integral_constantIbLb0EES1L_IbLb1EEEEDaS1H_S1I_EUlS1H_E_NS1_11comp_targetILNS1_3genE10ELNS1_11target_archE1200ELNS1_3gpuE4ELNS1_3repE0EEENS1_30default_config_static_selectorELNS0_4arch9wavefront6targetE1EEEvSV_.has_recursion, 0
	.set _ZN7rocprim17ROCPRIM_400000_NS6detail17trampoline_kernelINS0_13select_configILj256ELj13ELNS0_17block_load_methodE3ELS4_3ELS4_3ELNS0_20block_scan_algorithmE0ELj4294967295EEENS1_25partition_config_selectorILNS1_17partition_subalgoE3EjNS0_10empty_typeEbEEZZNS1_14partition_implILS8_3ELb0ES6_jNS0_17counting_iteratorIjlEEPS9_SE_NS0_5tupleIJPjSE_EEENSF_IJSE_SE_EEES9_SG_JZNS1_25segmented_radix_sort_implINS0_14default_configELb0EPKlPlSM_SN_N2at6native12_GLOBAL__N_18offset_tEEE10hipError_tPvRmT1_PNSt15iterator_traitsISV_E10value_typeET2_T3_PNSW_IS11_E10value_typeET4_jRbjT5_S17_jjP12ihipStream_tbEUljE_EEESS_ST_SU_S11_S15_S17_T6_T7_T9_mT8_S19_bDpT10_ENKUlT_T0_E_clISt17integral_constantIbLb0EES1L_IbLb1EEEEDaS1H_S1I_EUlS1H_E_NS1_11comp_targetILNS1_3genE10ELNS1_11target_archE1200ELNS1_3gpuE4ELNS1_3repE0EEENS1_30default_config_static_selectorELNS0_4arch9wavefront6targetE1EEEvSV_.has_indirect_call, 0
	.section	.AMDGPU.csdata,"",@progbits
; Kernel info:
; codeLenInByte = 0
; TotalNumSgprs: 4
; NumVgprs: 0
; ScratchSize: 0
; MemoryBound: 0
; FloatMode: 240
; IeeeMode: 1
; LDSByteSize: 0 bytes/workgroup (compile time only)
; SGPRBlocks: 0
; VGPRBlocks: 0
; NumSGPRsForWavesPerEU: 4
; NumVGPRsForWavesPerEU: 1
; Occupancy: 10
; WaveLimiterHint : 0
; COMPUTE_PGM_RSRC2:SCRATCH_EN: 0
; COMPUTE_PGM_RSRC2:USER_SGPR: 6
; COMPUTE_PGM_RSRC2:TRAP_HANDLER: 0
; COMPUTE_PGM_RSRC2:TGID_X_EN: 1
; COMPUTE_PGM_RSRC2:TGID_Y_EN: 0
; COMPUTE_PGM_RSRC2:TGID_Z_EN: 0
; COMPUTE_PGM_RSRC2:TIDIG_COMP_CNT: 0
	.section	.text._ZN7rocprim17ROCPRIM_400000_NS6detail17trampoline_kernelINS0_13select_configILj256ELj13ELNS0_17block_load_methodE3ELS4_3ELS4_3ELNS0_20block_scan_algorithmE0ELj4294967295EEENS1_25partition_config_selectorILNS1_17partition_subalgoE3EjNS0_10empty_typeEbEEZZNS1_14partition_implILS8_3ELb0ES6_jNS0_17counting_iteratorIjlEEPS9_SE_NS0_5tupleIJPjSE_EEENSF_IJSE_SE_EEES9_SG_JZNS1_25segmented_radix_sort_implINS0_14default_configELb0EPKlPlSM_SN_N2at6native12_GLOBAL__N_18offset_tEEE10hipError_tPvRmT1_PNSt15iterator_traitsISV_E10value_typeET2_T3_PNSW_IS11_E10value_typeET4_jRbjT5_S17_jjP12ihipStream_tbEUljE_EEESS_ST_SU_S11_S15_S17_T6_T7_T9_mT8_S19_bDpT10_ENKUlT_T0_E_clISt17integral_constantIbLb0EES1L_IbLb1EEEEDaS1H_S1I_EUlS1H_E_NS1_11comp_targetILNS1_3genE9ELNS1_11target_archE1100ELNS1_3gpuE3ELNS1_3repE0EEENS1_30default_config_static_selectorELNS0_4arch9wavefront6targetE1EEEvSV_,"axG",@progbits,_ZN7rocprim17ROCPRIM_400000_NS6detail17trampoline_kernelINS0_13select_configILj256ELj13ELNS0_17block_load_methodE3ELS4_3ELS4_3ELNS0_20block_scan_algorithmE0ELj4294967295EEENS1_25partition_config_selectorILNS1_17partition_subalgoE3EjNS0_10empty_typeEbEEZZNS1_14partition_implILS8_3ELb0ES6_jNS0_17counting_iteratorIjlEEPS9_SE_NS0_5tupleIJPjSE_EEENSF_IJSE_SE_EEES9_SG_JZNS1_25segmented_radix_sort_implINS0_14default_configELb0EPKlPlSM_SN_N2at6native12_GLOBAL__N_18offset_tEEE10hipError_tPvRmT1_PNSt15iterator_traitsISV_E10value_typeET2_T3_PNSW_IS11_E10value_typeET4_jRbjT5_S17_jjP12ihipStream_tbEUljE_EEESS_ST_SU_S11_S15_S17_T6_T7_T9_mT8_S19_bDpT10_ENKUlT_T0_E_clISt17integral_constantIbLb0EES1L_IbLb1EEEEDaS1H_S1I_EUlS1H_E_NS1_11comp_targetILNS1_3genE9ELNS1_11target_archE1100ELNS1_3gpuE3ELNS1_3repE0EEENS1_30default_config_static_selectorELNS0_4arch9wavefront6targetE1EEEvSV_,comdat
	.globl	_ZN7rocprim17ROCPRIM_400000_NS6detail17trampoline_kernelINS0_13select_configILj256ELj13ELNS0_17block_load_methodE3ELS4_3ELS4_3ELNS0_20block_scan_algorithmE0ELj4294967295EEENS1_25partition_config_selectorILNS1_17partition_subalgoE3EjNS0_10empty_typeEbEEZZNS1_14partition_implILS8_3ELb0ES6_jNS0_17counting_iteratorIjlEEPS9_SE_NS0_5tupleIJPjSE_EEENSF_IJSE_SE_EEES9_SG_JZNS1_25segmented_radix_sort_implINS0_14default_configELb0EPKlPlSM_SN_N2at6native12_GLOBAL__N_18offset_tEEE10hipError_tPvRmT1_PNSt15iterator_traitsISV_E10value_typeET2_T3_PNSW_IS11_E10value_typeET4_jRbjT5_S17_jjP12ihipStream_tbEUljE_EEESS_ST_SU_S11_S15_S17_T6_T7_T9_mT8_S19_bDpT10_ENKUlT_T0_E_clISt17integral_constantIbLb0EES1L_IbLb1EEEEDaS1H_S1I_EUlS1H_E_NS1_11comp_targetILNS1_3genE9ELNS1_11target_archE1100ELNS1_3gpuE3ELNS1_3repE0EEENS1_30default_config_static_selectorELNS0_4arch9wavefront6targetE1EEEvSV_ ; -- Begin function _ZN7rocprim17ROCPRIM_400000_NS6detail17trampoline_kernelINS0_13select_configILj256ELj13ELNS0_17block_load_methodE3ELS4_3ELS4_3ELNS0_20block_scan_algorithmE0ELj4294967295EEENS1_25partition_config_selectorILNS1_17partition_subalgoE3EjNS0_10empty_typeEbEEZZNS1_14partition_implILS8_3ELb0ES6_jNS0_17counting_iteratorIjlEEPS9_SE_NS0_5tupleIJPjSE_EEENSF_IJSE_SE_EEES9_SG_JZNS1_25segmented_radix_sort_implINS0_14default_configELb0EPKlPlSM_SN_N2at6native12_GLOBAL__N_18offset_tEEE10hipError_tPvRmT1_PNSt15iterator_traitsISV_E10value_typeET2_T3_PNSW_IS11_E10value_typeET4_jRbjT5_S17_jjP12ihipStream_tbEUljE_EEESS_ST_SU_S11_S15_S17_T6_T7_T9_mT8_S19_bDpT10_ENKUlT_T0_E_clISt17integral_constantIbLb0EES1L_IbLb1EEEEDaS1H_S1I_EUlS1H_E_NS1_11comp_targetILNS1_3genE9ELNS1_11target_archE1100ELNS1_3gpuE3ELNS1_3repE0EEENS1_30default_config_static_selectorELNS0_4arch9wavefront6targetE1EEEvSV_
	.p2align	8
	.type	_ZN7rocprim17ROCPRIM_400000_NS6detail17trampoline_kernelINS0_13select_configILj256ELj13ELNS0_17block_load_methodE3ELS4_3ELS4_3ELNS0_20block_scan_algorithmE0ELj4294967295EEENS1_25partition_config_selectorILNS1_17partition_subalgoE3EjNS0_10empty_typeEbEEZZNS1_14partition_implILS8_3ELb0ES6_jNS0_17counting_iteratorIjlEEPS9_SE_NS0_5tupleIJPjSE_EEENSF_IJSE_SE_EEES9_SG_JZNS1_25segmented_radix_sort_implINS0_14default_configELb0EPKlPlSM_SN_N2at6native12_GLOBAL__N_18offset_tEEE10hipError_tPvRmT1_PNSt15iterator_traitsISV_E10value_typeET2_T3_PNSW_IS11_E10value_typeET4_jRbjT5_S17_jjP12ihipStream_tbEUljE_EEESS_ST_SU_S11_S15_S17_T6_T7_T9_mT8_S19_bDpT10_ENKUlT_T0_E_clISt17integral_constantIbLb0EES1L_IbLb1EEEEDaS1H_S1I_EUlS1H_E_NS1_11comp_targetILNS1_3genE9ELNS1_11target_archE1100ELNS1_3gpuE3ELNS1_3repE0EEENS1_30default_config_static_selectorELNS0_4arch9wavefront6targetE1EEEvSV_,@function
_ZN7rocprim17ROCPRIM_400000_NS6detail17trampoline_kernelINS0_13select_configILj256ELj13ELNS0_17block_load_methodE3ELS4_3ELS4_3ELNS0_20block_scan_algorithmE0ELj4294967295EEENS1_25partition_config_selectorILNS1_17partition_subalgoE3EjNS0_10empty_typeEbEEZZNS1_14partition_implILS8_3ELb0ES6_jNS0_17counting_iteratorIjlEEPS9_SE_NS0_5tupleIJPjSE_EEENSF_IJSE_SE_EEES9_SG_JZNS1_25segmented_radix_sort_implINS0_14default_configELb0EPKlPlSM_SN_N2at6native12_GLOBAL__N_18offset_tEEE10hipError_tPvRmT1_PNSt15iterator_traitsISV_E10value_typeET2_T3_PNSW_IS11_E10value_typeET4_jRbjT5_S17_jjP12ihipStream_tbEUljE_EEESS_ST_SU_S11_S15_S17_T6_T7_T9_mT8_S19_bDpT10_ENKUlT_T0_E_clISt17integral_constantIbLb0EES1L_IbLb1EEEEDaS1H_S1I_EUlS1H_E_NS1_11comp_targetILNS1_3genE9ELNS1_11target_archE1100ELNS1_3gpuE3ELNS1_3repE0EEENS1_30default_config_static_selectorELNS0_4arch9wavefront6targetE1EEEvSV_: ; @_ZN7rocprim17ROCPRIM_400000_NS6detail17trampoline_kernelINS0_13select_configILj256ELj13ELNS0_17block_load_methodE3ELS4_3ELS4_3ELNS0_20block_scan_algorithmE0ELj4294967295EEENS1_25partition_config_selectorILNS1_17partition_subalgoE3EjNS0_10empty_typeEbEEZZNS1_14partition_implILS8_3ELb0ES6_jNS0_17counting_iteratorIjlEEPS9_SE_NS0_5tupleIJPjSE_EEENSF_IJSE_SE_EEES9_SG_JZNS1_25segmented_radix_sort_implINS0_14default_configELb0EPKlPlSM_SN_N2at6native12_GLOBAL__N_18offset_tEEE10hipError_tPvRmT1_PNSt15iterator_traitsISV_E10value_typeET2_T3_PNSW_IS11_E10value_typeET4_jRbjT5_S17_jjP12ihipStream_tbEUljE_EEESS_ST_SU_S11_S15_S17_T6_T7_T9_mT8_S19_bDpT10_ENKUlT_T0_E_clISt17integral_constantIbLb0EES1L_IbLb1EEEEDaS1H_S1I_EUlS1H_E_NS1_11comp_targetILNS1_3genE9ELNS1_11target_archE1100ELNS1_3gpuE3ELNS1_3repE0EEENS1_30default_config_static_selectorELNS0_4arch9wavefront6targetE1EEEvSV_
; %bb.0:
	.section	.rodata,"a",@progbits
	.p2align	6, 0x0
	.amdhsa_kernel _ZN7rocprim17ROCPRIM_400000_NS6detail17trampoline_kernelINS0_13select_configILj256ELj13ELNS0_17block_load_methodE3ELS4_3ELS4_3ELNS0_20block_scan_algorithmE0ELj4294967295EEENS1_25partition_config_selectorILNS1_17partition_subalgoE3EjNS0_10empty_typeEbEEZZNS1_14partition_implILS8_3ELb0ES6_jNS0_17counting_iteratorIjlEEPS9_SE_NS0_5tupleIJPjSE_EEENSF_IJSE_SE_EEES9_SG_JZNS1_25segmented_radix_sort_implINS0_14default_configELb0EPKlPlSM_SN_N2at6native12_GLOBAL__N_18offset_tEEE10hipError_tPvRmT1_PNSt15iterator_traitsISV_E10value_typeET2_T3_PNSW_IS11_E10value_typeET4_jRbjT5_S17_jjP12ihipStream_tbEUljE_EEESS_ST_SU_S11_S15_S17_T6_T7_T9_mT8_S19_bDpT10_ENKUlT_T0_E_clISt17integral_constantIbLb0EES1L_IbLb1EEEEDaS1H_S1I_EUlS1H_E_NS1_11comp_targetILNS1_3genE9ELNS1_11target_archE1100ELNS1_3gpuE3ELNS1_3repE0EEENS1_30default_config_static_selectorELNS0_4arch9wavefront6targetE1EEEvSV_
		.amdhsa_group_segment_fixed_size 0
		.amdhsa_private_segment_fixed_size 0
		.amdhsa_kernarg_size 152
		.amdhsa_user_sgpr_count 6
		.amdhsa_user_sgpr_private_segment_buffer 1
		.amdhsa_user_sgpr_dispatch_ptr 0
		.amdhsa_user_sgpr_queue_ptr 0
		.amdhsa_user_sgpr_kernarg_segment_ptr 1
		.amdhsa_user_sgpr_dispatch_id 0
		.amdhsa_user_sgpr_flat_scratch_init 0
		.amdhsa_user_sgpr_private_segment_size 0
		.amdhsa_uses_dynamic_stack 0
		.amdhsa_system_sgpr_private_segment_wavefront_offset 0
		.amdhsa_system_sgpr_workgroup_id_x 1
		.amdhsa_system_sgpr_workgroup_id_y 0
		.amdhsa_system_sgpr_workgroup_id_z 0
		.amdhsa_system_sgpr_workgroup_info 0
		.amdhsa_system_vgpr_workitem_id 0
		.amdhsa_next_free_vgpr 1
		.amdhsa_next_free_sgpr 0
		.amdhsa_reserve_vcc 0
		.amdhsa_reserve_flat_scratch 0
		.amdhsa_float_round_mode_32 0
		.amdhsa_float_round_mode_16_64 0
		.amdhsa_float_denorm_mode_32 3
		.amdhsa_float_denorm_mode_16_64 3
		.amdhsa_dx10_clamp 1
		.amdhsa_ieee_mode 1
		.amdhsa_fp16_overflow 0
		.amdhsa_exception_fp_ieee_invalid_op 0
		.amdhsa_exception_fp_denorm_src 0
		.amdhsa_exception_fp_ieee_div_zero 0
		.amdhsa_exception_fp_ieee_overflow 0
		.amdhsa_exception_fp_ieee_underflow 0
		.amdhsa_exception_fp_ieee_inexact 0
		.amdhsa_exception_int_div_zero 0
	.end_amdhsa_kernel
	.section	.text._ZN7rocprim17ROCPRIM_400000_NS6detail17trampoline_kernelINS0_13select_configILj256ELj13ELNS0_17block_load_methodE3ELS4_3ELS4_3ELNS0_20block_scan_algorithmE0ELj4294967295EEENS1_25partition_config_selectorILNS1_17partition_subalgoE3EjNS0_10empty_typeEbEEZZNS1_14partition_implILS8_3ELb0ES6_jNS0_17counting_iteratorIjlEEPS9_SE_NS0_5tupleIJPjSE_EEENSF_IJSE_SE_EEES9_SG_JZNS1_25segmented_radix_sort_implINS0_14default_configELb0EPKlPlSM_SN_N2at6native12_GLOBAL__N_18offset_tEEE10hipError_tPvRmT1_PNSt15iterator_traitsISV_E10value_typeET2_T3_PNSW_IS11_E10value_typeET4_jRbjT5_S17_jjP12ihipStream_tbEUljE_EEESS_ST_SU_S11_S15_S17_T6_T7_T9_mT8_S19_bDpT10_ENKUlT_T0_E_clISt17integral_constantIbLb0EES1L_IbLb1EEEEDaS1H_S1I_EUlS1H_E_NS1_11comp_targetILNS1_3genE9ELNS1_11target_archE1100ELNS1_3gpuE3ELNS1_3repE0EEENS1_30default_config_static_selectorELNS0_4arch9wavefront6targetE1EEEvSV_,"axG",@progbits,_ZN7rocprim17ROCPRIM_400000_NS6detail17trampoline_kernelINS0_13select_configILj256ELj13ELNS0_17block_load_methodE3ELS4_3ELS4_3ELNS0_20block_scan_algorithmE0ELj4294967295EEENS1_25partition_config_selectorILNS1_17partition_subalgoE3EjNS0_10empty_typeEbEEZZNS1_14partition_implILS8_3ELb0ES6_jNS0_17counting_iteratorIjlEEPS9_SE_NS0_5tupleIJPjSE_EEENSF_IJSE_SE_EEES9_SG_JZNS1_25segmented_radix_sort_implINS0_14default_configELb0EPKlPlSM_SN_N2at6native12_GLOBAL__N_18offset_tEEE10hipError_tPvRmT1_PNSt15iterator_traitsISV_E10value_typeET2_T3_PNSW_IS11_E10value_typeET4_jRbjT5_S17_jjP12ihipStream_tbEUljE_EEESS_ST_SU_S11_S15_S17_T6_T7_T9_mT8_S19_bDpT10_ENKUlT_T0_E_clISt17integral_constantIbLb0EES1L_IbLb1EEEEDaS1H_S1I_EUlS1H_E_NS1_11comp_targetILNS1_3genE9ELNS1_11target_archE1100ELNS1_3gpuE3ELNS1_3repE0EEENS1_30default_config_static_selectorELNS0_4arch9wavefront6targetE1EEEvSV_,comdat
.Lfunc_end805:
	.size	_ZN7rocprim17ROCPRIM_400000_NS6detail17trampoline_kernelINS0_13select_configILj256ELj13ELNS0_17block_load_methodE3ELS4_3ELS4_3ELNS0_20block_scan_algorithmE0ELj4294967295EEENS1_25partition_config_selectorILNS1_17partition_subalgoE3EjNS0_10empty_typeEbEEZZNS1_14partition_implILS8_3ELb0ES6_jNS0_17counting_iteratorIjlEEPS9_SE_NS0_5tupleIJPjSE_EEENSF_IJSE_SE_EEES9_SG_JZNS1_25segmented_radix_sort_implINS0_14default_configELb0EPKlPlSM_SN_N2at6native12_GLOBAL__N_18offset_tEEE10hipError_tPvRmT1_PNSt15iterator_traitsISV_E10value_typeET2_T3_PNSW_IS11_E10value_typeET4_jRbjT5_S17_jjP12ihipStream_tbEUljE_EEESS_ST_SU_S11_S15_S17_T6_T7_T9_mT8_S19_bDpT10_ENKUlT_T0_E_clISt17integral_constantIbLb0EES1L_IbLb1EEEEDaS1H_S1I_EUlS1H_E_NS1_11comp_targetILNS1_3genE9ELNS1_11target_archE1100ELNS1_3gpuE3ELNS1_3repE0EEENS1_30default_config_static_selectorELNS0_4arch9wavefront6targetE1EEEvSV_, .Lfunc_end805-_ZN7rocprim17ROCPRIM_400000_NS6detail17trampoline_kernelINS0_13select_configILj256ELj13ELNS0_17block_load_methodE3ELS4_3ELS4_3ELNS0_20block_scan_algorithmE0ELj4294967295EEENS1_25partition_config_selectorILNS1_17partition_subalgoE3EjNS0_10empty_typeEbEEZZNS1_14partition_implILS8_3ELb0ES6_jNS0_17counting_iteratorIjlEEPS9_SE_NS0_5tupleIJPjSE_EEENSF_IJSE_SE_EEES9_SG_JZNS1_25segmented_radix_sort_implINS0_14default_configELb0EPKlPlSM_SN_N2at6native12_GLOBAL__N_18offset_tEEE10hipError_tPvRmT1_PNSt15iterator_traitsISV_E10value_typeET2_T3_PNSW_IS11_E10value_typeET4_jRbjT5_S17_jjP12ihipStream_tbEUljE_EEESS_ST_SU_S11_S15_S17_T6_T7_T9_mT8_S19_bDpT10_ENKUlT_T0_E_clISt17integral_constantIbLb0EES1L_IbLb1EEEEDaS1H_S1I_EUlS1H_E_NS1_11comp_targetILNS1_3genE9ELNS1_11target_archE1100ELNS1_3gpuE3ELNS1_3repE0EEENS1_30default_config_static_selectorELNS0_4arch9wavefront6targetE1EEEvSV_
                                        ; -- End function
	.set _ZN7rocprim17ROCPRIM_400000_NS6detail17trampoline_kernelINS0_13select_configILj256ELj13ELNS0_17block_load_methodE3ELS4_3ELS4_3ELNS0_20block_scan_algorithmE0ELj4294967295EEENS1_25partition_config_selectorILNS1_17partition_subalgoE3EjNS0_10empty_typeEbEEZZNS1_14partition_implILS8_3ELb0ES6_jNS0_17counting_iteratorIjlEEPS9_SE_NS0_5tupleIJPjSE_EEENSF_IJSE_SE_EEES9_SG_JZNS1_25segmented_radix_sort_implINS0_14default_configELb0EPKlPlSM_SN_N2at6native12_GLOBAL__N_18offset_tEEE10hipError_tPvRmT1_PNSt15iterator_traitsISV_E10value_typeET2_T3_PNSW_IS11_E10value_typeET4_jRbjT5_S17_jjP12ihipStream_tbEUljE_EEESS_ST_SU_S11_S15_S17_T6_T7_T9_mT8_S19_bDpT10_ENKUlT_T0_E_clISt17integral_constantIbLb0EES1L_IbLb1EEEEDaS1H_S1I_EUlS1H_E_NS1_11comp_targetILNS1_3genE9ELNS1_11target_archE1100ELNS1_3gpuE3ELNS1_3repE0EEENS1_30default_config_static_selectorELNS0_4arch9wavefront6targetE1EEEvSV_.num_vgpr, 0
	.set _ZN7rocprim17ROCPRIM_400000_NS6detail17trampoline_kernelINS0_13select_configILj256ELj13ELNS0_17block_load_methodE3ELS4_3ELS4_3ELNS0_20block_scan_algorithmE0ELj4294967295EEENS1_25partition_config_selectorILNS1_17partition_subalgoE3EjNS0_10empty_typeEbEEZZNS1_14partition_implILS8_3ELb0ES6_jNS0_17counting_iteratorIjlEEPS9_SE_NS0_5tupleIJPjSE_EEENSF_IJSE_SE_EEES9_SG_JZNS1_25segmented_radix_sort_implINS0_14default_configELb0EPKlPlSM_SN_N2at6native12_GLOBAL__N_18offset_tEEE10hipError_tPvRmT1_PNSt15iterator_traitsISV_E10value_typeET2_T3_PNSW_IS11_E10value_typeET4_jRbjT5_S17_jjP12ihipStream_tbEUljE_EEESS_ST_SU_S11_S15_S17_T6_T7_T9_mT8_S19_bDpT10_ENKUlT_T0_E_clISt17integral_constantIbLb0EES1L_IbLb1EEEEDaS1H_S1I_EUlS1H_E_NS1_11comp_targetILNS1_3genE9ELNS1_11target_archE1100ELNS1_3gpuE3ELNS1_3repE0EEENS1_30default_config_static_selectorELNS0_4arch9wavefront6targetE1EEEvSV_.num_agpr, 0
	.set _ZN7rocprim17ROCPRIM_400000_NS6detail17trampoline_kernelINS0_13select_configILj256ELj13ELNS0_17block_load_methodE3ELS4_3ELS4_3ELNS0_20block_scan_algorithmE0ELj4294967295EEENS1_25partition_config_selectorILNS1_17partition_subalgoE3EjNS0_10empty_typeEbEEZZNS1_14partition_implILS8_3ELb0ES6_jNS0_17counting_iteratorIjlEEPS9_SE_NS0_5tupleIJPjSE_EEENSF_IJSE_SE_EEES9_SG_JZNS1_25segmented_radix_sort_implINS0_14default_configELb0EPKlPlSM_SN_N2at6native12_GLOBAL__N_18offset_tEEE10hipError_tPvRmT1_PNSt15iterator_traitsISV_E10value_typeET2_T3_PNSW_IS11_E10value_typeET4_jRbjT5_S17_jjP12ihipStream_tbEUljE_EEESS_ST_SU_S11_S15_S17_T6_T7_T9_mT8_S19_bDpT10_ENKUlT_T0_E_clISt17integral_constantIbLb0EES1L_IbLb1EEEEDaS1H_S1I_EUlS1H_E_NS1_11comp_targetILNS1_3genE9ELNS1_11target_archE1100ELNS1_3gpuE3ELNS1_3repE0EEENS1_30default_config_static_selectorELNS0_4arch9wavefront6targetE1EEEvSV_.numbered_sgpr, 0
	.set _ZN7rocprim17ROCPRIM_400000_NS6detail17trampoline_kernelINS0_13select_configILj256ELj13ELNS0_17block_load_methodE3ELS4_3ELS4_3ELNS0_20block_scan_algorithmE0ELj4294967295EEENS1_25partition_config_selectorILNS1_17partition_subalgoE3EjNS0_10empty_typeEbEEZZNS1_14partition_implILS8_3ELb0ES6_jNS0_17counting_iteratorIjlEEPS9_SE_NS0_5tupleIJPjSE_EEENSF_IJSE_SE_EEES9_SG_JZNS1_25segmented_radix_sort_implINS0_14default_configELb0EPKlPlSM_SN_N2at6native12_GLOBAL__N_18offset_tEEE10hipError_tPvRmT1_PNSt15iterator_traitsISV_E10value_typeET2_T3_PNSW_IS11_E10value_typeET4_jRbjT5_S17_jjP12ihipStream_tbEUljE_EEESS_ST_SU_S11_S15_S17_T6_T7_T9_mT8_S19_bDpT10_ENKUlT_T0_E_clISt17integral_constantIbLb0EES1L_IbLb1EEEEDaS1H_S1I_EUlS1H_E_NS1_11comp_targetILNS1_3genE9ELNS1_11target_archE1100ELNS1_3gpuE3ELNS1_3repE0EEENS1_30default_config_static_selectorELNS0_4arch9wavefront6targetE1EEEvSV_.num_named_barrier, 0
	.set _ZN7rocprim17ROCPRIM_400000_NS6detail17trampoline_kernelINS0_13select_configILj256ELj13ELNS0_17block_load_methodE3ELS4_3ELS4_3ELNS0_20block_scan_algorithmE0ELj4294967295EEENS1_25partition_config_selectorILNS1_17partition_subalgoE3EjNS0_10empty_typeEbEEZZNS1_14partition_implILS8_3ELb0ES6_jNS0_17counting_iteratorIjlEEPS9_SE_NS0_5tupleIJPjSE_EEENSF_IJSE_SE_EEES9_SG_JZNS1_25segmented_radix_sort_implINS0_14default_configELb0EPKlPlSM_SN_N2at6native12_GLOBAL__N_18offset_tEEE10hipError_tPvRmT1_PNSt15iterator_traitsISV_E10value_typeET2_T3_PNSW_IS11_E10value_typeET4_jRbjT5_S17_jjP12ihipStream_tbEUljE_EEESS_ST_SU_S11_S15_S17_T6_T7_T9_mT8_S19_bDpT10_ENKUlT_T0_E_clISt17integral_constantIbLb0EES1L_IbLb1EEEEDaS1H_S1I_EUlS1H_E_NS1_11comp_targetILNS1_3genE9ELNS1_11target_archE1100ELNS1_3gpuE3ELNS1_3repE0EEENS1_30default_config_static_selectorELNS0_4arch9wavefront6targetE1EEEvSV_.private_seg_size, 0
	.set _ZN7rocprim17ROCPRIM_400000_NS6detail17trampoline_kernelINS0_13select_configILj256ELj13ELNS0_17block_load_methodE3ELS4_3ELS4_3ELNS0_20block_scan_algorithmE0ELj4294967295EEENS1_25partition_config_selectorILNS1_17partition_subalgoE3EjNS0_10empty_typeEbEEZZNS1_14partition_implILS8_3ELb0ES6_jNS0_17counting_iteratorIjlEEPS9_SE_NS0_5tupleIJPjSE_EEENSF_IJSE_SE_EEES9_SG_JZNS1_25segmented_radix_sort_implINS0_14default_configELb0EPKlPlSM_SN_N2at6native12_GLOBAL__N_18offset_tEEE10hipError_tPvRmT1_PNSt15iterator_traitsISV_E10value_typeET2_T3_PNSW_IS11_E10value_typeET4_jRbjT5_S17_jjP12ihipStream_tbEUljE_EEESS_ST_SU_S11_S15_S17_T6_T7_T9_mT8_S19_bDpT10_ENKUlT_T0_E_clISt17integral_constantIbLb0EES1L_IbLb1EEEEDaS1H_S1I_EUlS1H_E_NS1_11comp_targetILNS1_3genE9ELNS1_11target_archE1100ELNS1_3gpuE3ELNS1_3repE0EEENS1_30default_config_static_selectorELNS0_4arch9wavefront6targetE1EEEvSV_.uses_vcc, 0
	.set _ZN7rocprim17ROCPRIM_400000_NS6detail17trampoline_kernelINS0_13select_configILj256ELj13ELNS0_17block_load_methodE3ELS4_3ELS4_3ELNS0_20block_scan_algorithmE0ELj4294967295EEENS1_25partition_config_selectorILNS1_17partition_subalgoE3EjNS0_10empty_typeEbEEZZNS1_14partition_implILS8_3ELb0ES6_jNS0_17counting_iteratorIjlEEPS9_SE_NS0_5tupleIJPjSE_EEENSF_IJSE_SE_EEES9_SG_JZNS1_25segmented_radix_sort_implINS0_14default_configELb0EPKlPlSM_SN_N2at6native12_GLOBAL__N_18offset_tEEE10hipError_tPvRmT1_PNSt15iterator_traitsISV_E10value_typeET2_T3_PNSW_IS11_E10value_typeET4_jRbjT5_S17_jjP12ihipStream_tbEUljE_EEESS_ST_SU_S11_S15_S17_T6_T7_T9_mT8_S19_bDpT10_ENKUlT_T0_E_clISt17integral_constantIbLb0EES1L_IbLb1EEEEDaS1H_S1I_EUlS1H_E_NS1_11comp_targetILNS1_3genE9ELNS1_11target_archE1100ELNS1_3gpuE3ELNS1_3repE0EEENS1_30default_config_static_selectorELNS0_4arch9wavefront6targetE1EEEvSV_.uses_flat_scratch, 0
	.set _ZN7rocprim17ROCPRIM_400000_NS6detail17trampoline_kernelINS0_13select_configILj256ELj13ELNS0_17block_load_methodE3ELS4_3ELS4_3ELNS0_20block_scan_algorithmE0ELj4294967295EEENS1_25partition_config_selectorILNS1_17partition_subalgoE3EjNS0_10empty_typeEbEEZZNS1_14partition_implILS8_3ELb0ES6_jNS0_17counting_iteratorIjlEEPS9_SE_NS0_5tupleIJPjSE_EEENSF_IJSE_SE_EEES9_SG_JZNS1_25segmented_radix_sort_implINS0_14default_configELb0EPKlPlSM_SN_N2at6native12_GLOBAL__N_18offset_tEEE10hipError_tPvRmT1_PNSt15iterator_traitsISV_E10value_typeET2_T3_PNSW_IS11_E10value_typeET4_jRbjT5_S17_jjP12ihipStream_tbEUljE_EEESS_ST_SU_S11_S15_S17_T6_T7_T9_mT8_S19_bDpT10_ENKUlT_T0_E_clISt17integral_constantIbLb0EES1L_IbLb1EEEEDaS1H_S1I_EUlS1H_E_NS1_11comp_targetILNS1_3genE9ELNS1_11target_archE1100ELNS1_3gpuE3ELNS1_3repE0EEENS1_30default_config_static_selectorELNS0_4arch9wavefront6targetE1EEEvSV_.has_dyn_sized_stack, 0
	.set _ZN7rocprim17ROCPRIM_400000_NS6detail17trampoline_kernelINS0_13select_configILj256ELj13ELNS0_17block_load_methodE3ELS4_3ELS4_3ELNS0_20block_scan_algorithmE0ELj4294967295EEENS1_25partition_config_selectorILNS1_17partition_subalgoE3EjNS0_10empty_typeEbEEZZNS1_14partition_implILS8_3ELb0ES6_jNS0_17counting_iteratorIjlEEPS9_SE_NS0_5tupleIJPjSE_EEENSF_IJSE_SE_EEES9_SG_JZNS1_25segmented_radix_sort_implINS0_14default_configELb0EPKlPlSM_SN_N2at6native12_GLOBAL__N_18offset_tEEE10hipError_tPvRmT1_PNSt15iterator_traitsISV_E10value_typeET2_T3_PNSW_IS11_E10value_typeET4_jRbjT5_S17_jjP12ihipStream_tbEUljE_EEESS_ST_SU_S11_S15_S17_T6_T7_T9_mT8_S19_bDpT10_ENKUlT_T0_E_clISt17integral_constantIbLb0EES1L_IbLb1EEEEDaS1H_S1I_EUlS1H_E_NS1_11comp_targetILNS1_3genE9ELNS1_11target_archE1100ELNS1_3gpuE3ELNS1_3repE0EEENS1_30default_config_static_selectorELNS0_4arch9wavefront6targetE1EEEvSV_.has_recursion, 0
	.set _ZN7rocprim17ROCPRIM_400000_NS6detail17trampoline_kernelINS0_13select_configILj256ELj13ELNS0_17block_load_methodE3ELS4_3ELS4_3ELNS0_20block_scan_algorithmE0ELj4294967295EEENS1_25partition_config_selectorILNS1_17partition_subalgoE3EjNS0_10empty_typeEbEEZZNS1_14partition_implILS8_3ELb0ES6_jNS0_17counting_iteratorIjlEEPS9_SE_NS0_5tupleIJPjSE_EEENSF_IJSE_SE_EEES9_SG_JZNS1_25segmented_radix_sort_implINS0_14default_configELb0EPKlPlSM_SN_N2at6native12_GLOBAL__N_18offset_tEEE10hipError_tPvRmT1_PNSt15iterator_traitsISV_E10value_typeET2_T3_PNSW_IS11_E10value_typeET4_jRbjT5_S17_jjP12ihipStream_tbEUljE_EEESS_ST_SU_S11_S15_S17_T6_T7_T9_mT8_S19_bDpT10_ENKUlT_T0_E_clISt17integral_constantIbLb0EES1L_IbLb1EEEEDaS1H_S1I_EUlS1H_E_NS1_11comp_targetILNS1_3genE9ELNS1_11target_archE1100ELNS1_3gpuE3ELNS1_3repE0EEENS1_30default_config_static_selectorELNS0_4arch9wavefront6targetE1EEEvSV_.has_indirect_call, 0
	.section	.AMDGPU.csdata,"",@progbits
; Kernel info:
; codeLenInByte = 0
; TotalNumSgprs: 4
; NumVgprs: 0
; ScratchSize: 0
; MemoryBound: 0
; FloatMode: 240
; IeeeMode: 1
; LDSByteSize: 0 bytes/workgroup (compile time only)
; SGPRBlocks: 0
; VGPRBlocks: 0
; NumSGPRsForWavesPerEU: 4
; NumVGPRsForWavesPerEU: 1
; Occupancy: 10
; WaveLimiterHint : 0
; COMPUTE_PGM_RSRC2:SCRATCH_EN: 0
; COMPUTE_PGM_RSRC2:USER_SGPR: 6
; COMPUTE_PGM_RSRC2:TRAP_HANDLER: 0
; COMPUTE_PGM_RSRC2:TGID_X_EN: 1
; COMPUTE_PGM_RSRC2:TGID_Y_EN: 0
; COMPUTE_PGM_RSRC2:TGID_Z_EN: 0
; COMPUTE_PGM_RSRC2:TIDIG_COMP_CNT: 0
	.section	.text._ZN7rocprim17ROCPRIM_400000_NS6detail17trampoline_kernelINS0_13select_configILj256ELj13ELNS0_17block_load_methodE3ELS4_3ELS4_3ELNS0_20block_scan_algorithmE0ELj4294967295EEENS1_25partition_config_selectorILNS1_17partition_subalgoE3EjNS0_10empty_typeEbEEZZNS1_14partition_implILS8_3ELb0ES6_jNS0_17counting_iteratorIjlEEPS9_SE_NS0_5tupleIJPjSE_EEENSF_IJSE_SE_EEES9_SG_JZNS1_25segmented_radix_sort_implINS0_14default_configELb0EPKlPlSM_SN_N2at6native12_GLOBAL__N_18offset_tEEE10hipError_tPvRmT1_PNSt15iterator_traitsISV_E10value_typeET2_T3_PNSW_IS11_E10value_typeET4_jRbjT5_S17_jjP12ihipStream_tbEUljE_EEESS_ST_SU_S11_S15_S17_T6_T7_T9_mT8_S19_bDpT10_ENKUlT_T0_E_clISt17integral_constantIbLb0EES1L_IbLb1EEEEDaS1H_S1I_EUlS1H_E_NS1_11comp_targetILNS1_3genE8ELNS1_11target_archE1030ELNS1_3gpuE2ELNS1_3repE0EEENS1_30default_config_static_selectorELNS0_4arch9wavefront6targetE1EEEvSV_,"axG",@progbits,_ZN7rocprim17ROCPRIM_400000_NS6detail17trampoline_kernelINS0_13select_configILj256ELj13ELNS0_17block_load_methodE3ELS4_3ELS4_3ELNS0_20block_scan_algorithmE0ELj4294967295EEENS1_25partition_config_selectorILNS1_17partition_subalgoE3EjNS0_10empty_typeEbEEZZNS1_14partition_implILS8_3ELb0ES6_jNS0_17counting_iteratorIjlEEPS9_SE_NS0_5tupleIJPjSE_EEENSF_IJSE_SE_EEES9_SG_JZNS1_25segmented_radix_sort_implINS0_14default_configELb0EPKlPlSM_SN_N2at6native12_GLOBAL__N_18offset_tEEE10hipError_tPvRmT1_PNSt15iterator_traitsISV_E10value_typeET2_T3_PNSW_IS11_E10value_typeET4_jRbjT5_S17_jjP12ihipStream_tbEUljE_EEESS_ST_SU_S11_S15_S17_T6_T7_T9_mT8_S19_bDpT10_ENKUlT_T0_E_clISt17integral_constantIbLb0EES1L_IbLb1EEEEDaS1H_S1I_EUlS1H_E_NS1_11comp_targetILNS1_3genE8ELNS1_11target_archE1030ELNS1_3gpuE2ELNS1_3repE0EEENS1_30default_config_static_selectorELNS0_4arch9wavefront6targetE1EEEvSV_,comdat
	.globl	_ZN7rocprim17ROCPRIM_400000_NS6detail17trampoline_kernelINS0_13select_configILj256ELj13ELNS0_17block_load_methodE3ELS4_3ELS4_3ELNS0_20block_scan_algorithmE0ELj4294967295EEENS1_25partition_config_selectorILNS1_17partition_subalgoE3EjNS0_10empty_typeEbEEZZNS1_14partition_implILS8_3ELb0ES6_jNS0_17counting_iteratorIjlEEPS9_SE_NS0_5tupleIJPjSE_EEENSF_IJSE_SE_EEES9_SG_JZNS1_25segmented_radix_sort_implINS0_14default_configELb0EPKlPlSM_SN_N2at6native12_GLOBAL__N_18offset_tEEE10hipError_tPvRmT1_PNSt15iterator_traitsISV_E10value_typeET2_T3_PNSW_IS11_E10value_typeET4_jRbjT5_S17_jjP12ihipStream_tbEUljE_EEESS_ST_SU_S11_S15_S17_T6_T7_T9_mT8_S19_bDpT10_ENKUlT_T0_E_clISt17integral_constantIbLb0EES1L_IbLb1EEEEDaS1H_S1I_EUlS1H_E_NS1_11comp_targetILNS1_3genE8ELNS1_11target_archE1030ELNS1_3gpuE2ELNS1_3repE0EEENS1_30default_config_static_selectorELNS0_4arch9wavefront6targetE1EEEvSV_ ; -- Begin function _ZN7rocprim17ROCPRIM_400000_NS6detail17trampoline_kernelINS0_13select_configILj256ELj13ELNS0_17block_load_methodE3ELS4_3ELS4_3ELNS0_20block_scan_algorithmE0ELj4294967295EEENS1_25partition_config_selectorILNS1_17partition_subalgoE3EjNS0_10empty_typeEbEEZZNS1_14partition_implILS8_3ELb0ES6_jNS0_17counting_iteratorIjlEEPS9_SE_NS0_5tupleIJPjSE_EEENSF_IJSE_SE_EEES9_SG_JZNS1_25segmented_radix_sort_implINS0_14default_configELb0EPKlPlSM_SN_N2at6native12_GLOBAL__N_18offset_tEEE10hipError_tPvRmT1_PNSt15iterator_traitsISV_E10value_typeET2_T3_PNSW_IS11_E10value_typeET4_jRbjT5_S17_jjP12ihipStream_tbEUljE_EEESS_ST_SU_S11_S15_S17_T6_T7_T9_mT8_S19_bDpT10_ENKUlT_T0_E_clISt17integral_constantIbLb0EES1L_IbLb1EEEEDaS1H_S1I_EUlS1H_E_NS1_11comp_targetILNS1_3genE8ELNS1_11target_archE1030ELNS1_3gpuE2ELNS1_3repE0EEENS1_30default_config_static_selectorELNS0_4arch9wavefront6targetE1EEEvSV_
	.p2align	8
	.type	_ZN7rocprim17ROCPRIM_400000_NS6detail17trampoline_kernelINS0_13select_configILj256ELj13ELNS0_17block_load_methodE3ELS4_3ELS4_3ELNS0_20block_scan_algorithmE0ELj4294967295EEENS1_25partition_config_selectorILNS1_17partition_subalgoE3EjNS0_10empty_typeEbEEZZNS1_14partition_implILS8_3ELb0ES6_jNS0_17counting_iteratorIjlEEPS9_SE_NS0_5tupleIJPjSE_EEENSF_IJSE_SE_EEES9_SG_JZNS1_25segmented_radix_sort_implINS0_14default_configELb0EPKlPlSM_SN_N2at6native12_GLOBAL__N_18offset_tEEE10hipError_tPvRmT1_PNSt15iterator_traitsISV_E10value_typeET2_T3_PNSW_IS11_E10value_typeET4_jRbjT5_S17_jjP12ihipStream_tbEUljE_EEESS_ST_SU_S11_S15_S17_T6_T7_T9_mT8_S19_bDpT10_ENKUlT_T0_E_clISt17integral_constantIbLb0EES1L_IbLb1EEEEDaS1H_S1I_EUlS1H_E_NS1_11comp_targetILNS1_3genE8ELNS1_11target_archE1030ELNS1_3gpuE2ELNS1_3repE0EEENS1_30default_config_static_selectorELNS0_4arch9wavefront6targetE1EEEvSV_,@function
_ZN7rocprim17ROCPRIM_400000_NS6detail17trampoline_kernelINS0_13select_configILj256ELj13ELNS0_17block_load_methodE3ELS4_3ELS4_3ELNS0_20block_scan_algorithmE0ELj4294967295EEENS1_25partition_config_selectorILNS1_17partition_subalgoE3EjNS0_10empty_typeEbEEZZNS1_14partition_implILS8_3ELb0ES6_jNS0_17counting_iteratorIjlEEPS9_SE_NS0_5tupleIJPjSE_EEENSF_IJSE_SE_EEES9_SG_JZNS1_25segmented_radix_sort_implINS0_14default_configELb0EPKlPlSM_SN_N2at6native12_GLOBAL__N_18offset_tEEE10hipError_tPvRmT1_PNSt15iterator_traitsISV_E10value_typeET2_T3_PNSW_IS11_E10value_typeET4_jRbjT5_S17_jjP12ihipStream_tbEUljE_EEESS_ST_SU_S11_S15_S17_T6_T7_T9_mT8_S19_bDpT10_ENKUlT_T0_E_clISt17integral_constantIbLb0EES1L_IbLb1EEEEDaS1H_S1I_EUlS1H_E_NS1_11comp_targetILNS1_3genE8ELNS1_11target_archE1030ELNS1_3gpuE2ELNS1_3repE0EEENS1_30default_config_static_selectorELNS0_4arch9wavefront6targetE1EEEvSV_: ; @_ZN7rocprim17ROCPRIM_400000_NS6detail17trampoline_kernelINS0_13select_configILj256ELj13ELNS0_17block_load_methodE3ELS4_3ELS4_3ELNS0_20block_scan_algorithmE0ELj4294967295EEENS1_25partition_config_selectorILNS1_17partition_subalgoE3EjNS0_10empty_typeEbEEZZNS1_14partition_implILS8_3ELb0ES6_jNS0_17counting_iteratorIjlEEPS9_SE_NS0_5tupleIJPjSE_EEENSF_IJSE_SE_EEES9_SG_JZNS1_25segmented_radix_sort_implINS0_14default_configELb0EPKlPlSM_SN_N2at6native12_GLOBAL__N_18offset_tEEE10hipError_tPvRmT1_PNSt15iterator_traitsISV_E10value_typeET2_T3_PNSW_IS11_E10value_typeET4_jRbjT5_S17_jjP12ihipStream_tbEUljE_EEESS_ST_SU_S11_S15_S17_T6_T7_T9_mT8_S19_bDpT10_ENKUlT_T0_E_clISt17integral_constantIbLb0EES1L_IbLb1EEEEDaS1H_S1I_EUlS1H_E_NS1_11comp_targetILNS1_3genE8ELNS1_11target_archE1030ELNS1_3gpuE2ELNS1_3repE0EEENS1_30default_config_static_selectorELNS0_4arch9wavefront6targetE1EEEvSV_
; %bb.0:
	.section	.rodata,"a",@progbits
	.p2align	6, 0x0
	.amdhsa_kernel _ZN7rocprim17ROCPRIM_400000_NS6detail17trampoline_kernelINS0_13select_configILj256ELj13ELNS0_17block_load_methodE3ELS4_3ELS4_3ELNS0_20block_scan_algorithmE0ELj4294967295EEENS1_25partition_config_selectorILNS1_17partition_subalgoE3EjNS0_10empty_typeEbEEZZNS1_14partition_implILS8_3ELb0ES6_jNS0_17counting_iteratorIjlEEPS9_SE_NS0_5tupleIJPjSE_EEENSF_IJSE_SE_EEES9_SG_JZNS1_25segmented_radix_sort_implINS0_14default_configELb0EPKlPlSM_SN_N2at6native12_GLOBAL__N_18offset_tEEE10hipError_tPvRmT1_PNSt15iterator_traitsISV_E10value_typeET2_T3_PNSW_IS11_E10value_typeET4_jRbjT5_S17_jjP12ihipStream_tbEUljE_EEESS_ST_SU_S11_S15_S17_T6_T7_T9_mT8_S19_bDpT10_ENKUlT_T0_E_clISt17integral_constantIbLb0EES1L_IbLb1EEEEDaS1H_S1I_EUlS1H_E_NS1_11comp_targetILNS1_3genE8ELNS1_11target_archE1030ELNS1_3gpuE2ELNS1_3repE0EEENS1_30default_config_static_selectorELNS0_4arch9wavefront6targetE1EEEvSV_
		.amdhsa_group_segment_fixed_size 0
		.amdhsa_private_segment_fixed_size 0
		.amdhsa_kernarg_size 152
		.amdhsa_user_sgpr_count 6
		.amdhsa_user_sgpr_private_segment_buffer 1
		.amdhsa_user_sgpr_dispatch_ptr 0
		.amdhsa_user_sgpr_queue_ptr 0
		.amdhsa_user_sgpr_kernarg_segment_ptr 1
		.amdhsa_user_sgpr_dispatch_id 0
		.amdhsa_user_sgpr_flat_scratch_init 0
		.amdhsa_user_sgpr_private_segment_size 0
		.amdhsa_uses_dynamic_stack 0
		.amdhsa_system_sgpr_private_segment_wavefront_offset 0
		.amdhsa_system_sgpr_workgroup_id_x 1
		.amdhsa_system_sgpr_workgroup_id_y 0
		.amdhsa_system_sgpr_workgroup_id_z 0
		.amdhsa_system_sgpr_workgroup_info 0
		.amdhsa_system_vgpr_workitem_id 0
		.amdhsa_next_free_vgpr 1
		.amdhsa_next_free_sgpr 0
		.amdhsa_reserve_vcc 0
		.amdhsa_reserve_flat_scratch 0
		.amdhsa_float_round_mode_32 0
		.amdhsa_float_round_mode_16_64 0
		.amdhsa_float_denorm_mode_32 3
		.amdhsa_float_denorm_mode_16_64 3
		.amdhsa_dx10_clamp 1
		.amdhsa_ieee_mode 1
		.amdhsa_fp16_overflow 0
		.amdhsa_exception_fp_ieee_invalid_op 0
		.amdhsa_exception_fp_denorm_src 0
		.amdhsa_exception_fp_ieee_div_zero 0
		.amdhsa_exception_fp_ieee_overflow 0
		.amdhsa_exception_fp_ieee_underflow 0
		.amdhsa_exception_fp_ieee_inexact 0
		.amdhsa_exception_int_div_zero 0
	.end_amdhsa_kernel
	.section	.text._ZN7rocprim17ROCPRIM_400000_NS6detail17trampoline_kernelINS0_13select_configILj256ELj13ELNS0_17block_load_methodE3ELS4_3ELS4_3ELNS0_20block_scan_algorithmE0ELj4294967295EEENS1_25partition_config_selectorILNS1_17partition_subalgoE3EjNS0_10empty_typeEbEEZZNS1_14partition_implILS8_3ELb0ES6_jNS0_17counting_iteratorIjlEEPS9_SE_NS0_5tupleIJPjSE_EEENSF_IJSE_SE_EEES9_SG_JZNS1_25segmented_radix_sort_implINS0_14default_configELb0EPKlPlSM_SN_N2at6native12_GLOBAL__N_18offset_tEEE10hipError_tPvRmT1_PNSt15iterator_traitsISV_E10value_typeET2_T3_PNSW_IS11_E10value_typeET4_jRbjT5_S17_jjP12ihipStream_tbEUljE_EEESS_ST_SU_S11_S15_S17_T6_T7_T9_mT8_S19_bDpT10_ENKUlT_T0_E_clISt17integral_constantIbLb0EES1L_IbLb1EEEEDaS1H_S1I_EUlS1H_E_NS1_11comp_targetILNS1_3genE8ELNS1_11target_archE1030ELNS1_3gpuE2ELNS1_3repE0EEENS1_30default_config_static_selectorELNS0_4arch9wavefront6targetE1EEEvSV_,"axG",@progbits,_ZN7rocprim17ROCPRIM_400000_NS6detail17trampoline_kernelINS0_13select_configILj256ELj13ELNS0_17block_load_methodE3ELS4_3ELS4_3ELNS0_20block_scan_algorithmE0ELj4294967295EEENS1_25partition_config_selectorILNS1_17partition_subalgoE3EjNS0_10empty_typeEbEEZZNS1_14partition_implILS8_3ELb0ES6_jNS0_17counting_iteratorIjlEEPS9_SE_NS0_5tupleIJPjSE_EEENSF_IJSE_SE_EEES9_SG_JZNS1_25segmented_radix_sort_implINS0_14default_configELb0EPKlPlSM_SN_N2at6native12_GLOBAL__N_18offset_tEEE10hipError_tPvRmT1_PNSt15iterator_traitsISV_E10value_typeET2_T3_PNSW_IS11_E10value_typeET4_jRbjT5_S17_jjP12ihipStream_tbEUljE_EEESS_ST_SU_S11_S15_S17_T6_T7_T9_mT8_S19_bDpT10_ENKUlT_T0_E_clISt17integral_constantIbLb0EES1L_IbLb1EEEEDaS1H_S1I_EUlS1H_E_NS1_11comp_targetILNS1_3genE8ELNS1_11target_archE1030ELNS1_3gpuE2ELNS1_3repE0EEENS1_30default_config_static_selectorELNS0_4arch9wavefront6targetE1EEEvSV_,comdat
.Lfunc_end806:
	.size	_ZN7rocprim17ROCPRIM_400000_NS6detail17trampoline_kernelINS0_13select_configILj256ELj13ELNS0_17block_load_methodE3ELS4_3ELS4_3ELNS0_20block_scan_algorithmE0ELj4294967295EEENS1_25partition_config_selectorILNS1_17partition_subalgoE3EjNS0_10empty_typeEbEEZZNS1_14partition_implILS8_3ELb0ES6_jNS0_17counting_iteratorIjlEEPS9_SE_NS0_5tupleIJPjSE_EEENSF_IJSE_SE_EEES9_SG_JZNS1_25segmented_radix_sort_implINS0_14default_configELb0EPKlPlSM_SN_N2at6native12_GLOBAL__N_18offset_tEEE10hipError_tPvRmT1_PNSt15iterator_traitsISV_E10value_typeET2_T3_PNSW_IS11_E10value_typeET4_jRbjT5_S17_jjP12ihipStream_tbEUljE_EEESS_ST_SU_S11_S15_S17_T6_T7_T9_mT8_S19_bDpT10_ENKUlT_T0_E_clISt17integral_constantIbLb0EES1L_IbLb1EEEEDaS1H_S1I_EUlS1H_E_NS1_11comp_targetILNS1_3genE8ELNS1_11target_archE1030ELNS1_3gpuE2ELNS1_3repE0EEENS1_30default_config_static_selectorELNS0_4arch9wavefront6targetE1EEEvSV_, .Lfunc_end806-_ZN7rocprim17ROCPRIM_400000_NS6detail17trampoline_kernelINS0_13select_configILj256ELj13ELNS0_17block_load_methodE3ELS4_3ELS4_3ELNS0_20block_scan_algorithmE0ELj4294967295EEENS1_25partition_config_selectorILNS1_17partition_subalgoE3EjNS0_10empty_typeEbEEZZNS1_14partition_implILS8_3ELb0ES6_jNS0_17counting_iteratorIjlEEPS9_SE_NS0_5tupleIJPjSE_EEENSF_IJSE_SE_EEES9_SG_JZNS1_25segmented_radix_sort_implINS0_14default_configELb0EPKlPlSM_SN_N2at6native12_GLOBAL__N_18offset_tEEE10hipError_tPvRmT1_PNSt15iterator_traitsISV_E10value_typeET2_T3_PNSW_IS11_E10value_typeET4_jRbjT5_S17_jjP12ihipStream_tbEUljE_EEESS_ST_SU_S11_S15_S17_T6_T7_T9_mT8_S19_bDpT10_ENKUlT_T0_E_clISt17integral_constantIbLb0EES1L_IbLb1EEEEDaS1H_S1I_EUlS1H_E_NS1_11comp_targetILNS1_3genE8ELNS1_11target_archE1030ELNS1_3gpuE2ELNS1_3repE0EEENS1_30default_config_static_selectorELNS0_4arch9wavefront6targetE1EEEvSV_
                                        ; -- End function
	.set _ZN7rocprim17ROCPRIM_400000_NS6detail17trampoline_kernelINS0_13select_configILj256ELj13ELNS0_17block_load_methodE3ELS4_3ELS4_3ELNS0_20block_scan_algorithmE0ELj4294967295EEENS1_25partition_config_selectorILNS1_17partition_subalgoE3EjNS0_10empty_typeEbEEZZNS1_14partition_implILS8_3ELb0ES6_jNS0_17counting_iteratorIjlEEPS9_SE_NS0_5tupleIJPjSE_EEENSF_IJSE_SE_EEES9_SG_JZNS1_25segmented_radix_sort_implINS0_14default_configELb0EPKlPlSM_SN_N2at6native12_GLOBAL__N_18offset_tEEE10hipError_tPvRmT1_PNSt15iterator_traitsISV_E10value_typeET2_T3_PNSW_IS11_E10value_typeET4_jRbjT5_S17_jjP12ihipStream_tbEUljE_EEESS_ST_SU_S11_S15_S17_T6_T7_T9_mT8_S19_bDpT10_ENKUlT_T0_E_clISt17integral_constantIbLb0EES1L_IbLb1EEEEDaS1H_S1I_EUlS1H_E_NS1_11comp_targetILNS1_3genE8ELNS1_11target_archE1030ELNS1_3gpuE2ELNS1_3repE0EEENS1_30default_config_static_selectorELNS0_4arch9wavefront6targetE1EEEvSV_.num_vgpr, 0
	.set _ZN7rocprim17ROCPRIM_400000_NS6detail17trampoline_kernelINS0_13select_configILj256ELj13ELNS0_17block_load_methodE3ELS4_3ELS4_3ELNS0_20block_scan_algorithmE0ELj4294967295EEENS1_25partition_config_selectorILNS1_17partition_subalgoE3EjNS0_10empty_typeEbEEZZNS1_14partition_implILS8_3ELb0ES6_jNS0_17counting_iteratorIjlEEPS9_SE_NS0_5tupleIJPjSE_EEENSF_IJSE_SE_EEES9_SG_JZNS1_25segmented_radix_sort_implINS0_14default_configELb0EPKlPlSM_SN_N2at6native12_GLOBAL__N_18offset_tEEE10hipError_tPvRmT1_PNSt15iterator_traitsISV_E10value_typeET2_T3_PNSW_IS11_E10value_typeET4_jRbjT5_S17_jjP12ihipStream_tbEUljE_EEESS_ST_SU_S11_S15_S17_T6_T7_T9_mT8_S19_bDpT10_ENKUlT_T0_E_clISt17integral_constantIbLb0EES1L_IbLb1EEEEDaS1H_S1I_EUlS1H_E_NS1_11comp_targetILNS1_3genE8ELNS1_11target_archE1030ELNS1_3gpuE2ELNS1_3repE0EEENS1_30default_config_static_selectorELNS0_4arch9wavefront6targetE1EEEvSV_.num_agpr, 0
	.set _ZN7rocprim17ROCPRIM_400000_NS6detail17trampoline_kernelINS0_13select_configILj256ELj13ELNS0_17block_load_methodE3ELS4_3ELS4_3ELNS0_20block_scan_algorithmE0ELj4294967295EEENS1_25partition_config_selectorILNS1_17partition_subalgoE3EjNS0_10empty_typeEbEEZZNS1_14partition_implILS8_3ELb0ES6_jNS0_17counting_iteratorIjlEEPS9_SE_NS0_5tupleIJPjSE_EEENSF_IJSE_SE_EEES9_SG_JZNS1_25segmented_radix_sort_implINS0_14default_configELb0EPKlPlSM_SN_N2at6native12_GLOBAL__N_18offset_tEEE10hipError_tPvRmT1_PNSt15iterator_traitsISV_E10value_typeET2_T3_PNSW_IS11_E10value_typeET4_jRbjT5_S17_jjP12ihipStream_tbEUljE_EEESS_ST_SU_S11_S15_S17_T6_T7_T9_mT8_S19_bDpT10_ENKUlT_T0_E_clISt17integral_constantIbLb0EES1L_IbLb1EEEEDaS1H_S1I_EUlS1H_E_NS1_11comp_targetILNS1_3genE8ELNS1_11target_archE1030ELNS1_3gpuE2ELNS1_3repE0EEENS1_30default_config_static_selectorELNS0_4arch9wavefront6targetE1EEEvSV_.numbered_sgpr, 0
	.set _ZN7rocprim17ROCPRIM_400000_NS6detail17trampoline_kernelINS0_13select_configILj256ELj13ELNS0_17block_load_methodE3ELS4_3ELS4_3ELNS0_20block_scan_algorithmE0ELj4294967295EEENS1_25partition_config_selectorILNS1_17partition_subalgoE3EjNS0_10empty_typeEbEEZZNS1_14partition_implILS8_3ELb0ES6_jNS0_17counting_iteratorIjlEEPS9_SE_NS0_5tupleIJPjSE_EEENSF_IJSE_SE_EEES9_SG_JZNS1_25segmented_radix_sort_implINS0_14default_configELb0EPKlPlSM_SN_N2at6native12_GLOBAL__N_18offset_tEEE10hipError_tPvRmT1_PNSt15iterator_traitsISV_E10value_typeET2_T3_PNSW_IS11_E10value_typeET4_jRbjT5_S17_jjP12ihipStream_tbEUljE_EEESS_ST_SU_S11_S15_S17_T6_T7_T9_mT8_S19_bDpT10_ENKUlT_T0_E_clISt17integral_constantIbLb0EES1L_IbLb1EEEEDaS1H_S1I_EUlS1H_E_NS1_11comp_targetILNS1_3genE8ELNS1_11target_archE1030ELNS1_3gpuE2ELNS1_3repE0EEENS1_30default_config_static_selectorELNS0_4arch9wavefront6targetE1EEEvSV_.num_named_barrier, 0
	.set _ZN7rocprim17ROCPRIM_400000_NS6detail17trampoline_kernelINS0_13select_configILj256ELj13ELNS0_17block_load_methodE3ELS4_3ELS4_3ELNS0_20block_scan_algorithmE0ELj4294967295EEENS1_25partition_config_selectorILNS1_17partition_subalgoE3EjNS0_10empty_typeEbEEZZNS1_14partition_implILS8_3ELb0ES6_jNS0_17counting_iteratorIjlEEPS9_SE_NS0_5tupleIJPjSE_EEENSF_IJSE_SE_EEES9_SG_JZNS1_25segmented_radix_sort_implINS0_14default_configELb0EPKlPlSM_SN_N2at6native12_GLOBAL__N_18offset_tEEE10hipError_tPvRmT1_PNSt15iterator_traitsISV_E10value_typeET2_T3_PNSW_IS11_E10value_typeET4_jRbjT5_S17_jjP12ihipStream_tbEUljE_EEESS_ST_SU_S11_S15_S17_T6_T7_T9_mT8_S19_bDpT10_ENKUlT_T0_E_clISt17integral_constantIbLb0EES1L_IbLb1EEEEDaS1H_S1I_EUlS1H_E_NS1_11comp_targetILNS1_3genE8ELNS1_11target_archE1030ELNS1_3gpuE2ELNS1_3repE0EEENS1_30default_config_static_selectorELNS0_4arch9wavefront6targetE1EEEvSV_.private_seg_size, 0
	.set _ZN7rocprim17ROCPRIM_400000_NS6detail17trampoline_kernelINS0_13select_configILj256ELj13ELNS0_17block_load_methodE3ELS4_3ELS4_3ELNS0_20block_scan_algorithmE0ELj4294967295EEENS1_25partition_config_selectorILNS1_17partition_subalgoE3EjNS0_10empty_typeEbEEZZNS1_14partition_implILS8_3ELb0ES6_jNS0_17counting_iteratorIjlEEPS9_SE_NS0_5tupleIJPjSE_EEENSF_IJSE_SE_EEES9_SG_JZNS1_25segmented_radix_sort_implINS0_14default_configELb0EPKlPlSM_SN_N2at6native12_GLOBAL__N_18offset_tEEE10hipError_tPvRmT1_PNSt15iterator_traitsISV_E10value_typeET2_T3_PNSW_IS11_E10value_typeET4_jRbjT5_S17_jjP12ihipStream_tbEUljE_EEESS_ST_SU_S11_S15_S17_T6_T7_T9_mT8_S19_bDpT10_ENKUlT_T0_E_clISt17integral_constantIbLb0EES1L_IbLb1EEEEDaS1H_S1I_EUlS1H_E_NS1_11comp_targetILNS1_3genE8ELNS1_11target_archE1030ELNS1_3gpuE2ELNS1_3repE0EEENS1_30default_config_static_selectorELNS0_4arch9wavefront6targetE1EEEvSV_.uses_vcc, 0
	.set _ZN7rocprim17ROCPRIM_400000_NS6detail17trampoline_kernelINS0_13select_configILj256ELj13ELNS0_17block_load_methodE3ELS4_3ELS4_3ELNS0_20block_scan_algorithmE0ELj4294967295EEENS1_25partition_config_selectorILNS1_17partition_subalgoE3EjNS0_10empty_typeEbEEZZNS1_14partition_implILS8_3ELb0ES6_jNS0_17counting_iteratorIjlEEPS9_SE_NS0_5tupleIJPjSE_EEENSF_IJSE_SE_EEES9_SG_JZNS1_25segmented_radix_sort_implINS0_14default_configELb0EPKlPlSM_SN_N2at6native12_GLOBAL__N_18offset_tEEE10hipError_tPvRmT1_PNSt15iterator_traitsISV_E10value_typeET2_T3_PNSW_IS11_E10value_typeET4_jRbjT5_S17_jjP12ihipStream_tbEUljE_EEESS_ST_SU_S11_S15_S17_T6_T7_T9_mT8_S19_bDpT10_ENKUlT_T0_E_clISt17integral_constantIbLb0EES1L_IbLb1EEEEDaS1H_S1I_EUlS1H_E_NS1_11comp_targetILNS1_3genE8ELNS1_11target_archE1030ELNS1_3gpuE2ELNS1_3repE0EEENS1_30default_config_static_selectorELNS0_4arch9wavefront6targetE1EEEvSV_.uses_flat_scratch, 0
	.set _ZN7rocprim17ROCPRIM_400000_NS6detail17trampoline_kernelINS0_13select_configILj256ELj13ELNS0_17block_load_methodE3ELS4_3ELS4_3ELNS0_20block_scan_algorithmE0ELj4294967295EEENS1_25partition_config_selectorILNS1_17partition_subalgoE3EjNS0_10empty_typeEbEEZZNS1_14partition_implILS8_3ELb0ES6_jNS0_17counting_iteratorIjlEEPS9_SE_NS0_5tupleIJPjSE_EEENSF_IJSE_SE_EEES9_SG_JZNS1_25segmented_radix_sort_implINS0_14default_configELb0EPKlPlSM_SN_N2at6native12_GLOBAL__N_18offset_tEEE10hipError_tPvRmT1_PNSt15iterator_traitsISV_E10value_typeET2_T3_PNSW_IS11_E10value_typeET4_jRbjT5_S17_jjP12ihipStream_tbEUljE_EEESS_ST_SU_S11_S15_S17_T6_T7_T9_mT8_S19_bDpT10_ENKUlT_T0_E_clISt17integral_constantIbLb0EES1L_IbLb1EEEEDaS1H_S1I_EUlS1H_E_NS1_11comp_targetILNS1_3genE8ELNS1_11target_archE1030ELNS1_3gpuE2ELNS1_3repE0EEENS1_30default_config_static_selectorELNS0_4arch9wavefront6targetE1EEEvSV_.has_dyn_sized_stack, 0
	.set _ZN7rocprim17ROCPRIM_400000_NS6detail17trampoline_kernelINS0_13select_configILj256ELj13ELNS0_17block_load_methodE3ELS4_3ELS4_3ELNS0_20block_scan_algorithmE0ELj4294967295EEENS1_25partition_config_selectorILNS1_17partition_subalgoE3EjNS0_10empty_typeEbEEZZNS1_14partition_implILS8_3ELb0ES6_jNS0_17counting_iteratorIjlEEPS9_SE_NS0_5tupleIJPjSE_EEENSF_IJSE_SE_EEES9_SG_JZNS1_25segmented_radix_sort_implINS0_14default_configELb0EPKlPlSM_SN_N2at6native12_GLOBAL__N_18offset_tEEE10hipError_tPvRmT1_PNSt15iterator_traitsISV_E10value_typeET2_T3_PNSW_IS11_E10value_typeET4_jRbjT5_S17_jjP12ihipStream_tbEUljE_EEESS_ST_SU_S11_S15_S17_T6_T7_T9_mT8_S19_bDpT10_ENKUlT_T0_E_clISt17integral_constantIbLb0EES1L_IbLb1EEEEDaS1H_S1I_EUlS1H_E_NS1_11comp_targetILNS1_3genE8ELNS1_11target_archE1030ELNS1_3gpuE2ELNS1_3repE0EEENS1_30default_config_static_selectorELNS0_4arch9wavefront6targetE1EEEvSV_.has_recursion, 0
	.set _ZN7rocprim17ROCPRIM_400000_NS6detail17trampoline_kernelINS0_13select_configILj256ELj13ELNS0_17block_load_methodE3ELS4_3ELS4_3ELNS0_20block_scan_algorithmE0ELj4294967295EEENS1_25partition_config_selectorILNS1_17partition_subalgoE3EjNS0_10empty_typeEbEEZZNS1_14partition_implILS8_3ELb0ES6_jNS0_17counting_iteratorIjlEEPS9_SE_NS0_5tupleIJPjSE_EEENSF_IJSE_SE_EEES9_SG_JZNS1_25segmented_radix_sort_implINS0_14default_configELb0EPKlPlSM_SN_N2at6native12_GLOBAL__N_18offset_tEEE10hipError_tPvRmT1_PNSt15iterator_traitsISV_E10value_typeET2_T3_PNSW_IS11_E10value_typeET4_jRbjT5_S17_jjP12ihipStream_tbEUljE_EEESS_ST_SU_S11_S15_S17_T6_T7_T9_mT8_S19_bDpT10_ENKUlT_T0_E_clISt17integral_constantIbLb0EES1L_IbLb1EEEEDaS1H_S1I_EUlS1H_E_NS1_11comp_targetILNS1_3genE8ELNS1_11target_archE1030ELNS1_3gpuE2ELNS1_3repE0EEENS1_30default_config_static_selectorELNS0_4arch9wavefront6targetE1EEEvSV_.has_indirect_call, 0
	.section	.AMDGPU.csdata,"",@progbits
; Kernel info:
; codeLenInByte = 0
; TotalNumSgprs: 4
; NumVgprs: 0
; ScratchSize: 0
; MemoryBound: 0
; FloatMode: 240
; IeeeMode: 1
; LDSByteSize: 0 bytes/workgroup (compile time only)
; SGPRBlocks: 0
; VGPRBlocks: 0
; NumSGPRsForWavesPerEU: 4
; NumVGPRsForWavesPerEU: 1
; Occupancy: 10
; WaveLimiterHint : 0
; COMPUTE_PGM_RSRC2:SCRATCH_EN: 0
; COMPUTE_PGM_RSRC2:USER_SGPR: 6
; COMPUTE_PGM_RSRC2:TRAP_HANDLER: 0
; COMPUTE_PGM_RSRC2:TGID_X_EN: 1
; COMPUTE_PGM_RSRC2:TGID_Y_EN: 0
; COMPUTE_PGM_RSRC2:TGID_Z_EN: 0
; COMPUTE_PGM_RSRC2:TIDIG_COMP_CNT: 0
	.section	.text._ZN7rocprim17ROCPRIM_400000_NS6detail17trampoline_kernelINS0_14default_configENS1_36segmented_radix_sort_config_selectorIllEEZNS1_25segmented_radix_sort_implIS3_Lb0EPKlPlS8_S9_N2at6native12_GLOBAL__N_18offset_tEEE10hipError_tPvRmT1_PNSt15iterator_traitsISH_E10value_typeET2_T3_PNSI_ISN_E10value_typeET4_jRbjT5_ST_jjP12ihipStream_tbEUlT_E_NS1_11comp_targetILNS1_3genE0ELNS1_11target_archE4294967295ELNS1_3gpuE0ELNS1_3repE0EEENS1_30default_config_static_selectorELNS0_4arch9wavefront6targetE1EEEvSH_,"axG",@progbits,_ZN7rocprim17ROCPRIM_400000_NS6detail17trampoline_kernelINS0_14default_configENS1_36segmented_radix_sort_config_selectorIllEEZNS1_25segmented_radix_sort_implIS3_Lb0EPKlPlS8_S9_N2at6native12_GLOBAL__N_18offset_tEEE10hipError_tPvRmT1_PNSt15iterator_traitsISH_E10value_typeET2_T3_PNSI_ISN_E10value_typeET4_jRbjT5_ST_jjP12ihipStream_tbEUlT_E_NS1_11comp_targetILNS1_3genE0ELNS1_11target_archE4294967295ELNS1_3gpuE0ELNS1_3repE0EEENS1_30default_config_static_selectorELNS0_4arch9wavefront6targetE1EEEvSH_,comdat
	.globl	_ZN7rocprim17ROCPRIM_400000_NS6detail17trampoline_kernelINS0_14default_configENS1_36segmented_radix_sort_config_selectorIllEEZNS1_25segmented_radix_sort_implIS3_Lb0EPKlPlS8_S9_N2at6native12_GLOBAL__N_18offset_tEEE10hipError_tPvRmT1_PNSt15iterator_traitsISH_E10value_typeET2_T3_PNSI_ISN_E10value_typeET4_jRbjT5_ST_jjP12ihipStream_tbEUlT_E_NS1_11comp_targetILNS1_3genE0ELNS1_11target_archE4294967295ELNS1_3gpuE0ELNS1_3repE0EEENS1_30default_config_static_selectorELNS0_4arch9wavefront6targetE1EEEvSH_ ; -- Begin function _ZN7rocprim17ROCPRIM_400000_NS6detail17trampoline_kernelINS0_14default_configENS1_36segmented_radix_sort_config_selectorIllEEZNS1_25segmented_radix_sort_implIS3_Lb0EPKlPlS8_S9_N2at6native12_GLOBAL__N_18offset_tEEE10hipError_tPvRmT1_PNSt15iterator_traitsISH_E10value_typeET2_T3_PNSI_ISN_E10value_typeET4_jRbjT5_ST_jjP12ihipStream_tbEUlT_E_NS1_11comp_targetILNS1_3genE0ELNS1_11target_archE4294967295ELNS1_3gpuE0ELNS1_3repE0EEENS1_30default_config_static_selectorELNS0_4arch9wavefront6targetE1EEEvSH_
	.p2align	8
	.type	_ZN7rocprim17ROCPRIM_400000_NS6detail17trampoline_kernelINS0_14default_configENS1_36segmented_radix_sort_config_selectorIllEEZNS1_25segmented_radix_sort_implIS3_Lb0EPKlPlS8_S9_N2at6native12_GLOBAL__N_18offset_tEEE10hipError_tPvRmT1_PNSt15iterator_traitsISH_E10value_typeET2_T3_PNSI_ISN_E10value_typeET4_jRbjT5_ST_jjP12ihipStream_tbEUlT_E_NS1_11comp_targetILNS1_3genE0ELNS1_11target_archE4294967295ELNS1_3gpuE0ELNS1_3repE0EEENS1_30default_config_static_selectorELNS0_4arch9wavefront6targetE1EEEvSH_,@function
_ZN7rocprim17ROCPRIM_400000_NS6detail17trampoline_kernelINS0_14default_configENS1_36segmented_radix_sort_config_selectorIllEEZNS1_25segmented_radix_sort_implIS3_Lb0EPKlPlS8_S9_N2at6native12_GLOBAL__N_18offset_tEEE10hipError_tPvRmT1_PNSt15iterator_traitsISH_E10value_typeET2_T3_PNSI_ISN_E10value_typeET4_jRbjT5_ST_jjP12ihipStream_tbEUlT_E_NS1_11comp_targetILNS1_3genE0ELNS1_11target_archE4294967295ELNS1_3gpuE0ELNS1_3repE0EEENS1_30default_config_static_selectorELNS0_4arch9wavefront6targetE1EEEvSH_: ; @_ZN7rocprim17ROCPRIM_400000_NS6detail17trampoline_kernelINS0_14default_configENS1_36segmented_radix_sort_config_selectorIllEEZNS1_25segmented_radix_sort_implIS3_Lb0EPKlPlS8_S9_N2at6native12_GLOBAL__N_18offset_tEEE10hipError_tPvRmT1_PNSt15iterator_traitsISH_E10value_typeET2_T3_PNSI_ISN_E10value_typeET4_jRbjT5_ST_jjP12ihipStream_tbEUlT_E_NS1_11comp_targetILNS1_3genE0ELNS1_11target_archE4294967295ELNS1_3gpuE0ELNS1_3repE0EEENS1_30default_config_static_selectorELNS0_4arch9wavefront6targetE1EEEvSH_
; %bb.0:
	.section	.rodata,"a",@progbits
	.p2align	6, 0x0
	.amdhsa_kernel _ZN7rocprim17ROCPRIM_400000_NS6detail17trampoline_kernelINS0_14default_configENS1_36segmented_radix_sort_config_selectorIllEEZNS1_25segmented_radix_sort_implIS3_Lb0EPKlPlS8_S9_N2at6native12_GLOBAL__N_18offset_tEEE10hipError_tPvRmT1_PNSt15iterator_traitsISH_E10value_typeET2_T3_PNSI_ISN_E10value_typeET4_jRbjT5_ST_jjP12ihipStream_tbEUlT_E_NS1_11comp_targetILNS1_3genE0ELNS1_11target_archE4294967295ELNS1_3gpuE0ELNS1_3repE0EEENS1_30default_config_static_selectorELNS0_4arch9wavefront6targetE1EEEvSH_
		.amdhsa_group_segment_fixed_size 0
		.amdhsa_private_segment_fixed_size 0
		.amdhsa_kernarg_size 96
		.amdhsa_user_sgpr_count 6
		.amdhsa_user_sgpr_private_segment_buffer 1
		.amdhsa_user_sgpr_dispatch_ptr 0
		.amdhsa_user_sgpr_queue_ptr 0
		.amdhsa_user_sgpr_kernarg_segment_ptr 1
		.amdhsa_user_sgpr_dispatch_id 0
		.amdhsa_user_sgpr_flat_scratch_init 0
		.amdhsa_user_sgpr_private_segment_size 0
		.amdhsa_uses_dynamic_stack 0
		.amdhsa_system_sgpr_private_segment_wavefront_offset 0
		.amdhsa_system_sgpr_workgroup_id_x 1
		.amdhsa_system_sgpr_workgroup_id_y 0
		.amdhsa_system_sgpr_workgroup_id_z 0
		.amdhsa_system_sgpr_workgroup_info 0
		.amdhsa_system_vgpr_workitem_id 0
		.amdhsa_next_free_vgpr 1
		.amdhsa_next_free_sgpr 0
		.amdhsa_reserve_vcc 0
		.amdhsa_reserve_flat_scratch 0
		.amdhsa_float_round_mode_32 0
		.amdhsa_float_round_mode_16_64 0
		.amdhsa_float_denorm_mode_32 3
		.amdhsa_float_denorm_mode_16_64 3
		.amdhsa_dx10_clamp 1
		.amdhsa_ieee_mode 1
		.amdhsa_fp16_overflow 0
		.amdhsa_exception_fp_ieee_invalid_op 0
		.amdhsa_exception_fp_denorm_src 0
		.amdhsa_exception_fp_ieee_div_zero 0
		.amdhsa_exception_fp_ieee_overflow 0
		.amdhsa_exception_fp_ieee_underflow 0
		.amdhsa_exception_fp_ieee_inexact 0
		.amdhsa_exception_int_div_zero 0
	.end_amdhsa_kernel
	.section	.text._ZN7rocprim17ROCPRIM_400000_NS6detail17trampoline_kernelINS0_14default_configENS1_36segmented_radix_sort_config_selectorIllEEZNS1_25segmented_radix_sort_implIS3_Lb0EPKlPlS8_S9_N2at6native12_GLOBAL__N_18offset_tEEE10hipError_tPvRmT1_PNSt15iterator_traitsISH_E10value_typeET2_T3_PNSI_ISN_E10value_typeET4_jRbjT5_ST_jjP12ihipStream_tbEUlT_E_NS1_11comp_targetILNS1_3genE0ELNS1_11target_archE4294967295ELNS1_3gpuE0ELNS1_3repE0EEENS1_30default_config_static_selectorELNS0_4arch9wavefront6targetE1EEEvSH_,"axG",@progbits,_ZN7rocprim17ROCPRIM_400000_NS6detail17trampoline_kernelINS0_14default_configENS1_36segmented_radix_sort_config_selectorIllEEZNS1_25segmented_radix_sort_implIS3_Lb0EPKlPlS8_S9_N2at6native12_GLOBAL__N_18offset_tEEE10hipError_tPvRmT1_PNSt15iterator_traitsISH_E10value_typeET2_T3_PNSI_ISN_E10value_typeET4_jRbjT5_ST_jjP12ihipStream_tbEUlT_E_NS1_11comp_targetILNS1_3genE0ELNS1_11target_archE4294967295ELNS1_3gpuE0ELNS1_3repE0EEENS1_30default_config_static_selectorELNS0_4arch9wavefront6targetE1EEEvSH_,comdat
.Lfunc_end807:
	.size	_ZN7rocprim17ROCPRIM_400000_NS6detail17trampoline_kernelINS0_14default_configENS1_36segmented_radix_sort_config_selectorIllEEZNS1_25segmented_radix_sort_implIS3_Lb0EPKlPlS8_S9_N2at6native12_GLOBAL__N_18offset_tEEE10hipError_tPvRmT1_PNSt15iterator_traitsISH_E10value_typeET2_T3_PNSI_ISN_E10value_typeET4_jRbjT5_ST_jjP12ihipStream_tbEUlT_E_NS1_11comp_targetILNS1_3genE0ELNS1_11target_archE4294967295ELNS1_3gpuE0ELNS1_3repE0EEENS1_30default_config_static_selectorELNS0_4arch9wavefront6targetE1EEEvSH_, .Lfunc_end807-_ZN7rocprim17ROCPRIM_400000_NS6detail17trampoline_kernelINS0_14default_configENS1_36segmented_radix_sort_config_selectorIllEEZNS1_25segmented_radix_sort_implIS3_Lb0EPKlPlS8_S9_N2at6native12_GLOBAL__N_18offset_tEEE10hipError_tPvRmT1_PNSt15iterator_traitsISH_E10value_typeET2_T3_PNSI_ISN_E10value_typeET4_jRbjT5_ST_jjP12ihipStream_tbEUlT_E_NS1_11comp_targetILNS1_3genE0ELNS1_11target_archE4294967295ELNS1_3gpuE0ELNS1_3repE0EEENS1_30default_config_static_selectorELNS0_4arch9wavefront6targetE1EEEvSH_
                                        ; -- End function
	.set _ZN7rocprim17ROCPRIM_400000_NS6detail17trampoline_kernelINS0_14default_configENS1_36segmented_radix_sort_config_selectorIllEEZNS1_25segmented_radix_sort_implIS3_Lb0EPKlPlS8_S9_N2at6native12_GLOBAL__N_18offset_tEEE10hipError_tPvRmT1_PNSt15iterator_traitsISH_E10value_typeET2_T3_PNSI_ISN_E10value_typeET4_jRbjT5_ST_jjP12ihipStream_tbEUlT_E_NS1_11comp_targetILNS1_3genE0ELNS1_11target_archE4294967295ELNS1_3gpuE0ELNS1_3repE0EEENS1_30default_config_static_selectorELNS0_4arch9wavefront6targetE1EEEvSH_.num_vgpr, 0
	.set _ZN7rocprim17ROCPRIM_400000_NS6detail17trampoline_kernelINS0_14default_configENS1_36segmented_radix_sort_config_selectorIllEEZNS1_25segmented_radix_sort_implIS3_Lb0EPKlPlS8_S9_N2at6native12_GLOBAL__N_18offset_tEEE10hipError_tPvRmT1_PNSt15iterator_traitsISH_E10value_typeET2_T3_PNSI_ISN_E10value_typeET4_jRbjT5_ST_jjP12ihipStream_tbEUlT_E_NS1_11comp_targetILNS1_3genE0ELNS1_11target_archE4294967295ELNS1_3gpuE0ELNS1_3repE0EEENS1_30default_config_static_selectorELNS0_4arch9wavefront6targetE1EEEvSH_.num_agpr, 0
	.set _ZN7rocprim17ROCPRIM_400000_NS6detail17trampoline_kernelINS0_14default_configENS1_36segmented_radix_sort_config_selectorIllEEZNS1_25segmented_radix_sort_implIS3_Lb0EPKlPlS8_S9_N2at6native12_GLOBAL__N_18offset_tEEE10hipError_tPvRmT1_PNSt15iterator_traitsISH_E10value_typeET2_T3_PNSI_ISN_E10value_typeET4_jRbjT5_ST_jjP12ihipStream_tbEUlT_E_NS1_11comp_targetILNS1_3genE0ELNS1_11target_archE4294967295ELNS1_3gpuE0ELNS1_3repE0EEENS1_30default_config_static_selectorELNS0_4arch9wavefront6targetE1EEEvSH_.numbered_sgpr, 0
	.set _ZN7rocprim17ROCPRIM_400000_NS6detail17trampoline_kernelINS0_14default_configENS1_36segmented_radix_sort_config_selectorIllEEZNS1_25segmented_radix_sort_implIS3_Lb0EPKlPlS8_S9_N2at6native12_GLOBAL__N_18offset_tEEE10hipError_tPvRmT1_PNSt15iterator_traitsISH_E10value_typeET2_T3_PNSI_ISN_E10value_typeET4_jRbjT5_ST_jjP12ihipStream_tbEUlT_E_NS1_11comp_targetILNS1_3genE0ELNS1_11target_archE4294967295ELNS1_3gpuE0ELNS1_3repE0EEENS1_30default_config_static_selectorELNS0_4arch9wavefront6targetE1EEEvSH_.num_named_barrier, 0
	.set _ZN7rocprim17ROCPRIM_400000_NS6detail17trampoline_kernelINS0_14default_configENS1_36segmented_radix_sort_config_selectorIllEEZNS1_25segmented_radix_sort_implIS3_Lb0EPKlPlS8_S9_N2at6native12_GLOBAL__N_18offset_tEEE10hipError_tPvRmT1_PNSt15iterator_traitsISH_E10value_typeET2_T3_PNSI_ISN_E10value_typeET4_jRbjT5_ST_jjP12ihipStream_tbEUlT_E_NS1_11comp_targetILNS1_3genE0ELNS1_11target_archE4294967295ELNS1_3gpuE0ELNS1_3repE0EEENS1_30default_config_static_selectorELNS0_4arch9wavefront6targetE1EEEvSH_.private_seg_size, 0
	.set _ZN7rocprim17ROCPRIM_400000_NS6detail17trampoline_kernelINS0_14default_configENS1_36segmented_radix_sort_config_selectorIllEEZNS1_25segmented_radix_sort_implIS3_Lb0EPKlPlS8_S9_N2at6native12_GLOBAL__N_18offset_tEEE10hipError_tPvRmT1_PNSt15iterator_traitsISH_E10value_typeET2_T3_PNSI_ISN_E10value_typeET4_jRbjT5_ST_jjP12ihipStream_tbEUlT_E_NS1_11comp_targetILNS1_3genE0ELNS1_11target_archE4294967295ELNS1_3gpuE0ELNS1_3repE0EEENS1_30default_config_static_selectorELNS0_4arch9wavefront6targetE1EEEvSH_.uses_vcc, 0
	.set _ZN7rocprim17ROCPRIM_400000_NS6detail17trampoline_kernelINS0_14default_configENS1_36segmented_radix_sort_config_selectorIllEEZNS1_25segmented_radix_sort_implIS3_Lb0EPKlPlS8_S9_N2at6native12_GLOBAL__N_18offset_tEEE10hipError_tPvRmT1_PNSt15iterator_traitsISH_E10value_typeET2_T3_PNSI_ISN_E10value_typeET4_jRbjT5_ST_jjP12ihipStream_tbEUlT_E_NS1_11comp_targetILNS1_3genE0ELNS1_11target_archE4294967295ELNS1_3gpuE0ELNS1_3repE0EEENS1_30default_config_static_selectorELNS0_4arch9wavefront6targetE1EEEvSH_.uses_flat_scratch, 0
	.set _ZN7rocprim17ROCPRIM_400000_NS6detail17trampoline_kernelINS0_14default_configENS1_36segmented_radix_sort_config_selectorIllEEZNS1_25segmented_radix_sort_implIS3_Lb0EPKlPlS8_S9_N2at6native12_GLOBAL__N_18offset_tEEE10hipError_tPvRmT1_PNSt15iterator_traitsISH_E10value_typeET2_T3_PNSI_ISN_E10value_typeET4_jRbjT5_ST_jjP12ihipStream_tbEUlT_E_NS1_11comp_targetILNS1_3genE0ELNS1_11target_archE4294967295ELNS1_3gpuE0ELNS1_3repE0EEENS1_30default_config_static_selectorELNS0_4arch9wavefront6targetE1EEEvSH_.has_dyn_sized_stack, 0
	.set _ZN7rocprim17ROCPRIM_400000_NS6detail17trampoline_kernelINS0_14default_configENS1_36segmented_radix_sort_config_selectorIllEEZNS1_25segmented_radix_sort_implIS3_Lb0EPKlPlS8_S9_N2at6native12_GLOBAL__N_18offset_tEEE10hipError_tPvRmT1_PNSt15iterator_traitsISH_E10value_typeET2_T3_PNSI_ISN_E10value_typeET4_jRbjT5_ST_jjP12ihipStream_tbEUlT_E_NS1_11comp_targetILNS1_3genE0ELNS1_11target_archE4294967295ELNS1_3gpuE0ELNS1_3repE0EEENS1_30default_config_static_selectorELNS0_4arch9wavefront6targetE1EEEvSH_.has_recursion, 0
	.set _ZN7rocprim17ROCPRIM_400000_NS6detail17trampoline_kernelINS0_14default_configENS1_36segmented_radix_sort_config_selectorIllEEZNS1_25segmented_radix_sort_implIS3_Lb0EPKlPlS8_S9_N2at6native12_GLOBAL__N_18offset_tEEE10hipError_tPvRmT1_PNSt15iterator_traitsISH_E10value_typeET2_T3_PNSI_ISN_E10value_typeET4_jRbjT5_ST_jjP12ihipStream_tbEUlT_E_NS1_11comp_targetILNS1_3genE0ELNS1_11target_archE4294967295ELNS1_3gpuE0ELNS1_3repE0EEENS1_30default_config_static_selectorELNS0_4arch9wavefront6targetE1EEEvSH_.has_indirect_call, 0
	.section	.AMDGPU.csdata,"",@progbits
; Kernel info:
; codeLenInByte = 0
; TotalNumSgprs: 4
; NumVgprs: 0
; ScratchSize: 0
; MemoryBound: 0
; FloatMode: 240
; IeeeMode: 1
; LDSByteSize: 0 bytes/workgroup (compile time only)
; SGPRBlocks: 0
; VGPRBlocks: 0
; NumSGPRsForWavesPerEU: 4
; NumVGPRsForWavesPerEU: 1
; Occupancy: 10
; WaveLimiterHint : 0
; COMPUTE_PGM_RSRC2:SCRATCH_EN: 0
; COMPUTE_PGM_RSRC2:USER_SGPR: 6
; COMPUTE_PGM_RSRC2:TRAP_HANDLER: 0
; COMPUTE_PGM_RSRC2:TGID_X_EN: 1
; COMPUTE_PGM_RSRC2:TGID_Y_EN: 0
; COMPUTE_PGM_RSRC2:TGID_Z_EN: 0
; COMPUTE_PGM_RSRC2:TIDIG_COMP_CNT: 0
	.section	.text._ZN7rocprim17ROCPRIM_400000_NS6detail17trampoline_kernelINS0_14default_configENS1_36segmented_radix_sort_config_selectorIllEEZNS1_25segmented_radix_sort_implIS3_Lb0EPKlPlS8_S9_N2at6native12_GLOBAL__N_18offset_tEEE10hipError_tPvRmT1_PNSt15iterator_traitsISH_E10value_typeET2_T3_PNSI_ISN_E10value_typeET4_jRbjT5_ST_jjP12ihipStream_tbEUlT_E_NS1_11comp_targetILNS1_3genE5ELNS1_11target_archE942ELNS1_3gpuE9ELNS1_3repE0EEENS1_30default_config_static_selectorELNS0_4arch9wavefront6targetE1EEEvSH_,"axG",@progbits,_ZN7rocprim17ROCPRIM_400000_NS6detail17trampoline_kernelINS0_14default_configENS1_36segmented_radix_sort_config_selectorIllEEZNS1_25segmented_radix_sort_implIS3_Lb0EPKlPlS8_S9_N2at6native12_GLOBAL__N_18offset_tEEE10hipError_tPvRmT1_PNSt15iterator_traitsISH_E10value_typeET2_T3_PNSI_ISN_E10value_typeET4_jRbjT5_ST_jjP12ihipStream_tbEUlT_E_NS1_11comp_targetILNS1_3genE5ELNS1_11target_archE942ELNS1_3gpuE9ELNS1_3repE0EEENS1_30default_config_static_selectorELNS0_4arch9wavefront6targetE1EEEvSH_,comdat
	.globl	_ZN7rocprim17ROCPRIM_400000_NS6detail17trampoline_kernelINS0_14default_configENS1_36segmented_radix_sort_config_selectorIllEEZNS1_25segmented_radix_sort_implIS3_Lb0EPKlPlS8_S9_N2at6native12_GLOBAL__N_18offset_tEEE10hipError_tPvRmT1_PNSt15iterator_traitsISH_E10value_typeET2_T3_PNSI_ISN_E10value_typeET4_jRbjT5_ST_jjP12ihipStream_tbEUlT_E_NS1_11comp_targetILNS1_3genE5ELNS1_11target_archE942ELNS1_3gpuE9ELNS1_3repE0EEENS1_30default_config_static_selectorELNS0_4arch9wavefront6targetE1EEEvSH_ ; -- Begin function _ZN7rocprim17ROCPRIM_400000_NS6detail17trampoline_kernelINS0_14default_configENS1_36segmented_radix_sort_config_selectorIllEEZNS1_25segmented_radix_sort_implIS3_Lb0EPKlPlS8_S9_N2at6native12_GLOBAL__N_18offset_tEEE10hipError_tPvRmT1_PNSt15iterator_traitsISH_E10value_typeET2_T3_PNSI_ISN_E10value_typeET4_jRbjT5_ST_jjP12ihipStream_tbEUlT_E_NS1_11comp_targetILNS1_3genE5ELNS1_11target_archE942ELNS1_3gpuE9ELNS1_3repE0EEENS1_30default_config_static_selectorELNS0_4arch9wavefront6targetE1EEEvSH_
	.p2align	8
	.type	_ZN7rocprim17ROCPRIM_400000_NS6detail17trampoline_kernelINS0_14default_configENS1_36segmented_radix_sort_config_selectorIllEEZNS1_25segmented_radix_sort_implIS3_Lb0EPKlPlS8_S9_N2at6native12_GLOBAL__N_18offset_tEEE10hipError_tPvRmT1_PNSt15iterator_traitsISH_E10value_typeET2_T3_PNSI_ISN_E10value_typeET4_jRbjT5_ST_jjP12ihipStream_tbEUlT_E_NS1_11comp_targetILNS1_3genE5ELNS1_11target_archE942ELNS1_3gpuE9ELNS1_3repE0EEENS1_30default_config_static_selectorELNS0_4arch9wavefront6targetE1EEEvSH_,@function
_ZN7rocprim17ROCPRIM_400000_NS6detail17trampoline_kernelINS0_14default_configENS1_36segmented_radix_sort_config_selectorIllEEZNS1_25segmented_radix_sort_implIS3_Lb0EPKlPlS8_S9_N2at6native12_GLOBAL__N_18offset_tEEE10hipError_tPvRmT1_PNSt15iterator_traitsISH_E10value_typeET2_T3_PNSI_ISN_E10value_typeET4_jRbjT5_ST_jjP12ihipStream_tbEUlT_E_NS1_11comp_targetILNS1_3genE5ELNS1_11target_archE942ELNS1_3gpuE9ELNS1_3repE0EEENS1_30default_config_static_selectorELNS0_4arch9wavefront6targetE1EEEvSH_: ; @_ZN7rocprim17ROCPRIM_400000_NS6detail17trampoline_kernelINS0_14default_configENS1_36segmented_radix_sort_config_selectorIllEEZNS1_25segmented_radix_sort_implIS3_Lb0EPKlPlS8_S9_N2at6native12_GLOBAL__N_18offset_tEEE10hipError_tPvRmT1_PNSt15iterator_traitsISH_E10value_typeET2_T3_PNSI_ISN_E10value_typeET4_jRbjT5_ST_jjP12ihipStream_tbEUlT_E_NS1_11comp_targetILNS1_3genE5ELNS1_11target_archE942ELNS1_3gpuE9ELNS1_3repE0EEENS1_30default_config_static_selectorELNS0_4arch9wavefront6targetE1EEEvSH_
; %bb.0:
	.section	.rodata,"a",@progbits
	.p2align	6, 0x0
	.amdhsa_kernel _ZN7rocprim17ROCPRIM_400000_NS6detail17trampoline_kernelINS0_14default_configENS1_36segmented_radix_sort_config_selectorIllEEZNS1_25segmented_radix_sort_implIS3_Lb0EPKlPlS8_S9_N2at6native12_GLOBAL__N_18offset_tEEE10hipError_tPvRmT1_PNSt15iterator_traitsISH_E10value_typeET2_T3_PNSI_ISN_E10value_typeET4_jRbjT5_ST_jjP12ihipStream_tbEUlT_E_NS1_11comp_targetILNS1_3genE5ELNS1_11target_archE942ELNS1_3gpuE9ELNS1_3repE0EEENS1_30default_config_static_selectorELNS0_4arch9wavefront6targetE1EEEvSH_
		.amdhsa_group_segment_fixed_size 0
		.amdhsa_private_segment_fixed_size 0
		.amdhsa_kernarg_size 96
		.amdhsa_user_sgpr_count 6
		.amdhsa_user_sgpr_private_segment_buffer 1
		.amdhsa_user_sgpr_dispatch_ptr 0
		.amdhsa_user_sgpr_queue_ptr 0
		.amdhsa_user_sgpr_kernarg_segment_ptr 1
		.amdhsa_user_sgpr_dispatch_id 0
		.amdhsa_user_sgpr_flat_scratch_init 0
		.amdhsa_user_sgpr_private_segment_size 0
		.amdhsa_uses_dynamic_stack 0
		.amdhsa_system_sgpr_private_segment_wavefront_offset 0
		.amdhsa_system_sgpr_workgroup_id_x 1
		.amdhsa_system_sgpr_workgroup_id_y 0
		.amdhsa_system_sgpr_workgroup_id_z 0
		.amdhsa_system_sgpr_workgroup_info 0
		.amdhsa_system_vgpr_workitem_id 0
		.amdhsa_next_free_vgpr 1
		.amdhsa_next_free_sgpr 0
		.amdhsa_reserve_vcc 0
		.amdhsa_reserve_flat_scratch 0
		.amdhsa_float_round_mode_32 0
		.amdhsa_float_round_mode_16_64 0
		.amdhsa_float_denorm_mode_32 3
		.amdhsa_float_denorm_mode_16_64 3
		.amdhsa_dx10_clamp 1
		.amdhsa_ieee_mode 1
		.amdhsa_fp16_overflow 0
		.amdhsa_exception_fp_ieee_invalid_op 0
		.amdhsa_exception_fp_denorm_src 0
		.amdhsa_exception_fp_ieee_div_zero 0
		.amdhsa_exception_fp_ieee_overflow 0
		.amdhsa_exception_fp_ieee_underflow 0
		.amdhsa_exception_fp_ieee_inexact 0
		.amdhsa_exception_int_div_zero 0
	.end_amdhsa_kernel
	.section	.text._ZN7rocprim17ROCPRIM_400000_NS6detail17trampoline_kernelINS0_14default_configENS1_36segmented_radix_sort_config_selectorIllEEZNS1_25segmented_radix_sort_implIS3_Lb0EPKlPlS8_S9_N2at6native12_GLOBAL__N_18offset_tEEE10hipError_tPvRmT1_PNSt15iterator_traitsISH_E10value_typeET2_T3_PNSI_ISN_E10value_typeET4_jRbjT5_ST_jjP12ihipStream_tbEUlT_E_NS1_11comp_targetILNS1_3genE5ELNS1_11target_archE942ELNS1_3gpuE9ELNS1_3repE0EEENS1_30default_config_static_selectorELNS0_4arch9wavefront6targetE1EEEvSH_,"axG",@progbits,_ZN7rocprim17ROCPRIM_400000_NS6detail17trampoline_kernelINS0_14default_configENS1_36segmented_radix_sort_config_selectorIllEEZNS1_25segmented_radix_sort_implIS3_Lb0EPKlPlS8_S9_N2at6native12_GLOBAL__N_18offset_tEEE10hipError_tPvRmT1_PNSt15iterator_traitsISH_E10value_typeET2_T3_PNSI_ISN_E10value_typeET4_jRbjT5_ST_jjP12ihipStream_tbEUlT_E_NS1_11comp_targetILNS1_3genE5ELNS1_11target_archE942ELNS1_3gpuE9ELNS1_3repE0EEENS1_30default_config_static_selectorELNS0_4arch9wavefront6targetE1EEEvSH_,comdat
.Lfunc_end808:
	.size	_ZN7rocprim17ROCPRIM_400000_NS6detail17trampoline_kernelINS0_14default_configENS1_36segmented_radix_sort_config_selectorIllEEZNS1_25segmented_radix_sort_implIS3_Lb0EPKlPlS8_S9_N2at6native12_GLOBAL__N_18offset_tEEE10hipError_tPvRmT1_PNSt15iterator_traitsISH_E10value_typeET2_T3_PNSI_ISN_E10value_typeET4_jRbjT5_ST_jjP12ihipStream_tbEUlT_E_NS1_11comp_targetILNS1_3genE5ELNS1_11target_archE942ELNS1_3gpuE9ELNS1_3repE0EEENS1_30default_config_static_selectorELNS0_4arch9wavefront6targetE1EEEvSH_, .Lfunc_end808-_ZN7rocprim17ROCPRIM_400000_NS6detail17trampoline_kernelINS0_14default_configENS1_36segmented_radix_sort_config_selectorIllEEZNS1_25segmented_radix_sort_implIS3_Lb0EPKlPlS8_S9_N2at6native12_GLOBAL__N_18offset_tEEE10hipError_tPvRmT1_PNSt15iterator_traitsISH_E10value_typeET2_T3_PNSI_ISN_E10value_typeET4_jRbjT5_ST_jjP12ihipStream_tbEUlT_E_NS1_11comp_targetILNS1_3genE5ELNS1_11target_archE942ELNS1_3gpuE9ELNS1_3repE0EEENS1_30default_config_static_selectorELNS0_4arch9wavefront6targetE1EEEvSH_
                                        ; -- End function
	.set _ZN7rocprim17ROCPRIM_400000_NS6detail17trampoline_kernelINS0_14default_configENS1_36segmented_radix_sort_config_selectorIllEEZNS1_25segmented_radix_sort_implIS3_Lb0EPKlPlS8_S9_N2at6native12_GLOBAL__N_18offset_tEEE10hipError_tPvRmT1_PNSt15iterator_traitsISH_E10value_typeET2_T3_PNSI_ISN_E10value_typeET4_jRbjT5_ST_jjP12ihipStream_tbEUlT_E_NS1_11comp_targetILNS1_3genE5ELNS1_11target_archE942ELNS1_3gpuE9ELNS1_3repE0EEENS1_30default_config_static_selectorELNS0_4arch9wavefront6targetE1EEEvSH_.num_vgpr, 0
	.set _ZN7rocprim17ROCPRIM_400000_NS6detail17trampoline_kernelINS0_14default_configENS1_36segmented_radix_sort_config_selectorIllEEZNS1_25segmented_radix_sort_implIS3_Lb0EPKlPlS8_S9_N2at6native12_GLOBAL__N_18offset_tEEE10hipError_tPvRmT1_PNSt15iterator_traitsISH_E10value_typeET2_T3_PNSI_ISN_E10value_typeET4_jRbjT5_ST_jjP12ihipStream_tbEUlT_E_NS1_11comp_targetILNS1_3genE5ELNS1_11target_archE942ELNS1_3gpuE9ELNS1_3repE0EEENS1_30default_config_static_selectorELNS0_4arch9wavefront6targetE1EEEvSH_.num_agpr, 0
	.set _ZN7rocprim17ROCPRIM_400000_NS6detail17trampoline_kernelINS0_14default_configENS1_36segmented_radix_sort_config_selectorIllEEZNS1_25segmented_radix_sort_implIS3_Lb0EPKlPlS8_S9_N2at6native12_GLOBAL__N_18offset_tEEE10hipError_tPvRmT1_PNSt15iterator_traitsISH_E10value_typeET2_T3_PNSI_ISN_E10value_typeET4_jRbjT5_ST_jjP12ihipStream_tbEUlT_E_NS1_11comp_targetILNS1_3genE5ELNS1_11target_archE942ELNS1_3gpuE9ELNS1_3repE0EEENS1_30default_config_static_selectorELNS0_4arch9wavefront6targetE1EEEvSH_.numbered_sgpr, 0
	.set _ZN7rocprim17ROCPRIM_400000_NS6detail17trampoline_kernelINS0_14default_configENS1_36segmented_radix_sort_config_selectorIllEEZNS1_25segmented_radix_sort_implIS3_Lb0EPKlPlS8_S9_N2at6native12_GLOBAL__N_18offset_tEEE10hipError_tPvRmT1_PNSt15iterator_traitsISH_E10value_typeET2_T3_PNSI_ISN_E10value_typeET4_jRbjT5_ST_jjP12ihipStream_tbEUlT_E_NS1_11comp_targetILNS1_3genE5ELNS1_11target_archE942ELNS1_3gpuE9ELNS1_3repE0EEENS1_30default_config_static_selectorELNS0_4arch9wavefront6targetE1EEEvSH_.num_named_barrier, 0
	.set _ZN7rocprim17ROCPRIM_400000_NS6detail17trampoline_kernelINS0_14default_configENS1_36segmented_radix_sort_config_selectorIllEEZNS1_25segmented_radix_sort_implIS3_Lb0EPKlPlS8_S9_N2at6native12_GLOBAL__N_18offset_tEEE10hipError_tPvRmT1_PNSt15iterator_traitsISH_E10value_typeET2_T3_PNSI_ISN_E10value_typeET4_jRbjT5_ST_jjP12ihipStream_tbEUlT_E_NS1_11comp_targetILNS1_3genE5ELNS1_11target_archE942ELNS1_3gpuE9ELNS1_3repE0EEENS1_30default_config_static_selectorELNS0_4arch9wavefront6targetE1EEEvSH_.private_seg_size, 0
	.set _ZN7rocprim17ROCPRIM_400000_NS6detail17trampoline_kernelINS0_14default_configENS1_36segmented_radix_sort_config_selectorIllEEZNS1_25segmented_radix_sort_implIS3_Lb0EPKlPlS8_S9_N2at6native12_GLOBAL__N_18offset_tEEE10hipError_tPvRmT1_PNSt15iterator_traitsISH_E10value_typeET2_T3_PNSI_ISN_E10value_typeET4_jRbjT5_ST_jjP12ihipStream_tbEUlT_E_NS1_11comp_targetILNS1_3genE5ELNS1_11target_archE942ELNS1_3gpuE9ELNS1_3repE0EEENS1_30default_config_static_selectorELNS0_4arch9wavefront6targetE1EEEvSH_.uses_vcc, 0
	.set _ZN7rocprim17ROCPRIM_400000_NS6detail17trampoline_kernelINS0_14default_configENS1_36segmented_radix_sort_config_selectorIllEEZNS1_25segmented_radix_sort_implIS3_Lb0EPKlPlS8_S9_N2at6native12_GLOBAL__N_18offset_tEEE10hipError_tPvRmT1_PNSt15iterator_traitsISH_E10value_typeET2_T3_PNSI_ISN_E10value_typeET4_jRbjT5_ST_jjP12ihipStream_tbEUlT_E_NS1_11comp_targetILNS1_3genE5ELNS1_11target_archE942ELNS1_3gpuE9ELNS1_3repE0EEENS1_30default_config_static_selectorELNS0_4arch9wavefront6targetE1EEEvSH_.uses_flat_scratch, 0
	.set _ZN7rocprim17ROCPRIM_400000_NS6detail17trampoline_kernelINS0_14default_configENS1_36segmented_radix_sort_config_selectorIllEEZNS1_25segmented_radix_sort_implIS3_Lb0EPKlPlS8_S9_N2at6native12_GLOBAL__N_18offset_tEEE10hipError_tPvRmT1_PNSt15iterator_traitsISH_E10value_typeET2_T3_PNSI_ISN_E10value_typeET4_jRbjT5_ST_jjP12ihipStream_tbEUlT_E_NS1_11comp_targetILNS1_3genE5ELNS1_11target_archE942ELNS1_3gpuE9ELNS1_3repE0EEENS1_30default_config_static_selectorELNS0_4arch9wavefront6targetE1EEEvSH_.has_dyn_sized_stack, 0
	.set _ZN7rocprim17ROCPRIM_400000_NS6detail17trampoline_kernelINS0_14default_configENS1_36segmented_radix_sort_config_selectorIllEEZNS1_25segmented_radix_sort_implIS3_Lb0EPKlPlS8_S9_N2at6native12_GLOBAL__N_18offset_tEEE10hipError_tPvRmT1_PNSt15iterator_traitsISH_E10value_typeET2_T3_PNSI_ISN_E10value_typeET4_jRbjT5_ST_jjP12ihipStream_tbEUlT_E_NS1_11comp_targetILNS1_3genE5ELNS1_11target_archE942ELNS1_3gpuE9ELNS1_3repE0EEENS1_30default_config_static_selectorELNS0_4arch9wavefront6targetE1EEEvSH_.has_recursion, 0
	.set _ZN7rocprim17ROCPRIM_400000_NS6detail17trampoline_kernelINS0_14default_configENS1_36segmented_radix_sort_config_selectorIllEEZNS1_25segmented_radix_sort_implIS3_Lb0EPKlPlS8_S9_N2at6native12_GLOBAL__N_18offset_tEEE10hipError_tPvRmT1_PNSt15iterator_traitsISH_E10value_typeET2_T3_PNSI_ISN_E10value_typeET4_jRbjT5_ST_jjP12ihipStream_tbEUlT_E_NS1_11comp_targetILNS1_3genE5ELNS1_11target_archE942ELNS1_3gpuE9ELNS1_3repE0EEENS1_30default_config_static_selectorELNS0_4arch9wavefront6targetE1EEEvSH_.has_indirect_call, 0
	.section	.AMDGPU.csdata,"",@progbits
; Kernel info:
; codeLenInByte = 0
; TotalNumSgprs: 4
; NumVgprs: 0
; ScratchSize: 0
; MemoryBound: 0
; FloatMode: 240
; IeeeMode: 1
; LDSByteSize: 0 bytes/workgroup (compile time only)
; SGPRBlocks: 0
; VGPRBlocks: 0
; NumSGPRsForWavesPerEU: 4
; NumVGPRsForWavesPerEU: 1
; Occupancy: 10
; WaveLimiterHint : 0
; COMPUTE_PGM_RSRC2:SCRATCH_EN: 0
; COMPUTE_PGM_RSRC2:USER_SGPR: 6
; COMPUTE_PGM_RSRC2:TRAP_HANDLER: 0
; COMPUTE_PGM_RSRC2:TGID_X_EN: 1
; COMPUTE_PGM_RSRC2:TGID_Y_EN: 0
; COMPUTE_PGM_RSRC2:TGID_Z_EN: 0
; COMPUTE_PGM_RSRC2:TIDIG_COMP_CNT: 0
	.section	.text._ZN7rocprim17ROCPRIM_400000_NS6detail17trampoline_kernelINS0_14default_configENS1_36segmented_radix_sort_config_selectorIllEEZNS1_25segmented_radix_sort_implIS3_Lb0EPKlPlS8_S9_N2at6native12_GLOBAL__N_18offset_tEEE10hipError_tPvRmT1_PNSt15iterator_traitsISH_E10value_typeET2_T3_PNSI_ISN_E10value_typeET4_jRbjT5_ST_jjP12ihipStream_tbEUlT_E_NS1_11comp_targetILNS1_3genE4ELNS1_11target_archE910ELNS1_3gpuE8ELNS1_3repE0EEENS1_30default_config_static_selectorELNS0_4arch9wavefront6targetE1EEEvSH_,"axG",@progbits,_ZN7rocprim17ROCPRIM_400000_NS6detail17trampoline_kernelINS0_14default_configENS1_36segmented_radix_sort_config_selectorIllEEZNS1_25segmented_radix_sort_implIS3_Lb0EPKlPlS8_S9_N2at6native12_GLOBAL__N_18offset_tEEE10hipError_tPvRmT1_PNSt15iterator_traitsISH_E10value_typeET2_T3_PNSI_ISN_E10value_typeET4_jRbjT5_ST_jjP12ihipStream_tbEUlT_E_NS1_11comp_targetILNS1_3genE4ELNS1_11target_archE910ELNS1_3gpuE8ELNS1_3repE0EEENS1_30default_config_static_selectorELNS0_4arch9wavefront6targetE1EEEvSH_,comdat
	.globl	_ZN7rocprim17ROCPRIM_400000_NS6detail17trampoline_kernelINS0_14default_configENS1_36segmented_radix_sort_config_selectorIllEEZNS1_25segmented_radix_sort_implIS3_Lb0EPKlPlS8_S9_N2at6native12_GLOBAL__N_18offset_tEEE10hipError_tPvRmT1_PNSt15iterator_traitsISH_E10value_typeET2_T3_PNSI_ISN_E10value_typeET4_jRbjT5_ST_jjP12ihipStream_tbEUlT_E_NS1_11comp_targetILNS1_3genE4ELNS1_11target_archE910ELNS1_3gpuE8ELNS1_3repE0EEENS1_30default_config_static_selectorELNS0_4arch9wavefront6targetE1EEEvSH_ ; -- Begin function _ZN7rocprim17ROCPRIM_400000_NS6detail17trampoline_kernelINS0_14default_configENS1_36segmented_radix_sort_config_selectorIllEEZNS1_25segmented_radix_sort_implIS3_Lb0EPKlPlS8_S9_N2at6native12_GLOBAL__N_18offset_tEEE10hipError_tPvRmT1_PNSt15iterator_traitsISH_E10value_typeET2_T3_PNSI_ISN_E10value_typeET4_jRbjT5_ST_jjP12ihipStream_tbEUlT_E_NS1_11comp_targetILNS1_3genE4ELNS1_11target_archE910ELNS1_3gpuE8ELNS1_3repE0EEENS1_30default_config_static_selectorELNS0_4arch9wavefront6targetE1EEEvSH_
	.p2align	8
	.type	_ZN7rocprim17ROCPRIM_400000_NS6detail17trampoline_kernelINS0_14default_configENS1_36segmented_radix_sort_config_selectorIllEEZNS1_25segmented_radix_sort_implIS3_Lb0EPKlPlS8_S9_N2at6native12_GLOBAL__N_18offset_tEEE10hipError_tPvRmT1_PNSt15iterator_traitsISH_E10value_typeET2_T3_PNSI_ISN_E10value_typeET4_jRbjT5_ST_jjP12ihipStream_tbEUlT_E_NS1_11comp_targetILNS1_3genE4ELNS1_11target_archE910ELNS1_3gpuE8ELNS1_3repE0EEENS1_30default_config_static_selectorELNS0_4arch9wavefront6targetE1EEEvSH_,@function
_ZN7rocprim17ROCPRIM_400000_NS6detail17trampoline_kernelINS0_14default_configENS1_36segmented_radix_sort_config_selectorIllEEZNS1_25segmented_radix_sort_implIS3_Lb0EPKlPlS8_S9_N2at6native12_GLOBAL__N_18offset_tEEE10hipError_tPvRmT1_PNSt15iterator_traitsISH_E10value_typeET2_T3_PNSI_ISN_E10value_typeET4_jRbjT5_ST_jjP12ihipStream_tbEUlT_E_NS1_11comp_targetILNS1_3genE4ELNS1_11target_archE910ELNS1_3gpuE8ELNS1_3repE0EEENS1_30default_config_static_selectorELNS0_4arch9wavefront6targetE1EEEvSH_: ; @_ZN7rocprim17ROCPRIM_400000_NS6detail17trampoline_kernelINS0_14default_configENS1_36segmented_radix_sort_config_selectorIllEEZNS1_25segmented_radix_sort_implIS3_Lb0EPKlPlS8_S9_N2at6native12_GLOBAL__N_18offset_tEEE10hipError_tPvRmT1_PNSt15iterator_traitsISH_E10value_typeET2_T3_PNSI_ISN_E10value_typeET4_jRbjT5_ST_jjP12ihipStream_tbEUlT_E_NS1_11comp_targetILNS1_3genE4ELNS1_11target_archE910ELNS1_3gpuE8ELNS1_3repE0EEENS1_30default_config_static_selectorELNS0_4arch9wavefront6targetE1EEEvSH_
; %bb.0:
	.section	.rodata,"a",@progbits
	.p2align	6, 0x0
	.amdhsa_kernel _ZN7rocprim17ROCPRIM_400000_NS6detail17trampoline_kernelINS0_14default_configENS1_36segmented_radix_sort_config_selectorIllEEZNS1_25segmented_radix_sort_implIS3_Lb0EPKlPlS8_S9_N2at6native12_GLOBAL__N_18offset_tEEE10hipError_tPvRmT1_PNSt15iterator_traitsISH_E10value_typeET2_T3_PNSI_ISN_E10value_typeET4_jRbjT5_ST_jjP12ihipStream_tbEUlT_E_NS1_11comp_targetILNS1_3genE4ELNS1_11target_archE910ELNS1_3gpuE8ELNS1_3repE0EEENS1_30default_config_static_selectorELNS0_4arch9wavefront6targetE1EEEvSH_
		.amdhsa_group_segment_fixed_size 0
		.amdhsa_private_segment_fixed_size 0
		.amdhsa_kernarg_size 96
		.amdhsa_user_sgpr_count 6
		.amdhsa_user_sgpr_private_segment_buffer 1
		.amdhsa_user_sgpr_dispatch_ptr 0
		.amdhsa_user_sgpr_queue_ptr 0
		.amdhsa_user_sgpr_kernarg_segment_ptr 1
		.amdhsa_user_sgpr_dispatch_id 0
		.amdhsa_user_sgpr_flat_scratch_init 0
		.amdhsa_user_sgpr_private_segment_size 0
		.amdhsa_uses_dynamic_stack 0
		.amdhsa_system_sgpr_private_segment_wavefront_offset 0
		.amdhsa_system_sgpr_workgroup_id_x 1
		.amdhsa_system_sgpr_workgroup_id_y 0
		.amdhsa_system_sgpr_workgroup_id_z 0
		.amdhsa_system_sgpr_workgroup_info 0
		.amdhsa_system_vgpr_workitem_id 0
		.amdhsa_next_free_vgpr 1
		.amdhsa_next_free_sgpr 0
		.amdhsa_reserve_vcc 0
		.amdhsa_reserve_flat_scratch 0
		.amdhsa_float_round_mode_32 0
		.amdhsa_float_round_mode_16_64 0
		.amdhsa_float_denorm_mode_32 3
		.amdhsa_float_denorm_mode_16_64 3
		.amdhsa_dx10_clamp 1
		.amdhsa_ieee_mode 1
		.amdhsa_fp16_overflow 0
		.amdhsa_exception_fp_ieee_invalid_op 0
		.amdhsa_exception_fp_denorm_src 0
		.amdhsa_exception_fp_ieee_div_zero 0
		.amdhsa_exception_fp_ieee_overflow 0
		.amdhsa_exception_fp_ieee_underflow 0
		.amdhsa_exception_fp_ieee_inexact 0
		.amdhsa_exception_int_div_zero 0
	.end_amdhsa_kernel
	.section	.text._ZN7rocprim17ROCPRIM_400000_NS6detail17trampoline_kernelINS0_14default_configENS1_36segmented_radix_sort_config_selectorIllEEZNS1_25segmented_radix_sort_implIS3_Lb0EPKlPlS8_S9_N2at6native12_GLOBAL__N_18offset_tEEE10hipError_tPvRmT1_PNSt15iterator_traitsISH_E10value_typeET2_T3_PNSI_ISN_E10value_typeET4_jRbjT5_ST_jjP12ihipStream_tbEUlT_E_NS1_11comp_targetILNS1_3genE4ELNS1_11target_archE910ELNS1_3gpuE8ELNS1_3repE0EEENS1_30default_config_static_selectorELNS0_4arch9wavefront6targetE1EEEvSH_,"axG",@progbits,_ZN7rocprim17ROCPRIM_400000_NS6detail17trampoline_kernelINS0_14default_configENS1_36segmented_radix_sort_config_selectorIllEEZNS1_25segmented_radix_sort_implIS3_Lb0EPKlPlS8_S9_N2at6native12_GLOBAL__N_18offset_tEEE10hipError_tPvRmT1_PNSt15iterator_traitsISH_E10value_typeET2_T3_PNSI_ISN_E10value_typeET4_jRbjT5_ST_jjP12ihipStream_tbEUlT_E_NS1_11comp_targetILNS1_3genE4ELNS1_11target_archE910ELNS1_3gpuE8ELNS1_3repE0EEENS1_30default_config_static_selectorELNS0_4arch9wavefront6targetE1EEEvSH_,comdat
.Lfunc_end809:
	.size	_ZN7rocprim17ROCPRIM_400000_NS6detail17trampoline_kernelINS0_14default_configENS1_36segmented_radix_sort_config_selectorIllEEZNS1_25segmented_radix_sort_implIS3_Lb0EPKlPlS8_S9_N2at6native12_GLOBAL__N_18offset_tEEE10hipError_tPvRmT1_PNSt15iterator_traitsISH_E10value_typeET2_T3_PNSI_ISN_E10value_typeET4_jRbjT5_ST_jjP12ihipStream_tbEUlT_E_NS1_11comp_targetILNS1_3genE4ELNS1_11target_archE910ELNS1_3gpuE8ELNS1_3repE0EEENS1_30default_config_static_selectorELNS0_4arch9wavefront6targetE1EEEvSH_, .Lfunc_end809-_ZN7rocprim17ROCPRIM_400000_NS6detail17trampoline_kernelINS0_14default_configENS1_36segmented_radix_sort_config_selectorIllEEZNS1_25segmented_radix_sort_implIS3_Lb0EPKlPlS8_S9_N2at6native12_GLOBAL__N_18offset_tEEE10hipError_tPvRmT1_PNSt15iterator_traitsISH_E10value_typeET2_T3_PNSI_ISN_E10value_typeET4_jRbjT5_ST_jjP12ihipStream_tbEUlT_E_NS1_11comp_targetILNS1_3genE4ELNS1_11target_archE910ELNS1_3gpuE8ELNS1_3repE0EEENS1_30default_config_static_selectorELNS0_4arch9wavefront6targetE1EEEvSH_
                                        ; -- End function
	.set _ZN7rocprim17ROCPRIM_400000_NS6detail17trampoline_kernelINS0_14default_configENS1_36segmented_radix_sort_config_selectorIllEEZNS1_25segmented_radix_sort_implIS3_Lb0EPKlPlS8_S9_N2at6native12_GLOBAL__N_18offset_tEEE10hipError_tPvRmT1_PNSt15iterator_traitsISH_E10value_typeET2_T3_PNSI_ISN_E10value_typeET4_jRbjT5_ST_jjP12ihipStream_tbEUlT_E_NS1_11comp_targetILNS1_3genE4ELNS1_11target_archE910ELNS1_3gpuE8ELNS1_3repE0EEENS1_30default_config_static_selectorELNS0_4arch9wavefront6targetE1EEEvSH_.num_vgpr, 0
	.set _ZN7rocprim17ROCPRIM_400000_NS6detail17trampoline_kernelINS0_14default_configENS1_36segmented_radix_sort_config_selectorIllEEZNS1_25segmented_radix_sort_implIS3_Lb0EPKlPlS8_S9_N2at6native12_GLOBAL__N_18offset_tEEE10hipError_tPvRmT1_PNSt15iterator_traitsISH_E10value_typeET2_T3_PNSI_ISN_E10value_typeET4_jRbjT5_ST_jjP12ihipStream_tbEUlT_E_NS1_11comp_targetILNS1_3genE4ELNS1_11target_archE910ELNS1_3gpuE8ELNS1_3repE0EEENS1_30default_config_static_selectorELNS0_4arch9wavefront6targetE1EEEvSH_.num_agpr, 0
	.set _ZN7rocprim17ROCPRIM_400000_NS6detail17trampoline_kernelINS0_14default_configENS1_36segmented_radix_sort_config_selectorIllEEZNS1_25segmented_radix_sort_implIS3_Lb0EPKlPlS8_S9_N2at6native12_GLOBAL__N_18offset_tEEE10hipError_tPvRmT1_PNSt15iterator_traitsISH_E10value_typeET2_T3_PNSI_ISN_E10value_typeET4_jRbjT5_ST_jjP12ihipStream_tbEUlT_E_NS1_11comp_targetILNS1_3genE4ELNS1_11target_archE910ELNS1_3gpuE8ELNS1_3repE0EEENS1_30default_config_static_selectorELNS0_4arch9wavefront6targetE1EEEvSH_.numbered_sgpr, 0
	.set _ZN7rocprim17ROCPRIM_400000_NS6detail17trampoline_kernelINS0_14default_configENS1_36segmented_radix_sort_config_selectorIllEEZNS1_25segmented_radix_sort_implIS3_Lb0EPKlPlS8_S9_N2at6native12_GLOBAL__N_18offset_tEEE10hipError_tPvRmT1_PNSt15iterator_traitsISH_E10value_typeET2_T3_PNSI_ISN_E10value_typeET4_jRbjT5_ST_jjP12ihipStream_tbEUlT_E_NS1_11comp_targetILNS1_3genE4ELNS1_11target_archE910ELNS1_3gpuE8ELNS1_3repE0EEENS1_30default_config_static_selectorELNS0_4arch9wavefront6targetE1EEEvSH_.num_named_barrier, 0
	.set _ZN7rocprim17ROCPRIM_400000_NS6detail17trampoline_kernelINS0_14default_configENS1_36segmented_radix_sort_config_selectorIllEEZNS1_25segmented_radix_sort_implIS3_Lb0EPKlPlS8_S9_N2at6native12_GLOBAL__N_18offset_tEEE10hipError_tPvRmT1_PNSt15iterator_traitsISH_E10value_typeET2_T3_PNSI_ISN_E10value_typeET4_jRbjT5_ST_jjP12ihipStream_tbEUlT_E_NS1_11comp_targetILNS1_3genE4ELNS1_11target_archE910ELNS1_3gpuE8ELNS1_3repE0EEENS1_30default_config_static_selectorELNS0_4arch9wavefront6targetE1EEEvSH_.private_seg_size, 0
	.set _ZN7rocprim17ROCPRIM_400000_NS6detail17trampoline_kernelINS0_14default_configENS1_36segmented_radix_sort_config_selectorIllEEZNS1_25segmented_radix_sort_implIS3_Lb0EPKlPlS8_S9_N2at6native12_GLOBAL__N_18offset_tEEE10hipError_tPvRmT1_PNSt15iterator_traitsISH_E10value_typeET2_T3_PNSI_ISN_E10value_typeET4_jRbjT5_ST_jjP12ihipStream_tbEUlT_E_NS1_11comp_targetILNS1_3genE4ELNS1_11target_archE910ELNS1_3gpuE8ELNS1_3repE0EEENS1_30default_config_static_selectorELNS0_4arch9wavefront6targetE1EEEvSH_.uses_vcc, 0
	.set _ZN7rocprim17ROCPRIM_400000_NS6detail17trampoline_kernelINS0_14default_configENS1_36segmented_radix_sort_config_selectorIllEEZNS1_25segmented_radix_sort_implIS3_Lb0EPKlPlS8_S9_N2at6native12_GLOBAL__N_18offset_tEEE10hipError_tPvRmT1_PNSt15iterator_traitsISH_E10value_typeET2_T3_PNSI_ISN_E10value_typeET4_jRbjT5_ST_jjP12ihipStream_tbEUlT_E_NS1_11comp_targetILNS1_3genE4ELNS1_11target_archE910ELNS1_3gpuE8ELNS1_3repE0EEENS1_30default_config_static_selectorELNS0_4arch9wavefront6targetE1EEEvSH_.uses_flat_scratch, 0
	.set _ZN7rocprim17ROCPRIM_400000_NS6detail17trampoline_kernelINS0_14default_configENS1_36segmented_radix_sort_config_selectorIllEEZNS1_25segmented_radix_sort_implIS3_Lb0EPKlPlS8_S9_N2at6native12_GLOBAL__N_18offset_tEEE10hipError_tPvRmT1_PNSt15iterator_traitsISH_E10value_typeET2_T3_PNSI_ISN_E10value_typeET4_jRbjT5_ST_jjP12ihipStream_tbEUlT_E_NS1_11comp_targetILNS1_3genE4ELNS1_11target_archE910ELNS1_3gpuE8ELNS1_3repE0EEENS1_30default_config_static_selectorELNS0_4arch9wavefront6targetE1EEEvSH_.has_dyn_sized_stack, 0
	.set _ZN7rocprim17ROCPRIM_400000_NS6detail17trampoline_kernelINS0_14default_configENS1_36segmented_radix_sort_config_selectorIllEEZNS1_25segmented_radix_sort_implIS3_Lb0EPKlPlS8_S9_N2at6native12_GLOBAL__N_18offset_tEEE10hipError_tPvRmT1_PNSt15iterator_traitsISH_E10value_typeET2_T3_PNSI_ISN_E10value_typeET4_jRbjT5_ST_jjP12ihipStream_tbEUlT_E_NS1_11comp_targetILNS1_3genE4ELNS1_11target_archE910ELNS1_3gpuE8ELNS1_3repE0EEENS1_30default_config_static_selectorELNS0_4arch9wavefront6targetE1EEEvSH_.has_recursion, 0
	.set _ZN7rocprim17ROCPRIM_400000_NS6detail17trampoline_kernelINS0_14default_configENS1_36segmented_radix_sort_config_selectorIllEEZNS1_25segmented_radix_sort_implIS3_Lb0EPKlPlS8_S9_N2at6native12_GLOBAL__N_18offset_tEEE10hipError_tPvRmT1_PNSt15iterator_traitsISH_E10value_typeET2_T3_PNSI_ISN_E10value_typeET4_jRbjT5_ST_jjP12ihipStream_tbEUlT_E_NS1_11comp_targetILNS1_3genE4ELNS1_11target_archE910ELNS1_3gpuE8ELNS1_3repE0EEENS1_30default_config_static_selectorELNS0_4arch9wavefront6targetE1EEEvSH_.has_indirect_call, 0
	.section	.AMDGPU.csdata,"",@progbits
; Kernel info:
; codeLenInByte = 0
; TotalNumSgprs: 4
; NumVgprs: 0
; ScratchSize: 0
; MemoryBound: 0
; FloatMode: 240
; IeeeMode: 1
; LDSByteSize: 0 bytes/workgroup (compile time only)
; SGPRBlocks: 0
; VGPRBlocks: 0
; NumSGPRsForWavesPerEU: 4
; NumVGPRsForWavesPerEU: 1
; Occupancy: 10
; WaveLimiterHint : 0
; COMPUTE_PGM_RSRC2:SCRATCH_EN: 0
; COMPUTE_PGM_RSRC2:USER_SGPR: 6
; COMPUTE_PGM_RSRC2:TRAP_HANDLER: 0
; COMPUTE_PGM_RSRC2:TGID_X_EN: 1
; COMPUTE_PGM_RSRC2:TGID_Y_EN: 0
; COMPUTE_PGM_RSRC2:TGID_Z_EN: 0
; COMPUTE_PGM_RSRC2:TIDIG_COMP_CNT: 0
	.section	.text._ZN7rocprim17ROCPRIM_400000_NS6detail17trampoline_kernelINS0_14default_configENS1_36segmented_radix_sort_config_selectorIllEEZNS1_25segmented_radix_sort_implIS3_Lb0EPKlPlS8_S9_N2at6native12_GLOBAL__N_18offset_tEEE10hipError_tPvRmT1_PNSt15iterator_traitsISH_E10value_typeET2_T3_PNSI_ISN_E10value_typeET4_jRbjT5_ST_jjP12ihipStream_tbEUlT_E_NS1_11comp_targetILNS1_3genE3ELNS1_11target_archE908ELNS1_3gpuE7ELNS1_3repE0EEENS1_30default_config_static_selectorELNS0_4arch9wavefront6targetE1EEEvSH_,"axG",@progbits,_ZN7rocprim17ROCPRIM_400000_NS6detail17trampoline_kernelINS0_14default_configENS1_36segmented_radix_sort_config_selectorIllEEZNS1_25segmented_radix_sort_implIS3_Lb0EPKlPlS8_S9_N2at6native12_GLOBAL__N_18offset_tEEE10hipError_tPvRmT1_PNSt15iterator_traitsISH_E10value_typeET2_T3_PNSI_ISN_E10value_typeET4_jRbjT5_ST_jjP12ihipStream_tbEUlT_E_NS1_11comp_targetILNS1_3genE3ELNS1_11target_archE908ELNS1_3gpuE7ELNS1_3repE0EEENS1_30default_config_static_selectorELNS0_4arch9wavefront6targetE1EEEvSH_,comdat
	.globl	_ZN7rocprim17ROCPRIM_400000_NS6detail17trampoline_kernelINS0_14default_configENS1_36segmented_radix_sort_config_selectorIllEEZNS1_25segmented_radix_sort_implIS3_Lb0EPKlPlS8_S9_N2at6native12_GLOBAL__N_18offset_tEEE10hipError_tPvRmT1_PNSt15iterator_traitsISH_E10value_typeET2_T3_PNSI_ISN_E10value_typeET4_jRbjT5_ST_jjP12ihipStream_tbEUlT_E_NS1_11comp_targetILNS1_3genE3ELNS1_11target_archE908ELNS1_3gpuE7ELNS1_3repE0EEENS1_30default_config_static_selectorELNS0_4arch9wavefront6targetE1EEEvSH_ ; -- Begin function _ZN7rocprim17ROCPRIM_400000_NS6detail17trampoline_kernelINS0_14default_configENS1_36segmented_radix_sort_config_selectorIllEEZNS1_25segmented_radix_sort_implIS3_Lb0EPKlPlS8_S9_N2at6native12_GLOBAL__N_18offset_tEEE10hipError_tPvRmT1_PNSt15iterator_traitsISH_E10value_typeET2_T3_PNSI_ISN_E10value_typeET4_jRbjT5_ST_jjP12ihipStream_tbEUlT_E_NS1_11comp_targetILNS1_3genE3ELNS1_11target_archE908ELNS1_3gpuE7ELNS1_3repE0EEENS1_30default_config_static_selectorELNS0_4arch9wavefront6targetE1EEEvSH_
	.p2align	8
	.type	_ZN7rocprim17ROCPRIM_400000_NS6detail17trampoline_kernelINS0_14default_configENS1_36segmented_radix_sort_config_selectorIllEEZNS1_25segmented_radix_sort_implIS3_Lb0EPKlPlS8_S9_N2at6native12_GLOBAL__N_18offset_tEEE10hipError_tPvRmT1_PNSt15iterator_traitsISH_E10value_typeET2_T3_PNSI_ISN_E10value_typeET4_jRbjT5_ST_jjP12ihipStream_tbEUlT_E_NS1_11comp_targetILNS1_3genE3ELNS1_11target_archE908ELNS1_3gpuE7ELNS1_3repE0EEENS1_30default_config_static_selectorELNS0_4arch9wavefront6targetE1EEEvSH_,@function
_ZN7rocprim17ROCPRIM_400000_NS6detail17trampoline_kernelINS0_14default_configENS1_36segmented_radix_sort_config_selectorIllEEZNS1_25segmented_radix_sort_implIS3_Lb0EPKlPlS8_S9_N2at6native12_GLOBAL__N_18offset_tEEE10hipError_tPvRmT1_PNSt15iterator_traitsISH_E10value_typeET2_T3_PNSI_ISN_E10value_typeET4_jRbjT5_ST_jjP12ihipStream_tbEUlT_E_NS1_11comp_targetILNS1_3genE3ELNS1_11target_archE908ELNS1_3gpuE7ELNS1_3repE0EEENS1_30default_config_static_selectorELNS0_4arch9wavefront6targetE1EEEvSH_: ; @_ZN7rocprim17ROCPRIM_400000_NS6detail17trampoline_kernelINS0_14default_configENS1_36segmented_radix_sort_config_selectorIllEEZNS1_25segmented_radix_sort_implIS3_Lb0EPKlPlS8_S9_N2at6native12_GLOBAL__N_18offset_tEEE10hipError_tPvRmT1_PNSt15iterator_traitsISH_E10value_typeET2_T3_PNSI_ISN_E10value_typeET4_jRbjT5_ST_jjP12ihipStream_tbEUlT_E_NS1_11comp_targetILNS1_3genE3ELNS1_11target_archE908ELNS1_3gpuE7ELNS1_3repE0EEENS1_30default_config_static_selectorELNS0_4arch9wavefront6targetE1EEEvSH_
; %bb.0:
	.section	.rodata,"a",@progbits
	.p2align	6, 0x0
	.amdhsa_kernel _ZN7rocprim17ROCPRIM_400000_NS6detail17trampoline_kernelINS0_14default_configENS1_36segmented_radix_sort_config_selectorIllEEZNS1_25segmented_radix_sort_implIS3_Lb0EPKlPlS8_S9_N2at6native12_GLOBAL__N_18offset_tEEE10hipError_tPvRmT1_PNSt15iterator_traitsISH_E10value_typeET2_T3_PNSI_ISN_E10value_typeET4_jRbjT5_ST_jjP12ihipStream_tbEUlT_E_NS1_11comp_targetILNS1_3genE3ELNS1_11target_archE908ELNS1_3gpuE7ELNS1_3repE0EEENS1_30default_config_static_selectorELNS0_4arch9wavefront6targetE1EEEvSH_
		.amdhsa_group_segment_fixed_size 0
		.amdhsa_private_segment_fixed_size 0
		.amdhsa_kernarg_size 96
		.amdhsa_user_sgpr_count 6
		.amdhsa_user_sgpr_private_segment_buffer 1
		.amdhsa_user_sgpr_dispatch_ptr 0
		.amdhsa_user_sgpr_queue_ptr 0
		.amdhsa_user_sgpr_kernarg_segment_ptr 1
		.amdhsa_user_sgpr_dispatch_id 0
		.amdhsa_user_sgpr_flat_scratch_init 0
		.amdhsa_user_sgpr_private_segment_size 0
		.amdhsa_uses_dynamic_stack 0
		.amdhsa_system_sgpr_private_segment_wavefront_offset 0
		.amdhsa_system_sgpr_workgroup_id_x 1
		.amdhsa_system_sgpr_workgroup_id_y 0
		.amdhsa_system_sgpr_workgroup_id_z 0
		.amdhsa_system_sgpr_workgroup_info 0
		.amdhsa_system_vgpr_workitem_id 0
		.amdhsa_next_free_vgpr 1
		.amdhsa_next_free_sgpr 0
		.amdhsa_reserve_vcc 0
		.amdhsa_reserve_flat_scratch 0
		.amdhsa_float_round_mode_32 0
		.amdhsa_float_round_mode_16_64 0
		.amdhsa_float_denorm_mode_32 3
		.amdhsa_float_denorm_mode_16_64 3
		.amdhsa_dx10_clamp 1
		.amdhsa_ieee_mode 1
		.amdhsa_fp16_overflow 0
		.amdhsa_exception_fp_ieee_invalid_op 0
		.amdhsa_exception_fp_denorm_src 0
		.amdhsa_exception_fp_ieee_div_zero 0
		.amdhsa_exception_fp_ieee_overflow 0
		.amdhsa_exception_fp_ieee_underflow 0
		.amdhsa_exception_fp_ieee_inexact 0
		.amdhsa_exception_int_div_zero 0
	.end_amdhsa_kernel
	.section	.text._ZN7rocprim17ROCPRIM_400000_NS6detail17trampoline_kernelINS0_14default_configENS1_36segmented_radix_sort_config_selectorIllEEZNS1_25segmented_radix_sort_implIS3_Lb0EPKlPlS8_S9_N2at6native12_GLOBAL__N_18offset_tEEE10hipError_tPvRmT1_PNSt15iterator_traitsISH_E10value_typeET2_T3_PNSI_ISN_E10value_typeET4_jRbjT5_ST_jjP12ihipStream_tbEUlT_E_NS1_11comp_targetILNS1_3genE3ELNS1_11target_archE908ELNS1_3gpuE7ELNS1_3repE0EEENS1_30default_config_static_selectorELNS0_4arch9wavefront6targetE1EEEvSH_,"axG",@progbits,_ZN7rocprim17ROCPRIM_400000_NS6detail17trampoline_kernelINS0_14default_configENS1_36segmented_radix_sort_config_selectorIllEEZNS1_25segmented_radix_sort_implIS3_Lb0EPKlPlS8_S9_N2at6native12_GLOBAL__N_18offset_tEEE10hipError_tPvRmT1_PNSt15iterator_traitsISH_E10value_typeET2_T3_PNSI_ISN_E10value_typeET4_jRbjT5_ST_jjP12ihipStream_tbEUlT_E_NS1_11comp_targetILNS1_3genE3ELNS1_11target_archE908ELNS1_3gpuE7ELNS1_3repE0EEENS1_30default_config_static_selectorELNS0_4arch9wavefront6targetE1EEEvSH_,comdat
.Lfunc_end810:
	.size	_ZN7rocprim17ROCPRIM_400000_NS6detail17trampoline_kernelINS0_14default_configENS1_36segmented_radix_sort_config_selectorIllEEZNS1_25segmented_radix_sort_implIS3_Lb0EPKlPlS8_S9_N2at6native12_GLOBAL__N_18offset_tEEE10hipError_tPvRmT1_PNSt15iterator_traitsISH_E10value_typeET2_T3_PNSI_ISN_E10value_typeET4_jRbjT5_ST_jjP12ihipStream_tbEUlT_E_NS1_11comp_targetILNS1_3genE3ELNS1_11target_archE908ELNS1_3gpuE7ELNS1_3repE0EEENS1_30default_config_static_selectorELNS0_4arch9wavefront6targetE1EEEvSH_, .Lfunc_end810-_ZN7rocprim17ROCPRIM_400000_NS6detail17trampoline_kernelINS0_14default_configENS1_36segmented_radix_sort_config_selectorIllEEZNS1_25segmented_radix_sort_implIS3_Lb0EPKlPlS8_S9_N2at6native12_GLOBAL__N_18offset_tEEE10hipError_tPvRmT1_PNSt15iterator_traitsISH_E10value_typeET2_T3_PNSI_ISN_E10value_typeET4_jRbjT5_ST_jjP12ihipStream_tbEUlT_E_NS1_11comp_targetILNS1_3genE3ELNS1_11target_archE908ELNS1_3gpuE7ELNS1_3repE0EEENS1_30default_config_static_selectorELNS0_4arch9wavefront6targetE1EEEvSH_
                                        ; -- End function
	.set _ZN7rocprim17ROCPRIM_400000_NS6detail17trampoline_kernelINS0_14default_configENS1_36segmented_radix_sort_config_selectorIllEEZNS1_25segmented_radix_sort_implIS3_Lb0EPKlPlS8_S9_N2at6native12_GLOBAL__N_18offset_tEEE10hipError_tPvRmT1_PNSt15iterator_traitsISH_E10value_typeET2_T3_PNSI_ISN_E10value_typeET4_jRbjT5_ST_jjP12ihipStream_tbEUlT_E_NS1_11comp_targetILNS1_3genE3ELNS1_11target_archE908ELNS1_3gpuE7ELNS1_3repE0EEENS1_30default_config_static_selectorELNS0_4arch9wavefront6targetE1EEEvSH_.num_vgpr, 0
	.set _ZN7rocprim17ROCPRIM_400000_NS6detail17trampoline_kernelINS0_14default_configENS1_36segmented_radix_sort_config_selectorIllEEZNS1_25segmented_radix_sort_implIS3_Lb0EPKlPlS8_S9_N2at6native12_GLOBAL__N_18offset_tEEE10hipError_tPvRmT1_PNSt15iterator_traitsISH_E10value_typeET2_T3_PNSI_ISN_E10value_typeET4_jRbjT5_ST_jjP12ihipStream_tbEUlT_E_NS1_11comp_targetILNS1_3genE3ELNS1_11target_archE908ELNS1_3gpuE7ELNS1_3repE0EEENS1_30default_config_static_selectorELNS0_4arch9wavefront6targetE1EEEvSH_.num_agpr, 0
	.set _ZN7rocprim17ROCPRIM_400000_NS6detail17trampoline_kernelINS0_14default_configENS1_36segmented_radix_sort_config_selectorIllEEZNS1_25segmented_radix_sort_implIS3_Lb0EPKlPlS8_S9_N2at6native12_GLOBAL__N_18offset_tEEE10hipError_tPvRmT1_PNSt15iterator_traitsISH_E10value_typeET2_T3_PNSI_ISN_E10value_typeET4_jRbjT5_ST_jjP12ihipStream_tbEUlT_E_NS1_11comp_targetILNS1_3genE3ELNS1_11target_archE908ELNS1_3gpuE7ELNS1_3repE0EEENS1_30default_config_static_selectorELNS0_4arch9wavefront6targetE1EEEvSH_.numbered_sgpr, 0
	.set _ZN7rocprim17ROCPRIM_400000_NS6detail17trampoline_kernelINS0_14default_configENS1_36segmented_radix_sort_config_selectorIllEEZNS1_25segmented_radix_sort_implIS3_Lb0EPKlPlS8_S9_N2at6native12_GLOBAL__N_18offset_tEEE10hipError_tPvRmT1_PNSt15iterator_traitsISH_E10value_typeET2_T3_PNSI_ISN_E10value_typeET4_jRbjT5_ST_jjP12ihipStream_tbEUlT_E_NS1_11comp_targetILNS1_3genE3ELNS1_11target_archE908ELNS1_3gpuE7ELNS1_3repE0EEENS1_30default_config_static_selectorELNS0_4arch9wavefront6targetE1EEEvSH_.num_named_barrier, 0
	.set _ZN7rocprim17ROCPRIM_400000_NS6detail17trampoline_kernelINS0_14default_configENS1_36segmented_radix_sort_config_selectorIllEEZNS1_25segmented_radix_sort_implIS3_Lb0EPKlPlS8_S9_N2at6native12_GLOBAL__N_18offset_tEEE10hipError_tPvRmT1_PNSt15iterator_traitsISH_E10value_typeET2_T3_PNSI_ISN_E10value_typeET4_jRbjT5_ST_jjP12ihipStream_tbEUlT_E_NS1_11comp_targetILNS1_3genE3ELNS1_11target_archE908ELNS1_3gpuE7ELNS1_3repE0EEENS1_30default_config_static_selectorELNS0_4arch9wavefront6targetE1EEEvSH_.private_seg_size, 0
	.set _ZN7rocprim17ROCPRIM_400000_NS6detail17trampoline_kernelINS0_14default_configENS1_36segmented_radix_sort_config_selectorIllEEZNS1_25segmented_radix_sort_implIS3_Lb0EPKlPlS8_S9_N2at6native12_GLOBAL__N_18offset_tEEE10hipError_tPvRmT1_PNSt15iterator_traitsISH_E10value_typeET2_T3_PNSI_ISN_E10value_typeET4_jRbjT5_ST_jjP12ihipStream_tbEUlT_E_NS1_11comp_targetILNS1_3genE3ELNS1_11target_archE908ELNS1_3gpuE7ELNS1_3repE0EEENS1_30default_config_static_selectorELNS0_4arch9wavefront6targetE1EEEvSH_.uses_vcc, 0
	.set _ZN7rocprim17ROCPRIM_400000_NS6detail17trampoline_kernelINS0_14default_configENS1_36segmented_radix_sort_config_selectorIllEEZNS1_25segmented_radix_sort_implIS3_Lb0EPKlPlS8_S9_N2at6native12_GLOBAL__N_18offset_tEEE10hipError_tPvRmT1_PNSt15iterator_traitsISH_E10value_typeET2_T3_PNSI_ISN_E10value_typeET4_jRbjT5_ST_jjP12ihipStream_tbEUlT_E_NS1_11comp_targetILNS1_3genE3ELNS1_11target_archE908ELNS1_3gpuE7ELNS1_3repE0EEENS1_30default_config_static_selectorELNS0_4arch9wavefront6targetE1EEEvSH_.uses_flat_scratch, 0
	.set _ZN7rocprim17ROCPRIM_400000_NS6detail17trampoline_kernelINS0_14default_configENS1_36segmented_radix_sort_config_selectorIllEEZNS1_25segmented_radix_sort_implIS3_Lb0EPKlPlS8_S9_N2at6native12_GLOBAL__N_18offset_tEEE10hipError_tPvRmT1_PNSt15iterator_traitsISH_E10value_typeET2_T3_PNSI_ISN_E10value_typeET4_jRbjT5_ST_jjP12ihipStream_tbEUlT_E_NS1_11comp_targetILNS1_3genE3ELNS1_11target_archE908ELNS1_3gpuE7ELNS1_3repE0EEENS1_30default_config_static_selectorELNS0_4arch9wavefront6targetE1EEEvSH_.has_dyn_sized_stack, 0
	.set _ZN7rocprim17ROCPRIM_400000_NS6detail17trampoline_kernelINS0_14default_configENS1_36segmented_radix_sort_config_selectorIllEEZNS1_25segmented_radix_sort_implIS3_Lb0EPKlPlS8_S9_N2at6native12_GLOBAL__N_18offset_tEEE10hipError_tPvRmT1_PNSt15iterator_traitsISH_E10value_typeET2_T3_PNSI_ISN_E10value_typeET4_jRbjT5_ST_jjP12ihipStream_tbEUlT_E_NS1_11comp_targetILNS1_3genE3ELNS1_11target_archE908ELNS1_3gpuE7ELNS1_3repE0EEENS1_30default_config_static_selectorELNS0_4arch9wavefront6targetE1EEEvSH_.has_recursion, 0
	.set _ZN7rocprim17ROCPRIM_400000_NS6detail17trampoline_kernelINS0_14default_configENS1_36segmented_radix_sort_config_selectorIllEEZNS1_25segmented_radix_sort_implIS3_Lb0EPKlPlS8_S9_N2at6native12_GLOBAL__N_18offset_tEEE10hipError_tPvRmT1_PNSt15iterator_traitsISH_E10value_typeET2_T3_PNSI_ISN_E10value_typeET4_jRbjT5_ST_jjP12ihipStream_tbEUlT_E_NS1_11comp_targetILNS1_3genE3ELNS1_11target_archE908ELNS1_3gpuE7ELNS1_3repE0EEENS1_30default_config_static_selectorELNS0_4arch9wavefront6targetE1EEEvSH_.has_indirect_call, 0
	.section	.AMDGPU.csdata,"",@progbits
; Kernel info:
; codeLenInByte = 0
; TotalNumSgprs: 4
; NumVgprs: 0
; ScratchSize: 0
; MemoryBound: 0
; FloatMode: 240
; IeeeMode: 1
; LDSByteSize: 0 bytes/workgroup (compile time only)
; SGPRBlocks: 0
; VGPRBlocks: 0
; NumSGPRsForWavesPerEU: 4
; NumVGPRsForWavesPerEU: 1
; Occupancy: 10
; WaveLimiterHint : 0
; COMPUTE_PGM_RSRC2:SCRATCH_EN: 0
; COMPUTE_PGM_RSRC2:USER_SGPR: 6
; COMPUTE_PGM_RSRC2:TRAP_HANDLER: 0
; COMPUTE_PGM_RSRC2:TGID_X_EN: 1
; COMPUTE_PGM_RSRC2:TGID_Y_EN: 0
; COMPUTE_PGM_RSRC2:TGID_Z_EN: 0
; COMPUTE_PGM_RSRC2:TIDIG_COMP_CNT: 0
	.text
	.p2align	2                               ; -- Begin function _ZN7rocprim17ROCPRIM_400000_NS6detail40segmented_radix_sort_single_block_helperIllLj256ELj16ELb0EE4sortIPKlPlS6_S7_EEbT_T0_T1_T2_jjjjRNS3_12storage_typeE
	.type	_ZN7rocprim17ROCPRIM_400000_NS6detail40segmented_radix_sort_single_block_helperIllLj256ELj16ELb0EE4sortIPKlPlS6_S7_EEbT_T0_T1_T2_jjjjRNS3_12storage_typeE,@function
_ZN7rocprim17ROCPRIM_400000_NS6detail40segmented_radix_sort_single_block_helperIllLj256ELj16ELb0EE4sortIPKlPlS6_S7_EEbT_T0_T1_T2_jjjjRNS3_12storage_typeE: ; @_ZN7rocprim17ROCPRIM_400000_NS6detail40segmented_radix_sort_single_block_helperIllLj256ELj16ELb0EE4sortIPKlPlS6_S7_EEbT_T0_T1_T2_jjjjRNS3_12storage_typeE
; %bb.0:
	s_waitcnt vmcnt(0) expcnt(0) lgkmcnt(0)
	buffer_store_dword v40, off, s[0:3], s32 offset:152 ; 4-byte Folded Spill
	buffer_store_dword v41, off, s[0:3], s32 offset:148 ; 4-byte Folded Spill
	;; [unrolled: 1-line block ×38, first 2 shown]
	buffer_store_dword v110, off, s[0:3], s32 ; 4-byte Folded Spill
	v_sub_u32_e32 v246, v9, v8
	s_movk_i32 s4, 0x1001
	v_cmp_gt_u32_e32 vcc, s4, v246
	s_and_saveexec_b64 s[58:59], vcc
	s_cbranch_execz .LBB811_372
; %bb.1:
	s_movk_i32 s4, 0x800
	v_cmp_lt_u32_e32 vcc, s4, v246
	v_bfe_u32 v20, v31, 10, 10
	v_bfe_u32 v22, v31, 20, 10
	v_mbcnt_lo_u32_b32 v14, -1, 0
	s_and_saveexec_b64 s[4:5], vcc
	s_xor_b64 s[60:61], exec, s[4:5]
	s_cbranch_execz .LBB811_143
; %bb.2:
	s_load_dwordx2 s[4:5], s[8:9], 0x0
	v_mov_b32_e32 v9, 0
	v_lshlrev_b64 v[112:113], 3, v[8:9]
	v_and_b32_e32 v13, 0x3ff, v31
	v_add_co_u32_e32 v8, vcc, v0, v112
	s_waitcnt lgkmcnt(0)
	s_cmp_lt_u32 s13, s5
	s_cselect_b32 s5, 14, 20
	s_add_u32 s6, s8, s5
	s_addc_u32 s7, s9, 0
	s_cmp_lt_u32 s12, s4
	s_cselect_b32 s4, 12, 18
	s_add_u32 s4, s8, s4
	global_load_ushort v15, v9, s[6:7]
	s_addc_u32 s5, s9, 0
	global_load_ushort v19, v9, s[4:5]
	v_mbcnt_hi_u32_b32 v16, -1, v14
	v_addc_co_u32_e32 v14, vcc, v1, v113, vcc
	v_and_b32_e32 v17, 63, v16
	v_lshlrev_b32_e32 v18, 3, v17
	v_mov_b32_e32 v118, -1
	v_mov_b32_e32 v128, -1
	;; [unrolled: 1-line block ×4, first 2 shown]
	s_waitcnt vmcnt(1)
	v_mad_u32_u24 v0, v22, v15, v20
	s_waitcnt vmcnt(0)
	v_mad_u64_u32 v[0:1], s[4:5], v0, v19, v[13:14]
	v_add_co_u32_e32 v19, vcc, v8, v18
	v_lshlrev_b32_e32 v1, 4, v0
	v_and_b32_e32 v8, 0xfffffc00, v1
	v_addc_co_u32_e32 v20, vcc, 0, v14, vcc
	v_lshlrev_b64 v[14:15], 3, v[8:9]
	v_or_b32_e32 v1, v8, v17
	v_add_co_u32_e32 v8, vcc, v19, v14
	v_addc_co_u32_e32 v9, vcc, v20, v15, vcc
	v_cmp_lt_u32_e64 s[4:5], v1, v246
	s_and_saveexec_b64 s[6:7], s[4:5]
	s_cbranch_execz .LBB811_4
; %bb.3:
	flat_load_dwordx2 v[128:129], v[8:9]
	s_waitcnt vmcnt(0) lgkmcnt(0)
	v_xor_b32_e32 v129, 0x80000000, v129
.LBB811_4:
	s_or_b64 exec, exec, s[6:7]
	v_or_b32_e32 v19, 64, v1
	v_cmp_lt_u32_e64 s[6:7], v19, v246
	s_and_saveexec_b64 s[10:11], s[6:7]
	s_cbranch_execz .LBB811_6
; %bb.5:
	flat_load_dwordx2 v[118:119], v[8:9] offset:512
	s_waitcnt vmcnt(0) lgkmcnt(0)
	v_xor_b32_e32 v119, 0x80000000, v119
.LBB811_6:
	s_or_b64 exec, exec, s[10:11]
	v_or_b32_e32 v19, 0x80, v1
	v_mov_b32_e32 v130, -1
	v_mov_b32_e32 v132, -1
	v_mov_b32_e32 v131, -1
	v_mov_b32_e32 v133, -1
	v_cmp_lt_u32_e64 s[10:11], v19, v246
	s_and_saveexec_b64 s[14:15], s[10:11]
	s_cbranch_execz .LBB811_8
; %bb.7:
	flat_load_dwordx2 v[132:133], v[8:9] offset:1024
	s_waitcnt vmcnt(0) lgkmcnt(0)
	v_xor_b32_e32 v133, 0x80000000, v133
.LBB811_8:
	s_or_b64 exec, exec, s[14:15]
	v_or_b32_e32 v19, 0xc0, v1
	v_cmp_lt_u32_e64 s[56:57], v19, v246
	s_and_saveexec_b64 s[14:15], s[56:57]
	s_cbranch_execz .LBB811_10
; %bb.9:
	flat_load_dwordx2 v[130:131], v[8:9] offset:1536
	s_waitcnt vmcnt(0) lgkmcnt(0)
	v_xor_b32_e32 v131, 0x80000000, v131
.LBB811_10:
	s_or_b64 exec, exec, s[14:15]
	v_or_b32_e32 v19, 0x100, v1
	v_mov_b32_e32 v134, -1
	v_mov_b32_e32 v144, -1
	v_mov_b32_e32 v135, -1
	v_mov_b32_e32 v145, -1
	v_cmp_lt_u32_e64 s[14:15], v19, v246
	s_and_saveexec_b64 s[16:17], s[14:15]
	s_cbranch_execz .LBB811_12
; %bb.11:
	flat_load_dwordx2 v[144:145], v[8:9] offset:2048
	s_waitcnt vmcnt(0) lgkmcnt(0)
	v_xor_b32_e32 v145, 0x80000000, v145
.LBB811_12:
	;; [unrolled: 24-line block ×3, first 2 shown]
	s_or_b64 exec, exec, s[20:21]
	v_or_b32_e32 v19, 0x1c0, v1
	v_cmp_lt_u32_e64 s[20:21], v19, v246
	s_and_saveexec_b64 s[22:23], s[20:21]
	s_cbranch_execz .LBB811_18
; %bb.17:
	flat_load_dwordx2 v[146:147], v[8:9] offset:3584
	s_waitcnt vmcnt(0) lgkmcnt(0)
	v_xor_b32_e32 v147, 0x80000000, v147
.LBB811_18:
	s_or_b64 exec, exec, s[22:23]
	v_or_b32_e32 v19, 0x200, v1
	v_mov_b32_e32 v150, -1
	v_mov_b32_e32 v160, -1
	;; [unrolled: 1-line block ×4, first 2 shown]
	v_cmp_lt_u32_e64 s[22:23], v19, v246
	s_and_saveexec_b64 s[24:25], s[22:23]
	s_cbranch_execz .LBB811_20
; %bb.19:
	v_add_co_u32_e32 v19, vcc, 0x1000, v8
	v_addc_co_u32_e32 v20, vcc, 0, v9, vcc
	flat_load_dwordx2 v[160:161], v[19:20]
	s_waitcnt vmcnt(0) lgkmcnt(0)
	v_xor_b32_e32 v161, 0x80000000, v161
.LBB811_20:
	s_or_b64 exec, exec, s[24:25]
	v_or_b32_e32 v19, 0x240, v1
	v_cmp_lt_u32_e64 s[24:25], v19, v246
	s_and_saveexec_b64 s[26:27], s[24:25]
	s_cbranch_execz .LBB811_22
; %bb.21:
	v_add_co_u32_e32 v19, vcc, 0x1000, v8
	v_addc_co_u32_e32 v20, vcc, 0, v9, vcc
	flat_load_dwordx2 v[150:151], v[19:20] offset:512
	s_waitcnt vmcnt(0) lgkmcnt(0)
	v_xor_b32_e32 v151, 0x80000000, v151
.LBB811_22:
	s_or_b64 exec, exec, s[26:27]
	v_or_b32_e32 v19, 0x280, v1
	v_mov_b32_e32 v162, -1
	v_mov_b32_e32 v164, -1
	v_mov_b32_e32 v163, -1
	v_mov_b32_e32 v165, -1
	v_cmp_lt_u32_e64 s[26:27], v19, v246
	s_and_saveexec_b64 s[28:29], s[26:27]
	s_cbranch_execz .LBB811_24
; %bb.23:
	v_add_co_u32_e32 v19, vcc, 0x1000, v8
	v_addc_co_u32_e32 v20, vcc, 0, v9, vcc
	flat_load_dwordx2 v[164:165], v[19:20] offset:1024
	s_waitcnt vmcnt(0) lgkmcnt(0)
	v_xor_b32_e32 v165, 0x80000000, v165
.LBB811_24:
	s_or_b64 exec, exec, s[28:29]
	v_or_b32_e32 v19, 0x2c0, v1
	v_cmp_lt_u32_e64 s[28:29], v19, v246
	s_and_saveexec_b64 s[40:41], s[28:29]
	s_cbranch_execz .LBB811_26
; %bb.25:
	v_add_co_u32_e32 v19, vcc, 0x1000, v8
	v_addc_co_u32_e32 v20, vcc, 0, v9, vcc
	flat_load_dwordx2 v[162:163], v[19:20] offset:1536
	s_waitcnt vmcnt(0) lgkmcnt(0)
	v_xor_b32_e32 v163, 0x80000000, v163
.LBB811_26:
	s_or_b64 exec, exec, s[40:41]
	v_or_b32_e32 v19, 0x300, v1
	v_mov_b32_e32 v166, -1
	v_mov_b32_e32 v176, -1
	v_mov_b32_e32 v167, -1
	v_mov_b32_e32 v177, -1
	v_cmp_lt_u32_e64 s[40:41], v19, v246
	s_and_saveexec_b64 s[42:43], s[40:41]
	s_cbranch_execz .LBB811_28
; %bb.27:
	v_add_co_u32_e32 v19, vcc, 0x1000, v8
	v_addc_co_u32_e32 v20, vcc, 0, v9, vcc
	flat_load_dwordx2 v[176:177], v[19:20] offset:2048
	s_waitcnt vmcnt(0) lgkmcnt(0)
	v_xor_b32_e32 v177, 0x80000000, v177
.LBB811_28:
	s_or_b64 exec, exec, s[42:43]
	v_or_b32_e32 v19, 0x340, v1
	v_cmp_lt_u32_e64 s[42:43], v19, v246
	s_and_saveexec_b64 s[44:45], s[42:43]
	s_cbranch_execz .LBB811_30
; %bb.29:
	v_add_co_u32_e32 v19, vcc, 0x1000, v8
	v_addc_co_u32_e32 v20, vcc, 0, v9, vcc
	flat_load_dwordx2 v[166:167], v[19:20] offset:2560
	s_waitcnt vmcnt(0) lgkmcnt(0)
	v_xor_b32_e32 v167, 0x80000000, v167
.LBB811_30:
	s_or_b64 exec, exec, s[44:45]
	v_or_b32_e32 v19, 0x380, v1
	v_mov_b32_e32 v178, -1
	v_mov_b32_e32 v180, -1
	v_mov_b32_e32 v179, -1
	v_mov_b32_e32 v181, -1
	v_cmp_lt_u32_e64 s[44:45], v19, v246
	s_and_saveexec_b64 s[46:47], s[44:45]
	s_cbranch_execz .LBB811_32
; %bb.31:
	v_add_co_u32_e32 v19, vcc, 0x1000, v8
	v_addc_co_u32_e32 v20, vcc, 0, v9, vcc
	flat_load_dwordx2 v[180:181], v[19:20] offset:3072
	s_waitcnt vmcnt(0) lgkmcnt(0)
	v_xor_b32_e32 v181, 0x80000000, v181
.LBB811_32:
	s_or_b64 exec, exec, s[46:47]
	v_or_b32_e32 v1, 0x3c0, v1
	v_cmp_lt_u32_e64 s[46:47], v1, v246
	s_and_saveexec_b64 s[62:63], s[46:47]
	s_cbranch_execz .LBB811_34
; %bb.33:
	v_add_co_u32_e32 v8, vcc, 0x1000, v8
	v_addc_co_u32_e32 v9, vcc, 0, v9, vcc
	flat_load_dwordx2 v[178:179], v[8:9] offset:3584
	s_waitcnt vmcnt(0) lgkmcnt(0)
	v_xor_b32_e32 v179, 0x80000000, v179
.LBB811_34:
	s_or_b64 exec, exec, s[62:63]
	v_add_co_u32_e32 v1, vcc, v4, v112
	v_addc_co_u32_e32 v4, vcc, v5, v113, vcc
	v_add_co_u32_e32 v1, vcc, v1, v18
	v_addc_co_u32_e32 v5, vcc, 0, v4, vcc
	;; [unrolled: 2-line block ×3, first 2 shown]
                                        ; implicit-def: $vgpr182_vgpr183
	s_and_saveexec_b64 s[62:63], s[4:5]
	s_cbranch_execnz .LBB811_196
; %bb.35:
	s_or_b64 exec, exec, s[62:63]
                                        ; implicit-def: $vgpr192_vgpr193
	s_and_saveexec_b64 s[4:5], s[6:7]
	s_cbranch_execnz .LBB811_197
.LBB811_36:
	s_or_b64 exec, exec, s[4:5]
                                        ; implicit-def: $vgpr194_vgpr195
	s_and_saveexec_b64 s[4:5], s[10:11]
	s_cbranch_execnz .LBB811_198
.LBB811_37:
	s_or_b64 exec, exec, s[4:5]
                                        ; implicit-def: $vgpr196_vgpr197
	s_and_saveexec_b64 s[4:5], s[56:57]
	s_cbranch_execnz .LBB811_199
.LBB811_38:
	s_or_b64 exec, exec, s[4:5]
                                        ; implicit-def: $vgpr198_vgpr199
	s_and_saveexec_b64 s[4:5], s[14:15]
	s_cbranch_execnz .LBB811_200
.LBB811_39:
	s_or_b64 exec, exec, s[4:5]
                                        ; implicit-def: $vgpr208_vgpr209
	s_and_saveexec_b64 s[4:5], s[16:17]
	s_cbranch_execnz .LBB811_201
.LBB811_40:
	s_or_b64 exec, exec, s[4:5]
                                        ; implicit-def: $vgpr210_vgpr211
	s_and_saveexec_b64 s[4:5], s[18:19]
	s_cbranch_execnz .LBB811_202
.LBB811_41:
	s_or_b64 exec, exec, s[4:5]
                                        ; implicit-def: $vgpr212_vgpr213
	s_and_saveexec_b64 s[4:5], s[20:21]
	s_cbranch_execnz .LBB811_203
.LBB811_42:
	s_or_b64 exec, exec, s[4:5]
                                        ; implicit-def: $vgpr214_vgpr215
	s_and_saveexec_b64 s[4:5], s[22:23]
	s_cbranch_execnz .LBB811_204
.LBB811_43:
	s_or_b64 exec, exec, s[4:5]
                                        ; implicit-def: $vgpr224_vgpr225
	s_and_saveexec_b64 s[4:5], s[24:25]
	s_cbranch_execnz .LBB811_205
.LBB811_44:
	s_or_b64 exec, exec, s[4:5]
                                        ; implicit-def: $vgpr226_vgpr227
	s_and_saveexec_b64 s[4:5], s[26:27]
	s_cbranch_execnz .LBB811_206
.LBB811_45:
	s_or_b64 exec, exec, s[4:5]
                                        ; implicit-def: $vgpr228_vgpr229
	s_and_saveexec_b64 s[4:5], s[28:29]
	s_cbranch_execnz .LBB811_207
.LBB811_46:
	s_or_b64 exec, exec, s[4:5]
                                        ; implicit-def: $vgpr230_vgpr231
	s_and_saveexec_b64 s[4:5], s[40:41]
	s_cbranch_execnz .LBB811_208
.LBB811_47:
	s_or_b64 exec, exec, s[4:5]
                                        ; implicit-def: $vgpr240_vgpr241
	s_and_saveexec_b64 s[4:5], s[42:43]
	s_cbranch_execnz .LBB811_209
.LBB811_48:
	s_or_b64 exec, exec, s[4:5]
                                        ; implicit-def: $vgpr242_vgpr243
	s_and_saveexec_b64 s[4:5], s[44:45]
	s_cbranch_execnz .LBB811_210
.LBB811_49:
	s_or_b64 exec, exec, s[4:5]
                                        ; implicit-def: $vgpr244_vgpr245
	s_and_saveexec_b64 s[4:5], s[46:47]
	s_cbranch_execz .LBB811_51
.LBB811_50:
	v_add_co_u32_e32 v4, vcc, 0x1000, v4
	v_addc_co_u32_e32 v5, vcc, 0, v5, vcc
	flat_load_dwordx2 v[244:245], v[4:5] offset:3584
.LBB811_51:
	s_or_b64 exec, exec, s[4:5]
	v_lshlrev_b32_e32 v4, 4, v13
	v_add_u32_e32 v5, v12, v4
	s_getpc_b64 s[4:5]
	s_add_u32 s4, s4, _ZN7rocprim17ROCPRIM_400000_NS16block_radix_sortIlLj256ELj16ElLj1ELj1ELj8ELNS0_26block_radix_rank_algorithmE2ELNS0_18block_padding_hintE2ELNS0_4arch9wavefront6targetE1EE19radix_bits_per_passE@rel32@lo+4
	s_addc_u32 s5, s5, _ZN7rocprim17ROCPRIM_400000_NS16block_radix_sortIlLj256ELj16ElLj1ELj1ELj8ELNS0_26block_radix_rank_algorithmE2ELNS0_18block_padding_hintE2ELNS0_4arch9wavefront6targetE1EE19radix_bits_per_passE@rel32@hi+12
	v_add_u32_e32 v1, 16, v5
	v_add_u32_e32 v247, 20, v5
	;; [unrolled: 1-line block ×4, first 2 shown]
	v_and_b32_e32 v5, 15, v16
	s_load_dword s62, s[4:5], 0x0
	v_cmp_eq_u32_e32 vcc, 0, v5
	v_cmp_lt_u32_e64 s[4:5], 1, v5
	v_cmp_lt_u32_e64 s[6:7], 3, v5
	;; [unrolled: 1-line block ×3, first 2 shown]
	v_and_b32_e32 v5, 16, v16
	v_cmp_eq_u32_e64 s[42:43], 0, v5
	v_and_b32_e32 v5, 0x3c0, v13
	v_min_u32_e32 v5, 0xc0, v5
	v_or_b32_e32 v5, 63, v5
	v_cmp_eq_u32_e64 s[16:17], v13, v5
	v_subrev_co_u32_e64 v5, s[22:23], 1, v16
	v_and_b32_e32 v8, 64, v16
	v_cmp_lt_i32_e64 s[24:25], v5, v8
	v_cndmask_b32_e64 v5, v5, v16, s[24:25]
	v_lshlrev_b32_e32 v43, 2, v5
	v_lshrrev_b32_e32 v5, 4, v13
	s_movk_i32 s40, 0x3c00
	v_and_b32_e32 v5, 60, v5
	v_and_or_b32 v4, v4, s40, v17
	v_add_u32_e32 v44, v12, v5
	v_and_b32_e32 v8, 3, v16
	v_lshl_add_u32 v47, v4, 3, v12
	v_lshrrev_b32_e32 v42, 6, v0
	v_cmp_lt_u32_e64 s[14:15], 31, v16
	v_cmp_gt_u32_e64 s[18:19], 4, v13
	v_cmp_lt_u32_e64 s[20:21], 63, v13
	v_cmp_eq_u32_e64 s[24:25], 0, v13
	v_mov_b32_e32 v5, 0
	v_lshl_add_u32 v45, v13, 2, v12
	v_cmp_eq_u32_e64 s[26:27], 0, v8
	v_cmp_lt_u32_e64 s[28:29], 1, v8
	v_add_u32_e32 v46, -4, v44
	v_add_u32_e32 v56, 0x200, v47
	v_add_u32_e32 v57, 0x400, v47
	;; [unrolled: 1-line block ×15, first 2 shown]
	v_sub_u32_e32 v79, v11, v10
	s_mov_b64 s[46:47], 0
	s_waitcnt vmcnt(0) lgkmcnt(0)
	s_barrier
	s_branch .LBB811_53
.LBB811_52:                             ;   in Loop: Header=BB811_53 Depth=1
	s_or_b64 exec, exec, s[44:45]
	s_and_b64 s[40:41], exec, s[56:57]
	s_or_b64 s[46:47], s[40:41], s[46:47]
	s_andn2_b64 exec, exec, s[46:47]
	s_cbranch_execz .LBB811_93
.LBB811_53:                             ; =>This Inner Loop Header: Depth=1
	v_mov_b32_e32 v102, v128
	v_mov_b32_e32 v103, v129
	;; [unrolled: 1-line block ×3, first 2 shown]
	v_min_u32_e32 v4, s62, v79
	v_mov_b32_e32 v101, v119
	v_mov_b32_e32 v98, v132
	v_lshlrev_b32_e64 v4, v4, -1
	v_lshrrev_b64 v[118:119], v10, v[102:103]
	v_mov_b32_e32 v99, v133
	v_not_b32_e32 v132, v4
	v_and_b32_e32 v128, v118, v132
	v_lshl_add_u32 v4, v128, 2, v42
	v_lshlrev_b64 v[118:119], 2, v[4:5]
	v_mov_b32_e32 v96, v130
	v_add_co_u32_e64 v4, s[40:41], v12, v118
	v_add_co_u32_e64 v4, s[40:41], 16, v4
	v_and_b32_e32 v118, 1, v128
	v_add_co_u32_e64 v119, s[40:41], -1, v118
	v_addc_co_u32_e64 v129, s[40:41], 0, -1, s[40:41]
	v_cmp_ne_u32_e64 s[40:41], 0, v118
	v_xor_b32_e32 v118, s41, v129
	v_xor_b32_e32 v119, s40, v119
	v_mov_b32_e32 v97, v131
	v_and_b32_e32 v129, exec_hi, v118
	v_and_b32_e32 v130, exec_lo, v119
	v_lshlrev_b32_e32 v119, 30, v128
	v_mov_b32_e32 v118, v5
	v_cmp_gt_i64_e64 s[40:41], 0, v[118:119]
	v_not_b32_e32 v118, v119
	v_ashrrev_i32_e32 v118, 31, v118
	v_xor_b32_e32 v119, s41, v118
	v_xor_b32_e32 v118, s40, v118
	v_and_b32_e32 v129, v129, v119
	v_and_b32_e32 v130, v130, v118
	v_lshlrev_b32_e32 v119, 29, v128
	v_mov_b32_e32 v118, v5
	v_cmp_gt_i64_e64 s[40:41], 0, v[118:119]
	v_not_b32_e32 v118, v119
	v_ashrrev_i32_e32 v118, 31, v118
	v_xor_b32_e32 v119, s41, v118
	v_xor_b32_e32 v118, s40, v118
	v_and_b32_e32 v129, v129, v119
	v_and_b32_e32 v130, v130, v118
	;; [unrolled: 9-line block ×7, first 2 shown]
	v_mbcnt_lo_u32_b32 v128, v118, 0
	v_mbcnt_hi_u32_b32 v128, v119, v128
	v_cmp_ne_u64_e64 s[40:41], 0, v[118:119]
	v_mov_b32_e32 v116, v182
	v_mov_b32_e32 v114, v192
	;; [unrolled: 1-line block ×28, first 2 shown]
	v_cmp_eq_u32_e64 s[44:45], 0, v128
	v_mov_b32_e32 v117, v183
	v_mov_b32_e32 v115, v193
	;; [unrolled: 1-line block ×28, first 2 shown]
	s_and_b64 s[44:45], s[40:41], s[44:45]
	ds_write_b32 v1, v5
	ds_write_b32 v247, v5
	;; [unrolled: 1-line block ×4, first 2 shown]
	s_waitcnt lgkmcnt(0)
	s_barrier
	; wave barrier
	s_and_saveexec_b64 s[40:41], s[44:45]
; %bb.54:                               ;   in Loop: Header=BB811_53 Depth=1
	v_bcnt_u32_b32 v118, v118, 0
	v_bcnt_u32_b32 v118, v119, v118
	ds_write_b32 v4, v118
; %bb.55:                               ;   in Loop: Header=BB811_53 Depth=1
	s_or_b64 exec, exec, s[40:41]
	v_lshrrev_b64 v[118:119], v10, v[100:101]
	v_and_b32_e32 v131, v118, v132
	v_lshl_add_u32 v118, v131, 2, v42
	v_lshl_add_u32 v118, v118, 2, v12
	; wave barrier
	v_add_u32_e32 v130, 16, v118
	ds_read_b32 v129, v118 offset:16
	v_and_b32_e32 v118, 1, v131
	v_add_co_u32_e64 v119, s[40:41], -1, v118
	v_addc_co_u32_e64 v133, s[40:41], 0, -1, s[40:41]
	v_cmp_ne_u32_e64 s[40:41], 0, v118
	v_xor_b32_e32 v118, s41, v133
	v_xor_b32_e32 v119, s40, v119
	v_and_b32_e32 v133, exec_hi, v118
	v_and_b32_e32 v134, exec_lo, v119
	v_lshlrev_b32_e32 v119, 30, v131
	v_mov_b32_e32 v118, v5
	v_cmp_gt_i64_e64 s[40:41], 0, v[118:119]
	v_not_b32_e32 v118, v119
	v_ashrrev_i32_e32 v118, 31, v118
	v_xor_b32_e32 v119, s41, v118
	v_xor_b32_e32 v118, s40, v118
	v_and_b32_e32 v133, v133, v119
	v_and_b32_e32 v134, v134, v118
	v_lshlrev_b32_e32 v119, 29, v131
	v_mov_b32_e32 v118, v5
	v_cmp_gt_i64_e64 s[40:41], 0, v[118:119]
	v_not_b32_e32 v118, v119
	v_ashrrev_i32_e32 v118, 31, v118
	v_xor_b32_e32 v119, s41, v118
	v_xor_b32_e32 v118, s40, v118
	v_and_b32_e32 v133, v133, v119
	v_and_b32_e32 v134, v134, v118
	;; [unrolled: 9-line block ×7, first 2 shown]
	v_mbcnt_lo_u32_b32 v131, v118, 0
	v_mbcnt_hi_u32_b32 v131, v119, v131
	v_cmp_ne_u64_e64 s[40:41], 0, v[118:119]
	v_cmp_eq_u32_e64 s[44:45], 0, v131
	s_and_b64 s[44:45], s[40:41], s[44:45]
	; wave barrier
	s_and_saveexec_b64 s[40:41], s[44:45]
	s_cbranch_execz .LBB811_57
; %bb.56:                               ;   in Loop: Header=BB811_53 Depth=1
	v_bcnt_u32_b32 v118, v118, 0
	v_bcnt_u32_b32 v118, v119, v118
	s_waitcnt lgkmcnt(0)
	v_add_u32_e32 v118, v129, v118
	ds_write_b32 v130, v118
.LBB811_57:                             ;   in Loop: Header=BB811_53 Depth=1
	s_or_b64 exec, exec, s[40:41]
	v_lshrrev_b64 v[118:119], v10, v[98:99]
	v_and_b32_e32 v135, v118, v132
	v_lshl_add_u32 v118, v135, 2, v42
	v_lshl_add_u32 v118, v118, 2, v12
	; wave barrier
	v_add_u32_e32 v134, 16, v118
	ds_read_b32 v133, v118 offset:16
	v_and_b32_e32 v118, 1, v135
	v_add_co_u32_e64 v119, s[40:41], -1, v118
	v_addc_co_u32_e64 v144, s[40:41], 0, -1, s[40:41]
	v_cmp_ne_u32_e64 s[40:41], 0, v118
	v_xor_b32_e32 v118, s41, v144
	v_xor_b32_e32 v119, s40, v119
	v_and_b32_e32 v144, exec_hi, v118
	v_and_b32_e32 v145, exec_lo, v119
	v_lshlrev_b32_e32 v119, 30, v135
	v_mov_b32_e32 v118, v5
	v_cmp_gt_i64_e64 s[40:41], 0, v[118:119]
	v_not_b32_e32 v118, v119
	v_ashrrev_i32_e32 v118, 31, v118
	v_xor_b32_e32 v119, s41, v118
	v_xor_b32_e32 v118, s40, v118
	v_and_b32_e32 v144, v144, v119
	v_and_b32_e32 v145, v145, v118
	v_lshlrev_b32_e32 v119, 29, v135
	v_mov_b32_e32 v118, v5
	v_cmp_gt_i64_e64 s[40:41], 0, v[118:119]
	v_not_b32_e32 v118, v119
	v_ashrrev_i32_e32 v118, 31, v118
	v_xor_b32_e32 v119, s41, v118
	v_xor_b32_e32 v118, s40, v118
	v_and_b32_e32 v144, v144, v119
	v_and_b32_e32 v145, v145, v118
	;; [unrolled: 9-line block ×7, first 2 shown]
	v_mbcnt_lo_u32_b32 v135, v118, 0
	v_mbcnt_hi_u32_b32 v135, v119, v135
	v_cmp_ne_u64_e64 s[40:41], 0, v[118:119]
	v_cmp_eq_u32_e64 s[44:45], 0, v135
	s_and_b64 s[44:45], s[40:41], s[44:45]
	; wave barrier
	s_and_saveexec_b64 s[40:41], s[44:45]
	s_cbranch_execz .LBB811_59
; %bb.58:                               ;   in Loop: Header=BB811_53 Depth=1
	v_bcnt_u32_b32 v118, v118, 0
	v_bcnt_u32_b32 v118, v119, v118
	s_waitcnt lgkmcnt(0)
	v_add_u32_e32 v118, v133, v118
	ds_write_b32 v134, v118
.LBB811_59:                             ;   in Loop: Header=BB811_53 Depth=1
	s_or_b64 exec, exec, s[40:41]
	v_lshrrev_b64 v[118:119], v10, v[96:97]
	v_and_b32_e32 v146, v118, v132
	v_lshl_add_u32 v118, v146, 2, v42
	v_lshl_add_u32 v118, v118, 2, v12
	; wave barrier
	v_add_u32_e32 v145, 16, v118
	ds_read_b32 v144, v118 offset:16
	v_and_b32_e32 v118, 1, v146
	v_add_co_u32_e64 v119, s[40:41], -1, v118
	v_addc_co_u32_e64 v147, s[40:41], 0, -1, s[40:41]
	v_cmp_ne_u32_e64 s[40:41], 0, v118
	v_xor_b32_e32 v118, s41, v147
	v_xor_b32_e32 v119, s40, v119
	v_and_b32_e32 v147, exec_hi, v118
	v_and_b32_e32 v148, exec_lo, v119
	v_lshlrev_b32_e32 v119, 30, v146
	v_mov_b32_e32 v118, v5
	v_cmp_gt_i64_e64 s[40:41], 0, v[118:119]
	v_not_b32_e32 v118, v119
	v_ashrrev_i32_e32 v118, 31, v118
	v_xor_b32_e32 v119, s41, v118
	v_xor_b32_e32 v118, s40, v118
	v_and_b32_e32 v147, v147, v119
	v_and_b32_e32 v148, v148, v118
	v_lshlrev_b32_e32 v119, 29, v146
	v_mov_b32_e32 v118, v5
	v_cmp_gt_i64_e64 s[40:41], 0, v[118:119]
	v_not_b32_e32 v118, v119
	v_ashrrev_i32_e32 v118, 31, v118
	v_xor_b32_e32 v119, s41, v118
	v_xor_b32_e32 v118, s40, v118
	v_and_b32_e32 v147, v147, v119
	v_and_b32_e32 v148, v148, v118
	;; [unrolled: 9-line block ×7, first 2 shown]
	v_mbcnt_lo_u32_b32 v146, v118, 0
	v_mbcnt_hi_u32_b32 v146, v119, v146
	v_cmp_ne_u64_e64 s[40:41], 0, v[118:119]
	v_cmp_eq_u32_e64 s[44:45], 0, v146
	s_and_b64 s[44:45], s[40:41], s[44:45]
	; wave barrier
	s_and_saveexec_b64 s[40:41], s[44:45]
	s_cbranch_execz .LBB811_61
; %bb.60:                               ;   in Loop: Header=BB811_53 Depth=1
	v_bcnt_u32_b32 v118, v118, 0
	v_bcnt_u32_b32 v118, v119, v118
	s_waitcnt lgkmcnt(0)
	v_add_u32_e32 v118, v144, v118
	ds_write_b32 v145, v118
.LBB811_61:                             ;   in Loop: Header=BB811_53 Depth=1
	s_or_b64 exec, exec, s[40:41]
	v_lshrrev_b64 v[118:119], v10, v[86:87]
	v_and_b32_e32 v149, v118, v132
	v_lshl_add_u32 v118, v149, 2, v42
	v_lshl_add_u32 v118, v118, 2, v12
	; wave barrier
	v_add_u32_e32 v148, 16, v118
	ds_read_b32 v147, v118 offset:16
	v_and_b32_e32 v118, 1, v149
	v_add_co_u32_e64 v119, s[40:41], -1, v118
	v_addc_co_u32_e64 v150, s[40:41], 0, -1, s[40:41]
	v_cmp_ne_u32_e64 s[40:41], 0, v118
	v_xor_b32_e32 v118, s41, v150
	v_xor_b32_e32 v119, s40, v119
	v_and_b32_e32 v150, exec_hi, v118
	v_and_b32_e32 v151, exec_lo, v119
	v_lshlrev_b32_e32 v119, 30, v149
	v_mov_b32_e32 v118, v5
	v_cmp_gt_i64_e64 s[40:41], 0, v[118:119]
	v_not_b32_e32 v118, v119
	v_ashrrev_i32_e32 v118, 31, v118
	v_xor_b32_e32 v119, s41, v118
	v_xor_b32_e32 v118, s40, v118
	v_and_b32_e32 v150, v150, v119
	v_and_b32_e32 v151, v151, v118
	v_lshlrev_b32_e32 v119, 29, v149
	v_mov_b32_e32 v118, v5
	v_cmp_gt_i64_e64 s[40:41], 0, v[118:119]
	v_not_b32_e32 v118, v119
	v_ashrrev_i32_e32 v118, 31, v118
	v_xor_b32_e32 v119, s41, v118
	v_xor_b32_e32 v118, s40, v118
	v_and_b32_e32 v150, v150, v119
	v_and_b32_e32 v151, v151, v118
	;; [unrolled: 9-line block ×7, first 2 shown]
	v_mbcnt_lo_u32_b32 v149, v118, 0
	v_mbcnt_hi_u32_b32 v149, v119, v149
	v_cmp_ne_u64_e64 s[40:41], 0, v[118:119]
	v_cmp_eq_u32_e64 s[44:45], 0, v149
	s_and_b64 s[44:45], s[40:41], s[44:45]
	; wave barrier
	s_and_saveexec_b64 s[40:41], s[44:45]
	s_cbranch_execz .LBB811_63
; %bb.62:                               ;   in Loop: Header=BB811_53 Depth=1
	v_bcnt_u32_b32 v118, v118, 0
	v_bcnt_u32_b32 v118, v119, v118
	s_waitcnt lgkmcnt(0)
	v_add_u32_e32 v118, v147, v118
	ds_write_b32 v148, v118
.LBB811_63:                             ;   in Loop: Header=BB811_53 Depth=1
	s_or_b64 exec, exec, s[40:41]
	v_lshrrev_b64 v[118:119], v10, v[84:85]
	v_and_b32_e32 v160, v118, v132
	v_lshl_add_u32 v118, v160, 2, v42
	v_lshl_add_u32 v118, v118, 2, v12
	; wave barrier
	v_add_u32_e32 v151, 16, v118
	ds_read_b32 v150, v118 offset:16
	v_and_b32_e32 v118, 1, v160
	v_add_co_u32_e64 v119, s[40:41], -1, v118
	v_addc_co_u32_e64 v161, s[40:41], 0, -1, s[40:41]
	v_cmp_ne_u32_e64 s[40:41], 0, v118
	v_xor_b32_e32 v118, s41, v161
	v_xor_b32_e32 v119, s40, v119
	v_and_b32_e32 v161, exec_hi, v118
	v_and_b32_e32 v162, exec_lo, v119
	v_lshlrev_b32_e32 v119, 30, v160
	v_mov_b32_e32 v118, v5
	v_cmp_gt_i64_e64 s[40:41], 0, v[118:119]
	v_not_b32_e32 v118, v119
	v_ashrrev_i32_e32 v118, 31, v118
	v_xor_b32_e32 v119, s41, v118
	v_xor_b32_e32 v118, s40, v118
	v_and_b32_e32 v161, v161, v119
	v_and_b32_e32 v162, v162, v118
	v_lshlrev_b32_e32 v119, 29, v160
	v_mov_b32_e32 v118, v5
	v_cmp_gt_i64_e64 s[40:41], 0, v[118:119]
	v_not_b32_e32 v118, v119
	v_ashrrev_i32_e32 v118, 31, v118
	v_xor_b32_e32 v119, s41, v118
	v_xor_b32_e32 v118, s40, v118
	v_and_b32_e32 v161, v161, v119
	v_and_b32_e32 v162, v162, v118
	;; [unrolled: 9-line block ×7, first 2 shown]
	v_mbcnt_lo_u32_b32 v160, v118, 0
	v_mbcnt_hi_u32_b32 v160, v119, v160
	v_cmp_ne_u64_e64 s[40:41], 0, v[118:119]
	v_cmp_eq_u32_e64 s[44:45], 0, v160
	s_and_b64 s[44:45], s[40:41], s[44:45]
	; wave barrier
	s_and_saveexec_b64 s[40:41], s[44:45]
	s_cbranch_execz .LBB811_65
; %bb.64:                               ;   in Loop: Header=BB811_53 Depth=1
	v_bcnt_u32_b32 v118, v118, 0
	v_bcnt_u32_b32 v118, v119, v118
	s_waitcnt lgkmcnt(0)
	v_add_u32_e32 v118, v150, v118
	ds_write_b32 v151, v118
.LBB811_65:                             ;   in Loop: Header=BB811_53 Depth=1
	s_or_b64 exec, exec, s[40:41]
	v_lshrrev_b64 v[118:119], v10, v[82:83]
	v_and_b32_e32 v163, v118, v132
	v_lshl_add_u32 v118, v163, 2, v42
	v_lshl_add_u32 v118, v118, 2, v12
	; wave barrier
	v_add_u32_e32 v162, 16, v118
	ds_read_b32 v161, v118 offset:16
	v_and_b32_e32 v118, 1, v163
	v_add_co_u32_e64 v119, s[40:41], -1, v118
	v_addc_co_u32_e64 v164, s[40:41], 0, -1, s[40:41]
	v_cmp_ne_u32_e64 s[40:41], 0, v118
	v_xor_b32_e32 v118, s41, v164
	v_xor_b32_e32 v119, s40, v119
	v_and_b32_e32 v164, exec_hi, v118
	v_and_b32_e32 v165, exec_lo, v119
	v_lshlrev_b32_e32 v119, 30, v163
	v_mov_b32_e32 v118, v5
	v_cmp_gt_i64_e64 s[40:41], 0, v[118:119]
	v_not_b32_e32 v118, v119
	v_ashrrev_i32_e32 v118, 31, v118
	v_xor_b32_e32 v119, s41, v118
	v_xor_b32_e32 v118, s40, v118
	v_and_b32_e32 v164, v164, v119
	v_and_b32_e32 v165, v165, v118
	v_lshlrev_b32_e32 v119, 29, v163
	v_mov_b32_e32 v118, v5
	v_cmp_gt_i64_e64 s[40:41], 0, v[118:119]
	v_not_b32_e32 v118, v119
	v_ashrrev_i32_e32 v118, 31, v118
	v_xor_b32_e32 v119, s41, v118
	v_xor_b32_e32 v118, s40, v118
	v_and_b32_e32 v164, v164, v119
	v_and_b32_e32 v165, v165, v118
	;; [unrolled: 9-line block ×7, first 2 shown]
	v_mbcnt_lo_u32_b32 v163, v118, 0
	v_mbcnt_hi_u32_b32 v163, v119, v163
	v_cmp_ne_u64_e64 s[40:41], 0, v[118:119]
	v_cmp_eq_u32_e64 s[44:45], 0, v163
	s_and_b64 s[44:45], s[40:41], s[44:45]
	; wave barrier
	s_and_saveexec_b64 s[40:41], s[44:45]
	s_cbranch_execz .LBB811_67
; %bb.66:                               ;   in Loop: Header=BB811_53 Depth=1
	v_bcnt_u32_b32 v118, v118, 0
	v_bcnt_u32_b32 v118, v119, v118
	s_waitcnt lgkmcnt(0)
	v_add_u32_e32 v118, v161, v118
	ds_write_b32 v162, v118
.LBB811_67:                             ;   in Loop: Header=BB811_53 Depth=1
	s_or_b64 exec, exec, s[40:41]
	v_lshrrev_b64 v[118:119], v10, v[80:81]
	v_and_b32_e32 v166, v118, v132
	v_lshl_add_u32 v118, v166, 2, v42
	v_lshl_add_u32 v118, v118, 2, v12
	; wave barrier
	v_add_u32_e32 v165, 16, v118
	ds_read_b32 v164, v118 offset:16
	v_and_b32_e32 v118, 1, v166
	v_add_co_u32_e64 v119, s[40:41], -1, v118
	v_addc_co_u32_e64 v167, s[40:41], 0, -1, s[40:41]
	v_cmp_ne_u32_e64 s[40:41], 0, v118
	v_xor_b32_e32 v118, s41, v167
	v_xor_b32_e32 v119, s40, v119
	v_and_b32_e32 v167, exec_hi, v118
	v_and_b32_e32 v176, exec_lo, v119
	v_lshlrev_b32_e32 v119, 30, v166
	v_mov_b32_e32 v118, v5
	v_cmp_gt_i64_e64 s[40:41], 0, v[118:119]
	v_not_b32_e32 v118, v119
	v_ashrrev_i32_e32 v118, 31, v118
	v_xor_b32_e32 v119, s41, v118
	v_xor_b32_e32 v118, s40, v118
	v_and_b32_e32 v167, v167, v119
	v_and_b32_e32 v176, v176, v118
	v_lshlrev_b32_e32 v119, 29, v166
	v_mov_b32_e32 v118, v5
	v_cmp_gt_i64_e64 s[40:41], 0, v[118:119]
	v_not_b32_e32 v118, v119
	v_ashrrev_i32_e32 v118, 31, v118
	v_xor_b32_e32 v119, s41, v118
	v_xor_b32_e32 v118, s40, v118
	v_and_b32_e32 v167, v167, v119
	v_and_b32_e32 v176, v176, v118
	;; [unrolled: 9-line block ×7, first 2 shown]
	v_mbcnt_lo_u32_b32 v166, v118, 0
	v_mbcnt_hi_u32_b32 v166, v119, v166
	v_cmp_ne_u64_e64 s[40:41], 0, v[118:119]
	v_cmp_eq_u32_e64 s[44:45], 0, v166
	s_and_b64 s[44:45], s[40:41], s[44:45]
	; wave barrier
	s_and_saveexec_b64 s[40:41], s[44:45]
	s_cbranch_execz .LBB811_69
; %bb.68:                               ;   in Loop: Header=BB811_53 Depth=1
	v_bcnt_u32_b32 v118, v118, 0
	v_bcnt_u32_b32 v118, v119, v118
	s_waitcnt lgkmcnt(0)
	v_add_u32_e32 v118, v164, v118
	ds_write_b32 v165, v118
.LBB811_69:                             ;   in Loop: Header=BB811_53 Depth=1
	s_or_b64 exec, exec, s[40:41]
	v_lshrrev_b64 v[118:119], v10, v[70:71]
	v_and_b32_e32 v177, v118, v132
	v_lshl_add_u32 v118, v177, 2, v42
	v_lshl_add_u32 v118, v118, 2, v12
	; wave barrier
	v_add_u32_e32 v176, 16, v118
	ds_read_b32 v167, v118 offset:16
	v_and_b32_e32 v118, 1, v177
	v_add_co_u32_e64 v119, s[40:41], -1, v118
	v_addc_co_u32_e64 v178, s[40:41], 0, -1, s[40:41]
	v_cmp_ne_u32_e64 s[40:41], 0, v118
	v_xor_b32_e32 v118, s41, v178
	v_xor_b32_e32 v119, s40, v119
	v_and_b32_e32 v178, exec_hi, v118
	v_and_b32_e32 v179, exec_lo, v119
	v_lshlrev_b32_e32 v119, 30, v177
	v_mov_b32_e32 v118, v5
	v_cmp_gt_i64_e64 s[40:41], 0, v[118:119]
	v_not_b32_e32 v118, v119
	v_ashrrev_i32_e32 v118, 31, v118
	v_xor_b32_e32 v119, s41, v118
	v_xor_b32_e32 v118, s40, v118
	v_and_b32_e32 v178, v178, v119
	v_and_b32_e32 v179, v179, v118
	v_lshlrev_b32_e32 v119, 29, v177
	v_mov_b32_e32 v118, v5
	v_cmp_gt_i64_e64 s[40:41], 0, v[118:119]
	v_not_b32_e32 v118, v119
	v_ashrrev_i32_e32 v118, 31, v118
	v_xor_b32_e32 v119, s41, v118
	v_xor_b32_e32 v118, s40, v118
	v_and_b32_e32 v178, v178, v119
	v_and_b32_e32 v179, v179, v118
	;; [unrolled: 9-line block ×7, first 2 shown]
	v_mbcnt_lo_u32_b32 v177, v118, 0
	v_mbcnt_hi_u32_b32 v177, v119, v177
	v_cmp_ne_u64_e64 s[40:41], 0, v[118:119]
	v_cmp_eq_u32_e64 s[44:45], 0, v177
	s_and_b64 s[44:45], s[40:41], s[44:45]
	; wave barrier
	s_and_saveexec_b64 s[40:41], s[44:45]
	s_cbranch_execz .LBB811_71
; %bb.70:                               ;   in Loop: Header=BB811_53 Depth=1
	v_bcnt_u32_b32 v118, v118, 0
	v_bcnt_u32_b32 v118, v119, v118
	s_waitcnt lgkmcnt(0)
	v_add_u32_e32 v118, v167, v118
	ds_write_b32 v176, v118
.LBB811_71:                             ;   in Loop: Header=BB811_53 Depth=1
	s_or_b64 exec, exec, s[40:41]
	v_lshrrev_b64 v[118:119], v10, v[68:69]
	v_and_b32_e32 v180, v118, v132
	v_lshl_add_u32 v118, v180, 2, v42
	v_lshl_add_u32 v118, v118, 2, v12
	; wave barrier
	v_add_u32_e32 v179, 16, v118
	ds_read_b32 v178, v118 offset:16
	v_and_b32_e32 v118, 1, v180
	v_add_co_u32_e64 v119, s[40:41], -1, v118
	v_addc_co_u32_e64 v181, s[40:41], 0, -1, s[40:41]
	v_cmp_ne_u32_e64 s[40:41], 0, v118
	v_xor_b32_e32 v118, s41, v181
	v_xor_b32_e32 v119, s40, v119
	v_and_b32_e32 v181, exec_hi, v118
	v_and_b32_e32 v182, exec_lo, v119
	v_lshlrev_b32_e32 v119, 30, v180
	v_mov_b32_e32 v118, v5
	v_cmp_gt_i64_e64 s[40:41], 0, v[118:119]
	v_not_b32_e32 v118, v119
	v_ashrrev_i32_e32 v118, 31, v118
	v_xor_b32_e32 v119, s41, v118
	v_xor_b32_e32 v118, s40, v118
	v_and_b32_e32 v181, v181, v119
	v_and_b32_e32 v182, v182, v118
	v_lshlrev_b32_e32 v119, 29, v180
	v_mov_b32_e32 v118, v5
	v_cmp_gt_i64_e64 s[40:41], 0, v[118:119]
	v_not_b32_e32 v118, v119
	v_ashrrev_i32_e32 v118, 31, v118
	v_xor_b32_e32 v119, s41, v118
	v_xor_b32_e32 v118, s40, v118
	v_and_b32_e32 v181, v181, v119
	v_and_b32_e32 v182, v182, v118
	;; [unrolled: 9-line block ×7, first 2 shown]
	v_mbcnt_lo_u32_b32 v180, v118, 0
	v_mbcnt_hi_u32_b32 v180, v119, v180
	v_cmp_ne_u64_e64 s[40:41], 0, v[118:119]
	v_cmp_eq_u32_e64 s[44:45], 0, v180
	s_and_b64 s[44:45], s[40:41], s[44:45]
	; wave barrier
	s_and_saveexec_b64 s[40:41], s[44:45]
	s_cbranch_execz .LBB811_73
; %bb.72:                               ;   in Loop: Header=BB811_53 Depth=1
	v_bcnt_u32_b32 v118, v118, 0
	v_bcnt_u32_b32 v118, v119, v118
	s_waitcnt lgkmcnt(0)
	v_add_u32_e32 v118, v178, v118
	ds_write_b32 v179, v118
.LBB811_73:                             ;   in Loop: Header=BB811_53 Depth=1
	s_or_b64 exec, exec, s[40:41]
	v_lshrrev_b64 v[118:119], v10, v[66:67]
	v_and_b32_e32 v183, v118, v132
	v_lshl_add_u32 v118, v183, 2, v42
	v_lshl_add_u32 v118, v118, 2, v12
	; wave barrier
	v_add_u32_e32 v182, 16, v118
	ds_read_b32 v181, v118 offset:16
	v_and_b32_e32 v118, 1, v183
	v_add_co_u32_e64 v119, s[40:41], -1, v118
	v_addc_co_u32_e64 v192, s[40:41], 0, -1, s[40:41]
	v_cmp_ne_u32_e64 s[40:41], 0, v118
	v_xor_b32_e32 v118, s41, v192
	v_xor_b32_e32 v119, s40, v119
	v_and_b32_e32 v192, exec_hi, v118
	v_and_b32_e32 v193, exec_lo, v119
	v_lshlrev_b32_e32 v119, 30, v183
	v_mov_b32_e32 v118, v5
	v_cmp_gt_i64_e64 s[40:41], 0, v[118:119]
	v_not_b32_e32 v118, v119
	v_ashrrev_i32_e32 v118, 31, v118
	v_xor_b32_e32 v119, s41, v118
	v_xor_b32_e32 v118, s40, v118
	v_and_b32_e32 v192, v192, v119
	v_and_b32_e32 v193, v193, v118
	v_lshlrev_b32_e32 v119, 29, v183
	v_mov_b32_e32 v118, v5
	v_cmp_gt_i64_e64 s[40:41], 0, v[118:119]
	v_not_b32_e32 v118, v119
	v_ashrrev_i32_e32 v118, 31, v118
	v_xor_b32_e32 v119, s41, v118
	v_xor_b32_e32 v118, s40, v118
	v_and_b32_e32 v192, v192, v119
	v_and_b32_e32 v193, v193, v118
	;; [unrolled: 9-line block ×7, first 2 shown]
	v_mbcnt_lo_u32_b32 v183, v118, 0
	v_mbcnt_hi_u32_b32 v183, v119, v183
	v_cmp_ne_u64_e64 s[40:41], 0, v[118:119]
	v_cmp_eq_u32_e64 s[44:45], 0, v183
	s_and_b64 s[44:45], s[40:41], s[44:45]
	; wave barrier
	s_and_saveexec_b64 s[40:41], s[44:45]
	s_cbranch_execz .LBB811_75
; %bb.74:                               ;   in Loop: Header=BB811_53 Depth=1
	v_bcnt_u32_b32 v118, v118, 0
	v_bcnt_u32_b32 v118, v119, v118
	s_waitcnt lgkmcnt(0)
	v_add_u32_e32 v118, v181, v118
	ds_write_b32 v182, v118
.LBB811_75:                             ;   in Loop: Header=BB811_53 Depth=1
	s_or_b64 exec, exec, s[40:41]
	v_lshrrev_b64 v[118:119], v10, v[64:65]
	v_and_b32_e32 v194, v118, v132
	v_lshl_add_u32 v118, v194, 2, v42
	v_lshl_add_u32 v118, v118, 2, v12
	; wave barrier
	v_add_u32_e32 v193, 16, v118
	ds_read_b32 v192, v118 offset:16
	v_and_b32_e32 v118, 1, v194
	v_add_co_u32_e64 v119, s[40:41], -1, v118
	v_addc_co_u32_e64 v195, s[40:41], 0, -1, s[40:41]
	v_cmp_ne_u32_e64 s[40:41], 0, v118
	v_xor_b32_e32 v118, s41, v195
	v_xor_b32_e32 v119, s40, v119
	v_and_b32_e32 v195, exec_hi, v118
	v_and_b32_e32 v196, exec_lo, v119
	v_lshlrev_b32_e32 v119, 30, v194
	v_mov_b32_e32 v118, v5
	v_cmp_gt_i64_e64 s[40:41], 0, v[118:119]
	v_not_b32_e32 v118, v119
	v_ashrrev_i32_e32 v118, 31, v118
	v_xor_b32_e32 v119, s41, v118
	v_xor_b32_e32 v118, s40, v118
	v_and_b32_e32 v195, v195, v119
	v_and_b32_e32 v196, v196, v118
	v_lshlrev_b32_e32 v119, 29, v194
	v_mov_b32_e32 v118, v5
	v_cmp_gt_i64_e64 s[40:41], 0, v[118:119]
	v_not_b32_e32 v118, v119
	v_ashrrev_i32_e32 v118, 31, v118
	v_xor_b32_e32 v119, s41, v118
	v_xor_b32_e32 v118, s40, v118
	v_and_b32_e32 v195, v195, v119
	v_and_b32_e32 v196, v196, v118
	v_lshlrev_b32_e32 v119, 28, v194
	v_mov_b32_e32 v118, v5
	v_cmp_gt_i64_e64 s[40:41], 0, v[118:119]
	v_not_b32_e32 v118, v119
	v_ashrrev_i32_e32 v118, 31, v118
	v_xor_b32_e32 v119, s41, v118
	v_xor_b32_e32 v118, s40, v118
	v_and_b32_e32 v195, v195, v119
	v_and_b32_e32 v196, v196, v118
	v_lshlrev_b32_e32 v119, 27, v194
	v_mov_b32_e32 v118, v5
	v_cmp_gt_i64_e64 s[40:41], 0, v[118:119]
	v_not_b32_e32 v118, v119
	v_ashrrev_i32_e32 v118, 31, v118
	v_xor_b32_e32 v119, s41, v118
	v_xor_b32_e32 v118, s40, v118
	v_and_b32_e32 v195, v195, v119
	v_and_b32_e32 v196, v196, v118
	v_lshlrev_b32_e32 v119, 26, v194
	v_mov_b32_e32 v118, v5
	v_cmp_gt_i64_e64 s[40:41], 0, v[118:119]
	v_not_b32_e32 v118, v119
	v_ashrrev_i32_e32 v118, 31, v118
	v_xor_b32_e32 v119, s41, v118
	v_xor_b32_e32 v118, s40, v118
	v_and_b32_e32 v195, v195, v119
	v_and_b32_e32 v196, v196, v118
	v_lshlrev_b32_e32 v119, 25, v194
	v_mov_b32_e32 v118, v5
	v_cmp_gt_i64_e64 s[40:41], 0, v[118:119]
	v_not_b32_e32 v118, v119
	v_ashrrev_i32_e32 v118, 31, v118
	v_xor_b32_e32 v119, s41, v118
	v_xor_b32_e32 v118, s40, v118
	v_and_b32_e32 v195, v195, v119
	v_and_b32_e32 v196, v196, v118
	v_lshlrev_b32_e32 v119, 24, v194
	v_mov_b32_e32 v118, v5
	v_cmp_gt_i64_e64 s[40:41], 0, v[118:119]
	v_not_b32_e32 v118, v119
	v_ashrrev_i32_e32 v118, 31, v118
	v_xor_b32_e32 v119, s41, v118
	v_xor_b32_e32 v118, s40, v118
	v_and_b32_e32 v118, v196, v118
	v_and_b32_e32 v119, v195, v119
	v_mbcnt_lo_u32_b32 v194, v118, 0
	v_mbcnt_hi_u32_b32 v194, v119, v194
	v_cmp_ne_u64_e64 s[40:41], 0, v[118:119]
	v_cmp_eq_u32_e64 s[44:45], 0, v194
	s_and_b64 s[44:45], s[40:41], s[44:45]
	; wave barrier
	s_and_saveexec_b64 s[40:41], s[44:45]
	s_cbranch_execz .LBB811_77
; %bb.76:                               ;   in Loop: Header=BB811_53 Depth=1
	v_bcnt_u32_b32 v118, v118, 0
	v_bcnt_u32_b32 v118, v119, v118
	s_waitcnt lgkmcnt(0)
	v_add_u32_e32 v118, v192, v118
	ds_write_b32 v193, v118
.LBB811_77:                             ;   in Loop: Header=BB811_53 Depth=1
	s_or_b64 exec, exec, s[40:41]
	v_lshrrev_b64 v[118:119], v10, v[54:55]
	v_and_b32_e32 v197, v118, v132
	v_lshl_add_u32 v118, v197, 2, v42
	v_lshl_add_u32 v118, v118, 2, v12
	; wave barrier
	v_add_u32_e32 v196, 16, v118
	ds_read_b32 v195, v118 offset:16
	v_and_b32_e32 v118, 1, v197
	v_add_co_u32_e64 v119, s[40:41], -1, v118
	v_addc_co_u32_e64 v198, s[40:41], 0, -1, s[40:41]
	v_cmp_ne_u32_e64 s[40:41], 0, v118
	v_xor_b32_e32 v118, s41, v198
	v_xor_b32_e32 v119, s40, v119
	v_and_b32_e32 v198, exec_hi, v118
	v_and_b32_e32 v199, exec_lo, v119
	v_lshlrev_b32_e32 v119, 30, v197
	v_mov_b32_e32 v118, v5
	v_cmp_gt_i64_e64 s[40:41], 0, v[118:119]
	v_not_b32_e32 v118, v119
	v_ashrrev_i32_e32 v118, 31, v118
	v_xor_b32_e32 v119, s41, v118
	v_xor_b32_e32 v118, s40, v118
	v_and_b32_e32 v198, v198, v119
	v_and_b32_e32 v199, v199, v118
	v_lshlrev_b32_e32 v119, 29, v197
	v_mov_b32_e32 v118, v5
	v_cmp_gt_i64_e64 s[40:41], 0, v[118:119]
	v_not_b32_e32 v118, v119
	v_ashrrev_i32_e32 v118, 31, v118
	v_xor_b32_e32 v119, s41, v118
	v_xor_b32_e32 v118, s40, v118
	v_and_b32_e32 v198, v198, v119
	v_and_b32_e32 v199, v199, v118
	;; [unrolled: 9-line block ×7, first 2 shown]
	v_mbcnt_lo_u32_b32 v197, v118, 0
	v_mbcnt_hi_u32_b32 v197, v119, v197
	v_cmp_ne_u64_e64 s[40:41], 0, v[118:119]
	v_cmp_eq_u32_e64 s[44:45], 0, v197
	s_and_b64 s[44:45], s[40:41], s[44:45]
	; wave barrier
	s_and_saveexec_b64 s[40:41], s[44:45]
	s_cbranch_execz .LBB811_79
; %bb.78:                               ;   in Loop: Header=BB811_53 Depth=1
	v_bcnt_u32_b32 v118, v118, 0
	v_bcnt_u32_b32 v118, v119, v118
	s_waitcnt lgkmcnt(0)
	v_add_u32_e32 v118, v195, v118
	ds_write_b32 v196, v118
.LBB811_79:                             ;   in Loop: Header=BB811_53 Depth=1
	s_or_b64 exec, exec, s[40:41]
	v_lshrrev_b64 v[118:119], v10, v[52:53]
	v_and_b32_e32 v208, v118, v132
	v_lshl_add_u32 v118, v208, 2, v42
	v_lshl_add_u32 v118, v118, 2, v12
	; wave barrier
	v_add_u32_e32 v199, 16, v118
	ds_read_b32 v198, v118 offset:16
	v_and_b32_e32 v118, 1, v208
	v_add_co_u32_e64 v119, s[40:41], -1, v118
	v_addc_co_u32_e64 v209, s[40:41], 0, -1, s[40:41]
	v_cmp_ne_u32_e64 s[40:41], 0, v118
	v_xor_b32_e32 v118, s41, v209
	v_xor_b32_e32 v119, s40, v119
	v_and_b32_e32 v209, exec_hi, v118
	v_and_b32_e32 v210, exec_lo, v119
	v_lshlrev_b32_e32 v119, 30, v208
	v_mov_b32_e32 v118, v5
	v_cmp_gt_i64_e64 s[40:41], 0, v[118:119]
	v_not_b32_e32 v118, v119
	v_ashrrev_i32_e32 v118, 31, v118
	v_xor_b32_e32 v119, s41, v118
	v_xor_b32_e32 v118, s40, v118
	v_and_b32_e32 v209, v209, v119
	v_and_b32_e32 v210, v210, v118
	v_lshlrev_b32_e32 v119, 29, v208
	v_mov_b32_e32 v118, v5
	v_cmp_gt_i64_e64 s[40:41], 0, v[118:119]
	v_not_b32_e32 v118, v119
	v_ashrrev_i32_e32 v118, 31, v118
	v_xor_b32_e32 v119, s41, v118
	v_xor_b32_e32 v118, s40, v118
	v_and_b32_e32 v209, v209, v119
	v_and_b32_e32 v210, v210, v118
	;; [unrolled: 9-line block ×7, first 2 shown]
	v_mbcnt_lo_u32_b32 v208, v118, 0
	v_mbcnt_hi_u32_b32 v208, v119, v208
	v_cmp_ne_u64_e64 s[40:41], 0, v[118:119]
	v_cmp_eq_u32_e64 s[44:45], 0, v208
	s_and_b64 s[44:45], s[40:41], s[44:45]
	; wave barrier
	s_and_saveexec_b64 s[40:41], s[44:45]
	s_cbranch_execz .LBB811_81
; %bb.80:                               ;   in Loop: Header=BB811_53 Depth=1
	v_bcnt_u32_b32 v118, v118, 0
	v_bcnt_u32_b32 v118, v119, v118
	s_waitcnt lgkmcnt(0)
	v_add_u32_e32 v118, v198, v118
	ds_write_b32 v199, v118
.LBB811_81:                             ;   in Loop: Header=BB811_53 Depth=1
	s_or_b64 exec, exec, s[40:41]
	v_lshrrev_b64 v[118:119], v10, v[38:39]
	v_and_b32_e32 v211, v118, v132
	v_lshl_add_u32 v118, v211, 2, v42
	v_lshl_add_u32 v118, v118, 2, v12
	; wave barrier
	v_add_u32_e32 v210, 16, v118
	ds_read_b32 v209, v118 offset:16
	v_and_b32_e32 v118, 1, v211
	v_add_co_u32_e64 v119, s[40:41], -1, v118
	v_addc_co_u32_e64 v212, s[40:41], 0, -1, s[40:41]
	v_cmp_ne_u32_e64 s[40:41], 0, v118
	v_xor_b32_e32 v118, s41, v212
	v_xor_b32_e32 v119, s40, v119
	v_and_b32_e32 v212, exec_hi, v118
	v_and_b32_e32 v213, exec_lo, v119
	v_lshlrev_b32_e32 v119, 30, v211
	v_mov_b32_e32 v118, v5
	v_cmp_gt_i64_e64 s[40:41], 0, v[118:119]
	v_not_b32_e32 v118, v119
	v_ashrrev_i32_e32 v118, 31, v118
	v_xor_b32_e32 v119, s41, v118
	v_xor_b32_e32 v118, s40, v118
	v_and_b32_e32 v212, v212, v119
	v_and_b32_e32 v213, v213, v118
	v_lshlrev_b32_e32 v119, 29, v211
	v_mov_b32_e32 v118, v5
	v_cmp_gt_i64_e64 s[40:41], 0, v[118:119]
	v_not_b32_e32 v118, v119
	v_ashrrev_i32_e32 v118, 31, v118
	v_xor_b32_e32 v119, s41, v118
	v_xor_b32_e32 v118, s40, v118
	v_and_b32_e32 v212, v212, v119
	v_and_b32_e32 v213, v213, v118
	;; [unrolled: 9-line block ×7, first 2 shown]
	v_mbcnt_lo_u32_b32 v211, v118, 0
	v_mbcnt_hi_u32_b32 v211, v119, v211
	v_cmp_ne_u64_e64 s[40:41], 0, v[118:119]
	v_cmp_eq_u32_e64 s[44:45], 0, v211
	s_and_b64 s[44:45], s[40:41], s[44:45]
	; wave barrier
	s_and_saveexec_b64 s[40:41], s[44:45]
	s_cbranch_execz .LBB811_83
; %bb.82:                               ;   in Loop: Header=BB811_53 Depth=1
	v_bcnt_u32_b32 v118, v118, 0
	v_bcnt_u32_b32 v118, v119, v118
	s_waitcnt lgkmcnt(0)
	v_add_u32_e32 v118, v209, v118
	ds_write_b32 v210, v118
.LBB811_83:                             ;   in Loop: Header=BB811_53 Depth=1
	s_or_b64 exec, exec, s[40:41]
	v_lshrrev_b64 v[118:119], v10, v[36:37]
	v_and_b32_e32 v213, v118, v132
	v_lshl_add_u32 v118, v213, 2, v42
	v_lshl_add_u32 v118, v118, 2, v12
	; wave barrier
	v_add_u32_e32 v212, 16, v118
	ds_read_b32 v132, v118 offset:16
	v_and_b32_e32 v118, 1, v213
	v_add_co_u32_e64 v119, s[40:41], -1, v118
	v_addc_co_u32_e64 v214, s[40:41], 0, -1, s[40:41]
	v_cmp_ne_u32_e64 s[40:41], 0, v118
	v_xor_b32_e32 v118, s41, v214
	v_xor_b32_e32 v119, s40, v119
	v_and_b32_e32 v214, exec_hi, v118
	v_and_b32_e32 v215, exec_lo, v119
	v_lshlrev_b32_e32 v119, 30, v213
	v_mov_b32_e32 v118, v5
	v_cmp_gt_i64_e64 s[40:41], 0, v[118:119]
	v_not_b32_e32 v118, v119
	v_ashrrev_i32_e32 v118, 31, v118
	v_xor_b32_e32 v119, s41, v118
	v_xor_b32_e32 v118, s40, v118
	v_and_b32_e32 v214, v214, v119
	v_and_b32_e32 v215, v215, v118
	v_lshlrev_b32_e32 v119, 29, v213
	v_mov_b32_e32 v118, v5
	v_cmp_gt_i64_e64 s[40:41], 0, v[118:119]
	v_not_b32_e32 v118, v119
	v_ashrrev_i32_e32 v118, 31, v118
	v_xor_b32_e32 v119, s41, v118
	v_xor_b32_e32 v118, s40, v118
	v_and_b32_e32 v214, v214, v119
	v_and_b32_e32 v215, v215, v118
	;; [unrolled: 9-line block ×7, first 2 shown]
	v_mbcnt_lo_u32_b32 v213, v118, 0
	v_mbcnt_hi_u32_b32 v213, v119, v213
	v_cmp_ne_u64_e64 s[40:41], 0, v[118:119]
	v_cmp_eq_u32_e64 s[44:45], 0, v213
	s_and_b64 s[44:45], s[40:41], s[44:45]
	; wave barrier
	s_and_saveexec_b64 s[40:41], s[44:45]
	s_cbranch_execz .LBB811_85
; %bb.84:                               ;   in Loop: Header=BB811_53 Depth=1
	v_bcnt_u32_b32 v118, v118, 0
	v_bcnt_u32_b32 v118, v119, v118
	s_waitcnt lgkmcnt(0)
	v_add_u32_e32 v118, v132, v118
	ds_write_b32 v212, v118
.LBB811_85:                             ;   in Loop: Header=BB811_53 Depth=1
	s_or_b64 exec, exec, s[40:41]
	; wave barrier
	s_waitcnt lgkmcnt(0)
	s_barrier
	ds_read_b32 v214, v1
	ds_read_b32 v119, v247
	;; [unrolled: 1-line block ×4, first 2 shown]
	s_waitcnt lgkmcnt(2)
	v_add_u32_e32 v224, v119, v214
	s_waitcnt lgkmcnt(0)
	v_add3_u32 v215, v224, v118, v215
	s_nop 1
	v_mov_b32_dpp v224, v215 row_shr:1 row_mask:0xf bank_mask:0xf
	v_cndmask_b32_e64 v224, v224, 0, vcc
	v_add_u32_e32 v215, v224, v215
	s_nop 1
	v_mov_b32_dpp v224, v215 row_shr:2 row_mask:0xf bank_mask:0xf
	v_cndmask_b32_e64 v224, 0, v224, s[4:5]
	v_add_u32_e32 v215, v215, v224
	s_nop 1
	v_mov_b32_dpp v224, v215 row_shr:4 row_mask:0xf bank_mask:0xf
	v_cndmask_b32_e64 v224, 0, v224, s[6:7]
	v_add_u32_e32 v215, v215, v224
	s_nop 1
	v_mov_b32_dpp v224, v215 row_shr:8 row_mask:0xf bank_mask:0xf
	v_cndmask_b32_e64 v224, 0, v224, s[10:11]
	v_add_u32_e32 v215, v215, v224
	s_nop 1
	v_mov_b32_dpp v224, v215 row_bcast:15 row_mask:0xf bank_mask:0xf
	v_cndmask_b32_e64 v224, v224, 0, s[42:43]
	v_add_u32_e32 v215, v215, v224
	s_nop 1
	v_mov_b32_dpp v224, v215 row_bcast:31 row_mask:0xf bank_mask:0xf
	v_cndmask_b32_e64 v224, 0, v224, s[14:15]
	v_add_u32_e32 v215, v215, v224
	s_and_saveexec_b64 s[40:41], s[16:17]
; %bb.86:                               ;   in Loop: Header=BB811_53 Depth=1
	ds_write_b32 v44, v215
; %bb.87:                               ;   in Loop: Header=BB811_53 Depth=1
	s_or_b64 exec, exec, s[40:41]
	s_waitcnt lgkmcnt(0)
	s_barrier
	s_and_saveexec_b64 s[40:41], s[18:19]
	s_cbranch_execz .LBB811_89
; %bb.88:                               ;   in Loop: Header=BB811_53 Depth=1
	ds_read_b32 v224, v45
	s_waitcnt lgkmcnt(0)
	s_nop 0
	v_mov_b32_dpp v225, v224 row_shr:1 row_mask:0xf bank_mask:0xf
	v_cndmask_b32_e64 v225, v225, 0, s[26:27]
	v_add_u32_e32 v224, v225, v224
	s_nop 1
	v_mov_b32_dpp v225, v224 row_shr:2 row_mask:0xf bank_mask:0xf
	v_cndmask_b32_e64 v225, 0, v225, s[28:29]
	v_add_u32_e32 v224, v224, v225
	ds_write_b32 v45, v224
.LBB811_89:                             ;   in Loop: Header=BB811_53 Depth=1
	s_or_b64 exec, exec, s[40:41]
	v_mov_b32_e32 v224, 0
	s_waitcnt lgkmcnt(0)
	s_barrier
	s_and_saveexec_b64 s[40:41], s[20:21]
; %bb.90:                               ;   in Loop: Header=BB811_53 Depth=1
	ds_read_b32 v224, v46
; %bb.91:                               ;   in Loop: Header=BB811_53 Depth=1
	s_or_b64 exec, exec, s[40:41]
	s_waitcnt lgkmcnt(0)
	v_add_u32_e32 v215, v224, v215
	ds_bpermute_b32 v215, v43, v215
	v_add_u32_e32 v10, 8, v10
	v_cmp_lt_u32_e64 s[40:41], v10, v11
	s_mov_b64 s[56:57], -1
                                        ; implicit-def: $vgpr226_vgpr227
                                        ; implicit-def: $vgpr228_vgpr229
                                        ; implicit-def: $vgpr230_vgpr231
                                        ; implicit-def: $vgpr240_vgpr241
                                        ; implicit-def: $vgpr242_vgpr243
                                        ; implicit-def: $vgpr244_vgpr245
	s_waitcnt lgkmcnt(0)
	v_cndmask_b32_e64 v215, v215, v224, s[22:23]
	v_cndmask_b32_e64 v215, v215, 0, s[24:25]
	v_add_u32_e32 v214, v215, v214
	v_add_u32_e32 v119, v214, v119
	;; [unrolled: 1-line block ×3, first 2 shown]
	ds_write_b32 v1, v215
	ds_write_b32 v247, v214
	;; [unrolled: 1-line block ×4, first 2 shown]
	s_waitcnt lgkmcnt(0)
	s_barrier
	ds_read_b32 v4, v4
	ds_read_b32 v118, v130
	;; [unrolled: 1-line block ×6, first 2 shown]
	v_mov_b32_e32 v151, v5
                                        ; implicit-def: $vgpr214_vgpr215
                                        ; implicit-def: $vgpr224_vgpr225
	s_waitcnt lgkmcnt(5)
	v_add_u32_e32 v4, v4, v128
	s_waitcnt lgkmcnt(4)
	v_add3_u32 v118, v131, v129, v118
	s_waitcnt lgkmcnt(3)
	v_add3_u32 v128, v135, v133, v119
	;; [unrolled: 2-line block ×3, first 2 shown]
	ds_read_b32 v119, v162
	ds_read_b32 v129, v165
	;; [unrolled: 1-line block ×5, first 2 shown]
	v_add3_u32 v130, v146, v144, v130
	s_waitcnt lgkmcnt(5)
	v_add3_u32 v144, v160, v150, v145
	s_waitcnt lgkmcnt(4)
	;; [unrolled: 2-line block ×6, first 2 shown]
	v_add3_u32 v162, v183, v181, v135
	ds_read_b32 v119, v193
	ds_read_b32 v129, v196
	;; [unrolled: 1-line block ×5, first 2 shown]
	s_waitcnt lgkmcnt(4)
	v_add3_u32 v164, v194, v192, v119
	v_mov_b32_e32 v119, v5
	v_lshlrev_b64 v[118:119], 3, v[118:119]
	s_waitcnt lgkmcnt(3)
	v_add3_u32 v166, v197, v195, v129
	v_mov_b32_e32 v129, v5
	v_add_co_u32_e64 v88, s[44:45], v12, v118
	v_lshlrev_b64 v[118:119], 3, v[128:129]
	s_waitcnt lgkmcnt(2)
	v_add3_u32 v176, v208, v198, v131
	s_waitcnt lgkmcnt(1)
	v_add3_u32 v178, v211, v209, v134
	s_waitcnt lgkmcnt(0)
	v_add3_u32 v132, v213, v132, v135
	v_lshlrev_b64 v[134:135], 3, v[4:5]
	v_mov_b32_e32 v131, v5
	v_add_co_u32_e64 v89, s[44:45], v12, v118
	v_lshlrev_b64 v[118:119], 3, v[130:131]
	v_add_co_u32_e64 v4, s[44:45], v12, v134
	v_mov_b32_e32 v134, v5
	v_add_co_u32_e64 v90, s[44:45], v12, v118
	v_lshlrev_b64 v[118:119], 3, v[133:134]
	v_mov_b32_e32 v145, v5
	v_add_co_u32_e64 v91, s[44:45], v12, v118
	v_lshlrev_b64 v[118:119], 3, v[144:145]
	v_mov_b32_e32 v147, v5
	v_add_co_u32_e64 v92, s[44:45], v12, v118
	v_lshlrev_b64 v[118:119], 3, v[146:147]
	v_mov_b32_e32 v149, v5
	v_add_co_u32_e64 v93, s[44:45], v12, v118
	v_lshlrev_b64 v[118:119], 3, v[148:149]
	v_mov_b32_e32 v161, v5
	v_add_co_u32_e64 v94, s[44:45], v12, v118
	v_lshlrev_b64 v[118:119], 3, v[150:151]
	v_mov_b32_e32 v163, v5
	v_add_co_u32_e64 v95, s[44:45], v12, v118
	v_lshlrev_b64 v[118:119], 3, v[160:161]
	v_mov_b32_e32 v165, v5
	v_add_co_u32_e64 v104, s[44:45], v12, v118
	v_lshlrev_b64 v[118:119], 3, v[162:163]
	v_mov_b32_e32 v167, v5
	v_add_co_u32_e64 v105, s[44:45], v12, v118
	v_lshlrev_b64 v[118:119], 3, v[164:165]
	v_mov_b32_e32 v177, v5
	v_add_co_u32_e64 v106, s[44:45], v12, v118
	v_lshlrev_b64 v[118:119], 3, v[166:167]
	v_mov_b32_e32 v179, v5
	v_add_co_u32_e64 v107, s[44:45], v12, v118
	v_lshlrev_b64 v[118:119], 3, v[176:177]
	v_mov_b32_e32 v133, v5
	v_add_co_u32_e64 v108, s[44:45], v12, v118
	v_lshlrev_b64 v[118:119], 3, v[178:179]
	v_add_co_u32_e64 v109, s[44:45], v12, v118
	v_lshlrev_b64 v[118:119], 3, v[132:133]
                                        ; implicit-def: $vgpr182_vgpr183
                                        ; implicit-def: $vgpr192_vgpr193
                                        ; implicit-def: $vgpr194_vgpr195
                                        ; implicit-def: $vgpr196_vgpr197
                                        ; implicit-def: $vgpr198_vgpr199
                                        ; implicit-def: $vgpr208_vgpr209
                                        ; implicit-def: $vgpr210_vgpr211
                                        ; implicit-def: $vgpr212_vgpr213
                                        ; implicit-def: $vgpr128_vgpr129
                                        ; implicit-def: $vgpr132_vgpr133
                                        ; implicit-def: $vgpr130_vgpr131
                                        ; implicit-def: $vgpr144_vgpr145
                                        ; implicit-def: $vgpr134_vgpr135
                                        ; implicit-def: $vgpr148_vgpr149
                                        ; implicit-def: $vgpr146_vgpr147
                                        ; implicit-def: $vgpr160_vgpr161
                                        ; implicit-def: $vgpr150_vgpr151
                                        ; implicit-def: $vgpr164_vgpr165
                                        ; implicit-def: $vgpr162_vgpr163
                                        ; implicit-def: $vgpr176_vgpr177
                                        ; implicit-def: $vgpr166_vgpr167
                                        ; implicit-def: $vgpr180_vgpr181
                                        ; implicit-def: $vgpr178_vgpr179
	v_add_co_u32_e64 v110, s[44:45], v12, v118
                                        ; implicit-def: $vgpr118_vgpr119
	s_and_saveexec_b64 s[44:45], s[40:41]
	s_cbranch_execz .LBB811_52
; %bb.92:                               ;   in Loop: Header=BB811_53 Depth=1
	s_barrier
	ds_write_b64 v4, v[102:103]
	ds_write_b64 v88, v[100:101]
	;; [unrolled: 1-line block ×16, first 2 shown]
	s_waitcnt lgkmcnt(0)
	s_barrier
	ds_read_b64 v[128:129], v47
	ds_read_b64 v[118:119], v56
	;; [unrolled: 1-line block ×16, first 2 shown]
	s_waitcnt lgkmcnt(0)
	s_barrier
	ds_write_b64 v4, v[116:117]
	ds_write_b64 v88, v[114:115]
	;; [unrolled: 1-line block ×16, first 2 shown]
	s_waitcnt lgkmcnt(0)
	s_barrier
	ds_read_b64 v[182:183], v47
	ds_read_b64 v[192:193], v56
	;; [unrolled: 1-line block ×16, first 2 shown]
	v_add_u32_e32 v79, -8, v79
	s_xor_b64 s[56:57], exec, -1
	s_waitcnt lgkmcnt(0)
	s_barrier
	s_branch .LBB811_52
.LBB811_93:
	s_or_b64 exec, exec, s[46:47]
	v_lshl_add_u32 v1, v13, 3, v12
	s_barrier
	ds_write_b64 v4, v[102:103]
	ds_write_b64 v88, v[100:101]
	ds_write_b64 v89, v[98:99]
	ds_write_b64 v90, v[96:97]
	ds_write_b64 v91, v[86:87]
	ds_write_b64 v92, v[84:85]
	ds_write_b64 v93, v[82:83]
	ds_write_b64 v94, v[80:81]
	ds_write_b64 v95, v[70:71]
	ds_write_b64 v104, v[68:69]
	ds_write_b64 v105, v[66:67]
	ds_write_b64 v106, v[64:65]
	ds_write_b64 v107, v[54:55]
	ds_write_b64 v108, v[52:53]
	ds_write_b64 v109, v[38:39]
	ds_write_b64 v110, v[36:37]
	s_waitcnt lgkmcnt(0)
	s_barrier
	ds_read2st64_b64 v[100:103], v1 offset1:4
	ds_read2st64_b64 v[96:99], v1 offset0:8 offset1:12
	ds_read2st64_b64 v[84:87], v1 offset0:16 offset1:20
	;; [unrolled: 1-line block ×7, first 2 shown]
	s_waitcnt lgkmcnt(0)
	s_barrier
	ds_write_b64 v4, v[116:117]
	ds_write_b64 v88, v[114:115]
	;; [unrolled: 1-line block ×16, first 2 shown]
	s_waitcnt lgkmcnt(0)
	s_barrier
	ds_read2st64_b64 v[48:51], v1 offset1:4
	ds_read2st64_b64 v[32:35], v1 offset0:8 offset1:12
	ds_read2st64_b64 v[28:31], v1 offset0:16 offset1:20
	;; [unrolled: 1-line block ×7, first 2 shown]
	v_mov_b32_e32 v1, 0
	v_add_co_u32_e32 v4, vcc, v2, v112
	v_lshlrev_b64 v[1:2], 3, v[0:1]
	v_addc_co_u32_e32 v5, vcc, v3, v113, vcc
	v_add_co_u32_e32 v3, vcc, v4, v1
	v_addc_co_u32_e32 v4, vcc, v5, v2, vcc
	v_cmp_lt_u32_e64 s[4:5], v0, v246
	s_waitcnt lgkmcnt(0)
	s_barrier
	s_and_saveexec_b64 s[6:7], s[4:5]
	s_cbranch_execz .LBB811_95
; %bb.94:
	v_xor_b32_e32 v101, 0x80000000, v101
	flat_store_dwordx2 v[3:4], v[100:101]
.LBB811_95:
	s_or_b64 exec, exec, s[6:7]
	v_add_u32_e32 v5, 0x100, v0
	v_cmp_lt_u32_e64 s[6:7], v5, v246
	s_and_saveexec_b64 s[10:11], s[6:7]
	s_cbranch_execz .LBB811_97
; %bb.96:
	v_xor_b32_e32 v103, 0x80000000, v103
	flat_store_dwordx2 v[3:4], v[102:103] offset:2048
.LBB811_97:
	s_or_b64 exec, exec, s[10:11]
	v_add_u32_e32 v5, 0x200, v0
	v_cmp_lt_u32_e64 s[10:11], v5, v246
	s_and_saveexec_b64 s[14:15], s[10:11]
	s_cbranch_execz .LBB811_99
; %bb.98:
	v_add_co_u32_e32 v100, vcc, 0x1000, v3
	v_xor_b32_e32 v97, 0x80000000, v97
	v_addc_co_u32_e32 v101, vcc, 0, v4, vcc
	flat_store_dwordx2 v[100:101], v[96:97]
.LBB811_99:
	s_or_b64 exec, exec, s[14:15]
	v_add_u32_e32 v5, 0x300, v0
	v_cmp_lt_u32_e64 s[56:57], v5, v246
	s_and_saveexec_b64 s[14:15], s[56:57]
	s_cbranch_execz .LBB811_101
; %bb.100:
	v_add_co_u32_e32 v96, vcc, 0x1000, v3
	v_xor_b32_e32 v99, 0x80000000, v99
	v_addc_co_u32_e32 v97, vcc, 0, v4, vcc
	flat_store_dwordx2 v[96:97], v[98:99] offset:2048
.LBB811_101:
	s_or_b64 exec, exec, s[14:15]
	v_add_u32_e32 v5, 0x400, v0
	v_cmp_lt_u32_e64 s[14:15], v5, v246
	s_and_saveexec_b64 s[16:17], s[14:15]
	s_cbranch_execz .LBB811_103
; %bb.102:
	v_add_co_u32_e32 v96, vcc, 0x2000, v3
	v_xor_b32_e32 v85, 0x80000000, v85
	v_addc_co_u32_e32 v97, vcc, 0, v4, vcc
	flat_store_dwordx2 v[96:97], v[84:85]
.LBB811_103:
	s_or_b64 exec, exec, s[16:17]
	v_add_u32_e32 v5, 0x500, v0
	v_cmp_lt_u32_e64 s[16:17], v5, v246
	s_and_saveexec_b64 s[18:19], s[16:17]
	s_cbranch_execz .LBB811_105
; %bb.104:
	v_add_co_u32_e32 v84, vcc, 0x2000, v3
	v_xor_b32_e32 v87, 0x80000000, v87
	v_addc_co_u32_e32 v85, vcc, 0, v4, vcc
	flat_store_dwordx2 v[84:85], v[86:87] offset:2048
.LBB811_105:
	;; [unrolled: 22-line block ×7, first 2 shown]
	s_or_b64 exec, exec, s[62:63]
	v_add_co_u32_e32 v0, vcc, v6, v112
	v_addc_co_u32_e32 v3, vcc, v7, v113, vcc
	v_add_co_u32_e32 v0, vcc, v0, v1
	v_addc_co_u32_e32 v1, vcc, v3, v2, vcc
	s_and_saveexec_b64 s[62:63], s[4:5]
	s_cbranch_execnz .LBB811_211
; %bb.126:
	s_or_b64 exec, exec, s[62:63]
	s_and_saveexec_b64 s[4:5], s[6:7]
	s_cbranch_execnz .LBB811_212
.LBB811_127:
	s_or_b64 exec, exec, s[4:5]
	s_and_saveexec_b64 s[4:5], s[10:11]
	s_cbranch_execnz .LBB811_213
.LBB811_128:
	s_or_b64 exec, exec, s[4:5]
	s_and_saveexec_b64 s[4:5], s[56:57]
	s_cbranch_execnz .LBB811_214
.LBB811_129:
	s_or_b64 exec, exec, s[4:5]
	s_and_saveexec_b64 s[4:5], s[14:15]
	s_cbranch_execnz .LBB811_215
.LBB811_130:
	s_or_b64 exec, exec, s[4:5]
	s_and_saveexec_b64 s[4:5], s[16:17]
	s_cbranch_execnz .LBB811_216
.LBB811_131:
	s_or_b64 exec, exec, s[4:5]
	s_and_saveexec_b64 s[4:5], s[18:19]
	s_cbranch_execnz .LBB811_217
.LBB811_132:
	s_or_b64 exec, exec, s[4:5]
	s_and_saveexec_b64 s[4:5], s[20:21]
	s_cbranch_execnz .LBB811_218
.LBB811_133:
	s_or_b64 exec, exec, s[4:5]
	s_and_saveexec_b64 s[4:5], s[22:23]
	s_cbranch_execnz .LBB811_219
.LBB811_134:
	s_or_b64 exec, exec, s[4:5]
	s_and_saveexec_b64 s[4:5], s[24:25]
	s_cbranch_execnz .LBB811_220
.LBB811_135:
	s_or_b64 exec, exec, s[4:5]
	s_and_saveexec_b64 s[4:5], s[26:27]
	s_cbranch_execnz .LBB811_221
.LBB811_136:
	s_or_b64 exec, exec, s[4:5]
	s_and_saveexec_b64 s[4:5], s[28:29]
	s_cbranch_execnz .LBB811_222
.LBB811_137:
	s_or_b64 exec, exec, s[4:5]
	s_and_saveexec_b64 s[4:5], s[40:41]
	s_cbranch_execnz .LBB811_223
.LBB811_138:
	s_or_b64 exec, exec, s[4:5]
	s_and_saveexec_b64 s[4:5], s[42:43]
	s_cbranch_execnz .LBB811_224
.LBB811_139:
	s_or_b64 exec, exec, s[4:5]
	s_and_saveexec_b64 s[4:5], s[44:45]
	s_cbranch_execnz .LBB811_225
.LBB811_140:
	s_or_b64 exec, exec, s[4:5]
	s_and_saveexec_b64 s[4:5], s[46:47]
	s_cbranch_execz .LBB811_142
.LBB811_141:
	v_add_co_u32_e32 v0, vcc, 0x7000, v0
	v_addc_co_u32_e32 v1, vcc, 0, v1, vcc
	flat_store_dwordx2 v[0:1], v[10:11] offset:2048
.LBB811_142:
	s_or_b64 exec, exec, s[4:5]
                                        ; implicit-def: $vgpr246
                                        ; implicit-def: $vgpr0
                                        ; implicit-def: $vgpr1
                                        ; implicit-def: $vgpr2
                                        ; implicit-def: $vgpr3
                                        ; implicit-def: $vgpr4
                                        ; implicit-def: $vgpr5
                                        ; implicit-def: $vgpr6
                                        ; implicit-def: $vgpr7
                                        ; implicit-def: $vgpr8
                                        ; implicit-def: $vgpr10
                                        ; implicit-def: $vgpr11
                                        ; implicit-def: $vgpr12
                                        ; implicit-def: $vgpr31
                                        ; implicit-def: $vgpr20
                                        ; implicit-def: $vgpr22
                                        ; implicit-def: $vgpr14
.LBB811_143:
	s_andn2_saveexec_b64 s[4:5], s[60:61]
	s_cbranch_execz .LBB811_372
; %bb.144:
	s_movk_i32 s4, 0x400
	v_cmp_lt_u32_e32 vcc, s4, v246
	s_and_saveexec_b64 s[4:5], vcc
	s_xor_b64 s[46:47], exec, s[4:5]
	s_cbranch_execz .LBB811_252
; %bb.145:
	s_load_dwordx2 s[4:5], s[8:9], 0x0
	v_mov_b32_e32 v9, 0
	v_lshlrev_b64 v[48:49], 3, v[8:9]
	v_and_b32_e32 v13, 0x3ff, v31
	v_add_co_u32_e32 v8, vcc, v0, v48
	s_waitcnt lgkmcnt(0)
	s_cmp_lt_u32 s13, s5
	s_cselect_b32 s5, 14, 20
	s_add_u32 s6, s8, s5
	s_addc_u32 s7, s9, 0
	s_cmp_lt_u32 s12, s4
	s_cselect_b32 s4, 12, 18
	s_add_u32 s4, s8, s4
	global_load_ushort v15, v9, s[6:7]
	s_addc_u32 s5, s9, 0
	global_load_ushort v19, v9, s[4:5]
	v_mbcnt_hi_u32_b32 v16, -1, v14
	v_addc_co_u32_e32 v14, vcc, v1, v49, vcc
	v_and_b32_e32 v17, 63, v16
	v_lshlrev_b32_e32 v18, 3, v17
	v_mov_b32_e32 v54, -1
	v_mov_b32_e32 v64, -1
	;; [unrolled: 1-line block ×4, first 2 shown]
	s_waitcnt vmcnt(0)
	v_mad_u32_u24 v0, v22, v15, v20
	v_mad_u64_u32 v[0:1], s[4:5], v0, v19, v[13:14]
	v_add_co_u32_e32 v19, vcc, v8, v18
	v_lshlrev_b32_e32 v1, 3, v0
	v_and_b32_e32 v8, 0xfffffe00, v1
	v_addc_co_u32_e32 v20, vcc, 0, v14, vcc
	v_lshlrev_b64 v[14:15], 3, v[8:9]
	v_or_b32_e32 v1, v8, v17
	v_add_co_u32_e32 v8, vcc, v19, v14
	v_addc_co_u32_e32 v9, vcc, v20, v15, vcc
	v_cmp_lt_u32_e32 vcc, v1, v246
	s_and_saveexec_b64 s[4:5], vcc
	s_cbranch_execz .LBB811_147
; %bb.146:
	flat_load_dwordx2 v[64:65], v[8:9]
	s_waitcnt vmcnt(0) lgkmcnt(0)
	v_xor_b32_e32 v65, 0x80000000, v65
.LBB811_147:
	s_or_b64 exec, exec, s[4:5]
	v_or_b32_e32 v19, 64, v1
	v_cmp_lt_u32_e64 s[4:5], v19, v246
	s_and_saveexec_b64 s[6:7], s[4:5]
	s_cbranch_execz .LBB811_149
; %bb.148:
	flat_load_dwordx2 v[54:55], v[8:9] offset:512
	s_waitcnt vmcnt(0) lgkmcnt(0)
	v_xor_b32_e32 v55, 0x80000000, v55
.LBB811_149:
	s_or_b64 exec, exec, s[6:7]
	v_or_b32_e32 v19, 0x80, v1
	v_mov_b32_e32 v66, -1
	v_mov_b32_e32 v68, -1
	v_mov_b32_e32 v67, -1
	v_mov_b32_e32 v69, -1
	v_cmp_lt_u32_e64 s[6:7], v19, v246
	s_and_saveexec_b64 s[10:11], s[6:7]
	s_cbranch_execz .LBB811_151
; %bb.150:
	flat_load_dwordx2 v[68:69], v[8:9] offset:1024
	s_waitcnt vmcnt(0) lgkmcnt(0)
	v_xor_b32_e32 v69, 0x80000000, v69
.LBB811_151:
	s_or_b64 exec, exec, s[10:11]
	v_or_b32_e32 v19, 0xc0, v1
	v_cmp_lt_u32_e64 s[10:11], v19, v246
	s_and_saveexec_b64 s[14:15], s[10:11]
	s_cbranch_execz .LBB811_153
; %bb.152:
	flat_load_dwordx2 v[66:67], v[8:9] offset:1536
	s_waitcnt vmcnt(0) lgkmcnt(0)
	v_xor_b32_e32 v67, 0x80000000, v67
.LBB811_153:
	s_or_b64 exec, exec, s[14:15]
	v_or_b32_e32 v19, 0x100, v1
	v_mov_b32_e32 v70, -1
	v_mov_b32_e32 v80, -1
	v_mov_b32_e32 v71, -1
	v_mov_b32_e32 v81, -1
	v_cmp_lt_u32_e64 s[20:21], v19, v246
	s_and_saveexec_b64 s[14:15], s[20:21]
	s_cbranch_execz .LBB811_155
; %bb.154:
	flat_load_dwordx2 v[80:81], v[8:9] offset:2048
	s_waitcnt vmcnt(0) lgkmcnt(0)
	v_xor_b32_e32 v81, 0x80000000, v81
.LBB811_155:
	s_or_b64 exec, exec, s[14:15]
	v_or_b32_e32 v19, 0x140, v1
	v_cmp_lt_u32_e64 s[14:15], v19, v246
	s_and_saveexec_b64 s[16:17], s[14:15]
	s_cbranch_execz .LBB811_157
; %bb.156:
	flat_load_dwordx2 v[70:71], v[8:9] offset:2560
	s_waitcnt vmcnt(0) lgkmcnt(0)
	v_xor_b32_e32 v71, 0x80000000, v71
.LBB811_157:
	s_or_b64 exec, exec, s[16:17]
	v_or_b32_e32 v19, 0x180, v1
	v_mov_b32_e32 v82, -1
	v_mov_b32_e32 v84, -1
	v_mov_b32_e32 v83, -1
	v_mov_b32_e32 v85, -1
	v_cmp_lt_u32_e64 s[16:17], v19, v246
	s_and_saveexec_b64 s[18:19], s[16:17]
	s_cbranch_execz .LBB811_159
; %bb.158:
	flat_load_dwordx2 v[84:85], v[8:9] offset:3072
	s_waitcnt vmcnt(0) lgkmcnt(0)
	v_xor_b32_e32 v85, 0x80000000, v85
.LBB811_159:
	s_or_b64 exec, exec, s[18:19]
	v_or_b32_e32 v1, 0x1c0, v1
	v_cmp_lt_u32_e64 s[18:19], v1, v246
	s_and_saveexec_b64 s[22:23], s[18:19]
	s_cbranch_execz .LBB811_161
; %bb.160:
	flat_load_dwordx2 v[82:83], v[8:9] offset:3584
	s_waitcnt vmcnt(0) lgkmcnt(0)
	v_xor_b32_e32 v83, 0x80000000, v83
.LBB811_161:
	s_or_b64 exec, exec, s[22:23]
	v_add_co_u32_e64 v1, s[22:23], v4, v48
	v_addc_co_u32_e64 v4, s[22:23], v5, v49, s[22:23]
	v_add_co_u32_e64 v1, s[22:23], v1, v18
	v_addc_co_u32_e64 v5, s[22:23], 0, v4, s[22:23]
	;; [unrolled: 2-line block ×3, first 2 shown]
                                        ; implicit-def: $vgpr86_vgpr87
	s_and_saveexec_b64 s[22:23], vcc
	s_cbranch_execnz .LBB811_285
; %bb.162:
	s_or_b64 exec, exec, s[22:23]
                                        ; implicit-def: $vgpr96_vgpr97
	s_and_saveexec_b64 s[22:23], s[4:5]
	s_cbranch_execnz .LBB811_286
.LBB811_163:
	s_or_b64 exec, exec, s[22:23]
                                        ; implicit-def: $vgpr98_vgpr99
	s_and_saveexec_b64 s[4:5], s[6:7]
	s_cbranch_execnz .LBB811_287
.LBB811_164:
	s_or_b64 exec, exec, s[4:5]
                                        ; implicit-def: $vgpr100_vgpr101
	s_and_saveexec_b64 s[4:5], s[10:11]
	s_cbranch_execnz .LBB811_288
.LBB811_165:
	s_or_b64 exec, exec, s[4:5]
                                        ; implicit-def: $vgpr102_vgpr103
	s_and_saveexec_b64 s[4:5], s[20:21]
	s_cbranch_execnz .LBB811_289
.LBB811_166:
	s_or_b64 exec, exec, s[4:5]
                                        ; implicit-def: $vgpr112_vgpr113
	s_and_saveexec_b64 s[4:5], s[14:15]
	s_cbranch_execnz .LBB811_290
.LBB811_167:
	s_or_b64 exec, exec, s[4:5]
                                        ; implicit-def: $vgpr114_vgpr115
	s_and_saveexec_b64 s[4:5], s[16:17]
	s_cbranch_execnz .LBB811_291
.LBB811_168:
	s_or_b64 exec, exec, s[4:5]
                                        ; implicit-def: $vgpr116_vgpr117
	s_and_saveexec_b64 s[4:5], s[18:19]
	s_cbranch_execz .LBB811_170
.LBB811_169:
	flat_load_dwordx2 v[116:117], v[4:5] offset:3584
.LBB811_170:
	s_or_b64 exec, exec, s[4:5]
	v_lshl_add_u32 v4, v13, 4, v12
	s_getpc_b64 s[4:5]
	s_add_u32 s4, s4, _ZN7rocprim17ROCPRIM_400000_NS16block_radix_sortIlLj256ELj8ElLj1ELj1ELj8ELNS0_26block_radix_rank_algorithmE2ELNS0_18block_padding_hintE2ELNS0_4arch9wavefront6targetE1EE19radix_bits_per_passE@rel32@lo+4
	s_addc_u32 s5, s5, _ZN7rocprim17ROCPRIM_400000_NS16block_radix_sortIlLj256ELj8ElLj1ELj1ELj8ELNS0_26block_radix_rank_algorithmE2ELNS0_18block_padding_hintE2ELNS0_4arch9wavefront6targetE1EE19radix_bits_per_passE@rel32@hi+12
	v_add_u32_e32 v1, 16, v4
	v_add_u32_e32 v118, 20, v4
	;; [unrolled: 1-line block ×4, first 2 shown]
	v_and_b32_e32 v4, 15, v16
	s_load_dword s62, s[4:5], 0x0
	v_cmp_eq_u32_e32 vcc, 0, v4
	v_cmp_lt_u32_e64 s[4:5], 1, v4
	v_cmp_lt_u32_e64 s[6:7], 3, v4
	;; [unrolled: 1-line block ×3, first 2 shown]
	v_and_b32_e32 v4, 16, v16
	v_cmp_eq_u32_e64 s[40:41], 0, v4
	v_and_b32_e32 v4, 0x3c0, v13
	v_min_u32_e32 v4, 0xc0, v4
	v_or_b32_e32 v4, 63, v4
	v_cmp_eq_u32_e64 s[16:17], v13, v4
	v_subrev_co_u32_e64 v4, s[22:23], 1, v16
	v_and_b32_e32 v5, 64, v16
	v_cmp_lt_i32_e64 s[24:25], v4, v5
	v_cndmask_b32_e64 v4, v4, v16, s[24:25]
	v_lshlrev_b32_e32 v130, 2, v4
	v_lshrrev_b32_e32 v4, 4, v13
	v_and_b32_e32 v4, 60, v4
	v_add_u32_e32 v131, v12, v4
	v_and_b32_e32 v4, 3, v16
	v_cmp_eq_u32_e64 s[26:27], 0, v4
	v_cmp_lt_u32_e64 s[28:29], 1, v4
	v_lshlrev_b32_e32 v4, 3, v13
	s_movk_i32 s42, 0x1e00
	v_and_or_b32 v4, v4, s42, v17
	v_lshl_add_u32 v134, v4, 3, v12
	v_lshrrev_b32_e32 v129, 6, v0
	v_cmp_lt_u32_e64 s[14:15], 31, v16
	v_cmp_gt_u32_e64 s[18:19], 4, v13
	v_cmp_lt_u32_e64 s[20:21], 63, v13
	v_cmp_eq_u32_e64 s[24:25], 0, v13
	v_mov_b32_e32 v5, 0
	v_lshl_add_u32 v132, v13, 2, v12
	v_add_u32_e32 v133, -4, v131
	v_add_u32_e32 v135, 0x200, v134
	v_add_u32_e32 v144, 0x400, v134
	v_add_u32_e32 v145, 0x600, v134
	v_add_u32_e32 v146, 0x800, v134
	v_add_u32_e32 v147, 0xa00, v134
	v_add_u32_e32 v148, 0xc00, v134
	v_add_u32_e32 v149, 0xe00, v134
	v_sub_u32_e32 v150, v11, v10
	s_mov_b64 s[56:57], 0
	s_waitcnt vmcnt(0) lgkmcnt(0)
	s_barrier
	s_branch .LBB811_172
.LBB811_171:                            ;   in Loop: Header=BB811_172 Depth=1
	s_or_b64 exec, exec, s[44:45]
	s_and_b64 s[42:43], exec, s[60:61]
	s_or_b64 s[56:57], s[42:43], s[56:57]
	s_andn2_b64 exec, exec, s[56:57]
	s_cbranch_execz .LBB811_226
.LBB811_172:                            ; =>This Inner Loop Header: Depth=1
	v_mov_b32_e32 v38, v64
	v_mov_b32_e32 v39, v65
	;; [unrolled: 1-line block ×3, first 2 shown]
	v_min_u32_e32 v4, s62, v150
	v_mov_b32_e32 v37, v55
	v_mov_b32_e32 v32, v66
	v_lshlrev_b32_e64 v4, v4, -1
	v_lshrrev_b64 v[54:55], v10, v[38:39]
	v_mov_b32_e32 v33, v67
	v_not_b32_e32 v67, v4
	v_and_b32_e32 v64, v54, v67
	v_lshl_add_u32 v4, v64, 2, v129
	v_lshlrev_b64 v[54:55], 2, v[4:5]
	v_mov_b32_e32 v52, v86
	v_add_co_u32_e64 v4, s[42:43], v12, v54
	v_add_co_u32_e64 v4, s[42:43], 16, v4
	v_and_b32_e32 v54, 1, v64
	v_add_co_u32_e64 v55, s[42:43], -1, v54
	v_addc_co_u32_e64 v65, s[42:43], 0, -1, s[42:43]
	v_cmp_ne_u32_e64 s[42:43], 0, v54
	v_xor_b32_e32 v54, s43, v65
	v_xor_b32_e32 v55, s42, v55
	v_and_b32_e32 v65, exec_hi, v54
	v_and_b32_e32 v66, exec_lo, v55
	v_lshlrev_b32_e32 v55, 30, v64
	v_mov_b32_e32 v54, v5
	v_cmp_gt_i64_e64 s[42:43], 0, v[54:55]
	v_not_b32_e32 v54, v55
	v_ashrrev_i32_e32 v54, 31, v54
	v_xor_b32_e32 v55, s43, v54
	v_xor_b32_e32 v54, s42, v54
	v_and_b32_e32 v65, v65, v55
	v_and_b32_e32 v66, v66, v54
	v_lshlrev_b32_e32 v55, 29, v64
	v_mov_b32_e32 v54, v5
	v_cmp_gt_i64_e64 s[42:43], 0, v[54:55]
	v_not_b32_e32 v54, v55
	v_ashrrev_i32_e32 v54, 31, v54
	v_xor_b32_e32 v55, s43, v54
	v_xor_b32_e32 v54, s42, v54
	v_and_b32_e32 v65, v65, v55
	v_and_b32_e32 v66, v66, v54
	;; [unrolled: 9-line block ×7, first 2 shown]
	v_mbcnt_lo_u32_b32 v64, v54, 0
	v_mbcnt_hi_u32_b32 v64, v55, v64
	v_cmp_ne_u64_e64 s[42:43], 0, v[54:55]
	v_mov_b32_e32 v50, v96
	v_mov_b32_e32 v22, v98
	;; [unrolled: 1-line block ×12, first 2 shown]
	v_cmp_eq_u32_e64 s[44:45], 0, v64
	v_mov_b32_e32 v53, v87
	v_mov_b32_e32 v51, v97
	;; [unrolled: 1-line block ×13, first 2 shown]
	s_and_b64 s[44:45], s[42:43], s[44:45]
	ds_write_b32 v1, v5
	ds_write_b32 v118, v5
	;; [unrolled: 1-line block ×4, first 2 shown]
	s_waitcnt lgkmcnt(0)
	s_barrier
	; wave barrier
	s_and_saveexec_b64 s[42:43], s[44:45]
; %bb.173:                              ;   in Loop: Header=BB811_172 Depth=1
	v_bcnt_u32_b32 v54, v54, 0
	v_bcnt_u32_b32 v54, v55, v54
	ds_write_b32 v4, v54
; %bb.174:                              ;   in Loop: Header=BB811_172 Depth=1
	s_or_b64 exec, exec, s[42:43]
	v_lshrrev_b64 v[54:55], v10, v[36:37]
	v_and_b32_e32 v68, v54, v67
	v_lshl_add_u32 v54, v68, 2, v129
	v_lshl_add_u32 v54, v54, 2, v12
	; wave barrier
	v_add_u32_e32 v66, 16, v54
	ds_read_b32 v65, v54 offset:16
	v_and_b32_e32 v54, 1, v68
	v_add_co_u32_e64 v55, s[42:43], -1, v54
	v_addc_co_u32_e64 v69, s[42:43], 0, -1, s[42:43]
	v_cmp_ne_u32_e64 s[42:43], 0, v54
	v_xor_b32_e32 v54, s43, v69
	v_xor_b32_e32 v55, s42, v55
	v_and_b32_e32 v69, exec_hi, v54
	v_and_b32_e32 v70, exec_lo, v55
	v_lshlrev_b32_e32 v55, 30, v68
	v_mov_b32_e32 v54, v5
	v_cmp_gt_i64_e64 s[42:43], 0, v[54:55]
	v_not_b32_e32 v54, v55
	v_ashrrev_i32_e32 v54, 31, v54
	v_xor_b32_e32 v55, s43, v54
	v_xor_b32_e32 v54, s42, v54
	v_and_b32_e32 v69, v69, v55
	v_and_b32_e32 v70, v70, v54
	v_lshlrev_b32_e32 v55, 29, v68
	v_mov_b32_e32 v54, v5
	v_cmp_gt_i64_e64 s[42:43], 0, v[54:55]
	v_not_b32_e32 v54, v55
	v_ashrrev_i32_e32 v54, 31, v54
	v_xor_b32_e32 v55, s43, v54
	v_xor_b32_e32 v54, s42, v54
	v_and_b32_e32 v69, v69, v55
	v_and_b32_e32 v70, v70, v54
	;; [unrolled: 9-line block ×7, first 2 shown]
	v_mbcnt_lo_u32_b32 v68, v54, 0
	v_mbcnt_hi_u32_b32 v68, v55, v68
	v_cmp_ne_u64_e64 s[42:43], 0, v[54:55]
	v_cmp_eq_u32_e64 s[44:45], 0, v68
	s_and_b64 s[44:45], s[42:43], s[44:45]
	; wave barrier
	s_and_saveexec_b64 s[42:43], s[44:45]
	s_cbranch_execz .LBB811_176
; %bb.175:                              ;   in Loop: Header=BB811_172 Depth=1
	v_bcnt_u32_b32 v54, v54, 0
	v_bcnt_u32_b32 v54, v55, v54
	s_waitcnt lgkmcnt(0)
	v_add_u32_e32 v54, v65, v54
	ds_write_b32 v66, v54
.LBB811_176:                            ;   in Loop: Header=BB811_172 Depth=1
	s_or_b64 exec, exec, s[42:43]
	v_lshrrev_b64 v[54:55], v10, v[34:35]
	v_and_b32_e32 v71, v54, v67
	v_lshl_add_u32 v54, v71, 2, v129
	v_lshl_add_u32 v54, v54, 2, v12
	; wave barrier
	v_add_u32_e32 v70, 16, v54
	ds_read_b32 v69, v54 offset:16
	v_and_b32_e32 v54, 1, v71
	v_add_co_u32_e64 v55, s[42:43], -1, v54
	v_addc_co_u32_e64 v80, s[42:43], 0, -1, s[42:43]
	v_cmp_ne_u32_e64 s[42:43], 0, v54
	v_xor_b32_e32 v54, s43, v80
	v_xor_b32_e32 v55, s42, v55
	v_and_b32_e32 v80, exec_hi, v54
	v_and_b32_e32 v81, exec_lo, v55
	v_lshlrev_b32_e32 v55, 30, v71
	v_mov_b32_e32 v54, v5
	v_cmp_gt_i64_e64 s[42:43], 0, v[54:55]
	v_not_b32_e32 v54, v55
	v_ashrrev_i32_e32 v54, 31, v54
	v_xor_b32_e32 v55, s43, v54
	v_xor_b32_e32 v54, s42, v54
	v_and_b32_e32 v80, v80, v55
	v_and_b32_e32 v81, v81, v54
	v_lshlrev_b32_e32 v55, 29, v71
	v_mov_b32_e32 v54, v5
	v_cmp_gt_i64_e64 s[42:43], 0, v[54:55]
	v_not_b32_e32 v54, v55
	v_ashrrev_i32_e32 v54, 31, v54
	v_xor_b32_e32 v55, s43, v54
	v_xor_b32_e32 v54, s42, v54
	v_and_b32_e32 v80, v80, v55
	v_and_b32_e32 v81, v81, v54
	v_lshlrev_b32_e32 v55, 28, v71
	v_mov_b32_e32 v54, v5
	v_cmp_gt_i64_e64 s[42:43], 0, v[54:55]
	v_not_b32_e32 v54, v55
	v_ashrrev_i32_e32 v54, 31, v54
	v_xor_b32_e32 v55, s43, v54
	v_xor_b32_e32 v54, s42, v54
	v_and_b32_e32 v80, v80, v55
	v_and_b32_e32 v81, v81, v54
	v_lshlrev_b32_e32 v55, 27, v71
	v_mov_b32_e32 v54, v5
	v_cmp_gt_i64_e64 s[42:43], 0, v[54:55]
	v_not_b32_e32 v54, v55
	v_ashrrev_i32_e32 v54, 31, v54
	v_xor_b32_e32 v55, s43, v54
	v_xor_b32_e32 v54, s42, v54
	v_and_b32_e32 v80, v80, v55
	v_and_b32_e32 v81, v81, v54
	v_lshlrev_b32_e32 v55, 26, v71
	v_mov_b32_e32 v54, v5
	v_cmp_gt_i64_e64 s[42:43], 0, v[54:55]
	v_not_b32_e32 v54, v55
	v_ashrrev_i32_e32 v54, 31, v54
	v_xor_b32_e32 v55, s43, v54
	v_xor_b32_e32 v54, s42, v54
	v_and_b32_e32 v80, v80, v55
	v_and_b32_e32 v81, v81, v54
	v_lshlrev_b32_e32 v55, 25, v71
	v_mov_b32_e32 v54, v5
	v_cmp_gt_i64_e64 s[42:43], 0, v[54:55]
	v_not_b32_e32 v54, v55
	v_ashrrev_i32_e32 v54, 31, v54
	v_xor_b32_e32 v55, s43, v54
	v_xor_b32_e32 v54, s42, v54
	v_and_b32_e32 v80, v80, v55
	v_and_b32_e32 v81, v81, v54
	v_lshlrev_b32_e32 v55, 24, v71
	v_mov_b32_e32 v54, v5
	v_cmp_gt_i64_e64 s[42:43], 0, v[54:55]
	v_not_b32_e32 v54, v55
	v_ashrrev_i32_e32 v54, 31, v54
	v_xor_b32_e32 v55, s43, v54
	v_xor_b32_e32 v54, s42, v54
	v_and_b32_e32 v54, v81, v54
	v_and_b32_e32 v55, v80, v55
	v_mbcnt_lo_u32_b32 v71, v54, 0
	v_mbcnt_hi_u32_b32 v71, v55, v71
	v_cmp_ne_u64_e64 s[42:43], 0, v[54:55]
	v_cmp_eq_u32_e64 s[44:45], 0, v71
	s_and_b64 s[44:45], s[42:43], s[44:45]
	; wave barrier
	s_and_saveexec_b64 s[42:43], s[44:45]
	s_cbranch_execz .LBB811_178
; %bb.177:                              ;   in Loop: Header=BB811_172 Depth=1
	v_bcnt_u32_b32 v54, v54, 0
	v_bcnt_u32_b32 v54, v55, v54
	s_waitcnt lgkmcnt(0)
	v_add_u32_e32 v54, v69, v54
	ds_write_b32 v70, v54
.LBB811_178:                            ;   in Loop: Header=BB811_172 Depth=1
	s_or_b64 exec, exec, s[42:43]
	v_lshrrev_b64 v[54:55], v10, v[32:33]
	v_and_b32_e32 v82, v54, v67
	v_lshl_add_u32 v54, v82, 2, v129
	v_lshl_add_u32 v54, v54, 2, v12
	; wave barrier
	v_add_u32_e32 v81, 16, v54
	ds_read_b32 v80, v54 offset:16
	v_and_b32_e32 v54, 1, v82
	v_add_co_u32_e64 v55, s[42:43], -1, v54
	v_addc_co_u32_e64 v83, s[42:43], 0, -1, s[42:43]
	v_cmp_ne_u32_e64 s[42:43], 0, v54
	v_xor_b32_e32 v54, s43, v83
	v_xor_b32_e32 v55, s42, v55
	v_and_b32_e32 v83, exec_hi, v54
	v_and_b32_e32 v84, exec_lo, v55
	v_lshlrev_b32_e32 v55, 30, v82
	v_mov_b32_e32 v54, v5
	v_cmp_gt_i64_e64 s[42:43], 0, v[54:55]
	v_not_b32_e32 v54, v55
	v_ashrrev_i32_e32 v54, 31, v54
	v_xor_b32_e32 v55, s43, v54
	v_xor_b32_e32 v54, s42, v54
	v_and_b32_e32 v83, v83, v55
	v_and_b32_e32 v84, v84, v54
	v_lshlrev_b32_e32 v55, 29, v82
	v_mov_b32_e32 v54, v5
	v_cmp_gt_i64_e64 s[42:43], 0, v[54:55]
	v_not_b32_e32 v54, v55
	v_ashrrev_i32_e32 v54, 31, v54
	v_xor_b32_e32 v55, s43, v54
	v_xor_b32_e32 v54, s42, v54
	v_and_b32_e32 v83, v83, v55
	v_and_b32_e32 v84, v84, v54
	;; [unrolled: 9-line block ×7, first 2 shown]
	v_mbcnt_lo_u32_b32 v82, v54, 0
	v_mbcnt_hi_u32_b32 v82, v55, v82
	v_cmp_ne_u64_e64 s[42:43], 0, v[54:55]
	v_cmp_eq_u32_e64 s[44:45], 0, v82
	s_and_b64 s[44:45], s[42:43], s[44:45]
	; wave barrier
	s_and_saveexec_b64 s[42:43], s[44:45]
	s_cbranch_execz .LBB811_180
; %bb.179:                              ;   in Loop: Header=BB811_172 Depth=1
	v_bcnt_u32_b32 v54, v54, 0
	v_bcnt_u32_b32 v54, v55, v54
	s_waitcnt lgkmcnt(0)
	v_add_u32_e32 v54, v80, v54
	ds_write_b32 v81, v54
.LBB811_180:                            ;   in Loop: Header=BB811_172 Depth=1
	s_or_b64 exec, exec, s[42:43]
	v_lshrrev_b64 v[54:55], v10, v[30:31]
	v_and_b32_e32 v85, v54, v67
	v_lshl_add_u32 v54, v85, 2, v129
	v_lshl_add_u32 v54, v54, 2, v12
	; wave barrier
	v_add_u32_e32 v84, 16, v54
	ds_read_b32 v83, v54 offset:16
	v_and_b32_e32 v54, 1, v85
	v_add_co_u32_e64 v55, s[42:43], -1, v54
	v_addc_co_u32_e64 v86, s[42:43], 0, -1, s[42:43]
	v_cmp_ne_u32_e64 s[42:43], 0, v54
	v_xor_b32_e32 v54, s43, v86
	v_xor_b32_e32 v55, s42, v55
	v_and_b32_e32 v86, exec_hi, v54
	v_and_b32_e32 v87, exec_lo, v55
	v_lshlrev_b32_e32 v55, 30, v85
	v_mov_b32_e32 v54, v5
	v_cmp_gt_i64_e64 s[42:43], 0, v[54:55]
	v_not_b32_e32 v54, v55
	v_ashrrev_i32_e32 v54, 31, v54
	v_xor_b32_e32 v55, s43, v54
	v_xor_b32_e32 v54, s42, v54
	v_and_b32_e32 v86, v86, v55
	v_and_b32_e32 v87, v87, v54
	v_lshlrev_b32_e32 v55, 29, v85
	v_mov_b32_e32 v54, v5
	v_cmp_gt_i64_e64 s[42:43], 0, v[54:55]
	v_not_b32_e32 v54, v55
	v_ashrrev_i32_e32 v54, 31, v54
	v_xor_b32_e32 v55, s43, v54
	v_xor_b32_e32 v54, s42, v54
	v_and_b32_e32 v86, v86, v55
	v_and_b32_e32 v87, v87, v54
	;; [unrolled: 9-line block ×7, first 2 shown]
	v_mbcnt_lo_u32_b32 v85, v54, 0
	v_mbcnt_hi_u32_b32 v85, v55, v85
	v_cmp_ne_u64_e64 s[42:43], 0, v[54:55]
	v_cmp_eq_u32_e64 s[44:45], 0, v85
	s_and_b64 s[44:45], s[42:43], s[44:45]
	; wave barrier
	s_and_saveexec_b64 s[42:43], s[44:45]
	s_cbranch_execz .LBB811_182
; %bb.181:                              ;   in Loop: Header=BB811_172 Depth=1
	v_bcnt_u32_b32 v54, v54, 0
	v_bcnt_u32_b32 v54, v55, v54
	s_waitcnt lgkmcnt(0)
	v_add_u32_e32 v54, v83, v54
	ds_write_b32 v84, v54
.LBB811_182:                            ;   in Loop: Header=BB811_172 Depth=1
	s_or_b64 exec, exec, s[42:43]
	v_lshrrev_b64 v[54:55], v10, v[28:29]
	v_and_b32_e32 v96, v54, v67
	v_lshl_add_u32 v54, v96, 2, v129
	v_lshl_add_u32 v54, v54, 2, v12
	; wave barrier
	v_add_u32_e32 v87, 16, v54
	ds_read_b32 v86, v54 offset:16
	v_and_b32_e32 v54, 1, v96
	v_add_co_u32_e64 v55, s[42:43], -1, v54
	v_addc_co_u32_e64 v97, s[42:43], 0, -1, s[42:43]
	v_cmp_ne_u32_e64 s[42:43], 0, v54
	v_xor_b32_e32 v54, s43, v97
	v_xor_b32_e32 v55, s42, v55
	v_and_b32_e32 v97, exec_hi, v54
	v_and_b32_e32 v98, exec_lo, v55
	v_lshlrev_b32_e32 v55, 30, v96
	v_mov_b32_e32 v54, v5
	v_cmp_gt_i64_e64 s[42:43], 0, v[54:55]
	v_not_b32_e32 v54, v55
	v_ashrrev_i32_e32 v54, 31, v54
	v_xor_b32_e32 v55, s43, v54
	v_xor_b32_e32 v54, s42, v54
	v_and_b32_e32 v97, v97, v55
	v_and_b32_e32 v98, v98, v54
	v_lshlrev_b32_e32 v55, 29, v96
	v_mov_b32_e32 v54, v5
	v_cmp_gt_i64_e64 s[42:43], 0, v[54:55]
	v_not_b32_e32 v54, v55
	v_ashrrev_i32_e32 v54, 31, v54
	v_xor_b32_e32 v55, s43, v54
	v_xor_b32_e32 v54, s42, v54
	v_and_b32_e32 v97, v97, v55
	v_and_b32_e32 v98, v98, v54
	v_lshlrev_b32_e32 v55, 28, v96
	v_mov_b32_e32 v54, v5
	v_cmp_gt_i64_e64 s[42:43], 0, v[54:55]
	v_not_b32_e32 v54, v55
	v_ashrrev_i32_e32 v54, 31, v54
	v_xor_b32_e32 v55, s43, v54
	v_xor_b32_e32 v54, s42, v54
	v_and_b32_e32 v97, v97, v55
	v_and_b32_e32 v98, v98, v54
	v_lshlrev_b32_e32 v55, 27, v96
	v_mov_b32_e32 v54, v5
	v_cmp_gt_i64_e64 s[42:43], 0, v[54:55]
	v_not_b32_e32 v54, v55
	v_ashrrev_i32_e32 v54, 31, v54
	v_xor_b32_e32 v55, s43, v54
	v_xor_b32_e32 v54, s42, v54
	v_and_b32_e32 v97, v97, v55
	v_and_b32_e32 v98, v98, v54
	v_lshlrev_b32_e32 v55, 26, v96
	v_mov_b32_e32 v54, v5
	v_cmp_gt_i64_e64 s[42:43], 0, v[54:55]
	v_not_b32_e32 v54, v55
	v_ashrrev_i32_e32 v54, 31, v54
	v_xor_b32_e32 v55, s43, v54
	v_xor_b32_e32 v54, s42, v54
	v_and_b32_e32 v97, v97, v55
	v_and_b32_e32 v98, v98, v54
	v_lshlrev_b32_e32 v55, 25, v96
	v_mov_b32_e32 v54, v5
	v_cmp_gt_i64_e64 s[42:43], 0, v[54:55]
	v_not_b32_e32 v54, v55
	v_ashrrev_i32_e32 v54, 31, v54
	v_xor_b32_e32 v55, s43, v54
	v_xor_b32_e32 v54, s42, v54
	v_and_b32_e32 v97, v97, v55
	v_and_b32_e32 v98, v98, v54
	v_lshlrev_b32_e32 v55, 24, v96
	v_mov_b32_e32 v54, v5
	v_cmp_gt_i64_e64 s[42:43], 0, v[54:55]
	v_not_b32_e32 v54, v55
	v_ashrrev_i32_e32 v54, 31, v54
	v_xor_b32_e32 v55, s43, v54
	v_xor_b32_e32 v54, s42, v54
	v_and_b32_e32 v54, v98, v54
	v_and_b32_e32 v55, v97, v55
	v_mbcnt_lo_u32_b32 v96, v54, 0
	v_mbcnt_hi_u32_b32 v96, v55, v96
	v_cmp_ne_u64_e64 s[42:43], 0, v[54:55]
	v_cmp_eq_u32_e64 s[44:45], 0, v96
	s_and_b64 s[44:45], s[42:43], s[44:45]
	; wave barrier
	s_and_saveexec_b64 s[42:43], s[44:45]
	s_cbranch_execz .LBB811_184
; %bb.183:                              ;   in Loop: Header=BB811_172 Depth=1
	v_bcnt_u32_b32 v54, v54, 0
	v_bcnt_u32_b32 v54, v55, v54
	s_waitcnt lgkmcnt(0)
	v_add_u32_e32 v54, v86, v54
	ds_write_b32 v87, v54
.LBB811_184:                            ;   in Loop: Header=BB811_172 Depth=1
	s_or_b64 exec, exec, s[42:43]
	v_lshrrev_b64 v[54:55], v10, v[26:27]
	v_and_b32_e32 v99, v54, v67
	v_lshl_add_u32 v54, v99, 2, v129
	v_lshl_add_u32 v54, v54, 2, v12
	; wave barrier
	v_add_u32_e32 v98, 16, v54
	ds_read_b32 v97, v54 offset:16
	v_and_b32_e32 v54, 1, v99
	v_add_co_u32_e64 v55, s[42:43], -1, v54
	v_addc_co_u32_e64 v100, s[42:43], 0, -1, s[42:43]
	v_cmp_ne_u32_e64 s[42:43], 0, v54
	v_xor_b32_e32 v54, s43, v100
	v_xor_b32_e32 v55, s42, v55
	v_and_b32_e32 v100, exec_hi, v54
	v_and_b32_e32 v101, exec_lo, v55
	v_lshlrev_b32_e32 v55, 30, v99
	v_mov_b32_e32 v54, v5
	v_cmp_gt_i64_e64 s[42:43], 0, v[54:55]
	v_not_b32_e32 v54, v55
	v_ashrrev_i32_e32 v54, 31, v54
	v_xor_b32_e32 v55, s43, v54
	v_xor_b32_e32 v54, s42, v54
	v_and_b32_e32 v100, v100, v55
	v_and_b32_e32 v101, v101, v54
	v_lshlrev_b32_e32 v55, 29, v99
	v_mov_b32_e32 v54, v5
	v_cmp_gt_i64_e64 s[42:43], 0, v[54:55]
	v_not_b32_e32 v54, v55
	v_ashrrev_i32_e32 v54, 31, v54
	v_xor_b32_e32 v55, s43, v54
	v_xor_b32_e32 v54, s42, v54
	v_and_b32_e32 v100, v100, v55
	v_and_b32_e32 v101, v101, v54
	;; [unrolled: 9-line block ×7, first 2 shown]
	v_mbcnt_lo_u32_b32 v99, v54, 0
	v_mbcnt_hi_u32_b32 v99, v55, v99
	v_cmp_ne_u64_e64 s[42:43], 0, v[54:55]
	v_cmp_eq_u32_e64 s[44:45], 0, v99
	s_and_b64 s[44:45], s[42:43], s[44:45]
	; wave barrier
	s_and_saveexec_b64 s[42:43], s[44:45]
	s_cbranch_execz .LBB811_186
; %bb.185:                              ;   in Loop: Header=BB811_172 Depth=1
	v_bcnt_u32_b32 v54, v54, 0
	v_bcnt_u32_b32 v54, v55, v54
	s_waitcnt lgkmcnt(0)
	v_add_u32_e32 v54, v97, v54
	ds_write_b32 v98, v54
.LBB811_186:                            ;   in Loop: Header=BB811_172 Depth=1
	s_or_b64 exec, exec, s[42:43]
	v_lshrrev_b64 v[54:55], v10, v[24:25]
	v_and_b32_e32 v101, v54, v67
	v_lshl_add_u32 v54, v101, 2, v129
	v_lshl_add_u32 v54, v54, 2, v12
	; wave barrier
	v_add_u32_e32 v100, 16, v54
	ds_read_b32 v67, v54 offset:16
	v_and_b32_e32 v54, 1, v101
	v_add_co_u32_e64 v55, s[42:43], -1, v54
	v_addc_co_u32_e64 v102, s[42:43], 0, -1, s[42:43]
	v_cmp_ne_u32_e64 s[42:43], 0, v54
	v_xor_b32_e32 v54, s43, v102
	v_xor_b32_e32 v55, s42, v55
	v_and_b32_e32 v102, exec_hi, v54
	v_and_b32_e32 v103, exec_lo, v55
	v_lshlrev_b32_e32 v55, 30, v101
	v_mov_b32_e32 v54, v5
	v_cmp_gt_i64_e64 s[42:43], 0, v[54:55]
	v_not_b32_e32 v54, v55
	v_ashrrev_i32_e32 v54, 31, v54
	v_xor_b32_e32 v55, s43, v54
	v_xor_b32_e32 v54, s42, v54
	v_and_b32_e32 v102, v102, v55
	v_and_b32_e32 v103, v103, v54
	v_lshlrev_b32_e32 v55, 29, v101
	v_mov_b32_e32 v54, v5
	v_cmp_gt_i64_e64 s[42:43], 0, v[54:55]
	v_not_b32_e32 v54, v55
	v_ashrrev_i32_e32 v54, 31, v54
	v_xor_b32_e32 v55, s43, v54
	v_xor_b32_e32 v54, s42, v54
	v_and_b32_e32 v102, v102, v55
	v_and_b32_e32 v103, v103, v54
	;; [unrolled: 9-line block ×7, first 2 shown]
	v_mbcnt_lo_u32_b32 v101, v54, 0
	v_mbcnt_hi_u32_b32 v101, v55, v101
	v_cmp_ne_u64_e64 s[42:43], 0, v[54:55]
	v_cmp_eq_u32_e64 s[44:45], 0, v101
	s_and_b64 s[44:45], s[42:43], s[44:45]
	; wave barrier
	s_and_saveexec_b64 s[42:43], s[44:45]
	s_cbranch_execz .LBB811_188
; %bb.187:                              ;   in Loop: Header=BB811_172 Depth=1
	v_bcnt_u32_b32 v54, v54, 0
	v_bcnt_u32_b32 v54, v55, v54
	s_waitcnt lgkmcnt(0)
	v_add_u32_e32 v54, v67, v54
	ds_write_b32 v100, v54
.LBB811_188:                            ;   in Loop: Header=BB811_172 Depth=1
	s_or_b64 exec, exec, s[42:43]
	; wave barrier
	s_waitcnt lgkmcnt(0)
	s_barrier
	ds_read_b32 v102, v1
	ds_read_b32 v55, v118
	;; [unrolled: 1-line block ×4, first 2 shown]
	s_waitcnt lgkmcnt(2)
	v_add_u32_e32 v112, v55, v102
	s_waitcnt lgkmcnt(0)
	v_add3_u32 v103, v112, v54, v103
	s_nop 1
	v_mov_b32_dpp v112, v103 row_shr:1 row_mask:0xf bank_mask:0xf
	v_cndmask_b32_e64 v112, v112, 0, vcc
	v_add_u32_e32 v103, v112, v103
	s_nop 1
	v_mov_b32_dpp v112, v103 row_shr:2 row_mask:0xf bank_mask:0xf
	v_cndmask_b32_e64 v112, 0, v112, s[4:5]
	v_add_u32_e32 v103, v103, v112
	s_nop 1
	v_mov_b32_dpp v112, v103 row_shr:4 row_mask:0xf bank_mask:0xf
	v_cndmask_b32_e64 v112, 0, v112, s[6:7]
	;; [unrolled: 4-line block ×3, first 2 shown]
	v_add_u32_e32 v103, v103, v112
	s_nop 1
	v_mov_b32_dpp v112, v103 row_bcast:15 row_mask:0xf bank_mask:0xf
	v_cndmask_b32_e64 v112, v112, 0, s[40:41]
	v_add_u32_e32 v103, v103, v112
	s_nop 1
	v_mov_b32_dpp v112, v103 row_bcast:31 row_mask:0xf bank_mask:0xf
	v_cndmask_b32_e64 v112, 0, v112, s[14:15]
	v_add_u32_e32 v103, v103, v112
	s_and_saveexec_b64 s[42:43], s[16:17]
; %bb.189:                              ;   in Loop: Header=BB811_172 Depth=1
	ds_write_b32 v131, v103
; %bb.190:                              ;   in Loop: Header=BB811_172 Depth=1
	s_or_b64 exec, exec, s[42:43]
	s_waitcnt lgkmcnt(0)
	s_barrier
	s_and_saveexec_b64 s[42:43], s[18:19]
	s_cbranch_execz .LBB811_192
; %bb.191:                              ;   in Loop: Header=BB811_172 Depth=1
	ds_read_b32 v112, v132
	s_waitcnt lgkmcnt(0)
	s_nop 0
	v_mov_b32_dpp v113, v112 row_shr:1 row_mask:0xf bank_mask:0xf
	v_cndmask_b32_e64 v113, v113, 0, s[26:27]
	v_add_u32_e32 v112, v113, v112
	s_nop 1
	v_mov_b32_dpp v113, v112 row_shr:2 row_mask:0xf bank_mask:0xf
	v_cndmask_b32_e64 v113, 0, v113, s[28:29]
	v_add_u32_e32 v112, v112, v113
	ds_write_b32 v132, v112
.LBB811_192:                            ;   in Loop: Header=BB811_172 Depth=1
	s_or_b64 exec, exec, s[42:43]
	v_mov_b32_e32 v112, 0
	s_waitcnt lgkmcnt(0)
	s_barrier
	s_and_saveexec_b64 s[42:43], s[20:21]
; %bb.193:                              ;   in Loop: Header=BB811_172 Depth=1
	ds_read_b32 v112, v133
; %bb.194:                              ;   in Loop: Header=BB811_172 Depth=1
	s_or_b64 exec, exec, s[42:43]
	s_waitcnt lgkmcnt(0)
	v_add_u32_e32 v103, v112, v103
	ds_bpermute_b32 v103, v130, v103
	v_add_u32_e32 v10, 8, v10
	v_cmp_lt_u32_e64 s[42:43], v10, v11
	s_mov_b64 s[60:61], -1
                                        ; implicit-def: $vgpr114_vgpr115
                                        ; implicit-def: $vgpr116_vgpr117
	s_waitcnt lgkmcnt(0)
	v_cndmask_b32_e64 v103, v103, v112, s[22:23]
	v_cndmask_b32_e64 v103, v103, 0, s[24:25]
	v_add_u32_e32 v102, v103, v102
	v_add_u32_e32 v55, v102, v55
	;; [unrolled: 1-line block ×3, first 2 shown]
	ds_write_b32 v1, v103
	ds_write_b32 v118, v102
	;; [unrolled: 1-line block ×4, first 2 shown]
	s_waitcnt lgkmcnt(0)
	s_barrier
	ds_read_b32 v4, v4
	ds_read_b32 v54, v66
	;; [unrolled: 1-line block ×3, first 2 shown]
                                        ; implicit-def: $vgpr102_vgpr103
                                        ; implicit-def: $vgpr112_vgpr113
	s_waitcnt lgkmcnt(2)
	v_add_u32_e32 v4, v4, v64
	s_waitcnt lgkmcnt(1)
	v_add3_u32 v54, v68, v65, v54
	s_waitcnt lgkmcnt(0)
	v_add3_u32 v64, v71, v69, v55
	ds_read_b32 v55, v81
	ds_read_b32 v65, v84
	;; [unrolled: 1-line block ×5, first 2 shown]
	s_waitcnt lgkmcnt(4)
	v_add3_u32 v66, v82, v80, v55
	v_mov_b32_e32 v55, v5
	v_lshlrev_b64 v[54:55], 3, v[54:55]
	s_waitcnt lgkmcnt(3)
	v_add3_u32 v68, v85, v83, v65
	v_mov_b32_e32 v65, v5
	v_add_co_u32_e64 v151, s[44:45], v12, v54
	v_lshlrev_b64 v[54:55], 3, v[64:65]
	s_waitcnt lgkmcnt(0)
	v_add3_u32 v82, v101, v67, v81
	v_mov_b32_e32 v67, v5
	v_add_co_u32_e64 v160, s[44:45], v12, v54
	v_lshlrev_b64 v[54:55], 3, v[66:67]
	v_add3_u32 v70, v96, v86, v69
	v_mov_b32_e32 v69, v5
	v_add_co_u32_e64 v161, s[44:45], v12, v54
	v_lshlrev_b64 v[54:55], 3, v[68:69]
	v_add3_u32 v80, v99, v97, v71
	v_mov_b32_e32 v71, v5
	v_add_co_u32_e64 v162, s[44:45], v12, v54
	v_lshlrev_b64 v[54:55], 3, v[70:71]
	v_lshlrev_b64 v[83:84], 3, v[4:5]
	v_mov_b32_e32 v81, v5
	v_add_co_u32_e64 v163, s[44:45], v12, v54
	v_lshlrev_b64 v[54:55], 3, v[80:81]
	v_add_co_u32_e64 v4, s[44:45], v12, v83
	v_mov_b32_e32 v83, v5
	v_add_co_u32_e64 v164, s[44:45], v12, v54
	v_lshlrev_b64 v[54:55], 3, v[82:83]
	v_add_co_u32_e64 v165, s[44:45], v12, v54
                                        ; implicit-def: $vgpr86_vgpr87
                                        ; implicit-def: $vgpr96_vgpr97
                                        ; implicit-def: $vgpr98_vgpr99
                                        ; implicit-def: $vgpr100_vgpr101
                                        ; implicit-def: $vgpr64_vgpr65
                                        ; implicit-def: $vgpr54_vgpr55
                                        ; implicit-def: $vgpr68_vgpr69
                                        ; implicit-def: $vgpr66_vgpr67
                                        ; implicit-def: $vgpr80_vgpr81
                                        ; implicit-def: $vgpr70_vgpr71
                                        ; implicit-def: $vgpr84_vgpr85
                                        ; implicit-def: $vgpr82_vgpr83
	s_and_saveexec_b64 s[44:45], s[42:43]
	s_cbranch_execz .LBB811_171
; %bb.195:                              ;   in Loop: Header=BB811_172 Depth=1
	s_barrier
	ds_write_b64 v4, v[38:39]
	ds_write_b64 v151, v[36:37]
	;; [unrolled: 1-line block ×8, first 2 shown]
	s_waitcnt lgkmcnt(0)
	s_barrier
	ds_read_b64 v[64:65], v134
	ds_read_b64 v[54:55], v135
	;; [unrolled: 1-line block ×8, first 2 shown]
	s_waitcnt lgkmcnt(0)
	s_barrier
	ds_write_b64 v4, v[52:53]
	ds_write_b64 v151, v[50:51]
	;; [unrolled: 1-line block ×8, first 2 shown]
	s_waitcnt lgkmcnt(0)
	s_barrier
	ds_read_b64 v[86:87], v134
	ds_read_b64 v[96:97], v135
	;; [unrolled: 1-line block ×8, first 2 shown]
	v_add_u32_e32 v150, -8, v150
	s_xor_b64 s[60:61], exec, -1
	s_waitcnt lgkmcnt(0)
	s_barrier
	s_branch .LBB811_171
.LBB811_196:
	flat_load_dwordx2 v[182:183], v[4:5]
	s_or_b64 exec, exec, s[62:63]
                                        ; implicit-def: $vgpr192_vgpr193
	s_and_saveexec_b64 s[4:5], s[6:7]
	s_cbranch_execz .LBB811_36
.LBB811_197:
	flat_load_dwordx2 v[192:193], v[4:5] offset:512
	s_or_b64 exec, exec, s[4:5]
                                        ; implicit-def: $vgpr194_vgpr195
	s_and_saveexec_b64 s[4:5], s[10:11]
	s_cbranch_execz .LBB811_37
.LBB811_198:
	flat_load_dwordx2 v[194:195], v[4:5] offset:1024
	s_or_b64 exec, exec, s[4:5]
                                        ; implicit-def: $vgpr196_vgpr197
	s_and_saveexec_b64 s[4:5], s[56:57]
	s_cbranch_execz .LBB811_38
.LBB811_199:
	flat_load_dwordx2 v[196:197], v[4:5] offset:1536
	s_or_b64 exec, exec, s[4:5]
                                        ; implicit-def: $vgpr198_vgpr199
	s_and_saveexec_b64 s[4:5], s[14:15]
	s_cbranch_execz .LBB811_39
.LBB811_200:
	flat_load_dwordx2 v[198:199], v[4:5] offset:2048
	s_or_b64 exec, exec, s[4:5]
                                        ; implicit-def: $vgpr208_vgpr209
	s_and_saveexec_b64 s[4:5], s[16:17]
	s_cbranch_execz .LBB811_40
.LBB811_201:
	flat_load_dwordx2 v[208:209], v[4:5] offset:2560
	s_or_b64 exec, exec, s[4:5]
                                        ; implicit-def: $vgpr210_vgpr211
	s_and_saveexec_b64 s[4:5], s[18:19]
	s_cbranch_execz .LBB811_41
.LBB811_202:
	flat_load_dwordx2 v[210:211], v[4:5] offset:3072
	s_or_b64 exec, exec, s[4:5]
                                        ; implicit-def: $vgpr212_vgpr213
	s_and_saveexec_b64 s[4:5], s[20:21]
	s_cbranch_execz .LBB811_42
.LBB811_203:
	flat_load_dwordx2 v[212:213], v[4:5] offset:3584
	s_or_b64 exec, exec, s[4:5]
                                        ; implicit-def: $vgpr214_vgpr215
	s_and_saveexec_b64 s[4:5], s[22:23]
	s_cbranch_execz .LBB811_43
.LBB811_204:
	v_add_co_u32_e32 v8, vcc, 0x1000, v4
	v_addc_co_u32_e32 v9, vcc, 0, v5, vcc
	flat_load_dwordx2 v[214:215], v[8:9]
	s_or_b64 exec, exec, s[4:5]
                                        ; implicit-def: $vgpr224_vgpr225
	s_and_saveexec_b64 s[4:5], s[24:25]
	s_cbranch_execz .LBB811_44
.LBB811_205:
	v_add_co_u32_e32 v8, vcc, 0x1000, v4
	v_addc_co_u32_e32 v9, vcc, 0, v5, vcc
	flat_load_dwordx2 v[224:225], v[8:9] offset:512
	s_or_b64 exec, exec, s[4:5]
                                        ; implicit-def: $vgpr226_vgpr227
	s_and_saveexec_b64 s[4:5], s[26:27]
	s_cbranch_execz .LBB811_45
.LBB811_206:
	v_add_co_u32_e32 v8, vcc, 0x1000, v4
	v_addc_co_u32_e32 v9, vcc, 0, v5, vcc
	flat_load_dwordx2 v[226:227], v[8:9] offset:1024
	s_or_b64 exec, exec, s[4:5]
                                        ; implicit-def: $vgpr228_vgpr229
	s_and_saveexec_b64 s[4:5], s[28:29]
	s_cbranch_execz .LBB811_46
.LBB811_207:
	v_add_co_u32_e32 v8, vcc, 0x1000, v4
	v_addc_co_u32_e32 v9, vcc, 0, v5, vcc
	flat_load_dwordx2 v[228:229], v[8:9] offset:1536
	s_or_b64 exec, exec, s[4:5]
                                        ; implicit-def: $vgpr230_vgpr231
	s_and_saveexec_b64 s[4:5], s[40:41]
	s_cbranch_execz .LBB811_47
.LBB811_208:
	v_add_co_u32_e32 v8, vcc, 0x1000, v4
	v_addc_co_u32_e32 v9, vcc, 0, v5, vcc
	flat_load_dwordx2 v[230:231], v[8:9] offset:2048
	s_or_b64 exec, exec, s[4:5]
                                        ; implicit-def: $vgpr240_vgpr241
	s_and_saveexec_b64 s[4:5], s[42:43]
	s_cbranch_execz .LBB811_48
.LBB811_209:
	v_add_co_u32_e32 v8, vcc, 0x1000, v4
	v_addc_co_u32_e32 v9, vcc, 0, v5, vcc
	flat_load_dwordx2 v[240:241], v[8:9] offset:2560
	s_or_b64 exec, exec, s[4:5]
                                        ; implicit-def: $vgpr242_vgpr243
	s_and_saveexec_b64 s[4:5], s[44:45]
	s_cbranch_execz .LBB811_49
.LBB811_210:
	v_add_co_u32_e32 v8, vcc, 0x1000, v4
	v_addc_co_u32_e32 v9, vcc, 0, v5, vcc
	flat_load_dwordx2 v[242:243], v[8:9] offset:3072
	s_or_b64 exec, exec, s[4:5]
                                        ; implicit-def: $vgpr244_vgpr245
	s_and_saveexec_b64 s[4:5], s[46:47]
	s_cbranch_execnz .LBB811_50
	s_branch .LBB811_51
.LBB811_211:
	flat_store_dwordx2 v[0:1], v[48:49]
	s_or_b64 exec, exec, s[62:63]
	s_and_saveexec_b64 s[4:5], s[6:7]
	s_cbranch_execz .LBB811_127
.LBB811_212:
	flat_store_dwordx2 v[0:1], v[50:51] offset:2048
	s_or_b64 exec, exec, s[4:5]
	s_and_saveexec_b64 s[4:5], s[10:11]
	s_cbranch_execz .LBB811_128
.LBB811_213:
	v_add_co_u32_e32 v2, vcc, 0x1000, v0
	v_addc_co_u32_e32 v3, vcc, 0, v1, vcc
	flat_store_dwordx2 v[2:3], v[32:33]
	s_or_b64 exec, exec, s[4:5]
	s_and_saveexec_b64 s[4:5], s[56:57]
	s_cbranch_execz .LBB811_129
.LBB811_214:
	v_add_co_u32_e32 v2, vcc, 0x1000, v0
	v_addc_co_u32_e32 v3, vcc, 0, v1, vcc
	flat_store_dwordx2 v[2:3], v[34:35] offset:2048
	s_or_b64 exec, exec, s[4:5]
	s_and_saveexec_b64 s[4:5], s[14:15]
	s_cbranch_execz .LBB811_130
.LBB811_215:
	v_add_co_u32_e32 v2, vcc, 0x2000, v0
	v_addc_co_u32_e32 v3, vcc, 0, v1, vcc
	flat_store_dwordx2 v[2:3], v[28:29]
	s_or_b64 exec, exec, s[4:5]
	s_and_saveexec_b64 s[4:5], s[16:17]
	s_cbranch_execz .LBB811_131
.LBB811_216:
	v_add_co_u32_e32 v2, vcc, 0x2000, v0
	v_addc_co_u32_e32 v3, vcc, 0, v1, vcc
	flat_store_dwordx2 v[2:3], v[30:31] offset:2048
	s_or_b64 exec, exec, s[4:5]
	s_and_saveexec_b64 s[4:5], s[18:19]
	s_cbranch_execz .LBB811_132
.LBB811_217:
	v_add_co_u32_e32 v2, vcc, 0x3000, v0
	v_addc_co_u32_e32 v3, vcc, 0, v1, vcc
	flat_store_dwordx2 v[2:3], v[24:25]
	s_or_b64 exec, exec, s[4:5]
	s_and_saveexec_b64 s[4:5], s[20:21]
	s_cbranch_execz .LBB811_133
.LBB811_218:
	v_add_co_u32_e32 v2, vcc, 0x3000, v0
	v_addc_co_u32_e32 v3, vcc, 0, v1, vcc
	flat_store_dwordx2 v[2:3], v[26:27] offset:2048
	s_or_b64 exec, exec, s[4:5]
	s_and_saveexec_b64 s[4:5], s[22:23]
	s_cbranch_execz .LBB811_134
.LBB811_219:
	v_add_co_u32_e32 v2, vcc, 0x4000, v0
	v_addc_co_u32_e32 v3, vcc, 0, v1, vcc
	flat_store_dwordx2 v[2:3], v[20:21]
	s_or_b64 exec, exec, s[4:5]
	s_and_saveexec_b64 s[4:5], s[24:25]
	s_cbranch_execz .LBB811_135
.LBB811_220:
	v_add_co_u32_e32 v2, vcc, 0x4000, v0
	v_addc_co_u32_e32 v3, vcc, 0, v1, vcc
	flat_store_dwordx2 v[2:3], v[22:23] offset:2048
	s_or_b64 exec, exec, s[4:5]
	s_and_saveexec_b64 s[4:5], s[26:27]
	s_cbranch_execz .LBB811_136
.LBB811_221:
	v_add_co_u32_e32 v2, vcc, 0x5000, v0
	v_addc_co_u32_e32 v3, vcc, 0, v1, vcc
	flat_store_dwordx2 v[2:3], v[16:17]
	s_or_b64 exec, exec, s[4:5]
	s_and_saveexec_b64 s[4:5], s[28:29]
	s_cbranch_execz .LBB811_137
.LBB811_222:
	v_add_co_u32_e32 v2, vcc, 0x5000, v0
	v_addc_co_u32_e32 v3, vcc, 0, v1, vcc
	flat_store_dwordx2 v[2:3], v[18:19] offset:2048
	s_or_b64 exec, exec, s[4:5]
	s_and_saveexec_b64 s[4:5], s[40:41]
	s_cbranch_execz .LBB811_138
.LBB811_223:
	v_add_co_u32_e32 v2, vcc, 0x6000, v0
	v_addc_co_u32_e32 v3, vcc, 0, v1, vcc
	flat_store_dwordx2 v[2:3], v[12:13]
	s_or_b64 exec, exec, s[4:5]
	s_and_saveexec_b64 s[4:5], s[42:43]
	s_cbranch_execz .LBB811_139
.LBB811_224:
	v_add_co_u32_e32 v2, vcc, 0x6000, v0
	v_addc_co_u32_e32 v3, vcc, 0, v1, vcc
	flat_store_dwordx2 v[2:3], v[14:15] offset:2048
	s_or_b64 exec, exec, s[4:5]
	s_and_saveexec_b64 s[4:5], s[44:45]
	s_cbranch_execz .LBB811_140
.LBB811_225:
	v_add_co_u32_e32 v2, vcc, 0x7000, v0
	v_addc_co_u32_e32 v3, vcc, 0, v1, vcc
	flat_store_dwordx2 v[2:3], v[8:9]
	s_or_b64 exec, exec, s[4:5]
	s_and_saveexec_b64 s[4:5], s[46:47]
	s_cbranch_execnz .LBB811_141
	s_branch .LBB811_142
.LBB811_226:
	s_or_b64 exec, exec, s[56:57]
	v_lshl_add_u32 v1, v13, 3, v12
	s_barrier
	ds_write_b64 v4, v[38:39]
	ds_write_b64 v151, v[36:37]
	;; [unrolled: 1-line block ×8, first 2 shown]
	s_waitcnt lgkmcnt(0)
	s_barrier
	ds_read2st64_b64 v[36:39], v1 offset1:4
	ds_read2st64_b64 v[32:35], v1 offset0:8 offset1:12
	ds_read2st64_b64 v[28:31], v1 offset0:16 offset1:20
	;; [unrolled: 1-line block ×3, first 2 shown]
	s_waitcnt lgkmcnt(0)
	s_barrier
	ds_write_b64 v4, v[52:53]
	ds_write_b64 v151, v[50:51]
	;; [unrolled: 1-line block ×8, first 2 shown]
	s_waitcnt lgkmcnt(0)
	s_barrier
	ds_read2st64_b64 v[20:23], v1 offset1:4
	ds_read2st64_b64 v[16:19], v1 offset0:8 offset1:12
	ds_read2st64_b64 v[12:15], v1 offset0:16 offset1:20
	;; [unrolled: 1-line block ×3, first 2 shown]
	v_mov_b32_e32 v1, 0
	v_add_co_u32_e32 v4, vcc, v2, v48
	v_lshlrev_b64 v[1:2], 3, v[0:1]
	v_addc_co_u32_e32 v5, vcc, v3, v49, vcc
	v_add_co_u32_e32 v3, vcc, v4, v1
	v_addc_co_u32_e32 v4, vcc, v5, v2, vcc
	v_cmp_lt_u32_e64 s[4:5], v0, v246
	s_waitcnt lgkmcnt(0)
	s_barrier
	s_and_saveexec_b64 s[6:7], s[4:5]
	s_cbranch_execz .LBB811_228
; %bb.227:
	v_xor_b32_e32 v37, 0x80000000, v37
	flat_store_dwordx2 v[3:4], v[36:37]
.LBB811_228:
	s_or_b64 exec, exec, s[6:7]
	v_add_u32_e32 v5, 0x100, v0
	v_cmp_lt_u32_e64 s[6:7], v5, v246
	s_and_saveexec_b64 s[10:11], s[6:7]
	s_cbranch_execz .LBB811_230
; %bb.229:
	v_xor_b32_e32 v39, 0x80000000, v39
	flat_store_dwordx2 v[3:4], v[38:39] offset:2048
.LBB811_230:
	s_or_b64 exec, exec, s[10:11]
	v_add_u32_e32 v5, 0x200, v0
	v_cmp_lt_u32_e64 s[10:11], v5, v246
	s_and_saveexec_b64 s[14:15], s[10:11]
	s_cbranch_execz .LBB811_232
; %bb.231:
	v_add_co_u32_e32 v36, vcc, 0x1000, v3
	v_xor_b32_e32 v33, 0x80000000, v33
	v_addc_co_u32_e32 v37, vcc, 0, v4, vcc
	flat_store_dwordx2 v[36:37], v[32:33]
.LBB811_232:
	s_or_b64 exec, exec, s[14:15]
	v_add_u32_e32 v5, 0x300, v0
	v_cmp_lt_u32_e64 s[22:23], v5, v246
	s_and_saveexec_b64 s[14:15], s[22:23]
	s_cbranch_execz .LBB811_234
; %bb.233:
	v_add_co_u32_e32 v32, vcc, 0x1000, v3
	v_xor_b32_e32 v35, 0x80000000, v35
	v_addc_co_u32_e32 v33, vcc, 0, v4, vcc
	flat_store_dwordx2 v[32:33], v[34:35] offset:2048
.LBB811_234:
	s_or_b64 exec, exec, s[14:15]
	v_add_u32_e32 v5, 0x400, v0
	v_cmp_lt_u32_e64 s[14:15], v5, v246
	s_and_saveexec_b64 s[16:17], s[14:15]
	s_cbranch_execz .LBB811_236
; %bb.235:
	v_add_co_u32_e32 v32, vcc, 0x2000, v3
	v_xor_b32_e32 v29, 0x80000000, v29
	v_addc_co_u32_e32 v33, vcc, 0, v4, vcc
	flat_store_dwordx2 v[32:33], v[28:29]
.LBB811_236:
	s_or_b64 exec, exec, s[16:17]
	v_add_u32_e32 v5, 0x500, v0
	v_cmp_lt_u32_e64 s[16:17], v5, v246
	s_and_saveexec_b64 s[18:19], s[16:17]
	s_cbranch_execz .LBB811_238
; %bb.237:
	v_add_co_u32_e32 v28, vcc, 0x2000, v3
	v_xor_b32_e32 v31, 0x80000000, v31
	v_addc_co_u32_e32 v29, vcc, 0, v4, vcc
	flat_store_dwordx2 v[28:29], v[30:31] offset:2048
.LBB811_238:
	;; [unrolled: 22-line block ×3, first 2 shown]
	s_or_b64 exec, exec, s[24:25]
	v_add_co_u32_e32 v0, vcc, v6, v48
	v_addc_co_u32_e32 v3, vcc, v7, v49, vcc
	v_add_co_u32_e32 v0, vcc, v0, v1
	v_addc_co_u32_e32 v1, vcc, v3, v2, vcc
	s_and_saveexec_b64 s[24:25], s[4:5]
	s_cbranch_execnz .LBB811_292
; %bb.243:
	s_or_b64 exec, exec, s[24:25]
	s_and_saveexec_b64 s[4:5], s[6:7]
	s_cbranch_execnz .LBB811_293
.LBB811_244:
	s_or_b64 exec, exec, s[4:5]
	s_and_saveexec_b64 s[4:5], s[10:11]
	s_cbranch_execnz .LBB811_294
.LBB811_245:
	s_or_b64 exec, exec, s[4:5]
	s_and_saveexec_b64 s[4:5], s[22:23]
	s_cbranch_execnz .LBB811_295
.LBB811_246:
	s_or_b64 exec, exec, s[4:5]
	s_and_saveexec_b64 s[4:5], s[14:15]
	s_cbranch_execnz .LBB811_296
.LBB811_247:
	s_or_b64 exec, exec, s[4:5]
	s_and_saveexec_b64 s[4:5], s[16:17]
	s_cbranch_execnz .LBB811_297
.LBB811_248:
	s_or_b64 exec, exec, s[4:5]
	s_and_saveexec_b64 s[4:5], s[18:19]
	s_cbranch_execnz .LBB811_298
.LBB811_249:
	s_or_b64 exec, exec, s[4:5]
	s_and_saveexec_b64 s[4:5], s[20:21]
	s_cbranch_execz .LBB811_251
.LBB811_250:
	v_add_co_u32_e32 v0, vcc, 0x3000, v0
	v_addc_co_u32_e32 v1, vcc, 0, v1, vcc
	flat_store_dwordx2 v[0:1], v[10:11] offset:2048
.LBB811_251:
	s_or_b64 exec, exec, s[4:5]
                                        ; implicit-def: $vgpr246
                                        ; implicit-def: $vgpr0
                                        ; implicit-def: $vgpr1
                                        ; implicit-def: $vgpr2
                                        ; implicit-def: $vgpr3
                                        ; implicit-def: $vgpr4
                                        ; implicit-def: $vgpr5
                                        ; implicit-def: $vgpr6
                                        ; implicit-def: $vgpr7
                                        ; implicit-def: $vgpr8
                                        ; implicit-def: $vgpr10
                                        ; implicit-def: $vgpr11
                                        ; implicit-def: $vgpr12
                                        ; implicit-def: $vgpr31
                                        ; implicit-def: $vgpr20
                                        ; implicit-def: $vgpr22
                                        ; implicit-def: $vgpr14
.LBB811_252:
	s_andn2_saveexec_b64 s[4:5], s[46:47]
	s_cbranch_execz .LBB811_372
; %bb.253:
	s_movk_i32 s4, 0x200
	v_cmp_lt_u32_e32 vcc, s4, v246
	s_and_saveexec_b64 s[4:5], vcc
	s_xor_b64 s[46:47], exec, s[4:5]
	s_cbranch_execz .LBB811_313
; %bb.254:
	s_load_dwordx2 s[4:5], s[8:9], 0x0
	v_mov_b32_e32 v9, 0
	v_lshlrev_b64 v[24:25], 3, v[8:9]
	v_and_b32_e32 v21, 0x3ff, v31
	v_add_co_u32_e32 v8, vcc, v0, v24
	s_waitcnt lgkmcnt(0)
	s_cmp_lt_u32 s13, s5
	s_cselect_b32 s5, 14, 20
	s_add_u32 s6, s8, s5
	s_addc_u32 s7, s9, 0
	s_cmp_lt_u32 s12, s4
	s_cselect_b32 s4, 12, 18
	s_add_u32 s4, s8, s4
	global_load_ushort v23, v9, s[6:7]
	s_addc_u32 s5, s9, 0
	global_load_ushort v29, v9, s[4:5]
	v_addc_co_u32_e32 v30, vcc, v1, v25, vcc
	v_mbcnt_hi_u32_b32 v26, -1, v14
	v_and_b32_e32 v27, 63, v26
	v_lshlrev_b32_e32 v28, 3, v27
	v_mov_b32_e32 v13, -1
	v_bfrev_b32_e32 v14, -2
	v_mov_b32_e32 v15, v13
	v_mov_b32_e32 v16, v14
	;; [unrolled: 1-line block ×5, first 2 shown]
	s_waitcnt vmcnt(0)
	v_mad_u32_u24 v0, v22, v23, v20
	v_add_co_u32_e32 v20, vcc, v8, v28
	v_mad_u64_u32 v[0:1], s[4:5], v0, v29, v[21:22]
	v_addc_co_u32_e32 v29, vcc, 0, v30, vcc
	v_lshlrev_b32_e32 v1, 2, v0
	v_and_b32_e32 v8, 0xffffff00, v1
	v_lshlrev_b64 v[22:23], 3, v[8:9]
	v_or_b32_e32 v1, v8, v27
	v_add_co_u32_e64 v8, s[4:5], v20, v22
	v_cmp_lt_u32_e32 vcc, v1, v246
	v_addc_co_u32_e64 v9, s[4:5], v29, v23, s[4:5]
	v_mov_b32_e32 v20, v14
	s_and_saveexec_b64 s[4:5], vcc
	s_cbranch_execz .LBB811_256
; %bb.255:
	flat_load_dwordx2 v[29:30], v[8:9]
	v_mov_b32_e32 v31, v13
	v_mov_b32_e32 v32, v14
	;; [unrolled: 1-line block ×6, first 2 shown]
	s_waitcnt vmcnt(0) lgkmcnt(0)
	v_mov_b32_e32 v13, v29
	v_mov_b32_e32 v14, v30
	;; [unrolled: 1-line block ×8, first 2 shown]
.LBB811_256:
	s_or_b64 exec, exec, s[4:5]
	v_or_b32_e32 v29, 64, v1
	v_cmp_lt_u32_e64 s[4:5], v29, v246
	s_and_saveexec_b64 s[6:7], s[4:5]
	s_cbranch_execz .LBB811_258
; %bb.257:
	flat_load_dwordx2 v[15:16], v[8:9] offset:512
.LBB811_258:
	s_or_b64 exec, exec, s[6:7]
	v_or_b32_e32 v29, 0x80, v1
	v_cmp_lt_u32_e64 s[6:7], v29, v246
	s_and_saveexec_b64 s[10:11], s[6:7]
	s_cbranch_execz .LBB811_260
; %bb.259:
	flat_load_dwordx2 v[17:18], v[8:9] offset:1024
.LBB811_260:
	;; [unrolled: 8-line block ×3, first 2 shown]
	s_or_b64 exec, exec, s[14:15]
	v_add_co_u32_e64 v1, s[14:15], v4, v24
	v_addc_co_u32_e64 v4, s[14:15], v5, v25, s[14:15]
	v_add_co_u32_e64 v1, s[14:15], v1, v28
	v_addc_co_u32_e64 v5, s[14:15], 0, v4, s[14:15]
	;; [unrolled: 2-line block ×3, first 2 shown]
                                        ; implicit-def: $vgpr38_vgpr39
	s_and_saveexec_b64 s[14:15], vcc
	s_cbranch_execnz .LBB811_337
; %bb.263:
	s_or_b64 exec, exec, s[14:15]
                                        ; implicit-def: $vgpr48_vgpr49
	s_and_saveexec_b64 s[14:15], s[4:5]
	s_cbranch_execnz .LBB811_338
.LBB811_264:
	s_or_b64 exec, exec, s[14:15]
                                        ; implicit-def: $vgpr50_vgpr51
	s_and_saveexec_b64 s[4:5], s[6:7]
	s_cbranch_execnz .LBB811_339
.LBB811_265:
	s_or_b64 exec, exec, s[4:5]
                                        ; implicit-def: $vgpr52_vgpr53
	s_and_saveexec_b64 s[4:5], s[10:11]
	s_cbranch_execz .LBB811_267
.LBB811_266:
	flat_load_dwordx2 v[52:53], v[4:5] offset:1536
.LBB811_267:
	s_or_b64 exec, exec, s[4:5]
	v_lshl_add_u32 v5, v21, 4, v12
	s_getpc_b64 s[4:5]
	s_add_u32 s4, s4, _ZN7rocprim17ROCPRIM_400000_NS16block_radix_sortIlLj256ELj4ElLj1ELj1ELj8ELNS0_26block_radix_rank_algorithmE2ELNS0_18block_padding_hintE2ELNS0_4arch9wavefront6targetE1EE19radix_bits_per_passE@rel32@lo+4
	s_addc_u32 s5, s5, _ZN7rocprim17ROCPRIM_400000_NS16block_radix_sortIlLj256ELj4ElLj1ELj1ELj8ELNS0_26block_radix_rank_algorithmE2ELNS0_18block_padding_hintE2ELNS0_4arch9wavefront6targetE1EE19radix_bits_per_passE@rel32@hi+12
	v_add_u32_e32 v1, 16, v5
	v_add_u32_e32 v54, 20, v5
	v_add_u32_e32 v55, 24, v5
	v_add_u32_e32 v64, 28, v5
	v_and_b32_e32 v5, 15, v26
	s_load_dword s62, s[4:5], 0x0
	v_cmp_eq_u32_e32 vcc, 0, v5
	v_cmp_lt_u32_e64 s[4:5], 1, v5
	v_cmp_lt_u32_e64 s[6:7], 3, v5
	;; [unrolled: 1-line block ×3, first 2 shown]
	v_and_b32_e32 v5, 16, v26
	v_cmp_eq_u32_e64 s[40:41], 0, v5
	v_and_b32_e32 v5, 0x3c0, v21
	v_min_u32_e32 v5, 0xc0, v5
	v_or_b32_e32 v5, 63, v5
	v_cmp_eq_u32_e64 s[16:17], v21, v5
	v_subrev_co_u32_e64 v5, s[22:23], 1, v26
	v_and_b32_e32 v8, 64, v26
	v_cmp_lt_i32_e64 s[24:25], v5, v8
	v_cndmask_b32_e64 v5, v5, v26, s[24:25]
	v_lshlrev_b32_e32 v4, 2, v21
	v_lshlrev_b32_e32 v66, 2, v5
	v_lshrrev_b32_e32 v5, 4, v21
	s_movk_i32 s42, 0xf00
	v_and_b32_e32 v5, 60, v5
	v_add_u32_e32 v68, v12, v4
	v_and_or_b32 v4, v4, s42, v27
	v_add_u32_e32 v67, v12, v5
	v_and_b32_e32 v8, 3, v26
	v_lshl_add_u32 v70, v4, 3, v12
	v_xor_b32_e32 v14, 0x80000000, v14
	s_waitcnt vmcnt(0) lgkmcnt(0)
	v_xor_b32_e32 v16, 0x80000000, v16
	v_xor_b32_e32 v18, 0x80000000, v18
	;; [unrolled: 1-line block ×3, first 2 shown]
	v_lshrrev_b32_e32 v65, 6, v0
	v_cmp_lt_u32_e64 s[14:15], 31, v26
	v_cmp_gt_u32_e64 s[18:19], 4, v21
	v_cmp_lt_u32_e64 s[20:21], 63, v21
	v_cmp_eq_u32_e64 s[24:25], 0, v21
	v_mov_b32_e32 v5, 0
	v_cmp_eq_u32_e64 s[26:27], 0, v8
	v_cmp_lt_u32_e64 s[28:29], 1, v8
	v_add_u32_e32 v69, -4, v67
	v_add_u32_e32 v71, 0x200, v70
	v_add_u32_e32 v80, 0x400, v70
	;; [unrolled: 1-line block ×3, first 2 shown]
	v_sub_u32_e32 v82, v11, v10
	s_mov_b64 s[56:57], 0
	s_barrier
	s_branch .LBB811_269
.LBB811_268:                            ;   in Loop: Header=BB811_269 Depth=1
	s_or_b64 exec, exec, s[44:45]
	s_and_b64 s[42:43], exec, s[60:61]
	s_or_b64 s[56:57], s[42:43], s[56:57]
	s_andn2_b64 exec, exec, s[56:57]
	s_cbranch_execz .LBB811_299
.LBB811_269:                            ; =>This Inner Loop Header: Depth=1
	v_mov_b32_e32 v37, v14
	v_mov_b32_e32 v36, v13
	v_min_u32_e32 v4, s62, v82
	v_mov_b32_e32 v23, v20
	v_lshlrev_b32_e64 v4, v4, -1
	v_lshrrev_b64 v[13:14], v10, v[36:37]
	v_mov_b32_e32 v22, v19
	v_mov_b32_e32 v35, v16
	v_not_b32_e32 v19, v4
	v_mov_b32_e32 v34, v15
	v_and_b32_e32 v15, v13, v19
	v_lshl_add_u32 v4, v15, 2, v65
	v_lshlrev_b64 v[13:14], 2, v[4:5]
	v_mov_b32_e32 v33, v18
	v_add_co_u32_e64 v4, s[42:43], v12, v13
	v_add_co_u32_e64 v4, s[42:43], 16, v4
	v_and_b32_e32 v13, 1, v15
	v_add_co_u32_e64 v14, s[42:43], -1, v13
	v_addc_co_u32_e64 v16, s[42:43], 0, -1, s[42:43]
	v_cmp_ne_u32_e64 s[42:43], 0, v13
	v_xor_b32_e32 v13, s43, v16
	v_xor_b32_e32 v14, s42, v14
	v_mov_b32_e32 v32, v17
	v_and_b32_e32 v16, exec_hi, v13
	v_and_b32_e32 v17, exec_lo, v14
	v_lshlrev_b32_e32 v14, 30, v15
	v_mov_b32_e32 v13, v5
	v_cmp_gt_i64_e64 s[42:43], 0, v[13:14]
	v_not_b32_e32 v13, v14
	v_ashrrev_i32_e32 v13, 31, v13
	v_xor_b32_e32 v14, s43, v13
	v_xor_b32_e32 v13, s42, v13
	v_and_b32_e32 v16, v16, v14
	v_and_b32_e32 v17, v17, v13
	v_lshlrev_b32_e32 v14, 29, v15
	v_mov_b32_e32 v13, v5
	v_cmp_gt_i64_e64 s[42:43], 0, v[13:14]
	v_not_b32_e32 v13, v14
	v_ashrrev_i32_e32 v13, 31, v13
	v_xor_b32_e32 v14, s43, v13
	v_xor_b32_e32 v13, s42, v13
	v_and_b32_e32 v16, v16, v14
	v_and_b32_e32 v17, v17, v13
	;; [unrolled: 9-line block ×7, first 2 shown]
	v_mbcnt_lo_u32_b32 v15, v13, 0
	v_mbcnt_hi_u32_b32 v15, v14, v15
	v_cmp_ne_u64_e64 s[42:43], 0, v[13:14]
	v_mov_b32_e32 v30, v38
	v_mov_b32_e32 v28, v48
	;; [unrolled: 1-line block ×4, first 2 shown]
	v_cmp_eq_u32_e64 s[44:45], 0, v15
	v_mov_b32_e32 v31, v39
	v_mov_b32_e32 v29, v49
	;; [unrolled: 1-line block ×4, first 2 shown]
	s_and_b64 s[44:45], s[42:43], s[44:45]
	ds_write_b32 v1, v5
	ds_write_b32 v54, v5
	;; [unrolled: 1-line block ×4, first 2 shown]
	s_waitcnt lgkmcnt(0)
	s_barrier
	; wave barrier
	s_and_saveexec_b64 s[42:43], s[44:45]
; %bb.270:                              ;   in Loop: Header=BB811_269 Depth=1
	v_bcnt_u32_b32 v13, v13, 0
	v_bcnt_u32_b32 v13, v14, v13
	ds_write_b32 v4, v13
; %bb.271:                              ;   in Loop: Header=BB811_269 Depth=1
	s_or_b64 exec, exec, s[42:43]
	v_lshrrev_b64 v[13:14], v10, v[34:35]
	v_and_b32_e32 v18, v13, v19
	v_lshl_add_u32 v13, v18, 2, v65
	v_lshl_add_u32 v13, v13, 2, v12
	; wave barrier
	v_add_u32_e32 v17, 16, v13
	ds_read_b32 v16, v13 offset:16
	v_and_b32_e32 v13, 1, v18
	v_add_co_u32_e64 v14, s[42:43], -1, v13
	v_addc_co_u32_e64 v20, s[42:43], 0, -1, s[42:43]
	v_cmp_ne_u32_e64 s[42:43], 0, v13
	v_xor_b32_e32 v13, s43, v20
	v_xor_b32_e32 v14, s42, v14
	v_and_b32_e32 v20, exec_hi, v13
	v_and_b32_e32 v38, exec_lo, v14
	v_lshlrev_b32_e32 v14, 30, v18
	v_mov_b32_e32 v13, v5
	v_cmp_gt_i64_e64 s[42:43], 0, v[13:14]
	v_not_b32_e32 v13, v14
	v_ashrrev_i32_e32 v13, 31, v13
	v_xor_b32_e32 v14, s43, v13
	v_xor_b32_e32 v13, s42, v13
	v_and_b32_e32 v20, v20, v14
	v_and_b32_e32 v38, v38, v13
	v_lshlrev_b32_e32 v14, 29, v18
	v_mov_b32_e32 v13, v5
	v_cmp_gt_i64_e64 s[42:43], 0, v[13:14]
	v_not_b32_e32 v13, v14
	v_ashrrev_i32_e32 v13, 31, v13
	v_xor_b32_e32 v14, s43, v13
	v_xor_b32_e32 v13, s42, v13
	v_and_b32_e32 v20, v20, v14
	v_and_b32_e32 v38, v38, v13
	;; [unrolled: 9-line block ×7, first 2 shown]
	v_mbcnt_lo_u32_b32 v18, v13, 0
	v_mbcnt_hi_u32_b32 v18, v14, v18
	v_cmp_ne_u64_e64 s[42:43], 0, v[13:14]
	v_cmp_eq_u32_e64 s[44:45], 0, v18
	s_and_b64 s[44:45], s[42:43], s[44:45]
	; wave barrier
	s_and_saveexec_b64 s[42:43], s[44:45]
	s_cbranch_execz .LBB811_273
; %bb.272:                              ;   in Loop: Header=BB811_269 Depth=1
	v_bcnt_u32_b32 v13, v13, 0
	v_bcnt_u32_b32 v13, v14, v13
	s_waitcnt lgkmcnt(0)
	v_add_u32_e32 v13, v16, v13
	ds_write_b32 v17, v13
.LBB811_273:                            ;   in Loop: Header=BB811_269 Depth=1
	s_or_b64 exec, exec, s[42:43]
	v_lshrrev_b64 v[13:14], v10, v[32:33]
	v_and_b32_e32 v39, v13, v19
	v_lshl_add_u32 v13, v39, 2, v65
	v_lshl_add_u32 v13, v13, 2, v12
	; wave barrier
	v_add_u32_e32 v38, 16, v13
	ds_read_b32 v20, v13 offset:16
	v_and_b32_e32 v13, 1, v39
	v_add_co_u32_e64 v14, s[42:43], -1, v13
	v_addc_co_u32_e64 v48, s[42:43], 0, -1, s[42:43]
	v_cmp_ne_u32_e64 s[42:43], 0, v13
	v_xor_b32_e32 v13, s43, v48
	v_xor_b32_e32 v14, s42, v14
	v_and_b32_e32 v48, exec_hi, v13
	v_and_b32_e32 v49, exec_lo, v14
	v_lshlrev_b32_e32 v14, 30, v39
	v_mov_b32_e32 v13, v5
	v_cmp_gt_i64_e64 s[42:43], 0, v[13:14]
	v_not_b32_e32 v13, v14
	v_ashrrev_i32_e32 v13, 31, v13
	v_xor_b32_e32 v14, s43, v13
	v_xor_b32_e32 v13, s42, v13
	v_and_b32_e32 v48, v48, v14
	v_and_b32_e32 v49, v49, v13
	v_lshlrev_b32_e32 v14, 29, v39
	v_mov_b32_e32 v13, v5
	v_cmp_gt_i64_e64 s[42:43], 0, v[13:14]
	v_not_b32_e32 v13, v14
	v_ashrrev_i32_e32 v13, 31, v13
	v_xor_b32_e32 v14, s43, v13
	v_xor_b32_e32 v13, s42, v13
	v_and_b32_e32 v48, v48, v14
	v_and_b32_e32 v49, v49, v13
	;; [unrolled: 9-line block ×7, first 2 shown]
	v_mbcnt_lo_u32_b32 v39, v13, 0
	v_mbcnt_hi_u32_b32 v39, v14, v39
	v_cmp_ne_u64_e64 s[42:43], 0, v[13:14]
	v_cmp_eq_u32_e64 s[44:45], 0, v39
	s_and_b64 s[44:45], s[42:43], s[44:45]
	; wave barrier
	s_and_saveexec_b64 s[42:43], s[44:45]
	s_cbranch_execz .LBB811_275
; %bb.274:                              ;   in Loop: Header=BB811_269 Depth=1
	v_bcnt_u32_b32 v13, v13, 0
	v_bcnt_u32_b32 v13, v14, v13
	s_waitcnt lgkmcnt(0)
	v_add_u32_e32 v13, v20, v13
	ds_write_b32 v38, v13
.LBB811_275:                            ;   in Loop: Header=BB811_269 Depth=1
	s_or_b64 exec, exec, s[42:43]
	v_lshrrev_b64 v[13:14], v10, v[22:23]
	v_and_b32_e32 v49, v13, v19
	v_lshl_add_u32 v13, v49, 2, v65
	v_lshl_add_u32 v13, v13, 2, v12
	; wave barrier
	v_add_u32_e32 v48, 16, v13
	ds_read_b32 v19, v13 offset:16
	v_and_b32_e32 v13, 1, v49
	v_add_co_u32_e64 v14, s[42:43], -1, v13
	v_addc_co_u32_e64 v50, s[42:43], 0, -1, s[42:43]
	v_cmp_ne_u32_e64 s[42:43], 0, v13
	v_xor_b32_e32 v13, s43, v50
	v_xor_b32_e32 v14, s42, v14
	v_and_b32_e32 v50, exec_hi, v13
	v_and_b32_e32 v51, exec_lo, v14
	v_lshlrev_b32_e32 v14, 30, v49
	v_mov_b32_e32 v13, v5
	v_cmp_gt_i64_e64 s[42:43], 0, v[13:14]
	v_not_b32_e32 v13, v14
	v_ashrrev_i32_e32 v13, 31, v13
	v_xor_b32_e32 v14, s43, v13
	v_xor_b32_e32 v13, s42, v13
	v_and_b32_e32 v50, v50, v14
	v_and_b32_e32 v51, v51, v13
	v_lshlrev_b32_e32 v14, 29, v49
	v_mov_b32_e32 v13, v5
	v_cmp_gt_i64_e64 s[42:43], 0, v[13:14]
	v_not_b32_e32 v13, v14
	v_ashrrev_i32_e32 v13, 31, v13
	v_xor_b32_e32 v14, s43, v13
	v_xor_b32_e32 v13, s42, v13
	v_and_b32_e32 v50, v50, v14
	v_and_b32_e32 v51, v51, v13
	;; [unrolled: 9-line block ×7, first 2 shown]
	v_mbcnt_lo_u32_b32 v49, v13, 0
	v_mbcnt_hi_u32_b32 v49, v14, v49
	v_cmp_ne_u64_e64 s[42:43], 0, v[13:14]
	v_cmp_eq_u32_e64 s[44:45], 0, v49
	s_and_b64 s[44:45], s[42:43], s[44:45]
	; wave barrier
	s_and_saveexec_b64 s[42:43], s[44:45]
	s_cbranch_execz .LBB811_277
; %bb.276:                              ;   in Loop: Header=BB811_269 Depth=1
	v_bcnt_u32_b32 v13, v13, 0
	v_bcnt_u32_b32 v13, v14, v13
	s_waitcnt lgkmcnt(0)
	v_add_u32_e32 v13, v19, v13
	ds_write_b32 v48, v13
.LBB811_277:                            ;   in Loop: Header=BB811_269 Depth=1
	s_or_b64 exec, exec, s[42:43]
	; wave barrier
	s_waitcnt lgkmcnt(0)
	s_barrier
	ds_read_b32 v50, v1
	ds_read_b32 v14, v54
	ds_read_b32 v13, v55
	ds_read_b32 v51, v64
	s_waitcnt lgkmcnt(2)
	v_add_u32_e32 v52, v14, v50
	s_waitcnt lgkmcnt(0)
	v_add3_u32 v51, v52, v13, v51
	s_nop 1
	v_mov_b32_dpp v52, v51 row_shr:1 row_mask:0xf bank_mask:0xf
	v_cndmask_b32_e64 v52, v52, 0, vcc
	v_add_u32_e32 v51, v52, v51
	s_nop 1
	v_mov_b32_dpp v52, v51 row_shr:2 row_mask:0xf bank_mask:0xf
	v_cndmask_b32_e64 v52, 0, v52, s[4:5]
	v_add_u32_e32 v51, v51, v52
	s_nop 1
	v_mov_b32_dpp v52, v51 row_shr:4 row_mask:0xf bank_mask:0xf
	v_cndmask_b32_e64 v52, 0, v52, s[6:7]
	;; [unrolled: 4-line block ×3, first 2 shown]
	v_add_u32_e32 v51, v51, v52
	s_nop 1
	v_mov_b32_dpp v52, v51 row_bcast:15 row_mask:0xf bank_mask:0xf
	v_cndmask_b32_e64 v52, v52, 0, s[40:41]
	v_add_u32_e32 v51, v51, v52
	s_nop 1
	v_mov_b32_dpp v52, v51 row_bcast:31 row_mask:0xf bank_mask:0xf
	v_cndmask_b32_e64 v52, 0, v52, s[14:15]
	v_add_u32_e32 v51, v51, v52
	s_and_saveexec_b64 s[42:43], s[16:17]
; %bb.278:                              ;   in Loop: Header=BB811_269 Depth=1
	ds_write_b32 v67, v51
; %bb.279:                              ;   in Loop: Header=BB811_269 Depth=1
	s_or_b64 exec, exec, s[42:43]
	s_waitcnt lgkmcnt(0)
	s_barrier
	s_and_saveexec_b64 s[42:43], s[18:19]
	s_cbranch_execz .LBB811_281
; %bb.280:                              ;   in Loop: Header=BB811_269 Depth=1
	ds_read_b32 v52, v68
	s_waitcnt lgkmcnt(0)
	s_nop 0
	v_mov_b32_dpp v53, v52 row_shr:1 row_mask:0xf bank_mask:0xf
	v_cndmask_b32_e64 v53, v53, 0, s[26:27]
	v_add_u32_e32 v52, v53, v52
	s_nop 1
	v_mov_b32_dpp v53, v52 row_shr:2 row_mask:0xf bank_mask:0xf
	v_cndmask_b32_e64 v53, 0, v53, s[28:29]
	v_add_u32_e32 v52, v52, v53
	ds_write_b32 v68, v52
.LBB811_281:                            ;   in Loop: Header=BB811_269 Depth=1
	s_or_b64 exec, exec, s[42:43]
	v_mov_b32_e32 v52, 0
	s_waitcnt lgkmcnt(0)
	s_barrier
	s_and_saveexec_b64 s[42:43], s[20:21]
; %bb.282:                              ;   in Loop: Header=BB811_269 Depth=1
	ds_read_b32 v52, v69
; %bb.283:                              ;   in Loop: Header=BB811_269 Depth=1
	s_or_b64 exec, exec, s[42:43]
	s_waitcnt lgkmcnt(0)
	v_add_u32_e32 v51, v52, v51
	ds_bpermute_b32 v51, v66, v51
	v_add_u32_e32 v10, 8, v10
	v_cmp_lt_u32_e64 s[42:43], v10, v11
	s_mov_b64 s[60:61], -1
	s_waitcnt lgkmcnt(0)
	v_cndmask_b32_e64 v51, v51, v52, s[22:23]
	v_cndmask_b32_e64 v51, v51, 0, s[24:25]
	v_add_u32_e32 v50, v51, v50
	v_add_u32_e32 v14, v50, v14
	;; [unrolled: 1-line block ×3, first 2 shown]
	ds_write_b32 v1, v51
	ds_write_b32 v54, v50
	;; [unrolled: 1-line block ×4, first 2 shown]
	s_waitcnt lgkmcnt(0)
	s_barrier
	ds_read_b32 v4, v4
	ds_read_b32 v13, v17
	;; [unrolled: 1-line block ×4, first 2 shown]
	s_waitcnt lgkmcnt(0)
	v_add_u32_e32 v4, v4, v15
	v_add3_u32 v13, v18, v16, v13
	v_add3_u32 v15, v39, v20, v14
	v_mov_b32_e32 v14, v5
	v_lshlrev_b64 v[13:14], 3, v[13:14]
	v_add3_u32 v17, v49, v19, v17
	v_lshlrev_b64 v[18:19], 3, v[4:5]
	v_mov_b32_e32 v16, v5
	v_add_co_u32_e64 v83, s[44:45], v12, v13
	v_lshlrev_b64 v[13:14], 3, v[15:16]
	v_add_co_u32_e64 v4, s[44:45], v12, v18
	v_mov_b32_e32 v18, v5
	v_add_co_u32_e64 v84, s[44:45], v12, v13
	v_lshlrev_b64 v[13:14], 3, v[17:18]
                                        ; implicit-def: $vgpr38_vgpr39
                                        ; implicit-def: $vgpr48_vgpr49
                                        ; implicit-def: $vgpr50_vgpr51
                                        ; implicit-def: $vgpr52_vgpr53
	v_add_co_u32_e64 v85, s[44:45], v12, v13
                                        ; implicit-def: $vgpr19_vgpr20
	s_and_saveexec_b64 s[44:45], s[42:43]
	s_cbranch_execz .LBB811_268
; %bb.284:                              ;   in Loop: Header=BB811_269 Depth=1
	s_barrier
	ds_write_b64 v4, v[36:37]
	ds_write_b64 v83, v[34:35]
	;; [unrolled: 1-line block ×4, first 2 shown]
	s_waitcnt lgkmcnt(0)
	s_barrier
	ds_read_b64 v[13:14], v70
	ds_read_b64 v[15:16], v71
	;; [unrolled: 1-line block ×4, first 2 shown]
	s_waitcnt lgkmcnt(0)
	s_barrier
	ds_write_b64 v4, v[30:31]
	ds_write_b64 v83, v[28:29]
	;; [unrolled: 1-line block ×4, first 2 shown]
	s_waitcnt lgkmcnt(0)
	s_barrier
	ds_read_b64 v[38:39], v70
	ds_read_b64 v[48:49], v71
	;; [unrolled: 1-line block ×4, first 2 shown]
	v_add_u32_e32 v82, -8, v82
	s_xor_b64 s[60:61], exec, -1
	s_waitcnt lgkmcnt(0)
	s_barrier
	s_branch .LBB811_268
.LBB811_285:
	flat_load_dwordx2 v[86:87], v[4:5]
	s_or_b64 exec, exec, s[22:23]
                                        ; implicit-def: $vgpr96_vgpr97
	s_and_saveexec_b64 s[22:23], s[4:5]
	s_cbranch_execz .LBB811_163
.LBB811_286:
	flat_load_dwordx2 v[96:97], v[4:5] offset:512
	s_or_b64 exec, exec, s[22:23]
                                        ; implicit-def: $vgpr98_vgpr99
	s_and_saveexec_b64 s[4:5], s[6:7]
	s_cbranch_execz .LBB811_164
.LBB811_287:
	flat_load_dwordx2 v[98:99], v[4:5] offset:1024
	s_or_b64 exec, exec, s[4:5]
                                        ; implicit-def: $vgpr100_vgpr101
	s_and_saveexec_b64 s[4:5], s[10:11]
	s_cbranch_execz .LBB811_165
.LBB811_288:
	flat_load_dwordx2 v[100:101], v[4:5] offset:1536
	s_or_b64 exec, exec, s[4:5]
                                        ; implicit-def: $vgpr102_vgpr103
	s_and_saveexec_b64 s[4:5], s[20:21]
	s_cbranch_execz .LBB811_166
.LBB811_289:
	flat_load_dwordx2 v[102:103], v[4:5] offset:2048
	s_or_b64 exec, exec, s[4:5]
                                        ; implicit-def: $vgpr112_vgpr113
	s_and_saveexec_b64 s[4:5], s[14:15]
	s_cbranch_execz .LBB811_167
.LBB811_290:
	flat_load_dwordx2 v[112:113], v[4:5] offset:2560
	s_or_b64 exec, exec, s[4:5]
                                        ; implicit-def: $vgpr114_vgpr115
	s_and_saveexec_b64 s[4:5], s[16:17]
	s_cbranch_execz .LBB811_168
.LBB811_291:
	flat_load_dwordx2 v[114:115], v[4:5] offset:3072
	s_or_b64 exec, exec, s[4:5]
                                        ; implicit-def: $vgpr116_vgpr117
	s_and_saveexec_b64 s[4:5], s[18:19]
	s_cbranch_execnz .LBB811_169
	s_branch .LBB811_170
.LBB811_292:
	flat_store_dwordx2 v[0:1], v[20:21]
	s_or_b64 exec, exec, s[24:25]
	s_and_saveexec_b64 s[4:5], s[6:7]
	s_cbranch_execz .LBB811_244
.LBB811_293:
	flat_store_dwordx2 v[0:1], v[22:23] offset:2048
	s_or_b64 exec, exec, s[4:5]
	s_and_saveexec_b64 s[4:5], s[10:11]
	s_cbranch_execz .LBB811_245
.LBB811_294:
	v_add_co_u32_e32 v2, vcc, 0x1000, v0
	v_addc_co_u32_e32 v3, vcc, 0, v1, vcc
	flat_store_dwordx2 v[2:3], v[16:17]
	s_or_b64 exec, exec, s[4:5]
	s_and_saveexec_b64 s[4:5], s[22:23]
	s_cbranch_execz .LBB811_246
.LBB811_295:
	v_add_co_u32_e32 v2, vcc, 0x1000, v0
	v_addc_co_u32_e32 v3, vcc, 0, v1, vcc
	flat_store_dwordx2 v[2:3], v[18:19] offset:2048
	s_or_b64 exec, exec, s[4:5]
	s_and_saveexec_b64 s[4:5], s[14:15]
	s_cbranch_execz .LBB811_247
.LBB811_296:
	v_add_co_u32_e32 v2, vcc, 0x2000, v0
	v_addc_co_u32_e32 v3, vcc, 0, v1, vcc
	flat_store_dwordx2 v[2:3], v[12:13]
	s_or_b64 exec, exec, s[4:5]
	s_and_saveexec_b64 s[4:5], s[16:17]
	s_cbranch_execz .LBB811_248
.LBB811_297:
	v_add_co_u32_e32 v2, vcc, 0x2000, v0
	v_addc_co_u32_e32 v3, vcc, 0, v1, vcc
	flat_store_dwordx2 v[2:3], v[14:15] offset:2048
	s_or_b64 exec, exec, s[4:5]
	s_and_saveexec_b64 s[4:5], s[18:19]
	s_cbranch_execz .LBB811_249
.LBB811_298:
	v_add_co_u32_e32 v2, vcc, 0x3000, v0
	v_addc_co_u32_e32 v3, vcc, 0, v1, vcc
	flat_store_dwordx2 v[2:3], v[8:9]
	s_or_b64 exec, exec, s[4:5]
	s_and_saveexec_b64 s[4:5], s[20:21]
	s_cbranch_execnz .LBB811_250
	s_branch .LBB811_251
.LBB811_299:
	s_or_b64 exec, exec, s[56:57]
	v_lshl_add_u32 v1, v21, 3, v12
	s_barrier
	ds_write_b64 v4, v[36:37]
	ds_write_b64 v83, v[34:35]
	;; [unrolled: 1-line block ×4, first 2 shown]
	s_waitcnt lgkmcnt(0)
	s_barrier
	ds_read2st64_b64 v[20:23], v1 offset1:4
	ds_read2st64_b64 v[16:19], v1 offset0:8 offset1:12
	s_waitcnt lgkmcnt(0)
	s_barrier
	ds_write_b64 v4, v[30:31]
	ds_write_b64 v83, v[28:29]
	ds_write_b64 v84, v[26:27]
	ds_write_b64 v85, v[8:9]
	s_waitcnt lgkmcnt(0)
	s_barrier
	ds_read2st64_b64 v[12:15], v1 offset1:4
	ds_read2st64_b64 v[8:11], v1 offset0:8 offset1:12
	v_mov_b32_e32 v1, 0
	v_add_co_u32_e32 v4, vcc, v2, v24
	v_lshlrev_b64 v[1:2], 3, v[0:1]
	v_addc_co_u32_e32 v5, vcc, v3, v25, vcc
	v_add_co_u32_e32 v3, vcc, v4, v1
	v_addc_co_u32_e32 v4, vcc, v5, v2, vcc
	v_cmp_lt_u32_e64 s[4:5], v0, v246
	s_waitcnt lgkmcnt(0)
	s_barrier
	s_and_saveexec_b64 s[6:7], s[4:5]
	s_cbranch_execz .LBB811_301
; %bb.300:
	v_xor_b32_e32 v21, 0x80000000, v21
	flat_store_dwordx2 v[3:4], v[20:21]
.LBB811_301:
	s_or_b64 exec, exec, s[6:7]
	v_add_u32_e32 v5, 0x100, v0
	v_cmp_lt_u32_e64 s[6:7], v5, v246
	s_and_saveexec_b64 s[10:11], s[6:7]
	s_cbranch_execz .LBB811_303
; %bb.302:
	v_xor_b32_e32 v23, 0x80000000, v23
	flat_store_dwordx2 v[3:4], v[22:23] offset:2048
.LBB811_303:
	s_or_b64 exec, exec, s[10:11]
	v_add_u32_e32 v5, 0x200, v0
	v_cmp_lt_u32_e64 s[10:11], v5, v246
	s_and_saveexec_b64 s[14:15], s[10:11]
	s_cbranch_execz .LBB811_305
; %bb.304:
	v_add_co_u32_e32 v20, vcc, 0x1000, v3
	v_xor_b32_e32 v17, 0x80000000, v17
	v_addc_co_u32_e32 v21, vcc, 0, v4, vcc
	flat_store_dwordx2 v[20:21], v[16:17]
.LBB811_305:
	s_or_b64 exec, exec, s[14:15]
	v_add_u32_e32 v0, 0x300, v0
	v_cmp_lt_u32_e64 s[14:15], v0, v246
	s_and_saveexec_b64 s[16:17], s[14:15]
	s_cbranch_execz .LBB811_307
; %bb.306:
	v_add_co_u32_e32 v3, vcc, 0x1000, v3
	v_xor_b32_e32 v19, 0x80000000, v19
	v_addc_co_u32_e32 v4, vcc, 0, v4, vcc
	flat_store_dwordx2 v[3:4], v[18:19] offset:2048
.LBB811_307:
	s_or_b64 exec, exec, s[16:17]
	v_add_co_u32_e32 v0, vcc, v6, v24
	v_addc_co_u32_e32 v3, vcc, v7, v25, vcc
	v_add_co_u32_e32 v0, vcc, v0, v1
	v_addc_co_u32_e32 v1, vcc, v3, v2, vcc
	s_and_saveexec_b64 s[16:17], s[4:5]
	s_cbranch_execnz .LBB811_340
; %bb.308:
	s_or_b64 exec, exec, s[16:17]
	s_and_saveexec_b64 s[4:5], s[6:7]
	s_cbranch_execnz .LBB811_341
.LBB811_309:
	s_or_b64 exec, exec, s[4:5]
	s_and_saveexec_b64 s[4:5], s[10:11]
	s_cbranch_execnz .LBB811_342
.LBB811_310:
	s_or_b64 exec, exec, s[4:5]
	s_and_saveexec_b64 s[4:5], s[14:15]
	s_cbranch_execz .LBB811_312
.LBB811_311:
	v_add_co_u32_e32 v0, vcc, 0x1000, v0
	v_addc_co_u32_e32 v1, vcc, 0, v1, vcc
	flat_store_dwordx2 v[0:1], v[10:11] offset:2048
.LBB811_312:
	s_or_b64 exec, exec, s[4:5]
                                        ; implicit-def: $vgpr246
                                        ; implicit-def: $vgpr0
                                        ; implicit-def: $vgpr1
                                        ; implicit-def: $vgpr2
                                        ; implicit-def: $vgpr3
                                        ; implicit-def: $vgpr4
                                        ; implicit-def: $vgpr5
                                        ; implicit-def: $vgpr6
                                        ; implicit-def: $vgpr7
                                        ; implicit-def: $vgpr8
                                        ; implicit-def: $vgpr10
                                        ; implicit-def: $vgpr11
                                        ; implicit-def: $vgpr12
                                        ; implicit-def: $vgpr31
                                        ; implicit-def: $vgpr20
                                        ; implicit-def: $vgpr22
                                        ; implicit-def: $vgpr14
.LBB811_313:
	s_andn2_saveexec_b64 s[4:5], s[46:47]
	s_cbranch_execz .LBB811_372
; %bb.314:
	s_load_dwordx2 s[4:5], s[8:9], 0x0
	v_mov_b32_e32 v9, 0
	v_and_b32_e32 v21, 0x3ff, v31
	v_lshlrev_b64 v[17:18], 3, v[8:9]
	s_waitcnt lgkmcnt(0)
	s_cmp_lt_u32 s13, s5
	s_cselect_b32 s5, 14, 20
	s_add_u32 s6, s8, s5
	s_addc_u32 s7, s9, 0
	s_cmp_lt_u32 s12, s4
	s_cselect_b32 s4, 12, 18
	s_add_u32 s4, s8, s4
	global_load_ushort v13, v9, s[6:7]
	s_addc_u32 s5, s9, 0
	global_load_ushort v15, v9, s[4:5]
	s_waitcnt vmcnt(0)
	v_mad_u32_u24 v13, v22, v13, v20
	v_mad_u64_u32 v[19:20], s[4:5], v13, v15, v[21:22]
	s_movk_i32 s4, 0x100
	v_cmp_lt_u32_e32 vcc, s4, v246
	s_and_saveexec_b64 s[4:5], vcc
	s_xor_b64 s[42:43], exec, s[4:5]
	s_cbranch_execz .LBB811_352
; %bb.315:
	v_mbcnt_hi_u32_b32 v25, -1, v14
	v_add_co_u32_e32 v0, vcc, v0, v17
	v_and_b32_e32 v24, 63, v25
	v_addc_co_u32_e32 v1, vcc, v1, v18, vcc
	v_lshlrev_b32_e32 v8, 1, v19
	v_lshlrev_b32_e32 v20, 3, v24
	v_and_b32_e32 v8, 0xffffff80, v8
	v_add_co_u32_e32 v13, vcc, v0, v20
	v_addc_co_u32_e32 v14, vcc, 0, v1, vcc
	v_lshlrev_b64 v[0:1], 3, v[8:9]
	v_or_b32_e32 v8, v24, v8
	v_add_co_u32_e32 v22, vcc, v13, v0
	v_addc_co_u32_e32 v23, vcc, v14, v1, vcc
	v_mov_b32_e32 v13, -1
	v_bfrev_b32_e32 v14, -2
	v_cmp_lt_u32_e32 vcc, v8, v246
	v_mov_b32_e32 v15, v13
	v_mov_b32_e32 v16, v14
	s_and_saveexec_b64 s[4:5], vcc
	s_cbranch_execz .LBB811_317
; %bb.316:
	flat_load_dwordx2 v[26:27], v[22:23]
	v_mov_b32_e32 v28, v13
	v_mov_b32_e32 v29, v14
	s_waitcnt vmcnt(0) lgkmcnt(0)
	v_mov_b32_e32 v13, v26
	v_mov_b32_e32 v14, v27
	;; [unrolled: 1-line block ×4, first 2 shown]
.LBB811_317:
	s_or_b64 exec, exec, s[4:5]
	v_or_b32_e32 v8, 64, v8
	v_cmp_lt_u32_e64 s[4:5], v8, v246
	s_and_saveexec_b64 s[6:7], s[4:5]
	s_cbranch_execz .LBB811_319
; %bb.318:
	flat_load_dwordx2 v[15:16], v[22:23] offset:512
.LBB811_319:
	s_or_b64 exec, exec, s[6:7]
	v_add_co_u32_e64 v4, s[6:7], v4, v17
	v_addc_co_u32_e64 v5, s[6:7], v5, v18, s[6:7]
	v_add_co_u32_e64 v4, s[6:7], v4, v20
	v_addc_co_u32_e64 v5, s[6:7], 0, v5, s[6:7]
	v_mov_b32_e32 v28, 0
	v_mov_b32_e32 v26, 0
	v_add_co_u32_e64 v0, s[6:7], v4, v0
	v_mov_b32_e32 v29, 0
	v_mov_b32_e32 v27, 0
	v_addc_co_u32_e64 v1, s[6:7], v5, v1, s[6:7]
	s_and_saveexec_b64 s[6:7], vcc
	s_cbranch_execz .LBB811_321
; %bb.320:
	flat_load_dwordx2 v[26:27], v[0:1]
.LBB811_321:
	s_or_b64 exec, exec, s[6:7]
	s_and_saveexec_b64 s[6:7], s[4:5]
	s_cbranch_execz .LBB811_323
; %bb.322:
	flat_load_dwordx2 v[28:29], v[0:1] offset:512
.LBB811_323:
	s_or_b64 exec, exec, s[6:7]
	v_lshl_add_u32 v0, v21, 4, v12
	s_getpc_b64 s[4:5]
	s_add_u32 s4, s4, _ZN7rocprim17ROCPRIM_400000_NS16block_radix_sortIlLj256ELj2ElLj1ELj1ELj8ELNS0_26block_radix_rank_algorithmE2ELNS0_18block_padding_hintE2ELNS0_4arch9wavefront6targetE1EE19radix_bits_per_passE@rel32@lo+4
	s_addc_u32 s5, s5, _ZN7rocprim17ROCPRIM_400000_NS16block_radix_sortIlLj256ELj2ElLj1ELj1ELj8ELNS0_26block_radix_rank_algorithmE2ELNS0_18block_padding_hintE2ELNS0_4arch9wavefront6targetE1EE19radix_bits_per_passE@rel32@hi+12
	v_add_u32_e32 v20, 16, v0
	v_add_u32_e32 v30, 20, v0
	v_add_u32_e32 v31, 24, v0
	v_add_u32_e32 v32, 28, v0
	v_and_b32_e32 v0, 15, v25
	s_load_dword s56, s[4:5], 0x0
	v_cmp_eq_u32_e32 vcc, 0, v0
	v_cmp_lt_u32_e64 s[4:5], 1, v0
	v_cmp_lt_u32_e64 s[6:7], 3, v0
	;; [unrolled: 1-line block ×3, first 2 shown]
	v_and_b32_e32 v0, 16, v25
	v_cmp_eq_u32_e64 s[10:11], 0, v0
	v_and_b32_e32 v0, 0x3c0, v21
	v_min_u32_e32 v0, 0xc0, v0
	v_or_b32_e32 v0, 63, v0
	v_cmp_eq_u32_e64 s[14:15], v21, v0
	v_subrev_co_u32_e64 v0, s[20:21], 1, v25
	v_and_b32_e32 v1, 64, v25
	v_cmp_lt_i32_e64 s[22:23], v0, v1
	v_cndmask_b32_e64 v0, v0, v25, s[22:23]
	v_lshlrev_b32_e32 v34, 2, v0
	v_lshrrev_b32_e32 v0, 4, v21
	v_and_b32_e32 v0, 60, v0
	v_add_u32_e32 v35, v12, v0
	v_and_b32_e32 v0, 3, v25
	v_cmp_eq_u32_e64 s[24:25], 0, v0
	v_cmp_lt_u32_e64 s[26:27], 1, v0
	v_lshlrev_b32_e32 v0, 1, v21
	s_movk_i32 s28, 0x780
	v_and_or_b32 v0, v0, s28, v24
	v_lshl_add_u32 v38, v0, 3, v12
	v_xor_b32_e32 v14, 0x80000000, v14
	s_waitcnt vmcnt(0) lgkmcnt(0)
	v_xor_b32_e32 v16, 0x80000000, v16
	v_lshrrev_b32_e32 v33, 6, v19
	v_cmp_lt_u32_e64 s[12:13], 31, v25
	v_cmp_gt_u32_e64 s[16:17], 4, v21
	v_cmp_lt_u32_e64 s[18:19], 63, v21
	v_cmp_eq_u32_e64 s[22:23], 0, v21
	v_mov_b32_e32 v1, 0
	v_lshl_add_u32 v36, v21, 2, v12
	v_add_u32_e32 v37, -4, v35
	v_add_u32_e32 v39, 0x200, v38
	v_sub_u32_e32 v48, v11, v10
	s_mov_b64 s[44:45], 0
	s_barrier
	s_branch .LBB811_325
.LBB811_324:                            ;   in Loop: Header=BB811_325 Depth=1
	s_or_b64 exec, exec, s[40:41]
	s_and_b64 s[28:29], exec, s[46:47]
	s_or_b64 s[44:45], s[28:29], s[44:45]
	s_andn2_b64 exec, exec, s[44:45]
	s_cbranch_execz .LBB811_343
.LBB811_325:                            ; =>This Inner Loop Header: Depth=1
	v_mov_b32_e32 v25, v14
	v_mov_b32_e32 v24, v13
	v_min_u32_e32 v0, s56, v48
	v_mov_b32_e32 v23, v16
	v_lshlrev_b32_e64 v0, v0, -1
	v_lshrrev_b64 v[13:14], v10, v[24:25]
	v_mov_b32_e32 v22, v15
	v_not_b32_e32 v16, v0
	v_and_b32_e32 v15, v13, v16
	v_lshl_add_u32 v0, v15, 2, v33
	v_lshlrev_b64 v[13:14], 2, v[0:1]
	v_mov_b32_e32 v8, v26
	v_add_co_u32_e64 v0, s[28:29], v12, v13
	v_add_co_u32_e64 v0, s[28:29], 16, v0
	v_and_b32_e32 v13, 1, v15
	v_add_co_u32_e64 v14, s[28:29], -1, v13
	v_mov_b32_e32 v9, v27
	v_addc_co_u32_e64 v26, s[28:29], 0, -1, s[28:29]
	v_cmp_ne_u32_e64 s[28:29], 0, v13
	v_xor_b32_e32 v13, s29, v26
	v_xor_b32_e32 v14, s28, v14
	v_and_b32_e32 v26, exec_hi, v13
	v_and_b32_e32 v27, exec_lo, v14
	v_lshlrev_b32_e32 v14, 30, v15
	v_mov_b32_e32 v13, v1
	v_cmp_gt_i64_e64 s[28:29], 0, v[13:14]
	v_not_b32_e32 v13, v14
	v_ashrrev_i32_e32 v13, 31, v13
	v_xor_b32_e32 v14, s29, v13
	v_xor_b32_e32 v13, s28, v13
	v_and_b32_e32 v26, v26, v14
	v_and_b32_e32 v27, v27, v13
	v_lshlrev_b32_e32 v14, 29, v15
	v_mov_b32_e32 v13, v1
	v_cmp_gt_i64_e64 s[28:29], 0, v[13:14]
	v_not_b32_e32 v13, v14
	v_ashrrev_i32_e32 v13, 31, v13
	v_xor_b32_e32 v14, s29, v13
	v_xor_b32_e32 v13, s28, v13
	v_and_b32_e32 v26, v26, v14
	v_and_b32_e32 v27, v27, v13
	;; [unrolled: 9-line block ×7, first 2 shown]
	v_mbcnt_lo_u32_b32 v15, v13, 0
	v_mbcnt_hi_u32_b32 v15, v14, v15
	v_cmp_ne_u64_e64 s[28:29], 0, v[13:14]
	v_mov_b32_e32 v4, v28
	v_cmp_eq_u32_e64 s[40:41], 0, v15
	v_mov_b32_e32 v5, v29
	s_and_b64 s[40:41], s[28:29], s[40:41]
	ds_write_b32 v20, v1
	ds_write_b32 v30, v1
	;; [unrolled: 1-line block ×4, first 2 shown]
	s_waitcnt lgkmcnt(0)
	s_barrier
	; wave barrier
	s_and_saveexec_b64 s[28:29], s[40:41]
; %bb.326:                              ;   in Loop: Header=BB811_325 Depth=1
	v_bcnt_u32_b32 v13, v13, 0
	v_bcnt_u32_b32 v13, v14, v13
	ds_write_b32 v0, v13
; %bb.327:                              ;   in Loop: Header=BB811_325 Depth=1
	s_or_b64 exec, exec, s[28:29]
	v_lshrrev_b64 v[13:14], v10, v[22:23]
	v_and_b32_e32 v27, v13, v16
	v_lshl_add_u32 v13, v27, 2, v33
	v_lshl_add_u32 v13, v13, 2, v12
	; wave barrier
	v_add_u32_e32 v26, 16, v13
	ds_read_b32 v16, v13 offset:16
	v_and_b32_e32 v13, 1, v27
	v_add_co_u32_e64 v14, s[28:29], -1, v13
	v_addc_co_u32_e64 v28, s[28:29], 0, -1, s[28:29]
	v_cmp_ne_u32_e64 s[28:29], 0, v13
	v_xor_b32_e32 v13, s29, v28
	v_xor_b32_e32 v14, s28, v14
	v_and_b32_e32 v28, exec_hi, v13
	v_and_b32_e32 v29, exec_lo, v14
	v_lshlrev_b32_e32 v14, 30, v27
	v_mov_b32_e32 v13, v1
	v_cmp_gt_i64_e64 s[28:29], 0, v[13:14]
	v_not_b32_e32 v13, v14
	v_ashrrev_i32_e32 v13, 31, v13
	v_xor_b32_e32 v14, s29, v13
	v_xor_b32_e32 v13, s28, v13
	v_and_b32_e32 v28, v28, v14
	v_and_b32_e32 v29, v29, v13
	v_lshlrev_b32_e32 v14, 29, v27
	v_mov_b32_e32 v13, v1
	v_cmp_gt_i64_e64 s[28:29], 0, v[13:14]
	v_not_b32_e32 v13, v14
	v_ashrrev_i32_e32 v13, 31, v13
	v_xor_b32_e32 v14, s29, v13
	v_xor_b32_e32 v13, s28, v13
	v_and_b32_e32 v28, v28, v14
	v_and_b32_e32 v29, v29, v13
	;; [unrolled: 9-line block ×7, first 2 shown]
	v_mbcnt_lo_u32_b32 v27, v13, 0
	v_mbcnt_hi_u32_b32 v27, v14, v27
	v_cmp_ne_u64_e64 s[28:29], 0, v[13:14]
	v_cmp_eq_u32_e64 s[40:41], 0, v27
	s_and_b64 s[40:41], s[28:29], s[40:41]
	; wave barrier
	s_and_saveexec_b64 s[28:29], s[40:41]
	s_cbranch_execz .LBB811_329
; %bb.328:                              ;   in Loop: Header=BB811_325 Depth=1
	v_bcnt_u32_b32 v13, v13, 0
	v_bcnt_u32_b32 v13, v14, v13
	s_waitcnt lgkmcnt(0)
	v_add_u32_e32 v13, v16, v13
	ds_write_b32 v26, v13
.LBB811_329:                            ;   in Loop: Header=BB811_325 Depth=1
	s_or_b64 exec, exec, s[28:29]
	; wave barrier
	s_waitcnt lgkmcnt(0)
	s_barrier
	ds_read_b32 v28, v20
	ds_read_b32 v14, v30
	;; [unrolled: 1-line block ×4, first 2 shown]
	s_waitcnt lgkmcnt(2)
	v_add_u32_e32 v49, v14, v28
	s_waitcnt lgkmcnt(0)
	v_add3_u32 v29, v49, v13, v29
	s_nop 1
	v_mov_b32_dpp v49, v29 row_shr:1 row_mask:0xf bank_mask:0xf
	v_cndmask_b32_e64 v49, v49, 0, vcc
	v_add_u32_e32 v29, v49, v29
	s_nop 1
	v_mov_b32_dpp v49, v29 row_shr:2 row_mask:0xf bank_mask:0xf
	v_cndmask_b32_e64 v49, 0, v49, s[4:5]
	v_add_u32_e32 v29, v29, v49
	s_nop 1
	v_mov_b32_dpp v49, v29 row_shr:4 row_mask:0xf bank_mask:0xf
	v_cndmask_b32_e64 v49, 0, v49, s[6:7]
	;; [unrolled: 4-line block ×3, first 2 shown]
	v_add_u32_e32 v29, v29, v49
	s_nop 1
	v_mov_b32_dpp v49, v29 row_bcast:15 row_mask:0xf bank_mask:0xf
	v_cndmask_b32_e64 v49, v49, 0, s[10:11]
	v_add_u32_e32 v29, v29, v49
	s_nop 1
	v_mov_b32_dpp v49, v29 row_bcast:31 row_mask:0xf bank_mask:0xf
	v_cndmask_b32_e64 v49, 0, v49, s[12:13]
	v_add_u32_e32 v29, v29, v49
	s_and_saveexec_b64 s[28:29], s[14:15]
; %bb.330:                              ;   in Loop: Header=BB811_325 Depth=1
	ds_write_b32 v35, v29
; %bb.331:                              ;   in Loop: Header=BB811_325 Depth=1
	s_or_b64 exec, exec, s[28:29]
	s_waitcnt lgkmcnt(0)
	s_barrier
	s_and_saveexec_b64 s[28:29], s[16:17]
	s_cbranch_execz .LBB811_333
; %bb.332:                              ;   in Loop: Header=BB811_325 Depth=1
	ds_read_b32 v49, v36
	s_waitcnt lgkmcnt(0)
	s_nop 0
	v_mov_b32_dpp v50, v49 row_shr:1 row_mask:0xf bank_mask:0xf
	v_cndmask_b32_e64 v50, v50, 0, s[24:25]
	v_add_u32_e32 v49, v50, v49
	s_nop 1
	v_mov_b32_dpp v50, v49 row_shr:2 row_mask:0xf bank_mask:0xf
	v_cndmask_b32_e64 v50, 0, v50, s[26:27]
	v_add_u32_e32 v49, v49, v50
	ds_write_b32 v36, v49
.LBB811_333:                            ;   in Loop: Header=BB811_325 Depth=1
	s_or_b64 exec, exec, s[28:29]
	v_mov_b32_e32 v49, 0
	s_waitcnt lgkmcnt(0)
	s_barrier
	s_and_saveexec_b64 s[28:29], s[18:19]
; %bb.334:                              ;   in Loop: Header=BB811_325 Depth=1
	ds_read_b32 v49, v37
; %bb.335:                              ;   in Loop: Header=BB811_325 Depth=1
	s_or_b64 exec, exec, s[28:29]
	s_waitcnt lgkmcnt(0)
	v_add_u32_e32 v29, v49, v29
	ds_bpermute_b32 v29, v34, v29
	v_add_u32_e32 v10, 8, v10
	v_cmp_lt_u32_e64 s[28:29], v10, v11
	s_mov_b64 s[46:47], -1
	s_waitcnt lgkmcnt(0)
	v_cndmask_b32_e64 v29, v29, v49, s[20:21]
	v_cndmask_b32_e64 v29, v29, 0, s[22:23]
	v_add_u32_e32 v28, v29, v28
	v_add_u32_e32 v14, v28, v14
	;; [unrolled: 1-line block ×3, first 2 shown]
	ds_write_b32 v20, v29
	ds_write_b32 v30, v28
	;; [unrolled: 1-line block ×4, first 2 shown]
	s_waitcnt lgkmcnt(0)
	s_barrier
	ds_read_b32 v0, v0
	ds_read_b32 v13, v26
	s_waitcnt lgkmcnt(0)
                                        ; implicit-def: $vgpr28_vgpr29
	v_add_u32_e32 v0, v0, v15
	v_lshlrev_b64 v[14:15], 3, v[0:1]
	v_add3_u32 v13, v27, v16, v13
	v_add_co_u32_e64 v0, s[40:41], v12, v14
	v_mov_b32_e32 v14, v1
	v_lshlrev_b64 v[13:14], 3, v[13:14]
                                        ; implicit-def: $vgpr26_vgpr27
	v_add_co_u32_e64 v49, s[40:41], v12, v13
                                        ; implicit-def: $vgpr15_vgpr16
	s_and_saveexec_b64 s[40:41], s[28:29]
	s_cbranch_execz .LBB811_324
; %bb.336:                              ;   in Loop: Header=BB811_325 Depth=1
	s_barrier
	ds_write_b64 v0, v[24:25]
	ds_write_b64 v49, v[22:23]
	s_waitcnt lgkmcnt(0)
	s_barrier
	ds_read_b64 v[13:14], v38
	ds_read_b64 v[15:16], v39
	s_waitcnt lgkmcnt(0)
	s_barrier
	ds_write_b64 v0, v[8:9]
	ds_write_b64 v49, v[4:5]
	s_waitcnt lgkmcnt(0)
	s_barrier
	ds_read_b64 v[26:27], v38
	ds_read_b64 v[28:29], v39
	v_add_u32_e32 v48, -8, v48
	s_xor_b64 s[46:47], exec, -1
	s_waitcnt lgkmcnt(0)
	s_barrier
	s_branch .LBB811_324
.LBB811_337:
	flat_load_dwordx2 v[38:39], v[4:5]
	s_or_b64 exec, exec, s[14:15]
                                        ; implicit-def: $vgpr48_vgpr49
	s_and_saveexec_b64 s[14:15], s[4:5]
	s_cbranch_execz .LBB811_264
.LBB811_338:
	flat_load_dwordx2 v[48:49], v[4:5] offset:512
	s_or_b64 exec, exec, s[14:15]
                                        ; implicit-def: $vgpr50_vgpr51
	s_and_saveexec_b64 s[4:5], s[6:7]
	s_cbranch_execz .LBB811_265
.LBB811_339:
	flat_load_dwordx2 v[50:51], v[4:5] offset:1024
	s_or_b64 exec, exec, s[4:5]
                                        ; implicit-def: $vgpr52_vgpr53
	s_and_saveexec_b64 s[4:5], s[10:11]
	s_cbranch_execnz .LBB811_266
	s_branch .LBB811_267
.LBB811_340:
	flat_store_dwordx2 v[0:1], v[12:13]
	s_or_b64 exec, exec, s[16:17]
	s_and_saveexec_b64 s[4:5], s[6:7]
	s_cbranch_execz .LBB811_309
.LBB811_341:
	flat_store_dwordx2 v[0:1], v[14:15] offset:2048
	s_or_b64 exec, exec, s[4:5]
	s_and_saveexec_b64 s[4:5], s[10:11]
	s_cbranch_execz .LBB811_310
.LBB811_342:
	v_add_co_u32_e32 v2, vcc, 0x1000, v0
	v_addc_co_u32_e32 v3, vcc, 0, v1, vcc
	flat_store_dwordx2 v[2:3], v[8:9]
	s_or_b64 exec, exec, s[4:5]
	s_and_saveexec_b64 s[4:5], s[14:15]
	s_cbranch_execnz .LBB811_311
	s_branch .LBB811_312
.LBB811_343:
	s_or_b64 exec, exec, s[44:45]
	v_lshl_add_u32 v1, v21, 3, v12
	v_mov_b32_e32 v20, 0
	s_barrier
	ds_write_b64 v0, v[24:25]
	ds_write_b64 v49, v[22:23]
	s_waitcnt lgkmcnt(0)
	s_barrier
	ds_read2st64_b64 v[12:15], v1 offset1:4
	s_waitcnt lgkmcnt(0)
	s_barrier
	ds_write_b64 v0, v[8:9]
	ds_write_b64 v49, v[4:5]
	s_waitcnt lgkmcnt(0)
	s_barrier
	ds_read2st64_b64 v[8:11], v1 offset1:4
	v_add_co_u32_e32 v2, vcc, v2, v17
	v_lshlrev_b64 v[0:1], 3, v[19:20]
	v_addc_co_u32_e32 v3, vcc, v3, v18, vcc
	v_add_co_u32_e32 v2, vcc, v2, v0
	v_addc_co_u32_e32 v3, vcc, v3, v1, vcc
	v_cmp_lt_u32_e32 vcc, v19, v246
	s_waitcnt lgkmcnt(0)
	s_barrier
	s_and_saveexec_b64 s[4:5], vcc
	s_cbranch_execz .LBB811_345
; %bb.344:
	v_xor_b32_e32 v13, 0x80000000, v13
	flat_store_dwordx2 v[2:3], v[12:13]
.LBB811_345:
	s_or_b64 exec, exec, s[4:5]
	v_add_u32_e32 v4, 0x100, v19
	v_cmp_lt_u32_e64 s[4:5], v4, v246
	s_and_saveexec_b64 s[6:7], s[4:5]
	s_cbranch_execz .LBB811_347
; %bb.346:
	v_xor_b32_e32 v15, 0x80000000, v15
	flat_store_dwordx2 v[2:3], v[14:15] offset:2048
.LBB811_347:
	s_or_b64 exec, exec, s[6:7]
	v_add_co_u32_e64 v2, s[6:7], v6, v17
	v_addc_co_u32_e64 v3, s[6:7], v7, v18, s[6:7]
	v_add_co_u32_e64 v0, s[6:7], v2, v0
	v_addc_co_u32_e64 v1, s[6:7], v3, v1, s[6:7]
	s_and_saveexec_b64 s[6:7], vcc
	s_cbranch_execz .LBB811_349
; %bb.348:
	flat_store_dwordx2 v[0:1], v[8:9]
.LBB811_349:
	s_or_b64 exec, exec, s[6:7]
	s_and_saveexec_b64 s[6:7], s[4:5]
	s_cbranch_execz .LBB811_351
; %bb.350:
	flat_store_dwordx2 v[0:1], v[10:11] offset:2048
.LBB811_351:
	s_or_b64 exec, exec, s[6:7]
                                        ; implicit-def: $vgpr21
                                        ; implicit-def: $vgpr19_vgpr20
                                        ; implicit-def: $vgpr17_vgpr18
                                        ; implicit-def: $vgpr246
                                        ; implicit-def: $vgpr0
                                        ; implicit-def: $vgpr1
                                        ; implicit-def: $vgpr2
                                        ; implicit-def: $vgpr3
                                        ; implicit-def: $vgpr4
                                        ; implicit-def: $vgpr5
                                        ; implicit-def: $vgpr6
                                        ; implicit-def: $vgpr7
                                        ; implicit-def: $vgpr10
                                        ; implicit-def: $vgpr11
                                        ; implicit-def: $vgpr12
                                        ; implicit-def: $vgpr14
.LBB811_352:
	s_andn2_saveexec_b64 s[4:5], s[42:43]
	s_cbranch_execz .LBB811_372
; %bb.353:
	v_mbcnt_hi_u32_b32 v29, -1, v14
	v_and_b32_e32 v30, 63, v29
	v_bfi_b32 v9, 63, v29, v19
	v_mov_b32_e32 v13, -1
	v_and_b32_e32 v8, 0xffffffc0, v19
	v_cmp_lt_u32_e32 vcc, v9, v246
	v_mov_b32_e32 v14, -1
	v_lshlrev_b32_e32 v20, 3, v30
	s_and_saveexec_b64 s[6:7], vcc
	s_cbranch_execz .LBB811_355
; %bb.354:
	v_add_co_u32_e64 v0, s[4:5], v0, v17
	v_addc_co_u32_e64 v1, s[4:5], v1, v18, s[4:5]
	v_mov_b32_e32 v9, 0
	v_add_co_u32_e64 v13, s[4:5], v0, v20
	v_addc_co_u32_e64 v14, s[4:5], 0, v1, s[4:5]
	v_lshlrev_b64 v[0:1], 3, v[8:9]
	v_add_co_u32_e64 v0, s[4:5], v13, v0
	v_addc_co_u32_e64 v1, s[4:5], v14, v1, s[4:5]
	flat_load_dwordx2 v[13:14], v[0:1]
	s_waitcnt vmcnt(0) lgkmcnt(0)
	v_xor_b32_e32 v14, 0x80000000, v14
.LBB811_355:
	s_or_b64 exec, exec, s[6:7]
                                        ; implicit-def: $vgpr15_vgpr16
	s_and_saveexec_b64 s[4:5], vcc
	s_cbranch_execz .LBB811_357
; %bb.356:
	v_add_co_u32_e32 v0, vcc, v4, v17
	v_addc_co_u32_e32 v1, vcc, v5, v18, vcc
	v_mov_b32_e32 v9, 0
	v_add_co_u32_e32 v4, vcc, v0, v20
	v_addc_co_u32_e32 v5, vcc, 0, v1, vcc
	v_lshlrev_b64 v[0:1], 3, v[8:9]
	v_add_co_u32_e32 v0, vcc, v4, v0
	v_addc_co_u32_e32 v1, vcc, v5, v1, vcc
	flat_load_dwordx2 v[15:16], v[0:1]
.LBB811_357:
	s_or_b64 exec, exec, s[4:5]
	v_lshl_add_u32 v4, v21, 4, v12
	s_getpc_b64 s[4:5]
	s_add_u32 s4, s4, _ZN7rocprim17ROCPRIM_400000_NS16block_radix_sortIlLj256ELj1ElLj1ELj1ELj8ELNS0_26block_radix_rank_algorithmE2ELNS0_18block_padding_hintE2ELNS0_4arch9wavefront6targetE1EE19radix_bits_per_passE@rel32@lo+4
	s_addc_u32 s5, s5, _ZN7rocprim17ROCPRIM_400000_NS16block_radix_sortIlLj256ELj1ElLj1ELj1ELj8ELNS0_26block_radix_rank_algorithmE2ELNS0_18block_padding_hintE2ELNS0_4arch9wavefront6targetE1EE19radix_bits_per_passE@rel32@hi+12
	v_add_u32_e32 v20, 16, v4
	v_add_u32_e32 v22, 20, v4
	;; [unrolled: 1-line block ×4, first 2 shown]
	v_and_b32_e32 v4, 15, v29
	s_load_dword s46, s[4:5], 0x0
	v_cmp_eq_u32_e32 vcc, 0, v4
	v_cmp_lt_u32_e64 s[4:5], 1, v4
	v_cmp_lt_u32_e64 s[6:7], 3, v4
	;; [unrolled: 1-line block ×3, first 2 shown]
	v_and_b32_e32 v4, 16, v29
	v_cmp_eq_u32_e64 s[10:11], 0, v4
	v_and_b32_e32 v4, 0x3c0, v21
	v_min_u32_e32 v5, 0xc0, v4
	v_or_b32_e32 v5, 63, v5
	v_cmp_eq_u32_e64 s[14:15], v21, v5
	v_subrev_co_u32_e64 v5, s[20:21], 1, v29
	v_and_b32_e32 v8, 64, v29
	v_cmp_lt_i32_e64 s[22:23], v5, v8
	v_cndmask_b32_e64 v5, v5, v29, s[22:23]
	v_lshlrev_b32_e32 v0, 2, v21
	v_lshlrev_b32_e32 v27, 2, v5
	v_lshrrev_b32_e32 v5, 4, v21
	v_and_b32_e32 v5, 60, v5
	v_add_co_u32_e64 v26, s[24:25], v12, v0
	v_and_b32_e32 v0, 3, v29
	v_add_u32_e32 v28, v12, v5
	v_cmp_eq_u32_e64 s[24:25], 0, v0
	v_cmp_lt_u32_e64 s[26:27], 1, v0
	v_or_b32_e32 v0, v30, v4
	v_mov_b32_e32 v1, 0
	v_lshrrev_b32_e32 v25, 6, v19
	v_cmp_lt_u32_e64 s[12:13], 31, v29
	v_cmp_gt_u32_e64 s[16:17], 4, v21
	v_cmp_lt_u32_e64 s[18:19], 63, v21
	v_cmp_eq_u32_e64 s[22:23], 0, v21
	v_add_u32_e32 v29, -4, v28
	v_lshl_add_u32 v30, v0, 3, v12
	v_sub_u32_e32 v31, v11, v10
	s_mov_b64 s[42:43], 0
	s_waitcnt vmcnt(0) lgkmcnt(0)
	s_barrier
	s_branch .LBB811_359
.LBB811_358:                            ;   in Loop: Header=BB811_359 Depth=1
	s_or_b64 exec, exec, s[40:41]
	s_and_b64 s[28:29], exec, s[44:45]
	s_or_b64 s[42:43], s[28:29], s[42:43]
	s_andn2_b64 exec, exec, s[42:43]
	s_cbranch_execz .LBB811_369
.LBB811_359:                            ; =>This Inner Loop Header: Depth=1
	v_mov_b32_e32 v8, v13
	v_mov_b32_e32 v9, v14
	v_lshrrev_b64 v[13:14], v10, v[8:9]
	v_mov_b32_e32 v4, v15
	v_min_u32_e32 v0, s46, v31
	v_mov_b32_e32 v5, v16
	v_bfe_u32 v15, v13, 0, v0
	v_lshl_add_u32 v0, v15, 2, v25
	v_lshlrev_b64 v[13:14], 2, v[0:1]
	ds_write_b32 v20, v1
	ds_write_b32 v22, v1
	;; [unrolled: 1-line block ×4, first 2 shown]
	v_add_co_u32_e64 v0, s[28:29], v12, v13
	v_add_co_u32_e64 v0, s[28:29], 16, v0
	v_and_b32_e32 v13, 1, v15
	v_add_co_u32_e64 v14, s[28:29], -1, v13
	v_addc_co_u32_e64 v16, s[28:29], 0, -1, s[28:29]
	v_cmp_ne_u32_e64 s[28:29], 0, v13
	v_xor_b32_e32 v13, s29, v16
	v_xor_b32_e32 v14, s28, v14
	v_and_b32_e32 v16, exec_hi, v13
	v_and_b32_e32 v32, exec_lo, v14
	v_lshlrev_b32_e32 v14, 30, v15
	v_mov_b32_e32 v13, v1
	v_cmp_gt_i64_e64 s[28:29], 0, v[13:14]
	v_not_b32_e32 v13, v14
	v_ashrrev_i32_e32 v13, 31, v13
	v_xor_b32_e32 v14, s29, v13
	v_xor_b32_e32 v13, s28, v13
	v_and_b32_e32 v16, v16, v14
	v_and_b32_e32 v32, v32, v13
	v_lshlrev_b32_e32 v14, 29, v15
	v_mov_b32_e32 v13, v1
	v_cmp_gt_i64_e64 s[28:29], 0, v[13:14]
	v_not_b32_e32 v13, v14
	v_ashrrev_i32_e32 v13, 31, v13
	v_xor_b32_e32 v14, s29, v13
	v_xor_b32_e32 v13, s28, v13
	v_and_b32_e32 v16, v16, v14
	v_and_b32_e32 v32, v32, v13
	;; [unrolled: 9-line block ×7, first 2 shown]
	v_mbcnt_lo_u32_b32 v15, v13, 0
	v_mbcnt_hi_u32_b32 v15, v14, v15
	v_cmp_ne_u64_e64 s[28:29], 0, v[13:14]
	v_cmp_eq_u32_e64 s[40:41], 0, v15
	s_and_b64 s[40:41], s[28:29], s[40:41]
	s_waitcnt lgkmcnt(0)
	s_barrier
	; wave barrier
	s_and_saveexec_b64 s[28:29], s[40:41]
; %bb.360:                              ;   in Loop: Header=BB811_359 Depth=1
	v_bcnt_u32_b32 v13, v13, 0
	v_bcnt_u32_b32 v13, v14, v13
	ds_write_b32 v0, v13
; %bb.361:                              ;   in Loop: Header=BB811_359 Depth=1
	s_or_b64 exec, exec, s[28:29]
	; wave barrier
	s_waitcnt lgkmcnt(0)
	s_barrier
	ds_read_b32 v16, v20
	ds_read_b32 v14, v22
	;; [unrolled: 1-line block ×4, first 2 shown]
	s_waitcnt lgkmcnt(2)
	v_add_u32_e32 v33, v14, v16
	s_waitcnt lgkmcnt(0)
	v_add3_u32 v32, v33, v13, v32
	s_nop 1
	v_mov_b32_dpp v33, v32 row_shr:1 row_mask:0xf bank_mask:0xf
	v_cndmask_b32_e64 v33, v33, 0, vcc
	v_add_u32_e32 v32, v33, v32
	s_nop 1
	v_mov_b32_dpp v33, v32 row_shr:2 row_mask:0xf bank_mask:0xf
	v_cndmask_b32_e64 v33, 0, v33, s[4:5]
	v_add_u32_e32 v32, v32, v33
	s_nop 1
	v_mov_b32_dpp v33, v32 row_shr:4 row_mask:0xf bank_mask:0xf
	v_cndmask_b32_e64 v33, 0, v33, s[6:7]
	;; [unrolled: 4-line block ×3, first 2 shown]
	v_add_u32_e32 v32, v32, v33
	s_nop 1
	v_mov_b32_dpp v33, v32 row_bcast:15 row_mask:0xf bank_mask:0xf
	v_cndmask_b32_e64 v33, v33, 0, s[10:11]
	v_add_u32_e32 v32, v32, v33
	s_nop 1
	v_mov_b32_dpp v33, v32 row_bcast:31 row_mask:0xf bank_mask:0xf
	v_cndmask_b32_e64 v33, 0, v33, s[12:13]
	v_add_u32_e32 v32, v32, v33
	s_and_saveexec_b64 s[28:29], s[14:15]
; %bb.362:                              ;   in Loop: Header=BB811_359 Depth=1
	ds_write_b32 v28, v32
; %bb.363:                              ;   in Loop: Header=BB811_359 Depth=1
	s_or_b64 exec, exec, s[28:29]
	s_waitcnt lgkmcnt(0)
	s_barrier
	s_and_saveexec_b64 s[28:29], s[16:17]
	s_cbranch_execz .LBB811_365
; %bb.364:                              ;   in Loop: Header=BB811_359 Depth=1
	ds_read_b32 v33, v26
	s_waitcnt lgkmcnt(0)
	s_nop 0
	v_mov_b32_dpp v34, v33 row_shr:1 row_mask:0xf bank_mask:0xf
	v_cndmask_b32_e64 v34, v34, 0, s[24:25]
	v_add_u32_e32 v33, v34, v33
	s_nop 1
	v_mov_b32_dpp v34, v33 row_shr:2 row_mask:0xf bank_mask:0xf
	v_cndmask_b32_e64 v34, 0, v34, s[26:27]
	v_add_u32_e32 v33, v33, v34
	ds_write_b32 v26, v33
.LBB811_365:                            ;   in Loop: Header=BB811_359 Depth=1
	s_or_b64 exec, exec, s[28:29]
	v_mov_b32_e32 v33, 0
	s_waitcnt lgkmcnt(0)
	s_barrier
	s_and_saveexec_b64 s[28:29], s[18:19]
; %bb.366:                              ;   in Loop: Header=BB811_359 Depth=1
	ds_read_b32 v33, v29
; %bb.367:                              ;   in Loop: Header=BB811_359 Depth=1
	s_or_b64 exec, exec, s[28:29]
	s_waitcnt lgkmcnt(0)
	v_add_u32_e32 v32, v33, v32
	ds_bpermute_b32 v32, v27, v32
	v_add_u32_e32 v10, 8, v10
	v_cmp_lt_u32_e64 s[28:29], v10, v11
	s_mov_b64 s[44:45], -1
	s_waitcnt lgkmcnt(0)
	v_cndmask_b32_e64 v32, v32, v33, s[20:21]
	v_cndmask_b32_e64 v32, v32, 0, s[22:23]
	v_add_u32_e32 v16, v32, v16
	v_add_u32_e32 v14, v16, v14
	ds_write_b32 v20, v32
	ds_write_b32 v22, v16
	v_add_u32_e32 v13, v14, v13
	ds_write_b32 v23, v14
	ds_write_b32 v24, v13
	s_waitcnt lgkmcnt(0)
	s_barrier
	ds_read_b32 v0, v0
	s_waitcnt lgkmcnt(0)
	v_add_u32_e32 v0, v0, v15
	v_lshlrev_b64 v[13:14], 3, v[0:1]
                                        ; implicit-def: $vgpr15_vgpr16
	v_add_co_u32_e64 v32, s[40:41], v12, v13
                                        ; implicit-def: $vgpr13_vgpr14
	s_and_saveexec_b64 s[40:41], s[28:29]
	s_cbranch_execz .LBB811_358
; %bb.368:                              ;   in Loop: Header=BB811_359 Depth=1
	s_barrier
	ds_write_b64 v32, v[8:9]
	s_waitcnt lgkmcnt(0)
	s_barrier
	ds_read_b64 v[13:14], v30
	s_waitcnt lgkmcnt(0)
	s_barrier
	ds_write_b64 v32, v[4:5]
	s_waitcnt lgkmcnt(0)
	s_barrier
	ds_read_b64 v[15:16], v30
	v_add_u32_e32 v31, -8, v31
	s_xor_b64 s[44:45], exec, -1
	s_waitcnt lgkmcnt(0)
	s_barrier
	s_branch .LBB811_358
.LBB811_369:
	s_or_b64 exec, exec, s[42:43]
	s_barrier
	ds_write_b64 v32, v[8:9]
	v_lshl_add_u32 v8, v21, 2, v26
	s_waitcnt lgkmcnt(0)
	s_barrier
	ds_read_b64 v[0:1], v8
	s_waitcnt lgkmcnt(0)
	s_barrier
	ds_write_b64 v32, v[4:5]
	s_waitcnt lgkmcnt(0)
	s_barrier
	ds_read_b64 v[4:5], v8
	v_cmp_lt_u32_e32 vcc, v19, v246
	s_waitcnt lgkmcnt(0)
	s_barrier
	s_and_saveexec_b64 s[4:5], vcc
	s_cbranch_execz .LBB811_371
; %bb.370:
	v_add_co_u32_e32 v8, vcc, v2, v17
	v_mov_b32_e32 v20, 0
	v_addc_co_u32_e32 v9, vcc, v3, v18, vcc
	v_lshlrev_b64 v[2:3], 3, v[19:20]
	v_xor_b32_e32 v1, 0x80000000, v1
	v_add_co_u32_e32 v8, vcc, v8, v2
	v_addc_co_u32_e32 v9, vcc, v9, v3, vcc
	v_add_co_u32_e32 v6, vcc, v6, v17
	v_addc_co_u32_e32 v7, vcc, v7, v18, vcc
	;; [unrolled: 2-line block ×3, first 2 shown]
	flat_store_dwordx2 v[8:9], v[0:1]
	flat_store_dwordx2 v[2:3], v[4:5]
.LBB811_371:
	s_or_b64 exec, exec, s[4:5]
.LBB811_372:
	s_or_b64 exec, exec, s[58:59]
	buffer_load_dword v110, off, s[0:3], s32 ; 4-byte Folded Reload
	buffer_load_dword v109, off, s[0:3], s32 offset:4 ; 4-byte Folded Reload
	buffer_load_dword v108, off, s[0:3], s32 offset:8 ; 4-byte Folded Reload
	;; [unrolled: 1-line block ×38, first 2 shown]
	s_waitcnt vmcnt(0) lgkmcnt(0)
	s_setpc_b64 s[30:31]
.Lfunc_end811:
	.size	_ZN7rocprim17ROCPRIM_400000_NS6detail40segmented_radix_sort_single_block_helperIllLj256ELj16ELb0EE4sortIPKlPlS6_S7_EEbT_T0_T1_T2_jjjjRNS3_12storage_typeE, .Lfunc_end811-_ZN7rocprim17ROCPRIM_400000_NS6detail40segmented_radix_sort_single_block_helperIllLj256ELj16ELb0EE4sortIPKlPlS6_S7_EEbT_T0_T1_T2_jjjjRNS3_12storage_typeE
                                        ; -- End function
	.set .L_ZN7rocprim17ROCPRIM_400000_NS6detail40segmented_radix_sort_single_block_helperIllLj256ELj16ELb0EE4sortIPKlPlS6_S7_EEbT_T0_T1_T2_jjjjRNS3_12storage_typeE.num_vgpr, 248
	.set .L_ZN7rocprim17ROCPRIM_400000_NS6detail40segmented_radix_sort_single_block_helperIllLj256ELj16ELb0EE4sortIPKlPlS6_S7_EEbT_T0_T1_T2_jjjjRNS3_12storage_typeE.num_agpr, 0
	.set .L_ZN7rocprim17ROCPRIM_400000_NS6detail40segmented_radix_sort_single_block_helperIllLj256ELj16ELb0EE4sortIPKlPlS6_S7_EEbT_T0_T1_T2_jjjjRNS3_12storage_typeE.numbered_sgpr, 64
	.set .L_ZN7rocprim17ROCPRIM_400000_NS6detail40segmented_radix_sort_single_block_helperIllLj256ELj16ELb0EE4sortIPKlPlS6_S7_EEbT_T0_T1_T2_jjjjRNS3_12storage_typeE.num_named_barrier, 0
	.set .L_ZN7rocprim17ROCPRIM_400000_NS6detail40segmented_radix_sort_single_block_helperIllLj256ELj16ELb0EE4sortIPKlPlS6_S7_EEbT_T0_T1_T2_jjjjRNS3_12storage_typeE.private_seg_size, 160
	.set .L_ZN7rocprim17ROCPRIM_400000_NS6detail40segmented_radix_sort_single_block_helperIllLj256ELj16ELb0EE4sortIPKlPlS6_S7_EEbT_T0_T1_T2_jjjjRNS3_12storage_typeE.uses_vcc, 1
	.set .L_ZN7rocprim17ROCPRIM_400000_NS6detail40segmented_radix_sort_single_block_helperIllLj256ELj16ELb0EE4sortIPKlPlS6_S7_EEbT_T0_T1_T2_jjjjRNS3_12storage_typeE.uses_flat_scratch, 0
	.set .L_ZN7rocprim17ROCPRIM_400000_NS6detail40segmented_radix_sort_single_block_helperIllLj256ELj16ELb0EE4sortIPKlPlS6_S7_EEbT_T0_T1_T2_jjjjRNS3_12storage_typeE.has_dyn_sized_stack, 0
	.set .L_ZN7rocprim17ROCPRIM_400000_NS6detail40segmented_radix_sort_single_block_helperIllLj256ELj16ELb0EE4sortIPKlPlS6_S7_EEbT_T0_T1_T2_jjjjRNS3_12storage_typeE.has_recursion, 0
	.set .L_ZN7rocprim17ROCPRIM_400000_NS6detail40segmented_radix_sort_single_block_helperIllLj256ELj16ELb0EE4sortIPKlPlS6_S7_EEbT_T0_T1_T2_jjjjRNS3_12storage_typeE.has_indirect_call, 0
	.section	.AMDGPU.csdata,"",@progbits
; Function info:
; codeLenInByte = 29468
; TotalNumSgprs: 68
; NumVgprs: 248
; ScratchSize: 160
; MemoryBound: 1
	.section	.text._ZN7rocprim17ROCPRIM_400000_NS6detail17trampoline_kernelINS0_14default_configENS1_36segmented_radix_sort_config_selectorIllEEZNS1_25segmented_radix_sort_implIS3_Lb0EPKlPlS8_S9_N2at6native12_GLOBAL__N_18offset_tEEE10hipError_tPvRmT1_PNSt15iterator_traitsISH_E10value_typeET2_T3_PNSI_ISN_E10value_typeET4_jRbjT5_ST_jjP12ihipStream_tbEUlT_E_NS1_11comp_targetILNS1_3genE2ELNS1_11target_archE906ELNS1_3gpuE6ELNS1_3repE0EEENS1_30default_config_static_selectorELNS0_4arch9wavefront6targetE1EEEvSH_,"axG",@progbits,_ZN7rocprim17ROCPRIM_400000_NS6detail17trampoline_kernelINS0_14default_configENS1_36segmented_radix_sort_config_selectorIllEEZNS1_25segmented_radix_sort_implIS3_Lb0EPKlPlS8_S9_N2at6native12_GLOBAL__N_18offset_tEEE10hipError_tPvRmT1_PNSt15iterator_traitsISH_E10value_typeET2_T3_PNSI_ISN_E10value_typeET4_jRbjT5_ST_jjP12ihipStream_tbEUlT_E_NS1_11comp_targetILNS1_3genE2ELNS1_11target_archE906ELNS1_3gpuE6ELNS1_3repE0EEENS1_30default_config_static_selectorELNS0_4arch9wavefront6targetE1EEEvSH_,comdat
	.globl	_ZN7rocprim17ROCPRIM_400000_NS6detail17trampoline_kernelINS0_14default_configENS1_36segmented_radix_sort_config_selectorIllEEZNS1_25segmented_radix_sort_implIS3_Lb0EPKlPlS8_S9_N2at6native12_GLOBAL__N_18offset_tEEE10hipError_tPvRmT1_PNSt15iterator_traitsISH_E10value_typeET2_T3_PNSI_ISN_E10value_typeET4_jRbjT5_ST_jjP12ihipStream_tbEUlT_E_NS1_11comp_targetILNS1_3genE2ELNS1_11target_archE906ELNS1_3gpuE6ELNS1_3repE0EEENS1_30default_config_static_selectorELNS0_4arch9wavefront6targetE1EEEvSH_ ; -- Begin function _ZN7rocprim17ROCPRIM_400000_NS6detail17trampoline_kernelINS0_14default_configENS1_36segmented_radix_sort_config_selectorIllEEZNS1_25segmented_radix_sort_implIS3_Lb0EPKlPlS8_S9_N2at6native12_GLOBAL__N_18offset_tEEE10hipError_tPvRmT1_PNSt15iterator_traitsISH_E10value_typeET2_T3_PNSI_ISN_E10value_typeET4_jRbjT5_ST_jjP12ihipStream_tbEUlT_E_NS1_11comp_targetILNS1_3genE2ELNS1_11target_archE906ELNS1_3gpuE6ELNS1_3repE0EEENS1_30default_config_static_selectorELNS0_4arch9wavefront6targetE1EEEvSH_
	.p2align	8
	.type	_ZN7rocprim17ROCPRIM_400000_NS6detail17trampoline_kernelINS0_14default_configENS1_36segmented_radix_sort_config_selectorIllEEZNS1_25segmented_radix_sort_implIS3_Lb0EPKlPlS8_S9_N2at6native12_GLOBAL__N_18offset_tEEE10hipError_tPvRmT1_PNSt15iterator_traitsISH_E10value_typeET2_T3_PNSI_ISN_E10value_typeET4_jRbjT5_ST_jjP12ihipStream_tbEUlT_E_NS1_11comp_targetILNS1_3genE2ELNS1_11target_archE906ELNS1_3gpuE6ELNS1_3repE0EEENS1_30default_config_static_selectorELNS0_4arch9wavefront6targetE1EEEvSH_,@function
_ZN7rocprim17ROCPRIM_400000_NS6detail17trampoline_kernelINS0_14default_configENS1_36segmented_radix_sort_config_selectorIllEEZNS1_25segmented_radix_sort_implIS3_Lb0EPKlPlS8_S9_N2at6native12_GLOBAL__N_18offset_tEEE10hipError_tPvRmT1_PNSt15iterator_traitsISH_E10value_typeET2_T3_PNSI_ISN_E10value_typeET4_jRbjT5_ST_jjP12ihipStream_tbEUlT_E_NS1_11comp_targetILNS1_3genE2ELNS1_11target_archE906ELNS1_3gpuE6ELNS1_3repE0EEENS1_30default_config_static_selectorELNS0_4arch9wavefront6targetE1EEEvSH_: ; @_ZN7rocprim17ROCPRIM_400000_NS6detail17trampoline_kernelINS0_14default_configENS1_36segmented_radix_sort_config_selectorIllEEZNS1_25segmented_radix_sort_implIS3_Lb0EPKlPlS8_S9_N2at6native12_GLOBAL__N_18offset_tEEE10hipError_tPvRmT1_PNSt15iterator_traitsISH_E10value_typeET2_T3_PNSI_ISN_E10value_typeET4_jRbjT5_ST_jjP12ihipStream_tbEUlT_E_NS1_11comp_targetILNS1_3genE2ELNS1_11target_archE906ELNS1_3gpuE6ELNS1_3repE0EEENS1_30default_config_static_selectorELNS0_4arch9wavefront6targetE1EEEvSH_
; %bb.0:
	s_add_u32 s0, s0, s8
	s_mov_b64 s[34:35], s[4:5]
	s_load_dwordx2 s[4:5], s[4:5], 0x38
	s_nop 0
	s_load_dwordx4 s[8:11], s[34:35], 0x40
                                        ; implicit-def: $vgpr232 : SGPR spill to VGPR lane
	s_addc_u32 s1, s1, 0
	v_writelane_b32 v232, s7, 0
	s_mov_b32 s7, 0
	s_lshl_b64 s[12:13], s[6:7], 2
	s_waitcnt lgkmcnt(0)
	s_add_u32 s4, s4, s12
	s_addc_u32 s5, s5, s13
	s_load_dword s4, s[4:5], 0x0
	s_mov_b32 s32, 0
	s_waitcnt lgkmcnt(0)
	s_add_i32 s96, s4, s9
	s_add_i32 s97, s4, s11
	s_mul_i32 s96, s96, s8
	s_mul_i32 s97, s97, s10
	s_cmp_le_u32 s97, s96
	s_cbranch_scc1 .LBB812_1190
; %bb.1:
	s_load_dword s4, s[34:35], 0x30
	s_load_dwordx4 s[84:87], s[34:35], 0x20
	s_load_dwordx4 s[88:91], s[34:35], 0x50
	s_load_dwordx8 s[76:83], s[34:35], 0x0
	s_waitcnt lgkmcnt(0)
	s_bitcmp1_b32 s4, 0
	s_cselect_b64 s[74:75], -1, 0
	s_sub_i32 s33, s97, s96
	s_cmpk_lt_u32 s33, 0x1001
	s_mov_b64 s[4:5], -1
	s_cbranch_scc0 .LBB812_7
; %bb.2:
	s_and_b32 s4, s88, 1
	v_cndmask_b32_e64 v3, 0, 1, s[74:75]
	v_cmp_ne_u32_e32 vcc, s4, v3
	s_mov_b64 s[4:5], -1
	v_lshlrev_b32_e32 v41, 20, v2
	v_lshlrev_b32_e32 v42, 10, v1
	s_cbranch_vccnz .LBB812_4
; %bb.3:
	s_add_u32 s8, s34, 0x60
	s_mov_b64 s[4:5], src_shared_base
	s_addc_u32 s9, s35, 0
	s_getpc_b64 s[10:11]
	s_add_u32 s10, s10, _ZN7rocprim17ROCPRIM_400000_NS6detail40segmented_radix_sort_single_block_helperIllLj256ELj16ELb0EE4sortIPKlPlS6_S7_EEbT_T0_T1_T2_jjjjRNS3_12storage_typeE@rel32@lo+4
	s_addc_u32 s11, s11, _ZN7rocprim17ROCPRIM_400000_NS6detail40segmented_radix_sort_single_block_helperIllLj256ELj16ELb0EE4sortIPKlPlS6_S7_EEbT_T0_T1_T2_jjjjRNS3_12storage_typeE@rel32@hi+12
	v_or3_b32 v31, v0, v42, v41
	s_mov_b32 s12, s6
	v_readlane_b32 s13, v232, 0
	v_mov_b32_e32 v40, v0
	v_mov_b32_e32 v0, s76
	;; [unrolled: 1-line block ×17, first 2 shown]
	s_mov_b32 s36, s6
	s_swappc_b64 s[30:31], s[10:11]
	v_mov_b32_e32 v1, v43
	v_mov_b32_e32 v2, v44
	;; [unrolled: 1-line block ×3, first 2 shown]
	s_mov_b32 s6, s36
	s_mov_b64 s[4:5], 0
.LBB812_4:
	s_andn2_b64 vcc, exec, s[4:5]
	s_cbranch_vccnz .LBB812_6
; %bb.5:
	s_add_u32 s8, s34, 0x60
	s_mov_b64 s[4:5], src_shared_base
	s_addc_u32 s9, s35, 0
	s_getpc_b64 s[10:11]
	s_add_u32 s10, s10, _ZN7rocprim17ROCPRIM_400000_NS6detail40segmented_radix_sort_single_block_helperIllLj256ELj16ELb0EE4sortIPKlPlS6_S7_EEbT_T0_T1_T2_jjjjRNS3_12storage_typeE@rel32@lo+4
	s_addc_u32 s11, s11, _ZN7rocprim17ROCPRIM_400000_NS6detail40segmented_radix_sort_single_block_helperIllLj256ELj16ELb0EE4sortIPKlPlS6_S7_EEbT_T0_T1_T2_jjjjRNS3_12storage_typeE@rel32@hi+12
	v_or3_b32 v31, v0, v42, v41
	s_mov_b32 s12, s6
	v_readlane_b32 s13, v232, 0
	v_mov_b32_e32 v40, v0
	v_mov_b32_e32 v0, s76
	;; [unrolled: 1-line block ×17, first 2 shown]
	s_mov_b32 s36, s6
	s_swappc_b64 s[30:31], s[10:11]
	v_mov_b32_e32 v1, v41
	v_mov_b32_e32 v2, v42
	;; [unrolled: 1-line block ×3, first 2 shown]
	s_mov_b32 s6, s36
.LBB812_6:
	s_mov_b64 s[4:5], 0
.LBB812_7:
	s_andn2_b64 vcc, exec, s[4:5]
	s_cbranch_vccnz .LBB812_1190
; %bb.8:
	s_cmp_ge_u32 s89, s90
	s_cbranch_scc1 .LBB812_1190
; %bb.9:
	v_lshlrev_b32_e32 v5, 3, v0
	v_and_b32_e32 v4, 3, v0
	v_mov_b32_e32 v6, s81
	v_add_co_u32_e32 v75, vcc, s80, v5
	v_addc_co_u32_e32 v76, vcc, 0, v6, vcc
	v_lshlrev_b32_e32 v91, 2, v4
	v_lshlrev_b32_e32 v4, 4, v0
	v_mul_u32_u24_e32 v92, 12, v0
	v_and_b32_e32 v6, 0xc0, v0
	v_min_u32_e32 v7, 64, v6
	v_and_b32_e32 v98, 0xc00, v4
	v_or_b32_e32 v6, 63, v6
	v_sub_u32_e32 v99, v92, v5
	s_movk_i32 s7, 0x80
	v_cmp_eq_u32_e64 s[14:15], v0, v6
	v_add_u32_e32 v6, 1, v0
	v_add_u32_e32 v101, v99, v4
	v_lshlrev_b32_e32 v4, 3, v98
	v_mul_u32_u24_e32 v100, 20, v6
	v_cmp_ne_u32_e64 s[20:21], s7, v6
	v_mov_b32_e32 v6, s87
	v_add_co_u32_e32 v102, vcc, s86, v4
	v_addc_co_u32_e32 v103, vcc, 0, v6, vcc
	v_mov_b32_e32 v6, s81
	v_add_co_u32_e32 v104, vcc, s80, v4
	v_addc_co_u32_e32 v105, vcc, 0, v6, vcc
	;; [unrolled: 3-line block ×6, first 2 shown]
	v_or_b32_e32 v7, 63, v7
	v_mov_b32_e32 v5, s83
	v_add_co_u32_e32 v115, vcc, s82, v4
	v_cmp_eq_u32_e64 s[8:9], v0, v7
	v_lshrrev_b32_e32 v7, 4, v0
	v_addc_co_u32_e32 v116, vcc, 0, v5, vcc
	v_lshlrev_b32_e32 v73, 2, v0
	v_or_b32_e32 v77, 0x200, v0
	v_or_b32_e32 v78, 0x300, v0
	;; [unrolled: 1-line block ×14, first 2 shown]
	v_and_b32_e32 v94, 12, v7
	s_add_u32 s94, s34, 0x60
	v_mov_b32_e32 v5, s77
	v_add_co_u32_e32 v117, vcc, s76, v4
	v_mbcnt_lo_u32_b32 v4, -1, 0
	s_mov_b32 s93, 0
	v_mov_b32_e32 v3, 0
	v_or_b32_e32 v74, 0x100, v0
	v_cmp_gt_u32_e64 s[4:5], s7, v0
	v_mad_u32_u24 v93, v0, 12, v73
	v_writelane_b32 v232, s8, 1
	v_or_b32_e32 v95, 0x8200, v94
	v_cmp_gt_u32_e64 s[10:11], 2, v0
	v_add_u32_e32 v96, 0x8200, v73
	v_cmp_lt_u32_e64 s[12:13], 63, v0
	v_add_u32_e32 v97, 0x81fc, v94
	s_addc_u32 s95, s35, 0
	v_cmp_gt_u32_e64 s[16:17], 4, v0
	v_cmp_eq_u32_e64 s[18:19], 0, v0
	v_mad_i32_i24 v106, v0, -12, v101
	v_addc_co_u32_e32 v118, vcc, 0, v5, vcc
	s_mov_b32 s7, s89
	v_mov_b32_e32 v119, 1
	v_lshlrev_b32_e32 v120, 3, v0
	v_lshlrev_b32_e32 v121, 3, v77
	;; [unrolled: 1-line block ×15, first 2 shown]
	v_mbcnt_hi_u32_b32 v135, -1, v4
	v_mov_b32_e32 v5, -1
	v_bfrev_b32_e32 v6, -2
	s_mov_b32 s88, s89
	v_writelane_b32 v232, s9, 2
	s_branch .LBB812_12
.LBB812_10:                             ;   in Loop: Header=BB812_12 Depth=1
	s_waitcnt lgkmcnt(0)
	s_barrier
.LBB812_11:                             ;   in Loop: Header=BB812_12 Depth=1
	s_add_i32 s88, s88, 7
	s_cmp_ge_u32 s88, s90
	s_cbranch_scc1 .LBB812_1190
.LBB812_12:                             ; =>This Loop Header: Depth=1
                                        ;     Child Loop BB812_16 Depth 2
                                        ;     Child Loop BB812_96 Depth 2
	;; [unrolled: 1-line block ×8, first 2 shown]
	s_sub_i32 s8, s90, s88
	s_xor_b64 s[74:75], s[74:75], -1
	s_min_u32 s98, s8, 7
	s_cmp_lg_u32 s88, s89
	s_mov_b64 s[22:23], -1
	ds_write2st64_b32 v73, v3, v3 offset1:4
	s_waitcnt lgkmcnt(0)
	s_cbranch_scc0 .LBB812_602
; %bb.13:                               ;   in Loop: Header=BB812_12 Depth=1
	s_lshl_b32 s8, -1, s98
	s_not_b32 s99, s8
	s_and_b64 vcc, exec, s[74:75]
	s_cbranch_vccz .LBB812_307
; %bb.14:                               ;   in Loop: Header=BB812_12 Depth=1
	s_mov_b32 s8, s33
	s_mov_b32 s92, s96
	s_barrier
                                        ; implicit-def: $vgpr7_vgpr8
                                        ; implicit-def: $vgpr9_vgpr10
                                        ; implicit-def: $vgpr11_vgpr12
                                        ; implicit-def: $vgpr13_vgpr14
                                        ; implicit-def: $vgpr15_vgpr16
                                        ; implicit-def: $vgpr17_vgpr18
                                        ; implicit-def: $vgpr19_vgpr20
                                        ; implicit-def: $vgpr21_vgpr22
                                        ; implicit-def: $vgpr23_vgpr24
                                        ; implicit-def: $vgpr25_vgpr26
                                        ; implicit-def: $vgpr27_vgpr28
                                        ; implicit-def: $vgpr29_vgpr30
                                        ; implicit-def: $vgpr31_vgpr32
                                        ; implicit-def: $vgpr33_vgpr34
                                        ; implicit-def: $vgpr35_vgpr36
                                        ; implicit-def: $vgpr37_vgpr38
	s_branch .LBB812_16
.LBB812_15:                             ;   in Loop: Header=BB812_16 Depth=2
	s_or_b64 exec, exec, s[22:23]
	s_addk_i32 s8, 0xf000
	s_cmp_ge_u32 s9, s97
	s_mov_b32 s92, s9
	s_cbranch_scc1 .LBB812_84
.LBB812_16:                             ;   Parent Loop BB812_12 Depth=1
                                        ; =>  This Inner Loop Header: Depth=2
	s_add_i32 s9, s92, 0x1000
	s_cmp_gt_u32 s9, s97
	s_mov_b64 s[22:23], -1
                                        ; implicit-def: $vgpr39_vgpr40
                                        ; implicit-def: $vgpr41_vgpr42
                                        ; implicit-def: $vgpr43_vgpr44
                                        ; implicit-def: $vgpr45_vgpr46
                                        ; implicit-def: $vgpr47_vgpr48
                                        ; implicit-def: $vgpr49_vgpr50
                                        ; implicit-def: $vgpr51_vgpr52
                                        ; implicit-def: $vgpr53_vgpr54
                                        ; implicit-def: $vgpr55_vgpr56
                                        ; implicit-def: $vgpr57_vgpr58
                                        ; implicit-def: $vgpr59_vgpr60
                                        ; implicit-def: $vgpr61_vgpr62
                                        ; implicit-def: $vgpr63_vgpr64
                                        ; implicit-def: $vgpr65_vgpr66
                                        ; implicit-def: $vgpr67_vgpr68
                                        ; implicit-def: $vgpr69_vgpr70
	s_cbranch_scc1 .LBB812_18
; %bb.17:                               ;   in Loop: Header=BB812_16 Depth=2
	s_lshl_b64 s[22:23], s[92:93], 3
	v_mov_b32_e32 v4, s23
	v_add_co_u32_e32 v63, vcc, s22, v75
	v_addc_co_u32_e32 v64, vcc, v76, v4, vcc
	v_add_co_u32_e32 v47, vcc, 0x1000, v63
	v_addc_co_u32_e32 v48, vcc, 0, v64, vcc
	;; [unrolled: 2-line block ×4, first 2 shown]
	global_load_dwordx2 v[39:40], v[63:64], off
	global_load_dwordx2 v[41:42], v[63:64], off offset:2048
	global_load_dwordx2 v[43:44], v[47:48], off
	global_load_dwordx2 v[45:46], v[47:48], off offset:2048
	s_nop 0
	global_load_dwordx2 v[47:48], v[55:56], off
	global_load_dwordx2 v[49:50], v[55:56], off offset:2048
	global_load_dwordx2 v[51:52], v[57:58], off
	global_load_dwordx2 v[53:54], v[57:58], off offset:2048
	v_add_co_u32_e32 v57, vcc, 0x4000, v63
	v_addc_co_u32_e32 v58, vcc, 0, v64, vcc
	v_add_co_u32_e32 v61, vcc, 0x5000, v63
	v_addc_co_u32_e32 v62, vcc, 0, v64, vcc
	;; [unrolled: 2-line block ×4, first 2 shown]
	global_load_dwordx2 v[55:56], v[57:58], off
	s_nop 0
	global_load_dwordx2 v[57:58], v[57:58], off offset:2048
	s_nop 0
	global_load_dwordx2 v[59:60], v[61:62], off
	s_nop 0
	global_load_dwordx2 v[61:62], v[61:62], off offset:2048
	s_nop 0
	;; [unrolled: 4-line block ×3, first 2 shown]
	global_load_dwordx2 v[67:68], v[69:70], off
	s_nop 0
	global_load_dwordx2 v[69:70], v[69:70], off offset:2048
	s_mov_b64 s[22:23], 0
.LBB812_18:                             ;   in Loop: Header=BB812_16 Depth=2
	s_andn2_b64 vcc, exec, s[22:23]
	s_movk_i32 s24, 0x1000
	s_cbranch_vccnz .LBB812_37
; %bb.19:                               ;   in Loop: Header=BB812_16 Depth=2
	s_lshl_b64 s[22:23], s[92:93], 3
	s_add_u32 s22, s80, s22
	s_addc_u32 s23, s81, s23
	v_cmp_gt_u32_e32 vcc, s8, v0
	s_and_saveexec_b64 s[24:25], vcc
	s_cbranch_execnz .LBB812_69
; %bb.20:                               ;   in Loop: Header=BB812_16 Depth=2
	s_or_b64 exec, exec, s[24:25]
	v_cmp_gt_u32_e32 vcc, s8, v74
	s_and_saveexec_b64 s[24:25], vcc
	s_cbranch_execnz .LBB812_70
.LBB812_21:                             ;   in Loop: Header=BB812_16 Depth=2
	s_or_b64 exec, exec, s[24:25]
	v_cmp_gt_u32_e32 vcc, s8, v77
	s_and_saveexec_b64 s[24:25], vcc
	s_cbranch_execnz .LBB812_71
.LBB812_22:                             ;   in Loop: Header=BB812_16 Depth=2
	s_or_b64 exec, exec, s[24:25]
	v_cmp_gt_u32_e32 vcc, s8, v78
	s_and_saveexec_b64 s[24:25], vcc
	s_cbranch_execnz .LBB812_72
.LBB812_23:                             ;   in Loop: Header=BB812_16 Depth=2
	s_or_b64 exec, exec, s[24:25]
	v_cmp_gt_u32_e32 vcc, s8, v79
	s_and_saveexec_b64 s[24:25], vcc
	s_cbranch_execnz .LBB812_73
.LBB812_24:                             ;   in Loop: Header=BB812_16 Depth=2
	s_or_b64 exec, exec, s[24:25]
	v_cmp_gt_u32_e32 vcc, s8, v80
	s_and_saveexec_b64 s[24:25], vcc
	s_cbranch_execnz .LBB812_74
.LBB812_25:                             ;   in Loop: Header=BB812_16 Depth=2
	s_or_b64 exec, exec, s[24:25]
	v_cmp_gt_u32_e32 vcc, s8, v81
	s_and_saveexec_b64 s[24:25], vcc
	s_cbranch_execnz .LBB812_75
.LBB812_26:                             ;   in Loop: Header=BB812_16 Depth=2
	s_or_b64 exec, exec, s[24:25]
	v_cmp_gt_u32_e32 vcc, s8, v82
	s_and_saveexec_b64 s[24:25], vcc
	s_cbranch_execnz .LBB812_76
.LBB812_27:                             ;   in Loop: Header=BB812_16 Depth=2
	s_or_b64 exec, exec, s[24:25]
	v_cmp_gt_u32_e32 vcc, s8, v83
	s_and_saveexec_b64 s[24:25], vcc
	s_cbranch_execnz .LBB812_77
.LBB812_28:                             ;   in Loop: Header=BB812_16 Depth=2
	s_or_b64 exec, exec, s[24:25]
	v_cmp_gt_u32_e32 vcc, s8, v84
	s_and_saveexec_b64 s[24:25], vcc
	s_cbranch_execnz .LBB812_78
.LBB812_29:                             ;   in Loop: Header=BB812_16 Depth=2
	s_or_b64 exec, exec, s[24:25]
	v_cmp_gt_u32_e32 vcc, s8, v85
	s_and_saveexec_b64 s[24:25], vcc
	s_cbranch_execnz .LBB812_79
.LBB812_30:                             ;   in Loop: Header=BB812_16 Depth=2
	s_or_b64 exec, exec, s[24:25]
	v_cmp_gt_u32_e32 vcc, s8, v86
	s_and_saveexec_b64 s[24:25], vcc
	s_cbranch_execnz .LBB812_80
.LBB812_31:                             ;   in Loop: Header=BB812_16 Depth=2
	s_or_b64 exec, exec, s[24:25]
	v_cmp_gt_u32_e32 vcc, s8, v87
	s_and_saveexec_b64 s[24:25], vcc
	s_cbranch_execnz .LBB812_81
.LBB812_32:                             ;   in Loop: Header=BB812_16 Depth=2
	s_or_b64 exec, exec, s[24:25]
	v_cmp_gt_u32_e32 vcc, s8, v88
	s_and_saveexec_b64 s[24:25], vcc
	s_cbranch_execnz .LBB812_82
.LBB812_33:                             ;   in Loop: Header=BB812_16 Depth=2
	s_or_b64 exec, exec, s[24:25]
	v_cmp_gt_u32_e32 vcc, s8, v89
	s_and_saveexec_b64 s[24:25], vcc
	s_cbranch_execnz .LBB812_83
.LBB812_34:                             ;   in Loop: Header=BB812_16 Depth=2
	s_or_b64 exec, exec, s[24:25]
	v_cmp_gt_u32_e32 vcc, s8, v90
	s_and_saveexec_b64 s[24:25], vcc
	s_cbranch_execz .LBB812_36
.LBB812_35:                             ;   in Loop: Header=BB812_16 Depth=2
	global_load_dwordx2 v[7:8], v134, s[22:23]
.LBB812_36:                             ;   in Loop: Header=BB812_16 Depth=2
	s_or_b64 exec, exec, s[24:25]
	s_waitcnt vmcnt(0)
	v_mov_b32_e32 v40, v38
	v_mov_b32_e32 v42, v36
	;; [unrolled: 1-line block ×16, first 2 shown]
	s_mov_b32 s24, s8
	v_mov_b32_e32 v39, v37
	v_mov_b32_e32 v41, v35
	;; [unrolled: 1-line block ×16, first 2 shown]
.LBB812_37:                             ;   in Loop: Header=BB812_16 Depth=2
	s_waitcnt vmcnt(0)
	v_mov_b32_e32 v7, v69
	v_mov_b32_e32 v9, v67
	;; [unrolled: 1-line block ×32, first 2 shown]
	v_cmp_gt_u32_e32 vcc, s24, v0
	s_and_saveexec_b64 s[22:23], vcc
	s_cbranch_execnz .LBB812_53
; %bb.38:                               ;   in Loop: Header=BB812_16 Depth=2
	s_or_b64 exec, exec, s[22:23]
	v_cmp_gt_u32_e32 vcc, s24, v74
	s_and_saveexec_b64 s[22:23], vcc
	s_cbranch_execnz .LBB812_54
.LBB812_39:                             ;   in Loop: Header=BB812_16 Depth=2
	s_or_b64 exec, exec, s[22:23]
	v_cmp_gt_u32_e32 vcc, s24, v77
	s_and_saveexec_b64 s[22:23], vcc
	s_cbranch_execnz .LBB812_55
.LBB812_40:                             ;   in Loop: Header=BB812_16 Depth=2
	s_or_b64 exec, exec, s[22:23]
	v_cmp_gt_u32_e32 vcc, s24, v78
	s_and_saveexec_b64 s[22:23], vcc
	s_cbranch_execnz .LBB812_56
.LBB812_41:                             ;   in Loop: Header=BB812_16 Depth=2
	s_or_b64 exec, exec, s[22:23]
	v_cmp_gt_u32_e32 vcc, s24, v79
	s_and_saveexec_b64 s[22:23], vcc
	s_cbranch_execnz .LBB812_57
.LBB812_42:                             ;   in Loop: Header=BB812_16 Depth=2
	s_or_b64 exec, exec, s[22:23]
	v_cmp_gt_u32_e32 vcc, s24, v80
	s_and_saveexec_b64 s[22:23], vcc
	s_cbranch_execnz .LBB812_58
.LBB812_43:                             ;   in Loop: Header=BB812_16 Depth=2
	s_or_b64 exec, exec, s[22:23]
	v_cmp_gt_u32_e32 vcc, s24, v81
	s_and_saveexec_b64 s[22:23], vcc
	s_cbranch_execnz .LBB812_59
.LBB812_44:                             ;   in Loop: Header=BB812_16 Depth=2
	s_or_b64 exec, exec, s[22:23]
	v_cmp_gt_u32_e32 vcc, s24, v82
	s_and_saveexec_b64 s[22:23], vcc
	s_cbranch_execnz .LBB812_60
.LBB812_45:                             ;   in Loop: Header=BB812_16 Depth=2
	s_or_b64 exec, exec, s[22:23]
	v_cmp_gt_u32_e32 vcc, s24, v83
	s_and_saveexec_b64 s[22:23], vcc
	s_cbranch_execnz .LBB812_61
.LBB812_46:                             ;   in Loop: Header=BB812_16 Depth=2
	s_or_b64 exec, exec, s[22:23]
	v_cmp_gt_u32_e32 vcc, s24, v84
	s_and_saveexec_b64 s[22:23], vcc
	s_cbranch_execnz .LBB812_62
.LBB812_47:                             ;   in Loop: Header=BB812_16 Depth=2
	s_or_b64 exec, exec, s[22:23]
	v_cmp_gt_u32_e32 vcc, s24, v85
	s_and_saveexec_b64 s[22:23], vcc
	s_cbranch_execnz .LBB812_63
.LBB812_48:                             ;   in Loop: Header=BB812_16 Depth=2
	s_or_b64 exec, exec, s[22:23]
	v_cmp_gt_u32_e32 vcc, s24, v86
	s_and_saveexec_b64 s[22:23], vcc
	s_cbranch_execnz .LBB812_64
.LBB812_49:                             ;   in Loop: Header=BB812_16 Depth=2
	s_or_b64 exec, exec, s[22:23]
	v_cmp_gt_u32_e32 vcc, s24, v87
	s_and_saveexec_b64 s[22:23], vcc
	s_cbranch_execnz .LBB812_65
.LBB812_50:                             ;   in Loop: Header=BB812_16 Depth=2
	s_or_b64 exec, exec, s[22:23]
	v_cmp_gt_u32_e32 vcc, s24, v88
	s_and_saveexec_b64 s[22:23], vcc
	s_cbranch_execnz .LBB812_66
.LBB812_51:                             ;   in Loop: Header=BB812_16 Depth=2
	s_or_b64 exec, exec, s[22:23]
	v_cmp_gt_u32_e32 vcc, s24, v89
	s_and_saveexec_b64 s[22:23], vcc
	s_cbranch_execnz .LBB812_67
.LBB812_52:                             ;   in Loop: Header=BB812_16 Depth=2
	s_or_b64 exec, exec, s[22:23]
	v_cmp_gt_u32_e32 vcc, s24, v90
	s_and_saveexec_b64 s[22:23], vcc
	s_cbranch_execz .LBB812_15
	s_branch .LBB812_68
.LBB812_53:                             ;   in Loop: Header=BB812_16 Depth=2
	v_xor_b32_e32 v40, 0x80000000, v38
	v_mov_b32_e32 v39, v37
	v_lshrrev_b64 v[39:40], s88, v[39:40]
	v_and_b32_e32 v4, s99, v39
	v_lshl_or_b32 v4, v4, 4, v91
	ds_add_u32 v4, v119
	s_or_b64 exec, exec, s[22:23]
	v_cmp_gt_u32_e32 vcc, s24, v74
	s_and_saveexec_b64 s[22:23], vcc
	s_cbranch_execz .LBB812_39
.LBB812_54:                             ;   in Loop: Header=BB812_16 Depth=2
	v_xor_b32_e32 v40, 0x80000000, v36
	v_mov_b32_e32 v39, v35
	v_lshrrev_b64 v[39:40], s88, v[39:40]
	v_and_b32_e32 v4, s99, v39
	v_lshl_or_b32 v4, v4, 4, v91
	ds_add_u32 v4, v119
	s_or_b64 exec, exec, s[22:23]
	v_cmp_gt_u32_e32 vcc, s24, v77
	s_and_saveexec_b64 s[22:23], vcc
	s_cbranch_execz .LBB812_40
.LBB812_55:                             ;   in Loop: Header=BB812_16 Depth=2
	v_xor_b32_e32 v40, 0x80000000, v34
	v_mov_b32_e32 v39, v33
	v_lshrrev_b64 v[39:40], s88, v[39:40]
	v_and_b32_e32 v4, s99, v39
	v_lshl_or_b32 v4, v4, 4, v91
	ds_add_u32 v4, v119
	s_or_b64 exec, exec, s[22:23]
	v_cmp_gt_u32_e32 vcc, s24, v78
	s_and_saveexec_b64 s[22:23], vcc
	s_cbranch_execz .LBB812_41
.LBB812_56:                             ;   in Loop: Header=BB812_16 Depth=2
	v_xor_b32_e32 v40, 0x80000000, v32
	v_mov_b32_e32 v39, v31
	v_lshrrev_b64 v[39:40], s88, v[39:40]
	v_and_b32_e32 v4, s99, v39
	v_lshl_or_b32 v4, v4, 4, v91
	ds_add_u32 v4, v119
	s_or_b64 exec, exec, s[22:23]
	v_cmp_gt_u32_e32 vcc, s24, v79
	s_and_saveexec_b64 s[22:23], vcc
	s_cbranch_execz .LBB812_42
.LBB812_57:                             ;   in Loop: Header=BB812_16 Depth=2
	v_xor_b32_e32 v40, 0x80000000, v30
	v_mov_b32_e32 v39, v29
	v_lshrrev_b64 v[39:40], s88, v[39:40]
	v_and_b32_e32 v4, s99, v39
	v_lshl_or_b32 v4, v4, 4, v91
	ds_add_u32 v4, v119
	s_or_b64 exec, exec, s[22:23]
	v_cmp_gt_u32_e32 vcc, s24, v80
	s_and_saveexec_b64 s[22:23], vcc
	s_cbranch_execz .LBB812_43
.LBB812_58:                             ;   in Loop: Header=BB812_16 Depth=2
	v_xor_b32_e32 v40, 0x80000000, v28
	v_mov_b32_e32 v39, v27
	v_lshrrev_b64 v[39:40], s88, v[39:40]
	v_and_b32_e32 v4, s99, v39
	v_lshl_or_b32 v4, v4, 4, v91
	ds_add_u32 v4, v119
	s_or_b64 exec, exec, s[22:23]
	v_cmp_gt_u32_e32 vcc, s24, v81
	s_and_saveexec_b64 s[22:23], vcc
	s_cbranch_execz .LBB812_44
.LBB812_59:                             ;   in Loop: Header=BB812_16 Depth=2
	v_xor_b32_e32 v40, 0x80000000, v26
	v_mov_b32_e32 v39, v25
	v_lshrrev_b64 v[39:40], s88, v[39:40]
	v_and_b32_e32 v4, s99, v39
	v_lshl_or_b32 v4, v4, 4, v91
	ds_add_u32 v4, v119
	s_or_b64 exec, exec, s[22:23]
	v_cmp_gt_u32_e32 vcc, s24, v82
	s_and_saveexec_b64 s[22:23], vcc
	s_cbranch_execz .LBB812_45
.LBB812_60:                             ;   in Loop: Header=BB812_16 Depth=2
	v_xor_b32_e32 v40, 0x80000000, v24
	v_mov_b32_e32 v39, v23
	v_lshrrev_b64 v[39:40], s88, v[39:40]
	v_and_b32_e32 v4, s99, v39
	v_lshl_or_b32 v4, v4, 4, v91
	ds_add_u32 v4, v119
	s_or_b64 exec, exec, s[22:23]
	v_cmp_gt_u32_e32 vcc, s24, v83
	s_and_saveexec_b64 s[22:23], vcc
	s_cbranch_execz .LBB812_46
.LBB812_61:                             ;   in Loop: Header=BB812_16 Depth=2
	v_xor_b32_e32 v40, 0x80000000, v22
	v_mov_b32_e32 v39, v21
	v_lshrrev_b64 v[39:40], s88, v[39:40]
	v_and_b32_e32 v4, s99, v39
	v_lshl_or_b32 v4, v4, 4, v91
	ds_add_u32 v4, v119
	s_or_b64 exec, exec, s[22:23]
	v_cmp_gt_u32_e32 vcc, s24, v84
	s_and_saveexec_b64 s[22:23], vcc
	s_cbranch_execz .LBB812_47
.LBB812_62:                             ;   in Loop: Header=BB812_16 Depth=2
	v_xor_b32_e32 v40, 0x80000000, v20
	v_mov_b32_e32 v39, v19
	v_lshrrev_b64 v[39:40], s88, v[39:40]
	v_and_b32_e32 v4, s99, v39
	v_lshl_or_b32 v4, v4, 4, v91
	ds_add_u32 v4, v119
	s_or_b64 exec, exec, s[22:23]
	v_cmp_gt_u32_e32 vcc, s24, v85
	s_and_saveexec_b64 s[22:23], vcc
	s_cbranch_execz .LBB812_48
.LBB812_63:                             ;   in Loop: Header=BB812_16 Depth=2
	v_xor_b32_e32 v40, 0x80000000, v18
	v_mov_b32_e32 v39, v17
	v_lshrrev_b64 v[39:40], s88, v[39:40]
	v_and_b32_e32 v4, s99, v39
	v_lshl_or_b32 v4, v4, 4, v91
	ds_add_u32 v4, v119
	s_or_b64 exec, exec, s[22:23]
	v_cmp_gt_u32_e32 vcc, s24, v86
	s_and_saveexec_b64 s[22:23], vcc
	s_cbranch_execz .LBB812_49
.LBB812_64:                             ;   in Loop: Header=BB812_16 Depth=2
	v_xor_b32_e32 v40, 0x80000000, v16
	v_mov_b32_e32 v39, v15
	v_lshrrev_b64 v[39:40], s88, v[39:40]
	v_and_b32_e32 v4, s99, v39
	v_lshl_or_b32 v4, v4, 4, v91
	ds_add_u32 v4, v119
	s_or_b64 exec, exec, s[22:23]
	v_cmp_gt_u32_e32 vcc, s24, v87
	s_and_saveexec_b64 s[22:23], vcc
	s_cbranch_execz .LBB812_50
.LBB812_65:                             ;   in Loop: Header=BB812_16 Depth=2
	v_xor_b32_e32 v40, 0x80000000, v14
	v_mov_b32_e32 v39, v13
	v_lshrrev_b64 v[39:40], s88, v[39:40]
	v_and_b32_e32 v4, s99, v39
	v_lshl_or_b32 v4, v4, 4, v91
	ds_add_u32 v4, v119
	s_or_b64 exec, exec, s[22:23]
	v_cmp_gt_u32_e32 vcc, s24, v88
	s_and_saveexec_b64 s[22:23], vcc
	s_cbranch_execz .LBB812_51
.LBB812_66:                             ;   in Loop: Header=BB812_16 Depth=2
	v_xor_b32_e32 v40, 0x80000000, v12
	v_mov_b32_e32 v39, v11
	v_lshrrev_b64 v[39:40], s88, v[39:40]
	v_and_b32_e32 v4, s99, v39
	v_lshl_or_b32 v4, v4, 4, v91
	ds_add_u32 v4, v119
	s_or_b64 exec, exec, s[22:23]
	v_cmp_gt_u32_e32 vcc, s24, v89
	s_and_saveexec_b64 s[22:23], vcc
	s_cbranch_execz .LBB812_52
.LBB812_67:                             ;   in Loop: Header=BB812_16 Depth=2
	v_xor_b32_e32 v40, 0x80000000, v10
	v_mov_b32_e32 v39, v9
	v_lshrrev_b64 v[39:40], s88, v[39:40]
	v_and_b32_e32 v4, s99, v39
	v_lshl_or_b32 v4, v4, 4, v91
	ds_add_u32 v4, v119
	s_or_b64 exec, exec, s[22:23]
	v_cmp_gt_u32_e32 vcc, s24, v90
	s_and_saveexec_b64 s[22:23], vcc
	s_cbranch_execz .LBB812_15
.LBB812_68:                             ;   in Loop: Header=BB812_16 Depth=2
	v_xor_b32_e32 v40, 0x80000000, v8
	v_mov_b32_e32 v39, v7
	v_lshrrev_b64 v[39:40], s88, v[39:40]
	v_and_b32_e32 v4, s99, v39
	v_lshl_or_b32 v4, v4, 4, v91
	ds_add_u32 v4, v119
	s_branch .LBB812_15
.LBB812_69:                             ;   in Loop: Header=BB812_16 Depth=2
	global_load_dwordx2 v[37:38], v120, s[22:23]
	s_or_b64 exec, exec, s[24:25]
	v_cmp_gt_u32_e32 vcc, s8, v74
	s_and_saveexec_b64 s[24:25], vcc
	s_cbranch_execz .LBB812_21
.LBB812_70:                             ;   in Loop: Header=BB812_16 Depth=2
	global_load_dwordx2 v[35:36], v120, s[22:23] offset:2048
	s_or_b64 exec, exec, s[24:25]
	v_cmp_gt_u32_e32 vcc, s8, v77
	s_and_saveexec_b64 s[24:25], vcc
	s_cbranch_execz .LBB812_22
.LBB812_71:                             ;   in Loop: Header=BB812_16 Depth=2
	global_load_dwordx2 v[33:34], v121, s[22:23]
	s_or_b64 exec, exec, s[24:25]
	v_cmp_gt_u32_e32 vcc, s8, v78
	s_and_saveexec_b64 s[24:25], vcc
	s_cbranch_execz .LBB812_23
.LBB812_72:                             ;   in Loop: Header=BB812_16 Depth=2
	global_load_dwordx2 v[31:32], v122, s[22:23]
	s_or_b64 exec, exec, s[24:25]
	v_cmp_gt_u32_e32 vcc, s8, v79
	s_and_saveexec_b64 s[24:25], vcc
	s_cbranch_execz .LBB812_24
.LBB812_73:                             ;   in Loop: Header=BB812_16 Depth=2
	global_load_dwordx2 v[29:30], v123, s[22:23]
	s_or_b64 exec, exec, s[24:25]
	v_cmp_gt_u32_e32 vcc, s8, v80
	s_and_saveexec_b64 s[24:25], vcc
	s_cbranch_execz .LBB812_25
.LBB812_74:                             ;   in Loop: Header=BB812_16 Depth=2
	global_load_dwordx2 v[27:28], v124, s[22:23]
	s_or_b64 exec, exec, s[24:25]
	v_cmp_gt_u32_e32 vcc, s8, v81
	s_and_saveexec_b64 s[24:25], vcc
	s_cbranch_execz .LBB812_26
.LBB812_75:                             ;   in Loop: Header=BB812_16 Depth=2
	global_load_dwordx2 v[25:26], v125, s[22:23]
	s_or_b64 exec, exec, s[24:25]
	v_cmp_gt_u32_e32 vcc, s8, v82
	s_and_saveexec_b64 s[24:25], vcc
	s_cbranch_execz .LBB812_27
.LBB812_76:                             ;   in Loop: Header=BB812_16 Depth=2
	global_load_dwordx2 v[23:24], v126, s[22:23]
	s_or_b64 exec, exec, s[24:25]
	v_cmp_gt_u32_e32 vcc, s8, v83
	s_and_saveexec_b64 s[24:25], vcc
	s_cbranch_execz .LBB812_28
.LBB812_77:                             ;   in Loop: Header=BB812_16 Depth=2
	global_load_dwordx2 v[21:22], v127, s[22:23]
	s_or_b64 exec, exec, s[24:25]
	v_cmp_gt_u32_e32 vcc, s8, v84
	s_and_saveexec_b64 s[24:25], vcc
	s_cbranch_execz .LBB812_29
.LBB812_78:                             ;   in Loop: Header=BB812_16 Depth=2
	global_load_dwordx2 v[19:20], v128, s[22:23]
	s_or_b64 exec, exec, s[24:25]
	v_cmp_gt_u32_e32 vcc, s8, v85
	s_and_saveexec_b64 s[24:25], vcc
	s_cbranch_execz .LBB812_30
.LBB812_79:                             ;   in Loop: Header=BB812_16 Depth=2
	global_load_dwordx2 v[17:18], v129, s[22:23]
	s_or_b64 exec, exec, s[24:25]
	v_cmp_gt_u32_e32 vcc, s8, v86
	s_and_saveexec_b64 s[24:25], vcc
	s_cbranch_execz .LBB812_31
.LBB812_80:                             ;   in Loop: Header=BB812_16 Depth=2
	global_load_dwordx2 v[15:16], v130, s[22:23]
	s_or_b64 exec, exec, s[24:25]
	v_cmp_gt_u32_e32 vcc, s8, v87
	s_and_saveexec_b64 s[24:25], vcc
	s_cbranch_execz .LBB812_32
.LBB812_81:                             ;   in Loop: Header=BB812_16 Depth=2
	global_load_dwordx2 v[13:14], v131, s[22:23]
	s_or_b64 exec, exec, s[24:25]
	v_cmp_gt_u32_e32 vcc, s8, v88
	s_and_saveexec_b64 s[24:25], vcc
	s_cbranch_execz .LBB812_33
.LBB812_82:                             ;   in Loop: Header=BB812_16 Depth=2
	global_load_dwordx2 v[11:12], v132, s[22:23]
	s_or_b64 exec, exec, s[24:25]
	v_cmp_gt_u32_e32 vcc, s8, v89
	s_and_saveexec_b64 s[24:25], vcc
	s_cbranch_execz .LBB812_34
.LBB812_83:                             ;   in Loop: Header=BB812_16 Depth=2
	global_load_dwordx2 v[9:10], v133, s[22:23]
	s_or_b64 exec, exec, s[24:25]
	v_cmp_gt_u32_e32 vcc, s8, v90
	s_and_saveexec_b64 s[24:25], vcc
	s_cbranch_execnz .LBB812_35
	s_branch .LBB812_36
.LBB812_84:                             ;   in Loop: Header=BB812_12 Depth=1
	v_mov_b32_e32 v4, 0
	s_waitcnt lgkmcnt(0)
	s_barrier
	s_and_saveexec_b64 s[22:23], s[4:5]
	s_cbranch_execz .LBB812_86
; %bb.85:                               ;   in Loop: Header=BB812_12 Depth=1
	ds_read2_b64 v[7:10], v93 offset1:1
	s_waitcnt lgkmcnt(0)
	v_add_u32_e32 v4, v8, v7
	v_add3_u32 v4, v4, v9, v10
.LBB812_86:                             ;   in Loop: Header=BB812_12 Depth=1
	s_or_b64 exec, exec, s[22:23]
	v_and_b32_e32 v7, 15, v135
	v_mov_b32_dpp v8, v4 row_shr:1 row_mask:0xf bank_mask:0xf
	v_cmp_eq_u32_e64 s[22:23], 0, v7
	v_cndmask_b32_e64 v8, v8, 0, s[22:23]
	v_add_u32_e32 v4, v8, v4
	v_cmp_lt_u32_e64 s[24:25], 1, v7
	v_cmp_lt_u32_e64 s[26:27], 3, v7
	v_mov_b32_dpp v8, v4 row_shr:2 row_mask:0xf bank_mask:0xf
	v_cndmask_b32_e64 v8, 0, v8, s[24:25]
	v_add_u32_e32 v4, v4, v8
	v_cmp_lt_u32_e64 s[28:29], 7, v7
	v_cmp_lt_u32_e64 s[34:35], 31, v135
	v_mov_b32_dpp v8, v4 row_shr:4 row_mask:0xf bank_mask:0xf
	v_cndmask_b32_e64 v8, 0, v8, s[26:27]
	v_add_u32_e32 v4, v4, v8
	v_and_b32_e32 v9, 16, v135
	v_cmp_eq_u32_e64 s[30:31], 0, v9
	v_mov_b32_dpp v8, v4 row_shr:8 row_mask:0xf bank_mask:0xf
	v_cndmask_b32_e64 v7, 0, v8, s[28:29]
	v_add_u32_e32 v4, v4, v7
	v_bfe_i32 v8, v135, 4, 1
	s_nop 0
	v_mov_b32_dpp v7, v4 row_bcast:15 row_mask:0xf bank_mask:0xf
	v_and_b32_e32 v7, v8, v7
	v_add_u32_e32 v4, v4, v7
	s_nop 1
	v_mov_b32_dpp v7, v4 row_bcast:31 row_mask:0xf bank_mask:0xf
	v_cndmask_b32_e64 v7, 0, v7, s[34:35]
	v_add_u32_e32 v4, v4, v7
	s_mov_b64 s[36:37], exec
	v_readlane_b32 s8, v232, 1
	v_readlane_b32 s9, v232, 2
	s_and_b64 s[8:9], s[36:37], s[8:9]
	s_mov_b64 exec, s[8:9]
; %bb.87:                               ;   in Loop: Header=BB812_12 Depth=1
	ds_write_b32 v95, v4
; %bb.88:                               ;   in Loop: Header=BB812_12 Depth=1
	s_or_b64 exec, exec, s[36:37]
	s_waitcnt lgkmcnt(0)
	s_barrier
	s_and_saveexec_b64 s[36:37], s[10:11]
	s_cbranch_execz .LBB812_90
; %bb.89:                               ;   in Loop: Header=BB812_12 Depth=1
	ds_read_b32 v7, v96
	v_bfe_i32 v8, v135, 0, 1
	s_waitcnt lgkmcnt(0)
	v_mov_b32_dpp v9, v7 row_shr:1 row_mask:0xf bank_mask:0xf
	v_and_b32_e32 v8, v8, v9
	v_add_u32_e32 v7, v8, v7
	ds_write_b32 v96, v7
.LBB812_90:                             ;   in Loop: Header=BB812_12 Depth=1
	s_or_b64 exec, exec, s[36:37]
	v_mov_b32_e32 v7, 0
	s_waitcnt lgkmcnt(0)
	s_barrier
	s_and_saveexec_b64 s[36:37], s[12:13]
; %bb.91:                               ;   in Loop: Header=BB812_12 Depth=1
	ds_read_b32 v7, v97
; %bb.92:                               ;   in Loop: Header=BB812_12 Depth=1
	s_or_b64 exec, exec, s[36:37]
	v_subrev_co_u32_e64 v8, s[36:37], 1, v135
	v_and_b32_e32 v9, 64, v135
	v_cmp_lt_i32_e32 vcc, v8, v9
	v_cndmask_b32_e32 v8, v8, v135, vcc
	s_waitcnt lgkmcnt(0)
	v_add_u32_e32 v4, v7, v4
	v_lshlrev_b32_e32 v136, 2, v8
	ds_bpermute_b32 v4, v136, v4
	s_waitcnt lgkmcnt(0)
	s_barrier
	s_and_saveexec_b64 s[38:39], s[4:5]
; %bb.93:                               ;   in Loop: Header=BB812_12 Depth=1
	v_cndmask_b32_e64 v4, v4, v7, s[36:37]
	v_add_u32_e32 v4, s96, v4
	ds_write_b32 v73, v4
; %bb.94:                               ;   in Loop: Header=BB812_12 Depth=1
	s_or_b64 exec, exec, s[38:39]
	s_load_dword s8, s[94:95], 0x4
	s_load_dword s42, s[94:95], 0xc
	v_readlane_b32 s9, v232, 0
	v_and_b32_e32 v39, 3, v135
	v_and_b32_e32 v40, 63, v135
	s_waitcnt lgkmcnt(0)
	s_cmp_lt_u32 s9, s8
	s_cselect_b32 s8, 14, 20
	s_add_u32 s8, s94, s8
	s_addc_u32 s9, s95, 0
	global_load_ushort v4, v3, s[8:9]
	s_and_b32 s8, s42, 0xffff
	v_cmp_eq_u32_e64 s[38:39], 0, v39
	v_cmp_lt_u32_e64 s[40:41], 1, v39
	v_lshlrev_b32_e32 v41, 3, v40
	v_or_b32_e32 v153, v40, v98
	v_add_co_u32_e32 v154, vcc, v102, v41
	v_addc_co_u32_e32 v155, vcc, 0, v103, vcc
	v_add_co_u32_e32 v171, vcc, v104, v41
	s_mov_b32 s91, s33
	v_or_b32_e32 v156, 64, v153
	v_or_b32_e32 v157, 0x80, v153
	;; [unrolled: 1-line block ×15, first 2 shown]
	v_addc_co_u32_e32 v172, vcc, 0, v105, vcc
	s_mov_b32 s92, s96
                                        ; implicit-def: $vgpr7_vgpr8
                                        ; implicit-def: $vgpr9_vgpr10
                                        ; implicit-def: $vgpr11_vgpr12
                                        ; implicit-def: $vgpr15_vgpr16
                                        ; implicit-def: $vgpr19_vgpr20
                                        ; implicit-def: $vgpr23_vgpr24
                                        ; implicit-def: $vgpr27_vgpr28
                                        ; implicit-def: $vgpr31_vgpr32
                                        ; implicit-def: $vgpr13_vgpr14
                                        ; implicit-def: $vgpr17_vgpr18
                                        ; implicit-def: $vgpr21_vgpr22
                                        ; implicit-def: $vgpr25_vgpr26
                                        ; implicit-def: $vgpr29_vgpr30
                                        ; implicit-def: $vgpr33_vgpr34
                                        ; implicit-def: $vgpr35_vgpr36
                                        ; implicit-def: $vgpr37_vgpr38
                                        ; implicit-def: $vgpr137
                                        ; implicit-def: $vgpr138
                                        ; implicit-def: $vgpr139
                                        ; implicit-def: $vgpr140
                                        ; implicit-def: $vgpr141
                                        ; implicit-def: $vgpr142
                                        ; implicit-def: $vgpr143
                                        ; implicit-def: $vgpr144
                                        ; implicit-def: $vgpr145
                                        ; implicit-def: $vgpr146
                                        ; implicit-def: $vgpr147
                                        ; implicit-def: $vgpr148
                                        ; implicit-def: $vgpr149
                                        ; implicit-def: $vgpr150
                                        ; implicit-def: $vgpr151
                                        ; implicit-def: $vgpr152
                                        ; implicit-def: $vgpr174
                                        ; implicit-def: $vgpr175
	s_waitcnt vmcnt(0)
	v_mad_u32_u24 v4, v2, v4, v1
	v_mad_u64_u32 v[39:40], s[8:9], v4, s8, v[0:1]
	v_lshrrev_b32_e32 v4, 4, v39
	v_and_b32_e32 v173, 0xffffffc, v4
	s_branch .LBB812_96
.LBB812_95:                             ;   in Loop: Header=BB812_96 Depth=2
	s_or_b64 exec, exec, s[42:43]
	s_addk_i32 s91, 0xf000
	s_cmp_lt_u32 s8, s97
	s_mov_b32 s92, s8
	s_cbranch_scc0 .LBB812_306
.LBB812_96:                             ;   Parent Loop BB812_12 Depth=1
                                        ; =>  This Inner Loop Header: Depth=2
	s_add_i32 s8, s92, 0x1000
	s_cmp_gt_u32 s8, s97
	s_cbranch_scc1 .LBB812_98
; %bb.97:                               ;   in Loop: Header=BB812_96 Depth=2
	s_lshl_b64 s[42:43], s[92:93], 3
	v_mov_b32_e32 v4, s43
	v_add_co_u32_e32 v55, vcc, s42, v171
	v_addc_co_u32_e32 v56, vcc, v172, v4, vcc
	v_add_co_u32_e32 v67, vcc, 0x1000, v55
	global_load_dwordx2 v[41:42], v[55:56], off
	global_load_dwordx2 v[39:40], v[55:56], off offset:512
	global_load_dwordx2 v[43:44], v[55:56], off offset:1024
	global_load_dwordx2 v[45:46], v[55:56], off offset:1536
	global_load_dwordx2 v[47:48], v[55:56], off offset:2048
	global_load_dwordx2 v[49:50], v[55:56], off offset:2560
	global_load_dwordx2 v[51:52], v[55:56], off offset:3072
	global_load_dwordx2 v[53:54], v[55:56], off offset:3584
	v_addc_co_u32_e32 v68, vcc, 0, v56, vcc
	global_load_dwordx2 v[55:56], v[67:68], off
	global_load_dwordx2 v[57:58], v[67:68], off offset:512
	global_load_dwordx2 v[59:60], v[67:68], off offset:1024
	;; [unrolled: 1-line block ×5, first 2 shown]
	s_nop 0
	global_load_dwordx2 v[67:68], v[67:68], off offset:3072
	s_mov_b64 s[42:43], -1
	s_movk_i32 s9, 0x1000
	s_cbranch_execz .LBB812_99
	s_branch .LBB812_130
.LBB812_98:                             ;   in Loop: Header=BB812_96 Depth=2
	s_mov_b64 s[42:43], 0
                                        ; implicit-def: $vgpr41_vgpr42
                                        ; implicit-def: $vgpr39_vgpr40
                                        ; implicit-def: $vgpr43_vgpr44
                                        ; implicit-def: $vgpr45_vgpr46
                                        ; implicit-def: $vgpr47_vgpr48
                                        ; implicit-def: $vgpr49_vgpr50
                                        ; implicit-def: $vgpr51_vgpr52
                                        ; implicit-def: $vgpr53_vgpr54
                                        ; implicit-def: $vgpr55_vgpr56
                                        ; implicit-def: $vgpr57_vgpr58
                                        ; implicit-def: $vgpr59_vgpr60
                                        ; implicit-def: $vgpr61_vgpr62
                                        ; implicit-def: $vgpr63_vgpr64
                                        ; implicit-def: $vgpr65_vgpr66
                                        ; implicit-def: $vgpr67_vgpr68
	s_movk_i32 s9, 0x1000
.LBB812_99:                             ;   in Loop: Header=BB812_96 Depth=2
	s_lshl_b64 s[42:43], s[92:93], 3
	v_mov_b32_e32 v4, s43
	v_add_co_u32_e32 v69, vcc, s42, v171
	s_waitcnt vmcnt(13)
	v_mov_b32_e32 v40, v6
	v_addc_co_u32_e32 v70, vcc, v172, v4, vcc
	v_mov_b32_e32 v39, v5
	v_mov_b32_e32 v42, v40
	v_cmp_gt_u32_e32 vcc, s91, v153
	v_mov_b32_e32 v41, v39
	s_and_saveexec_b64 s[42:43], vcc
	s_cbranch_execz .LBB812_101
; %bb.100:                              ;   in Loop: Header=BB812_96 Depth=2
	global_load_dwordx2 v[41:42], v[69:70], off
.LBB812_101:                            ;   in Loop: Header=BB812_96 Depth=2
	s_or_b64 exec, exec, s[42:43]
	v_cmp_gt_u32_e32 vcc, s91, v156
	s_and_saveexec_b64 s[42:43], vcc
	s_cbranch_execz .LBB812_103
; %bb.102:                              ;   in Loop: Header=BB812_96 Depth=2
	global_load_dwordx2 v[39:40], v[69:70], off offset:512
.LBB812_103:                            ;   in Loop: Header=BB812_96 Depth=2
	s_or_b64 exec, exec, s[42:43]
	s_waitcnt vmcnt(12)
	v_mov_b32_e32 v44, v6
	v_cmp_gt_u32_e32 vcc, s91, v157
	v_mov_b32_e32 v43, v5
	s_and_saveexec_b64 s[42:43], vcc
	s_cbranch_execz .LBB812_105
; %bb.104:                              ;   in Loop: Header=BB812_96 Depth=2
	global_load_dwordx2 v[43:44], v[69:70], off offset:1024
.LBB812_105:                            ;   in Loop: Header=BB812_96 Depth=2
	s_or_b64 exec, exec, s[42:43]
	s_waitcnt vmcnt(11)
	v_mov_b32_e32 v46, v6
	v_cmp_gt_u32_e32 vcc, s91, v158
	v_mov_b32_e32 v45, v5
	;; [unrolled: 10-line block ×7, first 2 shown]
	s_and_saveexec_b64 s[42:43], vcc
	s_cbranch_execz .LBB812_117
; %bb.116:                              ;   in Loop: Header=BB812_96 Depth=2
	v_add_co_u32_e32 v55, vcc, 0x1000, v69
	v_addc_co_u32_e32 v56, vcc, 0, v70, vcc
	global_load_dwordx2 v[55:56], v[55:56], off
.LBB812_117:                            ;   in Loop: Header=BB812_96 Depth=2
	s_or_b64 exec, exec, s[42:43]
	s_waitcnt vmcnt(5)
	v_mov_b32_e32 v58, v6
	v_cmp_gt_u32_e32 vcc, s91, v164
	v_mov_b32_e32 v57, v5
	s_and_saveexec_b64 s[42:43], vcc
	s_cbranch_execz .LBB812_119
; %bb.118:                              ;   in Loop: Header=BB812_96 Depth=2
	v_add_co_u32_e32 v57, vcc, 0x1000, v69
	v_addc_co_u32_e32 v58, vcc, 0, v70, vcc
	global_load_dwordx2 v[57:58], v[57:58], off offset:512
.LBB812_119:                            ;   in Loop: Header=BB812_96 Depth=2
	s_or_b64 exec, exec, s[42:43]
	s_waitcnt vmcnt(4)
	v_mov_b32_e32 v60, v6
	v_cmp_gt_u32_e32 vcc, s91, v165
	v_mov_b32_e32 v59, v5
	s_and_saveexec_b64 s[42:43], vcc
	s_cbranch_execz .LBB812_121
; %bb.120:                              ;   in Loop: Header=BB812_96 Depth=2
	v_add_co_u32_e32 v59, vcc, 0x1000, v69
	v_addc_co_u32_e32 v60, vcc, 0, v70, vcc
	global_load_dwordx2 v[59:60], v[59:60], off offset:1024
.LBB812_121:                            ;   in Loop: Header=BB812_96 Depth=2
	;; [unrolled: 12-line block ×6, first 2 shown]
	s_or_b64 exec, exec, s[42:43]
	s_sub_i32 s9, s97, s92
	v_cmp_gt_u32_e64 s[42:43], s91, v170
.LBB812_130:                            ;   in Loop: Header=BB812_96 Depth=2
	v_mov_b32_e32 v69, -1
	v_mov_b32_e32 v70, -1
	v_mov_b32_e32 v176, s91
	s_and_saveexec_b64 s[44:45], s[42:43]
	s_cbranch_execz .LBB812_132
; %bb.131:                              ;   in Loop: Header=BB812_96 Depth=2
	s_lshl_b64 s[42:43], s[92:93], 3
	v_mov_b32_e32 v4, s43
	v_add_co_u32_e32 v69, vcc, s42, v171
	v_addc_co_u32_e32 v4, vcc, v172, v4, vcc
	v_add_co_u32_e32 v69, vcc, 0x1000, v69
	v_addc_co_u32_e32 v70, vcc, 0, v4, vcc
	global_load_dwordx2 v[69:70], v[69:70], off offset:3584
	v_mov_b32_e32 v176, s9
	s_waitcnt vmcnt(0)
	v_xor_b32_e32 v70, 0x80000000, v70
.LBB812_132:                            ;   in Loop: Header=BB812_96 Depth=2
	s_or_b64 exec, exec, s[44:45]
	s_waitcnt vmcnt(14)
	v_xor_b32_e32 v42, 0x80000000, v42
	v_lshrrev_b64 v[71:72], s88, v[41:42]
	ds_write2_b32 v92, v3, v3 offset0:132 offset1:133
	ds_write_b32 v92, v3 offset:536
	v_and_b32_e32 v71, s99, v71
	v_and_b32_e32 v4, 1, v71
	v_add_co_u32_e32 v72, vcc, -1, v4
	v_addc_co_u32_e64 v177, s[42:43], 0, -1, vcc
	v_cmp_ne_u32_e32 vcc, 0, v4
	v_xor_b32_e32 v4, vcc_hi, v177
	v_and_b32_e32 v177, exec_hi, v4
	v_lshlrev_b32_e32 v4, 30, v71
	v_xor_b32_e32 v72, vcc_lo, v72
	v_cmp_gt_i64_e32 vcc, 0, v[3:4]
	v_not_b32_e32 v4, v4
	v_ashrrev_i32_e32 v4, 31, v4
	v_and_b32_e32 v72, exec_lo, v72
	v_xor_b32_e32 v179, vcc_hi, v4
	v_xor_b32_e32 v4, vcc_lo, v4
	v_and_b32_e32 v72, v72, v4
	v_lshlrev_b32_e32 v4, 29, v71
	v_cmp_gt_i64_e32 vcc, 0, v[3:4]
	v_not_b32_e32 v4, v4
	v_ashrrev_i32_e32 v4, 31, v4
	v_and_b32_e32 v177, v177, v179
	v_xor_b32_e32 v179, vcc_hi, v4
	v_xor_b32_e32 v4, vcc_lo, v4
	v_and_b32_e32 v72, v72, v4
	v_lshlrev_b32_e32 v4, 28, v71
	v_cmp_gt_i64_e32 vcc, 0, v[3:4]
	v_not_b32_e32 v4, v4
	v_ashrrev_i32_e32 v4, 31, v4
	v_and_b32_e32 v177, v177, v179
	;; [unrolled: 8-line block ×4, first 2 shown]
	v_xor_b32_e32 v179, vcc_hi, v4
	v_xor_b32_e32 v4, vcc_lo, v4
	v_and_b32_e32 v177, v177, v179
	v_and_b32_e32 v179, v72, v4
	v_lshlrev_b32_e32 v4, 25, v71
	v_cmp_gt_i64_e32 vcc, 0, v[3:4]
	v_not_b32_e32 v4, v4
	v_ashrrev_i32_e32 v4, 31, v4
	v_mul_u32_u24_e32 v178, 20, v71
	v_xor_b32_e32 v71, vcc_hi, v4
	v_xor_b32_e32 v4, vcc_lo, v4
	v_and_b32_e32 v72, v177, v71
	v_and_b32_e32 v71, v179, v4
	v_mbcnt_lo_u32_b32 v4, v71, 0
	v_mbcnt_hi_u32_b32 v177, v72, v4
	v_cmp_ne_u64_e32 vcc, 0, v[71:72]
	v_cmp_eq_u32_e64 s[42:43], 0, v177
	s_and_b64 s[44:45], vcc, s[42:43]
	v_add_u32_e32 v179, v173, v178
	s_waitcnt vmcnt(0) lgkmcnt(0)
	s_barrier
	; wave barrier
	s_and_saveexec_b64 s[42:43], s[44:45]
; %bb.133:                              ;   in Loop: Header=BB812_96 Depth=2
	v_bcnt_u32_b32 v4, v71, 0
	v_bcnt_u32_b32 v4, v72, v4
	ds_write_b32 v179, v4 offset:528
; %bb.134:                              ;   in Loop: Header=BB812_96 Depth=2
	s_or_b64 exec, exec, s[42:43]
	v_xor_b32_e32 v40, 0x80000000, v40
	v_lshrrev_b64 v[71:72], s88, v[39:40]
	v_and_b32_e32 v71, s99, v71
	v_mad_u32_u24 v4, v71, 20, v173
	; wave barrier
	ds_read_b32 v178, v4 offset:528
	v_and_b32_e32 v4, 1, v71
	v_add_co_u32_e32 v72, vcc, -1, v4
	v_addc_co_u32_e64 v180, s[42:43], 0, -1, vcc
	v_cmp_ne_u32_e32 vcc, 0, v4
	v_xor_b32_e32 v4, vcc_hi, v180
	v_and_b32_e32 v180, exec_hi, v4
	v_lshlrev_b32_e32 v4, 30, v71
	v_xor_b32_e32 v72, vcc_lo, v72
	v_cmp_gt_i64_e32 vcc, 0, v[3:4]
	v_not_b32_e32 v4, v4
	v_ashrrev_i32_e32 v4, 31, v4
	v_and_b32_e32 v72, exec_lo, v72
	v_xor_b32_e32 v182, vcc_hi, v4
	v_xor_b32_e32 v4, vcc_lo, v4
	v_and_b32_e32 v72, v72, v4
	v_lshlrev_b32_e32 v4, 29, v71
	v_cmp_gt_i64_e32 vcc, 0, v[3:4]
	v_not_b32_e32 v4, v4
	v_ashrrev_i32_e32 v4, 31, v4
	v_and_b32_e32 v180, v180, v182
	v_xor_b32_e32 v182, vcc_hi, v4
	v_xor_b32_e32 v4, vcc_lo, v4
	v_and_b32_e32 v72, v72, v4
	v_lshlrev_b32_e32 v4, 28, v71
	v_cmp_gt_i64_e32 vcc, 0, v[3:4]
	v_not_b32_e32 v4, v4
	v_ashrrev_i32_e32 v4, 31, v4
	v_and_b32_e32 v180, v180, v182
	;; [unrolled: 8-line block ×4, first 2 shown]
	v_xor_b32_e32 v182, vcc_hi, v4
	v_xor_b32_e32 v4, vcc_lo, v4
	v_and_b32_e32 v180, v180, v182
	v_and_b32_e32 v182, v72, v4
	v_lshlrev_b32_e32 v4, 25, v71
	v_cmp_gt_i64_e32 vcc, 0, v[3:4]
	v_not_b32_e32 v4, v4
	v_ashrrev_i32_e32 v4, 31, v4
	v_mul_u32_u24_e32 v181, 20, v71
	v_xor_b32_e32 v71, vcc_hi, v4
	v_xor_b32_e32 v4, vcc_lo, v4
	v_and_b32_e32 v72, v180, v71
	v_and_b32_e32 v71, v182, v4
	v_mbcnt_lo_u32_b32 v4, v71, 0
	v_mbcnt_hi_u32_b32 v180, v72, v4
	v_cmp_ne_u64_e32 vcc, 0, v[71:72]
	v_cmp_eq_u32_e64 s[42:43], 0, v180
	s_and_b64 s[44:45], vcc, s[42:43]
	v_add_u32_e32 v182, v173, v181
	; wave barrier
	s_and_saveexec_b64 s[42:43], s[44:45]
	s_cbranch_execz .LBB812_136
; %bb.135:                              ;   in Loop: Header=BB812_96 Depth=2
	v_bcnt_u32_b32 v4, v71, 0
	v_bcnt_u32_b32 v4, v72, v4
	s_waitcnt lgkmcnt(0)
	v_add_u32_e32 v4, v178, v4
	ds_write_b32 v182, v4 offset:528
.LBB812_136:                            ;   in Loop: Header=BB812_96 Depth=2
	s_or_b64 exec, exec, s[42:43]
	v_xor_b32_e32 v44, 0x80000000, v44
	v_lshrrev_b64 v[71:72], s88, v[43:44]
	v_and_b32_e32 v71, s99, v71
	v_mad_u32_u24 v4, v71, 20, v173
	; wave barrier
	ds_read_b32 v181, v4 offset:528
	v_and_b32_e32 v4, 1, v71
	v_add_co_u32_e32 v72, vcc, -1, v4
	v_addc_co_u32_e64 v183, s[42:43], 0, -1, vcc
	v_cmp_ne_u32_e32 vcc, 0, v4
	v_xor_b32_e32 v4, vcc_hi, v183
	v_and_b32_e32 v183, exec_hi, v4
	v_lshlrev_b32_e32 v4, 30, v71
	v_xor_b32_e32 v72, vcc_lo, v72
	v_cmp_gt_i64_e32 vcc, 0, v[3:4]
	v_not_b32_e32 v4, v4
	v_ashrrev_i32_e32 v4, 31, v4
	v_and_b32_e32 v72, exec_lo, v72
	v_xor_b32_e32 v185, vcc_hi, v4
	v_xor_b32_e32 v4, vcc_lo, v4
	v_and_b32_e32 v72, v72, v4
	v_lshlrev_b32_e32 v4, 29, v71
	v_cmp_gt_i64_e32 vcc, 0, v[3:4]
	v_not_b32_e32 v4, v4
	v_ashrrev_i32_e32 v4, 31, v4
	v_and_b32_e32 v183, v183, v185
	v_xor_b32_e32 v185, vcc_hi, v4
	v_xor_b32_e32 v4, vcc_lo, v4
	v_and_b32_e32 v72, v72, v4
	v_lshlrev_b32_e32 v4, 28, v71
	v_cmp_gt_i64_e32 vcc, 0, v[3:4]
	v_not_b32_e32 v4, v4
	v_ashrrev_i32_e32 v4, 31, v4
	v_and_b32_e32 v183, v183, v185
	;; [unrolled: 8-line block ×4, first 2 shown]
	v_xor_b32_e32 v185, vcc_hi, v4
	v_xor_b32_e32 v4, vcc_lo, v4
	v_and_b32_e32 v183, v183, v185
	v_and_b32_e32 v185, v72, v4
	v_lshlrev_b32_e32 v4, 25, v71
	v_cmp_gt_i64_e32 vcc, 0, v[3:4]
	v_not_b32_e32 v4, v4
	v_ashrrev_i32_e32 v4, 31, v4
	v_mul_u32_u24_e32 v184, 20, v71
	v_xor_b32_e32 v71, vcc_hi, v4
	v_xor_b32_e32 v4, vcc_lo, v4
	v_and_b32_e32 v72, v183, v71
	v_and_b32_e32 v71, v185, v4
	v_mbcnt_lo_u32_b32 v4, v71, 0
	v_mbcnt_hi_u32_b32 v183, v72, v4
	v_cmp_ne_u64_e32 vcc, 0, v[71:72]
	v_cmp_eq_u32_e64 s[42:43], 0, v183
	s_and_b64 s[44:45], vcc, s[42:43]
	v_add_u32_e32 v185, v173, v184
	; wave barrier
	s_and_saveexec_b64 s[42:43], s[44:45]
	s_cbranch_execz .LBB812_138
; %bb.137:                              ;   in Loop: Header=BB812_96 Depth=2
	v_bcnt_u32_b32 v4, v71, 0
	v_bcnt_u32_b32 v4, v72, v4
	s_waitcnt lgkmcnt(0)
	v_add_u32_e32 v4, v181, v4
	ds_write_b32 v185, v4 offset:528
.LBB812_138:                            ;   in Loop: Header=BB812_96 Depth=2
	s_or_b64 exec, exec, s[42:43]
	v_xor_b32_e32 v46, 0x80000000, v46
	v_lshrrev_b64 v[71:72], s88, v[45:46]
	v_and_b32_e32 v71, s99, v71
	v_mad_u32_u24 v4, v71, 20, v173
	; wave barrier
	ds_read_b32 v184, v4 offset:528
	v_and_b32_e32 v4, 1, v71
	v_add_co_u32_e32 v72, vcc, -1, v4
	v_addc_co_u32_e64 v186, s[42:43], 0, -1, vcc
	v_cmp_ne_u32_e32 vcc, 0, v4
	v_xor_b32_e32 v4, vcc_hi, v186
	v_and_b32_e32 v186, exec_hi, v4
	v_lshlrev_b32_e32 v4, 30, v71
	v_xor_b32_e32 v72, vcc_lo, v72
	v_cmp_gt_i64_e32 vcc, 0, v[3:4]
	v_not_b32_e32 v4, v4
	v_ashrrev_i32_e32 v4, 31, v4
	v_and_b32_e32 v72, exec_lo, v72
	v_xor_b32_e32 v188, vcc_hi, v4
	v_xor_b32_e32 v4, vcc_lo, v4
	v_and_b32_e32 v72, v72, v4
	v_lshlrev_b32_e32 v4, 29, v71
	v_cmp_gt_i64_e32 vcc, 0, v[3:4]
	v_not_b32_e32 v4, v4
	v_ashrrev_i32_e32 v4, 31, v4
	v_and_b32_e32 v186, v186, v188
	v_xor_b32_e32 v188, vcc_hi, v4
	v_xor_b32_e32 v4, vcc_lo, v4
	v_and_b32_e32 v72, v72, v4
	v_lshlrev_b32_e32 v4, 28, v71
	v_cmp_gt_i64_e32 vcc, 0, v[3:4]
	v_not_b32_e32 v4, v4
	v_ashrrev_i32_e32 v4, 31, v4
	v_and_b32_e32 v186, v186, v188
	;; [unrolled: 8-line block ×4, first 2 shown]
	v_xor_b32_e32 v188, vcc_hi, v4
	v_xor_b32_e32 v4, vcc_lo, v4
	v_and_b32_e32 v186, v186, v188
	v_and_b32_e32 v188, v72, v4
	v_lshlrev_b32_e32 v4, 25, v71
	v_cmp_gt_i64_e32 vcc, 0, v[3:4]
	v_not_b32_e32 v4, v4
	v_ashrrev_i32_e32 v4, 31, v4
	v_mul_u32_u24_e32 v187, 20, v71
	v_xor_b32_e32 v71, vcc_hi, v4
	v_xor_b32_e32 v4, vcc_lo, v4
	v_and_b32_e32 v72, v186, v71
	v_and_b32_e32 v71, v188, v4
	v_mbcnt_lo_u32_b32 v4, v71, 0
	v_mbcnt_hi_u32_b32 v186, v72, v4
	v_cmp_ne_u64_e32 vcc, 0, v[71:72]
	v_cmp_eq_u32_e64 s[42:43], 0, v186
	s_and_b64 s[44:45], vcc, s[42:43]
	v_add_u32_e32 v188, v173, v187
	; wave barrier
	s_and_saveexec_b64 s[42:43], s[44:45]
	s_cbranch_execz .LBB812_140
; %bb.139:                              ;   in Loop: Header=BB812_96 Depth=2
	v_bcnt_u32_b32 v4, v71, 0
	v_bcnt_u32_b32 v4, v72, v4
	s_waitcnt lgkmcnt(0)
	v_add_u32_e32 v4, v184, v4
	ds_write_b32 v188, v4 offset:528
.LBB812_140:                            ;   in Loop: Header=BB812_96 Depth=2
	s_or_b64 exec, exec, s[42:43]
	v_xor_b32_e32 v48, 0x80000000, v48
	v_lshrrev_b64 v[71:72], s88, v[47:48]
	v_and_b32_e32 v71, s99, v71
	v_mad_u32_u24 v4, v71, 20, v173
	; wave barrier
	ds_read_b32 v187, v4 offset:528
	v_and_b32_e32 v4, 1, v71
	v_add_co_u32_e32 v72, vcc, -1, v4
	v_addc_co_u32_e64 v189, s[42:43], 0, -1, vcc
	v_cmp_ne_u32_e32 vcc, 0, v4
	v_xor_b32_e32 v4, vcc_hi, v189
	v_and_b32_e32 v189, exec_hi, v4
	v_lshlrev_b32_e32 v4, 30, v71
	v_xor_b32_e32 v72, vcc_lo, v72
	v_cmp_gt_i64_e32 vcc, 0, v[3:4]
	v_not_b32_e32 v4, v4
	v_ashrrev_i32_e32 v4, 31, v4
	v_and_b32_e32 v72, exec_lo, v72
	v_xor_b32_e32 v191, vcc_hi, v4
	v_xor_b32_e32 v4, vcc_lo, v4
	v_and_b32_e32 v72, v72, v4
	v_lshlrev_b32_e32 v4, 29, v71
	v_cmp_gt_i64_e32 vcc, 0, v[3:4]
	v_not_b32_e32 v4, v4
	v_ashrrev_i32_e32 v4, 31, v4
	v_and_b32_e32 v189, v189, v191
	v_xor_b32_e32 v191, vcc_hi, v4
	v_xor_b32_e32 v4, vcc_lo, v4
	v_and_b32_e32 v72, v72, v4
	v_lshlrev_b32_e32 v4, 28, v71
	v_cmp_gt_i64_e32 vcc, 0, v[3:4]
	v_not_b32_e32 v4, v4
	v_ashrrev_i32_e32 v4, 31, v4
	v_and_b32_e32 v189, v189, v191
	;; [unrolled: 8-line block ×4, first 2 shown]
	v_xor_b32_e32 v191, vcc_hi, v4
	v_xor_b32_e32 v4, vcc_lo, v4
	v_and_b32_e32 v189, v189, v191
	v_and_b32_e32 v191, v72, v4
	v_lshlrev_b32_e32 v4, 25, v71
	v_cmp_gt_i64_e32 vcc, 0, v[3:4]
	v_not_b32_e32 v4, v4
	v_ashrrev_i32_e32 v4, 31, v4
	v_mul_u32_u24_e32 v190, 20, v71
	v_xor_b32_e32 v71, vcc_hi, v4
	v_xor_b32_e32 v4, vcc_lo, v4
	v_and_b32_e32 v72, v189, v71
	v_and_b32_e32 v71, v191, v4
	v_mbcnt_lo_u32_b32 v4, v71, 0
	v_mbcnt_hi_u32_b32 v189, v72, v4
	v_cmp_ne_u64_e32 vcc, 0, v[71:72]
	v_cmp_eq_u32_e64 s[42:43], 0, v189
	s_and_b64 s[44:45], vcc, s[42:43]
	v_add_u32_e32 v191, v173, v190
	; wave barrier
	s_and_saveexec_b64 s[42:43], s[44:45]
	s_cbranch_execz .LBB812_142
; %bb.141:                              ;   in Loop: Header=BB812_96 Depth=2
	v_bcnt_u32_b32 v4, v71, 0
	v_bcnt_u32_b32 v4, v72, v4
	s_waitcnt lgkmcnt(0)
	v_add_u32_e32 v4, v187, v4
	ds_write_b32 v191, v4 offset:528
.LBB812_142:                            ;   in Loop: Header=BB812_96 Depth=2
	s_or_b64 exec, exec, s[42:43]
	v_xor_b32_e32 v50, 0x80000000, v50
	v_lshrrev_b64 v[71:72], s88, v[49:50]
	v_and_b32_e32 v71, s99, v71
	v_mad_u32_u24 v4, v71, 20, v173
	; wave barrier
	ds_read_b32 v190, v4 offset:528
	v_and_b32_e32 v4, 1, v71
	v_add_co_u32_e32 v72, vcc, -1, v4
	v_addc_co_u32_e64 v192, s[42:43], 0, -1, vcc
	v_cmp_ne_u32_e32 vcc, 0, v4
	v_xor_b32_e32 v4, vcc_hi, v192
	v_and_b32_e32 v192, exec_hi, v4
	v_lshlrev_b32_e32 v4, 30, v71
	v_xor_b32_e32 v72, vcc_lo, v72
	v_cmp_gt_i64_e32 vcc, 0, v[3:4]
	v_not_b32_e32 v4, v4
	v_ashrrev_i32_e32 v4, 31, v4
	v_and_b32_e32 v72, exec_lo, v72
	v_xor_b32_e32 v194, vcc_hi, v4
	v_xor_b32_e32 v4, vcc_lo, v4
	v_and_b32_e32 v72, v72, v4
	v_lshlrev_b32_e32 v4, 29, v71
	v_cmp_gt_i64_e32 vcc, 0, v[3:4]
	v_not_b32_e32 v4, v4
	v_ashrrev_i32_e32 v4, 31, v4
	v_and_b32_e32 v192, v192, v194
	v_xor_b32_e32 v194, vcc_hi, v4
	v_xor_b32_e32 v4, vcc_lo, v4
	v_and_b32_e32 v72, v72, v4
	v_lshlrev_b32_e32 v4, 28, v71
	v_cmp_gt_i64_e32 vcc, 0, v[3:4]
	v_not_b32_e32 v4, v4
	v_ashrrev_i32_e32 v4, 31, v4
	v_and_b32_e32 v192, v192, v194
	;; [unrolled: 8-line block ×4, first 2 shown]
	v_xor_b32_e32 v194, vcc_hi, v4
	v_xor_b32_e32 v4, vcc_lo, v4
	v_and_b32_e32 v192, v192, v194
	v_and_b32_e32 v194, v72, v4
	v_lshlrev_b32_e32 v4, 25, v71
	v_cmp_gt_i64_e32 vcc, 0, v[3:4]
	v_not_b32_e32 v4, v4
	v_ashrrev_i32_e32 v4, 31, v4
	v_mul_u32_u24_e32 v193, 20, v71
	v_xor_b32_e32 v71, vcc_hi, v4
	v_xor_b32_e32 v4, vcc_lo, v4
	v_and_b32_e32 v72, v192, v71
	v_and_b32_e32 v71, v194, v4
	v_mbcnt_lo_u32_b32 v4, v71, 0
	v_mbcnt_hi_u32_b32 v192, v72, v4
	v_cmp_ne_u64_e32 vcc, 0, v[71:72]
	v_cmp_eq_u32_e64 s[42:43], 0, v192
	s_and_b64 s[44:45], vcc, s[42:43]
	v_add_u32_e32 v194, v173, v193
	; wave barrier
	s_and_saveexec_b64 s[42:43], s[44:45]
	s_cbranch_execz .LBB812_144
; %bb.143:                              ;   in Loop: Header=BB812_96 Depth=2
	v_bcnt_u32_b32 v4, v71, 0
	v_bcnt_u32_b32 v4, v72, v4
	s_waitcnt lgkmcnt(0)
	v_add_u32_e32 v4, v190, v4
	ds_write_b32 v194, v4 offset:528
.LBB812_144:                            ;   in Loop: Header=BB812_96 Depth=2
	s_or_b64 exec, exec, s[42:43]
	v_xor_b32_e32 v52, 0x80000000, v52
	v_lshrrev_b64 v[71:72], s88, v[51:52]
	v_and_b32_e32 v71, s99, v71
	v_mad_u32_u24 v4, v71, 20, v173
	; wave barrier
	ds_read_b32 v193, v4 offset:528
	v_and_b32_e32 v4, 1, v71
	v_add_co_u32_e32 v72, vcc, -1, v4
	v_addc_co_u32_e64 v195, s[42:43], 0, -1, vcc
	v_cmp_ne_u32_e32 vcc, 0, v4
	v_xor_b32_e32 v4, vcc_hi, v195
	v_and_b32_e32 v195, exec_hi, v4
	v_lshlrev_b32_e32 v4, 30, v71
	v_xor_b32_e32 v72, vcc_lo, v72
	v_cmp_gt_i64_e32 vcc, 0, v[3:4]
	v_not_b32_e32 v4, v4
	v_ashrrev_i32_e32 v4, 31, v4
	v_and_b32_e32 v72, exec_lo, v72
	v_xor_b32_e32 v197, vcc_hi, v4
	v_xor_b32_e32 v4, vcc_lo, v4
	v_and_b32_e32 v72, v72, v4
	v_lshlrev_b32_e32 v4, 29, v71
	v_cmp_gt_i64_e32 vcc, 0, v[3:4]
	v_not_b32_e32 v4, v4
	v_ashrrev_i32_e32 v4, 31, v4
	v_and_b32_e32 v195, v195, v197
	v_xor_b32_e32 v197, vcc_hi, v4
	v_xor_b32_e32 v4, vcc_lo, v4
	v_and_b32_e32 v72, v72, v4
	v_lshlrev_b32_e32 v4, 28, v71
	v_cmp_gt_i64_e32 vcc, 0, v[3:4]
	v_not_b32_e32 v4, v4
	v_ashrrev_i32_e32 v4, 31, v4
	v_and_b32_e32 v195, v195, v197
	;; [unrolled: 8-line block ×4, first 2 shown]
	v_xor_b32_e32 v197, vcc_hi, v4
	v_xor_b32_e32 v4, vcc_lo, v4
	v_and_b32_e32 v195, v195, v197
	v_and_b32_e32 v197, v72, v4
	v_lshlrev_b32_e32 v4, 25, v71
	v_cmp_gt_i64_e32 vcc, 0, v[3:4]
	v_not_b32_e32 v4, v4
	v_ashrrev_i32_e32 v4, 31, v4
	v_mul_u32_u24_e32 v196, 20, v71
	v_xor_b32_e32 v71, vcc_hi, v4
	v_xor_b32_e32 v4, vcc_lo, v4
	v_and_b32_e32 v72, v195, v71
	v_and_b32_e32 v71, v197, v4
	v_mbcnt_lo_u32_b32 v4, v71, 0
	v_mbcnt_hi_u32_b32 v195, v72, v4
	v_cmp_ne_u64_e32 vcc, 0, v[71:72]
	v_cmp_eq_u32_e64 s[42:43], 0, v195
	s_and_b64 s[44:45], vcc, s[42:43]
	v_add_u32_e32 v197, v173, v196
	; wave barrier
	s_and_saveexec_b64 s[42:43], s[44:45]
	s_cbranch_execz .LBB812_146
; %bb.145:                              ;   in Loop: Header=BB812_96 Depth=2
	v_bcnt_u32_b32 v4, v71, 0
	v_bcnt_u32_b32 v4, v72, v4
	s_waitcnt lgkmcnt(0)
	v_add_u32_e32 v4, v193, v4
	ds_write_b32 v197, v4 offset:528
.LBB812_146:                            ;   in Loop: Header=BB812_96 Depth=2
	s_or_b64 exec, exec, s[42:43]
	v_xor_b32_e32 v54, 0x80000000, v54
	v_lshrrev_b64 v[71:72], s88, v[53:54]
	v_and_b32_e32 v71, s99, v71
	v_mad_u32_u24 v4, v71, 20, v173
	; wave barrier
	ds_read_b32 v196, v4 offset:528
	v_and_b32_e32 v4, 1, v71
	v_add_co_u32_e32 v72, vcc, -1, v4
	v_addc_co_u32_e64 v198, s[42:43], 0, -1, vcc
	v_cmp_ne_u32_e32 vcc, 0, v4
	v_xor_b32_e32 v4, vcc_hi, v198
	v_and_b32_e32 v198, exec_hi, v4
	v_lshlrev_b32_e32 v4, 30, v71
	v_xor_b32_e32 v72, vcc_lo, v72
	v_cmp_gt_i64_e32 vcc, 0, v[3:4]
	v_not_b32_e32 v4, v4
	v_ashrrev_i32_e32 v4, 31, v4
	v_and_b32_e32 v72, exec_lo, v72
	v_xor_b32_e32 v200, vcc_hi, v4
	v_xor_b32_e32 v4, vcc_lo, v4
	v_and_b32_e32 v72, v72, v4
	v_lshlrev_b32_e32 v4, 29, v71
	v_cmp_gt_i64_e32 vcc, 0, v[3:4]
	v_not_b32_e32 v4, v4
	v_ashrrev_i32_e32 v4, 31, v4
	v_and_b32_e32 v198, v198, v200
	v_xor_b32_e32 v200, vcc_hi, v4
	v_xor_b32_e32 v4, vcc_lo, v4
	v_and_b32_e32 v72, v72, v4
	v_lshlrev_b32_e32 v4, 28, v71
	v_cmp_gt_i64_e32 vcc, 0, v[3:4]
	v_not_b32_e32 v4, v4
	v_ashrrev_i32_e32 v4, 31, v4
	v_and_b32_e32 v198, v198, v200
	;; [unrolled: 8-line block ×4, first 2 shown]
	v_xor_b32_e32 v200, vcc_hi, v4
	v_xor_b32_e32 v4, vcc_lo, v4
	v_and_b32_e32 v198, v198, v200
	v_and_b32_e32 v200, v72, v4
	v_lshlrev_b32_e32 v4, 25, v71
	v_cmp_gt_i64_e32 vcc, 0, v[3:4]
	v_not_b32_e32 v4, v4
	v_ashrrev_i32_e32 v4, 31, v4
	v_mul_u32_u24_e32 v199, 20, v71
	v_xor_b32_e32 v71, vcc_hi, v4
	v_xor_b32_e32 v4, vcc_lo, v4
	v_and_b32_e32 v72, v198, v71
	v_and_b32_e32 v71, v200, v4
	v_mbcnt_lo_u32_b32 v4, v71, 0
	v_mbcnt_hi_u32_b32 v198, v72, v4
	v_cmp_ne_u64_e32 vcc, 0, v[71:72]
	v_cmp_eq_u32_e64 s[42:43], 0, v198
	s_and_b64 s[44:45], vcc, s[42:43]
	v_add_u32_e32 v200, v173, v199
	; wave barrier
	s_and_saveexec_b64 s[42:43], s[44:45]
	s_cbranch_execz .LBB812_148
; %bb.147:                              ;   in Loop: Header=BB812_96 Depth=2
	v_bcnt_u32_b32 v4, v71, 0
	v_bcnt_u32_b32 v4, v72, v4
	s_waitcnt lgkmcnt(0)
	v_add_u32_e32 v4, v196, v4
	ds_write_b32 v200, v4 offset:528
.LBB812_148:                            ;   in Loop: Header=BB812_96 Depth=2
	s_or_b64 exec, exec, s[42:43]
	v_xor_b32_e32 v56, 0x80000000, v56
	v_lshrrev_b64 v[71:72], s88, v[55:56]
	v_and_b32_e32 v71, s99, v71
	v_mad_u32_u24 v4, v71, 20, v173
	; wave barrier
	ds_read_b32 v199, v4 offset:528
	v_and_b32_e32 v4, 1, v71
	v_add_co_u32_e32 v72, vcc, -1, v4
	v_addc_co_u32_e64 v201, s[42:43], 0, -1, vcc
	v_cmp_ne_u32_e32 vcc, 0, v4
	v_xor_b32_e32 v4, vcc_hi, v201
	v_and_b32_e32 v201, exec_hi, v4
	v_lshlrev_b32_e32 v4, 30, v71
	v_xor_b32_e32 v72, vcc_lo, v72
	v_cmp_gt_i64_e32 vcc, 0, v[3:4]
	v_not_b32_e32 v4, v4
	v_ashrrev_i32_e32 v4, 31, v4
	v_and_b32_e32 v72, exec_lo, v72
	v_xor_b32_e32 v203, vcc_hi, v4
	v_xor_b32_e32 v4, vcc_lo, v4
	v_and_b32_e32 v72, v72, v4
	v_lshlrev_b32_e32 v4, 29, v71
	v_cmp_gt_i64_e32 vcc, 0, v[3:4]
	v_not_b32_e32 v4, v4
	v_ashrrev_i32_e32 v4, 31, v4
	v_and_b32_e32 v201, v201, v203
	v_xor_b32_e32 v203, vcc_hi, v4
	v_xor_b32_e32 v4, vcc_lo, v4
	v_and_b32_e32 v72, v72, v4
	v_lshlrev_b32_e32 v4, 28, v71
	v_cmp_gt_i64_e32 vcc, 0, v[3:4]
	v_not_b32_e32 v4, v4
	v_ashrrev_i32_e32 v4, 31, v4
	v_and_b32_e32 v201, v201, v203
	;; [unrolled: 8-line block ×4, first 2 shown]
	v_xor_b32_e32 v203, vcc_hi, v4
	v_xor_b32_e32 v4, vcc_lo, v4
	v_and_b32_e32 v201, v201, v203
	v_and_b32_e32 v203, v72, v4
	v_lshlrev_b32_e32 v4, 25, v71
	v_cmp_gt_i64_e32 vcc, 0, v[3:4]
	v_not_b32_e32 v4, v4
	v_ashrrev_i32_e32 v4, 31, v4
	v_mul_u32_u24_e32 v202, 20, v71
	v_xor_b32_e32 v71, vcc_hi, v4
	v_xor_b32_e32 v4, vcc_lo, v4
	v_and_b32_e32 v72, v201, v71
	v_and_b32_e32 v71, v203, v4
	v_mbcnt_lo_u32_b32 v4, v71, 0
	v_mbcnt_hi_u32_b32 v201, v72, v4
	v_cmp_ne_u64_e32 vcc, 0, v[71:72]
	v_cmp_eq_u32_e64 s[42:43], 0, v201
	s_and_b64 s[44:45], vcc, s[42:43]
	v_add_u32_e32 v203, v173, v202
	; wave barrier
	s_and_saveexec_b64 s[42:43], s[44:45]
	s_cbranch_execz .LBB812_150
; %bb.149:                              ;   in Loop: Header=BB812_96 Depth=2
	v_bcnt_u32_b32 v4, v71, 0
	v_bcnt_u32_b32 v4, v72, v4
	s_waitcnt lgkmcnt(0)
	v_add_u32_e32 v4, v199, v4
	ds_write_b32 v203, v4 offset:528
.LBB812_150:                            ;   in Loop: Header=BB812_96 Depth=2
	s_or_b64 exec, exec, s[42:43]
	v_xor_b32_e32 v58, 0x80000000, v58
	v_lshrrev_b64 v[71:72], s88, v[57:58]
	v_and_b32_e32 v71, s99, v71
	v_mad_u32_u24 v4, v71, 20, v173
	; wave barrier
	ds_read_b32 v202, v4 offset:528
	v_and_b32_e32 v4, 1, v71
	v_add_co_u32_e32 v72, vcc, -1, v4
	v_addc_co_u32_e64 v204, s[42:43], 0, -1, vcc
	v_cmp_ne_u32_e32 vcc, 0, v4
	v_xor_b32_e32 v4, vcc_hi, v204
	v_and_b32_e32 v204, exec_hi, v4
	v_lshlrev_b32_e32 v4, 30, v71
	v_xor_b32_e32 v72, vcc_lo, v72
	v_cmp_gt_i64_e32 vcc, 0, v[3:4]
	v_not_b32_e32 v4, v4
	v_ashrrev_i32_e32 v4, 31, v4
	v_and_b32_e32 v72, exec_lo, v72
	v_xor_b32_e32 v206, vcc_hi, v4
	v_xor_b32_e32 v4, vcc_lo, v4
	v_and_b32_e32 v72, v72, v4
	v_lshlrev_b32_e32 v4, 29, v71
	v_cmp_gt_i64_e32 vcc, 0, v[3:4]
	v_not_b32_e32 v4, v4
	v_ashrrev_i32_e32 v4, 31, v4
	v_and_b32_e32 v204, v204, v206
	v_xor_b32_e32 v206, vcc_hi, v4
	v_xor_b32_e32 v4, vcc_lo, v4
	v_and_b32_e32 v72, v72, v4
	v_lshlrev_b32_e32 v4, 28, v71
	v_cmp_gt_i64_e32 vcc, 0, v[3:4]
	v_not_b32_e32 v4, v4
	v_ashrrev_i32_e32 v4, 31, v4
	v_and_b32_e32 v204, v204, v206
	;; [unrolled: 8-line block ×4, first 2 shown]
	v_xor_b32_e32 v206, vcc_hi, v4
	v_xor_b32_e32 v4, vcc_lo, v4
	v_and_b32_e32 v204, v204, v206
	v_and_b32_e32 v206, v72, v4
	v_lshlrev_b32_e32 v4, 25, v71
	v_cmp_gt_i64_e32 vcc, 0, v[3:4]
	v_not_b32_e32 v4, v4
	v_ashrrev_i32_e32 v4, 31, v4
	v_mul_u32_u24_e32 v205, 20, v71
	v_xor_b32_e32 v71, vcc_hi, v4
	v_xor_b32_e32 v4, vcc_lo, v4
	v_and_b32_e32 v72, v204, v71
	v_and_b32_e32 v71, v206, v4
	v_mbcnt_lo_u32_b32 v4, v71, 0
	v_mbcnt_hi_u32_b32 v204, v72, v4
	v_cmp_ne_u64_e32 vcc, 0, v[71:72]
	v_cmp_eq_u32_e64 s[42:43], 0, v204
	s_and_b64 s[44:45], vcc, s[42:43]
	v_add_u32_e32 v207, v173, v205
	; wave barrier
	s_and_saveexec_b64 s[42:43], s[44:45]
	s_cbranch_execz .LBB812_152
; %bb.151:                              ;   in Loop: Header=BB812_96 Depth=2
	v_bcnt_u32_b32 v4, v71, 0
	v_bcnt_u32_b32 v4, v72, v4
	s_waitcnt lgkmcnt(0)
	v_add_u32_e32 v4, v202, v4
	ds_write_b32 v207, v4 offset:528
.LBB812_152:                            ;   in Loop: Header=BB812_96 Depth=2
	s_or_b64 exec, exec, s[42:43]
	v_xor_b32_e32 v60, 0x80000000, v60
	v_lshrrev_b64 v[71:72], s88, v[59:60]
	v_and_b32_e32 v71, s99, v71
	v_mad_u32_u24 v4, v71, 20, v173
	; wave barrier
	ds_read_b32 v205, v4 offset:528
	v_and_b32_e32 v4, 1, v71
	v_add_co_u32_e32 v72, vcc, -1, v4
	v_addc_co_u32_e64 v206, s[42:43], 0, -1, vcc
	v_cmp_ne_u32_e32 vcc, 0, v4
	v_xor_b32_e32 v4, vcc_hi, v206
	v_and_b32_e32 v206, exec_hi, v4
	v_lshlrev_b32_e32 v4, 30, v71
	v_xor_b32_e32 v72, vcc_lo, v72
	v_cmp_gt_i64_e32 vcc, 0, v[3:4]
	v_not_b32_e32 v4, v4
	v_ashrrev_i32_e32 v4, 31, v4
	v_and_b32_e32 v72, exec_lo, v72
	v_xor_b32_e32 v209, vcc_hi, v4
	v_xor_b32_e32 v4, vcc_lo, v4
	v_and_b32_e32 v72, v72, v4
	v_lshlrev_b32_e32 v4, 29, v71
	v_cmp_gt_i64_e32 vcc, 0, v[3:4]
	v_not_b32_e32 v4, v4
	v_ashrrev_i32_e32 v4, 31, v4
	v_and_b32_e32 v206, v206, v209
	v_xor_b32_e32 v209, vcc_hi, v4
	v_xor_b32_e32 v4, vcc_lo, v4
	v_and_b32_e32 v72, v72, v4
	v_lshlrev_b32_e32 v4, 28, v71
	v_cmp_gt_i64_e32 vcc, 0, v[3:4]
	v_not_b32_e32 v4, v4
	v_ashrrev_i32_e32 v4, 31, v4
	v_and_b32_e32 v206, v206, v209
	;; [unrolled: 8-line block ×4, first 2 shown]
	v_xor_b32_e32 v209, vcc_hi, v4
	v_xor_b32_e32 v4, vcc_lo, v4
	v_and_b32_e32 v206, v206, v209
	v_and_b32_e32 v209, v72, v4
	v_lshlrev_b32_e32 v4, 25, v71
	v_cmp_gt_i64_e32 vcc, 0, v[3:4]
	v_not_b32_e32 v4, v4
	v_ashrrev_i32_e32 v4, 31, v4
	v_mul_u32_u24_e32 v208, 20, v71
	v_xor_b32_e32 v71, vcc_hi, v4
	v_xor_b32_e32 v4, vcc_lo, v4
	v_and_b32_e32 v72, v206, v71
	v_and_b32_e32 v71, v209, v4
	v_mbcnt_lo_u32_b32 v4, v71, 0
	v_mbcnt_hi_u32_b32 v206, v72, v4
	v_cmp_ne_u64_e32 vcc, 0, v[71:72]
	v_cmp_eq_u32_e64 s[42:43], 0, v206
	s_and_b64 s[44:45], vcc, s[42:43]
	v_add_u32_e32 v210, v173, v208
	; wave barrier
	s_and_saveexec_b64 s[42:43], s[44:45]
	s_cbranch_execz .LBB812_154
; %bb.153:                              ;   in Loop: Header=BB812_96 Depth=2
	v_bcnt_u32_b32 v4, v71, 0
	v_bcnt_u32_b32 v4, v72, v4
	s_waitcnt lgkmcnt(0)
	v_add_u32_e32 v4, v205, v4
	ds_write_b32 v210, v4 offset:528
.LBB812_154:                            ;   in Loop: Header=BB812_96 Depth=2
	s_or_b64 exec, exec, s[42:43]
	v_xor_b32_e32 v62, 0x80000000, v62
	v_lshrrev_b64 v[71:72], s88, v[61:62]
	v_and_b32_e32 v71, s99, v71
	v_mad_u32_u24 v4, v71, 20, v173
	; wave barrier
	ds_read_b32 v208, v4 offset:528
	v_and_b32_e32 v4, 1, v71
	v_add_co_u32_e32 v72, vcc, -1, v4
	v_addc_co_u32_e64 v209, s[42:43], 0, -1, vcc
	v_cmp_ne_u32_e32 vcc, 0, v4
	v_xor_b32_e32 v4, vcc_hi, v209
	v_and_b32_e32 v209, exec_hi, v4
	v_lshlrev_b32_e32 v4, 30, v71
	v_xor_b32_e32 v72, vcc_lo, v72
	v_cmp_gt_i64_e32 vcc, 0, v[3:4]
	v_not_b32_e32 v4, v4
	v_ashrrev_i32_e32 v4, 31, v4
	v_and_b32_e32 v72, exec_lo, v72
	v_xor_b32_e32 v212, vcc_hi, v4
	v_xor_b32_e32 v4, vcc_lo, v4
	v_and_b32_e32 v72, v72, v4
	v_lshlrev_b32_e32 v4, 29, v71
	v_cmp_gt_i64_e32 vcc, 0, v[3:4]
	v_not_b32_e32 v4, v4
	v_ashrrev_i32_e32 v4, 31, v4
	v_and_b32_e32 v209, v209, v212
	v_xor_b32_e32 v212, vcc_hi, v4
	v_xor_b32_e32 v4, vcc_lo, v4
	v_and_b32_e32 v72, v72, v4
	v_lshlrev_b32_e32 v4, 28, v71
	v_cmp_gt_i64_e32 vcc, 0, v[3:4]
	v_not_b32_e32 v4, v4
	v_ashrrev_i32_e32 v4, 31, v4
	v_and_b32_e32 v209, v209, v212
	;; [unrolled: 8-line block ×4, first 2 shown]
	v_xor_b32_e32 v212, vcc_hi, v4
	v_xor_b32_e32 v4, vcc_lo, v4
	v_and_b32_e32 v209, v209, v212
	v_and_b32_e32 v212, v72, v4
	v_lshlrev_b32_e32 v4, 25, v71
	v_cmp_gt_i64_e32 vcc, 0, v[3:4]
	v_not_b32_e32 v4, v4
	v_ashrrev_i32_e32 v4, 31, v4
	v_mul_u32_u24_e32 v211, 20, v71
	v_xor_b32_e32 v71, vcc_hi, v4
	v_xor_b32_e32 v4, vcc_lo, v4
	v_and_b32_e32 v72, v209, v71
	v_and_b32_e32 v71, v212, v4
	v_mbcnt_lo_u32_b32 v4, v71, 0
	v_mbcnt_hi_u32_b32 v209, v72, v4
	v_cmp_ne_u64_e32 vcc, 0, v[71:72]
	v_cmp_eq_u32_e64 s[42:43], 0, v209
	s_and_b64 s[44:45], vcc, s[42:43]
	v_add_u32_e32 v213, v173, v211
	; wave barrier
	s_and_saveexec_b64 s[42:43], s[44:45]
	s_cbranch_execz .LBB812_156
; %bb.155:                              ;   in Loop: Header=BB812_96 Depth=2
	v_bcnt_u32_b32 v4, v71, 0
	v_bcnt_u32_b32 v4, v72, v4
	s_waitcnt lgkmcnt(0)
	v_add_u32_e32 v4, v208, v4
	ds_write_b32 v213, v4 offset:528
.LBB812_156:                            ;   in Loop: Header=BB812_96 Depth=2
	s_or_b64 exec, exec, s[42:43]
	v_xor_b32_e32 v64, 0x80000000, v64
	v_lshrrev_b64 v[71:72], s88, v[63:64]
	v_and_b32_e32 v71, s99, v71
	v_mad_u32_u24 v4, v71, 20, v173
	; wave barrier
	ds_read_b32 v211, v4 offset:528
	v_and_b32_e32 v4, 1, v71
	v_add_co_u32_e32 v72, vcc, -1, v4
	v_addc_co_u32_e64 v212, s[42:43], 0, -1, vcc
	v_cmp_ne_u32_e32 vcc, 0, v4
	v_xor_b32_e32 v4, vcc_hi, v212
	v_and_b32_e32 v212, exec_hi, v4
	v_lshlrev_b32_e32 v4, 30, v71
	v_xor_b32_e32 v72, vcc_lo, v72
	v_cmp_gt_i64_e32 vcc, 0, v[3:4]
	v_not_b32_e32 v4, v4
	v_ashrrev_i32_e32 v4, 31, v4
	v_and_b32_e32 v72, exec_lo, v72
	v_xor_b32_e32 v215, vcc_hi, v4
	v_xor_b32_e32 v4, vcc_lo, v4
	v_and_b32_e32 v72, v72, v4
	v_lshlrev_b32_e32 v4, 29, v71
	v_cmp_gt_i64_e32 vcc, 0, v[3:4]
	v_not_b32_e32 v4, v4
	v_ashrrev_i32_e32 v4, 31, v4
	v_and_b32_e32 v212, v212, v215
	v_xor_b32_e32 v215, vcc_hi, v4
	v_xor_b32_e32 v4, vcc_lo, v4
	v_and_b32_e32 v72, v72, v4
	v_lshlrev_b32_e32 v4, 28, v71
	v_cmp_gt_i64_e32 vcc, 0, v[3:4]
	v_not_b32_e32 v4, v4
	v_ashrrev_i32_e32 v4, 31, v4
	v_and_b32_e32 v212, v212, v215
	;; [unrolled: 8-line block ×4, first 2 shown]
	v_xor_b32_e32 v215, vcc_hi, v4
	v_xor_b32_e32 v4, vcc_lo, v4
	v_and_b32_e32 v212, v212, v215
	v_and_b32_e32 v215, v72, v4
	v_lshlrev_b32_e32 v4, 25, v71
	v_cmp_gt_i64_e32 vcc, 0, v[3:4]
	v_not_b32_e32 v4, v4
	v_ashrrev_i32_e32 v4, 31, v4
	v_mul_u32_u24_e32 v214, 20, v71
	v_xor_b32_e32 v71, vcc_hi, v4
	v_xor_b32_e32 v4, vcc_lo, v4
	v_and_b32_e32 v72, v212, v71
	v_and_b32_e32 v71, v215, v4
	v_mbcnt_lo_u32_b32 v4, v71, 0
	v_mbcnt_hi_u32_b32 v212, v72, v4
	v_cmp_ne_u64_e32 vcc, 0, v[71:72]
	v_cmp_eq_u32_e64 s[42:43], 0, v212
	s_and_b64 s[44:45], vcc, s[42:43]
	v_add_u32_e32 v216, v173, v214
	; wave barrier
	s_and_saveexec_b64 s[42:43], s[44:45]
	s_cbranch_execz .LBB812_158
; %bb.157:                              ;   in Loop: Header=BB812_96 Depth=2
	v_bcnt_u32_b32 v4, v71, 0
	v_bcnt_u32_b32 v4, v72, v4
	s_waitcnt lgkmcnt(0)
	v_add_u32_e32 v4, v211, v4
	ds_write_b32 v216, v4 offset:528
.LBB812_158:                            ;   in Loop: Header=BB812_96 Depth=2
	s_or_b64 exec, exec, s[42:43]
	v_xor_b32_e32 v66, 0x80000000, v66
	v_lshrrev_b64 v[71:72], s88, v[65:66]
	v_and_b32_e32 v71, s99, v71
	v_mad_u32_u24 v4, v71, 20, v173
	; wave barrier
	ds_read_b32 v214, v4 offset:528
	v_and_b32_e32 v4, 1, v71
	v_add_co_u32_e32 v72, vcc, -1, v4
	v_addc_co_u32_e64 v215, s[42:43], 0, -1, vcc
	v_cmp_ne_u32_e32 vcc, 0, v4
	v_xor_b32_e32 v4, vcc_hi, v215
	v_and_b32_e32 v215, exec_hi, v4
	v_lshlrev_b32_e32 v4, 30, v71
	v_xor_b32_e32 v72, vcc_lo, v72
	v_cmp_gt_i64_e32 vcc, 0, v[3:4]
	v_not_b32_e32 v4, v4
	v_ashrrev_i32_e32 v4, 31, v4
	v_and_b32_e32 v72, exec_lo, v72
	v_xor_b32_e32 v218, vcc_hi, v4
	v_xor_b32_e32 v4, vcc_lo, v4
	v_and_b32_e32 v72, v72, v4
	v_lshlrev_b32_e32 v4, 29, v71
	v_cmp_gt_i64_e32 vcc, 0, v[3:4]
	v_not_b32_e32 v4, v4
	v_ashrrev_i32_e32 v4, 31, v4
	v_and_b32_e32 v215, v215, v218
	v_xor_b32_e32 v218, vcc_hi, v4
	v_xor_b32_e32 v4, vcc_lo, v4
	v_and_b32_e32 v72, v72, v4
	v_lshlrev_b32_e32 v4, 28, v71
	v_cmp_gt_i64_e32 vcc, 0, v[3:4]
	v_not_b32_e32 v4, v4
	v_ashrrev_i32_e32 v4, 31, v4
	v_and_b32_e32 v215, v215, v218
	;; [unrolled: 8-line block ×4, first 2 shown]
	v_xor_b32_e32 v218, vcc_hi, v4
	v_xor_b32_e32 v4, vcc_lo, v4
	v_and_b32_e32 v215, v215, v218
	v_and_b32_e32 v218, v72, v4
	v_lshlrev_b32_e32 v4, 25, v71
	v_cmp_gt_i64_e32 vcc, 0, v[3:4]
	v_not_b32_e32 v4, v4
	v_ashrrev_i32_e32 v4, 31, v4
	v_mul_u32_u24_e32 v217, 20, v71
	v_xor_b32_e32 v71, vcc_hi, v4
	v_xor_b32_e32 v4, vcc_lo, v4
	v_and_b32_e32 v72, v215, v71
	v_and_b32_e32 v71, v218, v4
	v_mbcnt_lo_u32_b32 v4, v71, 0
	v_mbcnt_hi_u32_b32 v215, v72, v4
	v_cmp_ne_u64_e32 vcc, 0, v[71:72]
	v_cmp_eq_u32_e64 s[42:43], 0, v215
	s_and_b64 s[44:45], vcc, s[42:43]
	v_add_u32_e32 v219, v173, v217
	; wave barrier
	s_and_saveexec_b64 s[42:43], s[44:45]
	s_cbranch_execz .LBB812_160
; %bb.159:                              ;   in Loop: Header=BB812_96 Depth=2
	v_bcnt_u32_b32 v4, v71, 0
	v_bcnt_u32_b32 v4, v72, v4
	s_waitcnt lgkmcnt(0)
	v_add_u32_e32 v4, v214, v4
	ds_write_b32 v219, v4 offset:528
.LBB812_160:                            ;   in Loop: Header=BB812_96 Depth=2
	s_or_b64 exec, exec, s[42:43]
	v_xor_b32_e32 v68, 0x80000000, v68
	v_lshrrev_b64 v[71:72], s88, v[67:68]
	v_and_b32_e32 v71, s99, v71
	v_mad_u32_u24 v4, v71, 20, v173
	; wave barrier
	ds_read_b32 v217, v4 offset:528
	v_and_b32_e32 v4, 1, v71
	v_add_co_u32_e32 v72, vcc, -1, v4
	v_addc_co_u32_e64 v218, s[42:43], 0, -1, vcc
	v_cmp_ne_u32_e32 vcc, 0, v4
	v_xor_b32_e32 v4, vcc_hi, v218
	v_and_b32_e32 v218, exec_hi, v4
	v_lshlrev_b32_e32 v4, 30, v71
	v_xor_b32_e32 v72, vcc_lo, v72
	v_cmp_gt_i64_e32 vcc, 0, v[3:4]
	v_not_b32_e32 v4, v4
	v_ashrrev_i32_e32 v4, 31, v4
	v_and_b32_e32 v72, exec_lo, v72
	v_xor_b32_e32 v221, vcc_hi, v4
	v_xor_b32_e32 v4, vcc_lo, v4
	v_and_b32_e32 v72, v72, v4
	v_lshlrev_b32_e32 v4, 29, v71
	v_cmp_gt_i64_e32 vcc, 0, v[3:4]
	v_not_b32_e32 v4, v4
	v_ashrrev_i32_e32 v4, 31, v4
	v_and_b32_e32 v218, v218, v221
	v_xor_b32_e32 v221, vcc_hi, v4
	v_xor_b32_e32 v4, vcc_lo, v4
	v_and_b32_e32 v72, v72, v4
	v_lshlrev_b32_e32 v4, 28, v71
	v_cmp_gt_i64_e32 vcc, 0, v[3:4]
	v_not_b32_e32 v4, v4
	v_ashrrev_i32_e32 v4, 31, v4
	v_and_b32_e32 v218, v218, v221
	;; [unrolled: 8-line block ×4, first 2 shown]
	v_xor_b32_e32 v221, vcc_hi, v4
	v_xor_b32_e32 v4, vcc_lo, v4
	v_and_b32_e32 v218, v218, v221
	v_and_b32_e32 v221, v72, v4
	v_lshlrev_b32_e32 v4, 25, v71
	v_cmp_gt_i64_e32 vcc, 0, v[3:4]
	v_not_b32_e32 v4, v4
	v_ashrrev_i32_e32 v4, 31, v4
	v_mul_u32_u24_e32 v220, 20, v71
	v_xor_b32_e32 v71, vcc_hi, v4
	v_xor_b32_e32 v4, vcc_lo, v4
	v_and_b32_e32 v72, v218, v71
	v_and_b32_e32 v71, v221, v4
	v_mbcnt_lo_u32_b32 v4, v71, 0
	v_mbcnt_hi_u32_b32 v218, v72, v4
	v_cmp_ne_u64_e32 vcc, 0, v[71:72]
	v_cmp_eq_u32_e64 s[42:43], 0, v218
	s_and_b64 s[44:45], vcc, s[42:43]
	v_add_u32_e32 v222, v173, v220
	; wave barrier
	s_and_saveexec_b64 s[42:43], s[44:45]
	s_cbranch_execz .LBB812_162
; %bb.161:                              ;   in Loop: Header=BB812_96 Depth=2
	v_bcnt_u32_b32 v4, v71, 0
	v_bcnt_u32_b32 v4, v72, v4
	s_waitcnt lgkmcnt(0)
	v_add_u32_e32 v4, v217, v4
	ds_write_b32 v222, v4 offset:528
.LBB812_162:                            ;   in Loop: Header=BB812_96 Depth=2
	s_or_b64 exec, exec, s[42:43]
	v_lshrrev_b64 v[71:72], s88, v[69:70]
	v_and_b32_e32 v71, s99, v71
	v_mad_u32_u24 v4, v71, 20, v173
	; wave barrier
	ds_read_b32 v220, v4 offset:528
	v_and_b32_e32 v4, 1, v71
	v_add_co_u32_e32 v72, vcc, -1, v4
	v_addc_co_u32_e64 v221, s[42:43], 0, -1, vcc
	v_cmp_ne_u32_e32 vcc, 0, v4
	v_xor_b32_e32 v4, vcc_hi, v221
	v_and_b32_e32 v221, exec_hi, v4
	v_lshlrev_b32_e32 v4, 30, v71
	v_xor_b32_e32 v72, vcc_lo, v72
	v_cmp_gt_i64_e32 vcc, 0, v[3:4]
	v_not_b32_e32 v4, v4
	v_ashrrev_i32_e32 v4, 31, v4
	v_and_b32_e32 v72, exec_lo, v72
	v_xor_b32_e32 v224, vcc_hi, v4
	v_xor_b32_e32 v4, vcc_lo, v4
	v_and_b32_e32 v72, v72, v4
	v_lshlrev_b32_e32 v4, 29, v71
	v_cmp_gt_i64_e32 vcc, 0, v[3:4]
	v_not_b32_e32 v4, v4
	v_ashrrev_i32_e32 v4, 31, v4
	v_and_b32_e32 v221, v221, v224
	v_xor_b32_e32 v224, vcc_hi, v4
	v_xor_b32_e32 v4, vcc_lo, v4
	v_and_b32_e32 v72, v72, v4
	v_lshlrev_b32_e32 v4, 28, v71
	v_cmp_gt_i64_e32 vcc, 0, v[3:4]
	v_not_b32_e32 v4, v4
	v_ashrrev_i32_e32 v4, 31, v4
	v_and_b32_e32 v221, v221, v224
	;; [unrolled: 8-line block ×4, first 2 shown]
	v_xor_b32_e32 v224, vcc_hi, v4
	v_xor_b32_e32 v4, vcc_lo, v4
	v_and_b32_e32 v221, v221, v224
	v_and_b32_e32 v224, v72, v4
	v_lshlrev_b32_e32 v4, 25, v71
	v_cmp_gt_i64_e32 vcc, 0, v[3:4]
	v_not_b32_e32 v4, v4
	v_ashrrev_i32_e32 v4, 31, v4
	v_mul_u32_u24_e32 v223, 20, v71
	v_xor_b32_e32 v71, vcc_hi, v4
	v_xor_b32_e32 v4, vcc_lo, v4
	v_and_b32_e32 v72, v221, v71
	v_and_b32_e32 v71, v224, v4
	v_mbcnt_lo_u32_b32 v4, v71, 0
	v_mbcnt_hi_u32_b32 v221, v72, v4
	v_cmp_ne_u64_e32 vcc, 0, v[71:72]
	v_cmp_eq_u32_e64 s[42:43], 0, v221
	s_and_b64 s[44:45], vcc, s[42:43]
	v_add_u32_e32 v4, v173, v223
	; wave barrier
	s_and_saveexec_b64 s[42:43], s[44:45]
	s_cbranch_execz .LBB812_164
; %bb.163:                              ;   in Loop: Header=BB812_96 Depth=2
	v_bcnt_u32_b32 v71, v71, 0
	v_bcnt_u32_b32 v71, v72, v71
	s_waitcnt lgkmcnt(0)
	v_add_u32_e32 v71, v220, v71
	ds_write_b32 v4, v71 offset:528
.LBB812_164:                            ;   in Loop: Header=BB812_96 Depth=2
	s_or_b64 exec, exec, s[42:43]
	; wave barrier
	s_waitcnt lgkmcnt(0)
	s_barrier
	ds_read2_b32 v[71:72], v92 offset0:132 offset1:133
	ds_read_b32 v223, v92 offset:536
	s_waitcnt lgkmcnt(0)
	v_add3_u32 v223, v72, v71, v223
	s_nop 1
	v_mov_b32_dpp v224, v223 row_shr:1 row_mask:0xf bank_mask:0xf
	v_cndmask_b32_e64 v224, v224, 0, s[22:23]
	v_add_u32_e32 v223, v224, v223
	s_nop 1
	v_mov_b32_dpp v224, v223 row_shr:2 row_mask:0xf bank_mask:0xf
	v_cndmask_b32_e64 v224, 0, v224, s[24:25]
	v_add_u32_e32 v223, v223, v224
	;; [unrolled: 4-line block ×4, first 2 shown]
	s_nop 1
	v_mov_b32_dpp v224, v223 row_bcast:15 row_mask:0xf bank_mask:0xf
	v_cndmask_b32_e64 v224, v224, 0, s[30:31]
	v_add_u32_e32 v223, v223, v224
	s_nop 1
	v_mov_b32_dpp v224, v223 row_bcast:31 row_mask:0xf bank_mask:0xf
	v_cndmask_b32_e64 v224, 0, v224, s[34:35]
	v_add_u32_e32 v223, v223, v224
	s_and_saveexec_b64 s[42:43], s[14:15]
; %bb.165:                              ;   in Loop: Header=BB812_96 Depth=2
	ds_write_b32 v94, v223 offset:512
; %bb.166:                              ;   in Loop: Header=BB812_96 Depth=2
	s_or_b64 exec, exec, s[42:43]
	s_waitcnt lgkmcnt(0)
	s_barrier
	s_and_saveexec_b64 s[42:43], s[16:17]
	s_cbranch_execz .LBB812_168
; %bb.167:                              ;   in Loop: Header=BB812_96 Depth=2
	ds_read_b32 v224, v99 offset:512
	s_waitcnt lgkmcnt(0)
	s_nop 0
	v_mov_b32_dpp v225, v224 row_shr:1 row_mask:0xf bank_mask:0xf
	v_cndmask_b32_e64 v225, v225, 0, s[38:39]
	v_add_u32_e32 v224, v225, v224
	s_nop 1
	v_mov_b32_dpp v225, v224 row_shr:2 row_mask:0xf bank_mask:0xf
	v_cndmask_b32_e64 v225, 0, v225, s[40:41]
	v_add_u32_e32 v224, v224, v225
	ds_write_b32 v99, v224 offset:512
.LBB812_168:                            ;   in Loop: Header=BB812_96 Depth=2
	s_or_b64 exec, exec, s[42:43]
	v_mov_b32_e32 v224, 0
	s_waitcnt lgkmcnt(0)
	s_barrier
	s_and_saveexec_b64 s[42:43], s[12:13]
; %bb.169:                              ;   in Loop: Header=BB812_96 Depth=2
	ds_read_b32 v224, v94 offset:508
; %bb.170:                              ;   in Loop: Header=BB812_96 Depth=2
	s_or_b64 exec, exec, s[42:43]
	s_waitcnt lgkmcnt(0)
	v_add_u32_e32 v223, v224, v223
	ds_bpermute_b32 v223, v136, v223
	s_waitcnt lgkmcnt(0)
	v_cndmask_b32_e64 v223, v223, v224, s[36:37]
	v_cndmask_b32_e64 v223, v223, 0, s[18:19]
	v_add_u32_e32 v71, v223, v71
	v_add_u32_e32 v72, v71, v72
	ds_write2_b32 v92, v223, v71 offset0:132 offset1:133
	ds_write_b32 v92, v72 offset:536
	s_waitcnt lgkmcnt(0)
	s_barrier
	ds_read_b32 v229, v179 offset:528
	ds_read_b32 v228, v182 offset:528
	;; [unrolled: 1-line block ×16, first 2 shown]
	s_and_saveexec_b64 s[42:43], s[4:5]
	s_cbranch_execz .LBB812_174
; %bb.171:                              ;   in Loop: Header=BB812_96 Depth=2
	ds_read_b32 v174, v101 offset:528
	v_mov_b32_e32 v4, 0x1000
	s_and_saveexec_b64 s[44:45], s[20:21]
; %bb.172:                              ;   in Loop: Header=BB812_96 Depth=2
	ds_read_b32 v4, v100 offset:528
; %bb.173:                              ;   in Loop: Header=BB812_96 Depth=2
	s_or_b64 exec, exec, s[44:45]
	s_waitcnt lgkmcnt(0)
	v_sub_u32_e32 v175, v4, v174
.LBB812_174:                            ;   in Loop: Header=BB812_96 Depth=2
	s_or_b64 exec, exec, s[42:43]
	s_waitcnt lgkmcnt(0)
	s_barrier
	s_and_saveexec_b64 s[42:43], s[4:5]
	s_cbranch_execz .LBB812_176
; %bb.175:                              ;   in Loop: Header=BB812_96 Depth=2
	ds_read_b32 v4, v73
	s_waitcnt lgkmcnt(0)
	v_sub_u32_e32 v4, v4, v174
	ds_write_b32 v73, v4
.LBB812_176:                            ;   in Loop: Header=BB812_96 Depth=2
	s_or_b64 exec, exec, s[42:43]
	v_lshlrev_b32_e32 v4, 3, v177
	v_lshl_add_u32 v4, v229, 3, v4
	ds_write_b64 v4, v[41:42] offset:512
	v_lshlrev_b32_e32 v41, 3, v180
	v_lshlrev_b32_e32 v42, 3, v178
	v_lshlrev_b32_e32 v177, 3, v228
	v_add3_u32 v41, v41, v42, v177
	ds_write_b64 v41, v[39:40] offset:512
	v_lshlrev_b32_e32 v39, 3, v183
	v_lshlrev_b32_e32 v40, 3, v181
	v_lshlrev_b32_e32 v42, 3, v227
	v_add3_u32 v42, v39, v40, v42
	;; [unrolled: 5-line block ×3, first 2 shown]
	v_lshlrev_b32_e32 v39, 3, v189
	v_lshlrev_b32_e32 v40, 3, v187
	v_lshlrev_b32_e32 v44, 3, v225
	ds_write_b64 v43, v[45:46] offset:512
	v_add3_u32 v44, v39, v40, v44
	v_lshlrev_b32_e32 v39, 3, v192
	v_lshlrev_b32_e32 v40, 3, v190
	v_lshlrev_b32_e32 v45, 3, v224
	v_add3_u32 v45, v39, v40, v45
	v_lshlrev_b32_e32 v39, 3, v195
	v_lshlrev_b32_e32 v40, 3, v193
	v_lshlrev_b32_e32 v46, 3, v223
	ds_write_b64 v44, v[47:48] offset:512
	v_add3_u32 v46, v39, v40, v46
	v_lshlrev_b32_e32 v39, 3, v198
	v_lshlrev_b32_e32 v40, 3, v196
	v_lshlrev_b32_e32 v47, 3, v197
	v_add3_u32 v47, v39, v40, v47
	;; [unrolled: 9-line block ×6, first 2 shown]
	v_cmp_lt_u32_e64 s[42:43], v0, v176
	ds_write_b64 v49, v[57:58] offset:512
	ds_write_b64 v50, v[59:60] offset:512
	;; [unrolled: 1-line block ×7, first 2 shown]
	s_waitcnt lgkmcnt(0)
	s_barrier
	s_and_saveexec_b64 s[44:45], s[42:43]
	s_cbranch_execnz .LBB812_245
; %bb.177:                              ;   in Loop: Header=BB812_96 Depth=2
	s_or_b64 exec, exec, s[44:45]
	v_cmp_lt_u32_e64 s[44:45], v74, v176
	s_and_saveexec_b64 s[46:47], s[44:45]
	s_cbranch_execnz .LBB812_246
.LBB812_178:                            ;   in Loop: Header=BB812_96 Depth=2
	s_or_b64 exec, exec, s[46:47]
	v_cmp_lt_u32_e64 s[46:47], v77, v176
	s_and_saveexec_b64 s[48:49], s[46:47]
	s_cbranch_execnz .LBB812_247
.LBB812_179:                            ;   in Loop: Header=BB812_96 Depth=2
	s_or_b64 exec, exec, s[48:49]
	v_cmp_lt_u32_e64 s[48:49], v78, v176
	s_and_saveexec_b64 s[50:51], s[48:49]
	s_cbranch_execnz .LBB812_248
.LBB812_180:                            ;   in Loop: Header=BB812_96 Depth=2
	s_or_b64 exec, exec, s[50:51]
	v_cmp_lt_u32_e64 s[50:51], v79, v176
	s_and_saveexec_b64 s[52:53], s[50:51]
	s_cbranch_execnz .LBB812_249
.LBB812_181:                            ;   in Loop: Header=BB812_96 Depth=2
	s_or_b64 exec, exec, s[52:53]
	v_cmp_lt_u32_e64 s[52:53], v80, v176
	s_and_saveexec_b64 s[54:55], s[52:53]
	s_cbranch_execnz .LBB812_250
.LBB812_182:                            ;   in Loop: Header=BB812_96 Depth=2
	s_or_b64 exec, exec, s[54:55]
	v_cmp_lt_u32_e64 s[54:55], v81, v176
	s_and_saveexec_b64 s[56:57], s[54:55]
	s_cbranch_execnz .LBB812_251
.LBB812_183:                            ;   in Loop: Header=BB812_96 Depth=2
	s_or_b64 exec, exec, s[56:57]
	v_cmp_lt_u32_e64 s[56:57], v82, v176
	s_and_saveexec_b64 s[58:59], s[56:57]
	s_cbranch_execnz .LBB812_252
.LBB812_184:                            ;   in Loop: Header=BB812_96 Depth=2
	s_or_b64 exec, exec, s[58:59]
	v_cmp_lt_u32_e64 s[58:59], v83, v176
	s_and_saveexec_b64 s[60:61], s[58:59]
	s_cbranch_execnz .LBB812_253
.LBB812_185:                            ;   in Loop: Header=BB812_96 Depth=2
	s_or_b64 exec, exec, s[60:61]
	v_cmp_lt_u32_e64 s[60:61], v84, v176
	s_and_saveexec_b64 s[62:63], s[60:61]
	s_cbranch_execnz .LBB812_254
.LBB812_186:                            ;   in Loop: Header=BB812_96 Depth=2
	s_or_b64 exec, exec, s[62:63]
	v_cmp_lt_u32_e64 s[62:63], v85, v176
	s_and_saveexec_b64 s[64:65], s[62:63]
	s_cbranch_execnz .LBB812_255
.LBB812_187:                            ;   in Loop: Header=BB812_96 Depth=2
	s_or_b64 exec, exec, s[64:65]
	v_cmp_lt_u32_e64 s[64:65], v86, v176
	s_and_saveexec_b64 s[66:67], s[64:65]
	s_cbranch_execnz .LBB812_256
.LBB812_188:                            ;   in Loop: Header=BB812_96 Depth=2
	s_or_b64 exec, exec, s[66:67]
	v_cmp_lt_u32_e64 s[66:67], v87, v176
	s_and_saveexec_b64 s[68:69], s[66:67]
	s_cbranch_execnz .LBB812_257
.LBB812_189:                            ;   in Loop: Header=BB812_96 Depth=2
	s_or_b64 exec, exec, s[68:69]
	v_cmp_lt_u32_e64 s[68:69], v88, v176
	s_and_saveexec_b64 s[70:71], s[68:69]
	s_cbranch_execnz .LBB812_258
.LBB812_190:                            ;   in Loop: Header=BB812_96 Depth=2
	s_or_b64 exec, exec, s[70:71]
	v_cmp_lt_u32_e64 s[70:71], v89, v176
	s_and_saveexec_b64 s[72:73], s[70:71]
	s_cbranch_execnz .LBB812_259
.LBB812_191:                            ;   in Loop: Header=BB812_96 Depth=2
	s_or_b64 exec, exec, s[72:73]
	v_cmp_lt_u32_e64 s[72:73], v90, v176
	s_and_saveexec_b64 s[82:83], s[72:73]
	s_cbranch_execz .LBB812_193
.LBB812_192:                            ;   in Loop: Header=BB812_96 Depth=2
	ds_read_b64 v[39:40], v106 offset:31232
	v_mov_b32_e32 v58, s79
	s_waitcnt lgkmcnt(0)
	v_lshrrev_b64 v[56:57], s88, v[39:40]
	v_mov_b32_e32 v57, v3
	v_and_b32_e32 v56, s99, v56
	v_lshlrev_b32_e32 v56, 2, v56
	ds_read_b32 v56, v56
	v_xor_b32_e32 v40, 0x80000000, v40
	s_waitcnt lgkmcnt(0)
	v_add_u32_e32 v56, v56, v90
	v_lshlrev_b64 v[56:57], 3, v[56:57]
	v_add_co_u32_e32 v56, vcc, s78, v56
	v_addc_co_u32_e32 v57, vcc, v58, v57, vcc
	global_store_dwordx2 v[56:57], v[39:40], off
.LBB812_193:                            ;   in Loop: Header=BB812_96 Depth=2
	s_or_b64 exec, exec, s[82:83]
	s_lshl_b64 s[82:83], s[92:93], 3
	v_mov_b32_e32 v40, s83
	v_add_co_u32_e32 v39, vcc, s82, v154
	v_addc_co_u32_e32 v40, vcc, v155, v40, vcc
	v_cmp_lt_u32_e32 vcc, v153, v176
	s_and_saveexec_b64 s[82:83], vcc
	s_xor_b64 s[82:83], exec, s[82:83]
	s_cbranch_execnz .LBB812_260
; %bb.194:                              ;   in Loop: Header=BB812_96 Depth=2
	s_or_b64 exec, exec, s[82:83]
	v_cmp_lt_u32_e32 vcc, v156, v176
	s_and_saveexec_b64 s[82:83], vcc
	s_cbranch_execnz .LBB812_261
.LBB812_195:                            ;   in Loop: Header=BB812_96 Depth=2
	s_or_b64 exec, exec, s[82:83]
	v_cmp_lt_u32_e32 vcc, v157, v176
	s_and_saveexec_b64 s[82:83], vcc
	s_cbranch_execnz .LBB812_262
.LBB812_196:                            ;   in Loop: Header=BB812_96 Depth=2
	s_or_b64 exec, exec, s[82:83]
	v_cmp_lt_u32_e32 vcc, v158, v176
	s_and_saveexec_b64 s[82:83], vcc
	s_cbranch_execnz .LBB812_263
.LBB812_197:                            ;   in Loop: Header=BB812_96 Depth=2
	s_or_b64 exec, exec, s[82:83]
	v_cmp_lt_u32_e32 vcc, v159, v176
	s_and_saveexec_b64 s[82:83], vcc
	s_cbranch_execnz .LBB812_264
.LBB812_198:                            ;   in Loop: Header=BB812_96 Depth=2
	s_or_b64 exec, exec, s[82:83]
	v_cmp_lt_u32_e32 vcc, v160, v176
	s_and_saveexec_b64 s[82:83], vcc
	s_cbranch_execnz .LBB812_265
.LBB812_199:                            ;   in Loop: Header=BB812_96 Depth=2
	s_or_b64 exec, exec, s[82:83]
	v_cmp_lt_u32_e32 vcc, v161, v176
	s_and_saveexec_b64 s[82:83], vcc
	s_cbranch_execnz .LBB812_266
.LBB812_200:                            ;   in Loop: Header=BB812_96 Depth=2
	s_or_b64 exec, exec, s[82:83]
	v_cmp_lt_u32_e32 vcc, v162, v176
	s_and_saveexec_b64 s[82:83], vcc
	s_cbranch_execnz .LBB812_267
.LBB812_201:                            ;   in Loop: Header=BB812_96 Depth=2
	s_or_b64 exec, exec, s[82:83]
	v_cmp_lt_u32_e32 vcc, v163, v176
	s_and_saveexec_b64 s[82:83], vcc
	s_cbranch_execnz .LBB812_268
.LBB812_202:                            ;   in Loop: Header=BB812_96 Depth=2
	s_or_b64 exec, exec, s[82:83]
	v_cmp_lt_u32_e32 vcc, v164, v176
	s_and_saveexec_b64 s[82:83], vcc
	s_cbranch_execnz .LBB812_269
.LBB812_203:                            ;   in Loop: Header=BB812_96 Depth=2
	s_or_b64 exec, exec, s[82:83]
	v_cmp_lt_u32_e32 vcc, v165, v176
	s_and_saveexec_b64 s[82:83], vcc
	s_cbranch_execnz .LBB812_270
.LBB812_204:                            ;   in Loop: Header=BB812_96 Depth=2
	s_or_b64 exec, exec, s[82:83]
	v_cmp_lt_u32_e32 vcc, v166, v176
	s_and_saveexec_b64 s[82:83], vcc
	s_cbranch_execnz .LBB812_271
.LBB812_205:                            ;   in Loop: Header=BB812_96 Depth=2
	s_or_b64 exec, exec, s[82:83]
	v_cmp_lt_u32_e32 vcc, v167, v176
	s_and_saveexec_b64 s[82:83], vcc
	s_cbranch_execnz .LBB812_272
.LBB812_206:                            ;   in Loop: Header=BB812_96 Depth=2
	s_or_b64 exec, exec, s[82:83]
	v_cmp_lt_u32_e32 vcc, v168, v176
	s_and_saveexec_b64 s[82:83], vcc
	s_cbranch_execnz .LBB812_273
.LBB812_207:                            ;   in Loop: Header=BB812_96 Depth=2
	s_or_b64 exec, exec, s[82:83]
	v_cmp_lt_u32_e32 vcc, v169, v176
	s_and_saveexec_b64 s[82:83], vcc
	s_cbranch_execnz .LBB812_274
.LBB812_208:                            ;   in Loop: Header=BB812_96 Depth=2
	s_or_b64 exec, exec, s[82:83]
	v_cmp_lt_u32_e32 vcc, v170, v176
	s_and_saveexec_b64 s[82:83], vcc
	s_cbranch_execnz .LBB812_275
.LBB812_209:                            ;   in Loop: Header=BB812_96 Depth=2
	s_or_b64 exec, exec, s[82:83]
	s_and_saveexec_b64 s[82:83], s[42:43]
	s_cbranch_execnz .LBB812_276
.LBB812_210:                            ;   in Loop: Header=BB812_96 Depth=2
	s_or_b64 exec, exec, s[82:83]
	s_and_saveexec_b64 s[82:83], s[44:45]
	s_cbranch_execnz .LBB812_277
.LBB812_211:                            ;   in Loop: Header=BB812_96 Depth=2
	s_or_b64 exec, exec, s[82:83]
	s_and_saveexec_b64 s[82:83], s[46:47]
	s_cbranch_execnz .LBB812_278
.LBB812_212:                            ;   in Loop: Header=BB812_96 Depth=2
	s_or_b64 exec, exec, s[82:83]
	s_and_saveexec_b64 s[82:83], s[48:49]
	s_cbranch_execnz .LBB812_279
.LBB812_213:                            ;   in Loop: Header=BB812_96 Depth=2
	s_or_b64 exec, exec, s[82:83]
	s_and_saveexec_b64 s[82:83], s[50:51]
	s_cbranch_execnz .LBB812_280
.LBB812_214:                            ;   in Loop: Header=BB812_96 Depth=2
	s_or_b64 exec, exec, s[82:83]
	s_and_saveexec_b64 s[82:83], s[52:53]
	s_cbranch_execnz .LBB812_281
.LBB812_215:                            ;   in Loop: Header=BB812_96 Depth=2
	s_or_b64 exec, exec, s[82:83]
	s_and_saveexec_b64 s[82:83], s[54:55]
	s_cbranch_execnz .LBB812_282
.LBB812_216:                            ;   in Loop: Header=BB812_96 Depth=2
	s_or_b64 exec, exec, s[82:83]
	s_and_saveexec_b64 s[82:83], s[56:57]
	s_cbranch_execnz .LBB812_283
.LBB812_217:                            ;   in Loop: Header=BB812_96 Depth=2
	s_or_b64 exec, exec, s[82:83]
	s_and_saveexec_b64 s[82:83], s[58:59]
	s_cbranch_execnz .LBB812_284
.LBB812_218:                            ;   in Loop: Header=BB812_96 Depth=2
	s_or_b64 exec, exec, s[82:83]
	s_and_saveexec_b64 s[82:83], s[60:61]
	s_cbranch_execnz .LBB812_285
.LBB812_219:                            ;   in Loop: Header=BB812_96 Depth=2
	s_or_b64 exec, exec, s[82:83]
	s_and_saveexec_b64 s[82:83], s[62:63]
	s_cbranch_execnz .LBB812_286
.LBB812_220:                            ;   in Loop: Header=BB812_96 Depth=2
	s_or_b64 exec, exec, s[82:83]
	s_and_saveexec_b64 s[82:83], s[64:65]
	s_cbranch_execnz .LBB812_287
.LBB812_221:                            ;   in Loop: Header=BB812_96 Depth=2
	s_or_b64 exec, exec, s[82:83]
	s_and_saveexec_b64 s[82:83], s[66:67]
	s_cbranch_execnz .LBB812_288
.LBB812_222:                            ;   in Loop: Header=BB812_96 Depth=2
	s_or_b64 exec, exec, s[82:83]
	s_and_saveexec_b64 s[82:83], s[68:69]
	s_cbranch_execnz .LBB812_289
.LBB812_223:                            ;   in Loop: Header=BB812_96 Depth=2
	s_or_b64 exec, exec, s[82:83]
	s_and_saveexec_b64 s[82:83], s[70:71]
	s_cbranch_execnz .LBB812_290
.LBB812_224:                            ;   in Loop: Header=BB812_96 Depth=2
	s_or_b64 exec, exec, s[82:83]
	s_and_saveexec_b64 s[82:83], s[72:73]
	s_cbranch_execz .LBB812_226
.LBB812_225:                            ;   in Loop: Header=BB812_96 Depth=2
	ds_read_b64 v[39:40], v106 offset:31232
	s_waitcnt lgkmcnt(0)
	v_lshrrev_b64 v[39:40], s88, v[39:40]
	v_and_b32_e32 v137, s99, v39
.LBB812_226:                            ;   in Loop: Header=BB812_96 Depth=2
	s_or_b64 exec, exec, s[82:83]
	s_waitcnt vmcnt(0)
	s_barrier
	ds_write_b64 v4, v[37:38] offset:512
	ds_write_b64 v41, v[35:36] offset:512
	;; [unrolled: 1-line block ×16, first 2 shown]
	s_waitcnt lgkmcnt(0)
	s_barrier
	s_and_saveexec_b64 s[82:83], s[42:43]
	s_cbranch_execnz .LBB812_291
; %bb.227:                              ;   in Loop: Header=BB812_96 Depth=2
	s_or_b64 exec, exec, s[82:83]
	s_and_saveexec_b64 s[42:43], s[44:45]
	s_cbranch_execnz .LBB812_292
.LBB812_228:                            ;   in Loop: Header=BB812_96 Depth=2
	s_or_b64 exec, exec, s[42:43]
	s_and_saveexec_b64 s[42:43], s[46:47]
	s_cbranch_execnz .LBB812_293
.LBB812_229:                            ;   in Loop: Header=BB812_96 Depth=2
	s_or_b64 exec, exec, s[42:43]
	s_and_saveexec_b64 s[42:43], s[48:49]
	s_cbranch_execnz .LBB812_294
.LBB812_230:                            ;   in Loop: Header=BB812_96 Depth=2
	s_or_b64 exec, exec, s[42:43]
	s_and_saveexec_b64 s[42:43], s[50:51]
	s_cbranch_execnz .LBB812_295
.LBB812_231:                            ;   in Loop: Header=BB812_96 Depth=2
	s_or_b64 exec, exec, s[42:43]
	s_and_saveexec_b64 s[42:43], s[52:53]
	s_cbranch_execnz .LBB812_296
.LBB812_232:                            ;   in Loop: Header=BB812_96 Depth=2
	s_or_b64 exec, exec, s[42:43]
	s_and_saveexec_b64 s[42:43], s[54:55]
	s_cbranch_execnz .LBB812_297
.LBB812_233:                            ;   in Loop: Header=BB812_96 Depth=2
	s_or_b64 exec, exec, s[42:43]
	s_and_saveexec_b64 s[42:43], s[56:57]
	s_cbranch_execnz .LBB812_298
.LBB812_234:                            ;   in Loop: Header=BB812_96 Depth=2
	s_or_b64 exec, exec, s[42:43]
	s_and_saveexec_b64 s[42:43], s[58:59]
	s_cbranch_execnz .LBB812_299
.LBB812_235:                            ;   in Loop: Header=BB812_96 Depth=2
	s_or_b64 exec, exec, s[42:43]
	s_and_saveexec_b64 s[42:43], s[60:61]
	s_cbranch_execnz .LBB812_300
.LBB812_236:                            ;   in Loop: Header=BB812_96 Depth=2
	s_or_b64 exec, exec, s[42:43]
	s_and_saveexec_b64 s[42:43], s[62:63]
	s_cbranch_execnz .LBB812_301
.LBB812_237:                            ;   in Loop: Header=BB812_96 Depth=2
	s_or_b64 exec, exec, s[42:43]
	s_and_saveexec_b64 s[42:43], s[64:65]
	s_cbranch_execnz .LBB812_302
.LBB812_238:                            ;   in Loop: Header=BB812_96 Depth=2
	s_or_b64 exec, exec, s[42:43]
	s_and_saveexec_b64 s[42:43], s[66:67]
	s_cbranch_execnz .LBB812_303
.LBB812_239:                            ;   in Loop: Header=BB812_96 Depth=2
	s_or_b64 exec, exec, s[42:43]
	s_and_saveexec_b64 s[42:43], s[68:69]
	s_cbranch_execnz .LBB812_304
.LBB812_240:                            ;   in Loop: Header=BB812_96 Depth=2
	s_or_b64 exec, exec, s[42:43]
	s_and_saveexec_b64 s[42:43], s[70:71]
	s_cbranch_execnz .LBB812_305
.LBB812_241:                            ;   in Loop: Header=BB812_96 Depth=2
	s_or_b64 exec, exec, s[42:43]
	s_and_saveexec_b64 s[42:43], s[72:73]
	s_cbranch_execz .LBB812_243
.LBB812_242:                            ;   in Loop: Header=BB812_96 Depth=2
	v_lshlrev_b32_e32 v4, 2, v137
	ds_read_b32 v4, v4
	ds_read_b64 v[39:40], v106 offset:31232
	v_mov_b32_e32 v42, v3
	v_mov_b32_e32 v43, s85
	s_waitcnt lgkmcnt(1)
	v_add_u32_e32 v41, v4, v90
	v_lshlrev_b64 v[41:42], 3, v[41:42]
	v_add_co_u32_e32 v41, vcc, s84, v41
	v_addc_co_u32_e32 v42, vcc, v43, v42, vcc
	s_waitcnt lgkmcnt(0)
	global_store_dwordx2 v[41:42], v[39:40], off
.LBB812_243:                            ;   in Loop: Header=BB812_96 Depth=2
	s_or_b64 exec, exec, s[42:43]
	s_waitcnt vmcnt(0)
	s_barrier
	s_and_saveexec_b64 s[42:43], s[4:5]
	s_cbranch_execz .LBB812_95
; %bb.244:                              ;   in Loop: Header=BB812_96 Depth=2
	ds_read_b32 v4, v73
	s_waitcnt lgkmcnt(0)
	v_add3_u32 v4, v174, v175, v4
	ds_write_b32 v73, v4
	s_branch .LBB812_95
.LBB812_245:                            ;   in Loop: Header=BB812_96 Depth=2
	ds_read_b64 v[39:40], v106 offset:512
	v_mov_b32_e32 v58, s79
	s_waitcnt lgkmcnt(0)
	v_lshrrev_b64 v[56:57], s88, v[39:40]
	v_mov_b32_e32 v57, v3
	v_and_b32_e32 v56, s99, v56
	v_lshlrev_b32_e32 v56, 2, v56
	ds_read_b32 v56, v56
	v_xor_b32_e32 v40, 0x80000000, v40
	s_waitcnt lgkmcnt(0)
	v_add_u32_e32 v56, v56, v0
	v_lshlrev_b64 v[56:57], 3, v[56:57]
	v_add_co_u32_e32 v56, vcc, s78, v56
	v_addc_co_u32_e32 v57, vcc, v58, v57, vcc
	global_store_dwordx2 v[56:57], v[39:40], off
	s_or_b64 exec, exec, s[44:45]
	v_cmp_lt_u32_e64 s[44:45], v74, v176
	s_and_saveexec_b64 s[46:47], s[44:45]
	s_cbranch_execz .LBB812_178
.LBB812_246:                            ;   in Loop: Header=BB812_96 Depth=2
	ds_read_b64 v[39:40], v106 offset:2560
	v_mov_b32_e32 v58, s79
	s_waitcnt lgkmcnt(0)
	v_lshrrev_b64 v[56:57], s88, v[39:40]
	v_mov_b32_e32 v57, v3
	v_and_b32_e32 v56, s99, v56
	v_lshlrev_b32_e32 v56, 2, v56
	ds_read_b32 v56, v56
	v_xor_b32_e32 v40, 0x80000000, v40
	s_waitcnt lgkmcnt(0)
	v_add_u32_e32 v56, v56, v74
	v_lshlrev_b64 v[56:57], 3, v[56:57]
	v_add_co_u32_e32 v56, vcc, s78, v56
	v_addc_co_u32_e32 v57, vcc, v58, v57, vcc
	global_store_dwordx2 v[56:57], v[39:40], off
	s_or_b64 exec, exec, s[46:47]
	v_cmp_lt_u32_e64 s[46:47], v77, v176
	s_and_saveexec_b64 s[48:49], s[46:47]
	s_cbranch_execz .LBB812_179
.LBB812_247:                            ;   in Loop: Header=BB812_96 Depth=2
	ds_read_b64 v[39:40], v106 offset:4608
	v_mov_b32_e32 v58, s79
	s_waitcnt lgkmcnt(0)
	v_lshrrev_b64 v[56:57], s88, v[39:40]
	v_mov_b32_e32 v57, v3
	v_and_b32_e32 v56, s99, v56
	v_lshlrev_b32_e32 v56, 2, v56
	ds_read_b32 v56, v56
	v_xor_b32_e32 v40, 0x80000000, v40
	s_waitcnt lgkmcnt(0)
	v_add_u32_e32 v56, v56, v77
	v_lshlrev_b64 v[56:57], 3, v[56:57]
	v_add_co_u32_e32 v56, vcc, s78, v56
	v_addc_co_u32_e32 v57, vcc, v58, v57, vcc
	global_store_dwordx2 v[56:57], v[39:40], off
	s_or_b64 exec, exec, s[48:49]
	v_cmp_lt_u32_e64 s[48:49], v78, v176
	s_and_saveexec_b64 s[50:51], s[48:49]
	s_cbranch_execz .LBB812_180
.LBB812_248:                            ;   in Loop: Header=BB812_96 Depth=2
	ds_read_b64 v[39:40], v106 offset:6656
	v_mov_b32_e32 v58, s79
	s_waitcnt lgkmcnt(0)
	v_lshrrev_b64 v[56:57], s88, v[39:40]
	v_mov_b32_e32 v57, v3
	v_and_b32_e32 v56, s99, v56
	v_lshlrev_b32_e32 v56, 2, v56
	ds_read_b32 v56, v56
	v_xor_b32_e32 v40, 0x80000000, v40
	s_waitcnt lgkmcnt(0)
	v_add_u32_e32 v56, v56, v78
	v_lshlrev_b64 v[56:57], 3, v[56:57]
	v_add_co_u32_e32 v56, vcc, s78, v56
	v_addc_co_u32_e32 v57, vcc, v58, v57, vcc
	global_store_dwordx2 v[56:57], v[39:40], off
	s_or_b64 exec, exec, s[50:51]
	v_cmp_lt_u32_e64 s[50:51], v79, v176
	s_and_saveexec_b64 s[52:53], s[50:51]
	s_cbranch_execz .LBB812_181
.LBB812_249:                            ;   in Loop: Header=BB812_96 Depth=2
	ds_read_b64 v[39:40], v106 offset:8704
	v_mov_b32_e32 v58, s79
	s_waitcnt lgkmcnt(0)
	v_lshrrev_b64 v[56:57], s88, v[39:40]
	v_mov_b32_e32 v57, v3
	v_and_b32_e32 v56, s99, v56
	v_lshlrev_b32_e32 v56, 2, v56
	ds_read_b32 v56, v56
	v_xor_b32_e32 v40, 0x80000000, v40
	s_waitcnt lgkmcnt(0)
	v_add_u32_e32 v56, v56, v79
	v_lshlrev_b64 v[56:57], 3, v[56:57]
	v_add_co_u32_e32 v56, vcc, s78, v56
	v_addc_co_u32_e32 v57, vcc, v58, v57, vcc
	global_store_dwordx2 v[56:57], v[39:40], off
	s_or_b64 exec, exec, s[52:53]
	v_cmp_lt_u32_e64 s[52:53], v80, v176
	s_and_saveexec_b64 s[54:55], s[52:53]
	s_cbranch_execz .LBB812_182
.LBB812_250:                            ;   in Loop: Header=BB812_96 Depth=2
	ds_read_b64 v[39:40], v106 offset:10752
	v_mov_b32_e32 v58, s79
	s_waitcnt lgkmcnt(0)
	v_lshrrev_b64 v[56:57], s88, v[39:40]
	v_mov_b32_e32 v57, v3
	v_and_b32_e32 v56, s99, v56
	v_lshlrev_b32_e32 v56, 2, v56
	ds_read_b32 v56, v56
	v_xor_b32_e32 v40, 0x80000000, v40
	s_waitcnt lgkmcnt(0)
	v_add_u32_e32 v56, v56, v80
	v_lshlrev_b64 v[56:57], 3, v[56:57]
	v_add_co_u32_e32 v56, vcc, s78, v56
	v_addc_co_u32_e32 v57, vcc, v58, v57, vcc
	global_store_dwordx2 v[56:57], v[39:40], off
	s_or_b64 exec, exec, s[54:55]
	v_cmp_lt_u32_e64 s[54:55], v81, v176
	s_and_saveexec_b64 s[56:57], s[54:55]
	s_cbranch_execz .LBB812_183
.LBB812_251:                            ;   in Loop: Header=BB812_96 Depth=2
	ds_read_b64 v[39:40], v106 offset:12800
	v_mov_b32_e32 v58, s79
	s_waitcnt lgkmcnt(0)
	v_lshrrev_b64 v[56:57], s88, v[39:40]
	v_mov_b32_e32 v57, v3
	v_and_b32_e32 v56, s99, v56
	v_lshlrev_b32_e32 v56, 2, v56
	ds_read_b32 v56, v56
	v_xor_b32_e32 v40, 0x80000000, v40
	s_waitcnt lgkmcnt(0)
	v_add_u32_e32 v56, v56, v81
	v_lshlrev_b64 v[56:57], 3, v[56:57]
	v_add_co_u32_e32 v56, vcc, s78, v56
	v_addc_co_u32_e32 v57, vcc, v58, v57, vcc
	global_store_dwordx2 v[56:57], v[39:40], off
	s_or_b64 exec, exec, s[56:57]
	v_cmp_lt_u32_e64 s[56:57], v82, v176
	s_and_saveexec_b64 s[58:59], s[56:57]
	s_cbranch_execz .LBB812_184
.LBB812_252:                            ;   in Loop: Header=BB812_96 Depth=2
	ds_read_b64 v[39:40], v106 offset:14848
	v_mov_b32_e32 v58, s79
	s_waitcnt lgkmcnt(0)
	v_lshrrev_b64 v[56:57], s88, v[39:40]
	v_mov_b32_e32 v57, v3
	v_and_b32_e32 v56, s99, v56
	v_lshlrev_b32_e32 v56, 2, v56
	ds_read_b32 v56, v56
	v_xor_b32_e32 v40, 0x80000000, v40
	s_waitcnt lgkmcnt(0)
	v_add_u32_e32 v56, v56, v82
	v_lshlrev_b64 v[56:57], 3, v[56:57]
	v_add_co_u32_e32 v56, vcc, s78, v56
	v_addc_co_u32_e32 v57, vcc, v58, v57, vcc
	global_store_dwordx2 v[56:57], v[39:40], off
	s_or_b64 exec, exec, s[58:59]
	v_cmp_lt_u32_e64 s[58:59], v83, v176
	s_and_saveexec_b64 s[60:61], s[58:59]
	s_cbranch_execz .LBB812_185
.LBB812_253:                            ;   in Loop: Header=BB812_96 Depth=2
	ds_read_b64 v[39:40], v106 offset:16896
	v_mov_b32_e32 v58, s79
	s_waitcnt lgkmcnt(0)
	v_lshrrev_b64 v[56:57], s88, v[39:40]
	v_mov_b32_e32 v57, v3
	v_and_b32_e32 v56, s99, v56
	v_lshlrev_b32_e32 v56, 2, v56
	ds_read_b32 v56, v56
	v_xor_b32_e32 v40, 0x80000000, v40
	s_waitcnt lgkmcnt(0)
	v_add_u32_e32 v56, v56, v83
	v_lshlrev_b64 v[56:57], 3, v[56:57]
	v_add_co_u32_e32 v56, vcc, s78, v56
	v_addc_co_u32_e32 v57, vcc, v58, v57, vcc
	global_store_dwordx2 v[56:57], v[39:40], off
	s_or_b64 exec, exec, s[60:61]
	v_cmp_lt_u32_e64 s[60:61], v84, v176
	s_and_saveexec_b64 s[62:63], s[60:61]
	s_cbranch_execz .LBB812_186
.LBB812_254:                            ;   in Loop: Header=BB812_96 Depth=2
	ds_read_b64 v[39:40], v106 offset:18944
	v_mov_b32_e32 v58, s79
	s_waitcnt lgkmcnt(0)
	v_lshrrev_b64 v[56:57], s88, v[39:40]
	v_mov_b32_e32 v57, v3
	v_and_b32_e32 v56, s99, v56
	v_lshlrev_b32_e32 v56, 2, v56
	ds_read_b32 v56, v56
	v_xor_b32_e32 v40, 0x80000000, v40
	s_waitcnt lgkmcnt(0)
	v_add_u32_e32 v56, v56, v84
	v_lshlrev_b64 v[56:57], 3, v[56:57]
	v_add_co_u32_e32 v56, vcc, s78, v56
	v_addc_co_u32_e32 v57, vcc, v58, v57, vcc
	global_store_dwordx2 v[56:57], v[39:40], off
	s_or_b64 exec, exec, s[62:63]
	v_cmp_lt_u32_e64 s[62:63], v85, v176
	s_and_saveexec_b64 s[64:65], s[62:63]
	s_cbranch_execz .LBB812_187
.LBB812_255:                            ;   in Loop: Header=BB812_96 Depth=2
	ds_read_b64 v[39:40], v106 offset:20992
	v_mov_b32_e32 v58, s79
	s_waitcnt lgkmcnt(0)
	v_lshrrev_b64 v[56:57], s88, v[39:40]
	v_mov_b32_e32 v57, v3
	v_and_b32_e32 v56, s99, v56
	v_lshlrev_b32_e32 v56, 2, v56
	ds_read_b32 v56, v56
	v_xor_b32_e32 v40, 0x80000000, v40
	s_waitcnt lgkmcnt(0)
	v_add_u32_e32 v56, v56, v85
	v_lshlrev_b64 v[56:57], 3, v[56:57]
	v_add_co_u32_e32 v56, vcc, s78, v56
	v_addc_co_u32_e32 v57, vcc, v58, v57, vcc
	global_store_dwordx2 v[56:57], v[39:40], off
	s_or_b64 exec, exec, s[64:65]
	v_cmp_lt_u32_e64 s[64:65], v86, v176
	s_and_saveexec_b64 s[66:67], s[64:65]
	s_cbranch_execz .LBB812_188
.LBB812_256:                            ;   in Loop: Header=BB812_96 Depth=2
	ds_read_b64 v[39:40], v106 offset:23040
	v_mov_b32_e32 v58, s79
	s_waitcnt lgkmcnt(0)
	v_lshrrev_b64 v[56:57], s88, v[39:40]
	v_mov_b32_e32 v57, v3
	v_and_b32_e32 v56, s99, v56
	v_lshlrev_b32_e32 v56, 2, v56
	ds_read_b32 v56, v56
	v_xor_b32_e32 v40, 0x80000000, v40
	s_waitcnt lgkmcnt(0)
	v_add_u32_e32 v56, v56, v86
	v_lshlrev_b64 v[56:57], 3, v[56:57]
	v_add_co_u32_e32 v56, vcc, s78, v56
	v_addc_co_u32_e32 v57, vcc, v58, v57, vcc
	global_store_dwordx2 v[56:57], v[39:40], off
	s_or_b64 exec, exec, s[66:67]
	v_cmp_lt_u32_e64 s[66:67], v87, v176
	s_and_saveexec_b64 s[68:69], s[66:67]
	s_cbranch_execz .LBB812_189
.LBB812_257:                            ;   in Loop: Header=BB812_96 Depth=2
	ds_read_b64 v[39:40], v106 offset:25088
	v_mov_b32_e32 v58, s79
	s_waitcnt lgkmcnt(0)
	v_lshrrev_b64 v[56:57], s88, v[39:40]
	v_mov_b32_e32 v57, v3
	v_and_b32_e32 v56, s99, v56
	v_lshlrev_b32_e32 v56, 2, v56
	ds_read_b32 v56, v56
	v_xor_b32_e32 v40, 0x80000000, v40
	s_waitcnt lgkmcnt(0)
	v_add_u32_e32 v56, v56, v87
	v_lshlrev_b64 v[56:57], 3, v[56:57]
	v_add_co_u32_e32 v56, vcc, s78, v56
	v_addc_co_u32_e32 v57, vcc, v58, v57, vcc
	global_store_dwordx2 v[56:57], v[39:40], off
	s_or_b64 exec, exec, s[68:69]
	v_cmp_lt_u32_e64 s[68:69], v88, v176
	s_and_saveexec_b64 s[70:71], s[68:69]
	s_cbranch_execz .LBB812_190
.LBB812_258:                            ;   in Loop: Header=BB812_96 Depth=2
	ds_read_b64 v[39:40], v106 offset:27136
	v_mov_b32_e32 v58, s79
	s_waitcnt lgkmcnt(0)
	v_lshrrev_b64 v[56:57], s88, v[39:40]
	v_mov_b32_e32 v57, v3
	v_and_b32_e32 v56, s99, v56
	v_lshlrev_b32_e32 v56, 2, v56
	ds_read_b32 v56, v56
	v_xor_b32_e32 v40, 0x80000000, v40
	s_waitcnt lgkmcnt(0)
	v_add_u32_e32 v56, v56, v88
	v_lshlrev_b64 v[56:57], 3, v[56:57]
	v_add_co_u32_e32 v56, vcc, s78, v56
	v_addc_co_u32_e32 v57, vcc, v58, v57, vcc
	global_store_dwordx2 v[56:57], v[39:40], off
	s_or_b64 exec, exec, s[70:71]
	v_cmp_lt_u32_e64 s[70:71], v89, v176
	s_and_saveexec_b64 s[72:73], s[70:71]
	s_cbranch_execz .LBB812_191
.LBB812_259:                            ;   in Loop: Header=BB812_96 Depth=2
	ds_read_b64 v[39:40], v106 offset:29184
	v_mov_b32_e32 v58, s79
	s_waitcnt lgkmcnt(0)
	v_lshrrev_b64 v[56:57], s88, v[39:40]
	v_mov_b32_e32 v57, v3
	v_and_b32_e32 v56, s99, v56
	v_lshlrev_b32_e32 v56, 2, v56
	ds_read_b32 v56, v56
	v_xor_b32_e32 v40, 0x80000000, v40
	s_waitcnt lgkmcnt(0)
	v_add_u32_e32 v56, v56, v89
	v_lshlrev_b64 v[56:57], 3, v[56:57]
	v_add_co_u32_e32 v56, vcc, s78, v56
	v_addc_co_u32_e32 v57, vcc, v58, v57, vcc
	global_store_dwordx2 v[56:57], v[39:40], off
	s_or_b64 exec, exec, s[72:73]
	v_cmp_lt_u32_e64 s[72:73], v90, v176
	s_and_saveexec_b64 s[82:83], s[72:73]
	s_cbranch_execnz .LBB812_192
	s_branch .LBB812_193
.LBB812_260:                            ;   in Loop: Header=BB812_96 Depth=2
	global_load_dwordx2 v[37:38], v[39:40], off
	s_or_b64 exec, exec, s[82:83]
	v_cmp_lt_u32_e32 vcc, v156, v176
	s_and_saveexec_b64 s[82:83], vcc
	s_cbranch_execz .LBB812_195
.LBB812_261:                            ;   in Loop: Header=BB812_96 Depth=2
	global_load_dwordx2 v[35:36], v[39:40], off offset:512
	s_or_b64 exec, exec, s[82:83]
	v_cmp_lt_u32_e32 vcc, v157, v176
	s_and_saveexec_b64 s[82:83], vcc
	s_cbranch_execz .LBB812_196
.LBB812_262:                            ;   in Loop: Header=BB812_96 Depth=2
	global_load_dwordx2 v[33:34], v[39:40], off offset:1024
	s_or_b64 exec, exec, s[82:83]
	v_cmp_lt_u32_e32 vcc, v158, v176
	s_and_saveexec_b64 s[82:83], vcc
	s_cbranch_execz .LBB812_197
.LBB812_263:                            ;   in Loop: Header=BB812_96 Depth=2
	global_load_dwordx2 v[29:30], v[39:40], off offset:1536
	s_or_b64 exec, exec, s[82:83]
	v_cmp_lt_u32_e32 vcc, v159, v176
	s_and_saveexec_b64 s[82:83], vcc
	s_cbranch_execz .LBB812_198
.LBB812_264:                            ;   in Loop: Header=BB812_96 Depth=2
	global_load_dwordx2 v[25:26], v[39:40], off offset:2048
	s_or_b64 exec, exec, s[82:83]
	v_cmp_lt_u32_e32 vcc, v160, v176
	s_and_saveexec_b64 s[82:83], vcc
	s_cbranch_execz .LBB812_199
.LBB812_265:                            ;   in Loop: Header=BB812_96 Depth=2
	global_load_dwordx2 v[21:22], v[39:40], off offset:2560
	s_or_b64 exec, exec, s[82:83]
	v_cmp_lt_u32_e32 vcc, v161, v176
	s_and_saveexec_b64 s[82:83], vcc
	s_cbranch_execz .LBB812_200
.LBB812_266:                            ;   in Loop: Header=BB812_96 Depth=2
	global_load_dwordx2 v[17:18], v[39:40], off offset:3072
	s_or_b64 exec, exec, s[82:83]
	v_cmp_lt_u32_e32 vcc, v162, v176
	s_and_saveexec_b64 s[82:83], vcc
	s_cbranch_execz .LBB812_201
.LBB812_267:                            ;   in Loop: Header=BB812_96 Depth=2
	global_load_dwordx2 v[13:14], v[39:40], off offset:3584
	s_or_b64 exec, exec, s[82:83]
	v_cmp_lt_u32_e32 vcc, v163, v176
	s_and_saveexec_b64 s[82:83], vcc
	s_cbranch_execz .LBB812_202
.LBB812_268:                            ;   in Loop: Header=BB812_96 Depth=2
	v_add_co_u32_e32 v31, vcc, 0x1000, v39
	v_addc_co_u32_e32 v32, vcc, 0, v40, vcc
	global_load_dwordx2 v[31:32], v[31:32], off
	s_or_b64 exec, exec, s[82:83]
	v_cmp_lt_u32_e32 vcc, v164, v176
	s_and_saveexec_b64 s[82:83], vcc
	s_cbranch_execz .LBB812_203
.LBB812_269:                            ;   in Loop: Header=BB812_96 Depth=2
	v_add_co_u32_e32 v27, vcc, 0x1000, v39
	v_addc_co_u32_e32 v28, vcc, 0, v40, vcc
	global_load_dwordx2 v[27:28], v[27:28], off offset:512
	s_or_b64 exec, exec, s[82:83]
	v_cmp_lt_u32_e32 vcc, v165, v176
	s_and_saveexec_b64 s[82:83], vcc
	s_cbranch_execz .LBB812_204
.LBB812_270:                            ;   in Loop: Header=BB812_96 Depth=2
	v_add_co_u32_e32 v23, vcc, 0x1000, v39
	v_addc_co_u32_e32 v24, vcc, 0, v40, vcc
	global_load_dwordx2 v[23:24], v[23:24], off offset:1024
	s_or_b64 exec, exec, s[82:83]
	v_cmp_lt_u32_e32 vcc, v166, v176
	s_and_saveexec_b64 s[82:83], vcc
	s_cbranch_execz .LBB812_205
.LBB812_271:                            ;   in Loop: Header=BB812_96 Depth=2
	v_add_co_u32_e32 v19, vcc, 0x1000, v39
	v_addc_co_u32_e32 v20, vcc, 0, v40, vcc
	global_load_dwordx2 v[19:20], v[19:20], off offset:1536
	s_or_b64 exec, exec, s[82:83]
	v_cmp_lt_u32_e32 vcc, v167, v176
	s_and_saveexec_b64 s[82:83], vcc
	s_cbranch_execz .LBB812_206
.LBB812_272:                            ;   in Loop: Header=BB812_96 Depth=2
	v_add_co_u32_e32 v15, vcc, 0x1000, v39
	v_addc_co_u32_e32 v16, vcc, 0, v40, vcc
	global_load_dwordx2 v[15:16], v[15:16], off offset:2048
	s_or_b64 exec, exec, s[82:83]
	v_cmp_lt_u32_e32 vcc, v168, v176
	s_and_saveexec_b64 s[82:83], vcc
	s_cbranch_execz .LBB812_207
.LBB812_273:                            ;   in Loop: Header=BB812_96 Depth=2
	v_add_co_u32_e32 v11, vcc, 0x1000, v39
	v_addc_co_u32_e32 v12, vcc, 0, v40, vcc
	global_load_dwordx2 v[11:12], v[11:12], off offset:2560
	s_or_b64 exec, exec, s[82:83]
	v_cmp_lt_u32_e32 vcc, v169, v176
	s_and_saveexec_b64 s[82:83], vcc
	s_cbranch_execz .LBB812_208
.LBB812_274:                            ;   in Loop: Header=BB812_96 Depth=2
	v_add_co_u32_e32 v9, vcc, 0x1000, v39
	v_addc_co_u32_e32 v10, vcc, 0, v40, vcc
	global_load_dwordx2 v[9:10], v[9:10], off offset:3072
	s_or_b64 exec, exec, s[82:83]
	v_cmp_lt_u32_e32 vcc, v170, v176
	s_and_saveexec_b64 s[82:83], vcc
	s_cbranch_execz .LBB812_209
.LBB812_275:                            ;   in Loop: Header=BB812_96 Depth=2
	v_add_co_u32_e32 v7, vcc, 0x1000, v39
	v_addc_co_u32_e32 v8, vcc, 0, v40, vcc
	global_load_dwordx2 v[7:8], v[7:8], off offset:3584
	s_or_b64 exec, exec, s[82:83]
	s_and_saveexec_b64 s[82:83], s[42:43]
	s_cbranch_execz .LBB812_210
.LBB812_276:                            ;   in Loop: Header=BB812_96 Depth=2
	ds_read_b64 v[39:40], v106 offset:512
	s_waitcnt lgkmcnt(0)
	v_lshrrev_b64 v[39:40], s88, v[39:40]
	v_and_b32_e32 v152, s99, v39
	s_or_b64 exec, exec, s[82:83]
	s_and_saveexec_b64 s[82:83], s[44:45]
	s_cbranch_execz .LBB812_211
.LBB812_277:                            ;   in Loop: Header=BB812_96 Depth=2
	ds_read_b64 v[39:40], v106 offset:2560
	s_waitcnt lgkmcnt(0)
	v_lshrrev_b64 v[39:40], s88, v[39:40]
	v_and_b32_e32 v151, s99, v39
	s_or_b64 exec, exec, s[82:83]
	s_and_saveexec_b64 s[82:83], s[46:47]
	s_cbranch_execz .LBB812_212
.LBB812_278:                            ;   in Loop: Header=BB812_96 Depth=2
	ds_read_b64 v[39:40], v106 offset:4608
	s_waitcnt lgkmcnt(0)
	v_lshrrev_b64 v[39:40], s88, v[39:40]
	v_and_b32_e32 v150, s99, v39
	s_or_b64 exec, exec, s[82:83]
	s_and_saveexec_b64 s[82:83], s[48:49]
	s_cbranch_execz .LBB812_213
.LBB812_279:                            ;   in Loop: Header=BB812_96 Depth=2
	ds_read_b64 v[39:40], v106 offset:6656
	s_waitcnt lgkmcnt(0)
	v_lshrrev_b64 v[39:40], s88, v[39:40]
	v_and_b32_e32 v149, s99, v39
	s_or_b64 exec, exec, s[82:83]
	s_and_saveexec_b64 s[82:83], s[50:51]
	s_cbranch_execz .LBB812_214
.LBB812_280:                            ;   in Loop: Header=BB812_96 Depth=2
	ds_read_b64 v[39:40], v106 offset:8704
	s_waitcnt lgkmcnt(0)
	v_lshrrev_b64 v[39:40], s88, v[39:40]
	v_and_b32_e32 v148, s99, v39
	s_or_b64 exec, exec, s[82:83]
	s_and_saveexec_b64 s[82:83], s[52:53]
	s_cbranch_execz .LBB812_215
.LBB812_281:                            ;   in Loop: Header=BB812_96 Depth=2
	ds_read_b64 v[39:40], v106 offset:10752
	s_waitcnt lgkmcnt(0)
	v_lshrrev_b64 v[39:40], s88, v[39:40]
	v_and_b32_e32 v147, s99, v39
	s_or_b64 exec, exec, s[82:83]
	s_and_saveexec_b64 s[82:83], s[54:55]
	s_cbranch_execz .LBB812_216
.LBB812_282:                            ;   in Loop: Header=BB812_96 Depth=2
	ds_read_b64 v[39:40], v106 offset:12800
	s_waitcnt lgkmcnt(0)
	v_lshrrev_b64 v[39:40], s88, v[39:40]
	v_and_b32_e32 v146, s99, v39
	s_or_b64 exec, exec, s[82:83]
	s_and_saveexec_b64 s[82:83], s[56:57]
	s_cbranch_execz .LBB812_217
.LBB812_283:                            ;   in Loop: Header=BB812_96 Depth=2
	ds_read_b64 v[39:40], v106 offset:14848
	s_waitcnt lgkmcnt(0)
	v_lshrrev_b64 v[39:40], s88, v[39:40]
	v_and_b32_e32 v145, s99, v39
	s_or_b64 exec, exec, s[82:83]
	s_and_saveexec_b64 s[82:83], s[58:59]
	s_cbranch_execz .LBB812_218
.LBB812_284:                            ;   in Loop: Header=BB812_96 Depth=2
	ds_read_b64 v[39:40], v106 offset:16896
	s_waitcnt lgkmcnt(0)
	v_lshrrev_b64 v[39:40], s88, v[39:40]
	v_and_b32_e32 v144, s99, v39
	s_or_b64 exec, exec, s[82:83]
	s_and_saveexec_b64 s[82:83], s[60:61]
	s_cbranch_execz .LBB812_219
.LBB812_285:                            ;   in Loop: Header=BB812_96 Depth=2
	ds_read_b64 v[39:40], v106 offset:18944
	s_waitcnt lgkmcnt(0)
	v_lshrrev_b64 v[39:40], s88, v[39:40]
	v_and_b32_e32 v143, s99, v39
	s_or_b64 exec, exec, s[82:83]
	s_and_saveexec_b64 s[82:83], s[62:63]
	s_cbranch_execz .LBB812_220
.LBB812_286:                            ;   in Loop: Header=BB812_96 Depth=2
	ds_read_b64 v[39:40], v106 offset:20992
	s_waitcnt lgkmcnt(0)
	v_lshrrev_b64 v[39:40], s88, v[39:40]
	v_and_b32_e32 v142, s99, v39
	s_or_b64 exec, exec, s[82:83]
	s_and_saveexec_b64 s[82:83], s[64:65]
	s_cbranch_execz .LBB812_221
.LBB812_287:                            ;   in Loop: Header=BB812_96 Depth=2
	ds_read_b64 v[39:40], v106 offset:23040
	s_waitcnt lgkmcnt(0)
	v_lshrrev_b64 v[39:40], s88, v[39:40]
	v_and_b32_e32 v141, s99, v39
	s_or_b64 exec, exec, s[82:83]
	s_and_saveexec_b64 s[82:83], s[66:67]
	s_cbranch_execz .LBB812_222
.LBB812_288:                            ;   in Loop: Header=BB812_96 Depth=2
	ds_read_b64 v[39:40], v106 offset:25088
	s_waitcnt lgkmcnt(0)
	v_lshrrev_b64 v[39:40], s88, v[39:40]
	v_and_b32_e32 v140, s99, v39
	s_or_b64 exec, exec, s[82:83]
	s_and_saveexec_b64 s[82:83], s[68:69]
	s_cbranch_execz .LBB812_223
.LBB812_289:                            ;   in Loop: Header=BB812_96 Depth=2
	ds_read_b64 v[39:40], v106 offset:27136
	s_waitcnt lgkmcnt(0)
	v_lshrrev_b64 v[39:40], s88, v[39:40]
	v_and_b32_e32 v139, s99, v39
	s_or_b64 exec, exec, s[82:83]
	s_and_saveexec_b64 s[82:83], s[70:71]
	s_cbranch_execz .LBB812_224
.LBB812_290:                            ;   in Loop: Header=BB812_96 Depth=2
	ds_read_b64 v[39:40], v106 offset:29184
	s_waitcnt lgkmcnt(0)
	v_lshrrev_b64 v[39:40], s88, v[39:40]
	v_and_b32_e32 v138, s99, v39
	s_or_b64 exec, exec, s[82:83]
	s_and_saveexec_b64 s[82:83], s[72:73]
	s_cbranch_execnz .LBB812_225
	s_branch .LBB812_226
.LBB812_291:                            ;   in Loop: Header=BB812_96 Depth=2
	v_lshlrev_b32_e32 v4, 2, v152
	ds_read_b32 v4, v4
	ds_read_b64 v[39:40], v106 offset:512
	v_mov_b32_e32 v42, v3
	v_mov_b32_e32 v43, s85
	s_waitcnt lgkmcnt(1)
	v_add_u32_e32 v41, v4, v0
	v_lshlrev_b64 v[41:42], 3, v[41:42]
	v_add_co_u32_e32 v41, vcc, s84, v41
	v_addc_co_u32_e32 v42, vcc, v43, v42, vcc
	s_waitcnt lgkmcnt(0)
	global_store_dwordx2 v[41:42], v[39:40], off
	s_or_b64 exec, exec, s[82:83]
	s_and_saveexec_b64 s[42:43], s[44:45]
	s_cbranch_execz .LBB812_228
.LBB812_292:                            ;   in Loop: Header=BB812_96 Depth=2
	v_lshlrev_b32_e32 v4, 2, v151
	ds_read_b32 v4, v4
	ds_read_b64 v[39:40], v106 offset:2560
	v_mov_b32_e32 v42, v3
	v_mov_b32_e32 v43, s85
	s_waitcnt lgkmcnt(1)
	v_add_u32_e32 v41, v4, v74
	v_lshlrev_b64 v[41:42], 3, v[41:42]
	v_add_co_u32_e32 v41, vcc, s84, v41
	v_addc_co_u32_e32 v42, vcc, v43, v42, vcc
	s_waitcnt lgkmcnt(0)
	global_store_dwordx2 v[41:42], v[39:40], off
	s_or_b64 exec, exec, s[42:43]
	s_and_saveexec_b64 s[42:43], s[46:47]
	s_cbranch_execz .LBB812_229
.LBB812_293:                            ;   in Loop: Header=BB812_96 Depth=2
	v_lshlrev_b32_e32 v4, 2, v150
	ds_read_b32 v4, v4
	ds_read_b64 v[39:40], v106 offset:4608
	v_mov_b32_e32 v42, v3
	v_mov_b32_e32 v43, s85
	s_waitcnt lgkmcnt(1)
	v_add_u32_e32 v41, v4, v77
	v_lshlrev_b64 v[41:42], 3, v[41:42]
	v_add_co_u32_e32 v41, vcc, s84, v41
	v_addc_co_u32_e32 v42, vcc, v43, v42, vcc
	s_waitcnt lgkmcnt(0)
	global_store_dwordx2 v[41:42], v[39:40], off
	s_or_b64 exec, exec, s[42:43]
	s_and_saveexec_b64 s[42:43], s[48:49]
	s_cbranch_execz .LBB812_230
.LBB812_294:                            ;   in Loop: Header=BB812_96 Depth=2
	v_lshlrev_b32_e32 v4, 2, v149
	ds_read_b32 v4, v4
	ds_read_b64 v[39:40], v106 offset:6656
	v_mov_b32_e32 v42, v3
	v_mov_b32_e32 v43, s85
	s_waitcnt lgkmcnt(1)
	v_add_u32_e32 v41, v4, v78
	v_lshlrev_b64 v[41:42], 3, v[41:42]
	v_add_co_u32_e32 v41, vcc, s84, v41
	v_addc_co_u32_e32 v42, vcc, v43, v42, vcc
	s_waitcnt lgkmcnt(0)
	global_store_dwordx2 v[41:42], v[39:40], off
	s_or_b64 exec, exec, s[42:43]
	s_and_saveexec_b64 s[42:43], s[50:51]
	s_cbranch_execz .LBB812_231
.LBB812_295:                            ;   in Loop: Header=BB812_96 Depth=2
	v_lshlrev_b32_e32 v4, 2, v148
	ds_read_b32 v4, v4
	ds_read_b64 v[39:40], v106 offset:8704
	v_mov_b32_e32 v42, v3
	v_mov_b32_e32 v43, s85
	s_waitcnt lgkmcnt(1)
	v_add_u32_e32 v41, v4, v79
	v_lshlrev_b64 v[41:42], 3, v[41:42]
	v_add_co_u32_e32 v41, vcc, s84, v41
	v_addc_co_u32_e32 v42, vcc, v43, v42, vcc
	s_waitcnt lgkmcnt(0)
	global_store_dwordx2 v[41:42], v[39:40], off
	s_or_b64 exec, exec, s[42:43]
	s_and_saveexec_b64 s[42:43], s[52:53]
	s_cbranch_execz .LBB812_232
.LBB812_296:                            ;   in Loop: Header=BB812_96 Depth=2
	v_lshlrev_b32_e32 v4, 2, v147
	ds_read_b32 v4, v4
	ds_read_b64 v[39:40], v106 offset:10752
	v_mov_b32_e32 v42, v3
	v_mov_b32_e32 v43, s85
	s_waitcnt lgkmcnt(1)
	v_add_u32_e32 v41, v4, v80
	v_lshlrev_b64 v[41:42], 3, v[41:42]
	v_add_co_u32_e32 v41, vcc, s84, v41
	v_addc_co_u32_e32 v42, vcc, v43, v42, vcc
	s_waitcnt lgkmcnt(0)
	global_store_dwordx2 v[41:42], v[39:40], off
	s_or_b64 exec, exec, s[42:43]
	s_and_saveexec_b64 s[42:43], s[54:55]
	s_cbranch_execz .LBB812_233
.LBB812_297:                            ;   in Loop: Header=BB812_96 Depth=2
	v_lshlrev_b32_e32 v4, 2, v146
	ds_read_b32 v4, v4
	ds_read_b64 v[39:40], v106 offset:12800
	v_mov_b32_e32 v42, v3
	v_mov_b32_e32 v43, s85
	s_waitcnt lgkmcnt(1)
	v_add_u32_e32 v41, v4, v81
	v_lshlrev_b64 v[41:42], 3, v[41:42]
	v_add_co_u32_e32 v41, vcc, s84, v41
	v_addc_co_u32_e32 v42, vcc, v43, v42, vcc
	s_waitcnt lgkmcnt(0)
	global_store_dwordx2 v[41:42], v[39:40], off
	s_or_b64 exec, exec, s[42:43]
	s_and_saveexec_b64 s[42:43], s[56:57]
	s_cbranch_execz .LBB812_234
.LBB812_298:                            ;   in Loop: Header=BB812_96 Depth=2
	v_lshlrev_b32_e32 v4, 2, v145
	ds_read_b32 v4, v4
	ds_read_b64 v[39:40], v106 offset:14848
	v_mov_b32_e32 v42, v3
	v_mov_b32_e32 v43, s85
	s_waitcnt lgkmcnt(1)
	v_add_u32_e32 v41, v4, v82
	v_lshlrev_b64 v[41:42], 3, v[41:42]
	v_add_co_u32_e32 v41, vcc, s84, v41
	v_addc_co_u32_e32 v42, vcc, v43, v42, vcc
	s_waitcnt lgkmcnt(0)
	global_store_dwordx2 v[41:42], v[39:40], off
	s_or_b64 exec, exec, s[42:43]
	s_and_saveexec_b64 s[42:43], s[58:59]
	s_cbranch_execz .LBB812_235
.LBB812_299:                            ;   in Loop: Header=BB812_96 Depth=2
	v_lshlrev_b32_e32 v4, 2, v144
	ds_read_b32 v4, v4
	ds_read_b64 v[39:40], v106 offset:16896
	v_mov_b32_e32 v42, v3
	v_mov_b32_e32 v43, s85
	s_waitcnt lgkmcnt(1)
	v_add_u32_e32 v41, v4, v83
	v_lshlrev_b64 v[41:42], 3, v[41:42]
	v_add_co_u32_e32 v41, vcc, s84, v41
	v_addc_co_u32_e32 v42, vcc, v43, v42, vcc
	s_waitcnt lgkmcnt(0)
	global_store_dwordx2 v[41:42], v[39:40], off
	s_or_b64 exec, exec, s[42:43]
	s_and_saveexec_b64 s[42:43], s[60:61]
	s_cbranch_execz .LBB812_236
.LBB812_300:                            ;   in Loop: Header=BB812_96 Depth=2
	v_lshlrev_b32_e32 v4, 2, v143
	ds_read_b32 v4, v4
	ds_read_b64 v[39:40], v106 offset:18944
	v_mov_b32_e32 v42, v3
	v_mov_b32_e32 v43, s85
	s_waitcnt lgkmcnt(1)
	v_add_u32_e32 v41, v4, v84
	v_lshlrev_b64 v[41:42], 3, v[41:42]
	v_add_co_u32_e32 v41, vcc, s84, v41
	v_addc_co_u32_e32 v42, vcc, v43, v42, vcc
	s_waitcnt lgkmcnt(0)
	global_store_dwordx2 v[41:42], v[39:40], off
	s_or_b64 exec, exec, s[42:43]
	s_and_saveexec_b64 s[42:43], s[62:63]
	s_cbranch_execz .LBB812_237
.LBB812_301:                            ;   in Loop: Header=BB812_96 Depth=2
	v_lshlrev_b32_e32 v4, 2, v142
	ds_read_b32 v4, v4
	ds_read_b64 v[39:40], v106 offset:20992
	v_mov_b32_e32 v42, v3
	v_mov_b32_e32 v43, s85
	s_waitcnt lgkmcnt(1)
	v_add_u32_e32 v41, v4, v85
	v_lshlrev_b64 v[41:42], 3, v[41:42]
	v_add_co_u32_e32 v41, vcc, s84, v41
	v_addc_co_u32_e32 v42, vcc, v43, v42, vcc
	s_waitcnt lgkmcnt(0)
	global_store_dwordx2 v[41:42], v[39:40], off
	s_or_b64 exec, exec, s[42:43]
	s_and_saveexec_b64 s[42:43], s[64:65]
	s_cbranch_execz .LBB812_238
.LBB812_302:                            ;   in Loop: Header=BB812_96 Depth=2
	v_lshlrev_b32_e32 v4, 2, v141
	ds_read_b32 v4, v4
	ds_read_b64 v[39:40], v106 offset:23040
	v_mov_b32_e32 v42, v3
	v_mov_b32_e32 v43, s85
	s_waitcnt lgkmcnt(1)
	v_add_u32_e32 v41, v4, v86
	v_lshlrev_b64 v[41:42], 3, v[41:42]
	v_add_co_u32_e32 v41, vcc, s84, v41
	v_addc_co_u32_e32 v42, vcc, v43, v42, vcc
	s_waitcnt lgkmcnt(0)
	global_store_dwordx2 v[41:42], v[39:40], off
	s_or_b64 exec, exec, s[42:43]
	s_and_saveexec_b64 s[42:43], s[66:67]
	s_cbranch_execz .LBB812_239
.LBB812_303:                            ;   in Loop: Header=BB812_96 Depth=2
	v_lshlrev_b32_e32 v4, 2, v140
	ds_read_b32 v4, v4
	ds_read_b64 v[39:40], v106 offset:25088
	v_mov_b32_e32 v42, v3
	v_mov_b32_e32 v43, s85
	s_waitcnt lgkmcnt(1)
	v_add_u32_e32 v41, v4, v87
	v_lshlrev_b64 v[41:42], 3, v[41:42]
	v_add_co_u32_e32 v41, vcc, s84, v41
	v_addc_co_u32_e32 v42, vcc, v43, v42, vcc
	s_waitcnt lgkmcnt(0)
	global_store_dwordx2 v[41:42], v[39:40], off
	s_or_b64 exec, exec, s[42:43]
	s_and_saveexec_b64 s[42:43], s[68:69]
	s_cbranch_execz .LBB812_240
.LBB812_304:                            ;   in Loop: Header=BB812_96 Depth=2
	v_lshlrev_b32_e32 v4, 2, v139
	ds_read_b32 v4, v4
	ds_read_b64 v[39:40], v106 offset:27136
	v_mov_b32_e32 v42, v3
	v_mov_b32_e32 v43, s85
	s_waitcnt lgkmcnt(1)
	v_add_u32_e32 v41, v4, v88
	v_lshlrev_b64 v[41:42], 3, v[41:42]
	v_add_co_u32_e32 v41, vcc, s84, v41
	v_addc_co_u32_e32 v42, vcc, v43, v42, vcc
	s_waitcnt lgkmcnt(0)
	global_store_dwordx2 v[41:42], v[39:40], off
	s_or_b64 exec, exec, s[42:43]
	s_and_saveexec_b64 s[42:43], s[70:71]
	s_cbranch_execz .LBB812_241
.LBB812_305:                            ;   in Loop: Header=BB812_96 Depth=2
	v_lshlrev_b32_e32 v4, 2, v138
	ds_read_b32 v4, v4
	ds_read_b64 v[39:40], v106 offset:29184
	v_mov_b32_e32 v42, v3
	v_mov_b32_e32 v43, s85
	s_waitcnt lgkmcnt(1)
	v_add_u32_e32 v41, v4, v89
	v_lshlrev_b64 v[41:42], 3, v[41:42]
	v_add_co_u32_e32 v41, vcc, s84, v41
	v_addc_co_u32_e32 v42, vcc, v43, v42, vcc
	s_waitcnt lgkmcnt(0)
	global_store_dwordx2 v[41:42], v[39:40], off
	s_or_b64 exec, exec, s[42:43]
	s_and_saveexec_b64 s[42:43], s[72:73]
	s_cbranch_execnz .LBB812_242
	s_branch .LBB812_243
.LBB812_306:                            ;   in Loop: Header=BB812_12 Depth=1
	s_waitcnt lgkmcnt(0)
	s_barrier
	s_mov_b64 s[22:23], 0
.LBB812_307:                            ;   in Loop: Header=BB812_12 Depth=1
	s_and_b64 vcc, exec, s[22:23]
	s_cbranch_vccz .LBB812_601
; %bb.308:                              ;   in Loop: Header=BB812_12 Depth=1
	s_mov_b32 s8, s33
	s_mov_b32 s92, s96
	s_barrier
                                        ; implicit-def: $vgpr7_vgpr8
                                        ; implicit-def: $vgpr9_vgpr10
                                        ; implicit-def: $vgpr11_vgpr12
                                        ; implicit-def: $vgpr13_vgpr14
                                        ; implicit-def: $vgpr15_vgpr16
                                        ; implicit-def: $vgpr17_vgpr18
                                        ; implicit-def: $vgpr19_vgpr20
                                        ; implicit-def: $vgpr21_vgpr22
                                        ; implicit-def: $vgpr23_vgpr24
                                        ; implicit-def: $vgpr25_vgpr26
                                        ; implicit-def: $vgpr27_vgpr28
                                        ; implicit-def: $vgpr29_vgpr30
                                        ; implicit-def: $vgpr31_vgpr32
                                        ; implicit-def: $vgpr33_vgpr34
                                        ; implicit-def: $vgpr35_vgpr36
                                        ; implicit-def: $vgpr37_vgpr38
	s_branch .LBB812_310
.LBB812_309:                            ;   in Loop: Header=BB812_310 Depth=2
	s_or_b64 exec, exec, s[22:23]
	s_addk_i32 s8, 0xf000
	s_cmp_ge_u32 s9, s97
	s_mov_b32 s92, s9
	s_cbranch_scc1 .LBB812_378
.LBB812_310:                            ;   Parent Loop BB812_12 Depth=1
                                        ; =>  This Inner Loop Header: Depth=2
	s_add_i32 s9, s92, 0x1000
	s_cmp_gt_u32 s9, s97
	s_mov_b64 s[22:23], -1
                                        ; implicit-def: $vgpr39_vgpr40
                                        ; implicit-def: $vgpr41_vgpr42
                                        ; implicit-def: $vgpr43_vgpr44
                                        ; implicit-def: $vgpr45_vgpr46
                                        ; implicit-def: $vgpr47_vgpr48
                                        ; implicit-def: $vgpr49_vgpr50
                                        ; implicit-def: $vgpr51_vgpr52
                                        ; implicit-def: $vgpr53_vgpr54
                                        ; implicit-def: $vgpr55_vgpr56
                                        ; implicit-def: $vgpr57_vgpr58
                                        ; implicit-def: $vgpr59_vgpr60
                                        ; implicit-def: $vgpr61_vgpr62
                                        ; implicit-def: $vgpr63_vgpr64
                                        ; implicit-def: $vgpr65_vgpr66
                                        ; implicit-def: $vgpr67_vgpr68
                                        ; implicit-def: $vgpr69_vgpr70
	s_cbranch_scc1 .LBB812_312
; %bb.311:                              ;   in Loop: Header=BB812_310 Depth=2
	s_lshl_b64 s[22:23], s[92:93], 3
	v_mov_b32_e32 v4, s23
	v_add_co_u32_e32 v63, vcc, s22, v107
	v_addc_co_u32_e32 v64, vcc, v108, v4, vcc
	v_add_co_u32_e32 v47, vcc, 0x1000, v63
	v_addc_co_u32_e32 v48, vcc, 0, v64, vcc
	;; [unrolled: 2-line block ×4, first 2 shown]
	global_load_dwordx2 v[39:40], v[63:64], off
	global_load_dwordx2 v[41:42], v[63:64], off offset:2048
	global_load_dwordx2 v[43:44], v[47:48], off
	global_load_dwordx2 v[45:46], v[47:48], off offset:2048
	s_nop 0
	global_load_dwordx2 v[47:48], v[55:56], off
	global_load_dwordx2 v[49:50], v[55:56], off offset:2048
	global_load_dwordx2 v[51:52], v[57:58], off
	global_load_dwordx2 v[53:54], v[57:58], off offset:2048
	v_add_co_u32_e32 v57, vcc, 0x4000, v63
	v_addc_co_u32_e32 v58, vcc, 0, v64, vcc
	v_add_co_u32_e32 v61, vcc, 0x5000, v63
	v_addc_co_u32_e32 v62, vcc, 0, v64, vcc
	;; [unrolled: 2-line block ×4, first 2 shown]
	global_load_dwordx2 v[55:56], v[57:58], off
	s_nop 0
	global_load_dwordx2 v[57:58], v[57:58], off offset:2048
	s_nop 0
	global_load_dwordx2 v[59:60], v[61:62], off
	s_nop 0
	global_load_dwordx2 v[61:62], v[61:62], off offset:2048
	s_nop 0
	;; [unrolled: 4-line block ×3, first 2 shown]
	global_load_dwordx2 v[67:68], v[69:70], off
	s_nop 0
	global_load_dwordx2 v[69:70], v[69:70], off offset:2048
	s_mov_b64 s[22:23], 0
.LBB812_312:                            ;   in Loop: Header=BB812_310 Depth=2
	s_andn2_b64 vcc, exec, s[22:23]
	s_movk_i32 s24, 0x1000
	s_cbranch_vccnz .LBB812_331
; %bb.313:                              ;   in Loop: Header=BB812_310 Depth=2
	s_lshl_b64 s[22:23], s[92:93], 3
	s_add_u32 s22, s78, s22
	s_addc_u32 s23, s79, s23
	v_cmp_gt_u32_e32 vcc, s8, v0
	s_and_saveexec_b64 s[24:25], vcc
	s_cbranch_execnz .LBB812_363
; %bb.314:                              ;   in Loop: Header=BB812_310 Depth=2
	s_or_b64 exec, exec, s[24:25]
	v_cmp_gt_u32_e32 vcc, s8, v74
	s_and_saveexec_b64 s[24:25], vcc
	s_cbranch_execnz .LBB812_364
.LBB812_315:                            ;   in Loop: Header=BB812_310 Depth=2
	s_or_b64 exec, exec, s[24:25]
	v_cmp_gt_u32_e32 vcc, s8, v77
	s_and_saveexec_b64 s[24:25], vcc
	s_cbranch_execnz .LBB812_365
.LBB812_316:                            ;   in Loop: Header=BB812_310 Depth=2
	s_or_b64 exec, exec, s[24:25]
	v_cmp_gt_u32_e32 vcc, s8, v78
	s_and_saveexec_b64 s[24:25], vcc
	s_cbranch_execnz .LBB812_366
.LBB812_317:                            ;   in Loop: Header=BB812_310 Depth=2
	s_or_b64 exec, exec, s[24:25]
	v_cmp_gt_u32_e32 vcc, s8, v79
	s_and_saveexec_b64 s[24:25], vcc
	s_cbranch_execnz .LBB812_367
.LBB812_318:                            ;   in Loop: Header=BB812_310 Depth=2
	s_or_b64 exec, exec, s[24:25]
	v_cmp_gt_u32_e32 vcc, s8, v80
	s_and_saveexec_b64 s[24:25], vcc
	s_cbranch_execnz .LBB812_368
.LBB812_319:                            ;   in Loop: Header=BB812_310 Depth=2
	s_or_b64 exec, exec, s[24:25]
	v_cmp_gt_u32_e32 vcc, s8, v81
	s_and_saveexec_b64 s[24:25], vcc
	s_cbranch_execnz .LBB812_369
.LBB812_320:                            ;   in Loop: Header=BB812_310 Depth=2
	s_or_b64 exec, exec, s[24:25]
	v_cmp_gt_u32_e32 vcc, s8, v82
	s_and_saveexec_b64 s[24:25], vcc
	s_cbranch_execnz .LBB812_370
.LBB812_321:                            ;   in Loop: Header=BB812_310 Depth=2
	s_or_b64 exec, exec, s[24:25]
	v_cmp_gt_u32_e32 vcc, s8, v83
	s_and_saveexec_b64 s[24:25], vcc
	s_cbranch_execnz .LBB812_371
.LBB812_322:                            ;   in Loop: Header=BB812_310 Depth=2
	s_or_b64 exec, exec, s[24:25]
	v_cmp_gt_u32_e32 vcc, s8, v84
	s_and_saveexec_b64 s[24:25], vcc
	s_cbranch_execnz .LBB812_372
.LBB812_323:                            ;   in Loop: Header=BB812_310 Depth=2
	s_or_b64 exec, exec, s[24:25]
	v_cmp_gt_u32_e32 vcc, s8, v85
	s_and_saveexec_b64 s[24:25], vcc
	s_cbranch_execnz .LBB812_373
.LBB812_324:                            ;   in Loop: Header=BB812_310 Depth=2
	s_or_b64 exec, exec, s[24:25]
	v_cmp_gt_u32_e32 vcc, s8, v86
	s_and_saveexec_b64 s[24:25], vcc
	s_cbranch_execnz .LBB812_374
.LBB812_325:                            ;   in Loop: Header=BB812_310 Depth=2
	s_or_b64 exec, exec, s[24:25]
	v_cmp_gt_u32_e32 vcc, s8, v87
	s_and_saveexec_b64 s[24:25], vcc
	s_cbranch_execnz .LBB812_375
.LBB812_326:                            ;   in Loop: Header=BB812_310 Depth=2
	s_or_b64 exec, exec, s[24:25]
	v_cmp_gt_u32_e32 vcc, s8, v88
	s_and_saveexec_b64 s[24:25], vcc
	s_cbranch_execnz .LBB812_376
.LBB812_327:                            ;   in Loop: Header=BB812_310 Depth=2
	s_or_b64 exec, exec, s[24:25]
	v_cmp_gt_u32_e32 vcc, s8, v89
	s_and_saveexec_b64 s[24:25], vcc
	s_cbranch_execnz .LBB812_377
.LBB812_328:                            ;   in Loop: Header=BB812_310 Depth=2
	s_or_b64 exec, exec, s[24:25]
	v_cmp_gt_u32_e32 vcc, s8, v90
	s_and_saveexec_b64 s[24:25], vcc
	s_cbranch_execz .LBB812_330
.LBB812_329:                            ;   in Loop: Header=BB812_310 Depth=2
	global_load_dwordx2 v[7:8], v134, s[22:23]
.LBB812_330:                            ;   in Loop: Header=BB812_310 Depth=2
	s_or_b64 exec, exec, s[24:25]
	s_waitcnt vmcnt(0)
	v_mov_b32_e32 v40, v38
	v_mov_b32_e32 v42, v36
	;; [unrolled: 1-line block ×16, first 2 shown]
	s_mov_b32 s24, s8
	v_mov_b32_e32 v39, v37
	v_mov_b32_e32 v41, v35
	;; [unrolled: 1-line block ×16, first 2 shown]
.LBB812_331:                            ;   in Loop: Header=BB812_310 Depth=2
	s_waitcnt vmcnt(0)
	v_mov_b32_e32 v7, v69
	v_mov_b32_e32 v9, v67
	;; [unrolled: 1-line block ×32, first 2 shown]
	v_cmp_gt_u32_e32 vcc, s24, v0
	s_and_saveexec_b64 s[22:23], vcc
	s_cbranch_execnz .LBB812_347
; %bb.332:                              ;   in Loop: Header=BB812_310 Depth=2
	s_or_b64 exec, exec, s[22:23]
	v_cmp_gt_u32_e32 vcc, s24, v74
	s_and_saveexec_b64 s[22:23], vcc
	s_cbranch_execnz .LBB812_348
.LBB812_333:                            ;   in Loop: Header=BB812_310 Depth=2
	s_or_b64 exec, exec, s[22:23]
	v_cmp_gt_u32_e32 vcc, s24, v77
	s_and_saveexec_b64 s[22:23], vcc
	s_cbranch_execnz .LBB812_349
.LBB812_334:                            ;   in Loop: Header=BB812_310 Depth=2
	s_or_b64 exec, exec, s[22:23]
	v_cmp_gt_u32_e32 vcc, s24, v78
	s_and_saveexec_b64 s[22:23], vcc
	s_cbranch_execnz .LBB812_350
.LBB812_335:                            ;   in Loop: Header=BB812_310 Depth=2
	s_or_b64 exec, exec, s[22:23]
	v_cmp_gt_u32_e32 vcc, s24, v79
	s_and_saveexec_b64 s[22:23], vcc
	s_cbranch_execnz .LBB812_351
.LBB812_336:                            ;   in Loop: Header=BB812_310 Depth=2
	s_or_b64 exec, exec, s[22:23]
	v_cmp_gt_u32_e32 vcc, s24, v80
	s_and_saveexec_b64 s[22:23], vcc
	s_cbranch_execnz .LBB812_352
.LBB812_337:                            ;   in Loop: Header=BB812_310 Depth=2
	s_or_b64 exec, exec, s[22:23]
	v_cmp_gt_u32_e32 vcc, s24, v81
	s_and_saveexec_b64 s[22:23], vcc
	s_cbranch_execnz .LBB812_353
.LBB812_338:                            ;   in Loop: Header=BB812_310 Depth=2
	s_or_b64 exec, exec, s[22:23]
	v_cmp_gt_u32_e32 vcc, s24, v82
	s_and_saveexec_b64 s[22:23], vcc
	s_cbranch_execnz .LBB812_354
.LBB812_339:                            ;   in Loop: Header=BB812_310 Depth=2
	s_or_b64 exec, exec, s[22:23]
	v_cmp_gt_u32_e32 vcc, s24, v83
	s_and_saveexec_b64 s[22:23], vcc
	s_cbranch_execnz .LBB812_355
.LBB812_340:                            ;   in Loop: Header=BB812_310 Depth=2
	s_or_b64 exec, exec, s[22:23]
	v_cmp_gt_u32_e32 vcc, s24, v84
	s_and_saveexec_b64 s[22:23], vcc
	s_cbranch_execnz .LBB812_356
.LBB812_341:                            ;   in Loop: Header=BB812_310 Depth=2
	s_or_b64 exec, exec, s[22:23]
	v_cmp_gt_u32_e32 vcc, s24, v85
	s_and_saveexec_b64 s[22:23], vcc
	s_cbranch_execnz .LBB812_357
.LBB812_342:                            ;   in Loop: Header=BB812_310 Depth=2
	s_or_b64 exec, exec, s[22:23]
	v_cmp_gt_u32_e32 vcc, s24, v86
	s_and_saveexec_b64 s[22:23], vcc
	s_cbranch_execnz .LBB812_358
.LBB812_343:                            ;   in Loop: Header=BB812_310 Depth=2
	s_or_b64 exec, exec, s[22:23]
	v_cmp_gt_u32_e32 vcc, s24, v87
	s_and_saveexec_b64 s[22:23], vcc
	s_cbranch_execnz .LBB812_359
.LBB812_344:                            ;   in Loop: Header=BB812_310 Depth=2
	s_or_b64 exec, exec, s[22:23]
	v_cmp_gt_u32_e32 vcc, s24, v88
	s_and_saveexec_b64 s[22:23], vcc
	s_cbranch_execnz .LBB812_360
.LBB812_345:                            ;   in Loop: Header=BB812_310 Depth=2
	s_or_b64 exec, exec, s[22:23]
	v_cmp_gt_u32_e32 vcc, s24, v89
	s_and_saveexec_b64 s[22:23], vcc
	s_cbranch_execnz .LBB812_361
.LBB812_346:                            ;   in Loop: Header=BB812_310 Depth=2
	s_or_b64 exec, exec, s[22:23]
	v_cmp_gt_u32_e32 vcc, s24, v90
	s_and_saveexec_b64 s[22:23], vcc
	s_cbranch_execz .LBB812_309
	s_branch .LBB812_362
.LBB812_347:                            ;   in Loop: Header=BB812_310 Depth=2
	v_xor_b32_e32 v40, 0x80000000, v38
	v_mov_b32_e32 v39, v37
	v_lshrrev_b64 v[39:40], s88, v[39:40]
	v_and_b32_e32 v4, s99, v39
	v_lshl_or_b32 v4, v4, 4, v91
	ds_add_u32 v4, v119
	s_or_b64 exec, exec, s[22:23]
	v_cmp_gt_u32_e32 vcc, s24, v74
	s_and_saveexec_b64 s[22:23], vcc
	s_cbranch_execz .LBB812_333
.LBB812_348:                            ;   in Loop: Header=BB812_310 Depth=2
	v_xor_b32_e32 v40, 0x80000000, v36
	v_mov_b32_e32 v39, v35
	v_lshrrev_b64 v[39:40], s88, v[39:40]
	v_and_b32_e32 v4, s99, v39
	v_lshl_or_b32 v4, v4, 4, v91
	ds_add_u32 v4, v119
	s_or_b64 exec, exec, s[22:23]
	v_cmp_gt_u32_e32 vcc, s24, v77
	s_and_saveexec_b64 s[22:23], vcc
	s_cbranch_execz .LBB812_334
.LBB812_349:                            ;   in Loop: Header=BB812_310 Depth=2
	v_xor_b32_e32 v40, 0x80000000, v34
	v_mov_b32_e32 v39, v33
	v_lshrrev_b64 v[39:40], s88, v[39:40]
	v_and_b32_e32 v4, s99, v39
	v_lshl_or_b32 v4, v4, 4, v91
	ds_add_u32 v4, v119
	s_or_b64 exec, exec, s[22:23]
	v_cmp_gt_u32_e32 vcc, s24, v78
	s_and_saveexec_b64 s[22:23], vcc
	s_cbranch_execz .LBB812_335
.LBB812_350:                            ;   in Loop: Header=BB812_310 Depth=2
	v_xor_b32_e32 v40, 0x80000000, v32
	v_mov_b32_e32 v39, v31
	v_lshrrev_b64 v[39:40], s88, v[39:40]
	v_and_b32_e32 v4, s99, v39
	v_lshl_or_b32 v4, v4, 4, v91
	ds_add_u32 v4, v119
	s_or_b64 exec, exec, s[22:23]
	v_cmp_gt_u32_e32 vcc, s24, v79
	s_and_saveexec_b64 s[22:23], vcc
	s_cbranch_execz .LBB812_336
.LBB812_351:                            ;   in Loop: Header=BB812_310 Depth=2
	v_xor_b32_e32 v40, 0x80000000, v30
	v_mov_b32_e32 v39, v29
	v_lshrrev_b64 v[39:40], s88, v[39:40]
	v_and_b32_e32 v4, s99, v39
	v_lshl_or_b32 v4, v4, 4, v91
	ds_add_u32 v4, v119
	s_or_b64 exec, exec, s[22:23]
	v_cmp_gt_u32_e32 vcc, s24, v80
	s_and_saveexec_b64 s[22:23], vcc
	s_cbranch_execz .LBB812_337
.LBB812_352:                            ;   in Loop: Header=BB812_310 Depth=2
	v_xor_b32_e32 v40, 0x80000000, v28
	v_mov_b32_e32 v39, v27
	v_lshrrev_b64 v[39:40], s88, v[39:40]
	v_and_b32_e32 v4, s99, v39
	v_lshl_or_b32 v4, v4, 4, v91
	ds_add_u32 v4, v119
	s_or_b64 exec, exec, s[22:23]
	v_cmp_gt_u32_e32 vcc, s24, v81
	s_and_saveexec_b64 s[22:23], vcc
	s_cbranch_execz .LBB812_338
.LBB812_353:                            ;   in Loop: Header=BB812_310 Depth=2
	v_xor_b32_e32 v40, 0x80000000, v26
	v_mov_b32_e32 v39, v25
	v_lshrrev_b64 v[39:40], s88, v[39:40]
	v_and_b32_e32 v4, s99, v39
	v_lshl_or_b32 v4, v4, 4, v91
	ds_add_u32 v4, v119
	s_or_b64 exec, exec, s[22:23]
	v_cmp_gt_u32_e32 vcc, s24, v82
	s_and_saveexec_b64 s[22:23], vcc
	s_cbranch_execz .LBB812_339
.LBB812_354:                            ;   in Loop: Header=BB812_310 Depth=2
	v_xor_b32_e32 v40, 0x80000000, v24
	v_mov_b32_e32 v39, v23
	v_lshrrev_b64 v[39:40], s88, v[39:40]
	v_and_b32_e32 v4, s99, v39
	v_lshl_or_b32 v4, v4, 4, v91
	ds_add_u32 v4, v119
	s_or_b64 exec, exec, s[22:23]
	v_cmp_gt_u32_e32 vcc, s24, v83
	s_and_saveexec_b64 s[22:23], vcc
	s_cbranch_execz .LBB812_340
.LBB812_355:                            ;   in Loop: Header=BB812_310 Depth=2
	v_xor_b32_e32 v40, 0x80000000, v22
	v_mov_b32_e32 v39, v21
	v_lshrrev_b64 v[39:40], s88, v[39:40]
	v_and_b32_e32 v4, s99, v39
	v_lshl_or_b32 v4, v4, 4, v91
	ds_add_u32 v4, v119
	s_or_b64 exec, exec, s[22:23]
	v_cmp_gt_u32_e32 vcc, s24, v84
	s_and_saveexec_b64 s[22:23], vcc
	s_cbranch_execz .LBB812_341
.LBB812_356:                            ;   in Loop: Header=BB812_310 Depth=2
	v_xor_b32_e32 v40, 0x80000000, v20
	v_mov_b32_e32 v39, v19
	v_lshrrev_b64 v[39:40], s88, v[39:40]
	v_and_b32_e32 v4, s99, v39
	v_lshl_or_b32 v4, v4, 4, v91
	ds_add_u32 v4, v119
	s_or_b64 exec, exec, s[22:23]
	v_cmp_gt_u32_e32 vcc, s24, v85
	s_and_saveexec_b64 s[22:23], vcc
	s_cbranch_execz .LBB812_342
.LBB812_357:                            ;   in Loop: Header=BB812_310 Depth=2
	v_xor_b32_e32 v40, 0x80000000, v18
	v_mov_b32_e32 v39, v17
	v_lshrrev_b64 v[39:40], s88, v[39:40]
	v_and_b32_e32 v4, s99, v39
	v_lshl_or_b32 v4, v4, 4, v91
	ds_add_u32 v4, v119
	s_or_b64 exec, exec, s[22:23]
	v_cmp_gt_u32_e32 vcc, s24, v86
	s_and_saveexec_b64 s[22:23], vcc
	s_cbranch_execz .LBB812_343
.LBB812_358:                            ;   in Loop: Header=BB812_310 Depth=2
	v_xor_b32_e32 v40, 0x80000000, v16
	v_mov_b32_e32 v39, v15
	v_lshrrev_b64 v[39:40], s88, v[39:40]
	v_and_b32_e32 v4, s99, v39
	v_lshl_or_b32 v4, v4, 4, v91
	ds_add_u32 v4, v119
	s_or_b64 exec, exec, s[22:23]
	v_cmp_gt_u32_e32 vcc, s24, v87
	s_and_saveexec_b64 s[22:23], vcc
	s_cbranch_execz .LBB812_344
.LBB812_359:                            ;   in Loop: Header=BB812_310 Depth=2
	v_xor_b32_e32 v40, 0x80000000, v14
	v_mov_b32_e32 v39, v13
	v_lshrrev_b64 v[39:40], s88, v[39:40]
	v_and_b32_e32 v4, s99, v39
	v_lshl_or_b32 v4, v4, 4, v91
	ds_add_u32 v4, v119
	s_or_b64 exec, exec, s[22:23]
	v_cmp_gt_u32_e32 vcc, s24, v88
	s_and_saveexec_b64 s[22:23], vcc
	s_cbranch_execz .LBB812_345
.LBB812_360:                            ;   in Loop: Header=BB812_310 Depth=2
	v_xor_b32_e32 v40, 0x80000000, v12
	v_mov_b32_e32 v39, v11
	v_lshrrev_b64 v[39:40], s88, v[39:40]
	v_and_b32_e32 v4, s99, v39
	v_lshl_or_b32 v4, v4, 4, v91
	ds_add_u32 v4, v119
	s_or_b64 exec, exec, s[22:23]
	v_cmp_gt_u32_e32 vcc, s24, v89
	s_and_saveexec_b64 s[22:23], vcc
	s_cbranch_execz .LBB812_346
.LBB812_361:                            ;   in Loop: Header=BB812_310 Depth=2
	v_xor_b32_e32 v40, 0x80000000, v10
	v_mov_b32_e32 v39, v9
	v_lshrrev_b64 v[39:40], s88, v[39:40]
	v_and_b32_e32 v4, s99, v39
	v_lshl_or_b32 v4, v4, 4, v91
	ds_add_u32 v4, v119
	s_or_b64 exec, exec, s[22:23]
	v_cmp_gt_u32_e32 vcc, s24, v90
	s_and_saveexec_b64 s[22:23], vcc
	s_cbranch_execz .LBB812_309
.LBB812_362:                            ;   in Loop: Header=BB812_310 Depth=2
	v_xor_b32_e32 v40, 0x80000000, v8
	v_mov_b32_e32 v39, v7
	v_lshrrev_b64 v[39:40], s88, v[39:40]
	v_and_b32_e32 v4, s99, v39
	v_lshl_or_b32 v4, v4, 4, v91
	ds_add_u32 v4, v119
	s_branch .LBB812_309
.LBB812_363:                            ;   in Loop: Header=BB812_310 Depth=2
	global_load_dwordx2 v[37:38], v120, s[22:23]
	s_or_b64 exec, exec, s[24:25]
	v_cmp_gt_u32_e32 vcc, s8, v74
	s_and_saveexec_b64 s[24:25], vcc
	s_cbranch_execz .LBB812_315
.LBB812_364:                            ;   in Loop: Header=BB812_310 Depth=2
	global_load_dwordx2 v[35:36], v120, s[22:23] offset:2048
	s_or_b64 exec, exec, s[24:25]
	v_cmp_gt_u32_e32 vcc, s8, v77
	s_and_saveexec_b64 s[24:25], vcc
	s_cbranch_execz .LBB812_316
.LBB812_365:                            ;   in Loop: Header=BB812_310 Depth=2
	global_load_dwordx2 v[33:34], v121, s[22:23]
	s_or_b64 exec, exec, s[24:25]
	v_cmp_gt_u32_e32 vcc, s8, v78
	s_and_saveexec_b64 s[24:25], vcc
	s_cbranch_execz .LBB812_317
.LBB812_366:                            ;   in Loop: Header=BB812_310 Depth=2
	global_load_dwordx2 v[31:32], v122, s[22:23]
	s_or_b64 exec, exec, s[24:25]
	v_cmp_gt_u32_e32 vcc, s8, v79
	s_and_saveexec_b64 s[24:25], vcc
	s_cbranch_execz .LBB812_318
.LBB812_367:                            ;   in Loop: Header=BB812_310 Depth=2
	global_load_dwordx2 v[29:30], v123, s[22:23]
	s_or_b64 exec, exec, s[24:25]
	v_cmp_gt_u32_e32 vcc, s8, v80
	s_and_saveexec_b64 s[24:25], vcc
	s_cbranch_execz .LBB812_319
.LBB812_368:                            ;   in Loop: Header=BB812_310 Depth=2
	global_load_dwordx2 v[27:28], v124, s[22:23]
	s_or_b64 exec, exec, s[24:25]
	v_cmp_gt_u32_e32 vcc, s8, v81
	s_and_saveexec_b64 s[24:25], vcc
	s_cbranch_execz .LBB812_320
.LBB812_369:                            ;   in Loop: Header=BB812_310 Depth=2
	global_load_dwordx2 v[25:26], v125, s[22:23]
	s_or_b64 exec, exec, s[24:25]
	v_cmp_gt_u32_e32 vcc, s8, v82
	s_and_saveexec_b64 s[24:25], vcc
	s_cbranch_execz .LBB812_321
.LBB812_370:                            ;   in Loop: Header=BB812_310 Depth=2
	global_load_dwordx2 v[23:24], v126, s[22:23]
	s_or_b64 exec, exec, s[24:25]
	v_cmp_gt_u32_e32 vcc, s8, v83
	s_and_saveexec_b64 s[24:25], vcc
	s_cbranch_execz .LBB812_322
.LBB812_371:                            ;   in Loop: Header=BB812_310 Depth=2
	global_load_dwordx2 v[21:22], v127, s[22:23]
	s_or_b64 exec, exec, s[24:25]
	v_cmp_gt_u32_e32 vcc, s8, v84
	s_and_saveexec_b64 s[24:25], vcc
	s_cbranch_execz .LBB812_323
.LBB812_372:                            ;   in Loop: Header=BB812_310 Depth=2
	global_load_dwordx2 v[19:20], v128, s[22:23]
	s_or_b64 exec, exec, s[24:25]
	v_cmp_gt_u32_e32 vcc, s8, v85
	s_and_saveexec_b64 s[24:25], vcc
	s_cbranch_execz .LBB812_324
.LBB812_373:                            ;   in Loop: Header=BB812_310 Depth=2
	global_load_dwordx2 v[17:18], v129, s[22:23]
	s_or_b64 exec, exec, s[24:25]
	v_cmp_gt_u32_e32 vcc, s8, v86
	s_and_saveexec_b64 s[24:25], vcc
	s_cbranch_execz .LBB812_325
.LBB812_374:                            ;   in Loop: Header=BB812_310 Depth=2
	global_load_dwordx2 v[15:16], v130, s[22:23]
	s_or_b64 exec, exec, s[24:25]
	v_cmp_gt_u32_e32 vcc, s8, v87
	s_and_saveexec_b64 s[24:25], vcc
	s_cbranch_execz .LBB812_326
.LBB812_375:                            ;   in Loop: Header=BB812_310 Depth=2
	global_load_dwordx2 v[13:14], v131, s[22:23]
	s_or_b64 exec, exec, s[24:25]
	v_cmp_gt_u32_e32 vcc, s8, v88
	s_and_saveexec_b64 s[24:25], vcc
	s_cbranch_execz .LBB812_327
.LBB812_376:                            ;   in Loop: Header=BB812_310 Depth=2
	global_load_dwordx2 v[11:12], v132, s[22:23]
	s_or_b64 exec, exec, s[24:25]
	v_cmp_gt_u32_e32 vcc, s8, v89
	s_and_saveexec_b64 s[24:25], vcc
	s_cbranch_execz .LBB812_328
.LBB812_377:                            ;   in Loop: Header=BB812_310 Depth=2
	global_load_dwordx2 v[9:10], v133, s[22:23]
	s_or_b64 exec, exec, s[24:25]
	v_cmp_gt_u32_e32 vcc, s8, v90
	s_and_saveexec_b64 s[24:25], vcc
	s_cbranch_execnz .LBB812_329
	s_branch .LBB812_330
.LBB812_378:                            ;   in Loop: Header=BB812_12 Depth=1
	v_mov_b32_e32 v4, 0
	s_waitcnt lgkmcnt(0)
	s_barrier
	s_and_saveexec_b64 s[22:23], s[4:5]
	s_cbranch_execz .LBB812_380
; %bb.379:                              ;   in Loop: Header=BB812_12 Depth=1
	ds_read2_b64 v[7:10], v93 offset1:1
	s_waitcnt lgkmcnt(0)
	v_add_u32_e32 v4, v8, v7
	v_add3_u32 v4, v4, v9, v10
.LBB812_380:                            ;   in Loop: Header=BB812_12 Depth=1
	s_or_b64 exec, exec, s[22:23]
	v_and_b32_e32 v7, 15, v135
	v_mov_b32_dpp v8, v4 row_shr:1 row_mask:0xf bank_mask:0xf
	v_cmp_eq_u32_e64 s[22:23], 0, v7
	v_cndmask_b32_e64 v8, v8, 0, s[22:23]
	v_add_u32_e32 v4, v8, v4
	v_cmp_lt_u32_e64 s[24:25], 1, v7
	v_cmp_lt_u32_e64 s[26:27], 3, v7
	v_mov_b32_dpp v8, v4 row_shr:2 row_mask:0xf bank_mask:0xf
	v_cndmask_b32_e64 v8, 0, v8, s[24:25]
	v_add_u32_e32 v4, v4, v8
	v_cmp_lt_u32_e64 s[28:29], 7, v7
	v_cmp_lt_u32_e64 s[34:35], 31, v135
	v_mov_b32_dpp v8, v4 row_shr:4 row_mask:0xf bank_mask:0xf
	v_cndmask_b32_e64 v8, 0, v8, s[26:27]
	v_add_u32_e32 v4, v4, v8
	v_and_b32_e32 v9, 16, v135
	v_cmp_eq_u32_e64 s[30:31], 0, v9
	v_mov_b32_dpp v8, v4 row_shr:8 row_mask:0xf bank_mask:0xf
	v_cndmask_b32_e64 v7, 0, v8, s[28:29]
	v_add_u32_e32 v4, v4, v7
	v_bfe_i32 v8, v135, 4, 1
	s_nop 0
	v_mov_b32_dpp v7, v4 row_bcast:15 row_mask:0xf bank_mask:0xf
	v_and_b32_e32 v7, v8, v7
	v_add_u32_e32 v4, v4, v7
	s_nop 1
	v_mov_b32_dpp v7, v4 row_bcast:31 row_mask:0xf bank_mask:0xf
	v_cndmask_b32_e64 v7, 0, v7, s[34:35]
	v_add_u32_e32 v4, v4, v7
	s_mov_b64 s[36:37], exec
	v_readlane_b32 s8, v232, 1
	v_readlane_b32 s9, v232, 2
	s_and_b64 s[8:9], s[36:37], s[8:9]
	s_mov_b64 exec, s[8:9]
; %bb.381:                              ;   in Loop: Header=BB812_12 Depth=1
	ds_write_b32 v95, v4
; %bb.382:                              ;   in Loop: Header=BB812_12 Depth=1
	s_or_b64 exec, exec, s[36:37]
	s_waitcnt lgkmcnt(0)
	s_barrier
	s_and_saveexec_b64 s[36:37], s[10:11]
	s_cbranch_execz .LBB812_384
; %bb.383:                              ;   in Loop: Header=BB812_12 Depth=1
	ds_read_b32 v7, v96
	v_bfe_i32 v8, v135, 0, 1
	s_waitcnt lgkmcnt(0)
	v_mov_b32_dpp v9, v7 row_shr:1 row_mask:0xf bank_mask:0xf
	v_and_b32_e32 v8, v8, v9
	v_add_u32_e32 v7, v8, v7
	ds_write_b32 v96, v7
.LBB812_384:                            ;   in Loop: Header=BB812_12 Depth=1
	s_or_b64 exec, exec, s[36:37]
	v_mov_b32_e32 v7, 0
	s_waitcnt lgkmcnt(0)
	s_barrier
	s_and_saveexec_b64 s[36:37], s[12:13]
; %bb.385:                              ;   in Loop: Header=BB812_12 Depth=1
	ds_read_b32 v7, v97
; %bb.386:                              ;   in Loop: Header=BB812_12 Depth=1
	s_or_b64 exec, exec, s[36:37]
	v_subrev_co_u32_e64 v8, s[36:37], 1, v135
	v_and_b32_e32 v9, 64, v135
	v_cmp_lt_i32_e32 vcc, v8, v9
	v_cndmask_b32_e32 v8, v8, v135, vcc
	s_waitcnt lgkmcnt(0)
	v_add_u32_e32 v4, v7, v4
	v_lshlrev_b32_e32 v136, 2, v8
	ds_bpermute_b32 v4, v136, v4
	s_waitcnt lgkmcnt(0)
	s_barrier
	s_and_saveexec_b64 s[38:39], s[4:5]
; %bb.387:                              ;   in Loop: Header=BB812_12 Depth=1
	v_cndmask_b32_e64 v4, v4, v7, s[36:37]
	v_add_u32_e32 v4, s96, v4
	ds_write_b32 v73, v4
; %bb.388:                              ;   in Loop: Header=BB812_12 Depth=1
	s_or_b64 exec, exec, s[38:39]
	s_load_dwordx2 s[8:9], s[94:95], 0x0
	v_readlane_b32 s38, v232, 0
	v_and_b32_e32 v40, 3, v135
	v_and_b32_e32 v41, 63, v135
	v_cmp_lt_u32_e64 s[40:41], 1, v40
	s_waitcnt lgkmcnt(0)
	s_cmp_lt_u32 s38, s9
	s_cselect_b32 s9, 14, 20
	s_add_u32 s38, s94, s9
	s_addc_u32 s39, s95, 0
	s_cmp_lt_u32 s6, s8
	s_cselect_b32 s8, 12, 18
	s_add_u32 s8, s94, s8
	global_load_ushort v4, v3, s[38:39]
	s_addc_u32 s9, s95, 0
	global_load_ushort v39, v3, s[8:9]
	v_cmp_eq_u32_e64 s[38:39], 0, v40
	v_lshlrev_b32_e32 v42, 3, v41
	v_add_co_u32_e32 v154, vcc, v109, v42
	v_addc_co_u32_e32 v155, vcc, 0, v110, vcc
	v_or_b32_e32 v153, v41, v98
	v_add_co_u32_e32 v171, vcc, v111, v42
	s_mov_b32 s91, s33
	v_or_b32_e32 v156, 64, v153
	v_or_b32_e32 v157, 0x80, v153
	;; [unrolled: 1-line block ×15, first 2 shown]
	v_addc_co_u32_e32 v172, vcc, 0, v112, vcc
	s_mov_b32 s92, s96
                                        ; implicit-def: $vgpr7_vgpr8
                                        ; implicit-def: $vgpr9_vgpr10
                                        ; implicit-def: $vgpr11_vgpr12
                                        ; implicit-def: $vgpr15_vgpr16
                                        ; implicit-def: $vgpr19_vgpr20
                                        ; implicit-def: $vgpr23_vgpr24
                                        ; implicit-def: $vgpr27_vgpr28
                                        ; implicit-def: $vgpr31_vgpr32
                                        ; implicit-def: $vgpr13_vgpr14
                                        ; implicit-def: $vgpr17_vgpr18
                                        ; implicit-def: $vgpr21_vgpr22
                                        ; implicit-def: $vgpr25_vgpr26
                                        ; implicit-def: $vgpr29_vgpr30
                                        ; implicit-def: $vgpr33_vgpr34
                                        ; implicit-def: $vgpr35_vgpr36
                                        ; implicit-def: $vgpr37_vgpr38
                                        ; implicit-def: $vgpr137
                                        ; implicit-def: $vgpr138
                                        ; implicit-def: $vgpr139
                                        ; implicit-def: $vgpr140
                                        ; implicit-def: $vgpr141
                                        ; implicit-def: $vgpr142
                                        ; implicit-def: $vgpr143
                                        ; implicit-def: $vgpr144
                                        ; implicit-def: $vgpr145
                                        ; implicit-def: $vgpr146
                                        ; implicit-def: $vgpr147
                                        ; implicit-def: $vgpr148
                                        ; implicit-def: $vgpr149
                                        ; implicit-def: $vgpr150
                                        ; implicit-def: $vgpr151
                                        ; implicit-def: $vgpr152
                                        ; implicit-def: $vgpr174
                                        ; implicit-def: $vgpr175
	s_waitcnt vmcnt(1)
	v_mad_u32_u24 v4, v2, v4, v1
	s_waitcnt vmcnt(0)
	v_mad_u64_u32 v[39:40], s[8:9], v4, v39, v[0:1]
	v_lshrrev_b32_e32 v4, 4, v39
	v_and_b32_e32 v173, 0xffffffc, v4
	s_branch .LBB812_390
.LBB812_389:                            ;   in Loop: Header=BB812_390 Depth=2
	s_or_b64 exec, exec, s[42:43]
	s_addk_i32 s91, 0xf000
	s_cmp_lt_u32 s8, s97
	s_mov_b32 s92, s8
	s_cbranch_scc0 .LBB812_600
.LBB812_390:                            ;   Parent Loop BB812_12 Depth=1
                                        ; =>  This Inner Loop Header: Depth=2
	s_add_i32 s8, s92, 0x1000
	s_cmp_gt_u32 s8, s97
	s_cbranch_scc1 .LBB812_392
; %bb.391:                              ;   in Loop: Header=BB812_390 Depth=2
	s_lshl_b64 s[42:43], s[92:93], 3
	v_mov_b32_e32 v4, s43
	v_add_co_u32_e32 v55, vcc, s42, v171
	v_addc_co_u32_e32 v56, vcc, v172, v4, vcc
	v_add_co_u32_e32 v67, vcc, 0x1000, v55
	global_load_dwordx2 v[41:42], v[55:56], off
	global_load_dwordx2 v[39:40], v[55:56], off offset:512
	global_load_dwordx2 v[43:44], v[55:56], off offset:1024
	;; [unrolled: 1-line block ×7, first 2 shown]
	v_addc_co_u32_e32 v68, vcc, 0, v56, vcc
	global_load_dwordx2 v[55:56], v[67:68], off
	global_load_dwordx2 v[57:58], v[67:68], off offset:512
	global_load_dwordx2 v[59:60], v[67:68], off offset:1024
	;; [unrolled: 1-line block ×5, first 2 shown]
	s_nop 0
	global_load_dwordx2 v[67:68], v[67:68], off offset:3072
	s_mov_b64 s[42:43], -1
	s_movk_i32 s9, 0x1000
	s_cbranch_execz .LBB812_393
	s_branch .LBB812_424
.LBB812_392:                            ;   in Loop: Header=BB812_390 Depth=2
	s_mov_b64 s[42:43], 0
                                        ; implicit-def: $vgpr41_vgpr42
                                        ; implicit-def: $vgpr39_vgpr40
                                        ; implicit-def: $vgpr43_vgpr44
                                        ; implicit-def: $vgpr45_vgpr46
                                        ; implicit-def: $vgpr47_vgpr48
                                        ; implicit-def: $vgpr49_vgpr50
                                        ; implicit-def: $vgpr51_vgpr52
                                        ; implicit-def: $vgpr53_vgpr54
                                        ; implicit-def: $vgpr55_vgpr56
                                        ; implicit-def: $vgpr57_vgpr58
                                        ; implicit-def: $vgpr59_vgpr60
                                        ; implicit-def: $vgpr61_vgpr62
                                        ; implicit-def: $vgpr63_vgpr64
                                        ; implicit-def: $vgpr65_vgpr66
                                        ; implicit-def: $vgpr67_vgpr68
	s_movk_i32 s9, 0x1000
.LBB812_393:                            ;   in Loop: Header=BB812_390 Depth=2
	s_lshl_b64 s[42:43], s[92:93], 3
	v_mov_b32_e32 v4, s43
	v_add_co_u32_e32 v69, vcc, s42, v171
	s_waitcnt vmcnt(13)
	v_mov_b32_e32 v40, v6
	v_addc_co_u32_e32 v70, vcc, v172, v4, vcc
	v_mov_b32_e32 v39, v5
	v_mov_b32_e32 v42, v40
	v_cmp_gt_u32_e32 vcc, s91, v153
	v_mov_b32_e32 v41, v39
	s_and_saveexec_b64 s[42:43], vcc
	s_cbranch_execz .LBB812_395
; %bb.394:                              ;   in Loop: Header=BB812_390 Depth=2
	global_load_dwordx2 v[41:42], v[69:70], off
.LBB812_395:                            ;   in Loop: Header=BB812_390 Depth=2
	s_or_b64 exec, exec, s[42:43]
	v_cmp_gt_u32_e32 vcc, s91, v156
	s_and_saveexec_b64 s[42:43], vcc
	s_cbranch_execz .LBB812_397
; %bb.396:                              ;   in Loop: Header=BB812_390 Depth=2
	global_load_dwordx2 v[39:40], v[69:70], off offset:512
.LBB812_397:                            ;   in Loop: Header=BB812_390 Depth=2
	s_or_b64 exec, exec, s[42:43]
	s_waitcnt vmcnt(12)
	v_mov_b32_e32 v44, v6
	v_cmp_gt_u32_e32 vcc, s91, v157
	v_mov_b32_e32 v43, v5
	s_and_saveexec_b64 s[42:43], vcc
	s_cbranch_execz .LBB812_399
; %bb.398:                              ;   in Loop: Header=BB812_390 Depth=2
	global_load_dwordx2 v[43:44], v[69:70], off offset:1024
.LBB812_399:                            ;   in Loop: Header=BB812_390 Depth=2
	s_or_b64 exec, exec, s[42:43]
	s_waitcnt vmcnt(11)
	v_mov_b32_e32 v46, v6
	v_cmp_gt_u32_e32 vcc, s91, v158
	v_mov_b32_e32 v45, v5
	;; [unrolled: 10-line block ×7, first 2 shown]
	s_and_saveexec_b64 s[42:43], vcc
	s_cbranch_execz .LBB812_411
; %bb.410:                              ;   in Loop: Header=BB812_390 Depth=2
	v_add_co_u32_e32 v55, vcc, 0x1000, v69
	v_addc_co_u32_e32 v56, vcc, 0, v70, vcc
	global_load_dwordx2 v[55:56], v[55:56], off
.LBB812_411:                            ;   in Loop: Header=BB812_390 Depth=2
	s_or_b64 exec, exec, s[42:43]
	s_waitcnt vmcnt(5)
	v_mov_b32_e32 v58, v6
	v_cmp_gt_u32_e32 vcc, s91, v164
	v_mov_b32_e32 v57, v5
	s_and_saveexec_b64 s[42:43], vcc
	s_cbranch_execz .LBB812_413
; %bb.412:                              ;   in Loop: Header=BB812_390 Depth=2
	v_add_co_u32_e32 v57, vcc, 0x1000, v69
	v_addc_co_u32_e32 v58, vcc, 0, v70, vcc
	global_load_dwordx2 v[57:58], v[57:58], off offset:512
.LBB812_413:                            ;   in Loop: Header=BB812_390 Depth=2
	s_or_b64 exec, exec, s[42:43]
	s_waitcnt vmcnt(4)
	v_mov_b32_e32 v60, v6
	v_cmp_gt_u32_e32 vcc, s91, v165
	v_mov_b32_e32 v59, v5
	s_and_saveexec_b64 s[42:43], vcc
	s_cbranch_execz .LBB812_415
; %bb.414:                              ;   in Loop: Header=BB812_390 Depth=2
	v_add_co_u32_e32 v59, vcc, 0x1000, v69
	v_addc_co_u32_e32 v60, vcc, 0, v70, vcc
	global_load_dwordx2 v[59:60], v[59:60], off offset:1024
.LBB812_415:                            ;   in Loop: Header=BB812_390 Depth=2
	;; [unrolled: 12-line block ×6, first 2 shown]
	s_or_b64 exec, exec, s[42:43]
	s_sub_i32 s9, s97, s92
	v_cmp_gt_u32_e64 s[42:43], s91, v170
.LBB812_424:                            ;   in Loop: Header=BB812_390 Depth=2
	v_mov_b32_e32 v69, -1
	v_mov_b32_e32 v70, -1
	v_mov_b32_e32 v176, s91
	s_and_saveexec_b64 s[44:45], s[42:43]
	s_cbranch_execz .LBB812_426
; %bb.425:                              ;   in Loop: Header=BB812_390 Depth=2
	s_lshl_b64 s[42:43], s[92:93], 3
	v_mov_b32_e32 v4, s43
	v_add_co_u32_e32 v69, vcc, s42, v171
	v_addc_co_u32_e32 v4, vcc, v172, v4, vcc
	v_add_co_u32_e32 v69, vcc, 0x1000, v69
	v_addc_co_u32_e32 v70, vcc, 0, v4, vcc
	global_load_dwordx2 v[69:70], v[69:70], off offset:3584
	v_mov_b32_e32 v176, s9
	s_waitcnt vmcnt(0)
	v_xor_b32_e32 v70, 0x80000000, v70
.LBB812_426:                            ;   in Loop: Header=BB812_390 Depth=2
	s_or_b64 exec, exec, s[44:45]
	s_waitcnt vmcnt(14)
	v_xor_b32_e32 v42, 0x80000000, v42
	v_lshrrev_b64 v[71:72], s88, v[41:42]
	ds_write2_b32 v92, v3, v3 offset0:132 offset1:133
	ds_write_b32 v92, v3 offset:536
	v_and_b32_e32 v71, s99, v71
	v_and_b32_e32 v4, 1, v71
	v_add_co_u32_e32 v72, vcc, -1, v4
	v_addc_co_u32_e64 v177, s[42:43], 0, -1, vcc
	v_cmp_ne_u32_e32 vcc, 0, v4
	v_xor_b32_e32 v4, vcc_hi, v177
	v_and_b32_e32 v177, exec_hi, v4
	v_lshlrev_b32_e32 v4, 30, v71
	v_xor_b32_e32 v72, vcc_lo, v72
	v_cmp_gt_i64_e32 vcc, 0, v[3:4]
	v_not_b32_e32 v4, v4
	v_ashrrev_i32_e32 v4, 31, v4
	v_and_b32_e32 v72, exec_lo, v72
	v_xor_b32_e32 v179, vcc_hi, v4
	v_xor_b32_e32 v4, vcc_lo, v4
	v_and_b32_e32 v72, v72, v4
	v_lshlrev_b32_e32 v4, 29, v71
	v_cmp_gt_i64_e32 vcc, 0, v[3:4]
	v_not_b32_e32 v4, v4
	v_ashrrev_i32_e32 v4, 31, v4
	v_and_b32_e32 v177, v177, v179
	v_xor_b32_e32 v179, vcc_hi, v4
	v_xor_b32_e32 v4, vcc_lo, v4
	v_and_b32_e32 v72, v72, v4
	v_lshlrev_b32_e32 v4, 28, v71
	v_cmp_gt_i64_e32 vcc, 0, v[3:4]
	v_not_b32_e32 v4, v4
	v_ashrrev_i32_e32 v4, 31, v4
	v_and_b32_e32 v177, v177, v179
	;; [unrolled: 8-line block ×4, first 2 shown]
	v_xor_b32_e32 v179, vcc_hi, v4
	v_xor_b32_e32 v4, vcc_lo, v4
	v_and_b32_e32 v177, v177, v179
	v_and_b32_e32 v179, v72, v4
	v_lshlrev_b32_e32 v4, 25, v71
	v_cmp_gt_i64_e32 vcc, 0, v[3:4]
	v_not_b32_e32 v4, v4
	v_ashrrev_i32_e32 v4, 31, v4
	v_mul_u32_u24_e32 v178, 20, v71
	v_xor_b32_e32 v71, vcc_hi, v4
	v_xor_b32_e32 v4, vcc_lo, v4
	v_and_b32_e32 v72, v177, v71
	v_and_b32_e32 v71, v179, v4
	v_mbcnt_lo_u32_b32 v4, v71, 0
	v_mbcnt_hi_u32_b32 v177, v72, v4
	v_cmp_ne_u64_e32 vcc, 0, v[71:72]
	v_cmp_eq_u32_e64 s[42:43], 0, v177
	s_and_b64 s[44:45], vcc, s[42:43]
	v_add_u32_e32 v179, v173, v178
	s_waitcnt vmcnt(0) lgkmcnt(0)
	s_barrier
	; wave barrier
	s_and_saveexec_b64 s[42:43], s[44:45]
; %bb.427:                              ;   in Loop: Header=BB812_390 Depth=2
	v_bcnt_u32_b32 v4, v71, 0
	v_bcnt_u32_b32 v4, v72, v4
	ds_write_b32 v179, v4 offset:528
; %bb.428:                              ;   in Loop: Header=BB812_390 Depth=2
	s_or_b64 exec, exec, s[42:43]
	v_xor_b32_e32 v40, 0x80000000, v40
	v_lshrrev_b64 v[71:72], s88, v[39:40]
	v_and_b32_e32 v71, s99, v71
	v_mad_u32_u24 v4, v71, 20, v173
	; wave barrier
	ds_read_b32 v178, v4 offset:528
	v_and_b32_e32 v4, 1, v71
	v_add_co_u32_e32 v72, vcc, -1, v4
	v_addc_co_u32_e64 v180, s[42:43], 0, -1, vcc
	v_cmp_ne_u32_e32 vcc, 0, v4
	v_xor_b32_e32 v4, vcc_hi, v180
	v_and_b32_e32 v180, exec_hi, v4
	v_lshlrev_b32_e32 v4, 30, v71
	v_xor_b32_e32 v72, vcc_lo, v72
	v_cmp_gt_i64_e32 vcc, 0, v[3:4]
	v_not_b32_e32 v4, v4
	v_ashrrev_i32_e32 v4, 31, v4
	v_and_b32_e32 v72, exec_lo, v72
	v_xor_b32_e32 v182, vcc_hi, v4
	v_xor_b32_e32 v4, vcc_lo, v4
	v_and_b32_e32 v72, v72, v4
	v_lshlrev_b32_e32 v4, 29, v71
	v_cmp_gt_i64_e32 vcc, 0, v[3:4]
	v_not_b32_e32 v4, v4
	v_ashrrev_i32_e32 v4, 31, v4
	v_and_b32_e32 v180, v180, v182
	v_xor_b32_e32 v182, vcc_hi, v4
	v_xor_b32_e32 v4, vcc_lo, v4
	v_and_b32_e32 v72, v72, v4
	v_lshlrev_b32_e32 v4, 28, v71
	v_cmp_gt_i64_e32 vcc, 0, v[3:4]
	v_not_b32_e32 v4, v4
	v_ashrrev_i32_e32 v4, 31, v4
	v_and_b32_e32 v180, v180, v182
	;; [unrolled: 8-line block ×4, first 2 shown]
	v_xor_b32_e32 v182, vcc_hi, v4
	v_xor_b32_e32 v4, vcc_lo, v4
	v_and_b32_e32 v180, v180, v182
	v_and_b32_e32 v182, v72, v4
	v_lshlrev_b32_e32 v4, 25, v71
	v_cmp_gt_i64_e32 vcc, 0, v[3:4]
	v_not_b32_e32 v4, v4
	v_ashrrev_i32_e32 v4, 31, v4
	v_mul_u32_u24_e32 v181, 20, v71
	v_xor_b32_e32 v71, vcc_hi, v4
	v_xor_b32_e32 v4, vcc_lo, v4
	v_and_b32_e32 v72, v180, v71
	v_and_b32_e32 v71, v182, v4
	v_mbcnt_lo_u32_b32 v4, v71, 0
	v_mbcnt_hi_u32_b32 v180, v72, v4
	v_cmp_ne_u64_e32 vcc, 0, v[71:72]
	v_cmp_eq_u32_e64 s[42:43], 0, v180
	s_and_b64 s[44:45], vcc, s[42:43]
	v_add_u32_e32 v182, v173, v181
	; wave barrier
	s_and_saveexec_b64 s[42:43], s[44:45]
	s_cbranch_execz .LBB812_430
; %bb.429:                              ;   in Loop: Header=BB812_390 Depth=2
	v_bcnt_u32_b32 v4, v71, 0
	v_bcnt_u32_b32 v4, v72, v4
	s_waitcnt lgkmcnt(0)
	v_add_u32_e32 v4, v178, v4
	ds_write_b32 v182, v4 offset:528
.LBB812_430:                            ;   in Loop: Header=BB812_390 Depth=2
	s_or_b64 exec, exec, s[42:43]
	v_xor_b32_e32 v44, 0x80000000, v44
	v_lshrrev_b64 v[71:72], s88, v[43:44]
	v_and_b32_e32 v71, s99, v71
	v_mad_u32_u24 v4, v71, 20, v173
	; wave barrier
	ds_read_b32 v181, v4 offset:528
	v_and_b32_e32 v4, 1, v71
	v_add_co_u32_e32 v72, vcc, -1, v4
	v_addc_co_u32_e64 v183, s[42:43], 0, -1, vcc
	v_cmp_ne_u32_e32 vcc, 0, v4
	v_xor_b32_e32 v4, vcc_hi, v183
	v_and_b32_e32 v183, exec_hi, v4
	v_lshlrev_b32_e32 v4, 30, v71
	v_xor_b32_e32 v72, vcc_lo, v72
	v_cmp_gt_i64_e32 vcc, 0, v[3:4]
	v_not_b32_e32 v4, v4
	v_ashrrev_i32_e32 v4, 31, v4
	v_and_b32_e32 v72, exec_lo, v72
	v_xor_b32_e32 v185, vcc_hi, v4
	v_xor_b32_e32 v4, vcc_lo, v4
	v_and_b32_e32 v72, v72, v4
	v_lshlrev_b32_e32 v4, 29, v71
	v_cmp_gt_i64_e32 vcc, 0, v[3:4]
	v_not_b32_e32 v4, v4
	v_ashrrev_i32_e32 v4, 31, v4
	v_and_b32_e32 v183, v183, v185
	v_xor_b32_e32 v185, vcc_hi, v4
	v_xor_b32_e32 v4, vcc_lo, v4
	v_and_b32_e32 v72, v72, v4
	v_lshlrev_b32_e32 v4, 28, v71
	v_cmp_gt_i64_e32 vcc, 0, v[3:4]
	v_not_b32_e32 v4, v4
	v_ashrrev_i32_e32 v4, 31, v4
	v_and_b32_e32 v183, v183, v185
	;; [unrolled: 8-line block ×4, first 2 shown]
	v_xor_b32_e32 v185, vcc_hi, v4
	v_xor_b32_e32 v4, vcc_lo, v4
	v_and_b32_e32 v183, v183, v185
	v_and_b32_e32 v185, v72, v4
	v_lshlrev_b32_e32 v4, 25, v71
	v_cmp_gt_i64_e32 vcc, 0, v[3:4]
	v_not_b32_e32 v4, v4
	v_ashrrev_i32_e32 v4, 31, v4
	v_mul_u32_u24_e32 v184, 20, v71
	v_xor_b32_e32 v71, vcc_hi, v4
	v_xor_b32_e32 v4, vcc_lo, v4
	v_and_b32_e32 v72, v183, v71
	v_and_b32_e32 v71, v185, v4
	v_mbcnt_lo_u32_b32 v4, v71, 0
	v_mbcnt_hi_u32_b32 v183, v72, v4
	v_cmp_ne_u64_e32 vcc, 0, v[71:72]
	v_cmp_eq_u32_e64 s[42:43], 0, v183
	s_and_b64 s[44:45], vcc, s[42:43]
	v_add_u32_e32 v185, v173, v184
	; wave barrier
	s_and_saveexec_b64 s[42:43], s[44:45]
	s_cbranch_execz .LBB812_432
; %bb.431:                              ;   in Loop: Header=BB812_390 Depth=2
	v_bcnt_u32_b32 v4, v71, 0
	v_bcnt_u32_b32 v4, v72, v4
	s_waitcnt lgkmcnt(0)
	v_add_u32_e32 v4, v181, v4
	ds_write_b32 v185, v4 offset:528
.LBB812_432:                            ;   in Loop: Header=BB812_390 Depth=2
	s_or_b64 exec, exec, s[42:43]
	v_xor_b32_e32 v46, 0x80000000, v46
	v_lshrrev_b64 v[71:72], s88, v[45:46]
	v_and_b32_e32 v71, s99, v71
	v_mad_u32_u24 v4, v71, 20, v173
	; wave barrier
	ds_read_b32 v184, v4 offset:528
	v_and_b32_e32 v4, 1, v71
	v_add_co_u32_e32 v72, vcc, -1, v4
	v_addc_co_u32_e64 v186, s[42:43], 0, -1, vcc
	v_cmp_ne_u32_e32 vcc, 0, v4
	v_xor_b32_e32 v4, vcc_hi, v186
	v_and_b32_e32 v186, exec_hi, v4
	v_lshlrev_b32_e32 v4, 30, v71
	v_xor_b32_e32 v72, vcc_lo, v72
	v_cmp_gt_i64_e32 vcc, 0, v[3:4]
	v_not_b32_e32 v4, v4
	v_ashrrev_i32_e32 v4, 31, v4
	v_and_b32_e32 v72, exec_lo, v72
	v_xor_b32_e32 v188, vcc_hi, v4
	v_xor_b32_e32 v4, vcc_lo, v4
	v_and_b32_e32 v72, v72, v4
	v_lshlrev_b32_e32 v4, 29, v71
	v_cmp_gt_i64_e32 vcc, 0, v[3:4]
	v_not_b32_e32 v4, v4
	v_ashrrev_i32_e32 v4, 31, v4
	v_and_b32_e32 v186, v186, v188
	v_xor_b32_e32 v188, vcc_hi, v4
	v_xor_b32_e32 v4, vcc_lo, v4
	v_and_b32_e32 v72, v72, v4
	v_lshlrev_b32_e32 v4, 28, v71
	v_cmp_gt_i64_e32 vcc, 0, v[3:4]
	v_not_b32_e32 v4, v4
	v_ashrrev_i32_e32 v4, 31, v4
	v_and_b32_e32 v186, v186, v188
	v_xor_b32_e32 v188, vcc_hi, v4
	v_xor_b32_e32 v4, vcc_lo, v4
	v_and_b32_e32 v72, v72, v4
	v_lshlrev_b32_e32 v4, 27, v71
	v_cmp_gt_i64_e32 vcc, 0, v[3:4]
	v_not_b32_e32 v4, v4
	v_ashrrev_i32_e32 v4, 31, v4
	v_and_b32_e32 v186, v186, v188
	v_xor_b32_e32 v188, vcc_hi, v4
	v_xor_b32_e32 v4, vcc_lo, v4
	v_and_b32_e32 v72, v72, v4
	v_lshlrev_b32_e32 v4, 26, v71
	v_cmp_gt_i64_e32 vcc, 0, v[3:4]
	v_not_b32_e32 v4, v4
	v_ashrrev_i32_e32 v4, 31, v4
	v_and_b32_e32 v186, v186, v188
	v_xor_b32_e32 v188, vcc_hi, v4
	v_xor_b32_e32 v4, vcc_lo, v4
	v_and_b32_e32 v186, v186, v188
	v_and_b32_e32 v188, v72, v4
	v_lshlrev_b32_e32 v4, 25, v71
	v_cmp_gt_i64_e32 vcc, 0, v[3:4]
	v_not_b32_e32 v4, v4
	v_ashrrev_i32_e32 v4, 31, v4
	v_mul_u32_u24_e32 v187, 20, v71
	v_xor_b32_e32 v71, vcc_hi, v4
	v_xor_b32_e32 v4, vcc_lo, v4
	v_and_b32_e32 v72, v186, v71
	v_and_b32_e32 v71, v188, v4
	v_mbcnt_lo_u32_b32 v4, v71, 0
	v_mbcnt_hi_u32_b32 v186, v72, v4
	v_cmp_ne_u64_e32 vcc, 0, v[71:72]
	v_cmp_eq_u32_e64 s[42:43], 0, v186
	s_and_b64 s[44:45], vcc, s[42:43]
	v_add_u32_e32 v188, v173, v187
	; wave barrier
	s_and_saveexec_b64 s[42:43], s[44:45]
	s_cbranch_execz .LBB812_434
; %bb.433:                              ;   in Loop: Header=BB812_390 Depth=2
	v_bcnt_u32_b32 v4, v71, 0
	v_bcnt_u32_b32 v4, v72, v4
	s_waitcnt lgkmcnt(0)
	v_add_u32_e32 v4, v184, v4
	ds_write_b32 v188, v4 offset:528
.LBB812_434:                            ;   in Loop: Header=BB812_390 Depth=2
	s_or_b64 exec, exec, s[42:43]
	v_xor_b32_e32 v48, 0x80000000, v48
	v_lshrrev_b64 v[71:72], s88, v[47:48]
	v_and_b32_e32 v71, s99, v71
	v_mad_u32_u24 v4, v71, 20, v173
	; wave barrier
	ds_read_b32 v187, v4 offset:528
	v_and_b32_e32 v4, 1, v71
	v_add_co_u32_e32 v72, vcc, -1, v4
	v_addc_co_u32_e64 v189, s[42:43], 0, -1, vcc
	v_cmp_ne_u32_e32 vcc, 0, v4
	v_xor_b32_e32 v4, vcc_hi, v189
	v_and_b32_e32 v189, exec_hi, v4
	v_lshlrev_b32_e32 v4, 30, v71
	v_xor_b32_e32 v72, vcc_lo, v72
	v_cmp_gt_i64_e32 vcc, 0, v[3:4]
	v_not_b32_e32 v4, v4
	v_ashrrev_i32_e32 v4, 31, v4
	v_and_b32_e32 v72, exec_lo, v72
	v_xor_b32_e32 v191, vcc_hi, v4
	v_xor_b32_e32 v4, vcc_lo, v4
	v_and_b32_e32 v72, v72, v4
	v_lshlrev_b32_e32 v4, 29, v71
	v_cmp_gt_i64_e32 vcc, 0, v[3:4]
	v_not_b32_e32 v4, v4
	v_ashrrev_i32_e32 v4, 31, v4
	v_and_b32_e32 v189, v189, v191
	v_xor_b32_e32 v191, vcc_hi, v4
	v_xor_b32_e32 v4, vcc_lo, v4
	v_and_b32_e32 v72, v72, v4
	v_lshlrev_b32_e32 v4, 28, v71
	v_cmp_gt_i64_e32 vcc, 0, v[3:4]
	v_not_b32_e32 v4, v4
	v_ashrrev_i32_e32 v4, 31, v4
	v_and_b32_e32 v189, v189, v191
	;; [unrolled: 8-line block ×4, first 2 shown]
	v_xor_b32_e32 v191, vcc_hi, v4
	v_xor_b32_e32 v4, vcc_lo, v4
	v_and_b32_e32 v189, v189, v191
	v_and_b32_e32 v191, v72, v4
	v_lshlrev_b32_e32 v4, 25, v71
	v_cmp_gt_i64_e32 vcc, 0, v[3:4]
	v_not_b32_e32 v4, v4
	v_ashrrev_i32_e32 v4, 31, v4
	v_mul_u32_u24_e32 v190, 20, v71
	v_xor_b32_e32 v71, vcc_hi, v4
	v_xor_b32_e32 v4, vcc_lo, v4
	v_and_b32_e32 v72, v189, v71
	v_and_b32_e32 v71, v191, v4
	v_mbcnt_lo_u32_b32 v4, v71, 0
	v_mbcnt_hi_u32_b32 v189, v72, v4
	v_cmp_ne_u64_e32 vcc, 0, v[71:72]
	v_cmp_eq_u32_e64 s[42:43], 0, v189
	s_and_b64 s[44:45], vcc, s[42:43]
	v_add_u32_e32 v191, v173, v190
	; wave barrier
	s_and_saveexec_b64 s[42:43], s[44:45]
	s_cbranch_execz .LBB812_436
; %bb.435:                              ;   in Loop: Header=BB812_390 Depth=2
	v_bcnt_u32_b32 v4, v71, 0
	v_bcnt_u32_b32 v4, v72, v4
	s_waitcnt lgkmcnt(0)
	v_add_u32_e32 v4, v187, v4
	ds_write_b32 v191, v4 offset:528
.LBB812_436:                            ;   in Loop: Header=BB812_390 Depth=2
	s_or_b64 exec, exec, s[42:43]
	v_xor_b32_e32 v50, 0x80000000, v50
	v_lshrrev_b64 v[71:72], s88, v[49:50]
	v_and_b32_e32 v71, s99, v71
	v_mad_u32_u24 v4, v71, 20, v173
	; wave barrier
	ds_read_b32 v190, v4 offset:528
	v_and_b32_e32 v4, 1, v71
	v_add_co_u32_e32 v72, vcc, -1, v4
	v_addc_co_u32_e64 v192, s[42:43], 0, -1, vcc
	v_cmp_ne_u32_e32 vcc, 0, v4
	v_xor_b32_e32 v4, vcc_hi, v192
	v_and_b32_e32 v192, exec_hi, v4
	v_lshlrev_b32_e32 v4, 30, v71
	v_xor_b32_e32 v72, vcc_lo, v72
	v_cmp_gt_i64_e32 vcc, 0, v[3:4]
	v_not_b32_e32 v4, v4
	v_ashrrev_i32_e32 v4, 31, v4
	v_and_b32_e32 v72, exec_lo, v72
	v_xor_b32_e32 v194, vcc_hi, v4
	v_xor_b32_e32 v4, vcc_lo, v4
	v_and_b32_e32 v72, v72, v4
	v_lshlrev_b32_e32 v4, 29, v71
	v_cmp_gt_i64_e32 vcc, 0, v[3:4]
	v_not_b32_e32 v4, v4
	v_ashrrev_i32_e32 v4, 31, v4
	v_and_b32_e32 v192, v192, v194
	v_xor_b32_e32 v194, vcc_hi, v4
	v_xor_b32_e32 v4, vcc_lo, v4
	v_and_b32_e32 v72, v72, v4
	v_lshlrev_b32_e32 v4, 28, v71
	v_cmp_gt_i64_e32 vcc, 0, v[3:4]
	v_not_b32_e32 v4, v4
	v_ashrrev_i32_e32 v4, 31, v4
	v_and_b32_e32 v192, v192, v194
	;; [unrolled: 8-line block ×4, first 2 shown]
	v_xor_b32_e32 v194, vcc_hi, v4
	v_xor_b32_e32 v4, vcc_lo, v4
	v_and_b32_e32 v192, v192, v194
	v_and_b32_e32 v194, v72, v4
	v_lshlrev_b32_e32 v4, 25, v71
	v_cmp_gt_i64_e32 vcc, 0, v[3:4]
	v_not_b32_e32 v4, v4
	v_ashrrev_i32_e32 v4, 31, v4
	v_mul_u32_u24_e32 v193, 20, v71
	v_xor_b32_e32 v71, vcc_hi, v4
	v_xor_b32_e32 v4, vcc_lo, v4
	v_and_b32_e32 v72, v192, v71
	v_and_b32_e32 v71, v194, v4
	v_mbcnt_lo_u32_b32 v4, v71, 0
	v_mbcnt_hi_u32_b32 v192, v72, v4
	v_cmp_ne_u64_e32 vcc, 0, v[71:72]
	v_cmp_eq_u32_e64 s[42:43], 0, v192
	s_and_b64 s[44:45], vcc, s[42:43]
	v_add_u32_e32 v194, v173, v193
	; wave barrier
	s_and_saveexec_b64 s[42:43], s[44:45]
	s_cbranch_execz .LBB812_438
; %bb.437:                              ;   in Loop: Header=BB812_390 Depth=2
	v_bcnt_u32_b32 v4, v71, 0
	v_bcnt_u32_b32 v4, v72, v4
	s_waitcnt lgkmcnt(0)
	v_add_u32_e32 v4, v190, v4
	ds_write_b32 v194, v4 offset:528
.LBB812_438:                            ;   in Loop: Header=BB812_390 Depth=2
	s_or_b64 exec, exec, s[42:43]
	v_xor_b32_e32 v52, 0x80000000, v52
	v_lshrrev_b64 v[71:72], s88, v[51:52]
	v_and_b32_e32 v71, s99, v71
	v_mad_u32_u24 v4, v71, 20, v173
	; wave barrier
	ds_read_b32 v193, v4 offset:528
	v_and_b32_e32 v4, 1, v71
	v_add_co_u32_e32 v72, vcc, -1, v4
	v_addc_co_u32_e64 v195, s[42:43], 0, -1, vcc
	v_cmp_ne_u32_e32 vcc, 0, v4
	v_xor_b32_e32 v4, vcc_hi, v195
	v_and_b32_e32 v195, exec_hi, v4
	v_lshlrev_b32_e32 v4, 30, v71
	v_xor_b32_e32 v72, vcc_lo, v72
	v_cmp_gt_i64_e32 vcc, 0, v[3:4]
	v_not_b32_e32 v4, v4
	v_ashrrev_i32_e32 v4, 31, v4
	v_and_b32_e32 v72, exec_lo, v72
	v_xor_b32_e32 v197, vcc_hi, v4
	v_xor_b32_e32 v4, vcc_lo, v4
	v_and_b32_e32 v72, v72, v4
	v_lshlrev_b32_e32 v4, 29, v71
	v_cmp_gt_i64_e32 vcc, 0, v[3:4]
	v_not_b32_e32 v4, v4
	v_ashrrev_i32_e32 v4, 31, v4
	v_and_b32_e32 v195, v195, v197
	v_xor_b32_e32 v197, vcc_hi, v4
	v_xor_b32_e32 v4, vcc_lo, v4
	v_and_b32_e32 v72, v72, v4
	v_lshlrev_b32_e32 v4, 28, v71
	v_cmp_gt_i64_e32 vcc, 0, v[3:4]
	v_not_b32_e32 v4, v4
	v_ashrrev_i32_e32 v4, 31, v4
	v_and_b32_e32 v195, v195, v197
	;; [unrolled: 8-line block ×4, first 2 shown]
	v_xor_b32_e32 v197, vcc_hi, v4
	v_xor_b32_e32 v4, vcc_lo, v4
	v_and_b32_e32 v195, v195, v197
	v_and_b32_e32 v197, v72, v4
	v_lshlrev_b32_e32 v4, 25, v71
	v_cmp_gt_i64_e32 vcc, 0, v[3:4]
	v_not_b32_e32 v4, v4
	v_ashrrev_i32_e32 v4, 31, v4
	v_mul_u32_u24_e32 v196, 20, v71
	v_xor_b32_e32 v71, vcc_hi, v4
	v_xor_b32_e32 v4, vcc_lo, v4
	v_and_b32_e32 v72, v195, v71
	v_and_b32_e32 v71, v197, v4
	v_mbcnt_lo_u32_b32 v4, v71, 0
	v_mbcnt_hi_u32_b32 v195, v72, v4
	v_cmp_ne_u64_e32 vcc, 0, v[71:72]
	v_cmp_eq_u32_e64 s[42:43], 0, v195
	s_and_b64 s[44:45], vcc, s[42:43]
	v_add_u32_e32 v197, v173, v196
	; wave barrier
	s_and_saveexec_b64 s[42:43], s[44:45]
	s_cbranch_execz .LBB812_440
; %bb.439:                              ;   in Loop: Header=BB812_390 Depth=2
	v_bcnt_u32_b32 v4, v71, 0
	v_bcnt_u32_b32 v4, v72, v4
	s_waitcnt lgkmcnt(0)
	v_add_u32_e32 v4, v193, v4
	ds_write_b32 v197, v4 offset:528
.LBB812_440:                            ;   in Loop: Header=BB812_390 Depth=2
	s_or_b64 exec, exec, s[42:43]
	v_xor_b32_e32 v54, 0x80000000, v54
	v_lshrrev_b64 v[71:72], s88, v[53:54]
	v_and_b32_e32 v71, s99, v71
	v_mad_u32_u24 v4, v71, 20, v173
	; wave barrier
	ds_read_b32 v196, v4 offset:528
	v_and_b32_e32 v4, 1, v71
	v_add_co_u32_e32 v72, vcc, -1, v4
	v_addc_co_u32_e64 v198, s[42:43], 0, -1, vcc
	v_cmp_ne_u32_e32 vcc, 0, v4
	v_xor_b32_e32 v4, vcc_hi, v198
	v_and_b32_e32 v198, exec_hi, v4
	v_lshlrev_b32_e32 v4, 30, v71
	v_xor_b32_e32 v72, vcc_lo, v72
	v_cmp_gt_i64_e32 vcc, 0, v[3:4]
	v_not_b32_e32 v4, v4
	v_ashrrev_i32_e32 v4, 31, v4
	v_and_b32_e32 v72, exec_lo, v72
	v_xor_b32_e32 v200, vcc_hi, v4
	v_xor_b32_e32 v4, vcc_lo, v4
	v_and_b32_e32 v72, v72, v4
	v_lshlrev_b32_e32 v4, 29, v71
	v_cmp_gt_i64_e32 vcc, 0, v[3:4]
	v_not_b32_e32 v4, v4
	v_ashrrev_i32_e32 v4, 31, v4
	v_and_b32_e32 v198, v198, v200
	v_xor_b32_e32 v200, vcc_hi, v4
	v_xor_b32_e32 v4, vcc_lo, v4
	v_and_b32_e32 v72, v72, v4
	v_lshlrev_b32_e32 v4, 28, v71
	v_cmp_gt_i64_e32 vcc, 0, v[3:4]
	v_not_b32_e32 v4, v4
	v_ashrrev_i32_e32 v4, 31, v4
	v_and_b32_e32 v198, v198, v200
	;; [unrolled: 8-line block ×4, first 2 shown]
	v_xor_b32_e32 v200, vcc_hi, v4
	v_xor_b32_e32 v4, vcc_lo, v4
	v_and_b32_e32 v198, v198, v200
	v_and_b32_e32 v200, v72, v4
	v_lshlrev_b32_e32 v4, 25, v71
	v_cmp_gt_i64_e32 vcc, 0, v[3:4]
	v_not_b32_e32 v4, v4
	v_ashrrev_i32_e32 v4, 31, v4
	v_mul_u32_u24_e32 v199, 20, v71
	v_xor_b32_e32 v71, vcc_hi, v4
	v_xor_b32_e32 v4, vcc_lo, v4
	v_and_b32_e32 v72, v198, v71
	v_and_b32_e32 v71, v200, v4
	v_mbcnt_lo_u32_b32 v4, v71, 0
	v_mbcnt_hi_u32_b32 v198, v72, v4
	v_cmp_ne_u64_e32 vcc, 0, v[71:72]
	v_cmp_eq_u32_e64 s[42:43], 0, v198
	s_and_b64 s[44:45], vcc, s[42:43]
	v_add_u32_e32 v200, v173, v199
	; wave barrier
	s_and_saveexec_b64 s[42:43], s[44:45]
	s_cbranch_execz .LBB812_442
; %bb.441:                              ;   in Loop: Header=BB812_390 Depth=2
	v_bcnt_u32_b32 v4, v71, 0
	v_bcnt_u32_b32 v4, v72, v4
	s_waitcnt lgkmcnt(0)
	v_add_u32_e32 v4, v196, v4
	ds_write_b32 v200, v4 offset:528
.LBB812_442:                            ;   in Loop: Header=BB812_390 Depth=2
	s_or_b64 exec, exec, s[42:43]
	v_xor_b32_e32 v56, 0x80000000, v56
	v_lshrrev_b64 v[71:72], s88, v[55:56]
	v_and_b32_e32 v71, s99, v71
	v_mad_u32_u24 v4, v71, 20, v173
	; wave barrier
	ds_read_b32 v199, v4 offset:528
	v_and_b32_e32 v4, 1, v71
	v_add_co_u32_e32 v72, vcc, -1, v4
	v_addc_co_u32_e64 v201, s[42:43], 0, -1, vcc
	v_cmp_ne_u32_e32 vcc, 0, v4
	v_xor_b32_e32 v4, vcc_hi, v201
	v_and_b32_e32 v201, exec_hi, v4
	v_lshlrev_b32_e32 v4, 30, v71
	v_xor_b32_e32 v72, vcc_lo, v72
	v_cmp_gt_i64_e32 vcc, 0, v[3:4]
	v_not_b32_e32 v4, v4
	v_ashrrev_i32_e32 v4, 31, v4
	v_and_b32_e32 v72, exec_lo, v72
	v_xor_b32_e32 v203, vcc_hi, v4
	v_xor_b32_e32 v4, vcc_lo, v4
	v_and_b32_e32 v72, v72, v4
	v_lshlrev_b32_e32 v4, 29, v71
	v_cmp_gt_i64_e32 vcc, 0, v[3:4]
	v_not_b32_e32 v4, v4
	v_ashrrev_i32_e32 v4, 31, v4
	v_and_b32_e32 v201, v201, v203
	v_xor_b32_e32 v203, vcc_hi, v4
	v_xor_b32_e32 v4, vcc_lo, v4
	v_and_b32_e32 v72, v72, v4
	v_lshlrev_b32_e32 v4, 28, v71
	v_cmp_gt_i64_e32 vcc, 0, v[3:4]
	v_not_b32_e32 v4, v4
	v_ashrrev_i32_e32 v4, 31, v4
	v_and_b32_e32 v201, v201, v203
	v_xor_b32_e32 v203, vcc_hi, v4
	v_xor_b32_e32 v4, vcc_lo, v4
	v_and_b32_e32 v72, v72, v4
	v_lshlrev_b32_e32 v4, 27, v71
	v_cmp_gt_i64_e32 vcc, 0, v[3:4]
	v_not_b32_e32 v4, v4
	v_ashrrev_i32_e32 v4, 31, v4
	v_and_b32_e32 v201, v201, v203
	v_xor_b32_e32 v203, vcc_hi, v4
	v_xor_b32_e32 v4, vcc_lo, v4
	v_and_b32_e32 v72, v72, v4
	v_lshlrev_b32_e32 v4, 26, v71
	v_cmp_gt_i64_e32 vcc, 0, v[3:4]
	v_not_b32_e32 v4, v4
	v_ashrrev_i32_e32 v4, 31, v4
	v_and_b32_e32 v201, v201, v203
	v_xor_b32_e32 v203, vcc_hi, v4
	v_xor_b32_e32 v4, vcc_lo, v4
	v_and_b32_e32 v201, v201, v203
	v_and_b32_e32 v203, v72, v4
	v_lshlrev_b32_e32 v4, 25, v71
	v_cmp_gt_i64_e32 vcc, 0, v[3:4]
	v_not_b32_e32 v4, v4
	v_ashrrev_i32_e32 v4, 31, v4
	v_mul_u32_u24_e32 v202, 20, v71
	v_xor_b32_e32 v71, vcc_hi, v4
	v_xor_b32_e32 v4, vcc_lo, v4
	v_and_b32_e32 v72, v201, v71
	v_and_b32_e32 v71, v203, v4
	v_mbcnt_lo_u32_b32 v4, v71, 0
	v_mbcnt_hi_u32_b32 v201, v72, v4
	v_cmp_ne_u64_e32 vcc, 0, v[71:72]
	v_cmp_eq_u32_e64 s[42:43], 0, v201
	s_and_b64 s[44:45], vcc, s[42:43]
	v_add_u32_e32 v203, v173, v202
	; wave barrier
	s_and_saveexec_b64 s[42:43], s[44:45]
	s_cbranch_execz .LBB812_444
; %bb.443:                              ;   in Loop: Header=BB812_390 Depth=2
	v_bcnt_u32_b32 v4, v71, 0
	v_bcnt_u32_b32 v4, v72, v4
	s_waitcnt lgkmcnt(0)
	v_add_u32_e32 v4, v199, v4
	ds_write_b32 v203, v4 offset:528
.LBB812_444:                            ;   in Loop: Header=BB812_390 Depth=2
	s_or_b64 exec, exec, s[42:43]
	v_xor_b32_e32 v58, 0x80000000, v58
	v_lshrrev_b64 v[71:72], s88, v[57:58]
	v_and_b32_e32 v71, s99, v71
	v_mad_u32_u24 v4, v71, 20, v173
	; wave barrier
	ds_read_b32 v202, v4 offset:528
	v_and_b32_e32 v4, 1, v71
	v_add_co_u32_e32 v72, vcc, -1, v4
	v_addc_co_u32_e64 v204, s[42:43], 0, -1, vcc
	v_cmp_ne_u32_e32 vcc, 0, v4
	v_xor_b32_e32 v4, vcc_hi, v204
	v_and_b32_e32 v204, exec_hi, v4
	v_lshlrev_b32_e32 v4, 30, v71
	v_xor_b32_e32 v72, vcc_lo, v72
	v_cmp_gt_i64_e32 vcc, 0, v[3:4]
	v_not_b32_e32 v4, v4
	v_ashrrev_i32_e32 v4, 31, v4
	v_and_b32_e32 v72, exec_lo, v72
	v_xor_b32_e32 v206, vcc_hi, v4
	v_xor_b32_e32 v4, vcc_lo, v4
	v_and_b32_e32 v72, v72, v4
	v_lshlrev_b32_e32 v4, 29, v71
	v_cmp_gt_i64_e32 vcc, 0, v[3:4]
	v_not_b32_e32 v4, v4
	v_ashrrev_i32_e32 v4, 31, v4
	v_and_b32_e32 v204, v204, v206
	v_xor_b32_e32 v206, vcc_hi, v4
	v_xor_b32_e32 v4, vcc_lo, v4
	v_and_b32_e32 v72, v72, v4
	v_lshlrev_b32_e32 v4, 28, v71
	v_cmp_gt_i64_e32 vcc, 0, v[3:4]
	v_not_b32_e32 v4, v4
	v_ashrrev_i32_e32 v4, 31, v4
	v_and_b32_e32 v204, v204, v206
	;; [unrolled: 8-line block ×4, first 2 shown]
	v_xor_b32_e32 v206, vcc_hi, v4
	v_xor_b32_e32 v4, vcc_lo, v4
	v_and_b32_e32 v204, v204, v206
	v_and_b32_e32 v206, v72, v4
	v_lshlrev_b32_e32 v4, 25, v71
	v_cmp_gt_i64_e32 vcc, 0, v[3:4]
	v_not_b32_e32 v4, v4
	v_ashrrev_i32_e32 v4, 31, v4
	v_mul_u32_u24_e32 v205, 20, v71
	v_xor_b32_e32 v71, vcc_hi, v4
	v_xor_b32_e32 v4, vcc_lo, v4
	v_and_b32_e32 v72, v204, v71
	v_and_b32_e32 v71, v206, v4
	v_mbcnt_lo_u32_b32 v4, v71, 0
	v_mbcnt_hi_u32_b32 v204, v72, v4
	v_cmp_ne_u64_e32 vcc, 0, v[71:72]
	v_cmp_eq_u32_e64 s[42:43], 0, v204
	s_and_b64 s[44:45], vcc, s[42:43]
	v_add_u32_e32 v207, v173, v205
	; wave barrier
	s_and_saveexec_b64 s[42:43], s[44:45]
	s_cbranch_execz .LBB812_446
; %bb.445:                              ;   in Loop: Header=BB812_390 Depth=2
	v_bcnt_u32_b32 v4, v71, 0
	v_bcnt_u32_b32 v4, v72, v4
	s_waitcnt lgkmcnt(0)
	v_add_u32_e32 v4, v202, v4
	ds_write_b32 v207, v4 offset:528
.LBB812_446:                            ;   in Loop: Header=BB812_390 Depth=2
	s_or_b64 exec, exec, s[42:43]
	v_xor_b32_e32 v60, 0x80000000, v60
	v_lshrrev_b64 v[71:72], s88, v[59:60]
	v_and_b32_e32 v71, s99, v71
	v_mad_u32_u24 v4, v71, 20, v173
	; wave barrier
	ds_read_b32 v205, v4 offset:528
	v_and_b32_e32 v4, 1, v71
	v_add_co_u32_e32 v72, vcc, -1, v4
	v_addc_co_u32_e64 v206, s[42:43], 0, -1, vcc
	v_cmp_ne_u32_e32 vcc, 0, v4
	v_xor_b32_e32 v4, vcc_hi, v206
	v_and_b32_e32 v206, exec_hi, v4
	v_lshlrev_b32_e32 v4, 30, v71
	v_xor_b32_e32 v72, vcc_lo, v72
	v_cmp_gt_i64_e32 vcc, 0, v[3:4]
	v_not_b32_e32 v4, v4
	v_ashrrev_i32_e32 v4, 31, v4
	v_and_b32_e32 v72, exec_lo, v72
	v_xor_b32_e32 v209, vcc_hi, v4
	v_xor_b32_e32 v4, vcc_lo, v4
	v_and_b32_e32 v72, v72, v4
	v_lshlrev_b32_e32 v4, 29, v71
	v_cmp_gt_i64_e32 vcc, 0, v[3:4]
	v_not_b32_e32 v4, v4
	v_ashrrev_i32_e32 v4, 31, v4
	v_and_b32_e32 v206, v206, v209
	v_xor_b32_e32 v209, vcc_hi, v4
	v_xor_b32_e32 v4, vcc_lo, v4
	v_and_b32_e32 v72, v72, v4
	v_lshlrev_b32_e32 v4, 28, v71
	v_cmp_gt_i64_e32 vcc, 0, v[3:4]
	v_not_b32_e32 v4, v4
	v_ashrrev_i32_e32 v4, 31, v4
	v_and_b32_e32 v206, v206, v209
	;; [unrolled: 8-line block ×4, first 2 shown]
	v_xor_b32_e32 v209, vcc_hi, v4
	v_xor_b32_e32 v4, vcc_lo, v4
	v_and_b32_e32 v206, v206, v209
	v_and_b32_e32 v209, v72, v4
	v_lshlrev_b32_e32 v4, 25, v71
	v_cmp_gt_i64_e32 vcc, 0, v[3:4]
	v_not_b32_e32 v4, v4
	v_ashrrev_i32_e32 v4, 31, v4
	v_mul_u32_u24_e32 v208, 20, v71
	v_xor_b32_e32 v71, vcc_hi, v4
	v_xor_b32_e32 v4, vcc_lo, v4
	v_and_b32_e32 v72, v206, v71
	v_and_b32_e32 v71, v209, v4
	v_mbcnt_lo_u32_b32 v4, v71, 0
	v_mbcnt_hi_u32_b32 v206, v72, v4
	v_cmp_ne_u64_e32 vcc, 0, v[71:72]
	v_cmp_eq_u32_e64 s[42:43], 0, v206
	s_and_b64 s[44:45], vcc, s[42:43]
	v_add_u32_e32 v210, v173, v208
	; wave barrier
	s_and_saveexec_b64 s[42:43], s[44:45]
	s_cbranch_execz .LBB812_448
; %bb.447:                              ;   in Loop: Header=BB812_390 Depth=2
	v_bcnt_u32_b32 v4, v71, 0
	v_bcnt_u32_b32 v4, v72, v4
	s_waitcnt lgkmcnt(0)
	v_add_u32_e32 v4, v205, v4
	ds_write_b32 v210, v4 offset:528
.LBB812_448:                            ;   in Loop: Header=BB812_390 Depth=2
	s_or_b64 exec, exec, s[42:43]
	v_xor_b32_e32 v62, 0x80000000, v62
	v_lshrrev_b64 v[71:72], s88, v[61:62]
	v_and_b32_e32 v71, s99, v71
	v_mad_u32_u24 v4, v71, 20, v173
	; wave barrier
	ds_read_b32 v208, v4 offset:528
	v_and_b32_e32 v4, 1, v71
	v_add_co_u32_e32 v72, vcc, -1, v4
	v_addc_co_u32_e64 v209, s[42:43], 0, -1, vcc
	v_cmp_ne_u32_e32 vcc, 0, v4
	v_xor_b32_e32 v4, vcc_hi, v209
	v_and_b32_e32 v209, exec_hi, v4
	v_lshlrev_b32_e32 v4, 30, v71
	v_xor_b32_e32 v72, vcc_lo, v72
	v_cmp_gt_i64_e32 vcc, 0, v[3:4]
	v_not_b32_e32 v4, v4
	v_ashrrev_i32_e32 v4, 31, v4
	v_and_b32_e32 v72, exec_lo, v72
	v_xor_b32_e32 v212, vcc_hi, v4
	v_xor_b32_e32 v4, vcc_lo, v4
	v_and_b32_e32 v72, v72, v4
	v_lshlrev_b32_e32 v4, 29, v71
	v_cmp_gt_i64_e32 vcc, 0, v[3:4]
	v_not_b32_e32 v4, v4
	v_ashrrev_i32_e32 v4, 31, v4
	v_and_b32_e32 v209, v209, v212
	v_xor_b32_e32 v212, vcc_hi, v4
	v_xor_b32_e32 v4, vcc_lo, v4
	v_and_b32_e32 v72, v72, v4
	v_lshlrev_b32_e32 v4, 28, v71
	v_cmp_gt_i64_e32 vcc, 0, v[3:4]
	v_not_b32_e32 v4, v4
	v_ashrrev_i32_e32 v4, 31, v4
	v_and_b32_e32 v209, v209, v212
	;; [unrolled: 8-line block ×4, first 2 shown]
	v_xor_b32_e32 v212, vcc_hi, v4
	v_xor_b32_e32 v4, vcc_lo, v4
	v_and_b32_e32 v209, v209, v212
	v_and_b32_e32 v212, v72, v4
	v_lshlrev_b32_e32 v4, 25, v71
	v_cmp_gt_i64_e32 vcc, 0, v[3:4]
	v_not_b32_e32 v4, v4
	v_ashrrev_i32_e32 v4, 31, v4
	v_mul_u32_u24_e32 v211, 20, v71
	v_xor_b32_e32 v71, vcc_hi, v4
	v_xor_b32_e32 v4, vcc_lo, v4
	v_and_b32_e32 v72, v209, v71
	v_and_b32_e32 v71, v212, v4
	v_mbcnt_lo_u32_b32 v4, v71, 0
	v_mbcnt_hi_u32_b32 v209, v72, v4
	v_cmp_ne_u64_e32 vcc, 0, v[71:72]
	v_cmp_eq_u32_e64 s[42:43], 0, v209
	s_and_b64 s[44:45], vcc, s[42:43]
	v_add_u32_e32 v213, v173, v211
	; wave barrier
	s_and_saveexec_b64 s[42:43], s[44:45]
	s_cbranch_execz .LBB812_450
; %bb.449:                              ;   in Loop: Header=BB812_390 Depth=2
	v_bcnt_u32_b32 v4, v71, 0
	v_bcnt_u32_b32 v4, v72, v4
	s_waitcnt lgkmcnt(0)
	v_add_u32_e32 v4, v208, v4
	ds_write_b32 v213, v4 offset:528
.LBB812_450:                            ;   in Loop: Header=BB812_390 Depth=2
	s_or_b64 exec, exec, s[42:43]
	v_xor_b32_e32 v64, 0x80000000, v64
	v_lshrrev_b64 v[71:72], s88, v[63:64]
	v_and_b32_e32 v71, s99, v71
	v_mad_u32_u24 v4, v71, 20, v173
	; wave barrier
	ds_read_b32 v211, v4 offset:528
	v_and_b32_e32 v4, 1, v71
	v_add_co_u32_e32 v72, vcc, -1, v4
	v_addc_co_u32_e64 v212, s[42:43], 0, -1, vcc
	v_cmp_ne_u32_e32 vcc, 0, v4
	v_xor_b32_e32 v4, vcc_hi, v212
	v_and_b32_e32 v212, exec_hi, v4
	v_lshlrev_b32_e32 v4, 30, v71
	v_xor_b32_e32 v72, vcc_lo, v72
	v_cmp_gt_i64_e32 vcc, 0, v[3:4]
	v_not_b32_e32 v4, v4
	v_ashrrev_i32_e32 v4, 31, v4
	v_and_b32_e32 v72, exec_lo, v72
	v_xor_b32_e32 v215, vcc_hi, v4
	v_xor_b32_e32 v4, vcc_lo, v4
	v_and_b32_e32 v72, v72, v4
	v_lshlrev_b32_e32 v4, 29, v71
	v_cmp_gt_i64_e32 vcc, 0, v[3:4]
	v_not_b32_e32 v4, v4
	v_ashrrev_i32_e32 v4, 31, v4
	v_and_b32_e32 v212, v212, v215
	v_xor_b32_e32 v215, vcc_hi, v4
	v_xor_b32_e32 v4, vcc_lo, v4
	v_and_b32_e32 v72, v72, v4
	v_lshlrev_b32_e32 v4, 28, v71
	v_cmp_gt_i64_e32 vcc, 0, v[3:4]
	v_not_b32_e32 v4, v4
	v_ashrrev_i32_e32 v4, 31, v4
	v_and_b32_e32 v212, v212, v215
	;; [unrolled: 8-line block ×4, first 2 shown]
	v_xor_b32_e32 v215, vcc_hi, v4
	v_xor_b32_e32 v4, vcc_lo, v4
	v_and_b32_e32 v212, v212, v215
	v_and_b32_e32 v215, v72, v4
	v_lshlrev_b32_e32 v4, 25, v71
	v_cmp_gt_i64_e32 vcc, 0, v[3:4]
	v_not_b32_e32 v4, v4
	v_ashrrev_i32_e32 v4, 31, v4
	v_mul_u32_u24_e32 v214, 20, v71
	v_xor_b32_e32 v71, vcc_hi, v4
	v_xor_b32_e32 v4, vcc_lo, v4
	v_and_b32_e32 v72, v212, v71
	v_and_b32_e32 v71, v215, v4
	v_mbcnt_lo_u32_b32 v4, v71, 0
	v_mbcnt_hi_u32_b32 v212, v72, v4
	v_cmp_ne_u64_e32 vcc, 0, v[71:72]
	v_cmp_eq_u32_e64 s[42:43], 0, v212
	s_and_b64 s[44:45], vcc, s[42:43]
	v_add_u32_e32 v216, v173, v214
	; wave barrier
	s_and_saveexec_b64 s[42:43], s[44:45]
	s_cbranch_execz .LBB812_452
; %bb.451:                              ;   in Loop: Header=BB812_390 Depth=2
	v_bcnt_u32_b32 v4, v71, 0
	v_bcnt_u32_b32 v4, v72, v4
	s_waitcnt lgkmcnt(0)
	v_add_u32_e32 v4, v211, v4
	ds_write_b32 v216, v4 offset:528
.LBB812_452:                            ;   in Loop: Header=BB812_390 Depth=2
	s_or_b64 exec, exec, s[42:43]
	v_xor_b32_e32 v66, 0x80000000, v66
	v_lshrrev_b64 v[71:72], s88, v[65:66]
	v_and_b32_e32 v71, s99, v71
	v_mad_u32_u24 v4, v71, 20, v173
	; wave barrier
	ds_read_b32 v214, v4 offset:528
	v_and_b32_e32 v4, 1, v71
	v_add_co_u32_e32 v72, vcc, -1, v4
	v_addc_co_u32_e64 v215, s[42:43], 0, -1, vcc
	v_cmp_ne_u32_e32 vcc, 0, v4
	v_xor_b32_e32 v4, vcc_hi, v215
	v_and_b32_e32 v215, exec_hi, v4
	v_lshlrev_b32_e32 v4, 30, v71
	v_xor_b32_e32 v72, vcc_lo, v72
	v_cmp_gt_i64_e32 vcc, 0, v[3:4]
	v_not_b32_e32 v4, v4
	v_ashrrev_i32_e32 v4, 31, v4
	v_and_b32_e32 v72, exec_lo, v72
	v_xor_b32_e32 v218, vcc_hi, v4
	v_xor_b32_e32 v4, vcc_lo, v4
	v_and_b32_e32 v72, v72, v4
	v_lshlrev_b32_e32 v4, 29, v71
	v_cmp_gt_i64_e32 vcc, 0, v[3:4]
	v_not_b32_e32 v4, v4
	v_ashrrev_i32_e32 v4, 31, v4
	v_and_b32_e32 v215, v215, v218
	v_xor_b32_e32 v218, vcc_hi, v4
	v_xor_b32_e32 v4, vcc_lo, v4
	v_and_b32_e32 v72, v72, v4
	v_lshlrev_b32_e32 v4, 28, v71
	v_cmp_gt_i64_e32 vcc, 0, v[3:4]
	v_not_b32_e32 v4, v4
	v_ashrrev_i32_e32 v4, 31, v4
	v_and_b32_e32 v215, v215, v218
	;; [unrolled: 8-line block ×4, first 2 shown]
	v_xor_b32_e32 v218, vcc_hi, v4
	v_xor_b32_e32 v4, vcc_lo, v4
	v_and_b32_e32 v215, v215, v218
	v_and_b32_e32 v218, v72, v4
	v_lshlrev_b32_e32 v4, 25, v71
	v_cmp_gt_i64_e32 vcc, 0, v[3:4]
	v_not_b32_e32 v4, v4
	v_ashrrev_i32_e32 v4, 31, v4
	v_mul_u32_u24_e32 v217, 20, v71
	v_xor_b32_e32 v71, vcc_hi, v4
	v_xor_b32_e32 v4, vcc_lo, v4
	v_and_b32_e32 v72, v215, v71
	v_and_b32_e32 v71, v218, v4
	v_mbcnt_lo_u32_b32 v4, v71, 0
	v_mbcnt_hi_u32_b32 v215, v72, v4
	v_cmp_ne_u64_e32 vcc, 0, v[71:72]
	v_cmp_eq_u32_e64 s[42:43], 0, v215
	s_and_b64 s[44:45], vcc, s[42:43]
	v_add_u32_e32 v219, v173, v217
	; wave barrier
	s_and_saveexec_b64 s[42:43], s[44:45]
	s_cbranch_execz .LBB812_454
; %bb.453:                              ;   in Loop: Header=BB812_390 Depth=2
	v_bcnt_u32_b32 v4, v71, 0
	v_bcnt_u32_b32 v4, v72, v4
	s_waitcnt lgkmcnt(0)
	v_add_u32_e32 v4, v214, v4
	ds_write_b32 v219, v4 offset:528
.LBB812_454:                            ;   in Loop: Header=BB812_390 Depth=2
	s_or_b64 exec, exec, s[42:43]
	v_xor_b32_e32 v68, 0x80000000, v68
	v_lshrrev_b64 v[71:72], s88, v[67:68]
	v_and_b32_e32 v71, s99, v71
	v_mad_u32_u24 v4, v71, 20, v173
	; wave barrier
	ds_read_b32 v217, v4 offset:528
	v_and_b32_e32 v4, 1, v71
	v_add_co_u32_e32 v72, vcc, -1, v4
	v_addc_co_u32_e64 v218, s[42:43], 0, -1, vcc
	v_cmp_ne_u32_e32 vcc, 0, v4
	v_xor_b32_e32 v4, vcc_hi, v218
	v_and_b32_e32 v218, exec_hi, v4
	v_lshlrev_b32_e32 v4, 30, v71
	v_xor_b32_e32 v72, vcc_lo, v72
	v_cmp_gt_i64_e32 vcc, 0, v[3:4]
	v_not_b32_e32 v4, v4
	v_ashrrev_i32_e32 v4, 31, v4
	v_and_b32_e32 v72, exec_lo, v72
	v_xor_b32_e32 v221, vcc_hi, v4
	v_xor_b32_e32 v4, vcc_lo, v4
	v_and_b32_e32 v72, v72, v4
	v_lshlrev_b32_e32 v4, 29, v71
	v_cmp_gt_i64_e32 vcc, 0, v[3:4]
	v_not_b32_e32 v4, v4
	v_ashrrev_i32_e32 v4, 31, v4
	v_and_b32_e32 v218, v218, v221
	v_xor_b32_e32 v221, vcc_hi, v4
	v_xor_b32_e32 v4, vcc_lo, v4
	v_and_b32_e32 v72, v72, v4
	v_lshlrev_b32_e32 v4, 28, v71
	v_cmp_gt_i64_e32 vcc, 0, v[3:4]
	v_not_b32_e32 v4, v4
	v_ashrrev_i32_e32 v4, 31, v4
	v_and_b32_e32 v218, v218, v221
	;; [unrolled: 8-line block ×4, first 2 shown]
	v_xor_b32_e32 v221, vcc_hi, v4
	v_xor_b32_e32 v4, vcc_lo, v4
	v_and_b32_e32 v218, v218, v221
	v_and_b32_e32 v221, v72, v4
	v_lshlrev_b32_e32 v4, 25, v71
	v_cmp_gt_i64_e32 vcc, 0, v[3:4]
	v_not_b32_e32 v4, v4
	v_ashrrev_i32_e32 v4, 31, v4
	v_mul_u32_u24_e32 v220, 20, v71
	v_xor_b32_e32 v71, vcc_hi, v4
	v_xor_b32_e32 v4, vcc_lo, v4
	v_and_b32_e32 v72, v218, v71
	v_and_b32_e32 v71, v221, v4
	v_mbcnt_lo_u32_b32 v4, v71, 0
	v_mbcnt_hi_u32_b32 v218, v72, v4
	v_cmp_ne_u64_e32 vcc, 0, v[71:72]
	v_cmp_eq_u32_e64 s[42:43], 0, v218
	s_and_b64 s[44:45], vcc, s[42:43]
	v_add_u32_e32 v222, v173, v220
	; wave barrier
	s_and_saveexec_b64 s[42:43], s[44:45]
	s_cbranch_execz .LBB812_456
; %bb.455:                              ;   in Loop: Header=BB812_390 Depth=2
	v_bcnt_u32_b32 v4, v71, 0
	v_bcnt_u32_b32 v4, v72, v4
	s_waitcnt lgkmcnt(0)
	v_add_u32_e32 v4, v217, v4
	ds_write_b32 v222, v4 offset:528
.LBB812_456:                            ;   in Loop: Header=BB812_390 Depth=2
	s_or_b64 exec, exec, s[42:43]
	v_lshrrev_b64 v[71:72], s88, v[69:70]
	v_and_b32_e32 v71, s99, v71
	v_mad_u32_u24 v4, v71, 20, v173
	; wave barrier
	ds_read_b32 v220, v4 offset:528
	v_and_b32_e32 v4, 1, v71
	v_add_co_u32_e32 v72, vcc, -1, v4
	v_addc_co_u32_e64 v221, s[42:43], 0, -1, vcc
	v_cmp_ne_u32_e32 vcc, 0, v4
	v_xor_b32_e32 v4, vcc_hi, v221
	v_and_b32_e32 v221, exec_hi, v4
	v_lshlrev_b32_e32 v4, 30, v71
	v_xor_b32_e32 v72, vcc_lo, v72
	v_cmp_gt_i64_e32 vcc, 0, v[3:4]
	v_not_b32_e32 v4, v4
	v_ashrrev_i32_e32 v4, 31, v4
	v_and_b32_e32 v72, exec_lo, v72
	v_xor_b32_e32 v224, vcc_hi, v4
	v_xor_b32_e32 v4, vcc_lo, v4
	v_and_b32_e32 v72, v72, v4
	v_lshlrev_b32_e32 v4, 29, v71
	v_cmp_gt_i64_e32 vcc, 0, v[3:4]
	v_not_b32_e32 v4, v4
	v_ashrrev_i32_e32 v4, 31, v4
	v_and_b32_e32 v221, v221, v224
	v_xor_b32_e32 v224, vcc_hi, v4
	v_xor_b32_e32 v4, vcc_lo, v4
	v_and_b32_e32 v72, v72, v4
	v_lshlrev_b32_e32 v4, 28, v71
	v_cmp_gt_i64_e32 vcc, 0, v[3:4]
	v_not_b32_e32 v4, v4
	v_ashrrev_i32_e32 v4, 31, v4
	v_and_b32_e32 v221, v221, v224
	;; [unrolled: 8-line block ×4, first 2 shown]
	v_xor_b32_e32 v224, vcc_hi, v4
	v_xor_b32_e32 v4, vcc_lo, v4
	v_and_b32_e32 v221, v221, v224
	v_and_b32_e32 v224, v72, v4
	v_lshlrev_b32_e32 v4, 25, v71
	v_cmp_gt_i64_e32 vcc, 0, v[3:4]
	v_not_b32_e32 v4, v4
	v_ashrrev_i32_e32 v4, 31, v4
	v_mul_u32_u24_e32 v223, 20, v71
	v_xor_b32_e32 v71, vcc_hi, v4
	v_xor_b32_e32 v4, vcc_lo, v4
	v_and_b32_e32 v72, v221, v71
	v_and_b32_e32 v71, v224, v4
	v_mbcnt_lo_u32_b32 v4, v71, 0
	v_mbcnt_hi_u32_b32 v221, v72, v4
	v_cmp_ne_u64_e32 vcc, 0, v[71:72]
	v_cmp_eq_u32_e64 s[42:43], 0, v221
	s_and_b64 s[44:45], vcc, s[42:43]
	v_add_u32_e32 v4, v173, v223
	; wave barrier
	s_and_saveexec_b64 s[42:43], s[44:45]
	s_cbranch_execz .LBB812_458
; %bb.457:                              ;   in Loop: Header=BB812_390 Depth=2
	v_bcnt_u32_b32 v71, v71, 0
	v_bcnt_u32_b32 v71, v72, v71
	s_waitcnt lgkmcnt(0)
	v_add_u32_e32 v71, v220, v71
	ds_write_b32 v4, v71 offset:528
.LBB812_458:                            ;   in Loop: Header=BB812_390 Depth=2
	s_or_b64 exec, exec, s[42:43]
	; wave barrier
	s_waitcnt lgkmcnt(0)
	s_barrier
	ds_read2_b32 v[71:72], v92 offset0:132 offset1:133
	ds_read_b32 v223, v92 offset:536
	s_waitcnt lgkmcnt(0)
	v_add3_u32 v223, v72, v71, v223
	s_nop 1
	v_mov_b32_dpp v224, v223 row_shr:1 row_mask:0xf bank_mask:0xf
	v_cndmask_b32_e64 v224, v224, 0, s[22:23]
	v_add_u32_e32 v223, v224, v223
	s_nop 1
	v_mov_b32_dpp v224, v223 row_shr:2 row_mask:0xf bank_mask:0xf
	v_cndmask_b32_e64 v224, 0, v224, s[24:25]
	v_add_u32_e32 v223, v223, v224
	;; [unrolled: 4-line block ×4, first 2 shown]
	s_nop 1
	v_mov_b32_dpp v224, v223 row_bcast:15 row_mask:0xf bank_mask:0xf
	v_cndmask_b32_e64 v224, v224, 0, s[30:31]
	v_add_u32_e32 v223, v223, v224
	s_nop 1
	v_mov_b32_dpp v224, v223 row_bcast:31 row_mask:0xf bank_mask:0xf
	v_cndmask_b32_e64 v224, 0, v224, s[34:35]
	v_add_u32_e32 v223, v223, v224
	s_and_saveexec_b64 s[42:43], s[14:15]
; %bb.459:                              ;   in Loop: Header=BB812_390 Depth=2
	ds_write_b32 v94, v223 offset:512
; %bb.460:                              ;   in Loop: Header=BB812_390 Depth=2
	s_or_b64 exec, exec, s[42:43]
	s_waitcnt lgkmcnt(0)
	s_barrier
	s_and_saveexec_b64 s[42:43], s[16:17]
	s_cbranch_execz .LBB812_462
; %bb.461:                              ;   in Loop: Header=BB812_390 Depth=2
	ds_read_b32 v224, v99 offset:512
	s_waitcnt lgkmcnt(0)
	s_nop 0
	v_mov_b32_dpp v225, v224 row_shr:1 row_mask:0xf bank_mask:0xf
	v_cndmask_b32_e64 v225, v225, 0, s[38:39]
	v_add_u32_e32 v224, v225, v224
	s_nop 1
	v_mov_b32_dpp v225, v224 row_shr:2 row_mask:0xf bank_mask:0xf
	v_cndmask_b32_e64 v225, 0, v225, s[40:41]
	v_add_u32_e32 v224, v224, v225
	ds_write_b32 v99, v224 offset:512
.LBB812_462:                            ;   in Loop: Header=BB812_390 Depth=2
	s_or_b64 exec, exec, s[42:43]
	v_mov_b32_e32 v224, 0
	s_waitcnt lgkmcnt(0)
	s_barrier
	s_and_saveexec_b64 s[42:43], s[12:13]
; %bb.463:                              ;   in Loop: Header=BB812_390 Depth=2
	ds_read_b32 v224, v94 offset:508
; %bb.464:                              ;   in Loop: Header=BB812_390 Depth=2
	s_or_b64 exec, exec, s[42:43]
	s_waitcnt lgkmcnt(0)
	v_add_u32_e32 v223, v224, v223
	ds_bpermute_b32 v223, v136, v223
	s_waitcnt lgkmcnt(0)
	v_cndmask_b32_e64 v223, v223, v224, s[36:37]
	v_cndmask_b32_e64 v223, v223, 0, s[18:19]
	v_add_u32_e32 v71, v223, v71
	v_add_u32_e32 v72, v71, v72
	ds_write2_b32 v92, v223, v71 offset0:132 offset1:133
	ds_write_b32 v92, v72 offset:536
	s_waitcnt lgkmcnt(0)
	s_barrier
	ds_read_b32 v229, v179 offset:528
	ds_read_b32 v228, v182 offset:528
	;; [unrolled: 1-line block ×16, first 2 shown]
	s_and_saveexec_b64 s[42:43], s[4:5]
	s_cbranch_execz .LBB812_468
; %bb.465:                              ;   in Loop: Header=BB812_390 Depth=2
	ds_read_b32 v174, v101 offset:528
	v_mov_b32_e32 v4, 0x1000
	s_and_saveexec_b64 s[44:45], s[20:21]
; %bb.466:                              ;   in Loop: Header=BB812_390 Depth=2
	ds_read_b32 v4, v100 offset:528
; %bb.467:                              ;   in Loop: Header=BB812_390 Depth=2
	s_or_b64 exec, exec, s[44:45]
	s_waitcnt lgkmcnt(0)
	v_sub_u32_e32 v175, v4, v174
.LBB812_468:                            ;   in Loop: Header=BB812_390 Depth=2
	s_or_b64 exec, exec, s[42:43]
	s_waitcnt lgkmcnt(0)
	s_barrier
	s_and_saveexec_b64 s[42:43], s[4:5]
	s_cbranch_execz .LBB812_470
; %bb.469:                              ;   in Loop: Header=BB812_390 Depth=2
	ds_read_b32 v4, v73
	s_waitcnt lgkmcnt(0)
	v_sub_u32_e32 v4, v4, v174
	ds_write_b32 v73, v4
.LBB812_470:                            ;   in Loop: Header=BB812_390 Depth=2
	s_or_b64 exec, exec, s[42:43]
	v_lshlrev_b32_e32 v4, 3, v177
	v_lshl_add_u32 v4, v229, 3, v4
	ds_write_b64 v4, v[41:42] offset:512
	v_lshlrev_b32_e32 v41, 3, v180
	v_lshlrev_b32_e32 v42, 3, v178
	v_lshlrev_b32_e32 v177, 3, v228
	v_add3_u32 v41, v41, v42, v177
	ds_write_b64 v41, v[39:40] offset:512
	v_lshlrev_b32_e32 v39, 3, v183
	v_lshlrev_b32_e32 v40, 3, v181
	v_lshlrev_b32_e32 v42, 3, v227
	v_add3_u32 v42, v39, v40, v42
	;; [unrolled: 5-line block ×3, first 2 shown]
	v_lshlrev_b32_e32 v39, 3, v189
	v_lshlrev_b32_e32 v40, 3, v187
	v_lshlrev_b32_e32 v44, 3, v225
	ds_write_b64 v43, v[45:46] offset:512
	v_add3_u32 v44, v39, v40, v44
	v_lshlrev_b32_e32 v39, 3, v192
	v_lshlrev_b32_e32 v40, 3, v190
	v_lshlrev_b32_e32 v45, 3, v224
	v_add3_u32 v45, v39, v40, v45
	v_lshlrev_b32_e32 v39, 3, v195
	v_lshlrev_b32_e32 v40, 3, v193
	v_lshlrev_b32_e32 v46, 3, v223
	ds_write_b64 v44, v[47:48] offset:512
	v_add3_u32 v46, v39, v40, v46
	v_lshlrev_b32_e32 v39, 3, v198
	v_lshlrev_b32_e32 v40, 3, v196
	v_lshlrev_b32_e32 v47, 3, v197
	v_add3_u32 v47, v39, v40, v47
	;; [unrolled: 9-line block ×6, first 2 shown]
	v_cmp_lt_u32_e64 s[42:43], v0, v176
	ds_write_b64 v49, v[57:58] offset:512
	ds_write_b64 v50, v[59:60] offset:512
	;; [unrolled: 1-line block ×7, first 2 shown]
	s_waitcnt lgkmcnt(0)
	s_barrier
	s_and_saveexec_b64 s[44:45], s[42:43]
	s_cbranch_execnz .LBB812_539
; %bb.471:                              ;   in Loop: Header=BB812_390 Depth=2
	s_or_b64 exec, exec, s[44:45]
	v_cmp_lt_u32_e64 s[44:45], v74, v176
	s_and_saveexec_b64 s[46:47], s[44:45]
	s_cbranch_execnz .LBB812_540
.LBB812_472:                            ;   in Loop: Header=BB812_390 Depth=2
	s_or_b64 exec, exec, s[46:47]
	v_cmp_lt_u32_e64 s[46:47], v77, v176
	s_and_saveexec_b64 s[48:49], s[46:47]
	s_cbranch_execnz .LBB812_541
.LBB812_473:                            ;   in Loop: Header=BB812_390 Depth=2
	s_or_b64 exec, exec, s[48:49]
	v_cmp_lt_u32_e64 s[48:49], v78, v176
	s_and_saveexec_b64 s[50:51], s[48:49]
	s_cbranch_execnz .LBB812_542
.LBB812_474:                            ;   in Loop: Header=BB812_390 Depth=2
	s_or_b64 exec, exec, s[50:51]
	v_cmp_lt_u32_e64 s[50:51], v79, v176
	s_and_saveexec_b64 s[52:53], s[50:51]
	s_cbranch_execnz .LBB812_543
.LBB812_475:                            ;   in Loop: Header=BB812_390 Depth=2
	s_or_b64 exec, exec, s[52:53]
	v_cmp_lt_u32_e64 s[52:53], v80, v176
	s_and_saveexec_b64 s[54:55], s[52:53]
	s_cbranch_execnz .LBB812_544
.LBB812_476:                            ;   in Loop: Header=BB812_390 Depth=2
	s_or_b64 exec, exec, s[54:55]
	v_cmp_lt_u32_e64 s[54:55], v81, v176
	s_and_saveexec_b64 s[56:57], s[54:55]
	s_cbranch_execnz .LBB812_545
.LBB812_477:                            ;   in Loop: Header=BB812_390 Depth=2
	s_or_b64 exec, exec, s[56:57]
	v_cmp_lt_u32_e64 s[56:57], v82, v176
	s_and_saveexec_b64 s[58:59], s[56:57]
	s_cbranch_execnz .LBB812_546
.LBB812_478:                            ;   in Loop: Header=BB812_390 Depth=2
	s_or_b64 exec, exec, s[58:59]
	v_cmp_lt_u32_e64 s[58:59], v83, v176
	s_and_saveexec_b64 s[60:61], s[58:59]
	s_cbranch_execnz .LBB812_547
.LBB812_479:                            ;   in Loop: Header=BB812_390 Depth=2
	s_or_b64 exec, exec, s[60:61]
	v_cmp_lt_u32_e64 s[60:61], v84, v176
	s_and_saveexec_b64 s[62:63], s[60:61]
	s_cbranch_execnz .LBB812_548
.LBB812_480:                            ;   in Loop: Header=BB812_390 Depth=2
	s_or_b64 exec, exec, s[62:63]
	v_cmp_lt_u32_e64 s[62:63], v85, v176
	s_and_saveexec_b64 s[64:65], s[62:63]
	s_cbranch_execnz .LBB812_549
.LBB812_481:                            ;   in Loop: Header=BB812_390 Depth=2
	s_or_b64 exec, exec, s[64:65]
	v_cmp_lt_u32_e64 s[64:65], v86, v176
	s_and_saveexec_b64 s[66:67], s[64:65]
	s_cbranch_execnz .LBB812_550
.LBB812_482:                            ;   in Loop: Header=BB812_390 Depth=2
	s_or_b64 exec, exec, s[66:67]
	v_cmp_lt_u32_e64 s[66:67], v87, v176
	s_and_saveexec_b64 s[68:69], s[66:67]
	s_cbranch_execnz .LBB812_551
.LBB812_483:                            ;   in Loop: Header=BB812_390 Depth=2
	s_or_b64 exec, exec, s[68:69]
	v_cmp_lt_u32_e64 s[68:69], v88, v176
	s_and_saveexec_b64 s[70:71], s[68:69]
	s_cbranch_execnz .LBB812_552
.LBB812_484:                            ;   in Loop: Header=BB812_390 Depth=2
	s_or_b64 exec, exec, s[70:71]
	v_cmp_lt_u32_e64 s[70:71], v89, v176
	s_and_saveexec_b64 s[72:73], s[70:71]
	s_cbranch_execnz .LBB812_553
.LBB812_485:                            ;   in Loop: Header=BB812_390 Depth=2
	s_or_b64 exec, exec, s[72:73]
	v_cmp_lt_u32_e64 s[72:73], v90, v176
	s_and_saveexec_b64 s[82:83], s[72:73]
	s_cbranch_execz .LBB812_487
.LBB812_486:                            ;   in Loop: Header=BB812_390 Depth=2
	ds_read_b64 v[39:40], v106 offset:31232
	v_mov_b32_e32 v58, s81
	s_waitcnt lgkmcnt(0)
	v_lshrrev_b64 v[56:57], s88, v[39:40]
	v_mov_b32_e32 v57, v3
	v_and_b32_e32 v56, s99, v56
	v_lshlrev_b32_e32 v56, 2, v56
	ds_read_b32 v56, v56
	v_xor_b32_e32 v40, 0x80000000, v40
	s_waitcnt lgkmcnt(0)
	v_add_u32_e32 v56, v56, v90
	v_lshlrev_b64 v[56:57], 3, v[56:57]
	v_add_co_u32_e32 v56, vcc, s80, v56
	v_addc_co_u32_e32 v57, vcc, v58, v57, vcc
	global_store_dwordx2 v[56:57], v[39:40], off
.LBB812_487:                            ;   in Loop: Header=BB812_390 Depth=2
	s_or_b64 exec, exec, s[82:83]
	s_lshl_b64 s[82:83], s[92:93], 3
	v_mov_b32_e32 v40, s83
	v_add_co_u32_e32 v39, vcc, s82, v154
	v_addc_co_u32_e32 v40, vcc, v155, v40, vcc
	v_cmp_lt_u32_e32 vcc, v153, v176
	s_and_saveexec_b64 s[82:83], vcc
	s_xor_b64 s[82:83], exec, s[82:83]
	s_cbranch_execnz .LBB812_554
; %bb.488:                              ;   in Loop: Header=BB812_390 Depth=2
	s_or_b64 exec, exec, s[82:83]
	v_cmp_lt_u32_e32 vcc, v156, v176
	s_and_saveexec_b64 s[82:83], vcc
	s_cbranch_execnz .LBB812_555
.LBB812_489:                            ;   in Loop: Header=BB812_390 Depth=2
	s_or_b64 exec, exec, s[82:83]
	v_cmp_lt_u32_e32 vcc, v157, v176
	s_and_saveexec_b64 s[82:83], vcc
	s_cbranch_execnz .LBB812_556
.LBB812_490:                            ;   in Loop: Header=BB812_390 Depth=2
	s_or_b64 exec, exec, s[82:83]
	v_cmp_lt_u32_e32 vcc, v158, v176
	s_and_saveexec_b64 s[82:83], vcc
	s_cbranch_execnz .LBB812_557
.LBB812_491:                            ;   in Loop: Header=BB812_390 Depth=2
	s_or_b64 exec, exec, s[82:83]
	v_cmp_lt_u32_e32 vcc, v159, v176
	s_and_saveexec_b64 s[82:83], vcc
	s_cbranch_execnz .LBB812_558
.LBB812_492:                            ;   in Loop: Header=BB812_390 Depth=2
	s_or_b64 exec, exec, s[82:83]
	v_cmp_lt_u32_e32 vcc, v160, v176
	s_and_saveexec_b64 s[82:83], vcc
	s_cbranch_execnz .LBB812_559
.LBB812_493:                            ;   in Loop: Header=BB812_390 Depth=2
	s_or_b64 exec, exec, s[82:83]
	v_cmp_lt_u32_e32 vcc, v161, v176
	s_and_saveexec_b64 s[82:83], vcc
	s_cbranch_execnz .LBB812_560
.LBB812_494:                            ;   in Loop: Header=BB812_390 Depth=2
	s_or_b64 exec, exec, s[82:83]
	v_cmp_lt_u32_e32 vcc, v162, v176
	s_and_saveexec_b64 s[82:83], vcc
	s_cbranch_execnz .LBB812_561
.LBB812_495:                            ;   in Loop: Header=BB812_390 Depth=2
	s_or_b64 exec, exec, s[82:83]
	v_cmp_lt_u32_e32 vcc, v163, v176
	s_and_saveexec_b64 s[82:83], vcc
	s_cbranch_execnz .LBB812_562
.LBB812_496:                            ;   in Loop: Header=BB812_390 Depth=2
	s_or_b64 exec, exec, s[82:83]
	v_cmp_lt_u32_e32 vcc, v164, v176
	s_and_saveexec_b64 s[82:83], vcc
	s_cbranch_execnz .LBB812_563
.LBB812_497:                            ;   in Loop: Header=BB812_390 Depth=2
	s_or_b64 exec, exec, s[82:83]
	v_cmp_lt_u32_e32 vcc, v165, v176
	s_and_saveexec_b64 s[82:83], vcc
	s_cbranch_execnz .LBB812_564
.LBB812_498:                            ;   in Loop: Header=BB812_390 Depth=2
	s_or_b64 exec, exec, s[82:83]
	v_cmp_lt_u32_e32 vcc, v166, v176
	s_and_saveexec_b64 s[82:83], vcc
	s_cbranch_execnz .LBB812_565
.LBB812_499:                            ;   in Loop: Header=BB812_390 Depth=2
	s_or_b64 exec, exec, s[82:83]
	v_cmp_lt_u32_e32 vcc, v167, v176
	s_and_saveexec_b64 s[82:83], vcc
	s_cbranch_execnz .LBB812_566
.LBB812_500:                            ;   in Loop: Header=BB812_390 Depth=2
	s_or_b64 exec, exec, s[82:83]
	v_cmp_lt_u32_e32 vcc, v168, v176
	s_and_saveexec_b64 s[82:83], vcc
	s_cbranch_execnz .LBB812_567
.LBB812_501:                            ;   in Loop: Header=BB812_390 Depth=2
	s_or_b64 exec, exec, s[82:83]
	v_cmp_lt_u32_e32 vcc, v169, v176
	s_and_saveexec_b64 s[82:83], vcc
	s_cbranch_execnz .LBB812_568
.LBB812_502:                            ;   in Loop: Header=BB812_390 Depth=2
	s_or_b64 exec, exec, s[82:83]
	v_cmp_lt_u32_e32 vcc, v170, v176
	s_and_saveexec_b64 s[82:83], vcc
	s_cbranch_execnz .LBB812_569
.LBB812_503:                            ;   in Loop: Header=BB812_390 Depth=2
	s_or_b64 exec, exec, s[82:83]
	s_and_saveexec_b64 s[82:83], s[42:43]
	s_cbranch_execnz .LBB812_570
.LBB812_504:                            ;   in Loop: Header=BB812_390 Depth=2
	s_or_b64 exec, exec, s[82:83]
	s_and_saveexec_b64 s[82:83], s[44:45]
	s_cbranch_execnz .LBB812_571
.LBB812_505:                            ;   in Loop: Header=BB812_390 Depth=2
	s_or_b64 exec, exec, s[82:83]
	s_and_saveexec_b64 s[82:83], s[46:47]
	s_cbranch_execnz .LBB812_572
.LBB812_506:                            ;   in Loop: Header=BB812_390 Depth=2
	s_or_b64 exec, exec, s[82:83]
	s_and_saveexec_b64 s[82:83], s[48:49]
	s_cbranch_execnz .LBB812_573
.LBB812_507:                            ;   in Loop: Header=BB812_390 Depth=2
	s_or_b64 exec, exec, s[82:83]
	s_and_saveexec_b64 s[82:83], s[50:51]
	s_cbranch_execnz .LBB812_574
.LBB812_508:                            ;   in Loop: Header=BB812_390 Depth=2
	s_or_b64 exec, exec, s[82:83]
	s_and_saveexec_b64 s[82:83], s[52:53]
	s_cbranch_execnz .LBB812_575
.LBB812_509:                            ;   in Loop: Header=BB812_390 Depth=2
	s_or_b64 exec, exec, s[82:83]
	s_and_saveexec_b64 s[82:83], s[54:55]
	s_cbranch_execnz .LBB812_576
.LBB812_510:                            ;   in Loop: Header=BB812_390 Depth=2
	s_or_b64 exec, exec, s[82:83]
	s_and_saveexec_b64 s[82:83], s[56:57]
	s_cbranch_execnz .LBB812_577
.LBB812_511:                            ;   in Loop: Header=BB812_390 Depth=2
	s_or_b64 exec, exec, s[82:83]
	s_and_saveexec_b64 s[82:83], s[58:59]
	s_cbranch_execnz .LBB812_578
.LBB812_512:                            ;   in Loop: Header=BB812_390 Depth=2
	s_or_b64 exec, exec, s[82:83]
	s_and_saveexec_b64 s[82:83], s[60:61]
	s_cbranch_execnz .LBB812_579
.LBB812_513:                            ;   in Loop: Header=BB812_390 Depth=2
	s_or_b64 exec, exec, s[82:83]
	s_and_saveexec_b64 s[82:83], s[62:63]
	s_cbranch_execnz .LBB812_580
.LBB812_514:                            ;   in Loop: Header=BB812_390 Depth=2
	s_or_b64 exec, exec, s[82:83]
	s_and_saveexec_b64 s[82:83], s[64:65]
	s_cbranch_execnz .LBB812_581
.LBB812_515:                            ;   in Loop: Header=BB812_390 Depth=2
	s_or_b64 exec, exec, s[82:83]
	s_and_saveexec_b64 s[82:83], s[66:67]
	s_cbranch_execnz .LBB812_582
.LBB812_516:                            ;   in Loop: Header=BB812_390 Depth=2
	s_or_b64 exec, exec, s[82:83]
	s_and_saveexec_b64 s[82:83], s[68:69]
	s_cbranch_execnz .LBB812_583
.LBB812_517:                            ;   in Loop: Header=BB812_390 Depth=2
	s_or_b64 exec, exec, s[82:83]
	s_and_saveexec_b64 s[82:83], s[70:71]
	s_cbranch_execnz .LBB812_584
.LBB812_518:                            ;   in Loop: Header=BB812_390 Depth=2
	s_or_b64 exec, exec, s[82:83]
	s_and_saveexec_b64 s[82:83], s[72:73]
	s_cbranch_execz .LBB812_520
.LBB812_519:                            ;   in Loop: Header=BB812_390 Depth=2
	ds_read_b64 v[39:40], v106 offset:31232
	s_waitcnt lgkmcnt(0)
	v_lshrrev_b64 v[39:40], s88, v[39:40]
	v_and_b32_e32 v137, s99, v39
.LBB812_520:                            ;   in Loop: Header=BB812_390 Depth=2
	s_or_b64 exec, exec, s[82:83]
	s_waitcnt vmcnt(0)
	s_barrier
	ds_write_b64 v4, v[37:38] offset:512
	ds_write_b64 v41, v[35:36] offset:512
	ds_write_b64 v42, v[33:34] offset:512
	ds_write_b64 v43, v[29:30] offset:512
	ds_write_b64 v44, v[25:26] offset:512
	ds_write_b64 v45, v[21:22] offset:512
	ds_write_b64 v46, v[17:18] offset:512
	ds_write_b64 v47, v[13:14] offset:512
	ds_write_b64 v48, v[31:32] offset:512
	ds_write_b64 v49, v[27:28] offset:512
	ds_write_b64 v50, v[23:24] offset:512
	ds_write_b64 v51, v[19:20] offset:512
	ds_write_b64 v52, v[15:16] offset:512
	ds_write_b64 v53, v[11:12] offset:512
	ds_write_b64 v54, v[9:10] offset:512
	ds_write_b64 v55, v[7:8] offset:512
	s_waitcnt lgkmcnt(0)
	s_barrier
	s_and_saveexec_b64 s[82:83], s[42:43]
	s_cbranch_execnz .LBB812_585
; %bb.521:                              ;   in Loop: Header=BB812_390 Depth=2
	s_or_b64 exec, exec, s[82:83]
	s_and_saveexec_b64 s[42:43], s[44:45]
	s_cbranch_execnz .LBB812_586
.LBB812_522:                            ;   in Loop: Header=BB812_390 Depth=2
	s_or_b64 exec, exec, s[42:43]
	s_and_saveexec_b64 s[42:43], s[46:47]
	s_cbranch_execnz .LBB812_587
.LBB812_523:                            ;   in Loop: Header=BB812_390 Depth=2
	s_or_b64 exec, exec, s[42:43]
	s_and_saveexec_b64 s[42:43], s[48:49]
	s_cbranch_execnz .LBB812_588
.LBB812_524:                            ;   in Loop: Header=BB812_390 Depth=2
	s_or_b64 exec, exec, s[42:43]
	s_and_saveexec_b64 s[42:43], s[50:51]
	s_cbranch_execnz .LBB812_589
.LBB812_525:                            ;   in Loop: Header=BB812_390 Depth=2
	s_or_b64 exec, exec, s[42:43]
	s_and_saveexec_b64 s[42:43], s[52:53]
	s_cbranch_execnz .LBB812_590
.LBB812_526:                            ;   in Loop: Header=BB812_390 Depth=2
	s_or_b64 exec, exec, s[42:43]
	s_and_saveexec_b64 s[42:43], s[54:55]
	s_cbranch_execnz .LBB812_591
.LBB812_527:                            ;   in Loop: Header=BB812_390 Depth=2
	s_or_b64 exec, exec, s[42:43]
	s_and_saveexec_b64 s[42:43], s[56:57]
	s_cbranch_execnz .LBB812_592
.LBB812_528:                            ;   in Loop: Header=BB812_390 Depth=2
	s_or_b64 exec, exec, s[42:43]
	s_and_saveexec_b64 s[42:43], s[58:59]
	s_cbranch_execnz .LBB812_593
.LBB812_529:                            ;   in Loop: Header=BB812_390 Depth=2
	s_or_b64 exec, exec, s[42:43]
	s_and_saveexec_b64 s[42:43], s[60:61]
	s_cbranch_execnz .LBB812_594
.LBB812_530:                            ;   in Loop: Header=BB812_390 Depth=2
	s_or_b64 exec, exec, s[42:43]
	s_and_saveexec_b64 s[42:43], s[62:63]
	s_cbranch_execnz .LBB812_595
.LBB812_531:                            ;   in Loop: Header=BB812_390 Depth=2
	s_or_b64 exec, exec, s[42:43]
	s_and_saveexec_b64 s[42:43], s[64:65]
	s_cbranch_execnz .LBB812_596
.LBB812_532:                            ;   in Loop: Header=BB812_390 Depth=2
	s_or_b64 exec, exec, s[42:43]
	s_and_saveexec_b64 s[42:43], s[66:67]
	s_cbranch_execnz .LBB812_597
.LBB812_533:                            ;   in Loop: Header=BB812_390 Depth=2
	s_or_b64 exec, exec, s[42:43]
	s_and_saveexec_b64 s[42:43], s[68:69]
	s_cbranch_execnz .LBB812_598
.LBB812_534:                            ;   in Loop: Header=BB812_390 Depth=2
	s_or_b64 exec, exec, s[42:43]
	s_and_saveexec_b64 s[42:43], s[70:71]
	s_cbranch_execnz .LBB812_599
.LBB812_535:                            ;   in Loop: Header=BB812_390 Depth=2
	s_or_b64 exec, exec, s[42:43]
	s_and_saveexec_b64 s[42:43], s[72:73]
	s_cbranch_execz .LBB812_537
.LBB812_536:                            ;   in Loop: Header=BB812_390 Depth=2
	v_lshlrev_b32_e32 v4, 2, v137
	ds_read_b32 v4, v4
	ds_read_b64 v[39:40], v106 offset:31232
	v_mov_b32_e32 v42, v3
	v_mov_b32_e32 v43, s87
	s_waitcnt lgkmcnt(1)
	v_add_u32_e32 v41, v4, v90
	v_lshlrev_b64 v[41:42], 3, v[41:42]
	v_add_co_u32_e32 v41, vcc, s86, v41
	v_addc_co_u32_e32 v42, vcc, v43, v42, vcc
	s_waitcnt lgkmcnt(0)
	global_store_dwordx2 v[41:42], v[39:40], off
.LBB812_537:                            ;   in Loop: Header=BB812_390 Depth=2
	s_or_b64 exec, exec, s[42:43]
	s_waitcnt vmcnt(0)
	s_barrier
	s_and_saveexec_b64 s[42:43], s[4:5]
	s_cbranch_execz .LBB812_389
; %bb.538:                              ;   in Loop: Header=BB812_390 Depth=2
	ds_read_b32 v4, v73
	s_waitcnt lgkmcnt(0)
	v_add3_u32 v4, v174, v175, v4
	ds_write_b32 v73, v4
	s_branch .LBB812_389
.LBB812_539:                            ;   in Loop: Header=BB812_390 Depth=2
	ds_read_b64 v[39:40], v106 offset:512
	v_mov_b32_e32 v58, s81
	s_waitcnt lgkmcnt(0)
	v_lshrrev_b64 v[56:57], s88, v[39:40]
	v_mov_b32_e32 v57, v3
	v_and_b32_e32 v56, s99, v56
	v_lshlrev_b32_e32 v56, 2, v56
	ds_read_b32 v56, v56
	v_xor_b32_e32 v40, 0x80000000, v40
	s_waitcnt lgkmcnt(0)
	v_add_u32_e32 v56, v56, v0
	v_lshlrev_b64 v[56:57], 3, v[56:57]
	v_add_co_u32_e32 v56, vcc, s80, v56
	v_addc_co_u32_e32 v57, vcc, v58, v57, vcc
	global_store_dwordx2 v[56:57], v[39:40], off
	s_or_b64 exec, exec, s[44:45]
	v_cmp_lt_u32_e64 s[44:45], v74, v176
	s_and_saveexec_b64 s[46:47], s[44:45]
	s_cbranch_execz .LBB812_472
.LBB812_540:                            ;   in Loop: Header=BB812_390 Depth=2
	ds_read_b64 v[39:40], v106 offset:2560
	v_mov_b32_e32 v58, s81
	s_waitcnt lgkmcnt(0)
	v_lshrrev_b64 v[56:57], s88, v[39:40]
	v_mov_b32_e32 v57, v3
	v_and_b32_e32 v56, s99, v56
	v_lshlrev_b32_e32 v56, 2, v56
	ds_read_b32 v56, v56
	v_xor_b32_e32 v40, 0x80000000, v40
	s_waitcnt lgkmcnt(0)
	v_add_u32_e32 v56, v56, v74
	v_lshlrev_b64 v[56:57], 3, v[56:57]
	v_add_co_u32_e32 v56, vcc, s80, v56
	v_addc_co_u32_e32 v57, vcc, v58, v57, vcc
	global_store_dwordx2 v[56:57], v[39:40], off
	s_or_b64 exec, exec, s[46:47]
	v_cmp_lt_u32_e64 s[46:47], v77, v176
	s_and_saveexec_b64 s[48:49], s[46:47]
	s_cbranch_execz .LBB812_473
.LBB812_541:                            ;   in Loop: Header=BB812_390 Depth=2
	ds_read_b64 v[39:40], v106 offset:4608
	v_mov_b32_e32 v58, s81
	s_waitcnt lgkmcnt(0)
	v_lshrrev_b64 v[56:57], s88, v[39:40]
	v_mov_b32_e32 v57, v3
	v_and_b32_e32 v56, s99, v56
	v_lshlrev_b32_e32 v56, 2, v56
	ds_read_b32 v56, v56
	v_xor_b32_e32 v40, 0x80000000, v40
	s_waitcnt lgkmcnt(0)
	v_add_u32_e32 v56, v56, v77
	v_lshlrev_b64 v[56:57], 3, v[56:57]
	v_add_co_u32_e32 v56, vcc, s80, v56
	v_addc_co_u32_e32 v57, vcc, v58, v57, vcc
	global_store_dwordx2 v[56:57], v[39:40], off
	s_or_b64 exec, exec, s[48:49]
	v_cmp_lt_u32_e64 s[48:49], v78, v176
	s_and_saveexec_b64 s[50:51], s[48:49]
	s_cbranch_execz .LBB812_474
.LBB812_542:                            ;   in Loop: Header=BB812_390 Depth=2
	ds_read_b64 v[39:40], v106 offset:6656
	v_mov_b32_e32 v58, s81
	s_waitcnt lgkmcnt(0)
	v_lshrrev_b64 v[56:57], s88, v[39:40]
	v_mov_b32_e32 v57, v3
	v_and_b32_e32 v56, s99, v56
	v_lshlrev_b32_e32 v56, 2, v56
	ds_read_b32 v56, v56
	v_xor_b32_e32 v40, 0x80000000, v40
	s_waitcnt lgkmcnt(0)
	v_add_u32_e32 v56, v56, v78
	v_lshlrev_b64 v[56:57], 3, v[56:57]
	v_add_co_u32_e32 v56, vcc, s80, v56
	v_addc_co_u32_e32 v57, vcc, v58, v57, vcc
	global_store_dwordx2 v[56:57], v[39:40], off
	s_or_b64 exec, exec, s[50:51]
	v_cmp_lt_u32_e64 s[50:51], v79, v176
	s_and_saveexec_b64 s[52:53], s[50:51]
	s_cbranch_execz .LBB812_475
.LBB812_543:                            ;   in Loop: Header=BB812_390 Depth=2
	ds_read_b64 v[39:40], v106 offset:8704
	v_mov_b32_e32 v58, s81
	s_waitcnt lgkmcnt(0)
	v_lshrrev_b64 v[56:57], s88, v[39:40]
	v_mov_b32_e32 v57, v3
	v_and_b32_e32 v56, s99, v56
	v_lshlrev_b32_e32 v56, 2, v56
	ds_read_b32 v56, v56
	v_xor_b32_e32 v40, 0x80000000, v40
	s_waitcnt lgkmcnt(0)
	v_add_u32_e32 v56, v56, v79
	v_lshlrev_b64 v[56:57], 3, v[56:57]
	v_add_co_u32_e32 v56, vcc, s80, v56
	v_addc_co_u32_e32 v57, vcc, v58, v57, vcc
	global_store_dwordx2 v[56:57], v[39:40], off
	s_or_b64 exec, exec, s[52:53]
	v_cmp_lt_u32_e64 s[52:53], v80, v176
	s_and_saveexec_b64 s[54:55], s[52:53]
	s_cbranch_execz .LBB812_476
.LBB812_544:                            ;   in Loop: Header=BB812_390 Depth=2
	ds_read_b64 v[39:40], v106 offset:10752
	v_mov_b32_e32 v58, s81
	s_waitcnt lgkmcnt(0)
	v_lshrrev_b64 v[56:57], s88, v[39:40]
	v_mov_b32_e32 v57, v3
	v_and_b32_e32 v56, s99, v56
	v_lshlrev_b32_e32 v56, 2, v56
	ds_read_b32 v56, v56
	v_xor_b32_e32 v40, 0x80000000, v40
	s_waitcnt lgkmcnt(0)
	v_add_u32_e32 v56, v56, v80
	v_lshlrev_b64 v[56:57], 3, v[56:57]
	v_add_co_u32_e32 v56, vcc, s80, v56
	v_addc_co_u32_e32 v57, vcc, v58, v57, vcc
	global_store_dwordx2 v[56:57], v[39:40], off
	s_or_b64 exec, exec, s[54:55]
	v_cmp_lt_u32_e64 s[54:55], v81, v176
	s_and_saveexec_b64 s[56:57], s[54:55]
	s_cbranch_execz .LBB812_477
.LBB812_545:                            ;   in Loop: Header=BB812_390 Depth=2
	ds_read_b64 v[39:40], v106 offset:12800
	v_mov_b32_e32 v58, s81
	s_waitcnt lgkmcnt(0)
	v_lshrrev_b64 v[56:57], s88, v[39:40]
	v_mov_b32_e32 v57, v3
	v_and_b32_e32 v56, s99, v56
	v_lshlrev_b32_e32 v56, 2, v56
	ds_read_b32 v56, v56
	v_xor_b32_e32 v40, 0x80000000, v40
	s_waitcnt lgkmcnt(0)
	v_add_u32_e32 v56, v56, v81
	v_lshlrev_b64 v[56:57], 3, v[56:57]
	v_add_co_u32_e32 v56, vcc, s80, v56
	v_addc_co_u32_e32 v57, vcc, v58, v57, vcc
	global_store_dwordx2 v[56:57], v[39:40], off
	s_or_b64 exec, exec, s[56:57]
	v_cmp_lt_u32_e64 s[56:57], v82, v176
	s_and_saveexec_b64 s[58:59], s[56:57]
	s_cbranch_execz .LBB812_478
.LBB812_546:                            ;   in Loop: Header=BB812_390 Depth=2
	ds_read_b64 v[39:40], v106 offset:14848
	v_mov_b32_e32 v58, s81
	s_waitcnt lgkmcnt(0)
	v_lshrrev_b64 v[56:57], s88, v[39:40]
	v_mov_b32_e32 v57, v3
	v_and_b32_e32 v56, s99, v56
	v_lshlrev_b32_e32 v56, 2, v56
	ds_read_b32 v56, v56
	v_xor_b32_e32 v40, 0x80000000, v40
	s_waitcnt lgkmcnt(0)
	v_add_u32_e32 v56, v56, v82
	v_lshlrev_b64 v[56:57], 3, v[56:57]
	v_add_co_u32_e32 v56, vcc, s80, v56
	v_addc_co_u32_e32 v57, vcc, v58, v57, vcc
	global_store_dwordx2 v[56:57], v[39:40], off
	s_or_b64 exec, exec, s[58:59]
	v_cmp_lt_u32_e64 s[58:59], v83, v176
	s_and_saveexec_b64 s[60:61], s[58:59]
	s_cbranch_execz .LBB812_479
.LBB812_547:                            ;   in Loop: Header=BB812_390 Depth=2
	ds_read_b64 v[39:40], v106 offset:16896
	v_mov_b32_e32 v58, s81
	s_waitcnt lgkmcnt(0)
	v_lshrrev_b64 v[56:57], s88, v[39:40]
	v_mov_b32_e32 v57, v3
	v_and_b32_e32 v56, s99, v56
	v_lshlrev_b32_e32 v56, 2, v56
	ds_read_b32 v56, v56
	v_xor_b32_e32 v40, 0x80000000, v40
	s_waitcnt lgkmcnt(0)
	v_add_u32_e32 v56, v56, v83
	v_lshlrev_b64 v[56:57], 3, v[56:57]
	v_add_co_u32_e32 v56, vcc, s80, v56
	v_addc_co_u32_e32 v57, vcc, v58, v57, vcc
	global_store_dwordx2 v[56:57], v[39:40], off
	s_or_b64 exec, exec, s[60:61]
	v_cmp_lt_u32_e64 s[60:61], v84, v176
	s_and_saveexec_b64 s[62:63], s[60:61]
	s_cbranch_execz .LBB812_480
.LBB812_548:                            ;   in Loop: Header=BB812_390 Depth=2
	ds_read_b64 v[39:40], v106 offset:18944
	v_mov_b32_e32 v58, s81
	s_waitcnt lgkmcnt(0)
	v_lshrrev_b64 v[56:57], s88, v[39:40]
	v_mov_b32_e32 v57, v3
	v_and_b32_e32 v56, s99, v56
	v_lshlrev_b32_e32 v56, 2, v56
	ds_read_b32 v56, v56
	v_xor_b32_e32 v40, 0x80000000, v40
	s_waitcnt lgkmcnt(0)
	v_add_u32_e32 v56, v56, v84
	v_lshlrev_b64 v[56:57], 3, v[56:57]
	v_add_co_u32_e32 v56, vcc, s80, v56
	v_addc_co_u32_e32 v57, vcc, v58, v57, vcc
	global_store_dwordx2 v[56:57], v[39:40], off
	s_or_b64 exec, exec, s[62:63]
	v_cmp_lt_u32_e64 s[62:63], v85, v176
	s_and_saveexec_b64 s[64:65], s[62:63]
	s_cbranch_execz .LBB812_481
.LBB812_549:                            ;   in Loop: Header=BB812_390 Depth=2
	ds_read_b64 v[39:40], v106 offset:20992
	v_mov_b32_e32 v58, s81
	s_waitcnt lgkmcnt(0)
	v_lshrrev_b64 v[56:57], s88, v[39:40]
	v_mov_b32_e32 v57, v3
	v_and_b32_e32 v56, s99, v56
	v_lshlrev_b32_e32 v56, 2, v56
	ds_read_b32 v56, v56
	v_xor_b32_e32 v40, 0x80000000, v40
	s_waitcnt lgkmcnt(0)
	v_add_u32_e32 v56, v56, v85
	v_lshlrev_b64 v[56:57], 3, v[56:57]
	v_add_co_u32_e32 v56, vcc, s80, v56
	v_addc_co_u32_e32 v57, vcc, v58, v57, vcc
	global_store_dwordx2 v[56:57], v[39:40], off
	s_or_b64 exec, exec, s[64:65]
	v_cmp_lt_u32_e64 s[64:65], v86, v176
	s_and_saveexec_b64 s[66:67], s[64:65]
	s_cbranch_execz .LBB812_482
.LBB812_550:                            ;   in Loop: Header=BB812_390 Depth=2
	ds_read_b64 v[39:40], v106 offset:23040
	v_mov_b32_e32 v58, s81
	s_waitcnt lgkmcnt(0)
	v_lshrrev_b64 v[56:57], s88, v[39:40]
	v_mov_b32_e32 v57, v3
	v_and_b32_e32 v56, s99, v56
	v_lshlrev_b32_e32 v56, 2, v56
	ds_read_b32 v56, v56
	v_xor_b32_e32 v40, 0x80000000, v40
	s_waitcnt lgkmcnt(0)
	v_add_u32_e32 v56, v56, v86
	v_lshlrev_b64 v[56:57], 3, v[56:57]
	v_add_co_u32_e32 v56, vcc, s80, v56
	v_addc_co_u32_e32 v57, vcc, v58, v57, vcc
	global_store_dwordx2 v[56:57], v[39:40], off
	s_or_b64 exec, exec, s[66:67]
	v_cmp_lt_u32_e64 s[66:67], v87, v176
	s_and_saveexec_b64 s[68:69], s[66:67]
	s_cbranch_execz .LBB812_483
.LBB812_551:                            ;   in Loop: Header=BB812_390 Depth=2
	ds_read_b64 v[39:40], v106 offset:25088
	v_mov_b32_e32 v58, s81
	s_waitcnt lgkmcnt(0)
	v_lshrrev_b64 v[56:57], s88, v[39:40]
	v_mov_b32_e32 v57, v3
	v_and_b32_e32 v56, s99, v56
	v_lshlrev_b32_e32 v56, 2, v56
	ds_read_b32 v56, v56
	v_xor_b32_e32 v40, 0x80000000, v40
	s_waitcnt lgkmcnt(0)
	v_add_u32_e32 v56, v56, v87
	v_lshlrev_b64 v[56:57], 3, v[56:57]
	v_add_co_u32_e32 v56, vcc, s80, v56
	v_addc_co_u32_e32 v57, vcc, v58, v57, vcc
	global_store_dwordx2 v[56:57], v[39:40], off
	s_or_b64 exec, exec, s[68:69]
	v_cmp_lt_u32_e64 s[68:69], v88, v176
	s_and_saveexec_b64 s[70:71], s[68:69]
	s_cbranch_execz .LBB812_484
.LBB812_552:                            ;   in Loop: Header=BB812_390 Depth=2
	ds_read_b64 v[39:40], v106 offset:27136
	v_mov_b32_e32 v58, s81
	s_waitcnt lgkmcnt(0)
	v_lshrrev_b64 v[56:57], s88, v[39:40]
	v_mov_b32_e32 v57, v3
	v_and_b32_e32 v56, s99, v56
	v_lshlrev_b32_e32 v56, 2, v56
	ds_read_b32 v56, v56
	v_xor_b32_e32 v40, 0x80000000, v40
	s_waitcnt lgkmcnt(0)
	v_add_u32_e32 v56, v56, v88
	v_lshlrev_b64 v[56:57], 3, v[56:57]
	v_add_co_u32_e32 v56, vcc, s80, v56
	v_addc_co_u32_e32 v57, vcc, v58, v57, vcc
	global_store_dwordx2 v[56:57], v[39:40], off
	s_or_b64 exec, exec, s[70:71]
	v_cmp_lt_u32_e64 s[70:71], v89, v176
	s_and_saveexec_b64 s[72:73], s[70:71]
	s_cbranch_execz .LBB812_485
.LBB812_553:                            ;   in Loop: Header=BB812_390 Depth=2
	ds_read_b64 v[39:40], v106 offset:29184
	v_mov_b32_e32 v58, s81
	s_waitcnt lgkmcnt(0)
	v_lshrrev_b64 v[56:57], s88, v[39:40]
	v_mov_b32_e32 v57, v3
	v_and_b32_e32 v56, s99, v56
	v_lshlrev_b32_e32 v56, 2, v56
	ds_read_b32 v56, v56
	v_xor_b32_e32 v40, 0x80000000, v40
	s_waitcnt lgkmcnt(0)
	v_add_u32_e32 v56, v56, v89
	v_lshlrev_b64 v[56:57], 3, v[56:57]
	v_add_co_u32_e32 v56, vcc, s80, v56
	v_addc_co_u32_e32 v57, vcc, v58, v57, vcc
	global_store_dwordx2 v[56:57], v[39:40], off
	s_or_b64 exec, exec, s[72:73]
	v_cmp_lt_u32_e64 s[72:73], v90, v176
	s_and_saveexec_b64 s[82:83], s[72:73]
	s_cbranch_execnz .LBB812_486
	s_branch .LBB812_487
.LBB812_554:                            ;   in Loop: Header=BB812_390 Depth=2
	global_load_dwordx2 v[37:38], v[39:40], off
	s_or_b64 exec, exec, s[82:83]
	v_cmp_lt_u32_e32 vcc, v156, v176
	s_and_saveexec_b64 s[82:83], vcc
	s_cbranch_execz .LBB812_489
.LBB812_555:                            ;   in Loop: Header=BB812_390 Depth=2
	global_load_dwordx2 v[35:36], v[39:40], off offset:512
	s_or_b64 exec, exec, s[82:83]
	v_cmp_lt_u32_e32 vcc, v157, v176
	s_and_saveexec_b64 s[82:83], vcc
	s_cbranch_execz .LBB812_490
.LBB812_556:                            ;   in Loop: Header=BB812_390 Depth=2
	global_load_dwordx2 v[33:34], v[39:40], off offset:1024
	s_or_b64 exec, exec, s[82:83]
	v_cmp_lt_u32_e32 vcc, v158, v176
	s_and_saveexec_b64 s[82:83], vcc
	s_cbranch_execz .LBB812_491
.LBB812_557:                            ;   in Loop: Header=BB812_390 Depth=2
	global_load_dwordx2 v[29:30], v[39:40], off offset:1536
	s_or_b64 exec, exec, s[82:83]
	v_cmp_lt_u32_e32 vcc, v159, v176
	s_and_saveexec_b64 s[82:83], vcc
	s_cbranch_execz .LBB812_492
.LBB812_558:                            ;   in Loop: Header=BB812_390 Depth=2
	global_load_dwordx2 v[25:26], v[39:40], off offset:2048
	s_or_b64 exec, exec, s[82:83]
	v_cmp_lt_u32_e32 vcc, v160, v176
	s_and_saveexec_b64 s[82:83], vcc
	s_cbranch_execz .LBB812_493
.LBB812_559:                            ;   in Loop: Header=BB812_390 Depth=2
	global_load_dwordx2 v[21:22], v[39:40], off offset:2560
	s_or_b64 exec, exec, s[82:83]
	v_cmp_lt_u32_e32 vcc, v161, v176
	s_and_saveexec_b64 s[82:83], vcc
	s_cbranch_execz .LBB812_494
.LBB812_560:                            ;   in Loop: Header=BB812_390 Depth=2
	global_load_dwordx2 v[17:18], v[39:40], off offset:3072
	s_or_b64 exec, exec, s[82:83]
	v_cmp_lt_u32_e32 vcc, v162, v176
	s_and_saveexec_b64 s[82:83], vcc
	s_cbranch_execz .LBB812_495
.LBB812_561:                            ;   in Loop: Header=BB812_390 Depth=2
	global_load_dwordx2 v[13:14], v[39:40], off offset:3584
	s_or_b64 exec, exec, s[82:83]
	v_cmp_lt_u32_e32 vcc, v163, v176
	s_and_saveexec_b64 s[82:83], vcc
	s_cbranch_execz .LBB812_496
.LBB812_562:                            ;   in Loop: Header=BB812_390 Depth=2
	v_add_co_u32_e32 v31, vcc, 0x1000, v39
	v_addc_co_u32_e32 v32, vcc, 0, v40, vcc
	global_load_dwordx2 v[31:32], v[31:32], off
	s_or_b64 exec, exec, s[82:83]
	v_cmp_lt_u32_e32 vcc, v164, v176
	s_and_saveexec_b64 s[82:83], vcc
	s_cbranch_execz .LBB812_497
.LBB812_563:                            ;   in Loop: Header=BB812_390 Depth=2
	v_add_co_u32_e32 v27, vcc, 0x1000, v39
	v_addc_co_u32_e32 v28, vcc, 0, v40, vcc
	global_load_dwordx2 v[27:28], v[27:28], off offset:512
	s_or_b64 exec, exec, s[82:83]
	v_cmp_lt_u32_e32 vcc, v165, v176
	s_and_saveexec_b64 s[82:83], vcc
	s_cbranch_execz .LBB812_498
.LBB812_564:                            ;   in Loop: Header=BB812_390 Depth=2
	v_add_co_u32_e32 v23, vcc, 0x1000, v39
	v_addc_co_u32_e32 v24, vcc, 0, v40, vcc
	global_load_dwordx2 v[23:24], v[23:24], off offset:1024
	s_or_b64 exec, exec, s[82:83]
	v_cmp_lt_u32_e32 vcc, v166, v176
	s_and_saveexec_b64 s[82:83], vcc
	s_cbranch_execz .LBB812_499
.LBB812_565:                            ;   in Loop: Header=BB812_390 Depth=2
	v_add_co_u32_e32 v19, vcc, 0x1000, v39
	v_addc_co_u32_e32 v20, vcc, 0, v40, vcc
	global_load_dwordx2 v[19:20], v[19:20], off offset:1536
	s_or_b64 exec, exec, s[82:83]
	v_cmp_lt_u32_e32 vcc, v167, v176
	s_and_saveexec_b64 s[82:83], vcc
	s_cbranch_execz .LBB812_500
.LBB812_566:                            ;   in Loop: Header=BB812_390 Depth=2
	v_add_co_u32_e32 v15, vcc, 0x1000, v39
	v_addc_co_u32_e32 v16, vcc, 0, v40, vcc
	global_load_dwordx2 v[15:16], v[15:16], off offset:2048
	s_or_b64 exec, exec, s[82:83]
	v_cmp_lt_u32_e32 vcc, v168, v176
	s_and_saveexec_b64 s[82:83], vcc
	s_cbranch_execz .LBB812_501
.LBB812_567:                            ;   in Loop: Header=BB812_390 Depth=2
	v_add_co_u32_e32 v11, vcc, 0x1000, v39
	v_addc_co_u32_e32 v12, vcc, 0, v40, vcc
	global_load_dwordx2 v[11:12], v[11:12], off offset:2560
	s_or_b64 exec, exec, s[82:83]
	v_cmp_lt_u32_e32 vcc, v169, v176
	s_and_saveexec_b64 s[82:83], vcc
	s_cbranch_execz .LBB812_502
.LBB812_568:                            ;   in Loop: Header=BB812_390 Depth=2
	v_add_co_u32_e32 v9, vcc, 0x1000, v39
	v_addc_co_u32_e32 v10, vcc, 0, v40, vcc
	global_load_dwordx2 v[9:10], v[9:10], off offset:3072
	s_or_b64 exec, exec, s[82:83]
	v_cmp_lt_u32_e32 vcc, v170, v176
	s_and_saveexec_b64 s[82:83], vcc
	s_cbranch_execz .LBB812_503
.LBB812_569:                            ;   in Loop: Header=BB812_390 Depth=2
	v_add_co_u32_e32 v7, vcc, 0x1000, v39
	v_addc_co_u32_e32 v8, vcc, 0, v40, vcc
	global_load_dwordx2 v[7:8], v[7:8], off offset:3584
	s_or_b64 exec, exec, s[82:83]
	s_and_saveexec_b64 s[82:83], s[42:43]
	s_cbranch_execz .LBB812_504
.LBB812_570:                            ;   in Loop: Header=BB812_390 Depth=2
	ds_read_b64 v[39:40], v106 offset:512
	s_waitcnt lgkmcnt(0)
	v_lshrrev_b64 v[39:40], s88, v[39:40]
	v_and_b32_e32 v152, s99, v39
	s_or_b64 exec, exec, s[82:83]
	s_and_saveexec_b64 s[82:83], s[44:45]
	s_cbranch_execz .LBB812_505
.LBB812_571:                            ;   in Loop: Header=BB812_390 Depth=2
	ds_read_b64 v[39:40], v106 offset:2560
	s_waitcnt lgkmcnt(0)
	v_lshrrev_b64 v[39:40], s88, v[39:40]
	v_and_b32_e32 v151, s99, v39
	s_or_b64 exec, exec, s[82:83]
	s_and_saveexec_b64 s[82:83], s[46:47]
	s_cbranch_execz .LBB812_506
.LBB812_572:                            ;   in Loop: Header=BB812_390 Depth=2
	ds_read_b64 v[39:40], v106 offset:4608
	s_waitcnt lgkmcnt(0)
	v_lshrrev_b64 v[39:40], s88, v[39:40]
	v_and_b32_e32 v150, s99, v39
	s_or_b64 exec, exec, s[82:83]
	s_and_saveexec_b64 s[82:83], s[48:49]
	s_cbranch_execz .LBB812_507
.LBB812_573:                            ;   in Loop: Header=BB812_390 Depth=2
	ds_read_b64 v[39:40], v106 offset:6656
	s_waitcnt lgkmcnt(0)
	v_lshrrev_b64 v[39:40], s88, v[39:40]
	v_and_b32_e32 v149, s99, v39
	s_or_b64 exec, exec, s[82:83]
	s_and_saveexec_b64 s[82:83], s[50:51]
	s_cbranch_execz .LBB812_508
.LBB812_574:                            ;   in Loop: Header=BB812_390 Depth=2
	ds_read_b64 v[39:40], v106 offset:8704
	s_waitcnt lgkmcnt(0)
	v_lshrrev_b64 v[39:40], s88, v[39:40]
	v_and_b32_e32 v148, s99, v39
	s_or_b64 exec, exec, s[82:83]
	s_and_saveexec_b64 s[82:83], s[52:53]
	s_cbranch_execz .LBB812_509
.LBB812_575:                            ;   in Loop: Header=BB812_390 Depth=2
	ds_read_b64 v[39:40], v106 offset:10752
	s_waitcnt lgkmcnt(0)
	v_lshrrev_b64 v[39:40], s88, v[39:40]
	v_and_b32_e32 v147, s99, v39
	s_or_b64 exec, exec, s[82:83]
	s_and_saveexec_b64 s[82:83], s[54:55]
	s_cbranch_execz .LBB812_510
.LBB812_576:                            ;   in Loop: Header=BB812_390 Depth=2
	ds_read_b64 v[39:40], v106 offset:12800
	s_waitcnt lgkmcnt(0)
	v_lshrrev_b64 v[39:40], s88, v[39:40]
	v_and_b32_e32 v146, s99, v39
	s_or_b64 exec, exec, s[82:83]
	s_and_saveexec_b64 s[82:83], s[56:57]
	s_cbranch_execz .LBB812_511
.LBB812_577:                            ;   in Loop: Header=BB812_390 Depth=2
	ds_read_b64 v[39:40], v106 offset:14848
	s_waitcnt lgkmcnt(0)
	v_lshrrev_b64 v[39:40], s88, v[39:40]
	v_and_b32_e32 v145, s99, v39
	s_or_b64 exec, exec, s[82:83]
	s_and_saveexec_b64 s[82:83], s[58:59]
	s_cbranch_execz .LBB812_512
.LBB812_578:                            ;   in Loop: Header=BB812_390 Depth=2
	ds_read_b64 v[39:40], v106 offset:16896
	s_waitcnt lgkmcnt(0)
	v_lshrrev_b64 v[39:40], s88, v[39:40]
	v_and_b32_e32 v144, s99, v39
	s_or_b64 exec, exec, s[82:83]
	s_and_saveexec_b64 s[82:83], s[60:61]
	s_cbranch_execz .LBB812_513
.LBB812_579:                            ;   in Loop: Header=BB812_390 Depth=2
	ds_read_b64 v[39:40], v106 offset:18944
	s_waitcnt lgkmcnt(0)
	v_lshrrev_b64 v[39:40], s88, v[39:40]
	v_and_b32_e32 v143, s99, v39
	s_or_b64 exec, exec, s[82:83]
	s_and_saveexec_b64 s[82:83], s[62:63]
	s_cbranch_execz .LBB812_514
.LBB812_580:                            ;   in Loop: Header=BB812_390 Depth=2
	ds_read_b64 v[39:40], v106 offset:20992
	s_waitcnt lgkmcnt(0)
	v_lshrrev_b64 v[39:40], s88, v[39:40]
	v_and_b32_e32 v142, s99, v39
	s_or_b64 exec, exec, s[82:83]
	s_and_saveexec_b64 s[82:83], s[64:65]
	s_cbranch_execz .LBB812_515
.LBB812_581:                            ;   in Loop: Header=BB812_390 Depth=2
	ds_read_b64 v[39:40], v106 offset:23040
	s_waitcnt lgkmcnt(0)
	v_lshrrev_b64 v[39:40], s88, v[39:40]
	v_and_b32_e32 v141, s99, v39
	s_or_b64 exec, exec, s[82:83]
	s_and_saveexec_b64 s[82:83], s[66:67]
	s_cbranch_execz .LBB812_516
.LBB812_582:                            ;   in Loop: Header=BB812_390 Depth=2
	ds_read_b64 v[39:40], v106 offset:25088
	s_waitcnt lgkmcnt(0)
	v_lshrrev_b64 v[39:40], s88, v[39:40]
	v_and_b32_e32 v140, s99, v39
	s_or_b64 exec, exec, s[82:83]
	s_and_saveexec_b64 s[82:83], s[68:69]
	s_cbranch_execz .LBB812_517
.LBB812_583:                            ;   in Loop: Header=BB812_390 Depth=2
	ds_read_b64 v[39:40], v106 offset:27136
	s_waitcnt lgkmcnt(0)
	v_lshrrev_b64 v[39:40], s88, v[39:40]
	v_and_b32_e32 v139, s99, v39
	s_or_b64 exec, exec, s[82:83]
	s_and_saveexec_b64 s[82:83], s[70:71]
	s_cbranch_execz .LBB812_518
.LBB812_584:                            ;   in Loop: Header=BB812_390 Depth=2
	ds_read_b64 v[39:40], v106 offset:29184
	s_waitcnt lgkmcnt(0)
	v_lshrrev_b64 v[39:40], s88, v[39:40]
	v_and_b32_e32 v138, s99, v39
	s_or_b64 exec, exec, s[82:83]
	s_and_saveexec_b64 s[82:83], s[72:73]
	s_cbranch_execnz .LBB812_519
	s_branch .LBB812_520
.LBB812_585:                            ;   in Loop: Header=BB812_390 Depth=2
	v_lshlrev_b32_e32 v4, 2, v152
	ds_read_b32 v4, v4
	ds_read_b64 v[39:40], v106 offset:512
	v_mov_b32_e32 v42, v3
	v_mov_b32_e32 v43, s87
	s_waitcnt lgkmcnt(1)
	v_add_u32_e32 v41, v4, v0
	v_lshlrev_b64 v[41:42], 3, v[41:42]
	v_add_co_u32_e32 v41, vcc, s86, v41
	v_addc_co_u32_e32 v42, vcc, v43, v42, vcc
	s_waitcnt lgkmcnt(0)
	global_store_dwordx2 v[41:42], v[39:40], off
	s_or_b64 exec, exec, s[82:83]
	s_and_saveexec_b64 s[42:43], s[44:45]
	s_cbranch_execz .LBB812_522
.LBB812_586:                            ;   in Loop: Header=BB812_390 Depth=2
	v_lshlrev_b32_e32 v4, 2, v151
	ds_read_b32 v4, v4
	ds_read_b64 v[39:40], v106 offset:2560
	v_mov_b32_e32 v42, v3
	v_mov_b32_e32 v43, s87
	s_waitcnt lgkmcnt(1)
	v_add_u32_e32 v41, v4, v74
	v_lshlrev_b64 v[41:42], 3, v[41:42]
	v_add_co_u32_e32 v41, vcc, s86, v41
	v_addc_co_u32_e32 v42, vcc, v43, v42, vcc
	s_waitcnt lgkmcnt(0)
	global_store_dwordx2 v[41:42], v[39:40], off
	s_or_b64 exec, exec, s[42:43]
	s_and_saveexec_b64 s[42:43], s[46:47]
	s_cbranch_execz .LBB812_523
.LBB812_587:                            ;   in Loop: Header=BB812_390 Depth=2
	v_lshlrev_b32_e32 v4, 2, v150
	ds_read_b32 v4, v4
	ds_read_b64 v[39:40], v106 offset:4608
	v_mov_b32_e32 v42, v3
	v_mov_b32_e32 v43, s87
	s_waitcnt lgkmcnt(1)
	v_add_u32_e32 v41, v4, v77
	v_lshlrev_b64 v[41:42], 3, v[41:42]
	v_add_co_u32_e32 v41, vcc, s86, v41
	v_addc_co_u32_e32 v42, vcc, v43, v42, vcc
	s_waitcnt lgkmcnt(0)
	global_store_dwordx2 v[41:42], v[39:40], off
	s_or_b64 exec, exec, s[42:43]
	s_and_saveexec_b64 s[42:43], s[48:49]
	s_cbranch_execz .LBB812_524
.LBB812_588:                            ;   in Loop: Header=BB812_390 Depth=2
	v_lshlrev_b32_e32 v4, 2, v149
	ds_read_b32 v4, v4
	ds_read_b64 v[39:40], v106 offset:6656
	v_mov_b32_e32 v42, v3
	v_mov_b32_e32 v43, s87
	s_waitcnt lgkmcnt(1)
	v_add_u32_e32 v41, v4, v78
	v_lshlrev_b64 v[41:42], 3, v[41:42]
	v_add_co_u32_e32 v41, vcc, s86, v41
	v_addc_co_u32_e32 v42, vcc, v43, v42, vcc
	s_waitcnt lgkmcnt(0)
	global_store_dwordx2 v[41:42], v[39:40], off
	s_or_b64 exec, exec, s[42:43]
	s_and_saveexec_b64 s[42:43], s[50:51]
	s_cbranch_execz .LBB812_525
.LBB812_589:                            ;   in Loop: Header=BB812_390 Depth=2
	v_lshlrev_b32_e32 v4, 2, v148
	ds_read_b32 v4, v4
	ds_read_b64 v[39:40], v106 offset:8704
	v_mov_b32_e32 v42, v3
	v_mov_b32_e32 v43, s87
	s_waitcnt lgkmcnt(1)
	v_add_u32_e32 v41, v4, v79
	v_lshlrev_b64 v[41:42], 3, v[41:42]
	v_add_co_u32_e32 v41, vcc, s86, v41
	v_addc_co_u32_e32 v42, vcc, v43, v42, vcc
	s_waitcnt lgkmcnt(0)
	global_store_dwordx2 v[41:42], v[39:40], off
	s_or_b64 exec, exec, s[42:43]
	s_and_saveexec_b64 s[42:43], s[52:53]
	s_cbranch_execz .LBB812_526
.LBB812_590:                            ;   in Loop: Header=BB812_390 Depth=2
	v_lshlrev_b32_e32 v4, 2, v147
	ds_read_b32 v4, v4
	ds_read_b64 v[39:40], v106 offset:10752
	v_mov_b32_e32 v42, v3
	v_mov_b32_e32 v43, s87
	s_waitcnt lgkmcnt(1)
	v_add_u32_e32 v41, v4, v80
	v_lshlrev_b64 v[41:42], 3, v[41:42]
	v_add_co_u32_e32 v41, vcc, s86, v41
	v_addc_co_u32_e32 v42, vcc, v43, v42, vcc
	s_waitcnt lgkmcnt(0)
	global_store_dwordx2 v[41:42], v[39:40], off
	s_or_b64 exec, exec, s[42:43]
	s_and_saveexec_b64 s[42:43], s[54:55]
	s_cbranch_execz .LBB812_527
.LBB812_591:                            ;   in Loop: Header=BB812_390 Depth=2
	v_lshlrev_b32_e32 v4, 2, v146
	ds_read_b32 v4, v4
	ds_read_b64 v[39:40], v106 offset:12800
	v_mov_b32_e32 v42, v3
	v_mov_b32_e32 v43, s87
	s_waitcnt lgkmcnt(1)
	v_add_u32_e32 v41, v4, v81
	v_lshlrev_b64 v[41:42], 3, v[41:42]
	v_add_co_u32_e32 v41, vcc, s86, v41
	v_addc_co_u32_e32 v42, vcc, v43, v42, vcc
	s_waitcnt lgkmcnt(0)
	global_store_dwordx2 v[41:42], v[39:40], off
	s_or_b64 exec, exec, s[42:43]
	s_and_saveexec_b64 s[42:43], s[56:57]
	s_cbranch_execz .LBB812_528
.LBB812_592:                            ;   in Loop: Header=BB812_390 Depth=2
	v_lshlrev_b32_e32 v4, 2, v145
	ds_read_b32 v4, v4
	ds_read_b64 v[39:40], v106 offset:14848
	v_mov_b32_e32 v42, v3
	v_mov_b32_e32 v43, s87
	s_waitcnt lgkmcnt(1)
	v_add_u32_e32 v41, v4, v82
	v_lshlrev_b64 v[41:42], 3, v[41:42]
	v_add_co_u32_e32 v41, vcc, s86, v41
	v_addc_co_u32_e32 v42, vcc, v43, v42, vcc
	s_waitcnt lgkmcnt(0)
	global_store_dwordx2 v[41:42], v[39:40], off
	s_or_b64 exec, exec, s[42:43]
	s_and_saveexec_b64 s[42:43], s[58:59]
	s_cbranch_execz .LBB812_529
.LBB812_593:                            ;   in Loop: Header=BB812_390 Depth=2
	v_lshlrev_b32_e32 v4, 2, v144
	ds_read_b32 v4, v4
	ds_read_b64 v[39:40], v106 offset:16896
	v_mov_b32_e32 v42, v3
	v_mov_b32_e32 v43, s87
	s_waitcnt lgkmcnt(1)
	v_add_u32_e32 v41, v4, v83
	v_lshlrev_b64 v[41:42], 3, v[41:42]
	v_add_co_u32_e32 v41, vcc, s86, v41
	v_addc_co_u32_e32 v42, vcc, v43, v42, vcc
	s_waitcnt lgkmcnt(0)
	global_store_dwordx2 v[41:42], v[39:40], off
	s_or_b64 exec, exec, s[42:43]
	s_and_saveexec_b64 s[42:43], s[60:61]
	s_cbranch_execz .LBB812_530
.LBB812_594:                            ;   in Loop: Header=BB812_390 Depth=2
	v_lshlrev_b32_e32 v4, 2, v143
	ds_read_b32 v4, v4
	ds_read_b64 v[39:40], v106 offset:18944
	v_mov_b32_e32 v42, v3
	v_mov_b32_e32 v43, s87
	s_waitcnt lgkmcnt(1)
	v_add_u32_e32 v41, v4, v84
	v_lshlrev_b64 v[41:42], 3, v[41:42]
	v_add_co_u32_e32 v41, vcc, s86, v41
	v_addc_co_u32_e32 v42, vcc, v43, v42, vcc
	s_waitcnt lgkmcnt(0)
	global_store_dwordx2 v[41:42], v[39:40], off
	s_or_b64 exec, exec, s[42:43]
	s_and_saveexec_b64 s[42:43], s[62:63]
	s_cbranch_execz .LBB812_531
.LBB812_595:                            ;   in Loop: Header=BB812_390 Depth=2
	v_lshlrev_b32_e32 v4, 2, v142
	ds_read_b32 v4, v4
	ds_read_b64 v[39:40], v106 offset:20992
	v_mov_b32_e32 v42, v3
	v_mov_b32_e32 v43, s87
	s_waitcnt lgkmcnt(1)
	v_add_u32_e32 v41, v4, v85
	v_lshlrev_b64 v[41:42], 3, v[41:42]
	v_add_co_u32_e32 v41, vcc, s86, v41
	v_addc_co_u32_e32 v42, vcc, v43, v42, vcc
	s_waitcnt lgkmcnt(0)
	global_store_dwordx2 v[41:42], v[39:40], off
	s_or_b64 exec, exec, s[42:43]
	s_and_saveexec_b64 s[42:43], s[64:65]
	s_cbranch_execz .LBB812_532
.LBB812_596:                            ;   in Loop: Header=BB812_390 Depth=2
	v_lshlrev_b32_e32 v4, 2, v141
	ds_read_b32 v4, v4
	ds_read_b64 v[39:40], v106 offset:23040
	v_mov_b32_e32 v42, v3
	v_mov_b32_e32 v43, s87
	s_waitcnt lgkmcnt(1)
	v_add_u32_e32 v41, v4, v86
	v_lshlrev_b64 v[41:42], 3, v[41:42]
	v_add_co_u32_e32 v41, vcc, s86, v41
	v_addc_co_u32_e32 v42, vcc, v43, v42, vcc
	s_waitcnt lgkmcnt(0)
	global_store_dwordx2 v[41:42], v[39:40], off
	s_or_b64 exec, exec, s[42:43]
	s_and_saveexec_b64 s[42:43], s[66:67]
	s_cbranch_execz .LBB812_533
.LBB812_597:                            ;   in Loop: Header=BB812_390 Depth=2
	v_lshlrev_b32_e32 v4, 2, v140
	ds_read_b32 v4, v4
	ds_read_b64 v[39:40], v106 offset:25088
	v_mov_b32_e32 v42, v3
	v_mov_b32_e32 v43, s87
	s_waitcnt lgkmcnt(1)
	v_add_u32_e32 v41, v4, v87
	v_lshlrev_b64 v[41:42], 3, v[41:42]
	v_add_co_u32_e32 v41, vcc, s86, v41
	v_addc_co_u32_e32 v42, vcc, v43, v42, vcc
	s_waitcnt lgkmcnt(0)
	global_store_dwordx2 v[41:42], v[39:40], off
	s_or_b64 exec, exec, s[42:43]
	s_and_saveexec_b64 s[42:43], s[68:69]
	s_cbranch_execz .LBB812_534
.LBB812_598:                            ;   in Loop: Header=BB812_390 Depth=2
	v_lshlrev_b32_e32 v4, 2, v139
	ds_read_b32 v4, v4
	ds_read_b64 v[39:40], v106 offset:27136
	v_mov_b32_e32 v42, v3
	v_mov_b32_e32 v43, s87
	s_waitcnt lgkmcnt(1)
	v_add_u32_e32 v41, v4, v88
	v_lshlrev_b64 v[41:42], 3, v[41:42]
	v_add_co_u32_e32 v41, vcc, s86, v41
	v_addc_co_u32_e32 v42, vcc, v43, v42, vcc
	s_waitcnt lgkmcnt(0)
	global_store_dwordx2 v[41:42], v[39:40], off
	s_or_b64 exec, exec, s[42:43]
	s_and_saveexec_b64 s[42:43], s[70:71]
	s_cbranch_execz .LBB812_535
.LBB812_599:                            ;   in Loop: Header=BB812_390 Depth=2
	v_lshlrev_b32_e32 v4, 2, v138
	ds_read_b32 v4, v4
	ds_read_b64 v[39:40], v106 offset:29184
	v_mov_b32_e32 v42, v3
	v_mov_b32_e32 v43, s87
	s_waitcnt lgkmcnt(1)
	v_add_u32_e32 v41, v4, v89
	v_lshlrev_b64 v[41:42], 3, v[41:42]
	v_add_co_u32_e32 v41, vcc, s86, v41
	v_addc_co_u32_e32 v42, vcc, v43, v42, vcc
	s_waitcnt lgkmcnt(0)
	global_store_dwordx2 v[41:42], v[39:40], off
	s_or_b64 exec, exec, s[42:43]
	s_and_saveexec_b64 s[42:43], s[72:73]
	s_cbranch_execnz .LBB812_536
	s_branch .LBB812_537
.LBB812_600:                            ;   in Loop: Header=BB812_12 Depth=1
	s_waitcnt lgkmcnt(0)
	s_barrier
.LBB812_601:                            ;   in Loop: Header=BB812_12 Depth=1
	s_mov_b64 s[22:23], 0
.LBB812_602:                            ;   in Loop: Header=BB812_12 Depth=1
	s_andn2_b64 vcc, exec, s[22:23]
	s_cbranch_vccnz .LBB812_11
; %bb.603:                              ;   in Loop: Header=BB812_12 Depth=1
	s_lshl_b32 s8, -1, s98
	s_not_b32 s98, s8
	s_mov_b64 s[22:23], -1
	s_and_b64 vcc, exec, s[74:75]
	s_cbranch_vccz .LBB812_897
; %bb.604:                              ;   in Loop: Header=BB812_12 Depth=1
	s_mov_b32 s8, s33
	s_mov_b32 s92, s96
	s_barrier
                                        ; implicit-def: $vgpr7_vgpr8
                                        ; implicit-def: $vgpr9_vgpr10
                                        ; implicit-def: $vgpr11_vgpr12
                                        ; implicit-def: $vgpr13_vgpr14
                                        ; implicit-def: $vgpr15_vgpr16
                                        ; implicit-def: $vgpr17_vgpr18
                                        ; implicit-def: $vgpr19_vgpr20
                                        ; implicit-def: $vgpr21_vgpr22
                                        ; implicit-def: $vgpr23_vgpr24
                                        ; implicit-def: $vgpr25_vgpr26
                                        ; implicit-def: $vgpr27_vgpr28
                                        ; implicit-def: $vgpr29_vgpr30
                                        ; implicit-def: $vgpr31_vgpr32
                                        ; implicit-def: $vgpr33_vgpr34
                                        ; implicit-def: $vgpr35_vgpr36
                                        ; implicit-def: $vgpr37_vgpr38
	s_branch .LBB812_606
.LBB812_605:                            ;   in Loop: Header=BB812_606 Depth=2
	s_or_b64 exec, exec, s[22:23]
	s_addk_i32 s8, 0xf000
	s_cmp_ge_u32 s9, s97
	s_mov_b32 s92, s9
	s_cbranch_scc1 .LBB812_674
.LBB812_606:                            ;   Parent Loop BB812_12 Depth=1
                                        ; =>  This Inner Loop Header: Depth=2
	s_add_i32 s9, s92, 0x1000
	s_cmp_gt_u32 s9, s97
	s_mov_b64 s[22:23], -1
                                        ; implicit-def: $vgpr39_vgpr40
                                        ; implicit-def: $vgpr41_vgpr42
                                        ; implicit-def: $vgpr43_vgpr44
                                        ; implicit-def: $vgpr45_vgpr46
                                        ; implicit-def: $vgpr47_vgpr48
                                        ; implicit-def: $vgpr49_vgpr50
                                        ; implicit-def: $vgpr51_vgpr52
                                        ; implicit-def: $vgpr53_vgpr54
                                        ; implicit-def: $vgpr55_vgpr56
                                        ; implicit-def: $vgpr57_vgpr58
                                        ; implicit-def: $vgpr59_vgpr60
                                        ; implicit-def: $vgpr61_vgpr62
                                        ; implicit-def: $vgpr63_vgpr64
                                        ; implicit-def: $vgpr65_vgpr66
                                        ; implicit-def: $vgpr67_vgpr68
                                        ; implicit-def: $vgpr69_vgpr70
	s_cbranch_scc1 .LBB812_608
; %bb.607:                              ;   in Loop: Header=BB812_606 Depth=2
	s_lshl_b64 s[22:23], s[92:93], 3
	v_mov_b32_e32 v4, s23
	v_add_co_u32_e32 v63, vcc, s22, v113
	v_addc_co_u32_e32 v64, vcc, v114, v4, vcc
	v_add_co_u32_e32 v47, vcc, 0x1000, v63
	v_addc_co_u32_e32 v48, vcc, 0, v64, vcc
	;; [unrolled: 2-line block ×4, first 2 shown]
	global_load_dwordx2 v[39:40], v[63:64], off
	global_load_dwordx2 v[41:42], v[63:64], off offset:2048
	global_load_dwordx2 v[43:44], v[47:48], off
	global_load_dwordx2 v[45:46], v[47:48], off offset:2048
	s_nop 0
	global_load_dwordx2 v[47:48], v[55:56], off
	global_load_dwordx2 v[49:50], v[55:56], off offset:2048
	global_load_dwordx2 v[51:52], v[57:58], off
	global_load_dwordx2 v[53:54], v[57:58], off offset:2048
	v_add_co_u32_e32 v57, vcc, 0x4000, v63
	v_addc_co_u32_e32 v58, vcc, 0, v64, vcc
	v_add_co_u32_e32 v61, vcc, 0x5000, v63
	v_addc_co_u32_e32 v62, vcc, 0, v64, vcc
	;; [unrolled: 2-line block ×4, first 2 shown]
	global_load_dwordx2 v[55:56], v[57:58], off
	s_nop 0
	global_load_dwordx2 v[57:58], v[57:58], off offset:2048
	s_nop 0
	global_load_dwordx2 v[59:60], v[61:62], off
	s_nop 0
	global_load_dwordx2 v[61:62], v[61:62], off offset:2048
	s_nop 0
	;; [unrolled: 4-line block ×3, first 2 shown]
	global_load_dwordx2 v[67:68], v[69:70], off
	s_nop 0
	global_load_dwordx2 v[69:70], v[69:70], off offset:2048
	s_mov_b64 s[22:23], 0
.LBB812_608:                            ;   in Loop: Header=BB812_606 Depth=2
	s_andn2_b64 vcc, exec, s[22:23]
	s_movk_i32 s24, 0x1000
	s_cbranch_vccnz .LBB812_627
; %bb.609:                              ;   in Loop: Header=BB812_606 Depth=2
	s_lshl_b64 s[22:23], s[92:93], 3
	s_add_u32 s22, s76, s22
	s_addc_u32 s23, s77, s23
	v_cmp_gt_u32_e32 vcc, s8, v0
	s_and_saveexec_b64 s[24:25], vcc
	s_cbranch_execnz .LBB812_659
; %bb.610:                              ;   in Loop: Header=BB812_606 Depth=2
	s_or_b64 exec, exec, s[24:25]
	v_cmp_gt_u32_e32 vcc, s8, v74
	s_and_saveexec_b64 s[24:25], vcc
	s_cbranch_execnz .LBB812_660
.LBB812_611:                            ;   in Loop: Header=BB812_606 Depth=2
	s_or_b64 exec, exec, s[24:25]
	v_cmp_gt_u32_e32 vcc, s8, v77
	s_and_saveexec_b64 s[24:25], vcc
	s_cbranch_execnz .LBB812_661
.LBB812_612:                            ;   in Loop: Header=BB812_606 Depth=2
	s_or_b64 exec, exec, s[24:25]
	v_cmp_gt_u32_e32 vcc, s8, v78
	s_and_saveexec_b64 s[24:25], vcc
	s_cbranch_execnz .LBB812_662
.LBB812_613:                            ;   in Loop: Header=BB812_606 Depth=2
	s_or_b64 exec, exec, s[24:25]
	v_cmp_gt_u32_e32 vcc, s8, v79
	s_and_saveexec_b64 s[24:25], vcc
	s_cbranch_execnz .LBB812_663
.LBB812_614:                            ;   in Loop: Header=BB812_606 Depth=2
	s_or_b64 exec, exec, s[24:25]
	v_cmp_gt_u32_e32 vcc, s8, v80
	s_and_saveexec_b64 s[24:25], vcc
	s_cbranch_execnz .LBB812_664
.LBB812_615:                            ;   in Loop: Header=BB812_606 Depth=2
	s_or_b64 exec, exec, s[24:25]
	v_cmp_gt_u32_e32 vcc, s8, v81
	s_and_saveexec_b64 s[24:25], vcc
	s_cbranch_execnz .LBB812_665
.LBB812_616:                            ;   in Loop: Header=BB812_606 Depth=2
	s_or_b64 exec, exec, s[24:25]
	v_cmp_gt_u32_e32 vcc, s8, v82
	s_and_saveexec_b64 s[24:25], vcc
	s_cbranch_execnz .LBB812_666
.LBB812_617:                            ;   in Loop: Header=BB812_606 Depth=2
	s_or_b64 exec, exec, s[24:25]
	v_cmp_gt_u32_e32 vcc, s8, v83
	s_and_saveexec_b64 s[24:25], vcc
	s_cbranch_execnz .LBB812_667
.LBB812_618:                            ;   in Loop: Header=BB812_606 Depth=2
	s_or_b64 exec, exec, s[24:25]
	v_cmp_gt_u32_e32 vcc, s8, v84
	s_and_saveexec_b64 s[24:25], vcc
	s_cbranch_execnz .LBB812_668
.LBB812_619:                            ;   in Loop: Header=BB812_606 Depth=2
	s_or_b64 exec, exec, s[24:25]
	v_cmp_gt_u32_e32 vcc, s8, v85
	s_and_saveexec_b64 s[24:25], vcc
	s_cbranch_execnz .LBB812_669
.LBB812_620:                            ;   in Loop: Header=BB812_606 Depth=2
	s_or_b64 exec, exec, s[24:25]
	v_cmp_gt_u32_e32 vcc, s8, v86
	s_and_saveexec_b64 s[24:25], vcc
	s_cbranch_execnz .LBB812_670
.LBB812_621:                            ;   in Loop: Header=BB812_606 Depth=2
	s_or_b64 exec, exec, s[24:25]
	v_cmp_gt_u32_e32 vcc, s8, v87
	s_and_saveexec_b64 s[24:25], vcc
	s_cbranch_execnz .LBB812_671
.LBB812_622:                            ;   in Loop: Header=BB812_606 Depth=2
	s_or_b64 exec, exec, s[24:25]
	v_cmp_gt_u32_e32 vcc, s8, v88
	s_and_saveexec_b64 s[24:25], vcc
	s_cbranch_execnz .LBB812_672
.LBB812_623:                            ;   in Loop: Header=BB812_606 Depth=2
	s_or_b64 exec, exec, s[24:25]
	v_cmp_gt_u32_e32 vcc, s8, v89
	s_and_saveexec_b64 s[24:25], vcc
	s_cbranch_execnz .LBB812_673
.LBB812_624:                            ;   in Loop: Header=BB812_606 Depth=2
	s_or_b64 exec, exec, s[24:25]
	v_cmp_gt_u32_e32 vcc, s8, v90
	s_and_saveexec_b64 s[24:25], vcc
	s_cbranch_execz .LBB812_626
.LBB812_625:                            ;   in Loop: Header=BB812_606 Depth=2
	global_load_dwordx2 v[7:8], v134, s[22:23]
.LBB812_626:                            ;   in Loop: Header=BB812_606 Depth=2
	s_or_b64 exec, exec, s[24:25]
	s_waitcnt vmcnt(0)
	v_mov_b32_e32 v40, v38
	v_mov_b32_e32 v42, v36
	;; [unrolled: 1-line block ×16, first 2 shown]
	s_mov_b32 s24, s8
	v_mov_b32_e32 v39, v37
	v_mov_b32_e32 v41, v35
	;; [unrolled: 1-line block ×16, first 2 shown]
.LBB812_627:                            ;   in Loop: Header=BB812_606 Depth=2
	s_waitcnt vmcnt(0)
	v_mov_b32_e32 v7, v69
	v_mov_b32_e32 v9, v67
	;; [unrolled: 1-line block ×32, first 2 shown]
	v_cmp_gt_u32_e32 vcc, s24, v0
	s_and_saveexec_b64 s[22:23], vcc
	s_cbranch_execnz .LBB812_643
; %bb.628:                              ;   in Loop: Header=BB812_606 Depth=2
	s_or_b64 exec, exec, s[22:23]
	v_cmp_gt_u32_e32 vcc, s24, v74
	s_and_saveexec_b64 s[22:23], vcc
	s_cbranch_execnz .LBB812_644
.LBB812_629:                            ;   in Loop: Header=BB812_606 Depth=2
	s_or_b64 exec, exec, s[22:23]
	v_cmp_gt_u32_e32 vcc, s24, v77
	s_and_saveexec_b64 s[22:23], vcc
	s_cbranch_execnz .LBB812_645
.LBB812_630:                            ;   in Loop: Header=BB812_606 Depth=2
	s_or_b64 exec, exec, s[22:23]
	v_cmp_gt_u32_e32 vcc, s24, v78
	s_and_saveexec_b64 s[22:23], vcc
	s_cbranch_execnz .LBB812_646
.LBB812_631:                            ;   in Loop: Header=BB812_606 Depth=2
	s_or_b64 exec, exec, s[22:23]
	v_cmp_gt_u32_e32 vcc, s24, v79
	s_and_saveexec_b64 s[22:23], vcc
	s_cbranch_execnz .LBB812_647
.LBB812_632:                            ;   in Loop: Header=BB812_606 Depth=2
	s_or_b64 exec, exec, s[22:23]
	v_cmp_gt_u32_e32 vcc, s24, v80
	s_and_saveexec_b64 s[22:23], vcc
	s_cbranch_execnz .LBB812_648
.LBB812_633:                            ;   in Loop: Header=BB812_606 Depth=2
	s_or_b64 exec, exec, s[22:23]
	v_cmp_gt_u32_e32 vcc, s24, v81
	s_and_saveexec_b64 s[22:23], vcc
	s_cbranch_execnz .LBB812_649
.LBB812_634:                            ;   in Loop: Header=BB812_606 Depth=2
	s_or_b64 exec, exec, s[22:23]
	v_cmp_gt_u32_e32 vcc, s24, v82
	s_and_saveexec_b64 s[22:23], vcc
	s_cbranch_execnz .LBB812_650
.LBB812_635:                            ;   in Loop: Header=BB812_606 Depth=2
	s_or_b64 exec, exec, s[22:23]
	v_cmp_gt_u32_e32 vcc, s24, v83
	s_and_saveexec_b64 s[22:23], vcc
	s_cbranch_execnz .LBB812_651
.LBB812_636:                            ;   in Loop: Header=BB812_606 Depth=2
	s_or_b64 exec, exec, s[22:23]
	v_cmp_gt_u32_e32 vcc, s24, v84
	s_and_saveexec_b64 s[22:23], vcc
	s_cbranch_execnz .LBB812_652
.LBB812_637:                            ;   in Loop: Header=BB812_606 Depth=2
	s_or_b64 exec, exec, s[22:23]
	v_cmp_gt_u32_e32 vcc, s24, v85
	s_and_saveexec_b64 s[22:23], vcc
	s_cbranch_execnz .LBB812_653
.LBB812_638:                            ;   in Loop: Header=BB812_606 Depth=2
	s_or_b64 exec, exec, s[22:23]
	v_cmp_gt_u32_e32 vcc, s24, v86
	s_and_saveexec_b64 s[22:23], vcc
	s_cbranch_execnz .LBB812_654
.LBB812_639:                            ;   in Loop: Header=BB812_606 Depth=2
	s_or_b64 exec, exec, s[22:23]
	v_cmp_gt_u32_e32 vcc, s24, v87
	s_and_saveexec_b64 s[22:23], vcc
	s_cbranch_execnz .LBB812_655
.LBB812_640:                            ;   in Loop: Header=BB812_606 Depth=2
	s_or_b64 exec, exec, s[22:23]
	v_cmp_gt_u32_e32 vcc, s24, v88
	s_and_saveexec_b64 s[22:23], vcc
	s_cbranch_execnz .LBB812_656
.LBB812_641:                            ;   in Loop: Header=BB812_606 Depth=2
	s_or_b64 exec, exec, s[22:23]
	v_cmp_gt_u32_e32 vcc, s24, v89
	s_and_saveexec_b64 s[22:23], vcc
	s_cbranch_execnz .LBB812_657
.LBB812_642:                            ;   in Loop: Header=BB812_606 Depth=2
	s_or_b64 exec, exec, s[22:23]
	v_cmp_gt_u32_e32 vcc, s24, v90
	s_and_saveexec_b64 s[22:23], vcc
	s_cbranch_execz .LBB812_605
	s_branch .LBB812_658
.LBB812_643:                            ;   in Loop: Header=BB812_606 Depth=2
	v_xor_b32_e32 v40, 0x80000000, v38
	v_mov_b32_e32 v39, v37
	v_lshrrev_b64 v[39:40], s7, v[39:40]
	v_and_b32_e32 v4, s98, v39
	v_lshl_or_b32 v4, v4, 4, v91
	ds_add_u32 v4, v119
	s_or_b64 exec, exec, s[22:23]
	v_cmp_gt_u32_e32 vcc, s24, v74
	s_and_saveexec_b64 s[22:23], vcc
	s_cbranch_execz .LBB812_629
.LBB812_644:                            ;   in Loop: Header=BB812_606 Depth=2
	v_xor_b32_e32 v40, 0x80000000, v36
	v_mov_b32_e32 v39, v35
	v_lshrrev_b64 v[39:40], s7, v[39:40]
	v_and_b32_e32 v4, s98, v39
	v_lshl_or_b32 v4, v4, 4, v91
	ds_add_u32 v4, v119
	s_or_b64 exec, exec, s[22:23]
	v_cmp_gt_u32_e32 vcc, s24, v77
	s_and_saveexec_b64 s[22:23], vcc
	s_cbranch_execz .LBB812_630
.LBB812_645:                            ;   in Loop: Header=BB812_606 Depth=2
	v_xor_b32_e32 v40, 0x80000000, v34
	v_mov_b32_e32 v39, v33
	v_lshrrev_b64 v[39:40], s7, v[39:40]
	v_and_b32_e32 v4, s98, v39
	v_lshl_or_b32 v4, v4, 4, v91
	ds_add_u32 v4, v119
	s_or_b64 exec, exec, s[22:23]
	v_cmp_gt_u32_e32 vcc, s24, v78
	s_and_saveexec_b64 s[22:23], vcc
	s_cbranch_execz .LBB812_631
.LBB812_646:                            ;   in Loop: Header=BB812_606 Depth=2
	v_xor_b32_e32 v40, 0x80000000, v32
	v_mov_b32_e32 v39, v31
	v_lshrrev_b64 v[39:40], s7, v[39:40]
	v_and_b32_e32 v4, s98, v39
	v_lshl_or_b32 v4, v4, 4, v91
	ds_add_u32 v4, v119
	s_or_b64 exec, exec, s[22:23]
	v_cmp_gt_u32_e32 vcc, s24, v79
	s_and_saveexec_b64 s[22:23], vcc
	s_cbranch_execz .LBB812_632
.LBB812_647:                            ;   in Loop: Header=BB812_606 Depth=2
	v_xor_b32_e32 v40, 0x80000000, v30
	v_mov_b32_e32 v39, v29
	v_lshrrev_b64 v[39:40], s7, v[39:40]
	v_and_b32_e32 v4, s98, v39
	v_lshl_or_b32 v4, v4, 4, v91
	ds_add_u32 v4, v119
	s_or_b64 exec, exec, s[22:23]
	v_cmp_gt_u32_e32 vcc, s24, v80
	s_and_saveexec_b64 s[22:23], vcc
	s_cbranch_execz .LBB812_633
.LBB812_648:                            ;   in Loop: Header=BB812_606 Depth=2
	v_xor_b32_e32 v40, 0x80000000, v28
	v_mov_b32_e32 v39, v27
	v_lshrrev_b64 v[39:40], s7, v[39:40]
	v_and_b32_e32 v4, s98, v39
	v_lshl_or_b32 v4, v4, 4, v91
	ds_add_u32 v4, v119
	s_or_b64 exec, exec, s[22:23]
	v_cmp_gt_u32_e32 vcc, s24, v81
	s_and_saveexec_b64 s[22:23], vcc
	s_cbranch_execz .LBB812_634
.LBB812_649:                            ;   in Loop: Header=BB812_606 Depth=2
	v_xor_b32_e32 v40, 0x80000000, v26
	v_mov_b32_e32 v39, v25
	v_lshrrev_b64 v[39:40], s7, v[39:40]
	v_and_b32_e32 v4, s98, v39
	v_lshl_or_b32 v4, v4, 4, v91
	ds_add_u32 v4, v119
	s_or_b64 exec, exec, s[22:23]
	v_cmp_gt_u32_e32 vcc, s24, v82
	s_and_saveexec_b64 s[22:23], vcc
	s_cbranch_execz .LBB812_635
.LBB812_650:                            ;   in Loop: Header=BB812_606 Depth=2
	v_xor_b32_e32 v40, 0x80000000, v24
	v_mov_b32_e32 v39, v23
	v_lshrrev_b64 v[39:40], s7, v[39:40]
	v_and_b32_e32 v4, s98, v39
	v_lshl_or_b32 v4, v4, 4, v91
	ds_add_u32 v4, v119
	s_or_b64 exec, exec, s[22:23]
	v_cmp_gt_u32_e32 vcc, s24, v83
	s_and_saveexec_b64 s[22:23], vcc
	s_cbranch_execz .LBB812_636
.LBB812_651:                            ;   in Loop: Header=BB812_606 Depth=2
	v_xor_b32_e32 v40, 0x80000000, v22
	v_mov_b32_e32 v39, v21
	v_lshrrev_b64 v[39:40], s7, v[39:40]
	v_and_b32_e32 v4, s98, v39
	v_lshl_or_b32 v4, v4, 4, v91
	ds_add_u32 v4, v119
	s_or_b64 exec, exec, s[22:23]
	v_cmp_gt_u32_e32 vcc, s24, v84
	s_and_saveexec_b64 s[22:23], vcc
	s_cbranch_execz .LBB812_637
.LBB812_652:                            ;   in Loop: Header=BB812_606 Depth=2
	v_xor_b32_e32 v40, 0x80000000, v20
	v_mov_b32_e32 v39, v19
	v_lshrrev_b64 v[39:40], s7, v[39:40]
	v_and_b32_e32 v4, s98, v39
	v_lshl_or_b32 v4, v4, 4, v91
	ds_add_u32 v4, v119
	s_or_b64 exec, exec, s[22:23]
	v_cmp_gt_u32_e32 vcc, s24, v85
	s_and_saveexec_b64 s[22:23], vcc
	s_cbranch_execz .LBB812_638
.LBB812_653:                            ;   in Loop: Header=BB812_606 Depth=2
	v_xor_b32_e32 v40, 0x80000000, v18
	v_mov_b32_e32 v39, v17
	v_lshrrev_b64 v[39:40], s7, v[39:40]
	v_and_b32_e32 v4, s98, v39
	v_lshl_or_b32 v4, v4, 4, v91
	ds_add_u32 v4, v119
	s_or_b64 exec, exec, s[22:23]
	v_cmp_gt_u32_e32 vcc, s24, v86
	s_and_saveexec_b64 s[22:23], vcc
	s_cbranch_execz .LBB812_639
.LBB812_654:                            ;   in Loop: Header=BB812_606 Depth=2
	v_xor_b32_e32 v40, 0x80000000, v16
	v_mov_b32_e32 v39, v15
	v_lshrrev_b64 v[39:40], s7, v[39:40]
	v_and_b32_e32 v4, s98, v39
	v_lshl_or_b32 v4, v4, 4, v91
	ds_add_u32 v4, v119
	s_or_b64 exec, exec, s[22:23]
	v_cmp_gt_u32_e32 vcc, s24, v87
	s_and_saveexec_b64 s[22:23], vcc
	s_cbranch_execz .LBB812_640
.LBB812_655:                            ;   in Loop: Header=BB812_606 Depth=2
	v_xor_b32_e32 v40, 0x80000000, v14
	v_mov_b32_e32 v39, v13
	v_lshrrev_b64 v[39:40], s7, v[39:40]
	v_and_b32_e32 v4, s98, v39
	v_lshl_or_b32 v4, v4, 4, v91
	ds_add_u32 v4, v119
	s_or_b64 exec, exec, s[22:23]
	v_cmp_gt_u32_e32 vcc, s24, v88
	s_and_saveexec_b64 s[22:23], vcc
	s_cbranch_execz .LBB812_641
.LBB812_656:                            ;   in Loop: Header=BB812_606 Depth=2
	v_xor_b32_e32 v40, 0x80000000, v12
	v_mov_b32_e32 v39, v11
	v_lshrrev_b64 v[39:40], s7, v[39:40]
	v_and_b32_e32 v4, s98, v39
	v_lshl_or_b32 v4, v4, 4, v91
	ds_add_u32 v4, v119
	s_or_b64 exec, exec, s[22:23]
	v_cmp_gt_u32_e32 vcc, s24, v89
	s_and_saveexec_b64 s[22:23], vcc
	s_cbranch_execz .LBB812_642
.LBB812_657:                            ;   in Loop: Header=BB812_606 Depth=2
	v_xor_b32_e32 v40, 0x80000000, v10
	v_mov_b32_e32 v39, v9
	v_lshrrev_b64 v[39:40], s7, v[39:40]
	v_and_b32_e32 v4, s98, v39
	v_lshl_or_b32 v4, v4, 4, v91
	ds_add_u32 v4, v119
	s_or_b64 exec, exec, s[22:23]
	v_cmp_gt_u32_e32 vcc, s24, v90
	s_and_saveexec_b64 s[22:23], vcc
	s_cbranch_execz .LBB812_605
.LBB812_658:                            ;   in Loop: Header=BB812_606 Depth=2
	v_xor_b32_e32 v40, 0x80000000, v8
	v_mov_b32_e32 v39, v7
	v_lshrrev_b64 v[39:40], s7, v[39:40]
	v_and_b32_e32 v4, s98, v39
	v_lshl_or_b32 v4, v4, 4, v91
	ds_add_u32 v4, v119
	s_branch .LBB812_605
.LBB812_659:                            ;   in Loop: Header=BB812_606 Depth=2
	global_load_dwordx2 v[37:38], v120, s[22:23]
	s_or_b64 exec, exec, s[24:25]
	v_cmp_gt_u32_e32 vcc, s8, v74
	s_and_saveexec_b64 s[24:25], vcc
	s_cbranch_execz .LBB812_611
.LBB812_660:                            ;   in Loop: Header=BB812_606 Depth=2
	global_load_dwordx2 v[35:36], v120, s[22:23] offset:2048
	s_or_b64 exec, exec, s[24:25]
	v_cmp_gt_u32_e32 vcc, s8, v77
	s_and_saveexec_b64 s[24:25], vcc
	s_cbranch_execz .LBB812_612
.LBB812_661:                            ;   in Loop: Header=BB812_606 Depth=2
	global_load_dwordx2 v[33:34], v121, s[22:23]
	s_or_b64 exec, exec, s[24:25]
	v_cmp_gt_u32_e32 vcc, s8, v78
	s_and_saveexec_b64 s[24:25], vcc
	s_cbranch_execz .LBB812_613
.LBB812_662:                            ;   in Loop: Header=BB812_606 Depth=2
	global_load_dwordx2 v[31:32], v122, s[22:23]
	s_or_b64 exec, exec, s[24:25]
	v_cmp_gt_u32_e32 vcc, s8, v79
	s_and_saveexec_b64 s[24:25], vcc
	s_cbranch_execz .LBB812_614
.LBB812_663:                            ;   in Loop: Header=BB812_606 Depth=2
	global_load_dwordx2 v[29:30], v123, s[22:23]
	s_or_b64 exec, exec, s[24:25]
	v_cmp_gt_u32_e32 vcc, s8, v80
	s_and_saveexec_b64 s[24:25], vcc
	s_cbranch_execz .LBB812_615
.LBB812_664:                            ;   in Loop: Header=BB812_606 Depth=2
	global_load_dwordx2 v[27:28], v124, s[22:23]
	s_or_b64 exec, exec, s[24:25]
	v_cmp_gt_u32_e32 vcc, s8, v81
	s_and_saveexec_b64 s[24:25], vcc
	s_cbranch_execz .LBB812_616
.LBB812_665:                            ;   in Loop: Header=BB812_606 Depth=2
	global_load_dwordx2 v[25:26], v125, s[22:23]
	s_or_b64 exec, exec, s[24:25]
	v_cmp_gt_u32_e32 vcc, s8, v82
	s_and_saveexec_b64 s[24:25], vcc
	s_cbranch_execz .LBB812_617
.LBB812_666:                            ;   in Loop: Header=BB812_606 Depth=2
	global_load_dwordx2 v[23:24], v126, s[22:23]
	s_or_b64 exec, exec, s[24:25]
	v_cmp_gt_u32_e32 vcc, s8, v83
	s_and_saveexec_b64 s[24:25], vcc
	s_cbranch_execz .LBB812_618
.LBB812_667:                            ;   in Loop: Header=BB812_606 Depth=2
	global_load_dwordx2 v[21:22], v127, s[22:23]
	s_or_b64 exec, exec, s[24:25]
	v_cmp_gt_u32_e32 vcc, s8, v84
	s_and_saveexec_b64 s[24:25], vcc
	s_cbranch_execz .LBB812_619
.LBB812_668:                            ;   in Loop: Header=BB812_606 Depth=2
	global_load_dwordx2 v[19:20], v128, s[22:23]
	s_or_b64 exec, exec, s[24:25]
	v_cmp_gt_u32_e32 vcc, s8, v85
	s_and_saveexec_b64 s[24:25], vcc
	s_cbranch_execz .LBB812_620
.LBB812_669:                            ;   in Loop: Header=BB812_606 Depth=2
	global_load_dwordx2 v[17:18], v129, s[22:23]
	s_or_b64 exec, exec, s[24:25]
	v_cmp_gt_u32_e32 vcc, s8, v86
	s_and_saveexec_b64 s[24:25], vcc
	s_cbranch_execz .LBB812_621
.LBB812_670:                            ;   in Loop: Header=BB812_606 Depth=2
	global_load_dwordx2 v[15:16], v130, s[22:23]
	s_or_b64 exec, exec, s[24:25]
	v_cmp_gt_u32_e32 vcc, s8, v87
	s_and_saveexec_b64 s[24:25], vcc
	s_cbranch_execz .LBB812_622
.LBB812_671:                            ;   in Loop: Header=BB812_606 Depth=2
	global_load_dwordx2 v[13:14], v131, s[22:23]
	s_or_b64 exec, exec, s[24:25]
	v_cmp_gt_u32_e32 vcc, s8, v88
	s_and_saveexec_b64 s[24:25], vcc
	s_cbranch_execz .LBB812_623
.LBB812_672:                            ;   in Loop: Header=BB812_606 Depth=2
	global_load_dwordx2 v[11:12], v132, s[22:23]
	s_or_b64 exec, exec, s[24:25]
	v_cmp_gt_u32_e32 vcc, s8, v89
	s_and_saveexec_b64 s[24:25], vcc
	s_cbranch_execz .LBB812_624
.LBB812_673:                            ;   in Loop: Header=BB812_606 Depth=2
	global_load_dwordx2 v[9:10], v133, s[22:23]
	s_or_b64 exec, exec, s[24:25]
	v_cmp_gt_u32_e32 vcc, s8, v90
	s_and_saveexec_b64 s[24:25], vcc
	s_cbranch_execnz .LBB812_625
	s_branch .LBB812_626
.LBB812_674:                            ;   in Loop: Header=BB812_12 Depth=1
	v_mov_b32_e32 v4, 0
	s_waitcnt lgkmcnt(0)
	s_barrier
	s_and_saveexec_b64 s[22:23], s[4:5]
	s_cbranch_execz .LBB812_676
; %bb.675:                              ;   in Loop: Header=BB812_12 Depth=1
	ds_read2_b64 v[7:10], v93 offset1:1
	s_waitcnt lgkmcnt(0)
	v_add_u32_e32 v4, v8, v7
	v_add3_u32 v4, v4, v9, v10
.LBB812_676:                            ;   in Loop: Header=BB812_12 Depth=1
	s_or_b64 exec, exec, s[22:23]
	v_and_b32_e32 v7, 15, v135
	v_mov_b32_dpp v8, v4 row_shr:1 row_mask:0xf bank_mask:0xf
	v_cmp_eq_u32_e64 s[22:23], 0, v7
	v_cndmask_b32_e64 v8, v8, 0, s[22:23]
	v_add_u32_e32 v4, v8, v4
	v_cmp_lt_u32_e64 s[24:25], 1, v7
	v_cmp_lt_u32_e64 s[26:27], 3, v7
	v_mov_b32_dpp v8, v4 row_shr:2 row_mask:0xf bank_mask:0xf
	v_cndmask_b32_e64 v8, 0, v8, s[24:25]
	v_add_u32_e32 v4, v4, v8
	v_cmp_lt_u32_e64 s[28:29], 7, v7
	v_cmp_lt_u32_e64 s[34:35], 31, v135
	v_mov_b32_dpp v8, v4 row_shr:4 row_mask:0xf bank_mask:0xf
	v_cndmask_b32_e64 v8, 0, v8, s[26:27]
	v_add_u32_e32 v4, v4, v8
	v_and_b32_e32 v9, 16, v135
	v_cmp_eq_u32_e64 s[30:31], 0, v9
	v_mov_b32_dpp v8, v4 row_shr:8 row_mask:0xf bank_mask:0xf
	v_cndmask_b32_e64 v7, 0, v8, s[28:29]
	v_add_u32_e32 v4, v4, v7
	v_bfe_i32 v8, v135, 4, 1
	s_nop 0
	v_mov_b32_dpp v7, v4 row_bcast:15 row_mask:0xf bank_mask:0xf
	v_and_b32_e32 v7, v8, v7
	v_add_u32_e32 v4, v4, v7
	s_nop 1
	v_mov_b32_dpp v7, v4 row_bcast:31 row_mask:0xf bank_mask:0xf
	v_cndmask_b32_e64 v7, 0, v7, s[34:35]
	v_add_u32_e32 v4, v4, v7
	s_mov_b64 s[36:37], exec
	v_readlane_b32 s8, v232, 1
	v_readlane_b32 s9, v232, 2
	s_and_b64 s[8:9], s[36:37], s[8:9]
	s_mov_b64 exec, s[8:9]
; %bb.677:                              ;   in Loop: Header=BB812_12 Depth=1
	ds_write_b32 v95, v4
; %bb.678:                              ;   in Loop: Header=BB812_12 Depth=1
	s_or_b64 exec, exec, s[36:37]
	s_waitcnt lgkmcnt(0)
	s_barrier
	s_and_saveexec_b64 s[36:37], s[10:11]
	s_cbranch_execz .LBB812_680
; %bb.679:                              ;   in Loop: Header=BB812_12 Depth=1
	ds_read_b32 v7, v96
	v_bfe_i32 v8, v135, 0, 1
	s_waitcnt lgkmcnt(0)
	v_mov_b32_dpp v9, v7 row_shr:1 row_mask:0xf bank_mask:0xf
	v_and_b32_e32 v8, v8, v9
	v_add_u32_e32 v7, v8, v7
	ds_write_b32 v96, v7
.LBB812_680:                            ;   in Loop: Header=BB812_12 Depth=1
	s_or_b64 exec, exec, s[36:37]
	v_mov_b32_e32 v7, 0
	s_waitcnt lgkmcnt(0)
	s_barrier
	s_and_saveexec_b64 s[36:37], s[12:13]
; %bb.681:                              ;   in Loop: Header=BB812_12 Depth=1
	ds_read_b32 v7, v97
; %bb.682:                              ;   in Loop: Header=BB812_12 Depth=1
	s_or_b64 exec, exec, s[36:37]
	v_subrev_co_u32_e64 v8, s[36:37], 1, v135
	v_and_b32_e32 v9, 64, v135
	v_cmp_lt_i32_e32 vcc, v8, v9
	v_cndmask_b32_e32 v8, v8, v135, vcc
	s_waitcnt lgkmcnt(0)
	v_add_u32_e32 v4, v7, v4
	v_lshlrev_b32_e32 v136, 2, v8
	ds_bpermute_b32 v4, v136, v4
	s_waitcnt lgkmcnt(0)
	s_barrier
	s_and_saveexec_b64 s[38:39], s[4:5]
; %bb.683:                              ;   in Loop: Header=BB812_12 Depth=1
	v_cndmask_b32_e64 v4, v4, v7, s[36:37]
	v_add_u32_e32 v4, s96, v4
	ds_write_b32 v73, v4
; %bb.684:                              ;   in Loop: Header=BB812_12 Depth=1
	s_or_b64 exec, exec, s[38:39]
	s_load_dwordx2 s[8:9], s[94:95], 0x0
	v_readlane_b32 s38, v232, 0
	v_and_b32_e32 v40, 3, v135
	v_and_b32_e32 v41, 63, v135
	v_cmp_lt_u32_e64 s[40:41], 1, v40
	s_waitcnt lgkmcnt(0)
	s_cmp_lt_u32 s38, s9
	s_cselect_b32 s9, 14, 20
	s_add_u32 s38, s94, s9
	s_addc_u32 s39, s95, 0
	s_cmp_lt_u32 s6, s8
	s_cselect_b32 s8, 12, 18
	s_add_u32 s8, s94, s8
	global_load_ushort v4, v3, s[38:39]
	s_addc_u32 s9, s95, 0
	global_load_ushort v39, v3, s[8:9]
	v_cmp_eq_u32_e64 s[38:39], 0, v40
	v_lshlrev_b32_e32 v42, 3, v41
	v_add_co_u32_e32 v154, vcc, v115, v42
	v_addc_co_u32_e32 v155, vcc, 0, v116, vcc
	v_or_b32_e32 v153, v41, v98
	v_add_co_u32_e32 v171, vcc, v117, v42
	s_mov_b32 s91, s33
	v_or_b32_e32 v156, 64, v153
	v_or_b32_e32 v157, 0x80, v153
	;; [unrolled: 1-line block ×15, first 2 shown]
	v_addc_co_u32_e32 v172, vcc, 0, v118, vcc
	s_mov_b32 s92, s96
                                        ; implicit-def: $vgpr7_vgpr8
                                        ; implicit-def: $vgpr9_vgpr10
                                        ; implicit-def: $vgpr11_vgpr12
                                        ; implicit-def: $vgpr15_vgpr16
                                        ; implicit-def: $vgpr19_vgpr20
                                        ; implicit-def: $vgpr23_vgpr24
                                        ; implicit-def: $vgpr27_vgpr28
                                        ; implicit-def: $vgpr31_vgpr32
                                        ; implicit-def: $vgpr13_vgpr14
                                        ; implicit-def: $vgpr17_vgpr18
                                        ; implicit-def: $vgpr21_vgpr22
                                        ; implicit-def: $vgpr25_vgpr26
                                        ; implicit-def: $vgpr29_vgpr30
                                        ; implicit-def: $vgpr33_vgpr34
                                        ; implicit-def: $vgpr35_vgpr36
                                        ; implicit-def: $vgpr37_vgpr38
                                        ; implicit-def: $vgpr137
                                        ; implicit-def: $vgpr138
                                        ; implicit-def: $vgpr139
                                        ; implicit-def: $vgpr140
                                        ; implicit-def: $vgpr141
                                        ; implicit-def: $vgpr142
                                        ; implicit-def: $vgpr143
                                        ; implicit-def: $vgpr144
                                        ; implicit-def: $vgpr145
                                        ; implicit-def: $vgpr146
                                        ; implicit-def: $vgpr147
                                        ; implicit-def: $vgpr148
                                        ; implicit-def: $vgpr149
                                        ; implicit-def: $vgpr150
                                        ; implicit-def: $vgpr151
                                        ; implicit-def: $vgpr152
                                        ; implicit-def: $vgpr174
                                        ; implicit-def: $vgpr175
	s_waitcnt vmcnt(1)
	v_mad_u32_u24 v4, v2, v4, v1
	s_waitcnt vmcnt(0)
	v_mad_u64_u32 v[39:40], s[8:9], v4, v39, v[0:1]
	v_lshrrev_b32_e32 v4, 4, v39
	v_and_b32_e32 v173, 0xffffffc, v4
	s_branch .LBB812_686
.LBB812_685:                            ;   in Loop: Header=BB812_686 Depth=2
	s_or_b64 exec, exec, s[42:43]
	s_addk_i32 s91, 0xf000
	s_cmp_lt_u32 s99, s97
	s_mov_b32 s92, s99
	s_cbranch_scc0 .LBB812_896
.LBB812_686:                            ;   Parent Loop BB812_12 Depth=1
                                        ; =>  This Inner Loop Header: Depth=2
	s_add_i32 s99, s92, 0x1000
	s_cmp_gt_u32 s99, s97
	s_cbranch_scc1 .LBB812_688
; %bb.687:                              ;   in Loop: Header=BB812_686 Depth=2
	s_lshl_b64 s[8:9], s[92:93], 3
	v_mov_b32_e32 v4, s9
	v_add_co_u32_e32 v55, vcc, s8, v171
	v_addc_co_u32_e32 v56, vcc, v172, v4, vcc
	v_add_co_u32_e32 v67, vcc, 0x1000, v55
	global_load_dwordx2 v[41:42], v[55:56], off
	global_load_dwordx2 v[39:40], v[55:56], off offset:512
	global_load_dwordx2 v[43:44], v[55:56], off offset:1024
	;; [unrolled: 1-line block ×7, first 2 shown]
	v_addc_co_u32_e32 v68, vcc, 0, v56, vcc
	global_load_dwordx2 v[55:56], v[67:68], off
	global_load_dwordx2 v[57:58], v[67:68], off offset:512
	global_load_dwordx2 v[59:60], v[67:68], off offset:1024
	;; [unrolled: 1-line block ×5, first 2 shown]
	s_nop 0
	global_load_dwordx2 v[67:68], v[67:68], off offset:3072
	s_mov_b64 s[42:43], -1
	s_movk_i32 s8, 0x1000
	s_cbranch_execz .LBB812_689
	s_branch .LBB812_720
.LBB812_688:                            ;   in Loop: Header=BB812_686 Depth=2
	s_mov_b64 s[42:43], 0
                                        ; implicit-def: $vgpr41_vgpr42
                                        ; implicit-def: $vgpr39_vgpr40
                                        ; implicit-def: $vgpr43_vgpr44
                                        ; implicit-def: $vgpr45_vgpr46
                                        ; implicit-def: $vgpr47_vgpr48
                                        ; implicit-def: $vgpr49_vgpr50
                                        ; implicit-def: $vgpr51_vgpr52
                                        ; implicit-def: $vgpr53_vgpr54
                                        ; implicit-def: $vgpr55_vgpr56
                                        ; implicit-def: $vgpr57_vgpr58
                                        ; implicit-def: $vgpr59_vgpr60
                                        ; implicit-def: $vgpr61_vgpr62
                                        ; implicit-def: $vgpr63_vgpr64
                                        ; implicit-def: $vgpr65_vgpr66
                                        ; implicit-def: $vgpr67_vgpr68
	s_movk_i32 s8, 0x1000
.LBB812_689:                            ;   in Loop: Header=BB812_686 Depth=2
	s_lshl_b64 s[8:9], s[92:93], 3
	v_mov_b32_e32 v4, s9
	v_add_co_u32_e32 v69, vcc, s8, v171
	s_waitcnt vmcnt(13)
	v_mov_b32_e32 v40, v6
	v_addc_co_u32_e32 v70, vcc, v172, v4, vcc
	v_mov_b32_e32 v39, v5
	v_mov_b32_e32 v42, v40
	v_cmp_gt_u32_e32 vcc, s91, v153
	v_mov_b32_e32 v41, v39
	s_and_saveexec_b64 s[42:43], vcc
	s_cbranch_execz .LBB812_691
; %bb.690:                              ;   in Loop: Header=BB812_686 Depth=2
	global_load_dwordx2 v[41:42], v[69:70], off
.LBB812_691:                            ;   in Loop: Header=BB812_686 Depth=2
	s_or_b64 exec, exec, s[42:43]
	v_cmp_gt_u32_e32 vcc, s91, v156
	s_and_saveexec_b64 s[42:43], vcc
	s_cbranch_execz .LBB812_693
; %bb.692:                              ;   in Loop: Header=BB812_686 Depth=2
	global_load_dwordx2 v[39:40], v[69:70], off offset:512
.LBB812_693:                            ;   in Loop: Header=BB812_686 Depth=2
	s_or_b64 exec, exec, s[42:43]
	s_waitcnt vmcnt(12)
	v_mov_b32_e32 v44, v6
	v_cmp_gt_u32_e32 vcc, s91, v157
	v_mov_b32_e32 v43, v5
	s_and_saveexec_b64 s[42:43], vcc
	s_cbranch_execz .LBB812_695
; %bb.694:                              ;   in Loop: Header=BB812_686 Depth=2
	global_load_dwordx2 v[43:44], v[69:70], off offset:1024
.LBB812_695:                            ;   in Loop: Header=BB812_686 Depth=2
	s_or_b64 exec, exec, s[42:43]
	s_waitcnt vmcnt(11)
	v_mov_b32_e32 v46, v6
	v_cmp_gt_u32_e32 vcc, s91, v158
	v_mov_b32_e32 v45, v5
	s_and_saveexec_b64 s[42:43], vcc
	s_cbranch_execz .LBB812_697
; %bb.696:                              ;   in Loop: Header=BB812_686 Depth=2
	global_load_dwordx2 v[45:46], v[69:70], off offset:1536
.LBB812_697:                            ;   in Loop: Header=BB812_686 Depth=2
	s_or_b64 exec, exec, s[42:43]
	s_waitcnt vmcnt(10)
	v_mov_b32_e32 v48, v6
	v_cmp_gt_u32_e32 vcc, s91, v159
	v_mov_b32_e32 v47, v5
	s_and_saveexec_b64 s[42:43], vcc
	s_cbranch_execz .LBB812_699
; %bb.698:                              ;   in Loop: Header=BB812_686 Depth=2
	global_load_dwordx2 v[47:48], v[69:70], off offset:2048
.LBB812_699:                            ;   in Loop: Header=BB812_686 Depth=2
	s_or_b64 exec, exec, s[42:43]
	s_waitcnt vmcnt(9)
	v_mov_b32_e32 v50, v6
	v_cmp_gt_u32_e32 vcc, s91, v160
	v_mov_b32_e32 v49, v5
	s_and_saveexec_b64 s[42:43], vcc
	s_cbranch_execz .LBB812_701
; %bb.700:                              ;   in Loop: Header=BB812_686 Depth=2
	global_load_dwordx2 v[49:50], v[69:70], off offset:2560
.LBB812_701:                            ;   in Loop: Header=BB812_686 Depth=2
	s_or_b64 exec, exec, s[42:43]
	s_waitcnt vmcnt(8)
	v_mov_b32_e32 v52, v6
	v_cmp_gt_u32_e32 vcc, s91, v161
	v_mov_b32_e32 v51, v5
	s_and_saveexec_b64 s[42:43], vcc
	s_cbranch_execz .LBB812_703
; %bb.702:                              ;   in Loop: Header=BB812_686 Depth=2
	global_load_dwordx2 v[51:52], v[69:70], off offset:3072
.LBB812_703:                            ;   in Loop: Header=BB812_686 Depth=2
	s_or_b64 exec, exec, s[42:43]
	s_waitcnt vmcnt(7)
	v_mov_b32_e32 v54, v6
	v_cmp_gt_u32_e32 vcc, s91, v162
	v_mov_b32_e32 v53, v5
	s_and_saveexec_b64 s[42:43], vcc
	s_cbranch_execz .LBB812_705
; %bb.704:                              ;   in Loop: Header=BB812_686 Depth=2
	global_load_dwordx2 v[53:54], v[69:70], off offset:3584
.LBB812_705:                            ;   in Loop: Header=BB812_686 Depth=2
	s_or_b64 exec, exec, s[42:43]
	s_waitcnt vmcnt(6)
	v_mov_b32_e32 v56, v6
	v_cmp_gt_u32_e32 vcc, s91, v163
	v_mov_b32_e32 v55, v5
	s_and_saveexec_b64 s[42:43], vcc
	s_cbranch_execz .LBB812_707
; %bb.706:                              ;   in Loop: Header=BB812_686 Depth=2
	v_add_co_u32_e32 v55, vcc, 0x1000, v69
	v_addc_co_u32_e32 v56, vcc, 0, v70, vcc
	global_load_dwordx2 v[55:56], v[55:56], off
.LBB812_707:                            ;   in Loop: Header=BB812_686 Depth=2
	s_or_b64 exec, exec, s[42:43]
	s_waitcnt vmcnt(5)
	v_mov_b32_e32 v58, v6
	v_cmp_gt_u32_e32 vcc, s91, v164
	v_mov_b32_e32 v57, v5
	s_and_saveexec_b64 s[42:43], vcc
	s_cbranch_execz .LBB812_709
; %bb.708:                              ;   in Loop: Header=BB812_686 Depth=2
	v_add_co_u32_e32 v57, vcc, 0x1000, v69
	v_addc_co_u32_e32 v58, vcc, 0, v70, vcc
	global_load_dwordx2 v[57:58], v[57:58], off offset:512
.LBB812_709:                            ;   in Loop: Header=BB812_686 Depth=2
	s_or_b64 exec, exec, s[42:43]
	s_waitcnt vmcnt(4)
	v_mov_b32_e32 v60, v6
	v_cmp_gt_u32_e32 vcc, s91, v165
	v_mov_b32_e32 v59, v5
	s_and_saveexec_b64 s[42:43], vcc
	s_cbranch_execz .LBB812_711
; %bb.710:                              ;   in Loop: Header=BB812_686 Depth=2
	v_add_co_u32_e32 v59, vcc, 0x1000, v69
	v_addc_co_u32_e32 v60, vcc, 0, v70, vcc
	global_load_dwordx2 v[59:60], v[59:60], off offset:1024
.LBB812_711:                            ;   in Loop: Header=BB812_686 Depth=2
	;; [unrolled: 12-line block ×6, first 2 shown]
	s_or_b64 exec, exec, s[42:43]
	s_sub_i32 s8, s97, s92
	v_cmp_gt_u32_e64 s[42:43], s91, v170
.LBB812_720:                            ;   in Loop: Header=BB812_686 Depth=2
	v_mov_b32_e32 v69, -1
	v_mov_b32_e32 v70, -1
	v_mov_b32_e32 v176, s91
	s_and_saveexec_b64 s[44:45], s[42:43]
	s_cbranch_execz .LBB812_722
; %bb.721:                              ;   in Loop: Header=BB812_686 Depth=2
	s_lshl_b64 s[42:43], s[92:93], 3
	v_mov_b32_e32 v4, s43
	v_add_co_u32_e32 v69, vcc, s42, v171
	v_addc_co_u32_e32 v4, vcc, v172, v4, vcc
	v_add_co_u32_e32 v69, vcc, 0x1000, v69
	v_addc_co_u32_e32 v70, vcc, 0, v4, vcc
	global_load_dwordx2 v[69:70], v[69:70], off offset:3584
	v_mov_b32_e32 v176, s8
	s_waitcnt vmcnt(0)
	v_xor_b32_e32 v70, 0x80000000, v70
.LBB812_722:                            ;   in Loop: Header=BB812_686 Depth=2
	s_or_b64 exec, exec, s[44:45]
	s_waitcnt vmcnt(14)
	v_xor_b32_e32 v42, 0x80000000, v42
	v_lshrrev_b64 v[71:72], s7, v[41:42]
	ds_write2_b32 v92, v3, v3 offset0:132 offset1:133
	ds_write_b32 v92, v3 offset:536
	v_and_b32_e32 v71, s98, v71
	v_and_b32_e32 v4, 1, v71
	v_add_co_u32_e32 v72, vcc, -1, v4
	v_addc_co_u32_e64 v177, s[8:9], 0, -1, vcc
	v_cmp_ne_u32_e32 vcc, 0, v4
	v_xor_b32_e32 v4, vcc_hi, v177
	v_and_b32_e32 v177, exec_hi, v4
	v_lshlrev_b32_e32 v4, 30, v71
	v_xor_b32_e32 v72, vcc_lo, v72
	v_cmp_gt_i64_e32 vcc, 0, v[3:4]
	v_not_b32_e32 v4, v4
	v_ashrrev_i32_e32 v4, 31, v4
	v_and_b32_e32 v72, exec_lo, v72
	v_xor_b32_e32 v179, vcc_hi, v4
	v_xor_b32_e32 v4, vcc_lo, v4
	v_and_b32_e32 v72, v72, v4
	v_lshlrev_b32_e32 v4, 29, v71
	v_cmp_gt_i64_e32 vcc, 0, v[3:4]
	v_not_b32_e32 v4, v4
	v_ashrrev_i32_e32 v4, 31, v4
	v_and_b32_e32 v177, v177, v179
	v_xor_b32_e32 v179, vcc_hi, v4
	v_xor_b32_e32 v4, vcc_lo, v4
	v_and_b32_e32 v72, v72, v4
	v_lshlrev_b32_e32 v4, 28, v71
	v_cmp_gt_i64_e32 vcc, 0, v[3:4]
	v_not_b32_e32 v4, v4
	v_ashrrev_i32_e32 v4, 31, v4
	v_and_b32_e32 v177, v177, v179
	;; [unrolled: 8-line block ×4, first 2 shown]
	v_xor_b32_e32 v179, vcc_hi, v4
	v_xor_b32_e32 v4, vcc_lo, v4
	v_and_b32_e32 v177, v177, v179
	v_and_b32_e32 v179, v72, v4
	v_lshlrev_b32_e32 v4, 25, v71
	v_cmp_gt_i64_e32 vcc, 0, v[3:4]
	v_not_b32_e32 v4, v4
	v_ashrrev_i32_e32 v4, 31, v4
	v_mul_u32_u24_e32 v178, 20, v71
	v_xor_b32_e32 v71, vcc_hi, v4
	v_xor_b32_e32 v4, vcc_lo, v4
	v_and_b32_e32 v72, v177, v71
	v_and_b32_e32 v71, v179, v4
	v_mbcnt_lo_u32_b32 v4, v71, 0
	v_mbcnt_hi_u32_b32 v177, v72, v4
	v_cmp_ne_u64_e32 vcc, 0, v[71:72]
	v_cmp_eq_u32_e64 s[42:43], 0, v177
	s_and_b64 s[8:9], vcc, s[42:43]
	v_add_u32_e32 v179, v173, v178
	s_waitcnt vmcnt(0) lgkmcnt(0)
	s_barrier
	; wave barrier
	s_and_saveexec_b64 s[42:43], s[8:9]
; %bb.723:                              ;   in Loop: Header=BB812_686 Depth=2
	v_bcnt_u32_b32 v4, v71, 0
	v_bcnt_u32_b32 v4, v72, v4
	ds_write_b32 v179, v4 offset:528
; %bb.724:                              ;   in Loop: Header=BB812_686 Depth=2
	s_or_b64 exec, exec, s[42:43]
	v_xor_b32_e32 v40, 0x80000000, v40
	v_lshrrev_b64 v[71:72], s7, v[39:40]
	v_and_b32_e32 v71, s98, v71
	v_mad_u32_u24 v4, v71, 20, v173
	; wave barrier
	ds_read_b32 v178, v4 offset:528
	v_and_b32_e32 v4, 1, v71
	v_add_co_u32_e32 v72, vcc, -1, v4
	v_addc_co_u32_e64 v180, s[8:9], 0, -1, vcc
	v_cmp_ne_u32_e32 vcc, 0, v4
	v_xor_b32_e32 v4, vcc_hi, v180
	v_and_b32_e32 v180, exec_hi, v4
	v_lshlrev_b32_e32 v4, 30, v71
	v_xor_b32_e32 v72, vcc_lo, v72
	v_cmp_gt_i64_e32 vcc, 0, v[3:4]
	v_not_b32_e32 v4, v4
	v_ashrrev_i32_e32 v4, 31, v4
	v_and_b32_e32 v72, exec_lo, v72
	v_xor_b32_e32 v182, vcc_hi, v4
	v_xor_b32_e32 v4, vcc_lo, v4
	v_and_b32_e32 v72, v72, v4
	v_lshlrev_b32_e32 v4, 29, v71
	v_cmp_gt_i64_e32 vcc, 0, v[3:4]
	v_not_b32_e32 v4, v4
	v_ashrrev_i32_e32 v4, 31, v4
	v_and_b32_e32 v180, v180, v182
	v_xor_b32_e32 v182, vcc_hi, v4
	v_xor_b32_e32 v4, vcc_lo, v4
	v_and_b32_e32 v72, v72, v4
	v_lshlrev_b32_e32 v4, 28, v71
	v_cmp_gt_i64_e32 vcc, 0, v[3:4]
	v_not_b32_e32 v4, v4
	v_ashrrev_i32_e32 v4, 31, v4
	v_and_b32_e32 v180, v180, v182
	v_xor_b32_e32 v182, vcc_hi, v4
	v_xor_b32_e32 v4, vcc_lo, v4
	v_and_b32_e32 v72, v72, v4
	v_lshlrev_b32_e32 v4, 27, v71
	v_cmp_gt_i64_e32 vcc, 0, v[3:4]
	v_not_b32_e32 v4, v4
	v_ashrrev_i32_e32 v4, 31, v4
	v_and_b32_e32 v180, v180, v182
	v_xor_b32_e32 v182, vcc_hi, v4
	v_xor_b32_e32 v4, vcc_lo, v4
	v_and_b32_e32 v72, v72, v4
	v_lshlrev_b32_e32 v4, 26, v71
	v_cmp_gt_i64_e32 vcc, 0, v[3:4]
	v_not_b32_e32 v4, v4
	v_ashrrev_i32_e32 v4, 31, v4
	v_and_b32_e32 v180, v180, v182
	v_xor_b32_e32 v182, vcc_hi, v4
	v_xor_b32_e32 v4, vcc_lo, v4
	v_and_b32_e32 v180, v180, v182
	v_and_b32_e32 v182, v72, v4
	v_lshlrev_b32_e32 v4, 25, v71
	v_cmp_gt_i64_e32 vcc, 0, v[3:4]
	v_not_b32_e32 v4, v4
	v_ashrrev_i32_e32 v4, 31, v4
	v_mul_u32_u24_e32 v181, 20, v71
	v_xor_b32_e32 v71, vcc_hi, v4
	v_xor_b32_e32 v4, vcc_lo, v4
	v_and_b32_e32 v72, v180, v71
	v_and_b32_e32 v71, v182, v4
	v_mbcnt_lo_u32_b32 v4, v71, 0
	v_mbcnt_hi_u32_b32 v180, v72, v4
	v_cmp_ne_u64_e32 vcc, 0, v[71:72]
	v_cmp_eq_u32_e64 s[42:43], 0, v180
	s_and_b64 s[8:9], vcc, s[42:43]
	v_add_u32_e32 v182, v173, v181
	; wave barrier
	s_and_saveexec_b64 s[42:43], s[8:9]
	s_cbranch_execz .LBB812_726
; %bb.725:                              ;   in Loop: Header=BB812_686 Depth=2
	v_bcnt_u32_b32 v4, v71, 0
	v_bcnt_u32_b32 v4, v72, v4
	s_waitcnt lgkmcnt(0)
	v_add_u32_e32 v4, v178, v4
	ds_write_b32 v182, v4 offset:528
.LBB812_726:                            ;   in Loop: Header=BB812_686 Depth=2
	s_or_b64 exec, exec, s[42:43]
	v_xor_b32_e32 v44, 0x80000000, v44
	v_lshrrev_b64 v[71:72], s7, v[43:44]
	v_and_b32_e32 v71, s98, v71
	v_mad_u32_u24 v4, v71, 20, v173
	; wave barrier
	ds_read_b32 v181, v4 offset:528
	v_and_b32_e32 v4, 1, v71
	v_add_co_u32_e32 v72, vcc, -1, v4
	v_addc_co_u32_e64 v183, s[8:9], 0, -1, vcc
	v_cmp_ne_u32_e32 vcc, 0, v4
	v_xor_b32_e32 v4, vcc_hi, v183
	v_and_b32_e32 v183, exec_hi, v4
	v_lshlrev_b32_e32 v4, 30, v71
	v_xor_b32_e32 v72, vcc_lo, v72
	v_cmp_gt_i64_e32 vcc, 0, v[3:4]
	v_not_b32_e32 v4, v4
	v_ashrrev_i32_e32 v4, 31, v4
	v_and_b32_e32 v72, exec_lo, v72
	v_xor_b32_e32 v185, vcc_hi, v4
	v_xor_b32_e32 v4, vcc_lo, v4
	v_and_b32_e32 v72, v72, v4
	v_lshlrev_b32_e32 v4, 29, v71
	v_cmp_gt_i64_e32 vcc, 0, v[3:4]
	v_not_b32_e32 v4, v4
	v_ashrrev_i32_e32 v4, 31, v4
	v_and_b32_e32 v183, v183, v185
	v_xor_b32_e32 v185, vcc_hi, v4
	v_xor_b32_e32 v4, vcc_lo, v4
	v_and_b32_e32 v72, v72, v4
	v_lshlrev_b32_e32 v4, 28, v71
	v_cmp_gt_i64_e32 vcc, 0, v[3:4]
	v_not_b32_e32 v4, v4
	v_ashrrev_i32_e32 v4, 31, v4
	v_and_b32_e32 v183, v183, v185
	v_xor_b32_e32 v185, vcc_hi, v4
	v_xor_b32_e32 v4, vcc_lo, v4
	v_and_b32_e32 v72, v72, v4
	v_lshlrev_b32_e32 v4, 27, v71
	v_cmp_gt_i64_e32 vcc, 0, v[3:4]
	v_not_b32_e32 v4, v4
	v_ashrrev_i32_e32 v4, 31, v4
	v_and_b32_e32 v183, v183, v185
	v_xor_b32_e32 v185, vcc_hi, v4
	v_xor_b32_e32 v4, vcc_lo, v4
	v_and_b32_e32 v72, v72, v4
	v_lshlrev_b32_e32 v4, 26, v71
	v_cmp_gt_i64_e32 vcc, 0, v[3:4]
	v_not_b32_e32 v4, v4
	v_ashrrev_i32_e32 v4, 31, v4
	v_and_b32_e32 v183, v183, v185
	v_xor_b32_e32 v185, vcc_hi, v4
	v_xor_b32_e32 v4, vcc_lo, v4
	v_and_b32_e32 v183, v183, v185
	v_and_b32_e32 v185, v72, v4
	v_lshlrev_b32_e32 v4, 25, v71
	v_cmp_gt_i64_e32 vcc, 0, v[3:4]
	v_not_b32_e32 v4, v4
	v_ashrrev_i32_e32 v4, 31, v4
	v_mul_u32_u24_e32 v184, 20, v71
	v_xor_b32_e32 v71, vcc_hi, v4
	v_xor_b32_e32 v4, vcc_lo, v4
	v_and_b32_e32 v72, v183, v71
	v_and_b32_e32 v71, v185, v4
	v_mbcnt_lo_u32_b32 v4, v71, 0
	v_mbcnt_hi_u32_b32 v183, v72, v4
	v_cmp_ne_u64_e32 vcc, 0, v[71:72]
	v_cmp_eq_u32_e64 s[42:43], 0, v183
	s_and_b64 s[8:9], vcc, s[42:43]
	v_add_u32_e32 v185, v173, v184
	; wave barrier
	s_and_saveexec_b64 s[42:43], s[8:9]
	s_cbranch_execz .LBB812_728
; %bb.727:                              ;   in Loop: Header=BB812_686 Depth=2
	v_bcnt_u32_b32 v4, v71, 0
	v_bcnt_u32_b32 v4, v72, v4
	s_waitcnt lgkmcnt(0)
	v_add_u32_e32 v4, v181, v4
	ds_write_b32 v185, v4 offset:528
.LBB812_728:                            ;   in Loop: Header=BB812_686 Depth=2
	s_or_b64 exec, exec, s[42:43]
	v_xor_b32_e32 v46, 0x80000000, v46
	v_lshrrev_b64 v[71:72], s7, v[45:46]
	v_and_b32_e32 v71, s98, v71
	v_mad_u32_u24 v4, v71, 20, v173
	; wave barrier
	ds_read_b32 v184, v4 offset:528
	v_and_b32_e32 v4, 1, v71
	v_add_co_u32_e32 v72, vcc, -1, v4
	v_addc_co_u32_e64 v186, s[8:9], 0, -1, vcc
	v_cmp_ne_u32_e32 vcc, 0, v4
	v_xor_b32_e32 v4, vcc_hi, v186
	v_and_b32_e32 v186, exec_hi, v4
	v_lshlrev_b32_e32 v4, 30, v71
	v_xor_b32_e32 v72, vcc_lo, v72
	v_cmp_gt_i64_e32 vcc, 0, v[3:4]
	v_not_b32_e32 v4, v4
	v_ashrrev_i32_e32 v4, 31, v4
	v_and_b32_e32 v72, exec_lo, v72
	v_xor_b32_e32 v188, vcc_hi, v4
	v_xor_b32_e32 v4, vcc_lo, v4
	v_and_b32_e32 v72, v72, v4
	v_lshlrev_b32_e32 v4, 29, v71
	v_cmp_gt_i64_e32 vcc, 0, v[3:4]
	v_not_b32_e32 v4, v4
	v_ashrrev_i32_e32 v4, 31, v4
	v_and_b32_e32 v186, v186, v188
	v_xor_b32_e32 v188, vcc_hi, v4
	v_xor_b32_e32 v4, vcc_lo, v4
	v_and_b32_e32 v72, v72, v4
	v_lshlrev_b32_e32 v4, 28, v71
	v_cmp_gt_i64_e32 vcc, 0, v[3:4]
	v_not_b32_e32 v4, v4
	v_ashrrev_i32_e32 v4, 31, v4
	v_and_b32_e32 v186, v186, v188
	;; [unrolled: 8-line block ×4, first 2 shown]
	v_xor_b32_e32 v188, vcc_hi, v4
	v_xor_b32_e32 v4, vcc_lo, v4
	v_and_b32_e32 v186, v186, v188
	v_and_b32_e32 v188, v72, v4
	v_lshlrev_b32_e32 v4, 25, v71
	v_cmp_gt_i64_e32 vcc, 0, v[3:4]
	v_not_b32_e32 v4, v4
	v_ashrrev_i32_e32 v4, 31, v4
	v_mul_u32_u24_e32 v187, 20, v71
	v_xor_b32_e32 v71, vcc_hi, v4
	v_xor_b32_e32 v4, vcc_lo, v4
	v_and_b32_e32 v72, v186, v71
	v_and_b32_e32 v71, v188, v4
	v_mbcnt_lo_u32_b32 v4, v71, 0
	v_mbcnt_hi_u32_b32 v186, v72, v4
	v_cmp_ne_u64_e32 vcc, 0, v[71:72]
	v_cmp_eq_u32_e64 s[42:43], 0, v186
	s_and_b64 s[8:9], vcc, s[42:43]
	v_add_u32_e32 v188, v173, v187
	; wave barrier
	s_and_saveexec_b64 s[42:43], s[8:9]
	s_cbranch_execz .LBB812_730
; %bb.729:                              ;   in Loop: Header=BB812_686 Depth=2
	v_bcnt_u32_b32 v4, v71, 0
	v_bcnt_u32_b32 v4, v72, v4
	s_waitcnt lgkmcnt(0)
	v_add_u32_e32 v4, v184, v4
	ds_write_b32 v188, v4 offset:528
.LBB812_730:                            ;   in Loop: Header=BB812_686 Depth=2
	s_or_b64 exec, exec, s[42:43]
	v_xor_b32_e32 v48, 0x80000000, v48
	v_lshrrev_b64 v[71:72], s7, v[47:48]
	v_and_b32_e32 v71, s98, v71
	v_mad_u32_u24 v4, v71, 20, v173
	; wave barrier
	ds_read_b32 v187, v4 offset:528
	v_and_b32_e32 v4, 1, v71
	v_add_co_u32_e32 v72, vcc, -1, v4
	v_addc_co_u32_e64 v189, s[8:9], 0, -1, vcc
	v_cmp_ne_u32_e32 vcc, 0, v4
	v_xor_b32_e32 v4, vcc_hi, v189
	v_and_b32_e32 v189, exec_hi, v4
	v_lshlrev_b32_e32 v4, 30, v71
	v_xor_b32_e32 v72, vcc_lo, v72
	v_cmp_gt_i64_e32 vcc, 0, v[3:4]
	v_not_b32_e32 v4, v4
	v_ashrrev_i32_e32 v4, 31, v4
	v_and_b32_e32 v72, exec_lo, v72
	v_xor_b32_e32 v191, vcc_hi, v4
	v_xor_b32_e32 v4, vcc_lo, v4
	v_and_b32_e32 v72, v72, v4
	v_lshlrev_b32_e32 v4, 29, v71
	v_cmp_gt_i64_e32 vcc, 0, v[3:4]
	v_not_b32_e32 v4, v4
	v_ashrrev_i32_e32 v4, 31, v4
	v_and_b32_e32 v189, v189, v191
	v_xor_b32_e32 v191, vcc_hi, v4
	v_xor_b32_e32 v4, vcc_lo, v4
	v_and_b32_e32 v72, v72, v4
	v_lshlrev_b32_e32 v4, 28, v71
	v_cmp_gt_i64_e32 vcc, 0, v[3:4]
	v_not_b32_e32 v4, v4
	v_ashrrev_i32_e32 v4, 31, v4
	v_and_b32_e32 v189, v189, v191
	;; [unrolled: 8-line block ×4, first 2 shown]
	v_xor_b32_e32 v191, vcc_hi, v4
	v_xor_b32_e32 v4, vcc_lo, v4
	v_and_b32_e32 v189, v189, v191
	v_and_b32_e32 v191, v72, v4
	v_lshlrev_b32_e32 v4, 25, v71
	v_cmp_gt_i64_e32 vcc, 0, v[3:4]
	v_not_b32_e32 v4, v4
	v_ashrrev_i32_e32 v4, 31, v4
	v_mul_u32_u24_e32 v190, 20, v71
	v_xor_b32_e32 v71, vcc_hi, v4
	v_xor_b32_e32 v4, vcc_lo, v4
	v_and_b32_e32 v72, v189, v71
	v_and_b32_e32 v71, v191, v4
	v_mbcnt_lo_u32_b32 v4, v71, 0
	v_mbcnt_hi_u32_b32 v189, v72, v4
	v_cmp_ne_u64_e32 vcc, 0, v[71:72]
	v_cmp_eq_u32_e64 s[42:43], 0, v189
	s_and_b64 s[8:9], vcc, s[42:43]
	v_add_u32_e32 v191, v173, v190
	; wave barrier
	s_and_saveexec_b64 s[42:43], s[8:9]
	s_cbranch_execz .LBB812_732
; %bb.731:                              ;   in Loop: Header=BB812_686 Depth=2
	v_bcnt_u32_b32 v4, v71, 0
	v_bcnt_u32_b32 v4, v72, v4
	s_waitcnt lgkmcnt(0)
	v_add_u32_e32 v4, v187, v4
	ds_write_b32 v191, v4 offset:528
.LBB812_732:                            ;   in Loop: Header=BB812_686 Depth=2
	s_or_b64 exec, exec, s[42:43]
	v_xor_b32_e32 v50, 0x80000000, v50
	v_lshrrev_b64 v[71:72], s7, v[49:50]
	v_and_b32_e32 v71, s98, v71
	v_mad_u32_u24 v4, v71, 20, v173
	; wave barrier
	ds_read_b32 v190, v4 offset:528
	v_and_b32_e32 v4, 1, v71
	v_add_co_u32_e32 v72, vcc, -1, v4
	v_addc_co_u32_e64 v192, s[8:9], 0, -1, vcc
	v_cmp_ne_u32_e32 vcc, 0, v4
	v_xor_b32_e32 v4, vcc_hi, v192
	v_and_b32_e32 v192, exec_hi, v4
	v_lshlrev_b32_e32 v4, 30, v71
	v_xor_b32_e32 v72, vcc_lo, v72
	v_cmp_gt_i64_e32 vcc, 0, v[3:4]
	v_not_b32_e32 v4, v4
	v_ashrrev_i32_e32 v4, 31, v4
	v_and_b32_e32 v72, exec_lo, v72
	v_xor_b32_e32 v194, vcc_hi, v4
	v_xor_b32_e32 v4, vcc_lo, v4
	v_and_b32_e32 v72, v72, v4
	v_lshlrev_b32_e32 v4, 29, v71
	v_cmp_gt_i64_e32 vcc, 0, v[3:4]
	v_not_b32_e32 v4, v4
	v_ashrrev_i32_e32 v4, 31, v4
	v_and_b32_e32 v192, v192, v194
	v_xor_b32_e32 v194, vcc_hi, v4
	v_xor_b32_e32 v4, vcc_lo, v4
	v_and_b32_e32 v72, v72, v4
	v_lshlrev_b32_e32 v4, 28, v71
	v_cmp_gt_i64_e32 vcc, 0, v[3:4]
	v_not_b32_e32 v4, v4
	v_ashrrev_i32_e32 v4, 31, v4
	v_and_b32_e32 v192, v192, v194
	;; [unrolled: 8-line block ×4, first 2 shown]
	v_xor_b32_e32 v194, vcc_hi, v4
	v_xor_b32_e32 v4, vcc_lo, v4
	v_and_b32_e32 v192, v192, v194
	v_and_b32_e32 v194, v72, v4
	v_lshlrev_b32_e32 v4, 25, v71
	v_cmp_gt_i64_e32 vcc, 0, v[3:4]
	v_not_b32_e32 v4, v4
	v_ashrrev_i32_e32 v4, 31, v4
	v_mul_u32_u24_e32 v193, 20, v71
	v_xor_b32_e32 v71, vcc_hi, v4
	v_xor_b32_e32 v4, vcc_lo, v4
	v_and_b32_e32 v72, v192, v71
	v_and_b32_e32 v71, v194, v4
	v_mbcnt_lo_u32_b32 v4, v71, 0
	v_mbcnt_hi_u32_b32 v192, v72, v4
	v_cmp_ne_u64_e32 vcc, 0, v[71:72]
	v_cmp_eq_u32_e64 s[42:43], 0, v192
	s_and_b64 s[8:9], vcc, s[42:43]
	v_add_u32_e32 v194, v173, v193
	; wave barrier
	s_and_saveexec_b64 s[42:43], s[8:9]
	s_cbranch_execz .LBB812_734
; %bb.733:                              ;   in Loop: Header=BB812_686 Depth=2
	v_bcnt_u32_b32 v4, v71, 0
	v_bcnt_u32_b32 v4, v72, v4
	s_waitcnt lgkmcnt(0)
	v_add_u32_e32 v4, v190, v4
	ds_write_b32 v194, v4 offset:528
.LBB812_734:                            ;   in Loop: Header=BB812_686 Depth=2
	s_or_b64 exec, exec, s[42:43]
	v_xor_b32_e32 v52, 0x80000000, v52
	v_lshrrev_b64 v[71:72], s7, v[51:52]
	v_and_b32_e32 v71, s98, v71
	v_mad_u32_u24 v4, v71, 20, v173
	; wave barrier
	ds_read_b32 v193, v4 offset:528
	v_and_b32_e32 v4, 1, v71
	v_add_co_u32_e32 v72, vcc, -1, v4
	v_addc_co_u32_e64 v195, s[8:9], 0, -1, vcc
	v_cmp_ne_u32_e32 vcc, 0, v4
	v_xor_b32_e32 v4, vcc_hi, v195
	v_and_b32_e32 v195, exec_hi, v4
	v_lshlrev_b32_e32 v4, 30, v71
	v_xor_b32_e32 v72, vcc_lo, v72
	v_cmp_gt_i64_e32 vcc, 0, v[3:4]
	v_not_b32_e32 v4, v4
	v_ashrrev_i32_e32 v4, 31, v4
	v_and_b32_e32 v72, exec_lo, v72
	v_xor_b32_e32 v197, vcc_hi, v4
	v_xor_b32_e32 v4, vcc_lo, v4
	v_and_b32_e32 v72, v72, v4
	v_lshlrev_b32_e32 v4, 29, v71
	v_cmp_gt_i64_e32 vcc, 0, v[3:4]
	v_not_b32_e32 v4, v4
	v_ashrrev_i32_e32 v4, 31, v4
	v_and_b32_e32 v195, v195, v197
	v_xor_b32_e32 v197, vcc_hi, v4
	v_xor_b32_e32 v4, vcc_lo, v4
	v_and_b32_e32 v72, v72, v4
	v_lshlrev_b32_e32 v4, 28, v71
	v_cmp_gt_i64_e32 vcc, 0, v[3:4]
	v_not_b32_e32 v4, v4
	v_ashrrev_i32_e32 v4, 31, v4
	v_and_b32_e32 v195, v195, v197
	;; [unrolled: 8-line block ×4, first 2 shown]
	v_xor_b32_e32 v197, vcc_hi, v4
	v_xor_b32_e32 v4, vcc_lo, v4
	v_and_b32_e32 v195, v195, v197
	v_and_b32_e32 v197, v72, v4
	v_lshlrev_b32_e32 v4, 25, v71
	v_cmp_gt_i64_e32 vcc, 0, v[3:4]
	v_not_b32_e32 v4, v4
	v_ashrrev_i32_e32 v4, 31, v4
	v_mul_u32_u24_e32 v196, 20, v71
	v_xor_b32_e32 v71, vcc_hi, v4
	v_xor_b32_e32 v4, vcc_lo, v4
	v_and_b32_e32 v72, v195, v71
	v_and_b32_e32 v71, v197, v4
	v_mbcnt_lo_u32_b32 v4, v71, 0
	v_mbcnt_hi_u32_b32 v195, v72, v4
	v_cmp_ne_u64_e32 vcc, 0, v[71:72]
	v_cmp_eq_u32_e64 s[42:43], 0, v195
	s_and_b64 s[8:9], vcc, s[42:43]
	v_add_u32_e32 v197, v173, v196
	; wave barrier
	s_and_saveexec_b64 s[42:43], s[8:9]
	s_cbranch_execz .LBB812_736
; %bb.735:                              ;   in Loop: Header=BB812_686 Depth=2
	v_bcnt_u32_b32 v4, v71, 0
	v_bcnt_u32_b32 v4, v72, v4
	s_waitcnt lgkmcnt(0)
	v_add_u32_e32 v4, v193, v4
	ds_write_b32 v197, v4 offset:528
.LBB812_736:                            ;   in Loop: Header=BB812_686 Depth=2
	s_or_b64 exec, exec, s[42:43]
	v_xor_b32_e32 v54, 0x80000000, v54
	v_lshrrev_b64 v[71:72], s7, v[53:54]
	v_and_b32_e32 v71, s98, v71
	v_mad_u32_u24 v4, v71, 20, v173
	; wave barrier
	ds_read_b32 v196, v4 offset:528
	v_and_b32_e32 v4, 1, v71
	v_add_co_u32_e32 v72, vcc, -1, v4
	v_addc_co_u32_e64 v198, s[8:9], 0, -1, vcc
	v_cmp_ne_u32_e32 vcc, 0, v4
	v_xor_b32_e32 v4, vcc_hi, v198
	v_and_b32_e32 v198, exec_hi, v4
	v_lshlrev_b32_e32 v4, 30, v71
	v_xor_b32_e32 v72, vcc_lo, v72
	v_cmp_gt_i64_e32 vcc, 0, v[3:4]
	v_not_b32_e32 v4, v4
	v_ashrrev_i32_e32 v4, 31, v4
	v_and_b32_e32 v72, exec_lo, v72
	v_xor_b32_e32 v200, vcc_hi, v4
	v_xor_b32_e32 v4, vcc_lo, v4
	v_and_b32_e32 v72, v72, v4
	v_lshlrev_b32_e32 v4, 29, v71
	v_cmp_gt_i64_e32 vcc, 0, v[3:4]
	v_not_b32_e32 v4, v4
	v_ashrrev_i32_e32 v4, 31, v4
	v_and_b32_e32 v198, v198, v200
	v_xor_b32_e32 v200, vcc_hi, v4
	v_xor_b32_e32 v4, vcc_lo, v4
	v_and_b32_e32 v72, v72, v4
	v_lshlrev_b32_e32 v4, 28, v71
	v_cmp_gt_i64_e32 vcc, 0, v[3:4]
	v_not_b32_e32 v4, v4
	v_ashrrev_i32_e32 v4, 31, v4
	v_and_b32_e32 v198, v198, v200
	v_xor_b32_e32 v200, vcc_hi, v4
	v_xor_b32_e32 v4, vcc_lo, v4
	v_and_b32_e32 v72, v72, v4
	v_lshlrev_b32_e32 v4, 27, v71
	v_cmp_gt_i64_e32 vcc, 0, v[3:4]
	v_not_b32_e32 v4, v4
	v_ashrrev_i32_e32 v4, 31, v4
	v_and_b32_e32 v198, v198, v200
	v_xor_b32_e32 v200, vcc_hi, v4
	v_xor_b32_e32 v4, vcc_lo, v4
	v_and_b32_e32 v72, v72, v4
	v_lshlrev_b32_e32 v4, 26, v71
	v_cmp_gt_i64_e32 vcc, 0, v[3:4]
	v_not_b32_e32 v4, v4
	v_ashrrev_i32_e32 v4, 31, v4
	v_and_b32_e32 v198, v198, v200
	v_xor_b32_e32 v200, vcc_hi, v4
	v_xor_b32_e32 v4, vcc_lo, v4
	v_and_b32_e32 v198, v198, v200
	v_and_b32_e32 v200, v72, v4
	v_lshlrev_b32_e32 v4, 25, v71
	v_cmp_gt_i64_e32 vcc, 0, v[3:4]
	v_not_b32_e32 v4, v4
	v_ashrrev_i32_e32 v4, 31, v4
	v_mul_u32_u24_e32 v199, 20, v71
	v_xor_b32_e32 v71, vcc_hi, v4
	v_xor_b32_e32 v4, vcc_lo, v4
	v_and_b32_e32 v72, v198, v71
	v_and_b32_e32 v71, v200, v4
	v_mbcnt_lo_u32_b32 v4, v71, 0
	v_mbcnt_hi_u32_b32 v198, v72, v4
	v_cmp_ne_u64_e32 vcc, 0, v[71:72]
	v_cmp_eq_u32_e64 s[42:43], 0, v198
	s_and_b64 s[8:9], vcc, s[42:43]
	v_add_u32_e32 v200, v173, v199
	; wave barrier
	s_and_saveexec_b64 s[42:43], s[8:9]
	s_cbranch_execz .LBB812_738
; %bb.737:                              ;   in Loop: Header=BB812_686 Depth=2
	v_bcnt_u32_b32 v4, v71, 0
	v_bcnt_u32_b32 v4, v72, v4
	s_waitcnt lgkmcnt(0)
	v_add_u32_e32 v4, v196, v4
	ds_write_b32 v200, v4 offset:528
.LBB812_738:                            ;   in Loop: Header=BB812_686 Depth=2
	s_or_b64 exec, exec, s[42:43]
	v_xor_b32_e32 v56, 0x80000000, v56
	v_lshrrev_b64 v[71:72], s7, v[55:56]
	v_and_b32_e32 v71, s98, v71
	v_mad_u32_u24 v4, v71, 20, v173
	; wave barrier
	ds_read_b32 v199, v4 offset:528
	v_and_b32_e32 v4, 1, v71
	v_add_co_u32_e32 v72, vcc, -1, v4
	v_addc_co_u32_e64 v201, s[8:9], 0, -1, vcc
	v_cmp_ne_u32_e32 vcc, 0, v4
	v_xor_b32_e32 v4, vcc_hi, v201
	v_and_b32_e32 v201, exec_hi, v4
	v_lshlrev_b32_e32 v4, 30, v71
	v_xor_b32_e32 v72, vcc_lo, v72
	v_cmp_gt_i64_e32 vcc, 0, v[3:4]
	v_not_b32_e32 v4, v4
	v_ashrrev_i32_e32 v4, 31, v4
	v_and_b32_e32 v72, exec_lo, v72
	v_xor_b32_e32 v203, vcc_hi, v4
	v_xor_b32_e32 v4, vcc_lo, v4
	v_and_b32_e32 v72, v72, v4
	v_lshlrev_b32_e32 v4, 29, v71
	v_cmp_gt_i64_e32 vcc, 0, v[3:4]
	v_not_b32_e32 v4, v4
	v_ashrrev_i32_e32 v4, 31, v4
	v_and_b32_e32 v201, v201, v203
	v_xor_b32_e32 v203, vcc_hi, v4
	v_xor_b32_e32 v4, vcc_lo, v4
	v_and_b32_e32 v72, v72, v4
	v_lshlrev_b32_e32 v4, 28, v71
	v_cmp_gt_i64_e32 vcc, 0, v[3:4]
	v_not_b32_e32 v4, v4
	v_ashrrev_i32_e32 v4, 31, v4
	v_and_b32_e32 v201, v201, v203
	;; [unrolled: 8-line block ×4, first 2 shown]
	v_xor_b32_e32 v203, vcc_hi, v4
	v_xor_b32_e32 v4, vcc_lo, v4
	v_and_b32_e32 v201, v201, v203
	v_and_b32_e32 v203, v72, v4
	v_lshlrev_b32_e32 v4, 25, v71
	v_cmp_gt_i64_e32 vcc, 0, v[3:4]
	v_not_b32_e32 v4, v4
	v_ashrrev_i32_e32 v4, 31, v4
	v_mul_u32_u24_e32 v202, 20, v71
	v_xor_b32_e32 v71, vcc_hi, v4
	v_xor_b32_e32 v4, vcc_lo, v4
	v_and_b32_e32 v72, v201, v71
	v_and_b32_e32 v71, v203, v4
	v_mbcnt_lo_u32_b32 v4, v71, 0
	v_mbcnt_hi_u32_b32 v201, v72, v4
	v_cmp_ne_u64_e32 vcc, 0, v[71:72]
	v_cmp_eq_u32_e64 s[42:43], 0, v201
	s_and_b64 s[8:9], vcc, s[42:43]
	v_add_u32_e32 v203, v173, v202
	; wave barrier
	s_and_saveexec_b64 s[42:43], s[8:9]
	s_cbranch_execz .LBB812_740
; %bb.739:                              ;   in Loop: Header=BB812_686 Depth=2
	v_bcnt_u32_b32 v4, v71, 0
	v_bcnt_u32_b32 v4, v72, v4
	s_waitcnt lgkmcnt(0)
	v_add_u32_e32 v4, v199, v4
	ds_write_b32 v203, v4 offset:528
.LBB812_740:                            ;   in Loop: Header=BB812_686 Depth=2
	s_or_b64 exec, exec, s[42:43]
	v_xor_b32_e32 v58, 0x80000000, v58
	v_lshrrev_b64 v[71:72], s7, v[57:58]
	v_and_b32_e32 v71, s98, v71
	v_mad_u32_u24 v4, v71, 20, v173
	; wave barrier
	ds_read_b32 v202, v4 offset:528
	v_and_b32_e32 v4, 1, v71
	v_add_co_u32_e32 v72, vcc, -1, v4
	v_addc_co_u32_e64 v204, s[8:9], 0, -1, vcc
	v_cmp_ne_u32_e32 vcc, 0, v4
	v_xor_b32_e32 v4, vcc_hi, v204
	v_and_b32_e32 v204, exec_hi, v4
	v_lshlrev_b32_e32 v4, 30, v71
	v_xor_b32_e32 v72, vcc_lo, v72
	v_cmp_gt_i64_e32 vcc, 0, v[3:4]
	v_not_b32_e32 v4, v4
	v_ashrrev_i32_e32 v4, 31, v4
	v_and_b32_e32 v72, exec_lo, v72
	v_xor_b32_e32 v206, vcc_hi, v4
	v_xor_b32_e32 v4, vcc_lo, v4
	v_and_b32_e32 v72, v72, v4
	v_lshlrev_b32_e32 v4, 29, v71
	v_cmp_gt_i64_e32 vcc, 0, v[3:4]
	v_not_b32_e32 v4, v4
	v_ashrrev_i32_e32 v4, 31, v4
	v_and_b32_e32 v204, v204, v206
	v_xor_b32_e32 v206, vcc_hi, v4
	v_xor_b32_e32 v4, vcc_lo, v4
	v_and_b32_e32 v72, v72, v4
	v_lshlrev_b32_e32 v4, 28, v71
	v_cmp_gt_i64_e32 vcc, 0, v[3:4]
	v_not_b32_e32 v4, v4
	v_ashrrev_i32_e32 v4, 31, v4
	v_and_b32_e32 v204, v204, v206
	;; [unrolled: 8-line block ×4, first 2 shown]
	v_xor_b32_e32 v206, vcc_hi, v4
	v_xor_b32_e32 v4, vcc_lo, v4
	v_and_b32_e32 v204, v204, v206
	v_and_b32_e32 v206, v72, v4
	v_lshlrev_b32_e32 v4, 25, v71
	v_cmp_gt_i64_e32 vcc, 0, v[3:4]
	v_not_b32_e32 v4, v4
	v_ashrrev_i32_e32 v4, 31, v4
	v_mul_u32_u24_e32 v205, 20, v71
	v_xor_b32_e32 v71, vcc_hi, v4
	v_xor_b32_e32 v4, vcc_lo, v4
	v_and_b32_e32 v72, v204, v71
	v_and_b32_e32 v71, v206, v4
	v_mbcnt_lo_u32_b32 v4, v71, 0
	v_mbcnt_hi_u32_b32 v204, v72, v4
	v_cmp_ne_u64_e32 vcc, 0, v[71:72]
	v_cmp_eq_u32_e64 s[42:43], 0, v204
	s_and_b64 s[8:9], vcc, s[42:43]
	v_add_u32_e32 v207, v173, v205
	; wave barrier
	s_and_saveexec_b64 s[42:43], s[8:9]
	s_cbranch_execz .LBB812_742
; %bb.741:                              ;   in Loop: Header=BB812_686 Depth=2
	v_bcnt_u32_b32 v4, v71, 0
	v_bcnt_u32_b32 v4, v72, v4
	s_waitcnt lgkmcnt(0)
	v_add_u32_e32 v4, v202, v4
	ds_write_b32 v207, v4 offset:528
.LBB812_742:                            ;   in Loop: Header=BB812_686 Depth=2
	s_or_b64 exec, exec, s[42:43]
	v_xor_b32_e32 v60, 0x80000000, v60
	v_lshrrev_b64 v[71:72], s7, v[59:60]
	v_and_b32_e32 v71, s98, v71
	v_mad_u32_u24 v4, v71, 20, v173
	; wave barrier
	ds_read_b32 v205, v4 offset:528
	v_and_b32_e32 v4, 1, v71
	v_add_co_u32_e32 v72, vcc, -1, v4
	v_addc_co_u32_e64 v206, s[8:9], 0, -1, vcc
	v_cmp_ne_u32_e32 vcc, 0, v4
	v_xor_b32_e32 v4, vcc_hi, v206
	v_and_b32_e32 v206, exec_hi, v4
	v_lshlrev_b32_e32 v4, 30, v71
	v_xor_b32_e32 v72, vcc_lo, v72
	v_cmp_gt_i64_e32 vcc, 0, v[3:4]
	v_not_b32_e32 v4, v4
	v_ashrrev_i32_e32 v4, 31, v4
	v_and_b32_e32 v72, exec_lo, v72
	v_xor_b32_e32 v209, vcc_hi, v4
	v_xor_b32_e32 v4, vcc_lo, v4
	v_and_b32_e32 v72, v72, v4
	v_lshlrev_b32_e32 v4, 29, v71
	v_cmp_gt_i64_e32 vcc, 0, v[3:4]
	v_not_b32_e32 v4, v4
	v_ashrrev_i32_e32 v4, 31, v4
	v_and_b32_e32 v206, v206, v209
	v_xor_b32_e32 v209, vcc_hi, v4
	v_xor_b32_e32 v4, vcc_lo, v4
	v_and_b32_e32 v72, v72, v4
	v_lshlrev_b32_e32 v4, 28, v71
	v_cmp_gt_i64_e32 vcc, 0, v[3:4]
	v_not_b32_e32 v4, v4
	v_ashrrev_i32_e32 v4, 31, v4
	v_and_b32_e32 v206, v206, v209
	;; [unrolled: 8-line block ×4, first 2 shown]
	v_xor_b32_e32 v209, vcc_hi, v4
	v_xor_b32_e32 v4, vcc_lo, v4
	v_and_b32_e32 v206, v206, v209
	v_and_b32_e32 v209, v72, v4
	v_lshlrev_b32_e32 v4, 25, v71
	v_cmp_gt_i64_e32 vcc, 0, v[3:4]
	v_not_b32_e32 v4, v4
	v_ashrrev_i32_e32 v4, 31, v4
	v_mul_u32_u24_e32 v208, 20, v71
	v_xor_b32_e32 v71, vcc_hi, v4
	v_xor_b32_e32 v4, vcc_lo, v4
	v_and_b32_e32 v72, v206, v71
	v_and_b32_e32 v71, v209, v4
	v_mbcnt_lo_u32_b32 v4, v71, 0
	v_mbcnt_hi_u32_b32 v206, v72, v4
	v_cmp_ne_u64_e32 vcc, 0, v[71:72]
	v_cmp_eq_u32_e64 s[42:43], 0, v206
	s_and_b64 s[8:9], vcc, s[42:43]
	v_add_u32_e32 v210, v173, v208
	; wave barrier
	s_and_saveexec_b64 s[42:43], s[8:9]
	s_cbranch_execz .LBB812_744
; %bb.743:                              ;   in Loop: Header=BB812_686 Depth=2
	v_bcnt_u32_b32 v4, v71, 0
	v_bcnt_u32_b32 v4, v72, v4
	s_waitcnt lgkmcnt(0)
	v_add_u32_e32 v4, v205, v4
	ds_write_b32 v210, v4 offset:528
.LBB812_744:                            ;   in Loop: Header=BB812_686 Depth=2
	s_or_b64 exec, exec, s[42:43]
	v_xor_b32_e32 v62, 0x80000000, v62
	v_lshrrev_b64 v[71:72], s7, v[61:62]
	v_and_b32_e32 v71, s98, v71
	v_mad_u32_u24 v4, v71, 20, v173
	; wave barrier
	ds_read_b32 v208, v4 offset:528
	v_and_b32_e32 v4, 1, v71
	v_add_co_u32_e32 v72, vcc, -1, v4
	v_addc_co_u32_e64 v209, s[8:9], 0, -1, vcc
	v_cmp_ne_u32_e32 vcc, 0, v4
	v_xor_b32_e32 v4, vcc_hi, v209
	v_and_b32_e32 v209, exec_hi, v4
	v_lshlrev_b32_e32 v4, 30, v71
	v_xor_b32_e32 v72, vcc_lo, v72
	v_cmp_gt_i64_e32 vcc, 0, v[3:4]
	v_not_b32_e32 v4, v4
	v_ashrrev_i32_e32 v4, 31, v4
	v_and_b32_e32 v72, exec_lo, v72
	v_xor_b32_e32 v212, vcc_hi, v4
	v_xor_b32_e32 v4, vcc_lo, v4
	v_and_b32_e32 v72, v72, v4
	v_lshlrev_b32_e32 v4, 29, v71
	v_cmp_gt_i64_e32 vcc, 0, v[3:4]
	v_not_b32_e32 v4, v4
	v_ashrrev_i32_e32 v4, 31, v4
	v_and_b32_e32 v209, v209, v212
	v_xor_b32_e32 v212, vcc_hi, v4
	v_xor_b32_e32 v4, vcc_lo, v4
	v_and_b32_e32 v72, v72, v4
	v_lshlrev_b32_e32 v4, 28, v71
	v_cmp_gt_i64_e32 vcc, 0, v[3:4]
	v_not_b32_e32 v4, v4
	v_ashrrev_i32_e32 v4, 31, v4
	v_and_b32_e32 v209, v209, v212
	;; [unrolled: 8-line block ×4, first 2 shown]
	v_xor_b32_e32 v212, vcc_hi, v4
	v_xor_b32_e32 v4, vcc_lo, v4
	v_and_b32_e32 v209, v209, v212
	v_and_b32_e32 v212, v72, v4
	v_lshlrev_b32_e32 v4, 25, v71
	v_cmp_gt_i64_e32 vcc, 0, v[3:4]
	v_not_b32_e32 v4, v4
	v_ashrrev_i32_e32 v4, 31, v4
	v_mul_u32_u24_e32 v211, 20, v71
	v_xor_b32_e32 v71, vcc_hi, v4
	v_xor_b32_e32 v4, vcc_lo, v4
	v_and_b32_e32 v72, v209, v71
	v_and_b32_e32 v71, v212, v4
	v_mbcnt_lo_u32_b32 v4, v71, 0
	v_mbcnt_hi_u32_b32 v209, v72, v4
	v_cmp_ne_u64_e32 vcc, 0, v[71:72]
	v_cmp_eq_u32_e64 s[42:43], 0, v209
	s_and_b64 s[8:9], vcc, s[42:43]
	v_add_u32_e32 v213, v173, v211
	; wave barrier
	s_and_saveexec_b64 s[42:43], s[8:9]
	s_cbranch_execz .LBB812_746
; %bb.745:                              ;   in Loop: Header=BB812_686 Depth=2
	v_bcnt_u32_b32 v4, v71, 0
	v_bcnt_u32_b32 v4, v72, v4
	s_waitcnt lgkmcnt(0)
	v_add_u32_e32 v4, v208, v4
	ds_write_b32 v213, v4 offset:528
.LBB812_746:                            ;   in Loop: Header=BB812_686 Depth=2
	s_or_b64 exec, exec, s[42:43]
	v_xor_b32_e32 v64, 0x80000000, v64
	v_lshrrev_b64 v[71:72], s7, v[63:64]
	v_and_b32_e32 v71, s98, v71
	v_mad_u32_u24 v4, v71, 20, v173
	; wave barrier
	ds_read_b32 v211, v4 offset:528
	v_and_b32_e32 v4, 1, v71
	v_add_co_u32_e32 v72, vcc, -1, v4
	v_addc_co_u32_e64 v212, s[8:9], 0, -1, vcc
	v_cmp_ne_u32_e32 vcc, 0, v4
	v_xor_b32_e32 v4, vcc_hi, v212
	v_and_b32_e32 v212, exec_hi, v4
	v_lshlrev_b32_e32 v4, 30, v71
	v_xor_b32_e32 v72, vcc_lo, v72
	v_cmp_gt_i64_e32 vcc, 0, v[3:4]
	v_not_b32_e32 v4, v4
	v_ashrrev_i32_e32 v4, 31, v4
	v_and_b32_e32 v72, exec_lo, v72
	v_xor_b32_e32 v215, vcc_hi, v4
	v_xor_b32_e32 v4, vcc_lo, v4
	v_and_b32_e32 v72, v72, v4
	v_lshlrev_b32_e32 v4, 29, v71
	v_cmp_gt_i64_e32 vcc, 0, v[3:4]
	v_not_b32_e32 v4, v4
	v_ashrrev_i32_e32 v4, 31, v4
	v_and_b32_e32 v212, v212, v215
	v_xor_b32_e32 v215, vcc_hi, v4
	v_xor_b32_e32 v4, vcc_lo, v4
	v_and_b32_e32 v72, v72, v4
	v_lshlrev_b32_e32 v4, 28, v71
	v_cmp_gt_i64_e32 vcc, 0, v[3:4]
	v_not_b32_e32 v4, v4
	v_ashrrev_i32_e32 v4, 31, v4
	v_and_b32_e32 v212, v212, v215
	v_xor_b32_e32 v215, vcc_hi, v4
	v_xor_b32_e32 v4, vcc_lo, v4
	v_and_b32_e32 v72, v72, v4
	v_lshlrev_b32_e32 v4, 27, v71
	v_cmp_gt_i64_e32 vcc, 0, v[3:4]
	v_not_b32_e32 v4, v4
	v_ashrrev_i32_e32 v4, 31, v4
	v_and_b32_e32 v212, v212, v215
	v_xor_b32_e32 v215, vcc_hi, v4
	v_xor_b32_e32 v4, vcc_lo, v4
	v_and_b32_e32 v72, v72, v4
	v_lshlrev_b32_e32 v4, 26, v71
	v_cmp_gt_i64_e32 vcc, 0, v[3:4]
	v_not_b32_e32 v4, v4
	v_ashrrev_i32_e32 v4, 31, v4
	v_and_b32_e32 v212, v212, v215
	v_xor_b32_e32 v215, vcc_hi, v4
	v_xor_b32_e32 v4, vcc_lo, v4
	v_and_b32_e32 v212, v212, v215
	v_and_b32_e32 v215, v72, v4
	v_lshlrev_b32_e32 v4, 25, v71
	v_cmp_gt_i64_e32 vcc, 0, v[3:4]
	v_not_b32_e32 v4, v4
	v_ashrrev_i32_e32 v4, 31, v4
	v_mul_u32_u24_e32 v214, 20, v71
	v_xor_b32_e32 v71, vcc_hi, v4
	v_xor_b32_e32 v4, vcc_lo, v4
	v_and_b32_e32 v72, v212, v71
	v_and_b32_e32 v71, v215, v4
	v_mbcnt_lo_u32_b32 v4, v71, 0
	v_mbcnt_hi_u32_b32 v212, v72, v4
	v_cmp_ne_u64_e32 vcc, 0, v[71:72]
	v_cmp_eq_u32_e64 s[42:43], 0, v212
	s_and_b64 s[8:9], vcc, s[42:43]
	v_add_u32_e32 v216, v173, v214
	; wave barrier
	s_and_saveexec_b64 s[42:43], s[8:9]
	s_cbranch_execz .LBB812_748
; %bb.747:                              ;   in Loop: Header=BB812_686 Depth=2
	v_bcnt_u32_b32 v4, v71, 0
	v_bcnt_u32_b32 v4, v72, v4
	s_waitcnt lgkmcnt(0)
	v_add_u32_e32 v4, v211, v4
	ds_write_b32 v216, v4 offset:528
.LBB812_748:                            ;   in Loop: Header=BB812_686 Depth=2
	s_or_b64 exec, exec, s[42:43]
	v_xor_b32_e32 v66, 0x80000000, v66
	v_lshrrev_b64 v[71:72], s7, v[65:66]
	v_and_b32_e32 v71, s98, v71
	v_mad_u32_u24 v4, v71, 20, v173
	; wave barrier
	ds_read_b32 v214, v4 offset:528
	v_and_b32_e32 v4, 1, v71
	v_add_co_u32_e32 v72, vcc, -1, v4
	v_addc_co_u32_e64 v215, s[8:9], 0, -1, vcc
	v_cmp_ne_u32_e32 vcc, 0, v4
	v_xor_b32_e32 v4, vcc_hi, v215
	v_and_b32_e32 v215, exec_hi, v4
	v_lshlrev_b32_e32 v4, 30, v71
	v_xor_b32_e32 v72, vcc_lo, v72
	v_cmp_gt_i64_e32 vcc, 0, v[3:4]
	v_not_b32_e32 v4, v4
	v_ashrrev_i32_e32 v4, 31, v4
	v_and_b32_e32 v72, exec_lo, v72
	v_xor_b32_e32 v218, vcc_hi, v4
	v_xor_b32_e32 v4, vcc_lo, v4
	v_and_b32_e32 v72, v72, v4
	v_lshlrev_b32_e32 v4, 29, v71
	v_cmp_gt_i64_e32 vcc, 0, v[3:4]
	v_not_b32_e32 v4, v4
	v_ashrrev_i32_e32 v4, 31, v4
	v_and_b32_e32 v215, v215, v218
	v_xor_b32_e32 v218, vcc_hi, v4
	v_xor_b32_e32 v4, vcc_lo, v4
	v_and_b32_e32 v72, v72, v4
	v_lshlrev_b32_e32 v4, 28, v71
	v_cmp_gt_i64_e32 vcc, 0, v[3:4]
	v_not_b32_e32 v4, v4
	v_ashrrev_i32_e32 v4, 31, v4
	v_and_b32_e32 v215, v215, v218
	;; [unrolled: 8-line block ×4, first 2 shown]
	v_xor_b32_e32 v218, vcc_hi, v4
	v_xor_b32_e32 v4, vcc_lo, v4
	v_and_b32_e32 v215, v215, v218
	v_and_b32_e32 v218, v72, v4
	v_lshlrev_b32_e32 v4, 25, v71
	v_cmp_gt_i64_e32 vcc, 0, v[3:4]
	v_not_b32_e32 v4, v4
	v_ashrrev_i32_e32 v4, 31, v4
	v_mul_u32_u24_e32 v217, 20, v71
	v_xor_b32_e32 v71, vcc_hi, v4
	v_xor_b32_e32 v4, vcc_lo, v4
	v_and_b32_e32 v72, v215, v71
	v_and_b32_e32 v71, v218, v4
	v_mbcnt_lo_u32_b32 v4, v71, 0
	v_mbcnt_hi_u32_b32 v215, v72, v4
	v_cmp_ne_u64_e32 vcc, 0, v[71:72]
	v_cmp_eq_u32_e64 s[42:43], 0, v215
	s_and_b64 s[8:9], vcc, s[42:43]
	v_add_u32_e32 v219, v173, v217
	; wave barrier
	s_and_saveexec_b64 s[42:43], s[8:9]
	s_cbranch_execz .LBB812_750
; %bb.749:                              ;   in Loop: Header=BB812_686 Depth=2
	v_bcnt_u32_b32 v4, v71, 0
	v_bcnt_u32_b32 v4, v72, v4
	s_waitcnt lgkmcnt(0)
	v_add_u32_e32 v4, v214, v4
	ds_write_b32 v219, v4 offset:528
.LBB812_750:                            ;   in Loop: Header=BB812_686 Depth=2
	s_or_b64 exec, exec, s[42:43]
	v_xor_b32_e32 v68, 0x80000000, v68
	v_lshrrev_b64 v[71:72], s7, v[67:68]
	v_and_b32_e32 v71, s98, v71
	v_mad_u32_u24 v4, v71, 20, v173
	; wave barrier
	ds_read_b32 v217, v4 offset:528
	v_and_b32_e32 v4, 1, v71
	v_add_co_u32_e32 v72, vcc, -1, v4
	v_addc_co_u32_e64 v218, s[8:9], 0, -1, vcc
	v_cmp_ne_u32_e32 vcc, 0, v4
	v_xor_b32_e32 v4, vcc_hi, v218
	v_and_b32_e32 v218, exec_hi, v4
	v_lshlrev_b32_e32 v4, 30, v71
	v_xor_b32_e32 v72, vcc_lo, v72
	v_cmp_gt_i64_e32 vcc, 0, v[3:4]
	v_not_b32_e32 v4, v4
	v_ashrrev_i32_e32 v4, 31, v4
	v_and_b32_e32 v72, exec_lo, v72
	v_xor_b32_e32 v221, vcc_hi, v4
	v_xor_b32_e32 v4, vcc_lo, v4
	v_and_b32_e32 v72, v72, v4
	v_lshlrev_b32_e32 v4, 29, v71
	v_cmp_gt_i64_e32 vcc, 0, v[3:4]
	v_not_b32_e32 v4, v4
	v_ashrrev_i32_e32 v4, 31, v4
	v_and_b32_e32 v218, v218, v221
	v_xor_b32_e32 v221, vcc_hi, v4
	v_xor_b32_e32 v4, vcc_lo, v4
	v_and_b32_e32 v72, v72, v4
	v_lshlrev_b32_e32 v4, 28, v71
	v_cmp_gt_i64_e32 vcc, 0, v[3:4]
	v_not_b32_e32 v4, v4
	v_ashrrev_i32_e32 v4, 31, v4
	v_and_b32_e32 v218, v218, v221
	;; [unrolled: 8-line block ×4, first 2 shown]
	v_xor_b32_e32 v221, vcc_hi, v4
	v_xor_b32_e32 v4, vcc_lo, v4
	v_and_b32_e32 v218, v218, v221
	v_and_b32_e32 v221, v72, v4
	v_lshlrev_b32_e32 v4, 25, v71
	v_cmp_gt_i64_e32 vcc, 0, v[3:4]
	v_not_b32_e32 v4, v4
	v_ashrrev_i32_e32 v4, 31, v4
	v_mul_u32_u24_e32 v220, 20, v71
	v_xor_b32_e32 v71, vcc_hi, v4
	v_xor_b32_e32 v4, vcc_lo, v4
	v_and_b32_e32 v72, v218, v71
	v_and_b32_e32 v71, v221, v4
	v_mbcnt_lo_u32_b32 v4, v71, 0
	v_mbcnt_hi_u32_b32 v218, v72, v4
	v_cmp_ne_u64_e32 vcc, 0, v[71:72]
	v_cmp_eq_u32_e64 s[42:43], 0, v218
	s_and_b64 s[8:9], vcc, s[42:43]
	v_add_u32_e32 v222, v173, v220
	; wave barrier
	s_and_saveexec_b64 s[42:43], s[8:9]
	s_cbranch_execz .LBB812_752
; %bb.751:                              ;   in Loop: Header=BB812_686 Depth=2
	v_bcnt_u32_b32 v4, v71, 0
	v_bcnt_u32_b32 v4, v72, v4
	s_waitcnt lgkmcnt(0)
	v_add_u32_e32 v4, v217, v4
	ds_write_b32 v222, v4 offset:528
.LBB812_752:                            ;   in Loop: Header=BB812_686 Depth=2
	s_or_b64 exec, exec, s[42:43]
	v_lshrrev_b64 v[71:72], s7, v[69:70]
	v_and_b32_e32 v71, s98, v71
	v_mad_u32_u24 v4, v71, 20, v173
	; wave barrier
	ds_read_b32 v220, v4 offset:528
	v_and_b32_e32 v4, 1, v71
	v_add_co_u32_e32 v72, vcc, -1, v4
	v_addc_co_u32_e64 v221, s[8:9], 0, -1, vcc
	v_cmp_ne_u32_e32 vcc, 0, v4
	v_xor_b32_e32 v4, vcc_hi, v221
	v_and_b32_e32 v221, exec_hi, v4
	v_lshlrev_b32_e32 v4, 30, v71
	v_xor_b32_e32 v72, vcc_lo, v72
	v_cmp_gt_i64_e32 vcc, 0, v[3:4]
	v_not_b32_e32 v4, v4
	v_ashrrev_i32_e32 v4, 31, v4
	v_and_b32_e32 v72, exec_lo, v72
	v_xor_b32_e32 v224, vcc_hi, v4
	v_xor_b32_e32 v4, vcc_lo, v4
	v_and_b32_e32 v72, v72, v4
	v_lshlrev_b32_e32 v4, 29, v71
	v_cmp_gt_i64_e32 vcc, 0, v[3:4]
	v_not_b32_e32 v4, v4
	v_ashrrev_i32_e32 v4, 31, v4
	v_and_b32_e32 v221, v221, v224
	v_xor_b32_e32 v224, vcc_hi, v4
	v_xor_b32_e32 v4, vcc_lo, v4
	v_and_b32_e32 v72, v72, v4
	v_lshlrev_b32_e32 v4, 28, v71
	v_cmp_gt_i64_e32 vcc, 0, v[3:4]
	v_not_b32_e32 v4, v4
	v_ashrrev_i32_e32 v4, 31, v4
	v_and_b32_e32 v221, v221, v224
	v_xor_b32_e32 v224, vcc_hi, v4
	v_xor_b32_e32 v4, vcc_lo, v4
	v_and_b32_e32 v72, v72, v4
	v_lshlrev_b32_e32 v4, 27, v71
	v_cmp_gt_i64_e32 vcc, 0, v[3:4]
	v_not_b32_e32 v4, v4
	v_ashrrev_i32_e32 v4, 31, v4
	v_and_b32_e32 v221, v221, v224
	v_xor_b32_e32 v224, vcc_hi, v4
	v_xor_b32_e32 v4, vcc_lo, v4
	v_and_b32_e32 v72, v72, v4
	v_lshlrev_b32_e32 v4, 26, v71
	v_cmp_gt_i64_e32 vcc, 0, v[3:4]
	v_not_b32_e32 v4, v4
	v_ashrrev_i32_e32 v4, 31, v4
	v_and_b32_e32 v221, v221, v224
	v_xor_b32_e32 v224, vcc_hi, v4
	v_xor_b32_e32 v4, vcc_lo, v4
	v_and_b32_e32 v221, v221, v224
	v_and_b32_e32 v224, v72, v4
	v_lshlrev_b32_e32 v4, 25, v71
	v_cmp_gt_i64_e32 vcc, 0, v[3:4]
	v_not_b32_e32 v4, v4
	v_ashrrev_i32_e32 v4, 31, v4
	v_mul_u32_u24_e32 v223, 20, v71
	v_xor_b32_e32 v71, vcc_hi, v4
	v_xor_b32_e32 v4, vcc_lo, v4
	v_and_b32_e32 v72, v221, v71
	v_and_b32_e32 v71, v224, v4
	v_mbcnt_lo_u32_b32 v4, v71, 0
	v_mbcnt_hi_u32_b32 v221, v72, v4
	v_cmp_ne_u64_e32 vcc, 0, v[71:72]
	v_cmp_eq_u32_e64 s[42:43], 0, v221
	s_and_b64 s[8:9], vcc, s[42:43]
	v_add_u32_e32 v4, v173, v223
	; wave barrier
	s_and_saveexec_b64 s[42:43], s[8:9]
	s_cbranch_execz .LBB812_754
; %bb.753:                              ;   in Loop: Header=BB812_686 Depth=2
	v_bcnt_u32_b32 v71, v71, 0
	v_bcnt_u32_b32 v71, v72, v71
	s_waitcnt lgkmcnt(0)
	v_add_u32_e32 v71, v220, v71
	ds_write_b32 v4, v71 offset:528
.LBB812_754:                            ;   in Loop: Header=BB812_686 Depth=2
	s_or_b64 exec, exec, s[42:43]
	; wave barrier
	s_waitcnt lgkmcnt(0)
	s_barrier
	ds_read2_b32 v[71:72], v92 offset0:132 offset1:133
	ds_read_b32 v223, v92 offset:536
	s_waitcnt lgkmcnt(0)
	v_add3_u32 v223, v72, v71, v223
	s_nop 1
	v_mov_b32_dpp v224, v223 row_shr:1 row_mask:0xf bank_mask:0xf
	v_cndmask_b32_e64 v224, v224, 0, s[22:23]
	v_add_u32_e32 v223, v224, v223
	s_nop 1
	v_mov_b32_dpp v224, v223 row_shr:2 row_mask:0xf bank_mask:0xf
	v_cndmask_b32_e64 v224, 0, v224, s[24:25]
	v_add_u32_e32 v223, v223, v224
	;; [unrolled: 4-line block ×4, first 2 shown]
	s_nop 1
	v_mov_b32_dpp v224, v223 row_bcast:15 row_mask:0xf bank_mask:0xf
	v_cndmask_b32_e64 v224, v224, 0, s[30:31]
	v_add_u32_e32 v223, v223, v224
	s_nop 1
	v_mov_b32_dpp v224, v223 row_bcast:31 row_mask:0xf bank_mask:0xf
	v_cndmask_b32_e64 v224, 0, v224, s[34:35]
	v_add_u32_e32 v223, v223, v224
	s_and_saveexec_b64 s[42:43], s[14:15]
; %bb.755:                              ;   in Loop: Header=BB812_686 Depth=2
	ds_write_b32 v94, v223 offset:512
; %bb.756:                              ;   in Loop: Header=BB812_686 Depth=2
	s_or_b64 exec, exec, s[42:43]
	s_waitcnt lgkmcnt(0)
	s_barrier
	s_and_saveexec_b64 s[42:43], s[16:17]
	s_cbranch_execz .LBB812_758
; %bb.757:                              ;   in Loop: Header=BB812_686 Depth=2
	ds_read_b32 v224, v99 offset:512
	s_waitcnt lgkmcnt(0)
	s_nop 0
	v_mov_b32_dpp v225, v224 row_shr:1 row_mask:0xf bank_mask:0xf
	v_cndmask_b32_e64 v225, v225, 0, s[38:39]
	v_add_u32_e32 v224, v225, v224
	s_nop 1
	v_mov_b32_dpp v225, v224 row_shr:2 row_mask:0xf bank_mask:0xf
	v_cndmask_b32_e64 v225, 0, v225, s[40:41]
	v_add_u32_e32 v224, v224, v225
	ds_write_b32 v99, v224 offset:512
.LBB812_758:                            ;   in Loop: Header=BB812_686 Depth=2
	s_or_b64 exec, exec, s[42:43]
	v_mov_b32_e32 v224, 0
	s_waitcnt lgkmcnt(0)
	s_barrier
	s_and_saveexec_b64 s[42:43], s[12:13]
; %bb.759:                              ;   in Loop: Header=BB812_686 Depth=2
	ds_read_b32 v224, v94 offset:508
; %bb.760:                              ;   in Loop: Header=BB812_686 Depth=2
	s_or_b64 exec, exec, s[42:43]
	s_waitcnt lgkmcnt(0)
	v_add_u32_e32 v223, v224, v223
	ds_bpermute_b32 v223, v136, v223
	s_waitcnt lgkmcnt(0)
	v_cndmask_b32_e64 v223, v223, v224, s[36:37]
	v_cndmask_b32_e64 v223, v223, 0, s[18:19]
	v_add_u32_e32 v71, v223, v71
	v_add_u32_e32 v72, v71, v72
	ds_write2_b32 v92, v223, v71 offset0:132 offset1:133
	ds_write_b32 v92, v72 offset:536
	s_waitcnt lgkmcnt(0)
	s_barrier
	ds_read_b32 v229, v179 offset:528
	ds_read_b32 v228, v182 offset:528
	;; [unrolled: 1-line block ×16, first 2 shown]
	s_and_saveexec_b64 s[42:43], s[4:5]
	s_cbranch_execz .LBB812_764
; %bb.761:                              ;   in Loop: Header=BB812_686 Depth=2
	ds_read_b32 v174, v101 offset:528
	v_mov_b32_e32 v4, 0x1000
	s_and_saveexec_b64 s[44:45], s[20:21]
; %bb.762:                              ;   in Loop: Header=BB812_686 Depth=2
	ds_read_b32 v4, v100 offset:528
; %bb.763:                              ;   in Loop: Header=BB812_686 Depth=2
	s_or_b64 exec, exec, s[44:45]
	s_waitcnt lgkmcnt(0)
	v_sub_u32_e32 v175, v4, v174
.LBB812_764:                            ;   in Loop: Header=BB812_686 Depth=2
	s_or_b64 exec, exec, s[42:43]
	s_waitcnt lgkmcnt(0)
	s_barrier
	s_and_saveexec_b64 s[42:43], s[4:5]
	s_cbranch_execz .LBB812_766
; %bb.765:                              ;   in Loop: Header=BB812_686 Depth=2
	ds_read_b32 v4, v73
	s_waitcnt lgkmcnt(0)
	v_sub_u32_e32 v4, v4, v174
	ds_write_b32 v73, v4
.LBB812_766:                            ;   in Loop: Header=BB812_686 Depth=2
	s_or_b64 exec, exec, s[42:43]
	v_lshlrev_b32_e32 v4, 3, v177
	v_lshl_add_u32 v4, v229, 3, v4
	ds_write_b64 v4, v[41:42] offset:512
	v_lshlrev_b32_e32 v41, 3, v180
	v_lshlrev_b32_e32 v42, 3, v178
	v_lshlrev_b32_e32 v177, 3, v228
	v_add3_u32 v41, v41, v42, v177
	ds_write_b64 v41, v[39:40] offset:512
	v_lshlrev_b32_e32 v39, 3, v183
	v_lshlrev_b32_e32 v40, 3, v181
	v_lshlrev_b32_e32 v42, 3, v227
	v_add3_u32 v42, v39, v40, v42
	;; [unrolled: 5-line block ×3, first 2 shown]
	v_lshlrev_b32_e32 v39, 3, v189
	v_lshlrev_b32_e32 v40, 3, v187
	v_lshlrev_b32_e32 v44, 3, v225
	ds_write_b64 v43, v[45:46] offset:512
	v_add3_u32 v44, v39, v40, v44
	v_lshlrev_b32_e32 v39, 3, v192
	v_lshlrev_b32_e32 v40, 3, v190
	v_lshlrev_b32_e32 v45, 3, v224
	v_add3_u32 v45, v39, v40, v45
	v_lshlrev_b32_e32 v39, 3, v195
	v_lshlrev_b32_e32 v40, 3, v193
	v_lshlrev_b32_e32 v46, 3, v223
	ds_write_b64 v44, v[47:48] offset:512
	v_add3_u32 v46, v39, v40, v46
	v_lshlrev_b32_e32 v39, 3, v198
	v_lshlrev_b32_e32 v40, 3, v196
	v_lshlrev_b32_e32 v47, 3, v197
	v_add3_u32 v47, v39, v40, v47
	v_lshlrev_b32_e32 v39, 3, v201
	v_lshlrev_b32_e32 v40, 3, v199
	v_lshlrev_b32_e32 v48, 3, v194
	ds_write_b64 v45, v[49:50] offset:512
	v_add3_u32 v48, v39, v40, v48
	v_lshlrev_b32_e32 v39, 3, v204
	v_lshlrev_b32_e32 v40, 3, v202
	v_lshlrev_b32_e32 v49, 3, v191
	v_add3_u32 v49, v39, v40, v49
	v_lshlrev_b32_e32 v39, 3, v206
	v_lshlrev_b32_e32 v40, 3, v205
	v_lshlrev_b32_e32 v50, 3, v188
	ds_write_b64 v46, v[51:52] offset:512
	v_add3_u32 v50, v39, v40, v50
	v_lshlrev_b32_e32 v39, 3, v209
	v_lshlrev_b32_e32 v40, 3, v208
	v_lshlrev_b32_e32 v51, 3, v185
	v_add3_u32 v51, v39, v40, v51
	v_lshlrev_b32_e32 v39, 3, v212
	v_lshlrev_b32_e32 v40, 3, v211
	v_lshlrev_b32_e32 v52, 3, v182
	ds_write_b64 v47, v[53:54] offset:512
	v_add3_u32 v52, v39, v40, v52
	v_lshlrev_b32_e32 v39, 3, v215
	v_lshlrev_b32_e32 v40, 3, v214
	v_lshlrev_b32_e32 v53, 3, v179
	v_add3_u32 v53, v39, v40, v53
	v_lshlrev_b32_e32 v39, 3, v218
	v_lshlrev_b32_e32 v40, 3, v217
	v_lshlrev_b32_e32 v54, 3, v72
	ds_write_b64 v48, v[55:56] offset:512
	v_add3_u32 v54, v39, v40, v54
	v_lshlrev_b32_e32 v39, 3, v221
	v_lshlrev_b32_e32 v40, 3, v220
	v_lshlrev_b32_e32 v55, 3, v71
	v_add3_u32 v55, v39, v40, v55
	v_cmp_lt_u32_e64 s[42:43], v0, v176
	ds_write_b64 v49, v[57:58] offset:512
	ds_write_b64 v50, v[59:60] offset:512
	;; [unrolled: 1-line block ×7, first 2 shown]
	s_waitcnt lgkmcnt(0)
	s_barrier
	s_and_saveexec_b64 s[44:45], s[42:43]
	s_cbranch_execnz .LBB812_835
; %bb.767:                              ;   in Loop: Header=BB812_686 Depth=2
	s_or_b64 exec, exec, s[44:45]
	v_cmp_lt_u32_e64 s[44:45], v74, v176
	s_and_saveexec_b64 s[46:47], s[44:45]
	s_cbranch_execnz .LBB812_836
.LBB812_768:                            ;   in Loop: Header=BB812_686 Depth=2
	s_or_b64 exec, exec, s[46:47]
	v_cmp_lt_u32_e64 s[46:47], v77, v176
	s_and_saveexec_b64 s[48:49], s[46:47]
	s_cbranch_execnz .LBB812_837
.LBB812_769:                            ;   in Loop: Header=BB812_686 Depth=2
	s_or_b64 exec, exec, s[48:49]
	v_cmp_lt_u32_e64 s[48:49], v78, v176
	s_and_saveexec_b64 s[50:51], s[48:49]
	s_cbranch_execnz .LBB812_838
.LBB812_770:                            ;   in Loop: Header=BB812_686 Depth=2
	s_or_b64 exec, exec, s[50:51]
	v_cmp_lt_u32_e64 s[50:51], v79, v176
	s_and_saveexec_b64 s[52:53], s[50:51]
	s_cbranch_execnz .LBB812_839
.LBB812_771:                            ;   in Loop: Header=BB812_686 Depth=2
	s_or_b64 exec, exec, s[52:53]
	v_cmp_lt_u32_e64 s[52:53], v80, v176
	s_and_saveexec_b64 s[54:55], s[52:53]
	s_cbranch_execnz .LBB812_840
.LBB812_772:                            ;   in Loop: Header=BB812_686 Depth=2
	s_or_b64 exec, exec, s[54:55]
	v_cmp_lt_u32_e64 s[54:55], v81, v176
	s_and_saveexec_b64 s[56:57], s[54:55]
	s_cbranch_execnz .LBB812_841
.LBB812_773:                            ;   in Loop: Header=BB812_686 Depth=2
	s_or_b64 exec, exec, s[56:57]
	v_cmp_lt_u32_e64 s[56:57], v82, v176
	s_and_saveexec_b64 s[58:59], s[56:57]
	s_cbranch_execnz .LBB812_842
.LBB812_774:                            ;   in Loop: Header=BB812_686 Depth=2
	s_or_b64 exec, exec, s[58:59]
	v_cmp_lt_u32_e64 s[58:59], v83, v176
	s_and_saveexec_b64 s[60:61], s[58:59]
	s_cbranch_execnz .LBB812_843
.LBB812_775:                            ;   in Loop: Header=BB812_686 Depth=2
	s_or_b64 exec, exec, s[60:61]
	v_cmp_lt_u32_e64 s[60:61], v84, v176
	s_and_saveexec_b64 s[62:63], s[60:61]
	s_cbranch_execnz .LBB812_844
.LBB812_776:                            ;   in Loop: Header=BB812_686 Depth=2
	s_or_b64 exec, exec, s[62:63]
	v_cmp_lt_u32_e64 s[62:63], v85, v176
	s_and_saveexec_b64 s[64:65], s[62:63]
	s_cbranch_execnz .LBB812_845
.LBB812_777:                            ;   in Loop: Header=BB812_686 Depth=2
	s_or_b64 exec, exec, s[64:65]
	v_cmp_lt_u32_e64 s[64:65], v86, v176
	s_and_saveexec_b64 s[66:67], s[64:65]
	s_cbranch_execnz .LBB812_846
.LBB812_778:                            ;   in Loop: Header=BB812_686 Depth=2
	s_or_b64 exec, exec, s[66:67]
	v_cmp_lt_u32_e64 s[66:67], v87, v176
	s_and_saveexec_b64 s[68:69], s[66:67]
	s_cbranch_execnz .LBB812_847
.LBB812_779:                            ;   in Loop: Header=BB812_686 Depth=2
	s_or_b64 exec, exec, s[68:69]
	v_cmp_lt_u32_e64 s[68:69], v88, v176
	s_and_saveexec_b64 s[70:71], s[68:69]
	s_cbranch_execnz .LBB812_848
.LBB812_780:                            ;   in Loop: Header=BB812_686 Depth=2
	s_or_b64 exec, exec, s[70:71]
	v_cmp_lt_u32_e64 s[70:71], v89, v176
	s_and_saveexec_b64 s[72:73], s[70:71]
	s_cbranch_execnz .LBB812_849
.LBB812_781:                            ;   in Loop: Header=BB812_686 Depth=2
	s_or_b64 exec, exec, s[72:73]
	v_cmp_lt_u32_e64 s[72:73], v90, v176
	s_and_saveexec_b64 s[82:83], s[72:73]
	s_cbranch_execz .LBB812_783
.LBB812_782:                            ;   in Loop: Header=BB812_686 Depth=2
	ds_read_b64 v[39:40], v106 offset:31232
	v_mov_b32_e32 v58, s79
	s_waitcnt lgkmcnt(0)
	v_lshrrev_b64 v[56:57], s7, v[39:40]
	v_mov_b32_e32 v57, v3
	v_and_b32_e32 v56, s98, v56
	v_lshlrev_b32_e32 v56, 2, v56
	ds_read_b32 v56, v56
	v_xor_b32_e32 v40, 0x80000000, v40
	s_waitcnt lgkmcnt(0)
	v_add_u32_e32 v56, v56, v90
	v_lshlrev_b64 v[56:57], 3, v[56:57]
	v_add_co_u32_e32 v56, vcc, s78, v56
	v_addc_co_u32_e32 v57, vcc, v58, v57, vcc
	global_store_dwordx2 v[56:57], v[39:40], off
.LBB812_783:                            ;   in Loop: Header=BB812_686 Depth=2
	s_or_b64 exec, exec, s[82:83]
	s_lshl_b64 s[8:9], s[92:93], 3
	v_mov_b32_e32 v40, s9
	v_add_co_u32_e32 v39, vcc, s8, v154
	v_addc_co_u32_e32 v40, vcc, v155, v40, vcc
	v_cmp_lt_u32_e32 vcc, v153, v176
	s_and_saveexec_b64 s[8:9], vcc
	s_xor_b64 s[82:83], exec, s[8:9]
	s_cbranch_execnz .LBB812_850
; %bb.784:                              ;   in Loop: Header=BB812_686 Depth=2
	s_or_b64 exec, exec, s[82:83]
	v_cmp_lt_u32_e32 vcc, v156, v176
	s_and_saveexec_b64 s[82:83], vcc
	s_cbranch_execnz .LBB812_851
.LBB812_785:                            ;   in Loop: Header=BB812_686 Depth=2
	s_or_b64 exec, exec, s[82:83]
	v_cmp_lt_u32_e32 vcc, v157, v176
	s_and_saveexec_b64 s[82:83], vcc
	s_cbranch_execnz .LBB812_852
.LBB812_786:                            ;   in Loop: Header=BB812_686 Depth=2
	s_or_b64 exec, exec, s[82:83]
	v_cmp_lt_u32_e32 vcc, v158, v176
	s_and_saveexec_b64 s[82:83], vcc
	s_cbranch_execnz .LBB812_853
.LBB812_787:                            ;   in Loop: Header=BB812_686 Depth=2
	s_or_b64 exec, exec, s[82:83]
	v_cmp_lt_u32_e32 vcc, v159, v176
	s_and_saveexec_b64 s[82:83], vcc
	s_cbranch_execnz .LBB812_854
.LBB812_788:                            ;   in Loop: Header=BB812_686 Depth=2
	s_or_b64 exec, exec, s[82:83]
	v_cmp_lt_u32_e32 vcc, v160, v176
	s_and_saveexec_b64 s[82:83], vcc
	s_cbranch_execnz .LBB812_855
.LBB812_789:                            ;   in Loop: Header=BB812_686 Depth=2
	s_or_b64 exec, exec, s[82:83]
	v_cmp_lt_u32_e32 vcc, v161, v176
	s_and_saveexec_b64 s[82:83], vcc
	s_cbranch_execnz .LBB812_856
.LBB812_790:                            ;   in Loop: Header=BB812_686 Depth=2
	s_or_b64 exec, exec, s[82:83]
	v_cmp_lt_u32_e32 vcc, v162, v176
	s_and_saveexec_b64 s[82:83], vcc
	s_cbranch_execnz .LBB812_857
.LBB812_791:                            ;   in Loop: Header=BB812_686 Depth=2
	s_or_b64 exec, exec, s[82:83]
	v_cmp_lt_u32_e32 vcc, v163, v176
	s_and_saveexec_b64 s[82:83], vcc
	s_cbranch_execnz .LBB812_858
.LBB812_792:                            ;   in Loop: Header=BB812_686 Depth=2
	s_or_b64 exec, exec, s[82:83]
	v_cmp_lt_u32_e32 vcc, v164, v176
	s_and_saveexec_b64 s[82:83], vcc
	s_cbranch_execnz .LBB812_859
.LBB812_793:                            ;   in Loop: Header=BB812_686 Depth=2
	s_or_b64 exec, exec, s[82:83]
	v_cmp_lt_u32_e32 vcc, v165, v176
	s_and_saveexec_b64 s[82:83], vcc
	s_cbranch_execnz .LBB812_860
.LBB812_794:                            ;   in Loop: Header=BB812_686 Depth=2
	s_or_b64 exec, exec, s[82:83]
	v_cmp_lt_u32_e32 vcc, v166, v176
	s_and_saveexec_b64 s[82:83], vcc
	s_cbranch_execnz .LBB812_861
.LBB812_795:                            ;   in Loop: Header=BB812_686 Depth=2
	s_or_b64 exec, exec, s[82:83]
	v_cmp_lt_u32_e32 vcc, v167, v176
	s_and_saveexec_b64 s[82:83], vcc
	s_cbranch_execnz .LBB812_862
.LBB812_796:                            ;   in Loop: Header=BB812_686 Depth=2
	s_or_b64 exec, exec, s[82:83]
	v_cmp_lt_u32_e32 vcc, v168, v176
	s_and_saveexec_b64 s[82:83], vcc
	s_cbranch_execnz .LBB812_863
.LBB812_797:                            ;   in Loop: Header=BB812_686 Depth=2
	s_or_b64 exec, exec, s[82:83]
	v_cmp_lt_u32_e32 vcc, v169, v176
	s_and_saveexec_b64 s[82:83], vcc
	s_cbranch_execnz .LBB812_864
.LBB812_798:                            ;   in Loop: Header=BB812_686 Depth=2
	s_or_b64 exec, exec, s[82:83]
	v_cmp_lt_u32_e32 vcc, v170, v176
	s_and_saveexec_b64 s[82:83], vcc
	s_cbranch_execnz .LBB812_865
.LBB812_799:                            ;   in Loop: Header=BB812_686 Depth=2
	s_or_b64 exec, exec, s[82:83]
	s_and_saveexec_b64 s[82:83], s[42:43]
	s_cbranch_execnz .LBB812_866
.LBB812_800:                            ;   in Loop: Header=BB812_686 Depth=2
	s_or_b64 exec, exec, s[82:83]
	s_and_saveexec_b64 s[82:83], s[44:45]
	s_cbranch_execnz .LBB812_867
.LBB812_801:                            ;   in Loop: Header=BB812_686 Depth=2
	s_or_b64 exec, exec, s[82:83]
	s_and_saveexec_b64 s[82:83], s[46:47]
	s_cbranch_execnz .LBB812_868
.LBB812_802:                            ;   in Loop: Header=BB812_686 Depth=2
	s_or_b64 exec, exec, s[82:83]
	s_and_saveexec_b64 s[82:83], s[48:49]
	s_cbranch_execnz .LBB812_869
.LBB812_803:                            ;   in Loop: Header=BB812_686 Depth=2
	s_or_b64 exec, exec, s[82:83]
	s_and_saveexec_b64 s[82:83], s[50:51]
	s_cbranch_execnz .LBB812_870
.LBB812_804:                            ;   in Loop: Header=BB812_686 Depth=2
	s_or_b64 exec, exec, s[82:83]
	s_and_saveexec_b64 s[82:83], s[52:53]
	s_cbranch_execnz .LBB812_871
.LBB812_805:                            ;   in Loop: Header=BB812_686 Depth=2
	s_or_b64 exec, exec, s[82:83]
	s_and_saveexec_b64 s[82:83], s[54:55]
	s_cbranch_execnz .LBB812_872
.LBB812_806:                            ;   in Loop: Header=BB812_686 Depth=2
	s_or_b64 exec, exec, s[82:83]
	s_and_saveexec_b64 s[82:83], s[56:57]
	s_cbranch_execnz .LBB812_873
.LBB812_807:                            ;   in Loop: Header=BB812_686 Depth=2
	s_or_b64 exec, exec, s[82:83]
	s_and_saveexec_b64 s[82:83], s[58:59]
	s_cbranch_execnz .LBB812_874
.LBB812_808:                            ;   in Loop: Header=BB812_686 Depth=2
	s_or_b64 exec, exec, s[82:83]
	s_and_saveexec_b64 s[82:83], s[60:61]
	s_cbranch_execnz .LBB812_875
.LBB812_809:                            ;   in Loop: Header=BB812_686 Depth=2
	s_or_b64 exec, exec, s[82:83]
	s_and_saveexec_b64 s[82:83], s[62:63]
	s_cbranch_execnz .LBB812_876
.LBB812_810:                            ;   in Loop: Header=BB812_686 Depth=2
	s_or_b64 exec, exec, s[82:83]
	s_and_saveexec_b64 s[82:83], s[64:65]
	s_cbranch_execnz .LBB812_877
.LBB812_811:                            ;   in Loop: Header=BB812_686 Depth=2
	s_or_b64 exec, exec, s[82:83]
	s_and_saveexec_b64 s[82:83], s[66:67]
	s_cbranch_execnz .LBB812_878
.LBB812_812:                            ;   in Loop: Header=BB812_686 Depth=2
	s_or_b64 exec, exec, s[82:83]
	s_and_saveexec_b64 s[82:83], s[68:69]
	s_cbranch_execnz .LBB812_879
.LBB812_813:                            ;   in Loop: Header=BB812_686 Depth=2
	s_or_b64 exec, exec, s[82:83]
	s_and_saveexec_b64 s[82:83], s[70:71]
	s_cbranch_execnz .LBB812_880
.LBB812_814:                            ;   in Loop: Header=BB812_686 Depth=2
	s_or_b64 exec, exec, s[82:83]
	s_and_saveexec_b64 s[82:83], s[72:73]
	s_cbranch_execz .LBB812_816
.LBB812_815:                            ;   in Loop: Header=BB812_686 Depth=2
	ds_read_b64 v[39:40], v106 offset:31232
	s_waitcnt lgkmcnt(0)
	v_lshrrev_b64 v[39:40], s7, v[39:40]
	v_and_b32_e32 v137, s98, v39
.LBB812_816:                            ;   in Loop: Header=BB812_686 Depth=2
	s_or_b64 exec, exec, s[82:83]
	s_waitcnt vmcnt(0)
	s_barrier
	ds_write_b64 v4, v[37:38] offset:512
	ds_write_b64 v41, v[35:36] offset:512
	ds_write_b64 v42, v[33:34] offset:512
	ds_write_b64 v43, v[29:30] offset:512
	ds_write_b64 v44, v[25:26] offset:512
	ds_write_b64 v45, v[21:22] offset:512
	ds_write_b64 v46, v[17:18] offset:512
	ds_write_b64 v47, v[13:14] offset:512
	ds_write_b64 v48, v[31:32] offset:512
	ds_write_b64 v49, v[27:28] offset:512
	ds_write_b64 v50, v[23:24] offset:512
	ds_write_b64 v51, v[19:20] offset:512
	ds_write_b64 v52, v[15:16] offset:512
	ds_write_b64 v53, v[11:12] offset:512
	ds_write_b64 v54, v[9:10] offset:512
	ds_write_b64 v55, v[7:8] offset:512
	s_waitcnt lgkmcnt(0)
	s_barrier
	s_and_saveexec_b64 s[82:83], s[42:43]
	s_cbranch_execnz .LBB812_881
; %bb.817:                              ;   in Loop: Header=BB812_686 Depth=2
	s_or_b64 exec, exec, s[82:83]
	s_and_saveexec_b64 s[42:43], s[44:45]
	s_cbranch_execnz .LBB812_882
.LBB812_818:                            ;   in Loop: Header=BB812_686 Depth=2
	s_or_b64 exec, exec, s[42:43]
	s_and_saveexec_b64 s[42:43], s[46:47]
	s_cbranch_execnz .LBB812_883
.LBB812_819:                            ;   in Loop: Header=BB812_686 Depth=2
	s_or_b64 exec, exec, s[42:43]
	s_and_saveexec_b64 s[42:43], s[48:49]
	s_cbranch_execnz .LBB812_884
.LBB812_820:                            ;   in Loop: Header=BB812_686 Depth=2
	s_or_b64 exec, exec, s[42:43]
	s_and_saveexec_b64 s[42:43], s[50:51]
	s_cbranch_execnz .LBB812_885
.LBB812_821:                            ;   in Loop: Header=BB812_686 Depth=2
	s_or_b64 exec, exec, s[42:43]
	s_and_saveexec_b64 s[42:43], s[52:53]
	s_cbranch_execnz .LBB812_886
.LBB812_822:                            ;   in Loop: Header=BB812_686 Depth=2
	s_or_b64 exec, exec, s[42:43]
	s_and_saveexec_b64 s[42:43], s[54:55]
	s_cbranch_execnz .LBB812_887
.LBB812_823:                            ;   in Loop: Header=BB812_686 Depth=2
	s_or_b64 exec, exec, s[42:43]
	s_and_saveexec_b64 s[42:43], s[56:57]
	s_cbranch_execnz .LBB812_888
.LBB812_824:                            ;   in Loop: Header=BB812_686 Depth=2
	s_or_b64 exec, exec, s[42:43]
	s_and_saveexec_b64 s[42:43], s[58:59]
	s_cbranch_execnz .LBB812_889
.LBB812_825:                            ;   in Loop: Header=BB812_686 Depth=2
	s_or_b64 exec, exec, s[42:43]
	s_and_saveexec_b64 s[42:43], s[60:61]
	s_cbranch_execnz .LBB812_890
.LBB812_826:                            ;   in Loop: Header=BB812_686 Depth=2
	s_or_b64 exec, exec, s[42:43]
	s_and_saveexec_b64 s[42:43], s[62:63]
	s_cbranch_execnz .LBB812_891
.LBB812_827:                            ;   in Loop: Header=BB812_686 Depth=2
	s_or_b64 exec, exec, s[42:43]
	s_and_saveexec_b64 s[42:43], s[64:65]
	s_cbranch_execnz .LBB812_892
.LBB812_828:                            ;   in Loop: Header=BB812_686 Depth=2
	s_or_b64 exec, exec, s[42:43]
	s_and_saveexec_b64 s[42:43], s[66:67]
	s_cbranch_execnz .LBB812_893
.LBB812_829:                            ;   in Loop: Header=BB812_686 Depth=2
	s_or_b64 exec, exec, s[42:43]
	s_and_saveexec_b64 s[42:43], s[68:69]
	s_cbranch_execnz .LBB812_894
.LBB812_830:                            ;   in Loop: Header=BB812_686 Depth=2
	s_or_b64 exec, exec, s[42:43]
	s_and_saveexec_b64 s[42:43], s[70:71]
	s_cbranch_execnz .LBB812_895
.LBB812_831:                            ;   in Loop: Header=BB812_686 Depth=2
	s_or_b64 exec, exec, s[42:43]
	s_and_saveexec_b64 s[42:43], s[72:73]
	s_cbranch_execz .LBB812_833
.LBB812_832:                            ;   in Loop: Header=BB812_686 Depth=2
	v_lshlrev_b32_e32 v4, 2, v137
	ds_read_b32 v4, v4
	ds_read_b64 v[39:40], v106 offset:31232
	v_mov_b32_e32 v42, v3
	v_mov_b32_e32 v43, s85
	s_waitcnt lgkmcnt(1)
	v_add_u32_e32 v41, v4, v90
	v_lshlrev_b64 v[41:42], 3, v[41:42]
	v_add_co_u32_e32 v41, vcc, s84, v41
	v_addc_co_u32_e32 v42, vcc, v43, v42, vcc
	s_waitcnt lgkmcnt(0)
	global_store_dwordx2 v[41:42], v[39:40], off
.LBB812_833:                            ;   in Loop: Header=BB812_686 Depth=2
	s_or_b64 exec, exec, s[42:43]
	s_waitcnt vmcnt(0)
	s_barrier
	s_and_saveexec_b64 s[42:43], s[4:5]
	s_cbranch_execz .LBB812_685
; %bb.834:                              ;   in Loop: Header=BB812_686 Depth=2
	ds_read_b32 v4, v73
	s_waitcnt lgkmcnt(0)
	v_add3_u32 v4, v174, v175, v4
	ds_write_b32 v73, v4
	s_branch .LBB812_685
.LBB812_835:                            ;   in Loop: Header=BB812_686 Depth=2
	ds_read_b64 v[39:40], v106 offset:512
	v_mov_b32_e32 v58, s79
	s_waitcnt lgkmcnt(0)
	v_lshrrev_b64 v[56:57], s7, v[39:40]
	v_mov_b32_e32 v57, v3
	v_and_b32_e32 v56, s98, v56
	v_lshlrev_b32_e32 v56, 2, v56
	ds_read_b32 v56, v56
	v_xor_b32_e32 v40, 0x80000000, v40
	s_waitcnt lgkmcnt(0)
	v_add_u32_e32 v56, v56, v0
	v_lshlrev_b64 v[56:57], 3, v[56:57]
	v_add_co_u32_e32 v56, vcc, s78, v56
	v_addc_co_u32_e32 v57, vcc, v58, v57, vcc
	global_store_dwordx2 v[56:57], v[39:40], off
	s_or_b64 exec, exec, s[44:45]
	v_cmp_lt_u32_e64 s[44:45], v74, v176
	s_and_saveexec_b64 s[46:47], s[44:45]
	s_cbranch_execz .LBB812_768
.LBB812_836:                            ;   in Loop: Header=BB812_686 Depth=2
	ds_read_b64 v[39:40], v106 offset:2560
	v_mov_b32_e32 v58, s79
	s_waitcnt lgkmcnt(0)
	v_lshrrev_b64 v[56:57], s7, v[39:40]
	v_mov_b32_e32 v57, v3
	v_and_b32_e32 v56, s98, v56
	v_lshlrev_b32_e32 v56, 2, v56
	ds_read_b32 v56, v56
	v_xor_b32_e32 v40, 0x80000000, v40
	s_waitcnt lgkmcnt(0)
	v_add_u32_e32 v56, v56, v74
	v_lshlrev_b64 v[56:57], 3, v[56:57]
	v_add_co_u32_e32 v56, vcc, s78, v56
	v_addc_co_u32_e32 v57, vcc, v58, v57, vcc
	global_store_dwordx2 v[56:57], v[39:40], off
	s_or_b64 exec, exec, s[46:47]
	v_cmp_lt_u32_e64 s[46:47], v77, v176
	s_and_saveexec_b64 s[48:49], s[46:47]
	s_cbranch_execz .LBB812_769
.LBB812_837:                            ;   in Loop: Header=BB812_686 Depth=2
	ds_read_b64 v[39:40], v106 offset:4608
	v_mov_b32_e32 v58, s79
	s_waitcnt lgkmcnt(0)
	v_lshrrev_b64 v[56:57], s7, v[39:40]
	v_mov_b32_e32 v57, v3
	v_and_b32_e32 v56, s98, v56
	v_lshlrev_b32_e32 v56, 2, v56
	ds_read_b32 v56, v56
	v_xor_b32_e32 v40, 0x80000000, v40
	s_waitcnt lgkmcnt(0)
	v_add_u32_e32 v56, v56, v77
	v_lshlrev_b64 v[56:57], 3, v[56:57]
	v_add_co_u32_e32 v56, vcc, s78, v56
	v_addc_co_u32_e32 v57, vcc, v58, v57, vcc
	global_store_dwordx2 v[56:57], v[39:40], off
	s_or_b64 exec, exec, s[48:49]
	v_cmp_lt_u32_e64 s[48:49], v78, v176
	s_and_saveexec_b64 s[50:51], s[48:49]
	s_cbranch_execz .LBB812_770
.LBB812_838:                            ;   in Loop: Header=BB812_686 Depth=2
	ds_read_b64 v[39:40], v106 offset:6656
	v_mov_b32_e32 v58, s79
	s_waitcnt lgkmcnt(0)
	v_lshrrev_b64 v[56:57], s7, v[39:40]
	v_mov_b32_e32 v57, v3
	v_and_b32_e32 v56, s98, v56
	v_lshlrev_b32_e32 v56, 2, v56
	ds_read_b32 v56, v56
	v_xor_b32_e32 v40, 0x80000000, v40
	s_waitcnt lgkmcnt(0)
	v_add_u32_e32 v56, v56, v78
	v_lshlrev_b64 v[56:57], 3, v[56:57]
	v_add_co_u32_e32 v56, vcc, s78, v56
	v_addc_co_u32_e32 v57, vcc, v58, v57, vcc
	global_store_dwordx2 v[56:57], v[39:40], off
	s_or_b64 exec, exec, s[50:51]
	v_cmp_lt_u32_e64 s[50:51], v79, v176
	s_and_saveexec_b64 s[52:53], s[50:51]
	s_cbranch_execz .LBB812_771
.LBB812_839:                            ;   in Loop: Header=BB812_686 Depth=2
	ds_read_b64 v[39:40], v106 offset:8704
	v_mov_b32_e32 v58, s79
	s_waitcnt lgkmcnt(0)
	v_lshrrev_b64 v[56:57], s7, v[39:40]
	v_mov_b32_e32 v57, v3
	v_and_b32_e32 v56, s98, v56
	v_lshlrev_b32_e32 v56, 2, v56
	ds_read_b32 v56, v56
	v_xor_b32_e32 v40, 0x80000000, v40
	s_waitcnt lgkmcnt(0)
	v_add_u32_e32 v56, v56, v79
	v_lshlrev_b64 v[56:57], 3, v[56:57]
	v_add_co_u32_e32 v56, vcc, s78, v56
	v_addc_co_u32_e32 v57, vcc, v58, v57, vcc
	global_store_dwordx2 v[56:57], v[39:40], off
	s_or_b64 exec, exec, s[52:53]
	v_cmp_lt_u32_e64 s[52:53], v80, v176
	s_and_saveexec_b64 s[54:55], s[52:53]
	s_cbranch_execz .LBB812_772
.LBB812_840:                            ;   in Loop: Header=BB812_686 Depth=2
	ds_read_b64 v[39:40], v106 offset:10752
	v_mov_b32_e32 v58, s79
	s_waitcnt lgkmcnt(0)
	v_lshrrev_b64 v[56:57], s7, v[39:40]
	v_mov_b32_e32 v57, v3
	v_and_b32_e32 v56, s98, v56
	v_lshlrev_b32_e32 v56, 2, v56
	ds_read_b32 v56, v56
	v_xor_b32_e32 v40, 0x80000000, v40
	s_waitcnt lgkmcnt(0)
	v_add_u32_e32 v56, v56, v80
	v_lshlrev_b64 v[56:57], 3, v[56:57]
	v_add_co_u32_e32 v56, vcc, s78, v56
	v_addc_co_u32_e32 v57, vcc, v58, v57, vcc
	global_store_dwordx2 v[56:57], v[39:40], off
	s_or_b64 exec, exec, s[54:55]
	v_cmp_lt_u32_e64 s[54:55], v81, v176
	s_and_saveexec_b64 s[56:57], s[54:55]
	s_cbranch_execz .LBB812_773
.LBB812_841:                            ;   in Loop: Header=BB812_686 Depth=2
	ds_read_b64 v[39:40], v106 offset:12800
	v_mov_b32_e32 v58, s79
	s_waitcnt lgkmcnt(0)
	v_lshrrev_b64 v[56:57], s7, v[39:40]
	v_mov_b32_e32 v57, v3
	v_and_b32_e32 v56, s98, v56
	v_lshlrev_b32_e32 v56, 2, v56
	ds_read_b32 v56, v56
	v_xor_b32_e32 v40, 0x80000000, v40
	s_waitcnt lgkmcnt(0)
	v_add_u32_e32 v56, v56, v81
	v_lshlrev_b64 v[56:57], 3, v[56:57]
	v_add_co_u32_e32 v56, vcc, s78, v56
	v_addc_co_u32_e32 v57, vcc, v58, v57, vcc
	global_store_dwordx2 v[56:57], v[39:40], off
	s_or_b64 exec, exec, s[56:57]
	v_cmp_lt_u32_e64 s[56:57], v82, v176
	s_and_saveexec_b64 s[58:59], s[56:57]
	s_cbranch_execz .LBB812_774
.LBB812_842:                            ;   in Loop: Header=BB812_686 Depth=2
	ds_read_b64 v[39:40], v106 offset:14848
	v_mov_b32_e32 v58, s79
	s_waitcnt lgkmcnt(0)
	v_lshrrev_b64 v[56:57], s7, v[39:40]
	v_mov_b32_e32 v57, v3
	v_and_b32_e32 v56, s98, v56
	v_lshlrev_b32_e32 v56, 2, v56
	ds_read_b32 v56, v56
	v_xor_b32_e32 v40, 0x80000000, v40
	s_waitcnt lgkmcnt(0)
	v_add_u32_e32 v56, v56, v82
	v_lshlrev_b64 v[56:57], 3, v[56:57]
	v_add_co_u32_e32 v56, vcc, s78, v56
	v_addc_co_u32_e32 v57, vcc, v58, v57, vcc
	global_store_dwordx2 v[56:57], v[39:40], off
	s_or_b64 exec, exec, s[58:59]
	v_cmp_lt_u32_e64 s[58:59], v83, v176
	s_and_saveexec_b64 s[60:61], s[58:59]
	s_cbranch_execz .LBB812_775
.LBB812_843:                            ;   in Loop: Header=BB812_686 Depth=2
	ds_read_b64 v[39:40], v106 offset:16896
	v_mov_b32_e32 v58, s79
	s_waitcnt lgkmcnt(0)
	v_lshrrev_b64 v[56:57], s7, v[39:40]
	v_mov_b32_e32 v57, v3
	v_and_b32_e32 v56, s98, v56
	v_lshlrev_b32_e32 v56, 2, v56
	ds_read_b32 v56, v56
	v_xor_b32_e32 v40, 0x80000000, v40
	s_waitcnt lgkmcnt(0)
	v_add_u32_e32 v56, v56, v83
	v_lshlrev_b64 v[56:57], 3, v[56:57]
	v_add_co_u32_e32 v56, vcc, s78, v56
	v_addc_co_u32_e32 v57, vcc, v58, v57, vcc
	global_store_dwordx2 v[56:57], v[39:40], off
	s_or_b64 exec, exec, s[60:61]
	v_cmp_lt_u32_e64 s[60:61], v84, v176
	s_and_saveexec_b64 s[62:63], s[60:61]
	s_cbranch_execz .LBB812_776
.LBB812_844:                            ;   in Loop: Header=BB812_686 Depth=2
	ds_read_b64 v[39:40], v106 offset:18944
	v_mov_b32_e32 v58, s79
	s_waitcnt lgkmcnt(0)
	v_lshrrev_b64 v[56:57], s7, v[39:40]
	v_mov_b32_e32 v57, v3
	v_and_b32_e32 v56, s98, v56
	v_lshlrev_b32_e32 v56, 2, v56
	ds_read_b32 v56, v56
	v_xor_b32_e32 v40, 0x80000000, v40
	s_waitcnt lgkmcnt(0)
	v_add_u32_e32 v56, v56, v84
	v_lshlrev_b64 v[56:57], 3, v[56:57]
	v_add_co_u32_e32 v56, vcc, s78, v56
	v_addc_co_u32_e32 v57, vcc, v58, v57, vcc
	global_store_dwordx2 v[56:57], v[39:40], off
	s_or_b64 exec, exec, s[62:63]
	v_cmp_lt_u32_e64 s[62:63], v85, v176
	s_and_saveexec_b64 s[64:65], s[62:63]
	s_cbranch_execz .LBB812_777
.LBB812_845:                            ;   in Loop: Header=BB812_686 Depth=2
	ds_read_b64 v[39:40], v106 offset:20992
	v_mov_b32_e32 v58, s79
	s_waitcnt lgkmcnt(0)
	v_lshrrev_b64 v[56:57], s7, v[39:40]
	v_mov_b32_e32 v57, v3
	v_and_b32_e32 v56, s98, v56
	v_lshlrev_b32_e32 v56, 2, v56
	ds_read_b32 v56, v56
	v_xor_b32_e32 v40, 0x80000000, v40
	s_waitcnt lgkmcnt(0)
	v_add_u32_e32 v56, v56, v85
	v_lshlrev_b64 v[56:57], 3, v[56:57]
	v_add_co_u32_e32 v56, vcc, s78, v56
	v_addc_co_u32_e32 v57, vcc, v58, v57, vcc
	global_store_dwordx2 v[56:57], v[39:40], off
	s_or_b64 exec, exec, s[64:65]
	v_cmp_lt_u32_e64 s[64:65], v86, v176
	s_and_saveexec_b64 s[66:67], s[64:65]
	s_cbranch_execz .LBB812_778
.LBB812_846:                            ;   in Loop: Header=BB812_686 Depth=2
	ds_read_b64 v[39:40], v106 offset:23040
	v_mov_b32_e32 v58, s79
	s_waitcnt lgkmcnt(0)
	v_lshrrev_b64 v[56:57], s7, v[39:40]
	v_mov_b32_e32 v57, v3
	v_and_b32_e32 v56, s98, v56
	v_lshlrev_b32_e32 v56, 2, v56
	ds_read_b32 v56, v56
	v_xor_b32_e32 v40, 0x80000000, v40
	s_waitcnt lgkmcnt(0)
	v_add_u32_e32 v56, v56, v86
	v_lshlrev_b64 v[56:57], 3, v[56:57]
	v_add_co_u32_e32 v56, vcc, s78, v56
	v_addc_co_u32_e32 v57, vcc, v58, v57, vcc
	global_store_dwordx2 v[56:57], v[39:40], off
	s_or_b64 exec, exec, s[66:67]
	v_cmp_lt_u32_e64 s[66:67], v87, v176
	s_and_saveexec_b64 s[68:69], s[66:67]
	s_cbranch_execz .LBB812_779
.LBB812_847:                            ;   in Loop: Header=BB812_686 Depth=2
	ds_read_b64 v[39:40], v106 offset:25088
	v_mov_b32_e32 v58, s79
	s_waitcnt lgkmcnt(0)
	v_lshrrev_b64 v[56:57], s7, v[39:40]
	v_mov_b32_e32 v57, v3
	v_and_b32_e32 v56, s98, v56
	v_lshlrev_b32_e32 v56, 2, v56
	ds_read_b32 v56, v56
	v_xor_b32_e32 v40, 0x80000000, v40
	s_waitcnt lgkmcnt(0)
	v_add_u32_e32 v56, v56, v87
	v_lshlrev_b64 v[56:57], 3, v[56:57]
	v_add_co_u32_e32 v56, vcc, s78, v56
	v_addc_co_u32_e32 v57, vcc, v58, v57, vcc
	global_store_dwordx2 v[56:57], v[39:40], off
	s_or_b64 exec, exec, s[68:69]
	v_cmp_lt_u32_e64 s[68:69], v88, v176
	s_and_saveexec_b64 s[70:71], s[68:69]
	s_cbranch_execz .LBB812_780
.LBB812_848:                            ;   in Loop: Header=BB812_686 Depth=2
	ds_read_b64 v[39:40], v106 offset:27136
	v_mov_b32_e32 v58, s79
	s_waitcnt lgkmcnt(0)
	v_lshrrev_b64 v[56:57], s7, v[39:40]
	v_mov_b32_e32 v57, v3
	v_and_b32_e32 v56, s98, v56
	v_lshlrev_b32_e32 v56, 2, v56
	ds_read_b32 v56, v56
	v_xor_b32_e32 v40, 0x80000000, v40
	s_waitcnt lgkmcnt(0)
	v_add_u32_e32 v56, v56, v88
	v_lshlrev_b64 v[56:57], 3, v[56:57]
	v_add_co_u32_e32 v56, vcc, s78, v56
	v_addc_co_u32_e32 v57, vcc, v58, v57, vcc
	global_store_dwordx2 v[56:57], v[39:40], off
	s_or_b64 exec, exec, s[70:71]
	v_cmp_lt_u32_e64 s[70:71], v89, v176
	s_and_saveexec_b64 s[72:73], s[70:71]
	s_cbranch_execz .LBB812_781
.LBB812_849:                            ;   in Loop: Header=BB812_686 Depth=2
	ds_read_b64 v[39:40], v106 offset:29184
	v_mov_b32_e32 v58, s79
	s_waitcnt lgkmcnt(0)
	v_lshrrev_b64 v[56:57], s7, v[39:40]
	v_mov_b32_e32 v57, v3
	v_and_b32_e32 v56, s98, v56
	v_lshlrev_b32_e32 v56, 2, v56
	ds_read_b32 v56, v56
	v_xor_b32_e32 v40, 0x80000000, v40
	s_waitcnt lgkmcnt(0)
	v_add_u32_e32 v56, v56, v89
	v_lshlrev_b64 v[56:57], 3, v[56:57]
	v_add_co_u32_e32 v56, vcc, s78, v56
	v_addc_co_u32_e32 v57, vcc, v58, v57, vcc
	global_store_dwordx2 v[56:57], v[39:40], off
	s_or_b64 exec, exec, s[72:73]
	v_cmp_lt_u32_e64 s[72:73], v90, v176
	s_and_saveexec_b64 s[82:83], s[72:73]
	s_cbranch_execnz .LBB812_782
	s_branch .LBB812_783
.LBB812_850:                            ;   in Loop: Header=BB812_686 Depth=2
	global_load_dwordx2 v[37:38], v[39:40], off
	s_or_b64 exec, exec, s[82:83]
	v_cmp_lt_u32_e32 vcc, v156, v176
	s_and_saveexec_b64 s[82:83], vcc
	s_cbranch_execz .LBB812_785
.LBB812_851:                            ;   in Loop: Header=BB812_686 Depth=2
	global_load_dwordx2 v[35:36], v[39:40], off offset:512
	s_or_b64 exec, exec, s[82:83]
	v_cmp_lt_u32_e32 vcc, v157, v176
	s_and_saveexec_b64 s[82:83], vcc
	s_cbranch_execz .LBB812_786
.LBB812_852:                            ;   in Loop: Header=BB812_686 Depth=2
	global_load_dwordx2 v[33:34], v[39:40], off offset:1024
	s_or_b64 exec, exec, s[82:83]
	v_cmp_lt_u32_e32 vcc, v158, v176
	s_and_saveexec_b64 s[82:83], vcc
	s_cbranch_execz .LBB812_787
.LBB812_853:                            ;   in Loop: Header=BB812_686 Depth=2
	global_load_dwordx2 v[29:30], v[39:40], off offset:1536
	s_or_b64 exec, exec, s[82:83]
	v_cmp_lt_u32_e32 vcc, v159, v176
	s_and_saveexec_b64 s[82:83], vcc
	s_cbranch_execz .LBB812_788
.LBB812_854:                            ;   in Loop: Header=BB812_686 Depth=2
	global_load_dwordx2 v[25:26], v[39:40], off offset:2048
	s_or_b64 exec, exec, s[82:83]
	v_cmp_lt_u32_e32 vcc, v160, v176
	s_and_saveexec_b64 s[82:83], vcc
	s_cbranch_execz .LBB812_789
.LBB812_855:                            ;   in Loop: Header=BB812_686 Depth=2
	global_load_dwordx2 v[21:22], v[39:40], off offset:2560
	s_or_b64 exec, exec, s[82:83]
	v_cmp_lt_u32_e32 vcc, v161, v176
	s_and_saveexec_b64 s[82:83], vcc
	s_cbranch_execz .LBB812_790
.LBB812_856:                            ;   in Loop: Header=BB812_686 Depth=2
	global_load_dwordx2 v[17:18], v[39:40], off offset:3072
	s_or_b64 exec, exec, s[82:83]
	v_cmp_lt_u32_e32 vcc, v162, v176
	s_and_saveexec_b64 s[82:83], vcc
	s_cbranch_execz .LBB812_791
.LBB812_857:                            ;   in Loop: Header=BB812_686 Depth=2
	global_load_dwordx2 v[13:14], v[39:40], off offset:3584
	s_or_b64 exec, exec, s[82:83]
	v_cmp_lt_u32_e32 vcc, v163, v176
	s_and_saveexec_b64 s[82:83], vcc
	s_cbranch_execz .LBB812_792
.LBB812_858:                            ;   in Loop: Header=BB812_686 Depth=2
	v_add_co_u32_e32 v31, vcc, 0x1000, v39
	v_addc_co_u32_e32 v32, vcc, 0, v40, vcc
	global_load_dwordx2 v[31:32], v[31:32], off
	s_or_b64 exec, exec, s[82:83]
	v_cmp_lt_u32_e32 vcc, v164, v176
	s_and_saveexec_b64 s[82:83], vcc
	s_cbranch_execz .LBB812_793
.LBB812_859:                            ;   in Loop: Header=BB812_686 Depth=2
	v_add_co_u32_e32 v27, vcc, 0x1000, v39
	v_addc_co_u32_e32 v28, vcc, 0, v40, vcc
	global_load_dwordx2 v[27:28], v[27:28], off offset:512
	s_or_b64 exec, exec, s[82:83]
	v_cmp_lt_u32_e32 vcc, v165, v176
	s_and_saveexec_b64 s[82:83], vcc
	s_cbranch_execz .LBB812_794
.LBB812_860:                            ;   in Loop: Header=BB812_686 Depth=2
	v_add_co_u32_e32 v23, vcc, 0x1000, v39
	v_addc_co_u32_e32 v24, vcc, 0, v40, vcc
	global_load_dwordx2 v[23:24], v[23:24], off offset:1024
	s_or_b64 exec, exec, s[82:83]
	v_cmp_lt_u32_e32 vcc, v166, v176
	s_and_saveexec_b64 s[82:83], vcc
	s_cbranch_execz .LBB812_795
.LBB812_861:                            ;   in Loop: Header=BB812_686 Depth=2
	v_add_co_u32_e32 v19, vcc, 0x1000, v39
	v_addc_co_u32_e32 v20, vcc, 0, v40, vcc
	global_load_dwordx2 v[19:20], v[19:20], off offset:1536
	s_or_b64 exec, exec, s[82:83]
	v_cmp_lt_u32_e32 vcc, v167, v176
	s_and_saveexec_b64 s[82:83], vcc
	s_cbranch_execz .LBB812_796
.LBB812_862:                            ;   in Loop: Header=BB812_686 Depth=2
	v_add_co_u32_e32 v15, vcc, 0x1000, v39
	v_addc_co_u32_e32 v16, vcc, 0, v40, vcc
	global_load_dwordx2 v[15:16], v[15:16], off offset:2048
	s_or_b64 exec, exec, s[82:83]
	v_cmp_lt_u32_e32 vcc, v168, v176
	s_and_saveexec_b64 s[82:83], vcc
	s_cbranch_execz .LBB812_797
.LBB812_863:                            ;   in Loop: Header=BB812_686 Depth=2
	v_add_co_u32_e32 v11, vcc, 0x1000, v39
	v_addc_co_u32_e32 v12, vcc, 0, v40, vcc
	global_load_dwordx2 v[11:12], v[11:12], off offset:2560
	s_or_b64 exec, exec, s[82:83]
	v_cmp_lt_u32_e32 vcc, v169, v176
	s_and_saveexec_b64 s[82:83], vcc
	s_cbranch_execz .LBB812_798
.LBB812_864:                            ;   in Loop: Header=BB812_686 Depth=2
	v_add_co_u32_e32 v9, vcc, 0x1000, v39
	v_addc_co_u32_e32 v10, vcc, 0, v40, vcc
	global_load_dwordx2 v[9:10], v[9:10], off offset:3072
	s_or_b64 exec, exec, s[82:83]
	v_cmp_lt_u32_e32 vcc, v170, v176
	s_and_saveexec_b64 s[82:83], vcc
	s_cbranch_execz .LBB812_799
.LBB812_865:                            ;   in Loop: Header=BB812_686 Depth=2
	v_add_co_u32_e32 v7, vcc, 0x1000, v39
	v_addc_co_u32_e32 v8, vcc, 0, v40, vcc
	global_load_dwordx2 v[7:8], v[7:8], off offset:3584
	s_or_b64 exec, exec, s[82:83]
	s_and_saveexec_b64 s[82:83], s[42:43]
	s_cbranch_execz .LBB812_800
.LBB812_866:                            ;   in Loop: Header=BB812_686 Depth=2
	ds_read_b64 v[39:40], v106 offset:512
	s_waitcnt lgkmcnt(0)
	v_lshrrev_b64 v[39:40], s7, v[39:40]
	v_and_b32_e32 v152, s98, v39
	s_or_b64 exec, exec, s[82:83]
	s_and_saveexec_b64 s[82:83], s[44:45]
	s_cbranch_execz .LBB812_801
.LBB812_867:                            ;   in Loop: Header=BB812_686 Depth=2
	ds_read_b64 v[39:40], v106 offset:2560
	s_waitcnt lgkmcnt(0)
	v_lshrrev_b64 v[39:40], s7, v[39:40]
	v_and_b32_e32 v151, s98, v39
	s_or_b64 exec, exec, s[82:83]
	s_and_saveexec_b64 s[82:83], s[46:47]
	s_cbranch_execz .LBB812_802
.LBB812_868:                            ;   in Loop: Header=BB812_686 Depth=2
	ds_read_b64 v[39:40], v106 offset:4608
	s_waitcnt lgkmcnt(0)
	v_lshrrev_b64 v[39:40], s7, v[39:40]
	v_and_b32_e32 v150, s98, v39
	s_or_b64 exec, exec, s[82:83]
	s_and_saveexec_b64 s[82:83], s[48:49]
	s_cbranch_execz .LBB812_803
.LBB812_869:                            ;   in Loop: Header=BB812_686 Depth=2
	ds_read_b64 v[39:40], v106 offset:6656
	s_waitcnt lgkmcnt(0)
	v_lshrrev_b64 v[39:40], s7, v[39:40]
	v_and_b32_e32 v149, s98, v39
	s_or_b64 exec, exec, s[82:83]
	s_and_saveexec_b64 s[82:83], s[50:51]
	s_cbranch_execz .LBB812_804
.LBB812_870:                            ;   in Loop: Header=BB812_686 Depth=2
	ds_read_b64 v[39:40], v106 offset:8704
	s_waitcnt lgkmcnt(0)
	v_lshrrev_b64 v[39:40], s7, v[39:40]
	v_and_b32_e32 v148, s98, v39
	s_or_b64 exec, exec, s[82:83]
	s_and_saveexec_b64 s[82:83], s[52:53]
	s_cbranch_execz .LBB812_805
.LBB812_871:                            ;   in Loop: Header=BB812_686 Depth=2
	ds_read_b64 v[39:40], v106 offset:10752
	s_waitcnt lgkmcnt(0)
	v_lshrrev_b64 v[39:40], s7, v[39:40]
	v_and_b32_e32 v147, s98, v39
	s_or_b64 exec, exec, s[82:83]
	s_and_saveexec_b64 s[82:83], s[54:55]
	s_cbranch_execz .LBB812_806
.LBB812_872:                            ;   in Loop: Header=BB812_686 Depth=2
	ds_read_b64 v[39:40], v106 offset:12800
	s_waitcnt lgkmcnt(0)
	v_lshrrev_b64 v[39:40], s7, v[39:40]
	v_and_b32_e32 v146, s98, v39
	s_or_b64 exec, exec, s[82:83]
	s_and_saveexec_b64 s[82:83], s[56:57]
	s_cbranch_execz .LBB812_807
.LBB812_873:                            ;   in Loop: Header=BB812_686 Depth=2
	ds_read_b64 v[39:40], v106 offset:14848
	s_waitcnt lgkmcnt(0)
	v_lshrrev_b64 v[39:40], s7, v[39:40]
	v_and_b32_e32 v145, s98, v39
	s_or_b64 exec, exec, s[82:83]
	s_and_saveexec_b64 s[82:83], s[58:59]
	s_cbranch_execz .LBB812_808
.LBB812_874:                            ;   in Loop: Header=BB812_686 Depth=2
	ds_read_b64 v[39:40], v106 offset:16896
	s_waitcnt lgkmcnt(0)
	v_lshrrev_b64 v[39:40], s7, v[39:40]
	v_and_b32_e32 v144, s98, v39
	s_or_b64 exec, exec, s[82:83]
	s_and_saveexec_b64 s[82:83], s[60:61]
	s_cbranch_execz .LBB812_809
.LBB812_875:                            ;   in Loop: Header=BB812_686 Depth=2
	ds_read_b64 v[39:40], v106 offset:18944
	s_waitcnt lgkmcnt(0)
	v_lshrrev_b64 v[39:40], s7, v[39:40]
	v_and_b32_e32 v143, s98, v39
	s_or_b64 exec, exec, s[82:83]
	s_and_saveexec_b64 s[82:83], s[62:63]
	s_cbranch_execz .LBB812_810
.LBB812_876:                            ;   in Loop: Header=BB812_686 Depth=2
	ds_read_b64 v[39:40], v106 offset:20992
	s_waitcnt lgkmcnt(0)
	v_lshrrev_b64 v[39:40], s7, v[39:40]
	v_and_b32_e32 v142, s98, v39
	s_or_b64 exec, exec, s[82:83]
	s_and_saveexec_b64 s[82:83], s[64:65]
	s_cbranch_execz .LBB812_811
.LBB812_877:                            ;   in Loop: Header=BB812_686 Depth=2
	ds_read_b64 v[39:40], v106 offset:23040
	s_waitcnt lgkmcnt(0)
	v_lshrrev_b64 v[39:40], s7, v[39:40]
	v_and_b32_e32 v141, s98, v39
	s_or_b64 exec, exec, s[82:83]
	s_and_saveexec_b64 s[82:83], s[66:67]
	s_cbranch_execz .LBB812_812
.LBB812_878:                            ;   in Loop: Header=BB812_686 Depth=2
	ds_read_b64 v[39:40], v106 offset:25088
	s_waitcnt lgkmcnt(0)
	v_lshrrev_b64 v[39:40], s7, v[39:40]
	v_and_b32_e32 v140, s98, v39
	s_or_b64 exec, exec, s[82:83]
	s_and_saveexec_b64 s[82:83], s[68:69]
	s_cbranch_execz .LBB812_813
.LBB812_879:                            ;   in Loop: Header=BB812_686 Depth=2
	ds_read_b64 v[39:40], v106 offset:27136
	s_waitcnt lgkmcnt(0)
	v_lshrrev_b64 v[39:40], s7, v[39:40]
	v_and_b32_e32 v139, s98, v39
	s_or_b64 exec, exec, s[82:83]
	s_and_saveexec_b64 s[82:83], s[70:71]
	s_cbranch_execz .LBB812_814
.LBB812_880:                            ;   in Loop: Header=BB812_686 Depth=2
	ds_read_b64 v[39:40], v106 offset:29184
	s_waitcnt lgkmcnt(0)
	v_lshrrev_b64 v[39:40], s7, v[39:40]
	v_and_b32_e32 v138, s98, v39
	s_or_b64 exec, exec, s[82:83]
	s_and_saveexec_b64 s[82:83], s[72:73]
	s_cbranch_execnz .LBB812_815
	s_branch .LBB812_816
.LBB812_881:                            ;   in Loop: Header=BB812_686 Depth=2
	v_lshlrev_b32_e32 v4, 2, v152
	ds_read_b32 v4, v4
	ds_read_b64 v[39:40], v106 offset:512
	v_mov_b32_e32 v42, v3
	v_mov_b32_e32 v43, s85
	s_waitcnt lgkmcnt(1)
	v_add_u32_e32 v41, v4, v0
	v_lshlrev_b64 v[41:42], 3, v[41:42]
	v_add_co_u32_e32 v41, vcc, s84, v41
	v_addc_co_u32_e32 v42, vcc, v43, v42, vcc
	s_waitcnt lgkmcnt(0)
	global_store_dwordx2 v[41:42], v[39:40], off
	s_or_b64 exec, exec, s[82:83]
	s_and_saveexec_b64 s[42:43], s[44:45]
	s_cbranch_execz .LBB812_818
.LBB812_882:                            ;   in Loop: Header=BB812_686 Depth=2
	v_lshlrev_b32_e32 v4, 2, v151
	ds_read_b32 v4, v4
	ds_read_b64 v[39:40], v106 offset:2560
	v_mov_b32_e32 v42, v3
	v_mov_b32_e32 v43, s85
	s_waitcnt lgkmcnt(1)
	v_add_u32_e32 v41, v4, v74
	v_lshlrev_b64 v[41:42], 3, v[41:42]
	v_add_co_u32_e32 v41, vcc, s84, v41
	v_addc_co_u32_e32 v42, vcc, v43, v42, vcc
	s_waitcnt lgkmcnt(0)
	global_store_dwordx2 v[41:42], v[39:40], off
	s_or_b64 exec, exec, s[42:43]
	s_and_saveexec_b64 s[42:43], s[46:47]
	s_cbranch_execz .LBB812_819
.LBB812_883:                            ;   in Loop: Header=BB812_686 Depth=2
	v_lshlrev_b32_e32 v4, 2, v150
	ds_read_b32 v4, v4
	ds_read_b64 v[39:40], v106 offset:4608
	v_mov_b32_e32 v42, v3
	v_mov_b32_e32 v43, s85
	s_waitcnt lgkmcnt(1)
	v_add_u32_e32 v41, v4, v77
	v_lshlrev_b64 v[41:42], 3, v[41:42]
	v_add_co_u32_e32 v41, vcc, s84, v41
	v_addc_co_u32_e32 v42, vcc, v43, v42, vcc
	s_waitcnt lgkmcnt(0)
	global_store_dwordx2 v[41:42], v[39:40], off
	s_or_b64 exec, exec, s[42:43]
	s_and_saveexec_b64 s[42:43], s[48:49]
	s_cbranch_execz .LBB812_820
.LBB812_884:                            ;   in Loop: Header=BB812_686 Depth=2
	v_lshlrev_b32_e32 v4, 2, v149
	ds_read_b32 v4, v4
	ds_read_b64 v[39:40], v106 offset:6656
	v_mov_b32_e32 v42, v3
	v_mov_b32_e32 v43, s85
	s_waitcnt lgkmcnt(1)
	v_add_u32_e32 v41, v4, v78
	v_lshlrev_b64 v[41:42], 3, v[41:42]
	v_add_co_u32_e32 v41, vcc, s84, v41
	v_addc_co_u32_e32 v42, vcc, v43, v42, vcc
	s_waitcnt lgkmcnt(0)
	global_store_dwordx2 v[41:42], v[39:40], off
	s_or_b64 exec, exec, s[42:43]
	s_and_saveexec_b64 s[42:43], s[50:51]
	s_cbranch_execz .LBB812_821
.LBB812_885:                            ;   in Loop: Header=BB812_686 Depth=2
	v_lshlrev_b32_e32 v4, 2, v148
	ds_read_b32 v4, v4
	ds_read_b64 v[39:40], v106 offset:8704
	v_mov_b32_e32 v42, v3
	v_mov_b32_e32 v43, s85
	s_waitcnt lgkmcnt(1)
	v_add_u32_e32 v41, v4, v79
	v_lshlrev_b64 v[41:42], 3, v[41:42]
	v_add_co_u32_e32 v41, vcc, s84, v41
	v_addc_co_u32_e32 v42, vcc, v43, v42, vcc
	s_waitcnt lgkmcnt(0)
	global_store_dwordx2 v[41:42], v[39:40], off
	s_or_b64 exec, exec, s[42:43]
	s_and_saveexec_b64 s[42:43], s[52:53]
	s_cbranch_execz .LBB812_822
.LBB812_886:                            ;   in Loop: Header=BB812_686 Depth=2
	v_lshlrev_b32_e32 v4, 2, v147
	ds_read_b32 v4, v4
	ds_read_b64 v[39:40], v106 offset:10752
	v_mov_b32_e32 v42, v3
	v_mov_b32_e32 v43, s85
	s_waitcnt lgkmcnt(1)
	v_add_u32_e32 v41, v4, v80
	v_lshlrev_b64 v[41:42], 3, v[41:42]
	v_add_co_u32_e32 v41, vcc, s84, v41
	v_addc_co_u32_e32 v42, vcc, v43, v42, vcc
	s_waitcnt lgkmcnt(0)
	global_store_dwordx2 v[41:42], v[39:40], off
	s_or_b64 exec, exec, s[42:43]
	s_and_saveexec_b64 s[42:43], s[54:55]
	s_cbranch_execz .LBB812_823
.LBB812_887:                            ;   in Loop: Header=BB812_686 Depth=2
	v_lshlrev_b32_e32 v4, 2, v146
	ds_read_b32 v4, v4
	ds_read_b64 v[39:40], v106 offset:12800
	v_mov_b32_e32 v42, v3
	v_mov_b32_e32 v43, s85
	s_waitcnt lgkmcnt(1)
	v_add_u32_e32 v41, v4, v81
	v_lshlrev_b64 v[41:42], 3, v[41:42]
	v_add_co_u32_e32 v41, vcc, s84, v41
	v_addc_co_u32_e32 v42, vcc, v43, v42, vcc
	s_waitcnt lgkmcnt(0)
	global_store_dwordx2 v[41:42], v[39:40], off
	s_or_b64 exec, exec, s[42:43]
	s_and_saveexec_b64 s[42:43], s[56:57]
	s_cbranch_execz .LBB812_824
.LBB812_888:                            ;   in Loop: Header=BB812_686 Depth=2
	v_lshlrev_b32_e32 v4, 2, v145
	ds_read_b32 v4, v4
	ds_read_b64 v[39:40], v106 offset:14848
	v_mov_b32_e32 v42, v3
	v_mov_b32_e32 v43, s85
	s_waitcnt lgkmcnt(1)
	v_add_u32_e32 v41, v4, v82
	v_lshlrev_b64 v[41:42], 3, v[41:42]
	v_add_co_u32_e32 v41, vcc, s84, v41
	v_addc_co_u32_e32 v42, vcc, v43, v42, vcc
	s_waitcnt lgkmcnt(0)
	global_store_dwordx2 v[41:42], v[39:40], off
	s_or_b64 exec, exec, s[42:43]
	s_and_saveexec_b64 s[42:43], s[58:59]
	s_cbranch_execz .LBB812_825
.LBB812_889:                            ;   in Loop: Header=BB812_686 Depth=2
	v_lshlrev_b32_e32 v4, 2, v144
	ds_read_b32 v4, v4
	ds_read_b64 v[39:40], v106 offset:16896
	v_mov_b32_e32 v42, v3
	v_mov_b32_e32 v43, s85
	s_waitcnt lgkmcnt(1)
	v_add_u32_e32 v41, v4, v83
	v_lshlrev_b64 v[41:42], 3, v[41:42]
	v_add_co_u32_e32 v41, vcc, s84, v41
	v_addc_co_u32_e32 v42, vcc, v43, v42, vcc
	s_waitcnt lgkmcnt(0)
	global_store_dwordx2 v[41:42], v[39:40], off
	s_or_b64 exec, exec, s[42:43]
	s_and_saveexec_b64 s[42:43], s[60:61]
	s_cbranch_execz .LBB812_826
.LBB812_890:                            ;   in Loop: Header=BB812_686 Depth=2
	v_lshlrev_b32_e32 v4, 2, v143
	ds_read_b32 v4, v4
	ds_read_b64 v[39:40], v106 offset:18944
	v_mov_b32_e32 v42, v3
	v_mov_b32_e32 v43, s85
	s_waitcnt lgkmcnt(1)
	v_add_u32_e32 v41, v4, v84
	v_lshlrev_b64 v[41:42], 3, v[41:42]
	v_add_co_u32_e32 v41, vcc, s84, v41
	v_addc_co_u32_e32 v42, vcc, v43, v42, vcc
	s_waitcnt lgkmcnt(0)
	global_store_dwordx2 v[41:42], v[39:40], off
	s_or_b64 exec, exec, s[42:43]
	s_and_saveexec_b64 s[42:43], s[62:63]
	s_cbranch_execz .LBB812_827
.LBB812_891:                            ;   in Loop: Header=BB812_686 Depth=2
	v_lshlrev_b32_e32 v4, 2, v142
	ds_read_b32 v4, v4
	ds_read_b64 v[39:40], v106 offset:20992
	v_mov_b32_e32 v42, v3
	v_mov_b32_e32 v43, s85
	s_waitcnt lgkmcnt(1)
	v_add_u32_e32 v41, v4, v85
	v_lshlrev_b64 v[41:42], 3, v[41:42]
	v_add_co_u32_e32 v41, vcc, s84, v41
	v_addc_co_u32_e32 v42, vcc, v43, v42, vcc
	s_waitcnt lgkmcnt(0)
	global_store_dwordx2 v[41:42], v[39:40], off
	s_or_b64 exec, exec, s[42:43]
	s_and_saveexec_b64 s[42:43], s[64:65]
	s_cbranch_execz .LBB812_828
.LBB812_892:                            ;   in Loop: Header=BB812_686 Depth=2
	v_lshlrev_b32_e32 v4, 2, v141
	ds_read_b32 v4, v4
	ds_read_b64 v[39:40], v106 offset:23040
	v_mov_b32_e32 v42, v3
	v_mov_b32_e32 v43, s85
	s_waitcnt lgkmcnt(1)
	v_add_u32_e32 v41, v4, v86
	v_lshlrev_b64 v[41:42], 3, v[41:42]
	v_add_co_u32_e32 v41, vcc, s84, v41
	v_addc_co_u32_e32 v42, vcc, v43, v42, vcc
	s_waitcnt lgkmcnt(0)
	global_store_dwordx2 v[41:42], v[39:40], off
	s_or_b64 exec, exec, s[42:43]
	s_and_saveexec_b64 s[42:43], s[66:67]
	s_cbranch_execz .LBB812_829
.LBB812_893:                            ;   in Loop: Header=BB812_686 Depth=2
	v_lshlrev_b32_e32 v4, 2, v140
	ds_read_b32 v4, v4
	ds_read_b64 v[39:40], v106 offset:25088
	v_mov_b32_e32 v42, v3
	v_mov_b32_e32 v43, s85
	s_waitcnt lgkmcnt(1)
	v_add_u32_e32 v41, v4, v87
	v_lshlrev_b64 v[41:42], 3, v[41:42]
	v_add_co_u32_e32 v41, vcc, s84, v41
	v_addc_co_u32_e32 v42, vcc, v43, v42, vcc
	s_waitcnt lgkmcnt(0)
	global_store_dwordx2 v[41:42], v[39:40], off
	s_or_b64 exec, exec, s[42:43]
	s_and_saveexec_b64 s[42:43], s[68:69]
	s_cbranch_execz .LBB812_830
.LBB812_894:                            ;   in Loop: Header=BB812_686 Depth=2
	v_lshlrev_b32_e32 v4, 2, v139
	ds_read_b32 v4, v4
	ds_read_b64 v[39:40], v106 offset:27136
	v_mov_b32_e32 v42, v3
	v_mov_b32_e32 v43, s85
	s_waitcnt lgkmcnt(1)
	v_add_u32_e32 v41, v4, v88
	v_lshlrev_b64 v[41:42], 3, v[41:42]
	v_add_co_u32_e32 v41, vcc, s84, v41
	v_addc_co_u32_e32 v42, vcc, v43, v42, vcc
	s_waitcnt lgkmcnt(0)
	global_store_dwordx2 v[41:42], v[39:40], off
	s_or_b64 exec, exec, s[42:43]
	s_and_saveexec_b64 s[42:43], s[70:71]
	s_cbranch_execz .LBB812_831
.LBB812_895:                            ;   in Loop: Header=BB812_686 Depth=2
	v_lshlrev_b32_e32 v4, 2, v138
	ds_read_b32 v4, v4
	ds_read_b64 v[39:40], v106 offset:29184
	v_mov_b32_e32 v42, v3
	v_mov_b32_e32 v43, s85
	s_waitcnt lgkmcnt(1)
	v_add_u32_e32 v41, v4, v89
	v_lshlrev_b64 v[41:42], 3, v[41:42]
	v_add_co_u32_e32 v41, vcc, s84, v41
	v_addc_co_u32_e32 v42, vcc, v43, v42, vcc
	s_waitcnt lgkmcnt(0)
	global_store_dwordx2 v[41:42], v[39:40], off
	s_or_b64 exec, exec, s[42:43]
	s_and_saveexec_b64 s[42:43], s[72:73]
	s_cbranch_execnz .LBB812_832
	s_branch .LBB812_833
.LBB812_896:                            ;   in Loop: Header=BB812_12 Depth=1
	s_waitcnt lgkmcnt(0)
	s_barrier
	s_mov_b64 s[22:23], 0
.LBB812_897:                            ;   in Loop: Header=BB812_12 Depth=1
	s_and_b64 vcc, exec, s[22:23]
	s_cbranch_vccz .LBB812_11
; %bb.898:                              ;   in Loop: Header=BB812_12 Depth=1
	s_mov_b32 s8, s33
	s_mov_b32 s92, s96
	s_barrier
                                        ; implicit-def: $vgpr7_vgpr8
                                        ; implicit-def: $vgpr9_vgpr10
                                        ; implicit-def: $vgpr11_vgpr12
                                        ; implicit-def: $vgpr13_vgpr14
                                        ; implicit-def: $vgpr15_vgpr16
                                        ; implicit-def: $vgpr17_vgpr18
                                        ; implicit-def: $vgpr19_vgpr20
                                        ; implicit-def: $vgpr21_vgpr22
                                        ; implicit-def: $vgpr23_vgpr24
                                        ; implicit-def: $vgpr25_vgpr26
                                        ; implicit-def: $vgpr27_vgpr28
                                        ; implicit-def: $vgpr29_vgpr30
                                        ; implicit-def: $vgpr31_vgpr32
                                        ; implicit-def: $vgpr33_vgpr34
                                        ; implicit-def: $vgpr35_vgpr36
                                        ; implicit-def: $vgpr37_vgpr38
	s_branch .LBB812_900
.LBB812_899:                            ;   in Loop: Header=BB812_900 Depth=2
	s_or_b64 exec, exec, s[22:23]
	s_addk_i32 s8, 0xf000
	s_cmp_ge_u32 s9, s97
	s_mov_b32 s92, s9
	s_cbranch_scc1 .LBB812_968
.LBB812_900:                            ;   Parent Loop BB812_12 Depth=1
                                        ; =>  This Inner Loop Header: Depth=2
	s_add_i32 s9, s92, 0x1000
	s_cmp_gt_u32 s9, s97
	s_mov_b64 s[22:23], -1
                                        ; implicit-def: $vgpr39_vgpr40
                                        ; implicit-def: $vgpr41_vgpr42
                                        ; implicit-def: $vgpr43_vgpr44
                                        ; implicit-def: $vgpr45_vgpr46
                                        ; implicit-def: $vgpr47_vgpr48
                                        ; implicit-def: $vgpr49_vgpr50
                                        ; implicit-def: $vgpr51_vgpr52
                                        ; implicit-def: $vgpr53_vgpr54
                                        ; implicit-def: $vgpr55_vgpr56
                                        ; implicit-def: $vgpr57_vgpr58
                                        ; implicit-def: $vgpr59_vgpr60
                                        ; implicit-def: $vgpr61_vgpr62
                                        ; implicit-def: $vgpr63_vgpr64
                                        ; implicit-def: $vgpr65_vgpr66
                                        ; implicit-def: $vgpr67_vgpr68
                                        ; implicit-def: $vgpr69_vgpr70
	s_cbranch_scc1 .LBB812_902
; %bb.901:                              ;   in Loop: Header=BB812_900 Depth=2
	s_lshl_b64 s[22:23], s[92:93], 3
	v_mov_b32_e32 v4, s23
	v_add_co_u32_e32 v63, vcc, s22, v113
	v_addc_co_u32_e32 v64, vcc, v114, v4, vcc
	v_add_co_u32_e32 v47, vcc, 0x1000, v63
	v_addc_co_u32_e32 v48, vcc, 0, v64, vcc
	;; [unrolled: 2-line block ×4, first 2 shown]
	global_load_dwordx2 v[39:40], v[63:64], off
	global_load_dwordx2 v[41:42], v[63:64], off offset:2048
	global_load_dwordx2 v[43:44], v[47:48], off
	global_load_dwordx2 v[45:46], v[47:48], off offset:2048
	s_nop 0
	global_load_dwordx2 v[47:48], v[55:56], off
	global_load_dwordx2 v[49:50], v[55:56], off offset:2048
	global_load_dwordx2 v[51:52], v[57:58], off
	global_load_dwordx2 v[53:54], v[57:58], off offset:2048
	v_add_co_u32_e32 v57, vcc, 0x4000, v63
	v_addc_co_u32_e32 v58, vcc, 0, v64, vcc
	v_add_co_u32_e32 v61, vcc, 0x5000, v63
	v_addc_co_u32_e32 v62, vcc, 0, v64, vcc
	;; [unrolled: 2-line block ×4, first 2 shown]
	global_load_dwordx2 v[55:56], v[57:58], off
	s_nop 0
	global_load_dwordx2 v[57:58], v[57:58], off offset:2048
	s_nop 0
	global_load_dwordx2 v[59:60], v[61:62], off
	s_nop 0
	global_load_dwordx2 v[61:62], v[61:62], off offset:2048
	s_nop 0
	;; [unrolled: 4-line block ×3, first 2 shown]
	global_load_dwordx2 v[67:68], v[69:70], off
	s_nop 0
	global_load_dwordx2 v[69:70], v[69:70], off offset:2048
	s_mov_b64 s[22:23], 0
.LBB812_902:                            ;   in Loop: Header=BB812_900 Depth=2
	s_andn2_b64 vcc, exec, s[22:23]
	s_movk_i32 s24, 0x1000
	s_cbranch_vccnz .LBB812_921
; %bb.903:                              ;   in Loop: Header=BB812_900 Depth=2
	s_lshl_b64 s[22:23], s[92:93], 3
	s_add_u32 s22, s76, s22
	s_addc_u32 s23, s77, s23
	v_cmp_gt_u32_e32 vcc, s8, v0
	s_and_saveexec_b64 s[24:25], vcc
	s_cbranch_execnz .LBB812_953
; %bb.904:                              ;   in Loop: Header=BB812_900 Depth=2
	s_or_b64 exec, exec, s[24:25]
	v_cmp_gt_u32_e32 vcc, s8, v74
	s_and_saveexec_b64 s[24:25], vcc
	s_cbranch_execnz .LBB812_954
.LBB812_905:                            ;   in Loop: Header=BB812_900 Depth=2
	s_or_b64 exec, exec, s[24:25]
	v_cmp_gt_u32_e32 vcc, s8, v77
	s_and_saveexec_b64 s[24:25], vcc
	s_cbranch_execnz .LBB812_955
.LBB812_906:                            ;   in Loop: Header=BB812_900 Depth=2
	s_or_b64 exec, exec, s[24:25]
	v_cmp_gt_u32_e32 vcc, s8, v78
	s_and_saveexec_b64 s[24:25], vcc
	s_cbranch_execnz .LBB812_956
.LBB812_907:                            ;   in Loop: Header=BB812_900 Depth=2
	s_or_b64 exec, exec, s[24:25]
	v_cmp_gt_u32_e32 vcc, s8, v79
	s_and_saveexec_b64 s[24:25], vcc
	s_cbranch_execnz .LBB812_957
.LBB812_908:                            ;   in Loop: Header=BB812_900 Depth=2
	s_or_b64 exec, exec, s[24:25]
	v_cmp_gt_u32_e32 vcc, s8, v80
	s_and_saveexec_b64 s[24:25], vcc
	s_cbranch_execnz .LBB812_958
.LBB812_909:                            ;   in Loop: Header=BB812_900 Depth=2
	s_or_b64 exec, exec, s[24:25]
	v_cmp_gt_u32_e32 vcc, s8, v81
	s_and_saveexec_b64 s[24:25], vcc
	s_cbranch_execnz .LBB812_959
.LBB812_910:                            ;   in Loop: Header=BB812_900 Depth=2
	s_or_b64 exec, exec, s[24:25]
	v_cmp_gt_u32_e32 vcc, s8, v82
	s_and_saveexec_b64 s[24:25], vcc
	s_cbranch_execnz .LBB812_960
.LBB812_911:                            ;   in Loop: Header=BB812_900 Depth=2
	s_or_b64 exec, exec, s[24:25]
	v_cmp_gt_u32_e32 vcc, s8, v83
	s_and_saveexec_b64 s[24:25], vcc
	s_cbranch_execnz .LBB812_961
.LBB812_912:                            ;   in Loop: Header=BB812_900 Depth=2
	s_or_b64 exec, exec, s[24:25]
	v_cmp_gt_u32_e32 vcc, s8, v84
	s_and_saveexec_b64 s[24:25], vcc
	s_cbranch_execnz .LBB812_962
.LBB812_913:                            ;   in Loop: Header=BB812_900 Depth=2
	s_or_b64 exec, exec, s[24:25]
	v_cmp_gt_u32_e32 vcc, s8, v85
	s_and_saveexec_b64 s[24:25], vcc
	s_cbranch_execnz .LBB812_963
.LBB812_914:                            ;   in Loop: Header=BB812_900 Depth=2
	s_or_b64 exec, exec, s[24:25]
	v_cmp_gt_u32_e32 vcc, s8, v86
	s_and_saveexec_b64 s[24:25], vcc
	s_cbranch_execnz .LBB812_964
.LBB812_915:                            ;   in Loop: Header=BB812_900 Depth=2
	s_or_b64 exec, exec, s[24:25]
	v_cmp_gt_u32_e32 vcc, s8, v87
	s_and_saveexec_b64 s[24:25], vcc
	s_cbranch_execnz .LBB812_965
.LBB812_916:                            ;   in Loop: Header=BB812_900 Depth=2
	s_or_b64 exec, exec, s[24:25]
	v_cmp_gt_u32_e32 vcc, s8, v88
	s_and_saveexec_b64 s[24:25], vcc
	s_cbranch_execnz .LBB812_966
.LBB812_917:                            ;   in Loop: Header=BB812_900 Depth=2
	s_or_b64 exec, exec, s[24:25]
	v_cmp_gt_u32_e32 vcc, s8, v89
	s_and_saveexec_b64 s[24:25], vcc
	s_cbranch_execnz .LBB812_967
.LBB812_918:                            ;   in Loop: Header=BB812_900 Depth=2
	s_or_b64 exec, exec, s[24:25]
	v_cmp_gt_u32_e32 vcc, s8, v90
	s_and_saveexec_b64 s[24:25], vcc
	s_cbranch_execz .LBB812_920
.LBB812_919:                            ;   in Loop: Header=BB812_900 Depth=2
	global_load_dwordx2 v[7:8], v134, s[22:23]
.LBB812_920:                            ;   in Loop: Header=BB812_900 Depth=2
	s_or_b64 exec, exec, s[24:25]
	s_waitcnt vmcnt(0)
	v_mov_b32_e32 v40, v38
	v_mov_b32_e32 v42, v36
	;; [unrolled: 1-line block ×16, first 2 shown]
	s_mov_b32 s24, s8
	v_mov_b32_e32 v39, v37
	v_mov_b32_e32 v41, v35
	;; [unrolled: 1-line block ×16, first 2 shown]
.LBB812_921:                            ;   in Loop: Header=BB812_900 Depth=2
	s_waitcnt vmcnt(0)
	v_mov_b32_e32 v7, v69
	v_mov_b32_e32 v9, v67
	;; [unrolled: 1-line block ×32, first 2 shown]
	v_cmp_gt_u32_e32 vcc, s24, v0
	s_and_saveexec_b64 s[22:23], vcc
	s_cbranch_execnz .LBB812_937
; %bb.922:                              ;   in Loop: Header=BB812_900 Depth=2
	s_or_b64 exec, exec, s[22:23]
	v_cmp_gt_u32_e32 vcc, s24, v74
	s_and_saveexec_b64 s[22:23], vcc
	s_cbranch_execnz .LBB812_938
.LBB812_923:                            ;   in Loop: Header=BB812_900 Depth=2
	s_or_b64 exec, exec, s[22:23]
	v_cmp_gt_u32_e32 vcc, s24, v77
	s_and_saveexec_b64 s[22:23], vcc
	s_cbranch_execnz .LBB812_939
.LBB812_924:                            ;   in Loop: Header=BB812_900 Depth=2
	s_or_b64 exec, exec, s[22:23]
	v_cmp_gt_u32_e32 vcc, s24, v78
	s_and_saveexec_b64 s[22:23], vcc
	s_cbranch_execnz .LBB812_940
.LBB812_925:                            ;   in Loop: Header=BB812_900 Depth=2
	s_or_b64 exec, exec, s[22:23]
	v_cmp_gt_u32_e32 vcc, s24, v79
	s_and_saveexec_b64 s[22:23], vcc
	s_cbranch_execnz .LBB812_941
.LBB812_926:                            ;   in Loop: Header=BB812_900 Depth=2
	s_or_b64 exec, exec, s[22:23]
	v_cmp_gt_u32_e32 vcc, s24, v80
	s_and_saveexec_b64 s[22:23], vcc
	s_cbranch_execnz .LBB812_942
.LBB812_927:                            ;   in Loop: Header=BB812_900 Depth=2
	s_or_b64 exec, exec, s[22:23]
	v_cmp_gt_u32_e32 vcc, s24, v81
	s_and_saveexec_b64 s[22:23], vcc
	s_cbranch_execnz .LBB812_943
.LBB812_928:                            ;   in Loop: Header=BB812_900 Depth=2
	s_or_b64 exec, exec, s[22:23]
	v_cmp_gt_u32_e32 vcc, s24, v82
	s_and_saveexec_b64 s[22:23], vcc
	s_cbranch_execnz .LBB812_944
.LBB812_929:                            ;   in Loop: Header=BB812_900 Depth=2
	s_or_b64 exec, exec, s[22:23]
	v_cmp_gt_u32_e32 vcc, s24, v83
	s_and_saveexec_b64 s[22:23], vcc
	s_cbranch_execnz .LBB812_945
.LBB812_930:                            ;   in Loop: Header=BB812_900 Depth=2
	s_or_b64 exec, exec, s[22:23]
	v_cmp_gt_u32_e32 vcc, s24, v84
	s_and_saveexec_b64 s[22:23], vcc
	s_cbranch_execnz .LBB812_946
.LBB812_931:                            ;   in Loop: Header=BB812_900 Depth=2
	s_or_b64 exec, exec, s[22:23]
	v_cmp_gt_u32_e32 vcc, s24, v85
	s_and_saveexec_b64 s[22:23], vcc
	s_cbranch_execnz .LBB812_947
.LBB812_932:                            ;   in Loop: Header=BB812_900 Depth=2
	s_or_b64 exec, exec, s[22:23]
	v_cmp_gt_u32_e32 vcc, s24, v86
	s_and_saveexec_b64 s[22:23], vcc
	s_cbranch_execnz .LBB812_948
.LBB812_933:                            ;   in Loop: Header=BB812_900 Depth=2
	s_or_b64 exec, exec, s[22:23]
	v_cmp_gt_u32_e32 vcc, s24, v87
	s_and_saveexec_b64 s[22:23], vcc
	s_cbranch_execnz .LBB812_949
.LBB812_934:                            ;   in Loop: Header=BB812_900 Depth=2
	s_or_b64 exec, exec, s[22:23]
	v_cmp_gt_u32_e32 vcc, s24, v88
	s_and_saveexec_b64 s[22:23], vcc
	s_cbranch_execnz .LBB812_950
.LBB812_935:                            ;   in Loop: Header=BB812_900 Depth=2
	s_or_b64 exec, exec, s[22:23]
	v_cmp_gt_u32_e32 vcc, s24, v89
	s_and_saveexec_b64 s[22:23], vcc
	s_cbranch_execnz .LBB812_951
.LBB812_936:                            ;   in Loop: Header=BB812_900 Depth=2
	s_or_b64 exec, exec, s[22:23]
	v_cmp_gt_u32_e32 vcc, s24, v90
	s_and_saveexec_b64 s[22:23], vcc
	s_cbranch_execz .LBB812_899
	s_branch .LBB812_952
.LBB812_937:                            ;   in Loop: Header=BB812_900 Depth=2
	v_xor_b32_e32 v40, 0x80000000, v38
	v_mov_b32_e32 v39, v37
	v_lshrrev_b64 v[39:40], s7, v[39:40]
	v_and_b32_e32 v4, s98, v39
	v_lshl_or_b32 v4, v4, 4, v91
	ds_add_u32 v4, v119
	s_or_b64 exec, exec, s[22:23]
	v_cmp_gt_u32_e32 vcc, s24, v74
	s_and_saveexec_b64 s[22:23], vcc
	s_cbranch_execz .LBB812_923
.LBB812_938:                            ;   in Loop: Header=BB812_900 Depth=2
	v_xor_b32_e32 v40, 0x80000000, v36
	v_mov_b32_e32 v39, v35
	v_lshrrev_b64 v[39:40], s7, v[39:40]
	v_and_b32_e32 v4, s98, v39
	v_lshl_or_b32 v4, v4, 4, v91
	ds_add_u32 v4, v119
	s_or_b64 exec, exec, s[22:23]
	v_cmp_gt_u32_e32 vcc, s24, v77
	s_and_saveexec_b64 s[22:23], vcc
	s_cbranch_execz .LBB812_924
.LBB812_939:                            ;   in Loop: Header=BB812_900 Depth=2
	v_xor_b32_e32 v40, 0x80000000, v34
	v_mov_b32_e32 v39, v33
	v_lshrrev_b64 v[39:40], s7, v[39:40]
	v_and_b32_e32 v4, s98, v39
	v_lshl_or_b32 v4, v4, 4, v91
	ds_add_u32 v4, v119
	s_or_b64 exec, exec, s[22:23]
	v_cmp_gt_u32_e32 vcc, s24, v78
	s_and_saveexec_b64 s[22:23], vcc
	s_cbranch_execz .LBB812_925
.LBB812_940:                            ;   in Loop: Header=BB812_900 Depth=2
	v_xor_b32_e32 v40, 0x80000000, v32
	v_mov_b32_e32 v39, v31
	v_lshrrev_b64 v[39:40], s7, v[39:40]
	v_and_b32_e32 v4, s98, v39
	v_lshl_or_b32 v4, v4, 4, v91
	ds_add_u32 v4, v119
	s_or_b64 exec, exec, s[22:23]
	v_cmp_gt_u32_e32 vcc, s24, v79
	s_and_saveexec_b64 s[22:23], vcc
	s_cbranch_execz .LBB812_926
.LBB812_941:                            ;   in Loop: Header=BB812_900 Depth=2
	v_xor_b32_e32 v40, 0x80000000, v30
	v_mov_b32_e32 v39, v29
	v_lshrrev_b64 v[39:40], s7, v[39:40]
	v_and_b32_e32 v4, s98, v39
	v_lshl_or_b32 v4, v4, 4, v91
	ds_add_u32 v4, v119
	s_or_b64 exec, exec, s[22:23]
	v_cmp_gt_u32_e32 vcc, s24, v80
	s_and_saveexec_b64 s[22:23], vcc
	s_cbranch_execz .LBB812_927
.LBB812_942:                            ;   in Loop: Header=BB812_900 Depth=2
	v_xor_b32_e32 v40, 0x80000000, v28
	v_mov_b32_e32 v39, v27
	v_lshrrev_b64 v[39:40], s7, v[39:40]
	v_and_b32_e32 v4, s98, v39
	v_lshl_or_b32 v4, v4, 4, v91
	ds_add_u32 v4, v119
	s_or_b64 exec, exec, s[22:23]
	v_cmp_gt_u32_e32 vcc, s24, v81
	s_and_saveexec_b64 s[22:23], vcc
	s_cbranch_execz .LBB812_928
.LBB812_943:                            ;   in Loop: Header=BB812_900 Depth=2
	v_xor_b32_e32 v40, 0x80000000, v26
	v_mov_b32_e32 v39, v25
	v_lshrrev_b64 v[39:40], s7, v[39:40]
	v_and_b32_e32 v4, s98, v39
	v_lshl_or_b32 v4, v4, 4, v91
	ds_add_u32 v4, v119
	s_or_b64 exec, exec, s[22:23]
	v_cmp_gt_u32_e32 vcc, s24, v82
	s_and_saveexec_b64 s[22:23], vcc
	s_cbranch_execz .LBB812_929
.LBB812_944:                            ;   in Loop: Header=BB812_900 Depth=2
	v_xor_b32_e32 v40, 0x80000000, v24
	v_mov_b32_e32 v39, v23
	v_lshrrev_b64 v[39:40], s7, v[39:40]
	v_and_b32_e32 v4, s98, v39
	v_lshl_or_b32 v4, v4, 4, v91
	ds_add_u32 v4, v119
	s_or_b64 exec, exec, s[22:23]
	v_cmp_gt_u32_e32 vcc, s24, v83
	s_and_saveexec_b64 s[22:23], vcc
	s_cbranch_execz .LBB812_930
.LBB812_945:                            ;   in Loop: Header=BB812_900 Depth=2
	v_xor_b32_e32 v40, 0x80000000, v22
	v_mov_b32_e32 v39, v21
	v_lshrrev_b64 v[39:40], s7, v[39:40]
	v_and_b32_e32 v4, s98, v39
	v_lshl_or_b32 v4, v4, 4, v91
	ds_add_u32 v4, v119
	s_or_b64 exec, exec, s[22:23]
	v_cmp_gt_u32_e32 vcc, s24, v84
	s_and_saveexec_b64 s[22:23], vcc
	s_cbranch_execz .LBB812_931
.LBB812_946:                            ;   in Loop: Header=BB812_900 Depth=2
	v_xor_b32_e32 v40, 0x80000000, v20
	v_mov_b32_e32 v39, v19
	v_lshrrev_b64 v[39:40], s7, v[39:40]
	v_and_b32_e32 v4, s98, v39
	v_lshl_or_b32 v4, v4, 4, v91
	ds_add_u32 v4, v119
	s_or_b64 exec, exec, s[22:23]
	v_cmp_gt_u32_e32 vcc, s24, v85
	s_and_saveexec_b64 s[22:23], vcc
	s_cbranch_execz .LBB812_932
.LBB812_947:                            ;   in Loop: Header=BB812_900 Depth=2
	v_xor_b32_e32 v40, 0x80000000, v18
	v_mov_b32_e32 v39, v17
	v_lshrrev_b64 v[39:40], s7, v[39:40]
	v_and_b32_e32 v4, s98, v39
	v_lshl_or_b32 v4, v4, 4, v91
	ds_add_u32 v4, v119
	s_or_b64 exec, exec, s[22:23]
	v_cmp_gt_u32_e32 vcc, s24, v86
	s_and_saveexec_b64 s[22:23], vcc
	s_cbranch_execz .LBB812_933
.LBB812_948:                            ;   in Loop: Header=BB812_900 Depth=2
	v_xor_b32_e32 v40, 0x80000000, v16
	v_mov_b32_e32 v39, v15
	v_lshrrev_b64 v[39:40], s7, v[39:40]
	v_and_b32_e32 v4, s98, v39
	v_lshl_or_b32 v4, v4, 4, v91
	ds_add_u32 v4, v119
	s_or_b64 exec, exec, s[22:23]
	v_cmp_gt_u32_e32 vcc, s24, v87
	s_and_saveexec_b64 s[22:23], vcc
	s_cbranch_execz .LBB812_934
.LBB812_949:                            ;   in Loop: Header=BB812_900 Depth=2
	v_xor_b32_e32 v40, 0x80000000, v14
	v_mov_b32_e32 v39, v13
	v_lshrrev_b64 v[39:40], s7, v[39:40]
	v_and_b32_e32 v4, s98, v39
	v_lshl_or_b32 v4, v4, 4, v91
	ds_add_u32 v4, v119
	s_or_b64 exec, exec, s[22:23]
	v_cmp_gt_u32_e32 vcc, s24, v88
	s_and_saveexec_b64 s[22:23], vcc
	s_cbranch_execz .LBB812_935
.LBB812_950:                            ;   in Loop: Header=BB812_900 Depth=2
	v_xor_b32_e32 v40, 0x80000000, v12
	v_mov_b32_e32 v39, v11
	v_lshrrev_b64 v[39:40], s7, v[39:40]
	v_and_b32_e32 v4, s98, v39
	v_lshl_or_b32 v4, v4, 4, v91
	ds_add_u32 v4, v119
	s_or_b64 exec, exec, s[22:23]
	v_cmp_gt_u32_e32 vcc, s24, v89
	s_and_saveexec_b64 s[22:23], vcc
	s_cbranch_execz .LBB812_936
.LBB812_951:                            ;   in Loop: Header=BB812_900 Depth=2
	v_xor_b32_e32 v40, 0x80000000, v10
	v_mov_b32_e32 v39, v9
	v_lshrrev_b64 v[39:40], s7, v[39:40]
	v_and_b32_e32 v4, s98, v39
	v_lshl_or_b32 v4, v4, 4, v91
	ds_add_u32 v4, v119
	s_or_b64 exec, exec, s[22:23]
	v_cmp_gt_u32_e32 vcc, s24, v90
	s_and_saveexec_b64 s[22:23], vcc
	s_cbranch_execz .LBB812_899
.LBB812_952:                            ;   in Loop: Header=BB812_900 Depth=2
	v_xor_b32_e32 v40, 0x80000000, v8
	v_mov_b32_e32 v39, v7
	v_lshrrev_b64 v[39:40], s7, v[39:40]
	v_and_b32_e32 v4, s98, v39
	v_lshl_or_b32 v4, v4, 4, v91
	ds_add_u32 v4, v119
	s_branch .LBB812_899
.LBB812_953:                            ;   in Loop: Header=BB812_900 Depth=2
	global_load_dwordx2 v[37:38], v120, s[22:23]
	s_or_b64 exec, exec, s[24:25]
	v_cmp_gt_u32_e32 vcc, s8, v74
	s_and_saveexec_b64 s[24:25], vcc
	s_cbranch_execz .LBB812_905
.LBB812_954:                            ;   in Loop: Header=BB812_900 Depth=2
	global_load_dwordx2 v[35:36], v120, s[22:23] offset:2048
	s_or_b64 exec, exec, s[24:25]
	v_cmp_gt_u32_e32 vcc, s8, v77
	s_and_saveexec_b64 s[24:25], vcc
	s_cbranch_execz .LBB812_906
.LBB812_955:                            ;   in Loop: Header=BB812_900 Depth=2
	global_load_dwordx2 v[33:34], v121, s[22:23]
	s_or_b64 exec, exec, s[24:25]
	v_cmp_gt_u32_e32 vcc, s8, v78
	s_and_saveexec_b64 s[24:25], vcc
	s_cbranch_execz .LBB812_907
.LBB812_956:                            ;   in Loop: Header=BB812_900 Depth=2
	global_load_dwordx2 v[31:32], v122, s[22:23]
	s_or_b64 exec, exec, s[24:25]
	v_cmp_gt_u32_e32 vcc, s8, v79
	s_and_saveexec_b64 s[24:25], vcc
	s_cbranch_execz .LBB812_908
.LBB812_957:                            ;   in Loop: Header=BB812_900 Depth=2
	global_load_dwordx2 v[29:30], v123, s[22:23]
	s_or_b64 exec, exec, s[24:25]
	v_cmp_gt_u32_e32 vcc, s8, v80
	s_and_saveexec_b64 s[24:25], vcc
	s_cbranch_execz .LBB812_909
.LBB812_958:                            ;   in Loop: Header=BB812_900 Depth=2
	global_load_dwordx2 v[27:28], v124, s[22:23]
	s_or_b64 exec, exec, s[24:25]
	v_cmp_gt_u32_e32 vcc, s8, v81
	s_and_saveexec_b64 s[24:25], vcc
	s_cbranch_execz .LBB812_910
.LBB812_959:                            ;   in Loop: Header=BB812_900 Depth=2
	global_load_dwordx2 v[25:26], v125, s[22:23]
	s_or_b64 exec, exec, s[24:25]
	v_cmp_gt_u32_e32 vcc, s8, v82
	s_and_saveexec_b64 s[24:25], vcc
	s_cbranch_execz .LBB812_911
.LBB812_960:                            ;   in Loop: Header=BB812_900 Depth=2
	global_load_dwordx2 v[23:24], v126, s[22:23]
	s_or_b64 exec, exec, s[24:25]
	v_cmp_gt_u32_e32 vcc, s8, v83
	s_and_saveexec_b64 s[24:25], vcc
	s_cbranch_execz .LBB812_912
.LBB812_961:                            ;   in Loop: Header=BB812_900 Depth=2
	global_load_dwordx2 v[21:22], v127, s[22:23]
	s_or_b64 exec, exec, s[24:25]
	v_cmp_gt_u32_e32 vcc, s8, v84
	s_and_saveexec_b64 s[24:25], vcc
	s_cbranch_execz .LBB812_913
.LBB812_962:                            ;   in Loop: Header=BB812_900 Depth=2
	global_load_dwordx2 v[19:20], v128, s[22:23]
	s_or_b64 exec, exec, s[24:25]
	v_cmp_gt_u32_e32 vcc, s8, v85
	s_and_saveexec_b64 s[24:25], vcc
	s_cbranch_execz .LBB812_914
.LBB812_963:                            ;   in Loop: Header=BB812_900 Depth=2
	global_load_dwordx2 v[17:18], v129, s[22:23]
	s_or_b64 exec, exec, s[24:25]
	v_cmp_gt_u32_e32 vcc, s8, v86
	s_and_saveexec_b64 s[24:25], vcc
	s_cbranch_execz .LBB812_915
.LBB812_964:                            ;   in Loop: Header=BB812_900 Depth=2
	global_load_dwordx2 v[15:16], v130, s[22:23]
	s_or_b64 exec, exec, s[24:25]
	v_cmp_gt_u32_e32 vcc, s8, v87
	s_and_saveexec_b64 s[24:25], vcc
	s_cbranch_execz .LBB812_916
.LBB812_965:                            ;   in Loop: Header=BB812_900 Depth=2
	global_load_dwordx2 v[13:14], v131, s[22:23]
	s_or_b64 exec, exec, s[24:25]
	v_cmp_gt_u32_e32 vcc, s8, v88
	s_and_saveexec_b64 s[24:25], vcc
	s_cbranch_execz .LBB812_917
.LBB812_966:                            ;   in Loop: Header=BB812_900 Depth=2
	global_load_dwordx2 v[11:12], v132, s[22:23]
	s_or_b64 exec, exec, s[24:25]
	v_cmp_gt_u32_e32 vcc, s8, v89
	s_and_saveexec_b64 s[24:25], vcc
	s_cbranch_execz .LBB812_918
.LBB812_967:                            ;   in Loop: Header=BB812_900 Depth=2
	global_load_dwordx2 v[9:10], v133, s[22:23]
	s_or_b64 exec, exec, s[24:25]
	v_cmp_gt_u32_e32 vcc, s8, v90
	s_and_saveexec_b64 s[24:25], vcc
	s_cbranch_execnz .LBB812_919
	s_branch .LBB812_920
.LBB812_968:                            ;   in Loop: Header=BB812_12 Depth=1
	v_mov_b32_e32 v4, 0
	s_waitcnt lgkmcnt(0)
	s_barrier
	s_and_saveexec_b64 s[22:23], s[4:5]
	s_cbranch_execz .LBB812_970
; %bb.969:                              ;   in Loop: Header=BB812_12 Depth=1
	ds_read2_b64 v[7:10], v93 offset1:1
	s_waitcnt lgkmcnt(0)
	v_add_u32_e32 v4, v8, v7
	v_add3_u32 v4, v4, v9, v10
.LBB812_970:                            ;   in Loop: Header=BB812_12 Depth=1
	s_or_b64 exec, exec, s[22:23]
	v_and_b32_e32 v7, 15, v135
	v_mov_b32_dpp v8, v4 row_shr:1 row_mask:0xf bank_mask:0xf
	v_cmp_eq_u32_e64 s[22:23], 0, v7
	v_cndmask_b32_e64 v8, v8, 0, s[22:23]
	v_add_u32_e32 v4, v8, v4
	v_cmp_lt_u32_e64 s[24:25], 1, v7
	v_cmp_lt_u32_e64 s[26:27], 3, v7
	v_mov_b32_dpp v8, v4 row_shr:2 row_mask:0xf bank_mask:0xf
	v_cndmask_b32_e64 v8, 0, v8, s[24:25]
	v_add_u32_e32 v4, v4, v8
	v_cmp_lt_u32_e64 s[28:29], 7, v7
	v_cmp_lt_u32_e64 s[34:35], 31, v135
	v_mov_b32_dpp v8, v4 row_shr:4 row_mask:0xf bank_mask:0xf
	v_cndmask_b32_e64 v8, 0, v8, s[26:27]
	v_add_u32_e32 v4, v4, v8
	v_and_b32_e32 v9, 16, v135
	v_cmp_eq_u32_e64 s[30:31], 0, v9
	v_mov_b32_dpp v8, v4 row_shr:8 row_mask:0xf bank_mask:0xf
	v_cndmask_b32_e64 v7, 0, v8, s[28:29]
	v_add_u32_e32 v4, v4, v7
	v_bfe_i32 v8, v135, 4, 1
	s_nop 0
	v_mov_b32_dpp v7, v4 row_bcast:15 row_mask:0xf bank_mask:0xf
	v_and_b32_e32 v7, v8, v7
	v_add_u32_e32 v4, v4, v7
	s_nop 1
	v_mov_b32_dpp v7, v4 row_bcast:31 row_mask:0xf bank_mask:0xf
	v_cndmask_b32_e64 v7, 0, v7, s[34:35]
	v_add_u32_e32 v4, v4, v7
	s_mov_b64 s[36:37], exec
	v_readlane_b32 s8, v232, 1
	v_readlane_b32 s9, v232, 2
	s_and_b64 s[8:9], s[36:37], s[8:9]
	s_mov_b64 exec, s[8:9]
; %bb.971:                              ;   in Loop: Header=BB812_12 Depth=1
	ds_write_b32 v95, v4
; %bb.972:                              ;   in Loop: Header=BB812_12 Depth=1
	s_or_b64 exec, exec, s[36:37]
	s_waitcnt lgkmcnt(0)
	s_barrier
	s_and_saveexec_b64 s[36:37], s[10:11]
	s_cbranch_execz .LBB812_974
; %bb.973:                              ;   in Loop: Header=BB812_12 Depth=1
	ds_read_b32 v7, v96
	v_bfe_i32 v8, v135, 0, 1
	s_waitcnt lgkmcnt(0)
	v_mov_b32_dpp v9, v7 row_shr:1 row_mask:0xf bank_mask:0xf
	v_and_b32_e32 v8, v8, v9
	v_add_u32_e32 v7, v8, v7
	ds_write_b32 v96, v7
.LBB812_974:                            ;   in Loop: Header=BB812_12 Depth=1
	s_or_b64 exec, exec, s[36:37]
	v_mov_b32_e32 v7, 0
	s_waitcnt lgkmcnt(0)
	s_barrier
	s_and_saveexec_b64 s[36:37], s[12:13]
; %bb.975:                              ;   in Loop: Header=BB812_12 Depth=1
	ds_read_b32 v7, v97
; %bb.976:                              ;   in Loop: Header=BB812_12 Depth=1
	s_or_b64 exec, exec, s[36:37]
	v_subrev_co_u32_e64 v8, s[36:37], 1, v135
	v_and_b32_e32 v9, 64, v135
	v_cmp_lt_i32_e32 vcc, v8, v9
	v_cndmask_b32_e32 v8, v8, v135, vcc
	s_waitcnt lgkmcnt(0)
	v_add_u32_e32 v4, v7, v4
	v_lshlrev_b32_e32 v136, 2, v8
	ds_bpermute_b32 v4, v136, v4
	s_waitcnt lgkmcnt(0)
	s_barrier
	s_and_saveexec_b64 s[38:39], s[4:5]
; %bb.977:                              ;   in Loop: Header=BB812_12 Depth=1
	v_cndmask_b32_e64 v4, v4, v7, s[36:37]
	v_add_u32_e32 v4, s96, v4
	ds_write_b32 v73, v4
; %bb.978:                              ;   in Loop: Header=BB812_12 Depth=1
	s_or_b64 exec, exec, s[38:39]
	s_load_dwordx2 s[8:9], s[94:95], 0x0
	v_readlane_b32 s38, v232, 0
	v_and_b32_e32 v40, 3, v135
	v_and_b32_e32 v41, 63, v135
	v_cmp_lt_u32_e64 s[40:41], 1, v40
	s_waitcnt lgkmcnt(0)
	s_cmp_lt_u32 s38, s9
	s_cselect_b32 s9, 14, 20
	s_add_u32 s38, s94, s9
	s_addc_u32 s39, s95, 0
	s_cmp_lt_u32 s6, s8
	s_cselect_b32 s8, 12, 18
	s_add_u32 s8, s94, s8
	global_load_ushort v4, v3, s[38:39]
	s_addc_u32 s9, s95, 0
	global_load_ushort v39, v3, s[8:9]
	v_cmp_eq_u32_e64 s[38:39], 0, v40
	v_lshlrev_b32_e32 v42, 3, v41
	v_add_co_u32_e32 v154, vcc, v115, v42
	v_addc_co_u32_e32 v155, vcc, 0, v116, vcc
	v_or_b32_e32 v153, v41, v98
	v_add_co_u32_e32 v171, vcc, v117, v42
	s_mov_b32 s91, s33
	v_or_b32_e32 v156, 64, v153
	v_or_b32_e32 v157, 0x80, v153
	;; [unrolled: 1-line block ×15, first 2 shown]
	v_addc_co_u32_e32 v172, vcc, 0, v118, vcc
	s_mov_b32 s92, s96
                                        ; implicit-def: $vgpr7_vgpr8
                                        ; implicit-def: $vgpr9_vgpr10
                                        ; implicit-def: $vgpr11_vgpr12
                                        ; implicit-def: $vgpr15_vgpr16
                                        ; implicit-def: $vgpr19_vgpr20
                                        ; implicit-def: $vgpr23_vgpr24
                                        ; implicit-def: $vgpr27_vgpr28
                                        ; implicit-def: $vgpr31_vgpr32
                                        ; implicit-def: $vgpr13_vgpr14
                                        ; implicit-def: $vgpr17_vgpr18
                                        ; implicit-def: $vgpr21_vgpr22
                                        ; implicit-def: $vgpr25_vgpr26
                                        ; implicit-def: $vgpr29_vgpr30
                                        ; implicit-def: $vgpr33_vgpr34
                                        ; implicit-def: $vgpr35_vgpr36
                                        ; implicit-def: $vgpr37_vgpr38
                                        ; implicit-def: $vgpr137
                                        ; implicit-def: $vgpr138
                                        ; implicit-def: $vgpr139
                                        ; implicit-def: $vgpr140
                                        ; implicit-def: $vgpr141
                                        ; implicit-def: $vgpr142
                                        ; implicit-def: $vgpr143
                                        ; implicit-def: $vgpr144
                                        ; implicit-def: $vgpr145
                                        ; implicit-def: $vgpr146
                                        ; implicit-def: $vgpr147
                                        ; implicit-def: $vgpr148
                                        ; implicit-def: $vgpr149
                                        ; implicit-def: $vgpr150
                                        ; implicit-def: $vgpr151
                                        ; implicit-def: $vgpr152
                                        ; implicit-def: $vgpr174
                                        ; implicit-def: $vgpr175
	s_waitcnt vmcnt(1)
	v_mad_u32_u24 v4, v2, v4, v1
	s_waitcnt vmcnt(0)
	v_mad_u64_u32 v[39:40], s[8:9], v4, v39, v[0:1]
	v_lshrrev_b32_e32 v4, 4, v39
	v_and_b32_e32 v173, 0xffffffc, v4
	s_branch .LBB812_980
.LBB812_979:                            ;   in Loop: Header=BB812_980 Depth=2
	s_or_b64 exec, exec, s[42:43]
	s_addk_i32 s91, 0xf000
	s_cmp_lt_u32 s99, s97
	s_mov_b32 s92, s99
	s_cbranch_scc0 .LBB812_10
.LBB812_980:                            ;   Parent Loop BB812_12 Depth=1
                                        ; =>  This Inner Loop Header: Depth=2
	s_add_i32 s99, s92, 0x1000
	s_cmp_gt_u32 s99, s97
	s_cbranch_scc1 .LBB812_982
; %bb.981:                              ;   in Loop: Header=BB812_980 Depth=2
	s_lshl_b64 s[8:9], s[92:93], 3
	v_mov_b32_e32 v4, s9
	v_add_co_u32_e32 v55, vcc, s8, v171
	v_addc_co_u32_e32 v56, vcc, v172, v4, vcc
	v_add_co_u32_e32 v67, vcc, 0x1000, v55
	global_load_dwordx2 v[41:42], v[55:56], off
	global_load_dwordx2 v[39:40], v[55:56], off offset:512
	global_load_dwordx2 v[43:44], v[55:56], off offset:1024
	;; [unrolled: 1-line block ×7, first 2 shown]
	v_addc_co_u32_e32 v68, vcc, 0, v56, vcc
	global_load_dwordx2 v[55:56], v[67:68], off
	global_load_dwordx2 v[57:58], v[67:68], off offset:512
	global_load_dwordx2 v[59:60], v[67:68], off offset:1024
	;; [unrolled: 1-line block ×5, first 2 shown]
	s_nop 0
	global_load_dwordx2 v[67:68], v[67:68], off offset:3072
	s_mov_b64 s[42:43], -1
	s_movk_i32 s8, 0x1000
	s_cbranch_execz .LBB812_983
	s_branch .LBB812_1014
.LBB812_982:                            ;   in Loop: Header=BB812_980 Depth=2
	s_mov_b64 s[42:43], 0
                                        ; implicit-def: $vgpr41_vgpr42
                                        ; implicit-def: $vgpr39_vgpr40
                                        ; implicit-def: $vgpr43_vgpr44
                                        ; implicit-def: $vgpr45_vgpr46
                                        ; implicit-def: $vgpr47_vgpr48
                                        ; implicit-def: $vgpr49_vgpr50
                                        ; implicit-def: $vgpr51_vgpr52
                                        ; implicit-def: $vgpr53_vgpr54
                                        ; implicit-def: $vgpr55_vgpr56
                                        ; implicit-def: $vgpr57_vgpr58
                                        ; implicit-def: $vgpr59_vgpr60
                                        ; implicit-def: $vgpr61_vgpr62
                                        ; implicit-def: $vgpr63_vgpr64
                                        ; implicit-def: $vgpr65_vgpr66
                                        ; implicit-def: $vgpr67_vgpr68
	s_movk_i32 s8, 0x1000
.LBB812_983:                            ;   in Loop: Header=BB812_980 Depth=2
	s_lshl_b64 s[8:9], s[92:93], 3
	v_mov_b32_e32 v4, s9
	v_add_co_u32_e32 v69, vcc, s8, v171
	s_waitcnt vmcnt(13)
	v_mov_b32_e32 v40, v6
	v_addc_co_u32_e32 v70, vcc, v172, v4, vcc
	v_mov_b32_e32 v39, v5
	v_mov_b32_e32 v42, v40
	v_cmp_gt_u32_e32 vcc, s91, v153
	v_mov_b32_e32 v41, v39
	s_and_saveexec_b64 s[42:43], vcc
	s_cbranch_execz .LBB812_985
; %bb.984:                              ;   in Loop: Header=BB812_980 Depth=2
	global_load_dwordx2 v[41:42], v[69:70], off
.LBB812_985:                            ;   in Loop: Header=BB812_980 Depth=2
	s_or_b64 exec, exec, s[42:43]
	v_cmp_gt_u32_e32 vcc, s91, v156
	s_and_saveexec_b64 s[42:43], vcc
	s_cbranch_execz .LBB812_987
; %bb.986:                              ;   in Loop: Header=BB812_980 Depth=2
	global_load_dwordx2 v[39:40], v[69:70], off offset:512
.LBB812_987:                            ;   in Loop: Header=BB812_980 Depth=2
	s_or_b64 exec, exec, s[42:43]
	s_waitcnt vmcnt(12)
	v_mov_b32_e32 v44, v6
	v_cmp_gt_u32_e32 vcc, s91, v157
	v_mov_b32_e32 v43, v5
	s_and_saveexec_b64 s[42:43], vcc
	s_cbranch_execz .LBB812_989
; %bb.988:                              ;   in Loop: Header=BB812_980 Depth=2
	global_load_dwordx2 v[43:44], v[69:70], off offset:1024
.LBB812_989:                            ;   in Loop: Header=BB812_980 Depth=2
	s_or_b64 exec, exec, s[42:43]
	s_waitcnt vmcnt(11)
	v_mov_b32_e32 v46, v6
	v_cmp_gt_u32_e32 vcc, s91, v158
	v_mov_b32_e32 v45, v5
	;; [unrolled: 10-line block ×7, first 2 shown]
	s_and_saveexec_b64 s[42:43], vcc
	s_cbranch_execz .LBB812_1001
; %bb.1000:                             ;   in Loop: Header=BB812_980 Depth=2
	v_add_co_u32_e32 v55, vcc, 0x1000, v69
	v_addc_co_u32_e32 v56, vcc, 0, v70, vcc
	global_load_dwordx2 v[55:56], v[55:56], off
.LBB812_1001:                           ;   in Loop: Header=BB812_980 Depth=2
	s_or_b64 exec, exec, s[42:43]
	s_waitcnt vmcnt(5)
	v_mov_b32_e32 v58, v6
	v_cmp_gt_u32_e32 vcc, s91, v164
	v_mov_b32_e32 v57, v5
	s_and_saveexec_b64 s[42:43], vcc
	s_cbranch_execz .LBB812_1003
; %bb.1002:                             ;   in Loop: Header=BB812_980 Depth=2
	v_add_co_u32_e32 v57, vcc, 0x1000, v69
	v_addc_co_u32_e32 v58, vcc, 0, v70, vcc
	global_load_dwordx2 v[57:58], v[57:58], off offset:512
.LBB812_1003:                           ;   in Loop: Header=BB812_980 Depth=2
	s_or_b64 exec, exec, s[42:43]
	s_waitcnt vmcnt(4)
	v_mov_b32_e32 v60, v6
	v_cmp_gt_u32_e32 vcc, s91, v165
	v_mov_b32_e32 v59, v5
	s_and_saveexec_b64 s[42:43], vcc
	s_cbranch_execz .LBB812_1005
; %bb.1004:                             ;   in Loop: Header=BB812_980 Depth=2
	v_add_co_u32_e32 v59, vcc, 0x1000, v69
	v_addc_co_u32_e32 v60, vcc, 0, v70, vcc
	global_load_dwordx2 v[59:60], v[59:60], off offset:1024
.LBB812_1005:                           ;   in Loop: Header=BB812_980 Depth=2
	;; [unrolled: 12-line block ×6, first 2 shown]
	s_or_b64 exec, exec, s[42:43]
	s_sub_i32 s8, s97, s92
	v_cmp_gt_u32_e64 s[42:43], s91, v170
.LBB812_1014:                           ;   in Loop: Header=BB812_980 Depth=2
	v_mov_b32_e32 v69, -1
	v_mov_b32_e32 v70, -1
	v_mov_b32_e32 v176, s91
	s_and_saveexec_b64 s[44:45], s[42:43]
	s_cbranch_execz .LBB812_1016
; %bb.1015:                             ;   in Loop: Header=BB812_980 Depth=2
	s_lshl_b64 s[42:43], s[92:93], 3
	v_mov_b32_e32 v4, s43
	v_add_co_u32_e32 v69, vcc, s42, v171
	v_addc_co_u32_e32 v4, vcc, v172, v4, vcc
	v_add_co_u32_e32 v69, vcc, 0x1000, v69
	v_addc_co_u32_e32 v70, vcc, 0, v4, vcc
	global_load_dwordx2 v[69:70], v[69:70], off offset:3584
	v_mov_b32_e32 v176, s8
	s_waitcnt vmcnt(0)
	v_xor_b32_e32 v70, 0x80000000, v70
.LBB812_1016:                           ;   in Loop: Header=BB812_980 Depth=2
	s_or_b64 exec, exec, s[44:45]
	s_waitcnt vmcnt(14)
	v_xor_b32_e32 v42, 0x80000000, v42
	v_lshrrev_b64 v[71:72], s7, v[41:42]
	ds_write2_b32 v92, v3, v3 offset0:132 offset1:133
	ds_write_b32 v92, v3 offset:536
	v_and_b32_e32 v71, s98, v71
	v_and_b32_e32 v4, 1, v71
	v_add_co_u32_e32 v72, vcc, -1, v4
	v_addc_co_u32_e64 v177, s[8:9], 0, -1, vcc
	v_cmp_ne_u32_e32 vcc, 0, v4
	v_xor_b32_e32 v4, vcc_hi, v177
	v_and_b32_e32 v177, exec_hi, v4
	v_lshlrev_b32_e32 v4, 30, v71
	v_xor_b32_e32 v72, vcc_lo, v72
	v_cmp_gt_i64_e32 vcc, 0, v[3:4]
	v_not_b32_e32 v4, v4
	v_ashrrev_i32_e32 v4, 31, v4
	v_and_b32_e32 v72, exec_lo, v72
	v_xor_b32_e32 v179, vcc_hi, v4
	v_xor_b32_e32 v4, vcc_lo, v4
	v_and_b32_e32 v72, v72, v4
	v_lshlrev_b32_e32 v4, 29, v71
	v_cmp_gt_i64_e32 vcc, 0, v[3:4]
	v_not_b32_e32 v4, v4
	v_ashrrev_i32_e32 v4, 31, v4
	v_and_b32_e32 v177, v177, v179
	v_xor_b32_e32 v179, vcc_hi, v4
	v_xor_b32_e32 v4, vcc_lo, v4
	v_and_b32_e32 v72, v72, v4
	v_lshlrev_b32_e32 v4, 28, v71
	v_cmp_gt_i64_e32 vcc, 0, v[3:4]
	v_not_b32_e32 v4, v4
	v_ashrrev_i32_e32 v4, 31, v4
	v_and_b32_e32 v177, v177, v179
	;; [unrolled: 8-line block ×4, first 2 shown]
	v_xor_b32_e32 v179, vcc_hi, v4
	v_xor_b32_e32 v4, vcc_lo, v4
	v_and_b32_e32 v177, v177, v179
	v_and_b32_e32 v179, v72, v4
	v_lshlrev_b32_e32 v4, 25, v71
	v_cmp_gt_i64_e32 vcc, 0, v[3:4]
	v_not_b32_e32 v4, v4
	v_ashrrev_i32_e32 v4, 31, v4
	v_mul_u32_u24_e32 v178, 20, v71
	v_xor_b32_e32 v71, vcc_hi, v4
	v_xor_b32_e32 v4, vcc_lo, v4
	v_and_b32_e32 v72, v177, v71
	v_and_b32_e32 v71, v179, v4
	v_mbcnt_lo_u32_b32 v4, v71, 0
	v_mbcnt_hi_u32_b32 v177, v72, v4
	v_cmp_ne_u64_e32 vcc, 0, v[71:72]
	v_cmp_eq_u32_e64 s[42:43], 0, v177
	s_and_b64 s[8:9], vcc, s[42:43]
	v_add_u32_e32 v179, v173, v178
	s_waitcnt vmcnt(0) lgkmcnt(0)
	s_barrier
	; wave barrier
	s_and_saveexec_b64 s[42:43], s[8:9]
; %bb.1017:                             ;   in Loop: Header=BB812_980 Depth=2
	v_bcnt_u32_b32 v4, v71, 0
	v_bcnt_u32_b32 v4, v72, v4
	ds_write_b32 v179, v4 offset:528
; %bb.1018:                             ;   in Loop: Header=BB812_980 Depth=2
	s_or_b64 exec, exec, s[42:43]
	v_xor_b32_e32 v40, 0x80000000, v40
	v_lshrrev_b64 v[71:72], s7, v[39:40]
	v_and_b32_e32 v71, s98, v71
	v_mad_u32_u24 v4, v71, 20, v173
	; wave barrier
	ds_read_b32 v178, v4 offset:528
	v_and_b32_e32 v4, 1, v71
	v_add_co_u32_e32 v72, vcc, -1, v4
	v_addc_co_u32_e64 v180, s[8:9], 0, -1, vcc
	v_cmp_ne_u32_e32 vcc, 0, v4
	v_xor_b32_e32 v4, vcc_hi, v180
	v_and_b32_e32 v180, exec_hi, v4
	v_lshlrev_b32_e32 v4, 30, v71
	v_xor_b32_e32 v72, vcc_lo, v72
	v_cmp_gt_i64_e32 vcc, 0, v[3:4]
	v_not_b32_e32 v4, v4
	v_ashrrev_i32_e32 v4, 31, v4
	v_and_b32_e32 v72, exec_lo, v72
	v_xor_b32_e32 v182, vcc_hi, v4
	v_xor_b32_e32 v4, vcc_lo, v4
	v_and_b32_e32 v72, v72, v4
	v_lshlrev_b32_e32 v4, 29, v71
	v_cmp_gt_i64_e32 vcc, 0, v[3:4]
	v_not_b32_e32 v4, v4
	v_ashrrev_i32_e32 v4, 31, v4
	v_and_b32_e32 v180, v180, v182
	v_xor_b32_e32 v182, vcc_hi, v4
	v_xor_b32_e32 v4, vcc_lo, v4
	v_and_b32_e32 v72, v72, v4
	v_lshlrev_b32_e32 v4, 28, v71
	v_cmp_gt_i64_e32 vcc, 0, v[3:4]
	v_not_b32_e32 v4, v4
	v_ashrrev_i32_e32 v4, 31, v4
	v_and_b32_e32 v180, v180, v182
	;; [unrolled: 8-line block ×4, first 2 shown]
	v_xor_b32_e32 v182, vcc_hi, v4
	v_xor_b32_e32 v4, vcc_lo, v4
	v_and_b32_e32 v180, v180, v182
	v_and_b32_e32 v182, v72, v4
	v_lshlrev_b32_e32 v4, 25, v71
	v_cmp_gt_i64_e32 vcc, 0, v[3:4]
	v_not_b32_e32 v4, v4
	v_ashrrev_i32_e32 v4, 31, v4
	v_mul_u32_u24_e32 v181, 20, v71
	v_xor_b32_e32 v71, vcc_hi, v4
	v_xor_b32_e32 v4, vcc_lo, v4
	v_and_b32_e32 v72, v180, v71
	v_and_b32_e32 v71, v182, v4
	v_mbcnt_lo_u32_b32 v4, v71, 0
	v_mbcnt_hi_u32_b32 v180, v72, v4
	v_cmp_ne_u64_e32 vcc, 0, v[71:72]
	v_cmp_eq_u32_e64 s[42:43], 0, v180
	s_and_b64 s[8:9], vcc, s[42:43]
	v_add_u32_e32 v182, v173, v181
	; wave barrier
	s_and_saveexec_b64 s[42:43], s[8:9]
	s_cbranch_execz .LBB812_1020
; %bb.1019:                             ;   in Loop: Header=BB812_980 Depth=2
	v_bcnt_u32_b32 v4, v71, 0
	v_bcnt_u32_b32 v4, v72, v4
	s_waitcnt lgkmcnt(0)
	v_add_u32_e32 v4, v178, v4
	ds_write_b32 v182, v4 offset:528
.LBB812_1020:                           ;   in Loop: Header=BB812_980 Depth=2
	s_or_b64 exec, exec, s[42:43]
	v_xor_b32_e32 v44, 0x80000000, v44
	v_lshrrev_b64 v[71:72], s7, v[43:44]
	v_and_b32_e32 v71, s98, v71
	v_mad_u32_u24 v4, v71, 20, v173
	; wave barrier
	ds_read_b32 v181, v4 offset:528
	v_and_b32_e32 v4, 1, v71
	v_add_co_u32_e32 v72, vcc, -1, v4
	v_addc_co_u32_e64 v183, s[8:9], 0, -1, vcc
	v_cmp_ne_u32_e32 vcc, 0, v4
	v_xor_b32_e32 v4, vcc_hi, v183
	v_and_b32_e32 v183, exec_hi, v4
	v_lshlrev_b32_e32 v4, 30, v71
	v_xor_b32_e32 v72, vcc_lo, v72
	v_cmp_gt_i64_e32 vcc, 0, v[3:4]
	v_not_b32_e32 v4, v4
	v_ashrrev_i32_e32 v4, 31, v4
	v_and_b32_e32 v72, exec_lo, v72
	v_xor_b32_e32 v185, vcc_hi, v4
	v_xor_b32_e32 v4, vcc_lo, v4
	v_and_b32_e32 v72, v72, v4
	v_lshlrev_b32_e32 v4, 29, v71
	v_cmp_gt_i64_e32 vcc, 0, v[3:4]
	v_not_b32_e32 v4, v4
	v_ashrrev_i32_e32 v4, 31, v4
	v_and_b32_e32 v183, v183, v185
	v_xor_b32_e32 v185, vcc_hi, v4
	v_xor_b32_e32 v4, vcc_lo, v4
	v_and_b32_e32 v72, v72, v4
	v_lshlrev_b32_e32 v4, 28, v71
	v_cmp_gt_i64_e32 vcc, 0, v[3:4]
	v_not_b32_e32 v4, v4
	v_ashrrev_i32_e32 v4, 31, v4
	v_and_b32_e32 v183, v183, v185
	;; [unrolled: 8-line block ×4, first 2 shown]
	v_xor_b32_e32 v185, vcc_hi, v4
	v_xor_b32_e32 v4, vcc_lo, v4
	v_and_b32_e32 v183, v183, v185
	v_and_b32_e32 v185, v72, v4
	v_lshlrev_b32_e32 v4, 25, v71
	v_cmp_gt_i64_e32 vcc, 0, v[3:4]
	v_not_b32_e32 v4, v4
	v_ashrrev_i32_e32 v4, 31, v4
	v_mul_u32_u24_e32 v184, 20, v71
	v_xor_b32_e32 v71, vcc_hi, v4
	v_xor_b32_e32 v4, vcc_lo, v4
	v_and_b32_e32 v72, v183, v71
	v_and_b32_e32 v71, v185, v4
	v_mbcnt_lo_u32_b32 v4, v71, 0
	v_mbcnt_hi_u32_b32 v183, v72, v4
	v_cmp_ne_u64_e32 vcc, 0, v[71:72]
	v_cmp_eq_u32_e64 s[42:43], 0, v183
	s_and_b64 s[8:9], vcc, s[42:43]
	v_add_u32_e32 v185, v173, v184
	; wave barrier
	s_and_saveexec_b64 s[42:43], s[8:9]
	s_cbranch_execz .LBB812_1022
; %bb.1021:                             ;   in Loop: Header=BB812_980 Depth=2
	v_bcnt_u32_b32 v4, v71, 0
	v_bcnt_u32_b32 v4, v72, v4
	s_waitcnt lgkmcnt(0)
	v_add_u32_e32 v4, v181, v4
	ds_write_b32 v185, v4 offset:528
.LBB812_1022:                           ;   in Loop: Header=BB812_980 Depth=2
	s_or_b64 exec, exec, s[42:43]
	v_xor_b32_e32 v46, 0x80000000, v46
	v_lshrrev_b64 v[71:72], s7, v[45:46]
	v_and_b32_e32 v71, s98, v71
	v_mad_u32_u24 v4, v71, 20, v173
	; wave barrier
	ds_read_b32 v184, v4 offset:528
	v_and_b32_e32 v4, 1, v71
	v_add_co_u32_e32 v72, vcc, -1, v4
	v_addc_co_u32_e64 v186, s[8:9], 0, -1, vcc
	v_cmp_ne_u32_e32 vcc, 0, v4
	v_xor_b32_e32 v4, vcc_hi, v186
	v_and_b32_e32 v186, exec_hi, v4
	v_lshlrev_b32_e32 v4, 30, v71
	v_xor_b32_e32 v72, vcc_lo, v72
	v_cmp_gt_i64_e32 vcc, 0, v[3:4]
	v_not_b32_e32 v4, v4
	v_ashrrev_i32_e32 v4, 31, v4
	v_and_b32_e32 v72, exec_lo, v72
	v_xor_b32_e32 v188, vcc_hi, v4
	v_xor_b32_e32 v4, vcc_lo, v4
	v_and_b32_e32 v72, v72, v4
	v_lshlrev_b32_e32 v4, 29, v71
	v_cmp_gt_i64_e32 vcc, 0, v[3:4]
	v_not_b32_e32 v4, v4
	v_ashrrev_i32_e32 v4, 31, v4
	v_and_b32_e32 v186, v186, v188
	v_xor_b32_e32 v188, vcc_hi, v4
	v_xor_b32_e32 v4, vcc_lo, v4
	v_and_b32_e32 v72, v72, v4
	v_lshlrev_b32_e32 v4, 28, v71
	v_cmp_gt_i64_e32 vcc, 0, v[3:4]
	v_not_b32_e32 v4, v4
	v_ashrrev_i32_e32 v4, 31, v4
	v_and_b32_e32 v186, v186, v188
	;; [unrolled: 8-line block ×4, first 2 shown]
	v_xor_b32_e32 v188, vcc_hi, v4
	v_xor_b32_e32 v4, vcc_lo, v4
	v_and_b32_e32 v186, v186, v188
	v_and_b32_e32 v188, v72, v4
	v_lshlrev_b32_e32 v4, 25, v71
	v_cmp_gt_i64_e32 vcc, 0, v[3:4]
	v_not_b32_e32 v4, v4
	v_ashrrev_i32_e32 v4, 31, v4
	v_mul_u32_u24_e32 v187, 20, v71
	v_xor_b32_e32 v71, vcc_hi, v4
	v_xor_b32_e32 v4, vcc_lo, v4
	v_and_b32_e32 v72, v186, v71
	v_and_b32_e32 v71, v188, v4
	v_mbcnt_lo_u32_b32 v4, v71, 0
	v_mbcnt_hi_u32_b32 v186, v72, v4
	v_cmp_ne_u64_e32 vcc, 0, v[71:72]
	v_cmp_eq_u32_e64 s[42:43], 0, v186
	s_and_b64 s[8:9], vcc, s[42:43]
	v_add_u32_e32 v188, v173, v187
	; wave barrier
	s_and_saveexec_b64 s[42:43], s[8:9]
	s_cbranch_execz .LBB812_1024
; %bb.1023:                             ;   in Loop: Header=BB812_980 Depth=2
	v_bcnt_u32_b32 v4, v71, 0
	v_bcnt_u32_b32 v4, v72, v4
	s_waitcnt lgkmcnt(0)
	v_add_u32_e32 v4, v184, v4
	ds_write_b32 v188, v4 offset:528
.LBB812_1024:                           ;   in Loop: Header=BB812_980 Depth=2
	s_or_b64 exec, exec, s[42:43]
	v_xor_b32_e32 v48, 0x80000000, v48
	v_lshrrev_b64 v[71:72], s7, v[47:48]
	v_and_b32_e32 v71, s98, v71
	v_mad_u32_u24 v4, v71, 20, v173
	; wave barrier
	ds_read_b32 v187, v4 offset:528
	v_and_b32_e32 v4, 1, v71
	v_add_co_u32_e32 v72, vcc, -1, v4
	v_addc_co_u32_e64 v189, s[8:9], 0, -1, vcc
	v_cmp_ne_u32_e32 vcc, 0, v4
	v_xor_b32_e32 v4, vcc_hi, v189
	v_and_b32_e32 v189, exec_hi, v4
	v_lshlrev_b32_e32 v4, 30, v71
	v_xor_b32_e32 v72, vcc_lo, v72
	v_cmp_gt_i64_e32 vcc, 0, v[3:4]
	v_not_b32_e32 v4, v4
	v_ashrrev_i32_e32 v4, 31, v4
	v_and_b32_e32 v72, exec_lo, v72
	v_xor_b32_e32 v191, vcc_hi, v4
	v_xor_b32_e32 v4, vcc_lo, v4
	v_and_b32_e32 v72, v72, v4
	v_lshlrev_b32_e32 v4, 29, v71
	v_cmp_gt_i64_e32 vcc, 0, v[3:4]
	v_not_b32_e32 v4, v4
	v_ashrrev_i32_e32 v4, 31, v4
	v_and_b32_e32 v189, v189, v191
	v_xor_b32_e32 v191, vcc_hi, v4
	v_xor_b32_e32 v4, vcc_lo, v4
	v_and_b32_e32 v72, v72, v4
	v_lshlrev_b32_e32 v4, 28, v71
	v_cmp_gt_i64_e32 vcc, 0, v[3:4]
	v_not_b32_e32 v4, v4
	v_ashrrev_i32_e32 v4, 31, v4
	v_and_b32_e32 v189, v189, v191
	;; [unrolled: 8-line block ×4, first 2 shown]
	v_xor_b32_e32 v191, vcc_hi, v4
	v_xor_b32_e32 v4, vcc_lo, v4
	v_and_b32_e32 v189, v189, v191
	v_and_b32_e32 v191, v72, v4
	v_lshlrev_b32_e32 v4, 25, v71
	v_cmp_gt_i64_e32 vcc, 0, v[3:4]
	v_not_b32_e32 v4, v4
	v_ashrrev_i32_e32 v4, 31, v4
	v_mul_u32_u24_e32 v190, 20, v71
	v_xor_b32_e32 v71, vcc_hi, v4
	v_xor_b32_e32 v4, vcc_lo, v4
	v_and_b32_e32 v72, v189, v71
	v_and_b32_e32 v71, v191, v4
	v_mbcnt_lo_u32_b32 v4, v71, 0
	v_mbcnt_hi_u32_b32 v189, v72, v4
	v_cmp_ne_u64_e32 vcc, 0, v[71:72]
	v_cmp_eq_u32_e64 s[42:43], 0, v189
	s_and_b64 s[8:9], vcc, s[42:43]
	v_add_u32_e32 v191, v173, v190
	; wave barrier
	s_and_saveexec_b64 s[42:43], s[8:9]
	s_cbranch_execz .LBB812_1026
; %bb.1025:                             ;   in Loop: Header=BB812_980 Depth=2
	v_bcnt_u32_b32 v4, v71, 0
	v_bcnt_u32_b32 v4, v72, v4
	s_waitcnt lgkmcnt(0)
	v_add_u32_e32 v4, v187, v4
	ds_write_b32 v191, v4 offset:528
.LBB812_1026:                           ;   in Loop: Header=BB812_980 Depth=2
	s_or_b64 exec, exec, s[42:43]
	v_xor_b32_e32 v50, 0x80000000, v50
	v_lshrrev_b64 v[71:72], s7, v[49:50]
	v_and_b32_e32 v71, s98, v71
	v_mad_u32_u24 v4, v71, 20, v173
	; wave barrier
	ds_read_b32 v190, v4 offset:528
	v_and_b32_e32 v4, 1, v71
	v_add_co_u32_e32 v72, vcc, -1, v4
	v_addc_co_u32_e64 v192, s[8:9], 0, -1, vcc
	v_cmp_ne_u32_e32 vcc, 0, v4
	v_xor_b32_e32 v4, vcc_hi, v192
	v_and_b32_e32 v192, exec_hi, v4
	v_lshlrev_b32_e32 v4, 30, v71
	v_xor_b32_e32 v72, vcc_lo, v72
	v_cmp_gt_i64_e32 vcc, 0, v[3:4]
	v_not_b32_e32 v4, v4
	v_ashrrev_i32_e32 v4, 31, v4
	v_and_b32_e32 v72, exec_lo, v72
	v_xor_b32_e32 v194, vcc_hi, v4
	v_xor_b32_e32 v4, vcc_lo, v4
	v_and_b32_e32 v72, v72, v4
	v_lshlrev_b32_e32 v4, 29, v71
	v_cmp_gt_i64_e32 vcc, 0, v[3:4]
	v_not_b32_e32 v4, v4
	v_ashrrev_i32_e32 v4, 31, v4
	v_and_b32_e32 v192, v192, v194
	v_xor_b32_e32 v194, vcc_hi, v4
	v_xor_b32_e32 v4, vcc_lo, v4
	v_and_b32_e32 v72, v72, v4
	v_lshlrev_b32_e32 v4, 28, v71
	v_cmp_gt_i64_e32 vcc, 0, v[3:4]
	v_not_b32_e32 v4, v4
	v_ashrrev_i32_e32 v4, 31, v4
	v_and_b32_e32 v192, v192, v194
	;; [unrolled: 8-line block ×4, first 2 shown]
	v_xor_b32_e32 v194, vcc_hi, v4
	v_xor_b32_e32 v4, vcc_lo, v4
	v_and_b32_e32 v192, v192, v194
	v_and_b32_e32 v194, v72, v4
	v_lshlrev_b32_e32 v4, 25, v71
	v_cmp_gt_i64_e32 vcc, 0, v[3:4]
	v_not_b32_e32 v4, v4
	v_ashrrev_i32_e32 v4, 31, v4
	v_mul_u32_u24_e32 v193, 20, v71
	v_xor_b32_e32 v71, vcc_hi, v4
	v_xor_b32_e32 v4, vcc_lo, v4
	v_and_b32_e32 v72, v192, v71
	v_and_b32_e32 v71, v194, v4
	v_mbcnt_lo_u32_b32 v4, v71, 0
	v_mbcnt_hi_u32_b32 v192, v72, v4
	v_cmp_ne_u64_e32 vcc, 0, v[71:72]
	v_cmp_eq_u32_e64 s[42:43], 0, v192
	s_and_b64 s[8:9], vcc, s[42:43]
	v_add_u32_e32 v194, v173, v193
	; wave barrier
	s_and_saveexec_b64 s[42:43], s[8:9]
	s_cbranch_execz .LBB812_1028
; %bb.1027:                             ;   in Loop: Header=BB812_980 Depth=2
	v_bcnt_u32_b32 v4, v71, 0
	v_bcnt_u32_b32 v4, v72, v4
	s_waitcnt lgkmcnt(0)
	v_add_u32_e32 v4, v190, v4
	ds_write_b32 v194, v4 offset:528
.LBB812_1028:                           ;   in Loop: Header=BB812_980 Depth=2
	s_or_b64 exec, exec, s[42:43]
	v_xor_b32_e32 v52, 0x80000000, v52
	v_lshrrev_b64 v[71:72], s7, v[51:52]
	v_and_b32_e32 v71, s98, v71
	v_mad_u32_u24 v4, v71, 20, v173
	; wave barrier
	ds_read_b32 v193, v4 offset:528
	v_and_b32_e32 v4, 1, v71
	v_add_co_u32_e32 v72, vcc, -1, v4
	v_addc_co_u32_e64 v195, s[8:9], 0, -1, vcc
	v_cmp_ne_u32_e32 vcc, 0, v4
	v_xor_b32_e32 v4, vcc_hi, v195
	v_and_b32_e32 v195, exec_hi, v4
	v_lshlrev_b32_e32 v4, 30, v71
	v_xor_b32_e32 v72, vcc_lo, v72
	v_cmp_gt_i64_e32 vcc, 0, v[3:4]
	v_not_b32_e32 v4, v4
	v_ashrrev_i32_e32 v4, 31, v4
	v_and_b32_e32 v72, exec_lo, v72
	v_xor_b32_e32 v197, vcc_hi, v4
	v_xor_b32_e32 v4, vcc_lo, v4
	v_and_b32_e32 v72, v72, v4
	v_lshlrev_b32_e32 v4, 29, v71
	v_cmp_gt_i64_e32 vcc, 0, v[3:4]
	v_not_b32_e32 v4, v4
	v_ashrrev_i32_e32 v4, 31, v4
	v_and_b32_e32 v195, v195, v197
	v_xor_b32_e32 v197, vcc_hi, v4
	v_xor_b32_e32 v4, vcc_lo, v4
	v_and_b32_e32 v72, v72, v4
	v_lshlrev_b32_e32 v4, 28, v71
	v_cmp_gt_i64_e32 vcc, 0, v[3:4]
	v_not_b32_e32 v4, v4
	v_ashrrev_i32_e32 v4, 31, v4
	v_and_b32_e32 v195, v195, v197
	;; [unrolled: 8-line block ×4, first 2 shown]
	v_xor_b32_e32 v197, vcc_hi, v4
	v_xor_b32_e32 v4, vcc_lo, v4
	v_and_b32_e32 v195, v195, v197
	v_and_b32_e32 v197, v72, v4
	v_lshlrev_b32_e32 v4, 25, v71
	v_cmp_gt_i64_e32 vcc, 0, v[3:4]
	v_not_b32_e32 v4, v4
	v_ashrrev_i32_e32 v4, 31, v4
	v_mul_u32_u24_e32 v196, 20, v71
	v_xor_b32_e32 v71, vcc_hi, v4
	v_xor_b32_e32 v4, vcc_lo, v4
	v_and_b32_e32 v72, v195, v71
	v_and_b32_e32 v71, v197, v4
	v_mbcnt_lo_u32_b32 v4, v71, 0
	v_mbcnt_hi_u32_b32 v195, v72, v4
	v_cmp_ne_u64_e32 vcc, 0, v[71:72]
	v_cmp_eq_u32_e64 s[42:43], 0, v195
	s_and_b64 s[8:9], vcc, s[42:43]
	v_add_u32_e32 v197, v173, v196
	; wave barrier
	s_and_saveexec_b64 s[42:43], s[8:9]
	s_cbranch_execz .LBB812_1030
; %bb.1029:                             ;   in Loop: Header=BB812_980 Depth=2
	v_bcnt_u32_b32 v4, v71, 0
	v_bcnt_u32_b32 v4, v72, v4
	s_waitcnt lgkmcnt(0)
	v_add_u32_e32 v4, v193, v4
	ds_write_b32 v197, v4 offset:528
.LBB812_1030:                           ;   in Loop: Header=BB812_980 Depth=2
	s_or_b64 exec, exec, s[42:43]
	v_xor_b32_e32 v54, 0x80000000, v54
	v_lshrrev_b64 v[71:72], s7, v[53:54]
	v_and_b32_e32 v71, s98, v71
	v_mad_u32_u24 v4, v71, 20, v173
	; wave barrier
	ds_read_b32 v196, v4 offset:528
	v_and_b32_e32 v4, 1, v71
	v_add_co_u32_e32 v72, vcc, -1, v4
	v_addc_co_u32_e64 v198, s[8:9], 0, -1, vcc
	v_cmp_ne_u32_e32 vcc, 0, v4
	v_xor_b32_e32 v4, vcc_hi, v198
	v_and_b32_e32 v198, exec_hi, v4
	v_lshlrev_b32_e32 v4, 30, v71
	v_xor_b32_e32 v72, vcc_lo, v72
	v_cmp_gt_i64_e32 vcc, 0, v[3:4]
	v_not_b32_e32 v4, v4
	v_ashrrev_i32_e32 v4, 31, v4
	v_and_b32_e32 v72, exec_lo, v72
	v_xor_b32_e32 v200, vcc_hi, v4
	v_xor_b32_e32 v4, vcc_lo, v4
	v_and_b32_e32 v72, v72, v4
	v_lshlrev_b32_e32 v4, 29, v71
	v_cmp_gt_i64_e32 vcc, 0, v[3:4]
	v_not_b32_e32 v4, v4
	v_ashrrev_i32_e32 v4, 31, v4
	v_and_b32_e32 v198, v198, v200
	v_xor_b32_e32 v200, vcc_hi, v4
	v_xor_b32_e32 v4, vcc_lo, v4
	v_and_b32_e32 v72, v72, v4
	v_lshlrev_b32_e32 v4, 28, v71
	v_cmp_gt_i64_e32 vcc, 0, v[3:4]
	v_not_b32_e32 v4, v4
	v_ashrrev_i32_e32 v4, 31, v4
	v_and_b32_e32 v198, v198, v200
	;; [unrolled: 8-line block ×4, first 2 shown]
	v_xor_b32_e32 v200, vcc_hi, v4
	v_xor_b32_e32 v4, vcc_lo, v4
	v_and_b32_e32 v198, v198, v200
	v_and_b32_e32 v200, v72, v4
	v_lshlrev_b32_e32 v4, 25, v71
	v_cmp_gt_i64_e32 vcc, 0, v[3:4]
	v_not_b32_e32 v4, v4
	v_ashrrev_i32_e32 v4, 31, v4
	v_mul_u32_u24_e32 v199, 20, v71
	v_xor_b32_e32 v71, vcc_hi, v4
	v_xor_b32_e32 v4, vcc_lo, v4
	v_and_b32_e32 v72, v198, v71
	v_and_b32_e32 v71, v200, v4
	v_mbcnt_lo_u32_b32 v4, v71, 0
	v_mbcnt_hi_u32_b32 v198, v72, v4
	v_cmp_ne_u64_e32 vcc, 0, v[71:72]
	v_cmp_eq_u32_e64 s[42:43], 0, v198
	s_and_b64 s[8:9], vcc, s[42:43]
	v_add_u32_e32 v200, v173, v199
	; wave barrier
	s_and_saveexec_b64 s[42:43], s[8:9]
	s_cbranch_execz .LBB812_1032
; %bb.1031:                             ;   in Loop: Header=BB812_980 Depth=2
	v_bcnt_u32_b32 v4, v71, 0
	v_bcnt_u32_b32 v4, v72, v4
	s_waitcnt lgkmcnt(0)
	v_add_u32_e32 v4, v196, v4
	ds_write_b32 v200, v4 offset:528
.LBB812_1032:                           ;   in Loop: Header=BB812_980 Depth=2
	s_or_b64 exec, exec, s[42:43]
	v_xor_b32_e32 v56, 0x80000000, v56
	v_lshrrev_b64 v[71:72], s7, v[55:56]
	v_and_b32_e32 v71, s98, v71
	v_mad_u32_u24 v4, v71, 20, v173
	; wave barrier
	ds_read_b32 v199, v4 offset:528
	v_and_b32_e32 v4, 1, v71
	v_add_co_u32_e32 v72, vcc, -1, v4
	v_addc_co_u32_e64 v201, s[8:9], 0, -1, vcc
	v_cmp_ne_u32_e32 vcc, 0, v4
	v_xor_b32_e32 v4, vcc_hi, v201
	v_and_b32_e32 v201, exec_hi, v4
	v_lshlrev_b32_e32 v4, 30, v71
	v_xor_b32_e32 v72, vcc_lo, v72
	v_cmp_gt_i64_e32 vcc, 0, v[3:4]
	v_not_b32_e32 v4, v4
	v_ashrrev_i32_e32 v4, 31, v4
	v_and_b32_e32 v72, exec_lo, v72
	v_xor_b32_e32 v203, vcc_hi, v4
	v_xor_b32_e32 v4, vcc_lo, v4
	v_and_b32_e32 v72, v72, v4
	v_lshlrev_b32_e32 v4, 29, v71
	v_cmp_gt_i64_e32 vcc, 0, v[3:4]
	v_not_b32_e32 v4, v4
	v_ashrrev_i32_e32 v4, 31, v4
	v_and_b32_e32 v201, v201, v203
	v_xor_b32_e32 v203, vcc_hi, v4
	v_xor_b32_e32 v4, vcc_lo, v4
	v_and_b32_e32 v72, v72, v4
	v_lshlrev_b32_e32 v4, 28, v71
	v_cmp_gt_i64_e32 vcc, 0, v[3:4]
	v_not_b32_e32 v4, v4
	v_ashrrev_i32_e32 v4, 31, v4
	v_and_b32_e32 v201, v201, v203
	v_xor_b32_e32 v203, vcc_hi, v4
	v_xor_b32_e32 v4, vcc_lo, v4
	v_and_b32_e32 v72, v72, v4
	v_lshlrev_b32_e32 v4, 27, v71
	v_cmp_gt_i64_e32 vcc, 0, v[3:4]
	v_not_b32_e32 v4, v4
	v_ashrrev_i32_e32 v4, 31, v4
	v_and_b32_e32 v201, v201, v203
	v_xor_b32_e32 v203, vcc_hi, v4
	v_xor_b32_e32 v4, vcc_lo, v4
	v_and_b32_e32 v72, v72, v4
	v_lshlrev_b32_e32 v4, 26, v71
	v_cmp_gt_i64_e32 vcc, 0, v[3:4]
	v_not_b32_e32 v4, v4
	v_ashrrev_i32_e32 v4, 31, v4
	v_and_b32_e32 v201, v201, v203
	v_xor_b32_e32 v203, vcc_hi, v4
	v_xor_b32_e32 v4, vcc_lo, v4
	v_and_b32_e32 v201, v201, v203
	v_and_b32_e32 v203, v72, v4
	v_lshlrev_b32_e32 v4, 25, v71
	v_cmp_gt_i64_e32 vcc, 0, v[3:4]
	v_not_b32_e32 v4, v4
	v_ashrrev_i32_e32 v4, 31, v4
	v_mul_u32_u24_e32 v202, 20, v71
	v_xor_b32_e32 v71, vcc_hi, v4
	v_xor_b32_e32 v4, vcc_lo, v4
	v_and_b32_e32 v72, v201, v71
	v_and_b32_e32 v71, v203, v4
	v_mbcnt_lo_u32_b32 v4, v71, 0
	v_mbcnt_hi_u32_b32 v201, v72, v4
	v_cmp_ne_u64_e32 vcc, 0, v[71:72]
	v_cmp_eq_u32_e64 s[42:43], 0, v201
	s_and_b64 s[8:9], vcc, s[42:43]
	v_add_u32_e32 v203, v173, v202
	; wave barrier
	s_and_saveexec_b64 s[42:43], s[8:9]
	s_cbranch_execz .LBB812_1034
; %bb.1033:                             ;   in Loop: Header=BB812_980 Depth=2
	v_bcnt_u32_b32 v4, v71, 0
	v_bcnt_u32_b32 v4, v72, v4
	s_waitcnt lgkmcnt(0)
	v_add_u32_e32 v4, v199, v4
	ds_write_b32 v203, v4 offset:528
.LBB812_1034:                           ;   in Loop: Header=BB812_980 Depth=2
	s_or_b64 exec, exec, s[42:43]
	v_xor_b32_e32 v58, 0x80000000, v58
	v_lshrrev_b64 v[71:72], s7, v[57:58]
	v_and_b32_e32 v71, s98, v71
	v_mad_u32_u24 v4, v71, 20, v173
	; wave barrier
	ds_read_b32 v202, v4 offset:528
	v_and_b32_e32 v4, 1, v71
	v_add_co_u32_e32 v72, vcc, -1, v4
	v_addc_co_u32_e64 v204, s[8:9], 0, -1, vcc
	v_cmp_ne_u32_e32 vcc, 0, v4
	v_xor_b32_e32 v4, vcc_hi, v204
	v_and_b32_e32 v204, exec_hi, v4
	v_lshlrev_b32_e32 v4, 30, v71
	v_xor_b32_e32 v72, vcc_lo, v72
	v_cmp_gt_i64_e32 vcc, 0, v[3:4]
	v_not_b32_e32 v4, v4
	v_ashrrev_i32_e32 v4, 31, v4
	v_and_b32_e32 v72, exec_lo, v72
	v_xor_b32_e32 v206, vcc_hi, v4
	v_xor_b32_e32 v4, vcc_lo, v4
	v_and_b32_e32 v72, v72, v4
	v_lshlrev_b32_e32 v4, 29, v71
	v_cmp_gt_i64_e32 vcc, 0, v[3:4]
	v_not_b32_e32 v4, v4
	v_ashrrev_i32_e32 v4, 31, v4
	v_and_b32_e32 v204, v204, v206
	v_xor_b32_e32 v206, vcc_hi, v4
	v_xor_b32_e32 v4, vcc_lo, v4
	v_and_b32_e32 v72, v72, v4
	v_lshlrev_b32_e32 v4, 28, v71
	v_cmp_gt_i64_e32 vcc, 0, v[3:4]
	v_not_b32_e32 v4, v4
	v_ashrrev_i32_e32 v4, 31, v4
	v_and_b32_e32 v204, v204, v206
	;; [unrolled: 8-line block ×4, first 2 shown]
	v_xor_b32_e32 v206, vcc_hi, v4
	v_xor_b32_e32 v4, vcc_lo, v4
	v_and_b32_e32 v204, v204, v206
	v_and_b32_e32 v206, v72, v4
	v_lshlrev_b32_e32 v4, 25, v71
	v_cmp_gt_i64_e32 vcc, 0, v[3:4]
	v_not_b32_e32 v4, v4
	v_ashrrev_i32_e32 v4, 31, v4
	v_mul_u32_u24_e32 v205, 20, v71
	v_xor_b32_e32 v71, vcc_hi, v4
	v_xor_b32_e32 v4, vcc_lo, v4
	v_and_b32_e32 v72, v204, v71
	v_and_b32_e32 v71, v206, v4
	v_mbcnt_lo_u32_b32 v4, v71, 0
	v_mbcnt_hi_u32_b32 v204, v72, v4
	v_cmp_ne_u64_e32 vcc, 0, v[71:72]
	v_cmp_eq_u32_e64 s[42:43], 0, v204
	s_and_b64 s[8:9], vcc, s[42:43]
	v_add_u32_e32 v207, v173, v205
	; wave barrier
	s_and_saveexec_b64 s[42:43], s[8:9]
	s_cbranch_execz .LBB812_1036
; %bb.1035:                             ;   in Loop: Header=BB812_980 Depth=2
	v_bcnt_u32_b32 v4, v71, 0
	v_bcnt_u32_b32 v4, v72, v4
	s_waitcnt lgkmcnt(0)
	v_add_u32_e32 v4, v202, v4
	ds_write_b32 v207, v4 offset:528
.LBB812_1036:                           ;   in Loop: Header=BB812_980 Depth=2
	s_or_b64 exec, exec, s[42:43]
	v_xor_b32_e32 v60, 0x80000000, v60
	v_lshrrev_b64 v[71:72], s7, v[59:60]
	v_and_b32_e32 v71, s98, v71
	v_mad_u32_u24 v4, v71, 20, v173
	; wave barrier
	ds_read_b32 v205, v4 offset:528
	v_and_b32_e32 v4, 1, v71
	v_add_co_u32_e32 v72, vcc, -1, v4
	v_addc_co_u32_e64 v206, s[8:9], 0, -1, vcc
	v_cmp_ne_u32_e32 vcc, 0, v4
	v_xor_b32_e32 v4, vcc_hi, v206
	v_and_b32_e32 v206, exec_hi, v4
	v_lshlrev_b32_e32 v4, 30, v71
	v_xor_b32_e32 v72, vcc_lo, v72
	v_cmp_gt_i64_e32 vcc, 0, v[3:4]
	v_not_b32_e32 v4, v4
	v_ashrrev_i32_e32 v4, 31, v4
	v_and_b32_e32 v72, exec_lo, v72
	v_xor_b32_e32 v209, vcc_hi, v4
	v_xor_b32_e32 v4, vcc_lo, v4
	v_and_b32_e32 v72, v72, v4
	v_lshlrev_b32_e32 v4, 29, v71
	v_cmp_gt_i64_e32 vcc, 0, v[3:4]
	v_not_b32_e32 v4, v4
	v_ashrrev_i32_e32 v4, 31, v4
	v_and_b32_e32 v206, v206, v209
	v_xor_b32_e32 v209, vcc_hi, v4
	v_xor_b32_e32 v4, vcc_lo, v4
	v_and_b32_e32 v72, v72, v4
	v_lshlrev_b32_e32 v4, 28, v71
	v_cmp_gt_i64_e32 vcc, 0, v[3:4]
	v_not_b32_e32 v4, v4
	v_ashrrev_i32_e32 v4, 31, v4
	v_and_b32_e32 v206, v206, v209
	;; [unrolled: 8-line block ×4, first 2 shown]
	v_xor_b32_e32 v209, vcc_hi, v4
	v_xor_b32_e32 v4, vcc_lo, v4
	v_and_b32_e32 v206, v206, v209
	v_and_b32_e32 v209, v72, v4
	v_lshlrev_b32_e32 v4, 25, v71
	v_cmp_gt_i64_e32 vcc, 0, v[3:4]
	v_not_b32_e32 v4, v4
	v_ashrrev_i32_e32 v4, 31, v4
	v_mul_u32_u24_e32 v208, 20, v71
	v_xor_b32_e32 v71, vcc_hi, v4
	v_xor_b32_e32 v4, vcc_lo, v4
	v_and_b32_e32 v72, v206, v71
	v_and_b32_e32 v71, v209, v4
	v_mbcnt_lo_u32_b32 v4, v71, 0
	v_mbcnt_hi_u32_b32 v206, v72, v4
	v_cmp_ne_u64_e32 vcc, 0, v[71:72]
	v_cmp_eq_u32_e64 s[42:43], 0, v206
	s_and_b64 s[8:9], vcc, s[42:43]
	v_add_u32_e32 v210, v173, v208
	; wave barrier
	s_and_saveexec_b64 s[42:43], s[8:9]
	s_cbranch_execz .LBB812_1038
; %bb.1037:                             ;   in Loop: Header=BB812_980 Depth=2
	v_bcnt_u32_b32 v4, v71, 0
	v_bcnt_u32_b32 v4, v72, v4
	s_waitcnt lgkmcnt(0)
	v_add_u32_e32 v4, v205, v4
	ds_write_b32 v210, v4 offset:528
.LBB812_1038:                           ;   in Loop: Header=BB812_980 Depth=2
	s_or_b64 exec, exec, s[42:43]
	v_xor_b32_e32 v62, 0x80000000, v62
	v_lshrrev_b64 v[71:72], s7, v[61:62]
	v_and_b32_e32 v71, s98, v71
	v_mad_u32_u24 v4, v71, 20, v173
	; wave barrier
	ds_read_b32 v208, v4 offset:528
	v_and_b32_e32 v4, 1, v71
	v_add_co_u32_e32 v72, vcc, -1, v4
	v_addc_co_u32_e64 v209, s[8:9], 0, -1, vcc
	v_cmp_ne_u32_e32 vcc, 0, v4
	v_xor_b32_e32 v4, vcc_hi, v209
	v_and_b32_e32 v209, exec_hi, v4
	v_lshlrev_b32_e32 v4, 30, v71
	v_xor_b32_e32 v72, vcc_lo, v72
	v_cmp_gt_i64_e32 vcc, 0, v[3:4]
	v_not_b32_e32 v4, v4
	v_ashrrev_i32_e32 v4, 31, v4
	v_and_b32_e32 v72, exec_lo, v72
	v_xor_b32_e32 v212, vcc_hi, v4
	v_xor_b32_e32 v4, vcc_lo, v4
	v_and_b32_e32 v72, v72, v4
	v_lshlrev_b32_e32 v4, 29, v71
	v_cmp_gt_i64_e32 vcc, 0, v[3:4]
	v_not_b32_e32 v4, v4
	v_ashrrev_i32_e32 v4, 31, v4
	v_and_b32_e32 v209, v209, v212
	v_xor_b32_e32 v212, vcc_hi, v4
	v_xor_b32_e32 v4, vcc_lo, v4
	v_and_b32_e32 v72, v72, v4
	v_lshlrev_b32_e32 v4, 28, v71
	v_cmp_gt_i64_e32 vcc, 0, v[3:4]
	v_not_b32_e32 v4, v4
	v_ashrrev_i32_e32 v4, 31, v4
	v_and_b32_e32 v209, v209, v212
	;; [unrolled: 8-line block ×4, first 2 shown]
	v_xor_b32_e32 v212, vcc_hi, v4
	v_xor_b32_e32 v4, vcc_lo, v4
	v_and_b32_e32 v209, v209, v212
	v_and_b32_e32 v212, v72, v4
	v_lshlrev_b32_e32 v4, 25, v71
	v_cmp_gt_i64_e32 vcc, 0, v[3:4]
	v_not_b32_e32 v4, v4
	v_ashrrev_i32_e32 v4, 31, v4
	v_mul_u32_u24_e32 v211, 20, v71
	v_xor_b32_e32 v71, vcc_hi, v4
	v_xor_b32_e32 v4, vcc_lo, v4
	v_and_b32_e32 v72, v209, v71
	v_and_b32_e32 v71, v212, v4
	v_mbcnt_lo_u32_b32 v4, v71, 0
	v_mbcnt_hi_u32_b32 v209, v72, v4
	v_cmp_ne_u64_e32 vcc, 0, v[71:72]
	v_cmp_eq_u32_e64 s[42:43], 0, v209
	s_and_b64 s[8:9], vcc, s[42:43]
	v_add_u32_e32 v213, v173, v211
	; wave barrier
	s_and_saveexec_b64 s[42:43], s[8:9]
	s_cbranch_execz .LBB812_1040
; %bb.1039:                             ;   in Loop: Header=BB812_980 Depth=2
	v_bcnt_u32_b32 v4, v71, 0
	v_bcnt_u32_b32 v4, v72, v4
	s_waitcnt lgkmcnt(0)
	v_add_u32_e32 v4, v208, v4
	ds_write_b32 v213, v4 offset:528
.LBB812_1040:                           ;   in Loop: Header=BB812_980 Depth=2
	s_or_b64 exec, exec, s[42:43]
	v_xor_b32_e32 v64, 0x80000000, v64
	v_lshrrev_b64 v[71:72], s7, v[63:64]
	v_and_b32_e32 v71, s98, v71
	v_mad_u32_u24 v4, v71, 20, v173
	; wave barrier
	ds_read_b32 v211, v4 offset:528
	v_and_b32_e32 v4, 1, v71
	v_add_co_u32_e32 v72, vcc, -1, v4
	v_addc_co_u32_e64 v212, s[8:9], 0, -1, vcc
	v_cmp_ne_u32_e32 vcc, 0, v4
	v_xor_b32_e32 v4, vcc_hi, v212
	v_and_b32_e32 v212, exec_hi, v4
	v_lshlrev_b32_e32 v4, 30, v71
	v_xor_b32_e32 v72, vcc_lo, v72
	v_cmp_gt_i64_e32 vcc, 0, v[3:4]
	v_not_b32_e32 v4, v4
	v_ashrrev_i32_e32 v4, 31, v4
	v_and_b32_e32 v72, exec_lo, v72
	v_xor_b32_e32 v215, vcc_hi, v4
	v_xor_b32_e32 v4, vcc_lo, v4
	v_and_b32_e32 v72, v72, v4
	v_lshlrev_b32_e32 v4, 29, v71
	v_cmp_gt_i64_e32 vcc, 0, v[3:4]
	v_not_b32_e32 v4, v4
	v_ashrrev_i32_e32 v4, 31, v4
	v_and_b32_e32 v212, v212, v215
	v_xor_b32_e32 v215, vcc_hi, v4
	v_xor_b32_e32 v4, vcc_lo, v4
	v_and_b32_e32 v72, v72, v4
	v_lshlrev_b32_e32 v4, 28, v71
	v_cmp_gt_i64_e32 vcc, 0, v[3:4]
	v_not_b32_e32 v4, v4
	v_ashrrev_i32_e32 v4, 31, v4
	v_and_b32_e32 v212, v212, v215
	;; [unrolled: 8-line block ×4, first 2 shown]
	v_xor_b32_e32 v215, vcc_hi, v4
	v_xor_b32_e32 v4, vcc_lo, v4
	v_and_b32_e32 v212, v212, v215
	v_and_b32_e32 v215, v72, v4
	v_lshlrev_b32_e32 v4, 25, v71
	v_cmp_gt_i64_e32 vcc, 0, v[3:4]
	v_not_b32_e32 v4, v4
	v_ashrrev_i32_e32 v4, 31, v4
	v_mul_u32_u24_e32 v214, 20, v71
	v_xor_b32_e32 v71, vcc_hi, v4
	v_xor_b32_e32 v4, vcc_lo, v4
	v_and_b32_e32 v72, v212, v71
	v_and_b32_e32 v71, v215, v4
	v_mbcnt_lo_u32_b32 v4, v71, 0
	v_mbcnt_hi_u32_b32 v212, v72, v4
	v_cmp_ne_u64_e32 vcc, 0, v[71:72]
	v_cmp_eq_u32_e64 s[42:43], 0, v212
	s_and_b64 s[8:9], vcc, s[42:43]
	v_add_u32_e32 v216, v173, v214
	; wave barrier
	s_and_saveexec_b64 s[42:43], s[8:9]
	s_cbranch_execz .LBB812_1042
; %bb.1041:                             ;   in Loop: Header=BB812_980 Depth=2
	v_bcnt_u32_b32 v4, v71, 0
	v_bcnt_u32_b32 v4, v72, v4
	s_waitcnt lgkmcnt(0)
	v_add_u32_e32 v4, v211, v4
	ds_write_b32 v216, v4 offset:528
.LBB812_1042:                           ;   in Loop: Header=BB812_980 Depth=2
	s_or_b64 exec, exec, s[42:43]
	v_xor_b32_e32 v66, 0x80000000, v66
	v_lshrrev_b64 v[71:72], s7, v[65:66]
	v_and_b32_e32 v71, s98, v71
	v_mad_u32_u24 v4, v71, 20, v173
	; wave barrier
	ds_read_b32 v214, v4 offset:528
	v_and_b32_e32 v4, 1, v71
	v_add_co_u32_e32 v72, vcc, -1, v4
	v_addc_co_u32_e64 v215, s[8:9], 0, -1, vcc
	v_cmp_ne_u32_e32 vcc, 0, v4
	v_xor_b32_e32 v4, vcc_hi, v215
	v_and_b32_e32 v215, exec_hi, v4
	v_lshlrev_b32_e32 v4, 30, v71
	v_xor_b32_e32 v72, vcc_lo, v72
	v_cmp_gt_i64_e32 vcc, 0, v[3:4]
	v_not_b32_e32 v4, v4
	v_ashrrev_i32_e32 v4, 31, v4
	v_and_b32_e32 v72, exec_lo, v72
	v_xor_b32_e32 v218, vcc_hi, v4
	v_xor_b32_e32 v4, vcc_lo, v4
	v_and_b32_e32 v72, v72, v4
	v_lshlrev_b32_e32 v4, 29, v71
	v_cmp_gt_i64_e32 vcc, 0, v[3:4]
	v_not_b32_e32 v4, v4
	v_ashrrev_i32_e32 v4, 31, v4
	v_and_b32_e32 v215, v215, v218
	v_xor_b32_e32 v218, vcc_hi, v4
	v_xor_b32_e32 v4, vcc_lo, v4
	v_and_b32_e32 v72, v72, v4
	v_lshlrev_b32_e32 v4, 28, v71
	v_cmp_gt_i64_e32 vcc, 0, v[3:4]
	v_not_b32_e32 v4, v4
	v_ashrrev_i32_e32 v4, 31, v4
	v_and_b32_e32 v215, v215, v218
	;; [unrolled: 8-line block ×4, first 2 shown]
	v_xor_b32_e32 v218, vcc_hi, v4
	v_xor_b32_e32 v4, vcc_lo, v4
	v_and_b32_e32 v215, v215, v218
	v_and_b32_e32 v218, v72, v4
	v_lshlrev_b32_e32 v4, 25, v71
	v_cmp_gt_i64_e32 vcc, 0, v[3:4]
	v_not_b32_e32 v4, v4
	v_ashrrev_i32_e32 v4, 31, v4
	v_mul_u32_u24_e32 v217, 20, v71
	v_xor_b32_e32 v71, vcc_hi, v4
	v_xor_b32_e32 v4, vcc_lo, v4
	v_and_b32_e32 v72, v215, v71
	v_and_b32_e32 v71, v218, v4
	v_mbcnt_lo_u32_b32 v4, v71, 0
	v_mbcnt_hi_u32_b32 v215, v72, v4
	v_cmp_ne_u64_e32 vcc, 0, v[71:72]
	v_cmp_eq_u32_e64 s[42:43], 0, v215
	s_and_b64 s[8:9], vcc, s[42:43]
	v_add_u32_e32 v219, v173, v217
	; wave barrier
	s_and_saveexec_b64 s[42:43], s[8:9]
	s_cbranch_execz .LBB812_1044
; %bb.1043:                             ;   in Loop: Header=BB812_980 Depth=2
	v_bcnt_u32_b32 v4, v71, 0
	v_bcnt_u32_b32 v4, v72, v4
	s_waitcnt lgkmcnt(0)
	v_add_u32_e32 v4, v214, v4
	ds_write_b32 v219, v4 offset:528
.LBB812_1044:                           ;   in Loop: Header=BB812_980 Depth=2
	s_or_b64 exec, exec, s[42:43]
	v_xor_b32_e32 v68, 0x80000000, v68
	v_lshrrev_b64 v[71:72], s7, v[67:68]
	v_and_b32_e32 v71, s98, v71
	v_mad_u32_u24 v4, v71, 20, v173
	; wave barrier
	ds_read_b32 v217, v4 offset:528
	v_and_b32_e32 v4, 1, v71
	v_add_co_u32_e32 v72, vcc, -1, v4
	v_addc_co_u32_e64 v218, s[8:9], 0, -1, vcc
	v_cmp_ne_u32_e32 vcc, 0, v4
	v_xor_b32_e32 v4, vcc_hi, v218
	v_and_b32_e32 v218, exec_hi, v4
	v_lshlrev_b32_e32 v4, 30, v71
	v_xor_b32_e32 v72, vcc_lo, v72
	v_cmp_gt_i64_e32 vcc, 0, v[3:4]
	v_not_b32_e32 v4, v4
	v_ashrrev_i32_e32 v4, 31, v4
	v_and_b32_e32 v72, exec_lo, v72
	v_xor_b32_e32 v221, vcc_hi, v4
	v_xor_b32_e32 v4, vcc_lo, v4
	v_and_b32_e32 v72, v72, v4
	v_lshlrev_b32_e32 v4, 29, v71
	v_cmp_gt_i64_e32 vcc, 0, v[3:4]
	v_not_b32_e32 v4, v4
	v_ashrrev_i32_e32 v4, 31, v4
	v_and_b32_e32 v218, v218, v221
	v_xor_b32_e32 v221, vcc_hi, v4
	v_xor_b32_e32 v4, vcc_lo, v4
	v_and_b32_e32 v72, v72, v4
	v_lshlrev_b32_e32 v4, 28, v71
	v_cmp_gt_i64_e32 vcc, 0, v[3:4]
	v_not_b32_e32 v4, v4
	v_ashrrev_i32_e32 v4, 31, v4
	v_and_b32_e32 v218, v218, v221
	;; [unrolled: 8-line block ×4, first 2 shown]
	v_xor_b32_e32 v221, vcc_hi, v4
	v_xor_b32_e32 v4, vcc_lo, v4
	v_and_b32_e32 v218, v218, v221
	v_and_b32_e32 v221, v72, v4
	v_lshlrev_b32_e32 v4, 25, v71
	v_cmp_gt_i64_e32 vcc, 0, v[3:4]
	v_not_b32_e32 v4, v4
	v_ashrrev_i32_e32 v4, 31, v4
	v_mul_u32_u24_e32 v220, 20, v71
	v_xor_b32_e32 v71, vcc_hi, v4
	v_xor_b32_e32 v4, vcc_lo, v4
	v_and_b32_e32 v72, v218, v71
	v_and_b32_e32 v71, v221, v4
	v_mbcnt_lo_u32_b32 v4, v71, 0
	v_mbcnt_hi_u32_b32 v218, v72, v4
	v_cmp_ne_u64_e32 vcc, 0, v[71:72]
	v_cmp_eq_u32_e64 s[42:43], 0, v218
	s_and_b64 s[8:9], vcc, s[42:43]
	v_add_u32_e32 v222, v173, v220
	; wave barrier
	s_and_saveexec_b64 s[42:43], s[8:9]
	s_cbranch_execz .LBB812_1046
; %bb.1045:                             ;   in Loop: Header=BB812_980 Depth=2
	v_bcnt_u32_b32 v4, v71, 0
	v_bcnt_u32_b32 v4, v72, v4
	s_waitcnt lgkmcnt(0)
	v_add_u32_e32 v4, v217, v4
	ds_write_b32 v222, v4 offset:528
.LBB812_1046:                           ;   in Loop: Header=BB812_980 Depth=2
	s_or_b64 exec, exec, s[42:43]
	v_lshrrev_b64 v[71:72], s7, v[69:70]
	v_and_b32_e32 v71, s98, v71
	v_mad_u32_u24 v4, v71, 20, v173
	; wave barrier
	ds_read_b32 v220, v4 offset:528
	v_and_b32_e32 v4, 1, v71
	v_add_co_u32_e32 v72, vcc, -1, v4
	v_addc_co_u32_e64 v221, s[8:9], 0, -1, vcc
	v_cmp_ne_u32_e32 vcc, 0, v4
	v_xor_b32_e32 v4, vcc_hi, v221
	v_and_b32_e32 v221, exec_hi, v4
	v_lshlrev_b32_e32 v4, 30, v71
	v_xor_b32_e32 v72, vcc_lo, v72
	v_cmp_gt_i64_e32 vcc, 0, v[3:4]
	v_not_b32_e32 v4, v4
	v_ashrrev_i32_e32 v4, 31, v4
	v_and_b32_e32 v72, exec_lo, v72
	v_xor_b32_e32 v224, vcc_hi, v4
	v_xor_b32_e32 v4, vcc_lo, v4
	v_and_b32_e32 v72, v72, v4
	v_lshlrev_b32_e32 v4, 29, v71
	v_cmp_gt_i64_e32 vcc, 0, v[3:4]
	v_not_b32_e32 v4, v4
	v_ashrrev_i32_e32 v4, 31, v4
	v_and_b32_e32 v221, v221, v224
	v_xor_b32_e32 v224, vcc_hi, v4
	v_xor_b32_e32 v4, vcc_lo, v4
	v_and_b32_e32 v72, v72, v4
	v_lshlrev_b32_e32 v4, 28, v71
	v_cmp_gt_i64_e32 vcc, 0, v[3:4]
	v_not_b32_e32 v4, v4
	v_ashrrev_i32_e32 v4, 31, v4
	v_and_b32_e32 v221, v221, v224
	;; [unrolled: 8-line block ×4, first 2 shown]
	v_xor_b32_e32 v224, vcc_hi, v4
	v_xor_b32_e32 v4, vcc_lo, v4
	v_and_b32_e32 v221, v221, v224
	v_and_b32_e32 v224, v72, v4
	v_lshlrev_b32_e32 v4, 25, v71
	v_cmp_gt_i64_e32 vcc, 0, v[3:4]
	v_not_b32_e32 v4, v4
	v_ashrrev_i32_e32 v4, 31, v4
	v_mul_u32_u24_e32 v223, 20, v71
	v_xor_b32_e32 v71, vcc_hi, v4
	v_xor_b32_e32 v4, vcc_lo, v4
	v_and_b32_e32 v72, v221, v71
	v_and_b32_e32 v71, v224, v4
	v_mbcnt_lo_u32_b32 v4, v71, 0
	v_mbcnt_hi_u32_b32 v221, v72, v4
	v_cmp_ne_u64_e32 vcc, 0, v[71:72]
	v_cmp_eq_u32_e64 s[42:43], 0, v221
	s_and_b64 s[8:9], vcc, s[42:43]
	v_add_u32_e32 v4, v173, v223
	; wave barrier
	s_and_saveexec_b64 s[42:43], s[8:9]
	s_cbranch_execz .LBB812_1048
; %bb.1047:                             ;   in Loop: Header=BB812_980 Depth=2
	v_bcnt_u32_b32 v71, v71, 0
	v_bcnt_u32_b32 v71, v72, v71
	s_waitcnt lgkmcnt(0)
	v_add_u32_e32 v71, v220, v71
	ds_write_b32 v4, v71 offset:528
.LBB812_1048:                           ;   in Loop: Header=BB812_980 Depth=2
	s_or_b64 exec, exec, s[42:43]
	; wave barrier
	s_waitcnt lgkmcnt(0)
	s_barrier
	ds_read2_b32 v[71:72], v92 offset0:132 offset1:133
	ds_read_b32 v223, v92 offset:536
	s_waitcnt lgkmcnt(0)
	v_add3_u32 v223, v72, v71, v223
	s_nop 1
	v_mov_b32_dpp v224, v223 row_shr:1 row_mask:0xf bank_mask:0xf
	v_cndmask_b32_e64 v224, v224, 0, s[22:23]
	v_add_u32_e32 v223, v224, v223
	s_nop 1
	v_mov_b32_dpp v224, v223 row_shr:2 row_mask:0xf bank_mask:0xf
	v_cndmask_b32_e64 v224, 0, v224, s[24:25]
	v_add_u32_e32 v223, v223, v224
	;; [unrolled: 4-line block ×4, first 2 shown]
	s_nop 1
	v_mov_b32_dpp v224, v223 row_bcast:15 row_mask:0xf bank_mask:0xf
	v_cndmask_b32_e64 v224, v224, 0, s[30:31]
	v_add_u32_e32 v223, v223, v224
	s_nop 1
	v_mov_b32_dpp v224, v223 row_bcast:31 row_mask:0xf bank_mask:0xf
	v_cndmask_b32_e64 v224, 0, v224, s[34:35]
	v_add_u32_e32 v223, v223, v224
	s_and_saveexec_b64 s[42:43], s[14:15]
; %bb.1049:                             ;   in Loop: Header=BB812_980 Depth=2
	ds_write_b32 v94, v223 offset:512
; %bb.1050:                             ;   in Loop: Header=BB812_980 Depth=2
	s_or_b64 exec, exec, s[42:43]
	s_waitcnt lgkmcnt(0)
	s_barrier
	s_and_saveexec_b64 s[42:43], s[16:17]
	s_cbranch_execz .LBB812_1052
; %bb.1051:                             ;   in Loop: Header=BB812_980 Depth=2
	ds_read_b32 v224, v99 offset:512
	s_waitcnt lgkmcnt(0)
	s_nop 0
	v_mov_b32_dpp v225, v224 row_shr:1 row_mask:0xf bank_mask:0xf
	v_cndmask_b32_e64 v225, v225, 0, s[38:39]
	v_add_u32_e32 v224, v225, v224
	s_nop 1
	v_mov_b32_dpp v225, v224 row_shr:2 row_mask:0xf bank_mask:0xf
	v_cndmask_b32_e64 v225, 0, v225, s[40:41]
	v_add_u32_e32 v224, v224, v225
	ds_write_b32 v99, v224 offset:512
.LBB812_1052:                           ;   in Loop: Header=BB812_980 Depth=2
	s_or_b64 exec, exec, s[42:43]
	v_mov_b32_e32 v224, 0
	s_waitcnt lgkmcnt(0)
	s_barrier
	s_and_saveexec_b64 s[42:43], s[12:13]
; %bb.1053:                             ;   in Loop: Header=BB812_980 Depth=2
	ds_read_b32 v224, v94 offset:508
; %bb.1054:                             ;   in Loop: Header=BB812_980 Depth=2
	s_or_b64 exec, exec, s[42:43]
	s_waitcnt lgkmcnt(0)
	v_add_u32_e32 v223, v224, v223
	ds_bpermute_b32 v223, v136, v223
	s_waitcnt lgkmcnt(0)
	v_cndmask_b32_e64 v223, v223, v224, s[36:37]
	v_cndmask_b32_e64 v223, v223, 0, s[18:19]
	v_add_u32_e32 v71, v223, v71
	v_add_u32_e32 v72, v71, v72
	ds_write2_b32 v92, v223, v71 offset0:132 offset1:133
	ds_write_b32 v92, v72 offset:536
	s_waitcnt lgkmcnt(0)
	s_barrier
	ds_read_b32 v229, v179 offset:528
	ds_read_b32 v228, v182 offset:528
	;; [unrolled: 1-line block ×16, first 2 shown]
	s_and_saveexec_b64 s[42:43], s[4:5]
	s_cbranch_execz .LBB812_1058
; %bb.1055:                             ;   in Loop: Header=BB812_980 Depth=2
	ds_read_b32 v174, v101 offset:528
	v_mov_b32_e32 v4, 0x1000
	s_and_saveexec_b64 s[44:45], s[20:21]
; %bb.1056:                             ;   in Loop: Header=BB812_980 Depth=2
	ds_read_b32 v4, v100 offset:528
; %bb.1057:                             ;   in Loop: Header=BB812_980 Depth=2
	s_or_b64 exec, exec, s[44:45]
	s_waitcnt lgkmcnt(0)
	v_sub_u32_e32 v175, v4, v174
.LBB812_1058:                           ;   in Loop: Header=BB812_980 Depth=2
	s_or_b64 exec, exec, s[42:43]
	s_waitcnt lgkmcnt(0)
	s_barrier
	s_and_saveexec_b64 s[42:43], s[4:5]
	s_cbranch_execz .LBB812_1060
; %bb.1059:                             ;   in Loop: Header=BB812_980 Depth=2
	ds_read_b32 v4, v73
	s_waitcnt lgkmcnt(0)
	v_sub_u32_e32 v4, v4, v174
	ds_write_b32 v73, v4
.LBB812_1060:                           ;   in Loop: Header=BB812_980 Depth=2
	s_or_b64 exec, exec, s[42:43]
	v_lshlrev_b32_e32 v4, 3, v177
	v_lshl_add_u32 v4, v229, 3, v4
	ds_write_b64 v4, v[41:42] offset:512
	v_lshlrev_b32_e32 v41, 3, v180
	v_lshlrev_b32_e32 v42, 3, v178
	v_lshlrev_b32_e32 v177, 3, v228
	v_add3_u32 v41, v41, v42, v177
	ds_write_b64 v41, v[39:40] offset:512
	v_lshlrev_b32_e32 v39, 3, v183
	v_lshlrev_b32_e32 v40, 3, v181
	v_lshlrev_b32_e32 v42, 3, v227
	v_add3_u32 v42, v39, v40, v42
	;; [unrolled: 5-line block ×3, first 2 shown]
	v_lshlrev_b32_e32 v39, 3, v189
	v_lshlrev_b32_e32 v40, 3, v187
	v_lshlrev_b32_e32 v44, 3, v225
	ds_write_b64 v43, v[45:46] offset:512
	v_add3_u32 v44, v39, v40, v44
	v_lshlrev_b32_e32 v39, 3, v192
	v_lshlrev_b32_e32 v40, 3, v190
	v_lshlrev_b32_e32 v45, 3, v224
	v_add3_u32 v45, v39, v40, v45
	v_lshlrev_b32_e32 v39, 3, v195
	v_lshlrev_b32_e32 v40, 3, v193
	v_lshlrev_b32_e32 v46, 3, v223
	ds_write_b64 v44, v[47:48] offset:512
	v_add3_u32 v46, v39, v40, v46
	v_lshlrev_b32_e32 v39, 3, v198
	v_lshlrev_b32_e32 v40, 3, v196
	v_lshlrev_b32_e32 v47, 3, v197
	v_add3_u32 v47, v39, v40, v47
	;; [unrolled: 9-line block ×6, first 2 shown]
	v_cmp_lt_u32_e64 s[42:43], v0, v176
	ds_write_b64 v49, v[57:58] offset:512
	ds_write_b64 v50, v[59:60] offset:512
	;; [unrolled: 1-line block ×7, first 2 shown]
	s_waitcnt lgkmcnt(0)
	s_barrier
	s_and_saveexec_b64 s[44:45], s[42:43]
	s_cbranch_execnz .LBB812_1129
; %bb.1061:                             ;   in Loop: Header=BB812_980 Depth=2
	s_or_b64 exec, exec, s[44:45]
	v_cmp_lt_u32_e64 s[44:45], v74, v176
	s_and_saveexec_b64 s[46:47], s[44:45]
	s_cbranch_execnz .LBB812_1130
.LBB812_1062:                           ;   in Loop: Header=BB812_980 Depth=2
	s_or_b64 exec, exec, s[46:47]
	v_cmp_lt_u32_e64 s[46:47], v77, v176
	s_and_saveexec_b64 s[48:49], s[46:47]
	s_cbranch_execnz .LBB812_1131
.LBB812_1063:                           ;   in Loop: Header=BB812_980 Depth=2
	s_or_b64 exec, exec, s[48:49]
	v_cmp_lt_u32_e64 s[48:49], v78, v176
	s_and_saveexec_b64 s[50:51], s[48:49]
	s_cbranch_execnz .LBB812_1132
.LBB812_1064:                           ;   in Loop: Header=BB812_980 Depth=2
	s_or_b64 exec, exec, s[50:51]
	v_cmp_lt_u32_e64 s[50:51], v79, v176
	s_and_saveexec_b64 s[52:53], s[50:51]
	s_cbranch_execnz .LBB812_1133
.LBB812_1065:                           ;   in Loop: Header=BB812_980 Depth=2
	s_or_b64 exec, exec, s[52:53]
	v_cmp_lt_u32_e64 s[52:53], v80, v176
	s_and_saveexec_b64 s[54:55], s[52:53]
	s_cbranch_execnz .LBB812_1134
.LBB812_1066:                           ;   in Loop: Header=BB812_980 Depth=2
	s_or_b64 exec, exec, s[54:55]
	v_cmp_lt_u32_e64 s[54:55], v81, v176
	s_and_saveexec_b64 s[56:57], s[54:55]
	s_cbranch_execnz .LBB812_1135
.LBB812_1067:                           ;   in Loop: Header=BB812_980 Depth=2
	s_or_b64 exec, exec, s[56:57]
	v_cmp_lt_u32_e64 s[56:57], v82, v176
	s_and_saveexec_b64 s[58:59], s[56:57]
	s_cbranch_execnz .LBB812_1136
.LBB812_1068:                           ;   in Loop: Header=BB812_980 Depth=2
	s_or_b64 exec, exec, s[58:59]
	v_cmp_lt_u32_e64 s[58:59], v83, v176
	s_and_saveexec_b64 s[60:61], s[58:59]
	s_cbranch_execnz .LBB812_1137
.LBB812_1069:                           ;   in Loop: Header=BB812_980 Depth=2
	s_or_b64 exec, exec, s[60:61]
	v_cmp_lt_u32_e64 s[60:61], v84, v176
	s_and_saveexec_b64 s[62:63], s[60:61]
	s_cbranch_execnz .LBB812_1138
.LBB812_1070:                           ;   in Loop: Header=BB812_980 Depth=2
	s_or_b64 exec, exec, s[62:63]
	v_cmp_lt_u32_e64 s[62:63], v85, v176
	s_and_saveexec_b64 s[64:65], s[62:63]
	s_cbranch_execnz .LBB812_1139
.LBB812_1071:                           ;   in Loop: Header=BB812_980 Depth=2
	s_or_b64 exec, exec, s[64:65]
	v_cmp_lt_u32_e64 s[64:65], v86, v176
	s_and_saveexec_b64 s[66:67], s[64:65]
	s_cbranch_execnz .LBB812_1140
.LBB812_1072:                           ;   in Loop: Header=BB812_980 Depth=2
	s_or_b64 exec, exec, s[66:67]
	v_cmp_lt_u32_e64 s[66:67], v87, v176
	s_and_saveexec_b64 s[68:69], s[66:67]
	s_cbranch_execnz .LBB812_1141
.LBB812_1073:                           ;   in Loop: Header=BB812_980 Depth=2
	s_or_b64 exec, exec, s[68:69]
	v_cmp_lt_u32_e64 s[68:69], v88, v176
	s_and_saveexec_b64 s[70:71], s[68:69]
	s_cbranch_execnz .LBB812_1142
.LBB812_1074:                           ;   in Loop: Header=BB812_980 Depth=2
	s_or_b64 exec, exec, s[70:71]
	v_cmp_lt_u32_e64 s[70:71], v89, v176
	s_and_saveexec_b64 s[72:73], s[70:71]
	s_cbranch_execnz .LBB812_1143
.LBB812_1075:                           ;   in Loop: Header=BB812_980 Depth=2
	s_or_b64 exec, exec, s[72:73]
	v_cmp_lt_u32_e64 s[72:73], v90, v176
	s_and_saveexec_b64 s[82:83], s[72:73]
	s_cbranch_execz .LBB812_1077
.LBB812_1076:                           ;   in Loop: Header=BB812_980 Depth=2
	ds_read_b64 v[39:40], v106 offset:31232
	v_mov_b32_e32 v58, s81
	s_waitcnt lgkmcnt(0)
	v_lshrrev_b64 v[56:57], s7, v[39:40]
	v_mov_b32_e32 v57, v3
	v_and_b32_e32 v56, s98, v56
	v_lshlrev_b32_e32 v56, 2, v56
	ds_read_b32 v56, v56
	v_xor_b32_e32 v40, 0x80000000, v40
	s_waitcnt lgkmcnt(0)
	v_add_u32_e32 v56, v56, v90
	v_lshlrev_b64 v[56:57], 3, v[56:57]
	v_add_co_u32_e32 v56, vcc, s80, v56
	v_addc_co_u32_e32 v57, vcc, v58, v57, vcc
	global_store_dwordx2 v[56:57], v[39:40], off
.LBB812_1077:                           ;   in Loop: Header=BB812_980 Depth=2
	s_or_b64 exec, exec, s[82:83]
	s_lshl_b64 s[8:9], s[92:93], 3
	v_mov_b32_e32 v40, s9
	v_add_co_u32_e32 v39, vcc, s8, v154
	v_addc_co_u32_e32 v40, vcc, v155, v40, vcc
	v_cmp_lt_u32_e32 vcc, v153, v176
	s_and_saveexec_b64 s[8:9], vcc
	s_xor_b64 s[82:83], exec, s[8:9]
	s_cbranch_execnz .LBB812_1144
; %bb.1078:                             ;   in Loop: Header=BB812_980 Depth=2
	s_or_b64 exec, exec, s[82:83]
	v_cmp_lt_u32_e32 vcc, v156, v176
	s_and_saveexec_b64 s[82:83], vcc
	s_cbranch_execnz .LBB812_1145
.LBB812_1079:                           ;   in Loop: Header=BB812_980 Depth=2
	s_or_b64 exec, exec, s[82:83]
	v_cmp_lt_u32_e32 vcc, v157, v176
	s_and_saveexec_b64 s[82:83], vcc
	s_cbranch_execnz .LBB812_1146
.LBB812_1080:                           ;   in Loop: Header=BB812_980 Depth=2
	s_or_b64 exec, exec, s[82:83]
	v_cmp_lt_u32_e32 vcc, v158, v176
	s_and_saveexec_b64 s[82:83], vcc
	s_cbranch_execnz .LBB812_1147
.LBB812_1081:                           ;   in Loop: Header=BB812_980 Depth=2
	s_or_b64 exec, exec, s[82:83]
	v_cmp_lt_u32_e32 vcc, v159, v176
	s_and_saveexec_b64 s[82:83], vcc
	s_cbranch_execnz .LBB812_1148
.LBB812_1082:                           ;   in Loop: Header=BB812_980 Depth=2
	s_or_b64 exec, exec, s[82:83]
	v_cmp_lt_u32_e32 vcc, v160, v176
	s_and_saveexec_b64 s[82:83], vcc
	s_cbranch_execnz .LBB812_1149
.LBB812_1083:                           ;   in Loop: Header=BB812_980 Depth=2
	s_or_b64 exec, exec, s[82:83]
	v_cmp_lt_u32_e32 vcc, v161, v176
	s_and_saveexec_b64 s[82:83], vcc
	s_cbranch_execnz .LBB812_1150
.LBB812_1084:                           ;   in Loop: Header=BB812_980 Depth=2
	s_or_b64 exec, exec, s[82:83]
	v_cmp_lt_u32_e32 vcc, v162, v176
	s_and_saveexec_b64 s[82:83], vcc
	s_cbranch_execnz .LBB812_1151
.LBB812_1085:                           ;   in Loop: Header=BB812_980 Depth=2
	s_or_b64 exec, exec, s[82:83]
	v_cmp_lt_u32_e32 vcc, v163, v176
	s_and_saveexec_b64 s[82:83], vcc
	s_cbranch_execnz .LBB812_1152
.LBB812_1086:                           ;   in Loop: Header=BB812_980 Depth=2
	s_or_b64 exec, exec, s[82:83]
	v_cmp_lt_u32_e32 vcc, v164, v176
	s_and_saveexec_b64 s[82:83], vcc
	s_cbranch_execnz .LBB812_1153
.LBB812_1087:                           ;   in Loop: Header=BB812_980 Depth=2
	s_or_b64 exec, exec, s[82:83]
	v_cmp_lt_u32_e32 vcc, v165, v176
	s_and_saveexec_b64 s[82:83], vcc
	s_cbranch_execnz .LBB812_1154
.LBB812_1088:                           ;   in Loop: Header=BB812_980 Depth=2
	s_or_b64 exec, exec, s[82:83]
	v_cmp_lt_u32_e32 vcc, v166, v176
	s_and_saveexec_b64 s[82:83], vcc
	s_cbranch_execnz .LBB812_1155
.LBB812_1089:                           ;   in Loop: Header=BB812_980 Depth=2
	s_or_b64 exec, exec, s[82:83]
	v_cmp_lt_u32_e32 vcc, v167, v176
	s_and_saveexec_b64 s[82:83], vcc
	s_cbranch_execnz .LBB812_1156
.LBB812_1090:                           ;   in Loop: Header=BB812_980 Depth=2
	s_or_b64 exec, exec, s[82:83]
	v_cmp_lt_u32_e32 vcc, v168, v176
	s_and_saveexec_b64 s[82:83], vcc
	s_cbranch_execnz .LBB812_1157
.LBB812_1091:                           ;   in Loop: Header=BB812_980 Depth=2
	s_or_b64 exec, exec, s[82:83]
	v_cmp_lt_u32_e32 vcc, v169, v176
	s_and_saveexec_b64 s[82:83], vcc
	s_cbranch_execnz .LBB812_1158
.LBB812_1092:                           ;   in Loop: Header=BB812_980 Depth=2
	s_or_b64 exec, exec, s[82:83]
	v_cmp_lt_u32_e32 vcc, v170, v176
	s_and_saveexec_b64 s[82:83], vcc
	s_cbranch_execnz .LBB812_1159
.LBB812_1093:                           ;   in Loop: Header=BB812_980 Depth=2
	s_or_b64 exec, exec, s[82:83]
	s_and_saveexec_b64 s[82:83], s[42:43]
	s_cbranch_execnz .LBB812_1160
.LBB812_1094:                           ;   in Loop: Header=BB812_980 Depth=2
	s_or_b64 exec, exec, s[82:83]
	s_and_saveexec_b64 s[82:83], s[44:45]
	s_cbranch_execnz .LBB812_1161
.LBB812_1095:                           ;   in Loop: Header=BB812_980 Depth=2
	s_or_b64 exec, exec, s[82:83]
	s_and_saveexec_b64 s[82:83], s[46:47]
	s_cbranch_execnz .LBB812_1162
.LBB812_1096:                           ;   in Loop: Header=BB812_980 Depth=2
	s_or_b64 exec, exec, s[82:83]
	s_and_saveexec_b64 s[82:83], s[48:49]
	s_cbranch_execnz .LBB812_1163
.LBB812_1097:                           ;   in Loop: Header=BB812_980 Depth=2
	s_or_b64 exec, exec, s[82:83]
	s_and_saveexec_b64 s[82:83], s[50:51]
	s_cbranch_execnz .LBB812_1164
.LBB812_1098:                           ;   in Loop: Header=BB812_980 Depth=2
	s_or_b64 exec, exec, s[82:83]
	s_and_saveexec_b64 s[82:83], s[52:53]
	s_cbranch_execnz .LBB812_1165
.LBB812_1099:                           ;   in Loop: Header=BB812_980 Depth=2
	s_or_b64 exec, exec, s[82:83]
	s_and_saveexec_b64 s[82:83], s[54:55]
	s_cbranch_execnz .LBB812_1166
.LBB812_1100:                           ;   in Loop: Header=BB812_980 Depth=2
	s_or_b64 exec, exec, s[82:83]
	s_and_saveexec_b64 s[82:83], s[56:57]
	s_cbranch_execnz .LBB812_1167
.LBB812_1101:                           ;   in Loop: Header=BB812_980 Depth=2
	s_or_b64 exec, exec, s[82:83]
	s_and_saveexec_b64 s[82:83], s[58:59]
	s_cbranch_execnz .LBB812_1168
.LBB812_1102:                           ;   in Loop: Header=BB812_980 Depth=2
	s_or_b64 exec, exec, s[82:83]
	s_and_saveexec_b64 s[82:83], s[60:61]
	s_cbranch_execnz .LBB812_1169
.LBB812_1103:                           ;   in Loop: Header=BB812_980 Depth=2
	s_or_b64 exec, exec, s[82:83]
	s_and_saveexec_b64 s[82:83], s[62:63]
	s_cbranch_execnz .LBB812_1170
.LBB812_1104:                           ;   in Loop: Header=BB812_980 Depth=2
	s_or_b64 exec, exec, s[82:83]
	s_and_saveexec_b64 s[82:83], s[64:65]
	s_cbranch_execnz .LBB812_1171
.LBB812_1105:                           ;   in Loop: Header=BB812_980 Depth=2
	s_or_b64 exec, exec, s[82:83]
	s_and_saveexec_b64 s[82:83], s[66:67]
	s_cbranch_execnz .LBB812_1172
.LBB812_1106:                           ;   in Loop: Header=BB812_980 Depth=2
	s_or_b64 exec, exec, s[82:83]
	s_and_saveexec_b64 s[82:83], s[68:69]
	s_cbranch_execnz .LBB812_1173
.LBB812_1107:                           ;   in Loop: Header=BB812_980 Depth=2
	s_or_b64 exec, exec, s[82:83]
	s_and_saveexec_b64 s[82:83], s[70:71]
	s_cbranch_execnz .LBB812_1174
.LBB812_1108:                           ;   in Loop: Header=BB812_980 Depth=2
	s_or_b64 exec, exec, s[82:83]
	s_and_saveexec_b64 s[82:83], s[72:73]
	s_cbranch_execz .LBB812_1110
.LBB812_1109:                           ;   in Loop: Header=BB812_980 Depth=2
	ds_read_b64 v[39:40], v106 offset:31232
	s_waitcnt lgkmcnt(0)
	v_lshrrev_b64 v[39:40], s7, v[39:40]
	v_and_b32_e32 v137, s98, v39
.LBB812_1110:                           ;   in Loop: Header=BB812_980 Depth=2
	s_or_b64 exec, exec, s[82:83]
	s_waitcnt vmcnt(0)
	s_barrier
	ds_write_b64 v4, v[37:38] offset:512
	ds_write_b64 v41, v[35:36] offset:512
	;; [unrolled: 1-line block ×16, first 2 shown]
	s_waitcnt lgkmcnt(0)
	s_barrier
	s_and_saveexec_b64 s[82:83], s[42:43]
	s_cbranch_execnz .LBB812_1175
; %bb.1111:                             ;   in Loop: Header=BB812_980 Depth=2
	s_or_b64 exec, exec, s[82:83]
	s_and_saveexec_b64 s[42:43], s[44:45]
	s_cbranch_execnz .LBB812_1176
.LBB812_1112:                           ;   in Loop: Header=BB812_980 Depth=2
	s_or_b64 exec, exec, s[42:43]
	s_and_saveexec_b64 s[42:43], s[46:47]
	s_cbranch_execnz .LBB812_1177
.LBB812_1113:                           ;   in Loop: Header=BB812_980 Depth=2
	s_or_b64 exec, exec, s[42:43]
	s_and_saveexec_b64 s[42:43], s[48:49]
	s_cbranch_execnz .LBB812_1178
.LBB812_1114:                           ;   in Loop: Header=BB812_980 Depth=2
	s_or_b64 exec, exec, s[42:43]
	s_and_saveexec_b64 s[42:43], s[50:51]
	s_cbranch_execnz .LBB812_1179
.LBB812_1115:                           ;   in Loop: Header=BB812_980 Depth=2
	s_or_b64 exec, exec, s[42:43]
	s_and_saveexec_b64 s[42:43], s[52:53]
	s_cbranch_execnz .LBB812_1180
.LBB812_1116:                           ;   in Loop: Header=BB812_980 Depth=2
	s_or_b64 exec, exec, s[42:43]
	s_and_saveexec_b64 s[42:43], s[54:55]
	s_cbranch_execnz .LBB812_1181
.LBB812_1117:                           ;   in Loop: Header=BB812_980 Depth=2
	s_or_b64 exec, exec, s[42:43]
	s_and_saveexec_b64 s[42:43], s[56:57]
	s_cbranch_execnz .LBB812_1182
.LBB812_1118:                           ;   in Loop: Header=BB812_980 Depth=2
	s_or_b64 exec, exec, s[42:43]
	s_and_saveexec_b64 s[42:43], s[58:59]
	s_cbranch_execnz .LBB812_1183
.LBB812_1119:                           ;   in Loop: Header=BB812_980 Depth=2
	s_or_b64 exec, exec, s[42:43]
	s_and_saveexec_b64 s[42:43], s[60:61]
	s_cbranch_execnz .LBB812_1184
.LBB812_1120:                           ;   in Loop: Header=BB812_980 Depth=2
	s_or_b64 exec, exec, s[42:43]
	s_and_saveexec_b64 s[42:43], s[62:63]
	s_cbranch_execnz .LBB812_1185
.LBB812_1121:                           ;   in Loop: Header=BB812_980 Depth=2
	s_or_b64 exec, exec, s[42:43]
	s_and_saveexec_b64 s[42:43], s[64:65]
	s_cbranch_execnz .LBB812_1186
.LBB812_1122:                           ;   in Loop: Header=BB812_980 Depth=2
	s_or_b64 exec, exec, s[42:43]
	s_and_saveexec_b64 s[42:43], s[66:67]
	s_cbranch_execnz .LBB812_1187
.LBB812_1123:                           ;   in Loop: Header=BB812_980 Depth=2
	s_or_b64 exec, exec, s[42:43]
	s_and_saveexec_b64 s[42:43], s[68:69]
	s_cbranch_execnz .LBB812_1188
.LBB812_1124:                           ;   in Loop: Header=BB812_980 Depth=2
	s_or_b64 exec, exec, s[42:43]
	s_and_saveexec_b64 s[42:43], s[70:71]
	s_cbranch_execnz .LBB812_1189
.LBB812_1125:                           ;   in Loop: Header=BB812_980 Depth=2
	s_or_b64 exec, exec, s[42:43]
	s_and_saveexec_b64 s[42:43], s[72:73]
	s_cbranch_execz .LBB812_1127
.LBB812_1126:                           ;   in Loop: Header=BB812_980 Depth=2
	v_lshlrev_b32_e32 v4, 2, v137
	ds_read_b32 v4, v4
	ds_read_b64 v[39:40], v106 offset:31232
	v_mov_b32_e32 v42, v3
	v_mov_b32_e32 v43, s87
	s_waitcnt lgkmcnt(1)
	v_add_u32_e32 v41, v4, v90
	v_lshlrev_b64 v[41:42], 3, v[41:42]
	v_add_co_u32_e32 v41, vcc, s86, v41
	v_addc_co_u32_e32 v42, vcc, v43, v42, vcc
	s_waitcnt lgkmcnt(0)
	global_store_dwordx2 v[41:42], v[39:40], off
.LBB812_1127:                           ;   in Loop: Header=BB812_980 Depth=2
	s_or_b64 exec, exec, s[42:43]
	s_waitcnt vmcnt(0)
	s_barrier
	s_and_saveexec_b64 s[42:43], s[4:5]
	s_cbranch_execz .LBB812_979
; %bb.1128:                             ;   in Loop: Header=BB812_980 Depth=2
	ds_read_b32 v4, v73
	s_waitcnt lgkmcnt(0)
	v_add3_u32 v4, v174, v175, v4
	ds_write_b32 v73, v4
	s_branch .LBB812_979
.LBB812_1129:                           ;   in Loop: Header=BB812_980 Depth=2
	ds_read_b64 v[39:40], v106 offset:512
	v_mov_b32_e32 v58, s81
	s_waitcnt lgkmcnt(0)
	v_lshrrev_b64 v[56:57], s7, v[39:40]
	v_mov_b32_e32 v57, v3
	v_and_b32_e32 v56, s98, v56
	v_lshlrev_b32_e32 v56, 2, v56
	ds_read_b32 v56, v56
	v_xor_b32_e32 v40, 0x80000000, v40
	s_waitcnt lgkmcnt(0)
	v_add_u32_e32 v56, v56, v0
	v_lshlrev_b64 v[56:57], 3, v[56:57]
	v_add_co_u32_e32 v56, vcc, s80, v56
	v_addc_co_u32_e32 v57, vcc, v58, v57, vcc
	global_store_dwordx2 v[56:57], v[39:40], off
	s_or_b64 exec, exec, s[44:45]
	v_cmp_lt_u32_e64 s[44:45], v74, v176
	s_and_saveexec_b64 s[46:47], s[44:45]
	s_cbranch_execz .LBB812_1062
.LBB812_1130:                           ;   in Loop: Header=BB812_980 Depth=2
	ds_read_b64 v[39:40], v106 offset:2560
	v_mov_b32_e32 v58, s81
	s_waitcnt lgkmcnt(0)
	v_lshrrev_b64 v[56:57], s7, v[39:40]
	v_mov_b32_e32 v57, v3
	v_and_b32_e32 v56, s98, v56
	v_lshlrev_b32_e32 v56, 2, v56
	ds_read_b32 v56, v56
	v_xor_b32_e32 v40, 0x80000000, v40
	s_waitcnt lgkmcnt(0)
	v_add_u32_e32 v56, v56, v74
	v_lshlrev_b64 v[56:57], 3, v[56:57]
	v_add_co_u32_e32 v56, vcc, s80, v56
	v_addc_co_u32_e32 v57, vcc, v58, v57, vcc
	global_store_dwordx2 v[56:57], v[39:40], off
	s_or_b64 exec, exec, s[46:47]
	v_cmp_lt_u32_e64 s[46:47], v77, v176
	s_and_saveexec_b64 s[48:49], s[46:47]
	s_cbranch_execz .LBB812_1063
.LBB812_1131:                           ;   in Loop: Header=BB812_980 Depth=2
	ds_read_b64 v[39:40], v106 offset:4608
	v_mov_b32_e32 v58, s81
	s_waitcnt lgkmcnt(0)
	v_lshrrev_b64 v[56:57], s7, v[39:40]
	v_mov_b32_e32 v57, v3
	v_and_b32_e32 v56, s98, v56
	v_lshlrev_b32_e32 v56, 2, v56
	ds_read_b32 v56, v56
	v_xor_b32_e32 v40, 0x80000000, v40
	s_waitcnt lgkmcnt(0)
	v_add_u32_e32 v56, v56, v77
	v_lshlrev_b64 v[56:57], 3, v[56:57]
	v_add_co_u32_e32 v56, vcc, s80, v56
	v_addc_co_u32_e32 v57, vcc, v58, v57, vcc
	global_store_dwordx2 v[56:57], v[39:40], off
	s_or_b64 exec, exec, s[48:49]
	v_cmp_lt_u32_e64 s[48:49], v78, v176
	s_and_saveexec_b64 s[50:51], s[48:49]
	s_cbranch_execz .LBB812_1064
.LBB812_1132:                           ;   in Loop: Header=BB812_980 Depth=2
	ds_read_b64 v[39:40], v106 offset:6656
	v_mov_b32_e32 v58, s81
	s_waitcnt lgkmcnt(0)
	v_lshrrev_b64 v[56:57], s7, v[39:40]
	v_mov_b32_e32 v57, v3
	v_and_b32_e32 v56, s98, v56
	v_lshlrev_b32_e32 v56, 2, v56
	ds_read_b32 v56, v56
	v_xor_b32_e32 v40, 0x80000000, v40
	s_waitcnt lgkmcnt(0)
	v_add_u32_e32 v56, v56, v78
	v_lshlrev_b64 v[56:57], 3, v[56:57]
	v_add_co_u32_e32 v56, vcc, s80, v56
	v_addc_co_u32_e32 v57, vcc, v58, v57, vcc
	global_store_dwordx2 v[56:57], v[39:40], off
	s_or_b64 exec, exec, s[50:51]
	v_cmp_lt_u32_e64 s[50:51], v79, v176
	s_and_saveexec_b64 s[52:53], s[50:51]
	s_cbranch_execz .LBB812_1065
.LBB812_1133:                           ;   in Loop: Header=BB812_980 Depth=2
	ds_read_b64 v[39:40], v106 offset:8704
	v_mov_b32_e32 v58, s81
	s_waitcnt lgkmcnt(0)
	v_lshrrev_b64 v[56:57], s7, v[39:40]
	v_mov_b32_e32 v57, v3
	v_and_b32_e32 v56, s98, v56
	v_lshlrev_b32_e32 v56, 2, v56
	ds_read_b32 v56, v56
	v_xor_b32_e32 v40, 0x80000000, v40
	s_waitcnt lgkmcnt(0)
	v_add_u32_e32 v56, v56, v79
	v_lshlrev_b64 v[56:57], 3, v[56:57]
	v_add_co_u32_e32 v56, vcc, s80, v56
	v_addc_co_u32_e32 v57, vcc, v58, v57, vcc
	global_store_dwordx2 v[56:57], v[39:40], off
	s_or_b64 exec, exec, s[52:53]
	v_cmp_lt_u32_e64 s[52:53], v80, v176
	s_and_saveexec_b64 s[54:55], s[52:53]
	s_cbranch_execz .LBB812_1066
.LBB812_1134:                           ;   in Loop: Header=BB812_980 Depth=2
	ds_read_b64 v[39:40], v106 offset:10752
	v_mov_b32_e32 v58, s81
	s_waitcnt lgkmcnt(0)
	v_lshrrev_b64 v[56:57], s7, v[39:40]
	v_mov_b32_e32 v57, v3
	v_and_b32_e32 v56, s98, v56
	v_lshlrev_b32_e32 v56, 2, v56
	ds_read_b32 v56, v56
	v_xor_b32_e32 v40, 0x80000000, v40
	s_waitcnt lgkmcnt(0)
	v_add_u32_e32 v56, v56, v80
	v_lshlrev_b64 v[56:57], 3, v[56:57]
	v_add_co_u32_e32 v56, vcc, s80, v56
	v_addc_co_u32_e32 v57, vcc, v58, v57, vcc
	global_store_dwordx2 v[56:57], v[39:40], off
	s_or_b64 exec, exec, s[54:55]
	v_cmp_lt_u32_e64 s[54:55], v81, v176
	s_and_saveexec_b64 s[56:57], s[54:55]
	s_cbranch_execz .LBB812_1067
.LBB812_1135:                           ;   in Loop: Header=BB812_980 Depth=2
	ds_read_b64 v[39:40], v106 offset:12800
	v_mov_b32_e32 v58, s81
	s_waitcnt lgkmcnt(0)
	v_lshrrev_b64 v[56:57], s7, v[39:40]
	v_mov_b32_e32 v57, v3
	v_and_b32_e32 v56, s98, v56
	v_lshlrev_b32_e32 v56, 2, v56
	ds_read_b32 v56, v56
	v_xor_b32_e32 v40, 0x80000000, v40
	s_waitcnt lgkmcnt(0)
	v_add_u32_e32 v56, v56, v81
	v_lshlrev_b64 v[56:57], 3, v[56:57]
	v_add_co_u32_e32 v56, vcc, s80, v56
	v_addc_co_u32_e32 v57, vcc, v58, v57, vcc
	global_store_dwordx2 v[56:57], v[39:40], off
	s_or_b64 exec, exec, s[56:57]
	v_cmp_lt_u32_e64 s[56:57], v82, v176
	s_and_saveexec_b64 s[58:59], s[56:57]
	s_cbranch_execz .LBB812_1068
.LBB812_1136:                           ;   in Loop: Header=BB812_980 Depth=2
	ds_read_b64 v[39:40], v106 offset:14848
	v_mov_b32_e32 v58, s81
	s_waitcnt lgkmcnt(0)
	v_lshrrev_b64 v[56:57], s7, v[39:40]
	v_mov_b32_e32 v57, v3
	v_and_b32_e32 v56, s98, v56
	v_lshlrev_b32_e32 v56, 2, v56
	ds_read_b32 v56, v56
	v_xor_b32_e32 v40, 0x80000000, v40
	s_waitcnt lgkmcnt(0)
	v_add_u32_e32 v56, v56, v82
	v_lshlrev_b64 v[56:57], 3, v[56:57]
	v_add_co_u32_e32 v56, vcc, s80, v56
	v_addc_co_u32_e32 v57, vcc, v58, v57, vcc
	global_store_dwordx2 v[56:57], v[39:40], off
	s_or_b64 exec, exec, s[58:59]
	v_cmp_lt_u32_e64 s[58:59], v83, v176
	s_and_saveexec_b64 s[60:61], s[58:59]
	s_cbranch_execz .LBB812_1069
.LBB812_1137:                           ;   in Loop: Header=BB812_980 Depth=2
	ds_read_b64 v[39:40], v106 offset:16896
	v_mov_b32_e32 v58, s81
	s_waitcnt lgkmcnt(0)
	v_lshrrev_b64 v[56:57], s7, v[39:40]
	v_mov_b32_e32 v57, v3
	v_and_b32_e32 v56, s98, v56
	v_lshlrev_b32_e32 v56, 2, v56
	ds_read_b32 v56, v56
	v_xor_b32_e32 v40, 0x80000000, v40
	s_waitcnt lgkmcnt(0)
	v_add_u32_e32 v56, v56, v83
	v_lshlrev_b64 v[56:57], 3, v[56:57]
	v_add_co_u32_e32 v56, vcc, s80, v56
	v_addc_co_u32_e32 v57, vcc, v58, v57, vcc
	global_store_dwordx2 v[56:57], v[39:40], off
	s_or_b64 exec, exec, s[60:61]
	v_cmp_lt_u32_e64 s[60:61], v84, v176
	s_and_saveexec_b64 s[62:63], s[60:61]
	s_cbranch_execz .LBB812_1070
.LBB812_1138:                           ;   in Loop: Header=BB812_980 Depth=2
	ds_read_b64 v[39:40], v106 offset:18944
	v_mov_b32_e32 v58, s81
	s_waitcnt lgkmcnt(0)
	v_lshrrev_b64 v[56:57], s7, v[39:40]
	v_mov_b32_e32 v57, v3
	v_and_b32_e32 v56, s98, v56
	v_lshlrev_b32_e32 v56, 2, v56
	ds_read_b32 v56, v56
	v_xor_b32_e32 v40, 0x80000000, v40
	s_waitcnt lgkmcnt(0)
	v_add_u32_e32 v56, v56, v84
	v_lshlrev_b64 v[56:57], 3, v[56:57]
	v_add_co_u32_e32 v56, vcc, s80, v56
	v_addc_co_u32_e32 v57, vcc, v58, v57, vcc
	global_store_dwordx2 v[56:57], v[39:40], off
	s_or_b64 exec, exec, s[62:63]
	v_cmp_lt_u32_e64 s[62:63], v85, v176
	s_and_saveexec_b64 s[64:65], s[62:63]
	s_cbranch_execz .LBB812_1071
.LBB812_1139:                           ;   in Loop: Header=BB812_980 Depth=2
	ds_read_b64 v[39:40], v106 offset:20992
	v_mov_b32_e32 v58, s81
	s_waitcnt lgkmcnt(0)
	v_lshrrev_b64 v[56:57], s7, v[39:40]
	v_mov_b32_e32 v57, v3
	v_and_b32_e32 v56, s98, v56
	v_lshlrev_b32_e32 v56, 2, v56
	ds_read_b32 v56, v56
	v_xor_b32_e32 v40, 0x80000000, v40
	s_waitcnt lgkmcnt(0)
	v_add_u32_e32 v56, v56, v85
	v_lshlrev_b64 v[56:57], 3, v[56:57]
	v_add_co_u32_e32 v56, vcc, s80, v56
	v_addc_co_u32_e32 v57, vcc, v58, v57, vcc
	global_store_dwordx2 v[56:57], v[39:40], off
	s_or_b64 exec, exec, s[64:65]
	v_cmp_lt_u32_e64 s[64:65], v86, v176
	s_and_saveexec_b64 s[66:67], s[64:65]
	s_cbranch_execz .LBB812_1072
.LBB812_1140:                           ;   in Loop: Header=BB812_980 Depth=2
	ds_read_b64 v[39:40], v106 offset:23040
	v_mov_b32_e32 v58, s81
	s_waitcnt lgkmcnt(0)
	v_lshrrev_b64 v[56:57], s7, v[39:40]
	v_mov_b32_e32 v57, v3
	v_and_b32_e32 v56, s98, v56
	v_lshlrev_b32_e32 v56, 2, v56
	ds_read_b32 v56, v56
	v_xor_b32_e32 v40, 0x80000000, v40
	s_waitcnt lgkmcnt(0)
	v_add_u32_e32 v56, v56, v86
	v_lshlrev_b64 v[56:57], 3, v[56:57]
	v_add_co_u32_e32 v56, vcc, s80, v56
	v_addc_co_u32_e32 v57, vcc, v58, v57, vcc
	global_store_dwordx2 v[56:57], v[39:40], off
	s_or_b64 exec, exec, s[66:67]
	v_cmp_lt_u32_e64 s[66:67], v87, v176
	s_and_saveexec_b64 s[68:69], s[66:67]
	s_cbranch_execz .LBB812_1073
.LBB812_1141:                           ;   in Loop: Header=BB812_980 Depth=2
	ds_read_b64 v[39:40], v106 offset:25088
	v_mov_b32_e32 v58, s81
	s_waitcnt lgkmcnt(0)
	v_lshrrev_b64 v[56:57], s7, v[39:40]
	v_mov_b32_e32 v57, v3
	v_and_b32_e32 v56, s98, v56
	v_lshlrev_b32_e32 v56, 2, v56
	ds_read_b32 v56, v56
	v_xor_b32_e32 v40, 0x80000000, v40
	s_waitcnt lgkmcnt(0)
	v_add_u32_e32 v56, v56, v87
	v_lshlrev_b64 v[56:57], 3, v[56:57]
	v_add_co_u32_e32 v56, vcc, s80, v56
	v_addc_co_u32_e32 v57, vcc, v58, v57, vcc
	global_store_dwordx2 v[56:57], v[39:40], off
	s_or_b64 exec, exec, s[68:69]
	v_cmp_lt_u32_e64 s[68:69], v88, v176
	s_and_saveexec_b64 s[70:71], s[68:69]
	s_cbranch_execz .LBB812_1074
.LBB812_1142:                           ;   in Loop: Header=BB812_980 Depth=2
	ds_read_b64 v[39:40], v106 offset:27136
	v_mov_b32_e32 v58, s81
	s_waitcnt lgkmcnt(0)
	v_lshrrev_b64 v[56:57], s7, v[39:40]
	v_mov_b32_e32 v57, v3
	v_and_b32_e32 v56, s98, v56
	v_lshlrev_b32_e32 v56, 2, v56
	ds_read_b32 v56, v56
	v_xor_b32_e32 v40, 0x80000000, v40
	s_waitcnt lgkmcnt(0)
	v_add_u32_e32 v56, v56, v88
	v_lshlrev_b64 v[56:57], 3, v[56:57]
	v_add_co_u32_e32 v56, vcc, s80, v56
	v_addc_co_u32_e32 v57, vcc, v58, v57, vcc
	global_store_dwordx2 v[56:57], v[39:40], off
	s_or_b64 exec, exec, s[70:71]
	v_cmp_lt_u32_e64 s[70:71], v89, v176
	s_and_saveexec_b64 s[72:73], s[70:71]
	s_cbranch_execz .LBB812_1075
.LBB812_1143:                           ;   in Loop: Header=BB812_980 Depth=2
	ds_read_b64 v[39:40], v106 offset:29184
	v_mov_b32_e32 v58, s81
	s_waitcnt lgkmcnt(0)
	v_lshrrev_b64 v[56:57], s7, v[39:40]
	v_mov_b32_e32 v57, v3
	v_and_b32_e32 v56, s98, v56
	v_lshlrev_b32_e32 v56, 2, v56
	ds_read_b32 v56, v56
	v_xor_b32_e32 v40, 0x80000000, v40
	s_waitcnt lgkmcnt(0)
	v_add_u32_e32 v56, v56, v89
	v_lshlrev_b64 v[56:57], 3, v[56:57]
	v_add_co_u32_e32 v56, vcc, s80, v56
	v_addc_co_u32_e32 v57, vcc, v58, v57, vcc
	global_store_dwordx2 v[56:57], v[39:40], off
	s_or_b64 exec, exec, s[72:73]
	v_cmp_lt_u32_e64 s[72:73], v90, v176
	s_and_saveexec_b64 s[82:83], s[72:73]
	s_cbranch_execnz .LBB812_1076
	s_branch .LBB812_1077
.LBB812_1144:                           ;   in Loop: Header=BB812_980 Depth=2
	global_load_dwordx2 v[37:38], v[39:40], off
	s_or_b64 exec, exec, s[82:83]
	v_cmp_lt_u32_e32 vcc, v156, v176
	s_and_saveexec_b64 s[82:83], vcc
	s_cbranch_execz .LBB812_1079
.LBB812_1145:                           ;   in Loop: Header=BB812_980 Depth=2
	global_load_dwordx2 v[35:36], v[39:40], off offset:512
	s_or_b64 exec, exec, s[82:83]
	v_cmp_lt_u32_e32 vcc, v157, v176
	s_and_saveexec_b64 s[82:83], vcc
	s_cbranch_execz .LBB812_1080
.LBB812_1146:                           ;   in Loop: Header=BB812_980 Depth=2
	global_load_dwordx2 v[33:34], v[39:40], off offset:1024
	s_or_b64 exec, exec, s[82:83]
	v_cmp_lt_u32_e32 vcc, v158, v176
	s_and_saveexec_b64 s[82:83], vcc
	s_cbranch_execz .LBB812_1081
.LBB812_1147:                           ;   in Loop: Header=BB812_980 Depth=2
	global_load_dwordx2 v[29:30], v[39:40], off offset:1536
	s_or_b64 exec, exec, s[82:83]
	v_cmp_lt_u32_e32 vcc, v159, v176
	s_and_saveexec_b64 s[82:83], vcc
	s_cbranch_execz .LBB812_1082
.LBB812_1148:                           ;   in Loop: Header=BB812_980 Depth=2
	global_load_dwordx2 v[25:26], v[39:40], off offset:2048
	s_or_b64 exec, exec, s[82:83]
	v_cmp_lt_u32_e32 vcc, v160, v176
	s_and_saveexec_b64 s[82:83], vcc
	s_cbranch_execz .LBB812_1083
.LBB812_1149:                           ;   in Loop: Header=BB812_980 Depth=2
	global_load_dwordx2 v[21:22], v[39:40], off offset:2560
	s_or_b64 exec, exec, s[82:83]
	v_cmp_lt_u32_e32 vcc, v161, v176
	s_and_saveexec_b64 s[82:83], vcc
	s_cbranch_execz .LBB812_1084
.LBB812_1150:                           ;   in Loop: Header=BB812_980 Depth=2
	global_load_dwordx2 v[17:18], v[39:40], off offset:3072
	s_or_b64 exec, exec, s[82:83]
	v_cmp_lt_u32_e32 vcc, v162, v176
	s_and_saveexec_b64 s[82:83], vcc
	s_cbranch_execz .LBB812_1085
.LBB812_1151:                           ;   in Loop: Header=BB812_980 Depth=2
	global_load_dwordx2 v[13:14], v[39:40], off offset:3584
	s_or_b64 exec, exec, s[82:83]
	v_cmp_lt_u32_e32 vcc, v163, v176
	s_and_saveexec_b64 s[82:83], vcc
	s_cbranch_execz .LBB812_1086
.LBB812_1152:                           ;   in Loop: Header=BB812_980 Depth=2
	v_add_co_u32_e32 v31, vcc, 0x1000, v39
	v_addc_co_u32_e32 v32, vcc, 0, v40, vcc
	global_load_dwordx2 v[31:32], v[31:32], off
	s_or_b64 exec, exec, s[82:83]
	v_cmp_lt_u32_e32 vcc, v164, v176
	s_and_saveexec_b64 s[82:83], vcc
	s_cbranch_execz .LBB812_1087
.LBB812_1153:                           ;   in Loop: Header=BB812_980 Depth=2
	v_add_co_u32_e32 v27, vcc, 0x1000, v39
	v_addc_co_u32_e32 v28, vcc, 0, v40, vcc
	global_load_dwordx2 v[27:28], v[27:28], off offset:512
	s_or_b64 exec, exec, s[82:83]
	v_cmp_lt_u32_e32 vcc, v165, v176
	s_and_saveexec_b64 s[82:83], vcc
	s_cbranch_execz .LBB812_1088
.LBB812_1154:                           ;   in Loop: Header=BB812_980 Depth=2
	v_add_co_u32_e32 v23, vcc, 0x1000, v39
	v_addc_co_u32_e32 v24, vcc, 0, v40, vcc
	global_load_dwordx2 v[23:24], v[23:24], off offset:1024
	s_or_b64 exec, exec, s[82:83]
	v_cmp_lt_u32_e32 vcc, v166, v176
	s_and_saveexec_b64 s[82:83], vcc
	s_cbranch_execz .LBB812_1089
.LBB812_1155:                           ;   in Loop: Header=BB812_980 Depth=2
	v_add_co_u32_e32 v19, vcc, 0x1000, v39
	v_addc_co_u32_e32 v20, vcc, 0, v40, vcc
	global_load_dwordx2 v[19:20], v[19:20], off offset:1536
	s_or_b64 exec, exec, s[82:83]
	v_cmp_lt_u32_e32 vcc, v167, v176
	s_and_saveexec_b64 s[82:83], vcc
	s_cbranch_execz .LBB812_1090
.LBB812_1156:                           ;   in Loop: Header=BB812_980 Depth=2
	v_add_co_u32_e32 v15, vcc, 0x1000, v39
	v_addc_co_u32_e32 v16, vcc, 0, v40, vcc
	global_load_dwordx2 v[15:16], v[15:16], off offset:2048
	s_or_b64 exec, exec, s[82:83]
	v_cmp_lt_u32_e32 vcc, v168, v176
	s_and_saveexec_b64 s[82:83], vcc
	s_cbranch_execz .LBB812_1091
.LBB812_1157:                           ;   in Loop: Header=BB812_980 Depth=2
	v_add_co_u32_e32 v11, vcc, 0x1000, v39
	v_addc_co_u32_e32 v12, vcc, 0, v40, vcc
	global_load_dwordx2 v[11:12], v[11:12], off offset:2560
	s_or_b64 exec, exec, s[82:83]
	v_cmp_lt_u32_e32 vcc, v169, v176
	s_and_saveexec_b64 s[82:83], vcc
	s_cbranch_execz .LBB812_1092
.LBB812_1158:                           ;   in Loop: Header=BB812_980 Depth=2
	v_add_co_u32_e32 v9, vcc, 0x1000, v39
	v_addc_co_u32_e32 v10, vcc, 0, v40, vcc
	global_load_dwordx2 v[9:10], v[9:10], off offset:3072
	s_or_b64 exec, exec, s[82:83]
	v_cmp_lt_u32_e32 vcc, v170, v176
	s_and_saveexec_b64 s[82:83], vcc
	s_cbranch_execz .LBB812_1093
.LBB812_1159:                           ;   in Loop: Header=BB812_980 Depth=2
	v_add_co_u32_e32 v7, vcc, 0x1000, v39
	v_addc_co_u32_e32 v8, vcc, 0, v40, vcc
	global_load_dwordx2 v[7:8], v[7:8], off offset:3584
	s_or_b64 exec, exec, s[82:83]
	s_and_saveexec_b64 s[82:83], s[42:43]
	s_cbranch_execz .LBB812_1094
.LBB812_1160:                           ;   in Loop: Header=BB812_980 Depth=2
	ds_read_b64 v[39:40], v106 offset:512
	s_waitcnt lgkmcnt(0)
	v_lshrrev_b64 v[39:40], s7, v[39:40]
	v_and_b32_e32 v152, s98, v39
	s_or_b64 exec, exec, s[82:83]
	s_and_saveexec_b64 s[82:83], s[44:45]
	s_cbranch_execz .LBB812_1095
.LBB812_1161:                           ;   in Loop: Header=BB812_980 Depth=2
	ds_read_b64 v[39:40], v106 offset:2560
	s_waitcnt lgkmcnt(0)
	v_lshrrev_b64 v[39:40], s7, v[39:40]
	v_and_b32_e32 v151, s98, v39
	s_or_b64 exec, exec, s[82:83]
	s_and_saveexec_b64 s[82:83], s[46:47]
	s_cbranch_execz .LBB812_1096
.LBB812_1162:                           ;   in Loop: Header=BB812_980 Depth=2
	ds_read_b64 v[39:40], v106 offset:4608
	s_waitcnt lgkmcnt(0)
	v_lshrrev_b64 v[39:40], s7, v[39:40]
	v_and_b32_e32 v150, s98, v39
	s_or_b64 exec, exec, s[82:83]
	s_and_saveexec_b64 s[82:83], s[48:49]
	s_cbranch_execz .LBB812_1097
.LBB812_1163:                           ;   in Loop: Header=BB812_980 Depth=2
	ds_read_b64 v[39:40], v106 offset:6656
	s_waitcnt lgkmcnt(0)
	v_lshrrev_b64 v[39:40], s7, v[39:40]
	v_and_b32_e32 v149, s98, v39
	s_or_b64 exec, exec, s[82:83]
	s_and_saveexec_b64 s[82:83], s[50:51]
	s_cbranch_execz .LBB812_1098
.LBB812_1164:                           ;   in Loop: Header=BB812_980 Depth=2
	ds_read_b64 v[39:40], v106 offset:8704
	s_waitcnt lgkmcnt(0)
	v_lshrrev_b64 v[39:40], s7, v[39:40]
	v_and_b32_e32 v148, s98, v39
	s_or_b64 exec, exec, s[82:83]
	s_and_saveexec_b64 s[82:83], s[52:53]
	s_cbranch_execz .LBB812_1099
.LBB812_1165:                           ;   in Loop: Header=BB812_980 Depth=2
	ds_read_b64 v[39:40], v106 offset:10752
	s_waitcnt lgkmcnt(0)
	v_lshrrev_b64 v[39:40], s7, v[39:40]
	v_and_b32_e32 v147, s98, v39
	s_or_b64 exec, exec, s[82:83]
	s_and_saveexec_b64 s[82:83], s[54:55]
	s_cbranch_execz .LBB812_1100
.LBB812_1166:                           ;   in Loop: Header=BB812_980 Depth=2
	ds_read_b64 v[39:40], v106 offset:12800
	s_waitcnt lgkmcnt(0)
	v_lshrrev_b64 v[39:40], s7, v[39:40]
	v_and_b32_e32 v146, s98, v39
	s_or_b64 exec, exec, s[82:83]
	s_and_saveexec_b64 s[82:83], s[56:57]
	s_cbranch_execz .LBB812_1101
.LBB812_1167:                           ;   in Loop: Header=BB812_980 Depth=2
	ds_read_b64 v[39:40], v106 offset:14848
	s_waitcnt lgkmcnt(0)
	v_lshrrev_b64 v[39:40], s7, v[39:40]
	v_and_b32_e32 v145, s98, v39
	s_or_b64 exec, exec, s[82:83]
	s_and_saveexec_b64 s[82:83], s[58:59]
	s_cbranch_execz .LBB812_1102
.LBB812_1168:                           ;   in Loop: Header=BB812_980 Depth=2
	ds_read_b64 v[39:40], v106 offset:16896
	s_waitcnt lgkmcnt(0)
	v_lshrrev_b64 v[39:40], s7, v[39:40]
	v_and_b32_e32 v144, s98, v39
	s_or_b64 exec, exec, s[82:83]
	s_and_saveexec_b64 s[82:83], s[60:61]
	s_cbranch_execz .LBB812_1103
.LBB812_1169:                           ;   in Loop: Header=BB812_980 Depth=2
	ds_read_b64 v[39:40], v106 offset:18944
	s_waitcnt lgkmcnt(0)
	v_lshrrev_b64 v[39:40], s7, v[39:40]
	v_and_b32_e32 v143, s98, v39
	s_or_b64 exec, exec, s[82:83]
	s_and_saveexec_b64 s[82:83], s[62:63]
	s_cbranch_execz .LBB812_1104
.LBB812_1170:                           ;   in Loop: Header=BB812_980 Depth=2
	ds_read_b64 v[39:40], v106 offset:20992
	s_waitcnt lgkmcnt(0)
	v_lshrrev_b64 v[39:40], s7, v[39:40]
	v_and_b32_e32 v142, s98, v39
	s_or_b64 exec, exec, s[82:83]
	s_and_saveexec_b64 s[82:83], s[64:65]
	s_cbranch_execz .LBB812_1105
.LBB812_1171:                           ;   in Loop: Header=BB812_980 Depth=2
	ds_read_b64 v[39:40], v106 offset:23040
	s_waitcnt lgkmcnt(0)
	v_lshrrev_b64 v[39:40], s7, v[39:40]
	v_and_b32_e32 v141, s98, v39
	s_or_b64 exec, exec, s[82:83]
	s_and_saveexec_b64 s[82:83], s[66:67]
	s_cbranch_execz .LBB812_1106
.LBB812_1172:                           ;   in Loop: Header=BB812_980 Depth=2
	ds_read_b64 v[39:40], v106 offset:25088
	s_waitcnt lgkmcnt(0)
	v_lshrrev_b64 v[39:40], s7, v[39:40]
	v_and_b32_e32 v140, s98, v39
	s_or_b64 exec, exec, s[82:83]
	s_and_saveexec_b64 s[82:83], s[68:69]
	s_cbranch_execz .LBB812_1107
.LBB812_1173:                           ;   in Loop: Header=BB812_980 Depth=2
	ds_read_b64 v[39:40], v106 offset:27136
	s_waitcnt lgkmcnt(0)
	v_lshrrev_b64 v[39:40], s7, v[39:40]
	v_and_b32_e32 v139, s98, v39
	s_or_b64 exec, exec, s[82:83]
	s_and_saveexec_b64 s[82:83], s[70:71]
	s_cbranch_execz .LBB812_1108
.LBB812_1174:                           ;   in Loop: Header=BB812_980 Depth=2
	ds_read_b64 v[39:40], v106 offset:29184
	s_waitcnt lgkmcnt(0)
	v_lshrrev_b64 v[39:40], s7, v[39:40]
	v_and_b32_e32 v138, s98, v39
	s_or_b64 exec, exec, s[82:83]
	s_and_saveexec_b64 s[82:83], s[72:73]
	s_cbranch_execnz .LBB812_1109
	s_branch .LBB812_1110
.LBB812_1175:                           ;   in Loop: Header=BB812_980 Depth=2
	v_lshlrev_b32_e32 v4, 2, v152
	ds_read_b32 v4, v4
	ds_read_b64 v[39:40], v106 offset:512
	v_mov_b32_e32 v42, v3
	v_mov_b32_e32 v43, s87
	s_waitcnt lgkmcnt(1)
	v_add_u32_e32 v41, v4, v0
	v_lshlrev_b64 v[41:42], 3, v[41:42]
	v_add_co_u32_e32 v41, vcc, s86, v41
	v_addc_co_u32_e32 v42, vcc, v43, v42, vcc
	s_waitcnt lgkmcnt(0)
	global_store_dwordx2 v[41:42], v[39:40], off
	s_or_b64 exec, exec, s[82:83]
	s_and_saveexec_b64 s[42:43], s[44:45]
	s_cbranch_execz .LBB812_1112
.LBB812_1176:                           ;   in Loop: Header=BB812_980 Depth=2
	v_lshlrev_b32_e32 v4, 2, v151
	ds_read_b32 v4, v4
	ds_read_b64 v[39:40], v106 offset:2560
	v_mov_b32_e32 v42, v3
	v_mov_b32_e32 v43, s87
	s_waitcnt lgkmcnt(1)
	v_add_u32_e32 v41, v4, v74
	v_lshlrev_b64 v[41:42], 3, v[41:42]
	v_add_co_u32_e32 v41, vcc, s86, v41
	v_addc_co_u32_e32 v42, vcc, v43, v42, vcc
	s_waitcnt lgkmcnt(0)
	global_store_dwordx2 v[41:42], v[39:40], off
	s_or_b64 exec, exec, s[42:43]
	s_and_saveexec_b64 s[42:43], s[46:47]
	s_cbranch_execz .LBB812_1113
.LBB812_1177:                           ;   in Loop: Header=BB812_980 Depth=2
	v_lshlrev_b32_e32 v4, 2, v150
	ds_read_b32 v4, v4
	ds_read_b64 v[39:40], v106 offset:4608
	v_mov_b32_e32 v42, v3
	v_mov_b32_e32 v43, s87
	s_waitcnt lgkmcnt(1)
	v_add_u32_e32 v41, v4, v77
	v_lshlrev_b64 v[41:42], 3, v[41:42]
	v_add_co_u32_e32 v41, vcc, s86, v41
	v_addc_co_u32_e32 v42, vcc, v43, v42, vcc
	s_waitcnt lgkmcnt(0)
	global_store_dwordx2 v[41:42], v[39:40], off
	s_or_b64 exec, exec, s[42:43]
	s_and_saveexec_b64 s[42:43], s[48:49]
	s_cbranch_execz .LBB812_1114
.LBB812_1178:                           ;   in Loop: Header=BB812_980 Depth=2
	v_lshlrev_b32_e32 v4, 2, v149
	ds_read_b32 v4, v4
	ds_read_b64 v[39:40], v106 offset:6656
	v_mov_b32_e32 v42, v3
	v_mov_b32_e32 v43, s87
	s_waitcnt lgkmcnt(1)
	v_add_u32_e32 v41, v4, v78
	v_lshlrev_b64 v[41:42], 3, v[41:42]
	v_add_co_u32_e32 v41, vcc, s86, v41
	v_addc_co_u32_e32 v42, vcc, v43, v42, vcc
	s_waitcnt lgkmcnt(0)
	global_store_dwordx2 v[41:42], v[39:40], off
	s_or_b64 exec, exec, s[42:43]
	s_and_saveexec_b64 s[42:43], s[50:51]
	s_cbranch_execz .LBB812_1115
.LBB812_1179:                           ;   in Loop: Header=BB812_980 Depth=2
	v_lshlrev_b32_e32 v4, 2, v148
	ds_read_b32 v4, v4
	ds_read_b64 v[39:40], v106 offset:8704
	v_mov_b32_e32 v42, v3
	v_mov_b32_e32 v43, s87
	s_waitcnt lgkmcnt(1)
	v_add_u32_e32 v41, v4, v79
	v_lshlrev_b64 v[41:42], 3, v[41:42]
	v_add_co_u32_e32 v41, vcc, s86, v41
	v_addc_co_u32_e32 v42, vcc, v43, v42, vcc
	s_waitcnt lgkmcnt(0)
	global_store_dwordx2 v[41:42], v[39:40], off
	s_or_b64 exec, exec, s[42:43]
	s_and_saveexec_b64 s[42:43], s[52:53]
	s_cbranch_execz .LBB812_1116
.LBB812_1180:                           ;   in Loop: Header=BB812_980 Depth=2
	v_lshlrev_b32_e32 v4, 2, v147
	ds_read_b32 v4, v4
	ds_read_b64 v[39:40], v106 offset:10752
	v_mov_b32_e32 v42, v3
	v_mov_b32_e32 v43, s87
	s_waitcnt lgkmcnt(1)
	v_add_u32_e32 v41, v4, v80
	v_lshlrev_b64 v[41:42], 3, v[41:42]
	v_add_co_u32_e32 v41, vcc, s86, v41
	v_addc_co_u32_e32 v42, vcc, v43, v42, vcc
	s_waitcnt lgkmcnt(0)
	global_store_dwordx2 v[41:42], v[39:40], off
	s_or_b64 exec, exec, s[42:43]
	s_and_saveexec_b64 s[42:43], s[54:55]
	s_cbranch_execz .LBB812_1117
.LBB812_1181:                           ;   in Loop: Header=BB812_980 Depth=2
	v_lshlrev_b32_e32 v4, 2, v146
	ds_read_b32 v4, v4
	ds_read_b64 v[39:40], v106 offset:12800
	v_mov_b32_e32 v42, v3
	v_mov_b32_e32 v43, s87
	s_waitcnt lgkmcnt(1)
	v_add_u32_e32 v41, v4, v81
	v_lshlrev_b64 v[41:42], 3, v[41:42]
	v_add_co_u32_e32 v41, vcc, s86, v41
	v_addc_co_u32_e32 v42, vcc, v43, v42, vcc
	s_waitcnt lgkmcnt(0)
	global_store_dwordx2 v[41:42], v[39:40], off
	s_or_b64 exec, exec, s[42:43]
	s_and_saveexec_b64 s[42:43], s[56:57]
	s_cbranch_execz .LBB812_1118
.LBB812_1182:                           ;   in Loop: Header=BB812_980 Depth=2
	v_lshlrev_b32_e32 v4, 2, v145
	ds_read_b32 v4, v4
	ds_read_b64 v[39:40], v106 offset:14848
	v_mov_b32_e32 v42, v3
	v_mov_b32_e32 v43, s87
	s_waitcnt lgkmcnt(1)
	v_add_u32_e32 v41, v4, v82
	v_lshlrev_b64 v[41:42], 3, v[41:42]
	v_add_co_u32_e32 v41, vcc, s86, v41
	v_addc_co_u32_e32 v42, vcc, v43, v42, vcc
	s_waitcnt lgkmcnt(0)
	global_store_dwordx2 v[41:42], v[39:40], off
	s_or_b64 exec, exec, s[42:43]
	s_and_saveexec_b64 s[42:43], s[58:59]
	s_cbranch_execz .LBB812_1119
.LBB812_1183:                           ;   in Loop: Header=BB812_980 Depth=2
	v_lshlrev_b32_e32 v4, 2, v144
	ds_read_b32 v4, v4
	ds_read_b64 v[39:40], v106 offset:16896
	v_mov_b32_e32 v42, v3
	v_mov_b32_e32 v43, s87
	s_waitcnt lgkmcnt(1)
	v_add_u32_e32 v41, v4, v83
	v_lshlrev_b64 v[41:42], 3, v[41:42]
	v_add_co_u32_e32 v41, vcc, s86, v41
	v_addc_co_u32_e32 v42, vcc, v43, v42, vcc
	s_waitcnt lgkmcnt(0)
	global_store_dwordx2 v[41:42], v[39:40], off
	s_or_b64 exec, exec, s[42:43]
	s_and_saveexec_b64 s[42:43], s[60:61]
	s_cbranch_execz .LBB812_1120
.LBB812_1184:                           ;   in Loop: Header=BB812_980 Depth=2
	v_lshlrev_b32_e32 v4, 2, v143
	ds_read_b32 v4, v4
	ds_read_b64 v[39:40], v106 offset:18944
	v_mov_b32_e32 v42, v3
	v_mov_b32_e32 v43, s87
	s_waitcnt lgkmcnt(1)
	v_add_u32_e32 v41, v4, v84
	v_lshlrev_b64 v[41:42], 3, v[41:42]
	v_add_co_u32_e32 v41, vcc, s86, v41
	v_addc_co_u32_e32 v42, vcc, v43, v42, vcc
	s_waitcnt lgkmcnt(0)
	global_store_dwordx2 v[41:42], v[39:40], off
	s_or_b64 exec, exec, s[42:43]
	s_and_saveexec_b64 s[42:43], s[62:63]
	s_cbranch_execz .LBB812_1121
.LBB812_1185:                           ;   in Loop: Header=BB812_980 Depth=2
	v_lshlrev_b32_e32 v4, 2, v142
	ds_read_b32 v4, v4
	ds_read_b64 v[39:40], v106 offset:20992
	v_mov_b32_e32 v42, v3
	v_mov_b32_e32 v43, s87
	s_waitcnt lgkmcnt(1)
	v_add_u32_e32 v41, v4, v85
	v_lshlrev_b64 v[41:42], 3, v[41:42]
	v_add_co_u32_e32 v41, vcc, s86, v41
	v_addc_co_u32_e32 v42, vcc, v43, v42, vcc
	s_waitcnt lgkmcnt(0)
	global_store_dwordx2 v[41:42], v[39:40], off
	s_or_b64 exec, exec, s[42:43]
	s_and_saveexec_b64 s[42:43], s[64:65]
	s_cbranch_execz .LBB812_1122
.LBB812_1186:                           ;   in Loop: Header=BB812_980 Depth=2
	v_lshlrev_b32_e32 v4, 2, v141
	ds_read_b32 v4, v4
	ds_read_b64 v[39:40], v106 offset:23040
	v_mov_b32_e32 v42, v3
	v_mov_b32_e32 v43, s87
	s_waitcnt lgkmcnt(1)
	v_add_u32_e32 v41, v4, v86
	v_lshlrev_b64 v[41:42], 3, v[41:42]
	v_add_co_u32_e32 v41, vcc, s86, v41
	v_addc_co_u32_e32 v42, vcc, v43, v42, vcc
	s_waitcnt lgkmcnt(0)
	global_store_dwordx2 v[41:42], v[39:40], off
	s_or_b64 exec, exec, s[42:43]
	s_and_saveexec_b64 s[42:43], s[66:67]
	s_cbranch_execz .LBB812_1123
.LBB812_1187:                           ;   in Loop: Header=BB812_980 Depth=2
	v_lshlrev_b32_e32 v4, 2, v140
	ds_read_b32 v4, v4
	ds_read_b64 v[39:40], v106 offset:25088
	v_mov_b32_e32 v42, v3
	v_mov_b32_e32 v43, s87
	s_waitcnt lgkmcnt(1)
	v_add_u32_e32 v41, v4, v87
	v_lshlrev_b64 v[41:42], 3, v[41:42]
	v_add_co_u32_e32 v41, vcc, s86, v41
	v_addc_co_u32_e32 v42, vcc, v43, v42, vcc
	s_waitcnt lgkmcnt(0)
	global_store_dwordx2 v[41:42], v[39:40], off
	s_or_b64 exec, exec, s[42:43]
	s_and_saveexec_b64 s[42:43], s[68:69]
	s_cbranch_execz .LBB812_1124
.LBB812_1188:                           ;   in Loop: Header=BB812_980 Depth=2
	v_lshlrev_b32_e32 v4, 2, v139
	ds_read_b32 v4, v4
	ds_read_b64 v[39:40], v106 offset:27136
	v_mov_b32_e32 v42, v3
	v_mov_b32_e32 v43, s87
	s_waitcnt lgkmcnt(1)
	v_add_u32_e32 v41, v4, v88
	v_lshlrev_b64 v[41:42], 3, v[41:42]
	v_add_co_u32_e32 v41, vcc, s86, v41
	v_addc_co_u32_e32 v42, vcc, v43, v42, vcc
	s_waitcnt lgkmcnt(0)
	global_store_dwordx2 v[41:42], v[39:40], off
	s_or_b64 exec, exec, s[42:43]
	s_and_saveexec_b64 s[42:43], s[70:71]
	s_cbranch_execz .LBB812_1125
.LBB812_1189:                           ;   in Loop: Header=BB812_980 Depth=2
	v_lshlrev_b32_e32 v4, 2, v138
	ds_read_b32 v4, v4
	ds_read_b64 v[39:40], v106 offset:29184
	v_mov_b32_e32 v42, v3
	v_mov_b32_e32 v43, s87
	s_waitcnt lgkmcnt(1)
	v_add_u32_e32 v41, v4, v89
	v_lshlrev_b64 v[41:42], 3, v[41:42]
	v_add_co_u32_e32 v41, vcc, s86, v41
	v_addc_co_u32_e32 v42, vcc, v43, v42, vcc
	s_waitcnt lgkmcnt(0)
	global_store_dwordx2 v[41:42], v[39:40], off
	s_or_b64 exec, exec, s[42:43]
	s_and_saveexec_b64 s[42:43], s[72:73]
	s_cbranch_execnz .LBB812_1126
	s_branch .LBB812_1127
.LBB812_1190:
	s_endpgm
	.section	.rodata,"a",@progbits
	.p2align	6, 0x0
	.amdhsa_kernel _ZN7rocprim17ROCPRIM_400000_NS6detail17trampoline_kernelINS0_14default_configENS1_36segmented_radix_sort_config_selectorIllEEZNS1_25segmented_radix_sort_implIS3_Lb0EPKlPlS8_S9_N2at6native12_GLOBAL__N_18offset_tEEE10hipError_tPvRmT1_PNSt15iterator_traitsISH_E10value_typeET2_T3_PNSI_ISN_E10value_typeET4_jRbjT5_ST_jjP12ihipStream_tbEUlT_E_NS1_11comp_targetILNS1_3genE2ELNS1_11target_archE906ELNS1_3gpuE6ELNS1_3repE0EEENS1_30default_config_static_selectorELNS0_4arch9wavefront6targetE1EEEvSH_
		.amdhsa_group_segment_fixed_size 33288
		.amdhsa_private_segment_fixed_size 160
		.amdhsa_kernarg_size 352
		.amdhsa_user_sgpr_count 6
		.amdhsa_user_sgpr_private_segment_buffer 1
		.amdhsa_user_sgpr_dispatch_ptr 0
		.amdhsa_user_sgpr_queue_ptr 0
		.amdhsa_user_sgpr_kernarg_segment_ptr 1
		.amdhsa_user_sgpr_dispatch_id 0
		.amdhsa_user_sgpr_flat_scratch_init 0
		.amdhsa_user_sgpr_private_segment_size 0
		.amdhsa_uses_dynamic_stack 0
		.amdhsa_system_sgpr_private_segment_wavefront_offset 1
		.amdhsa_system_sgpr_workgroup_id_x 1
		.amdhsa_system_sgpr_workgroup_id_y 1
		.amdhsa_system_sgpr_workgroup_id_z 0
		.amdhsa_system_sgpr_workgroup_info 0
		.amdhsa_system_vgpr_workitem_id 2
		.amdhsa_next_free_vgpr 248
		.amdhsa_next_free_sgpr 100
		.amdhsa_reserve_vcc 1
		.amdhsa_reserve_flat_scratch 0
		.amdhsa_float_round_mode_32 0
		.amdhsa_float_round_mode_16_64 0
		.amdhsa_float_denorm_mode_32 3
		.amdhsa_float_denorm_mode_16_64 3
		.amdhsa_dx10_clamp 1
		.amdhsa_ieee_mode 1
		.amdhsa_fp16_overflow 0
		.amdhsa_exception_fp_ieee_invalid_op 0
		.amdhsa_exception_fp_denorm_src 0
		.amdhsa_exception_fp_ieee_div_zero 0
		.amdhsa_exception_fp_ieee_overflow 0
		.amdhsa_exception_fp_ieee_underflow 0
		.amdhsa_exception_fp_ieee_inexact 0
		.amdhsa_exception_int_div_zero 0
	.end_amdhsa_kernel
	.section	.text._ZN7rocprim17ROCPRIM_400000_NS6detail17trampoline_kernelINS0_14default_configENS1_36segmented_radix_sort_config_selectorIllEEZNS1_25segmented_radix_sort_implIS3_Lb0EPKlPlS8_S9_N2at6native12_GLOBAL__N_18offset_tEEE10hipError_tPvRmT1_PNSt15iterator_traitsISH_E10value_typeET2_T3_PNSI_ISN_E10value_typeET4_jRbjT5_ST_jjP12ihipStream_tbEUlT_E_NS1_11comp_targetILNS1_3genE2ELNS1_11target_archE906ELNS1_3gpuE6ELNS1_3repE0EEENS1_30default_config_static_selectorELNS0_4arch9wavefront6targetE1EEEvSH_,"axG",@progbits,_ZN7rocprim17ROCPRIM_400000_NS6detail17trampoline_kernelINS0_14default_configENS1_36segmented_radix_sort_config_selectorIllEEZNS1_25segmented_radix_sort_implIS3_Lb0EPKlPlS8_S9_N2at6native12_GLOBAL__N_18offset_tEEE10hipError_tPvRmT1_PNSt15iterator_traitsISH_E10value_typeET2_T3_PNSI_ISN_E10value_typeET4_jRbjT5_ST_jjP12ihipStream_tbEUlT_E_NS1_11comp_targetILNS1_3genE2ELNS1_11target_archE906ELNS1_3gpuE6ELNS1_3repE0EEENS1_30default_config_static_selectorELNS0_4arch9wavefront6targetE1EEEvSH_,comdat
.Lfunc_end812:
	.size	_ZN7rocprim17ROCPRIM_400000_NS6detail17trampoline_kernelINS0_14default_configENS1_36segmented_radix_sort_config_selectorIllEEZNS1_25segmented_radix_sort_implIS3_Lb0EPKlPlS8_S9_N2at6native12_GLOBAL__N_18offset_tEEE10hipError_tPvRmT1_PNSt15iterator_traitsISH_E10value_typeET2_T3_PNSI_ISN_E10value_typeET4_jRbjT5_ST_jjP12ihipStream_tbEUlT_E_NS1_11comp_targetILNS1_3genE2ELNS1_11target_archE906ELNS1_3gpuE6ELNS1_3repE0EEENS1_30default_config_static_selectorELNS0_4arch9wavefront6targetE1EEEvSH_, .Lfunc_end812-_ZN7rocprim17ROCPRIM_400000_NS6detail17trampoline_kernelINS0_14default_configENS1_36segmented_radix_sort_config_selectorIllEEZNS1_25segmented_radix_sort_implIS3_Lb0EPKlPlS8_S9_N2at6native12_GLOBAL__N_18offset_tEEE10hipError_tPvRmT1_PNSt15iterator_traitsISH_E10value_typeET2_T3_PNSI_ISN_E10value_typeET4_jRbjT5_ST_jjP12ihipStream_tbEUlT_E_NS1_11comp_targetILNS1_3genE2ELNS1_11target_archE906ELNS1_3gpuE6ELNS1_3repE0EEENS1_30default_config_static_selectorELNS0_4arch9wavefront6targetE1EEEvSH_
                                        ; -- End function
	.set _ZN7rocprim17ROCPRIM_400000_NS6detail17trampoline_kernelINS0_14default_configENS1_36segmented_radix_sort_config_selectorIllEEZNS1_25segmented_radix_sort_implIS3_Lb0EPKlPlS8_S9_N2at6native12_GLOBAL__N_18offset_tEEE10hipError_tPvRmT1_PNSt15iterator_traitsISH_E10value_typeET2_T3_PNSI_ISN_E10value_typeET4_jRbjT5_ST_jjP12ihipStream_tbEUlT_E_NS1_11comp_targetILNS1_3genE2ELNS1_11target_archE906ELNS1_3gpuE6ELNS1_3repE0EEENS1_30default_config_static_selectorELNS0_4arch9wavefront6targetE1EEEvSH_.num_vgpr, max(233, .L_ZN7rocprim17ROCPRIM_400000_NS6detail40segmented_radix_sort_single_block_helperIllLj256ELj16ELb0EE4sortIPKlPlS6_S7_EEbT_T0_T1_T2_jjjjRNS3_12storage_typeE.num_vgpr)
	.set _ZN7rocprim17ROCPRIM_400000_NS6detail17trampoline_kernelINS0_14default_configENS1_36segmented_radix_sort_config_selectorIllEEZNS1_25segmented_radix_sort_implIS3_Lb0EPKlPlS8_S9_N2at6native12_GLOBAL__N_18offset_tEEE10hipError_tPvRmT1_PNSt15iterator_traitsISH_E10value_typeET2_T3_PNSI_ISN_E10value_typeET4_jRbjT5_ST_jjP12ihipStream_tbEUlT_E_NS1_11comp_targetILNS1_3genE2ELNS1_11target_archE906ELNS1_3gpuE6ELNS1_3repE0EEENS1_30default_config_static_selectorELNS0_4arch9wavefront6targetE1EEEvSH_.num_agpr, max(0, .L_ZN7rocprim17ROCPRIM_400000_NS6detail40segmented_radix_sort_single_block_helperIllLj256ELj16ELb0EE4sortIPKlPlS6_S7_EEbT_T0_T1_T2_jjjjRNS3_12storage_typeE.num_agpr)
	.set _ZN7rocprim17ROCPRIM_400000_NS6detail17trampoline_kernelINS0_14default_configENS1_36segmented_radix_sort_config_selectorIllEEZNS1_25segmented_radix_sort_implIS3_Lb0EPKlPlS8_S9_N2at6native12_GLOBAL__N_18offset_tEEE10hipError_tPvRmT1_PNSt15iterator_traitsISH_E10value_typeET2_T3_PNSI_ISN_E10value_typeET4_jRbjT5_ST_jjP12ihipStream_tbEUlT_E_NS1_11comp_targetILNS1_3genE2ELNS1_11target_archE906ELNS1_3gpuE6ELNS1_3repE0EEENS1_30default_config_static_selectorELNS0_4arch9wavefront6targetE1EEEvSH_.numbered_sgpr, max(100, .L_ZN7rocprim17ROCPRIM_400000_NS6detail40segmented_radix_sort_single_block_helperIllLj256ELj16ELb0EE4sortIPKlPlS6_S7_EEbT_T0_T1_T2_jjjjRNS3_12storage_typeE.numbered_sgpr)
	.set _ZN7rocprim17ROCPRIM_400000_NS6detail17trampoline_kernelINS0_14default_configENS1_36segmented_radix_sort_config_selectorIllEEZNS1_25segmented_radix_sort_implIS3_Lb0EPKlPlS8_S9_N2at6native12_GLOBAL__N_18offset_tEEE10hipError_tPvRmT1_PNSt15iterator_traitsISH_E10value_typeET2_T3_PNSI_ISN_E10value_typeET4_jRbjT5_ST_jjP12ihipStream_tbEUlT_E_NS1_11comp_targetILNS1_3genE2ELNS1_11target_archE906ELNS1_3gpuE6ELNS1_3repE0EEENS1_30default_config_static_selectorELNS0_4arch9wavefront6targetE1EEEvSH_.num_named_barrier, max(0, .L_ZN7rocprim17ROCPRIM_400000_NS6detail40segmented_radix_sort_single_block_helperIllLj256ELj16ELb0EE4sortIPKlPlS6_S7_EEbT_T0_T1_T2_jjjjRNS3_12storage_typeE.num_named_barrier)
	.set _ZN7rocprim17ROCPRIM_400000_NS6detail17trampoline_kernelINS0_14default_configENS1_36segmented_radix_sort_config_selectorIllEEZNS1_25segmented_radix_sort_implIS3_Lb0EPKlPlS8_S9_N2at6native12_GLOBAL__N_18offset_tEEE10hipError_tPvRmT1_PNSt15iterator_traitsISH_E10value_typeET2_T3_PNSI_ISN_E10value_typeET4_jRbjT5_ST_jjP12ihipStream_tbEUlT_E_NS1_11comp_targetILNS1_3genE2ELNS1_11target_archE906ELNS1_3gpuE6ELNS1_3repE0EEENS1_30default_config_static_selectorELNS0_4arch9wavefront6targetE1EEEvSH_.private_seg_size, 0+max(.L_ZN7rocprim17ROCPRIM_400000_NS6detail40segmented_radix_sort_single_block_helperIllLj256ELj16ELb0EE4sortIPKlPlS6_S7_EEbT_T0_T1_T2_jjjjRNS3_12storage_typeE.private_seg_size)
	.set _ZN7rocprim17ROCPRIM_400000_NS6detail17trampoline_kernelINS0_14default_configENS1_36segmented_radix_sort_config_selectorIllEEZNS1_25segmented_radix_sort_implIS3_Lb0EPKlPlS8_S9_N2at6native12_GLOBAL__N_18offset_tEEE10hipError_tPvRmT1_PNSt15iterator_traitsISH_E10value_typeET2_T3_PNSI_ISN_E10value_typeET4_jRbjT5_ST_jjP12ihipStream_tbEUlT_E_NS1_11comp_targetILNS1_3genE2ELNS1_11target_archE906ELNS1_3gpuE6ELNS1_3repE0EEENS1_30default_config_static_selectorELNS0_4arch9wavefront6targetE1EEEvSH_.uses_vcc, or(1, .L_ZN7rocprim17ROCPRIM_400000_NS6detail40segmented_radix_sort_single_block_helperIllLj256ELj16ELb0EE4sortIPKlPlS6_S7_EEbT_T0_T1_T2_jjjjRNS3_12storage_typeE.uses_vcc)
	.set _ZN7rocprim17ROCPRIM_400000_NS6detail17trampoline_kernelINS0_14default_configENS1_36segmented_radix_sort_config_selectorIllEEZNS1_25segmented_radix_sort_implIS3_Lb0EPKlPlS8_S9_N2at6native12_GLOBAL__N_18offset_tEEE10hipError_tPvRmT1_PNSt15iterator_traitsISH_E10value_typeET2_T3_PNSI_ISN_E10value_typeET4_jRbjT5_ST_jjP12ihipStream_tbEUlT_E_NS1_11comp_targetILNS1_3genE2ELNS1_11target_archE906ELNS1_3gpuE6ELNS1_3repE0EEENS1_30default_config_static_selectorELNS0_4arch9wavefront6targetE1EEEvSH_.uses_flat_scratch, or(0, .L_ZN7rocprim17ROCPRIM_400000_NS6detail40segmented_radix_sort_single_block_helperIllLj256ELj16ELb0EE4sortIPKlPlS6_S7_EEbT_T0_T1_T2_jjjjRNS3_12storage_typeE.uses_flat_scratch)
	.set _ZN7rocprim17ROCPRIM_400000_NS6detail17trampoline_kernelINS0_14default_configENS1_36segmented_radix_sort_config_selectorIllEEZNS1_25segmented_radix_sort_implIS3_Lb0EPKlPlS8_S9_N2at6native12_GLOBAL__N_18offset_tEEE10hipError_tPvRmT1_PNSt15iterator_traitsISH_E10value_typeET2_T3_PNSI_ISN_E10value_typeET4_jRbjT5_ST_jjP12ihipStream_tbEUlT_E_NS1_11comp_targetILNS1_3genE2ELNS1_11target_archE906ELNS1_3gpuE6ELNS1_3repE0EEENS1_30default_config_static_selectorELNS0_4arch9wavefront6targetE1EEEvSH_.has_dyn_sized_stack, or(0, .L_ZN7rocprim17ROCPRIM_400000_NS6detail40segmented_radix_sort_single_block_helperIllLj256ELj16ELb0EE4sortIPKlPlS6_S7_EEbT_T0_T1_T2_jjjjRNS3_12storage_typeE.has_dyn_sized_stack)
	.set _ZN7rocprim17ROCPRIM_400000_NS6detail17trampoline_kernelINS0_14default_configENS1_36segmented_radix_sort_config_selectorIllEEZNS1_25segmented_radix_sort_implIS3_Lb0EPKlPlS8_S9_N2at6native12_GLOBAL__N_18offset_tEEE10hipError_tPvRmT1_PNSt15iterator_traitsISH_E10value_typeET2_T3_PNSI_ISN_E10value_typeET4_jRbjT5_ST_jjP12ihipStream_tbEUlT_E_NS1_11comp_targetILNS1_3genE2ELNS1_11target_archE906ELNS1_3gpuE6ELNS1_3repE0EEENS1_30default_config_static_selectorELNS0_4arch9wavefront6targetE1EEEvSH_.has_recursion, or(0, .L_ZN7rocprim17ROCPRIM_400000_NS6detail40segmented_radix_sort_single_block_helperIllLj256ELj16ELb0EE4sortIPKlPlS6_S7_EEbT_T0_T1_T2_jjjjRNS3_12storage_typeE.has_recursion)
	.set _ZN7rocprim17ROCPRIM_400000_NS6detail17trampoline_kernelINS0_14default_configENS1_36segmented_radix_sort_config_selectorIllEEZNS1_25segmented_radix_sort_implIS3_Lb0EPKlPlS8_S9_N2at6native12_GLOBAL__N_18offset_tEEE10hipError_tPvRmT1_PNSt15iterator_traitsISH_E10value_typeET2_T3_PNSI_ISN_E10value_typeET4_jRbjT5_ST_jjP12ihipStream_tbEUlT_E_NS1_11comp_targetILNS1_3genE2ELNS1_11target_archE906ELNS1_3gpuE6ELNS1_3repE0EEENS1_30default_config_static_selectorELNS0_4arch9wavefront6targetE1EEEvSH_.has_indirect_call, or(0, .L_ZN7rocprim17ROCPRIM_400000_NS6detail40segmented_radix_sort_single_block_helperIllLj256ELj16ELb0EE4sortIPKlPlS6_S7_EEbT_T0_T1_T2_jjjjRNS3_12storage_typeE.has_indirect_call)
	.section	.AMDGPU.csdata,"",@progbits
; Kernel info:
; codeLenInByte = 64112
; TotalNumSgprs: 104
; NumVgprs: 248
; ScratchSize: 160
; MemoryBound: 0
; FloatMode: 240
; IeeeMode: 1
; LDSByteSize: 33288 bytes/workgroup (compile time only)
; SGPRBlocks: 12
; VGPRBlocks: 61
; NumSGPRsForWavesPerEU: 104
; NumVGPRsForWavesPerEU: 248
; Occupancy: 1
; WaveLimiterHint : 1
; COMPUTE_PGM_RSRC2:SCRATCH_EN: 1
; COMPUTE_PGM_RSRC2:USER_SGPR: 6
; COMPUTE_PGM_RSRC2:TRAP_HANDLER: 0
; COMPUTE_PGM_RSRC2:TGID_X_EN: 1
; COMPUTE_PGM_RSRC2:TGID_Y_EN: 1
; COMPUTE_PGM_RSRC2:TGID_Z_EN: 0
; COMPUTE_PGM_RSRC2:TIDIG_COMP_CNT: 2
	.section	.text._ZN7rocprim17ROCPRIM_400000_NS6detail17trampoline_kernelINS0_14default_configENS1_36segmented_radix_sort_config_selectorIllEEZNS1_25segmented_radix_sort_implIS3_Lb0EPKlPlS8_S9_N2at6native12_GLOBAL__N_18offset_tEEE10hipError_tPvRmT1_PNSt15iterator_traitsISH_E10value_typeET2_T3_PNSI_ISN_E10value_typeET4_jRbjT5_ST_jjP12ihipStream_tbEUlT_E_NS1_11comp_targetILNS1_3genE10ELNS1_11target_archE1201ELNS1_3gpuE5ELNS1_3repE0EEENS1_30default_config_static_selectorELNS0_4arch9wavefront6targetE1EEEvSH_,"axG",@progbits,_ZN7rocprim17ROCPRIM_400000_NS6detail17trampoline_kernelINS0_14default_configENS1_36segmented_radix_sort_config_selectorIllEEZNS1_25segmented_radix_sort_implIS3_Lb0EPKlPlS8_S9_N2at6native12_GLOBAL__N_18offset_tEEE10hipError_tPvRmT1_PNSt15iterator_traitsISH_E10value_typeET2_T3_PNSI_ISN_E10value_typeET4_jRbjT5_ST_jjP12ihipStream_tbEUlT_E_NS1_11comp_targetILNS1_3genE10ELNS1_11target_archE1201ELNS1_3gpuE5ELNS1_3repE0EEENS1_30default_config_static_selectorELNS0_4arch9wavefront6targetE1EEEvSH_,comdat
	.globl	_ZN7rocprim17ROCPRIM_400000_NS6detail17trampoline_kernelINS0_14default_configENS1_36segmented_radix_sort_config_selectorIllEEZNS1_25segmented_radix_sort_implIS3_Lb0EPKlPlS8_S9_N2at6native12_GLOBAL__N_18offset_tEEE10hipError_tPvRmT1_PNSt15iterator_traitsISH_E10value_typeET2_T3_PNSI_ISN_E10value_typeET4_jRbjT5_ST_jjP12ihipStream_tbEUlT_E_NS1_11comp_targetILNS1_3genE10ELNS1_11target_archE1201ELNS1_3gpuE5ELNS1_3repE0EEENS1_30default_config_static_selectorELNS0_4arch9wavefront6targetE1EEEvSH_ ; -- Begin function _ZN7rocprim17ROCPRIM_400000_NS6detail17trampoline_kernelINS0_14default_configENS1_36segmented_radix_sort_config_selectorIllEEZNS1_25segmented_radix_sort_implIS3_Lb0EPKlPlS8_S9_N2at6native12_GLOBAL__N_18offset_tEEE10hipError_tPvRmT1_PNSt15iterator_traitsISH_E10value_typeET2_T3_PNSI_ISN_E10value_typeET4_jRbjT5_ST_jjP12ihipStream_tbEUlT_E_NS1_11comp_targetILNS1_3genE10ELNS1_11target_archE1201ELNS1_3gpuE5ELNS1_3repE0EEENS1_30default_config_static_selectorELNS0_4arch9wavefront6targetE1EEEvSH_
	.p2align	8
	.type	_ZN7rocprim17ROCPRIM_400000_NS6detail17trampoline_kernelINS0_14default_configENS1_36segmented_radix_sort_config_selectorIllEEZNS1_25segmented_radix_sort_implIS3_Lb0EPKlPlS8_S9_N2at6native12_GLOBAL__N_18offset_tEEE10hipError_tPvRmT1_PNSt15iterator_traitsISH_E10value_typeET2_T3_PNSI_ISN_E10value_typeET4_jRbjT5_ST_jjP12ihipStream_tbEUlT_E_NS1_11comp_targetILNS1_3genE10ELNS1_11target_archE1201ELNS1_3gpuE5ELNS1_3repE0EEENS1_30default_config_static_selectorELNS0_4arch9wavefront6targetE1EEEvSH_,@function
_ZN7rocprim17ROCPRIM_400000_NS6detail17trampoline_kernelINS0_14default_configENS1_36segmented_radix_sort_config_selectorIllEEZNS1_25segmented_radix_sort_implIS3_Lb0EPKlPlS8_S9_N2at6native12_GLOBAL__N_18offset_tEEE10hipError_tPvRmT1_PNSt15iterator_traitsISH_E10value_typeET2_T3_PNSI_ISN_E10value_typeET4_jRbjT5_ST_jjP12ihipStream_tbEUlT_E_NS1_11comp_targetILNS1_3genE10ELNS1_11target_archE1201ELNS1_3gpuE5ELNS1_3repE0EEENS1_30default_config_static_selectorELNS0_4arch9wavefront6targetE1EEEvSH_: ; @_ZN7rocprim17ROCPRIM_400000_NS6detail17trampoline_kernelINS0_14default_configENS1_36segmented_radix_sort_config_selectorIllEEZNS1_25segmented_radix_sort_implIS3_Lb0EPKlPlS8_S9_N2at6native12_GLOBAL__N_18offset_tEEE10hipError_tPvRmT1_PNSt15iterator_traitsISH_E10value_typeET2_T3_PNSI_ISN_E10value_typeET4_jRbjT5_ST_jjP12ihipStream_tbEUlT_E_NS1_11comp_targetILNS1_3genE10ELNS1_11target_archE1201ELNS1_3gpuE5ELNS1_3repE0EEENS1_30default_config_static_selectorELNS0_4arch9wavefront6targetE1EEEvSH_
; %bb.0:
	.section	.rodata,"a",@progbits
	.p2align	6, 0x0
	.amdhsa_kernel _ZN7rocprim17ROCPRIM_400000_NS6detail17trampoline_kernelINS0_14default_configENS1_36segmented_radix_sort_config_selectorIllEEZNS1_25segmented_radix_sort_implIS3_Lb0EPKlPlS8_S9_N2at6native12_GLOBAL__N_18offset_tEEE10hipError_tPvRmT1_PNSt15iterator_traitsISH_E10value_typeET2_T3_PNSI_ISN_E10value_typeET4_jRbjT5_ST_jjP12ihipStream_tbEUlT_E_NS1_11comp_targetILNS1_3genE10ELNS1_11target_archE1201ELNS1_3gpuE5ELNS1_3repE0EEENS1_30default_config_static_selectorELNS0_4arch9wavefront6targetE1EEEvSH_
		.amdhsa_group_segment_fixed_size 0
		.amdhsa_private_segment_fixed_size 0
		.amdhsa_kernarg_size 96
		.amdhsa_user_sgpr_count 6
		.amdhsa_user_sgpr_private_segment_buffer 1
		.amdhsa_user_sgpr_dispatch_ptr 0
		.amdhsa_user_sgpr_queue_ptr 0
		.amdhsa_user_sgpr_kernarg_segment_ptr 1
		.amdhsa_user_sgpr_dispatch_id 0
		.amdhsa_user_sgpr_flat_scratch_init 0
		.amdhsa_user_sgpr_private_segment_size 0
		.amdhsa_uses_dynamic_stack 0
		.amdhsa_system_sgpr_private_segment_wavefront_offset 0
		.amdhsa_system_sgpr_workgroup_id_x 1
		.amdhsa_system_sgpr_workgroup_id_y 0
		.amdhsa_system_sgpr_workgroup_id_z 0
		.amdhsa_system_sgpr_workgroup_info 0
		.amdhsa_system_vgpr_workitem_id 0
		.amdhsa_next_free_vgpr 1
		.amdhsa_next_free_sgpr 0
		.amdhsa_reserve_vcc 0
		.amdhsa_reserve_flat_scratch 0
		.amdhsa_float_round_mode_32 0
		.amdhsa_float_round_mode_16_64 0
		.amdhsa_float_denorm_mode_32 3
		.amdhsa_float_denorm_mode_16_64 3
		.amdhsa_dx10_clamp 1
		.amdhsa_ieee_mode 1
		.amdhsa_fp16_overflow 0
		.amdhsa_exception_fp_ieee_invalid_op 0
		.amdhsa_exception_fp_denorm_src 0
		.amdhsa_exception_fp_ieee_div_zero 0
		.amdhsa_exception_fp_ieee_overflow 0
		.amdhsa_exception_fp_ieee_underflow 0
		.amdhsa_exception_fp_ieee_inexact 0
		.amdhsa_exception_int_div_zero 0
	.end_amdhsa_kernel
	.section	.text._ZN7rocprim17ROCPRIM_400000_NS6detail17trampoline_kernelINS0_14default_configENS1_36segmented_radix_sort_config_selectorIllEEZNS1_25segmented_radix_sort_implIS3_Lb0EPKlPlS8_S9_N2at6native12_GLOBAL__N_18offset_tEEE10hipError_tPvRmT1_PNSt15iterator_traitsISH_E10value_typeET2_T3_PNSI_ISN_E10value_typeET4_jRbjT5_ST_jjP12ihipStream_tbEUlT_E_NS1_11comp_targetILNS1_3genE10ELNS1_11target_archE1201ELNS1_3gpuE5ELNS1_3repE0EEENS1_30default_config_static_selectorELNS0_4arch9wavefront6targetE1EEEvSH_,"axG",@progbits,_ZN7rocprim17ROCPRIM_400000_NS6detail17trampoline_kernelINS0_14default_configENS1_36segmented_radix_sort_config_selectorIllEEZNS1_25segmented_radix_sort_implIS3_Lb0EPKlPlS8_S9_N2at6native12_GLOBAL__N_18offset_tEEE10hipError_tPvRmT1_PNSt15iterator_traitsISH_E10value_typeET2_T3_PNSI_ISN_E10value_typeET4_jRbjT5_ST_jjP12ihipStream_tbEUlT_E_NS1_11comp_targetILNS1_3genE10ELNS1_11target_archE1201ELNS1_3gpuE5ELNS1_3repE0EEENS1_30default_config_static_selectorELNS0_4arch9wavefront6targetE1EEEvSH_,comdat
.Lfunc_end813:
	.size	_ZN7rocprim17ROCPRIM_400000_NS6detail17trampoline_kernelINS0_14default_configENS1_36segmented_radix_sort_config_selectorIllEEZNS1_25segmented_radix_sort_implIS3_Lb0EPKlPlS8_S9_N2at6native12_GLOBAL__N_18offset_tEEE10hipError_tPvRmT1_PNSt15iterator_traitsISH_E10value_typeET2_T3_PNSI_ISN_E10value_typeET4_jRbjT5_ST_jjP12ihipStream_tbEUlT_E_NS1_11comp_targetILNS1_3genE10ELNS1_11target_archE1201ELNS1_3gpuE5ELNS1_3repE0EEENS1_30default_config_static_selectorELNS0_4arch9wavefront6targetE1EEEvSH_, .Lfunc_end813-_ZN7rocprim17ROCPRIM_400000_NS6detail17trampoline_kernelINS0_14default_configENS1_36segmented_radix_sort_config_selectorIllEEZNS1_25segmented_radix_sort_implIS3_Lb0EPKlPlS8_S9_N2at6native12_GLOBAL__N_18offset_tEEE10hipError_tPvRmT1_PNSt15iterator_traitsISH_E10value_typeET2_T3_PNSI_ISN_E10value_typeET4_jRbjT5_ST_jjP12ihipStream_tbEUlT_E_NS1_11comp_targetILNS1_3genE10ELNS1_11target_archE1201ELNS1_3gpuE5ELNS1_3repE0EEENS1_30default_config_static_selectorELNS0_4arch9wavefront6targetE1EEEvSH_
                                        ; -- End function
	.set _ZN7rocprim17ROCPRIM_400000_NS6detail17trampoline_kernelINS0_14default_configENS1_36segmented_radix_sort_config_selectorIllEEZNS1_25segmented_radix_sort_implIS3_Lb0EPKlPlS8_S9_N2at6native12_GLOBAL__N_18offset_tEEE10hipError_tPvRmT1_PNSt15iterator_traitsISH_E10value_typeET2_T3_PNSI_ISN_E10value_typeET4_jRbjT5_ST_jjP12ihipStream_tbEUlT_E_NS1_11comp_targetILNS1_3genE10ELNS1_11target_archE1201ELNS1_3gpuE5ELNS1_3repE0EEENS1_30default_config_static_selectorELNS0_4arch9wavefront6targetE1EEEvSH_.num_vgpr, 0
	.set _ZN7rocprim17ROCPRIM_400000_NS6detail17trampoline_kernelINS0_14default_configENS1_36segmented_radix_sort_config_selectorIllEEZNS1_25segmented_radix_sort_implIS3_Lb0EPKlPlS8_S9_N2at6native12_GLOBAL__N_18offset_tEEE10hipError_tPvRmT1_PNSt15iterator_traitsISH_E10value_typeET2_T3_PNSI_ISN_E10value_typeET4_jRbjT5_ST_jjP12ihipStream_tbEUlT_E_NS1_11comp_targetILNS1_3genE10ELNS1_11target_archE1201ELNS1_3gpuE5ELNS1_3repE0EEENS1_30default_config_static_selectorELNS0_4arch9wavefront6targetE1EEEvSH_.num_agpr, 0
	.set _ZN7rocprim17ROCPRIM_400000_NS6detail17trampoline_kernelINS0_14default_configENS1_36segmented_radix_sort_config_selectorIllEEZNS1_25segmented_radix_sort_implIS3_Lb0EPKlPlS8_S9_N2at6native12_GLOBAL__N_18offset_tEEE10hipError_tPvRmT1_PNSt15iterator_traitsISH_E10value_typeET2_T3_PNSI_ISN_E10value_typeET4_jRbjT5_ST_jjP12ihipStream_tbEUlT_E_NS1_11comp_targetILNS1_3genE10ELNS1_11target_archE1201ELNS1_3gpuE5ELNS1_3repE0EEENS1_30default_config_static_selectorELNS0_4arch9wavefront6targetE1EEEvSH_.numbered_sgpr, 0
	.set _ZN7rocprim17ROCPRIM_400000_NS6detail17trampoline_kernelINS0_14default_configENS1_36segmented_radix_sort_config_selectorIllEEZNS1_25segmented_radix_sort_implIS3_Lb0EPKlPlS8_S9_N2at6native12_GLOBAL__N_18offset_tEEE10hipError_tPvRmT1_PNSt15iterator_traitsISH_E10value_typeET2_T3_PNSI_ISN_E10value_typeET4_jRbjT5_ST_jjP12ihipStream_tbEUlT_E_NS1_11comp_targetILNS1_3genE10ELNS1_11target_archE1201ELNS1_3gpuE5ELNS1_3repE0EEENS1_30default_config_static_selectorELNS0_4arch9wavefront6targetE1EEEvSH_.num_named_barrier, 0
	.set _ZN7rocprim17ROCPRIM_400000_NS6detail17trampoline_kernelINS0_14default_configENS1_36segmented_radix_sort_config_selectorIllEEZNS1_25segmented_radix_sort_implIS3_Lb0EPKlPlS8_S9_N2at6native12_GLOBAL__N_18offset_tEEE10hipError_tPvRmT1_PNSt15iterator_traitsISH_E10value_typeET2_T3_PNSI_ISN_E10value_typeET4_jRbjT5_ST_jjP12ihipStream_tbEUlT_E_NS1_11comp_targetILNS1_3genE10ELNS1_11target_archE1201ELNS1_3gpuE5ELNS1_3repE0EEENS1_30default_config_static_selectorELNS0_4arch9wavefront6targetE1EEEvSH_.private_seg_size, 0
	.set _ZN7rocprim17ROCPRIM_400000_NS6detail17trampoline_kernelINS0_14default_configENS1_36segmented_radix_sort_config_selectorIllEEZNS1_25segmented_radix_sort_implIS3_Lb0EPKlPlS8_S9_N2at6native12_GLOBAL__N_18offset_tEEE10hipError_tPvRmT1_PNSt15iterator_traitsISH_E10value_typeET2_T3_PNSI_ISN_E10value_typeET4_jRbjT5_ST_jjP12ihipStream_tbEUlT_E_NS1_11comp_targetILNS1_3genE10ELNS1_11target_archE1201ELNS1_3gpuE5ELNS1_3repE0EEENS1_30default_config_static_selectorELNS0_4arch9wavefront6targetE1EEEvSH_.uses_vcc, 0
	.set _ZN7rocprim17ROCPRIM_400000_NS6detail17trampoline_kernelINS0_14default_configENS1_36segmented_radix_sort_config_selectorIllEEZNS1_25segmented_radix_sort_implIS3_Lb0EPKlPlS8_S9_N2at6native12_GLOBAL__N_18offset_tEEE10hipError_tPvRmT1_PNSt15iterator_traitsISH_E10value_typeET2_T3_PNSI_ISN_E10value_typeET4_jRbjT5_ST_jjP12ihipStream_tbEUlT_E_NS1_11comp_targetILNS1_3genE10ELNS1_11target_archE1201ELNS1_3gpuE5ELNS1_3repE0EEENS1_30default_config_static_selectorELNS0_4arch9wavefront6targetE1EEEvSH_.uses_flat_scratch, 0
	.set _ZN7rocprim17ROCPRIM_400000_NS6detail17trampoline_kernelINS0_14default_configENS1_36segmented_radix_sort_config_selectorIllEEZNS1_25segmented_radix_sort_implIS3_Lb0EPKlPlS8_S9_N2at6native12_GLOBAL__N_18offset_tEEE10hipError_tPvRmT1_PNSt15iterator_traitsISH_E10value_typeET2_T3_PNSI_ISN_E10value_typeET4_jRbjT5_ST_jjP12ihipStream_tbEUlT_E_NS1_11comp_targetILNS1_3genE10ELNS1_11target_archE1201ELNS1_3gpuE5ELNS1_3repE0EEENS1_30default_config_static_selectorELNS0_4arch9wavefront6targetE1EEEvSH_.has_dyn_sized_stack, 0
	.set _ZN7rocprim17ROCPRIM_400000_NS6detail17trampoline_kernelINS0_14default_configENS1_36segmented_radix_sort_config_selectorIllEEZNS1_25segmented_radix_sort_implIS3_Lb0EPKlPlS8_S9_N2at6native12_GLOBAL__N_18offset_tEEE10hipError_tPvRmT1_PNSt15iterator_traitsISH_E10value_typeET2_T3_PNSI_ISN_E10value_typeET4_jRbjT5_ST_jjP12ihipStream_tbEUlT_E_NS1_11comp_targetILNS1_3genE10ELNS1_11target_archE1201ELNS1_3gpuE5ELNS1_3repE0EEENS1_30default_config_static_selectorELNS0_4arch9wavefront6targetE1EEEvSH_.has_recursion, 0
	.set _ZN7rocprim17ROCPRIM_400000_NS6detail17trampoline_kernelINS0_14default_configENS1_36segmented_radix_sort_config_selectorIllEEZNS1_25segmented_radix_sort_implIS3_Lb0EPKlPlS8_S9_N2at6native12_GLOBAL__N_18offset_tEEE10hipError_tPvRmT1_PNSt15iterator_traitsISH_E10value_typeET2_T3_PNSI_ISN_E10value_typeET4_jRbjT5_ST_jjP12ihipStream_tbEUlT_E_NS1_11comp_targetILNS1_3genE10ELNS1_11target_archE1201ELNS1_3gpuE5ELNS1_3repE0EEENS1_30default_config_static_selectorELNS0_4arch9wavefront6targetE1EEEvSH_.has_indirect_call, 0
	.section	.AMDGPU.csdata,"",@progbits
; Kernel info:
; codeLenInByte = 0
; TotalNumSgprs: 4
; NumVgprs: 0
; ScratchSize: 0
; MemoryBound: 0
; FloatMode: 240
; IeeeMode: 1
; LDSByteSize: 0 bytes/workgroup (compile time only)
; SGPRBlocks: 0
; VGPRBlocks: 0
; NumSGPRsForWavesPerEU: 4
; NumVGPRsForWavesPerEU: 1
; Occupancy: 10
; WaveLimiterHint : 0
; COMPUTE_PGM_RSRC2:SCRATCH_EN: 0
; COMPUTE_PGM_RSRC2:USER_SGPR: 6
; COMPUTE_PGM_RSRC2:TRAP_HANDLER: 0
; COMPUTE_PGM_RSRC2:TGID_X_EN: 1
; COMPUTE_PGM_RSRC2:TGID_Y_EN: 0
; COMPUTE_PGM_RSRC2:TGID_Z_EN: 0
; COMPUTE_PGM_RSRC2:TIDIG_COMP_CNT: 0
	.section	.text._ZN7rocprim17ROCPRIM_400000_NS6detail17trampoline_kernelINS0_14default_configENS1_36segmented_radix_sort_config_selectorIllEEZNS1_25segmented_radix_sort_implIS3_Lb0EPKlPlS8_S9_N2at6native12_GLOBAL__N_18offset_tEEE10hipError_tPvRmT1_PNSt15iterator_traitsISH_E10value_typeET2_T3_PNSI_ISN_E10value_typeET4_jRbjT5_ST_jjP12ihipStream_tbEUlT_E_NS1_11comp_targetILNS1_3genE10ELNS1_11target_archE1200ELNS1_3gpuE4ELNS1_3repE0EEENS1_30default_config_static_selectorELNS0_4arch9wavefront6targetE1EEEvSH_,"axG",@progbits,_ZN7rocprim17ROCPRIM_400000_NS6detail17trampoline_kernelINS0_14default_configENS1_36segmented_radix_sort_config_selectorIllEEZNS1_25segmented_radix_sort_implIS3_Lb0EPKlPlS8_S9_N2at6native12_GLOBAL__N_18offset_tEEE10hipError_tPvRmT1_PNSt15iterator_traitsISH_E10value_typeET2_T3_PNSI_ISN_E10value_typeET4_jRbjT5_ST_jjP12ihipStream_tbEUlT_E_NS1_11comp_targetILNS1_3genE10ELNS1_11target_archE1200ELNS1_3gpuE4ELNS1_3repE0EEENS1_30default_config_static_selectorELNS0_4arch9wavefront6targetE1EEEvSH_,comdat
	.globl	_ZN7rocprim17ROCPRIM_400000_NS6detail17trampoline_kernelINS0_14default_configENS1_36segmented_radix_sort_config_selectorIllEEZNS1_25segmented_radix_sort_implIS3_Lb0EPKlPlS8_S9_N2at6native12_GLOBAL__N_18offset_tEEE10hipError_tPvRmT1_PNSt15iterator_traitsISH_E10value_typeET2_T3_PNSI_ISN_E10value_typeET4_jRbjT5_ST_jjP12ihipStream_tbEUlT_E_NS1_11comp_targetILNS1_3genE10ELNS1_11target_archE1200ELNS1_3gpuE4ELNS1_3repE0EEENS1_30default_config_static_selectorELNS0_4arch9wavefront6targetE1EEEvSH_ ; -- Begin function _ZN7rocprim17ROCPRIM_400000_NS6detail17trampoline_kernelINS0_14default_configENS1_36segmented_radix_sort_config_selectorIllEEZNS1_25segmented_radix_sort_implIS3_Lb0EPKlPlS8_S9_N2at6native12_GLOBAL__N_18offset_tEEE10hipError_tPvRmT1_PNSt15iterator_traitsISH_E10value_typeET2_T3_PNSI_ISN_E10value_typeET4_jRbjT5_ST_jjP12ihipStream_tbEUlT_E_NS1_11comp_targetILNS1_3genE10ELNS1_11target_archE1200ELNS1_3gpuE4ELNS1_3repE0EEENS1_30default_config_static_selectorELNS0_4arch9wavefront6targetE1EEEvSH_
	.p2align	8
	.type	_ZN7rocprim17ROCPRIM_400000_NS6detail17trampoline_kernelINS0_14default_configENS1_36segmented_radix_sort_config_selectorIllEEZNS1_25segmented_radix_sort_implIS3_Lb0EPKlPlS8_S9_N2at6native12_GLOBAL__N_18offset_tEEE10hipError_tPvRmT1_PNSt15iterator_traitsISH_E10value_typeET2_T3_PNSI_ISN_E10value_typeET4_jRbjT5_ST_jjP12ihipStream_tbEUlT_E_NS1_11comp_targetILNS1_3genE10ELNS1_11target_archE1200ELNS1_3gpuE4ELNS1_3repE0EEENS1_30default_config_static_selectorELNS0_4arch9wavefront6targetE1EEEvSH_,@function
_ZN7rocprim17ROCPRIM_400000_NS6detail17trampoline_kernelINS0_14default_configENS1_36segmented_radix_sort_config_selectorIllEEZNS1_25segmented_radix_sort_implIS3_Lb0EPKlPlS8_S9_N2at6native12_GLOBAL__N_18offset_tEEE10hipError_tPvRmT1_PNSt15iterator_traitsISH_E10value_typeET2_T3_PNSI_ISN_E10value_typeET4_jRbjT5_ST_jjP12ihipStream_tbEUlT_E_NS1_11comp_targetILNS1_3genE10ELNS1_11target_archE1200ELNS1_3gpuE4ELNS1_3repE0EEENS1_30default_config_static_selectorELNS0_4arch9wavefront6targetE1EEEvSH_: ; @_ZN7rocprim17ROCPRIM_400000_NS6detail17trampoline_kernelINS0_14default_configENS1_36segmented_radix_sort_config_selectorIllEEZNS1_25segmented_radix_sort_implIS3_Lb0EPKlPlS8_S9_N2at6native12_GLOBAL__N_18offset_tEEE10hipError_tPvRmT1_PNSt15iterator_traitsISH_E10value_typeET2_T3_PNSI_ISN_E10value_typeET4_jRbjT5_ST_jjP12ihipStream_tbEUlT_E_NS1_11comp_targetILNS1_3genE10ELNS1_11target_archE1200ELNS1_3gpuE4ELNS1_3repE0EEENS1_30default_config_static_selectorELNS0_4arch9wavefront6targetE1EEEvSH_
; %bb.0:
	.section	.rodata,"a",@progbits
	.p2align	6, 0x0
	.amdhsa_kernel _ZN7rocprim17ROCPRIM_400000_NS6detail17trampoline_kernelINS0_14default_configENS1_36segmented_radix_sort_config_selectorIllEEZNS1_25segmented_radix_sort_implIS3_Lb0EPKlPlS8_S9_N2at6native12_GLOBAL__N_18offset_tEEE10hipError_tPvRmT1_PNSt15iterator_traitsISH_E10value_typeET2_T3_PNSI_ISN_E10value_typeET4_jRbjT5_ST_jjP12ihipStream_tbEUlT_E_NS1_11comp_targetILNS1_3genE10ELNS1_11target_archE1200ELNS1_3gpuE4ELNS1_3repE0EEENS1_30default_config_static_selectorELNS0_4arch9wavefront6targetE1EEEvSH_
		.amdhsa_group_segment_fixed_size 0
		.amdhsa_private_segment_fixed_size 0
		.amdhsa_kernarg_size 96
		.amdhsa_user_sgpr_count 6
		.amdhsa_user_sgpr_private_segment_buffer 1
		.amdhsa_user_sgpr_dispatch_ptr 0
		.amdhsa_user_sgpr_queue_ptr 0
		.amdhsa_user_sgpr_kernarg_segment_ptr 1
		.amdhsa_user_sgpr_dispatch_id 0
		.amdhsa_user_sgpr_flat_scratch_init 0
		.amdhsa_user_sgpr_private_segment_size 0
		.amdhsa_uses_dynamic_stack 0
		.amdhsa_system_sgpr_private_segment_wavefront_offset 0
		.amdhsa_system_sgpr_workgroup_id_x 1
		.amdhsa_system_sgpr_workgroup_id_y 0
		.amdhsa_system_sgpr_workgroup_id_z 0
		.amdhsa_system_sgpr_workgroup_info 0
		.amdhsa_system_vgpr_workitem_id 0
		.amdhsa_next_free_vgpr 1
		.amdhsa_next_free_sgpr 0
		.amdhsa_reserve_vcc 0
		.amdhsa_reserve_flat_scratch 0
		.amdhsa_float_round_mode_32 0
		.amdhsa_float_round_mode_16_64 0
		.amdhsa_float_denorm_mode_32 3
		.amdhsa_float_denorm_mode_16_64 3
		.amdhsa_dx10_clamp 1
		.amdhsa_ieee_mode 1
		.amdhsa_fp16_overflow 0
		.amdhsa_exception_fp_ieee_invalid_op 0
		.amdhsa_exception_fp_denorm_src 0
		.amdhsa_exception_fp_ieee_div_zero 0
		.amdhsa_exception_fp_ieee_overflow 0
		.amdhsa_exception_fp_ieee_underflow 0
		.amdhsa_exception_fp_ieee_inexact 0
		.amdhsa_exception_int_div_zero 0
	.end_amdhsa_kernel
	.section	.text._ZN7rocprim17ROCPRIM_400000_NS6detail17trampoline_kernelINS0_14default_configENS1_36segmented_radix_sort_config_selectorIllEEZNS1_25segmented_radix_sort_implIS3_Lb0EPKlPlS8_S9_N2at6native12_GLOBAL__N_18offset_tEEE10hipError_tPvRmT1_PNSt15iterator_traitsISH_E10value_typeET2_T3_PNSI_ISN_E10value_typeET4_jRbjT5_ST_jjP12ihipStream_tbEUlT_E_NS1_11comp_targetILNS1_3genE10ELNS1_11target_archE1200ELNS1_3gpuE4ELNS1_3repE0EEENS1_30default_config_static_selectorELNS0_4arch9wavefront6targetE1EEEvSH_,"axG",@progbits,_ZN7rocprim17ROCPRIM_400000_NS6detail17trampoline_kernelINS0_14default_configENS1_36segmented_radix_sort_config_selectorIllEEZNS1_25segmented_radix_sort_implIS3_Lb0EPKlPlS8_S9_N2at6native12_GLOBAL__N_18offset_tEEE10hipError_tPvRmT1_PNSt15iterator_traitsISH_E10value_typeET2_T3_PNSI_ISN_E10value_typeET4_jRbjT5_ST_jjP12ihipStream_tbEUlT_E_NS1_11comp_targetILNS1_3genE10ELNS1_11target_archE1200ELNS1_3gpuE4ELNS1_3repE0EEENS1_30default_config_static_selectorELNS0_4arch9wavefront6targetE1EEEvSH_,comdat
.Lfunc_end814:
	.size	_ZN7rocprim17ROCPRIM_400000_NS6detail17trampoline_kernelINS0_14default_configENS1_36segmented_radix_sort_config_selectorIllEEZNS1_25segmented_radix_sort_implIS3_Lb0EPKlPlS8_S9_N2at6native12_GLOBAL__N_18offset_tEEE10hipError_tPvRmT1_PNSt15iterator_traitsISH_E10value_typeET2_T3_PNSI_ISN_E10value_typeET4_jRbjT5_ST_jjP12ihipStream_tbEUlT_E_NS1_11comp_targetILNS1_3genE10ELNS1_11target_archE1200ELNS1_3gpuE4ELNS1_3repE0EEENS1_30default_config_static_selectorELNS0_4arch9wavefront6targetE1EEEvSH_, .Lfunc_end814-_ZN7rocprim17ROCPRIM_400000_NS6detail17trampoline_kernelINS0_14default_configENS1_36segmented_radix_sort_config_selectorIllEEZNS1_25segmented_radix_sort_implIS3_Lb0EPKlPlS8_S9_N2at6native12_GLOBAL__N_18offset_tEEE10hipError_tPvRmT1_PNSt15iterator_traitsISH_E10value_typeET2_T3_PNSI_ISN_E10value_typeET4_jRbjT5_ST_jjP12ihipStream_tbEUlT_E_NS1_11comp_targetILNS1_3genE10ELNS1_11target_archE1200ELNS1_3gpuE4ELNS1_3repE0EEENS1_30default_config_static_selectorELNS0_4arch9wavefront6targetE1EEEvSH_
                                        ; -- End function
	.set _ZN7rocprim17ROCPRIM_400000_NS6detail17trampoline_kernelINS0_14default_configENS1_36segmented_radix_sort_config_selectorIllEEZNS1_25segmented_radix_sort_implIS3_Lb0EPKlPlS8_S9_N2at6native12_GLOBAL__N_18offset_tEEE10hipError_tPvRmT1_PNSt15iterator_traitsISH_E10value_typeET2_T3_PNSI_ISN_E10value_typeET4_jRbjT5_ST_jjP12ihipStream_tbEUlT_E_NS1_11comp_targetILNS1_3genE10ELNS1_11target_archE1200ELNS1_3gpuE4ELNS1_3repE0EEENS1_30default_config_static_selectorELNS0_4arch9wavefront6targetE1EEEvSH_.num_vgpr, 0
	.set _ZN7rocprim17ROCPRIM_400000_NS6detail17trampoline_kernelINS0_14default_configENS1_36segmented_radix_sort_config_selectorIllEEZNS1_25segmented_radix_sort_implIS3_Lb0EPKlPlS8_S9_N2at6native12_GLOBAL__N_18offset_tEEE10hipError_tPvRmT1_PNSt15iterator_traitsISH_E10value_typeET2_T3_PNSI_ISN_E10value_typeET4_jRbjT5_ST_jjP12ihipStream_tbEUlT_E_NS1_11comp_targetILNS1_3genE10ELNS1_11target_archE1200ELNS1_3gpuE4ELNS1_3repE0EEENS1_30default_config_static_selectorELNS0_4arch9wavefront6targetE1EEEvSH_.num_agpr, 0
	.set _ZN7rocprim17ROCPRIM_400000_NS6detail17trampoline_kernelINS0_14default_configENS1_36segmented_radix_sort_config_selectorIllEEZNS1_25segmented_radix_sort_implIS3_Lb0EPKlPlS8_S9_N2at6native12_GLOBAL__N_18offset_tEEE10hipError_tPvRmT1_PNSt15iterator_traitsISH_E10value_typeET2_T3_PNSI_ISN_E10value_typeET4_jRbjT5_ST_jjP12ihipStream_tbEUlT_E_NS1_11comp_targetILNS1_3genE10ELNS1_11target_archE1200ELNS1_3gpuE4ELNS1_3repE0EEENS1_30default_config_static_selectorELNS0_4arch9wavefront6targetE1EEEvSH_.numbered_sgpr, 0
	.set _ZN7rocprim17ROCPRIM_400000_NS6detail17trampoline_kernelINS0_14default_configENS1_36segmented_radix_sort_config_selectorIllEEZNS1_25segmented_radix_sort_implIS3_Lb0EPKlPlS8_S9_N2at6native12_GLOBAL__N_18offset_tEEE10hipError_tPvRmT1_PNSt15iterator_traitsISH_E10value_typeET2_T3_PNSI_ISN_E10value_typeET4_jRbjT5_ST_jjP12ihipStream_tbEUlT_E_NS1_11comp_targetILNS1_3genE10ELNS1_11target_archE1200ELNS1_3gpuE4ELNS1_3repE0EEENS1_30default_config_static_selectorELNS0_4arch9wavefront6targetE1EEEvSH_.num_named_barrier, 0
	.set _ZN7rocprim17ROCPRIM_400000_NS6detail17trampoline_kernelINS0_14default_configENS1_36segmented_radix_sort_config_selectorIllEEZNS1_25segmented_radix_sort_implIS3_Lb0EPKlPlS8_S9_N2at6native12_GLOBAL__N_18offset_tEEE10hipError_tPvRmT1_PNSt15iterator_traitsISH_E10value_typeET2_T3_PNSI_ISN_E10value_typeET4_jRbjT5_ST_jjP12ihipStream_tbEUlT_E_NS1_11comp_targetILNS1_3genE10ELNS1_11target_archE1200ELNS1_3gpuE4ELNS1_3repE0EEENS1_30default_config_static_selectorELNS0_4arch9wavefront6targetE1EEEvSH_.private_seg_size, 0
	.set _ZN7rocprim17ROCPRIM_400000_NS6detail17trampoline_kernelINS0_14default_configENS1_36segmented_radix_sort_config_selectorIllEEZNS1_25segmented_radix_sort_implIS3_Lb0EPKlPlS8_S9_N2at6native12_GLOBAL__N_18offset_tEEE10hipError_tPvRmT1_PNSt15iterator_traitsISH_E10value_typeET2_T3_PNSI_ISN_E10value_typeET4_jRbjT5_ST_jjP12ihipStream_tbEUlT_E_NS1_11comp_targetILNS1_3genE10ELNS1_11target_archE1200ELNS1_3gpuE4ELNS1_3repE0EEENS1_30default_config_static_selectorELNS0_4arch9wavefront6targetE1EEEvSH_.uses_vcc, 0
	.set _ZN7rocprim17ROCPRIM_400000_NS6detail17trampoline_kernelINS0_14default_configENS1_36segmented_radix_sort_config_selectorIllEEZNS1_25segmented_radix_sort_implIS3_Lb0EPKlPlS8_S9_N2at6native12_GLOBAL__N_18offset_tEEE10hipError_tPvRmT1_PNSt15iterator_traitsISH_E10value_typeET2_T3_PNSI_ISN_E10value_typeET4_jRbjT5_ST_jjP12ihipStream_tbEUlT_E_NS1_11comp_targetILNS1_3genE10ELNS1_11target_archE1200ELNS1_3gpuE4ELNS1_3repE0EEENS1_30default_config_static_selectorELNS0_4arch9wavefront6targetE1EEEvSH_.uses_flat_scratch, 0
	.set _ZN7rocprim17ROCPRIM_400000_NS6detail17trampoline_kernelINS0_14default_configENS1_36segmented_radix_sort_config_selectorIllEEZNS1_25segmented_radix_sort_implIS3_Lb0EPKlPlS8_S9_N2at6native12_GLOBAL__N_18offset_tEEE10hipError_tPvRmT1_PNSt15iterator_traitsISH_E10value_typeET2_T3_PNSI_ISN_E10value_typeET4_jRbjT5_ST_jjP12ihipStream_tbEUlT_E_NS1_11comp_targetILNS1_3genE10ELNS1_11target_archE1200ELNS1_3gpuE4ELNS1_3repE0EEENS1_30default_config_static_selectorELNS0_4arch9wavefront6targetE1EEEvSH_.has_dyn_sized_stack, 0
	.set _ZN7rocprim17ROCPRIM_400000_NS6detail17trampoline_kernelINS0_14default_configENS1_36segmented_radix_sort_config_selectorIllEEZNS1_25segmented_radix_sort_implIS3_Lb0EPKlPlS8_S9_N2at6native12_GLOBAL__N_18offset_tEEE10hipError_tPvRmT1_PNSt15iterator_traitsISH_E10value_typeET2_T3_PNSI_ISN_E10value_typeET4_jRbjT5_ST_jjP12ihipStream_tbEUlT_E_NS1_11comp_targetILNS1_3genE10ELNS1_11target_archE1200ELNS1_3gpuE4ELNS1_3repE0EEENS1_30default_config_static_selectorELNS0_4arch9wavefront6targetE1EEEvSH_.has_recursion, 0
	.set _ZN7rocprim17ROCPRIM_400000_NS6detail17trampoline_kernelINS0_14default_configENS1_36segmented_radix_sort_config_selectorIllEEZNS1_25segmented_radix_sort_implIS3_Lb0EPKlPlS8_S9_N2at6native12_GLOBAL__N_18offset_tEEE10hipError_tPvRmT1_PNSt15iterator_traitsISH_E10value_typeET2_T3_PNSI_ISN_E10value_typeET4_jRbjT5_ST_jjP12ihipStream_tbEUlT_E_NS1_11comp_targetILNS1_3genE10ELNS1_11target_archE1200ELNS1_3gpuE4ELNS1_3repE0EEENS1_30default_config_static_selectorELNS0_4arch9wavefront6targetE1EEEvSH_.has_indirect_call, 0
	.section	.AMDGPU.csdata,"",@progbits
; Kernel info:
; codeLenInByte = 0
; TotalNumSgprs: 4
; NumVgprs: 0
; ScratchSize: 0
; MemoryBound: 0
; FloatMode: 240
; IeeeMode: 1
; LDSByteSize: 0 bytes/workgroup (compile time only)
; SGPRBlocks: 0
; VGPRBlocks: 0
; NumSGPRsForWavesPerEU: 4
; NumVGPRsForWavesPerEU: 1
; Occupancy: 10
; WaveLimiterHint : 0
; COMPUTE_PGM_RSRC2:SCRATCH_EN: 0
; COMPUTE_PGM_RSRC2:USER_SGPR: 6
; COMPUTE_PGM_RSRC2:TRAP_HANDLER: 0
; COMPUTE_PGM_RSRC2:TGID_X_EN: 1
; COMPUTE_PGM_RSRC2:TGID_Y_EN: 0
; COMPUTE_PGM_RSRC2:TGID_Z_EN: 0
; COMPUTE_PGM_RSRC2:TIDIG_COMP_CNT: 0
	.section	.text._ZN7rocprim17ROCPRIM_400000_NS6detail17trampoline_kernelINS0_14default_configENS1_36segmented_radix_sort_config_selectorIllEEZNS1_25segmented_radix_sort_implIS3_Lb0EPKlPlS8_S9_N2at6native12_GLOBAL__N_18offset_tEEE10hipError_tPvRmT1_PNSt15iterator_traitsISH_E10value_typeET2_T3_PNSI_ISN_E10value_typeET4_jRbjT5_ST_jjP12ihipStream_tbEUlT_E_NS1_11comp_targetILNS1_3genE9ELNS1_11target_archE1100ELNS1_3gpuE3ELNS1_3repE0EEENS1_30default_config_static_selectorELNS0_4arch9wavefront6targetE1EEEvSH_,"axG",@progbits,_ZN7rocprim17ROCPRIM_400000_NS6detail17trampoline_kernelINS0_14default_configENS1_36segmented_radix_sort_config_selectorIllEEZNS1_25segmented_radix_sort_implIS3_Lb0EPKlPlS8_S9_N2at6native12_GLOBAL__N_18offset_tEEE10hipError_tPvRmT1_PNSt15iterator_traitsISH_E10value_typeET2_T3_PNSI_ISN_E10value_typeET4_jRbjT5_ST_jjP12ihipStream_tbEUlT_E_NS1_11comp_targetILNS1_3genE9ELNS1_11target_archE1100ELNS1_3gpuE3ELNS1_3repE0EEENS1_30default_config_static_selectorELNS0_4arch9wavefront6targetE1EEEvSH_,comdat
	.globl	_ZN7rocprim17ROCPRIM_400000_NS6detail17trampoline_kernelINS0_14default_configENS1_36segmented_radix_sort_config_selectorIllEEZNS1_25segmented_radix_sort_implIS3_Lb0EPKlPlS8_S9_N2at6native12_GLOBAL__N_18offset_tEEE10hipError_tPvRmT1_PNSt15iterator_traitsISH_E10value_typeET2_T3_PNSI_ISN_E10value_typeET4_jRbjT5_ST_jjP12ihipStream_tbEUlT_E_NS1_11comp_targetILNS1_3genE9ELNS1_11target_archE1100ELNS1_3gpuE3ELNS1_3repE0EEENS1_30default_config_static_selectorELNS0_4arch9wavefront6targetE1EEEvSH_ ; -- Begin function _ZN7rocprim17ROCPRIM_400000_NS6detail17trampoline_kernelINS0_14default_configENS1_36segmented_radix_sort_config_selectorIllEEZNS1_25segmented_radix_sort_implIS3_Lb0EPKlPlS8_S9_N2at6native12_GLOBAL__N_18offset_tEEE10hipError_tPvRmT1_PNSt15iterator_traitsISH_E10value_typeET2_T3_PNSI_ISN_E10value_typeET4_jRbjT5_ST_jjP12ihipStream_tbEUlT_E_NS1_11comp_targetILNS1_3genE9ELNS1_11target_archE1100ELNS1_3gpuE3ELNS1_3repE0EEENS1_30default_config_static_selectorELNS0_4arch9wavefront6targetE1EEEvSH_
	.p2align	8
	.type	_ZN7rocprim17ROCPRIM_400000_NS6detail17trampoline_kernelINS0_14default_configENS1_36segmented_radix_sort_config_selectorIllEEZNS1_25segmented_radix_sort_implIS3_Lb0EPKlPlS8_S9_N2at6native12_GLOBAL__N_18offset_tEEE10hipError_tPvRmT1_PNSt15iterator_traitsISH_E10value_typeET2_T3_PNSI_ISN_E10value_typeET4_jRbjT5_ST_jjP12ihipStream_tbEUlT_E_NS1_11comp_targetILNS1_3genE9ELNS1_11target_archE1100ELNS1_3gpuE3ELNS1_3repE0EEENS1_30default_config_static_selectorELNS0_4arch9wavefront6targetE1EEEvSH_,@function
_ZN7rocprim17ROCPRIM_400000_NS6detail17trampoline_kernelINS0_14default_configENS1_36segmented_radix_sort_config_selectorIllEEZNS1_25segmented_radix_sort_implIS3_Lb0EPKlPlS8_S9_N2at6native12_GLOBAL__N_18offset_tEEE10hipError_tPvRmT1_PNSt15iterator_traitsISH_E10value_typeET2_T3_PNSI_ISN_E10value_typeET4_jRbjT5_ST_jjP12ihipStream_tbEUlT_E_NS1_11comp_targetILNS1_3genE9ELNS1_11target_archE1100ELNS1_3gpuE3ELNS1_3repE0EEENS1_30default_config_static_selectorELNS0_4arch9wavefront6targetE1EEEvSH_: ; @_ZN7rocprim17ROCPRIM_400000_NS6detail17trampoline_kernelINS0_14default_configENS1_36segmented_radix_sort_config_selectorIllEEZNS1_25segmented_radix_sort_implIS3_Lb0EPKlPlS8_S9_N2at6native12_GLOBAL__N_18offset_tEEE10hipError_tPvRmT1_PNSt15iterator_traitsISH_E10value_typeET2_T3_PNSI_ISN_E10value_typeET4_jRbjT5_ST_jjP12ihipStream_tbEUlT_E_NS1_11comp_targetILNS1_3genE9ELNS1_11target_archE1100ELNS1_3gpuE3ELNS1_3repE0EEENS1_30default_config_static_selectorELNS0_4arch9wavefront6targetE1EEEvSH_
; %bb.0:
	.section	.rodata,"a",@progbits
	.p2align	6, 0x0
	.amdhsa_kernel _ZN7rocprim17ROCPRIM_400000_NS6detail17trampoline_kernelINS0_14default_configENS1_36segmented_radix_sort_config_selectorIllEEZNS1_25segmented_radix_sort_implIS3_Lb0EPKlPlS8_S9_N2at6native12_GLOBAL__N_18offset_tEEE10hipError_tPvRmT1_PNSt15iterator_traitsISH_E10value_typeET2_T3_PNSI_ISN_E10value_typeET4_jRbjT5_ST_jjP12ihipStream_tbEUlT_E_NS1_11comp_targetILNS1_3genE9ELNS1_11target_archE1100ELNS1_3gpuE3ELNS1_3repE0EEENS1_30default_config_static_selectorELNS0_4arch9wavefront6targetE1EEEvSH_
		.amdhsa_group_segment_fixed_size 0
		.amdhsa_private_segment_fixed_size 0
		.amdhsa_kernarg_size 96
		.amdhsa_user_sgpr_count 6
		.amdhsa_user_sgpr_private_segment_buffer 1
		.amdhsa_user_sgpr_dispatch_ptr 0
		.amdhsa_user_sgpr_queue_ptr 0
		.amdhsa_user_sgpr_kernarg_segment_ptr 1
		.amdhsa_user_sgpr_dispatch_id 0
		.amdhsa_user_sgpr_flat_scratch_init 0
		.amdhsa_user_sgpr_private_segment_size 0
		.amdhsa_uses_dynamic_stack 0
		.amdhsa_system_sgpr_private_segment_wavefront_offset 0
		.amdhsa_system_sgpr_workgroup_id_x 1
		.amdhsa_system_sgpr_workgroup_id_y 0
		.amdhsa_system_sgpr_workgroup_id_z 0
		.amdhsa_system_sgpr_workgroup_info 0
		.amdhsa_system_vgpr_workitem_id 0
		.amdhsa_next_free_vgpr 1
		.amdhsa_next_free_sgpr 0
		.amdhsa_reserve_vcc 0
		.amdhsa_reserve_flat_scratch 0
		.amdhsa_float_round_mode_32 0
		.amdhsa_float_round_mode_16_64 0
		.amdhsa_float_denorm_mode_32 3
		.amdhsa_float_denorm_mode_16_64 3
		.amdhsa_dx10_clamp 1
		.amdhsa_ieee_mode 1
		.amdhsa_fp16_overflow 0
		.amdhsa_exception_fp_ieee_invalid_op 0
		.amdhsa_exception_fp_denorm_src 0
		.amdhsa_exception_fp_ieee_div_zero 0
		.amdhsa_exception_fp_ieee_overflow 0
		.amdhsa_exception_fp_ieee_underflow 0
		.amdhsa_exception_fp_ieee_inexact 0
		.amdhsa_exception_int_div_zero 0
	.end_amdhsa_kernel
	.section	.text._ZN7rocprim17ROCPRIM_400000_NS6detail17trampoline_kernelINS0_14default_configENS1_36segmented_radix_sort_config_selectorIllEEZNS1_25segmented_radix_sort_implIS3_Lb0EPKlPlS8_S9_N2at6native12_GLOBAL__N_18offset_tEEE10hipError_tPvRmT1_PNSt15iterator_traitsISH_E10value_typeET2_T3_PNSI_ISN_E10value_typeET4_jRbjT5_ST_jjP12ihipStream_tbEUlT_E_NS1_11comp_targetILNS1_3genE9ELNS1_11target_archE1100ELNS1_3gpuE3ELNS1_3repE0EEENS1_30default_config_static_selectorELNS0_4arch9wavefront6targetE1EEEvSH_,"axG",@progbits,_ZN7rocprim17ROCPRIM_400000_NS6detail17trampoline_kernelINS0_14default_configENS1_36segmented_radix_sort_config_selectorIllEEZNS1_25segmented_radix_sort_implIS3_Lb0EPKlPlS8_S9_N2at6native12_GLOBAL__N_18offset_tEEE10hipError_tPvRmT1_PNSt15iterator_traitsISH_E10value_typeET2_T3_PNSI_ISN_E10value_typeET4_jRbjT5_ST_jjP12ihipStream_tbEUlT_E_NS1_11comp_targetILNS1_3genE9ELNS1_11target_archE1100ELNS1_3gpuE3ELNS1_3repE0EEENS1_30default_config_static_selectorELNS0_4arch9wavefront6targetE1EEEvSH_,comdat
.Lfunc_end815:
	.size	_ZN7rocprim17ROCPRIM_400000_NS6detail17trampoline_kernelINS0_14default_configENS1_36segmented_radix_sort_config_selectorIllEEZNS1_25segmented_radix_sort_implIS3_Lb0EPKlPlS8_S9_N2at6native12_GLOBAL__N_18offset_tEEE10hipError_tPvRmT1_PNSt15iterator_traitsISH_E10value_typeET2_T3_PNSI_ISN_E10value_typeET4_jRbjT5_ST_jjP12ihipStream_tbEUlT_E_NS1_11comp_targetILNS1_3genE9ELNS1_11target_archE1100ELNS1_3gpuE3ELNS1_3repE0EEENS1_30default_config_static_selectorELNS0_4arch9wavefront6targetE1EEEvSH_, .Lfunc_end815-_ZN7rocprim17ROCPRIM_400000_NS6detail17trampoline_kernelINS0_14default_configENS1_36segmented_radix_sort_config_selectorIllEEZNS1_25segmented_radix_sort_implIS3_Lb0EPKlPlS8_S9_N2at6native12_GLOBAL__N_18offset_tEEE10hipError_tPvRmT1_PNSt15iterator_traitsISH_E10value_typeET2_T3_PNSI_ISN_E10value_typeET4_jRbjT5_ST_jjP12ihipStream_tbEUlT_E_NS1_11comp_targetILNS1_3genE9ELNS1_11target_archE1100ELNS1_3gpuE3ELNS1_3repE0EEENS1_30default_config_static_selectorELNS0_4arch9wavefront6targetE1EEEvSH_
                                        ; -- End function
	.set _ZN7rocprim17ROCPRIM_400000_NS6detail17trampoline_kernelINS0_14default_configENS1_36segmented_radix_sort_config_selectorIllEEZNS1_25segmented_radix_sort_implIS3_Lb0EPKlPlS8_S9_N2at6native12_GLOBAL__N_18offset_tEEE10hipError_tPvRmT1_PNSt15iterator_traitsISH_E10value_typeET2_T3_PNSI_ISN_E10value_typeET4_jRbjT5_ST_jjP12ihipStream_tbEUlT_E_NS1_11comp_targetILNS1_3genE9ELNS1_11target_archE1100ELNS1_3gpuE3ELNS1_3repE0EEENS1_30default_config_static_selectorELNS0_4arch9wavefront6targetE1EEEvSH_.num_vgpr, 0
	.set _ZN7rocprim17ROCPRIM_400000_NS6detail17trampoline_kernelINS0_14default_configENS1_36segmented_radix_sort_config_selectorIllEEZNS1_25segmented_radix_sort_implIS3_Lb0EPKlPlS8_S9_N2at6native12_GLOBAL__N_18offset_tEEE10hipError_tPvRmT1_PNSt15iterator_traitsISH_E10value_typeET2_T3_PNSI_ISN_E10value_typeET4_jRbjT5_ST_jjP12ihipStream_tbEUlT_E_NS1_11comp_targetILNS1_3genE9ELNS1_11target_archE1100ELNS1_3gpuE3ELNS1_3repE0EEENS1_30default_config_static_selectorELNS0_4arch9wavefront6targetE1EEEvSH_.num_agpr, 0
	.set _ZN7rocprim17ROCPRIM_400000_NS6detail17trampoline_kernelINS0_14default_configENS1_36segmented_radix_sort_config_selectorIllEEZNS1_25segmented_radix_sort_implIS3_Lb0EPKlPlS8_S9_N2at6native12_GLOBAL__N_18offset_tEEE10hipError_tPvRmT1_PNSt15iterator_traitsISH_E10value_typeET2_T3_PNSI_ISN_E10value_typeET4_jRbjT5_ST_jjP12ihipStream_tbEUlT_E_NS1_11comp_targetILNS1_3genE9ELNS1_11target_archE1100ELNS1_3gpuE3ELNS1_3repE0EEENS1_30default_config_static_selectorELNS0_4arch9wavefront6targetE1EEEvSH_.numbered_sgpr, 0
	.set _ZN7rocprim17ROCPRIM_400000_NS6detail17trampoline_kernelINS0_14default_configENS1_36segmented_radix_sort_config_selectorIllEEZNS1_25segmented_radix_sort_implIS3_Lb0EPKlPlS8_S9_N2at6native12_GLOBAL__N_18offset_tEEE10hipError_tPvRmT1_PNSt15iterator_traitsISH_E10value_typeET2_T3_PNSI_ISN_E10value_typeET4_jRbjT5_ST_jjP12ihipStream_tbEUlT_E_NS1_11comp_targetILNS1_3genE9ELNS1_11target_archE1100ELNS1_3gpuE3ELNS1_3repE0EEENS1_30default_config_static_selectorELNS0_4arch9wavefront6targetE1EEEvSH_.num_named_barrier, 0
	.set _ZN7rocprim17ROCPRIM_400000_NS6detail17trampoline_kernelINS0_14default_configENS1_36segmented_radix_sort_config_selectorIllEEZNS1_25segmented_radix_sort_implIS3_Lb0EPKlPlS8_S9_N2at6native12_GLOBAL__N_18offset_tEEE10hipError_tPvRmT1_PNSt15iterator_traitsISH_E10value_typeET2_T3_PNSI_ISN_E10value_typeET4_jRbjT5_ST_jjP12ihipStream_tbEUlT_E_NS1_11comp_targetILNS1_3genE9ELNS1_11target_archE1100ELNS1_3gpuE3ELNS1_3repE0EEENS1_30default_config_static_selectorELNS0_4arch9wavefront6targetE1EEEvSH_.private_seg_size, 0
	.set _ZN7rocprim17ROCPRIM_400000_NS6detail17trampoline_kernelINS0_14default_configENS1_36segmented_radix_sort_config_selectorIllEEZNS1_25segmented_radix_sort_implIS3_Lb0EPKlPlS8_S9_N2at6native12_GLOBAL__N_18offset_tEEE10hipError_tPvRmT1_PNSt15iterator_traitsISH_E10value_typeET2_T3_PNSI_ISN_E10value_typeET4_jRbjT5_ST_jjP12ihipStream_tbEUlT_E_NS1_11comp_targetILNS1_3genE9ELNS1_11target_archE1100ELNS1_3gpuE3ELNS1_3repE0EEENS1_30default_config_static_selectorELNS0_4arch9wavefront6targetE1EEEvSH_.uses_vcc, 0
	.set _ZN7rocprim17ROCPRIM_400000_NS6detail17trampoline_kernelINS0_14default_configENS1_36segmented_radix_sort_config_selectorIllEEZNS1_25segmented_radix_sort_implIS3_Lb0EPKlPlS8_S9_N2at6native12_GLOBAL__N_18offset_tEEE10hipError_tPvRmT1_PNSt15iterator_traitsISH_E10value_typeET2_T3_PNSI_ISN_E10value_typeET4_jRbjT5_ST_jjP12ihipStream_tbEUlT_E_NS1_11comp_targetILNS1_3genE9ELNS1_11target_archE1100ELNS1_3gpuE3ELNS1_3repE0EEENS1_30default_config_static_selectorELNS0_4arch9wavefront6targetE1EEEvSH_.uses_flat_scratch, 0
	.set _ZN7rocprim17ROCPRIM_400000_NS6detail17trampoline_kernelINS0_14default_configENS1_36segmented_radix_sort_config_selectorIllEEZNS1_25segmented_radix_sort_implIS3_Lb0EPKlPlS8_S9_N2at6native12_GLOBAL__N_18offset_tEEE10hipError_tPvRmT1_PNSt15iterator_traitsISH_E10value_typeET2_T3_PNSI_ISN_E10value_typeET4_jRbjT5_ST_jjP12ihipStream_tbEUlT_E_NS1_11comp_targetILNS1_3genE9ELNS1_11target_archE1100ELNS1_3gpuE3ELNS1_3repE0EEENS1_30default_config_static_selectorELNS0_4arch9wavefront6targetE1EEEvSH_.has_dyn_sized_stack, 0
	.set _ZN7rocprim17ROCPRIM_400000_NS6detail17trampoline_kernelINS0_14default_configENS1_36segmented_radix_sort_config_selectorIllEEZNS1_25segmented_radix_sort_implIS3_Lb0EPKlPlS8_S9_N2at6native12_GLOBAL__N_18offset_tEEE10hipError_tPvRmT1_PNSt15iterator_traitsISH_E10value_typeET2_T3_PNSI_ISN_E10value_typeET4_jRbjT5_ST_jjP12ihipStream_tbEUlT_E_NS1_11comp_targetILNS1_3genE9ELNS1_11target_archE1100ELNS1_3gpuE3ELNS1_3repE0EEENS1_30default_config_static_selectorELNS0_4arch9wavefront6targetE1EEEvSH_.has_recursion, 0
	.set _ZN7rocprim17ROCPRIM_400000_NS6detail17trampoline_kernelINS0_14default_configENS1_36segmented_radix_sort_config_selectorIllEEZNS1_25segmented_radix_sort_implIS3_Lb0EPKlPlS8_S9_N2at6native12_GLOBAL__N_18offset_tEEE10hipError_tPvRmT1_PNSt15iterator_traitsISH_E10value_typeET2_T3_PNSI_ISN_E10value_typeET4_jRbjT5_ST_jjP12ihipStream_tbEUlT_E_NS1_11comp_targetILNS1_3genE9ELNS1_11target_archE1100ELNS1_3gpuE3ELNS1_3repE0EEENS1_30default_config_static_selectorELNS0_4arch9wavefront6targetE1EEEvSH_.has_indirect_call, 0
	.section	.AMDGPU.csdata,"",@progbits
; Kernel info:
; codeLenInByte = 0
; TotalNumSgprs: 4
; NumVgprs: 0
; ScratchSize: 0
; MemoryBound: 0
; FloatMode: 240
; IeeeMode: 1
; LDSByteSize: 0 bytes/workgroup (compile time only)
; SGPRBlocks: 0
; VGPRBlocks: 0
; NumSGPRsForWavesPerEU: 4
; NumVGPRsForWavesPerEU: 1
; Occupancy: 10
; WaveLimiterHint : 0
; COMPUTE_PGM_RSRC2:SCRATCH_EN: 0
; COMPUTE_PGM_RSRC2:USER_SGPR: 6
; COMPUTE_PGM_RSRC2:TRAP_HANDLER: 0
; COMPUTE_PGM_RSRC2:TGID_X_EN: 1
; COMPUTE_PGM_RSRC2:TGID_Y_EN: 0
; COMPUTE_PGM_RSRC2:TGID_Z_EN: 0
; COMPUTE_PGM_RSRC2:TIDIG_COMP_CNT: 0
	.section	.text._ZN7rocprim17ROCPRIM_400000_NS6detail17trampoline_kernelINS0_14default_configENS1_36segmented_radix_sort_config_selectorIllEEZNS1_25segmented_radix_sort_implIS3_Lb0EPKlPlS8_S9_N2at6native12_GLOBAL__N_18offset_tEEE10hipError_tPvRmT1_PNSt15iterator_traitsISH_E10value_typeET2_T3_PNSI_ISN_E10value_typeET4_jRbjT5_ST_jjP12ihipStream_tbEUlT_E_NS1_11comp_targetILNS1_3genE8ELNS1_11target_archE1030ELNS1_3gpuE2ELNS1_3repE0EEENS1_30default_config_static_selectorELNS0_4arch9wavefront6targetE1EEEvSH_,"axG",@progbits,_ZN7rocprim17ROCPRIM_400000_NS6detail17trampoline_kernelINS0_14default_configENS1_36segmented_radix_sort_config_selectorIllEEZNS1_25segmented_radix_sort_implIS3_Lb0EPKlPlS8_S9_N2at6native12_GLOBAL__N_18offset_tEEE10hipError_tPvRmT1_PNSt15iterator_traitsISH_E10value_typeET2_T3_PNSI_ISN_E10value_typeET4_jRbjT5_ST_jjP12ihipStream_tbEUlT_E_NS1_11comp_targetILNS1_3genE8ELNS1_11target_archE1030ELNS1_3gpuE2ELNS1_3repE0EEENS1_30default_config_static_selectorELNS0_4arch9wavefront6targetE1EEEvSH_,comdat
	.globl	_ZN7rocprim17ROCPRIM_400000_NS6detail17trampoline_kernelINS0_14default_configENS1_36segmented_radix_sort_config_selectorIllEEZNS1_25segmented_radix_sort_implIS3_Lb0EPKlPlS8_S9_N2at6native12_GLOBAL__N_18offset_tEEE10hipError_tPvRmT1_PNSt15iterator_traitsISH_E10value_typeET2_T3_PNSI_ISN_E10value_typeET4_jRbjT5_ST_jjP12ihipStream_tbEUlT_E_NS1_11comp_targetILNS1_3genE8ELNS1_11target_archE1030ELNS1_3gpuE2ELNS1_3repE0EEENS1_30default_config_static_selectorELNS0_4arch9wavefront6targetE1EEEvSH_ ; -- Begin function _ZN7rocprim17ROCPRIM_400000_NS6detail17trampoline_kernelINS0_14default_configENS1_36segmented_radix_sort_config_selectorIllEEZNS1_25segmented_radix_sort_implIS3_Lb0EPKlPlS8_S9_N2at6native12_GLOBAL__N_18offset_tEEE10hipError_tPvRmT1_PNSt15iterator_traitsISH_E10value_typeET2_T3_PNSI_ISN_E10value_typeET4_jRbjT5_ST_jjP12ihipStream_tbEUlT_E_NS1_11comp_targetILNS1_3genE8ELNS1_11target_archE1030ELNS1_3gpuE2ELNS1_3repE0EEENS1_30default_config_static_selectorELNS0_4arch9wavefront6targetE1EEEvSH_
	.p2align	8
	.type	_ZN7rocprim17ROCPRIM_400000_NS6detail17trampoline_kernelINS0_14default_configENS1_36segmented_radix_sort_config_selectorIllEEZNS1_25segmented_radix_sort_implIS3_Lb0EPKlPlS8_S9_N2at6native12_GLOBAL__N_18offset_tEEE10hipError_tPvRmT1_PNSt15iterator_traitsISH_E10value_typeET2_T3_PNSI_ISN_E10value_typeET4_jRbjT5_ST_jjP12ihipStream_tbEUlT_E_NS1_11comp_targetILNS1_3genE8ELNS1_11target_archE1030ELNS1_3gpuE2ELNS1_3repE0EEENS1_30default_config_static_selectorELNS0_4arch9wavefront6targetE1EEEvSH_,@function
_ZN7rocprim17ROCPRIM_400000_NS6detail17trampoline_kernelINS0_14default_configENS1_36segmented_radix_sort_config_selectorIllEEZNS1_25segmented_radix_sort_implIS3_Lb0EPKlPlS8_S9_N2at6native12_GLOBAL__N_18offset_tEEE10hipError_tPvRmT1_PNSt15iterator_traitsISH_E10value_typeET2_T3_PNSI_ISN_E10value_typeET4_jRbjT5_ST_jjP12ihipStream_tbEUlT_E_NS1_11comp_targetILNS1_3genE8ELNS1_11target_archE1030ELNS1_3gpuE2ELNS1_3repE0EEENS1_30default_config_static_selectorELNS0_4arch9wavefront6targetE1EEEvSH_: ; @_ZN7rocprim17ROCPRIM_400000_NS6detail17trampoline_kernelINS0_14default_configENS1_36segmented_radix_sort_config_selectorIllEEZNS1_25segmented_radix_sort_implIS3_Lb0EPKlPlS8_S9_N2at6native12_GLOBAL__N_18offset_tEEE10hipError_tPvRmT1_PNSt15iterator_traitsISH_E10value_typeET2_T3_PNSI_ISN_E10value_typeET4_jRbjT5_ST_jjP12ihipStream_tbEUlT_E_NS1_11comp_targetILNS1_3genE8ELNS1_11target_archE1030ELNS1_3gpuE2ELNS1_3repE0EEENS1_30default_config_static_selectorELNS0_4arch9wavefront6targetE1EEEvSH_
; %bb.0:
	.section	.rodata,"a",@progbits
	.p2align	6, 0x0
	.amdhsa_kernel _ZN7rocprim17ROCPRIM_400000_NS6detail17trampoline_kernelINS0_14default_configENS1_36segmented_radix_sort_config_selectorIllEEZNS1_25segmented_radix_sort_implIS3_Lb0EPKlPlS8_S9_N2at6native12_GLOBAL__N_18offset_tEEE10hipError_tPvRmT1_PNSt15iterator_traitsISH_E10value_typeET2_T3_PNSI_ISN_E10value_typeET4_jRbjT5_ST_jjP12ihipStream_tbEUlT_E_NS1_11comp_targetILNS1_3genE8ELNS1_11target_archE1030ELNS1_3gpuE2ELNS1_3repE0EEENS1_30default_config_static_selectorELNS0_4arch9wavefront6targetE1EEEvSH_
		.amdhsa_group_segment_fixed_size 0
		.amdhsa_private_segment_fixed_size 0
		.amdhsa_kernarg_size 96
		.amdhsa_user_sgpr_count 6
		.amdhsa_user_sgpr_private_segment_buffer 1
		.amdhsa_user_sgpr_dispatch_ptr 0
		.amdhsa_user_sgpr_queue_ptr 0
		.amdhsa_user_sgpr_kernarg_segment_ptr 1
		.amdhsa_user_sgpr_dispatch_id 0
		.amdhsa_user_sgpr_flat_scratch_init 0
		.amdhsa_user_sgpr_private_segment_size 0
		.amdhsa_uses_dynamic_stack 0
		.amdhsa_system_sgpr_private_segment_wavefront_offset 0
		.amdhsa_system_sgpr_workgroup_id_x 1
		.amdhsa_system_sgpr_workgroup_id_y 0
		.amdhsa_system_sgpr_workgroup_id_z 0
		.amdhsa_system_sgpr_workgroup_info 0
		.amdhsa_system_vgpr_workitem_id 0
		.amdhsa_next_free_vgpr 1
		.amdhsa_next_free_sgpr 0
		.amdhsa_reserve_vcc 0
		.amdhsa_reserve_flat_scratch 0
		.amdhsa_float_round_mode_32 0
		.amdhsa_float_round_mode_16_64 0
		.amdhsa_float_denorm_mode_32 3
		.amdhsa_float_denorm_mode_16_64 3
		.amdhsa_dx10_clamp 1
		.amdhsa_ieee_mode 1
		.amdhsa_fp16_overflow 0
		.amdhsa_exception_fp_ieee_invalid_op 0
		.amdhsa_exception_fp_denorm_src 0
		.amdhsa_exception_fp_ieee_div_zero 0
		.amdhsa_exception_fp_ieee_overflow 0
		.amdhsa_exception_fp_ieee_underflow 0
		.amdhsa_exception_fp_ieee_inexact 0
		.amdhsa_exception_int_div_zero 0
	.end_amdhsa_kernel
	.section	.text._ZN7rocprim17ROCPRIM_400000_NS6detail17trampoline_kernelINS0_14default_configENS1_36segmented_radix_sort_config_selectorIllEEZNS1_25segmented_radix_sort_implIS3_Lb0EPKlPlS8_S9_N2at6native12_GLOBAL__N_18offset_tEEE10hipError_tPvRmT1_PNSt15iterator_traitsISH_E10value_typeET2_T3_PNSI_ISN_E10value_typeET4_jRbjT5_ST_jjP12ihipStream_tbEUlT_E_NS1_11comp_targetILNS1_3genE8ELNS1_11target_archE1030ELNS1_3gpuE2ELNS1_3repE0EEENS1_30default_config_static_selectorELNS0_4arch9wavefront6targetE1EEEvSH_,"axG",@progbits,_ZN7rocprim17ROCPRIM_400000_NS6detail17trampoline_kernelINS0_14default_configENS1_36segmented_radix_sort_config_selectorIllEEZNS1_25segmented_radix_sort_implIS3_Lb0EPKlPlS8_S9_N2at6native12_GLOBAL__N_18offset_tEEE10hipError_tPvRmT1_PNSt15iterator_traitsISH_E10value_typeET2_T3_PNSI_ISN_E10value_typeET4_jRbjT5_ST_jjP12ihipStream_tbEUlT_E_NS1_11comp_targetILNS1_3genE8ELNS1_11target_archE1030ELNS1_3gpuE2ELNS1_3repE0EEENS1_30default_config_static_selectorELNS0_4arch9wavefront6targetE1EEEvSH_,comdat
.Lfunc_end816:
	.size	_ZN7rocprim17ROCPRIM_400000_NS6detail17trampoline_kernelINS0_14default_configENS1_36segmented_radix_sort_config_selectorIllEEZNS1_25segmented_radix_sort_implIS3_Lb0EPKlPlS8_S9_N2at6native12_GLOBAL__N_18offset_tEEE10hipError_tPvRmT1_PNSt15iterator_traitsISH_E10value_typeET2_T3_PNSI_ISN_E10value_typeET4_jRbjT5_ST_jjP12ihipStream_tbEUlT_E_NS1_11comp_targetILNS1_3genE8ELNS1_11target_archE1030ELNS1_3gpuE2ELNS1_3repE0EEENS1_30default_config_static_selectorELNS0_4arch9wavefront6targetE1EEEvSH_, .Lfunc_end816-_ZN7rocprim17ROCPRIM_400000_NS6detail17trampoline_kernelINS0_14default_configENS1_36segmented_radix_sort_config_selectorIllEEZNS1_25segmented_radix_sort_implIS3_Lb0EPKlPlS8_S9_N2at6native12_GLOBAL__N_18offset_tEEE10hipError_tPvRmT1_PNSt15iterator_traitsISH_E10value_typeET2_T3_PNSI_ISN_E10value_typeET4_jRbjT5_ST_jjP12ihipStream_tbEUlT_E_NS1_11comp_targetILNS1_3genE8ELNS1_11target_archE1030ELNS1_3gpuE2ELNS1_3repE0EEENS1_30default_config_static_selectorELNS0_4arch9wavefront6targetE1EEEvSH_
                                        ; -- End function
	.set _ZN7rocprim17ROCPRIM_400000_NS6detail17trampoline_kernelINS0_14default_configENS1_36segmented_radix_sort_config_selectorIllEEZNS1_25segmented_radix_sort_implIS3_Lb0EPKlPlS8_S9_N2at6native12_GLOBAL__N_18offset_tEEE10hipError_tPvRmT1_PNSt15iterator_traitsISH_E10value_typeET2_T3_PNSI_ISN_E10value_typeET4_jRbjT5_ST_jjP12ihipStream_tbEUlT_E_NS1_11comp_targetILNS1_3genE8ELNS1_11target_archE1030ELNS1_3gpuE2ELNS1_3repE0EEENS1_30default_config_static_selectorELNS0_4arch9wavefront6targetE1EEEvSH_.num_vgpr, 0
	.set _ZN7rocprim17ROCPRIM_400000_NS6detail17trampoline_kernelINS0_14default_configENS1_36segmented_radix_sort_config_selectorIllEEZNS1_25segmented_radix_sort_implIS3_Lb0EPKlPlS8_S9_N2at6native12_GLOBAL__N_18offset_tEEE10hipError_tPvRmT1_PNSt15iterator_traitsISH_E10value_typeET2_T3_PNSI_ISN_E10value_typeET4_jRbjT5_ST_jjP12ihipStream_tbEUlT_E_NS1_11comp_targetILNS1_3genE8ELNS1_11target_archE1030ELNS1_3gpuE2ELNS1_3repE0EEENS1_30default_config_static_selectorELNS0_4arch9wavefront6targetE1EEEvSH_.num_agpr, 0
	.set _ZN7rocprim17ROCPRIM_400000_NS6detail17trampoline_kernelINS0_14default_configENS1_36segmented_radix_sort_config_selectorIllEEZNS1_25segmented_radix_sort_implIS3_Lb0EPKlPlS8_S9_N2at6native12_GLOBAL__N_18offset_tEEE10hipError_tPvRmT1_PNSt15iterator_traitsISH_E10value_typeET2_T3_PNSI_ISN_E10value_typeET4_jRbjT5_ST_jjP12ihipStream_tbEUlT_E_NS1_11comp_targetILNS1_3genE8ELNS1_11target_archE1030ELNS1_3gpuE2ELNS1_3repE0EEENS1_30default_config_static_selectorELNS0_4arch9wavefront6targetE1EEEvSH_.numbered_sgpr, 0
	.set _ZN7rocprim17ROCPRIM_400000_NS6detail17trampoline_kernelINS0_14default_configENS1_36segmented_radix_sort_config_selectorIllEEZNS1_25segmented_radix_sort_implIS3_Lb0EPKlPlS8_S9_N2at6native12_GLOBAL__N_18offset_tEEE10hipError_tPvRmT1_PNSt15iterator_traitsISH_E10value_typeET2_T3_PNSI_ISN_E10value_typeET4_jRbjT5_ST_jjP12ihipStream_tbEUlT_E_NS1_11comp_targetILNS1_3genE8ELNS1_11target_archE1030ELNS1_3gpuE2ELNS1_3repE0EEENS1_30default_config_static_selectorELNS0_4arch9wavefront6targetE1EEEvSH_.num_named_barrier, 0
	.set _ZN7rocprim17ROCPRIM_400000_NS6detail17trampoline_kernelINS0_14default_configENS1_36segmented_radix_sort_config_selectorIllEEZNS1_25segmented_radix_sort_implIS3_Lb0EPKlPlS8_S9_N2at6native12_GLOBAL__N_18offset_tEEE10hipError_tPvRmT1_PNSt15iterator_traitsISH_E10value_typeET2_T3_PNSI_ISN_E10value_typeET4_jRbjT5_ST_jjP12ihipStream_tbEUlT_E_NS1_11comp_targetILNS1_3genE8ELNS1_11target_archE1030ELNS1_3gpuE2ELNS1_3repE0EEENS1_30default_config_static_selectorELNS0_4arch9wavefront6targetE1EEEvSH_.private_seg_size, 0
	.set _ZN7rocprim17ROCPRIM_400000_NS6detail17trampoline_kernelINS0_14default_configENS1_36segmented_radix_sort_config_selectorIllEEZNS1_25segmented_radix_sort_implIS3_Lb0EPKlPlS8_S9_N2at6native12_GLOBAL__N_18offset_tEEE10hipError_tPvRmT1_PNSt15iterator_traitsISH_E10value_typeET2_T3_PNSI_ISN_E10value_typeET4_jRbjT5_ST_jjP12ihipStream_tbEUlT_E_NS1_11comp_targetILNS1_3genE8ELNS1_11target_archE1030ELNS1_3gpuE2ELNS1_3repE0EEENS1_30default_config_static_selectorELNS0_4arch9wavefront6targetE1EEEvSH_.uses_vcc, 0
	.set _ZN7rocprim17ROCPRIM_400000_NS6detail17trampoline_kernelINS0_14default_configENS1_36segmented_radix_sort_config_selectorIllEEZNS1_25segmented_radix_sort_implIS3_Lb0EPKlPlS8_S9_N2at6native12_GLOBAL__N_18offset_tEEE10hipError_tPvRmT1_PNSt15iterator_traitsISH_E10value_typeET2_T3_PNSI_ISN_E10value_typeET4_jRbjT5_ST_jjP12ihipStream_tbEUlT_E_NS1_11comp_targetILNS1_3genE8ELNS1_11target_archE1030ELNS1_3gpuE2ELNS1_3repE0EEENS1_30default_config_static_selectorELNS0_4arch9wavefront6targetE1EEEvSH_.uses_flat_scratch, 0
	.set _ZN7rocprim17ROCPRIM_400000_NS6detail17trampoline_kernelINS0_14default_configENS1_36segmented_radix_sort_config_selectorIllEEZNS1_25segmented_radix_sort_implIS3_Lb0EPKlPlS8_S9_N2at6native12_GLOBAL__N_18offset_tEEE10hipError_tPvRmT1_PNSt15iterator_traitsISH_E10value_typeET2_T3_PNSI_ISN_E10value_typeET4_jRbjT5_ST_jjP12ihipStream_tbEUlT_E_NS1_11comp_targetILNS1_3genE8ELNS1_11target_archE1030ELNS1_3gpuE2ELNS1_3repE0EEENS1_30default_config_static_selectorELNS0_4arch9wavefront6targetE1EEEvSH_.has_dyn_sized_stack, 0
	.set _ZN7rocprim17ROCPRIM_400000_NS6detail17trampoline_kernelINS0_14default_configENS1_36segmented_radix_sort_config_selectorIllEEZNS1_25segmented_radix_sort_implIS3_Lb0EPKlPlS8_S9_N2at6native12_GLOBAL__N_18offset_tEEE10hipError_tPvRmT1_PNSt15iterator_traitsISH_E10value_typeET2_T3_PNSI_ISN_E10value_typeET4_jRbjT5_ST_jjP12ihipStream_tbEUlT_E_NS1_11comp_targetILNS1_3genE8ELNS1_11target_archE1030ELNS1_3gpuE2ELNS1_3repE0EEENS1_30default_config_static_selectorELNS0_4arch9wavefront6targetE1EEEvSH_.has_recursion, 0
	.set _ZN7rocprim17ROCPRIM_400000_NS6detail17trampoline_kernelINS0_14default_configENS1_36segmented_radix_sort_config_selectorIllEEZNS1_25segmented_radix_sort_implIS3_Lb0EPKlPlS8_S9_N2at6native12_GLOBAL__N_18offset_tEEE10hipError_tPvRmT1_PNSt15iterator_traitsISH_E10value_typeET2_T3_PNSI_ISN_E10value_typeET4_jRbjT5_ST_jjP12ihipStream_tbEUlT_E_NS1_11comp_targetILNS1_3genE8ELNS1_11target_archE1030ELNS1_3gpuE2ELNS1_3repE0EEENS1_30default_config_static_selectorELNS0_4arch9wavefront6targetE1EEEvSH_.has_indirect_call, 0
	.section	.AMDGPU.csdata,"",@progbits
; Kernel info:
; codeLenInByte = 0
; TotalNumSgprs: 4
; NumVgprs: 0
; ScratchSize: 0
; MemoryBound: 0
; FloatMode: 240
; IeeeMode: 1
; LDSByteSize: 0 bytes/workgroup (compile time only)
; SGPRBlocks: 0
; VGPRBlocks: 0
; NumSGPRsForWavesPerEU: 4
; NumVGPRsForWavesPerEU: 1
; Occupancy: 10
; WaveLimiterHint : 0
; COMPUTE_PGM_RSRC2:SCRATCH_EN: 0
; COMPUTE_PGM_RSRC2:USER_SGPR: 6
; COMPUTE_PGM_RSRC2:TRAP_HANDLER: 0
; COMPUTE_PGM_RSRC2:TGID_X_EN: 1
; COMPUTE_PGM_RSRC2:TGID_Y_EN: 0
; COMPUTE_PGM_RSRC2:TGID_Z_EN: 0
; COMPUTE_PGM_RSRC2:TIDIG_COMP_CNT: 0
	.section	.text._ZN7rocprim17ROCPRIM_400000_NS6detail17trampoline_kernelINS0_14default_configENS1_36segmented_radix_sort_config_selectorIllEEZNS1_25segmented_radix_sort_implIS3_Lb0EPKlPlS8_S9_N2at6native12_GLOBAL__N_18offset_tEEE10hipError_tPvRmT1_PNSt15iterator_traitsISH_E10value_typeET2_T3_PNSI_ISN_E10value_typeET4_jRbjT5_ST_jjP12ihipStream_tbEUlT_E0_NS1_11comp_targetILNS1_3genE0ELNS1_11target_archE4294967295ELNS1_3gpuE0ELNS1_3repE0EEENS1_60segmented_radix_sort_warp_sort_medium_config_static_selectorELNS0_4arch9wavefront6targetE1EEEvSH_,"axG",@progbits,_ZN7rocprim17ROCPRIM_400000_NS6detail17trampoline_kernelINS0_14default_configENS1_36segmented_radix_sort_config_selectorIllEEZNS1_25segmented_radix_sort_implIS3_Lb0EPKlPlS8_S9_N2at6native12_GLOBAL__N_18offset_tEEE10hipError_tPvRmT1_PNSt15iterator_traitsISH_E10value_typeET2_T3_PNSI_ISN_E10value_typeET4_jRbjT5_ST_jjP12ihipStream_tbEUlT_E0_NS1_11comp_targetILNS1_3genE0ELNS1_11target_archE4294967295ELNS1_3gpuE0ELNS1_3repE0EEENS1_60segmented_radix_sort_warp_sort_medium_config_static_selectorELNS0_4arch9wavefront6targetE1EEEvSH_,comdat
	.globl	_ZN7rocprim17ROCPRIM_400000_NS6detail17trampoline_kernelINS0_14default_configENS1_36segmented_radix_sort_config_selectorIllEEZNS1_25segmented_radix_sort_implIS3_Lb0EPKlPlS8_S9_N2at6native12_GLOBAL__N_18offset_tEEE10hipError_tPvRmT1_PNSt15iterator_traitsISH_E10value_typeET2_T3_PNSI_ISN_E10value_typeET4_jRbjT5_ST_jjP12ihipStream_tbEUlT_E0_NS1_11comp_targetILNS1_3genE0ELNS1_11target_archE4294967295ELNS1_3gpuE0ELNS1_3repE0EEENS1_60segmented_radix_sort_warp_sort_medium_config_static_selectorELNS0_4arch9wavefront6targetE1EEEvSH_ ; -- Begin function _ZN7rocprim17ROCPRIM_400000_NS6detail17trampoline_kernelINS0_14default_configENS1_36segmented_radix_sort_config_selectorIllEEZNS1_25segmented_radix_sort_implIS3_Lb0EPKlPlS8_S9_N2at6native12_GLOBAL__N_18offset_tEEE10hipError_tPvRmT1_PNSt15iterator_traitsISH_E10value_typeET2_T3_PNSI_ISN_E10value_typeET4_jRbjT5_ST_jjP12ihipStream_tbEUlT_E0_NS1_11comp_targetILNS1_3genE0ELNS1_11target_archE4294967295ELNS1_3gpuE0ELNS1_3repE0EEENS1_60segmented_radix_sort_warp_sort_medium_config_static_selectorELNS0_4arch9wavefront6targetE1EEEvSH_
	.p2align	8
	.type	_ZN7rocprim17ROCPRIM_400000_NS6detail17trampoline_kernelINS0_14default_configENS1_36segmented_radix_sort_config_selectorIllEEZNS1_25segmented_radix_sort_implIS3_Lb0EPKlPlS8_S9_N2at6native12_GLOBAL__N_18offset_tEEE10hipError_tPvRmT1_PNSt15iterator_traitsISH_E10value_typeET2_T3_PNSI_ISN_E10value_typeET4_jRbjT5_ST_jjP12ihipStream_tbEUlT_E0_NS1_11comp_targetILNS1_3genE0ELNS1_11target_archE4294967295ELNS1_3gpuE0ELNS1_3repE0EEENS1_60segmented_radix_sort_warp_sort_medium_config_static_selectorELNS0_4arch9wavefront6targetE1EEEvSH_,@function
_ZN7rocprim17ROCPRIM_400000_NS6detail17trampoline_kernelINS0_14default_configENS1_36segmented_radix_sort_config_selectorIllEEZNS1_25segmented_radix_sort_implIS3_Lb0EPKlPlS8_S9_N2at6native12_GLOBAL__N_18offset_tEEE10hipError_tPvRmT1_PNSt15iterator_traitsISH_E10value_typeET2_T3_PNSI_ISN_E10value_typeET4_jRbjT5_ST_jjP12ihipStream_tbEUlT_E0_NS1_11comp_targetILNS1_3genE0ELNS1_11target_archE4294967295ELNS1_3gpuE0ELNS1_3repE0EEENS1_60segmented_radix_sort_warp_sort_medium_config_static_selectorELNS0_4arch9wavefront6targetE1EEEvSH_: ; @_ZN7rocprim17ROCPRIM_400000_NS6detail17trampoline_kernelINS0_14default_configENS1_36segmented_radix_sort_config_selectorIllEEZNS1_25segmented_radix_sort_implIS3_Lb0EPKlPlS8_S9_N2at6native12_GLOBAL__N_18offset_tEEE10hipError_tPvRmT1_PNSt15iterator_traitsISH_E10value_typeET2_T3_PNSI_ISN_E10value_typeET4_jRbjT5_ST_jjP12ihipStream_tbEUlT_E0_NS1_11comp_targetILNS1_3genE0ELNS1_11target_archE4294967295ELNS1_3gpuE0ELNS1_3repE0EEENS1_60segmented_radix_sort_warp_sort_medium_config_static_selectorELNS0_4arch9wavefront6targetE1EEEvSH_
; %bb.0:
	.section	.rodata,"a",@progbits
	.p2align	6, 0x0
	.amdhsa_kernel _ZN7rocprim17ROCPRIM_400000_NS6detail17trampoline_kernelINS0_14default_configENS1_36segmented_radix_sort_config_selectorIllEEZNS1_25segmented_radix_sort_implIS3_Lb0EPKlPlS8_S9_N2at6native12_GLOBAL__N_18offset_tEEE10hipError_tPvRmT1_PNSt15iterator_traitsISH_E10value_typeET2_T3_PNSI_ISN_E10value_typeET4_jRbjT5_ST_jjP12ihipStream_tbEUlT_E0_NS1_11comp_targetILNS1_3genE0ELNS1_11target_archE4294967295ELNS1_3gpuE0ELNS1_3repE0EEENS1_60segmented_radix_sort_warp_sort_medium_config_static_selectorELNS0_4arch9wavefront6targetE1EEEvSH_
		.amdhsa_group_segment_fixed_size 0
		.amdhsa_private_segment_fixed_size 0
		.amdhsa_kernarg_size 88
		.amdhsa_user_sgpr_count 6
		.amdhsa_user_sgpr_private_segment_buffer 1
		.amdhsa_user_sgpr_dispatch_ptr 0
		.amdhsa_user_sgpr_queue_ptr 0
		.amdhsa_user_sgpr_kernarg_segment_ptr 1
		.amdhsa_user_sgpr_dispatch_id 0
		.amdhsa_user_sgpr_flat_scratch_init 0
		.amdhsa_user_sgpr_private_segment_size 0
		.amdhsa_uses_dynamic_stack 0
		.amdhsa_system_sgpr_private_segment_wavefront_offset 0
		.amdhsa_system_sgpr_workgroup_id_x 1
		.amdhsa_system_sgpr_workgroup_id_y 0
		.amdhsa_system_sgpr_workgroup_id_z 0
		.amdhsa_system_sgpr_workgroup_info 0
		.amdhsa_system_vgpr_workitem_id 0
		.amdhsa_next_free_vgpr 1
		.amdhsa_next_free_sgpr 0
		.amdhsa_reserve_vcc 0
		.amdhsa_reserve_flat_scratch 0
		.amdhsa_float_round_mode_32 0
		.amdhsa_float_round_mode_16_64 0
		.amdhsa_float_denorm_mode_32 3
		.amdhsa_float_denorm_mode_16_64 3
		.amdhsa_dx10_clamp 1
		.amdhsa_ieee_mode 1
		.amdhsa_fp16_overflow 0
		.amdhsa_exception_fp_ieee_invalid_op 0
		.amdhsa_exception_fp_denorm_src 0
		.amdhsa_exception_fp_ieee_div_zero 0
		.amdhsa_exception_fp_ieee_overflow 0
		.amdhsa_exception_fp_ieee_underflow 0
		.amdhsa_exception_fp_ieee_inexact 0
		.amdhsa_exception_int_div_zero 0
	.end_amdhsa_kernel
	.section	.text._ZN7rocprim17ROCPRIM_400000_NS6detail17trampoline_kernelINS0_14default_configENS1_36segmented_radix_sort_config_selectorIllEEZNS1_25segmented_radix_sort_implIS3_Lb0EPKlPlS8_S9_N2at6native12_GLOBAL__N_18offset_tEEE10hipError_tPvRmT1_PNSt15iterator_traitsISH_E10value_typeET2_T3_PNSI_ISN_E10value_typeET4_jRbjT5_ST_jjP12ihipStream_tbEUlT_E0_NS1_11comp_targetILNS1_3genE0ELNS1_11target_archE4294967295ELNS1_3gpuE0ELNS1_3repE0EEENS1_60segmented_radix_sort_warp_sort_medium_config_static_selectorELNS0_4arch9wavefront6targetE1EEEvSH_,"axG",@progbits,_ZN7rocprim17ROCPRIM_400000_NS6detail17trampoline_kernelINS0_14default_configENS1_36segmented_radix_sort_config_selectorIllEEZNS1_25segmented_radix_sort_implIS3_Lb0EPKlPlS8_S9_N2at6native12_GLOBAL__N_18offset_tEEE10hipError_tPvRmT1_PNSt15iterator_traitsISH_E10value_typeET2_T3_PNSI_ISN_E10value_typeET4_jRbjT5_ST_jjP12ihipStream_tbEUlT_E0_NS1_11comp_targetILNS1_3genE0ELNS1_11target_archE4294967295ELNS1_3gpuE0ELNS1_3repE0EEENS1_60segmented_radix_sort_warp_sort_medium_config_static_selectorELNS0_4arch9wavefront6targetE1EEEvSH_,comdat
.Lfunc_end817:
	.size	_ZN7rocprim17ROCPRIM_400000_NS6detail17trampoline_kernelINS0_14default_configENS1_36segmented_radix_sort_config_selectorIllEEZNS1_25segmented_radix_sort_implIS3_Lb0EPKlPlS8_S9_N2at6native12_GLOBAL__N_18offset_tEEE10hipError_tPvRmT1_PNSt15iterator_traitsISH_E10value_typeET2_T3_PNSI_ISN_E10value_typeET4_jRbjT5_ST_jjP12ihipStream_tbEUlT_E0_NS1_11comp_targetILNS1_3genE0ELNS1_11target_archE4294967295ELNS1_3gpuE0ELNS1_3repE0EEENS1_60segmented_radix_sort_warp_sort_medium_config_static_selectorELNS0_4arch9wavefront6targetE1EEEvSH_, .Lfunc_end817-_ZN7rocprim17ROCPRIM_400000_NS6detail17trampoline_kernelINS0_14default_configENS1_36segmented_radix_sort_config_selectorIllEEZNS1_25segmented_radix_sort_implIS3_Lb0EPKlPlS8_S9_N2at6native12_GLOBAL__N_18offset_tEEE10hipError_tPvRmT1_PNSt15iterator_traitsISH_E10value_typeET2_T3_PNSI_ISN_E10value_typeET4_jRbjT5_ST_jjP12ihipStream_tbEUlT_E0_NS1_11comp_targetILNS1_3genE0ELNS1_11target_archE4294967295ELNS1_3gpuE0ELNS1_3repE0EEENS1_60segmented_radix_sort_warp_sort_medium_config_static_selectorELNS0_4arch9wavefront6targetE1EEEvSH_
                                        ; -- End function
	.set _ZN7rocprim17ROCPRIM_400000_NS6detail17trampoline_kernelINS0_14default_configENS1_36segmented_radix_sort_config_selectorIllEEZNS1_25segmented_radix_sort_implIS3_Lb0EPKlPlS8_S9_N2at6native12_GLOBAL__N_18offset_tEEE10hipError_tPvRmT1_PNSt15iterator_traitsISH_E10value_typeET2_T3_PNSI_ISN_E10value_typeET4_jRbjT5_ST_jjP12ihipStream_tbEUlT_E0_NS1_11comp_targetILNS1_3genE0ELNS1_11target_archE4294967295ELNS1_3gpuE0ELNS1_3repE0EEENS1_60segmented_radix_sort_warp_sort_medium_config_static_selectorELNS0_4arch9wavefront6targetE1EEEvSH_.num_vgpr, 0
	.set _ZN7rocprim17ROCPRIM_400000_NS6detail17trampoline_kernelINS0_14default_configENS1_36segmented_radix_sort_config_selectorIllEEZNS1_25segmented_radix_sort_implIS3_Lb0EPKlPlS8_S9_N2at6native12_GLOBAL__N_18offset_tEEE10hipError_tPvRmT1_PNSt15iterator_traitsISH_E10value_typeET2_T3_PNSI_ISN_E10value_typeET4_jRbjT5_ST_jjP12ihipStream_tbEUlT_E0_NS1_11comp_targetILNS1_3genE0ELNS1_11target_archE4294967295ELNS1_3gpuE0ELNS1_3repE0EEENS1_60segmented_radix_sort_warp_sort_medium_config_static_selectorELNS0_4arch9wavefront6targetE1EEEvSH_.num_agpr, 0
	.set _ZN7rocprim17ROCPRIM_400000_NS6detail17trampoline_kernelINS0_14default_configENS1_36segmented_radix_sort_config_selectorIllEEZNS1_25segmented_radix_sort_implIS3_Lb0EPKlPlS8_S9_N2at6native12_GLOBAL__N_18offset_tEEE10hipError_tPvRmT1_PNSt15iterator_traitsISH_E10value_typeET2_T3_PNSI_ISN_E10value_typeET4_jRbjT5_ST_jjP12ihipStream_tbEUlT_E0_NS1_11comp_targetILNS1_3genE0ELNS1_11target_archE4294967295ELNS1_3gpuE0ELNS1_3repE0EEENS1_60segmented_radix_sort_warp_sort_medium_config_static_selectorELNS0_4arch9wavefront6targetE1EEEvSH_.numbered_sgpr, 0
	.set _ZN7rocprim17ROCPRIM_400000_NS6detail17trampoline_kernelINS0_14default_configENS1_36segmented_radix_sort_config_selectorIllEEZNS1_25segmented_radix_sort_implIS3_Lb0EPKlPlS8_S9_N2at6native12_GLOBAL__N_18offset_tEEE10hipError_tPvRmT1_PNSt15iterator_traitsISH_E10value_typeET2_T3_PNSI_ISN_E10value_typeET4_jRbjT5_ST_jjP12ihipStream_tbEUlT_E0_NS1_11comp_targetILNS1_3genE0ELNS1_11target_archE4294967295ELNS1_3gpuE0ELNS1_3repE0EEENS1_60segmented_radix_sort_warp_sort_medium_config_static_selectorELNS0_4arch9wavefront6targetE1EEEvSH_.num_named_barrier, 0
	.set _ZN7rocprim17ROCPRIM_400000_NS6detail17trampoline_kernelINS0_14default_configENS1_36segmented_radix_sort_config_selectorIllEEZNS1_25segmented_radix_sort_implIS3_Lb0EPKlPlS8_S9_N2at6native12_GLOBAL__N_18offset_tEEE10hipError_tPvRmT1_PNSt15iterator_traitsISH_E10value_typeET2_T3_PNSI_ISN_E10value_typeET4_jRbjT5_ST_jjP12ihipStream_tbEUlT_E0_NS1_11comp_targetILNS1_3genE0ELNS1_11target_archE4294967295ELNS1_3gpuE0ELNS1_3repE0EEENS1_60segmented_radix_sort_warp_sort_medium_config_static_selectorELNS0_4arch9wavefront6targetE1EEEvSH_.private_seg_size, 0
	.set _ZN7rocprim17ROCPRIM_400000_NS6detail17trampoline_kernelINS0_14default_configENS1_36segmented_radix_sort_config_selectorIllEEZNS1_25segmented_radix_sort_implIS3_Lb0EPKlPlS8_S9_N2at6native12_GLOBAL__N_18offset_tEEE10hipError_tPvRmT1_PNSt15iterator_traitsISH_E10value_typeET2_T3_PNSI_ISN_E10value_typeET4_jRbjT5_ST_jjP12ihipStream_tbEUlT_E0_NS1_11comp_targetILNS1_3genE0ELNS1_11target_archE4294967295ELNS1_3gpuE0ELNS1_3repE0EEENS1_60segmented_radix_sort_warp_sort_medium_config_static_selectorELNS0_4arch9wavefront6targetE1EEEvSH_.uses_vcc, 0
	.set _ZN7rocprim17ROCPRIM_400000_NS6detail17trampoline_kernelINS0_14default_configENS1_36segmented_radix_sort_config_selectorIllEEZNS1_25segmented_radix_sort_implIS3_Lb0EPKlPlS8_S9_N2at6native12_GLOBAL__N_18offset_tEEE10hipError_tPvRmT1_PNSt15iterator_traitsISH_E10value_typeET2_T3_PNSI_ISN_E10value_typeET4_jRbjT5_ST_jjP12ihipStream_tbEUlT_E0_NS1_11comp_targetILNS1_3genE0ELNS1_11target_archE4294967295ELNS1_3gpuE0ELNS1_3repE0EEENS1_60segmented_radix_sort_warp_sort_medium_config_static_selectorELNS0_4arch9wavefront6targetE1EEEvSH_.uses_flat_scratch, 0
	.set _ZN7rocprim17ROCPRIM_400000_NS6detail17trampoline_kernelINS0_14default_configENS1_36segmented_radix_sort_config_selectorIllEEZNS1_25segmented_radix_sort_implIS3_Lb0EPKlPlS8_S9_N2at6native12_GLOBAL__N_18offset_tEEE10hipError_tPvRmT1_PNSt15iterator_traitsISH_E10value_typeET2_T3_PNSI_ISN_E10value_typeET4_jRbjT5_ST_jjP12ihipStream_tbEUlT_E0_NS1_11comp_targetILNS1_3genE0ELNS1_11target_archE4294967295ELNS1_3gpuE0ELNS1_3repE0EEENS1_60segmented_radix_sort_warp_sort_medium_config_static_selectorELNS0_4arch9wavefront6targetE1EEEvSH_.has_dyn_sized_stack, 0
	.set _ZN7rocprim17ROCPRIM_400000_NS6detail17trampoline_kernelINS0_14default_configENS1_36segmented_radix_sort_config_selectorIllEEZNS1_25segmented_radix_sort_implIS3_Lb0EPKlPlS8_S9_N2at6native12_GLOBAL__N_18offset_tEEE10hipError_tPvRmT1_PNSt15iterator_traitsISH_E10value_typeET2_T3_PNSI_ISN_E10value_typeET4_jRbjT5_ST_jjP12ihipStream_tbEUlT_E0_NS1_11comp_targetILNS1_3genE0ELNS1_11target_archE4294967295ELNS1_3gpuE0ELNS1_3repE0EEENS1_60segmented_radix_sort_warp_sort_medium_config_static_selectorELNS0_4arch9wavefront6targetE1EEEvSH_.has_recursion, 0
	.set _ZN7rocprim17ROCPRIM_400000_NS6detail17trampoline_kernelINS0_14default_configENS1_36segmented_radix_sort_config_selectorIllEEZNS1_25segmented_radix_sort_implIS3_Lb0EPKlPlS8_S9_N2at6native12_GLOBAL__N_18offset_tEEE10hipError_tPvRmT1_PNSt15iterator_traitsISH_E10value_typeET2_T3_PNSI_ISN_E10value_typeET4_jRbjT5_ST_jjP12ihipStream_tbEUlT_E0_NS1_11comp_targetILNS1_3genE0ELNS1_11target_archE4294967295ELNS1_3gpuE0ELNS1_3repE0EEENS1_60segmented_radix_sort_warp_sort_medium_config_static_selectorELNS0_4arch9wavefront6targetE1EEEvSH_.has_indirect_call, 0
	.section	.AMDGPU.csdata,"",@progbits
; Kernel info:
; codeLenInByte = 0
; TotalNumSgprs: 4
; NumVgprs: 0
; ScratchSize: 0
; MemoryBound: 0
; FloatMode: 240
; IeeeMode: 1
; LDSByteSize: 0 bytes/workgroup (compile time only)
; SGPRBlocks: 0
; VGPRBlocks: 0
; NumSGPRsForWavesPerEU: 4
; NumVGPRsForWavesPerEU: 1
; Occupancy: 10
; WaveLimiterHint : 0
; COMPUTE_PGM_RSRC2:SCRATCH_EN: 0
; COMPUTE_PGM_RSRC2:USER_SGPR: 6
; COMPUTE_PGM_RSRC2:TRAP_HANDLER: 0
; COMPUTE_PGM_RSRC2:TGID_X_EN: 1
; COMPUTE_PGM_RSRC2:TGID_Y_EN: 0
; COMPUTE_PGM_RSRC2:TGID_Z_EN: 0
; COMPUTE_PGM_RSRC2:TIDIG_COMP_CNT: 0
	.section	.text._ZN7rocprim17ROCPRIM_400000_NS6detail17trampoline_kernelINS0_14default_configENS1_36segmented_radix_sort_config_selectorIllEEZNS1_25segmented_radix_sort_implIS3_Lb0EPKlPlS8_S9_N2at6native12_GLOBAL__N_18offset_tEEE10hipError_tPvRmT1_PNSt15iterator_traitsISH_E10value_typeET2_T3_PNSI_ISN_E10value_typeET4_jRbjT5_ST_jjP12ihipStream_tbEUlT_E0_NS1_11comp_targetILNS1_3genE5ELNS1_11target_archE942ELNS1_3gpuE9ELNS1_3repE0EEENS1_60segmented_radix_sort_warp_sort_medium_config_static_selectorELNS0_4arch9wavefront6targetE1EEEvSH_,"axG",@progbits,_ZN7rocprim17ROCPRIM_400000_NS6detail17trampoline_kernelINS0_14default_configENS1_36segmented_radix_sort_config_selectorIllEEZNS1_25segmented_radix_sort_implIS3_Lb0EPKlPlS8_S9_N2at6native12_GLOBAL__N_18offset_tEEE10hipError_tPvRmT1_PNSt15iterator_traitsISH_E10value_typeET2_T3_PNSI_ISN_E10value_typeET4_jRbjT5_ST_jjP12ihipStream_tbEUlT_E0_NS1_11comp_targetILNS1_3genE5ELNS1_11target_archE942ELNS1_3gpuE9ELNS1_3repE0EEENS1_60segmented_radix_sort_warp_sort_medium_config_static_selectorELNS0_4arch9wavefront6targetE1EEEvSH_,comdat
	.globl	_ZN7rocprim17ROCPRIM_400000_NS6detail17trampoline_kernelINS0_14default_configENS1_36segmented_radix_sort_config_selectorIllEEZNS1_25segmented_radix_sort_implIS3_Lb0EPKlPlS8_S9_N2at6native12_GLOBAL__N_18offset_tEEE10hipError_tPvRmT1_PNSt15iterator_traitsISH_E10value_typeET2_T3_PNSI_ISN_E10value_typeET4_jRbjT5_ST_jjP12ihipStream_tbEUlT_E0_NS1_11comp_targetILNS1_3genE5ELNS1_11target_archE942ELNS1_3gpuE9ELNS1_3repE0EEENS1_60segmented_radix_sort_warp_sort_medium_config_static_selectorELNS0_4arch9wavefront6targetE1EEEvSH_ ; -- Begin function _ZN7rocprim17ROCPRIM_400000_NS6detail17trampoline_kernelINS0_14default_configENS1_36segmented_radix_sort_config_selectorIllEEZNS1_25segmented_radix_sort_implIS3_Lb0EPKlPlS8_S9_N2at6native12_GLOBAL__N_18offset_tEEE10hipError_tPvRmT1_PNSt15iterator_traitsISH_E10value_typeET2_T3_PNSI_ISN_E10value_typeET4_jRbjT5_ST_jjP12ihipStream_tbEUlT_E0_NS1_11comp_targetILNS1_3genE5ELNS1_11target_archE942ELNS1_3gpuE9ELNS1_3repE0EEENS1_60segmented_radix_sort_warp_sort_medium_config_static_selectorELNS0_4arch9wavefront6targetE1EEEvSH_
	.p2align	8
	.type	_ZN7rocprim17ROCPRIM_400000_NS6detail17trampoline_kernelINS0_14default_configENS1_36segmented_radix_sort_config_selectorIllEEZNS1_25segmented_radix_sort_implIS3_Lb0EPKlPlS8_S9_N2at6native12_GLOBAL__N_18offset_tEEE10hipError_tPvRmT1_PNSt15iterator_traitsISH_E10value_typeET2_T3_PNSI_ISN_E10value_typeET4_jRbjT5_ST_jjP12ihipStream_tbEUlT_E0_NS1_11comp_targetILNS1_3genE5ELNS1_11target_archE942ELNS1_3gpuE9ELNS1_3repE0EEENS1_60segmented_radix_sort_warp_sort_medium_config_static_selectorELNS0_4arch9wavefront6targetE1EEEvSH_,@function
_ZN7rocprim17ROCPRIM_400000_NS6detail17trampoline_kernelINS0_14default_configENS1_36segmented_radix_sort_config_selectorIllEEZNS1_25segmented_radix_sort_implIS3_Lb0EPKlPlS8_S9_N2at6native12_GLOBAL__N_18offset_tEEE10hipError_tPvRmT1_PNSt15iterator_traitsISH_E10value_typeET2_T3_PNSI_ISN_E10value_typeET4_jRbjT5_ST_jjP12ihipStream_tbEUlT_E0_NS1_11comp_targetILNS1_3genE5ELNS1_11target_archE942ELNS1_3gpuE9ELNS1_3repE0EEENS1_60segmented_radix_sort_warp_sort_medium_config_static_selectorELNS0_4arch9wavefront6targetE1EEEvSH_: ; @_ZN7rocprim17ROCPRIM_400000_NS6detail17trampoline_kernelINS0_14default_configENS1_36segmented_radix_sort_config_selectorIllEEZNS1_25segmented_radix_sort_implIS3_Lb0EPKlPlS8_S9_N2at6native12_GLOBAL__N_18offset_tEEE10hipError_tPvRmT1_PNSt15iterator_traitsISH_E10value_typeET2_T3_PNSI_ISN_E10value_typeET4_jRbjT5_ST_jjP12ihipStream_tbEUlT_E0_NS1_11comp_targetILNS1_3genE5ELNS1_11target_archE942ELNS1_3gpuE9ELNS1_3repE0EEENS1_60segmented_radix_sort_warp_sort_medium_config_static_selectorELNS0_4arch9wavefront6targetE1EEEvSH_
; %bb.0:
	.section	.rodata,"a",@progbits
	.p2align	6, 0x0
	.amdhsa_kernel _ZN7rocprim17ROCPRIM_400000_NS6detail17trampoline_kernelINS0_14default_configENS1_36segmented_radix_sort_config_selectorIllEEZNS1_25segmented_radix_sort_implIS3_Lb0EPKlPlS8_S9_N2at6native12_GLOBAL__N_18offset_tEEE10hipError_tPvRmT1_PNSt15iterator_traitsISH_E10value_typeET2_T3_PNSI_ISN_E10value_typeET4_jRbjT5_ST_jjP12ihipStream_tbEUlT_E0_NS1_11comp_targetILNS1_3genE5ELNS1_11target_archE942ELNS1_3gpuE9ELNS1_3repE0EEENS1_60segmented_radix_sort_warp_sort_medium_config_static_selectorELNS0_4arch9wavefront6targetE1EEEvSH_
		.amdhsa_group_segment_fixed_size 0
		.amdhsa_private_segment_fixed_size 0
		.amdhsa_kernarg_size 88
		.amdhsa_user_sgpr_count 6
		.amdhsa_user_sgpr_private_segment_buffer 1
		.amdhsa_user_sgpr_dispatch_ptr 0
		.amdhsa_user_sgpr_queue_ptr 0
		.amdhsa_user_sgpr_kernarg_segment_ptr 1
		.amdhsa_user_sgpr_dispatch_id 0
		.amdhsa_user_sgpr_flat_scratch_init 0
		.amdhsa_user_sgpr_private_segment_size 0
		.amdhsa_uses_dynamic_stack 0
		.amdhsa_system_sgpr_private_segment_wavefront_offset 0
		.amdhsa_system_sgpr_workgroup_id_x 1
		.amdhsa_system_sgpr_workgroup_id_y 0
		.amdhsa_system_sgpr_workgroup_id_z 0
		.amdhsa_system_sgpr_workgroup_info 0
		.amdhsa_system_vgpr_workitem_id 0
		.amdhsa_next_free_vgpr 1
		.amdhsa_next_free_sgpr 0
		.amdhsa_reserve_vcc 0
		.amdhsa_reserve_flat_scratch 0
		.amdhsa_float_round_mode_32 0
		.amdhsa_float_round_mode_16_64 0
		.amdhsa_float_denorm_mode_32 3
		.amdhsa_float_denorm_mode_16_64 3
		.amdhsa_dx10_clamp 1
		.amdhsa_ieee_mode 1
		.amdhsa_fp16_overflow 0
		.amdhsa_exception_fp_ieee_invalid_op 0
		.amdhsa_exception_fp_denorm_src 0
		.amdhsa_exception_fp_ieee_div_zero 0
		.amdhsa_exception_fp_ieee_overflow 0
		.amdhsa_exception_fp_ieee_underflow 0
		.amdhsa_exception_fp_ieee_inexact 0
		.amdhsa_exception_int_div_zero 0
	.end_amdhsa_kernel
	.section	.text._ZN7rocprim17ROCPRIM_400000_NS6detail17trampoline_kernelINS0_14default_configENS1_36segmented_radix_sort_config_selectorIllEEZNS1_25segmented_radix_sort_implIS3_Lb0EPKlPlS8_S9_N2at6native12_GLOBAL__N_18offset_tEEE10hipError_tPvRmT1_PNSt15iterator_traitsISH_E10value_typeET2_T3_PNSI_ISN_E10value_typeET4_jRbjT5_ST_jjP12ihipStream_tbEUlT_E0_NS1_11comp_targetILNS1_3genE5ELNS1_11target_archE942ELNS1_3gpuE9ELNS1_3repE0EEENS1_60segmented_radix_sort_warp_sort_medium_config_static_selectorELNS0_4arch9wavefront6targetE1EEEvSH_,"axG",@progbits,_ZN7rocprim17ROCPRIM_400000_NS6detail17trampoline_kernelINS0_14default_configENS1_36segmented_radix_sort_config_selectorIllEEZNS1_25segmented_radix_sort_implIS3_Lb0EPKlPlS8_S9_N2at6native12_GLOBAL__N_18offset_tEEE10hipError_tPvRmT1_PNSt15iterator_traitsISH_E10value_typeET2_T3_PNSI_ISN_E10value_typeET4_jRbjT5_ST_jjP12ihipStream_tbEUlT_E0_NS1_11comp_targetILNS1_3genE5ELNS1_11target_archE942ELNS1_3gpuE9ELNS1_3repE0EEENS1_60segmented_radix_sort_warp_sort_medium_config_static_selectorELNS0_4arch9wavefront6targetE1EEEvSH_,comdat
.Lfunc_end818:
	.size	_ZN7rocprim17ROCPRIM_400000_NS6detail17trampoline_kernelINS0_14default_configENS1_36segmented_radix_sort_config_selectorIllEEZNS1_25segmented_radix_sort_implIS3_Lb0EPKlPlS8_S9_N2at6native12_GLOBAL__N_18offset_tEEE10hipError_tPvRmT1_PNSt15iterator_traitsISH_E10value_typeET2_T3_PNSI_ISN_E10value_typeET4_jRbjT5_ST_jjP12ihipStream_tbEUlT_E0_NS1_11comp_targetILNS1_3genE5ELNS1_11target_archE942ELNS1_3gpuE9ELNS1_3repE0EEENS1_60segmented_radix_sort_warp_sort_medium_config_static_selectorELNS0_4arch9wavefront6targetE1EEEvSH_, .Lfunc_end818-_ZN7rocprim17ROCPRIM_400000_NS6detail17trampoline_kernelINS0_14default_configENS1_36segmented_radix_sort_config_selectorIllEEZNS1_25segmented_radix_sort_implIS3_Lb0EPKlPlS8_S9_N2at6native12_GLOBAL__N_18offset_tEEE10hipError_tPvRmT1_PNSt15iterator_traitsISH_E10value_typeET2_T3_PNSI_ISN_E10value_typeET4_jRbjT5_ST_jjP12ihipStream_tbEUlT_E0_NS1_11comp_targetILNS1_3genE5ELNS1_11target_archE942ELNS1_3gpuE9ELNS1_3repE0EEENS1_60segmented_radix_sort_warp_sort_medium_config_static_selectorELNS0_4arch9wavefront6targetE1EEEvSH_
                                        ; -- End function
	.set _ZN7rocprim17ROCPRIM_400000_NS6detail17trampoline_kernelINS0_14default_configENS1_36segmented_radix_sort_config_selectorIllEEZNS1_25segmented_radix_sort_implIS3_Lb0EPKlPlS8_S9_N2at6native12_GLOBAL__N_18offset_tEEE10hipError_tPvRmT1_PNSt15iterator_traitsISH_E10value_typeET2_T3_PNSI_ISN_E10value_typeET4_jRbjT5_ST_jjP12ihipStream_tbEUlT_E0_NS1_11comp_targetILNS1_3genE5ELNS1_11target_archE942ELNS1_3gpuE9ELNS1_3repE0EEENS1_60segmented_radix_sort_warp_sort_medium_config_static_selectorELNS0_4arch9wavefront6targetE1EEEvSH_.num_vgpr, 0
	.set _ZN7rocprim17ROCPRIM_400000_NS6detail17trampoline_kernelINS0_14default_configENS1_36segmented_radix_sort_config_selectorIllEEZNS1_25segmented_radix_sort_implIS3_Lb0EPKlPlS8_S9_N2at6native12_GLOBAL__N_18offset_tEEE10hipError_tPvRmT1_PNSt15iterator_traitsISH_E10value_typeET2_T3_PNSI_ISN_E10value_typeET4_jRbjT5_ST_jjP12ihipStream_tbEUlT_E0_NS1_11comp_targetILNS1_3genE5ELNS1_11target_archE942ELNS1_3gpuE9ELNS1_3repE0EEENS1_60segmented_radix_sort_warp_sort_medium_config_static_selectorELNS0_4arch9wavefront6targetE1EEEvSH_.num_agpr, 0
	.set _ZN7rocprim17ROCPRIM_400000_NS6detail17trampoline_kernelINS0_14default_configENS1_36segmented_radix_sort_config_selectorIllEEZNS1_25segmented_radix_sort_implIS3_Lb0EPKlPlS8_S9_N2at6native12_GLOBAL__N_18offset_tEEE10hipError_tPvRmT1_PNSt15iterator_traitsISH_E10value_typeET2_T3_PNSI_ISN_E10value_typeET4_jRbjT5_ST_jjP12ihipStream_tbEUlT_E0_NS1_11comp_targetILNS1_3genE5ELNS1_11target_archE942ELNS1_3gpuE9ELNS1_3repE0EEENS1_60segmented_radix_sort_warp_sort_medium_config_static_selectorELNS0_4arch9wavefront6targetE1EEEvSH_.numbered_sgpr, 0
	.set _ZN7rocprim17ROCPRIM_400000_NS6detail17trampoline_kernelINS0_14default_configENS1_36segmented_radix_sort_config_selectorIllEEZNS1_25segmented_radix_sort_implIS3_Lb0EPKlPlS8_S9_N2at6native12_GLOBAL__N_18offset_tEEE10hipError_tPvRmT1_PNSt15iterator_traitsISH_E10value_typeET2_T3_PNSI_ISN_E10value_typeET4_jRbjT5_ST_jjP12ihipStream_tbEUlT_E0_NS1_11comp_targetILNS1_3genE5ELNS1_11target_archE942ELNS1_3gpuE9ELNS1_3repE0EEENS1_60segmented_radix_sort_warp_sort_medium_config_static_selectorELNS0_4arch9wavefront6targetE1EEEvSH_.num_named_barrier, 0
	.set _ZN7rocprim17ROCPRIM_400000_NS6detail17trampoline_kernelINS0_14default_configENS1_36segmented_radix_sort_config_selectorIllEEZNS1_25segmented_radix_sort_implIS3_Lb0EPKlPlS8_S9_N2at6native12_GLOBAL__N_18offset_tEEE10hipError_tPvRmT1_PNSt15iterator_traitsISH_E10value_typeET2_T3_PNSI_ISN_E10value_typeET4_jRbjT5_ST_jjP12ihipStream_tbEUlT_E0_NS1_11comp_targetILNS1_3genE5ELNS1_11target_archE942ELNS1_3gpuE9ELNS1_3repE0EEENS1_60segmented_radix_sort_warp_sort_medium_config_static_selectorELNS0_4arch9wavefront6targetE1EEEvSH_.private_seg_size, 0
	.set _ZN7rocprim17ROCPRIM_400000_NS6detail17trampoline_kernelINS0_14default_configENS1_36segmented_radix_sort_config_selectorIllEEZNS1_25segmented_radix_sort_implIS3_Lb0EPKlPlS8_S9_N2at6native12_GLOBAL__N_18offset_tEEE10hipError_tPvRmT1_PNSt15iterator_traitsISH_E10value_typeET2_T3_PNSI_ISN_E10value_typeET4_jRbjT5_ST_jjP12ihipStream_tbEUlT_E0_NS1_11comp_targetILNS1_3genE5ELNS1_11target_archE942ELNS1_3gpuE9ELNS1_3repE0EEENS1_60segmented_radix_sort_warp_sort_medium_config_static_selectorELNS0_4arch9wavefront6targetE1EEEvSH_.uses_vcc, 0
	.set _ZN7rocprim17ROCPRIM_400000_NS6detail17trampoline_kernelINS0_14default_configENS1_36segmented_radix_sort_config_selectorIllEEZNS1_25segmented_radix_sort_implIS3_Lb0EPKlPlS8_S9_N2at6native12_GLOBAL__N_18offset_tEEE10hipError_tPvRmT1_PNSt15iterator_traitsISH_E10value_typeET2_T3_PNSI_ISN_E10value_typeET4_jRbjT5_ST_jjP12ihipStream_tbEUlT_E0_NS1_11comp_targetILNS1_3genE5ELNS1_11target_archE942ELNS1_3gpuE9ELNS1_3repE0EEENS1_60segmented_radix_sort_warp_sort_medium_config_static_selectorELNS0_4arch9wavefront6targetE1EEEvSH_.uses_flat_scratch, 0
	.set _ZN7rocprim17ROCPRIM_400000_NS6detail17trampoline_kernelINS0_14default_configENS1_36segmented_radix_sort_config_selectorIllEEZNS1_25segmented_radix_sort_implIS3_Lb0EPKlPlS8_S9_N2at6native12_GLOBAL__N_18offset_tEEE10hipError_tPvRmT1_PNSt15iterator_traitsISH_E10value_typeET2_T3_PNSI_ISN_E10value_typeET4_jRbjT5_ST_jjP12ihipStream_tbEUlT_E0_NS1_11comp_targetILNS1_3genE5ELNS1_11target_archE942ELNS1_3gpuE9ELNS1_3repE0EEENS1_60segmented_radix_sort_warp_sort_medium_config_static_selectorELNS0_4arch9wavefront6targetE1EEEvSH_.has_dyn_sized_stack, 0
	.set _ZN7rocprim17ROCPRIM_400000_NS6detail17trampoline_kernelINS0_14default_configENS1_36segmented_radix_sort_config_selectorIllEEZNS1_25segmented_radix_sort_implIS3_Lb0EPKlPlS8_S9_N2at6native12_GLOBAL__N_18offset_tEEE10hipError_tPvRmT1_PNSt15iterator_traitsISH_E10value_typeET2_T3_PNSI_ISN_E10value_typeET4_jRbjT5_ST_jjP12ihipStream_tbEUlT_E0_NS1_11comp_targetILNS1_3genE5ELNS1_11target_archE942ELNS1_3gpuE9ELNS1_3repE0EEENS1_60segmented_radix_sort_warp_sort_medium_config_static_selectorELNS0_4arch9wavefront6targetE1EEEvSH_.has_recursion, 0
	.set _ZN7rocprim17ROCPRIM_400000_NS6detail17trampoline_kernelINS0_14default_configENS1_36segmented_radix_sort_config_selectorIllEEZNS1_25segmented_radix_sort_implIS3_Lb0EPKlPlS8_S9_N2at6native12_GLOBAL__N_18offset_tEEE10hipError_tPvRmT1_PNSt15iterator_traitsISH_E10value_typeET2_T3_PNSI_ISN_E10value_typeET4_jRbjT5_ST_jjP12ihipStream_tbEUlT_E0_NS1_11comp_targetILNS1_3genE5ELNS1_11target_archE942ELNS1_3gpuE9ELNS1_3repE0EEENS1_60segmented_radix_sort_warp_sort_medium_config_static_selectorELNS0_4arch9wavefront6targetE1EEEvSH_.has_indirect_call, 0
	.section	.AMDGPU.csdata,"",@progbits
; Kernel info:
; codeLenInByte = 0
; TotalNumSgprs: 4
; NumVgprs: 0
; ScratchSize: 0
; MemoryBound: 0
; FloatMode: 240
; IeeeMode: 1
; LDSByteSize: 0 bytes/workgroup (compile time only)
; SGPRBlocks: 0
; VGPRBlocks: 0
; NumSGPRsForWavesPerEU: 4
; NumVGPRsForWavesPerEU: 1
; Occupancy: 10
; WaveLimiterHint : 0
; COMPUTE_PGM_RSRC2:SCRATCH_EN: 0
; COMPUTE_PGM_RSRC2:USER_SGPR: 6
; COMPUTE_PGM_RSRC2:TRAP_HANDLER: 0
; COMPUTE_PGM_RSRC2:TGID_X_EN: 1
; COMPUTE_PGM_RSRC2:TGID_Y_EN: 0
; COMPUTE_PGM_RSRC2:TGID_Z_EN: 0
; COMPUTE_PGM_RSRC2:TIDIG_COMP_CNT: 0
	.section	.text._ZN7rocprim17ROCPRIM_400000_NS6detail17trampoline_kernelINS0_14default_configENS1_36segmented_radix_sort_config_selectorIllEEZNS1_25segmented_radix_sort_implIS3_Lb0EPKlPlS8_S9_N2at6native12_GLOBAL__N_18offset_tEEE10hipError_tPvRmT1_PNSt15iterator_traitsISH_E10value_typeET2_T3_PNSI_ISN_E10value_typeET4_jRbjT5_ST_jjP12ihipStream_tbEUlT_E0_NS1_11comp_targetILNS1_3genE4ELNS1_11target_archE910ELNS1_3gpuE8ELNS1_3repE0EEENS1_60segmented_radix_sort_warp_sort_medium_config_static_selectorELNS0_4arch9wavefront6targetE1EEEvSH_,"axG",@progbits,_ZN7rocprim17ROCPRIM_400000_NS6detail17trampoline_kernelINS0_14default_configENS1_36segmented_radix_sort_config_selectorIllEEZNS1_25segmented_radix_sort_implIS3_Lb0EPKlPlS8_S9_N2at6native12_GLOBAL__N_18offset_tEEE10hipError_tPvRmT1_PNSt15iterator_traitsISH_E10value_typeET2_T3_PNSI_ISN_E10value_typeET4_jRbjT5_ST_jjP12ihipStream_tbEUlT_E0_NS1_11comp_targetILNS1_3genE4ELNS1_11target_archE910ELNS1_3gpuE8ELNS1_3repE0EEENS1_60segmented_radix_sort_warp_sort_medium_config_static_selectorELNS0_4arch9wavefront6targetE1EEEvSH_,comdat
	.globl	_ZN7rocprim17ROCPRIM_400000_NS6detail17trampoline_kernelINS0_14default_configENS1_36segmented_radix_sort_config_selectorIllEEZNS1_25segmented_radix_sort_implIS3_Lb0EPKlPlS8_S9_N2at6native12_GLOBAL__N_18offset_tEEE10hipError_tPvRmT1_PNSt15iterator_traitsISH_E10value_typeET2_T3_PNSI_ISN_E10value_typeET4_jRbjT5_ST_jjP12ihipStream_tbEUlT_E0_NS1_11comp_targetILNS1_3genE4ELNS1_11target_archE910ELNS1_3gpuE8ELNS1_3repE0EEENS1_60segmented_radix_sort_warp_sort_medium_config_static_selectorELNS0_4arch9wavefront6targetE1EEEvSH_ ; -- Begin function _ZN7rocprim17ROCPRIM_400000_NS6detail17trampoline_kernelINS0_14default_configENS1_36segmented_radix_sort_config_selectorIllEEZNS1_25segmented_radix_sort_implIS3_Lb0EPKlPlS8_S9_N2at6native12_GLOBAL__N_18offset_tEEE10hipError_tPvRmT1_PNSt15iterator_traitsISH_E10value_typeET2_T3_PNSI_ISN_E10value_typeET4_jRbjT5_ST_jjP12ihipStream_tbEUlT_E0_NS1_11comp_targetILNS1_3genE4ELNS1_11target_archE910ELNS1_3gpuE8ELNS1_3repE0EEENS1_60segmented_radix_sort_warp_sort_medium_config_static_selectorELNS0_4arch9wavefront6targetE1EEEvSH_
	.p2align	8
	.type	_ZN7rocprim17ROCPRIM_400000_NS6detail17trampoline_kernelINS0_14default_configENS1_36segmented_radix_sort_config_selectorIllEEZNS1_25segmented_radix_sort_implIS3_Lb0EPKlPlS8_S9_N2at6native12_GLOBAL__N_18offset_tEEE10hipError_tPvRmT1_PNSt15iterator_traitsISH_E10value_typeET2_T3_PNSI_ISN_E10value_typeET4_jRbjT5_ST_jjP12ihipStream_tbEUlT_E0_NS1_11comp_targetILNS1_3genE4ELNS1_11target_archE910ELNS1_3gpuE8ELNS1_3repE0EEENS1_60segmented_radix_sort_warp_sort_medium_config_static_selectorELNS0_4arch9wavefront6targetE1EEEvSH_,@function
_ZN7rocprim17ROCPRIM_400000_NS6detail17trampoline_kernelINS0_14default_configENS1_36segmented_radix_sort_config_selectorIllEEZNS1_25segmented_radix_sort_implIS3_Lb0EPKlPlS8_S9_N2at6native12_GLOBAL__N_18offset_tEEE10hipError_tPvRmT1_PNSt15iterator_traitsISH_E10value_typeET2_T3_PNSI_ISN_E10value_typeET4_jRbjT5_ST_jjP12ihipStream_tbEUlT_E0_NS1_11comp_targetILNS1_3genE4ELNS1_11target_archE910ELNS1_3gpuE8ELNS1_3repE0EEENS1_60segmented_radix_sort_warp_sort_medium_config_static_selectorELNS0_4arch9wavefront6targetE1EEEvSH_: ; @_ZN7rocprim17ROCPRIM_400000_NS6detail17trampoline_kernelINS0_14default_configENS1_36segmented_radix_sort_config_selectorIllEEZNS1_25segmented_radix_sort_implIS3_Lb0EPKlPlS8_S9_N2at6native12_GLOBAL__N_18offset_tEEE10hipError_tPvRmT1_PNSt15iterator_traitsISH_E10value_typeET2_T3_PNSI_ISN_E10value_typeET4_jRbjT5_ST_jjP12ihipStream_tbEUlT_E0_NS1_11comp_targetILNS1_3genE4ELNS1_11target_archE910ELNS1_3gpuE8ELNS1_3repE0EEENS1_60segmented_radix_sort_warp_sort_medium_config_static_selectorELNS0_4arch9wavefront6targetE1EEEvSH_
; %bb.0:
	.section	.rodata,"a",@progbits
	.p2align	6, 0x0
	.amdhsa_kernel _ZN7rocprim17ROCPRIM_400000_NS6detail17trampoline_kernelINS0_14default_configENS1_36segmented_radix_sort_config_selectorIllEEZNS1_25segmented_radix_sort_implIS3_Lb0EPKlPlS8_S9_N2at6native12_GLOBAL__N_18offset_tEEE10hipError_tPvRmT1_PNSt15iterator_traitsISH_E10value_typeET2_T3_PNSI_ISN_E10value_typeET4_jRbjT5_ST_jjP12ihipStream_tbEUlT_E0_NS1_11comp_targetILNS1_3genE4ELNS1_11target_archE910ELNS1_3gpuE8ELNS1_3repE0EEENS1_60segmented_radix_sort_warp_sort_medium_config_static_selectorELNS0_4arch9wavefront6targetE1EEEvSH_
		.amdhsa_group_segment_fixed_size 0
		.amdhsa_private_segment_fixed_size 0
		.amdhsa_kernarg_size 88
		.amdhsa_user_sgpr_count 6
		.amdhsa_user_sgpr_private_segment_buffer 1
		.amdhsa_user_sgpr_dispatch_ptr 0
		.amdhsa_user_sgpr_queue_ptr 0
		.amdhsa_user_sgpr_kernarg_segment_ptr 1
		.amdhsa_user_sgpr_dispatch_id 0
		.amdhsa_user_sgpr_flat_scratch_init 0
		.amdhsa_user_sgpr_private_segment_size 0
		.amdhsa_uses_dynamic_stack 0
		.amdhsa_system_sgpr_private_segment_wavefront_offset 0
		.amdhsa_system_sgpr_workgroup_id_x 1
		.amdhsa_system_sgpr_workgroup_id_y 0
		.amdhsa_system_sgpr_workgroup_id_z 0
		.amdhsa_system_sgpr_workgroup_info 0
		.amdhsa_system_vgpr_workitem_id 0
		.amdhsa_next_free_vgpr 1
		.amdhsa_next_free_sgpr 0
		.amdhsa_reserve_vcc 0
		.amdhsa_reserve_flat_scratch 0
		.amdhsa_float_round_mode_32 0
		.amdhsa_float_round_mode_16_64 0
		.amdhsa_float_denorm_mode_32 3
		.amdhsa_float_denorm_mode_16_64 3
		.amdhsa_dx10_clamp 1
		.amdhsa_ieee_mode 1
		.amdhsa_fp16_overflow 0
		.amdhsa_exception_fp_ieee_invalid_op 0
		.amdhsa_exception_fp_denorm_src 0
		.amdhsa_exception_fp_ieee_div_zero 0
		.amdhsa_exception_fp_ieee_overflow 0
		.amdhsa_exception_fp_ieee_underflow 0
		.amdhsa_exception_fp_ieee_inexact 0
		.amdhsa_exception_int_div_zero 0
	.end_amdhsa_kernel
	.section	.text._ZN7rocprim17ROCPRIM_400000_NS6detail17trampoline_kernelINS0_14default_configENS1_36segmented_radix_sort_config_selectorIllEEZNS1_25segmented_radix_sort_implIS3_Lb0EPKlPlS8_S9_N2at6native12_GLOBAL__N_18offset_tEEE10hipError_tPvRmT1_PNSt15iterator_traitsISH_E10value_typeET2_T3_PNSI_ISN_E10value_typeET4_jRbjT5_ST_jjP12ihipStream_tbEUlT_E0_NS1_11comp_targetILNS1_3genE4ELNS1_11target_archE910ELNS1_3gpuE8ELNS1_3repE0EEENS1_60segmented_radix_sort_warp_sort_medium_config_static_selectorELNS0_4arch9wavefront6targetE1EEEvSH_,"axG",@progbits,_ZN7rocprim17ROCPRIM_400000_NS6detail17trampoline_kernelINS0_14default_configENS1_36segmented_radix_sort_config_selectorIllEEZNS1_25segmented_radix_sort_implIS3_Lb0EPKlPlS8_S9_N2at6native12_GLOBAL__N_18offset_tEEE10hipError_tPvRmT1_PNSt15iterator_traitsISH_E10value_typeET2_T3_PNSI_ISN_E10value_typeET4_jRbjT5_ST_jjP12ihipStream_tbEUlT_E0_NS1_11comp_targetILNS1_3genE4ELNS1_11target_archE910ELNS1_3gpuE8ELNS1_3repE0EEENS1_60segmented_radix_sort_warp_sort_medium_config_static_selectorELNS0_4arch9wavefront6targetE1EEEvSH_,comdat
.Lfunc_end819:
	.size	_ZN7rocprim17ROCPRIM_400000_NS6detail17trampoline_kernelINS0_14default_configENS1_36segmented_radix_sort_config_selectorIllEEZNS1_25segmented_radix_sort_implIS3_Lb0EPKlPlS8_S9_N2at6native12_GLOBAL__N_18offset_tEEE10hipError_tPvRmT1_PNSt15iterator_traitsISH_E10value_typeET2_T3_PNSI_ISN_E10value_typeET4_jRbjT5_ST_jjP12ihipStream_tbEUlT_E0_NS1_11comp_targetILNS1_3genE4ELNS1_11target_archE910ELNS1_3gpuE8ELNS1_3repE0EEENS1_60segmented_radix_sort_warp_sort_medium_config_static_selectorELNS0_4arch9wavefront6targetE1EEEvSH_, .Lfunc_end819-_ZN7rocprim17ROCPRIM_400000_NS6detail17trampoline_kernelINS0_14default_configENS1_36segmented_radix_sort_config_selectorIllEEZNS1_25segmented_radix_sort_implIS3_Lb0EPKlPlS8_S9_N2at6native12_GLOBAL__N_18offset_tEEE10hipError_tPvRmT1_PNSt15iterator_traitsISH_E10value_typeET2_T3_PNSI_ISN_E10value_typeET4_jRbjT5_ST_jjP12ihipStream_tbEUlT_E0_NS1_11comp_targetILNS1_3genE4ELNS1_11target_archE910ELNS1_3gpuE8ELNS1_3repE0EEENS1_60segmented_radix_sort_warp_sort_medium_config_static_selectorELNS0_4arch9wavefront6targetE1EEEvSH_
                                        ; -- End function
	.set _ZN7rocprim17ROCPRIM_400000_NS6detail17trampoline_kernelINS0_14default_configENS1_36segmented_radix_sort_config_selectorIllEEZNS1_25segmented_radix_sort_implIS3_Lb0EPKlPlS8_S9_N2at6native12_GLOBAL__N_18offset_tEEE10hipError_tPvRmT1_PNSt15iterator_traitsISH_E10value_typeET2_T3_PNSI_ISN_E10value_typeET4_jRbjT5_ST_jjP12ihipStream_tbEUlT_E0_NS1_11comp_targetILNS1_3genE4ELNS1_11target_archE910ELNS1_3gpuE8ELNS1_3repE0EEENS1_60segmented_radix_sort_warp_sort_medium_config_static_selectorELNS0_4arch9wavefront6targetE1EEEvSH_.num_vgpr, 0
	.set _ZN7rocprim17ROCPRIM_400000_NS6detail17trampoline_kernelINS0_14default_configENS1_36segmented_radix_sort_config_selectorIllEEZNS1_25segmented_radix_sort_implIS3_Lb0EPKlPlS8_S9_N2at6native12_GLOBAL__N_18offset_tEEE10hipError_tPvRmT1_PNSt15iterator_traitsISH_E10value_typeET2_T3_PNSI_ISN_E10value_typeET4_jRbjT5_ST_jjP12ihipStream_tbEUlT_E0_NS1_11comp_targetILNS1_3genE4ELNS1_11target_archE910ELNS1_3gpuE8ELNS1_3repE0EEENS1_60segmented_radix_sort_warp_sort_medium_config_static_selectorELNS0_4arch9wavefront6targetE1EEEvSH_.num_agpr, 0
	.set _ZN7rocprim17ROCPRIM_400000_NS6detail17trampoline_kernelINS0_14default_configENS1_36segmented_radix_sort_config_selectorIllEEZNS1_25segmented_radix_sort_implIS3_Lb0EPKlPlS8_S9_N2at6native12_GLOBAL__N_18offset_tEEE10hipError_tPvRmT1_PNSt15iterator_traitsISH_E10value_typeET2_T3_PNSI_ISN_E10value_typeET4_jRbjT5_ST_jjP12ihipStream_tbEUlT_E0_NS1_11comp_targetILNS1_3genE4ELNS1_11target_archE910ELNS1_3gpuE8ELNS1_3repE0EEENS1_60segmented_radix_sort_warp_sort_medium_config_static_selectorELNS0_4arch9wavefront6targetE1EEEvSH_.numbered_sgpr, 0
	.set _ZN7rocprim17ROCPRIM_400000_NS6detail17trampoline_kernelINS0_14default_configENS1_36segmented_radix_sort_config_selectorIllEEZNS1_25segmented_radix_sort_implIS3_Lb0EPKlPlS8_S9_N2at6native12_GLOBAL__N_18offset_tEEE10hipError_tPvRmT1_PNSt15iterator_traitsISH_E10value_typeET2_T3_PNSI_ISN_E10value_typeET4_jRbjT5_ST_jjP12ihipStream_tbEUlT_E0_NS1_11comp_targetILNS1_3genE4ELNS1_11target_archE910ELNS1_3gpuE8ELNS1_3repE0EEENS1_60segmented_radix_sort_warp_sort_medium_config_static_selectorELNS0_4arch9wavefront6targetE1EEEvSH_.num_named_barrier, 0
	.set _ZN7rocprim17ROCPRIM_400000_NS6detail17trampoline_kernelINS0_14default_configENS1_36segmented_radix_sort_config_selectorIllEEZNS1_25segmented_radix_sort_implIS3_Lb0EPKlPlS8_S9_N2at6native12_GLOBAL__N_18offset_tEEE10hipError_tPvRmT1_PNSt15iterator_traitsISH_E10value_typeET2_T3_PNSI_ISN_E10value_typeET4_jRbjT5_ST_jjP12ihipStream_tbEUlT_E0_NS1_11comp_targetILNS1_3genE4ELNS1_11target_archE910ELNS1_3gpuE8ELNS1_3repE0EEENS1_60segmented_radix_sort_warp_sort_medium_config_static_selectorELNS0_4arch9wavefront6targetE1EEEvSH_.private_seg_size, 0
	.set _ZN7rocprim17ROCPRIM_400000_NS6detail17trampoline_kernelINS0_14default_configENS1_36segmented_radix_sort_config_selectorIllEEZNS1_25segmented_radix_sort_implIS3_Lb0EPKlPlS8_S9_N2at6native12_GLOBAL__N_18offset_tEEE10hipError_tPvRmT1_PNSt15iterator_traitsISH_E10value_typeET2_T3_PNSI_ISN_E10value_typeET4_jRbjT5_ST_jjP12ihipStream_tbEUlT_E0_NS1_11comp_targetILNS1_3genE4ELNS1_11target_archE910ELNS1_3gpuE8ELNS1_3repE0EEENS1_60segmented_radix_sort_warp_sort_medium_config_static_selectorELNS0_4arch9wavefront6targetE1EEEvSH_.uses_vcc, 0
	.set _ZN7rocprim17ROCPRIM_400000_NS6detail17trampoline_kernelINS0_14default_configENS1_36segmented_radix_sort_config_selectorIllEEZNS1_25segmented_radix_sort_implIS3_Lb0EPKlPlS8_S9_N2at6native12_GLOBAL__N_18offset_tEEE10hipError_tPvRmT1_PNSt15iterator_traitsISH_E10value_typeET2_T3_PNSI_ISN_E10value_typeET4_jRbjT5_ST_jjP12ihipStream_tbEUlT_E0_NS1_11comp_targetILNS1_3genE4ELNS1_11target_archE910ELNS1_3gpuE8ELNS1_3repE0EEENS1_60segmented_radix_sort_warp_sort_medium_config_static_selectorELNS0_4arch9wavefront6targetE1EEEvSH_.uses_flat_scratch, 0
	.set _ZN7rocprim17ROCPRIM_400000_NS6detail17trampoline_kernelINS0_14default_configENS1_36segmented_radix_sort_config_selectorIllEEZNS1_25segmented_radix_sort_implIS3_Lb0EPKlPlS8_S9_N2at6native12_GLOBAL__N_18offset_tEEE10hipError_tPvRmT1_PNSt15iterator_traitsISH_E10value_typeET2_T3_PNSI_ISN_E10value_typeET4_jRbjT5_ST_jjP12ihipStream_tbEUlT_E0_NS1_11comp_targetILNS1_3genE4ELNS1_11target_archE910ELNS1_3gpuE8ELNS1_3repE0EEENS1_60segmented_radix_sort_warp_sort_medium_config_static_selectorELNS0_4arch9wavefront6targetE1EEEvSH_.has_dyn_sized_stack, 0
	.set _ZN7rocprim17ROCPRIM_400000_NS6detail17trampoline_kernelINS0_14default_configENS1_36segmented_radix_sort_config_selectorIllEEZNS1_25segmented_radix_sort_implIS3_Lb0EPKlPlS8_S9_N2at6native12_GLOBAL__N_18offset_tEEE10hipError_tPvRmT1_PNSt15iterator_traitsISH_E10value_typeET2_T3_PNSI_ISN_E10value_typeET4_jRbjT5_ST_jjP12ihipStream_tbEUlT_E0_NS1_11comp_targetILNS1_3genE4ELNS1_11target_archE910ELNS1_3gpuE8ELNS1_3repE0EEENS1_60segmented_radix_sort_warp_sort_medium_config_static_selectorELNS0_4arch9wavefront6targetE1EEEvSH_.has_recursion, 0
	.set _ZN7rocprim17ROCPRIM_400000_NS6detail17trampoline_kernelINS0_14default_configENS1_36segmented_radix_sort_config_selectorIllEEZNS1_25segmented_radix_sort_implIS3_Lb0EPKlPlS8_S9_N2at6native12_GLOBAL__N_18offset_tEEE10hipError_tPvRmT1_PNSt15iterator_traitsISH_E10value_typeET2_T3_PNSI_ISN_E10value_typeET4_jRbjT5_ST_jjP12ihipStream_tbEUlT_E0_NS1_11comp_targetILNS1_3genE4ELNS1_11target_archE910ELNS1_3gpuE8ELNS1_3repE0EEENS1_60segmented_radix_sort_warp_sort_medium_config_static_selectorELNS0_4arch9wavefront6targetE1EEEvSH_.has_indirect_call, 0
	.section	.AMDGPU.csdata,"",@progbits
; Kernel info:
; codeLenInByte = 0
; TotalNumSgprs: 4
; NumVgprs: 0
; ScratchSize: 0
; MemoryBound: 0
; FloatMode: 240
; IeeeMode: 1
; LDSByteSize: 0 bytes/workgroup (compile time only)
; SGPRBlocks: 0
; VGPRBlocks: 0
; NumSGPRsForWavesPerEU: 4
; NumVGPRsForWavesPerEU: 1
; Occupancy: 10
; WaveLimiterHint : 0
; COMPUTE_PGM_RSRC2:SCRATCH_EN: 0
; COMPUTE_PGM_RSRC2:USER_SGPR: 6
; COMPUTE_PGM_RSRC2:TRAP_HANDLER: 0
; COMPUTE_PGM_RSRC2:TGID_X_EN: 1
; COMPUTE_PGM_RSRC2:TGID_Y_EN: 0
; COMPUTE_PGM_RSRC2:TGID_Z_EN: 0
; COMPUTE_PGM_RSRC2:TIDIG_COMP_CNT: 0
	.section	.text._ZN7rocprim17ROCPRIM_400000_NS6detail17trampoline_kernelINS0_14default_configENS1_36segmented_radix_sort_config_selectorIllEEZNS1_25segmented_radix_sort_implIS3_Lb0EPKlPlS8_S9_N2at6native12_GLOBAL__N_18offset_tEEE10hipError_tPvRmT1_PNSt15iterator_traitsISH_E10value_typeET2_T3_PNSI_ISN_E10value_typeET4_jRbjT5_ST_jjP12ihipStream_tbEUlT_E0_NS1_11comp_targetILNS1_3genE3ELNS1_11target_archE908ELNS1_3gpuE7ELNS1_3repE0EEENS1_60segmented_radix_sort_warp_sort_medium_config_static_selectorELNS0_4arch9wavefront6targetE1EEEvSH_,"axG",@progbits,_ZN7rocprim17ROCPRIM_400000_NS6detail17trampoline_kernelINS0_14default_configENS1_36segmented_radix_sort_config_selectorIllEEZNS1_25segmented_radix_sort_implIS3_Lb0EPKlPlS8_S9_N2at6native12_GLOBAL__N_18offset_tEEE10hipError_tPvRmT1_PNSt15iterator_traitsISH_E10value_typeET2_T3_PNSI_ISN_E10value_typeET4_jRbjT5_ST_jjP12ihipStream_tbEUlT_E0_NS1_11comp_targetILNS1_3genE3ELNS1_11target_archE908ELNS1_3gpuE7ELNS1_3repE0EEENS1_60segmented_radix_sort_warp_sort_medium_config_static_selectorELNS0_4arch9wavefront6targetE1EEEvSH_,comdat
	.globl	_ZN7rocprim17ROCPRIM_400000_NS6detail17trampoline_kernelINS0_14default_configENS1_36segmented_radix_sort_config_selectorIllEEZNS1_25segmented_radix_sort_implIS3_Lb0EPKlPlS8_S9_N2at6native12_GLOBAL__N_18offset_tEEE10hipError_tPvRmT1_PNSt15iterator_traitsISH_E10value_typeET2_T3_PNSI_ISN_E10value_typeET4_jRbjT5_ST_jjP12ihipStream_tbEUlT_E0_NS1_11comp_targetILNS1_3genE3ELNS1_11target_archE908ELNS1_3gpuE7ELNS1_3repE0EEENS1_60segmented_radix_sort_warp_sort_medium_config_static_selectorELNS0_4arch9wavefront6targetE1EEEvSH_ ; -- Begin function _ZN7rocprim17ROCPRIM_400000_NS6detail17trampoline_kernelINS0_14default_configENS1_36segmented_radix_sort_config_selectorIllEEZNS1_25segmented_radix_sort_implIS3_Lb0EPKlPlS8_S9_N2at6native12_GLOBAL__N_18offset_tEEE10hipError_tPvRmT1_PNSt15iterator_traitsISH_E10value_typeET2_T3_PNSI_ISN_E10value_typeET4_jRbjT5_ST_jjP12ihipStream_tbEUlT_E0_NS1_11comp_targetILNS1_3genE3ELNS1_11target_archE908ELNS1_3gpuE7ELNS1_3repE0EEENS1_60segmented_radix_sort_warp_sort_medium_config_static_selectorELNS0_4arch9wavefront6targetE1EEEvSH_
	.p2align	8
	.type	_ZN7rocprim17ROCPRIM_400000_NS6detail17trampoline_kernelINS0_14default_configENS1_36segmented_radix_sort_config_selectorIllEEZNS1_25segmented_radix_sort_implIS3_Lb0EPKlPlS8_S9_N2at6native12_GLOBAL__N_18offset_tEEE10hipError_tPvRmT1_PNSt15iterator_traitsISH_E10value_typeET2_T3_PNSI_ISN_E10value_typeET4_jRbjT5_ST_jjP12ihipStream_tbEUlT_E0_NS1_11comp_targetILNS1_3genE3ELNS1_11target_archE908ELNS1_3gpuE7ELNS1_3repE0EEENS1_60segmented_radix_sort_warp_sort_medium_config_static_selectorELNS0_4arch9wavefront6targetE1EEEvSH_,@function
_ZN7rocprim17ROCPRIM_400000_NS6detail17trampoline_kernelINS0_14default_configENS1_36segmented_radix_sort_config_selectorIllEEZNS1_25segmented_radix_sort_implIS3_Lb0EPKlPlS8_S9_N2at6native12_GLOBAL__N_18offset_tEEE10hipError_tPvRmT1_PNSt15iterator_traitsISH_E10value_typeET2_T3_PNSI_ISN_E10value_typeET4_jRbjT5_ST_jjP12ihipStream_tbEUlT_E0_NS1_11comp_targetILNS1_3genE3ELNS1_11target_archE908ELNS1_3gpuE7ELNS1_3repE0EEENS1_60segmented_radix_sort_warp_sort_medium_config_static_selectorELNS0_4arch9wavefront6targetE1EEEvSH_: ; @_ZN7rocprim17ROCPRIM_400000_NS6detail17trampoline_kernelINS0_14default_configENS1_36segmented_radix_sort_config_selectorIllEEZNS1_25segmented_radix_sort_implIS3_Lb0EPKlPlS8_S9_N2at6native12_GLOBAL__N_18offset_tEEE10hipError_tPvRmT1_PNSt15iterator_traitsISH_E10value_typeET2_T3_PNSI_ISN_E10value_typeET4_jRbjT5_ST_jjP12ihipStream_tbEUlT_E0_NS1_11comp_targetILNS1_3genE3ELNS1_11target_archE908ELNS1_3gpuE7ELNS1_3repE0EEENS1_60segmented_radix_sort_warp_sort_medium_config_static_selectorELNS0_4arch9wavefront6targetE1EEEvSH_
; %bb.0:
	.section	.rodata,"a",@progbits
	.p2align	6, 0x0
	.amdhsa_kernel _ZN7rocprim17ROCPRIM_400000_NS6detail17trampoline_kernelINS0_14default_configENS1_36segmented_radix_sort_config_selectorIllEEZNS1_25segmented_radix_sort_implIS3_Lb0EPKlPlS8_S9_N2at6native12_GLOBAL__N_18offset_tEEE10hipError_tPvRmT1_PNSt15iterator_traitsISH_E10value_typeET2_T3_PNSI_ISN_E10value_typeET4_jRbjT5_ST_jjP12ihipStream_tbEUlT_E0_NS1_11comp_targetILNS1_3genE3ELNS1_11target_archE908ELNS1_3gpuE7ELNS1_3repE0EEENS1_60segmented_radix_sort_warp_sort_medium_config_static_selectorELNS0_4arch9wavefront6targetE1EEEvSH_
		.amdhsa_group_segment_fixed_size 0
		.amdhsa_private_segment_fixed_size 0
		.amdhsa_kernarg_size 88
		.amdhsa_user_sgpr_count 6
		.amdhsa_user_sgpr_private_segment_buffer 1
		.amdhsa_user_sgpr_dispatch_ptr 0
		.amdhsa_user_sgpr_queue_ptr 0
		.amdhsa_user_sgpr_kernarg_segment_ptr 1
		.amdhsa_user_sgpr_dispatch_id 0
		.amdhsa_user_sgpr_flat_scratch_init 0
		.amdhsa_user_sgpr_private_segment_size 0
		.amdhsa_uses_dynamic_stack 0
		.amdhsa_system_sgpr_private_segment_wavefront_offset 0
		.amdhsa_system_sgpr_workgroup_id_x 1
		.amdhsa_system_sgpr_workgroup_id_y 0
		.amdhsa_system_sgpr_workgroup_id_z 0
		.amdhsa_system_sgpr_workgroup_info 0
		.amdhsa_system_vgpr_workitem_id 0
		.amdhsa_next_free_vgpr 1
		.amdhsa_next_free_sgpr 0
		.amdhsa_reserve_vcc 0
		.amdhsa_reserve_flat_scratch 0
		.amdhsa_float_round_mode_32 0
		.amdhsa_float_round_mode_16_64 0
		.amdhsa_float_denorm_mode_32 3
		.amdhsa_float_denorm_mode_16_64 3
		.amdhsa_dx10_clamp 1
		.amdhsa_ieee_mode 1
		.amdhsa_fp16_overflow 0
		.amdhsa_exception_fp_ieee_invalid_op 0
		.amdhsa_exception_fp_denorm_src 0
		.amdhsa_exception_fp_ieee_div_zero 0
		.amdhsa_exception_fp_ieee_overflow 0
		.amdhsa_exception_fp_ieee_underflow 0
		.amdhsa_exception_fp_ieee_inexact 0
		.amdhsa_exception_int_div_zero 0
	.end_amdhsa_kernel
	.section	.text._ZN7rocprim17ROCPRIM_400000_NS6detail17trampoline_kernelINS0_14default_configENS1_36segmented_radix_sort_config_selectorIllEEZNS1_25segmented_radix_sort_implIS3_Lb0EPKlPlS8_S9_N2at6native12_GLOBAL__N_18offset_tEEE10hipError_tPvRmT1_PNSt15iterator_traitsISH_E10value_typeET2_T3_PNSI_ISN_E10value_typeET4_jRbjT5_ST_jjP12ihipStream_tbEUlT_E0_NS1_11comp_targetILNS1_3genE3ELNS1_11target_archE908ELNS1_3gpuE7ELNS1_3repE0EEENS1_60segmented_radix_sort_warp_sort_medium_config_static_selectorELNS0_4arch9wavefront6targetE1EEEvSH_,"axG",@progbits,_ZN7rocprim17ROCPRIM_400000_NS6detail17trampoline_kernelINS0_14default_configENS1_36segmented_radix_sort_config_selectorIllEEZNS1_25segmented_radix_sort_implIS3_Lb0EPKlPlS8_S9_N2at6native12_GLOBAL__N_18offset_tEEE10hipError_tPvRmT1_PNSt15iterator_traitsISH_E10value_typeET2_T3_PNSI_ISN_E10value_typeET4_jRbjT5_ST_jjP12ihipStream_tbEUlT_E0_NS1_11comp_targetILNS1_3genE3ELNS1_11target_archE908ELNS1_3gpuE7ELNS1_3repE0EEENS1_60segmented_radix_sort_warp_sort_medium_config_static_selectorELNS0_4arch9wavefront6targetE1EEEvSH_,comdat
.Lfunc_end820:
	.size	_ZN7rocprim17ROCPRIM_400000_NS6detail17trampoline_kernelINS0_14default_configENS1_36segmented_radix_sort_config_selectorIllEEZNS1_25segmented_radix_sort_implIS3_Lb0EPKlPlS8_S9_N2at6native12_GLOBAL__N_18offset_tEEE10hipError_tPvRmT1_PNSt15iterator_traitsISH_E10value_typeET2_T3_PNSI_ISN_E10value_typeET4_jRbjT5_ST_jjP12ihipStream_tbEUlT_E0_NS1_11comp_targetILNS1_3genE3ELNS1_11target_archE908ELNS1_3gpuE7ELNS1_3repE0EEENS1_60segmented_radix_sort_warp_sort_medium_config_static_selectorELNS0_4arch9wavefront6targetE1EEEvSH_, .Lfunc_end820-_ZN7rocprim17ROCPRIM_400000_NS6detail17trampoline_kernelINS0_14default_configENS1_36segmented_radix_sort_config_selectorIllEEZNS1_25segmented_radix_sort_implIS3_Lb0EPKlPlS8_S9_N2at6native12_GLOBAL__N_18offset_tEEE10hipError_tPvRmT1_PNSt15iterator_traitsISH_E10value_typeET2_T3_PNSI_ISN_E10value_typeET4_jRbjT5_ST_jjP12ihipStream_tbEUlT_E0_NS1_11comp_targetILNS1_3genE3ELNS1_11target_archE908ELNS1_3gpuE7ELNS1_3repE0EEENS1_60segmented_radix_sort_warp_sort_medium_config_static_selectorELNS0_4arch9wavefront6targetE1EEEvSH_
                                        ; -- End function
	.set _ZN7rocprim17ROCPRIM_400000_NS6detail17trampoline_kernelINS0_14default_configENS1_36segmented_radix_sort_config_selectorIllEEZNS1_25segmented_radix_sort_implIS3_Lb0EPKlPlS8_S9_N2at6native12_GLOBAL__N_18offset_tEEE10hipError_tPvRmT1_PNSt15iterator_traitsISH_E10value_typeET2_T3_PNSI_ISN_E10value_typeET4_jRbjT5_ST_jjP12ihipStream_tbEUlT_E0_NS1_11comp_targetILNS1_3genE3ELNS1_11target_archE908ELNS1_3gpuE7ELNS1_3repE0EEENS1_60segmented_radix_sort_warp_sort_medium_config_static_selectorELNS0_4arch9wavefront6targetE1EEEvSH_.num_vgpr, 0
	.set _ZN7rocprim17ROCPRIM_400000_NS6detail17trampoline_kernelINS0_14default_configENS1_36segmented_radix_sort_config_selectorIllEEZNS1_25segmented_radix_sort_implIS3_Lb0EPKlPlS8_S9_N2at6native12_GLOBAL__N_18offset_tEEE10hipError_tPvRmT1_PNSt15iterator_traitsISH_E10value_typeET2_T3_PNSI_ISN_E10value_typeET4_jRbjT5_ST_jjP12ihipStream_tbEUlT_E0_NS1_11comp_targetILNS1_3genE3ELNS1_11target_archE908ELNS1_3gpuE7ELNS1_3repE0EEENS1_60segmented_radix_sort_warp_sort_medium_config_static_selectorELNS0_4arch9wavefront6targetE1EEEvSH_.num_agpr, 0
	.set _ZN7rocprim17ROCPRIM_400000_NS6detail17trampoline_kernelINS0_14default_configENS1_36segmented_radix_sort_config_selectorIllEEZNS1_25segmented_radix_sort_implIS3_Lb0EPKlPlS8_S9_N2at6native12_GLOBAL__N_18offset_tEEE10hipError_tPvRmT1_PNSt15iterator_traitsISH_E10value_typeET2_T3_PNSI_ISN_E10value_typeET4_jRbjT5_ST_jjP12ihipStream_tbEUlT_E0_NS1_11comp_targetILNS1_3genE3ELNS1_11target_archE908ELNS1_3gpuE7ELNS1_3repE0EEENS1_60segmented_radix_sort_warp_sort_medium_config_static_selectorELNS0_4arch9wavefront6targetE1EEEvSH_.numbered_sgpr, 0
	.set _ZN7rocprim17ROCPRIM_400000_NS6detail17trampoline_kernelINS0_14default_configENS1_36segmented_radix_sort_config_selectorIllEEZNS1_25segmented_radix_sort_implIS3_Lb0EPKlPlS8_S9_N2at6native12_GLOBAL__N_18offset_tEEE10hipError_tPvRmT1_PNSt15iterator_traitsISH_E10value_typeET2_T3_PNSI_ISN_E10value_typeET4_jRbjT5_ST_jjP12ihipStream_tbEUlT_E0_NS1_11comp_targetILNS1_3genE3ELNS1_11target_archE908ELNS1_3gpuE7ELNS1_3repE0EEENS1_60segmented_radix_sort_warp_sort_medium_config_static_selectorELNS0_4arch9wavefront6targetE1EEEvSH_.num_named_barrier, 0
	.set _ZN7rocprim17ROCPRIM_400000_NS6detail17trampoline_kernelINS0_14default_configENS1_36segmented_radix_sort_config_selectorIllEEZNS1_25segmented_radix_sort_implIS3_Lb0EPKlPlS8_S9_N2at6native12_GLOBAL__N_18offset_tEEE10hipError_tPvRmT1_PNSt15iterator_traitsISH_E10value_typeET2_T3_PNSI_ISN_E10value_typeET4_jRbjT5_ST_jjP12ihipStream_tbEUlT_E0_NS1_11comp_targetILNS1_3genE3ELNS1_11target_archE908ELNS1_3gpuE7ELNS1_3repE0EEENS1_60segmented_radix_sort_warp_sort_medium_config_static_selectorELNS0_4arch9wavefront6targetE1EEEvSH_.private_seg_size, 0
	.set _ZN7rocprim17ROCPRIM_400000_NS6detail17trampoline_kernelINS0_14default_configENS1_36segmented_radix_sort_config_selectorIllEEZNS1_25segmented_radix_sort_implIS3_Lb0EPKlPlS8_S9_N2at6native12_GLOBAL__N_18offset_tEEE10hipError_tPvRmT1_PNSt15iterator_traitsISH_E10value_typeET2_T3_PNSI_ISN_E10value_typeET4_jRbjT5_ST_jjP12ihipStream_tbEUlT_E0_NS1_11comp_targetILNS1_3genE3ELNS1_11target_archE908ELNS1_3gpuE7ELNS1_3repE0EEENS1_60segmented_radix_sort_warp_sort_medium_config_static_selectorELNS0_4arch9wavefront6targetE1EEEvSH_.uses_vcc, 0
	.set _ZN7rocprim17ROCPRIM_400000_NS6detail17trampoline_kernelINS0_14default_configENS1_36segmented_radix_sort_config_selectorIllEEZNS1_25segmented_radix_sort_implIS3_Lb0EPKlPlS8_S9_N2at6native12_GLOBAL__N_18offset_tEEE10hipError_tPvRmT1_PNSt15iterator_traitsISH_E10value_typeET2_T3_PNSI_ISN_E10value_typeET4_jRbjT5_ST_jjP12ihipStream_tbEUlT_E0_NS1_11comp_targetILNS1_3genE3ELNS1_11target_archE908ELNS1_3gpuE7ELNS1_3repE0EEENS1_60segmented_radix_sort_warp_sort_medium_config_static_selectorELNS0_4arch9wavefront6targetE1EEEvSH_.uses_flat_scratch, 0
	.set _ZN7rocprim17ROCPRIM_400000_NS6detail17trampoline_kernelINS0_14default_configENS1_36segmented_radix_sort_config_selectorIllEEZNS1_25segmented_radix_sort_implIS3_Lb0EPKlPlS8_S9_N2at6native12_GLOBAL__N_18offset_tEEE10hipError_tPvRmT1_PNSt15iterator_traitsISH_E10value_typeET2_T3_PNSI_ISN_E10value_typeET4_jRbjT5_ST_jjP12ihipStream_tbEUlT_E0_NS1_11comp_targetILNS1_3genE3ELNS1_11target_archE908ELNS1_3gpuE7ELNS1_3repE0EEENS1_60segmented_radix_sort_warp_sort_medium_config_static_selectorELNS0_4arch9wavefront6targetE1EEEvSH_.has_dyn_sized_stack, 0
	.set _ZN7rocprim17ROCPRIM_400000_NS6detail17trampoline_kernelINS0_14default_configENS1_36segmented_radix_sort_config_selectorIllEEZNS1_25segmented_radix_sort_implIS3_Lb0EPKlPlS8_S9_N2at6native12_GLOBAL__N_18offset_tEEE10hipError_tPvRmT1_PNSt15iterator_traitsISH_E10value_typeET2_T3_PNSI_ISN_E10value_typeET4_jRbjT5_ST_jjP12ihipStream_tbEUlT_E0_NS1_11comp_targetILNS1_3genE3ELNS1_11target_archE908ELNS1_3gpuE7ELNS1_3repE0EEENS1_60segmented_radix_sort_warp_sort_medium_config_static_selectorELNS0_4arch9wavefront6targetE1EEEvSH_.has_recursion, 0
	.set _ZN7rocprim17ROCPRIM_400000_NS6detail17trampoline_kernelINS0_14default_configENS1_36segmented_radix_sort_config_selectorIllEEZNS1_25segmented_radix_sort_implIS3_Lb0EPKlPlS8_S9_N2at6native12_GLOBAL__N_18offset_tEEE10hipError_tPvRmT1_PNSt15iterator_traitsISH_E10value_typeET2_T3_PNSI_ISN_E10value_typeET4_jRbjT5_ST_jjP12ihipStream_tbEUlT_E0_NS1_11comp_targetILNS1_3genE3ELNS1_11target_archE908ELNS1_3gpuE7ELNS1_3repE0EEENS1_60segmented_radix_sort_warp_sort_medium_config_static_selectorELNS0_4arch9wavefront6targetE1EEEvSH_.has_indirect_call, 0
	.section	.AMDGPU.csdata,"",@progbits
; Kernel info:
; codeLenInByte = 0
; TotalNumSgprs: 4
; NumVgprs: 0
; ScratchSize: 0
; MemoryBound: 0
; FloatMode: 240
; IeeeMode: 1
; LDSByteSize: 0 bytes/workgroup (compile time only)
; SGPRBlocks: 0
; VGPRBlocks: 0
; NumSGPRsForWavesPerEU: 4
; NumVGPRsForWavesPerEU: 1
; Occupancy: 10
; WaveLimiterHint : 0
; COMPUTE_PGM_RSRC2:SCRATCH_EN: 0
; COMPUTE_PGM_RSRC2:USER_SGPR: 6
; COMPUTE_PGM_RSRC2:TRAP_HANDLER: 0
; COMPUTE_PGM_RSRC2:TGID_X_EN: 1
; COMPUTE_PGM_RSRC2:TGID_Y_EN: 0
; COMPUTE_PGM_RSRC2:TGID_Z_EN: 0
; COMPUTE_PGM_RSRC2:TIDIG_COMP_CNT: 0
	.text
	.p2align	2                               ; -- Begin function _ZN7rocprim17ROCPRIM_400000_NS6detail26segmented_warp_sort_helperINS1_20WarpSortHelperConfigILj16ELj16ELj256EEEllLi256ELb0EvE4sortIPKlPlS8_S9_EEvT_T0_T1_T2_jjjjRNS5_12storage_typeE
	.type	_ZN7rocprim17ROCPRIM_400000_NS6detail26segmented_warp_sort_helperINS1_20WarpSortHelperConfigILj16ELj16ELj256EEEllLi256ELb0EvE4sortIPKlPlS8_S9_EEvT_T0_T1_T2_jjjjRNS5_12storage_typeE,@function
_ZN7rocprim17ROCPRIM_400000_NS6detail26segmented_warp_sort_helperINS1_20WarpSortHelperConfigILj16ELj16ELj256EEEllLi256ELb0EvE4sortIPKlPlS8_S9_EEvT_T0_T1_T2_jjjjRNS5_12storage_typeE: ; @_ZN7rocprim17ROCPRIM_400000_NS6detail26segmented_warp_sort_helperINS1_20WarpSortHelperConfigILj16ELj16ELj256EEEllLi256ELb0EvE4sortIPKlPlS8_S9_EEvT_T0_T1_T2_jjjjRNS5_12storage_typeE
; %bb.0:
	s_waitcnt vmcnt(0) expcnt(0) lgkmcnt(0)
	s_or_saveexec_b64 s[4:5], -1
	buffer_store_dword v40, off, s[0:3], s32 ; 4-byte Folded Spill
	s_mov_b64 exec, s[4:5]
	v_writelane_b32 v40, s30, 0
	v_writelane_b32 v40, s31, 1
	v_sub_u32_e32 v16, v9, v8
	v_mov_b32_e32 v9, 0
	v_mbcnt_lo_u32_b32 v12, -1, 0
	v_lshlrev_b64 v[8:9], 3, v[8:9]
	v_mbcnt_hi_u32_b32 v12, -1, v12
	v_lshlrev_b32_e32 v151, 4, v12
	v_add_co_u32_e32 v0, vcc, v0, v8
	v_and_b32_e32 v160, 0xf0, v151
	v_addc_co_u32_e32 v1, vcc, v1, v9, vcc
	v_lshlrev_b32_e32 v150, 3, v160
	v_add_co_u32_e32 v0, vcc, v0, v150
	v_mov_b32_e32 v28, -1
	v_addc_co_u32_e32 v1, vcc, 0, v1, vcc
	v_bfrev_b32_e32 v29, -2
	v_mov_b32_e32 v12, v28
	v_cmp_lt_u32_e32 vcc, v160, v16
	v_mov_b32_e32 v13, v29
	s_and_saveexec_b64 s[4:5], vcc
	s_cbranch_execz .LBB821_2
; %bb.1:
	flat_load_dwordx2 v[12:13], v[0:1]
.LBB821_2:
	s_or_b64 exec, exec, s[4:5]
	v_or_b32_e32 v14, 1, v160
	v_cmp_lt_u32_e64 s[4:5], v14, v16
	s_and_saveexec_b64 s[6:7], s[4:5]
	s_cbranch_execz .LBB821_4
; %bb.3:
	flat_load_dwordx2 v[28:29], v[0:1] offset:8
.LBB821_4:
	s_or_b64 exec, exec, s[6:7]
	v_mov_b32_e32 v36, -1
	v_or_b32_e32 v14, 2, v160
	v_bfrev_b32_e32 v37, -2
	v_mov_b32_e32 v34, v36
	v_cmp_lt_u32_e64 s[6:7], v14, v16
	v_mov_b32_e32 v35, v37
	s_and_saveexec_b64 s[10:11], s[6:7]
	s_cbranch_execz .LBB821_6
; %bb.5:
	flat_load_dwordx2 v[34:35], v[0:1] offset:16
.LBB821_6:
	s_or_b64 exec, exec, s[10:11]
	v_or_b32_e32 v14, 3, v160
	v_cmp_lt_u32_e64 s[44:45], v14, v16
	s_and_saveexec_b64 s[10:11], s[44:45]
	s_cbranch_execz .LBB821_8
; %bb.7:
	flat_load_dwordx2 v[36:37], v[0:1] offset:24
.LBB821_8:
	s_or_b64 exec, exec, s[10:11]
	v_mov_b32_e32 v50, -1
	v_or_b32_e32 v14, 4, v160
	v_bfrev_b32_e32 v51, -2
	v_mov_b32_e32 v48, v50
	v_cmp_lt_u32_e64 s[10:11], v14, v16
	v_mov_b32_e32 v49, v51
	s_and_saveexec_b64 s[14:15], s[10:11]
	s_cbranch_execz .LBB821_10
; %bb.9:
	flat_load_dwordx2 v[48:49], v[0:1] offset:32
.LBB821_10:
	;; [unrolled: 20-line block ×5, first 2 shown]
	s_or_b64 exec, exec, s[24:25]
	v_or_b32_e32 v14, 11, v160
	v_cmp_lt_u32_e64 s[24:25], v14, v16
	s_and_saveexec_b64 s[26:27], s[24:25]
	s_cbranch_execz .LBB821_24
; %bb.23:
	flat_load_dwordx2 v[98:99], v[0:1] offset:88
.LBB821_24:
	s_or_b64 exec, exec, s[26:27]
	v_bfrev_b32_e32 v69, -2
	v_or_b32_e32 v14, 12, v160
	v_mov_b32_e32 v68, -1
	v_mov_b32_e32 v97, v69
	v_cmp_lt_u32_e64 s[26:27], v14, v16
	v_mov_b32_e32 v96, v68
	s_and_saveexec_b64 s[28:29], s[26:27]
	s_cbranch_execz .LBB821_26
; %bb.25:
	flat_load_dwordx2 v[96:97], v[0:1] offset:96
.LBB821_26:
	s_or_b64 exec, exec, s[28:29]
	v_or_b32_e32 v14, 13, v160
	v_cmp_lt_u32_e64 s[28:29], v14, v16
	s_and_saveexec_b64 s[40:41], s[28:29]
	s_cbranch_execz .LBB821_28
; %bb.27:
	flat_load_dwordx2 v[68:69], v[0:1] offset:104
.LBB821_28:
	s_or_b64 exec, exec, s[40:41]
	v_or_b32_e32 v14, 14, v160
	v_bfrev_b32_e32 v15, -2
	v_cmp_lt_u32_e64 s[40:41], v14, v16
	v_mov_b32_e32 v14, -1
	v_mov_b32_e32 v113, v15
	v_mov_b32_e32 v112, v14
	s_and_saveexec_b64 s[42:43], s[40:41]
	s_cbranch_execz .LBB821_30
; %bb.29:
	flat_load_dwordx2 v[112:113], v[0:1] offset:112
.LBB821_30:
	s_or_b64 exec, exec, s[42:43]
	v_or_b32_e32 v17, 15, v160
	v_cmp_lt_u32_e64 s[42:43], v17, v16
	s_and_saveexec_b64 s[46:47], s[42:43]
	s_cbranch_execz .LBB821_32
; %bb.31:
	flat_load_dwordx2 v[14:15], v[0:1] offset:120
.LBB821_32:
	s_or_b64 exec, exec, s[46:47]
	v_add_co_u32_e64 v0, s[46:47], v4, v8
	v_addc_co_u32_e64 v1, s[46:47], v5, v9, s[46:47]
	v_add_co_u32_e64 v114, s[46:47], v0, v150
	v_addc_co_u32_e64 v115, s[46:47], 0, v1, s[46:47]
	; wave barrier
                                        ; implicit-def: $vgpr0_vgpr1
	s_and_saveexec_b64 s[46:47], vcc
	s_cbranch_execnz .LBB821_652
; %bb.33:
	s_or_b64 exec, exec, s[46:47]
	s_and_saveexec_b64 s[46:47], s[4:5]
                                        ; implicit-def: $vgpr4_vgpr5
	s_cbranch_execnz .LBB821_653
.LBB821_34:
	s_or_b64 exec, exec, s[46:47]
                                        ; implicit-def: $vgpr16_vgpr17
	s_and_saveexec_b64 s[46:47], s[6:7]
	s_cbranch_execnz .LBB821_654
.LBB821_35:
	s_or_b64 exec, exec, s[46:47]
	s_and_saveexec_b64 s[46:47], s[44:45]
                                        ; implicit-def: $vgpr18_vgpr19
	s_cbranch_execnz .LBB821_655
.LBB821_36:
	s_or_b64 exec, exec, s[46:47]
                                        ; implicit-def: $vgpr20_vgpr21
	s_and_saveexec_b64 s[46:47], s[10:11]
	s_cbranch_execnz .LBB821_656
.LBB821_37:
	s_or_b64 exec, exec, s[46:47]
	s_and_saveexec_b64 s[46:47], s[88:89]
                                        ; implicit-def: $vgpr22_vgpr23
	s_cbranch_execnz .LBB821_657
.LBB821_38:
	s_or_b64 exec, exec, s[46:47]
                                        ; implicit-def: $vgpr24_vgpr25
	s_and_saveexec_b64 s[46:47], s[14:15]
	s_cbranch_execnz .LBB821_658
.LBB821_39:
	s_or_b64 exec, exec, s[46:47]
	s_and_saveexec_b64 s[46:47], s[16:17]
                                        ; implicit-def: $vgpr26_vgpr27
	s_cbranch_execnz .LBB821_659
.LBB821_40:
	s_or_b64 exec, exec, s[46:47]
                                        ; implicit-def: $vgpr32_vgpr33
	s_and_saveexec_b64 s[46:47], s[18:19]
	s_cbranch_execnz .LBB821_660
.LBB821_41:
	s_or_b64 exec, exec, s[46:47]
	s_and_saveexec_b64 s[46:47], s[20:21]
                                        ; implicit-def: $vgpr38_vgpr39
	s_cbranch_execnz .LBB821_661
.LBB821_42:
	s_or_b64 exec, exec, s[46:47]
                                        ; implicit-def: $vgpr52_vgpr53
	s_and_saveexec_b64 s[46:47], s[22:23]
	s_cbranch_execnz .LBB821_662
.LBB821_43:
	s_or_b64 exec, exec, s[46:47]
	s_and_saveexec_b64 s[46:47], s[24:25]
                                        ; implicit-def: $vgpr66_vgpr67
	s_cbranch_execnz .LBB821_663
.LBB821_44:
	s_or_b64 exec, exec, s[46:47]
                                        ; implicit-def: $vgpr84_vgpr85
	s_and_saveexec_b64 s[46:47], s[26:27]
	s_cbranch_execnz .LBB821_664
.LBB821_45:
	s_or_b64 exec, exec, s[46:47]
	s_and_saveexec_b64 s[46:47], s[28:29]
                                        ; implicit-def: $vgpr100_vgpr101
	s_cbranch_execnz .LBB821_665
.LBB821_46:
	s_or_b64 exec, exec, s[46:47]
                                        ; implicit-def: $vgpr70_vgpr71
	s_and_saveexec_b64 s[46:47], s[40:41]
	s_cbranch_execnz .LBB821_666
.LBB821_47:
	s_or_b64 exec, exec, s[46:47]
	s_and_saveexec_b64 s[46:47], s[42:43]
                                        ; implicit-def: $vgpr102_vgpr103
	s_cbranch_execz .LBB821_49
.LBB821_48:
	flat_load_dwordx2 v[102:103], v[114:115] offset:120
.LBB821_49:
	s_or_b64 exec, exec, s[46:47]
	v_cmp_ne_u32_e64 s[46:47], 0, v10
	v_cmp_ne_u32_e64 s[56:57], 64, v11
	s_or_b64 s[46:47], s[46:47], s[56:57]
	v_bfe_u32 v30, v31, 10, 10
	v_bfe_u32 v114, v31, 20, 10
	; wave barrier
	s_and_saveexec_b64 s[56:57], s[46:47]
	s_xor_b64 s[94:95], exec, s[56:57]
	s_cbranch_execz .LBB821_333
; %bb.50:
	s_load_dwordx2 s[46:47], s[8:9], 0x0
	v_mov_b32_e32 v115, 0
	v_and_b32_e32 v31, 0x3ff, v31
	s_waitcnt lgkmcnt(0)
	s_cmp_lt_u32 s13, s47
	s_cselect_b32 s47, 14, 20
	s_add_u32 s56, s8, s47
	s_addc_u32 s57, s9, 0
	s_cmp_lt_u32 s12, s46
	s_cselect_b32 s46, 12, 18
	s_add_u32 s46, s8, s46
	s_addc_u32 s47, s9, 0
	global_load_ushort v117, v115, s[56:57]
	global_load_ushort v118, v115, s[46:47]
	v_lshlrev_b64 v[115:116], v11, -1
	v_lshlrev_b64 v[10:11], v10, -1
	s_movk_i32 s46, 0x1000
	v_xor_b32_e32 v162, v116, v11
	v_xor_b32_e32 v161, v115, v10
	s_waitcnt vmcnt(0)
	v_mad_u32_u24 v30, v114, v117, v30
	v_mul_lo_u32 v30, v30, v118
	v_add_lshl_u32 v163, v30, v31, 4
	v_cmp_gt_u32_e64 s[46:47], s46, v163
	s_and_saveexec_b64 s[56:57], s[46:47]
	s_cbranch_execz .LBB821_292
; %bb.51:
	v_and_b32_e32 v11, v29, v162
	v_and_b32_e32 v10, v28, v161
	v_and_b32_e32 v31, v13, v162
	v_and_b32_e32 v30, v12, v161
	v_cmp_gt_u64_e64 s[46:47], v[30:31], v[10:11]
	v_mov_b32_e32 v10, v28
	v_mov_b32_e32 v115, v5
	v_mov_b32_e32 v11, v29
	v_mov_b32_e32 v114, v4
	s_and_saveexec_b64 s[58:59], s[46:47]
; %bb.52:
	v_mov_b32_e32 v10, v12
	v_mov_b32_e32 v115, v1
	v_mov_b32_e32 v11, v13
	v_mov_b32_e32 v12, v28
	v_mov_b32_e32 v114, v0
	v_mov_b32_e32 v0, v4
	v_mov_b32_e32 v13, v29
	v_mov_b32_e32 v1, v5
; %bb.53:
	s_or_b64 exec, exec, s[58:59]
	v_and_b32_e32 v5, v37, v162
	v_and_b32_e32 v4, v36, v161
	v_and_b32_e32 v29, v35, v162
	v_and_b32_e32 v28, v34, v161
	v_cmp_gt_u64_e64 s[46:47], v[28:29], v[4:5]
	v_mov_b32_e32 v28, v36
	v_mov_b32_e32 v117, v19
	v_mov_b32_e32 v29, v37
	v_mov_b32_e32 v116, v18
	s_and_saveexec_b64 s[58:59], s[46:47]
; %bb.54:
	v_mov_b32_e32 v28, v34
	v_mov_b32_e32 v117, v17
	v_mov_b32_e32 v29, v35
	v_mov_b32_e32 v34, v36
	v_mov_b32_e32 v116, v16
	v_mov_b32_e32 v16, v18
	v_mov_b32_e32 v35, v37
	v_mov_b32_e32 v17, v19
; %bb.55:
	s_or_b64 exec, exec, s[58:59]
	;; [unrolled: 21-line block ×8, first 2 shown]
	v_and_b32_e32 v37, v35, v162
	v_and_b32_e32 v36, v34, v161
	;; [unrolled: 1-line block ×4, first 2 shown]
	v_cmp_gt_u64_e64 s[46:47], v[96:97], v[36:37]
	v_mov_b32_e32 v37, v35
	v_mov_b32_e32 v97, v17
	;; [unrolled: 1-line block ×4, first 2 shown]
	s_and_saveexec_b64 s[58:59], s[46:47]
	s_xor_b64 s[46:47], exec, s[58:59]
; %bb.68:
	v_mov_b32_e32 v37, v11
	v_mov_b32_e32 v96, v114
	v_mov_b32_e32 v36, v10
	v_mov_b32_e32 v10, v34
	v_mov_b32_e32 v97, v115
	v_mov_b32_e32 v115, v17
	v_mov_b32_e32 v11, v35
	v_mov_b32_e32 v114, v16
; %bb.69:
	s_or_b64 exec, exec, s[46:47]
	v_and_b32_e32 v17, v49, v162
	v_and_b32_e32 v16, v48, v161
	v_and_b32_e32 v35, v29, v162
	v_and_b32_e32 v34, v28, v161
	v_cmp_gt_u64_e64 s[46:47], v[34:35], v[16:17]
	v_mov_b32_e32 v16, v48
	v_mov_b32_e32 v99, v21
	v_mov_b32_e32 v17, v49
	v_mov_b32_e32 v98, v20
	s_and_saveexec_b64 s[58:59], s[46:47]
; %bb.70:
	v_mov_b32_e32 v16, v28
	v_mov_b32_e32 v98, v116
	v_mov_b32_e32 v17, v29
	v_mov_b32_e32 v28, v48
	v_mov_b32_e32 v99, v117
	v_mov_b32_e32 v117, v21
	v_mov_b32_e32 v29, v49
	v_mov_b32_e32 v116, v20
; %bb.71:
	s_or_b64 exec, exec, s[58:59]
	v_and_b32_e32 v21, v55, v162
	v_and_b32_e32 v20, v54, v161
	v_and_b32_e32 v35, v19, v162
	v_and_b32_e32 v34, v18, v161
	v_cmp_gt_u64_e64 s[46:47], v[34:35], v[20:21]
	v_mov_b32_e32 v20, v54
	v_mov_b32_e32 v101, v25
	v_mov_b32_e32 v21, v55
	v_mov_b32_e32 v100, v24
	s_and_saveexec_b64 s[58:59], s[46:47]
	;; [unrolled: 21-line block ×111, first 2 shown]
; %bb.290:
	v_mov_b32_e32 v113, v69
	v_mov_b32_e32 v101, v71
	;; [unrolled: 1-line block ×8, first 2 shown]
; %bb.291:
	s_or_b64 exec, exec, s[58:59]
.LBB821_292:
	s_or_b64 exec, exec, s[56:57]
	v_and_b32_e32 v10, 0xfffffc00, v163
	v_lshlrev_b32_e32 v30, 3, v10
	s_movk_i32 s46, 0x1000
	v_lshl_add_u32 v114, v151, 3, v30
	v_sub_u32_e64 v31, s46, v10 clamp
	v_add_u32_e32 v10, 0x8000, v114
	ds_write2_b64 v114, v[12:13], v[28:29] offset1:1
	ds_write2_b64 v10, v[0:1], v[4:5] offset1:1
	v_add_u32_e32 v10, 0x8010, v114
	ds_write2_b64 v114, v[34:35], v[36:37] offset0:2 offset1:3
	ds_write2_b64 v10, v[16:17], v[18:19] offset1:1
	v_add_u32_e32 v10, 0x8020, v114
	ds_write2_b64 v114, v[48:49], v[50:51] offset0:4 offset1:5
	;; [unrolled: 3-line block ×4, first 2 shown]
	ds_write2_b64 v10, v[32:33], v[38:39] offset1:1
	v_add_u32_e32 v10, 0x8050, v114
	v_or_b32_e32 v11, 16, v151
	ds_write2_b64 v114, v[86:87], v[98:99] offset0:10 offset1:11
	ds_write2_b64 v10, v[52:53], v[66:67] offset1:1
	v_add_u32_e32 v10, 0x8060, v114
	v_min_u32_e32 v115, v31, v11
	ds_write2_b64 v114, v[96:97], v[68:69] offset0:12 offset1:13
	ds_write2_b64 v10, v[84:85], v[100:101] offset1:1
	v_add_u32_e32 v10, 0x8070, v114
	v_add_u32_e32 v11, 16, v115
	ds_write2_b64 v114, v[112:113], v[14:15] offset0:14 offset1:15
	ds_write2_b64 v10, v[70:71], v[102:103] offset1:1
	v_and_b32_e32 v10, 0x7e0, v151
	v_min_u32_e32 v116, v31, v11
	v_and_b32_e32 v11, 16, v151
	v_min_u32_e32 v11, v31, v11
	v_sub_u32_e32 v119, v115, v10
	v_sub_u32_e32 v118, v116, v115
	v_sub_u32_e64 v118, v11, v118 clamp
	v_min_u32_e32 v119, v11, v119
	v_lshl_add_u32 v117, v10, 3, v30
	v_cmp_lt_u32_e64 s[46:47], v118, v119
	; wave barrier
	s_and_saveexec_b64 s[56:57], s[46:47]
	s_cbranch_execz .LBB821_296
; %bb.293:
	v_lshlrev_b32_e32 v128, 3, v115
	v_lshlrev_b32_e32 v129, 3, v11
	v_add3_u32 v128, v30, v128, v129
	s_mov_b64 s[58:59], 0
.LBB821_294:                            ; =>This Inner Loop Header: Depth=1
	v_add_u32_e32 v129, v119, v118
	v_lshrrev_b32_e32 v133, 1, v129
	v_not_b32_e32 v131, v133
	v_lshl_add_u32 v129, v133, 3, v117
	v_lshl_add_u32 v131, v131, 3, v128
	ds_read_b64 v[129:130], v129
	ds_read_b64 v[131:132], v131
	v_add_u32_e32 v134, 1, v133
	s_waitcnt lgkmcnt(1)
	v_and_b32_e32 v130, v130, v162
	v_and_b32_e32 v129, v129, v161
	s_waitcnt lgkmcnt(0)
	v_and_b32_e32 v132, v132, v162
	v_and_b32_e32 v131, v131, v161
	v_cmp_gt_u64_e64 s[46:47], v[129:130], v[131:132]
	v_cndmask_b32_e64 v119, v119, v133, s[46:47]
	v_cndmask_b32_e64 v118, v134, v118, s[46:47]
	v_cmp_ge_u32_e64 s[46:47], v118, v119
	s_or_b64 s[58:59], s[46:47], s[58:59]
	s_andn2_b64 exec, exec, s[58:59]
	s_cbranch_execnz .LBB821_294
; %bb.295:
	s_or_b64 exec, exec, s[58:59]
.LBB821_296:
	s_or_b64 exec, exec, s[56:57]
	v_add_u32_e32 v119, v118, v10
	v_add_u32_e32 v10, v115, v11
	v_sub_u32_e32 v128, v10, v118
	v_cmp_le_u32_e64 s[46:47], v119, v115
	v_cmp_le_u32_e64 s[56:57], v128, v116
	s_or_b64 s[46:47], s[46:47], s[56:57]
	s_and_saveexec_b64 s[30:31], s[46:47]
	s_cbranch_execz .LBB821_302
; %bb.297:
	v_cmp_lt_u32_e64 s[46:47], v119, v115
                                        ; implicit-def: $vgpr10_vgpr11
	s_and_saveexec_b64 s[56:57], s[46:47]
; %bb.298:
	v_lshl_add_u32 v0, v118, 3, v117
	ds_read_b64 v[10:11], v0
; %bb.299:
	s_or_b64 exec, exec, s[56:57]
	v_cmp_ge_u32_e64 s[56:57], v128, v116
	v_cmp_lt_u32_e64 s[58:59], v128, v116
                                        ; implicit-def: $vgpr12_vgpr13
	s_and_saveexec_b64 s[60:61], s[58:59]
; %bb.300:
	v_lshl_add_u32 v0, v128, 3, v30
	ds_read_b64 v[12:13], v0
; %bb.301:
	s_or_b64 exec, exec, s[60:61]
	s_waitcnt lgkmcnt(0)
	v_and_b32_e32 v1, v13, v162
	v_and_b32_e32 v0, v12, v161
	;; [unrolled: 1-line block ×4, first 2 shown]
	v_cmp_le_u64_e64 s[58:59], v[4:5], v[0:1]
	s_and_b64 s[46:47], s[46:47], s[58:59]
	s_or_b64 s[46:47], s[56:57], s[46:47]
	v_cndmask_b32_e64 v16, v128, v119, s[46:47]
	v_cndmask_b32_e64 v0, v116, v115, s[46:47]
	v_add_u32_e32 v4, 1, v16
	v_add_u32_e32 v0, -1, v0
	v_min_u32_e32 v0, v4, v0
	v_lshl_add_u32 v0, v0, 3, v30
	ds_read_b64 v[0:1], v0
	v_cndmask_b32_e64 v14, v4, v128, s[46:47]
	v_cndmask_b32_e64 v15, v119, v4, s[46:47]
	v_cmp_lt_u32_e64 s[60:61], v15, v115
	v_cmp_ge_u32_e64 s[56:57], v14, v116
	s_waitcnt lgkmcnt(0)
	v_cndmask_b32_e64 v34, v1, v13, s[46:47]
	v_cndmask_b32_e64 v35, v0, v12, s[46:47]
	;; [unrolled: 1-line block ×4, first 2 shown]
	v_and_b32_e32 v1, v34, v162
	v_and_b32_e32 v0, v35, v161
	;; [unrolled: 1-line block ×4, first 2 shown]
	v_cmp_le_u64_e64 s[58:59], v[4:5], v[0:1]
	v_cndmask_b32_e64 v13, v13, v11, s[46:47]
	s_and_b64 s[58:59], s[60:61], s[58:59]
	s_or_b64 s[58:59], s[56:57], s[58:59]
	v_cndmask_b32_e64 v17, v14, v15, s[58:59]
	v_cndmask_b32_e64 v0, v116, v115, s[58:59]
	v_add_u32_e32 v4, 1, v17
	v_add_u32_e32 v0, -1, v0
	v_min_u32_e32 v0, v4, v0
	v_lshl_add_u32 v0, v0, 3, v30
	ds_read_b64 v[0:1], v0
	v_cndmask_b32_e64 v14, v4, v14, s[58:59]
	v_cndmask_b32_e64 v15, v15, v4, s[58:59]
	v_cmp_lt_u32_e64 s[62:63], v15, v115
	v_cmp_ge_u32_e64 s[56:57], v14, v116
	s_waitcnt lgkmcnt(0)
	v_cndmask_b32_e64 v48, v1, v34, s[58:59]
	v_cndmask_b32_e64 v49, v0, v35, s[58:59]
	;; [unrolled: 1-line block ×4, first 2 shown]
	v_and_b32_e32 v1, v48, v162
	v_and_b32_e32 v0, v49, v161
	;; [unrolled: 1-line block ×4, first 2 shown]
	v_cmp_le_u64_e64 s[60:61], v[4:5], v[0:1]
	v_cndmask_b32_e64 v12, v12, v10, s[46:47]
	s_and_b64 s[60:61], s[62:63], s[60:61]
	s_or_b64 s[56:57], s[56:57], s[60:61]
	v_cndmask_b32_e64 v18, v14, v15, s[56:57]
	v_cndmask_b32_e64 v0, v116, v115, s[56:57]
	v_add_u32_e32 v4, 1, v18
	v_add_u32_e32 v0, -1, v0
	v_min_u32_e32 v0, v4, v0
	v_lshl_add_u32 v0, v0, 3, v30
	ds_read_b64 v[0:1], v0
	v_cndmask_b32_e64 v14, v4, v14, s[56:57]
	v_cndmask_b32_e64 v15, v15, v4, s[56:57]
	v_cmp_lt_u32_e64 s[72:73], v15, v115
	v_cmp_ge_u32_e64 s[60:61], v14, v116
	s_waitcnt lgkmcnt(0)
	v_cndmask_b32_e64 v52, v1, v48, s[56:57]
	v_cndmask_b32_e64 v53, v0, v49, s[56:57]
	;; [unrolled: 1-line block ×4, first 2 shown]
	v_and_b32_e32 v1, v52, v162
	v_and_b32_e32 v0, v53, v161
	;; [unrolled: 1-line block ×4, first 2 shown]
	v_cmp_le_u64_e64 s[62:63], v[4:5], v[0:1]
	s_and_b64 s[62:63], s[72:73], s[62:63]
	s_or_b64 s[62:63], s[60:61], s[62:63]
	v_cndmask_b32_e64 v19, v14, v15, s[62:63]
	v_cndmask_b32_e64 v0, v116, v115, s[62:63]
	v_add_u32_e32 v4, 1, v19
	v_add_u32_e32 v0, -1, v0
	v_min_u32_e32 v0, v4, v0
	v_lshl_add_u32 v0, v0, 3, v30
	ds_read_b64 v[0:1], v0
	v_cndmask_b32_e64 v20, v4, v14, s[62:63]
	v_cndmask_b32_e64 v21, v15, v4, s[62:63]
	v_cmp_lt_u32_e64 s[74:75], v21, v115
	v_cmp_ge_u32_e64 s[60:61], v20, v116
	s_waitcnt lgkmcnt(0)
	v_cndmask_b32_e64 v64, v1, v52, s[62:63]
	v_cndmask_b32_e64 v65, v0, v53, s[62:63]
	;; [unrolled: 1-line block ×4, first 2 shown]
	v_and_b32_e32 v1, v64, v162
	v_and_b32_e32 v0, v65, v161
	;; [unrolled: 1-line block ×4, first 2 shown]
	v_cmp_le_u64_e64 s[72:73], v[4:5], v[0:1]
	v_lshl_add_u32 v4, v17, 3, v30
	s_and_b64 s[72:73], s[74:75], s[72:73]
	s_or_b64 s[60:61], s[60:61], s[72:73]
	v_cndmask_b32_e64 v22, v20, v21, s[60:61]
	v_cndmask_b32_e64 v0, v116, v115, s[60:61]
	v_add_u32_e32 v23, 1, v22
	v_add_u32_e32 v0, -1, v0
	v_min_u32_e32 v0, v23, v0
	v_lshl_add_u32 v0, v0, 3, v30
	ds_read_b64 v[14:15], v0
	v_lshl_add_u32 v0, v16, 3, v30
	v_cndmask_b32_e64 v21, v21, v23, s[60:61]
	v_cndmask_b32_e64 v20, v23, v20, s[60:61]
	v_cmp_lt_u32_e64 s[76:77], v21, v115
	s_waitcnt lgkmcnt(0)
	v_cndmask_b32_e64 v68, v15, v64, s[60:61]
	v_cndmask_b32_e64 v69, v14, v65, s[60:61]
	v_cndmask_b32_e64 v70, v66, v15, s[60:61]
	v_cndmask_b32_e64 v71, v67, v14, s[60:61]
	v_and_b32_e32 v15, v68, v162
	v_and_b32_e32 v14, v69, v161
	;; [unrolled: 1-line block ×4, first 2 shown]
	v_cmp_le_u64_e64 s[74:75], v[16:17], v[14:15]
	v_cmp_ge_u32_e64 s[72:73], v20, v116
	s_and_b64 s[74:75], s[76:77], s[74:75]
	s_or_b64 s[72:73], s[72:73], s[74:75]
	v_cndmask_b32_e64 v23, v20, v21, s[72:73]
	v_cndmask_b32_e64 v14, v116, v115, s[72:73]
	v_add_u32_e32 v24, 1, v23
	v_add_u32_e32 v14, -1, v14
	v_min_u32_e32 v14, v24, v14
	v_lshl_add_u32 v14, v14, 3, v30
	ds_read_b64 v[0:1], v0 offset:32768
	ds_read_b64 v[4:5], v4 offset:32768
	ds_read_b64 v[14:15], v14
	v_lshl_add_u32 v16, v18, 3, v30
	ds_read_b64 v[16:17], v16 offset:32768
	v_cndmask_b32_e64 v25, v24, v20, s[72:73]
	v_cndmask_b32_e64 v24, v21, v24, s[72:73]
	s_waitcnt lgkmcnt(1)
	v_cndmask_b32_e64 v80, v15, v68, s[72:73]
	v_cndmask_b32_e64 v81, v14, v69, s[72:73]
	;; [unrolled: 1-line block ×4, first 2 shown]
	v_and_b32_e32 v15, v80, v162
	v_and_b32_e32 v14, v81, v161
	;; [unrolled: 1-line block ×4, first 2 shown]
	v_cmp_le_u64_e64 s[76:77], v[20:21], v[14:15]
	v_cmp_lt_u32_e64 s[78:79], v24, v115
	v_cmp_ge_u32_e64 s[74:75], v25, v116
	s_and_b64 s[76:77], s[78:79], s[76:77]
	s_or_b64 s[74:75], s[74:75], s[76:77]
	v_cndmask_b32_e64 v26, v25, v24, s[74:75]
	v_cndmask_b32_e64 v14, v116, v115, s[74:75]
	v_add_u32_e32 v27, 1, v26
	v_add_u32_e32 v14, -1, v14
	v_min_u32_e32 v14, v27, v14
	v_lshl_add_u32 v18, v19, 3, v30
	v_lshl_add_u32 v14, v14, 3, v30
	v_lshl_add_u32 v20, v22, 3, v30
	v_lshl_add_u32 v22, v23, 3, v30
	ds_read_b64 v[18:19], v18 offset:32768
	ds_read_b64 v[22:23], v22 offset:32768
	ds_read_b64 v[14:15], v14
	v_cndmask_b32_e64 v28, v27, v25, s[74:75]
	v_cndmask_b32_e64 v29, v24, v27, s[74:75]
	v_cmp_lt_u32_e64 s[90:91], v29, v115
	v_cmp_ge_u32_e64 s[76:77], v28, v116
	s_waitcnt lgkmcnt(0)
	v_cndmask_b32_e64 v84, v15, v80, s[74:75]
	v_cndmask_b32_e64 v85, v14, v81, s[74:75]
	;; [unrolled: 1-line block ×4, first 2 shown]
	v_and_b32_e32 v15, v84, v162
	v_and_b32_e32 v14, v85, v161
	;; [unrolled: 1-line block ×4, first 2 shown]
	v_cmp_le_u64_e64 s[78:79], v[24:25], v[14:15]
	v_lshl_add_u32 v24, v26, 3, v30
	s_and_b64 s[78:79], s[90:91], s[78:79]
	s_or_b64 s[76:77], s[76:77], s[78:79]
	v_cndmask_b32_e64 v27, v28, v29, s[76:77]
	v_cndmask_b32_e64 v14, v116, v115, s[76:77]
	v_add_u32_e32 v32, 1, v27
	v_add_u32_e32 v14, -1, v14
	v_min_u32_e32 v14, v32, v14
	v_lshl_add_u32 v14, v14, 3, v30
	v_lshl_add_u32 v26, v27, 3, v30
	ds_read_b64 v[20:21], v20 offset:32768
	ds_read_b64 v[24:25], v24 offset:32768
	;; [unrolled: 1-line block ×3, first 2 shown]
	ds_read_b64 v[14:15], v14
	v_cndmask_b32_e64 v38, v32, v28, s[76:77]
	v_cndmask_b32_e64 v39, v29, v32, s[76:77]
	v_cmp_lt_u32_e64 s[92:93], v39, v115
	v_cmp_ge_u32_e64 s[78:79], v38, v116
	s_waitcnt lgkmcnt(0)
	v_cndmask_b32_e64 v96, v15, v84, s[76:77]
	v_cndmask_b32_e64 v97, v14, v85, s[76:77]
	;; [unrolled: 1-line block ×4, first 2 shown]
	v_and_b32_e32 v15, v96, v162
	v_and_b32_e32 v14, v97, v161
	;; [unrolled: 1-line block ×4, first 2 shown]
	v_cmp_le_u64_e64 s[90:91], v[28:29], v[14:15]
	v_cndmask_b32_e64 v29, v34, v36, s[58:59]
	s_and_b64 s[90:91], s[92:93], s[90:91]
	s_or_b64 s[78:79], s[78:79], s[90:91]
	v_cndmask_b32_e64 v14, v38, v39, s[78:79]
	v_cndmask_b32_e64 v15, v116, v115, s[78:79]
	v_lshl_add_u32 v28, v14, 3, v30
	v_add_u32_e32 v100, 1, v14
	v_add_u32_e32 v14, -1, v15
	v_min_u32_e32 v14, v100, v14
	v_lshl_add_u32 v14, v14, 3, v30
	ds_read_b64 v[32:33], v28 offset:32768
	ds_read_b64 v[14:15], v14
	v_cndmask_b32_e64 v28, v35, v37, s[58:59]
	v_cndmask_b32_e64 v113, v100, v38, s[78:79]
	;; [unrolled: 1-line block ×3, first 2 shown]
	v_cmp_lt_u32_e64 s[90:91], v100, v115
	s_waitcnt lgkmcnt(0)
	v_cndmask_b32_e64 v101, v15, v96, s[78:79]
	v_cndmask_b32_e64 v102, v14, v97, s[78:79]
	;; [unrolled: 1-line block ×4, first 2 shown]
	v_and_b32_e32 v11, v101, v162
	v_and_b32_e32 v10, v102, v161
	;; [unrolled: 1-line block ×4, first 2 shown]
	v_cmp_le_u64_e64 s[58:59], v[14:15], v[10:11]
	v_cmp_ge_u32_e64 s[46:47], v113, v116
	s_and_b64 s[58:59], s[90:91], s[58:59]
	s_or_b64 s[46:47], s[46:47], s[58:59]
	v_cndmask_b32_e64 v10, v113, v100, s[46:47]
	v_cndmask_b32_e64 v11, v116, v115, s[46:47]
	v_lshl_add_u32 v14, v10, 3, v30
	v_add_u32_e32 v15, 1, v10
	v_add_u32_e32 v10, -1, v11
	v_min_u32_e32 v10, v15, v10
	v_lshl_add_u32 v10, v10, 3, v30
	ds_read_b64 v[38:39], v14 offset:32768
	ds_read_b64 v[10:11], v10
	v_cndmask_b32_e64 v37, v52, v54, s[62:63]
	v_cndmask_b32_e64 v36, v53, v55, s[62:63]
	;; [unrolled: 1-line block ×4, first 2 shown]
	s_waitcnt lgkmcnt(0)
	v_cndmask_b32_e64 v117, v11, v101, s[46:47]
	v_cndmask_b32_e64 v118, v10, v102, s[46:47]
	;; [unrolled: 1-line block ×4, first 2 shown]
	v_and_b32_e32 v11, v117, v162
	v_and_b32_e32 v10, v118, v161
	v_and_b32_e32 v15, v119, v162
	v_and_b32_e32 v14, v128, v161
	v_cmp_le_u64_e64 s[58:59], v[14:15], v[10:11]
	v_cmp_lt_u32_e64 s[62:63], v55, v115
	v_cndmask_b32_e64 v35, v48, v50, s[56:57]
	v_cndmask_b32_e64 v34, v49, v51, s[56:57]
	v_cmp_ge_u32_e64 s[56:57], v54, v116
	s_and_b64 s[58:59], s[62:63], s[58:59]
	s_or_b64 s[56:57], s[56:57], s[58:59]
	v_cndmask_b32_e64 v10, v54, v55, s[56:57]
	v_cndmask_b32_e64 v11, v116, v115, s[56:57]
	v_lshl_add_u32 v14, v10, 3, v30
	v_add_u32_e32 v15, 1, v10
	v_add_u32_e32 v10, -1, v11
	v_min_u32_e32 v10, v15, v10
	v_lshl_add_u32 v10, v10, 3, v30
	ds_read_b64 v[52:53], v14 offset:32768
	ds_read_b64 v[10:11], v10
	v_cndmask_b32_e64 v51, v68, v70, s[72:73]
	v_cndmask_b32_e64 v50, v69, v71, s[72:73]
	;; [unrolled: 1-line block ×4, first 2 shown]
	s_waitcnt lgkmcnt(0)
	v_cndmask_b32_e64 v68, v11, v117, s[56:57]
	v_cndmask_b32_e64 v69, v10, v118, s[56:57]
	;; [unrolled: 1-line block ×4, first 2 shown]
	v_and_b32_e32 v11, v68, v162
	v_and_b32_e32 v10, v69, v161
	;; [unrolled: 1-line block ×4, first 2 shown]
	v_cndmask_b32_e64 v49, v64, v66, s[60:61]
	v_cndmask_b32_e64 v48, v65, v67, s[60:61]
	v_cmp_le_u64_e64 s[60:61], v[14:15], v[10:11]
	v_cmp_lt_u32_e64 s[62:63], v113, v115
	v_cmp_ge_u32_e64 s[58:59], v100, v116
	s_and_b64 s[60:61], s[62:63], s[60:61]
	s_or_b64 s[58:59], s[58:59], s[60:61]
	v_cndmask_b32_e64 v10, v100, v113, s[58:59]
	v_cndmask_b32_e64 v11, v116, v115, s[58:59]
	v_lshl_add_u32 v14, v10, 3, v30
	v_add_u32_e32 v15, 1, v10
	v_add_u32_e32 v10, -1, v11
	v_min_u32_e32 v10, v15, v10
	v_lshl_add_u32 v10, v10, 3, v30
	ds_read_b64 v[66:67], v14 offset:32768
	ds_read_b64 v[10:11], v10
	v_cndmask_b32_e64 v65, v84, v86, s[76:77]
	v_cndmask_b32_e64 v64, v85, v87, s[76:77]
	;; [unrolled: 1-line block ×4, first 2 shown]
	s_waitcnt lgkmcnt(0)
	v_cndmask_b32_e64 v129, v11, v68, s[58:59]
	v_cndmask_b32_e64 v130, v10, v69, s[58:59]
	v_cndmask_b32_e64 v131, v70, v11, s[58:59]
	v_cndmask_b32_e64 v132, v71, v10, s[58:59]
	v_and_b32_e32 v11, v129, v162
	v_and_b32_e32 v10, v130, v161
	v_and_b32_e32 v15, v131, v162
	v_and_b32_e32 v14, v132, v161
	v_cmp_le_u64_e64 s[62:63], v[14:15], v[10:11]
	v_cmp_lt_u32_e64 s[72:73], v87, v115
	v_cmp_ge_u32_e64 s[60:61], v86, v116
	s_and_b64 s[62:63], s[72:73], s[62:63]
	s_or_b64 s[60:61], s[60:61], s[62:63]
	v_cndmask_b32_e64 v10, v86, v87, s[60:61]
	v_cndmask_b32_e64 v11, v116, v115, s[60:61]
	v_lshl_add_u32 v14, v10, 3, v30
	v_add_u32_e32 v15, 1, v10
	v_add_u32_e32 v10, -1, v11
	v_min_u32_e32 v10, v15, v10
	v_lshl_add_u32 v10, v10, 3, v30
	ds_read_b64 v[84:85], v14 offset:32768
	ds_read_b64 v[10:11], v10
	v_cndmask_b32_e64 v55, v80, v82, s[74:75]
	v_cndmask_b32_e64 v54, v81, v83, s[74:75]
	;; [unrolled: 1-line block ×4, first 2 shown]
	s_waitcnt lgkmcnt(0)
	v_cndmask_b32_e64 v102, v11, v129, s[60:61]
	v_cndmask_b32_e64 v103, v10, v130, s[60:61]
	;; [unrolled: 1-line block ×8, first 2 shown]
	v_and_b32_e32 v11, v102, v162
	v_and_b32_e32 v10, v103, v161
	;; [unrolled: 1-line block ×4, first 2 shown]
	v_cmp_le_u64_e64 s[62:63], v[14:15], v[10:11]
	v_cmp_lt_u32_e64 s[72:73], v97, v115
	v_cmp_ge_u32_e64 s[46:47], v96, v116
	s_and_b64 s[62:63], s[72:73], s[62:63]
	s_or_b64 s[46:47], s[46:47], s[62:63]
	v_cndmask_b32_e64 v10, v96, v97, s[46:47]
	v_cndmask_b32_e64 v11, v116, v115, s[46:47]
	v_lshl_add_u32 v14, v10, 3, v30
	v_add_u32_e32 v15, 1, v10
	v_add_u32_e32 v10, -1, v11
	v_min_u32_e32 v10, v15, v10
	v_lshl_add_u32 v10, v10, 3, v30
	ds_read_b64 v[100:101], v14 offset:32768
	ds_read_b64 v[10:11], v10
	v_cndmask_b32_e64 v87, v117, v119, s[56:57]
	v_cndmask_b32_e64 v86, v118, v128, s[56:57]
	;; [unrolled: 1-line block ×4, first 2 shown]
	s_waitcnt lgkmcnt(0)
	v_cndmask_b32_e64 v117, v11, v102, s[46:47]
	v_cndmask_b32_e64 v118, v10, v103, s[46:47]
	;; [unrolled: 1-line block ×4, first 2 shown]
	v_and_b32_e32 v11, v117, v162
	v_and_b32_e32 v10, v118, v161
	v_and_b32_e32 v15, v119, v162
	v_and_b32_e32 v14, v128, v161
	v_cndmask_b32_e64 v99, v68, v70, s[58:59]
	v_cndmask_b32_e64 v98, v69, v71, s[58:59]
	v_cmp_le_u64_e64 s[58:59], v[14:15], v[10:11]
	v_cmp_lt_u32_e64 s[62:63], v134, v115
	v_cmp_ge_u32_e64 s[56:57], v133, v116
	s_and_b64 s[58:59], s[62:63], s[58:59]
	s_or_b64 s[56:57], s[56:57], s[58:59]
	v_cndmask_b32_e64 v10, v133, v134, s[56:57]
	v_cndmask_b32_e64 v11, v116, v115, s[56:57]
	v_lshl_add_u32 v14, v10, 3, v30
	v_add_u32_e32 v15, 1, v10
	v_add_u32_e32 v10, -1, v11
	v_min_u32_e32 v10, v15, v10
	v_lshl_add_u32 v10, v10, 3, v30
	ds_read_b64 v[70:71], v14 offset:32768
	ds_read_b64 v[10:11], v10
	v_cndmask_b32_e64 v97, v129, v131, s[60:61]
	v_cndmask_b32_e64 v96, v130, v132, s[60:61]
	;; [unrolled: 1-line block ×4, first 2 shown]
	s_waitcnt lgkmcnt(0)
	v_cndmask_b32_e64 v129, v11, v117, s[56:57]
	v_cndmask_b32_e64 v130, v10, v118, s[56:57]
	;; [unrolled: 1-line block ×6, first 2 shown]
	v_and_b32_e32 v11, v129, v162
	v_and_b32_e32 v10, v130, v161
	;; [unrolled: 1-line block ×4, first 2 shown]
	v_cmp_le_u64_e64 s[58:59], v[14:15], v[10:11]
	v_cmp_lt_u32_e64 s[60:61], v103, v115
	v_cmp_ge_u32_e64 s[46:47], v102, v116
	s_and_b64 s[58:59], s[60:61], s[58:59]
	s_or_b64 s[46:47], s[46:47], s[58:59]
	v_cndmask_b32_e64 v10, v102, v103, s[46:47]
	v_lshl_add_u32 v10, v10, 3, v30
	ds_read_b64 v[102:103], v10 offset:32768
	v_cndmask_b32_e64 v113, v117, v119, s[56:57]
	v_cndmask_b32_e64 v112, v118, v128, s[56:57]
	;; [unrolled: 1-line block ×4, first 2 shown]
.LBB821_302:
	s_or_b64 exec, exec, s[30:31]
	v_add_u32_e32 v10, 0x8000, v114
	; wave barrier
	ds_write2_b64 v114, v[12:13], v[28:29] offset1:1
	ds_write2_b64 v10, v[0:1], v[4:5] offset1:1
	v_add_u32_e32 v10, 0x8010, v114
	ds_write2_b64 v114, v[34:35], v[36:37] offset0:2 offset1:3
	ds_write2_b64 v10, v[16:17], v[18:19] offset1:1
	v_add_u32_e32 v10, 0x8020, v114
	ds_write2_b64 v114, v[48:49], v[50:51] offset0:4 offset1:5
	;; [unrolled: 3-line block ×7, first 2 shown]
	s_waitcnt lgkmcnt(14)
	ds_write2_b64 v10, v[70:71], v[102:103] offset1:1
	v_and_b32_e32 v10, 0x7c0, v151
	v_or_b32_e32 v11, 32, v10
	v_min_u32_e32 v115, v31, v11
	v_add_u32_e32 v11, 32, v115
	v_min_u32_e32 v116, v31, v11
	v_and_b32_e32 v11, 48, v151
	v_min_u32_e32 v11, v31, v11
	v_sub_u32_e32 v119, v115, v10
	v_sub_u32_e32 v118, v116, v115
	v_sub_u32_e64 v118, v11, v118 clamp
	v_min_u32_e32 v119, v11, v119
	v_lshl_add_u32 v117, v10, 3, v30
	v_cmp_lt_u32_e64 s[46:47], v118, v119
	; wave barrier
	s_and_saveexec_b64 s[56:57], s[46:47]
	s_cbranch_execz .LBB821_306
; %bb.303:
	v_lshlrev_b32_e32 v128, 3, v115
	v_lshlrev_b32_e32 v129, 3, v11
	v_add3_u32 v128, v30, v128, v129
	s_mov_b64 s[58:59], 0
.LBB821_304:                            ; =>This Inner Loop Header: Depth=1
	v_add_u32_e32 v129, v119, v118
	v_lshrrev_b32_e32 v133, 1, v129
	v_not_b32_e32 v131, v133
	v_lshl_add_u32 v129, v133, 3, v117
	v_lshl_add_u32 v131, v131, 3, v128
	ds_read_b64 v[129:130], v129
	ds_read_b64 v[131:132], v131
	v_add_u32_e32 v134, 1, v133
	s_waitcnt lgkmcnt(1)
	v_and_b32_e32 v130, v130, v162
	v_and_b32_e32 v129, v129, v161
	s_waitcnt lgkmcnt(0)
	v_and_b32_e32 v132, v132, v162
	v_and_b32_e32 v131, v131, v161
	v_cmp_gt_u64_e64 s[46:47], v[129:130], v[131:132]
	v_cndmask_b32_e64 v119, v119, v133, s[46:47]
	v_cndmask_b32_e64 v118, v134, v118, s[46:47]
	v_cmp_ge_u32_e64 s[46:47], v118, v119
	s_or_b64 s[58:59], s[46:47], s[58:59]
	s_andn2_b64 exec, exec, s[58:59]
	s_cbranch_execnz .LBB821_304
; %bb.305:
	s_or_b64 exec, exec, s[58:59]
.LBB821_306:
	s_or_b64 exec, exec, s[56:57]
	v_add_u32_e32 v119, v118, v10
	v_add_u32_e32 v10, v115, v11
	v_sub_u32_e32 v128, v10, v118
	v_cmp_le_u32_e64 s[46:47], v119, v115
	v_cmp_le_u32_e64 s[56:57], v128, v116
	s_or_b64 s[46:47], s[46:47], s[56:57]
	s_and_saveexec_b64 s[30:31], s[46:47]
	s_cbranch_execz .LBB821_312
; %bb.307:
	v_cmp_lt_u32_e64 s[46:47], v119, v115
                                        ; implicit-def: $vgpr10_vgpr11
	s_and_saveexec_b64 s[56:57], s[46:47]
; %bb.308:
	v_lshl_add_u32 v0, v118, 3, v117
	ds_read_b64 v[10:11], v0
; %bb.309:
	s_or_b64 exec, exec, s[56:57]
	v_cmp_ge_u32_e64 s[56:57], v128, v116
	v_cmp_lt_u32_e64 s[58:59], v128, v116
                                        ; implicit-def: $vgpr12_vgpr13
	s_and_saveexec_b64 s[60:61], s[58:59]
; %bb.310:
	v_lshl_add_u32 v0, v128, 3, v30
	ds_read_b64 v[12:13], v0
; %bb.311:
	s_or_b64 exec, exec, s[60:61]
	s_waitcnt lgkmcnt(0)
	v_and_b32_e32 v1, v13, v162
	v_and_b32_e32 v0, v12, v161
	;; [unrolled: 1-line block ×4, first 2 shown]
	v_cmp_le_u64_e64 s[58:59], v[4:5], v[0:1]
	s_and_b64 s[46:47], s[46:47], s[58:59]
	s_or_b64 s[46:47], s[56:57], s[46:47]
	v_cndmask_b32_e64 v16, v128, v119, s[46:47]
	v_cndmask_b32_e64 v0, v116, v115, s[46:47]
	v_add_u32_e32 v4, 1, v16
	v_add_u32_e32 v0, -1, v0
	v_min_u32_e32 v0, v4, v0
	v_lshl_add_u32 v0, v0, 3, v30
	ds_read_b64 v[0:1], v0
	v_cndmask_b32_e64 v14, v4, v128, s[46:47]
	v_cndmask_b32_e64 v15, v119, v4, s[46:47]
	v_cmp_lt_u32_e64 s[60:61], v15, v115
	v_cmp_ge_u32_e64 s[56:57], v14, v116
	s_waitcnt lgkmcnt(0)
	v_cndmask_b32_e64 v34, v1, v13, s[46:47]
	v_cndmask_b32_e64 v35, v0, v12, s[46:47]
	;; [unrolled: 1-line block ×4, first 2 shown]
	v_and_b32_e32 v1, v34, v162
	v_and_b32_e32 v0, v35, v161
	;; [unrolled: 1-line block ×4, first 2 shown]
	v_cmp_le_u64_e64 s[58:59], v[4:5], v[0:1]
	v_cndmask_b32_e64 v13, v13, v11, s[46:47]
	s_and_b64 s[58:59], s[60:61], s[58:59]
	s_or_b64 s[58:59], s[56:57], s[58:59]
	v_cndmask_b32_e64 v17, v14, v15, s[58:59]
	v_cndmask_b32_e64 v0, v116, v115, s[58:59]
	v_add_u32_e32 v4, 1, v17
	v_add_u32_e32 v0, -1, v0
	v_min_u32_e32 v0, v4, v0
	v_lshl_add_u32 v0, v0, 3, v30
	ds_read_b64 v[0:1], v0
	v_cndmask_b32_e64 v14, v4, v14, s[58:59]
	v_cndmask_b32_e64 v15, v15, v4, s[58:59]
	v_cmp_lt_u32_e64 s[62:63], v15, v115
	v_cmp_ge_u32_e64 s[56:57], v14, v116
	s_waitcnt lgkmcnt(0)
	v_cndmask_b32_e64 v48, v1, v34, s[58:59]
	v_cndmask_b32_e64 v49, v0, v35, s[58:59]
	v_cndmask_b32_e64 v50, v36, v1, s[58:59]
	v_cndmask_b32_e64 v51, v37, v0, s[58:59]
	v_and_b32_e32 v1, v48, v162
	v_and_b32_e32 v0, v49, v161
	;; [unrolled: 1-line block ×4, first 2 shown]
	v_cmp_le_u64_e64 s[60:61], v[4:5], v[0:1]
	v_cndmask_b32_e64 v12, v12, v10, s[46:47]
	s_and_b64 s[60:61], s[62:63], s[60:61]
	s_or_b64 s[56:57], s[56:57], s[60:61]
	v_cndmask_b32_e64 v18, v14, v15, s[56:57]
	v_cndmask_b32_e64 v0, v116, v115, s[56:57]
	v_add_u32_e32 v4, 1, v18
	v_add_u32_e32 v0, -1, v0
	v_min_u32_e32 v0, v4, v0
	v_lshl_add_u32 v0, v0, 3, v30
	ds_read_b64 v[0:1], v0
	v_cndmask_b32_e64 v14, v4, v14, s[56:57]
	v_cndmask_b32_e64 v15, v15, v4, s[56:57]
	v_cmp_lt_u32_e64 s[72:73], v15, v115
	v_cmp_ge_u32_e64 s[60:61], v14, v116
	s_waitcnt lgkmcnt(0)
	v_cndmask_b32_e64 v52, v1, v48, s[56:57]
	v_cndmask_b32_e64 v53, v0, v49, s[56:57]
	;; [unrolled: 1-line block ×4, first 2 shown]
	v_and_b32_e32 v1, v52, v162
	v_and_b32_e32 v0, v53, v161
	;; [unrolled: 1-line block ×4, first 2 shown]
	v_cmp_le_u64_e64 s[62:63], v[4:5], v[0:1]
	s_and_b64 s[62:63], s[72:73], s[62:63]
	s_or_b64 s[62:63], s[60:61], s[62:63]
	v_cndmask_b32_e64 v19, v14, v15, s[62:63]
	v_cndmask_b32_e64 v0, v116, v115, s[62:63]
	v_add_u32_e32 v4, 1, v19
	v_add_u32_e32 v0, -1, v0
	v_min_u32_e32 v0, v4, v0
	v_lshl_add_u32 v0, v0, 3, v30
	ds_read_b64 v[0:1], v0
	v_cndmask_b32_e64 v20, v4, v14, s[62:63]
	v_cndmask_b32_e64 v21, v15, v4, s[62:63]
	v_cmp_lt_u32_e64 s[74:75], v21, v115
	v_cmp_ge_u32_e64 s[60:61], v20, v116
	s_waitcnt lgkmcnt(0)
	v_cndmask_b32_e64 v64, v1, v52, s[62:63]
	v_cndmask_b32_e64 v65, v0, v53, s[62:63]
	;; [unrolled: 1-line block ×4, first 2 shown]
	v_and_b32_e32 v1, v64, v162
	v_and_b32_e32 v0, v65, v161
	;; [unrolled: 1-line block ×4, first 2 shown]
	v_cmp_le_u64_e64 s[72:73], v[4:5], v[0:1]
	v_lshl_add_u32 v4, v17, 3, v30
	s_and_b64 s[72:73], s[74:75], s[72:73]
	s_or_b64 s[60:61], s[60:61], s[72:73]
	v_cndmask_b32_e64 v22, v20, v21, s[60:61]
	v_cndmask_b32_e64 v0, v116, v115, s[60:61]
	v_add_u32_e32 v23, 1, v22
	v_add_u32_e32 v0, -1, v0
	v_min_u32_e32 v0, v23, v0
	v_lshl_add_u32 v0, v0, 3, v30
	ds_read_b64 v[14:15], v0
	v_lshl_add_u32 v0, v16, 3, v30
	v_cndmask_b32_e64 v21, v21, v23, s[60:61]
	v_cndmask_b32_e64 v20, v23, v20, s[60:61]
	v_cmp_lt_u32_e64 s[76:77], v21, v115
	s_waitcnt lgkmcnt(0)
	v_cndmask_b32_e64 v68, v15, v64, s[60:61]
	v_cndmask_b32_e64 v69, v14, v65, s[60:61]
	;; [unrolled: 1-line block ×4, first 2 shown]
	v_and_b32_e32 v15, v68, v162
	v_and_b32_e32 v14, v69, v161
	;; [unrolled: 1-line block ×4, first 2 shown]
	v_cmp_le_u64_e64 s[74:75], v[16:17], v[14:15]
	v_cmp_ge_u32_e64 s[72:73], v20, v116
	s_and_b64 s[74:75], s[76:77], s[74:75]
	s_or_b64 s[72:73], s[72:73], s[74:75]
	v_cndmask_b32_e64 v23, v20, v21, s[72:73]
	v_cndmask_b32_e64 v14, v116, v115, s[72:73]
	v_add_u32_e32 v24, 1, v23
	v_add_u32_e32 v14, -1, v14
	v_min_u32_e32 v14, v24, v14
	v_lshl_add_u32 v14, v14, 3, v30
	ds_read_b64 v[0:1], v0 offset:32768
	ds_read_b64 v[4:5], v4 offset:32768
	ds_read_b64 v[14:15], v14
	v_lshl_add_u32 v16, v18, 3, v30
	ds_read_b64 v[16:17], v16 offset:32768
	v_cndmask_b32_e64 v25, v24, v20, s[72:73]
	v_cndmask_b32_e64 v24, v21, v24, s[72:73]
	s_waitcnt lgkmcnt(1)
	v_cndmask_b32_e64 v80, v15, v68, s[72:73]
	v_cndmask_b32_e64 v81, v14, v69, s[72:73]
	;; [unrolled: 1-line block ×4, first 2 shown]
	v_and_b32_e32 v15, v80, v162
	v_and_b32_e32 v14, v81, v161
	;; [unrolled: 1-line block ×4, first 2 shown]
	v_cmp_le_u64_e64 s[76:77], v[20:21], v[14:15]
	v_cmp_lt_u32_e64 s[78:79], v24, v115
	v_cmp_ge_u32_e64 s[74:75], v25, v116
	s_and_b64 s[76:77], s[78:79], s[76:77]
	s_or_b64 s[74:75], s[74:75], s[76:77]
	v_cndmask_b32_e64 v26, v25, v24, s[74:75]
	v_cndmask_b32_e64 v14, v116, v115, s[74:75]
	v_add_u32_e32 v27, 1, v26
	v_add_u32_e32 v14, -1, v14
	v_min_u32_e32 v14, v27, v14
	v_lshl_add_u32 v18, v19, 3, v30
	v_lshl_add_u32 v14, v14, 3, v30
	v_lshl_add_u32 v20, v22, 3, v30
	v_lshl_add_u32 v22, v23, 3, v30
	ds_read_b64 v[18:19], v18 offset:32768
	ds_read_b64 v[22:23], v22 offset:32768
	ds_read_b64 v[14:15], v14
	v_cndmask_b32_e64 v28, v27, v25, s[74:75]
	v_cndmask_b32_e64 v29, v24, v27, s[74:75]
	v_cmp_lt_u32_e64 s[90:91], v29, v115
	v_cmp_ge_u32_e64 s[76:77], v28, v116
	s_waitcnt lgkmcnt(0)
	v_cndmask_b32_e64 v84, v15, v80, s[74:75]
	v_cndmask_b32_e64 v85, v14, v81, s[74:75]
	;; [unrolled: 1-line block ×4, first 2 shown]
	v_and_b32_e32 v15, v84, v162
	v_and_b32_e32 v14, v85, v161
	;; [unrolled: 1-line block ×4, first 2 shown]
	v_cmp_le_u64_e64 s[78:79], v[24:25], v[14:15]
	v_lshl_add_u32 v24, v26, 3, v30
	s_and_b64 s[78:79], s[90:91], s[78:79]
	s_or_b64 s[76:77], s[76:77], s[78:79]
	v_cndmask_b32_e64 v27, v28, v29, s[76:77]
	v_cndmask_b32_e64 v14, v116, v115, s[76:77]
	v_add_u32_e32 v32, 1, v27
	v_add_u32_e32 v14, -1, v14
	v_min_u32_e32 v14, v32, v14
	v_lshl_add_u32 v14, v14, 3, v30
	v_lshl_add_u32 v26, v27, 3, v30
	ds_read_b64 v[20:21], v20 offset:32768
	ds_read_b64 v[24:25], v24 offset:32768
	;; [unrolled: 1-line block ×3, first 2 shown]
	ds_read_b64 v[14:15], v14
	v_cndmask_b32_e64 v38, v32, v28, s[76:77]
	v_cndmask_b32_e64 v39, v29, v32, s[76:77]
	v_cmp_lt_u32_e64 s[92:93], v39, v115
	v_cmp_ge_u32_e64 s[78:79], v38, v116
	s_waitcnt lgkmcnt(0)
	v_cndmask_b32_e64 v96, v15, v84, s[76:77]
	v_cndmask_b32_e64 v97, v14, v85, s[76:77]
	;; [unrolled: 1-line block ×4, first 2 shown]
	v_and_b32_e32 v15, v96, v162
	v_and_b32_e32 v14, v97, v161
	;; [unrolled: 1-line block ×4, first 2 shown]
	v_cmp_le_u64_e64 s[90:91], v[28:29], v[14:15]
	v_cndmask_b32_e64 v29, v34, v36, s[58:59]
	s_and_b64 s[90:91], s[92:93], s[90:91]
	s_or_b64 s[78:79], s[78:79], s[90:91]
	v_cndmask_b32_e64 v14, v38, v39, s[78:79]
	v_cndmask_b32_e64 v15, v116, v115, s[78:79]
	v_lshl_add_u32 v28, v14, 3, v30
	v_add_u32_e32 v100, 1, v14
	v_add_u32_e32 v14, -1, v15
	v_min_u32_e32 v14, v100, v14
	v_lshl_add_u32 v14, v14, 3, v30
	ds_read_b64 v[32:33], v28 offset:32768
	ds_read_b64 v[14:15], v14
	v_cndmask_b32_e64 v28, v35, v37, s[58:59]
	v_cndmask_b32_e64 v113, v100, v38, s[78:79]
	;; [unrolled: 1-line block ×3, first 2 shown]
	v_cmp_lt_u32_e64 s[90:91], v100, v115
	s_waitcnt lgkmcnt(0)
	v_cndmask_b32_e64 v101, v15, v96, s[78:79]
	v_cndmask_b32_e64 v102, v14, v97, s[78:79]
	;; [unrolled: 1-line block ×4, first 2 shown]
	v_and_b32_e32 v11, v101, v162
	v_and_b32_e32 v10, v102, v161
	;; [unrolled: 1-line block ×4, first 2 shown]
	v_cmp_le_u64_e64 s[58:59], v[14:15], v[10:11]
	v_cmp_ge_u32_e64 s[46:47], v113, v116
	s_and_b64 s[58:59], s[90:91], s[58:59]
	s_or_b64 s[46:47], s[46:47], s[58:59]
	v_cndmask_b32_e64 v10, v113, v100, s[46:47]
	v_cndmask_b32_e64 v11, v116, v115, s[46:47]
	v_lshl_add_u32 v14, v10, 3, v30
	v_add_u32_e32 v15, 1, v10
	v_add_u32_e32 v10, -1, v11
	v_min_u32_e32 v10, v15, v10
	v_lshl_add_u32 v10, v10, 3, v30
	ds_read_b64 v[38:39], v14 offset:32768
	ds_read_b64 v[10:11], v10
	v_cndmask_b32_e64 v37, v52, v54, s[62:63]
	v_cndmask_b32_e64 v36, v53, v55, s[62:63]
	;; [unrolled: 1-line block ×4, first 2 shown]
	s_waitcnt lgkmcnt(0)
	v_cndmask_b32_e64 v117, v11, v101, s[46:47]
	v_cndmask_b32_e64 v118, v10, v102, s[46:47]
	;; [unrolled: 1-line block ×4, first 2 shown]
	v_and_b32_e32 v11, v117, v162
	v_and_b32_e32 v10, v118, v161
	;; [unrolled: 1-line block ×4, first 2 shown]
	v_cmp_le_u64_e64 s[58:59], v[14:15], v[10:11]
	v_cmp_lt_u32_e64 s[62:63], v55, v115
	v_cndmask_b32_e64 v35, v48, v50, s[56:57]
	v_cndmask_b32_e64 v34, v49, v51, s[56:57]
	v_cmp_ge_u32_e64 s[56:57], v54, v116
	s_and_b64 s[58:59], s[62:63], s[58:59]
	s_or_b64 s[56:57], s[56:57], s[58:59]
	v_cndmask_b32_e64 v10, v54, v55, s[56:57]
	v_cndmask_b32_e64 v11, v116, v115, s[56:57]
	v_lshl_add_u32 v14, v10, 3, v30
	v_add_u32_e32 v15, 1, v10
	v_add_u32_e32 v10, -1, v11
	v_min_u32_e32 v10, v15, v10
	v_lshl_add_u32 v10, v10, 3, v30
	ds_read_b64 v[52:53], v14 offset:32768
	ds_read_b64 v[10:11], v10
	v_cndmask_b32_e64 v51, v68, v70, s[72:73]
	v_cndmask_b32_e64 v50, v69, v71, s[72:73]
	;; [unrolled: 1-line block ×4, first 2 shown]
	s_waitcnt lgkmcnt(0)
	v_cndmask_b32_e64 v68, v11, v117, s[56:57]
	v_cndmask_b32_e64 v69, v10, v118, s[56:57]
	v_cndmask_b32_e64 v70, v119, v11, s[56:57]
	v_cndmask_b32_e64 v71, v128, v10, s[56:57]
	v_and_b32_e32 v11, v68, v162
	v_and_b32_e32 v10, v69, v161
	;; [unrolled: 1-line block ×4, first 2 shown]
	v_cndmask_b32_e64 v49, v64, v66, s[60:61]
	v_cndmask_b32_e64 v48, v65, v67, s[60:61]
	v_cmp_le_u64_e64 s[60:61], v[14:15], v[10:11]
	v_cmp_lt_u32_e64 s[62:63], v113, v115
	v_cmp_ge_u32_e64 s[58:59], v100, v116
	s_and_b64 s[60:61], s[62:63], s[60:61]
	s_or_b64 s[58:59], s[58:59], s[60:61]
	v_cndmask_b32_e64 v10, v100, v113, s[58:59]
	v_cndmask_b32_e64 v11, v116, v115, s[58:59]
	v_lshl_add_u32 v14, v10, 3, v30
	v_add_u32_e32 v15, 1, v10
	v_add_u32_e32 v10, -1, v11
	v_min_u32_e32 v10, v15, v10
	v_lshl_add_u32 v10, v10, 3, v30
	ds_read_b64 v[66:67], v14 offset:32768
	ds_read_b64 v[10:11], v10
	v_cndmask_b32_e64 v65, v84, v86, s[76:77]
	v_cndmask_b32_e64 v64, v85, v87, s[76:77]
	;; [unrolled: 1-line block ×4, first 2 shown]
	s_waitcnt lgkmcnt(0)
	v_cndmask_b32_e64 v129, v11, v68, s[58:59]
	v_cndmask_b32_e64 v130, v10, v69, s[58:59]
	;; [unrolled: 1-line block ×4, first 2 shown]
	v_and_b32_e32 v11, v129, v162
	v_and_b32_e32 v10, v130, v161
	;; [unrolled: 1-line block ×4, first 2 shown]
	v_cmp_le_u64_e64 s[62:63], v[14:15], v[10:11]
	v_cmp_lt_u32_e64 s[72:73], v87, v115
	v_cmp_ge_u32_e64 s[60:61], v86, v116
	s_and_b64 s[62:63], s[72:73], s[62:63]
	s_or_b64 s[60:61], s[60:61], s[62:63]
	v_cndmask_b32_e64 v10, v86, v87, s[60:61]
	v_cndmask_b32_e64 v11, v116, v115, s[60:61]
	v_lshl_add_u32 v14, v10, 3, v30
	v_add_u32_e32 v15, 1, v10
	v_add_u32_e32 v10, -1, v11
	v_min_u32_e32 v10, v15, v10
	v_lshl_add_u32 v10, v10, 3, v30
	ds_read_b64 v[84:85], v14 offset:32768
	ds_read_b64 v[10:11], v10
	v_cndmask_b32_e64 v55, v80, v82, s[74:75]
	v_cndmask_b32_e64 v54, v81, v83, s[74:75]
	;; [unrolled: 1-line block ×4, first 2 shown]
	s_waitcnt lgkmcnt(0)
	v_cndmask_b32_e64 v102, v11, v129, s[60:61]
	v_cndmask_b32_e64 v103, v10, v130, s[60:61]
	;; [unrolled: 1-line block ×8, first 2 shown]
	v_and_b32_e32 v11, v102, v162
	v_and_b32_e32 v10, v103, v161
	;; [unrolled: 1-line block ×4, first 2 shown]
	v_cmp_le_u64_e64 s[62:63], v[14:15], v[10:11]
	v_cmp_lt_u32_e64 s[72:73], v97, v115
	v_cmp_ge_u32_e64 s[46:47], v96, v116
	s_and_b64 s[62:63], s[72:73], s[62:63]
	s_or_b64 s[46:47], s[46:47], s[62:63]
	v_cndmask_b32_e64 v10, v96, v97, s[46:47]
	v_cndmask_b32_e64 v11, v116, v115, s[46:47]
	v_lshl_add_u32 v14, v10, 3, v30
	v_add_u32_e32 v15, 1, v10
	v_add_u32_e32 v10, -1, v11
	v_min_u32_e32 v10, v15, v10
	v_lshl_add_u32 v10, v10, 3, v30
	ds_read_b64 v[100:101], v14 offset:32768
	ds_read_b64 v[10:11], v10
	v_cndmask_b32_e64 v87, v117, v119, s[56:57]
	v_cndmask_b32_e64 v86, v118, v128, s[56:57]
	;; [unrolled: 1-line block ×4, first 2 shown]
	s_waitcnt lgkmcnt(0)
	v_cndmask_b32_e64 v117, v11, v102, s[46:47]
	v_cndmask_b32_e64 v118, v10, v103, s[46:47]
	;; [unrolled: 1-line block ×4, first 2 shown]
	v_and_b32_e32 v11, v117, v162
	v_and_b32_e32 v10, v118, v161
	;; [unrolled: 1-line block ×4, first 2 shown]
	v_cndmask_b32_e64 v99, v68, v70, s[58:59]
	v_cndmask_b32_e64 v98, v69, v71, s[58:59]
	v_cmp_le_u64_e64 s[58:59], v[14:15], v[10:11]
	v_cmp_lt_u32_e64 s[62:63], v134, v115
	v_cmp_ge_u32_e64 s[56:57], v133, v116
	s_and_b64 s[58:59], s[62:63], s[58:59]
	s_or_b64 s[56:57], s[56:57], s[58:59]
	v_cndmask_b32_e64 v10, v133, v134, s[56:57]
	v_cndmask_b32_e64 v11, v116, v115, s[56:57]
	v_lshl_add_u32 v14, v10, 3, v30
	v_add_u32_e32 v15, 1, v10
	v_add_u32_e32 v10, -1, v11
	v_min_u32_e32 v10, v15, v10
	v_lshl_add_u32 v10, v10, 3, v30
	ds_read_b64 v[70:71], v14 offset:32768
	ds_read_b64 v[10:11], v10
	v_cndmask_b32_e64 v97, v129, v131, s[60:61]
	v_cndmask_b32_e64 v96, v130, v132, s[60:61]
	;; [unrolled: 1-line block ×4, first 2 shown]
	s_waitcnt lgkmcnt(0)
	v_cndmask_b32_e64 v129, v11, v117, s[56:57]
	v_cndmask_b32_e64 v130, v10, v118, s[56:57]
	;; [unrolled: 1-line block ×6, first 2 shown]
	v_and_b32_e32 v11, v129, v162
	v_and_b32_e32 v10, v130, v161
	;; [unrolled: 1-line block ×4, first 2 shown]
	v_cmp_le_u64_e64 s[58:59], v[14:15], v[10:11]
	v_cmp_lt_u32_e64 s[60:61], v103, v115
	v_cmp_ge_u32_e64 s[46:47], v102, v116
	s_and_b64 s[58:59], s[60:61], s[58:59]
	s_or_b64 s[46:47], s[46:47], s[58:59]
	v_cndmask_b32_e64 v10, v102, v103, s[46:47]
	v_lshl_add_u32 v10, v10, 3, v30
	ds_read_b64 v[102:103], v10 offset:32768
	v_cndmask_b32_e64 v113, v117, v119, s[56:57]
	v_cndmask_b32_e64 v112, v118, v128, s[56:57]
	;; [unrolled: 1-line block ×4, first 2 shown]
.LBB821_312:
	s_or_b64 exec, exec, s[30:31]
	v_add_u32_e32 v10, 0x8000, v114
	; wave barrier
	ds_write2_b64 v114, v[12:13], v[28:29] offset1:1
	ds_write2_b64 v10, v[0:1], v[4:5] offset1:1
	v_add_u32_e32 v10, 0x8010, v114
	ds_write2_b64 v114, v[34:35], v[36:37] offset0:2 offset1:3
	ds_write2_b64 v10, v[16:17], v[18:19] offset1:1
	v_add_u32_e32 v10, 0x8020, v114
	ds_write2_b64 v114, v[48:49], v[50:51] offset0:4 offset1:5
	;; [unrolled: 3-line block ×7, first 2 shown]
	s_waitcnt lgkmcnt(14)
	ds_write2_b64 v10, v[70:71], v[102:103] offset1:1
	v_and_b32_e32 v10, 0x780, v151
	v_or_b32_e32 v11, 64, v10
	v_min_u32_e32 v115, v31, v11
	v_add_u32_e32 v11, 64, v115
	v_min_u32_e32 v116, v31, v11
	v_and_b32_e32 v11, 0x70, v151
	v_min_u32_e32 v11, v31, v11
	v_sub_u32_e32 v119, v115, v10
	v_sub_u32_e32 v118, v116, v115
	v_sub_u32_e64 v118, v11, v118 clamp
	v_min_u32_e32 v119, v11, v119
	v_lshl_add_u32 v117, v10, 3, v30
	v_cmp_lt_u32_e64 s[46:47], v118, v119
	; wave barrier
	s_and_saveexec_b64 s[56:57], s[46:47]
	s_cbranch_execz .LBB821_316
; %bb.313:
	v_lshlrev_b32_e32 v128, 3, v115
	v_lshlrev_b32_e32 v129, 3, v11
	v_add3_u32 v128, v30, v128, v129
	s_mov_b64 s[58:59], 0
.LBB821_314:                            ; =>This Inner Loop Header: Depth=1
	v_add_u32_e32 v129, v119, v118
	v_lshrrev_b32_e32 v133, 1, v129
	v_not_b32_e32 v131, v133
	v_lshl_add_u32 v129, v133, 3, v117
	v_lshl_add_u32 v131, v131, 3, v128
	ds_read_b64 v[129:130], v129
	ds_read_b64 v[131:132], v131
	v_add_u32_e32 v134, 1, v133
	s_waitcnt lgkmcnt(1)
	v_and_b32_e32 v130, v130, v162
	v_and_b32_e32 v129, v129, v161
	s_waitcnt lgkmcnt(0)
	v_and_b32_e32 v132, v132, v162
	v_and_b32_e32 v131, v131, v161
	v_cmp_gt_u64_e64 s[46:47], v[129:130], v[131:132]
	v_cndmask_b32_e64 v119, v119, v133, s[46:47]
	v_cndmask_b32_e64 v118, v134, v118, s[46:47]
	v_cmp_ge_u32_e64 s[46:47], v118, v119
	s_or_b64 s[58:59], s[46:47], s[58:59]
	s_andn2_b64 exec, exec, s[58:59]
	s_cbranch_execnz .LBB821_314
; %bb.315:
	s_or_b64 exec, exec, s[58:59]
.LBB821_316:
	s_or_b64 exec, exec, s[56:57]
	v_add_u32_e32 v119, v118, v10
	v_add_u32_e32 v10, v115, v11
	v_sub_u32_e32 v128, v10, v118
	v_cmp_le_u32_e64 s[46:47], v119, v115
	v_cmp_le_u32_e64 s[56:57], v128, v116
	s_or_b64 s[46:47], s[46:47], s[56:57]
	s_and_saveexec_b64 s[30:31], s[46:47]
	s_cbranch_execz .LBB821_322
; %bb.317:
	v_cmp_lt_u32_e64 s[46:47], v119, v115
                                        ; implicit-def: $vgpr10_vgpr11
	s_and_saveexec_b64 s[56:57], s[46:47]
; %bb.318:
	v_lshl_add_u32 v0, v118, 3, v117
	ds_read_b64 v[10:11], v0
; %bb.319:
	s_or_b64 exec, exec, s[56:57]
	v_cmp_ge_u32_e64 s[56:57], v128, v116
	v_cmp_lt_u32_e64 s[58:59], v128, v116
                                        ; implicit-def: $vgpr12_vgpr13
	s_and_saveexec_b64 s[60:61], s[58:59]
; %bb.320:
	v_lshl_add_u32 v0, v128, 3, v30
	ds_read_b64 v[12:13], v0
; %bb.321:
	s_or_b64 exec, exec, s[60:61]
	s_waitcnt lgkmcnt(0)
	v_and_b32_e32 v1, v13, v162
	v_and_b32_e32 v0, v12, v161
	;; [unrolled: 1-line block ×4, first 2 shown]
	v_cmp_le_u64_e64 s[58:59], v[4:5], v[0:1]
	s_and_b64 s[46:47], s[46:47], s[58:59]
	s_or_b64 s[46:47], s[56:57], s[46:47]
	v_cndmask_b32_e64 v16, v128, v119, s[46:47]
	v_cndmask_b32_e64 v0, v116, v115, s[46:47]
	v_add_u32_e32 v4, 1, v16
	v_add_u32_e32 v0, -1, v0
	v_min_u32_e32 v0, v4, v0
	v_lshl_add_u32 v0, v0, 3, v30
	ds_read_b64 v[0:1], v0
	v_cndmask_b32_e64 v14, v4, v128, s[46:47]
	v_cndmask_b32_e64 v15, v119, v4, s[46:47]
	v_cmp_lt_u32_e64 s[60:61], v15, v115
	v_cmp_ge_u32_e64 s[56:57], v14, v116
	s_waitcnt lgkmcnt(0)
	v_cndmask_b32_e64 v34, v1, v13, s[46:47]
	v_cndmask_b32_e64 v35, v0, v12, s[46:47]
	;; [unrolled: 1-line block ×4, first 2 shown]
	v_and_b32_e32 v1, v34, v162
	v_and_b32_e32 v0, v35, v161
	;; [unrolled: 1-line block ×4, first 2 shown]
	v_cmp_le_u64_e64 s[58:59], v[4:5], v[0:1]
	v_cndmask_b32_e64 v13, v13, v11, s[46:47]
	s_and_b64 s[58:59], s[60:61], s[58:59]
	s_or_b64 s[58:59], s[56:57], s[58:59]
	v_cndmask_b32_e64 v17, v14, v15, s[58:59]
	v_cndmask_b32_e64 v0, v116, v115, s[58:59]
	v_add_u32_e32 v4, 1, v17
	v_add_u32_e32 v0, -1, v0
	v_min_u32_e32 v0, v4, v0
	v_lshl_add_u32 v0, v0, 3, v30
	ds_read_b64 v[0:1], v0
	v_cndmask_b32_e64 v14, v4, v14, s[58:59]
	v_cndmask_b32_e64 v15, v15, v4, s[58:59]
	v_cmp_lt_u32_e64 s[62:63], v15, v115
	v_cmp_ge_u32_e64 s[56:57], v14, v116
	s_waitcnt lgkmcnt(0)
	v_cndmask_b32_e64 v48, v1, v34, s[58:59]
	v_cndmask_b32_e64 v49, v0, v35, s[58:59]
	;; [unrolled: 1-line block ×4, first 2 shown]
	v_and_b32_e32 v1, v48, v162
	v_and_b32_e32 v0, v49, v161
	;; [unrolled: 1-line block ×4, first 2 shown]
	v_cmp_le_u64_e64 s[60:61], v[4:5], v[0:1]
	v_cndmask_b32_e64 v12, v12, v10, s[46:47]
	s_and_b64 s[60:61], s[62:63], s[60:61]
	s_or_b64 s[56:57], s[56:57], s[60:61]
	v_cndmask_b32_e64 v18, v14, v15, s[56:57]
	v_cndmask_b32_e64 v0, v116, v115, s[56:57]
	v_add_u32_e32 v4, 1, v18
	v_add_u32_e32 v0, -1, v0
	v_min_u32_e32 v0, v4, v0
	v_lshl_add_u32 v0, v0, 3, v30
	ds_read_b64 v[0:1], v0
	v_cndmask_b32_e64 v14, v4, v14, s[56:57]
	v_cndmask_b32_e64 v15, v15, v4, s[56:57]
	v_cmp_lt_u32_e64 s[72:73], v15, v115
	v_cmp_ge_u32_e64 s[60:61], v14, v116
	s_waitcnt lgkmcnt(0)
	v_cndmask_b32_e64 v52, v1, v48, s[56:57]
	v_cndmask_b32_e64 v53, v0, v49, s[56:57]
	;; [unrolled: 1-line block ×4, first 2 shown]
	v_and_b32_e32 v1, v52, v162
	v_and_b32_e32 v0, v53, v161
	;; [unrolled: 1-line block ×4, first 2 shown]
	v_cmp_le_u64_e64 s[62:63], v[4:5], v[0:1]
	s_and_b64 s[62:63], s[72:73], s[62:63]
	s_or_b64 s[62:63], s[60:61], s[62:63]
	v_cndmask_b32_e64 v19, v14, v15, s[62:63]
	v_cndmask_b32_e64 v0, v116, v115, s[62:63]
	v_add_u32_e32 v4, 1, v19
	v_add_u32_e32 v0, -1, v0
	v_min_u32_e32 v0, v4, v0
	v_lshl_add_u32 v0, v0, 3, v30
	ds_read_b64 v[0:1], v0
	v_cndmask_b32_e64 v20, v4, v14, s[62:63]
	v_cndmask_b32_e64 v21, v15, v4, s[62:63]
	v_cmp_lt_u32_e64 s[74:75], v21, v115
	v_cmp_ge_u32_e64 s[60:61], v20, v116
	s_waitcnt lgkmcnt(0)
	v_cndmask_b32_e64 v64, v1, v52, s[62:63]
	v_cndmask_b32_e64 v65, v0, v53, s[62:63]
	;; [unrolled: 1-line block ×4, first 2 shown]
	v_and_b32_e32 v1, v64, v162
	v_and_b32_e32 v0, v65, v161
	;; [unrolled: 1-line block ×4, first 2 shown]
	v_cmp_le_u64_e64 s[72:73], v[4:5], v[0:1]
	v_lshl_add_u32 v4, v17, 3, v30
	s_and_b64 s[72:73], s[74:75], s[72:73]
	s_or_b64 s[60:61], s[60:61], s[72:73]
	v_cndmask_b32_e64 v22, v20, v21, s[60:61]
	v_cndmask_b32_e64 v0, v116, v115, s[60:61]
	v_add_u32_e32 v23, 1, v22
	v_add_u32_e32 v0, -1, v0
	v_min_u32_e32 v0, v23, v0
	v_lshl_add_u32 v0, v0, 3, v30
	ds_read_b64 v[14:15], v0
	v_lshl_add_u32 v0, v16, 3, v30
	v_cndmask_b32_e64 v21, v21, v23, s[60:61]
	v_cndmask_b32_e64 v20, v23, v20, s[60:61]
	v_cmp_lt_u32_e64 s[76:77], v21, v115
	s_waitcnt lgkmcnt(0)
	v_cndmask_b32_e64 v68, v15, v64, s[60:61]
	v_cndmask_b32_e64 v69, v14, v65, s[60:61]
	;; [unrolled: 1-line block ×4, first 2 shown]
	v_and_b32_e32 v15, v68, v162
	v_and_b32_e32 v14, v69, v161
	;; [unrolled: 1-line block ×4, first 2 shown]
	v_cmp_le_u64_e64 s[74:75], v[16:17], v[14:15]
	v_cmp_ge_u32_e64 s[72:73], v20, v116
	s_and_b64 s[74:75], s[76:77], s[74:75]
	s_or_b64 s[72:73], s[72:73], s[74:75]
	v_cndmask_b32_e64 v23, v20, v21, s[72:73]
	v_cndmask_b32_e64 v14, v116, v115, s[72:73]
	v_add_u32_e32 v24, 1, v23
	v_add_u32_e32 v14, -1, v14
	v_min_u32_e32 v14, v24, v14
	v_lshl_add_u32 v14, v14, 3, v30
	ds_read_b64 v[0:1], v0 offset:32768
	ds_read_b64 v[4:5], v4 offset:32768
	ds_read_b64 v[14:15], v14
	v_lshl_add_u32 v16, v18, 3, v30
	ds_read_b64 v[16:17], v16 offset:32768
	v_cndmask_b32_e64 v25, v24, v20, s[72:73]
	v_cndmask_b32_e64 v24, v21, v24, s[72:73]
	s_waitcnt lgkmcnt(1)
	v_cndmask_b32_e64 v80, v15, v68, s[72:73]
	v_cndmask_b32_e64 v81, v14, v69, s[72:73]
	;; [unrolled: 1-line block ×4, first 2 shown]
	v_and_b32_e32 v15, v80, v162
	v_and_b32_e32 v14, v81, v161
	;; [unrolled: 1-line block ×4, first 2 shown]
	v_cmp_le_u64_e64 s[76:77], v[20:21], v[14:15]
	v_cmp_lt_u32_e64 s[78:79], v24, v115
	v_cmp_ge_u32_e64 s[74:75], v25, v116
	s_and_b64 s[76:77], s[78:79], s[76:77]
	s_or_b64 s[74:75], s[74:75], s[76:77]
	v_cndmask_b32_e64 v26, v25, v24, s[74:75]
	v_cndmask_b32_e64 v14, v116, v115, s[74:75]
	v_add_u32_e32 v27, 1, v26
	v_add_u32_e32 v14, -1, v14
	v_min_u32_e32 v14, v27, v14
	v_lshl_add_u32 v18, v19, 3, v30
	v_lshl_add_u32 v14, v14, 3, v30
	;; [unrolled: 1-line block ×4, first 2 shown]
	ds_read_b64 v[18:19], v18 offset:32768
	ds_read_b64 v[22:23], v22 offset:32768
	ds_read_b64 v[14:15], v14
	v_cndmask_b32_e64 v28, v27, v25, s[74:75]
	v_cndmask_b32_e64 v29, v24, v27, s[74:75]
	v_cmp_lt_u32_e64 s[90:91], v29, v115
	v_cmp_ge_u32_e64 s[76:77], v28, v116
	s_waitcnt lgkmcnt(0)
	v_cndmask_b32_e64 v84, v15, v80, s[74:75]
	v_cndmask_b32_e64 v85, v14, v81, s[74:75]
	;; [unrolled: 1-line block ×4, first 2 shown]
	v_and_b32_e32 v15, v84, v162
	v_and_b32_e32 v14, v85, v161
	;; [unrolled: 1-line block ×4, first 2 shown]
	v_cmp_le_u64_e64 s[78:79], v[24:25], v[14:15]
	v_lshl_add_u32 v24, v26, 3, v30
	s_and_b64 s[78:79], s[90:91], s[78:79]
	s_or_b64 s[76:77], s[76:77], s[78:79]
	v_cndmask_b32_e64 v27, v28, v29, s[76:77]
	v_cndmask_b32_e64 v14, v116, v115, s[76:77]
	v_add_u32_e32 v32, 1, v27
	v_add_u32_e32 v14, -1, v14
	v_min_u32_e32 v14, v32, v14
	v_lshl_add_u32 v14, v14, 3, v30
	v_lshl_add_u32 v26, v27, 3, v30
	ds_read_b64 v[20:21], v20 offset:32768
	ds_read_b64 v[24:25], v24 offset:32768
	;; [unrolled: 1-line block ×3, first 2 shown]
	ds_read_b64 v[14:15], v14
	v_cndmask_b32_e64 v38, v32, v28, s[76:77]
	v_cndmask_b32_e64 v39, v29, v32, s[76:77]
	v_cmp_lt_u32_e64 s[92:93], v39, v115
	v_cmp_ge_u32_e64 s[78:79], v38, v116
	s_waitcnt lgkmcnt(0)
	v_cndmask_b32_e64 v96, v15, v84, s[76:77]
	v_cndmask_b32_e64 v97, v14, v85, s[76:77]
	v_cndmask_b32_e64 v98, v86, v15, s[76:77]
	v_cndmask_b32_e64 v99, v87, v14, s[76:77]
	v_and_b32_e32 v15, v96, v162
	v_and_b32_e32 v14, v97, v161
	;; [unrolled: 1-line block ×4, first 2 shown]
	v_cmp_le_u64_e64 s[90:91], v[28:29], v[14:15]
	v_cndmask_b32_e64 v29, v34, v36, s[58:59]
	s_and_b64 s[90:91], s[92:93], s[90:91]
	s_or_b64 s[78:79], s[78:79], s[90:91]
	v_cndmask_b32_e64 v14, v38, v39, s[78:79]
	v_cndmask_b32_e64 v15, v116, v115, s[78:79]
	v_lshl_add_u32 v28, v14, 3, v30
	v_add_u32_e32 v100, 1, v14
	v_add_u32_e32 v14, -1, v15
	v_min_u32_e32 v14, v100, v14
	v_lshl_add_u32 v14, v14, 3, v30
	ds_read_b64 v[32:33], v28 offset:32768
	ds_read_b64 v[14:15], v14
	v_cndmask_b32_e64 v28, v35, v37, s[58:59]
	v_cndmask_b32_e64 v113, v100, v38, s[78:79]
	;; [unrolled: 1-line block ×3, first 2 shown]
	v_cmp_lt_u32_e64 s[90:91], v100, v115
	s_waitcnt lgkmcnt(0)
	v_cndmask_b32_e64 v101, v15, v96, s[78:79]
	v_cndmask_b32_e64 v102, v14, v97, s[78:79]
	;; [unrolled: 1-line block ×4, first 2 shown]
	v_and_b32_e32 v11, v101, v162
	v_and_b32_e32 v10, v102, v161
	;; [unrolled: 1-line block ×4, first 2 shown]
	v_cmp_le_u64_e64 s[58:59], v[14:15], v[10:11]
	v_cmp_ge_u32_e64 s[46:47], v113, v116
	s_and_b64 s[58:59], s[90:91], s[58:59]
	s_or_b64 s[46:47], s[46:47], s[58:59]
	v_cndmask_b32_e64 v10, v113, v100, s[46:47]
	v_cndmask_b32_e64 v11, v116, v115, s[46:47]
	v_lshl_add_u32 v14, v10, 3, v30
	v_add_u32_e32 v15, 1, v10
	v_add_u32_e32 v10, -1, v11
	v_min_u32_e32 v10, v15, v10
	v_lshl_add_u32 v10, v10, 3, v30
	ds_read_b64 v[38:39], v14 offset:32768
	ds_read_b64 v[10:11], v10
	v_cndmask_b32_e64 v37, v52, v54, s[62:63]
	v_cndmask_b32_e64 v36, v53, v55, s[62:63]
	;; [unrolled: 1-line block ×4, first 2 shown]
	s_waitcnt lgkmcnt(0)
	v_cndmask_b32_e64 v117, v11, v101, s[46:47]
	v_cndmask_b32_e64 v118, v10, v102, s[46:47]
	;; [unrolled: 1-line block ×4, first 2 shown]
	v_and_b32_e32 v11, v117, v162
	v_and_b32_e32 v10, v118, v161
	;; [unrolled: 1-line block ×4, first 2 shown]
	v_cmp_le_u64_e64 s[58:59], v[14:15], v[10:11]
	v_cmp_lt_u32_e64 s[62:63], v55, v115
	v_cndmask_b32_e64 v35, v48, v50, s[56:57]
	v_cndmask_b32_e64 v34, v49, v51, s[56:57]
	v_cmp_ge_u32_e64 s[56:57], v54, v116
	s_and_b64 s[58:59], s[62:63], s[58:59]
	s_or_b64 s[56:57], s[56:57], s[58:59]
	v_cndmask_b32_e64 v10, v54, v55, s[56:57]
	v_cndmask_b32_e64 v11, v116, v115, s[56:57]
	v_lshl_add_u32 v14, v10, 3, v30
	v_add_u32_e32 v15, 1, v10
	v_add_u32_e32 v10, -1, v11
	v_min_u32_e32 v10, v15, v10
	v_lshl_add_u32 v10, v10, 3, v30
	ds_read_b64 v[52:53], v14 offset:32768
	ds_read_b64 v[10:11], v10
	v_cndmask_b32_e64 v51, v68, v70, s[72:73]
	v_cndmask_b32_e64 v50, v69, v71, s[72:73]
	;; [unrolled: 1-line block ×4, first 2 shown]
	s_waitcnt lgkmcnt(0)
	v_cndmask_b32_e64 v68, v11, v117, s[56:57]
	v_cndmask_b32_e64 v69, v10, v118, s[56:57]
	;; [unrolled: 1-line block ×4, first 2 shown]
	v_and_b32_e32 v11, v68, v162
	v_and_b32_e32 v10, v69, v161
	;; [unrolled: 1-line block ×4, first 2 shown]
	v_cndmask_b32_e64 v49, v64, v66, s[60:61]
	v_cndmask_b32_e64 v48, v65, v67, s[60:61]
	v_cmp_le_u64_e64 s[60:61], v[14:15], v[10:11]
	v_cmp_lt_u32_e64 s[62:63], v113, v115
	v_cmp_ge_u32_e64 s[58:59], v100, v116
	s_and_b64 s[60:61], s[62:63], s[60:61]
	s_or_b64 s[58:59], s[58:59], s[60:61]
	v_cndmask_b32_e64 v10, v100, v113, s[58:59]
	v_cndmask_b32_e64 v11, v116, v115, s[58:59]
	v_lshl_add_u32 v14, v10, 3, v30
	v_add_u32_e32 v15, 1, v10
	v_add_u32_e32 v10, -1, v11
	v_min_u32_e32 v10, v15, v10
	v_lshl_add_u32 v10, v10, 3, v30
	ds_read_b64 v[66:67], v14 offset:32768
	ds_read_b64 v[10:11], v10
	v_cndmask_b32_e64 v65, v84, v86, s[76:77]
	v_cndmask_b32_e64 v64, v85, v87, s[76:77]
	;; [unrolled: 1-line block ×4, first 2 shown]
	s_waitcnt lgkmcnt(0)
	v_cndmask_b32_e64 v129, v11, v68, s[58:59]
	v_cndmask_b32_e64 v130, v10, v69, s[58:59]
	;; [unrolled: 1-line block ×4, first 2 shown]
	v_and_b32_e32 v11, v129, v162
	v_and_b32_e32 v10, v130, v161
	;; [unrolled: 1-line block ×4, first 2 shown]
	v_cmp_le_u64_e64 s[62:63], v[14:15], v[10:11]
	v_cmp_lt_u32_e64 s[72:73], v87, v115
	v_cmp_ge_u32_e64 s[60:61], v86, v116
	s_and_b64 s[62:63], s[72:73], s[62:63]
	s_or_b64 s[60:61], s[60:61], s[62:63]
	v_cndmask_b32_e64 v10, v86, v87, s[60:61]
	v_cndmask_b32_e64 v11, v116, v115, s[60:61]
	v_lshl_add_u32 v14, v10, 3, v30
	v_add_u32_e32 v15, 1, v10
	v_add_u32_e32 v10, -1, v11
	v_min_u32_e32 v10, v15, v10
	v_lshl_add_u32 v10, v10, 3, v30
	ds_read_b64 v[84:85], v14 offset:32768
	ds_read_b64 v[10:11], v10
	v_cndmask_b32_e64 v55, v80, v82, s[74:75]
	v_cndmask_b32_e64 v54, v81, v83, s[74:75]
	;; [unrolled: 1-line block ×4, first 2 shown]
	s_waitcnt lgkmcnt(0)
	v_cndmask_b32_e64 v102, v11, v129, s[60:61]
	v_cndmask_b32_e64 v103, v10, v130, s[60:61]
	;; [unrolled: 1-line block ×8, first 2 shown]
	v_and_b32_e32 v11, v102, v162
	v_and_b32_e32 v10, v103, v161
	;; [unrolled: 1-line block ×4, first 2 shown]
	v_cmp_le_u64_e64 s[62:63], v[14:15], v[10:11]
	v_cmp_lt_u32_e64 s[72:73], v97, v115
	v_cmp_ge_u32_e64 s[46:47], v96, v116
	s_and_b64 s[62:63], s[72:73], s[62:63]
	s_or_b64 s[46:47], s[46:47], s[62:63]
	v_cndmask_b32_e64 v10, v96, v97, s[46:47]
	v_cndmask_b32_e64 v11, v116, v115, s[46:47]
	v_lshl_add_u32 v14, v10, 3, v30
	v_add_u32_e32 v15, 1, v10
	v_add_u32_e32 v10, -1, v11
	v_min_u32_e32 v10, v15, v10
	v_lshl_add_u32 v10, v10, 3, v30
	ds_read_b64 v[100:101], v14 offset:32768
	ds_read_b64 v[10:11], v10
	v_cndmask_b32_e64 v87, v117, v119, s[56:57]
	v_cndmask_b32_e64 v86, v118, v128, s[56:57]
	;; [unrolled: 1-line block ×4, first 2 shown]
	s_waitcnt lgkmcnt(0)
	v_cndmask_b32_e64 v117, v11, v102, s[46:47]
	v_cndmask_b32_e64 v118, v10, v103, s[46:47]
	;; [unrolled: 1-line block ×4, first 2 shown]
	v_and_b32_e32 v11, v117, v162
	v_and_b32_e32 v10, v118, v161
	;; [unrolled: 1-line block ×4, first 2 shown]
	v_cndmask_b32_e64 v99, v68, v70, s[58:59]
	v_cndmask_b32_e64 v98, v69, v71, s[58:59]
	v_cmp_le_u64_e64 s[58:59], v[14:15], v[10:11]
	v_cmp_lt_u32_e64 s[62:63], v134, v115
	v_cmp_ge_u32_e64 s[56:57], v133, v116
	s_and_b64 s[58:59], s[62:63], s[58:59]
	s_or_b64 s[56:57], s[56:57], s[58:59]
	v_cndmask_b32_e64 v10, v133, v134, s[56:57]
	v_cndmask_b32_e64 v11, v116, v115, s[56:57]
	v_lshl_add_u32 v14, v10, 3, v30
	v_add_u32_e32 v15, 1, v10
	v_add_u32_e32 v10, -1, v11
	v_min_u32_e32 v10, v15, v10
	v_lshl_add_u32 v10, v10, 3, v30
	ds_read_b64 v[70:71], v14 offset:32768
	ds_read_b64 v[10:11], v10
	v_cndmask_b32_e64 v97, v129, v131, s[60:61]
	v_cndmask_b32_e64 v96, v130, v132, s[60:61]
	;; [unrolled: 1-line block ×4, first 2 shown]
	s_waitcnt lgkmcnt(0)
	v_cndmask_b32_e64 v129, v11, v117, s[56:57]
	v_cndmask_b32_e64 v130, v10, v118, s[56:57]
	;; [unrolled: 1-line block ×6, first 2 shown]
	v_and_b32_e32 v11, v129, v162
	v_and_b32_e32 v10, v130, v161
	;; [unrolled: 1-line block ×4, first 2 shown]
	v_cmp_le_u64_e64 s[58:59], v[14:15], v[10:11]
	v_cmp_lt_u32_e64 s[60:61], v103, v115
	v_cmp_ge_u32_e64 s[46:47], v102, v116
	s_and_b64 s[58:59], s[60:61], s[58:59]
	s_or_b64 s[46:47], s[46:47], s[58:59]
	v_cndmask_b32_e64 v10, v102, v103, s[46:47]
	v_lshl_add_u32 v10, v10, 3, v30
	ds_read_b64 v[102:103], v10 offset:32768
	v_cndmask_b32_e64 v113, v117, v119, s[56:57]
	v_cndmask_b32_e64 v112, v118, v128, s[56:57]
	;; [unrolled: 1-line block ×4, first 2 shown]
.LBB821_322:
	s_or_b64 exec, exec, s[30:31]
	v_add_u32_e32 v10, 0x8000, v114
	; wave barrier
	ds_write2_b64 v114, v[12:13], v[28:29] offset1:1
	ds_write2_b64 v10, v[0:1], v[4:5] offset1:1
	v_add_u32_e32 v10, 0x8010, v114
	ds_write2_b64 v114, v[34:35], v[36:37] offset0:2 offset1:3
	ds_write2_b64 v10, v[16:17], v[18:19] offset1:1
	v_add_u32_e32 v10, 0x8020, v114
	ds_write2_b64 v114, v[48:49], v[50:51] offset0:4 offset1:5
	;; [unrolled: 3-line block ×7, first 2 shown]
	s_waitcnt lgkmcnt(14)
	ds_write2_b64 v10, v[70:71], v[102:103] offset1:1
	v_and_b32_e32 v10, 0x700, v151
	v_or_b32_e32 v11, 0x80, v10
	v_min_u32_e32 v114, v31, v11
	v_add_u32_e32 v11, 0x80, v114
	v_min_u32_e32 v115, v31, v11
	v_min_u32_e32 v11, v31, v160
	v_sub_u32_e32 v117, v114, v10
	v_sub_u32_e32 v116, v115, v114
	v_sub_u32_e64 v116, v11, v116 clamp
	v_min_u32_e32 v117, v11, v117
	v_lshl_add_u32 v31, v10, 3, v30
	v_cmp_lt_u32_e64 s[46:47], v116, v117
	; wave barrier
	s_and_saveexec_b64 s[56:57], s[46:47]
	s_cbranch_execz .LBB821_326
; %bb.323:
	v_lshlrev_b32_e32 v118, 3, v114
	v_lshlrev_b32_e32 v119, 3, v11
	v_add3_u32 v118, v30, v118, v119
	s_mov_b64 s[58:59], 0
.LBB821_324:                            ; =>This Inner Loop Header: Depth=1
	v_add_u32_e32 v119, v117, v116
	v_lshrrev_b32_e32 v119, 1, v119
	v_not_b32_e32 v130, v119
	v_lshl_add_u32 v128, v119, 3, v31
	v_lshl_add_u32 v130, v130, 3, v118
	ds_read_b64 v[128:129], v128
	ds_read_b64 v[130:131], v130
	v_add_u32_e32 v132, 1, v119
	s_waitcnt lgkmcnt(1)
	v_and_b32_e32 v129, v129, v162
	v_and_b32_e32 v128, v128, v161
	s_waitcnt lgkmcnt(0)
	v_and_b32_e32 v131, v131, v162
	v_and_b32_e32 v130, v130, v161
	v_cmp_gt_u64_e64 s[46:47], v[128:129], v[130:131]
	v_cndmask_b32_e64 v117, v117, v119, s[46:47]
	v_cndmask_b32_e64 v116, v132, v116, s[46:47]
	v_cmp_ge_u32_e64 s[46:47], v116, v117
	s_or_b64 s[58:59], s[46:47], s[58:59]
	s_andn2_b64 exec, exec, s[58:59]
	s_cbranch_execnz .LBB821_324
; %bb.325:
	s_or_b64 exec, exec, s[58:59]
.LBB821_326:
	s_or_b64 exec, exec, s[56:57]
	v_add_u32_e32 v117, v116, v10
	v_add_u32_e32 v10, v114, v11
	v_sub_u32_e32 v118, v10, v116
	v_cmp_le_u32_e64 s[46:47], v117, v114
	v_cmp_le_u32_e64 s[56:57], v118, v115
	s_or_b64 s[46:47], s[46:47], s[56:57]
	s_and_saveexec_b64 s[30:31], s[46:47]
	s_cbranch_execz .LBB821_332
; %bb.327:
	v_cmp_lt_u32_e64 s[46:47], v117, v114
                                        ; implicit-def: $vgpr10_vgpr11
	s_and_saveexec_b64 s[56:57], s[46:47]
; %bb.328:
	v_lshl_add_u32 v0, v116, 3, v31
	ds_read_b64 v[10:11], v0
; %bb.329:
	s_or_b64 exec, exec, s[56:57]
	v_cmp_ge_u32_e64 s[56:57], v118, v115
	v_cmp_lt_u32_e64 s[58:59], v118, v115
                                        ; implicit-def: $vgpr12_vgpr13
	s_and_saveexec_b64 s[60:61], s[58:59]
; %bb.330:
	v_lshl_add_u32 v0, v118, 3, v30
	ds_read_b64 v[12:13], v0
; %bb.331:
	s_or_b64 exec, exec, s[60:61]
	s_waitcnt lgkmcnt(0)
	v_and_b32_e32 v1, v13, v162
	v_and_b32_e32 v0, v12, v161
	;; [unrolled: 1-line block ×4, first 2 shown]
	v_cmp_le_u64_e64 s[58:59], v[4:5], v[0:1]
	s_and_b64 s[46:47], s[46:47], s[58:59]
	s_or_b64 s[46:47], s[56:57], s[46:47]
	v_cndmask_b32_e64 v16, v118, v117, s[46:47]
	v_cndmask_b32_e64 v0, v115, v114, s[46:47]
	v_add_u32_e32 v4, 1, v16
	v_add_u32_e32 v0, -1, v0
	v_min_u32_e32 v0, v4, v0
	v_lshl_add_u32 v0, v0, 3, v30
	ds_read_b64 v[0:1], v0
	v_cndmask_b32_e64 v14, v4, v118, s[46:47]
	v_cndmask_b32_e64 v15, v117, v4, s[46:47]
	v_cmp_lt_u32_e64 s[60:61], v15, v114
	v_cmp_ge_u32_e64 s[56:57], v14, v115
	s_waitcnt lgkmcnt(0)
	v_cndmask_b32_e64 v31, v1, v13, s[46:47]
	v_cndmask_b32_e64 v34, v0, v12, s[46:47]
	;; [unrolled: 1-line block ×4, first 2 shown]
	v_and_b32_e32 v1, v31, v162
	v_and_b32_e32 v0, v34, v161
	;; [unrolled: 1-line block ×4, first 2 shown]
	v_cmp_le_u64_e64 s[58:59], v[4:5], v[0:1]
	v_cndmask_b32_e64 v13, v13, v11, s[46:47]
	s_and_b64 s[58:59], s[60:61], s[58:59]
	s_or_b64 s[58:59], s[56:57], s[58:59]
	v_cndmask_b32_e64 v17, v14, v15, s[58:59]
	v_cndmask_b32_e64 v0, v115, v114, s[58:59]
	v_add_u32_e32 v4, 1, v17
	v_add_u32_e32 v0, -1, v0
	v_min_u32_e32 v0, v4, v0
	v_lshl_add_u32 v0, v0, 3, v30
	ds_read_b64 v[0:1], v0
	v_cndmask_b32_e64 v14, v4, v14, s[58:59]
	v_cndmask_b32_e64 v15, v15, v4, s[58:59]
	v_cmp_lt_u32_e64 s[62:63], v15, v114
	v_cmp_ge_u32_e64 s[56:57], v14, v115
	s_waitcnt lgkmcnt(0)
	v_cndmask_b32_e64 v37, v1, v31, s[58:59]
	v_cndmask_b32_e64 v48, v0, v34, s[58:59]
	;; [unrolled: 1-line block ×4, first 2 shown]
	v_and_b32_e32 v1, v37, v162
	v_and_b32_e32 v0, v48, v161
	;; [unrolled: 1-line block ×4, first 2 shown]
	v_cmp_le_u64_e64 s[60:61], v[4:5], v[0:1]
	v_cndmask_b32_e64 v12, v12, v10, s[46:47]
	s_and_b64 s[60:61], s[62:63], s[60:61]
	s_or_b64 s[56:57], s[56:57], s[60:61]
	v_cndmask_b32_e64 v18, v14, v15, s[56:57]
	v_cndmask_b32_e64 v0, v115, v114, s[56:57]
	v_add_u32_e32 v4, 1, v18
	v_add_u32_e32 v0, -1, v0
	v_min_u32_e32 v0, v4, v0
	v_lshl_add_u32 v0, v0, 3, v30
	ds_read_b64 v[0:1], v0
	v_cndmask_b32_e64 v14, v4, v14, s[56:57]
	v_cndmask_b32_e64 v15, v15, v4, s[56:57]
	v_cmp_lt_u32_e64 s[72:73], v15, v114
	v_cmp_ge_u32_e64 s[60:61], v14, v115
	s_waitcnt lgkmcnt(0)
	v_cndmask_b32_e64 v51, v1, v37, s[56:57]
	v_cndmask_b32_e64 v52, v0, v48, s[56:57]
	;; [unrolled: 1-line block ×4, first 2 shown]
	v_and_b32_e32 v1, v51, v162
	v_and_b32_e32 v0, v52, v161
	v_and_b32_e32 v5, v53, v162
	v_and_b32_e32 v4, v54, v161
	v_cmp_le_u64_e64 s[62:63], v[4:5], v[0:1]
	s_and_b64 s[62:63], s[72:73], s[62:63]
	s_or_b64 s[62:63], s[60:61], s[62:63]
	v_cndmask_b32_e64 v19, v14, v15, s[62:63]
	v_cndmask_b32_e64 v0, v115, v114, s[62:63]
	v_add_u32_e32 v4, 1, v19
	v_add_u32_e32 v0, -1, v0
	v_min_u32_e32 v0, v4, v0
	v_lshl_add_u32 v0, v0, 3, v30
	ds_read_b64 v[0:1], v0
	v_cndmask_b32_e64 v20, v4, v14, s[62:63]
	v_cndmask_b32_e64 v21, v15, v4, s[62:63]
	v_cmp_lt_u32_e64 s[74:75], v21, v114
	v_cmp_ge_u32_e64 s[60:61], v20, v115
	s_waitcnt lgkmcnt(0)
	v_cndmask_b32_e64 v55, v1, v51, s[62:63]
	v_cndmask_b32_e64 v64, v0, v52, s[62:63]
	v_cndmask_b32_e64 v65, v53, v1, s[62:63]
	v_cndmask_b32_e64 v66, v54, v0, s[62:63]
	v_and_b32_e32 v1, v55, v162
	v_and_b32_e32 v0, v64, v161
	;; [unrolled: 1-line block ×4, first 2 shown]
	v_cmp_le_u64_e64 s[72:73], v[4:5], v[0:1]
	v_lshl_add_u32 v4, v17, 3, v30
	s_and_b64 s[72:73], s[74:75], s[72:73]
	s_or_b64 s[60:61], s[60:61], s[72:73]
	v_cndmask_b32_e64 v22, v20, v21, s[60:61]
	v_cndmask_b32_e64 v0, v115, v114, s[60:61]
	v_add_u32_e32 v23, 1, v22
	v_add_u32_e32 v0, -1, v0
	v_min_u32_e32 v0, v23, v0
	v_lshl_add_u32 v0, v0, 3, v30
	ds_read_b64 v[14:15], v0
	v_lshl_add_u32 v0, v16, 3, v30
	v_cndmask_b32_e64 v21, v21, v23, s[60:61]
	v_cndmask_b32_e64 v20, v23, v20, s[60:61]
	v_cmp_lt_u32_e64 s[76:77], v21, v114
	s_waitcnt lgkmcnt(0)
	v_cndmask_b32_e64 v67, v15, v55, s[60:61]
	v_cndmask_b32_e64 v68, v14, v64, s[60:61]
	;; [unrolled: 1-line block ×4, first 2 shown]
	v_and_b32_e32 v15, v67, v162
	v_and_b32_e32 v14, v68, v161
	;; [unrolled: 1-line block ×4, first 2 shown]
	v_cmp_le_u64_e64 s[74:75], v[16:17], v[14:15]
	v_cmp_ge_u32_e64 s[72:73], v20, v115
	s_and_b64 s[74:75], s[76:77], s[74:75]
	s_or_b64 s[72:73], s[72:73], s[74:75]
	v_cndmask_b32_e64 v23, v20, v21, s[72:73]
	v_cndmask_b32_e64 v14, v115, v114, s[72:73]
	v_add_u32_e32 v24, 1, v23
	v_add_u32_e32 v14, -1, v14
	v_min_u32_e32 v14, v24, v14
	v_lshl_add_u32 v14, v14, 3, v30
	ds_read_b64 v[0:1], v0 offset:32768
	ds_read_b64 v[4:5], v4 offset:32768
	ds_read_b64 v[14:15], v14
	v_lshl_add_u32 v16, v18, 3, v30
	ds_read_b64 v[16:17], v16 offset:32768
	v_cndmask_b32_e64 v25, v24, v20, s[72:73]
	v_cndmask_b32_e64 v24, v21, v24, s[72:73]
	s_waitcnt lgkmcnt(1)
	v_cndmask_b32_e64 v71, v15, v67, s[72:73]
	v_cndmask_b32_e64 v80, v14, v68, s[72:73]
	;; [unrolled: 1-line block ×4, first 2 shown]
	v_and_b32_e32 v15, v71, v162
	v_and_b32_e32 v14, v80, v161
	;; [unrolled: 1-line block ×4, first 2 shown]
	v_cmp_le_u64_e64 s[76:77], v[20:21], v[14:15]
	v_cmp_lt_u32_e64 s[78:79], v24, v114
	v_cmp_ge_u32_e64 s[74:75], v25, v115
	s_and_b64 s[76:77], s[78:79], s[76:77]
	s_or_b64 s[74:75], s[74:75], s[76:77]
	v_cndmask_b32_e64 v26, v25, v24, s[74:75]
	v_cndmask_b32_e64 v14, v115, v114, s[74:75]
	v_add_u32_e32 v27, 1, v26
	v_add_u32_e32 v14, -1, v14
	v_min_u32_e32 v14, v27, v14
	v_lshl_add_u32 v18, v19, 3, v30
	v_lshl_add_u32 v14, v14, 3, v30
	v_lshl_add_u32 v20, v22, 3, v30
	v_lshl_add_u32 v22, v23, 3, v30
	ds_read_b64 v[18:19], v18 offset:32768
	ds_read_b64 v[22:23], v22 offset:32768
	ds_read_b64 v[14:15], v14
	v_cndmask_b32_e64 v28, v27, v25, s[74:75]
	v_cndmask_b32_e64 v29, v24, v27, s[74:75]
	v_cmp_lt_u32_e64 s[90:91], v29, v114
	v_cmp_ge_u32_e64 s[76:77], v28, v115
	s_waitcnt lgkmcnt(0)
	v_cndmask_b32_e64 v83, v15, v71, s[74:75]
	v_cndmask_b32_e64 v84, v14, v80, s[74:75]
	;; [unrolled: 1-line block ×4, first 2 shown]
	v_and_b32_e32 v15, v83, v162
	v_and_b32_e32 v14, v84, v161
	;; [unrolled: 1-line block ×4, first 2 shown]
	v_cmp_le_u64_e64 s[78:79], v[24:25], v[14:15]
	v_lshl_add_u32 v24, v26, 3, v30
	s_and_b64 s[78:79], s[90:91], s[78:79]
	s_or_b64 s[76:77], s[76:77], s[78:79]
	v_cndmask_b32_e64 v27, v28, v29, s[76:77]
	v_cndmask_b32_e64 v14, v115, v114, s[76:77]
	v_add_u32_e32 v32, 1, v27
	v_add_u32_e32 v14, -1, v14
	v_min_u32_e32 v14, v32, v14
	v_lshl_add_u32 v14, v14, 3, v30
	v_lshl_add_u32 v26, v27, 3, v30
	ds_read_b64 v[20:21], v20 offset:32768
	ds_read_b64 v[24:25], v24 offset:32768
	;; [unrolled: 1-line block ×3, first 2 shown]
	ds_read_b64 v[14:15], v14
	v_cndmask_b32_e64 v38, v32, v28, s[76:77]
	v_cndmask_b32_e64 v39, v29, v32, s[76:77]
	v_cmp_lt_u32_e64 s[92:93], v39, v114
	v_cmp_ge_u32_e64 s[78:79], v38, v115
	s_waitcnt lgkmcnt(0)
	v_cndmask_b32_e64 v87, v15, v83, s[76:77]
	v_cndmask_b32_e64 v96, v14, v84, s[76:77]
	;; [unrolled: 1-line block ×4, first 2 shown]
	v_and_b32_e32 v15, v87, v162
	v_and_b32_e32 v14, v96, v161
	;; [unrolled: 1-line block ×4, first 2 shown]
	v_cmp_le_u64_e64 s[90:91], v[28:29], v[14:15]
	v_cndmask_b32_e64 v29, v31, v35, s[58:59]
	s_and_b64 s[90:91], s[92:93], s[90:91]
	s_or_b64 s[78:79], s[78:79], s[90:91]
	v_cndmask_b32_e64 v14, v38, v39, s[78:79]
	v_cndmask_b32_e64 v15, v115, v114, s[78:79]
	v_lshl_add_u32 v28, v14, 3, v30
	v_add_u32_e32 v99, 1, v14
	v_add_u32_e32 v14, -1, v15
	v_min_u32_e32 v14, v99, v14
	v_lshl_add_u32 v14, v14, 3, v30
	ds_read_b64 v[32:33], v28 offset:32768
	ds_read_b64 v[14:15], v14
	v_cndmask_b32_e64 v28, v34, v36, s[58:59]
	v_cndmask_b32_e64 v103, v99, v38, s[78:79]
	;; [unrolled: 1-line block ×3, first 2 shown]
	v_cmp_lt_u32_e64 s[90:91], v99, v114
	s_waitcnt lgkmcnt(0)
	v_cndmask_b32_e64 v31, v15, v87, s[78:79]
	v_cndmask_b32_e64 v100, v14, v96, s[78:79]
	;; [unrolled: 1-line block ×4, first 2 shown]
	v_and_b32_e32 v11, v31, v162
	v_and_b32_e32 v10, v100, v161
	;; [unrolled: 1-line block ×4, first 2 shown]
	v_cmp_le_u64_e64 s[58:59], v[14:15], v[10:11]
	v_cmp_ge_u32_e64 s[46:47], v103, v115
	s_and_b64 s[58:59], s[90:91], s[58:59]
	s_or_b64 s[46:47], s[46:47], s[58:59]
	v_cndmask_b32_e64 v10, v103, v99, s[46:47]
	v_cndmask_b32_e64 v11, v115, v114, s[46:47]
	v_lshl_add_u32 v14, v10, 3, v30
	v_add_u32_e32 v15, 1, v10
	v_add_u32_e32 v10, -1, v11
	v_min_u32_e32 v10, v15, v10
	v_lshl_add_u32 v10, v10, 3, v30
	ds_read_b64 v[38:39], v14 offset:32768
	ds_read_b64 v[10:11], v10
	v_cndmask_b32_e64 v36, v52, v54, s[62:63]
	v_cndmask_b32_e64 v54, v15, v103, s[46:47]
	v_cndmask_b32_e64 v99, v99, v15, s[46:47]
	v_cndmask_b32_e64 v35, v37, v49, s[56:57]
	s_waitcnt lgkmcnt(0)
	v_cndmask_b32_e64 v112, v11, v31, s[46:47]
	v_cndmask_b32_e64 v113, v10, v100, s[46:47]
	;; [unrolled: 1-line block ×4, first 2 shown]
	v_and_b32_e32 v11, v112, v162
	v_and_b32_e32 v10, v113, v161
	;; [unrolled: 1-line block ×4, first 2 shown]
	v_cmp_le_u64_e64 s[58:59], v[14:15], v[10:11]
	v_cndmask_b32_e64 v37, v51, v53, s[62:63]
	v_cmp_lt_u32_e64 s[62:63], v99, v114
	v_cndmask_b32_e64 v34, v48, v50, s[56:57]
	v_cmp_ge_u32_e64 s[56:57], v54, v115
	s_and_b64 s[58:59], s[62:63], s[58:59]
	s_or_b64 s[56:57], s[56:57], s[58:59]
	v_cndmask_b32_e64 v10, v54, v99, s[56:57]
	v_cndmask_b32_e64 v11, v115, v114, s[56:57]
	v_lshl_add_u32 v14, v10, 3, v30
	v_add_u32_e32 v15, 1, v10
	v_add_u32_e32 v10, -1, v11
	v_min_u32_e32 v10, v15, v10
	v_lshl_add_u32 v10, v10, 3, v30
	ds_read_b64 v[52:53], v14 offset:32768
	ds_read_b64 v[10:11], v10
	v_cndmask_b32_e64 v51, v67, v69, s[72:73]
	v_cndmask_b32_e64 v50, v68, v70, s[72:73]
	;; [unrolled: 1-line block ×4, first 2 shown]
	s_waitcnt lgkmcnt(0)
	v_cndmask_b32_e64 v68, v11, v112, s[56:57]
	v_cndmask_b32_e64 v69, v10, v113, s[56:57]
	;; [unrolled: 1-line block ×4, first 2 shown]
	v_and_b32_e32 v11, v68, v162
	v_and_b32_e32 v10, v69, v161
	;; [unrolled: 1-line block ×4, first 2 shown]
	v_cndmask_b32_e64 v49, v55, v65, s[60:61]
	v_cndmask_b32_e64 v48, v64, v66, s[60:61]
	v_cmp_le_u64_e64 s[60:61], v[14:15], v[10:11]
	v_cmp_lt_u32_e64 s[62:63], v99, v114
	v_cmp_ge_u32_e64 s[58:59], v118, v115
	s_and_b64 s[60:61], s[62:63], s[60:61]
	s_or_b64 s[58:59], s[58:59], s[60:61]
	v_cndmask_b32_e64 v10, v118, v99, s[58:59]
	v_cndmask_b32_e64 v11, v115, v114, s[58:59]
	v_lshl_add_u32 v14, v10, 3, v30
	v_add_u32_e32 v15, 1, v10
	v_add_u32_e32 v10, -1, v11
	v_min_u32_e32 v10, v15, v10
	v_lshl_add_u32 v10, v10, 3, v30
	ds_read_b64 v[66:67], v14 offset:32768
	ds_read_b64 v[10:11], v10
	v_cndmask_b32_e64 v55, v71, v81, s[74:75]
	v_cndmask_b32_e64 v64, v84, v86, s[76:77]
	v_cndmask_b32_e64 v71, v15, v118, s[58:59]
	v_cndmask_b32_e64 v86, v99, v15, s[58:59]
	s_waitcnt lgkmcnt(0)
	v_cndmask_b32_e64 v119, v11, v68, s[58:59]
	v_cndmask_b32_e64 v128, v10, v69, s[58:59]
	;; [unrolled: 1-line block ×4, first 2 shown]
	v_and_b32_e32 v11, v119, v162
	v_and_b32_e32 v10, v128, v161
	;; [unrolled: 1-line block ×4, first 2 shown]
	v_cmp_le_u64_e64 s[62:63], v[14:15], v[10:11]
	v_cmp_lt_u32_e64 s[72:73], v86, v114
	v_cmp_ge_u32_e64 s[60:61], v71, v115
	s_and_b64 s[62:63], s[72:73], s[62:63]
	s_or_b64 s[60:61], s[60:61], s[62:63]
	v_cndmask_b32_e64 v10, v71, v86, s[60:61]
	v_cndmask_b32_e64 v11, v115, v114, s[60:61]
	v_lshl_add_u32 v14, v10, 3, v30
	v_add_u32_e32 v15, 1, v10
	v_add_u32_e32 v10, -1, v11
	v_min_u32_e32 v10, v15, v10
	v_lshl_add_u32 v10, v10, 3, v30
	v_cndmask_b32_e64 v65, v83, v85, s[76:77]
	ds_read_b64 v[84:85], v14 offset:32768
	ds_read_b64 v[10:11], v10
	v_cndmask_b32_e64 v54, v80, v82, s[74:75]
	v_cndmask_b32_e64 v83, v31, v101, s[46:47]
	;; [unrolled: 1-line block ×4, first 2 shown]
	s_waitcnt lgkmcnt(0)
	v_cndmask_b32_e64 v31, v11, v119, s[60:61]
	v_cndmask_b32_e64 v102, v10, v128, s[60:61]
	;; [unrolled: 1-line block ×6, first 2 shown]
	v_and_b32_e32 v11, v31, v162
	v_and_b32_e32 v10, v102, v161
	;; [unrolled: 1-line block ×4, first 2 shown]
	v_cmp_le_u64_e64 s[62:63], v[14:15], v[10:11]
	v_cmp_lt_u32_e64 s[72:73], v96, v114
	v_cmp_ge_u32_e64 s[46:47], v71, v115
	s_and_b64 s[62:63], s[72:73], s[62:63]
	s_or_b64 s[46:47], s[46:47], s[62:63]
	v_cndmask_b32_e64 v10, v71, v96, s[46:47]
	v_cndmask_b32_e64 v11, v115, v114, s[46:47]
	v_lshl_add_u32 v14, v10, 3, v30
	v_add_u32_e32 v15, 1, v10
	v_add_u32_e32 v10, -1, v11
	v_min_u32_e32 v10, v15, v10
	v_lshl_add_u32 v10, v10, 3, v30
	ds_read_b64 v[100:101], v14 offset:32768
	ds_read_b64 v[10:11], v10
	v_cndmask_b32_e64 v81, v87, v97, s[78:79]
	v_cndmask_b32_e64 v87, v112, v116, s[56:57]
	v_cndmask_b32_e64 v86, v113, v117, s[56:57]
	v_cndmask_b32_e64 v98, v69, v103, s[58:59]
	s_waitcnt lgkmcnt(0)
	v_cndmask_b32_e64 v112, v11, v31, s[46:47]
	v_cndmask_b32_e64 v116, v10, v102, s[46:47]
	v_cndmask_b32_e64 v113, v118, v11, s[46:47]
	v_cndmask_b32_e64 v117, v131, v10, s[46:47]
	v_cndmask_b32_e64 v103, v15, v71, s[46:47]
	v_cndmask_b32_e64 v132, v96, v15, s[46:47]
	v_and_b32_e32 v11, v112, v162
	v_and_b32_e32 v10, v116, v161
	;; [unrolled: 1-line block ×4, first 2 shown]
	v_cndmask_b32_e64 v99, v68, v70, s[58:59]
	v_cmp_le_u64_e64 s[58:59], v[14:15], v[10:11]
	v_cmp_lt_u32_e64 s[62:63], v132, v114
	v_cmp_ge_u32_e64 s[56:57], v103, v115
	s_and_b64 s[58:59], s[62:63], s[58:59]
	s_or_b64 s[56:57], s[56:57], s[58:59]
	v_cndmask_b32_e64 v10, v103, v132, s[56:57]
	v_cndmask_b32_e64 v11, v115, v114, s[56:57]
	v_lshl_add_u32 v14, v10, 3, v30
	v_add_u32_e32 v15, 1, v10
	v_add_u32_e32 v10, -1, v11
	v_min_u32_e32 v10, v15, v10
	v_lshl_add_u32 v10, v10, 3, v30
	ds_read_b64 v[70:71], v14 offset:32768
	ds_read_b64 v[10:11], v10
	v_cndmask_b32_e64 v97, v119, v129, s[60:61]
	v_cndmask_b32_e64 v96, v128, v130, s[60:61]
	v_cndmask_b32_e64 v69, v31, v118, s[46:47]
	v_cndmask_b32_e64 v68, v102, v131, s[46:47]
	s_waitcnt lgkmcnt(0)
	v_cndmask_b32_e64 v31, v11, v112, s[56:57]
	v_cndmask_b32_e64 v118, v10, v116, s[56:57]
	;; [unrolled: 1-line block ×6, first 2 shown]
	v_and_b32_e32 v11, v31, v162
	v_and_b32_e32 v10, v118, v161
	;; [unrolled: 1-line block ×4, first 2 shown]
	v_cmp_le_u64_e64 s[58:59], v[14:15], v[10:11]
	v_cmp_lt_u32_e64 s[60:61], v103, v114
	v_cmp_ge_u32_e64 s[46:47], v102, v115
	s_and_b64 s[58:59], s[60:61], s[58:59]
	s_or_b64 s[46:47], s[46:47], s[58:59]
	v_cndmask_b32_e64 v10, v102, v103, s[46:47]
	v_lshl_add_u32 v10, v10, 3, v30
	ds_read_b64 v[102:103], v10 offset:32768
	v_cndmask_b32_e64 v113, v112, v113, s[56:57]
	v_cndmask_b32_e64 v112, v116, v117, s[56:57]
	;; [unrolled: 1-line block ×4, first 2 shown]
.LBB821_332:
	s_or_b64 exec, exec, s[30:31]
	; wave barrier
	s_waitcnt lgkmcnt(0)
	s_barrier
                                        ; implicit-def: $vgpr151
                                        ; implicit-def: $vgpr160
                                        ; implicit-def: $vgpr31
                                        ; implicit-def: $vgpr30
                                        ; implicit-def: $vgpr114
.LBB821_333:
	s_andn2_saveexec_b64 s[90:91], s[94:95]
	s_cbranch_execz .LBB821_617
; %bb.334:
	s_load_dwordx2 s[46:47], s[8:9], 0x0
	v_mov_b32_e32 v10, 0
	s_waitcnt lgkmcnt(0)
	s_cmp_lt_u32 s13, s47
	s_cselect_b32 s13, 14, 20
	s_add_u32 s56, s8, s13
	s_addc_u32 s57, s9, 0
	s_cmp_lt_u32 s12, s46
	s_cselect_b32 s12, 12, 18
	s_add_u32 s8, s8, s12
	s_addc_u32 s9, s9, 0
	global_load_ushort v11, v10, s[56:57]
	global_load_ushort v115, v10, s[8:9]
	s_movk_i32 s8, 0x1000
	s_waitcnt vmcnt(0)
	v_mad_u32_u24 v10, v114, v11, v30
	v_mul_lo_u32 v10, v10, v115
	v_and_b32_e32 v11, 0x3ff, v31
	v_add_lshl_u32 v161, v10, v11, 4
	v_cmp_gt_u32_e64 s[8:9], s8, v161
	s_and_saveexec_b64 s[12:13], s[8:9]
	s_cbranch_execz .LBB821_576
; %bb.335:
	v_cmp_gt_i64_e64 s[8:9], v[12:13], v[28:29]
	v_mov_b32_e32 v10, v28
	v_mov_b32_e32 v115, v5
	v_mov_b32_e32 v11, v29
	v_mov_b32_e32 v114, v4
	s_and_saveexec_b64 s[46:47], s[8:9]
; %bb.336:
	v_mov_b32_e32 v10, v12
	v_mov_b32_e32 v115, v1
	v_mov_b32_e32 v11, v13
	v_mov_b32_e32 v12, v28
	v_mov_b32_e32 v114, v0
	v_mov_b32_e32 v0, v4
	v_mov_b32_e32 v13, v29
	v_mov_b32_e32 v1, v5
; %bb.337:
	s_or_b64 exec, exec, s[46:47]
	v_cmp_gt_i64_e64 s[8:9], v[34:35], v[36:37]
	v_mov_b32_e32 v28, v36
	v_mov_b32_e32 v117, v19
	v_mov_b32_e32 v29, v37
	v_mov_b32_e32 v116, v18
	s_and_saveexec_b64 s[46:47], s[8:9]
; %bb.338:
	v_mov_b32_e32 v28, v34
	v_mov_b32_e32 v117, v17
	v_mov_b32_e32 v29, v35
	v_mov_b32_e32 v34, v36
	v_mov_b32_e32 v116, v16
	v_mov_b32_e32 v16, v18
	v_mov_b32_e32 v35, v37
	v_mov_b32_e32 v17, v19
; %bb.339:
	s_or_b64 exec, exec, s[46:47]
	v_cmp_gt_i64_e64 s[8:9], v[48:49], v[50:51]
	v_mov_b32_e32 v18, v50
	v_mov_b32_e32 v119, v23
	v_mov_b32_e32 v19, v51
	v_mov_b32_e32 v118, v22
	s_and_saveexec_b64 s[46:47], s[8:9]
; %bb.340:
	v_mov_b32_e32 v18, v48
	v_mov_b32_e32 v119, v21
	v_mov_b32_e32 v19, v49
	v_mov_b32_e32 v48, v50
	v_mov_b32_e32 v118, v20
	v_mov_b32_e32 v20, v22
	v_mov_b32_e32 v49, v51
	v_mov_b32_e32 v21, v23
; %bb.341:
	s_or_b64 exec, exec, s[46:47]
	v_cmp_gt_i64_e64 s[8:9], v[54:55], v[64:65]
	v_mov_b32_e32 v22, v64
	v_mov_b32_e32 v51, v27
	v_mov_b32_e32 v23, v65
	v_mov_b32_e32 v50, v26
	s_and_saveexec_b64 s[46:47], s[8:9]
; %bb.342:
	v_mov_b32_e32 v22, v54
	v_mov_b32_e32 v51, v25
	v_mov_b32_e32 v23, v55
	v_mov_b32_e32 v54, v64
	v_mov_b32_e32 v50, v24
	v_mov_b32_e32 v24, v26
	v_mov_b32_e32 v55, v65
	v_mov_b32_e32 v25, v27
; %bb.343:
	s_or_b64 exec, exec, s[46:47]
	v_cmp_gt_i64_e64 s[8:9], v[80:81], v[82:83]
	v_mov_b32_e32 v26, v82
	v_mov_b32_e32 v65, v39
	v_mov_b32_e32 v27, v83
	v_mov_b32_e32 v64, v38
	s_and_saveexec_b64 s[46:47], s[8:9]
; %bb.344:
	v_mov_b32_e32 v26, v80
	v_mov_b32_e32 v65, v33
	v_mov_b32_e32 v27, v81
	v_mov_b32_e32 v80, v82
	v_mov_b32_e32 v64, v32
	v_mov_b32_e32 v32, v38
	v_mov_b32_e32 v81, v83
	v_mov_b32_e32 v33, v39
; %bb.345:
	s_or_b64 exec, exec, s[46:47]
	v_cmp_gt_i64_e64 s[8:9], v[86:87], v[98:99]
	v_mov_b32_e32 v38, v98
	v_mov_b32_e32 v83, v67
	v_mov_b32_e32 v39, v99
	v_mov_b32_e32 v82, v66
	s_and_saveexec_b64 s[46:47], s[8:9]
; %bb.346:
	v_mov_b32_e32 v38, v86
	v_mov_b32_e32 v83, v53
	v_mov_b32_e32 v39, v87
	v_mov_b32_e32 v86, v98
	v_mov_b32_e32 v82, v52
	v_mov_b32_e32 v52, v66
	v_mov_b32_e32 v87, v99
	v_mov_b32_e32 v53, v67
; %bb.347:
	s_or_b64 exec, exec, s[46:47]
	v_cmp_gt_i64_e64 s[8:9], v[96:97], v[68:69]
	v_mov_b32_e32 v30, v100
	v_mov_b32_e32 v129, v97
	v_mov_b32_e32 v31, v101
	v_mov_b32_e32 v128, v96
	s_and_saveexec_b64 s[46:47], s[8:9]
; %bb.348:
	v_mov_b32_e32 v30, v84
	v_mov_b32_e32 v129, v69
	v_mov_b32_e32 v31, v85
	v_mov_b32_e32 v84, v100
	v_mov_b32_e32 v128, v68
	v_mov_b32_e32 v68, v96
	v_mov_b32_e32 v85, v101
	v_mov_b32_e32 v69, v97
; %bb.349:
	s_or_b64 exec, exec, s[46:47]
	v_cmp_gt_i64_e64 s[8:9], v[112:113], v[14:15]
	v_mov_b32_e32 v4, v102
	v_mov_b32_e32 v66, v112
	v_mov_b32_e32 v5, v103
	v_mov_b32_e32 v67, v113
	s_and_saveexec_b64 s[46:47], s[8:9]
; %bb.350:
	v_mov_b32_e32 v4, v70
	v_mov_b32_e32 v67, v15
	v_mov_b32_e32 v5, v71
	v_mov_b32_e32 v70, v102
	v_mov_b32_e32 v66, v14
	v_mov_b32_e32 v14, v112
	v_mov_b32_e32 v71, v103
	v_mov_b32_e32 v15, v113
; %bb.351:
	s_or_b64 exec, exec, s[46:47]
	v_cmp_gt_i64_e64 s[8:9], v[10:11], v[34:35]
	v_mov_b32_e32 v37, v35
	v_mov_b32_e32 v97, v17
	;; [unrolled: 1-line block ×4, first 2 shown]
	s_and_saveexec_b64 s[46:47], s[8:9]
	s_xor_b64 s[8:9], exec, s[46:47]
; %bb.352:
	v_mov_b32_e32 v37, v11
	v_mov_b32_e32 v96, v114
	v_mov_b32_e32 v36, v10
	v_mov_b32_e32 v10, v34
	v_mov_b32_e32 v97, v115
	v_mov_b32_e32 v115, v17
	v_mov_b32_e32 v11, v35
	v_mov_b32_e32 v114, v16
; %bb.353:
	s_or_b64 exec, exec, s[8:9]
	v_cmp_gt_i64_e64 s[8:9], v[28:29], v[48:49]
	v_mov_b32_e32 v16, v48
	v_mov_b32_e32 v99, v21
	v_mov_b32_e32 v17, v49
	v_mov_b32_e32 v98, v20
	s_and_saveexec_b64 s[46:47], s[8:9]
; %bb.354:
	v_mov_b32_e32 v16, v28
	v_mov_b32_e32 v98, v116
	v_mov_b32_e32 v17, v29
	v_mov_b32_e32 v28, v48
	v_mov_b32_e32 v99, v117
	v_mov_b32_e32 v117, v21
	v_mov_b32_e32 v29, v49
	v_mov_b32_e32 v116, v20
; %bb.355:
	s_or_b64 exec, exec, s[46:47]
	v_cmp_gt_i64_e64 s[8:9], v[18:19], v[54:55]
	v_mov_b32_e32 v20, v54
	v_mov_b32_e32 v101, v25
	v_mov_b32_e32 v21, v55
	v_mov_b32_e32 v100, v24
	s_and_saveexec_b64 s[46:47], s[8:9]
	;; [unrolled: 17-line block ×111, first 2 shown]
; %bb.574:
	v_mov_b32_e32 v113, v69
	v_mov_b32_e32 v101, v71
	v_mov_b32_e32 v112, v68
	v_mov_b32_e32 v68, v116
	v_mov_b32_e32 v100, v70
	v_mov_b32_e32 v70, v114
	v_mov_b32_e32 v69, v117
	v_mov_b32_e32 v71, v115
; %bb.575:
	s_or_b64 exec, exec, s[46:47]
.LBB821_576:
	s_or_b64 exec, exec, s[12:13]
	v_and_b32_e32 v10, 0xfffffc00, v161
	v_lshlrev_b32_e32 v30, 3, v10
	s_movk_i32 s8, 0x1000
	v_lshl_add_u32 v114, v151, 3, v30
	v_sub_u32_e64 v31, s8, v10 clamp
	v_add_u32_e32 v10, 0x8000, v114
	ds_write2_b64 v114, v[12:13], v[28:29] offset1:1
	ds_write2_b64 v10, v[0:1], v[4:5] offset1:1
	v_add_u32_e32 v10, 0x8010, v114
	ds_write2_b64 v114, v[34:35], v[36:37] offset0:2 offset1:3
	ds_write2_b64 v10, v[16:17], v[18:19] offset1:1
	v_add_u32_e32 v10, 0x8020, v114
	ds_write2_b64 v114, v[48:49], v[50:51] offset0:4 offset1:5
	;; [unrolled: 3-line block ×4, first 2 shown]
	ds_write2_b64 v10, v[32:33], v[38:39] offset1:1
	v_add_u32_e32 v10, 0x8050, v114
	v_or_b32_e32 v11, 16, v151
	ds_write2_b64 v114, v[86:87], v[98:99] offset0:10 offset1:11
	ds_write2_b64 v10, v[52:53], v[66:67] offset1:1
	v_add_u32_e32 v10, 0x8060, v114
	v_min_u32_e32 v115, v31, v11
	ds_write2_b64 v114, v[96:97], v[68:69] offset0:12 offset1:13
	ds_write2_b64 v10, v[84:85], v[100:101] offset1:1
	v_add_u32_e32 v10, 0x8070, v114
	v_add_u32_e32 v11, 16, v115
	ds_write2_b64 v114, v[112:113], v[14:15] offset0:14 offset1:15
	ds_write2_b64 v10, v[70:71], v[102:103] offset1:1
	v_and_b32_e32 v10, 0x7e0, v151
	v_min_u32_e32 v116, v31, v11
	v_and_b32_e32 v11, 16, v151
	v_min_u32_e32 v11, v31, v11
	v_sub_u32_e32 v119, v115, v10
	v_sub_u32_e32 v118, v116, v115
	v_sub_u32_e64 v118, v11, v118 clamp
	v_min_u32_e32 v119, v11, v119
	v_lshl_add_u32 v117, v10, 3, v30
	v_cmp_lt_u32_e64 s[8:9], v118, v119
	; wave barrier
	s_and_saveexec_b64 s[12:13], s[8:9]
	s_cbranch_execz .LBB821_580
; %bb.577:
	v_lshlrev_b32_e32 v128, 3, v115
	v_lshlrev_b32_e32 v129, 3, v11
	v_add3_u32 v128, v30, v128, v129
	s_mov_b64 s[46:47], 0
.LBB821_578:                            ; =>This Inner Loop Header: Depth=1
	v_add_u32_e32 v129, v119, v118
	v_lshrrev_b32_e32 v133, 1, v129
	v_not_b32_e32 v129, v133
	v_lshl_add_u32 v130, v133, 3, v117
	v_lshl_add_u32 v131, v129, 3, v128
	ds_read_b64 v[129:130], v130
	ds_read_b64 v[131:132], v131
	v_add_u32_e32 v134, 1, v133
	s_waitcnt lgkmcnt(0)
	v_cmp_gt_i64_e64 s[8:9], v[129:130], v[131:132]
	v_cndmask_b32_e64 v119, v119, v133, s[8:9]
	v_cndmask_b32_e64 v118, v134, v118, s[8:9]
	v_cmp_ge_u32_e64 s[8:9], v118, v119
	s_or_b64 s[46:47], s[8:9], s[46:47]
	s_andn2_b64 exec, exec, s[46:47]
	s_cbranch_execnz .LBB821_578
; %bb.579:
	s_or_b64 exec, exec, s[46:47]
.LBB821_580:
	s_or_b64 exec, exec, s[12:13]
	v_add_u32_e32 v119, v118, v10
	v_add_u32_e32 v10, v115, v11
	v_sub_u32_e32 v128, v10, v118
	v_cmp_le_u32_e64 s[8:9], v119, v115
	v_cmp_le_u32_e64 s[12:13], v128, v116
	s_or_b64 s[8:9], s[8:9], s[12:13]
	s_and_saveexec_b64 s[92:93], s[8:9]
	s_cbranch_execz .LBB821_586
; %bb.581:
	v_cmp_lt_u32_e64 s[8:9], v119, v115
                                        ; implicit-def: $vgpr10_vgpr11
	s_and_saveexec_b64 s[12:13], s[8:9]
; %bb.582:
	v_lshl_add_u32 v0, v118, 3, v117
	ds_read_b64 v[10:11], v0
; %bb.583:
	s_or_b64 exec, exec, s[12:13]
	v_cmp_ge_u32_e64 s[46:47], v128, v116
	v_cmp_lt_u32_e64 s[12:13], v128, v116
                                        ; implicit-def: $vgpr12_vgpr13
	s_and_saveexec_b64 s[56:57], s[12:13]
; %bb.584:
	v_lshl_add_u32 v0, v128, 3, v30
	ds_read_b64 v[12:13], v0
; %bb.585:
	s_or_b64 exec, exec, s[56:57]
	s_waitcnt lgkmcnt(0)
	v_cmp_le_i64_e64 s[12:13], v[10:11], v[12:13]
	s_and_b64 s[8:9], s[8:9], s[12:13]
	s_or_b64 s[8:9], s[46:47], s[8:9]
	v_cndmask_b32_e64 v4, v128, v119, s[8:9]
	v_cndmask_b32_e64 v0, v116, v115, s[8:9]
	v_add_u32_e32 v5, 1, v4
	v_add_u32_e32 v0, -1, v0
	v_min_u32_e32 v0, v5, v0
	v_lshl_add_u32 v0, v0, 3, v30
	ds_read_b64 v[0:1], v0
	v_cndmask_b32_e64 v16, v5, v128, s[8:9]
	v_cndmask_b32_e64 v5, v119, v5, s[8:9]
	v_cmp_lt_u32_e64 s[56:57], v5, v115
	v_cmp_ge_u32_e64 s[12:13], v16, v116
	s_waitcnt lgkmcnt(0)
	v_cndmask_b32_e64 v15, v1, v13, s[8:9]
	v_cndmask_b32_e64 v14, v0, v12, s[8:9]
	v_cndmask_b32_e64 v29, v11, v1, s[8:9]
	v_cndmask_b32_e64 v28, v10, v0, s[8:9]
	v_cmp_le_i64_e64 s[46:47], v[28:29], v[14:15]
	v_cndmask_b32_e64 v13, v13, v11, s[8:9]
	s_and_b64 s[46:47], s[56:57], s[46:47]
	s_or_b64 s[56:57], s[12:13], s[46:47]
	v_cndmask_b32_e64 v18, v16, v5, s[56:57]
	v_cndmask_b32_e64 v0, v116, v115, s[56:57]
	v_add_u32_e32 v17, 1, v18
	v_add_u32_e32 v0, -1, v0
	v_min_u32_e32 v0, v17, v0
	v_lshl_add_u32 v0, v0, 3, v30
	ds_read_b64 v[0:1], v0
	v_cndmask_b32_e64 v5, v5, v17, s[56:57]
	v_cndmask_b32_e64 v16, v17, v16, s[56:57]
	v_cmp_lt_u32_e64 s[58:59], v5, v115
	v_cmp_ge_u32_e64 s[12:13], v16, v116
	s_waitcnt lgkmcnt(0)
	v_cndmask_b32_e64 v35, v1, v15, s[56:57]
	v_cndmask_b32_e64 v34, v0, v14, s[56:57]
	v_cndmask_b32_e64 v37, v29, v1, s[56:57]
	v_cndmask_b32_e64 v36, v28, v0, s[56:57]
	v_cmp_le_i64_e64 s[46:47], v[36:37], v[34:35]
	v_cndmask_b32_e64 v12, v12, v10, s[8:9]
	;; [unrolled: 20-line block ×4, first 2 shown]
	s_and_b64 s[58:59], s[62:63], s[58:59]
	s_or_b64 s[58:59], s[12:13], s[58:59]
	v_cndmask_b32_e64 v23, v20, v21, s[58:59]
	v_cndmask_b32_e64 v0, v116, v115, s[58:59]
	v_add_u32_e32 v24, 1, v23
	v_add_u32_e32 v0, -1, v0
	v_min_u32_e32 v0, v24, v0
	v_lshl_add_u32 v0, v0, 3, v30
	ds_read_b64 v[16:17], v0
	v_cndmask_b32_e64 v25, v24, v20, s[58:59]
	v_cndmask_b32_e64 v24, v21, v24, s[58:59]
	v_cmp_lt_u32_e64 s[72:73], v24, v115
	v_cmp_ge_u32_e64 s[12:13], v25, v116
	s_waitcnt lgkmcnt(0)
	v_cndmask_b32_e64 v67, v17, v55, s[58:59]
	v_cndmask_b32_e64 v66, v16, v54, s[58:59]
	v_cndmask_b32_e64 v69, v65, v17, s[58:59]
	v_cndmask_b32_e64 v68, v64, v16, s[58:59]
	v_cmp_le_i64_e64 s[62:63], v[68:69], v[66:67]
	v_lshl_add_u32 v0, v4, 3, v30
	s_and_b64 s[62:63], s[72:73], s[62:63]
	s_or_b64 s[62:63], s[12:13], s[62:63]
	v_cndmask_b32_e64 v26, v25, v24, s[62:63]
	v_cndmask_b32_e64 v16, v116, v115, s[62:63]
	v_add_u32_e32 v27, 1, v26
	v_add_u32_e32 v16, -1, v16
	v_min_u32_e32 v16, v27, v16
	v_lshl_add_u32 v16, v16, 3, v30
	ds_read_b64 v[20:21], v16
	v_cndmask_b32_e64 v32, v27, v25, s[62:63]
	v_cndmask_b32_e64 v27, v24, v27, s[62:63]
	v_cmp_lt_u32_e64 s[74:75], v27, v115
	v_cmp_ge_u32_e64 s[12:13], v32, v116
	s_waitcnt lgkmcnt(0)
	v_cndmask_b32_e64 v71, v21, v67, s[62:63]
	v_cndmask_b32_e64 v70, v20, v66, s[62:63]
	v_cndmask_b32_e64 v81, v69, v21, s[62:63]
	v_cndmask_b32_e64 v80, v68, v20, s[62:63]
	v_cmp_le_i64_e64 s[72:73], v[80:81], v[70:71]
	v_lshl_add_u32 v4, v18, 3, v30
	;; [unrolled: 20-line block ×3, first 2 shown]
	s_and_b64 s[74:75], s[76:77], s[74:75]
	s_or_b64 s[74:75], s[12:13], s[74:75]
	v_lshl_add_u32 v22, v26, 3, v30
	v_cndmask_b32_e64 v26, v39, v52, s[74:75]
	v_cndmask_b32_e64 v24, v116, v115, s[74:75]
	v_add_u32_e32 v53, 1, v26
	v_add_u32_e32 v24, -1, v24
	v_min_u32_e32 v24, v53, v24
	v_lshl_add_u32 v24, v24, 3, v30
	ds_read_b64 v[32:33], v24
	v_cndmask_b32_e64 v52, v52, v53, s[74:75]
	v_cndmask_b32_e64 v98, v53, v39, s[74:75]
	v_cmp_lt_u32_e64 s[78:79], v52, v115
	v_cmp_ge_u32_e64 s[12:13], v98, v116
	s_waitcnt lgkmcnt(0)
	v_cndmask_b32_e64 v87, v33, v83, s[74:75]
	v_cndmask_b32_e64 v86, v32, v82, s[74:75]
	;; [unrolled: 1-line block ×4, first 2 shown]
	v_cmp_le_i64_e64 s[76:77], v[96:97], v[86:87]
	v_lshl_add_u32 v24, v38, 3, v30
	s_and_b64 s[76:77], s[78:79], s[76:77]
	s_or_b64 s[76:77], s[12:13], s[76:77]
	v_cndmask_b32_e64 v32, v98, v52, s[76:77]
	v_cndmask_b32_e64 v33, v116, v115, s[76:77]
	v_lshl_add_u32 v38, v32, 3, v30
	v_add_u32_e32 v53, 1, v32
	v_add_u32_e32 v32, -1, v33
	v_min_u32_e32 v32, v53, v32
	v_lshl_add_u32 v16, v19, 3, v30
	v_lshl_add_u32 v20, v23, 3, v30
	;; [unrolled: 1-line block ×4, first 2 shown]
	ds_read_b64 v[0:1], v0 offset:32768
	ds_read_b64 v[4:5], v4 offset:32768
	;; [unrolled: 1-line block ×9, first 2 shown]
	ds_read_b64 v[38:39], v39
	v_cndmask_b32_e64 v101, v52, v53, s[76:77]
	v_cndmask_b32_e64 v100, v53, v98, s[76:77]
	v_cmp_lt_u32_e64 s[56:57], v101, v115
	v_cmp_ge_u32_e64 s[8:9], v100, v116
	s_waitcnt lgkmcnt(0)
	v_cndmask_b32_e64 v11, v39, v87, s[76:77]
	v_cndmask_b32_e64 v10, v38, v86, s[76:77]
	;; [unrolled: 1-line block ×4, first 2 shown]
	v_cmp_le_i64_e64 s[12:13], v[14:15], v[10:11]
	v_cndmask_b32_e64 v35, v35, v37, s[46:47]
	s_and_b64 s[12:13], s[56:57], s[12:13]
	s_or_b64 s[8:9], s[8:9], s[12:13]
	v_cndmask_b32_e64 v38, v100, v101, s[8:9]
	v_cndmask_b32_e64 v39, v116, v115, s[8:9]
	v_lshl_add_u32 v52, v38, 3, v30
	v_add_u32_e32 v112, 1, v38
	v_add_u32_e32 v38, -1, v39
	v_min_u32_e32 v38, v112, v38
	v_lshl_add_u32 v53, v38, 3, v30
	ds_read_b64 v[38:39], v52 offset:32768
	ds_read_b64 v[52:53], v53
	v_cndmask_b32_e64 v34, v34, v36, s[46:47]
	v_cndmask_b32_e64 v118, v101, v112, s[8:9]
	;; [unrolled: 1-line block ×3, first 2 shown]
	v_cmp_lt_u32_e64 s[56:57], v118, v115
	s_waitcnt lgkmcnt(0)
	v_cndmask_b32_e64 v99, v53, v11, s[8:9]
	v_cndmask_b32_e64 v98, v52, v10, s[8:9]
	;; [unrolled: 1-line block ×4, first 2 shown]
	v_cmp_le_i64_e64 s[46:47], v[102:103], v[98:99]
	v_cmp_ge_u32_e64 s[12:13], v117, v116
	s_and_b64 s[46:47], s[56:57], s[46:47]
	s_or_b64 s[46:47], s[12:13], s[46:47]
	v_cndmask_b32_e64 v37, v49, v51, s[60:61]
	v_cndmask_b32_e64 v36, v48, v50, s[60:61]
	v_cndmask_b32_e64 v48, v117, v118, s[46:47]
	v_cndmask_b32_e64 v49, v116, v115, s[46:47]
	v_lshl_add_u32 v50, v48, 3, v30
	v_add_u32_e32 v119, 1, v48
	v_add_u32_e32 v48, -1, v49
	v_min_u32_e32 v48, v119, v48
	v_lshl_add_u32 v48, v48, 3, v30
	ds_read_b64 v[52:53], v50 offset:32768
	ds_read_b64 v[100:101], v48
	v_cndmask_b32_e64 v51, v67, v69, s[62:63]
	v_cndmask_b32_e64 v50, v66, v68, s[62:63]
	v_cndmask_b32_e64 v130, v119, v117, s[46:47]
	v_cndmask_b32_e64 v119, v118, v119, s[46:47]
	s_waitcnt lgkmcnt(0)
	v_cndmask_b32_e64 v69, v101, v99, s[46:47]
	v_cndmask_b32_e64 v68, v100, v98, s[46:47]
	;; [unrolled: 1-line block ×4, first 2 shown]
	v_cmp_le_i64_e64 s[56:57], v[112:113], v[68:69]
	v_cndmask_b32_e64 v49, v55, v65, s[58:59]
	v_cndmask_b32_e64 v48, v54, v64, s[58:59]
	v_cmp_lt_u32_e64 s[58:59], v119, v115
	v_cmp_ge_u32_e64 s[12:13], v130, v116
	s_and_b64 s[56:57], s[58:59], s[56:57]
	s_or_b64 s[12:13], s[12:13], s[56:57]
	v_cndmask_b32_e64 v54, v130, v119, s[12:13]
	v_cndmask_b32_e64 v55, v116, v115, s[12:13]
	v_lshl_add_u32 v64, v54, 3, v30
	v_add_u32_e32 v131, 1, v54
	v_add_u32_e32 v54, -1, v55
	v_min_u32_e32 v54, v131, v54
	v_lshl_add_u32 v54, v54, 3, v30
	ds_read_b64 v[66:67], v64 offset:32768
	ds_read_b64 v[100:101], v54
	v_cndmask_b32_e64 v55, v71, v81, s[72:73]
	v_cndmask_b32_e64 v54, v70, v80, s[72:73]
	;; [unrolled: 1-line block ×4, first 2 shown]
	s_waitcnt lgkmcnt(0)
	v_cndmask_b32_e64 v118, v101, v69, s[12:13]
	v_cndmask_b32_e64 v117, v100, v68, s[12:13]
	;; [unrolled: 1-line block ×5, first 2 shown]
	v_cmp_le_i64_e64 s[58:59], v[128:129], v[117:118]
	v_cndmask_b32_e64 v100, v131, v130, s[12:13]
	v_cmp_lt_u32_e64 s[60:61], v101, v115
	v_cmp_ge_u32_e64 s[56:57], v100, v116
	s_and_b64 s[58:59], s[60:61], s[58:59]
	s_or_b64 s[56:57], s[56:57], s[58:59]
	v_cndmask_b32_e64 v70, v100, v101, s[56:57]
	v_cndmask_b32_e64 v71, v116, v115, s[56:57]
	v_lshl_add_u32 v80, v70, 3, v30
	v_add_u32_e32 v119, 1, v70
	v_add_u32_e32 v70, -1, v71
	v_min_u32_e32 v70, v119, v70
	v_lshl_add_u32 v70, v70, 3, v30
	ds_read_b64 v[84:85], v80 offset:32768
	ds_read_b64 v[70:71], v70
	v_cndmask_b32_e64 v83, v11, v15, s[8:9]
	v_cndmask_b32_e64 v82, v10, v14, s[8:9]
	;; [unrolled: 1-line block ×4, first 2 shown]
	s_waitcnt lgkmcnt(0)
	v_cndmask_b32_e64 v11, v71, v118, s[56:57]
	v_cndmask_b32_e64 v10, v70, v117, s[56:57]
	;; [unrolled: 1-line block ×4, first 2 shown]
	v_cmp_le_i64_e64 s[58:59], v[14:15], v[10:11]
	v_cndmask_b32_e64 v80, v86, v96, s[76:77]
	v_cndmask_b32_e64 v96, v119, v100, s[56:57]
	v_cmp_lt_u32_e64 s[60:61], v97, v115
	v_cmp_ge_u32_e64 s[8:9], v96, v116
	s_and_b64 s[58:59], s[60:61], s[58:59]
	s_or_b64 s[8:9], s[8:9], s[58:59]
	v_cndmask_b32_e64 v70, v96, v97, s[8:9]
	v_cndmask_b32_e64 v71, v116, v115, s[8:9]
	v_lshl_add_u32 v86, v70, 3, v30
	v_add_u32_e32 v119, 1, v70
	v_add_u32_e32 v70, -1, v71
	v_min_u32_e32 v70, v119, v70
	v_lshl_add_u32 v70, v70, 3, v30
	ds_read_b64 v[100:101], v86 offset:32768
	ds_read_b64 v[70:71], v70
	v_cndmask_b32_e64 v87, v99, v103, s[46:47]
	v_cndmask_b32_e64 v86, v98, v102, s[46:47]
	;; [unrolled: 1-line block ×4, first 2 shown]
	s_waitcnt lgkmcnt(0)
	v_cndmask_b32_e64 v113, v71, v11, s[8:9]
	v_cndmask_b32_e64 v112, v70, v10, s[8:9]
	;; [unrolled: 1-line block ×6, first 2 shown]
	v_cmp_le_i64_e64 s[46:47], v[130:131], v[112:113]
	v_cmp_lt_u32_e64 s[58:59], v119, v115
	v_cmp_ge_u32_e64 s[12:13], v132, v116
	s_and_b64 s[46:47], s[58:59], s[46:47]
	s_or_b64 s[12:13], s[12:13], s[46:47]
	v_cndmask_b32_e64 v68, v132, v119, s[12:13]
	v_cndmask_b32_e64 v69, v116, v115, s[12:13]
	v_lshl_add_u32 v70, v68, 3, v30
	v_add_u32_e32 v133, 1, v68
	v_add_u32_e32 v68, -1, v69
	v_min_u32_e32 v68, v133, v68
	v_lshl_add_u32 v68, v68, 3, v30
	ds_read_b64 v[70:71], v70 offset:32768
	ds_read_b64 v[102:103], v68
	v_cndmask_b32_e64 v69, v11, v15, s[8:9]
	v_cndmask_b32_e64 v68, v10, v14, s[8:9]
	;; [unrolled: 1-line block ×4, first 2 shown]
	s_waitcnt lgkmcnt(0)
	v_cndmask_b32_e64 v11, v103, v113, s[12:13]
	v_cndmask_b32_e64 v10, v102, v112, s[12:13]
	;; [unrolled: 1-line block ×5, first 2 shown]
	v_cmp_le_i64_e64 s[46:47], v[14:15], v[10:11]
	v_cndmask_b32_e64 v102, v133, v132, s[12:13]
	v_cmp_lt_u32_e64 s[56:57], v103, v115
	v_cmp_ge_u32_e64 s[8:9], v102, v116
	s_and_b64 s[46:47], s[56:57], s[46:47]
	s_or_b64 s[8:9], s[8:9], s[46:47]
	v_cndmask_b32_e64 v102, v102, v103, s[8:9]
	v_lshl_add_u32 v102, v102, 3, v30
	ds_read_b64 v[102:103], v102 offset:32768
	v_cndmask_b32_e64 v113, v113, v131, s[12:13]
	v_cndmask_b32_e64 v112, v112, v130, s[12:13]
	;; [unrolled: 1-line block ×4, first 2 shown]
.LBB821_586:
	s_or_b64 exec, exec, s[92:93]
	v_add_u32_e32 v10, 0x8000, v114
	; wave barrier
	ds_write2_b64 v114, v[12:13], v[28:29] offset1:1
	ds_write2_b64 v10, v[0:1], v[4:5] offset1:1
	v_add_u32_e32 v10, 0x8010, v114
	ds_write2_b64 v114, v[34:35], v[36:37] offset0:2 offset1:3
	ds_write2_b64 v10, v[16:17], v[18:19] offset1:1
	v_add_u32_e32 v10, 0x8020, v114
	ds_write2_b64 v114, v[48:49], v[50:51] offset0:4 offset1:5
	;; [unrolled: 3-line block ×7, first 2 shown]
	s_waitcnt lgkmcnt(14)
	ds_write2_b64 v10, v[70:71], v[102:103] offset1:1
	v_and_b32_e32 v10, 0x7c0, v151
	v_or_b32_e32 v11, 32, v10
	v_min_u32_e32 v115, v31, v11
	v_add_u32_e32 v11, 32, v115
	v_min_u32_e32 v116, v31, v11
	v_and_b32_e32 v11, 48, v151
	v_min_u32_e32 v11, v31, v11
	v_sub_u32_e32 v119, v115, v10
	v_sub_u32_e32 v118, v116, v115
	v_sub_u32_e64 v118, v11, v118 clamp
	v_min_u32_e32 v119, v11, v119
	v_lshl_add_u32 v117, v10, 3, v30
	v_cmp_lt_u32_e64 s[8:9], v118, v119
	; wave barrier
	s_and_saveexec_b64 s[12:13], s[8:9]
	s_cbranch_execz .LBB821_590
; %bb.587:
	v_lshlrev_b32_e32 v128, 3, v115
	v_lshlrev_b32_e32 v129, 3, v11
	v_add3_u32 v128, v30, v128, v129
	s_mov_b64 s[46:47], 0
.LBB821_588:                            ; =>This Inner Loop Header: Depth=1
	v_add_u32_e32 v129, v119, v118
	v_lshrrev_b32_e32 v133, 1, v129
	v_not_b32_e32 v129, v133
	v_lshl_add_u32 v130, v133, 3, v117
	v_lshl_add_u32 v131, v129, 3, v128
	ds_read_b64 v[129:130], v130
	ds_read_b64 v[131:132], v131
	v_add_u32_e32 v134, 1, v133
	s_waitcnt lgkmcnt(0)
	v_cmp_gt_i64_e64 s[8:9], v[129:130], v[131:132]
	v_cndmask_b32_e64 v119, v119, v133, s[8:9]
	v_cndmask_b32_e64 v118, v134, v118, s[8:9]
	v_cmp_ge_u32_e64 s[8:9], v118, v119
	s_or_b64 s[46:47], s[8:9], s[46:47]
	s_andn2_b64 exec, exec, s[46:47]
	s_cbranch_execnz .LBB821_588
; %bb.589:
	s_or_b64 exec, exec, s[46:47]
.LBB821_590:
	s_or_b64 exec, exec, s[12:13]
	v_add_u32_e32 v119, v118, v10
	v_add_u32_e32 v10, v115, v11
	v_sub_u32_e32 v128, v10, v118
	v_cmp_le_u32_e64 s[8:9], v119, v115
	v_cmp_le_u32_e64 s[12:13], v128, v116
	s_or_b64 s[8:9], s[8:9], s[12:13]
	s_and_saveexec_b64 s[92:93], s[8:9]
	s_cbranch_execz .LBB821_596
; %bb.591:
	v_cmp_lt_u32_e64 s[8:9], v119, v115
                                        ; implicit-def: $vgpr10_vgpr11
	s_and_saveexec_b64 s[12:13], s[8:9]
; %bb.592:
	v_lshl_add_u32 v0, v118, 3, v117
	ds_read_b64 v[10:11], v0
; %bb.593:
	s_or_b64 exec, exec, s[12:13]
	v_cmp_ge_u32_e64 s[46:47], v128, v116
	v_cmp_lt_u32_e64 s[12:13], v128, v116
                                        ; implicit-def: $vgpr12_vgpr13
	s_and_saveexec_b64 s[56:57], s[12:13]
; %bb.594:
	v_lshl_add_u32 v0, v128, 3, v30
	ds_read_b64 v[12:13], v0
; %bb.595:
	s_or_b64 exec, exec, s[56:57]
	s_waitcnt lgkmcnt(0)
	v_cmp_le_i64_e64 s[12:13], v[10:11], v[12:13]
	s_and_b64 s[8:9], s[8:9], s[12:13]
	s_or_b64 s[8:9], s[46:47], s[8:9]
	v_cndmask_b32_e64 v4, v128, v119, s[8:9]
	v_cndmask_b32_e64 v0, v116, v115, s[8:9]
	v_add_u32_e32 v5, 1, v4
	v_add_u32_e32 v0, -1, v0
	v_min_u32_e32 v0, v5, v0
	v_lshl_add_u32 v0, v0, 3, v30
	ds_read_b64 v[0:1], v0
	v_cndmask_b32_e64 v16, v5, v128, s[8:9]
	v_cndmask_b32_e64 v5, v119, v5, s[8:9]
	v_cmp_lt_u32_e64 s[56:57], v5, v115
	v_cmp_ge_u32_e64 s[12:13], v16, v116
	s_waitcnt lgkmcnt(0)
	v_cndmask_b32_e64 v15, v1, v13, s[8:9]
	v_cndmask_b32_e64 v14, v0, v12, s[8:9]
	v_cndmask_b32_e64 v29, v11, v1, s[8:9]
	v_cndmask_b32_e64 v28, v10, v0, s[8:9]
	v_cmp_le_i64_e64 s[46:47], v[28:29], v[14:15]
	v_cndmask_b32_e64 v13, v13, v11, s[8:9]
	s_and_b64 s[46:47], s[56:57], s[46:47]
	s_or_b64 s[56:57], s[12:13], s[46:47]
	v_cndmask_b32_e64 v18, v16, v5, s[56:57]
	v_cndmask_b32_e64 v0, v116, v115, s[56:57]
	v_add_u32_e32 v17, 1, v18
	v_add_u32_e32 v0, -1, v0
	v_min_u32_e32 v0, v17, v0
	v_lshl_add_u32 v0, v0, 3, v30
	ds_read_b64 v[0:1], v0
	v_cndmask_b32_e64 v5, v5, v17, s[56:57]
	v_cndmask_b32_e64 v16, v17, v16, s[56:57]
	v_cmp_lt_u32_e64 s[58:59], v5, v115
	v_cmp_ge_u32_e64 s[12:13], v16, v116
	s_waitcnt lgkmcnt(0)
	v_cndmask_b32_e64 v35, v1, v15, s[56:57]
	v_cndmask_b32_e64 v34, v0, v14, s[56:57]
	v_cndmask_b32_e64 v37, v29, v1, s[56:57]
	v_cndmask_b32_e64 v36, v28, v0, s[56:57]
	v_cmp_le_i64_e64 s[46:47], v[36:37], v[34:35]
	v_cndmask_b32_e64 v12, v12, v10, s[8:9]
	;; [unrolled: 20-line block ×4, first 2 shown]
	s_and_b64 s[58:59], s[62:63], s[58:59]
	s_or_b64 s[58:59], s[12:13], s[58:59]
	v_cndmask_b32_e64 v23, v20, v21, s[58:59]
	v_cndmask_b32_e64 v0, v116, v115, s[58:59]
	v_add_u32_e32 v24, 1, v23
	v_add_u32_e32 v0, -1, v0
	v_min_u32_e32 v0, v24, v0
	v_lshl_add_u32 v0, v0, 3, v30
	ds_read_b64 v[16:17], v0
	v_cndmask_b32_e64 v25, v24, v20, s[58:59]
	v_cndmask_b32_e64 v24, v21, v24, s[58:59]
	v_cmp_lt_u32_e64 s[72:73], v24, v115
	v_cmp_ge_u32_e64 s[12:13], v25, v116
	s_waitcnt lgkmcnt(0)
	v_cndmask_b32_e64 v67, v17, v55, s[58:59]
	v_cndmask_b32_e64 v66, v16, v54, s[58:59]
	v_cndmask_b32_e64 v69, v65, v17, s[58:59]
	v_cndmask_b32_e64 v68, v64, v16, s[58:59]
	v_cmp_le_i64_e64 s[62:63], v[68:69], v[66:67]
	v_lshl_add_u32 v0, v4, 3, v30
	s_and_b64 s[62:63], s[72:73], s[62:63]
	s_or_b64 s[62:63], s[12:13], s[62:63]
	v_cndmask_b32_e64 v26, v25, v24, s[62:63]
	v_cndmask_b32_e64 v16, v116, v115, s[62:63]
	v_add_u32_e32 v27, 1, v26
	v_add_u32_e32 v16, -1, v16
	v_min_u32_e32 v16, v27, v16
	v_lshl_add_u32 v16, v16, 3, v30
	ds_read_b64 v[20:21], v16
	v_cndmask_b32_e64 v32, v27, v25, s[62:63]
	v_cndmask_b32_e64 v27, v24, v27, s[62:63]
	v_cmp_lt_u32_e64 s[74:75], v27, v115
	v_cmp_ge_u32_e64 s[12:13], v32, v116
	s_waitcnt lgkmcnt(0)
	v_cndmask_b32_e64 v71, v21, v67, s[62:63]
	v_cndmask_b32_e64 v70, v20, v66, s[62:63]
	v_cndmask_b32_e64 v81, v69, v21, s[62:63]
	v_cndmask_b32_e64 v80, v68, v20, s[62:63]
	v_cmp_le_i64_e64 s[72:73], v[80:81], v[70:71]
	v_lshl_add_u32 v4, v18, 3, v30
	;; [unrolled: 20-line block ×3, first 2 shown]
	s_and_b64 s[74:75], s[76:77], s[74:75]
	s_or_b64 s[74:75], s[12:13], s[74:75]
	v_lshl_add_u32 v22, v26, 3, v30
	v_cndmask_b32_e64 v26, v39, v52, s[74:75]
	v_cndmask_b32_e64 v24, v116, v115, s[74:75]
	v_add_u32_e32 v53, 1, v26
	v_add_u32_e32 v24, -1, v24
	v_min_u32_e32 v24, v53, v24
	v_lshl_add_u32 v24, v24, 3, v30
	ds_read_b64 v[32:33], v24
	v_cndmask_b32_e64 v52, v52, v53, s[74:75]
	v_cndmask_b32_e64 v98, v53, v39, s[74:75]
	v_cmp_lt_u32_e64 s[78:79], v52, v115
	v_cmp_ge_u32_e64 s[12:13], v98, v116
	s_waitcnt lgkmcnt(0)
	v_cndmask_b32_e64 v87, v33, v83, s[74:75]
	v_cndmask_b32_e64 v86, v32, v82, s[74:75]
	v_cndmask_b32_e64 v97, v85, v33, s[74:75]
	v_cndmask_b32_e64 v96, v84, v32, s[74:75]
	v_cmp_le_i64_e64 s[76:77], v[96:97], v[86:87]
	v_lshl_add_u32 v24, v38, 3, v30
	s_and_b64 s[76:77], s[78:79], s[76:77]
	s_or_b64 s[76:77], s[12:13], s[76:77]
	v_cndmask_b32_e64 v32, v98, v52, s[76:77]
	v_cndmask_b32_e64 v33, v116, v115, s[76:77]
	v_lshl_add_u32 v38, v32, 3, v30
	v_add_u32_e32 v53, 1, v32
	v_add_u32_e32 v32, -1, v33
	v_min_u32_e32 v32, v53, v32
	v_lshl_add_u32 v16, v19, 3, v30
	v_lshl_add_u32 v20, v23, 3, v30
	;; [unrolled: 1-line block ×4, first 2 shown]
	ds_read_b64 v[0:1], v0 offset:32768
	ds_read_b64 v[4:5], v4 offset:32768
	;; [unrolled: 1-line block ×9, first 2 shown]
	ds_read_b64 v[38:39], v39
	v_cndmask_b32_e64 v101, v52, v53, s[76:77]
	v_cndmask_b32_e64 v100, v53, v98, s[76:77]
	v_cmp_lt_u32_e64 s[56:57], v101, v115
	v_cmp_ge_u32_e64 s[8:9], v100, v116
	s_waitcnt lgkmcnt(0)
	v_cndmask_b32_e64 v11, v39, v87, s[76:77]
	v_cndmask_b32_e64 v10, v38, v86, s[76:77]
	;; [unrolled: 1-line block ×4, first 2 shown]
	v_cmp_le_i64_e64 s[12:13], v[14:15], v[10:11]
	v_cndmask_b32_e64 v35, v35, v37, s[46:47]
	s_and_b64 s[12:13], s[56:57], s[12:13]
	s_or_b64 s[8:9], s[8:9], s[12:13]
	v_cndmask_b32_e64 v38, v100, v101, s[8:9]
	v_cndmask_b32_e64 v39, v116, v115, s[8:9]
	v_lshl_add_u32 v52, v38, 3, v30
	v_add_u32_e32 v112, 1, v38
	v_add_u32_e32 v38, -1, v39
	v_min_u32_e32 v38, v112, v38
	v_lshl_add_u32 v53, v38, 3, v30
	ds_read_b64 v[38:39], v52 offset:32768
	ds_read_b64 v[52:53], v53
	v_cndmask_b32_e64 v34, v34, v36, s[46:47]
	v_cndmask_b32_e64 v118, v101, v112, s[8:9]
	;; [unrolled: 1-line block ×3, first 2 shown]
	v_cmp_lt_u32_e64 s[56:57], v118, v115
	s_waitcnt lgkmcnt(0)
	v_cndmask_b32_e64 v99, v53, v11, s[8:9]
	v_cndmask_b32_e64 v98, v52, v10, s[8:9]
	;; [unrolled: 1-line block ×4, first 2 shown]
	v_cmp_le_i64_e64 s[46:47], v[102:103], v[98:99]
	v_cmp_ge_u32_e64 s[12:13], v117, v116
	s_and_b64 s[46:47], s[56:57], s[46:47]
	s_or_b64 s[46:47], s[12:13], s[46:47]
	v_cndmask_b32_e64 v37, v49, v51, s[60:61]
	v_cndmask_b32_e64 v36, v48, v50, s[60:61]
	;; [unrolled: 1-line block ×4, first 2 shown]
	v_lshl_add_u32 v50, v48, 3, v30
	v_add_u32_e32 v119, 1, v48
	v_add_u32_e32 v48, -1, v49
	v_min_u32_e32 v48, v119, v48
	v_lshl_add_u32 v48, v48, 3, v30
	ds_read_b64 v[52:53], v50 offset:32768
	ds_read_b64 v[100:101], v48
	v_cndmask_b32_e64 v51, v67, v69, s[62:63]
	v_cndmask_b32_e64 v50, v66, v68, s[62:63]
	;; [unrolled: 1-line block ×4, first 2 shown]
	s_waitcnt lgkmcnt(0)
	v_cndmask_b32_e64 v69, v101, v99, s[46:47]
	v_cndmask_b32_e64 v68, v100, v98, s[46:47]
	;; [unrolled: 1-line block ×4, first 2 shown]
	v_cmp_le_i64_e64 s[56:57], v[112:113], v[68:69]
	v_cndmask_b32_e64 v49, v55, v65, s[58:59]
	v_cndmask_b32_e64 v48, v54, v64, s[58:59]
	v_cmp_lt_u32_e64 s[58:59], v119, v115
	v_cmp_ge_u32_e64 s[12:13], v130, v116
	s_and_b64 s[56:57], s[58:59], s[56:57]
	s_or_b64 s[12:13], s[12:13], s[56:57]
	v_cndmask_b32_e64 v54, v130, v119, s[12:13]
	v_cndmask_b32_e64 v55, v116, v115, s[12:13]
	v_lshl_add_u32 v64, v54, 3, v30
	v_add_u32_e32 v131, 1, v54
	v_add_u32_e32 v54, -1, v55
	v_min_u32_e32 v54, v131, v54
	v_lshl_add_u32 v54, v54, 3, v30
	ds_read_b64 v[66:67], v64 offset:32768
	ds_read_b64 v[100:101], v54
	v_cndmask_b32_e64 v55, v71, v81, s[72:73]
	v_cndmask_b32_e64 v54, v70, v80, s[72:73]
	;; [unrolled: 1-line block ×4, first 2 shown]
	s_waitcnt lgkmcnt(0)
	v_cndmask_b32_e64 v118, v101, v69, s[12:13]
	v_cndmask_b32_e64 v117, v100, v68, s[12:13]
	;; [unrolled: 1-line block ×5, first 2 shown]
	v_cmp_le_i64_e64 s[58:59], v[128:129], v[117:118]
	v_cndmask_b32_e64 v100, v131, v130, s[12:13]
	v_cmp_lt_u32_e64 s[60:61], v101, v115
	v_cmp_ge_u32_e64 s[56:57], v100, v116
	s_and_b64 s[58:59], s[60:61], s[58:59]
	s_or_b64 s[56:57], s[56:57], s[58:59]
	v_cndmask_b32_e64 v70, v100, v101, s[56:57]
	v_cndmask_b32_e64 v71, v116, v115, s[56:57]
	v_lshl_add_u32 v80, v70, 3, v30
	v_add_u32_e32 v119, 1, v70
	v_add_u32_e32 v70, -1, v71
	v_min_u32_e32 v70, v119, v70
	v_lshl_add_u32 v70, v70, 3, v30
	ds_read_b64 v[84:85], v80 offset:32768
	ds_read_b64 v[70:71], v70
	v_cndmask_b32_e64 v83, v11, v15, s[8:9]
	v_cndmask_b32_e64 v82, v10, v14, s[8:9]
	;; [unrolled: 1-line block ×4, first 2 shown]
	s_waitcnt lgkmcnt(0)
	v_cndmask_b32_e64 v11, v71, v118, s[56:57]
	v_cndmask_b32_e64 v10, v70, v117, s[56:57]
	;; [unrolled: 1-line block ×4, first 2 shown]
	v_cmp_le_i64_e64 s[58:59], v[14:15], v[10:11]
	v_cndmask_b32_e64 v80, v86, v96, s[76:77]
	v_cndmask_b32_e64 v96, v119, v100, s[56:57]
	v_cmp_lt_u32_e64 s[60:61], v97, v115
	v_cmp_ge_u32_e64 s[8:9], v96, v116
	s_and_b64 s[58:59], s[60:61], s[58:59]
	s_or_b64 s[8:9], s[8:9], s[58:59]
	v_cndmask_b32_e64 v70, v96, v97, s[8:9]
	v_cndmask_b32_e64 v71, v116, v115, s[8:9]
	v_lshl_add_u32 v86, v70, 3, v30
	v_add_u32_e32 v119, 1, v70
	v_add_u32_e32 v70, -1, v71
	v_min_u32_e32 v70, v119, v70
	v_lshl_add_u32 v70, v70, 3, v30
	ds_read_b64 v[100:101], v86 offset:32768
	ds_read_b64 v[70:71], v70
	v_cndmask_b32_e64 v87, v99, v103, s[46:47]
	v_cndmask_b32_e64 v86, v98, v102, s[46:47]
	;; [unrolled: 1-line block ×4, first 2 shown]
	s_waitcnt lgkmcnt(0)
	v_cndmask_b32_e64 v113, v71, v11, s[8:9]
	v_cndmask_b32_e64 v112, v70, v10, s[8:9]
	;; [unrolled: 1-line block ×6, first 2 shown]
	v_cmp_le_i64_e64 s[46:47], v[130:131], v[112:113]
	v_cmp_lt_u32_e64 s[58:59], v119, v115
	v_cmp_ge_u32_e64 s[12:13], v132, v116
	s_and_b64 s[46:47], s[58:59], s[46:47]
	s_or_b64 s[12:13], s[12:13], s[46:47]
	v_cndmask_b32_e64 v68, v132, v119, s[12:13]
	v_cndmask_b32_e64 v69, v116, v115, s[12:13]
	v_lshl_add_u32 v70, v68, 3, v30
	v_add_u32_e32 v133, 1, v68
	v_add_u32_e32 v68, -1, v69
	v_min_u32_e32 v68, v133, v68
	v_lshl_add_u32 v68, v68, 3, v30
	ds_read_b64 v[70:71], v70 offset:32768
	ds_read_b64 v[102:103], v68
	v_cndmask_b32_e64 v69, v11, v15, s[8:9]
	v_cndmask_b32_e64 v68, v10, v14, s[8:9]
	;; [unrolled: 1-line block ×4, first 2 shown]
	s_waitcnt lgkmcnt(0)
	v_cndmask_b32_e64 v11, v103, v113, s[12:13]
	v_cndmask_b32_e64 v10, v102, v112, s[12:13]
	;; [unrolled: 1-line block ×5, first 2 shown]
	v_cmp_le_i64_e64 s[46:47], v[14:15], v[10:11]
	v_cndmask_b32_e64 v102, v133, v132, s[12:13]
	v_cmp_lt_u32_e64 s[56:57], v103, v115
	v_cmp_ge_u32_e64 s[8:9], v102, v116
	s_and_b64 s[46:47], s[56:57], s[46:47]
	s_or_b64 s[8:9], s[8:9], s[46:47]
	v_cndmask_b32_e64 v102, v102, v103, s[8:9]
	v_lshl_add_u32 v102, v102, 3, v30
	ds_read_b64 v[102:103], v102 offset:32768
	v_cndmask_b32_e64 v113, v113, v131, s[12:13]
	v_cndmask_b32_e64 v112, v112, v130, s[12:13]
	;; [unrolled: 1-line block ×4, first 2 shown]
.LBB821_596:
	s_or_b64 exec, exec, s[92:93]
	v_add_u32_e32 v10, 0x8000, v114
	; wave barrier
	ds_write2_b64 v114, v[12:13], v[28:29] offset1:1
	ds_write2_b64 v10, v[0:1], v[4:5] offset1:1
	v_add_u32_e32 v10, 0x8010, v114
	ds_write2_b64 v114, v[34:35], v[36:37] offset0:2 offset1:3
	ds_write2_b64 v10, v[16:17], v[18:19] offset1:1
	v_add_u32_e32 v10, 0x8020, v114
	ds_write2_b64 v114, v[48:49], v[50:51] offset0:4 offset1:5
	;; [unrolled: 3-line block ×7, first 2 shown]
	s_waitcnt lgkmcnt(14)
	ds_write2_b64 v10, v[70:71], v[102:103] offset1:1
	v_and_b32_e32 v10, 0x780, v151
	v_or_b32_e32 v11, 64, v10
	v_min_u32_e32 v115, v31, v11
	v_add_u32_e32 v11, 64, v115
	v_min_u32_e32 v116, v31, v11
	v_and_b32_e32 v11, 0x70, v151
	v_min_u32_e32 v11, v31, v11
	v_sub_u32_e32 v119, v115, v10
	v_sub_u32_e32 v118, v116, v115
	v_sub_u32_e64 v118, v11, v118 clamp
	v_min_u32_e32 v119, v11, v119
	v_lshl_add_u32 v117, v10, 3, v30
	v_cmp_lt_u32_e64 s[8:9], v118, v119
	; wave barrier
	s_and_saveexec_b64 s[12:13], s[8:9]
	s_cbranch_execz .LBB821_600
; %bb.597:
	v_lshlrev_b32_e32 v128, 3, v115
	v_lshlrev_b32_e32 v129, 3, v11
	v_add3_u32 v128, v30, v128, v129
	s_mov_b64 s[46:47], 0
.LBB821_598:                            ; =>This Inner Loop Header: Depth=1
	v_add_u32_e32 v129, v119, v118
	v_lshrrev_b32_e32 v133, 1, v129
	v_not_b32_e32 v129, v133
	v_lshl_add_u32 v130, v133, 3, v117
	v_lshl_add_u32 v131, v129, 3, v128
	ds_read_b64 v[129:130], v130
	ds_read_b64 v[131:132], v131
	v_add_u32_e32 v134, 1, v133
	s_waitcnt lgkmcnt(0)
	v_cmp_gt_i64_e64 s[8:9], v[129:130], v[131:132]
	v_cndmask_b32_e64 v119, v119, v133, s[8:9]
	v_cndmask_b32_e64 v118, v134, v118, s[8:9]
	v_cmp_ge_u32_e64 s[8:9], v118, v119
	s_or_b64 s[46:47], s[8:9], s[46:47]
	s_andn2_b64 exec, exec, s[46:47]
	s_cbranch_execnz .LBB821_598
; %bb.599:
	s_or_b64 exec, exec, s[46:47]
.LBB821_600:
	s_or_b64 exec, exec, s[12:13]
	v_add_u32_e32 v119, v118, v10
	v_add_u32_e32 v10, v115, v11
	v_sub_u32_e32 v128, v10, v118
	v_cmp_le_u32_e64 s[8:9], v119, v115
	v_cmp_le_u32_e64 s[12:13], v128, v116
	s_or_b64 s[8:9], s[8:9], s[12:13]
	s_and_saveexec_b64 s[92:93], s[8:9]
	s_cbranch_execz .LBB821_606
; %bb.601:
	v_cmp_lt_u32_e64 s[8:9], v119, v115
                                        ; implicit-def: $vgpr10_vgpr11
	s_and_saveexec_b64 s[12:13], s[8:9]
; %bb.602:
	v_lshl_add_u32 v0, v118, 3, v117
	ds_read_b64 v[10:11], v0
; %bb.603:
	s_or_b64 exec, exec, s[12:13]
	v_cmp_ge_u32_e64 s[46:47], v128, v116
	v_cmp_lt_u32_e64 s[12:13], v128, v116
                                        ; implicit-def: $vgpr12_vgpr13
	s_and_saveexec_b64 s[56:57], s[12:13]
; %bb.604:
	v_lshl_add_u32 v0, v128, 3, v30
	ds_read_b64 v[12:13], v0
; %bb.605:
	s_or_b64 exec, exec, s[56:57]
	s_waitcnt lgkmcnt(0)
	v_cmp_le_i64_e64 s[12:13], v[10:11], v[12:13]
	s_and_b64 s[8:9], s[8:9], s[12:13]
	s_or_b64 s[8:9], s[46:47], s[8:9]
	v_cndmask_b32_e64 v4, v128, v119, s[8:9]
	v_cndmask_b32_e64 v0, v116, v115, s[8:9]
	v_add_u32_e32 v5, 1, v4
	v_add_u32_e32 v0, -1, v0
	v_min_u32_e32 v0, v5, v0
	v_lshl_add_u32 v0, v0, 3, v30
	ds_read_b64 v[0:1], v0
	v_cndmask_b32_e64 v16, v5, v128, s[8:9]
	v_cndmask_b32_e64 v5, v119, v5, s[8:9]
	v_cmp_lt_u32_e64 s[56:57], v5, v115
	v_cmp_ge_u32_e64 s[12:13], v16, v116
	s_waitcnt lgkmcnt(0)
	v_cndmask_b32_e64 v15, v1, v13, s[8:9]
	v_cndmask_b32_e64 v14, v0, v12, s[8:9]
	v_cndmask_b32_e64 v29, v11, v1, s[8:9]
	v_cndmask_b32_e64 v28, v10, v0, s[8:9]
	v_cmp_le_i64_e64 s[46:47], v[28:29], v[14:15]
	v_cndmask_b32_e64 v13, v13, v11, s[8:9]
	s_and_b64 s[46:47], s[56:57], s[46:47]
	s_or_b64 s[56:57], s[12:13], s[46:47]
	v_cndmask_b32_e64 v18, v16, v5, s[56:57]
	v_cndmask_b32_e64 v0, v116, v115, s[56:57]
	v_add_u32_e32 v17, 1, v18
	v_add_u32_e32 v0, -1, v0
	v_min_u32_e32 v0, v17, v0
	v_lshl_add_u32 v0, v0, 3, v30
	ds_read_b64 v[0:1], v0
	v_cndmask_b32_e64 v5, v5, v17, s[56:57]
	v_cndmask_b32_e64 v16, v17, v16, s[56:57]
	v_cmp_lt_u32_e64 s[58:59], v5, v115
	v_cmp_ge_u32_e64 s[12:13], v16, v116
	s_waitcnt lgkmcnt(0)
	v_cndmask_b32_e64 v35, v1, v15, s[56:57]
	v_cndmask_b32_e64 v34, v0, v14, s[56:57]
	v_cndmask_b32_e64 v37, v29, v1, s[56:57]
	v_cndmask_b32_e64 v36, v28, v0, s[56:57]
	v_cmp_le_i64_e64 s[46:47], v[36:37], v[34:35]
	v_cndmask_b32_e64 v12, v12, v10, s[8:9]
	;; [unrolled: 20-line block ×4, first 2 shown]
	s_and_b64 s[58:59], s[62:63], s[58:59]
	s_or_b64 s[58:59], s[12:13], s[58:59]
	v_cndmask_b32_e64 v23, v20, v21, s[58:59]
	v_cndmask_b32_e64 v0, v116, v115, s[58:59]
	v_add_u32_e32 v24, 1, v23
	v_add_u32_e32 v0, -1, v0
	v_min_u32_e32 v0, v24, v0
	v_lshl_add_u32 v0, v0, 3, v30
	ds_read_b64 v[16:17], v0
	v_cndmask_b32_e64 v25, v24, v20, s[58:59]
	v_cndmask_b32_e64 v24, v21, v24, s[58:59]
	v_cmp_lt_u32_e64 s[72:73], v24, v115
	v_cmp_ge_u32_e64 s[12:13], v25, v116
	s_waitcnt lgkmcnt(0)
	v_cndmask_b32_e64 v67, v17, v55, s[58:59]
	v_cndmask_b32_e64 v66, v16, v54, s[58:59]
	v_cndmask_b32_e64 v69, v65, v17, s[58:59]
	v_cndmask_b32_e64 v68, v64, v16, s[58:59]
	v_cmp_le_i64_e64 s[62:63], v[68:69], v[66:67]
	v_lshl_add_u32 v0, v4, 3, v30
	s_and_b64 s[62:63], s[72:73], s[62:63]
	s_or_b64 s[62:63], s[12:13], s[62:63]
	v_cndmask_b32_e64 v26, v25, v24, s[62:63]
	v_cndmask_b32_e64 v16, v116, v115, s[62:63]
	v_add_u32_e32 v27, 1, v26
	v_add_u32_e32 v16, -1, v16
	v_min_u32_e32 v16, v27, v16
	v_lshl_add_u32 v16, v16, 3, v30
	ds_read_b64 v[20:21], v16
	v_cndmask_b32_e64 v32, v27, v25, s[62:63]
	v_cndmask_b32_e64 v27, v24, v27, s[62:63]
	v_cmp_lt_u32_e64 s[74:75], v27, v115
	v_cmp_ge_u32_e64 s[12:13], v32, v116
	s_waitcnt lgkmcnt(0)
	v_cndmask_b32_e64 v71, v21, v67, s[62:63]
	v_cndmask_b32_e64 v70, v20, v66, s[62:63]
	v_cndmask_b32_e64 v81, v69, v21, s[62:63]
	v_cndmask_b32_e64 v80, v68, v20, s[62:63]
	v_cmp_le_i64_e64 s[72:73], v[80:81], v[70:71]
	v_lshl_add_u32 v4, v18, 3, v30
	s_and_b64 s[72:73], s[74:75], s[72:73]
	s_or_b64 s[72:73], s[12:13], s[72:73]
	v_cndmask_b32_e64 v38, v32, v27, s[72:73]
	v_cndmask_b32_e64 v20, v116, v115, s[72:73]
	v_add_u32_e32 v33, 1, v38
	v_add_u32_e32 v20, -1, v20
	v_min_u32_e32 v20, v33, v20
	v_lshl_add_u32 v20, v20, 3, v30
	ds_read_b64 v[24:25], v20
	v_cndmask_b32_e64 v52, v27, v33, s[72:73]
	v_cndmask_b32_e64 v39, v33, v32, s[72:73]
	v_cmp_lt_u32_e64 s[76:77], v52, v115
	v_cmp_ge_u32_e64 s[12:13], v39, v116
	s_waitcnt lgkmcnt(0)
	v_cndmask_b32_e64 v83, v25, v71, s[72:73]
	v_cndmask_b32_e64 v82, v24, v70, s[72:73]
	v_cndmask_b32_e64 v85, v81, v25, s[72:73]
	v_cndmask_b32_e64 v84, v80, v24, s[72:73]
	v_cmp_le_i64_e64 s[74:75], v[84:85], v[82:83]
	v_lshl_add_u32 v18, v22, 3, v30
	s_and_b64 s[74:75], s[76:77], s[74:75]
	s_or_b64 s[74:75], s[12:13], s[74:75]
	v_lshl_add_u32 v22, v26, 3, v30
	v_cndmask_b32_e64 v26, v39, v52, s[74:75]
	v_cndmask_b32_e64 v24, v116, v115, s[74:75]
	v_add_u32_e32 v53, 1, v26
	v_add_u32_e32 v24, -1, v24
	v_min_u32_e32 v24, v53, v24
	v_lshl_add_u32 v24, v24, 3, v30
	ds_read_b64 v[32:33], v24
	v_cndmask_b32_e64 v52, v52, v53, s[74:75]
	v_cndmask_b32_e64 v98, v53, v39, s[74:75]
	v_cmp_lt_u32_e64 s[78:79], v52, v115
	v_cmp_ge_u32_e64 s[12:13], v98, v116
	s_waitcnt lgkmcnt(0)
	v_cndmask_b32_e64 v87, v33, v83, s[74:75]
	v_cndmask_b32_e64 v86, v32, v82, s[74:75]
	;; [unrolled: 1-line block ×4, first 2 shown]
	v_cmp_le_i64_e64 s[76:77], v[96:97], v[86:87]
	v_lshl_add_u32 v24, v38, 3, v30
	s_and_b64 s[76:77], s[78:79], s[76:77]
	s_or_b64 s[76:77], s[12:13], s[76:77]
	v_cndmask_b32_e64 v32, v98, v52, s[76:77]
	v_cndmask_b32_e64 v33, v116, v115, s[76:77]
	v_lshl_add_u32 v38, v32, 3, v30
	v_add_u32_e32 v53, 1, v32
	v_add_u32_e32 v32, -1, v33
	v_min_u32_e32 v32, v53, v32
	v_lshl_add_u32 v16, v19, 3, v30
	v_lshl_add_u32 v20, v23, 3, v30
	;; [unrolled: 1-line block ×4, first 2 shown]
	ds_read_b64 v[0:1], v0 offset:32768
	ds_read_b64 v[4:5], v4 offset:32768
	;; [unrolled: 1-line block ×9, first 2 shown]
	ds_read_b64 v[38:39], v39
	v_cndmask_b32_e64 v101, v52, v53, s[76:77]
	v_cndmask_b32_e64 v100, v53, v98, s[76:77]
	v_cmp_lt_u32_e64 s[56:57], v101, v115
	v_cmp_ge_u32_e64 s[8:9], v100, v116
	s_waitcnt lgkmcnt(0)
	v_cndmask_b32_e64 v11, v39, v87, s[76:77]
	v_cndmask_b32_e64 v10, v38, v86, s[76:77]
	v_cndmask_b32_e64 v15, v97, v39, s[76:77]
	v_cndmask_b32_e64 v14, v96, v38, s[76:77]
	v_cmp_le_i64_e64 s[12:13], v[14:15], v[10:11]
	v_cndmask_b32_e64 v35, v35, v37, s[46:47]
	s_and_b64 s[12:13], s[56:57], s[12:13]
	s_or_b64 s[8:9], s[8:9], s[12:13]
	v_cndmask_b32_e64 v38, v100, v101, s[8:9]
	v_cndmask_b32_e64 v39, v116, v115, s[8:9]
	v_lshl_add_u32 v52, v38, 3, v30
	v_add_u32_e32 v112, 1, v38
	v_add_u32_e32 v38, -1, v39
	v_min_u32_e32 v38, v112, v38
	v_lshl_add_u32 v53, v38, 3, v30
	ds_read_b64 v[38:39], v52 offset:32768
	ds_read_b64 v[52:53], v53
	v_cndmask_b32_e64 v34, v34, v36, s[46:47]
	v_cndmask_b32_e64 v118, v101, v112, s[8:9]
	v_cndmask_b32_e64 v117, v112, v100, s[8:9]
	v_cmp_lt_u32_e64 s[56:57], v118, v115
	s_waitcnt lgkmcnt(0)
	v_cndmask_b32_e64 v99, v53, v11, s[8:9]
	v_cndmask_b32_e64 v98, v52, v10, s[8:9]
	;; [unrolled: 1-line block ×4, first 2 shown]
	v_cmp_le_i64_e64 s[46:47], v[102:103], v[98:99]
	v_cmp_ge_u32_e64 s[12:13], v117, v116
	s_and_b64 s[46:47], s[56:57], s[46:47]
	s_or_b64 s[46:47], s[12:13], s[46:47]
	v_cndmask_b32_e64 v37, v49, v51, s[60:61]
	v_cndmask_b32_e64 v36, v48, v50, s[60:61]
	;; [unrolled: 1-line block ×4, first 2 shown]
	v_lshl_add_u32 v50, v48, 3, v30
	v_add_u32_e32 v119, 1, v48
	v_add_u32_e32 v48, -1, v49
	v_min_u32_e32 v48, v119, v48
	v_lshl_add_u32 v48, v48, 3, v30
	ds_read_b64 v[52:53], v50 offset:32768
	ds_read_b64 v[100:101], v48
	v_cndmask_b32_e64 v51, v67, v69, s[62:63]
	v_cndmask_b32_e64 v50, v66, v68, s[62:63]
	;; [unrolled: 1-line block ×4, first 2 shown]
	s_waitcnt lgkmcnt(0)
	v_cndmask_b32_e64 v69, v101, v99, s[46:47]
	v_cndmask_b32_e64 v68, v100, v98, s[46:47]
	;; [unrolled: 1-line block ×4, first 2 shown]
	v_cmp_le_i64_e64 s[56:57], v[112:113], v[68:69]
	v_cndmask_b32_e64 v49, v55, v65, s[58:59]
	v_cndmask_b32_e64 v48, v54, v64, s[58:59]
	v_cmp_lt_u32_e64 s[58:59], v119, v115
	v_cmp_ge_u32_e64 s[12:13], v130, v116
	s_and_b64 s[56:57], s[58:59], s[56:57]
	s_or_b64 s[12:13], s[12:13], s[56:57]
	v_cndmask_b32_e64 v54, v130, v119, s[12:13]
	v_cndmask_b32_e64 v55, v116, v115, s[12:13]
	v_lshl_add_u32 v64, v54, 3, v30
	v_add_u32_e32 v131, 1, v54
	v_add_u32_e32 v54, -1, v55
	v_min_u32_e32 v54, v131, v54
	v_lshl_add_u32 v54, v54, 3, v30
	ds_read_b64 v[66:67], v64 offset:32768
	ds_read_b64 v[100:101], v54
	v_cndmask_b32_e64 v55, v71, v81, s[72:73]
	v_cndmask_b32_e64 v54, v70, v80, s[72:73]
	;; [unrolled: 1-line block ×4, first 2 shown]
	s_waitcnt lgkmcnt(0)
	v_cndmask_b32_e64 v118, v101, v69, s[12:13]
	v_cndmask_b32_e64 v117, v100, v68, s[12:13]
	;; [unrolled: 1-line block ×5, first 2 shown]
	v_cmp_le_i64_e64 s[58:59], v[128:129], v[117:118]
	v_cndmask_b32_e64 v100, v131, v130, s[12:13]
	v_cmp_lt_u32_e64 s[60:61], v101, v115
	v_cmp_ge_u32_e64 s[56:57], v100, v116
	s_and_b64 s[58:59], s[60:61], s[58:59]
	s_or_b64 s[56:57], s[56:57], s[58:59]
	v_cndmask_b32_e64 v70, v100, v101, s[56:57]
	v_cndmask_b32_e64 v71, v116, v115, s[56:57]
	v_lshl_add_u32 v80, v70, 3, v30
	v_add_u32_e32 v119, 1, v70
	v_add_u32_e32 v70, -1, v71
	v_min_u32_e32 v70, v119, v70
	v_lshl_add_u32 v70, v70, 3, v30
	ds_read_b64 v[84:85], v80 offset:32768
	ds_read_b64 v[70:71], v70
	v_cndmask_b32_e64 v83, v11, v15, s[8:9]
	v_cndmask_b32_e64 v82, v10, v14, s[8:9]
	;; [unrolled: 1-line block ×4, first 2 shown]
	s_waitcnt lgkmcnt(0)
	v_cndmask_b32_e64 v11, v71, v118, s[56:57]
	v_cndmask_b32_e64 v10, v70, v117, s[56:57]
	;; [unrolled: 1-line block ×4, first 2 shown]
	v_cmp_le_i64_e64 s[58:59], v[14:15], v[10:11]
	v_cndmask_b32_e64 v80, v86, v96, s[76:77]
	v_cndmask_b32_e64 v96, v119, v100, s[56:57]
	v_cmp_lt_u32_e64 s[60:61], v97, v115
	v_cmp_ge_u32_e64 s[8:9], v96, v116
	s_and_b64 s[58:59], s[60:61], s[58:59]
	s_or_b64 s[8:9], s[8:9], s[58:59]
	v_cndmask_b32_e64 v70, v96, v97, s[8:9]
	v_cndmask_b32_e64 v71, v116, v115, s[8:9]
	v_lshl_add_u32 v86, v70, 3, v30
	v_add_u32_e32 v119, 1, v70
	v_add_u32_e32 v70, -1, v71
	v_min_u32_e32 v70, v119, v70
	v_lshl_add_u32 v70, v70, 3, v30
	ds_read_b64 v[100:101], v86 offset:32768
	ds_read_b64 v[70:71], v70
	v_cndmask_b32_e64 v87, v99, v103, s[46:47]
	v_cndmask_b32_e64 v86, v98, v102, s[46:47]
	;; [unrolled: 1-line block ×4, first 2 shown]
	s_waitcnt lgkmcnt(0)
	v_cndmask_b32_e64 v113, v71, v11, s[8:9]
	v_cndmask_b32_e64 v112, v70, v10, s[8:9]
	;; [unrolled: 1-line block ×6, first 2 shown]
	v_cmp_le_i64_e64 s[46:47], v[130:131], v[112:113]
	v_cmp_lt_u32_e64 s[58:59], v119, v115
	v_cmp_ge_u32_e64 s[12:13], v132, v116
	s_and_b64 s[46:47], s[58:59], s[46:47]
	s_or_b64 s[12:13], s[12:13], s[46:47]
	v_cndmask_b32_e64 v68, v132, v119, s[12:13]
	v_cndmask_b32_e64 v69, v116, v115, s[12:13]
	v_lshl_add_u32 v70, v68, 3, v30
	v_add_u32_e32 v133, 1, v68
	v_add_u32_e32 v68, -1, v69
	v_min_u32_e32 v68, v133, v68
	v_lshl_add_u32 v68, v68, 3, v30
	ds_read_b64 v[70:71], v70 offset:32768
	ds_read_b64 v[102:103], v68
	v_cndmask_b32_e64 v69, v11, v15, s[8:9]
	v_cndmask_b32_e64 v68, v10, v14, s[8:9]
	;; [unrolled: 1-line block ×4, first 2 shown]
	s_waitcnt lgkmcnt(0)
	v_cndmask_b32_e64 v11, v103, v113, s[12:13]
	v_cndmask_b32_e64 v10, v102, v112, s[12:13]
	;; [unrolled: 1-line block ×5, first 2 shown]
	v_cmp_le_i64_e64 s[46:47], v[14:15], v[10:11]
	v_cndmask_b32_e64 v102, v133, v132, s[12:13]
	v_cmp_lt_u32_e64 s[56:57], v103, v115
	v_cmp_ge_u32_e64 s[8:9], v102, v116
	s_and_b64 s[46:47], s[56:57], s[46:47]
	s_or_b64 s[8:9], s[8:9], s[46:47]
	v_cndmask_b32_e64 v102, v102, v103, s[8:9]
	v_lshl_add_u32 v102, v102, 3, v30
	ds_read_b64 v[102:103], v102 offset:32768
	v_cndmask_b32_e64 v113, v113, v131, s[12:13]
	v_cndmask_b32_e64 v112, v112, v130, s[12:13]
	;; [unrolled: 1-line block ×4, first 2 shown]
.LBB821_606:
	s_or_b64 exec, exec, s[92:93]
	v_add_u32_e32 v10, 0x8000, v114
	; wave barrier
	ds_write2_b64 v114, v[12:13], v[28:29] offset1:1
	ds_write2_b64 v10, v[0:1], v[4:5] offset1:1
	v_add_u32_e32 v10, 0x8010, v114
	ds_write2_b64 v114, v[34:35], v[36:37] offset0:2 offset1:3
	ds_write2_b64 v10, v[16:17], v[18:19] offset1:1
	v_add_u32_e32 v10, 0x8020, v114
	ds_write2_b64 v114, v[48:49], v[50:51] offset0:4 offset1:5
	;; [unrolled: 3-line block ×7, first 2 shown]
	s_waitcnt lgkmcnt(14)
	ds_write2_b64 v10, v[70:71], v[102:103] offset1:1
	v_and_b32_e32 v10, 0x700, v151
	v_or_b32_e32 v11, 0x80, v10
	v_min_u32_e32 v114, v31, v11
	v_add_u32_e32 v11, 0x80, v114
	v_min_u32_e32 v115, v31, v11
	v_min_u32_e32 v11, v31, v160
	v_sub_u32_e32 v117, v114, v10
	v_sub_u32_e32 v116, v115, v114
	v_sub_u32_e64 v116, v11, v116 clamp
	v_min_u32_e32 v117, v11, v117
	v_lshl_add_u32 v31, v10, 3, v30
	v_cmp_lt_u32_e64 s[8:9], v116, v117
	; wave barrier
	s_and_saveexec_b64 s[12:13], s[8:9]
	s_cbranch_execz .LBB821_610
; %bb.607:
	v_lshlrev_b32_e32 v118, 3, v114
	v_lshlrev_b32_e32 v119, 3, v11
	v_add3_u32 v118, v30, v118, v119
	s_mov_b64 s[46:47], 0
.LBB821_608:                            ; =>This Inner Loop Header: Depth=1
	v_add_u32_e32 v119, v117, v116
	v_lshrrev_b32_e32 v119, 1, v119
	v_not_b32_e32 v128, v119
	v_lshl_add_u32 v129, v119, 3, v31
	v_lshl_add_u32 v130, v128, 3, v118
	ds_read_b64 v[128:129], v129
	ds_read_b64 v[130:131], v130
	v_add_u32_e32 v132, 1, v119
	s_waitcnt lgkmcnt(0)
	v_cmp_gt_i64_e64 s[8:9], v[128:129], v[130:131]
	v_cndmask_b32_e64 v117, v117, v119, s[8:9]
	v_cndmask_b32_e64 v116, v132, v116, s[8:9]
	v_cmp_ge_u32_e64 s[8:9], v116, v117
	s_or_b64 s[46:47], s[8:9], s[46:47]
	s_andn2_b64 exec, exec, s[46:47]
	s_cbranch_execnz .LBB821_608
; %bb.609:
	s_or_b64 exec, exec, s[46:47]
.LBB821_610:
	s_or_b64 exec, exec, s[12:13]
	v_add_u32_e32 v117, v116, v10
	v_add_u32_e32 v10, v114, v11
	v_sub_u32_e32 v118, v10, v116
	v_cmp_le_u32_e64 s[8:9], v117, v114
	v_cmp_le_u32_e64 s[12:13], v118, v115
	s_or_b64 s[8:9], s[8:9], s[12:13]
	s_and_saveexec_b64 s[92:93], s[8:9]
	s_cbranch_execz .LBB821_616
; %bb.611:
	v_cmp_lt_u32_e64 s[8:9], v117, v114
                                        ; implicit-def: $vgpr10_vgpr11
	s_and_saveexec_b64 s[12:13], s[8:9]
; %bb.612:
	v_lshl_add_u32 v0, v116, 3, v31
	ds_read_b64 v[10:11], v0
; %bb.613:
	s_or_b64 exec, exec, s[12:13]
	v_cmp_ge_u32_e64 s[46:47], v118, v115
	v_cmp_lt_u32_e64 s[12:13], v118, v115
                                        ; implicit-def: $vgpr12_vgpr13
	s_and_saveexec_b64 s[56:57], s[12:13]
; %bb.614:
	v_lshl_add_u32 v0, v118, 3, v30
	ds_read_b64 v[12:13], v0
; %bb.615:
	s_or_b64 exec, exec, s[56:57]
	s_waitcnt lgkmcnt(0)
	v_cmp_le_i64_e64 s[12:13], v[10:11], v[12:13]
	s_and_b64 s[8:9], s[8:9], s[12:13]
	s_or_b64 s[8:9], s[46:47], s[8:9]
	v_cndmask_b32_e64 v4, v118, v117, s[8:9]
	v_cndmask_b32_e64 v0, v115, v114, s[8:9]
	v_add_u32_e32 v5, 1, v4
	v_add_u32_e32 v0, -1, v0
	v_min_u32_e32 v0, v5, v0
	v_lshl_add_u32 v0, v0, 3, v30
	ds_read_b64 v[0:1], v0
	v_cndmask_b32_e64 v16, v5, v118, s[8:9]
	v_cndmask_b32_e64 v5, v117, v5, s[8:9]
	v_cmp_lt_u32_e64 s[56:57], v5, v114
	v_cmp_ge_u32_e64 s[12:13], v16, v115
	s_waitcnt lgkmcnt(0)
	v_cndmask_b32_e64 v15, v1, v13, s[8:9]
	v_cndmask_b32_e64 v14, v0, v12, s[8:9]
	v_cndmask_b32_e64 v29, v11, v1, s[8:9]
	v_cndmask_b32_e64 v28, v10, v0, s[8:9]
	v_cmp_le_i64_e64 s[46:47], v[28:29], v[14:15]
	v_cndmask_b32_e64 v13, v13, v11, s[8:9]
	s_and_b64 s[46:47], s[56:57], s[46:47]
	s_or_b64 s[56:57], s[12:13], s[46:47]
	v_cndmask_b32_e64 v18, v16, v5, s[56:57]
	v_cndmask_b32_e64 v0, v115, v114, s[56:57]
	v_add_u32_e32 v17, 1, v18
	v_add_u32_e32 v0, -1, v0
	v_min_u32_e32 v0, v17, v0
	v_lshl_add_u32 v0, v0, 3, v30
	ds_read_b64 v[0:1], v0
	v_cndmask_b32_e64 v5, v5, v17, s[56:57]
	v_cndmask_b32_e64 v16, v17, v16, s[56:57]
	v_cmp_lt_u32_e64 s[58:59], v5, v114
	v_cmp_ge_u32_e64 s[12:13], v16, v115
	s_waitcnt lgkmcnt(0)
	v_cndmask_b32_e64 v35, v1, v15, s[56:57]
	v_cndmask_b32_e64 v34, v0, v14, s[56:57]
	v_cndmask_b32_e64 v37, v29, v1, s[56:57]
	v_cndmask_b32_e64 v36, v28, v0, s[56:57]
	v_cmp_le_i64_e64 s[46:47], v[36:37], v[34:35]
	v_cndmask_b32_e64 v12, v12, v10, s[8:9]
	;; [unrolled: 20-line block ×4, first 2 shown]
	s_and_b64 s[58:59], s[62:63], s[58:59]
	s_or_b64 s[58:59], s[12:13], s[58:59]
	v_cndmask_b32_e64 v23, v20, v21, s[58:59]
	v_cndmask_b32_e64 v0, v115, v114, s[58:59]
	v_add_u32_e32 v24, 1, v23
	v_add_u32_e32 v0, -1, v0
	v_min_u32_e32 v0, v24, v0
	v_lshl_add_u32 v0, v0, 3, v30
	ds_read_b64 v[16:17], v0
	v_cndmask_b32_e64 v25, v24, v20, s[58:59]
	v_cndmask_b32_e64 v24, v21, v24, s[58:59]
	v_cmp_lt_u32_e64 s[72:73], v24, v114
	v_cmp_ge_u32_e64 s[12:13], v25, v115
	s_waitcnt lgkmcnt(0)
	v_cndmask_b32_e64 v67, v17, v55, s[58:59]
	v_cndmask_b32_e64 v66, v16, v54, s[58:59]
	v_cndmask_b32_e64 v69, v65, v17, s[58:59]
	v_cndmask_b32_e64 v68, v64, v16, s[58:59]
	v_cmp_le_i64_e64 s[62:63], v[68:69], v[66:67]
	v_lshl_add_u32 v0, v4, 3, v30
	s_and_b64 s[62:63], s[72:73], s[62:63]
	s_or_b64 s[62:63], s[12:13], s[62:63]
	v_cndmask_b32_e64 v26, v25, v24, s[62:63]
	v_cndmask_b32_e64 v16, v115, v114, s[62:63]
	v_add_u32_e32 v27, 1, v26
	v_add_u32_e32 v16, -1, v16
	v_min_u32_e32 v16, v27, v16
	v_lshl_add_u32 v16, v16, 3, v30
	ds_read_b64 v[20:21], v16
	v_cndmask_b32_e64 v31, v27, v25, s[62:63]
	v_cndmask_b32_e64 v27, v24, v27, s[62:63]
	v_cmp_lt_u32_e64 s[74:75], v27, v114
	v_cmp_ge_u32_e64 s[12:13], v31, v115
	s_waitcnt lgkmcnt(0)
	v_cndmask_b32_e64 v71, v21, v67, s[62:63]
	v_cndmask_b32_e64 v70, v20, v66, s[62:63]
	v_cndmask_b32_e64 v81, v69, v21, s[62:63]
	v_cndmask_b32_e64 v80, v68, v20, s[62:63]
	v_cmp_le_i64_e64 s[72:73], v[80:81], v[70:71]
	v_lshl_add_u32 v4, v18, 3, v30
	;; [unrolled: 20-line block ×3, first 2 shown]
	s_and_b64 s[74:75], s[76:77], s[74:75]
	s_or_b64 s[74:75], s[12:13], s[74:75]
	v_lshl_add_u32 v22, v26, 3, v30
	v_cndmask_b32_e64 v26, v38, v39, s[74:75]
	v_cndmask_b32_e64 v24, v115, v114, s[74:75]
	v_add_u32_e32 v52, 1, v26
	v_add_u32_e32 v24, -1, v24
	v_min_u32_e32 v24, v52, v24
	v_lshl_add_u32 v24, v24, 3, v30
	ds_read_b64 v[31:32], v24
	v_lshl_add_u32 v24, v33, 3, v30
	v_lshl_add_u32 v16, v19, 3, v30
	v_lshl_add_u32 v20, v23, 3, v30
	v_lshl_add_u32 v26, v26, 3, v30
	s_waitcnt lgkmcnt(0)
	v_cndmask_b32_e64 v87, v32, v83, s[74:75]
	v_cndmask_b32_e64 v86, v31, v82, s[74:75]
	v_cndmask_b32_e64 v97, v85, v32, s[74:75]
	v_cndmask_b32_e64 v96, v84, v31, s[74:75]
	v_cndmask_b32_e64 v31, v52, v38, s[74:75]
	v_cndmask_b32_e64 v52, v39, v52, s[74:75]
	v_cmp_le_i64_e64 s[76:77], v[96:97], v[86:87]
	v_cmp_lt_u32_e64 s[78:79], v52, v114
	v_cmp_ge_u32_e64 s[12:13], v31, v115
	s_and_b64 s[76:77], s[78:79], s[76:77]
	s_or_b64 s[76:77], s[12:13], s[76:77]
	v_cndmask_b32_e64 v32, v31, v52, s[76:77]
	v_cndmask_b32_e64 v33, v115, v114, s[76:77]
	v_lshl_add_u32 v38, v32, 3, v30
	v_add_u32_e32 v53, 1, v32
	v_add_u32_e32 v32, -1, v33
	v_min_u32_e32 v32, v53, v32
	v_lshl_add_u32 v39, v32, 3, v30
	ds_read_b64 v[0:1], v0 offset:32768
	ds_read_b64 v[4:5], v4 offset:32768
	;; [unrolled: 1-line block ×9, first 2 shown]
	ds_read_b64 v[38:39], v39
	v_cndmask_b32_e64 v100, v52, v53, s[76:77]
	v_cndmask_b32_e64 v31, v53, v31, s[76:77]
	v_cmp_lt_u32_e64 s[56:57], v100, v114
	v_cmp_ge_u32_e64 s[8:9], v31, v115
	s_waitcnt lgkmcnt(0)
	v_cndmask_b32_e64 v11, v39, v87, s[76:77]
	v_cndmask_b32_e64 v10, v38, v86, s[76:77]
	;; [unrolled: 1-line block ×4, first 2 shown]
	v_cmp_le_i64_e64 s[12:13], v[14:15], v[10:11]
	v_cndmask_b32_e64 v35, v35, v37, s[46:47]
	s_and_b64 s[12:13], s[56:57], s[12:13]
	s_or_b64 s[8:9], s[8:9], s[12:13]
	v_cndmask_b32_e64 v38, v31, v100, s[8:9]
	v_cndmask_b32_e64 v39, v115, v114, s[8:9]
	v_lshl_add_u32 v52, v38, 3, v30
	v_add_u32_e32 v101, 1, v38
	v_add_u32_e32 v38, -1, v39
	v_min_u32_e32 v38, v101, v38
	v_lshl_add_u32 v53, v38, 3, v30
	ds_read_b64 v[38:39], v52 offset:32768
	ds_read_b64 v[52:53], v53
	v_cndmask_b32_e64 v34, v34, v36, s[46:47]
	v_cndmask_b32_e64 v116, v100, v101, s[8:9]
	;; [unrolled: 1-line block ×3, first 2 shown]
	v_cmp_lt_u32_e64 s[56:57], v116, v114
	s_waitcnt lgkmcnt(0)
	v_cndmask_b32_e64 v99, v53, v11, s[8:9]
	v_cndmask_b32_e64 v98, v52, v10, s[8:9]
	;; [unrolled: 1-line block ×4, first 2 shown]
	v_cmp_le_i64_e64 s[46:47], v[102:103], v[98:99]
	v_cmp_ge_u32_e64 s[12:13], v31, v115
	s_and_b64 s[46:47], s[56:57], s[46:47]
	s_or_b64 s[46:47], s[12:13], s[46:47]
	v_cndmask_b32_e64 v37, v49, v51, s[60:61]
	v_cndmask_b32_e64 v36, v48, v50, s[60:61]
	;; [unrolled: 1-line block ×4, first 2 shown]
	v_lshl_add_u32 v50, v48, 3, v30
	v_add_u32_e32 v117, 1, v48
	v_add_u32_e32 v48, -1, v49
	v_min_u32_e32 v48, v117, v48
	v_lshl_add_u32 v48, v48, 3, v30
	ds_read_b64 v[52:53], v50 offset:32768
	ds_read_b64 v[100:101], v48
	v_cndmask_b32_e64 v51, v67, v69, s[62:63]
	v_cndmask_b32_e64 v50, v66, v68, s[62:63]
	;; [unrolled: 1-line block ×4, first 2 shown]
	s_waitcnt lgkmcnt(0)
	v_cndmask_b32_e64 v69, v101, v99, s[46:47]
	v_cndmask_b32_e64 v68, v100, v98, s[46:47]
	;; [unrolled: 1-line block ×4, first 2 shown]
	v_cmp_le_i64_e64 s[56:57], v[112:113], v[68:69]
	v_cndmask_b32_e64 v48, v54, v64, s[58:59]
	v_cndmask_b32_e64 v31, v117, v31, s[46:47]
	v_cmp_lt_u32_e64 s[58:59], v128, v114
	v_cmp_ge_u32_e64 s[12:13], v31, v115
	s_and_b64 s[56:57], s[58:59], s[56:57]
	s_or_b64 s[12:13], s[12:13], s[56:57]
	v_cndmask_b32_e64 v54, v31, v128, s[12:13]
	v_cndmask_b32_e64 v55, v115, v114, s[12:13]
	v_lshl_add_u32 v64, v54, 3, v30
	v_add_u32_e32 v129, 1, v54
	v_add_u32_e32 v54, -1, v55
	v_min_u32_e32 v54, v129, v54
	v_lshl_add_u32 v54, v54, 3, v30
	ds_read_b64 v[66:67], v64 offset:32768
	ds_read_b64 v[100:101], v54
	v_cndmask_b32_e64 v31, v129, v31, s[12:13]
	v_cmp_ge_u32_e64 s[56:57], v31, v115
	v_cndmask_b32_e64 v55, v71, v81, s[72:73]
	v_cndmask_b32_e64 v54, v70, v80, s[72:73]
	s_waitcnt lgkmcnt(0)
	v_cndmask_b32_e64 v117, v101, v69, s[12:13]
	v_cndmask_b32_e64 v116, v100, v68, s[12:13]
	;; [unrolled: 1-line block ×5, first 2 shown]
	v_cmp_le_i64_e64 s[58:59], v[118:119], v[116:117]
	v_cmp_lt_u32_e64 s[60:61], v100, v114
	s_and_b64 s[58:59], s[60:61], s[58:59]
	s_or_b64 s[56:57], s[56:57], s[58:59]
	v_cndmask_b32_e64 v70, v31, v100, s[56:57]
	v_cndmask_b32_e64 v71, v115, v114, s[56:57]
	v_lshl_add_u32 v80, v70, 3, v30
	v_add_u32_e32 v101, 1, v70
	v_add_u32_e32 v70, -1, v71
	v_min_u32_e32 v70, v101, v70
	v_lshl_add_u32 v70, v70, 3, v30
	v_cndmask_b32_e64 v65, v83, v85, s[74:75]
	v_cndmask_b32_e64 v64, v82, v84, s[74:75]
	ds_read_b64 v[84:85], v80 offset:32768
	ds_read_b64 v[70:71], v70
	v_cndmask_b32_e64 v83, v11, v15, s[8:9]
	v_cndmask_b32_e64 v82, v10, v14, s[8:9]
	;; [unrolled: 1-line block ×4, first 2 shown]
	s_waitcnt lgkmcnt(0)
	v_cndmask_b32_e64 v11, v71, v117, s[56:57]
	v_cndmask_b32_e64 v10, v70, v116, s[56:57]
	;; [unrolled: 1-line block ×4, first 2 shown]
	v_cmp_le_i64_e64 s[58:59], v[14:15], v[10:11]
	v_cndmask_b32_e64 v31, v101, v31, s[56:57]
	v_cmp_lt_u32_e64 s[60:61], v96, v114
	v_cmp_ge_u32_e64 s[8:9], v31, v115
	s_and_b64 s[58:59], s[60:61], s[58:59]
	s_or_b64 s[8:9], s[8:9], s[58:59]
	v_cndmask_b32_e64 v70, v31, v96, s[8:9]
	v_cndmask_b32_e64 v71, v115, v114, s[8:9]
	;; [unrolled: 1-line block ×3, first 2 shown]
	v_lshl_add_u32 v86, v70, 3, v30
	v_add_u32_e32 v97, 1, v70
	v_add_u32_e32 v70, -1, v71
	v_min_u32_e32 v70, v97, v70
	v_lshl_add_u32 v70, v70, 3, v30
	ds_read_b64 v[100:101], v86 offset:32768
	ds_read_b64 v[70:71], v70
	v_cndmask_b32_e64 v87, v99, v103, s[46:47]
	v_cndmask_b32_e64 v86, v98, v102, s[46:47]
	;; [unrolled: 1-line block ×4, first 2 shown]
	s_waitcnt lgkmcnt(0)
	v_cndmask_b32_e64 v113, v71, v11, s[8:9]
	v_cndmask_b32_e64 v112, v70, v10, s[8:9]
	;; [unrolled: 1-line block ×5, first 2 shown]
	v_cmp_le_i64_e64 s[46:47], v[128:129], v[112:113]
	v_cndmask_b32_e64 v31, v97, v31, s[8:9]
	v_cmp_lt_u32_e64 s[58:59], v130, v114
	v_cmp_ge_u32_e64 s[12:13], v31, v115
	s_and_b64 s[46:47], s[58:59], s[46:47]
	s_or_b64 s[12:13], s[12:13], s[46:47]
	v_cndmask_b32_e64 v68, v31, v130, s[12:13]
	v_cndmask_b32_e64 v69, v115, v114, s[12:13]
	v_lshl_add_u32 v70, v68, 3, v30
	v_add_u32_e32 v131, 1, v68
	v_add_u32_e32 v68, -1, v69
	v_min_u32_e32 v68, v131, v68
	v_lshl_add_u32 v68, v68, 3, v30
	ds_read_b64 v[70:71], v70 offset:32768
	ds_read_b64 v[102:103], v68
	v_cndmask_b32_e64 v69, v11, v15, s[8:9]
	v_cndmask_b32_e64 v68, v10, v14, s[8:9]
	;; [unrolled: 1-line block ×4, first 2 shown]
	s_waitcnt lgkmcnt(0)
	v_cndmask_b32_e64 v11, v103, v113, s[12:13]
	v_cndmask_b32_e64 v10, v102, v112, s[12:13]
	;; [unrolled: 1-line block ×5, first 2 shown]
	v_cmp_le_i64_e64 s[46:47], v[14:15], v[10:11]
	v_cndmask_b32_e64 v31, v131, v31, s[12:13]
	v_cmp_lt_u32_e64 s[56:57], v102, v114
	v_cmp_ge_u32_e64 s[8:9], v31, v115
	s_and_b64 s[46:47], s[56:57], s[46:47]
	s_or_b64 s[8:9], s[8:9], s[46:47]
	v_cndmask_b32_e64 v31, v31, v102, s[8:9]
	v_lshl_add_u32 v30, v31, 3, v30
	ds_read_b64 v[102:103], v30 offset:32768
	v_cndmask_b32_e64 v113, v113, v129, s[12:13]
	v_cndmask_b32_e64 v112, v112, v128, s[12:13]
	;; [unrolled: 1-line block ×4, first 2 shown]
.LBB821_616:
	s_or_b64 exec, exec, s[92:93]
	; wave barrier
	s_waitcnt lgkmcnt(0)
	s_barrier
.LBB821_617:
	s_or_b64 exec, exec, s[90:91]
	v_add_co_u32_e64 v2, s[8:9], v2, v8
	v_addc_co_u32_e64 v3, s[8:9], v3, v9, s[8:9]
	v_add_co_u32_e64 v2, s[8:9], v2, v150
	v_addc_co_u32_e64 v3, s[8:9], 0, v3, s[8:9]
	s_waitcnt lgkmcnt(0)
	; wave barrier
	s_and_saveexec_b64 s[8:9], vcc
	s_cbranch_execnz .LBB821_667
; %bb.618:
	s_or_b64 exec, exec, s[8:9]
	s_and_saveexec_b64 s[8:9], s[4:5]
	s_cbranch_execnz .LBB821_668
.LBB821_619:
	s_or_b64 exec, exec, s[8:9]
	s_and_saveexec_b64 s[8:9], s[6:7]
	s_cbranch_execnz .LBB821_669
.LBB821_620:
	s_or_b64 exec, exec, s[8:9]
	s_and_saveexec_b64 s[8:9], s[44:45]
	s_cbranch_execnz .LBB821_670
.LBB821_621:
	s_or_b64 exec, exec, s[8:9]
	s_and_saveexec_b64 s[8:9], s[10:11]
	s_cbranch_execnz .LBB821_671
.LBB821_622:
	s_or_b64 exec, exec, s[8:9]
	s_and_saveexec_b64 s[8:9], s[88:89]
	s_cbranch_execnz .LBB821_672
.LBB821_623:
	s_or_b64 exec, exec, s[8:9]
	s_and_saveexec_b64 s[8:9], s[14:15]
	s_cbranch_execnz .LBB821_673
.LBB821_624:
	s_or_b64 exec, exec, s[8:9]
	s_and_saveexec_b64 s[8:9], s[16:17]
	s_cbranch_execnz .LBB821_674
.LBB821_625:
	s_or_b64 exec, exec, s[8:9]
	s_and_saveexec_b64 s[8:9], s[18:19]
	s_cbranch_execnz .LBB821_675
.LBB821_626:
	s_or_b64 exec, exec, s[8:9]
	s_and_saveexec_b64 s[8:9], s[20:21]
	s_cbranch_execnz .LBB821_676
.LBB821_627:
	s_or_b64 exec, exec, s[8:9]
	s_and_saveexec_b64 s[8:9], s[22:23]
	s_cbranch_execnz .LBB821_677
.LBB821_628:
	s_or_b64 exec, exec, s[8:9]
	s_and_saveexec_b64 s[8:9], s[24:25]
	s_cbranch_execnz .LBB821_678
.LBB821_629:
	s_or_b64 exec, exec, s[8:9]
	s_and_saveexec_b64 s[8:9], s[26:27]
	s_cbranch_execnz .LBB821_679
.LBB821_630:
	s_or_b64 exec, exec, s[8:9]
	s_and_saveexec_b64 s[8:9], s[28:29]
	s_cbranch_execnz .LBB821_680
.LBB821_631:
	s_or_b64 exec, exec, s[8:9]
	s_and_saveexec_b64 s[8:9], s[40:41]
	s_cbranch_execnz .LBB821_681
.LBB821_632:
	s_or_b64 exec, exec, s[8:9]
	s_and_saveexec_b64 s[8:9], s[42:43]
	s_cbranch_execz .LBB821_634
.LBB821_633:
	s_waitcnt vmcnt(0)
	flat_store_dwordx2 v[2:3], v[14:15] offset:120
.LBB821_634:
	s_or_b64 exec, exec, s[8:9]
	v_add_co_u32_e64 v2, s[8:9], v6, v8
	v_addc_co_u32_e64 v3, s[8:9], v7, v9, s[8:9]
	v_add_co_u32_e64 v2, s[8:9], v2, v150
	v_addc_co_u32_e64 v3, s[8:9], 0, v3, s[8:9]
	; wave barrier
	s_and_saveexec_b64 s[8:9], vcc
	s_cbranch_execnz .LBB821_682
; %bb.635:
	s_or_b64 exec, exec, s[8:9]
	s_and_saveexec_b64 s[8:9], s[4:5]
	s_cbranch_execnz .LBB821_683
.LBB821_636:
	s_or_b64 exec, exec, s[8:9]
	s_and_saveexec_b64 s[4:5], s[6:7]
	s_cbranch_execnz .LBB821_684
.LBB821_637:
	s_or_b64 exec, exec, s[4:5]
	s_and_saveexec_b64 s[4:5], s[44:45]
	s_cbranch_execnz .LBB821_685
.LBB821_638:
	s_or_b64 exec, exec, s[4:5]
	s_and_saveexec_b64 s[4:5], s[10:11]
	s_cbranch_execnz .LBB821_686
.LBB821_639:
	s_or_b64 exec, exec, s[4:5]
	s_and_saveexec_b64 s[4:5], s[88:89]
	s_cbranch_execnz .LBB821_687
.LBB821_640:
	s_or_b64 exec, exec, s[4:5]
	s_and_saveexec_b64 s[4:5], s[14:15]
	s_cbranch_execnz .LBB821_688
.LBB821_641:
	s_or_b64 exec, exec, s[4:5]
	s_and_saveexec_b64 s[4:5], s[16:17]
	s_cbranch_execnz .LBB821_689
.LBB821_642:
	s_or_b64 exec, exec, s[4:5]
	s_and_saveexec_b64 s[4:5], s[18:19]
	s_cbranch_execnz .LBB821_690
.LBB821_643:
	s_or_b64 exec, exec, s[4:5]
	s_and_saveexec_b64 s[4:5], s[20:21]
	s_cbranch_execnz .LBB821_691
.LBB821_644:
	s_or_b64 exec, exec, s[4:5]
	s_and_saveexec_b64 s[4:5], s[22:23]
	s_cbranch_execnz .LBB821_692
.LBB821_645:
	s_or_b64 exec, exec, s[4:5]
	s_and_saveexec_b64 s[4:5], s[24:25]
	s_cbranch_execnz .LBB821_693
.LBB821_646:
	s_or_b64 exec, exec, s[4:5]
	s_and_saveexec_b64 s[4:5], s[26:27]
	s_cbranch_execnz .LBB821_694
.LBB821_647:
	s_or_b64 exec, exec, s[4:5]
	s_and_saveexec_b64 s[4:5], s[28:29]
	s_cbranch_execnz .LBB821_695
.LBB821_648:
	s_or_b64 exec, exec, s[4:5]
	s_and_saveexec_b64 s[4:5], s[40:41]
	s_cbranch_execnz .LBB821_696
.LBB821_649:
	s_or_b64 exec, exec, s[4:5]
	s_and_saveexec_b64 s[4:5], s[42:43]
	s_cbranch_execz .LBB821_651
.LBB821_650:
	s_waitcnt vmcnt(0)
	flat_store_dwordx2 v[2:3], v[102:103] offset:120
.LBB821_651:
	s_or_b64 exec, exec, s[4:5]
	v_readlane_b32 s30, v40, 0
	v_readlane_b32 s31, v40, 1
	s_or_saveexec_b64 s[4:5], -1
	buffer_load_dword v40, off, s[0:3], s32 ; 4-byte Folded Reload
	s_mov_b64 exec, s[4:5]
	s_waitcnt vmcnt(0) lgkmcnt(0)
	s_setpc_b64 s[30:31]
.LBB821_652:
	flat_load_dwordx2 v[0:1], v[114:115]
	s_or_b64 exec, exec, s[46:47]
	s_and_saveexec_b64 s[46:47], s[4:5]
                                        ; implicit-def: $vgpr4_vgpr5
	s_cbranch_execz .LBB821_34
.LBB821_653:
	flat_load_dwordx2 v[4:5], v[114:115] offset:8
	s_or_b64 exec, exec, s[46:47]
                                        ; implicit-def: $vgpr16_vgpr17
	s_and_saveexec_b64 s[46:47], s[6:7]
	s_cbranch_execz .LBB821_35
.LBB821_654:
	flat_load_dwordx2 v[16:17], v[114:115] offset:16
	s_or_b64 exec, exec, s[46:47]
	s_and_saveexec_b64 s[46:47], s[44:45]
                                        ; implicit-def: $vgpr18_vgpr19
	s_cbranch_execz .LBB821_36
.LBB821_655:
	flat_load_dwordx2 v[18:19], v[114:115] offset:24
	s_or_b64 exec, exec, s[46:47]
                                        ; implicit-def: $vgpr20_vgpr21
	s_and_saveexec_b64 s[46:47], s[10:11]
	s_cbranch_execz .LBB821_37
.LBB821_656:
	flat_load_dwordx2 v[20:21], v[114:115] offset:32
	s_or_b64 exec, exec, s[46:47]
	s_and_saveexec_b64 s[46:47], s[88:89]
                                        ; implicit-def: $vgpr22_vgpr23
	s_cbranch_execz .LBB821_38
.LBB821_657:
	flat_load_dwordx2 v[22:23], v[114:115] offset:40
	s_or_b64 exec, exec, s[46:47]
                                        ; implicit-def: $vgpr24_vgpr25
	s_and_saveexec_b64 s[46:47], s[14:15]
	s_cbranch_execz .LBB821_39
.LBB821_658:
	flat_load_dwordx2 v[24:25], v[114:115] offset:48
	s_or_b64 exec, exec, s[46:47]
	s_and_saveexec_b64 s[46:47], s[16:17]
                                        ; implicit-def: $vgpr26_vgpr27
	s_cbranch_execz .LBB821_40
.LBB821_659:
	flat_load_dwordx2 v[26:27], v[114:115] offset:56
	s_or_b64 exec, exec, s[46:47]
                                        ; implicit-def: $vgpr32_vgpr33
	s_and_saveexec_b64 s[46:47], s[18:19]
	s_cbranch_execz .LBB821_41
.LBB821_660:
	flat_load_dwordx2 v[32:33], v[114:115] offset:64
	s_or_b64 exec, exec, s[46:47]
	s_and_saveexec_b64 s[46:47], s[20:21]
                                        ; implicit-def: $vgpr38_vgpr39
	s_cbranch_execz .LBB821_42
.LBB821_661:
	flat_load_dwordx2 v[38:39], v[114:115] offset:72
	s_or_b64 exec, exec, s[46:47]
                                        ; implicit-def: $vgpr52_vgpr53
	s_and_saveexec_b64 s[46:47], s[22:23]
	s_cbranch_execz .LBB821_43
.LBB821_662:
	flat_load_dwordx2 v[52:53], v[114:115] offset:80
	s_or_b64 exec, exec, s[46:47]
	s_and_saveexec_b64 s[46:47], s[24:25]
                                        ; implicit-def: $vgpr66_vgpr67
	s_cbranch_execz .LBB821_44
.LBB821_663:
	flat_load_dwordx2 v[66:67], v[114:115] offset:88
	s_or_b64 exec, exec, s[46:47]
                                        ; implicit-def: $vgpr84_vgpr85
	s_and_saveexec_b64 s[46:47], s[26:27]
	s_cbranch_execz .LBB821_45
.LBB821_664:
	flat_load_dwordx2 v[84:85], v[114:115] offset:96
	s_or_b64 exec, exec, s[46:47]
	s_and_saveexec_b64 s[46:47], s[28:29]
                                        ; implicit-def: $vgpr100_vgpr101
	s_cbranch_execz .LBB821_46
.LBB821_665:
	flat_load_dwordx2 v[100:101], v[114:115] offset:104
	s_or_b64 exec, exec, s[46:47]
                                        ; implicit-def: $vgpr70_vgpr71
	s_and_saveexec_b64 s[46:47], s[40:41]
	s_cbranch_execz .LBB821_47
.LBB821_666:
	flat_load_dwordx2 v[70:71], v[114:115] offset:112
	s_or_b64 exec, exec, s[46:47]
	s_and_saveexec_b64 s[46:47], s[42:43]
                                        ; implicit-def: $vgpr102_vgpr103
	s_cbranch_execnz .LBB821_48
	s_branch .LBB821_49
.LBB821_667:
	s_waitcnt vmcnt(0)
	flat_store_dwordx2 v[2:3], v[12:13]
	s_or_b64 exec, exec, s[8:9]
	s_and_saveexec_b64 s[8:9], s[4:5]
	s_cbranch_execz .LBB821_619
.LBB821_668:
	s_waitcnt vmcnt(0)
	flat_store_dwordx2 v[2:3], v[28:29] offset:8
	s_or_b64 exec, exec, s[8:9]
	s_and_saveexec_b64 s[8:9], s[6:7]
	s_cbranch_execz .LBB821_620
.LBB821_669:
	s_waitcnt vmcnt(0)
	flat_store_dwordx2 v[2:3], v[34:35] offset:16
	s_or_b64 exec, exec, s[8:9]
	s_and_saveexec_b64 s[8:9], s[44:45]
	s_cbranch_execz .LBB821_621
.LBB821_670:
	s_waitcnt vmcnt(0)
	flat_store_dwordx2 v[2:3], v[36:37] offset:24
	s_or_b64 exec, exec, s[8:9]
	s_and_saveexec_b64 s[8:9], s[10:11]
	s_cbranch_execz .LBB821_622
.LBB821_671:
	s_waitcnt vmcnt(0)
	flat_store_dwordx2 v[2:3], v[48:49] offset:32
	s_or_b64 exec, exec, s[8:9]
	s_and_saveexec_b64 s[8:9], s[88:89]
	s_cbranch_execz .LBB821_623
.LBB821_672:
	s_waitcnt vmcnt(0)
	flat_store_dwordx2 v[2:3], v[50:51] offset:40
	s_or_b64 exec, exec, s[8:9]
	s_and_saveexec_b64 s[8:9], s[14:15]
	s_cbranch_execz .LBB821_624
.LBB821_673:
	s_waitcnt vmcnt(0)
	flat_store_dwordx2 v[2:3], v[54:55] offset:48
	s_or_b64 exec, exec, s[8:9]
	s_and_saveexec_b64 s[8:9], s[16:17]
	s_cbranch_execz .LBB821_625
.LBB821_674:
	s_waitcnt vmcnt(0)
	flat_store_dwordx2 v[2:3], v[64:65] offset:56
	s_or_b64 exec, exec, s[8:9]
	s_and_saveexec_b64 s[8:9], s[18:19]
	s_cbranch_execz .LBB821_626
.LBB821_675:
	s_waitcnt vmcnt(0)
	flat_store_dwordx2 v[2:3], v[80:81] offset:64
	s_or_b64 exec, exec, s[8:9]
	s_and_saveexec_b64 s[8:9], s[20:21]
	s_cbranch_execz .LBB821_627
.LBB821_676:
	s_waitcnt vmcnt(0)
	flat_store_dwordx2 v[2:3], v[82:83] offset:72
	s_or_b64 exec, exec, s[8:9]
	s_and_saveexec_b64 s[8:9], s[22:23]
	s_cbranch_execz .LBB821_628
.LBB821_677:
	s_waitcnt vmcnt(0)
	flat_store_dwordx2 v[2:3], v[86:87] offset:80
	s_or_b64 exec, exec, s[8:9]
	s_and_saveexec_b64 s[8:9], s[24:25]
	s_cbranch_execz .LBB821_629
.LBB821_678:
	s_waitcnt vmcnt(0)
	flat_store_dwordx2 v[2:3], v[98:99] offset:88
	s_or_b64 exec, exec, s[8:9]
	s_and_saveexec_b64 s[8:9], s[26:27]
	s_cbranch_execz .LBB821_630
.LBB821_679:
	s_waitcnt vmcnt(0)
	flat_store_dwordx2 v[2:3], v[96:97] offset:96
	s_or_b64 exec, exec, s[8:9]
	s_and_saveexec_b64 s[8:9], s[28:29]
	s_cbranch_execz .LBB821_631
.LBB821_680:
	s_waitcnt vmcnt(0)
	flat_store_dwordx2 v[2:3], v[68:69] offset:104
	s_or_b64 exec, exec, s[8:9]
	s_and_saveexec_b64 s[8:9], s[40:41]
	s_cbranch_execz .LBB821_632
.LBB821_681:
	s_waitcnt vmcnt(0)
	flat_store_dwordx2 v[2:3], v[112:113] offset:112
	s_or_b64 exec, exec, s[8:9]
	s_and_saveexec_b64 s[8:9], s[42:43]
	s_cbranch_execnz .LBB821_633
	s_branch .LBB821_634
.LBB821_682:
	s_waitcnt vmcnt(0)
	flat_store_dwordx2 v[2:3], v[0:1]
	s_or_b64 exec, exec, s[8:9]
	s_and_saveexec_b64 s[8:9], s[4:5]
	s_cbranch_execz .LBB821_636
.LBB821_683:
	s_waitcnt vmcnt(0)
	flat_store_dwordx2 v[2:3], v[4:5] offset:8
	s_or_b64 exec, exec, s[8:9]
	s_and_saveexec_b64 s[4:5], s[6:7]
	s_cbranch_execz .LBB821_637
.LBB821_684:
	s_waitcnt vmcnt(0)
	flat_store_dwordx2 v[2:3], v[16:17] offset:16
	s_or_b64 exec, exec, s[4:5]
	s_and_saveexec_b64 s[4:5], s[44:45]
	s_cbranch_execz .LBB821_638
.LBB821_685:
	s_waitcnt vmcnt(0)
	flat_store_dwordx2 v[2:3], v[18:19] offset:24
	s_or_b64 exec, exec, s[4:5]
	s_and_saveexec_b64 s[4:5], s[10:11]
	s_cbranch_execz .LBB821_639
.LBB821_686:
	s_waitcnt vmcnt(0)
	flat_store_dwordx2 v[2:3], v[20:21] offset:32
	s_or_b64 exec, exec, s[4:5]
	s_and_saveexec_b64 s[4:5], s[88:89]
	s_cbranch_execz .LBB821_640
.LBB821_687:
	s_waitcnt vmcnt(0)
	flat_store_dwordx2 v[2:3], v[22:23] offset:40
	s_or_b64 exec, exec, s[4:5]
	s_and_saveexec_b64 s[4:5], s[14:15]
	s_cbranch_execz .LBB821_641
.LBB821_688:
	s_waitcnt vmcnt(0)
	flat_store_dwordx2 v[2:3], v[24:25] offset:48
	s_or_b64 exec, exec, s[4:5]
	s_and_saveexec_b64 s[4:5], s[16:17]
	s_cbranch_execz .LBB821_642
.LBB821_689:
	s_waitcnt vmcnt(0)
	flat_store_dwordx2 v[2:3], v[26:27] offset:56
	s_or_b64 exec, exec, s[4:5]
	s_and_saveexec_b64 s[4:5], s[18:19]
	s_cbranch_execz .LBB821_643
.LBB821_690:
	s_waitcnt vmcnt(0)
	flat_store_dwordx2 v[2:3], v[32:33] offset:64
	s_or_b64 exec, exec, s[4:5]
	s_and_saveexec_b64 s[4:5], s[20:21]
	s_cbranch_execz .LBB821_644
.LBB821_691:
	s_waitcnt vmcnt(0)
	flat_store_dwordx2 v[2:3], v[38:39] offset:72
	s_or_b64 exec, exec, s[4:5]
	s_and_saveexec_b64 s[4:5], s[22:23]
	s_cbranch_execz .LBB821_645
.LBB821_692:
	s_waitcnt vmcnt(0)
	flat_store_dwordx2 v[2:3], v[52:53] offset:80
	s_or_b64 exec, exec, s[4:5]
	s_and_saveexec_b64 s[4:5], s[24:25]
	s_cbranch_execz .LBB821_646
.LBB821_693:
	s_waitcnt vmcnt(0)
	flat_store_dwordx2 v[2:3], v[66:67] offset:88
	s_or_b64 exec, exec, s[4:5]
	s_and_saveexec_b64 s[4:5], s[26:27]
	s_cbranch_execz .LBB821_647
.LBB821_694:
	s_waitcnt vmcnt(0)
	flat_store_dwordx2 v[2:3], v[84:85] offset:96
	s_or_b64 exec, exec, s[4:5]
	s_and_saveexec_b64 s[4:5], s[28:29]
	s_cbranch_execz .LBB821_648
.LBB821_695:
	s_waitcnt vmcnt(0)
	flat_store_dwordx2 v[2:3], v[100:101] offset:104
	s_or_b64 exec, exec, s[4:5]
	s_and_saveexec_b64 s[4:5], s[40:41]
	s_cbranch_execz .LBB821_649
.LBB821_696:
	s_waitcnt vmcnt(0)
	flat_store_dwordx2 v[2:3], v[70:71] offset:112
	s_or_b64 exec, exec, s[4:5]
	s_and_saveexec_b64 s[4:5], s[42:43]
	s_cbranch_execnz .LBB821_650
	s_branch .LBB821_651
.Lfunc_end821:
	.size	_ZN7rocprim17ROCPRIM_400000_NS6detail26segmented_warp_sort_helperINS1_20WarpSortHelperConfigILj16ELj16ELj256EEEllLi256ELb0EvE4sortIPKlPlS8_S9_EEvT_T0_T1_T2_jjjjRNS5_12storage_typeE, .Lfunc_end821-_ZN7rocprim17ROCPRIM_400000_NS6detail26segmented_warp_sort_helperINS1_20WarpSortHelperConfigILj16ELj16ELj256EEEllLi256ELb0EvE4sortIPKlPlS8_S9_EEvT_T0_T1_T2_jjjjRNS5_12storage_typeE
                                        ; -- End function
	.set .L_ZN7rocprim17ROCPRIM_400000_NS6detail26segmented_warp_sort_helperINS1_20WarpSortHelperConfigILj16ELj16ELj256EEEllLi256ELb0EvE4sortIPKlPlS8_S9_EEvT_T0_T1_T2_jjjjRNS5_12storage_typeE.num_vgpr, 164
	.set .L_ZN7rocprim17ROCPRIM_400000_NS6detail26segmented_warp_sort_helperINS1_20WarpSortHelperConfigILj16ELj16ELj256EEEllLi256ELb0EvE4sortIPKlPlS8_S9_EEvT_T0_T1_T2_jjjjRNS5_12storage_typeE.num_agpr, 0
	.set .L_ZN7rocprim17ROCPRIM_400000_NS6detail26segmented_warp_sort_helperINS1_20WarpSortHelperConfigILj16ELj16ELj256EEEllLi256ELb0EvE4sortIPKlPlS8_S9_EEvT_T0_T1_T2_jjjjRNS5_12storage_typeE.numbered_sgpr, 96
	.set .L_ZN7rocprim17ROCPRIM_400000_NS6detail26segmented_warp_sort_helperINS1_20WarpSortHelperConfigILj16ELj16ELj256EEEllLi256ELb0EvE4sortIPKlPlS8_S9_EEvT_T0_T1_T2_jjjjRNS5_12storage_typeE.num_named_barrier, 0
	.set .L_ZN7rocprim17ROCPRIM_400000_NS6detail26segmented_warp_sort_helperINS1_20WarpSortHelperConfigILj16ELj16ELj256EEEllLi256ELb0EvE4sortIPKlPlS8_S9_EEvT_T0_T1_T2_jjjjRNS5_12storage_typeE.private_seg_size, 8
	.set .L_ZN7rocprim17ROCPRIM_400000_NS6detail26segmented_warp_sort_helperINS1_20WarpSortHelperConfigILj16ELj16ELj256EEEllLi256ELb0EvE4sortIPKlPlS8_S9_EEvT_T0_T1_T2_jjjjRNS5_12storage_typeE.uses_vcc, 1
	.set .L_ZN7rocprim17ROCPRIM_400000_NS6detail26segmented_warp_sort_helperINS1_20WarpSortHelperConfigILj16ELj16ELj256EEEllLi256ELb0EvE4sortIPKlPlS8_S9_EEvT_T0_T1_T2_jjjjRNS5_12storage_typeE.uses_flat_scratch, 0
	.set .L_ZN7rocprim17ROCPRIM_400000_NS6detail26segmented_warp_sort_helperINS1_20WarpSortHelperConfigILj16ELj16ELj256EEEllLi256ELb0EvE4sortIPKlPlS8_S9_EEvT_T0_T1_T2_jjjjRNS5_12storage_typeE.has_dyn_sized_stack, 0
	.set .L_ZN7rocprim17ROCPRIM_400000_NS6detail26segmented_warp_sort_helperINS1_20WarpSortHelperConfigILj16ELj16ELj256EEEllLi256ELb0EvE4sortIPKlPlS8_S9_EEvT_T0_T1_T2_jjjjRNS5_12storage_typeE.has_recursion, 0
	.set .L_ZN7rocprim17ROCPRIM_400000_NS6detail26segmented_warp_sort_helperINS1_20WarpSortHelperConfigILj16ELj16ELj256EEEllLi256ELb0EvE4sortIPKlPlS8_S9_EEvT_T0_T1_T2_jjjjRNS5_12storage_typeE.has_indirect_call, 0
	.section	.AMDGPU.csdata,"",@progbits
; Function info:
; codeLenInByte = 45100
; TotalNumSgprs: 100
; NumVgprs: 164
; ScratchSize: 8
; MemoryBound: 0
	.section	.text._ZN7rocprim17ROCPRIM_400000_NS6detail17trampoline_kernelINS0_14default_configENS1_36segmented_radix_sort_config_selectorIllEEZNS1_25segmented_radix_sort_implIS3_Lb0EPKlPlS8_S9_N2at6native12_GLOBAL__N_18offset_tEEE10hipError_tPvRmT1_PNSt15iterator_traitsISH_E10value_typeET2_T3_PNSI_ISN_E10value_typeET4_jRbjT5_ST_jjP12ihipStream_tbEUlT_E0_NS1_11comp_targetILNS1_3genE2ELNS1_11target_archE906ELNS1_3gpuE6ELNS1_3repE0EEENS1_60segmented_radix_sort_warp_sort_medium_config_static_selectorELNS0_4arch9wavefront6targetE1EEEvSH_,"axG",@progbits,_ZN7rocprim17ROCPRIM_400000_NS6detail17trampoline_kernelINS0_14default_configENS1_36segmented_radix_sort_config_selectorIllEEZNS1_25segmented_radix_sort_implIS3_Lb0EPKlPlS8_S9_N2at6native12_GLOBAL__N_18offset_tEEE10hipError_tPvRmT1_PNSt15iterator_traitsISH_E10value_typeET2_T3_PNSI_ISN_E10value_typeET4_jRbjT5_ST_jjP12ihipStream_tbEUlT_E0_NS1_11comp_targetILNS1_3genE2ELNS1_11target_archE906ELNS1_3gpuE6ELNS1_3repE0EEENS1_60segmented_radix_sort_warp_sort_medium_config_static_selectorELNS0_4arch9wavefront6targetE1EEEvSH_,comdat
	.globl	_ZN7rocprim17ROCPRIM_400000_NS6detail17trampoline_kernelINS0_14default_configENS1_36segmented_radix_sort_config_selectorIllEEZNS1_25segmented_radix_sort_implIS3_Lb0EPKlPlS8_S9_N2at6native12_GLOBAL__N_18offset_tEEE10hipError_tPvRmT1_PNSt15iterator_traitsISH_E10value_typeET2_T3_PNSI_ISN_E10value_typeET4_jRbjT5_ST_jjP12ihipStream_tbEUlT_E0_NS1_11comp_targetILNS1_3genE2ELNS1_11target_archE906ELNS1_3gpuE6ELNS1_3repE0EEENS1_60segmented_radix_sort_warp_sort_medium_config_static_selectorELNS0_4arch9wavefront6targetE1EEEvSH_ ; -- Begin function _ZN7rocprim17ROCPRIM_400000_NS6detail17trampoline_kernelINS0_14default_configENS1_36segmented_radix_sort_config_selectorIllEEZNS1_25segmented_radix_sort_implIS3_Lb0EPKlPlS8_S9_N2at6native12_GLOBAL__N_18offset_tEEE10hipError_tPvRmT1_PNSt15iterator_traitsISH_E10value_typeET2_T3_PNSI_ISN_E10value_typeET4_jRbjT5_ST_jjP12ihipStream_tbEUlT_E0_NS1_11comp_targetILNS1_3genE2ELNS1_11target_archE906ELNS1_3gpuE6ELNS1_3repE0EEENS1_60segmented_radix_sort_warp_sort_medium_config_static_selectorELNS0_4arch9wavefront6targetE1EEEvSH_
	.p2align	8
	.type	_ZN7rocprim17ROCPRIM_400000_NS6detail17trampoline_kernelINS0_14default_configENS1_36segmented_radix_sort_config_selectorIllEEZNS1_25segmented_radix_sort_implIS3_Lb0EPKlPlS8_S9_N2at6native12_GLOBAL__N_18offset_tEEE10hipError_tPvRmT1_PNSt15iterator_traitsISH_E10value_typeET2_T3_PNSI_ISN_E10value_typeET4_jRbjT5_ST_jjP12ihipStream_tbEUlT_E0_NS1_11comp_targetILNS1_3genE2ELNS1_11target_archE906ELNS1_3gpuE6ELNS1_3repE0EEENS1_60segmented_radix_sort_warp_sort_medium_config_static_selectorELNS0_4arch9wavefront6targetE1EEEvSH_,@function
_ZN7rocprim17ROCPRIM_400000_NS6detail17trampoline_kernelINS0_14default_configENS1_36segmented_radix_sort_config_selectorIllEEZNS1_25segmented_radix_sort_implIS3_Lb0EPKlPlS8_S9_N2at6native12_GLOBAL__N_18offset_tEEE10hipError_tPvRmT1_PNSt15iterator_traitsISH_E10value_typeET2_T3_PNSI_ISN_E10value_typeET4_jRbjT5_ST_jjP12ihipStream_tbEUlT_E0_NS1_11comp_targetILNS1_3genE2ELNS1_11target_archE906ELNS1_3gpuE6ELNS1_3repE0EEENS1_60segmented_radix_sort_warp_sort_medium_config_static_selectorELNS0_4arch9wavefront6targetE1EEEvSH_: ; @_ZN7rocprim17ROCPRIM_400000_NS6detail17trampoline_kernelINS0_14default_configENS1_36segmented_radix_sort_config_selectorIllEEZNS1_25segmented_radix_sort_implIS3_Lb0EPKlPlS8_S9_N2at6native12_GLOBAL__N_18offset_tEEE10hipError_tPvRmT1_PNSt15iterator_traitsISH_E10value_typeET2_T3_PNSI_ISN_E10value_typeET4_jRbjT5_ST_jjP12ihipStream_tbEUlT_E0_NS1_11comp_targetILNS1_3genE2ELNS1_11target_archE906ELNS1_3gpuE6ELNS1_3repE0EEENS1_60segmented_radix_sort_warp_sort_medium_config_static_selectorELNS0_4arch9wavefront6targetE1EEEvSH_
; %bb.0:
	s_add_u32 s0, s0, s8
	s_load_dword s8, s[4:5], 0x64
	s_addc_u32 s1, s1, 0
	s_mov_b32 s32, 0
	s_waitcnt lgkmcnt(0)
	s_lshr_b32 s9, s8, 16
	s_and_b32 s8, s8, 0xffff
	v_mad_u32_u24 v3, v2, s9, v1
	v_mad_u64_u32 v[3:4], s[8:9], v3, s8, v[0:1]
	s_load_dword s8, s[4:5], 0x34
	v_lshrrev_b32_e32 v3, 4, v3
	v_lshl_add_u32 v3, s6, 4, v3
	s_waitcnt lgkmcnt(0)
	v_cmp_gt_u32_e32 vcc, s8, v3
	s_and_saveexec_b64 s[8:9], vcc
	s_cbranch_execz .LBB822_6
; %bb.1:
	s_load_dwordx2 s[12:13], s[4:5], 0x38
	s_load_dwordx4 s[8:11], s[4:5], 0x40
	v_mov_b32_e32 v4, 0
	v_lshlrev_b64 v[3:4], 2, v[3:4]
	s_waitcnt lgkmcnt(0)
	v_mov_b32_e32 v5, s13
	v_add_co_u32_e32 v3, vcc, s12, v3
	v_addc_co_u32_e32 v4, vcc, v5, v4, vcc
	global_load_dword v3, v[3:4], off
	s_waitcnt vmcnt(0)
	v_add_u32_e32 v4, s9, v3
	v_add_u32_e32 v3, s11, v3
	v_mul_lo_u32 v41, v4, s8
	v_mul_lo_u32 v42, v3, s10
	v_cmp_gt_u32_e32 vcc, v42, v41
	s_and_b64 exec, exec, vcc
	s_cbranch_execz .LBB822_6
; %bb.2:
	s_load_dword s10, s[4:5], 0x30
	s_load_dwordx4 s[36:39], s[4:5], 0x20
	s_load_dwordx8 s[48:55], s[4:5], 0x0
	s_load_dwordx2 s[34:35], s[4:5], 0x50
	s_mov_b64 s[8:9], -1
	s_waitcnt lgkmcnt(0)
	s_bitcmp0_b32 s10, 0
	v_lshlrev_b32_e32 v44, 20, v2
	v_lshlrev_b32_e32 v45, 10, v1
	s_cbranch_scc0 .LBB822_4
; %bb.3:
	s_add_u32 s8, s4, 0x58
	s_addc_u32 s9, s5, 0
	s_getpc_b64 s[10:11]
	s_add_u32 s10, s10, _ZN7rocprim17ROCPRIM_400000_NS6detail26segmented_warp_sort_helperINS1_20WarpSortHelperConfigILj16ELj16ELj256EEEllLi256ELb0EvE4sortIPKlPlS8_S9_EEvT_T0_T1_T2_jjjjRNS5_12storage_typeE@rel32@lo+4
	s_addc_u32 s11, s11, _ZN7rocprim17ROCPRIM_400000_NS6detail26segmented_warp_sort_helperINS1_20WarpSortHelperConfigILj16ELj16ELj256EEEllLi256ELb0EvE4sortIPKlPlS8_S9_EEvT_T0_T1_T2_jjjjRNS5_12storage_typeE@rel32@hi+12
	v_or3_b32 v31, v0, v45, v44
	s_mov_b32 s12, s6
	s_mov_b32 s13, s7
	v_mov_b32_e32 v43, v0
	v_mov_b32_e32 v0, s48
	;; [unrolled: 1-line block ×13, first 2 shown]
	s_mov_b64 s[36:37], s[4:5]
	s_mov_b32 s50, s7
	s_mov_b32 s33, s6
	s_swappc_b64 s[30:31], s[10:11]
	v_mov_b32_e32 v0, v43
	s_mov_b32 s6, s33
	s_mov_b32 s7, s50
	s_mov_b64 s[4:5], s[36:37]
	s_mov_b64 s[8:9], 0
.LBB822_4:
	s_andn2_b64 vcc, exec, s[8:9]
	s_cbranch_vccnz .LBB822_6
; %bb.5:
	s_add_u32 s8, s4, 0x58
	s_addc_u32 s9, s5, 0
	s_getpc_b64 s[4:5]
	s_add_u32 s4, s4, _ZN7rocprim17ROCPRIM_400000_NS6detail26segmented_warp_sort_helperINS1_20WarpSortHelperConfigILj16ELj16ELj256EEEllLi256ELb0EvE4sortIPKlPlS8_S9_EEvT_T0_T1_T2_jjjjRNS5_12storage_typeE@rel32@lo+4
	s_addc_u32 s5, s5, _ZN7rocprim17ROCPRIM_400000_NS6detail26segmented_warp_sort_helperINS1_20WarpSortHelperConfigILj16ELj16ELj256EEEllLi256ELb0EvE4sortIPKlPlS8_S9_EEvT_T0_T1_T2_jjjjRNS5_12storage_typeE@rel32@hi+12
	v_or3_b32 v31, v0, v45, v44
	s_mov_b32 s12, s6
	s_mov_b32 s13, s7
	v_mov_b32_e32 v0, s48
	v_mov_b32_e32 v1, s49
	;; [unrolled: 1-line block ×12, first 2 shown]
	s_swappc_b64 s[30:31], s[4:5]
.LBB822_6:
	s_endpgm
	.section	.rodata,"a",@progbits
	.p2align	6, 0x0
	.amdhsa_kernel _ZN7rocprim17ROCPRIM_400000_NS6detail17trampoline_kernelINS0_14default_configENS1_36segmented_radix_sort_config_selectorIllEEZNS1_25segmented_radix_sort_implIS3_Lb0EPKlPlS8_S9_N2at6native12_GLOBAL__N_18offset_tEEE10hipError_tPvRmT1_PNSt15iterator_traitsISH_E10value_typeET2_T3_PNSI_ISN_E10value_typeET4_jRbjT5_ST_jjP12ihipStream_tbEUlT_E0_NS1_11comp_targetILNS1_3genE2ELNS1_11target_archE906ELNS1_3gpuE6ELNS1_3repE0EEENS1_60segmented_radix_sort_warp_sort_medium_config_static_selectorELNS0_4arch9wavefront6targetE1EEEvSH_
		.amdhsa_group_segment_fixed_size 65536
		.amdhsa_private_segment_fixed_size 8
		.amdhsa_kernarg_size 344
		.amdhsa_user_sgpr_count 6
		.amdhsa_user_sgpr_private_segment_buffer 1
		.amdhsa_user_sgpr_dispatch_ptr 0
		.amdhsa_user_sgpr_queue_ptr 0
		.amdhsa_user_sgpr_kernarg_segment_ptr 1
		.amdhsa_user_sgpr_dispatch_id 0
		.amdhsa_user_sgpr_flat_scratch_init 0
		.amdhsa_user_sgpr_private_segment_size 0
		.amdhsa_uses_dynamic_stack 0
		.amdhsa_system_sgpr_private_segment_wavefront_offset 1
		.amdhsa_system_sgpr_workgroup_id_x 1
		.amdhsa_system_sgpr_workgroup_id_y 1
		.amdhsa_system_sgpr_workgroup_id_z 0
		.amdhsa_system_sgpr_workgroup_info 0
		.amdhsa_system_vgpr_workitem_id 2
		.amdhsa_next_free_vgpr 164
		.amdhsa_next_free_sgpr 98
		.amdhsa_reserve_vcc 1
		.amdhsa_reserve_flat_scratch 0
		.amdhsa_float_round_mode_32 0
		.amdhsa_float_round_mode_16_64 0
		.amdhsa_float_denorm_mode_32 3
		.amdhsa_float_denorm_mode_16_64 3
		.amdhsa_dx10_clamp 1
		.amdhsa_ieee_mode 1
		.amdhsa_fp16_overflow 0
		.amdhsa_exception_fp_ieee_invalid_op 0
		.amdhsa_exception_fp_denorm_src 0
		.amdhsa_exception_fp_ieee_div_zero 0
		.amdhsa_exception_fp_ieee_overflow 0
		.amdhsa_exception_fp_ieee_underflow 0
		.amdhsa_exception_fp_ieee_inexact 0
		.amdhsa_exception_int_div_zero 0
	.end_amdhsa_kernel
	.section	.text._ZN7rocprim17ROCPRIM_400000_NS6detail17trampoline_kernelINS0_14default_configENS1_36segmented_radix_sort_config_selectorIllEEZNS1_25segmented_radix_sort_implIS3_Lb0EPKlPlS8_S9_N2at6native12_GLOBAL__N_18offset_tEEE10hipError_tPvRmT1_PNSt15iterator_traitsISH_E10value_typeET2_T3_PNSI_ISN_E10value_typeET4_jRbjT5_ST_jjP12ihipStream_tbEUlT_E0_NS1_11comp_targetILNS1_3genE2ELNS1_11target_archE906ELNS1_3gpuE6ELNS1_3repE0EEENS1_60segmented_radix_sort_warp_sort_medium_config_static_selectorELNS0_4arch9wavefront6targetE1EEEvSH_,"axG",@progbits,_ZN7rocprim17ROCPRIM_400000_NS6detail17trampoline_kernelINS0_14default_configENS1_36segmented_radix_sort_config_selectorIllEEZNS1_25segmented_radix_sort_implIS3_Lb0EPKlPlS8_S9_N2at6native12_GLOBAL__N_18offset_tEEE10hipError_tPvRmT1_PNSt15iterator_traitsISH_E10value_typeET2_T3_PNSI_ISN_E10value_typeET4_jRbjT5_ST_jjP12ihipStream_tbEUlT_E0_NS1_11comp_targetILNS1_3genE2ELNS1_11target_archE906ELNS1_3gpuE6ELNS1_3repE0EEENS1_60segmented_radix_sort_warp_sort_medium_config_static_selectorELNS0_4arch9wavefront6targetE1EEEvSH_,comdat
.Lfunc_end822:
	.size	_ZN7rocprim17ROCPRIM_400000_NS6detail17trampoline_kernelINS0_14default_configENS1_36segmented_radix_sort_config_selectorIllEEZNS1_25segmented_radix_sort_implIS3_Lb0EPKlPlS8_S9_N2at6native12_GLOBAL__N_18offset_tEEE10hipError_tPvRmT1_PNSt15iterator_traitsISH_E10value_typeET2_T3_PNSI_ISN_E10value_typeET4_jRbjT5_ST_jjP12ihipStream_tbEUlT_E0_NS1_11comp_targetILNS1_3genE2ELNS1_11target_archE906ELNS1_3gpuE6ELNS1_3repE0EEENS1_60segmented_radix_sort_warp_sort_medium_config_static_selectorELNS0_4arch9wavefront6targetE1EEEvSH_, .Lfunc_end822-_ZN7rocprim17ROCPRIM_400000_NS6detail17trampoline_kernelINS0_14default_configENS1_36segmented_radix_sort_config_selectorIllEEZNS1_25segmented_radix_sort_implIS3_Lb0EPKlPlS8_S9_N2at6native12_GLOBAL__N_18offset_tEEE10hipError_tPvRmT1_PNSt15iterator_traitsISH_E10value_typeET2_T3_PNSI_ISN_E10value_typeET4_jRbjT5_ST_jjP12ihipStream_tbEUlT_E0_NS1_11comp_targetILNS1_3genE2ELNS1_11target_archE906ELNS1_3gpuE6ELNS1_3repE0EEENS1_60segmented_radix_sort_warp_sort_medium_config_static_selectorELNS0_4arch9wavefront6targetE1EEEvSH_
                                        ; -- End function
	.set _ZN7rocprim17ROCPRIM_400000_NS6detail17trampoline_kernelINS0_14default_configENS1_36segmented_radix_sort_config_selectorIllEEZNS1_25segmented_radix_sort_implIS3_Lb0EPKlPlS8_S9_N2at6native12_GLOBAL__N_18offset_tEEE10hipError_tPvRmT1_PNSt15iterator_traitsISH_E10value_typeET2_T3_PNSI_ISN_E10value_typeET4_jRbjT5_ST_jjP12ihipStream_tbEUlT_E0_NS1_11comp_targetILNS1_3genE2ELNS1_11target_archE906ELNS1_3gpuE6ELNS1_3repE0EEENS1_60segmented_radix_sort_warp_sort_medium_config_static_selectorELNS0_4arch9wavefront6targetE1EEEvSH_.num_vgpr, max(46, .L_ZN7rocprim17ROCPRIM_400000_NS6detail26segmented_warp_sort_helperINS1_20WarpSortHelperConfigILj16ELj16ELj256EEEllLi256ELb0EvE4sortIPKlPlS8_S9_EEvT_T0_T1_T2_jjjjRNS5_12storage_typeE.num_vgpr)
	.set _ZN7rocprim17ROCPRIM_400000_NS6detail17trampoline_kernelINS0_14default_configENS1_36segmented_radix_sort_config_selectorIllEEZNS1_25segmented_radix_sort_implIS3_Lb0EPKlPlS8_S9_N2at6native12_GLOBAL__N_18offset_tEEE10hipError_tPvRmT1_PNSt15iterator_traitsISH_E10value_typeET2_T3_PNSI_ISN_E10value_typeET4_jRbjT5_ST_jjP12ihipStream_tbEUlT_E0_NS1_11comp_targetILNS1_3genE2ELNS1_11target_archE906ELNS1_3gpuE6ELNS1_3repE0EEENS1_60segmented_radix_sort_warp_sort_medium_config_static_selectorELNS0_4arch9wavefront6targetE1EEEvSH_.num_agpr, max(0, .L_ZN7rocprim17ROCPRIM_400000_NS6detail26segmented_warp_sort_helperINS1_20WarpSortHelperConfigILj16ELj16ELj256EEEllLi256ELb0EvE4sortIPKlPlS8_S9_EEvT_T0_T1_T2_jjjjRNS5_12storage_typeE.num_agpr)
	.set _ZN7rocprim17ROCPRIM_400000_NS6detail17trampoline_kernelINS0_14default_configENS1_36segmented_radix_sort_config_selectorIllEEZNS1_25segmented_radix_sort_implIS3_Lb0EPKlPlS8_S9_N2at6native12_GLOBAL__N_18offset_tEEE10hipError_tPvRmT1_PNSt15iterator_traitsISH_E10value_typeET2_T3_PNSI_ISN_E10value_typeET4_jRbjT5_ST_jjP12ihipStream_tbEUlT_E0_NS1_11comp_targetILNS1_3genE2ELNS1_11target_archE906ELNS1_3gpuE6ELNS1_3repE0EEENS1_60segmented_radix_sort_warp_sort_medium_config_static_selectorELNS0_4arch9wavefront6targetE1EEEvSH_.numbered_sgpr, max(56, .L_ZN7rocprim17ROCPRIM_400000_NS6detail26segmented_warp_sort_helperINS1_20WarpSortHelperConfigILj16ELj16ELj256EEEllLi256ELb0EvE4sortIPKlPlS8_S9_EEvT_T0_T1_T2_jjjjRNS5_12storage_typeE.numbered_sgpr)
	.set _ZN7rocprim17ROCPRIM_400000_NS6detail17trampoline_kernelINS0_14default_configENS1_36segmented_radix_sort_config_selectorIllEEZNS1_25segmented_radix_sort_implIS3_Lb0EPKlPlS8_S9_N2at6native12_GLOBAL__N_18offset_tEEE10hipError_tPvRmT1_PNSt15iterator_traitsISH_E10value_typeET2_T3_PNSI_ISN_E10value_typeET4_jRbjT5_ST_jjP12ihipStream_tbEUlT_E0_NS1_11comp_targetILNS1_3genE2ELNS1_11target_archE906ELNS1_3gpuE6ELNS1_3repE0EEENS1_60segmented_radix_sort_warp_sort_medium_config_static_selectorELNS0_4arch9wavefront6targetE1EEEvSH_.num_named_barrier, max(0, .L_ZN7rocprim17ROCPRIM_400000_NS6detail26segmented_warp_sort_helperINS1_20WarpSortHelperConfigILj16ELj16ELj256EEEllLi256ELb0EvE4sortIPKlPlS8_S9_EEvT_T0_T1_T2_jjjjRNS5_12storage_typeE.num_named_barrier)
	.set _ZN7rocprim17ROCPRIM_400000_NS6detail17trampoline_kernelINS0_14default_configENS1_36segmented_radix_sort_config_selectorIllEEZNS1_25segmented_radix_sort_implIS3_Lb0EPKlPlS8_S9_N2at6native12_GLOBAL__N_18offset_tEEE10hipError_tPvRmT1_PNSt15iterator_traitsISH_E10value_typeET2_T3_PNSI_ISN_E10value_typeET4_jRbjT5_ST_jjP12ihipStream_tbEUlT_E0_NS1_11comp_targetILNS1_3genE2ELNS1_11target_archE906ELNS1_3gpuE6ELNS1_3repE0EEENS1_60segmented_radix_sort_warp_sort_medium_config_static_selectorELNS0_4arch9wavefront6targetE1EEEvSH_.private_seg_size, 0+max(.L_ZN7rocprim17ROCPRIM_400000_NS6detail26segmented_warp_sort_helperINS1_20WarpSortHelperConfigILj16ELj16ELj256EEEllLi256ELb0EvE4sortIPKlPlS8_S9_EEvT_T0_T1_T2_jjjjRNS5_12storage_typeE.private_seg_size)
	.set _ZN7rocprim17ROCPRIM_400000_NS6detail17trampoline_kernelINS0_14default_configENS1_36segmented_radix_sort_config_selectorIllEEZNS1_25segmented_radix_sort_implIS3_Lb0EPKlPlS8_S9_N2at6native12_GLOBAL__N_18offset_tEEE10hipError_tPvRmT1_PNSt15iterator_traitsISH_E10value_typeET2_T3_PNSI_ISN_E10value_typeET4_jRbjT5_ST_jjP12ihipStream_tbEUlT_E0_NS1_11comp_targetILNS1_3genE2ELNS1_11target_archE906ELNS1_3gpuE6ELNS1_3repE0EEENS1_60segmented_radix_sort_warp_sort_medium_config_static_selectorELNS0_4arch9wavefront6targetE1EEEvSH_.uses_vcc, or(1, .L_ZN7rocprim17ROCPRIM_400000_NS6detail26segmented_warp_sort_helperINS1_20WarpSortHelperConfigILj16ELj16ELj256EEEllLi256ELb0EvE4sortIPKlPlS8_S9_EEvT_T0_T1_T2_jjjjRNS5_12storage_typeE.uses_vcc)
	.set _ZN7rocprim17ROCPRIM_400000_NS6detail17trampoline_kernelINS0_14default_configENS1_36segmented_radix_sort_config_selectorIllEEZNS1_25segmented_radix_sort_implIS3_Lb0EPKlPlS8_S9_N2at6native12_GLOBAL__N_18offset_tEEE10hipError_tPvRmT1_PNSt15iterator_traitsISH_E10value_typeET2_T3_PNSI_ISN_E10value_typeET4_jRbjT5_ST_jjP12ihipStream_tbEUlT_E0_NS1_11comp_targetILNS1_3genE2ELNS1_11target_archE906ELNS1_3gpuE6ELNS1_3repE0EEENS1_60segmented_radix_sort_warp_sort_medium_config_static_selectorELNS0_4arch9wavefront6targetE1EEEvSH_.uses_flat_scratch, or(0, .L_ZN7rocprim17ROCPRIM_400000_NS6detail26segmented_warp_sort_helperINS1_20WarpSortHelperConfigILj16ELj16ELj256EEEllLi256ELb0EvE4sortIPKlPlS8_S9_EEvT_T0_T1_T2_jjjjRNS5_12storage_typeE.uses_flat_scratch)
	.set _ZN7rocprim17ROCPRIM_400000_NS6detail17trampoline_kernelINS0_14default_configENS1_36segmented_radix_sort_config_selectorIllEEZNS1_25segmented_radix_sort_implIS3_Lb0EPKlPlS8_S9_N2at6native12_GLOBAL__N_18offset_tEEE10hipError_tPvRmT1_PNSt15iterator_traitsISH_E10value_typeET2_T3_PNSI_ISN_E10value_typeET4_jRbjT5_ST_jjP12ihipStream_tbEUlT_E0_NS1_11comp_targetILNS1_3genE2ELNS1_11target_archE906ELNS1_3gpuE6ELNS1_3repE0EEENS1_60segmented_radix_sort_warp_sort_medium_config_static_selectorELNS0_4arch9wavefront6targetE1EEEvSH_.has_dyn_sized_stack, or(0, .L_ZN7rocprim17ROCPRIM_400000_NS6detail26segmented_warp_sort_helperINS1_20WarpSortHelperConfigILj16ELj16ELj256EEEllLi256ELb0EvE4sortIPKlPlS8_S9_EEvT_T0_T1_T2_jjjjRNS5_12storage_typeE.has_dyn_sized_stack)
	.set _ZN7rocprim17ROCPRIM_400000_NS6detail17trampoline_kernelINS0_14default_configENS1_36segmented_radix_sort_config_selectorIllEEZNS1_25segmented_radix_sort_implIS3_Lb0EPKlPlS8_S9_N2at6native12_GLOBAL__N_18offset_tEEE10hipError_tPvRmT1_PNSt15iterator_traitsISH_E10value_typeET2_T3_PNSI_ISN_E10value_typeET4_jRbjT5_ST_jjP12ihipStream_tbEUlT_E0_NS1_11comp_targetILNS1_3genE2ELNS1_11target_archE906ELNS1_3gpuE6ELNS1_3repE0EEENS1_60segmented_radix_sort_warp_sort_medium_config_static_selectorELNS0_4arch9wavefront6targetE1EEEvSH_.has_recursion, or(0, .L_ZN7rocprim17ROCPRIM_400000_NS6detail26segmented_warp_sort_helperINS1_20WarpSortHelperConfigILj16ELj16ELj256EEEllLi256ELb0EvE4sortIPKlPlS8_S9_EEvT_T0_T1_T2_jjjjRNS5_12storage_typeE.has_recursion)
	.set _ZN7rocprim17ROCPRIM_400000_NS6detail17trampoline_kernelINS0_14default_configENS1_36segmented_radix_sort_config_selectorIllEEZNS1_25segmented_radix_sort_implIS3_Lb0EPKlPlS8_S9_N2at6native12_GLOBAL__N_18offset_tEEE10hipError_tPvRmT1_PNSt15iterator_traitsISH_E10value_typeET2_T3_PNSI_ISN_E10value_typeET4_jRbjT5_ST_jjP12ihipStream_tbEUlT_E0_NS1_11comp_targetILNS1_3genE2ELNS1_11target_archE906ELNS1_3gpuE6ELNS1_3repE0EEENS1_60segmented_radix_sort_warp_sort_medium_config_static_selectorELNS0_4arch9wavefront6targetE1EEEvSH_.has_indirect_call, or(0, .L_ZN7rocprim17ROCPRIM_400000_NS6detail26segmented_warp_sort_helperINS1_20WarpSortHelperConfigILj16ELj16ELj256EEEllLi256ELb0EvE4sortIPKlPlS8_S9_EEvT_T0_T1_T2_jjjjRNS5_12storage_typeE.has_indirect_call)
	.section	.AMDGPU.csdata,"",@progbits
; Kernel info:
; codeLenInByte = 484
; TotalNumSgprs: 100
; NumVgprs: 164
; ScratchSize: 8
; MemoryBound: 0
; FloatMode: 240
; IeeeMode: 1
; LDSByteSize: 65536 bytes/workgroup (compile time only)
; SGPRBlocks: 12
; VGPRBlocks: 40
; NumSGPRsForWavesPerEU: 102
; NumVGPRsForWavesPerEU: 164
; Occupancy: 1
; WaveLimiterHint : 0
; COMPUTE_PGM_RSRC2:SCRATCH_EN: 1
; COMPUTE_PGM_RSRC2:USER_SGPR: 6
; COMPUTE_PGM_RSRC2:TRAP_HANDLER: 0
; COMPUTE_PGM_RSRC2:TGID_X_EN: 1
; COMPUTE_PGM_RSRC2:TGID_Y_EN: 1
; COMPUTE_PGM_RSRC2:TGID_Z_EN: 0
; COMPUTE_PGM_RSRC2:TIDIG_COMP_CNT: 2
	.section	.text._ZN7rocprim17ROCPRIM_400000_NS6detail17trampoline_kernelINS0_14default_configENS1_36segmented_radix_sort_config_selectorIllEEZNS1_25segmented_radix_sort_implIS3_Lb0EPKlPlS8_S9_N2at6native12_GLOBAL__N_18offset_tEEE10hipError_tPvRmT1_PNSt15iterator_traitsISH_E10value_typeET2_T3_PNSI_ISN_E10value_typeET4_jRbjT5_ST_jjP12ihipStream_tbEUlT_E0_NS1_11comp_targetILNS1_3genE10ELNS1_11target_archE1201ELNS1_3gpuE5ELNS1_3repE0EEENS1_60segmented_radix_sort_warp_sort_medium_config_static_selectorELNS0_4arch9wavefront6targetE1EEEvSH_,"axG",@progbits,_ZN7rocprim17ROCPRIM_400000_NS6detail17trampoline_kernelINS0_14default_configENS1_36segmented_radix_sort_config_selectorIllEEZNS1_25segmented_radix_sort_implIS3_Lb0EPKlPlS8_S9_N2at6native12_GLOBAL__N_18offset_tEEE10hipError_tPvRmT1_PNSt15iterator_traitsISH_E10value_typeET2_T3_PNSI_ISN_E10value_typeET4_jRbjT5_ST_jjP12ihipStream_tbEUlT_E0_NS1_11comp_targetILNS1_3genE10ELNS1_11target_archE1201ELNS1_3gpuE5ELNS1_3repE0EEENS1_60segmented_radix_sort_warp_sort_medium_config_static_selectorELNS0_4arch9wavefront6targetE1EEEvSH_,comdat
	.globl	_ZN7rocprim17ROCPRIM_400000_NS6detail17trampoline_kernelINS0_14default_configENS1_36segmented_radix_sort_config_selectorIllEEZNS1_25segmented_radix_sort_implIS3_Lb0EPKlPlS8_S9_N2at6native12_GLOBAL__N_18offset_tEEE10hipError_tPvRmT1_PNSt15iterator_traitsISH_E10value_typeET2_T3_PNSI_ISN_E10value_typeET4_jRbjT5_ST_jjP12ihipStream_tbEUlT_E0_NS1_11comp_targetILNS1_3genE10ELNS1_11target_archE1201ELNS1_3gpuE5ELNS1_3repE0EEENS1_60segmented_radix_sort_warp_sort_medium_config_static_selectorELNS0_4arch9wavefront6targetE1EEEvSH_ ; -- Begin function _ZN7rocprim17ROCPRIM_400000_NS6detail17trampoline_kernelINS0_14default_configENS1_36segmented_radix_sort_config_selectorIllEEZNS1_25segmented_radix_sort_implIS3_Lb0EPKlPlS8_S9_N2at6native12_GLOBAL__N_18offset_tEEE10hipError_tPvRmT1_PNSt15iterator_traitsISH_E10value_typeET2_T3_PNSI_ISN_E10value_typeET4_jRbjT5_ST_jjP12ihipStream_tbEUlT_E0_NS1_11comp_targetILNS1_3genE10ELNS1_11target_archE1201ELNS1_3gpuE5ELNS1_3repE0EEENS1_60segmented_radix_sort_warp_sort_medium_config_static_selectorELNS0_4arch9wavefront6targetE1EEEvSH_
	.p2align	8
	.type	_ZN7rocprim17ROCPRIM_400000_NS6detail17trampoline_kernelINS0_14default_configENS1_36segmented_radix_sort_config_selectorIllEEZNS1_25segmented_radix_sort_implIS3_Lb0EPKlPlS8_S9_N2at6native12_GLOBAL__N_18offset_tEEE10hipError_tPvRmT1_PNSt15iterator_traitsISH_E10value_typeET2_T3_PNSI_ISN_E10value_typeET4_jRbjT5_ST_jjP12ihipStream_tbEUlT_E0_NS1_11comp_targetILNS1_3genE10ELNS1_11target_archE1201ELNS1_3gpuE5ELNS1_3repE0EEENS1_60segmented_radix_sort_warp_sort_medium_config_static_selectorELNS0_4arch9wavefront6targetE1EEEvSH_,@function
_ZN7rocprim17ROCPRIM_400000_NS6detail17trampoline_kernelINS0_14default_configENS1_36segmented_radix_sort_config_selectorIllEEZNS1_25segmented_radix_sort_implIS3_Lb0EPKlPlS8_S9_N2at6native12_GLOBAL__N_18offset_tEEE10hipError_tPvRmT1_PNSt15iterator_traitsISH_E10value_typeET2_T3_PNSI_ISN_E10value_typeET4_jRbjT5_ST_jjP12ihipStream_tbEUlT_E0_NS1_11comp_targetILNS1_3genE10ELNS1_11target_archE1201ELNS1_3gpuE5ELNS1_3repE0EEENS1_60segmented_radix_sort_warp_sort_medium_config_static_selectorELNS0_4arch9wavefront6targetE1EEEvSH_: ; @_ZN7rocprim17ROCPRIM_400000_NS6detail17trampoline_kernelINS0_14default_configENS1_36segmented_radix_sort_config_selectorIllEEZNS1_25segmented_radix_sort_implIS3_Lb0EPKlPlS8_S9_N2at6native12_GLOBAL__N_18offset_tEEE10hipError_tPvRmT1_PNSt15iterator_traitsISH_E10value_typeET2_T3_PNSI_ISN_E10value_typeET4_jRbjT5_ST_jjP12ihipStream_tbEUlT_E0_NS1_11comp_targetILNS1_3genE10ELNS1_11target_archE1201ELNS1_3gpuE5ELNS1_3repE0EEENS1_60segmented_radix_sort_warp_sort_medium_config_static_selectorELNS0_4arch9wavefront6targetE1EEEvSH_
; %bb.0:
	.section	.rodata,"a",@progbits
	.p2align	6, 0x0
	.amdhsa_kernel _ZN7rocprim17ROCPRIM_400000_NS6detail17trampoline_kernelINS0_14default_configENS1_36segmented_radix_sort_config_selectorIllEEZNS1_25segmented_radix_sort_implIS3_Lb0EPKlPlS8_S9_N2at6native12_GLOBAL__N_18offset_tEEE10hipError_tPvRmT1_PNSt15iterator_traitsISH_E10value_typeET2_T3_PNSI_ISN_E10value_typeET4_jRbjT5_ST_jjP12ihipStream_tbEUlT_E0_NS1_11comp_targetILNS1_3genE10ELNS1_11target_archE1201ELNS1_3gpuE5ELNS1_3repE0EEENS1_60segmented_radix_sort_warp_sort_medium_config_static_selectorELNS0_4arch9wavefront6targetE1EEEvSH_
		.amdhsa_group_segment_fixed_size 0
		.amdhsa_private_segment_fixed_size 0
		.amdhsa_kernarg_size 88
		.amdhsa_user_sgpr_count 6
		.amdhsa_user_sgpr_private_segment_buffer 1
		.amdhsa_user_sgpr_dispatch_ptr 0
		.amdhsa_user_sgpr_queue_ptr 0
		.amdhsa_user_sgpr_kernarg_segment_ptr 1
		.amdhsa_user_sgpr_dispatch_id 0
		.amdhsa_user_sgpr_flat_scratch_init 0
		.amdhsa_user_sgpr_private_segment_size 0
		.amdhsa_uses_dynamic_stack 0
		.amdhsa_system_sgpr_private_segment_wavefront_offset 0
		.amdhsa_system_sgpr_workgroup_id_x 1
		.amdhsa_system_sgpr_workgroup_id_y 0
		.amdhsa_system_sgpr_workgroup_id_z 0
		.amdhsa_system_sgpr_workgroup_info 0
		.amdhsa_system_vgpr_workitem_id 0
		.amdhsa_next_free_vgpr 1
		.amdhsa_next_free_sgpr 0
		.amdhsa_reserve_vcc 0
		.amdhsa_reserve_flat_scratch 0
		.amdhsa_float_round_mode_32 0
		.amdhsa_float_round_mode_16_64 0
		.amdhsa_float_denorm_mode_32 3
		.amdhsa_float_denorm_mode_16_64 3
		.amdhsa_dx10_clamp 1
		.amdhsa_ieee_mode 1
		.amdhsa_fp16_overflow 0
		.amdhsa_exception_fp_ieee_invalid_op 0
		.amdhsa_exception_fp_denorm_src 0
		.amdhsa_exception_fp_ieee_div_zero 0
		.amdhsa_exception_fp_ieee_overflow 0
		.amdhsa_exception_fp_ieee_underflow 0
		.amdhsa_exception_fp_ieee_inexact 0
		.amdhsa_exception_int_div_zero 0
	.end_amdhsa_kernel
	.section	.text._ZN7rocprim17ROCPRIM_400000_NS6detail17trampoline_kernelINS0_14default_configENS1_36segmented_radix_sort_config_selectorIllEEZNS1_25segmented_radix_sort_implIS3_Lb0EPKlPlS8_S9_N2at6native12_GLOBAL__N_18offset_tEEE10hipError_tPvRmT1_PNSt15iterator_traitsISH_E10value_typeET2_T3_PNSI_ISN_E10value_typeET4_jRbjT5_ST_jjP12ihipStream_tbEUlT_E0_NS1_11comp_targetILNS1_3genE10ELNS1_11target_archE1201ELNS1_3gpuE5ELNS1_3repE0EEENS1_60segmented_radix_sort_warp_sort_medium_config_static_selectorELNS0_4arch9wavefront6targetE1EEEvSH_,"axG",@progbits,_ZN7rocprim17ROCPRIM_400000_NS6detail17trampoline_kernelINS0_14default_configENS1_36segmented_radix_sort_config_selectorIllEEZNS1_25segmented_radix_sort_implIS3_Lb0EPKlPlS8_S9_N2at6native12_GLOBAL__N_18offset_tEEE10hipError_tPvRmT1_PNSt15iterator_traitsISH_E10value_typeET2_T3_PNSI_ISN_E10value_typeET4_jRbjT5_ST_jjP12ihipStream_tbEUlT_E0_NS1_11comp_targetILNS1_3genE10ELNS1_11target_archE1201ELNS1_3gpuE5ELNS1_3repE0EEENS1_60segmented_radix_sort_warp_sort_medium_config_static_selectorELNS0_4arch9wavefront6targetE1EEEvSH_,comdat
.Lfunc_end823:
	.size	_ZN7rocprim17ROCPRIM_400000_NS6detail17trampoline_kernelINS0_14default_configENS1_36segmented_radix_sort_config_selectorIllEEZNS1_25segmented_radix_sort_implIS3_Lb0EPKlPlS8_S9_N2at6native12_GLOBAL__N_18offset_tEEE10hipError_tPvRmT1_PNSt15iterator_traitsISH_E10value_typeET2_T3_PNSI_ISN_E10value_typeET4_jRbjT5_ST_jjP12ihipStream_tbEUlT_E0_NS1_11comp_targetILNS1_3genE10ELNS1_11target_archE1201ELNS1_3gpuE5ELNS1_3repE0EEENS1_60segmented_radix_sort_warp_sort_medium_config_static_selectorELNS0_4arch9wavefront6targetE1EEEvSH_, .Lfunc_end823-_ZN7rocprim17ROCPRIM_400000_NS6detail17trampoline_kernelINS0_14default_configENS1_36segmented_radix_sort_config_selectorIllEEZNS1_25segmented_radix_sort_implIS3_Lb0EPKlPlS8_S9_N2at6native12_GLOBAL__N_18offset_tEEE10hipError_tPvRmT1_PNSt15iterator_traitsISH_E10value_typeET2_T3_PNSI_ISN_E10value_typeET4_jRbjT5_ST_jjP12ihipStream_tbEUlT_E0_NS1_11comp_targetILNS1_3genE10ELNS1_11target_archE1201ELNS1_3gpuE5ELNS1_3repE0EEENS1_60segmented_radix_sort_warp_sort_medium_config_static_selectorELNS0_4arch9wavefront6targetE1EEEvSH_
                                        ; -- End function
	.set _ZN7rocprim17ROCPRIM_400000_NS6detail17trampoline_kernelINS0_14default_configENS1_36segmented_radix_sort_config_selectorIllEEZNS1_25segmented_radix_sort_implIS3_Lb0EPKlPlS8_S9_N2at6native12_GLOBAL__N_18offset_tEEE10hipError_tPvRmT1_PNSt15iterator_traitsISH_E10value_typeET2_T3_PNSI_ISN_E10value_typeET4_jRbjT5_ST_jjP12ihipStream_tbEUlT_E0_NS1_11comp_targetILNS1_3genE10ELNS1_11target_archE1201ELNS1_3gpuE5ELNS1_3repE0EEENS1_60segmented_radix_sort_warp_sort_medium_config_static_selectorELNS0_4arch9wavefront6targetE1EEEvSH_.num_vgpr, 0
	.set _ZN7rocprim17ROCPRIM_400000_NS6detail17trampoline_kernelINS0_14default_configENS1_36segmented_radix_sort_config_selectorIllEEZNS1_25segmented_radix_sort_implIS3_Lb0EPKlPlS8_S9_N2at6native12_GLOBAL__N_18offset_tEEE10hipError_tPvRmT1_PNSt15iterator_traitsISH_E10value_typeET2_T3_PNSI_ISN_E10value_typeET4_jRbjT5_ST_jjP12ihipStream_tbEUlT_E0_NS1_11comp_targetILNS1_3genE10ELNS1_11target_archE1201ELNS1_3gpuE5ELNS1_3repE0EEENS1_60segmented_radix_sort_warp_sort_medium_config_static_selectorELNS0_4arch9wavefront6targetE1EEEvSH_.num_agpr, 0
	.set _ZN7rocprim17ROCPRIM_400000_NS6detail17trampoline_kernelINS0_14default_configENS1_36segmented_radix_sort_config_selectorIllEEZNS1_25segmented_radix_sort_implIS3_Lb0EPKlPlS8_S9_N2at6native12_GLOBAL__N_18offset_tEEE10hipError_tPvRmT1_PNSt15iterator_traitsISH_E10value_typeET2_T3_PNSI_ISN_E10value_typeET4_jRbjT5_ST_jjP12ihipStream_tbEUlT_E0_NS1_11comp_targetILNS1_3genE10ELNS1_11target_archE1201ELNS1_3gpuE5ELNS1_3repE0EEENS1_60segmented_radix_sort_warp_sort_medium_config_static_selectorELNS0_4arch9wavefront6targetE1EEEvSH_.numbered_sgpr, 0
	.set _ZN7rocprim17ROCPRIM_400000_NS6detail17trampoline_kernelINS0_14default_configENS1_36segmented_radix_sort_config_selectorIllEEZNS1_25segmented_radix_sort_implIS3_Lb0EPKlPlS8_S9_N2at6native12_GLOBAL__N_18offset_tEEE10hipError_tPvRmT1_PNSt15iterator_traitsISH_E10value_typeET2_T3_PNSI_ISN_E10value_typeET4_jRbjT5_ST_jjP12ihipStream_tbEUlT_E0_NS1_11comp_targetILNS1_3genE10ELNS1_11target_archE1201ELNS1_3gpuE5ELNS1_3repE0EEENS1_60segmented_radix_sort_warp_sort_medium_config_static_selectorELNS0_4arch9wavefront6targetE1EEEvSH_.num_named_barrier, 0
	.set _ZN7rocprim17ROCPRIM_400000_NS6detail17trampoline_kernelINS0_14default_configENS1_36segmented_radix_sort_config_selectorIllEEZNS1_25segmented_radix_sort_implIS3_Lb0EPKlPlS8_S9_N2at6native12_GLOBAL__N_18offset_tEEE10hipError_tPvRmT1_PNSt15iterator_traitsISH_E10value_typeET2_T3_PNSI_ISN_E10value_typeET4_jRbjT5_ST_jjP12ihipStream_tbEUlT_E0_NS1_11comp_targetILNS1_3genE10ELNS1_11target_archE1201ELNS1_3gpuE5ELNS1_3repE0EEENS1_60segmented_radix_sort_warp_sort_medium_config_static_selectorELNS0_4arch9wavefront6targetE1EEEvSH_.private_seg_size, 0
	.set _ZN7rocprim17ROCPRIM_400000_NS6detail17trampoline_kernelINS0_14default_configENS1_36segmented_radix_sort_config_selectorIllEEZNS1_25segmented_radix_sort_implIS3_Lb0EPKlPlS8_S9_N2at6native12_GLOBAL__N_18offset_tEEE10hipError_tPvRmT1_PNSt15iterator_traitsISH_E10value_typeET2_T3_PNSI_ISN_E10value_typeET4_jRbjT5_ST_jjP12ihipStream_tbEUlT_E0_NS1_11comp_targetILNS1_3genE10ELNS1_11target_archE1201ELNS1_3gpuE5ELNS1_3repE0EEENS1_60segmented_radix_sort_warp_sort_medium_config_static_selectorELNS0_4arch9wavefront6targetE1EEEvSH_.uses_vcc, 0
	.set _ZN7rocprim17ROCPRIM_400000_NS6detail17trampoline_kernelINS0_14default_configENS1_36segmented_radix_sort_config_selectorIllEEZNS1_25segmented_radix_sort_implIS3_Lb0EPKlPlS8_S9_N2at6native12_GLOBAL__N_18offset_tEEE10hipError_tPvRmT1_PNSt15iterator_traitsISH_E10value_typeET2_T3_PNSI_ISN_E10value_typeET4_jRbjT5_ST_jjP12ihipStream_tbEUlT_E0_NS1_11comp_targetILNS1_3genE10ELNS1_11target_archE1201ELNS1_3gpuE5ELNS1_3repE0EEENS1_60segmented_radix_sort_warp_sort_medium_config_static_selectorELNS0_4arch9wavefront6targetE1EEEvSH_.uses_flat_scratch, 0
	.set _ZN7rocprim17ROCPRIM_400000_NS6detail17trampoline_kernelINS0_14default_configENS1_36segmented_radix_sort_config_selectorIllEEZNS1_25segmented_radix_sort_implIS3_Lb0EPKlPlS8_S9_N2at6native12_GLOBAL__N_18offset_tEEE10hipError_tPvRmT1_PNSt15iterator_traitsISH_E10value_typeET2_T3_PNSI_ISN_E10value_typeET4_jRbjT5_ST_jjP12ihipStream_tbEUlT_E0_NS1_11comp_targetILNS1_3genE10ELNS1_11target_archE1201ELNS1_3gpuE5ELNS1_3repE0EEENS1_60segmented_radix_sort_warp_sort_medium_config_static_selectorELNS0_4arch9wavefront6targetE1EEEvSH_.has_dyn_sized_stack, 0
	.set _ZN7rocprim17ROCPRIM_400000_NS6detail17trampoline_kernelINS0_14default_configENS1_36segmented_radix_sort_config_selectorIllEEZNS1_25segmented_radix_sort_implIS3_Lb0EPKlPlS8_S9_N2at6native12_GLOBAL__N_18offset_tEEE10hipError_tPvRmT1_PNSt15iterator_traitsISH_E10value_typeET2_T3_PNSI_ISN_E10value_typeET4_jRbjT5_ST_jjP12ihipStream_tbEUlT_E0_NS1_11comp_targetILNS1_3genE10ELNS1_11target_archE1201ELNS1_3gpuE5ELNS1_3repE0EEENS1_60segmented_radix_sort_warp_sort_medium_config_static_selectorELNS0_4arch9wavefront6targetE1EEEvSH_.has_recursion, 0
	.set _ZN7rocprim17ROCPRIM_400000_NS6detail17trampoline_kernelINS0_14default_configENS1_36segmented_radix_sort_config_selectorIllEEZNS1_25segmented_radix_sort_implIS3_Lb0EPKlPlS8_S9_N2at6native12_GLOBAL__N_18offset_tEEE10hipError_tPvRmT1_PNSt15iterator_traitsISH_E10value_typeET2_T3_PNSI_ISN_E10value_typeET4_jRbjT5_ST_jjP12ihipStream_tbEUlT_E0_NS1_11comp_targetILNS1_3genE10ELNS1_11target_archE1201ELNS1_3gpuE5ELNS1_3repE0EEENS1_60segmented_radix_sort_warp_sort_medium_config_static_selectorELNS0_4arch9wavefront6targetE1EEEvSH_.has_indirect_call, 0
	.section	.AMDGPU.csdata,"",@progbits
; Kernel info:
; codeLenInByte = 0
; TotalNumSgprs: 4
; NumVgprs: 0
; ScratchSize: 0
; MemoryBound: 0
; FloatMode: 240
; IeeeMode: 1
; LDSByteSize: 0 bytes/workgroup (compile time only)
; SGPRBlocks: 0
; VGPRBlocks: 0
; NumSGPRsForWavesPerEU: 4
; NumVGPRsForWavesPerEU: 1
; Occupancy: 10
; WaveLimiterHint : 0
; COMPUTE_PGM_RSRC2:SCRATCH_EN: 0
; COMPUTE_PGM_RSRC2:USER_SGPR: 6
; COMPUTE_PGM_RSRC2:TRAP_HANDLER: 0
; COMPUTE_PGM_RSRC2:TGID_X_EN: 1
; COMPUTE_PGM_RSRC2:TGID_Y_EN: 0
; COMPUTE_PGM_RSRC2:TGID_Z_EN: 0
; COMPUTE_PGM_RSRC2:TIDIG_COMP_CNT: 0
	.section	.text._ZN7rocprim17ROCPRIM_400000_NS6detail17trampoline_kernelINS0_14default_configENS1_36segmented_radix_sort_config_selectorIllEEZNS1_25segmented_radix_sort_implIS3_Lb0EPKlPlS8_S9_N2at6native12_GLOBAL__N_18offset_tEEE10hipError_tPvRmT1_PNSt15iterator_traitsISH_E10value_typeET2_T3_PNSI_ISN_E10value_typeET4_jRbjT5_ST_jjP12ihipStream_tbEUlT_E0_NS1_11comp_targetILNS1_3genE10ELNS1_11target_archE1200ELNS1_3gpuE4ELNS1_3repE0EEENS1_60segmented_radix_sort_warp_sort_medium_config_static_selectorELNS0_4arch9wavefront6targetE1EEEvSH_,"axG",@progbits,_ZN7rocprim17ROCPRIM_400000_NS6detail17trampoline_kernelINS0_14default_configENS1_36segmented_radix_sort_config_selectorIllEEZNS1_25segmented_radix_sort_implIS3_Lb0EPKlPlS8_S9_N2at6native12_GLOBAL__N_18offset_tEEE10hipError_tPvRmT1_PNSt15iterator_traitsISH_E10value_typeET2_T3_PNSI_ISN_E10value_typeET4_jRbjT5_ST_jjP12ihipStream_tbEUlT_E0_NS1_11comp_targetILNS1_3genE10ELNS1_11target_archE1200ELNS1_3gpuE4ELNS1_3repE0EEENS1_60segmented_radix_sort_warp_sort_medium_config_static_selectorELNS0_4arch9wavefront6targetE1EEEvSH_,comdat
	.globl	_ZN7rocprim17ROCPRIM_400000_NS6detail17trampoline_kernelINS0_14default_configENS1_36segmented_radix_sort_config_selectorIllEEZNS1_25segmented_radix_sort_implIS3_Lb0EPKlPlS8_S9_N2at6native12_GLOBAL__N_18offset_tEEE10hipError_tPvRmT1_PNSt15iterator_traitsISH_E10value_typeET2_T3_PNSI_ISN_E10value_typeET4_jRbjT5_ST_jjP12ihipStream_tbEUlT_E0_NS1_11comp_targetILNS1_3genE10ELNS1_11target_archE1200ELNS1_3gpuE4ELNS1_3repE0EEENS1_60segmented_radix_sort_warp_sort_medium_config_static_selectorELNS0_4arch9wavefront6targetE1EEEvSH_ ; -- Begin function _ZN7rocprim17ROCPRIM_400000_NS6detail17trampoline_kernelINS0_14default_configENS1_36segmented_radix_sort_config_selectorIllEEZNS1_25segmented_radix_sort_implIS3_Lb0EPKlPlS8_S9_N2at6native12_GLOBAL__N_18offset_tEEE10hipError_tPvRmT1_PNSt15iterator_traitsISH_E10value_typeET2_T3_PNSI_ISN_E10value_typeET4_jRbjT5_ST_jjP12ihipStream_tbEUlT_E0_NS1_11comp_targetILNS1_3genE10ELNS1_11target_archE1200ELNS1_3gpuE4ELNS1_3repE0EEENS1_60segmented_radix_sort_warp_sort_medium_config_static_selectorELNS0_4arch9wavefront6targetE1EEEvSH_
	.p2align	8
	.type	_ZN7rocprim17ROCPRIM_400000_NS6detail17trampoline_kernelINS0_14default_configENS1_36segmented_radix_sort_config_selectorIllEEZNS1_25segmented_radix_sort_implIS3_Lb0EPKlPlS8_S9_N2at6native12_GLOBAL__N_18offset_tEEE10hipError_tPvRmT1_PNSt15iterator_traitsISH_E10value_typeET2_T3_PNSI_ISN_E10value_typeET4_jRbjT5_ST_jjP12ihipStream_tbEUlT_E0_NS1_11comp_targetILNS1_3genE10ELNS1_11target_archE1200ELNS1_3gpuE4ELNS1_3repE0EEENS1_60segmented_radix_sort_warp_sort_medium_config_static_selectorELNS0_4arch9wavefront6targetE1EEEvSH_,@function
_ZN7rocprim17ROCPRIM_400000_NS6detail17trampoline_kernelINS0_14default_configENS1_36segmented_radix_sort_config_selectorIllEEZNS1_25segmented_radix_sort_implIS3_Lb0EPKlPlS8_S9_N2at6native12_GLOBAL__N_18offset_tEEE10hipError_tPvRmT1_PNSt15iterator_traitsISH_E10value_typeET2_T3_PNSI_ISN_E10value_typeET4_jRbjT5_ST_jjP12ihipStream_tbEUlT_E0_NS1_11comp_targetILNS1_3genE10ELNS1_11target_archE1200ELNS1_3gpuE4ELNS1_3repE0EEENS1_60segmented_radix_sort_warp_sort_medium_config_static_selectorELNS0_4arch9wavefront6targetE1EEEvSH_: ; @_ZN7rocprim17ROCPRIM_400000_NS6detail17trampoline_kernelINS0_14default_configENS1_36segmented_radix_sort_config_selectorIllEEZNS1_25segmented_radix_sort_implIS3_Lb0EPKlPlS8_S9_N2at6native12_GLOBAL__N_18offset_tEEE10hipError_tPvRmT1_PNSt15iterator_traitsISH_E10value_typeET2_T3_PNSI_ISN_E10value_typeET4_jRbjT5_ST_jjP12ihipStream_tbEUlT_E0_NS1_11comp_targetILNS1_3genE10ELNS1_11target_archE1200ELNS1_3gpuE4ELNS1_3repE0EEENS1_60segmented_radix_sort_warp_sort_medium_config_static_selectorELNS0_4arch9wavefront6targetE1EEEvSH_
; %bb.0:
	.section	.rodata,"a",@progbits
	.p2align	6, 0x0
	.amdhsa_kernel _ZN7rocprim17ROCPRIM_400000_NS6detail17trampoline_kernelINS0_14default_configENS1_36segmented_radix_sort_config_selectorIllEEZNS1_25segmented_radix_sort_implIS3_Lb0EPKlPlS8_S9_N2at6native12_GLOBAL__N_18offset_tEEE10hipError_tPvRmT1_PNSt15iterator_traitsISH_E10value_typeET2_T3_PNSI_ISN_E10value_typeET4_jRbjT5_ST_jjP12ihipStream_tbEUlT_E0_NS1_11comp_targetILNS1_3genE10ELNS1_11target_archE1200ELNS1_3gpuE4ELNS1_3repE0EEENS1_60segmented_radix_sort_warp_sort_medium_config_static_selectorELNS0_4arch9wavefront6targetE1EEEvSH_
		.amdhsa_group_segment_fixed_size 0
		.amdhsa_private_segment_fixed_size 0
		.amdhsa_kernarg_size 88
		.amdhsa_user_sgpr_count 6
		.amdhsa_user_sgpr_private_segment_buffer 1
		.amdhsa_user_sgpr_dispatch_ptr 0
		.amdhsa_user_sgpr_queue_ptr 0
		.amdhsa_user_sgpr_kernarg_segment_ptr 1
		.amdhsa_user_sgpr_dispatch_id 0
		.amdhsa_user_sgpr_flat_scratch_init 0
		.amdhsa_user_sgpr_private_segment_size 0
		.amdhsa_uses_dynamic_stack 0
		.amdhsa_system_sgpr_private_segment_wavefront_offset 0
		.amdhsa_system_sgpr_workgroup_id_x 1
		.amdhsa_system_sgpr_workgroup_id_y 0
		.amdhsa_system_sgpr_workgroup_id_z 0
		.amdhsa_system_sgpr_workgroup_info 0
		.amdhsa_system_vgpr_workitem_id 0
		.amdhsa_next_free_vgpr 1
		.amdhsa_next_free_sgpr 0
		.amdhsa_reserve_vcc 0
		.amdhsa_reserve_flat_scratch 0
		.amdhsa_float_round_mode_32 0
		.amdhsa_float_round_mode_16_64 0
		.amdhsa_float_denorm_mode_32 3
		.amdhsa_float_denorm_mode_16_64 3
		.amdhsa_dx10_clamp 1
		.amdhsa_ieee_mode 1
		.amdhsa_fp16_overflow 0
		.amdhsa_exception_fp_ieee_invalid_op 0
		.amdhsa_exception_fp_denorm_src 0
		.amdhsa_exception_fp_ieee_div_zero 0
		.amdhsa_exception_fp_ieee_overflow 0
		.amdhsa_exception_fp_ieee_underflow 0
		.amdhsa_exception_fp_ieee_inexact 0
		.amdhsa_exception_int_div_zero 0
	.end_amdhsa_kernel
	.section	.text._ZN7rocprim17ROCPRIM_400000_NS6detail17trampoline_kernelINS0_14default_configENS1_36segmented_radix_sort_config_selectorIllEEZNS1_25segmented_radix_sort_implIS3_Lb0EPKlPlS8_S9_N2at6native12_GLOBAL__N_18offset_tEEE10hipError_tPvRmT1_PNSt15iterator_traitsISH_E10value_typeET2_T3_PNSI_ISN_E10value_typeET4_jRbjT5_ST_jjP12ihipStream_tbEUlT_E0_NS1_11comp_targetILNS1_3genE10ELNS1_11target_archE1200ELNS1_3gpuE4ELNS1_3repE0EEENS1_60segmented_radix_sort_warp_sort_medium_config_static_selectorELNS0_4arch9wavefront6targetE1EEEvSH_,"axG",@progbits,_ZN7rocprim17ROCPRIM_400000_NS6detail17trampoline_kernelINS0_14default_configENS1_36segmented_radix_sort_config_selectorIllEEZNS1_25segmented_radix_sort_implIS3_Lb0EPKlPlS8_S9_N2at6native12_GLOBAL__N_18offset_tEEE10hipError_tPvRmT1_PNSt15iterator_traitsISH_E10value_typeET2_T3_PNSI_ISN_E10value_typeET4_jRbjT5_ST_jjP12ihipStream_tbEUlT_E0_NS1_11comp_targetILNS1_3genE10ELNS1_11target_archE1200ELNS1_3gpuE4ELNS1_3repE0EEENS1_60segmented_radix_sort_warp_sort_medium_config_static_selectorELNS0_4arch9wavefront6targetE1EEEvSH_,comdat
.Lfunc_end824:
	.size	_ZN7rocprim17ROCPRIM_400000_NS6detail17trampoline_kernelINS0_14default_configENS1_36segmented_radix_sort_config_selectorIllEEZNS1_25segmented_radix_sort_implIS3_Lb0EPKlPlS8_S9_N2at6native12_GLOBAL__N_18offset_tEEE10hipError_tPvRmT1_PNSt15iterator_traitsISH_E10value_typeET2_T3_PNSI_ISN_E10value_typeET4_jRbjT5_ST_jjP12ihipStream_tbEUlT_E0_NS1_11comp_targetILNS1_3genE10ELNS1_11target_archE1200ELNS1_3gpuE4ELNS1_3repE0EEENS1_60segmented_radix_sort_warp_sort_medium_config_static_selectorELNS0_4arch9wavefront6targetE1EEEvSH_, .Lfunc_end824-_ZN7rocprim17ROCPRIM_400000_NS6detail17trampoline_kernelINS0_14default_configENS1_36segmented_radix_sort_config_selectorIllEEZNS1_25segmented_radix_sort_implIS3_Lb0EPKlPlS8_S9_N2at6native12_GLOBAL__N_18offset_tEEE10hipError_tPvRmT1_PNSt15iterator_traitsISH_E10value_typeET2_T3_PNSI_ISN_E10value_typeET4_jRbjT5_ST_jjP12ihipStream_tbEUlT_E0_NS1_11comp_targetILNS1_3genE10ELNS1_11target_archE1200ELNS1_3gpuE4ELNS1_3repE0EEENS1_60segmented_radix_sort_warp_sort_medium_config_static_selectorELNS0_4arch9wavefront6targetE1EEEvSH_
                                        ; -- End function
	.set _ZN7rocprim17ROCPRIM_400000_NS6detail17trampoline_kernelINS0_14default_configENS1_36segmented_radix_sort_config_selectorIllEEZNS1_25segmented_radix_sort_implIS3_Lb0EPKlPlS8_S9_N2at6native12_GLOBAL__N_18offset_tEEE10hipError_tPvRmT1_PNSt15iterator_traitsISH_E10value_typeET2_T3_PNSI_ISN_E10value_typeET4_jRbjT5_ST_jjP12ihipStream_tbEUlT_E0_NS1_11comp_targetILNS1_3genE10ELNS1_11target_archE1200ELNS1_3gpuE4ELNS1_3repE0EEENS1_60segmented_radix_sort_warp_sort_medium_config_static_selectorELNS0_4arch9wavefront6targetE1EEEvSH_.num_vgpr, 0
	.set _ZN7rocprim17ROCPRIM_400000_NS6detail17trampoline_kernelINS0_14default_configENS1_36segmented_radix_sort_config_selectorIllEEZNS1_25segmented_radix_sort_implIS3_Lb0EPKlPlS8_S9_N2at6native12_GLOBAL__N_18offset_tEEE10hipError_tPvRmT1_PNSt15iterator_traitsISH_E10value_typeET2_T3_PNSI_ISN_E10value_typeET4_jRbjT5_ST_jjP12ihipStream_tbEUlT_E0_NS1_11comp_targetILNS1_3genE10ELNS1_11target_archE1200ELNS1_3gpuE4ELNS1_3repE0EEENS1_60segmented_radix_sort_warp_sort_medium_config_static_selectorELNS0_4arch9wavefront6targetE1EEEvSH_.num_agpr, 0
	.set _ZN7rocprim17ROCPRIM_400000_NS6detail17trampoline_kernelINS0_14default_configENS1_36segmented_radix_sort_config_selectorIllEEZNS1_25segmented_radix_sort_implIS3_Lb0EPKlPlS8_S9_N2at6native12_GLOBAL__N_18offset_tEEE10hipError_tPvRmT1_PNSt15iterator_traitsISH_E10value_typeET2_T3_PNSI_ISN_E10value_typeET4_jRbjT5_ST_jjP12ihipStream_tbEUlT_E0_NS1_11comp_targetILNS1_3genE10ELNS1_11target_archE1200ELNS1_3gpuE4ELNS1_3repE0EEENS1_60segmented_radix_sort_warp_sort_medium_config_static_selectorELNS0_4arch9wavefront6targetE1EEEvSH_.numbered_sgpr, 0
	.set _ZN7rocprim17ROCPRIM_400000_NS6detail17trampoline_kernelINS0_14default_configENS1_36segmented_radix_sort_config_selectorIllEEZNS1_25segmented_radix_sort_implIS3_Lb0EPKlPlS8_S9_N2at6native12_GLOBAL__N_18offset_tEEE10hipError_tPvRmT1_PNSt15iterator_traitsISH_E10value_typeET2_T3_PNSI_ISN_E10value_typeET4_jRbjT5_ST_jjP12ihipStream_tbEUlT_E0_NS1_11comp_targetILNS1_3genE10ELNS1_11target_archE1200ELNS1_3gpuE4ELNS1_3repE0EEENS1_60segmented_radix_sort_warp_sort_medium_config_static_selectorELNS0_4arch9wavefront6targetE1EEEvSH_.num_named_barrier, 0
	.set _ZN7rocprim17ROCPRIM_400000_NS6detail17trampoline_kernelINS0_14default_configENS1_36segmented_radix_sort_config_selectorIllEEZNS1_25segmented_radix_sort_implIS3_Lb0EPKlPlS8_S9_N2at6native12_GLOBAL__N_18offset_tEEE10hipError_tPvRmT1_PNSt15iterator_traitsISH_E10value_typeET2_T3_PNSI_ISN_E10value_typeET4_jRbjT5_ST_jjP12ihipStream_tbEUlT_E0_NS1_11comp_targetILNS1_3genE10ELNS1_11target_archE1200ELNS1_3gpuE4ELNS1_3repE0EEENS1_60segmented_radix_sort_warp_sort_medium_config_static_selectorELNS0_4arch9wavefront6targetE1EEEvSH_.private_seg_size, 0
	.set _ZN7rocprim17ROCPRIM_400000_NS6detail17trampoline_kernelINS0_14default_configENS1_36segmented_radix_sort_config_selectorIllEEZNS1_25segmented_radix_sort_implIS3_Lb0EPKlPlS8_S9_N2at6native12_GLOBAL__N_18offset_tEEE10hipError_tPvRmT1_PNSt15iterator_traitsISH_E10value_typeET2_T3_PNSI_ISN_E10value_typeET4_jRbjT5_ST_jjP12ihipStream_tbEUlT_E0_NS1_11comp_targetILNS1_3genE10ELNS1_11target_archE1200ELNS1_3gpuE4ELNS1_3repE0EEENS1_60segmented_radix_sort_warp_sort_medium_config_static_selectorELNS0_4arch9wavefront6targetE1EEEvSH_.uses_vcc, 0
	.set _ZN7rocprim17ROCPRIM_400000_NS6detail17trampoline_kernelINS0_14default_configENS1_36segmented_radix_sort_config_selectorIllEEZNS1_25segmented_radix_sort_implIS3_Lb0EPKlPlS8_S9_N2at6native12_GLOBAL__N_18offset_tEEE10hipError_tPvRmT1_PNSt15iterator_traitsISH_E10value_typeET2_T3_PNSI_ISN_E10value_typeET4_jRbjT5_ST_jjP12ihipStream_tbEUlT_E0_NS1_11comp_targetILNS1_3genE10ELNS1_11target_archE1200ELNS1_3gpuE4ELNS1_3repE0EEENS1_60segmented_radix_sort_warp_sort_medium_config_static_selectorELNS0_4arch9wavefront6targetE1EEEvSH_.uses_flat_scratch, 0
	.set _ZN7rocprim17ROCPRIM_400000_NS6detail17trampoline_kernelINS0_14default_configENS1_36segmented_radix_sort_config_selectorIllEEZNS1_25segmented_radix_sort_implIS3_Lb0EPKlPlS8_S9_N2at6native12_GLOBAL__N_18offset_tEEE10hipError_tPvRmT1_PNSt15iterator_traitsISH_E10value_typeET2_T3_PNSI_ISN_E10value_typeET4_jRbjT5_ST_jjP12ihipStream_tbEUlT_E0_NS1_11comp_targetILNS1_3genE10ELNS1_11target_archE1200ELNS1_3gpuE4ELNS1_3repE0EEENS1_60segmented_radix_sort_warp_sort_medium_config_static_selectorELNS0_4arch9wavefront6targetE1EEEvSH_.has_dyn_sized_stack, 0
	.set _ZN7rocprim17ROCPRIM_400000_NS6detail17trampoline_kernelINS0_14default_configENS1_36segmented_radix_sort_config_selectorIllEEZNS1_25segmented_radix_sort_implIS3_Lb0EPKlPlS8_S9_N2at6native12_GLOBAL__N_18offset_tEEE10hipError_tPvRmT1_PNSt15iterator_traitsISH_E10value_typeET2_T3_PNSI_ISN_E10value_typeET4_jRbjT5_ST_jjP12ihipStream_tbEUlT_E0_NS1_11comp_targetILNS1_3genE10ELNS1_11target_archE1200ELNS1_3gpuE4ELNS1_3repE0EEENS1_60segmented_radix_sort_warp_sort_medium_config_static_selectorELNS0_4arch9wavefront6targetE1EEEvSH_.has_recursion, 0
	.set _ZN7rocprim17ROCPRIM_400000_NS6detail17trampoline_kernelINS0_14default_configENS1_36segmented_radix_sort_config_selectorIllEEZNS1_25segmented_radix_sort_implIS3_Lb0EPKlPlS8_S9_N2at6native12_GLOBAL__N_18offset_tEEE10hipError_tPvRmT1_PNSt15iterator_traitsISH_E10value_typeET2_T3_PNSI_ISN_E10value_typeET4_jRbjT5_ST_jjP12ihipStream_tbEUlT_E0_NS1_11comp_targetILNS1_3genE10ELNS1_11target_archE1200ELNS1_3gpuE4ELNS1_3repE0EEENS1_60segmented_radix_sort_warp_sort_medium_config_static_selectorELNS0_4arch9wavefront6targetE1EEEvSH_.has_indirect_call, 0
	.section	.AMDGPU.csdata,"",@progbits
; Kernel info:
; codeLenInByte = 0
; TotalNumSgprs: 4
; NumVgprs: 0
; ScratchSize: 0
; MemoryBound: 0
; FloatMode: 240
; IeeeMode: 1
; LDSByteSize: 0 bytes/workgroup (compile time only)
; SGPRBlocks: 0
; VGPRBlocks: 0
; NumSGPRsForWavesPerEU: 4
; NumVGPRsForWavesPerEU: 1
; Occupancy: 10
; WaveLimiterHint : 0
; COMPUTE_PGM_RSRC2:SCRATCH_EN: 0
; COMPUTE_PGM_RSRC2:USER_SGPR: 6
; COMPUTE_PGM_RSRC2:TRAP_HANDLER: 0
; COMPUTE_PGM_RSRC2:TGID_X_EN: 1
; COMPUTE_PGM_RSRC2:TGID_Y_EN: 0
; COMPUTE_PGM_RSRC2:TGID_Z_EN: 0
; COMPUTE_PGM_RSRC2:TIDIG_COMP_CNT: 0
	.section	.text._ZN7rocprim17ROCPRIM_400000_NS6detail17trampoline_kernelINS0_14default_configENS1_36segmented_radix_sort_config_selectorIllEEZNS1_25segmented_radix_sort_implIS3_Lb0EPKlPlS8_S9_N2at6native12_GLOBAL__N_18offset_tEEE10hipError_tPvRmT1_PNSt15iterator_traitsISH_E10value_typeET2_T3_PNSI_ISN_E10value_typeET4_jRbjT5_ST_jjP12ihipStream_tbEUlT_E0_NS1_11comp_targetILNS1_3genE9ELNS1_11target_archE1100ELNS1_3gpuE3ELNS1_3repE0EEENS1_60segmented_radix_sort_warp_sort_medium_config_static_selectorELNS0_4arch9wavefront6targetE1EEEvSH_,"axG",@progbits,_ZN7rocprim17ROCPRIM_400000_NS6detail17trampoline_kernelINS0_14default_configENS1_36segmented_radix_sort_config_selectorIllEEZNS1_25segmented_radix_sort_implIS3_Lb0EPKlPlS8_S9_N2at6native12_GLOBAL__N_18offset_tEEE10hipError_tPvRmT1_PNSt15iterator_traitsISH_E10value_typeET2_T3_PNSI_ISN_E10value_typeET4_jRbjT5_ST_jjP12ihipStream_tbEUlT_E0_NS1_11comp_targetILNS1_3genE9ELNS1_11target_archE1100ELNS1_3gpuE3ELNS1_3repE0EEENS1_60segmented_radix_sort_warp_sort_medium_config_static_selectorELNS0_4arch9wavefront6targetE1EEEvSH_,comdat
	.globl	_ZN7rocprim17ROCPRIM_400000_NS6detail17trampoline_kernelINS0_14default_configENS1_36segmented_radix_sort_config_selectorIllEEZNS1_25segmented_radix_sort_implIS3_Lb0EPKlPlS8_S9_N2at6native12_GLOBAL__N_18offset_tEEE10hipError_tPvRmT1_PNSt15iterator_traitsISH_E10value_typeET2_T3_PNSI_ISN_E10value_typeET4_jRbjT5_ST_jjP12ihipStream_tbEUlT_E0_NS1_11comp_targetILNS1_3genE9ELNS1_11target_archE1100ELNS1_3gpuE3ELNS1_3repE0EEENS1_60segmented_radix_sort_warp_sort_medium_config_static_selectorELNS0_4arch9wavefront6targetE1EEEvSH_ ; -- Begin function _ZN7rocprim17ROCPRIM_400000_NS6detail17trampoline_kernelINS0_14default_configENS1_36segmented_radix_sort_config_selectorIllEEZNS1_25segmented_radix_sort_implIS3_Lb0EPKlPlS8_S9_N2at6native12_GLOBAL__N_18offset_tEEE10hipError_tPvRmT1_PNSt15iterator_traitsISH_E10value_typeET2_T3_PNSI_ISN_E10value_typeET4_jRbjT5_ST_jjP12ihipStream_tbEUlT_E0_NS1_11comp_targetILNS1_3genE9ELNS1_11target_archE1100ELNS1_3gpuE3ELNS1_3repE0EEENS1_60segmented_radix_sort_warp_sort_medium_config_static_selectorELNS0_4arch9wavefront6targetE1EEEvSH_
	.p2align	8
	.type	_ZN7rocprim17ROCPRIM_400000_NS6detail17trampoline_kernelINS0_14default_configENS1_36segmented_radix_sort_config_selectorIllEEZNS1_25segmented_radix_sort_implIS3_Lb0EPKlPlS8_S9_N2at6native12_GLOBAL__N_18offset_tEEE10hipError_tPvRmT1_PNSt15iterator_traitsISH_E10value_typeET2_T3_PNSI_ISN_E10value_typeET4_jRbjT5_ST_jjP12ihipStream_tbEUlT_E0_NS1_11comp_targetILNS1_3genE9ELNS1_11target_archE1100ELNS1_3gpuE3ELNS1_3repE0EEENS1_60segmented_radix_sort_warp_sort_medium_config_static_selectorELNS0_4arch9wavefront6targetE1EEEvSH_,@function
_ZN7rocprim17ROCPRIM_400000_NS6detail17trampoline_kernelINS0_14default_configENS1_36segmented_radix_sort_config_selectorIllEEZNS1_25segmented_radix_sort_implIS3_Lb0EPKlPlS8_S9_N2at6native12_GLOBAL__N_18offset_tEEE10hipError_tPvRmT1_PNSt15iterator_traitsISH_E10value_typeET2_T3_PNSI_ISN_E10value_typeET4_jRbjT5_ST_jjP12ihipStream_tbEUlT_E0_NS1_11comp_targetILNS1_3genE9ELNS1_11target_archE1100ELNS1_3gpuE3ELNS1_3repE0EEENS1_60segmented_radix_sort_warp_sort_medium_config_static_selectorELNS0_4arch9wavefront6targetE1EEEvSH_: ; @_ZN7rocprim17ROCPRIM_400000_NS6detail17trampoline_kernelINS0_14default_configENS1_36segmented_radix_sort_config_selectorIllEEZNS1_25segmented_radix_sort_implIS3_Lb0EPKlPlS8_S9_N2at6native12_GLOBAL__N_18offset_tEEE10hipError_tPvRmT1_PNSt15iterator_traitsISH_E10value_typeET2_T3_PNSI_ISN_E10value_typeET4_jRbjT5_ST_jjP12ihipStream_tbEUlT_E0_NS1_11comp_targetILNS1_3genE9ELNS1_11target_archE1100ELNS1_3gpuE3ELNS1_3repE0EEENS1_60segmented_radix_sort_warp_sort_medium_config_static_selectorELNS0_4arch9wavefront6targetE1EEEvSH_
; %bb.0:
	.section	.rodata,"a",@progbits
	.p2align	6, 0x0
	.amdhsa_kernel _ZN7rocprim17ROCPRIM_400000_NS6detail17trampoline_kernelINS0_14default_configENS1_36segmented_radix_sort_config_selectorIllEEZNS1_25segmented_radix_sort_implIS3_Lb0EPKlPlS8_S9_N2at6native12_GLOBAL__N_18offset_tEEE10hipError_tPvRmT1_PNSt15iterator_traitsISH_E10value_typeET2_T3_PNSI_ISN_E10value_typeET4_jRbjT5_ST_jjP12ihipStream_tbEUlT_E0_NS1_11comp_targetILNS1_3genE9ELNS1_11target_archE1100ELNS1_3gpuE3ELNS1_3repE0EEENS1_60segmented_radix_sort_warp_sort_medium_config_static_selectorELNS0_4arch9wavefront6targetE1EEEvSH_
		.amdhsa_group_segment_fixed_size 0
		.amdhsa_private_segment_fixed_size 0
		.amdhsa_kernarg_size 88
		.amdhsa_user_sgpr_count 6
		.amdhsa_user_sgpr_private_segment_buffer 1
		.amdhsa_user_sgpr_dispatch_ptr 0
		.amdhsa_user_sgpr_queue_ptr 0
		.amdhsa_user_sgpr_kernarg_segment_ptr 1
		.amdhsa_user_sgpr_dispatch_id 0
		.amdhsa_user_sgpr_flat_scratch_init 0
		.amdhsa_user_sgpr_private_segment_size 0
		.amdhsa_uses_dynamic_stack 0
		.amdhsa_system_sgpr_private_segment_wavefront_offset 0
		.amdhsa_system_sgpr_workgroup_id_x 1
		.amdhsa_system_sgpr_workgroup_id_y 0
		.amdhsa_system_sgpr_workgroup_id_z 0
		.amdhsa_system_sgpr_workgroup_info 0
		.amdhsa_system_vgpr_workitem_id 0
		.amdhsa_next_free_vgpr 1
		.amdhsa_next_free_sgpr 0
		.amdhsa_reserve_vcc 0
		.amdhsa_reserve_flat_scratch 0
		.amdhsa_float_round_mode_32 0
		.amdhsa_float_round_mode_16_64 0
		.amdhsa_float_denorm_mode_32 3
		.amdhsa_float_denorm_mode_16_64 3
		.amdhsa_dx10_clamp 1
		.amdhsa_ieee_mode 1
		.amdhsa_fp16_overflow 0
		.amdhsa_exception_fp_ieee_invalid_op 0
		.amdhsa_exception_fp_denorm_src 0
		.amdhsa_exception_fp_ieee_div_zero 0
		.amdhsa_exception_fp_ieee_overflow 0
		.amdhsa_exception_fp_ieee_underflow 0
		.amdhsa_exception_fp_ieee_inexact 0
		.amdhsa_exception_int_div_zero 0
	.end_amdhsa_kernel
	.section	.text._ZN7rocprim17ROCPRIM_400000_NS6detail17trampoline_kernelINS0_14default_configENS1_36segmented_radix_sort_config_selectorIllEEZNS1_25segmented_radix_sort_implIS3_Lb0EPKlPlS8_S9_N2at6native12_GLOBAL__N_18offset_tEEE10hipError_tPvRmT1_PNSt15iterator_traitsISH_E10value_typeET2_T3_PNSI_ISN_E10value_typeET4_jRbjT5_ST_jjP12ihipStream_tbEUlT_E0_NS1_11comp_targetILNS1_3genE9ELNS1_11target_archE1100ELNS1_3gpuE3ELNS1_3repE0EEENS1_60segmented_radix_sort_warp_sort_medium_config_static_selectorELNS0_4arch9wavefront6targetE1EEEvSH_,"axG",@progbits,_ZN7rocprim17ROCPRIM_400000_NS6detail17trampoline_kernelINS0_14default_configENS1_36segmented_radix_sort_config_selectorIllEEZNS1_25segmented_radix_sort_implIS3_Lb0EPKlPlS8_S9_N2at6native12_GLOBAL__N_18offset_tEEE10hipError_tPvRmT1_PNSt15iterator_traitsISH_E10value_typeET2_T3_PNSI_ISN_E10value_typeET4_jRbjT5_ST_jjP12ihipStream_tbEUlT_E0_NS1_11comp_targetILNS1_3genE9ELNS1_11target_archE1100ELNS1_3gpuE3ELNS1_3repE0EEENS1_60segmented_radix_sort_warp_sort_medium_config_static_selectorELNS0_4arch9wavefront6targetE1EEEvSH_,comdat
.Lfunc_end825:
	.size	_ZN7rocprim17ROCPRIM_400000_NS6detail17trampoline_kernelINS0_14default_configENS1_36segmented_radix_sort_config_selectorIllEEZNS1_25segmented_radix_sort_implIS3_Lb0EPKlPlS8_S9_N2at6native12_GLOBAL__N_18offset_tEEE10hipError_tPvRmT1_PNSt15iterator_traitsISH_E10value_typeET2_T3_PNSI_ISN_E10value_typeET4_jRbjT5_ST_jjP12ihipStream_tbEUlT_E0_NS1_11comp_targetILNS1_3genE9ELNS1_11target_archE1100ELNS1_3gpuE3ELNS1_3repE0EEENS1_60segmented_radix_sort_warp_sort_medium_config_static_selectorELNS0_4arch9wavefront6targetE1EEEvSH_, .Lfunc_end825-_ZN7rocprim17ROCPRIM_400000_NS6detail17trampoline_kernelINS0_14default_configENS1_36segmented_radix_sort_config_selectorIllEEZNS1_25segmented_radix_sort_implIS3_Lb0EPKlPlS8_S9_N2at6native12_GLOBAL__N_18offset_tEEE10hipError_tPvRmT1_PNSt15iterator_traitsISH_E10value_typeET2_T3_PNSI_ISN_E10value_typeET4_jRbjT5_ST_jjP12ihipStream_tbEUlT_E0_NS1_11comp_targetILNS1_3genE9ELNS1_11target_archE1100ELNS1_3gpuE3ELNS1_3repE0EEENS1_60segmented_radix_sort_warp_sort_medium_config_static_selectorELNS0_4arch9wavefront6targetE1EEEvSH_
                                        ; -- End function
	.set _ZN7rocprim17ROCPRIM_400000_NS6detail17trampoline_kernelINS0_14default_configENS1_36segmented_radix_sort_config_selectorIllEEZNS1_25segmented_radix_sort_implIS3_Lb0EPKlPlS8_S9_N2at6native12_GLOBAL__N_18offset_tEEE10hipError_tPvRmT1_PNSt15iterator_traitsISH_E10value_typeET2_T3_PNSI_ISN_E10value_typeET4_jRbjT5_ST_jjP12ihipStream_tbEUlT_E0_NS1_11comp_targetILNS1_3genE9ELNS1_11target_archE1100ELNS1_3gpuE3ELNS1_3repE0EEENS1_60segmented_radix_sort_warp_sort_medium_config_static_selectorELNS0_4arch9wavefront6targetE1EEEvSH_.num_vgpr, 0
	.set _ZN7rocprim17ROCPRIM_400000_NS6detail17trampoline_kernelINS0_14default_configENS1_36segmented_radix_sort_config_selectorIllEEZNS1_25segmented_radix_sort_implIS3_Lb0EPKlPlS8_S9_N2at6native12_GLOBAL__N_18offset_tEEE10hipError_tPvRmT1_PNSt15iterator_traitsISH_E10value_typeET2_T3_PNSI_ISN_E10value_typeET4_jRbjT5_ST_jjP12ihipStream_tbEUlT_E0_NS1_11comp_targetILNS1_3genE9ELNS1_11target_archE1100ELNS1_3gpuE3ELNS1_3repE0EEENS1_60segmented_radix_sort_warp_sort_medium_config_static_selectorELNS0_4arch9wavefront6targetE1EEEvSH_.num_agpr, 0
	.set _ZN7rocprim17ROCPRIM_400000_NS6detail17trampoline_kernelINS0_14default_configENS1_36segmented_radix_sort_config_selectorIllEEZNS1_25segmented_radix_sort_implIS3_Lb0EPKlPlS8_S9_N2at6native12_GLOBAL__N_18offset_tEEE10hipError_tPvRmT1_PNSt15iterator_traitsISH_E10value_typeET2_T3_PNSI_ISN_E10value_typeET4_jRbjT5_ST_jjP12ihipStream_tbEUlT_E0_NS1_11comp_targetILNS1_3genE9ELNS1_11target_archE1100ELNS1_3gpuE3ELNS1_3repE0EEENS1_60segmented_radix_sort_warp_sort_medium_config_static_selectorELNS0_4arch9wavefront6targetE1EEEvSH_.numbered_sgpr, 0
	.set _ZN7rocprim17ROCPRIM_400000_NS6detail17trampoline_kernelINS0_14default_configENS1_36segmented_radix_sort_config_selectorIllEEZNS1_25segmented_radix_sort_implIS3_Lb0EPKlPlS8_S9_N2at6native12_GLOBAL__N_18offset_tEEE10hipError_tPvRmT1_PNSt15iterator_traitsISH_E10value_typeET2_T3_PNSI_ISN_E10value_typeET4_jRbjT5_ST_jjP12ihipStream_tbEUlT_E0_NS1_11comp_targetILNS1_3genE9ELNS1_11target_archE1100ELNS1_3gpuE3ELNS1_3repE0EEENS1_60segmented_radix_sort_warp_sort_medium_config_static_selectorELNS0_4arch9wavefront6targetE1EEEvSH_.num_named_barrier, 0
	.set _ZN7rocprim17ROCPRIM_400000_NS6detail17trampoline_kernelINS0_14default_configENS1_36segmented_radix_sort_config_selectorIllEEZNS1_25segmented_radix_sort_implIS3_Lb0EPKlPlS8_S9_N2at6native12_GLOBAL__N_18offset_tEEE10hipError_tPvRmT1_PNSt15iterator_traitsISH_E10value_typeET2_T3_PNSI_ISN_E10value_typeET4_jRbjT5_ST_jjP12ihipStream_tbEUlT_E0_NS1_11comp_targetILNS1_3genE9ELNS1_11target_archE1100ELNS1_3gpuE3ELNS1_3repE0EEENS1_60segmented_radix_sort_warp_sort_medium_config_static_selectorELNS0_4arch9wavefront6targetE1EEEvSH_.private_seg_size, 0
	.set _ZN7rocprim17ROCPRIM_400000_NS6detail17trampoline_kernelINS0_14default_configENS1_36segmented_radix_sort_config_selectorIllEEZNS1_25segmented_radix_sort_implIS3_Lb0EPKlPlS8_S9_N2at6native12_GLOBAL__N_18offset_tEEE10hipError_tPvRmT1_PNSt15iterator_traitsISH_E10value_typeET2_T3_PNSI_ISN_E10value_typeET4_jRbjT5_ST_jjP12ihipStream_tbEUlT_E0_NS1_11comp_targetILNS1_3genE9ELNS1_11target_archE1100ELNS1_3gpuE3ELNS1_3repE0EEENS1_60segmented_radix_sort_warp_sort_medium_config_static_selectorELNS0_4arch9wavefront6targetE1EEEvSH_.uses_vcc, 0
	.set _ZN7rocprim17ROCPRIM_400000_NS6detail17trampoline_kernelINS0_14default_configENS1_36segmented_radix_sort_config_selectorIllEEZNS1_25segmented_radix_sort_implIS3_Lb0EPKlPlS8_S9_N2at6native12_GLOBAL__N_18offset_tEEE10hipError_tPvRmT1_PNSt15iterator_traitsISH_E10value_typeET2_T3_PNSI_ISN_E10value_typeET4_jRbjT5_ST_jjP12ihipStream_tbEUlT_E0_NS1_11comp_targetILNS1_3genE9ELNS1_11target_archE1100ELNS1_3gpuE3ELNS1_3repE0EEENS1_60segmented_radix_sort_warp_sort_medium_config_static_selectorELNS0_4arch9wavefront6targetE1EEEvSH_.uses_flat_scratch, 0
	.set _ZN7rocprim17ROCPRIM_400000_NS6detail17trampoline_kernelINS0_14default_configENS1_36segmented_radix_sort_config_selectorIllEEZNS1_25segmented_radix_sort_implIS3_Lb0EPKlPlS8_S9_N2at6native12_GLOBAL__N_18offset_tEEE10hipError_tPvRmT1_PNSt15iterator_traitsISH_E10value_typeET2_T3_PNSI_ISN_E10value_typeET4_jRbjT5_ST_jjP12ihipStream_tbEUlT_E0_NS1_11comp_targetILNS1_3genE9ELNS1_11target_archE1100ELNS1_3gpuE3ELNS1_3repE0EEENS1_60segmented_radix_sort_warp_sort_medium_config_static_selectorELNS0_4arch9wavefront6targetE1EEEvSH_.has_dyn_sized_stack, 0
	.set _ZN7rocprim17ROCPRIM_400000_NS6detail17trampoline_kernelINS0_14default_configENS1_36segmented_radix_sort_config_selectorIllEEZNS1_25segmented_radix_sort_implIS3_Lb0EPKlPlS8_S9_N2at6native12_GLOBAL__N_18offset_tEEE10hipError_tPvRmT1_PNSt15iterator_traitsISH_E10value_typeET2_T3_PNSI_ISN_E10value_typeET4_jRbjT5_ST_jjP12ihipStream_tbEUlT_E0_NS1_11comp_targetILNS1_3genE9ELNS1_11target_archE1100ELNS1_3gpuE3ELNS1_3repE0EEENS1_60segmented_radix_sort_warp_sort_medium_config_static_selectorELNS0_4arch9wavefront6targetE1EEEvSH_.has_recursion, 0
	.set _ZN7rocprim17ROCPRIM_400000_NS6detail17trampoline_kernelINS0_14default_configENS1_36segmented_radix_sort_config_selectorIllEEZNS1_25segmented_radix_sort_implIS3_Lb0EPKlPlS8_S9_N2at6native12_GLOBAL__N_18offset_tEEE10hipError_tPvRmT1_PNSt15iterator_traitsISH_E10value_typeET2_T3_PNSI_ISN_E10value_typeET4_jRbjT5_ST_jjP12ihipStream_tbEUlT_E0_NS1_11comp_targetILNS1_3genE9ELNS1_11target_archE1100ELNS1_3gpuE3ELNS1_3repE0EEENS1_60segmented_radix_sort_warp_sort_medium_config_static_selectorELNS0_4arch9wavefront6targetE1EEEvSH_.has_indirect_call, 0
	.section	.AMDGPU.csdata,"",@progbits
; Kernel info:
; codeLenInByte = 0
; TotalNumSgprs: 4
; NumVgprs: 0
; ScratchSize: 0
; MemoryBound: 0
; FloatMode: 240
; IeeeMode: 1
; LDSByteSize: 0 bytes/workgroup (compile time only)
; SGPRBlocks: 0
; VGPRBlocks: 0
; NumSGPRsForWavesPerEU: 4
; NumVGPRsForWavesPerEU: 1
; Occupancy: 10
; WaveLimiterHint : 0
; COMPUTE_PGM_RSRC2:SCRATCH_EN: 0
; COMPUTE_PGM_RSRC2:USER_SGPR: 6
; COMPUTE_PGM_RSRC2:TRAP_HANDLER: 0
; COMPUTE_PGM_RSRC2:TGID_X_EN: 1
; COMPUTE_PGM_RSRC2:TGID_Y_EN: 0
; COMPUTE_PGM_RSRC2:TGID_Z_EN: 0
; COMPUTE_PGM_RSRC2:TIDIG_COMP_CNT: 0
	.section	.text._ZN7rocprim17ROCPRIM_400000_NS6detail17trampoline_kernelINS0_14default_configENS1_36segmented_radix_sort_config_selectorIllEEZNS1_25segmented_radix_sort_implIS3_Lb0EPKlPlS8_S9_N2at6native12_GLOBAL__N_18offset_tEEE10hipError_tPvRmT1_PNSt15iterator_traitsISH_E10value_typeET2_T3_PNSI_ISN_E10value_typeET4_jRbjT5_ST_jjP12ihipStream_tbEUlT_E0_NS1_11comp_targetILNS1_3genE8ELNS1_11target_archE1030ELNS1_3gpuE2ELNS1_3repE0EEENS1_60segmented_radix_sort_warp_sort_medium_config_static_selectorELNS0_4arch9wavefront6targetE1EEEvSH_,"axG",@progbits,_ZN7rocprim17ROCPRIM_400000_NS6detail17trampoline_kernelINS0_14default_configENS1_36segmented_radix_sort_config_selectorIllEEZNS1_25segmented_radix_sort_implIS3_Lb0EPKlPlS8_S9_N2at6native12_GLOBAL__N_18offset_tEEE10hipError_tPvRmT1_PNSt15iterator_traitsISH_E10value_typeET2_T3_PNSI_ISN_E10value_typeET4_jRbjT5_ST_jjP12ihipStream_tbEUlT_E0_NS1_11comp_targetILNS1_3genE8ELNS1_11target_archE1030ELNS1_3gpuE2ELNS1_3repE0EEENS1_60segmented_radix_sort_warp_sort_medium_config_static_selectorELNS0_4arch9wavefront6targetE1EEEvSH_,comdat
	.globl	_ZN7rocprim17ROCPRIM_400000_NS6detail17trampoline_kernelINS0_14default_configENS1_36segmented_radix_sort_config_selectorIllEEZNS1_25segmented_radix_sort_implIS3_Lb0EPKlPlS8_S9_N2at6native12_GLOBAL__N_18offset_tEEE10hipError_tPvRmT1_PNSt15iterator_traitsISH_E10value_typeET2_T3_PNSI_ISN_E10value_typeET4_jRbjT5_ST_jjP12ihipStream_tbEUlT_E0_NS1_11comp_targetILNS1_3genE8ELNS1_11target_archE1030ELNS1_3gpuE2ELNS1_3repE0EEENS1_60segmented_radix_sort_warp_sort_medium_config_static_selectorELNS0_4arch9wavefront6targetE1EEEvSH_ ; -- Begin function _ZN7rocprim17ROCPRIM_400000_NS6detail17trampoline_kernelINS0_14default_configENS1_36segmented_radix_sort_config_selectorIllEEZNS1_25segmented_radix_sort_implIS3_Lb0EPKlPlS8_S9_N2at6native12_GLOBAL__N_18offset_tEEE10hipError_tPvRmT1_PNSt15iterator_traitsISH_E10value_typeET2_T3_PNSI_ISN_E10value_typeET4_jRbjT5_ST_jjP12ihipStream_tbEUlT_E0_NS1_11comp_targetILNS1_3genE8ELNS1_11target_archE1030ELNS1_3gpuE2ELNS1_3repE0EEENS1_60segmented_radix_sort_warp_sort_medium_config_static_selectorELNS0_4arch9wavefront6targetE1EEEvSH_
	.p2align	8
	.type	_ZN7rocprim17ROCPRIM_400000_NS6detail17trampoline_kernelINS0_14default_configENS1_36segmented_radix_sort_config_selectorIllEEZNS1_25segmented_radix_sort_implIS3_Lb0EPKlPlS8_S9_N2at6native12_GLOBAL__N_18offset_tEEE10hipError_tPvRmT1_PNSt15iterator_traitsISH_E10value_typeET2_T3_PNSI_ISN_E10value_typeET4_jRbjT5_ST_jjP12ihipStream_tbEUlT_E0_NS1_11comp_targetILNS1_3genE8ELNS1_11target_archE1030ELNS1_3gpuE2ELNS1_3repE0EEENS1_60segmented_radix_sort_warp_sort_medium_config_static_selectorELNS0_4arch9wavefront6targetE1EEEvSH_,@function
_ZN7rocprim17ROCPRIM_400000_NS6detail17trampoline_kernelINS0_14default_configENS1_36segmented_radix_sort_config_selectorIllEEZNS1_25segmented_radix_sort_implIS3_Lb0EPKlPlS8_S9_N2at6native12_GLOBAL__N_18offset_tEEE10hipError_tPvRmT1_PNSt15iterator_traitsISH_E10value_typeET2_T3_PNSI_ISN_E10value_typeET4_jRbjT5_ST_jjP12ihipStream_tbEUlT_E0_NS1_11comp_targetILNS1_3genE8ELNS1_11target_archE1030ELNS1_3gpuE2ELNS1_3repE0EEENS1_60segmented_radix_sort_warp_sort_medium_config_static_selectorELNS0_4arch9wavefront6targetE1EEEvSH_: ; @_ZN7rocprim17ROCPRIM_400000_NS6detail17trampoline_kernelINS0_14default_configENS1_36segmented_radix_sort_config_selectorIllEEZNS1_25segmented_radix_sort_implIS3_Lb0EPKlPlS8_S9_N2at6native12_GLOBAL__N_18offset_tEEE10hipError_tPvRmT1_PNSt15iterator_traitsISH_E10value_typeET2_T3_PNSI_ISN_E10value_typeET4_jRbjT5_ST_jjP12ihipStream_tbEUlT_E0_NS1_11comp_targetILNS1_3genE8ELNS1_11target_archE1030ELNS1_3gpuE2ELNS1_3repE0EEENS1_60segmented_radix_sort_warp_sort_medium_config_static_selectorELNS0_4arch9wavefront6targetE1EEEvSH_
; %bb.0:
	.section	.rodata,"a",@progbits
	.p2align	6, 0x0
	.amdhsa_kernel _ZN7rocprim17ROCPRIM_400000_NS6detail17trampoline_kernelINS0_14default_configENS1_36segmented_radix_sort_config_selectorIllEEZNS1_25segmented_radix_sort_implIS3_Lb0EPKlPlS8_S9_N2at6native12_GLOBAL__N_18offset_tEEE10hipError_tPvRmT1_PNSt15iterator_traitsISH_E10value_typeET2_T3_PNSI_ISN_E10value_typeET4_jRbjT5_ST_jjP12ihipStream_tbEUlT_E0_NS1_11comp_targetILNS1_3genE8ELNS1_11target_archE1030ELNS1_3gpuE2ELNS1_3repE0EEENS1_60segmented_radix_sort_warp_sort_medium_config_static_selectorELNS0_4arch9wavefront6targetE1EEEvSH_
		.amdhsa_group_segment_fixed_size 0
		.amdhsa_private_segment_fixed_size 0
		.amdhsa_kernarg_size 88
		.amdhsa_user_sgpr_count 6
		.amdhsa_user_sgpr_private_segment_buffer 1
		.amdhsa_user_sgpr_dispatch_ptr 0
		.amdhsa_user_sgpr_queue_ptr 0
		.amdhsa_user_sgpr_kernarg_segment_ptr 1
		.amdhsa_user_sgpr_dispatch_id 0
		.amdhsa_user_sgpr_flat_scratch_init 0
		.amdhsa_user_sgpr_private_segment_size 0
		.amdhsa_uses_dynamic_stack 0
		.amdhsa_system_sgpr_private_segment_wavefront_offset 0
		.amdhsa_system_sgpr_workgroup_id_x 1
		.amdhsa_system_sgpr_workgroup_id_y 0
		.amdhsa_system_sgpr_workgroup_id_z 0
		.amdhsa_system_sgpr_workgroup_info 0
		.amdhsa_system_vgpr_workitem_id 0
		.amdhsa_next_free_vgpr 1
		.amdhsa_next_free_sgpr 0
		.amdhsa_reserve_vcc 0
		.amdhsa_reserve_flat_scratch 0
		.amdhsa_float_round_mode_32 0
		.amdhsa_float_round_mode_16_64 0
		.amdhsa_float_denorm_mode_32 3
		.amdhsa_float_denorm_mode_16_64 3
		.amdhsa_dx10_clamp 1
		.amdhsa_ieee_mode 1
		.amdhsa_fp16_overflow 0
		.amdhsa_exception_fp_ieee_invalid_op 0
		.amdhsa_exception_fp_denorm_src 0
		.amdhsa_exception_fp_ieee_div_zero 0
		.amdhsa_exception_fp_ieee_overflow 0
		.amdhsa_exception_fp_ieee_underflow 0
		.amdhsa_exception_fp_ieee_inexact 0
		.amdhsa_exception_int_div_zero 0
	.end_amdhsa_kernel
	.section	.text._ZN7rocprim17ROCPRIM_400000_NS6detail17trampoline_kernelINS0_14default_configENS1_36segmented_radix_sort_config_selectorIllEEZNS1_25segmented_radix_sort_implIS3_Lb0EPKlPlS8_S9_N2at6native12_GLOBAL__N_18offset_tEEE10hipError_tPvRmT1_PNSt15iterator_traitsISH_E10value_typeET2_T3_PNSI_ISN_E10value_typeET4_jRbjT5_ST_jjP12ihipStream_tbEUlT_E0_NS1_11comp_targetILNS1_3genE8ELNS1_11target_archE1030ELNS1_3gpuE2ELNS1_3repE0EEENS1_60segmented_radix_sort_warp_sort_medium_config_static_selectorELNS0_4arch9wavefront6targetE1EEEvSH_,"axG",@progbits,_ZN7rocprim17ROCPRIM_400000_NS6detail17trampoline_kernelINS0_14default_configENS1_36segmented_radix_sort_config_selectorIllEEZNS1_25segmented_radix_sort_implIS3_Lb0EPKlPlS8_S9_N2at6native12_GLOBAL__N_18offset_tEEE10hipError_tPvRmT1_PNSt15iterator_traitsISH_E10value_typeET2_T3_PNSI_ISN_E10value_typeET4_jRbjT5_ST_jjP12ihipStream_tbEUlT_E0_NS1_11comp_targetILNS1_3genE8ELNS1_11target_archE1030ELNS1_3gpuE2ELNS1_3repE0EEENS1_60segmented_radix_sort_warp_sort_medium_config_static_selectorELNS0_4arch9wavefront6targetE1EEEvSH_,comdat
.Lfunc_end826:
	.size	_ZN7rocprim17ROCPRIM_400000_NS6detail17trampoline_kernelINS0_14default_configENS1_36segmented_radix_sort_config_selectorIllEEZNS1_25segmented_radix_sort_implIS3_Lb0EPKlPlS8_S9_N2at6native12_GLOBAL__N_18offset_tEEE10hipError_tPvRmT1_PNSt15iterator_traitsISH_E10value_typeET2_T3_PNSI_ISN_E10value_typeET4_jRbjT5_ST_jjP12ihipStream_tbEUlT_E0_NS1_11comp_targetILNS1_3genE8ELNS1_11target_archE1030ELNS1_3gpuE2ELNS1_3repE0EEENS1_60segmented_radix_sort_warp_sort_medium_config_static_selectorELNS0_4arch9wavefront6targetE1EEEvSH_, .Lfunc_end826-_ZN7rocprim17ROCPRIM_400000_NS6detail17trampoline_kernelINS0_14default_configENS1_36segmented_radix_sort_config_selectorIllEEZNS1_25segmented_radix_sort_implIS3_Lb0EPKlPlS8_S9_N2at6native12_GLOBAL__N_18offset_tEEE10hipError_tPvRmT1_PNSt15iterator_traitsISH_E10value_typeET2_T3_PNSI_ISN_E10value_typeET4_jRbjT5_ST_jjP12ihipStream_tbEUlT_E0_NS1_11comp_targetILNS1_3genE8ELNS1_11target_archE1030ELNS1_3gpuE2ELNS1_3repE0EEENS1_60segmented_radix_sort_warp_sort_medium_config_static_selectorELNS0_4arch9wavefront6targetE1EEEvSH_
                                        ; -- End function
	.set _ZN7rocprim17ROCPRIM_400000_NS6detail17trampoline_kernelINS0_14default_configENS1_36segmented_radix_sort_config_selectorIllEEZNS1_25segmented_radix_sort_implIS3_Lb0EPKlPlS8_S9_N2at6native12_GLOBAL__N_18offset_tEEE10hipError_tPvRmT1_PNSt15iterator_traitsISH_E10value_typeET2_T3_PNSI_ISN_E10value_typeET4_jRbjT5_ST_jjP12ihipStream_tbEUlT_E0_NS1_11comp_targetILNS1_3genE8ELNS1_11target_archE1030ELNS1_3gpuE2ELNS1_3repE0EEENS1_60segmented_radix_sort_warp_sort_medium_config_static_selectorELNS0_4arch9wavefront6targetE1EEEvSH_.num_vgpr, 0
	.set _ZN7rocprim17ROCPRIM_400000_NS6detail17trampoline_kernelINS0_14default_configENS1_36segmented_radix_sort_config_selectorIllEEZNS1_25segmented_radix_sort_implIS3_Lb0EPKlPlS8_S9_N2at6native12_GLOBAL__N_18offset_tEEE10hipError_tPvRmT1_PNSt15iterator_traitsISH_E10value_typeET2_T3_PNSI_ISN_E10value_typeET4_jRbjT5_ST_jjP12ihipStream_tbEUlT_E0_NS1_11comp_targetILNS1_3genE8ELNS1_11target_archE1030ELNS1_3gpuE2ELNS1_3repE0EEENS1_60segmented_radix_sort_warp_sort_medium_config_static_selectorELNS0_4arch9wavefront6targetE1EEEvSH_.num_agpr, 0
	.set _ZN7rocprim17ROCPRIM_400000_NS6detail17trampoline_kernelINS0_14default_configENS1_36segmented_radix_sort_config_selectorIllEEZNS1_25segmented_radix_sort_implIS3_Lb0EPKlPlS8_S9_N2at6native12_GLOBAL__N_18offset_tEEE10hipError_tPvRmT1_PNSt15iterator_traitsISH_E10value_typeET2_T3_PNSI_ISN_E10value_typeET4_jRbjT5_ST_jjP12ihipStream_tbEUlT_E0_NS1_11comp_targetILNS1_3genE8ELNS1_11target_archE1030ELNS1_3gpuE2ELNS1_3repE0EEENS1_60segmented_radix_sort_warp_sort_medium_config_static_selectorELNS0_4arch9wavefront6targetE1EEEvSH_.numbered_sgpr, 0
	.set _ZN7rocprim17ROCPRIM_400000_NS6detail17trampoline_kernelINS0_14default_configENS1_36segmented_radix_sort_config_selectorIllEEZNS1_25segmented_radix_sort_implIS3_Lb0EPKlPlS8_S9_N2at6native12_GLOBAL__N_18offset_tEEE10hipError_tPvRmT1_PNSt15iterator_traitsISH_E10value_typeET2_T3_PNSI_ISN_E10value_typeET4_jRbjT5_ST_jjP12ihipStream_tbEUlT_E0_NS1_11comp_targetILNS1_3genE8ELNS1_11target_archE1030ELNS1_3gpuE2ELNS1_3repE0EEENS1_60segmented_radix_sort_warp_sort_medium_config_static_selectorELNS0_4arch9wavefront6targetE1EEEvSH_.num_named_barrier, 0
	.set _ZN7rocprim17ROCPRIM_400000_NS6detail17trampoline_kernelINS0_14default_configENS1_36segmented_radix_sort_config_selectorIllEEZNS1_25segmented_radix_sort_implIS3_Lb0EPKlPlS8_S9_N2at6native12_GLOBAL__N_18offset_tEEE10hipError_tPvRmT1_PNSt15iterator_traitsISH_E10value_typeET2_T3_PNSI_ISN_E10value_typeET4_jRbjT5_ST_jjP12ihipStream_tbEUlT_E0_NS1_11comp_targetILNS1_3genE8ELNS1_11target_archE1030ELNS1_3gpuE2ELNS1_3repE0EEENS1_60segmented_radix_sort_warp_sort_medium_config_static_selectorELNS0_4arch9wavefront6targetE1EEEvSH_.private_seg_size, 0
	.set _ZN7rocprim17ROCPRIM_400000_NS6detail17trampoline_kernelINS0_14default_configENS1_36segmented_radix_sort_config_selectorIllEEZNS1_25segmented_radix_sort_implIS3_Lb0EPKlPlS8_S9_N2at6native12_GLOBAL__N_18offset_tEEE10hipError_tPvRmT1_PNSt15iterator_traitsISH_E10value_typeET2_T3_PNSI_ISN_E10value_typeET4_jRbjT5_ST_jjP12ihipStream_tbEUlT_E0_NS1_11comp_targetILNS1_3genE8ELNS1_11target_archE1030ELNS1_3gpuE2ELNS1_3repE0EEENS1_60segmented_radix_sort_warp_sort_medium_config_static_selectorELNS0_4arch9wavefront6targetE1EEEvSH_.uses_vcc, 0
	.set _ZN7rocprim17ROCPRIM_400000_NS6detail17trampoline_kernelINS0_14default_configENS1_36segmented_radix_sort_config_selectorIllEEZNS1_25segmented_radix_sort_implIS3_Lb0EPKlPlS8_S9_N2at6native12_GLOBAL__N_18offset_tEEE10hipError_tPvRmT1_PNSt15iterator_traitsISH_E10value_typeET2_T3_PNSI_ISN_E10value_typeET4_jRbjT5_ST_jjP12ihipStream_tbEUlT_E0_NS1_11comp_targetILNS1_3genE8ELNS1_11target_archE1030ELNS1_3gpuE2ELNS1_3repE0EEENS1_60segmented_radix_sort_warp_sort_medium_config_static_selectorELNS0_4arch9wavefront6targetE1EEEvSH_.uses_flat_scratch, 0
	.set _ZN7rocprim17ROCPRIM_400000_NS6detail17trampoline_kernelINS0_14default_configENS1_36segmented_radix_sort_config_selectorIllEEZNS1_25segmented_radix_sort_implIS3_Lb0EPKlPlS8_S9_N2at6native12_GLOBAL__N_18offset_tEEE10hipError_tPvRmT1_PNSt15iterator_traitsISH_E10value_typeET2_T3_PNSI_ISN_E10value_typeET4_jRbjT5_ST_jjP12ihipStream_tbEUlT_E0_NS1_11comp_targetILNS1_3genE8ELNS1_11target_archE1030ELNS1_3gpuE2ELNS1_3repE0EEENS1_60segmented_radix_sort_warp_sort_medium_config_static_selectorELNS0_4arch9wavefront6targetE1EEEvSH_.has_dyn_sized_stack, 0
	.set _ZN7rocprim17ROCPRIM_400000_NS6detail17trampoline_kernelINS0_14default_configENS1_36segmented_radix_sort_config_selectorIllEEZNS1_25segmented_radix_sort_implIS3_Lb0EPKlPlS8_S9_N2at6native12_GLOBAL__N_18offset_tEEE10hipError_tPvRmT1_PNSt15iterator_traitsISH_E10value_typeET2_T3_PNSI_ISN_E10value_typeET4_jRbjT5_ST_jjP12ihipStream_tbEUlT_E0_NS1_11comp_targetILNS1_3genE8ELNS1_11target_archE1030ELNS1_3gpuE2ELNS1_3repE0EEENS1_60segmented_radix_sort_warp_sort_medium_config_static_selectorELNS0_4arch9wavefront6targetE1EEEvSH_.has_recursion, 0
	.set _ZN7rocprim17ROCPRIM_400000_NS6detail17trampoline_kernelINS0_14default_configENS1_36segmented_radix_sort_config_selectorIllEEZNS1_25segmented_radix_sort_implIS3_Lb0EPKlPlS8_S9_N2at6native12_GLOBAL__N_18offset_tEEE10hipError_tPvRmT1_PNSt15iterator_traitsISH_E10value_typeET2_T3_PNSI_ISN_E10value_typeET4_jRbjT5_ST_jjP12ihipStream_tbEUlT_E0_NS1_11comp_targetILNS1_3genE8ELNS1_11target_archE1030ELNS1_3gpuE2ELNS1_3repE0EEENS1_60segmented_radix_sort_warp_sort_medium_config_static_selectorELNS0_4arch9wavefront6targetE1EEEvSH_.has_indirect_call, 0
	.section	.AMDGPU.csdata,"",@progbits
; Kernel info:
; codeLenInByte = 0
; TotalNumSgprs: 4
; NumVgprs: 0
; ScratchSize: 0
; MemoryBound: 0
; FloatMode: 240
; IeeeMode: 1
; LDSByteSize: 0 bytes/workgroup (compile time only)
; SGPRBlocks: 0
; VGPRBlocks: 0
; NumSGPRsForWavesPerEU: 4
; NumVGPRsForWavesPerEU: 1
; Occupancy: 10
; WaveLimiterHint : 0
; COMPUTE_PGM_RSRC2:SCRATCH_EN: 0
; COMPUTE_PGM_RSRC2:USER_SGPR: 6
; COMPUTE_PGM_RSRC2:TRAP_HANDLER: 0
; COMPUTE_PGM_RSRC2:TGID_X_EN: 1
; COMPUTE_PGM_RSRC2:TGID_Y_EN: 0
; COMPUTE_PGM_RSRC2:TGID_Z_EN: 0
; COMPUTE_PGM_RSRC2:TIDIG_COMP_CNT: 0
	.section	.text._ZN7rocprim17ROCPRIM_400000_NS6detail17trampoline_kernelINS0_14default_configENS1_36segmented_radix_sort_config_selectorIllEEZNS1_25segmented_radix_sort_implIS3_Lb0EPKlPlS8_S9_N2at6native12_GLOBAL__N_18offset_tEEE10hipError_tPvRmT1_PNSt15iterator_traitsISH_E10value_typeET2_T3_PNSI_ISN_E10value_typeET4_jRbjT5_ST_jjP12ihipStream_tbEUlT_E1_NS1_11comp_targetILNS1_3genE0ELNS1_11target_archE4294967295ELNS1_3gpuE0ELNS1_3repE0EEENS1_59segmented_radix_sort_warp_sort_small_config_static_selectorELNS0_4arch9wavefront6targetE1EEEvSH_,"axG",@progbits,_ZN7rocprim17ROCPRIM_400000_NS6detail17trampoline_kernelINS0_14default_configENS1_36segmented_radix_sort_config_selectorIllEEZNS1_25segmented_radix_sort_implIS3_Lb0EPKlPlS8_S9_N2at6native12_GLOBAL__N_18offset_tEEE10hipError_tPvRmT1_PNSt15iterator_traitsISH_E10value_typeET2_T3_PNSI_ISN_E10value_typeET4_jRbjT5_ST_jjP12ihipStream_tbEUlT_E1_NS1_11comp_targetILNS1_3genE0ELNS1_11target_archE4294967295ELNS1_3gpuE0ELNS1_3repE0EEENS1_59segmented_radix_sort_warp_sort_small_config_static_selectorELNS0_4arch9wavefront6targetE1EEEvSH_,comdat
	.globl	_ZN7rocprim17ROCPRIM_400000_NS6detail17trampoline_kernelINS0_14default_configENS1_36segmented_radix_sort_config_selectorIllEEZNS1_25segmented_radix_sort_implIS3_Lb0EPKlPlS8_S9_N2at6native12_GLOBAL__N_18offset_tEEE10hipError_tPvRmT1_PNSt15iterator_traitsISH_E10value_typeET2_T3_PNSI_ISN_E10value_typeET4_jRbjT5_ST_jjP12ihipStream_tbEUlT_E1_NS1_11comp_targetILNS1_3genE0ELNS1_11target_archE4294967295ELNS1_3gpuE0ELNS1_3repE0EEENS1_59segmented_radix_sort_warp_sort_small_config_static_selectorELNS0_4arch9wavefront6targetE1EEEvSH_ ; -- Begin function _ZN7rocprim17ROCPRIM_400000_NS6detail17trampoline_kernelINS0_14default_configENS1_36segmented_radix_sort_config_selectorIllEEZNS1_25segmented_radix_sort_implIS3_Lb0EPKlPlS8_S9_N2at6native12_GLOBAL__N_18offset_tEEE10hipError_tPvRmT1_PNSt15iterator_traitsISH_E10value_typeET2_T3_PNSI_ISN_E10value_typeET4_jRbjT5_ST_jjP12ihipStream_tbEUlT_E1_NS1_11comp_targetILNS1_3genE0ELNS1_11target_archE4294967295ELNS1_3gpuE0ELNS1_3repE0EEENS1_59segmented_radix_sort_warp_sort_small_config_static_selectorELNS0_4arch9wavefront6targetE1EEEvSH_
	.p2align	8
	.type	_ZN7rocprim17ROCPRIM_400000_NS6detail17trampoline_kernelINS0_14default_configENS1_36segmented_radix_sort_config_selectorIllEEZNS1_25segmented_radix_sort_implIS3_Lb0EPKlPlS8_S9_N2at6native12_GLOBAL__N_18offset_tEEE10hipError_tPvRmT1_PNSt15iterator_traitsISH_E10value_typeET2_T3_PNSI_ISN_E10value_typeET4_jRbjT5_ST_jjP12ihipStream_tbEUlT_E1_NS1_11comp_targetILNS1_3genE0ELNS1_11target_archE4294967295ELNS1_3gpuE0ELNS1_3repE0EEENS1_59segmented_radix_sort_warp_sort_small_config_static_selectorELNS0_4arch9wavefront6targetE1EEEvSH_,@function
_ZN7rocprim17ROCPRIM_400000_NS6detail17trampoline_kernelINS0_14default_configENS1_36segmented_radix_sort_config_selectorIllEEZNS1_25segmented_radix_sort_implIS3_Lb0EPKlPlS8_S9_N2at6native12_GLOBAL__N_18offset_tEEE10hipError_tPvRmT1_PNSt15iterator_traitsISH_E10value_typeET2_T3_PNSI_ISN_E10value_typeET4_jRbjT5_ST_jjP12ihipStream_tbEUlT_E1_NS1_11comp_targetILNS1_3genE0ELNS1_11target_archE4294967295ELNS1_3gpuE0ELNS1_3repE0EEENS1_59segmented_radix_sort_warp_sort_small_config_static_selectorELNS0_4arch9wavefront6targetE1EEEvSH_: ; @_ZN7rocprim17ROCPRIM_400000_NS6detail17trampoline_kernelINS0_14default_configENS1_36segmented_radix_sort_config_selectorIllEEZNS1_25segmented_radix_sort_implIS3_Lb0EPKlPlS8_S9_N2at6native12_GLOBAL__N_18offset_tEEE10hipError_tPvRmT1_PNSt15iterator_traitsISH_E10value_typeET2_T3_PNSI_ISN_E10value_typeET4_jRbjT5_ST_jjP12ihipStream_tbEUlT_E1_NS1_11comp_targetILNS1_3genE0ELNS1_11target_archE4294967295ELNS1_3gpuE0ELNS1_3repE0EEENS1_59segmented_radix_sort_warp_sort_small_config_static_selectorELNS0_4arch9wavefront6targetE1EEEvSH_
; %bb.0:
	.section	.rodata,"a",@progbits
	.p2align	6, 0x0
	.amdhsa_kernel _ZN7rocprim17ROCPRIM_400000_NS6detail17trampoline_kernelINS0_14default_configENS1_36segmented_radix_sort_config_selectorIllEEZNS1_25segmented_radix_sort_implIS3_Lb0EPKlPlS8_S9_N2at6native12_GLOBAL__N_18offset_tEEE10hipError_tPvRmT1_PNSt15iterator_traitsISH_E10value_typeET2_T3_PNSI_ISN_E10value_typeET4_jRbjT5_ST_jjP12ihipStream_tbEUlT_E1_NS1_11comp_targetILNS1_3genE0ELNS1_11target_archE4294967295ELNS1_3gpuE0ELNS1_3repE0EEENS1_59segmented_radix_sort_warp_sort_small_config_static_selectorELNS0_4arch9wavefront6targetE1EEEvSH_
		.amdhsa_group_segment_fixed_size 0
		.amdhsa_private_segment_fixed_size 0
		.amdhsa_kernarg_size 88
		.amdhsa_user_sgpr_count 6
		.amdhsa_user_sgpr_private_segment_buffer 1
		.amdhsa_user_sgpr_dispatch_ptr 0
		.amdhsa_user_sgpr_queue_ptr 0
		.amdhsa_user_sgpr_kernarg_segment_ptr 1
		.amdhsa_user_sgpr_dispatch_id 0
		.amdhsa_user_sgpr_flat_scratch_init 0
		.amdhsa_user_sgpr_private_segment_size 0
		.amdhsa_uses_dynamic_stack 0
		.amdhsa_system_sgpr_private_segment_wavefront_offset 0
		.amdhsa_system_sgpr_workgroup_id_x 1
		.amdhsa_system_sgpr_workgroup_id_y 0
		.amdhsa_system_sgpr_workgroup_id_z 0
		.amdhsa_system_sgpr_workgroup_info 0
		.amdhsa_system_vgpr_workitem_id 0
		.amdhsa_next_free_vgpr 1
		.amdhsa_next_free_sgpr 0
		.amdhsa_reserve_vcc 0
		.amdhsa_reserve_flat_scratch 0
		.amdhsa_float_round_mode_32 0
		.amdhsa_float_round_mode_16_64 0
		.amdhsa_float_denorm_mode_32 3
		.amdhsa_float_denorm_mode_16_64 3
		.amdhsa_dx10_clamp 1
		.amdhsa_ieee_mode 1
		.amdhsa_fp16_overflow 0
		.amdhsa_exception_fp_ieee_invalid_op 0
		.amdhsa_exception_fp_denorm_src 0
		.amdhsa_exception_fp_ieee_div_zero 0
		.amdhsa_exception_fp_ieee_overflow 0
		.amdhsa_exception_fp_ieee_underflow 0
		.amdhsa_exception_fp_ieee_inexact 0
		.amdhsa_exception_int_div_zero 0
	.end_amdhsa_kernel
	.section	.text._ZN7rocprim17ROCPRIM_400000_NS6detail17trampoline_kernelINS0_14default_configENS1_36segmented_radix_sort_config_selectorIllEEZNS1_25segmented_radix_sort_implIS3_Lb0EPKlPlS8_S9_N2at6native12_GLOBAL__N_18offset_tEEE10hipError_tPvRmT1_PNSt15iterator_traitsISH_E10value_typeET2_T3_PNSI_ISN_E10value_typeET4_jRbjT5_ST_jjP12ihipStream_tbEUlT_E1_NS1_11comp_targetILNS1_3genE0ELNS1_11target_archE4294967295ELNS1_3gpuE0ELNS1_3repE0EEENS1_59segmented_radix_sort_warp_sort_small_config_static_selectorELNS0_4arch9wavefront6targetE1EEEvSH_,"axG",@progbits,_ZN7rocprim17ROCPRIM_400000_NS6detail17trampoline_kernelINS0_14default_configENS1_36segmented_radix_sort_config_selectorIllEEZNS1_25segmented_radix_sort_implIS3_Lb0EPKlPlS8_S9_N2at6native12_GLOBAL__N_18offset_tEEE10hipError_tPvRmT1_PNSt15iterator_traitsISH_E10value_typeET2_T3_PNSI_ISN_E10value_typeET4_jRbjT5_ST_jjP12ihipStream_tbEUlT_E1_NS1_11comp_targetILNS1_3genE0ELNS1_11target_archE4294967295ELNS1_3gpuE0ELNS1_3repE0EEENS1_59segmented_radix_sort_warp_sort_small_config_static_selectorELNS0_4arch9wavefront6targetE1EEEvSH_,comdat
.Lfunc_end827:
	.size	_ZN7rocprim17ROCPRIM_400000_NS6detail17trampoline_kernelINS0_14default_configENS1_36segmented_radix_sort_config_selectorIllEEZNS1_25segmented_radix_sort_implIS3_Lb0EPKlPlS8_S9_N2at6native12_GLOBAL__N_18offset_tEEE10hipError_tPvRmT1_PNSt15iterator_traitsISH_E10value_typeET2_T3_PNSI_ISN_E10value_typeET4_jRbjT5_ST_jjP12ihipStream_tbEUlT_E1_NS1_11comp_targetILNS1_3genE0ELNS1_11target_archE4294967295ELNS1_3gpuE0ELNS1_3repE0EEENS1_59segmented_radix_sort_warp_sort_small_config_static_selectorELNS0_4arch9wavefront6targetE1EEEvSH_, .Lfunc_end827-_ZN7rocprim17ROCPRIM_400000_NS6detail17trampoline_kernelINS0_14default_configENS1_36segmented_radix_sort_config_selectorIllEEZNS1_25segmented_radix_sort_implIS3_Lb0EPKlPlS8_S9_N2at6native12_GLOBAL__N_18offset_tEEE10hipError_tPvRmT1_PNSt15iterator_traitsISH_E10value_typeET2_T3_PNSI_ISN_E10value_typeET4_jRbjT5_ST_jjP12ihipStream_tbEUlT_E1_NS1_11comp_targetILNS1_3genE0ELNS1_11target_archE4294967295ELNS1_3gpuE0ELNS1_3repE0EEENS1_59segmented_radix_sort_warp_sort_small_config_static_selectorELNS0_4arch9wavefront6targetE1EEEvSH_
                                        ; -- End function
	.set _ZN7rocprim17ROCPRIM_400000_NS6detail17trampoline_kernelINS0_14default_configENS1_36segmented_radix_sort_config_selectorIllEEZNS1_25segmented_radix_sort_implIS3_Lb0EPKlPlS8_S9_N2at6native12_GLOBAL__N_18offset_tEEE10hipError_tPvRmT1_PNSt15iterator_traitsISH_E10value_typeET2_T3_PNSI_ISN_E10value_typeET4_jRbjT5_ST_jjP12ihipStream_tbEUlT_E1_NS1_11comp_targetILNS1_3genE0ELNS1_11target_archE4294967295ELNS1_3gpuE0ELNS1_3repE0EEENS1_59segmented_radix_sort_warp_sort_small_config_static_selectorELNS0_4arch9wavefront6targetE1EEEvSH_.num_vgpr, 0
	.set _ZN7rocprim17ROCPRIM_400000_NS6detail17trampoline_kernelINS0_14default_configENS1_36segmented_radix_sort_config_selectorIllEEZNS1_25segmented_radix_sort_implIS3_Lb0EPKlPlS8_S9_N2at6native12_GLOBAL__N_18offset_tEEE10hipError_tPvRmT1_PNSt15iterator_traitsISH_E10value_typeET2_T3_PNSI_ISN_E10value_typeET4_jRbjT5_ST_jjP12ihipStream_tbEUlT_E1_NS1_11comp_targetILNS1_3genE0ELNS1_11target_archE4294967295ELNS1_3gpuE0ELNS1_3repE0EEENS1_59segmented_radix_sort_warp_sort_small_config_static_selectorELNS0_4arch9wavefront6targetE1EEEvSH_.num_agpr, 0
	.set _ZN7rocprim17ROCPRIM_400000_NS6detail17trampoline_kernelINS0_14default_configENS1_36segmented_radix_sort_config_selectorIllEEZNS1_25segmented_radix_sort_implIS3_Lb0EPKlPlS8_S9_N2at6native12_GLOBAL__N_18offset_tEEE10hipError_tPvRmT1_PNSt15iterator_traitsISH_E10value_typeET2_T3_PNSI_ISN_E10value_typeET4_jRbjT5_ST_jjP12ihipStream_tbEUlT_E1_NS1_11comp_targetILNS1_3genE0ELNS1_11target_archE4294967295ELNS1_3gpuE0ELNS1_3repE0EEENS1_59segmented_radix_sort_warp_sort_small_config_static_selectorELNS0_4arch9wavefront6targetE1EEEvSH_.numbered_sgpr, 0
	.set _ZN7rocprim17ROCPRIM_400000_NS6detail17trampoline_kernelINS0_14default_configENS1_36segmented_radix_sort_config_selectorIllEEZNS1_25segmented_radix_sort_implIS3_Lb0EPKlPlS8_S9_N2at6native12_GLOBAL__N_18offset_tEEE10hipError_tPvRmT1_PNSt15iterator_traitsISH_E10value_typeET2_T3_PNSI_ISN_E10value_typeET4_jRbjT5_ST_jjP12ihipStream_tbEUlT_E1_NS1_11comp_targetILNS1_3genE0ELNS1_11target_archE4294967295ELNS1_3gpuE0ELNS1_3repE0EEENS1_59segmented_radix_sort_warp_sort_small_config_static_selectorELNS0_4arch9wavefront6targetE1EEEvSH_.num_named_barrier, 0
	.set _ZN7rocprim17ROCPRIM_400000_NS6detail17trampoline_kernelINS0_14default_configENS1_36segmented_radix_sort_config_selectorIllEEZNS1_25segmented_radix_sort_implIS3_Lb0EPKlPlS8_S9_N2at6native12_GLOBAL__N_18offset_tEEE10hipError_tPvRmT1_PNSt15iterator_traitsISH_E10value_typeET2_T3_PNSI_ISN_E10value_typeET4_jRbjT5_ST_jjP12ihipStream_tbEUlT_E1_NS1_11comp_targetILNS1_3genE0ELNS1_11target_archE4294967295ELNS1_3gpuE0ELNS1_3repE0EEENS1_59segmented_radix_sort_warp_sort_small_config_static_selectorELNS0_4arch9wavefront6targetE1EEEvSH_.private_seg_size, 0
	.set _ZN7rocprim17ROCPRIM_400000_NS6detail17trampoline_kernelINS0_14default_configENS1_36segmented_radix_sort_config_selectorIllEEZNS1_25segmented_radix_sort_implIS3_Lb0EPKlPlS8_S9_N2at6native12_GLOBAL__N_18offset_tEEE10hipError_tPvRmT1_PNSt15iterator_traitsISH_E10value_typeET2_T3_PNSI_ISN_E10value_typeET4_jRbjT5_ST_jjP12ihipStream_tbEUlT_E1_NS1_11comp_targetILNS1_3genE0ELNS1_11target_archE4294967295ELNS1_3gpuE0ELNS1_3repE0EEENS1_59segmented_radix_sort_warp_sort_small_config_static_selectorELNS0_4arch9wavefront6targetE1EEEvSH_.uses_vcc, 0
	.set _ZN7rocprim17ROCPRIM_400000_NS6detail17trampoline_kernelINS0_14default_configENS1_36segmented_radix_sort_config_selectorIllEEZNS1_25segmented_radix_sort_implIS3_Lb0EPKlPlS8_S9_N2at6native12_GLOBAL__N_18offset_tEEE10hipError_tPvRmT1_PNSt15iterator_traitsISH_E10value_typeET2_T3_PNSI_ISN_E10value_typeET4_jRbjT5_ST_jjP12ihipStream_tbEUlT_E1_NS1_11comp_targetILNS1_3genE0ELNS1_11target_archE4294967295ELNS1_3gpuE0ELNS1_3repE0EEENS1_59segmented_radix_sort_warp_sort_small_config_static_selectorELNS0_4arch9wavefront6targetE1EEEvSH_.uses_flat_scratch, 0
	.set _ZN7rocprim17ROCPRIM_400000_NS6detail17trampoline_kernelINS0_14default_configENS1_36segmented_radix_sort_config_selectorIllEEZNS1_25segmented_radix_sort_implIS3_Lb0EPKlPlS8_S9_N2at6native12_GLOBAL__N_18offset_tEEE10hipError_tPvRmT1_PNSt15iterator_traitsISH_E10value_typeET2_T3_PNSI_ISN_E10value_typeET4_jRbjT5_ST_jjP12ihipStream_tbEUlT_E1_NS1_11comp_targetILNS1_3genE0ELNS1_11target_archE4294967295ELNS1_3gpuE0ELNS1_3repE0EEENS1_59segmented_radix_sort_warp_sort_small_config_static_selectorELNS0_4arch9wavefront6targetE1EEEvSH_.has_dyn_sized_stack, 0
	.set _ZN7rocprim17ROCPRIM_400000_NS6detail17trampoline_kernelINS0_14default_configENS1_36segmented_radix_sort_config_selectorIllEEZNS1_25segmented_radix_sort_implIS3_Lb0EPKlPlS8_S9_N2at6native12_GLOBAL__N_18offset_tEEE10hipError_tPvRmT1_PNSt15iterator_traitsISH_E10value_typeET2_T3_PNSI_ISN_E10value_typeET4_jRbjT5_ST_jjP12ihipStream_tbEUlT_E1_NS1_11comp_targetILNS1_3genE0ELNS1_11target_archE4294967295ELNS1_3gpuE0ELNS1_3repE0EEENS1_59segmented_radix_sort_warp_sort_small_config_static_selectorELNS0_4arch9wavefront6targetE1EEEvSH_.has_recursion, 0
	.set _ZN7rocprim17ROCPRIM_400000_NS6detail17trampoline_kernelINS0_14default_configENS1_36segmented_radix_sort_config_selectorIllEEZNS1_25segmented_radix_sort_implIS3_Lb0EPKlPlS8_S9_N2at6native12_GLOBAL__N_18offset_tEEE10hipError_tPvRmT1_PNSt15iterator_traitsISH_E10value_typeET2_T3_PNSI_ISN_E10value_typeET4_jRbjT5_ST_jjP12ihipStream_tbEUlT_E1_NS1_11comp_targetILNS1_3genE0ELNS1_11target_archE4294967295ELNS1_3gpuE0ELNS1_3repE0EEENS1_59segmented_radix_sort_warp_sort_small_config_static_selectorELNS0_4arch9wavefront6targetE1EEEvSH_.has_indirect_call, 0
	.section	.AMDGPU.csdata,"",@progbits
; Kernel info:
; codeLenInByte = 0
; TotalNumSgprs: 4
; NumVgprs: 0
; ScratchSize: 0
; MemoryBound: 0
; FloatMode: 240
; IeeeMode: 1
; LDSByteSize: 0 bytes/workgroup (compile time only)
; SGPRBlocks: 0
; VGPRBlocks: 0
; NumSGPRsForWavesPerEU: 4
; NumVGPRsForWavesPerEU: 1
; Occupancy: 10
; WaveLimiterHint : 0
; COMPUTE_PGM_RSRC2:SCRATCH_EN: 0
; COMPUTE_PGM_RSRC2:USER_SGPR: 6
; COMPUTE_PGM_RSRC2:TRAP_HANDLER: 0
; COMPUTE_PGM_RSRC2:TGID_X_EN: 1
; COMPUTE_PGM_RSRC2:TGID_Y_EN: 0
; COMPUTE_PGM_RSRC2:TGID_Z_EN: 0
; COMPUTE_PGM_RSRC2:TIDIG_COMP_CNT: 0
	.section	.text._ZN7rocprim17ROCPRIM_400000_NS6detail17trampoline_kernelINS0_14default_configENS1_36segmented_radix_sort_config_selectorIllEEZNS1_25segmented_radix_sort_implIS3_Lb0EPKlPlS8_S9_N2at6native12_GLOBAL__N_18offset_tEEE10hipError_tPvRmT1_PNSt15iterator_traitsISH_E10value_typeET2_T3_PNSI_ISN_E10value_typeET4_jRbjT5_ST_jjP12ihipStream_tbEUlT_E1_NS1_11comp_targetILNS1_3genE5ELNS1_11target_archE942ELNS1_3gpuE9ELNS1_3repE0EEENS1_59segmented_radix_sort_warp_sort_small_config_static_selectorELNS0_4arch9wavefront6targetE1EEEvSH_,"axG",@progbits,_ZN7rocprim17ROCPRIM_400000_NS6detail17trampoline_kernelINS0_14default_configENS1_36segmented_radix_sort_config_selectorIllEEZNS1_25segmented_radix_sort_implIS3_Lb0EPKlPlS8_S9_N2at6native12_GLOBAL__N_18offset_tEEE10hipError_tPvRmT1_PNSt15iterator_traitsISH_E10value_typeET2_T3_PNSI_ISN_E10value_typeET4_jRbjT5_ST_jjP12ihipStream_tbEUlT_E1_NS1_11comp_targetILNS1_3genE5ELNS1_11target_archE942ELNS1_3gpuE9ELNS1_3repE0EEENS1_59segmented_radix_sort_warp_sort_small_config_static_selectorELNS0_4arch9wavefront6targetE1EEEvSH_,comdat
	.globl	_ZN7rocprim17ROCPRIM_400000_NS6detail17trampoline_kernelINS0_14default_configENS1_36segmented_radix_sort_config_selectorIllEEZNS1_25segmented_radix_sort_implIS3_Lb0EPKlPlS8_S9_N2at6native12_GLOBAL__N_18offset_tEEE10hipError_tPvRmT1_PNSt15iterator_traitsISH_E10value_typeET2_T3_PNSI_ISN_E10value_typeET4_jRbjT5_ST_jjP12ihipStream_tbEUlT_E1_NS1_11comp_targetILNS1_3genE5ELNS1_11target_archE942ELNS1_3gpuE9ELNS1_3repE0EEENS1_59segmented_radix_sort_warp_sort_small_config_static_selectorELNS0_4arch9wavefront6targetE1EEEvSH_ ; -- Begin function _ZN7rocprim17ROCPRIM_400000_NS6detail17trampoline_kernelINS0_14default_configENS1_36segmented_radix_sort_config_selectorIllEEZNS1_25segmented_radix_sort_implIS3_Lb0EPKlPlS8_S9_N2at6native12_GLOBAL__N_18offset_tEEE10hipError_tPvRmT1_PNSt15iterator_traitsISH_E10value_typeET2_T3_PNSI_ISN_E10value_typeET4_jRbjT5_ST_jjP12ihipStream_tbEUlT_E1_NS1_11comp_targetILNS1_3genE5ELNS1_11target_archE942ELNS1_3gpuE9ELNS1_3repE0EEENS1_59segmented_radix_sort_warp_sort_small_config_static_selectorELNS0_4arch9wavefront6targetE1EEEvSH_
	.p2align	8
	.type	_ZN7rocprim17ROCPRIM_400000_NS6detail17trampoline_kernelINS0_14default_configENS1_36segmented_radix_sort_config_selectorIllEEZNS1_25segmented_radix_sort_implIS3_Lb0EPKlPlS8_S9_N2at6native12_GLOBAL__N_18offset_tEEE10hipError_tPvRmT1_PNSt15iterator_traitsISH_E10value_typeET2_T3_PNSI_ISN_E10value_typeET4_jRbjT5_ST_jjP12ihipStream_tbEUlT_E1_NS1_11comp_targetILNS1_3genE5ELNS1_11target_archE942ELNS1_3gpuE9ELNS1_3repE0EEENS1_59segmented_radix_sort_warp_sort_small_config_static_selectorELNS0_4arch9wavefront6targetE1EEEvSH_,@function
_ZN7rocprim17ROCPRIM_400000_NS6detail17trampoline_kernelINS0_14default_configENS1_36segmented_radix_sort_config_selectorIllEEZNS1_25segmented_radix_sort_implIS3_Lb0EPKlPlS8_S9_N2at6native12_GLOBAL__N_18offset_tEEE10hipError_tPvRmT1_PNSt15iterator_traitsISH_E10value_typeET2_T3_PNSI_ISN_E10value_typeET4_jRbjT5_ST_jjP12ihipStream_tbEUlT_E1_NS1_11comp_targetILNS1_3genE5ELNS1_11target_archE942ELNS1_3gpuE9ELNS1_3repE0EEENS1_59segmented_radix_sort_warp_sort_small_config_static_selectorELNS0_4arch9wavefront6targetE1EEEvSH_: ; @_ZN7rocprim17ROCPRIM_400000_NS6detail17trampoline_kernelINS0_14default_configENS1_36segmented_radix_sort_config_selectorIllEEZNS1_25segmented_radix_sort_implIS3_Lb0EPKlPlS8_S9_N2at6native12_GLOBAL__N_18offset_tEEE10hipError_tPvRmT1_PNSt15iterator_traitsISH_E10value_typeET2_T3_PNSI_ISN_E10value_typeET4_jRbjT5_ST_jjP12ihipStream_tbEUlT_E1_NS1_11comp_targetILNS1_3genE5ELNS1_11target_archE942ELNS1_3gpuE9ELNS1_3repE0EEENS1_59segmented_radix_sort_warp_sort_small_config_static_selectorELNS0_4arch9wavefront6targetE1EEEvSH_
; %bb.0:
	.section	.rodata,"a",@progbits
	.p2align	6, 0x0
	.amdhsa_kernel _ZN7rocprim17ROCPRIM_400000_NS6detail17trampoline_kernelINS0_14default_configENS1_36segmented_radix_sort_config_selectorIllEEZNS1_25segmented_radix_sort_implIS3_Lb0EPKlPlS8_S9_N2at6native12_GLOBAL__N_18offset_tEEE10hipError_tPvRmT1_PNSt15iterator_traitsISH_E10value_typeET2_T3_PNSI_ISN_E10value_typeET4_jRbjT5_ST_jjP12ihipStream_tbEUlT_E1_NS1_11comp_targetILNS1_3genE5ELNS1_11target_archE942ELNS1_3gpuE9ELNS1_3repE0EEENS1_59segmented_radix_sort_warp_sort_small_config_static_selectorELNS0_4arch9wavefront6targetE1EEEvSH_
		.amdhsa_group_segment_fixed_size 0
		.amdhsa_private_segment_fixed_size 0
		.amdhsa_kernarg_size 88
		.amdhsa_user_sgpr_count 6
		.amdhsa_user_sgpr_private_segment_buffer 1
		.amdhsa_user_sgpr_dispatch_ptr 0
		.amdhsa_user_sgpr_queue_ptr 0
		.amdhsa_user_sgpr_kernarg_segment_ptr 1
		.amdhsa_user_sgpr_dispatch_id 0
		.amdhsa_user_sgpr_flat_scratch_init 0
		.amdhsa_user_sgpr_private_segment_size 0
		.amdhsa_uses_dynamic_stack 0
		.amdhsa_system_sgpr_private_segment_wavefront_offset 0
		.amdhsa_system_sgpr_workgroup_id_x 1
		.amdhsa_system_sgpr_workgroup_id_y 0
		.amdhsa_system_sgpr_workgroup_id_z 0
		.amdhsa_system_sgpr_workgroup_info 0
		.amdhsa_system_vgpr_workitem_id 0
		.amdhsa_next_free_vgpr 1
		.amdhsa_next_free_sgpr 0
		.amdhsa_reserve_vcc 0
		.amdhsa_reserve_flat_scratch 0
		.amdhsa_float_round_mode_32 0
		.amdhsa_float_round_mode_16_64 0
		.amdhsa_float_denorm_mode_32 3
		.amdhsa_float_denorm_mode_16_64 3
		.amdhsa_dx10_clamp 1
		.amdhsa_ieee_mode 1
		.amdhsa_fp16_overflow 0
		.amdhsa_exception_fp_ieee_invalid_op 0
		.amdhsa_exception_fp_denorm_src 0
		.amdhsa_exception_fp_ieee_div_zero 0
		.amdhsa_exception_fp_ieee_overflow 0
		.amdhsa_exception_fp_ieee_underflow 0
		.amdhsa_exception_fp_ieee_inexact 0
		.amdhsa_exception_int_div_zero 0
	.end_amdhsa_kernel
	.section	.text._ZN7rocprim17ROCPRIM_400000_NS6detail17trampoline_kernelINS0_14default_configENS1_36segmented_radix_sort_config_selectorIllEEZNS1_25segmented_radix_sort_implIS3_Lb0EPKlPlS8_S9_N2at6native12_GLOBAL__N_18offset_tEEE10hipError_tPvRmT1_PNSt15iterator_traitsISH_E10value_typeET2_T3_PNSI_ISN_E10value_typeET4_jRbjT5_ST_jjP12ihipStream_tbEUlT_E1_NS1_11comp_targetILNS1_3genE5ELNS1_11target_archE942ELNS1_3gpuE9ELNS1_3repE0EEENS1_59segmented_radix_sort_warp_sort_small_config_static_selectorELNS0_4arch9wavefront6targetE1EEEvSH_,"axG",@progbits,_ZN7rocprim17ROCPRIM_400000_NS6detail17trampoline_kernelINS0_14default_configENS1_36segmented_radix_sort_config_selectorIllEEZNS1_25segmented_radix_sort_implIS3_Lb0EPKlPlS8_S9_N2at6native12_GLOBAL__N_18offset_tEEE10hipError_tPvRmT1_PNSt15iterator_traitsISH_E10value_typeET2_T3_PNSI_ISN_E10value_typeET4_jRbjT5_ST_jjP12ihipStream_tbEUlT_E1_NS1_11comp_targetILNS1_3genE5ELNS1_11target_archE942ELNS1_3gpuE9ELNS1_3repE0EEENS1_59segmented_radix_sort_warp_sort_small_config_static_selectorELNS0_4arch9wavefront6targetE1EEEvSH_,comdat
.Lfunc_end828:
	.size	_ZN7rocprim17ROCPRIM_400000_NS6detail17trampoline_kernelINS0_14default_configENS1_36segmented_radix_sort_config_selectorIllEEZNS1_25segmented_radix_sort_implIS3_Lb0EPKlPlS8_S9_N2at6native12_GLOBAL__N_18offset_tEEE10hipError_tPvRmT1_PNSt15iterator_traitsISH_E10value_typeET2_T3_PNSI_ISN_E10value_typeET4_jRbjT5_ST_jjP12ihipStream_tbEUlT_E1_NS1_11comp_targetILNS1_3genE5ELNS1_11target_archE942ELNS1_3gpuE9ELNS1_3repE0EEENS1_59segmented_radix_sort_warp_sort_small_config_static_selectorELNS0_4arch9wavefront6targetE1EEEvSH_, .Lfunc_end828-_ZN7rocprim17ROCPRIM_400000_NS6detail17trampoline_kernelINS0_14default_configENS1_36segmented_radix_sort_config_selectorIllEEZNS1_25segmented_radix_sort_implIS3_Lb0EPKlPlS8_S9_N2at6native12_GLOBAL__N_18offset_tEEE10hipError_tPvRmT1_PNSt15iterator_traitsISH_E10value_typeET2_T3_PNSI_ISN_E10value_typeET4_jRbjT5_ST_jjP12ihipStream_tbEUlT_E1_NS1_11comp_targetILNS1_3genE5ELNS1_11target_archE942ELNS1_3gpuE9ELNS1_3repE0EEENS1_59segmented_radix_sort_warp_sort_small_config_static_selectorELNS0_4arch9wavefront6targetE1EEEvSH_
                                        ; -- End function
	.set _ZN7rocprim17ROCPRIM_400000_NS6detail17trampoline_kernelINS0_14default_configENS1_36segmented_radix_sort_config_selectorIllEEZNS1_25segmented_radix_sort_implIS3_Lb0EPKlPlS8_S9_N2at6native12_GLOBAL__N_18offset_tEEE10hipError_tPvRmT1_PNSt15iterator_traitsISH_E10value_typeET2_T3_PNSI_ISN_E10value_typeET4_jRbjT5_ST_jjP12ihipStream_tbEUlT_E1_NS1_11comp_targetILNS1_3genE5ELNS1_11target_archE942ELNS1_3gpuE9ELNS1_3repE0EEENS1_59segmented_radix_sort_warp_sort_small_config_static_selectorELNS0_4arch9wavefront6targetE1EEEvSH_.num_vgpr, 0
	.set _ZN7rocprim17ROCPRIM_400000_NS6detail17trampoline_kernelINS0_14default_configENS1_36segmented_radix_sort_config_selectorIllEEZNS1_25segmented_radix_sort_implIS3_Lb0EPKlPlS8_S9_N2at6native12_GLOBAL__N_18offset_tEEE10hipError_tPvRmT1_PNSt15iterator_traitsISH_E10value_typeET2_T3_PNSI_ISN_E10value_typeET4_jRbjT5_ST_jjP12ihipStream_tbEUlT_E1_NS1_11comp_targetILNS1_3genE5ELNS1_11target_archE942ELNS1_3gpuE9ELNS1_3repE0EEENS1_59segmented_radix_sort_warp_sort_small_config_static_selectorELNS0_4arch9wavefront6targetE1EEEvSH_.num_agpr, 0
	.set _ZN7rocprim17ROCPRIM_400000_NS6detail17trampoline_kernelINS0_14default_configENS1_36segmented_radix_sort_config_selectorIllEEZNS1_25segmented_radix_sort_implIS3_Lb0EPKlPlS8_S9_N2at6native12_GLOBAL__N_18offset_tEEE10hipError_tPvRmT1_PNSt15iterator_traitsISH_E10value_typeET2_T3_PNSI_ISN_E10value_typeET4_jRbjT5_ST_jjP12ihipStream_tbEUlT_E1_NS1_11comp_targetILNS1_3genE5ELNS1_11target_archE942ELNS1_3gpuE9ELNS1_3repE0EEENS1_59segmented_radix_sort_warp_sort_small_config_static_selectorELNS0_4arch9wavefront6targetE1EEEvSH_.numbered_sgpr, 0
	.set _ZN7rocprim17ROCPRIM_400000_NS6detail17trampoline_kernelINS0_14default_configENS1_36segmented_radix_sort_config_selectorIllEEZNS1_25segmented_radix_sort_implIS3_Lb0EPKlPlS8_S9_N2at6native12_GLOBAL__N_18offset_tEEE10hipError_tPvRmT1_PNSt15iterator_traitsISH_E10value_typeET2_T3_PNSI_ISN_E10value_typeET4_jRbjT5_ST_jjP12ihipStream_tbEUlT_E1_NS1_11comp_targetILNS1_3genE5ELNS1_11target_archE942ELNS1_3gpuE9ELNS1_3repE0EEENS1_59segmented_radix_sort_warp_sort_small_config_static_selectorELNS0_4arch9wavefront6targetE1EEEvSH_.num_named_barrier, 0
	.set _ZN7rocprim17ROCPRIM_400000_NS6detail17trampoline_kernelINS0_14default_configENS1_36segmented_radix_sort_config_selectorIllEEZNS1_25segmented_radix_sort_implIS3_Lb0EPKlPlS8_S9_N2at6native12_GLOBAL__N_18offset_tEEE10hipError_tPvRmT1_PNSt15iterator_traitsISH_E10value_typeET2_T3_PNSI_ISN_E10value_typeET4_jRbjT5_ST_jjP12ihipStream_tbEUlT_E1_NS1_11comp_targetILNS1_3genE5ELNS1_11target_archE942ELNS1_3gpuE9ELNS1_3repE0EEENS1_59segmented_radix_sort_warp_sort_small_config_static_selectorELNS0_4arch9wavefront6targetE1EEEvSH_.private_seg_size, 0
	.set _ZN7rocprim17ROCPRIM_400000_NS6detail17trampoline_kernelINS0_14default_configENS1_36segmented_radix_sort_config_selectorIllEEZNS1_25segmented_radix_sort_implIS3_Lb0EPKlPlS8_S9_N2at6native12_GLOBAL__N_18offset_tEEE10hipError_tPvRmT1_PNSt15iterator_traitsISH_E10value_typeET2_T3_PNSI_ISN_E10value_typeET4_jRbjT5_ST_jjP12ihipStream_tbEUlT_E1_NS1_11comp_targetILNS1_3genE5ELNS1_11target_archE942ELNS1_3gpuE9ELNS1_3repE0EEENS1_59segmented_radix_sort_warp_sort_small_config_static_selectorELNS0_4arch9wavefront6targetE1EEEvSH_.uses_vcc, 0
	.set _ZN7rocprim17ROCPRIM_400000_NS6detail17trampoline_kernelINS0_14default_configENS1_36segmented_radix_sort_config_selectorIllEEZNS1_25segmented_radix_sort_implIS3_Lb0EPKlPlS8_S9_N2at6native12_GLOBAL__N_18offset_tEEE10hipError_tPvRmT1_PNSt15iterator_traitsISH_E10value_typeET2_T3_PNSI_ISN_E10value_typeET4_jRbjT5_ST_jjP12ihipStream_tbEUlT_E1_NS1_11comp_targetILNS1_3genE5ELNS1_11target_archE942ELNS1_3gpuE9ELNS1_3repE0EEENS1_59segmented_radix_sort_warp_sort_small_config_static_selectorELNS0_4arch9wavefront6targetE1EEEvSH_.uses_flat_scratch, 0
	.set _ZN7rocprim17ROCPRIM_400000_NS6detail17trampoline_kernelINS0_14default_configENS1_36segmented_radix_sort_config_selectorIllEEZNS1_25segmented_radix_sort_implIS3_Lb0EPKlPlS8_S9_N2at6native12_GLOBAL__N_18offset_tEEE10hipError_tPvRmT1_PNSt15iterator_traitsISH_E10value_typeET2_T3_PNSI_ISN_E10value_typeET4_jRbjT5_ST_jjP12ihipStream_tbEUlT_E1_NS1_11comp_targetILNS1_3genE5ELNS1_11target_archE942ELNS1_3gpuE9ELNS1_3repE0EEENS1_59segmented_radix_sort_warp_sort_small_config_static_selectorELNS0_4arch9wavefront6targetE1EEEvSH_.has_dyn_sized_stack, 0
	.set _ZN7rocprim17ROCPRIM_400000_NS6detail17trampoline_kernelINS0_14default_configENS1_36segmented_radix_sort_config_selectorIllEEZNS1_25segmented_radix_sort_implIS3_Lb0EPKlPlS8_S9_N2at6native12_GLOBAL__N_18offset_tEEE10hipError_tPvRmT1_PNSt15iterator_traitsISH_E10value_typeET2_T3_PNSI_ISN_E10value_typeET4_jRbjT5_ST_jjP12ihipStream_tbEUlT_E1_NS1_11comp_targetILNS1_3genE5ELNS1_11target_archE942ELNS1_3gpuE9ELNS1_3repE0EEENS1_59segmented_radix_sort_warp_sort_small_config_static_selectorELNS0_4arch9wavefront6targetE1EEEvSH_.has_recursion, 0
	.set _ZN7rocprim17ROCPRIM_400000_NS6detail17trampoline_kernelINS0_14default_configENS1_36segmented_radix_sort_config_selectorIllEEZNS1_25segmented_radix_sort_implIS3_Lb0EPKlPlS8_S9_N2at6native12_GLOBAL__N_18offset_tEEE10hipError_tPvRmT1_PNSt15iterator_traitsISH_E10value_typeET2_T3_PNSI_ISN_E10value_typeET4_jRbjT5_ST_jjP12ihipStream_tbEUlT_E1_NS1_11comp_targetILNS1_3genE5ELNS1_11target_archE942ELNS1_3gpuE9ELNS1_3repE0EEENS1_59segmented_radix_sort_warp_sort_small_config_static_selectorELNS0_4arch9wavefront6targetE1EEEvSH_.has_indirect_call, 0
	.section	.AMDGPU.csdata,"",@progbits
; Kernel info:
; codeLenInByte = 0
; TotalNumSgprs: 4
; NumVgprs: 0
; ScratchSize: 0
; MemoryBound: 0
; FloatMode: 240
; IeeeMode: 1
; LDSByteSize: 0 bytes/workgroup (compile time only)
; SGPRBlocks: 0
; VGPRBlocks: 0
; NumSGPRsForWavesPerEU: 4
; NumVGPRsForWavesPerEU: 1
; Occupancy: 10
; WaveLimiterHint : 0
; COMPUTE_PGM_RSRC2:SCRATCH_EN: 0
; COMPUTE_PGM_RSRC2:USER_SGPR: 6
; COMPUTE_PGM_RSRC2:TRAP_HANDLER: 0
; COMPUTE_PGM_RSRC2:TGID_X_EN: 1
; COMPUTE_PGM_RSRC2:TGID_Y_EN: 0
; COMPUTE_PGM_RSRC2:TGID_Z_EN: 0
; COMPUTE_PGM_RSRC2:TIDIG_COMP_CNT: 0
	.section	.text._ZN7rocprim17ROCPRIM_400000_NS6detail17trampoline_kernelINS0_14default_configENS1_36segmented_radix_sort_config_selectorIllEEZNS1_25segmented_radix_sort_implIS3_Lb0EPKlPlS8_S9_N2at6native12_GLOBAL__N_18offset_tEEE10hipError_tPvRmT1_PNSt15iterator_traitsISH_E10value_typeET2_T3_PNSI_ISN_E10value_typeET4_jRbjT5_ST_jjP12ihipStream_tbEUlT_E1_NS1_11comp_targetILNS1_3genE4ELNS1_11target_archE910ELNS1_3gpuE8ELNS1_3repE0EEENS1_59segmented_radix_sort_warp_sort_small_config_static_selectorELNS0_4arch9wavefront6targetE1EEEvSH_,"axG",@progbits,_ZN7rocprim17ROCPRIM_400000_NS6detail17trampoline_kernelINS0_14default_configENS1_36segmented_radix_sort_config_selectorIllEEZNS1_25segmented_radix_sort_implIS3_Lb0EPKlPlS8_S9_N2at6native12_GLOBAL__N_18offset_tEEE10hipError_tPvRmT1_PNSt15iterator_traitsISH_E10value_typeET2_T3_PNSI_ISN_E10value_typeET4_jRbjT5_ST_jjP12ihipStream_tbEUlT_E1_NS1_11comp_targetILNS1_3genE4ELNS1_11target_archE910ELNS1_3gpuE8ELNS1_3repE0EEENS1_59segmented_radix_sort_warp_sort_small_config_static_selectorELNS0_4arch9wavefront6targetE1EEEvSH_,comdat
	.globl	_ZN7rocprim17ROCPRIM_400000_NS6detail17trampoline_kernelINS0_14default_configENS1_36segmented_radix_sort_config_selectorIllEEZNS1_25segmented_radix_sort_implIS3_Lb0EPKlPlS8_S9_N2at6native12_GLOBAL__N_18offset_tEEE10hipError_tPvRmT1_PNSt15iterator_traitsISH_E10value_typeET2_T3_PNSI_ISN_E10value_typeET4_jRbjT5_ST_jjP12ihipStream_tbEUlT_E1_NS1_11comp_targetILNS1_3genE4ELNS1_11target_archE910ELNS1_3gpuE8ELNS1_3repE0EEENS1_59segmented_radix_sort_warp_sort_small_config_static_selectorELNS0_4arch9wavefront6targetE1EEEvSH_ ; -- Begin function _ZN7rocprim17ROCPRIM_400000_NS6detail17trampoline_kernelINS0_14default_configENS1_36segmented_radix_sort_config_selectorIllEEZNS1_25segmented_radix_sort_implIS3_Lb0EPKlPlS8_S9_N2at6native12_GLOBAL__N_18offset_tEEE10hipError_tPvRmT1_PNSt15iterator_traitsISH_E10value_typeET2_T3_PNSI_ISN_E10value_typeET4_jRbjT5_ST_jjP12ihipStream_tbEUlT_E1_NS1_11comp_targetILNS1_3genE4ELNS1_11target_archE910ELNS1_3gpuE8ELNS1_3repE0EEENS1_59segmented_radix_sort_warp_sort_small_config_static_selectorELNS0_4arch9wavefront6targetE1EEEvSH_
	.p2align	8
	.type	_ZN7rocprim17ROCPRIM_400000_NS6detail17trampoline_kernelINS0_14default_configENS1_36segmented_radix_sort_config_selectorIllEEZNS1_25segmented_radix_sort_implIS3_Lb0EPKlPlS8_S9_N2at6native12_GLOBAL__N_18offset_tEEE10hipError_tPvRmT1_PNSt15iterator_traitsISH_E10value_typeET2_T3_PNSI_ISN_E10value_typeET4_jRbjT5_ST_jjP12ihipStream_tbEUlT_E1_NS1_11comp_targetILNS1_3genE4ELNS1_11target_archE910ELNS1_3gpuE8ELNS1_3repE0EEENS1_59segmented_radix_sort_warp_sort_small_config_static_selectorELNS0_4arch9wavefront6targetE1EEEvSH_,@function
_ZN7rocprim17ROCPRIM_400000_NS6detail17trampoline_kernelINS0_14default_configENS1_36segmented_radix_sort_config_selectorIllEEZNS1_25segmented_radix_sort_implIS3_Lb0EPKlPlS8_S9_N2at6native12_GLOBAL__N_18offset_tEEE10hipError_tPvRmT1_PNSt15iterator_traitsISH_E10value_typeET2_T3_PNSI_ISN_E10value_typeET4_jRbjT5_ST_jjP12ihipStream_tbEUlT_E1_NS1_11comp_targetILNS1_3genE4ELNS1_11target_archE910ELNS1_3gpuE8ELNS1_3repE0EEENS1_59segmented_radix_sort_warp_sort_small_config_static_selectorELNS0_4arch9wavefront6targetE1EEEvSH_: ; @_ZN7rocprim17ROCPRIM_400000_NS6detail17trampoline_kernelINS0_14default_configENS1_36segmented_radix_sort_config_selectorIllEEZNS1_25segmented_radix_sort_implIS3_Lb0EPKlPlS8_S9_N2at6native12_GLOBAL__N_18offset_tEEE10hipError_tPvRmT1_PNSt15iterator_traitsISH_E10value_typeET2_T3_PNSI_ISN_E10value_typeET4_jRbjT5_ST_jjP12ihipStream_tbEUlT_E1_NS1_11comp_targetILNS1_3genE4ELNS1_11target_archE910ELNS1_3gpuE8ELNS1_3repE0EEENS1_59segmented_radix_sort_warp_sort_small_config_static_selectorELNS0_4arch9wavefront6targetE1EEEvSH_
; %bb.0:
	.section	.rodata,"a",@progbits
	.p2align	6, 0x0
	.amdhsa_kernel _ZN7rocprim17ROCPRIM_400000_NS6detail17trampoline_kernelINS0_14default_configENS1_36segmented_radix_sort_config_selectorIllEEZNS1_25segmented_radix_sort_implIS3_Lb0EPKlPlS8_S9_N2at6native12_GLOBAL__N_18offset_tEEE10hipError_tPvRmT1_PNSt15iterator_traitsISH_E10value_typeET2_T3_PNSI_ISN_E10value_typeET4_jRbjT5_ST_jjP12ihipStream_tbEUlT_E1_NS1_11comp_targetILNS1_3genE4ELNS1_11target_archE910ELNS1_3gpuE8ELNS1_3repE0EEENS1_59segmented_radix_sort_warp_sort_small_config_static_selectorELNS0_4arch9wavefront6targetE1EEEvSH_
		.amdhsa_group_segment_fixed_size 0
		.amdhsa_private_segment_fixed_size 0
		.amdhsa_kernarg_size 88
		.amdhsa_user_sgpr_count 6
		.amdhsa_user_sgpr_private_segment_buffer 1
		.amdhsa_user_sgpr_dispatch_ptr 0
		.amdhsa_user_sgpr_queue_ptr 0
		.amdhsa_user_sgpr_kernarg_segment_ptr 1
		.amdhsa_user_sgpr_dispatch_id 0
		.amdhsa_user_sgpr_flat_scratch_init 0
		.amdhsa_user_sgpr_private_segment_size 0
		.amdhsa_uses_dynamic_stack 0
		.amdhsa_system_sgpr_private_segment_wavefront_offset 0
		.amdhsa_system_sgpr_workgroup_id_x 1
		.amdhsa_system_sgpr_workgroup_id_y 0
		.amdhsa_system_sgpr_workgroup_id_z 0
		.amdhsa_system_sgpr_workgroup_info 0
		.amdhsa_system_vgpr_workitem_id 0
		.amdhsa_next_free_vgpr 1
		.amdhsa_next_free_sgpr 0
		.amdhsa_reserve_vcc 0
		.amdhsa_reserve_flat_scratch 0
		.amdhsa_float_round_mode_32 0
		.amdhsa_float_round_mode_16_64 0
		.amdhsa_float_denorm_mode_32 3
		.amdhsa_float_denorm_mode_16_64 3
		.amdhsa_dx10_clamp 1
		.amdhsa_ieee_mode 1
		.amdhsa_fp16_overflow 0
		.amdhsa_exception_fp_ieee_invalid_op 0
		.amdhsa_exception_fp_denorm_src 0
		.amdhsa_exception_fp_ieee_div_zero 0
		.amdhsa_exception_fp_ieee_overflow 0
		.amdhsa_exception_fp_ieee_underflow 0
		.amdhsa_exception_fp_ieee_inexact 0
		.amdhsa_exception_int_div_zero 0
	.end_amdhsa_kernel
	.section	.text._ZN7rocprim17ROCPRIM_400000_NS6detail17trampoline_kernelINS0_14default_configENS1_36segmented_radix_sort_config_selectorIllEEZNS1_25segmented_radix_sort_implIS3_Lb0EPKlPlS8_S9_N2at6native12_GLOBAL__N_18offset_tEEE10hipError_tPvRmT1_PNSt15iterator_traitsISH_E10value_typeET2_T3_PNSI_ISN_E10value_typeET4_jRbjT5_ST_jjP12ihipStream_tbEUlT_E1_NS1_11comp_targetILNS1_3genE4ELNS1_11target_archE910ELNS1_3gpuE8ELNS1_3repE0EEENS1_59segmented_radix_sort_warp_sort_small_config_static_selectorELNS0_4arch9wavefront6targetE1EEEvSH_,"axG",@progbits,_ZN7rocprim17ROCPRIM_400000_NS6detail17trampoline_kernelINS0_14default_configENS1_36segmented_radix_sort_config_selectorIllEEZNS1_25segmented_radix_sort_implIS3_Lb0EPKlPlS8_S9_N2at6native12_GLOBAL__N_18offset_tEEE10hipError_tPvRmT1_PNSt15iterator_traitsISH_E10value_typeET2_T3_PNSI_ISN_E10value_typeET4_jRbjT5_ST_jjP12ihipStream_tbEUlT_E1_NS1_11comp_targetILNS1_3genE4ELNS1_11target_archE910ELNS1_3gpuE8ELNS1_3repE0EEENS1_59segmented_radix_sort_warp_sort_small_config_static_selectorELNS0_4arch9wavefront6targetE1EEEvSH_,comdat
.Lfunc_end829:
	.size	_ZN7rocprim17ROCPRIM_400000_NS6detail17trampoline_kernelINS0_14default_configENS1_36segmented_radix_sort_config_selectorIllEEZNS1_25segmented_radix_sort_implIS3_Lb0EPKlPlS8_S9_N2at6native12_GLOBAL__N_18offset_tEEE10hipError_tPvRmT1_PNSt15iterator_traitsISH_E10value_typeET2_T3_PNSI_ISN_E10value_typeET4_jRbjT5_ST_jjP12ihipStream_tbEUlT_E1_NS1_11comp_targetILNS1_3genE4ELNS1_11target_archE910ELNS1_3gpuE8ELNS1_3repE0EEENS1_59segmented_radix_sort_warp_sort_small_config_static_selectorELNS0_4arch9wavefront6targetE1EEEvSH_, .Lfunc_end829-_ZN7rocprim17ROCPRIM_400000_NS6detail17trampoline_kernelINS0_14default_configENS1_36segmented_radix_sort_config_selectorIllEEZNS1_25segmented_radix_sort_implIS3_Lb0EPKlPlS8_S9_N2at6native12_GLOBAL__N_18offset_tEEE10hipError_tPvRmT1_PNSt15iterator_traitsISH_E10value_typeET2_T3_PNSI_ISN_E10value_typeET4_jRbjT5_ST_jjP12ihipStream_tbEUlT_E1_NS1_11comp_targetILNS1_3genE4ELNS1_11target_archE910ELNS1_3gpuE8ELNS1_3repE0EEENS1_59segmented_radix_sort_warp_sort_small_config_static_selectorELNS0_4arch9wavefront6targetE1EEEvSH_
                                        ; -- End function
	.set _ZN7rocprim17ROCPRIM_400000_NS6detail17trampoline_kernelINS0_14default_configENS1_36segmented_radix_sort_config_selectorIllEEZNS1_25segmented_radix_sort_implIS3_Lb0EPKlPlS8_S9_N2at6native12_GLOBAL__N_18offset_tEEE10hipError_tPvRmT1_PNSt15iterator_traitsISH_E10value_typeET2_T3_PNSI_ISN_E10value_typeET4_jRbjT5_ST_jjP12ihipStream_tbEUlT_E1_NS1_11comp_targetILNS1_3genE4ELNS1_11target_archE910ELNS1_3gpuE8ELNS1_3repE0EEENS1_59segmented_radix_sort_warp_sort_small_config_static_selectorELNS0_4arch9wavefront6targetE1EEEvSH_.num_vgpr, 0
	.set _ZN7rocprim17ROCPRIM_400000_NS6detail17trampoline_kernelINS0_14default_configENS1_36segmented_radix_sort_config_selectorIllEEZNS1_25segmented_radix_sort_implIS3_Lb0EPKlPlS8_S9_N2at6native12_GLOBAL__N_18offset_tEEE10hipError_tPvRmT1_PNSt15iterator_traitsISH_E10value_typeET2_T3_PNSI_ISN_E10value_typeET4_jRbjT5_ST_jjP12ihipStream_tbEUlT_E1_NS1_11comp_targetILNS1_3genE4ELNS1_11target_archE910ELNS1_3gpuE8ELNS1_3repE0EEENS1_59segmented_radix_sort_warp_sort_small_config_static_selectorELNS0_4arch9wavefront6targetE1EEEvSH_.num_agpr, 0
	.set _ZN7rocprim17ROCPRIM_400000_NS6detail17trampoline_kernelINS0_14default_configENS1_36segmented_radix_sort_config_selectorIllEEZNS1_25segmented_radix_sort_implIS3_Lb0EPKlPlS8_S9_N2at6native12_GLOBAL__N_18offset_tEEE10hipError_tPvRmT1_PNSt15iterator_traitsISH_E10value_typeET2_T3_PNSI_ISN_E10value_typeET4_jRbjT5_ST_jjP12ihipStream_tbEUlT_E1_NS1_11comp_targetILNS1_3genE4ELNS1_11target_archE910ELNS1_3gpuE8ELNS1_3repE0EEENS1_59segmented_radix_sort_warp_sort_small_config_static_selectorELNS0_4arch9wavefront6targetE1EEEvSH_.numbered_sgpr, 0
	.set _ZN7rocprim17ROCPRIM_400000_NS6detail17trampoline_kernelINS0_14default_configENS1_36segmented_radix_sort_config_selectorIllEEZNS1_25segmented_radix_sort_implIS3_Lb0EPKlPlS8_S9_N2at6native12_GLOBAL__N_18offset_tEEE10hipError_tPvRmT1_PNSt15iterator_traitsISH_E10value_typeET2_T3_PNSI_ISN_E10value_typeET4_jRbjT5_ST_jjP12ihipStream_tbEUlT_E1_NS1_11comp_targetILNS1_3genE4ELNS1_11target_archE910ELNS1_3gpuE8ELNS1_3repE0EEENS1_59segmented_radix_sort_warp_sort_small_config_static_selectorELNS0_4arch9wavefront6targetE1EEEvSH_.num_named_barrier, 0
	.set _ZN7rocprim17ROCPRIM_400000_NS6detail17trampoline_kernelINS0_14default_configENS1_36segmented_radix_sort_config_selectorIllEEZNS1_25segmented_radix_sort_implIS3_Lb0EPKlPlS8_S9_N2at6native12_GLOBAL__N_18offset_tEEE10hipError_tPvRmT1_PNSt15iterator_traitsISH_E10value_typeET2_T3_PNSI_ISN_E10value_typeET4_jRbjT5_ST_jjP12ihipStream_tbEUlT_E1_NS1_11comp_targetILNS1_3genE4ELNS1_11target_archE910ELNS1_3gpuE8ELNS1_3repE0EEENS1_59segmented_radix_sort_warp_sort_small_config_static_selectorELNS0_4arch9wavefront6targetE1EEEvSH_.private_seg_size, 0
	.set _ZN7rocprim17ROCPRIM_400000_NS6detail17trampoline_kernelINS0_14default_configENS1_36segmented_radix_sort_config_selectorIllEEZNS1_25segmented_radix_sort_implIS3_Lb0EPKlPlS8_S9_N2at6native12_GLOBAL__N_18offset_tEEE10hipError_tPvRmT1_PNSt15iterator_traitsISH_E10value_typeET2_T3_PNSI_ISN_E10value_typeET4_jRbjT5_ST_jjP12ihipStream_tbEUlT_E1_NS1_11comp_targetILNS1_3genE4ELNS1_11target_archE910ELNS1_3gpuE8ELNS1_3repE0EEENS1_59segmented_radix_sort_warp_sort_small_config_static_selectorELNS0_4arch9wavefront6targetE1EEEvSH_.uses_vcc, 0
	.set _ZN7rocprim17ROCPRIM_400000_NS6detail17trampoline_kernelINS0_14default_configENS1_36segmented_radix_sort_config_selectorIllEEZNS1_25segmented_radix_sort_implIS3_Lb0EPKlPlS8_S9_N2at6native12_GLOBAL__N_18offset_tEEE10hipError_tPvRmT1_PNSt15iterator_traitsISH_E10value_typeET2_T3_PNSI_ISN_E10value_typeET4_jRbjT5_ST_jjP12ihipStream_tbEUlT_E1_NS1_11comp_targetILNS1_3genE4ELNS1_11target_archE910ELNS1_3gpuE8ELNS1_3repE0EEENS1_59segmented_radix_sort_warp_sort_small_config_static_selectorELNS0_4arch9wavefront6targetE1EEEvSH_.uses_flat_scratch, 0
	.set _ZN7rocprim17ROCPRIM_400000_NS6detail17trampoline_kernelINS0_14default_configENS1_36segmented_radix_sort_config_selectorIllEEZNS1_25segmented_radix_sort_implIS3_Lb0EPKlPlS8_S9_N2at6native12_GLOBAL__N_18offset_tEEE10hipError_tPvRmT1_PNSt15iterator_traitsISH_E10value_typeET2_T3_PNSI_ISN_E10value_typeET4_jRbjT5_ST_jjP12ihipStream_tbEUlT_E1_NS1_11comp_targetILNS1_3genE4ELNS1_11target_archE910ELNS1_3gpuE8ELNS1_3repE0EEENS1_59segmented_radix_sort_warp_sort_small_config_static_selectorELNS0_4arch9wavefront6targetE1EEEvSH_.has_dyn_sized_stack, 0
	.set _ZN7rocprim17ROCPRIM_400000_NS6detail17trampoline_kernelINS0_14default_configENS1_36segmented_radix_sort_config_selectorIllEEZNS1_25segmented_radix_sort_implIS3_Lb0EPKlPlS8_S9_N2at6native12_GLOBAL__N_18offset_tEEE10hipError_tPvRmT1_PNSt15iterator_traitsISH_E10value_typeET2_T3_PNSI_ISN_E10value_typeET4_jRbjT5_ST_jjP12ihipStream_tbEUlT_E1_NS1_11comp_targetILNS1_3genE4ELNS1_11target_archE910ELNS1_3gpuE8ELNS1_3repE0EEENS1_59segmented_radix_sort_warp_sort_small_config_static_selectorELNS0_4arch9wavefront6targetE1EEEvSH_.has_recursion, 0
	.set _ZN7rocprim17ROCPRIM_400000_NS6detail17trampoline_kernelINS0_14default_configENS1_36segmented_radix_sort_config_selectorIllEEZNS1_25segmented_radix_sort_implIS3_Lb0EPKlPlS8_S9_N2at6native12_GLOBAL__N_18offset_tEEE10hipError_tPvRmT1_PNSt15iterator_traitsISH_E10value_typeET2_T3_PNSI_ISN_E10value_typeET4_jRbjT5_ST_jjP12ihipStream_tbEUlT_E1_NS1_11comp_targetILNS1_3genE4ELNS1_11target_archE910ELNS1_3gpuE8ELNS1_3repE0EEENS1_59segmented_radix_sort_warp_sort_small_config_static_selectorELNS0_4arch9wavefront6targetE1EEEvSH_.has_indirect_call, 0
	.section	.AMDGPU.csdata,"",@progbits
; Kernel info:
; codeLenInByte = 0
; TotalNumSgprs: 4
; NumVgprs: 0
; ScratchSize: 0
; MemoryBound: 0
; FloatMode: 240
; IeeeMode: 1
; LDSByteSize: 0 bytes/workgroup (compile time only)
; SGPRBlocks: 0
; VGPRBlocks: 0
; NumSGPRsForWavesPerEU: 4
; NumVGPRsForWavesPerEU: 1
; Occupancy: 10
; WaveLimiterHint : 0
; COMPUTE_PGM_RSRC2:SCRATCH_EN: 0
; COMPUTE_PGM_RSRC2:USER_SGPR: 6
; COMPUTE_PGM_RSRC2:TRAP_HANDLER: 0
; COMPUTE_PGM_RSRC2:TGID_X_EN: 1
; COMPUTE_PGM_RSRC2:TGID_Y_EN: 0
; COMPUTE_PGM_RSRC2:TGID_Z_EN: 0
; COMPUTE_PGM_RSRC2:TIDIG_COMP_CNT: 0
	.section	.text._ZN7rocprim17ROCPRIM_400000_NS6detail17trampoline_kernelINS0_14default_configENS1_36segmented_radix_sort_config_selectorIllEEZNS1_25segmented_radix_sort_implIS3_Lb0EPKlPlS8_S9_N2at6native12_GLOBAL__N_18offset_tEEE10hipError_tPvRmT1_PNSt15iterator_traitsISH_E10value_typeET2_T3_PNSI_ISN_E10value_typeET4_jRbjT5_ST_jjP12ihipStream_tbEUlT_E1_NS1_11comp_targetILNS1_3genE3ELNS1_11target_archE908ELNS1_3gpuE7ELNS1_3repE0EEENS1_59segmented_radix_sort_warp_sort_small_config_static_selectorELNS0_4arch9wavefront6targetE1EEEvSH_,"axG",@progbits,_ZN7rocprim17ROCPRIM_400000_NS6detail17trampoline_kernelINS0_14default_configENS1_36segmented_radix_sort_config_selectorIllEEZNS1_25segmented_radix_sort_implIS3_Lb0EPKlPlS8_S9_N2at6native12_GLOBAL__N_18offset_tEEE10hipError_tPvRmT1_PNSt15iterator_traitsISH_E10value_typeET2_T3_PNSI_ISN_E10value_typeET4_jRbjT5_ST_jjP12ihipStream_tbEUlT_E1_NS1_11comp_targetILNS1_3genE3ELNS1_11target_archE908ELNS1_3gpuE7ELNS1_3repE0EEENS1_59segmented_radix_sort_warp_sort_small_config_static_selectorELNS0_4arch9wavefront6targetE1EEEvSH_,comdat
	.globl	_ZN7rocprim17ROCPRIM_400000_NS6detail17trampoline_kernelINS0_14default_configENS1_36segmented_radix_sort_config_selectorIllEEZNS1_25segmented_radix_sort_implIS3_Lb0EPKlPlS8_S9_N2at6native12_GLOBAL__N_18offset_tEEE10hipError_tPvRmT1_PNSt15iterator_traitsISH_E10value_typeET2_T3_PNSI_ISN_E10value_typeET4_jRbjT5_ST_jjP12ihipStream_tbEUlT_E1_NS1_11comp_targetILNS1_3genE3ELNS1_11target_archE908ELNS1_3gpuE7ELNS1_3repE0EEENS1_59segmented_radix_sort_warp_sort_small_config_static_selectorELNS0_4arch9wavefront6targetE1EEEvSH_ ; -- Begin function _ZN7rocprim17ROCPRIM_400000_NS6detail17trampoline_kernelINS0_14default_configENS1_36segmented_radix_sort_config_selectorIllEEZNS1_25segmented_radix_sort_implIS3_Lb0EPKlPlS8_S9_N2at6native12_GLOBAL__N_18offset_tEEE10hipError_tPvRmT1_PNSt15iterator_traitsISH_E10value_typeET2_T3_PNSI_ISN_E10value_typeET4_jRbjT5_ST_jjP12ihipStream_tbEUlT_E1_NS1_11comp_targetILNS1_3genE3ELNS1_11target_archE908ELNS1_3gpuE7ELNS1_3repE0EEENS1_59segmented_radix_sort_warp_sort_small_config_static_selectorELNS0_4arch9wavefront6targetE1EEEvSH_
	.p2align	8
	.type	_ZN7rocprim17ROCPRIM_400000_NS6detail17trampoline_kernelINS0_14default_configENS1_36segmented_radix_sort_config_selectorIllEEZNS1_25segmented_radix_sort_implIS3_Lb0EPKlPlS8_S9_N2at6native12_GLOBAL__N_18offset_tEEE10hipError_tPvRmT1_PNSt15iterator_traitsISH_E10value_typeET2_T3_PNSI_ISN_E10value_typeET4_jRbjT5_ST_jjP12ihipStream_tbEUlT_E1_NS1_11comp_targetILNS1_3genE3ELNS1_11target_archE908ELNS1_3gpuE7ELNS1_3repE0EEENS1_59segmented_radix_sort_warp_sort_small_config_static_selectorELNS0_4arch9wavefront6targetE1EEEvSH_,@function
_ZN7rocprim17ROCPRIM_400000_NS6detail17trampoline_kernelINS0_14default_configENS1_36segmented_radix_sort_config_selectorIllEEZNS1_25segmented_radix_sort_implIS3_Lb0EPKlPlS8_S9_N2at6native12_GLOBAL__N_18offset_tEEE10hipError_tPvRmT1_PNSt15iterator_traitsISH_E10value_typeET2_T3_PNSI_ISN_E10value_typeET4_jRbjT5_ST_jjP12ihipStream_tbEUlT_E1_NS1_11comp_targetILNS1_3genE3ELNS1_11target_archE908ELNS1_3gpuE7ELNS1_3repE0EEENS1_59segmented_radix_sort_warp_sort_small_config_static_selectorELNS0_4arch9wavefront6targetE1EEEvSH_: ; @_ZN7rocprim17ROCPRIM_400000_NS6detail17trampoline_kernelINS0_14default_configENS1_36segmented_radix_sort_config_selectorIllEEZNS1_25segmented_radix_sort_implIS3_Lb0EPKlPlS8_S9_N2at6native12_GLOBAL__N_18offset_tEEE10hipError_tPvRmT1_PNSt15iterator_traitsISH_E10value_typeET2_T3_PNSI_ISN_E10value_typeET4_jRbjT5_ST_jjP12ihipStream_tbEUlT_E1_NS1_11comp_targetILNS1_3genE3ELNS1_11target_archE908ELNS1_3gpuE7ELNS1_3repE0EEENS1_59segmented_radix_sort_warp_sort_small_config_static_selectorELNS0_4arch9wavefront6targetE1EEEvSH_
; %bb.0:
	.section	.rodata,"a",@progbits
	.p2align	6, 0x0
	.amdhsa_kernel _ZN7rocprim17ROCPRIM_400000_NS6detail17trampoline_kernelINS0_14default_configENS1_36segmented_radix_sort_config_selectorIllEEZNS1_25segmented_radix_sort_implIS3_Lb0EPKlPlS8_S9_N2at6native12_GLOBAL__N_18offset_tEEE10hipError_tPvRmT1_PNSt15iterator_traitsISH_E10value_typeET2_T3_PNSI_ISN_E10value_typeET4_jRbjT5_ST_jjP12ihipStream_tbEUlT_E1_NS1_11comp_targetILNS1_3genE3ELNS1_11target_archE908ELNS1_3gpuE7ELNS1_3repE0EEENS1_59segmented_radix_sort_warp_sort_small_config_static_selectorELNS0_4arch9wavefront6targetE1EEEvSH_
		.amdhsa_group_segment_fixed_size 0
		.amdhsa_private_segment_fixed_size 0
		.amdhsa_kernarg_size 88
		.amdhsa_user_sgpr_count 6
		.amdhsa_user_sgpr_private_segment_buffer 1
		.amdhsa_user_sgpr_dispatch_ptr 0
		.amdhsa_user_sgpr_queue_ptr 0
		.amdhsa_user_sgpr_kernarg_segment_ptr 1
		.amdhsa_user_sgpr_dispatch_id 0
		.amdhsa_user_sgpr_flat_scratch_init 0
		.amdhsa_user_sgpr_private_segment_size 0
		.amdhsa_uses_dynamic_stack 0
		.amdhsa_system_sgpr_private_segment_wavefront_offset 0
		.amdhsa_system_sgpr_workgroup_id_x 1
		.amdhsa_system_sgpr_workgroup_id_y 0
		.amdhsa_system_sgpr_workgroup_id_z 0
		.amdhsa_system_sgpr_workgroup_info 0
		.amdhsa_system_vgpr_workitem_id 0
		.amdhsa_next_free_vgpr 1
		.amdhsa_next_free_sgpr 0
		.amdhsa_reserve_vcc 0
		.amdhsa_reserve_flat_scratch 0
		.amdhsa_float_round_mode_32 0
		.amdhsa_float_round_mode_16_64 0
		.amdhsa_float_denorm_mode_32 3
		.amdhsa_float_denorm_mode_16_64 3
		.amdhsa_dx10_clamp 1
		.amdhsa_ieee_mode 1
		.amdhsa_fp16_overflow 0
		.amdhsa_exception_fp_ieee_invalid_op 0
		.amdhsa_exception_fp_denorm_src 0
		.amdhsa_exception_fp_ieee_div_zero 0
		.amdhsa_exception_fp_ieee_overflow 0
		.amdhsa_exception_fp_ieee_underflow 0
		.amdhsa_exception_fp_ieee_inexact 0
		.amdhsa_exception_int_div_zero 0
	.end_amdhsa_kernel
	.section	.text._ZN7rocprim17ROCPRIM_400000_NS6detail17trampoline_kernelINS0_14default_configENS1_36segmented_radix_sort_config_selectorIllEEZNS1_25segmented_radix_sort_implIS3_Lb0EPKlPlS8_S9_N2at6native12_GLOBAL__N_18offset_tEEE10hipError_tPvRmT1_PNSt15iterator_traitsISH_E10value_typeET2_T3_PNSI_ISN_E10value_typeET4_jRbjT5_ST_jjP12ihipStream_tbEUlT_E1_NS1_11comp_targetILNS1_3genE3ELNS1_11target_archE908ELNS1_3gpuE7ELNS1_3repE0EEENS1_59segmented_radix_sort_warp_sort_small_config_static_selectorELNS0_4arch9wavefront6targetE1EEEvSH_,"axG",@progbits,_ZN7rocprim17ROCPRIM_400000_NS6detail17trampoline_kernelINS0_14default_configENS1_36segmented_radix_sort_config_selectorIllEEZNS1_25segmented_radix_sort_implIS3_Lb0EPKlPlS8_S9_N2at6native12_GLOBAL__N_18offset_tEEE10hipError_tPvRmT1_PNSt15iterator_traitsISH_E10value_typeET2_T3_PNSI_ISN_E10value_typeET4_jRbjT5_ST_jjP12ihipStream_tbEUlT_E1_NS1_11comp_targetILNS1_3genE3ELNS1_11target_archE908ELNS1_3gpuE7ELNS1_3repE0EEENS1_59segmented_radix_sort_warp_sort_small_config_static_selectorELNS0_4arch9wavefront6targetE1EEEvSH_,comdat
.Lfunc_end830:
	.size	_ZN7rocprim17ROCPRIM_400000_NS6detail17trampoline_kernelINS0_14default_configENS1_36segmented_radix_sort_config_selectorIllEEZNS1_25segmented_radix_sort_implIS3_Lb0EPKlPlS8_S9_N2at6native12_GLOBAL__N_18offset_tEEE10hipError_tPvRmT1_PNSt15iterator_traitsISH_E10value_typeET2_T3_PNSI_ISN_E10value_typeET4_jRbjT5_ST_jjP12ihipStream_tbEUlT_E1_NS1_11comp_targetILNS1_3genE3ELNS1_11target_archE908ELNS1_3gpuE7ELNS1_3repE0EEENS1_59segmented_radix_sort_warp_sort_small_config_static_selectorELNS0_4arch9wavefront6targetE1EEEvSH_, .Lfunc_end830-_ZN7rocprim17ROCPRIM_400000_NS6detail17trampoline_kernelINS0_14default_configENS1_36segmented_radix_sort_config_selectorIllEEZNS1_25segmented_radix_sort_implIS3_Lb0EPKlPlS8_S9_N2at6native12_GLOBAL__N_18offset_tEEE10hipError_tPvRmT1_PNSt15iterator_traitsISH_E10value_typeET2_T3_PNSI_ISN_E10value_typeET4_jRbjT5_ST_jjP12ihipStream_tbEUlT_E1_NS1_11comp_targetILNS1_3genE3ELNS1_11target_archE908ELNS1_3gpuE7ELNS1_3repE0EEENS1_59segmented_radix_sort_warp_sort_small_config_static_selectorELNS0_4arch9wavefront6targetE1EEEvSH_
                                        ; -- End function
	.set _ZN7rocprim17ROCPRIM_400000_NS6detail17trampoline_kernelINS0_14default_configENS1_36segmented_radix_sort_config_selectorIllEEZNS1_25segmented_radix_sort_implIS3_Lb0EPKlPlS8_S9_N2at6native12_GLOBAL__N_18offset_tEEE10hipError_tPvRmT1_PNSt15iterator_traitsISH_E10value_typeET2_T3_PNSI_ISN_E10value_typeET4_jRbjT5_ST_jjP12ihipStream_tbEUlT_E1_NS1_11comp_targetILNS1_3genE3ELNS1_11target_archE908ELNS1_3gpuE7ELNS1_3repE0EEENS1_59segmented_radix_sort_warp_sort_small_config_static_selectorELNS0_4arch9wavefront6targetE1EEEvSH_.num_vgpr, 0
	.set _ZN7rocprim17ROCPRIM_400000_NS6detail17trampoline_kernelINS0_14default_configENS1_36segmented_radix_sort_config_selectorIllEEZNS1_25segmented_radix_sort_implIS3_Lb0EPKlPlS8_S9_N2at6native12_GLOBAL__N_18offset_tEEE10hipError_tPvRmT1_PNSt15iterator_traitsISH_E10value_typeET2_T3_PNSI_ISN_E10value_typeET4_jRbjT5_ST_jjP12ihipStream_tbEUlT_E1_NS1_11comp_targetILNS1_3genE3ELNS1_11target_archE908ELNS1_3gpuE7ELNS1_3repE0EEENS1_59segmented_radix_sort_warp_sort_small_config_static_selectorELNS0_4arch9wavefront6targetE1EEEvSH_.num_agpr, 0
	.set _ZN7rocprim17ROCPRIM_400000_NS6detail17trampoline_kernelINS0_14default_configENS1_36segmented_radix_sort_config_selectorIllEEZNS1_25segmented_radix_sort_implIS3_Lb0EPKlPlS8_S9_N2at6native12_GLOBAL__N_18offset_tEEE10hipError_tPvRmT1_PNSt15iterator_traitsISH_E10value_typeET2_T3_PNSI_ISN_E10value_typeET4_jRbjT5_ST_jjP12ihipStream_tbEUlT_E1_NS1_11comp_targetILNS1_3genE3ELNS1_11target_archE908ELNS1_3gpuE7ELNS1_3repE0EEENS1_59segmented_radix_sort_warp_sort_small_config_static_selectorELNS0_4arch9wavefront6targetE1EEEvSH_.numbered_sgpr, 0
	.set _ZN7rocprim17ROCPRIM_400000_NS6detail17trampoline_kernelINS0_14default_configENS1_36segmented_radix_sort_config_selectorIllEEZNS1_25segmented_radix_sort_implIS3_Lb0EPKlPlS8_S9_N2at6native12_GLOBAL__N_18offset_tEEE10hipError_tPvRmT1_PNSt15iterator_traitsISH_E10value_typeET2_T3_PNSI_ISN_E10value_typeET4_jRbjT5_ST_jjP12ihipStream_tbEUlT_E1_NS1_11comp_targetILNS1_3genE3ELNS1_11target_archE908ELNS1_3gpuE7ELNS1_3repE0EEENS1_59segmented_radix_sort_warp_sort_small_config_static_selectorELNS0_4arch9wavefront6targetE1EEEvSH_.num_named_barrier, 0
	.set _ZN7rocprim17ROCPRIM_400000_NS6detail17trampoline_kernelINS0_14default_configENS1_36segmented_radix_sort_config_selectorIllEEZNS1_25segmented_radix_sort_implIS3_Lb0EPKlPlS8_S9_N2at6native12_GLOBAL__N_18offset_tEEE10hipError_tPvRmT1_PNSt15iterator_traitsISH_E10value_typeET2_T3_PNSI_ISN_E10value_typeET4_jRbjT5_ST_jjP12ihipStream_tbEUlT_E1_NS1_11comp_targetILNS1_3genE3ELNS1_11target_archE908ELNS1_3gpuE7ELNS1_3repE0EEENS1_59segmented_radix_sort_warp_sort_small_config_static_selectorELNS0_4arch9wavefront6targetE1EEEvSH_.private_seg_size, 0
	.set _ZN7rocprim17ROCPRIM_400000_NS6detail17trampoline_kernelINS0_14default_configENS1_36segmented_radix_sort_config_selectorIllEEZNS1_25segmented_radix_sort_implIS3_Lb0EPKlPlS8_S9_N2at6native12_GLOBAL__N_18offset_tEEE10hipError_tPvRmT1_PNSt15iterator_traitsISH_E10value_typeET2_T3_PNSI_ISN_E10value_typeET4_jRbjT5_ST_jjP12ihipStream_tbEUlT_E1_NS1_11comp_targetILNS1_3genE3ELNS1_11target_archE908ELNS1_3gpuE7ELNS1_3repE0EEENS1_59segmented_radix_sort_warp_sort_small_config_static_selectorELNS0_4arch9wavefront6targetE1EEEvSH_.uses_vcc, 0
	.set _ZN7rocprim17ROCPRIM_400000_NS6detail17trampoline_kernelINS0_14default_configENS1_36segmented_radix_sort_config_selectorIllEEZNS1_25segmented_radix_sort_implIS3_Lb0EPKlPlS8_S9_N2at6native12_GLOBAL__N_18offset_tEEE10hipError_tPvRmT1_PNSt15iterator_traitsISH_E10value_typeET2_T3_PNSI_ISN_E10value_typeET4_jRbjT5_ST_jjP12ihipStream_tbEUlT_E1_NS1_11comp_targetILNS1_3genE3ELNS1_11target_archE908ELNS1_3gpuE7ELNS1_3repE0EEENS1_59segmented_radix_sort_warp_sort_small_config_static_selectorELNS0_4arch9wavefront6targetE1EEEvSH_.uses_flat_scratch, 0
	.set _ZN7rocprim17ROCPRIM_400000_NS6detail17trampoline_kernelINS0_14default_configENS1_36segmented_radix_sort_config_selectorIllEEZNS1_25segmented_radix_sort_implIS3_Lb0EPKlPlS8_S9_N2at6native12_GLOBAL__N_18offset_tEEE10hipError_tPvRmT1_PNSt15iterator_traitsISH_E10value_typeET2_T3_PNSI_ISN_E10value_typeET4_jRbjT5_ST_jjP12ihipStream_tbEUlT_E1_NS1_11comp_targetILNS1_3genE3ELNS1_11target_archE908ELNS1_3gpuE7ELNS1_3repE0EEENS1_59segmented_radix_sort_warp_sort_small_config_static_selectorELNS0_4arch9wavefront6targetE1EEEvSH_.has_dyn_sized_stack, 0
	.set _ZN7rocprim17ROCPRIM_400000_NS6detail17trampoline_kernelINS0_14default_configENS1_36segmented_radix_sort_config_selectorIllEEZNS1_25segmented_radix_sort_implIS3_Lb0EPKlPlS8_S9_N2at6native12_GLOBAL__N_18offset_tEEE10hipError_tPvRmT1_PNSt15iterator_traitsISH_E10value_typeET2_T3_PNSI_ISN_E10value_typeET4_jRbjT5_ST_jjP12ihipStream_tbEUlT_E1_NS1_11comp_targetILNS1_3genE3ELNS1_11target_archE908ELNS1_3gpuE7ELNS1_3repE0EEENS1_59segmented_radix_sort_warp_sort_small_config_static_selectorELNS0_4arch9wavefront6targetE1EEEvSH_.has_recursion, 0
	.set _ZN7rocprim17ROCPRIM_400000_NS6detail17trampoline_kernelINS0_14default_configENS1_36segmented_radix_sort_config_selectorIllEEZNS1_25segmented_radix_sort_implIS3_Lb0EPKlPlS8_S9_N2at6native12_GLOBAL__N_18offset_tEEE10hipError_tPvRmT1_PNSt15iterator_traitsISH_E10value_typeET2_T3_PNSI_ISN_E10value_typeET4_jRbjT5_ST_jjP12ihipStream_tbEUlT_E1_NS1_11comp_targetILNS1_3genE3ELNS1_11target_archE908ELNS1_3gpuE7ELNS1_3repE0EEENS1_59segmented_radix_sort_warp_sort_small_config_static_selectorELNS0_4arch9wavefront6targetE1EEEvSH_.has_indirect_call, 0
	.section	.AMDGPU.csdata,"",@progbits
; Kernel info:
; codeLenInByte = 0
; TotalNumSgprs: 4
; NumVgprs: 0
; ScratchSize: 0
; MemoryBound: 0
; FloatMode: 240
; IeeeMode: 1
; LDSByteSize: 0 bytes/workgroup (compile time only)
; SGPRBlocks: 0
; VGPRBlocks: 0
; NumSGPRsForWavesPerEU: 4
; NumVGPRsForWavesPerEU: 1
; Occupancy: 10
; WaveLimiterHint : 0
; COMPUTE_PGM_RSRC2:SCRATCH_EN: 0
; COMPUTE_PGM_RSRC2:USER_SGPR: 6
; COMPUTE_PGM_RSRC2:TRAP_HANDLER: 0
; COMPUTE_PGM_RSRC2:TGID_X_EN: 1
; COMPUTE_PGM_RSRC2:TGID_Y_EN: 0
; COMPUTE_PGM_RSRC2:TGID_Z_EN: 0
; COMPUTE_PGM_RSRC2:TIDIG_COMP_CNT: 0
	.text
	.p2align	2                               ; -- Begin function _ZN7rocprim17ROCPRIM_400000_NS6detail26segmented_warp_sort_helperINS1_20WarpSortHelperConfigILj8ELj8ELj256EEEllLi256ELb0EvE4sortIPKlPlS8_S9_EEvT_T0_T1_T2_jjjjRNS5_12storage_typeE
	.type	_ZN7rocprim17ROCPRIM_400000_NS6detail26segmented_warp_sort_helperINS1_20WarpSortHelperConfigILj8ELj8ELj256EEEllLi256ELb0EvE4sortIPKlPlS8_S9_EEvT_T0_T1_T2_jjjjRNS5_12storage_typeE,@function
_ZN7rocprim17ROCPRIM_400000_NS6detail26segmented_warp_sort_helperINS1_20WarpSortHelperConfigILj8ELj8ELj256EEEllLi256ELb0EvE4sortIPKlPlS8_S9_EEvT_T0_T1_T2_jjjjRNS5_12storage_typeE: ; @_ZN7rocprim17ROCPRIM_400000_NS6detail26segmented_warp_sort_helperINS1_20WarpSortHelperConfigILj8ELj8ELj256EEEllLi256ELb0EvE4sortIPKlPlS8_S9_EEvT_T0_T1_T2_jjjjRNS5_12storage_typeE
; %bb.0:
	s_waitcnt vmcnt(0) expcnt(0) lgkmcnt(0)
	v_sub_u32_e32 v21, v9, v8
	v_mov_b32_e32 v9, 0
	v_mbcnt_lo_u32_b32 v13, -1, 0
	v_lshlrev_b64 v[8:9], 3, v[8:9]
	v_mbcnt_hi_u32_b32 v13, -1, v13
	v_lshlrev_b32_e32 v67, 3, v13
	v_add_co_u32_e32 v0, vcc, v0, v8
	v_and_b32_e32 v68, 56, v67
	v_addc_co_u32_e32 v1, vcc, v1, v9, vcc
	v_lshlrev_b32_e32 v66, 3, v68
	v_add_co_u32_e32 v19, vcc, v0, v66
	v_mov_b32_e32 v13, -1
	v_addc_co_u32_e32 v20, vcc, 0, v1, vcc
	v_bfrev_b32_e32 v14, -2
	v_mov_b32_e32 v0, v13
	v_cmp_lt_u32_e64 s[4:5], v68, v21
	v_mov_b32_e32 v1, v14
	s_and_saveexec_b64 s[6:7], s[4:5]
	s_cbranch_execz .LBB831_2
; %bb.1:
	flat_load_dwordx2 v[0:1], v[19:20]
.LBB831_2:
	s_or_b64 exec, exec, s[6:7]
	v_or_b32_e32 v15, 1, v68
	v_cmp_lt_u32_e64 s[6:7], v15, v21
	s_and_saveexec_b64 s[10:11], s[6:7]
	s_cbranch_execz .LBB831_4
; %bb.3:
	flat_load_dwordx2 v[13:14], v[19:20] offset:8
.LBB831_4:
	s_or_b64 exec, exec, s[10:11]
	v_or_b32_e32 v15, 2, v68
	v_mov_b32_e32 v25, -1
	v_cmp_lt_u32_e64 s[20:21], v15, v21
	v_bfrev_b32_e32 v26, -2
	v_mov_b32_e32 v15, v25
	v_mov_b32_e32 v16, v26
	s_and_saveexec_b64 s[10:11], s[20:21]
	s_cbranch_execz .LBB831_6
; %bb.5:
	flat_load_dwordx2 v[15:16], v[19:20] offset:16
.LBB831_6:
	s_or_b64 exec, exec, s[10:11]
	v_or_b32_e32 v17, 3, v68
	v_cmp_lt_u32_e64 s[10:11], v17, v21
	s_and_saveexec_b64 s[14:15], s[10:11]
	s_cbranch_execz .LBB831_8
; %bb.7:
	flat_load_dwordx2 v[25:26], v[19:20] offset:24
.LBB831_8:
	s_or_b64 exec, exec, s[14:15]
	v_bfrev_b32_e32 v24, -2
	v_or_b32_e32 v17, 4, v68
	v_mov_b32_e32 v23, -1
	v_mov_b32_e32 v28, v24
	v_cmp_lt_u32_e64 s[24:25], v17, v21
	v_mov_b32_e32 v27, v23
	s_and_saveexec_b64 s[14:15], s[24:25]
	s_cbranch_execz .LBB831_10
; %bb.9:
	flat_load_dwordx2 v[27:28], v[19:20] offset:32
.LBB831_10:
	s_or_b64 exec, exec, s[14:15]
	v_or_b32_e32 v17, 5, v68
	v_cmp_lt_u32_e64 s[14:15], v17, v21
	s_and_saveexec_b64 s[16:17], s[14:15]
	s_cbranch_execz .LBB831_12
; %bb.11:
	flat_load_dwordx2 v[23:24], v[19:20] offset:40
.LBB831_12:
	s_or_b64 exec, exec, s[16:17]
	v_or_b32_e32 v17, 6, v68
	v_bfrev_b32_e32 v18, -2
	v_cmp_lt_u32_e64 s[16:17], v17, v21
	v_mov_b32_e32 v17, -1
	v_mov_b32_e32 v49, v18
	v_mov_b32_e32 v48, v17
	s_and_saveexec_b64 s[18:19], s[16:17]
	s_cbranch_execz .LBB831_14
; %bb.13:
	flat_load_dwordx2 v[48:49], v[19:20] offset:48
.LBB831_14:
	s_or_b64 exec, exec, s[18:19]
	v_or_b32_e32 v22, 7, v68
	v_cmp_lt_u32_e64 s[18:19], v22, v21
	s_and_saveexec_b64 s[22:23], s[18:19]
	s_cbranch_execz .LBB831_16
; %bb.15:
	flat_load_dwordx2 v[17:18], v[19:20] offset:56
.LBB831_16:
	s_or_b64 exec, exec, s[22:23]
	v_add_co_u32_e32 v4, vcc, v4, v8
	v_addc_co_u32_e32 v5, vcc, v5, v9, vcc
	v_add_co_u32_e32 v50, vcc, v4, v66
	v_addc_co_u32_e32 v51, vcc, 0, v5, vcc
	; wave barrier
                                        ; implicit-def: $vgpr4_vgpr5
	s_and_saveexec_b64 s[22:23], s[4:5]
	s_cbranch_execnz .LBB831_223
; %bb.17:
	s_or_b64 exec, exec, s[22:23]
                                        ; implicit-def: $vgpr19_vgpr20
	s_and_saveexec_b64 s[22:23], s[6:7]
	s_cbranch_execnz .LBB831_224
.LBB831_18:
	s_or_b64 exec, exec, s[22:23]
                                        ; implicit-def: $vgpr21_vgpr22
	s_and_saveexec_b64 s[22:23], s[20:21]
	s_cbranch_execnz .LBB831_225
.LBB831_19:
	s_or_b64 exec, exec, s[22:23]
                                        ; implicit-def: $vgpr29_vgpr30
	s_and_saveexec_b64 s[22:23], s[10:11]
	s_cbranch_execnz .LBB831_226
.LBB831_20:
	s_or_b64 exec, exec, s[22:23]
                                        ; implicit-def: $vgpr34_vgpr35
	s_and_saveexec_b64 s[22:23], s[24:25]
	s_cbranch_execnz .LBB831_227
.LBB831_21:
	s_or_b64 exec, exec, s[22:23]
                                        ; implicit-def: $vgpr38_vgpr39
	s_and_saveexec_b64 s[22:23], s[14:15]
	s_cbranch_execnz .LBB831_228
.LBB831_22:
	s_or_b64 exec, exec, s[22:23]
                                        ; implicit-def: $vgpr32_vgpr33
	s_and_saveexec_b64 s[22:23], s[16:17]
	s_cbranch_execnz .LBB831_229
.LBB831_23:
	s_or_b64 exec, exec, s[22:23]
                                        ; implicit-def: $vgpr36_vgpr37
	s_and_saveexec_b64 s[22:23], s[18:19]
	s_cbranch_execz .LBB831_25
.LBB831_24:
	flat_load_dwordx2 v[36:37], v[50:51] offset:56
.LBB831_25:
	s_or_b64 exec, exec, s[22:23]
	v_cmp_ne_u32_e32 vcc, 0, v10
	v_cmp_ne_u32_e64 s[22:23], 64, v11
	s_or_b64 s[22:23], vcc, s[22:23]
	v_bfe_u32 v50, v31, 10, 10
	v_bfe_u32 v51, v31, 20, 10
	; wave barrier
	s_and_saveexec_b64 s[26:27], s[22:23]
	s_xor_b64 s[40:41], exec, s[26:27]
	s_cbranch_execz .LBB831_115
; %bb.26:
	s_load_dwordx2 s[22:23], s[8:9], 0x0
	v_mov_b32_e32 v52, 0
	v_and_b32_e32 v31, 0x3ff, v31
	s_waitcnt lgkmcnt(0)
	s_cmp_lt_u32 s13, s23
	s_cselect_b32 s23, 14, 20
	s_add_u32 s26, s8, s23
	s_addc_u32 s27, s9, 0
	s_cmp_lt_u32 s12, s22
	s_cselect_b32 s22, 12, 18
	s_add_u32 s22, s8, s22
	s_addc_u32 s23, s9, 0
	global_load_ushort v54, v52, s[26:27]
	global_load_ushort v55, v52, s[22:23]
	v_lshlrev_b64 v[52:53], v11, -1
	v_lshlrev_b64 v[10:11], v10, -1
	s_movk_i32 s22, 0x800
	v_xor_b32_e32 v70, v53, v11
	v_xor_b32_e32 v69, v52, v10
	s_waitcnt vmcnt(0)
	v_mad_u32_u24 v50, v51, v54, v50
	v_mul_lo_u32 v50, v50, v55
	v_add_lshl_u32 v71, v50, v31, 3
	v_cmp_gt_u32_e32 vcc, s22, v71
	s_and_saveexec_b64 s[22:23], vcc
	s_cbranch_execz .LBB831_84
; %bb.27:
	v_and_b32_e32 v11, v14, v70
	v_and_b32_e32 v10, v13, v69
	v_and_b32_e32 v51, v1, v70
	v_and_b32_e32 v50, v0, v69
	v_cmp_gt_u64_e32 vcc, v[50:51], v[10:11]
	v_mov_b32_e32 v10, v13
	v_mov_b32_e32 v51, v20
	v_mov_b32_e32 v11, v14
	v_mov_b32_e32 v50, v19
	s_and_saveexec_b64 s[26:27], vcc
; %bb.28:
	v_mov_b32_e32 v11, v1
	v_mov_b32_e32 v51, v5
	v_mov_b32_e32 v10, v0
	v_mov_b32_e32 v0, v13
	v_mov_b32_e32 v50, v4
	v_mov_b32_e32 v4, v19
	v_mov_b32_e32 v1, v14
	v_mov_b32_e32 v5, v20
; %bb.29:
	s_or_b64 exec, exec, s[26:27]
	v_and_b32_e32 v14, v26, v70
	v_and_b32_e32 v13, v25, v69
	v_and_b32_e32 v20, v16, v70
	v_and_b32_e32 v19, v15, v69
	v_cmp_gt_u64_e32 vcc, v[19:20], v[13:14]
	v_mov_b32_e32 v65, v26
	v_mov_b32_e32 v53, v30
	v_mov_b32_e32 v64, v25
	v_mov_b32_e32 v52, v29
	s_and_saveexec_b64 s[26:27], vcc
; %bb.30:
	v_mov_b32_e32 v65, v16
	v_mov_b32_e32 v53, v22
	v_mov_b32_e32 v64, v15
	v_mov_b32_e32 v15, v25
	v_mov_b32_e32 v52, v21
	v_mov_b32_e32 v21, v29
	v_mov_b32_e32 v16, v26
	v_mov_b32_e32 v22, v30
; %bb.31:
	s_or_b64 exec, exec, s[26:27]
	;; [unrolled: 21-line block ×4, first 2 shown]
	v_and_b32_e32 v26, v16, v70
	v_and_b32_e32 v25, v15, v69
	;; [unrolled: 1-line block ×4, first 2 shown]
	v_cmp_gt_u64_e32 vcc, v[29:30], v[25:26]
	v_mov_b32_e32 v26, v16
	v_mov_b32_e32 v30, v22
	;; [unrolled: 1-line block ×4, first 2 shown]
	s_and_saveexec_b64 s[26:27], vcc
	s_xor_b64 s[26:27], exec, s[26:27]
; %bb.36:
	v_mov_b32_e32 v26, v11
	v_mov_b32_e32 v29, v50
	v_mov_b32_e32 v25, v10
	v_mov_b32_e32 v10, v15
	v_mov_b32_e32 v30, v51
	v_mov_b32_e32 v51, v22
	v_mov_b32_e32 v11, v16
	v_mov_b32_e32 v50, v21
; %bb.37:
	s_or_b64 exec, exec, s[26:27]
	v_and_b32_e32 v16, v55, v70
	v_and_b32_e32 v15, v54, v69
	v_and_b32_e32 v22, v65, v70
	v_and_b32_e32 v21, v64, v69
	v_cmp_gt_u64_e32 vcc, v[21:22], v[15:16]
	v_mov_b32_e32 v48, v64
	v_mov_b32_e32 v37, v35
	v_mov_b32_e32 v49, v65
	v_mov_b32_e32 v36, v34
	s_and_saveexec_b64 s[26:27], vcc
; %bb.38:
	v_mov_b32_e32 v48, v54
	v_mov_b32_e32 v36, v52
	v_mov_b32_e32 v49, v55
	v_mov_b32_e32 v37, v53
	v_mov_b32_e32 v53, v35
	v_mov_b32_e32 v54, v64
	v_mov_b32_e32 v52, v34
	v_mov_b32_e32 v55, v65
; %bb.39:
	s_or_b64 exec, exec, s[26:27]
	v_and_b32_e32 v16, v28, v70
	v_and_b32_e32 v15, v27, v69
	v_and_b32_e32 v22, v24, v70
	v_and_b32_e32 v21, v23, v69
	v_cmp_gt_u64_e32 vcc, v[21:22], v[15:16]
	v_mov_b32_e32 v15, v32
	v_mov_b32_e32 v35, v24
	v_mov_b32_e32 v16, v33
	v_mov_b32_e32 v34, v23
	s_and_saveexec_b64 s[26:27], vcc
	;; [unrolled: 21-line block ×23, first 2 shown]
; %bb.82:
	v_mov_b32_e32 v49, v24
	v_mov_b32_e32 v39, v33
	;; [unrolled: 1-line block ×8, first 2 shown]
; %bb.83:
	s_or_b64 exec, exec, s[26:27]
.LBB831_84:
	s_or_b64 exec, exec, s[22:23]
	v_and_b32_e32 v10, 0xfffffe00, v71
	s_movk_i32 s22, 0x800
	v_mov_b32_e32 v11, 0
	v_sub_u32_e64 v50, s22, v10 clamp
	v_lshlrev_b64 v[10:11], 3, v[10:11]
	v_or_b32_e32 v11, 8, v67
	v_add_co_u32_e32 v31, vcc, v12, v10
	v_min_u32_e32 v96, v50, v11
	v_add_co_u32_e32 v12, vcc, 0x4000, v31
	v_lshlrev_b32_e32 v10, 3, v67
	v_add_u32_e32 v11, 8, v96
	v_add_u32_e32 v51, v31, v10
	;; [unrolled: 1-line block ×3, first 2 shown]
	v_and_b32_e32 v10, 0x3f0, v67
	v_min_u32_e32 v97, v50, v11
	v_and_b32_e32 v11, 8, v67
	v_min_u32_e32 v11, v50, v11
	v_sub_u32_e32 v53, v96, v10
	v_sub_u32_e32 v54, v97, v96
	v_sub_u32_e64 v99, v11, v54 clamp
	v_min_u32_e32 v53, v11, v53
	v_cmp_lt_u32_e32 vcc, v99, v53
	ds_write_b64 v51, v[0:1]
	ds_write_b64 v52, v[4:5]
	ds_write_b64 v51, v[13:14] offset:8
	ds_write_b64 v52, v[19:20] offset:8
	;; [unrolled: 1-line block ×14, first 2 shown]
	; wave barrier
	s_and_saveexec_b64 s[22:23], vcc
	s_cbranch_execz .LBB831_88
; %bb.85:
	v_lshlrev_b32_e32 v54, 3, v10
	v_lshlrev_b32_e32 v55, 3, v96
	v_add_co_u32_e32 v54, vcc, v31, v54
	v_add_co_u32_e32 v55, vcc, v31, v55
	s_mov_b64 s[26:27], 0
.LBB831_86:                             ; =>This Inner Loop Header: Depth=1
	v_add_u32_e32 v64, v53, v99
	v_lshrrev_b32_e32 v71, 1, v64
	v_xad_u32 v80, v71, -1, v11
	v_lshl_add_u32 v64, v71, 3, v54
	v_lshl_add_u32 v80, v80, 3, v55
	ds_read_b64 v[64:65], v64
	ds_read_b64 v[80:81], v80
	v_add_u32_e32 v82, 1, v71
	s_waitcnt lgkmcnt(1)
	v_and_b32_e32 v65, v65, v70
	v_and_b32_e32 v64, v64, v69
	s_waitcnt lgkmcnt(0)
	v_and_b32_e32 v81, v81, v70
	v_and_b32_e32 v80, v80, v69
	v_cmp_gt_u64_e32 vcc, v[64:65], v[80:81]
	v_cndmask_b32_e32 v53, v53, v71, vcc
	v_cndmask_b32_e32 v99, v82, v99, vcc
	v_cmp_ge_u32_e32 vcc, v99, v53
	s_or_b64 s[26:27], vcc, s[26:27]
	s_andn2_b64 exec, exec, s[26:27]
	s_cbranch_execnz .LBB831_86
; %bb.87:
	s_or_b64 exec, exec, s[26:27]
.LBB831_88:
	s_or_b64 exec, exec, s[22:23]
	v_add_u32_e32 v98, v99, v10
	v_add_u32_e32 v10, v96, v11
	v_sub_u32_e32 v99, v10, v99
	v_cmp_le_u32_e32 vcc, v98, v96
	v_cmp_le_u32_e64 s[22:23], v99, v97
	v_add_u32_e32 v53, 8, v51
	v_add_u32_e32 v54, 8, v52
	;; [unrolled: 1-line block ×14, first 2 shown]
	s_or_b64 s[22:23], vcc, s[22:23]
	s_and_saveexec_b64 s[42:43], s[22:23]
	s_cbranch_execz .LBB831_94
; %bb.89:
	v_cmp_lt_u32_e32 vcc, v98, v96
                                        ; implicit-def: $vgpr4_vgpr5
	s_and_saveexec_b64 s[22:23], vcc
; %bb.90:
	v_lshl_add_u32 v0, v98, 3, v31
	ds_read_b64 v[4:5], v0
; %bb.91:
	s_or_b64 exec, exec, s[22:23]
	v_cmp_ge_u32_e64 s[22:23], v99, v97
	v_cmp_lt_u32_e64 s[26:27], v99, v97
                                        ; implicit-def: $vgpr10_vgpr11
	s_and_saveexec_b64 s[28:29], s[26:27]
; %bb.92:
	v_lshl_add_u32 v0, v99, 3, v31
	ds_read_b64 v[10:11], v0
; %bb.93:
	s_or_b64 exec, exec, s[28:29]
	s_waitcnt lgkmcnt(0)
	v_and_b32_e32 v1, v11, v70
	v_and_b32_e32 v0, v10, v69
	;; [unrolled: 1-line block ×4, first 2 shown]
	v_cmp_le_u64_e64 s[26:27], v[13:14], v[0:1]
	s_and_b64 s[26:27], vcc, s[26:27]
	s_or_b64 vcc, s[22:23], s[26:27]
	v_cndmask_b32_e32 v15, v99, v98, vcc
	v_cndmask_b32_e32 v0, v97, v96, vcc
	v_add_u32_e32 v16, 1, v15
	v_add_u32_e32 v0, -1, v0
	v_min_u32_e32 v0, v16, v0
	v_lshl_add_u32 v0, v0, 3, v31
	ds_read_b64 v[13:14], v0
	v_cndmask_b32_e32 v1, v11, v5, vcc
	v_cndmask_b32_e32 v0, v10, v4, vcc
	;; [unrolled: 1-line block ×4, first 2 shown]
	s_waitcnt lgkmcnt(0)
	v_cndmask_b32_e32 v17, v14, v11, vcc
	v_cndmask_b32_e32 v18, v13, v10, vcc
	;; [unrolled: 1-line block ×4, first 2 shown]
	v_and_b32_e32 v5, v17, v70
	v_and_b32_e32 v4, v18, v69
	;; [unrolled: 1-line block ×4, first 2 shown]
	v_cmp_le_u64_e64 s[22:23], v[10:11], v[4:5]
	v_cmp_lt_u32_e64 s[26:27], v16, v96
	v_cmp_ge_u32_e32 vcc, v21, v97
	s_and_b64 s[22:23], s[26:27], s[22:23]
	s_or_b64 vcc, vcc, s[22:23]
	v_cndmask_b32_e32 v22, v21, v16, vcc
	v_cndmask_b32_e32 v4, v97, v96, vcc
	v_add_u32_e32 v23, 1, v22
	v_add_u32_e32 v4, -1, v4
	v_min_u32_e32 v4, v23, v4
	v_lshl_add_u32 v4, v4, 3, v31
	ds_read_b64 v[10:11], v4
	v_cndmask_b32_e32 v14, v17, v19, vcc
	v_cndmask_b32_e32 v13, v18, v20, vcc
	v_lshl_add_u32 v4, v15, 3, v12
	v_cndmask_b32_e32 v21, v23, v21, vcc
	s_waitcnt lgkmcnt(0)
	v_cndmask_b32_e32 v17, v11, v17, vcc
	v_cndmask_b32_e32 v18, v10, v18, vcc
	;; [unrolled: 1-line block ×5, first 2 shown]
	v_and_b32_e32 v11, v17, v70
	v_and_b32_e32 v10, v18, v69
	;; [unrolled: 1-line block ×4, first 2 shown]
	v_cmp_le_u64_e64 s[22:23], v[15:16], v[10:11]
	v_cmp_lt_u32_e64 s[26:27], v23, v96
	v_cmp_ge_u32_e32 vcc, v21, v97
	s_and_b64 s[22:23], s[26:27], s[22:23]
	s_or_b64 vcc, vcc, s[22:23]
	v_cndmask_b32_e32 v26, v21, v23, vcc
	v_cndmask_b32_e32 v10, v97, v96, vcc
	v_add_u32_e32 v27, 1, v26
	v_add_u32_e32 v10, -1, v10
	v_min_u32_e32 v10, v27, v10
	v_lshl_add_u32 v10, v10, 3, v31
	ds_read_b64 v[10:11], v10
	v_lshl_add_u32 v15, v22, 3, v12
	v_cndmask_b32_e32 v16, v17, v24, vcc
	ds_read_b64 v[19:20], v15
	v_cndmask_b32_e32 v15, v18, v25, vcc
	s_waitcnt lgkmcnt(1)
	v_cndmask_b32_e32 v28, v11, v17, vcc
	v_cndmask_b32_e32 v29, v10, v18, vcc
	;; [unrolled: 1-line block ×4, first 2 shown]
	v_and_b32_e32 v11, v28, v70
	v_and_b32_e32 v10, v29, v69
	;; [unrolled: 1-line block ×4, first 2 shown]
	v_cndmask_b32_e32 v23, v23, v27, vcc
	v_cmp_le_u64_e64 s[22:23], v[17:18], v[10:11]
	v_cndmask_b32_e32 v32, v27, v21, vcc
	v_cmp_lt_u32_e64 s[26:27], v23, v96
	v_cmp_ge_u32_e32 vcc, v32, v97
	s_and_b64 s[22:23], s[26:27], s[22:23]
	s_or_b64 vcc, vcc, s[22:23]
	v_cndmask_b32_e32 v27, v32, v23, vcc
	v_cndmask_b32_e32 v10, v97, v96, vcc
	v_add_u32_e32 v17, 1, v27
	v_add_u32_e32 v10, -1, v10
	v_min_u32_e32 v10, v17, v10
	v_lshl_add_u32 v10, v10, 3, v31
	ds_read_b64 v[10:11], v10
	v_lshl_add_u32 v18, v26, 3, v12
	v_cndmask_b32_e32 v26, v28, v24, vcc
	ds_read_b64 v[21:22], v18
	v_cndmask_b32_e32 v32, v17, v32, vcc
	s_waitcnt lgkmcnt(1)
	v_cndmask_b32_e32 v33, v11, v28, vcc
	v_cndmask_b32_e32 v34, v10, v29, vcc
	;; [unrolled: 1-line block ×5, first 2 shown]
	v_and_b32_e32 v11, v33, v70
	v_and_b32_e32 v10, v34, v69
	;; [unrolled: 1-line block ×4, first 2 shown]
	v_cmp_le_u64_e64 s[22:23], v[17:18], v[10:11]
	v_cmp_lt_u32_e64 s[26:27], v23, v96
	v_cndmask_b32_e32 v25, v29, v30, vcc
	v_cmp_ge_u32_e32 vcc, v32, v97
	s_and_b64 s[22:23], s[26:27], s[22:23]
	s_or_b64 vcc, vcc, s[22:23]
	v_cndmask_b32_e32 v36, v32, v23, vcc
	v_cndmask_b32_e32 v10, v97, v96, vcc
	v_add_u32_e32 v17, 1, v36
	v_add_u32_e32 v10, -1, v10
	v_min_u32_e32 v10, v17, v10
	v_lshl_add_u32 v10, v10, 3, v31
	ds_read_b64 v[10:11], v10
	v_lshl_add_u32 v18, v27, 3, v12
	v_cndmask_b32_e32 v28, v33, v24, vcc
	ds_read_b64 v[29:30], v18
	v_cndmask_b32_e32 v32, v17, v32, vcc
	s_waitcnt lgkmcnt(1)
	v_cndmask_b32_e32 v33, v11, v33, vcc
	v_cndmask_b32_e32 v37, v10, v34, vcc
	v_cndmask_b32_e32 v38, v24, v11, vcc
	v_cndmask_b32_e32 v39, v35, v10, vcc
	v_cndmask_b32_e32 v48, v23, v17, vcc
	v_and_b32_e32 v11, v33, v70
	v_and_b32_e32 v10, v37, v69
	;; [unrolled: 1-line block ×4, first 2 shown]
	v_cmp_le_u64_e64 s[22:23], v[17:18], v[10:11]
	v_cmp_lt_u32_e64 s[26:27], v48, v96
	v_cndmask_b32_e32 v27, v34, v35, vcc
	v_cmp_ge_u32_e32 vcc, v32, v97
	s_and_b64 s[22:23], s[26:27], s[22:23]
	s_or_b64 vcc, vcc, s[22:23]
	v_cndmask_b32_e32 v49, v32, v48, vcc
	v_cndmask_b32_e32 v10, v97, v96, vcc
	v_add_u32_e32 v17, 1, v49
	v_add_u32_e32 v10, -1, v10
	v_min_u32_e32 v10, v17, v10
	v_lshl_add_u32 v10, v10, 3, v31
	ds_read_b64 v[10:11], v10
	v_lshl_add_u32 v18, v36, 3, v12
	ds_read_b64 v[34:35], v18
	v_cndmask_b32_e32 v23, v37, v39, vcc
	v_cndmask_b32_e32 v36, v17, v32, vcc
	s_waitcnt lgkmcnt(1)
	v_cndmask_b32_e32 v98, v11, v33, vcc
	v_cndmask_b32_e32 v99, v10, v37, vcc
	;; [unrolled: 1-line block ×5, first 2 shown]
	v_and_b32_e32 v11, v98, v70
	v_and_b32_e32 v10, v99, v69
	v_and_b32_e32 v18, v100, v70
	v_and_b32_e32 v17, v101, v69
	v_cmp_le_u64_e64 s[22:23], v[17:18], v[10:11]
	v_cmp_lt_u32_e64 s[26:27], v37, v96
	v_cndmask_b32_e32 v24, v33, v38, vcc
	v_cmp_ge_u32_e32 vcc, v36, v97
	s_and_b64 s[22:23], s[26:27], s[22:23]
	s_or_b64 vcc, vcc, s[22:23]
	v_cndmask_b32_e32 v17, v36, v37, vcc
	v_cndmask_b32_e32 v10, v97, v96, vcc
	v_add_u32_e32 v18, 1, v17
	v_add_u32_e32 v10, -1, v10
	v_min_u32_e32 v10, v18, v10
	v_lshl_add_u32 v10, v10, 3, v31
	ds_read_b64 v[10:11], v10
	v_lshl_add_u32 v32, v49, 3, v12
	v_lshl_add_u32 v17, v17, 3, v12
	ds_read_b64 v[38:39], v32
	ds_read_b64 v[32:33], v17
	s_waitcnt lgkmcnt(2)
	v_cndmask_b32_e32 v102, v11, v98, vcc
	v_cndmask_b32_e32 v103, v10, v99, vcc
	;; [unrolled: 1-line block ×6, first 2 shown]
	v_and_b32_e32 v11, v102, v70
	v_and_b32_e32 v10, v103, v69
	;; [unrolled: 1-line block ×4, first 2 shown]
	v_cmp_le_u64_e64 s[26:27], v[17:18], v[10:11]
	v_cmp_lt_u32_e64 s[28:29], v37, v96
	v_cmp_ge_u32_e64 s[22:23], v36, v97
	s_and_b64 s[26:27], s[28:29], s[26:27]
	s_or_b64 s[22:23], s[22:23], s[26:27]
	v_cndmask_b32_e64 v10, v36, v37, s[22:23]
	v_lshl_add_u32 v10, v10, 3, v12
	ds_read_b64 v[4:5], v4
	ds_read_b64 v[36:37], v10
	v_cndmask_b32_e32 v49, v98, v100, vcc
	v_cndmask_b32_e32 v48, v99, v101, vcc
	v_cndmask_b32_e64 v18, v102, v112, s[22:23]
	v_cndmask_b32_e64 v17, v103, v113, s[22:23]
.LBB831_94:
	s_or_b64 exec, exec, s[42:43]
	v_and_b32_e32 v10, 0x3e0, v67
	v_or_b32_e32 v11, 16, v10
	v_min_u32_e32 v96, v50, v11
	v_add_u32_e32 v11, 16, v96
	v_min_u32_e32 v97, v50, v11
	v_and_b32_e32 v11, 24, v67
	v_min_u32_e32 v11, v50, v11
	v_sub_u32_e32 v98, v96, v10
	v_sub_u32_e32 v99, v97, v96
	v_sub_u32_e64 v99, v11, v99 clamp
	v_min_u32_e32 v98, v11, v98
	v_cmp_lt_u32_e32 vcc, v99, v98
	; wave barrier
	ds_write_b64 v51, v[0:1]
	s_waitcnt lgkmcnt(2)
	ds_write_b64 v52, v[4:5]
	ds_write_b64 v53, v[13:14]
	;; [unrolled: 1-line block ×14, first 2 shown]
	s_waitcnt lgkmcnt(14)
	ds_write_b64 v87, v[36:37]
	; wave barrier
	s_and_saveexec_b64 s[22:23], vcc
	s_cbranch_execz .LBB831_98
; %bb.95:
	v_lshlrev_b32_e32 v100, 3, v10
	v_lshlrev_b32_e32 v101, 3, v96
	v_add_co_u32_e32 v100, vcc, v31, v100
	v_add_co_u32_e32 v101, vcc, v31, v101
	s_mov_b64 s[26:27], 0
.LBB831_96:                             ; =>This Inner Loop Header: Depth=1
	v_add_u32_e32 v102, v98, v99
	v_lshrrev_b32_e32 v114, 1, v102
	v_xad_u32 v112, v114, -1, v11
	v_lshl_add_u32 v102, v114, 3, v100
	v_lshl_add_u32 v112, v112, 3, v101
	ds_read_b64 v[102:103], v102
	ds_read_b64 v[112:113], v112
	v_add_u32_e32 v115, 1, v114
	s_waitcnt lgkmcnt(1)
	v_and_b32_e32 v103, v103, v70
	v_and_b32_e32 v102, v102, v69
	s_waitcnt lgkmcnt(0)
	v_and_b32_e32 v113, v113, v70
	v_and_b32_e32 v112, v112, v69
	v_cmp_gt_u64_e32 vcc, v[102:103], v[112:113]
	v_cndmask_b32_e32 v98, v98, v114, vcc
	v_cndmask_b32_e32 v99, v115, v99, vcc
	v_cmp_ge_u32_e32 vcc, v99, v98
	s_or_b64 s[26:27], vcc, s[26:27]
	s_andn2_b64 exec, exec, s[26:27]
	s_cbranch_execnz .LBB831_96
; %bb.97:
	s_or_b64 exec, exec, s[26:27]
.LBB831_98:
	s_or_b64 exec, exec, s[22:23]
	v_add_u32_e32 v98, v99, v10
	v_add_u32_e32 v10, v96, v11
	v_sub_u32_e32 v99, v10, v99
	v_cmp_le_u32_e32 vcc, v98, v96
	v_cmp_le_u32_e64 s[22:23], v99, v97
	s_or_b64 s[22:23], vcc, s[22:23]
	s_and_saveexec_b64 s[42:43], s[22:23]
	s_cbranch_execz .LBB831_104
; %bb.99:
	v_cmp_lt_u32_e32 vcc, v98, v96
                                        ; implicit-def: $vgpr4_vgpr5
	s_and_saveexec_b64 s[22:23], vcc
; %bb.100:
	v_lshl_add_u32 v0, v98, 3, v31
	ds_read_b64 v[4:5], v0
; %bb.101:
	s_or_b64 exec, exec, s[22:23]
	v_cmp_ge_u32_e64 s[22:23], v99, v97
	v_cmp_lt_u32_e64 s[26:27], v99, v97
                                        ; implicit-def: $vgpr10_vgpr11
	s_and_saveexec_b64 s[28:29], s[26:27]
; %bb.102:
	v_lshl_add_u32 v0, v99, 3, v31
	ds_read_b64 v[10:11], v0
; %bb.103:
	s_or_b64 exec, exec, s[28:29]
	s_waitcnt lgkmcnt(0)
	v_and_b32_e32 v1, v11, v70
	v_and_b32_e32 v0, v10, v69
	;; [unrolled: 1-line block ×4, first 2 shown]
	v_cmp_le_u64_e64 s[26:27], v[13:14], v[0:1]
	s_and_b64 s[26:27], vcc, s[26:27]
	s_or_b64 vcc, s[22:23], s[26:27]
	v_cndmask_b32_e32 v15, v99, v98, vcc
	v_cndmask_b32_e32 v0, v97, v96, vcc
	v_add_u32_e32 v16, 1, v15
	v_add_u32_e32 v0, -1, v0
	v_min_u32_e32 v0, v16, v0
	v_lshl_add_u32 v0, v0, 3, v31
	ds_read_b64 v[13:14], v0
	v_cndmask_b32_e32 v1, v11, v5, vcc
	v_cndmask_b32_e32 v0, v10, v4, vcc
	;; [unrolled: 1-line block ×4, first 2 shown]
	s_waitcnt lgkmcnt(0)
	v_cndmask_b32_e32 v17, v14, v11, vcc
	v_cndmask_b32_e32 v18, v13, v10, vcc
	;; [unrolled: 1-line block ×4, first 2 shown]
	v_and_b32_e32 v5, v17, v70
	v_and_b32_e32 v4, v18, v69
	;; [unrolled: 1-line block ×4, first 2 shown]
	v_cmp_le_u64_e64 s[22:23], v[10:11], v[4:5]
	v_cmp_lt_u32_e64 s[26:27], v16, v96
	v_cmp_ge_u32_e32 vcc, v21, v97
	s_and_b64 s[22:23], s[26:27], s[22:23]
	s_or_b64 vcc, vcc, s[22:23]
	v_cndmask_b32_e32 v22, v21, v16, vcc
	v_cndmask_b32_e32 v4, v97, v96, vcc
	v_add_u32_e32 v23, 1, v22
	v_add_u32_e32 v4, -1, v4
	v_min_u32_e32 v4, v23, v4
	v_lshl_add_u32 v4, v4, 3, v31
	ds_read_b64 v[10:11], v4
	v_cndmask_b32_e32 v14, v17, v19, vcc
	v_cndmask_b32_e32 v13, v18, v20, vcc
	v_lshl_add_u32 v4, v15, 3, v12
	v_cndmask_b32_e32 v21, v23, v21, vcc
	s_waitcnt lgkmcnt(0)
	v_cndmask_b32_e32 v17, v11, v17, vcc
	v_cndmask_b32_e32 v18, v10, v18, vcc
	;; [unrolled: 1-line block ×5, first 2 shown]
	v_and_b32_e32 v11, v17, v70
	v_and_b32_e32 v10, v18, v69
	;; [unrolled: 1-line block ×4, first 2 shown]
	v_cmp_le_u64_e64 s[22:23], v[15:16], v[10:11]
	v_cmp_lt_u32_e64 s[26:27], v23, v96
	v_cmp_ge_u32_e32 vcc, v21, v97
	s_and_b64 s[22:23], s[26:27], s[22:23]
	s_or_b64 vcc, vcc, s[22:23]
	v_cndmask_b32_e32 v26, v21, v23, vcc
	v_cndmask_b32_e32 v10, v97, v96, vcc
	v_add_u32_e32 v27, 1, v26
	v_add_u32_e32 v10, -1, v10
	v_min_u32_e32 v10, v27, v10
	v_lshl_add_u32 v10, v10, 3, v31
	ds_read_b64 v[10:11], v10
	v_lshl_add_u32 v15, v22, 3, v12
	v_cndmask_b32_e32 v16, v17, v24, vcc
	ds_read_b64 v[19:20], v15
	v_cndmask_b32_e32 v15, v18, v25, vcc
	s_waitcnt lgkmcnt(1)
	v_cndmask_b32_e32 v28, v11, v17, vcc
	v_cndmask_b32_e32 v29, v10, v18, vcc
	;; [unrolled: 1-line block ×4, first 2 shown]
	v_and_b32_e32 v11, v28, v70
	v_and_b32_e32 v10, v29, v69
	;; [unrolled: 1-line block ×4, first 2 shown]
	v_cndmask_b32_e32 v23, v23, v27, vcc
	v_cmp_le_u64_e64 s[22:23], v[17:18], v[10:11]
	v_cndmask_b32_e32 v32, v27, v21, vcc
	v_cmp_lt_u32_e64 s[26:27], v23, v96
	v_cmp_ge_u32_e32 vcc, v32, v97
	s_and_b64 s[22:23], s[26:27], s[22:23]
	s_or_b64 vcc, vcc, s[22:23]
	v_cndmask_b32_e32 v27, v32, v23, vcc
	v_cndmask_b32_e32 v10, v97, v96, vcc
	v_add_u32_e32 v17, 1, v27
	v_add_u32_e32 v10, -1, v10
	v_min_u32_e32 v10, v17, v10
	v_lshl_add_u32 v10, v10, 3, v31
	ds_read_b64 v[10:11], v10
	v_lshl_add_u32 v18, v26, 3, v12
	v_cndmask_b32_e32 v26, v28, v24, vcc
	ds_read_b64 v[21:22], v18
	v_cndmask_b32_e32 v32, v17, v32, vcc
	s_waitcnt lgkmcnt(1)
	v_cndmask_b32_e32 v33, v11, v28, vcc
	v_cndmask_b32_e32 v34, v10, v29, vcc
	;; [unrolled: 1-line block ×5, first 2 shown]
	v_and_b32_e32 v11, v33, v70
	v_and_b32_e32 v10, v34, v69
	;; [unrolled: 1-line block ×4, first 2 shown]
	v_cmp_le_u64_e64 s[22:23], v[17:18], v[10:11]
	v_cmp_lt_u32_e64 s[26:27], v23, v96
	v_cndmask_b32_e32 v25, v29, v30, vcc
	v_cmp_ge_u32_e32 vcc, v32, v97
	s_and_b64 s[22:23], s[26:27], s[22:23]
	s_or_b64 vcc, vcc, s[22:23]
	v_cndmask_b32_e32 v36, v32, v23, vcc
	v_cndmask_b32_e32 v10, v97, v96, vcc
	v_add_u32_e32 v17, 1, v36
	v_add_u32_e32 v10, -1, v10
	v_min_u32_e32 v10, v17, v10
	v_lshl_add_u32 v10, v10, 3, v31
	ds_read_b64 v[10:11], v10
	v_lshl_add_u32 v18, v27, 3, v12
	v_cndmask_b32_e32 v28, v33, v24, vcc
	ds_read_b64 v[29:30], v18
	v_cndmask_b32_e32 v32, v17, v32, vcc
	s_waitcnt lgkmcnt(1)
	v_cndmask_b32_e32 v33, v11, v33, vcc
	v_cndmask_b32_e32 v37, v10, v34, vcc
	v_cndmask_b32_e32 v38, v24, v11, vcc
	v_cndmask_b32_e32 v39, v35, v10, vcc
	v_cndmask_b32_e32 v48, v23, v17, vcc
	v_and_b32_e32 v11, v33, v70
	v_and_b32_e32 v10, v37, v69
	;; [unrolled: 1-line block ×4, first 2 shown]
	v_cmp_le_u64_e64 s[22:23], v[17:18], v[10:11]
	v_cmp_lt_u32_e64 s[26:27], v48, v96
	v_cndmask_b32_e32 v27, v34, v35, vcc
	v_cmp_ge_u32_e32 vcc, v32, v97
	s_and_b64 s[22:23], s[26:27], s[22:23]
	s_or_b64 vcc, vcc, s[22:23]
	v_cndmask_b32_e32 v49, v32, v48, vcc
	v_cndmask_b32_e32 v10, v97, v96, vcc
	v_add_u32_e32 v17, 1, v49
	v_add_u32_e32 v10, -1, v10
	v_min_u32_e32 v10, v17, v10
	v_lshl_add_u32 v10, v10, 3, v31
	ds_read_b64 v[10:11], v10
	v_lshl_add_u32 v18, v36, 3, v12
	ds_read_b64 v[34:35], v18
	v_cndmask_b32_e32 v23, v37, v39, vcc
	v_cndmask_b32_e32 v36, v17, v32, vcc
	s_waitcnt lgkmcnt(1)
	v_cndmask_b32_e32 v98, v11, v33, vcc
	v_cndmask_b32_e32 v99, v10, v37, vcc
	;; [unrolled: 1-line block ×5, first 2 shown]
	v_and_b32_e32 v11, v98, v70
	v_and_b32_e32 v10, v99, v69
	;; [unrolled: 1-line block ×4, first 2 shown]
	v_cmp_le_u64_e64 s[22:23], v[17:18], v[10:11]
	v_cmp_lt_u32_e64 s[26:27], v37, v96
	v_cndmask_b32_e32 v24, v33, v38, vcc
	v_cmp_ge_u32_e32 vcc, v36, v97
	s_and_b64 s[22:23], s[26:27], s[22:23]
	s_or_b64 vcc, vcc, s[22:23]
	v_cndmask_b32_e32 v17, v36, v37, vcc
	v_cndmask_b32_e32 v10, v97, v96, vcc
	v_add_u32_e32 v18, 1, v17
	v_add_u32_e32 v10, -1, v10
	v_min_u32_e32 v10, v18, v10
	v_lshl_add_u32 v10, v10, 3, v31
	ds_read_b64 v[10:11], v10
	v_lshl_add_u32 v32, v49, 3, v12
	v_lshl_add_u32 v17, v17, 3, v12
	ds_read_b64 v[38:39], v32
	ds_read_b64 v[32:33], v17
	s_waitcnt lgkmcnt(2)
	v_cndmask_b32_e32 v102, v11, v98, vcc
	v_cndmask_b32_e32 v103, v10, v99, vcc
	;; [unrolled: 1-line block ×6, first 2 shown]
	v_and_b32_e32 v11, v102, v70
	v_and_b32_e32 v10, v103, v69
	v_and_b32_e32 v18, v112, v70
	v_and_b32_e32 v17, v113, v69
	v_cmp_le_u64_e64 s[26:27], v[17:18], v[10:11]
	v_cmp_lt_u32_e64 s[28:29], v37, v96
	v_cmp_ge_u32_e64 s[22:23], v36, v97
	s_and_b64 s[26:27], s[28:29], s[26:27]
	s_or_b64 s[22:23], s[22:23], s[26:27]
	v_cndmask_b32_e64 v10, v36, v37, s[22:23]
	v_lshl_add_u32 v10, v10, 3, v12
	ds_read_b64 v[4:5], v4
	ds_read_b64 v[36:37], v10
	v_cndmask_b32_e32 v49, v98, v100, vcc
	v_cndmask_b32_e32 v48, v99, v101, vcc
	v_cndmask_b32_e64 v18, v102, v112, s[22:23]
	v_cndmask_b32_e64 v17, v103, v113, s[22:23]
.LBB831_104:
	s_or_b64 exec, exec, s[42:43]
	v_and_b32_e32 v10, 0x3c0, v67
	v_or_b32_e32 v11, 32, v10
	; wave barrier
	ds_write_b64 v51, v[0:1]
	s_waitcnt lgkmcnt(2)
	ds_write_b64 v52, v[4:5]
	ds_write_b64 v53, v[13:14]
	;; [unrolled: 1-line block ×14, first 2 shown]
	s_waitcnt lgkmcnt(14)
	ds_write_b64 v87, v[36:37]
	v_min_u32_e32 v51, v50, v11
	v_add_u32_e32 v11, 32, v51
	v_min_u32_e32 v52, v50, v11
	v_min_u32_e32 v11, v50, v68
	v_sub_u32_e32 v50, v51, v10
	v_sub_u32_e32 v53, v52, v51
	v_sub_u32_e64 v53, v11, v53 clamp
	v_min_u32_e32 v50, v11, v50
	v_cmp_lt_u32_e32 vcc, v53, v50
	; wave barrier
	s_and_saveexec_b64 s[22:23], vcc
	s_cbranch_execz .LBB831_108
; %bb.105:
	v_lshlrev_b32_e32 v54, 3, v10
	v_lshlrev_b32_e32 v55, 3, v51
	v_add_co_u32_e32 v54, vcc, v31, v54
	v_add_co_u32_e32 v55, vcc, v31, v55
	s_mov_b64 s[26:27], 0
.LBB831_106:                            ; =>This Inner Loop Header: Depth=1
	v_add_u32_e32 v64, v50, v53
	v_lshrrev_b32_e32 v71, 1, v64
	v_xad_u32 v67, v71, -1, v11
	v_lshl_add_u32 v64, v71, 3, v54
	v_lshl_add_u32 v67, v67, 3, v55
	ds_read_b64 v[64:65], v64
	ds_read_b64 v[67:68], v67
	v_add_u32_e32 v80, 1, v71
	s_waitcnt lgkmcnt(1)
	v_and_b32_e32 v65, v65, v70
	v_and_b32_e32 v64, v64, v69
	s_waitcnt lgkmcnt(0)
	v_and_b32_e32 v68, v68, v70
	v_and_b32_e32 v67, v67, v69
	v_cmp_gt_u64_e32 vcc, v[64:65], v[67:68]
	v_cndmask_b32_e32 v50, v50, v71, vcc
	v_cndmask_b32_e32 v53, v80, v53, vcc
	v_cmp_ge_u32_e32 vcc, v53, v50
	s_or_b64 s[26:27], vcc, s[26:27]
	s_andn2_b64 exec, exec, s[26:27]
	s_cbranch_execnz .LBB831_106
; %bb.107:
	s_or_b64 exec, exec, s[26:27]
.LBB831_108:
	s_or_b64 exec, exec, s[22:23]
	v_add_u32_e32 v50, v53, v10
	v_add_u32_e32 v10, v51, v11
	v_sub_u32_e32 v53, v10, v53
	v_cmp_le_u32_e32 vcc, v50, v51
	v_cmp_le_u32_e64 s[22:23], v53, v52
	s_or_b64 s[22:23], vcc, s[22:23]
	s_and_saveexec_b64 s[42:43], s[22:23]
	s_cbranch_execz .LBB831_114
; %bb.109:
	v_cmp_lt_u32_e32 vcc, v50, v51
                                        ; implicit-def: $vgpr4_vgpr5
	s_and_saveexec_b64 s[22:23], vcc
; %bb.110:
	v_lshl_add_u32 v0, v50, 3, v31
	ds_read_b64 v[4:5], v0
; %bb.111:
	s_or_b64 exec, exec, s[22:23]
	v_cmp_ge_u32_e64 s[22:23], v53, v52
	v_cmp_lt_u32_e64 s[26:27], v53, v52
                                        ; implicit-def: $vgpr10_vgpr11
	s_and_saveexec_b64 s[28:29], s[26:27]
; %bb.112:
	v_lshl_add_u32 v0, v53, 3, v31
	ds_read_b64 v[10:11], v0
; %bb.113:
	s_or_b64 exec, exec, s[28:29]
	s_waitcnt lgkmcnt(0)
	v_and_b32_e32 v1, v11, v70
	v_and_b32_e32 v0, v10, v69
	;; [unrolled: 1-line block ×4, first 2 shown]
	v_cmp_le_u64_e64 s[26:27], v[13:14], v[0:1]
	s_and_b64 s[26:27], vcc, s[26:27]
	s_or_b64 vcc, s[22:23], s[26:27]
	v_cndmask_b32_e32 v15, v53, v50, vcc
	v_cndmask_b32_e32 v0, v52, v51, vcc
	v_add_u32_e32 v16, 1, v15
	v_add_u32_e32 v0, -1, v0
	v_min_u32_e32 v0, v16, v0
	v_lshl_add_u32 v0, v0, 3, v31
	ds_read_b64 v[13:14], v0
	v_cndmask_b32_e32 v1, v11, v5, vcc
	v_cndmask_b32_e32 v0, v10, v4, vcc
	v_cndmask_b32_e32 v21, v16, v53, vcc
	v_cndmask_b32_e32 v16, v50, v16, vcc
	s_waitcnt lgkmcnt(0)
	v_cndmask_b32_e32 v17, v14, v11, vcc
	v_cndmask_b32_e32 v18, v13, v10, vcc
	;; [unrolled: 1-line block ×4, first 2 shown]
	v_and_b32_e32 v5, v17, v70
	v_and_b32_e32 v4, v18, v69
	;; [unrolled: 1-line block ×4, first 2 shown]
	v_cmp_le_u64_e64 s[22:23], v[10:11], v[4:5]
	v_cmp_lt_u32_e64 s[26:27], v16, v51
	v_cmp_ge_u32_e32 vcc, v21, v52
	s_and_b64 s[22:23], s[26:27], s[22:23]
	s_or_b64 vcc, vcc, s[22:23]
	v_cndmask_b32_e32 v22, v21, v16, vcc
	v_cndmask_b32_e32 v4, v52, v51, vcc
	v_add_u32_e32 v23, 1, v22
	v_add_u32_e32 v4, -1, v4
	v_min_u32_e32 v4, v23, v4
	v_lshl_add_u32 v4, v4, 3, v31
	ds_read_b64 v[10:11], v4
	v_cndmask_b32_e32 v14, v17, v19, vcc
	v_cndmask_b32_e32 v13, v18, v20, vcc
	v_lshl_add_u32 v4, v15, 3, v12
	v_cndmask_b32_e32 v21, v23, v21, vcc
	s_waitcnt lgkmcnt(0)
	v_cndmask_b32_e32 v17, v11, v17, vcc
	v_cndmask_b32_e32 v18, v10, v18, vcc
	;; [unrolled: 1-line block ×5, first 2 shown]
	v_and_b32_e32 v11, v17, v70
	v_and_b32_e32 v10, v18, v69
	;; [unrolled: 1-line block ×4, first 2 shown]
	v_cmp_le_u64_e64 s[22:23], v[15:16], v[10:11]
	v_cmp_lt_u32_e64 s[26:27], v23, v51
	v_cmp_ge_u32_e32 vcc, v21, v52
	s_and_b64 s[22:23], s[26:27], s[22:23]
	s_or_b64 vcc, vcc, s[22:23]
	v_cndmask_b32_e32 v26, v21, v23, vcc
	v_cndmask_b32_e32 v10, v52, v51, vcc
	v_add_u32_e32 v27, 1, v26
	v_add_u32_e32 v10, -1, v10
	v_min_u32_e32 v10, v27, v10
	v_lshl_add_u32 v10, v10, 3, v31
	ds_read_b64 v[10:11], v10
	v_lshl_add_u32 v15, v22, 3, v12
	v_cndmask_b32_e32 v16, v17, v24, vcc
	ds_read_b64 v[19:20], v15
	v_cndmask_b32_e32 v15, v18, v25, vcc
	s_waitcnt lgkmcnt(1)
	v_cndmask_b32_e32 v28, v11, v17, vcc
	v_cndmask_b32_e32 v29, v10, v18, vcc
	;; [unrolled: 1-line block ×4, first 2 shown]
	v_and_b32_e32 v11, v28, v70
	v_and_b32_e32 v10, v29, v69
	;; [unrolled: 1-line block ×4, first 2 shown]
	v_cndmask_b32_e32 v23, v23, v27, vcc
	v_cmp_le_u64_e64 s[22:23], v[17:18], v[10:11]
	v_cndmask_b32_e32 v32, v27, v21, vcc
	v_cmp_lt_u32_e64 s[26:27], v23, v51
	v_cmp_ge_u32_e32 vcc, v32, v52
	s_and_b64 s[22:23], s[26:27], s[22:23]
	s_or_b64 vcc, vcc, s[22:23]
	v_cndmask_b32_e32 v27, v32, v23, vcc
	v_cndmask_b32_e32 v10, v52, v51, vcc
	v_add_u32_e32 v17, 1, v27
	v_add_u32_e32 v10, -1, v10
	v_min_u32_e32 v10, v17, v10
	v_lshl_add_u32 v10, v10, 3, v31
	ds_read_b64 v[10:11], v10
	v_lshl_add_u32 v18, v26, 3, v12
	v_cndmask_b32_e32 v26, v28, v24, vcc
	ds_read_b64 v[21:22], v18
	v_cndmask_b32_e32 v32, v17, v32, vcc
	s_waitcnt lgkmcnt(1)
	v_cndmask_b32_e32 v33, v11, v28, vcc
	v_cndmask_b32_e32 v34, v10, v29, vcc
	;; [unrolled: 1-line block ×5, first 2 shown]
	v_and_b32_e32 v11, v33, v70
	v_and_b32_e32 v10, v34, v69
	;; [unrolled: 1-line block ×4, first 2 shown]
	v_cmp_le_u64_e64 s[22:23], v[17:18], v[10:11]
	v_cmp_lt_u32_e64 s[26:27], v23, v51
	v_cndmask_b32_e32 v25, v29, v30, vcc
	v_cmp_ge_u32_e32 vcc, v32, v52
	s_and_b64 s[22:23], s[26:27], s[22:23]
	s_or_b64 vcc, vcc, s[22:23]
	v_cndmask_b32_e32 v36, v32, v23, vcc
	v_cndmask_b32_e32 v10, v52, v51, vcc
	v_add_u32_e32 v17, 1, v36
	v_add_u32_e32 v10, -1, v10
	v_min_u32_e32 v10, v17, v10
	v_lshl_add_u32 v10, v10, 3, v31
	ds_read_b64 v[10:11], v10
	v_lshl_add_u32 v18, v27, 3, v12
	v_cndmask_b32_e32 v28, v33, v24, vcc
	ds_read_b64 v[29:30], v18
	v_cndmask_b32_e32 v32, v17, v32, vcc
	s_waitcnt lgkmcnt(1)
	v_cndmask_b32_e32 v33, v11, v33, vcc
	v_cndmask_b32_e32 v37, v10, v34, vcc
	;; [unrolled: 1-line block ×5, first 2 shown]
	v_and_b32_e32 v11, v33, v70
	v_and_b32_e32 v10, v37, v69
	;; [unrolled: 1-line block ×4, first 2 shown]
	v_cmp_le_u64_e64 s[22:23], v[17:18], v[10:11]
	v_cmp_lt_u32_e64 s[26:27], v48, v51
	v_cndmask_b32_e32 v27, v34, v35, vcc
	v_cmp_ge_u32_e32 vcc, v32, v52
	s_and_b64 s[22:23], s[26:27], s[22:23]
	s_or_b64 vcc, vcc, s[22:23]
	v_cndmask_b32_e32 v49, v32, v48, vcc
	v_cndmask_b32_e32 v10, v52, v51, vcc
	v_add_u32_e32 v17, 1, v49
	v_add_u32_e32 v10, -1, v10
	v_min_u32_e32 v10, v17, v10
	v_lshl_add_u32 v10, v10, 3, v31
	ds_read_b64 v[10:11], v10
	v_lshl_add_u32 v18, v36, 3, v12
	ds_read_b64 v[34:35], v18
	v_cndmask_b32_e32 v23, v37, v39, vcc
	v_cndmask_b32_e32 v36, v17, v32, vcc
	s_waitcnt lgkmcnt(1)
	v_cndmask_b32_e32 v50, v11, v33, vcc
	v_cndmask_b32_e32 v53, v10, v37, vcc
	;; [unrolled: 1-line block ×5, first 2 shown]
	v_and_b32_e32 v11, v50, v70
	v_and_b32_e32 v10, v53, v69
	;; [unrolled: 1-line block ×4, first 2 shown]
	v_cmp_le_u64_e64 s[22:23], v[17:18], v[10:11]
	v_cmp_lt_u32_e64 s[26:27], v37, v51
	v_cndmask_b32_e32 v24, v33, v38, vcc
	v_cmp_ge_u32_e32 vcc, v36, v52
	s_and_b64 s[22:23], s[26:27], s[22:23]
	s_or_b64 vcc, vcc, s[22:23]
	v_cndmask_b32_e32 v17, v36, v37, vcc
	v_cndmask_b32_e32 v10, v52, v51, vcc
	v_add_u32_e32 v18, 1, v17
	v_add_u32_e32 v10, -1, v10
	v_min_u32_e32 v10, v18, v10
	v_lshl_add_u32 v10, v10, 3, v31
	ds_read_b64 v[10:11], v10
	v_lshl_add_u32 v31, v49, 3, v12
	ds_read_b64 v[38:39], v31
	;; [unrolled: 2-line block ×3, first 2 shown]
	s_waitcnt lgkmcnt(2)
	v_cndmask_b32_e32 v31, v11, v50, vcc
	v_cndmask_b32_e32 v64, v10, v53, vcc
	;; [unrolled: 1-line block ×6, first 2 shown]
	v_and_b32_e32 v11, v31, v70
	v_and_b32_e32 v10, v64, v69
	;; [unrolled: 1-line block ×4, first 2 shown]
	v_cmp_le_u64_e64 s[26:27], v[17:18], v[10:11]
	v_cmp_lt_u32_e64 s[28:29], v37, v51
	v_cmp_ge_u32_e64 s[22:23], v36, v52
	s_and_b64 s[26:27], s[28:29], s[26:27]
	s_or_b64 s[22:23], s[22:23], s[26:27]
	v_cndmask_b32_e64 v10, v36, v37, s[22:23]
	v_lshl_add_u32 v10, v10, 3, v12
	ds_read_b64 v[4:5], v4
	ds_read_b64 v[36:37], v10
	v_cndmask_b32_e32 v49, v50, v54, vcc
	v_cndmask_b32_e32 v48, v53, v55, vcc
	v_cndmask_b32_e64 v18, v31, v65, s[22:23]
	v_cndmask_b32_e64 v17, v64, v67, s[22:23]
.LBB831_114:
	s_or_b64 exec, exec, s[42:43]
	; wave barrier
	s_waitcnt lgkmcnt(0)
	s_barrier
                                        ; implicit-def: $vgpr67
                                        ; implicit-def: $vgpr12
                                        ; implicit-def: $vgpr68
                                        ; implicit-def: $vgpr31
                                        ; implicit-def: $vgpr50
                                        ; implicit-def: $vgpr51
.LBB831_115:
	s_andn2_saveexec_b64 s[26:27], s[40:41]
	s_cbranch_execz .LBB831_205
; %bb.116:
	s_load_dwordx2 s[22:23], s[8:9], 0x0
	v_mov_b32_e32 v10, 0
	s_waitcnt lgkmcnt(0)
	s_cmp_lt_u32 s13, s23
	s_cselect_b32 s13, 14, 20
	s_add_u32 s28, s8, s13
	s_addc_u32 s29, s9, 0
	s_cmp_lt_u32 s12, s22
	s_cselect_b32 s12, 12, 18
	s_add_u32 s8, s8, s12
	s_addc_u32 s9, s9, 0
	global_load_ushort v11, v10, s[28:29]
	global_load_ushort v52, v10, s[8:9]
	s_movk_i32 s8, 0x800
	s_waitcnt vmcnt(0)
	v_mad_u32_u24 v10, v51, v11, v50
	v_mul_lo_u32 v10, v10, v52
	v_and_b32_e32 v11, 0x3ff, v31
	v_add_lshl_u32 v69, v10, v11, 3
	v_cmp_gt_u32_e32 vcc, s8, v69
	s_and_saveexec_b64 s[8:9], vcc
	s_cbranch_execz .LBB831_174
; %bb.117:
	v_cmp_gt_i64_e32 vcc, v[0:1], v[13:14]
	v_mov_b32_e32 v10, v13
	v_mov_b32_e32 v51, v20
	v_mov_b32_e32 v11, v14
	v_mov_b32_e32 v50, v19
	s_and_saveexec_b64 s[12:13], vcc
; %bb.118:
	v_mov_b32_e32 v11, v1
	v_mov_b32_e32 v51, v5
	v_mov_b32_e32 v10, v0
	v_mov_b32_e32 v0, v13
	v_mov_b32_e32 v50, v4
	v_mov_b32_e32 v4, v19
	v_mov_b32_e32 v1, v14
	v_mov_b32_e32 v5, v20
; %bb.119:
	s_or_b64 exec, exec, s[12:13]
	v_cmp_gt_i64_e32 vcc, v[15:16], v[25:26]
	v_mov_b32_e32 v65, v26
	v_mov_b32_e32 v53, v30
	v_mov_b32_e32 v64, v25
	v_mov_b32_e32 v52, v29
	s_and_saveexec_b64 s[12:13], vcc
; %bb.120:
	v_mov_b32_e32 v65, v16
	v_mov_b32_e32 v53, v22
	v_mov_b32_e32 v64, v15
	v_mov_b32_e32 v15, v25
	v_mov_b32_e32 v52, v21
	v_mov_b32_e32 v21, v29
	v_mov_b32_e32 v16, v26
	v_mov_b32_e32 v22, v30
; %bb.121:
	s_or_b64 exec, exec, s[12:13]
	;; [unrolled: 17-line block ×4, first 2 shown]
	v_cmp_gt_i64_e32 vcc, v[10:11], v[15:16]
	v_mov_b32_e32 v26, v16
	v_mov_b32_e32 v30, v22
	;; [unrolled: 1-line block ×4, first 2 shown]
	s_and_saveexec_b64 s[12:13], vcc
	s_xor_b64 s[12:13], exec, s[12:13]
; %bb.126:
	v_mov_b32_e32 v26, v11
	v_mov_b32_e32 v29, v50
	v_mov_b32_e32 v25, v10
	v_mov_b32_e32 v10, v15
	v_mov_b32_e32 v30, v51
	v_mov_b32_e32 v51, v22
	v_mov_b32_e32 v11, v16
	v_mov_b32_e32 v50, v21
; %bb.127:
	s_or_b64 exec, exec, s[12:13]
	v_cmp_gt_i64_e32 vcc, v[64:65], v[54:55]
	v_mov_b32_e32 v48, v64
	v_mov_b32_e32 v37, v35
	v_mov_b32_e32 v49, v65
	v_mov_b32_e32 v36, v34
	s_and_saveexec_b64 s[12:13], vcc
; %bb.128:
	v_mov_b32_e32 v48, v54
	v_mov_b32_e32 v36, v52
	v_mov_b32_e32 v49, v55
	v_mov_b32_e32 v37, v53
	v_mov_b32_e32 v53, v35
	v_mov_b32_e32 v54, v64
	v_mov_b32_e32 v52, v34
	v_mov_b32_e32 v55, v65
; %bb.129:
	s_or_b64 exec, exec, s[12:13]
	v_cmp_gt_i64_e32 vcc, v[23:24], v[27:28]
	v_mov_b32_e32 v15, v32
	v_mov_b32_e32 v35, v24
	v_mov_b32_e32 v16, v33
	v_mov_b32_e32 v34, v23
	s_and_saveexec_b64 s[12:13], vcc
	;; [unrolled: 17-line block ×23, first 2 shown]
; %bb.172:
	v_mov_b32_e32 v49, v24
	v_mov_b32_e32 v39, v33
	;; [unrolled: 1-line block ×8, first 2 shown]
; %bb.173:
	s_or_b64 exec, exec, s[12:13]
.LBB831_174:
	s_or_b64 exec, exec, s[8:9]
	v_and_b32_e32 v10, 0xfffffe00, v69
	s_movk_i32 s8, 0x800
	v_mov_b32_e32 v11, 0
	v_sub_u32_e64 v50, s8, v10 clamp
	v_lshlrev_b64 v[10:11], 3, v[10:11]
	v_or_b32_e32 v11, 8, v67
	v_add_co_u32_e32 v31, vcc, v12, v10
	v_min_u32_e32 v86, v50, v11
	v_add_co_u32_e32 v12, vcc, 0x4000, v31
	v_lshlrev_b32_e32 v10, 3, v67
	v_add_u32_e32 v11, 8, v86
	v_add_u32_e32 v51, v31, v10
	;; [unrolled: 1-line block ×3, first 2 shown]
	v_and_b32_e32 v10, 0x3f0, v67
	v_min_u32_e32 v87, v50, v11
	v_and_b32_e32 v11, 8, v67
	v_min_u32_e32 v11, v50, v11
	v_sub_u32_e32 v53, v86, v10
	v_sub_u32_e32 v54, v87, v86
	v_sub_u32_e64 v97, v11, v54 clamp
	v_min_u32_e32 v53, v11, v53
	v_cmp_lt_u32_e32 vcc, v97, v53
	ds_write_b64 v51, v[0:1]
	ds_write_b64 v52, v[4:5]
	ds_write_b64 v51, v[13:14] offset:8
	ds_write_b64 v52, v[19:20] offset:8
	;; [unrolled: 1-line block ×14, first 2 shown]
	; wave barrier
	s_and_saveexec_b64 s[8:9], vcc
	s_cbranch_execz .LBB831_178
; %bb.175:
	v_lshlrev_b32_e32 v54, 3, v10
	v_lshlrev_b32_e32 v55, 3, v86
	v_add_co_u32_e32 v54, vcc, v31, v54
	v_add_co_u32_e32 v55, vcc, v31, v55
	s_mov_b64 s[12:13], 0
.LBB831_176:                            ; =>This Inner Loop Header: Depth=1
	v_add_u32_e32 v64, v53, v97
	v_lshrrev_b32_e32 v71, 1, v64
	v_xad_u32 v69, v71, -1, v11
	v_lshl_add_u32 v64, v71, 3, v54
	v_lshl_add_u32 v69, v69, 3, v55
	ds_read_b64 v[64:65], v64
	ds_read_b64 v[69:70], v69
	v_add_u32_e32 v80, 1, v71
	s_waitcnt lgkmcnt(0)
	v_cmp_gt_i64_e32 vcc, v[64:65], v[69:70]
	v_cndmask_b32_e32 v53, v53, v71, vcc
	v_cndmask_b32_e32 v97, v80, v97, vcc
	v_cmp_ge_u32_e32 vcc, v97, v53
	s_or_b64 s[12:13], vcc, s[12:13]
	s_andn2_b64 exec, exec, s[12:13]
	s_cbranch_execnz .LBB831_176
; %bb.177:
	s_or_b64 exec, exec, s[12:13]
.LBB831_178:
	s_or_b64 exec, exec, s[8:9]
	v_add_u32_e32 v96, v97, v10
	v_add_u32_e32 v10, v86, v11
	v_sub_u32_e32 v97, v10, v97
	v_cmp_le_u32_e32 vcc, v96, v86
	v_cmp_le_u32_e64 s[8:9], v97, v87
	v_add_u32_e32 v53, 8, v51
	v_add_u32_e32 v54, 8, v52
	;; [unrolled: 1-line block ×14, first 2 shown]
	s_or_b64 s[8:9], vcc, s[8:9]
	s_and_saveexec_b64 s[28:29], s[8:9]
	s_cbranch_execz .LBB831_184
; %bb.179:
	v_cmp_lt_u32_e32 vcc, v96, v86
                                        ; implicit-def: $vgpr4_vgpr5
	s_and_saveexec_b64 s[8:9], vcc
; %bb.180:
	v_lshl_add_u32 v0, v96, 3, v31
	ds_read_b64 v[4:5], v0
; %bb.181:
	s_or_b64 exec, exec, s[8:9]
	v_cmp_ge_u32_e64 s[8:9], v97, v87
	v_cmp_lt_u32_e64 s[12:13], v97, v87
                                        ; implicit-def: $vgpr10_vgpr11
	s_and_saveexec_b64 s[22:23], s[12:13]
; %bb.182:
	v_lshl_add_u32 v0, v97, 3, v31
	ds_read_b64 v[10:11], v0
; %bb.183:
	s_or_b64 exec, exec, s[22:23]
	s_waitcnt lgkmcnt(0)
	v_cmp_le_i64_e64 s[12:13], v[4:5], v[10:11]
	s_and_b64 s[12:13], vcc, s[12:13]
	s_or_b64 vcc, s[8:9], s[12:13]
	v_cndmask_b32_e32 v19, v97, v96, vcc
	v_cndmask_b32_e32 v0, v87, v86, vcc
	v_add_u32_e32 v17, 1, v19
	v_add_u32_e32 v0, -1, v0
	v_min_u32_e32 v0, v17, v0
	v_lshl_add_u32 v0, v0, 3, v31
	ds_read_b64 v[13:14], v0
	v_cndmask_b32_e32 v1, v11, v5, vcc
	v_cndmask_b32_e32 v0, v10, v4, vcc
	;; [unrolled: 1-line block ×4, first 2 shown]
	s_waitcnt lgkmcnt(0)
	v_cndmask_b32_e32 v11, v14, v11, vcc
	v_cndmask_b32_e32 v10, v13, v10, vcc
	;; [unrolled: 1-line block ×4, first 2 shown]
	v_cmp_le_i64_e64 s[8:9], v[15:16], v[10:11]
	v_cmp_lt_u32_e64 s[12:13], v21, v86
	v_cmp_ge_u32_e32 vcc, v20, v87
	s_and_b64 s[8:9], s[12:13], s[8:9]
	s_or_b64 vcc, vcc, s[8:9]
	v_cndmask_b32_e32 v23, v20, v21, vcc
	v_cndmask_b32_e32 v4, v87, v86, vcc
	v_add_u32_e32 v22, 1, v23
	v_add_u32_e32 v4, -1, v4
	v_min_u32_e32 v4, v22, v4
	v_lshl_add_u32 v4, v4, 3, v31
	ds_read_b64 v[17:18], v4
	v_cndmask_b32_e32 v14, v11, v16, vcc
	v_cndmask_b32_e32 v13, v10, v15, vcc
	v_cndmask_b32_e32 v25, v21, v22, vcc
	v_cndmask_b32_e32 v24, v22, v20, vcc
	s_waitcnt lgkmcnt(0)
	v_cndmask_b32_e32 v11, v18, v11, vcc
	v_cndmask_b32_e32 v10, v17, v10, vcc
	;; [unrolled: 1-line block ×4, first 2 shown]
	v_cmp_le_i64_e64 s[8:9], v[17:18], v[10:11]
	v_cmp_lt_u32_e64 s[12:13], v25, v86
	v_cmp_ge_u32_e32 vcc, v24, v87
	s_and_b64 s[8:9], s[12:13], s[8:9]
	s_or_b64 vcc, vcc, s[8:9]
	v_cndmask_b32_e32 v26, v24, v25, vcc
	v_cndmask_b32_e32 v15, v87, v86, vcc
	v_add_u32_e32 v27, 1, v26
	v_add_u32_e32 v15, -1, v15
	v_min_u32_e32 v15, v27, v15
	v_lshl_add_u32 v15, v15, 3, v31
	ds_read_b64 v[21:22], v15
	v_lshl_add_u32 v15, v23, 3, v12
	v_lshl_add_u32 v4, v19, 3, v12
	ds_read_b64 v[19:20], v15
	v_cndmask_b32_e32 v16, v11, v18, vcc
	v_cndmask_b32_e32 v15, v10, v17, vcc
	s_waitcnt lgkmcnt(1)
	v_cndmask_b32_e32 v11, v22, v11, vcc
	v_cndmask_b32_e32 v10, v21, v10, vcc
	v_cndmask_b32_e32 v18, v18, v22, vcc
	v_cndmask_b32_e32 v17, v17, v21, vcc
	v_cndmask_b32_e32 v28, v27, v24, vcc
	v_cndmask_b32_e32 v27, v25, v27, vcc
	v_cmp_le_i64_e64 s[8:9], v[17:18], v[10:11]
	v_cmp_lt_u32_e64 s[12:13], v27, v86
	v_cmp_ge_u32_e32 vcc, v28, v87
	s_and_b64 s[8:9], s[12:13], s[8:9]
	s_or_b64 vcc, vcc, s[8:9]
	v_cndmask_b32_e32 v29, v28, v27, vcc
	v_cndmask_b32_e32 v21, v87, v86, vcc
	v_add_u32_e32 v30, 1, v29
	v_add_u32_e32 v21, -1, v21
	v_min_u32_e32 v21, v30, v21
	v_lshl_add_u32 v21, v21, 3, v31
	ds_read_b64 v[23:24], v21
	v_lshl_add_u32 v21, v26, 3, v12
	v_cndmask_b32_e32 v26, v11, v18, vcc
	v_cndmask_b32_e32 v25, v10, v17, vcc
	;; [unrolled: 1-line block ×3, first 2 shown]
	s_waitcnt lgkmcnt(0)
	v_cndmask_b32_e32 v11, v24, v11, vcc
	v_cndmask_b32_e32 v10, v23, v10, vcc
	;; [unrolled: 1-line block ×4, first 2 shown]
	v_cmp_le_i64_e64 s[8:9], v[17:18], v[10:11]
	v_cndmask_b32_e32 v32, v30, v28, vcc
	v_cmp_lt_u32_e64 s[12:13], v33, v86
	v_cmp_ge_u32_e32 vcc, v32, v87
	s_and_b64 s[8:9], s[12:13], s[8:9]
	s_or_b64 vcc, vcc, s[8:9]
	v_cndmask_b32_e32 v34, v32, v33, vcc
	v_cndmask_b32_e32 v23, v87, v86, vcc
	v_add_u32_e32 v35, 1, v34
	v_add_u32_e32 v23, -1, v23
	v_min_u32_e32 v23, v35, v23
	v_lshl_add_u32 v23, v23, 3, v31
	ds_read_b64 v[23:24], v23
	v_lshl_add_u32 v27, v29, 3, v12
	ds_read_b64 v[29:30], v27
	v_cndmask_b32_e32 v28, v11, v18, vcc
	v_cndmask_b32_e32 v27, v10, v17, vcc
	s_waitcnt lgkmcnt(1)
	v_cndmask_b32_e32 v11, v24, v11, vcc
	v_cndmask_b32_e32 v10, v23, v10, vcc
	;; [unrolled: 1-line block ×5, first 2 shown]
	v_cmp_le_i64_e64 s[8:9], v[17:18], v[10:11]
	v_cndmask_b32_e32 v36, v35, v32, vcc
	v_cmp_lt_u32_e64 s[12:13], v37, v86
	v_cmp_ge_u32_e32 vcc, v36, v87
	s_and_b64 s[8:9], s[12:13], s[8:9]
	s_or_b64 vcc, vcc, s[8:9]
	v_cndmask_b32_e32 v38, v36, v37, vcc
	v_cndmask_b32_e32 v23, v87, v86, vcc
	v_add_u32_e32 v39, 1, v38
	v_add_u32_e32 v23, -1, v23
	v_min_u32_e32 v23, v39, v23
	v_lshl_add_u32 v23, v23, 3, v31
	ds_read_b64 v[32:33], v23
	v_lshl_add_u32 v23, v34, 3, v12
	ds_read_b64 v[34:35], v23
	v_cndmask_b32_e32 v24, v11, v18, vcc
	v_cndmask_b32_e32 v23, v10, v17, vcc
	s_waitcnt lgkmcnt(1)
	v_cndmask_b32_e32 v11, v33, v11, vcc
	v_cndmask_b32_e32 v10, v32, v10, vcc
	;; [unrolled: 1-line block ×5, first 2 shown]
	v_cmp_le_i64_e64 s[8:9], v[17:18], v[10:11]
	v_cndmask_b32_e32 v48, v39, v36, vcc
	v_cmp_lt_u32_e64 s[12:13], v49, v86
	v_cmp_ge_u32_e32 vcc, v48, v87
	s_and_b64 s[8:9], s[12:13], s[8:9]
	s_or_b64 vcc, vcc, s[8:9]
	v_cndmask_b32_e32 v32, v48, v49, vcc
	v_cndmask_b32_e32 v33, v87, v86, vcc
	v_add_u32_e32 v100, 1, v32
	v_add_u32_e32 v33, -1, v33
	v_min_u32_e32 v33, v100, v33
	v_lshl_add_u32 v33, v33, 3, v31
	ds_read_b64 v[36:37], v33
	v_lshl_add_u32 v33, v38, 3, v12
	v_lshl_add_u32 v32, v32, 3, v12
	ds_read_b64 v[4:5], v4
	ds_read_b64 v[21:22], v21
	s_waitcnt lgkmcnt(2)
	v_cndmask_b32_e32 v97, v37, v11, vcc
	v_cndmask_b32_e32 v96, v36, v10, vcc
	;; [unrolled: 1-line block ×5, first 2 shown]
	v_cmp_le_i64_e64 s[12:13], v[98:99], v[96:97]
	v_cndmask_b32_e32 v36, v100, v48, vcc
	v_cmp_lt_u32_e64 s[22:23], v37, v86
	v_cmp_ge_u32_e64 s[8:9], v36, v87
	s_and_b64 s[12:13], s[22:23], s[12:13]
	s_or_b64 s[8:9], s[8:9], s[12:13]
	v_cndmask_b32_e64 v36, v36, v37, s[8:9]
	v_lshl_add_u32 v36, v36, 3, v12
	ds_read_b64 v[38:39], v33
	ds_read_b64 v[32:33], v32
	;; [unrolled: 1-line block ×3, first 2 shown]
	v_cndmask_b32_e32 v49, v11, v18, vcc
	v_cndmask_b32_e32 v48, v10, v17, vcc
	v_cndmask_b32_e64 v18, v97, v99, s[8:9]
	v_cndmask_b32_e64 v17, v96, v98, s[8:9]
.LBB831_184:
	s_or_b64 exec, exec, s[28:29]
	v_and_b32_e32 v10, 0x3e0, v67
	v_or_b32_e32 v11, 16, v10
	v_min_u32_e32 v86, v50, v11
	v_add_u32_e32 v11, 16, v86
	v_min_u32_e32 v87, v50, v11
	v_and_b32_e32 v11, 24, v67
	v_min_u32_e32 v11, v50, v11
	v_sub_u32_e32 v96, v86, v10
	v_sub_u32_e32 v97, v87, v86
	v_sub_u32_e64 v97, v11, v97 clamp
	v_min_u32_e32 v96, v11, v96
	v_cmp_lt_u32_e32 vcc, v97, v96
	; wave barrier
	ds_write_b64 v51, v[0:1]
	s_waitcnt lgkmcnt(5)
	ds_write_b64 v52, v[4:5]
	ds_write_b64 v53, v[13:14]
	;; [unrolled: 1-line block ×4, first 2 shown]
	s_waitcnt lgkmcnt(8)
	ds_write_b64 v64, v[21:22]
	ds_write_b64 v65, v[25:26]
	;; [unrolled: 1-line block ×6, first 2 shown]
	s_waitcnt lgkmcnt(13)
	ds_write_b64 v81, v[38:39]
	ds_write_b64 v82, v[48:49]
	s_waitcnt lgkmcnt(14)
	ds_write_b64 v83, v[32:33]
	ds_write_b64 v84, v[17:18]
	s_waitcnt lgkmcnt(14)
	ds_write_b64 v85, v[36:37]
	; wave barrier
	s_and_saveexec_b64 s[8:9], vcc
	s_cbranch_execz .LBB831_188
; %bb.185:
	v_lshlrev_b32_e32 v98, 3, v10
	v_lshlrev_b32_e32 v99, 3, v86
	v_add_co_u32_e32 v98, vcc, v31, v98
	v_add_co_u32_e32 v99, vcc, v31, v99
	s_mov_b64 s[12:13], 0
.LBB831_186:                            ; =>This Inner Loop Header: Depth=1
	v_add_u32_e32 v100, v96, v97
	v_lshrrev_b32_e32 v112, 1, v100
	v_xad_u32 v102, v112, -1, v11
	v_lshl_add_u32 v100, v112, 3, v98
	v_lshl_add_u32 v102, v102, 3, v99
	ds_read_b64 v[100:101], v100
	ds_read_b64 v[102:103], v102
	v_add_u32_e32 v113, 1, v112
	s_waitcnt lgkmcnt(0)
	v_cmp_gt_i64_e32 vcc, v[100:101], v[102:103]
	v_cndmask_b32_e32 v96, v96, v112, vcc
	v_cndmask_b32_e32 v97, v113, v97, vcc
	v_cmp_ge_u32_e32 vcc, v97, v96
	s_or_b64 s[12:13], vcc, s[12:13]
	s_andn2_b64 exec, exec, s[12:13]
	s_cbranch_execnz .LBB831_186
; %bb.187:
	s_or_b64 exec, exec, s[12:13]
.LBB831_188:
	s_or_b64 exec, exec, s[8:9]
	v_add_u32_e32 v96, v97, v10
	v_add_u32_e32 v10, v86, v11
	v_sub_u32_e32 v97, v10, v97
	v_cmp_le_u32_e32 vcc, v96, v86
	v_cmp_le_u32_e64 s[8:9], v97, v87
	s_or_b64 s[8:9], vcc, s[8:9]
	s_and_saveexec_b64 s[28:29], s[8:9]
	s_cbranch_execz .LBB831_194
; %bb.189:
	v_cmp_lt_u32_e32 vcc, v96, v86
                                        ; implicit-def: $vgpr4_vgpr5
	s_and_saveexec_b64 s[8:9], vcc
; %bb.190:
	v_lshl_add_u32 v0, v96, 3, v31
	ds_read_b64 v[4:5], v0
; %bb.191:
	s_or_b64 exec, exec, s[8:9]
	v_cmp_ge_u32_e64 s[8:9], v97, v87
	v_cmp_lt_u32_e64 s[12:13], v97, v87
                                        ; implicit-def: $vgpr10_vgpr11
	s_and_saveexec_b64 s[22:23], s[12:13]
; %bb.192:
	v_lshl_add_u32 v0, v97, 3, v31
	ds_read_b64 v[10:11], v0
; %bb.193:
	s_or_b64 exec, exec, s[22:23]
	s_waitcnt lgkmcnt(0)
	v_cmp_le_i64_e64 s[12:13], v[4:5], v[10:11]
	s_and_b64 s[12:13], vcc, s[12:13]
	s_or_b64 vcc, s[8:9], s[12:13]
	v_cndmask_b32_e32 v19, v97, v96, vcc
	v_cndmask_b32_e32 v0, v87, v86, vcc
	v_add_u32_e32 v17, 1, v19
	v_add_u32_e32 v0, -1, v0
	v_min_u32_e32 v0, v17, v0
	v_lshl_add_u32 v0, v0, 3, v31
	ds_read_b64 v[13:14], v0
	v_cndmask_b32_e32 v1, v11, v5, vcc
	v_cndmask_b32_e32 v0, v10, v4, vcc
	;; [unrolled: 1-line block ×4, first 2 shown]
	s_waitcnt lgkmcnt(0)
	v_cndmask_b32_e32 v11, v14, v11, vcc
	v_cndmask_b32_e32 v10, v13, v10, vcc
	;; [unrolled: 1-line block ×4, first 2 shown]
	v_cmp_le_i64_e64 s[8:9], v[15:16], v[10:11]
	v_cmp_lt_u32_e64 s[12:13], v21, v86
	v_cmp_ge_u32_e32 vcc, v20, v87
	s_and_b64 s[8:9], s[12:13], s[8:9]
	s_or_b64 vcc, vcc, s[8:9]
	v_cndmask_b32_e32 v23, v20, v21, vcc
	v_cndmask_b32_e32 v4, v87, v86, vcc
	v_add_u32_e32 v22, 1, v23
	v_add_u32_e32 v4, -1, v4
	v_min_u32_e32 v4, v22, v4
	v_lshl_add_u32 v4, v4, 3, v31
	ds_read_b64 v[17:18], v4
	v_cndmask_b32_e32 v14, v11, v16, vcc
	v_cndmask_b32_e32 v13, v10, v15, vcc
	;; [unrolled: 1-line block ×4, first 2 shown]
	s_waitcnt lgkmcnt(0)
	v_cndmask_b32_e32 v11, v18, v11, vcc
	v_cndmask_b32_e32 v10, v17, v10, vcc
	;; [unrolled: 1-line block ×4, first 2 shown]
	v_cmp_le_i64_e64 s[8:9], v[17:18], v[10:11]
	v_cmp_lt_u32_e64 s[12:13], v25, v86
	v_cmp_ge_u32_e32 vcc, v24, v87
	s_and_b64 s[8:9], s[12:13], s[8:9]
	s_or_b64 vcc, vcc, s[8:9]
	v_cndmask_b32_e32 v26, v24, v25, vcc
	v_cndmask_b32_e32 v15, v87, v86, vcc
	v_add_u32_e32 v27, 1, v26
	v_add_u32_e32 v15, -1, v15
	v_min_u32_e32 v15, v27, v15
	v_lshl_add_u32 v15, v15, 3, v31
	ds_read_b64 v[21:22], v15
	v_lshl_add_u32 v15, v23, 3, v12
	v_lshl_add_u32 v4, v19, 3, v12
	ds_read_b64 v[19:20], v15
	v_cndmask_b32_e32 v16, v11, v18, vcc
	v_cndmask_b32_e32 v15, v10, v17, vcc
	s_waitcnt lgkmcnt(1)
	v_cndmask_b32_e32 v11, v22, v11, vcc
	v_cndmask_b32_e32 v10, v21, v10, vcc
	;; [unrolled: 1-line block ×6, first 2 shown]
	v_cmp_le_i64_e64 s[8:9], v[17:18], v[10:11]
	v_cmp_lt_u32_e64 s[12:13], v27, v86
	v_cmp_ge_u32_e32 vcc, v28, v87
	s_and_b64 s[8:9], s[12:13], s[8:9]
	s_or_b64 vcc, vcc, s[8:9]
	v_cndmask_b32_e32 v29, v28, v27, vcc
	v_cndmask_b32_e32 v21, v87, v86, vcc
	v_add_u32_e32 v30, 1, v29
	v_add_u32_e32 v21, -1, v21
	v_min_u32_e32 v21, v30, v21
	v_lshl_add_u32 v21, v21, 3, v31
	ds_read_b64 v[23:24], v21
	v_lshl_add_u32 v21, v26, 3, v12
	v_cndmask_b32_e32 v26, v11, v18, vcc
	v_cndmask_b32_e32 v25, v10, v17, vcc
	;; [unrolled: 1-line block ×3, first 2 shown]
	s_waitcnt lgkmcnt(0)
	v_cndmask_b32_e32 v11, v24, v11, vcc
	v_cndmask_b32_e32 v10, v23, v10, vcc
	v_cndmask_b32_e32 v18, v18, v24, vcc
	v_cndmask_b32_e32 v17, v17, v23, vcc
	v_cmp_le_i64_e64 s[8:9], v[17:18], v[10:11]
	v_cndmask_b32_e32 v32, v30, v28, vcc
	v_cmp_lt_u32_e64 s[12:13], v33, v86
	v_cmp_ge_u32_e32 vcc, v32, v87
	s_and_b64 s[8:9], s[12:13], s[8:9]
	s_or_b64 vcc, vcc, s[8:9]
	v_cndmask_b32_e32 v34, v32, v33, vcc
	v_cndmask_b32_e32 v23, v87, v86, vcc
	v_add_u32_e32 v35, 1, v34
	v_add_u32_e32 v23, -1, v23
	v_min_u32_e32 v23, v35, v23
	v_lshl_add_u32 v23, v23, 3, v31
	ds_read_b64 v[23:24], v23
	v_lshl_add_u32 v27, v29, 3, v12
	ds_read_b64 v[29:30], v27
	v_cndmask_b32_e32 v28, v11, v18, vcc
	v_cndmask_b32_e32 v27, v10, v17, vcc
	s_waitcnt lgkmcnt(1)
	v_cndmask_b32_e32 v11, v24, v11, vcc
	v_cndmask_b32_e32 v10, v23, v10, vcc
	;; [unrolled: 1-line block ×5, first 2 shown]
	v_cmp_le_i64_e64 s[8:9], v[17:18], v[10:11]
	v_cndmask_b32_e32 v36, v35, v32, vcc
	v_cmp_lt_u32_e64 s[12:13], v37, v86
	v_cmp_ge_u32_e32 vcc, v36, v87
	s_and_b64 s[8:9], s[12:13], s[8:9]
	s_or_b64 vcc, vcc, s[8:9]
	v_cndmask_b32_e32 v38, v36, v37, vcc
	v_cndmask_b32_e32 v23, v87, v86, vcc
	v_add_u32_e32 v39, 1, v38
	v_add_u32_e32 v23, -1, v23
	v_min_u32_e32 v23, v39, v23
	v_lshl_add_u32 v23, v23, 3, v31
	ds_read_b64 v[32:33], v23
	v_lshl_add_u32 v23, v34, 3, v12
	ds_read_b64 v[34:35], v23
	v_cndmask_b32_e32 v24, v11, v18, vcc
	v_cndmask_b32_e32 v23, v10, v17, vcc
	s_waitcnt lgkmcnt(1)
	v_cndmask_b32_e32 v11, v33, v11, vcc
	v_cndmask_b32_e32 v10, v32, v10, vcc
	;; [unrolled: 1-line block ×5, first 2 shown]
	v_cmp_le_i64_e64 s[8:9], v[17:18], v[10:11]
	v_cndmask_b32_e32 v48, v39, v36, vcc
	v_cmp_lt_u32_e64 s[12:13], v49, v86
	v_cmp_ge_u32_e32 vcc, v48, v87
	s_and_b64 s[8:9], s[12:13], s[8:9]
	s_or_b64 vcc, vcc, s[8:9]
	v_cndmask_b32_e32 v32, v48, v49, vcc
	v_cndmask_b32_e32 v33, v87, v86, vcc
	v_add_u32_e32 v100, 1, v32
	v_add_u32_e32 v33, -1, v33
	v_min_u32_e32 v33, v100, v33
	v_lshl_add_u32 v33, v33, 3, v31
	ds_read_b64 v[36:37], v33
	v_lshl_add_u32 v33, v38, 3, v12
	v_lshl_add_u32 v32, v32, 3, v12
	ds_read_b64 v[4:5], v4
	ds_read_b64 v[21:22], v21
	s_waitcnt lgkmcnt(2)
	v_cndmask_b32_e32 v97, v37, v11, vcc
	v_cndmask_b32_e32 v96, v36, v10, vcc
	;; [unrolled: 1-line block ×5, first 2 shown]
	v_cmp_le_i64_e64 s[12:13], v[98:99], v[96:97]
	v_cndmask_b32_e32 v36, v100, v48, vcc
	v_cmp_lt_u32_e64 s[22:23], v37, v86
	v_cmp_ge_u32_e64 s[8:9], v36, v87
	s_and_b64 s[12:13], s[22:23], s[12:13]
	s_or_b64 s[8:9], s[8:9], s[12:13]
	v_cndmask_b32_e64 v36, v36, v37, s[8:9]
	v_lshl_add_u32 v36, v36, 3, v12
	ds_read_b64 v[38:39], v33
	ds_read_b64 v[32:33], v32
	;; [unrolled: 1-line block ×3, first 2 shown]
	v_cndmask_b32_e32 v49, v11, v18, vcc
	v_cndmask_b32_e32 v48, v10, v17, vcc
	v_cndmask_b32_e64 v18, v97, v99, s[8:9]
	v_cndmask_b32_e64 v17, v96, v98, s[8:9]
.LBB831_194:
	s_or_b64 exec, exec, s[28:29]
	v_and_b32_e32 v10, 0x3c0, v67
	v_or_b32_e32 v11, 32, v10
	; wave barrier
	ds_write_b64 v51, v[0:1]
	s_waitcnt lgkmcnt(5)
	ds_write_b64 v52, v[4:5]
	ds_write_b64 v53, v[13:14]
	;; [unrolled: 1-line block ×4, first 2 shown]
	s_waitcnt lgkmcnt(8)
	ds_write_b64 v64, v[21:22]
	ds_write_b64 v65, v[25:26]
	;; [unrolled: 1-line block ×6, first 2 shown]
	s_waitcnt lgkmcnt(13)
	ds_write_b64 v81, v[38:39]
	ds_write_b64 v82, v[48:49]
	s_waitcnt lgkmcnt(14)
	ds_write_b64 v83, v[32:33]
	ds_write_b64 v84, v[17:18]
	s_waitcnt lgkmcnt(14)
	ds_write_b64 v85, v[36:37]
	v_min_u32_e32 v51, v50, v11
	v_add_u32_e32 v11, 32, v51
	v_min_u32_e32 v52, v50, v11
	v_min_u32_e32 v11, v50, v68
	v_sub_u32_e32 v50, v51, v10
	v_sub_u32_e32 v53, v52, v51
	v_sub_u32_e64 v53, v11, v53 clamp
	v_min_u32_e32 v50, v11, v50
	v_cmp_lt_u32_e32 vcc, v53, v50
	; wave barrier
	s_and_saveexec_b64 s[8:9], vcc
	s_cbranch_execz .LBB831_198
; %bb.195:
	v_lshlrev_b32_e32 v54, 3, v10
	v_lshlrev_b32_e32 v55, 3, v51
	v_add_co_u32_e32 v54, vcc, v31, v54
	v_add_co_u32_e32 v55, vcc, v31, v55
	s_mov_b64 s[12:13], 0
.LBB831_196:                            ; =>This Inner Loop Header: Depth=1
	v_add_u32_e32 v64, v50, v53
	v_lshrrev_b32_e32 v69, 1, v64
	v_xad_u32 v67, v69, -1, v11
	v_lshl_add_u32 v64, v69, 3, v54
	v_lshl_add_u32 v67, v67, 3, v55
	ds_read_b64 v[64:65], v64
	ds_read_b64 v[67:68], v67
	v_add_u32_e32 v70, 1, v69
	s_waitcnt lgkmcnt(0)
	v_cmp_gt_i64_e32 vcc, v[64:65], v[67:68]
	v_cndmask_b32_e32 v50, v50, v69, vcc
	v_cndmask_b32_e32 v53, v70, v53, vcc
	v_cmp_ge_u32_e32 vcc, v53, v50
	s_or_b64 s[12:13], vcc, s[12:13]
	s_andn2_b64 exec, exec, s[12:13]
	s_cbranch_execnz .LBB831_196
; %bb.197:
	s_or_b64 exec, exec, s[12:13]
.LBB831_198:
	s_or_b64 exec, exec, s[8:9]
	v_add_u32_e32 v50, v53, v10
	v_add_u32_e32 v10, v51, v11
	v_sub_u32_e32 v53, v10, v53
	v_cmp_le_u32_e32 vcc, v50, v51
	v_cmp_le_u32_e64 s[8:9], v53, v52
	s_or_b64 s[8:9], vcc, s[8:9]
	s_and_saveexec_b64 s[28:29], s[8:9]
	s_cbranch_execz .LBB831_204
; %bb.199:
	v_cmp_lt_u32_e32 vcc, v50, v51
                                        ; implicit-def: $vgpr4_vgpr5
	s_and_saveexec_b64 s[8:9], vcc
; %bb.200:
	v_lshl_add_u32 v0, v50, 3, v31
	ds_read_b64 v[4:5], v0
; %bb.201:
	s_or_b64 exec, exec, s[8:9]
	v_cmp_ge_u32_e64 s[8:9], v53, v52
	v_cmp_lt_u32_e64 s[12:13], v53, v52
                                        ; implicit-def: $vgpr10_vgpr11
	s_and_saveexec_b64 s[22:23], s[12:13]
; %bb.202:
	v_lshl_add_u32 v0, v53, 3, v31
	ds_read_b64 v[10:11], v0
; %bb.203:
	s_or_b64 exec, exec, s[22:23]
	s_waitcnt lgkmcnt(0)
	v_cmp_le_i64_e64 s[12:13], v[4:5], v[10:11]
	s_and_b64 s[12:13], vcc, s[12:13]
	s_or_b64 vcc, s[8:9], s[12:13]
	v_cndmask_b32_e32 v19, v53, v50, vcc
	v_cndmask_b32_e32 v0, v52, v51, vcc
	v_add_u32_e32 v17, 1, v19
	v_add_u32_e32 v0, -1, v0
	v_min_u32_e32 v0, v17, v0
	v_lshl_add_u32 v0, v0, 3, v31
	ds_read_b64 v[13:14], v0
	v_cndmask_b32_e32 v1, v11, v5, vcc
	v_cndmask_b32_e32 v0, v10, v4, vcc
	;; [unrolled: 1-line block ×4, first 2 shown]
	s_waitcnt lgkmcnt(0)
	v_cndmask_b32_e32 v11, v14, v11, vcc
	v_cndmask_b32_e32 v10, v13, v10, vcc
	;; [unrolled: 1-line block ×4, first 2 shown]
	v_cmp_le_i64_e64 s[8:9], v[15:16], v[10:11]
	v_cmp_lt_u32_e64 s[12:13], v21, v51
	v_cmp_ge_u32_e32 vcc, v20, v52
	s_and_b64 s[8:9], s[12:13], s[8:9]
	s_or_b64 vcc, vcc, s[8:9]
	v_cndmask_b32_e32 v23, v20, v21, vcc
	v_cndmask_b32_e32 v4, v52, v51, vcc
	v_add_u32_e32 v22, 1, v23
	v_add_u32_e32 v4, -1, v4
	v_min_u32_e32 v4, v22, v4
	v_lshl_add_u32 v4, v4, 3, v31
	ds_read_b64 v[17:18], v4
	v_cndmask_b32_e32 v14, v11, v16, vcc
	v_cndmask_b32_e32 v13, v10, v15, vcc
	;; [unrolled: 1-line block ×4, first 2 shown]
	s_waitcnt lgkmcnt(0)
	v_cndmask_b32_e32 v11, v18, v11, vcc
	v_cndmask_b32_e32 v10, v17, v10, vcc
	;; [unrolled: 1-line block ×4, first 2 shown]
	v_cmp_le_i64_e64 s[8:9], v[17:18], v[10:11]
	v_cmp_lt_u32_e64 s[12:13], v25, v51
	v_cmp_ge_u32_e32 vcc, v24, v52
	s_and_b64 s[8:9], s[12:13], s[8:9]
	s_or_b64 vcc, vcc, s[8:9]
	v_cndmask_b32_e32 v26, v24, v25, vcc
	v_cndmask_b32_e32 v15, v52, v51, vcc
	v_add_u32_e32 v27, 1, v26
	v_add_u32_e32 v15, -1, v15
	v_min_u32_e32 v15, v27, v15
	v_lshl_add_u32 v15, v15, 3, v31
	ds_read_b64 v[21:22], v15
	v_lshl_add_u32 v15, v23, 3, v12
	v_lshl_add_u32 v4, v19, 3, v12
	ds_read_b64 v[19:20], v15
	v_cndmask_b32_e32 v16, v11, v18, vcc
	v_cndmask_b32_e32 v15, v10, v17, vcc
	s_waitcnt lgkmcnt(1)
	v_cndmask_b32_e32 v11, v22, v11, vcc
	v_cndmask_b32_e32 v10, v21, v10, vcc
	;; [unrolled: 1-line block ×6, first 2 shown]
	v_cmp_le_i64_e64 s[8:9], v[17:18], v[10:11]
	v_cmp_lt_u32_e64 s[12:13], v27, v51
	v_cmp_ge_u32_e32 vcc, v28, v52
	s_and_b64 s[8:9], s[12:13], s[8:9]
	s_or_b64 vcc, vcc, s[8:9]
	v_cndmask_b32_e32 v29, v28, v27, vcc
	v_cndmask_b32_e32 v21, v52, v51, vcc
	v_add_u32_e32 v30, 1, v29
	v_add_u32_e32 v21, -1, v21
	v_min_u32_e32 v21, v30, v21
	v_lshl_add_u32 v21, v21, 3, v31
	ds_read_b64 v[23:24], v21
	v_lshl_add_u32 v21, v26, 3, v12
	v_cndmask_b32_e32 v26, v11, v18, vcc
	v_cndmask_b32_e32 v25, v10, v17, vcc
	;; [unrolled: 1-line block ×3, first 2 shown]
	s_waitcnt lgkmcnt(0)
	v_cndmask_b32_e32 v11, v24, v11, vcc
	v_cndmask_b32_e32 v10, v23, v10, vcc
	;; [unrolled: 1-line block ×4, first 2 shown]
	v_cmp_le_i64_e64 s[8:9], v[17:18], v[10:11]
	v_cndmask_b32_e32 v32, v30, v28, vcc
	v_cmp_lt_u32_e64 s[12:13], v33, v51
	v_cmp_ge_u32_e32 vcc, v32, v52
	s_and_b64 s[8:9], s[12:13], s[8:9]
	s_or_b64 vcc, vcc, s[8:9]
	v_cndmask_b32_e32 v34, v32, v33, vcc
	v_cndmask_b32_e32 v23, v52, v51, vcc
	v_add_u32_e32 v35, 1, v34
	v_add_u32_e32 v23, -1, v23
	v_min_u32_e32 v23, v35, v23
	v_lshl_add_u32 v23, v23, 3, v31
	ds_read_b64 v[23:24], v23
	v_lshl_add_u32 v27, v29, 3, v12
	ds_read_b64 v[29:30], v27
	v_cndmask_b32_e32 v28, v11, v18, vcc
	v_cndmask_b32_e32 v27, v10, v17, vcc
	s_waitcnt lgkmcnt(1)
	v_cndmask_b32_e32 v11, v24, v11, vcc
	v_cndmask_b32_e32 v10, v23, v10, vcc
	;; [unrolled: 1-line block ×5, first 2 shown]
	v_cmp_le_i64_e64 s[8:9], v[17:18], v[10:11]
	v_cndmask_b32_e32 v36, v35, v32, vcc
	v_cmp_lt_u32_e64 s[12:13], v37, v51
	v_cmp_ge_u32_e32 vcc, v36, v52
	s_and_b64 s[8:9], s[12:13], s[8:9]
	s_or_b64 vcc, vcc, s[8:9]
	v_cndmask_b32_e32 v38, v36, v37, vcc
	v_cndmask_b32_e32 v23, v52, v51, vcc
	v_add_u32_e32 v39, 1, v38
	v_add_u32_e32 v23, -1, v23
	v_min_u32_e32 v23, v39, v23
	v_lshl_add_u32 v23, v23, 3, v31
	ds_read_b64 v[32:33], v23
	v_lshl_add_u32 v23, v34, 3, v12
	ds_read_b64 v[34:35], v23
	v_cndmask_b32_e32 v24, v11, v18, vcc
	v_cndmask_b32_e32 v23, v10, v17, vcc
	s_waitcnt lgkmcnt(1)
	v_cndmask_b32_e32 v11, v33, v11, vcc
	v_cndmask_b32_e32 v10, v32, v10, vcc
	;; [unrolled: 1-line block ×5, first 2 shown]
	v_cmp_le_i64_e64 s[8:9], v[17:18], v[10:11]
	v_cndmask_b32_e32 v48, v39, v36, vcc
	v_cmp_lt_u32_e64 s[12:13], v49, v51
	v_cmp_ge_u32_e32 vcc, v48, v52
	s_and_b64 s[8:9], s[12:13], s[8:9]
	s_or_b64 vcc, vcc, s[8:9]
	v_cndmask_b32_e32 v32, v48, v49, vcc
	v_cndmask_b32_e32 v33, v52, v51, vcc
	v_add_u32_e32 v50, 1, v32
	v_add_u32_e32 v33, -1, v33
	v_min_u32_e32 v33, v50, v33
	v_lshl_add_u32 v31, v33, 3, v31
	ds_read_b64 v[36:37], v31
	v_lshl_add_u32 v31, v38, 3, v12
	ds_read_b64 v[38:39], v31
	;; [unrolled: 2-line block ×3, first 2 shown]
	s_waitcnt lgkmcnt(2)
	v_cndmask_b32_e32 v54, v37, v11, vcc
	v_cndmask_b32_e32 v53, v36, v10, vcc
	;; [unrolled: 1-line block ×5, first 2 shown]
	v_cmp_le_i64_e64 s[12:13], v[64:65], v[53:54]
	v_cndmask_b32_e32 v31, v50, v48, vcc
	v_cmp_lt_u32_e64 s[22:23], v36, v51
	v_cmp_ge_u32_e64 s[8:9], v31, v52
	s_and_b64 s[12:13], s[22:23], s[12:13]
	s_or_b64 s[8:9], s[8:9], s[12:13]
	v_cndmask_b32_e64 v31, v31, v36, s[8:9]
	v_lshl_add_u32 v12, v31, 3, v12
	ds_read_b64 v[4:5], v4
	ds_read_b64 v[21:22], v21
	;; [unrolled: 1-line block ×3, first 2 shown]
	v_cndmask_b32_e32 v49, v11, v18, vcc
	v_cndmask_b32_e32 v48, v10, v17, vcc
	v_cndmask_b32_e64 v18, v54, v65, s[8:9]
	v_cndmask_b32_e64 v17, v53, v64, s[8:9]
.LBB831_204:
	s_or_b64 exec, exec, s[28:29]
	; wave barrier
	s_waitcnt lgkmcnt(0)
	s_barrier
.LBB831_205:
	s_or_b64 exec, exec, s[26:27]
	v_add_co_u32_e32 v2, vcc, v2, v8
	v_addc_co_u32_e32 v3, vcc, v3, v9, vcc
	v_add_co_u32_e32 v2, vcc, v2, v66
	v_addc_co_u32_e32 v3, vcc, 0, v3, vcc
	s_waitcnt lgkmcnt(0)
	; wave barrier
	s_and_saveexec_b64 s[8:9], s[4:5]
	s_cbranch_execnz .LBB831_230
; %bb.206:
	s_or_b64 exec, exec, s[8:9]
	s_and_saveexec_b64 s[8:9], s[6:7]
	s_cbranch_execnz .LBB831_231
.LBB831_207:
	s_or_b64 exec, exec, s[8:9]
	s_and_saveexec_b64 s[8:9], s[20:21]
	s_cbranch_execnz .LBB831_232
.LBB831_208:
	s_or_b64 exec, exec, s[8:9]
	s_and_saveexec_b64 s[8:9], s[10:11]
	s_cbranch_execnz .LBB831_233
.LBB831_209:
	s_or_b64 exec, exec, s[8:9]
	s_and_saveexec_b64 s[8:9], s[24:25]
	s_cbranch_execnz .LBB831_234
.LBB831_210:
	s_or_b64 exec, exec, s[8:9]
	s_and_saveexec_b64 s[8:9], s[14:15]
	s_cbranch_execnz .LBB831_235
.LBB831_211:
	s_or_b64 exec, exec, s[8:9]
	s_and_saveexec_b64 s[8:9], s[16:17]
	s_cbranch_execnz .LBB831_236
.LBB831_212:
	s_or_b64 exec, exec, s[8:9]
	s_and_saveexec_b64 s[8:9], s[18:19]
	s_cbranch_execz .LBB831_214
.LBB831_213:
	s_waitcnt vmcnt(0)
	flat_store_dwordx2 v[2:3], v[17:18] offset:56
.LBB831_214:
	s_or_b64 exec, exec, s[8:9]
	s_waitcnt vmcnt(0)
	v_add_co_u32_e32 v0, vcc, v6, v8
	v_addc_co_u32_e32 v1, vcc, v7, v9, vcc
	v_add_co_u32_e32 v0, vcc, v0, v66
	v_addc_co_u32_e32 v1, vcc, 0, v1, vcc
	; wave barrier
	s_and_saveexec_b64 s[8:9], s[4:5]
	s_cbranch_execnz .LBB831_237
; %bb.215:
	s_or_b64 exec, exec, s[8:9]
	s_and_saveexec_b64 s[4:5], s[6:7]
	s_cbranch_execnz .LBB831_238
.LBB831_216:
	s_or_b64 exec, exec, s[4:5]
	s_and_saveexec_b64 s[4:5], s[20:21]
	s_cbranch_execnz .LBB831_239
.LBB831_217:
	s_or_b64 exec, exec, s[4:5]
	s_and_saveexec_b64 s[4:5], s[10:11]
	s_cbranch_execnz .LBB831_240
.LBB831_218:
	s_or_b64 exec, exec, s[4:5]
	s_and_saveexec_b64 s[4:5], s[24:25]
	s_cbranch_execnz .LBB831_241
.LBB831_219:
	s_or_b64 exec, exec, s[4:5]
	s_and_saveexec_b64 s[4:5], s[14:15]
	s_cbranch_execnz .LBB831_242
.LBB831_220:
	s_or_b64 exec, exec, s[4:5]
	s_and_saveexec_b64 s[4:5], s[16:17]
	s_cbranch_execnz .LBB831_243
.LBB831_221:
	s_or_b64 exec, exec, s[4:5]
	s_and_saveexec_b64 s[4:5], s[18:19]
	s_cbranch_execnz .LBB831_244
.LBB831_222:
	s_or_b64 exec, exec, s[4:5]
	s_waitcnt vmcnt(0) lgkmcnt(0)
	s_setpc_b64 s[30:31]
.LBB831_223:
	flat_load_dwordx2 v[4:5], v[50:51]
	s_or_b64 exec, exec, s[22:23]
                                        ; implicit-def: $vgpr19_vgpr20
	s_and_saveexec_b64 s[22:23], s[6:7]
	s_cbranch_execz .LBB831_18
.LBB831_224:
	flat_load_dwordx2 v[19:20], v[50:51] offset:8
	s_or_b64 exec, exec, s[22:23]
                                        ; implicit-def: $vgpr21_vgpr22
	s_and_saveexec_b64 s[22:23], s[20:21]
	s_cbranch_execz .LBB831_19
.LBB831_225:
	flat_load_dwordx2 v[21:22], v[50:51] offset:16
	s_or_b64 exec, exec, s[22:23]
                                        ; implicit-def: $vgpr29_vgpr30
	s_and_saveexec_b64 s[22:23], s[10:11]
	s_cbranch_execz .LBB831_20
.LBB831_226:
	flat_load_dwordx2 v[29:30], v[50:51] offset:24
	s_or_b64 exec, exec, s[22:23]
                                        ; implicit-def: $vgpr34_vgpr35
	s_and_saveexec_b64 s[22:23], s[24:25]
	s_cbranch_execz .LBB831_21
.LBB831_227:
	flat_load_dwordx2 v[34:35], v[50:51] offset:32
	s_or_b64 exec, exec, s[22:23]
                                        ; implicit-def: $vgpr38_vgpr39
	s_and_saveexec_b64 s[22:23], s[14:15]
	s_cbranch_execz .LBB831_22
.LBB831_228:
	flat_load_dwordx2 v[38:39], v[50:51] offset:40
	s_or_b64 exec, exec, s[22:23]
                                        ; implicit-def: $vgpr32_vgpr33
	s_and_saveexec_b64 s[22:23], s[16:17]
	s_cbranch_execz .LBB831_23
.LBB831_229:
	flat_load_dwordx2 v[32:33], v[50:51] offset:48
	s_or_b64 exec, exec, s[22:23]
                                        ; implicit-def: $vgpr36_vgpr37
	s_and_saveexec_b64 s[22:23], s[18:19]
	s_cbranch_execnz .LBB831_24
	s_branch .LBB831_25
.LBB831_230:
	s_waitcnt vmcnt(0)
	flat_store_dwordx2 v[2:3], v[0:1]
	s_or_b64 exec, exec, s[8:9]
	s_and_saveexec_b64 s[8:9], s[6:7]
	s_cbranch_execz .LBB831_207
.LBB831_231:
	s_waitcnt vmcnt(0)
	flat_store_dwordx2 v[2:3], v[13:14] offset:8
	s_or_b64 exec, exec, s[8:9]
	s_and_saveexec_b64 s[8:9], s[20:21]
	s_cbranch_execz .LBB831_208
.LBB831_232:
	s_waitcnt vmcnt(0)
	flat_store_dwordx2 v[2:3], v[15:16] offset:16
	s_or_b64 exec, exec, s[8:9]
	s_and_saveexec_b64 s[8:9], s[10:11]
	s_cbranch_execz .LBB831_209
.LBB831_233:
	s_waitcnt vmcnt(0)
	flat_store_dwordx2 v[2:3], v[25:26] offset:24
	s_or_b64 exec, exec, s[8:9]
	s_and_saveexec_b64 s[8:9], s[24:25]
	s_cbranch_execz .LBB831_210
.LBB831_234:
	s_waitcnt vmcnt(0)
	flat_store_dwordx2 v[2:3], v[27:28] offset:32
	s_or_b64 exec, exec, s[8:9]
	s_and_saveexec_b64 s[8:9], s[14:15]
	s_cbranch_execz .LBB831_211
.LBB831_235:
	s_waitcnt vmcnt(0)
	flat_store_dwordx2 v[2:3], v[23:24] offset:40
	s_or_b64 exec, exec, s[8:9]
	s_and_saveexec_b64 s[8:9], s[16:17]
	s_cbranch_execz .LBB831_212
.LBB831_236:
	s_waitcnt vmcnt(0)
	flat_store_dwordx2 v[2:3], v[48:49] offset:48
	s_or_b64 exec, exec, s[8:9]
	s_and_saveexec_b64 s[8:9], s[18:19]
	s_cbranch_execnz .LBB831_213
	s_branch .LBB831_214
.LBB831_237:
	flat_store_dwordx2 v[0:1], v[4:5]
	s_or_b64 exec, exec, s[8:9]
	s_and_saveexec_b64 s[4:5], s[6:7]
	s_cbranch_execz .LBB831_216
.LBB831_238:
	flat_store_dwordx2 v[0:1], v[19:20] offset:8
	s_or_b64 exec, exec, s[4:5]
	s_and_saveexec_b64 s[4:5], s[20:21]
	s_cbranch_execz .LBB831_217
.LBB831_239:
	flat_store_dwordx2 v[0:1], v[21:22] offset:16
	s_or_b64 exec, exec, s[4:5]
	s_and_saveexec_b64 s[4:5], s[10:11]
	s_cbranch_execz .LBB831_218
.LBB831_240:
	flat_store_dwordx2 v[0:1], v[29:30] offset:24
	s_or_b64 exec, exec, s[4:5]
	s_and_saveexec_b64 s[4:5], s[24:25]
	s_cbranch_execz .LBB831_219
.LBB831_241:
	flat_store_dwordx2 v[0:1], v[34:35] offset:32
	s_or_b64 exec, exec, s[4:5]
	s_and_saveexec_b64 s[4:5], s[14:15]
	s_cbranch_execz .LBB831_220
.LBB831_242:
	flat_store_dwordx2 v[0:1], v[38:39] offset:40
	s_or_b64 exec, exec, s[4:5]
	s_and_saveexec_b64 s[4:5], s[16:17]
	s_cbranch_execz .LBB831_221
.LBB831_243:
	flat_store_dwordx2 v[0:1], v[32:33] offset:48
	s_or_b64 exec, exec, s[4:5]
	s_and_saveexec_b64 s[4:5], s[18:19]
	s_cbranch_execz .LBB831_222
.LBB831_244:
	flat_store_dwordx2 v[0:1], v[36:37] offset:56
	s_or_b64 exec, exec, s[4:5]
	s_waitcnt vmcnt(0) lgkmcnt(0)
	s_setpc_b64 s[30:31]
.Lfunc_end831:
	.size	_ZN7rocprim17ROCPRIM_400000_NS6detail26segmented_warp_sort_helperINS1_20WarpSortHelperConfigILj8ELj8ELj256EEEllLi256ELb0EvE4sortIPKlPlS8_S9_EEvT_T0_T1_T2_jjjjRNS5_12storage_typeE, .Lfunc_end831-_ZN7rocprim17ROCPRIM_400000_NS6detail26segmented_warp_sort_helperINS1_20WarpSortHelperConfigILj8ELj8ELj256EEEllLi256ELb0EvE4sortIPKlPlS8_S9_EEvT_T0_T1_T2_jjjjRNS5_12storage_typeE
                                        ; -- End function
	.set .L_ZN7rocprim17ROCPRIM_400000_NS6detail26segmented_warp_sort_helperINS1_20WarpSortHelperConfigILj8ELj8ELj256EEEllLi256ELb0EvE4sortIPKlPlS8_S9_EEvT_T0_T1_T2_jjjjRNS5_12storage_typeE.num_vgpr, 116
	.set .L_ZN7rocprim17ROCPRIM_400000_NS6detail26segmented_warp_sort_helperINS1_20WarpSortHelperConfigILj8ELj8ELj256EEEllLi256ELb0EvE4sortIPKlPlS8_S9_EEvT_T0_T1_T2_jjjjRNS5_12storage_typeE.num_agpr, 0
	.set .L_ZN7rocprim17ROCPRIM_400000_NS6detail26segmented_warp_sort_helperINS1_20WarpSortHelperConfigILj8ELj8ELj256EEEllLi256ELb0EvE4sortIPKlPlS8_S9_EEvT_T0_T1_T2_jjjjRNS5_12storage_typeE.numbered_sgpr, 44
	.set .L_ZN7rocprim17ROCPRIM_400000_NS6detail26segmented_warp_sort_helperINS1_20WarpSortHelperConfigILj8ELj8ELj256EEEllLi256ELb0EvE4sortIPKlPlS8_S9_EEvT_T0_T1_T2_jjjjRNS5_12storage_typeE.num_named_barrier, 0
	.set .L_ZN7rocprim17ROCPRIM_400000_NS6detail26segmented_warp_sort_helperINS1_20WarpSortHelperConfigILj8ELj8ELj256EEEllLi256ELb0EvE4sortIPKlPlS8_S9_EEvT_T0_T1_T2_jjjjRNS5_12storage_typeE.private_seg_size, 0
	.set .L_ZN7rocprim17ROCPRIM_400000_NS6detail26segmented_warp_sort_helperINS1_20WarpSortHelperConfigILj8ELj8ELj256EEEllLi256ELb0EvE4sortIPKlPlS8_S9_EEvT_T0_T1_T2_jjjjRNS5_12storage_typeE.uses_vcc, 1
	.set .L_ZN7rocprim17ROCPRIM_400000_NS6detail26segmented_warp_sort_helperINS1_20WarpSortHelperConfigILj8ELj8ELj256EEEllLi256ELb0EvE4sortIPKlPlS8_S9_EEvT_T0_T1_T2_jjjjRNS5_12storage_typeE.uses_flat_scratch, 0
	.set .L_ZN7rocprim17ROCPRIM_400000_NS6detail26segmented_warp_sort_helperINS1_20WarpSortHelperConfigILj8ELj8ELj256EEEllLi256ELb0EvE4sortIPKlPlS8_S9_EEvT_T0_T1_T2_jjjjRNS5_12storage_typeE.has_dyn_sized_stack, 0
	.set .L_ZN7rocprim17ROCPRIM_400000_NS6detail26segmented_warp_sort_helperINS1_20WarpSortHelperConfigILj8ELj8ELj256EEEllLi256ELb0EvE4sortIPKlPlS8_S9_EEvT_T0_T1_T2_jjjjRNS5_12storage_typeE.has_recursion, 0
	.set .L_ZN7rocprim17ROCPRIM_400000_NS6detail26segmented_warp_sort_helperINS1_20WarpSortHelperConfigILj8ELj8ELj256EEEllLi256ELb0EvE4sortIPKlPlS8_S9_EEvT_T0_T1_T2_jjjjRNS5_12storage_typeE.has_indirect_call, 0
	.section	.AMDGPU.csdata,"",@progbits
; Function info:
; codeLenInByte = 13824
; TotalNumSgprs: 48
; NumVgprs: 116
; ScratchSize: 0
; MemoryBound: 0
	.section	.text._ZN7rocprim17ROCPRIM_400000_NS6detail17trampoline_kernelINS0_14default_configENS1_36segmented_radix_sort_config_selectorIllEEZNS1_25segmented_radix_sort_implIS3_Lb0EPKlPlS8_S9_N2at6native12_GLOBAL__N_18offset_tEEE10hipError_tPvRmT1_PNSt15iterator_traitsISH_E10value_typeET2_T3_PNSI_ISN_E10value_typeET4_jRbjT5_ST_jjP12ihipStream_tbEUlT_E1_NS1_11comp_targetILNS1_3genE2ELNS1_11target_archE906ELNS1_3gpuE6ELNS1_3repE0EEENS1_59segmented_radix_sort_warp_sort_small_config_static_selectorELNS0_4arch9wavefront6targetE1EEEvSH_,"axG",@progbits,_ZN7rocprim17ROCPRIM_400000_NS6detail17trampoline_kernelINS0_14default_configENS1_36segmented_radix_sort_config_selectorIllEEZNS1_25segmented_radix_sort_implIS3_Lb0EPKlPlS8_S9_N2at6native12_GLOBAL__N_18offset_tEEE10hipError_tPvRmT1_PNSt15iterator_traitsISH_E10value_typeET2_T3_PNSI_ISN_E10value_typeET4_jRbjT5_ST_jjP12ihipStream_tbEUlT_E1_NS1_11comp_targetILNS1_3genE2ELNS1_11target_archE906ELNS1_3gpuE6ELNS1_3repE0EEENS1_59segmented_radix_sort_warp_sort_small_config_static_selectorELNS0_4arch9wavefront6targetE1EEEvSH_,comdat
	.globl	_ZN7rocprim17ROCPRIM_400000_NS6detail17trampoline_kernelINS0_14default_configENS1_36segmented_radix_sort_config_selectorIllEEZNS1_25segmented_radix_sort_implIS3_Lb0EPKlPlS8_S9_N2at6native12_GLOBAL__N_18offset_tEEE10hipError_tPvRmT1_PNSt15iterator_traitsISH_E10value_typeET2_T3_PNSI_ISN_E10value_typeET4_jRbjT5_ST_jjP12ihipStream_tbEUlT_E1_NS1_11comp_targetILNS1_3genE2ELNS1_11target_archE906ELNS1_3gpuE6ELNS1_3repE0EEENS1_59segmented_radix_sort_warp_sort_small_config_static_selectorELNS0_4arch9wavefront6targetE1EEEvSH_ ; -- Begin function _ZN7rocprim17ROCPRIM_400000_NS6detail17trampoline_kernelINS0_14default_configENS1_36segmented_radix_sort_config_selectorIllEEZNS1_25segmented_radix_sort_implIS3_Lb0EPKlPlS8_S9_N2at6native12_GLOBAL__N_18offset_tEEE10hipError_tPvRmT1_PNSt15iterator_traitsISH_E10value_typeET2_T3_PNSI_ISN_E10value_typeET4_jRbjT5_ST_jjP12ihipStream_tbEUlT_E1_NS1_11comp_targetILNS1_3genE2ELNS1_11target_archE906ELNS1_3gpuE6ELNS1_3repE0EEENS1_59segmented_radix_sort_warp_sort_small_config_static_selectorELNS0_4arch9wavefront6targetE1EEEvSH_
	.p2align	8
	.type	_ZN7rocprim17ROCPRIM_400000_NS6detail17trampoline_kernelINS0_14default_configENS1_36segmented_radix_sort_config_selectorIllEEZNS1_25segmented_radix_sort_implIS3_Lb0EPKlPlS8_S9_N2at6native12_GLOBAL__N_18offset_tEEE10hipError_tPvRmT1_PNSt15iterator_traitsISH_E10value_typeET2_T3_PNSI_ISN_E10value_typeET4_jRbjT5_ST_jjP12ihipStream_tbEUlT_E1_NS1_11comp_targetILNS1_3genE2ELNS1_11target_archE906ELNS1_3gpuE6ELNS1_3repE0EEENS1_59segmented_radix_sort_warp_sort_small_config_static_selectorELNS0_4arch9wavefront6targetE1EEEvSH_,@function
_ZN7rocprim17ROCPRIM_400000_NS6detail17trampoline_kernelINS0_14default_configENS1_36segmented_radix_sort_config_selectorIllEEZNS1_25segmented_radix_sort_implIS3_Lb0EPKlPlS8_S9_N2at6native12_GLOBAL__N_18offset_tEEE10hipError_tPvRmT1_PNSt15iterator_traitsISH_E10value_typeET2_T3_PNSI_ISN_E10value_typeET4_jRbjT5_ST_jjP12ihipStream_tbEUlT_E1_NS1_11comp_targetILNS1_3genE2ELNS1_11target_archE906ELNS1_3gpuE6ELNS1_3repE0EEENS1_59segmented_radix_sort_warp_sort_small_config_static_selectorELNS0_4arch9wavefront6targetE1EEEvSH_: ; @_ZN7rocprim17ROCPRIM_400000_NS6detail17trampoline_kernelINS0_14default_configENS1_36segmented_radix_sort_config_selectorIllEEZNS1_25segmented_radix_sort_implIS3_Lb0EPKlPlS8_S9_N2at6native12_GLOBAL__N_18offset_tEEE10hipError_tPvRmT1_PNSt15iterator_traitsISH_E10value_typeET2_T3_PNSI_ISN_E10value_typeET4_jRbjT5_ST_jjP12ihipStream_tbEUlT_E1_NS1_11comp_targetILNS1_3genE2ELNS1_11target_archE906ELNS1_3gpuE6ELNS1_3repE0EEENS1_59segmented_radix_sort_warp_sort_small_config_static_selectorELNS0_4arch9wavefront6targetE1EEEvSH_
; %bb.0:
	s_add_u32 s0, s0, s8
	s_load_dword s8, s[4:5], 0x64
	s_addc_u32 s1, s1, 0
	s_mov_b32 s32, 0
	s_waitcnt lgkmcnt(0)
	s_lshr_b32 s9, s8, 16
	s_and_b32 s8, s8, 0xffff
	v_mad_u32_u24 v3, v2, s9, v1
	v_mad_u64_u32 v[3:4], s[8:9], v3, s8, v[0:1]
	s_load_dword s8, s[4:5], 0x34
	v_lshrrev_b32_e32 v3, 3, v3
	v_lshl_add_u32 v3, s6, 5, v3
	s_waitcnt lgkmcnt(0)
	v_cmp_gt_u32_e32 vcc, s8, v3
	s_and_saveexec_b64 s[8:9], vcc
	s_cbranch_execz .LBB832_6
; %bb.1:
	s_load_dwordx2 s[12:13], s[4:5], 0x38
	s_load_dwordx4 s[8:11], s[4:5], 0x40
	v_mov_b32_e32 v4, 0
	v_lshlrev_b64 v[3:4], 2, v[3:4]
	s_waitcnt lgkmcnt(0)
	v_mov_b32_e32 v5, s13
	v_sub_co_u32_e32 v3, vcc, s12, v3
	v_subb_co_u32_e32 v4, vcc, v5, v4, vcc
	global_load_dword v3, v[3:4], off offset:-4
	s_waitcnt vmcnt(0)
	v_add_u32_e32 v4, s9, v3
	v_add_u32_e32 v3, s11, v3
	v_mul_lo_u32 v40, v4, s8
	v_mul_lo_u32 v41, v3, s10
	v_cmp_gt_u32_e32 vcc, v41, v40
	s_and_b64 exec, exec, vcc
	s_cbranch_execz .LBB832_6
; %bb.2:
	s_load_dword s10, s[4:5], 0x30
	s_load_dwordx4 s[36:39], s[4:5], 0x20
	s_load_dwordx8 s[44:51], s[4:5], 0x0
	s_load_dwordx2 s[34:35], s[4:5], 0x50
	s_mov_b64 s[8:9], -1
	s_waitcnt lgkmcnt(0)
	s_bitcmp0_b32 s10, 0
	v_lshlrev_b32_e32 v43, 20, v2
	v_lshlrev_b32_e32 v44, 10, v1
	s_cbranch_scc0 .LBB832_4
; %bb.3:
	s_add_u32 s8, s4, 0x58
	s_mov_b64 s[10:11], src_shared_base
	s_addc_u32 s9, s5, 0
	s_getpc_b64 s[14:15]
	s_add_u32 s14, s14, _ZN7rocprim17ROCPRIM_400000_NS6detail26segmented_warp_sort_helperINS1_20WarpSortHelperConfigILj8ELj8ELj256EEEllLi256ELb0EvE4sortIPKlPlS8_S9_EEvT_T0_T1_T2_jjjjRNS5_12storage_typeE@rel32@lo+4
	s_addc_u32 s15, s15, _ZN7rocprim17ROCPRIM_400000_NS6detail26segmented_warp_sort_helperINS1_20WarpSortHelperConfigILj8ELj8ELj256EEEllLi256ELb0EvE4sortIPKlPlS8_S9_EEvT_T0_T1_T2_jjjjRNS5_12storage_typeE@rel32@hi+12
	v_or3_b32 v31, v0, v44, v43
	s_mov_b32 s12, s6
	s_mov_b32 s13, s7
	v_mov_b32_e32 v42, v0
	v_mov_b32_e32 v0, s44
	;; [unrolled: 1-line block ×15, first 2 shown]
	s_mov_b64 s[36:37], s[4:5]
	s_mov_b32 s46, s7
	s_mov_b32 s33, s6
	s_swappc_b64 s[30:31], s[14:15]
	v_mov_b32_e32 v0, v42
	s_mov_b32 s6, s33
	s_mov_b32 s7, s46
	s_mov_b64 s[4:5], s[36:37]
	s_mov_b64 s[8:9], 0
.LBB832_4:
	s_andn2_b64 vcc, exec, s[8:9]
	s_cbranch_vccnz .LBB832_6
; %bb.5:
	s_add_u32 s8, s4, 0x58
	s_mov_b64 s[10:11], src_shared_base
	s_addc_u32 s9, s5, 0
	s_getpc_b64 s[4:5]
	s_add_u32 s4, s4, _ZN7rocprim17ROCPRIM_400000_NS6detail26segmented_warp_sort_helperINS1_20WarpSortHelperConfigILj8ELj8ELj256EEEllLi256ELb0EvE4sortIPKlPlS8_S9_EEvT_T0_T1_T2_jjjjRNS5_12storage_typeE@rel32@lo+4
	s_addc_u32 s5, s5, _ZN7rocprim17ROCPRIM_400000_NS6detail26segmented_warp_sort_helperINS1_20WarpSortHelperConfigILj8ELj8ELj256EEEllLi256ELb0EvE4sortIPKlPlS8_S9_EEvT_T0_T1_T2_jjjjRNS5_12storage_typeE@rel32@hi+12
	v_or3_b32 v31, v0, v44, v43
	s_mov_b32 s12, s6
	s_mov_b32 s13, s7
	v_mov_b32_e32 v0, s44
	v_mov_b32_e32 v1, s45
	;; [unrolled: 1-line block ×14, first 2 shown]
	s_swappc_b64 s[30:31], s[4:5]
.LBB832_6:
	s_endpgm
	.section	.rodata,"a",@progbits
	.p2align	6, 0x0
	.amdhsa_kernel _ZN7rocprim17ROCPRIM_400000_NS6detail17trampoline_kernelINS0_14default_configENS1_36segmented_radix_sort_config_selectorIllEEZNS1_25segmented_radix_sort_implIS3_Lb0EPKlPlS8_S9_N2at6native12_GLOBAL__N_18offset_tEEE10hipError_tPvRmT1_PNSt15iterator_traitsISH_E10value_typeET2_T3_PNSI_ISN_E10value_typeET4_jRbjT5_ST_jjP12ihipStream_tbEUlT_E1_NS1_11comp_targetILNS1_3genE2ELNS1_11target_archE906ELNS1_3gpuE6ELNS1_3repE0EEENS1_59segmented_radix_sort_warp_sort_small_config_static_selectorELNS0_4arch9wavefront6targetE1EEEvSH_
		.amdhsa_group_segment_fixed_size 32768
		.amdhsa_private_segment_fixed_size 0
		.amdhsa_kernarg_size 344
		.amdhsa_user_sgpr_count 6
		.amdhsa_user_sgpr_private_segment_buffer 1
		.amdhsa_user_sgpr_dispatch_ptr 0
		.amdhsa_user_sgpr_queue_ptr 0
		.amdhsa_user_sgpr_kernarg_segment_ptr 1
		.amdhsa_user_sgpr_dispatch_id 0
		.amdhsa_user_sgpr_flat_scratch_init 0
		.amdhsa_user_sgpr_private_segment_size 0
		.amdhsa_uses_dynamic_stack 0
		.amdhsa_system_sgpr_private_segment_wavefront_offset 0
		.amdhsa_system_sgpr_workgroup_id_x 1
		.amdhsa_system_sgpr_workgroup_id_y 1
		.amdhsa_system_sgpr_workgroup_id_z 0
		.amdhsa_system_sgpr_workgroup_info 0
		.amdhsa_system_vgpr_workitem_id 2
		.amdhsa_next_free_vgpr 116
		.amdhsa_next_free_sgpr 98
		.amdhsa_reserve_vcc 1
		.amdhsa_reserve_flat_scratch 0
		.amdhsa_float_round_mode_32 0
		.amdhsa_float_round_mode_16_64 0
		.amdhsa_float_denorm_mode_32 3
		.amdhsa_float_denorm_mode_16_64 3
		.amdhsa_dx10_clamp 1
		.amdhsa_ieee_mode 1
		.amdhsa_fp16_overflow 0
		.amdhsa_exception_fp_ieee_invalid_op 0
		.amdhsa_exception_fp_denorm_src 0
		.amdhsa_exception_fp_ieee_div_zero 0
		.amdhsa_exception_fp_ieee_overflow 0
		.amdhsa_exception_fp_ieee_underflow 0
		.amdhsa_exception_fp_ieee_inexact 0
		.amdhsa_exception_int_div_zero 0
	.end_amdhsa_kernel
	.section	.text._ZN7rocprim17ROCPRIM_400000_NS6detail17trampoline_kernelINS0_14default_configENS1_36segmented_radix_sort_config_selectorIllEEZNS1_25segmented_radix_sort_implIS3_Lb0EPKlPlS8_S9_N2at6native12_GLOBAL__N_18offset_tEEE10hipError_tPvRmT1_PNSt15iterator_traitsISH_E10value_typeET2_T3_PNSI_ISN_E10value_typeET4_jRbjT5_ST_jjP12ihipStream_tbEUlT_E1_NS1_11comp_targetILNS1_3genE2ELNS1_11target_archE906ELNS1_3gpuE6ELNS1_3repE0EEENS1_59segmented_radix_sort_warp_sort_small_config_static_selectorELNS0_4arch9wavefront6targetE1EEEvSH_,"axG",@progbits,_ZN7rocprim17ROCPRIM_400000_NS6detail17trampoline_kernelINS0_14default_configENS1_36segmented_radix_sort_config_selectorIllEEZNS1_25segmented_radix_sort_implIS3_Lb0EPKlPlS8_S9_N2at6native12_GLOBAL__N_18offset_tEEE10hipError_tPvRmT1_PNSt15iterator_traitsISH_E10value_typeET2_T3_PNSI_ISN_E10value_typeET4_jRbjT5_ST_jjP12ihipStream_tbEUlT_E1_NS1_11comp_targetILNS1_3genE2ELNS1_11target_archE906ELNS1_3gpuE6ELNS1_3repE0EEENS1_59segmented_radix_sort_warp_sort_small_config_static_selectorELNS0_4arch9wavefront6targetE1EEEvSH_,comdat
.Lfunc_end832:
	.size	_ZN7rocprim17ROCPRIM_400000_NS6detail17trampoline_kernelINS0_14default_configENS1_36segmented_radix_sort_config_selectorIllEEZNS1_25segmented_radix_sort_implIS3_Lb0EPKlPlS8_S9_N2at6native12_GLOBAL__N_18offset_tEEE10hipError_tPvRmT1_PNSt15iterator_traitsISH_E10value_typeET2_T3_PNSI_ISN_E10value_typeET4_jRbjT5_ST_jjP12ihipStream_tbEUlT_E1_NS1_11comp_targetILNS1_3genE2ELNS1_11target_archE906ELNS1_3gpuE6ELNS1_3repE0EEENS1_59segmented_radix_sort_warp_sort_small_config_static_selectorELNS0_4arch9wavefront6targetE1EEEvSH_, .Lfunc_end832-_ZN7rocprim17ROCPRIM_400000_NS6detail17trampoline_kernelINS0_14default_configENS1_36segmented_radix_sort_config_selectorIllEEZNS1_25segmented_radix_sort_implIS3_Lb0EPKlPlS8_S9_N2at6native12_GLOBAL__N_18offset_tEEE10hipError_tPvRmT1_PNSt15iterator_traitsISH_E10value_typeET2_T3_PNSI_ISN_E10value_typeET4_jRbjT5_ST_jjP12ihipStream_tbEUlT_E1_NS1_11comp_targetILNS1_3genE2ELNS1_11target_archE906ELNS1_3gpuE6ELNS1_3repE0EEENS1_59segmented_radix_sort_warp_sort_small_config_static_selectorELNS0_4arch9wavefront6targetE1EEEvSH_
                                        ; -- End function
	.set _ZN7rocprim17ROCPRIM_400000_NS6detail17trampoline_kernelINS0_14default_configENS1_36segmented_radix_sort_config_selectorIllEEZNS1_25segmented_radix_sort_implIS3_Lb0EPKlPlS8_S9_N2at6native12_GLOBAL__N_18offset_tEEE10hipError_tPvRmT1_PNSt15iterator_traitsISH_E10value_typeET2_T3_PNSI_ISN_E10value_typeET4_jRbjT5_ST_jjP12ihipStream_tbEUlT_E1_NS1_11comp_targetILNS1_3genE2ELNS1_11target_archE906ELNS1_3gpuE6ELNS1_3repE0EEENS1_59segmented_radix_sort_warp_sort_small_config_static_selectorELNS0_4arch9wavefront6targetE1EEEvSH_.num_vgpr, max(45, .L_ZN7rocprim17ROCPRIM_400000_NS6detail26segmented_warp_sort_helperINS1_20WarpSortHelperConfigILj8ELj8ELj256EEEllLi256ELb0EvE4sortIPKlPlS8_S9_EEvT_T0_T1_T2_jjjjRNS5_12storage_typeE.num_vgpr)
	.set _ZN7rocprim17ROCPRIM_400000_NS6detail17trampoline_kernelINS0_14default_configENS1_36segmented_radix_sort_config_selectorIllEEZNS1_25segmented_radix_sort_implIS3_Lb0EPKlPlS8_S9_N2at6native12_GLOBAL__N_18offset_tEEE10hipError_tPvRmT1_PNSt15iterator_traitsISH_E10value_typeET2_T3_PNSI_ISN_E10value_typeET4_jRbjT5_ST_jjP12ihipStream_tbEUlT_E1_NS1_11comp_targetILNS1_3genE2ELNS1_11target_archE906ELNS1_3gpuE6ELNS1_3repE0EEENS1_59segmented_radix_sort_warp_sort_small_config_static_selectorELNS0_4arch9wavefront6targetE1EEEvSH_.num_agpr, max(0, .L_ZN7rocprim17ROCPRIM_400000_NS6detail26segmented_warp_sort_helperINS1_20WarpSortHelperConfigILj8ELj8ELj256EEEllLi256ELb0EvE4sortIPKlPlS8_S9_EEvT_T0_T1_T2_jjjjRNS5_12storage_typeE.num_agpr)
	.set _ZN7rocprim17ROCPRIM_400000_NS6detail17trampoline_kernelINS0_14default_configENS1_36segmented_radix_sort_config_selectorIllEEZNS1_25segmented_radix_sort_implIS3_Lb0EPKlPlS8_S9_N2at6native12_GLOBAL__N_18offset_tEEE10hipError_tPvRmT1_PNSt15iterator_traitsISH_E10value_typeET2_T3_PNSI_ISN_E10value_typeET4_jRbjT5_ST_jjP12ihipStream_tbEUlT_E1_NS1_11comp_targetILNS1_3genE2ELNS1_11target_archE906ELNS1_3gpuE6ELNS1_3repE0EEENS1_59segmented_radix_sort_warp_sort_small_config_static_selectorELNS0_4arch9wavefront6targetE1EEEvSH_.numbered_sgpr, max(52, .L_ZN7rocprim17ROCPRIM_400000_NS6detail26segmented_warp_sort_helperINS1_20WarpSortHelperConfigILj8ELj8ELj256EEEllLi256ELb0EvE4sortIPKlPlS8_S9_EEvT_T0_T1_T2_jjjjRNS5_12storage_typeE.numbered_sgpr)
	.set _ZN7rocprim17ROCPRIM_400000_NS6detail17trampoline_kernelINS0_14default_configENS1_36segmented_radix_sort_config_selectorIllEEZNS1_25segmented_radix_sort_implIS3_Lb0EPKlPlS8_S9_N2at6native12_GLOBAL__N_18offset_tEEE10hipError_tPvRmT1_PNSt15iterator_traitsISH_E10value_typeET2_T3_PNSI_ISN_E10value_typeET4_jRbjT5_ST_jjP12ihipStream_tbEUlT_E1_NS1_11comp_targetILNS1_3genE2ELNS1_11target_archE906ELNS1_3gpuE6ELNS1_3repE0EEENS1_59segmented_radix_sort_warp_sort_small_config_static_selectorELNS0_4arch9wavefront6targetE1EEEvSH_.num_named_barrier, max(0, .L_ZN7rocprim17ROCPRIM_400000_NS6detail26segmented_warp_sort_helperINS1_20WarpSortHelperConfigILj8ELj8ELj256EEEllLi256ELb0EvE4sortIPKlPlS8_S9_EEvT_T0_T1_T2_jjjjRNS5_12storage_typeE.num_named_barrier)
	.set _ZN7rocprim17ROCPRIM_400000_NS6detail17trampoline_kernelINS0_14default_configENS1_36segmented_radix_sort_config_selectorIllEEZNS1_25segmented_radix_sort_implIS3_Lb0EPKlPlS8_S9_N2at6native12_GLOBAL__N_18offset_tEEE10hipError_tPvRmT1_PNSt15iterator_traitsISH_E10value_typeET2_T3_PNSI_ISN_E10value_typeET4_jRbjT5_ST_jjP12ihipStream_tbEUlT_E1_NS1_11comp_targetILNS1_3genE2ELNS1_11target_archE906ELNS1_3gpuE6ELNS1_3repE0EEENS1_59segmented_radix_sort_warp_sort_small_config_static_selectorELNS0_4arch9wavefront6targetE1EEEvSH_.private_seg_size, 0+max(.L_ZN7rocprim17ROCPRIM_400000_NS6detail26segmented_warp_sort_helperINS1_20WarpSortHelperConfigILj8ELj8ELj256EEEllLi256ELb0EvE4sortIPKlPlS8_S9_EEvT_T0_T1_T2_jjjjRNS5_12storage_typeE.private_seg_size)
	.set _ZN7rocprim17ROCPRIM_400000_NS6detail17trampoline_kernelINS0_14default_configENS1_36segmented_radix_sort_config_selectorIllEEZNS1_25segmented_radix_sort_implIS3_Lb0EPKlPlS8_S9_N2at6native12_GLOBAL__N_18offset_tEEE10hipError_tPvRmT1_PNSt15iterator_traitsISH_E10value_typeET2_T3_PNSI_ISN_E10value_typeET4_jRbjT5_ST_jjP12ihipStream_tbEUlT_E1_NS1_11comp_targetILNS1_3genE2ELNS1_11target_archE906ELNS1_3gpuE6ELNS1_3repE0EEENS1_59segmented_radix_sort_warp_sort_small_config_static_selectorELNS0_4arch9wavefront6targetE1EEEvSH_.uses_vcc, or(1, .L_ZN7rocprim17ROCPRIM_400000_NS6detail26segmented_warp_sort_helperINS1_20WarpSortHelperConfigILj8ELj8ELj256EEEllLi256ELb0EvE4sortIPKlPlS8_S9_EEvT_T0_T1_T2_jjjjRNS5_12storage_typeE.uses_vcc)
	.set _ZN7rocprim17ROCPRIM_400000_NS6detail17trampoline_kernelINS0_14default_configENS1_36segmented_radix_sort_config_selectorIllEEZNS1_25segmented_radix_sort_implIS3_Lb0EPKlPlS8_S9_N2at6native12_GLOBAL__N_18offset_tEEE10hipError_tPvRmT1_PNSt15iterator_traitsISH_E10value_typeET2_T3_PNSI_ISN_E10value_typeET4_jRbjT5_ST_jjP12ihipStream_tbEUlT_E1_NS1_11comp_targetILNS1_3genE2ELNS1_11target_archE906ELNS1_3gpuE6ELNS1_3repE0EEENS1_59segmented_radix_sort_warp_sort_small_config_static_selectorELNS0_4arch9wavefront6targetE1EEEvSH_.uses_flat_scratch, or(0, .L_ZN7rocprim17ROCPRIM_400000_NS6detail26segmented_warp_sort_helperINS1_20WarpSortHelperConfigILj8ELj8ELj256EEEllLi256ELb0EvE4sortIPKlPlS8_S9_EEvT_T0_T1_T2_jjjjRNS5_12storage_typeE.uses_flat_scratch)
	.set _ZN7rocprim17ROCPRIM_400000_NS6detail17trampoline_kernelINS0_14default_configENS1_36segmented_radix_sort_config_selectorIllEEZNS1_25segmented_radix_sort_implIS3_Lb0EPKlPlS8_S9_N2at6native12_GLOBAL__N_18offset_tEEE10hipError_tPvRmT1_PNSt15iterator_traitsISH_E10value_typeET2_T3_PNSI_ISN_E10value_typeET4_jRbjT5_ST_jjP12ihipStream_tbEUlT_E1_NS1_11comp_targetILNS1_3genE2ELNS1_11target_archE906ELNS1_3gpuE6ELNS1_3repE0EEENS1_59segmented_radix_sort_warp_sort_small_config_static_selectorELNS0_4arch9wavefront6targetE1EEEvSH_.has_dyn_sized_stack, or(0, .L_ZN7rocprim17ROCPRIM_400000_NS6detail26segmented_warp_sort_helperINS1_20WarpSortHelperConfigILj8ELj8ELj256EEEllLi256ELb0EvE4sortIPKlPlS8_S9_EEvT_T0_T1_T2_jjjjRNS5_12storage_typeE.has_dyn_sized_stack)
	.set _ZN7rocprim17ROCPRIM_400000_NS6detail17trampoline_kernelINS0_14default_configENS1_36segmented_radix_sort_config_selectorIllEEZNS1_25segmented_radix_sort_implIS3_Lb0EPKlPlS8_S9_N2at6native12_GLOBAL__N_18offset_tEEE10hipError_tPvRmT1_PNSt15iterator_traitsISH_E10value_typeET2_T3_PNSI_ISN_E10value_typeET4_jRbjT5_ST_jjP12ihipStream_tbEUlT_E1_NS1_11comp_targetILNS1_3genE2ELNS1_11target_archE906ELNS1_3gpuE6ELNS1_3repE0EEENS1_59segmented_radix_sort_warp_sort_small_config_static_selectorELNS0_4arch9wavefront6targetE1EEEvSH_.has_recursion, or(0, .L_ZN7rocprim17ROCPRIM_400000_NS6detail26segmented_warp_sort_helperINS1_20WarpSortHelperConfigILj8ELj8ELj256EEEllLi256ELb0EvE4sortIPKlPlS8_S9_EEvT_T0_T1_T2_jjjjRNS5_12storage_typeE.has_recursion)
	.set _ZN7rocprim17ROCPRIM_400000_NS6detail17trampoline_kernelINS0_14default_configENS1_36segmented_radix_sort_config_selectorIllEEZNS1_25segmented_radix_sort_implIS3_Lb0EPKlPlS8_S9_N2at6native12_GLOBAL__N_18offset_tEEE10hipError_tPvRmT1_PNSt15iterator_traitsISH_E10value_typeET2_T3_PNSI_ISN_E10value_typeET4_jRbjT5_ST_jjP12ihipStream_tbEUlT_E1_NS1_11comp_targetILNS1_3genE2ELNS1_11target_archE906ELNS1_3gpuE6ELNS1_3repE0EEENS1_59segmented_radix_sort_warp_sort_small_config_static_selectorELNS0_4arch9wavefront6targetE1EEEvSH_.has_indirect_call, or(0, .L_ZN7rocprim17ROCPRIM_400000_NS6detail26segmented_warp_sort_helperINS1_20WarpSortHelperConfigILj8ELj8ELj256EEEllLi256ELb0EvE4sortIPKlPlS8_S9_EEvT_T0_T1_T2_jjjjRNS5_12storage_typeE.has_indirect_call)
	.section	.AMDGPU.csdata,"",@progbits
; Kernel info:
; codeLenInByte = 508
; TotalNumSgprs: 56
; NumVgprs: 116
; ScratchSize: 0
; MemoryBound: 0
; FloatMode: 240
; IeeeMode: 1
; LDSByteSize: 32768 bytes/workgroup (compile time only)
; SGPRBlocks: 12
; VGPRBlocks: 28
; NumSGPRsForWavesPerEU: 102
; NumVGPRsForWavesPerEU: 116
; Occupancy: 2
; WaveLimiterHint : 0
; COMPUTE_PGM_RSRC2:SCRATCH_EN: 0
; COMPUTE_PGM_RSRC2:USER_SGPR: 6
; COMPUTE_PGM_RSRC2:TRAP_HANDLER: 0
; COMPUTE_PGM_RSRC2:TGID_X_EN: 1
; COMPUTE_PGM_RSRC2:TGID_Y_EN: 1
; COMPUTE_PGM_RSRC2:TGID_Z_EN: 0
; COMPUTE_PGM_RSRC2:TIDIG_COMP_CNT: 2
	.section	.text._ZN7rocprim17ROCPRIM_400000_NS6detail17trampoline_kernelINS0_14default_configENS1_36segmented_radix_sort_config_selectorIllEEZNS1_25segmented_radix_sort_implIS3_Lb0EPKlPlS8_S9_N2at6native12_GLOBAL__N_18offset_tEEE10hipError_tPvRmT1_PNSt15iterator_traitsISH_E10value_typeET2_T3_PNSI_ISN_E10value_typeET4_jRbjT5_ST_jjP12ihipStream_tbEUlT_E1_NS1_11comp_targetILNS1_3genE10ELNS1_11target_archE1201ELNS1_3gpuE5ELNS1_3repE0EEENS1_59segmented_radix_sort_warp_sort_small_config_static_selectorELNS0_4arch9wavefront6targetE1EEEvSH_,"axG",@progbits,_ZN7rocprim17ROCPRIM_400000_NS6detail17trampoline_kernelINS0_14default_configENS1_36segmented_radix_sort_config_selectorIllEEZNS1_25segmented_radix_sort_implIS3_Lb0EPKlPlS8_S9_N2at6native12_GLOBAL__N_18offset_tEEE10hipError_tPvRmT1_PNSt15iterator_traitsISH_E10value_typeET2_T3_PNSI_ISN_E10value_typeET4_jRbjT5_ST_jjP12ihipStream_tbEUlT_E1_NS1_11comp_targetILNS1_3genE10ELNS1_11target_archE1201ELNS1_3gpuE5ELNS1_3repE0EEENS1_59segmented_radix_sort_warp_sort_small_config_static_selectorELNS0_4arch9wavefront6targetE1EEEvSH_,comdat
	.globl	_ZN7rocprim17ROCPRIM_400000_NS6detail17trampoline_kernelINS0_14default_configENS1_36segmented_radix_sort_config_selectorIllEEZNS1_25segmented_radix_sort_implIS3_Lb0EPKlPlS8_S9_N2at6native12_GLOBAL__N_18offset_tEEE10hipError_tPvRmT1_PNSt15iterator_traitsISH_E10value_typeET2_T3_PNSI_ISN_E10value_typeET4_jRbjT5_ST_jjP12ihipStream_tbEUlT_E1_NS1_11comp_targetILNS1_3genE10ELNS1_11target_archE1201ELNS1_3gpuE5ELNS1_3repE0EEENS1_59segmented_radix_sort_warp_sort_small_config_static_selectorELNS0_4arch9wavefront6targetE1EEEvSH_ ; -- Begin function _ZN7rocprim17ROCPRIM_400000_NS6detail17trampoline_kernelINS0_14default_configENS1_36segmented_radix_sort_config_selectorIllEEZNS1_25segmented_radix_sort_implIS3_Lb0EPKlPlS8_S9_N2at6native12_GLOBAL__N_18offset_tEEE10hipError_tPvRmT1_PNSt15iterator_traitsISH_E10value_typeET2_T3_PNSI_ISN_E10value_typeET4_jRbjT5_ST_jjP12ihipStream_tbEUlT_E1_NS1_11comp_targetILNS1_3genE10ELNS1_11target_archE1201ELNS1_3gpuE5ELNS1_3repE0EEENS1_59segmented_radix_sort_warp_sort_small_config_static_selectorELNS0_4arch9wavefront6targetE1EEEvSH_
	.p2align	8
	.type	_ZN7rocprim17ROCPRIM_400000_NS6detail17trampoline_kernelINS0_14default_configENS1_36segmented_radix_sort_config_selectorIllEEZNS1_25segmented_radix_sort_implIS3_Lb0EPKlPlS8_S9_N2at6native12_GLOBAL__N_18offset_tEEE10hipError_tPvRmT1_PNSt15iterator_traitsISH_E10value_typeET2_T3_PNSI_ISN_E10value_typeET4_jRbjT5_ST_jjP12ihipStream_tbEUlT_E1_NS1_11comp_targetILNS1_3genE10ELNS1_11target_archE1201ELNS1_3gpuE5ELNS1_3repE0EEENS1_59segmented_radix_sort_warp_sort_small_config_static_selectorELNS0_4arch9wavefront6targetE1EEEvSH_,@function
_ZN7rocprim17ROCPRIM_400000_NS6detail17trampoline_kernelINS0_14default_configENS1_36segmented_radix_sort_config_selectorIllEEZNS1_25segmented_radix_sort_implIS3_Lb0EPKlPlS8_S9_N2at6native12_GLOBAL__N_18offset_tEEE10hipError_tPvRmT1_PNSt15iterator_traitsISH_E10value_typeET2_T3_PNSI_ISN_E10value_typeET4_jRbjT5_ST_jjP12ihipStream_tbEUlT_E1_NS1_11comp_targetILNS1_3genE10ELNS1_11target_archE1201ELNS1_3gpuE5ELNS1_3repE0EEENS1_59segmented_radix_sort_warp_sort_small_config_static_selectorELNS0_4arch9wavefront6targetE1EEEvSH_: ; @_ZN7rocprim17ROCPRIM_400000_NS6detail17trampoline_kernelINS0_14default_configENS1_36segmented_radix_sort_config_selectorIllEEZNS1_25segmented_radix_sort_implIS3_Lb0EPKlPlS8_S9_N2at6native12_GLOBAL__N_18offset_tEEE10hipError_tPvRmT1_PNSt15iterator_traitsISH_E10value_typeET2_T3_PNSI_ISN_E10value_typeET4_jRbjT5_ST_jjP12ihipStream_tbEUlT_E1_NS1_11comp_targetILNS1_3genE10ELNS1_11target_archE1201ELNS1_3gpuE5ELNS1_3repE0EEENS1_59segmented_radix_sort_warp_sort_small_config_static_selectorELNS0_4arch9wavefront6targetE1EEEvSH_
; %bb.0:
	.section	.rodata,"a",@progbits
	.p2align	6, 0x0
	.amdhsa_kernel _ZN7rocprim17ROCPRIM_400000_NS6detail17trampoline_kernelINS0_14default_configENS1_36segmented_radix_sort_config_selectorIllEEZNS1_25segmented_radix_sort_implIS3_Lb0EPKlPlS8_S9_N2at6native12_GLOBAL__N_18offset_tEEE10hipError_tPvRmT1_PNSt15iterator_traitsISH_E10value_typeET2_T3_PNSI_ISN_E10value_typeET4_jRbjT5_ST_jjP12ihipStream_tbEUlT_E1_NS1_11comp_targetILNS1_3genE10ELNS1_11target_archE1201ELNS1_3gpuE5ELNS1_3repE0EEENS1_59segmented_radix_sort_warp_sort_small_config_static_selectorELNS0_4arch9wavefront6targetE1EEEvSH_
		.amdhsa_group_segment_fixed_size 0
		.amdhsa_private_segment_fixed_size 0
		.amdhsa_kernarg_size 88
		.amdhsa_user_sgpr_count 6
		.amdhsa_user_sgpr_private_segment_buffer 1
		.amdhsa_user_sgpr_dispatch_ptr 0
		.amdhsa_user_sgpr_queue_ptr 0
		.amdhsa_user_sgpr_kernarg_segment_ptr 1
		.amdhsa_user_sgpr_dispatch_id 0
		.amdhsa_user_sgpr_flat_scratch_init 0
		.amdhsa_user_sgpr_private_segment_size 0
		.amdhsa_uses_dynamic_stack 0
		.amdhsa_system_sgpr_private_segment_wavefront_offset 0
		.amdhsa_system_sgpr_workgroup_id_x 1
		.amdhsa_system_sgpr_workgroup_id_y 0
		.amdhsa_system_sgpr_workgroup_id_z 0
		.amdhsa_system_sgpr_workgroup_info 0
		.amdhsa_system_vgpr_workitem_id 0
		.amdhsa_next_free_vgpr 1
		.amdhsa_next_free_sgpr 0
		.amdhsa_reserve_vcc 0
		.amdhsa_reserve_flat_scratch 0
		.amdhsa_float_round_mode_32 0
		.amdhsa_float_round_mode_16_64 0
		.amdhsa_float_denorm_mode_32 3
		.amdhsa_float_denorm_mode_16_64 3
		.amdhsa_dx10_clamp 1
		.amdhsa_ieee_mode 1
		.amdhsa_fp16_overflow 0
		.amdhsa_exception_fp_ieee_invalid_op 0
		.amdhsa_exception_fp_denorm_src 0
		.amdhsa_exception_fp_ieee_div_zero 0
		.amdhsa_exception_fp_ieee_overflow 0
		.amdhsa_exception_fp_ieee_underflow 0
		.amdhsa_exception_fp_ieee_inexact 0
		.amdhsa_exception_int_div_zero 0
	.end_amdhsa_kernel
	.section	.text._ZN7rocprim17ROCPRIM_400000_NS6detail17trampoline_kernelINS0_14default_configENS1_36segmented_radix_sort_config_selectorIllEEZNS1_25segmented_radix_sort_implIS3_Lb0EPKlPlS8_S9_N2at6native12_GLOBAL__N_18offset_tEEE10hipError_tPvRmT1_PNSt15iterator_traitsISH_E10value_typeET2_T3_PNSI_ISN_E10value_typeET4_jRbjT5_ST_jjP12ihipStream_tbEUlT_E1_NS1_11comp_targetILNS1_3genE10ELNS1_11target_archE1201ELNS1_3gpuE5ELNS1_3repE0EEENS1_59segmented_radix_sort_warp_sort_small_config_static_selectorELNS0_4arch9wavefront6targetE1EEEvSH_,"axG",@progbits,_ZN7rocprim17ROCPRIM_400000_NS6detail17trampoline_kernelINS0_14default_configENS1_36segmented_radix_sort_config_selectorIllEEZNS1_25segmented_radix_sort_implIS3_Lb0EPKlPlS8_S9_N2at6native12_GLOBAL__N_18offset_tEEE10hipError_tPvRmT1_PNSt15iterator_traitsISH_E10value_typeET2_T3_PNSI_ISN_E10value_typeET4_jRbjT5_ST_jjP12ihipStream_tbEUlT_E1_NS1_11comp_targetILNS1_3genE10ELNS1_11target_archE1201ELNS1_3gpuE5ELNS1_3repE0EEENS1_59segmented_radix_sort_warp_sort_small_config_static_selectorELNS0_4arch9wavefront6targetE1EEEvSH_,comdat
.Lfunc_end833:
	.size	_ZN7rocprim17ROCPRIM_400000_NS6detail17trampoline_kernelINS0_14default_configENS1_36segmented_radix_sort_config_selectorIllEEZNS1_25segmented_radix_sort_implIS3_Lb0EPKlPlS8_S9_N2at6native12_GLOBAL__N_18offset_tEEE10hipError_tPvRmT1_PNSt15iterator_traitsISH_E10value_typeET2_T3_PNSI_ISN_E10value_typeET4_jRbjT5_ST_jjP12ihipStream_tbEUlT_E1_NS1_11comp_targetILNS1_3genE10ELNS1_11target_archE1201ELNS1_3gpuE5ELNS1_3repE0EEENS1_59segmented_radix_sort_warp_sort_small_config_static_selectorELNS0_4arch9wavefront6targetE1EEEvSH_, .Lfunc_end833-_ZN7rocprim17ROCPRIM_400000_NS6detail17trampoline_kernelINS0_14default_configENS1_36segmented_radix_sort_config_selectorIllEEZNS1_25segmented_radix_sort_implIS3_Lb0EPKlPlS8_S9_N2at6native12_GLOBAL__N_18offset_tEEE10hipError_tPvRmT1_PNSt15iterator_traitsISH_E10value_typeET2_T3_PNSI_ISN_E10value_typeET4_jRbjT5_ST_jjP12ihipStream_tbEUlT_E1_NS1_11comp_targetILNS1_3genE10ELNS1_11target_archE1201ELNS1_3gpuE5ELNS1_3repE0EEENS1_59segmented_radix_sort_warp_sort_small_config_static_selectorELNS0_4arch9wavefront6targetE1EEEvSH_
                                        ; -- End function
	.set _ZN7rocprim17ROCPRIM_400000_NS6detail17trampoline_kernelINS0_14default_configENS1_36segmented_radix_sort_config_selectorIllEEZNS1_25segmented_radix_sort_implIS3_Lb0EPKlPlS8_S9_N2at6native12_GLOBAL__N_18offset_tEEE10hipError_tPvRmT1_PNSt15iterator_traitsISH_E10value_typeET2_T3_PNSI_ISN_E10value_typeET4_jRbjT5_ST_jjP12ihipStream_tbEUlT_E1_NS1_11comp_targetILNS1_3genE10ELNS1_11target_archE1201ELNS1_3gpuE5ELNS1_3repE0EEENS1_59segmented_radix_sort_warp_sort_small_config_static_selectorELNS0_4arch9wavefront6targetE1EEEvSH_.num_vgpr, 0
	.set _ZN7rocprim17ROCPRIM_400000_NS6detail17trampoline_kernelINS0_14default_configENS1_36segmented_radix_sort_config_selectorIllEEZNS1_25segmented_radix_sort_implIS3_Lb0EPKlPlS8_S9_N2at6native12_GLOBAL__N_18offset_tEEE10hipError_tPvRmT1_PNSt15iterator_traitsISH_E10value_typeET2_T3_PNSI_ISN_E10value_typeET4_jRbjT5_ST_jjP12ihipStream_tbEUlT_E1_NS1_11comp_targetILNS1_3genE10ELNS1_11target_archE1201ELNS1_3gpuE5ELNS1_3repE0EEENS1_59segmented_radix_sort_warp_sort_small_config_static_selectorELNS0_4arch9wavefront6targetE1EEEvSH_.num_agpr, 0
	.set _ZN7rocprim17ROCPRIM_400000_NS6detail17trampoline_kernelINS0_14default_configENS1_36segmented_radix_sort_config_selectorIllEEZNS1_25segmented_radix_sort_implIS3_Lb0EPKlPlS8_S9_N2at6native12_GLOBAL__N_18offset_tEEE10hipError_tPvRmT1_PNSt15iterator_traitsISH_E10value_typeET2_T3_PNSI_ISN_E10value_typeET4_jRbjT5_ST_jjP12ihipStream_tbEUlT_E1_NS1_11comp_targetILNS1_3genE10ELNS1_11target_archE1201ELNS1_3gpuE5ELNS1_3repE0EEENS1_59segmented_radix_sort_warp_sort_small_config_static_selectorELNS0_4arch9wavefront6targetE1EEEvSH_.numbered_sgpr, 0
	.set _ZN7rocprim17ROCPRIM_400000_NS6detail17trampoline_kernelINS0_14default_configENS1_36segmented_radix_sort_config_selectorIllEEZNS1_25segmented_radix_sort_implIS3_Lb0EPKlPlS8_S9_N2at6native12_GLOBAL__N_18offset_tEEE10hipError_tPvRmT1_PNSt15iterator_traitsISH_E10value_typeET2_T3_PNSI_ISN_E10value_typeET4_jRbjT5_ST_jjP12ihipStream_tbEUlT_E1_NS1_11comp_targetILNS1_3genE10ELNS1_11target_archE1201ELNS1_3gpuE5ELNS1_3repE0EEENS1_59segmented_radix_sort_warp_sort_small_config_static_selectorELNS0_4arch9wavefront6targetE1EEEvSH_.num_named_barrier, 0
	.set _ZN7rocprim17ROCPRIM_400000_NS6detail17trampoline_kernelINS0_14default_configENS1_36segmented_radix_sort_config_selectorIllEEZNS1_25segmented_radix_sort_implIS3_Lb0EPKlPlS8_S9_N2at6native12_GLOBAL__N_18offset_tEEE10hipError_tPvRmT1_PNSt15iterator_traitsISH_E10value_typeET2_T3_PNSI_ISN_E10value_typeET4_jRbjT5_ST_jjP12ihipStream_tbEUlT_E1_NS1_11comp_targetILNS1_3genE10ELNS1_11target_archE1201ELNS1_3gpuE5ELNS1_3repE0EEENS1_59segmented_radix_sort_warp_sort_small_config_static_selectorELNS0_4arch9wavefront6targetE1EEEvSH_.private_seg_size, 0
	.set _ZN7rocprim17ROCPRIM_400000_NS6detail17trampoline_kernelINS0_14default_configENS1_36segmented_radix_sort_config_selectorIllEEZNS1_25segmented_radix_sort_implIS3_Lb0EPKlPlS8_S9_N2at6native12_GLOBAL__N_18offset_tEEE10hipError_tPvRmT1_PNSt15iterator_traitsISH_E10value_typeET2_T3_PNSI_ISN_E10value_typeET4_jRbjT5_ST_jjP12ihipStream_tbEUlT_E1_NS1_11comp_targetILNS1_3genE10ELNS1_11target_archE1201ELNS1_3gpuE5ELNS1_3repE0EEENS1_59segmented_radix_sort_warp_sort_small_config_static_selectorELNS0_4arch9wavefront6targetE1EEEvSH_.uses_vcc, 0
	.set _ZN7rocprim17ROCPRIM_400000_NS6detail17trampoline_kernelINS0_14default_configENS1_36segmented_radix_sort_config_selectorIllEEZNS1_25segmented_radix_sort_implIS3_Lb0EPKlPlS8_S9_N2at6native12_GLOBAL__N_18offset_tEEE10hipError_tPvRmT1_PNSt15iterator_traitsISH_E10value_typeET2_T3_PNSI_ISN_E10value_typeET4_jRbjT5_ST_jjP12ihipStream_tbEUlT_E1_NS1_11comp_targetILNS1_3genE10ELNS1_11target_archE1201ELNS1_3gpuE5ELNS1_3repE0EEENS1_59segmented_radix_sort_warp_sort_small_config_static_selectorELNS0_4arch9wavefront6targetE1EEEvSH_.uses_flat_scratch, 0
	.set _ZN7rocprim17ROCPRIM_400000_NS6detail17trampoline_kernelINS0_14default_configENS1_36segmented_radix_sort_config_selectorIllEEZNS1_25segmented_radix_sort_implIS3_Lb0EPKlPlS8_S9_N2at6native12_GLOBAL__N_18offset_tEEE10hipError_tPvRmT1_PNSt15iterator_traitsISH_E10value_typeET2_T3_PNSI_ISN_E10value_typeET4_jRbjT5_ST_jjP12ihipStream_tbEUlT_E1_NS1_11comp_targetILNS1_3genE10ELNS1_11target_archE1201ELNS1_3gpuE5ELNS1_3repE0EEENS1_59segmented_radix_sort_warp_sort_small_config_static_selectorELNS0_4arch9wavefront6targetE1EEEvSH_.has_dyn_sized_stack, 0
	.set _ZN7rocprim17ROCPRIM_400000_NS6detail17trampoline_kernelINS0_14default_configENS1_36segmented_radix_sort_config_selectorIllEEZNS1_25segmented_radix_sort_implIS3_Lb0EPKlPlS8_S9_N2at6native12_GLOBAL__N_18offset_tEEE10hipError_tPvRmT1_PNSt15iterator_traitsISH_E10value_typeET2_T3_PNSI_ISN_E10value_typeET4_jRbjT5_ST_jjP12ihipStream_tbEUlT_E1_NS1_11comp_targetILNS1_3genE10ELNS1_11target_archE1201ELNS1_3gpuE5ELNS1_3repE0EEENS1_59segmented_radix_sort_warp_sort_small_config_static_selectorELNS0_4arch9wavefront6targetE1EEEvSH_.has_recursion, 0
	.set _ZN7rocprim17ROCPRIM_400000_NS6detail17trampoline_kernelINS0_14default_configENS1_36segmented_radix_sort_config_selectorIllEEZNS1_25segmented_radix_sort_implIS3_Lb0EPKlPlS8_S9_N2at6native12_GLOBAL__N_18offset_tEEE10hipError_tPvRmT1_PNSt15iterator_traitsISH_E10value_typeET2_T3_PNSI_ISN_E10value_typeET4_jRbjT5_ST_jjP12ihipStream_tbEUlT_E1_NS1_11comp_targetILNS1_3genE10ELNS1_11target_archE1201ELNS1_3gpuE5ELNS1_3repE0EEENS1_59segmented_radix_sort_warp_sort_small_config_static_selectorELNS0_4arch9wavefront6targetE1EEEvSH_.has_indirect_call, 0
	.section	.AMDGPU.csdata,"",@progbits
; Kernel info:
; codeLenInByte = 0
; TotalNumSgprs: 4
; NumVgprs: 0
; ScratchSize: 0
; MemoryBound: 0
; FloatMode: 240
; IeeeMode: 1
; LDSByteSize: 0 bytes/workgroup (compile time only)
; SGPRBlocks: 0
; VGPRBlocks: 0
; NumSGPRsForWavesPerEU: 4
; NumVGPRsForWavesPerEU: 1
; Occupancy: 10
; WaveLimiterHint : 0
; COMPUTE_PGM_RSRC2:SCRATCH_EN: 0
; COMPUTE_PGM_RSRC2:USER_SGPR: 6
; COMPUTE_PGM_RSRC2:TRAP_HANDLER: 0
; COMPUTE_PGM_RSRC2:TGID_X_EN: 1
; COMPUTE_PGM_RSRC2:TGID_Y_EN: 0
; COMPUTE_PGM_RSRC2:TGID_Z_EN: 0
; COMPUTE_PGM_RSRC2:TIDIG_COMP_CNT: 0
	.section	.text._ZN7rocprim17ROCPRIM_400000_NS6detail17trampoline_kernelINS0_14default_configENS1_36segmented_radix_sort_config_selectorIllEEZNS1_25segmented_radix_sort_implIS3_Lb0EPKlPlS8_S9_N2at6native12_GLOBAL__N_18offset_tEEE10hipError_tPvRmT1_PNSt15iterator_traitsISH_E10value_typeET2_T3_PNSI_ISN_E10value_typeET4_jRbjT5_ST_jjP12ihipStream_tbEUlT_E1_NS1_11comp_targetILNS1_3genE10ELNS1_11target_archE1200ELNS1_3gpuE4ELNS1_3repE0EEENS1_59segmented_radix_sort_warp_sort_small_config_static_selectorELNS0_4arch9wavefront6targetE1EEEvSH_,"axG",@progbits,_ZN7rocprim17ROCPRIM_400000_NS6detail17trampoline_kernelINS0_14default_configENS1_36segmented_radix_sort_config_selectorIllEEZNS1_25segmented_radix_sort_implIS3_Lb0EPKlPlS8_S9_N2at6native12_GLOBAL__N_18offset_tEEE10hipError_tPvRmT1_PNSt15iterator_traitsISH_E10value_typeET2_T3_PNSI_ISN_E10value_typeET4_jRbjT5_ST_jjP12ihipStream_tbEUlT_E1_NS1_11comp_targetILNS1_3genE10ELNS1_11target_archE1200ELNS1_3gpuE4ELNS1_3repE0EEENS1_59segmented_radix_sort_warp_sort_small_config_static_selectorELNS0_4arch9wavefront6targetE1EEEvSH_,comdat
	.globl	_ZN7rocprim17ROCPRIM_400000_NS6detail17trampoline_kernelINS0_14default_configENS1_36segmented_radix_sort_config_selectorIllEEZNS1_25segmented_radix_sort_implIS3_Lb0EPKlPlS8_S9_N2at6native12_GLOBAL__N_18offset_tEEE10hipError_tPvRmT1_PNSt15iterator_traitsISH_E10value_typeET2_T3_PNSI_ISN_E10value_typeET4_jRbjT5_ST_jjP12ihipStream_tbEUlT_E1_NS1_11comp_targetILNS1_3genE10ELNS1_11target_archE1200ELNS1_3gpuE4ELNS1_3repE0EEENS1_59segmented_radix_sort_warp_sort_small_config_static_selectorELNS0_4arch9wavefront6targetE1EEEvSH_ ; -- Begin function _ZN7rocprim17ROCPRIM_400000_NS6detail17trampoline_kernelINS0_14default_configENS1_36segmented_radix_sort_config_selectorIllEEZNS1_25segmented_radix_sort_implIS3_Lb0EPKlPlS8_S9_N2at6native12_GLOBAL__N_18offset_tEEE10hipError_tPvRmT1_PNSt15iterator_traitsISH_E10value_typeET2_T3_PNSI_ISN_E10value_typeET4_jRbjT5_ST_jjP12ihipStream_tbEUlT_E1_NS1_11comp_targetILNS1_3genE10ELNS1_11target_archE1200ELNS1_3gpuE4ELNS1_3repE0EEENS1_59segmented_radix_sort_warp_sort_small_config_static_selectorELNS0_4arch9wavefront6targetE1EEEvSH_
	.p2align	8
	.type	_ZN7rocprim17ROCPRIM_400000_NS6detail17trampoline_kernelINS0_14default_configENS1_36segmented_radix_sort_config_selectorIllEEZNS1_25segmented_radix_sort_implIS3_Lb0EPKlPlS8_S9_N2at6native12_GLOBAL__N_18offset_tEEE10hipError_tPvRmT1_PNSt15iterator_traitsISH_E10value_typeET2_T3_PNSI_ISN_E10value_typeET4_jRbjT5_ST_jjP12ihipStream_tbEUlT_E1_NS1_11comp_targetILNS1_3genE10ELNS1_11target_archE1200ELNS1_3gpuE4ELNS1_3repE0EEENS1_59segmented_radix_sort_warp_sort_small_config_static_selectorELNS0_4arch9wavefront6targetE1EEEvSH_,@function
_ZN7rocprim17ROCPRIM_400000_NS6detail17trampoline_kernelINS0_14default_configENS1_36segmented_radix_sort_config_selectorIllEEZNS1_25segmented_radix_sort_implIS3_Lb0EPKlPlS8_S9_N2at6native12_GLOBAL__N_18offset_tEEE10hipError_tPvRmT1_PNSt15iterator_traitsISH_E10value_typeET2_T3_PNSI_ISN_E10value_typeET4_jRbjT5_ST_jjP12ihipStream_tbEUlT_E1_NS1_11comp_targetILNS1_3genE10ELNS1_11target_archE1200ELNS1_3gpuE4ELNS1_3repE0EEENS1_59segmented_radix_sort_warp_sort_small_config_static_selectorELNS0_4arch9wavefront6targetE1EEEvSH_: ; @_ZN7rocprim17ROCPRIM_400000_NS6detail17trampoline_kernelINS0_14default_configENS1_36segmented_radix_sort_config_selectorIllEEZNS1_25segmented_radix_sort_implIS3_Lb0EPKlPlS8_S9_N2at6native12_GLOBAL__N_18offset_tEEE10hipError_tPvRmT1_PNSt15iterator_traitsISH_E10value_typeET2_T3_PNSI_ISN_E10value_typeET4_jRbjT5_ST_jjP12ihipStream_tbEUlT_E1_NS1_11comp_targetILNS1_3genE10ELNS1_11target_archE1200ELNS1_3gpuE4ELNS1_3repE0EEENS1_59segmented_radix_sort_warp_sort_small_config_static_selectorELNS0_4arch9wavefront6targetE1EEEvSH_
; %bb.0:
	.section	.rodata,"a",@progbits
	.p2align	6, 0x0
	.amdhsa_kernel _ZN7rocprim17ROCPRIM_400000_NS6detail17trampoline_kernelINS0_14default_configENS1_36segmented_radix_sort_config_selectorIllEEZNS1_25segmented_radix_sort_implIS3_Lb0EPKlPlS8_S9_N2at6native12_GLOBAL__N_18offset_tEEE10hipError_tPvRmT1_PNSt15iterator_traitsISH_E10value_typeET2_T3_PNSI_ISN_E10value_typeET4_jRbjT5_ST_jjP12ihipStream_tbEUlT_E1_NS1_11comp_targetILNS1_3genE10ELNS1_11target_archE1200ELNS1_3gpuE4ELNS1_3repE0EEENS1_59segmented_radix_sort_warp_sort_small_config_static_selectorELNS0_4arch9wavefront6targetE1EEEvSH_
		.amdhsa_group_segment_fixed_size 0
		.amdhsa_private_segment_fixed_size 0
		.amdhsa_kernarg_size 88
		.amdhsa_user_sgpr_count 6
		.amdhsa_user_sgpr_private_segment_buffer 1
		.amdhsa_user_sgpr_dispatch_ptr 0
		.amdhsa_user_sgpr_queue_ptr 0
		.amdhsa_user_sgpr_kernarg_segment_ptr 1
		.amdhsa_user_sgpr_dispatch_id 0
		.amdhsa_user_sgpr_flat_scratch_init 0
		.amdhsa_user_sgpr_private_segment_size 0
		.amdhsa_uses_dynamic_stack 0
		.amdhsa_system_sgpr_private_segment_wavefront_offset 0
		.amdhsa_system_sgpr_workgroup_id_x 1
		.amdhsa_system_sgpr_workgroup_id_y 0
		.amdhsa_system_sgpr_workgroup_id_z 0
		.amdhsa_system_sgpr_workgroup_info 0
		.amdhsa_system_vgpr_workitem_id 0
		.amdhsa_next_free_vgpr 1
		.amdhsa_next_free_sgpr 0
		.amdhsa_reserve_vcc 0
		.amdhsa_reserve_flat_scratch 0
		.amdhsa_float_round_mode_32 0
		.amdhsa_float_round_mode_16_64 0
		.amdhsa_float_denorm_mode_32 3
		.amdhsa_float_denorm_mode_16_64 3
		.amdhsa_dx10_clamp 1
		.amdhsa_ieee_mode 1
		.amdhsa_fp16_overflow 0
		.amdhsa_exception_fp_ieee_invalid_op 0
		.amdhsa_exception_fp_denorm_src 0
		.amdhsa_exception_fp_ieee_div_zero 0
		.amdhsa_exception_fp_ieee_overflow 0
		.amdhsa_exception_fp_ieee_underflow 0
		.amdhsa_exception_fp_ieee_inexact 0
		.amdhsa_exception_int_div_zero 0
	.end_amdhsa_kernel
	.section	.text._ZN7rocprim17ROCPRIM_400000_NS6detail17trampoline_kernelINS0_14default_configENS1_36segmented_radix_sort_config_selectorIllEEZNS1_25segmented_radix_sort_implIS3_Lb0EPKlPlS8_S9_N2at6native12_GLOBAL__N_18offset_tEEE10hipError_tPvRmT1_PNSt15iterator_traitsISH_E10value_typeET2_T3_PNSI_ISN_E10value_typeET4_jRbjT5_ST_jjP12ihipStream_tbEUlT_E1_NS1_11comp_targetILNS1_3genE10ELNS1_11target_archE1200ELNS1_3gpuE4ELNS1_3repE0EEENS1_59segmented_radix_sort_warp_sort_small_config_static_selectorELNS0_4arch9wavefront6targetE1EEEvSH_,"axG",@progbits,_ZN7rocprim17ROCPRIM_400000_NS6detail17trampoline_kernelINS0_14default_configENS1_36segmented_radix_sort_config_selectorIllEEZNS1_25segmented_radix_sort_implIS3_Lb0EPKlPlS8_S9_N2at6native12_GLOBAL__N_18offset_tEEE10hipError_tPvRmT1_PNSt15iterator_traitsISH_E10value_typeET2_T3_PNSI_ISN_E10value_typeET4_jRbjT5_ST_jjP12ihipStream_tbEUlT_E1_NS1_11comp_targetILNS1_3genE10ELNS1_11target_archE1200ELNS1_3gpuE4ELNS1_3repE0EEENS1_59segmented_radix_sort_warp_sort_small_config_static_selectorELNS0_4arch9wavefront6targetE1EEEvSH_,comdat
.Lfunc_end834:
	.size	_ZN7rocprim17ROCPRIM_400000_NS6detail17trampoline_kernelINS0_14default_configENS1_36segmented_radix_sort_config_selectorIllEEZNS1_25segmented_radix_sort_implIS3_Lb0EPKlPlS8_S9_N2at6native12_GLOBAL__N_18offset_tEEE10hipError_tPvRmT1_PNSt15iterator_traitsISH_E10value_typeET2_T3_PNSI_ISN_E10value_typeET4_jRbjT5_ST_jjP12ihipStream_tbEUlT_E1_NS1_11comp_targetILNS1_3genE10ELNS1_11target_archE1200ELNS1_3gpuE4ELNS1_3repE0EEENS1_59segmented_radix_sort_warp_sort_small_config_static_selectorELNS0_4arch9wavefront6targetE1EEEvSH_, .Lfunc_end834-_ZN7rocprim17ROCPRIM_400000_NS6detail17trampoline_kernelINS0_14default_configENS1_36segmented_radix_sort_config_selectorIllEEZNS1_25segmented_radix_sort_implIS3_Lb0EPKlPlS8_S9_N2at6native12_GLOBAL__N_18offset_tEEE10hipError_tPvRmT1_PNSt15iterator_traitsISH_E10value_typeET2_T3_PNSI_ISN_E10value_typeET4_jRbjT5_ST_jjP12ihipStream_tbEUlT_E1_NS1_11comp_targetILNS1_3genE10ELNS1_11target_archE1200ELNS1_3gpuE4ELNS1_3repE0EEENS1_59segmented_radix_sort_warp_sort_small_config_static_selectorELNS0_4arch9wavefront6targetE1EEEvSH_
                                        ; -- End function
	.set _ZN7rocprim17ROCPRIM_400000_NS6detail17trampoline_kernelINS0_14default_configENS1_36segmented_radix_sort_config_selectorIllEEZNS1_25segmented_radix_sort_implIS3_Lb0EPKlPlS8_S9_N2at6native12_GLOBAL__N_18offset_tEEE10hipError_tPvRmT1_PNSt15iterator_traitsISH_E10value_typeET2_T3_PNSI_ISN_E10value_typeET4_jRbjT5_ST_jjP12ihipStream_tbEUlT_E1_NS1_11comp_targetILNS1_3genE10ELNS1_11target_archE1200ELNS1_3gpuE4ELNS1_3repE0EEENS1_59segmented_radix_sort_warp_sort_small_config_static_selectorELNS0_4arch9wavefront6targetE1EEEvSH_.num_vgpr, 0
	.set _ZN7rocprim17ROCPRIM_400000_NS6detail17trampoline_kernelINS0_14default_configENS1_36segmented_radix_sort_config_selectorIllEEZNS1_25segmented_radix_sort_implIS3_Lb0EPKlPlS8_S9_N2at6native12_GLOBAL__N_18offset_tEEE10hipError_tPvRmT1_PNSt15iterator_traitsISH_E10value_typeET2_T3_PNSI_ISN_E10value_typeET4_jRbjT5_ST_jjP12ihipStream_tbEUlT_E1_NS1_11comp_targetILNS1_3genE10ELNS1_11target_archE1200ELNS1_3gpuE4ELNS1_3repE0EEENS1_59segmented_radix_sort_warp_sort_small_config_static_selectorELNS0_4arch9wavefront6targetE1EEEvSH_.num_agpr, 0
	.set _ZN7rocprim17ROCPRIM_400000_NS6detail17trampoline_kernelINS0_14default_configENS1_36segmented_radix_sort_config_selectorIllEEZNS1_25segmented_radix_sort_implIS3_Lb0EPKlPlS8_S9_N2at6native12_GLOBAL__N_18offset_tEEE10hipError_tPvRmT1_PNSt15iterator_traitsISH_E10value_typeET2_T3_PNSI_ISN_E10value_typeET4_jRbjT5_ST_jjP12ihipStream_tbEUlT_E1_NS1_11comp_targetILNS1_3genE10ELNS1_11target_archE1200ELNS1_3gpuE4ELNS1_3repE0EEENS1_59segmented_radix_sort_warp_sort_small_config_static_selectorELNS0_4arch9wavefront6targetE1EEEvSH_.numbered_sgpr, 0
	.set _ZN7rocprim17ROCPRIM_400000_NS6detail17trampoline_kernelINS0_14default_configENS1_36segmented_radix_sort_config_selectorIllEEZNS1_25segmented_radix_sort_implIS3_Lb0EPKlPlS8_S9_N2at6native12_GLOBAL__N_18offset_tEEE10hipError_tPvRmT1_PNSt15iterator_traitsISH_E10value_typeET2_T3_PNSI_ISN_E10value_typeET4_jRbjT5_ST_jjP12ihipStream_tbEUlT_E1_NS1_11comp_targetILNS1_3genE10ELNS1_11target_archE1200ELNS1_3gpuE4ELNS1_3repE0EEENS1_59segmented_radix_sort_warp_sort_small_config_static_selectorELNS0_4arch9wavefront6targetE1EEEvSH_.num_named_barrier, 0
	.set _ZN7rocprim17ROCPRIM_400000_NS6detail17trampoline_kernelINS0_14default_configENS1_36segmented_radix_sort_config_selectorIllEEZNS1_25segmented_radix_sort_implIS3_Lb0EPKlPlS8_S9_N2at6native12_GLOBAL__N_18offset_tEEE10hipError_tPvRmT1_PNSt15iterator_traitsISH_E10value_typeET2_T3_PNSI_ISN_E10value_typeET4_jRbjT5_ST_jjP12ihipStream_tbEUlT_E1_NS1_11comp_targetILNS1_3genE10ELNS1_11target_archE1200ELNS1_3gpuE4ELNS1_3repE0EEENS1_59segmented_radix_sort_warp_sort_small_config_static_selectorELNS0_4arch9wavefront6targetE1EEEvSH_.private_seg_size, 0
	.set _ZN7rocprim17ROCPRIM_400000_NS6detail17trampoline_kernelINS0_14default_configENS1_36segmented_radix_sort_config_selectorIllEEZNS1_25segmented_radix_sort_implIS3_Lb0EPKlPlS8_S9_N2at6native12_GLOBAL__N_18offset_tEEE10hipError_tPvRmT1_PNSt15iterator_traitsISH_E10value_typeET2_T3_PNSI_ISN_E10value_typeET4_jRbjT5_ST_jjP12ihipStream_tbEUlT_E1_NS1_11comp_targetILNS1_3genE10ELNS1_11target_archE1200ELNS1_3gpuE4ELNS1_3repE0EEENS1_59segmented_radix_sort_warp_sort_small_config_static_selectorELNS0_4arch9wavefront6targetE1EEEvSH_.uses_vcc, 0
	.set _ZN7rocprim17ROCPRIM_400000_NS6detail17trampoline_kernelINS0_14default_configENS1_36segmented_radix_sort_config_selectorIllEEZNS1_25segmented_radix_sort_implIS3_Lb0EPKlPlS8_S9_N2at6native12_GLOBAL__N_18offset_tEEE10hipError_tPvRmT1_PNSt15iterator_traitsISH_E10value_typeET2_T3_PNSI_ISN_E10value_typeET4_jRbjT5_ST_jjP12ihipStream_tbEUlT_E1_NS1_11comp_targetILNS1_3genE10ELNS1_11target_archE1200ELNS1_3gpuE4ELNS1_3repE0EEENS1_59segmented_radix_sort_warp_sort_small_config_static_selectorELNS0_4arch9wavefront6targetE1EEEvSH_.uses_flat_scratch, 0
	.set _ZN7rocprim17ROCPRIM_400000_NS6detail17trampoline_kernelINS0_14default_configENS1_36segmented_radix_sort_config_selectorIllEEZNS1_25segmented_radix_sort_implIS3_Lb0EPKlPlS8_S9_N2at6native12_GLOBAL__N_18offset_tEEE10hipError_tPvRmT1_PNSt15iterator_traitsISH_E10value_typeET2_T3_PNSI_ISN_E10value_typeET4_jRbjT5_ST_jjP12ihipStream_tbEUlT_E1_NS1_11comp_targetILNS1_3genE10ELNS1_11target_archE1200ELNS1_3gpuE4ELNS1_3repE0EEENS1_59segmented_radix_sort_warp_sort_small_config_static_selectorELNS0_4arch9wavefront6targetE1EEEvSH_.has_dyn_sized_stack, 0
	.set _ZN7rocprim17ROCPRIM_400000_NS6detail17trampoline_kernelINS0_14default_configENS1_36segmented_radix_sort_config_selectorIllEEZNS1_25segmented_radix_sort_implIS3_Lb0EPKlPlS8_S9_N2at6native12_GLOBAL__N_18offset_tEEE10hipError_tPvRmT1_PNSt15iterator_traitsISH_E10value_typeET2_T3_PNSI_ISN_E10value_typeET4_jRbjT5_ST_jjP12ihipStream_tbEUlT_E1_NS1_11comp_targetILNS1_3genE10ELNS1_11target_archE1200ELNS1_3gpuE4ELNS1_3repE0EEENS1_59segmented_radix_sort_warp_sort_small_config_static_selectorELNS0_4arch9wavefront6targetE1EEEvSH_.has_recursion, 0
	.set _ZN7rocprim17ROCPRIM_400000_NS6detail17trampoline_kernelINS0_14default_configENS1_36segmented_radix_sort_config_selectorIllEEZNS1_25segmented_radix_sort_implIS3_Lb0EPKlPlS8_S9_N2at6native12_GLOBAL__N_18offset_tEEE10hipError_tPvRmT1_PNSt15iterator_traitsISH_E10value_typeET2_T3_PNSI_ISN_E10value_typeET4_jRbjT5_ST_jjP12ihipStream_tbEUlT_E1_NS1_11comp_targetILNS1_3genE10ELNS1_11target_archE1200ELNS1_3gpuE4ELNS1_3repE0EEENS1_59segmented_radix_sort_warp_sort_small_config_static_selectorELNS0_4arch9wavefront6targetE1EEEvSH_.has_indirect_call, 0
	.section	.AMDGPU.csdata,"",@progbits
; Kernel info:
; codeLenInByte = 0
; TotalNumSgprs: 4
; NumVgprs: 0
; ScratchSize: 0
; MemoryBound: 0
; FloatMode: 240
; IeeeMode: 1
; LDSByteSize: 0 bytes/workgroup (compile time only)
; SGPRBlocks: 0
; VGPRBlocks: 0
; NumSGPRsForWavesPerEU: 4
; NumVGPRsForWavesPerEU: 1
; Occupancy: 10
; WaveLimiterHint : 0
; COMPUTE_PGM_RSRC2:SCRATCH_EN: 0
; COMPUTE_PGM_RSRC2:USER_SGPR: 6
; COMPUTE_PGM_RSRC2:TRAP_HANDLER: 0
; COMPUTE_PGM_RSRC2:TGID_X_EN: 1
; COMPUTE_PGM_RSRC2:TGID_Y_EN: 0
; COMPUTE_PGM_RSRC2:TGID_Z_EN: 0
; COMPUTE_PGM_RSRC2:TIDIG_COMP_CNT: 0
	.section	.text._ZN7rocprim17ROCPRIM_400000_NS6detail17trampoline_kernelINS0_14default_configENS1_36segmented_radix_sort_config_selectorIllEEZNS1_25segmented_radix_sort_implIS3_Lb0EPKlPlS8_S9_N2at6native12_GLOBAL__N_18offset_tEEE10hipError_tPvRmT1_PNSt15iterator_traitsISH_E10value_typeET2_T3_PNSI_ISN_E10value_typeET4_jRbjT5_ST_jjP12ihipStream_tbEUlT_E1_NS1_11comp_targetILNS1_3genE9ELNS1_11target_archE1100ELNS1_3gpuE3ELNS1_3repE0EEENS1_59segmented_radix_sort_warp_sort_small_config_static_selectorELNS0_4arch9wavefront6targetE1EEEvSH_,"axG",@progbits,_ZN7rocprim17ROCPRIM_400000_NS6detail17trampoline_kernelINS0_14default_configENS1_36segmented_radix_sort_config_selectorIllEEZNS1_25segmented_radix_sort_implIS3_Lb0EPKlPlS8_S9_N2at6native12_GLOBAL__N_18offset_tEEE10hipError_tPvRmT1_PNSt15iterator_traitsISH_E10value_typeET2_T3_PNSI_ISN_E10value_typeET4_jRbjT5_ST_jjP12ihipStream_tbEUlT_E1_NS1_11comp_targetILNS1_3genE9ELNS1_11target_archE1100ELNS1_3gpuE3ELNS1_3repE0EEENS1_59segmented_radix_sort_warp_sort_small_config_static_selectorELNS0_4arch9wavefront6targetE1EEEvSH_,comdat
	.globl	_ZN7rocprim17ROCPRIM_400000_NS6detail17trampoline_kernelINS0_14default_configENS1_36segmented_radix_sort_config_selectorIllEEZNS1_25segmented_radix_sort_implIS3_Lb0EPKlPlS8_S9_N2at6native12_GLOBAL__N_18offset_tEEE10hipError_tPvRmT1_PNSt15iterator_traitsISH_E10value_typeET2_T3_PNSI_ISN_E10value_typeET4_jRbjT5_ST_jjP12ihipStream_tbEUlT_E1_NS1_11comp_targetILNS1_3genE9ELNS1_11target_archE1100ELNS1_3gpuE3ELNS1_3repE0EEENS1_59segmented_radix_sort_warp_sort_small_config_static_selectorELNS0_4arch9wavefront6targetE1EEEvSH_ ; -- Begin function _ZN7rocprim17ROCPRIM_400000_NS6detail17trampoline_kernelINS0_14default_configENS1_36segmented_radix_sort_config_selectorIllEEZNS1_25segmented_radix_sort_implIS3_Lb0EPKlPlS8_S9_N2at6native12_GLOBAL__N_18offset_tEEE10hipError_tPvRmT1_PNSt15iterator_traitsISH_E10value_typeET2_T3_PNSI_ISN_E10value_typeET4_jRbjT5_ST_jjP12ihipStream_tbEUlT_E1_NS1_11comp_targetILNS1_3genE9ELNS1_11target_archE1100ELNS1_3gpuE3ELNS1_3repE0EEENS1_59segmented_radix_sort_warp_sort_small_config_static_selectorELNS0_4arch9wavefront6targetE1EEEvSH_
	.p2align	8
	.type	_ZN7rocprim17ROCPRIM_400000_NS6detail17trampoline_kernelINS0_14default_configENS1_36segmented_radix_sort_config_selectorIllEEZNS1_25segmented_radix_sort_implIS3_Lb0EPKlPlS8_S9_N2at6native12_GLOBAL__N_18offset_tEEE10hipError_tPvRmT1_PNSt15iterator_traitsISH_E10value_typeET2_T3_PNSI_ISN_E10value_typeET4_jRbjT5_ST_jjP12ihipStream_tbEUlT_E1_NS1_11comp_targetILNS1_3genE9ELNS1_11target_archE1100ELNS1_3gpuE3ELNS1_3repE0EEENS1_59segmented_radix_sort_warp_sort_small_config_static_selectorELNS0_4arch9wavefront6targetE1EEEvSH_,@function
_ZN7rocprim17ROCPRIM_400000_NS6detail17trampoline_kernelINS0_14default_configENS1_36segmented_radix_sort_config_selectorIllEEZNS1_25segmented_radix_sort_implIS3_Lb0EPKlPlS8_S9_N2at6native12_GLOBAL__N_18offset_tEEE10hipError_tPvRmT1_PNSt15iterator_traitsISH_E10value_typeET2_T3_PNSI_ISN_E10value_typeET4_jRbjT5_ST_jjP12ihipStream_tbEUlT_E1_NS1_11comp_targetILNS1_3genE9ELNS1_11target_archE1100ELNS1_3gpuE3ELNS1_3repE0EEENS1_59segmented_radix_sort_warp_sort_small_config_static_selectorELNS0_4arch9wavefront6targetE1EEEvSH_: ; @_ZN7rocprim17ROCPRIM_400000_NS6detail17trampoline_kernelINS0_14default_configENS1_36segmented_radix_sort_config_selectorIllEEZNS1_25segmented_radix_sort_implIS3_Lb0EPKlPlS8_S9_N2at6native12_GLOBAL__N_18offset_tEEE10hipError_tPvRmT1_PNSt15iterator_traitsISH_E10value_typeET2_T3_PNSI_ISN_E10value_typeET4_jRbjT5_ST_jjP12ihipStream_tbEUlT_E1_NS1_11comp_targetILNS1_3genE9ELNS1_11target_archE1100ELNS1_3gpuE3ELNS1_3repE0EEENS1_59segmented_radix_sort_warp_sort_small_config_static_selectorELNS0_4arch9wavefront6targetE1EEEvSH_
; %bb.0:
	.section	.rodata,"a",@progbits
	.p2align	6, 0x0
	.amdhsa_kernel _ZN7rocprim17ROCPRIM_400000_NS6detail17trampoline_kernelINS0_14default_configENS1_36segmented_radix_sort_config_selectorIllEEZNS1_25segmented_radix_sort_implIS3_Lb0EPKlPlS8_S9_N2at6native12_GLOBAL__N_18offset_tEEE10hipError_tPvRmT1_PNSt15iterator_traitsISH_E10value_typeET2_T3_PNSI_ISN_E10value_typeET4_jRbjT5_ST_jjP12ihipStream_tbEUlT_E1_NS1_11comp_targetILNS1_3genE9ELNS1_11target_archE1100ELNS1_3gpuE3ELNS1_3repE0EEENS1_59segmented_radix_sort_warp_sort_small_config_static_selectorELNS0_4arch9wavefront6targetE1EEEvSH_
		.amdhsa_group_segment_fixed_size 0
		.amdhsa_private_segment_fixed_size 0
		.amdhsa_kernarg_size 88
		.amdhsa_user_sgpr_count 6
		.amdhsa_user_sgpr_private_segment_buffer 1
		.amdhsa_user_sgpr_dispatch_ptr 0
		.amdhsa_user_sgpr_queue_ptr 0
		.amdhsa_user_sgpr_kernarg_segment_ptr 1
		.amdhsa_user_sgpr_dispatch_id 0
		.amdhsa_user_sgpr_flat_scratch_init 0
		.amdhsa_user_sgpr_private_segment_size 0
		.amdhsa_uses_dynamic_stack 0
		.amdhsa_system_sgpr_private_segment_wavefront_offset 0
		.amdhsa_system_sgpr_workgroup_id_x 1
		.amdhsa_system_sgpr_workgroup_id_y 0
		.amdhsa_system_sgpr_workgroup_id_z 0
		.amdhsa_system_sgpr_workgroup_info 0
		.amdhsa_system_vgpr_workitem_id 0
		.amdhsa_next_free_vgpr 1
		.amdhsa_next_free_sgpr 0
		.amdhsa_reserve_vcc 0
		.amdhsa_reserve_flat_scratch 0
		.amdhsa_float_round_mode_32 0
		.amdhsa_float_round_mode_16_64 0
		.amdhsa_float_denorm_mode_32 3
		.amdhsa_float_denorm_mode_16_64 3
		.amdhsa_dx10_clamp 1
		.amdhsa_ieee_mode 1
		.amdhsa_fp16_overflow 0
		.amdhsa_exception_fp_ieee_invalid_op 0
		.amdhsa_exception_fp_denorm_src 0
		.amdhsa_exception_fp_ieee_div_zero 0
		.amdhsa_exception_fp_ieee_overflow 0
		.amdhsa_exception_fp_ieee_underflow 0
		.amdhsa_exception_fp_ieee_inexact 0
		.amdhsa_exception_int_div_zero 0
	.end_amdhsa_kernel
	.section	.text._ZN7rocprim17ROCPRIM_400000_NS6detail17trampoline_kernelINS0_14default_configENS1_36segmented_radix_sort_config_selectorIllEEZNS1_25segmented_radix_sort_implIS3_Lb0EPKlPlS8_S9_N2at6native12_GLOBAL__N_18offset_tEEE10hipError_tPvRmT1_PNSt15iterator_traitsISH_E10value_typeET2_T3_PNSI_ISN_E10value_typeET4_jRbjT5_ST_jjP12ihipStream_tbEUlT_E1_NS1_11comp_targetILNS1_3genE9ELNS1_11target_archE1100ELNS1_3gpuE3ELNS1_3repE0EEENS1_59segmented_radix_sort_warp_sort_small_config_static_selectorELNS0_4arch9wavefront6targetE1EEEvSH_,"axG",@progbits,_ZN7rocprim17ROCPRIM_400000_NS6detail17trampoline_kernelINS0_14default_configENS1_36segmented_radix_sort_config_selectorIllEEZNS1_25segmented_radix_sort_implIS3_Lb0EPKlPlS8_S9_N2at6native12_GLOBAL__N_18offset_tEEE10hipError_tPvRmT1_PNSt15iterator_traitsISH_E10value_typeET2_T3_PNSI_ISN_E10value_typeET4_jRbjT5_ST_jjP12ihipStream_tbEUlT_E1_NS1_11comp_targetILNS1_3genE9ELNS1_11target_archE1100ELNS1_3gpuE3ELNS1_3repE0EEENS1_59segmented_radix_sort_warp_sort_small_config_static_selectorELNS0_4arch9wavefront6targetE1EEEvSH_,comdat
.Lfunc_end835:
	.size	_ZN7rocprim17ROCPRIM_400000_NS6detail17trampoline_kernelINS0_14default_configENS1_36segmented_radix_sort_config_selectorIllEEZNS1_25segmented_radix_sort_implIS3_Lb0EPKlPlS8_S9_N2at6native12_GLOBAL__N_18offset_tEEE10hipError_tPvRmT1_PNSt15iterator_traitsISH_E10value_typeET2_T3_PNSI_ISN_E10value_typeET4_jRbjT5_ST_jjP12ihipStream_tbEUlT_E1_NS1_11comp_targetILNS1_3genE9ELNS1_11target_archE1100ELNS1_3gpuE3ELNS1_3repE0EEENS1_59segmented_radix_sort_warp_sort_small_config_static_selectorELNS0_4arch9wavefront6targetE1EEEvSH_, .Lfunc_end835-_ZN7rocprim17ROCPRIM_400000_NS6detail17trampoline_kernelINS0_14default_configENS1_36segmented_radix_sort_config_selectorIllEEZNS1_25segmented_radix_sort_implIS3_Lb0EPKlPlS8_S9_N2at6native12_GLOBAL__N_18offset_tEEE10hipError_tPvRmT1_PNSt15iterator_traitsISH_E10value_typeET2_T3_PNSI_ISN_E10value_typeET4_jRbjT5_ST_jjP12ihipStream_tbEUlT_E1_NS1_11comp_targetILNS1_3genE9ELNS1_11target_archE1100ELNS1_3gpuE3ELNS1_3repE0EEENS1_59segmented_radix_sort_warp_sort_small_config_static_selectorELNS0_4arch9wavefront6targetE1EEEvSH_
                                        ; -- End function
	.set _ZN7rocprim17ROCPRIM_400000_NS6detail17trampoline_kernelINS0_14default_configENS1_36segmented_radix_sort_config_selectorIllEEZNS1_25segmented_radix_sort_implIS3_Lb0EPKlPlS8_S9_N2at6native12_GLOBAL__N_18offset_tEEE10hipError_tPvRmT1_PNSt15iterator_traitsISH_E10value_typeET2_T3_PNSI_ISN_E10value_typeET4_jRbjT5_ST_jjP12ihipStream_tbEUlT_E1_NS1_11comp_targetILNS1_3genE9ELNS1_11target_archE1100ELNS1_3gpuE3ELNS1_3repE0EEENS1_59segmented_radix_sort_warp_sort_small_config_static_selectorELNS0_4arch9wavefront6targetE1EEEvSH_.num_vgpr, 0
	.set _ZN7rocprim17ROCPRIM_400000_NS6detail17trampoline_kernelINS0_14default_configENS1_36segmented_radix_sort_config_selectorIllEEZNS1_25segmented_radix_sort_implIS3_Lb0EPKlPlS8_S9_N2at6native12_GLOBAL__N_18offset_tEEE10hipError_tPvRmT1_PNSt15iterator_traitsISH_E10value_typeET2_T3_PNSI_ISN_E10value_typeET4_jRbjT5_ST_jjP12ihipStream_tbEUlT_E1_NS1_11comp_targetILNS1_3genE9ELNS1_11target_archE1100ELNS1_3gpuE3ELNS1_3repE0EEENS1_59segmented_radix_sort_warp_sort_small_config_static_selectorELNS0_4arch9wavefront6targetE1EEEvSH_.num_agpr, 0
	.set _ZN7rocprim17ROCPRIM_400000_NS6detail17trampoline_kernelINS0_14default_configENS1_36segmented_radix_sort_config_selectorIllEEZNS1_25segmented_radix_sort_implIS3_Lb0EPKlPlS8_S9_N2at6native12_GLOBAL__N_18offset_tEEE10hipError_tPvRmT1_PNSt15iterator_traitsISH_E10value_typeET2_T3_PNSI_ISN_E10value_typeET4_jRbjT5_ST_jjP12ihipStream_tbEUlT_E1_NS1_11comp_targetILNS1_3genE9ELNS1_11target_archE1100ELNS1_3gpuE3ELNS1_3repE0EEENS1_59segmented_radix_sort_warp_sort_small_config_static_selectorELNS0_4arch9wavefront6targetE1EEEvSH_.numbered_sgpr, 0
	.set _ZN7rocprim17ROCPRIM_400000_NS6detail17trampoline_kernelINS0_14default_configENS1_36segmented_radix_sort_config_selectorIllEEZNS1_25segmented_radix_sort_implIS3_Lb0EPKlPlS8_S9_N2at6native12_GLOBAL__N_18offset_tEEE10hipError_tPvRmT1_PNSt15iterator_traitsISH_E10value_typeET2_T3_PNSI_ISN_E10value_typeET4_jRbjT5_ST_jjP12ihipStream_tbEUlT_E1_NS1_11comp_targetILNS1_3genE9ELNS1_11target_archE1100ELNS1_3gpuE3ELNS1_3repE0EEENS1_59segmented_radix_sort_warp_sort_small_config_static_selectorELNS0_4arch9wavefront6targetE1EEEvSH_.num_named_barrier, 0
	.set _ZN7rocprim17ROCPRIM_400000_NS6detail17trampoline_kernelINS0_14default_configENS1_36segmented_radix_sort_config_selectorIllEEZNS1_25segmented_radix_sort_implIS3_Lb0EPKlPlS8_S9_N2at6native12_GLOBAL__N_18offset_tEEE10hipError_tPvRmT1_PNSt15iterator_traitsISH_E10value_typeET2_T3_PNSI_ISN_E10value_typeET4_jRbjT5_ST_jjP12ihipStream_tbEUlT_E1_NS1_11comp_targetILNS1_3genE9ELNS1_11target_archE1100ELNS1_3gpuE3ELNS1_3repE0EEENS1_59segmented_radix_sort_warp_sort_small_config_static_selectorELNS0_4arch9wavefront6targetE1EEEvSH_.private_seg_size, 0
	.set _ZN7rocprim17ROCPRIM_400000_NS6detail17trampoline_kernelINS0_14default_configENS1_36segmented_radix_sort_config_selectorIllEEZNS1_25segmented_radix_sort_implIS3_Lb0EPKlPlS8_S9_N2at6native12_GLOBAL__N_18offset_tEEE10hipError_tPvRmT1_PNSt15iterator_traitsISH_E10value_typeET2_T3_PNSI_ISN_E10value_typeET4_jRbjT5_ST_jjP12ihipStream_tbEUlT_E1_NS1_11comp_targetILNS1_3genE9ELNS1_11target_archE1100ELNS1_3gpuE3ELNS1_3repE0EEENS1_59segmented_radix_sort_warp_sort_small_config_static_selectorELNS0_4arch9wavefront6targetE1EEEvSH_.uses_vcc, 0
	.set _ZN7rocprim17ROCPRIM_400000_NS6detail17trampoline_kernelINS0_14default_configENS1_36segmented_radix_sort_config_selectorIllEEZNS1_25segmented_radix_sort_implIS3_Lb0EPKlPlS8_S9_N2at6native12_GLOBAL__N_18offset_tEEE10hipError_tPvRmT1_PNSt15iterator_traitsISH_E10value_typeET2_T3_PNSI_ISN_E10value_typeET4_jRbjT5_ST_jjP12ihipStream_tbEUlT_E1_NS1_11comp_targetILNS1_3genE9ELNS1_11target_archE1100ELNS1_3gpuE3ELNS1_3repE0EEENS1_59segmented_radix_sort_warp_sort_small_config_static_selectorELNS0_4arch9wavefront6targetE1EEEvSH_.uses_flat_scratch, 0
	.set _ZN7rocprim17ROCPRIM_400000_NS6detail17trampoline_kernelINS0_14default_configENS1_36segmented_radix_sort_config_selectorIllEEZNS1_25segmented_radix_sort_implIS3_Lb0EPKlPlS8_S9_N2at6native12_GLOBAL__N_18offset_tEEE10hipError_tPvRmT1_PNSt15iterator_traitsISH_E10value_typeET2_T3_PNSI_ISN_E10value_typeET4_jRbjT5_ST_jjP12ihipStream_tbEUlT_E1_NS1_11comp_targetILNS1_3genE9ELNS1_11target_archE1100ELNS1_3gpuE3ELNS1_3repE0EEENS1_59segmented_radix_sort_warp_sort_small_config_static_selectorELNS0_4arch9wavefront6targetE1EEEvSH_.has_dyn_sized_stack, 0
	.set _ZN7rocprim17ROCPRIM_400000_NS6detail17trampoline_kernelINS0_14default_configENS1_36segmented_radix_sort_config_selectorIllEEZNS1_25segmented_radix_sort_implIS3_Lb0EPKlPlS8_S9_N2at6native12_GLOBAL__N_18offset_tEEE10hipError_tPvRmT1_PNSt15iterator_traitsISH_E10value_typeET2_T3_PNSI_ISN_E10value_typeET4_jRbjT5_ST_jjP12ihipStream_tbEUlT_E1_NS1_11comp_targetILNS1_3genE9ELNS1_11target_archE1100ELNS1_3gpuE3ELNS1_3repE0EEENS1_59segmented_radix_sort_warp_sort_small_config_static_selectorELNS0_4arch9wavefront6targetE1EEEvSH_.has_recursion, 0
	.set _ZN7rocprim17ROCPRIM_400000_NS6detail17trampoline_kernelINS0_14default_configENS1_36segmented_radix_sort_config_selectorIllEEZNS1_25segmented_radix_sort_implIS3_Lb0EPKlPlS8_S9_N2at6native12_GLOBAL__N_18offset_tEEE10hipError_tPvRmT1_PNSt15iterator_traitsISH_E10value_typeET2_T3_PNSI_ISN_E10value_typeET4_jRbjT5_ST_jjP12ihipStream_tbEUlT_E1_NS1_11comp_targetILNS1_3genE9ELNS1_11target_archE1100ELNS1_3gpuE3ELNS1_3repE0EEENS1_59segmented_radix_sort_warp_sort_small_config_static_selectorELNS0_4arch9wavefront6targetE1EEEvSH_.has_indirect_call, 0
	.section	.AMDGPU.csdata,"",@progbits
; Kernel info:
; codeLenInByte = 0
; TotalNumSgprs: 4
; NumVgprs: 0
; ScratchSize: 0
; MemoryBound: 0
; FloatMode: 240
; IeeeMode: 1
; LDSByteSize: 0 bytes/workgroup (compile time only)
; SGPRBlocks: 0
; VGPRBlocks: 0
; NumSGPRsForWavesPerEU: 4
; NumVGPRsForWavesPerEU: 1
; Occupancy: 10
; WaveLimiterHint : 0
; COMPUTE_PGM_RSRC2:SCRATCH_EN: 0
; COMPUTE_PGM_RSRC2:USER_SGPR: 6
; COMPUTE_PGM_RSRC2:TRAP_HANDLER: 0
; COMPUTE_PGM_RSRC2:TGID_X_EN: 1
; COMPUTE_PGM_RSRC2:TGID_Y_EN: 0
; COMPUTE_PGM_RSRC2:TGID_Z_EN: 0
; COMPUTE_PGM_RSRC2:TIDIG_COMP_CNT: 0
	.section	.text._ZN7rocprim17ROCPRIM_400000_NS6detail17trampoline_kernelINS0_14default_configENS1_36segmented_radix_sort_config_selectorIllEEZNS1_25segmented_radix_sort_implIS3_Lb0EPKlPlS8_S9_N2at6native12_GLOBAL__N_18offset_tEEE10hipError_tPvRmT1_PNSt15iterator_traitsISH_E10value_typeET2_T3_PNSI_ISN_E10value_typeET4_jRbjT5_ST_jjP12ihipStream_tbEUlT_E1_NS1_11comp_targetILNS1_3genE8ELNS1_11target_archE1030ELNS1_3gpuE2ELNS1_3repE0EEENS1_59segmented_radix_sort_warp_sort_small_config_static_selectorELNS0_4arch9wavefront6targetE1EEEvSH_,"axG",@progbits,_ZN7rocprim17ROCPRIM_400000_NS6detail17trampoline_kernelINS0_14default_configENS1_36segmented_radix_sort_config_selectorIllEEZNS1_25segmented_radix_sort_implIS3_Lb0EPKlPlS8_S9_N2at6native12_GLOBAL__N_18offset_tEEE10hipError_tPvRmT1_PNSt15iterator_traitsISH_E10value_typeET2_T3_PNSI_ISN_E10value_typeET4_jRbjT5_ST_jjP12ihipStream_tbEUlT_E1_NS1_11comp_targetILNS1_3genE8ELNS1_11target_archE1030ELNS1_3gpuE2ELNS1_3repE0EEENS1_59segmented_radix_sort_warp_sort_small_config_static_selectorELNS0_4arch9wavefront6targetE1EEEvSH_,comdat
	.globl	_ZN7rocprim17ROCPRIM_400000_NS6detail17trampoline_kernelINS0_14default_configENS1_36segmented_radix_sort_config_selectorIllEEZNS1_25segmented_radix_sort_implIS3_Lb0EPKlPlS8_S9_N2at6native12_GLOBAL__N_18offset_tEEE10hipError_tPvRmT1_PNSt15iterator_traitsISH_E10value_typeET2_T3_PNSI_ISN_E10value_typeET4_jRbjT5_ST_jjP12ihipStream_tbEUlT_E1_NS1_11comp_targetILNS1_3genE8ELNS1_11target_archE1030ELNS1_3gpuE2ELNS1_3repE0EEENS1_59segmented_radix_sort_warp_sort_small_config_static_selectorELNS0_4arch9wavefront6targetE1EEEvSH_ ; -- Begin function _ZN7rocprim17ROCPRIM_400000_NS6detail17trampoline_kernelINS0_14default_configENS1_36segmented_radix_sort_config_selectorIllEEZNS1_25segmented_radix_sort_implIS3_Lb0EPKlPlS8_S9_N2at6native12_GLOBAL__N_18offset_tEEE10hipError_tPvRmT1_PNSt15iterator_traitsISH_E10value_typeET2_T3_PNSI_ISN_E10value_typeET4_jRbjT5_ST_jjP12ihipStream_tbEUlT_E1_NS1_11comp_targetILNS1_3genE8ELNS1_11target_archE1030ELNS1_3gpuE2ELNS1_3repE0EEENS1_59segmented_radix_sort_warp_sort_small_config_static_selectorELNS0_4arch9wavefront6targetE1EEEvSH_
	.p2align	8
	.type	_ZN7rocprim17ROCPRIM_400000_NS6detail17trampoline_kernelINS0_14default_configENS1_36segmented_radix_sort_config_selectorIllEEZNS1_25segmented_radix_sort_implIS3_Lb0EPKlPlS8_S9_N2at6native12_GLOBAL__N_18offset_tEEE10hipError_tPvRmT1_PNSt15iterator_traitsISH_E10value_typeET2_T3_PNSI_ISN_E10value_typeET4_jRbjT5_ST_jjP12ihipStream_tbEUlT_E1_NS1_11comp_targetILNS1_3genE8ELNS1_11target_archE1030ELNS1_3gpuE2ELNS1_3repE0EEENS1_59segmented_radix_sort_warp_sort_small_config_static_selectorELNS0_4arch9wavefront6targetE1EEEvSH_,@function
_ZN7rocprim17ROCPRIM_400000_NS6detail17trampoline_kernelINS0_14default_configENS1_36segmented_radix_sort_config_selectorIllEEZNS1_25segmented_radix_sort_implIS3_Lb0EPKlPlS8_S9_N2at6native12_GLOBAL__N_18offset_tEEE10hipError_tPvRmT1_PNSt15iterator_traitsISH_E10value_typeET2_T3_PNSI_ISN_E10value_typeET4_jRbjT5_ST_jjP12ihipStream_tbEUlT_E1_NS1_11comp_targetILNS1_3genE8ELNS1_11target_archE1030ELNS1_3gpuE2ELNS1_3repE0EEENS1_59segmented_radix_sort_warp_sort_small_config_static_selectorELNS0_4arch9wavefront6targetE1EEEvSH_: ; @_ZN7rocprim17ROCPRIM_400000_NS6detail17trampoline_kernelINS0_14default_configENS1_36segmented_radix_sort_config_selectorIllEEZNS1_25segmented_radix_sort_implIS3_Lb0EPKlPlS8_S9_N2at6native12_GLOBAL__N_18offset_tEEE10hipError_tPvRmT1_PNSt15iterator_traitsISH_E10value_typeET2_T3_PNSI_ISN_E10value_typeET4_jRbjT5_ST_jjP12ihipStream_tbEUlT_E1_NS1_11comp_targetILNS1_3genE8ELNS1_11target_archE1030ELNS1_3gpuE2ELNS1_3repE0EEENS1_59segmented_radix_sort_warp_sort_small_config_static_selectorELNS0_4arch9wavefront6targetE1EEEvSH_
; %bb.0:
	.section	.rodata,"a",@progbits
	.p2align	6, 0x0
	.amdhsa_kernel _ZN7rocprim17ROCPRIM_400000_NS6detail17trampoline_kernelINS0_14default_configENS1_36segmented_radix_sort_config_selectorIllEEZNS1_25segmented_radix_sort_implIS3_Lb0EPKlPlS8_S9_N2at6native12_GLOBAL__N_18offset_tEEE10hipError_tPvRmT1_PNSt15iterator_traitsISH_E10value_typeET2_T3_PNSI_ISN_E10value_typeET4_jRbjT5_ST_jjP12ihipStream_tbEUlT_E1_NS1_11comp_targetILNS1_3genE8ELNS1_11target_archE1030ELNS1_3gpuE2ELNS1_3repE0EEENS1_59segmented_radix_sort_warp_sort_small_config_static_selectorELNS0_4arch9wavefront6targetE1EEEvSH_
		.amdhsa_group_segment_fixed_size 0
		.amdhsa_private_segment_fixed_size 0
		.amdhsa_kernarg_size 88
		.amdhsa_user_sgpr_count 6
		.amdhsa_user_sgpr_private_segment_buffer 1
		.amdhsa_user_sgpr_dispatch_ptr 0
		.amdhsa_user_sgpr_queue_ptr 0
		.amdhsa_user_sgpr_kernarg_segment_ptr 1
		.amdhsa_user_sgpr_dispatch_id 0
		.amdhsa_user_sgpr_flat_scratch_init 0
		.amdhsa_user_sgpr_private_segment_size 0
		.amdhsa_uses_dynamic_stack 0
		.amdhsa_system_sgpr_private_segment_wavefront_offset 0
		.amdhsa_system_sgpr_workgroup_id_x 1
		.amdhsa_system_sgpr_workgroup_id_y 0
		.amdhsa_system_sgpr_workgroup_id_z 0
		.amdhsa_system_sgpr_workgroup_info 0
		.amdhsa_system_vgpr_workitem_id 0
		.amdhsa_next_free_vgpr 1
		.amdhsa_next_free_sgpr 0
		.amdhsa_reserve_vcc 0
		.amdhsa_reserve_flat_scratch 0
		.amdhsa_float_round_mode_32 0
		.amdhsa_float_round_mode_16_64 0
		.amdhsa_float_denorm_mode_32 3
		.amdhsa_float_denorm_mode_16_64 3
		.amdhsa_dx10_clamp 1
		.amdhsa_ieee_mode 1
		.amdhsa_fp16_overflow 0
		.amdhsa_exception_fp_ieee_invalid_op 0
		.amdhsa_exception_fp_denorm_src 0
		.amdhsa_exception_fp_ieee_div_zero 0
		.amdhsa_exception_fp_ieee_overflow 0
		.amdhsa_exception_fp_ieee_underflow 0
		.amdhsa_exception_fp_ieee_inexact 0
		.amdhsa_exception_int_div_zero 0
	.end_amdhsa_kernel
	.section	.text._ZN7rocprim17ROCPRIM_400000_NS6detail17trampoline_kernelINS0_14default_configENS1_36segmented_radix_sort_config_selectorIllEEZNS1_25segmented_radix_sort_implIS3_Lb0EPKlPlS8_S9_N2at6native12_GLOBAL__N_18offset_tEEE10hipError_tPvRmT1_PNSt15iterator_traitsISH_E10value_typeET2_T3_PNSI_ISN_E10value_typeET4_jRbjT5_ST_jjP12ihipStream_tbEUlT_E1_NS1_11comp_targetILNS1_3genE8ELNS1_11target_archE1030ELNS1_3gpuE2ELNS1_3repE0EEENS1_59segmented_radix_sort_warp_sort_small_config_static_selectorELNS0_4arch9wavefront6targetE1EEEvSH_,"axG",@progbits,_ZN7rocprim17ROCPRIM_400000_NS6detail17trampoline_kernelINS0_14default_configENS1_36segmented_radix_sort_config_selectorIllEEZNS1_25segmented_radix_sort_implIS3_Lb0EPKlPlS8_S9_N2at6native12_GLOBAL__N_18offset_tEEE10hipError_tPvRmT1_PNSt15iterator_traitsISH_E10value_typeET2_T3_PNSI_ISN_E10value_typeET4_jRbjT5_ST_jjP12ihipStream_tbEUlT_E1_NS1_11comp_targetILNS1_3genE8ELNS1_11target_archE1030ELNS1_3gpuE2ELNS1_3repE0EEENS1_59segmented_radix_sort_warp_sort_small_config_static_selectorELNS0_4arch9wavefront6targetE1EEEvSH_,comdat
.Lfunc_end836:
	.size	_ZN7rocprim17ROCPRIM_400000_NS6detail17trampoline_kernelINS0_14default_configENS1_36segmented_radix_sort_config_selectorIllEEZNS1_25segmented_radix_sort_implIS3_Lb0EPKlPlS8_S9_N2at6native12_GLOBAL__N_18offset_tEEE10hipError_tPvRmT1_PNSt15iterator_traitsISH_E10value_typeET2_T3_PNSI_ISN_E10value_typeET4_jRbjT5_ST_jjP12ihipStream_tbEUlT_E1_NS1_11comp_targetILNS1_3genE8ELNS1_11target_archE1030ELNS1_3gpuE2ELNS1_3repE0EEENS1_59segmented_radix_sort_warp_sort_small_config_static_selectorELNS0_4arch9wavefront6targetE1EEEvSH_, .Lfunc_end836-_ZN7rocprim17ROCPRIM_400000_NS6detail17trampoline_kernelINS0_14default_configENS1_36segmented_radix_sort_config_selectorIllEEZNS1_25segmented_radix_sort_implIS3_Lb0EPKlPlS8_S9_N2at6native12_GLOBAL__N_18offset_tEEE10hipError_tPvRmT1_PNSt15iterator_traitsISH_E10value_typeET2_T3_PNSI_ISN_E10value_typeET4_jRbjT5_ST_jjP12ihipStream_tbEUlT_E1_NS1_11comp_targetILNS1_3genE8ELNS1_11target_archE1030ELNS1_3gpuE2ELNS1_3repE0EEENS1_59segmented_radix_sort_warp_sort_small_config_static_selectorELNS0_4arch9wavefront6targetE1EEEvSH_
                                        ; -- End function
	.set _ZN7rocprim17ROCPRIM_400000_NS6detail17trampoline_kernelINS0_14default_configENS1_36segmented_radix_sort_config_selectorIllEEZNS1_25segmented_radix_sort_implIS3_Lb0EPKlPlS8_S9_N2at6native12_GLOBAL__N_18offset_tEEE10hipError_tPvRmT1_PNSt15iterator_traitsISH_E10value_typeET2_T3_PNSI_ISN_E10value_typeET4_jRbjT5_ST_jjP12ihipStream_tbEUlT_E1_NS1_11comp_targetILNS1_3genE8ELNS1_11target_archE1030ELNS1_3gpuE2ELNS1_3repE0EEENS1_59segmented_radix_sort_warp_sort_small_config_static_selectorELNS0_4arch9wavefront6targetE1EEEvSH_.num_vgpr, 0
	.set _ZN7rocprim17ROCPRIM_400000_NS6detail17trampoline_kernelINS0_14default_configENS1_36segmented_radix_sort_config_selectorIllEEZNS1_25segmented_radix_sort_implIS3_Lb0EPKlPlS8_S9_N2at6native12_GLOBAL__N_18offset_tEEE10hipError_tPvRmT1_PNSt15iterator_traitsISH_E10value_typeET2_T3_PNSI_ISN_E10value_typeET4_jRbjT5_ST_jjP12ihipStream_tbEUlT_E1_NS1_11comp_targetILNS1_3genE8ELNS1_11target_archE1030ELNS1_3gpuE2ELNS1_3repE0EEENS1_59segmented_radix_sort_warp_sort_small_config_static_selectorELNS0_4arch9wavefront6targetE1EEEvSH_.num_agpr, 0
	.set _ZN7rocprim17ROCPRIM_400000_NS6detail17trampoline_kernelINS0_14default_configENS1_36segmented_radix_sort_config_selectorIllEEZNS1_25segmented_radix_sort_implIS3_Lb0EPKlPlS8_S9_N2at6native12_GLOBAL__N_18offset_tEEE10hipError_tPvRmT1_PNSt15iterator_traitsISH_E10value_typeET2_T3_PNSI_ISN_E10value_typeET4_jRbjT5_ST_jjP12ihipStream_tbEUlT_E1_NS1_11comp_targetILNS1_3genE8ELNS1_11target_archE1030ELNS1_3gpuE2ELNS1_3repE0EEENS1_59segmented_radix_sort_warp_sort_small_config_static_selectorELNS0_4arch9wavefront6targetE1EEEvSH_.numbered_sgpr, 0
	.set _ZN7rocprim17ROCPRIM_400000_NS6detail17trampoline_kernelINS0_14default_configENS1_36segmented_radix_sort_config_selectorIllEEZNS1_25segmented_radix_sort_implIS3_Lb0EPKlPlS8_S9_N2at6native12_GLOBAL__N_18offset_tEEE10hipError_tPvRmT1_PNSt15iterator_traitsISH_E10value_typeET2_T3_PNSI_ISN_E10value_typeET4_jRbjT5_ST_jjP12ihipStream_tbEUlT_E1_NS1_11comp_targetILNS1_3genE8ELNS1_11target_archE1030ELNS1_3gpuE2ELNS1_3repE0EEENS1_59segmented_radix_sort_warp_sort_small_config_static_selectorELNS0_4arch9wavefront6targetE1EEEvSH_.num_named_barrier, 0
	.set _ZN7rocprim17ROCPRIM_400000_NS6detail17trampoline_kernelINS0_14default_configENS1_36segmented_radix_sort_config_selectorIllEEZNS1_25segmented_radix_sort_implIS3_Lb0EPKlPlS8_S9_N2at6native12_GLOBAL__N_18offset_tEEE10hipError_tPvRmT1_PNSt15iterator_traitsISH_E10value_typeET2_T3_PNSI_ISN_E10value_typeET4_jRbjT5_ST_jjP12ihipStream_tbEUlT_E1_NS1_11comp_targetILNS1_3genE8ELNS1_11target_archE1030ELNS1_3gpuE2ELNS1_3repE0EEENS1_59segmented_radix_sort_warp_sort_small_config_static_selectorELNS0_4arch9wavefront6targetE1EEEvSH_.private_seg_size, 0
	.set _ZN7rocprim17ROCPRIM_400000_NS6detail17trampoline_kernelINS0_14default_configENS1_36segmented_radix_sort_config_selectorIllEEZNS1_25segmented_radix_sort_implIS3_Lb0EPKlPlS8_S9_N2at6native12_GLOBAL__N_18offset_tEEE10hipError_tPvRmT1_PNSt15iterator_traitsISH_E10value_typeET2_T3_PNSI_ISN_E10value_typeET4_jRbjT5_ST_jjP12ihipStream_tbEUlT_E1_NS1_11comp_targetILNS1_3genE8ELNS1_11target_archE1030ELNS1_3gpuE2ELNS1_3repE0EEENS1_59segmented_radix_sort_warp_sort_small_config_static_selectorELNS0_4arch9wavefront6targetE1EEEvSH_.uses_vcc, 0
	.set _ZN7rocprim17ROCPRIM_400000_NS6detail17trampoline_kernelINS0_14default_configENS1_36segmented_radix_sort_config_selectorIllEEZNS1_25segmented_radix_sort_implIS3_Lb0EPKlPlS8_S9_N2at6native12_GLOBAL__N_18offset_tEEE10hipError_tPvRmT1_PNSt15iterator_traitsISH_E10value_typeET2_T3_PNSI_ISN_E10value_typeET4_jRbjT5_ST_jjP12ihipStream_tbEUlT_E1_NS1_11comp_targetILNS1_3genE8ELNS1_11target_archE1030ELNS1_3gpuE2ELNS1_3repE0EEENS1_59segmented_radix_sort_warp_sort_small_config_static_selectorELNS0_4arch9wavefront6targetE1EEEvSH_.uses_flat_scratch, 0
	.set _ZN7rocprim17ROCPRIM_400000_NS6detail17trampoline_kernelINS0_14default_configENS1_36segmented_radix_sort_config_selectorIllEEZNS1_25segmented_radix_sort_implIS3_Lb0EPKlPlS8_S9_N2at6native12_GLOBAL__N_18offset_tEEE10hipError_tPvRmT1_PNSt15iterator_traitsISH_E10value_typeET2_T3_PNSI_ISN_E10value_typeET4_jRbjT5_ST_jjP12ihipStream_tbEUlT_E1_NS1_11comp_targetILNS1_3genE8ELNS1_11target_archE1030ELNS1_3gpuE2ELNS1_3repE0EEENS1_59segmented_radix_sort_warp_sort_small_config_static_selectorELNS0_4arch9wavefront6targetE1EEEvSH_.has_dyn_sized_stack, 0
	.set _ZN7rocprim17ROCPRIM_400000_NS6detail17trampoline_kernelINS0_14default_configENS1_36segmented_radix_sort_config_selectorIllEEZNS1_25segmented_radix_sort_implIS3_Lb0EPKlPlS8_S9_N2at6native12_GLOBAL__N_18offset_tEEE10hipError_tPvRmT1_PNSt15iterator_traitsISH_E10value_typeET2_T3_PNSI_ISN_E10value_typeET4_jRbjT5_ST_jjP12ihipStream_tbEUlT_E1_NS1_11comp_targetILNS1_3genE8ELNS1_11target_archE1030ELNS1_3gpuE2ELNS1_3repE0EEENS1_59segmented_radix_sort_warp_sort_small_config_static_selectorELNS0_4arch9wavefront6targetE1EEEvSH_.has_recursion, 0
	.set _ZN7rocprim17ROCPRIM_400000_NS6detail17trampoline_kernelINS0_14default_configENS1_36segmented_radix_sort_config_selectorIllEEZNS1_25segmented_radix_sort_implIS3_Lb0EPKlPlS8_S9_N2at6native12_GLOBAL__N_18offset_tEEE10hipError_tPvRmT1_PNSt15iterator_traitsISH_E10value_typeET2_T3_PNSI_ISN_E10value_typeET4_jRbjT5_ST_jjP12ihipStream_tbEUlT_E1_NS1_11comp_targetILNS1_3genE8ELNS1_11target_archE1030ELNS1_3gpuE2ELNS1_3repE0EEENS1_59segmented_radix_sort_warp_sort_small_config_static_selectorELNS0_4arch9wavefront6targetE1EEEvSH_.has_indirect_call, 0
	.section	.AMDGPU.csdata,"",@progbits
; Kernel info:
; codeLenInByte = 0
; TotalNumSgprs: 4
; NumVgprs: 0
; ScratchSize: 0
; MemoryBound: 0
; FloatMode: 240
; IeeeMode: 1
; LDSByteSize: 0 bytes/workgroup (compile time only)
; SGPRBlocks: 0
; VGPRBlocks: 0
; NumSGPRsForWavesPerEU: 4
; NumVGPRsForWavesPerEU: 1
; Occupancy: 10
; WaveLimiterHint : 0
; COMPUTE_PGM_RSRC2:SCRATCH_EN: 0
; COMPUTE_PGM_RSRC2:USER_SGPR: 6
; COMPUTE_PGM_RSRC2:TRAP_HANDLER: 0
; COMPUTE_PGM_RSRC2:TGID_X_EN: 1
; COMPUTE_PGM_RSRC2:TGID_Y_EN: 0
; COMPUTE_PGM_RSRC2:TGID_Z_EN: 0
; COMPUTE_PGM_RSRC2:TIDIG_COMP_CNT: 0
	.section	.text._ZN7rocprim17ROCPRIM_400000_NS6detail17trampoline_kernelINS0_14default_configENS1_36segmented_radix_sort_config_selectorIllEEZNS1_25segmented_radix_sort_implIS3_Lb0EPKlPlS8_S9_N2at6native12_GLOBAL__N_18offset_tEEE10hipError_tPvRmT1_PNSt15iterator_traitsISH_E10value_typeET2_T3_PNSI_ISN_E10value_typeET4_jRbjT5_ST_jjP12ihipStream_tbEUlT_E2_NS1_11comp_targetILNS1_3genE0ELNS1_11target_archE4294967295ELNS1_3gpuE0ELNS1_3repE0EEENS1_30default_config_static_selectorELNS0_4arch9wavefront6targetE1EEEvSH_,"axG",@progbits,_ZN7rocprim17ROCPRIM_400000_NS6detail17trampoline_kernelINS0_14default_configENS1_36segmented_radix_sort_config_selectorIllEEZNS1_25segmented_radix_sort_implIS3_Lb0EPKlPlS8_S9_N2at6native12_GLOBAL__N_18offset_tEEE10hipError_tPvRmT1_PNSt15iterator_traitsISH_E10value_typeET2_T3_PNSI_ISN_E10value_typeET4_jRbjT5_ST_jjP12ihipStream_tbEUlT_E2_NS1_11comp_targetILNS1_3genE0ELNS1_11target_archE4294967295ELNS1_3gpuE0ELNS1_3repE0EEENS1_30default_config_static_selectorELNS0_4arch9wavefront6targetE1EEEvSH_,comdat
	.globl	_ZN7rocprim17ROCPRIM_400000_NS6detail17trampoline_kernelINS0_14default_configENS1_36segmented_radix_sort_config_selectorIllEEZNS1_25segmented_radix_sort_implIS3_Lb0EPKlPlS8_S9_N2at6native12_GLOBAL__N_18offset_tEEE10hipError_tPvRmT1_PNSt15iterator_traitsISH_E10value_typeET2_T3_PNSI_ISN_E10value_typeET4_jRbjT5_ST_jjP12ihipStream_tbEUlT_E2_NS1_11comp_targetILNS1_3genE0ELNS1_11target_archE4294967295ELNS1_3gpuE0ELNS1_3repE0EEENS1_30default_config_static_selectorELNS0_4arch9wavefront6targetE1EEEvSH_ ; -- Begin function _ZN7rocprim17ROCPRIM_400000_NS6detail17trampoline_kernelINS0_14default_configENS1_36segmented_radix_sort_config_selectorIllEEZNS1_25segmented_radix_sort_implIS3_Lb0EPKlPlS8_S9_N2at6native12_GLOBAL__N_18offset_tEEE10hipError_tPvRmT1_PNSt15iterator_traitsISH_E10value_typeET2_T3_PNSI_ISN_E10value_typeET4_jRbjT5_ST_jjP12ihipStream_tbEUlT_E2_NS1_11comp_targetILNS1_3genE0ELNS1_11target_archE4294967295ELNS1_3gpuE0ELNS1_3repE0EEENS1_30default_config_static_selectorELNS0_4arch9wavefront6targetE1EEEvSH_
	.p2align	8
	.type	_ZN7rocprim17ROCPRIM_400000_NS6detail17trampoline_kernelINS0_14default_configENS1_36segmented_radix_sort_config_selectorIllEEZNS1_25segmented_radix_sort_implIS3_Lb0EPKlPlS8_S9_N2at6native12_GLOBAL__N_18offset_tEEE10hipError_tPvRmT1_PNSt15iterator_traitsISH_E10value_typeET2_T3_PNSI_ISN_E10value_typeET4_jRbjT5_ST_jjP12ihipStream_tbEUlT_E2_NS1_11comp_targetILNS1_3genE0ELNS1_11target_archE4294967295ELNS1_3gpuE0ELNS1_3repE0EEENS1_30default_config_static_selectorELNS0_4arch9wavefront6targetE1EEEvSH_,@function
_ZN7rocprim17ROCPRIM_400000_NS6detail17trampoline_kernelINS0_14default_configENS1_36segmented_radix_sort_config_selectorIllEEZNS1_25segmented_radix_sort_implIS3_Lb0EPKlPlS8_S9_N2at6native12_GLOBAL__N_18offset_tEEE10hipError_tPvRmT1_PNSt15iterator_traitsISH_E10value_typeET2_T3_PNSI_ISN_E10value_typeET4_jRbjT5_ST_jjP12ihipStream_tbEUlT_E2_NS1_11comp_targetILNS1_3genE0ELNS1_11target_archE4294967295ELNS1_3gpuE0ELNS1_3repE0EEENS1_30default_config_static_selectorELNS0_4arch9wavefront6targetE1EEEvSH_: ; @_ZN7rocprim17ROCPRIM_400000_NS6detail17trampoline_kernelINS0_14default_configENS1_36segmented_radix_sort_config_selectorIllEEZNS1_25segmented_radix_sort_implIS3_Lb0EPKlPlS8_S9_N2at6native12_GLOBAL__N_18offset_tEEE10hipError_tPvRmT1_PNSt15iterator_traitsISH_E10value_typeET2_T3_PNSI_ISN_E10value_typeET4_jRbjT5_ST_jjP12ihipStream_tbEUlT_E2_NS1_11comp_targetILNS1_3genE0ELNS1_11target_archE4294967295ELNS1_3gpuE0ELNS1_3repE0EEENS1_30default_config_static_selectorELNS0_4arch9wavefront6targetE1EEEvSH_
; %bb.0:
	.section	.rodata,"a",@progbits
	.p2align	6, 0x0
	.amdhsa_kernel _ZN7rocprim17ROCPRIM_400000_NS6detail17trampoline_kernelINS0_14default_configENS1_36segmented_radix_sort_config_selectorIllEEZNS1_25segmented_radix_sort_implIS3_Lb0EPKlPlS8_S9_N2at6native12_GLOBAL__N_18offset_tEEE10hipError_tPvRmT1_PNSt15iterator_traitsISH_E10value_typeET2_T3_PNSI_ISN_E10value_typeET4_jRbjT5_ST_jjP12ihipStream_tbEUlT_E2_NS1_11comp_targetILNS1_3genE0ELNS1_11target_archE4294967295ELNS1_3gpuE0ELNS1_3repE0EEENS1_30default_config_static_selectorELNS0_4arch9wavefront6targetE1EEEvSH_
		.amdhsa_group_segment_fixed_size 0
		.amdhsa_private_segment_fixed_size 0
		.amdhsa_kernarg_size 80
		.amdhsa_user_sgpr_count 6
		.amdhsa_user_sgpr_private_segment_buffer 1
		.amdhsa_user_sgpr_dispatch_ptr 0
		.amdhsa_user_sgpr_queue_ptr 0
		.amdhsa_user_sgpr_kernarg_segment_ptr 1
		.amdhsa_user_sgpr_dispatch_id 0
		.amdhsa_user_sgpr_flat_scratch_init 0
		.amdhsa_user_sgpr_private_segment_size 0
		.amdhsa_uses_dynamic_stack 0
		.amdhsa_system_sgpr_private_segment_wavefront_offset 0
		.amdhsa_system_sgpr_workgroup_id_x 1
		.amdhsa_system_sgpr_workgroup_id_y 0
		.amdhsa_system_sgpr_workgroup_id_z 0
		.amdhsa_system_sgpr_workgroup_info 0
		.amdhsa_system_vgpr_workitem_id 0
		.amdhsa_next_free_vgpr 1
		.amdhsa_next_free_sgpr 0
		.amdhsa_reserve_vcc 0
		.amdhsa_reserve_flat_scratch 0
		.amdhsa_float_round_mode_32 0
		.amdhsa_float_round_mode_16_64 0
		.amdhsa_float_denorm_mode_32 3
		.amdhsa_float_denorm_mode_16_64 3
		.amdhsa_dx10_clamp 1
		.amdhsa_ieee_mode 1
		.amdhsa_fp16_overflow 0
		.amdhsa_exception_fp_ieee_invalid_op 0
		.amdhsa_exception_fp_denorm_src 0
		.amdhsa_exception_fp_ieee_div_zero 0
		.amdhsa_exception_fp_ieee_overflow 0
		.amdhsa_exception_fp_ieee_underflow 0
		.amdhsa_exception_fp_ieee_inexact 0
		.amdhsa_exception_int_div_zero 0
	.end_amdhsa_kernel
	.section	.text._ZN7rocprim17ROCPRIM_400000_NS6detail17trampoline_kernelINS0_14default_configENS1_36segmented_radix_sort_config_selectorIllEEZNS1_25segmented_radix_sort_implIS3_Lb0EPKlPlS8_S9_N2at6native12_GLOBAL__N_18offset_tEEE10hipError_tPvRmT1_PNSt15iterator_traitsISH_E10value_typeET2_T3_PNSI_ISN_E10value_typeET4_jRbjT5_ST_jjP12ihipStream_tbEUlT_E2_NS1_11comp_targetILNS1_3genE0ELNS1_11target_archE4294967295ELNS1_3gpuE0ELNS1_3repE0EEENS1_30default_config_static_selectorELNS0_4arch9wavefront6targetE1EEEvSH_,"axG",@progbits,_ZN7rocprim17ROCPRIM_400000_NS6detail17trampoline_kernelINS0_14default_configENS1_36segmented_radix_sort_config_selectorIllEEZNS1_25segmented_radix_sort_implIS3_Lb0EPKlPlS8_S9_N2at6native12_GLOBAL__N_18offset_tEEE10hipError_tPvRmT1_PNSt15iterator_traitsISH_E10value_typeET2_T3_PNSI_ISN_E10value_typeET4_jRbjT5_ST_jjP12ihipStream_tbEUlT_E2_NS1_11comp_targetILNS1_3genE0ELNS1_11target_archE4294967295ELNS1_3gpuE0ELNS1_3repE0EEENS1_30default_config_static_selectorELNS0_4arch9wavefront6targetE1EEEvSH_,comdat
.Lfunc_end837:
	.size	_ZN7rocprim17ROCPRIM_400000_NS6detail17trampoline_kernelINS0_14default_configENS1_36segmented_radix_sort_config_selectorIllEEZNS1_25segmented_radix_sort_implIS3_Lb0EPKlPlS8_S9_N2at6native12_GLOBAL__N_18offset_tEEE10hipError_tPvRmT1_PNSt15iterator_traitsISH_E10value_typeET2_T3_PNSI_ISN_E10value_typeET4_jRbjT5_ST_jjP12ihipStream_tbEUlT_E2_NS1_11comp_targetILNS1_3genE0ELNS1_11target_archE4294967295ELNS1_3gpuE0ELNS1_3repE0EEENS1_30default_config_static_selectorELNS0_4arch9wavefront6targetE1EEEvSH_, .Lfunc_end837-_ZN7rocprim17ROCPRIM_400000_NS6detail17trampoline_kernelINS0_14default_configENS1_36segmented_radix_sort_config_selectorIllEEZNS1_25segmented_radix_sort_implIS3_Lb0EPKlPlS8_S9_N2at6native12_GLOBAL__N_18offset_tEEE10hipError_tPvRmT1_PNSt15iterator_traitsISH_E10value_typeET2_T3_PNSI_ISN_E10value_typeET4_jRbjT5_ST_jjP12ihipStream_tbEUlT_E2_NS1_11comp_targetILNS1_3genE0ELNS1_11target_archE4294967295ELNS1_3gpuE0ELNS1_3repE0EEENS1_30default_config_static_selectorELNS0_4arch9wavefront6targetE1EEEvSH_
                                        ; -- End function
	.set _ZN7rocprim17ROCPRIM_400000_NS6detail17trampoline_kernelINS0_14default_configENS1_36segmented_radix_sort_config_selectorIllEEZNS1_25segmented_radix_sort_implIS3_Lb0EPKlPlS8_S9_N2at6native12_GLOBAL__N_18offset_tEEE10hipError_tPvRmT1_PNSt15iterator_traitsISH_E10value_typeET2_T3_PNSI_ISN_E10value_typeET4_jRbjT5_ST_jjP12ihipStream_tbEUlT_E2_NS1_11comp_targetILNS1_3genE0ELNS1_11target_archE4294967295ELNS1_3gpuE0ELNS1_3repE0EEENS1_30default_config_static_selectorELNS0_4arch9wavefront6targetE1EEEvSH_.num_vgpr, 0
	.set _ZN7rocprim17ROCPRIM_400000_NS6detail17trampoline_kernelINS0_14default_configENS1_36segmented_radix_sort_config_selectorIllEEZNS1_25segmented_radix_sort_implIS3_Lb0EPKlPlS8_S9_N2at6native12_GLOBAL__N_18offset_tEEE10hipError_tPvRmT1_PNSt15iterator_traitsISH_E10value_typeET2_T3_PNSI_ISN_E10value_typeET4_jRbjT5_ST_jjP12ihipStream_tbEUlT_E2_NS1_11comp_targetILNS1_3genE0ELNS1_11target_archE4294967295ELNS1_3gpuE0ELNS1_3repE0EEENS1_30default_config_static_selectorELNS0_4arch9wavefront6targetE1EEEvSH_.num_agpr, 0
	.set _ZN7rocprim17ROCPRIM_400000_NS6detail17trampoline_kernelINS0_14default_configENS1_36segmented_radix_sort_config_selectorIllEEZNS1_25segmented_radix_sort_implIS3_Lb0EPKlPlS8_S9_N2at6native12_GLOBAL__N_18offset_tEEE10hipError_tPvRmT1_PNSt15iterator_traitsISH_E10value_typeET2_T3_PNSI_ISN_E10value_typeET4_jRbjT5_ST_jjP12ihipStream_tbEUlT_E2_NS1_11comp_targetILNS1_3genE0ELNS1_11target_archE4294967295ELNS1_3gpuE0ELNS1_3repE0EEENS1_30default_config_static_selectorELNS0_4arch9wavefront6targetE1EEEvSH_.numbered_sgpr, 0
	.set _ZN7rocprim17ROCPRIM_400000_NS6detail17trampoline_kernelINS0_14default_configENS1_36segmented_radix_sort_config_selectorIllEEZNS1_25segmented_radix_sort_implIS3_Lb0EPKlPlS8_S9_N2at6native12_GLOBAL__N_18offset_tEEE10hipError_tPvRmT1_PNSt15iterator_traitsISH_E10value_typeET2_T3_PNSI_ISN_E10value_typeET4_jRbjT5_ST_jjP12ihipStream_tbEUlT_E2_NS1_11comp_targetILNS1_3genE0ELNS1_11target_archE4294967295ELNS1_3gpuE0ELNS1_3repE0EEENS1_30default_config_static_selectorELNS0_4arch9wavefront6targetE1EEEvSH_.num_named_barrier, 0
	.set _ZN7rocprim17ROCPRIM_400000_NS6detail17trampoline_kernelINS0_14default_configENS1_36segmented_radix_sort_config_selectorIllEEZNS1_25segmented_radix_sort_implIS3_Lb0EPKlPlS8_S9_N2at6native12_GLOBAL__N_18offset_tEEE10hipError_tPvRmT1_PNSt15iterator_traitsISH_E10value_typeET2_T3_PNSI_ISN_E10value_typeET4_jRbjT5_ST_jjP12ihipStream_tbEUlT_E2_NS1_11comp_targetILNS1_3genE0ELNS1_11target_archE4294967295ELNS1_3gpuE0ELNS1_3repE0EEENS1_30default_config_static_selectorELNS0_4arch9wavefront6targetE1EEEvSH_.private_seg_size, 0
	.set _ZN7rocprim17ROCPRIM_400000_NS6detail17trampoline_kernelINS0_14default_configENS1_36segmented_radix_sort_config_selectorIllEEZNS1_25segmented_radix_sort_implIS3_Lb0EPKlPlS8_S9_N2at6native12_GLOBAL__N_18offset_tEEE10hipError_tPvRmT1_PNSt15iterator_traitsISH_E10value_typeET2_T3_PNSI_ISN_E10value_typeET4_jRbjT5_ST_jjP12ihipStream_tbEUlT_E2_NS1_11comp_targetILNS1_3genE0ELNS1_11target_archE4294967295ELNS1_3gpuE0ELNS1_3repE0EEENS1_30default_config_static_selectorELNS0_4arch9wavefront6targetE1EEEvSH_.uses_vcc, 0
	.set _ZN7rocprim17ROCPRIM_400000_NS6detail17trampoline_kernelINS0_14default_configENS1_36segmented_radix_sort_config_selectorIllEEZNS1_25segmented_radix_sort_implIS3_Lb0EPKlPlS8_S9_N2at6native12_GLOBAL__N_18offset_tEEE10hipError_tPvRmT1_PNSt15iterator_traitsISH_E10value_typeET2_T3_PNSI_ISN_E10value_typeET4_jRbjT5_ST_jjP12ihipStream_tbEUlT_E2_NS1_11comp_targetILNS1_3genE0ELNS1_11target_archE4294967295ELNS1_3gpuE0ELNS1_3repE0EEENS1_30default_config_static_selectorELNS0_4arch9wavefront6targetE1EEEvSH_.uses_flat_scratch, 0
	.set _ZN7rocprim17ROCPRIM_400000_NS6detail17trampoline_kernelINS0_14default_configENS1_36segmented_radix_sort_config_selectorIllEEZNS1_25segmented_radix_sort_implIS3_Lb0EPKlPlS8_S9_N2at6native12_GLOBAL__N_18offset_tEEE10hipError_tPvRmT1_PNSt15iterator_traitsISH_E10value_typeET2_T3_PNSI_ISN_E10value_typeET4_jRbjT5_ST_jjP12ihipStream_tbEUlT_E2_NS1_11comp_targetILNS1_3genE0ELNS1_11target_archE4294967295ELNS1_3gpuE0ELNS1_3repE0EEENS1_30default_config_static_selectorELNS0_4arch9wavefront6targetE1EEEvSH_.has_dyn_sized_stack, 0
	.set _ZN7rocprim17ROCPRIM_400000_NS6detail17trampoline_kernelINS0_14default_configENS1_36segmented_radix_sort_config_selectorIllEEZNS1_25segmented_radix_sort_implIS3_Lb0EPKlPlS8_S9_N2at6native12_GLOBAL__N_18offset_tEEE10hipError_tPvRmT1_PNSt15iterator_traitsISH_E10value_typeET2_T3_PNSI_ISN_E10value_typeET4_jRbjT5_ST_jjP12ihipStream_tbEUlT_E2_NS1_11comp_targetILNS1_3genE0ELNS1_11target_archE4294967295ELNS1_3gpuE0ELNS1_3repE0EEENS1_30default_config_static_selectorELNS0_4arch9wavefront6targetE1EEEvSH_.has_recursion, 0
	.set _ZN7rocprim17ROCPRIM_400000_NS6detail17trampoline_kernelINS0_14default_configENS1_36segmented_radix_sort_config_selectorIllEEZNS1_25segmented_radix_sort_implIS3_Lb0EPKlPlS8_S9_N2at6native12_GLOBAL__N_18offset_tEEE10hipError_tPvRmT1_PNSt15iterator_traitsISH_E10value_typeET2_T3_PNSI_ISN_E10value_typeET4_jRbjT5_ST_jjP12ihipStream_tbEUlT_E2_NS1_11comp_targetILNS1_3genE0ELNS1_11target_archE4294967295ELNS1_3gpuE0ELNS1_3repE0EEENS1_30default_config_static_selectorELNS0_4arch9wavefront6targetE1EEEvSH_.has_indirect_call, 0
	.section	.AMDGPU.csdata,"",@progbits
; Kernel info:
; codeLenInByte = 0
; TotalNumSgprs: 4
; NumVgprs: 0
; ScratchSize: 0
; MemoryBound: 0
; FloatMode: 240
; IeeeMode: 1
; LDSByteSize: 0 bytes/workgroup (compile time only)
; SGPRBlocks: 0
; VGPRBlocks: 0
; NumSGPRsForWavesPerEU: 4
; NumVGPRsForWavesPerEU: 1
; Occupancy: 10
; WaveLimiterHint : 0
; COMPUTE_PGM_RSRC2:SCRATCH_EN: 0
; COMPUTE_PGM_RSRC2:USER_SGPR: 6
; COMPUTE_PGM_RSRC2:TRAP_HANDLER: 0
; COMPUTE_PGM_RSRC2:TGID_X_EN: 1
; COMPUTE_PGM_RSRC2:TGID_Y_EN: 0
; COMPUTE_PGM_RSRC2:TGID_Z_EN: 0
; COMPUTE_PGM_RSRC2:TIDIG_COMP_CNT: 0
	.section	.text._ZN7rocprim17ROCPRIM_400000_NS6detail17trampoline_kernelINS0_14default_configENS1_36segmented_radix_sort_config_selectorIllEEZNS1_25segmented_radix_sort_implIS3_Lb0EPKlPlS8_S9_N2at6native12_GLOBAL__N_18offset_tEEE10hipError_tPvRmT1_PNSt15iterator_traitsISH_E10value_typeET2_T3_PNSI_ISN_E10value_typeET4_jRbjT5_ST_jjP12ihipStream_tbEUlT_E2_NS1_11comp_targetILNS1_3genE5ELNS1_11target_archE942ELNS1_3gpuE9ELNS1_3repE0EEENS1_30default_config_static_selectorELNS0_4arch9wavefront6targetE1EEEvSH_,"axG",@progbits,_ZN7rocprim17ROCPRIM_400000_NS6detail17trampoline_kernelINS0_14default_configENS1_36segmented_radix_sort_config_selectorIllEEZNS1_25segmented_radix_sort_implIS3_Lb0EPKlPlS8_S9_N2at6native12_GLOBAL__N_18offset_tEEE10hipError_tPvRmT1_PNSt15iterator_traitsISH_E10value_typeET2_T3_PNSI_ISN_E10value_typeET4_jRbjT5_ST_jjP12ihipStream_tbEUlT_E2_NS1_11comp_targetILNS1_3genE5ELNS1_11target_archE942ELNS1_3gpuE9ELNS1_3repE0EEENS1_30default_config_static_selectorELNS0_4arch9wavefront6targetE1EEEvSH_,comdat
	.globl	_ZN7rocprim17ROCPRIM_400000_NS6detail17trampoline_kernelINS0_14default_configENS1_36segmented_radix_sort_config_selectorIllEEZNS1_25segmented_radix_sort_implIS3_Lb0EPKlPlS8_S9_N2at6native12_GLOBAL__N_18offset_tEEE10hipError_tPvRmT1_PNSt15iterator_traitsISH_E10value_typeET2_T3_PNSI_ISN_E10value_typeET4_jRbjT5_ST_jjP12ihipStream_tbEUlT_E2_NS1_11comp_targetILNS1_3genE5ELNS1_11target_archE942ELNS1_3gpuE9ELNS1_3repE0EEENS1_30default_config_static_selectorELNS0_4arch9wavefront6targetE1EEEvSH_ ; -- Begin function _ZN7rocprim17ROCPRIM_400000_NS6detail17trampoline_kernelINS0_14default_configENS1_36segmented_radix_sort_config_selectorIllEEZNS1_25segmented_radix_sort_implIS3_Lb0EPKlPlS8_S9_N2at6native12_GLOBAL__N_18offset_tEEE10hipError_tPvRmT1_PNSt15iterator_traitsISH_E10value_typeET2_T3_PNSI_ISN_E10value_typeET4_jRbjT5_ST_jjP12ihipStream_tbEUlT_E2_NS1_11comp_targetILNS1_3genE5ELNS1_11target_archE942ELNS1_3gpuE9ELNS1_3repE0EEENS1_30default_config_static_selectorELNS0_4arch9wavefront6targetE1EEEvSH_
	.p2align	8
	.type	_ZN7rocprim17ROCPRIM_400000_NS6detail17trampoline_kernelINS0_14default_configENS1_36segmented_radix_sort_config_selectorIllEEZNS1_25segmented_radix_sort_implIS3_Lb0EPKlPlS8_S9_N2at6native12_GLOBAL__N_18offset_tEEE10hipError_tPvRmT1_PNSt15iterator_traitsISH_E10value_typeET2_T3_PNSI_ISN_E10value_typeET4_jRbjT5_ST_jjP12ihipStream_tbEUlT_E2_NS1_11comp_targetILNS1_3genE5ELNS1_11target_archE942ELNS1_3gpuE9ELNS1_3repE0EEENS1_30default_config_static_selectorELNS0_4arch9wavefront6targetE1EEEvSH_,@function
_ZN7rocprim17ROCPRIM_400000_NS6detail17trampoline_kernelINS0_14default_configENS1_36segmented_radix_sort_config_selectorIllEEZNS1_25segmented_radix_sort_implIS3_Lb0EPKlPlS8_S9_N2at6native12_GLOBAL__N_18offset_tEEE10hipError_tPvRmT1_PNSt15iterator_traitsISH_E10value_typeET2_T3_PNSI_ISN_E10value_typeET4_jRbjT5_ST_jjP12ihipStream_tbEUlT_E2_NS1_11comp_targetILNS1_3genE5ELNS1_11target_archE942ELNS1_3gpuE9ELNS1_3repE0EEENS1_30default_config_static_selectorELNS0_4arch9wavefront6targetE1EEEvSH_: ; @_ZN7rocprim17ROCPRIM_400000_NS6detail17trampoline_kernelINS0_14default_configENS1_36segmented_radix_sort_config_selectorIllEEZNS1_25segmented_radix_sort_implIS3_Lb0EPKlPlS8_S9_N2at6native12_GLOBAL__N_18offset_tEEE10hipError_tPvRmT1_PNSt15iterator_traitsISH_E10value_typeET2_T3_PNSI_ISN_E10value_typeET4_jRbjT5_ST_jjP12ihipStream_tbEUlT_E2_NS1_11comp_targetILNS1_3genE5ELNS1_11target_archE942ELNS1_3gpuE9ELNS1_3repE0EEENS1_30default_config_static_selectorELNS0_4arch9wavefront6targetE1EEEvSH_
; %bb.0:
	.section	.rodata,"a",@progbits
	.p2align	6, 0x0
	.amdhsa_kernel _ZN7rocprim17ROCPRIM_400000_NS6detail17trampoline_kernelINS0_14default_configENS1_36segmented_radix_sort_config_selectorIllEEZNS1_25segmented_radix_sort_implIS3_Lb0EPKlPlS8_S9_N2at6native12_GLOBAL__N_18offset_tEEE10hipError_tPvRmT1_PNSt15iterator_traitsISH_E10value_typeET2_T3_PNSI_ISN_E10value_typeET4_jRbjT5_ST_jjP12ihipStream_tbEUlT_E2_NS1_11comp_targetILNS1_3genE5ELNS1_11target_archE942ELNS1_3gpuE9ELNS1_3repE0EEENS1_30default_config_static_selectorELNS0_4arch9wavefront6targetE1EEEvSH_
		.amdhsa_group_segment_fixed_size 0
		.amdhsa_private_segment_fixed_size 0
		.amdhsa_kernarg_size 80
		.amdhsa_user_sgpr_count 6
		.amdhsa_user_sgpr_private_segment_buffer 1
		.amdhsa_user_sgpr_dispatch_ptr 0
		.amdhsa_user_sgpr_queue_ptr 0
		.amdhsa_user_sgpr_kernarg_segment_ptr 1
		.amdhsa_user_sgpr_dispatch_id 0
		.amdhsa_user_sgpr_flat_scratch_init 0
		.amdhsa_user_sgpr_private_segment_size 0
		.amdhsa_uses_dynamic_stack 0
		.amdhsa_system_sgpr_private_segment_wavefront_offset 0
		.amdhsa_system_sgpr_workgroup_id_x 1
		.amdhsa_system_sgpr_workgroup_id_y 0
		.amdhsa_system_sgpr_workgroup_id_z 0
		.amdhsa_system_sgpr_workgroup_info 0
		.amdhsa_system_vgpr_workitem_id 0
		.amdhsa_next_free_vgpr 1
		.amdhsa_next_free_sgpr 0
		.amdhsa_reserve_vcc 0
		.amdhsa_reserve_flat_scratch 0
		.amdhsa_float_round_mode_32 0
		.amdhsa_float_round_mode_16_64 0
		.amdhsa_float_denorm_mode_32 3
		.amdhsa_float_denorm_mode_16_64 3
		.amdhsa_dx10_clamp 1
		.amdhsa_ieee_mode 1
		.amdhsa_fp16_overflow 0
		.amdhsa_exception_fp_ieee_invalid_op 0
		.amdhsa_exception_fp_denorm_src 0
		.amdhsa_exception_fp_ieee_div_zero 0
		.amdhsa_exception_fp_ieee_overflow 0
		.amdhsa_exception_fp_ieee_underflow 0
		.amdhsa_exception_fp_ieee_inexact 0
		.amdhsa_exception_int_div_zero 0
	.end_amdhsa_kernel
	.section	.text._ZN7rocprim17ROCPRIM_400000_NS6detail17trampoline_kernelINS0_14default_configENS1_36segmented_radix_sort_config_selectorIllEEZNS1_25segmented_radix_sort_implIS3_Lb0EPKlPlS8_S9_N2at6native12_GLOBAL__N_18offset_tEEE10hipError_tPvRmT1_PNSt15iterator_traitsISH_E10value_typeET2_T3_PNSI_ISN_E10value_typeET4_jRbjT5_ST_jjP12ihipStream_tbEUlT_E2_NS1_11comp_targetILNS1_3genE5ELNS1_11target_archE942ELNS1_3gpuE9ELNS1_3repE0EEENS1_30default_config_static_selectorELNS0_4arch9wavefront6targetE1EEEvSH_,"axG",@progbits,_ZN7rocprim17ROCPRIM_400000_NS6detail17trampoline_kernelINS0_14default_configENS1_36segmented_radix_sort_config_selectorIllEEZNS1_25segmented_radix_sort_implIS3_Lb0EPKlPlS8_S9_N2at6native12_GLOBAL__N_18offset_tEEE10hipError_tPvRmT1_PNSt15iterator_traitsISH_E10value_typeET2_T3_PNSI_ISN_E10value_typeET4_jRbjT5_ST_jjP12ihipStream_tbEUlT_E2_NS1_11comp_targetILNS1_3genE5ELNS1_11target_archE942ELNS1_3gpuE9ELNS1_3repE0EEENS1_30default_config_static_selectorELNS0_4arch9wavefront6targetE1EEEvSH_,comdat
.Lfunc_end838:
	.size	_ZN7rocprim17ROCPRIM_400000_NS6detail17trampoline_kernelINS0_14default_configENS1_36segmented_radix_sort_config_selectorIllEEZNS1_25segmented_radix_sort_implIS3_Lb0EPKlPlS8_S9_N2at6native12_GLOBAL__N_18offset_tEEE10hipError_tPvRmT1_PNSt15iterator_traitsISH_E10value_typeET2_T3_PNSI_ISN_E10value_typeET4_jRbjT5_ST_jjP12ihipStream_tbEUlT_E2_NS1_11comp_targetILNS1_3genE5ELNS1_11target_archE942ELNS1_3gpuE9ELNS1_3repE0EEENS1_30default_config_static_selectorELNS0_4arch9wavefront6targetE1EEEvSH_, .Lfunc_end838-_ZN7rocprim17ROCPRIM_400000_NS6detail17trampoline_kernelINS0_14default_configENS1_36segmented_radix_sort_config_selectorIllEEZNS1_25segmented_radix_sort_implIS3_Lb0EPKlPlS8_S9_N2at6native12_GLOBAL__N_18offset_tEEE10hipError_tPvRmT1_PNSt15iterator_traitsISH_E10value_typeET2_T3_PNSI_ISN_E10value_typeET4_jRbjT5_ST_jjP12ihipStream_tbEUlT_E2_NS1_11comp_targetILNS1_3genE5ELNS1_11target_archE942ELNS1_3gpuE9ELNS1_3repE0EEENS1_30default_config_static_selectorELNS0_4arch9wavefront6targetE1EEEvSH_
                                        ; -- End function
	.set _ZN7rocprim17ROCPRIM_400000_NS6detail17trampoline_kernelINS0_14default_configENS1_36segmented_radix_sort_config_selectorIllEEZNS1_25segmented_radix_sort_implIS3_Lb0EPKlPlS8_S9_N2at6native12_GLOBAL__N_18offset_tEEE10hipError_tPvRmT1_PNSt15iterator_traitsISH_E10value_typeET2_T3_PNSI_ISN_E10value_typeET4_jRbjT5_ST_jjP12ihipStream_tbEUlT_E2_NS1_11comp_targetILNS1_3genE5ELNS1_11target_archE942ELNS1_3gpuE9ELNS1_3repE0EEENS1_30default_config_static_selectorELNS0_4arch9wavefront6targetE1EEEvSH_.num_vgpr, 0
	.set _ZN7rocprim17ROCPRIM_400000_NS6detail17trampoline_kernelINS0_14default_configENS1_36segmented_radix_sort_config_selectorIllEEZNS1_25segmented_radix_sort_implIS3_Lb0EPKlPlS8_S9_N2at6native12_GLOBAL__N_18offset_tEEE10hipError_tPvRmT1_PNSt15iterator_traitsISH_E10value_typeET2_T3_PNSI_ISN_E10value_typeET4_jRbjT5_ST_jjP12ihipStream_tbEUlT_E2_NS1_11comp_targetILNS1_3genE5ELNS1_11target_archE942ELNS1_3gpuE9ELNS1_3repE0EEENS1_30default_config_static_selectorELNS0_4arch9wavefront6targetE1EEEvSH_.num_agpr, 0
	.set _ZN7rocprim17ROCPRIM_400000_NS6detail17trampoline_kernelINS0_14default_configENS1_36segmented_radix_sort_config_selectorIllEEZNS1_25segmented_radix_sort_implIS3_Lb0EPKlPlS8_S9_N2at6native12_GLOBAL__N_18offset_tEEE10hipError_tPvRmT1_PNSt15iterator_traitsISH_E10value_typeET2_T3_PNSI_ISN_E10value_typeET4_jRbjT5_ST_jjP12ihipStream_tbEUlT_E2_NS1_11comp_targetILNS1_3genE5ELNS1_11target_archE942ELNS1_3gpuE9ELNS1_3repE0EEENS1_30default_config_static_selectorELNS0_4arch9wavefront6targetE1EEEvSH_.numbered_sgpr, 0
	.set _ZN7rocprim17ROCPRIM_400000_NS6detail17trampoline_kernelINS0_14default_configENS1_36segmented_radix_sort_config_selectorIllEEZNS1_25segmented_radix_sort_implIS3_Lb0EPKlPlS8_S9_N2at6native12_GLOBAL__N_18offset_tEEE10hipError_tPvRmT1_PNSt15iterator_traitsISH_E10value_typeET2_T3_PNSI_ISN_E10value_typeET4_jRbjT5_ST_jjP12ihipStream_tbEUlT_E2_NS1_11comp_targetILNS1_3genE5ELNS1_11target_archE942ELNS1_3gpuE9ELNS1_3repE0EEENS1_30default_config_static_selectorELNS0_4arch9wavefront6targetE1EEEvSH_.num_named_barrier, 0
	.set _ZN7rocprim17ROCPRIM_400000_NS6detail17trampoline_kernelINS0_14default_configENS1_36segmented_radix_sort_config_selectorIllEEZNS1_25segmented_radix_sort_implIS3_Lb0EPKlPlS8_S9_N2at6native12_GLOBAL__N_18offset_tEEE10hipError_tPvRmT1_PNSt15iterator_traitsISH_E10value_typeET2_T3_PNSI_ISN_E10value_typeET4_jRbjT5_ST_jjP12ihipStream_tbEUlT_E2_NS1_11comp_targetILNS1_3genE5ELNS1_11target_archE942ELNS1_3gpuE9ELNS1_3repE0EEENS1_30default_config_static_selectorELNS0_4arch9wavefront6targetE1EEEvSH_.private_seg_size, 0
	.set _ZN7rocprim17ROCPRIM_400000_NS6detail17trampoline_kernelINS0_14default_configENS1_36segmented_radix_sort_config_selectorIllEEZNS1_25segmented_radix_sort_implIS3_Lb0EPKlPlS8_S9_N2at6native12_GLOBAL__N_18offset_tEEE10hipError_tPvRmT1_PNSt15iterator_traitsISH_E10value_typeET2_T3_PNSI_ISN_E10value_typeET4_jRbjT5_ST_jjP12ihipStream_tbEUlT_E2_NS1_11comp_targetILNS1_3genE5ELNS1_11target_archE942ELNS1_3gpuE9ELNS1_3repE0EEENS1_30default_config_static_selectorELNS0_4arch9wavefront6targetE1EEEvSH_.uses_vcc, 0
	.set _ZN7rocprim17ROCPRIM_400000_NS6detail17trampoline_kernelINS0_14default_configENS1_36segmented_radix_sort_config_selectorIllEEZNS1_25segmented_radix_sort_implIS3_Lb0EPKlPlS8_S9_N2at6native12_GLOBAL__N_18offset_tEEE10hipError_tPvRmT1_PNSt15iterator_traitsISH_E10value_typeET2_T3_PNSI_ISN_E10value_typeET4_jRbjT5_ST_jjP12ihipStream_tbEUlT_E2_NS1_11comp_targetILNS1_3genE5ELNS1_11target_archE942ELNS1_3gpuE9ELNS1_3repE0EEENS1_30default_config_static_selectorELNS0_4arch9wavefront6targetE1EEEvSH_.uses_flat_scratch, 0
	.set _ZN7rocprim17ROCPRIM_400000_NS6detail17trampoline_kernelINS0_14default_configENS1_36segmented_radix_sort_config_selectorIllEEZNS1_25segmented_radix_sort_implIS3_Lb0EPKlPlS8_S9_N2at6native12_GLOBAL__N_18offset_tEEE10hipError_tPvRmT1_PNSt15iterator_traitsISH_E10value_typeET2_T3_PNSI_ISN_E10value_typeET4_jRbjT5_ST_jjP12ihipStream_tbEUlT_E2_NS1_11comp_targetILNS1_3genE5ELNS1_11target_archE942ELNS1_3gpuE9ELNS1_3repE0EEENS1_30default_config_static_selectorELNS0_4arch9wavefront6targetE1EEEvSH_.has_dyn_sized_stack, 0
	.set _ZN7rocprim17ROCPRIM_400000_NS6detail17trampoline_kernelINS0_14default_configENS1_36segmented_radix_sort_config_selectorIllEEZNS1_25segmented_radix_sort_implIS3_Lb0EPKlPlS8_S9_N2at6native12_GLOBAL__N_18offset_tEEE10hipError_tPvRmT1_PNSt15iterator_traitsISH_E10value_typeET2_T3_PNSI_ISN_E10value_typeET4_jRbjT5_ST_jjP12ihipStream_tbEUlT_E2_NS1_11comp_targetILNS1_3genE5ELNS1_11target_archE942ELNS1_3gpuE9ELNS1_3repE0EEENS1_30default_config_static_selectorELNS0_4arch9wavefront6targetE1EEEvSH_.has_recursion, 0
	.set _ZN7rocprim17ROCPRIM_400000_NS6detail17trampoline_kernelINS0_14default_configENS1_36segmented_radix_sort_config_selectorIllEEZNS1_25segmented_radix_sort_implIS3_Lb0EPKlPlS8_S9_N2at6native12_GLOBAL__N_18offset_tEEE10hipError_tPvRmT1_PNSt15iterator_traitsISH_E10value_typeET2_T3_PNSI_ISN_E10value_typeET4_jRbjT5_ST_jjP12ihipStream_tbEUlT_E2_NS1_11comp_targetILNS1_3genE5ELNS1_11target_archE942ELNS1_3gpuE9ELNS1_3repE0EEENS1_30default_config_static_selectorELNS0_4arch9wavefront6targetE1EEEvSH_.has_indirect_call, 0
	.section	.AMDGPU.csdata,"",@progbits
; Kernel info:
; codeLenInByte = 0
; TotalNumSgprs: 4
; NumVgprs: 0
; ScratchSize: 0
; MemoryBound: 0
; FloatMode: 240
; IeeeMode: 1
; LDSByteSize: 0 bytes/workgroup (compile time only)
; SGPRBlocks: 0
; VGPRBlocks: 0
; NumSGPRsForWavesPerEU: 4
; NumVGPRsForWavesPerEU: 1
; Occupancy: 10
; WaveLimiterHint : 0
; COMPUTE_PGM_RSRC2:SCRATCH_EN: 0
; COMPUTE_PGM_RSRC2:USER_SGPR: 6
; COMPUTE_PGM_RSRC2:TRAP_HANDLER: 0
; COMPUTE_PGM_RSRC2:TGID_X_EN: 1
; COMPUTE_PGM_RSRC2:TGID_Y_EN: 0
; COMPUTE_PGM_RSRC2:TGID_Z_EN: 0
; COMPUTE_PGM_RSRC2:TIDIG_COMP_CNT: 0
	.section	.text._ZN7rocprim17ROCPRIM_400000_NS6detail17trampoline_kernelINS0_14default_configENS1_36segmented_radix_sort_config_selectorIllEEZNS1_25segmented_radix_sort_implIS3_Lb0EPKlPlS8_S9_N2at6native12_GLOBAL__N_18offset_tEEE10hipError_tPvRmT1_PNSt15iterator_traitsISH_E10value_typeET2_T3_PNSI_ISN_E10value_typeET4_jRbjT5_ST_jjP12ihipStream_tbEUlT_E2_NS1_11comp_targetILNS1_3genE4ELNS1_11target_archE910ELNS1_3gpuE8ELNS1_3repE0EEENS1_30default_config_static_selectorELNS0_4arch9wavefront6targetE1EEEvSH_,"axG",@progbits,_ZN7rocprim17ROCPRIM_400000_NS6detail17trampoline_kernelINS0_14default_configENS1_36segmented_radix_sort_config_selectorIllEEZNS1_25segmented_radix_sort_implIS3_Lb0EPKlPlS8_S9_N2at6native12_GLOBAL__N_18offset_tEEE10hipError_tPvRmT1_PNSt15iterator_traitsISH_E10value_typeET2_T3_PNSI_ISN_E10value_typeET4_jRbjT5_ST_jjP12ihipStream_tbEUlT_E2_NS1_11comp_targetILNS1_3genE4ELNS1_11target_archE910ELNS1_3gpuE8ELNS1_3repE0EEENS1_30default_config_static_selectorELNS0_4arch9wavefront6targetE1EEEvSH_,comdat
	.globl	_ZN7rocprim17ROCPRIM_400000_NS6detail17trampoline_kernelINS0_14default_configENS1_36segmented_radix_sort_config_selectorIllEEZNS1_25segmented_radix_sort_implIS3_Lb0EPKlPlS8_S9_N2at6native12_GLOBAL__N_18offset_tEEE10hipError_tPvRmT1_PNSt15iterator_traitsISH_E10value_typeET2_T3_PNSI_ISN_E10value_typeET4_jRbjT5_ST_jjP12ihipStream_tbEUlT_E2_NS1_11comp_targetILNS1_3genE4ELNS1_11target_archE910ELNS1_3gpuE8ELNS1_3repE0EEENS1_30default_config_static_selectorELNS0_4arch9wavefront6targetE1EEEvSH_ ; -- Begin function _ZN7rocprim17ROCPRIM_400000_NS6detail17trampoline_kernelINS0_14default_configENS1_36segmented_radix_sort_config_selectorIllEEZNS1_25segmented_radix_sort_implIS3_Lb0EPKlPlS8_S9_N2at6native12_GLOBAL__N_18offset_tEEE10hipError_tPvRmT1_PNSt15iterator_traitsISH_E10value_typeET2_T3_PNSI_ISN_E10value_typeET4_jRbjT5_ST_jjP12ihipStream_tbEUlT_E2_NS1_11comp_targetILNS1_3genE4ELNS1_11target_archE910ELNS1_3gpuE8ELNS1_3repE0EEENS1_30default_config_static_selectorELNS0_4arch9wavefront6targetE1EEEvSH_
	.p2align	8
	.type	_ZN7rocprim17ROCPRIM_400000_NS6detail17trampoline_kernelINS0_14default_configENS1_36segmented_radix_sort_config_selectorIllEEZNS1_25segmented_radix_sort_implIS3_Lb0EPKlPlS8_S9_N2at6native12_GLOBAL__N_18offset_tEEE10hipError_tPvRmT1_PNSt15iterator_traitsISH_E10value_typeET2_T3_PNSI_ISN_E10value_typeET4_jRbjT5_ST_jjP12ihipStream_tbEUlT_E2_NS1_11comp_targetILNS1_3genE4ELNS1_11target_archE910ELNS1_3gpuE8ELNS1_3repE0EEENS1_30default_config_static_selectorELNS0_4arch9wavefront6targetE1EEEvSH_,@function
_ZN7rocprim17ROCPRIM_400000_NS6detail17trampoline_kernelINS0_14default_configENS1_36segmented_radix_sort_config_selectorIllEEZNS1_25segmented_radix_sort_implIS3_Lb0EPKlPlS8_S9_N2at6native12_GLOBAL__N_18offset_tEEE10hipError_tPvRmT1_PNSt15iterator_traitsISH_E10value_typeET2_T3_PNSI_ISN_E10value_typeET4_jRbjT5_ST_jjP12ihipStream_tbEUlT_E2_NS1_11comp_targetILNS1_3genE4ELNS1_11target_archE910ELNS1_3gpuE8ELNS1_3repE0EEENS1_30default_config_static_selectorELNS0_4arch9wavefront6targetE1EEEvSH_: ; @_ZN7rocprim17ROCPRIM_400000_NS6detail17trampoline_kernelINS0_14default_configENS1_36segmented_radix_sort_config_selectorIllEEZNS1_25segmented_radix_sort_implIS3_Lb0EPKlPlS8_S9_N2at6native12_GLOBAL__N_18offset_tEEE10hipError_tPvRmT1_PNSt15iterator_traitsISH_E10value_typeET2_T3_PNSI_ISN_E10value_typeET4_jRbjT5_ST_jjP12ihipStream_tbEUlT_E2_NS1_11comp_targetILNS1_3genE4ELNS1_11target_archE910ELNS1_3gpuE8ELNS1_3repE0EEENS1_30default_config_static_selectorELNS0_4arch9wavefront6targetE1EEEvSH_
; %bb.0:
	.section	.rodata,"a",@progbits
	.p2align	6, 0x0
	.amdhsa_kernel _ZN7rocprim17ROCPRIM_400000_NS6detail17trampoline_kernelINS0_14default_configENS1_36segmented_radix_sort_config_selectorIllEEZNS1_25segmented_radix_sort_implIS3_Lb0EPKlPlS8_S9_N2at6native12_GLOBAL__N_18offset_tEEE10hipError_tPvRmT1_PNSt15iterator_traitsISH_E10value_typeET2_T3_PNSI_ISN_E10value_typeET4_jRbjT5_ST_jjP12ihipStream_tbEUlT_E2_NS1_11comp_targetILNS1_3genE4ELNS1_11target_archE910ELNS1_3gpuE8ELNS1_3repE0EEENS1_30default_config_static_selectorELNS0_4arch9wavefront6targetE1EEEvSH_
		.amdhsa_group_segment_fixed_size 0
		.amdhsa_private_segment_fixed_size 0
		.amdhsa_kernarg_size 80
		.amdhsa_user_sgpr_count 6
		.amdhsa_user_sgpr_private_segment_buffer 1
		.amdhsa_user_sgpr_dispatch_ptr 0
		.amdhsa_user_sgpr_queue_ptr 0
		.amdhsa_user_sgpr_kernarg_segment_ptr 1
		.amdhsa_user_sgpr_dispatch_id 0
		.amdhsa_user_sgpr_flat_scratch_init 0
		.amdhsa_user_sgpr_private_segment_size 0
		.amdhsa_uses_dynamic_stack 0
		.amdhsa_system_sgpr_private_segment_wavefront_offset 0
		.amdhsa_system_sgpr_workgroup_id_x 1
		.amdhsa_system_sgpr_workgroup_id_y 0
		.amdhsa_system_sgpr_workgroup_id_z 0
		.amdhsa_system_sgpr_workgroup_info 0
		.amdhsa_system_vgpr_workitem_id 0
		.amdhsa_next_free_vgpr 1
		.amdhsa_next_free_sgpr 0
		.amdhsa_reserve_vcc 0
		.amdhsa_reserve_flat_scratch 0
		.amdhsa_float_round_mode_32 0
		.amdhsa_float_round_mode_16_64 0
		.amdhsa_float_denorm_mode_32 3
		.amdhsa_float_denorm_mode_16_64 3
		.amdhsa_dx10_clamp 1
		.amdhsa_ieee_mode 1
		.amdhsa_fp16_overflow 0
		.amdhsa_exception_fp_ieee_invalid_op 0
		.amdhsa_exception_fp_denorm_src 0
		.amdhsa_exception_fp_ieee_div_zero 0
		.amdhsa_exception_fp_ieee_overflow 0
		.amdhsa_exception_fp_ieee_underflow 0
		.amdhsa_exception_fp_ieee_inexact 0
		.amdhsa_exception_int_div_zero 0
	.end_amdhsa_kernel
	.section	.text._ZN7rocprim17ROCPRIM_400000_NS6detail17trampoline_kernelINS0_14default_configENS1_36segmented_radix_sort_config_selectorIllEEZNS1_25segmented_radix_sort_implIS3_Lb0EPKlPlS8_S9_N2at6native12_GLOBAL__N_18offset_tEEE10hipError_tPvRmT1_PNSt15iterator_traitsISH_E10value_typeET2_T3_PNSI_ISN_E10value_typeET4_jRbjT5_ST_jjP12ihipStream_tbEUlT_E2_NS1_11comp_targetILNS1_3genE4ELNS1_11target_archE910ELNS1_3gpuE8ELNS1_3repE0EEENS1_30default_config_static_selectorELNS0_4arch9wavefront6targetE1EEEvSH_,"axG",@progbits,_ZN7rocprim17ROCPRIM_400000_NS6detail17trampoline_kernelINS0_14default_configENS1_36segmented_radix_sort_config_selectorIllEEZNS1_25segmented_radix_sort_implIS3_Lb0EPKlPlS8_S9_N2at6native12_GLOBAL__N_18offset_tEEE10hipError_tPvRmT1_PNSt15iterator_traitsISH_E10value_typeET2_T3_PNSI_ISN_E10value_typeET4_jRbjT5_ST_jjP12ihipStream_tbEUlT_E2_NS1_11comp_targetILNS1_3genE4ELNS1_11target_archE910ELNS1_3gpuE8ELNS1_3repE0EEENS1_30default_config_static_selectorELNS0_4arch9wavefront6targetE1EEEvSH_,comdat
.Lfunc_end839:
	.size	_ZN7rocprim17ROCPRIM_400000_NS6detail17trampoline_kernelINS0_14default_configENS1_36segmented_radix_sort_config_selectorIllEEZNS1_25segmented_radix_sort_implIS3_Lb0EPKlPlS8_S9_N2at6native12_GLOBAL__N_18offset_tEEE10hipError_tPvRmT1_PNSt15iterator_traitsISH_E10value_typeET2_T3_PNSI_ISN_E10value_typeET4_jRbjT5_ST_jjP12ihipStream_tbEUlT_E2_NS1_11comp_targetILNS1_3genE4ELNS1_11target_archE910ELNS1_3gpuE8ELNS1_3repE0EEENS1_30default_config_static_selectorELNS0_4arch9wavefront6targetE1EEEvSH_, .Lfunc_end839-_ZN7rocprim17ROCPRIM_400000_NS6detail17trampoline_kernelINS0_14default_configENS1_36segmented_radix_sort_config_selectorIllEEZNS1_25segmented_radix_sort_implIS3_Lb0EPKlPlS8_S9_N2at6native12_GLOBAL__N_18offset_tEEE10hipError_tPvRmT1_PNSt15iterator_traitsISH_E10value_typeET2_T3_PNSI_ISN_E10value_typeET4_jRbjT5_ST_jjP12ihipStream_tbEUlT_E2_NS1_11comp_targetILNS1_3genE4ELNS1_11target_archE910ELNS1_3gpuE8ELNS1_3repE0EEENS1_30default_config_static_selectorELNS0_4arch9wavefront6targetE1EEEvSH_
                                        ; -- End function
	.set _ZN7rocprim17ROCPRIM_400000_NS6detail17trampoline_kernelINS0_14default_configENS1_36segmented_radix_sort_config_selectorIllEEZNS1_25segmented_radix_sort_implIS3_Lb0EPKlPlS8_S9_N2at6native12_GLOBAL__N_18offset_tEEE10hipError_tPvRmT1_PNSt15iterator_traitsISH_E10value_typeET2_T3_PNSI_ISN_E10value_typeET4_jRbjT5_ST_jjP12ihipStream_tbEUlT_E2_NS1_11comp_targetILNS1_3genE4ELNS1_11target_archE910ELNS1_3gpuE8ELNS1_3repE0EEENS1_30default_config_static_selectorELNS0_4arch9wavefront6targetE1EEEvSH_.num_vgpr, 0
	.set _ZN7rocprim17ROCPRIM_400000_NS6detail17trampoline_kernelINS0_14default_configENS1_36segmented_radix_sort_config_selectorIllEEZNS1_25segmented_radix_sort_implIS3_Lb0EPKlPlS8_S9_N2at6native12_GLOBAL__N_18offset_tEEE10hipError_tPvRmT1_PNSt15iterator_traitsISH_E10value_typeET2_T3_PNSI_ISN_E10value_typeET4_jRbjT5_ST_jjP12ihipStream_tbEUlT_E2_NS1_11comp_targetILNS1_3genE4ELNS1_11target_archE910ELNS1_3gpuE8ELNS1_3repE0EEENS1_30default_config_static_selectorELNS0_4arch9wavefront6targetE1EEEvSH_.num_agpr, 0
	.set _ZN7rocprim17ROCPRIM_400000_NS6detail17trampoline_kernelINS0_14default_configENS1_36segmented_radix_sort_config_selectorIllEEZNS1_25segmented_radix_sort_implIS3_Lb0EPKlPlS8_S9_N2at6native12_GLOBAL__N_18offset_tEEE10hipError_tPvRmT1_PNSt15iterator_traitsISH_E10value_typeET2_T3_PNSI_ISN_E10value_typeET4_jRbjT5_ST_jjP12ihipStream_tbEUlT_E2_NS1_11comp_targetILNS1_3genE4ELNS1_11target_archE910ELNS1_3gpuE8ELNS1_3repE0EEENS1_30default_config_static_selectorELNS0_4arch9wavefront6targetE1EEEvSH_.numbered_sgpr, 0
	.set _ZN7rocprim17ROCPRIM_400000_NS6detail17trampoline_kernelINS0_14default_configENS1_36segmented_radix_sort_config_selectorIllEEZNS1_25segmented_radix_sort_implIS3_Lb0EPKlPlS8_S9_N2at6native12_GLOBAL__N_18offset_tEEE10hipError_tPvRmT1_PNSt15iterator_traitsISH_E10value_typeET2_T3_PNSI_ISN_E10value_typeET4_jRbjT5_ST_jjP12ihipStream_tbEUlT_E2_NS1_11comp_targetILNS1_3genE4ELNS1_11target_archE910ELNS1_3gpuE8ELNS1_3repE0EEENS1_30default_config_static_selectorELNS0_4arch9wavefront6targetE1EEEvSH_.num_named_barrier, 0
	.set _ZN7rocprim17ROCPRIM_400000_NS6detail17trampoline_kernelINS0_14default_configENS1_36segmented_radix_sort_config_selectorIllEEZNS1_25segmented_radix_sort_implIS3_Lb0EPKlPlS8_S9_N2at6native12_GLOBAL__N_18offset_tEEE10hipError_tPvRmT1_PNSt15iterator_traitsISH_E10value_typeET2_T3_PNSI_ISN_E10value_typeET4_jRbjT5_ST_jjP12ihipStream_tbEUlT_E2_NS1_11comp_targetILNS1_3genE4ELNS1_11target_archE910ELNS1_3gpuE8ELNS1_3repE0EEENS1_30default_config_static_selectorELNS0_4arch9wavefront6targetE1EEEvSH_.private_seg_size, 0
	.set _ZN7rocprim17ROCPRIM_400000_NS6detail17trampoline_kernelINS0_14default_configENS1_36segmented_radix_sort_config_selectorIllEEZNS1_25segmented_radix_sort_implIS3_Lb0EPKlPlS8_S9_N2at6native12_GLOBAL__N_18offset_tEEE10hipError_tPvRmT1_PNSt15iterator_traitsISH_E10value_typeET2_T3_PNSI_ISN_E10value_typeET4_jRbjT5_ST_jjP12ihipStream_tbEUlT_E2_NS1_11comp_targetILNS1_3genE4ELNS1_11target_archE910ELNS1_3gpuE8ELNS1_3repE0EEENS1_30default_config_static_selectorELNS0_4arch9wavefront6targetE1EEEvSH_.uses_vcc, 0
	.set _ZN7rocprim17ROCPRIM_400000_NS6detail17trampoline_kernelINS0_14default_configENS1_36segmented_radix_sort_config_selectorIllEEZNS1_25segmented_radix_sort_implIS3_Lb0EPKlPlS8_S9_N2at6native12_GLOBAL__N_18offset_tEEE10hipError_tPvRmT1_PNSt15iterator_traitsISH_E10value_typeET2_T3_PNSI_ISN_E10value_typeET4_jRbjT5_ST_jjP12ihipStream_tbEUlT_E2_NS1_11comp_targetILNS1_3genE4ELNS1_11target_archE910ELNS1_3gpuE8ELNS1_3repE0EEENS1_30default_config_static_selectorELNS0_4arch9wavefront6targetE1EEEvSH_.uses_flat_scratch, 0
	.set _ZN7rocprim17ROCPRIM_400000_NS6detail17trampoline_kernelINS0_14default_configENS1_36segmented_radix_sort_config_selectorIllEEZNS1_25segmented_radix_sort_implIS3_Lb0EPKlPlS8_S9_N2at6native12_GLOBAL__N_18offset_tEEE10hipError_tPvRmT1_PNSt15iterator_traitsISH_E10value_typeET2_T3_PNSI_ISN_E10value_typeET4_jRbjT5_ST_jjP12ihipStream_tbEUlT_E2_NS1_11comp_targetILNS1_3genE4ELNS1_11target_archE910ELNS1_3gpuE8ELNS1_3repE0EEENS1_30default_config_static_selectorELNS0_4arch9wavefront6targetE1EEEvSH_.has_dyn_sized_stack, 0
	.set _ZN7rocprim17ROCPRIM_400000_NS6detail17trampoline_kernelINS0_14default_configENS1_36segmented_radix_sort_config_selectorIllEEZNS1_25segmented_radix_sort_implIS3_Lb0EPKlPlS8_S9_N2at6native12_GLOBAL__N_18offset_tEEE10hipError_tPvRmT1_PNSt15iterator_traitsISH_E10value_typeET2_T3_PNSI_ISN_E10value_typeET4_jRbjT5_ST_jjP12ihipStream_tbEUlT_E2_NS1_11comp_targetILNS1_3genE4ELNS1_11target_archE910ELNS1_3gpuE8ELNS1_3repE0EEENS1_30default_config_static_selectorELNS0_4arch9wavefront6targetE1EEEvSH_.has_recursion, 0
	.set _ZN7rocprim17ROCPRIM_400000_NS6detail17trampoline_kernelINS0_14default_configENS1_36segmented_radix_sort_config_selectorIllEEZNS1_25segmented_radix_sort_implIS3_Lb0EPKlPlS8_S9_N2at6native12_GLOBAL__N_18offset_tEEE10hipError_tPvRmT1_PNSt15iterator_traitsISH_E10value_typeET2_T3_PNSI_ISN_E10value_typeET4_jRbjT5_ST_jjP12ihipStream_tbEUlT_E2_NS1_11comp_targetILNS1_3genE4ELNS1_11target_archE910ELNS1_3gpuE8ELNS1_3repE0EEENS1_30default_config_static_selectorELNS0_4arch9wavefront6targetE1EEEvSH_.has_indirect_call, 0
	.section	.AMDGPU.csdata,"",@progbits
; Kernel info:
; codeLenInByte = 0
; TotalNumSgprs: 4
; NumVgprs: 0
; ScratchSize: 0
; MemoryBound: 0
; FloatMode: 240
; IeeeMode: 1
; LDSByteSize: 0 bytes/workgroup (compile time only)
; SGPRBlocks: 0
; VGPRBlocks: 0
; NumSGPRsForWavesPerEU: 4
; NumVGPRsForWavesPerEU: 1
; Occupancy: 10
; WaveLimiterHint : 0
; COMPUTE_PGM_RSRC2:SCRATCH_EN: 0
; COMPUTE_PGM_RSRC2:USER_SGPR: 6
; COMPUTE_PGM_RSRC2:TRAP_HANDLER: 0
; COMPUTE_PGM_RSRC2:TGID_X_EN: 1
; COMPUTE_PGM_RSRC2:TGID_Y_EN: 0
; COMPUTE_PGM_RSRC2:TGID_Z_EN: 0
; COMPUTE_PGM_RSRC2:TIDIG_COMP_CNT: 0
	.section	.text._ZN7rocprim17ROCPRIM_400000_NS6detail17trampoline_kernelINS0_14default_configENS1_36segmented_radix_sort_config_selectorIllEEZNS1_25segmented_radix_sort_implIS3_Lb0EPKlPlS8_S9_N2at6native12_GLOBAL__N_18offset_tEEE10hipError_tPvRmT1_PNSt15iterator_traitsISH_E10value_typeET2_T3_PNSI_ISN_E10value_typeET4_jRbjT5_ST_jjP12ihipStream_tbEUlT_E2_NS1_11comp_targetILNS1_3genE3ELNS1_11target_archE908ELNS1_3gpuE7ELNS1_3repE0EEENS1_30default_config_static_selectorELNS0_4arch9wavefront6targetE1EEEvSH_,"axG",@progbits,_ZN7rocprim17ROCPRIM_400000_NS6detail17trampoline_kernelINS0_14default_configENS1_36segmented_radix_sort_config_selectorIllEEZNS1_25segmented_radix_sort_implIS3_Lb0EPKlPlS8_S9_N2at6native12_GLOBAL__N_18offset_tEEE10hipError_tPvRmT1_PNSt15iterator_traitsISH_E10value_typeET2_T3_PNSI_ISN_E10value_typeET4_jRbjT5_ST_jjP12ihipStream_tbEUlT_E2_NS1_11comp_targetILNS1_3genE3ELNS1_11target_archE908ELNS1_3gpuE7ELNS1_3repE0EEENS1_30default_config_static_selectorELNS0_4arch9wavefront6targetE1EEEvSH_,comdat
	.globl	_ZN7rocprim17ROCPRIM_400000_NS6detail17trampoline_kernelINS0_14default_configENS1_36segmented_radix_sort_config_selectorIllEEZNS1_25segmented_radix_sort_implIS3_Lb0EPKlPlS8_S9_N2at6native12_GLOBAL__N_18offset_tEEE10hipError_tPvRmT1_PNSt15iterator_traitsISH_E10value_typeET2_T3_PNSI_ISN_E10value_typeET4_jRbjT5_ST_jjP12ihipStream_tbEUlT_E2_NS1_11comp_targetILNS1_3genE3ELNS1_11target_archE908ELNS1_3gpuE7ELNS1_3repE0EEENS1_30default_config_static_selectorELNS0_4arch9wavefront6targetE1EEEvSH_ ; -- Begin function _ZN7rocprim17ROCPRIM_400000_NS6detail17trampoline_kernelINS0_14default_configENS1_36segmented_radix_sort_config_selectorIllEEZNS1_25segmented_radix_sort_implIS3_Lb0EPKlPlS8_S9_N2at6native12_GLOBAL__N_18offset_tEEE10hipError_tPvRmT1_PNSt15iterator_traitsISH_E10value_typeET2_T3_PNSI_ISN_E10value_typeET4_jRbjT5_ST_jjP12ihipStream_tbEUlT_E2_NS1_11comp_targetILNS1_3genE3ELNS1_11target_archE908ELNS1_3gpuE7ELNS1_3repE0EEENS1_30default_config_static_selectorELNS0_4arch9wavefront6targetE1EEEvSH_
	.p2align	8
	.type	_ZN7rocprim17ROCPRIM_400000_NS6detail17trampoline_kernelINS0_14default_configENS1_36segmented_radix_sort_config_selectorIllEEZNS1_25segmented_radix_sort_implIS3_Lb0EPKlPlS8_S9_N2at6native12_GLOBAL__N_18offset_tEEE10hipError_tPvRmT1_PNSt15iterator_traitsISH_E10value_typeET2_T3_PNSI_ISN_E10value_typeET4_jRbjT5_ST_jjP12ihipStream_tbEUlT_E2_NS1_11comp_targetILNS1_3genE3ELNS1_11target_archE908ELNS1_3gpuE7ELNS1_3repE0EEENS1_30default_config_static_selectorELNS0_4arch9wavefront6targetE1EEEvSH_,@function
_ZN7rocprim17ROCPRIM_400000_NS6detail17trampoline_kernelINS0_14default_configENS1_36segmented_radix_sort_config_selectorIllEEZNS1_25segmented_radix_sort_implIS3_Lb0EPKlPlS8_S9_N2at6native12_GLOBAL__N_18offset_tEEE10hipError_tPvRmT1_PNSt15iterator_traitsISH_E10value_typeET2_T3_PNSI_ISN_E10value_typeET4_jRbjT5_ST_jjP12ihipStream_tbEUlT_E2_NS1_11comp_targetILNS1_3genE3ELNS1_11target_archE908ELNS1_3gpuE7ELNS1_3repE0EEENS1_30default_config_static_selectorELNS0_4arch9wavefront6targetE1EEEvSH_: ; @_ZN7rocprim17ROCPRIM_400000_NS6detail17trampoline_kernelINS0_14default_configENS1_36segmented_radix_sort_config_selectorIllEEZNS1_25segmented_radix_sort_implIS3_Lb0EPKlPlS8_S9_N2at6native12_GLOBAL__N_18offset_tEEE10hipError_tPvRmT1_PNSt15iterator_traitsISH_E10value_typeET2_T3_PNSI_ISN_E10value_typeET4_jRbjT5_ST_jjP12ihipStream_tbEUlT_E2_NS1_11comp_targetILNS1_3genE3ELNS1_11target_archE908ELNS1_3gpuE7ELNS1_3repE0EEENS1_30default_config_static_selectorELNS0_4arch9wavefront6targetE1EEEvSH_
; %bb.0:
	.section	.rodata,"a",@progbits
	.p2align	6, 0x0
	.amdhsa_kernel _ZN7rocprim17ROCPRIM_400000_NS6detail17trampoline_kernelINS0_14default_configENS1_36segmented_radix_sort_config_selectorIllEEZNS1_25segmented_radix_sort_implIS3_Lb0EPKlPlS8_S9_N2at6native12_GLOBAL__N_18offset_tEEE10hipError_tPvRmT1_PNSt15iterator_traitsISH_E10value_typeET2_T3_PNSI_ISN_E10value_typeET4_jRbjT5_ST_jjP12ihipStream_tbEUlT_E2_NS1_11comp_targetILNS1_3genE3ELNS1_11target_archE908ELNS1_3gpuE7ELNS1_3repE0EEENS1_30default_config_static_selectorELNS0_4arch9wavefront6targetE1EEEvSH_
		.amdhsa_group_segment_fixed_size 0
		.amdhsa_private_segment_fixed_size 0
		.amdhsa_kernarg_size 80
		.amdhsa_user_sgpr_count 6
		.amdhsa_user_sgpr_private_segment_buffer 1
		.amdhsa_user_sgpr_dispatch_ptr 0
		.amdhsa_user_sgpr_queue_ptr 0
		.amdhsa_user_sgpr_kernarg_segment_ptr 1
		.amdhsa_user_sgpr_dispatch_id 0
		.amdhsa_user_sgpr_flat_scratch_init 0
		.amdhsa_user_sgpr_private_segment_size 0
		.amdhsa_uses_dynamic_stack 0
		.amdhsa_system_sgpr_private_segment_wavefront_offset 0
		.amdhsa_system_sgpr_workgroup_id_x 1
		.amdhsa_system_sgpr_workgroup_id_y 0
		.amdhsa_system_sgpr_workgroup_id_z 0
		.amdhsa_system_sgpr_workgroup_info 0
		.amdhsa_system_vgpr_workitem_id 0
		.amdhsa_next_free_vgpr 1
		.amdhsa_next_free_sgpr 0
		.amdhsa_reserve_vcc 0
		.amdhsa_reserve_flat_scratch 0
		.amdhsa_float_round_mode_32 0
		.amdhsa_float_round_mode_16_64 0
		.amdhsa_float_denorm_mode_32 3
		.amdhsa_float_denorm_mode_16_64 3
		.amdhsa_dx10_clamp 1
		.amdhsa_ieee_mode 1
		.amdhsa_fp16_overflow 0
		.amdhsa_exception_fp_ieee_invalid_op 0
		.amdhsa_exception_fp_denorm_src 0
		.amdhsa_exception_fp_ieee_div_zero 0
		.amdhsa_exception_fp_ieee_overflow 0
		.amdhsa_exception_fp_ieee_underflow 0
		.amdhsa_exception_fp_ieee_inexact 0
		.amdhsa_exception_int_div_zero 0
	.end_amdhsa_kernel
	.section	.text._ZN7rocprim17ROCPRIM_400000_NS6detail17trampoline_kernelINS0_14default_configENS1_36segmented_radix_sort_config_selectorIllEEZNS1_25segmented_radix_sort_implIS3_Lb0EPKlPlS8_S9_N2at6native12_GLOBAL__N_18offset_tEEE10hipError_tPvRmT1_PNSt15iterator_traitsISH_E10value_typeET2_T3_PNSI_ISN_E10value_typeET4_jRbjT5_ST_jjP12ihipStream_tbEUlT_E2_NS1_11comp_targetILNS1_3genE3ELNS1_11target_archE908ELNS1_3gpuE7ELNS1_3repE0EEENS1_30default_config_static_selectorELNS0_4arch9wavefront6targetE1EEEvSH_,"axG",@progbits,_ZN7rocprim17ROCPRIM_400000_NS6detail17trampoline_kernelINS0_14default_configENS1_36segmented_radix_sort_config_selectorIllEEZNS1_25segmented_radix_sort_implIS3_Lb0EPKlPlS8_S9_N2at6native12_GLOBAL__N_18offset_tEEE10hipError_tPvRmT1_PNSt15iterator_traitsISH_E10value_typeET2_T3_PNSI_ISN_E10value_typeET4_jRbjT5_ST_jjP12ihipStream_tbEUlT_E2_NS1_11comp_targetILNS1_3genE3ELNS1_11target_archE908ELNS1_3gpuE7ELNS1_3repE0EEENS1_30default_config_static_selectorELNS0_4arch9wavefront6targetE1EEEvSH_,comdat
.Lfunc_end840:
	.size	_ZN7rocprim17ROCPRIM_400000_NS6detail17trampoline_kernelINS0_14default_configENS1_36segmented_radix_sort_config_selectorIllEEZNS1_25segmented_radix_sort_implIS3_Lb0EPKlPlS8_S9_N2at6native12_GLOBAL__N_18offset_tEEE10hipError_tPvRmT1_PNSt15iterator_traitsISH_E10value_typeET2_T3_PNSI_ISN_E10value_typeET4_jRbjT5_ST_jjP12ihipStream_tbEUlT_E2_NS1_11comp_targetILNS1_3genE3ELNS1_11target_archE908ELNS1_3gpuE7ELNS1_3repE0EEENS1_30default_config_static_selectorELNS0_4arch9wavefront6targetE1EEEvSH_, .Lfunc_end840-_ZN7rocprim17ROCPRIM_400000_NS6detail17trampoline_kernelINS0_14default_configENS1_36segmented_radix_sort_config_selectorIllEEZNS1_25segmented_radix_sort_implIS3_Lb0EPKlPlS8_S9_N2at6native12_GLOBAL__N_18offset_tEEE10hipError_tPvRmT1_PNSt15iterator_traitsISH_E10value_typeET2_T3_PNSI_ISN_E10value_typeET4_jRbjT5_ST_jjP12ihipStream_tbEUlT_E2_NS1_11comp_targetILNS1_3genE3ELNS1_11target_archE908ELNS1_3gpuE7ELNS1_3repE0EEENS1_30default_config_static_selectorELNS0_4arch9wavefront6targetE1EEEvSH_
                                        ; -- End function
	.set _ZN7rocprim17ROCPRIM_400000_NS6detail17trampoline_kernelINS0_14default_configENS1_36segmented_radix_sort_config_selectorIllEEZNS1_25segmented_radix_sort_implIS3_Lb0EPKlPlS8_S9_N2at6native12_GLOBAL__N_18offset_tEEE10hipError_tPvRmT1_PNSt15iterator_traitsISH_E10value_typeET2_T3_PNSI_ISN_E10value_typeET4_jRbjT5_ST_jjP12ihipStream_tbEUlT_E2_NS1_11comp_targetILNS1_3genE3ELNS1_11target_archE908ELNS1_3gpuE7ELNS1_3repE0EEENS1_30default_config_static_selectorELNS0_4arch9wavefront6targetE1EEEvSH_.num_vgpr, 0
	.set _ZN7rocprim17ROCPRIM_400000_NS6detail17trampoline_kernelINS0_14default_configENS1_36segmented_radix_sort_config_selectorIllEEZNS1_25segmented_radix_sort_implIS3_Lb0EPKlPlS8_S9_N2at6native12_GLOBAL__N_18offset_tEEE10hipError_tPvRmT1_PNSt15iterator_traitsISH_E10value_typeET2_T3_PNSI_ISN_E10value_typeET4_jRbjT5_ST_jjP12ihipStream_tbEUlT_E2_NS1_11comp_targetILNS1_3genE3ELNS1_11target_archE908ELNS1_3gpuE7ELNS1_3repE0EEENS1_30default_config_static_selectorELNS0_4arch9wavefront6targetE1EEEvSH_.num_agpr, 0
	.set _ZN7rocprim17ROCPRIM_400000_NS6detail17trampoline_kernelINS0_14default_configENS1_36segmented_radix_sort_config_selectorIllEEZNS1_25segmented_radix_sort_implIS3_Lb0EPKlPlS8_S9_N2at6native12_GLOBAL__N_18offset_tEEE10hipError_tPvRmT1_PNSt15iterator_traitsISH_E10value_typeET2_T3_PNSI_ISN_E10value_typeET4_jRbjT5_ST_jjP12ihipStream_tbEUlT_E2_NS1_11comp_targetILNS1_3genE3ELNS1_11target_archE908ELNS1_3gpuE7ELNS1_3repE0EEENS1_30default_config_static_selectorELNS0_4arch9wavefront6targetE1EEEvSH_.numbered_sgpr, 0
	.set _ZN7rocprim17ROCPRIM_400000_NS6detail17trampoline_kernelINS0_14default_configENS1_36segmented_radix_sort_config_selectorIllEEZNS1_25segmented_radix_sort_implIS3_Lb0EPKlPlS8_S9_N2at6native12_GLOBAL__N_18offset_tEEE10hipError_tPvRmT1_PNSt15iterator_traitsISH_E10value_typeET2_T3_PNSI_ISN_E10value_typeET4_jRbjT5_ST_jjP12ihipStream_tbEUlT_E2_NS1_11comp_targetILNS1_3genE3ELNS1_11target_archE908ELNS1_3gpuE7ELNS1_3repE0EEENS1_30default_config_static_selectorELNS0_4arch9wavefront6targetE1EEEvSH_.num_named_barrier, 0
	.set _ZN7rocprim17ROCPRIM_400000_NS6detail17trampoline_kernelINS0_14default_configENS1_36segmented_radix_sort_config_selectorIllEEZNS1_25segmented_radix_sort_implIS3_Lb0EPKlPlS8_S9_N2at6native12_GLOBAL__N_18offset_tEEE10hipError_tPvRmT1_PNSt15iterator_traitsISH_E10value_typeET2_T3_PNSI_ISN_E10value_typeET4_jRbjT5_ST_jjP12ihipStream_tbEUlT_E2_NS1_11comp_targetILNS1_3genE3ELNS1_11target_archE908ELNS1_3gpuE7ELNS1_3repE0EEENS1_30default_config_static_selectorELNS0_4arch9wavefront6targetE1EEEvSH_.private_seg_size, 0
	.set _ZN7rocprim17ROCPRIM_400000_NS6detail17trampoline_kernelINS0_14default_configENS1_36segmented_radix_sort_config_selectorIllEEZNS1_25segmented_radix_sort_implIS3_Lb0EPKlPlS8_S9_N2at6native12_GLOBAL__N_18offset_tEEE10hipError_tPvRmT1_PNSt15iterator_traitsISH_E10value_typeET2_T3_PNSI_ISN_E10value_typeET4_jRbjT5_ST_jjP12ihipStream_tbEUlT_E2_NS1_11comp_targetILNS1_3genE3ELNS1_11target_archE908ELNS1_3gpuE7ELNS1_3repE0EEENS1_30default_config_static_selectorELNS0_4arch9wavefront6targetE1EEEvSH_.uses_vcc, 0
	.set _ZN7rocprim17ROCPRIM_400000_NS6detail17trampoline_kernelINS0_14default_configENS1_36segmented_radix_sort_config_selectorIllEEZNS1_25segmented_radix_sort_implIS3_Lb0EPKlPlS8_S9_N2at6native12_GLOBAL__N_18offset_tEEE10hipError_tPvRmT1_PNSt15iterator_traitsISH_E10value_typeET2_T3_PNSI_ISN_E10value_typeET4_jRbjT5_ST_jjP12ihipStream_tbEUlT_E2_NS1_11comp_targetILNS1_3genE3ELNS1_11target_archE908ELNS1_3gpuE7ELNS1_3repE0EEENS1_30default_config_static_selectorELNS0_4arch9wavefront6targetE1EEEvSH_.uses_flat_scratch, 0
	.set _ZN7rocprim17ROCPRIM_400000_NS6detail17trampoline_kernelINS0_14default_configENS1_36segmented_radix_sort_config_selectorIllEEZNS1_25segmented_radix_sort_implIS3_Lb0EPKlPlS8_S9_N2at6native12_GLOBAL__N_18offset_tEEE10hipError_tPvRmT1_PNSt15iterator_traitsISH_E10value_typeET2_T3_PNSI_ISN_E10value_typeET4_jRbjT5_ST_jjP12ihipStream_tbEUlT_E2_NS1_11comp_targetILNS1_3genE3ELNS1_11target_archE908ELNS1_3gpuE7ELNS1_3repE0EEENS1_30default_config_static_selectorELNS0_4arch9wavefront6targetE1EEEvSH_.has_dyn_sized_stack, 0
	.set _ZN7rocprim17ROCPRIM_400000_NS6detail17trampoline_kernelINS0_14default_configENS1_36segmented_radix_sort_config_selectorIllEEZNS1_25segmented_radix_sort_implIS3_Lb0EPKlPlS8_S9_N2at6native12_GLOBAL__N_18offset_tEEE10hipError_tPvRmT1_PNSt15iterator_traitsISH_E10value_typeET2_T3_PNSI_ISN_E10value_typeET4_jRbjT5_ST_jjP12ihipStream_tbEUlT_E2_NS1_11comp_targetILNS1_3genE3ELNS1_11target_archE908ELNS1_3gpuE7ELNS1_3repE0EEENS1_30default_config_static_selectorELNS0_4arch9wavefront6targetE1EEEvSH_.has_recursion, 0
	.set _ZN7rocprim17ROCPRIM_400000_NS6detail17trampoline_kernelINS0_14default_configENS1_36segmented_radix_sort_config_selectorIllEEZNS1_25segmented_radix_sort_implIS3_Lb0EPKlPlS8_S9_N2at6native12_GLOBAL__N_18offset_tEEE10hipError_tPvRmT1_PNSt15iterator_traitsISH_E10value_typeET2_T3_PNSI_ISN_E10value_typeET4_jRbjT5_ST_jjP12ihipStream_tbEUlT_E2_NS1_11comp_targetILNS1_3genE3ELNS1_11target_archE908ELNS1_3gpuE7ELNS1_3repE0EEENS1_30default_config_static_selectorELNS0_4arch9wavefront6targetE1EEEvSH_.has_indirect_call, 0
	.section	.AMDGPU.csdata,"",@progbits
; Kernel info:
; codeLenInByte = 0
; TotalNumSgprs: 4
; NumVgprs: 0
; ScratchSize: 0
; MemoryBound: 0
; FloatMode: 240
; IeeeMode: 1
; LDSByteSize: 0 bytes/workgroup (compile time only)
; SGPRBlocks: 0
; VGPRBlocks: 0
; NumSGPRsForWavesPerEU: 4
; NumVGPRsForWavesPerEU: 1
; Occupancy: 10
; WaveLimiterHint : 0
; COMPUTE_PGM_RSRC2:SCRATCH_EN: 0
; COMPUTE_PGM_RSRC2:USER_SGPR: 6
; COMPUTE_PGM_RSRC2:TRAP_HANDLER: 0
; COMPUTE_PGM_RSRC2:TGID_X_EN: 1
; COMPUTE_PGM_RSRC2:TGID_Y_EN: 0
; COMPUTE_PGM_RSRC2:TGID_Z_EN: 0
; COMPUTE_PGM_RSRC2:TIDIG_COMP_CNT: 0
	.section	.text._ZN7rocprim17ROCPRIM_400000_NS6detail17trampoline_kernelINS0_14default_configENS1_36segmented_radix_sort_config_selectorIllEEZNS1_25segmented_radix_sort_implIS3_Lb0EPKlPlS8_S9_N2at6native12_GLOBAL__N_18offset_tEEE10hipError_tPvRmT1_PNSt15iterator_traitsISH_E10value_typeET2_T3_PNSI_ISN_E10value_typeET4_jRbjT5_ST_jjP12ihipStream_tbEUlT_E2_NS1_11comp_targetILNS1_3genE2ELNS1_11target_archE906ELNS1_3gpuE6ELNS1_3repE0EEENS1_30default_config_static_selectorELNS0_4arch9wavefront6targetE1EEEvSH_,"axG",@progbits,_ZN7rocprim17ROCPRIM_400000_NS6detail17trampoline_kernelINS0_14default_configENS1_36segmented_radix_sort_config_selectorIllEEZNS1_25segmented_radix_sort_implIS3_Lb0EPKlPlS8_S9_N2at6native12_GLOBAL__N_18offset_tEEE10hipError_tPvRmT1_PNSt15iterator_traitsISH_E10value_typeET2_T3_PNSI_ISN_E10value_typeET4_jRbjT5_ST_jjP12ihipStream_tbEUlT_E2_NS1_11comp_targetILNS1_3genE2ELNS1_11target_archE906ELNS1_3gpuE6ELNS1_3repE0EEENS1_30default_config_static_selectorELNS0_4arch9wavefront6targetE1EEEvSH_,comdat
	.globl	_ZN7rocprim17ROCPRIM_400000_NS6detail17trampoline_kernelINS0_14default_configENS1_36segmented_radix_sort_config_selectorIllEEZNS1_25segmented_radix_sort_implIS3_Lb0EPKlPlS8_S9_N2at6native12_GLOBAL__N_18offset_tEEE10hipError_tPvRmT1_PNSt15iterator_traitsISH_E10value_typeET2_T3_PNSI_ISN_E10value_typeET4_jRbjT5_ST_jjP12ihipStream_tbEUlT_E2_NS1_11comp_targetILNS1_3genE2ELNS1_11target_archE906ELNS1_3gpuE6ELNS1_3repE0EEENS1_30default_config_static_selectorELNS0_4arch9wavefront6targetE1EEEvSH_ ; -- Begin function _ZN7rocprim17ROCPRIM_400000_NS6detail17trampoline_kernelINS0_14default_configENS1_36segmented_radix_sort_config_selectorIllEEZNS1_25segmented_radix_sort_implIS3_Lb0EPKlPlS8_S9_N2at6native12_GLOBAL__N_18offset_tEEE10hipError_tPvRmT1_PNSt15iterator_traitsISH_E10value_typeET2_T3_PNSI_ISN_E10value_typeET4_jRbjT5_ST_jjP12ihipStream_tbEUlT_E2_NS1_11comp_targetILNS1_3genE2ELNS1_11target_archE906ELNS1_3gpuE6ELNS1_3repE0EEENS1_30default_config_static_selectorELNS0_4arch9wavefront6targetE1EEEvSH_
	.p2align	8
	.type	_ZN7rocprim17ROCPRIM_400000_NS6detail17trampoline_kernelINS0_14default_configENS1_36segmented_radix_sort_config_selectorIllEEZNS1_25segmented_radix_sort_implIS3_Lb0EPKlPlS8_S9_N2at6native12_GLOBAL__N_18offset_tEEE10hipError_tPvRmT1_PNSt15iterator_traitsISH_E10value_typeET2_T3_PNSI_ISN_E10value_typeET4_jRbjT5_ST_jjP12ihipStream_tbEUlT_E2_NS1_11comp_targetILNS1_3genE2ELNS1_11target_archE906ELNS1_3gpuE6ELNS1_3repE0EEENS1_30default_config_static_selectorELNS0_4arch9wavefront6targetE1EEEvSH_,@function
_ZN7rocprim17ROCPRIM_400000_NS6detail17trampoline_kernelINS0_14default_configENS1_36segmented_radix_sort_config_selectorIllEEZNS1_25segmented_radix_sort_implIS3_Lb0EPKlPlS8_S9_N2at6native12_GLOBAL__N_18offset_tEEE10hipError_tPvRmT1_PNSt15iterator_traitsISH_E10value_typeET2_T3_PNSI_ISN_E10value_typeET4_jRbjT5_ST_jjP12ihipStream_tbEUlT_E2_NS1_11comp_targetILNS1_3genE2ELNS1_11target_archE906ELNS1_3gpuE6ELNS1_3repE0EEENS1_30default_config_static_selectorELNS0_4arch9wavefront6targetE1EEEvSH_: ; @_ZN7rocprim17ROCPRIM_400000_NS6detail17trampoline_kernelINS0_14default_configENS1_36segmented_radix_sort_config_selectorIllEEZNS1_25segmented_radix_sort_implIS3_Lb0EPKlPlS8_S9_N2at6native12_GLOBAL__N_18offset_tEEE10hipError_tPvRmT1_PNSt15iterator_traitsISH_E10value_typeET2_T3_PNSI_ISN_E10value_typeET4_jRbjT5_ST_jjP12ihipStream_tbEUlT_E2_NS1_11comp_targetILNS1_3genE2ELNS1_11target_archE906ELNS1_3gpuE6ELNS1_3repE0EEENS1_30default_config_static_selectorELNS0_4arch9wavefront6targetE1EEEvSH_
; %bb.0:
	s_add_u32 s0, s0, s8
	s_load_dwordx4 s[8:11], s[4:5], 0x34
	s_addc_u32 s1, s1, 0
                                        ; implicit-def: $vgpr232 : SGPR spill to VGPR lane
	s_mov_b32 s32, 0
	v_writelane_b32 v232, s7, 0
	s_waitcnt lgkmcnt(0)
	s_add_i32 s73, s9, s6
	s_add_i32 s96, s11, s6
	s_mul_i32 s73, s73, s8
	s_mul_i32 s96, s96, s10
	s_cmp_le_u32 s96, s73
	s_cbranch_scc1 .LBB841_1198
; %bb.1:
	s_mov_b32 s72, s6
	s_load_dword s6, s[4:5], 0x30
	s_load_dwordx4 s[84:87], s[4:5], 0x20
	s_load_dwordx4 s[88:91], s[4:5], 0x44
	s_load_dwordx8 s[76:83], s[4:5], 0x0
	s_waitcnt lgkmcnt(0)
	s_bitcmp1_b32 s6, 0
	s_cselect_b64 s[74:75], -1, 0
	s_sub_i32 s33, s96, s73
	s_cmpk_lt_u32 s33, 0x1001
	s_mov_b64 s[6:7], -1
	s_cbranch_scc0 .LBB841_15
; %bb.2:
	s_cmpk_lt_u32 s33, 0x41
	s_cbranch_scc0 .LBB841_9
; %bb.3:
	s_load_dword s6, s[4:5], 0x5c
	s_waitcnt lgkmcnt(0)
	s_lshr_b32 s7, s6, 16
	s_and_b32 s6, s6, 0xffff
	v_mad_u32_u24 v3, v2, s7, v1
	v_mad_u64_u32 v[3:4], s[6:7], v3, s6, v[0:1]
	v_cmp_gt_u32_e32 vcc, 8, v3
	s_and_saveexec_b64 s[34:35], vcc
	s_cbranch_execz .LBB841_8
; %bb.4:
	s_and_b32 s6, s88, 1
	v_cndmask_b32_e64 v3, 0, 1, s[74:75]
	v_cmp_ne_u32_e32 vcc, s6, v3
	s_mov_b64 s[6:7], -1
	s_cbranch_vccnz .LBB841_6
; %bb.5:
	s_add_u32 s8, s4, 0x50
	s_mov_b64 s[6:7], src_shared_base
	s_addc_u32 s9, s5, 0
	v_lshlrev_b32_e32 v3, 20, v2
	v_lshlrev_b32_e32 v4, 10, v1
	s_getpc_b64 s[10:11]
	s_add_u32 s10, s10, _ZN7rocprim17ROCPRIM_400000_NS6detail26segmented_warp_sort_helperINS1_20WarpSortHelperConfigILj8ELj8ELj256EEEllLi256ELb0EvE4sortIPKlPlS8_S9_EEvT_T0_T1_T2_jjjjRNS5_12storage_typeE@rel32@lo+4
	s_addc_u32 s11, s11, _ZN7rocprim17ROCPRIM_400000_NS6detail26segmented_warp_sort_helperINS1_20WarpSortHelperConfigILj8ELj8ELj256EEEllLi256ELb0EvE4sortIPKlPlS8_S9_EEvT_T0_T1_T2_jjjjRNS5_12storage_typeE@rel32@hi+12
	v_or3_b32 v31, v0, v4, v3
	s_mov_b32 s12, s72
	v_readlane_b32 s13, v232, 0
	v_mov_b32_e32 v40, v0
	v_mov_b32_e32 v0, s76
	;; [unrolled: 1-line block ×17, first 2 shown]
	s_mov_b64 s[36:37], s[4:5]
	s_swappc_b64 s[30:31], s[10:11]
	v_mov_b32_e32 v1, v41
	v_mov_b32_e32 v2, v42
	;; [unrolled: 1-line block ×3, first 2 shown]
	s_mov_b64 s[4:5], s[36:37]
	s_mov_b64 s[6:7], 0
.LBB841_6:
	s_andn2_b64 vcc, exec, s[6:7]
	s_cbranch_vccnz .LBB841_8
; %bb.7:
	s_add_u32 s8, s4, 0x50
	s_mov_b64 s[6:7], src_shared_base
	s_addc_u32 s9, s5, 0
	v_lshlrev_b32_e32 v3, 20, v2
	v_lshlrev_b32_e32 v4, 10, v1
	s_getpc_b64 s[10:11]
	s_add_u32 s10, s10, _ZN7rocprim17ROCPRIM_400000_NS6detail26segmented_warp_sort_helperINS1_20WarpSortHelperConfigILj8ELj8ELj256EEEllLi256ELb0EvE4sortIPKlPlS8_S9_EEvT_T0_T1_T2_jjjjRNS5_12storage_typeE@rel32@lo+4
	s_addc_u32 s11, s11, _ZN7rocprim17ROCPRIM_400000_NS6detail26segmented_warp_sort_helperINS1_20WarpSortHelperConfigILj8ELj8ELj256EEEllLi256ELb0EvE4sortIPKlPlS8_S9_EEvT_T0_T1_T2_jjjjRNS5_12storage_typeE@rel32@hi+12
	v_or3_b32 v31, v0, v4, v3
	s_mov_b32 s12, s72
	v_readlane_b32 s13, v232, 0
	v_mov_b32_e32 v40, v0
	v_mov_b32_e32 v0, s76
	;; [unrolled: 1-line block ×17, first 2 shown]
	s_mov_b64 s[36:37], s[4:5]
	s_swappc_b64 s[30:31], s[10:11]
	v_mov_b32_e32 v1, v41
	v_mov_b32_e32 v2, v42
	;; [unrolled: 1-line block ×3, first 2 shown]
	s_mov_b64 s[4:5], s[36:37]
.LBB841_8:
	s_or_b64 exec, exec, s[34:35]
	s_mov_b64 s[6:7], 0
.LBB841_9:
	s_andn2_b64 vcc, exec, s[6:7]
	s_cbranch_vccnz .LBB841_14
; %bb.10:
	s_and_b32 s6, s88, 1
	v_cndmask_b32_e64 v3, 0, 1, s[74:75]
	v_cmp_ne_u32_e32 vcc, s6, v3
	s_mov_b64 s[6:7], -1
	v_lshlrev_b32_e32 v41, 20, v2
	v_lshlrev_b32_e32 v42, 10, v1
	s_cbranch_vccnz .LBB841_12
; %bb.11:
	s_add_u32 s8, s4, 0x50
	s_mov_b64 s[6:7], src_shared_base
	s_addc_u32 s9, s5, 0
	s_getpc_b64 s[10:11]
	s_add_u32 s10, s10, _ZN7rocprim17ROCPRIM_400000_NS6detail40segmented_radix_sort_single_block_helperIllLj256ELj16ELb0EE4sortIPKlPlS6_S7_EEbT_T0_T1_T2_jjjjRNS3_12storage_typeE@rel32@lo+4
	s_addc_u32 s11, s11, _ZN7rocprim17ROCPRIM_400000_NS6detail40segmented_radix_sort_single_block_helperIllLj256ELj16ELb0EE4sortIPKlPlS6_S7_EEbT_T0_T1_T2_jjjjRNS3_12storage_typeE@rel32@hi+12
	v_or3_b32 v31, v0, v42, v41
	s_mov_b32 s12, s72
	v_readlane_b32 s13, v232, 0
	v_mov_b32_e32 v40, v0
	v_mov_b32_e32 v0, s76
	;; [unrolled: 1-line block ×17, first 2 shown]
	s_mov_b64 s[34:35], s[4:5]
	s_swappc_b64 s[30:31], s[10:11]
	v_mov_b32_e32 v1, v43
	v_mov_b32_e32 v2, v44
	;; [unrolled: 1-line block ×3, first 2 shown]
	s_mov_b64 s[4:5], s[34:35]
	s_mov_b64 s[6:7], 0
.LBB841_12:
	s_andn2_b64 vcc, exec, s[6:7]
	s_cbranch_vccnz .LBB841_14
; %bb.13:
	s_add_u32 s8, s4, 0x50
	s_mov_b64 s[6:7], src_shared_base
	s_addc_u32 s9, s5, 0
	s_getpc_b64 s[10:11]
	s_add_u32 s10, s10, _ZN7rocprim17ROCPRIM_400000_NS6detail40segmented_radix_sort_single_block_helperIllLj256ELj16ELb0EE4sortIPKlPlS6_S7_EEbT_T0_T1_T2_jjjjRNS3_12storage_typeE@rel32@lo+4
	s_addc_u32 s11, s11, _ZN7rocprim17ROCPRIM_400000_NS6detail40segmented_radix_sort_single_block_helperIllLj256ELj16ELb0EE4sortIPKlPlS6_S7_EEbT_T0_T1_T2_jjjjRNS3_12storage_typeE@rel32@hi+12
	v_or3_b32 v31, v0, v42, v41
	s_mov_b32 s12, s72
	v_readlane_b32 s13, v232, 0
	v_mov_b32_e32 v40, v0
	v_mov_b32_e32 v0, s76
	;; [unrolled: 1-line block ×17, first 2 shown]
	s_mov_b64 s[34:35], s[4:5]
	s_swappc_b64 s[30:31], s[10:11]
	v_mov_b32_e32 v1, v41
	v_mov_b32_e32 v2, v42
	;; [unrolled: 1-line block ×3, first 2 shown]
	s_mov_b64 s[4:5], s[34:35]
.LBB841_14:
	s_mov_b64 s[6:7], 0
.LBB841_15:
	s_andn2_b64 vcc, exec, s[6:7]
	s_cbranch_vccnz .LBB841_1198
; %bb.16:
	s_cmp_ge_u32 s89, s90
	s_cbranch_scc1 .LBB841_1198
; %bb.17:
	v_lshlrev_b32_e32 v5, 3, v0
	v_and_b32_e32 v4, 3, v0
	v_mov_b32_e32 v6, s81
	v_add_co_u32_e32 v75, vcc, s80, v5
	v_addc_co_u32_e32 v76, vcc, 0, v6, vcc
	v_lshlrev_b32_e32 v91, 2, v4
	v_lshlrev_b32_e32 v4, 4, v0
	v_mul_u32_u24_e32 v92, 12, v0
	v_and_b32_e32 v6, 0xc0, v0
	v_min_u32_e32 v7, 64, v6
	v_and_b32_e32 v98, 0xc00, v4
	v_or_b32_e32 v6, 63, v6
	v_sub_u32_e32 v99, v92, v5
	s_movk_i32 s18, 0x80
	v_cmp_eq_u32_e64 s[12:13], v0, v6
	v_add_u32_e32 v6, 1, v0
	v_add_u32_e32 v101, v99, v4
	v_lshlrev_b32_e32 v4, 3, v98
	s_mov_b64 s[6:7], s[4:5]
	v_cmp_gt_u32_e64 s[4:5], s18, v0
	v_mul_u32_u24_e32 v100, 20, v6
	v_cmp_ne_u32_e64 s[18:19], s18, v6
	v_mov_b32_e32 v6, s87
	v_add_co_u32_e32 v102, vcc, s86, v4
	v_addc_co_u32_e32 v103, vcc, 0, v6, vcc
	v_mov_b32_e32 v6, s81
	v_add_co_u32_e32 v104, vcc, s80, v4
	v_addc_co_u32_e32 v105, vcc, 0, v6, vcc
	;; [unrolled: 3-line block ×6, first 2 shown]
	v_or_b32_e32 v7, 63, v7
	v_mov_b32_e32 v5, s83
	v_add_co_u32_e32 v115, vcc, s82, v4
	v_cmp_eq_u32_e64 s[8:9], v0, v7
	v_lshrrev_b32_e32 v7, 4, v0
	v_addc_co_u32_e32 v116, vcc, 0, v5, vcc
	v_lshlrev_b32_e32 v73, 2, v0
	v_or_b32_e32 v77, 0x200, v0
	v_or_b32_e32 v78, 0x300, v0
	;; [unrolled: 1-line block ×14, first 2 shown]
	v_writelane_b32 v232, s8, 1
	v_and_b32_e32 v94, 12, v7
	s_add_u32 s94, s6, 0x50
	v_mov_b32_e32 v5, s77
	v_add_co_u32_e32 v117, vcc, s76, v4
	v_mbcnt_lo_u32_b32 v4, -1, 0
	s_mov_b32 s93, 0
	v_mov_b32_e32 v3, 0
	v_or_b32_e32 v74, 0x100, v0
	v_mad_u32_u24 v93, v0, 12, v73
	v_writelane_b32 v232, s9, 2
	v_or_b32_e32 v95, 0x8200, v94
	v_cmp_gt_u32_e64 s[8:9], 2, v0
	v_add_u32_e32 v96, 0x8200, v73
	v_cmp_lt_u32_e64 s[10:11], 63, v0
	v_add_u32_e32 v97, 0x81fc, v94
	s_addc_u32 s95, s7, 0
	v_cmp_gt_u32_e64 s[14:15], 4, v0
	v_cmp_eq_u32_e64 s[16:17], 0, v0
	v_mad_i32_i24 v106, v0, -12, v101
	v_addc_co_u32_e32 v118, vcc, 0, v5, vcc
	s_mov_b32 s88, s89
	v_mov_b32_e32 v119, 1
	v_lshlrev_b32_e32 v120, 3, v0
	v_lshlrev_b32_e32 v121, 3, v77
	;; [unrolled: 1-line block ×15, first 2 shown]
	v_mbcnt_hi_u32_b32 v135, -1, v4
	v_mov_b32_e32 v5, -1
	v_bfrev_b32_e32 v6, -2
	s_mov_b32 s97, s89
	s_branch .LBB841_20
.LBB841_18:                             ;   in Loop: Header=BB841_20 Depth=1
	s_waitcnt lgkmcnt(0)
	s_barrier
.LBB841_19:                             ;   in Loop: Header=BB841_20 Depth=1
	s_add_i32 s97, s97, 7
	s_cmp_ge_u32 s97, s90
	s_cbranch_scc1 .LBB841_1198
.LBB841_20:                             ; =>This Loop Header: Depth=1
                                        ;     Child Loop BB841_24 Depth 2
                                        ;     Child Loop BB841_104 Depth 2
	;; [unrolled: 1-line block ×8, first 2 shown]
	s_sub_i32 s6, s90, s97
	s_xor_b64 s[74:75], s[74:75], -1
	s_min_u32 s98, s6, 7
	s_cmp_lg_u32 s97, s89
	s_mov_b64 s[20:21], -1
	ds_write2st64_b32 v73, v3, v3 offset1:4
	s_waitcnt lgkmcnt(0)
	s_cbranch_scc0 .LBB841_610
; %bb.21:                               ;   in Loop: Header=BB841_20 Depth=1
	s_lshl_b32 s6, -1, s98
	s_not_b32 s99, s6
	s_and_b64 vcc, exec, s[74:75]
	s_cbranch_vccz .LBB841_315
; %bb.22:                               ;   in Loop: Header=BB841_20 Depth=1
	s_mov_b32 s6, s33
	s_mov_b32 s92, s73
	s_barrier
                                        ; implicit-def: $vgpr7_vgpr8
                                        ; implicit-def: $vgpr9_vgpr10
                                        ; implicit-def: $vgpr11_vgpr12
                                        ; implicit-def: $vgpr13_vgpr14
                                        ; implicit-def: $vgpr15_vgpr16
                                        ; implicit-def: $vgpr17_vgpr18
                                        ; implicit-def: $vgpr19_vgpr20
                                        ; implicit-def: $vgpr21_vgpr22
                                        ; implicit-def: $vgpr23_vgpr24
                                        ; implicit-def: $vgpr25_vgpr26
                                        ; implicit-def: $vgpr27_vgpr28
                                        ; implicit-def: $vgpr29_vgpr30
                                        ; implicit-def: $vgpr31_vgpr32
                                        ; implicit-def: $vgpr33_vgpr34
                                        ; implicit-def: $vgpr35_vgpr36
                                        ; implicit-def: $vgpr37_vgpr38
	s_branch .LBB841_24
.LBB841_23:                             ;   in Loop: Header=BB841_24 Depth=2
	s_or_b64 exec, exec, s[20:21]
	s_addk_i32 s6, 0xf000
	s_cmp_ge_u32 s7, s96
	s_mov_b32 s92, s7
	s_cbranch_scc1 .LBB841_92
.LBB841_24:                             ;   Parent Loop BB841_20 Depth=1
                                        ; =>  This Inner Loop Header: Depth=2
	s_add_i32 s7, s92, 0x1000
	s_cmp_gt_u32 s7, s96
	s_mov_b64 s[20:21], -1
                                        ; implicit-def: $vgpr39_vgpr40
                                        ; implicit-def: $vgpr41_vgpr42
                                        ; implicit-def: $vgpr43_vgpr44
                                        ; implicit-def: $vgpr45_vgpr46
                                        ; implicit-def: $vgpr47_vgpr48
                                        ; implicit-def: $vgpr49_vgpr50
                                        ; implicit-def: $vgpr51_vgpr52
                                        ; implicit-def: $vgpr53_vgpr54
                                        ; implicit-def: $vgpr55_vgpr56
                                        ; implicit-def: $vgpr57_vgpr58
                                        ; implicit-def: $vgpr59_vgpr60
                                        ; implicit-def: $vgpr61_vgpr62
                                        ; implicit-def: $vgpr63_vgpr64
                                        ; implicit-def: $vgpr65_vgpr66
                                        ; implicit-def: $vgpr67_vgpr68
                                        ; implicit-def: $vgpr69_vgpr70
	s_cbranch_scc1 .LBB841_26
; %bb.25:                               ;   in Loop: Header=BB841_24 Depth=2
	s_lshl_b64 s[20:21], s[92:93], 3
	v_mov_b32_e32 v4, s21
	v_add_co_u32_e32 v63, vcc, s20, v75
	v_addc_co_u32_e32 v64, vcc, v76, v4, vcc
	v_add_co_u32_e32 v47, vcc, 0x1000, v63
	v_addc_co_u32_e32 v48, vcc, 0, v64, vcc
	;; [unrolled: 2-line block ×4, first 2 shown]
	global_load_dwordx2 v[39:40], v[63:64], off
	global_load_dwordx2 v[41:42], v[63:64], off offset:2048
	global_load_dwordx2 v[43:44], v[47:48], off
	global_load_dwordx2 v[45:46], v[47:48], off offset:2048
	s_nop 0
	global_load_dwordx2 v[47:48], v[55:56], off
	global_load_dwordx2 v[49:50], v[55:56], off offset:2048
	global_load_dwordx2 v[51:52], v[57:58], off
	global_load_dwordx2 v[53:54], v[57:58], off offset:2048
	v_add_co_u32_e32 v57, vcc, 0x4000, v63
	v_addc_co_u32_e32 v58, vcc, 0, v64, vcc
	v_add_co_u32_e32 v61, vcc, 0x5000, v63
	v_addc_co_u32_e32 v62, vcc, 0, v64, vcc
	;; [unrolled: 2-line block ×4, first 2 shown]
	global_load_dwordx2 v[55:56], v[57:58], off
	s_nop 0
	global_load_dwordx2 v[57:58], v[57:58], off offset:2048
	s_nop 0
	global_load_dwordx2 v[59:60], v[61:62], off
	s_nop 0
	global_load_dwordx2 v[61:62], v[61:62], off offset:2048
	s_nop 0
	;; [unrolled: 4-line block ×3, first 2 shown]
	global_load_dwordx2 v[67:68], v[69:70], off
	s_nop 0
	global_load_dwordx2 v[69:70], v[69:70], off offset:2048
	s_mov_b64 s[20:21], 0
.LBB841_26:                             ;   in Loop: Header=BB841_24 Depth=2
	s_andn2_b64 vcc, exec, s[20:21]
	s_movk_i32 s22, 0x1000
	s_cbranch_vccnz .LBB841_45
; %bb.27:                               ;   in Loop: Header=BB841_24 Depth=2
	s_lshl_b64 s[20:21], s[92:93], 3
	s_add_u32 s20, s80, s20
	s_addc_u32 s21, s81, s21
	v_cmp_gt_u32_e32 vcc, s6, v0
	s_and_saveexec_b64 s[22:23], vcc
	s_cbranch_execnz .LBB841_77
; %bb.28:                               ;   in Loop: Header=BB841_24 Depth=2
	s_or_b64 exec, exec, s[22:23]
	v_cmp_gt_u32_e32 vcc, s6, v74
	s_and_saveexec_b64 s[22:23], vcc
	s_cbranch_execnz .LBB841_78
.LBB841_29:                             ;   in Loop: Header=BB841_24 Depth=2
	s_or_b64 exec, exec, s[22:23]
	v_cmp_gt_u32_e32 vcc, s6, v77
	s_and_saveexec_b64 s[22:23], vcc
	s_cbranch_execnz .LBB841_79
.LBB841_30:                             ;   in Loop: Header=BB841_24 Depth=2
	s_or_b64 exec, exec, s[22:23]
	v_cmp_gt_u32_e32 vcc, s6, v78
	s_and_saveexec_b64 s[22:23], vcc
	s_cbranch_execnz .LBB841_80
.LBB841_31:                             ;   in Loop: Header=BB841_24 Depth=2
	s_or_b64 exec, exec, s[22:23]
	v_cmp_gt_u32_e32 vcc, s6, v79
	s_and_saveexec_b64 s[22:23], vcc
	s_cbranch_execnz .LBB841_81
.LBB841_32:                             ;   in Loop: Header=BB841_24 Depth=2
	s_or_b64 exec, exec, s[22:23]
	v_cmp_gt_u32_e32 vcc, s6, v80
	s_and_saveexec_b64 s[22:23], vcc
	s_cbranch_execnz .LBB841_82
.LBB841_33:                             ;   in Loop: Header=BB841_24 Depth=2
	s_or_b64 exec, exec, s[22:23]
	v_cmp_gt_u32_e32 vcc, s6, v81
	s_and_saveexec_b64 s[22:23], vcc
	s_cbranch_execnz .LBB841_83
.LBB841_34:                             ;   in Loop: Header=BB841_24 Depth=2
	s_or_b64 exec, exec, s[22:23]
	v_cmp_gt_u32_e32 vcc, s6, v82
	s_and_saveexec_b64 s[22:23], vcc
	s_cbranch_execnz .LBB841_84
.LBB841_35:                             ;   in Loop: Header=BB841_24 Depth=2
	s_or_b64 exec, exec, s[22:23]
	v_cmp_gt_u32_e32 vcc, s6, v83
	s_and_saveexec_b64 s[22:23], vcc
	s_cbranch_execnz .LBB841_85
.LBB841_36:                             ;   in Loop: Header=BB841_24 Depth=2
	s_or_b64 exec, exec, s[22:23]
	v_cmp_gt_u32_e32 vcc, s6, v84
	s_and_saveexec_b64 s[22:23], vcc
	s_cbranch_execnz .LBB841_86
.LBB841_37:                             ;   in Loop: Header=BB841_24 Depth=2
	s_or_b64 exec, exec, s[22:23]
	v_cmp_gt_u32_e32 vcc, s6, v85
	s_and_saveexec_b64 s[22:23], vcc
	s_cbranch_execnz .LBB841_87
.LBB841_38:                             ;   in Loop: Header=BB841_24 Depth=2
	s_or_b64 exec, exec, s[22:23]
	v_cmp_gt_u32_e32 vcc, s6, v86
	s_and_saveexec_b64 s[22:23], vcc
	s_cbranch_execnz .LBB841_88
.LBB841_39:                             ;   in Loop: Header=BB841_24 Depth=2
	s_or_b64 exec, exec, s[22:23]
	v_cmp_gt_u32_e32 vcc, s6, v87
	s_and_saveexec_b64 s[22:23], vcc
	s_cbranch_execnz .LBB841_89
.LBB841_40:                             ;   in Loop: Header=BB841_24 Depth=2
	s_or_b64 exec, exec, s[22:23]
	v_cmp_gt_u32_e32 vcc, s6, v88
	s_and_saveexec_b64 s[22:23], vcc
	s_cbranch_execnz .LBB841_90
.LBB841_41:                             ;   in Loop: Header=BB841_24 Depth=2
	s_or_b64 exec, exec, s[22:23]
	v_cmp_gt_u32_e32 vcc, s6, v89
	s_and_saveexec_b64 s[22:23], vcc
	s_cbranch_execnz .LBB841_91
.LBB841_42:                             ;   in Loop: Header=BB841_24 Depth=2
	s_or_b64 exec, exec, s[22:23]
	v_cmp_gt_u32_e32 vcc, s6, v90
	s_and_saveexec_b64 s[22:23], vcc
	s_cbranch_execz .LBB841_44
.LBB841_43:                             ;   in Loop: Header=BB841_24 Depth=2
	global_load_dwordx2 v[7:8], v134, s[20:21]
.LBB841_44:                             ;   in Loop: Header=BB841_24 Depth=2
	s_or_b64 exec, exec, s[22:23]
	s_waitcnt vmcnt(0)
	v_mov_b32_e32 v40, v38
	v_mov_b32_e32 v42, v36
	;; [unrolled: 1-line block ×16, first 2 shown]
	s_mov_b32 s22, s6
	v_mov_b32_e32 v39, v37
	v_mov_b32_e32 v41, v35
	;; [unrolled: 1-line block ×16, first 2 shown]
.LBB841_45:                             ;   in Loop: Header=BB841_24 Depth=2
	s_waitcnt vmcnt(0)
	v_mov_b32_e32 v7, v69
	v_mov_b32_e32 v9, v67
	;; [unrolled: 1-line block ×32, first 2 shown]
	v_cmp_gt_u32_e32 vcc, s22, v0
	s_and_saveexec_b64 s[20:21], vcc
	s_cbranch_execnz .LBB841_61
; %bb.46:                               ;   in Loop: Header=BB841_24 Depth=2
	s_or_b64 exec, exec, s[20:21]
	v_cmp_gt_u32_e32 vcc, s22, v74
	s_and_saveexec_b64 s[20:21], vcc
	s_cbranch_execnz .LBB841_62
.LBB841_47:                             ;   in Loop: Header=BB841_24 Depth=2
	s_or_b64 exec, exec, s[20:21]
	v_cmp_gt_u32_e32 vcc, s22, v77
	s_and_saveexec_b64 s[20:21], vcc
	s_cbranch_execnz .LBB841_63
.LBB841_48:                             ;   in Loop: Header=BB841_24 Depth=2
	s_or_b64 exec, exec, s[20:21]
	v_cmp_gt_u32_e32 vcc, s22, v78
	s_and_saveexec_b64 s[20:21], vcc
	s_cbranch_execnz .LBB841_64
.LBB841_49:                             ;   in Loop: Header=BB841_24 Depth=2
	s_or_b64 exec, exec, s[20:21]
	v_cmp_gt_u32_e32 vcc, s22, v79
	s_and_saveexec_b64 s[20:21], vcc
	s_cbranch_execnz .LBB841_65
.LBB841_50:                             ;   in Loop: Header=BB841_24 Depth=2
	s_or_b64 exec, exec, s[20:21]
	v_cmp_gt_u32_e32 vcc, s22, v80
	s_and_saveexec_b64 s[20:21], vcc
	s_cbranch_execnz .LBB841_66
.LBB841_51:                             ;   in Loop: Header=BB841_24 Depth=2
	s_or_b64 exec, exec, s[20:21]
	v_cmp_gt_u32_e32 vcc, s22, v81
	s_and_saveexec_b64 s[20:21], vcc
	s_cbranch_execnz .LBB841_67
.LBB841_52:                             ;   in Loop: Header=BB841_24 Depth=2
	s_or_b64 exec, exec, s[20:21]
	v_cmp_gt_u32_e32 vcc, s22, v82
	s_and_saveexec_b64 s[20:21], vcc
	s_cbranch_execnz .LBB841_68
.LBB841_53:                             ;   in Loop: Header=BB841_24 Depth=2
	s_or_b64 exec, exec, s[20:21]
	v_cmp_gt_u32_e32 vcc, s22, v83
	s_and_saveexec_b64 s[20:21], vcc
	s_cbranch_execnz .LBB841_69
.LBB841_54:                             ;   in Loop: Header=BB841_24 Depth=2
	s_or_b64 exec, exec, s[20:21]
	v_cmp_gt_u32_e32 vcc, s22, v84
	s_and_saveexec_b64 s[20:21], vcc
	s_cbranch_execnz .LBB841_70
.LBB841_55:                             ;   in Loop: Header=BB841_24 Depth=2
	s_or_b64 exec, exec, s[20:21]
	v_cmp_gt_u32_e32 vcc, s22, v85
	s_and_saveexec_b64 s[20:21], vcc
	s_cbranch_execnz .LBB841_71
.LBB841_56:                             ;   in Loop: Header=BB841_24 Depth=2
	s_or_b64 exec, exec, s[20:21]
	v_cmp_gt_u32_e32 vcc, s22, v86
	s_and_saveexec_b64 s[20:21], vcc
	s_cbranch_execnz .LBB841_72
.LBB841_57:                             ;   in Loop: Header=BB841_24 Depth=2
	s_or_b64 exec, exec, s[20:21]
	v_cmp_gt_u32_e32 vcc, s22, v87
	s_and_saveexec_b64 s[20:21], vcc
	s_cbranch_execnz .LBB841_73
.LBB841_58:                             ;   in Loop: Header=BB841_24 Depth=2
	s_or_b64 exec, exec, s[20:21]
	v_cmp_gt_u32_e32 vcc, s22, v88
	s_and_saveexec_b64 s[20:21], vcc
	s_cbranch_execnz .LBB841_74
.LBB841_59:                             ;   in Loop: Header=BB841_24 Depth=2
	s_or_b64 exec, exec, s[20:21]
	v_cmp_gt_u32_e32 vcc, s22, v89
	s_and_saveexec_b64 s[20:21], vcc
	s_cbranch_execnz .LBB841_75
.LBB841_60:                             ;   in Loop: Header=BB841_24 Depth=2
	s_or_b64 exec, exec, s[20:21]
	v_cmp_gt_u32_e32 vcc, s22, v90
	s_and_saveexec_b64 s[20:21], vcc
	s_cbranch_execz .LBB841_23
	s_branch .LBB841_76
.LBB841_61:                             ;   in Loop: Header=BB841_24 Depth=2
	v_xor_b32_e32 v40, 0x80000000, v38
	v_mov_b32_e32 v39, v37
	v_lshrrev_b64 v[39:40], s97, v[39:40]
	v_and_b32_e32 v4, s99, v39
	v_lshl_or_b32 v4, v4, 4, v91
	ds_add_u32 v4, v119
	s_or_b64 exec, exec, s[20:21]
	v_cmp_gt_u32_e32 vcc, s22, v74
	s_and_saveexec_b64 s[20:21], vcc
	s_cbranch_execz .LBB841_47
.LBB841_62:                             ;   in Loop: Header=BB841_24 Depth=2
	v_xor_b32_e32 v40, 0x80000000, v36
	v_mov_b32_e32 v39, v35
	v_lshrrev_b64 v[39:40], s97, v[39:40]
	v_and_b32_e32 v4, s99, v39
	v_lshl_or_b32 v4, v4, 4, v91
	ds_add_u32 v4, v119
	s_or_b64 exec, exec, s[20:21]
	v_cmp_gt_u32_e32 vcc, s22, v77
	s_and_saveexec_b64 s[20:21], vcc
	s_cbranch_execz .LBB841_48
.LBB841_63:                             ;   in Loop: Header=BB841_24 Depth=2
	v_xor_b32_e32 v40, 0x80000000, v34
	v_mov_b32_e32 v39, v33
	v_lshrrev_b64 v[39:40], s97, v[39:40]
	v_and_b32_e32 v4, s99, v39
	v_lshl_or_b32 v4, v4, 4, v91
	ds_add_u32 v4, v119
	s_or_b64 exec, exec, s[20:21]
	v_cmp_gt_u32_e32 vcc, s22, v78
	s_and_saveexec_b64 s[20:21], vcc
	s_cbranch_execz .LBB841_49
.LBB841_64:                             ;   in Loop: Header=BB841_24 Depth=2
	v_xor_b32_e32 v40, 0x80000000, v32
	v_mov_b32_e32 v39, v31
	v_lshrrev_b64 v[39:40], s97, v[39:40]
	v_and_b32_e32 v4, s99, v39
	v_lshl_or_b32 v4, v4, 4, v91
	ds_add_u32 v4, v119
	s_or_b64 exec, exec, s[20:21]
	v_cmp_gt_u32_e32 vcc, s22, v79
	s_and_saveexec_b64 s[20:21], vcc
	s_cbranch_execz .LBB841_50
.LBB841_65:                             ;   in Loop: Header=BB841_24 Depth=2
	v_xor_b32_e32 v40, 0x80000000, v30
	v_mov_b32_e32 v39, v29
	v_lshrrev_b64 v[39:40], s97, v[39:40]
	v_and_b32_e32 v4, s99, v39
	v_lshl_or_b32 v4, v4, 4, v91
	ds_add_u32 v4, v119
	s_or_b64 exec, exec, s[20:21]
	v_cmp_gt_u32_e32 vcc, s22, v80
	s_and_saveexec_b64 s[20:21], vcc
	s_cbranch_execz .LBB841_51
.LBB841_66:                             ;   in Loop: Header=BB841_24 Depth=2
	v_xor_b32_e32 v40, 0x80000000, v28
	v_mov_b32_e32 v39, v27
	v_lshrrev_b64 v[39:40], s97, v[39:40]
	v_and_b32_e32 v4, s99, v39
	v_lshl_or_b32 v4, v4, 4, v91
	ds_add_u32 v4, v119
	s_or_b64 exec, exec, s[20:21]
	v_cmp_gt_u32_e32 vcc, s22, v81
	s_and_saveexec_b64 s[20:21], vcc
	s_cbranch_execz .LBB841_52
.LBB841_67:                             ;   in Loop: Header=BB841_24 Depth=2
	v_xor_b32_e32 v40, 0x80000000, v26
	v_mov_b32_e32 v39, v25
	v_lshrrev_b64 v[39:40], s97, v[39:40]
	v_and_b32_e32 v4, s99, v39
	v_lshl_or_b32 v4, v4, 4, v91
	ds_add_u32 v4, v119
	s_or_b64 exec, exec, s[20:21]
	v_cmp_gt_u32_e32 vcc, s22, v82
	s_and_saveexec_b64 s[20:21], vcc
	s_cbranch_execz .LBB841_53
.LBB841_68:                             ;   in Loop: Header=BB841_24 Depth=2
	v_xor_b32_e32 v40, 0x80000000, v24
	v_mov_b32_e32 v39, v23
	v_lshrrev_b64 v[39:40], s97, v[39:40]
	v_and_b32_e32 v4, s99, v39
	v_lshl_or_b32 v4, v4, 4, v91
	ds_add_u32 v4, v119
	s_or_b64 exec, exec, s[20:21]
	v_cmp_gt_u32_e32 vcc, s22, v83
	s_and_saveexec_b64 s[20:21], vcc
	s_cbranch_execz .LBB841_54
.LBB841_69:                             ;   in Loop: Header=BB841_24 Depth=2
	v_xor_b32_e32 v40, 0x80000000, v22
	v_mov_b32_e32 v39, v21
	v_lshrrev_b64 v[39:40], s97, v[39:40]
	v_and_b32_e32 v4, s99, v39
	v_lshl_or_b32 v4, v4, 4, v91
	ds_add_u32 v4, v119
	s_or_b64 exec, exec, s[20:21]
	v_cmp_gt_u32_e32 vcc, s22, v84
	s_and_saveexec_b64 s[20:21], vcc
	s_cbranch_execz .LBB841_55
.LBB841_70:                             ;   in Loop: Header=BB841_24 Depth=2
	v_xor_b32_e32 v40, 0x80000000, v20
	v_mov_b32_e32 v39, v19
	v_lshrrev_b64 v[39:40], s97, v[39:40]
	v_and_b32_e32 v4, s99, v39
	v_lshl_or_b32 v4, v4, 4, v91
	ds_add_u32 v4, v119
	s_or_b64 exec, exec, s[20:21]
	v_cmp_gt_u32_e32 vcc, s22, v85
	s_and_saveexec_b64 s[20:21], vcc
	s_cbranch_execz .LBB841_56
.LBB841_71:                             ;   in Loop: Header=BB841_24 Depth=2
	v_xor_b32_e32 v40, 0x80000000, v18
	v_mov_b32_e32 v39, v17
	v_lshrrev_b64 v[39:40], s97, v[39:40]
	v_and_b32_e32 v4, s99, v39
	v_lshl_or_b32 v4, v4, 4, v91
	ds_add_u32 v4, v119
	s_or_b64 exec, exec, s[20:21]
	v_cmp_gt_u32_e32 vcc, s22, v86
	s_and_saveexec_b64 s[20:21], vcc
	s_cbranch_execz .LBB841_57
.LBB841_72:                             ;   in Loop: Header=BB841_24 Depth=2
	v_xor_b32_e32 v40, 0x80000000, v16
	v_mov_b32_e32 v39, v15
	v_lshrrev_b64 v[39:40], s97, v[39:40]
	v_and_b32_e32 v4, s99, v39
	v_lshl_or_b32 v4, v4, 4, v91
	ds_add_u32 v4, v119
	s_or_b64 exec, exec, s[20:21]
	v_cmp_gt_u32_e32 vcc, s22, v87
	s_and_saveexec_b64 s[20:21], vcc
	s_cbranch_execz .LBB841_58
.LBB841_73:                             ;   in Loop: Header=BB841_24 Depth=2
	v_xor_b32_e32 v40, 0x80000000, v14
	v_mov_b32_e32 v39, v13
	v_lshrrev_b64 v[39:40], s97, v[39:40]
	v_and_b32_e32 v4, s99, v39
	v_lshl_or_b32 v4, v4, 4, v91
	ds_add_u32 v4, v119
	s_or_b64 exec, exec, s[20:21]
	v_cmp_gt_u32_e32 vcc, s22, v88
	s_and_saveexec_b64 s[20:21], vcc
	s_cbranch_execz .LBB841_59
.LBB841_74:                             ;   in Loop: Header=BB841_24 Depth=2
	v_xor_b32_e32 v40, 0x80000000, v12
	v_mov_b32_e32 v39, v11
	v_lshrrev_b64 v[39:40], s97, v[39:40]
	v_and_b32_e32 v4, s99, v39
	v_lshl_or_b32 v4, v4, 4, v91
	ds_add_u32 v4, v119
	s_or_b64 exec, exec, s[20:21]
	v_cmp_gt_u32_e32 vcc, s22, v89
	s_and_saveexec_b64 s[20:21], vcc
	s_cbranch_execz .LBB841_60
.LBB841_75:                             ;   in Loop: Header=BB841_24 Depth=2
	v_xor_b32_e32 v40, 0x80000000, v10
	v_mov_b32_e32 v39, v9
	v_lshrrev_b64 v[39:40], s97, v[39:40]
	v_and_b32_e32 v4, s99, v39
	v_lshl_or_b32 v4, v4, 4, v91
	ds_add_u32 v4, v119
	s_or_b64 exec, exec, s[20:21]
	v_cmp_gt_u32_e32 vcc, s22, v90
	s_and_saveexec_b64 s[20:21], vcc
	s_cbranch_execz .LBB841_23
.LBB841_76:                             ;   in Loop: Header=BB841_24 Depth=2
	v_xor_b32_e32 v40, 0x80000000, v8
	v_mov_b32_e32 v39, v7
	v_lshrrev_b64 v[39:40], s97, v[39:40]
	v_and_b32_e32 v4, s99, v39
	v_lshl_or_b32 v4, v4, 4, v91
	ds_add_u32 v4, v119
	s_branch .LBB841_23
.LBB841_77:                             ;   in Loop: Header=BB841_24 Depth=2
	global_load_dwordx2 v[37:38], v120, s[20:21]
	s_or_b64 exec, exec, s[22:23]
	v_cmp_gt_u32_e32 vcc, s6, v74
	s_and_saveexec_b64 s[22:23], vcc
	s_cbranch_execz .LBB841_29
.LBB841_78:                             ;   in Loop: Header=BB841_24 Depth=2
	global_load_dwordx2 v[35:36], v120, s[20:21] offset:2048
	s_or_b64 exec, exec, s[22:23]
	v_cmp_gt_u32_e32 vcc, s6, v77
	s_and_saveexec_b64 s[22:23], vcc
	s_cbranch_execz .LBB841_30
.LBB841_79:                             ;   in Loop: Header=BB841_24 Depth=2
	global_load_dwordx2 v[33:34], v121, s[20:21]
	s_or_b64 exec, exec, s[22:23]
	v_cmp_gt_u32_e32 vcc, s6, v78
	s_and_saveexec_b64 s[22:23], vcc
	s_cbranch_execz .LBB841_31
.LBB841_80:                             ;   in Loop: Header=BB841_24 Depth=2
	global_load_dwordx2 v[31:32], v122, s[20:21]
	s_or_b64 exec, exec, s[22:23]
	v_cmp_gt_u32_e32 vcc, s6, v79
	s_and_saveexec_b64 s[22:23], vcc
	s_cbranch_execz .LBB841_32
.LBB841_81:                             ;   in Loop: Header=BB841_24 Depth=2
	global_load_dwordx2 v[29:30], v123, s[20:21]
	s_or_b64 exec, exec, s[22:23]
	v_cmp_gt_u32_e32 vcc, s6, v80
	s_and_saveexec_b64 s[22:23], vcc
	s_cbranch_execz .LBB841_33
.LBB841_82:                             ;   in Loop: Header=BB841_24 Depth=2
	global_load_dwordx2 v[27:28], v124, s[20:21]
	s_or_b64 exec, exec, s[22:23]
	v_cmp_gt_u32_e32 vcc, s6, v81
	s_and_saveexec_b64 s[22:23], vcc
	s_cbranch_execz .LBB841_34
.LBB841_83:                             ;   in Loop: Header=BB841_24 Depth=2
	global_load_dwordx2 v[25:26], v125, s[20:21]
	s_or_b64 exec, exec, s[22:23]
	v_cmp_gt_u32_e32 vcc, s6, v82
	s_and_saveexec_b64 s[22:23], vcc
	s_cbranch_execz .LBB841_35
.LBB841_84:                             ;   in Loop: Header=BB841_24 Depth=2
	global_load_dwordx2 v[23:24], v126, s[20:21]
	s_or_b64 exec, exec, s[22:23]
	v_cmp_gt_u32_e32 vcc, s6, v83
	s_and_saveexec_b64 s[22:23], vcc
	s_cbranch_execz .LBB841_36
.LBB841_85:                             ;   in Loop: Header=BB841_24 Depth=2
	global_load_dwordx2 v[21:22], v127, s[20:21]
	s_or_b64 exec, exec, s[22:23]
	v_cmp_gt_u32_e32 vcc, s6, v84
	s_and_saveexec_b64 s[22:23], vcc
	s_cbranch_execz .LBB841_37
.LBB841_86:                             ;   in Loop: Header=BB841_24 Depth=2
	global_load_dwordx2 v[19:20], v128, s[20:21]
	s_or_b64 exec, exec, s[22:23]
	v_cmp_gt_u32_e32 vcc, s6, v85
	s_and_saveexec_b64 s[22:23], vcc
	s_cbranch_execz .LBB841_38
.LBB841_87:                             ;   in Loop: Header=BB841_24 Depth=2
	global_load_dwordx2 v[17:18], v129, s[20:21]
	s_or_b64 exec, exec, s[22:23]
	v_cmp_gt_u32_e32 vcc, s6, v86
	s_and_saveexec_b64 s[22:23], vcc
	s_cbranch_execz .LBB841_39
.LBB841_88:                             ;   in Loop: Header=BB841_24 Depth=2
	global_load_dwordx2 v[15:16], v130, s[20:21]
	s_or_b64 exec, exec, s[22:23]
	v_cmp_gt_u32_e32 vcc, s6, v87
	s_and_saveexec_b64 s[22:23], vcc
	s_cbranch_execz .LBB841_40
.LBB841_89:                             ;   in Loop: Header=BB841_24 Depth=2
	global_load_dwordx2 v[13:14], v131, s[20:21]
	s_or_b64 exec, exec, s[22:23]
	v_cmp_gt_u32_e32 vcc, s6, v88
	s_and_saveexec_b64 s[22:23], vcc
	s_cbranch_execz .LBB841_41
.LBB841_90:                             ;   in Loop: Header=BB841_24 Depth=2
	global_load_dwordx2 v[11:12], v132, s[20:21]
	s_or_b64 exec, exec, s[22:23]
	v_cmp_gt_u32_e32 vcc, s6, v89
	s_and_saveexec_b64 s[22:23], vcc
	s_cbranch_execz .LBB841_42
.LBB841_91:                             ;   in Loop: Header=BB841_24 Depth=2
	global_load_dwordx2 v[9:10], v133, s[20:21]
	s_or_b64 exec, exec, s[22:23]
	v_cmp_gt_u32_e32 vcc, s6, v90
	s_and_saveexec_b64 s[22:23], vcc
	s_cbranch_execnz .LBB841_43
	s_branch .LBB841_44
.LBB841_92:                             ;   in Loop: Header=BB841_20 Depth=1
	v_mov_b32_e32 v4, 0
	s_waitcnt lgkmcnt(0)
	s_barrier
	s_and_saveexec_b64 s[20:21], s[4:5]
	s_cbranch_execz .LBB841_94
; %bb.93:                               ;   in Loop: Header=BB841_20 Depth=1
	ds_read2_b64 v[7:10], v93 offset1:1
	s_waitcnt lgkmcnt(0)
	v_add_u32_e32 v4, v8, v7
	v_add3_u32 v4, v4, v9, v10
.LBB841_94:                             ;   in Loop: Header=BB841_20 Depth=1
	s_or_b64 exec, exec, s[20:21]
	v_and_b32_e32 v7, 15, v135
	v_mov_b32_dpp v8, v4 row_shr:1 row_mask:0xf bank_mask:0xf
	v_cmp_eq_u32_e64 s[20:21], 0, v7
	v_cndmask_b32_e64 v8, v8, 0, s[20:21]
	v_add_u32_e32 v4, v8, v4
	v_cmp_lt_u32_e64 s[22:23], 1, v7
	v_cmp_lt_u32_e64 s[24:25], 3, v7
	v_mov_b32_dpp v8, v4 row_shr:2 row_mask:0xf bank_mask:0xf
	v_cndmask_b32_e64 v8, 0, v8, s[22:23]
	v_add_u32_e32 v4, v4, v8
	v_cmp_lt_u32_e64 s[26:27], 7, v7
	v_cmp_lt_u32_e64 s[30:31], 31, v135
	v_mov_b32_dpp v8, v4 row_shr:4 row_mask:0xf bank_mask:0xf
	v_cndmask_b32_e64 v8, 0, v8, s[24:25]
	v_add_u32_e32 v4, v4, v8
	v_and_b32_e32 v9, 16, v135
	v_cmp_eq_u32_e64 s[28:29], 0, v9
	v_mov_b32_dpp v8, v4 row_shr:8 row_mask:0xf bank_mask:0xf
	v_cndmask_b32_e64 v7, 0, v8, s[26:27]
	v_add_u32_e32 v4, v4, v7
	v_bfe_i32 v8, v135, 4, 1
	s_nop 0
	v_mov_b32_dpp v7, v4 row_bcast:15 row_mask:0xf bank_mask:0xf
	v_and_b32_e32 v7, v8, v7
	v_add_u32_e32 v4, v4, v7
	s_nop 1
	v_mov_b32_dpp v7, v4 row_bcast:31 row_mask:0xf bank_mask:0xf
	v_cndmask_b32_e64 v7, 0, v7, s[30:31]
	v_add_u32_e32 v4, v4, v7
	s_mov_b64 s[34:35], exec
	v_readlane_b32 s6, v232, 1
	v_readlane_b32 s7, v232, 2
	s_and_b64 s[6:7], s[34:35], s[6:7]
	s_mov_b64 exec, s[6:7]
; %bb.95:                               ;   in Loop: Header=BB841_20 Depth=1
	ds_write_b32 v95, v4
; %bb.96:                               ;   in Loop: Header=BB841_20 Depth=1
	s_or_b64 exec, exec, s[34:35]
	s_waitcnt lgkmcnt(0)
	s_barrier
	s_and_saveexec_b64 s[34:35], s[8:9]
	s_cbranch_execz .LBB841_98
; %bb.97:                               ;   in Loop: Header=BB841_20 Depth=1
	ds_read_b32 v7, v96
	v_bfe_i32 v8, v135, 0, 1
	s_waitcnt lgkmcnt(0)
	v_mov_b32_dpp v9, v7 row_shr:1 row_mask:0xf bank_mask:0xf
	v_and_b32_e32 v8, v8, v9
	v_add_u32_e32 v7, v8, v7
	ds_write_b32 v96, v7
.LBB841_98:                             ;   in Loop: Header=BB841_20 Depth=1
	s_or_b64 exec, exec, s[34:35]
	v_mov_b32_e32 v7, 0
	s_waitcnt lgkmcnt(0)
	s_barrier
	s_and_saveexec_b64 s[34:35], s[10:11]
; %bb.99:                               ;   in Loop: Header=BB841_20 Depth=1
	ds_read_b32 v7, v97
; %bb.100:                              ;   in Loop: Header=BB841_20 Depth=1
	s_or_b64 exec, exec, s[34:35]
	v_subrev_co_u32_e64 v8, s[34:35], 1, v135
	v_and_b32_e32 v9, 64, v135
	v_cmp_lt_i32_e32 vcc, v8, v9
	v_cndmask_b32_e32 v8, v8, v135, vcc
	s_waitcnt lgkmcnt(0)
	v_add_u32_e32 v4, v7, v4
	v_lshlrev_b32_e32 v136, 2, v8
	ds_bpermute_b32 v4, v136, v4
	s_waitcnt lgkmcnt(0)
	s_barrier
	s_and_saveexec_b64 s[36:37], s[4:5]
; %bb.101:                              ;   in Loop: Header=BB841_20 Depth=1
	v_cndmask_b32_e64 v4, v4, v7, s[34:35]
	v_add_u32_e32 v4, s73, v4
	ds_write_b32 v73, v4
; %bb.102:                              ;   in Loop: Header=BB841_20 Depth=1
	s_or_b64 exec, exec, s[36:37]
	s_load_dword s6, s[94:95], 0x4
	s_load_dword s40, s[94:95], 0xc
	v_readlane_b32 s7, v232, 0
	v_and_b32_e32 v39, 3, v135
	v_and_b32_e32 v40, 63, v135
	s_waitcnt lgkmcnt(0)
	s_cmp_lt_u32 s7, s6
	s_cselect_b32 s6, 14, 20
	s_add_u32 s6, s94, s6
	s_addc_u32 s7, s95, 0
	global_load_ushort v4, v3, s[6:7]
	s_and_b32 s6, s40, 0xffff
	v_cmp_eq_u32_e64 s[36:37], 0, v39
	v_cmp_lt_u32_e64 s[38:39], 1, v39
	v_lshlrev_b32_e32 v41, 3, v40
	v_or_b32_e32 v153, v40, v98
	v_add_co_u32_e32 v154, vcc, v102, v41
	v_addc_co_u32_e32 v155, vcc, 0, v103, vcc
	v_add_co_u32_e32 v171, vcc, v104, v41
	s_mov_b32 s91, s33
	v_or_b32_e32 v156, 64, v153
	v_or_b32_e32 v157, 0x80, v153
	;; [unrolled: 1-line block ×15, first 2 shown]
	v_addc_co_u32_e32 v172, vcc, 0, v105, vcc
	s_mov_b32 s92, s73
                                        ; implicit-def: $vgpr7_vgpr8
                                        ; implicit-def: $vgpr9_vgpr10
                                        ; implicit-def: $vgpr11_vgpr12
                                        ; implicit-def: $vgpr15_vgpr16
                                        ; implicit-def: $vgpr19_vgpr20
                                        ; implicit-def: $vgpr23_vgpr24
                                        ; implicit-def: $vgpr27_vgpr28
                                        ; implicit-def: $vgpr31_vgpr32
                                        ; implicit-def: $vgpr13_vgpr14
                                        ; implicit-def: $vgpr17_vgpr18
                                        ; implicit-def: $vgpr21_vgpr22
                                        ; implicit-def: $vgpr25_vgpr26
                                        ; implicit-def: $vgpr29_vgpr30
                                        ; implicit-def: $vgpr33_vgpr34
                                        ; implicit-def: $vgpr35_vgpr36
                                        ; implicit-def: $vgpr37_vgpr38
                                        ; implicit-def: $vgpr137
                                        ; implicit-def: $vgpr138
                                        ; implicit-def: $vgpr139
                                        ; implicit-def: $vgpr140
                                        ; implicit-def: $vgpr141
                                        ; implicit-def: $vgpr142
                                        ; implicit-def: $vgpr143
                                        ; implicit-def: $vgpr144
                                        ; implicit-def: $vgpr145
                                        ; implicit-def: $vgpr146
                                        ; implicit-def: $vgpr147
                                        ; implicit-def: $vgpr148
                                        ; implicit-def: $vgpr149
                                        ; implicit-def: $vgpr150
                                        ; implicit-def: $vgpr151
                                        ; implicit-def: $vgpr152
                                        ; implicit-def: $vgpr174
                                        ; implicit-def: $vgpr175
	s_waitcnt vmcnt(0)
	v_mad_u32_u24 v4, v2, v4, v1
	v_mad_u64_u32 v[39:40], s[6:7], v4, s6, v[0:1]
	v_lshrrev_b32_e32 v4, 4, v39
	v_and_b32_e32 v173, 0xffffffc, v4
	s_branch .LBB841_104
.LBB841_103:                            ;   in Loop: Header=BB841_104 Depth=2
	s_or_b64 exec, exec, s[40:41]
	s_addk_i32 s91, 0xf000
	s_cmp_lt_u32 s6, s96
	s_mov_b32 s92, s6
	s_cbranch_scc0 .LBB841_314
.LBB841_104:                            ;   Parent Loop BB841_20 Depth=1
                                        ; =>  This Inner Loop Header: Depth=2
	s_add_i32 s6, s92, 0x1000
	s_cmp_gt_u32 s6, s96
	s_cbranch_scc1 .LBB841_106
; %bb.105:                              ;   in Loop: Header=BB841_104 Depth=2
	s_lshl_b64 s[40:41], s[92:93], 3
	v_mov_b32_e32 v4, s41
	v_add_co_u32_e32 v55, vcc, s40, v171
	v_addc_co_u32_e32 v56, vcc, v172, v4, vcc
	v_add_co_u32_e32 v67, vcc, 0x1000, v55
	global_load_dwordx2 v[41:42], v[55:56], off
	global_load_dwordx2 v[39:40], v[55:56], off offset:512
	global_load_dwordx2 v[43:44], v[55:56], off offset:1024
	global_load_dwordx2 v[45:46], v[55:56], off offset:1536
	global_load_dwordx2 v[47:48], v[55:56], off offset:2048
	global_load_dwordx2 v[49:50], v[55:56], off offset:2560
	global_load_dwordx2 v[51:52], v[55:56], off offset:3072
	global_load_dwordx2 v[53:54], v[55:56], off offset:3584
	v_addc_co_u32_e32 v68, vcc, 0, v56, vcc
	global_load_dwordx2 v[55:56], v[67:68], off
	global_load_dwordx2 v[57:58], v[67:68], off offset:512
	global_load_dwordx2 v[59:60], v[67:68], off offset:1024
	;; [unrolled: 1-line block ×5, first 2 shown]
	s_nop 0
	global_load_dwordx2 v[67:68], v[67:68], off offset:3072
	s_mov_b64 s[40:41], -1
	s_movk_i32 s7, 0x1000
	s_cbranch_execz .LBB841_107
	s_branch .LBB841_138
.LBB841_106:                            ;   in Loop: Header=BB841_104 Depth=2
	s_mov_b64 s[40:41], 0
                                        ; implicit-def: $vgpr41_vgpr42
                                        ; implicit-def: $vgpr39_vgpr40
                                        ; implicit-def: $vgpr43_vgpr44
                                        ; implicit-def: $vgpr45_vgpr46
                                        ; implicit-def: $vgpr47_vgpr48
                                        ; implicit-def: $vgpr49_vgpr50
                                        ; implicit-def: $vgpr51_vgpr52
                                        ; implicit-def: $vgpr53_vgpr54
                                        ; implicit-def: $vgpr55_vgpr56
                                        ; implicit-def: $vgpr57_vgpr58
                                        ; implicit-def: $vgpr59_vgpr60
                                        ; implicit-def: $vgpr61_vgpr62
                                        ; implicit-def: $vgpr63_vgpr64
                                        ; implicit-def: $vgpr65_vgpr66
                                        ; implicit-def: $vgpr67_vgpr68
	s_movk_i32 s7, 0x1000
.LBB841_107:                            ;   in Loop: Header=BB841_104 Depth=2
	s_lshl_b64 s[40:41], s[92:93], 3
	v_mov_b32_e32 v4, s41
	v_add_co_u32_e32 v69, vcc, s40, v171
	s_waitcnt vmcnt(13)
	v_mov_b32_e32 v40, v6
	v_addc_co_u32_e32 v70, vcc, v172, v4, vcc
	v_mov_b32_e32 v39, v5
	v_mov_b32_e32 v42, v40
	v_cmp_gt_u32_e32 vcc, s91, v153
	v_mov_b32_e32 v41, v39
	s_and_saveexec_b64 s[40:41], vcc
	s_cbranch_execz .LBB841_109
; %bb.108:                              ;   in Loop: Header=BB841_104 Depth=2
	global_load_dwordx2 v[41:42], v[69:70], off
.LBB841_109:                            ;   in Loop: Header=BB841_104 Depth=2
	s_or_b64 exec, exec, s[40:41]
	v_cmp_gt_u32_e32 vcc, s91, v156
	s_and_saveexec_b64 s[40:41], vcc
	s_cbranch_execz .LBB841_111
; %bb.110:                              ;   in Loop: Header=BB841_104 Depth=2
	global_load_dwordx2 v[39:40], v[69:70], off offset:512
.LBB841_111:                            ;   in Loop: Header=BB841_104 Depth=2
	s_or_b64 exec, exec, s[40:41]
	s_waitcnt vmcnt(12)
	v_mov_b32_e32 v44, v6
	v_cmp_gt_u32_e32 vcc, s91, v157
	v_mov_b32_e32 v43, v5
	s_and_saveexec_b64 s[40:41], vcc
	s_cbranch_execz .LBB841_113
; %bb.112:                              ;   in Loop: Header=BB841_104 Depth=2
	global_load_dwordx2 v[43:44], v[69:70], off offset:1024
.LBB841_113:                            ;   in Loop: Header=BB841_104 Depth=2
	s_or_b64 exec, exec, s[40:41]
	s_waitcnt vmcnt(11)
	v_mov_b32_e32 v46, v6
	v_cmp_gt_u32_e32 vcc, s91, v158
	v_mov_b32_e32 v45, v5
	;; [unrolled: 10-line block ×7, first 2 shown]
	s_and_saveexec_b64 s[40:41], vcc
	s_cbranch_execz .LBB841_125
; %bb.124:                              ;   in Loop: Header=BB841_104 Depth=2
	v_add_co_u32_e32 v55, vcc, 0x1000, v69
	v_addc_co_u32_e32 v56, vcc, 0, v70, vcc
	global_load_dwordx2 v[55:56], v[55:56], off
.LBB841_125:                            ;   in Loop: Header=BB841_104 Depth=2
	s_or_b64 exec, exec, s[40:41]
	s_waitcnt vmcnt(5)
	v_mov_b32_e32 v58, v6
	v_cmp_gt_u32_e32 vcc, s91, v164
	v_mov_b32_e32 v57, v5
	s_and_saveexec_b64 s[40:41], vcc
	s_cbranch_execz .LBB841_127
; %bb.126:                              ;   in Loop: Header=BB841_104 Depth=2
	v_add_co_u32_e32 v57, vcc, 0x1000, v69
	v_addc_co_u32_e32 v58, vcc, 0, v70, vcc
	global_load_dwordx2 v[57:58], v[57:58], off offset:512
.LBB841_127:                            ;   in Loop: Header=BB841_104 Depth=2
	s_or_b64 exec, exec, s[40:41]
	s_waitcnt vmcnt(4)
	v_mov_b32_e32 v60, v6
	v_cmp_gt_u32_e32 vcc, s91, v165
	v_mov_b32_e32 v59, v5
	s_and_saveexec_b64 s[40:41], vcc
	s_cbranch_execz .LBB841_129
; %bb.128:                              ;   in Loop: Header=BB841_104 Depth=2
	v_add_co_u32_e32 v59, vcc, 0x1000, v69
	v_addc_co_u32_e32 v60, vcc, 0, v70, vcc
	global_load_dwordx2 v[59:60], v[59:60], off offset:1024
.LBB841_129:                            ;   in Loop: Header=BB841_104 Depth=2
	;; [unrolled: 12-line block ×6, first 2 shown]
	s_or_b64 exec, exec, s[40:41]
	s_sub_i32 s7, s96, s92
	v_cmp_gt_u32_e64 s[40:41], s91, v170
.LBB841_138:                            ;   in Loop: Header=BB841_104 Depth=2
	v_mov_b32_e32 v69, -1
	v_mov_b32_e32 v70, -1
	v_mov_b32_e32 v176, s91
	s_and_saveexec_b64 s[42:43], s[40:41]
	s_cbranch_execz .LBB841_140
; %bb.139:                              ;   in Loop: Header=BB841_104 Depth=2
	s_lshl_b64 s[40:41], s[92:93], 3
	v_mov_b32_e32 v4, s41
	v_add_co_u32_e32 v69, vcc, s40, v171
	v_addc_co_u32_e32 v4, vcc, v172, v4, vcc
	v_add_co_u32_e32 v69, vcc, 0x1000, v69
	v_addc_co_u32_e32 v70, vcc, 0, v4, vcc
	global_load_dwordx2 v[69:70], v[69:70], off offset:3584
	v_mov_b32_e32 v176, s7
	s_waitcnt vmcnt(0)
	v_xor_b32_e32 v70, 0x80000000, v70
.LBB841_140:                            ;   in Loop: Header=BB841_104 Depth=2
	s_or_b64 exec, exec, s[42:43]
	s_waitcnt vmcnt(14)
	v_xor_b32_e32 v42, 0x80000000, v42
	v_lshrrev_b64 v[71:72], s97, v[41:42]
	ds_write2_b32 v92, v3, v3 offset0:132 offset1:133
	ds_write_b32 v92, v3 offset:536
	v_and_b32_e32 v71, s99, v71
	v_and_b32_e32 v4, 1, v71
	v_add_co_u32_e32 v72, vcc, -1, v4
	v_addc_co_u32_e64 v177, s[40:41], 0, -1, vcc
	v_cmp_ne_u32_e32 vcc, 0, v4
	v_xor_b32_e32 v4, vcc_hi, v177
	v_and_b32_e32 v177, exec_hi, v4
	v_lshlrev_b32_e32 v4, 30, v71
	v_xor_b32_e32 v72, vcc_lo, v72
	v_cmp_gt_i64_e32 vcc, 0, v[3:4]
	v_not_b32_e32 v4, v4
	v_ashrrev_i32_e32 v4, 31, v4
	v_and_b32_e32 v72, exec_lo, v72
	v_xor_b32_e32 v179, vcc_hi, v4
	v_xor_b32_e32 v4, vcc_lo, v4
	v_and_b32_e32 v72, v72, v4
	v_lshlrev_b32_e32 v4, 29, v71
	v_cmp_gt_i64_e32 vcc, 0, v[3:4]
	v_not_b32_e32 v4, v4
	v_ashrrev_i32_e32 v4, 31, v4
	v_and_b32_e32 v177, v177, v179
	v_xor_b32_e32 v179, vcc_hi, v4
	v_xor_b32_e32 v4, vcc_lo, v4
	v_and_b32_e32 v72, v72, v4
	v_lshlrev_b32_e32 v4, 28, v71
	v_cmp_gt_i64_e32 vcc, 0, v[3:4]
	v_not_b32_e32 v4, v4
	v_ashrrev_i32_e32 v4, 31, v4
	v_and_b32_e32 v177, v177, v179
	;; [unrolled: 8-line block ×4, first 2 shown]
	v_xor_b32_e32 v179, vcc_hi, v4
	v_xor_b32_e32 v4, vcc_lo, v4
	v_and_b32_e32 v177, v177, v179
	v_and_b32_e32 v179, v72, v4
	v_lshlrev_b32_e32 v4, 25, v71
	v_cmp_gt_i64_e32 vcc, 0, v[3:4]
	v_not_b32_e32 v4, v4
	v_ashrrev_i32_e32 v4, 31, v4
	v_mul_u32_u24_e32 v178, 20, v71
	v_xor_b32_e32 v71, vcc_hi, v4
	v_xor_b32_e32 v4, vcc_lo, v4
	v_and_b32_e32 v72, v177, v71
	v_and_b32_e32 v71, v179, v4
	v_mbcnt_lo_u32_b32 v4, v71, 0
	v_mbcnt_hi_u32_b32 v177, v72, v4
	v_cmp_ne_u64_e32 vcc, 0, v[71:72]
	v_cmp_eq_u32_e64 s[40:41], 0, v177
	s_and_b64 s[42:43], vcc, s[40:41]
	v_add_u32_e32 v179, v173, v178
	s_waitcnt vmcnt(0) lgkmcnt(0)
	s_barrier
	; wave barrier
	s_and_saveexec_b64 s[40:41], s[42:43]
; %bb.141:                              ;   in Loop: Header=BB841_104 Depth=2
	v_bcnt_u32_b32 v4, v71, 0
	v_bcnt_u32_b32 v4, v72, v4
	ds_write_b32 v179, v4 offset:528
; %bb.142:                              ;   in Loop: Header=BB841_104 Depth=2
	s_or_b64 exec, exec, s[40:41]
	v_xor_b32_e32 v40, 0x80000000, v40
	v_lshrrev_b64 v[71:72], s97, v[39:40]
	v_and_b32_e32 v71, s99, v71
	v_mad_u32_u24 v4, v71, 20, v173
	; wave barrier
	ds_read_b32 v178, v4 offset:528
	v_and_b32_e32 v4, 1, v71
	v_add_co_u32_e32 v72, vcc, -1, v4
	v_addc_co_u32_e64 v180, s[40:41], 0, -1, vcc
	v_cmp_ne_u32_e32 vcc, 0, v4
	v_xor_b32_e32 v4, vcc_hi, v180
	v_and_b32_e32 v180, exec_hi, v4
	v_lshlrev_b32_e32 v4, 30, v71
	v_xor_b32_e32 v72, vcc_lo, v72
	v_cmp_gt_i64_e32 vcc, 0, v[3:4]
	v_not_b32_e32 v4, v4
	v_ashrrev_i32_e32 v4, 31, v4
	v_and_b32_e32 v72, exec_lo, v72
	v_xor_b32_e32 v182, vcc_hi, v4
	v_xor_b32_e32 v4, vcc_lo, v4
	v_and_b32_e32 v72, v72, v4
	v_lshlrev_b32_e32 v4, 29, v71
	v_cmp_gt_i64_e32 vcc, 0, v[3:4]
	v_not_b32_e32 v4, v4
	v_ashrrev_i32_e32 v4, 31, v4
	v_and_b32_e32 v180, v180, v182
	v_xor_b32_e32 v182, vcc_hi, v4
	v_xor_b32_e32 v4, vcc_lo, v4
	v_and_b32_e32 v72, v72, v4
	v_lshlrev_b32_e32 v4, 28, v71
	v_cmp_gt_i64_e32 vcc, 0, v[3:4]
	v_not_b32_e32 v4, v4
	v_ashrrev_i32_e32 v4, 31, v4
	v_and_b32_e32 v180, v180, v182
	v_xor_b32_e32 v182, vcc_hi, v4
	v_xor_b32_e32 v4, vcc_lo, v4
	v_and_b32_e32 v72, v72, v4
	v_lshlrev_b32_e32 v4, 27, v71
	v_cmp_gt_i64_e32 vcc, 0, v[3:4]
	v_not_b32_e32 v4, v4
	v_ashrrev_i32_e32 v4, 31, v4
	v_and_b32_e32 v180, v180, v182
	v_xor_b32_e32 v182, vcc_hi, v4
	v_xor_b32_e32 v4, vcc_lo, v4
	v_and_b32_e32 v72, v72, v4
	v_lshlrev_b32_e32 v4, 26, v71
	v_cmp_gt_i64_e32 vcc, 0, v[3:4]
	v_not_b32_e32 v4, v4
	v_ashrrev_i32_e32 v4, 31, v4
	v_and_b32_e32 v180, v180, v182
	v_xor_b32_e32 v182, vcc_hi, v4
	v_xor_b32_e32 v4, vcc_lo, v4
	v_and_b32_e32 v180, v180, v182
	v_and_b32_e32 v182, v72, v4
	v_lshlrev_b32_e32 v4, 25, v71
	v_cmp_gt_i64_e32 vcc, 0, v[3:4]
	v_not_b32_e32 v4, v4
	v_ashrrev_i32_e32 v4, 31, v4
	v_mul_u32_u24_e32 v181, 20, v71
	v_xor_b32_e32 v71, vcc_hi, v4
	v_xor_b32_e32 v4, vcc_lo, v4
	v_and_b32_e32 v72, v180, v71
	v_and_b32_e32 v71, v182, v4
	v_mbcnt_lo_u32_b32 v4, v71, 0
	v_mbcnt_hi_u32_b32 v180, v72, v4
	v_cmp_ne_u64_e32 vcc, 0, v[71:72]
	v_cmp_eq_u32_e64 s[40:41], 0, v180
	s_and_b64 s[42:43], vcc, s[40:41]
	v_add_u32_e32 v182, v173, v181
	; wave barrier
	s_and_saveexec_b64 s[40:41], s[42:43]
	s_cbranch_execz .LBB841_144
; %bb.143:                              ;   in Loop: Header=BB841_104 Depth=2
	v_bcnt_u32_b32 v4, v71, 0
	v_bcnt_u32_b32 v4, v72, v4
	s_waitcnt lgkmcnt(0)
	v_add_u32_e32 v4, v178, v4
	ds_write_b32 v182, v4 offset:528
.LBB841_144:                            ;   in Loop: Header=BB841_104 Depth=2
	s_or_b64 exec, exec, s[40:41]
	v_xor_b32_e32 v44, 0x80000000, v44
	v_lshrrev_b64 v[71:72], s97, v[43:44]
	v_and_b32_e32 v71, s99, v71
	v_mad_u32_u24 v4, v71, 20, v173
	; wave barrier
	ds_read_b32 v181, v4 offset:528
	v_and_b32_e32 v4, 1, v71
	v_add_co_u32_e32 v72, vcc, -1, v4
	v_addc_co_u32_e64 v183, s[40:41], 0, -1, vcc
	v_cmp_ne_u32_e32 vcc, 0, v4
	v_xor_b32_e32 v4, vcc_hi, v183
	v_and_b32_e32 v183, exec_hi, v4
	v_lshlrev_b32_e32 v4, 30, v71
	v_xor_b32_e32 v72, vcc_lo, v72
	v_cmp_gt_i64_e32 vcc, 0, v[3:4]
	v_not_b32_e32 v4, v4
	v_ashrrev_i32_e32 v4, 31, v4
	v_and_b32_e32 v72, exec_lo, v72
	v_xor_b32_e32 v185, vcc_hi, v4
	v_xor_b32_e32 v4, vcc_lo, v4
	v_and_b32_e32 v72, v72, v4
	v_lshlrev_b32_e32 v4, 29, v71
	v_cmp_gt_i64_e32 vcc, 0, v[3:4]
	v_not_b32_e32 v4, v4
	v_ashrrev_i32_e32 v4, 31, v4
	v_and_b32_e32 v183, v183, v185
	v_xor_b32_e32 v185, vcc_hi, v4
	v_xor_b32_e32 v4, vcc_lo, v4
	v_and_b32_e32 v72, v72, v4
	v_lshlrev_b32_e32 v4, 28, v71
	v_cmp_gt_i64_e32 vcc, 0, v[3:4]
	v_not_b32_e32 v4, v4
	v_ashrrev_i32_e32 v4, 31, v4
	v_and_b32_e32 v183, v183, v185
	;; [unrolled: 8-line block ×4, first 2 shown]
	v_xor_b32_e32 v185, vcc_hi, v4
	v_xor_b32_e32 v4, vcc_lo, v4
	v_and_b32_e32 v183, v183, v185
	v_and_b32_e32 v185, v72, v4
	v_lshlrev_b32_e32 v4, 25, v71
	v_cmp_gt_i64_e32 vcc, 0, v[3:4]
	v_not_b32_e32 v4, v4
	v_ashrrev_i32_e32 v4, 31, v4
	v_mul_u32_u24_e32 v184, 20, v71
	v_xor_b32_e32 v71, vcc_hi, v4
	v_xor_b32_e32 v4, vcc_lo, v4
	v_and_b32_e32 v72, v183, v71
	v_and_b32_e32 v71, v185, v4
	v_mbcnt_lo_u32_b32 v4, v71, 0
	v_mbcnt_hi_u32_b32 v183, v72, v4
	v_cmp_ne_u64_e32 vcc, 0, v[71:72]
	v_cmp_eq_u32_e64 s[40:41], 0, v183
	s_and_b64 s[42:43], vcc, s[40:41]
	v_add_u32_e32 v185, v173, v184
	; wave barrier
	s_and_saveexec_b64 s[40:41], s[42:43]
	s_cbranch_execz .LBB841_146
; %bb.145:                              ;   in Loop: Header=BB841_104 Depth=2
	v_bcnt_u32_b32 v4, v71, 0
	v_bcnt_u32_b32 v4, v72, v4
	s_waitcnt lgkmcnt(0)
	v_add_u32_e32 v4, v181, v4
	ds_write_b32 v185, v4 offset:528
.LBB841_146:                            ;   in Loop: Header=BB841_104 Depth=2
	s_or_b64 exec, exec, s[40:41]
	v_xor_b32_e32 v46, 0x80000000, v46
	v_lshrrev_b64 v[71:72], s97, v[45:46]
	v_and_b32_e32 v71, s99, v71
	v_mad_u32_u24 v4, v71, 20, v173
	; wave barrier
	ds_read_b32 v184, v4 offset:528
	v_and_b32_e32 v4, 1, v71
	v_add_co_u32_e32 v72, vcc, -1, v4
	v_addc_co_u32_e64 v186, s[40:41], 0, -1, vcc
	v_cmp_ne_u32_e32 vcc, 0, v4
	v_xor_b32_e32 v4, vcc_hi, v186
	v_and_b32_e32 v186, exec_hi, v4
	v_lshlrev_b32_e32 v4, 30, v71
	v_xor_b32_e32 v72, vcc_lo, v72
	v_cmp_gt_i64_e32 vcc, 0, v[3:4]
	v_not_b32_e32 v4, v4
	v_ashrrev_i32_e32 v4, 31, v4
	v_and_b32_e32 v72, exec_lo, v72
	v_xor_b32_e32 v188, vcc_hi, v4
	v_xor_b32_e32 v4, vcc_lo, v4
	v_and_b32_e32 v72, v72, v4
	v_lshlrev_b32_e32 v4, 29, v71
	v_cmp_gt_i64_e32 vcc, 0, v[3:4]
	v_not_b32_e32 v4, v4
	v_ashrrev_i32_e32 v4, 31, v4
	v_and_b32_e32 v186, v186, v188
	v_xor_b32_e32 v188, vcc_hi, v4
	v_xor_b32_e32 v4, vcc_lo, v4
	v_and_b32_e32 v72, v72, v4
	v_lshlrev_b32_e32 v4, 28, v71
	v_cmp_gt_i64_e32 vcc, 0, v[3:4]
	v_not_b32_e32 v4, v4
	v_ashrrev_i32_e32 v4, 31, v4
	v_and_b32_e32 v186, v186, v188
	v_xor_b32_e32 v188, vcc_hi, v4
	v_xor_b32_e32 v4, vcc_lo, v4
	v_and_b32_e32 v72, v72, v4
	v_lshlrev_b32_e32 v4, 27, v71
	v_cmp_gt_i64_e32 vcc, 0, v[3:4]
	v_not_b32_e32 v4, v4
	v_ashrrev_i32_e32 v4, 31, v4
	v_and_b32_e32 v186, v186, v188
	v_xor_b32_e32 v188, vcc_hi, v4
	v_xor_b32_e32 v4, vcc_lo, v4
	v_and_b32_e32 v72, v72, v4
	v_lshlrev_b32_e32 v4, 26, v71
	v_cmp_gt_i64_e32 vcc, 0, v[3:4]
	v_not_b32_e32 v4, v4
	v_ashrrev_i32_e32 v4, 31, v4
	v_and_b32_e32 v186, v186, v188
	v_xor_b32_e32 v188, vcc_hi, v4
	v_xor_b32_e32 v4, vcc_lo, v4
	v_and_b32_e32 v186, v186, v188
	v_and_b32_e32 v188, v72, v4
	v_lshlrev_b32_e32 v4, 25, v71
	v_cmp_gt_i64_e32 vcc, 0, v[3:4]
	v_not_b32_e32 v4, v4
	v_ashrrev_i32_e32 v4, 31, v4
	v_mul_u32_u24_e32 v187, 20, v71
	v_xor_b32_e32 v71, vcc_hi, v4
	v_xor_b32_e32 v4, vcc_lo, v4
	v_and_b32_e32 v72, v186, v71
	v_and_b32_e32 v71, v188, v4
	v_mbcnt_lo_u32_b32 v4, v71, 0
	v_mbcnt_hi_u32_b32 v186, v72, v4
	v_cmp_ne_u64_e32 vcc, 0, v[71:72]
	v_cmp_eq_u32_e64 s[40:41], 0, v186
	s_and_b64 s[42:43], vcc, s[40:41]
	v_add_u32_e32 v188, v173, v187
	; wave barrier
	s_and_saveexec_b64 s[40:41], s[42:43]
	s_cbranch_execz .LBB841_148
; %bb.147:                              ;   in Loop: Header=BB841_104 Depth=2
	v_bcnt_u32_b32 v4, v71, 0
	v_bcnt_u32_b32 v4, v72, v4
	s_waitcnt lgkmcnt(0)
	v_add_u32_e32 v4, v184, v4
	ds_write_b32 v188, v4 offset:528
.LBB841_148:                            ;   in Loop: Header=BB841_104 Depth=2
	s_or_b64 exec, exec, s[40:41]
	v_xor_b32_e32 v48, 0x80000000, v48
	v_lshrrev_b64 v[71:72], s97, v[47:48]
	v_and_b32_e32 v71, s99, v71
	v_mad_u32_u24 v4, v71, 20, v173
	; wave barrier
	ds_read_b32 v187, v4 offset:528
	v_and_b32_e32 v4, 1, v71
	v_add_co_u32_e32 v72, vcc, -1, v4
	v_addc_co_u32_e64 v189, s[40:41], 0, -1, vcc
	v_cmp_ne_u32_e32 vcc, 0, v4
	v_xor_b32_e32 v4, vcc_hi, v189
	v_and_b32_e32 v189, exec_hi, v4
	v_lshlrev_b32_e32 v4, 30, v71
	v_xor_b32_e32 v72, vcc_lo, v72
	v_cmp_gt_i64_e32 vcc, 0, v[3:4]
	v_not_b32_e32 v4, v4
	v_ashrrev_i32_e32 v4, 31, v4
	v_and_b32_e32 v72, exec_lo, v72
	v_xor_b32_e32 v191, vcc_hi, v4
	v_xor_b32_e32 v4, vcc_lo, v4
	v_and_b32_e32 v72, v72, v4
	v_lshlrev_b32_e32 v4, 29, v71
	v_cmp_gt_i64_e32 vcc, 0, v[3:4]
	v_not_b32_e32 v4, v4
	v_ashrrev_i32_e32 v4, 31, v4
	v_and_b32_e32 v189, v189, v191
	v_xor_b32_e32 v191, vcc_hi, v4
	v_xor_b32_e32 v4, vcc_lo, v4
	v_and_b32_e32 v72, v72, v4
	v_lshlrev_b32_e32 v4, 28, v71
	v_cmp_gt_i64_e32 vcc, 0, v[3:4]
	v_not_b32_e32 v4, v4
	v_ashrrev_i32_e32 v4, 31, v4
	v_and_b32_e32 v189, v189, v191
	;; [unrolled: 8-line block ×4, first 2 shown]
	v_xor_b32_e32 v191, vcc_hi, v4
	v_xor_b32_e32 v4, vcc_lo, v4
	v_and_b32_e32 v189, v189, v191
	v_and_b32_e32 v191, v72, v4
	v_lshlrev_b32_e32 v4, 25, v71
	v_cmp_gt_i64_e32 vcc, 0, v[3:4]
	v_not_b32_e32 v4, v4
	v_ashrrev_i32_e32 v4, 31, v4
	v_mul_u32_u24_e32 v190, 20, v71
	v_xor_b32_e32 v71, vcc_hi, v4
	v_xor_b32_e32 v4, vcc_lo, v4
	v_and_b32_e32 v72, v189, v71
	v_and_b32_e32 v71, v191, v4
	v_mbcnt_lo_u32_b32 v4, v71, 0
	v_mbcnt_hi_u32_b32 v189, v72, v4
	v_cmp_ne_u64_e32 vcc, 0, v[71:72]
	v_cmp_eq_u32_e64 s[40:41], 0, v189
	s_and_b64 s[42:43], vcc, s[40:41]
	v_add_u32_e32 v191, v173, v190
	; wave barrier
	s_and_saveexec_b64 s[40:41], s[42:43]
	s_cbranch_execz .LBB841_150
; %bb.149:                              ;   in Loop: Header=BB841_104 Depth=2
	v_bcnt_u32_b32 v4, v71, 0
	v_bcnt_u32_b32 v4, v72, v4
	s_waitcnt lgkmcnt(0)
	v_add_u32_e32 v4, v187, v4
	ds_write_b32 v191, v4 offset:528
.LBB841_150:                            ;   in Loop: Header=BB841_104 Depth=2
	s_or_b64 exec, exec, s[40:41]
	v_xor_b32_e32 v50, 0x80000000, v50
	v_lshrrev_b64 v[71:72], s97, v[49:50]
	v_and_b32_e32 v71, s99, v71
	v_mad_u32_u24 v4, v71, 20, v173
	; wave barrier
	ds_read_b32 v190, v4 offset:528
	v_and_b32_e32 v4, 1, v71
	v_add_co_u32_e32 v72, vcc, -1, v4
	v_addc_co_u32_e64 v192, s[40:41], 0, -1, vcc
	v_cmp_ne_u32_e32 vcc, 0, v4
	v_xor_b32_e32 v4, vcc_hi, v192
	v_and_b32_e32 v192, exec_hi, v4
	v_lshlrev_b32_e32 v4, 30, v71
	v_xor_b32_e32 v72, vcc_lo, v72
	v_cmp_gt_i64_e32 vcc, 0, v[3:4]
	v_not_b32_e32 v4, v4
	v_ashrrev_i32_e32 v4, 31, v4
	v_and_b32_e32 v72, exec_lo, v72
	v_xor_b32_e32 v194, vcc_hi, v4
	v_xor_b32_e32 v4, vcc_lo, v4
	v_and_b32_e32 v72, v72, v4
	v_lshlrev_b32_e32 v4, 29, v71
	v_cmp_gt_i64_e32 vcc, 0, v[3:4]
	v_not_b32_e32 v4, v4
	v_ashrrev_i32_e32 v4, 31, v4
	v_and_b32_e32 v192, v192, v194
	v_xor_b32_e32 v194, vcc_hi, v4
	v_xor_b32_e32 v4, vcc_lo, v4
	v_and_b32_e32 v72, v72, v4
	v_lshlrev_b32_e32 v4, 28, v71
	v_cmp_gt_i64_e32 vcc, 0, v[3:4]
	v_not_b32_e32 v4, v4
	v_ashrrev_i32_e32 v4, 31, v4
	v_and_b32_e32 v192, v192, v194
	;; [unrolled: 8-line block ×4, first 2 shown]
	v_xor_b32_e32 v194, vcc_hi, v4
	v_xor_b32_e32 v4, vcc_lo, v4
	v_and_b32_e32 v192, v192, v194
	v_and_b32_e32 v194, v72, v4
	v_lshlrev_b32_e32 v4, 25, v71
	v_cmp_gt_i64_e32 vcc, 0, v[3:4]
	v_not_b32_e32 v4, v4
	v_ashrrev_i32_e32 v4, 31, v4
	v_mul_u32_u24_e32 v193, 20, v71
	v_xor_b32_e32 v71, vcc_hi, v4
	v_xor_b32_e32 v4, vcc_lo, v4
	v_and_b32_e32 v72, v192, v71
	v_and_b32_e32 v71, v194, v4
	v_mbcnt_lo_u32_b32 v4, v71, 0
	v_mbcnt_hi_u32_b32 v192, v72, v4
	v_cmp_ne_u64_e32 vcc, 0, v[71:72]
	v_cmp_eq_u32_e64 s[40:41], 0, v192
	s_and_b64 s[42:43], vcc, s[40:41]
	v_add_u32_e32 v194, v173, v193
	; wave barrier
	s_and_saveexec_b64 s[40:41], s[42:43]
	s_cbranch_execz .LBB841_152
; %bb.151:                              ;   in Loop: Header=BB841_104 Depth=2
	v_bcnt_u32_b32 v4, v71, 0
	v_bcnt_u32_b32 v4, v72, v4
	s_waitcnt lgkmcnt(0)
	v_add_u32_e32 v4, v190, v4
	ds_write_b32 v194, v4 offset:528
.LBB841_152:                            ;   in Loop: Header=BB841_104 Depth=2
	s_or_b64 exec, exec, s[40:41]
	v_xor_b32_e32 v52, 0x80000000, v52
	v_lshrrev_b64 v[71:72], s97, v[51:52]
	v_and_b32_e32 v71, s99, v71
	v_mad_u32_u24 v4, v71, 20, v173
	; wave barrier
	ds_read_b32 v193, v4 offset:528
	v_and_b32_e32 v4, 1, v71
	v_add_co_u32_e32 v72, vcc, -1, v4
	v_addc_co_u32_e64 v195, s[40:41], 0, -1, vcc
	v_cmp_ne_u32_e32 vcc, 0, v4
	v_xor_b32_e32 v4, vcc_hi, v195
	v_and_b32_e32 v195, exec_hi, v4
	v_lshlrev_b32_e32 v4, 30, v71
	v_xor_b32_e32 v72, vcc_lo, v72
	v_cmp_gt_i64_e32 vcc, 0, v[3:4]
	v_not_b32_e32 v4, v4
	v_ashrrev_i32_e32 v4, 31, v4
	v_and_b32_e32 v72, exec_lo, v72
	v_xor_b32_e32 v197, vcc_hi, v4
	v_xor_b32_e32 v4, vcc_lo, v4
	v_and_b32_e32 v72, v72, v4
	v_lshlrev_b32_e32 v4, 29, v71
	v_cmp_gt_i64_e32 vcc, 0, v[3:4]
	v_not_b32_e32 v4, v4
	v_ashrrev_i32_e32 v4, 31, v4
	v_and_b32_e32 v195, v195, v197
	v_xor_b32_e32 v197, vcc_hi, v4
	v_xor_b32_e32 v4, vcc_lo, v4
	v_and_b32_e32 v72, v72, v4
	v_lshlrev_b32_e32 v4, 28, v71
	v_cmp_gt_i64_e32 vcc, 0, v[3:4]
	v_not_b32_e32 v4, v4
	v_ashrrev_i32_e32 v4, 31, v4
	v_and_b32_e32 v195, v195, v197
	;; [unrolled: 8-line block ×4, first 2 shown]
	v_xor_b32_e32 v197, vcc_hi, v4
	v_xor_b32_e32 v4, vcc_lo, v4
	v_and_b32_e32 v195, v195, v197
	v_and_b32_e32 v197, v72, v4
	v_lshlrev_b32_e32 v4, 25, v71
	v_cmp_gt_i64_e32 vcc, 0, v[3:4]
	v_not_b32_e32 v4, v4
	v_ashrrev_i32_e32 v4, 31, v4
	v_mul_u32_u24_e32 v196, 20, v71
	v_xor_b32_e32 v71, vcc_hi, v4
	v_xor_b32_e32 v4, vcc_lo, v4
	v_and_b32_e32 v72, v195, v71
	v_and_b32_e32 v71, v197, v4
	v_mbcnt_lo_u32_b32 v4, v71, 0
	v_mbcnt_hi_u32_b32 v195, v72, v4
	v_cmp_ne_u64_e32 vcc, 0, v[71:72]
	v_cmp_eq_u32_e64 s[40:41], 0, v195
	s_and_b64 s[42:43], vcc, s[40:41]
	v_add_u32_e32 v197, v173, v196
	; wave barrier
	s_and_saveexec_b64 s[40:41], s[42:43]
	s_cbranch_execz .LBB841_154
; %bb.153:                              ;   in Loop: Header=BB841_104 Depth=2
	v_bcnt_u32_b32 v4, v71, 0
	v_bcnt_u32_b32 v4, v72, v4
	s_waitcnt lgkmcnt(0)
	v_add_u32_e32 v4, v193, v4
	ds_write_b32 v197, v4 offset:528
.LBB841_154:                            ;   in Loop: Header=BB841_104 Depth=2
	s_or_b64 exec, exec, s[40:41]
	v_xor_b32_e32 v54, 0x80000000, v54
	v_lshrrev_b64 v[71:72], s97, v[53:54]
	v_and_b32_e32 v71, s99, v71
	v_mad_u32_u24 v4, v71, 20, v173
	; wave barrier
	ds_read_b32 v196, v4 offset:528
	v_and_b32_e32 v4, 1, v71
	v_add_co_u32_e32 v72, vcc, -1, v4
	v_addc_co_u32_e64 v198, s[40:41], 0, -1, vcc
	v_cmp_ne_u32_e32 vcc, 0, v4
	v_xor_b32_e32 v4, vcc_hi, v198
	v_and_b32_e32 v198, exec_hi, v4
	v_lshlrev_b32_e32 v4, 30, v71
	v_xor_b32_e32 v72, vcc_lo, v72
	v_cmp_gt_i64_e32 vcc, 0, v[3:4]
	v_not_b32_e32 v4, v4
	v_ashrrev_i32_e32 v4, 31, v4
	v_and_b32_e32 v72, exec_lo, v72
	v_xor_b32_e32 v200, vcc_hi, v4
	v_xor_b32_e32 v4, vcc_lo, v4
	v_and_b32_e32 v72, v72, v4
	v_lshlrev_b32_e32 v4, 29, v71
	v_cmp_gt_i64_e32 vcc, 0, v[3:4]
	v_not_b32_e32 v4, v4
	v_ashrrev_i32_e32 v4, 31, v4
	v_and_b32_e32 v198, v198, v200
	v_xor_b32_e32 v200, vcc_hi, v4
	v_xor_b32_e32 v4, vcc_lo, v4
	v_and_b32_e32 v72, v72, v4
	v_lshlrev_b32_e32 v4, 28, v71
	v_cmp_gt_i64_e32 vcc, 0, v[3:4]
	v_not_b32_e32 v4, v4
	v_ashrrev_i32_e32 v4, 31, v4
	v_and_b32_e32 v198, v198, v200
	;; [unrolled: 8-line block ×4, first 2 shown]
	v_xor_b32_e32 v200, vcc_hi, v4
	v_xor_b32_e32 v4, vcc_lo, v4
	v_and_b32_e32 v198, v198, v200
	v_and_b32_e32 v200, v72, v4
	v_lshlrev_b32_e32 v4, 25, v71
	v_cmp_gt_i64_e32 vcc, 0, v[3:4]
	v_not_b32_e32 v4, v4
	v_ashrrev_i32_e32 v4, 31, v4
	v_mul_u32_u24_e32 v199, 20, v71
	v_xor_b32_e32 v71, vcc_hi, v4
	v_xor_b32_e32 v4, vcc_lo, v4
	v_and_b32_e32 v72, v198, v71
	v_and_b32_e32 v71, v200, v4
	v_mbcnt_lo_u32_b32 v4, v71, 0
	v_mbcnt_hi_u32_b32 v198, v72, v4
	v_cmp_ne_u64_e32 vcc, 0, v[71:72]
	v_cmp_eq_u32_e64 s[40:41], 0, v198
	s_and_b64 s[42:43], vcc, s[40:41]
	v_add_u32_e32 v200, v173, v199
	; wave barrier
	s_and_saveexec_b64 s[40:41], s[42:43]
	s_cbranch_execz .LBB841_156
; %bb.155:                              ;   in Loop: Header=BB841_104 Depth=2
	v_bcnt_u32_b32 v4, v71, 0
	v_bcnt_u32_b32 v4, v72, v4
	s_waitcnt lgkmcnt(0)
	v_add_u32_e32 v4, v196, v4
	ds_write_b32 v200, v4 offset:528
.LBB841_156:                            ;   in Loop: Header=BB841_104 Depth=2
	s_or_b64 exec, exec, s[40:41]
	v_xor_b32_e32 v56, 0x80000000, v56
	v_lshrrev_b64 v[71:72], s97, v[55:56]
	v_and_b32_e32 v71, s99, v71
	v_mad_u32_u24 v4, v71, 20, v173
	; wave barrier
	ds_read_b32 v199, v4 offset:528
	v_and_b32_e32 v4, 1, v71
	v_add_co_u32_e32 v72, vcc, -1, v4
	v_addc_co_u32_e64 v201, s[40:41], 0, -1, vcc
	v_cmp_ne_u32_e32 vcc, 0, v4
	v_xor_b32_e32 v4, vcc_hi, v201
	v_and_b32_e32 v201, exec_hi, v4
	v_lshlrev_b32_e32 v4, 30, v71
	v_xor_b32_e32 v72, vcc_lo, v72
	v_cmp_gt_i64_e32 vcc, 0, v[3:4]
	v_not_b32_e32 v4, v4
	v_ashrrev_i32_e32 v4, 31, v4
	v_and_b32_e32 v72, exec_lo, v72
	v_xor_b32_e32 v203, vcc_hi, v4
	v_xor_b32_e32 v4, vcc_lo, v4
	v_and_b32_e32 v72, v72, v4
	v_lshlrev_b32_e32 v4, 29, v71
	v_cmp_gt_i64_e32 vcc, 0, v[3:4]
	v_not_b32_e32 v4, v4
	v_ashrrev_i32_e32 v4, 31, v4
	v_and_b32_e32 v201, v201, v203
	v_xor_b32_e32 v203, vcc_hi, v4
	v_xor_b32_e32 v4, vcc_lo, v4
	v_and_b32_e32 v72, v72, v4
	v_lshlrev_b32_e32 v4, 28, v71
	v_cmp_gt_i64_e32 vcc, 0, v[3:4]
	v_not_b32_e32 v4, v4
	v_ashrrev_i32_e32 v4, 31, v4
	v_and_b32_e32 v201, v201, v203
	;; [unrolled: 8-line block ×4, first 2 shown]
	v_xor_b32_e32 v203, vcc_hi, v4
	v_xor_b32_e32 v4, vcc_lo, v4
	v_and_b32_e32 v201, v201, v203
	v_and_b32_e32 v203, v72, v4
	v_lshlrev_b32_e32 v4, 25, v71
	v_cmp_gt_i64_e32 vcc, 0, v[3:4]
	v_not_b32_e32 v4, v4
	v_ashrrev_i32_e32 v4, 31, v4
	v_mul_u32_u24_e32 v202, 20, v71
	v_xor_b32_e32 v71, vcc_hi, v4
	v_xor_b32_e32 v4, vcc_lo, v4
	v_and_b32_e32 v72, v201, v71
	v_and_b32_e32 v71, v203, v4
	v_mbcnt_lo_u32_b32 v4, v71, 0
	v_mbcnt_hi_u32_b32 v201, v72, v4
	v_cmp_ne_u64_e32 vcc, 0, v[71:72]
	v_cmp_eq_u32_e64 s[40:41], 0, v201
	s_and_b64 s[42:43], vcc, s[40:41]
	v_add_u32_e32 v203, v173, v202
	; wave barrier
	s_and_saveexec_b64 s[40:41], s[42:43]
	s_cbranch_execz .LBB841_158
; %bb.157:                              ;   in Loop: Header=BB841_104 Depth=2
	v_bcnt_u32_b32 v4, v71, 0
	v_bcnt_u32_b32 v4, v72, v4
	s_waitcnt lgkmcnt(0)
	v_add_u32_e32 v4, v199, v4
	ds_write_b32 v203, v4 offset:528
.LBB841_158:                            ;   in Loop: Header=BB841_104 Depth=2
	s_or_b64 exec, exec, s[40:41]
	v_xor_b32_e32 v58, 0x80000000, v58
	v_lshrrev_b64 v[71:72], s97, v[57:58]
	v_and_b32_e32 v71, s99, v71
	v_mad_u32_u24 v4, v71, 20, v173
	; wave barrier
	ds_read_b32 v202, v4 offset:528
	v_and_b32_e32 v4, 1, v71
	v_add_co_u32_e32 v72, vcc, -1, v4
	v_addc_co_u32_e64 v204, s[40:41], 0, -1, vcc
	v_cmp_ne_u32_e32 vcc, 0, v4
	v_xor_b32_e32 v4, vcc_hi, v204
	v_and_b32_e32 v204, exec_hi, v4
	v_lshlrev_b32_e32 v4, 30, v71
	v_xor_b32_e32 v72, vcc_lo, v72
	v_cmp_gt_i64_e32 vcc, 0, v[3:4]
	v_not_b32_e32 v4, v4
	v_ashrrev_i32_e32 v4, 31, v4
	v_and_b32_e32 v72, exec_lo, v72
	v_xor_b32_e32 v206, vcc_hi, v4
	v_xor_b32_e32 v4, vcc_lo, v4
	v_and_b32_e32 v72, v72, v4
	v_lshlrev_b32_e32 v4, 29, v71
	v_cmp_gt_i64_e32 vcc, 0, v[3:4]
	v_not_b32_e32 v4, v4
	v_ashrrev_i32_e32 v4, 31, v4
	v_and_b32_e32 v204, v204, v206
	v_xor_b32_e32 v206, vcc_hi, v4
	v_xor_b32_e32 v4, vcc_lo, v4
	v_and_b32_e32 v72, v72, v4
	v_lshlrev_b32_e32 v4, 28, v71
	v_cmp_gt_i64_e32 vcc, 0, v[3:4]
	v_not_b32_e32 v4, v4
	v_ashrrev_i32_e32 v4, 31, v4
	v_and_b32_e32 v204, v204, v206
	;; [unrolled: 8-line block ×4, first 2 shown]
	v_xor_b32_e32 v206, vcc_hi, v4
	v_xor_b32_e32 v4, vcc_lo, v4
	v_and_b32_e32 v204, v204, v206
	v_and_b32_e32 v206, v72, v4
	v_lshlrev_b32_e32 v4, 25, v71
	v_cmp_gt_i64_e32 vcc, 0, v[3:4]
	v_not_b32_e32 v4, v4
	v_ashrrev_i32_e32 v4, 31, v4
	v_mul_u32_u24_e32 v205, 20, v71
	v_xor_b32_e32 v71, vcc_hi, v4
	v_xor_b32_e32 v4, vcc_lo, v4
	v_and_b32_e32 v72, v204, v71
	v_and_b32_e32 v71, v206, v4
	v_mbcnt_lo_u32_b32 v4, v71, 0
	v_mbcnt_hi_u32_b32 v204, v72, v4
	v_cmp_ne_u64_e32 vcc, 0, v[71:72]
	v_cmp_eq_u32_e64 s[40:41], 0, v204
	s_and_b64 s[42:43], vcc, s[40:41]
	v_add_u32_e32 v207, v173, v205
	; wave barrier
	s_and_saveexec_b64 s[40:41], s[42:43]
	s_cbranch_execz .LBB841_160
; %bb.159:                              ;   in Loop: Header=BB841_104 Depth=2
	v_bcnt_u32_b32 v4, v71, 0
	v_bcnt_u32_b32 v4, v72, v4
	s_waitcnt lgkmcnt(0)
	v_add_u32_e32 v4, v202, v4
	ds_write_b32 v207, v4 offset:528
.LBB841_160:                            ;   in Loop: Header=BB841_104 Depth=2
	s_or_b64 exec, exec, s[40:41]
	v_xor_b32_e32 v60, 0x80000000, v60
	v_lshrrev_b64 v[71:72], s97, v[59:60]
	v_and_b32_e32 v71, s99, v71
	v_mad_u32_u24 v4, v71, 20, v173
	; wave barrier
	ds_read_b32 v205, v4 offset:528
	v_and_b32_e32 v4, 1, v71
	v_add_co_u32_e32 v72, vcc, -1, v4
	v_addc_co_u32_e64 v206, s[40:41], 0, -1, vcc
	v_cmp_ne_u32_e32 vcc, 0, v4
	v_xor_b32_e32 v4, vcc_hi, v206
	v_and_b32_e32 v206, exec_hi, v4
	v_lshlrev_b32_e32 v4, 30, v71
	v_xor_b32_e32 v72, vcc_lo, v72
	v_cmp_gt_i64_e32 vcc, 0, v[3:4]
	v_not_b32_e32 v4, v4
	v_ashrrev_i32_e32 v4, 31, v4
	v_and_b32_e32 v72, exec_lo, v72
	v_xor_b32_e32 v209, vcc_hi, v4
	v_xor_b32_e32 v4, vcc_lo, v4
	v_and_b32_e32 v72, v72, v4
	v_lshlrev_b32_e32 v4, 29, v71
	v_cmp_gt_i64_e32 vcc, 0, v[3:4]
	v_not_b32_e32 v4, v4
	v_ashrrev_i32_e32 v4, 31, v4
	v_and_b32_e32 v206, v206, v209
	v_xor_b32_e32 v209, vcc_hi, v4
	v_xor_b32_e32 v4, vcc_lo, v4
	v_and_b32_e32 v72, v72, v4
	v_lshlrev_b32_e32 v4, 28, v71
	v_cmp_gt_i64_e32 vcc, 0, v[3:4]
	v_not_b32_e32 v4, v4
	v_ashrrev_i32_e32 v4, 31, v4
	v_and_b32_e32 v206, v206, v209
	;; [unrolled: 8-line block ×4, first 2 shown]
	v_xor_b32_e32 v209, vcc_hi, v4
	v_xor_b32_e32 v4, vcc_lo, v4
	v_and_b32_e32 v206, v206, v209
	v_and_b32_e32 v209, v72, v4
	v_lshlrev_b32_e32 v4, 25, v71
	v_cmp_gt_i64_e32 vcc, 0, v[3:4]
	v_not_b32_e32 v4, v4
	v_ashrrev_i32_e32 v4, 31, v4
	v_mul_u32_u24_e32 v208, 20, v71
	v_xor_b32_e32 v71, vcc_hi, v4
	v_xor_b32_e32 v4, vcc_lo, v4
	v_and_b32_e32 v72, v206, v71
	v_and_b32_e32 v71, v209, v4
	v_mbcnt_lo_u32_b32 v4, v71, 0
	v_mbcnt_hi_u32_b32 v206, v72, v4
	v_cmp_ne_u64_e32 vcc, 0, v[71:72]
	v_cmp_eq_u32_e64 s[40:41], 0, v206
	s_and_b64 s[42:43], vcc, s[40:41]
	v_add_u32_e32 v210, v173, v208
	; wave barrier
	s_and_saveexec_b64 s[40:41], s[42:43]
	s_cbranch_execz .LBB841_162
; %bb.161:                              ;   in Loop: Header=BB841_104 Depth=2
	v_bcnt_u32_b32 v4, v71, 0
	v_bcnt_u32_b32 v4, v72, v4
	s_waitcnt lgkmcnt(0)
	v_add_u32_e32 v4, v205, v4
	ds_write_b32 v210, v4 offset:528
.LBB841_162:                            ;   in Loop: Header=BB841_104 Depth=2
	s_or_b64 exec, exec, s[40:41]
	v_xor_b32_e32 v62, 0x80000000, v62
	v_lshrrev_b64 v[71:72], s97, v[61:62]
	v_and_b32_e32 v71, s99, v71
	v_mad_u32_u24 v4, v71, 20, v173
	; wave barrier
	ds_read_b32 v208, v4 offset:528
	v_and_b32_e32 v4, 1, v71
	v_add_co_u32_e32 v72, vcc, -1, v4
	v_addc_co_u32_e64 v209, s[40:41], 0, -1, vcc
	v_cmp_ne_u32_e32 vcc, 0, v4
	v_xor_b32_e32 v4, vcc_hi, v209
	v_and_b32_e32 v209, exec_hi, v4
	v_lshlrev_b32_e32 v4, 30, v71
	v_xor_b32_e32 v72, vcc_lo, v72
	v_cmp_gt_i64_e32 vcc, 0, v[3:4]
	v_not_b32_e32 v4, v4
	v_ashrrev_i32_e32 v4, 31, v4
	v_and_b32_e32 v72, exec_lo, v72
	v_xor_b32_e32 v212, vcc_hi, v4
	v_xor_b32_e32 v4, vcc_lo, v4
	v_and_b32_e32 v72, v72, v4
	v_lshlrev_b32_e32 v4, 29, v71
	v_cmp_gt_i64_e32 vcc, 0, v[3:4]
	v_not_b32_e32 v4, v4
	v_ashrrev_i32_e32 v4, 31, v4
	v_and_b32_e32 v209, v209, v212
	v_xor_b32_e32 v212, vcc_hi, v4
	v_xor_b32_e32 v4, vcc_lo, v4
	v_and_b32_e32 v72, v72, v4
	v_lshlrev_b32_e32 v4, 28, v71
	v_cmp_gt_i64_e32 vcc, 0, v[3:4]
	v_not_b32_e32 v4, v4
	v_ashrrev_i32_e32 v4, 31, v4
	v_and_b32_e32 v209, v209, v212
	;; [unrolled: 8-line block ×4, first 2 shown]
	v_xor_b32_e32 v212, vcc_hi, v4
	v_xor_b32_e32 v4, vcc_lo, v4
	v_and_b32_e32 v209, v209, v212
	v_and_b32_e32 v212, v72, v4
	v_lshlrev_b32_e32 v4, 25, v71
	v_cmp_gt_i64_e32 vcc, 0, v[3:4]
	v_not_b32_e32 v4, v4
	v_ashrrev_i32_e32 v4, 31, v4
	v_mul_u32_u24_e32 v211, 20, v71
	v_xor_b32_e32 v71, vcc_hi, v4
	v_xor_b32_e32 v4, vcc_lo, v4
	v_and_b32_e32 v72, v209, v71
	v_and_b32_e32 v71, v212, v4
	v_mbcnt_lo_u32_b32 v4, v71, 0
	v_mbcnt_hi_u32_b32 v209, v72, v4
	v_cmp_ne_u64_e32 vcc, 0, v[71:72]
	v_cmp_eq_u32_e64 s[40:41], 0, v209
	s_and_b64 s[42:43], vcc, s[40:41]
	v_add_u32_e32 v213, v173, v211
	; wave barrier
	s_and_saveexec_b64 s[40:41], s[42:43]
	s_cbranch_execz .LBB841_164
; %bb.163:                              ;   in Loop: Header=BB841_104 Depth=2
	v_bcnt_u32_b32 v4, v71, 0
	v_bcnt_u32_b32 v4, v72, v4
	s_waitcnt lgkmcnt(0)
	v_add_u32_e32 v4, v208, v4
	ds_write_b32 v213, v4 offset:528
.LBB841_164:                            ;   in Loop: Header=BB841_104 Depth=2
	s_or_b64 exec, exec, s[40:41]
	v_xor_b32_e32 v64, 0x80000000, v64
	v_lshrrev_b64 v[71:72], s97, v[63:64]
	v_and_b32_e32 v71, s99, v71
	v_mad_u32_u24 v4, v71, 20, v173
	; wave barrier
	ds_read_b32 v211, v4 offset:528
	v_and_b32_e32 v4, 1, v71
	v_add_co_u32_e32 v72, vcc, -1, v4
	v_addc_co_u32_e64 v212, s[40:41], 0, -1, vcc
	v_cmp_ne_u32_e32 vcc, 0, v4
	v_xor_b32_e32 v4, vcc_hi, v212
	v_and_b32_e32 v212, exec_hi, v4
	v_lshlrev_b32_e32 v4, 30, v71
	v_xor_b32_e32 v72, vcc_lo, v72
	v_cmp_gt_i64_e32 vcc, 0, v[3:4]
	v_not_b32_e32 v4, v4
	v_ashrrev_i32_e32 v4, 31, v4
	v_and_b32_e32 v72, exec_lo, v72
	v_xor_b32_e32 v215, vcc_hi, v4
	v_xor_b32_e32 v4, vcc_lo, v4
	v_and_b32_e32 v72, v72, v4
	v_lshlrev_b32_e32 v4, 29, v71
	v_cmp_gt_i64_e32 vcc, 0, v[3:4]
	v_not_b32_e32 v4, v4
	v_ashrrev_i32_e32 v4, 31, v4
	v_and_b32_e32 v212, v212, v215
	v_xor_b32_e32 v215, vcc_hi, v4
	v_xor_b32_e32 v4, vcc_lo, v4
	v_and_b32_e32 v72, v72, v4
	v_lshlrev_b32_e32 v4, 28, v71
	v_cmp_gt_i64_e32 vcc, 0, v[3:4]
	v_not_b32_e32 v4, v4
	v_ashrrev_i32_e32 v4, 31, v4
	v_and_b32_e32 v212, v212, v215
	;; [unrolled: 8-line block ×4, first 2 shown]
	v_xor_b32_e32 v215, vcc_hi, v4
	v_xor_b32_e32 v4, vcc_lo, v4
	v_and_b32_e32 v212, v212, v215
	v_and_b32_e32 v215, v72, v4
	v_lshlrev_b32_e32 v4, 25, v71
	v_cmp_gt_i64_e32 vcc, 0, v[3:4]
	v_not_b32_e32 v4, v4
	v_ashrrev_i32_e32 v4, 31, v4
	v_mul_u32_u24_e32 v214, 20, v71
	v_xor_b32_e32 v71, vcc_hi, v4
	v_xor_b32_e32 v4, vcc_lo, v4
	v_and_b32_e32 v72, v212, v71
	v_and_b32_e32 v71, v215, v4
	v_mbcnt_lo_u32_b32 v4, v71, 0
	v_mbcnt_hi_u32_b32 v212, v72, v4
	v_cmp_ne_u64_e32 vcc, 0, v[71:72]
	v_cmp_eq_u32_e64 s[40:41], 0, v212
	s_and_b64 s[42:43], vcc, s[40:41]
	v_add_u32_e32 v216, v173, v214
	; wave barrier
	s_and_saveexec_b64 s[40:41], s[42:43]
	s_cbranch_execz .LBB841_166
; %bb.165:                              ;   in Loop: Header=BB841_104 Depth=2
	v_bcnt_u32_b32 v4, v71, 0
	v_bcnt_u32_b32 v4, v72, v4
	s_waitcnt lgkmcnt(0)
	v_add_u32_e32 v4, v211, v4
	ds_write_b32 v216, v4 offset:528
.LBB841_166:                            ;   in Loop: Header=BB841_104 Depth=2
	s_or_b64 exec, exec, s[40:41]
	v_xor_b32_e32 v66, 0x80000000, v66
	v_lshrrev_b64 v[71:72], s97, v[65:66]
	v_and_b32_e32 v71, s99, v71
	v_mad_u32_u24 v4, v71, 20, v173
	; wave barrier
	ds_read_b32 v214, v4 offset:528
	v_and_b32_e32 v4, 1, v71
	v_add_co_u32_e32 v72, vcc, -1, v4
	v_addc_co_u32_e64 v215, s[40:41], 0, -1, vcc
	v_cmp_ne_u32_e32 vcc, 0, v4
	v_xor_b32_e32 v4, vcc_hi, v215
	v_and_b32_e32 v215, exec_hi, v4
	v_lshlrev_b32_e32 v4, 30, v71
	v_xor_b32_e32 v72, vcc_lo, v72
	v_cmp_gt_i64_e32 vcc, 0, v[3:4]
	v_not_b32_e32 v4, v4
	v_ashrrev_i32_e32 v4, 31, v4
	v_and_b32_e32 v72, exec_lo, v72
	v_xor_b32_e32 v218, vcc_hi, v4
	v_xor_b32_e32 v4, vcc_lo, v4
	v_and_b32_e32 v72, v72, v4
	v_lshlrev_b32_e32 v4, 29, v71
	v_cmp_gt_i64_e32 vcc, 0, v[3:4]
	v_not_b32_e32 v4, v4
	v_ashrrev_i32_e32 v4, 31, v4
	v_and_b32_e32 v215, v215, v218
	v_xor_b32_e32 v218, vcc_hi, v4
	v_xor_b32_e32 v4, vcc_lo, v4
	v_and_b32_e32 v72, v72, v4
	v_lshlrev_b32_e32 v4, 28, v71
	v_cmp_gt_i64_e32 vcc, 0, v[3:4]
	v_not_b32_e32 v4, v4
	v_ashrrev_i32_e32 v4, 31, v4
	v_and_b32_e32 v215, v215, v218
	;; [unrolled: 8-line block ×4, first 2 shown]
	v_xor_b32_e32 v218, vcc_hi, v4
	v_xor_b32_e32 v4, vcc_lo, v4
	v_and_b32_e32 v215, v215, v218
	v_and_b32_e32 v218, v72, v4
	v_lshlrev_b32_e32 v4, 25, v71
	v_cmp_gt_i64_e32 vcc, 0, v[3:4]
	v_not_b32_e32 v4, v4
	v_ashrrev_i32_e32 v4, 31, v4
	v_mul_u32_u24_e32 v217, 20, v71
	v_xor_b32_e32 v71, vcc_hi, v4
	v_xor_b32_e32 v4, vcc_lo, v4
	v_and_b32_e32 v72, v215, v71
	v_and_b32_e32 v71, v218, v4
	v_mbcnt_lo_u32_b32 v4, v71, 0
	v_mbcnt_hi_u32_b32 v215, v72, v4
	v_cmp_ne_u64_e32 vcc, 0, v[71:72]
	v_cmp_eq_u32_e64 s[40:41], 0, v215
	s_and_b64 s[42:43], vcc, s[40:41]
	v_add_u32_e32 v219, v173, v217
	; wave barrier
	s_and_saveexec_b64 s[40:41], s[42:43]
	s_cbranch_execz .LBB841_168
; %bb.167:                              ;   in Loop: Header=BB841_104 Depth=2
	v_bcnt_u32_b32 v4, v71, 0
	v_bcnt_u32_b32 v4, v72, v4
	s_waitcnt lgkmcnt(0)
	v_add_u32_e32 v4, v214, v4
	ds_write_b32 v219, v4 offset:528
.LBB841_168:                            ;   in Loop: Header=BB841_104 Depth=2
	s_or_b64 exec, exec, s[40:41]
	v_xor_b32_e32 v68, 0x80000000, v68
	v_lshrrev_b64 v[71:72], s97, v[67:68]
	v_and_b32_e32 v71, s99, v71
	v_mad_u32_u24 v4, v71, 20, v173
	; wave barrier
	ds_read_b32 v217, v4 offset:528
	v_and_b32_e32 v4, 1, v71
	v_add_co_u32_e32 v72, vcc, -1, v4
	v_addc_co_u32_e64 v218, s[40:41], 0, -1, vcc
	v_cmp_ne_u32_e32 vcc, 0, v4
	v_xor_b32_e32 v4, vcc_hi, v218
	v_and_b32_e32 v218, exec_hi, v4
	v_lshlrev_b32_e32 v4, 30, v71
	v_xor_b32_e32 v72, vcc_lo, v72
	v_cmp_gt_i64_e32 vcc, 0, v[3:4]
	v_not_b32_e32 v4, v4
	v_ashrrev_i32_e32 v4, 31, v4
	v_and_b32_e32 v72, exec_lo, v72
	v_xor_b32_e32 v221, vcc_hi, v4
	v_xor_b32_e32 v4, vcc_lo, v4
	v_and_b32_e32 v72, v72, v4
	v_lshlrev_b32_e32 v4, 29, v71
	v_cmp_gt_i64_e32 vcc, 0, v[3:4]
	v_not_b32_e32 v4, v4
	v_ashrrev_i32_e32 v4, 31, v4
	v_and_b32_e32 v218, v218, v221
	v_xor_b32_e32 v221, vcc_hi, v4
	v_xor_b32_e32 v4, vcc_lo, v4
	v_and_b32_e32 v72, v72, v4
	v_lshlrev_b32_e32 v4, 28, v71
	v_cmp_gt_i64_e32 vcc, 0, v[3:4]
	v_not_b32_e32 v4, v4
	v_ashrrev_i32_e32 v4, 31, v4
	v_and_b32_e32 v218, v218, v221
	;; [unrolled: 8-line block ×4, first 2 shown]
	v_xor_b32_e32 v221, vcc_hi, v4
	v_xor_b32_e32 v4, vcc_lo, v4
	v_and_b32_e32 v218, v218, v221
	v_and_b32_e32 v221, v72, v4
	v_lshlrev_b32_e32 v4, 25, v71
	v_cmp_gt_i64_e32 vcc, 0, v[3:4]
	v_not_b32_e32 v4, v4
	v_ashrrev_i32_e32 v4, 31, v4
	v_mul_u32_u24_e32 v220, 20, v71
	v_xor_b32_e32 v71, vcc_hi, v4
	v_xor_b32_e32 v4, vcc_lo, v4
	v_and_b32_e32 v72, v218, v71
	v_and_b32_e32 v71, v221, v4
	v_mbcnt_lo_u32_b32 v4, v71, 0
	v_mbcnt_hi_u32_b32 v218, v72, v4
	v_cmp_ne_u64_e32 vcc, 0, v[71:72]
	v_cmp_eq_u32_e64 s[40:41], 0, v218
	s_and_b64 s[42:43], vcc, s[40:41]
	v_add_u32_e32 v222, v173, v220
	; wave barrier
	s_and_saveexec_b64 s[40:41], s[42:43]
	s_cbranch_execz .LBB841_170
; %bb.169:                              ;   in Loop: Header=BB841_104 Depth=2
	v_bcnt_u32_b32 v4, v71, 0
	v_bcnt_u32_b32 v4, v72, v4
	s_waitcnt lgkmcnt(0)
	v_add_u32_e32 v4, v217, v4
	ds_write_b32 v222, v4 offset:528
.LBB841_170:                            ;   in Loop: Header=BB841_104 Depth=2
	s_or_b64 exec, exec, s[40:41]
	v_lshrrev_b64 v[71:72], s97, v[69:70]
	v_and_b32_e32 v71, s99, v71
	v_mad_u32_u24 v4, v71, 20, v173
	; wave barrier
	ds_read_b32 v220, v4 offset:528
	v_and_b32_e32 v4, 1, v71
	v_add_co_u32_e32 v72, vcc, -1, v4
	v_addc_co_u32_e64 v221, s[40:41], 0, -1, vcc
	v_cmp_ne_u32_e32 vcc, 0, v4
	v_xor_b32_e32 v4, vcc_hi, v221
	v_and_b32_e32 v221, exec_hi, v4
	v_lshlrev_b32_e32 v4, 30, v71
	v_xor_b32_e32 v72, vcc_lo, v72
	v_cmp_gt_i64_e32 vcc, 0, v[3:4]
	v_not_b32_e32 v4, v4
	v_ashrrev_i32_e32 v4, 31, v4
	v_and_b32_e32 v72, exec_lo, v72
	v_xor_b32_e32 v224, vcc_hi, v4
	v_xor_b32_e32 v4, vcc_lo, v4
	v_and_b32_e32 v72, v72, v4
	v_lshlrev_b32_e32 v4, 29, v71
	v_cmp_gt_i64_e32 vcc, 0, v[3:4]
	v_not_b32_e32 v4, v4
	v_ashrrev_i32_e32 v4, 31, v4
	v_and_b32_e32 v221, v221, v224
	v_xor_b32_e32 v224, vcc_hi, v4
	v_xor_b32_e32 v4, vcc_lo, v4
	v_and_b32_e32 v72, v72, v4
	v_lshlrev_b32_e32 v4, 28, v71
	v_cmp_gt_i64_e32 vcc, 0, v[3:4]
	v_not_b32_e32 v4, v4
	v_ashrrev_i32_e32 v4, 31, v4
	v_and_b32_e32 v221, v221, v224
	;; [unrolled: 8-line block ×4, first 2 shown]
	v_xor_b32_e32 v224, vcc_hi, v4
	v_xor_b32_e32 v4, vcc_lo, v4
	v_and_b32_e32 v221, v221, v224
	v_and_b32_e32 v224, v72, v4
	v_lshlrev_b32_e32 v4, 25, v71
	v_cmp_gt_i64_e32 vcc, 0, v[3:4]
	v_not_b32_e32 v4, v4
	v_ashrrev_i32_e32 v4, 31, v4
	v_mul_u32_u24_e32 v223, 20, v71
	v_xor_b32_e32 v71, vcc_hi, v4
	v_xor_b32_e32 v4, vcc_lo, v4
	v_and_b32_e32 v72, v221, v71
	v_and_b32_e32 v71, v224, v4
	v_mbcnt_lo_u32_b32 v4, v71, 0
	v_mbcnt_hi_u32_b32 v221, v72, v4
	v_cmp_ne_u64_e32 vcc, 0, v[71:72]
	v_cmp_eq_u32_e64 s[40:41], 0, v221
	s_and_b64 s[42:43], vcc, s[40:41]
	v_add_u32_e32 v4, v173, v223
	; wave barrier
	s_and_saveexec_b64 s[40:41], s[42:43]
	s_cbranch_execz .LBB841_172
; %bb.171:                              ;   in Loop: Header=BB841_104 Depth=2
	v_bcnt_u32_b32 v71, v71, 0
	v_bcnt_u32_b32 v71, v72, v71
	s_waitcnt lgkmcnt(0)
	v_add_u32_e32 v71, v220, v71
	ds_write_b32 v4, v71 offset:528
.LBB841_172:                            ;   in Loop: Header=BB841_104 Depth=2
	s_or_b64 exec, exec, s[40:41]
	; wave barrier
	s_waitcnt lgkmcnt(0)
	s_barrier
	ds_read2_b32 v[71:72], v92 offset0:132 offset1:133
	ds_read_b32 v223, v92 offset:536
	s_waitcnt lgkmcnt(0)
	v_add3_u32 v223, v72, v71, v223
	s_nop 1
	v_mov_b32_dpp v224, v223 row_shr:1 row_mask:0xf bank_mask:0xf
	v_cndmask_b32_e64 v224, v224, 0, s[20:21]
	v_add_u32_e32 v223, v224, v223
	s_nop 1
	v_mov_b32_dpp v224, v223 row_shr:2 row_mask:0xf bank_mask:0xf
	v_cndmask_b32_e64 v224, 0, v224, s[22:23]
	v_add_u32_e32 v223, v223, v224
	;; [unrolled: 4-line block ×4, first 2 shown]
	s_nop 1
	v_mov_b32_dpp v224, v223 row_bcast:15 row_mask:0xf bank_mask:0xf
	v_cndmask_b32_e64 v224, v224, 0, s[28:29]
	v_add_u32_e32 v223, v223, v224
	s_nop 1
	v_mov_b32_dpp v224, v223 row_bcast:31 row_mask:0xf bank_mask:0xf
	v_cndmask_b32_e64 v224, 0, v224, s[30:31]
	v_add_u32_e32 v223, v223, v224
	s_and_saveexec_b64 s[40:41], s[12:13]
; %bb.173:                              ;   in Loop: Header=BB841_104 Depth=2
	ds_write_b32 v94, v223 offset:512
; %bb.174:                              ;   in Loop: Header=BB841_104 Depth=2
	s_or_b64 exec, exec, s[40:41]
	s_waitcnt lgkmcnt(0)
	s_barrier
	s_and_saveexec_b64 s[40:41], s[14:15]
	s_cbranch_execz .LBB841_176
; %bb.175:                              ;   in Loop: Header=BB841_104 Depth=2
	ds_read_b32 v224, v99 offset:512
	s_waitcnt lgkmcnt(0)
	s_nop 0
	v_mov_b32_dpp v225, v224 row_shr:1 row_mask:0xf bank_mask:0xf
	v_cndmask_b32_e64 v225, v225, 0, s[36:37]
	v_add_u32_e32 v224, v225, v224
	s_nop 1
	v_mov_b32_dpp v225, v224 row_shr:2 row_mask:0xf bank_mask:0xf
	v_cndmask_b32_e64 v225, 0, v225, s[38:39]
	v_add_u32_e32 v224, v224, v225
	ds_write_b32 v99, v224 offset:512
.LBB841_176:                            ;   in Loop: Header=BB841_104 Depth=2
	s_or_b64 exec, exec, s[40:41]
	v_mov_b32_e32 v224, 0
	s_waitcnt lgkmcnt(0)
	s_barrier
	s_and_saveexec_b64 s[40:41], s[10:11]
; %bb.177:                              ;   in Loop: Header=BB841_104 Depth=2
	ds_read_b32 v224, v94 offset:508
; %bb.178:                              ;   in Loop: Header=BB841_104 Depth=2
	s_or_b64 exec, exec, s[40:41]
	s_waitcnt lgkmcnt(0)
	v_add_u32_e32 v223, v224, v223
	ds_bpermute_b32 v223, v136, v223
	s_waitcnt lgkmcnt(0)
	v_cndmask_b32_e64 v223, v223, v224, s[34:35]
	v_cndmask_b32_e64 v223, v223, 0, s[16:17]
	v_add_u32_e32 v71, v223, v71
	v_add_u32_e32 v72, v71, v72
	ds_write2_b32 v92, v223, v71 offset0:132 offset1:133
	ds_write_b32 v92, v72 offset:536
	s_waitcnt lgkmcnt(0)
	s_barrier
	ds_read_b32 v229, v179 offset:528
	ds_read_b32 v228, v182 offset:528
	ds_read_b32 v227, v185 offset:528
	ds_read_b32 v226, v188 offset:528
	ds_read_b32 v225, v191 offset:528
	ds_read_b32 v224, v194 offset:528
	ds_read_b32 v223, v197 offset:528
	ds_read_b32 v197, v200 offset:528
	ds_read_b32 v194, v203 offset:528
	ds_read_b32 v191, v207 offset:528
	ds_read_b32 v188, v210 offset:528
	ds_read_b32 v185, v213 offset:528
	ds_read_b32 v182, v216 offset:528
	ds_read_b32 v179, v219 offset:528
	ds_read_b32 v72, v222 offset:528
	ds_read_b32 v71, v4 offset:528
	s_and_saveexec_b64 s[40:41], s[4:5]
	s_cbranch_execz .LBB841_182
; %bb.179:                              ;   in Loop: Header=BB841_104 Depth=2
	ds_read_b32 v174, v101 offset:528
	v_mov_b32_e32 v4, 0x1000
	s_and_saveexec_b64 s[42:43], s[18:19]
; %bb.180:                              ;   in Loop: Header=BB841_104 Depth=2
	ds_read_b32 v4, v100 offset:528
; %bb.181:                              ;   in Loop: Header=BB841_104 Depth=2
	s_or_b64 exec, exec, s[42:43]
	s_waitcnt lgkmcnt(0)
	v_sub_u32_e32 v175, v4, v174
.LBB841_182:                            ;   in Loop: Header=BB841_104 Depth=2
	s_or_b64 exec, exec, s[40:41]
	s_waitcnt lgkmcnt(0)
	s_barrier
	s_and_saveexec_b64 s[40:41], s[4:5]
	s_cbranch_execz .LBB841_184
; %bb.183:                              ;   in Loop: Header=BB841_104 Depth=2
	ds_read_b32 v4, v73
	s_waitcnt lgkmcnt(0)
	v_sub_u32_e32 v4, v4, v174
	ds_write_b32 v73, v4
.LBB841_184:                            ;   in Loop: Header=BB841_104 Depth=2
	s_or_b64 exec, exec, s[40:41]
	v_lshlrev_b32_e32 v4, 3, v177
	v_lshl_add_u32 v4, v229, 3, v4
	ds_write_b64 v4, v[41:42] offset:512
	v_lshlrev_b32_e32 v41, 3, v180
	v_lshlrev_b32_e32 v42, 3, v178
	v_lshlrev_b32_e32 v177, 3, v228
	v_add3_u32 v41, v41, v42, v177
	ds_write_b64 v41, v[39:40] offset:512
	v_lshlrev_b32_e32 v39, 3, v183
	v_lshlrev_b32_e32 v40, 3, v181
	v_lshlrev_b32_e32 v42, 3, v227
	v_add3_u32 v42, v39, v40, v42
	;; [unrolled: 5-line block ×3, first 2 shown]
	v_lshlrev_b32_e32 v39, 3, v189
	v_lshlrev_b32_e32 v40, 3, v187
	v_lshlrev_b32_e32 v44, 3, v225
	ds_write_b64 v43, v[45:46] offset:512
	v_add3_u32 v44, v39, v40, v44
	v_lshlrev_b32_e32 v39, 3, v192
	v_lshlrev_b32_e32 v40, 3, v190
	v_lshlrev_b32_e32 v45, 3, v224
	v_add3_u32 v45, v39, v40, v45
	v_lshlrev_b32_e32 v39, 3, v195
	v_lshlrev_b32_e32 v40, 3, v193
	v_lshlrev_b32_e32 v46, 3, v223
	ds_write_b64 v44, v[47:48] offset:512
	v_add3_u32 v46, v39, v40, v46
	v_lshlrev_b32_e32 v39, 3, v198
	v_lshlrev_b32_e32 v40, 3, v196
	v_lshlrev_b32_e32 v47, 3, v197
	v_add3_u32 v47, v39, v40, v47
	;; [unrolled: 9-line block ×6, first 2 shown]
	v_cmp_lt_u32_e64 s[40:41], v0, v176
	ds_write_b64 v49, v[57:58] offset:512
	ds_write_b64 v50, v[59:60] offset:512
	;; [unrolled: 1-line block ×7, first 2 shown]
	s_waitcnt lgkmcnt(0)
	s_barrier
	s_and_saveexec_b64 s[42:43], s[40:41]
	s_cbranch_execnz .LBB841_253
; %bb.185:                              ;   in Loop: Header=BB841_104 Depth=2
	s_or_b64 exec, exec, s[42:43]
	v_cmp_lt_u32_e64 s[42:43], v74, v176
	s_and_saveexec_b64 s[44:45], s[42:43]
	s_cbranch_execnz .LBB841_254
.LBB841_186:                            ;   in Loop: Header=BB841_104 Depth=2
	s_or_b64 exec, exec, s[44:45]
	v_cmp_lt_u32_e64 s[44:45], v77, v176
	s_and_saveexec_b64 s[46:47], s[44:45]
	s_cbranch_execnz .LBB841_255
.LBB841_187:                            ;   in Loop: Header=BB841_104 Depth=2
	s_or_b64 exec, exec, s[46:47]
	v_cmp_lt_u32_e64 s[46:47], v78, v176
	s_and_saveexec_b64 s[48:49], s[46:47]
	s_cbranch_execnz .LBB841_256
.LBB841_188:                            ;   in Loop: Header=BB841_104 Depth=2
	s_or_b64 exec, exec, s[48:49]
	v_cmp_lt_u32_e64 s[48:49], v79, v176
	s_and_saveexec_b64 s[50:51], s[48:49]
	s_cbranch_execnz .LBB841_257
.LBB841_189:                            ;   in Loop: Header=BB841_104 Depth=2
	s_or_b64 exec, exec, s[50:51]
	v_cmp_lt_u32_e64 s[50:51], v80, v176
	s_and_saveexec_b64 s[52:53], s[50:51]
	s_cbranch_execnz .LBB841_258
.LBB841_190:                            ;   in Loop: Header=BB841_104 Depth=2
	s_or_b64 exec, exec, s[52:53]
	v_cmp_lt_u32_e64 s[52:53], v81, v176
	s_and_saveexec_b64 s[54:55], s[52:53]
	s_cbranch_execnz .LBB841_259
.LBB841_191:                            ;   in Loop: Header=BB841_104 Depth=2
	s_or_b64 exec, exec, s[54:55]
	v_cmp_lt_u32_e64 s[54:55], v82, v176
	s_and_saveexec_b64 s[56:57], s[54:55]
	s_cbranch_execnz .LBB841_260
.LBB841_192:                            ;   in Loop: Header=BB841_104 Depth=2
	s_or_b64 exec, exec, s[56:57]
	v_cmp_lt_u32_e64 s[56:57], v83, v176
	s_and_saveexec_b64 s[58:59], s[56:57]
	s_cbranch_execnz .LBB841_261
.LBB841_193:                            ;   in Loop: Header=BB841_104 Depth=2
	s_or_b64 exec, exec, s[58:59]
	v_cmp_lt_u32_e64 s[58:59], v84, v176
	s_and_saveexec_b64 s[60:61], s[58:59]
	s_cbranch_execnz .LBB841_262
.LBB841_194:                            ;   in Loop: Header=BB841_104 Depth=2
	s_or_b64 exec, exec, s[60:61]
	v_cmp_lt_u32_e64 s[60:61], v85, v176
	s_and_saveexec_b64 s[62:63], s[60:61]
	s_cbranch_execnz .LBB841_263
.LBB841_195:                            ;   in Loop: Header=BB841_104 Depth=2
	s_or_b64 exec, exec, s[62:63]
	v_cmp_lt_u32_e64 s[62:63], v86, v176
	s_and_saveexec_b64 s[64:65], s[62:63]
	s_cbranch_execnz .LBB841_264
.LBB841_196:                            ;   in Loop: Header=BB841_104 Depth=2
	s_or_b64 exec, exec, s[64:65]
	v_cmp_lt_u32_e64 s[64:65], v87, v176
	s_and_saveexec_b64 s[66:67], s[64:65]
	s_cbranch_execnz .LBB841_265
.LBB841_197:                            ;   in Loop: Header=BB841_104 Depth=2
	s_or_b64 exec, exec, s[66:67]
	v_cmp_lt_u32_e64 s[66:67], v88, v176
	s_and_saveexec_b64 s[68:69], s[66:67]
	s_cbranch_execnz .LBB841_266
.LBB841_198:                            ;   in Loop: Header=BB841_104 Depth=2
	s_or_b64 exec, exec, s[68:69]
	v_cmp_lt_u32_e64 s[68:69], v89, v176
	s_and_saveexec_b64 s[70:71], s[68:69]
	s_cbranch_execnz .LBB841_267
.LBB841_199:                            ;   in Loop: Header=BB841_104 Depth=2
	s_or_b64 exec, exec, s[70:71]
	v_cmp_lt_u32_e64 s[70:71], v90, v176
	s_and_saveexec_b64 s[82:83], s[70:71]
	s_cbranch_execz .LBB841_201
.LBB841_200:                            ;   in Loop: Header=BB841_104 Depth=2
	ds_read_b64 v[39:40], v106 offset:31232
	v_mov_b32_e32 v58, s79
	s_waitcnt lgkmcnt(0)
	v_lshrrev_b64 v[56:57], s97, v[39:40]
	v_mov_b32_e32 v57, v3
	v_and_b32_e32 v56, s99, v56
	v_lshlrev_b32_e32 v56, 2, v56
	ds_read_b32 v56, v56
	v_xor_b32_e32 v40, 0x80000000, v40
	s_waitcnt lgkmcnt(0)
	v_add_u32_e32 v56, v56, v90
	v_lshlrev_b64 v[56:57], 3, v[56:57]
	v_add_co_u32_e32 v56, vcc, s78, v56
	v_addc_co_u32_e32 v57, vcc, v58, v57, vcc
	global_store_dwordx2 v[56:57], v[39:40], off
.LBB841_201:                            ;   in Loop: Header=BB841_104 Depth=2
	s_or_b64 exec, exec, s[82:83]
	s_lshl_b64 s[82:83], s[92:93], 3
	v_mov_b32_e32 v40, s83
	v_add_co_u32_e32 v39, vcc, s82, v154
	v_addc_co_u32_e32 v40, vcc, v155, v40, vcc
	v_cmp_lt_u32_e32 vcc, v153, v176
	s_and_saveexec_b64 s[82:83], vcc
	s_xor_b64 s[82:83], exec, s[82:83]
	s_cbranch_execnz .LBB841_268
; %bb.202:                              ;   in Loop: Header=BB841_104 Depth=2
	s_or_b64 exec, exec, s[82:83]
	v_cmp_lt_u32_e32 vcc, v156, v176
	s_and_saveexec_b64 s[82:83], vcc
	s_cbranch_execnz .LBB841_269
.LBB841_203:                            ;   in Loop: Header=BB841_104 Depth=2
	s_or_b64 exec, exec, s[82:83]
	v_cmp_lt_u32_e32 vcc, v157, v176
	s_and_saveexec_b64 s[82:83], vcc
	s_cbranch_execnz .LBB841_270
.LBB841_204:                            ;   in Loop: Header=BB841_104 Depth=2
	s_or_b64 exec, exec, s[82:83]
	v_cmp_lt_u32_e32 vcc, v158, v176
	s_and_saveexec_b64 s[82:83], vcc
	s_cbranch_execnz .LBB841_271
.LBB841_205:                            ;   in Loop: Header=BB841_104 Depth=2
	s_or_b64 exec, exec, s[82:83]
	v_cmp_lt_u32_e32 vcc, v159, v176
	s_and_saveexec_b64 s[82:83], vcc
	s_cbranch_execnz .LBB841_272
.LBB841_206:                            ;   in Loop: Header=BB841_104 Depth=2
	s_or_b64 exec, exec, s[82:83]
	v_cmp_lt_u32_e32 vcc, v160, v176
	s_and_saveexec_b64 s[82:83], vcc
	s_cbranch_execnz .LBB841_273
.LBB841_207:                            ;   in Loop: Header=BB841_104 Depth=2
	s_or_b64 exec, exec, s[82:83]
	v_cmp_lt_u32_e32 vcc, v161, v176
	s_and_saveexec_b64 s[82:83], vcc
	s_cbranch_execnz .LBB841_274
.LBB841_208:                            ;   in Loop: Header=BB841_104 Depth=2
	s_or_b64 exec, exec, s[82:83]
	v_cmp_lt_u32_e32 vcc, v162, v176
	s_and_saveexec_b64 s[82:83], vcc
	s_cbranch_execnz .LBB841_275
.LBB841_209:                            ;   in Loop: Header=BB841_104 Depth=2
	s_or_b64 exec, exec, s[82:83]
	v_cmp_lt_u32_e32 vcc, v163, v176
	s_and_saveexec_b64 s[82:83], vcc
	s_cbranch_execnz .LBB841_276
.LBB841_210:                            ;   in Loop: Header=BB841_104 Depth=2
	s_or_b64 exec, exec, s[82:83]
	v_cmp_lt_u32_e32 vcc, v164, v176
	s_and_saveexec_b64 s[82:83], vcc
	s_cbranch_execnz .LBB841_277
.LBB841_211:                            ;   in Loop: Header=BB841_104 Depth=2
	s_or_b64 exec, exec, s[82:83]
	v_cmp_lt_u32_e32 vcc, v165, v176
	s_and_saveexec_b64 s[82:83], vcc
	s_cbranch_execnz .LBB841_278
.LBB841_212:                            ;   in Loop: Header=BB841_104 Depth=2
	s_or_b64 exec, exec, s[82:83]
	v_cmp_lt_u32_e32 vcc, v166, v176
	s_and_saveexec_b64 s[82:83], vcc
	s_cbranch_execnz .LBB841_279
.LBB841_213:                            ;   in Loop: Header=BB841_104 Depth=2
	s_or_b64 exec, exec, s[82:83]
	v_cmp_lt_u32_e32 vcc, v167, v176
	s_and_saveexec_b64 s[82:83], vcc
	s_cbranch_execnz .LBB841_280
.LBB841_214:                            ;   in Loop: Header=BB841_104 Depth=2
	s_or_b64 exec, exec, s[82:83]
	v_cmp_lt_u32_e32 vcc, v168, v176
	s_and_saveexec_b64 s[82:83], vcc
	s_cbranch_execnz .LBB841_281
.LBB841_215:                            ;   in Loop: Header=BB841_104 Depth=2
	s_or_b64 exec, exec, s[82:83]
	v_cmp_lt_u32_e32 vcc, v169, v176
	s_and_saveexec_b64 s[82:83], vcc
	s_cbranch_execnz .LBB841_282
.LBB841_216:                            ;   in Loop: Header=BB841_104 Depth=2
	s_or_b64 exec, exec, s[82:83]
	v_cmp_lt_u32_e32 vcc, v170, v176
	s_and_saveexec_b64 s[82:83], vcc
	s_cbranch_execnz .LBB841_283
.LBB841_217:                            ;   in Loop: Header=BB841_104 Depth=2
	s_or_b64 exec, exec, s[82:83]
	s_and_saveexec_b64 s[82:83], s[40:41]
	s_cbranch_execnz .LBB841_284
.LBB841_218:                            ;   in Loop: Header=BB841_104 Depth=2
	s_or_b64 exec, exec, s[82:83]
	s_and_saveexec_b64 s[82:83], s[42:43]
	s_cbranch_execnz .LBB841_285
.LBB841_219:                            ;   in Loop: Header=BB841_104 Depth=2
	s_or_b64 exec, exec, s[82:83]
	s_and_saveexec_b64 s[82:83], s[44:45]
	s_cbranch_execnz .LBB841_286
.LBB841_220:                            ;   in Loop: Header=BB841_104 Depth=2
	s_or_b64 exec, exec, s[82:83]
	s_and_saveexec_b64 s[82:83], s[46:47]
	s_cbranch_execnz .LBB841_287
.LBB841_221:                            ;   in Loop: Header=BB841_104 Depth=2
	s_or_b64 exec, exec, s[82:83]
	s_and_saveexec_b64 s[82:83], s[48:49]
	s_cbranch_execnz .LBB841_288
.LBB841_222:                            ;   in Loop: Header=BB841_104 Depth=2
	s_or_b64 exec, exec, s[82:83]
	s_and_saveexec_b64 s[82:83], s[50:51]
	s_cbranch_execnz .LBB841_289
.LBB841_223:                            ;   in Loop: Header=BB841_104 Depth=2
	s_or_b64 exec, exec, s[82:83]
	s_and_saveexec_b64 s[82:83], s[52:53]
	s_cbranch_execnz .LBB841_290
.LBB841_224:                            ;   in Loop: Header=BB841_104 Depth=2
	s_or_b64 exec, exec, s[82:83]
	s_and_saveexec_b64 s[82:83], s[54:55]
	s_cbranch_execnz .LBB841_291
.LBB841_225:                            ;   in Loop: Header=BB841_104 Depth=2
	s_or_b64 exec, exec, s[82:83]
	s_and_saveexec_b64 s[82:83], s[56:57]
	s_cbranch_execnz .LBB841_292
.LBB841_226:                            ;   in Loop: Header=BB841_104 Depth=2
	s_or_b64 exec, exec, s[82:83]
	s_and_saveexec_b64 s[82:83], s[58:59]
	s_cbranch_execnz .LBB841_293
.LBB841_227:                            ;   in Loop: Header=BB841_104 Depth=2
	s_or_b64 exec, exec, s[82:83]
	s_and_saveexec_b64 s[82:83], s[60:61]
	s_cbranch_execnz .LBB841_294
.LBB841_228:                            ;   in Loop: Header=BB841_104 Depth=2
	s_or_b64 exec, exec, s[82:83]
	s_and_saveexec_b64 s[82:83], s[62:63]
	s_cbranch_execnz .LBB841_295
.LBB841_229:                            ;   in Loop: Header=BB841_104 Depth=2
	s_or_b64 exec, exec, s[82:83]
	s_and_saveexec_b64 s[82:83], s[64:65]
	s_cbranch_execnz .LBB841_296
.LBB841_230:                            ;   in Loop: Header=BB841_104 Depth=2
	s_or_b64 exec, exec, s[82:83]
	s_and_saveexec_b64 s[82:83], s[66:67]
	s_cbranch_execnz .LBB841_297
.LBB841_231:                            ;   in Loop: Header=BB841_104 Depth=2
	s_or_b64 exec, exec, s[82:83]
	s_and_saveexec_b64 s[82:83], s[68:69]
	s_cbranch_execnz .LBB841_298
.LBB841_232:                            ;   in Loop: Header=BB841_104 Depth=2
	s_or_b64 exec, exec, s[82:83]
	s_and_saveexec_b64 s[82:83], s[70:71]
	s_cbranch_execz .LBB841_234
.LBB841_233:                            ;   in Loop: Header=BB841_104 Depth=2
	ds_read_b64 v[39:40], v106 offset:31232
	s_waitcnt lgkmcnt(0)
	v_lshrrev_b64 v[39:40], s97, v[39:40]
	v_and_b32_e32 v137, s99, v39
.LBB841_234:                            ;   in Loop: Header=BB841_104 Depth=2
	s_or_b64 exec, exec, s[82:83]
	s_waitcnt vmcnt(0)
	s_barrier
	ds_write_b64 v4, v[37:38] offset:512
	ds_write_b64 v41, v[35:36] offset:512
	;; [unrolled: 1-line block ×16, first 2 shown]
	s_waitcnt lgkmcnt(0)
	s_barrier
	s_and_saveexec_b64 s[82:83], s[40:41]
	s_cbranch_execnz .LBB841_299
; %bb.235:                              ;   in Loop: Header=BB841_104 Depth=2
	s_or_b64 exec, exec, s[82:83]
	s_and_saveexec_b64 s[40:41], s[42:43]
	s_cbranch_execnz .LBB841_300
.LBB841_236:                            ;   in Loop: Header=BB841_104 Depth=2
	s_or_b64 exec, exec, s[40:41]
	s_and_saveexec_b64 s[40:41], s[44:45]
	s_cbranch_execnz .LBB841_301
.LBB841_237:                            ;   in Loop: Header=BB841_104 Depth=2
	s_or_b64 exec, exec, s[40:41]
	s_and_saveexec_b64 s[40:41], s[46:47]
	s_cbranch_execnz .LBB841_302
.LBB841_238:                            ;   in Loop: Header=BB841_104 Depth=2
	s_or_b64 exec, exec, s[40:41]
	s_and_saveexec_b64 s[40:41], s[48:49]
	s_cbranch_execnz .LBB841_303
.LBB841_239:                            ;   in Loop: Header=BB841_104 Depth=2
	s_or_b64 exec, exec, s[40:41]
	s_and_saveexec_b64 s[40:41], s[50:51]
	s_cbranch_execnz .LBB841_304
.LBB841_240:                            ;   in Loop: Header=BB841_104 Depth=2
	s_or_b64 exec, exec, s[40:41]
	s_and_saveexec_b64 s[40:41], s[52:53]
	s_cbranch_execnz .LBB841_305
.LBB841_241:                            ;   in Loop: Header=BB841_104 Depth=2
	s_or_b64 exec, exec, s[40:41]
	s_and_saveexec_b64 s[40:41], s[54:55]
	s_cbranch_execnz .LBB841_306
.LBB841_242:                            ;   in Loop: Header=BB841_104 Depth=2
	s_or_b64 exec, exec, s[40:41]
	s_and_saveexec_b64 s[40:41], s[56:57]
	s_cbranch_execnz .LBB841_307
.LBB841_243:                            ;   in Loop: Header=BB841_104 Depth=2
	s_or_b64 exec, exec, s[40:41]
	s_and_saveexec_b64 s[40:41], s[58:59]
	s_cbranch_execnz .LBB841_308
.LBB841_244:                            ;   in Loop: Header=BB841_104 Depth=2
	s_or_b64 exec, exec, s[40:41]
	s_and_saveexec_b64 s[40:41], s[60:61]
	s_cbranch_execnz .LBB841_309
.LBB841_245:                            ;   in Loop: Header=BB841_104 Depth=2
	s_or_b64 exec, exec, s[40:41]
	s_and_saveexec_b64 s[40:41], s[62:63]
	s_cbranch_execnz .LBB841_310
.LBB841_246:                            ;   in Loop: Header=BB841_104 Depth=2
	s_or_b64 exec, exec, s[40:41]
	s_and_saveexec_b64 s[40:41], s[64:65]
	s_cbranch_execnz .LBB841_311
.LBB841_247:                            ;   in Loop: Header=BB841_104 Depth=2
	s_or_b64 exec, exec, s[40:41]
	s_and_saveexec_b64 s[40:41], s[66:67]
	s_cbranch_execnz .LBB841_312
.LBB841_248:                            ;   in Loop: Header=BB841_104 Depth=2
	s_or_b64 exec, exec, s[40:41]
	s_and_saveexec_b64 s[40:41], s[68:69]
	s_cbranch_execnz .LBB841_313
.LBB841_249:                            ;   in Loop: Header=BB841_104 Depth=2
	s_or_b64 exec, exec, s[40:41]
	s_and_saveexec_b64 s[40:41], s[70:71]
	s_cbranch_execz .LBB841_251
.LBB841_250:                            ;   in Loop: Header=BB841_104 Depth=2
	v_lshlrev_b32_e32 v4, 2, v137
	ds_read_b32 v4, v4
	ds_read_b64 v[39:40], v106 offset:31232
	v_mov_b32_e32 v42, v3
	v_mov_b32_e32 v43, s85
	s_waitcnt lgkmcnt(1)
	v_add_u32_e32 v41, v4, v90
	v_lshlrev_b64 v[41:42], 3, v[41:42]
	v_add_co_u32_e32 v41, vcc, s84, v41
	v_addc_co_u32_e32 v42, vcc, v43, v42, vcc
	s_waitcnt lgkmcnt(0)
	global_store_dwordx2 v[41:42], v[39:40], off
.LBB841_251:                            ;   in Loop: Header=BB841_104 Depth=2
	s_or_b64 exec, exec, s[40:41]
	s_waitcnt vmcnt(0)
	s_barrier
	s_and_saveexec_b64 s[40:41], s[4:5]
	s_cbranch_execz .LBB841_103
; %bb.252:                              ;   in Loop: Header=BB841_104 Depth=2
	ds_read_b32 v4, v73
	s_waitcnt lgkmcnt(0)
	v_add3_u32 v4, v174, v175, v4
	ds_write_b32 v73, v4
	s_branch .LBB841_103
.LBB841_253:                            ;   in Loop: Header=BB841_104 Depth=2
	ds_read_b64 v[39:40], v106 offset:512
	v_mov_b32_e32 v58, s79
	s_waitcnt lgkmcnt(0)
	v_lshrrev_b64 v[56:57], s97, v[39:40]
	v_mov_b32_e32 v57, v3
	v_and_b32_e32 v56, s99, v56
	v_lshlrev_b32_e32 v56, 2, v56
	ds_read_b32 v56, v56
	v_xor_b32_e32 v40, 0x80000000, v40
	s_waitcnt lgkmcnt(0)
	v_add_u32_e32 v56, v56, v0
	v_lshlrev_b64 v[56:57], 3, v[56:57]
	v_add_co_u32_e32 v56, vcc, s78, v56
	v_addc_co_u32_e32 v57, vcc, v58, v57, vcc
	global_store_dwordx2 v[56:57], v[39:40], off
	s_or_b64 exec, exec, s[42:43]
	v_cmp_lt_u32_e64 s[42:43], v74, v176
	s_and_saveexec_b64 s[44:45], s[42:43]
	s_cbranch_execz .LBB841_186
.LBB841_254:                            ;   in Loop: Header=BB841_104 Depth=2
	ds_read_b64 v[39:40], v106 offset:2560
	v_mov_b32_e32 v58, s79
	s_waitcnt lgkmcnt(0)
	v_lshrrev_b64 v[56:57], s97, v[39:40]
	v_mov_b32_e32 v57, v3
	v_and_b32_e32 v56, s99, v56
	v_lshlrev_b32_e32 v56, 2, v56
	ds_read_b32 v56, v56
	v_xor_b32_e32 v40, 0x80000000, v40
	s_waitcnt lgkmcnt(0)
	v_add_u32_e32 v56, v56, v74
	v_lshlrev_b64 v[56:57], 3, v[56:57]
	v_add_co_u32_e32 v56, vcc, s78, v56
	v_addc_co_u32_e32 v57, vcc, v58, v57, vcc
	global_store_dwordx2 v[56:57], v[39:40], off
	s_or_b64 exec, exec, s[44:45]
	v_cmp_lt_u32_e64 s[44:45], v77, v176
	s_and_saveexec_b64 s[46:47], s[44:45]
	s_cbranch_execz .LBB841_187
.LBB841_255:                            ;   in Loop: Header=BB841_104 Depth=2
	ds_read_b64 v[39:40], v106 offset:4608
	v_mov_b32_e32 v58, s79
	s_waitcnt lgkmcnt(0)
	v_lshrrev_b64 v[56:57], s97, v[39:40]
	v_mov_b32_e32 v57, v3
	v_and_b32_e32 v56, s99, v56
	v_lshlrev_b32_e32 v56, 2, v56
	ds_read_b32 v56, v56
	v_xor_b32_e32 v40, 0x80000000, v40
	s_waitcnt lgkmcnt(0)
	v_add_u32_e32 v56, v56, v77
	v_lshlrev_b64 v[56:57], 3, v[56:57]
	v_add_co_u32_e32 v56, vcc, s78, v56
	v_addc_co_u32_e32 v57, vcc, v58, v57, vcc
	global_store_dwordx2 v[56:57], v[39:40], off
	s_or_b64 exec, exec, s[46:47]
	v_cmp_lt_u32_e64 s[46:47], v78, v176
	s_and_saveexec_b64 s[48:49], s[46:47]
	s_cbranch_execz .LBB841_188
.LBB841_256:                            ;   in Loop: Header=BB841_104 Depth=2
	ds_read_b64 v[39:40], v106 offset:6656
	v_mov_b32_e32 v58, s79
	s_waitcnt lgkmcnt(0)
	v_lshrrev_b64 v[56:57], s97, v[39:40]
	v_mov_b32_e32 v57, v3
	v_and_b32_e32 v56, s99, v56
	v_lshlrev_b32_e32 v56, 2, v56
	ds_read_b32 v56, v56
	v_xor_b32_e32 v40, 0x80000000, v40
	s_waitcnt lgkmcnt(0)
	v_add_u32_e32 v56, v56, v78
	v_lshlrev_b64 v[56:57], 3, v[56:57]
	v_add_co_u32_e32 v56, vcc, s78, v56
	v_addc_co_u32_e32 v57, vcc, v58, v57, vcc
	global_store_dwordx2 v[56:57], v[39:40], off
	s_or_b64 exec, exec, s[48:49]
	v_cmp_lt_u32_e64 s[48:49], v79, v176
	s_and_saveexec_b64 s[50:51], s[48:49]
	s_cbranch_execz .LBB841_189
.LBB841_257:                            ;   in Loop: Header=BB841_104 Depth=2
	ds_read_b64 v[39:40], v106 offset:8704
	v_mov_b32_e32 v58, s79
	s_waitcnt lgkmcnt(0)
	v_lshrrev_b64 v[56:57], s97, v[39:40]
	v_mov_b32_e32 v57, v3
	v_and_b32_e32 v56, s99, v56
	v_lshlrev_b32_e32 v56, 2, v56
	ds_read_b32 v56, v56
	v_xor_b32_e32 v40, 0x80000000, v40
	s_waitcnt lgkmcnt(0)
	v_add_u32_e32 v56, v56, v79
	v_lshlrev_b64 v[56:57], 3, v[56:57]
	v_add_co_u32_e32 v56, vcc, s78, v56
	v_addc_co_u32_e32 v57, vcc, v58, v57, vcc
	global_store_dwordx2 v[56:57], v[39:40], off
	s_or_b64 exec, exec, s[50:51]
	v_cmp_lt_u32_e64 s[50:51], v80, v176
	s_and_saveexec_b64 s[52:53], s[50:51]
	s_cbranch_execz .LBB841_190
.LBB841_258:                            ;   in Loop: Header=BB841_104 Depth=2
	ds_read_b64 v[39:40], v106 offset:10752
	v_mov_b32_e32 v58, s79
	s_waitcnt lgkmcnt(0)
	v_lshrrev_b64 v[56:57], s97, v[39:40]
	v_mov_b32_e32 v57, v3
	v_and_b32_e32 v56, s99, v56
	v_lshlrev_b32_e32 v56, 2, v56
	ds_read_b32 v56, v56
	v_xor_b32_e32 v40, 0x80000000, v40
	s_waitcnt lgkmcnt(0)
	v_add_u32_e32 v56, v56, v80
	v_lshlrev_b64 v[56:57], 3, v[56:57]
	v_add_co_u32_e32 v56, vcc, s78, v56
	v_addc_co_u32_e32 v57, vcc, v58, v57, vcc
	global_store_dwordx2 v[56:57], v[39:40], off
	s_or_b64 exec, exec, s[52:53]
	v_cmp_lt_u32_e64 s[52:53], v81, v176
	s_and_saveexec_b64 s[54:55], s[52:53]
	s_cbranch_execz .LBB841_191
.LBB841_259:                            ;   in Loop: Header=BB841_104 Depth=2
	ds_read_b64 v[39:40], v106 offset:12800
	v_mov_b32_e32 v58, s79
	s_waitcnt lgkmcnt(0)
	v_lshrrev_b64 v[56:57], s97, v[39:40]
	v_mov_b32_e32 v57, v3
	v_and_b32_e32 v56, s99, v56
	v_lshlrev_b32_e32 v56, 2, v56
	ds_read_b32 v56, v56
	v_xor_b32_e32 v40, 0x80000000, v40
	s_waitcnt lgkmcnt(0)
	v_add_u32_e32 v56, v56, v81
	v_lshlrev_b64 v[56:57], 3, v[56:57]
	v_add_co_u32_e32 v56, vcc, s78, v56
	v_addc_co_u32_e32 v57, vcc, v58, v57, vcc
	global_store_dwordx2 v[56:57], v[39:40], off
	s_or_b64 exec, exec, s[54:55]
	v_cmp_lt_u32_e64 s[54:55], v82, v176
	s_and_saveexec_b64 s[56:57], s[54:55]
	s_cbranch_execz .LBB841_192
.LBB841_260:                            ;   in Loop: Header=BB841_104 Depth=2
	ds_read_b64 v[39:40], v106 offset:14848
	v_mov_b32_e32 v58, s79
	s_waitcnt lgkmcnt(0)
	v_lshrrev_b64 v[56:57], s97, v[39:40]
	v_mov_b32_e32 v57, v3
	v_and_b32_e32 v56, s99, v56
	v_lshlrev_b32_e32 v56, 2, v56
	ds_read_b32 v56, v56
	v_xor_b32_e32 v40, 0x80000000, v40
	s_waitcnt lgkmcnt(0)
	v_add_u32_e32 v56, v56, v82
	v_lshlrev_b64 v[56:57], 3, v[56:57]
	v_add_co_u32_e32 v56, vcc, s78, v56
	v_addc_co_u32_e32 v57, vcc, v58, v57, vcc
	global_store_dwordx2 v[56:57], v[39:40], off
	s_or_b64 exec, exec, s[56:57]
	v_cmp_lt_u32_e64 s[56:57], v83, v176
	s_and_saveexec_b64 s[58:59], s[56:57]
	s_cbranch_execz .LBB841_193
.LBB841_261:                            ;   in Loop: Header=BB841_104 Depth=2
	ds_read_b64 v[39:40], v106 offset:16896
	v_mov_b32_e32 v58, s79
	s_waitcnt lgkmcnt(0)
	v_lshrrev_b64 v[56:57], s97, v[39:40]
	v_mov_b32_e32 v57, v3
	v_and_b32_e32 v56, s99, v56
	v_lshlrev_b32_e32 v56, 2, v56
	ds_read_b32 v56, v56
	v_xor_b32_e32 v40, 0x80000000, v40
	s_waitcnt lgkmcnt(0)
	v_add_u32_e32 v56, v56, v83
	v_lshlrev_b64 v[56:57], 3, v[56:57]
	v_add_co_u32_e32 v56, vcc, s78, v56
	v_addc_co_u32_e32 v57, vcc, v58, v57, vcc
	global_store_dwordx2 v[56:57], v[39:40], off
	s_or_b64 exec, exec, s[58:59]
	v_cmp_lt_u32_e64 s[58:59], v84, v176
	s_and_saveexec_b64 s[60:61], s[58:59]
	s_cbranch_execz .LBB841_194
.LBB841_262:                            ;   in Loop: Header=BB841_104 Depth=2
	ds_read_b64 v[39:40], v106 offset:18944
	v_mov_b32_e32 v58, s79
	s_waitcnt lgkmcnt(0)
	v_lshrrev_b64 v[56:57], s97, v[39:40]
	v_mov_b32_e32 v57, v3
	v_and_b32_e32 v56, s99, v56
	v_lshlrev_b32_e32 v56, 2, v56
	ds_read_b32 v56, v56
	v_xor_b32_e32 v40, 0x80000000, v40
	s_waitcnt lgkmcnt(0)
	v_add_u32_e32 v56, v56, v84
	v_lshlrev_b64 v[56:57], 3, v[56:57]
	v_add_co_u32_e32 v56, vcc, s78, v56
	v_addc_co_u32_e32 v57, vcc, v58, v57, vcc
	global_store_dwordx2 v[56:57], v[39:40], off
	s_or_b64 exec, exec, s[60:61]
	v_cmp_lt_u32_e64 s[60:61], v85, v176
	s_and_saveexec_b64 s[62:63], s[60:61]
	s_cbranch_execz .LBB841_195
.LBB841_263:                            ;   in Loop: Header=BB841_104 Depth=2
	ds_read_b64 v[39:40], v106 offset:20992
	v_mov_b32_e32 v58, s79
	s_waitcnt lgkmcnt(0)
	v_lshrrev_b64 v[56:57], s97, v[39:40]
	v_mov_b32_e32 v57, v3
	v_and_b32_e32 v56, s99, v56
	v_lshlrev_b32_e32 v56, 2, v56
	ds_read_b32 v56, v56
	v_xor_b32_e32 v40, 0x80000000, v40
	s_waitcnt lgkmcnt(0)
	v_add_u32_e32 v56, v56, v85
	v_lshlrev_b64 v[56:57], 3, v[56:57]
	v_add_co_u32_e32 v56, vcc, s78, v56
	v_addc_co_u32_e32 v57, vcc, v58, v57, vcc
	global_store_dwordx2 v[56:57], v[39:40], off
	s_or_b64 exec, exec, s[62:63]
	v_cmp_lt_u32_e64 s[62:63], v86, v176
	s_and_saveexec_b64 s[64:65], s[62:63]
	s_cbranch_execz .LBB841_196
.LBB841_264:                            ;   in Loop: Header=BB841_104 Depth=2
	ds_read_b64 v[39:40], v106 offset:23040
	v_mov_b32_e32 v58, s79
	s_waitcnt lgkmcnt(0)
	v_lshrrev_b64 v[56:57], s97, v[39:40]
	v_mov_b32_e32 v57, v3
	v_and_b32_e32 v56, s99, v56
	v_lshlrev_b32_e32 v56, 2, v56
	ds_read_b32 v56, v56
	v_xor_b32_e32 v40, 0x80000000, v40
	s_waitcnt lgkmcnt(0)
	v_add_u32_e32 v56, v56, v86
	v_lshlrev_b64 v[56:57], 3, v[56:57]
	v_add_co_u32_e32 v56, vcc, s78, v56
	v_addc_co_u32_e32 v57, vcc, v58, v57, vcc
	global_store_dwordx2 v[56:57], v[39:40], off
	s_or_b64 exec, exec, s[64:65]
	v_cmp_lt_u32_e64 s[64:65], v87, v176
	s_and_saveexec_b64 s[66:67], s[64:65]
	s_cbranch_execz .LBB841_197
.LBB841_265:                            ;   in Loop: Header=BB841_104 Depth=2
	ds_read_b64 v[39:40], v106 offset:25088
	v_mov_b32_e32 v58, s79
	s_waitcnt lgkmcnt(0)
	v_lshrrev_b64 v[56:57], s97, v[39:40]
	v_mov_b32_e32 v57, v3
	v_and_b32_e32 v56, s99, v56
	v_lshlrev_b32_e32 v56, 2, v56
	ds_read_b32 v56, v56
	v_xor_b32_e32 v40, 0x80000000, v40
	s_waitcnt lgkmcnt(0)
	v_add_u32_e32 v56, v56, v87
	v_lshlrev_b64 v[56:57], 3, v[56:57]
	v_add_co_u32_e32 v56, vcc, s78, v56
	v_addc_co_u32_e32 v57, vcc, v58, v57, vcc
	global_store_dwordx2 v[56:57], v[39:40], off
	s_or_b64 exec, exec, s[66:67]
	v_cmp_lt_u32_e64 s[66:67], v88, v176
	s_and_saveexec_b64 s[68:69], s[66:67]
	s_cbranch_execz .LBB841_198
.LBB841_266:                            ;   in Loop: Header=BB841_104 Depth=2
	ds_read_b64 v[39:40], v106 offset:27136
	v_mov_b32_e32 v58, s79
	s_waitcnt lgkmcnt(0)
	v_lshrrev_b64 v[56:57], s97, v[39:40]
	v_mov_b32_e32 v57, v3
	v_and_b32_e32 v56, s99, v56
	v_lshlrev_b32_e32 v56, 2, v56
	ds_read_b32 v56, v56
	v_xor_b32_e32 v40, 0x80000000, v40
	s_waitcnt lgkmcnt(0)
	v_add_u32_e32 v56, v56, v88
	v_lshlrev_b64 v[56:57], 3, v[56:57]
	v_add_co_u32_e32 v56, vcc, s78, v56
	v_addc_co_u32_e32 v57, vcc, v58, v57, vcc
	global_store_dwordx2 v[56:57], v[39:40], off
	s_or_b64 exec, exec, s[68:69]
	v_cmp_lt_u32_e64 s[68:69], v89, v176
	s_and_saveexec_b64 s[70:71], s[68:69]
	s_cbranch_execz .LBB841_199
.LBB841_267:                            ;   in Loop: Header=BB841_104 Depth=2
	ds_read_b64 v[39:40], v106 offset:29184
	v_mov_b32_e32 v58, s79
	s_waitcnt lgkmcnt(0)
	v_lshrrev_b64 v[56:57], s97, v[39:40]
	v_mov_b32_e32 v57, v3
	v_and_b32_e32 v56, s99, v56
	v_lshlrev_b32_e32 v56, 2, v56
	ds_read_b32 v56, v56
	v_xor_b32_e32 v40, 0x80000000, v40
	s_waitcnt lgkmcnt(0)
	v_add_u32_e32 v56, v56, v89
	v_lshlrev_b64 v[56:57], 3, v[56:57]
	v_add_co_u32_e32 v56, vcc, s78, v56
	v_addc_co_u32_e32 v57, vcc, v58, v57, vcc
	global_store_dwordx2 v[56:57], v[39:40], off
	s_or_b64 exec, exec, s[70:71]
	v_cmp_lt_u32_e64 s[70:71], v90, v176
	s_and_saveexec_b64 s[82:83], s[70:71]
	s_cbranch_execnz .LBB841_200
	s_branch .LBB841_201
.LBB841_268:                            ;   in Loop: Header=BB841_104 Depth=2
	global_load_dwordx2 v[37:38], v[39:40], off
	s_or_b64 exec, exec, s[82:83]
	v_cmp_lt_u32_e32 vcc, v156, v176
	s_and_saveexec_b64 s[82:83], vcc
	s_cbranch_execz .LBB841_203
.LBB841_269:                            ;   in Loop: Header=BB841_104 Depth=2
	global_load_dwordx2 v[35:36], v[39:40], off offset:512
	s_or_b64 exec, exec, s[82:83]
	v_cmp_lt_u32_e32 vcc, v157, v176
	s_and_saveexec_b64 s[82:83], vcc
	s_cbranch_execz .LBB841_204
.LBB841_270:                            ;   in Loop: Header=BB841_104 Depth=2
	global_load_dwordx2 v[33:34], v[39:40], off offset:1024
	s_or_b64 exec, exec, s[82:83]
	v_cmp_lt_u32_e32 vcc, v158, v176
	s_and_saveexec_b64 s[82:83], vcc
	s_cbranch_execz .LBB841_205
.LBB841_271:                            ;   in Loop: Header=BB841_104 Depth=2
	global_load_dwordx2 v[29:30], v[39:40], off offset:1536
	s_or_b64 exec, exec, s[82:83]
	v_cmp_lt_u32_e32 vcc, v159, v176
	s_and_saveexec_b64 s[82:83], vcc
	s_cbranch_execz .LBB841_206
.LBB841_272:                            ;   in Loop: Header=BB841_104 Depth=2
	global_load_dwordx2 v[25:26], v[39:40], off offset:2048
	s_or_b64 exec, exec, s[82:83]
	v_cmp_lt_u32_e32 vcc, v160, v176
	s_and_saveexec_b64 s[82:83], vcc
	s_cbranch_execz .LBB841_207
.LBB841_273:                            ;   in Loop: Header=BB841_104 Depth=2
	global_load_dwordx2 v[21:22], v[39:40], off offset:2560
	s_or_b64 exec, exec, s[82:83]
	v_cmp_lt_u32_e32 vcc, v161, v176
	s_and_saveexec_b64 s[82:83], vcc
	s_cbranch_execz .LBB841_208
.LBB841_274:                            ;   in Loop: Header=BB841_104 Depth=2
	global_load_dwordx2 v[17:18], v[39:40], off offset:3072
	s_or_b64 exec, exec, s[82:83]
	v_cmp_lt_u32_e32 vcc, v162, v176
	s_and_saveexec_b64 s[82:83], vcc
	s_cbranch_execz .LBB841_209
.LBB841_275:                            ;   in Loop: Header=BB841_104 Depth=2
	global_load_dwordx2 v[13:14], v[39:40], off offset:3584
	s_or_b64 exec, exec, s[82:83]
	v_cmp_lt_u32_e32 vcc, v163, v176
	s_and_saveexec_b64 s[82:83], vcc
	s_cbranch_execz .LBB841_210
.LBB841_276:                            ;   in Loop: Header=BB841_104 Depth=2
	v_add_co_u32_e32 v31, vcc, 0x1000, v39
	v_addc_co_u32_e32 v32, vcc, 0, v40, vcc
	global_load_dwordx2 v[31:32], v[31:32], off
	s_or_b64 exec, exec, s[82:83]
	v_cmp_lt_u32_e32 vcc, v164, v176
	s_and_saveexec_b64 s[82:83], vcc
	s_cbranch_execz .LBB841_211
.LBB841_277:                            ;   in Loop: Header=BB841_104 Depth=2
	v_add_co_u32_e32 v27, vcc, 0x1000, v39
	v_addc_co_u32_e32 v28, vcc, 0, v40, vcc
	global_load_dwordx2 v[27:28], v[27:28], off offset:512
	s_or_b64 exec, exec, s[82:83]
	v_cmp_lt_u32_e32 vcc, v165, v176
	s_and_saveexec_b64 s[82:83], vcc
	s_cbranch_execz .LBB841_212
.LBB841_278:                            ;   in Loop: Header=BB841_104 Depth=2
	v_add_co_u32_e32 v23, vcc, 0x1000, v39
	v_addc_co_u32_e32 v24, vcc, 0, v40, vcc
	global_load_dwordx2 v[23:24], v[23:24], off offset:1024
	s_or_b64 exec, exec, s[82:83]
	v_cmp_lt_u32_e32 vcc, v166, v176
	s_and_saveexec_b64 s[82:83], vcc
	s_cbranch_execz .LBB841_213
.LBB841_279:                            ;   in Loop: Header=BB841_104 Depth=2
	v_add_co_u32_e32 v19, vcc, 0x1000, v39
	v_addc_co_u32_e32 v20, vcc, 0, v40, vcc
	global_load_dwordx2 v[19:20], v[19:20], off offset:1536
	s_or_b64 exec, exec, s[82:83]
	v_cmp_lt_u32_e32 vcc, v167, v176
	s_and_saveexec_b64 s[82:83], vcc
	s_cbranch_execz .LBB841_214
.LBB841_280:                            ;   in Loop: Header=BB841_104 Depth=2
	v_add_co_u32_e32 v15, vcc, 0x1000, v39
	v_addc_co_u32_e32 v16, vcc, 0, v40, vcc
	global_load_dwordx2 v[15:16], v[15:16], off offset:2048
	s_or_b64 exec, exec, s[82:83]
	v_cmp_lt_u32_e32 vcc, v168, v176
	s_and_saveexec_b64 s[82:83], vcc
	s_cbranch_execz .LBB841_215
.LBB841_281:                            ;   in Loop: Header=BB841_104 Depth=2
	v_add_co_u32_e32 v11, vcc, 0x1000, v39
	v_addc_co_u32_e32 v12, vcc, 0, v40, vcc
	global_load_dwordx2 v[11:12], v[11:12], off offset:2560
	s_or_b64 exec, exec, s[82:83]
	v_cmp_lt_u32_e32 vcc, v169, v176
	s_and_saveexec_b64 s[82:83], vcc
	s_cbranch_execz .LBB841_216
.LBB841_282:                            ;   in Loop: Header=BB841_104 Depth=2
	v_add_co_u32_e32 v9, vcc, 0x1000, v39
	v_addc_co_u32_e32 v10, vcc, 0, v40, vcc
	global_load_dwordx2 v[9:10], v[9:10], off offset:3072
	s_or_b64 exec, exec, s[82:83]
	v_cmp_lt_u32_e32 vcc, v170, v176
	s_and_saveexec_b64 s[82:83], vcc
	s_cbranch_execz .LBB841_217
.LBB841_283:                            ;   in Loop: Header=BB841_104 Depth=2
	v_add_co_u32_e32 v7, vcc, 0x1000, v39
	v_addc_co_u32_e32 v8, vcc, 0, v40, vcc
	global_load_dwordx2 v[7:8], v[7:8], off offset:3584
	s_or_b64 exec, exec, s[82:83]
	s_and_saveexec_b64 s[82:83], s[40:41]
	s_cbranch_execz .LBB841_218
.LBB841_284:                            ;   in Loop: Header=BB841_104 Depth=2
	ds_read_b64 v[39:40], v106 offset:512
	s_waitcnt lgkmcnt(0)
	v_lshrrev_b64 v[39:40], s97, v[39:40]
	v_and_b32_e32 v152, s99, v39
	s_or_b64 exec, exec, s[82:83]
	s_and_saveexec_b64 s[82:83], s[42:43]
	s_cbranch_execz .LBB841_219
.LBB841_285:                            ;   in Loop: Header=BB841_104 Depth=2
	ds_read_b64 v[39:40], v106 offset:2560
	s_waitcnt lgkmcnt(0)
	v_lshrrev_b64 v[39:40], s97, v[39:40]
	v_and_b32_e32 v151, s99, v39
	s_or_b64 exec, exec, s[82:83]
	s_and_saveexec_b64 s[82:83], s[44:45]
	s_cbranch_execz .LBB841_220
.LBB841_286:                            ;   in Loop: Header=BB841_104 Depth=2
	ds_read_b64 v[39:40], v106 offset:4608
	s_waitcnt lgkmcnt(0)
	v_lshrrev_b64 v[39:40], s97, v[39:40]
	v_and_b32_e32 v150, s99, v39
	s_or_b64 exec, exec, s[82:83]
	s_and_saveexec_b64 s[82:83], s[46:47]
	s_cbranch_execz .LBB841_221
.LBB841_287:                            ;   in Loop: Header=BB841_104 Depth=2
	ds_read_b64 v[39:40], v106 offset:6656
	s_waitcnt lgkmcnt(0)
	v_lshrrev_b64 v[39:40], s97, v[39:40]
	v_and_b32_e32 v149, s99, v39
	s_or_b64 exec, exec, s[82:83]
	s_and_saveexec_b64 s[82:83], s[48:49]
	s_cbranch_execz .LBB841_222
.LBB841_288:                            ;   in Loop: Header=BB841_104 Depth=2
	ds_read_b64 v[39:40], v106 offset:8704
	s_waitcnt lgkmcnt(0)
	v_lshrrev_b64 v[39:40], s97, v[39:40]
	v_and_b32_e32 v148, s99, v39
	s_or_b64 exec, exec, s[82:83]
	s_and_saveexec_b64 s[82:83], s[50:51]
	s_cbranch_execz .LBB841_223
.LBB841_289:                            ;   in Loop: Header=BB841_104 Depth=2
	ds_read_b64 v[39:40], v106 offset:10752
	s_waitcnt lgkmcnt(0)
	v_lshrrev_b64 v[39:40], s97, v[39:40]
	v_and_b32_e32 v147, s99, v39
	s_or_b64 exec, exec, s[82:83]
	s_and_saveexec_b64 s[82:83], s[52:53]
	s_cbranch_execz .LBB841_224
.LBB841_290:                            ;   in Loop: Header=BB841_104 Depth=2
	ds_read_b64 v[39:40], v106 offset:12800
	s_waitcnt lgkmcnt(0)
	v_lshrrev_b64 v[39:40], s97, v[39:40]
	v_and_b32_e32 v146, s99, v39
	s_or_b64 exec, exec, s[82:83]
	s_and_saveexec_b64 s[82:83], s[54:55]
	s_cbranch_execz .LBB841_225
.LBB841_291:                            ;   in Loop: Header=BB841_104 Depth=2
	ds_read_b64 v[39:40], v106 offset:14848
	s_waitcnt lgkmcnt(0)
	v_lshrrev_b64 v[39:40], s97, v[39:40]
	v_and_b32_e32 v145, s99, v39
	s_or_b64 exec, exec, s[82:83]
	s_and_saveexec_b64 s[82:83], s[56:57]
	s_cbranch_execz .LBB841_226
.LBB841_292:                            ;   in Loop: Header=BB841_104 Depth=2
	ds_read_b64 v[39:40], v106 offset:16896
	s_waitcnt lgkmcnt(0)
	v_lshrrev_b64 v[39:40], s97, v[39:40]
	v_and_b32_e32 v144, s99, v39
	s_or_b64 exec, exec, s[82:83]
	s_and_saveexec_b64 s[82:83], s[58:59]
	s_cbranch_execz .LBB841_227
.LBB841_293:                            ;   in Loop: Header=BB841_104 Depth=2
	ds_read_b64 v[39:40], v106 offset:18944
	s_waitcnt lgkmcnt(0)
	v_lshrrev_b64 v[39:40], s97, v[39:40]
	v_and_b32_e32 v143, s99, v39
	s_or_b64 exec, exec, s[82:83]
	s_and_saveexec_b64 s[82:83], s[60:61]
	s_cbranch_execz .LBB841_228
.LBB841_294:                            ;   in Loop: Header=BB841_104 Depth=2
	ds_read_b64 v[39:40], v106 offset:20992
	s_waitcnt lgkmcnt(0)
	v_lshrrev_b64 v[39:40], s97, v[39:40]
	v_and_b32_e32 v142, s99, v39
	s_or_b64 exec, exec, s[82:83]
	s_and_saveexec_b64 s[82:83], s[62:63]
	s_cbranch_execz .LBB841_229
.LBB841_295:                            ;   in Loop: Header=BB841_104 Depth=2
	ds_read_b64 v[39:40], v106 offset:23040
	s_waitcnt lgkmcnt(0)
	v_lshrrev_b64 v[39:40], s97, v[39:40]
	v_and_b32_e32 v141, s99, v39
	s_or_b64 exec, exec, s[82:83]
	s_and_saveexec_b64 s[82:83], s[64:65]
	s_cbranch_execz .LBB841_230
.LBB841_296:                            ;   in Loop: Header=BB841_104 Depth=2
	ds_read_b64 v[39:40], v106 offset:25088
	s_waitcnt lgkmcnt(0)
	v_lshrrev_b64 v[39:40], s97, v[39:40]
	v_and_b32_e32 v140, s99, v39
	s_or_b64 exec, exec, s[82:83]
	s_and_saveexec_b64 s[82:83], s[66:67]
	s_cbranch_execz .LBB841_231
.LBB841_297:                            ;   in Loop: Header=BB841_104 Depth=2
	ds_read_b64 v[39:40], v106 offset:27136
	s_waitcnt lgkmcnt(0)
	v_lshrrev_b64 v[39:40], s97, v[39:40]
	v_and_b32_e32 v139, s99, v39
	s_or_b64 exec, exec, s[82:83]
	s_and_saveexec_b64 s[82:83], s[68:69]
	s_cbranch_execz .LBB841_232
.LBB841_298:                            ;   in Loop: Header=BB841_104 Depth=2
	ds_read_b64 v[39:40], v106 offset:29184
	s_waitcnt lgkmcnt(0)
	v_lshrrev_b64 v[39:40], s97, v[39:40]
	v_and_b32_e32 v138, s99, v39
	s_or_b64 exec, exec, s[82:83]
	s_and_saveexec_b64 s[82:83], s[70:71]
	s_cbranch_execnz .LBB841_233
	s_branch .LBB841_234
.LBB841_299:                            ;   in Loop: Header=BB841_104 Depth=2
	v_lshlrev_b32_e32 v4, 2, v152
	ds_read_b32 v4, v4
	ds_read_b64 v[39:40], v106 offset:512
	v_mov_b32_e32 v42, v3
	v_mov_b32_e32 v43, s85
	s_waitcnt lgkmcnt(1)
	v_add_u32_e32 v41, v4, v0
	v_lshlrev_b64 v[41:42], 3, v[41:42]
	v_add_co_u32_e32 v41, vcc, s84, v41
	v_addc_co_u32_e32 v42, vcc, v43, v42, vcc
	s_waitcnt lgkmcnt(0)
	global_store_dwordx2 v[41:42], v[39:40], off
	s_or_b64 exec, exec, s[82:83]
	s_and_saveexec_b64 s[40:41], s[42:43]
	s_cbranch_execz .LBB841_236
.LBB841_300:                            ;   in Loop: Header=BB841_104 Depth=2
	v_lshlrev_b32_e32 v4, 2, v151
	ds_read_b32 v4, v4
	ds_read_b64 v[39:40], v106 offset:2560
	v_mov_b32_e32 v42, v3
	v_mov_b32_e32 v43, s85
	s_waitcnt lgkmcnt(1)
	v_add_u32_e32 v41, v4, v74
	v_lshlrev_b64 v[41:42], 3, v[41:42]
	v_add_co_u32_e32 v41, vcc, s84, v41
	v_addc_co_u32_e32 v42, vcc, v43, v42, vcc
	s_waitcnt lgkmcnt(0)
	global_store_dwordx2 v[41:42], v[39:40], off
	s_or_b64 exec, exec, s[40:41]
	s_and_saveexec_b64 s[40:41], s[44:45]
	s_cbranch_execz .LBB841_237
.LBB841_301:                            ;   in Loop: Header=BB841_104 Depth=2
	v_lshlrev_b32_e32 v4, 2, v150
	ds_read_b32 v4, v4
	ds_read_b64 v[39:40], v106 offset:4608
	v_mov_b32_e32 v42, v3
	v_mov_b32_e32 v43, s85
	s_waitcnt lgkmcnt(1)
	v_add_u32_e32 v41, v4, v77
	v_lshlrev_b64 v[41:42], 3, v[41:42]
	v_add_co_u32_e32 v41, vcc, s84, v41
	v_addc_co_u32_e32 v42, vcc, v43, v42, vcc
	s_waitcnt lgkmcnt(0)
	global_store_dwordx2 v[41:42], v[39:40], off
	s_or_b64 exec, exec, s[40:41]
	s_and_saveexec_b64 s[40:41], s[46:47]
	s_cbranch_execz .LBB841_238
.LBB841_302:                            ;   in Loop: Header=BB841_104 Depth=2
	v_lshlrev_b32_e32 v4, 2, v149
	ds_read_b32 v4, v4
	ds_read_b64 v[39:40], v106 offset:6656
	v_mov_b32_e32 v42, v3
	v_mov_b32_e32 v43, s85
	s_waitcnt lgkmcnt(1)
	v_add_u32_e32 v41, v4, v78
	v_lshlrev_b64 v[41:42], 3, v[41:42]
	v_add_co_u32_e32 v41, vcc, s84, v41
	v_addc_co_u32_e32 v42, vcc, v43, v42, vcc
	s_waitcnt lgkmcnt(0)
	global_store_dwordx2 v[41:42], v[39:40], off
	s_or_b64 exec, exec, s[40:41]
	s_and_saveexec_b64 s[40:41], s[48:49]
	s_cbranch_execz .LBB841_239
.LBB841_303:                            ;   in Loop: Header=BB841_104 Depth=2
	v_lshlrev_b32_e32 v4, 2, v148
	ds_read_b32 v4, v4
	ds_read_b64 v[39:40], v106 offset:8704
	v_mov_b32_e32 v42, v3
	v_mov_b32_e32 v43, s85
	s_waitcnt lgkmcnt(1)
	v_add_u32_e32 v41, v4, v79
	v_lshlrev_b64 v[41:42], 3, v[41:42]
	v_add_co_u32_e32 v41, vcc, s84, v41
	v_addc_co_u32_e32 v42, vcc, v43, v42, vcc
	s_waitcnt lgkmcnt(0)
	global_store_dwordx2 v[41:42], v[39:40], off
	s_or_b64 exec, exec, s[40:41]
	s_and_saveexec_b64 s[40:41], s[50:51]
	s_cbranch_execz .LBB841_240
.LBB841_304:                            ;   in Loop: Header=BB841_104 Depth=2
	v_lshlrev_b32_e32 v4, 2, v147
	ds_read_b32 v4, v4
	ds_read_b64 v[39:40], v106 offset:10752
	v_mov_b32_e32 v42, v3
	v_mov_b32_e32 v43, s85
	s_waitcnt lgkmcnt(1)
	v_add_u32_e32 v41, v4, v80
	v_lshlrev_b64 v[41:42], 3, v[41:42]
	v_add_co_u32_e32 v41, vcc, s84, v41
	v_addc_co_u32_e32 v42, vcc, v43, v42, vcc
	s_waitcnt lgkmcnt(0)
	global_store_dwordx2 v[41:42], v[39:40], off
	s_or_b64 exec, exec, s[40:41]
	s_and_saveexec_b64 s[40:41], s[52:53]
	s_cbranch_execz .LBB841_241
.LBB841_305:                            ;   in Loop: Header=BB841_104 Depth=2
	v_lshlrev_b32_e32 v4, 2, v146
	ds_read_b32 v4, v4
	ds_read_b64 v[39:40], v106 offset:12800
	v_mov_b32_e32 v42, v3
	v_mov_b32_e32 v43, s85
	s_waitcnt lgkmcnt(1)
	v_add_u32_e32 v41, v4, v81
	v_lshlrev_b64 v[41:42], 3, v[41:42]
	v_add_co_u32_e32 v41, vcc, s84, v41
	v_addc_co_u32_e32 v42, vcc, v43, v42, vcc
	s_waitcnt lgkmcnt(0)
	global_store_dwordx2 v[41:42], v[39:40], off
	s_or_b64 exec, exec, s[40:41]
	s_and_saveexec_b64 s[40:41], s[54:55]
	s_cbranch_execz .LBB841_242
.LBB841_306:                            ;   in Loop: Header=BB841_104 Depth=2
	v_lshlrev_b32_e32 v4, 2, v145
	ds_read_b32 v4, v4
	ds_read_b64 v[39:40], v106 offset:14848
	v_mov_b32_e32 v42, v3
	v_mov_b32_e32 v43, s85
	s_waitcnt lgkmcnt(1)
	v_add_u32_e32 v41, v4, v82
	v_lshlrev_b64 v[41:42], 3, v[41:42]
	v_add_co_u32_e32 v41, vcc, s84, v41
	v_addc_co_u32_e32 v42, vcc, v43, v42, vcc
	s_waitcnt lgkmcnt(0)
	global_store_dwordx2 v[41:42], v[39:40], off
	s_or_b64 exec, exec, s[40:41]
	s_and_saveexec_b64 s[40:41], s[56:57]
	s_cbranch_execz .LBB841_243
.LBB841_307:                            ;   in Loop: Header=BB841_104 Depth=2
	v_lshlrev_b32_e32 v4, 2, v144
	ds_read_b32 v4, v4
	ds_read_b64 v[39:40], v106 offset:16896
	v_mov_b32_e32 v42, v3
	v_mov_b32_e32 v43, s85
	s_waitcnt lgkmcnt(1)
	v_add_u32_e32 v41, v4, v83
	v_lshlrev_b64 v[41:42], 3, v[41:42]
	v_add_co_u32_e32 v41, vcc, s84, v41
	v_addc_co_u32_e32 v42, vcc, v43, v42, vcc
	s_waitcnt lgkmcnt(0)
	global_store_dwordx2 v[41:42], v[39:40], off
	s_or_b64 exec, exec, s[40:41]
	s_and_saveexec_b64 s[40:41], s[58:59]
	s_cbranch_execz .LBB841_244
.LBB841_308:                            ;   in Loop: Header=BB841_104 Depth=2
	v_lshlrev_b32_e32 v4, 2, v143
	ds_read_b32 v4, v4
	ds_read_b64 v[39:40], v106 offset:18944
	v_mov_b32_e32 v42, v3
	v_mov_b32_e32 v43, s85
	s_waitcnt lgkmcnt(1)
	v_add_u32_e32 v41, v4, v84
	v_lshlrev_b64 v[41:42], 3, v[41:42]
	v_add_co_u32_e32 v41, vcc, s84, v41
	v_addc_co_u32_e32 v42, vcc, v43, v42, vcc
	s_waitcnt lgkmcnt(0)
	global_store_dwordx2 v[41:42], v[39:40], off
	s_or_b64 exec, exec, s[40:41]
	s_and_saveexec_b64 s[40:41], s[60:61]
	s_cbranch_execz .LBB841_245
.LBB841_309:                            ;   in Loop: Header=BB841_104 Depth=2
	v_lshlrev_b32_e32 v4, 2, v142
	ds_read_b32 v4, v4
	ds_read_b64 v[39:40], v106 offset:20992
	v_mov_b32_e32 v42, v3
	v_mov_b32_e32 v43, s85
	s_waitcnt lgkmcnt(1)
	v_add_u32_e32 v41, v4, v85
	v_lshlrev_b64 v[41:42], 3, v[41:42]
	v_add_co_u32_e32 v41, vcc, s84, v41
	v_addc_co_u32_e32 v42, vcc, v43, v42, vcc
	s_waitcnt lgkmcnt(0)
	global_store_dwordx2 v[41:42], v[39:40], off
	s_or_b64 exec, exec, s[40:41]
	s_and_saveexec_b64 s[40:41], s[62:63]
	s_cbranch_execz .LBB841_246
.LBB841_310:                            ;   in Loop: Header=BB841_104 Depth=2
	v_lshlrev_b32_e32 v4, 2, v141
	ds_read_b32 v4, v4
	ds_read_b64 v[39:40], v106 offset:23040
	v_mov_b32_e32 v42, v3
	v_mov_b32_e32 v43, s85
	s_waitcnt lgkmcnt(1)
	v_add_u32_e32 v41, v4, v86
	v_lshlrev_b64 v[41:42], 3, v[41:42]
	v_add_co_u32_e32 v41, vcc, s84, v41
	v_addc_co_u32_e32 v42, vcc, v43, v42, vcc
	s_waitcnt lgkmcnt(0)
	global_store_dwordx2 v[41:42], v[39:40], off
	s_or_b64 exec, exec, s[40:41]
	s_and_saveexec_b64 s[40:41], s[64:65]
	s_cbranch_execz .LBB841_247
.LBB841_311:                            ;   in Loop: Header=BB841_104 Depth=2
	v_lshlrev_b32_e32 v4, 2, v140
	ds_read_b32 v4, v4
	ds_read_b64 v[39:40], v106 offset:25088
	v_mov_b32_e32 v42, v3
	v_mov_b32_e32 v43, s85
	s_waitcnt lgkmcnt(1)
	v_add_u32_e32 v41, v4, v87
	v_lshlrev_b64 v[41:42], 3, v[41:42]
	v_add_co_u32_e32 v41, vcc, s84, v41
	v_addc_co_u32_e32 v42, vcc, v43, v42, vcc
	s_waitcnt lgkmcnt(0)
	global_store_dwordx2 v[41:42], v[39:40], off
	s_or_b64 exec, exec, s[40:41]
	s_and_saveexec_b64 s[40:41], s[66:67]
	s_cbranch_execz .LBB841_248
.LBB841_312:                            ;   in Loop: Header=BB841_104 Depth=2
	v_lshlrev_b32_e32 v4, 2, v139
	ds_read_b32 v4, v4
	ds_read_b64 v[39:40], v106 offset:27136
	v_mov_b32_e32 v42, v3
	v_mov_b32_e32 v43, s85
	s_waitcnt lgkmcnt(1)
	v_add_u32_e32 v41, v4, v88
	v_lshlrev_b64 v[41:42], 3, v[41:42]
	v_add_co_u32_e32 v41, vcc, s84, v41
	v_addc_co_u32_e32 v42, vcc, v43, v42, vcc
	s_waitcnt lgkmcnt(0)
	global_store_dwordx2 v[41:42], v[39:40], off
	s_or_b64 exec, exec, s[40:41]
	s_and_saveexec_b64 s[40:41], s[68:69]
	s_cbranch_execz .LBB841_249
.LBB841_313:                            ;   in Loop: Header=BB841_104 Depth=2
	v_lshlrev_b32_e32 v4, 2, v138
	ds_read_b32 v4, v4
	ds_read_b64 v[39:40], v106 offset:29184
	v_mov_b32_e32 v42, v3
	v_mov_b32_e32 v43, s85
	s_waitcnt lgkmcnt(1)
	v_add_u32_e32 v41, v4, v89
	v_lshlrev_b64 v[41:42], 3, v[41:42]
	v_add_co_u32_e32 v41, vcc, s84, v41
	v_addc_co_u32_e32 v42, vcc, v43, v42, vcc
	s_waitcnt lgkmcnt(0)
	global_store_dwordx2 v[41:42], v[39:40], off
	s_or_b64 exec, exec, s[40:41]
	s_and_saveexec_b64 s[40:41], s[70:71]
	s_cbranch_execnz .LBB841_250
	s_branch .LBB841_251
.LBB841_314:                            ;   in Loop: Header=BB841_20 Depth=1
	s_waitcnt lgkmcnt(0)
	s_barrier
	s_mov_b64 s[20:21], 0
.LBB841_315:                            ;   in Loop: Header=BB841_20 Depth=1
	s_and_b64 vcc, exec, s[20:21]
	s_cbranch_vccz .LBB841_609
; %bb.316:                              ;   in Loop: Header=BB841_20 Depth=1
	s_mov_b32 s6, s33
	s_mov_b32 s92, s73
	s_barrier
                                        ; implicit-def: $vgpr7_vgpr8
                                        ; implicit-def: $vgpr9_vgpr10
                                        ; implicit-def: $vgpr11_vgpr12
                                        ; implicit-def: $vgpr13_vgpr14
                                        ; implicit-def: $vgpr15_vgpr16
                                        ; implicit-def: $vgpr17_vgpr18
                                        ; implicit-def: $vgpr19_vgpr20
                                        ; implicit-def: $vgpr21_vgpr22
                                        ; implicit-def: $vgpr23_vgpr24
                                        ; implicit-def: $vgpr25_vgpr26
                                        ; implicit-def: $vgpr27_vgpr28
                                        ; implicit-def: $vgpr29_vgpr30
                                        ; implicit-def: $vgpr31_vgpr32
                                        ; implicit-def: $vgpr33_vgpr34
                                        ; implicit-def: $vgpr35_vgpr36
                                        ; implicit-def: $vgpr37_vgpr38
	s_branch .LBB841_318
.LBB841_317:                            ;   in Loop: Header=BB841_318 Depth=2
	s_or_b64 exec, exec, s[20:21]
	s_addk_i32 s6, 0xf000
	s_cmp_ge_u32 s7, s96
	s_mov_b32 s92, s7
	s_cbranch_scc1 .LBB841_386
.LBB841_318:                            ;   Parent Loop BB841_20 Depth=1
                                        ; =>  This Inner Loop Header: Depth=2
	s_add_i32 s7, s92, 0x1000
	s_cmp_gt_u32 s7, s96
	s_mov_b64 s[20:21], -1
                                        ; implicit-def: $vgpr39_vgpr40
                                        ; implicit-def: $vgpr41_vgpr42
                                        ; implicit-def: $vgpr43_vgpr44
                                        ; implicit-def: $vgpr45_vgpr46
                                        ; implicit-def: $vgpr47_vgpr48
                                        ; implicit-def: $vgpr49_vgpr50
                                        ; implicit-def: $vgpr51_vgpr52
                                        ; implicit-def: $vgpr53_vgpr54
                                        ; implicit-def: $vgpr55_vgpr56
                                        ; implicit-def: $vgpr57_vgpr58
                                        ; implicit-def: $vgpr59_vgpr60
                                        ; implicit-def: $vgpr61_vgpr62
                                        ; implicit-def: $vgpr63_vgpr64
                                        ; implicit-def: $vgpr65_vgpr66
                                        ; implicit-def: $vgpr67_vgpr68
                                        ; implicit-def: $vgpr69_vgpr70
	s_cbranch_scc1 .LBB841_320
; %bb.319:                              ;   in Loop: Header=BB841_318 Depth=2
	s_lshl_b64 s[20:21], s[92:93], 3
	v_mov_b32_e32 v4, s21
	v_add_co_u32_e32 v63, vcc, s20, v107
	v_addc_co_u32_e32 v64, vcc, v108, v4, vcc
	v_add_co_u32_e32 v47, vcc, 0x1000, v63
	v_addc_co_u32_e32 v48, vcc, 0, v64, vcc
	;; [unrolled: 2-line block ×4, first 2 shown]
	global_load_dwordx2 v[39:40], v[63:64], off
	global_load_dwordx2 v[41:42], v[63:64], off offset:2048
	global_load_dwordx2 v[43:44], v[47:48], off
	global_load_dwordx2 v[45:46], v[47:48], off offset:2048
	s_nop 0
	global_load_dwordx2 v[47:48], v[55:56], off
	global_load_dwordx2 v[49:50], v[55:56], off offset:2048
	global_load_dwordx2 v[51:52], v[57:58], off
	global_load_dwordx2 v[53:54], v[57:58], off offset:2048
	v_add_co_u32_e32 v57, vcc, 0x4000, v63
	v_addc_co_u32_e32 v58, vcc, 0, v64, vcc
	v_add_co_u32_e32 v61, vcc, 0x5000, v63
	v_addc_co_u32_e32 v62, vcc, 0, v64, vcc
	;; [unrolled: 2-line block ×4, first 2 shown]
	global_load_dwordx2 v[55:56], v[57:58], off
	s_nop 0
	global_load_dwordx2 v[57:58], v[57:58], off offset:2048
	s_nop 0
	global_load_dwordx2 v[59:60], v[61:62], off
	s_nop 0
	global_load_dwordx2 v[61:62], v[61:62], off offset:2048
	s_nop 0
	;; [unrolled: 4-line block ×3, first 2 shown]
	global_load_dwordx2 v[67:68], v[69:70], off
	s_nop 0
	global_load_dwordx2 v[69:70], v[69:70], off offset:2048
	s_mov_b64 s[20:21], 0
.LBB841_320:                            ;   in Loop: Header=BB841_318 Depth=2
	s_andn2_b64 vcc, exec, s[20:21]
	s_movk_i32 s22, 0x1000
	s_cbranch_vccnz .LBB841_339
; %bb.321:                              ;   in Loop: Header=BB841_318 Depth=2
	s_lshl_b64 s[20:21], s[92:93], 3
	s_add_u32 s20, s78, s20
	s_addc_u32 s21, s79, s21
	v_cmp_gt_u32_e32 vcc, s6, v0
	s_and_saveexec_b64 s[22:23], vcc
	s_cbranch_execnz .LBB841_371
; %bb.322:                              ;   in Loop: Header=BB841_318 Depth=2
	s_or_b64 exec, exec, s[22:23]
	v_cmp_gt_u32_e32 vcc, s6, v74
	s_and_saveexec_b64 s[22:23], vcc
	s_cbranch_execnz .LBB841_372
.LBB841_323:                            ;   in Loop: Header=BB841_318 Depth=2
	s_or_b64 exec, exec, s[22:23]
	v_cmp_gt_u32_e32 vcc, s6, v77
	s_and_saveexec_b64 s[22:23], vcc
	s_cbranch_execnz .LBB841_373
.LBB841_324:                            ;   in Loop: Header=BB841_318 Depth=2
	s_or_b64 exec, exec, s[22:23]
	v_cmp_gt_u32_e32 vcc, s6, v78
	s_and_saveexec_b64 s[22:23], vcc
	s_cbranch_execnz .LBB841_374
.LBB841_325:                            ;   in Loop: Header=BB841_318 Depth=2
	s_or_b64 exec, exec, s[22:23]
	v_cmp_gt_u32_e32 vcc, s6, v79
	s_and_saveexec_b64 s[22:23], vcc
	s_cbranch_execnz .LBB841_375
.LBB841_326:                            ;   in Loop: Header=BB841_318 Depth=2
	s_or_b64 exec, exec, s[22:23]
	v_cmp_gt_u32_e32 vcc, s6, v80
	s_and_saveexec_b64 s[22:23], vcc
	s_cbranch_execnz .LBB841_376
.LBB841_327:                            ;   in Loop: Header=BB841_318 Depth=2
	s_or_b64 exec, exec, s[22:23]
	v_cmp_gt_u32_e32 vcc, s6, v81
	s_and_saveexec_b64 s[22:23], vcc
	s_cbranch_execnz .LBB841_377
.LBB841_328:                            ;   in Loop: Header=BB841_318 Depth=2
	s_or_b64 exec, exec, s[22:23]
	v_cmp_gt_u32_e32 vcc, s6, v82
	s_and_saveexec_b64 s[22:23], vcc
	s_cbranch_execnz .LBB841_378
.LBB841_329:                            ;   in Loop: Header=BB841_318 Depth=2
	s_or_b64 exec, exec, s[22:23]
	v_cmp_gt_u32_e32 vcc, s6, v83
	s_and_saveexec_b64 s[22:23], vcc
	s_cbranch_execnz .LBB841_379
.LBB841_330:                            ;   in Loop: Header=BB841_318 Depth=2
	s_or_b64 exec, exec, s[22:23]
	v_cmp_gt_u32_e32 vcc, s6, v84
	s_and_saveexec_b64 s[22:23], vcc
	s_cbranch_execnz .LBB841_380
.LBB841_331:                            ;   in Loop: Header=BB841_318 Depth=2
	s_or_b64 exec, exec, s[22:23]
	v_cmp_gt_u32_e32 vcc, s6, v85
	s_and_saveexec_b64 s[22:23], vcc
	s_cbranch_execnz .LBB841_381
.LBB841_332:                            ;   in Loop: Header=BB841_318 Depth=2
	s_or_b64 exec, exec, s[22:23]
	v_cmp_gt_u32_e32 vcc, s6, v86
	s_and_saveexec_b64 s[22:23], vcc
	s_cbranch_execnz .LBB841_382
.LBB841_333:                            ;   in Loop: Header=BB841_318 Depth=2
	s_or_b64 exec, exec, s[22:23]
	v_cmp_gt_u32_e32 vcc, s6, v87
	s_and_saveexec_b64 s[22:23], vcc
	s_cbranch_execnz .LBB841_383
.LBB841_334:                            ;   in Loop: Header=BB841_318 Depth=2
	s_or_b64 exec, exec, s[22:23]
	v_cmp_gt_u32_e32 vcc, s6, v88
	s_and_saveexec_b64 s[22:23], vcc
	s_cbranch_execnz .LBB841_384
.LBB841_335:                            ;   in Loop: Header=BB841_318 Depth=2
	s_or_b64 exec, exec, s[22:23]
	v_cmp_gt_u32_e32 vcc, s6, v89
	s_and_saveexec_b64 s[22:23], vcc
	s_cbranch_execnz .LBB841_385
.LBB841_336:                            ;   in Loop: Header=BB841_318 Depth=2
	s_or_b64 exec, exec, s[22:23]
	v_cmp_gt_u32_e32 vcc, s6, v90
	s_and_saveexec_b64 s[22:23], vcc
	s_cbranch_execz .LBB841_338
.LBB841_337:                            ;   in Loop: Header=BB841_318 Depth=2
	global_load_dwordx2 v[7:8], v134, s[20:21]
.LBB841_338:                            ;   in Loop: Header=BB841_318 Depth=2
	s_or_b64 exec, exec, s[22:23]
	s_waitcnt vmcnt(0)
	v_mov_b32_e32 v40, v38
	v_mov_b32_e32 v42, v36
	;; [unrolled: 1-line block ×16, first 2 shown]
	s_mov_b32 s22, s6
	v_mov_b32_e32 v39, v37
	v_mov_b32_e32 v41, v35
	;; [unrolled: 1-line block ×16, first 2 shown]
.LBB841_339:                            ;   in Loop: Header=BB841_318 Depth=2
	s_waitcnt vmcnt(0)
	v_mov_b32_e32 v7, v69
	v_mov_b32_e32 v9, v67
	;; [unrolled: 1-line block ×32, first 2 shown]
	v_cmp_gt_u32_e32 vcc, s22, v0
	s_and_saveexec_b64 s[20:21], vcc
	s_cbranch_execnz .LBB841_355
; %bb.340:                              ;   in Loop: Header=BB841_318 Depth=2
	s_or_b64 exec, exec, s[20:21]
	v_cmp_gt_u32_e32 vcc, s22, v74
	s_and_saveexec_b64 s[20:21], vcc
	s_cbranch_execnz .LBB841_356
.LBB841_341:                            ;   in Loop: Header=BB841_318 Depth=2
	s_or_b64 exec, exec, s[20:21]
	v_cmp_gt_u32_e32 vcc, s22, v77
	s_and_saveexec_b64 s[20:21], vcc
	s_cbranch_execnz .LBB841_357
.LBB841_342:                            ;   in Loop: Header=BB841_318 Depth=2
	s_or_b64 exec, exec, s[20:21]
	v_cmp_gt_u32_e32 vcc, s22, v78
	s_and_saveexec_b64 s[20:21], vcc
	s_cbranch_execnz .LBB841_358
.LBB841_343:                            ;   in Loop: Header=BB841_318 Depth=2
	s_or_b64 exec, exec, s[20:21]
	v_cmp_gt_u32_e32 vcc, s22, v79
	s_and_saveexec_b64 s[20:21], vcc
	s_cbranch_execnz .LBB841_359
.LBB841_344:                            ;   in Loop: Header=BB841_318 Depth=2
	s_or_b64 exec, exec, s[20:21]
	v_cmp_gt_u32_e32 vcc, s22, v80
	s_and_saveexec_b64 s[20:21], vcc
	s_cbranch_execnz .LBB841_360
.LBB841_345:                            ;   in Loop: Header=BB841_318 Depth=2
	s_or_b64 exec, exec, s[20:21]
	v_cmp_gt_u32_e32 vcc, s22, v81
	s_and_saveexec_b64 s[20:21], vcc
	s_cbranch_execnz .LBB841_361
.LBB841_346:                            ;   in Loop: Header=BB841_318 Depth=2
	s_or_b64 exec, exec, s[20:21]
	v_cmp_gt_u32_e32 vcc, s22, v82
	s_and_saveexec_b64 s[20:21], vcc
	s_cbranch_execnz .LBB841_362
.LBB841_347:                            ;   in Loop: Header=BB841_318 Depth=2
	s_or_b64 exec, exec, s[20:21]
	v_cmp_gt_u32_e32 vcc, s22, v83
	s_and_saveexec_b64 s[20:21], vcc
	s_cbranch_execnz .LBB841_363
.LBB841_348:                            ;   in Loop: Header=BB841_318 Depth=2
	s_or_b64 exec, exec, s[20:21]
	v_cmp_gt_u32_e32 vcc, s22, v84
	s_and_saveexec_b64 s[20:21], vcc
	s_cbranch_execnz .LBB841_364
.LBB841_349:                            ;   in Loop: Header=BB841_318 Depth=2
	s_or_b64 exec, exec, s[20:21]
	v_cmp_gt_u32_e32 vcc, s22, v85
	s_and_saveexec_b64 s[20:21], vcc
	s_cbranch_execnz .LBB841_365
.LBB841_350:                            ;   in Loop: Header=BB841_318 Depth=2
	s_or_b64 exec, exec, s[20:21]
	v_cmp_gt_u32_e32 vcc, s22, v86
	s_and_saveexec_b64 s[20:21], vcc
	s_cbranch_execnz .LBB841_366
.LBB841_351:                            ;   in Loop: Header=BB841_318 Depth=2
	s_or_b64 exec, exec, s[20:21]
	v_cmp_gt_u32_e32 vcc, s22, v87
	s_and_saveexec_b64 s[20:21], vcc
	s_cbranch_execnz .LBB841_367
.LBB841_352:                            ;   in Loop: Header=BB841_318 Depth=2
	s_or_b64 exec, exec, s[20:21]
	v_cmp_gt_u32_e32 vcc, s22, v88
	s_and_saveexec_b64 s[20:21], vcc
	s_cbranch_execnz .LBB841_368
.LBB841_353:                            ;   in Loop: Header=BB841_318 Depth=2
	s_or_b64 exec, exec, s[20:21]
	v_cmp_gt_u32_e32 vcc, s22, v89
	s_and_saveexec_b64 s[20:21], vcc
	s_cbranch_execnz .LBB841_369
.LBB841_354:                            ;   in Loop: Header=BB841_318 Depth=2
	s_or_b64 exec, exec, s[20:21]
	v_cmp_gt_u32_e32 vcc, s22, v90
	s_and_saveexec_b64 s[20:21], vcc
	s_cbranch_execz .LBB841_317
	s_branch .LBB841_370
.LBB841_355:                            ;   in Loop: Header=BB841_318 Depth=2
	v_xor_b32_e32 v40, 0x80000000, v38
	v_mov_b32_e32 v39, v37
	v_lshrrev_b64 v[39:40], s97, v[39:40]
	v_and_b32_e32 v4, s99, v39
	v_lshl_or_b32 v4, v4, 4, v91
	ds_add_u32 v4, v119
	s_or_b64 exec, exec, s[20:21]
	v_cmp_gt_u32_e32 vcc, s22, v74
	s_and_saveexec_b64 s[20:21], vcc
	s_cbranch_execz .LBB841_341
.LBB841_356:                            ;   in Loop: Header=BB841_318 Depth=2
	v_xor_b32_e32 v40, 0x80000000, v36
	v_mov_b32_e32 v39, v35
	v_lshrrev_b64 v[39:40], s97, v[39:40]
	v_and_b32_e32 v4, s99, v39
	v_lshl_or_b32 v4, v4, 4, v91
	ds_add_u32 v4, v119
	s_or_b64 exec, exec, s[20:21]
	v_cmp_gt_u32_e32 vcc, s22, v77
	s_and_saveexec_b64 s[20:21], vcc
	s_cbranch_execz .LBB841_342
.LBB841_357:                            ;   in Loop: Header=BB841_318 Depth=2
	v_xor_b32_e32 v40, 0x80000000, v34
	v_mov_b32_e32 v39, v33
	v_lshrrev_b64 v[39:40], s97, v[39:40]
	v_and_b32_e32 v4, s99, v39
	v_lshl_or_b32 v4, v4, 4, v91
	ds_add_u32 v4, v119
	s_or_b64 exec, exec, s[20:21]
	v_cmp_gt_u32_e32 vcc, s22, v78
	s_and_saveexec_b64 s[20:21], vcc
	s_cbranch_execz .LBB841_343
.LBB841_358:                            ;   in Loop: Header=BB841_318 Depth=2
	v_xor_b32_e32 v40, 0x80000000, v32
	v_mov_b32_e32 v39, v31
	v_lshrrev_b64 v[39:40], s97, v[39:40]
	v_and_b32_e32 v4, s99, v39
	v_lshl_or_b32 v4, v4, 4, v91
	ds_add_u32 v4, v119
	s_or_b64 exec, exec, s[20:21]
	v_cmp_gt_u32_e32 vcc, s22, v79
	s_and_saveexec_b64 s[20:21], vcc
	s_cbranch_execz .LBB841_344
.LBB841_359:                            ;   in Loop: Header=BB841_318 Depth=2
	v_xor_b32_e32 v40, 0x80000000, v30
	v_mov_b32_e32 v39, v29
	v_lshrrev_b64 v[39:40], s97, v[39:40]
	v_and_b32_e32 v4, s99, v39
	v_lshl_or_b32 v4, v4, 4, v91
	ds_add_u32 v4, v119
	s_or_b64 exec, exec, s[20:21]
	v_cmp_gt_u32_e32 vcc, s22, v80
	s_and_saveexec_b64 s[20:21], vcc
	s_cbranch_execz .LBB841_345
.LBB841_360:                            ;   in Loop: Header=BB841_318 Depth=2
	v_xor_b32_e32 v40, 0x80000000, v28
	v_mov_b32_e32 v39, v27
	v_lshrrev_b64 v[39:40], s97, v[39:40]
	v_and_b32_e32 v4, s99, v39
	v_lshl_or_b32 v4, v4, 4, v91
	ds_add_u32 v4, v119
	s_or_b64 exec, exec, s[20:21]
	v_cmp_gt_u32_e32 vcc, s22, v81
	s_and_saveexec_b64 s[20:21], vcc
	s_cbranch_execz .LBB841_346
.LBB841_361:                            ;   in Loop: Header=BB841_318 Depth=2
	v_xor_b32_e32 v40, 0x80000000, v26
	v_mov_b32_e32 v39, v25
	v_lshrrev_b64 v[39:40], s97, v[39:40]
	v_and_b32_e32 v4, s99, v39
	v_lshl_or_b32 v4, v4, 4, v91
	ds_add_u32 v4, v119
	s_or_b64 exec, exec, s[20:21]
	v_cmp_gt_u32_e32 vcc, s22, v82
	s_and_saveexec_b64 s[20:21], vcc
	s_cbranch_execz .LBB841_347
.LBB841_362:                            ;   in Loop: Header=BB841_318 Depth=2
	v_xor_b32_e32 v40, 0x80000000, v24
	v_mov_b32_e32 v39, v23
	v_lshrrev_b64 v[39:40], s97, v[39:40]
	v_and_b32_e32 v4, s99, v39
	v_lshl_or_b32 v4, v4, 4, v91
	ds_add_u32 v4, v119
	s_or_b64 exec, exec, s[20:21]
	v_cmp_gt_u32_e32 vcc, s22, v83
	s_and_saveexec_b64 s[20:21], vcc
	s_cbranch_execz .LBB841_348
.LBB841_363:                            ;   in Loop: Header=BB841_318 Depth=2
	v_xor_b32_e32 v40, 0x80000000, v22
	v_mov_b32_e32 v39, v21
	v_lshrrev_b64 v[39:40], s97, v[39:40]
	v_and_b32_e32 v4, s99, v39
	v_lshl_or_b32 v4, v4, 4, v91
	ds_add_u32 v4, v119
	s_or_b64 exec, exec, s[20:21]
	v_cmp_gt_u32_e32 vcc, s22, v84
	s_and_saveexec_b64 s[20:21], vcc
	s_cbranch_execz .LBB841_349
.LBB841_364:                            ;   in Loop: Header=BB841_318 Depth=2
	v_xor_b32_e32 v40, 0x80000000, v20
	v_mov_b32_e32 v39, v19
	v_lshrrev_b64 v[39:40], s97, v[39:40]
	v_and_b32_e32 v4, s99, v39
	v_lshl_or_b32 v4, v4, 4, v91
	ds_add_u32 v4, v119
	s_or_b64 exec, exec, s[20:21]
	v_cmp_gt_u32_e32 vcc, s22, v85
	s_and_saveexec_b64 s[20:21], vcc
	s_cbranch_execz .LBB841_350
.LBB841_365:                            ;   in Loop: Header=BB841_318 Depth=2
	v_xor_b32_e32 v40, 0x80000000, v18
	v_mov_b32_e32 v39, v17
	v_lshrrev_b64 v[39:40], s97, v[39:40]
	v_and_b32_e32 v4, s99, v39
	v_lshl_or_b32 v4, v4, 4, v91
	ds_add_u32 v4, v119
	s_or_b64 exec, exec, s[20:21]
	v_cmp_gt_u32_e32 vcc, s22, v86
	s_and_saveexec_b64 s[20:21], vcc
	s_cbranch_execz .LBB841_351
.LBB841_366:                            ;   in Loop: Header=BB841_318 Depth=2
	v_xor_b32_e32 v40, 0x80000000, v16
	v_mov_b32_e32 v39, v15
	v_lshrrev_b64 v[39:40], s97, v[39:40]
	v_and_b32_e32 v4, s99, v39
	v_lshl_or_b32 v4, v4, 4, v91
	ds_add_u32 v4, v119
	s_or_b64 exec, exec, s[20:21]
	v_cmp_gt_u32_e32 vcc, s22, v87
	s_and_saveexec_b64 s[20:21], vcc
	s_cbranch_execz .LBB841_352
.LBB841_367:                            ;   in Loop: Header=BB841_318 Depth=2
	v_xor_b32_e32 v40, 0x80000000, v14
	v_mov_b32_e32 v39, v13
	v_lshrrev_b64 v[39:40], s97, v[39:40]
	v_and_b32_e32 v4, s99, v39
	v_lshl_or_b32 v4, v4, 4, v91
	ds_add_u32 v4, v119
	s_or_b64 exec, exec, s[20:21]
	v_cmp_gt_u32_e32 vcc, s22, v88
	s_and_saveexec_b64 s[20:21], vcc
	s_cbranch_execz .LBB841_353
.LBB841_368:                            ;   in Loop: Header=BB841_318 Depth=2
	v_xor_b32_e32 v40, 0x80000000, v12
	v_mov_b32_e32 v39, v11
	v_lshrrev_b64 v[39:40], s97, v[39:40]
	v_and_b32_e32 v4, s99, v39
	v_lshl_or_b32 v4, v4, 4, v91
	ds_add_u32 v4, v119
	s_or_b64 exec, exec, s[20:21]
	v_cmp_gt_u32_e32 vcc, s22, v89
	s_and_saveexec_b64 s[20:21], vcc
	s_cbranch_execz .LBB841_354
.LBB841_369:                            ;   in Loop: Header=BB841_318 Depth=2
	v_xor_b32_e32 v40, 0x80000000, v10
	v_mov_b32_e32 v39, v9
	v_lshrrev_b64 v[39:40], s97, v[39:40]
	v_and_b32_e32 v4, s99, v39
	v_lshl_or_b32 v4, v4, 4, v91
	ds_add_u32 v4, v119
	s_or_b64 exec, exec, s[20:21]
	v_cmp_gt_u32_e32 vcc, s22, v90
	s_and_saveexec_b64 s[20:21], vcc
	s_cbranch_execz .LBB841_317
.LBB841_370:                            ;   in Loop: Header=BB841_318 Depth=2
	v_xor_b32_e32 v40, 0x80000000, v8
	v_mov_b32_e32 v39, v7
	v_lshrrev_b64 v[39:40], s97, v[39:40]
	v_and_b32_e32 v4, s99, v39
	v_lshl_or_b32 v4, v4, 4, v91
	ds_add_u32 v4, v119
	s_branch .LBB841_317
.LBB841_371:                            ;   in Loop: Header=BB841_318 Depth=2
	global_load_dwordx2 v[37:38], v120, s[20:21]
	s_or_b64 exec, exec, s[22:23]
	v_cmp_gt_u32_e32 vcc, s6, v74
	s_and_saveexec_b64 s[22:23], vcc
	s_cbranch_execz .LBB841_323
.LBB841_372:                            ;   in Loop: Header=BB841_318 Depth=2
	global_load_dwordx2 v[35:36], v120, s[20:21] offset:2048
	s_or_b64 exec, exec, s[22:23]
	v_cmp_gt_u32_e32 vcc, s6, v77
	s_and_saveexec_b64 s[22:23], vcc
	s_cbranch_execz .LBB841_324
.LBB841_373:                            ;   in Loop: Header=BB841_318 Depth=2
	global_load_dwordx2 v[33:34], v121, s[20:21]
	s_or_b64 exec, exec, s[22:23]
	v_cmp_gt_u32_e32 vcc, s6, v78
	s_and_saveexec_b64 s[22:23], vcc
	s_cbranch_execz .LBB841_325
.LBB841_374:                            ;   in Loop: Header=BB841_318 Depth=2
	global_load_dwordx2 v[31:32], v122, s[20:21]
	s_or_b64 exec, exec, s[22:23]
	v_cmp_gt_u32_e32 vcc, s6, v79
	s_and_saveexec_b64 s[22:23], vcc
	s_cbranch_execz .LBB841_326
.LBB841_375:                            ;   in Loop: Header=BB841_318 Depth=2
	global_load_dwordx2 v[29:30], v123, s[20:21]
	s_or_b64 exec, exec, s[22:23]
	v_cmp_gt_u32_e32 vcc, s6, v80
	s_and_saveexec_b64 s[22:23], vcc
	s_cbranch_execz .LBB841_327
.LBB841_376:                            ;   in Loop: Header=BB841_318 Depth=2
	global_load_dwordx2 v[27:28], v124, s[20:21]
	s_or_b64 exec, exec, s[22:23]
	v_cmp_gt_u32_e32 vcc, s6, v81
	s_and_saveexec_b64 s[22:23], vcc
	s_cbranch_execz .LBB841_328
.LBB841_377:                            ;   in Loop: Header=BB841_318 Depth=2
	global_load_dwordx2 v[25:26], v125, s[20:21]
	s_or_b64 exec, exec, s[22:23]
	v_cmp_gt_u32_e32 vcc, s6, v82
	s_and_saveexec_b64 s[22:23], vcc
	s_cbranch_execz .LBB841_329
.LBB841_378:                            ;   in Loop: Header=BB841_318 Depth=2
	global_load_dwordx2 v[23:24], v126, s[20:21]
	s_or_b64 exec, exec, s[22:23]
	v_cmp_gt_u32_e32 vcc, s6, v83
	s_and_saveexec_b64 s[22:23], vcc
	s_cbranch_execz .LBB841_330
.LBB841_379:                            ;   in Loop: Header=BB841_318 Depth=2
	global_load_dwordx2 v[21:22], v127, s[20:21]
	s_or_b64 exec, exec, s[22:23]
	v_cmp_gt_u32_e32 vcc, s6, v84
	s_and_saveexec_b64 s[22:23], vcc
	s_cbranch_execz .LBB841_331
.LBB841_380:                            ;   in Loop: Header=BB841_318 Depth=2
	global_load_dwordx2 v[19:20], v128, s[20:21]
	s_or_b64 exec, exec, s[22:23]
	v_cmp_gt_u32_e32 vcc, s6, v85
	s_and_saveexec_b64 s[22:23], vcc
	s_cbranch_execz .LBB841_332
.LBB841_381:                            ;   in Loop: Header=BB841_318 Depth=2
	global_load_dwordx2 v[17:18], v129, s[20:21]
	s_or_b64 exec, exec, s[22:23]
	v_cmp_gt_u32_e32 vcc, s6, v86
	s_and_saveexec_b64 s[22:23], vcc
	s_cbranch_execz .LBB841_333
.LBB841_382:                            ;   in Loop: Header=BB841_318 Depth=2
	global_load_dwordx2 v[15:16], v130, s[20:21]
	s_or_b64 exec, exec, s[22:23]
	v_cmp_gt_u32_e32 vcc, s6, v87
	s_and_saveexec_b64 s[22:23], vcc
	s_cbranch_execz .LBB841_334
.LBB841_383:                            ;   in Loop: Header=BB841_318 Depth=2
	global_load_dwordx2 v[13:14], v131, s[20:21]
	s_or_b64 exec, exec, s[22:23]
	v_cmp_gt_u32_e32 vcc, s6, v88
	s_and_saveexec_b64 s[22:23], vcc
	s_cbranch_execz .LBB841_335
.LBB841_384:                            ;   in Loop: Header=BB841_318 Depth=2
	global_load_dwordx2 v[11:12], v132, s[20:21]
	s_or_b64 exec, exec, s[22:23]
	v_cmp_gt_u32_e32 vcc, s6, v89
	s_and_saveexec_b64 s[22:23], vcc
	s_cbranch_execz .LBB841_336
.LBB841_385:                            ;   in Loop: Header=BB841_318 Depth=2
	global_load_dwordx2 v[9:10], v133, s[20:21]
	s_or_b64 exec, exec, s[22:23]
	v_cmp_gt_u32_e32 vcc, s6, v90
	s_and_saveexec_b64 s[22:23], vcc
	s_cbranch_execnz .LBB841_337
	s_branch .LBB841_338
.LBB841_386:                            ;   in Loop: Header=BB841_20 Depth=1
	v_mov_b32_e32 v4, 0
	s_waitcnt lgkmcnt(0)
	s_barrier
	s_and_saveexec_b64 s[20:21], s[4:5]
	s_cbranch_execz .LBB841_388
; %bb.387:                              ;   in Loop: Header=BB841_20 Depth=1
	ds_read2_b64 v[7:10], v93 offset1:1
	s_waitcnt lgkmcnt(0)
	v_add_u32_e32 v4, v8, v7
	v_add3_u32 v4, v4, v9, v10
.LBB841_388:                            ;   in Loop: Header=BB841_20 Depth=1
	s_or_b64 exec, exec, s[20:21]
	v_and_b32_e32 v7, 15, v135
	v_mov_b32_dpp v8, v4 row_shr:1 row_mask:0xf bank_mask:0xf
	v_cmp_eq_u32_e64 s[20:21], 0, v7
	v_cndmask_b32_e64 v8, v8, 0, s[20:21]
	v_add_u32_e32 v4, v8, v4
	v_cmp_lt_u32_e64 s[22:23], 1, v7
	v_cmp_lt_u32_e64 s[24:25], 3, v7
	v_mov_b32_dpp v8, v4 row_shr:2 row_mask:0xf bank_mask:0xf
	v_cndmask_b32_e64 v8, 0, v8, s[22:23]
	v_add_u32_e32 v4, v4, v8
	v_cmp_lt_u32_e64 s[26:27], 7, v7
	v_cmp_lt_u32_e64 s[30:31], 31, v135
	v_mov_b32_dpp v8, v4 row_shr:4 row_mask:0xf bank_mask:0xf
	v_cndmask_b32_e64 v8, 0, v8, s[24:25]
	v_add_u32_e32 v4, v4, v8
	v_and_b32_e32 v9, 16, v135
	v_cmp_eq_u32_e64 s[28:29], 0, v9
	v_mov_b32_dpp v8, v4 row_shr:8 row_mask:0xf bank_mask:0xf
	v_cndmask_b32_e64 v7, 0, v8, s[26:27]
	v_add_u32_e32 v4, v4, v7
	v_bfe_i32 v8, v135, 4, 1
	s_nop 0
	v_mov_b32_dpp v7, v4 row_bcast:15 row_mask:0xf bank_mask:0xf
	v_and_b32_e32 v7, v8, v7
	v_add_u32_e32 v4, v4, v7
	s_nop 1
	v_mov_b32_dpp v7, v4 row_bcast:31 row_mask:0xf bank_mask:0xf
	v_cndmask_b32_e64 v7, 0, v7, s[30:31]
	v_add_u32_e32 v4, v4, v7
	s_mov_b64 s[34:35], exec
	v_readlane_b32 s6, v232, 1
	v_readlane_b32 s7, v232, 2
	s_and_b64 s[6:7], s[34:35], s[6:7]
	s_mov_b64 exec, s[6:7]
; %bb.389:                              ;   in Loop: Header=BB841_20 Depth=1
	ds_write_b32 v95, v4
; %bb.390:                              ;   in Loop: Header=BB841_20 Depth=1
	s_or_b64 exec, exec, s[34:35]
	s_waitcnt lgkmcnt(0)
	s_barrier
	s_and_saveexec_b64 s[34:35], s[8:9]
	s_cbranch_execz .LBB841_392
; %bb.391:                              ;   in Loop: Header=BB841_20 Depth=1
	ds_read_b32 v7, v96
	v_bfe_i32 v8, v135, 0, 1
	s_waitcnt lgkmcnt(0)
	v_mov_b32_dpp v9, v7 row_shr:1 row_mask:0xf bank_mask:0xf
	v_and_b32_e32 v8, v8, v9
	v_add_u32_e32 v7, v8, v7
	ds_write_b32 v96, v7
.LBB841_392:                            ;   in Loop: Header=BB841_20 Depth=1
	s_or_b64 exec, exec, s[34:35]
	v_mov_b32_e32 v7, 0
	s_waitcnt lgkmcnt(0)
	s_barrier
	s_and_saveexec_b64 s[34:35], s[10:11]
; %bb.393:                              ;   in Loop: Header=BB841_20 Depth=1
	ds_read_b32 v7, v97
; %bb.394:                              ;   in Loop: Header=BB841_20 Depth=1
	s_or_b64 exec, exec, s[34:35]
	v_subrev_co_u32_e64 v8, s[34:35], 1, v135
	v_and_b32_e32 v9, 64, v135
	v_cmp_lt_i32_e32 vcc, v8, v9
	v_cndmask_b32_e32 v8, v8, v135, vcc
	s_waitcnt lgkmcnt(0)
	v_add_u32_e32 v4, v7, v4
	v_lshlrev_b32_e32 v136, 2, v8
	ds_bpermute_b32 v4, v136, v4
	s_waitcnt lgkmcnt(0)
	s_barrier
	s_and_saveexec_b64 s[36:37], s[4:5]
; %bb.395:                              ;   in Loop: Header=BB841_20 Depth=1
	v_cndmask_b32_e64 v4, v4, v7, s[34:35]
	v_add_u32_e32 v4, s73, v4
	ds_write_b32 v73, v4
; %bb.396:                              ;   in Loop: Header=BB841_20 Depth=1
	s_or_b64 exec, exec, s[36:37]
	s_load_dwordx2 s[6:7], s[94:95], 0x0
	v_readlane_b32 s36, v232, 0
	v_and_b32_e32 v40, 3, v135
	v_and_b32_e32 v41, 63, v135
	v_cmp_lt_u32_e64 s[38:39], 1, v40
	s_waitcnt lgkmcnt(0)
	s_cmp_lt_u32 s36, s7
	s_cselect_b32 s7, 14, 20
	s_add_u32 s36, s94, s7
	s_addc_u32 s37, s95, 0
	s_cmp_lt_u32 s72, s6
	s_cselect_b32 s6, 12, 18
	s_add_u32 s6, s94, s6
	global_load_ushort v4, v3, s[36:37]
	s_addc_u32 s7, s95, 0
	global_load_ushort v39, v3, s[6:7]
	v_cmp_eq_u32_e64 s[36:37], 0, v40
	v_lshlrev_b32_e32 v42, 3, v41
	v_add_co_u32_e32 v154, vcc, v109, v42
	v_addc_co_u32_e32 v155, vcc, 0, v110, vcc
	v_or_b32_e32 v153, v41, v98
	v_add_co_u32_e32 v171, vcc, v111, v42
	s_mov_b32 s91, s33
	v_or_b32_e32 v156, 64, v153
	v_or_b32_e32 v157, 0x80, v153
	;; [unrolled: 1-line block ×15, first 2 shown]
	v_addc_co_u32_e32 v172, vcc, 0, v112, vcc
	s_mov_b32 s92, s73
                                        ; implicit-def: $vgpr7_vgpr8
                                        ; implicit-def: $vgpr9_vgpr10
                                        ; implicit-def: $vgpr11_vgpr12
                                        ; implicit-def: $vgpr15_vgpr16
                                        ; implicit-def: $vgpr19_vgpr20
                                        ; implicit-def: $vgpr23_vgpr24
                                        ; implicit-def: $vgpr27_vgpr28
                                        ; implicit-def: $vgpr31_vgpr32
                                        ; implicit-def: $vgpr13_vgpr14
                                        ; implicit-def: $vgpr17_vgpr18
                                        ; implicit-def: $vgpr21_vgpr22
                                        ; implicit-def: $vgpr25_vgpr26
                                        ; implicit-def: $vgpr29_vgpr30
                                        ; implicit-def: $vgpr33_vgpr34
                                        ; implicit-def: $vgpr35_vgpr36
                                        ; implicit-def: $vgpr37_vgpr38
                                        ; implicit-def: $vgpr137
                                        ; implicit-def: $vgpr138
                                        ; implicit-def: $vgpr139
                                        ; implicit-def: $vgpr140
                                        ; implicit-def: $vgpr141
                                        ; implicit-def: $vgpr142
                                        ; implicit-def: $vgpr143
                                        ; implicit-def: $vgpr144
                                        ; implicit-def: $vgpr145
                                        ; implicit-def: $vgpr146
                                        ; implicit-def: $vgpr147
                                        ; implicit-def: $vgpr148
                                        ; implicit-def: $vgpr149
                                        ; implicit-def: $vgpr150
                                        ; implicit-def: $vgpr151
                                        ; implicit-def: $vgpr152
                                        ; implicit-def: $vgpr174
                                        ; implicit-def: $vgpr175
	s_waitcnt vmcnt(1)
	v_mad_u32_u24 v4, v2, v4, v1
	s_waitcnt vmcnt(0)
	v_mad_u64_u32 v[39:40], s[6:7], v4, v39, v[0:1]
	v_lshrrev_b32_e32 v4, 4, v39
	v_and_b32_e32 v173, 0xffffffc, v4
	s_branch .LBB841_398
.LBB841_397:                            ;   in Loop: Header=BB841_398 Depth=2
	s_or_b64 exec, exec, s[40:41]
	s_addk_i32 s91, 0xf000
	s_cmp_lt_u32 s6, s96
	s_mov_b32 s92, s6
	s_cbranch_scc0 .LBB841_608
.LBB841_398:                            ;   Parent Loop BB841_20 Depth=1
                                        ; =>  This Inner Loop Header: Depth=2
	s_add_i32 s6, s92, 0x1000
	s_cmp_gt_u32 s6, s96
	s_cbranch_scc1 .LBB841_400
; %bb.399:                              ;   in Loop: Header=BB841_398 Depth=2
	s_lshl_b64 s[40:41], s[92:93], 3
	v_mov_b32_e32 v4, s41
	v_add_co_u32_e32 v55, vcc, s40, v171
	v_addc_co_u32_e32 v56, vcc, v172, v4, vcc
	v_add_co_u32_e32 v67, vcc, 0x1000, v55
	global_load_dwordx2 v[41:42], v[55:56], off
	global_load_dwordx2 v[39:40], v[55:56], off offset:512
	global_load_dwordx2 v[43:44], v[55:56], off offset:1024
	;; [unrolled: 1-line block ×7, first 2 shown]
	v_addc_co_u32_e32 v68, vcc, 0, v56, vcc
	global_load_dwordx2 v[55:56], v[67:68], off
	global_load_dwordx2 v[57:58], v[67:68], off offset:512
	global_load_dwordx2 v[59:60], v[67:68], off offset:1024
	;; [unrolled: 1-line block ×5, first 2 shown]
	s_nop 0
	global_load_dwordx2 v[67:68], v[67:68], off offset:3072
	s_mov_b64 s[40:41], -1
	s_movk_i32 s7, 0x1000
	s_cbranch_execz .LBB841_401
	s_branch .LBB841_432
.LBB841_400:                            ;   in Loop: Header=BB841_398 Depth=2
	s_mov_b64 s[40:41], 0
                                        ; implicit-def: $vgpr41_vgpr42
                                        ; implicit-def: $vgpr39_vgpr40
                                        ; implicit-def: $vgpr43_vgpr44
                                        ; implicit-def: $vgpr45_vgpr46
                                        ; implicit-def: $vgpr47_vgpr48
                                        ; implicit-def: $vgpr49_vgpr50
                                        ; implicit-def: $vgpr51_vgpr52
                                        ; implicit-def: $vgpr53_vgpr54
                                        ; implicit-def: $vgpr55_vgpr56
                                        ; implicit-def: $vgpr57_vgpr58
                                        ; implicit-def: $vgpr59_vgpr60
                                        ; implicit-def: $vgpr61_vgpr62
                                        ; implicit-def: $vgpr63_vgpr64
                                        ; implicit-def: $vgpr65_vgpr66
                                        ; implicit-def: $vgpr67_vgpr68
	s_movk_i32 s7, 0x1000
.LBB841_401:                            ;   in Loop: Header=BB841_398 Depth=2
	s_lshl_b64 s[40:41], s[92:93], 3
	v_mov_b32_e32 v4, s41
	v_add_co_u32_e32 v69, vcc, s40, v171
	s_waitcnt vmcnt(13)
	v_mov_b32_e32 v40, v6
	v_addc_co_u32_e32 v70, vcc, v172, v4, vcc
	v_mov_b32_e32 v39, v5
	v_mov_b32_e32 v42, v40
	v_cmp_gt_u32_e32 vcc, s91, v153
	v_mov_b32_e32 v41, v39
	s_and_saveexec_b64 s[40:41], vcc
	s_cbranch_execz .LBB841_403
; %bb.402:                              ;   in Loop: Header=BB841_398 Depth=2
	global_load_dwordx2 v[41:42], v[69:70], off
.LBB841_403:                            ;   in Loop: Header=BB841_398 Depth=2
	s_or_b64 exec, exec, s[40:41]
	v_cmp_gt_u32_e32 vcc, s91, v156
	s_and_saveexec_b64 s[40:41], vcc
	s_cbranch_execz .LBB841_405
; %bb.404:                              ;   in Loop: Header=BB841_398 Depth=2
	global_load_dwordx2 v[39:40], v[69:70], off offset:512
.LBB841_405:                            ;   in Loop: Header=BB841_398 Depth=2
	s_or_b64 exec, exec, s[40:41]
	s_waitcnt vmcnt(12)
	v_mov_b32_e32 v44, v6
	v_cmp_gt_u32_e32 vcc, s91, v157
	v_mov_b32_e32 v43, v5
	s_and_saveexec_b64 s[40:41], vcc
	s_cbranch_execz .LBB841_407
; %bb.406:                              ;   in Loop: Header=BB841_398 Depth=2
	global_load_dwordx2 v[43:44], v[69:70], off offset:1024
.LBB841_407:                            ;   in Loop: Header=BB841_398 Depth=2
	s_or_b64 exec, exec, s[40:41]
	s_waitcnt vmcnt(11)
	v_mov_b32_e32 v46, v6
	v_cmp_gt_u32_e32 vcc, s91, v158
	v_mov_b32_e32 v45, v5
	;; [unrolled: 10-line block ×7, first 2 shown]
	s_and_saveexec_b64 s[40:41], vcc
	s_cbranch_execz .LBB841_419
; %bb.418:                              ;   in Loop: Header=BB841_398 Depth=2
	v_add_co_u32_e32 v55, vcc, 0x1000, v69
	v_addc_co_u32_e32 v56, vcc, 0, v70, vcc
	global_load_dwordx2 v[55:56], v[55:56], off
.LBB841_419:                            ;   in Loop: Header=BB841_398 Depth=2
	s_or_b64 exec, exec, s[40:41]
	s_waitcnt vmcnt(5)
	v_mov_b32_e32 v58, v6
	v_cmp_gt_u32_e32 vcc, s91, v164
	v_mov_b32_e32 v57, v5
	s_and_saveexec_b64 s[40:41], vcc
	s_cbranch_execz .LBB841_421
; %bb.420:                              ;   in Loop: Header=BB841_398 Depth=2
	v_add_co_u32_e32 v57, vcc, 0x1000, v69
	v_addc_co_u32_e32 v58, vcc, 0, v70, vcc
	global_load_dwordx2 v[57:58], v[57:58], off offset:512
.LBB841_421:                            ;   in Loop: Header=BB841_398 Depth=2
	s_or_b64 exec, exec, s[40:41]
	s_waitcnt vmcnt(4)
	v_mov_b32_e32 v60, v6
	v_cmp_gt_u32_e32 vcc, s91, v165
	v_mov_b32_e32 v59, v5
	s_and_saveexec_b64 s[40:41], vcc
	s_cbranch_execz .LBB841_423
; %bb.422:                              ;   in Loop: Header=BB841_398 Depth=2
	v_add_co_u32_e32 v59, vcc, 0x1000, v69
	v_addc_co_u32_e32 v60, vcc, 0, v70, vcc
	global_load_dwordx2 v[59:60], v[59:60], off offset:1024
.LBB841_423:                            ;   in Loop: Header=BB841_398 Depth=2
	;; [unrolled: 12-line block ×6, first 2 shown]
	s_or_b64 exec, exec, s[40:41]
	s_sub_i32 s7, s96, s92
	v_cmp_gt_u32_e64 s[40:41], s91, v170
.LBB841_432:                            ;   in Loop: Header=BB841_398 Depth=2
	v_mov_b32_e32 v69, -1
	v_mov_b32_e32 v70, -1
	v_mov_b32_e32 v176, s91
	s_and_saveexec_b64 s[42:43], s[40:41]
	s_cbranch_execz .LBB841_434
; %bb.433:                              ;   in Loop: Header=BB841_398 Depth=2
	s_lshl_b64 s[40:41], s[92:93], 3
	v_mov_b32_e32 v4, s41
	v_add_co_u32_e32 v69, vcc, s40, v171
	v_addc_co_u32_e32 v4, vcc, v172, v4, vcc
	v_add_co_u32_e32 v69, vcc, 0x1000, v69
	v_addc_co_u32_e32 v70, vcc, 0, v4, vcc
	global_load_dwordx2 v[69:70], v[69:70], off offset:3584
	v_mov_b32_e32 v176, s7
	s_waitcnt vmcnt(0)
	v_xor_b32_e32 v70, 0x80000000, v70
.LBB841_434:                            ;   in Loop: Header=BB841_398 Depth=2
	s_or_b64 exec, exec, s[42:43]
	s_waitcnt vmcnt(14)
	v_xor_b32_e32 v42, 0x80000000, v42
	v_lshrrev_b64 v[71:72], s97, v[41:42]
	ds_write2_b32 v92, v3, v3 offset0:132 offset1:133
	ds_write_b32 v92, v3 offset:536
	v_and_b32_e32 v71, s99, v71
	v_and_b32_e32 v4, 1, v71
	v_add_co_u32_e32 v72, vcc, -1, v4
	v_addc_co_u32_e64 v177, s[40:41], 0, -1, vcc
	v_cmp_ne_u32_e32 vcc, 0, v4
	v_xor_b32_e32 v4, vcc_hi, v177
	v_and_b32_e32 v177, exec_hi, v4
	v_lshlrev_b32_e32 v4, 30, v71
	v_xor_b32_e32 v72, vcc_lo, v72
	v_cmp_gt_i64_e32 vcc, 0, v[3:4]
	v_not_b32_e32 v4, v4
	v_ashrrev_i32_e32 v4, 31, v4
	v_and_b32_e32 v72, exec_lo, v72
	v_xor_b32_e32 v179, vcc_hi, v4
	v_xor_b32_e32 v4, vcc_lo, v4
	v_and_b32_e32 v72, v72, v4
	v_lshlrev_b32_e32 v4, 29, v71
	v_cmp_gt_i64_e32 vcc, 0, v[3:4]
	v_not_b32_e32 v4, v4
	v_ashrrev_i32_e32 v4, 31, v4
	v_and_b32_e32 v177, v177, v179
	v_xor_b32_e32 v179, vcc_hi, v4
	v_xor_b32_e32 v4, vcc_lo, v4
	v_and_b32_e32 v72, v72, v4
	v_lshlrev_b32_e32 v4, 28, v71
	v_cmp_gt_i64_e32 vcc, 0, v[3:4]
	v_not_b32_e32 v4, v4
	v_ashrrev_i32_e32 v4, 31, v4
	v_and_b32_e32 v177, v177, v179
	;; [unrolled: 8-line block ×4, first 2 shown]
	v_xor_b32_e32 v179, vcc_hi, v4
	v_xor_b32_e32 v4, vcc_lo, v4
	v_and_b32_e32 v177, v177, v179
	v_and_b32_e32 v179, v72, v4
	v_lshlrev_b32_e32 v4, 25, v71
	v_cmp_gt_i64_e32 vcc, 0, v[3:4]
	v_not_b32_e32 v4, v4
	v_ashrrev_i32_e32 v4, 31, v4
	v_mul_u32_u24_e32 v178, 20, v71
	v_xor_b32_e32 v71, vcc_hi, v4
	v_xor_b32_e32 v4, vcc_lo, v4
	v_and_b32_e32 v72, v177, v71
	v_and_b32_e32 v71, v179, v4
	v_mbcnt_lo_u32_b32 v4, v71, 0
	v_mbcnt_hi_u32_b32 v177, v72, v4
	v_cmp_ne_u64_e32 vcc, 0, v[71:72]
	v_cmp_eq_u32_e64 s[40:41], 0, v177
	s_and_b64 s[42:43], vcc, s[40:41]
	v_add_u32_e32 v179, v173, v178
	s_waitcnt vmcnt(0) lgkmcnt(0)
	s_barrier
	; wave barrier
	s_and_saveexec_b64 s[40:41], s[42:43]
; %bb.435:                              ;   in Loop: Header=BB841_398 Depth=2
	v_bcnt_u32_b32 v4, v71, 0
	v_bcnt_u32_b32 v4, v72, v4
	ds_write_b32 v179, v4 offset:528
; %bb.436:                              ;   in Loop: Header=BB841_398 Depth=2
	s_or_b64 exec, exec, s[40:41]
	v_xor_b32_e32 v40, 0x80000000, v40
	v_lshrrev_b64 v[71:72], s97, v[39:40]
	v_and_b32_e32 v71, s99, v71
	v_mad_u32_u24 v4, v71, 20, v173
	; wave barrier
	ds_read_b32 v178, v4 offset:528
	v_and_b32_e32 v4, 1, v71
	v_add_co_u32_e32 v72, vcc, -1, v4
	v_addc_co_u32_e64 v180, s[40:41], 0, -1, vcc
	v_cmp_ne_u32_e32 vcc, 0, v4
	v_xor_b32_e32 v4, vcc_hi, v180
	v_and_b32_e32 v180, exec_hi, v4
	v_lshlrev_b32_e32 v4, 30, v71
	v_xor_b32_e32 v72, vcc_lo, v72
	v_cmp_gt_i64_e32 vcc, 0, v[3:4]
	v_not_b32_e32 v4, v4
	v_ashrrev_i32_e32 v4, 31, v4
	v_and_b32_e32 v72, exec_lo, v72
	v_xor_b32_e32 v182, vcc_hi, v4
	v_xor_b32_e32 v4, vcc_lo, v4
	v_and_b32_e32 v72, v72, v4
	v_lshlrev_b32_e32 v4, 29, v71
	v_cmp_gt_i64_e32 vcc, 0, v[3:4]
	v_not_b32_e32 v4, v4
	v_ashrrev_i32_e32 v4, 31, v4
	v_and_b32_e32 v180, v180, v182
	v_xor_b32_e32 v182, vcc_hi, v4
	v_xor_b32_e32 v4, vcc_lo, v4
	v_and_b32_e32 v72, v72, v4
	v_lshlrev_b32_e32 v4, 28, v71
	v_cmp_gt_i64_e32 vcc, 0, v[3:4]
	v_not_b32_e32 v4, v4
	v_ashrrev_i32_e32 v4, 31, v4
	v_and_b32_e32 v180, v180, v182
	v_xor_b32_e32 v182, vcc_hi, v4
	v_xor_b32_e32 v4, vcc_lo, v4
	v_and_b32_e32 v72, v72, v4
	v_lshlrev_b32_e32 v4, 27, v71
	v_cmp_gt_i64_e32 vcc, 0, v[3:4]
	v_not_b32_e32 v4, v4
	v_ashrrev_i32_e32 v4, 31, v4
	v_and_b32_e32 v180, v180, v182
	v_xor_b32_e32 v182, vcc_hi, v4
	v_xor_b32_e32 v4, vcc_lo, v4
	v_and_b32_e32 v72, v72, v4
	v_lshlrev_b32_e32 v4, 26, v71
	v_cmp_gt_i64_e32 vcc, 0, v[3:4]
	v_not_b32_e32 v4, v4
	v_ashrrev_i32_e32 v4, 31, v4
	v_and_b32_e32 v180, v180, v182
	v_xor_b32_e32 v182, vcc_hi, v4
	v_xor_b32_e32 v4, vcc_lo, v4
	v_and_b32_e32 v180, v180, v182
	v_and_b32_e32 v182, v72, v4
	v_lshlrev_b32_e32 v4, 25, v71
	v_cmp_gt_i64_e32 vcc, 0, v[3:4]
	v_not_b32_e32 v4, v4
	v_ashrrev_i32_e32 v4, 31, v4
	v_mul_u32_u24_e32 v181, 20, v71
	v_xor_b32_e32 v71, vcc_hi, v4
	v_xor_b32_e32 v4, vcc_lo, v4
	v_and_b32_e32 v72, v180, v71
	v_and_b32_e32 v71, v182, v4
	v_mbcnt_lo_u32_b32 v4, v71, 0
	v_mbcnt_hi_u32_b32 v180, v72, v4
	v_cmp_ne_u64_e32 vcc, 0, v[71:72]
	v_cmp_eq_u32_e64 s[40:41], 0, v180
	s_and_b64 s[42:43], vcc, s[40:41]
	v_add_u32_e32 v182, v173, v181
	; wave barrier
	s_and_saveexec_b64 s[40:41], s[42:43]
	s_cbranch_execz .LBB841_438
; %bb.437:                              ;   in Loop: Header=BB841_398 Depth=2
	v_bcnt_u32_b32 v4, v71, 0
	v_bcnt_u32_b32 v4, v72, v4
	s_waitcnt lgkmcnt(0)
	v_add_u32_e32 v4, v178, v4
	ds_write_b32 v182, v4 offset:528
.LBB841_438:                            ;   in Loop: Header=BB841_398 Depth=2
	s_or_b64 exec, exec, s[40:41]
	v_xor_b32_e32 v44, 0x80000000, v44
	v_lshrrev_b64 v[71:72], s97, v[43:44]
	v_and_b32_e32 v71, s99, v71
	v_mad_u32_u24 v4, v71, 20, v173
	; wave barrier
	ds_read_b32 v181, v4 offset:528
	v_and_b32_e32 v4, 1, v71
	v_add_co_u32_e32 v72, vcc, -1, v4
	v_addc_co_u32_e64 v183, s[40:41], 0, -1, vcc
	v_cmp_ne_u32_e32 vcc, 0, v4
	v_xor_b32_e32 v4, vcc_hi, v183
	v_and_b32_e32 v183, exec_hi, v4
	v_lshlrev_b32_e32 v4, 30, v71
	v_xor_b32_e32 v72, vcc_lo, v72
	v_cmp_gt_i64_e32 vcc, 0, v[3:4]
	v_not_b32_e32 v4, v4
	v_ashrrev_i32_e32 v4, 31, v4
	v_and_b32_e32 v72, exec_lo, v72
	v_xor_b32_e32 v185, vcc_hi, v4
	v_xor_b32_e32 v4, vcc_lo, v4
	v_and_b32_e32 v72, v72, v4
	v_lshlrev_b32_e32 v4, 29, v71
	v_cmp_gt_i64_e32 vcc, 0, v[3:4]
	v_not_b32_e32 v4, v4
	v_ashrrev_i32_e32 v4, 31, v4
	v_and_b32_e32 v183, v183, v185
	v_xor_b32_e32 v185, vcc_hi, v4
	v_xor_b32_e32 v4, vcc_lo, v4
	v_and_b32_e32 v72, v72, v4
	v_lshlrev_b32_e32 v4, 28, v71
	v_cmp_gt_i64_e32 vcc, 0, v[3:4]
	v_not_b32_e32 v4, v4
	v_ashrrev_i32_e32 v4, 31, v4
	v_and_b32_e32 v183, v183, v185
	;; [unrolled: 8-line block ×4, first 2 shown]
	v_xor_b32_e32 v185, vcc_hi, v4
	v_xor_b32_e32 v4, vcc_lo, v4
	v_and_b32_e32 v183, v183, v185
	v_and_b32_e32 v185, v72, v4
	v_lshlrev_b32_e32 v4, 25, v71
	v_cmp_gt_i64_e32 vcc, 0, v[3:4]
	v_not_b32_e32 v4, v4
	v_ashrrev_i32_e32 v4, 31, v4
	v_mul_u32_u24_e32 v184, 20, v71
	v_xor_b32_e32 v71, vcc_hi, v4
	v_xor_b32_e32 v4, vcc_lo, v4
	v_and_b32_e32 v72, v183, v71
	v_and_b32_e32 v71, v185, v4
	v_mbcnt_lo_u32_b32 v4, v71, 0
	v_mbcnt_hi_u32_b32 v183, v72, v4
	v_cmp_ne_u64_e32 vcc, 0, v[71:72]
	v_cmp_eq_u32_e64 s[40:41], 0, v183
	s_and_b64 s[42:43], vcc, s[40:41]
	v_add_u32_e32 v185, v173, v184
	; wave barrier
	s_and_saveexec_b64 s[40:41], s[42:43]
	s_cbranch_execz .LBB841_440
; %bb.439:                              ;   in Loop: Header=BB841_398 Depth=2
	v_bcnt_u32_b32 v4, v71, 0
	v_bcnt_u32_b32 v4, v72, v4
	s_waitcnt lgkmcnt(0)
	v_add_u32_e32 v4, v181, v4
	ds_write_b32 v185, v4 offset:528
.LBB841_440:                            ;   in Loop: Header=BB841_398 Depth=2
	s_or_b64 exec, exec, s[40:41]
	v_xor_b32_e32 v46, 0x80000000, v46
	v_lshrrev_b64 v[71:72], s97, v[45:46]
	v_and_b32_e32 v71, s99, v71
	v_mad_u32_u24 v4, v71, 20, v173
	; wave barrier
	ds_read_b32 v184, v4 offset:528
	v_and_b32_e32 v4, 1, v71
	v_add_co_u32_e32 v72, vcc, -1, v4
	v_addc_co_u32_e64 v186, s[40:41], 0, -1, vcc
	v_cmp_ne_u32_e32 vcc, 0, v4
	v_xor_b32_e32 v4, vcc_hi, v186
	v_and_b32_e32 v186, exec_hi, v4
	v_lshlrev_b32_e32 v4, 30, v71
	v_xor_b32_e32 v72, vcc_lo, v72
	v_cmp_gt_i64_e32 vcc, 0, v[3:4]
	v_not_b32_e32 v4, v4
	v_ashrrev_i32_e32 v4, 31, v4
	v_and_b32_e32 v72, exec_lo, v72
	v_xor_b32_e32 v188, vcc_hi, v4
	v_xor_b32_e32 v4, vcc_lo, v4
	v_and_b32_e32 v72, v72, v4
	v_lshlrev_b32_e32 v4, 29, v71
	v_cmp_gt_i64_e32 vcc, 0, v[3:4]
	v_not_b32_e32 v4, v4
	v_ashrrev_i32_e32 v4, 31, v4
	v_and_b32_e32 v186, v186, v188
	v_xor_b32_e32 v188, vcc_hi, v4
	v_xor_b32_e32 v4, vcc_lo, v4
	v_and_b32_e32 v72, v72, v4
	v_lshlrev_b32_e32 v4, 28, v71
	v_cmp_gt_i64_e32 vcc, 0, v[3:4]
	v_not_b32_e32 v4, v4
	v_ashrrev_i32_e32 v4, 31, v4
	v_and_b32_e32 v186, v186, v188
	;; [unrolled: 8-line block ×4, first 2 shown]
	v_xor_b32_e32 v188, vcc_hi, v4
	v_xor_b32_e32 v4, vcc_lo, v4
	v_and_b32_e32 v186, v186, v188
	v_and_b32_e32 v188, v72, v4
	v_lshlrev_b32_e32 v4, 25, v71
	v_cmp_gt_i64_e32 vcc, 0, v[3:4]
	v_not_b32_e32 v4, v4
	v_ashrrev_i32_e32 v4, 31, v4
	v_mul_u32_u24_e32 v187, 20, v71
	v_xor_b32_e32 v71, vcc_hi, v4
	v_xor_b32_e32 v4, vcc_lo, v4
	v_and_b32_e32 v72, v186, v71
	v_and_b32_e32 v71, v188, v4
	v_mbcnt_lo_u32_b32 v4, v71, 0
	v_mbcnt_hi_u32_b32 v186, v72, v4
	v_cmp_ne_u64_e32 vcc, 0, v[71:72]
	v_cmp_eq_u32_e64 s[40:41], 0, v186
	s_and_b64 s[42:43], vcc, s[40:41]
	v_add_u32_e32 v188, v173, v187
	; wave barrier
	s_and_saveexec_b64 s[40:41], s[42:43]
	s_cbranch_execz .LBB841_442
; %bb.441:                              ;   in Loop: Header=BB841_398 Depth=2
	v_bcnt_u32_b32 v4, v71, 0
	v_bcnt_u32_b32 v4, v72, v4
	s_waitcnt lgkmcnt(0)
	v_add_u32_e32 v4, v184, v4
	ds_write_b32 v188, v4 offset:528
.LBB841_442:                            ;   in Loop: Header=BB841_398 Depth=2
	s_or_b64 exec, exec, s[40:41]
	v_xor_b32_e32 v48, 0x80000000, v48
	v_lshrrev_b64 v[71:72], s97, v[47:48]
	v_and_b32_e32 v71, s99, v71
	v_mad_u32_u24 v4, v71, 20, v173
	; wave barrier
	ds_read_b32 v187, v4 offset:528
	v_and_b32_e32 v4, 1, v71
	v_add_co_u32_e32 v72, vcc, -1, v4
	v_addc_co_u32_e64 v189, s[40:41], 0, -1, vcc
	v_cmp_ne_u32_e32 vcc, 0, v4
	v_xor_b32_e32 v4, vcc_hi, v189
	v_and_b32_e32 v189, exec_hi, v4
	v_lshlrev_b32_e32 v4, 30, v71
	v_xor_b32_e32 v72, vcc_lo, v72
	v_cmp_gt_i64_e32 vcc, 0, v[3:4]
	v_not_b32_e32 v4, v4
	v_ashrrev_i32_e32 v4, 31, v4
	v_and_b32_e32 v72, exec_lo, v72
	v_xor_b32_e32 v191, vcc_hi, v4
	v_xor_b32_e32 v4, vcc_lo, v4
	v_and_b32_e32 v72, v72, v4
	v_lshlrev_b32_e32 v4, 29, v71
	v_cmp_gt_i64_e32 vcc, 0, v[3:4]
	v_not_b32_e32 v4, v4
	v_ashrrev_i32_e32 v4, 31, v4
	v_and_b32_e32 v189, v189, v191
	v_xor_b32_e32 v191, vcc_hi, v4
	v_xor_b32_e32 v4, vcc_lo, v4
	v_and_b32_e32 v72, v72, v4
	v_lshlrev_b32_e32 v4, 28, v71
	v_cmp_gt_i64_e32 vcc, 0, v[3:4]
	v_not_b32_e32 v4, v4
	v_ashrrev_i32_e32 v4, 31, v4
	v_and_b32_e32 v189, v189, v191
	;; [unrolled: 8-line block ×4, first 2 shown]
	v_xor_b32_e32 v191, vcc_hi, v4
	v_xor_b32_e32 v4, vcc_lo, v4
	v_and_b32_e32 v189, v189, v191
	v_and_b32_e32 v191, v72, v4
	v_lshlrev_b32_e32 v4, 25, v71
	v_cmp_gt_i64_e32 vcc, 0, v[3:4]
	v_not_b32_e32 v4, v4
	v_ashrrev_i32_e32 v4, 31, v4
	v_mul_u32_u24_e32 v190, 20, v71
	v_xor_b32_e32 v71, vcc_hi, v4
	v_xor_b32_e32 v4, vcc_lo, v4
	v_and_b32_e32 v72, v189, v71
	v_and_b32_e32 v71, v191, v4
	v_mbcnt_lo_u32_b32 v4, v71, 0
	v_mbcnt_hi_u32_b32 v189, v72, v4
	v_cmp_ne_u64_e32 vcc, 0, v[71:72]
	v_cmp_eq_u32_e64 s[40:41], 0, v189
	s_and_b64 s[42:43], vcc, s[40:41]
	v_add_u32_e32 v191, v173, v190
	; wave barrier
	s_and_saveexec_b64 s[40:41], s[42:43]
	s_cbranch_execz .LBB841_444
; %bb.443:                              ;   in Loop: Header=BB841_398 Depth=2
	v_bcnt_u32_b32 v4, v71, 0
	v_bcnt_u32_b32 v4, v72, v4
	s_waitcnt lgkmcnt(0)
	v_add_u32_e32 v4, v187, v4
	ds_write_b32 v191, v4 offset:528
.LBB841_444:                            ;   in Loop: Header=BB841_398 Depth=2
	s_or_b64 exec, exec, s[40:41]
	v_xor_b32_e32 v50, 0x80000000, v50
	v_lshrrev_b64 v[71:72], s97, v[49:50]
	v_and_b32_e32 v71, s99, v71
	v_mad_u32_u24 v4, v71, 20, v173
	; wave barrier
	ds_read_b32 v190, v4 offset:528
	v_and_b32_e32 v4, 1, v71
	v_add_co_u32_e32 v72, vcc, -1, v4
	v_addc_co_u32_e64 v192, s[40:41], 0, -1, vcc
	v_cmp_ne_u32_e32 vcc, 0, v4
	v_xor_b32_e32 v4, vcc_hi, v192
	v_and_b32_e32 v192, exec_hi, v4
	v_lshlrev_b32_e32 v4, 30, v71
	v_xor_b32_e32 v72, vcc_lo, v72
	v_cmp_gt_i64_e32 vcc, 0, v[3:4]
	v_not_b32_e32 v4, v4
	v_ashrrev_i32_e32 v4, 31, v4
	v_and_b32_e32 v72, exec_lo, v72
	v_xor_b32_e32 v194, vcc_hi, v4
	v_xor_b32_e32 v4, vcc_lo, v4
	v_and_b32_e32 v72, v72, v4
	v_lshlrev_b32_e32 v4, 29, v71
	v_cmp_gt_i64_e32 vcc, 0, v[3:4]
	v_not_b32_e32 v4, v4
	v_ashrrev_i32_e32 v4, 31, v4
	v_and_b32_e32 v192, v192, v194
	v_xor_b32_e32 v194, vcc_hi, v4
	v_xor_b32_e32 v4, vcc_lo, v4
	v_and_b32_e32 v72, v72, v4
	v_lshlrev_b32_e32 v4, 28, v71
	v_cmp_gt_i64_e32 vcc, 0, v[3:4]
	v_not_b32_e32 v4, v4
	v_ashrrev_i32_e32 v4, 31, v4
	v_and_b32_e32 v192, v192, v194
	;; [unrolled: 8-line block ×4, first 2 shown]
	v_xor_b32_e32 v194, vcc_hi, v4
	v_xor_b32_e32 v4, vcc_lo, v4
	v_and_b32_e32 v192, v192, v194
	v_and_b32_e32 v194, v72, v4
	v_lshlrev_b32_e32 v4, 25, v71
	v_cmp_gt_i64_e32 vcc, 0, v[3:4]
	v_not_b32_e32 v4, v4
	v_ashrrev_i32_e32 v4, 31, v4
	v_mul_u32_u24_e32 v193, 20, v71
	v_xor_b32_e32 v71, vcc_hi, v4
	v_xor_b32_e32 v4, vcc_lo, v4
	v_and_b32_e32 v72, v192, v71
	v_and_b32_e32 v71, v194, v4
	v_mbcnt_lo_u32_b32 v4, v71, 0
	v_mbcnt_hi_u32_b32 v192, v72, v4
	v_cmp_ne_u64_e32 vcc, 0, v[71:72]
	v_cmp_eq_u32_e64 s[40:41], 0, v192
	s_and_b64 s[42:43], vcc, s[40:41]
	v_add_u32_e32 v194, v173, v193
	; wave barrier
	s_and_saveexec_b64 s[40:41], s[42:43]
	s_cbranch_execz .LBB841_446
; %bb.445:                              ;   in Loop: Header=BB841_398 Depth=2
	v_bcnt_u32_b32 v4, v71, 0
	v_bcnt_u32_b32 v4, v72, v4
	s_waitcnt lgkmcnt(0)
	v_add_u32_e32 v4, v190, v4
	ds_write_b32 v194, v4 offset:528
.LBB841_446:                            ;   in Loop: Header=BB841_398 Depth=2
	s_or_b64 exec, exec, s[40:41]
	v_xor_b32_e32 v52, 0x80000000, v52
	v_lshrrev_b64 v[71:72], s97, v[51:52]
	v_and_b32_e32 v71, s99, v71
	v_mad_u32_u24 v4, v71, 20, v173
	; wave barrier
	ds_read_b32 v193, v4 offset:528
	v_and_b32_e32 v4, 1, v71
	v_add_co_u32_e32 v72, vcc, -1, v4
	v_addc_co_u32_e64 v195, s[40:41], 0, -1, vcc
	v_cmp_ne_u32_e32 vcc, 0, v4
	v_xor_b32_e32 v4, vcc_hi, v195
	v_and_b32_e32 v195, exec_hi, v4
	v_lshlrev_b32_e32 v4, 30, v71
	v_xor_b32_e32 v72, vcc_lo, v72
	v_cmp_gt_i64_e32 vcc, 0, v[3:4]
	v_not_b32_e32 v4, v4
	v_ashrrev_i32_e32 v4, 31, v4
	v_and_b32_e32 v72, exec_lo, v72
	v_xor_b32_e32 v197, vcc_hi, v4
	v_xor_b32_e32 v4, vcc_lo, v4
	v_and_b32_e32 v72, v72, v4
	v_lshlrev_b32_e32 v4, 29, v71
	v_cmp_gt_i64_e32 vcc, 0, v[3:4]
	v_not_b32_e32 v4, v4
	v_ashrrev_i32_e32 v4, 31, v4
	v_and_b32_e32 v195, v195, v197
	v_xor_b32_e32 v197, vcc_hi, v4
	v_xor_b32_e32 v4, vcc_lo, v4
	v_and_b32_e32 v72, v72, v4
	v_lshlrev_b32_e32 v4, 28, v71
	v_cmp_gt_i64_e32 vcc, 0, v[3:4]
	v_not_b32_e32 v4, v4
	v_ashrrev_i32_e32 v4, 31, v4
	v_and_b32_e32 v195, v195, v197
	;; [unrolled: 8-line block ×4, first 2 shown]
	v_xor_b32_e32 v197, vcc_hi, v4
	v_xor_b32_e32 v4, vcc_lo, v4
	v_and_b32_e32 v195, v195, v197
	v_and_b32_e32 v197, v72, v4
	v_lshlrev_b32_e32 v4, 25, v71
	v_cmp_gt_i64_e32 vcc, 0, v[3:4]
	v_not_b32_e32 v4, v4
	v_ashrrev_i32_e32 v4, 31, v4
	v_mul_u32_u24_e32 v196, 20, v71
	v_xor_b32_e32 v71, vcc_hi, v4
	v_xor_b32_e32 v4, vcc_lo, v4
	v_and_b32_e32 v72, v195, v71
	v_and_b32_e32 v71, v197, v4
	v_mbcnt_lo_u32_b32 v4, v71, 0
	v_mbcnt_hi_u32_b32 v195, v72, v4
	v_cmp_ne_u64_e32 vcc, 0, v[71:72]
	v_cmp_eq_u32_e64 s[40:41], 0, v195
	s_and_b64 s[42:43], vcc, s[40:41]
	v_add_u32_e32 v197, v173, v196
	; wave barrier
	s_and_saveexec_b64 s[40:41], s[42:43]
	s_cbranch_execz .LBB841_448
; %bb.447:                              ;   in Loop: Header=BB841_398 Depth=2
	v_bcnt_u32_b32 v4, v71, 0
	v_bcnt_u32_b32 v4, v72, v4
	s_waitcnt lgkmcnt(0)
	v_add_u32_e32 v4, v193, v4
	ds_write_b32 v197, v4 offset:528
.LBB841_448:                            ;   in Loop: Header=BB841_398 Depth=2
	s_or_b64 exec, exec, s[40:41]
	v_xor_b32_e32 v54, 0x80000000, v54
	v_lshrrev_b64 v[71:72], s97, v[53:54]
	v_and_b32_e32 v71, s99, v71
	v_mad_u32_u24 v4, v71, 20, v173
	; wave barrier
	ds_read_b32 v196, v4 offset:528
	v_and_b32_e32 v4, 1, v71
	v_add_co_u32_e32 v72, vcc, -1, v4
	v_addc_co_u32_e64 v198, s[40:41], 0, -1, vcc
	v_cmp_ne_u32_e32 vcc, 0, v4
	v_xor_b32_e32 v4, vcc_hi, v198
	v_and_b32_e32 v198, exec_hi, v4
	v_lshlrev_b32_e32 v4, 30, v71
	v_xor_b32_e32 v72, vcc_lo, v72
	v_cmp_gt_i64_e32 vcc, 0, v[3:4]
	v_not_b32_e32 v4, v4
	v_ashrrev_i32_e32 v4, 31, v4
	v_and_b32_e32 v72, exec_lo, v72
	v_xor_b32_e32 v200, vcc_hi, v4
	v_xor_b32_e32 v4, vcc_lo, v4
	v_and_b32_e32 v72, v72, v4
	v_lshlrev_b32_e32 v4, 29, v71
	v_cmp_gt_i64_e32 vcc, 0, v[3:4]
	v_not_b32_e32 v4, v4
	v_ashrrev_i32_e32 v4, 31, v4
	v_and_b32_e32 v198, v198, v200
	v_xor_b32_e32 v200, vcc_hi, v4
	v_xor_b32_e32 v4, vcc_lo, v4
	v_and_b32_e32 v72, v72, v4
	v_lshlrev_b32_e32 v4, 28, v71
	v_cmp_gt_i64_e32 vcc, 0, v[3:4]
	v_not_b32_e32 v4, v4
	v_ashrrev_i32_e32 v4, 31, v4
	v_and_b32_e32 v198, v198, v200
	;; [unrolled: 8-line block ×4, first 2 shown]
	v_xor_b32_e32 v200, vcc_hi, v4
	v_xor_b32_e32 v4, vcc_lo, v4
	v_and_b32_e32 v198, v198, v200
	v_and_b32_e32 v200, v72, v4
	v_lshlrev_b32_e32 v4, 25, v71
	v_cmp_gt_i64_e32 vcc, 0, v[3:4]
	v_not_b32_e32 v4, v4
	v_ashrrev_i32_e32 v4, 31, v4
	v_mul_u32_u24_e32 v199, 20, v71
	v_xor_b32_e32 v71, vcc_hi, v4
	v_xor_b32_e32 v4, vcc_lo, v4
	v_and_b32_e32 v72, v198, v71
	v_and_b32_e32 v71, v200, v4
	v_mbcnt_lo_u32_b32 v4, v71, 0
	v_mbcnt_hi_u32_b32 v198, v72, v4
	v_cmp_ne_u64_e32 vcc, 0, v[71:72]
	v_cmp_eq_u32_e64 s[40:41], 0, v198
	s_and_b64 s[42:43], vcc, s[40:41]
	v_add_u32_e32 v200, v173, v199
	; wave barrier
	s_and_saveexec_b64 s[40:41], s[42:43]
	s_cbranch_execz .LBB841_450
; %bb.449:                              ;   in Loop: Header=BB841_398 Depth=2
	v_bcnt_u32_b32 v4, v71, 0
	v_bcnt_u32_b32 v4, v72, v4
	s_waitcnt lgkmcnt(0)
	v_add_u32_e32 v4, v196, v4
	ds_write_b32 v200, v4 offset:528
.LBB841_450:                            ;   in Loop: Header=BB841_398 Depth=2
	s_or_b64 exec, exec, s[40:41]
	v_xor_b32_e32 v56, 0x80000000, v56
	v_lshrrev_b64 v[71:72], s97, v[55:56]
	v_and_b32_e32 v71, s99, v71
	v_mad_u32_u24 v4, v71, 20, v173
	; wave barrier
	ds_read_b32 v199, v4 offset:528
	v_and_b32_e32 v4, 1, v71
	v_add_co_u32_e32 v72, vcc, -1, v4
	v_addc_co_u32_e64 v201, s[40:41], 0, -1, vcc
	v_cmp_ne_u32_e32 vcc, 0, v4
	v_xor_b32_e32 v4, vcc_hi, v201
	v_and_b32_e32 v201, exec_hi, v4
	v_lshlrev_b32_e32 v4, 30, v71
	v_xor_b32_e32 v72, vcc_lo, v72
	v_cmp_gt_i64_e32 vcc, 0, v[3:4]
	v_not_b32_e32 v4, v4
	v_ashrrev_i32_e32 v4, 31, v4
	v_and_b32_e32 v72, exec_lo, v72
	v_xor_b32_e32 v203, vcc_hi, v4
	v_xor_b32_e32 v4, vcc_lo, v4
	v_and_b32_e32 v72, v72, v4
	v_lshlrev_b32_e32 v4, 29, v71
	v_cmp_gt_i64_e32 vcc, 0, v[3:4]
	v_not_b32_e32 v4, v4
	v_ashrrev_i32_e32 v4, 31, v4
	v_and_b32_e32 v201, v201, v203
	v_xor_b32_e32 v203, vcc_hi, v4
	v_xor_b32_e32 v4, vcc_lo, v4
	v_and_b32_e32 v72, v72, v4
	v_lshlrev_b32_e32 v4, 28, v71
	v_cmp_gt_i64_e32 vcc, 0, v[3:4]
	v_not_b32_e32 v4, v4
	v_ashrrev_i32_e32 v4, 31, v4
	v_and_b32_e32 v201, v201, v203
	;; [unrolled: 8-line block ×4, first 2 shown]
	v_xor_b32_e32 v203, vcc_hi, v4
	v_xor_b32_e32 v4, vcc_lo, v4
	v_and_b32_e32 v201, v201, v203
	v_and_b32_e32 v203, v72, v4
	v_lshlrev_b32_e32 v4, 25, v71
	v_cmp_gt_i64_e32 vcc, 0, v[3:4]
	v_not_b32_e32 v4, v4
	v_ashrrev_i32_e32 v4, 31, v4
	v_mul_u32_u24_e32 v202, 20, v71
	v_xor_b32_e32 v71, vcc_hi, v4
	v_xor_b32_e32 v4, vcc_lo, v4
	v_and_b32_e32 v72, v201, v71
	v_and_b32_e32 v71, v203, v4
	v_mbcnt_lo_u32_b32 v4, v71, 0
	v_mbcnt_hi_u32_b32 v201, v72, v4
	v_cmp_ne_u64_e32 vcc, 0, v[71:72]
	v_cmp_eq_u32_e64 s[40:41], 0, v201
	s_and_b64 s[42:43], vcc, s[40:41]
	v_add_u32_e32 v203, v173, v202
	; wave barrier
	s_and_saveexec_b64 s[40:41], s[42:43]
	s_cbranch_execz .LBB841_452
; %bb.451:                              ;   in Loop: Header=BB841_398 Depth=2
	v_bcnt_u32_b32 v4, v71, 0
	v_bcnt_u32_b32 v4, v72, v4
	s_waitcnt lgkmcnt(0)
	v_add_u32_e32 v4, v199, v4
	ds_write_b32 v203, v4 offset:528
.LBB841_452:                            ;   in Loop: Header=BB841_398 Depth=2
	s_or_b64 exec, exec, s[40:41]
	v_xor_b32_e32 v58, 0x80000000, v58
	v_lshrrev_b64 v[71:72], s97, v[57:58]
	v_and_b32_e32 v71, s99, v71
	v_mad_u32_u24 v4, v71, 20, v173
	; wave barrier
	ds_read_b32 v202, v4 offset:528
	v_and_b32_e32 v4, 1, v71
	v_add_co_u32_e32 v72, vcc, -1, v4
	v_addc_co_u32_e64 v204, s[40:41], 0, -1, vcc
	v_cmp_ne_u32_e32 vcc, 0, v4
	v_xor_b32_e32 v4, vcc_hi, v204
	v_and_b32_e32 v204, exec_hi, v4
	v_lshlrev_b32_e32 v4, 30, v71
	v_xor_b32_e32 v72, vcc_lo, v72
	v_cmp_gt_i64_e32 vcc, 0, v[3:4]
	v_not_b32_e32 v4, v4
	v_ashrrev_i32_e32 v4, 31, v4
	v_and_b32_e32 v72, exec_lo, v72
	v_xor_b32_e32 v206, vcc_hi, v4
	v_xor_b32_e32 v4, vcc_lo, v4
	v_and_b32_e32 v72, v72, v4
	v_lshlrev_b32_e32 v4, 29, v71
	v_cmp_gt_i64_e32 vcc, 0, v[3:4]
	v_not_b32_e32 v4, v4
	v_ashrrev_i32_e32 v4, 31, v4
	v_and_b32_e32 v204, v204, v206
	v_xor_b32_e32 v206, vcc_hi, v4
	v_xor_b32_e32 v4, vcc_lo, v4
	v_and_b32_e32 v72, v72, v4
	v_lshlrev_b32_e32 v4, 28, v71
	v_cmp_gt_i64_e32 vcc, 0, v[3:4]
	v_not_b32_e32 v4, v4
	v_ashrrev_i32_e32 v4, 31, v4
	v_and_b32_e32 v204, v204, v206
	;; [unrolled: 8-line block ×4, first 2 shown]
	v_xor_b32_e32 v206, vcc_hi, v4
	v_xor_b32_e32 v4, vcc_lo, v4
	v_and_b32_e32 v204, v204, v206
	v_and_b32_e32 v206, v72, v4
	v_lshlrev_b32_e32 v4, 25, v71
	v_cmp_gt_i64_e32 vcc, 0, v[3:4]
	v_not_b32_e32 v4, v4
	v_ashrrev_i32_e32 v4, 31, v4
	v_mul_u32_u24_e32 v205, 20, v71
	v_xor_b32_e32 v71, vcc_hi, v4
	v_xor_b32_e32 v4, vcc_lo, v4
	v_and_b32_e32 v72, v204, v71
	v_and_b32_e32 v71, v206, v4
	v_mbcnt_lo_u32_b32 v4, v71, 0
	v_mbcnt_hi_u32_b32 v204, v72, v4
	v_cmp_ne_u64_e32 vcc, 0, v[71:72]
	v_cmp_eq_u32_e64 s[40:41], 0, v204
	s_and_b64 s[42:43], vcc, s[40:41]
	v_add_u32_e32 v207, v173, v205
	; wave barrier
	s_and_saveexec_b64 s[40:41], s[42:43]
	s_cbranch_execz .LBB841_454
; %bb.453:                              ;   in Loop: Header=BB841_398 Depth=2
	v_bcnt_u32_b32 v4, v71, 0
	v_bcnt_u32_b32 v4, v72, v4
	s_waitcnt lgkmcnt(0)
	v_add_u32_e32 v4, v202, v4
	ds_write_b32 v207, v4 offset:528
.LBB841_454:                            ;   in Loop: Header=BB841_398 Depth=2
	s_or_b64 exec, exec, s[40:41]
	v_xor_b32_e32 v60, 0x80000000, v60
	v_lshrrev_b64 v[71:72], s97, v[59:60]
	v_and_b32_e32 v71, s99, v71
	v_mad_u32_u24 v4, v71, 20, v173
	; wave barrier
	ds_read_b32 v205, v4 offset:528
	v_and_b32_e32 v4, 1, v71
	v_add_co_u32_e32 v72, vcc, -1, v4
	v_addc_co_u32_e64 v206, s[40:41], 0, -1, vcc
	v_cmp_ne_u32_e32 vcc, 0, v4
	v_xor_b32_e32 v4, vcc_hi, v206
	v_and_b32_e32 v206, exec_hi, v4
	v_lshlrev_b32_e32 v4, 30, v71
	v_xor_b32_e32 v72, vcc_lo, v72
	v_cmp_gt_i64_e32 vcc, 0, v[3:4]
	v_not_b32_e32 v4, v4
	v_ashrrev_i32_e32 v4, 31, v4
	v_and_b32_e32 v72, exec_lo, v72
	v_xor_b32_e32 v209, vcc_hi, v4
	v_xor_b32_e32 v4, vcc_lo, v4
	v_and_b32_e32 v72, v72, v4
	v_lshlrev_b32_e32 v4, 29, v71
	v_cmp_gt_i64_e32 vcc, 0, v[3:4]
	v_not_b32_e32 v4, v4
	v_ashrrev_i32_e32 v4, 31, v4
	v_and_b32_e32 v206, v206, v209
	v_xor_b32_e32 v209, vcc_hi, v4
	v_xor_b32_e32 v4, vcc_lo, v4
	v_and_b32_e32 v72, v72, v4
	v_lshlrev_b32_e32 v4, 28, v71
	v_cmp_gt_i64_e32 vcc, 0, v[3:4]
	v_not_b32_e32 v4, v4
	v_ashrrev_i32_e32 v4, 31, v4
	v_and_b32_e32 v206, v206, v209
	;; [unrolled: 8-line block ×4, first 2 shown]
	v_xor_b32_e32 v209, vcc_hi, v4
	v_xor_b32_e32 v4, vcc_lo, v4
	v_and_b32_e32 v206, v206, v209
	v_and_b32_e32 v209, v72, v4
	v_lshlrev_b32_e32 v4, 25, v71
	v_cmp_gt_i64_e32 vcc, 0, v[3:4]
	v_not_b32_e32 v4, v4
	v_ashrrev_i32_e32 v4, 31, v4
	v_mul_u32_u24_e32 v208, 20, v71
	v_xor_b32_e32 v71, vcc_hi, v4
	v_xor_b32_e32 v4, vcc_lo, v4
	v_and_b32_e32 v72, v206, v71
	v_and_b32_e32 v71, v209, v4
	v_mbcnt_lo_u32_b32 v4, v71, 0
	v_mbcnt_hi_u32_b32 v206, v72, v4
	v_cmp_ne_u64_e32 vcc, 0, v[71:72]
	v_cmp_eq_u32_e64 s[40:41], 0, v206
	s_and_b64 s[42:43], vcc, s[40:41]
	v_add_u32_e32 v210, v173, v208
	; wave barrier
	s_and_saveexec_b64 s[40:41], s[42:43]
	s_cbranch_execz .LBB841_456
; %bb.455:                              ;   in Loop: Header=BB841_398 Depth=2
	v_bcnt_u32_b32 v4, v71, 0
	v_bcnt_u32_b32 v4, v72, v4
	s_waitcnt lgkmcnt(0)
	v_add_u32_e32 v4, v205, v4
	ds_write_b32 v210, v4 offset:528
.LBB841_456:                            ;   in Loop: Header=BB841_398 Depth=2
	s_or_b64 exec, exec, s[40:41]
	v_xor_b32_e32 v62, 0x80000000, v62
	v_lshrrev_b64 v[71:72], s97, v[61:62]
	v_and_b32_e32 v71, s99, v71
	v_mad_u32_u24 v4, v71, 20, v173
	; wave barrier
	ds_read_b32 v208, v4 offset:528
	v_and_b32_e32 v4, 1, v71
	v_add_co_u32_e32 v72, vcc, -1, v4
	v_addc_co_u32_e64 v209, s[40:41], 0, -1, vcc
	v_cmp_ne_u32_e32 vcc, 0, v4
	v_xor_b32_e32 v4, vcc_hi, v209
	v_and_b32_e32 v209, exec_hi, v4
	v_lshlrev_b32_e32 v4, 30, v71
	v_xor_b32_e32 v72, vcc_lo, v72
	v_cmp_gt_i64_e32 vcc, 0, v[3:4]
	v_not_b32_e32 v4, v4
	v_ashrrev_i32_e32 v4, 31, v4
	v_and_b32_e32 v72, exec_lo, v72
	v_xor_b32_e32 v212, vcc_hi, v4
	v_xor_b32_e32 v4, vcc_lo, v4
	v_and_b32_e32 v72, v72, v4
	v_lshlrev_b32_e32 v4, 29, v71
	v_cmp_gt_i64_e32 vcc, 0, v[3:4]
	v_not_b32_e32 v4, v4
	v_ashrrev_i32_e32 v4, 31, v4
	v_and_b32_e32 v209, v209, v212
	v_xor_b32_e32 v212, vcc_hi, v4
	v_xor_b32_e32 v4, vcc_lo, v4
	v_and_b32_e32 v72, v72, v4
	v_lshlrev_b32_e32 v4, 28, v71
	v_cmp_gt_i64_e32 vcc, 0, v[3:4]
	v_not_b32_e32 v4, v4
	v_ashrrev_i32_e32 v4, 31, v4
	v_and_b32_e32 v209, v209, v212
	;; [unrolled: 8-line block ×4, first 2 shown]
	v_xor_b32_e32 v212, vcc_hi, v4
	v_xor_b32_e32 v4, vcc_lo, v4
	v_and_b32_e32 v209, v209, v212
	v_and_b32_e32 v212, v72, v4
	v_lshlrev_b32_e32 v4, 25, v71
	v_cmp_gt_i64_e32 vcc, 0, v[3:4]
	v_not_b32_e32 v4, v4
	v_ashrrev_i32_e32 v4, 31, v4
	v_mul_u32_u24_e32 v211, 20, v71
	v_xor_b32_e32 v71, vcc_hi, v4
	v_xor_b32_e32 v4, vcc_lo, v4
	v_and_b32_e32 v72, v209, v71
	v_and_b32_e32 v71, v212, v4
	v_mbcnt_lo_u32_b32 v4, v71, 0
	v_mbcnt_hi_u32_b32 v209, v72, v4
	v_cmp_ne_u64_e32 vcc, 0, v[71:72]
	v_cmp_eq_u32_e64 s[40:41], 0, v209
	s_and_b64 s[42:43], vcc, s[40:41]
	v_add_u32_e32 v213, v173, v211
	; wave barrier
	s_and_saveexec_b64 s[40:41], s[42:43]
	s_cbranch_execz .LBB841_458
; %bb.457:                              ;   in Loop: Header=BB841_398 Depth=2
	v_bcnt_u32_b32 v4, v71, 0
	v_bcnt_u32_b32 v4, v72, v4
	s_waitcnt lgkmcnt(0)
	v_add_u32_e32 v4, v208, v4
	ds_write_b32 v213, v4 offset:528
.LBB841_458:                            ;   in Loop: Header=BB841_398 Depth=2
	s_or_b64 exec, exec, s[40:41]
	v_xor_b32_e32 v64, 0x80000000, v64
	v_lshrrev_b64 v[71:72], s97, v[63:64]
	v_and_b32_e32 v71, s99, v71
	v_mad_u32_u24 v4, v71, 20, v173
	; wave barrier
	ds_read_b32 v211, v4 offset:528
	v_and_b32_e32 v4, 1, v71
	v_add_co_u32_e32 v72, vcc, -1, v4
	v_addc_co_u32_e64 v212, s[40:41], 0, -1, vcc
	v_cmp_ne_u32_e32 vcc, 0, v4
	v_xor_b32_e32 v4, vcc_hi, v212
	v_and_b32_e32 v212, exec_hi, v4
	v_lshlrev_b32_e32 v4, 30, v71
	v_xor_b32_e32 v72, vcc_lo, v72
	v_cmp_gt_i64_e32 vcc, 0, v[3:4]
	v_not_b32_e32 v4, v4
	v_ashrrev_i32_e32 v4, 31, v4
	v_and_b32_e32 v72, exec_lo, v72
	v_xor_b32_e32 v215, vcc_hi, v4
	v_xor_b32_e32 v4, vcc_lo, v4
	v_and_b32_e32 v72, v72, v4
	v_lshlrev_b32_e32 v4, 29, v71
	v_cmp_gt_i64_e32 vcc, 0, v[3:4]
	v_not_b32_e32 v4, v4
	v_ashrrev_i32_e32 v4, 31, v4
	v_and_b32_e32 v212, v212, v215
	v_xor_b32_e32 v215, vcc_hi, v4
	v_xor_b32_e32 v4, vcc_lo, v4
	v_and_b32_e32 v72, v72, v4
	v_lshlrev_b32_e32 v4, 28, v71
	v_cmp_gt_i64_e32 vcc, 0, v[3:4]
	v_not_b32_e32 v4, v4
	v_ashrrev_i32_e32 v4, 31, v4
	v_and_b32_e32 v212, v212, v215
	;; [unrolled: 8-line block ×4, first 2 shown]
	v_xor_b32_e32 v215, vcc_hi, v4
	v_xor_b32_e32 v4, vcc_lo, v4
	v_and_b32_e32 v212, v212, v215
	v_and_b32_e32 v215, v72, v4
	v_lshlrev_b32_e32 v4, 25, v71
	v_cmp_gt_i64_e32 vcc, 0, v[3:4]
	v_not_b32_e32 v4, v4
	v_ashrrev_i32_e32 v4, 31, v4
	v_mul_u32_u24_e32 v214, 20, v71
	v_xor_b32_e32 v71, vcc_hi, v4
	v_xor_b32_e32 v4, vcc_lo, v4
	v_and_b32_e32 v72, v212, v71
	v_and_b32_e32 v71, v215, v4
	v_mbcnt_lo_u32_b32 v4, v71, 0
	v_mbcnt_hi_u32_b32 v212, v72, v4
	v_cmp_ne_u64_e32 vcc, 0, v[71:72]
	v_cmp_eq_u32_e64 s[40:41], 0, v212
	s_and_b64 s[42:43], vcc, s[40:41]
	v_add_u32_e32 v216, v173, v214
	; wave barrier
	s_and_saveexec_b64 s[40:41], s[42:43]
	s_cbranch_execz .LBB841_460
; %bb.459:                              ;   in Loop: Header=BB841_398 Depth=2
	v_bcnt_u32_b32 v4, v71, 0
	v_bcnt_u32_b32 v4, v72, v4
	s_waitcnt lgkmcnt(0)
	v_add_u32_e32 v4, v211, v4
	ds_write_b32 v216, v4 offset:528
.LBB841_460:                            ;   in Loop: Header=BB841_398 Depth=2
	s_or_b64 exec, exec, s[40:41]
	v_xor_b32_e32 v66, 0x80000000, v66
	v_lshrrev_b64 v[71:72], s97, v[65:66]
	v_and_b32_e32 v71, s99, v71
	v_mad_u32_u24 v4, v71, 20, v173
	; wave barrier
	ds_read_b32 v214, v4 offset:528
	v_and_b32_e32 v4, 1, v71
	v_add_co_u32_e32 v72, vcc, -1, v4
	v_addc_co_u32_e64 v215, s[40:41], 0, -1, vcc
	v_cmp_ne_u32_e32 vcc, 0, v4
	v_xor_b32_e32 v4, vcc_hi, v215
	v_and_b32_e32 v215, exec_hi, v4
	v_lshlrev_b32_e32 v4, 30, v71
	v_xor_b32_e32 v72, vcc_lo, v72
	v_cmp_gt_i64_e32 vcc, 0, v[3:4]
	v_not_b32_e32 v4, v4
	v_ashrrev_i32_e32 v4, 31, v4
	v_and_b32_e32 v72, exec_lo, v72
	v_xor_b32_e32 v218, vcc_hi, v4
	v_xor_b32_e32 v4, vcc_lo, v4
	v_and_b32_e32 v72, v72, v4
	v_lshlrev_b32_e32 v4, 29, v71
	v_cmp_gt_i64_e32 vcc, 0, v[3:4]
	v_not_b32_e32 v4, v4
	v_ashrrev_i32_e32 v4, 31, v4
	v_and_b32_e32 v215, v215, v218
	v_xor_b32_e32 v218, vcc_hi, v4
	v_xor_b32_e32 v4, vcc_lo, v4
	v_and_b32_e32 v72, v72, v4
	v_lshlrev_b32_e32 v4, 28, v71
	v_cmp_gt_i64_e32 vcc, 0, v[3:4]
	v_not_b32_e32 v4, v4
	v_ashrrev_i32_e32 v4, 31, v4
	v_and_b32_e32 v215, v215, v218
	;; [unrolled: 8-line block ×4, first 2 shown]
	v_xor_b32_e32 v218, vcc_hi, v4
	v_xor_b32_e32 v4, vcc_lo, v4
	v_and_b32_e32 v215, v215, v218
	v_and_b32_e32 v218, v72, v4
	v_lshlrev_b32_e32 v4, 25, v71
	v_cmp_gt_i64_e32 vcc, 0, v[3:4]
	v_not_b32_e32 v4, v4
	v_ashrrev_i32_e32 v4, 31, v4
	v_mul_u32_u24_e32 v217, 20, v71
	v_xor_b32_e32 v71, vcc_hi, v4
	v_xor_b32_e32 v4, vcc_lo, v4
	v_and_b32_e32 v72, v215, v71
	v_and_b32_e32 v71, v218, v4
	v_mbcnt_lo_u32_b32 v4, v71, 0
	v_mbcnt_hi_u32_b32 v215, v72, v4
	v_cmp_ne_u64_e32 vcc, 0, v[71:72]
	v_cmp_eq_u32_e64 s[40:41], 0, v215
	s_and_b64 s[42:43], vcc, s[40:41]
	v_add_u32_e32 v219, v173, v217
	; wave barrier
	s_and_saveexec_b64 s[40:41], s[42:43]
	s_cbranch_execz .LBB841_462
; %bb.461:                              ;   in Loop: Header=BB841_398 Depth=2
	v_bcnt_u32_b32 v4, v71, 0
	v_bcnt_u32_b32 v4, v72, v4
	s_waitcnt lgkmcnt(0)
	v_add_u32_e32 v4, v214, v4
	ds_write_b32 v219, v4 offset:528
.LBB841_462:                            ;   in Loop: Header=BB841_398 Depth=2
	s_or_b64 exec, exec, s[40:41]
	v_xor_b32_e32 v68, 0x80000000, v68
	v_lshrrev_b64 v[71:72], s97, v[67:68]
	v_and_b32_e32 v71, s99, v71
	v_mad_u32_u24 v4, v71, 20, v173
	; wave barrier
	ds_read_b32 v217, v4 offset:528
	v_and_b32_e32 v4, 1, v71
	v_add_co_u32_e32 v72, vcc, -1, v4
	v_addc_co_u32_e64 v218, s[40:41], 0, -1, vcc
	v_cmp_ne_u32_e32 vcc, 0, v4
	v_xor_b32_e32 v4, vcc_hi, v218
	v_and_b32_e32 v218, exec_hi, v4
	v_lshlrev_b32_e32 v4, 30, v71
	v_xor_b32_e32 v72, vcc_lo, v72
	v_cmp_gt_i64_e32 vcc, 0, v[3:4]
	v_not_b32_e32 v4, v4
	v_ashrrev_i32_e32 v4, 31, v4
	v_and_b32_e32 v72, exec_lo, v72
	v_xor_b32_e32 v221, vcc_hi, v4
	v_xor_b32_e32 v4, vcc_lo, v4
	v_and_b32_e32 v72, v72, v4
	v_lshlrev_b32_e32 v4, 29, v71
	v_cmp_gt_i64_e32 vcc, 0, v[3:4]
	v_not_b32_e32 v4, v4
	v_ashrrev_i32_e32 v4, 31, v4
	v_and_b32_e32 v218, v218, v221
	v_xor_b32_e32 v221, vcc_hi, v4
	v_xor_b32_e32 v4, vcc_lo, v4
	v_and_b32_e32 v72, v72, v4
	v_lshlrev_b32_e32 v4, 28, v71
	v_cmp_gt_i64_e32 vcc, 0, v[3:4]
	v_not_b32_e32 v4, v4
	v_ashrrev_i32_e32 v4, 31, v4
	v_and_b32_e32 v218, v218, v221
	;; [unrolled: 8-line block ×4, first 2 shown]
	v_xor_b32_e32 v221, vcc_hi, v4
	v_xor_b32_e32 v4, vcc_lo, v4
	v_and_b32_e32 v218, v218, v221
	v_and_b32_e32 v221, v72, v4
	v_lshlrev_b32_e32 v4, 25, v71
	v_cmp_gt_i64_e32 vcc, 0, v[3:4]
	v_not_b32_e32 v4, v4
	v_ashrrev_i32_e32 v4, 31, v4
	v_mul_u32_u24_e32 v220, 20, v71
	v_xor_b32_e32 v71, vcc_hi, v4
	v_xor_b32_e32 v4, vcc_lo, v4
	v_and_b32_e32 v72, v218, v71
	v_and_b32_e32 v71, v221, v4
	v_mbcnt_lo_u32_b32 v4, v71, 0
	v_mbcnt_hi_u32_b32 v218, v72, v4
	v_cmp_ne_u64_e32 vcc, 0, v[71:72]
	v_cmp_eq_u32_e64 s[40:41], 0, v218
	s_and_b64 s[42:43], vcc, s[40:41]
	v_add_u32_e32 v222, v173, v220
	; wave barrier
	s_and_saveexec_b64 s[40:41], s[42:43]
	s_cbranch_execz .LBB841_464
; %bb.463:                              ;   in Loop: Header=BB841_398 Depth=2
	v_bcnt_u32_b32 v4, v71, 0
	v_bcnt_u32_b32 v4, v72, v4
	s_waitcnt lgkmcnt(0)
	v_add_u32_e32 v4, v217, v4
	ds_write_b32 v222, v4 offset:528
.LBB841_464:                            ;   in Loop: Header=BB841_398 Depth=2
	s_or_b64 exec, exec, s[40:41]
	v_lshrrev_b64 v[71:72], s97, v[69:70]
	v_and_b32_e32 v71, s99, v71
	v_mad_u32_u24 v4, v71, 20, v173
	; wave barrier
	ds_read_b32 v220, v4 offset:528
	v_and_b32_e32 v4, 1, v71
	v_add_co_u32_e32 v72, vcc, -1, v4
	v_addc_co_u32_e64 v221, s[40:41], 0, -1, vcc
	v_cmp_ne_u32_e32 vcc, 0, v4
	v_xor_b32_e32 v4, vcc_hi, v221
	v_and_b32_e32 v221, exec_hi, v4
	v_lshlrev_b32_e32 v4, 30, v71
	v_xor_b32_e32 v72, vcc_lo, v72
	v_cmp_gt_i64_e32 vcc, 0, v[3:4]
	v_not_b32_e32 v4, v4
	v_ashrrev_i32_e32 v4, 31, v4
	v_and_b32_e32 v72, exec_lo, v72
	v_xor_b32_e32 v224, vcc_hi, v4
	v_xor_b32_e32 v4, vcc_lo, v4
	v_and_b32_e32 v72, v72, v4
	v_lshlrev_b32_e32 v4, 29, v71
	v_cmp_gt_i64_e32 vcc, 0, v[3:4]
	v_not_b32_e32 v4, v4
	v_ashrrev_i32_e32 v4, 31, v4
	v_and_b32_e32 v221, v221, v224
	v_xor_b32_e32 v224, vcc_hi, v4
	v_xor_b32_e32 v4, vcc_lo, v4
	v_and_b32_e32 v72, v72, v4
	v_lshlrev_b32_e32 v4, 28, v71
	v_cmp_gt_i64_e32 vcc, 0, v[3:4]
	v_not_b32_e32 v4, v4
	v_ashrrev_i32_e32 v4, 31, v4
	v_and_b32_e32 v221, v221, v224
	;; [unrolled: 8-line block ×4, first 2 shown]
	v_xor_b32_e32 v224, vcc_hi, v4
	v_xor_b32_e32 v4, vcc_lo, v4
	v_and_b32_e32 v221, v221, v224
	v_and_b32_e32 v224, v72, v4
	v_lshlrev_b32_e32 v4, 25, v71
	v_cmp_gt_i64_e32 vcc, 0, v[3:4]
	v_not_b32_e32 v4, v4
	v_ashrrev_i32_e32 v4, 31, v4
	v_mul_u32_u24_e32 v223, 20, v71
	v_xor_b32_e32 v71, vcc_hi, v4
	v_xor_b32_e32 v4, vcc_lo, v4
	v_and_b32_e32 v72, v221, v71
	v_and_b32_e32 v71, v224, v4
	v_mbcnt_lo_u32_b32 v4, v71, 0
	v_mbcnt_hi_u32_b32 v221, v72, v4
	v_cmp_ne_u64_e32 vcc, 0, v[71:72]
	v_cmp_eq_u32_e64 s[40:41], 0, v221
	s_and_b64 s[42:43], vcc, s[40:41]
	v_add_u32_e32 v4, v173, v223
	; wave barrier
	s_and_saveexec_b64 s[40:41], s[42:43]
	s_cbranch_execz .LBB841_466
; %bb.465:                              ;   in Loop: Header=BB841_398 Depth=2
	v_bcnt_u32_b32 v71, v71, 0
	v_bcnt_u32_b32 v71, v72, v71
	s_waitcnt lgkmcnt(0)
	v_add_u32_e32 v71, v220, v71
	ds_write_b32 v4, v71 offset:528
.LBB841_466:                            ;   in Loop: Header=BB841_398 Depth=2
	s_or_b64 exec, exec, s[40:41]
	; wave barrier
	s_waitcnt lgkmcnt(0)
	s_barrier
	ds_read2_b32 v[71:72], v92 offset0:132 offset1:133
	ds_read_b32 v223, v92 offset:536
	s_waitcnt lgkmcnt(0)
	v_add3_u32 v223, v72, v71, v223
	s_nop 1
	v_mov_b32_dpp v224, v223 row_shr:1 row_mask:0xf bank_mask:0xf
	v_cndmask_b32_e64 v224, v224, 0, s[20:21]
	v_add_u32_e32 v223, v224, v223
	s_nop 1
	v_mov_b32_dpp v224, v223 row_shr:2 row_mask:0xf bank_mask:0xf
	v_cndmask_b32_e64 v224, 0, v224, s[22:23]
	v_add_u32_e32 v223, v223, v224
	;; [unrolled: 4-line block ×4, first 2 shown]
	s_nop 1
	v_mov_b32_dpp v224, v223 row_bcast:15 row_mask:0xf bank_mask:0xf
	v_cndmask_b32_e64 v224, v224, 0, s[28:29]
	v_add_u32_e32 v223, v223, v224
	s_nop 1
	v_mov_b32_dpp v224, v223 row_bcast:31 row_mask:0xf bank_mask:0xf
	v_cndmask_b32_e64 v224, 0, v224, s[30:31]
	v_add_u32_e32 v223, v223, v224
	s_and_saveexec_b64 s[40:41], s[12:13]
; %bb.467:                              ;   in Loop: Header=BB841_398 Depth=2
	ds_write_b32 v94, v223 offset:512
; %bb.468:                              ;   in Loop: Header=BB841_398 Depth=2
	s_or_b64 exec, exec, s[40:41]
	s_waitcnt lgkmcnt(0)
	s_barrier
	s_and_saveexec_b64 s[40:41], s[14:15]
	s_cbranch_execz .LBB841_470
; %bb.469:                              ;   in Loop: Header=BB841_398 Depth=2
	ds_read_b32 v224, v99 offset:512
	s_waitcnt lgkmcnt(0)
	s_nop 0
	v_mov_b32_dpp v225, v224 row_shr:1 row_mask:0xf bank_mask:0xf
	v_cndmask_b32_e64 v225, v225, 0, s[36:37]
	v_add_u32_e32 v224, v225, v224
	s_nop 1
	v_mov_b32_dpp v225, v224 row_shr:2 row_mask:0xf bank_mask:0xf
	v_cndmask_b32_e64 v225, 0, v225, s[38:39]
	v_add_u32_e32 v224, v224, v225
	ds_write_b32 v99, v224 offset:512
.LBB841_470:                            ;   in Loop: Header=BB841_398 Depth=2
	s_or_b64 exec, exec, s[40:41]
	v_mov_b32_e32 v224, 0
	s_waitcnt lgkmcnt(0)
	s_barrier
	s_and_saveexec_b64 s[40:41], s[10:11]
; %bb.471:                              ;   in Loop: Header=BB841_398 Depth=2
	ds_read_b32 v224, v94 offset:508
; %bb.472:                              ;   in Loop: Header=BB841_398 Depth=2
	s_or_b64 exec, exec, s[40:41]
	s_waitcnt lgkmcnt(0)
	v_add_u32_e32 v223, v224, v223
	ds_bpermute_b32 v223, v136, v223
	s_waitcnt lgkmcnt(0)
	v_cndmask_b32_e64 v223, v223, v224, s[34:35]
	v_cndmask_b32_e64 v223, v223, 0, s[16:17]
	v_add_u32_e32 v71, v223, v71
	v_add_u32_e32 v72, v71, v72
	ds_write2_b32 v92, v223, v71 offset0:132 offset1:133
	ds_write_b32 v92, v72 offset:536
	s_waitcnt lgkmcnt(0)
	s_barrier
	ds_read_b32 v229, v179 offset:528
	ds_read_b32 v228, v182 offset:528
	;; [unrolled: 1-line block ×16, first 2 shown]
	s_and_saveexec_b64 s[40:41], s[4:5]
	s_cbranch_execz .LBB841_476
; %bb.473:                              ;   in Loop: Header=BB841_398 Depth=2
	ds_read_b32 v174, v101 offset:528
	v_mov_b32_e32 v4, 0x1000
	s_and_saveexec_b64 s[42:43], s[18:19]
; %bb.474:                              ;   in Loop: Header=BB841_398 Depth=2
	ds_read_b32 v4, v100 offset:528
; %bb.475:                              ;   in Loop: Header=BB841_398 Depth=2
	s_or_b64 exec, exec, s[42:43]
	s_waitcnt lgkmcnt(0)
	v_sub_u32_e32 v175, v4, v174
.LBB841_476:                            ;   in Loop: Header=BB841_398 Depth=2
	s_or_b64 exec, exec, s[40:41]
	s_waitcnt lgkmcnt(0)
	s_barrier
	s_and_saveexec_b64 s[40:41], s[4:5]
	s_cbranch_execz .LBB841_478
; %bb.477:                              ;   in Loop: Header=BB841_398 Depth=2
	ds_read_b32 v4, v73
	s_waitcnt lgkmcnt(0)
	v_sub_u32_e32 v4, v4, v174
	ds_write_b32 v73, v4
.LBB841_478:                            ;   in Loop: Header=BB841_398 Depth=2
	s_or_b64 exec, exec, s[40:41]
	v_lshlrev_b32_e32 v4, 3, v177
	v_lshl_add_u32 v4, v229, 3, v4
	ds_write_b64 v4, v[41:42] offset:512
	v_lshlrev_b32_e32 v41, 3, v180
	v_lshlrev_b32_e32 v42, 3, v178
	v_lshlrev_b32_e32 v177, 3, v228
	v_add3_u32 v41, v41, v42, v177
	ds_write_b64 v41, v[39:40] offset:512
	v_lshlrev_b32_e32 v39, 3, v183
	v_lshlrev_b32_e32 v40, 3, v181
	v_lshlrev_b32_e32 v42, 3, v227
	v_add3_u32 v42, v39, v40, v42
	;; [unrolled: 5-line block ×3, first 2 shown]
	v_lshlrev_b32_e32 v39, 3, v189
	v_lshlrev_b32_e32 v40, 3, v187
	v_lshlrev_b32_e32 v44, 3, v225
	ds_write_b64 v43, v[45:46] offset:512
	v_add3_u32 v44, v39, v40, v44
	v_lshlrev_b32_e32 v39, 3, v192
	v_lshlrev_b32_e32 v40, 3, v190
	v_lshlrev_b32_e32 v45, 3, v224
	v_add3_u32 v45, v39, v40, v45
	v_lshlrev_b32_e32 v39, 3, v195
	v_lshlrev_b32_e32 v40, 3, v193
	v_lshlrev_b32_e32 v46, 3, v223
	ds_write_b64 v44, v[47:48] offset:512
	v_add3_u32 v46, v39, v40, v46
	v_lshlrev_b32_e32 v39, 3, v198
	v_lshlrev_b32_e32 v40, 3, v196
	v_lshlrev_b32_e32 v47, 3, v197
	v_add3_u32 v47, v39, v40, v47
	;; [unrolled: 9-line block ×6, first 2 shown]
	v_cmp_lt_u32_e64 s[40:41], v0, v176
	ds_write_b64 v49, v[57:58] offset:512
	ds_write_b64 v50, v[59:60] offset:512
	;; [unrolled: 1-line block ×7, first 2 shown]
	s_waitcnt lgkmcnt(0)
	s_barrier
	s_and_saveexec_b64 s[42:43], s[40:41]
	s_cbranch_execnz .LBB841_547
; %bb.479:                              ;   in Loop: Header=BB841_398 Depth=2
	s_or_b64 exec, exec, s[42:43]
	v_cmp_lt_u32_e64 s[42:43], v74, v176
	s_and_saveexec_b64 s[44:45], s[42:43]
	s_cbranch_execnz .LBB841_548
.LBB841_480:                            ;   in Loop: Header=BB841_398 Depth=2
	s_or_b64 exec, exec, s[44:45]
	v_cmp_lt_u32_e64 s[44:45], v77, v176
	s_and_saveexec_b64 s[46:47], s[44:45]
	s_cbranch_execnz .LBB841_549
.LBB841_481:                            ;   in Loop: Header=BB841_398 Depth=2
	s_or_b64 exec, exec, s[46:47]
	v_cmp_lt_u32_e64 s[46:47], v78, v176
	s_and_saveexec_b64 s[48:49], s[46:47]
	s_cbranch_execnz .LBB841_550
.LBB841_482:                            ;   in Loop: Header=BB841_398 Depth=2
	s_or_b64 exec, exec, s[48:49]
	v_cmp_lt_u32_e64 s[48:49], v79, v176
	s_and_saveexec_b64 s[50:51], s[48:49]
	s_cbranch_execnz .LBB841_551
.LBB841_483:                            ;   in Loop: Header=BB841_398 Depth=2
	s_or_b64 exec, exec, s[50:51]
	v_cmp_lt_u32_e64 s[50:51], v80, v176
	s_and_saveexec_b64 s[52:53], s[50:51]
	s_cbranch_execnz .LBB841_552
.LBB841_484:                            ;   in Loop: Header=BB841_398 Depth=2
	s_or_b64 exec, exec, s[52:53]
	v_cmp_lt_u32_e64 s[52:53], v81, v176
	s_and_saveexec_b64 s[54:55], s[52:53]
	s_cbranch_execnz .LBB841_553
.LBB841_485:                            ;   in Loop: Header=BB841_398 Depth=2
	s_or_b64 exec, exec, s[54:55]
	v_cmp_lt_u32_e64 s[54:55], v82, v176
	s_and_saveexec_b64 s[56:57], s[54:55]
	s_cbranch_execnz .LBB841_554
.LBB841_486:                            ;   in Loop: Header=BB841_398 Depth=2
	s_or_b64 exec, exec, s[56:57]
	v_cmp_lt_u32_e64 s[56:57], v83, v176
	s_and_saveexec_b64 s[58:59], s[56:57]
	s_cbranch_execnz .LBB841_555
.LBB841_487:                            ;   in Loop: Header=BB841_398 Depth=2
	s_or_b64 exec, exec, s[58:59]
	v_cmp_lt_u32_e64 s[58:59], v84, v176
	s_and_saveexec_b64 s[60:61], s[58:59]
	s_cbranch_execnz .LBB841_556
.LBB841_488:                            ;   in Loop: Header=BB841_398 Depth=2
	s_or_b64 exec, exec, s[60:61]
	v_cmp_lt_u32_e64 s[60:61], v85, v176
	s_and_saveexec_b64 s[62:63], s[60:61]
	s_cbranch_execnz .LBB841_557
.LBB841_489:                            ;   in Loop: Header=BB841_398 Depth=2
	s_or_b64 exec, exec, s[62:63]
	v_cmp_lt_u32_e64 s[62:63], v86, v176
	s_and_saveexec_b64 s[64:65], s[62:63]
	s_cbranch_execnz .LBB841_558
.LBB841_490:                            ;   in Loop: Header=BB841_398 Depth=2
	s_or_b64 exec, exec, s[64:65]
	v_cmp_lt_u32_e64 s[64:65], v87, v176
	s_and_saveexec_b64 s[66:67], s[64:65]
	s_cbranch_execnz .LBB841_559
.LBB841_491:                            ;   in Loop: Header=BB841_398 Depth=2
	s_or_b64 exec, exec, s[66:67]
	v_cmp_lt_u32_e64 s[66:67], v88, v176
	s_and_saveexec_b64 s[68:69], s[66:67]
	s_cbranch_execnz .LBB841_560
.LBB841_492:                            ;   in Loop: Header=BB841_398 Depth=2
	s_or_b64 exec, exec, s[68:69]
	v_cmp_lt_u32_e64 s[68:69], v89, v176
	s_and_saveexec_b64 s[70:71], s[68:69]
	s_cbranch_execnz .LBB841_561
.LBB841_493:                            ;   in Loop: Header=BB841_398 Depth=2
	s_or_b64 exec, exec, s[70:71]
	v_cmp_lt_u32_e64 s[70:71], v90, v176
	s_and_saveexec_b64 s[82:83], s[70:71]
	s_cbranch_execz .LBB841_495
.LBB841_494:                            ;   in Loop: Header=BB841_398 Depth=2
	ds_read_b64 v[39:40], v106 offset:31232
	v_mov_b32_e32 v58, s81
	s_waitcnt lgkmcnt(0)
	v_lshrrev_b64 v[56:57], s97, v[39:40]
	v_mov_b32_e32 v57, v3
	v_and_b32_e32 v56, s99, v56
	v_lshlrev_b32_e32 v56, 2, v56
	ds_read_b32 v56, v56
	v_xor_b32_e32 v40, 0x80000000, v40
	s_waitcnt lgkmcnt(0)
	v_add_u32_e32 v56, v56, v90
	v_lshlrev_b64 v[56:57], 3, v[56:57]
	v_add_co_u32_e32 v56, vcc, s80, v56
	v_addc_co_u32_e32 v57, vcc, v58, v57, vcc
	global_store_dwordx2 v[56:57], v[39:40], off
.LBB841_495:                            ;   in Loop: Header=BB841_398 Depth=2
	s_or_b64 exec, exec, s[82:83]
	s_lshl_b64 s[82:83], s[92:93], 3
	v_mov_b32_e32 v40, s83
	v_add_co_u32_e32 v39, vcc, s82, v154
	v_addc_co_u32_e32 v40, vcc, v155, v40, vcc
	v_cmp_lt_u32_e32 vcc, v153, v176
	s_and_saveexec_b64 s[82:83], vcc
	s_xor_b64 s[82:83], exec, s[82:83]
	s_cbranch_execnz .LBB841_562
; %bb.496:                              ;   in Loop: Header=BB841_398 Depth=2
	s_or_b64 exec, exec, s[82:83]
	v_cmp_lt_u32_e32 vcc, v156, v176
	s_and_saveexec_b64 s[82:83], vcc
	s_cbranch_execnz .LBB841_563
.LBB841_497:                            ;   in Loop: Header=BB841_398 Depth=2
	s_or_b64 exec, exec, s[82:83]
	v_cmp_lt_u32_e32 vcc, v157, v176
	s_and_saveexec_b64 s[82:83], vcc
	s_cbranch_execnz .LBB841_564
.LBB841_498:                            ;   in Loop: Header=BB841_398 Depth=2
	s_or_b64 exec, exec, s[82:83]
	v_cmp_lt_u32_e32 vcc, v158, v176
	s_and_saveexec_b64 s[82:83], vcc
	s_cbranch_execnz .LBB841_565
.LBB841_499:                            ;   in Loop: Header=BB841_398 Depth=2
	s_or_b64 exec, exec, s[82:83]
	v_cmp_lt_u32_e32 vcc, v159, v176
	s_and_saveexec_b64 s[82:83], vcc
	s_cbranch_execnz .LBB841_566
.LBB841_500:                            ;   in Loop: Header=BB841_398 Depth=2
	s_or_b64 exec, exec, s[82:83]
	v_cmp_lt_u32_e32 vcc, v160, v176
	s_and_saveexec_b64 s[82:83], vcc
	s_cbranch_execnz .LBB841_567
.LBB841_501:                            ;   in Loop: Header=BB841_398 Depth=2
	s_or_b64 exec, exec, s[82:83]
	v_cmp_lt_u32_e32 vcc, v161, v176
	s_and_saveexec_b64 s[82:83], vcc
	s_cbranch_execnz .LBB841_568
.LBB841_502:                            ;   in Loop: Header=BB841_398 Depth=2
	s_or_b64 exec, exec, s[82:83]
	v_cmp_lt_u32_e32 vcc, v162, v176
	s_and_saveexec_b64 s[82:83], vcc
	s_cbranch_execnz .LBB841_569
.LBB841_503:                            ;   in Loop: Header=BB841_398 Depth=2
	s_or_b64 exec, exec, s[82:83]
	v_cmp_lt_u32_e32 vcc, v163, v176
	s_and_saveexec_b64 s[82:83], vcc
	s_cbranch_execnz .LBB841_570
.LBB841_504:                            ;   in Loop: Header=BB841_398 Depth=2
	s_or_b64 exec, exec, s[82:83]
	v_cmp_lt_u32_e32 vcc, v164, v176
	s_and_saveexec_b64 s[82:83], vcc
	s_cbranch_execnz .LBB841_571
.LBB841_505:                            ;   in Loop: Header=BB841_398 Depth=2
	s_or_b64 exec, exec, s[82:83]
	v_cmp_lt_u32_e32 vcc, v165, v176
	s_and_saveexec_b64 s[82:83], vcc
	s_cbranch_execnz .LBB841_572
.LBB841_506:                            ;   in Loop: Header=BB841_398 Depth=2
	s_or_b64 exec, exec, s[82:83]
	v_cmp_lt_u32_e32 vcc, v166, v176
	s_and_saveexec_b64 s[82:83], vcc
	s_cbranch_execnz .LBB841_573
.LBB841_507:                            ;   in Loop: Header=BB841_398 Depth=2
	s_or_b64 exec, exec, s[82:83]
	v_cmp_lt_u32_e32 vcc, v167, v176
	s_and_saveexec_b64 s[82:83], vcc
	s_cbranch_execnz .LBB841_574
.LBB841_508:                            ;   in Loop: Header=BB841_398 Depth=2
	s_or_b64 exec, exec, s[82:83]
	v_cmp_lt_u32_e32 vcc, v168, v176
	s_and_saveexec_b64 s[82:83], vcc
	s_cbranch_execnz .LBB841_575
.LBB841_509:                            ;   in Loop: Header=BB841_398 Depth=2
	s_or_b64 exec, exec, s[82:83]
	v_cmp_lt_u32_e32 vcc, v169, v176
	s_and_saveexec_b64 s[82:83], vcc
	s_cbranch_execnz .LBB841_576
.LBB841_510:                            ;   in Loop: Header=BB841_398 Depth=2
	s_or_b64 exec, exec, s[82:83]
	v_cmp_lt_u32_e32 vcc, v170, v176
	s_and_saveexec_b64 s[82:83], vcc
	s_cbranch_execnz .LBB841_577
.LBB841_511:                            ;   in Loop: Header=BB841_398 Depth=2
	s_or_b64 exec, exec, s[82:83]
	s_and_saveexec_b64 s[82:83], s[40:41]
	s_cbranch_execnz .LBB841_578
.LBB841_512:                            ;   in Loop: Header=BB841_398 Depth=2
	s_or_b64 exec, exec, s[82:83]
	s_and_saveexec_b64 s[82:83], s[42:43]
	s_cbranch_execnz .LBB841_579
.LBB841_513:                            ;   in Loop: Header=BB841_398 Depth=2
	s_or_b64 exec, exec, s[82:83]
	s_and_saveexec_b64 s[82:83], s[44:45]
	s_cbranch_execnz .LBB841_580
.LBB841_514:                            ;   in Loop: Header=BB841_398 Depth=2
	s_or_b64 exec, exec, s[82:83]
	s_and_saveexec_b64 s[82:83], s[46:47]
	s_cbranch_execnz .LBB841_581
.LBB841_515:                            ;   in Loop: Header=BB841_398 Depth=2
	s_or_b64 exec, exec, s[82:83]
	s_and_saveexec_b64 s[82:83], s[48:49]
	s_cbranch_execnz .LBB841_582
.LBB841_516:                            ;   in Loop: Header=BB841_398 Depth=2
	s_or_b64 exec, exec, s[82:83]
	s_and_saveexec_b64 s[82:83], s[50:51]
	s_cbranch_execnz .LBB841_583
.LBB841_517:                            ;   in Loop: Header=BB841_398 Depth=2
	s_or_b64 exec, exec, s[82:83]
	s_and_saveexec_b64 s[82:83], s[52:53]
	s_cbranch_execnz .LBB841_584
.LBB841_518:                            ;   in Loop: Header=BB841_398 Depth=2
	s_or_b64 exec, exec, s[82:83]
	s_and_saveexec_b64 s[82:83], s[54:55]
	s_cbranch_execnz .LBB841_585
.LBB841_519:                            ;   in Loop: Header=BB841_398 Depth=2
	s_or_b64 exec, exec, s[82:83]
	s_and_saveexec_b64 s[82:83], s[56:57]
	s_cbranch_execnz .LBB841_586
.LBB841_520:                            ;   in Loop: Header=BB841_398 Depth=2
	s_or_b64 exec, exec, s[82:83]
	s_and_saveexec_b64 s[82:83], s[58:59]
	s_cbranch_execnz .LBB841_587
.LBB841_521:                            ;   in Loop: Header=BB841_398 Depth=2
	s_or_b64 exec, exec, s[82:83]
	s_and_saveexec_b64 s[82:83], s[60:61]
	s_cbranch_execnz .LBB841_588
.LBB841_522:                            ;   in Loop: Header=BB841_398 Depth=2
	s_or_b64 exec, exec, s[82:83]
	s_and_saveexec_b64 s[82:83], s[62:63]
	s_cbranch_execnz .LBB841_589
.LBB841_523:                            ;   in Loop: Header=BB841_398 Depth=2
	s_or_b64 exec, exec, s[82:83]
	s_and_saveexec_b64 s[82:83], s[64:65]
	s_cbranch_execnz .LBB841_590
.LBB841_524:                            ;   in Loop: Header=BB841_398 Depth=2
	s_or_b64 exec, exec, s[82:83]
	s_and_saveexec_b64 s[82:83], s[66:67]
	s_cbranch_execnz .LBB841_591
.LBB841_525:                            ;   in Loop: Header=BB841_398 Depth=2
	s_or_b64 exec, exec, s[82:83]
	s_and_saveexec_b64 s[82:83], s[68:69]
	s_cbranch_execnz .LBB841_592
.LBB841_526:                            ;   in Loop: Header=BB841_398 Depth=2
	s_or_b64 exec, exec, s[82:83]
	s_and_saveexec_b64 s[82:83], s[70:71]
	s_cbranch_execz .LBB841_528
.LBB841_527:                            ;   in Loop: Header=BB841_398 Depth=2
	ds_read_b64 v[39:40], v106 offset:31232
	s_waitcnt lgkmcnt(0)
	v_lshrrev_b64 v[39:40], s97, v[39:40]
	v_and_b32_e32 v137, s99, v39
.LBB841_528:                            ;   in Loop: Header=BB841_398 Depth=2
	s_or_b64 exec, exec, s[82:83]
	s_waitcnt vmcnt(0)
	s_barrier
	ds_write_b64 v4, v[37:38] offset:512
	ds_write_b64 v41, v[35:36] offset:512
	;; [unrolled: 1-line block ×16, first 2 shown]
	s_waitcnt lgkmcnt(0)
	s_barrier
	s_and_saveexec_b64 s[82:83], s[40:41]
	s_cbranch_execnz .LBB841_593
; %bb.529:                              ;   in Loop: Header=BB841_398 Depth=2
	s_or_b64 exec, exec, s[82:83]
	s_and_saveexec_b64 s[40:41], s[42:43]
	s_cbranch_execnz .LBB841_594
.LBB841_530:                            ;   in Loop: Header=BB841_398 Depth=2
	s_or_b64 exec, exec, s[40:41]
	s_and_saveexec_b64 s[40:41], s[44:45]
	s_cbranch_execnz .LBB841_595
.LBB841_531:                            ;   in Loop: Header=BB841_398 Depth=2
	s_or_b64 exec, exec, s[40:41]
	s_and_saveexec_b64 s[40:41], s[46:47]
	s_cbranch_execnz .LBB841_596
.LBB841_532:                            ;   in Loop: Header=BB841_398 Depth=2
	s_or_b64 exec, exec, s[40:41]
	s_and_saveexec_b64 s[40:41], s[48:49]
	s_cbranch_execnz .LBB841_597
.LBB841_533:                            ;   in Loop: Header=BB841_398 Depth=2
	s_or_b64 exec, exec, s[40:41]
	s_and_saveexec_b64 s[40:41], s[50:51]
	s_cbranch_execnz .LBB841_598
.LBB841_534:                            ;   in Loop: Header=BB841_398 Depth=2
	s_or_b64 exec, exec, s[40:41]
	s_and_saveexec_b64 s[40:41], s[52:53]
	s_cbranch_execnz .LBB841_599
.LBB841_535:                            ;   in Loop: Header=BB841_398 Depth=2
	s_or_b64 exec, exec, s[40:41]
	s_and_saveexec_b64 s[40:41], s[54:55]
	s_cbranch_execnz .LBB841_600
.LBB841_536:                            ;   in Loop: Header=BB841_398 Depth=2
	s_or_b64 exec, exec, s[40:41]
	s_and_saveexec_b64 s[40:41], s[56:57]
	s_cbranch_execnz .LBB841_601
.LBB841_537:                            ;   in Loop: Header=BB841_398 Depth=2
	s_or_b64 exec, exec, s[40:41]
	s_and_saveexec_b64 s[40:41], s[58:59]
	s_cbranch_execnz .LBB841_602
.LBB841_538:                            ;   in Loop: Header=BB841_398 Depth=2
	s_or_b64 exec, exec, s[40:41]
	s_and_saveexec_b64 s[40:41], s[60:61]
	s_cbranch_execnz .LBB841_603
.LBB841_539:                            ;   in Loop: Header=BB841_398 Depth=2
	s_or_b64 exec, exec, s[40:41]
	s_and_saveexec_b64 s[40:41], s[62:63]
	s_cbranch_execnz .LBB841_604
.LBB841_540:                            ;   in Loop: Header=BB841_398 Depth=2
	s_or_b64 exec, exec, s[40:41]
	s_and_saveexec_b64 s[40:41], s[64:65]
	s_cbranch_execnz .LBB841_605
.LBB841_541:                            ;   in Loop: Header=BB841_398 Depth=2
	s_or_b64 exec, exec, s[40:41]
	s_and_saveexec_b64 s[40:41], s[66:67]
	s_cbranch_execnz .LBB841_606
.LBB841_542:                            ;   in Loop: Header=BB841_398 Depth=2
	s_or_b64 exec, exec, s[40:41]
	s_and_saveexec_b64 s[40:41], s[68:69]
	s_cbranch_execnz .LBB841_607
.LBB841_543:                            ;   in Loop: Header=BB841_398 Depth=2
	s_or_b64 exec, exec, s[40:41]
	s_and_saveexec_b64 s[40:41], s[70:71]
	s_cbranch_execz .LBB841_545
.LBB841_544:                            ;   in Loop: Header=BB841_398 Depth=2
	v_lshlrev_b32_e32 v4, 2, v137
	ds_read_b32 v4, v4
	ds_read_b64 v[39:40], v106 offset:31232
	v_mov_b32_e32 v42, v3
	v_mov_b32_e32 v43, s87
	s_waitcnt lgkmcnt(1)
	v_add_u32_e32 v41, v4, v90
	v_lshlrev_b64 v[41:42], 3, v[41:42]
	v_add_co_u32_e32 v41, vcc, s86, v41
	v_addc_co_u32_e32 v42, vcc, v43, v42, vcc
	s_waitcnt lgkmcnt(0)
	global_store_dwordx2 v[41:42], v[39:40], off
.LBB841_545:                            ;   in Loop: Header=BB841_398 Depth=2
	s_or_b64 exec, exec, s[40:41]
	s_waitcnt vmcnt(0)
	s_barrier
	s_and_saveexec_b64 s[40:41], s[4:5]
	s_cbranch_execz .LBB841_397
; %bb.546:                              ;   in Loop: Header=BB841_398 Depth=2
	ds_read_b32 v4, v73
	s_waitcnt lgkmcnt(0)
	v_add3_u32 v4, v174, v175, v4
	ds_write_b32 v73, v4
	s_branch .LBB841_397
.LBB841_547:                            ;   in Loop: Header=BB841_398 Depth=2
	ds_read_b64 v[39:40], v106 offset:512
	v_mov_b32_e32 v58, s81
	s_waitcnt lgkmcnt(0)
	v_lshrrev_b64 v[56:57], s97, v[39:40]
	v_mov_b32_e32 v57, v3
	v_and_b32_e32 v56, s99, v56
	v_lshlrev_b32_e32 v56, 2, v56
	ds_read_b32 v56, v56
	v_xor_b32_e32 v40, 0x80000000, v40
	s_waitcnt lgkmcnt(0)
	v_add_u32_e32 v56, v56, v0
	v_lshlrev_b64 v[56:57], 3, v[56:57]
	v_add_co_u32_e32 v56, vcc, s80, v56
	v_addc_co_u32_e32 v57, vcc, v58, v57, vcc
	global_store_dwordx2 v[56:57], v[39:40], off
	s_or_b64 exec, exec, s[42:43]
	v_cmp_lt_u32_e64 s[42:43], v74, v176
	s_and_saveexec_b64 s[44:45], s[42:43]
	s_cbranch_execz .LBB841_480
.LBB841_548:                            ;   in Loop: Header=BB841_398 Depth=2
	ds_read_b64 v[39:40], v106 offset:2560
	v_mov_b32_e32 v58, s81
	s_waitcnt lgkmcnt(0)
	v_lshrrev_b64 v[56:57], s97, v[39:40]
	v_mov_b32_e32 v57, v3
	v_and_b32_e32 v56, s99, v56
	v_lshlrev_b32_e32 v56, 2, v56
	ds_read_b32 v56, v56
	v_xor_b32_e32 v40, 0x80000000, v40
	s_waitcnt lgkmcnt(0)
	v_add_u32_e32 v56, v56, v74
	v_lshlrev_b64 v[56:57], 3, v[56:57]
	v_add_co_u32_e32 v56, vcc, s80, v56
	v_addc_co_u32_e32 v57, vcc, v58, v57, vcc
	global_store_dwordx2 v[56:57], v[39:40], off
	s_or_b64 exec, exec, s[44:45]
	v_cmp_lt_u32_e64 s[44:45], v77, v176
	s_and_saveexec_b64 s[46:47], s[44:45]
	s_cbranch_execz .LBB841_481
.LBB841_549:                            ;   in Loop: Header=BB841_398 Depth=2
	ds_read_b64 v[39:40], v106 offset:4608
	v_mov_b32_e32 v58, s81
	s_waitcnt lgkmcnt(0)
	v_lshrrev_b64 v[56:57], s97, v[39:40]
	v_mov_b32_e32 v57, v3
	v_and_b32_e32 v56, s99, v56
	v_lshlrev_b32_e32 v56, 2, v56
	ds_read_b32 v56, v56
	v_xor_b32_e32 v40, 0x80000000, v40
	s_waitcnt lgkmcnt(0)
	v_add_u32_e32 v56, v56, v77
	v_lshlrev_b64 v[56:57], 3, v[56:57]
	v_add_co_u32_e32 v56, vcc, s80, v56
	v_addc_co_u32_e32 v57, vcc, v58, v57, vcc
	global_store_dwordx2 v[56:57], v[39:40], off
	s_or_b64 exec, exec, s[46:47]
	v_cmp_lt_u32_e64 s[46:47], v78, v176
	s_and_saveexec_b64 s[48:49], s[46:47]
	s_cbranch_execz .LBB841_482
.LBB841_550:                            ;   in Loop: Header=BB841_398 Depth=2
	ds_read_b64 v[39:40], v106 offset:6656
	v_mov_b32_e32 v58, s81
	s_waitcnt lgkmcnt(0)
	v_lshrrev_b64 v[56:57], s97, v[39:40]
	v_mov_b32_e32 v57, v3
	v_and_b32_e32 v56, s99, v56
	v_lshlrev_b32_e32 v56, 2, v56
	ds_read_b32 v56, v56
	v_xor_b32_e32 v40, 0x80000000, v40
	s_waitcnt lgkmcnt(0)
	v_add_u32_e32 v56, v56, v78
	v_lshlrev_b64 v[56:57], 3, v[56:57]
	v_add_co_u32_e32 v56, vcc, s80, v56
	v_addc_co_u32_e32 v57, vcc, v58, v57, vcc
	global_store_dwordx2 v[56:57], v[39:40], off
	s_or_b64 exec, exec, s[48:49]
	v_cmp_lt_u32_e64 s[48:49], v79, v176
	s_and_saveexec_b64 s[50:51], s[48:49]
	s_cbranch_execz .LBB841_483
.LBB841_551:                            ;   in Loop: Header=BB841_398 Depth=2
	ds_read_b64 v[39:40], v106 offset:8704
	v_mov_b32_e32 v58, s81
	s_waitcnt lgkmcnt(0)
	v_lshrrev_b64 v[56:57], s97, v[39:40]
	v_mov_b32_e32 v57, v3
	v_and_b32_e32 v56, s99, v56
	v_lshlrev_b32_e32 v56, 2, v56
	ds_read_b32 v56, v56
	v_xor_b32_e32 v40, 0x80000000, v40
	s_waitcnt lgkmcnt(0)
	v_add_u32_e32 v56, v56, v79
	v_lshlrev_b64 v[56:57], 3, v[56:57]
	v_add_co_u32_e32 v56, vcc, s80, v56
	v_addc_co_u32_e32 v57, vcc, v58, v57, vcc
	global_store_dwordx2 v[56:57], v[39:40], off
	s_or_b64 exec, exec, s[50:51]
	v_cmp_lt_u32_e64 s[50:51], v80, v176
	s_and_saveexec_b64 s[52:53], s[50:51]
	s_cbranch_execz .LBB841_484
.LBB841_552:                            ;   in Loop: Header=BB841_398 Depth=2
	ds_read_b64 v[39:40], v106 offset:10752
	v_mov_b32_e32 v58, s81
	s_waitcnt lgkmcnt(0)
	v_lshrrev_b64 v[56:57], s97, v[39:40]
	v_mov_b32_e32 v57, v3
	v_and_b32_e32 v56, s99, v56
	v_lshlrev_b32_e32 v56, 2, v56
	ds_read_b32 v56, v56
	v_xor_b32_e32 v40, 0x80000000, v40
	s_waitcnt lgkmcnt(0)
	v_add_u32_e32 v56, v56, v80
	v_lshlrev_b64 v[56:57], 3, v[56:57]
	v_add_co_u32_e32 v56, vcc, s80, v56
	v_addc_co_u32_e32 v57, vcc, v58, v57, vcc
	global_store_dwordx2 v[56:57], v[39:40], off
	s_or_b64 exec, exec, s[52:53]
	v_cmp_lt_u32_e64 s[52:53], v81, v176
	s_and_saveexec_b64 s[54:55], s[52:53]
	s_cbranch_execz .LBB841_485
.LBB841_553:                            ;   in Loop: Header=BB841_398 Depth=2
	ds_read_b64 v[39:40], v106 offset:12800
	v_mov_b32_e32 v58, s81
	s_waitcnt lgkmcnt(0)
	v_lshrrev_b64 v[56:57], s97, v[39:40]
	v_mov_b32_e32 v57, v3
	v_and_b32_e32 v56, s99, v56
	v_lshlrev_b32_e32 v56, 2, v56
	ds_read_b32 v56, v56
	v_xor_b32_e32 v40, 0x80000000, v40
	s_waitcnt lgkmcnt(0)
	v_add_u32_e32 v56, v56, v81
	v_lshlrev_b64 v[56:57], 3, v[56:57]
	v_add_co_u32_e32 v56, vcc, s80, v56
	v_addc_co_u32_e32 v57, vcc, v58, v57, vcc
	global_store_dwordx2 v[56:57], v[39:40], off
	s_or_b64 exec, exec, s[54:55]
	v_cmp_lt_u32_e64 s[54:55], v82, v176
	s_and_saveexec_b64 s[56:57], s[54:55]
	s_cbranch_execz .LBB841_486
.LBB841_554:                            ;   in Loop: Header=BB841_398 Depth=2
	ds_read_b64 v[39:40], v106 offset:14848
	v_mov_b32_e32 v58, s81
	s_waitcnt lgkmcnt(0)
	v_lshrrev_b64 v[56:57], s97, v[39:40]
	v_mov_b32_e32 v57, v3
	v_and_b32_e32 v56, s99, v56
	v_lshlrev_b32_e32 v56, 2, v56
	ds_read_b32 v56, v56
	v_xor_b32_e32 v40, 0x80000000, v40
	s_waitcnt lgkmcnt(0)
	v_add_u32_e32 v56, v56, v82
	v_lshlrev_b64 v[56:57], 3, v[56:57]
	v_add_co_u32_e32 v56, vcc, s80, v56
	v_addc_co_u32_e32 v57, vcc, v58, v57, vcc
	global_store_dwordx2 v[56:57], v[39:40], off
	s_or_b64 exec, exec, s[56:57]
	v_cmp_lt_u32_e64 s[56:57], v83, v176
	s_and_saveexec_b64 s[58:59], s[56:57]
	s_cbranch_execz .LBB841_487
.LBB841_555:                            ;   in Loop: Header=BB841_398 Depth=2
	ds_read_b64 v[39:40], v106 offset:16896
	v_mov_b32_e32 v58, s81
	s_waitcnt lgkmcnt(0)
	v_lshrrev_b64 v[56:57], s97, v[39:40]
	v_mov_b32_e32 v57, v3
	v_and_b32_e32 v56, s99, v56
	v_lshlrev_b32_e32 v56, 2, v56
	ds_read_b32 v56, v56
	v_xor_b32_e32 v40, 0x80000000, v40
	s_waitcnt lgkmcnt(0)
	v_add_u32_e32 v56, v56, v83
	v_lshlrev_b64 v[56:57], 3, v[56:57]
	v_add_co_u32_e32 v56, vcc, s80, v56
	v_addc_co_u32_e32 v57, vcc, v58, v57, vcc
	global_store_dwordx2 v[56:57], v[39:40], off
	s_or_b64 exec, exec, s[58:59]
	v_cmp_lt_u32_e64 s[58:59], v84, v176
	s_and_saveexec_b64 s[60:61], s[58:59]
	s_cbranch_execz .LBB841_488
.LBB841_556:                            ;   in Loop: Header=BB841_398 Depth=2
	ds_read_b64 v[39:40], v106 offset:18944
	v_mov_b32_e32 v58, s81
	s_waitcnt lgkmcnt(0)
	v_lshrrev_b64 v[56:57], s97, v[39:40]
	v_mov_b32_e32 v57, v3
	v_and_b32_e32 v56, s99, v56
	v_lshlrev_b32_e32 v56, 2, v56
	ds_read_b32 v56, v56
	v_xor_b32_e32 v40, 0x80000000, v40
	s_waitcnt lgkmcnt(0)
	v_add_u32_e32 v56, v56, v84
	v_lshlrev_b64 v[56:57], 3, v[56:57]
	v_add_co_u32_e32 v56, vcc, s80, v56
	v_addc_co_u32_e32 v57, vcc, v58, v57, vcc
	global_store_dwordx2 v[56:57], v[39:40], off
	s_or_b64 exec, exec, s[60:61]
	v_cmp_lt_u32_e64 s[60:61], v85, v176
	s_and_saveexec_b64 s[62:63], s[60:61]
	s_cbranch_execz .LBB841_489
.LBB841_557:                            ;   in Loop: Header=BB841_398 Depth=2
	ds_read_b64 v[39:40], v106 offset:20992
	v_mov_b32_e32 v58, s81
	s_waitcnt lgkmcnt(0)
	v_lshrrev_b64 v[56:57], s97, v[39:40]
	v_mov_b32_e32 v57, v3
	v_and_b32_e32 v56, s99, v56
	v_lshlrev_b32_e32 v56, 2, v56
	ds_read_b32 v56, v56
	v_xor_b32_e32 v40, 0x80000000, v40
	s_waitcnt lgkmcnt(0)
	v_add_u32_e32 v56, v56, v85
	v_lshlrev_b64 v[56:57], 3, v[56:57]
	v_add_co_u32_e32 v56, vcc, s80, v56
	v_addc_co_u32_e32 v57, vcc, v58, v57, vcc
	global_store_dwordx2 v[56:57], v[39:40], off
	s_or_b64 exec, exec, s[62:63]
	v_cmp_lt_u32_e64 s[62:63], v86, v176
	s_and_saveexec_b64 s[64:65], s[62:63]
	s_cbranch_execz .LBB841_490
.LBB841_558:                            ;   in Loop: Header=BB841_398 Depth=2
	ds_read_b64 v[39:40], v106 offset:23040
	v_mov_b32_e32 v58, s81
	s_waitcnt lgkmcnt(0)
	v_lshrrev_b64 v[56:57], s97, v[39:40]
	v_mov_b32_e32 v57, v3
	v_and_b32_e32 v56, s99, v56
	v_lshlrev_b32_e32 v56, 2, v56
	ds_read_b32 v56, v56
	v_xor_b32_e32 v40, 0x80000000, v40
	s_waitcnt lgkmcnt(0)
	v_add_u32_e32 v56, v56, v86
	v_lshlrev_b64 v[56:57], 3, v[56:57]
	v_add_co_u32_e32 v56, vcc, s80, v56
	v_addc_co_u32_e32 v57, vcc, v58, v57, vcc
	global_store_dwordx2 v[56:57], v[39:40], off
	s_or_b64 exec, exec, s[64:65]
	v_cmp_lt_u32_e64 s[64:65], v87, v176
	s_and_saveexec_b64 s[66:67], s[64:65]
	s_cbranch_execz .LBB841_491
.LBB841_559:                            ;   in Loop: Header=BB841_398 Depth=2
	ds_read_b64 v[39:40], v106 offset:25088
	v_mov_b32_e32 v58, s81
	s_waitcnt lgkmcnt(0)
	v_lshrrev_b64 v[56:57], s97, v[39:40]
	v_mov_b32_e32 v57, v3
	v_and_b32_e32 v56, s99, v56
	v_lshlrev_b32_e32 v56, 2, v56
	ds_read_b32 v56, v56
	v_xor_b32_e32 v40, 0x80000000, v40
	s_waitcnt lgkmcnt(0)
	v_add_u32_e32 v56, v56, v87
	v_lshlrev_b64 v[56:57], 3, v[56:57]
	v_add_co_u32_e32 v56, vcc, s80, v56
	v_addc_co_u32_e32 v57, vcc, v58, v57, vcc
	global_store_dwordx2 v[56:57], v[39:40], off
	s_or_b64 exec, exec, s[66:67]
	v_cmp_lt_u32_e64 s[66:67], v88, v176
	s_and_saveexec_b64 s[68:69], s[66:67]
	s_cbranch_execz .LBB841_492
.LBB841_560:                            ;   in Loop: Header=BB841_398 Depth=2
	ds_read_b64 v[39:40], v106 offset:27136
	v_mov_b32_e32 v58, s81
	s_waitcnt lgkmcnt(0)
	v_lshrrev_b64 v[56:57], s97, v[39:40]
	v_mov_b32_e32 v57, v3
	v_and_b32_e32 v56, s99, v56
	v_lshlrev_b32_e32 v56, 2, v56
	ds_read_b32 v56, v56
	v_xor_b32_e32 v40, 0x80000000, v40
	s_waitcnt lgkmcnt(0)
	v_add_u32_e32 v56, v56, v88
	v_lshlrev_b64 v[56:57], 3, v[56:57]
	v_add_co_u32_e32 v56, vcc, s80, v56
	v_addc_co_u32_e32 v57, vcc, v58, v57, vcc
	global_store_dwordx2 v[56:57], v[39:40], off
	s_or_b64 exec, exec, s[68:69]
	v_cmp_lt_u32_e64 s[68:69], v89, v176
	s_and_saveexec_b64 s[70:71], s[68:69]
	s_cbranch_execz .LBB841_493
.LBB841_561:                            ;   in Loop: Header=BB841_398 Depth=2
	ds_read_b64 v[39:40], v106 offset:29184
	v_mov_b32_e32 v58, s81
	s_waitcnt lgkmcnt(0)
	v_lshrrev_b64 v[56:57], s97, v[39:40]
	v_mov_b32_e32 v57, v3
	v_and_b32_e32 v56, s99, v56
	v_lshlrev_b32_e32 v56, 2, v56
	ds_read_b32 v56, v56
	v_xor_b32_e32 v40, 0x80000000, v40
	s_waitcnt lgkmcnt(0)
	v_add_u32_e32 v56, v56, v89
	v_lshlrev_b64 v[56:57], 3, v[56:57]
	v_add_co_u32_e32 v56, vcc, s80, v56
	v_addc_co_u32_e32 v57, vcc, v58, v57, vcc
	global_store_dwordx2 v[56:57], v[39:40], off
	s_or_b64 exec, exec, s[70:71]
	v_cmp_lt_u32_e64 s[70:71], v90, v176
	s_and_saveexec_b64 s[82:83], s[70:71]
	s_cbranch_execnz .LBB841_494
	s_branch .LBB841_495
.LBB841_562:                            ;   in Loop: Header=BB841_398 Depth=2
	global_load_dwordx2 v[37:38], v[39:40], off
	s_or_b64 exec, exec, s[82:83]
	v_cmp_lt_u32_e32 vcc, v156, v176
	s_and_saveexec_b64 s[82:83], vcc
	s_cbranch_execz .LBB841_497
.LBB841_563:                            ;   in Loop: Header=BB841_398 Depth=2
	global_load_dwordx2 v[35:36], v[39:40], off offset:512
	s_or_b64 exec, exec, s[82:83]
	v_cmp_lt_u32_e32 vcc, v157, v176
	s_and_saveexec_b64 s[82:83], vcc
	s_cbranch_execz .LBB841_498
.LBB841_564:                            ;   in Loop: Header=BB841_398 Depth=2
	global_load_dwordx2 v[33:34], v[39:40], off offset:1024
	s_or_b64 exec, exec, s[82:83]
	v_cmp_lt_u32_e32 vcc, v158, v176
	s_and_saveexec_b64 s[82:83], vcc
	s_cbranch_execz .LBB841_499
.LBB841_565:                            ;   in Loop: Header=BB841_398 Depth=2
	global_load_dwordx2 v[29:30], v[39:40], off offset:1536
	s_or_b64 exec, exec, s[82:83]
	v_cmp_lt_u32_e32 vcc, v159, v176
	s_and_saveexec_b64 s[82:83], vcc
	s_cbranch_execz .LBB841_500
.LBB841_566:                            ;   in Loop: Header=BB841_398 Depth=2
	global_load_dwordx2 v[25:26], v[39:40], off offset:2048
	s_or_b64 exec, exec, s[82:83]
	v_cmp_lt_u32_e32 vcc, v160, v176
	s_and_saveexec_b64 s[82:83], vcc
	s_cbranch_execz .LBB841_501
.LBB841_567:                            ;   in Loop: Header=BB841_398 Depth=2
	global_load_dwordx2 v[21:22], v[39:40], off offset:2560
	s_or_b64 exec, exec, s[82:83]
	v_cmp_lt_u32_e32 vcc, v161, v176
	s_and_saveexec_b64 s[82:83], vcc
	s_cbranch_execz .LBB841_502
.LBB841_568:                            ;   in Loop: Header=BB841_398 Depth=2
	global_load_dwordx2 v[17:18], v[39:40], off offset:3072
	s_or_b64 exec, exec, s[82:83]
	v_cmp_lt_u32_e32 vcc, v162, v176
	s_and_saveexec_b64 s[82:83], vcc
	s_cbranch_execz .LBB841_503
.LBB841_569:                            ;   in Loop: Header=BB841_398 Depth=2
	global_load_dwordx2 v[13:14], v[39:40], off offset:3584
	s_or_b64 exec, exec, s[82:83]
	v_cmp_lt_u32_e32 vcc, v163, v176
	s_and_saveexec_b64 s[82:83], vcc
	s_cbranch_execz .LBB841_504
.LBB841_570:                            ;   in Loop: Header=BB841_398 Depth=2
	v_add_co_u32_e32 v31, vcc, 0x1000, v39
	v_addc_co_u32_e32 v32, vcc, 0, v40, vcc
	global_load_dwordx2 v[31:32], v[31:32], off
	s_or_b64 exec, exec, s[82:83]
	v_cmp_lt_u32_e32 vcc, v164, v176
	s_and_saveexec_b64 s[82:83], vcc
	s_cbranch_execz .LBB841_505
.LBB841_571:                            ;   in Loop: Header=BB841_398 Depth=2
	v_add_co_u32_e32 v27, vcc, 0x1000, v39
	v_addc_co_u32_e32 v28, vcc, 0, v40, vcc
	global_load_dwordx2 v[27:28], v[27:28], off offset:512
	s_or_b64 exec, exec, s[82:83]
	v_cmp_lt_u32_e32 vcc, v165, v176
	s_and_saveexec_b64 s[82:83], vcc
	s_cbranch_execz .LBB841_506
.LBB841_572:                            ;   in Loop: Header=BB841_398 Depth=2
	v_add_co_u32_e32 v23, vcc, 0x1000, v39
	v_addc_co_u32_e32 v24, vcc, 0, v40, vcc
	global_load_dwordx2 v[23:24], v[23:24], off offset:1024
	s_or_b64 exec, exec, s[82:83]
	v_cmp_lt_u32_e32 vcc, v166, v176
	s_and_saveexec_b64 s[82:83], vcc
	s_cbranch_execz .LBB841_507
.LBB841_573:                            ;   in Loop: Header=BB841_398 Depth=2
	v_add_co_u32_e32 v19, vcc, 0x1000, v39
	v_addc_co_u32_e32 v20, vcc, 0, v40, vcc
	global_load_dwordx2 v[19:20], v[19:20], off offset:1536
	s_or_b64 exec, exec, s[82:83]
	v_cmp_lt_u32_e32 vcc, v167, v176
	s_and_saveexec_b64 s[82:83], vcc
	s_cbranch_execz .LBB841_508
.LBB841_574:                            ;   in Loop: Header=BB841_398 Depth=2
	v_add_co_u32_e32 v15, vcc, 0x1000, v39
	v_addc_co_u32_e32 v16, vcc, 0, v40, vcc
	global_load_dwordx2 v[15:16], v[15:16], off offset:2048
	s_or_b64 exec, exec, s[82:83]
	v_cmp_lt_u32_e32 vcc, v168, v176
	s_and_saveexec_b64 s[82:83], vcc
	s_cbranch_execz .LBB841_509
.LBB841_575:                            ;   in Loop: Header=BB841_398 Depth=2
	v_add_co_u32_e32 v11, vcc, 0x1000, v39
	v_addc_co_u32_e32 v12, vcc, 0, v40, vcc
	global_load_dwordx2 v[11:12], v[11:12], off offset:2560
	s_or_b64 exec, exec, s[82:83]
	v_cmp_lt_u32_e32 vcc, v169, v176
	s_and_saveexec_b64 s[82:83], vcc
	s_cbranch_execz .LBB841_510
.LBB841_576:                            ;   in Loop: Header=BB841_398 Depth=2
	v_add_co_u32_e32 v9, vcc, 0x1000, v39
	v_addc_co_u32_e32 v10, vcc, 0, v40, vcc
	global_load_dwordx2 v[9:10], v[9:10], off offset:3072
	s_or_b64 exec, exec, s[82:83]
	v_cmp_lt_u32_e32 vcc, v170, v176
	s_and_saveexec_b64 s[82:83], vcc
	s_cbranch_execz .LBB841_511
.LBB841_577:                            ;   in Loop: Header=BB841_398 Depth=2
	v_add_co_u32_e32 v7, vcc, 0x1000, v39
	v_addc_co_u32_e32 v8, vcc, 0, v40, vcc
	global_load_dwordx2 v[7:8], v[7:8], off offset:3584
	s_or_b64 exec, exec, s[82:83]
	s_and_saveexec_b64 s[82:83], s[40:41]
	s_cbranch_execz .LBB841_512
.LBB841_578:                            ;   in Loop: Header=BB841_398 Depth=2
	ds_read_b64 v[39:40], v106 offset:512
	s_waitcnt lgkmcnt(0)
	v_lshrrev_b64 v[39:40], s97, v[39:40]
	v_and_b32_e32 v152, s99, v39
	s_or_b64 exec, exec, s[82:83]
	s_and_saveexec_b64 s[82:83], s[42:43]
	s_cbranch_execz .LBB841_513
.LBB841_579:                            ;   in Loop: Header=BB841_398 Depth=2
	ds_read_b64 v[39:40], v106 offset:2560
	s_waitcnt lgkmcnt(0)
	v_lshrrev_b64 v[39:40], s97, v[39:40]
	v_and_b32_e32 v151, s99, v39
	s_or_b64 exec, exec, s[82:83]
	s_and_saveexec_b64 s[82:83], s[44:45]
	s_cbranch_execz .LBB841_514
.LBB841_580:                            ;   in Loop: Header=BB841_398 Depth=2
	ds_read_b64 v[39:40], v106 offset:4608
	s_waitcnt lgkmcnt(0)
	v_lshrrev_b64 v[39:40], s97, v[39:40]
	v_and_b32_e32 v150, s99, v39
	s_or_b64 exec, exec, s[82:83]
	s_and_saveexec_b64 s[82:83], s[46:47]
	s_cbranch_execz .LBB841_515
.LBB841_581:                            ;   in Loop: Header=BB841_398 Depth=2
	ds_read_b64 v[39:40], v106 offset:6656
	s_waitcnt lgkmcnt(0)
	v_lshrrev_b64 v[39:40], s97, v[39:40]
	v_and_b32_e32 v149, s99, v39
	s_or_b64 exec, exec, s[82:83]
	s_and_saveexec_b64 s[82:83], s[48:49]
	s_cbranch_execz .LBB841_516
.LBB841_582:                            ;   in Loop: Header=BB841_398 Depth=2
	ds_read_b64 v[39:40], v106 offset:8704
	s_waitcnt lgkmcnt(0)
	v_lshrrev_b64 v[39:40], s97, v[39:40]
	v_and_b32_e32 v148, s99, v39
	s_or_b64 exec, exec, s[82:83]
	s_and_saveexec_b64 s[82:83], s[50:51]
	s_cbranch_execz .LBB841_517
.LBB841_583:                            ;   in Loop: Header=BB841_398 Depth=2
	ds_read_b64 v[39:40], v106 offset:10752
	s_waitcnt lgkmcnt(0)
	v_lshrrev_b64 v[39:40], s97, v[39:40]
	v_and_b32_e32 v147, s99, v39
	s_or_b64 exec, exec, s[82:83]
	s_and_saveexec_b64 s[82:83], s[52:53]
	s_cbranch_execz .LBB841_518
.LBB841_584:                            ;   in Loop: Header=BB841_398 Depth=2
	ds_read_b64 v[39:40], v106 offset:12800
	s_waitcnt lgkmcnt(0)
	v_lshrrev_b64 v[39:40], s97, v[39:40]
	v_and_b32_e32 v146, s99, v39
	s_or_b64 exec, exec, s[82:83]
	s_and_saveexec_b64 s[82:83], s[54:55]
	s_cbranch_execz .LBB841_519
.LBB841_585:                            ;   in Loop: Header=BB841_398 Depth=2
	ds_read_b64 v[39:40], v106 offset:14848
	s_waitcnt lgkmcnt(0)
	v_lshrrev_b64 v[39:40], s97, v[39:40]
	v_and_b32_e32 v145, s99, v39
	s_or_b64 exec, exec, s[82:83]
	s_and_saveexec_b64 s[82:83], s[56:57]
	s_cbranch_execz .LBB841_520
.LBB841_586:                            ;   in Loop: Header=BB841_398 Depth=2
	ds_read_b64 v[39:40], v106 offset:16896
	s_waitcnt lgkmcnt(0)
	v_lshrrev_b64 v[39:40], s97, v[39:40]
	v_and_b32_e32 v144, s99, v39
	s_or_b64 exec, exec, s[82:83]
	s_and_saveexec_b64 s[82:83], s[58:59]
	s_cbranch_execz .LBB841_521
.LBB841_587:                            ;   in Loop: Header=BB841_398 Depth=2
	ds_read_b64 v[39:40], v106 offset:18944
	s_waitcnt lgkmcnt(0)
	v_lshrrev_b64 v[39:40], s97, v[39:40]
	v_and_b32_e32 v143, s99, v39
	s_or_b64 exec, exec, s[82:83]
	s_and_saveexec_b64 s[82:83], s[60:61]
	s_cbranch_execz .LBB841_522
.LBB841_588:                            ;   in Loop: Header=BB841_398 Depth=2
	ds_read_b64 v[39:40], v106 offset:20992
	s_waitcnt lgkmcnt(0)
	v_lshrrev_b64 v[39:40], s97, v[39:40]
	v_and_b32_e32 v142, s99, v39
	s_or_b64 exec, exec, s[82:83]
	s_and_saveexec_b64 s[82:83], s[62:63]
	s_cbranch_execz .LBB841_523
.LBB841_589:                            ;   in Loop: Header=BB841_398 Depth=2
	ds_read_b64 v[39:40], v106 offset:23040
	s_waitcnt lgkmcnt(0)
	v_lshrrev_b64 v[39:40], s97, v[39:40]
	v_and_b32_e32 v141, s99, v39
	s_or_b64 exec, exec, s[82:83]
	s_and_saveexec_b64 s[82:83], s[64:65]
	s_cbranch_execz .LBB841_524
.LBB841_590:                            ;   in Loop: Header=BB841_398 Depth=2
	ds_read_b64 v[39:40], v106 offset:25088
	s_waitcnt lgkmcnt(0)
	v_lshrrev_b64 v[39:40], s97, v[39:40]
	v_and_b32_e32 v140, s99, v39
	s_or_b64 exec, exec, s[82:83]
	s_and_saveexec_b64 s[82:83], s[66:67]
	s_cbranch_execz .LBB841_525
.LBB841_591:                            ;   in Loop: Header=BB841_398 Depth=2
	ds_read_b64 v[39:40], v106 offset:27136
	s_waitcnt lgkmcnt(0)
	v_lshrrev_b64 v[39:40], s97, v[39:40]
	v_and_b32_e32 v139, s99, v39
	s_or_b64 exec, exec, s[82:83]
	s_and_saveexec_b64 s[82:83], s[68:69]
	s_cbranch_execz .LBB841_526
.LBB841_592:                            ;   in Loop: Header=BB841_398 Depth=2
	ds_read_b64 v[39:40], v106 offset:29184
	s_waitcnt lgkmcnt(0)
	v_lshrrev_b64 v[39:40], s97, v[39:40]
	v_and_b32_e32 v138, s99, v39
	s_or_b64 exec, exec, s[82:83]
	s_and_saveexec_b64 s[82:83], s[70:71]
	s_cbranch_execnz .LBB841_527
	s_branch .LBB841_528
.LBB841_593:                            ;   in Loop: Header=BB841_398 Depth=2
	v_lshlrev_b32_e32 v4, 2, v152
	ds_read_b32 v4, v4
	ds_read_b64 v[39:40], v106 offset:512
	v_mov_b32_e32 v42, v3
	v_mov_b32_e32 v43, s87
	s_waitcnt lgkmcnt(1)
	v_add_u32_e32 v41, v4, v0
	v_lshlrev_b64 v[41:42], 3, v[41:42]
	v_add_co_u32_e32 v41, vcc, s86, v41
	v_addc_co_u32_e32 v42, vcc, v43, v42, vcc
	s_waitcnt lgkmcnt(0)
	global_store_dwordx2 v[41:42], v[39:40], off
	s_or_b64 exec, exec, s[82:83]
	s_and_saveexec_b64 s[40:41], s[42:43]
	s_cbranch_execz .LBB841_530
.LBB841_594:                            ;   in Loop: Header=BB841_398 Depth=2
	v_lshlrev_b32_e32 v4, 2, v151
	ds_read_b32 v4, v4
	ds_read_b64 v[39:40], v106 offset:2560
	v_mov_b32_e32 v42, v3
	v_mov_b32_e32 v43, s87
	s_waitcnt lgkmcnt(1)
	v_add_u32_e32 v41, v4, v74
	v_lshlrev_b64 v[41:42], 3, v[41:42]
	v_add_co_u32_e32 v41, vcc, s86, v41
	v_addc_co_u32_e32 v42, vcc, v43, v42, vcc
	s_waitcnt lgkmcnt(0)
	global_store_dwordx2 v[41:42], v[39:40], off
	s_or_b64 exec, exec, s[40:41]
	s_and_saveexec_b64 s[40:41], s[44:45]
	s_cbranch_execz .LBB841_531
.LBB841_595:                            ;   in Loop: Header=BB841_398 Depth=2
	v_lshlrev_b32_e32 v4, 2, v150
	ds_read_b32 v4, v4
	ds_read_b64 v[39:40], v106 offset:4608
	v_mov_b32_e32 v42, v3
	v_mov_b32_e32 v43, s87
	s_waitcnt lgkmcnt(1)
	v_add_u32_e32 v41, v4, v77
	v_lshlrev_b64 v[41:42], 3, v[41:42]
	v_add_co_u32_e32 v41, vcc, s86, v41
	v_addc_co_u32_e32 v42, vcc, v43, v42, vcc
	s_waitcnt lgkmcnt(0)
	global_store_dwordx2 v[41:42], v[39:40], off
	s_or_b64 exec, exec, s[40:41]
	s_and_saveexec_b64 s[40:41], s[46:47]
	s_cbranch_execz .LBB841_532
.LBB841_596:                            ;   in Loop: Header=BB841_398 Depth=2
	v_lshlrev_b32_e32 v4, 2, v149
	ds_read_b32 v4, v4
	ds_read_b64 v[39:40], v106 offset:6656
	v_mov_b32_e32 v42, v3
	v_mov_b32_e32 v43, s87
	s_waitcnt lgkmcnt(1)
	v_add_u32_e32 v41, v4, v78
	v_lshlrev_b64 v[41:42], 3, v[41:42]
	v_add_co_u32_e32 v41, vcc, s86, v41
	v_addc_co_u32_e32 v42, vcc, v43, v42, vcc
	s_waitcnt lgkmcnt(0)
	global_store_dwordx2 v[41:42], v[39:40], off
	s_or_b64 exec, exec, s[40:41]
	s_and_saveexec_b64 s[40:41], s[48:49]
	s_cbranch_execz .LBB841_533
.LBB841_597:                            ;   in Loop: Header=BB841_398 Depth=2
	v_lshlrev_b32_e32 v4, 2, v148
	ds_read_b32 v4, v4
	ds_read_b64 v[39:40], v106 offset:8704
	v_mov_b32_e32 v42, v3
	v_mov_b32_e32 v43, s87
	s_waitcnt lgkmcnt(1)
	v_add_u32_e32 v41, v4, v79
	v_lshlrev_b64 v[41:42], 3, v[41:42]
	v_add_co_u32_e32 v41, vcc, s86, v41
	v_addc_co_u32_e32 v42, vcc, v43, v42, vcc
	s_waitcnt lgkmcnt(0)
	global_store_dwordx2 v[41:42], v[39:40], off
	s_or_b64 exec, exec, s[40:41]
	s_and_saveexec_b64 s[40:41], s[50:51]
	s_cbranch_execz .LBB841_534
.LBB841_598:                            ;   in Loop: Header=BB841_398 Depth=2
	v_lshlrev_b32_e32 v4, 2, v147
	ds_read_b32 v4, v4
	ds_read_b64 v[39:40], v106 offset:10752
	v_mov_b32_e32 v42, v3
	v_mov_b32_e32 v43, s87
	s_waitcnt lgkmcnt(1)
	v_add_u32_e32 v41, v4, v80
	v_lshlrev_b64 v[41:42], 3, v[41:42]
	v_add_co_u32_e32 v41, vcc, s86, v41
	v_addc_co_u32_e32 v42, vcc, v43, v42, vcc
	s_waitcnt lgkmcnt(0)
	global_store_dwordx2 v[41:42], v[39:40], off
	s_or_b64 exec, exec, s[40:41]
	s_and_saveexec_b64 s[40:41], s[52:53]
	s_cbranch_execz .LBB841_535
.LBB841_599:                            ;   in Loop: Header=BB841_398 Depth=2
	v_lshlrev_b32_e32 v4, 2, v146
	ds_read_b32 v4, v4
	ds_read_b64 v[39:40], v106 offset:12800
	v_mov_b32_e32 v42, v3
	v_mov_b32_e32 v43, s87
	s_waitcnt lgkmcnt(1)
	v_add_u32_e32 v41, v4, v81
	v_lshlrev_b64 v[41:42], 3, v[41:42]
	v_add_co_u32_e32 v41, vcc, s86, v41
	v_addc_co_u32_e32 v42, vcc, v43, v42, vcc
	s_waitcnt lgkmcnt(0)
	global_store_dwordx2 v[41:42], v[39:40], off
	s_or_b64 exec, exec, s[40:41]
	s_and_saveexec_b64 s[40:41], s[54:55]
	s_cbranch_execz .LBB841_536
.LBB841_600:                            ;   in Loop: Header=BB841_398 Depth=2
	v_lshlrev_b32_e32 v4, 2, v145
	ds_read_b32 v4, v4
	ds_read_b64 v[39:40], v106 offset:14848
	v_mov_b32_e32 v42, v3
	v_mov_b32_e32 v43, s87
	s_waitcnt lgkmcnt(1)
	v_add_u32_e32 v41, v4, v82
	v_lshlrev_b64 v[41:42], 3, v[41:42]
	v_add_co_u32_e32 v41, vcc, s86, v41
	v_addc_co_u32_e32 v42, vcc, v43, v42, vcc
	s_waitcnt lgkmcnt(0)
	global_store_dwordx2 v[41:42], v[39:40], off
	s_or_b64 exec, exec, s[40:41]
	s_and_saveexec_b64 s[40:41], s[56:57]
	s_cbranch_execz .LBB841_537
.LBB841_601:                            ;   in Loop: Header=BB841_398 Depth=2
	v_lshlrev_b32_e32 v4, 2, v144
	ds_read_b32 v4, v4
	ds_read_b64 v[39:40], v106 offset:16896
	v_mov_b32_e32 v42, v3
	v_mov_b32_e32 v43, s87
	s_waitcnt lgkmcnt(1)
	v_add_u32_e32 v41, v4, v83
	v_lshlrev_b64 v[41:42], 3, v[41:42]
	v_add_co_u32_e32 v41, vcc, s86, v41
	v_addc_co_u32_e32 v42, vcc, v43, v42, vcc
	s_waitcnt lgkmcnt(0)
	global_store_dwordx2 v[41:42], v[39:40], off
	s_or_b64 exec, exec, s[40:41]
	s_and_saveexec_b64 s[40:41], s[58:59]
	s_cbranch_execz .LBB841_538
.LBB841_602:                            ;   in Loop: Header=BB841_398 Depth=2
	v_lshlrev_b32_e32 v4, 2, v143
	ds_read_b32 v4, v4
	ds_read_b64 v[39:40], v106 offset:18944
	v_mov_b32_e32 v42, v3
	v_mov_b32_e32 v43, s87
	s_waitcnt lgkmcnt(1)
	v_add_u32_e32 v41, v4, v84
	v_lshlrev_b64 v[41:42], 3, v[41:42]
	v_add_co_u32_e32 v41, vcc, s86, v41
	v_addc_co_u32_e32 v42, vcc, v43, v42, vcc
	s_waitcnt lgkmcnt(0)
	global_store_dwordx2 v[41:42], v[39:40], off
	s_or_b64 exec, exec, s[40:41]
	s_and_saveexec_b64 s[40:41], s[60:61]
	s_cbranch_execz .LBB841_539
.LBB841_603:                            ;   in Loop: Header=BB841_398 Depth=2
	v_lshlrev_b32_e32 v4, 2, v142
	ds_read_b32 v4, v4
	ds_read_b64 v[39:40], v106 offset:20992
	v_mov_b32_e32 v42, v3
	v_mov_b32_e32 v43, s87
	s_waitcnt lgkmcnt(1)
	v_add_u32_e32 v41, v4, v85
	v_lshlrev_b64 v[41:42], 3, v[41:42]
	v_add_co_u32_e32 v41, vcc, s86, v41
	v_addc_co_u32_e32 v42, vcc, v43, v42, vcc
	s_waitcnt lgkmcnt(0)
	global_store_dwordx2 v[41:42], v[39:40], off
	s_or_b64 exec, exec, s[40:41]
	s_and_saveexec_b64 s[40:41], s[62:63]
	s_cbranch_execz .LBB841_540
.LBB841_604:                            ;   in Loop: Header=BB841_398 Depth=2
	v_lshlrev_b32_e32 v4, 2, v141
	ds_read_b32 v4, v4
	ds_read_b64 v[39:40], v106 offset:23040
	v_mov_b32_e32 v42, v3
	v_mov_b32_e32 v43, s87
	s_waitcnt lgkmcnt(1)
	v_add_u32_e32 v41, v4, v86
	v_lshlrev_b64 v[41:42], 3, v[41:42]
	v_add_co_u32_e32 v41, vcc, s86, v41
	v_addc_co_u32_e32 v42, vcc, v43, v42, vcc
	s_waitcnt lgkmcnt(0)
	global_store_dwordx2 v[41:42], v[39:40], off
	s_or_b64 exec, exec, s[40:41]
	s_and_saveexec_b64 s[40:41], s[64:65]
	s_cbranch_execz .LBB841_541
.LBB841_605:                            ;   in Loop: Header=BB841_398 Depth=2
	v_lshlrev_b32_e32 v4, 2, v140
	ds_read_b32 v4, v4
	ds_read_b64 v[39:40], v106 offset:25088
	v_mov_b32_e32 v42, v3
	v_mov_b32_e32 v43, s87
	s_waitcnt lgkmcnt(1)
	v_add_u32_e32 v41, v4, v87
	v_lshlrev_b64 v[41:42], 3, v[41:42]
	v_add_co_u32_e32 v41, vcc, s86, v41
	v_addc_co_u32_e32 v42, vcc, v43, v42, vcc
	s_waitcnt lgkmcnt(0)
	global_store_dwordx2 v[41:42], v[39:40], off
	s_or_b64 exec, exec, s[40:41]
	s_and_saveexec_b64 s[40:41], s[66:67]
	s_cbranch_execz .LBB841_542
.LBB841_606:                            ;   in Loop: Header=BB841_398 Depth=2
	v_lshlrev_b32_e32 v4, 2, v139
	ds_read_b32 v4, v4
	ds_read_b64 v[39:40], v106 offset:27136
	v_mov_b32_e32 v42, v3
	v_mov_b32_e32 v43, s87
	s_waitcnt lgkmcnt(1)
	v_add_u32_e32 v41, v4, v88
	v_lshlrev_b64 v[41:42], 3, v[41:42]
	v_add_co_u32_e32 v41, vcc, s86, v41
	v_addc_co_u32_e32 v42, vcc, v43, v42, vcc
	s_waitcnt lgkmcnt(0)
	global_store_dwordx2 v[41:42], v[39:40], off
	s_or_b64 exec, exec, s[40:41]
	s_and_saveexec_b64 s[40:41], s[68:69]
	s_cbranch_execz .LBB841_543
.LBB841_607:                            ;   in Loop: Header=BB841_398 Depth=2
	v_lshlrev_b32_e32 v4, 2, v138
	ds_read_b32 v4, v4
	ds_read_b64 v[39:40], v106 offset:29184
	v_mov_b32_e32 v42, v3
	v_mov_b32_e32 v43, s87
	s_waitcnt lgkmcnt(1)
	v_add_u32_e32 v41, v4, v89
	v_lshlrev_b64 v[41:42], 3, v[41:42]
	v_add_co_u32_e32 v41, vcc, s86, v41
	v_addc_co_u32_e32 v42, vcc, v43, v42, vcc
	s_waitcnt lgkmcnt(0)
	global_store_dwordx2 v[41:42], v[39:40], off
	s_or_b64 exec, exec, s[40:41]
	s_and_saveexec_b64 s[40:41], s[70:71]
	s_cbranch_execnz .LBB841_544
	s_branch .LBB841_545
.LBB841_608:                            ;   in Loop: Header=BB841_20 Depth=1
	s_waitcnt lgkmcnt(0)
	s_barrier
.LBB841_609:                            ;   in Loop: Header=BB841_20 Depth=1
	s_mov_b64 s[20:21], 0
.LBB841_610:                            ;   in Loop: Header=BB841_20 Depth=1
	s_andn2_b64 vcc, exec, s[20:21]
	s_cbranch_vccnz .LBB841_19
; %bb.611:                              ;   in Loop: Header=BB841_20 Depth=1
	s_lshl_b32 s6, -1, s98
	s_not_b32 s98, s6
	s_mov_b64 s[20:21], -1
	s_and_b64 vcc, exec, s[74:75]
	s_cbranch_vccz .LBB841_905
; %bb.612:                              ;   in Loop: Header=BB841_20 Depth=1
	s_mov_b32 s6, s33
	s_mov_b32 s92, s73
	s_barrier
                                        ; implicit-def: $vgpr7_vgpr8
                                        ; implicit-def: $vgpr9_vgpr10
                                        ; implicit-def: $vgpr11_vgpr12
                                        ; implicit-def: $vgpr13_vgpr14
                                        ; implicit-def: $vgpr15_vgpr16
                                        ; implicit-def: $vgpr17_vgpr18
                                        ; implicit-def: $vgpr19_vgpr20
                                        ; implicit-def: $vgpr21_vgpr22
                                        ; implicit-def: $vgpr23_vgpr24
                                        ; implicit-def: $vgpr25_vgpr26
                                        ; implicit-def: $vgpr27_vgpr28
                                        ; implicit-def: $vgpr29_vgpr30
                                        ; implicit-def: $vgpr31_vgpr32
                                        ; implicit-def: $vgpr33_vgpr34
                                        ; implicit-def: $vgpr35_vgpr36
                                        ; implicit-def: $vgpr37_vgpr38
	s_branch .LBB841_614
.LBB841_613:                            ;   in Loop: Header=BB841_614 Depth=2
	s_or_b64 exec, exec, s[20:21]
	s_addk_i32 s6, 0xf000
	s_cmp_ge_u32 s7, s96
	s_mov_b32 s92, s7
	s_cbranch_scc1 .LBB841_682
.LBB841_614:                            ;   Parent Loop BB841_20 Depth=1
                                        ; =>  This Inner Loop Header: Depth=2
	s_add_i32 s7, s92, 0x1000
	s_cmp_gt_u32 s7, s96
	s_mov_b64 s[20:21], -1
                                        ; implicit-def: $vgpr39_vgpr40
                                        ; implicit-def: $vgpr41_vgpr42
                                        ; implicit-def: $vgpr43_vgpr44
                                        ; implicit-def: $vgpr45_vgpr46
                                        ; implicit-def: $vgpr47_vgpr48
                                        ; implicit-def: $vgpr49_vgpr50
                                        ; implicit-def: $vgpr51_vgpr52
                                        ; implicit-def: $vgpr53_vgpr54
                                        ; implicit-def: $vgpr55_vgpr56
                                        ; implicit-def: $vgpr57_vgpr58
                                        ; implicit-def: $vgpr59_vgpr60
                                        ; implicit-def: $vgpr61_vgpr62
                                        ; implicit-def: $vgpr63_vgpr64
                                        ; implicit-def: $vgpr65_vgpr66
                                        ; implicit-def: $vgpr67_vgpr68
                                        ; implicit-def: $vgpr69_vgpr70
	s_cbranch_scc1 .LBB841_616
; %bb.615:                              ;   in Loop: Header=BB841_614 Depth=2
	s_lshl_b64 s[20:21], s[92:93], 3
	v_mov_b32_e32 v4, s21
	v_add_co_u32_e32 v63, vcc, s20, v113
	v_addc_co_u32_e32 v64, vcc, v114, v4, vcc
	v_add_co_u32_e32 v47, vcc, 0x1000, v63
	v_addc_co_u32_e32 v48, vcc, 0, v64, vcc
	v_add_co_u32_e32 v55, vcc, 0x2000, v63
	v_addc_co_u32_e32 v56, vcc, 0, v64, vcc
	v_add_co_u32_e32 v57, vcc, 0x3000, v63
	v_addc_co_u32_e32 v58, vcc, 0, v64, vcc
	global_load_dwordx2 v[39:40], v[63:64], off
	global_load_dwordx2 v[41:42], v[63:64], off offset:2048
	global_load_dwordx2 v[43:44], v[47:48], off
	global_load_dwordx2 v[45:46], v[47:48], off offset:2048
	s_nop 0
	global_load_dwordx2 v[47:48], v[55:56], off
	global_load_dwordx2 v[49:50], v[55:56], off offset:2048
	global_load_dwordx2 v[51:52], v[57:58], off
	global_load_dwordx2 v[53:54], v[57:58], off offset:2048
	v_add_co_u32_e32 v57, vcc, 0x4000, v63
	v_addc_co_u32_e32 v58, vcc, 0, v64, vcc
	v_add_co_u32_e32 v61, vcc, 0x5000, v63
	v_addc_co_u32_e32 v62, vcc, 0, v64, vcc
	;; [unrolled: 2-line block ×4, first 2 shown]
	global_load_dwordx2 v[55:56], v[57:58], off
	s_nop 0
	global_load_dwordx2 v[57:58], v[57:58], off offset:2048
	s_nop 0
	global_load_dwordx2 v[59:60], v[61:62], off
	s_nop 0
	global_load_dwordx2 v[61:62], v[61:62], off offset:2048
	s_nop 0
	;; [unrolled: 4-line block ×3, first 2 shown]
	global_load_dwordx2 v[67:68], v[69:70], off
	s_nop 0
	global_load_dwordx2 v[69:70], v[69:70], off offset:2048
	s_mov_b64 s[20:21], 0
.LBB841_616:                            ;   in Loop: Header=BB841_614 Depth=2
	s_andn2_b64 vcc, exec, s[20:21]
	s_movk_i32 s22, 0x1000
	s_cbranch_vccnz .LBB841_635
; %bb.617:                              ;   in Loop: Header=BB841_614 Depth=2
	s_lshl_b64 s[20:21], s[92:93], 3
	s_add_u32 s20, s76, s20
	s_addc_u32 s21, s77, s21
	v_cmp_gt_u32_e32 vcc, s6, v0
	s_and_saveexec_b64 s[22:23], vcc
	s_cbranch_execnz .LBB841_667
; %bb.618:                              ;   in Loop: Header=BB841_614 Depth=2
	s_or_b64 exec, exec, s[22:23]
	v_cmp_gt_u32_e32 vcc, s6, v74
	s_and_saveexec_b64 s[22:23], vcc
	s_cbranch_execnz .LBB841_668
.LBB841_619:                            ;   in Loop: Header=BB841_614 Depth=2
	s_or_b64 exec, exec, s[22:23]
	v_cmp_gt_u32_e32 vcc, s6, v77
	s_and_saveexec_b64 s[22:23], vcc
	s_cbranch_execnz .LBB841_669
.LBB841_620:                            ;   in Loop: Header=BB841_614 Depth=2
	s_or_b64 exec, exec, s[22:23]
	v_cmp_gt_u32_e32 vcc, s6, v78
	s_and_saveexec_b64 s[22:23], vcc
	s_cbranch_execnz .LBB841_670
.LBB841_621:                            ;   in Loop: Header=BB841_614 Depth=2
	s_or_b64 exec, exec, s[22:23]
	v_cmp_gt_u32_e32 vcc, s6, v79
	s_and_saveexec_b64 s[22:23], vcc
	s_cbranch_execnz .LBB841_671
.LBB841_622:                            ;   in Loop: Header=BB841_614 Depth=2
	s_or_b64 exec, exec, s[22:23]
	v_cmp_gt_u32_e32 vcc, s6, v80
	s_and_saveexec_b64 s[22:23], vcc
	s_cbranch_execnz .LBB841_672
.LBB841_623:                            ;   in Loop: Header=BB841_614 Depth=2
	s_or_b64 exec, exec, s[22:23]
	v_cmp_gt_u32_e32 vcc, s6, v81
	s_and_saveexec_b64 s[22:23], vcc
	s_cbranch_execnz .LBB841_673
.LBB841_624:                            ;   in Loop: Header=BB841_614 Depth=2
	s_or_b64 exec, exec, s[22:23]
	v_cmp_gt_u32_e32 vcc, s6, v82
	s_and_saveexec_b64 s[22:23], vcc
	s_cbranch_execnz .LBB841_674
.LBB841_625:                            ;   in Loop: Header=BB841_614 Depth=2
	s_or_b64 exec, exec, s[22:23]
	v_cmp_gt_u32_e32 vcc, s6, v83
	s_and_saveexec_b64 s[22:23], vcc
	s_cbranch_execnz .LBB841_675
.LBB841_626:                            ;   in Loop: Header=BB841_614 Depth=2
	s_or_b64 exec, exec, s[22:23]
	v_cmp_gt_u32_e32 vcc, s6, v84
	s_and_saveexec_b64 s[22:23], vcc
	s_cbranch_execnz .LBB841_676
.LBB841_627:                            ;   in Loop: Header=BB841_614 Depth=2
	s_or_b64 exec, exec, s[22:23]
	v_cmp_gt_u32_e32 vcc, s6, v85
	s_and_saveexec_b64 s[22:23], vcc
	s_cbranch_execnz .LBB841_677
.LBB841_628:                            ;   in Loop: Header=BB841_614 Depth=2
	s_or_b64 exec, exec, s[22:23]
	v_cmp_gt_u32_e32 vcc, s6, v86
	s_and_saveexec_b64 s[22:23], vcc
	s_cbranch_execnz .LBB841_678
.LBB841_629:                            ;   in Loop: Header=BB841_614 Depth=2
	s_or_b64 exec, exec, s[22:23]
	v_cmp_gt_u32_e32 vcc, s6, v87
	s_and_saveexec_b64 s[22:23], vcc
	s_cbranch_execnz .LBB841_679
.LBB841_630:                            ;   in Loop: Header=BB841_614 Depth=2
	s_or_b64 exec, exec, s[22:23]
	v_cmp_gt_u32_e32 vcc, s6, v88
	s_and_saveexec_b64 s[22:23], vcc
	s_cbranch_execnz .LBB841_680
.LBB841_631:                            ;   in Loop: Header=BB841_614 Depth=2
	s_or_b64 exec, exec, s[22:23]
	v_cmp_gt_u32_e32 vcc, s6, v89
	s_and_saveexec_b64 s[22:23], vcc
	s_cbranch_execnz .LBB841_681
.LBB841_632:                            ;   in Loop: Header=BB841_614 Depth=2
	s_or_b64 exec, exec, s[22:23]
	v_cmp_gt_u32_e32 vcc, s6, v90
	s_and_saveexec_b64 s[22:23], vcc
	s_cbranch_execz .LBB841_634
.LBB841_633:                            ;   in Loop: Header=BB841_614 Depth=2
	global_load_dwordx2 v[7:8], v134, s[20:21]
.LBB841_634:                            ;   in Loop: Header=BB841_614 Depth=2
	s_or_b64 exec, exec, s[22:23]
	s_waitcnt vmcnt(0)
	v_mov_b32_e32 v40, v38
	v_mov_b32_e32 v42, v36
	;; [unrolled: 1-line block ×16, first 2 shown]
	s_mov_b32 s22, s6
	v_mov_b32_e32 v39, v37
	v_mov_b32_e32 v41, v35
	;; [unrolled: 1-line block ×16, first 2 shown]
.LBB841_635:                            ;   in Loop: Header=BB841_614 Depth=2
	s_waitcnt vmcnt(0)
	v_mov_b32_e32 v7, v69
	v_mov_b32_e32 v9, v67
	;; [unrolled: 1-line block ×32, first 2 shown]
	v_cmp_gt_u32_e32 vcc, s22, v0
	s_and_saveexec_b64 s[20:21], vcc
	s_cbranch_execnz .LBB841_651
; %bb.636:                              ;   in Loop: Header=BB841_614 Depth=2
	s_or_b64 exec, exec, s[20:21]
	v_cmp_gt_u32_e32 vcc, s22, v74
	s_and_saveexec_b64 s[20:21], vcc
	s_cbranch_execnz .LBB841_652
.LBB841_637:                            ;   in Loop: Header=BB841_614 Depth=2
	s_or_b64 exec, exec, s[20:21]
	v_cmp_gt_u32_e32 vcc, s22, v77
	s_and_saveexec_b64 s[20:21], vcc
	s_cbranch_execnz .LBB841_653
.LBB841_638:                            ;   in Loop: Header=BB841_614 Depth=2
	s_or_b64 exec, exec, s[20:21]
	v_cmp_gt_u32_e32 vcc, s22, v78
	s_and_saveexec_b64 s[20:21], vcc
	s_cbranch_execnz .LBB841_654
.LBB841_639:                            ;   in Loop: Header=BB841_614 Depth=2
	s_or_b64 exec, exec, s[20:21]
	v_cmp_gt_u32_e32 vcc, s22, v79
	s_and_saveexec_b64 s[20:21], vcc
	s_cbranch_execnz .LBB841_655
.LBB841_640:                            ;   in Loop: Header=BB841_614 Depth=2
	s_or_b64 exec, exec, s[20:21]
	v_cmp_gt_u32_e32 vcc, s22, v80
	s_and_saveexec_b64 s[20:21], vcc
	s_cbranch_execnz .LBB841_656
.LBB841_641:                            ;   in Loop: Header=BB841_614 Depth=2
	s_or_b64 exec, exec, s[20:21]
	v_cmp_gt_u32_e32 vcc, s22, v81
	s_and_saveexec_b64 s[20:21], vcc
	s_cbranch_execnz .LBB841_657
.LBB841_642:                            ;   in Loop: Header=BB841_614 Depth=2
	s_or_b64 exec, exec, s[20:21]
	v_cmp_gt_u32_e32 vcc, s22, v82
	s_and_saveexec_b64 s[20:21], vcc
	s_cbranch_execnz .LBB841_658
.LBB841_643:                            ;   in Loop: Header=BB841_614 Depth=2
	s_or_b64 exec, exec, s[20:21]
	v_cmp_gt_u32_e32 vcc, s22, v83
	s_and_saveexec_b64 s[20:21], vcc
	s_cbranch_execnz .LBB841_659
.LBB841_644:                            ;   in Loop: Header=BB841_614 Depth=2
	s_or_b64 exec, exec, s[20:21]
	v_cmp_gt_u32_e32 vcc, s22, v84
	s_and_saveexec_b64 s[20:21], vcc
	s_cbranch_execnz .LBB841_660
.LBB841_645:                            ;   in Loop: Header=BB841_614 Depth=2
	s_or_b64 exec, exec, s[20:21]
	v_cmp_gt_u32_e32 vcc, s22, v85
	s_and_saveexec_b64 s[20:21], vcc
	s_cbranch_execnz .LBB841_661
.LBB841_646:                            ;   in Loop: Header=BB841_614 Depth=2
	s_or_b64 exec, exec, s[20:21]
	v_cmp_gt_u32_e32 vcc, s22, v86
	s_and_saveexec_b64 s[20:21], vcc
	s_cbranch_execnz .LBB841_662
.LBB841_647:                            ;   in Loop: Header=BB841_614 Depth=2
	s_or_b64 exec, exec, s[20:21]
	v_cmp_gt_u32_e32 vcc, s22, v87
	s_and_saveexec_b64 s[20:21], vcc
	s_cbranch_execnz .LBB841_663
.LBB841_648:                            ;   in Loop: Header=BB841_614 Depth=2
	s_or_b64 exec, exec, s[20:21]
	v_cmp_gt_u32_e32 vcc, s22, v88
	s_and_saveexec_b64 s[20:21], vcc
	s_cbranch_execnz .LBB841_664
.LBB841_649:                            ;   in Loop: Header=BB841_614 Depth=2
	s_or_b64 exec, exec, s[20:21]
	v_cmp_gt_u32_e32 vcc, s22, v89
	s_and_saveexec_b64 s[20:21], vcc
	s_cbranch_execnz .LBB841_665
.LBB841_650:                            ;   in Loop: Header=BB841_614 Depth=2
	s_or_b64 exec, exec, s[20:21]
	v_cmp_gt_u32_e32 vcc, s22, v90
	s_and_saveexec_b64 s[20:21], vcc
	s_cbranch_execz .LBB841_613
	s_branch .LBB841_666
.LBB841_651:                            ;   in Loop: Header=BB841_614 Depth=2
	v_xor_b32_e32 v40, 0x80000000, v38
	v_mov_b32_e32 v39, v37
	v_lshrrev_b64 v[39:40], s88, v[39:40]
	v_and_b32_e32 v4, s98, v39
	v_lshl_or_b32 v4, v4, 4, v91
	ds_add_u32 v4, v119
	s_or_b64 exec, exec, s[20:21]
	v_cmp_gt_u32_e32 vcc, s22, v74
	s_and_saveexec_b64 s[20:21], vcc
	s_cbranch_execz .LBB841_637
.LBB841_652:                            ;   in Loop: Header=BB841_614 Depth=2
	v_xor_b32_e32 v40, 0x80000000, v36
	v_mov_b32_e32 v39, v35
	v_lshrrev_b64 v[39:40], s88, v[39:40]
	v_and_b32_e32 v4, s98, v39
	v_lshl_or_b32 v4, v4, 4, v91
	ds_add_u32 v4, v119
	s_or_b64 exec, exec, s[20:21]
	v_cmp_gt_u32_e32 vcc, s22, v77
	s_and_saveexec_b64 s[20:21], vcc
	s_cbranch_execz .LBB841_638
.LBB841_653:                            ;   in Loop: Header=BB841_614 Depth=2
	v_xor_b32_e32 v40, 0x80000000, v34
	v_mov_b32_e32 v39, v33
	v_lshrrev_b64 v[39:40], s88, v[39:40]
	v_and_b32_e32 v4, s98, v39
	v_lshl_or_b32 v4, v4, 4, v91
	ds_add_u32 v4, v119
	s_or_b64 exec, exec, s[20:21]
	v_cmp_gt_u32_e32 vcc, s22, v78
	s_and_saveexec_b64 s[20:21], vcc
	s_cbranch_execz .LBB841_639
.LBB841_654:                            ;   in Loop: Header=BB841_614 Depth=2
	v_xor_b32_e32 v40, 0x80000000, v32
	v_mov_b32_e32 v39, v31
	v_lshrrev_b64 v[39:40], s88, v[39:40]
	v_and_b32_e32 v4, s98, v39
	v_lshl_or_b32 v4, v4, 4, v91
	ds_add_u32 v4, v119
	s_or_b64 exec, exec, s[20:21]
	v_cmp_gt_u32_e32 vcc, s22, v79
	s_and_saveexec_b64 s[20:21], vcc
	s_cbranch_execz .LBB841_640
.LBB841_655:                            ;   in Loop: Header=BB841_614 Depth=2
	v_xor_b32_e32 v40, 0x80000000, v30
	v_mov_b32_e32 v39, v29
	v_lshrrev_b64 v[39:40], s88, v[39:40]
	v_and_b32_e32 v4, s98, v39
	v_lshl_or_b32 v4, v4, 4, v91
	ds_add_u32 v4, v119
	s_or_b64 exec, exec, s[20:21]
	v_cmp_gt_u32_e32 vcc, s22, v80
	s_and_saveexec_b64 s[20:21], vcc
	s_cbranch_execz .LBB841_641
.LBB841_656:                            ;   in Loop: Header=BB841_614 Depth=2
	v_xor_b32_e32 v40, 0x80000000, v28
	v_mov_b32_e32 v39, v27
	v_lshrrev_b64 v[39:40], s88, v[39:40]
	v_and_b32_e32 v4, s98, v39
	v_lshl_or_b32 v4, v4, 4, v91
	ds_add_u32 v4, v119
	s_or_b64 exec, exec, s[20:21]
	v_cmp_gt_u32_e32 vcc, s22, v81
	s_and_saveexec_b64 s[20:21], vcc
	s_cbranch_execz .LBB841_642
.LBB841_657:                            ;   in Loop: Header=BB841_614 Depth=2
	v_xor_b32_e32 v40, 0x80000000, v26
	v_mov_b32_e32 v39, v25
	v_lshrrev_b64 v[39:40], s88, v[39:40]
	v_and_b32_e32 v4, s98, v39
	v_lshl_or_b32 v4, v4, 4, v91
	ds_add_u32 v4, v119
	s_or_b64 exec, exec, s[20:21]
	v_cmp_gt_u32_e32 vcc, s22, v82
	s_and_saveexec_b64 s[20:21], vcc
	s_cbranch_execz .LBB841_643
.LBB841_658:                            ;   in Loop: Header=BB841_614 Depth=2
	v_xor_b32_e32 v40, 0x80000000, v24
	v_mov_b32_e32 v39, v23
	v_lshrrev_b64 v[39:40], s88, v[39:40]
	v_and_b32_e32 v4, s98, v39
	v_lshl_or_b32 v4, v4, 4, v91
	ds_add_u32 v4, v119
	s_or_b64 exec, exec, s[20:21]
	v_cmp_gt_u32_e32 vcc, s22, v83
	s_and_saveexec_b64 s[20:21], vcc
	s_cbranch_execz .LBB841_644
.LBB841_659:                            ;   in Loop: Header=BB841_614 Depth=2
	v_xor_b32_e32 v40, 0x80000000, v22
	v_mov_b32_e32 v39, v21
	v_lshrrev_b64 v[39:40], s88, v[39:40]
	v_and_b32_e32 v4, s98, v39
	v_lshl_or_b32 v4, v4, 4, v91
	ds_add_u32 v4, v119
	s_or_b64 exec, exec, s[20:21]
	v_cmp_gt_u32_e32 vcc, s22, v84
	s_and_saveexec_b64 s[20:21], vcc
	s_cbranch_execz .LBB841_645
.LBB841_660:                            ;   in Loop: Header=BB841_614 Depth=2
	v_xor_b32_e32 v40, 0x80000000, v20
	v_mov_b32_e32 v39, v19
	v_lshrrev_b64 v[39:40], s88, v[39:40]
	v_and_b32_e32 v4, s98, v39
	v_lshl_or_b32 v4, v4, 4, v91
	ds_add_u32 v4, v119
	s_or_b64 exec, exec, s[20:21]
	v_cmp_gt_u32_e32 vcc, s22, v85
	s_and_saveexec_b64 s[20:21], vcc
	s_cbranch_execz .LBB841_646
.LBB841_661:                            ;   in Loop: Header=BB841_614 Depth=2
	v_xor_b32_e32 v40, 0x80000000, v18
	v_mov_b32_e32 v39, v17
	v_lshrrev_b64 v[39:40], s88, v[39:40]
	v_and_b32_e32 v4, s98, v39
	v_lshl_or_b32 v4, v4, 4, v91
	ds_add_u32 v4, v119
	s_or_b64 exec, exec, s[20:21]
	v_cmp_gt_u32_e32 vcc, s22, v86
	s_and_saveexec_b64 s[20:21], vcc
	s_cbranch_execz .LBB841_647
.LBB841_662:                            ;   in Loop: Header=BB841_614 Depth=2
	v_xor_b32_e32 v40, 0x80000000, v16
	v_mov_b32_e32 v39, v15
	v_lshrrev_b64 v[39:40], s88, v[39:40]
	v_and_b32_e32 v4, s98, v39
	v_lshl_or_b32 v4, v4, 4, v91
	ds_add_u32 v4, v119
	s_or_b64 exec, exec, s[20:21]
	v_cmp_gt_u32_e32 vcc, s22, v87
	s_and_saveexec_b64 s[20:21], vcc
	s_cbranch_execz .LBB841_648
.LBB841_663:                            ;   in Loop: Header=BB841_614 Depth=2
	v_xor_b32_e32 v40, 0x80000000, v14
	v_mov_b32_e32 v39, v13
	v_lshrrev_b64 v[39:40], s88, v[39:40]
	v_and_b32_e32 v4, s98, v39
	v_lshl_or_b32 v4, v4, 4, v91
	ds_add_u32 v4, v119
	s_or_b64 exec, exec, s[20:21]
	v_cmp_gt_u32_e32 vcc, s22, v88
	s_and_saveexec_b64 s[20:21], vcc
	s_cbranch_execz .LBB841_649
.LBB841_664:                            ;   in Loop: Header=BB841_614 Depth=2
	v_xor_b32_e32 v40, 0x80000000, v12
	v_mov_b32_e32 v39, v11
	v_lshrrev_b64 v[39:40], s88, v[39:40]
	v_and_b32_e32 v4, s98, v39
	v_lshl_or_b32 v4, v4, 4, v91
	ds_add_u32 v4, v119
	s_or_b64 exec, exec, s[20:21]
	v_cmp_gt_u32_e32 vcc, s22, v89
	s_and_saveexec_b64 s[20:21], vcc
	s_cbranch_execz .LBB841_650
.LBB841_665:                            ;   in Loop: Header=BB841_614 Depth=2
	v_xor_b32_e32 v40, 0x80000000, v10
	v_mov_b32_e32 v39, v9
	v_lshrrev_b64 v[39:40], s88, v[39:40]
	v_and_b32_e32 v4, s98, v39
	v_lshl_or_b32 v4, v4, 4, v91
	ds_add_u32 v4, v119
	s_or_b64 exec, exec, s[20:21]
	v_cmp_gt_u32_e32 vcc, s22, v90
	s_and_saveexec_b64 s[20:21], vcc
	s_cbranch_execz .LBB841_613
.LBB841_666:                            ;   in Loop: Header=BB841_614 Depth=2
	v_xor_b32_e32 v40, 0x80000000, v8
	v_mov_b32_e32 v39, v7
	v_lshrrev_b64 v[39:40], s88, v[39:40]
	v_and_b32_e32 v4, s98, v39
	v_lshl_or_b32 v4, v4, 4, v91
	ds_add_u32 v4, v119
	s_branch .LBB841_613
.LBB841_667:                            ;   in Loop: Header=BB841_614 Depth=2
	global_load_dwordx2 v[37:38], v120, s[20:21]
	s_or_b64 exec, exec, s[22:23]
	v_cmp_gt_u32_e32 vcc, s6, v74
	s_and_saveexec_b64 s[22:23], vcc
	s_cbranch_execz .LBB841_619
.LBB841_668:                            ;   in Loop: Header=BB841_614 Depth=2
	global_load_dwordx2 v[35:36], v120, s[20:21] offset:2048
	s_or_b64 exec, exec, s[22:23]
	v_cmp_gt_u32_e32 vcc, s6, v77
	s_and_saveexec_b64 s[22:23], vcc
	s_cbranch_execz .LBB841_620
.LBB841_669:                            ;   in Loop: Header=BB841_614 Depth=2
	global_load_dwordx2 v[33:34], v121, s[20:21]
	s_or_b64 exec, exec, s[22:23]
	v_cmp_gt_u32_e32 vcc, s6, v78
	s_and_saveexec_b64 s[22:23], vcc
	s_cbranch_execz .LBB841_621
.LBB841_670:                            ;   in Loop: Header=BB841_614 Depth=2
	global_load_dwordx2 v[31:32], v122, s[20:21]
	s_or_b64 exec, exec, s[22:23]
	v_cmp_gt_u32_e32 vcc, s6, v79
	s_and_saveexec_b64 s[22:23], vcc
	s_cbranch_execz .LBB841_622
.LBB841_671:                            ;   in Loop: Header=BB841_614 Depth=2
	global_load_dwordx2 v[29:30], v123, s[20:21]
	s_or_b64 exec, exec, s[22:23]
	v_cmp_gt_u32_e32 vcc, s6, v80
	s_and_saveexec_b64 s[22:23], vcc
	s_cbranch_execz .LBB841_623
.LBB841_672:                            ;   in Loop: Header=BB841_614 Depth=2
	global_load_dwordx2 v[27:28], v124, s[20:21]
	s_or_b64 exec, exec, s[22:23]
	v_cmp_gt_u32_e32 vcc, s6, v81
	s_and_saveexec_b64 s[22:23], vcc
	s_cbranch_execz .LBB841_624
.LBB841_673:                            ;   in Loop: Header=BB841_614 Depth=2
	global_load_dwordx2 v[25:26], v125, s[20:21]
	s_or_b64 exec, exec, s[22:23]
	v_cmp_gt_u32_e32 vcc, s6, v82
	s_and_saveexec_b64 s[22:23], vcc
	s_cbranch_execz .LBB841_625
.LBB841_674:                            ;   in Loop: Header=BB841_614 Depth=2
	global_load_dwordx2 v[23:24], v126, s[20:21]
	s_or_b64 exec, exec, s[22:23]
	v_cmp_gt_u32_e32 vcc, s6, v83
	s_and_saveexec_b64 s[22:23], vcc
	s_cbranch_execz .LBB841_626
.LBB841_675:                            ;   in Loop: Header=BB841_614 Depth=2
	global_load_dwordx2 v[21:22], v127, s[20:21]
	s_or_b64 exec, exec, s[22:23]
	v_cmp_gt_u32_e32 vcc, s6, v84
	s_and_saveexec_b64 s[22:23], vcc
	s_cbranch_execz .LBB841_627
.LBB841_676:                            ;   in Loop: Header=BB841_614 Depth=2
	global_load_dwordx2 v[19:20], v128, s[20:21]
	s_or_b64 exec, exec, s[22:23]
	v_cmp_gt_u32_e32 vcc, s6, v85
	s_and_saveexec_b64 s[22:23], vcc
	s_cbranch_execz .LBB841_628
.LBB841_677:                            ;   in Loop: Header=BB841_614 Depth=2
	global_load_dwordx2 v[17:18], v129, s[20:21]
	s_or_b64 exec, exec, s[22:23]
	v_cmp_gt_u32_e32 vcc, s6, v86
	s_and_saveexec_b64 s[22:23], vcc
	s_cbranch_execz .LBB841_629
.LBB841_678:                            ;   in Loop: Header=BB841_614 Depth=2
	global_load_dwordx2 v[15:16], v130, s[20:21]
	s_or_b64 exec, exec, s[22:23]
	v_cmp_gt_u32_e32 vcc, s6, v87
	s_and_saveexec_b64 s[22:23], vcc
	s_cbranch_execz .LBB841_630
.LBB841_679:                            ;   in Loop: Header=BB841_614 Depth=2
	global_load_dwordx2 v[13:14], v131, s[20:21]
	s_or_b64 exec, exec, s[22:23]
	v_cmp_gt_u32_e32 vcc, s6, v88
	s_and_saveexec_b64 s[22:23], vcc
	s_cbranch_execz .LBB841_631
.LBB841_680:                            ;   in Loop: Header=BB841_614 Depth=2
	global_load_dwordx2 v[11:12], v132, s[20:21]
	s_or_b64 exec, exec, s[22:23]
	v_cmp_gt_u32_e32 vcc, s6, v89
	s_and_saveexec_b64 s[22:23], vcc
	s_cbranch_execz .LBB841_632
.LBB841_681:                            ;   in Loop: Header=BB841_614 Depth=2
	global_load_dwordx2 v[9:10], v133, s[20:21]
	s_or_b64 exec, exec, s[22:23]
	v_cmp_gt_u32_e32 vcc, s6, v90
	s_and_saveexec_b64 s[22:23], vcc
	s_cbranch_execnz .LBB841_633
	s_branch .LBB841_634
.LBB841_682:                            ;   in Loop: Header=BB841_20 Depth=1
	v_mov_b32_e32 v4, 0
	s_waitcnt lgkmcnt(0)
	s_barrier
	s_and_saveexec_b64 s[20:21], s[4:5]
	s_cbranch_execz .LBB841_684
; %bb.683:                              ;   in Loop: Header=BB841_20 Depth=1
	ds_read2_b64 v[7:10], v93 offset1:1
	s_waitcnt lgkmcnt(0)
	v_add_u32_e32 v4, v8, v7
	v_add3_u32 v4, v4, v9, v10
.LBB841_684:                            ;   in Loop: Header=BB841_20 Depth=1
	s_or_b64 exec, exec, s[20:21]
	v_and_b32_e32 v7, 15, v135
	v_mov_b32_dpp v8, v4 row_shr:1 row_mask:0xf bank_mask:0xf
	v_cmp_eq_u32_e64 s[20:21], 0, v7
	v_cndmask_b32_e64 v8, v8, 0, s[20:21]
	v_add_u32_e32 v4, v8, v4
	v_cmp_lt_u32_e64 s[22:23], 1, v7
	v_cmp_lt_u32_e64 s[24:25], 3, v7
	v_mov_b32_dpp v8, v4 row_shr:2 row_mask:0xf bank_mask:0xf
	v_cndmask_b32_e64 v8, 0, v8, s[22:23]
	v_add_u32_e32 v4, v4, v8
	v_cmp_lt_u32_e64 s[26:27], 7, v7
	v_cmp_lt_u32_e64 s[30:31], 31, v135
	v_mov_b32_dpp v8, v4 row_shr:4 row_mask:0xf bank_mask:0xf
	v_cndmask_b32_e64 v8, 0, v8, s[24:25]
	v_add_u32_e32 v4, v4, v8
	v_and_b32_e32 v9, 16, v135
	v_cmp_eq_u32_e64 s[28:29], 0, v9
	v_mov_b32_dpp v8, v4 row_shr:8 row_mask:0xf bank_mask:0xf
	v_cndmask_b32_e64 v7, 0, v8, s[26:27]
	v_add_u32_e32 v4, v4, v7
	v_bfe_i32 v8, v135, 4, 1
	s_nop 0
	v_mov_b32_dpp v7, v4 row_bcast:15 row_mask:0xf bank_mask:0xf
	v_and_b32_e32 v7, v8, v7
	v_add_u32_e32 v4, v4, v7
	s_nop 1
	v_mov_b32_dpp v7, v4 row_bcast:31 row_mask:0xf bank_mask:0xf
	v_cndmask_b32_e64 v7, 0, v7, s[30:31]
	v_add_u32_e32 v4, v4, v7
	s_mov_b64 s[34:35], exec
	v_readlane_b32 s6, v232, 1
	v_readlane_b32 s7, v232, 2
	s_and_b64 s[6:7], s[34:35], s[6:7]
	s_mov_b64 exec, s[6:7]
; %bb.685:                              ;   in Loop: Header=BB841_20 Depth=1
	ds_write_b32 v95, v4
; %bb.686:                              ;   in Loop: Header=BB841_20 Depth=1
	s_or_b64 exec, exec, s[34:35]
	s_waitcnt lgkmcnt(0)
	s_barrier
	s_and_saveexec_b64 s[34:35], s[8:9]
	s_cbranch_execz .LBB841_688
; %bb.687:                              ;   in Loop: Header=BB841_20 Depth=1
	ds_read_b32 v7, v96
	v_bfe_i32 v8, v135, 0, 1
	s_waitcnt lgkmcnt(0)
	v_mov_b32_dpp v9, v7 row_shr:1 row_mask:0xf bank_mask:0xf
	v_and_b32_e32 v8, v8, v9
	v_add_u32_e32 v7, v8, v7
	ds_write_b32 v96, v7
.LBB841_688:                            ;   in Loop: Header=BB841_20 Depth=1
	s_or_b64 exec, exec, s[34:35]
	v_mov_b32_e32 v7, 0
	s_waitcnt lgkmcnt(0)
	s_barrier
	s_and_saveexec_b64 s[34:35], s[10:11]
; %bb.689:                              ;   in Loop: Header=BB841_20 Depth=1
	ds_read_b32 v7, v97
; %bb.690:                              ;   in Loop: Header=BB841_20 Depth=1
	s_or_b64 exec, exec, s[34:35]
	v_subrev_co_u32_e64 v8, s[34:35], 1, v135
	v_and_b32_e32 v9, 64, v135
	v_cmp_lt_i32_e32 vcc, v8, v9
	v_cndmask_b32_e32 v8, v8, v135, vcc
	s_waitcnt lgkmcnt(0)
	v_add_u32_e32 v4, v7, v4
	v_lshlrev_b32_e32 v136, 2, v8
	ds_bpermute_b32 v4, v136, v4
	s_waitcnt lgkmcnt(0)
	s_barrier
	s_and_saveexec_b64 s[36:37], s[4:5]
; %bb.691:                              ;   in Loop: Header=BB841_20 Depth=1
	v_cndmask_b32_e64 v4, v4, v7, s[34:35]
	v_add_u32_e32 v4, s73, v4
	ds_write_b32 v73, v4
; %bb.692:                              ;   in Loop: Header=BB841_20 Depth=1
	s_or_b64 exec, exec, s[36:37]
	s_load_dwordx2 s[6:7], s[94:95], 0x0
	v_readlane_b32 s36, v232, 0
	v_and_b32_e32 v40, 3, v135
	v_and_b32_e32 v41, 63, v135
	v_cmp_lt_u32_e64 s[38:39], 1, v40
	s_waitcnt lgkmcnt(0)
	s_cmp_lt_u32 s36, s7
	s_cselect_b32 s7, 14, 20
	s_add_u32 s36, s94, s7
	s_addc_u32 s37, s95, 0
	s_cmp_lt_u32 s72, s6
	s_cselect_b32 s6, 12, 18
	s_add_u32 s6, s94, s6
	global_load_ushort v4, v3, s[36:37]
	s_addc_u32 s7, s95, 0
	global_load_ushort v39, v3, s[6:7]
	v_cmp_eq_u32_e64 s[36:37], 0, v40
	v_lshlrev_b32_e32 v42, 3, v41
	v_add_co_u32_e32 v154, vcc, v115, v42
	v_addc_co_u32_e32 v155, vcc, 0, v116, vcc
	v_or_b32_e32 v153, v41, v98
	v_add_co_u32_e32 v171, vcc, v117, v42
	s_mov_b32 s91, s33
	v_or_b32_e32 v156, 64, v153
	v_or_b32_e32 v157, 0x80, v153
	;; [unrolled: 1-line block ×15, first 2 shown]
	v_addc_co_u32_e32 v172, vcc, 0, v118, vcc
	s_mov_b32 s92, s73
                                        ; implicit-def: $vgpr7_vgpr8
                                        ; implicit-def: $vgpr9_vgpr10
                                        ; implicit-def: $vgpr11_vgpr12
                                        ; implicit-def: $vgpr15_vgpr16
                                        ; implicit-def: $vgpr19_vgpr20
                                        ; implicit-def: $vgpr23_vgpr24
                                        ; implicit-def: $vgpr27_vgpr28
                                        ; implicit-def: $vgpr31_vgpr32
                                        ; implicit-def: $vgpr13_vgpr14
                                        ; implicit-def: $vgpr17_vgpr18
                                        ; implicit-def: $vgpr21_vgpr22
                                        ; implicit-def: $vgpr25_vgpr26
                                        ; implicit-def: $vgpr29_vgpr30
                                        ; implicit-def: $vgpr33_vgpr34
                                        ; implicit-def: $vgpr35_vgpr36
                                        ; implicit-def: $vgpr37_vgpr38
                                        ; implicit-def: $vgpr137
                                        ; implicit-def: $vgpr138
                                        ; implicit-def: $vgpr139
                                        ; implicit-def: $vgpr140
                                        ; implicit-def: $vgpr141
                                        ; implicit-def: $vgpr142
                                        ; implicit-def: $vgpr143
                                        ; implicit-def: $vgpr144
                                        ; implicit-def: $vgpr145
                                        ; implicit-def: $vgpr146
                                        ; implicit-def: $vgpr147
                                        ; implicit-def: $vgpr148
                                        ; implicit-def: $vgpr149
                                        ; implicit-def: $vgpr150
                                        ; implicit-def: $vgpr151
                                        ; implicit-def: $vgpr152
                                        ; implicit-def: $vgpr174
                                        ; implicit-def: $vgpr175
	s_waitcnt vmcnt(1)
	v_mad_u32_u24 v4, v2, v4, v1
	s_waitcnt vmcnt(0)
	v_mad_u64_u32 v[39:40], s[6:7], v4, v39, v[0:1]
	v_lshrrev_b32_e32 v4, 4, v39
	v_and_b32_e32 v173, 0xffffffc, v4
	s_branch .LBB841_694
.LBB841_693:                            ;   in Loop: Header=BB841_694 Depth=2
	s_or_b64 exec, exec, s[40:41]
	s_addk_i32 s91, 0xf000
	s_cmp_lt_u32 s99, s96
	s_mov_b32 s92, s99
	s_cbranch_scc0 .LBB841_904
.LBB841_694:                            ;   Parent Loop BB841_20 Depth=1
                                        ; =>  This Inner Loop Header: Depth=2
	s_add_i32 s99, s92, 0x1000
	s_cmp_gt_u32 s99, s96
	s_cbranch_scc1 .LBB841_696
; %bb.695:                              ;   in Loop: Header=BB841_694 Depth=2
	s_lshl_b64 s[6:7], s[92:93], 3
	v_mov_b32_e32 v4, s7
	v_add_co_u32_e32 v55, vcc, s6, v171
	v_addc_co_u32_e32 v56, vcc, v172, v4, vcc
	v_add_co_u32_e32 v67, vcc, 0x1000, v55
	global_load_dwordx2 v[41:42], v[55:56], off
	global_load_dwordx2 v[39:40], v[55:56], off offset:512
	global_load_dwordx2 v[43:44], v[55:56], off offset:1024
	;; [unrolled: 1-line block ×7, first 2 shown]
	v_addc_co_u32_e32 v68, vcc, 0, v56, vcc
	global_load_dwordx2 v[55:56], v[67:68], off
	global_load_dwordx2 v[57:58], v[67:68], off offset:512
	global_load_dwordx2 v[59:60], v[67:68], off offset:1024
	;; [unrolled: 1-line block ×5, first 2 shown]
	s_nop 0
	global_load_dwordx2 v[67:68], v[67:68], off offset:3072
	s_mov_b64 s[40:41], -1
	s_movk_i32 s6, 0x1000
	s_cbranch_execz .LBB841_697
	s_branch .LBB841_728
.LBB841_696:                            ;   in Loop: Header=BB841_694 Depth=2
	s_mov_b64 s[40:41], 0
                                        ; implicit-def: $vgpr41_vgpr42
                                        ; implicit-def: $vgpr39_vgpr40
                                        ; implicit-def: $vgpr43_vgpr44
                                        ; implicit-def: $vgpr45_vgpr46
                                        ; implicit-def: $vgpr47_vgpr48
                                        ; implicit-def: $vgpr49_vgpr50
                                        ; implicit-def: $vgpr51_vgpr52
                                        ; implicit-def: $vgpr53_vgpr54
                                        ; implicit-def: $vgpr55_vgpr56
                                        ; implicit-def: $vgpr57_vgpr58
                                        ; implicit-def: $vgpr59_vgpr60
                                        ; implicit-def: $vgpr61_vgpr62
                                        ; implicit-def: $vgpr63_vgpr64
                                        ; implicit-def: $vgpr65_vgpr66
                                        ; implicit-def: $vgpr67_vgpr68
	s_movk_i32 s6, 0x1000
.LBB841_697:                            ;   in Loop: Header=BB841_694 Depth=2
	s_lshl_b64 s[6:7], s[92:93], 3
	v_mov_b32_e32 v4, s7
	v_add_co_u32_e32 v69, vcc, s6, v171
	s_waitcnt vmcnt(13)
	v_mov_b32_e32 v40, v6
	v_addc_co_u32_e32 v70, vcc, v172, v4, vcc
	v_mov_b32_e32 v39, v5
	v_mov_b32_e32 v42, v40
	v_cmp_gt_u32_e32 vcc, s91, v153
	v_mov_b32_e32 v41, v39
	s_and_saveexec_b64 s[40:41], vcc
	s_cbranch_execz .LBB841_699
; %bb.698:                              ;   in Loop: Header=BB841_694 Depth=2
	global_load_dwordx2 v[41:42], v[69:70], off
.LBB841_699:                            ;   in Loop: Header=BB841_694 Depth=2
	s_or_b64 exec, exec, s[40:41]
	v_cmp_gt_u32_e32 vcc, s91, v156
	s_and_saveexec_b64 s[40:41], vcc
	s_cbranch_execz .LBB841_701
; %bb.700:                              ;   in Loop: Header=BB841_694 Depth=2
	global_load_dwordx2 v[39:40], v[69:70], off offset:512
.LBB841_701:                            ;   in Loop: Header=BB841_694 Depth=2
	s_or_b64 exec, exec, s[40:41]
	s_waitcnt vmcnt(12)
	v_mov_b32_e32 v44, v6
	v_cmp_gt_u32_e32 vcc, s91, v157
	v_mov_b32_e32 v43, v5
	s_and_saveexec_b64 s[40:41], vcc
	s_cbranch_execz .LBB841_703
; %bb.702:                              ;   in Loop: Header=BB841_694 Depth=2
	global_load_dwordx2 v[43:44], v[69:70], off offset:1024
.LBB841_703:                            ;   in Loop: Header=BB841_694 Depth=2
	s_or_b64 exec, exec, s[40:41]
	s_waitcnt vmcnt(11)
	v_mov_b32_e32 v46, v6
	v_cmp_gt_u32_e32 vcc, s91, v158
	v_mov_b32_e32 v45, v5
	;; [unrolled: 10-line block ×7, first 2 shown]
	s_and_saveexec_b64 s[40:41], vcc
	s_cbranch_execz .LBB841_715
; %bb.714:                              ;   in Loop: Header=BB841_694 Depth=2
	v_add_co_u32_e32 v55, vcc, 0x1000, v69
	v_addc_co_u32_e32 v56, vcc, 0, v70, vcc
	global_load_dwordx2 v[55:56], v[55:56], off
.LBB841_715:                            ;   in Loop: Header=BB841_694 Depth=2
	s_or_b64 exec, exec, s[40:41]
	s_waitcnt vmcnt(5)
	v_mov_b32_e32 v58, v6
	v_cmp_gt_u32_e32 vcc, s91, v164
	v_mov_b32_e32 v57, v5
	s_and_saveexec_b64 s[40:41], vcc
	s_cbranch_execz .LBB841_717
; %bb.716:                              ;   in Loop: Header=BB841_694 Depth=2
	v_add_co_u32_e32 v57, vcc, 0x1000, v69
	v_addc_co_u32_e32 v58, vcc, 0, v70, vcc
	global_load_dwordx2 v[57:58], v[57:58], off offset:512
.LBB841_717:                            ;   in Loop: Header=BB841_694 Depth=2
	s_or_b64 exec, exec, s[40:41]
	s_waitcnt vmcnt(4)
	v_mov_b32_e32 v60, v6
	v_cmp_gt_u32_e32 vcc, s91, v165
	v_mov_b32_e32 v59, v5
	s_and_saveexec_b64 s[40:41], vcc
	s_cbranch_execz .LBB841_719
; %bb.718:                              ;   in Loop: Header=BB841_694 Depth=2
	v_add_co_u32_e32 v59, vcc, 0x1000, v69
	v_addc_co_u32_e32 v60, vcc, 0, v70, vcc
	global_load_dwordx2 v[59:60], v[59:60], off offset:1024
.LBB841_719:                            ;   in Loop: Header=BB841_694 Depth=2
	;; [unrolled: 12-line block ×6, first 2 shown]
	s_or_b64 exec, exec, s[40:41]
	s_sub_i32 s6, s96, s92
	v_cmp_gt_u32_e64 s[40:41], s91, v170
.LBB841_728:                            ;   in Loop: Header=BB841_694 Depth=2
	v_mov_b32_e32 v69, -1
	v_mov_b32_e32 v70, -1
	v_mov_b32_e32 v176, s91
	s_and_saveexec_b64 s[42:43], s[40:41]
	s_cbranch_execz .LBB841_730
; %bb.729:                              ;   in Loop: Header=BB841_694 Depth=2
	s_lshl_b64 s[40:41], s[92:93], 3
	v_mov_b32_e32 v4, s41
	v_add_co_u32_e32 v69, vcc, s40, v171
	v_addc_co_u32_e32 v4, vcc, v172, v4, vcc
	v_add_co_u32_e32 v69, vcc, 0x1000, v69
	v_addc_co_u32_e32 v70, vcc, 0, v4, vcc
	global_load_dwordx2 v[69:70], v[69:70], off offset:3584
	v_mov_b32_e32 v176, s6
	s_waitcnt vmcnt(0)
	v_xor_b32_e32 v70, 0x80000000, v70
.LBB841_730:                            ;   in Loop: Header=BB841_694 Depth=2
	s_or_b64 exec, exec, s[42:43]
	s_waitcnt vmcnt(14)
	v_xor_b32_e32 v42, 0x80000000, v42
	v_lshrrev_b64 v[71:72], s88, v[41:42]
	ds_write2_b32 v92, v3, v3 offset0:132 offset1:133
	ds_write_b32 v92, v3 offset:536
	v_and_b32_e32 v71, s98, v71
	v_and_b32_e32 v4, 1, v71
	v_add_co_u32_e32 v72, vcc, -1, v4
	v_addc_co_u32_e64 v177, s[6:7], 0, -1, vcc
	v_cmp_ne_u32_e32 vcc, 0, v4
	v_xor_b32_e32 v4, vcc_hi, v177
	v_and_b32_e32 v177, exec_hi, v4
	v_lshlrev_b32_e32 v4, 30, v71
	v_xor_b32_e32 v72, vcc_lo, v72
	v_cmp_gt_i64_e32 vcc, 0, v[3:4]
	v_not_b32_e32 v4, v4
	v_ashrrev_i32_e32 v4, 31, v4
	v_and_b32_e32 v72, exec_lo, v72
	v_xor_b32_e32 v179, vcc_hi, v4
	v_xor_b32_e32 v4, vcc_lo, v4
	v_and_b32_e32 v72, v72, v4
	v_lshlrev_b32_e32 v4, 29, v71
	v_cmp_gt_i64_e32 vcc, 0, v[3:4]
	v_not_b32_e32 v4, v4
	v_ashrrev_i32_e32 v4, 31, v4
	v_and_b32_e32 v177, v177, v179
	v_xor_b32_e32 v179, vcc_hi, v4
	v_xor_b32_e32 v4, vcc_lo, v4
	v_and_b32_e32 v72, v72, v4
	v_lshlrev_b32_e32 v4, 28, v71
	v_cmp_gt_i64_e32 vcc, 0, v[3:4]
	v_not_b32_e32 v4, v4
	v_ashrrev_i32_e32 v4, 31, v4
	v_and_b32_e32 v177, v177, v179
	;; [unrolled: 8-line block ×4, first 2 shown]
	v_xor_b32_e32 v179, vcc_hi, v4
	v_xor_b32_e32 v4, vcc_lo, v4
	v_and_b32_e32 v177, v177, v179
	v_and_b32_e32 v179, v72, v4
	v_lshlrev_b32_e32 v4, 25, v71
	v_cmp_gt_i64_e32 vcc, 0, v[3:4]
	v_not_b32_e32 v4, v4
	v_ashrrev_i32_e32 v4, 31, v4
	v_mul_u32_u24_e32 v178, 20, v71
	v_xor_b32_e32 v71, vcc_hi, v4
	v_xor_b32_e32 v4, vcc_lo, v4
	v_and_b32_e32 v72, v177, v71
	v_and_b32_e32 v71, v179, v4
	v_mbcnt_lo_u32_b32 v4, v71, 0
	v_mbcnt_hi_u32_b32 v177, v72, v4
	v_cmp_ne_u64_e32 vcc, 0, v[71:72]
	v_cmp_eq_u32_e64 s[40:41], 0, v177
	s_and_b64 s[6:7], vcc, s[40:41]
	v_add_u32_e32 v179, v173, v178
	s_waitcnt vmcnt(0) lgkmcnt(0)
	s_barrier
	; wave barrier
	s_and_saveexec_b64 s[40:41], s[6:7]
; %bb.731:                              ;   in Loop: Header=BB841_694 Depth=2
	v_bcnt_u32_b32 v4, v71, 0
	v_bcnt_u32_b32 v4, v72, v4
	ds_write_b32 v179, v4 offset:528
; %bb.732:                              ;   in Loop: Header=BB841_694 Depth=2
	s_or_b64 exec, exec, s[40:41]
	v_xor_b32_e32 v40, 0x80000000, v40
	v_lshrrev_b64 v[71:72], s88, v[39:40]
	v_and_b32_e32 v71, s98, v71
	v_mad_u32_u24 v4, v71, 20, v173
	; wave barrier
	ds_read_b32 v178, v4 offset:528
	v_and_b32_e32 v4, 1, v71
	v_add_co_u32_e32 v72, vcc, -1, v4
	v_addc_co_u32_e64 v180, s[6:7], 0, -1, vcc
	v_cmp_ne_u32_e32 vcc, 0, v4
	v_xor_b32_e32 v4, vcc_hi, v180
	v_and_b32_e32 v180, exec_hi, v4
	v_lshlrev_b32_e32 v4, 30, v71
	v_xor_b32_e32 v72, vcc_lo, v72
	v_cmp_gt_i64_e32 vcc, 0, v[3:4]
	v_not_b32_e32 v4, v4
	v_ashrrev_i32_e32 v4, 31, v4
	v_and_b32_e32 v72, exec_lo, v72
	v_xor_b32_e32 v182, vcc_hi, v4
	v_xor_b32_e32 v4, vcc_lo, v4
	v_and_b32_e32 v72, v72, v4
	v_lshlrev_b32_e32 v4, 29, v71
	v_cmp_gt_i64_e32 vcc, 0, v[3:4]
	v_not_b32_e32 v4, v4
	v_ashrrev_i32_e32 v4, 31, v4
	v_and_b32_e32 v180, v180, v182
	v_xor_b32_e32 v182, vcc_hi, v4
	v_xor_b32_e32 v4, vcc_lo, v4
	v_and_b32_e32 v72, v72, v4
	v_lshlrev_b32_e32 v4, 28, v71
	v_cmp_gt_i64_e32 vcc, 0, v[3:4]
	v_not_b32_e32 v4, v4
	v_ashrrev_i32_e32 v4, 31, v4
	v_and_b32_e32 v180, v180, v182
	;; [unrolled: 8-line block ×4, first 2 shown]
	v_xor_b32_e32 v182, vcc_hi, v4
	v_xor_b32_e32 v4, vcc_lo, v4
	v_and_b32_e32 v180, v180, v182
	v_and_b32_e32 v182, v72, v4
	v_lshlrev_b32_e32 v4, 25, v71
	v_cmp_gt_i64_e32 vcc, 0, v[3:4]
	v_not_b32_e32 v4, v4
	v_ashrrev_i32_e32 v4, 31, v4
	v_mul_u32_u24_e32 v181, 20, v71
	v_xor_b32_e32 v71, vcc_hi, v4
	v_xor_b32_e32 v4, vcc_lo, v4
	v_and_b32_e32 v72, v180, v71
	v_and_b32_e32 v71, v182, v4
	v_mbcnt_lo_u32_b32 v4, v71, 0
	v_mbcnt_hi_u32_b32 v180, v72, v4
	v_cmp_ne_u64_e32 vcc, 0, v[71:72]
	v_cmp_eq_u32_e64 s[40:41], 0, v180
	s_and_b64 s[6:7], vcc, s[40:41]
	v_add_u32_e32 v182, v173, v181
	; wave barrier
	s_and_saveexec_b64 s[40:41], s[6:7]
	s_cbranch_execz .LBB841_734
; %bb.733:                              ;   in Loop: Header=BB841_694 Depth=2
	v_bcnt_u32_b32 v4, v71, 0
	v_bcnt_u32_b32 v4, v72, v4
	s_waitcnt lgkmcnt(0)
	v_add_u32_e32 v4, v178, v4
	ds_write_b32 v182, v4 offset:528
.LBB841_734:                            ;   in Loop: Header=BB841_694 Depth=2
	s_or_b64 exec, exec, s[40:41]
	v_xor_b32_e32 v44, 0x80000000, v44
	v_lshrrev_b64 v[71:72], s88, v[43:44]
	v_and_b32_e32 v71, s98, v71
	v_mad_u32_u24 v4, v71, 20, v173
	; wave barrier
	ds_read_b32 v181, v4 offset:528
	v_and_b32_e32 v4, 1, v71
	v_add_co_u32_e32 v72, vcc, -1, v4
	v_addc_co_u32_e64 v183, s[6:7], 0, -1, vcc
	v_cmp_ne_u32_e32 vcc, 0, v4
	v_xor_b32_e32 v4, vcc_hi, v183
	v_and_b32_e32 v183, exec_hi, v4
	v_lshlrev_b32_e32 v4, 30, v71
	v_xor_b32_e32 v72, vcc_lo, v72
	v_cmp_gt_i64_e32 vcc, 0, v[3:4]
	v_not_b32_e32 v4, v4
	v_ashrrev_i32_e32 v4, 31, v4
	v_and_b32_e32 v72, exec_lo, v72
	v_xor_b32_e32 v185, vcc_hi, v4
	v_xor_b32_e32 v4, vcc_lo, v4
	v_and_b32_e32 v72, v72, v4
	v_lshlrev_b32_e32 v4, 29, v71
	v_cmp_gt_i64_e32 vcc, 0, v[3:4]
	v_not_b32_e32 v4, v4
	v_ashrrev_i32_e32 v4, 31, v4
	v_and_b32_e32 v183, v183, v185
	v_xor_b32_e32 v185, vcc_hi, v4
	v_xor_b32_e32 v4, vcc_lo, v4
	v_and_b32_e32 v72, v72, v4
	v_lshlrev_b32_e32 v4, 28, v71
	v_cmp_gt_i64_e32 vcc, 0, v[3:4]
	v_not_b32_e32 v4, v4
	v_ashrrev_i32_e32 v4, 31, v4
	v_and_b32_e32 v183, v183, v185
	;; [unrolled: 8-line block ×4, first 2 shown]
	v_xor_b32_e32 v185, vcc_hi, v4
	v_xor_b32_e32 v4, vcc_lo, v4
	v_and_b32_e32 v183, v183, v185
	v_and_b32_e32 v185, v72, v4
	v_lshlrev_b32_e32 v4, 25, v71
	v_cmp_gt_i64_e32 vcc, 0, v[3:4]
	v_not_b32_e32 v4, v4
	v_ashrrev_i32_e32 v4, 31, v4
	v_mul_u32_u24_e32 v184, 20, v71
	v_xor_b32_e32 v71, vcc_hi, v4
	v_xor_b32_e32 v4, vcc_lo, v4
	v_and_b32_e32 v72, v183, v71
	v_and_b32_e32 v71, v185, v4
	v_mbcnt_lo_u32_b32 v4, v71, 0
	v_mbcnt_hi_u32_b32 v183, v72, v4
	v_cmp_ne_u64_e32 vcc, 0, v[71:72]
	v_cmp_eq_u32_e64 s[40:41], 0, v183
	s_and_b64 s[6:7], vcc, s[40:41]
	v_add_u32_e32 v185, v173, v184
	; wave barrier
	s_and_saveexec_b64 s[40:41], s[6:7]
	s_cbranch_execz .LBB841_736
; %bb.735:                              ;   in Loop: Header=BB841_694 Depth=2
	v_bcnt_u32_b32 v4, v71, 0
	v_bcnt_u32_b32 v4, v72, v4
	s_waitcnt lgkmcnt(0)
	v_add_u32_e32 v4, v181, v4
	ds_write_b32 v185, v4 offset:528
.LBB841_736:                            ;   in Loop: Header=BB841_694 Depth=2
	s_or_b64 exec, exec, s[40:41]
	v_xor_b32_e32 v46, 0x80000000, v46
	v_lshrrev_b64 v[71:72], s88, v[45:46]
	v_and_b32_e32 v71, s98, v71
	v_mad_u32_u24 v4, v71, 20, v173
	; wave barrier
	ds_read_b32 v184, v4 offset:528
	v_and_b32_e32 v4, 1, v71
	v_add_co_u32_e32 v72, vcc, -1, v4
	v_addc_co_u32_e64 v186, s[6:7], 0, -1, vcc
	v_cmp_ne_u32_e32 vcc, 0, v4
	v_xor_b32_e32 v4, vcc_hi, v186
	v_and_b32_e32 v186, exec_hi, v4
	v_lshlrev_b32_e32 v4, 30, v71
	v_xor_b32_e32 v72, vcc_lo, v72
	v_cmp_gt_i64_e32 vcc, 0, v[3:4]
	v_not_b32_e32 v4, v4
	v_ashrrev_i32_e32 v4, 31, v4
	v_and_b32_e32 v72, exec_lo, v72
	v_xor_b32_e32 v188, vcc_hi, v4
	v_xor_b32_e32 v4, vcc_lo, v4
	v_and_b32_e32 v72, v72, v4
	v_lshlrev_b32_e32 v4, 29, v71
	v_cmp_gt_i64_e32 vcc, 0, v[3:4]
	v_not_b32_e32 v4, v4
	v_ashrrev_i32_e32 v4, 31, v4
	v_and_b32_e32 v186, v186, v188
	v_xor_b32_e32 v188, vcc_hi, v4
	v_xor_b32_e32 v4, vcc_lo, v4
	v_and_b32_e32 v72, v72, v4
	v_lshlrev_b32_e32 v4, 28, v71
	v_cmp_gt_i64_e32 vcc, 0, v[3:4]
	v_not_b32_e32 v4, v4
	v_ashrrev_i32_e32 v4, 31, v4
	v_and_b32_e32 v186, v186, v188
	;; [unrolled: 8-line block ×4, first 2 shown]
	v_xor_b32_e32 v188, vcc_hi, v4
	v_xor_b32_e32 v4, vcc_lo, v4
	v_and_b32_e32 v186, v186, v188
	v_and_b32_e32 v188, v72, v4
	v_lshlrev_b32_e32 v4, 25, v71
	v_cmp_gt_i64_e32 vcc, 0, v[3:4]
	v_not_b32_e32 v4, v4
	v_ashrrev_i32_e32 v4, 31, v4
	v_mul_u32_u24_e32 v187, 20, v71
	v_xor_b32_e32 v71, vcc_hi, v4
	v_xor_b32_e32 v4, vcc_lo, v4
	v_and_b32_e32 v72, v186, v71
	v_and_b32_e32 v71, v188, v4
	v_mbcnt_lo_u32_b32 v4, v71, 0
	v_mbcnt_hi_u32_b32 v186, v72, v4
	v_cmp_ne_u64_e32 vcc, 0, v[71:72]
	v_cmp_eq_u32_e64 s[40:41], 0, v186
	s_and_b64 s[6:7], vcc, s[40:41]
	v_add_u32_e32 v188, v173, v187
	; wave barrier
	s_and_saveexec_b64 s[40:41], s[6:7]
	s_cbranch_execz .LBB841_738
; %bb.737:                              ;   in Loop: Header=BB841_694 Depth=2
	v_bcnt_u32_b32 v4, v71, 0
	v_bcnt_u32_b32 v4, v72, v4
	s_waitcnt lgkmcnt(0)
	v_add_u32_e32 v4, v184, v4
	ds_write_b32 v188, v4 offset:528
.LBB841_738:                            ;   in Loop: Header=BB841_694 Depth=2
	s_or_b64 exec, exec, s[40:41]
	v_xor_b32_e32 v48, 0x80000000, v48
	v_lshrrev_b64 v[71:72], s88, v[47:48]
	v_and_b32_e32 v71, s98, v71
	v_mad_u32_u24 v4, v71, 20, v173
	; wave barrier
	ds_read_b32 v187, v4 offset:528
	v_and_b32_e32 v4, 1, v71
	v_add_co_u32_e32 v72, vcc, -1, v4
	v_addc_co_u32_e64 v189, s[6:7], 0, -1, vcc
	v_cmp_ne_u32_e32 vcc, 0, v4
	v_xor_b32_e32 v4, vcc_hi, v189
	v_and_b32_e32 v189, exec_hi, v4
	v_lshlrev_b32_e32 v4, 30, v71
	v_xor_b32_e32 v72, vcc_lo, v72
	v_cmp_gt_i64_e32 vcc, 0, v[3:4]
	v_not_b32_e32 v4, v4
	v_ashrrev_i32_e32 v4, 31, v4
	v_and_b32_e32 v72, exec_lo, v72
	v_xor_b32_e32 v191, vcc_hi, v4
	v_xor_b32_e32 v4, vcc_lo, v4
	v_and_b32_e32 v72, v72, v4
	v_lshlrev_b32_e32 v4, 29, v71
	v_cmp_gt_i64_e32 vcc, 0, v[3:4]
	v_not_b32_e32 v4, v4
	v_ashrrev_i32_e32 v4, 31, v4
	v_and_b32_e32 v189, v189, v191
	v_xor_b32_e32 v191, vcc_hi, v4
	v_xor_b32_e32 v4, vcc_lo, v4
	v_and_b32_e32 v72, v72, v4
	v_lshlrev_b32_e32 v4, 28, v71
	v_cmp_gt_i64_e32 vcc, 0, v[3:4]
	v_not_b32_e32 v4, v4
	v_ashrrev_i32_e32 v4, 31, v4
	v_and_b32_e32 v189, v189, v191
	;; [unrolled: 8-line block ×4, first 2 shown]
	v_xor_b32_e32 v191, vcc_hi, v4
	v_xor_b32_e32 v4, vcc_lo, v4
	v_and_b32_e32 v189, v189, v191
	v_and_b32_e32 v191, v72, v4
	v_lshlrev_b32_e32 v4, 25, v71
	v_cmp_gt_i64_e32 vcc, 0, v[3:4]
	v_not_b32_e32 v4, v4
	v_ashrrev_i32_e32 v4, 31, v4
	v_mul_u32_u24_e32 v190, 20, v71
	v_xor_b32_e32 v71, vcc_hi, v4
	v_xor_b32_e32 v4, vcc_lo, v4
	v_and_b32_e32 v72, v189, v71
	v_and_b32_e32 v71, v191, v4
	v_mbcnt_lo_u32_b32 v4, v71, 0
	v_mbcnt_hi_u32_b32 v189, v72, v4
	v_cmp_ne_u64_e32 vcc, 0, v[71:72]
	v_cmp_eq_u32_e64 s[40:41], 0, v189
	s_and_b64 s[6:7], vcc, s[40:41]
	v_add_u32_e32 v191, v173, v190
	; wave barrier
	s_and_saveexec_b64 s[40:41], s[6:7]
	s_cbranch_execz .LBB841_740
; %bb.739:                              ;   in Loop: Header=BB841_694 Depth=2
	v_bcnt_u32_b32 v4, v71, 0
	v_bcnt_u32_b32 v4, v72, v4
	s_waitcnt lgkmcnt(0)
	v_add_u32_e32 v4, v187, v4
	ds_write_b32 v191, v4 offset:528
.LBB841_740:                            ;   in Loop: Header=BB841_694 Depth=2
	s_or_b64 exec, exec, s[40:41]
	v_xor_b32_e32 v50, 0x80000000, v50
	v_lshrrev_b64 v[71:72], s88, v[49:50]
	v_and_b32_e32 v71, s98, v71
	v_mad_u32_u24 v4, v71, 20, v173
	; wave barrier
	ds_read_b32 v190, v4 offset:528
	v_and_b32_e32 v4, 1, v71
	v_add_co_u32_e32 v72, vcc, -1, v4
	v_addc_co_u32_e64 v192, s[6:7], 0, -1, vcc
	v_cmp_ne_u32_e32 vcc, 0, v4
	v_xor_b32_e32 v4, vcc_hi, v192
	v_and_b32_e32 v192, exec_hi, v4
	v_lshlrev_b32_e32 v4, 30, v71
	v_xor_b32_e32 v72, vcc_lo, v72
	v_cmp_gt_i64_e32 vcc, 0, v[3:4]
	v_not_b32_e32 v4, v4
	v_ashrrev_i32_e32 v4, 31, v4
	v_and_b32_e32 v72, exec_lo, v72
	v_xor_b32_e32 v194, vcc_hi, v4
	v_xor_b32_e32 v4, vcc_lo, v4
	v_and_b32_e32 v72, v72, v4
	v_lshlrev_b32_e32 v4, 29, v71
	v_cmp_gt_i64_e32 vcc, 0, v[3:4]
	v_not_b32_e32 v4, v4
	v_ashrrev_i32_e32 v4, 31, v4
	v_and_b32_e32 v192, v192, v194
	v_xor_b32_e32 v194, vcc_hi, v4
	v_xor_b32_e32 v4, vcc_lo, v4
	v_and_b32_e32 v72, v72, v4
	v_lshlrev_b32_e32 v4, 28, v71
	v_cmp_gt_i64_e32 vcc, 0, v[3:4]
	v_not_b32_e32 v4, v4
	v_ashrrev_i32_e32 v4, 31, v4
	v_and_b32_e32 v192, v192, v194
	;; [unrolled: 8-line block ×4, first 2 shown]
	v_xor_b32_e32 v194, vcc_hi, v4
	v_xor_b32_e32 v4, vcc_lo, v4
	v_and_b32_e32 v192, v192, v194
	v_and_b32_e32 v194, v72, v4
	v_lshlrev_b32_e32 v4, 25, v71
	v_cmp_gt_i64_e32 vcc, 0, v[3:4]
	v_not_b32_e32 v4, v4
	v_ashrrev_i32_e32 v4, 31, v4
	v_mul_u32_u24_e32 v193, 20, v71
	v_xor_b32_e32 v71, vcc_hi, v4
	v_xor_b32_e32 v4, vcc_lo, v4
	v_and_b32_e32 v72, v192, v71
	v_and_b32_e32 v71, v194, v4
	v_mbcnt_lo_u32_b32 v4, v71, 0
	v_mbcnt_hi_u32_b32 v192, v72, v4
	v_cmp_ne_u64_e32 vcc, 0, v[71:72]
	v_cmp_eq_u32_e64 s[40:41], 0, v192
	s_and_b64 s[6:7], vcc, s[40:41]
	v_add_u32_e32 v194, v173, v193
	; wave barrier
	s_and_saveexec_b64 s[40:41], s[6:7]
	s_cbranch_execz .LBB841_742
; %bb.741:                              ;   in Loop: Header=BB841_694 Depth=2
	v_bcnt_u32_b32 v4, v71, 0
	v_bcnt_u32_b32 v4, v72, v4
	s_waitcnt lgkmcnt(0)
	v_add_u32_e32 v4, v190, v4
	ds_write_b32 v194, v4 offset:528
.LBB841_742:                            ;   in Loop: Header=BB841_694 Depth=2
	s_or_b64 exec, exec, s[40:41]
	v_xor_b32_e32 v52, 0x80000000, v52
	v_lshrrev_b64 v[71:72], s88, v[51:52]
	v_and_b32_e32 v71, s98, v71
	v_mad_u32_u24 v4, v71, 20, v173
	; wave barrier
	ds_read_b32 v193, v4 offset:528
	v_and_b32_e32 v4, 1, v71
	v_add_co_u32_e32 v72, vcc, -1, v4
	v_addc_co_u32_e64 v195, s[6:7], 0, -1, vcc
	v_cmp_ne_u32_e32 vcc, 0, v4
	v_xor_b32_e32 v4, vcc_hi, v195
	v_and_b32_e32 v195, exec_hi, v4
	v_lshlrev_b32_e32 v4, 30, v71
	v_xor_b32_e32 v72, vcc_lo, v72
	v_cmp_gt_i64_e32 vcc, 0, v[3:4]
	v_not_b32_e32 v4, v4
	v_ashrrev_i32_e32 v4, 31, v4
	v_and_b32_e32 v72, exec_lo, v72
	v_xor_b32_e32 v197, vcc_hi, v4
	v_xor_b32_e32 v4, vcc_lo, v4
	v_and_b32_e32 v72, v72, v4
	v_lshlrev_b32_e32 v4, 29, v71
	v_cmp_gt_i64_e32 vcc, 0, v[3:4]
	v_not_b32_e32 v4, v4
	v_ashrrev_i32_e32 v4, 31, v4
	v_and_b32_e32 v195, v195, v197
	v_xor_b32_e32 v197, vcc_hi, v4
	v_xor_b32_e32 v4, vcc_lo, v4
	v_and_b32_e32 v72, v72, v4
	v_lshlrev_b32_e32 v4, 28, v71
	v_cmp_gt_i64_e32 vcc, 0, v[3:4]
	v_not_b32_e32 v4, v4
	v_ashrrev_i32_e32 v4, 31, v4
	v_and_b32_e32 v195, v195, v197
	;; [unrolled: 8-line block ×4, first 2 shown]
	v_xor_b32_e32 v197, vcc_hi, v4
	v_xor_b32_e32 v4, vcc_lo, v4
	v_and_b32_e32 v195, v195, v197
	v_and_b32_e32 v197, v72, v4
	v_lshlrev_b32_e32 v4, 25, v71
	v_cmp_gt_i64_e32 vcc, 0, v[3:4]
	v_not_b32_e32 v4, v4
	v_ashrrev_i32_e32 v4, 31, v4
	v_mul_u32_u24_e32 v196, 20, v71
	v_xor_b32_e32 v71, vcc_hi, v4
	v_xor_b32_e32 v4, vcc_lo, v4
	v_and_b32_e32 v72, v195, v71
	v_and_b32_e32 v71, v197, v4
	v_mbcnt_lo_u32_b32 v4, v71, 0
	v_mbcnt_hi_u32_b32 v195, v72, v4
	v_cmp_ne_u64_e32 vcc, 0, v[71:72]
	v_cmp_eq_u32_e64 s[40:41], 0, v195
	s_and_b64 s[6:7], vcc, s[40:41]
	v_add_u32_e32 v197, v173, v196
	; wave barrier
	s_and_saveexec_b64 s[40:41], s[6:7]
	s_cbranch_execz .LBB841_744
; %bb.743:                              ;   in Loop: Header=BB841_694 Depth=2
	v_bcnt_u32_b32 v4, v71, 0
	v_bcnt_u32_b32 v4, v72, v4
	s_waitcnt lgkmcnt(0)
	v_add_u32_e32 v4, v193, v4
	ds_write_b32 v197, v4 offset:528
.LBB841_744:                            ;   in Loop: Header=BB841_694 Depth=2
	s_or_b64 exec, exec, s[40:41]
	v_xor_b32_e32 v54, 0x80000000, v54
	v_lshrrev_b64 v[71:72], s88, v[53:54]
	v_and_b32_e32 v71, s98, v71
	v_mad_u32_u24 v4, v71, 20, v173
	; wave barrier
	ds_read_b32 v196, v4 offset:528
	v_and_b32_e32 v4, 1, v71
	v_add_co_u32_e32 v72, vcc, -1, v4
	v_addc_co_u32_e64 v198, s[6:7], 0, -1, vcc
	v_cmp_ne_u32_e32 vcc, 0, v4
	v_xor_b32_e32 v4, vcc_hi, v198
	v_and_b32_e32 v198, exec_hi, v4
	v_lshlrev_b32_e32 v4, 30, v71
	v_xor_b32_e32 v72, vcc_lo, v72
	v_cmp_gt_i64_e32 vcc, 0, v[3:4]
	v_not_b32_e32 v4, v4
	v_ashrrev_i32_e32 v4, 31, v4
	v_and_b32_e32 v72, exec_lo, v72
	v_xor_b32_e32 v200, vcc_hi, v4
	v_xor_b32_e32 v4, vcc_lo, v4
	v_and_b32_e32 v72, v72, v4
	v_lshlrev_b32_e32 v4, 29, v71
	v_cmp_gt_i64_e32 vcc, 0, v[3:4]
	v_not_b32_e32 v4, v4
	v_ashrrev_i32_e32 v4, 31, v4
	v_and_b32_e32 v198, v198, v200
	v_xor_b32_e32 v200, vcc_hi, v4
	v_xor_b32_e32 v4, vcc_lo, v4
	v_and_b32_e32 v72, v72, v4
	v_lshlrev_b32_e32 v4, 28, v71
	v_cmp_gt_i64_e32 vcc, 0, v[3:4]
	v_not_b32_e32 v4, v4
	v_ashrrev_i32_e32 v4, 31, v4
	v_and_b32_e32 v198, v198, v200
	;; [unrolled: 8-line block ×4, first 2 shown]
	v_xor_b32_e32 v200, vcc_hi, v4
	v_xor_b32_e32 v4, vcc_lo, v4
	v_and_b32_e32 v198, v198, v200
	v_and_b32_e32 v200, v72, v4
	v_lshlrev_b32_e32 v4, 25, v71
	v_cmp_gt_i64_e32 vcc, 0, v[3:4]
	v_not_b32_e32 v4, v4
	v_ashrrev_i32_e32 v4, 31, v4
	v_mul_u32_u24_e32 v199, 20, v71
	v_xor_b32_e32 v71, vcc_hi, v4
	v_xor_b32_e32 v4, vcc_lo, v4
	v_and_b32_e32 v72, v198, v71
	v_and_b32_e32 v71, v200, v4
	v_mbcnt_lo_u32_b32 v4, v71, 0
	v_mbcnt_hi_u32_b32 v198, v72, v4
	v_cmp_ne_u64_e32 vcc, 0, v[71:72]
	v_cmp_eq_u32_e64 s[40:41], 0, v198
	s_and_b64 s[6:7], vcc, s[40:41]
	v_add_u32_e32 v200, v173, v199
	; wave barrier
	s_and_saveexec_b64 s[40:41], s[6:7]
	s_cbranch_execz .LBB841_746
; %bb.745:                              ;   in Loop: Header=BB841_694 Depth=2
	v_bcnt_u32_b32 v4, v71, 0
	v_bcnt_u32_b32 v4, v72, v4
	s_waitcnt lgkmcnt(0)
	v_add_u32_e32 v4, v196, v4
	ds_write_b32 v200, v4 offset:528
.LBB841_746:                            ;   in Loop: Header=BB841_694 Depth=2
	s_or_b64 exec, exec, s[40:41]
	v_xor_b32_e32 v56, 0x80000000, v56
	v_lshrrev_b64 v[71:72], s88, v[55:56]
	v_and_b32_e32 v71, s98, v71
	v_mad_u32_u24 v4, v71, 20, v173
	; wave barrier
	ds_read_b32 v199, v4 offset:528
	v_and_b32_e32 v4, 1, v71
	v_add_co_u32_e32 v72, vcc, -1, v4
	v_addc_co_u32_e64 v201, s[6:7], 0, -1, vcc
	v_cmp_ne_u32_e32 vcc, 0, v4
	v_xor_b32_e32 v4, vcc_hi, v201
	v_and_b32_e32 v201, exec_hi, v4
	v_lshlrev_b32_e32 v4, 30, v71
	v_xor_b32_e32 v72, vcc_lo, v72
	v_cmp_gt_i64_e32 vcc, 0, v[3:4]
	v_not_b32_e32 v4, v4
	v_ashrrev_i32_e32 v4, 31, v4
	v_and_b32_e32 v72, exec_lo, v72
	v_xor_b32_e32 v203, vcc_hi, v4
	v_xor_b32_e32 v4, vcc_lo, v4
	v_and_b32_e32 v72, v72, v4
	v_lshlrev_b32_e32 v4, 29, v71
	v_cmp_gt_i64_e32 vcc, 0, v[3:4]
	v_not_b32_e32 v4, v4
	v_ashrrev_i32_e32 v4, 31, v4
	v_and_b32_e32 v201, v201, v203
	v_xor_b32_e32 v203, vcc_hi, v4
	v_xor_b32_e32 v4, vcc_lo, v4
	v_and_b32_e32 v72, v72, v4
	v_lshlrev_b32_e32 v4, 28, v71
	v_cmp_gt_i64_e32 vcc, 0, v[3:4]
	v_not_b32_e32 v4, v4
	v_ashrrev_i32_e32 v4, 31, v4
	v_and_b32_e32 v201, v201, v203
	;; [unrolled: 8-line block ×4, first 2 shown]
	v_xor_b32_e32 v203, vcc_hi, v4
	v_xor_b32_e32 v4, vcc_lo, v4
	v_and_b32_e32 v201, v201, v203
	v_and_b32_e32 v203, v72, v4
	v_lshlrev_b32_e32 v4, 25, v71
	v_cmp_gt_i64_e32 vcc, 0, v[3:4]
	v_not_b32_e32 v4, v4
	v_ashrrev_i32_e32 v4, 31, v4
	v_mul_u32_u24_e32 v202, 20, v71
	v_xor_b32_e32 v71, vcc_hi, v4
	v_xor_b32_e32 v4, vcc_lo, v4
	v_and_b32_e32 v72, v201, v71
	v_and_b32_e32 v71, v203, v4
	v_mbcnt_lo_u32_b32 v4, v71, 0
	v_mbcnt_hi_u32_b32 v201, v72, v4
	v_cmp_ne_u64_e32 vcc, 0, v[71:72]
	v_cmp_eq_u32_e64 s[40:41], 0, v201
	s_and_b64 s[6:7], vcc, s[40:41]
	v_add_u32_e32 v203, v173, v202
	; wave barrier
	s_and_saveexec_b64 s[40:41], s[6:7]
	s_cbranch_execz .LBB841_748
; %bb.747:                              ;   in Loop: Header=BB841_694 Depth=2
	v_bcnt_u32_b32 v4, v71, 0
	v_bcnt_u32_b32 v4, v72, v4
	s_waitcnt lgkmcnt(0)
	v_add_u32_e32 v4, v199, v4
	ds_write_b32 v203, v4 offset:528
.LBB841_748:                            ;   in Loop: Header=BB841_694 Depth=2
	s_or_b64 exec, exec, s[40:41]
	v_xor_b32_e32 v58, 0x80000000, v58
	v_lshrrev_b64 v[71:72], s88, v[57:58]
	v_and_b32_e32 v71, s98, v71
	v_mad_u32_u24 v4, v71, 20, v173
	; wave barrier
	ds_read_b32 v202, v4 offset:528
	v_and_b32_e32 v4, 1, v71
	v_add_co_u32_e32 v72, vcc, -1, v4
	v_addc_co_u32_e64 v204, s[6:7], 0, -1, vcc
	v_cmp_ne_u32_e32 vcc, 0, v4
	v_xor_b32_e32 v4, vcc_hi, v204
	v_and_b32_e32 v204, exec_hi, v4
	v_lshlrev_b32_e32 v4, 30, v71
	v_xor_b32_e32 v72, vcc_lo, v72
	v_cmp_gt_i64_e32 vcc, 0, v[3:4]
	v_not_b32_e32 v4, v4
	v_ashrrev_i32_e32 v4, 31, v4
	v_and_b32_e32 v72, exec_lo, v72
	v_xor_b32_e32 v206, vcc_hi, v4
	v_xor_b32_e32 v4, vcc_lo, v4
	v_and_b32_e32 v72, v72, v4
	v_lshlrev_b32_e32 v4, 29, v71
	v_cmp_gt_i64_e32 vcc, 0, v[3:4]
	v_not_b32_e32 v4, v4
	v_ashrrev_i32_e32 v4, 31, v4
	v_and_b32_e32 v204, v204, v206
	v_xor_b32_e32 v206, vcc_hi, v4
	v_xor_b32_e32 v4, vcc_lo, v4
	v_and_b32_e32 v72, v72, v4
	v_lshlrev_b32_e32 v4, 28, v71
	v_cmp_gt_i64_e32 vcc, 0, v[3:4]
	v_not_b32_e32 v4, v4
	v_ashrrev_i32_e32 v4, 31, v4
	v_and_b32_e32 v204, v204, v206
	;; [unrolled: 8-line block ×4, first 2 shown]
	v_xor_b32_e32 v206, vcc_hi, v4
	v_xor_b32_e32 v4, vcc_lo, v4
	v_and_b32_e32 v204, v204, v206
	v_and_b32_e32 v206, v72, v4
	v_lshlrev_b32_e32 v4, 25, v71
	v_cmp_gt_i64_e32 vcc, 0, v[3:4]
	v_not_b32_e32 v4, v4
	v_ashrrev_i32_e32 v4, 31, v4
	v_mul_u32_u24_e32 v205, 20, v71
	v_xor_b32_e32 v71, vcc_hi, v4
	v_xor_b32_e32 v4, vcc_lo, v4
	v_and_b32_e32 v72, v204, v71
	v_and_b32_e32 v71, v206, v4
	v_mbcnt_lo_u32_b32 v4, v71, 0
	v_mbcnt_hi_u32_b32 v204, v72, v4
	v_cmp_ne_u64_e32 vcc, 0, v[71:72]
	v_cmp_eq_u32_e64 s[40:41], 0, v204
	s_and_b64 s[6:7], vcc, s[40:41]
	v_add_u32_e32 v207, v173, v205
	; wave barrier
	s_and_saveexec_b64 s[40:41], s[6:7]
	s_cbranch_execz .LBB841_750
; %bb.749:                              ;   in Loop: Header=BB841_694 Depth=2
	v_bcnt_u32_b32 v4, v71, 0
	v_bcnt_u32_b32 v4, v72, v4
	s_waitcnt lgkmcnt(0)
	v_add_u32_e32 v4, v202, v4
	ds_write_b32 v207, v4 offset:528
.LBB841_750:                            ;   in Loop: Header=BB841_694 Depth=2
	s_or_b64 exec, exec, s[40:41]
	v_xor_b32_e32 v60, 0x80000000, v60
	v_lshrrev_b64 v[71:72], s88, v[59:60]
	v_and_b32_e32 v71, s98, v71
	v_mad_u32_u24 v4, v71, 20, v173
	; wave barrier
	ds_read_b32 v205, v4 offset:528
	v_and_b32_e32 v4, 1, v71
	v_add_co_u32_e32 v72, vcc, -1, v4
	v_addc_co_u32_e64 v206, s[6:7], 0, -1, vcc
	v_cmp_ne_u32_e32 vcc, 0, v4
	v_xor_b32_e32 v4, vcc_hi, v206
	v_and_b32_e32 v206, exec_hi, v4
	v_lshlrev_b32_e32 v4, 30, v71
	v_xor_b32_e32 v72, vcc_lo, v72
	v_cmp_gt_i64_e32 vcc, 0, v[3:4]
	v_not_b32_e32 v4, v4
	v_ashrrev_i32_e32 v4, 31, v4
	v_and_b32_e32 v72, exec_lo, v72
	v_xor_b32_e32 v209, vcc_hi, v4
	v_xor_b32_e32 v4, vcc_lo, v4
	v_and_b32_e32 v72, v72, v4
	v_lshlrev_b32_e32 v4, 29, v71
	v_cmp_gt_i64_e32 vcc, 0, v[3:4]
	v_not_b32_e32 v4, v4
	v_ashrrev_i32_e32 v4, 31, v4
	v_and_b32_e32 v206, v206, v209
	v_xor_b32_e32 v209, vcc_hi, v4
	v_xor_b32_e32 v4, vcc_lo, v4
	v_and_b32_e32 v72, v72, v4
	v_lshlrev_b32_e32 v4, 28, v71
	v_cmp_gt_i64_e32 vcc, 0, v[3:4]
	v_not_b32_e32 v4, v4
	v_ashrrev_i32_e32 v4, 31, v4
	v_and_b32_e32 v206, v206, v209
	;; [unrolled: 8-line block ×4, first 2 shown]
	v_xor_b32_e32 v209, vcc_hi, v4
	v_xor_b32_e32 v4, vcc_lo, v4
	v_and_b32_e32 v206, v206, v209
	v_and_b32_e32 v209, v72, v4
	v_lshlrev_b32_e32 v4, 25, v71
	v_cmp_gt_i64_e32 vcc, 0, v[3:4]
	v_not_b32_e32 v4, v4
	v_ashrrev_i32_e32 v4, 31, v4
	v_mul_u32_u24_e32 v208, 20, v71
	v_xor_b32_e32 v71, vcc_hi, v4
	v_xor_b32_e32 v4, vcc_lo, v4
	v_and_b32_e32 v72, v206, v71
	v_and_b32_e32 v71, v209, v4
	v_mbcnt_lo_u32_b32 v4, v71, 0
	v_mbcnt_hi_u32_b32 v206, v72, v4
	v_cmp_ne_u64_e32 vcc, 0, v[71:72]
	v_cmp_eq_u32_e64 s[40:41], 0, v206
	s_and_b64 s[6:7], vcc, s[40:41]
	v_add_u32_e32 v210, v173, v208
	; wave barrier
	s_and_saveexec_b64 s[40:41], s[6:7]
	s_cbranch_execz .LBB841_752
; %bb.751:                              ;   in Loop: Header=BB841_694 Depth=2
	v_bcnt_u32_b32 v4, v71, 0
	v_bcnt_u32_b32 v4, v72, v4
	s_waitcnt lgkmcnt(0)
	v_add_u32_e32 v4, v205, v4
	ds_write_b32 v210, v4 offset:528
.LBB841_752:                            ;   in Loop: Header=BB841_694 Depth=2
	s_or_b64 exec, exec, s[40:41]
	v_xor_b32_e32 v62, 0x80000000, v62
	v_lshrrev_b64 v[71:72], s88, v[61:62]
	v_and_b32_e32 v71, s98, v71
	v_mad_u32_u24 v4, v71, 20, v173
	; wave barrier
	ds_read_b32 v208, v4 offset:528
	v_and_b32_e32 v4, 1, v71
	v_add_co_u32_e32 v72, vcc, -1, v4
	v_addc_co_u32_e64 v209, s[6:7], 0, -1, vcc
	v_cmp_ne_u32_e32 vcc, 0, v4
	v_xor_b32_e32 v4, vcc_hi, v209
	v_and_b32_e32 v209, exec_hi, v4
	v_lshlrev_b32_e32 v4, 30, v71
	v_xor_b32_e32 v72, vcc_lo, v72
	v_cmp_gt_i64_e32 vcc, 0, v[3:4]
	v_not_b32_e32 v4, v4
	v_ashrrev_i32_e32 v4, 31, v4
	v_and_b32_e32 v72, exec_lo, v72
	v_xor_b32_e32 v212, vcc_hi, v4
	v_xor_b32_e32 v4, vcc_lo, v4
	v_and_b32_e32 v72, v72, v4
	v_lshlrev_b32_e32 v4, 29, v71
	v_cmp_gt_i64_e32 vcc, 0, v[3:4]
	v_not_b32_e32 v4, v4
	v_ashrrev_i32_e32 v4, 31, v4
	v_and_b32_e32 v209, v209, v212
	v_xor_b32_e32 v212, vcc_hi, v4
	v_xor_b32_e32 v4, vcc_lo, v4
	v_and_b32_e32 v72, v72, v4
	v_lshlrev_b32_e32 v4, 28, v71
	v_cmp_gt_i64_e32 vcc, 0, v[3:4]
	v_not_b32_e32 v4, v4
	v_ashrrev_i32_e32 v4, 31, v4
	v_and_b32_e32 v209, v209, v212
	;; [unrolled: 8-line block ×4, first 2 shown]
	v_xor_b32_e32 v212, vcc_hi, v4
	v_xor_b32_e32 v4, vcc_lo, v4
	v_and_b32_e32 v209, v209, v212
	v_and_b32_e32 v212, v72, v4
	v_lshlrev_b32_e32 v4, 25, v71
	v_cmp_gt_i64_e32 vcc, 0, v[3:4]
	v_not_b32_e32 v4, v4
	v_ashrrev_i32_e32 v4, 31, v4
	v_mul_u32_u24_e32 v211, 20, v71
	v_xor_b32_e32 v71, vcc_hi, v4
	v_xor_b32_e32 v4, vcc_lo, v4
	v_and_b32_e32 v72, v209, v71
	v_and_b32_e32 v71, v212, v4
	v_mbcnt_lo_u32_b32 v4, v71, 0
	v_mbcnt_hi_u32_b32 v209, v72, v4
	v_cmp_ne_u64_e32 vcc, 0, v[71:72]
	v_cmp_eq_u32_e64 s[40:41], 0, v209
	s_and_b64 s[6:7], vcc, s[40:41]
	v_add_u32_e32 v213, v173, v211
	; wave barrier
	s_and_saveexec_b64 s[40:41], s[6:7]
	s_cbranch_execz .LBB841_754
; %bb.753:                              ;   in Loop: Header=BB841_694 Depth=2
	v_bcnt_u32_b32 v4, v71, 0
	v_bcnt_u32_b32 v4, v72, v4
	s_waitcnt lgkmcnt(0)
	v_add_u32_e32 v4, v208, v4
	ds_write_b32 v213, v4 offset:528
.LBB841_754:                            ;   in Loop: Header=BB841_694 Depth=2
	s_or_b64 exec, exec, s[40:41]
	v_xor_b32_e32 v64, 0x80000000, v64
	v_lshrrev_b64 v[71:72], s88, v[63:64]
	v_and_b32_e32 v71, s98, v71
	v_mad_u32_u24 v4, v71, 20, v173
	; wave barrier
	ds_read_b32 v211, v4 offset:528
	v_and_b32_e32 v4, 1, v71
	v_add_co_u32_e32 v72, vcc, -1, v4
	v_addc_co_u32_e64 v212, s[6:7], 0, -1, vcc
	v_cmp_ne_u32_e32 vcc, 0, v4
	v_xor_b32_e32 v4, vcc_hi, v212
	v_and_b32_e32 v212, exec_hi, v4
	v_lshlrev_b32_e32 v4, 30, v71
	v_xor_b32_e32 v72, vcc_lo, v72
	v_cmp_gt_i64_e32 vcc, 0, v[3:4]
	v_not_b32_e32 v4, v4
	v_ashrrev_i32_e32 v4, 31, v4
	v_and_b32_e32 v72, exec_lo, v72
	v_xor_b32_e32 v215, vcc_hi, v4
	v_xor_b32_e32 v4, vcc_lo, v4
	v_and_b32_e32 v72, v72, v4
	v_lshlrev_b32_e32 v4, 29, v71
	v_cmp_gt_i64_e32 vcc, 0, v[3:4]
	v_not_b32_e32 v4, v4
	v_ashrrev_i32_e32 v4, 31, v4
	v_and_b32_e32 v212, v212, v215
	v_xor_b32_e32 v215, vcc_hi, v4
	v_xor_b32_e32 v4, vcc_lo, v4
	v_and_b32_e32 v72, v72, v4
	v_lshlrev_b32_e32 v4, 28, v71
	v_cmp_gt_i64_e32 vcc, 0, v[3:4]
	v_not_b32_e32 v4, v4
	v_ashrrev_i32_e32 v4, 31, v4
	v_and_b32_e32 v212, v212, v215
	;; [unrolled: 8-line block ×4, first 2 shown]
	v_xor_b32_e32 v215, vcc_hi, v4
	v_xor_b32_e32 v4, vcc_lo, v4
	v_and_b32_e32 v212, v212, v215
	v_and_b32_e32 v215, v72, v4
	v_lshlrev_b32_e32 v4, 25, v71
	v_cmp_gt_i64_e32 vcc, 0, v[3:4]
	v_not_b32_e32 v4, v4
	v_ashrrev_i32_e32 v4, 31, v4
	v_mul_u32_u24_e32 v214, 20, v71
	v_xor_b32_e32 v71, vcc_hi, v4
	v_xor_b32_e32 v4, vcc_lo, v4
	v_and_b32_e32 v72, v212, v71
	v_and_b32_e32 v71, v215, v4
	v_mbcnt_lo_u32_b32 v4, v71, 0
	v_mbcnt_hi_u32_b32 v212, v72, v4
	v_cmp_ne_u64_e32 vcc, 0, v[71:72]
	v_cmp_eq_u32_e64 s[40:41], 0, v212
	s_and_b64 s[6:7], vcc, s[40:41]
	v_add_u32_e32 v216, v173, v214
	; wave barrier
	s_and_saveexec_b64 s[40:41], s[6:7]
	s_cbranch_execz .LBB841_756
; %bb.755:                              ;   in Loop: Header=BB841_694 Depth=2
	v_bcnt_u32_b32 v4, v71, 0
	v_bcnt_u32_b32 v4, v72, v4
	s_waitcnt lgkmcnt(0)
	v_add_u32_e32 v4, v211, v4
	ds_write_b32 v216, v4 offset:528
.LBB841_756:                            ;   in Loop: Header=BB841_694 Depth=2
	s_or_b64 exec, exec, s[40:41]
	v_xor_b32_e32 v66, 0x80000000, v66
	v_lshrrev_b64 v[71:72], s88, v[65:66]
	v_and_b32_e32 v71, s98, v71
	v_mad_u32_u24 v4, v71, 20, v173
	; wave barrier
	ds_read_b32 v214, v4 offset:528
	v_and_b32_e32 v4, 1, v71
	v_add_co_u32_e32 v72, vcc, -1, v4
	v_addc_co_u32_e64 v215, s[6:7], 0, -1, vcc
	v_cmp_ne_u32_e32 vcc, 0, v4
	v_xor_b32_e32 v4, vcc_hi, v215
	v_and_b32_e32 v215, exec_hi, v4
	v_lshlrev_b32_e32 v4, 30, v71
	v_xor_b32_e32 v72, vcc_lo, v72
	v_cmp_gt_i64_e32 vcc, 0, v[3:4]
	v_not_b32_e32 v4, v4
	v_ashrrev_i32_e32 v4, 31, v4
	v_and_b32_e32 v72, exec_lo, v72
	v_xor_b32_e32 v218, vcc_hi, v4
	v_xor_b32_e32 v4, vcc_lo, v4
	v_and_b32_e32 v72, v72, v4
	v_lshlrev_b32_e32 v4, 29, v71
	v_cmp_gt_i64_e32 vcc, 0, v[3:4]
	v_not_b32_e32 v4, v4
	v_ashrrev_i32_e32 v4, 31, v4
	v_and_b32_e32 v215, v215, v218
	v_xor_b32_e32 v218, vcc_hi, v4
	v_xor_b32_e32 v4, vcc_lo, v4
	v_and_b32_e32 v72, v72, v4
	v_lshlrev_b32_e32 v4, 28, v71
	v_cmp_gt_i64_e32 vcc, 0, v[3:4]
	v_not_b32_e32 v4, v4
	v_ashrrev_i32_e32 v4, 31, v4
	v_and_b32_e32 v215, v215, v218
	;; [unrolled: 8-line block ×4, first 2 shown]
	v_xor_b32_e32 v218, vcc_hi, v4
	v_xor_b32_e32 v4, vcc_lo, v4
	v_and_b32_e32 v215, v215, v218
	v_and_b32_e32 v218, v72, v4
	v_lshlrev_b32_e32 v4, 25, v71
	v_cmp_gt_i64_e32 vcc, 0, v[3:4]
	v_not_b32_e32 v4, v4
	v_ashrrev_i32_e32 v4, 31, v4
	v_mul_u32_u24_e32 v217, 20, v71
	v_xor_b32_e32 v71, vcc_hi, v4
	v_xor_b32_e32 v4, vcc_lo, v4
	v_and_b32_e32 v72, v215, v71
	v_and_b32_e32 v71, v218, v4
	v_mbcnt_lo_u32_b32 v4, v71, 0
	v_mbcnt_hi_u32_b32 v215, v72, v4
	v_cmp_ne_u64_e32 vcc, 0, v[71:72]
	v_cmp_eq_u32_e64 s[40:41], 0, v215
	s_and_b64 s[6:7], vcc, s[40:41]
	v_add_u32_e32 v219, v173, v217
	; wave barrier
	s_and_saveexec_b64 s[40:41], s[6:7]
	s_cbranch_execz .LBB841_758
; %bb.757:                              ;   in Loop: Header=BB841_694 Depth=2
	v_bcnt_u32_b32 v4, v71, 0
	v_bcnt_u32_b32 v4, v72, v4
	s_waitcnt lgkmcnt(0)
	v_add_u32_e32 v4, v214, v4
	ds_write_b32 v219, v4 offset:528
.LBB841_758:                            ;   in Loop: Header=BB841_694 Depth=2
	s_or_b64 exec, exec, s[40:41]
	v_xor_b32_e32 v68, 0x80000000, v68
	v_lshrrev_b64 v[71:72], s88, v[67:68]
	v_and_b32_e32 v71, s98, v71
	v_mad_u32_u24 v4, v71, 20, v173
	; wave barrier
	ds_read_b32 v217, v4 offset:528
	v_and_b32_e32 v4, 1, v71
	v_add_co_u32_e32 v72, vcc, -1, v4
	v_addc_co_u32_e64 v218, s[6:7], 0, -1, vcc
	v_cmp_ne_u32_e32 vcc, 0, v4
	v_xor_b32_e32 v4, vcc_hi, v218
	v_and_b32_e32 v218, exec_hi, v4
	v_lshlrev_b32_e32 v4, 30, v71
	v_xor_b32_e32 v72, vcc_lo, v72
	v_cmp_gt_i64_e32 vcc, 0, v[3:4]
	v_not_b32_e32 v4, v4
	v_ashrrev_i32_e32 v4, 31, v4
	v_and_b32_e32 v72, exec_lo, v72
	v_xor_b32_e32 v221, vcc_hi, v4
	v_xor_b32_e32 v4, vcc_lo, v4
	v_and_b32_e32 v72, v72, v4
	v_lshlrev_b32_e32 v4, 29, v71
	v_cmp_gt_i64_e32 vcc, 0, v[3:4]
	v_not_b32_e32 v4, v4
	v_ashrrev_i32_e32 v4, 31, v4
	v_and_b32_e32 v218, v218, v221
	v_xor_b32_e32 v221, vcc_hi, v4
	v_xor_b32_e32 v4, vcc_lo, v4
	v_and_b32_e32 v72, v72, v4
	v_lshlrev_b32_e32 v4, 28, v71
	v_cmp_gt_i64_e32 vcc, 0, v[3:4]
	v_not_b32_e32 v4, v4
	v_ashrrev_i32_e32 v4, 31, v4
	v_and_b32_e32 v218, v218, v221
	;; [unrolled: 8-line block ×4, first 2 shown]
	v_xor_b32_e32 v221, vcc_hi, v4
	v_xor_b32_e32 v4, vcc_lo, v4
	v_and_b32_e32 v218, v218, v221
	v_and_b32_e32 v221, v72, v4
	v_lshlrev_b32_e32 v4, 25, v71
	v_cmp_gt_i64_e32 vcc, 0, v[3:4]
	v_not_b32_e32 v4, v4
	v_ashrrev_i32_e32 v4, 31, v4
	v_mul_u32_u24_e32 v220, 20, v71
	v_xor_b32_e32 v71, vcc_hi, v4
	v_xor_b32_e32 v4, vcc_lo, v4
	v_and_b32_e32 v72, v218, v71
	v_and_b32_e32 v71, v221, v4
	v_mbcnt_lo_u32_b32 v4, v71, 0
	v_mbcnt_hi_u32_b32 v218, v72, v4
	v_cmp_ne_u64_e32 vcc, 0, v[71:72]
	v_cmp_eq_u32_e64 s[40:41], 0, v218
	s_and_b64 s[6:7], vcc, s[40:41]
	v_add_u32_e32 v222, v173, v220
	; wave barrier
	s_and_saveexec_b64 s[40:41], s[6:7]
	s_cbranch_execz .LBB841_760
; %bb.759:                              ;   in Loop: Header=BB841_694 Depth=2
	v_bcnt_u32_b32 v4, v71, 0
	v_bcnt_u32_b32 v4, v72, v4
	s_waitcnt lgkmcnt(0)
	v_add_u32_e32 v4, v217, v4
	ds_write_b32 v222, v4 offset:528
.LBB841_760:                            ;   in Loop: Header=BB841_694 Depth=2
	s_or_b64 exec, exec, s[40:41]
	v_lshrrev_b64 v[71:72], s88, v[69:70]
	v_and_b32_e32 v71, s98, v71
	v_mad_u32_u24 v4, v71, 20, v173
	; wave barrier
	ds_read_b32 v220, v4 offset:528
	v_and_b32_e32 v4, 1, v71
	v_add_co_u32_e32 v72, vcc, -1, v4
	v_addc_co_u32_e64 v221, s[6:7], 0, -1, vcc
	v_cmp_ne_u32_e32 vcc, 0, v4
	v_xor_b32_e32 v4, vcc_hi, v221
	v_and_b32_e32 v221, exec_hi, v4
	v_lshlrev_b32_e32 v4, 30, v71
	v_xor_b32_e32 v72, vcc_lo, v72
	v_cmp_gt_i64_e32 vcc, 0, v[3:4]
	v_not_b32_e32 v4, v4
	v_ashrrev_i32_e32 v4, 31, v4
	v_and_b32_e32 v72, exec_lo, v72
	v_xor_b32_e32 v224, vcc_hi, v4
	v_xor_b32_e32 v4, vcc_lo, v4
	v_and_b32_e32 v72, v72, v4
	v_lshlrev_b32_e32 v4, 29, v71
	v_cmp_gt_i64_e32 vcc, 0, v[3:4]
	v_not_b32_e32 v4, v4
	v_ashrrev_i32_e32 v4, 31, v4
	v_and_b32_e32 v221, v221, v224
	v_xor_b32_e32 v224, vcc_hi, v4
	v_xor_b32_e32 v4, vcc_lo, v4
	v_and_b32_e32 v72, v72, v4
	v_lshlrev_b32_e32 v4, 28, v71
	v_cmp_gt_i64_e32 vcc, 0, v[3:4]
	v_not_b32_e32 v4, v4
	v_ashrrev_i32_e32 v4, 31, v4
	v_and_b32_e32 v221, v221, v224
	;; [unrolled: 8-line block ×4, first 2 shown]
	v_xor_b32_e32 v224, vcc_hi, v4
	v_xor_b32_e32 v4, vcc_lo, v4
	v_and_b32_e32 v221, v221, v224
	v_and_b32_e32 v224, v72, v4
	v_lshlrev_b32_e32 v4, 25, v71
	v_cmp_gt_i64_e32 vcc, 0, v[3:4]
	v_not_b32_e32 v4, v4
	v_ashrrev_i32_e32 v4, 31, v4
	v_mul_u32_u24_e32 v223, 20, v71
	v_xor_b32_e32 v71, vcc_hi, v4
	v_xor_b32_e32 v4, vcc_lo, v4
	v_and_b32_e32 v72, v221, v71
	v_and_b32_e32 v71, v224, v4
	v_mbcnt_lo_u32_b32 v4, v71, 0
	v_mbcnt_hi_u32_b32 v221, v72, v4
	v_cmp_ne_u64_e32 vcc, 0, v[71:72]
	v_cmp_eq_u32_e64 s[40:41], 0, v221
	s_and_b64 s[6:7], vcc, s[40:41]
	v_add_u32_e32 v4, v173, v223
	; wave barrier
	s_and_saveexec_b64 s[40:41], s[6:7]
	s_cbranch_execz .LBB841_762
; %bb.761:                              ;   in Loop: Header=BB841_694 Depth=2
	v_bcnt_u32_b32 v71, v71, 0
	v_bcnt_u32_b32 v71, v72, v71
	s_waitcnt lgkmcnt(0)
	v_add_u32_e32 v71, v220, v71
	ds_write_b32 v4, v71 offset:528
.LBB841_762:                            ;   in Loop: Header=BB841_694 Depth=2
	s_or_b64 exec, exec, s[40:41]
	; wave barrier
	s_waitcnt lgkmcnt(0)
	s_barrier
	ds_read2_b32 v[71:72], v92 offset0:132 offset1:133
	ds_read_b32 v223, v92 offset:536
	s_waitcnt lgkmcnt(0)
	v_add3_u32 v223, v72, v71, v223
	s_nop 1
	v_mov_b32_dpp v224, v223 row_shr:1 row_mask:0xf bank_mask:0xf
	v_cndmask_b32_e64 v224, v224, 0, s[20:21]
	v_add_u32_e32 v223, v224, v223
	s_nop 1
	v_mov_b32_dpp v224, v223 row_shr:2 row_mask:0xf bank_mask:0xf
	v_cndmask_b32_e64 v224, 0, v224, s[22:23]
	v_add_u32_e32 v223, v223, v224
	;; [unrolled: 4-line block ×4, first 2 shown]
	s_nop 1
	v_mov_b32_dpp v224, v223 row_bcast:15 row_mask:0xf bank_mask:0xf
	v_cndmask_b32_e64 v224, v224, 0, s[28:29]
	v_add_u32_e32 v223, v223, v224
	s_nop 1
	v_mov_b32_dpp v224, v223 row_bcast:31 row_mask:0xf bank_mask:0xf
	v_cndmask_b32_e64 v224, 0, v224, s[30:31]
	v_add_u32_e32 v223, v223, v224
	s_and_saveexec_b64 s[40:41], s[12:13]
; %bb.763:                              ;   in Loop: Header=BB841_694 Depth=2
	ds_write_b32 v94, v223 offset:512
; %bb.764:                              ;   in Loop: Header=BB841_694 Depth=2
	s_or_b64 exec, exec, s[40:41]
	s_waitcnt lgkmcnt(0)
	s_barrier
	s_and_saveexec_b64 s[40:41], s[14:15]
	s_cbranch_execz .LBB841_766
; %bb.765:                              ;   in Loop: Header=BB841_694 Depth=2
	ds_read_b32 v224, v99 offset:512
	s_waitcnt lgkmcnt(0)
	s_nop 0
	v_mov_b32_dpp v225, v224 row_shr:1 row_mask:0xf bank_mask:0xf
	v_cndmask_b32_e64 v225, v225, 0, s[36:37]
	v_add_u32_e32 v224, v225, v224
	s_nop 1
	v_mov_b32_dpp v225, v224 row_shr:2 row_mask:0xf bank_mask:0xf
	v_cndmask_b32_e64 v225, 0, v225, s[38:39]
	v_add_u32_e32 v224, v224, v225
	ds_write_b32 v99, v224 offset:512
.LBB841_766:                            ;   in Loop: Header=BB841_694 Depth=2
	s_or_b64 exec, exec, s[40:41]
	v_mov_b32_e32 v224, 0
	s_waitcnt lgkmcnt(0)
	s_barrier
	s_and_saveexec_b64 s[40:41], s[10:11]
; %bb.767:                              ;   in Loop: Header=BB841_694 Depth=2
	ds_read_b32 v224, v94 offset:508
; %bb.768:                              ;   in Loop: Header=BB841_694 Depth=2
	s_or_b64 exec, exec, s[40:41]
	s_waitcnt lgkmcnt(0)
	v_add_u32_e32 v223, v224, v223
	ds_bpermute_b32 v223, v136, v223
	s_waitcnt lgkmcnt(0)
	v_cndmask_b32_e64 v223, v223, v224, s[34:35]
	v_cndmask_b32_e64 v223, v223, 0, s[16:17]
	v_add_u32_e32 v71, v223, v71
	v_add_u32_e32 v72, v71, v72
	ds_write2_b32 v92, v223, v71 offset0:132 offset1:133
	ds_write_b32 v92, v72 offset:536
	s_waitcnt lgkmcnt(0)
	s_barrier
	ds_read_b32 v229, v179 offset:528
	ds_read_b32 v228, v182 offset:528
	;; [unrolled: 1-line block ×16, first 2 shown]
	s_and_saveexec_b64 s[40:41], s[4:5]
	s_cbranch_execz .LBB841_772
; %bb.769:                              ;   in Loop: Header=BB841_694 Depth=2
	ds_read_b32 v174, v101 offset:528
	v_mov_b32_e32 v4, 0x1000
	s_and_saveexec_b64 s[42:43], s[18:19]
; %bb.770:                              ;   in Loop: Header=BB841_694 Depth=2
	ds_read_b32 v4, v100 offset:528
; %bb.771:                              ;   in Loop: Header=BB841_694 Depth=2
	s_or_b64 exec, exec, s[42:43]
	s_waitcnt lgkmcnt(0)
	v_sub_u32_e32 v175, v4, v174
.LBB841_772:                            ;   in Loop: Header=BB841_694 Depth=2
	s_or_b64 exec, exec, s[40:41]
	s_waitcnt lgkmcnt(0)
	s_barrier
	s_and_saveexec_b64 s[40:41], s[4:5]
	s_cbranch_execz .LBB841_774
; %bb.773:                              ;   in Loop: Header=BB841_694 Depth=2
	ds_read_b32 v4, v73
	s_waitcnt lgkmcnt(0)
	v_sub_u32_e32 v4, v4, v174
	ds_write_b32 v73, v4
.LBB841_774:                            ;   in Loop: Header=BB841_694 Depth=2
	s_or_b64 exec, exec, s[40:41]
	v_lshlrev_b32_e32 v4, 3, v177
	v_lshl_add_u32 v4, v229, 3, v4
	ds_write_b64 v4, v[41:42] offset:512
	v_lshlrev_b32_e32 v41, 3, v180
	v_lshlrev_b32_e32 v42, 3, v178
	v_lshlrev_b32_e32 v177, 3, v228
	v_add3_u32 v41, v41, v42, v177
	ds_write_b64 v41, v[39:40] offset:512
	v_lshlrev_b32_e32 v39, 3, v183
	v_lshlrev_b32_e32 v40, 3, v181
	v_lshlrev_b32_e32 v42, 3, v227
	v_add3_u32 v42, v39, v40, v42
	ds_write_b64 v42, v[43:44] offset:512
	v_lshlrev_b32_e32 v39, 3, v186
	v_lshlrev_b32_e32 v40, 3, v184
	v_lshlrev_b32_e32 v43, 3, v226
	v_add3_u32 v43, v39, v40, v43
	v_lshlrev_b32_e32 v39, 3, v189
	v_lshlrev_b32_e32 v40, 3, v187
	v_lshlrev_b32_e32 v44, 3, v225
	ds_write_b64 v43, v[45:46] offset:512
	v_add3_u32 v44, v39, v40, v44
	v_lshlrev_b32_e32 v39, 3, v192
	v_lshlrev_b32_e32 v40, 3, v190
	v_lshlrev_b32_e32 v45, 3, v224
	v_add3_u32 v45, v39, v40, v45
	v_lshlrev_b32_e32 v39, 3, v195
	v_lshlrev_b32_e32 v40, 3, v193
	v_lshlrev_b32_e32 v46, 3, v223
	ds_write_b64 v44, v[47:48] offset:512
	v_add3_u32 v46, v39, v40, v46
	v_lshlrev_b32_e32 v39, 3, v198
	v_lshlrev_b32_e32 v40, 3, v196
	v_lshlrev_b32_e32 v47, 3, v197
	v_add3_u32 v47, v39, v40, v47
	v_lshlrev_b32_e32 v39, 3, v201
	v_lshlrev_b32_e32 v40, 3, v199
	v_lshlrev_b32_e32 v48, 3, v194
	ds_write_b64 v45, v[49:50] offset:512
	v_add3_u32 v48, v39, v40, v48
	v_lshlrev_b32_e32 v39, 3, v204
	v_lshlrev_b32_e32 v40, 3, v202
	v_lshlrev_b32_e32 v49, 3, v191
	v_add3_u32 v49, v39, v40, v49
	v_lshlrev_b32_e32 v39, 3, v206
	v_lshlrev_b32_e32 v40, 3, v205
	v_lshlrev_b32_e32 v50, 3, v188
	ds_write_b64 v46, v[51:52] offset:512
	v_add3_u32 v50, v39, v40, v50
	v_lshlrev_b32_e32 v39, 3, v209
	v_lshlrev_b32_e32 v40, 3, v208
	v_lshlrev_b32_e32 v51, 3, v185
	v_add3_u32 v51, v39, v40, v51
	v_lshlrev_b32_e32 v39, 3, v212
	v_lshlrev_b32_e32 v40, 3, v211
	v_lshlrev_b32_e32 v52, 3, v182
	ds_write_b64 v47, v[53:54] offset:512
	v_add3_u32 v52, v39, v40, v52
	v_lshlrev_b32_e32 v39, 3, v215
	v_lshlrev_b32_e32 v40, 3, v214
	v_lshlrev_b32_e32 v53, 3, v179
	v_add3_u32 v53, v39, v40, v53
	v_lshlrev_b32_e32 v39, 3, v218
	v_lshlrev_b32_e32 v40, 3, v217
	v_lshlrev_b32_e32 v54, 3, v72
	ds_write_b64 v48, v[55:56] offset:512
	v_add3_u32 v54, v39, v40, v54
	v_lshlrev_b32_e32 v39, 3, v221
	v_lshlrev_b32_e32 v40, 3, v220
	v_lshlrev_b32_e32 v55, 3, v71
	v_add3_u32 v55, v39, v40, v55
	v_cmp_lt_u32_e64 s[40:41], v0, v176
	ds_write_b64 v49, v[57:58] offset:512
	ds_write_b64 v50, v[59:60] offset:512
	ds_write_b64 v51, v[61:62] offset:512
	ds_write_b64 v52, v[63:64] offset:512
	ds_write_b64 v53, v[65:66] offset:512
	ds_write_b64 v54, v[67:68] offset:512
	ds_write_b64 v55, v[69:70] offset:512
	s_waitcnt lgkmcnt(0)
	s_barrier
	s_and_saveexec_b64 s[42:43], s[40:41]
	s_cbranch_execnz .LBB841_843
; %bb.775:                              ;   in Loop: Header=BB841_694 Depth=2
	s_or_b64 exec, exec, s[42:43]
	v_cmp_lt_u32_e64 s[42:43], v74, v176
	s_and_saveexec_b64 s[44:45], s[42:43]
	s_cbranch_execnz .LBB841_844
.LBB841_776:                            ;   in Loop: Header=BB841_694 Depth=2
	s_or_b64 exec, exec, s[44:45]
	v_cmp_lt_u32_e64 s[44:45], v77, v176
	s_and_saveexec_b64 s[46:47], s[44:45]
	s_cbranch_execnz .LBB841_845
.LBB841_777:                            ;   in Loop: Header=BB841_694 Depth=2
	s_or_b64 exec, exec, s[46:47]
	v_cmp_lt_u32_e64 s[46:47], v78, v176
	s_and_saveexec_b64 s[48:49], s[46:47]
	s_cbranch_execnz .LBB841_846
.LBB841_778:                            ;   in Loop: Header=BB841_694 Depth=2
	s_or_b64 exec, exec, s[48:49]
	v_cmp_lt_u32_e64 s[48:49], v79, v176
	s_and_saveexec_b64 s[50:51], s[48:49]
	s_cbranch_execnz .LBB841_847
.LBB841_779:                            ;   in Loop: Header=BB841_694 Depth=2
	s_or_b64 exec, exec, s[50:51]
	v_cmp_lt_u32_e64 s[50:51], v80, v176
	s_and_saveexec_b64 s[52:53], s[50:51]
	s_cbranch_execnz .LBB841_848
.LBB841_780:                            ;   in Loop: Header=BB841_694 Depth=2
	s_or_b64 exec, exec, s[52:53]
	v_cmp_lt_u32_e64 s[52:53], v81, v176
	s_and_saveexec_b64 s[54:55], s[52:53]
	s_cbranch_execnz .LBB841_849
.LBB841_781:                            ;   in Loop: Header=BB841_694 Depth=2
	s_or_b64 exec, exec, s[54:55]
	v_cmp_lt_u32_e64 s[54:55], v82, v176
	s_and_saveexec_b64 s[56:57], s[54:55]
	s_cbranch_execnz .LBB841_850
.LBB841_782:                            ;   in Loop: Header=BB841_694 Depth=2
	s_or_b64 exec, exec, s[56:57]
	v_cmp_lt_u32_e64 s[56:57], v83, v176
	s_and_saveexec_b64 s[58:59], s[56:57]
	s_cbranch_execnz .LBB841_851
.LBB841_783:                            ;   in Loop: Header=BB841_694 Depth=2
	s_or_b64 exec, exec, s[58:59]
	v_cmp_lt_u32_e64 s[58:59], v84, v176
	s_and_saveexec_b64 s[60:61], s[58:59]
	s_cbranch_execnz .LBB841_852
.LBB841_784:                            ;   in Loop: Header=BB841_694 Depth=2
	s_or_b64 exec, exec, s[60:61]
	v_cmp_lt_u32_e64 s[60:61], v85, v176
	s_and_saveexec_b64 s[62:63], s[60:61]
	s_cbranch_execnz .LBB841_853
.LBB841_785:                            ;   in Loop: Header=BB841_694 Depth=2
	s_or_b64 exec, exec, s[62:63]
	v_cmp_lt_u32_e64 s[62:63], v86, v176
	s_and_saveexec_b64 s[64:65], s[62:63]
	s_cbranch_execnz .LBB841_854
.LBB841_786:                            ;   in Loop: Header=BB841_694 Depth=2
	s_or_b64 exec, exec, s[64:65]
	v_cmp_lt_u32_e64 s[64:65], v87, v176
	s_and_saveexec_b64 s[66:67], s[64:65]
	s_cbranch_execnz .LBB841_855
.LBB841_787:                            ;   in Loop: Header=BB841_694 Depth=2
	s_or_b64 exec, exec, s[66:67]
	v_cmp_lt_u32_e64 s[66:67], v88, v176
	s_and_saveexec_b64 s[68:69], s[66:67]
	s_cbranch_execnz .LBB841_856
.LBB841_788:                            ;   in Loop: Header=BB841_694 Depth=2
	s_or_b64 exec, exec, s[68:69]
	v_cmp_lt_u32_e64 s[68:69], v89, v176
	s_and_saveexec_b64 s[70:71], s[68:69]
	s_cbranch_execnz .LBB841_857
.LBB841_789:                            ;   in Loop: Header=BB841_694 Depth=2
	s_or_b64 exec, exec, s[70:71]
	v_cmp_lt_u32_e64 s[70:71], v90, v176
	s_and_saveexec_b64 s[82:83], s[70:71]
	s_cbranch_execz .LBB841_791
.LBB841_790:                            ;   in Loop: Header=BB841_694 Depth=2
	ds_read_b64 v[39:40], v106 offset:31232
	v_mov_b32_e32 v58, s79
	s_waitcnt lgkmcnt(0)
	v_lshrrev_b64 v[56:57], s88, v[39:40]
	v_mov_b32_e32 v57, v3
	v_and_b32_e32 v56, s98, v56
	v_lshlrev_b32_e32 v56, 2, v56
	ds_read_b32 v56, v56
	v_xor_b32_e32 v40, 0x80000000, v40
	s_waitcnt lgkmcnt(0)
	v_add_u32_e32 v56, v56, v90
	v_lshlrev_b64 v[56:57], 3, v[56:57]
	v_add_co_u32_e32 v56, vcc, s78, v56
	v_addc_co_u32_e32 v57, vcc, v58, v57, vcc
	global_store_dwordx2 v[56:57], v[39:40], off
.LBB841_791:                            ;   in Loop: Header=BB841_694 Depth=2
	s_or_b64 exec, exec, s[82:83]
	s_lshl_b64 s[6:7], s[92:93], 3
	v_mov_b32_e32 v40, s7
	v_add_co_u32_e32 v39, vcc, s6, v154
	v_addc_co_u32_e32 v40, vcc, v155, v40, vcc
	v_cmp_lt_u32_e32 vcc, v153, v176
	s_and_saveexec_b64 s[6:7], vcc
	s_xor_b64 s[82:83], exec, s[6:7]
	s_cbranch_execnz .LBB841_858
; %bb.792:                              ;   in Loop: Header=BB841_694 Depth=2
	s_or_b64 exec, exec, s[82:83]
	v_cmp_lt_u32_e32 vcc, v156, v176
	s_and_saveexec_b64 s[82:83], vcc
	s_cbranch_execnz .LBB841_859
.LBB841_793:                            ;   in Loop: Header=BB841_694 Depth=2
	s_or_b64 exec, exec, s[82:83]
	v_cmp_lt_u32_e32 vcc, v157, v176
	s_and_saveexec_b64 s[82:83], vcc
	s_cbranch_execnz .LBB841_860
.LBB841_794:                            ;   in Loop: Header=BB841_694 Depth=2
	s_or_b64 exec, exec, s[82:83]
	v_cmp_lt_u32_e32 vcc, v158, v176
	s_and_saveexec_b64 s[82:83], vcc
	s_cbranch_execnz .LBB841_861
.LBB841_795:                            ;   in Loop: Header=BB841_694 Depth=2
	s_or_b64 exec, exec, s[82:83]
	v_cmp_lt_u32_e32 vcc, v159, v176
	s_and_saveexec_b64 s[82:83], vcc
	s_cbranch_execnz .LBB841_862
.LBB841_796:                            ;   in Loop: Header=BB841_694 Depth=2
	s_or_b64 exec, exec, s[82:83]
	v_cmp_lt_u32_e32 vcc, v160, v176
	s_and_saveexec_b64 s[82:83], vcc
	s_cbranch_execnz .LBB841_863
.LBB841_797:                            ;   in Loop: Header=BB841_694 Depth=2
	s_or_b64 exec, exec, s[82:83]
	v_cmp_lt_u32_e32 vcc, v161, v176
	s_and_saveexec_b64 s[82:83], vcc
	s_cbranch_execnz .LBB841_864
.LBB841_798:                            ;   in Loop: Header=BB841_694 Depth=2
	s_or_b64 exec, exec, s[82:83]
	v_cmp_lt_u32_e32 vcc, v162, v176
	s_and_saveexec_b64 s[82:83], vcc
	s_cbranch_execnz .LBB841_865
.LBB841_799:                            ;   in Loop: Header=BB841_694 Depth=2
	s_or_b64 exec, exec, s[82:83]
	v_cmp_lt_u32_e32 vcc, v163, v176
	s_and_saveexec_b64 s[82:83], vcc
	s_cbranch_execnz .LBB841_866
.LBB841_800:                            ;   in Loop: Header=BB841_694 Depth=2
	s_or_b64 exec, exec, s[82:83]
	v_cmp_lt_u32_e32 vcc, v164, v176
	s_and_saveexec_b64 s[82:83], vcc
	s_cbranch_execnz .LBB841_867
.LBB841_801:                            ;   in Loop: Header=BB841_694 Depth=2
	s_or_b64 exec, exec, s[82:83]
	v_cmp_lt_u32_e32 vcc, v165, v176
	s_and_saveexec_b64 s[82:83], vcc
	s_cbranch_execnz .LBB841_868
.LBB841_802:                            ;   in Loop: Header=BB841_694 Depth=2
	s_or_b64 exec, exec, s[82:83]
	v_cmp_lt_u32_e32 vcc, v166, v176
	s_and_saveexec_b64 s[82:83], vcc
	s_cbranch_execnz .LBB841_869
.LBB841_803:                            ;   in Loop: Header=BB841_694 Depth=2
	s_or_b64 exec, exec, s[82:83]
	v_cmp_lt_u32_e32 vcc, v167, v176
	s_and_saveexec_b64 s[82:83], vcc
	s_cbranch_execnz .LBB841_870
.LBB841_804:                            ;   in Loop: Header=BB841_694 Depth=2
	s_or_b64 exec, exec, s[82:83]
	v_cmp_lt_u32_e32 vcc, v168, v176
	s_and_saveexec_b64 s[82:83], vcc
	s_cbranch_execnz .LBB841_871
.LBB841_805:                            ;   in Loop: Header=BB841_694 Depth=2
	s_or_b64 exec, exec, s[82:83]
	v_cmp_lt_u32_e32 vcc, v169, v176
	s_and_saveexec_b64 s[82:83], vcc
	s_cbranch_execnz .LBB841_872
.LBB841_806:                            ;   in Loop: Header=BB841_694 Depth=2
	s_or_b64 exec, exec, s[82:83]
	v_cmp_lt_u32_e32 vcc, v170, v176
	s_and_saveexec_b64 s[82:83], vcc
	s_cbranch_execnz .LBB841_873
.LBB841_807:                            ;   in Loop: Header=BB841_694 Depth=2
	s_or_b64 exec, exec, s[82:83]
	s_and_saveexec_b64 s[82:83], s[40:41]
	s_cbranch_execnz .LBB841_874
.LBB841_808:                            ;   in Loop: Header=BB841_694 Depth=2
	s_or_b64 exec, exec, s[82:83]
	s_and_saveexec_b64 s[82:83], s[42:43]
	s_cbranch_execnz .LBB841_875
.LBB841_809:                            ;   in Loop: Header=BB841_694 Depth=2
	s_or_b64 exec, exec, s[82:83]
	s_and_saveexec_b64 s[82:83], s[44:45]
	s_cbranch_execnz .LBB841_876
.LBB841_810:                            ;   in Loop: Header=BB841_694 Depth=2
	s_or_b64 exec, exec, s[82:83]
	s_and_saveexec_b64 s[82:83], s[46:47]
	s_cbranch_execnz .LBB841_877
.LBB841_811:                            ;   in Loop: Header=BB841_694 Depth=2
	s_or_b64 exec, exec, s[82:83]
	s_and_saveexec_b64 s[82:83], s[48:49]
	s_cbranch_execnz .LBB841_878
.LBB841_812:                            ;   in Loop: Header=BB841_694 Depth=2
	s_or_b64 exec, exec, s[82:83]
	s_and_saveexec_b64 s[82:83], s[50:51]
	s_cbranch_execnz .LBB841_879
.LBB841_813:                            ;   in Loop: Header=BB841_694 Depth=2
	s_or_b64 exec, exec, s[82:83]
	s_and_saveexec_b64 s[82:83], s[52:53]
	s_cbranch_execnz .LBB841_880
.LBB841_814:                            ;   in Loop: Header=BB841_694 Depth=2
	s_or_b64 exec, exec, s[82:83]
	s_and_saveexec_b64 s[82:83], s[54:55]
	s_cbranch_execnz .LBB841_881
.LBB841_815:                            ;   in Loop: Header=BB841_694 Depth=2
	s_or_b64 exec, exec, s[82:83]
	s_and_saveexec_b64 s[82:83], s[56:57]
	s_cbranch_execnz .LBB841_882
.LBB841_816:                            ;   in Loop: Header=BB841_694 Depth=2
	s_or_b64 exec, exec, s[82:83]
	s_and_saveexec_b64 s[82:83], s[58:59]
	s_cbranch_execnz .LBB841_883
.LBB841_817:                            ;   in Loop: Header=BB841_694 Depth=2
	s_or_b64 exec, exec, s[82:83]
	s_and_saveexec_b64 s[82:83], s[60:61]
	s_cbranch_execnz .LBB841_884
.LBB841_818:                            ;   in Loop: Header=BB841_694 Depth=2
	s_or_b64 exec, exec, s[82:83]
	s_and_saveexec_b64 s[82:83], s[62:63]
	s_cbranch_execnz .LBB841_885
.LBB841_819:                            ;   in Loop: Header=BB841_694 Depth=2
	s_or_b64 exec, exec, s[82:83]
	s_and_saveexec_b64 s[82:83], s[64:65]
	s_cbranch_execnz .LBB841_886
.LBB841_820:                            ;   in Loop: Header=BB841_694 Depth=2
	s_or_b64 exec, exec, s[82:83]
	s_and_saveexec_b64 s[82:83], s[66:67]
	s_cbranch_execnz .LBB841_887
.LBB841_821:                            ;   in Loop: Header=BB841_694 Depth=2
	s_or_b64 exec, exec, s[82:83]
	s_and_saveexec_b64 s[82:83], s[68:69]
	s_cbranch_execnz .LBB841_888
.LBB841_822:                            ;   in Loop: Header=BB841_694 Depth=2
	s_or_b64 exec, exec, s[82:83]
	s_and_saveexec_b64 s[82:83], s[70:71]
	s_cbranch_execz .LBB841_824
.LBB841_823:                            ;   in Loop: Header=BB841_694 Depth=2
	ds_read_b64 v[39:40], v106 offset:31232
	s_waitcnt lgkmcnt(0)
	v_lshrrev_b64 v[39:40], s88, v[39:40]
	v_and_b32_e32 v137, s98, v39
.LBB841_824:                            ;   in Loop: Header=BB841_694 Depth=2
	s_or_b64 exec, exec, s[82:83]
	s_waitcnt vmcnt(0)
	s_barrier
	ds_write_b64 v4, v[37:38] offset:512
	ds_write_b64 v41, v[35:36] offset:512
	;; [unrolled: 1-line block ×16, first 2 shown]
	s_waitcnt lgkmcnt(0)
	s_barrier
	s_and_saveexec_b64 s[82:83], s[40:41]
	s_cbranch_execnz .LBB841_889
; %bb.825:                              ;   in Loop: Header=BB841_694 Depth=2
	s_or_b64 exec, exec, s[82:83]
	s_and_saveexec_b64 s[40:41], s[42:43]
	s_cbranch_execnz .LBB841_890
.LBB841_826:                            ;   in Loop: Header=BB841_694 Depth=2
	s_or_b64 exec, exec, s[40:41]
	s_and_saveexec_b64 s[40:41], s[44:45]
	s_cbranch_execnz .LBB841_891
.LBB841_827:                            ;   in Loop: Header=BB841_694 Depth=2
	s_or_b64 exec, exec, s[40:41]
	s_and_saveexec_b64 s[40:41], s[46:47]
	s_cbranch_execnz .LBB841_892
.LBB841_828:                            ;   in Loop: Header=BB841_694 Depth=2
	s_or_b64 exec, exec, s[40:41]
	s_and_saveexec_b64 s[40:41], s[48:49]
	s_cbranch_execnz .LBB841_893
.LBB841_829:                            ;   in Loop: Header=BB841_694 Depth=2
	s_or_b64 exec, exec, s[40:41]
	s_and_saveexec_b64 s[40:41], s[50:51]
	s_cbranch_execnz .LBB841_894
.LBB841_830:                            ;   in Loop: Header=BB841_694 Depth=2
	s_or_b64 exec, exec, s[40:41]
	s_and_saveexec_b64 s[40:41], s[52:53]
	s_cbranch_execnz .LBB841_895
.LBB841_831:                            ;   in Loop: Header=BB841_694 Depth=2
	s_or_b64 exec, exec, s[40:41]
	s_and_saveexec_b64 s[40:41], s[54:55]
	s_cbranch_execnz .LBB841_896
.LBB841_832:                            ;   in Loop: Header=BB841_694 Depth=2
	s_or_b64 exec, exec, s[40:41]
	s_and_saveexec_b64 s[40:41], s[56:57]
	s_cbranch_execnz .LBB841_897
.LBB841_833:                            ;   in Loop: Header=BB841_694 Depth=2
	s_or_b64 exec, exec, s[40:41]
	s_and_saveexec_b64 s[40:41], s[58:59]
	s_cbranch_execnz .LBB841_898
.LBB841_834:                            ;   in Loop: Header=BB841_694 Depth=2
	s_or_b64 exec, exec, s[40:41]
	s_and_saveexec_b64 s[40:41], s[60:61]
	s_cbranch_execnz .LBB841_899
.LBB841_835:                            ;   in Loop: Header=BB841_694 Depth=2
	s_or_b64 exec, exec, s[40:41]
	s_and_saveexec_b64 s[40:41], s[62:63]
	s_cbranch_execnz .LBB841_900
.LBB841_836:                            ;   in Loop: Header=BB841_694 Depth=2
	s_or_b64 exec, exec, s[40:41]
	s_and_saveexec_b64 s[40:41], s[64:65]
	s_cbranch_execnz .LBB841_901
.LBB841_837:                            ;   in Loop: Header=BB841_694 Depth=2
	s_or_b64 exec, exec, s[40:41]
	s_and_saveexec_b64 s[40:41], s[66:67]
	s_cbranch_execnz .LBB841_902
.LBB841_838:                            ;   in Loop: Header=BB841_694 Depth=2
	s_or_b64 exec, exec, s[40:41]
	s_and_saveexec_b64 s[40:41], s[68:69]
	s_cbranch_execnz .LBB841_903
.LBB841_839:                            ;   in Loop: Header=BB841_694 Depth=2
	s_or_b64 exec, exec, s[40:41]
	s_and_saveexec_b64 s[40:41], s[70:71]
	s_cbranch_execz .LBB841_841
.LBB841_840:                            ;   in Loop: Header=BB841_694 Depth=2
	v_lshlrev_b32_e32 v4, 2, v137
	ds_read_b32 v4, v4
	ds_read_b64 v[39:40], v106 offset:31232
	v_mov_b32_e32 v42, v3
	v_mov_b32_e32 v43, s85
	s_waitcnt lgkmcnt(1)
	v_add_u32_e32 v41, v4, v90
	v_lshlrev_b64 v[41:42], 3, v[41:42]
	v_add_co_u32_e32 v41, vcc, s84, v41
	v_addc_co_u32_e32 v42, vcc, v43, v42, vcc
	s_waitcnt lgkmcnt(0)
	global_store_dwordx2 v[41:42], v[39:40], off
.LBB841_841:                            ;   in Loop: Header=BB841_694 Depth=2
	s_or_b64 exec, exec, s[40:41]
	s_waitcnt vmcnt(0)
	s_barrier
	s_and_saveexec_b64 s[40:41], s[4:5]
	s_cbranch_execz .LBB841_693
; %bb.842:                              ;   in Loop: Header=BB841_694 Depth=2
	ds_read_b32 v4, v73
	s_waitcnt lgkmcnt(0)
	v_add3_u32 v4, v174, v175, v4
	ds_write_b32 v73, v4
	s_branch .LBB841_693
.LBB841_843:                            ;   in Loop: Header=BB841_694 Depth=2
	ds_read_b64 v[39:40], v106 offset:512
	v_mov_b32_e32 v58, s79
	s_waitcnt lgkmcnt(0)
	v_lshrrev_b64 v[56:57], s88, v[39:40]
	v_mov_b32_e32 v57, v3
	v_and_b32_e32 v56, s98, v56
	v_lshlrev_b32_e32 v56, 2, v56
	ds_read_b32 v56, v56
	v_xor_b32_e32 v40, 0x80000000, v40
	s_waitcnt lgkmcnt(0)
	v_add_u32_e32 v56, v56, v0
	v_lshlrev_b64 v[56:57], 3, v[56:57]
	v_add_co_u32_e32 v56, vcc, s78, v56
	v_addc_co_u32_e32 v57, vcc, v58, v57, vcc
	global_store_dwordx2 v[56:57], v[39:40], off
	s_or_b64 exec, exec, s[42:43]
	v_cmp_lt_u32_e64 s[42:43], v74, v176
	s_and_saveexec_b64 s[44:45], s[42:43]
	s_cbranch_execz .LBB841_776
.LBB841_844:                            ;   in Loop: Header=BB841_694 Depth=2
	ds_read_b64 v[39:40], v106 offset:2560
	v_mov_b32_e32 v58, s79
	s_waitcnt lgkmcnt(0)
	v_lshrrev_b64 v[56:57], s88, v[39:40]
	v_mov_b32_e32 v57, v3
	v_and_b32_e32 v56, s98, v56
	v_lshlrev_b32_e32 v56, 2, v56
	ds_read_b32 v56, v56
	v_xor_b32_e32 v40, 0x80000000, v40
	s_waitcnt lgkmcnt(0)
	v_add_u32_e32 v56, v56, v74
	v_lshlrev_b64 v[56:57], 3, v[56:57]
	v_add_co_u32_e32 v56, vcc, s78, v56
	v_addc_co_u32_e32 v57, vcc, v58, v57, vcc
	global_store_dwordx2 v[56:57], v[39:40], off
	s_or_b64 exec, exec, s[44:45]
	v_cmp_lt_u32_e64 s[44:45], v77, v176
	s_and_saveexec_b64 s[46:47], s[44:45]
	s_cbranch_execz .LBB841_777
.LBB841_845:                            ;   in Loop: Header=BB841_694 Depth=2
	ds_read_b64 v[39:40], v106 offset:4608
	v_mov_b32_e32 v58, s79
	s_waitcnt lgkmcnt(0)
	v_lshrrev_b64 v[56:57], s88, v[39:40]
	v_mov_b32_e32 v57, v3
	v_and_b32_e32 v56, s98, v56
	v_lshlrev_b32_e32 v56, 2, v56
	ds_read_b32 v56, v56
	v_xor_b32_e32 v40, 0x80000000, v40
	s_waitcnt lgkmcnt(0)
	v_add_u32_e32 v56, v56, v77
	v_lshlrev_b64 v[56:57], 3, v[56:57]
	v_add_co_u32_e32 v56, vcc, s78, v56
	v_addc_co_u32_e32 v57, vcc, v58, v57, vcc
	global_store_dwordx2 v[56:57], v[39:40], off
	s_or_b64 exec, exec, s[46:47]
	v_cmp_lt_u32_e64 s[46:47], v78, v176
	s_and_saveexec_b64 s[48:49], s[46:47]
	s_cbranch_execz .LBB841_778
.LBB841_846:                            ;   in Loop: Header=BB841_694 Depth=2
	ds_read_b64 v[39:40], v106 offset:6656
	v_mov_b32_e32 v58, s79
	s_waitcnt lgkmcnt(0)
	v_lshrrev_b64 v[56:57], s88, v[39:40]
	v_mov_b32_e32 v57, v3
	v_and_b32_e32 v56, s98, v56
	v_lshlrev_b32_e32 v56, 2, v56
	ds_read_b32 v56, v56
	v_xor_b32_e32 v40, 0x80000000, v40
	s_waitcnt lgkmcnt(0)
	v_add_u32_e32 v56, v56, v78
	v_lshlrev_b64 v[56:57], 3, v[56:57]
	v_add_co_u32_e32 v56, vcc, s78, v56
	v_addc_co_u32_e32 v57, vcc, v58, v57, vcc
	global_store_dwordx2 v[56:57], v[39:40], off
	s_or_b64 exec, exec, s[48:49]
	v_cmp_lt_u32_e64 s[48:49], v79, v176
	s_and_saveexec_b64 s[50:51], s[48:49]
	s_cbranch_execz .LBB841_779
.LBB841_847:                            ;   in Loop: Header=BB841_694 Depth=2
	ds_read_b64 v[39:40], v106 offset:8704
	v_mov_b32_e32 v58, s79
	s_waitcnt lgkmcnt(0)
	v_lshrrev_b64 v[56:57], s88, v[39:40]
	v_mov_b32_e32 v57, v3
	v_and_b32_e32 v56, s98, v56
	v_lshlrev_b32_e32 v56, 2, v56
	ds_read_b32 v56, v56
	v_xor_b32_e32 v40, 0x80000000, v40
	s_waitcnt lgkmcnt(0)
	v_add_u32_e32 v56, v56, v79
	v_lshlrev_b64 v[56:57], 3, v[56:57]
	v_add_co_u32_e32 v56, vcc, s78, v56
	v_addc_co_u32_e32 v57, vcc, v58, v57, vcc
	global_store_dwordx2 v[56:57], v[39:40], off
	s_or_b64 exec, exec, s[50:51]
	v_cmp_lt_u32_e64 s[50:51], v80, v176
	s_and_saveexec_b64 s[52:53], s[50:51]
	s_cbranch_execz .LBB841_780
.LBB841_848:                            ;   in Loop: Header=BB841_694 Depth=2
	ds_read_b64 v[39:40], v106 offset:10752
	v_mov_b32_e32 v58, s79
	s_waitcnt lgkmcnt(0)
	v_lshrrev_b64 v[56:57], s88, v[39:40]
	v_mov_b32_e32 v57, v3
	v_and_b32_e32 v56, s98, v56
	v_lshlrev_b32_e32 v56, 2, v56
	ds_read_b32 v56, v56
	v_xor_b32_e32 v40, 0x80000000, v40
	s_waitcnt lgkmcnt(0)
	v_add_u32_e32 v56, v56, v80
	v_lshlrev_b64 v[56:57], 3, v[56:57]
	v_add_co_u32_e32 v56, vcc, s78, v56
	v_addc_co_u32_e32 v57, vcc, v58, v57, vcc
	global_store_dwordx2 v[56:57], v[39:40], off
	s_or_b64 exec, exec, s[52:53]
	v_cmp_lt_u32_e64 s[52:53], v81, v176
	s_and_saveexec_b64 s[54:55], s[52:53]
	s_cbranch_execz .LBB841_781
.LBB841_849:                            ;   in Loop: Header=BB841_694 Depth=2
	ds_read_b64 v[39:40], v106 offset:12800
	v_mov_b32_e32 v58, s79
	s_waitcnt lgkmcnt(0)
	v_lshrrev_b64 v[56:57], s88, v[39:40]
	v_mov_b32_e32 v57, v3
	v_and_b32_e32 v56, s98, v56
	v_lshlrev_b32_e32 v56, 2, v56
	ds_read_b32 v56, v56
	v_xor_b32_e32 v40, 0x80000000, v40
	s_waitcnt lgkmcnt(0)
	v_add_u32_e32 v56, v56, v81
	v_lshlrev_b64 v[56:57], 3, v[56:57]
	v_add_co_u32_e32 v56, vcc, s78, v56
	v_addc_co_u32_e32 v57, vcc, v58, v57, vcc
	global_store_dwordx2 v[56:57], v[39:40], off
	s_or_b64 exec, exec, s[54:55]
	v_cmp_lt_u32_e64 s[54:55], v82, v176
	s_and_saveexec_b64 s[56:57], s[54:55]
	s_cbranch_execz .LBB841_782
.LBB841_850:                            ;   in Loop: Header=BB841_694 Depth=2
	ds_read_b64 v[39:40], v106 offset:14848
	v_mov_b32_e32 v58, s79
	s_waitcnt lgkmcnt(0)
	v_lshrrev_b64 v[56:57], s88, v[39:40]
	v_mov_b32_e32 v57, v3
	v_and_b32_e32 v56, s98, v56
	v_lshlrev_b32_e32 v56, 2, v56
	ds_read_b32 v56, v56
	v_xor_b32_e32 v40, 0x80000000, v40
	s_waitcnt lgkmcnt(0)
	v_add_u32_e32 v56, v56, v82
	v_lshlrev_b64 v[56:57], 3, v[56:57]
	v_add_co_u32_e32 v56, vcc, s78, v56
	v_addc_co_u32_e32 v57, vcc, v58, v57, vcc
	global_store_dwordx2 v[56:57], v[39:40], off
	s_or_b64 exec, exec, s[56:57]
	v_cmp_lt_u32_e64 s[56:57], v83, v176
	s_and_saveexec_b64 s[58:59], s[56:57]
	s_cbranch_execz .LBB841_783
.LBB841_851:                            ;   in Loop: Header=BB841_694 Depth=2
	ds_read_b64 v[39:40], v106 offset:16896
	v_mov_b32_e32 v58, s79
	s_waitcnt lgkmcnt(0)
	v_lshrrev_b64 v[56:57], s88, v[39:40]
	v_mov_b32_e32 v57, v3
	v_and_b32_e32 v56, s98, v56
	v_lshlrev_b32_e32 v56, 2, v56
	ds_read_b32 v56, v56
	v_xor_b32_e32 v40, 0x80000000, v40
	s_waitcnt lgkmcnt(0)
	v_add_u32_e32 v56, v56, v83
	v_lshlrev_b64 v[56:57], 3, v[56:57]
	v_add_co_u32_e32 v56, vcc, s78, v56
	v_addc_co_u32_e32 v57, vcc, v58, v57, vcc
	global_store_dwordx2 v[56:57], v[39:40], off
	s_or_b64 exec, exec, s[58:59]
	v_cmp_lt_u32_e64 s[58:59], v84, v176
	s_and_saveexec_b64 s[60:61], s[58:59]
	s_cbranch_execz .LBB841_784
.LBB841_852:                            ;   in Loop: Header=BB841_694 Depth=2
	ds_read_b64 v[39:40], v106 offset:18944
	v_mov_b32_e32 v58, s79
	s_waitcnt lgkmcnt(0)
	v_lshrrev_b64 v[56:57], s88, v[39:40]
	v_mov_b32_e32 v57, v3
	v_and_b32_e32 v56, s98, v56
	v_lshlrev_b32_e32 v56, 2, v56
	ds_read_b32 v56, v56
	v_xor_b32_e32 v40, 0x80000000, v40
	s_waitcnt lgkmcnt(0)
	v_add_u32_e32 v56, v56, v84
	v_lshlrev_b64 v[56:57], 3, v[56:57]
	v_add_co_u32_e32 v56, vcc, s78, v56
	v_addc_co_u32_e32 v57, vcc, v58, v57, vcc
	global_store_dwordx2 v[56:57], v[39:40], off
	s_or_b64 exec, exec, s[60:61]
	v_cmp_lt_u32_e64 s[60:61], v85, v176
	s_and_saveexec_b64 s[62:63], s[60:61]
	s_cbranch_execz .LBB841_785
.LBB841_853:                            ;   in Loop: Header=BB841_694 Depth=2
	ds_read_b64 v[39:40], v106 offset:20992
	v_mov_b32_e32 v58, s79
	s_waitcnt lgkmcnt(0)
	v_lshrrev_b64 v[56:57], s88, v[39:40]
	v_mov_b32_e32 v57, v3
	v_and_b32_e32 v56, s98, v56
	v_lshlrev_b32_e32 v56, 2, v56
	ds_read_b32 v56, v56
	v_xor_b32_e32 v40, 0x80000000, v40
	s_waitcnt lgkmcnt(0)
	v_add_u32_e32 v56, v56, v85
	v_lshlrev_b64 v[56:57], 3, v[56:57]
	v_add_co_u32_e32 v56, vcc, s78, v56
	v_addc_co_u32_e32 v57, vcc, v58, v57, vcc
	global_store_dwordx2 v[56:57], v[39:40], off
	s_or_b64 exec, exec, s[62:63]
	v_cmp_lt_u32_e64 s[62:63], v86, v176
	s_and_saveexec_b64 s[64:65], s[62:63]
	s_cbranch_execz .LBB841_786
.LBB841_854:                            ;   in Loop: Header=BB841_694 Depth=2
	ds_read_b64 v[39:40], v106 offset:23040
	v_mov_b32_e32 v58, s79
	s_waitcnt lgkmcnt(0)
	v_lshrrev_b64 v[56:57], s88, v[39:40]
	v_mov_b32_e32 v57, v3
	v_and_b32_e32 v56, s98, v56
	v_lshlrev_b32_e32 v56, 2, v56
	ds_read_b32 v56, v56
	v_xor_b32_e32 v40, 0x80000000, v40
	s_waitcnt lgkmcnt(0)
	v_add_u32_e32 v56, v56, v86
	v_lshlrev_b64 v[56:57], 3, v[56:57]
	v_add_co_u32_e32 v56, vcc, s78, v56
	v_addc_co_u32_e32 v57, vcc, v58, v57, vcc
	global_store_dwordx2 v[56:57], v[39:40], off
	s_or_b64 exec, exec, s[64:65]
	v_cmp_lt_u32_e64 s[64:65], v87, v176
	s_and_saveexec_b64 s[66:67], s[64:65]
	s_cbranch_execz .LBB841_787
.LBB841_855:                            ;   in Loop: Header=BB841_694 Depth=2
	ds_read_b64 v[39:40], v106 offset:25088
	v_mov_b32_e32 v58, s79
	s_waitcnt lgkmcnt(0)
	v_lshrrev_b64 v[56:57], s88, v[39:40]
	v_mov_b32_e32 v57, v3
	v_and_b32_e32 v56, s98, v56
	v_lshlrev_b32_e32 v56, 2, v56
	ds_read_b32 v56, v56
	v_xor_b32_e32 v40, 0x80000000, v40
	s_waitcnt lgkmcnt(0)
	v_add_u32_e32 v56, v56, v87
	v_lshlrev_b64 v[56:57], 3, v[56:57]
	v_add_co_u32_e32 v56, vcc, s78, v56
	v_addc_co_u32_e32 v57, vcc, v58, v57, vcc
	global_store_dwordx2 v[56:57], v[39:40], off
	s_or_b64 exec, exec, s[66:67]
	v_cmp_lt_u32_e64 s[66:67], v88, v176
	s_and_saveexec_b64 s[68:69], s[66:67]
	s_cbranch_execz .LBB841_788
.LBB841_856:                            ;   in Loop: Header=BB841_694 Depth=2
	ds_read_b64 v[39:40], v106 offset:27136
	v_mov_b32_e32 v58, s79
	s_waitcnt lgkmcnt(0)
	v_lshrrev_b64 v[56:57], s88, v[39:40]
	v_mov_b32_e32 v57, v3
	v_and_b32_e32 v56, s98, v56
	v_lshlrev_b32_e32 v56, 2, v56
	ds_read_b32 v56, v56
	v_xor_b32_e32 v40, 0x80000000, v40
	s_waitcnt lgkmcnt(0)
	v_add_u32_e32 v56, v56, v88
	v_lshlrev_b64 v[56:57], 3, v[56:57]
	v_add_co_u32_e32 v56, vcc, s78, v56
	v_addc_co_u32_e32 v57, vcc, v58, v57, vcc
	global_store_dwordx2 v[56:57], v[39:40], off
	s_or_b64 exec, exec, s[68:69]
	v_cmp_lt_u32_e64 s[68:69], v89, v176
	s_and_saveexec_b64 s[70:71], s[68:69]
	s_cbranch_execz .LBB841_789
.LBB841_857:                            ;   in Loop: Header=BB841_694 Depth=2
	ds_read_b64 v[39:40], v106 offset:29184
	v_mov_b32_e32 v58, s79
	s_waitcnt lgkmcnt(0)
	v_lshrrev_b64 v[56:57], s88, v[39:40]
	v_mov_b32_e32 v57, v3
	v_and_b32_e32 v56, s98, v56
	v_lshlrev_b32_e32 v56, 2, v56
	ds_read_b32 v56, v56
	v_xor_b32_e32 v40, 0x80000000, v40
	s_waitcnt lgkmcnt(0)
	v_add_u32_e32 v56, v56, v89
	v_lshlrev_b64 v[56:57], 3, v[56:57]
	v_add_co_u32_e32 v56, vcc, s78, v56
	v_addc_co_u32_e32 v57, vcc, v58, v57, vcc
	global_store_dwordx2 v[56:57], v[39:40], off
	s_or_b64 exec, exec, s[70:71]
	v_cmp_lt_u32_e64 s[70:71], v90, v176
	s_and_saveexec_b64 s[82:83], s[70:71]
	s_cbranch_execnz .LBB841_790
	s_branch .LBB841_791
.LBB841_858:                            ;   in Loop: Header=BB841_694 Depth=2
	global_load_dwordx2 v[37:38], v[39:40], off
	s_or_b64 exec, exec, s[82:83]
	v_cmp_lt_u32_e32 vcc, v156, v176
	s_and_saveexec_b64 s[82:83], vcc
	s_cbranch_execz .LBB841_793
.LBB841_859:                            ;   in Loop: Header=BB841_694 Depth=2
	global_load_dwordx2 v[35:36], v[39:40], off offset:512
	s_or_b64 exec, exec, s[82:83]
	v_cmp_lt_u32_e32 vcc, v157, v176
	s_and_saveexec_b64 s[82:83], vcc
	s_cbranch_execz .LBB841_794
.LBB841_860:                            ;   in Loop: Header=BB841_694 Depth=2
	global_load_dwordx2 v[33:34], v[39:40], off offset:1024
	s_or_b64 exec, exec, s[82:83]
	v_cmp_lt_u32_e32 vcc, v158, v176
	s_and_saveexec_b64 s[82:83], vcc
	s_cbranch_execz .LBB841_795
.LBB841_861:                            ;   in Loop: Header=BB841_694 Depth=2
	global_load_dwordx2 v[29:30], v[39:40], off offset:1536
	s_or_b64 exec, exec, s[82:83]
	v_cmp_lt_u32_e32 vcc, v159, v176
	s_and_saveexec_b64 s[82:83], vcc
	s_cbranch_execz .LBB841_796
.LBB841_862:                            ;   in Loop: Header=BB841_694 Depth=2
	global_load_dwordx2 v[25:26], v[39:40], off offset:2048
	s_or_b64 exec, exec, s[82:83]
	v_cmp_lt_u32_e32 vcc, v160, v176
	s_and_saveexec_b64 s[82:83], vcc
	s_cbranch_execz .LBB841_797
.LBB841_863:                            ;   in Loop: Header=BB841_694 Depth=2
	global_load_dwordx2 v[21:22], v[39:40], off offset:2560
	s_or_b64 exec, exec, s[82:83]
	v_cmp_lt_u32_e32 vcc, v161, v176
	s_and_saveexec_b64 s[82:83], vcc
	s_cbranch_execz .LBB841_798
.LBB841_864:                            ;   in Loop: Header=BB841_694 Depth=2
	global_load_dwordx2 v[17:18], v[39:40], off offset:3072
	s_or_b64 exec, exec, s[82:83]
	v_cmp_lt_u32_e32 vcc, v162, v176
	s_and_saveexec_b64 s[82:83], vcc
	s_cbranch_execz .LBB841_799
.LBB841_865:                            ;   in Loop: Header=BB841_694 Depth=2
	global_load_dwordx2 v[13:14], v[39:40], off offset:3584
	s_or_b64 exec, exec, s[82:83]
	v_cmp_lt_u32_e32 vcc, v163, v176
	s_and_saveexec_b64 s[82:83], vcc
	s_cbranch_execz .LBB841_800
.LBB841_866:                            ;   in Loop: Header=BB841_694 Depth=2
	v_add_co_u32_e32 v31, vcc, 0x1000, v39
	v_addc_co_u32_e32 v32, vcc, 0, v40, vcc
	global_load_dwordx2 v[31:32], v[31:32], off
	s_or_b64 exec, exec, s[82:83]
	v_cmp_lt_u32_e32 vcc, v164, v176
	s_and_saveexec_b64 s[82:83], vcc
	s_cbranch_execz .LBB841_801
.LBB841_867:                            ;   in Loop: Header=BB841_694 Depth=2
	v_add_co_u32_e32 v27, vcc, 0x1000, v39
	v_addc_co_u32_e32 v28, vcc, 0, v40, vcc
	global_load_dwordx2 v[27:28], v[27:28], off offset:512
	s_or_b64 exec, exec, s[82:83]
	v_cmp_lt_u32_e32 vcc, v165, v176
	s_and_saveexec_b64 s[82:83], vcc
	s_cbranch_execz .LBB841_802
.LBB841_868:                            ;   in Loop: Header=BB841_694 Depth=2
	v_add_co_u32_e32 v23, vcc, 0x1000, v39
	v_addc_co_u32_e32 v24, vcc, 0, v40, vcc
	global_load_dwordx2 v[23:24], v[23:24], off offset:1024
	s_or_b64 exec, exec, s[82:83]
	v_cmp_lt_u32_e32 vcc, v166, v176
	s_and_saveexec_b64 s[82:83], vcc
	s_cbranch_execz .LBB841_803
.LBB841_869:                            ;   in Loop: Header=BB841_694 Depth=2
	v_add_co_u32_e32 v19, vcc, 0x1000, v39
	v_addc_co_u32_e32 v20, vcc, 0, v40, vcc
	global_load_dwordx2 v[19:20], v[19:20], off offset:1536
	s_or_b64 exec, exec, s[82:83]
	v_cmp_lt_u32_e32 vcc, v167, v176
	s_and_saveexec_b64 s[82:83], vcc
	s_cbranch_execz .LBB841_804
.LBB841_870:                            ;   in Loop: Header=BB841_694 Depth=2
	v_add_co_u32_e32 v15, vcc, 0x1000, v39
	v_addc_co_u32_e32 v16, vcc, 0, v40, vcc
	global_load_dwordx2 v[15:16], v[15:16], off offset:2048
	s_or_b64 exec, exec, s[82:83]
	v_cmp_lt_u32_e32 vcc, v168, v176
	s_and_saveexec_b64 s[82:83], vcc
	s_cbranch_execz .LBB841_805
.LBB841_871:                            ;   in Loop: Header=BB841_694 Depth=2
	v_add_co_u32_e32 v11, vcc, 0x1000, v39
	v_addc_co_u32_e32 v12, vcc, 0, v40, vcc
	global_load_dwordx2 v[11:12], v[11:12], off offset:2560
	s_or_b64 exec, exec, s[82:83]
	v_cmp_lt_u32_e32 vcc, v169, v176
	s_and_saveexec_b64 s[82:83], vcc
	s_cbranch_execz .LBB841_806
.LBB841_872:                            ;   in Loop: Header=BB841_694 Depth=2
	v_add_co_u32_e32 v9, vcc, 0x1000, v39
	v_addc_co_u32_e32 v10, vcc, 0, v40, vcc
	global_load_dwordx2 v[9:10], v[9:10], off offset:3072
	s_or_b64 exec, exec, s[82:83]
	v_cmp_lt_u32_e32 vcc, v170, v176
	s_and_saveexec_b64 s[82:83], vcc
	s_cbranch_execz .LBB841_807
.LBB841_873:                            ;   in Loop: Header=BB841_694 Depth=2
	v_add_co_u32_e32 v7, vcc, 0x1000, v39
	v_addc_co_u32_e32 v8, vcc, 0, v40, vcc
	global_load_dwordx2 v[7:8], v[7:8], off offset:3584
	s_or_b64 exec, exec, s[82:83]
	s_and_saveexec_b64 s[82:83], s[40:41]
	s_cbranch_execz .LBB841_808
.LBB841_874:                            ;   in Loop: Header=BB841_694 Depth=2
	ds_read_b64 v[39:40], v106 offset:512
	s_waitcnt lgkmcnt(0)
	v_lshrrev_b64 v[39:40], s88, v[39:40]
	v_and_b32_e32 v152, s98, v39
	s_or_b64 exec, exec, s[82:83]
	s_and_saveexec_b64 s[82:83], s[42:43]
	s_cbranch_execz .LBB841_809
.LBB841_875:                            ;   in Loop: Header=BB841_694 Depth=2
	ds_read_b64 v[39:40], v106 offset:2560
	s_waitcnt lgkmcnt(0)
	v_lshrrev_b64 v[39:40], s88, v[39:40]
	v_and_b32_e32 v151, s98, v39
	s_or_b64 exec, exec, s[82:83]
	s_and_saveexec_b64 s[82:83], s[44:45]
	s_cbranch_execz .LBB841_810
.LBB841_876:                            ;   in Loop: Header=BB841_694 Depth=2
	ds_read_b64 v[39:40], v106 offset:4608
	s_waitcnt lgkmcnt(0)
	v_lshrrev_b64 v[39:40], s88, v[39:40]
	v_and_b32_e32 v150, s98, v39
	s_or_b64 exec, exec, s[82:83]
	s_and_saveexec_b64 s[82:83], s[46:47]
	s_cbranch_execz .LBB841_811
.LBB841_877:                            ;   in Loop: Header=BB841_694 Depth=2
	ds_read_b64 v[39:40], v106 offset:6656
	s_waitcnt lgkmcnt(0)
	v_lshrrev_b64 v[39:40], s88, v[39:40]
	v_and_b32_e32 v149, s98, v39
	s_or_b64 exec, exec, s[82:83]
	s_and_saveexec_b64 s[82:83], s[48:49]
	s_cbranch_execz .LBB841_812
.LBB841_878:                            ;   in Loop: Header=BB841_694 Depth=2
	ds_read_b64 v[39:40], v106 offset:8704
	s_waitcnt lgkmcnt(0)
	v_lshrrev_b64 v[39:40], s88, v[39:40]
	v_and_b32_e32 v148, s98, v39
	s_or_b64 exec, exec, s[82:83]
	s_and_saveexec_b64 s[82:83], s[50:51]
	s_cbranch_execz .LBB841_813
.LBB841_879:                            ;   in Loop: Header=BB841_694 Depth=2
	ds_read_b64 v[39:40], v106 offset:10752
	s_waitcnt lgkmcnt(0)
	v_lshrrev_b64 v[39:40], s88, v[39:40]
	v_and_b32_e32 v147, s98, v39
	s_or_b64 exec, exec, s[82:83]
	s_and_saveexec_b64 s[82:83], s[52:53]
	s_cbranch_execz .LBB841_814
.LBB841_880:                            ;   in Loop: Header=BB841_694 Depth=2
	ds_read_b64 v[39:40], v106 offset:12800
	s_waitcnt lgkmcnt(0)
	v_lshrrev_b64 v[39:40], s88, v[39:40]
	v_and_b32_e32 v146, s98, v39
	s_or_b64 exec, exec, s[82:83]
	s_and_saveexec_b64 s[82:83], s[54:55]
	s_cbranch_execz .LBB841_815
.LBB841_881:                            ;   in Loop: Header=BB841_694 Depth=2
	ds_read_b64 v[39:40], v106 offset:14848
	s_waitcnt lgkmcnt(0)
	v_lshrrev_b64 v[39:40], s88, v[39:40]
	v_and_b32_e32 v145, s98, v39
	s_or_b64 exec, exec, s[82:83]
	s_and_saveexec_b64 s[82:83], s[56:57]
	s_cbranch_execz .LBB841_816
.LBB841_882:                            ;   in Loop: Header=BB841_694 Depth=2
	ds_read_b64 v[39:40], v106 offset:16896
	s_waitcnt lgkmcnt(0)
	v_lshrrev_b64 v[39:40], s88, v[39:40]
	v_and_b32_e32 v144, s98, v39
	s_or_b64 exec, exec, s[82:83]
	s_and_saveexec_b64 s[82:83], s[58:59]
	s_cbranch_execz .LBB841_817
.LBB841_883:                            ;   in Loop: Header=BB841_694 Depth=2
	ds_read_b64 v[39:40], v106 offset:18944
	s_waitcnt lgkmcnt(0)
	v_lshrrev_b64 v[39:40], s88, v[39:40]
	v_and_b32_e32 v143, s98, v39
	s_or_b64 exec, exec, s[82:83]
	s_and_saveexec_b64 s[82:83], s[60:61]
	s_cbranch_execz .LBB841_818
.LBB841_884:                            ;   in Loop: Header=BB841_694 Depth=2
	ds_read_b64 v[39:40], v106 offset:20992
	s_waitcnt lgkmcnt(0)
	v_lshrrev_b64 v[39:40], s88, v[39:40]
	v_and_b32_e32 v142, s98, v39
	s_or_b64 exec, exec, s[82:83]
	s_and_saveexec_b64 s[82:83], s[62:63]
	s_cbranch_execz .LBB841_819
.LBB841_885:                            ;   in Loop: Header=BB841_694 Depth=2
	ds_read_b64 v[39:40], v106 offset:23040
	s_waitcnt lgkmcnt(0)
	v_lshrrev_b64 v[39:40], s88, v[39:40]
	v_and_b32_e32 v141, s98, v39
	s_or_b64 exec, exec, s[82:83]
	s_and_saveexec_b64 s[82:83], s[64:65]
	s_cbranch_execz .LBB841_820
.LBB841_886:                            ;   in Loop: Header=BB841_694 Depth=2
	ds_read_b64 v[39:40], v106 offset:25088
	s_waitcnt lgkmcnt(0)
	v_lshrrev_b64 v[39:40], s88, v[39:40]
	v_and_b32_e32 v140, s98, v39
	s_or_b64 exec, exec, s[82:83]
	s_and_saveexec_b64 s[82:83], s[66:67]
	s_cbranch_execz .LBB841_821
.LBB841_887:                            ;   in Loop: Header=BB841_694 Depth=2
	ds_read_b64 v[39:40], v106 offset:27136
	s_waitcnt lgkmcnt(0)
	v_lshrrev_b64 v[39:40], s88, v[39:40]
	v_and_b32_e32 v139, s98, v39
	s_or_b64 exec, exec, s[82:83]
	s_and_saveexec_b64 s[82:83], s[68:69]
	s_cbranch_execz .LBB841_822
.LBB841_888:                            ;   in Loop: Header=BB841_694 Depth=2
	ds_read_b64 v[39:40], v106 offset:29184
	s_waitcnt lgkmcnt(0)
	v_lshrrev_b64 v[39:40], s88, v[39:40]
	v_and_b32_e32 v138, s98, v39
	s_or_b64 exec, exec, s[82:83]
	s_and_saveexec_b64 s[82:83], s[70:71]
	s_cbranch_execnz .LBB841_823
	s_branch .LBB841_824
.LBB841_889:                            ;   in Loop: Header=BB841_694 Depth=2
	v_lshlrev_b32_e32 v4, 2, v152
	ds_read_b32 v4, v4
	ds_read_b64 v[39:40], v106 offset:512
	v_mov_b32_e32 v42, v3
	v_mov_b32_e32 v43, s85
	s_waitcnt lgkmcnt(1)
	v_add_u32_e32 v41, v4, v0
	v_lshlrev_b64 v[41:42], 3, v[41:42]
	v_add_co_u32_e32 v41, vcc, s84, v41
	v_addc_co_u32_e32 v42, vcc, v43, v42, vcc
	s_waitcnt lgkmcnt(0)
	global_store_dwordx2 v[41:42], v[39:40], off
	s_or_b64 exec, exec, s[82:83]
	s_and_saveexec_b64 s[40:41], s[42:43]
	s_cbranch_execz .LBB841_826
.LBB841_890:                            ;   in Loop: Header=BB841_694 Depth=2
	v_lshlrev_b32_e32 v4, 2, v151
	ds_read_b32 v4, v4
	ds_read_b64 v[39:40], v106 offset:2560
	v_mov_b32_e32 v42, v3
	v_mov_b32_e32 v43, s85
	s_waitcnt lgkmcnt(1)
	v_add_u32_e32 v41, v4, v74
	v_lshlrev_b64 v[41:42], 3, v[41:42]
	v_add_co_u32_e32 v41, vcc, s84, v41
	v_addc_co_u32_e32 v42, vcc, v43, v42, vcc
	s_waitcnt lgkmcnt(0)
	global_store_dwordx2 v[41:42], v[39:40], off
	s_or_b64 exec, exec, s[40:41]
	s_and_saveexec_b64 s[40:41], s[44:45]
	s_cbranch_execz .LBB841_827
.LBB841_891:                            ;   in Loop: Header=BB841_694 Depth=2
	v_lshlrev_b32_e32 v4, 2, v150
	ds_read_b32 v4, v4
	ds_read_b64 v[39:40], v106 offset:4608
	v_mov_b32_e32 v42, v3
	v_mov_b32_e32 v43, s85
	s_waitcnt lgkmcnt(1)
	v_add_u32_e32 v41, v4, v77
	v_lshlrev_b64 v[41:42], 3, v[41:42]
	v_add_co_u32_e32 v41, vcc, s84, v41
	v_addc_co_u32_e32 v42, vcc, v43, v42, vcc
	s_waitcnt lgkmcnt(0)
	global_store_dwordx2 v[41:42], v[39:40], off
	s_or_b64 exec, exec, s[40:41]
	s_and_saveexec_b64 s[40:41], s[46:47]
	s_cbranch_execz .LBB841_828
.LBB841_892:                            ;   in Loop: Header=BB841_694 Depth=2
	v_lshlrev_b32_e32 v4, 2, v149
	ds_read_b32 v4, v4
	ds_read_b64 v[39:40], v106 offset:6656
	v_mov_b32_e32 v42, v3
	v_mov_b32_e32 v43, s85
	s_waitcnt lgkmcnt(1)
	v_add_u32_e32 v41, v4, v78
	v_lshlrev_b64 v[41:42], 3, v[41:42]
	v_add_co_u32_e32 v41, vcc, s84, v41
	v_addc_co_u32_e32 v42, vcc, v43, v42, vcc
	s_waitcnt lgkmcnt(0)
	global_store_dwordx2 v[41:42], v[39:40], off
	s_or_b64 exec, exec, s[40:41]
	s_and_saveexec_b64 s[40:41], s[48:49]
	s_cbranch_execz .LBB841_829
.LBB841_893:                            ;   in Loop: Header=BB841_694 Depth=2
	v_lshlrev_b32_e32 v4, 2, v148
	ds_read_b32 v4, v4
	ds_read_b64 v[39:40], v106 offset:8704
	v_mov_b32_e32 v42, v3
	v_mov_b32_e32 v43, s85
	s_waitcnt lgkmcnt(1)
	v_add_u32_e32 v41, v4, v79
	v_lshlrev_b64 v[41:42], 3, v[41:42]
	v_add_co_u32_e32 v41, vcc, s84, v41
	v_addc_co_u32_e32 v42, vcc, v43, v42, vcc
	s_waitcnt lgkmcnt(0)
	global_store_dwordx2 v[41:42], v[39:40], off
	s_or_b64 exec, exec, s[40:41]
	s_and_saveexec_b64 s[40:41], s[50:51]
	s_cbranch_execz .LBB841_830
.LBB841_894:                            ;   in Loop: Header=BB841_694 Depth=2
	v_lshlrev_b32_e32 v4, 2, v147
	ds_read_b32 v4, v4
	ds_read_b64 v[39:40], v106 offset:10752
	v_mov_b32_e32 v42, v3
	v_mov_b32_e32 v43, s85
	s_waitcnt lgkmcnt(1)
	v_add_u32_e32 v41, v4, v80
	v_lshlrev_b64 v[41:42], 3, v[41:42]
	v_add_co_u32_e32 v41, vcc, s84, v41
	v_addc_co_u32_e32 v42, vcc, v43, v42, vcc
	s_waitcnt lgkmcnt(0)
	global_store_dwordx2 v[41:42], v[39:40], off
	s_or_b64 exec, exec, s[40:41]
	s_and_saveexec_b64 s[40:41], s[52:53]
	s_cbranch_execz .LBB841_831
.LBB841_895:                            ;   in Loop: Header=BB841_694 Depth=2
	v_lshlrev_b32_e32 v4, 2, v146
	ds_read_b32 v4, v4
	ds_read_b64 v[39:40], v106 offset:12800
	v_mov_b32_e32 v42, v3
	v_mov_b32_e32 v43, s85
	s_waitcnt lgkmcnt(1)
	v_add_u32_e32 v41, v4, v81
	v_lshlrev_b64 v[41:42], 3, v[41:42]
	v_add_co_u32_e32 v41, vcc, s84, v41
	v_addc_co_u32_e32 v42, vcc, v43, v42, vcc
	s_waitcnt lgkmcnt(0)
	global_store_dwordx2 v[41:42], v[39:40], off
	s_or_b64 exec, exec, s[40:41]
	s_and_saveexec_b64 s[40:41], s[54:55]
	s_cbranch_execz .LBB841_832
.LBB841_896:                            ;   in Loop: Header=BB841_694 Depth=2
	v_lshlrev_b32_e32 v4, 2, v145
	ds_read_b32 v4, v4
	ds_read_b64 v[39:40], v106 offset:14848
	v_mov_b32_e32 v42, v3
	v_mov_b32_e32 v43, s85
	s_waitcnt lgkmcnt(1)
	v_add_u32_e32 v41, v4, v82
	v_lshlrev_b64 v[41:42], 3, v[41:42]
	v_add_co_u32_e32 v41, vcc, s84, v41
	v_addc_co_u32_e32 v42, vcc, v43, v42, vcc
	s_waitcnt lgkmcnt(0)
	global_store_dwordx2 v[41:42], v[39:40], off
	s_or_b64 exec, exec, s[40:41]
	s_and_saveexec_b64 s[40:41], s[56:57]
	s_cbranch_execz .LBB841_833
.LBB841_897:                            ;   in Loop: Header=BB841_694 Depth=2
	v_lshlrev_b32_e32 v4, 2, v144
	ds_read_b32 v4, v4
	ds_read_b64 v[39:40], v106 offset:16896
	v_mov_b32_e32 v42, v3
	v_mov_b32_e32 v43, s85
	s_waitcnt lgkmcnt(1)
	v_add_u32_e32 v41, v4, v83
	v_lshlrev_b64 v[41:42], 3, v[41:42]
	v_add_co_u32_e32 v41, vcc, s84, v41
	v_addc_co_u32_e32 v42, vcc, v43, v42, vcc
	s_waitcnt lgkmcnt(0)
	global_store_dwordx2 v[41:42], v[39:40], off
	s_or_b64 exec, exec, s[40:41]
	s_and_saveexec_b64 s[40:41], s[58:59]
	s_cbranch_execz .LBB841_834
.LBB841_898:                            ;   in Loop: Header=BB841_694 Depth=2
	v_lshlrev_b32_e32 v4, 2, v143
	ds_read_b32 v4, v4
	ds_read_b64 v[39:40], v106 offset:18944
	v_mov_b32_e32 v42, v3
	v_mov_b32_e32 v43, s85
	s_waitcnt lgkmcnt(1)
	v_add_u32_e32 v41, v4, v84
	v_lshlrev_b64 v[41:42], 3, v[41:42]
	v_add_co_u32_e32 v41, vcc, s84, v41
	v_addc_co_u32_e32 v42, vcc, v43, v42, vcc
	s_waitcnt lgkmcnt(0)
	global_store_dwordx2 v[41:42], v[39:40], off
	s_or_b64 exec, exec, s[40:41]
	s_and_saveexec_b64 s[40:41], s[60:61]
	s_cbranch_execz .LBB841_835
.LBB841_899:                            ;   in Loop: Header=BB841_694 Depth=2
	v_lshlrev_b32_e32 v4, 2, v142
	ds_read_b32 v4, v4
	ds_read_b64 v[39:40], v106 offset:20992
	v_mov_b32_e32 v42, v3
	v_mov_b32_e32 v43, s85
	s_waitcnt lgkmcnt(1)
	v_add_u32_e32 v41, v4, v85
	v_lshlrev_b64 v[41:42], 3, v[41:42]
	v_add_co_u32_e32 v41, vcc, s84, v41
	v_addc_co_u32_e32 v42, vcc, v43, v42, vcc
	s_waitcnt lgkmcnt(0)
	global_store_dwordx2 v[41:42], v[39:40], off
	s_or_b64 exec, exec, s[40:41]
	s_and_saveexec_b64 s[40:41], s[62:63]
	s_cbranch_execz .LBB841_836
.LBB841_900:                            ;   in Loop: Header=BB841_694 Depth=2
	v_lshlrev_b32_e32 v4, 2, v141
	ds_read_b32 v4, v4
	ds_read_b64 v[39:40], v106 offset:23040
	v_mov_b32_e32 v42, v3
	v_mov_b32_e32 v43, s85
	s_waitcnt lgkmcnt(1)
	v_add_u32_e32 v41, v4, v86
	v_lshlrev_b64 v[41:42], 3, v[41:42]
	v_add_co_u32_e32 v41, vcc, s84, v41
	v_addc_co_u32_e32 v42, vcc, v43, v42, vcc
	s_waitcnt lgkmcnt(0)
	global_store_dwordx2 v[41:42], v[39:40], off
	s_or_b64 exec, exec, s[40:41]
	s_and_saveexec_b64 s[40:41], s[64:65]
	s_cbranch_execz .LBB841_837
.LBB841_901:                            ;   in Loop: Header=BB841_694 Depth=2
	v_lshlrev_b32_e32 v4, 2, v140
	ds_read_b32 v4, v4
	ds_read_b64 v[39:40], v106 offset:25088
	v_mov_b32_e32 v42, v3
	v_mov_b32_e32 v43, s85
	s_waitcnt lgkmcnt(1)
	v_add_u32_e32 v41, v4, v87
	v_lshlrev_b64 v[41:42], 3, v[41:42]
	v_add_co_u32_e32 v41, vcc, s84, v41
	v_addc_co_u32_e32 v42, vcc, v43, v42, vcc
	s_waitcnt lgkmcnt(0)
	global_store_dwordx2 v[41:42], v[39:40], off
	s_or_b64 exec, exec, s[40:41]
	s_and_saveexec_b64 s[40:41], s[66:67]
	s_cbranch_execz .LBB841_838
.LBB841_902:                            ;   in Loop: Header=BB841_694 Depth=2
	v_lshlrev_b32_e32 v4, 2, v139
	ds_read_b32 v4, v4
	ds_read_b64 v[39:40], v106 offset:27136
	v_mov_b32_e32 v42, v3
	v_mov_b32_e32 v43, s85
	s_waitcnt lgkmcnt(1)
	v_add_u32_e32 v41, v4, v88
	v_lshlrev_b64 v[41:42], 3, v[41:42]
	v_add_co_u32_e32 v41, vcc, s84, v41
	v_addc_co_u32_e32 v42, vcc, v43, v42, vcc
	s_waitcnt lgkmcnt(0)
	global_store_dwordx2 v[41:42], v[39:40], off
	s_or_b64 exec, exec, s[40:41]
	s_and_saveexec_b64 s[40:41], s[68:69]
	s_cbranch_execz .LBB841_839
.LBB841_903:                            ;   in Loop: Header=BB841_694 Depth=2
	v_lshlrev_b32_e32 v4, 2, v138
	ds_read_b32 v4, v4
	ds_read_b64 v[39:40], v106 offset:29184
	v_mov_b32_e32 v42, v3
	v_mov_b32_e32 v43, s85
	s_waitcnt lgkmcnt(1)
	v_add_u32_e32 v41, v4, v89
	v_lshlrev_b64 v[41:42], 3, v[41:42]
	v_add_co_u32_e32 v41, vcc, s84, v41
	v_addc_co_u32_e32 v42, vcc, v43, v42, vcc
	s_waitcnt lgkmcnt(0)
	global_store_dwordx2 v[41:42], v[39:40], off
	s_or_b64 exec, exec, s[40:41]
	s_and_saveexec_b64 s[40:41], s[70:71]
	s_cbranch_execnz .LBB841_840
	s_branch .LBB841_841
.LBB841_904:                            ;   in Loop: Header=BB841_20 Depth=1
	s_waitcnt lgkmcnt(0)
	s_barrier
	s_mov_b64 s[20:21], 0
.LBB841_905:                            ;   in Loop: Header=BB841_20 Depth=1
	s_and_b64 vcc, exec, s[20:21]
	s_cbranch_vccz .LBB841_19
; %bb.906:                              ;   in Loop: Header=BB841_20 Depth=1
	s_mov_b32 s6, s33
	s_mov_b32 s92, s73
	s_barrier
                                        ; implicit-def: $vgpr7_vgpr8
                                        ; implicit-def: $vgpr9_vgpr10
                                        ; implicit-def: $vgpr11_vgpr12
                                        ; implicit-def: $vgpr13_vgpr14
                                        ; implicit-def: $vgpr15_vgpr16
                                        ; implicit-def: $vgpr17_vgpr18
                                        ; implicit-def: $vgpr19_vgpr20
                                        ; implicit-def: $vgpr21_vgpr22
                                        ; implicit-def: $vgpr23_vgpr24
                                        ; implicit-def: $vgpr25_vgpr26
                                        ; implicit-def: $vgpr27_vgpr28
                                        ; implicit-def: $vgpr29_vgpr30
                                        ; implicit-def: $vgpr31_vgpr32
                                        ; implicit-def: $vgpr33_vgpr34
                                        ; implicit-def: $vgpr35_vgpr36
                                        ; implicit-def: $vgpr37_vgpr38
	s_branch .LBB841_908
.LBB841_907:                            ;   in Loop: Header=BB841_908 Depth=2
	s_or_b64 exec, exec, s[20:21]
	s_addk_i32 s6, 0xf000
	s_cmp_ge_u32 s7, s96
	s_mov_b32 s92, s7
	s_cbranch_scc1 .LBB841_976
.LBB841_908:                            ;   Parent Loop BB841_20 Depth=1
                                        ; =>  This Inner Loop Header: Depth=2
	s_add_i32 s7, s92, 0x1000
	s_cmp_gt_u32 s7, s96
	s_mov_b64 s[20:21], -1
                                        ; implicit-def: $vgpr39_vgpr40
                                        ; implicit-def: $vgpr41_vgpr42
                                        ; implicit-def: $vgpr43_vgpr44
                                        ; implicit-def: $vgpr45_vgpr46
                                        ; implicit-def: $vgpr47_vgpr48
                                        ; implicit-def: $vgpr49_vgpr50
                                        ; implicit-def: $vgpr51_vgpr52
                                        ; implicit-def: $vgpr53_vgpr54
                                        ; implicit-def: $vgpr55_vgpr56
                                        ; implicit-def: $vgpr57_vgpr58
                                        ; implicit-def: $vgpr59_vgpr60
                                        ; implicit-def: $vgpr61_vgpr62
                                        ; implicit-def: $vgpr63_vgpr64
                                        ; implicit-def: $vgpr65_vgpr66
                                        ; implicit-def: $vgpr67_vgpr68
                                        ; implicit-def: $vgpr69_vgpr70
	s_cbranch_scc1 .LBB841_910
; %bb.909:                              ;   in Loop: Header=BB841_908 Depth=2
	s_lshl_b64 s[20:21], s[92:93], 3
	v_mov_b32_e32 v4, s21
	v_add_co_u32_e32 v63, vcc, s20, v113
	v_addc_co_u32_e32 v64, vcc, v114, v4, vcc
	v_add_co_u32_e32 v47, vcc, 0x1000, v63
	v_addc_co_u32_e32 v48, vcc, 0, v64, vcc
	;; [unrolled: 2-line block ×4, first 2 shown]
	global_load_dwordx2 v[39:40], v[63:64], off
	global_load_dwordx2 v[41:42], v[63:64], off offset:2048
	global_load_dwordx2 v[43:44], v[47:48], off
	global_load_dwordx2 v[45:46], v[47:48], off offset:2048
	s_nop 0
	global_load_dwordx2 v[47:48], v[55:56], off
	global_load_dwordx2 v[49:50], v[55:56], off offset:2048
	global_load_dwordx2 v[51:52], v[57:58], off
	global_load_dwordx2 v[53:54], v[57:58], off offset:2048
	v_add_co_u32_e32 v57, vcc, 0x4000, v63
	v_addc_co_u32_e32 v58, vcc, 0, v64, vcc
	v_add_co_u32_e32 v61, vcc, 0x5000, v63
	v_addc_co_u32_e32 v62, vcc, 0, v64, vcc
	v_add_co_u32_e32 v65, vcc, 0x6000, v63
	v_addc_co_u32_e32 v66, vcc, 0, v64, vcc
	v_add_co_u32_e32 v69, vcc, 0x7000, v63
	v_addc_co_u32_e32 v70, vcc, 0, v64, vcc
	global_load_dwordx2 v[55:56], v[57:58], off
	s_nop 0
	global_load_dwordx2 v[57:58], v[57:58], off offset:2048
	s_nop 0
	global_load_dwordx2 v[59:60], v[61:62], off
	s_nop 0
	global_load_dwordx2 v[61:62], v[61:62], off offset:2048
	s_nop 0
	;; [unrolled: 4-line block ×3, first 2 shown]
	global_load_dwordx2 v[67:68], v[69:70], off
	s_nop 0
	global_load_dwordx2 v[69:70], v[69:70], off offset:2048
	s_mov_b64 s[20:21], 0
.LBB841_910:                            ;   in Loop: Header=BB841_908 Depth=2
	s_andn2_b64 vcc, exec, s[20:21]
	s_movk_i32 s22, 0x1000
	s_cbranch_vccnz .LBB841_929
; %bb.911:                              ;   in Loop: Header=BB841_908 Depth=2
	s_lshl_b64 s[20:21], s[92:93], 3
	s_add_u32 s20, s76, s20
	s_addc_u32 s21, s77, s21
	v_cmp_gt_u32_e32 vcc, s6, v0
	s_and_saveexec_b64 s[22:23], vcc
	s_cbranch_execnz .LBB841_961
; %bb.912:                              ;   in Loop: Header=BB841_908 Depth=2
	s_or_b64 exec, exec, s[22:23]
	v_cmp_gt_u32_e32 vcc, s6, v74
	s_and_saveexec_b64 s[22:23], vcc
	s_cbranch_execnz .LBB841_962
.LBB841_913:                            ;   in Loop: Header=BB841_908 Depth=2
	s_or_b64 exec, exec, s[22:23]
	v_cmp_gt_u32_e32 vcc, s6, v77
	s_and_saveexec_b64 s[22:23], vcc
	s_cbranch_execnz .LBB841_963
.LBB841_914:                            ;   in Loop: Header=BB841_908 Depth=2
	s_or_b64 exec, exec, s[22:23]
	v_cmp_gt_u32_e32 vcc, s6, v78
	s_and_saveexec_b64 s[22:23], vcc
	s_cbranch_execnz .LBB841_964
.LBB841_915:                            ;   in Loop: Header=BB841_908 Depth=2
	s_or_b64 exec, exec, s[22:23]
	v_cmp_gt_u32_e32 vcc, s6, v79
	s_and_saveexec_b64 s[22:23], vcc
	s_cbranch_execnz .LBB841_965
.LBB841_916:                            ;   in Loop: Header=BB841_908 Depth=2
	s_or_b64 exec, exec, s[22:23]
	v_cmp_gt_u32_e32 vcc, s6, v80
	s_and_saveexec_b64 s[22:23], vcc
	s_cbranch_execnz .LBB841_966
.LBB841_917:                            ;   in Loop: Header=BB841_908 Depth=2
	s_or_b64 exec, exec, s[22:23]
	v_cmp_gt_u32_e32 vcc, s6, v81
	s_and_saveexec_b64 s[22:23], vcc
	s_cbranch_execnz .LBB841_967
.LBB841_918:                            ;   in Loop: Header=BB841_908 Depth=2
	s_or_b64 exec, exec, s[22:23]
	v_cmp_gt_u32_e32 vcc, s6, v82
	s_and_saveexec_b64 s[22:23], vcc
	s_cbranch_execnz .LBB841_968
.LBB841_919:                            ;   in Loop: Header=BB841_908 Depth=2
	s_or_b64 exec, exec, s[22:23]
	v_cmp_gt_u32_e32 vcc, s6, v83
	s_and_saveexec_b64 s[22:23], vcc
	s_cbranch_execnz .LBB841_969
.LBB841_920:                            ;   in Loop: Header=BB841_908 Depth=2
	s_or_b64 exec, exec, s[22:23]
	v_cmp_gt_u32_e32 vcc, s6, v84
	s_and_saveexec_b64 s[22:23], vcc
	s_cbranch_execnz .LBB841_970
.LBB841_921:                            ;   in Loop: Header=BB841_908 Depth=2
	s_or_b64 exec, exec, s[22:23]
	v_cmp_gt_u32_e32 vcc, s6, v85
	s_and_saveexec_b64 s[22:23], vcc
	s_cbranch_execnz .LBB841_971
.LBB841_922:                            ;   in Loop: Header=BB841_908 Depth=2
	s_or_b64 exec, exec, s[22:23]
	v_cmp_gt_u32_e32 vcc, s6, v86
	s_and_saveexec_b64 s[22:23], vcc
	s_cbranch_execnz .LBB841_972
.LBB841_923:                            ;   in Loop: Header=BB841_908 Depth=2
	s_or_b64 exec, exec, s[22:23]
	v_cmp_gt_u32_e32 vcc, s6, v87
	s_and_saveexec_b64 s[22:23], vcc
	s_cbranch_execnz .LBB841_973
.LBB841_924:                            ;   in Loop: Header=BB841_908 Depth=2
	s_or_b64 exec, exec, s[22:23]
	v_cmp_gt_u32_e32 vcc, s6, v88
	s_and_saveexec_b64 s[22:23], vcc
	s_cbranch_execnz .LBB841_974
.LBB841_925:                            ;   in Loop: Header=BB841_908 Depth=2
	s_or_b64 exec, exec, s[22:23]
	v_cmp_gt_u32_e32 vcc, s6, v89
	s_and_saveexec_b64 s[22:23], vcc
	s_cbranch_execnz .LBB841_975
.LBB841_926:                            ;   in Loop: Header=BB841_908 Depth=2
	s_or_b64 exec, exec, s[22:23]
	v_cmp_gt_u32_e32 vcc, s6, v90
	s_and_saveexec_b64 s[22:23], vcc
	s_cbranch_execz .LBB841_928
.LBB841_927:                            ;   in Loop: Header=BB841_908 Depth=2
	global_load_dwordx2 v[7:8], v134, s[20:21]
.LBB841_928:                            ;   in Loop: Header=BB841_908 Depth=2
	s_or_b64 exec, exec, s[22:23]
	s_waitcnt vmcnt(0)
	v_mov_b32_e32 v40, v38
	v_mov_b32_e32 v42, v36
	;; [unrolled: 1-line block ×16, first 2 shown]
	s_mov_b32 s22, s6
	v_mov_b32_e32 v39, v37
	v_mov_b32_e32 v41, v35
	v_mov_b32_e32 v43, v33
	v_mov_b32_e32 v45, v31
	v_mov_b32_e32 v47, v29
	v_mov_b32_e32 v49, v27
	v_mov_b32_e32 v51, v25
	v_mov_b32_e32 v53, v23
	v_mov_b32_e32 v55, v21
	v_mov_b32_e32 v57, v19
	v_mov_b32_e32 v59, v17
	v_mov_b32_e32 v61, v15
	v_mov_b32_e32 v63, v13
	v_mov_b32_e32 v65, v11
	v_mov_b32_e32 v67, v9
	v_mov_b32_e32 v69, v7
.LBB841_929:                            ;   in Loop: Header=BB841_908 Depth=2
	s_waitcnt vmcnt(0)
	v_mov_b32_e32 v7, v69
	v_mov_b32_e32 v9, v67
	;; [unrolled: 1-line block ×32, first 2 shown]
	v_cmp_gt_u32_e32 vcc, s22, v0
	s_and_saveexec_b64 s[20:21], vcc
	s_cbranch_execnz .LBB841_945
; %bb.930:                              ;   in Loop: Header=BB841_908 Depth=2
	s_or_b64 exec, exec, s[20:21]
	v_cmp_gt_u32_e32 vcc, s22, v74
	s_and_saveexec_b64 s[20:21], vcc
	s_cbranch_execnz .LBB841_946
.LBB841_931:                            ;   in Loop: Header=BB841_908 Depth=2
	s_or_b64 exec, exec, s[20:21]
	v_cmp_gt_u32_e32 vcc, s22, v77
	s_and_saveexec_b64 s[20:21], vcc
	s_cbranch_execnz .LBB841_947
.LBB841_932:                            ;   in Loop: Header=BB841_908 Depth=2
	s_or_b64 exec, exec, s[20:21]
	v_cmp_gt_u32_e32 vcc, s22, v78
	s_and_saveexec_b64 s[20:21], vcc
	s_cbranch_execnz .LBB841_948
.LBB841_933:                            ;   in Loop: Header=BB841_908 Depth=2
	s_or_b64 exec, exec, s[20:21]
	v_cmp_gt_u32_e32 vcc, s22, v79
	s_and_saveexec_b64 s[20:21], vcc
	s_cbranch_execnz .LBB841_949
.LBB841_934:                            ;   in Loop: Header=BB841_908 Depth=2
	s_or_b64 exec, exec, s[20:21]
	v_cmp_gt_u32_e32 vcc, s22, v80
	s_and_saveexec_b64 s[20:21], vcc
	s_cbranch_execnz .LBB841_950
.LBB841_935:                            ;   in Loop: Header=BB841_908 Depth=2
	s_or_b64 exec, exec, s[20:21]
	v_cmp_gt_u32_e32 vcc, s22, v81
	s_and_saveexec_b64 s[20:21], vcc
	s_cbranch_execnz .LBB841_951
.LBB841_936:                            ;   in Loop: Header=BB841_908 Depth=2
	s_or_b64 exec, exec, s[20:21]
	v_cmp_gt_u32_e32 vcc, s22, v82
	s_and_saveexec_b64 s[20:21], vcc
	s_cbranch_execnz .LBB841_952
.LBB841_937:                            ;   in Loop: Header=BB841_908 Depth=2
	s_or_b64 exec, exec, s[20:21]
	v_cmp_gt_u32_e32 vcc, s22, v83
	s_and_saveexec_b64 s[20:21], vcc
	s_cbranch_execnz .LBB841_953
.LBB841_938:                            ;   in Loop: Header=BB841_908 Depth=2
	s_or_b64 exec, exec, s[20:21]
	v_cmp_gt_u32_e32 vcc, s22, v84
	s_and_saveexec_b64 s[20:21], vcc
	s_cbranch_execnz .LBB841_954
.LBB841_939:                            ;   in Loop: Header=BB841_908 Depth=2
	s_or_b64 exec, exec, s[20:21]
	v_cmp_gt_u32_e32 vcc, s22, v85
	s_and_saveexec_b64 s[20:21], vcc
	s_cbranch_execnz .LBB841_955
.LBB841_940:                            ;   in Loop: Header=BB841_908 Depth=2
	s_or_b64 exec, exec, s[20:21]
	v_cmp_gt_u32_e32 vcc, s22, v86
	s_and_saveexec_b64 s[20:21], vcc
	s_cbranch_execnz .LBB841_956
.LBB841_941:                            ;   in Loop: Header=BB841_908 Depth=2
	s_or_b64 exec, exec, s[20:21]
	v_cmp_gt_u32_e32 vcc, s22, v87
	s_and_saveexec_b64 s[20:21], vcc
	s_cbranch_execnz .LBB841_957
.LBB841_942:                            ;   in Loop: Header=BB841_908 Depth=2
	s_or_b64 exec, exec, s[20:21]
	v_cmp_gt_u32_e32 vcc, s22, v88
	s_and_saveexec_b64 s[20:21], vcc
	s_cbranch_execnz .LBB841_958
.LBB841_943:                            ;   in Loop: Header=BB841_908 Depth=2
	s_or_b64 exec, exec, s[20:21]
	v_cmp_gt_u32_e32 vcc, s22, v89
	s_and_saveexec_b64 s[20:21], vcc
	s_cbranch_execnz .LBB841_959
.LBB841_944:                            ;   in Loop: Header=BB841_908 Depth=2
	s_or_b64 exec, exec, s[20:21]
	v_cmp_gt_u32_e32 vcc, s22, v90
	s_and_saveexec_b64 s[20:21], vcc
	s_cbranch_execz .LBB841_907
	s_branch .LBB841_960
.LBB841_945:                            ;   in Loop: Header=BB841_908 Depth=2
	v_xor_b32_e32 v40, 0x80000000, v38
	v_mov_b32_e32 v39, v37
	v_lshrrev_b64 v[39:40], s88, v[39:40]
	v_and_b32_e32 v4, s98, v39
	v_lshl_or_b32 v4, v4, 4, v91
	ds_add_u32 v4, v119
	s_or_b64 exec, exec, s[20:21]
	v_cmp_gt_u32_e32 vcc, s22, v74
	s_and_saveexec_b64 s[20:21], vcc
	s_cbranch_execz .LBB841_931
.LBB841_946:                            ;   in Loop: Header=BB841_908 Depth=2
	v_xor_b32_e32 v40, 0x80000000, v36
	v_mov_b32_e32 v39, v35
	v_lshrrev_b64 v[39:40], s88, v[39:40]
	v_and_b32_e32 v4, s98, v39
	v_lshl_or_b32 v4, v4, 4, v91
	ds_add_u32 v4, v119
	s_or_b64 exec, exec, s[20:21]
	v_cmp_gt_u32_e32 vcc, s22, v77
	s_and_saveexec_b64 s[20:21], vcc
	s_cbranch_execz .LBB841_932
.LBB841_947:                            ;   in Loop: Header=BB841_908 Depth=2
	v_xor_b32_e32 v40, 0x80000000, v34
	v_mov_b32_e32 v39, v33
	v_lshrrev_b64 v[39:40], s88, v[39:40]
	v_and_b32_e32 v4, s98, v39
	v_lshl_or_b32 v4, v4, 4, v91
	ds_add_u32 v4, v119
	s_or_b64 exec, exec, s[20:21]
	v_cmp_gt_u32_e32 vcc, s22, v78
	s_and_saveexec_b64 s[20:21], vcc
	s_cbranch_execz .LBB841_933
.LBB841_948:                            ;   in Loop: Header=BB841_908 Depth=2
	v_xor_b32_e32 v40, 0x80000000, v32
	v_mov_b32_e32 v39, v31
	v_lshrrev_b64 v[39:40], s88, v[39:40]
	v_and_b32_e32 v4, s98, v39
	v_lshl_or_b32 v4, v4, 4, v91
	ds_add_u32 v4, v119
	s_or_b64 exec, exec, s[20:21]
	v_cmp_gt_u32_e32 vcc, s22, v79
	s_and_saveexec_b64 s[20:21], vcc
	s_cbranch_execz .LBB841_934
.LBB841_949:                            ;   in Loop: Header=BB841_908 Depth=2
	v_xor_b32_e32 v40, 0x80000000, v30
	v_mov_b32_e32 v39, v29
	v_lshrrev_b64 v[39:40], s88, v[39:40]
	v_and_b32_e32 v4, s98, v39
	v_lshl_or_b32 v4, v4, 4, v91
	ds_add_u32 v4, v119
	s_or_b64 exec, exec, s[20:21]
	v_cmp_gt_u32_e32 vcc, s22, v80
	s_and_saveexec_b64 s[20:21], vcc
	s_cbranch_execz .LBB841_935
.LBB841_950:                            ;   in Loop: Header=BB841_908 Depth=2
	v_xor_b32_e32 v40, 0x80000000, v28
	v_mov_b32_e32 v39, v27
	v_lshrrev_b64 v[39:40], s88, v[39:40]
	v_and_b32_e32 v4, s98, v39
	v_lshl_or_b32 v4, v4, 4, v91
	ds_add_u32 v4, v119
	s_or_b64 exec, exec, s[20:21]
	v_cmp_gt_u32_e32 vcc, s22, v81
	s_and_saveexec_b64 s[20:21], vcc
	s_cbranch_execz .LBB841_936
.LBB841_951:                            ;   in Loop: Header=BB841_908 Depth=2
	v_xor_b32_e32 v40, 0x80000000, v26
	v_mov_b32_e32 v39, v25
	v_lshrrev_b64 v[39:40], s88, v[39:40]
	v_and_b32_e32 v4, s98, v39
	v_lshl_or_b32 v4, v4, 4, v91
	ds_add_u32 v4, v119
	s_or_b64 exec, exec, s[20:21]
	v_cmp_gt_u32_e32 vcc, s22, v82
	s_and_saveexec_b64 s[20:21], vcc
	s_cbranch_execz .LBB841_937
.LBB841_952:                            ;   in Loop: Header=BB841_908 Depth=2
	v_xor_b32_e32 v40, 0x80000000, v24
	v_mov_b32_e32 v39, v23
	v_lshrrev_b64 v[39:40], s88, v[39:40]
	v_and_b32_e32 v4, s98, v39
	v_lshl_or_b32 v4, v4, 4, v91
	ds_add_u32 v4, v119
	s_or_b64 exec, exec, s[20:21]
	v_cmp_gt_u32_e32 vcc, s22, v83
	s_and_saveexec_b64 s[20:21], vcc
	s_cbranch_execz .LBB841_938
.LBB841_953:                            ;   in Loop: Header=BB841_908 Depth=2
	v_xor_b32_e32 v40, 0x80000000, v22
	v_mov_b32_e32 v39, v21
	v_lshrrev_b64 v[39:40], s88, v[39:40]
	v_and_b32_e32 v4, s98, v39
	v_lshl_or_b32 v4, v4, 4, v91
	ds_add_u32 v4, v119
	s_or_b64 exec, exec, s[20:21]
	v_cmp_gt_u32_e32 vcc, s22, v84
	s_and_saveexec_b64 s[20:21], vcc
	s_cbranch_execz .LBB841_939
.LBB841_954:                            ;   in Loop: Header=BB841_908 Depth=2
	v_xor_b32_e32 v40, 0x80000000, v20
	v_mov_b32_e32 v39, v19
	v_lshrrev_b64 v[39:40], s88, v[39:40]
	v_and_b32_e32 v4, s98, v39
	v_lshl_or_b32 v4, v4, 4, v91
	ds_add_u32 v4, v119
	s_or_b64 exec, exec, s[20:21]
	v_cmp_gt_u32_e32 vcc, s22, v85
	s_and_saveexec_b64 s[20:21], vcc
	s_cbranch_execz .LBB841_940
.LBB841_955:                            ;   in Loop: Header=BB841_908 Depth=2
	v_xor_b32_e32 v40, 0x80000000, v18
	v_mov_b32_e32 v39, v17
	v_lshrrev_b64 v[39:40], s88, v[39:40]
	v_and_b32_e32 v4, s98, v39
	v_lshl_or_b32 v4, v4, 4, v91
	ds_add_u32 v4, v119
	s_or_b64 exec, exec, s[20:21]
	v_cmp_gt_u32_e32 vcc, s22, v86
	s_and_saveexec_b64 s[20:21], vcc
	s_cbranch_execz .LBB841_941
.LBB841_956:                            ;   in Loop: Header=BB841_908 Depth=2
	v_xor_b32_e32 v40, 0x80000000, v16
	v_mov_b32_e32 v39, v15
	v_lshrrev_b64 v[39:40], s88, v[39:40]
	v_and_b32_e32 v4, s98, v39
	v_lshl_or_b32 v4, v4, 4, v91
	ds_add_u32 v4, v119
	s_or_b64 exec, exec, s[20:21]
	v_cmp_gt_u32_e32 vcc, s22, v87
	s_and_saveexec_b64 s[20:21], vcc
	s_cbranch_execz .LBB841_942
.LBB841_957:                            ;   in Loop: Header=BB841_908 Depth=2
	v_xor_b32_e32 v40, 0x80000000, v14
	v_mov_b32_e32 v39, v13
	v_lshrrev_b64 v[39:40], s88, v[39:40]
	v_and_b32_e32 v4, s98, v39
	v_lshl_or_b32 v4, v4, 4, v91
	ds_add_u32 v4, v119
	s_or_b64 exec, exec, s[20:21]
	v_cmp_gt_u32_e32 vcc, s22, v88
	s_and_saveexec_b64 s[20:21], vcc
	s_cbranch_execz .LBB841_943
.LBB841_958:                            ;   in Loop: Header=BB841_908 Depth=2
	v_xor_b32_e32 v40, 0x80000000, v12
	v_mov_b32_e32 v39, v11
	v_lshrrev_b64 v[39:40], s88, v[39:40]
	v_and_b32_e32 v4, s98, v39
	v_lshl_or_b32 v4, v4, 4, v91
	ds_add_u32 v4, v119
	s_or_b64 exec, exec, s[20:21]
	v_cmp_gt_u32_e32 vcc, s22, v89
	s_and_saveexec_b64 s[20:21], vcc
	s_cbranch_execz .LBB841_944
.LBB841_959:                            ;   in Loop: Header=BB841_908 Depth=2
	v_xor_b32_e32 v40, 0x80000000, v10
	v_mov_b32_e32 v39, v9
	v_lshrrev_b64 v[39:40], s88, v[39:40]
	v_and_b32_e32 v4, s98, v39
	v_lshl_or_b32 v4, v4, 4, v91
	ds_add_u32 v4, v119
	s_or_b64 exec, exec, s[20:21]
	v_cmp_gt_u32_e32 vcc, s22, v90
	s_and_saveexec_b64 s[20:21], vcc
	s_cbranch_execz .LBB841_907
.LBB841_960:                            ;   in Loop: Header=BB841_908 Depth=2
	v_xor_b32_e32 v40, 0x80000000, v8
	v_mov_b32_e32 v39, v7
	v_lshrrev_b64 v[39:40], s88, v[39:40]
	v_and_b32_e32 v4, s98, v39
	v_lshl_or_b32 v4, v4, 4, v91
	ds_add_u32 v4, v119
	s_branch .LBB841_907
.LBB841_961:                            ;   in Loop: Header=BB841_908 Depth=2
	global_load_dwordx2 v[37:38], v120, s[20:21]
	s_or_b64 exec, exec, s[22:23]
	v_cmp_gt_u32_e32 vcc, s6, v74
	s_and_saveexec_b64 s[22:23], vcc
	s_cbranch_execz .LBB841_913
.LBB841_962:                            ;   in Loop: Header=BB841_908 Depth=2
	global_load_dwordx2 v[35:36], v120, s[20:21] offset:2048
	s_or_b64 exec, exec, s[22:23]
	v_cmp_gt_u32_e32 vcc, s6, v77
	s_and_saveexec_b64 s[22:23], vcc
	s_cbranch_execz .LBB841_914
.LBB841_963:                            ;   in Loop: Header=BB841_908 Depth=2
	global_load_dwordx2 v[33:34], v121, s[20:21]
	s_or_b64 exec, exec, s[22:23]
	v_cmp_gt_u32_e32 vcc, s6, v78
	s_and_saveexec_b64 s[22:23], vcc
	s_cbranch_execz .LBB841_915
.LBB841_964:                            ;   in Loop: Header=BB841_908 Depth=2
	global_load_dwordx2 v[31:32], v122, s[20:21]
	s_or_b64 exec, exec, s[22:23]
	v_cmp_gt_u32_e32 vcc, s6, v79
	s_and_saveexec_b64 s[22:23], vcc
	s_cbranch_execz .LBB841_916
.LBB841_965:                            ;   in Loop: Header=BB841_908 Depth=2
	global_load_dwordx2 v[29:30], v123, s[20:21]
	s_or_b64 exec, exec, s[22:23]
	v_cmp_gt_u32_e32 vcc, s6, v80
	s_and_saveexec_b64 s[22:23], vcc
	s_cbranch_execz .LBB841_917
.LBB841_966:                            ;   in Loop: Header=BB841_908 Depth=2
	global_load_dwordx2 v[27:28], v124, s[20:21]
	s_or_b64 exec, exec, s[22:23]
	v_cmp_gt_u32_e32 vcc, s6, v81
	s_and_saveexec_b64 s[22:23], vcc
	s_cbranch_execz .LBB841_918
.LBB841_967:                            ;   in Loop: Header=BB841_908 Depth=2
	global_load_dwordx2 v[25:26], v125, s[20:21]
	s_or_b64 exec, exec, s[22:23]
	v_cmp_gt_u32_e32 vcc, s6, v82
	s_and_saveexec_b64 s[22:23], vcc
	s_cbranch_execz .LBB841_919
.LBB841_968:                            ;   in Loop: Header=BB841_908 Depth=2
	global_load_dwordx2 v[23:24], v126, s[20:21]
	s_or_b64 exec, exec, s[22:23]
	v_cmp_gt_u32_e32 vcc, s6, v83
	s_and_saveexec_b64 s[22:23], vcc
	s_cbranch_execz .LBB841_920
.LBB841_969:                            ;   in Loop: Header=BB841_908 Depth=2
	global_load_dwordx2 v[21:22], v127, s[20:21]
	s_or_b64 exec, exec, s[22:23]
	v_cmp_gt_u32_e32 vcc, s6, v84
	s_and_saveexec_b64 s[22:23], vcc
	s_cbranch_execz .LBB841_921
.LBB841_970:                            ;   in Loop: Header=BB841_908 Depth=2
	global_load_dwordx2 v[19:20], v128, s[20:21]
	s_or_b64 exec, exec, s[22:23]
	v_cmp_gt_u32_e32 vcc, s6, v85
	s_and_saveexec_b64 s[22:23], vcc
	s_cbranch_execz .LBB841_922
.LBB841_971:                            ;   in Loop: Header=BB841_908 Depth=2
	global_load_dwordx2 v[17:18], v129, s[20:21]
	s_or_b64 exec, exec, s[22:23]
	v_cmp_gt_u32_e32 vcc, s6, v86
	s_and_saveexec_b64 s[22:23], vcc
	s_cbranch_execz .LBB841_923
.LBB841_972:                            ;   in Loop: Header=BB841_908 Depth=2
	global_load_dwordx2 v[15:16], v130, s[20:21]
	s_or_b64 exec, exec, s[22:23]
	v_cmp_gt_u32_e32 vcc, s6, v87
	s_and_saveexec_b64 s[22:23], vcc
	s_cbranch_execz .LBB841_924
.LBB841_973:                            ;   in Loop: Header=BB841_908 Depth=2
	global_load_dwordx2 v[13:14], v131, s[20:21]
	s_or_b64 exec, exec, s[22:23]
	v_cmp_gt_u32_e32 vcc, s6, v88
	s_and_saveexec_b64 s[22:23], vcc
	s_cbranch_execz .LBB841_925
.LBB841_974:                            ;   in Loop: Header=BB841_908 Depth=2
	global_load_dwordx2 v[11:12], v132, s[20:21]
	s_or_b64 exec, exec, s[22:23]
	v_cmp_gt_u32_e32 vcc, s6, v89
	s_and_saveexec_b64 s[22:23], vcc
	s_cbranch_execz .LBB841_926
.LBB841_975:                            ;   in Loop: Header=BB841_908 Depth=2
	global_load_dwordx2 v[9:10], v133, s[20:21]
	s_or_b64 exec, exec, s[22:23]
	v_cmp_gt_u32_e32 vcc, s6, v90
	s_and_saveexec_b64 s[22:23], vcc
	s_cbranch_execnz .LBB841_927
	s_branch .LBB841_928
.LBB841_976:                            ;   in Loop: Header=BB841_20 Depth=1
	v_mov_b32_e32 v4, 0
	s_waitcnt lgkmcnt(0)
	s_barrier
	s_and_saveexec_b64 s[20:21], s[4:5]
	s_cbranch_execz .LBB841_978
; %bb.977:                              ;   in Loop: Header=BB841_20 Depth=1
	ds_read2_b64 v[7:10], v93 offset1:1
	s_waitcnt lgkmcnt(0)
	v_add_u32_e32 v4, v8, v7
	v_add3_u32 v4, v4, v9, v10
.LBB841_978:                            ;   in Loop: Header=BB841_20 Depth=1
	s_or_b64 exec, exec, s[20:21]
	v_and_b32_e32 v7, 15, v135
	v_mov_b32_dpp v8, v4 row_shr:1 row_mask:0xf bank_mask:0xf
	v_cmp_eq_u32_e64 s[20:21], 0, v7
	v_cndmask_b32_e64 v8, v8, 0, s[20:21]
	v_add_u32_e32 v4, v8, v4
	v_cmp_lt_u32_e64 s[22:23], 1, v7
	v_cmp_lt_u32_e64 s[24:25], 3, v7
	v_mov_b32_dpp v8, v4 row_shr:2 row_mask:0xf bank_mask:0xf
	v_cndmask_b32_e64 v8, 0, v8, s[22:23]
	v_add_u32_e32 v4, v4, v8
	v_cmp_lt_u32_e64 s[26:27], 7, v7
	v_cmp_lt_u32_e64 s[30:31], 31, v135
	v_mov_b32_dpp v8, v4 row_shr:4 row_mask:0xf bank_mask:0xf
	v_cndmask_b32_e64 v8, 0, v8, s[24:25]
	v_add_u32_e32 v4, v4, v8
	v_and_b32_e32 v9, 16, v135
	v_cmp_eq_u32_e64 s[28:29], 0, v9
	v_mov_b32_dpp v8, v4 row_shr:8 row_mask:0xf bank_mask:0xf
	v_cndmask_b32_e64 v7, 0, v8, s[26:27]
	v_add_u32_e32 v4, v4, v7
	v_bfe_i32 v8, v135, 4, 1
	s_nop 0
	v_mov_b32_dpp v7, v4 row_bcast:15 row_mask:0xf bank_mask:0xf
	v_and_b32_e32 v7, v8, v7
	v_add_u32_e32 v4, v4, v7
	s_nop 1
	v_mov_b32_dpp v7, v4 row_bcast:31 row_mask:0xf bank_mask:0xf
	v_cndmask_b32_e64 v7, 0, v7, s[30:31]
	v_add_u32_e32 v4, v4, v7
	s_mov_b64 s[34:35], exec
	v_readlane_b32 s6, v232, 1
	v_readlane_b32 s7, v232, 2
	s_and_b64 s[6:7], s[34:35], s[6:7]
	s_mov_b64 exec, s[6:7]
; %bb.979:                              ;   in Loop: Header=BB841_20 Depth=1
	ds_write_b32 v95, v4
; %bb.980:                              ;   in Loop: Header=BB841_20 Depth=1
	s_or_b64 exec, exec, s[34:35]
	s_waitcnt lgkmcnt(0)
	s_barrier
	s_and_saveexec_b64 s[34:35], s[8:9]
	s_cbranch_execz .LBB841_982
; %bb.981:                              ;   in Loop: Header=BB841_20 Depth=1
	ds_read_b32 v7, v96
	v_bfe_i32 v8, v135, 0, 1
	s_waitcnt lgkmcnt(0)
	v_mov_b32_dpp v9, v7 row_shr:1 row_mask:0xf bank_mask:0xf
	v_and_b32_e32 v8, v8, v9
	v_add_u32_e32 v7, v8, v7
	ds_write_b32 v96, v7
.LBB841_982:                            ;   in Loop: Header=BB841_20 Depth=1
	s_or_b64 exec, exec, s[34:35]
	v_mov_b32_e32 v7, 0
	s_waitcnt lgkmcnt(0)
	s_barrier
	s_and_saveexec_b64 s[34:35], s[10:11]
; %bb.983:                              ;   in Loop: Header=BB841_20 Depth=1
	ds_read_b32 v7, v97
; %bb.984:                              ;   in Loop: Header=BB841_20 Depth=1
	s_or_b64 exec, exec, s[34:35]
	v_subrev_co_u32_e64 v8, s[34:35], 1, v135
	v_and_b32_e32 v9, 64, v135
	v_cmp_lt_i32_e32 vcc, v8, v9
	v_cndmask_b32_e32 v8, v8, v135, vcc
	s_waitcnt lgkmcnt(0)
	v_add_u32_e32 v4, v7, v4
	v_lshlrev_b32_e32 v136, 2, v8
	ds_bpermute_b32 v4, v136, v4
	s_waitcnt lgkmcnt(0)
	s_barrier
	s_and_saveexec_b64 s[36:37], s[4:5]
; %bb.985:                              ;   in Loop: Header=BB841_20 Depth=1
	v_cndmask_b32_e64 v4, v4, v7, s[34:35]
	v_add_u32_e32 v4, s73, v4
	ds_write_b32 v73, v4
; %bb.986:                              ;   in Loop: Header=BB841_20 Depth=1
	s_or_b64 exec, exec, s[36:37]
	s_load_dwordx2 s[6:7], s[94:95], 0x0
	v_readlane_b32 s36, v232, 0
	v_and_b32_e32 v40, 3, v135
	v_and_b32_e32 v41, 63, v135
	v_cmp_lt_u32_e64 s[38:39], 1, v40
	s_waitcnt lgkmcnt(0)
	s_cmp_lt_u32 s36, s7
	s_cselect_b32 s7, 14, 20
	s_add_u32 s36, s94, s7
	s_addc_u32 s37, s95, 0
	s_cmp_lt_u32 s72, s6
	s_cselect_b32 s6, 12, 18
	s_add_u32 s6, s94, s6
	global_load_ushort v4, v3, s[36:37]
	s_addc_u32 s7, s95, 0
	global_load_ushort v39, v3, s[6:7]
	v_cmp_eq_u32_e64 s[36:37], 0, v40
	v_lshlrev_b32_e32 v42, 3, v41
	v_add_co_u32_e32 v154, vcc, v115, v42
	v_addc_co_u32_e32 v155, vcc, 0, v116, vcc
	v_or_b32_e32 v153, v41, v98
	v_add_co_u32_e32 v171, vcc, v117, v42
	s_mov_b32 s91, s33
	v_or_b32_e32 v156, 64, v153
	v_or_b32_e32 v157, 0x80, v153
	;; [unrolled: 1-line block ×15, first 2 shown]
	v_addc_co_u32_e32 v172, vcc, 0, v118, vcc
	s_mov_b32 s92, s73
                                        ; implicit-def: $vgpr7_vgpr8
                                        ; implicit-def: $vgpr9_vgpr10
                                        ; implicit-def: $vgpr11_vgpr12
                                        ; implicit-def: $vgpr15_vgpr16
                                        ; implicit-def: $vgpr19_vgpr20
                                        ; implicit-def: $vgpr23_vgpr24
                                        ; implicit-def: $vgpr27_vgpr28
                                        ; implicit-def: $vgpr31_vgpr32
                                        ; implicit-def: $vgpr13_vgpr14
                                        ; implicit-def: $vgpr17_vgpr18
                                        ; implicit-def: $vgpr21_vgpr22
                                        ; implicit-def: $vgpr25_vgpr26
                                        ; implicit-def: $vgpr29_vgpr30
                                        ; implicit-def: $vgpr33_vgpr34
                                        ; implicit-def: $vgpr35_vgpr36
                                        ; implicit-def: $vgpr37_vgpr38
                                        ; implicit-def: $vgpr137
                                        ; implicit-def: $vgpr138
                                        ; implicit-def: $vgpr139
                                        ; implicit-def: $vgpr140
                                        ; implicit-def: $vgpr141
                                        ; implicit-def: $vgpr142
                                        ; implicit-def: $vgpr143
                                        ; implicit-def: $vgpr144
                                        ; implicit-def: $vgpr145
                                        ; implicit-def: $vgpr146
                                        ; implicit-def: $vgpr147
                                        ; implicit-def: $vgpr148
                                        ; implicit-def: $vgpr149
                                        ; implicit-def: $vgpr150
                                        ; implicit-def: $vgpr151
                                        ; implicit-def: $vgpr152
                                        ; implicit-def: $vgpr174
                                        ; implicit-def: $vgpr175
	s_waitcnt vmcnt(1)
	v_mad_u32_u24 v4, v2, v4, v1
	s_waitcnt vmcnt(0)
	v_mad_u64_u32 v[39:40], s[6:7], v4, v39, v[0:1]
	v_lshrrev_b32_e32 v4, 4, v39
	v_and_b32_e32 v173, 0xffffffc, v4
	s_branch .LBB841_988
.LBB841_987:                            ;   in Loop: Header=BB841_988 Depth=2
	s_or_b64 exec, exec, s[40:41]
	s_addk_i32 s91, 0xf000
	s_cmp_lt_u32 s99, s96
	s_mov_b32 s92, s99
	s_cbranch_scc0 .LBB841_18
.LBB841_988:                            ;   Parent Loop BB841_20 Depth=1
                                        ; =>  This Inner Loop Header: Depth=2
	s_add_i32 s99, s92, 0x1000
	s_cmp_gt_u32 s99, s96
	s_cbranch_scc1 .LBB841_990
; %bb.989:                              ;   in Loop: Header=BB841_988 Depth=2
	s_lshl_b64 s[6:7], s[92:93], 3
	v_mov_b32_e32 v4, s7
	v_add_co_u32_e32 v55, vcc, s6, v171
	v_addc_co_u32_e32 v56, vcc, v172, v4, vcc
	v_add_co_u32_e32 v67, vcc, 0x1000, v55
	global_load_dwordx2 v[41:42], v[55:56], off
	global_load_dwordx2 v[39:40], v[55:56], off offset:512
	global_load_dwordx2 v[43:44], v[55:56], off offset:1024
	global_load_dwordx2 v[45:46], v[55:56], off offset:1536
	global_load_dwordx2 v[47:48], v[55:56], off offset:2048
	global_load_dwordx2 v[49:50], v[55:56], off offset:2560
	global_load_dwordx2 v[51:52], v[55:56], off offset:3072
	global_load_dwordx2 v[53:54], v[55:56], off offset:3584
	v_addc_co_u32_e32 v68, vcc, 0, v56, vcc
	global_load_dwordx2 v[55:56], v[67:68], off
	global_load_dwordx2 v[57:58], v[67:68], off offset:512
	global_load_dwordx2 v[59:60], v[67:68], off offset:1024
	;; [unrolled: 1-line block ×5, first 2 shown]
	s_nop 0
	global_load_dwordx2 v[67:68], v[67:68], off offset:3072
	s_mov_b64 s[40:41], -1
	s_movk_i32 s6, 0x1000
	s_cbranch_execz .LBB841_991
	s_branch .LBB841_1022
.LBB841_990:                            ;   in Loop: Header=BB841_988 Depth=2
	s_mov_b64 s[40:41], 0
                                        ; implicit-def: $vgpr41_vgpr42
                                        ; implicit-def: $vgpr39_vgpr40
                                        ; implicit-def: $vgpr43_vgpr44
                                        ; implicit-def: $vgpr45_vgpr46
                                        ; implicit-def: $vgpr47_vgpr48
                                        ; implicit-def: $vgpr49_vgpr50
                                        ; implicit-def: $vgpr51_vgpr52
                                        ; implicit-def: $vgpr53_vgpr54
                                        ; implicit-def: $vgpr55_vgpr56
                                        ; implicit-def: $vgpr57_vgpr58
                                        ; implicit-def: $vgpr59_vgpr60
                                        ; implicit-def: $vgpr61_vgpr62
                                        ; implicit-def: $vgpr63_vgpr64
                                        ; implicit-def: $vgpr65_vgpr66
                                        ; implicit-def: $vgpr67_vgpr68
	s_movk_i32 s6, 0x1000
.LBB841_991:                            ;   in Loop: Header=BB841_988 Depth=2
	s_lshl_b64 s[6:7], s[92:93], 3
	v_mov_b32_e32 v4, s7
	v_add_co_u32_e32 v69, vcc, s6, v171
	s_waitcnt vmcnt(13)
	v_mov_b32_e32 v40, v6
	v_addc_co_u32_e32 v70, vcc, v172, v4, vcc
	v_mov_b32_e32 v39, v5
	v_mov_b32_e32 v42, v40
	v_cmp_gt_u32_e32 vcc, s91, v153
	v_mov_b32_e32 v41, v39
	s_and_saveexec_b64 s[40:41], vcc
	s_cbranch_execz .LBB841_993
; %bb.992:                              ;   in Loop: Header=BB841_988 Depth=2
	global_load_dwordx2 v[41:42], v[69:70], off
.LBB841_993:                            ;   in Loop: Header=BB841_988 Depth=2
	s_or_b64 exec, exec, s[40:41]
	v_cmp_gt_u32_e32 vcc, s91, v156
	s_and_saveexec_b64 s[40:41], vcc
	s_cbranch_execz .LBB841_995
; %bb.994:                              ;   in Loop: Header=BB841_988 Depth=2
	global_load_dwordx2 v[39:40], v[69:70], off offset:512
.LBB841_995:                            ;   in Loop: Header=BB841_988 Depth=2
	s_or_b64 exec, exec, s[40:41]
	s_waitcnt vmcnt(12)
	v_mov_b32_e32 v44, v6
	v_cmp_gt_u32_e32 vcc, s91, v157
	v_mov_b32_e32 v43, v5
	s_and_saveexec_b64 s[40:41], vcc
	s_cbranch_execz .LBB841_997
; %bb.996:                              ;   in Loop: Header=BB841_988 Depth=2
	global_load_dwordx2 v[43:44], v[69:70], off offset:1024
.LBB841_997:                            ;   in Loop: Header=BB841_988 Depth=2
	s_or_b64 exec, exec, s[40:41]
	s_waitcnt vmcnt(11)
	v_mov_b32_e32 v46, v6
	v_cmp_gt_u32_e32 vcc, s91, v158
	v_mov_b32_e32 v45, v5
	;; [unrolled: 10-line block ×3, first 2 shown]
	s_and_saveexec_b64 s[40:41], vcc
	s_cbranch_execz .LBB841_1001
; %bb.1000:                             ;   in Loop: Header=BB841_988 Depth=2
	global_load_dwordx2 v[47:48], v[69:70], off offset:2048
.LBB841_1001:                           ;   in Loop: Header=BB841_988 Depth=2
	s_or_b64 exec, exec, s[40:41]
	s_waitcnt vmcnt(9)
	v_mov_b32_e32 v50, v6
	v_cmp_gt_u32_e32 vcc, s91, v160
	v_mov_b32_e32 v49, v5
	s_and_saveexec_b64 s[40:41], vcc
	s_cbranch_execz .LBB841_1003
; %bb.1002:                             ;   in Loop: Header=BB841_988 Depth=2
	global_load_dwordx2 v[49:50], v[69:70], off offset:2560
.LBB841_1003:                           ;   in Loop: Header=BB841_988 Depth=2
	s_or_b64 exec, exec, s[40:41]
	s_waitcnt vmcnt(8)
	v_mov_b32_e32 v52, v6
	v_cmp_gt_u32_e32 vcc, s91, v161
	v_mov_b32_e32 v51, v5
	;; [unrolled: 10-line block ×4, first 2 shown]
	s_and_saveexec_b64 s[40:41], vcc
	s_cbranch_execz .LBB841_1009
; %bb.1008:                             ;   in Loop: Header=BB841_988 Depth=2
	v_add_co_u32_e32 v55, vcc, 0x1000, v69
	v_addc_co_u32_e32 v56, vcc, 0, v70, vcc
	global_load_dwordx2 v[55:56], v[55:56], off
.LBB841_1009:                           ;   in Loop: Header=BB841_988 Depth=2
	s_or_b64 exec, exec, s[40:41]
	s_waitcnt vmcnt(5)
	v_mov_b32_e32 v58, v6
	v_cmp_gt_u32_e32 vcc, s91, v164
	v_mov_b32_e32 v57, v5
	s_and_saveexec_b64 s[40:41], vcc
	s_cbranch_execz .LBB841_1011
; %bb.1010:                             ;   in Loop: Header=BB841_988 Depth=2
	v_add_co_u32_e32 v57, vcc, 0x1000, v69
	v_addc_co_u32_e32 v58, vcc, 0, v70, vcc
	global_load_dwordx2 v[57:58], v[57:58], off offset:512
.LBB841_1011:                           ;   in Loop: Header=BB841_988 Depth=2
	s_or_b64 exec, exec, s[40:41]
	s_waitcnt vmcnt(4)
	v_mov_b32_e32 v60, v6
	v_cmp_gt_u32_e32 vcc, s91, v165
	v_mov_b32_e32 v59, v5
	s_and_saveexec_b64 s[40:41], vcc
	s_cbranch_execz .LBB841_1013
; %bb.1012:                             ;   in Loop: Header=BB841_988 Depth=2
	v_add_co_u32_e32 v59, vcc, 0x1000, v69
	v_addc_co_u32_e32 v60, vcc, 0, v70, vcc
	global_load_dwordx2 v[59:60], v[59:60], off offset:1024
.LBB841_1013:                           ;   in Loop: Header=BB841_988 Depth=2
	;; [unrolled: 12-line block ×6, first 2 shown]
	s_or_b64 exec, exec, s[40:41]
	s_sub_i32 s6, s96, s92
	v_cmp_gt_u32_e64 s[40:41], s91, v170
.LBB841_1022:                           ;   in Loop: Header=BB841_988 Depth=2
	v_mov_b32_e32 v69, -1
	v_mov_b32_e32 v70, -1
	v_mov_b32_e32 v176, s91
	s_and_saveexec_b64 s[42:43], s[40:41]
	s_cbranch_execz .LBB841_1024
; %bb.1023:                             ;   in Loop: Header=BB841_988 Depth=2
	s_lshl_b64 s[40:41], s[92:93], 3
	v_mov_b32_e32 v4, s41
	v_add_co_u32_e32 v69, vcc, s40, v171
	v_addc_co_u32_e32 v4, vcc, v172, v4, vcc
	v_add_co_u32_e32 v69, vcc, 0x1000, v69
	v_addc_co_u32_e32 v70, vcc, 0, v4, vcc
	global_load_dwordx2 v[69:70], v[69:70], off offset:3584
	v_mov_b32_e32 v176, s6
	s_waitcnt vmcnt(0)
	v_xor_b32_e32 v70, 0x80000000, v70
.LBB841_1024:                           ;   in Loop: Header=BB841_988 Depth=2
	s_or_b64 exec, exec, s[42:43]
	s_waitcnt vmcnt(14)
	v_xor_b32_e32 v42, 0x80000000, v42
	v_lshrrev_b64 v[71:72], s88, v[41:42]
	ds_write2_b32 v92, v3, v3 offset0:132 offset1:133
	ds_write_b32 v92, v3 offset:536
	v_and_b32_e32 v71, s98, v71
	v_and_b32_e32 v4, 1, v71
	v_add_co_u32_e32 v72, vcc, -1, v4
	v_addc_co_u32_e64 v177, s[6:7], 0, -1, vcc
	v_cmp_ne_u32_e32 vcc, 0, v4
	v_xor_b32_e32 v4, vcc_hi, v177
	v_and_b32_e32 v177, exec_hi, v4
	v_lshlrev_b32_e32 v4, 30, v71
	v_xor_b32_e32 v72, vcc_lo, v72
	v_cmp_gt_i64_e32 vcc, 0, v[3:4]
	v_not_b32_e32 v4, v4
	v_ashrrev_i32_e32 v4, 31, v4
	v_and_b32_e32 v72, exec_lo, v72
	v_xor_b32_e32 v179, vcc_hi, v4
	v_xor_b32_e32 v4, vcc_lo, v4
	v_and_b32_e32 v72, v72, v4
	v_lshlrev_b32_e32 v4, 29, v71
	v_cmp_gt_i64_e32 vcc, 0, v[3:4]
	v_not_b32_e32 v4, v4
	v_ashrrev_i32_e32 v4, 31, v4
	v_and_b32_e32 v177, v177, v179
	v_xor_b32_e32 v179, vcc_hi, v4
	v_xor_b32_e32 v4, vcc_lo, v4
	v_and_b32_e32 v72, v72, v4
	v_lshlrev_b32_e32 v4, 28, v71
	v_cmp_gt_i64_e32 vcc, 0, v[3:4]
	v_not_b32_e32 v4, v4
	v_ashrrev_i32_e32 v4, 31, v4
	v_and_b32_e32 v177, v177, v179
	;; [unrolled: 8-line block ×4, first 2 shown]
	v_xor_b32_e32 v179, vcc_hi, v4
	v_xor_b32_e32 v4, vcc_lo, v4
	v_and_b32_e32 v177, v177, v179
	v_and_b32_e32 v179, v72, v4
	v_lshlrev_b32_e32 v4, 25, v71
	v_cmp_gt_i64_e32 vcc, 0, v[3:4]
	v_not_b32_e32 v4, v4
	v_ashrrev_i32_e32 v4, 31, v4
	v_mul_u32_u24_e32 v178, 20, v71
	v_xor_b32_e32 v71, vcc_hi, v4
	v_xor_b32_e32 v4, vcc_lo, v4
	v_and_b32_e32 v72, v177, v71
	v_and_b32_e32 v71, v179, v4
	v_mbcnt_lo_u32_b32 v4, v71, 0
	v_mbcnt_hi_u32_b32 v177, v72, v4
	v_cmp_ne_u64_e32 vcc, 0, v[71:72]
	v_cmp_eq_u32_e64 s[40:41], 0, v177
	s_and_b64 s[6:7], vcc, s[40:41]
	v_add_u32_e32 v179, v173, v178
	s_waitcnt vmcnt(0) lgkmcnt(0)
	s_barrier
	; wave barrier
	s_and_saveexec_b64 s[40:41], s[6:7]
; %bb.1025:                             ;   in Loop: Header=BB841_988 Depth=2
	v_bcnt_u32_b32 v4, v71, 0
	v_bcnt_u32_b32 v4, v72, v4
	ds_write_b32 v179, v4 offset:528
; %bb.1026:                             ;   in Loop: Header=BB841_988 Depth=2
	s_or_b64 exec, exec, s[40:41]
	v_xor_b32_e32 v40, 0x80000000, v40
	v_lshrrev_b64 v[71:72], s88, v[39:40]
	v_and_b32_e32 v71, s98, v71
	v_mad_u32_u24 v4, v71, 20, v173
	; wave barrier
	ds_read_b32 v178, v4 offset:528
	v_and_b32_e32 v4, 1, v71
	v_add_co_u32_e32 v72, vcc, -1, v4
	v_addc_co_u32_e64 v180, s[6:7], 0, -1, vcc
	v_cmp_ne_u32_e32 vcc, 0, v4
	v_xor_b32_e32 v4, vcc_hi, v180
	v_and_b32_e32 v180, exec_hi, v4
	v_lshlrev_b32_e32 v4, 30, v71
	v_xor_b32_e32 v72, vcc_lo, v72
	v_cmp_gt_i64_e32 vcc, 0, v[3:4]
	v_not_b32_e32 v4, v4
	v_ashrrev_i32_e32 v4, 31, v4
	v_and_b32_e32 v72, exec_lo, v72
	v_xor_b32_e32 v182, vcc_hi, v4
	v_xor_b32_e32 v4, vcc_lo, v4
	v_and_b32_e32 v72, v72, v4
	v_lshlrev_b32_e32 v4, 29, v71
	v_cmp_gt_i64_e32 vcc, 0, v[3:4]
	v_not_b32_e32 v4, v4
	v_ashrrev_i32_e32 v4, 31, v4
	v_and_b32_e32 v180, v180, v182
	v_xor_b32_e32 v182, vcc_hi, v4
	v_xor_b32_e32 v4, vcc_lo, v4
	v_and_b32_e32 v72, v72, v4
	v_lshlrev_b32_e32 v4, 28, v71
	v_cmp_gt_i64_e32 vcc, 0, v[3:4]
	v_not_b32_e32 v4, v4
	v_ashrrev_i32_e32 v4, 31, v4
	v_and_b32_e32 v180, v180, v182
	;; [unrolled: 8-line block ×4, first 2 shown]
	v_xor_b32_e32 v182, vcc_hi, v4
	v_xor_b32_e32 v4, vcc_lo, v4
	v_and_b32_e32 v180, v180, v182
	v_and_b32_e32 v182, v72, v4
	v_lshlrev_b32_e32 v4, 25, v71
	v_cmp_gt_i64_e32 vcc, 0, v[3:4]
	v_not_b32_e32 v4, v4
	v_ashrrev_i32_e32 v4, 31, v4
	v_mul_u32_u24_e32 v181, 20, v71
	v_xor_b32_e32 v71, vcc_hi, v4
	v_xor_b32_e32 v4, vcc_lo, v4
	v_and_b32_e32 v72, v180, v71
	v_and_b32_e32 v71, v182, v4
	v_mbcnt_lo_u32_b32 v4, v71, 0
	v_mbcnt_hi_u32_b32 v180, v72, v4
	v_cmp_ne_u64_e32 vcc, 0, v[71:72]
	v_cmp_eq_u32_e64 s[40:41], 0, v180
	s_and_b64 s[6:7], vcc, s[40:41]
	v_add_u32_e32 v182, v173, v181
	; wave barrier
	s_and_saveexec_b64 s[40:41], s[6:7]
	s_cbranch_execz .LBB841_1028
; %bb.1027:                             ;   in Loop: Header=BB841_988 Depth=2
	v_bcnt_u32_b32 v4, v71, 0
	v_bcnt_u32_b32 v4, v72, v4
	s_waitcnt lgkmcnt(0)
	v_add_u32_e32 v4, v178, v4
	ds_write_b32 v182, v4 offset:528
.LBB841_1028:                           ;   in Loop: Header=BB841_988 Depth=2
	s_or_b64 exec, exec, s[40:41]
	v_xor_b32_e32 v44, 0x80000000, v44
	v_lshrrev_b64 v[71:72], s88, v[43:44]
	v_and_b32_e32 v71, s98, v71
	v_mad_u32_u24 v4, v71, 20, v173
	; wave barrier
	ds_read_b32 v181, v4 offset:528
	v_and_b32_e32 v4, 1, v71
	v_add_co_u32_e32 v72, vcc, -1, v4
	v_addc_co_u32_e64 v183, s[6:7], 0, -1, vcc
	v_cmp_ne_u32_e32 vcc, 0, v4
	v_xor_b32_e32 v4, vcc_hi, v183
	v_and_b32_e32 v183, exec_hi, v4
	v_lshlrev_b32_e32 v4, 30, v71
	v_xor_b32_e32 v72, vcc_lo, v72
	v_cmp_gt_i64_e32 vcc, 0, v[3:4]
	v_not_b32_e32 v4, v4
	v_ashrrev_i32_e32 v4, 31, v4
	v_and_b32_e32 v72, exec_lo, v72
	v_xor_b32_e32 v185, vcc_hi, v4
	v_xor_b32_e32 v4, vcc_lo, v4
	v_and_b32_e32 v72, v72, v4
	v_lshlrev_b32_e32 v4, 29, v71
	v_cmp_gt_i64_e32 vcc, 0, v[3:4]
	v_not_b32_e32 v4, v4
	v_ashrrev_i32_e32 v4, 31, v4
	v_and_b32_e32 v183, v183, v185
	v_xor_b32_e32 v185, vcc_hi, v4
	v_xor_b32_e32 v4, vcc_lo, v4
	v_and_b32_e32 v72, v72, v4
	v_lshlrev_b32_e32 v4, 28, v71
	v_cmp_gt_i64_e32 vcc, 0, v[3:4]
	v_not_b32_e32 v4, v4
	v_ashrrev_i32_e32 v4, 31, v4
	v_and_b32_e32 v183, v183, v185
	;; [unrolled: 8-line block ×4, first 2 shown]
	v_xor_b32_e32 v185, vcc_hi, v4
	v_xor_b32_e32 v4, vcc_lo, v4
	v_and_b32_e32 v183, v183, v185
	v_and_b32_e32 v185, v72, v4
	v_lshlrev_b32_e32 v4, 25, v71
	v_cmp_gt_i64_e32 vcc, 0, v[3:4]
	v_not_b32_e32 v4, v4
	v_ashrrev_i32_e32 v4, 31, v4
	v_mul_u32_u24_e32 v184, 20, v71
	v_xor_b32_e32 v71, vcc_hi, v4
	v_xor_b32_e32 v4, vcc_lo, v4
	v_and_b32_e32 v72, v183, v71
	v_and_b32_e32 v71, v185, v4
	v_mbcnt_lo_u32_b32 v4, v71, 0
	v_mbcnt_hi_u32_b32 v183, v72, v4
	v_cmp_ne_u64_e32 vcc, 0, v[71:72]
	v_cmp_eq_u32_e64 s[40:41], 0, v183
	s_and_b64 s[6:7], vcc, s[40:41]
	v_add_u32_e32 v185, v173, v184
	; wave barrier
	s_and_saveexec_b64 s[40:41], s[6:7]
	s_cbranch_execz .LBB841_1030
; %bb.1029:                             ;   in Loop: Header=BB841_988 Depth=2
	v_bcnt_u32_b32 v4, v71, 0
	v_bcnt_u32_b32 v4, v72, v4
	s_waitcnt lgkmcnt(0)
	v_add_u32_e32 v4, v181, v4
	ds_write_b32 v185, v4 offset:528
.LBB841_1030:                           ;   in Loop: Header=BB841_988 Depth=2
	s_or_b64 exec, exec, s[40:41]
	v_xor_b32_e32 v46, 0x80000000, v46
	v_lshrrev_b64 v[71:72], s88, v[45:46]
	v_and_b32_e32 v71, s98, v71
	v_mad_u32_u24 v4, v71, 20, v173
	; wave barrier
	ds_read_b32 v184, v4 offset:528
	v_and_b32_e32 v4, 1, v71
	v_add_co_u32_e32 v72, vcc, -1, v4
	v_addc_co_u32_e64 v186, s[6:7], 0, -1, vcc
	v_cmp_ne_u32_e32 vcc, 0, v4
	v_xor_b32_e32 v4, vcc_hi, v186
	v_and_b32_e32 v186, exec_hi, v4
	v_lshlrev_b32_e32 v4, 30, v71
	v_xor_b32_e32 v72, vcc_lo, v72
	v_cmp_gt_i64_e32 vcc, 0, v[3:4]
	v_not_b32_e32 v4, v4
	v_ashrrev_i32_e32 v4, 31, v4
	v_and_b32_e32 v72, exec_lo, v72
	v_xor_b32_e32 v188, vcc_hi, v4
	v_xor_b32_e32 v4, vcc_lo, v4
	v_and_b32_e32 v72, v72, v4
	v_lshlrev_b32_e32 v4, 29, v71
	v_cmp_gt_i64_e32 vcc, 0, v[3:4]
	v_not_b32_e32 v4, v4
	v_ashrrev_i32_e32 v4, 31, v4
	v_and_b32_e32 v186, v186, v188
	v_xor_b32_e32 v188, vcc_hi, v4
	v_xor_b32_e32 v4, vcc_lo, v4
	v_and_b32_e32 v72, v72, v4
	v_lshlrev_b32_e32 v4, 28, v71
	v_cmp_gt_i64_e32 vcc, 0, v[3:4]
	v_not_b32_e32 v4, v4
	v_ashrrev_i32_e32 v4, 31, v4
	v_and_b32_e32 v186, v186, v188
	;; [unrolled: 8-line block ×4, first 2 shown]
	v_xor_b32_e32 v188, vcc_hi, v4
	v_xor_b32_e32 v4, vcc_lo, v4
	v_and_b32_e32 v186, v186, v188
	v_and_b32_e32 v188, v72, v4
	v_lshlrev_b32_e32 v4, 25, v71
	v_cmp_gt_i64_e32 vcc, 0, v[3:4]
	v_not_b32_e32 v4, v4
	v_ashrrev_i32_e32 v4, 31, v4
	v_mul_u32_u24_e32 v187, 20, v71
	v_xor_b32_e32 v71, vcc_hi, v4
	v_xor_b32_e32 v4, vcc_lo, v4
	v_and_b32_e32 v72, v186, v71
	v_and_b32_e32 v71, v188, v4
	v_mbcnt_lo_u32_b32 v4, v71, 0
	v_mbcnt_hi_u32_b32 v186, v72, v4
	v_cmp_ne_u64_e32 vcc, 0, v[71:72]
	v_cmp_eq_u32_e64 s[40:41], 0, v186
	s_and_b64 s[6:7], vcc, s[40:41]
	v_add_u32_e32 v188, v173, v187
	; wave barrier
	s_and_saveexec_b64 s[40:41], s[6:7]
	s_cbranch_execz .LBB841_1032
; %bb.1031:                             ;   in Loop: Header=BB841_988 Depth=2
	v_bcnt_u32_b32 v4, v71, 0
	v_bcnt_u32_b32 v4, v72, v4
	s_waitcnt lgkmcnt(0)
	v_add_u32_e32 v4, v184, v4
	ds_write_b32 v188, v4 offset:528
.LBB841_1032:                           ;   in Loop: Header=BB841_988 Depth=2
	s_or_b64 exec, exec, s[40:41]
	v_xor_b32_e32 v48, 0x80000000, v48
	v_lshrrev_b64 v[71:72], s88, v[47:48]
	v_and_b32_e32 v71, s98, v71
	v_mad_u32_u24 v4, v71, 20, v173
	; wave barrier
	ds_read_b32 v187, v4 offset:528
	v_and_b32_e32 v4, 1, v71
	v_add_co_u32_e32 v72, vcc, -1, v4
	v_addc_co_u32_e64 v189, s[6:7], 0, -1, vcc
	v_cmp_ne_u32_e32 vcc, 0, v4
	v_xor_b32_e32 v4, vcc_hi, v189
	v_and_b32_e32 v189, exec_hi, v4
	v_lshlrev_b32_e32 v4, 30, v71
	v_xor_b32_e32 v72, vcc_lo, v72
	v_cmp_gt_i64_e32 vcc, 0, v[3:4]
	v_not_b32_e32 v4, v4
	v_ashrrev_i32_e32 v4, 31, v4
	v_and_b32_e32 v72, exec_lo, v72
	v_xor_b32_e32 v191, vcc_hi, v4
	v_xor_b32_e32 v4, vcc_lo, v4
	v_and_b32_e32 v72, v72, v4
	v_lshlrev_b32_e32 v4, 29, v71
	v_cmp_gt_i64_e32 vcc, 0, v[3:4]
	v_not_b32_e32 v4, v4
	v_ashrrev_i32_e32 v4, 31, v4
	v_and_b32_e32 v189, v189, v191
	v_xor_b32_e32 v191, vcc_hi, v4
	v_xor_b32_e32 v4, vcc_lo, v4
	v_and_b32_e32 v72, v72, v4
	v_lshlrev_b32_e32 v4, 28, v71
	v_cmp_gt_i64_e32 vcc, 0, v[3:4]
	v_not_b32_e32 v4, v4
	v_ashrrev_i32_e32 v4, 31, v4
	v_and_b32_e32 v189, v189, v191
	;; [unrolled: 8-line block ×4, first 2 shown]
	v_xor_b32_e32 v191, vcc_hi, v4
	v_xor_b32_e32 v4, vcc_lo, v4
	v_and_b32_e32 v189, v189, v191
	v_and_b32_e32 v191, v72, v4
	v_lshlrev_b32_e32 v4, 25, v71
	v_cmp_gt_i64_e32 vcc, 0, v[3:4]
	v_not_b32_e32 v4, v4
	v_ashrrev_i32_e32 v4, 31, v4
	v_mul_u32_u24_e32 v190, 20, v71
	v_xor_b32_e32 v71, vcc_hi, v4
	v_xor_b32_e32 v4, vcc_lo, v4
	v_and_b32_e32 v72, v189, v71
	v_and_b32_e32 v71, v191, v4
	v_mbcnt_lo_u32_b32 v4, v71, 0
	v_mbcnt_hi_u32_b32 v189, v72, v4
	v_cmp_ne_u64_e32 vcc, 0, v[71:72]
	v_cmp_eq_u32_e64 s[40:41], 0, v189
	s_and_b64 s[6:7], vcc, s[40:41]
	v_add_u32_e32 v191, v173, v190
	; wave barrier
	s_and_saveexec_b64 s[40:41], s[6:7]
	s_cbranch_execz .LBB841_1034
; %bb.1033:                             ;   in Loop: Header=BB841_988 Depth=2
	v_bcnt_u32_b32 v4, v71, 0
	v_bcnt_u32_b32 v4, v72, v4
	s_waitcnt lgkmcnt(0)
	v_add_u32_e32 v4, v187, v4
	ds_write_b32 v191, v4 offset:528
.LBB841_1034:                           ;   in Loop: Header=BB841_988 Depth=2
	s_or_b64 exec, exec, s[40:41]
	v_xor_b32_e32 v50, 0x80000000, v50
	v_lshrrev_b64 v[71:72], s88, v[49:50]
	v_and_b32_e32 v71, s98, v71
	v_mad_u32_u24 v4, v71, 20, v173
	; wave barrier
	ds_read_b32 v190, v4 offset:528
	v_and_b32_e32 v4, 1, v71
	v_add_co_u32_e32 v72, vcc, -1, v4
	v_addc_co_u32_e64 v192, s[6:7], 0, -1, vcc
	v_cmp_ne_u32_e32 vcc, 0, v4
	v_xor_b32_e32 v4, vcc_hi, v192
	v_and_b32_e32 v192, exec_hi, v4
	v_lshlrev_b32_e32 v4, 30, v71
	v_xor_b32_e32 v72, vcc_lo, v72
	v_cmp_gt_i64_e32 vcc, 0, v[3:4]
	v_not_b32_e32 v4, v4
	v_ashrrev_i32_e32 v4, 31, v4
	v_and_b32_e32 v72, exec_lo, v72
	v_xor_b32_e32 v194, vcc_hi, v4
	v_xor_b32_e32 v4, vcc_lo, v4
	v_and_b32_e32 v72, v72, v4
	v_lshlrev_b32_e32 v4, 29, v71
	v_cmp_gt_i64_e32 vcc, 0, v[3:4]
	v_not_b32_e32 v4, v4
	v_ashrrev_i32_e32 v4, 31, v4
	v_and_b32_e32 v192, v192, v194
	v_xor_b32_e32 v194, vcc_hi, v4
	v_xor_b32_e32 v4, vcc_lo, v4
	v_and_b32_e32 v72, v72, v4
	v_lshlrev_b32_e32 v4, 28, v71
	v_cmp_gt_i64_e32 vcc, 0, v[3:4]
	v_not_b32_e32 v4, v4
	v_ashrrev_i32_e32 v4, 31, v4
	v_and_b32_e32 v192, v192, v194
	;; [unrolled: 8-line block ×4, first 2 shown]
	v_xor_b32_e32 v194, vcc_hi, v4
	v_xor_b32_e32 v4, vcc_lo, v4
	v_and_b32_e32 v192, v192, v194
	v_and_b32_e32 v194, v72, v4
	v_lshlrev_b32_e32 v4, 25, v71
	v_cmp_gt_i64_e32 vcc, 0, v[3:4]
	v_not_b32_e32 v4, v4
	v_ashrrev_i32_e32 v4, 31, v4
	v_mul_u32_u24_e32 v193, 20, v71
	v_xor_b32_e32 v71, vcc_hi, v4
	v_xor_b32_e32 v4, vcc_lo, v4
	v_and_b32_e32 v72, v192, v71
	v_and_b32_e32 v71, v194, v4
	v_mbcnt_lo_u32_b32 v4, v71, 0
	v_mbcnt_hi_u32_b32 v192, v72, v4
	v_cmp_ne_u64_e32 vcc, 0, v[71:72]
	v_cmp_eq_u32_e64 s[40:41], 0, v192
	s_and_b64 s[6:7], vcc, s[40:41]
	v_add_u32_e32 v194, v173, v193
	; wave barrier
	s_and_saveexec_b64 s[40:41], s[6:7]
	s_cbranch_execz .LBB841_1036
; %bb.1035:                             ;   in Loop: Header=BB841_988 Depth=2
	v_bcnt_u32_b32 v4, v71, 0
	v_bcnt_u32_b32 v4, v72, v4
	s_waitcnt lgkmcnt(0)
	v_add_u32_e32 v4, v190, v4
	ds_write_b32 v194, v4 offset:528
.LBB841_1036:                           ;   in Loop: Header=BB841_988 Depth=2
	s_or_b64 exec, exec, s[40:41]
	v_xor_b32_e32 v52, 0x80000000, v52
	v_lshrrev_b64 v[71:72], s88, v[51:52]
	v_and_b32_e32 v71, s98, v71
	v_mad_u32_u24 v4, v71, 20, v173
	; wave barrier
	ds_read_b32 v193, v4 offset:528
	v_and_b32_e32 v4, 1, v71
	v_add_co_u32_e32 v72, vcc, -1, v4
	v_addc_co_u32_e64 v195, s[6:7], 0, -1, vcc
	v_cmp_ne_u32_e32 vcc, 0, v4
	v_xor_b32_e32 v4, vcc_hi, v195
	v_and_b32_e32 v195, exec_hi, v4
	v_lshlrev_b32_e32 v4, 30, v71
	v_xor_b32_e32 v72, vcc_lo, v72
	v_cmp_gt_i64_e32 vcc, 0, v[3:4]
	v_not_b32_e32 v4, v4
	v_ashrrev_i32_e32 v4, 31, v4
	v_and_b32_e32 v72, exec_lo, v72
	v_xor_b32_e32 v197, vcc_hi, v4
	v_xor_b32_e32 v4, vcc_lo, v4
	v_and_b32_e32 v72, v72, v4
	v_lshlrev_b32_e32 v4, 29, v71
	v_cmp_gt_i64_e32 vcc, 0, v[3:4]
	v_not_b32_e32 v4, v4
	v_ashrrev_i32_e32 v4, 31, v4
	v_and_b32_e32 v195, v195, v197
	v_xor_b32_e32 v197, vcc_hi, v4
	v_xor_b32_e32 v4, vcc_lo, v4
	v_and_b32_e32 v72, v72, v4
	v_lshlrev_b32_e32 v4, 28, v71
	v_cmp_gt_i64_e32 vcc, 0, v[3:4]
	v_not_b32_e32 v4, v4
	v_ashrrev_i32_e32 v4, 31, v4
	v_and_b32_e32 v195, v195, v197
	;; [unrolled: 8-line block ×4, first 2 shown]
	v_xor_b32_e32 v197, vcc_hi, v4
	v_xor_b32_e32 v4, vcc_lo, v4
	v_and_b32_e32 v195, v195, v197
	v_and_b32_e32 v197, v72, v4
	v_lshlrev_b32_e32 v4, 25, v71
	v_cmp_gt_i64_e32 vcc, 0, v[3:4]
	v_not_b32_e32 v4, v4
	v_ashrrev_i32_e32 v4, 31, v4
	v_mul_u32_u24_e32 v196, 20, v71
	v_xor_b32_e32 v71, vcc_hi, v4
	v_xor_b32_e32 v4, vcc_lo, v4
	v_and_b32_e32 v72, v195, v71
	v_and_b32_e32 v71, v197, v4
	v_mbcnt_lo_u32_b32 v4, v71, 0
	v_mbcnt_hi_u32_b32 v195, v72, v4
	v_cmp_ne_u64_e32 vcc, 0, v[71:72]
	v_cmp_eq_u32_e64 s[40:41], 0, v195
	s_and_b64 s[6:7], vcc, s[40:41]
	v_add_u32_e32 v197, v173, v196
	; wave barrier
	s_and_saveexec_b64 s[40:41], s[6:7]
	s_cbranch_execz .LBB841_1038
; %bb.1037:                             ;   in Loop: Header=BB841_988 Depth=2
	v_bcnt_u32_b32 v4, v71, 0
	v_bcnt_u32_b32 v4, v72, v4
	s_waitcnt lgkmcnt(0)
	v_add_u32_e32 v4, v193, v4
	ds_write_b32 v197, v4 offset:528
.LBB841_1038:                           ;   in Loop: Header=BB841_988 Depth=2
	s_or_b64 exec, exec, s[40:41]
	v_xor_b32_e32 v54, 0x80000000, v54
	v_lshrrev_b64 v[71:72], s88, v[53:54]
	v_and_b32_e32 v71, s98, v71
	v_mad_u32_u24 v4, v71, 20, v173
	; wave barrier
	ds_read_b32 v196, v4 offset:528
	v_and_b32_e32 v4, 1, v71
	v_add_co_u32_e32 v72, vcc, -1, v4
	v_addc_co_u32_e64 v198, s[6:7], 0, -1, vcc
	v_cmp_ne_u32_e32 vcc, 0, v4
	v_xor_b32_e32 v4, vcc_hi, v198
	v_and_b32_e32 v198, exec_hi, v4
	v_lshlrev_b32_e32 v4, 30, v71
	v_xor_b32_e32 v72, vcc_lo, v72
	v_cmp_gt_i64_e32 vcc, 0, v[3:4]
	v_not_b32_e32 v4, v4
	v_ashrrev_i32_e32 v4, 31, v4
	v_and_b32_e32 v72, exec_lo, v72
	v_xor_b32_e32 v200, vcc_hi, v4
	v_xor_b32_e32 v4, vcc_lo, v4
	v_and_b32_e32 v72, v72, v4
	v_lshlrev_b32_e32 v4, 29, v71
	v_cmp_gt_i64_e32 vcc, 0, v[3:4]
	v_not_b32_e32 v4, v4
	v_ashrrev_i32_e32 v4, 31, v4
	v_and_b32_e32 v198, v198, v200
	v_xor_b32_e32 v200, vcc_hi, v4
	v_xor_b32_e32 v4, vcc_lo, v4
	v_and_b32_e32 v72, v72, v4
	v_lshlrev_b32_e32 v4, 28, v71
	v_cmp_gt_i64_e32 vcc, 0, v[3:4]
	v_not_b32_e32 v4, v4
	v_ashrrev_i32_e32 v4, 31, v4
	v_and_b32_e32 v198, v198, v200
	;; [unrolled: 8-line block ×4, first 2 shown]
	v_xor_b32_e32 v200, vcc_hi, v4
	v_xor_b32_e32 v4, vcc_lo, v4
	v_and_b32_e32 v198, v198, v200
	v_and_b32_e32 v200, v72, v4
	v_lshlrev_b32_e32 v4, 25, v71
	v_cmp_gt_i64_e32 vcc, 0, v[3:4]
	v_not_b32_e32 v4, v4
	v_ashrrev_i32_e32 v4, 31, v4
	v_mul_u32_u24_e32 v199, 20, v71
	v_xor_b32_e32 v71, vcc_hi, v4
	v_xor_b32_e32 v4, vcc_lo, v4
	v_and_b32_e32 v72, v198, v71
	v_and_b32_e32 v71, v200, v4
	v_mbcnt_lo_u32_b32 v4, v71, 0
	v_mbcnt_hi_u32_b32 v198, v72, v4
	v_cmp_ne_u64_e32 vcc, 0, v[71:72]
	v_cmp_eq_u32_e64 s[40:41], 0, v198
	s_and_b64 s[6:7], vcc, s[40:41]
	v_add_u32_e32 v200, v173, v199
	; wave barrier
	s_and_saveexec_b64 s[40:41], s[6:7]
	s_cbranch_execz .LBB841_1040
; %bb.1039:                             ;   in Loop: Header=BB841_988 Depth=2
	v_bcnt_u32_b32 v4, v71, 0
	v_bcnt_u32_b32 v4, v72, v4
	s_waitcnt lgkmcnt(0)
	v_add_u32_e32 v4, v196, v4
	ds_write_b32 v200, v4 offset:528
.LBB841_1040:                           ;   in Loop: Header=BB841_988 Depth=2
	s_or_b64 exec, exec, s[40:41]
	v_xor_b32_e32 v56, 0x80000000, v56
	v_lshrrev_b64 v[71:72], s88, v[55:56]
	v_and_b32_e32 v71, s98, v71
	v_mad_u32_u24 v4, v71, 20, v173
	; wave barrier
	ds_read_b32 v199, v4 offset:528
	v_and_b32_e32 v4, 1, v71
	v_add_co_u32_e32 v72, vcc, -1, v4
	v_addc_co_u32_e64 v201, s[6:7], 0, -1, vcc
	v_cmp_ne_u32_e32 vcc, 0, v4
	v_xor_b32_e32 v4, vcc_hi, v201
	v_and_b32_e32 v201, exec_hi, v4
	v_lshlrev_b32_e32 v4, 30, v71
	v_xor_b32_e32 v72, vcc_lo, v72
	v_cmp_gt_i64_e32 vcc, 0, v[3:4]
	v_not_b32_e32 v4, v4
	v_ashrrev_i32_e32 v4, 31, v4
	v_and_b32_e32 v72, exec_lo, v72
	v_xor_b32_e32 v203, vcc_hi, v4
	v_xor_b32_e32 v4, vcc_lo, v4
	v_and_b32_e32 v72, v72, v4
	v_lshlrev_b32_e32 v4, 29, v71
	v_cmp_gt_i64_e32 vcc, 0, v[3:4]
	v_not_b32_e32 v4, v4
	v_ashrrev_i32_e32 v4, 31, v4
	v_and_b32_e32 v201, v201, v203
	v_xor_b32_e32 v203, vcc_hi, v4
	v_xor_b32_e32 v4, vcc_lo, v4
	v_and_b32_e32 v72, v72, v4
	v_lshlrev_b32_e32 v4, 28, v71
	v_cmp_gt_i64_e32 vcc, 0, v[3:4]
	v_not_b32_e32 v4, v4
	v_ashrrev_i32_e32 v4, 31, v4
	v_and_b32_e32 v201, v201, v203
	;; [unrolled: 8-line block ×4, first 2 shown]
	v_xor_b32_e32 v203, vcc_hi, v4
	v_xor_b32_e32 v4, vcc_lo, v4
	v_and_b32_e32 v201, v201, v203
	v_and_b32_e32 v203, v72, v4
	v_lshlrev_b32_e32 v4, 25, v71
	v_cmp_gt_i64_e32 vcc, 0, v[3:4]
	v_not_b32_e32 v4, v4
	v_ashrrev_i32_e32 v4, 31, v4
	v_mul_u32_u24_e32 v202, 20, v71
	v_xor_b32_e32 v71, vcc_hi, v4
	v_xor_b32_e32 v4, vcc_lo, v4
	v_and_b32_e32 v72, v201, v71
	v_and_b32_e32 v71, v203, v4
	v_mbcnt_lo_u32_b32 v4, v71, 0
	v_mbcnt_hi_u32_b32 v201, v72, v4
	v_cmp_ne_u64_e32 vcc, 0, v[71:72]
	v_cmp_eq_u32_e64 s[40:41], 0, v201
	s_and_b64 s[6:7], vcc, s[40:41]
	v_add_u32_e32 v203, v173, v202
	; wave barrier
	s_and_saveexec_b64 s[40:41], s[6:7]
	s_cbranch_execz .LBB841_1042
; %bb.1041:                             ;   in Loop: Header=BB841_988 Depth=2
	v_bcnt_u32_b32 v4, v71, 0
	v_bcnt_u32_b32 v4, v72, v4
	s_waitcnt lgkmcnt(0)
	v_add_u32_e32 v4, v199, v4
	ds_write_b32 v203, v4 offset:528
.LBB841_1042:                           ;   in Loop: Header=BB841_988 Depth=2
	s_or_b64 exec, exec, s[40:41]
	v_xor_b32_e32 v58, 0x80000000, v58
	v_lshrrev_b64 v[71:72], s88, v[57:58]
	v_and_b32_e32 v71, s98, v71
	v_mad_u32_u24 v4, v71, 20, v173
	; wave barrier
	ds_read_b32 v202, v4 offset:528
	v_and_b32_e32 v4, 1, v71
	v_add_co_u32_e32 v72, vcc, -1, v4
	v_addc_co_u32_e64 v204, s[6:7], 0, -1, vcc
	v_cmp_ne_u32_e32 vcc, 0, v4
	v_xor_b32_e32 v4, vcc_hi, v204
	v_and_b32_e32 v204, exec_hi, v4
	v_lshlrev_b32_e32 v4, 30, v71
	v_xor_b32_e32 v72, vcc_lo, v72
	v_cmp_gt_i64_e32 vcc, 0, v[3:4]
	v_not_b32_e32 v4, v4
	v_ashrrev_i32_e32 v4, 31, v4
	v_and_b32_e32 v72, exec_lo, v72
	v_xor_b32_e32 v206, vcc_hi, v4
	v_xor_b32_e32 v4, vcc_lo, v4
	v_and_b32_e32 v72, v72, v4
	v_lshlrev_b32_e32 v4, 29, v71
	v_cmp_gt_i64_e32 vcc, 0, v[3:4]
	v_not_b32_e32 v4, v4
	v_ashrrev_i32_e32 v4, 31, v4
	v_and_b32_e32 v204, v204, v206
	v_xor_b32_e32 v206, vcc_hi, v4
	v_xor_b32_e32 v4, vcc_lo, v4
	v_and_b32_e32 v72, v72, v4
	v_lshlrev_b32_e32 v4, 28, v71
	v_cmp_gt_i64_e32 vcc, 0, v[3:4]
	v_not_b32_e32 v4, v4
	v_ashrrev_i32_e32 v4, 31, v4
	v_and_b32_e32 v204, v204, v206
	;; [unrolled: 8-line block ×4, first 2 shown]
	v_xor_b32_e32 v206, vcc_hi, v4
	v_xor_b32_e32 v4, vcc_lo, v4
	v_and_b32_e32 v204, v204, v206
	v_and_b32_e32 v206, v72, v4
	v_lshlrev_b32_e32 v4, 25, v71
	v_cmp_gt_i64_e32 vcc, 0, v[3:4]
	v_not_b32_e32 v4, v4
	v_ashrrev_i32_e32 v4, 31, v4
	v_mul_u32_u24_e32 v205, 20, v71
	v_xor_b32_e32 v71, vcc_hi, v4
	v_xor_b32_e32 v4, vcc_lo, v4
	v_and_b32_e32 v72, v204, v71
	v_and_b32_e32 v71, v206, v4
	v_mbcnt_lo_u32_b32 v4, v71, 0
	v_mbcnt_hi_u32_b32 v204, v72, v4
	v_cmp_ne_u64_e32 vcc, 0, v[71:72]
	v_cmp_eq_u32_e64 s[40:41], 0, v204
	s_and_b64 s[6:7], vcc, s[40:41]
	v_add_u32_e32 v207, v173, v205
	; wave barrier
	s_and_saveexec_b64 s[40:41], s[6:7]
	s_cbranch_execz .LBB841_1044
; %bb.1043:                             ;   in Loop: Header=BB841_988 Depth=2
	v_bcnt_u32_b32 v4, v71, 0
	v_bcnt_u32_b32 v4, v72, v4
	s_waitcnt lgkmcnt(0)
	v_add_u32_e32 v4, v202, v4
	ds_write_b32 v207, v4 offset:528
.LBB841_1044:                           ;   in Loop: Header=BB841_988 Depth=2
	s_or_b64 exec, exec, s[40:41]
	v_xor_b32_e32 v60, 0x80000000, v60
	v_lshrrev_b64 v[71:72], s88, v[59:60]
	v_and_b32_e32 v71, s98, v71
	v_mad_u32_u24 v4, v71, 20, v173
	; wave barrier
	ds_read_b32 v205, v4 offset:528
	v_and_b32_e32 v4, 1, v71
	v_add_co_u32_e32 v72, vcc, -1, v4
	v_addc_co_u32_e64 v206, s[6:7], 0, -1, vcc
	v_cmp_ne_u32_e32 vcc, 0, v4
	v_xor_b32_e32 v4, vcc_hi, v206
	v_and_b32_e32 v206, exec_hi, v4
	v_lshlrev_b32_e32 v4, 30, v71
	v_xor_b32_e32 v72, vcc_lo, v72
	v_cmp_gt_i64_e32 vcc, 0, v[3:4]
	v_not_b32_e32 v4, v4
	v_ashrrev_i32_e32 v4, 31, v4
	v_and_b32_e32 v72, exec_lo, v72
	v_xor_b32_e32 v209, vcc_hi, v4
	v_xor_b32_e32 v4, vcc_lo, v4
	v_and_b32_e32 v72, v72, v4
	v_lshlrev_b32_e32 v4, 29, v71
	v_cmp_gt_i64_e32 vcc, 0, v[3:4]
	v_not_b32_e32 v4, v4
	v_ashrrev_i32_e32 v4, 31, v4
	v_and_b32_e32 v206, v206, v209
	v_xor_b32_e32 v209, vcc_hi, v4
	v_xor_b32_e32 v4, vcc_lo, v4
	v_and_b32_e32 v72, v72, v4
	v_lshlrev_b32_e32 v4, 28, v71
	v_cmp_gt_i64_e32 vcc, 0, v[3:4]
	v_not_b32_e32 v4, v4
	v_ashrrev_i32_e32 v4, 31, v4
	v_and_b32_e32 v206, v206, v209
	;; [unrolled: 8-line block ×4, first 2 shown]
	v_xor_b32_e32 v209, vcc_hi, v4
	v_xor_b32_e32 v4, vcc_lo, v4
	v_and_b32_e32 v206, v206, v209
	v_and_b32_e32 v209, v72, v4
	v_lshlrev_b32_e32 v4, 25, v71
	v_cmp_gt_i64_e32 vcc, 0, v[3:4]
	v_not_b32_e32 v4, v4
	v_ashrrev_i32_e32 v4, 31, v4
	v_mul_u32_u24_e32 v208, 20, v71
	v_xor_b32_e32 v71, vcc_hi, v4
	v_xor_b32_e32 v4, vcc_lo, v4
	v_and_b32_e32 v72, v206, v71
	v_and_b32_e32 v71, v209, v4
	v_mbcnt_lo_u32_b32 v4, v71, 0
	v_mbcnt_hi_u32_b32 v206, v72, v4
	v_cmp_ne_u64_e32 vcc, 0, v[71:72]
	v_cmp_eq_u32_e64 s[40:41], 0, v206
	s_and_b64 s[6:7], vcc, s[40:41]
	v_add_u32_e32 v210, v173, v208
	; wave barrier
	s_and_saveexec_b64 s[40:41], s[6:7]
	s_cbranch_execz .LBB841_1046
; %bb.1045:                             ;   in Loop: Header=BB841_988 Depth=2
	v_bcnt_u32_b32 v4, v71, 0
	v_bcnt_u32_b32 v4, v72, v4
	s_waitcnt lgkmcnt(0)
	v_add_u32_e32 v4, v205, v4
	ds_write_b32 v210, v4 offset:528
.LBB841_1046:                           ;   in Loop: Header=BB841_988 Depth=2
	s_or_b64 exec, exec, s[40:41]
	v_xor_b32_e32 v62, 0x80000000, v62
	v_lshrrev_b64 v[71:72], s88, v[61:62]
	v_and_b32_e32 v71, s98, v71
	v_mad_u32_u24 v4, v71, 20, v173
	; wave barrier
	ds_read_b32 v208, v4 offset:528
	v_and_b32_e32 v4, 1, v71
	v_add_co_u32_e32 v72, vcc, -1, v4
	v_addc_co_u32_e64 v209, s[6:7], 0, -1, vcc
	v_cmp_ne_u32_e32 vcc, 0, v4
	v_xor_b32_e32 v4, vcc_hi, v209
	v_and_b32_e32 v209, exec_hi, v4
	v_lshlrev_b32_e32 v4, 30, v71
	v_xor_b32_e32 v72, vcc_lo, v72
	v_cmp_gt_i64_e32 vcc, 0, v[3:4]
	v_not_b32_e32 v4, v4
	v_ashrrev_i32_e32 v4, 31, v4
	v_and_b32_e32 v72, exec_lo, v72
	v_xor_b32_e32 v212, vcc_hi, v4
	v_xor_b32_e32 v4, vcc_lo, v4
	v_and_b32_e32 v72, v72, v4
	v_lshlrev_b32_e32 v4, 29, v71
	v_cmp_gt_i64_e32 vcc, 0, v[3:4]
	v_not_b32_e32 v4, v4
	v_ashrrev_i32_e32 v4, 31, v4
	v_and_b32_e32 v209, v209, v212
	v_xor_b32_e32 v212, vcc_hi, v4
	v_xor_b32_e32 v4, vcc_lo, v4
	v_and_b32_e32 v72, v72, v4
	v_lshlrev_b32_e32 v4, 28, v71
	v_cmp_gt_i64_e32 vcc, 0, v[3:4]
	v_not_b32_e32 v4, v4
	v_ashrrev_i32_e32 v4, 31, v4
	v_and_b32_e32 v209, v209, v212
	v_xor_b32_e32 v212, vcc_hi, v4
	v_xor_b32_e32 v4, vcc_lo, v4
	v_and_b32_e32 v72, v72, v4
	v_lshlrev_b32_e32 v4, 27, v71
	v_cmp_gt_i64_e32 vcc, 0, v[3:4]
	v_not_b32_e32 v4, v4
	v_ashrrev_i32_e32 v4, 31, v4
	v_and_b32_e32 v209, v209, v212
	v_xor_b32_e32 v212, vcc_hi, v4
	v_xor_b32_e32 v4, vcc_lo, v4
	v_and_b32_e32 v72, v72, v4
	v_lshlrev_b32_e32 v4, 26, v71
	v_cmp_gt_i64_e32 vcc, 0, v[3:4]
	v_not_b32_e32 v4, v4
	v_ashrrev_i32_e32 v4, 31, v4
	v_and_b32_e32 v209, v209, v212
	v_xor_b32_e32 v212, vcc_hi, v4
	v_xor_b32_e32 v4, vcc_lo, v4
	v_and_b32_e32 v209, v209, v212
	v_and_b32_e32 v212, v72, v4
	v_lshlrev_b32_e32 v4, 25, v71
	v_cmp_gt_i64_e32 vcc, 0, v[3:4]
	v_not_b32_e32 v4, v4
	v_ashrrev_i32_e32 v4, 31, v4
	v_mul_u32_u24_e32 v211, 20, v71
	v_xor_b32_e32 v71, vcc_hi, v4
	v_xor_b32_e32 v4, vcc_lo, v4
	v_and_b32_e32 v72, v209, v71
	v_and_b32_e32 v71, v212, v4
	v_mbcnt_lo_u32_b32 v4, v71, 0
	v_mbcnt_hi_u32_b32 v209, v72, v4
	v_cmp_ne_u64_e32 vcc, 0, v[71:72]
	v_cmp_eq_u32_e64 s[40:41], 0, v209
	s_and_b64 s[6:7], vcc, s[40:41]
	v_add_u32_e32 v213, v173, v211
	; wave barrier
	s_and_saveexec_b64 s[40:41], s[6:7]
	s_cbranch_execz .LBB841_1048
; %bb.1047:                             ;   in Loop: Header=BB841_988 Depth=2
	v_bcnt_u32_b32 v4, v71, 0
	v_bcnt_u32_b32 v4, v72, v4
	s_waitcnt lgkmcnt(0)
	v_add_u32_e32 v4, v208, v4
	ds_write_b32 v213, v4 offset:528
.LBB841_1048:                           ;   in Loop: Header=BB841_988 Depth=2
	s_or_b64 exec, exec, s[40:41]
	v_xor_b32_e32 v64, 0x80000000, v64
	v_lshrrev_b64 v[71:72], s88, v[63:64]
	v_and_b32_e32 v71, s98, v71
	v_mad_u32_u24 v4, v71, 20, v173
	; wave barrier
	ds_read_b32 v211, v4 offset:528
	v_and_b32_e32 v4, 1, v71
	v_add_co_u32_e32 v72, vcc, -1, v4
	v_addc_co_u32_e64 v212, s[6:7], 0, -1, vcc
	v_cmp_ne_u32_e32 vcc, 0, v4
	v_xor_b32_e32 v4, vcc_hi, v212
	v_and_b32_e32 v212, exec_hi, v4
	v_lshlrev_b32_e32 v4, 30, v71
	v_xor_b32_e32 v72, vcc_lo, v72
	v_cmp_gt_i64_e32 vcc, 0, v[3:4]
	v_not_b32_e32 v4, v4
	v_ashrrev_i32_e32 v4, 31, v4
	v_and_b32_e32 v72, exec_lo, v72
	v_xor_b32_e32 v215, vcc_hi, v4
	v_xor_b32_e32 v4, vcc_lo, v4
	v_and_b32_e32 v72, v72, v4
	v_lshlrev_b32_e32 v4, 29, v71
	v_cmp_gt_i64_e32 vcc, 0, v[3:4]
	v_not_b32_e32 v4, v4
	v_ashrrev_i32_e32 v4, 31, v4
	v_and_b32_e32 v212, v212, v215
	v_xor_b32_e32 v215, vcc_hi, v4
	v_xor_b32_e32 v4, vcc_lo, v4
	v_and_b32_e32 v72, v72, v4
	v_lshlrev_b32_e32 v4, 28, v71
	v_cmp_gt_i64_e32 vcc, 0, v[3:4]
	v_not_b32_e32 v4, v4
	v_ashrrev_i32_e32 v4, 31, v4
	v_and_b32_e32 v212, v212, v215
	;; [unrolled: 8-line block ×4, first 2 shown]
	v_xor_b32_e32 v215, vcc_hi, v4
	v_xor_b32_e32 v4, vcc_lo, v4
	v_and_b32_e32 v212, v212, v215
	v_and_b32_e32 v215, v72, v4
	v_lshlrev_b32_e32 v4, 25, v71
	v_cmp_gt_i64_e32 vcc, 0, v[3:4]
	v_not_b32_e32 v4, v4
	v_ashrrev_i32_e32 v4, 31, v4
	v_mul_u32_u24_e32 v214, 20, v71
	v_xor_b32_e32 v71, vcc_hi, v4
	v_xor_b32_e32 v4, vcc_lo, v4
	v_and_b32_e32 v72, v212, v71
	v_and_b32_e32 v71, v215, v4
	v_mbcnt_lo_u32_b32 v4, v71, 0
	v_mbcnt_hi_u32_b32 v212, v72, v4
	v_cmp_ne_u64_e32 vcc, 0, v[71:72]
	v_cmp_eq_u32_e64 s[40:41], 0, v212
	s_and_b64 s[6:7], vcc, s[40:41]
	v_add_u32_e32 v216, v173, v214
	; wave barrier
	s_and_saveexec_b64 s[40:41], s[6:7]
	s_cbranch_execz .LBB841_1050
; %bb.1049:                             ;   in Loop: Header=BB841_988 Depth=2
	v_bcnt_u32_b32 v4, v71, 0
	v_bcnt_u32_b32 v4, v72, v4
	s_waitcnt lgkmcnt(0)
	v_add_u32_e32 v4, v211, v4
	ds_write_b32 v216, v4 offset:528
.LBB841_1050:                           ;   in Loop: Header=BB841_988 Depth=2
	s_or_b64 exec, exec, s[40:41]
	v_xor_b32_e32 v66, 0x80000000, v66
	v_lshrrev_b64 v[71:72], s88, v[65:66]
	v_and_b32_e32 v71, s98, v71
	v_mad_u32_u24 v4, v71, 20, v173
	; wave barrier
	ds_read_b32 v214, v4 offset:528
	v_and_b32_e32 v4, 1, v71
	v_add_co_u32_e32 v72, vcc, -1, v4
	v_addc_co_u32_e64 v215, s[6:7], 0, -1, vcc
	v_cmp_ne_u32_e32 vcc, 0, v4
	v_xor_b32_e32 v4, vcc_hi, v215
	v_and_b32_e32 v215, exec_hi, v4
	v_lshlrev_b32_e32 v4, 30, v71
	v_xor_b32_e32 v72, vcc_lo, v72
	v_cmp_gt_i64_e32 vcc, 0, v[3:4]
	v_not_b32_e32 v4, v4
	v_ashrrev_i32_e32 v4, 31, v4
	v_and_b32_e32 v72, exec_lo, v72
	v_xor_b32_e32 v218, vcc_hi, v4
	v_xor_b32_e32 v4, vcc_lo, v4
	v_and_b32_e32 v72, v72, v4
	v_lshlrev_b32_e32 v4, 29, v71
	v_cmp_gt_i64_e32 vcc, 0, v[3:4]
	v_not_b32_e32 v4, v4
	v_ashrrev_i32_e32 v4, 31, v4
	v_and_b32_e32 v215, v215, v218
	v_xor_b32_e32 v218, vcc_hi, v4
	v_xor_b32_e32 v4, vcc_lo, v4
	v_and_b32_e32 v72, v72, v4
	v_lshlrev_b32_e32 v4, 28, v71
	v_cmp_gt_i64_e32 vcc, 0, v[3:4]
	v_not_b32_e32 v4, v4
	v_ashrrev_i32_e32 v4, 31, v4
	v_and_b32_e32 v215, v215, v218
	;; [unrolled: 8-line block ×4, first 2 shown]
	v_xor_b32_e32 v218, vcc_hi, v4
	v_xor_b32_e32 v4, vcc_lo, v4
	v_and_b32_e32 v215, v215, v218
	v_and_b32_e32 v218, v72, v4
	v_lshlrev_b32_e32 v4, 25, v71
	v_cmp_gt_i64_e32 vcc, 0, v[3:4]
	v_not_b32_e32 v4, v4
	v_ashrrev_i32_e32 v4, 31, v4
	v_mul_u32_u24_e32 v217, 20, v71
	v_xor_b32_e32 v71, vcc_hi, v4
	v_xor_b32_e32 v4, vcc_lo, v4
	v_and_b32_e32 v72, v215, v71
	v_and_b32_e32 v71, v218, v4
	v_mbcnt_lo_u32_b32 v4, v71, 0
	v_mbcnt_hi_u32_b32 v215, v72, v4
	v_cmp_ne_u64_e32 vcc, 0, v[71:72]
	v_cmp_eq_u32_e64 s[40:41], 0, v215
	s_and_b64 s[6:7], vcc, s[40:41]
	v_add_u32_e32 v219, v173, v217
	; wave barrier
	s_and_saveexec_b64 s[40:41], s[6:7]
	s_cbranch_execz .LBB841_1052
; %bb.1051:                             ;   in Loop: Header=BB841_988 Depth=2
	v_bcnt_u32_b32 v4, v71, 0
	v_bcnt_u32_b32 v4, v72, v4
	s_waitcnt lgkmcnt(0)
	v_add_u32_e32 v4, v214, v4
	ds_write_b32 v219, v4 offset:528
.LBB841_1052:                           ;   in Loop: Header=BB841_988 Depth=2
	s_or_b64 exec, exec, s[40:41]
	v_xor_b32_e32 v68, 0x80000000, v68
	v_lshrrev_b64 v[71:72], s88, v[67:68]
	v_and_b32_e32 v71, s98, v71
	v_mad_u32_u24 v4, v71, 20, v173
	; wave barrier
	ds_read_b32 v217, v4 offset:528
	v_and_b32_e32 v4, 1, v71
	v_add_co_u32_e32 v72, vcc, -1, v4
	v_addc_co_u32_e64 v218, s[6:7], 0, -1, vcc
	v_cmp_ne_u32_e32 vcc, 0, v4
	v_xor_b32_e32 v4, vcc_hi, v218
	v_and_b32_e32 v218, exec_hi, v4
	v_lshlrev_b32_e32 v4, 30, v71
	v_xor_b32_e32 v72, vcc_lo, v72
	v_cmp_gt_i64_e32 vcc, 0, v[3:4]
	v_not_b32_e32 v4, v4
	v_ashrrev_i32_e32 v4, 31, v4
	v_and_b32_e32 v72, exec_lo, v72
	v_xor_b32_e32 v221, vcc_hi, v4
	v_xor_b32_e32 v4, vcc_lo, v4
	v_and_b32_e32 v72, v72, v4
	v_lshlrev_b32_e32 v4, 29, v71
	v_cmp_gt_i64_e32 vcc, 0, v[3:4]
	v_not_b32_e32 v4, v4
	v_ashrrev_i32_e32 v4, 31, v4
	v_and_b32_e32 v218, v218, v221
	v_xor_b32_e32 v221, vcc_hi, v4
	v_xor_b32_e32 v4, vcc_lo, v4
	v_and_b32_e32 v72, v72, v4
	v_lshlrev_b32_e32 v4, 28, v71
	v_cmp_gt_i64_e32 vcc, 0, v[3:4]
	v_not_b32_e32 v4, v4
	v_ashrrev_i32_e32 v4, 31, v4
	v_and_b32_e32 v218, v218, v221
	;; [unrolled: 8-line block ×4, first 2 shown]
	v_xor_b32_e32 v221, vcc_hi, v4
	v_xor_b32_e32 v4, vcc_lo, v4
	v_and_b32_e32 v218, v218, v221
	v_and_b32_e32 v221, v72, v4
	v_lshlrev_b32_e32 v4, 25, v71
	v_cmp_gt_i64_e32 vcc, 0, v[3:4]
	v_not_b32_e32 v4, v4
	v_ashrrev_i32_e32 v4, 31, v4
	v_mul_u32_u24_e32 v220, 20, v71
	v_xor_b32_e32 v71, vcc_hi, v4
	v_xor_b32_e32 v4, vcc_lo, v4
	v_and_b32_e32 v72, v218, v71
	v_and_b32_e32 v71, v221, v4
	v_mbcnt_lo_u32_b32 v4, v71, 0
	v_mbcnt_hi_u32_b32 v218, v72, v4
	v_cmp_ne_u64_e32 vcc, 0, v[71:72]
	v_cmp_eq_u32_e64 s[40:41], 0, v218
	s_and_b64 s[6:7], vcc, s[40:41]
	v_add_u32_e32 v222, v173, v220
	; wave barrier
	s_and_saveexec_b64 s[40:41], s[6:7]
	s_cbranch_execz .LBB841_1054
; %bb.1053:                             ;   in Loop: Header=BB841_988 Depth=2
	v_bcnt_u32_b32 v4, v71, 0
	v_bcnt_u32_b32 v4, v72, v4
	s_waitcnt lgkmcnt(0)
	v_add_u32_e32 v4, v217, v4
	ds_write_b32 v222, v4 offset:528
.LBB841_1054:                           ;   in Loop: Header=BB841_988 Depth=2
	s_or_b64 exec, exec, s[40:41]
	v_lshrrev_b64 v[71:72], s88, v[69:70]
	v_and_b32_e32 v71, s98, v71
	v_mad_u32_u24 v4, v71, 20, v173
	; wave barrier
	ds_read_b32 v220, v4 offset:528
	v_and_b32_e32 v4, 1, v71
	v_add_co_u32_e32 v72, vcc, -1, v4
	v_addc_co_u32_e64 v221, s[6:7], 0, -1, vcc
	v_cmp_ne_u32_e32 vcc, 0, v4
	v_xor_b32_e32 v4, vcc_hi, v221
	v_and_b32_e32 v221, exec_hi, v4
	v_lshlrev_b32_e32 v4, 30, v71
	v_xor_b32_e32 v72, vcc_lo, v72
	v_cmp_gt_i64_e32 vcc, 0, v[3:4]
	v_not_b32_e32 v4, v4
	v_ashrrev_i32_e32 v4, 31, v4
	v_and_b32_e32 v72, exec_lo, v72
	v_xor_b32_e32 v224, vcc_hi, v4
	v_xor_b32_e32 v4, vcc_lo, v4
	v_and_b32_e32 v72, v72, v4
	v_lshlrev_b32_e32 v4, 29, v71
	v_cmp_gt_i64_e32 vcc, 0, v[3:4]
	v_not_b32_e32 v4, v4
	v_ashrrev_i32_e32 v4, 31, v4
	v_and_b32_e32 v221, v221, v224
	v_xor_b32_e32 v224, vcc_hi, v4
	v_xor_b32_e32 v4, vcc_lo, v4
	v_and_b32_e32 v72, v72, v4
	v_lshlrev_b32_e32 v4, 28, v71
	v_cmp_gt_i64_e32 vcc, 0, v[3:4]
	v_not_b32_e32 v4, v4
	v_ashrrev_i32_e32 v4, 31, v4
	v_and_b32_e32 v221, v221, v224
	;; [unrolled: 8-line block ×4, first 2 shown]
	v_xor_b32_e32 v224, vcc_hi, v4
	v_xor_b32_e32 v4, vcc_lo, v4
	v_and_b32_e32 v221, v221, v224
	v_and_b32_e32 v224, v72, v4
	v_lshlrev_b32_e32 v4, 25, v71
	v_cmp_gt_i64_e32 vcc, 0, v[3:4]
	v_not_b32_e32 v4, v4
	v_ashrrev_i32_e32 v4, 31, v4
	v_mul_u32_u24_e32 v223, 20, v71
	v_xor_b32_e32 v71, vcc_hi, v4
	v_xor_b32_e32 v4, vcc_lo, v4
	v_and_b32_e32 v72, v221, v71
	v_and_b32_e32 v71, v224, v4
	v_mbcnt_lo_u32_b32 v4, v71, 0
	v_mbcnt_hi_u32_b32 v221, v72, v4
	v_cmp_ne_u64_e32 vcc, 0, v[71:72]
	v_cmp_eq_u32_e64 s[40:41], 0, v221
	s_and_b64 s[6:7], vcc, s[40:41]
	v_add_u32_e32 v4, v173, v223
	; wave barrier
	s_and_saveexec_b64 s[40:41], s[6:7]
	s_cbranch_execz .LBB841_1056
; %bb.1055:                             ;   in Loop: Header=BB841_988 Depth=2
	v_bcnt_u32_b32 v71, v71, 0
	v_bcnt_u32_b32 v71, v72, v71
	s_waitcnt lgkmcnt(0)
	v_add_u32_e32 v71, v220, v71
	ds_write_b32 v4, v71 offset:528
.LBB841_1056:                           ;   in Loop: Header=BB841_988 Depth=2
	s_or_b64 exec, exec, s[40:41]
	; wave barrier
	s_waitcnt lgkmcnt(0)
	s_barrier
	ds_read2_b32 v[71:72], v92 offset0:132 offset1:133
	ds_read_b32 v223, v92 offset:536
	s_waitcnt lgkmcnt(0)
	v_add3_u32 v223, v72, v71, v223
	s_nop 1
	v_mov_b32_dpp v224, v223 row_shr:1 row_mask:0xf bank_mask:0xf
	v_cndmask_b32_e64 v224, v224, 0, s[20:21]
	v_add_u32_e32 v223, v224, v223
	s_nop 1
	v_mov_b32_dpp v224, v223 row_shr:2 row_mask:0xf bank_mask:0xf
	v_cndmask_b32_e64 v224, 0, v224, s[22:23]
	v_add_u32_e32 v223, v223, v224
	;; [unrolled: 4-line block ×4, first 2 shown]
	s_nop 1
	v_mov_b32_dpp v224, v223 row_bcast:15 row_mask:0xf bank_mask:0xf
	v_cndmask_b32_e64 v224, v224, 0, s[28:29]
	v_add_u32_e32 v223, v223, v224
	s_nop 1
	v_mov_b32_dpp v224, v223 row_bcast:31 row_mask:0xf bank_mask:0xf
	v_cndmask_b32_e64 v224, 0, v224, s[30:31]
	v_add_u32_e32 v223, v223, v224
	s_and_saveexec_b64 s[40:41], s[12:13]
; %bb.1057:                             ;   in Loop: Header=BB841_988 Depth=2
	ds_write_b32 v94, v223 offset:512
; %bb.1058:                             ;   in Loop: Header=BB841_988 Depth=2
	s_or_b64 exec, exec, s[40:41]
	s_waitcnt lgkmcnt(0)
	s_barrier
	s_and_saveexec_b64 s[40:41], s[14:15]
	s_cbranch_execz .LBB841_1060
; %bb.1059:                             ;   in Loop: Header=BB841_988 Depth=2
	ds_read_b32 v224, v99 offset:512
	s_waitcnt lgkmcnt(0)
	s_nop 0
	v_mov_b32_dpp v225, v224 row_shr:1 row_mask:0xf bank_mask:0xf
	v_cndmask_b32_e64 v225, v225, 0, s[36:37]
	v_add_u32_e32 v224, v225, v224
	s_nop 1
	v_mov_b32_dpp v225, v224 row_shr:2 row_mask:0xf bank_mask:0xf
	v_cndmask_b32_e64 v225, 0, v225, s[38:39]
	v_add_u32_e32 v224, v224, v225
	ds_write_b32 v99, v224 offset:512
.LBB841_1060:                           ;   in Loop: Header=BB841_988 Depth=2
	s_or_b64 exec, exec, s[40:41]
	v_mov_b32_e32 v224, 0
	s_waitcnt lgkmcnt(0)
	s_barrier
	s_and_saveexec_b64 s[40:41], s[10:11]
; %bb.1061:                             ;   in Loop: Header=BB841_988 Depth=2
	ds_read_b32 v224, v94 offset:508
; %bb.1062:                             ;   in Loop: Header=BB841_988 Depth=2
	s_or_b64 exec, exec, s[40:41]
	s_waitcnt lgkmcnt(0)
	v_add_u32_e32 v223, v224, v223
	ds_bpermute_b32 v223, v136, v223
	s_waitcnt lgkmcnt(0)
	v_cndmask_b32_e64 v223, v223, v224, s[34:35]
	v_cndmask_b32_e64 v223, v223, 0, s[16:17]
	v_add_u32_e32 v71, v223, v71
	v_add_u32_e32 v72, v71, v72
	ds_write2_b32 v92, v223, v71 offset0:132 offset1:133
	ds_write_b32 v92, v72 offset:536
	s_waitcnt lgkmcnt(0)
	s_barrier
	ds_read_b32 v229, v179 offset:528
	ds_read_b32 v228, v182 offset:528
	;; [unrolled: 1-line block ×16, first 2 shown]
	s_and_saveexec_b64 s[40:41], s[4:5]
	s_cbranch_execz .LBB841_1066
; %bb.1063:                             ;   in Loop: Header=BB841_988 Depth=2
	ds_read_b32 v174, v101 offset:528
	v_mov_b32_e32 v4, 0x1000
	s_and_saveexec_b64 s[42:43], s[18:19]
; %bb.1064:                             ;   in Loop: Header=BB841_988 Depth=2
	ds_read_b32 v4, v100 offset:528
; %bb.1065:                             ;   in Loop: Header=BB841_988 Depth=2
	s_or_b64 exec, exec, s[42:43]
	s_waitcnt lgkmcnt(0)
	v_sub_u32_e32 v175, v4, v174
.LBB841_1066:                           ;   in Loop: Header=BB841_988 Depth=2
	s_or_b64 exec, exec, s[40:41]
	s_waitcnt lgkmcnt(0)
	s_barrier
	s_and_saveexec_b64 s[40:41], s[4:5]
	s_cbranch_execz .LBB841_1068
; %bb.1067:                             ;   in Loop: Header=BB841_988 Depth=2
	ds_read_b32 v4, v73
	s_waitcnt lgkmcnt(0)
	v_sub_u32_e32 v4, v4, v174
	ds_write_b32 v73, v4
.LBB841_1068:                           ;   in Loop: Header=BB841_988 Depth=2
	s_or_b64 exec, exec, s[40:41]
	v_lshlrev_b32_e32 v4, 3, v177
	v_lshl_add_u32 v4, v229, 3, v4
	ds_write_b64 v4, v[41:42] offset:512
	v_lshlrev_b32_e32 v41, 3, v180
	v_lshlrev_b32_e32 v42, 3, v178
	v_lshlrev_b32_e32 v177, 3, v228
	v_add3_u32 v41, v41, v42, v177
	ds_write_b64 v41, v[39:40] offset:512
	v_lshlrev_b32_e32 v39, 3, v183
	v_lshlrev_b32_e32 v40, 3, v181
	v_lshlrev_b32_e32 v42, 3, v227
	v_add3_u32 v42, v39, v40, v42
	;; [unrolled: 5-line block ×3, first 2 shown]
	v_lshlrev_b32_e32 v39, 3, v189
	v_lshlrev_b32_e32 v40, 3, v187
	v_lshlrev_b32_e32 v44, 3, v225
	ds_write_b64 v43, v[45:46] offset:512
	v_add3_u32 v44, v39, v40, v44
	v_lshlrev_b32_e32 v39, 3, v192
	v_lshlrev_b32_e32 v40, 3, v190
	v_lshlrev_b32_e32 v45, 3, v224
	v_add3_u32 v45, v39, v40, v45
	v_lshlrev_b32_e32 v39, 3, v195
	v_lshlrev_b32_e32 v40, 3, v193
	v_lshlrev_b32_e32 v46, 3, v223
	ds_write_b64 v44, v[47:48] offset:512
	v_add3_u32 v46, v39, v40, v46
	v_lshlrev_b32_e32 v39, 3, v198
	v_lshlrev_b32_e32 v40, 3, v196
	v_lshlrev_b32_e32 v47, 3, v197
	v_add3_u32 v47, v39, v40, v47
	v_lshlrev_b32_e32 v39, 3, v201
	v_lshlrev_b32_e32 v40, 3, v199
	v_lshlrev_b32_e32 v48, 3, v194
	ds_write_b64 v45, v[49:50] offset:512
	v_add3_u32 v48, v39, v40, v48
	v_lshlrev_b32_e32 v39, 3, v204
	v_lshlrev_b32_e32 v40, 3, v202
	v_lshlrev_b32_e32 v49, 3, v191
	v_add3_u32 v49, v39, v40, v49
	v_lshlrev_b32_e32 v39, 3, v206
	v_lshlrev_b32_e32 v40, 3, v205
	v_lshlrev_b32_e32 v50, 3, v188
	ds_write_b64 v46, v[51:52] offset:512
	v_add3_u32 v50, v39, v40, v50
	v_lshlrev_b32_e32 v39, 3, v209
	v_lshlrev_b32_e32 v40, 3, v208
	v_lshlrev_b32_e32 v51, 3, v185
	v_add3_u32 v51, v39, v40, v51
	v_lshlrev_b32_e32 v39, 3, v212
	v_lshlrev_b32_e32 v40, 3, v211
	v_lshlrev_b32_e32 v52, 3, v182
	ds_write_b64 v47, v[53:54] offset:512
	v_add3_u32 v52, v39, v40, v52
	v_lshlrev_b32_e32 v39, 3, v215
	v_lshlrev_b32_e32 v40, 3, v214
	v_lshlrev_b32_e32 v53, 3, v179
	v_add3_u32 v53, v39, v40, v53
	v_lshlrev_b32_e32 v39, 3, v218
	v_lshlrev_b32_e32 v40, 3, v217
	v_lshlrev_b32_e32 v54, 3, v72
	ds_write_b64 v48, v[55:56] offset:512
	v_add3_u32 v54, v39, v40, v54
	v_lshlrev_b32_e32 v39, 3, v221
	v_lshlrev_b32_e32 v40, 3, v220
	v_lshlrev_b32_e32 v55, 3, v71
	v_add3_u32 v55, v39, v40, v55
	v_cmp_lt_u32_e64 s[40:41], v0, v176
	ds_write_b64 v49, v[57:58] offset:512
	ds_write_b64 v50, v[59:60] offset:512
	;; [unrolled: 1-line block ×7, first 2 shown]
	s_waitcnt lgkmcnt(0)
	s_barrier
	s_and_saveexec_b64 s[42:43], s[40:41]
	s_cbranch_execnz .LBB841_1137
; %bb.1069:                             ;   in Loop: Header=BB841_988 Depth=2
	s_or_b64 exec, exec, s[42:43]
	v_cmp_lt_u32_e64 s[42:43], v74, v176
	s_and_saveexec_b64 s[44:45], s[42:43]
	s_cbranch_execnz .LBB841_1138
.LBB841_1070:                           ;   in Loop: Header=BB841_988 Depth=2
	s_or_b64 exec, exec, s[44:45]
	v_cmp_lt_u32_e64 s[44:45], v77, v176
	s_and_saveexec_b64 s[46:47], s[44:45]
	s_cbranch_execnz .LBB841_1139
.LBB841_1071:                           ;   in Loop: Header=BB841_988 Depth=2
	s_or_b64 exec, exec, s[46:47]
	v_cmp_lt_u32_e64 s[46:47], v78, v176
	s_and_saveexec_b64 s[48:49], s[46:47]
	s_cbranch_execnz .LBB841_1140
.LBB841_1072:                           ;   in Loop: Header=BB841_988 Depth=2
	s_or_b64 exec, exec, s[48:49]
	v_cmp_lt_u32_e64 s[48:49], v79, v176
	s_and_saveexec_b64 s[50:51], s[48:49]
	s_cbranch_execnz .LBB841_1141
.LBB841_1073:                           ;   in Loop: Header=BB841_988 Depth=2
	s_or_b64 exec, exec, s[50:51]
	v_cmp_lt_u32_e64 s[50:51], v80, v176
	s_and_saveexec_b64 s[52:53], s[50:51]
	s_cbranch_execnz .LBB841_1142
.LBB841_1074:                           ;   in Loop: Header=BB841_988 Depth=2
	s_or_b64 exec, exec, s[52:53]
	v_cmp_lt_u32_e64 s[52:53], v81, v176
	s_and_saveexec_b64 s[54:55], s[52:53]
	s_cbranch_execnz .LBB841_1143
.LBB841_1075:                           ;   in Loop: Header=BB841_988 Depth=2
	s_or_b64 exec, exec, s[54:55]
	v_cmp_lt_u32_e64 s[54:55], v82, v176
	s_and_saveexec_b64 s[56:57], s[54:55]
	s_cbranch_execnz .LBB841_1144
.LBB841_1076:                           ;   in Loop: Header=BB841_988 Depth=2
	s_or_b64 exec, exec, s[56:57]
	v_cmp_lt_u32_e64 s[56:57], v83, v176
	s_and_saveexec_b64 s[58:59], s[56:57]
	s_cbranch_execnz .LBB841_1145
.LBB841_1077:                           ;   in Loop: Header=BB841_988 Depth=2
	s_or_b64 exec, exec, s[58:59]
	v_cmp_lt_u32_e64 s[58:59], v84, v176
	s_and_saveexec_b64 s[60:61], s[58:59]
	s_cbranch_execnz .LBB841_1146
.LBB841_1078:                           ;   in Loop: Header=BB841_988 Depth=2
	s_or_b64 exec, exec, s[60:61]
	v_cmp_lt_u32_e64 s[60:61], v85, v176
	s_and_saveexec_b64 s[62:63], s[60:61]
	s_cbranch_execnz .LBB841_1147
.LBB841_1079:                           ;   in Loop: Header=BB841_988 Depth=2
	s_or_b64 exec, exec, s[62:63]
	v_cmp_lt_u32_e64 s[62:63], v86, v176
	s_and_saveexec_b64 s[64:65], s[62:63]
	s_cbranch_execnz .LBB841_1148
.LBB841_1080:                           ;   in Loop: Header=BB841_988 Depth=2
	s_or_b64 exec, exec, s[64:65]
	v_cmp_lt_u32_e64 s[64:65], v87, v176
	s_and_saveexec_b64 s[66:67], s[64:65]
	s_cbranch_execnz .LBB841_1149
.LBB841_1081:                           ;   in Loop: Header=BB841_988 Depth=2
	s_or_b64 exec, exec, s[66:67]
	v_cmp_lt_u32_e64 s[66:67], v88, v176
	s_and_saveexec_b64 s[68:69], s[66:67]
	s_cbranch_execnz .LBB841_1150
.LBB841_1082:                           ;   in Loop: Header=BB841_988 Depth=2
	s_or_b64 exec, exec, s[68:69]
	v_cmp_lt_u32_e64 s[68:69], v89, v176
	s_and_saveexec_b64 s[70:71], s[68:69]
	s_cbranch_execnz .LBB841_1151
.LBB841_1083:                           ;   in Loop: Header=BB841_988 Depth=2
	s_or_b64 exec, exec, s[70:71]
	v_cmp_lt_u32_e64 s[70:71], v90, v176
	s_and_saveexec_b64 s[82:83], s[70:71]
	s_cbranch_execz .LBB841_1085
.LBB841_1084:                           ;   in Loop: Header=BB841_988 Depth=2
	ds_read_b64 v[39:40], v106 offset:31232
	v_mov_b32_e32 v58, s81
	s_waitcnt lgkmcnt(0)
	v_lshrrev_b64 v[56:57], s88, v[39:40]
	v_mov_b32_e32 v57, v3
	v_and_b32_e32 v56, s98, v56
	v_lshlrev_b32_e32 v56, 2, v56
	ds_read_b32 v56, v56
	v_xor_b32_e32 v40, 0x80000000, v40
	s_waitcnt lgkmcnt(0)
	v_add_u32_e32 v56, v56, v90
	v_lshlrev_b64 v[56:57], 3, v[56:57]
	v_add_co_u32_e32 v56, vcc, s80, v56
	v_addc_co_u32_e32 v57, vcc, v58, v57, vcc
	global_store_dwordx2 v[56:57], v[39:40], off
.LBB841_1085:                           ;   in Loop: Header=BB841_988 Depth=2
	s_or_b64 exec, exec, s[82:83]
	s_lshl_b64 s[6:7], s[92:93], 3
	v_mov_b32_e32 v40, s7
	v_add_co_u32_e32 v39, vcc, s6, v154
	v_addc_co_u32_e32 v40, vcc, v155, v40, vcc
	v_cmp_lt_u32_e32 vcc, v153, v176
	s_and_saveexec_b64 s[6:7], vcc
	s_xor_b64 s[82:83], exec, s[6:7]
	s_cbranch_execnz .LBB841_1152
; %bb.1086:                             ;   in Loop: Header=BB841_988 Depth=2
	s_or_b64 exec, exec, s[82:83]
	v_cmp_lt_u32_e32 vcc, v156, v176
	s_and_saveexec_b64 s[82:83], vcc
	s_cbranch_execnz .LBB841_1153
.LBB841_1087:                           ;   in Loop: Header=BB841_988 Depth=2
	s_or_b64 exec, exec, s[82:83]
	v_cmp_lt_u32_e32 vcc, v157, v176
	s_and_saveexec_b64 s[82:83], vcc
	s_cbranch_execnz .LBB841_1154
.LBB841_1088:                           ;   in Loop: Header=BB841_988 Depth=2
	s_or_b64 exec, exec, s[82:83]
	v_cmp_lt_u32_e32 vcc, v158, v176
	s_and_saveexec_b64 s[82:83], vcc
	s_cbranch_execnz .LBB841_1155
.LBB841_1089:                           ;   in Loop: Header=BB841_988 Depth=2
	s_or_b64 exec, exec, s[82:83]
	v_cmp_lt_u32_e32 vcc, v159, v176
	s_and_saveexec_b64 s[82:83], vcc
	s_cbranch_execnz .LBB841_1156
.LBB841_1090:                           ;   in Loop: Header=BB841_988 Depth=2
	s_or_b64 exec, exec, s[82:83]
	v_cmp_lt_u32_e32 vcc, v160, v176
	s_and_saveexec_b64 s[82:83], vcc
	s_cbranch_execnz .LBB841_1157
.LBB841_1091:                           ;   in Loop: Header=BB841_988 Depth=2
	s_or_b64 exec, exec, s[82:83]
	v_cmp_lt_u32_e32 vcc, v161, v176
	s_and_saveexec_b64 s[82:83], vcc
	s_cbranch_execnz .LBB841_1158
.LBB841_1092:                           ;   in Loop: Header=BB841_988 Depth=2
	s_or_b64 exec, exec, s[82:83]
	v_cmp_lt_u32_e32 vcc, v162, v176
	s_and_saveexec_b64 s[82:83], vcc
	s_cbranch_execnz .LBB841_1159
.LBB841_1093:                           ;   in Loop: Header=BB841_988 Depth=2
	s_or_b64 exec, exec, s[82:83]
	v_cmp_lt_u32_e32 vcc, v163, v176
	s_and_saveexec_b64 s[82:83], vcc
	s_cbranch_execnz .LBB841_1160
.LBB841_1094:                           ;   in Loop: Header=BB841_988 Depth=2
	s_or_b64 exec, exec, s[82:83]
	v_cmp_lt_u32_e32 vcc, v164, v176
	s_and_saveexec_b64 s[82:83], vcc
	s_cbranch_execnz .LBB841_1161
.LBB841_1095:                           ;   in Loop: Header=BB841_988 Depth=2
	s_or_b64 exec, exec, s[82:83]
	v_cmp_lt_u32_e32 vcc, v165, v176
	s_and_saveexec_b64 s[82:83], vcc
	s_cbranch_execnz .LBB841_1162
.LBB841_1096:                           ;   in Loop: Header=BB841_988 Depth=2
	s_or_b64 exec, exec, s[82:83]
	v_cmp_lt_u32_e32 vcc, v166, v176
	s_and_saveexec_b64 s[82:83], vcc
	s_cbranch_execnz .LBB841_1163
.LBB841_1097:                           ;   in Loop: Header=BB841_988 Depth=2
	s_or_b64 exec, exec, s[82:83]
	v_cmp_lt_u32_e32 vcc, v167, v176
	s_and_saveexec_b64 s[82:83], vcc
	s_cbranch_execnz .LBB841_1164
.LBB841_1098:                           ;   in Loop: Header=BB841_988 Depth=2
	s_or_b64 exec, exec, s[82:83]
	v_cmp_lt_u32_e32 vcc, v168, v176
	s_and_saveexec_b64 s[82:83], vcc
	s_cbranch_execnz .LBB841_1165
.LBB841_1099:                           ;   in Loop: Header=BB841_988 Depth=2
	s_or_b64 exec, exec, s[82:83]
	v_cmp_lt_u32_e32 vcc, v169, v176
	s_and_saveexec_b64 s[82:83], vcc
	s_cbranch_execnz .LBB841_1166
.LBB841_1100:                           ;   in Loop: Header=BB841_988 Depth=2
	s_or_b64 exec, exec, s[82:83]
	v_cmp_lt_u32_e32 vcc, v170, v176
	s_and_saveexec_b64 s[82:83], vcc
	s_cbranch_execnz .LBB841_1167
.LBB841_1101:                           ;   in Loop: Header=BB841_988 Depth=2
	s_or_b64 exec, exec, s[82:83]
	s_and_saveexec_b64 s[82:83], s[40:41]
	s_cbranch_execnz .LBB841_1168
.LBB841_1102:                           ;   in Loop: Header=BB841_988 Depth=2
	s_or_b64 exec, exec, s[82:83]
	s_and_saveexec_b64 s[82:83], s[42:43]
	s_cbranch_execnz .LBB841_1169
.LBB841_1103:                           ;   in Loop: Header=BB841_988 Depth=2
	s_or_b64 exec, exec, s[82:83]
	s_and_saveexec_b64 s[82:83], s[44:45]
	s_cbranch_execnz .LBB841_1170
.LBB841_1104:                           ;   in Loop: Header=BB841_988 Depth=2
	s_or_b64 exec, exec, s[82:83]
	s_and_saveexec_b64 s[82:83], s[46:47]
	s_cbranch_execnz .LBB841_1171
.LBB841_1105:                           ;   in Loop: Header=BB841_988 Depth=2
	s_or_b64 exec, exec, s[82:83]
	s_and_saveexec_b64 s[82:83], s[48:49]
	s_cbranch_execnz .LBB841_1172
.LBB841_1106:                           ;   in Loop: Header=BB841_988 Depth=2
	s_or_b64 exec, exec, s[82:83]
	s_and_saveexec_b64 s[82:83], s[50:51]
	s_cbranch_execnz .LBB841_1173
.LBB841_1107:                           ;   in Loop: Header=BB841_988 Depth=2
	s_or_b64 exec, exec, s[82:83]
	s_and_saveexec_b64 s[82:83], s[52:53]
	s_cbranch_execnz .LBB841_1174
.LBB841_1108:                           ;   in Loop: Header=BB841_988 Depth=2
	s_or_b64 exec, exec, s[82:83]
	s_and_saveexec_b64 s[82:83], s[54:55]
	s_cbranch_execnz .LBB841_1175
.LBB841_1109:                           ;   in Loop: Header=BB841_988 Depth=2
	s_or_b64 exec, exec, s[82:83]
	s_and_saveexec_b64 s[82:83], s[56:57]
	s_cbranch_execnz .LBB841_1176
.LBB841_1110:                           ;   in Loop: Header=BB841_988 Depth=2
	s_or_b64 exec, exec, s[82:83]
	s_and_saveexec_b64 s[82:83], s[58:59]
	s_cbranch_execnz .LBB841_1177
.LBB841_1111:                           ;   in Loop: Header=BB841_988 Depth=2
	s_or_b64 exec, exec, s[82:83]
	s_and_saveexec_b64 s[82:83], s[60:61]
	s_cbranch_execnz .LBB841_1178
.LBB841_1112:                           ;   in Loop: Header=BB841_988 Depth=2
	s_or_b64 exec, exec, s[82:83]
	s_and_saveexec_b64 s[82:83], s[62:63]
	s_cbranch_execnz .LBB841_1179
.LBB841_1113:                           ;   in Loop: Header=BB841_988 Depth=2
	s_or_b64 exec, exec, s[82:83]
	s_and_saveexec_b64 s[82:83], s[64:65]
	s_cbranch_execnz .LBB841_1180
.LBB841_1114:                           ;   in Loop: Header=BB841_988 Depth=2
	s_or_b64 exec, exec, s[82:83]
	s_and_saveexec_b64 s[82:83], s[66:67]
	s_cbranch_execnz .LBB841_1181
.LBB841_1115:                           ;   in Loop: Header=BB841_988 Depth=2
	s_or_b64 exec, exec, s[82:83]
	s_and_saveexec_b64 s[82:83], s[68:69]
	s_cbranch_execnz .LBB841_1182
.LBB841_1116:                           ;   in Loop: Header=BB841_988 Depth=2
	s_or_b64 exec, exec, s[82:83]
	s_and_saveexec_b64 s[82:83], s[70:71]
	s_cbranch_execz .LBB841_1118
.LBB841_1117:                           ;   in Loop: Header=BB841_988 Depth=2
	ds_read_b64 v[39:40], v106 offset:31232
	s_waitcnt lgkmcnt(0)
	v_lshrrev_b64 v[39:40], s88, v[39:40]
	v_and_b32_e32 v137, s98, v39
.LBB841_1118:                           ;   in Loop: Header=BB841_988 Depth=2
	s_or_b64 exec, exec, s[82:83]
	s_waitcnt vmcnt(0)
	s_barrier
	ds_write_b64 v4, v[37:38] offset:512
	ds_write_b64 v41, v[35:36] offset:512
	;; [unrolled: 1-line block ×16, first 2 shown]
	s_waitcnt lgkmcnt(0)
	s_barrier
	s_and_saveexec_b64 s[82:83], s[40:41]
	s_cbranch_execnz .LBB841_1183
; %bb.1119:                             ;   in Loop: Header=BB841_988 Depth=2
	s_or_b64 exec, exec, s[82:83]
	s_and_saveexec_b64 s[40:41], s[42:43]
	s_cbranch_execnz .LBB841_1184
.LBB841_1120:                           ;   in Loop: Header=BB841_988 Depth=2
	s_or_b64 exec, exec, s[40:41]
	s_and_saveexec_b64 s[40:41], s[44:45]
	s_cbranch_execnz .LBB841_1185
.LBB841_1121:                           ;   in Loop: Header=BB841_988 Depth=2
	s_or_b64 exec, exec, s[40:41]
	s_and_saveexec_b64 s[40:41], s[46:47]
	s_cbranch_execnz .LBB841_1186
.LBB841_1122:                           ;   in Loop: Header=BB841_988 Depth=2
	s_or_b64 exec, exec, s[40:41]
	s_and_saveexec_b64 s[40:41], s[48:49]
	s_cbranch_execnz .LBB841_1187
.LBB841_1123:                           ;   in Loop: Header=BB841_988 Depth=2
	s_or_b64 exec, exec, s[40:41]
	s_and_saveexec_b64 s[40:41], s[50:51]
	s_cbranch_execnz .LBB841_1188
.LBB841_1124:                           ;   in Loop: Header=BB841_988 Depth=2
	s_or_b64 exec, exec, s[40:41]
	s_and_saveexec_b64 s[40:41], s[52:53]
	s_cbranch_execnz .LBB841_1189
.LBB841_1125:                           ;   in Loop: Header=BB841_988 Depth=2
	s_or_b64 exec, exec, s[40:41]
	s_and_saveexec_b64 s[40:41], s[54:55]
	s_cbranch_execnz .LBB841_1190
.LBB841_1126:                           ;   in Loop: Header=BB841_988 Depth=2
	s_or_b64 exec, exec, s[40:41]
	s_and_saveexec_b64 s[40:41], s[56:57]
	s_cbranch_execnz .LBB841_1191
.LBB841_1127:                           ;   in Loop: Header=BB841_988 Depth=2
	s_or_b64 exec, exec, s[40:41]
	s_and_saveexec_b64 s[40:41], s[58:59]
	s_cbranch_execnz .LBB841_1192
.LBB841_1128:                           ;   in Loop: Header=BB841_988 Depth=2
	s_or_b64 exec, exec, s[40:41]
	s_and_saveexec_b64 s[40:41], s[60:61]
	s_cbranch_execnz .LBB841_1193
.LBB841_1129:                           ;   in Loop: Header=BB841_988 Depth=2
	s_or_b64 exec, exec, s[40:41]
	s_and_saveexec_b64 s[40:41], s[62:63]
	s_cbranch_execnz .LBB841_1194
.LBB841_1130:                           ;   in Loop: Header=BB841_988 Depth=2
	s_or_b64 exec, exec, s[40:41]
	s_and_saveexec_b64 s[40:41], s[64:65]
	s_cbranch_execnz .LBB841_1195
.LBB841_1131:                           ;   in Loop: Header=BB841_988 Depth=2
	s_or_b64 exec, exec, s[40:41]
	s_and_saveexec_b64 s[40:41], s[66:67]
	s_cbranch_execnz .LBB841_1196
.LBB841_1132:                           ;   in Loop: Header=BB841_988 Depth=2
	s_or_b64 exec, exec, s[40:41]
	s_and_saveexec_b64 s[40:41], s[68:69]
	s_cbranch_execnz .LBB841_1197
.LBB841_1133:                           ;   in Loop: Header=BB841_988 Depth=2
	s_or_b64 exec, exec, s[40:41]
	s_and_saveexec_b64 s[40:41], s[70:71]
	s_cbranch_execz .LBB841_1135
.LBB841_1134:                           ;   in Loop: Header=BB841_988 Depth=2
	v_lshlrev_b32_e32 v4, 2, v137
	ds_read_b32 v4, v4
	ds_read_b64 v[39:40], v106 offset:31232
	v_mov_b32_e32 v42, v3
	v_mov_b32_e32 v43, s87
	s_waitcnt lgkmcnt(1)
	v_add_u32_e32 v41, v4, v90
	v_lshlrev_b64 v[41:42], 3, v[41:42]
	v_add_co_u32_e32 v41, vcc, s86, v41
	v_addc_co_u32_e32 v42, vcc, v43, v42, vcc
	s_waitcnt lgkmcnt(0)
	global_store_dwordx2 v[41:42], v[39:40], off
.LBB841_1135:                           ;   in Loop: Header=BB841_988 Depth=2
	s_or_b64 exec, exec, s[40:41]
	s_waitcnt vmcnt(0)
	s_barrier
	s_and_saveexec_b64 s[40:41], s[4:5]
	s_cbranch_execz .LBB841_987
; %bb.1136:                             ;   in Loop: Header=BB841_988 Depth=2
	ds_read_b32 v4, v73
	s_waitcnt lgkmcnt(0)
	v_add3_u32 v4, v174, v175, v4
	ds_write_b32 v73, v4
	s_branch .LBB841_987
.LBB841_1137:                           ;   in Loop: Header=BB841_988 Depth=2
	ds_read_b64 v[39:40], v106 offset:512
	v_mov_b32_e32 v58, s81
	s_waitcnt lgkmcnt(0)
	v_lshrrev_b64 v[56:57], s88, v[39:40]
	v_mov_b32_e32 v57, v3
	v_and_b32_e32 v56, s98, v56
	v_lshlrev_b32_e32 v56, 2, v56
	ds_read_b32 v56, v56
	v_xor_b32_e32 v40, 0x80000000, v40
	s_waitcnt lgkmcnt(0)
	v_add_u32_e32 v56, v56, v0
	v_lshlrev_b64 v[56:57], 3, v[56:57]
	v_add_co_u32_e32 v56, vcc, s80, v56
	v_addc_co_u32_e32 v57, vcc, v58, v57, vcc
	global_store_dwordx2 v[56:57], v[39:40], off
	s_or_b64 exec, exec, s[42:43]
	v_cmp_lt_u32_e64 s[42:43], v74, v176
	s_and_saveexec_b64 s[44:45], s[42:43]
	s_cbranch_execz .LBB841_1070
.LBB841_1138:                           ;   in Loop: Header=BB841_988 Depth=2
	ds_read_b64 v[39:40], v106 offset:2560
	v_mov_b32_e32 v58, s81
	s_waitcnt lgkmcnt(0)
	v_lshrrev_b64 v[56:57], s88, v[39:40]
	v_mov_b32_e32 v57, v3
	v_and_b32_e32 v56, s98, v56
	v_lshlrev_b32_e32 v56, 2, v56
	ds_read_b32 v56, v56
	v_xor_b32_e32 v40, 0x80000000, v40
	s_waitcnt lgkmcnt(0)
	v_add_u32_e32 v56, v56, v74
	v_lshlrev_b64 v[56:57], 3, v[56:57]
	v_add_co_u32_e32 v56, vcc, s80, v56
	v_addc_co_u32_e32 v57, vcc, v58, v57, vcc
	global_store_dwordx2 v[56:57], v[39:40], off
	s_or_b64 exec, exec, s[44:45]
	v_cmp_lt_u32_e64 s[44:45], v77, v176
	s_and_saveexec_b64 s[46:47], s[44:45]
	s_cbranch_execz .LBB841_1071
.LBB841_1139:                           ;   in Loop: Header=BB841_988 Depth=2
	ds_read_b64 v[39:40], v106 offset:4608
	v_mov_b32_e32 v58, s81
	s_waitcnt lgkmcnt(0)
	v_lshrrev_b64 v[56:57], s88, v[39:40]
	v_mov_b32_e32 v57, v3
	v_and_b32_e32 v56, s98, v56
	v_lshlrev_b32_e32 v56, 2, v56
	ds_read_b32 v56, v56
	v_xor_b32_e32 v40, 0x80000000, v40
	s_waitcnt lgkmcnt(0)
	v_add_u32_e32 v56, v56, v77
	v_lshlrev_b64 v[56:57], 3, v[56:57]
	v_add_co_u32_e32 v56, vcc, s80, v56
	v_addc_co_u32_e32 v57, vcc, v58, v57, vcc
	global_store_dwordx2 v[56:57], v[39:40], off
	s_or_b64 exec, exec, s[46:47]
	v_cmp_lt_u32_e64 s[46:47], v78, v176
	s_and_saveexec_b64 s[48:49], s[46:47]
	s_cbranch_execz .LBB841_1072
.LBB841_1140:                           ;   in Loop: Header=BB841_988 Depth=2
	ds_read_b64 v[39:40], v106 offset:6656
	v_mov_b32_e32 v58, s81
	s_waitcnt lgkmcnt(0)
	v_lshrrev_b64 v[56:57], s88, v[39:40]
	v_mov_b32_e32 v57, v3
	v_and_b32_e32 v56, s98, v56
	v_lshlrev_b32_e32 v56, 2, v56
	ds_read_b32 v56, v56
	v_xor_b32_e32 v40, 0x80000000, v40
	s_waitcnt lgkmcnt(0)
	v_add_u32_e32 v56, v56, v78
	v_lshlrev_b64 v[56:57], 3, v[56:57]
	v_add_co_u32_e32 v56, vcc, s80, v56
	v_addc_co_u32_e32 v57, vcc, v58, v57, vcc
	global_store_dwordx2 v[56:57], v[39:40], off
	s_or_b64 exec, exec, s[48:49]
	v_cmp_lt_u32_e64 s[48:49], v79, v176
	s_and_saveexec_b64 s[50:51], s[48:49]
	s_cbranch_execz .LBB841_1073
.LBB841_1141:                           ;   in Loop: Header=BB841_988 Depth=2
	ds_read_b64 v[39:40], v106 offset:8704
	v_mov_b32_e32 v58, s81
	s_waitcnt lgkmcnt(0)
	v_lshrrev_b64 v[56:57], s88, v[39:40]
	v_mov_b32_e32 v57, v3
	v_and_b32_e32 v56, s98, v56
	v_lshlrev_b32_e32 v56, 2, v56
	ds_read_b32 v56, v56
	v_xor_b32_e32 v40, 0x80000000, v40
	s_waitcnt lgkmcnt(0)
	v_add_u32_e32 v56, v56, v79
	v_lshlrev_b64 v[56:57], 3, v[56:57]
	v_add_co_u32_e32 v56, vcc, s80, v56
	v_addc_co_u32_e32 v57, vcc, v58, v57, vcc
	global_store_dwordx2 v[56:57], v[39:40], off
	s_or_b64 exec, exec, s[50:51]
	v_cmp_lt_u32_e64 s[50:51], v80, v176
	s_and_saveexec_b64 s[52:53], s[50:51]
	s_cbranch_execz .LBB841_1074
.LBB841_1142:                           ;   in Loop: Header=BB841_988 Depth=2
	ds_read_b64 v[39:40], v106 offset:10752
	v_mov_b32_e32 v58, s81
	s_waitcnt lgkmcnt(0)
	v_lshrrev_b64 v[56:57], s88, v[39:40]
	v_mov_b32_e32 v57, v3
	v_and_b32_e32 v56, s98, v56
	v_lshlrev_b32_e32 v56, 2, v56
	ds_read_b32 v56, v56
	v_xor_b32_e32 v40, 0x80000000, v40
	s_waitcnt lgkmcnt(0)
	v_add_u32_e32 v56, v56, v80
	v_lshlrev_b64 v[56:57], 3, v[56:57]
	v_add_co_u32_e32 v56, vcc, s80, v56
	v_addc_co_u32_e32 v57, vcc, v58, v57, vcc
	global_store_dwordx2 v[56:57], v[39:40], off
	s_or_b64 exec, exec, s[52:53]
	v_cmp_lt_u32_e64 s[52:53], v81, v176
	s_and_saveexec_b64 s[54:55], s[52:53]
	s_cbranch_execz .LBB841_1075
.LBB841_1143:                           ;   in Loop: Header=BB841_988 Depth=2
	ds_read_b64 v[39:40], v106 offset:12800
	v_mov_b32_e32 v58, s81
	s_waitcnt lgkmcnt(0)
	v_lshrrev_b64 v[56:57], s88, v[39:40]
	v_mov_b32_e32 v57, v3
	v_and_b32_e32 v56, s98, v56
	v_lshlrev_b32_e32 v56, 2, v56
	ds_read_b32 v56, v56
	v_xor_b32_e32 v40, 0x80000000, v40
	s_waitcnt lgkmcnt(0)
	v_add_u32_e32 v56, v56, v81
	v_lshlrev_b64 v[56:57], 3, v[56:57]
	v_add_co_u32_e32 v56, vcc, s80, v56
	v_addc_co_u32_e32 v57, vcc, v58, v57, vcc
	global_store_dwordx2 v[56:57], v[39:40], off
	s_or_b64 exec, exec, s[54:55]
	v_cmp_lt_u32_e64 s[54:55], v82, v176
	s_and_saveexec_b64 s[56:57], s[54:55]
	s_cbranch_execz .LBB841_1076
.LBB841_1144:                           ;   in Loop: Header=BB841_988 Depth=2
	ds_read_b64 v[39:40], v106 offset:14848
	v_mov_b32_e32 v58, s81
	s_waitcnt lgkmcnt(0)
	v_lshrrev_b64 v[56:57], s88, v[39:40]
	v_mov_b32_e32 v57, v3
	v_and_b32_e32 v56, s98, v56
	v_lshlrev_b32_e32 v56, 2, v56
	ds_read_b32 v56, v56
	v_xor_b32_e32 v40, 0x80000000, v40
	s_waitcnt lgkmcnt(0)
	v_add_u32_e32 v56, v56, v82
	v_lshlrev_b64 v[56:57], 3, v[56:57]
	v_add_co_u32_e32 v56, vcc, s80, v56
	v_addc_co_u32_e32 v57, vcc, v58, v57, vcc
	global_store_dwordx2 v[56:57], v[39:40], off
	s_or_b64 exec, exec, s[56:57]
	v_cmp_lt_u32_e64 s[56:57], v83, v176
	s_and_saveexec_b64 s[58:59], s[56:57]
	s_cbranch_execz .LBB841_1077
.LBB841_1145:                           ;   in Loop: Header=BB841_988 Depth=2
	ds_read_b64 v[39:40], v106 offset:16896
	v_mov_b32_e32 v58, s81
	s_waitcnt lgkmcnt(0)
	v_lshrrev_b64 v[56:57], s88, v[39:40]
	v_mov_b32_e32 v57, v3
	v_and_b32_e32 v56, s98, v56
	v_lshlrev_b32_e32 v56, 2, v56
	ds_read_b32 v56, v56
	v_xor_b32_e32 v40, 0x80000000, v40
	s_waitcnt lgkmcnt(0)
	v_add_u32_e32 v56, v56, v83
	v_lshlrev_b64 v[56:57], 3, v[56:57]
	v_add_co_u32_e32 v56, vcc, s80, v56
	v_addc_co_u32_e32 v57, vcc, v58, v57, vcc
	global_store_dwordx2 v[56:57], v[39:40], off
	s_or_b64 exec, exec, s[58:59]
	v_cmp_lt_u32_e64 s[58:59], v84, v176
	s_and_saveexec_b64 s[60:61], s[58:59]
	s_cbranch_execz .LBB841_1078
.LBB841_1146:                           ;   in Loop: Header=BB841_988 Depth=2
	ds_read_b64 v[39:40], v106 offset:18944
	v_mov_b32_e32 v58, s81
	s_waitcnt lgkmcnt(0)
	v_lshrrev_b64 v[56:57], s88, v[39:40]
	v_mov_b32_e32 v57, v3
	v_and_b32_e32 v56, s98, v56
	v_lshlrev_b32_e32 v56, 2, v56
	ds_read_b32 v56, v56
	v_xor_b32_e32 v40, 0x80000000, v40
	s_waitcnt lgkmcnt(0)
	v_add_u32_e32 v56, v56, v84
	v_lshlrev_b64 v[56:57], 3, v[56:57]
	v_add_co_u32_e32 v56, vcc, s80, v56
	v_addc_co_u32_e32 v57, vcc, v58, v57, vcc
	global_store_dwordx2 v[56:57], v[39:40], off
	s_or_b64 exec, exec, s[60:61]
	v_cmp_lt_u32_e64 s[60:61], v85, v176
	s_and_saveexec_b64 s[62:63], s[60:61]
	s_cbranch_execz .LBB841_1079
.LBB841_1147:                           ;   in Loop: Header=BB841_988 Depth=2
	ds_read_b64 v[39:40], v106 offset:20992
	v_mov_b32_e32 v58, s81
	s_waitcnt lgkmcnt(0)
	v_lshrrev_b64 v[56:57], s88, v[39:40]
	v_mov_b32_e32 v57, v3
	v_and_b32_e32 v56, s98, v56
	v_lshlrev_b32_e32 v56, 2, v56
	ds_read_b32 v56, v56
	v_xor_b32_e32 v40, 0x80000000, v40
	s_waitcnt lgkmcnt(0)
	v_add_u32_e32 v56, v56, v85
	v_lshlrev_b64 v[56:57], 3, v[56:57]
	v_add_co_u32_e32 v56, vcc, s80, v56
	v_addc_co_u32_e32 v57, vcc, v58, v57, vcc
	global_store_dwordx2 v[56:57], v[39:40], off
	s_or_b64 exec, exec, s[62:63]
	v_cmp_lt_u32_e64 s[62:63], v86, v176
	s_and_saveexec_b64 s[64:65], s[62:63]
	s_cbranch_execz .LBB841_1080
.LBB841_1148:                           ;   in Loop: Header=BB841_988 Depth=2
	ds_read_b64 v[39:40], v106 offset:23040
	v_mov_b32_e32 v58, s81
	s_waitcnt lgkmcnt(0)
	v_lshrrev_b64 v[56:57], s88, v[39:40]
	v_mov_b32_e32 v57, v3
	v_and_b32_e32 v56, s98, v56
	v_lshlrev_b32_e32 v56, 2, v56
	ds_read_b32 v56, v56
	v_xor_b32_e32 v40, 0x80000000, v40
	s_waitcnt lgkmcnt(0)
	v_add_u32_e32 v56, v56, v86
	v_lshlrev_b64 v[56:57], 3, v[56:57]
	v_add_co_u32_e32 v56, vcc, s80, v56
	v_addc_co_u32_e32 v57, vcc, v58, v57, vcc
	global_store_dwordx2 v[56:57], v[39:40], off
	s_or_b64 exec, exec, s[64:65]
	v_cmp_lt_u32_e64 s[64:65], v87, v176
	s_and_saveexec_b64 s[66:67], s[64:65]
	s_cbranch_execz .LBB841_1081
.LBB841_1149:                           ;   in Loop: Header=BB841_988 Depth=2
	ds_read_b64 v[39:40], v106 offset:25088
	v_mov_b32_e32 v58, s81
	s_waitcnt lgkmcnt(0)
	v_lshrrev_b64 v[56:57], s88, v[39:40]
	v_mov_b32_e32 v57, v3
	v_and_b32_e32 v56, s98, v56
	v_lshlrev_b32_e32 v56, 2, v56
	ds_read_b32 v56, v56
	v_xor_b32_e32 v40, 0x80000000, v40
	s_waitcnt lgkmcnt(0)
	v_add_u32_e32 v56, v56, v87
	v_lshlrev_b64 v[56:57], 3, v[56:57]
	v_add_co_u32_e32 v56, vcc, s80, v56
	v_addc_co_u32_e32 v57, vcc, v58, v57, vcc
	global_store_dwordx2 v[56:57], v[39:40], off
	s_or_b64 exec, exec, s[66:67]
	v_cmp_lt_u32_e64 s[66:67], v88, v176
	s_and_saveexec_b64 s[68:69], s[66:67]
	s_cbranch_execz .LBB841_1082
.LBB841_1150:                           ;   in Loop: Header=BB841_988 Depth=2
	ds_read_b64 v[39:40], v106 offset:27136
	v_mov_b32_e32 v58, s81
	s_waitcnt lgkmcnt(0)
	v_lshrrev_b64 v[56:57], s88, v[39:40]
	v_mov_b32_e32 v57, v3
	v_and_b32_e32 v56, s98, v56
	v_lshlrev_b32_e32 v56, 2, v56
	ds_read_b32 v56, v56
	v_xor_b32_e32 v40, 0x80000000, v40
	s_waitcnt lgkmcnt(0)
	v_add_u32_e32 v56, v56, v88
	v_lshlrev_b64 v[56:57], 3, v[56:57]
	v_add_co_u32_e32 v56, vcc, s80, v56
	v_addc_co_u32_e32 v57, vcc, v58, v57, vcc
	global_store_dwordx2 v[56:57], v[39:40], off
	s_or_b64 exec, exec, s[68:69]
	v_cmp_lt_u32_e64 s[68:69], v89, v176
	s_and_saveexec_b64 s[70:71], s[68:69]
	s_cbranch_execz .LBB841_1083
.LBB841_1151:                           ;   in Loop: Header=BB841_988 Depth=2
	ds_read_b64 v[39:40], v106 offset:29184
	v_mov_b32_e32 v58, s81
	s_waitcnt lgkmcnt(0)
	v_lshrrev_b64 v[56:57], s88, v[39:40]
	v_mov_b32_e32 v57, v3
	v_and_b32_e32 v56, s98, v56
	v_lshlrev_b32_e32 v56, 2, v56
	ds_read_b32 v56, v56
	v_xor_b32_e32 v40, 0x80000000, v40
	s_waitcnt lgkmcnt(0)
	v_add_u32_e32 v56, v56, v89
	v_lshlrev_b64 v[56:57], 3, v[56:57]
	v_add_co_u32_e32 v56, vcc, s80, v56
	v_addc_co_u32_e32 v57, vcc, v58, v57, vcc
	global_store_dwordx2 v[56:57], v[39:40], off
	s_or_b64 exec, exec, s[70:71]
	v_cmp_lt_u32_e64 s[70:71], v90, v176
	s_and_saveexec_b64 s[82:83], s[70:71]
	s_cbranch_execnz .LBB841_1084
	s_branch .LBB841_1085
.LBB841_1152:                           ;   in Loop: Header=BB841_988 Depth=2
	global_load_dwordx2 v[37:38], v[39:40], off
	s_or_b64 exec, exec, s[82:83]
	v_cmp_lt_u32_e32 vcc, v156, v176
	s_and_saveexec_b64 s[82:83], vcc
	s_cbranch_execz .LBB841_1087
.LBB841_1153:                           ;   in Loop: Header=BB841_988 Depth=2
	global_load_dwordx2 v[35:36], v[39:40], off offset:512
	s_or_b64 exec, exec, s[82:83]
	v_cmp_lt_u32_e32 vcc, v157, v176
	s_and_saveexec_b64 s[82:83], vcc
	s_cbranch_execz .LBB841_1088
.LBB841_1154:                           ;   in Loop: Header=BB841_988 Depth=2
	global_load_dwordx2 v[33:34], v[39:40], off offset:1024
	s_or_b64 exec, exec, s[82:83]
	v_cmp_lt_u32_e32 vcc, v158, v176
	s_and_saveexec_b64 s[82:83], vcc
	s_cbranch_execz .LBB841_1089
.LBB841_1155:                           ;   in Loop: Header=BB841_988 Depth=2
	global_load_dwordx2 v[29:30], v[39:40], off offset:1536
	s_or_b64 exec, exec, s[82:83]
	v_cmp_lt_u32_e32 vcc, v159, v176
	s_and_saveexec_b64 s[82:83], vcc
	s_cbranch_execz .LBB841_1090
.LBB841_1156:                           ;   in Loop: Header=BB841_988 Depth=2
	global_load_dwordx2 v[25:26], v[39:40], off offset:2048
	s_or_b64 exec, exec, s[82:83]
	v_cmp_lt_u32_e32 vcc, v160, v176
	s_and_saveexec_b64 s[82:83], vcc
	s_cbranch_execz .LBB841_1091
.LBB841_1157:                           ;   in Loop: Header=BB841_988 Depth=2
	global_load_dwordx2 v[21:22], v[39:40], off offset:2560
	s_or_b64 exec, exec, s[82:83]
	v_cmp_lt_u32_e32 vcc, v161, v176
	s_and_saveexec_b64 s[82:83], vcc
	s_cbranch_execz .LBB841_1092
.LBB841_1158:                           ;   in Loop: Header=BB841_988 Depth=2
	global_load_dwordx2 v[17:18], v[39:40], off offset:3072
	s_or_b64 exec, exec, s[82:83]
	v_cmp_lt_u32_e32 vcc, v162, v176
	s_and_saveexec_b64 s[82:83], vcc
	s_cbranch_execz .LBB841_1093
.LBB841_1159:                           ;   in Loop: Header=BB841_988 Depth=2
	global_load_dwordx2 v[13:14], v[39:40], off offset:3584
	s_or_b64 exec, exec, s[82:83]
	v_cmp_lt_u32_e32 vcc, v163, v176
	s_and_saveexec_b64 s[82:83], vcc
	s_cbranch_execz .LBB841_1094
.LBB841_1160:                           ;   in Loop: Header=BB841_988 Depth=2
	v_add_co_u32_e32 v31, vcc, 0x1000, v39
	v_addc_co_u32_e32 v32, vcc, 0, v40, vcc
	global_load_dwordx2 v[31:32], v[31:32], off
	s_or_b64 exec, exec, s[82:83]
	v_cmp_lt_u32_e32 vcc, v164, v176
	s_and_saveexec_b64 s[82:83], vcc
	s_cbranch_execz .LBB841_1095
.LBB841_1161:                           ;   in Loop: Header=BB841_988 Depth=2
	v_add_co_u32_e32 v27, vcc, 0x1000, v39
	v_addc_co_u32_e32 v28, vcc, 0, v40, vcc
	global_load_dwordx2 v[27:28], v[27:28], off offset:512
	s_or_b64 exec, exec, s[82:83]
	v_cmp_lt_u32_e32 vcc, v165, v176
	s_and_saveexec_b64 s[82:83], vcc
	s_cbranch_execz .LBB841_1096
.LBB841_1162:                           ;   in Loop: Header=BB841_988 Depth=2
	v_add_co_u32_e32 v23, vcc, 0x1000, v39
	v_addc_co_u32_e32 v24, vcc, 0, v40, vcc
	global_load_dwordx2 v[23:24], v[23:24], off offset:1024
	s_or_b64 exec, exec, s[82:83]
	v_cmp_lt_u32_e32 vcc, v166, v176
	s_and_saveexec_b64 s[82:83], vcc
	s_cbranch_execz .LBB841_1097
.LBB841_1163:                           ;   in Loop: Header=BB841_988 Depth=2
	v_add_co_u32_e32 v19, vcc, 0x1000, v39
	v_addc_co_u32_e32 v20, vcc, 0, v40, vcc
	global_load_dwordx2 v[19:20], v[19:20], off offset:1536
	s_or_b64 exec, exec, s[82:83]
	v_cmp_lt_u32_e32 vcc, v167, v176
	s_and_saveexec_b64 s[82:83], vcc
	s_cbranch_execz .LBB841_1098
.LBB841_1164:                           ;   in Loop: Header=BB841_988 Depth=2
	v_add_co_u32_e32 v15, vcc, 0x1000, v39
	v_addc_co_u32_e32 v16, vcc, 0, v40, vcc
	global_load_dwordx2 v[15:16], v[15:16], off offset:2048
	s_or_b64 exec, exec, s[82:83]
	v_cmp_lt_u32_e32 vcc, v168, v176
	s_and_saveexec_b64 s[82:83], vcc
	s_cbranch_execz .LBB841_1099
.LBB841_1165:                           ;   in Loop: Header=BB841_988 Depth=2
	v_add_co_u32_e32 v11, vcc, 0x1000, v39
	v_addc_co_u32_e32 v12, vcc, 0, v40, vcc
	global_load_dwordx2 v[11:12], v[11:12], off offset:2560
	s_or_b64 exec, exec, s[82:83]
	v_cmp_lt_u32_e32 vcc, v169, v176
	s_and_saveexec_b64 s[82:83], vcc
	s_cbranch_execz .LBB841_1100
.LBB841_1166:                           ;   in Loop: Header=BB841_988 Depth=2
	v_add_co_u32_e32 v9, vcc, 0x1000, v39
	v_addc_co_u32_e32 v10, vcc, 0, v40, vcc
	global_load_dwordx2 v[9:10], v[9:10], off offset:3072
	s_or_b64 exec, exec, s[82:83]
	v_cmp_lt_u32_e32 vcc, v170, v176
	s_and_saveexec_b64 s[82:83], vcc
	s_cbranch_execz .LBB841_1101
.LBB841_1167:                           ;   in Loop: Header=BB841_988 Depth=2
	v_add_co_u32_e32 v7, vcc, 0x1000, v39
	v_addc_co_u32_e32 v8, vcc, 0, v40, vcc
	global_load_dwordx2 v[7:8], v[7:8], off offset:3584
	s_or_b64 exec, exec, s[82:83]
	s_and_saveexec_b64 s[82:83], s[40:41]
	s_cbranch_execz .LBB841_1102
.LBB841_1168:                           ;   in Loop: Header=BB841_988 Depth=2
	ds_read_b64 v[39:40], v106 offset:512
	s_waitcnt lgkmcnt(0)
	v_lshrrev_b64 v[39:40], s88, v[39:40]
	v_and_b32_e32 v152, s98, v39
	s_or_b64 exec, exec, s[82:83]
	s_and_saveexec_b64 s[82:83], s[42:43]
	s_cbranch_execz .LBB841_1103
.LBB841_1169:                           ;   in Loop: Header=BB841_988 Depth=2
	ds_read_b64 v[39:40], v106 offset:2560
	s_waitcnt lgkmcnt(0)
	v_lshrrev_b64 v[39:40], s88, v[39:40]
	v_and_b32_e32 v151, s98, v39
	s_or_b64 exec, exec, s[82:83]
	s_and_saveexec_b64 s[82:83], s[44:45]
	s_cbranch_execz .LBB841_1104
.LBB841_1170:                           ;   in Loop: Header=BB841_988 Depth=2
	ds_read_b64 v[39:40], v106 offset:4608
	s_waitcnt lgkmcnt(0)
	v_lshrrev_b64 v[39:40], s88, v[39:40]
	v_and_b32_e32 v150, s98, v39
	s_or_b64 exec, exec, s[82:83]
	s_and_saveexec_b64 s[82:83], s[46:47]
	s_cbranch_execz .LBB841_1105
.LBB841_1171:                           ;   in Loop: Header=BB841_988 Depth=2
	ds_read_b64 v[39:40], v106 offset:6656
	s_waitcnt lgkmcnt(0)
	v_lshrrev_b64 v[39:40], s88, v[39:40]
	v_and_b32_e32 v149, s98, v39
	s_or_b64 exec, exec, s[82:83]
	s_and_saveexec_b64 s[82:83], s[48:49]
	s_cbranch_execz .LBB841_1106
.LBB841_1172:                           ;   in Loop: Header=BB841_988 Depth=2
	ds_read_b64 v[39:40], v106 offset:8704
	s_waitcnt lgkmcnt(0)
	v_lshrrev_b64 v[39:40], s88, v[39:40]
	v_and_b32_e32 v148, s98, v39
	s_or_b64 exec, exec, s[82:83]
	s_and_saveexec_b64 s[82:83], s[50:51]
	s_cbranch_execz .LBB841_1107
.LBB841_1173:                           ;   in Loop: Header=BB841_988 Depth=2
	ds_read_b64 v[39:40], v106 offset:10752
	s_waitcnt lgkmcnt(0)
	v_lshrrev_b64 v[39:40], s88, v[39:40]
	v_and_b32_e32 v147, s98, v39
	s_or_b64 exec, exec, s[82:83]
	s_and_saveexec_b64 s[82:83], s[52:53]
	s_cbranch_execz .LBB841_1108
.LBB841_1174:                           ;   in Loop: Header=BB841_988 Depth=2
	ds_read_b64 v[39:40], v106 offset:12800
	s_waitcnt lgkmcnt(0)
	v_lshrrev_b64 v[39:40], s88, v[39:40]
	v_and_b32_e32 v146, s98, v39
	s_or_b64 exec, exec, s[82:83]
	s_and_saveexec_b64 s[82:83], s[54:55]
	s_cbranch_execz .LBB841_1109
.LBB841_1175:                           ;   in Loop: Header=BB841_988 Depth=2
	ds_read_b64 v[39:40], v106 offset:14848
	s_waitcnt lgkmcnt(0)
	v_lshrrev_b64 v[39:40], s88, v[39:40]
	v_and_b32_e32 v145, s98, v39
	s_or_b64 exec, exec, s[82:83]
	s_and_saveexec_b64 s[82:83], s[56:57]
	s_cbranch_execz .LBB841_1110
.LBB841_1176:                           ;   in Loop: Header=BB841_988 Depth=2
	ds_read_b64 v[39:40], v106 offset:16896
	s_waitcnt lgkmcnt(0)
	v_lshrrev_b64 v[39:40], s88, v[39:40]
	v_and_b32_e32 v144, s98, v39
	s_or_b64 exec, exec, s[82:83]
	s_and_saveexec_b64 s[82:83], s[58:59]
	s_cbranch_execz .LBB841_1111
.LBB841_1177:                           ;   in Loop: Header=BB841_988 Depth=2
	ds_read_b64 v[39:40], v106 offset:18944
	s_waitcnt lgkmcnt(0)
	v_lshrrev_b64 v[39:40], s88, v[39:40]
	v_and_b32_e32 v143, s98, v39
	s_or_b64 exec, exec, s[82:83]
	s_and_saveexec_b64 s[82:83], s[60:61]
	s_cbranch_execz .LBB841_1112
.LBB841_1178:                           ;   in Loop: Header=BB841_988 Depth=2
	ds_read_b64 v[39:40], v106 offset:20992
	s_waitcnt lgkmcnt(0)
	v_lshrrev_b64 v[39:40], s88, v[39:40]
	v_and_b32_e32 v142, s98, v39
	s_or_b64 exec, exec, s[82:83]
	s_and_saveexec_b64 s[82:83], s[62:63]
	s_cbranch_execz .LBB841_1113
.LBB841_1179:                           ;   in Loop: Header=BB841_988 Depth=2
	ds_read_b64 v[39:40], v106 offset:23040
	s_waitcnt lgkmcnt(0)
	v_lshrrev_b64 v[39:40], s88, v[39:40]
	v_and_b32_e32 v141, s98, v39
	s_or_b64 exec, exec, s[82:83]
	s_and_saveexec_b64 s[82:83], s[64:65]
	s_cbranch_execz .LBB841_1114
.LBB841_1180:                           ;   in Loop: Header=BB841_988 Depth=2
	ds_read_b64 v[39:40], v106 offset:25088
	s_waitcnt lgkmcnt(0)
	v_lshrrev_b64 v[39:40], s88, v[39:40]
	v_and_b32_e32 v140, s98, v39
	s_or_b64 exec, exec, s[82:83]
	s_and_saveexec_b64 s[82:83], s[66:67]
	s_cbranch_execz .LBB841_1115
.LBB841_1181:                           ;   in Loop: Header=BB841_988 Depth=2
	ds_read_b64 v[39:40], v106 offset:27136
	s_waitcnt lgkmcnt(0)
	v_lshrrev_b64 v[39:40], s88, v[39:40]
	v_and_b32_e32 v139, s98, v39
	s_or_b64 exec, exec, s[82:83]
	s_and_saveexec_b64 s[82:83], s[68:69]
	s_cbranch_execz .LBB841_1116
.LBB841_1182:                           ;   in Loop: Header=BB841_988 Depth=2
	ds_read_b64 v[39:40], v106 offset:29184
	s_waitcnt lgkmcnt(0)
	v_lshrrev_b64 v[39:40], s88, v[39:40]
	v_and_b32_e32 v138, s98, v39
	s_or_b64 exec, exec, s[82:83]
	s_and_saveexec_b64 s[82:83], s[70:71]
	s_cbranch_execnz .LBB841_1117
	s_branch .LBB841_1118
.LBB841_1183:                           ;   in Loop: Header=BB841_988 Depth=2
	v_lshlrev_b32_e32 v4, 2, v152
	ds_read_b32 v4, v4
	ds_read_b64 v[39:40], v106 offset:512
	v_mov_b32_e32 v42, v3
	v_mov_b32_e32 v43, s87
	s_waitcnt lgkmcnt(1)
	v_add_u32_e32 v41, v4, v0
	v_lshlrev_b64 v[41:42], 3, v[41:42]
	v_add_co_u32_e32 v41, vcc, s86, v41
	v_addc_co_u32_e32 v42, vcc, v43, v42, vcc
	s_waitcnt lgkmcnt(0)
	global_store_dwordx2 v[41:42], v[39:40], off
	s_or_b64 exec, exec, s[82:83]
	s_and_saveexec_b64 s[40:41], s[42:43]
	s_cbranch_execz .LBB841_1120
.LBB841_1184:                           ;   in Loop: Header=BB841_988 Depth=2
	v_lshlrev_b32_e32 v4, 2, v151
	ds_read_b32 v4, v4
	ds_read_b64 v[39:40], v106 offset:2560
	v_mov_b32_e32 v42, v3
	v_mov_b32_e32 v43, s87
	s_waitcnt lgkmcnt(1)
	v_add_u32_e32 v41, v4, v74
	v_lshlrev_b64 v[41:42], 3, v[41:42]
	v_add_co_u32_e32 v41, vcc, s86, v41
	v_addc_co_u32_e32 v42, vcc, v43, v42, vcc
	s_waitcnt lgkmcnt(0)
	global_store_dwordx2 v[41:42], v[39:40], off
	s_or_b64 exec, exec, s[40:41]
	s_and_saveexec_b64 s[40:41], s[44:45]
	s_cbranch_execz .LBB841_1121
.LBB841_1185:                           ;   in Loop: Header=BB841_988 Depth=2
	v_lshlrev_b32_e32 v4, 2, v150
	ds_read_b32 v4, v4
	ds_read_b64 v[39:40], v106 offset:4608
	v_mov_b32_e32 v42, v3
	v_mov_b32_e32 v43, s87
	s_waitcnt lgkmcnt(1)
	v_add_u32_e32 v41, v4, v77
	v_lshlrev_b64 v[41:42], 3, v[41:42]
	v_add_co_u32_e32 v41, vcc, s86, v41
	v_addc_co_u32_e32 v42, vcc, v43, v42, vcc
	s_waitcnt lgkmcnt(0)
	global_store_dwordx2 v[41:42], v[39:40], off
	s_or_b64 exec, exec, s[40:41]
	s_and_saveexec_b64 s[40:41], s[46:47]
	s_cbranch_execz .LBB841_1122
.LBB841_1186:                           ;   in Loop: Header=BB841_988 Depth=2
	v_lshlrev_b32_e32 v4, 2, v149
	ds_read_b32 v4, v4
	ds_read_b64 v[39:40], v106 offset:6656
	v_mov_b32_e32 v42, v3
	v_mov_b32_e32 v43, s87
	s_waitcnt lgkmcnt(1)
	v_add_u32_e32 v41, v4, v78
	v_lshlrev_b64 v[41:42], 3, v[41:42]
	v_add_co_u32_e32 v41, vcc, s86, v41
	v_addc_co_u32_e32 v42, vcc, v43, v42, vcc
	s_waitcnt lgkmcnt(0)
	global_store_dwordx2 v[41:42], v[39:40], off
	s_or_b64 exec, exec, s[40:41]
	s_and_saveexec_b64 s[40:41], s[48:49]
	s_cbranch_execz .LBB841_1123
.LBB841_1187:                           ;   in Loop: Header=BB841_988 Depth=2
	v_lshlrev_b32_e32 v4, 2, v148
	ds_read_b32 v4, v4
	ds_read_b64 v[39:40], v106 offset:8704
	v_mov_b32_e32 v42, v3
	v_mov_b32_e32 v43, s87
	s_waitcnt lgkmcnt(1)
	v_add_u32_e32 v41, v4, v79
	v_lshlrev_b64 v[41:42], 3, v[41:42]
	v_add_co_u32_e32 v41, vcc, s86, v41
	v_addc_co_u32_e32 v42, vcc, v43, v42, vcc
	s_waitcnt lgkmcnt(0)
	global_store_dwordx2 v[41:42], v[39:40], off
	s_or_b64 exec, exec, s[40:41]
	s_and_saveexec_b64 s[40:41], s[50:51]
	s_cbranch_execz .LBB841_1124
.LBB841_1188:                           ;   in Loop: Header=BB841_988 Depth=2
	v_lshlrev_b32_e32 v4, 2, v147
	ds_read_b32 v4, v4
	ds_read_b64 v[39:40], v106 offset:10752
	v_mov_b32_e32 v42, v3
	v_mov_b32_e32 v43, s87
	s_waitcnt lgkmcnt(1)
	v_add_u32_e32 v41, v4, v80
	v_lshlrev_b64 v[41:42], 3, v[41:42]
	v_add_co_u32_e32 v41, vcc, s86, v41
	v_addc_co_u32_e32 v42, vcc, v43, v42, vcc
	s_waitcnt lgkmcnt(0)
	global_store_dwordx2 v[41:42], v[39:40], off
	s_or_b64 exec, exec, s[40:41]
	s_and_saveexec_b64 s[40:41], s[52:53]
	s_cbranch_execz .LBB841_1125
.LBB841_1189:                           ;   in Loop: Header=BB841_988 Depth=2
	v_lshlrev_b32_e32 v4, 2, v146
	ds_read_b32 v4, v4
	ds_read_b64 v[39:40], v106 offset:12800
	v_mov_b32_e32 v42, v3
	v_mov_b32_e32 v43, s87
	s_waitcnt lgkmcnt(1)
	v_add_u32_e32 v41, v4, v81
	v_lshlrev_b64 v[41:42], 3, v[41:42]
	v_add_co_u32_e32 v41, vcc, s86, v41
	v_addc_co_u32_e32 v42, vcc, v43, v42, vcc
	s_waitcnt lgkmcnt(0)
	global_store_dwordx2 v[41:42], v[39:40], off
	s_or_b64 exec, exec, s[40:41]
	s_and_saveexec_b64 s[40:41], s[54:55]
	s_cbranch_execz .LBB841_1126
.LBB841_1190:                           ;   in Loop: Header=BB841_988 Depth=2
	v_lshlrev_b32_e32 v4, 2, v145
	ds_read_b32 v4, v4
	ds_read_b64 v[39:40], v106 offset:14848
	v_mov_b32_e32 v42, v3
	v_mov_b32_e32 v43, s87
	s_waitcnt lgkmcnt(1)
	v_add_u32_e32 v41, v4, v82
	v_lshlrev_b64 v[41:42], 3, v[41:42]
	v_add_co_u32_e32 v41, vcc, s86, v41
	v_addc_co_u32_e32 v42, vcc, v43, v42, vcc
	s_waitcnt lgkmcnt(0)
	global_store_dwordx2 v[41:42], v[39:40], off
	s_or_b64 exec, exec, s[40:41]
	s_and_saveexec_b64 s[40:41], s[56:57]
	s_cbranch_execz .LBB841_1127
.LBB841_1191:                           ;   in Loop: Header=BB841_988 Depth=2
	v_lshlrev_b32_e32 v4, 2, v144
	ds_read_b32 v4, v4
	ds_read_b64 v[39:40], v106 offset:16896
	v_mov_b32_e32 v42, v3
	v_mov_b32_e32 v43, s87
	s_waitcnt lgkmcnt(1)
	v_add_u32_e32 v41, v4, v83
	v_lshlrev_b64 v[41:42], 3, v[41:42]
	v_add_co_u32_e32 v41, vcc, s86, v41
	v_addc_co_u32_e32 v42, vcc, v43, v42, vcc
	s_waitcnt lgkmcnt(0)
	global_store_dwordx2 v[41:42], v[39:40], off
	s_or_b64 exec, exec, s[40:41]
	s_and_saveexec_b64 s[40:41], s[58:59]
	s_cbranch_execz .LBB841_1128
.LBB841_1192:                           ;   in Loop: Header=BB841_988 Depth=2
	v_lshlrev_b32_e32 v4, 2, v143
	ds_read_b32 v4, v4
	ds_read_b64 v[39:40], v106 offset:18944
	v_mov_b32_e32 v42, v3
	v_mov_b32_e32 v43, s87
	s_waitcnt lgkmcnt(1)
	v_add_u32_e32 v41, v4, v84
	v_lshlrev_b64 v[41:42], 3, v[41:42]
	v_add_co_u32_e32 v41, vcc, s86, v41
	v_addc_co_u32_e32 v42, vcc, v43, v42, vcc
	s_waitcnt lgkmcnt(0)
	global_store_dwordx2 v[41:42], v[39:40], off
	s_or_b64 exec, exec, s[40:41]
	s_and_saveexec_b64 s[40:41], s[60:61]
	s_cbranch_execz .LBB841_1129
.LBB841_1193:                           ;   in Loop: Header=BB841_988 Depth=2
	v_lshlrev_b32_e32 v4, 2, v142
	ds_read_b32 v4, v4
	ds_read_b64 v[39:40], v106 offset:20992
	v_mov_b32_e32 v42, v3
	v_mov_b32_e32 v43, s87
	s_waitcnt lgkmcnt(1)
	v_add_u32_e32 v41, v4, v85
	v_lshlrev_b64 v[41:42], 3, v[41:42]
	v_add_co_u32_e32 v41, vcc, s86, v41
	v_addc_co_u32_e32 v42, vcc, v43, v42, vcc
	s_waitcnt lgkmcnt(0)
	global_store_dwordx2 v[41:42], v[39:40], off
	s_or_b64 exec, exec, s[40:41]
	s_and_saveexec_b64 s[40:41], s[62:63]
	s_cbranch_execz .LBB841_1130
.LBB841_1194:                           ;   in Loop: Header=BB841_988 Depth=2
	v_lshlrev_b32_e32 v4, 2, v141
	ds_read_b32 v4, v4
	ds_read_b64 v[39:40], v106 offset:23040
	v_mov_b32_e32 v42, v3
	v_mov_b32_e32 v43, s87
	s_waitcnt lgkmcnt(1)
	v_add_u32_e32 v41, v4, v86
	v_lshlrev_b64 v[41:42], 3, v[41:42]
	v_add_co_u32_e32 v41, vcc, s86, v41
	v_addc_co_u32_e32 v42, vcc, v43, v42, vcc
	s_waitcnt lgkmcnt(0)
	global_store_dwordx2 v[41:42], v[39:40], off
	s_or_b64 exec, exec, s[40:41]
	s_and_saveexec_b64 s[40:41], s[64:65]
	s_cbranch_execz .LBB841_1131
.LBB841_1195:                           ;   in Loop: Header=BB841_988 Depth=2
	v_lshlrev_b32_e32 v4, 2, v140
	ds_read_b32 v4, v4
	ds_read_b64 v[39:40], v106 offset:25088
	v_mov_b32_e32 v42, v3
	v_mov_b32_e32 v43, s87
	s_waitcnt lgkmcnt(1)
	v_add_u32_e32 v41, v4, v87
	v_lshlrev_b64 v[41:42], 3, v[41:42]
	v_add_co_u32_e32 v41, vcc, s86, v41
	v_addc_co_u32_e32 v42, vcc, v43, v42, vcc
	s_waitcnt lgkmcnt(0)
	global_store_dwordx2 v[41:42], v[39:40], off
	s_or_b64 exec, exec, s[40:41]
	s_and_saveexec_b64 s[40:41], s[66:67]
	s_cbranch_execz .LBB841_1132
.LBB841_1196:                           ;   in Loop: Header=BB841_988 Depth=2
	v_lshlrev_b32_e32 v4, 2, v139
	ds_read_b32 v4, v4
	ds_read_b64 v[39:40], v106 offset:27136
	v_mov_b32_e32 v42, v3
	v_mov_b32_e32 v43, s87
	s_waitcnt lgkmcnt(1)
	v_add_u32_e32 v41, v4, v88
	v_lshlrev_b64 v[41:42], 3, v[41:42]
	v_add_co_u32_e32 v41, vcc, s86, v41
	v_addc_co_u32_e32 v42, vcc, v43, v42, vcc
	s_waitcnt lgkmcnt(0)
	global_store_dwordx2 v[41:42], v[39:40], off
	s_or_b64 exec, exec, s[40:41]
	s_and_saveexec_b64 s[40:41], s[68:69]
	s_cbranch_execz .LBB841_1133
.LBB841_1197:                           ;   in Loop: Header=BB841_988 Depth=2
	v_lshlrev_b32_e32 v4, 2, v138
	ds_read_b32 v4, v4
	ds_read_b64 v[39:40], v106 offset:29184
	v_mov_b32_e32 v42, v3
	v_mov_b32_e32 v43, s87
	s_waitcnt lgkmcnt(1)
	v_add_u32_e32 v41, v4, v89
	v_lshlrev_b64 v[41:42], 3, v[41:42]
	v_add_co_u32_e32 v41, vcc, s86, v41
	v_addc_co_u32_e32 v42, vcc, v43, v42, vcc
	s_waitcnt lgkmcnt(0)
	global_store_dwordx2 v[41:42], v[39:40], off
	s_or_b64 exec, exec, s[40:41]
	s_and_saveexec_b64 s[40:41], s[70:71]
	s_cbranch_execnz .LBB841_1134
	s_branch .LBB841_1135
.LBB841_1198:
	s_endpgm
	.section	.rodata,"a",@progbits
	.p2align	6, 0x0
	.amdhsa_kernel _ZN7rocprim17ROCPRIM_400000_NS6detail17trampoline_kernelINS0_14default_configENS1_36segmented_radix_sort_config_selectorIllEEZNS1_25segmented_radix_sort_implIS3_Lb0EPKlPlS8_S9_N2at6native12_GLOBAL__N_18offset_tEEE10hipError_tPvRmT1_PNSt15iterator_traitsISH_E10value_typeET2_T3_PNSI_ISN_E10value_typeET4_jRbjT5_ST_jjP12ihipStream_tbEUlT_E2_NS1_11comp_targetILNS1_3genE2ELNS1_11target_archE906ELNS1_3gpuE6ELNS1_3repE0EEENS1_30default_config_static_selectorELNS0_4arch9wavefront6targetE1EEEvSH_
		.amdhsa_group_segment_fixed_size 33288
		.amdhsa_private_segment_fixed_size 160
		.amdhsa_kernarg_size 336
		.amdhsa_user_sgpr_count 6
		.amdhsa_user_sgpr_private_segment_buffer 1
		.amdhsa_user_sgpr_dispatch_ptr 0
		.amdhsa_user_sgpr_queue_ptr 0
		.amdhsa_user_sgpr_kernarg_segment_ptr 1
		.amdhsa_user_sgpr_dispatch_id 0
		.amdhsa_user_sgpr_flat_scratch_init 0
		.amdhsa_user_sgpr_private_segment_size 0
		.amdhsa_uses_dynamic_stack 0
		.amdhsa_system_sgpr_private_segment_wavefront_offset 1
		.amdhsa_system_sgpr_workgroup_id_x 1
		.amdhsa_system_sgpr_workgroup_id_y 1
		.amdhsa_system_sgpr_workgroup_id_z 0
		.amdhsa_system_sgpr_workgroup_info 0
		.amdhsa_system_vgpr_workitem_id 2
		.amdhsa_next_free_vgpr 248
		.amdhsa_next_free_sgpr 100
		.amdhsa_reserve_vcc 1
		.amdhsa_reserve_flat_scratch 0
		.amdhsa_float_round_mode_32 0
		.amdhsa_float_round_mode_16_64 0
		.amdhsa_float_denorm_mode_32 3
		.amdhsa_float_denorm_mode_16_64 3
		.amdhsa_dx10_clamp 1
		.amdhsa_ieee_mode 1
		.amdhsa_fp16_overflow 0
		.amdhsa_exception_fp_ieee_invalid_op 0
		.amdhsa_exception_fp_denorm_src 0
		.amdhsa_exception_fp_ieee_div_zero 0
		.amdhsa_exception_fp_ieee_overflow 0
		.amdhsa_exception_fp_ieee_underflow 0
		.amdhsa_exception_fp_ieee_inexact 0
		.amdhsa_exception_int_div_zero 0
	.end_amdhsa_kernel
	.section	.text._ZN7rocprim17ROCPRIM_400000_NS6detail17trampoline_kernelINS0_14default_configENS1_36segmented_radix_sort_config_selectorIllEEZNS1_25segmented_radix_sort_implIS3_Lb0EPKlPlS8_S9_N2at6native12_GLOBAL__N_18offset_tEEE10hipError_tPvRmT1_PNSt15iterator_traitsISH_E10value_typeET2_T3_PNSI_ISN_E10value_typeET4_jRbjT5_ST_jjP12ihipStream_tbEUlT_E2_NS1_11comp_targetILNS1_3genE2ELNS1_11target_archE906ELNS1_3gpuE6ELNS1_3repE0EEENS1_30default_config_static_selectorELNS0_4arch9wavefront6targetE1EEEvSH_,"axG",@progbits,_ZN7rocprim17ROCPRIM_400000_NS6detail17trampoline_kernelINS0_14default_configENS1_36segmented_radix_sort_config_selectorIllEEZNS1_25segmented_radix_sort_implIS3_Lb0EPKlPlS8_S9_N2at6native12_GLOBAL__N_18offset_tEEE10hipError_tPvRmT1_PNSt15iterator_traitsISH_E10value_typeET2_T3_PNSI_ISN_E10value_typeET4_jRbjT5_ST_jjP12ihipStream_tbEUlT_E2_NS1_11comp_targetILNS1_3genE2ELNS1_11target_archE906ELNS1_3gpuE6ELNS1_3repE0EEENS1_30default_config_static_selectorELNS0_4arch9wavefront6targetE1EEEvSH_,comdat
.Lfunc_end841:
	.size	_ZN7rocprim17ROCPRIM_400000_NS6detail17trampoline_kernelINS0_14default_configENS1_36segmented_radix_sort_config_selectorIllEEZNS1_25segmented_radix_sort_implIS3_Lb0EPKlPlS8_S9_N2at6native12_GLOBAL__N_18offset_tEEE10hipError_tPvRmT1_PNSt15iterator_traitsISH_E10value_typeET2_T3_PNSI_ISN_E10value_typeET4_jRbjT5_ST_jjP12ihipStream_tbEUlT_E2_NS1_11comp_targetILNS1_3genE2ELNS1_11target_archE906ELNS1_3gpuE6ELNS1_3repE0EEENS1_30default_config_static_selectorELNS0_4arch9wavefront6targetE1EEEvSH_, .Lfunc_end841-_ZN7rocprim17ROCPRIM_400000_NS6detail17trampoline_kernelINS0_14default_configENS1_36segmented_radix_sort_config_selectorIllEEZNS1_25segmented_radix_sort_implIS3_Lb0EPKlPlS8_S9_N2at6native12_GLOBAL__N_18offset_tEEE10hipError_tPvRmT1_PNSt15iterator_traitsISH_E10value_typeET2_T3_PNSI_ISN_E10value_typeET4_jRbjT5_ST_jjP12ihipStream_tbEUlT_E2_NS1_11comp_targetILNS1_3genE2ELNS1_11target_archE906ELNS1_3gpuE6ELNS1_3repE0EEENS1_30default_config_static_selectorELNS0_4arch9wavefront6targetE1EEEvSH_
                                        ; -- End function
	.set _ZN7rocprim17ROCPRIM_400000_NS6detail17trampoline_kernelINS0_14default_configENS1_36segmented_radix_sort_config_selectorIllEEZNS1_25segmented_radix_sort_implIS3_Lb0EPKlPlS8_S9_N2at6native12_GLOBAL__N_18offset_tEEE10hipError_tPvRmT1_PNSt15iterator_traitsISH_E10value_typeET2_T3_PNSI_ISN_E10value_typeET4_jRbjT5_ST_jjP12ihipStream_tbEUlT_E2_NS1_11comp_targetILNS1_3genE2ELNS1_11target_archE906ELNS1_3gpuE6ELNS1_3repE0EEENS1_30default_config_static_selectorELNS0_4arch9wavefront6targetE1EEEvSH_.num_vgpr, max(233, .L_ZN7rocprim17ROCPRIM_400000_NS6detail26segmented_warp_sort_helperINS1_20WarpSortHelperConfigILj8ELj8ELj256EEEllLi256ELb0EvE4sortIPKlPlS8_S9_EEvT_T0_T1_T2_jjjjRNS5_12storage_typeE.num_vgpr, .L_ZN7rocprim17ROCPRIM_400000_NS6detail40segmented_radix_sort_single_block_helperIllLj256ELj16ELb0EE4sortIPKlPlS6_S7_EEbT_T0_T1_T2_jjjjRNS3_12storage_typeE.num_vgpr)
	.set _ZN7rocprim17ROCPRIM_400000_NS6detail17trampoline_kernelINS0_14default_configENS1_36segmented_radix_sort_config_selectorIllEEZNS1_25segmented_radix_sort_implIS3_Lb0EPKlPlS8_S9_N2at6native12_GLOBAL__N_18offset_tEEE10hipError_tPvRmT1_PNSt15iterator_traitsISH_E10value_typeET2_T3_PNSI_ISN_E10value_typeET4_jRbjT5_ST_jjP12ihipStream_tbEUlT_E2_NS1_11comp_targetILNS1_3genE2ELNS1_11target_archE906ELNS1_3gpuE6ELNS1_3repE0EEENS1_30default_config_static_selectorELNS0_4arch9wavefront6targetE1EEEvSH_.num_agpr, max(0, .L_ZN7rocprim17ROCPRIM_400000_NS6detail26segmented_warp_sort_helperINS1_20WarpSortHelperConfigILj8ELj8ELj256EEEllLi256ELb0EvE4sortIPKlPlS8_S9_EEvT_T0_T1_T2_jjjjRNS5_12storage_typeE.num_agpr, .L_ZN7rocprim17ROCPRIM_400000_NS6detail40segmented_radix_sort_single_block_helperIllLj256ELj16ELb0EE4sortIPKlPlS6_S7_EEbT_T0_T1_T2_jjjjRNS3_12storage_typeE.num_agpr)
	.set _ZN7rocprim17ROCPRIM_400000_NS6detail17trampoline_kernelINS0_14default_configENS1_36segmented_radix_sort_config_selectorIllEEZNS1_25segmented_radix_sort_implIS3_Lb0EPKlPlS8_S9_N2at6native12_GLOBAL__N_18offset_tEEE10hipError_tPvRmT1_PNSt15iterator_traitsISH_E10value_typeET2_T3_PNSI_ISN_E10value_typeET4_jRbjT5_ST_jjP12ihipStream_tbEUlT_E2_NS1_11comp_targetILNS1_3genE2ELNS1_11target_archE906ELNS1_3gpuE6ELNS1_3repE0EEENS1_30default_config_static_selectorELNS0_4arch9wavefront6targetE1EEEvSH_.numbered_sgpr, max(100, .L_ZN7rocprim17ROCPRIM_400000_NS6detail26segmented_warp_sort_helperINS1_20WarpSortHelperConfigILj8ELj8ELj256EEEllLi256ELb0EvE4sortIPKlPlS8_S9_EEvT_T0_T1_T2_jjjjRNS5_12storage_typeE.numbered_sgpr, .L_ZN7rocprim17ROCPRIM_400000_NS6detail40segmented_radix_sort_single_block_helperIllLj256ELj16ELb0EE4sortIPKlPlS6_S7_EEbT_T0_T1_T2_jjjjRNS3_12storage_typeE.numbered_sgpr)
	.set _ZN7rocprim17ROCPRIM_400000_NS6detail17trampoline_kernelINS0_14default_configENS1_36segmented_radix_sort_config_selectorIllEEZNS1_25segmented_radix_sort_implIS3_Lb0EPKlPlS8_S9_N2at6native12_GLOBAL__N_18offset_tEEE10hipError_tPvRmT1_PNSt15iterator_traitsISH_E10value_typeET2_T3_PNSI_ISN_E10value_typeET4_jRbjT5_ST_jjP12ihipStream_tbEUlT_E2_NS1_11comp_targetILNS1_3genE2ELNS1_11target_archE906ELNS1_3gpuE6ELNS1_3repE0EEENS1_30default_config_static_selectorELNS0_4arch9wavefront6targetE1EEEvSH_.num_named_barrier, max(0, .L_ZN7rocprim17ROCPRIM_400000_NS6detail26segmented_warp_sort_helperINS1_20WarpSortHelperConfigILj8ELj8ELj256EEEllLi256ELb0EvE4sortIPKlPlS8_S9_EEvT_T0_T1_T2_jjjjRNS5_12storage_typeE.num_named_barrier, .L_ZN7rocprim17ROCPRIM_400000_NS6detail40segmented_radix_sort_single_block_helperIllLj256ELj16ELb0EE4sortIPKlPlS6_S7_EEbT_T0_T1_T2_jjjjRNS3_12storage_typeE.num_named_barrier)
	.set _ZN7rocprim17ROCPRIM_400000_NS6detail17trampoline_kernelINS0_14default_configENS1_36segmented_radix_sort_config_selectorIllEEZNS1_25segmented_radix_sort_implIS3_Lb0EPKlPlS8_S9_N2at6native12_GLOBAL__N_18offset_tEEE10hipError_tPvRmT1_PNSt15iterator_traitsISH_E10value_typeET2_T3_PNSI_ISN_E10value_typeET4_jRbjT5_ST_jjP12ihipStream_tbEUlT_E2_NS1_11comp_targetILNS1_3genE2ELNS1_11target_archE906ELNS1_3gpuE6ELNS1_3repE0EEENS1_30default_config_static_selectorELNS0_4arch9wavefront6targetE1EEEvSH_.private_seg_size, 0+max(.L_ZN7rocprim17ROCPRIM_400000_NS6detail26segmented_warp_sort_helperINS1_20WarpSortHelperConfigILj8ELj8ELj256EEEllLi256ELb0EvE4sortIPKlPlS8_S9_EEvT_T0_T1_T2_jjjjRNS5_12storage_typeE.private_seg_size, .L_ZN7rocprim17ROCPRIM_400000_NS6detail40segmented_radix_sort_single_block_helperIllLj256ELj16ELb0EE4sortIPKlPlS6_S7_EEbT_T0_T1_T2_jjjjRNS3_12storage_typeE.private_seg_size)
	.set _ZN7rocprim17ROCPRIM_400000_NS6detail17trampoline_kernelINS0_14default_configENS1_36segmented_radix_sort_config_selectorIllEEZNS1_25segmented_radix_sort_implIS3_Lb0EPKlPlS8_S9_N2at6native12_GLOBAL__N_18offset_tEEE10hipError_tPvRmT1_PNSt15iterator_traitsISH_E10value_typeET2_T3_PNSI_ISN_E10value_typeET4_jRbjT5_ST_jjP12ihipStream_tbEUlT_E2_NS1_11comp_targetILNS1_3genE2ELNS1_11target_archE906ELNS1_3gpuE6ELNS1_3repE0EEENS1_30default_config_static_selectorELNS0_4arch9wavefront6targetE1EEEvSH_.uses_vcc, or(1, .L_ZN7rocprim17ROCPRIM_400000_NS6detail26segmented_warp_sort_helperINS1_20WarpSortHelperConfigILj8ELj8ELj256EEEllLi256ELb0EvE4sortIPKlPlS8_S9_EEvT_T0_T1_T2_jjjjRNS5_12storage_typeE.uses_vcc, .L_ZN7rocprim17ROCPRIM_400000_NS6detail40segmented_radix_sort_single_block_helperIllLj256ELj16ELb0EE4sortIPKlPlS6_S7_EEbT_T0_T1_T2_jjjjRNS3_12storage_typeE.uses_vcc)
	.set _ZN7rocprim17ROCPRIM_400000_NS6detail17trampoline_kernelINS0_14default_configENS1_36segmented_radix_sort_config_selectorIllEEZNS1_25segmented_radix_sort_implIS3_Lb0EPKlPlS8_S9_N2at6native12_GLOBAL__N_18offset_tEEE10hipError_tPvRmT1_PNSt15iterator_traitsISH_E10value_typeET2_T3_PNSI_ISN_E10value_typeET4_jRbjT5_ST_jjP12ihipStream_tbEUlT_E2_NS1_11comp_targetILNS1_3genE2ELNS1_11target_archE906ELNS1_3gpuE6ELNS1_3repE0EEENS1_30default_config_static_selectorELNS0_4arch9wavefront6targetE1EEEvSH_.uses_flat_scratch, or(0, .L_ZN7rocprim17ROCPRIM_400000_NS6detail26segmented_warp_sort_helperINS1_20WarpSortHelperConfigILj8ELj8ELj256EEEllLi256ELb0EvE4sortIPKlPlS8_S9_EEvT_T0_T1_T2_jjjjRNS5_12storage_typeE.uses_flat_scratch, .L_ZN7rocprim17ROCPRIM_400000_NS6detail40segmented_radix_sort_single_block_helperIllLj256ELj16ELb0EE4sortIPKlPlS6_S7_EEbT_T0_T1_T2_jjjjRNS3_12storage_typeE.uses_flat_scratch)
	.set _ZN7rocprim17ROCPRIM_400000_NS6detail17trampoline_kernelINS0_14default_configENS1_36segmented_radix_sort_config_selectorIllEEZNS1_25segmented_radix_sort_implIS3_Lb0EPKlPlS8_S9_N2at6native12_GLOBAL__N_18offset_tEEE10hipError_tPvRmT1_PNSt15iterator_traitsISH_E10value_typeET2_T3_PNSI_ISN_E10value_typeET4_jRbjT5_ST_jjP12ihipStream_tbEUlT_E2_NS1_11comp_targetILNS1_3genE2ELNS1_11target_archE906ELNS1_3gpuE6ELNS1_3repE0EEENS1_30default_config_static_selectorELNS0_4arch9wavefront6targetE1EEEvSH_.has_dyn_sized_stack, or(0, .L_ZN7rocprim17ROCPRIM_400000_NS6detail26segmented_warp_sort_helperINS1_20WarpSortHelperConfigILj8ELj8ELj256EEEllLi256ELb0EvE4sortIPKlPlS8_S9_EEvT_T0_T1_T2_jjjjRNS5_12storage_typeE.has_dyn_sized_stack, .L_ZN7rocprim17ROCPRIM_400000_NS6detail40segmented_radix_sort_single_block_helperIllLj256ELj16ELb0EE4sortIPKlPlS6_S7_EEbT_T0_T1_T2_jjjjRNS3_12storage_typeE.has_dyn_sized_stack)
	.set _ZN7rocprim17ROCPRIM_400000_NS6detail17trampoline_kernelINS0_14default_configENS1_36segmented_radix_sort_config_selectorIllEEZNS1_25segmented_radix_sort_implIS3_Lb0EPKlPlS8_S9_N2at6native12_GLOBAL__N_18offset_tEEE10hipError_tPvRmT1_PNSt15iterator_traitsISH_E10value_typeET2_T3_PNSI_ISN_E10value_typeET4_jRbjT5_ST_jjP12ihipStream_tbEUlT_E2_NS1_11comp_targetILNS1_3genE2ELNS1_11target_archE906ELNS1_3gpuE6ELNS1_3repE0EEENS1_30default_config_static_selectorELNS0_4arch9wavefront6targetE1EEEvSH_.has_recursion, or(0, .L_ZN7rocprim17ROCPRIM_400000_NS6detail26segmented_warp_sort_helperINS1_20WarpSortHelperConfigILj8ELj8ELj256EEEllLi256ELb0EvE4sortIPKlPlS8_S9_EEvT_T0_T1_T2_jjjjRNS5_12storage_typeE.has_recursion, .L_ZN7rocprim17ROCPRIM_400000_NS6detail40segmented_radix_sort_single_block_helperIllLj256ELj16ELb0EE4sortIPKlPlS6_S7_EEbT_T0_T1_T2_jjjjRNS3_12storage_typeE.has_recursion)
	.set _ZN7rocprim17ROCPRIM_400000_NS6detail17trampoline_kernelINS0_14default_configENS1_36segmented_radix_sort_config_selectorIllEEZNS1_25segmented_radix_sort_implIS3_Lb0EPKlPlS8_S9_N2at6native12_GLOBAL__N_18offset_tEEE10hipError_tPvRmT1_PNSt15iterator_traitsISH_E10value_typeET2_T3_PNSI_ISN_E10value_typeET4_jRbjT5_ST_jjP12ihipStream_tbEUlT_E2_NS1_11comp_targetILNS1_3genE2ELNS1_11target_archE906ELNS1_3gpuE6ELNS1_3repE0EEENS1_30default_config_static_selectorELNS0_4arch9wavefront6targetE1EEEvSH_.has_indirect_call, or(0, .L_ZN7rocprim17ROCPRIM_400000_NS6detail26segmented_warp_sort_helperINS1_20WarpSortHelperConfigILj8ELj8ELj256EEEllLi256ELb0EvE4sortIPKlPlS8_S9_EEvT_T0_T1_T2_jjjjRNS5_12storage_typeE.has_indirect_call, .L_ZN7rocprim17ROCPRIM_400000_NS6detail40segmented_radix_sort_single_block_helperIllLj256ELj16ELb0EE4sortIPKlPlS6_S7_EEbT_T0_T1_T2_jjjjRNS3_12storage_typeE.has_indirect_call)
	.section	.AMDGPU.csdata,"",@progbits
; Kernel info:
; codeLenInByte = 64500
; TotalNumSgprs: 104
; NumVgprs: 248
; ScratchSize: 160
; MemoryBound: 0
; FloatMode: 240
; IeeeMode: 1
; LDSByteSize: 33288 bytes/workgroup (compile time only)
; SGPRBlocks: 12
; VGPRBlocks: 61
; NumSGPRsForWavesPerEU: 104
; NumVGPRsForWavesPerEU: 248
; Occupancy: 1
; WaveLimiterHint : 1
; COMPUTE_PGM_RSRC2:SCRATCH_EN: 1
; COMPUTE_PGM_RSRC2:USER_SGPR: 6
; COMPUTE_PGM_RSRC2:TRAP_HANDLER: 0
; COMPUTE_PGM_RSRC2:TGID_X_EN: 1
; COMPUTE_PGM_RSRC2:TGID_Y_EN: 1
; COMPUTE_PGM_RSRC2:TGID_Z_EN: 0
; COMPUTE_PGM_RSRC2:TIDIG_COMP_CNT: 2
	.section	.text._ZN7rocprim17ROCPRIM_400000_NS6detail17trampoline_kernelINS0_14default_configENS1_36segmented_radix_sort_config_selectorIllEEZNS1_25segmented_radix_sort_implIS3_Lb0EPKlPlS8_S9_N2at6native12_GLOBAL__N_18offset_tEEE10hipError_tPvRmT1_PNSt15iterator_traitsISH_E10value_typeET2_T3_PNSI_ISN_E10value_typeET4_jRbjT5_ST_jjP12ihipStream_tbEUlT_E2_NS1_11comp_targetILNS1_3genE10ELNS1_11target_archE1201ELNS1_3gpuE5ELNS1_3repE0EEENS1_30default_config_static_selectorELNS0_4arch9wavefront6targetE1EEEvSH_,"axG",@progbits,_ZN7rocprim17ROCPRIM_400000_NS6detail17trampoline_kernelINS0_14default_configENS1_36segmented_radix_sort_config_selectorIllEEZNS1_25segmented_radix_sort_implIS3_Lb0EPKlPlS8_S9_N2at6native12_GLOBAL__N_18offset_tEEE10hipError_tPvRmT1_PNSt15iterator_traitsISH_E10value_typeET2_T3_PNSI_ISN_E10value_typeET4_jRbjT5_ST_jjP12ihipStream_tbEUlT_E2_NS1_11comp_targetILNS1_3genE10ELNS1_11target_archE1201ELNS1_3gpuE5ELNS1_3repE0EEENS1_30default_config_static_selectorELNS0_4arch9wavefront6targetE1EEEvSH_,comdat
	.globl	_ZN7rocprim17ROCPRIM_400000_NS6detail17trampoline_kernelINS0_14default_configENS1_36segmented_radix_sort_config_selectorIllEEZNS1_25segmented_radix_sort_implIS3_Lb0EPKlPlS8_S9_N2at6native12_GLOBAL__N_18offset_tEEE10hipError_tPvRmT1_PNSt15iterator_traitsISH_E10value_typeET2_T3_PNSI_ISN_E10value_typeET4_jRbjT5_ST_jjP12ihipStream_tbEUlT_E2_NS1_11comp_targetILNS1_3genE10ELNS1_11target_archE1201ELNS1_3gpuE5ELNS1_3repE0EEENS1_30default_config_static_selectorELNS0_4arch9wavefront6targetE1EEEvSH_ ; -- Begin function _ZN7rocprim17ROCPRIM_400000_NS6detail17trampoline_kernelINS0_14default_configENS1_36segmented_radix_sort_config_selectorIllEEZNS1_25segmented_radix_sort_implIS3_Lb0EPKlPlS8_S9_N2at6native12_GLOBAL__N_18offset_tEEE10hipError_tPvRmT1_PNSt15iterator_traitsISH_E10value_typeET2_T3_PNSI_ISN_E10value_typeET4_jRbjT5_ST_jjP12ihipStream_tbEUlT_E2_NS1_11comp_targetILNS1_3genE10ELNS1_11target_archE1201ELNS1_3gpuE5ELNS1_3repE0EEENS1_30default_config_static_selectorELNS0_4arch9wavefront6targetE1EEEvSH_
	.p2align	8
	.type	_ZN7rocprim17ROCPRIM_400000_NS6detail17trampoline_kernelINS0_14default_configENS1_36segmented_radix_sort_config_selectorIllEEZNS1_25segmented_radix_sort_implIS3_Lb0EPKlPlS8_S9_N2at6native12_GLOBAL__N_18offset_tEEE10hipError_tPvRmT1_PNSt15iterator_traitsISH_E10value_typeET2_T3_PNSI_ISN_E10value_typeET4_jRbjT5_ST_jjP12ihipStream_tbEUlT_E2_NS1_11comp_targetILNS1_3genE10ELNS1_11target_archE1201ELNS1_3gpuE5ELNS1_3repE0EEENS1_30default_config_static_selectorELNS0_4arch9wavefront6targetE1EEEvSH_,@function
_ZN7rocprim17ROCPRIM_400000_NS6detail17trampoline_kernelINS0_14default_configENS1_36segmented_radix_sort_config_selectorIllEEZNS1_25segmented_radix_sort_implIS3_Lb0EPKlPlS8_S9_N2at6native12_GLOBAL__N_18offset_tEEE10hipError_tPvRmT1_PNSt15iterator_traitsISH_E10value_typeET2_T3_PNSI_ISN_E10value_typeET4_jRbjT5_ST_jjP12ihipStream_tbEUlT_E2_NS1_11comp_targetILNS1_3genE10ELNS1_11target_archE1201ELNS1_3gpuE5ELNS1_3repE0EEENS1_30default_config_static_selectorELNS0_4arch9wavefront6targetE1EEEvSH_: ; @_ZN7rocprim17ROCPRIM_400000_NS6detail17trampoline_kernelINS0_14default_configENS1_36segmented_radix_sort_config_selectorIllEEZNS1_25segmented_radix_sort_implIS3_Lb0EPKlPlS8_S9_N2at6native12_GLOBAL__N_18offset_tEEE10hipError_tPvRmT1_PNSt15iterator_traitsISH_E10value_typeET2_T3_PNSI_ISN_E10value_typeET4_jRbjT5_ST_jjP12ihipStream_tbEUlT_E2_NS1_11comp_targetILNS1_3genE10ELNS1_11target_archE1201ELNS1_3gpuE5ELNS1_3repE0EEENS1_30default_config_static_selectorELNS0_4arch9wavefront6targetE1EEEvSH_
; %bb.0:
	.section	.rodata,"a",@progbits
	.p2align	6, 0x0
	.amdhsa_kernel _ZN7rocprim17ROCPRIM_400000_NS6detail17trampoline_kernelINS0_14default_configENS1_36segmented_radix_sort_config_selectorIllEEZNS1_25segmented_radix_sort_implIS3_Lb0EPKlPlS8_S9_N2at6native12_GLOBAL__N_18offset_tEEE10hipError_tPvRmT1_PNSt15iterator_traitsISH_E10value_typeET2_T3_PNSI_ISN_E10value_typeET4_jRbjT5_ST_jjP12ihipStream_tbEUlT_E2_NS1_11comp_targetILNS1_3genE10ELNS1_11target_archE1201ELNS1_3gpuE5ELNS1_3repE0EEENS1_30default_config_static_selectorELNS0_4arch9wavefront6targetE1EEEvSH_
		.amdhsa_group_segment_fixed_size 0
		.amdhsa_private_segment_fixed_size 0
		.amdhsa_kernarg_size 80
		.amdhsa_user_sgpr_count 6
		.amdhsa_user_sgpr_private_segment_buffer 1
		.amdhsa_user_sgpr_dispatch_ptr 0
		.amdhsa_user_sgpr_queue_ptr 0
		.amdhsa_user_sgpr_kernarg_segment_ptr 1
		.amdhsa_user_sgpr_dispatch_id 0
		.amdhsa_user_sgpr_flat_scratch_init 0
		.amdhsa_user_sgpr_private_segment_size 0
		.amdhsa_uses_dynamic_stack 0
		.amdhsa_system_sgpr_private_segment_wavefront_offset 0
		.amdhsa_system_sgpr_workgroup_id_x 1
		.amdhsa_system_sgpr_workgroup_id_y 0
		.amdhsa_system_sgpr_workgroup_id_z 0
		.amdhsa_system_sgpr_workgroup_info 0
		.amdhsa_system_vgpr_workitem_id 0
		.amdhsa_next_free_vgpr 1
		.amdhsa_next_free_sgpr 0
		.amdhsa_reserve_vcc 0
		.amdhsa_reserve_flat_scratch 0
		.amdhsa_float_round_mode_32 0
		.amdhsa_float_round_mode_16_64 0
		.amdhsa_float_denorm_mode_32 3
		.amdhsa_float_denorm_mode_16_64 3
		.amdhsa_dx10_clamp 1
		.amdhsa_ieee_mode 1
		.amdhsa_fp16_overflow 0
		.amdhsa_exception_fp_ieee_invalid_op 0
		.amdhsa_exception_fp_denorm_src 0
		.amdhsa_exception_fp_ieee_div_zero 0
		.amdhsa_exception_fp_ieee_overflow 0
		.amdhsa_exception_fp_ieee_underflow 0
		.amdhsa_exception_fp_ieee_inexact 0
		.amdhsa_exception_int_div_zero 0
	.end_amdhsa_kernel
	.section	.text._ZN7rocprim17ROCPRIM_400000_NS6detail17trampoline_kernelINS0_14default_configENS1_36segmented_radix_sort_config_selectorIllEEZNS1_25segmented_radix_sort_implIS3_Lb0EPKlPlS8_S9_N2at6native12_GLOBAL__N_18offset_tEEE10hipError_tPvRmT1_PNSt15iterator_traitsISH_E10value_typeET2_T3_PNSI_ISN_E10value_typeET4_jRbjT5_ST_jjP12ihipStream_tbEUlT_E2_NS1_11comp_targetILNS1_3genE10ELNS1_11target_archE1201ELNS1_3gpuE5ELNS1_3repE0EEENS1_30default_config_static_selectorELNS0_4arch9wavefront6targetE1EEEvSH_,"axG",@progbits,_ZN7rocprim17ROCPRIM_400000_NS6detail17trampoline_kernelINS0_14default_configENS1_36segmented_radix_sort_config_selectorIllEEZNS1_25segmented_radix_sort_implIS3_Lb0EPKlPlS8_S9_N2at6native12_GLOBAL__N_18offset_tEEE10hipError_tPvRmT1_PNSt15iterator_traitsISH_E10value_typeET2_T3_PNSI_ISN_E10value_typeET4_jRbjT5_ST_jjP12ihipStream_tbEUlT_E2_NS1_11comp_targetILNS1_3genE10ELNS1_11target_archE1201ELNS1_3gpuE5ELNS1_3repE0EEENS1_30default_config_static_selectorELNS0_4arch9wavefront6targetE1EEEvSH_,comdat
.Lfunc_end842:
	.size	_ZN7rocprim17ROCPRIM_400000_NS6detail17trampoline_kernelINS0_14default_configENS1_36segmented_radix_sort_config_selectorIllEEZNS1_25segmented_radix_sort_implIS3_Lb0EPKlPlS8_S9_N2at6native12_GLOBAL__N_18offset_tEEE10hipError_tPvRmT1_PNSt15iterator_traitsISH_E10value_typeET2_T3_PNSI_ISN_E10value_typeET4_jRbjT5_ST_jjP12ihipStream_tbEUlT_E2_NS1_11comp_targetILNS1_3genE10ELNS1_11target_archE1201ELNS1_3gpuE5ELNS1_3repE0EEENS1_30default_config_static_selectorELNS0_4arch9wavefront6targetE1EEEvSH_, .Lfunc_end842-_ZN7rocprim17ROCPRIM_400000_NS6detail17trampoline_kernelINS0_14default_configENS1_36segmented_radix_sort_config_selectorIllEEZNS1_25segmented_radix_sort_implIS3_Lb0EPKlPlS8_S9_N2at6native12_GLOBAL__N_18offset_tEEE10hipError_tPvRmT1_PNSt15iterator_traitsISH_E10value_typeET2_T3_PNSI_ISN_E10value_typeET4_jRbjT5_ST_jjP12ihipStream_tbEUlT_E2_NS1_11comp_targetILNS1_3genE10ELNS1_11target_archE1201ELNS1_3gpuE5ELNS1_3repE0EEENS1_30default_config_static_selectorELNS0_4arch9wavefront6targetE1EEEvSH_
                                        ; -- End function
	.set _ZN7rocprim17ROCPRIM_400000_NS6detail17trampoline_kernelINS0_14default_configENS1_36segmented_radix_sort_config_selectorIllEEZNS1_25segmented_radix_sort_implIS3_Lb0EPKlPlS8_S9_N2at6native12_GLOBAL__N_18offset_tEEE10hipError_tPvRmT1_PNSt15iterator_traitsISH_E10value_typeET2_T3_PNSI_ISN_E10value_typeET4_jRbjT5_ST_jjP12ihipStream_tbEUlT_E2_NS1_11comp_targetILNS1_3genE10ELNS1_11target_archE1201ELNS1_3gpuE5ELNS1_3repE0EEENS1_30default_config_static_selectorELNS0_4arch9wavefront6targetE1EEEvSH_.num_vgpr, 0
	.set _ZN7rocprim17ROCPRIM_400000_NS6detail17trampoline_kernelINS0_14default_configENS1_36segmented_radix_sort_config_selectorIllEEZNS1_25segmented_radix_sort_implIS3_Lb0EPKlPlS8_S9_N2at6native12_GLOBAL__N_18offset_tEEE10hipError_tPvRmT1_PNSt15iterator_traitsISH_E10value_typeET2_T3_PNSI_ISN_E10value_typeET4_jRbjT5_ST_jjP12ihipStream_tbEUlT_E2_NS1_11comp_targetILNS1_3genE10ELNS1_11target_archE1201ELNS1_3gpuE5ELNS1_3repE0EEENS1_30default_config_static_selectorELNS0_4arch9wavefront6targetE1EEEvSH_.num_agpr, 0
	.set _ZN7rocprim17ROCPRIM_400000_NS6detail17trampoline_kernelINS0_14default_configENS1_36segmented_radix_sort_config_selectorIllEEZNS1_25segmented_radix_sort_implIS3_Lb0EPKlPlS8_S9_N2at6native12_GLOBAL__N_18offset_tEEE10hipError_tPvRmT1_PNSt15iterator_traitsISH_E10value_typeET2_T3_PNSI_ISN_E10value_typeET4_jRbjT5_ST_jjP12ihipStream_tbEUlT_E2_NS1_11comp_targetILNS1_3genE10ELNS1_11target_archE1201ELNS1_3gpuE5ELNS1_3repE0EEENS1_30default_config_static_selectorELNS0_4arch9wavefront6targetE1EEEvSH_.numbered_sgpr, 0
	.set _ZN7rocprim17ROCPRIM_400000_NS6detail17trampoline_kernelINS0_14default_configENS1_36segmented_radix_sort_config_selectorIllEEZNS1_25segmented_radix_sort_implIS3_Lb0EPKlPlS8_S9_N2at6native12_GLOBAL__N_18offset_tEEE10hipError_tPvRmT1_PNSt15iterator_traitsISH_E10value_typeET2_T3_PNSI_ISN_E10value_typeET4_jRbjT5_ST_jjP12ihipStream_tbEUlT_E2_NS1_11comp_targetILNS1_3genE10ELNS1_11target_archE1201ELNS1_3gpuE5ELNS1_3repE0EEENS1_30default_config_static_selectorELNS0_4arch9wavefront6targetE1EEEvSH_.num_named_barrier, 0
	.set _ZN7rocprim17ROCPRIM_400000_NS6detail17trampoline_kernelINS0_14default_configENS1_36segmented_radix_sort_config_selectorIllEEZNS1_25segmented_radix_sort_implIS3_Lb0EPKlPlS8_S9_N2at6native12_GLOBAL__N_18offset_tEEE10hipError_tPvRmT1_PNSt15iterator_traitsISH_E10value_typeET2_T3_PNSI_ISN_E10value_typeET4_jRbjT5_ST_jjP12ihipStream_tbEUlT_E2_NS1_11comp_targetILNS1_3genE10ELNS1_11target_archE1201ELNS1_3gpuE5ELNS1_3repE0EEENS1_30default_config_static_selectorELNS0_4arch9wavefront6targetE1EEEvSH_.private_seg_size, 0
	.set _ZN7rocprim17ROCPRIM_400000_NS6detail17trampoline_kernelINS0_14default_configENS1_36segmented_radix_sort_config_selectorIllEEZNS1_25segmented_radix_sort_implIS3_Lb0EPKlPlS8_S9_N2at6native12_GLOBAL__N_18offset_tEEE10hipError_tPvRmT1_PNSt15iterator_traitsISH_E10value_typeET2_T3_PNSI_ISN_E10value_typeET4_jRbjT5_ST_jjP12ihipStream_tbEUlT_E2_NS1_11comp_targetILNS1_3genE10ELNS1_11target_archE1201ELNS1_3gpuE5ELNS1_3repE0EEENS1_30default_config_static_selectorELNS0_4arch9wavefront6targetE1EEEvSH_.uses_vcc, 0
	.set _ZN7rocprim17ROCPRIM_400000_NS6detail17trampoline_kernelINS0_14default_configENS1_36segmented_radix_sort_config_selectorIllEEZNS1_25segmented_radix_sort_implIS3_Lb0EPKlPlS8_S9_N2at6native12_GLOBAL__N_18offset_tEEE10hipError_tPvRmT1_PNSt15iterator_traitsISH_E10value_typeET2_T3_PNSI_ISN_E10value_typeET4_jRbjT5_ST_jjP12ihipStream_tbEUlT_E2_NS1_11comp_targetILNS1_3genE10ELNS1_11target_archE1201ELNS1_3gpuE5ELNS1_3repE0EEENS1_30default_config_static_selectorELNS0_4arch9wavefront6targetE1EEEvSH_.uses_flat_scratch, 0
	.set _ZN7rocprim17ROCPRIM_400000_NS6detail17trampoline_kernelINS0_14default_configENS1_36segmented_radix_sort_config_selectorIllEEZNS1_25segmented_radix_sort_implIS3_Lb0EPKlPlS8_S9_N2at6native12_GLOBAL__N_18offset_tEEE10hipError_tPvRmT1_PNSt15iterator_traitsISH_E10value_typeET2_T3_PNSI_ISN_E10value_typeET4_jRbjT5_ST_jjP12ihipStream_tbEUlT_E2_NS1_11comp_targetILNS1_3genE10ELNS1_11target_archE1201ELNS1_3gpuE5ELNS1_3repE0EEENS1_30default_config_static_selectorELNS0_4arch9wavefront6targetE1EEEvSH_.has_dyn_sized_stack, 0
	.set _ZN7rocprim17ROCPRIM_400000_NS6detail17trampoline_kernelINS0_14default_configENS1_36segmented_radix_sort_config_selectorIllEEZNS1_25segmented_radix_sort_implIS3_Lb0EPKlPlS8_S9_N2at6native12_GLOBAL__N_18offset_tEEE10hipError_tPvRmT1_PNSt15iterator_traitsISH_E10value_typeET2_T3_PNSI_ISN_E10value_typeET4_jRbjT5_ST_jjP12ihipStream_tbEUlT_E2_NS1_11comp_targetILNS1_3genE10ELNS1_11target_archE1201ELNS1_3gpuE5ELNS1_3repE0EEENS1_30default_config_static_selectorELNS0_4arch9wavefront6targetE1EEEvSH_.has_recursion, 0
	.set _ZN7rocprim17ROCPRIM_400000_NS6detail17trampoline_kernelINS0_14default_configENS1_36segmented_radix_sort_config_selectorIllEEZNS1_25segmented_radix_sort_implIS3_Lb0EPKlPlS8_S9_N2at6native12_GLOBAL__N_18offset_tEEE10hipError_tPvRmT1_PNSt15iterator_traitsISH_E10value_typeET2_T3_PNSI_ISN_E10value_typeET4_jRbjT5_ST_jjP12ihipStream_tbEUlT_E2_NS1_11comp_targetILNS1_3genE10ELNS1_11target_archE1201ELNS1_3gpuE5ELNS1_3repE0EEENS1_30default_config_static_selectorELNS0_4arch9wavefront6targetE1EEEvSH_.has_indirect_call, 0
	.section	.AMDGPU.csdata,"",@progbits
; Kernel info:
; codeLenInByte = 0
; TotalNumSgprs: 4
; NumVgprs: 0
; ScratchSize: 0
; MemoryBound: 0
; FloatMode: 240
; IeeeMode: 1
; LDSByteSize: 0 bytes/workgroup (compile time only)
; SGPRBlocks: 0
; VGPRBlocks: 0
; NumSGPRsForWavesPerEU: 4
; NumVGPRsForWavesPerEU: 1
; Occupancy: 10
; WaveLimiterHint : 0
; COMPUTE_PGM_RSRC2:SCRATCH_EN: 0
; COMPUTE_PGM_RSRC2:USER_SGPR: 6
; COMPUTE_PGM_RSRC2:TRAP_HANDLER: 0
; COMPUTE_PGM_RSRC2:TGID_X_EN: 1
; COMPUTE_PGM_RSRC2:TGID_Y_EN: 0
; COMPUTE_PGM_RSRC2:TGID_Z_EN: 0
; COMPUTE_PGM_RSRC2:TIDIG_COMP_CNT: 0
	.section	.text._ZN7rocprim17ROCPRIM_400000_NS6detail17trampoline_kernelINS0_14default_configENS1_36segmented_radix_sort_config_selectorIllEEZNS1_25segmented_radix_sort_implIS3_Lb0EPKlPlS8_S9_N2at6native12_GLOBAL__N_18offset_tEEE10hipError_tPvRmT1_PNSt15iterator_traitsISH_E10value_typeET2_T3_PNSI_ISN_E10value_typeET4_jRbjT5_ST_jjP12ihipStream_tbEUlT_E2_NS1_11comp_targetILNS1_3genE10ELNS1_11target_archE1200ELNS1_3gpuE4ELNS1_3repE0EEENS1_30default_config_static_selectorELNS0_4arch9wavefront6targetE1EEEvSH_,"axG",@progbits,_ZN7rocprim17ROCPRIM_400000_NS6detail17trampoline_kernelINS0_14default_configENS1_36segmented_radix_sort_config_selectorIllEEZNS1_25segmented_radix_sort_implIS3_Lb0EPKlPlS8_S9_N2at6native12_GLOBAL__N_18offset_tEEE10hipError_tPvRmT1_PNSt15iterator_traitsISH_E10value_typeET2_T3_PNSI_ISN_E10value_typeET4_jRbjT5_ST_jjP12ihipStream_tbEUlT_E2_NS1_11comp_targetILNS1_3genE10ELNS1_11target_archE1200ELNS1_3gpuE4ELNS1_3repE0EEENS1_30default_config_static_selectorELNS0_4arch9wavefront6targetE1EEEvSH_,comdat
	.globl	_ZN7rocprim17ROCPRIM_400000_NS6detail17trampoline_kernelINS0_14default_configENS1_36segmented_radix_sort_config_selectorIllEEZNS1_25segmented_radix_sort_implIS3_Lb0EPKlPlS8_S9_N2at6native12_GLOBAL__N_18offset_tEEE10hipError_tPvRmT1_PNSt15iterator_traitsISH_E10value_typeET2_T3_PNSI_ISN_E10value_typeET4_jRbjT5_ST_jjP12ihipStream_tbEUlT_E2_NS1_11comp_targetILNS1_3genE10ELNS1_11target_archE1200ELNS1_3gpuE4ELNS1_3repE0EEENS1_30default_config_static_selectorELNS0_4arch9wavefront6targetE1EEEvSH_ ; -- Begin function _ZN7rocprim17ROCPRIM_400000_NS6detail17trampoline_kernelINS0_14default_configENS1_36segmented_radix_sort_config_selectorIllEEZNS1_25segmented_radix_sort_implIS3_Lb0EPKlPlS8_S9_N2at6native12_GLOBAL__N_18offset_tEEE10hipError_tPvRmT1_PNSt15iterator_traitsISH_E10value_typeET2_T3_PNSI_ISN_E10value_typeET4_jRbjT5_ST_jjP12ihipStream_tbEUlT_E2_NS1_11comp_targetILNS1_3genE10ELNS1_11target_archE1200ELNS1_3gpuE4ELNS1_3repE0EEENS1_30default_config_static_selectorELNS0_4arch9wavefront6targetE1EEEvSH_
	.p2align	8
	.type	_ZN7rocprim17ROCPRIM_400000_NS6detail17trampoline_kernelINS0_14default_configENS1_36segmented_radix_sort_config_selectorIllEEZNS1_25segmented_radix_sort_implIS3_Lb0EPKlPlS8_S9_N2at6native12_GLOBAL__N_18offset_tEEE10hipError_tPvRmT1_PNSt15iterator_traitsISH_E10value_typeET2_T3_PNSI_ISN_E10value_typeET4_jRbjT5_ST_jjP12ihipStream_tbEUlT_E2_NS1_11comp_targetILNS1_3genE10ELNS1_11target_archE1200ELNS1_3gpuE4ELNS1_3repE0EEENS1_30default_config_static_selectorELNS0_4arch9wavefront6targetE1EEEvSH_,@function
_ZN7rocprim17ROCPRIM_400000_NS6detail17trampoline_kernelINS0_14default_configENS1_36segmented_radix_sort_config_selectorIllEEZNS1_25segmented_radix_sort_implIS3_Lb0EPKlPlS8_S9_N2at6native12_GLOBAL__N_18offset_tEEE10hipError_tPvRmT1_PNSt15iterator_traitsISH_E10value_typeET2_T3_PNSI_ISN_E10value_typeET4_jRbjT5_ST_jjP12ihipStream_tbEUlT_E2_NS1_11comp_targetILNS1_3genE10ELNS1_11target_archE1200ELNS1_3gpuE4ELNS1_3repE0EEENS1_30default_config_static_selectorELNS0_4arch9wavefront6targetE1EEEvSH_: ; @_ZN7rocprim17ROCPRIM_400000_NS6detail17trampoline_kernelINS0_14default_configENS1_36segmented_radix_sort_config_selectorIllEEZNS1_25segmented_radix_sort_implIS3_Lb0EPKlPlS8_S9_N2at6native12_GLOBAL__N_18offset_tEEE10hipError_tPvRmT1_PNSt15iterator_traitsISH_E10value_typeET2_T3_PNSI_ISN_E10value_typeET4_jRbjT5_ST_jjP12ihipStream_tbEUlT_E2_NS1_11comp_targetILNS1_3genE10ELNS1_11target_archE1200ELNS1_3gpuE4ELNS1_3repE0EEENS1_30default_config_static_selectorELNS0_4arch9wavefront6targetE1EEEvSH_
; %bb.0:
	.section	.rodata,"a",@progbits
	.p2align	6, 0x0
	.amdhsa_kernel _ZN7rocprim17ROCPRIM_400000_NS6detail17trampoline_kernelINS0_14default_configENS1_36segmented_radix_sort_config_selectorIllEEZNS1_25segmented_radix_sort_implIS3_Lb0EPKlPlS8_S9_N2at6native12_GLOBAL__N_18offset_tEEE10hipError_tPvRmT1_PNSt15iterator_traitsISH_E10value_typeET2_T3_PNSI_ISN_E10value_typeET4_jRbjT5_ST_jjP12ihipStream_tbEUlT_E2_NS1_11comp_targetILNS1_3genE10ELNS1_11target_archE1200ELNS1_3gpuE4ELNS1_3repE0EEENS1_30default_config_static_selectorELNS0_4arch9wavefront6targetE1EEEvSH_
		.amdhsa_group_segment_fixed_size 0
		.amdhsa_private_segment_fixed_size 0
		.amdhsa_kernarg_size 80
		.amdhsa_user_sgpr_count 6
		.amdhsa_user_sgpr_private_segment_buffer 1
		.amdhsa_user_sgpr_dispatch_ptr 0
		.amdhsa_user_sgpr_queue_ptr 0
		.amdhsa_user_sgpr_kernarg_segment_ptr 1
		.amdhsa_user_sgpr_dispatch_id 0
		.amdhsa_user_sgpr_flat_scratch_init 0
		.amdhsa_user_sgpr_private_segment_size 0
		.amdhsa_uses_dynamic_stack 0
		.amdhsa_system_sgpr_private_segment_wavefront_offset 0
		.amdhsa_system_sgpr_workgroup_id_x 1
		.amdhsa_system_sgpr_workgroup_id_y 0
		.amdhsa_system_sgpr_workgroup_id_z 0
		.amdhsa_system_sgpr_workgroup_info 0
		.amdhsa_system_vgpr_workitem_id 0
		.amdhsa_next_free_vgpr 1
		.amdhsa_next_free_sgpr 0
		.amdhsa_reserve_vcc 0
		.amdhsa_reserve_flat_scratch 0
		.amdhsa_float_round_mode_32 0
		.amdhsa_float_round_mode_16_64 0
		.amdhsa_float_denorm_mode_32 3
		.amdhsa_float_denorm_mode_16_64 3
		.amdhsa_dx10_clamp 1
		.amdhsa_ieee_mode 1
		.amdhsa_fp16_overflow 0
		.amdhsa_exception_fp_ieee_invalid_op 0
		.amdhsa_exception_fp_denorm_src 0
		.amdhsa_exception_fp_ieee_div_zero 0
		.amdhsa_exception_fp_ieee_overflow 0
		.amdhsa_exception_fp_ieee_underflow 0
		.amdhsa_exception_fp_ieee_inexact 0
		.amdhsa_exception_int_div_zero 0
	.end_amdhsa_kernel
	.section	.text._ZN7rocprim17ROCPRIM_400000_NS6detail17trampoline_kernelINS0_14default_configENS1_36segmented_radix_sort_config_selectorIllEEZNS1_25segmented_radix_sort_implIS3_Lb0EPKlPlS8_S9_N2at6native12_GLOBAL__N_18offset_tEEE10hipError_tPvRmT1_PNSt15iterator_traitsISH_E10value_typeET2_T3_PNSI_ISN_E10value_typeET4_jRbjT5_ST_jjP12ihipStream_tbEUlT_E2_NS1_11comp_targetILNS1_3genE10ELNS1_11target_archE1200ELNS1_3gpuE4ELNS1_3repE0EEENS1_30default_config_static_selectorELNS0_4arch9wavefront6targetE1EEEvSH_,"axG",@progbits,_ZN7rocprim17ROCPRIM_400000_NS6detail17trampoline_kernelINS0_14default_configENS1_36segmented_radix_sort_config_selectorIllEEZNS1_25segmented_radix_sort_implIS3_Lb0EPKlPlS8_S9_N2at6native12_GLOBAL__N_18offset_tEEE10hipError_tPvRmT1_PNSt15iterator_traitsISH_E10value_typeET2_T3_PNSI_ISN_E10value_typeET4_jRbjT5_ST_jjP12ihipStream_tbEUlT_E2_NS1_11comp_targetILNS1_3genE10ELNS1_11target_archE1200ELNS1_3gpuE4ELNS1_3repE0EEENS1_30default_config_static_selectorELNS0_4arch9wavefront6targetE1EEEvSH_,comdat
.Lfunc_end843:
	.size	_ZN7rocprim17ROCPRIM_400000_NS6detail17trampoline_kernelINS0_14default_configENS1_36segmented_radix_sort_config_selectorIllEEZNS1_25segmented_radix_sort_implIS3_Lb0EPKlPlS8_S9_N2at6native12_GLOBAL__N_18offset_tEEE10hipError_tPvRmT1_PNSt15iterator_traitsISH_E10value_typeET2_T3_PNSI_ISN_E10value_typeET4_jRbjT5_ST_jjP12ihipStream_tbEUlT_E2_NS1_11comp_targetILNS1_3genE10ELNS1_11target_archE1200ELNS1_3gpuE4ELNS1_3repE0EEENS1_30default_config_static_selectorELNS0_4arch9wavefront6targetE1EEEvSH_, .Lfunc_end843-_ZN7rocprim17ROCPRIM_400000_NS6detail17trampoline_kernelINS0_14default_configENS1_36segmented_radix_sort_config_selectorIllEEZNS1_25segmented_radix_sort_implIS3_Lb0EPKlPlS8_S9_N2at6native12_GLOBAL__N_18offset_tEEE10hipError_tPvRmT1_PNSt15iterator_traitsISH_E10value_typeET2_T3_PNSI_ISN_E10value_typeET4_jRbjT5_ST_jjP12ihipStream_tbEUlT_E2_NS1_11comp_targetILNS1_3genE10ELNS1_11target_archE1200ELNS1_3gpuE4ELNS1_3repE0EEENS1_30default_config_static_selectorELNS0_4arch9wavefront6targetE1EEEvSH_
                                        ; -- End function
	.set _ZN7rocprim17ROCPRIM_400000_NS6detail17trampoline_kernelINS0_14default_configENS1_36segmented_radix_sort_config_selectorIllEEZNS1_25segmented_radix_sort_implIS3_Lb0EPKlPlS8_S9_N2at6native12_GLOBAL__N_18offset_tEEE10hipError_tPvRmT1_PNSt15iterator_traitsISH_E10value_typeET2_T3_PNSI_ISN_E10value_typeET4_jRbjT5_ST_jjP12ihipStream_tbEUlT_E2_NS1_11comp_targetILNS1_3genE10ELNS1_11target_archE1200ELNS1_3gpuE4ELNS1_3repE0EEENS1_30default_config_static_selectorELNS0_4arch9wavefront6targetE1EEEvSH_.num_vgpr, 0
	.set _ZN7rocprim17ROCPRIM_400000_NS6detail17trampoline_kernelINS0_14default_configENS1_36segmented_radix_sort_config_selectorIllEEZNS1_25segmented_radix_sort_implIS3_Lb0EPKlPlS8_S9_N2at6native12_GLOBAL__N_18offset_tEEE10hipError_tPvRmT1_PNSt15iterator_traitsISH_E10value_typeET2_T3_PNSI_ISN_E10value_typeET4_jRbjT5_ST_jjP12ihipStream_tbEUlT_E2_NS1_11comp_targetILNS1_3genE10ELNS1_11target_archE1200ELNS1_3gpuE4ELNS1_3repE0EEENS1_30default_config_static_selectorELNS0_4arch9wavefront6targetE1EEEvSH_.num_agpr, 0
	.set _ZN7rocprim17ROCPRIM_400000_NS6detail17trampoline_kernelINS0_14default_configENS1_36segmented_radix_sort_config_selectorIllEEZNS1_25segmented_radix_sort_implIS3_Lb0EPKlPlS8_S9_N2at6native12_GLOBAL__N_18offset_tEEE10hipError_tPvRmT1_PNSt15iterator_traitsISH_E10value_typeET2_T3_PNSI_ISN_E10value_typeET4_jRbjT5_ST_jjP12ihipStream_tbEUlT_E2_NS1_11comp_targetILNS1_3genE10ELNS1_11target_archE1200ELNS1_3gpuE4ELNS1_3repE0EEENS1_30default_config_static_selectorELNS0_4arch9wavefront6targetE1EEEvSH_.numbered_sgpr, 0
	.set _ZN7rocprim17ROCPRIM_400000_NS6detail17trampoline_kernelINS0_14default_configENS1_36segmented_radix_sort_config_selectorIllEEZNS1_25segmented_radix_sort_implIS3_Lb0EPKlPlS8_S9_N2at6native12_GLOBAL__N_18offset_tEEE10hipError_tPvRmT1_PNSt15iterator_traitsISH_E10value_typeET2_T3_PNSI_ISN_E10value_typeET4_jRbjT5_ST_jjP12ihipStream_tbEUlT_E2_NS1_11comp_targetILNS1_3genE10ELNS1_11target_archE1200ELNS1_3gpuE4ELNS1_3repE0EEENS1_30default_config_static_selectorELNS0_4arch9wavefront6targetE1EEEvSH_.num_named_barrier, 0
	.set _ZN7rocprim17ROCPRIM_400000_NS6detail17trampoline_kernelINS0_14default_configENS1_36segmented_radix_sort_config_selectorIllEEZNS1_25segmented_radix_sort_implIS3_Lb0EPKlPlS8_S9_N2at6native12_GLOBAL__N_18offset_tEEE10hipError_tPvRmT1_PNSt15iterator_traitsISH_E10value_typeET2_T3_PNSI_ISN_E10value_typeET4_jRbjT5_ST_jjP12ihipStream_tbEUlT_E2_NS1_11comp_targetILNS1_3genE10ELNS1_11target_archE1200ELNS1_3gpuE4ELNS1_3repE0EEENS1_30default_config_static_selectorELNS0_4arch9wavefront6targetE1EEEvSH_.private_seg_size, 0
	.set _ZN7rocprim17ROCPRIM_400000_NS6detail17trampoline_kernelINS0_14default_configENS1_36segmented_radix_sort_config_selectorIllEEZNS1_25segmented_radix_sort_implIS3_Lb0EPKlPlS8_S9_N2at6native12_GLOBAL__N_18offset_tEEE10hipError_tPvRmT1_PNSt15iterator_traitsISH_E10value_typeET2_T3_PNSI_ISN_E10value_typeET4_jRbjT5_ST_jjP12ihipStream_tbEUlT_E2_NS1_11comp_targetILNS1_3genE10ELNS1_11target_archE1200ELNS1_3gpuE4ELNS1_3repE0EEENS1_30default_config_static_selectorELNS0_4arch9wavefront6targetE1EEEvSH_.uses_vcc, 0
	.set _ZN7rocprim17ROCPRIM_400000_NS6detail17trampoline_kernelINS0_14default_configENS1_36segmented_radix_sort_config_selectorIllEEZNS1_25segmented_radix_sort_implIS3_Lb0EPKlPlS8_S9_N2at6native12_GLOBAL__N_18offset_tEEE10hipError_tPvRmT1_PNSt15iterator_traitsISH_E10value_typeET2_T3_PNSI_ISN_E10value_typeET4_jRbjT5_ST_jjP12ihipStream_tbEUlT_E2_NS1_11comp_targetILNS1_3genE10ELNS1_11target_archE1200ELNS1_3gpuE4ELNS1_3repE0EEENS1_30default_config_static_selectorELNS0_4arch9wavefront6targetE1EEEvSH_.uses_flat_scratch, 0
	.set _ZN7rocprim17ROCPRIM_400000_NS6detail17trampoline_kernelINS0_14default_configENS1_36segmented_radix_sort_config_selectorIllEEZNS1_25segmented_radix_sort_implIS3_Lb0EPKlPlS8_S9_N2at6native12_GLOBAL__N_18offset_tEEE10hipError_tPvRmT1_PNSt15iterator_traitsISH_E10value_typeET2_T3_PNSI_ISN_E10value_typeET4_jRbjT5_ST_jjP12ihipStream_tbEUlT_E2_NS1_11comp_targetILNS1_3genE10ELNS1_11target_archE1200ELNS1_3gpuE4ELNS1_3repE0EEENS1_30default_config_static_selectorELNS0_4arch9wavefront6targetE1EEEvSH_.has_dyn_sized_stack, 0
	.set _ZN7rocprim17ROCPRIM_400000_NS6detail17trampoline_kernelINS0_14default_configENS1_36segmented_radix_sort_config_selectorIllEEZNS1_25segmented_radix_sort_implIS3_Lb0EPKlPlS8_S9_N2at6native12_GLOBAL__N_18offset_tEEE10hipError_tPvRmT1_PNSt15iterator_traitsISH_E10value_typeET2_T3_PNSI_ISN_E10value_typeET4_jRbjT5_ST_jjP12ihipStream_tbEUlT_E2_NS1_11comp_targetILNS1_3genE10ELNS1_11target_archE1200ELNS1_3gpuE4ELNS1_3repE0EEENS1_30default_config_static_selectorELNS0_4arch9wavefront6targetE1EEEvSH_.has_recursion, 0
	.set _ZN7rocprim17ROCPRIM_400000_NS6detail17trampoline_kernelINS0_14default_configENS1_36segmented_radix_sort_config_selectorIllEEZNS1_25segmented_radix_sort_implIS3_Lb0EPKlPlS8_S9_N2at6native12_GLOBAL__N_18offset_tEEE10hipError_tPvRmT1_PNSt15iterator_traitsISH_E10value_typeET2_T3_PNSI_ISN_E10value_typeET4_jRbjT5_ST_jjP12ihipStream_tbEUlT_E2_NS1_11comp_targetILNS1_3genE10ELNS1_11target_archE1200ELNS1_3gpuE4ELNS1_3repE0EEENS1_30default_config_static_selectorELNS0_4arch9wavefront6targetE1EEEvSH_.has_indirect_call, 0
	.section	.AMDGPU.csdata,"",@progbits
; Kernel info:
; codeLenInByte = 0
; TotalNumSgprs: 4
; NumVgprs: 0
; ScratchSize: 0
; MemoryBound: 0
; FloatMode: 240
; IeeeMode: 1
; LDSByteSize: 0 bytes/workgroup (compile time only)
; SGPRBlocks: 0
; VGPRBlocks: 0
; NumSGPRsForWavesPerEU: 4
; NumVGPRsForWavesPerEU: 1
; Occupancy: 10
; WaveLimiterHint : 0
; COMPUTE_PGM_RSRC2:SCRATCH_EN: 0
; COMPUTE_PGM_RSRC2:USER_SGPR: 6
; COMPUTE_PGM_RSRC2:TRAP_HANDLER: 0
; COMPUTE_PGM_RSRC2:TGID_X_EN: 1
; COMPUTE_PGM_RSRC2:TGID_Y_EN: 0
; COMPUTE_PGM_RSRC2:TGID_Z_EN: 0
; COMPUTE_PGM_RSRC2:TIDIG_COMP_CNT: 0
	.section	.text._ZN7rocprim17ROCPRIM_400000_NS6detail17trampoline_kernelINS0_14default_configENS1_36segmented_radix_sort_config_selectorIllEEZNS1_25segmented_radix_sort_implIS3_Lb0EPKlPlS8_S9_N2at6native12_GLOBAL__N_18offset_tEEE10hipError_tPvRmT1_PNSt15iterator_traitsISH_E10value_typeET2_T3_PNSI_ISN_E10value_typeET4_jRbjT5_ST_jjP12ihipStream_tbEUlT_E2_NS1_11comp_targetILNS1_3genE9ELNS1_11target_archE1100ELNS1_3gpuE3ELNS1_3repE0EEENS1_30default_config_static_selectorELNS0_4arch9wavefront6targetE1EEEvSH_,"axG",@progbits,_ZN7rocprim17ROCPRIM_400000_NS6detail17trampoline_kernelINS0_14default_configENS1_36segmented_radix_sort_config_selectorIllEEZNS1_25segmented_radix_sort_implIS3_Lb0EPKlPlS8_S9_N2at6native12_GLOBAL__N_18offset_tEEE10hipError_tPvRmT1_PNSt15iterator_traitsISH_E10value_typeET2_T3_PNSI_ISN_E10value_typeET4_jRbjT5_ST_jjP12ihipStream_tbEUlT_E2_NS1_11comp_targetILNS1_3genE9ELNS1_11target_archE1100ELNS1_3gpuE3ELNS1_3repE0EEENS1_30default_config_static_selectorELNS0_4arch9wavefront6targetE1EEEvSH_,comdat
	.globl	_ZN7rocprim17ROCPRIM_400000_NS6detail17trampoline_kernelINS0_14default_configENS1_36segmented_radix_sort_config_selectorIllEEZNS1_25segmented_radix_sort_implIS3_Lb0EPKlPlS8_S9_N2at6native12_GLOBAL__N_18offset_tEEE10hipError_tPvRmT1_PNSt15iterator_traitsISH_E10value_typeET2_T3_PNSI_ISN_E10value_typeET4_jRbjT5_ST_jjP12ihipStream_tbEUlT_E2_NS1_11comp_targetILNS1_3genE9ELNS1_11target_archE1100ELNS1_3gpuE3ELNS1_3repE0EEENS1_30default_config_static_selectorELNS0_4arch9wavefront6targetE1EEEvSH_ ; -- Begin function _ZN7rocprim17ROCPRIM_400000_NS6detail17trampoline_kernelINS0_14default_configENS1_36segmented_radix_sort_config_selectorIllEEZNS1_25segmented_radix_sort_implIS3_Lb0EPKlPlS8_S9_N2at6native12_GLOBAL__N_18offset_tEEE10hipError_tPvRmT1_PNSt15iterator_traitsISH_E10value_typeET2_T3_PNSI_ISN_E10value_typeET4_jRbjT5_ST_jjP12ihipStream_tbEUlT_E2_NS1_11comp_targetILNS1_3genE9ELNS1_11target_archE1100ELNS1_3gpuE3ELNS1_3repE0EEENS1_30default_config_static_selectorELNS0_4arch9wavefront6targetE1EEEvSH_
	.p2align	8
	.type	_ZN7rocprim17ROCPRIM_400000_NS6detail17trampoline_kernelINS0_14default_configENS1_36segmented_radix_sort_config_selectorIllEEZNS1_25segmented_radix_sort_implIS3_Lb0EPKlPlS8_S9_N2at6native12_GLOBAL__N_18offset_tEEE10hipError_tPvRmT1_PNSt15iterator_traitsISH_E10value_typeET2_T3_PNSI_ISN_E10value_typeET4_jRbjT5_ST_jjP12ihipStream_tbEUlT_E2_NS1_11comp_targetILNS1_3genE9ELNS1_11target_archE1100ELNS1_3gpuE3ELNS1_3repE0EEENS1_30default_config_static_selectorELNS0_4arch9wavefront6targetE1EEEvSH_,@function
_ZN7rocprim17ROCPRIM_400000_NS6detail17trampoline_kernelINS0_14default_configENS1_36segmented_radix_sort_config_selectorIllEEZNS1_25segmented_radix_sort_implIS3_Lb0EPKlPlS8_S9_N2at6native12_GLOBAL__N_18offset_tEEE10hipError_tPvRmT1_PNSt15iterator_traitsISH_E10value_typeET2_T3_PNSI_ISN_E10value_typeET4_jRbjT5_ST_jjP12ihipStream_tbEUlT_E2_NS1_11comp_targetILNS1_3genE9ELNS1_11target_archE1100ELNS1_3gpuE3ELNS1_3repE0EEENS1_30default_config_static_selectorELNS0_4arch9wavefront6targetE1EEEvSH_: ; @_ZN7rocprim17ROCPRIM_400000_NS6detail17trampoline_kernelINS0_14default_configENS1_36segmented_radix_sort_config_selectorIllEEZNS1_25segmented_radix_sort_implIS3_Lb0EPKlPlS8_S9_N2at6native12_GLOBAL__N_18offset_tEEE10hipError_tPvRmT1_PNSt15iterator_traitsISH_E10value_typeET2_T3_PNSI_ISN_E10value_typeET4_jRbjT5_ST_jjP12ihipStream_tbEUlT_E2_NS1_11comp_targetILNS1_3genE9ELNS1_11target_archE1100ELNS1_3gpuE3ELNS1_3repE0EEENS1_30default_config_static_selectorELNS0_4arch9wavefront6targetE1EEEvSH_
; %bb.0:
	.section	.rodata,"a",@progbits
	.p2align	6, 0x0
	.amdhsa_kernel _ZN7rocprim17ROCPRIM_400000_NS6detail17trampoline_kernelINS0_14default_configENS1_36segmented_radix_sort_config_selectorIllEEZNS1_25segmented_radix_sort_implIS3_Lb0EPKlPlS8_S9_N2at6native12_GLOBAL__N_18offset_tEEE10hipError_tPvRmT1_PNSt15iterator_traitsISH_E10value_typeET2_T3_PNSI_ISN_E10value_typeET4_jRbjT5_ST_jjP12ihipStream_tbEUlT_E2_NS1_11comp_targetILNS1_3genE9ELNS1_11target_archE1100ELNS1_3gpuE3ELNS1_3repE0EEENS1_30default_config_static_selectorELNS0_4arch9wavefront6targetE1EEEvSH_
		.amdhsa_group_segment_fixed_size 0
		.amdhsa_private_segment_fixed_size 0
		.amdhsa_kernarg_size 80
		.amdhsa_user_sgpr_count 6
		.amdhsa_user_sgpr_private_segment_buffer 1
		.amdhsa_user_sgpr_dispatch_ptr 0
		.amdhsa_user_sgpr_queue_ptr 0
		.amdhsa_user_sgpr_kernarg_segment_ptr 1
		.amdhsa_user_sgpr_dispatch_id 0
		.amdhsa_user_sgpr_flat_scratch_init 0
		.amdhsa_user_sgpr_private_segment_size 0
		.amdhsa_uses_dynamic_stack 0
		.amdhsa_system_sgpr_private_segment_wavefront_offset 0
		.amdhsa_system_sgpr_workgroup_id_x 1
		.amdhsa_system_sgpr_workgroup_id_y 0
		.amdhsa_system_sgpr_workgroup_id_z 0
		.amdhsa_system_sgpr_workgroup_info 0
		.amdhsa_system_vgpr_workitem_id 0
		.amdhsa_next_free_vgpr 1
		.amdhsa_next_free_sgpr 0
		.amdhsa_reserve_vcc 0
		.amdhsa_reserve_flat_scratch 0
		.amdhsa_float_round_mode_32 0
		.amdhsa_float_round_mode_16_64 0
		.amdhsa_float_denorm_mode_32 3
		.amdhsa_float_denorm_mode_16_64 3
		.amdhsa_dx10_clamp 1
		.amdhsa_ieee_mode 1
		.amdhsa_fp16_overflow 0
		.amdhsa_exception_fp_ieee_invalid_op 0
		.amdhsa_exception_fp_denorm_src 0
		.amdhsa_exception_fp_ieee_div_zero 0
		.amdhsa_exception_fp_ieee_overflow 0
		.amdhsa_exception_fp_ieee_underflow 0
		.amdhsa_exception_fp_ieee_inexact 0
		.amdhsa_exception_int_div_zero 0
	.end_amdhsa_kernel
	.section	.text._ZN7rocprim17ROCPRIM_400000_NS6detail17trampoline_kernelINS0_14default_configENS1_36segmented_radix_sort_config_selectorIllEEZNS1_25segmented_radix_sort_implIS3_Lb0EPKlPlS8_S9_N2at6native12_GLOBAL__N_18offset_tEEE10hipError_tPvRmT1_PNSt15iterator_traitsISH_E10value_typeET2_T3_PNSI_ISN_E10value_typeET4_jRbjT5_ST_jjP12ihipStream_tbEUlT_E2_NS1_11comp_targetILNS1_3genE9ELNS1_11target_archE1100ELNS1_3gpuE3ELNS1_3repE0EEENS1_30default_config_static_selectorELNS0_4arch9wavefront6targetE1EEEvSH_,"axG",@progbits,_ZN7rocprim17ROCPRIM_400000_NS6detail17trampoline_kernelINS0_14default_configENS1_36segmented_radix_sort_config_selectorIllEEZNS1_25segmented_radix_sort_implIS3_Lb0EPKlPlS8_S9_N2at6native12_GLOBAL__N_18offset_tEEE10hipError_tPvRmT1_PNSt15iterator_traitsISH_E10value_typeET2_T3_PNSI_ISN_E10value_typeET4_jRbjT5_ST_jjP12ihipStream_tbEUlT_E2_NS1_11comp_targetILNS1_3genE9ELNS1_11target_archE1100ELNS1_3gpuE3ELNS1_3repE0EEENS1_30default_config_static_selectorELNS0_4arch9wavefront6targetE1EEEvSH_,comdat
.Lfunc_end844:
	.size	_ZN7rocprim17ROCPRIM_400000_NS6detail17trampoline_kernelINS0_14default_configENS1_36segmented_radix_sort_config_selectorIllEEZNS1_25segmented_radix_sort_implIS3_Lb0EPKlPlS8_S9_N2at6native12_GLOBAL__N_18offset_tEEE10hipError_tPvRmT1_PNSt15iterator_traitsISH_E10value_typeET2_T3_PNSI_ISN_E10value_typeET4_jRbjT5_ST_jjP12ihipStream_tbEUlT_E2_NS1_11comp_targetILNS1_3genE9ELNS1_11target_archE1100ELNS1_3gpuE3ELNS1_3repE0EEENS1_30default_config_static_selectorELNS0_4arch9wavefront6targetE1EEEvSH_, .Lfunc_end844-_ZN7rocprim17ROCPRIM_400000_NS6detail17trampoline_kernelINS0_14default_configENS1_36segmented_radix_sort_config_selectorIllEEZNS1_25segmented_radix_sort_implIS3_Lb0EPKlPlS8_S9_N2at6native12_GLOBAL__N_18offset_tEEE10hipError_tPvRmT1_PNSt15iterator_traitsISH_E10value_typeET2_T3_PNSI_ISN_E10value_typeET4_jRbjT5_ST_jjP12ihipStream_tbEUlT_E2_NS1_11comp_targetILNS1_3genE9ELNS1_11target_archE1100ELNS1_3gpuE3ELNS1_3repE0EEENS1_30default_config_static_selectorELNS0_4arch9wavefront6targetE1EEEvSH_
                                        ; -- End function
	.set _ZN7rocprim17ROCPRIM_400000_NS6detail17trampoline_kernelINS0_14default_configENS1_36segmented_radix_sort_config_selectorIllEEZNS1_25segmented_radix_sort_implIS3_Lb0EPKlPlS8_S9_N2at6native12_GLOBAL__N_18offset_tEEE10hipError_tPvRmT1_PNSt15iterator_traitsISH_E10value_typeET2_T3_PNSI_ISN_E10value_typeET4_jRbjT5_ST_jjP12ihipStream_tbEUlT_E2_NS1_11comp_targetILNS1_3genE9ELNS1_11target_archE1100ELNS1_3gpuE3ELNS1_3repE0EEENS1_30default_config_static_selectorELNS0_4arch9wavefront6targetE1EEEvSH_.num_vgpr, 0
	.set _ZN7rocprim17ROCPRIM_400000_NS6detail17trampoline_kernelINS0_14default_configENS1_36segmented_radix_sort_config_selectorIllEEZNS1_25segmented_radix_sort_implIS3_Lb0EPKlPlS8_S9_N2at6native12_GLOBAL__N_18offset_tEEE10hipError_tPvRmT1_PNSt15iterator_traitsISH_E10value_typeET2_T3_PNSI_ISN_E10value_typeET4_jRbjT5_ST_jjP12ihipStream_tbEUlT_E2_NS1_11comp_targetILNS1_3genE9ELNS1_11target_archE1100ELNS1_3gpuE3ELNS1_3repE0EEENS1_30default_config_static_selectorELNS0_4arch9wavefront6targetE1EEEvSH_.num_agpr, 0
	.set _ZN7rocprim17ROCPRIM_400000_NS6detail17trampoline_kernelINS0_14default_configENS1_36segmented_radix_sort_config_selectorIllEEZNS1_25segmented_radix_sort_implIS3_Lb0EPKlPlS8_S9_N2at6native12_GLOBAL__N_18offset_tEEE10hipError_tPvRmT1_PNSt15iterator_traitsISH_E10value_typeET2_T3_PNSI_ISN_E10value_typeET4_jRbjT5_ST_jjP12ihipStream_tbEUlT_E2_NS1_11comp_targetILNS1_3genE9ELNS1_11target_archE1100ELNS1_3gpuE3ELNS1_3repE0EEENS1_30default_config_static_selectorELNS0_4arch9wavefront6targetE1EEEvSH_.numbered_sgpr, 0
	.set _ZN7rocprim17ROCPRIM_400000_NS6detail17trampoline_kernelINS0_14default_configENS1_36segmented_radix_sort_config_selectorIllEEZNS1_25segmented_radix_sort_implIS3_Lb0EPKlPlS8_S9_N2at6native12_GLOBAL__N_18offset_tEEE10hipError_tPvRmT1_PNSt15iterator_traitsISH_E10value_typeET2_T3_PNSI_ISN_E10value_typeET4_jRbjT5_ST_jjP12ihipStream_tbEUlT_E2_NS1_11comp_targetILNS1_3genE9ELNS1_11target_archE1100ELNS1_3gpuE3ELNS1_3repE0EEENS1_30default_config_static_selectorELNS0_4arch9wavefront6targetE1EEEvSH_.num_named_barrier, 0
	.set _ZN7rocprim17ROCPRIM_400000_NS6detail17trampoline_kernelINS0_14default_configENS1_36segmented_radix_sort_config_selectorIllEEZNS1_25segmented_radix_sort_implIS3_Lb0EPKlPlS8_S9_N2at6native12_GLOBAL__N_18offset_tEEE10hipError_tPvRmT1_PNSt15iterator_traitsISH_E10value_typeET2_T3_PNSI_ISN_E10value_typeET4_jRbjT5_ST_jjP12ihipStream_tbEUlT_E2_NS1_11comp_targetILNS1_3genE9ELNS1_11target_archE1100ELNS1_3gpuE3ELNS1_3repE0EEENS1_30default_config_static_selectorELNS0_4arch9wavefront6targetE1EEEvSH_.private_seg_size, 0
	.set _ZN7rocprim17ROCPRIM_400000_NS6detail17trampoline_kernelINS0_14default_configENS1_36segmented_radix_sort_config_selectorIllEEZNS1_25segmented_radix_sort_implIS3_Lb0EPKlPlS8_S9_N2at6native12_GLOBAL__N_18offset_tEEE10hipError_tPvRmT1_PNSt15iterator_traitsISH_E10value_typeET2_T3_PNSI_ISN_E10value_typeET4_jRbjT5_ST_jjP12ihipStream_tbEUlT_E2_NS1_11comp_targetILNS1_3genE9ELNS1_11target_archE1100ELNS1_3gpuE3ELNS1_3repE0EEENS1_30default_config_static_selectorELNS0_4arch9wavefront6targetE1EEEvSH_.uses_vcc, 0
	.set _ZN7rocprim17ROCPRIM_400000_NS6detail17trampoline_kernelINS0_14default_configENS1_36segmented_radix_sort_config_selectorIllEEZNS1_25segmented_radix_sort_implIS3_Lb0EPKlPlS8_S9_N2at6native12_GLOBAL__N_18offset_tEEE10hipError_tPvRmT1_PNSt15iterator_traitsISH_E10value_typeET2_T3_PNSI_ISN_E10value_typeET4_jRbjT5_ST_jjP12ihipStream_tbEUlT_E2_NS1_11comp_targetILNS1_3genE9ELNS1_11target_archE1100ELNS1_3gpuE3ELNS1_3repE0EEENS1_30default_config_static_selectorELNS0_4arch9wavefront6targetE1EEEvSH_.uses_flat_scratch, 0
	.set _ZN7rocprim17ROCPRIM_400000_NS6detail17trampoline_kernelINS0_14default_configENS1_36segmented_radix_sort_config_selectorIllEEZNS1_25segmented_radix_sort_implIS3_Lb0EPKlPlS8_S9_N2at6native12_GLOBAL__N_18offset_tEEE10hipError_tPvRmT1_PNSt15iterator_traitsISH_E10value_typeET2_T3_PNSI_ISN_E10value_typeET4_jRbjT5_ST_jjP12ihipStream_tbEUlT_E2_NS1_11comp_targetILNS1_3genE9ELNS1_11target_archE1100ELNS1_3gpuE3ELNS1_3repE0EEENS1_30default_config_static_selectorELNS0_4arch9wavefront6targetE1EEEvSH_.has_dyn_sized_stack, 0
	.set _ZN7rocprim17ROCPRIM_400000_NS6detail17trampoline_kernelINS0_14default_configENS1_36segmented_radix_sort_config_selectorIllEEZNS1_25segmented_radix_sort_implIS3_Lb0EPKlPlS8_S9_N2at6native12_GLOBAL__N_18offset_tEEE10hipError_tPvRmT1_PNSt15iterator_traitsISH_E10value_typeET2_T3_PNSI_ISN_E10value_typeET4_jRbjT5_ST_jjP12ihipStream_tbEUlT_E2_NS1_11comp_targetILNS1_3genE9ELNS1_11target_archE1100ELNS1_3gpuE3ELNS1_3repE0EEENS1_30default_config_static_selectorELNS0_4arch9wavefront6targetE1EEEvSH_.has_recursion, 0
	.set _ZN7rocprim17ROCPRIM_400000_NS6detail17trampoline_kernelINS0_14default_configENS1_36segmented_radix_sort_config_selectorIllEEZNS1_25segmented_radix_sort_implIS3_Lb0EPKlPlS8_S9_N2at6native12_GLOBAL__N_18offset_tEEE10hipError_tPvRmT1_PNSt15iterator_traitsISH_E10value_typeET2_T3_PNSI_ISN_E10value_typeET4_jRbjT5_ST_jjP12ihipStream_tbEUlT_E2_NS1_11comp_targetILNS1_3genE9ELNS1_11target_archE1100ELNS1_3gpuE3ELNS1_3repE0EEENS1_30default_config_static_selectorELNS0_4arch9wavefront6targetE1EEEvSH_.has_indirect_call, 0
	.section	.AMDGPU.csdata,"",@progbits
; Kernel info:
; codeLenInByte = 0
; TotalNumSgprs: 4
; NumVgprs: 0
; ScratchSize: 0
; MemoryBound: 0
; FloatMode: 240
; IeeeMode: 1
; LDSByteSize: 0 bytes/workgroup (compile time only)
; SGPRBlocks: 0
; VGPRBlocks: 0
; NumSGPRsForWavesPerEU: 4
; NumVGPRsForWavesPerEU: 1
; Occupancy: 10
; WaveLimiterHint : 0
; COMPUTE_PGM_RSRC2:SCRATCH_EN: 0
; COMPUTE_PGM_RSRC2:USER_SGPR: 6
; COMPUTE_PGM_RSRC2:TRAP_HANDLER: 0
; COMPUTE_PGM_RSRC2:TGID_X_EN: 1
; COMPUTE_PGM_RSRC2:TGID_Y_EN: 0
; COMPUTE_PGM_RSRC2:TGID_Z_EN: 0
; COMPUTE_PGM_RSRC2:TIDIG_COMP_CNT: 0
	.section	.text._ZN7rocprim17ROCPRIM_400000_NS6detail17trampoline_kernelINS0_14default_configENS1_36segmented_radix_sort_config_selectorIllEEZNS1_25segmented_radix_sort_implIS3_Lb0EPKlPlS8_S9_N2at6native12_GLOBAL__N_18offset_tEEE10hipError_tPvRmT1_PNSt15iterator_traitsISH_E10value_typeET2_T3_PNSI_ISN_E10value_typeET4_jRbjT5_ST_jjP12ihipStream_tbEUlT_E2_NS1_11comp_targetILNS1_3genE8ELNS1_11target_archE1030ELNS1_3gpuE2ELNS1_3repE0EEENS1_30default_config_static_selectorELNS0_4arch9wavefront6targetE1EEEvSH_,"axG",@progbits,_ZN7rocprim17ROCPRIM_400000_NS6detail17trampoline_kernelINS0_14default_configENS1_36segmented_radix_sort_config_selectorIllEEZNS1_25segmented_radix_sort_implIS3_Lb0EPKlPlS8_S9_N2at6native12_GLOBAL__N_18offset_tEEE10hipError_tPvRmT1_PNSt15iterator_traitsISH_E10value_typeET2_T3_PNSI_ISN_E10value_typeET4_jRbjT5_ST_jjP12ihipStream_tbEUlT_E2_NS1_11comp_targetILNS1_3genE8ELNS1_11target_archE1030ELNS1_3gpuE2ELNS1_3repE0EEENS1_30default_config_static_selectorELNS0_4arch9wavefront6targetE1EEEvSH_,comdat
	.globl	_ZN7rocprim17ROCPRIM_400000_NS6detail17trampoline_kernelINS0_14default_configENS1_36segmented_radix_sort_config_selectorIllEEZNS1_25segmented_radix_sort_implIS3_Lb0EPKlPlS8_S9_N2at6native12_GLOBAL__N_18offset_tEEE10hipError_tPvRmT1_PNSt15iterator_traitsISH_E10value_typeET2_T3_PNSI_ISN_E10value_typeET4_jRbjT5_ST_jjP12ihipStream_tbEUlT_E2_NS1_11comp_targetILNS1_3genE8ELNS1_11target_archE1030ELNS1_3gpuE2ELNS1_3repE0EEENS1_30default_config_static_selectorELNS0_4arch9wavefront6targetE1EEEvSH_ ; -- Begin function _ZN7rocprim17ROCPRIM_400000_NS6detail17trampoline_kernelINS0_14default_configENS1_36segmented_radix_sort_config_selectorIllEEZNS1_25segmented_radix_sort_implIS3_Lb0EPKlPlS8_S9_N2at6native12_GLOBAL__N_18offset_tEEE10hipError_tPvRmT1_PNSt15iterator_traitsISH_E10value_typeET2_T3_PNSI_ISN_E10value_typeET4_jRbjT5_ST_jjP12ihipStream_tbEUlT_E2_NS1_11comp_targetILNS1_3genE8ELNS1_11target_archE1030ELNS1_3gpuE2ELNS1_3repE0EEENS1_30default_config_static_selectorELNS0_4arch9wavefront6targetE1EEEvSH_
	.p2align	8
	.type	_ZN7rocprim17ROCPRIM_400000_NS6detail17trampoline_kernelINS0_14default_configENS1_36segmented_radix_sort_config_selectorIllEEZNS1_25segmented_radix_sort_implIS3_Lb0EPKlPlS8_S9_N2at6native12_GLOBAL__N_18offset_tEEE10hipError_tPvRmT1_PNSt15iterator_traitsISH_E10value_typeET2_T3_PNSI_ISN_E10value_typeET4_jRbjT5_ST_jjP12ihipStream_tbEUlT_E2_NS1_11comp_targetILNS1_3genE8ELNS1_11target_archE1030ELNS1_3gpuE2ELNS1_3repE0EEENS1_30default_config_static_selectorELNS0_4arch9wavefront6targetE1EEEvSH_,@function
_ZN7rocprim17ROCPRIM_400000_NS6detail17trampoline_kernelINS0_14default_configENS1_36segmented_radix_sort_config_selectorIllEEZNS1_25segmented_radix_sort_implIS3_Lb0EPKlPlS8_S9_N2at6native12_GLOBAL__N_18offset_tEEE10hipError_tPvRmT1_PNSt15iterator_traitsISH_E10value_typeET2_T3_PNSI_ISN_E10value_typeET4_jRbjT5_ST_jjP12ihipStream_tbEUlT_E2_NS1_11comp_targetILNS1_3genE8ELNS1_11target_archE1030ELNS1_3gpuE2ELNS1_3repE0EEENS1_30default_config_static_selectorELNS0_4arch9wavefront6targetE1EEEvSH_: ; @_ZN7rocprim17ROCPRIM_400000_NS6detail17trampoline_kernelINS0_14default_configENS1_36segmented_radix_sort_config_selectorIllEEZNS1_25segmented_radix_sort_implIS3_Lb0EPKlPlS8_S9_N2at6native12_GLOBAL__N_18offset_tEEE10hipError_tPvRmT1_PNSt15iterator_traitsISH_E10value_typeET2_T3_PNSI_ISN_E10value_typeET4_jRbjT5_ST_jjP12ihipStream_tbEUlT_E2_NS1_11comp_targetILNS1_3genE8ELNS1_11target_archE1030ELNS1_3gpuE2ELNS1_3repE0EEENS1_30default_config_static_selectorELNS0_4arch9wavefront6targetE1EEEvSH_
; %bb.0:
	.section	.rodata,"a",@progbits
	.p2align	6, 0x0
	.amdhsa_kernel _ZN7rocprim17ROCPRIM_400000_NS6detail17trampoline_kernelINS0_14default_configENS1_36segmented_radix_sort_config_selectorIllEEZNS1_25segmented_radix_sort_implIS3_Lb0EPKlPlS8_S9_N2at6native12_GLOBAL__N_18offset_tEEE10hipError_tPvRmT1_PNSt15iterator_traitsISH_E10value_typeET2_T3_PNSI_ISN_E10value_typeET4_jRbjT5_ST_jjP12ihipStream_tbEUlT_E2_NS1_11comp_targetILNS1_3genE8ELNS1_11target_archE1030ELNS1_3gpuE2ELNS1_3repE0EEENS1_30default_config_static_selectorELNS0_4arch9wavefront6targetE1EEEvSH_
		.amdhsa_group_segment_fixed_size 0
		.amdhsa_private_segment_fixed_size 0
		.amdhsa_kernarg_size 80
		.amdhsa_user_sgpr_count 6
		.amdhsa_user_sgpr_private_segment_buffer 1
		.amdhsa_user_sgpr_dispatch_ptr 0
		.amdhsa_user_sgpr_queue_ptr 0
		.amdhsa_user_sgpr_kernarg_segment_ptr 1
		.amdhsa_user_sgpr_dispatch_id 0
		.amdhsa_user_sgpr_flat_scratch_init 0
		.amdhsa_user_sgpr_private_segment_size 0
		.amdhsa_uses_dynamic_stack 0
		.amdhsa_system_sgpr_private_segment_wavefront_offset 0
		.amdhsa_system_sgpr_workgroup_id_x 1
		.amdhsa_system_sgpr_workgroup_id_y 0
		.amdhsa_system_sgpr_workgroup_id_z 0
		.amdhsa_system_sgpr_workgroup_info 0
		.amdhsa_system_vgpr_workitem_id 0
		.amdhsa_next_free_vgpr 1
		.amdhsa_next_free_sgpr 0
		.amdhsa_reserve_vcc 0
		.amdhsa_reserve_flat_scratch 0
		.amdhsa_float_round_mode_32 0
		.amdhsa_float_round_mode_16_64 0
		.amdhsa_float_denorm_mode_32 3
		.amdhsa_float_denorm_mode_16_64 3
		.amdhsa_dx10_clamp 1
		.amdhsa_ieee_mode 1
		.amdhsa_fp16_overflow 0
		.amdhsa_exception_fp_ieee_invalid_op 0
		.amdhsa_exception_fp_denorm_src 0
		.amdhsa_exception_fp_ieee_div_zero 0
		.amdhsa_exception_fp_ieee_overflow 0
		.amdhsa_exception_fp_ieee_underflow 0
		.amdhsa_exception_fp_ieee_inexact 0
		.amdhsa_exception_int_div_zero 0
	.end_amdhsa_kernel
	.section	.text._ZN7rocprim17ROCPRIM_400000_NS6detail17trampoline_kernelINS0_14default_configENS1_36segmented_radix_sort_config_selectorIllEEZNS1_25segmented_radix_sort_implIS3_Lb0EPKlPlS8_S9_N2at6native12_GLOBAL__N_18offset_tEEE10hipError_tPvRmT1_PNSt15iterator_traitsISH_E10value_typeET2_T3_PNSI_ISN_E10value_typeET4_jRbjT5_ST_jjP12ihipStream_tbEUlT_E2_NS1_11comp_targetILNS1_3genE8ELNS1_11target_archE1030ELNS1_3gpuE2ELNS1_3repE0EEENS1_30default_config_static_selectorELNS0_4arch9wavefront6targetE1EEEvSH_,"axG",@progbits,_ZN7rocprim17ROCPRIM_400000_NS6detail17trampoline_kernelINS0_14default_configENS1_36segmented_radix_sort_config_selectorIllEEZNS1_25segmented_radix_sort_implIS3_Lb0EPKlPlS8_S9_N2at6native12_GLOBAL__N_18offset_tEEE10hipError_tPvRmT1_PNSt15iterator_traitsISH_E10value_typeET2_T3_PNSI_ISN_E10value_typeET4_jRbjT5_ST_jjP12ihipStream_tbEUlT_E2_NS1_11comp_targetILNS1_3genE8ELNS1_11target_archE1030ELNS1_3gpuE2ELNS1_3repE0EEENS1_30default_config_static_selectorELNS0_4arch9wavefront6targetE1EEEvSH_,comdat
.Lfunc_end845:
	.size	_ZN7rocprim17ROCPRIM_400000_NS6detail17trampoline_kernelINS0_14default_configENS1_36segmented_radix_sort_config_selectorIllEEZNS1_25segmented_radix_sort_implIS3_Lb0EPKlPlS8_S9_N2at6native12_GLOBAL__N_18offset_tEEE10hipError_tPvRmT1_PNSt15iterator_traitsISH_E10value_typeET2_T3_PNSI_ISN_E10value_typeET4_jRbjT5_ST_jjP12ihipStream_tbEUlT_E2_NS1_11comp_targetILNS1_3genE8ELNS1_11target_archE1030ELNS1_3gpuE2ELNS1_3repE0EEENS1_30default_config_static_selectorELNS0_4arch9wavefront6targetE1EEEvSH_, .Lfunc_end845-_ZN7rocprim17ROCPRIM_400000_NS6detail17trampoline_kernelINS0_14default_configENS1_36segmented_radix_sort_config_selectorIllEEZNS1_25segmented_radix_sort_implIS3_Lb0EPKlPlS8_S9_N2at6native12_GLOBAL__N_18offset_tEEE10hipError_tPvRmT1_PNSt15iterator_traitsISH_E10value_typeET2_T3_PNSI_ISN_E10value_typeET4_jRbjT5_ST_jjP12ihipStream_tbEUlT_E2_NS1_11comp_targetILNS1_3genE8ELNS1_11target_archE1030ELNS1_3gpuE2ELNS1_3repE0EEENS1_30default_config_static_selectorELNS0_4arch9wavefront6targetE1EEEvSH_
                                        ; -- End function
	.set _ZN7rocprim17ROCPRIM_400000_NS6detail17trampoline_kernelINS0_14default_configENS1_36segmented_radix_sort_config_selectorIllEEZNS1_25segmented_radix_sort_implIS3_Lb0EPKlPlS8_S9_N2at6native12_GLOBAL__N_18offset_tEEE10hipError_tPvRmT1_PNSt15iterator_traitsISH_E10value_typeET2_T3_PNSI_ISN_E10value_typeET4_jRbjT5_ST_jjP12ihipStream_tbEUlT_E2_NS1_11comp_targetILNS1_3genE8ELNS1_11target_archE1030ELNS1_3gpuE2ELNS1_3repE0EEENS1_30default_config_static_selectorELNS0_4arch9wavefront6targetE1EEEvSH_.num_vgpr, 0
	.set _ZN7rocprim17ROCPRIM_400000_NS6detail17trampoline_kernelINS0_14default_configENS1_36segmented_radix_sort_config_selectorIllEEZNS1_25segmented_radix_sort_implIS3_Lb0EPKlPlS8_S9_N2at6native12_GLOBAL__N_18offset_tEEE10hipError_tPvRmT1_PNSt15iterator_traitsISH_E10value_typeET2_T3_PNSI_ISN_E10value_typeET4_jRbjT5_ST_jjP12ihipStream_tbEUlT_E2_NS1_11comp_targetILNS1_3genE8ELNS1_11target_archE1030ELNS1_3gpuE2ELNS1_3repE0EEENS1_30default_config_static_selectorELNS0_4arch9wavefront6targetE1EEEvSH_.num_agpr, 0
	.set _ZN7rocprim17ROCPRIM_400000_NS6detail17trampoline_kernelINS0_14default_configENS1_36segmented_radix_sort_config_selectorIllEEZNS1_25segmented_radix_sort_implIS3_Lb0EPKlPlS8_S9_N2at6native12_GLOBAL__N_18offset_tEEE10hipError_tPvRmT1_PNSt15iterator_traitsISH_E10value_typeET2_T3_PNSI_ISN_E10value_typeET4_jRbjT5_ST_jjP12ihipStream_tbEUlT_E2_NS1_11comp_targetILNS1_3genE8ELNS1_11target_archE1030ELNS1_3gpuE2ELNS1_3repE0EEENS1_30default_config_static_selectorELNS0_4arch9wavefront6targetE1EEEvSH_.numbered_sgpr, 0
	.set _ZN7rocprim17ROCPRIM_400000_NS6detail17trampoline_kernelINS0_14default_configENS1_36segmented_radix_sort_config_selectorIllEEZNS1_25segmented_radix_sort_implIS3_Lb0EPKlPlS8_S9_N2at6native12_GLOBAL__N_18offset_tEEE10hipError_tPvRmT1_PNSt15iterator_traitsISH_E10value_typeET2_T3_PNSI_ISN_E10value_typeET4_jRbjT5_ST_jjP12ihipStream_tbEUlT_E2_NS1_11comp_targetILNS1_3genE8ELNS1_11target_archE1030ELNS1_3gpuE2ELNS1_3repE0EEENS1_30default_config_static_selectorELNS0_4arch9wavefront6targetE1EEEvSH_.num_named_barrier, 0
	.set _ZN7rocprim17ROCPRIM_400000_NS6detail17trampoline_kernelINS0_14default_configENS1_36segmented_radix_sort_config_selectorIllEEZNS1_25segmented_radix_sort_implIS3_Lb0EPKlPlS8_S9_N2at6native12_GLOBAL__N_18offset_tEEE10hipError_tPvRmT1_PNSt15iterator_traitsISH_E10value_typeET2_T3_PNSI_ISN_E10value_typeET4_jRbjT5_ST_jjP12ihipStream_tbEUlT_E2_NS1_11comp_targetILNS1_3genE8ELNS1_11target_archE1030ELNS1_3gpuE2ELNS1_3repE0EEENS1_30default_config_static_selectorELNS0_4arch9wavefront6targetE1EEEvSH_.private_seg_size, 0
	.set _ZN7rocprim17ROCPRIM_400000_NS6detail17trampoline_kernelINS0_14default_configENS1_36segmented_radix_sort_config_selectorIllEEZNS1_25segmented_radix_sort_implIS3_Lb0EPKlPlS8_S9_N2at6native12_GLOBAL__N_18offset_tEEE10hipError_tPvRmT1_PNSt15iterator_traitsISH_E10value_typeET2_T3_PNSI_ISN_E10value_typeET4_jRbjT5_ST_jjP12ihipStream_tbEUlT_E2_NS1_11comp_targetILNS1_3genE8ELNS1_11target_archE1030ELNS1_3gpuE2ELNS1_3repE0EEENS1_30default_config_static_selectorELNS0_4arch9wavefront6targetE1EEEvSH_.uses_vcc, 0
	.set _ZN7rocprim17ROCPRIM_400000_NS6detail17trampoline_kernelINS0_14default_configENS1_36segmented_radix_sort_config_selectorIllEEZNS1_25segmented_radix_sort_implIS3_Lb0EPKlPlS8_S9_N2at6native12_GLOBAL__N_18offset_tEEE10hipError_tPvRmT1_PNSt15iterator_traitsISH_E10value_typeET2_T3_PNSI_ISN_E10value_typeET4_jRbjT5_ST_jjP12ihipStream_tbEUlT_E2_NS1_11comp_targetILNS1_3genE8ELNS1_11target_archE1030ELNS1_3gpuE2ELNS1_3repE0EEENS1_30default_config_static_selectorELNS0_4arch9wavefront6targetE1EEEvSH_.uses_flat_scratch, 0
	.set _ZN7rocprim17ROCPRIM_400000_NS6detail17trampoline_kernelINS0_14default_configENS1_36segmented_radix_sort_config_selectorIllEEZNS1_25segmented_radix_sort_implIS3_Lb0EPKlPlS8_S9_N2at6native12_GLOBAL__N_18offset_tEEE10hipError_tPvRmT1_PNSt15iterator_traitsISH_E10value_typeET2_T3_PNSI_ISN_E10value_typeET4_jRbjT5_ST_jjP12ihipStream_tbEUlT_E2_NS1_11comp_targetILNS1_3genE8ELNS1_11target_archE1030ELNS1_3gpuE2ELNS1_3repE0EEENS1_30default_config_static_selectorELNS0_4arch9wavefront6targetE1EEEvSH_.has_dyn_sized_stack, 0
	.set _ZN7rocprim17ROCPRIM_400000_NS6detail17trampoline_kernelINS0_14default_configENS1_36segmented_radix_sort_config_selectorIllEEZNS1_25segmented_radix_sort_implIS3_Lb0EPKlPlS8_S9_N2at6native12_GLOBAL__N_18offset_tEEE10hipError_tPvRmT1_PNSt15iterator_traitsISH_E10value_typeET2_T3_PNSI_ISN_E10value_typeET4_jRbjT5_ST_jjP12ihipStream_tbEUlT_E2_NS1_11comp_targetILNS1_3genE8ELNS1_11target_archE1030ELNS1_3gpuE2ELNS1_3repE0EEENS1_30default_config_static_selectorELNS0_4arch9wavefront6targetE1EEEvSH_.has_recursion, 0
	.set _ZN7rocprim17ROCPRIM_400000_NS6detail17trampoline_kernelINS0_14default_configENS1_36segmented_radix_sort_config_selectorIllEEZNS1_25segmented_radix_sort_implIS3_Lb0EPKlPlS8_S9_N2at6native12_GLOBAL__N_18offset_tEEE10hipError_tPvRmT1_PNSt15iterator_traitsISH_E10value_typeET2_T3_PNSI_ISN_E10value_typeET4_jRbjT5_ST_jjP12ihipStream_tbEUlT_E2_NS1_11comp_targetILNS1_3genE8ELNS1_11target_archE1030ELNS1_3gpuE2ELNS1_3repE0EEENS1_30default_config_static_selectorELNS0_4arch9wavefront6targetE1EEEvSH_.has_indirect_call, 0
	.section	.AMDGPU.csdata,"",@progbits
; Kernel info:
; codeLenInByte = 0
; TotalNumSgprs: 4
; NumVgprs: 0
; ScratchSize: 0
; MemoryBound: 0
; FloatMode: 240
; IeeeMode: 1
; LDSByteSize: 0 bytes/workgroup (compile time only)
; SGPRBlocks: 0
; VGPRBlocks: 0
; NumSGPRsForWavesPerEU: 4
; NumVGPRsForWavesPerEU: 1
; Occupancy: 10
; WaveLimiterHint : 0
; COMPUTE_PGM_RSRC2:SCRATCH_EN: 0
; COMPUTE_PGM_RSRC2:USER_SGPR: 6
; COMPUTE_PGM_RSRC2:TRAP_HANDLER: 0
; COMPUTE_PGM_RSRC2:TGID_X_EN: 1
; COMPUTE_PGM_RSRC2:TGID_Y_EN: 0
; COMPUTE_PGM_RSRC2:TGID_Z_EN: 0
; COMPUTE_PGM_RSRC2:TIDIG_COMP_CNT: 0
	.section	.text._ZN2at6native12_GLOBAL__N_123sort_postprocess_kernelIsEEvPKT_PS3_PlPK15HIP_vector_typeIiLj2EEii,"axG",@progbits,_ZN2at6native12_GLOBAL__N_123sort_postprocess_kernelIsEEvPKT_PS3_PlPK15HIP_vector_typeIiLj2EEii,comdat
	.globl	_ZN2at6native12_GLOBAL__N_123sort_postprocess_kernelIsEEvPKT_PS3_PlPK15HIP_vector_typeIiLj2EEii ; -- Begin function _ZN2at6native12_GLOBAL__N_123sort_postprocess_kernelIsEEvPKT_PS3_PlPK15HIP_vector_typeIiLj2EEii
	.p2align	8
	.type	_ZN2at6native12_GLOBAL__N_123sort_postprocess_kernelIsEEvPKT_PS3_PlPK15HIP_vector_typeIiLj2EEii,@function
_ZN2at6native12_GLOBAL__N_123sort_postprocess_kernelIsEEvPKT_PS3_PlPK15HIP_vector_typeIiLj2EEii: ; @_ZN2at6native12_GLOBAL__N_123sort_postprocess_kernelIsEEvPKT_PS3_PlPK15HIP_vector_typeIiLj2EEii
; %bb.0:
	s_load_dword s0, s[4:5], 0x34
	s_load_dwordx2 s[8:9], s[4:5], 0x20
	s_add_u32 s2, s4, 40
	s_addc_u32 s3, s5, 0
	s_waitcnt lgkmcnt(0)
	s_and_b32 s17, s0, 0xffff
	s_mul_hi_u32 s16, s17, s6
	s_mul_i32 s6, s17, s6
	v_mov_b32_e32 v2, s16
	v_add_co_u32_e32 v1, vcc, s6, v0
	s_mul_i32 s0, s9, s8
	v_addc_co_u32_e32 v2, vcc, 0, v2, vcc
	s_ashr_i32 s1, s0, 31
	v_cmp_gt_i64_e32 vcc, s[0:1], v[1:2]
	v_mov_b32_e32 v1, 0
	s_and_saveexec_b64 s[10:11], vcc
	s_cbranch_execz .LBB846_3
; %bb.1:
	s_abs_i32 s7, s9
	v_cvt_f32_u32_e32 v2, s7
	s_load_dword s18, s[2:3], 0x0
	s_load_dwordx8 s[8:15], s[4:5], 0x0
	s_sub_i32 s2, 0, s7
	v_rcp_iflag_f32_e32 v2, v2
	s_waitcnt lgkmcnt(0)
	s_mul_i32 s4, s18, s17
	v_mov_b32_e32 v4, s13
	v_mov_b32_e32 v5, s15
	v_mul_f32_e32 v2, 0x4f7ffffe, v2
	v_cvt_u32_f32_e32 v6, v2
	v_mov_b32_e32 v2, s9
	v_mul_lo_u32 v3, s2, v6
	s_mov_b64 s[2:3], 0
	v_mul_hi_u32 v7, v6, v3
	v_mov_b32_e32 v3, s11
	v_add_u32_e32 v6, v6, v7
	v_mov_b32_e32 v7, s16
.LBB846_2:                              ; =>This Inner Loop Header: Depth=1
	v_add_u32_e32 v8, s6, v0
	v_ashrrev_i32_e32 v9, 31, v8
	v_sub_u32_e32 v10, 0, v8
	v_add_u32_e32 v11, v8, v9
	v_max_i32_e32 v8, v8, v10
	v_mul_hi_u32 v10, v8, v6
	v_mul_lo_u32 v10, v10, s7
	v_sub_u32_e32 v8, v8, v10
	v_subrev_u32_e32 v10, s7, v8
	v_cmp_le_u32_e32 vcc, s7, v8
	v_cndmask_b32_e32 v8, v8, v10, vcc
	v_subrev_u32_e32 v10, s7, v8
	v_cmp_le_u32_e32 vcc, s7, v8
	v_cndmask_b32_e32 v8, v8, v10, vcc
	v_xor_b32_e32 v10, v8, v9
	v_sub_u32_e32 v8, v10, v9
	v_sub_u32_e32 v10, v11, v10
	v_ashrrev_i32_e32 v11, 31, v10
	v_lshlrev_b64 v[12:13], 3, v[10:11]
	v_ashrrev_i32_e32 v9, 31, v8
	v_lshlrev_b64 v[14:15], 3, v[8:9]
	v_add_co_u32_e32 v16, vcc, s14, v12
	v_addc_co_u32_e32 v17, vcc, v5, v13, vcc
	v_add_co_u32_e32 v16, vcc, v16, v14
	v_addc_co_u32_e32 v17, vcc, v17, v15, vcc
	global_load_dword v16, v[16:17], off offset:4
	v_lshlrev_b64 v[10:11], 1, v[10:11]
	v_lshlrev_b64 v[8:9], 1, v[8:9]
	v_add_co_u32_e32 v20, vcc, s8, v10
	v_addc_co_u32_e32 v21, vcc, v2, v11, vcc
	s_waitcnt vmcnt(0)
	v_ashrrev_i32_e32 v17, 31, v16
	v_lshlrev_b64 v[18:19], 1, v[16:17]
	v_add_co_u32_e32 v18, vcc, v20, v18
	v_addc_co_u32_e32 v19, vcc, v21, v19, vcc
	global_load_ushort v18, v[18:19], off
	v_add_co_u32_e32 v0, vcc, s4, v0
	v_addc_co_u32_e32 v1, vcc, 0, v1, vcc
	v_add_co_u32_e32 v20, vcc, s6, v0
	v_addc_co_u32_e32 v21, vcc, v7, v1, vcc
	v_cmp_le_i64_e32 vcc, s[0:1], v[20:21]
	s_or_b64 s[2:3], vcc, s[2:3]
	v_add_co_u32_e32 v19, vcc, s10, v10
	v_addc_co_u32_e32 v20, vcc, v3, v11, vcc
	v_add_co_u32_e32 v10, vcc, s12, v12
	v_addc_co_u32_e32 v11, vcc, v4, v13, vcc
	;; [unrolled: 2-line block ×4, first 2 shown]
	global_store_dwordx2 v[10:11], v[16:17], off
	s_waitcnt vmcnt(1)
	global_store_short v[8:9], v18, off
	s_andn2_b64 exec, exec, s[2:3]
	s_cbranch_execnz .LBB846_2
.LBB846_3:
	s_endpgm
	.section	.rodata,"a",@progbits
	.p2align	6, 0x0
	.amdhsa_kernel _ZN2at6native12_GLOBAL__N_123sort_postprocess_kernelIsEEvPKT_PS3_PlPK15HIP_vector_typeIiLj2EEii
		.amdhsa_group_segment_fixed_size 0
		.amdhsa_private_segment_fixed_size 0
		.amdhsa_kernarg_size 296
		.amdhsa_user_sgpr_count 6
		.amdhsa_user_sgpr_private_segment_buffer 1
		.amdhsa_user_sgpr_dispatch_ptr 0
		.amdhsa_user_sgpr_queue_ptr 0
		.amdhsa_user_sgpr_kernarg_segment_ptr 1
		.amdhsa_user_sgpr_dispatch_id 0
		.amdhsa_user_sgpr_flat_scratch_init 0
		.amdhsa_user_sgpr_private_segment_size 0
		.amdhsa_uses_dynamic_stack 0
		.amdhsa_system_sgpr_private_segment_wavefront_offset 0
		.amdhsa_system_sgpr_workgroup_id_x 1
		.amdhsa_system_sgpr_workgroup_id_y 0
		.amdhsa_system_sgpr_workgroup_id_z 0
		.amdhsa_system_sgpr_workgroup_info 0
		.amdhsa_system_vgpr_workitem_id 0
		.amdhsa_next_free_vgpr 22
		.amdhsa_next_free_sgpr 19
		.amdhsa_reserve_vcc 1
		.amdhsa_reserve_flat_scratch 0
		.amdhsa_float_round_mode_32 0
		.amdhsa_float_round_mode_16_64 0
		.amdhsa_float_denorm_mode_32 3
		.amdhsa_float_denorm_mode_16_64 3
		.amdhsa_dx10_clamp 1
		.amdhsa_ieee_mode 1
		.amdhsa_fp16_overflow 0
		.amdhsa_exception_fp_ieee_invalid_op 0
		.amdhsa_exception_fp_denorm_src 0
		.amdhsa_exception_fp_ieee_div_zero 0
		.amdhsa_exception_fp_ieee_overflow 0
		.amdhsa_exception_fp_ieee_underflow 0
		.amdhsa_exception_fp_ieee_inexact 0
		.amdhsa_exception_int_div_zero 0
	.end_amdhsa_kernel
	.section	.text._ZN2at6native12_GLOBAL__N_123sort_postprocess_kernelIsEEvPKT_PS3_PlPK15HIP_vector_typeIiLj2EEii,"axG",@progbits,_ZN2at6native12_GLOBAL__N_123sort_postprocess_kernelIsEEvPKT_PS3_PlPK15HIP_vector_typeIiLj2EEii,comdat
.Lfunc_end846:
	.size	_ZN2at6native12_GLOBAL__N_123sort_postprocess_kernelIsEEvPKT_PS3_PlPK15HIP_vector_typeIiLj2EEii, .Lfunc_end846-_ZN2at6native12_GLOBAL__N_123sort_postprocess_kernelIsEEvPKT_PS3_PlPK15HIP_vector_typeIiLj2EEii
                                        ; -- End function
	.set _ZN2at6native12_GLOBAL__N_123sort_postprocess_kernelIsEEvPKT_PS3_PlPK15HIP_vector_typeIiLj2EEii.num_vgpr, 22
	.set _ZN2at6native12_GLOBAL__N_123sort_postprocess_kernelIsEEvPKT_PS3_PlPK15HIP_vector_typeIiLj2EEii.num_agpr, 0
	.set _ZN2at6native12_GLOBAL__N_123sort_postprocess_kernelIsEEvPKT_PS3_PlPK15HIP_vector_typeIiLj2EEii.numbered_sgpr, 19
	.set _ZN2at6native12_GLOBAL__N_123sort_postprocess_kernelIsEEvPKT_PS3_PlPK15HIP_vector_typeIiLj2EEii.num_named_barrier, 0
	.set _ZN2at6native12_GLOBAL__N_123sort_postprocess_kernelIsEEvPKT_PS3_PlPK15HIP_vector_typeIiLj2EEii.private_seg_size, 0
	.set _ZN2at6native12_GLOBAL__N_123sort_postprocess_kernelIsEEvPKT_PS3_PlPK15HIP_vector_typeIiLj2EEii.uses_vcc, 1
	.set _ZN2at6native12_GLOBAL__N_123sort_postprocess_kernelIsEEvPKT_PS3_PlPK15HIP_vector_typeIiLj2EEii.uses_flat_scratch, 0
	.set _ZN2at6native12_GLOBAL__N_123sort_postprocess_kernelIsEEvPKT_PS3_PlPK15HIP_vector_typeIiLj2EEii.has_dyn_sized_stack, 0
	.set _ZN2at6native12_GLOBAL__N_123sort_postprocess_kernelIsEEvPKT_PS3_PlPK15HIP_vector_typeIiLj2EEii.has_recursion, 0
	.set _ZN2at6native12_GLOBAL__N_123sort_postprocess_kernelIsEEvPKT_PS3_PlPK15HIP_vector_typeIiLj2EEii.has_indirect_call, 0
	.section	.AMDGPU.csdata,"",@progbits
; Kernel info:
; codeLenInByte = 444
; TotalNumSgprs: 23
; NumVgprs: 22
; ScratchSize: 0
; MemoryBound: 0
; FloatMode: 240
; IeeeMode: 1
; LDSByteSize: 0 bytes/workgroup (compile time only)
; SGPRBlocks: 2
; VGPRBlocks: 5
; NumSGPRsForWavesPerEU: 23
; NumVGPRsForWavesPerEU: 22
; Occupancy: 10
; WaveLimiterHint : 1
; COMPUTE_PGM_RSRC2:SCRATCH_EN: 0
; COMPUTE_PGM_RSRC2:USER_SGPR: 6
; COMPUTE_PGM_RSRC2:TRAP_HANDLER: 0
; COMPUTE_PGM_RSRC2:TGID_X_EN: 1
; COMPUTE_PGM_RSRC2:TGID_Y_EN: 0
; COMPUTE_PGM_RSRC2:TGID_Z_EN: 0
; COMPUTE_PGM_RSRC2:TIDIG_COMP_CNT: 0
	.section	.text._ZN7rocprim17ROCPRIM_400000_NS6detail17trampoline_kernelINS0_13select_configILj256ELj13ELNS0_17block_load_methodE3ELS4_3ELS4_3ELNS0_20block_scan_algorithmE0ELj4294967295EEENS1_25partition_config_selectorILNS1_17partition_subalgoE4EjNS0_10empty_typeEbEEZZNS1_14partition_implILS8_4ELb0ES6_15HIP_vector_typeIjLj2EENS0_17counting_iteratorIjlEEPS9_SG_NS0_5tupleIJPjSI_NS0_16reverse_iteratorISI_EEEEENSH_IJSG_SG_SG_EEES9_SI_JZNS1_25segmented_radix_sort_implINS0_14default_configELb1EPKsPsPKlPlN2at6native12_GLOBAL__N_18offset_tEEE10hipError_tPvRmT1_PNSt15iterator_traitsIS12_E10value_typeET2_T3_PNS13_IS18_E10value_typeET4_jRbjT5_S1E_jjP12ihipStream_tbEUljE_ZNSN_ISO_Lb1ESQ_SR_ST_SU_SY_EESZ_S10_S11_S12_S16_S17_S18_S1B_S1C_jS1D_jS1E_S1E_jjS1G_bEUljE0_EEESZ_S10_S11_S18_S1C_S1E_T6_T7_T9_mT8_S1G_bDpT10_ENKUlT_T0_E_clISt17integral_constantIbLb0EES1U_EEDaS1P_S1Q_EUlS1P_E_NS1_11comp_targetILNS1_3genE0ELNS1_11target_archE4294967295ELNS1_3gpuE0ELNS1_3repE0EEENS1_30default_config_static_selectorELNS0_4arch9wavefront6targetE1EEEvS12_,"axG",@progbits,_ZN7rocprim17ROCPRIM_400000_NS6detail17trampoline_kernelINS0_13select_configILj256ELj13ELNS0_17block_load_methodE3ELS4_3ELS4_3ELNS0_20block_scan_algorithmE0ELj4294967295EEENS1_25partition_config_selectorILNS1_17partition_subalgoE4EjNS0_10empty_typeEbEEZZNS1_14partition_implILS8_4ELb0ES6_15HIP_vector_typeIjLj2EENS0_17counting_iteratorIjlEEPS9_SG_NS0_5tupleIJPjSI_NS0_16reverse_iteratorISI_EEEEENSH_IJSG_SG_SG_EEES9_SI_JZNS1_25segmented_radix_sort_implINS0_14default_configELb1EPKsPsPKlPlN2at6native12_GLOBAL__N_18offset_tEEE10hipError_tPvRmT1_PNSt15iterator_traitsIS12_E10value_typeET2_T3_PNS13_IS18_E10value_typeET4_jRbjT5_S1E_jjP12ihipStream_tbEUljE_ZNSN_ISO_Lb1ESQ_SR_ST_SU_SY_EESZ_S10_S11_S12_S16_S17_S18_S1B_S1C_jS1D_jS1E_S1E_jjS1G_bEUljE0_EEESZ_S10_S11_S18_S1C_S1E_T6_T7_T9_mT8_S1G_bDpT10_ENKUlT_T0_E_clISt17integral_constantIbLb0EES1U_EEDaS1P_S1Q_EUlS1P_E_NS1_11comp_targetILNS1_3genE0ELNS1_11target_archE4294967295ELNS1_3gpuE0ELNS1_3repE0EEENS1_30default_config_static_selectorELNS0_4arch9wavefront6targetE1EEEvS12_,comdat
	.globl	_ZN7rocprim17ROCPRIM_400000_NS6detail17trampoline_kernelINS0_13select_configILj256ELj13ELNS0_17block_load_methodE3ELS4_3ELS4_3ELNS0_20block_scan_algorithmE0ELj4294967295EEENS1_25partition_config_selectorILNS1_17partition_subalgoE4EjNS0_10empty_typeEbEEZZNS1_14partition_implILS8_4ELb0ES6_15HIP_vector_typeIjLj2EENS0_17counting_iteratorIjlEEPS9_SG_NS0_5tupleIJPjSI_NS0_16reverse_iteratorISI_EEEEENSH_IJSG_SG_SG_EEES9_SI_JZNS1_25segmented_radix_sort_implINS0_14default_configELb1EPKsPsPKlPlN2at6native12_GLOBAL__N_18offset_tEEE10hipError_tPvRmT1_PNSt15iterator_traitsIS12_E10value_typeET2_T3_PNS13_IS18_E10value_typeET4_jRbjT5_S1E_jjP12ihipStream_tbEUljE_ZNSN_ISO_Lb1ESQ_SR_ST_SU_SY_EESZ_S10_S11_S12_S16_S17_S18_S1B_S1C_jS1D_jS1E_S1E_jjS1G_bEUljE0_EEESZ_S10_S11_S18_S1C_S1E_T6_T7_T9_mT8_S1G_bDpT10_ENKUlT_T0_E_clISt17integral_constantIbLb0EES1U_EEDaS1P_S1Q_EUlS1P_E_NS1_11comp_targetILNS1_3genE0ELNS1_11target_archE4294967295ELNS1_3gpuE0ELNS1_3repE0EEENS1_30default_config_static_selectorELNS0_4arch9wavefront6targetE1EEEvS12_ ; -- Begin function _ZN7rocprim17ROCPRIM_400000_NS6detail17trampoline_kernelINS0_13select_configILj256ELj13ELNS0_17block_load_methodE3ELS4_3ELS4_3ELNS0_20block_scan_algorithmE0ELj4294967295EEENS1_25partition_config_selectorILNS1_17partition_subalgoE4EjNS0_10empty_typeEbEEZZNS1_14partition_implILS8_4ELb0ES6_15HIP_vector_typeIjLj2EENS0_17counting_iteratorIjlEEPS9_SG_NS0_5tupleIJPjSI_NS0_16reverse_iteratorISI_EEEEENSH_IJSG_SG_SG_EEES9_SI_JZNS1_25segmented_radix_sort_implINS0_14default_configELb1EPKsPsPKlPlN2at6native12_GLOBAL__N_18offset_tEEE10hipError_tPvRmT1_PNSt15iterator_traitsIS12_E10value_typeET2_T3_PNS13_IS18_E10value_typeET4_jRbjT5_S1E_jjP12ihipStream_tbEUljE_ZNSN_ISO_Lb1ESQ_SR_ST_SU_SY_EESZ_S10_S11_S12_S16_S17_S18_S1B_S1C_jS1D_jS1E_S1E_jjS1G_bEUljE0_EEESZ_S10_S11_S18_S1C_S1E_T6_T7_T9_mT8_S1G_bDpT10_ENKUlT_T0_E_clISt17integral_constantIbLb0EES1U_EEDaS1P_S1Q_EUlS1P_E_NS1_11comp_targetILNS1_3genE0ELNS1_11target_archE4294967295ELNS1_3gpuE0ELNS1_3repE0EEENS1_30default_config_static_selectorELNS0_4arch9wavefront6targetE1EEEvS12_
	.p2align	8
	.type	_ZN7rocprim17ROCPRIM_400000_NS6detail17trampoline_kernelINS0_13select_configILj256ELj13ELNS0_17block_load_methodE3ELS4_3ELS4_3ELNS0_20block_scan_algorithmE0ELj4294967295EEENS1_25partition_config_selectorILNS1_17partition_subalgoE4EjNS0_10empty_typeEbEEZZNS1_14partition_implILS8_4ELb0ES6_15HIP_vector_typeIjLj2EENS0_17counting_iteratorIjlEEPS9_SG_NS0_5tupleIJPjSI_NS0_16reverse_iteratorISI_EEEEENSH_IJSG_SG_SG_EEES9_SI_JZNS1_25segmented_radix_sort_implINS0_14default_configELb1EPKsPsPKlPlN2at6native12_GLOBAL__N_18offset_tEEE10hipError_tPvRmT1_PNSt15iterator_traitsIS12_E10value_typeET2_T3_PNS13_IS18_E10value_typeET4_jRbjT5_S1E_jjP12ihipStream_tbEUljE_ZNSN_ISO_Lb1ESQ_SR_ST_SU_SY_EESZ_S10_S11_S12_S16_S17_S18_S1B_S1C_jS1D_jS1E_S1E_jjS1G_bEUljE0_EEESZ_S10_S11_S18_S1C_S1E_T6_T7_T9_mT8_S1G_bDpT10_ENKUlT_T0_E_clISt17integral_constantIbLb0EES1U_EEDaS1P_S1Q_EUlS1P_E_NS1_11comp_targetILNS1_3genE0ELNS1_11target_archE4294967295ELNS1_3gpuE0ELNS1_3repE0EEENS1_30default_config_static_selectorELNS0_4arch9wavefront6targetE1EEEvS12_,@function
_ZN7rocprim17ROCPRIM_400000_NS6detail17trampoline_kernelINS0_13select_configILj256ELj13ELNS0_17block_load_methodE3ELS4_3ELS4_3ELNS0_20block_scan_algorithmE0ELj4294967295EEENS1_25partition_config_selectorILNS1_17partition_subalgoE4EjNS0_10empty_typeEbEEZZNS1_14partition_implILS8_4ELb0ES6_15HIP_vector_typeIjLj2EENS0_17counting_iteratorIjlEEPS9_SG_NS0_5tupleIJPjSI_NS0_16reverse_iteratorISI_EEEEENSH_IJSG_SG_SG_EEES9_SI_JZNS1_25segmented_radix_sort_implINS0_14default_configELb1EPKsPsPKlPlN2at6native12_GLOBAL__N_18offset_tEEE10hipError_tPvRmT1_PNSt15iterator_traitsIS12_E10value_typeET2_T3_PNS13_IS18_E10value_typeET4_jRbjT5_S1E_jjP12ihipStream_tbEUljE_ZNSN_ISO_Lb1ESQ_SR_ST_SU_SY_EESZ_S10_S11_S12_S16_S17_S18_S1B_S1C_jS1D_jS1E_S1E_jjS1G_bEUljE0_EEESZ_S10_S11_S18_S1C_S1E_T6_T7_T9_mT8_S1G_bDpT10_ENKUlT_T0_E_clISt17integral_constantIbLb0EES1U_EEDaS1P_S1Q_EUlS1P_E_NS1_11comp_targetILNS1_3genE0ELNS1_11target_archE4294967295ELNS1_3gpuE0ELNS1_3repE0EEENS1_30default_config_static_selectorELNS0_4arch9wavefront6targetE1EEEvS12_: ; @_ZN7rocprim17ROCPRIM_400000_NS6detail17trampoline_kernelINS0_13select_configILj256ELj13ELNS0_17block_load_methodE3ELS4_3ELS4_3ELNS0_20block_scan_algorithmE0ELj4294967295EEENS1_25partition_config_selectorILNS1_17partition_subalgoE4EjNS0_10empty_typeEbEEZZNS1_14partition_implILS8_4ELb0ES6_15HIP_vector_typeIjLj2EENS0_17counting_iteratorIjlEEPS9_SG_NS0_5tupleIJPjSI_NS0_16reverse_iteratorISI_EEEEENSH_IJSG_SG_SG_EEES9_SI_JZNS1_25segmented_radix_sort_implINS0_14default_configELb1EPKsPsPKlPlN2at6native12_GLOBAL__N_18offset_tEEE10hipError_tPvRmT1_PNSt15iterator_traitsIS12_E10value_typeET2_T3_PNS13_IS18_E10value_typeET4_jRbjT5_S1E_jjP12ihipStream_tbEUljE_ZNSN_ISO_Lb1ESQ_SR_ST_SU_SY_EESZ_S10_S11_S12_S16_S17_S18_S1B_S1C_jS1D_jS1E_S1E_jjS1G_bEUljE0_EEESZ_S10_S11_S18_S1C_S1E_T6_T7_T9_mT8_S1G_bDpT10_ENKUlT_T0_E_clISt17integral_constantIbLb0EES1U_EEDaS1P_S1Q_EUlS1P_E_NS1_11comp_targetILNS1_3genE0ELNS1_11target_archE4294967295ELNS1_3gpuE0ELNS1_3repE0EEENS1_30default_config_static_selectorELNS0_4arch9wavefront6targetE1EEEvS12_
; %bb.0:
	.section	.rodata,"a",@progbits
	.p2align	6, 0x0
	.amdhsa_kernel _ZN7rocprim17ROCPRIM_400000_NS6detail17trampoline_kernelINS0_13select_configILj256ELj13ELNS0_17block_load_methodE3ELS4_3ELS4_3ELNS0_20block_scan_algorithmE0ELj4294967295EEENS1_25partition_config_selectorILNS1_17partition_subalgoE4EjNS0_10empty_typeEbEEZZNS1_14partition_implILS8_4ELb0ES6_15HIP_vector_typeIjLj2EENS0_17counting_iteratorIjlEEPS9_SG_NS0_5tupleIJPjSI_NS0_16reverse_iteratorISI_EEEEENSH_IJSG_SG_SG_EEES9_SI_JZNS1_25segmented_radix_sort_implINS0_14default_configELb1EPKsPsPKlPlN2at6native12_GLOBAL__N_18offset_tEEE10hipError_tPvRmT1_PNSt15iterator_traitsIS12_E10value_typeET2_T3_PNS13_IS18_E10value_typeET4_jRbjT5_S1E_jjP12ihipStream_tbEUljE_ZNSN_ISO_Lb1ESQ_SR_ST_SU_SY_EESZ_S10_S11_S12_S16_S17_S18_S1B_S1C_jS1D_jS1E_S1E_jjS1G_bEUljE0_EEESZ_S10_S11_S18_S1C_S1E_T6_T7_T9_mT8_S1G_bDpT10_ENKUlT_T0_E_clISt17integral_constantIbLb0EES1U_EEDaS1P_S1Q_EUlS1P_E_NS1_11comp_targetILNS1_3genE0ELNS1_11target_archE4294967295ELNS1_3gpuE0ELNS1_3repE0EEENS1_30default_config_static_selectorELNS0_4arch9wavefront6targetE1EEEvS12_
		.amdhsa_group_segment_fixed_size 0
		.amdhsa_private_segment_fixed_size 0
		.amdhsa_kernarg_size 176
		.amdhsa_user_sgpr_count 6
		.amdhsa_user_sgpr_private_segment_buffer 1
		.amdhsa_user_sgpr_dispatch_ptr 0
		.amdhsa_user_sgpr_queue_ptr 0
		.amdhsa_user_sgpr_kernarg_segment_ptr 1
		.amdhsa_user_sgpr_dispatch_id 0
		.amdhsa_user_sgpr_flat_scratch_init 0
		.amdhsa_user_sgpr_private_segment_size 0
		.amdhsa_uses_dynamic_stack 0
		.amdhsa_system_sgpr_private_segment_wavefront_offset 0
		.amdhsa_system_sgpr_workgroup_id_x 1
		.amdhsa_system_sgpr_workgroup_id_y 0
		.amdhsa_system_sgpr_workgroup_id_z 0
		.amdhsa_system_sgpr_workgroup_info 0
		.amdhsa_system_vgpr_workitem_id 0
		.amdhsa_next_free_vgpr 1
		.amdhsa_next_free_sgpr 0
		.amdhsa_reserve_vcc 0
		.amdhsa_reserve_flat_scratch 0
		.amdhsa_float_round_mode_32 0
		.amdhsa_float_round_mode_16_64 0
		.amdhsa_float_denorm_mode_32 3
		.amdhsa_float_denorm_mode_16_64 3
		.amdhsa_dx10_clamp 1
		.amdhsa_ieee_mode 1
		.amdhsa_fp16_overflow 0
		.amdhsa_exception_fp_ieee_invalid_op 0
		.amdhsa_exception_fp_denorm_src 0
		.amdhsa_exception_fp_ieee_div_zero 0
		.amdhsa_exception_fp_ieee_overflow 0
		.amdhsa_exception_fp_ieee_underflow 0
		.amdhsa_exception_fp_ieee_inexact 0
		.amdhsa_exception_int_div_zero 0
	.end_amdhsa_kernel
	.section	.text._ZN7rocprim17ROCPRIM_400000_NS6detail17trampoline_kernelINS0_13select_configILj256ELj13ELNS0_17block_load_methodE3ELS4_3ELS4_3ELNS0_20block_scan_algorithmE0ELj4294967295EEENS1_25partition_config_selectorILNS1_17partition_subalgoE4EjNS0_10empty_typeEbEEZZNS1_14partition_implILS8_4ELb0ES6_15HIP_vector_typeIjLj2EENS0_17counting_iteratorIjlEEPS9_SG_NS0_5tupleIJPjSI_NS0_16reverse_iteratorISI_EEEEENSH_IJSG_SG_SG_EEES9_SI_JZNS1_25segmented_radix_sort_implINS0_14default_configELb1EPKsPsPKlPlN2at6native12_GLOBAL__N_18offset_tEEE10hipError_tPvRmT1_PNSt15iterator_traitsIS12_E10value_typeET2_T3_PNS13_IS18_E10value_typeET4_jRbjT5_S1E_jjP12ihipStream_tbEUljE_ZNSN_ISO_Lb1ESQ_SR_ST_SU_SY_EESZ_S10_S11_S12_S16_S17_S18_S1B_S1C_jS1D_jS1E_S1E_jjS1G_bEUljE0_EEESZ_S10_S11_S18_S1C_S1E_T6_T7_T9_mT8_S1G_bDpT10_ENKUlT_T0_E_clISt17integral_constantIbLb0EES1U_EEDaS1P_S1Q_EUlS1P_E_NS1_11comp_targetILNS1_3genE0ELNS1_11target_archE4294967295ELNS1_3gpuE0ELNS1_3repE0EEENS1_30default_config_static_selectorELNS0_4arch9wavefront6targetE1EEEvS12_,"axG",@progbits,_ZN7rocprim17ROCPRIM_400000_NS6detail17trampoline_kernelINS0_13select_configILj256ELj13ELNS0_17block_load_methodE3ELS4_3ELS4_3ELNS0_20block_scan_algorithmE0ELj4294967295EEENS1_25partition_config_selectorILNS1_17partition_subalgoE4EjNS0_10empty_typeEbEEZZNS1_14partition_implILS8_4ELb0ES6_15HIP_vector_typeIjLj2EENS0_17counting_iteratorIjlEEPS9_SG_NS0_5tupleIJPjSI_NS0_16reverse_iteratorISI_EEEEENSH_IJSG_SG_SG_EEES9_SI_JZNS1_25segmented_radix_sort_implINS0_14default_configELb1EPKsPsPKlPlN2at6native12_GLOBAL__N_18offset_tEEE10hipError_tPvRmT1_PNSt15iterator_traitsIS12_E10value_typeET2_T3_PNS13_IS18_E10value_typeET4_jRbjT5_S1E_jjP12ihipStream_tbEUljE_ZNSN_ISO_Lb1ESQ_SR_ST_SU_SY_EESZ_S10_S11_S12_S16_S17_S18_S1B_S1C_jS1D_jS1E_S1E_jjS1G_bEUljE0_EEESZ_S10_S11_S18_S1C_S1E_T6_T7_T9_mT8_S1G_bDpT10_ENKUlT_T0_E_clISt17integral_constantIbLb0EES1U_EEDaS1P_S1Q_EUlS1P_E_NS1_11comp_targetILNS1_3genE0ELNS1_11target_archE4294967295ELNS1_3gpuE0ELNS1_3repE0EEENS1_30default_config_static_selectorELNS0_4arch9wavefront6targetE1EEEvS12_,comdat
.Lfunc_end847:
	.size	_ZN7rocprim17ROCPRIM_400000_NS6detail17trampoline_kernelINS0_13select_configILj256ELj13ELNS0_17block_load_methodE3ELS4_3ELS4_3ELNS0_20block_scan_algorithmE0ELj4294967295EEENS1_25partition_config_selectorILNS1_17partition_subalgoE4EjNS0_10empty_typeEbEEZZNS1_14partition_implILS8_4ELb0ES6_15HIP_vector_typeIjLj2EENS0_17counting_iteratorIjlEEPS9_SG_NS0_5tupleIJPjSI_NS0_16reverse_iteratorISI_EEEEENSH_IJSG_SG_SG_EEES9_SI_JZNS1_25segmented_radix_sort_implINS0_14default_configELb1EPKsPsPKlPlN2at6native12_GLOBAL__N_18offset_tEEE10hipError_tPvRmT1_PNSt15iterator_traitsIS12_E10value_typeET2_T3_PNS13_IS18_E10value_typeET4_jRbjT5_S1E_jjP12ihipStream_tbEUljE_ZNSN_ISO_Lb1ESQ_SR_ST_SU_SY_EESZ_S10_S11_S12_S16_S17_S18_S1B_S1C_jS1D_jS1E_S1E_jjS1G_bEUljE0_EEESZ_S10_S11_S18_S1C_S1E_T6_T7_T9_mT8_S1G_bDpT10_ENKUlT_T0_E_clISt17integral_constantIbLb0EES1U_EEDaS1P_S1Q_EUlS1P_E_NS1_11comp_targetILNS1_3genE0ELNS1_11target_archE4294967295ELNS1_3gpuE0ELNS1_3repE0EEENS1_30default_config_static_selectorELNS0_4arch9wavefront6targetE1EEEvS12_, .Lfunc_end847-_ZN7rocprim17ROCPRIM_400000_NS6detail17trampoline_kernelINS0_13select_configILj256ELj13ELNS0_17block_load_methodE3ELS4_3ELS4_3ELNS0_20block_scan_algorithmE0ELj4294967295EEENS1_25partition_config_selectorILNS1_17partition_subalgoE4EjNS0_10empty_typeEbEEZZNS1_14partition_implILS8_4ELb0ES6_15HIP_vector_typeIjLj2EENS0_17counting_iteratorIjlEEPS9_SG_NS0_5tupleIJPjSI_NS0_16reverse_iteratorISI_EEEEENSH_IJSG_SG_SG_EEES9_SI_JZNS1_25segmented_radix_sort_implINS0_14default_configELb1EPKsPsPKlPlN2at6native12_GLOBAL__N_18offset_tEEE10hipError_tPvRmT1_PNSt15iterator_traitsIS12_E10value_typeET2_T3_PNS13_IS18_E10value_typeET4_jRbjT5_S1E_jjP12ihipStream_tbEUljE_ZNSN_ISO_Lb1ESQ_SR_ST_SU_SY_EESZ_S10_S11_S12_S16_S17_S18_S1B_S1C_jS1D_jS1E_S1E_jjS1G_bEUljE0_EEESZ_S10_S11_S18_S1C_S1E_T6_T7_T9_mT8_S1G_bDpT10_ENKUlT_T0_E_clISt17integral_constantIbLb0EES1U_EEDaS1P_S1Q_EUlS1P_E_NS1_11comp_targetILNS1_3genE0ELNS1_11target_archE4294967295ELNS1_3gpuE0ELNS1_3repE0EEENS1_30default_config_static_selectorELNS0_4arch9wavefront6targetE1EEEvS12_
                                        ; -- End function
	.set _ZN7rocprim17ROCPRIM_400000_NS6detail17trampoline_kernelINS0_13select_configILj256ELj13ELNS0_17block_load_methodE3ELS4_3ELS4_3ELNS0_20block_scan_algorithmE0ELj4294967295EEENS1_25partition_config_selectorILNS1_17partition_subalgoE4EjNS0_10empty_typeEbEEZZNS1_14partition_implILS8_4ELb0ES6_15HIP_vector_typeIjLj2EENS0_17counting_iteratorIjlEEPS9_SG_NS0_5tupleIJPjSI_NS0_16reverse_iteratorISI_EEEEENSH_IJSG_SG_SG_EEES9_SI_JZNS1_25segmented_radix_sort_implINS0_14default_configELb1EPKsPsPKlPlN2at6native12_GLOBAL__N_18offset_tEEE10hipError_tPvRmT1_PNSt15iterator_traitsIS12_E10value_typeET2_T3_PNS13_IS18_E10value_typeET4_jRbjT5_S1E_jjP12ihipStream_tbEUljE_ZNSN_ISO_Lb1ESQ_SR_ST_SU_SY_EESZ_S10_S11_S12_S16_S17_S18_S1B_S1C_jS1D_jS1E_S1E_jjS1G_bEUljE0_EEESZ_S10_S11_S18_S1C_S1E_T6_T7_T9_mT8_S1G_bDpT10_ENKUlT_T0_E_clISt17integral_constantIbLb0EES1U_EEDaS1P_S1Q_EUlS1P_E_NS1_11comp_targetILNS1_3genE0ELNS1_11target_archE4294967295ELNS1_3gpuE0ELNS1_3repE0EEENS1_30default_config_static_selectorELNS0_4arch9wavefront6targetE1EEEvS12_.num_vgpr, 0
	.set _ZN7rocprim17ROCPRIM_400000_NS6detail17trampoline_kernelINS0_13select_configILj256ELj13ELNS0_17block_load_methodE3ELS4_3ELS4_3ELNS0_20block_scan_algorithmE0ELj4294967295EEENS1_25partition_config_selectorILNS1_17partition_subalgoE4EjNS0_10empty_typeEbEEZZNS1_14partition_implILS8_4ELb0ES6_15HIP_vector_typeIjLj2EENS0_17counting_iteratorIjlEEPS9_SG_NS0_5tupleIJPjSI_NS0_16reverse_iteratorISI_EEEEENSH_IJSG_SG_SG_EEES9_SI_JZNS1_25segmented_radix_sort_implINS0_14default_configELb1EPKsPsPKlPlN2at6native12_GLOBAL__N_18offset_tEEE10hipError_tPvRmT1_PNSt15iterator_traitsIS12_E10value_typeET2_T3_PNS13_IS18_E10value_typeET4_jRbjT5_S1E_jjP12ihipStream_tbEUljE_ZNSN_ISO_Lb1ESQ_SR_ST_SU_SY_EESZ_S10_S11_S12_S16_S17_S18_S1B_S1C_jS1D_jS1E_S1E_jjS1G_bEUljE0_EEESZ_S10_S11_S18_S1C_S1E_T6_T7_T9_mT8_S1G_bDpT10_ENKUlT_T0_E_clISt17integral_constantIbLb0EES1U_EEDaS1P_S1Q_EUlS1P_E_NS1_11comp_targetILNS1_3genE0ELNS1_11target_archE4294967295ELNS1_3gpuE0ELNS1_3repE0EEENS1_30default_config_static_selectorELNS0_4arch9wavefront6targetE1EEEvS12_.num_agpr, 0
	.set _ZN7rocprim17ROCPRIM_400000_NS6detail17trampoline_kernelINS0_13select_configILj256ELj13ELNS0_17block_load_methodE3ELS4_3ELS4_3ELNS0_20block_scan_algorithmE0ELj4294967295EEENS1_25partition_config_selectorILNS1_17partition_subalgoE4EjNS0_10empty_typeEbEEZZNS1_14partition_implILS8_4ELb0ES6_15HIP_vector_typeIjLj2EENS0_17counting_iteratorIjlEEPS9_SG_NS0_5tupleIJPjSI_NS0_16reverse_iteratorISI_EEEEENSH_IJSG_SG_SG_EEES9_SI_JZNS1_25segmented_radix_sort_implINS0_14default_configELb1EPKsPsPKlPlN2at6native12_GLOBAL__N_18offset_tEEE10hipError_tPvRmT1_PNSt15iterator_traitsIS12_E10value_typeET2_T3_PNS13_IS18_E10value_typeET4_jRbjT5_S1E_jjP12ihipStream_tbEUljE_ZNSN_ISO_Lb1ESQ_SR_ST_SU_SY_EESZ_S10_S11_S12_S16_S17_S18_S1B_S1C_jS1D_jS1E_S1E_jjS1G_bEUljE0_EEESZ_S10_S11_S18_S1C_S1E_T6_T7_T9_mT8_S1G_bDpT10_ENKUlT_T0_E_clISt17integral_constantIbLb0EES1U_EEDaS1P_S1Q_EUlS1P_E_NS1_11comp_targetILNS1_3genE0ELNS1_11target_archE4294967295ELNS1_3gpuE0ELNS1_3repE0EEENS1_30default_config_static_selectorELNS0_4arch9wavefront6targetE1EEEvS12_.numbered_sgpr, 0
	.set _ZN7rocprim17ROCPRIM_400000_NS6detail17trampoline_kernelINS0_13select_configILj256ELj13ELNS0_17block_load_methodE3ELS4_3ELS4_3ELNS0_20block_scan_algorithmE0ELj4294967295EEENS1_25partition_config_selectorILNS1_17partition_subalgoE4EjNS0_10empty_typeEbEEZZNS1_14partition_implILS8_4ELb0ES6_15HIP_vector_typeIjLj2EENS0_17counting_iteratorIjlEEPS9_SG_NS0_5tupleIJPjSI_NS0_16reverse_iteratorISI_EEEEENSH_IJSG_SG_SG_EEES9_SI_JZNS1_25segmented_radix_sort_implINS0_14default_configELb1EPKsPsPKlPlN2at6native12_GLOBAL__N_18offset_tEEE10hipError_tPvRmT1_PNSt15iterator_traitsIS12_E10value_typeET2_T3_PNS13_IS18_E10value_typeET4_jRbjT5_S1E_jjP12ihipStream_tbEUljE_ZNSN_ISO_Lb1ESQ_SR_ST_SU_SY_EESZ_S10_S11_S12_S16_S17_S18_S1B_S1C_jS1D_jS1E_S1E_jjS1G_bEUljE0_EEESZ_S10_S11_S18_S1C_S1E_T6_T7_T9_mT8_S1G_bDpT10_ENKUlT_T0_E_clISt17integral_constantIbLb0EES1U_EEDaS1P_S1Q_EUlS1P_E_NS1_11comp_targetILNS1_3genE0ELNS1_11target_archE4294967295ELNS1_3gpuE0ELNS1_3repE0EEENS1_30default_config_static_selectorELNS0_4arch9wavefront6targetE1EEEvS12_.num_named_barrier, 0
	.set _ZN7rocprim17ROCPRIM_400000_NS6detail17trampoline_kernelINS0_13select_configILj256ELj13ELNS0_17block_load_methodE3ELS4_3ELS4_3ELNS0_20block_scan_algorithmE0ELj4294967295EEENS1_25partition_config_selectorILNS1_17partition_subalgoE4EjNS0_10empty_typeEbEEZZNS1_14partition_implILS8_4ELb0ES6_15HIP_vector_typeIjLj2EENS0_17counting_iteratorIjlEEPS9_SG_NS0_5tupleIJPjSI_NS0_16reverse_iteratorISI_EEEEENSH_IJSG_SG_SG_EEES9_SI_JZNS1_25segmented_radix_sort_implINS0_14default_configELb1EPKsPsPKlPlN2at6native12_GLOBAL__N_18offset_tEEE10hipError_tPvRmT1_PNSt15iterator_traitsIS12_E10value_typeET2_T3_PNS13_IS18_E10value_typeET4_jRbjT5_S1E_jjP12ihipStream_tbEUljE_ZNSN_ISO_Lb1ESQ_SR_ST_SU_SY_EESZ_S10_S11_S12_S16_S17_S18_S1B_S1C_jS1D_jS1E_S1E_jjS1G_bEUljE0_EEESZ_S10_S11_S18_S1C_S1E_T6_T7_T9_mT8_S1G_bDpT10_ENKUlT_T0_E_clISt17integral_constantIbLb0EES1U_EEDaS1P_S1Q_EUlS1P_E_NS1_11comp_targetILNS1_3genE0ELNS1_11target_archE4294967295ELNS1_3gpuE0ELNS1_3repE0EEENS1_30default_config_static_selectorELNS0_4arch9wavefront6targetE1EEEvS12_.private_seg_size, 0
	.set _ZN7rocprim17ROCPRIM_400000_NS6detail17trampoline_kernelINS0_13select_configILj256ELj13ELNS0_17block_load_methodE3ELS4_3ELS4_3ELNS0_20block_scan_algorithmE0ELj4294967295EEENS1_25partition_config_selectorILNS1_17partition_subalgoE4EjNS0_10empty_typeEbEEZZNS1_14partition_implILS8_4ELb0ES6_15HIP_vector_typeIjLj2EENS0_17counting_iteratorIjlEEPS9_SG_NS0_5tupleIJPjSI_NS0_16reverse_iteratorISI_EEEEENSH_IJSG_SG_SG_EEES9_SI_JZNS1_25segmented_radix_sort_implINS0_14default_configELb1EPKsPsPKlPlN2at6native12_GLOBAL__N_18offset_tEEE10hipError_tPvRmT1_PNSt15iterator_traitsIS12_E10value_typeET2_T3_PNS13_IS18_E10value_typeET4_jRbjT5_S1E_jjP12ihipStream_tbEUljE_ZNSN_ISO_Lb1ESQ_SR_ST_SU_SY_EESZ_S10_S11_S12_S16_S17_S18_S1B_S1C_jS1D_jS1E_S1E_jjS1G_bEUljE0_EEESZ_S10_S11_S18_S1C_S1E_T6_T7_T9_mT8_S1G_bDpT10_ENKUlT_T0_E_clISt17integral_constantIbLb0EES1U_EEDaS1P_S1Q_EUlS1P_E_NS1_11comp_targetILNS1_3genE0ELNS1_11target_archE4294967295ELNS1_3gpuE0ELNS1_3repE0EEENS1_30default_config_static_selectorELNS0_4arch9wavefront6targetE1EEEvS12_.uses_vcc, 0
	.set _ZN7rocprim17ROCPRIM_400000_NS6detail17trampoline_kernelINS0_13select_configILj256ELj13ELNS0_17block_load_methodE3ELS4_3ELS4_3ELNS0_20block_scan_algorithmE0ELj4294967295EEENS1_25partition_config_selectorILNS1_17partition_subalgoE4EjNS0_10empty_typeEbEEZZNS1_14partition_implILS8_4ELb0ES6_15HIP_vector_typeIjLj2EENS0_17counting_iteratorIjlEEPS9_SG_NS0_5tupleIJPjSI_NS0_16reverse_iteratorISI_EEEEENSH_IJSG_SG_SG_EEES9_SI_JZNS1_25segmented_radix_sort_implINS0_14default_configELb1EPKsPsPKlPlN2at6native12_GLOBAL__N_18offset_tEEE10hipError_tPvRmT1_PNSt15iterator_traitsIS12_E10value_typeET2_T3_PNS13_IS18_E10value_typeET4_jRbjT5_S1E_jjP12ihipStream_tbEUljE_ZNSN_ISO_Lb1ESQ_SR_ST_SU_SY_EESZ_S10_S11_S12_S16_S17_S18_S1B_S1C_jS1D_jS1E_S1E_jjS1G_bEUljE0_EEESZ_S10_S11_S18_S1C_S1E_T6_T7_T9_mT8_S1G_bDpT10_ENKUlT_T0_E_clISt17integral_constantIbLb0EES1U_EEDaS1P_S1Q_EUlS1P_E_NS1_11comp_targetILNS1_3genE0ELNS1_11target_archE4294967295ELNS1_3gpuE0ELNS1_3repE0EEENS1_30default_config_static_selectorELNS0_4arch9wavefront6targetE1EEEvS12_.uses_flat_scratch, 0
	.set _ZN7rocprim17ROCPRIM_400000_NS6detail17trampoline_kernelINS0_13select_configILj256ELj13ELNS0_17block_load_methodE3ELS4_3ELS4_3ELNS0_20block_scan_algorithmE0ELj4294967295EEENS1_25partition_config_selectorILNS1_17partition_subalgoE4EjNS0_10empty_typeEbEEZZNS1_14partition_implILS8_4ELb0ES6_15HIP_vector_typeIjLj2EENS0_17counting_iteratorIjlEEPS9_SG_NS0_5tupleIJPjSI_NS0_16reverse_iteratorISI_EEEEENSH_IJSG_SG_SG_EEES9_SI_JZNS1_25segmented_radix_sort_implINS0_14default_configELb1EPKsPsPKlPlN2at6native12_GLOBAL__N_18offset_tEEE10hipError_tPvRmT1_PNSt15iterator_traitsIS12_E10value_typeET2_T3_PNS13_IS18_E10value_typeET4_jRbjT5_S1E_jjP12ihipStream_tbEUljE_ZNSN_ISO_Lb1ESQ_SR_ST_SU_SY_EESZ_S10_S11_S12_S16_S17_S18_S1B_S1C_jS1D_jS1E_S1E_jjS1G_bEUljE0_EEESZ_S10_S11_S18_S1C_S1E_T6_T7_T9_mT8_S1G_bDpT10_ENKUlT_T0_E_clISt17integral_constantIbLb0EES1U_EEDaS1P_S1Q_EUlS1P_E_NS1_11comp_targetILNS1_3genE0ELNS1_11target_archE4294967295ELNS1_3gpuE0ELNS1_3repE0EEENS1_30default_config_static_selectorELNS0_4arch9wavefront6targetE1EEEvS12_.has_dyn_sized_stack, 0
	.set _ZN7rocprim17ROCPRIM_400000_NS6detail17trampoline_kernelINS0_13select_configILj256ELj13ELNS0_17block_load_methodE3ELS4_3ELS4_3ELNS0_20block_scan_algorithmE0ELj4294967295EEENS1_25partition_config_selectorILNS1_17partition_subalgoE4EjNS0_10empty_typeEbEEZZNS1_14partition_implILS8_4ELb0ES6_15HIP_vector_typeIjLj2EENS0_17counting_iteratorIjlEEPS9_SG_NS0_5tupleIJPjSI_NS0_16reverse_iteratorISI_EEEEENSH_IJSG_SG_SG_EEES9_SI_JZNS1_25segmented_radix_sort_implINS0_14default_configELb1EPKsPsPKlPlN2at6native12_GLOBAL__N_18offset_tEEE10hipError_tPvRmT1_PNSt15iterator_traitsIS12_E10value_typeET2_T3_PNS13_IS18_E10value_typeET4_jRbjT5_S1E_jjP12ihipStream_tbEUljE_ZNSN_ISO_Lb1ESQ_SR_ST_SU_SY_EESZ_S10_S11_S12_S16_S17_S18_S1B_S1C_jS1D_jS1E_S1E_jjS1G_bEUljE0_EEESZ_S10_S11_S18_S1C_S1E_T6_T7_T9_mT8_S1G_bDpT10_ENKUlT_T0_E_clISt17integral_constantIbLb0EES1U_EEDaS1P_S1Q_EUlS1P_E_NS1_11comp_targetILNS1_3genE0ELNS1_11target_archE4294967295ELNS1_3gpuE0ELNS1_3repE0EEENS1_30default_config_static_selectorELNS0_4arch9wavefront6targetE1EEEvS12_.has_recursion, 0
	.set _ZN7rocprim17ROCPRIM_400000_NS6detail17trampoline_kernelINS0_13select_configILj256ELj13ELNS0_17block_load_methodE3ELS4_3ELS4_3ELNS0_20block_scan_algorithmE0ELj4294967295EEENS1_25partition_config_selectorILNS1_17partition_subalgoE4EjNS0_10empty_typeEbEEZZNS1_14partition_implILS8_4ELb0ES6_15HIP_vector_typeIjLj2EENS0_17counting_iteratorIjlEEPS9_SG_NS0_5tupleIJPjSI_NS0_16reverse_iteratorISI_EEEEENSH_IJSG_SG_SG_EEES9_SI_JZNS1_25segmented_radix_sort_implINS0_14default_configELb1EPKsPsPKlPlN2at6native12_GLOBAL__N_18offset_tEEE10hipError_tPvRmT1_PNSt15iterator_traitsIS12_E10value_typeET2_T3_PNS13_IS18_E10value_typeET4_jRbjT5_S1E_jjP12ihipStream_tbEUljE_ZNSN_ISO_Lb1ESQ_SR_ST_SU_SY_EESZ_S10_S11_S12_S16_S17_S18_S1B_S1C_jS1D_jS1E_S1E_jjS1G_bEUljE0_EEESZ_S10_S11_S18_S1C_S1E_T6_T7_T9_mT8_S1G_bDpT10_ENKUlT_T0_E_clISt17integral_constantIbLb0EES1U_EEDaS1P_S1Q_EUlS1P_E_NS1_11comp_targetILNS1_3genE0ELNS1_11target_archE4294967295ELNS1_3gpuE0ELNS1_3repE0EEENS1_30default_config_static_selectorELNS0_4arch9wavefront6targetE1EEEvS12_.has_indirect_call, 0
	.section	.AMDGPU.csdata,"",@progbits
; Kernel info:
; codeLenInByte = 0
; TotalNumSgprs: 4
; NumVgprs: 0
; ScratchSize: 0
; MemoryBound: 0
; FloatMode: 240
; IeeeMode: 1
; LDSByteSize: 0 bytes/workgroup (compile time only)
; SGPRBlocks: 0
; VGPRBlocks: 0
; NumSGPRsForWavesPerEU: 4
; NumVGPRsForWavesPerEU: 1
; Occupancy: 10
; WaveLimiterHint : 0
; COMPUTE_PGM_RSRC2:SCRATCH_EN: 0
; COMPUTE_PGM_RSRC2:USER_SGPR: 6
; COMPUTE_PGM_RSRC2:TRAP_HANDLER: 0
; COMPUTE_PGM_RSRC2:TGID_X_EN: 1
; COMPUTE_PGM_RSRC2:TGID_Y_EN: 0
; COMPUTE_PGM_RSRC2:TGID_Z_EN: 0
; COMPUTE_PGM_RSRC2:TIDIG_COMP_CNT: 0
	.section	.text._ZN7rocprim17ROCPRIM_400000_NS6detail17trampoline_kernelINS0_13select_configILj256ELj13ELNS0_17block_load_methodE3ELS4_3ELS4_3ELNS0_20block_scan_algorithmE0ELj4294967295EEENS1_25partition_config_selectorILNS1_17partition_subalgoE4EjNS0_10empty_typeEbEEZZNS1_14partition_implILS8_4ELb0ES6_15HIP_vector_typeIjLj2EENS0_17counting_iteratorIjlEEPS9_SG_NS0_5tupleIJPjSI_NS0_16reverse_iteratorISI_EEEEENSH_IJSG_SG_SG_EEES9_SI_JZNS1_25segmented_radix_sort_implINS0_14default_configELb1EPKsPsPKlPlN2at6native12_GLOBAL__N_18offset_tEEE10hipError_tPvRmT1_PNSt15iterator_traitsIS12_E10value_typeET2_T3_PNS13_IS18_E10value_typeET4_jRbjT5_S1E_jjP12ihipStream_tbEUljE_ZNSN_ISO_Lb1ESQ_SR_ST_SU_SY_EESZ_S10_S11_S12_S16_S17_S18_S1B_S1C_jS1D_jS1E_S1E_jjS1G_bEUljE0_EEESZ_S10_S11_S18_S1C_S1E_T6_T7_T9_mT8_S1G_bDpT10_ENKUlT_T0_E_clISt17integral_constantIbLb0EES1U_EEDaS1P_S1Q_EUlS1P_E_NS1_11comp_targetILNS1_3genE5ELNS1_11target_archE942ELNS1_3gpuE9ELNS1_3repE0EEENS1_30default_config_static_selectorELNS0_4arch9wavefront6targetE1EEEvS12_,"axG",@progbits,_ZN7rocprim17ROCPRIM_400000_NS6detail17trampoline_kernelINS0_13select_configILj256ELj13ELNS0_17block_load_methodE3ELS4_3ELS4_3ELNS0_20block_scan_algorithmE0ELj4294967295EEENS1_25partition_config_selectorILNS1_17partition_subalgoE4EjNS0_10empty_typeEbEEZZNS1_14partition_implILS8_4ELb0ES6_15HIP_vector_typeIjLj2EENS0_17counting_iteratorIjlEEPS9_SG_NS0_5tupleIJPjSI_NS0_16reverse_iteratorISI_EEEEENSH_IJSG_SG_SG_EEES9_SI_JZNS1_25segmented_radix_sort_implINS0_14default_configELb1EPKsPsPKlPlN2at6native12_GLOBAL__N_18offset_tEEE10hipError_tPvRmT1_PNSt15iterator_traitsIS12_E10value_typeET2_T3_PNS13_IS18_E10value_typeET4_jRbjT5_S1E_jjP12ihipStream_tbEUljE_ZNSN_ISO_Lb1ESQ_SR_ST_SU_SY_EESZ_S10_S11_S12_S16_S17_S18_S1B_S1C_jS1D_jS1E_S1E_jjS1G_bEUljE0_EEESZ_S10_S11_S18_S1C_S1E_T6_T7_T9_mT8_S1G_bDpT10_ENKUlT_T0_E_clISt17integral_constantIbLb0EES1U_EEDaS1P_S1Q_EUlS1P_E_NS1_11comp_targetILNS1_3genE5ELNS1_11target_archE942ELNS1_3gpuE9ELNS1_3repE0EEENS1_30default_config_static_selectorELNS0_4arch9wavefront6targetE1EEEvS12_,comdat
	.globl	_ZN7rocprim17ROCPRIM_400000_NS6detail17trampoline_kernelINS0_13select_configILj256ELj13ELNS0_17block_load_methodE3ELS4_3ELS4_3ELNS0_20block_scan_algorithmE0ELj4294967295EEENS1_25partition_config_selectorILNS1_17partition_subalgoE4EjNS0_10empty_typeEbEEZZNS1_14partition_implILS8_4ELb0ES6_15HIP_vector_typeIjLj2EENS0_17counting_iteratorIjlEEPS9_SG_NS0_5tupleIJPjSI_NS0_16reverse_iteratorISI_EEEEENSH_IJSG_SG_SG_EEES9_SI_JZNS1_25segmented_radix_sort_implINS0_14default_configELb1EPKsPsPKlPlN2at6native12_GLOBAL__N_18offset_tEEE10hipError_tPvRmT1_PNSt15iterator_traitsIS12_E10value_typeET2_T3_PNS13_IS18_E10value_typeET4_jRbjT5_S1E_jjP12ihipStream_tbEUljE_ZNSN_ISO_Lb1ESQ_SR_ST_SU_SY_EESZ_S10_S11_S12_S16_S17_S18_S1B_S1C_jS1D_jS1E_S1E_jjS1G_bEUljE0_EEESZ_S10_S11_S18_S1C_S1E_T6_T7_T9_mT8_S1G_bDpT10_ENKUlT_T0_E_clISt17integral_constantIbLb0EES1U_EEDaS1P_S1Q_EUlS1P_E_NS1_11comp_targetILNS1_3genE5ELNS1_11target_archE942ELNS1_3gpuE9ELNS1_3repE0EEENS1_30default_config_static_selectorELNS0_4arch9wavefront6targetE1EEEvS12_ ; -- Begin function _ZN7rocprim17ROCPRIM_400000_NS6detail17trampoline_kernelINS0_13select_configILj256ELj13ELNS0_17block_load_methodE3ELS4_3ELS4_3ELNS0_20block_scan_algorithmE0ELj4294967295EEENS1_25partition_config_selectorILNS1_17partition_subalgoE4EjNS0_10empty_typeEbEEZZNS1_14partition_implILS8_4ELb0ES6_15HIP_vector_typeIjLj2EENS0_17counting_iteratorIjlEEPS9_SG_NS0_5tupleIJPjSI_NS0_16reverse_iteratorISI_EEEEENSH_IJSG_SG_SG_EEES9_SI_JZNS1_25segmented_radix_sort_implINS0_14default_configELb1EPKsPsPKlPlN2at6native12_GLOBAL__N_18offset_tEEE10hipError_tPvRmT1_PNSt15iterator_traitsIS12_E10value_typeET2_T3_PNS13_IS18_E10value_typeET4_jRbjT5_S1E_jjP12ihipStream_tbEUljE_ZNSN_ISO_Lb1ESQ_SR_ST_SU_SY_EESZ_S10_S11_S12_S16_S17_S18_S1B_S1C_jS1D_jS1E_S1E_jjS1G_bEUljE0_EEESZ_S10_S11_S18_S1C_S1E_T6_T7_T9_mT8_S1G_bDpT10_ENKUlT_T0_E_clISt17integral_constantIbLb0EES1U_EEDaS1P_S1Q_EUlS1P_E_NS1_11comp_targetILNS1_3genE5ELNS1_11target_archE942ELNS1_3gpuE9ELNS1_3repE0EEENS1_30default_config_static_selectorELNS0_4arch9wavefront6targetE1EEEvS12_
	.p2align	8
	.type	_ZN7rocprim17ROCPRIM_400000_NS6detail17trampoline_kernelINS0_13select_configILj256ELj13ELNS0_17block_load_methodE3ELS4_3ELS4_3ELNS0_20block_scan_algorithmE0ELj4294967295EEENS1_25partition_config_selectorILNS1_17partition_subalgoE4EjNS0_10empty_typeEbEEZZNS1_14partition_implILS8_4ELb0ES6_15HIP_vector_typeIjLj2EENS0_17counting_iteratorIjlEEPS9_SG_NS0_5tupleIJPjSI_NS0_16reverse_iteratorISI_EEEEENSH_IJSG_SG_SG_EEES9_SI_JZNS1_25segmented_radix_sort_implINS0_14default_configELb1EPKsPsPKlPlN2at6native12_GLOBAL__N_18offset_tEEE10hipError_tPvRmT1_PNSt15iterator_traitsIS12_E10value_typeET2_T3_PNS13_IS18_E10value_typeET4_jRbjT5_S1E_jjP12ihipStream_tbEUljE_ZNSN_ISO_Lb1ESQ_SR_ST_SU_SY_EESZ_S10_S11_S12_S16_S17_S18_S1B_S1C_jS1D_jS1E_S1E_jjS1G_bEUljE0_EEESZ_S10_S11_S18_S1C_S1E_T6_T7_T9_mT8_S1G_bDpT10_ENKUlT_T0_E_clISt17integral_constantIbLb0EES1U_EEDaS1P_S1Q_EUlS1P_E_NS1_11comp_targetILNS1_3genE5ELNS1_11target_archE942ELNS1_3gpuE9ELNS1_3repE0EEENS1_30default_config_static_selectorELNS0_4arch9wavefront6targetE1EEEvS12_,@function
_ZN7rocprim17ROCPRIM_400000_NS6detail17trampoline_kernelINS0_13select_configILj256ELj13ELNS0_17block_load_methodE3ELS4_3ELS4_3ELNS0_20block_scan_algorithmE0ELj4294967295EEENS1_25partition_config_selectorILNS1_17partition_subalgoE4EjNS0_10empty_typeEbEEZZNS1_14partition_implILS8_4ELb0ES6_15HIP_vector_typeIjLj2EENS0_17counting_iteratorIjlEEPS9_SG_NS0_5tupleIJPjSI_NS0_16reverse_iteratorISI_EEEEENSH_IJSG_SG_SG_EEES9_SI_JZNS1_25segmented_radix_sort_implINS0_14default_configELb1EPKsPsPKlPlN2at6native12_GLOBAL__N_18offset_tEEE10hipError_tPvRmT1_PNSt15iterator_traitsIS12_E10value_typeET2_T3_PNS13_IS18_E10value_typeET4_jRbjT5_S1E_jjP12ihipStream_tbEUljE_ZNSN_ISO_Lb1ESQ_SR_ST_SU_SY_EESZ_S10_S11_S12_S16_S17_S18_S1B_S1C_jS1D_jS1E_S1E_jjS1G_bEUljE0_EEESZ_S10_S11_S18_S1C_S1E_T6_T7_T9_mT8_S1G_bDpT10_ENKUlT_T0_E_clISt17integral_constantIbLb0EES1U_EEDaS1P_S1Q_EUlS1P_E_NS1_11comp_targetILNS1_3genE5ELNS1_11target_archE942ELNS1_3gpuE9ELNS1_3repE0EEENS1_30default_config_static_selectorELNS0_4arch9wavefront6targetE1EEEvS12_: ; @_ZN7rocprim17ROCPRIM_400000_NS6detail17trampoline_kernelINS0_13select_configILj256ELj13ELNS0_17block_load_methodE3ELS4_3ELS4_3ELNS0_20block_scan_algorithmE0ELj4294967295EEENS1_25partition_config_selectorILNS1_17partition_subalgoE4EjNS0_10empty_typeEbEEZZNS1_14partition_implILS8_4ELb0ES6_15HIP_vector_typeIjLj2EENS0_17counting_iteratorIjlEEPS9_SG_NS0_5tupleIJPjSI_NS0_16reverse_iteratorISI_EEEEENSH_IJSG_SG_SG_EEES9_SI_JZNS1_25segmented_radix_sort_implINS0_14default_configELb1EPKsPsPKlPlN2at6native12_GLOBAL__N_18offset_tEEE10hipError_tPvRmT1_PNSt15iterator_traitsIS12_E10value_typeET2_T3_PNS13_IS18_E10value_typeET4_jRbjT5_S1E_jjP12ihipStream_tbEUljE_ZNSN_ISO_Lb1ESQ_SR_ST_SU_SY_EESZ_S10_S11_S12_S16_S17_S18_S1B_S1C_jS1D_jS1E_S1E_jjS1G_bEUljE0_EEESZ_S10_S11_S18_S1C_S1E_T6_T7_T9_mT8_S1G_bDpT10_ENKUlT_T0_E_clISt17integral_constantIbLb0EES1U_EEDaS1P_S1Q_EUlS1P_E_NS1_11comp_targetILNS1_3genE5ELNS1_11target_archE942ELNS1_3gpuE9ELNS1_3repE0EEENS1_30default_config_static_selectorELNS0_4arch9wavefront6targetE1EEEvS12_
; %bb.0:
	.section	.rodata,"a",@progbits
	.p2align	6, 0x0
	.amdhsa_kernel _ZN7rocprim17ROCPRIM_400000_NS6detail17trampoline_kernelINS0_13select_configILj256ELj13ELNS0_17block_load_methodE3ELS4_3ELS4_3ELNS0_20block_scan_algorithmE0ELj4294967295EEENS1_25partition_config_selectorILNS1_17partition_subalgoE4EjNS0_10empty_typeEbEEZZNS1_14partition_implILS8_4ELb0ES6_15HIP_vector_typeIjLj2EENS0_17counting_iteratorIjlEEPS9_SG_NS0_5tupleIJPjSI_NS0_16reverse_iteratorISI_EEEEENSH_IJSG_SG_SG_EEES9_SI_JZNS1_25segmented_radix_sort_implINS0_14default_configELb1EPKsPsPKlPlN2at6native12_GLOBAL__N_18offset_tEEE10hipError_tPvRmT1_PNSt15iterator_traitsIS12_E10value_typeET2_T3_PNS13_IS18_E10value_typeET4_jRbjT5_S1E_jjP12ihipStream_tbEUljE_ZNSN_ISO_Lb1ESQ_SR_ST_SU_SY_EESZ_S10_S11_S12_S16_S17_S18_S1B_S1C_jS1D_jS1E_S1E_jjS1G_bEUljE0_EEESZ_S10_S11_S18_S1C_S1E_T6_T7_T9_mT8_S1G_bDpT10_ENKUlT_T0_E_clISt17integral_constantIbLb0EES1U_EEDaS1P_S1Q_EUlS1P_E_NS1_11comp_targetILNS1_3genE5ELNS1_11target_archE942ELNS1_3gpuE9ELNS1_3repE0EEENS1_30default_config_static_selectorELNS0_4arch9wavefront6targetE1EEEvS12_
		.amdhsa_group_segment_fixed_size 0
		.amdhsa_private_segment_fixed_size 0
		.amdhsa_kernarg_size 176
		.amdhsa_user_sgpr_count 6
		.amdhsa_user_sgpr_private_segment_buffer 1
		.amdhsa_user_sgpr_dispatch_ptr 0
		.amdhsa_user_sgpr_queue_ptr 0
		.amdhsa_user_sgpr_kernarg_segment_ptr 1
		.amdhsa_user_sgpr_dispatch_id 0
		.amdhsa_user_sgpr_flat_scratch_init 0
		.amdhsa_user_sgpr_private_segment_size 0
		.amdhsa_uses_dynamic_stack 0
		.amdhsa_system_sgpr_private_segment_wavefront_offset 0
		.amdhsa_system_sgpr_workgroup_id_x 1
		.amdhsa_system_sgpr_workgroup_id_y 0
		.amdhsa_system_sgpr_workgroup_id_z 0
		.amdhsa_system_sgpr_workgroup_info 0
		.amdhsa_system_vgpr_workitem_id 0
		.amdhsa_next_free_vgpr 1
		.amdhsa_next_free_sgpr 0
		.amdhsa_reserve_vcc 0
		.amdhsa_reserve_flat_scratch 0
		.amdhsa_float_round_mode_32 0
		.amdhsa_float_round_mode_16_64 0
		.amdhsa_float_denorm_mode_32 3
		.amdhsa_float_denorm_mode_16_64 3
		.amdhsa_dx10_clamp 1
		.amdhsa_ieee_mode 1
		.amdhsa_fp16_overflow 0
		.amdhsa_exception_fp_ieee_invalid_op 0
		.amdhsa_exception_fp_denorm_src 0
		.amdhsa_exception_fp_ieee_div_zero 0
		.amdhsa_exception_fp_ieee_overflow 0
		.amdhsa_exception_fp_ieee_underflow 0
		.amdhsa_exception_fp_ieee_inexact 0
		.amdhsa_exception_int_div_zero 0
	.end_amdhsa_kernel
	.section	.text._ZN7rocprim17ROCPRIM_400000_NS6detail17trampoline_kernelINS0_13select_configILj256ELj13ELNS0_17block_load_methodE3ELS4_3ELS4_3ELNS0_20block_scan_algorithmE0ELj4294967295EEENS1_25partition_config_selectorILNS1_17partition_subalgoE4EjNS0_10empty_typeEbEEZZNS1_14partition_implILS8_4ELb0ES6_15HIP_vector_typeIjLj2EENS0_17counting_iteratorIjlEEPS9_SG_NS0_5tupleIJPjSI_NS0_16reverse_iteratorISI_EEEEENSH_IJSG_SG_SG_EEES9_SI_JZNS1_25segmented_radix_sort_implINS0_14default_configELb1EPKsPsPKlPlN2at6native12_GLOBAL__N_18offset_tEEE10hipError_tPvRmT1_PNSt15iterator_traitsIS12_E10value_typeET2_T3_PNS13_IS18_E10value_typeET4_jRbjT5_S1E_jjP12ihipStream_tbEUljE_ZNSN_ISO_Lb1ESQ_SR_ST_SU_SY_EESZ_S10_S11_S12_S16_S17_S18_S1B_S1C_jS1D_jS1E_S1E_jjS1G_bEUljE0_EEESZ_S10_S11_S18_S1C_S1E_T6_T7_T9_mT8_S1G_bDpT10_ENKUlT_T0_E_clISt17integral_constantIbLb0EES1U_EEDaS1P_S1Q_EUlS1P_E_NS1_11comp_targetILNS1_3genE5ELNS1_11target_archE942ELNS1_3gpuE9ELNS1_3repE0EEENS1_30default_config_static_selectorELNS0_4arch9wavefront6targetE1EEEvS12_,"axG",@progbits,_ZN7rocprim17ROCPRIM_400000_NS6detail17trampoline_kernelINS0_13select_configILj256ELj13ELNS0_17block_load_methodE3ELS4_3ELS4_3ELNS0_20block_scan_algorithmE0ELj4294967295EEENS1_25partition_config_selectorILNS1_17partition_subalgoE4EjNS0_10empty_typeEbEEZZNS1_14partition_implILS8_4ELb0ES6_15HIP_vector_typeIjLj2EENS0_17counting_iteratorIjlEEPS9_SG_NS0_5tupleIJPjSI_NS0_16reverse_iteratorISI_EEEEENSH_IJSG_SG_SG_EEES9_SI_JZNS1_25segmented_radix_sort_implINS0_14default_configELb1EPKsPsPKlPlN2at6native12_GLOBAL__N_18offset_tEEE10hipError_tPvRmT1_PNSt15iterator_traitsIS12_E10value_typeET2_T3_PNS13_IS18_E10value_typeET4_jRbjT5_S1E_jjP12ihipStream_tbEUljE_ZNSN_ISO_Lb1ESQ_SR_ST_SU_SY_EESZ_S10_S11_S12_S16_S17_S18_S1B_S1C_jS1D_jS1E_S1E_jjS1G_bEUljE0_EEESZ_S10_S11_S18_S1C_S1E_T6_T7_T9_mT8_S1G_bDpT10_ENKUlT_T0_E_clISt17integral_constantIbLb0EES1U_EEDaS1P_S1Q_EUlS1P_E_NS1_11comp_targetILNS1_3genE5ELNS1_11target_archE942ELNS1_3gpuE9ELNS1_3repE0EEENS1_30default_config_static_selectorELNS0_4arch9wavefront6targetE1EEEvS12_,comdat
.Lfunc_end848:
	.size	_ZN7rocprim17ROCPRIM_400000_NS6detail17trampoline_kernelINS0_13select_configILj256ELj13ELNS0_17block_load_methodE3ELS4_3ELS4_3ELNS0_20block_scan_algorithmE0ELj4294967295EEENS1_25partition_config_selectorILNS1_17partition_subalgoE4EjNS0_10empty_typeEbEEZZNS1_14partition_implILS8_4ELb0ES6_15HIP_vector_typeIjLj2EENS0_17counting_iteratorIjlEEPS9_SG_NS0_5tupleIJPjSI_NS0_16reverse_iteratorISI_EEEEENSH_IJSG_SG_SG_EEES9_SI_JZNS1_25segmented_radix_sort_implINS0_14default_configELb1EPKsPsPKlPlN2at6native12_GLOBAL__N_18offset_tEEE10hipError_tPvRmT1_PNSt15iterator_traitsIS12_E10value_typeET2_T3_PNS13_IS18_E10value_typeET4_jRbjT5_S1E_jjP12ihipStream_tbEUljE_ZNSN_ISO_Lb1ESQ_SR_ST_SU_SY_EESZ_S10_S11_S12_S16_S17_S18_S1B_S1C_jS1D_jS1E_S1E_jjS1G_bEUljE0_EEESZ_S10_S11_S18_S1C_S1E_T6_T7_T9_mT8_S1G_bDpT10_ENKUlT_T0_E_clISt17integral_constantIbLb0EES1U_EEDaS1P_S1Q_EUlS1P_E_NS1_11comp_targetILNS1_3genE5ELNS1_11target_archE942ELNS1_3gpuE9ELNS1_3repE0EEENS1_30default_config_static_selectorELNS0_4arch9wavefront6targetE1EEEvS12_, .Lfunc_end848-_ZN7rocprim17ROCPRIM_400000_NS6detail17trampoline_kernelINS0_13select_configILj256ELj13ELNS0_17block_load_methodE3ELS4_3ELS4_3ELNS0_20block_scan_algorithmE0ELj4294967295EEENS1_25partition_config_selectorILNS1_17partition_subalgoE4EjNS0_10empty_typeEbEEZZNS1_14partition_implILS8_4ELb0ES6_15HIP_vector_typeIjLj2EENS0_17counting_iteratorIjlEEPS9_SG_NS0_5tupleIJPjSI_NS0_16reverse_iteratorISI_EEEEENSH_IJSG_SG_SG_EEES9_SI_JZNS1_25segmented_radix_sort_implINS0_14default_configELb1EPKsPsPKlPlN2at6native12_GLOBAL__N_18offset_tEEE10hipError_tPvRmT1_PNSt15iterator_traitsIS12_E10value_typeET2_T3_PNS13_IS18_E10value_typeET4_jRbjT5_S1E_jjP12ihipStream_tbEUljE_ZNSN_ISO_Lb1ESQ_SR_ST_SU_SY_EESZ_S10_S11_S12_S16_S17_S18_S1B_S1C_jS1D_jS1E_S1E_jjS1G_bEUljE0_EEESZ_S10_S11_S18_S1C_S1E_T6_T7_T9_mT8_S1G_bDpT10_ENKUlT_T0_E_clISt17integral_constantIbLb0EES1U_EEDaS1P_S1Q_EUlS1P_E_NS1_11comp_targetILNS1_3genE5ELNS1_11target_archE942ELNS1_3gpuE9ELNS1_3repE0EEENS1_30default_config_static_selectorELNS0_4arch9wavefront6targetE1EEEvS12_
                                        ; -- End function
	.set _ZN7rocprim17ROCPRIM_400000_NS6detail17trampoline_kernelINS0_13select_configILj256ELj13ELNS0_17block_load_methodE3ELS4_3ELS4_3ELNS0_20block_scan_algorithmE0ELj4294967295EEENS1_25partition_config_selectorILNS1_17partition_subalgoE4EjNS0_10empty_typeEbEEZZNS1_14partition_implILS8_4ELb0ES6_15HIP_vector_typeIjLj2EENS0_17counting_iteratorIjlEEPS9_SG_NS0_5tupleIJPjSI_NS0_16reverse_iteratorISI_EEEEENSH_IJSG_SG_SG_EEES9_SI_JZNS1_25segmented_radix_sort_implINS0_14default_configELb1EPKsPsPKlPlN2at6native12_GLOBAL__N_18offset_tEEE10hipError_tPvRmT1_PNSt15iterator_traitsIS12_E10value_typeET2_T3_PNS13_IS18_E10value_typeET4_jRbjT5_S1E_jjP12ihipStream_tbEUljE_ZNSN_ISO_Lb1ESQ_SR_ST_SU_SY_EESZ_S10_S11_S12_S16_S17_S18_S1B_S1C_jS1D_jS1E_S1E_jjS1G_bEUljE0_EEESZ_S10_S11_S18_S1C_S1E_T6_T7_T9_mT8_S1G_bDpT10_ENKUlT_T0_E_clISt17integral_constantIbLb0EES1U_EEDaS1P_S1Q_EUlS1P_E_NS1_11comp_targetILNS1_3genE5ELNS1_11target_archE942ELNS1_3gpuE9ELNS1_3repE0EEENS1_30default_config_static_selectorELNS0_4arch9wavefront6targetE1EEEvS12_.num_vgpr, 0
	.set _ZN7rocprim17ROCPRIM_400000_NS6detail17trampoline_kernelINS0_13select_configILj256ELj13ELNS0_17block_load_methodE3ELS4_3ELS4_3ELNS0_20block_scan_algorithmE0ELj4294967295EEENS1_25partition_config_selectorILNS1_17partition_subalgoE4EjNS0_10empty_typeEbEEZZNS1_14partition_implILS8_4ELb0ES6_15HIP_vector_typeIjLj2EENS0_17counting_iteratorIjlEEPS9_SG_NS0_5tupleIJPjSI_NS0_16reverse_iteratorISI_EEEEENSH_IJSG_SG_SG_EEES9_SI_JZNS1_25segmented_radix_sort_implINS0_14default_configELb1EPKsPsPKlPlN2at6native12_GLOBAL__N_18offset_tEEE10hipError_tPvRmT1_PNSt15iterator_traitsIS12_E10value_typeET2_T3_PNS13_IS18_E10value_typeET4_jRbjT5_S1E_jjP12ihipStream_tbEUljE_ZNSN_ISO_Lb1ESQ_SR_ST_SU_SY_EESZ_S10_S11_S12_S16_S17_S18_S1B_S1C_jS1D_jS1E_S1E_jjS1G_bEUljE0_EEESZ_S10_S11_S18_S1C_S1E_T6_T7_T9_mT8_S1G_bDpT10_ENKUlT_T0_E_clISt17integral_constantIbLb0EES1U_EEDaS1P_S1Q_EUlS1P_E_NS1_11comp_targetILNS1_3genE5ELNS1_11target_archE942ELNS1_3gpuE9ELNS1_3repE0EEENS1_30default_config_static_selectorELNS0_4arch9wavefront6targetE1EEEvS12_.num_agpr, 0
	.set _ZN7rocprim17ROCPRIM_400000_NS6detail17trampoline_kernelINS0_13select_configILj256ELj13ELNS0_17block_load_methodE3ELS4_3ELS4_3ELNS0_20block_scan_algorithmE0ELj4294967295EEENS1_25partition_config_selectorILNS1_17partition_subalgoE4EjNS0_10empty_typeEbEEZZNS1_14partition_implILS8_4ELb0ES6_15HIP_vector_typeIjLj2EENS0_17counting_iteratorIjlEEPS9_SG_NS0_5tupleIJPjSI_NS0_16reverse_iteratorISI_EEEEENSH_IJSG_SG_SG_EEES9_SI_JZNS1_25segmented_radix_sort_implINS0_14default_configELb1EPKsPsPKlPlN2at6native12_GLOBAL__N_18offset_tEEE10hipError_tPvRmT1_PNSt15iterator_traitsIS12_E10value_typeET2_T3_PNS13_IS18_E10value_typeET4_jRbjT5_S1E_jjP12ihipStream_tbEUljE_ZNSN_ISO_Lb1ESQ_SR_ST_SU_SY_EESZ_S10_S11_S12_S16_S17_S18_S1B_S1C_jS1D_jS1E_S1E_jjS1G_bEUljE0_EEESZ_S10_S11_S18_S1C_S1E_T6_T7_T9_mT8_S1G_bDpT10_ENKUlT_T0_E_clISt17integral_constantIbLb0EES1U_EEDaS1P_S1Q_EUlS1P_E_NS1_11comp_targetILNS1_3genE5ELNS1_11target_archE942ELNS1_3gpuE9ELNS1_3repE0EEENS1_30default_config_static_selectorELNS0_4arch9wavefront6targetE1EEEvS12_.numbered_sgpr, 0
	.set _ZN7rocprim17ROCPRIM_400000_NS6detail17trampoline_kernelINS0_13select_configILj256ELj13ELNS0_17block_load_methodE3ELS4_3ELS4_3ELNS0_20block_scan_algorithmE0ELj4294967295EEENS1_25partition_config_selectorILNS1_17partition_subalgoE4EjNS0_10empty_typeEbEEZZNS1_14partition_implILS8_4ELb0ES6_15HIP_vector_typeIjLj2EENS0_17counting_iteratorIjlEEPS9_SG_NS0_5tupleIJPjSI_NS0_16reverse_iteratorISI_EEEEENSH_IJSG_SG_SG_EEES9_SI_JZNS1_25segmented_radix_sort_implINS0_14default_configELb1EPKsPsPKlPlN2at6native12_GLOBAL__N_18offset_tEEE10hipError_tPvRmT1_PNSt15iterator_traitsIS12_E10value_typeET2_T3_PNS13_IS18_E10value_typeET4_jRbjT5_S1E_jjP12ihipStream_tbEUljE_ZNSN_ISO_Lb1ESQ_SR_ST_SU_SY_EESZ_S10_S11_S12_S16_S17_S18_S1B_S1C_jS1D_jS1E_S1E_jjS1G_bEUljE0_EEESZ_S10_S11_S18_S1C_S1E_T6_T7_T9_mT8_S1G_bDpT10_ENKUlT_T0_E_clISt17integral_constantIbLb0EES1U_EEDaS1P_S1Q_EUlS1P_E_NS1_11comp_targetILNS1_3genE5ELNS1_11target_archE942ELNS1_3gpuE9ELNS1_3repE0EEENS1_30default_config_static_selectorELNS0_4arch9wavefront6targetE1EEEvS12_.num_named_barrier, 0
	.set _ZN7rocprim17ROCPRIM_400000_NS6detail17trampoline_kernelINS0_13select_configILj256ELj13ELNS0_17block_load_methodE3ELS4_3ELS4_3ELNS0_20block_scan_algorithmE0ELj4294967295EEENS1_25partition_config_selectorILNS1_17partition_subalgoE4EjNS0_10empty_typeEbEEZZNS1_14partition_implILS8_4ELb0ES6_15HIP_vector_typeIjLj2EENS0_17counting_iteratorIjlEEPS9_SG_NS0_5tupleIJPjSI_NS0_16reverse_iteratorISI_EEEEENSH_IJSG_SG_SG_EEES9_SI_JZNS1_25segmented_radix_sort_implINS0_14default_configELb1EPKsPsPKlPlN2at6native12_GLOBAL__N_18offset_tEEE10hipError_tPvRmT1_PNSt15iterator_traitsIS12_E10value_typeET2_T3_PNS13_IS18_E10value_typeET4_jRbjT5_S1E_jjP12ihipStream_tbEUljE_ZNSN_ISO_Lb1ESQ_SR_ST_SU_SY_EESZ_S10_S11_S12_S16_S17_S18_S1B_S1C_jS1D_jS1E_S1E_jjS1G_bEUljE0_EEESZ_S10_S11_S18_S1C_S1E_T6_T7_T9_mT8_S1G_bDpT10_ENKUlT_T0_E_clISt17integral_constantIbLb0EES1U_EEDaS1P_S1Q_EUlS1P_E_NS1_11comp_targetILNS1_3genE5ELNS1_11target_archE942ELNS1_3gpuE9ELNS1_3repE0EEENS1_30default_config_static_selectorELNS0_4arch9wavefront6targetE1EEEvS12_.private_seg_size, 0
	.set _ZN7rocprim17ROCPRIM_400000_NS6detail17trampoline_kernelINS0_13select_configILj256ELj13ELNS0_17block_load_methodE3ELS4_3ELS4_3ELNS0_20block_scan_algorithmE0ELj4294967295EEENS1_25partition_config_selectorILNS1_17partition_subalgoE4EjNS0_10empty_typeEbEEZZNS1_14partition_implILS8_4ELb0ES6_15HIP_vector_typeIjLj2EENS0_17counting_iteratorIjlEEPS9_SG_NS0_5tupleIJPjSI_NS0_16reverse_iteratorISI_EEEEENSH_IJSG_SG_SG_EEES9_SI_JZNS1_25segmented_radix_sort_implINS0_14default_configELb1EPKsPsPKlPlN2at6native12_GLOBAL__N_18offset_tEEE10hipError_tPvRmT1_PNSt15iterator_traitsIS12_E10value_typeET2_T3_PNS13_IS18_E10value_typeET4_jRbjT5_S1E_jjP12ihipStream_tbEUljE_ZNSN_ISO_Lb1ESQ_SR_ST_SU_SY_EESZ_S10_S11_S12_S16_S17_S18_S1B_S1C_jS1D_jS1E_S1E_jjS1G_bEUljE0_EEESZ_S10_S11_S18_S1C_S1E_T6_T7_T9_mT8_S1G_bDpT10_ENKUlT_T0_E_clISt17integral_constantIbLb0EES1U_EEDaS1P_S1Q_EUlS1P_E_NS1_11comp_targetILNS1_3genE5ELNS1_11target_archE942ELNS1_3gpuE9ELNS1_3repE0EEENS1_30default_config_static_selectorELNS0_4arch9wavefront6targetE1EEEvS12_.uses_vcc, 0
	.set _ZN7rocprim17ROCPRIM_400000_NS6detail17trampoline_kernelINS0_13select_configILj256ELj13ELNS0_17block_load_methodE3ELS4_3ELS4_3ELNS0_20block_scan_algorithmE0ELj4294967295EEENS1_25partition_config_selectorILNS1_17partition_subalgoE4EjNS0_10empty_typeEbEEZZNS1_14partition_implILS8_4ELb0ES6_15HIP_vector_typeIjLj2EENS0_17counting_iteratorIjlEEPS9_SG_NS0_5tupleIJPjSI_NS0_16reverse_iteratorISI_EEEEENSH_IJSG_SG_SG_EEES9_SI_JZNS1_25segmented_radix_sort_implINS0_14default_configELb1EPKsPsPKlPlN2at6native12_GLOBAL__N_18offset_tEEE10hipError_tPvRmT1_PNSt15iterator_traitsIS12_E10value_typeET2_T3_PNS13_IS18_E10value_typeET4_jRbjT5_S1E_jjP12ihipStream_tbEUljE_ZNSN_ISO_Lb1ESQ_SR_ST_SU_SY_EESZ_S10_S11_S12_S16_S17_S18_S1B_S1C_jS1D_jS1E_S1E_jjS1G_bEUljE0_EEESZ_S10_S11_S18_S1C_S1E_T6_T7_T9_mT8_S1G_bDpT10_ENKUlT_T0_E_clISt17integral_constantIbLb0EES1U_EEDaS1P_S1Q_EUlS1P_E_NS1_11comp_targetILNS1_3genE5ELNS1_11target_archE942ELNS1_3gpuE9ELNS1_3repE0EEENS1_30default_config_static_selectorELNS0_4arch9wavefront6targetE1EEEvS12_.uses_flat_scratch, 0
	.set _ZN7rocprim17ROCPRIM_400000_NS6detail17trampoline_kernelINS0_13select_configILj256ELj13ELNS0_17block_load_methodE3ELS4_3ELS4_3ELNS0_20block_scan_algorithmE0ELj4294967295EEENS1_25partition_config_selectorILNS1_17partition_subalgoE4EjNS0_10empty_typeEbEEZZNS1_14partition_implILS8_4ELb0ES6_15HIP_vector_typeIjLj2EENS0_17counting_iteratorIjlEEPS9_SG_NS0_5tupleIJPjSI_NS0_16reverse_iteratorISI_EEEEENSH_IJSG_SG_SG_EEES9_SI_JZNS1_25segmented_radix_sort_implINS0_14default_configELb1EPKsPsPKlPlN2at6native12_GLOBAL__N_18offset_tEEE10hipError_tPvRmT1_PNSt15iterator_traitsIS12_E10value_typeET2_T3_PNS13_IS18_E10value_typeET4_jRbjT5_S1E_jjP12ihipStream_tbEUljE_ZNSN_ISO_Lb1ESQ_SR_ST_SU_SY_EESZ_S10_S11_S12_S16_S17_S18_S1B_S1C_jS1D_jS1E_S1E_jjS1G_bEUljE0_EEESZ_S10_S11_S18_S1C_S1E_T6_T7_T9_mT8_S1G_bDpT10_ENKUlT_T0_E_clISt17integral_constantIbLb0EES1U_EEDaS1P_S1Q_EUlS1P_E_NS1_11comp_targetILNS1_3genE5ELNS1_11target_archE942ELNS1_3gpuE9ELNS1_3repE0EEENS1_30default_config_static_selectorELNS0_4arch9wavefront6targetE1EEEvS12_.has_dyn_sized_stack, 0
	.set _ZN7rocprim17ROCPRIM_400000_NS6detail17trampoline_kernelINS0_13select_configILj256ELj13ELNS0_17block_load_methodE3ELS4_3ELS4_3ELNS0_20block_scan_algorithmE0ELj4294967295EEENS1_25partition_config_selectorILNS1_17partition_subalgoE4EjNS0_10empty_typeEbEEZZNS1_14partition_implILS8_4ELb0ES6_15HIP_vector_typeIjLj2EENS0_17counting_iteratorIjlEEPS9_SG_NS0_5tupleIJPjSI_NS0_16reverse_iteratorISI_EEEEENSH_IJSG_SG_SG_EEES9_SI_JZNS1_25segmented_radix_sort_implINS0_14default_configELb1EPKsPsPKlPlN2at6native12_GLOBAL__N_18offset_tEEE10hipError_tPvRmT1_PNSt15iterator_traitsIS12_E10value_typeET2_T3_PNS13_IS18_E10value_typeET4_jRbjT5_S1E_jjP12ihipStream_tbEUljE_ZNSN_ISO_Lb1ESQ_SR_ST_SU_SY_EESZ_S10_S11_S12_S16_S17_S18_S1B_S1C_jS1D_jS1E_S1E_jjS1G_bEUljE0_EEESZ_S10_S11_S18_S1C_S1E_T6_T7_T9_mT8_S1G_bDpT10_ENKUlT_T0_E_clISt17integral_constantIbLb0EES1U_EEDaS1P_S1Q_EUlS1P_E_NS1_11comp_targetILNS1_3genE5ELNS1_11target_archE942ELNS1_3gpuE9ELNS1_3repE0EEENS1_30default_config_static_selectorELNS0_4arch9wavefront6targetE1EEEvS12_.has_recursion, 0
	.set _ZN7rocprim17ROCPRIM_400000_NS6detail17trampoline_kernelINS0_13select_configILj256ELj13ELNS0_17block_load_methodE3ELS4_3ELS4_3ELNS0_20block_scan_algorithmE0ELj4294967295EEENS1_25partition_config_selectorILNS1_17partition_subalgoE4EjNS0_10empty_typeEbEEZZNS1_14partition_implILS8_4ELb0ES6_15HIP_vector_typeIjLj2EENS0_17counting_iteratorIjlEEPS9_SG_NS0_5tupleIJPjSI_NS0_16reverse_iteratorISI_EEEEENSH_IJSG_SG_SG_EEES9_SI_JZNS1_25segmented_radix_sort_implINS0_14default_configELb1EPKsPsPKlPlN2at6native12_GLOBAL__N_18offset_tEEE10hipError_tPvRmT1_PNSt15iterator_traitsIS12_E10value_typeET2_T3_PNS13_IS18_E10value_typeET4_jRbjT5_S1E_jjP12ihipStream_tbEUljE_ZNSN_ISO_Lb1ESQ_SR_ST_SU_SY_EESZ_S10_S11_S12_S16_S17_S18_S1B_S1C_jS1D_jS1E_S1E_jjS1G_bEUljE0_EEESZ_S10_S11_S18_S1C_S1E_T6_T7_T9_mT8_S1G_bDpT10_ENKUlT_T0_E_clISt17integral_constantIbLb0EES1U_EEDaS1P_S1Q_EUlS1P_E_NS1_11comp_targetILNS1_3genE5ELNS1_11target_archE942ELNS1_3gpuE9ELNS1_3repE0EEENS1_30default_config_static_selectorELNS0_4arch9wavefront6targetE1EEEvS12_.has_indirect_call, 0
	.section	.AMDGPU.csdata,"",@progbits
; Kernel info:
; codeLenInByte = 0
; TotalNumSgprs: 4
; NumVgprs: 0
; ScratchSize: 0
; MemoryBound: 0
; FloatMode: 240
; IeeeMode: 1
; LDSByteSize: 0 bytes/workgroup (compile time only)
; SGPRBlocks: 0
; VGPRBlocks: 0
; NumSGPRsForWavesPerEU: 4
; NumVGPRsForWavesPerEU: 1
; Occupancy: 10
; WaveLimiterHint : 0
; COMPUTE_PGM_RSRC2:SCRATCH_EN: 0
; COMPUTE_PGM_RSRC2:USER_SGPR: 6
; COMPUTE_PGM_RSRC2:TRAP_HANDLER: 0
; COMPUTE_PGM_RSRC2:TGID_X_EN: 1
; COMPUTE_PGM_RSRC2:TGID_Y_EN: 0
; COMPUTE_PGM_RSRC2:TGID_Z_EN: 0
; COMPUTE_PGM_RSRC2:TIDIG_COMP_CNT: 0
	.section	.text._ZN7rocprim17ROCPRIM_400000_NS6detail17trampoline_kernelINS0_13select_configILj256ELj13ELNS0_17block_load_methodE3ELS4_3ELS4_3ELNS0_20block_scan_algorithmE0ELj4294967295EEENS1_25partition_config_selectorILNS1_17partition_subalgoE4EjNS0_10empty_typeEbEEZZNS1_14partition_implILS8_4ELb0ES6_15HIP_vector_typeIjLj2EENS0_17counting_iteratorIjlEEPS9_SG_NS0_5tupleIJPjSI_NS0_16reverse_iteratorISI_EEEEENSH_IJSG_SG_SG_EEES9_SI_JZNS1_25segmented_radix_sort_implINS0_14default_configELb1EPKsPsPKlPlN2at6native12_GLOBAL__N_18offset_tEEE10hipError_tPvRmT1_PNSt15iterator_traitsIS12_E10value_typeET2_T3_PNS13_IS18_E10value_typeET4_jRbjT5_S1E_jjP12ihipStream_tbEUljE_ZNSN_ISO_Lb1ESQ_SR_ST_SU_SY_EESZ_S10_S11_S12_S16_S17_S18_S1B_S1C_jS1D_jS1E_S1E_jjS1G_bEUljE0_EEESZ_S10_S11_S18_S1C_S1E_T6_T7_T9_mT8_S1G_bDpT10_ENKUlT_T0_E_clISt17integral_constantIbLb0EES1U_EEDaS1P_S1Q_EUlS1P_E_NS1_11comp_targetILNS1_3genE4ELNS1_11target_archE910ELNS1_3gpuE8ELNS1_3repE0EEENS1_30default_config_static_selectorELNS0_4arch9wavefront6targetE1EEEvS12_,"axG",@progbits,_ZN7rocprim17ROCPRIM_400000_NS6detail17trampoline_kernelINS0_13select_configILj256ELj13ELNS0_17block_load_methodE3ELS4_3ELS4_3ELNS0_20block_scan_algorithmE0ELj4294967295EEENS1_25partition_config_selectorILNS1_17partition_subalgoE4EjNS0_10empty_typeEbEEZZNS1_14partition_implILS8_4ELb0ES6_15HIP_vector_typeIjLj2EENS0_17counting_iteratorIjlEEPS9_SG_NS0_5tupleIJPjSI_NS0_16reverse_iteratorISI_EEEEENSH_IJSG_SG_SG_EEES9_SI_JZNS1_25segmented_radix_sort_implINS0_14default_configELb1EPKsPsPKlPlN2at6native12_GLOBAL__N_18offset_tEEE10hipError_tPvRmT1_PNSt15iterator_traitsIS12_E10value_typeET2_T3_PNS13_IS18_E10value_typeET4_jRbjT5_S1E_jjP12ihipStream_tbEUljE_ZNSN_ISO_Lb1ESQ_SR_ST_SU_SY_EESZ_S10_S11_S12_S16_S17_S18_S1B_S1C_jS1D_jS1E_S1E_jjS1G_bEUljE0_EEESZ_S10_S11_S18_S1C_S1E_T6_T7_T9_mT8_S1G_bDpT10_ENKUlT_T0_E_clISt17integral_constantIbLb0EES1U_EEDaS1P_S1Q_EUlS1P_E_NS1_11comp_targetILNS1_3genE4ELNS1_11target_archE910ELNS1_3gpuE8ELNS1_3repE0EEENS1_30default_config_static_selectorELNS0_4arch9wavefront6targetE1EEEvS12_,comdat
	.globl	_ZN7rocprim17ROCPRIM_400000_NS6detail17trampoline_kernelINS0_13select_configILj256ELj13ELNS0_17block_load_methodE3ELS4_3ELS4_3ELNS0_20block_scan_algorithmE0ELj4294967295EEENS1_25partition_config_selectorILNS1_17partition_subalgoE4EjNS0_10empty_typeEbEEZZNS1_14partition_implILS8_4ELb0ES6_15HIP_vector_typeIjLj2EENS0_17counting_iteratorIjlEEPS9_SG_NS0_5tupleIJPjSI_NS0_16reverse_iteratorISI_EEEEENSH_IJSG_SG_SG_EEES9_SI_JZNS1_25segmented_radix_sort_implINS0_14default_configELb1EPKsPsPKlPlN2at6native12_GLOBAL__N_18offset_tEEE10hipError_tPvRmT1_PNSt15iterator_traitsIS12_E10value_typeET2_T3_PNS13_IS18_E10value_typeET4_jRbjT5_S1E_jjP12ihipStream_tbEUljE_ZNSN_ISO_Lb1ESQ_SR_ST_SU_SY_EESZ_S10_S11_S12_S16_S17_S18_S1B_S1C_jS1D_jS1E_S1E_jjS1G_bEUljE0_EEESZ_S10_S11_S18_S1C_S1E_T6_T7_T9_mT8_S1G_bDpT10_ENKUlT_T0_E_clISt17integral_constantIbLb0EES1U_EEDaS1P_S1Q_EUlS1P_E_NS1_11comp_targetILNS1_3genE4ELNS1_11target_archE910ELNS1_3gpuE8ELNS1_3repE0EEENS1_30default_config_static_selectorELNS0_4arch9wavefront6targetE1EEEvS12_ ; -- Begin function _ZN7rocprim17ROCPRIM_400000_NS6detail17trampoline_kernelINS0_13select_configILj256ELj13ELNS0_17block_load_methodE3ELS4_3ELS4_3ELNS0_20block_scan_algorithmE0ELj4294967295EEENS1_25partition_config_selectorILNS1_17partition_subalgoE4EjNS0_10empty_typeEbEEZZNS1_14partition_implILS8_4ELb0ES6_15HIP_vector_typeIjLj2EENS0_17counting_iteratorIjlEEPS9_SG_NS0_5tupleIJPjSI_NS0_16reverse_iteratorISI_EEEEENSH_IJSG_SG_SG_EEES9_SI_JZNS1_25segmented_radix_sort_implINS0_14default_configELb1EPKsPsPKlPlN2at6native12_GLOBAL__N_18offset_tEEE10hipError_tPvRmT1_PNSt15iterator_traitsIS12_E10value_typeET2_T3_PNS13_IS18_E10value_typeET4_jRbjT5_S1E_jjP12ihipStream_tbEUljE_ZNSN_ISO_Lb1ESQ_SR_ST_SU_SY_EESZ_S10_S11_S12_S16_S17_S18_S1B_S1C_jS1D_jS1E_S1E_jjS1G_bEUljE0_EEESZ_S10_S11_S18_S1C_S1E_T6_T7_T9_mT8_S1G_bDpT10_ENKUlT_T0_E_clISt17integral_constantIbLb0EES1U_EEDaS1P_S1Q_EUlS1P_E_NS1_11comp_targetILNS1_3genE4ELNS1_11target_archE910ELNS1_3gpuE8ELNS1_3repE0EEENS1_30default_config_static_selectorELNS0_4arch9wavefront6targetE1EEEvS12_
	.p2align	8
	.type	_ZN7rocprim17ROCPRIM_400000_NS6detail17trampoline_kernelINS0_13select_configILj256ELj13ELNS0_17block_load_methodE3ELS4_3ELS4_3ELNS0_20block_scan_algorithmE0ELj4294967295EEENS1_25partition_config_selectorILNS1_17partition_subalgoE4EjNS0_10empty_typeEbEEZZNS1_14partition_implILS8_4ELb0ES6_15HIP_vector_typeIjLj2EENS0_17counting_iteratorIjlEEPS9_SG_NS0_5tupleIJPjSI_NS0_16reverse_iteratorISI_EEEEENSH_IJSG_SG_SG_EEES9_SI_JZNS1_25segmented_radix_sort_implINS0_14default_configELb1EPKsPsPKlPlN2at6native12_GLOBAL__N_18offset_tEEE10hipError_tPvRmT1_PNSt15iterator_traitsIS12_E10value_typeET2_T3_PNS13_IS18_E10value_typeET4_jRbjT5_S1E_jjP12ihipStream_tbEUljE_ZNSN_ISO_Lb1ESQ_SR_ST_SU_SY_EESZ_S10_S11_S12_S16_S17_S18_S1B_S1C_jS1D_jS1E_S1E_jjS1G_bEUljE0_EEESZ_S10_S11_S18_S1C_S1E_T6_T7_T9_mT8_S1G_bDpT10_ENKUlT_T0_E_clISt17integral_constantIbLb0EES1U_EEDaS1P_S1Q_EUlS1P_E_NS1_11comp_targetILNS1_3genE4ELNS1_11target_archE910ELNS1_3gpuE8ELNS1_3repE0EEENS1_30default_config_static_selectorELNS0_4arch9wavefront6targetE1EEEvS12_,@function
_ZN7rocprim17ROCPRIM_400000_NS6detail17trampoline_kernelINS0_13select_configILj256ELj13ELNS0_17block_load_methodE3ELS4_3ELS4_3ELNS0_20block_scan_algorithmE0ELj4294967295EEENS1_25partition_config_selectorILNS1_17partition_subalgoE4EjNS0_10empty_typeEbEEZZNS1_14partition_implILS8_4ELb0ES6_15HIP_vector_typeIjLj2EENS0_17counting_iteratorIjlEEPS9_SG_NS0_5tupleIJPjSI_NS0_16reverse_iteratorISI_EEEEENSH_IJSG_SG_SG_EEES9_SI_JZNS1_25segmented_radix_sort_implINS0_14default_configELb1EPKsPsPKlPlN2at6native12_GLOBAL__N_18offset_tEEE10hipError_tPvRmT1_PNSt15iterator_traitsIS12_E10value_typeET2_T3_PNS13_IS18_E10value_typeET4_jRbjT5_S1E_jjP12ihipStream_tbEUljE_ZNSN_ISO_Lb1ESQ_SR_ST_SU_SY_EESZ_S10_S11_S12_S16_S17_S18_S1B_S1C_jS1D_jS1E_S1E_jjS1G_bEUljE0_EEESZ_S10_S11_S18_S1C_S1E_T6_T7_T9_mT8_S1G_bDpT10_ENKUlT_T0_E_clISt17integral_constantIbLb0EES1U_EEDaS1P_S1Q_EUlS1P_E_NS1_11comp_targetILNS1_3genE4ELNS1_11target_archE910ELNS1_3gpuE8ELNS1_3repE0EEENS1_30default_config_static_selectorELNS0_4arch9wavefront6targetE1EEEvS12_: ; @_ZN7rocprim17ROCPRIM_400000_NS6detail17trampoline_kernelINS0_13select_configILj256ELj13ELNS0_17block_load_methodE3ELS4_3ELS4_3ELNS0_20block_scan_algorithmE0ELj4294967295EEENS1_25partition_config_selectorILNS1_17partition_subalgoE4EjNS0_10empty_typeEbEEZZNS1_14partition_implILS8_4ELb0ES6_15HIP_vector_typeIjLj2EENS0_17counting_iteratorIjlEEPS9_SG_NS0_5tupleIJPjSI_NS0_16reverse_iteratorISI_EEEEENSH_IJSG_SG_SG_EEES9_SI_JZNS1_25segmented_radix_sort_implINS0_14default_configELb1EPKsPsPKlPlN2at6native12_GLOBAL__N_18offset_tEEE10hipError_tPvRmT1_PNSt15iterator_traitsIS12_E10value_typeET2_T3_PNS13_IS18_E10value_typeET4_jRbjT5_S1E_jjP12ihipStream_tbEUljE_ZNSN_ISO_Lb1ESQ_SR_ST_SU_SY_EESZ_S10_S11_S12_S16_S17_S18_S1B_S1C_jS1D_jS1E_S1E_jjS1G_bEUljE0_EEESZ_S10_S11_S18_S1C_S1E_T6_T7_T9_mT8_S1G_bDpT10_ENKUlT_T0_E_clISt17integral_constantIbLb0EES1U_EEDaS1P_S1Q_EUlS1P_E_NS1_11comp_targetILNS1_3genE4ELNS1_11target_archE910ELNS1_3gpuE8ELNS1_3repE0EEENS1_30default_config_static_selectorELNS0_4arch9wavefront6targetE1EEEvS12_
; %bb.0:
	.section	.rodata,"a",@progbits
	.p2align	6, 0x0
	.amdhsa_kernel _ZN7rocprim17ROCPRIM_400000_NS6detail17trampoline_kernelINS0_13select_configILj256ELj13ELNS0_17block_load_methodE3ELS4_3ELS4_3ELNS0_20block_scan_algorithmE0ELj4294967295EEENS1_25partition_config_selectorILNS1_17partition_subalgoE4EjNS0_10empty_typeEbEEZZNS1_14partition_implILS8_4ELb0ES6_15HIP_vector_typeIjLj2EENS0_17counting_iteratorIjlEEPS9_SG_NS0_5tupleIJPjSI_NS0_16reverse_iteratorISI_EEEEENSH_IJSG_SG_SG_EEES9_SI_JZNS1_25segmented_radix_sort_implINS0_14default_configELb1EPKsPsPKlPlN2at6native12_GLOBAL__N_18offset_tEEE10hipError_tPvRmT1_PNSt15iterator_traitsIS12_E10value_typeET2_T3_PNS13_IS18_E10value_typeET4_jRbjT5_S1E_jjP12ihipStream_tbEUljE_ZNSN_ISO_Lb1ESQ_SR_ST_SU_SY_EESZ_S10_S11_S12_S16_S17_S18_S1B_S1C_jS1D_jS1E_S1E_jjS1G_bEUljE0_EEESZ_S10_S11_S18_S1C_S1E_T6_T7_T9_mT8_S1G_bDpT10_ENKUlT_T0_E_clISt17integral_constantIbLb0EES1U_EEDaS1P_S1Q_EUlS1P_E_NS1_11comp_targetILNS1_3genE4ELNS1_11target_archE910ELNS1_3gpuE8ELNS1_3repE0EEENS1_30default_config_static_selectorELNS0_4arch9wavefront6targetE1EEEvS12_
		.amdhsa_group_segment_fixed_size 0
		.amdhsa_private_segment_fixed_size 0
		.amdhsa_kernarg_size 176
		.amdhsa_user_sgpr_count 6
		.amdhsa_user_sgpr_private_segment_buffer 1
		.amdhsa_user_sgpr_dispatch_ptr 0
		.amdhsa_user_sgpr_queue_ptr 0
		.amdhsa_user_sgpr_kernarg_segment_ptr 1
		.amdhsa_user_sgpr_dispatch_id 0
		.amdhsa_user_sgpr_flat_scratch_init 0
		.amdhsa_user_sgpr_private_segment_size 0
		.amdhsa_uses_dynamic_stack 0
		.amdhsa_system_sgpr_private_segment_wavefront_offset 0
		.amdhsa_system_sgpr_workgroup_id_x 1
		.amdhsa_system_sgpr_workgroup_id_y 0
		.amdhsa_system_sgpr_workgroup_id_z 0
		.amdhsa_system_sgpr_workgroup_info 0
		.amdhsa_system_vgpr_workitem_id 0
		.amdhsa_next_free_vgpr 1
		.amdhsa_next_free_sgpr 0
		.amdhsa_reserve_vcc 0
		.amdhsa_reserve_flat_scratch 0
		.amdhsa_float_round_mode_32 0
		.amdhsa_float_round_mode_16_64 0
		.amdhsa_float_denorm_mode_32 3
		.amdhsa_float_denorm_mode_16_64 3
		.amdhsa_dx10_clamp 1
		.amdhsa_ieee_mode 1
		.amdhsa_fp16_overflow 0
		.amdhsa_exception_fp_ieee_invalid_op 0
		.amdhsa_exception_fp_denorm_src 0
		.amdhsa_exception_fp_ieee_div_zero 0
		.amdhsa_exception_fp_ieee_overflow 0
		.amdhsa_exception_fp_ieee_underflow 0
		.amdhsa_exception_fp_ieee_inexact 0
		.amdhsa_exception_int_div_zero 0
	.end_amdhsa_kernel
	.section	.text._ZN7rocprim17ROCPRIM_400000_NS6detail17trampoline_kernelINS0_13select_configILj256ELj13ELNS0_17block_load_methodE3ELS4_3ELS4_3ELNS0_20block_scan_algorithmE0ELj4294967295EEENS1_25partition_config_selectorILNS1_17partition_subalgoE4EjNS0_10empty_typeEbEEZZNS1_14partition_implILS8_4ELb0ES6_15HIP_vector_typeIjLj2EENS0_17counting_iteratorIjlEEPS9_SG_NS0_5tupleIJPjSI_NS0_16reverse_iteratorISI_EEEEENSH_IJSG_SG_SG_EEES9_SI_JZNS1_25segmented_radix_sort_implINS0_14default_configELb1EPKsPsPKlPlN2at6native12_GLOBAL__N_18offset_tEEE10hipError_tPvRmT1_PNSt15iterator_traitsIS12_E10value_typeET2_T3_PNS13_IS18_E10value_typeET4_jRbjT5_S1E_jjP12ihipStream_tbEUljE_ZNSN_ISO_Lb1ESQ_SR_ST_SU_SY_EESZ_S10_S11_S12_S16_S17_S18_S1B_S1C_jS1D_jS1E_S1E_jjS1G_bEUljE0_EEESZ_S10_S11_S18_S1C_S1E_T6_T7_T9_mT8_S1G_bDpT10_ENKUlT_T0_E_clISt17integral_constantIbLb0EES1U_EEDaS1P_S1Q_EUlS1P_E_NS1_11comp_targetILNS1_3genE4ELNS1_11target_archE910ELNS1_3gpuE8ELNS1_3repE0EEENS1_30default_config_static_selectorELNS0_4arch9wavefront6targetE1EEEvS12_,"axG",@progbits,_ZN7rocprim17ROCPRIM_400000_NS6detail17trampoline_kernelINS0_13select_configILj256ELj13ELNS0_17block_load_methodE3ELS4_3ELS4_3ELNS0_20block_scan_algorithmE0ELj4294967295EEENS1_25partition_config_selectorILNS1_17partition_subalgoE4EjNS0_10empty_typeEbEEZZNS1_14partition_implILS8_4ELb0ES6_15HIP_vector_typeIjLj2EENS0_17counting_iteratorIjlEEPS9_SG_NS0_5tupleIJPjSI_NS0_16reverse_iteratorISI_EEEEENSH_IJSG_SG_SG_EEES9_SI_JZNS1_25segmented_radix_sort_implINS0_14default_configELb1EPKsPsPKlPlN2at6native12_GLOBAL__N_18offset_tEEE10hipError_tPvRmT1_PNSt15iterator_traitsIS12_E10value_typeET2_T3_PNS13_IS18_E10value_typeET4_jRbjT5_S1E_jjP12ihipStream_tbEUljE_ZNSN_ISO_Lb1ESQ_SR_ST_SU_SY_EESZ_S10_S11_S12_S16_S17_S18_S1B_S1C_jS1D_jS1E_S1E_jjS1G_bEUljE0_EEESZ_S10_S11_S18_S1C_S1E_T6_T7_T9_mT8_S1G_bDpT10_ENKUlT_T0_E_clISt17integral_constantIbLb0EES1U_EEDaS1P_S1Q_EUlS1P_E_NS1_11comp_targetILNS1_3genE4ELNS1_11target_archE910ELNS1_3gpuE8ELNS1_3repE0EEENS1_30default_config_static_selectorELNS0_4arch9wavefront6targetE1EEEvS12_,comdat
.Lfunc_end849:
	.size	_ZN7rocprim17ROCPRIM_400000_NS6detail17trampoline_kernelINS0_13select_configILj256ELj13ELNS0_17block_load_methodE3ELS4_3ELS4_3ELNS0_20block_scan_algorithmE0ELj4294967295EEENS1_25partition_config_selectorILNS1_17partition_subalgoE4EjNS0_10empty_typeEbEEZZNS1_14partition_implILS8_4ELb0ES6_15HIP_vector_typeIjLj2EENS0_17counting_iteratorIjlEEPS9_SG_NS0_5tupleIJPjSI_NS0_16reverse_iteratorISI_EEEEENSH_IJSG_SG_SG_EEES9_SI_JZNS1_25segmented_radix_sort_implINS0_14default_configELb1EPKsPsPKlPlN2at6native12_GLOBAL__N_18offset_tEEE10hipError_tPvRmT1_PNSt15iterator_traitsIS12_E10value_typeET2_T3_PNS13_IS18_E10value_typeET4_jRbjT5_S1E_jjP12ihipStream_tbEUljE_ZNSN_ISO_Lb1ESQ_SR_ST_SU_SY_EESZ_S10_S11_S12_S16_S17_S18_S1B_S1C_jS1D_jS1E_S1E_jjS1G_bEUljE0_EEESZ_S10_S11_S18_S1C_S1E_T6_T7_T9_mT8_S1G_bDpT10_ENKUlT_T0_E_clISt17integral_constantIbLb0EES1U_EEDaS1P_S1Q_EUlS1P_E_NS1_11comp_targetILNS1_3genE4ELNS1_11target_archE910ELNS1_3gpuE8ELNS1_3repE0EEENS1_30default_config_static_selectorELNS0_4arch9wavefront6targetE1EEEvS12_, .Lfunc_end849-_ZN7rocprim17ROCPRIM_400000_NS6detail17trampoline_kernelINS0_13select_configILj256ELj13ELNS0_17block_load_methodE3ELS4_3ELS4_3ELNS0_20block_scan_algorithmE0ELj4294967295EEENS1_25partition_config_selectorILNS1_17partition_subalgoE4EjNS0_10empty_typeEbEEZZNS1_14partition_implILS8_4ELb0ES6_15HIP_vector_typeIjLj2EENS0_17counting_iteratorIjlEEPS9_SG_NS0_5tupleIJPjSI_NS0_16reverse_iteratorISI_EEEEENSH_IJSG_SG_SG_EEES9_SI_JZNS1_25segmented_radix_sort_implINS0_14default_configELb1EPKsPsPKlPlN2at6native12_GLOBAL__N_18offset_tEEE10hipError_tPvRmT1_PNSt15iterator_traitsIS12_E10value_typeET2_T3_PNS13_IS18_E10value_typeET4_jRbjT5_S1E_jjP12ihipStream_tbEUljE_ZNSN_ISO_Lb1ESQ_SR_ST_SU_SY_EESZ_S10_S11_S12_S16_S17_S18_S1B_S1C_jS1D_jS1E_S1E_jjS1G_bEUljE0_EEESZ_S10_S11_S18_S1C_S1E_T6_T7_T9_mT8_S1G_bDpT10_ENKUlT_T0_E_clISt17integral_constantIbLb0EES1U_EEDaS1P_S1Q_EUlS1P_E_NS1_11comp_targetILNS1_3genE4ELNS1_11target_archE910ELNS1_3gpuE8ELNS1_3repE0EEENS1_30default_config_static_selectorELNS0_4arch9wavefront6targetE1EEEvS12_
                                        ; -- End function
	.set _ZN7rocprim17ROCPRIM_400000_NS6detail17trampoline_kernelINS0_13select_configILj256ELj13ELNS0_17block_load_methodE3ELS4_3ELS4_3ELNS0_20block_scan_algorithmE0ELj4294967295EEENS1_25partition_config_selectorILNS1_17partition_subalgoE4EjNS0_10empty_typeEbEEZZNS1_14partition_implILS8_4ELb0ES6_15HIP_vector_typeIjLj2EENS0_17counting_iteratorIjlEEPS9_SG_NS0_5tupleIJPjSI_NS0_16reverse_iteratorISI_EEEEENSH_IJSG_SG_SG_EEES9_SI_JZNS1_25segmented_radix_sort_implINS0_14default_configELb1EPKsPsPKlPlN2at6native12_GLOBAL__N_18offset_tEEE10hipError_tPvRmT1_PNSt15iterator_traitsIS12_E10value_typeET2_T3_PNS13_IS18_E10value_typeET4_jRbjT5_S1E_jjP12ihipStream_tbEUljE_ZNSN_ISO_Lb1ESQ_SR_ST_SU_SY_EESZ_S10_S11_S12_S16_S17_S18_S1B_S1C_jS1D_jS1E_S1E_jjS1G_bEUljE0_EEESZ_S10_S11_S18_S1C_S1E_T6_T7_T9_mT8_S1G_bDpT10_ENKUlT_T0_E_clISt17integral_constantIbLb0EES1U_EEDaS1P_S1Q_EUlS1P_E_NS1_11comp_targetILNS1_3genE4ELNS1_11target_archE910ELNS1_3gpuE8ELNS1_3repE0EEENS1_30default_config_static_selectorELNS0_4arch9wavefront6targetE1EEEvS12_.num_vgpr, 0
	.set _ZN7rocprim17ROCPRIM_400000_NS6detail17trampoline_kernelINS0_13select_configILj256ELj13ELNS0_17block_load_methodE3ELS4_3ELS4_3ELNS0_20block_scan_algorithmE0ELj4294967295EEENS1_25partition_config_selectorILNS1_17partition_subalgoE4EjNS0_10empty_typeEbEEZZNS1_14partition_implILS8_4ELb0ES6_15HIP_vector_typeIjLj2EENS0_17counting_iteratorIjlEEPS9_SG_NS0_5tupleIJPjSI_NS0_16reverse_iteratorISI_EEEEENSH_IJSG_SG_SG_EEES9_SI_JZNS1_25segmented_radix_sort_implINS0_14default_configELb1EPKsPsPKlPlN2at6native12_GLOBAL__N_18offset_tEEE10hipError_tPvRmT1_PNSt15iterator_traitsIS12_E10value_typeET2_T3_PNS13_IS18_E10value_typeET4_jRbjT5_S1E_jjP12ihipStream_tbEUljE_ZNSN_ISO_Lb1ESQ_SR_ST_SU_SY_EESZ_S10_S11_S12_S16_S17_S18_S1B_S1C_jS1D_jS1E_S1E_jjS1G_bEUljE0_EEESZ_S10_S11_S18_S1C_S1E_T6_T7_T9_mT8_S1G_bDpT10_ENKUlT_T0_E_clISt17integral_constantIbLb0EES1U_EEDaS1P_S1Q_EUlS1P_E_NS1_11comp_targetILNS1_3genE4ELNS1_11target_archE910ELNS1_3gpuE8ELNS1_3repE0EEENS1_30default_config_static_selectorELNS0_4arch9wavefront6targetE1EEEvS12_.num_agpr, 0
	.set _ZN7rocprim17ROCPRIM_400000_NS6detail17trampoline_kernelINS0_13select_configILj256ELj13ELNS0_17block_load_methodE3ELS4_3ELS4_3ELNS0_20block_scan_algorithmE0ELj4294967295EEENS1_25partition_config_selectorILNS1_17partition_subalgoE4EjNS0_10empty_typeEbEEZZNS1_14partition_implILS8_4ELb0ES6_15HIP_vector_typeIjLj2EENS0_17counting_iteratorIjlEEPS9_SG_NS0_5tupleIJPjSI_NS0_16reverse_iteratorISI_EEEEENSH_IJSG_SG_SG_EEES9_SI_JZNS1_25segmented_radix_sort_implINS0_14default_configELb1EPKsPsPKlPlN2at6native12_GLOBAL__N_18offset_tEEE10hipError_tPvRmT1_PNSt15iterator_traitsIS12_E10value_typeET2_T3_PNS13_IS18_E10value_typeET4_jRbjT5_S1E_jjP12ihipStream_tbEUljE_ZNSN_ISO_Lb1ESQ_SR_ST_SU_SY_EESZ_S10_S11_S12_S16_S17_S18_S1B_S1C_jS1D_jS1E_S1E_jjS1G_bEUljE0_EEESZ_S10_S11_S18_S1C_S1E_T6_T7_T9_mT8_S1G_bDpT10_ENKUlT_T0_E_clISt17integral_constantIbLb0EES1U_EEDaS1P_S1Q_EUlS1P_E_NS1_11comp_targetILNS1_3genE4ELNS1_11target_archE910ELNS1_3gpuE8ELNS1_3repE0EEENS1_30default_config_static_selectorELNS0_4arch9wavefront6targetE1EEEvS12_.numbered_sgpr, 0
	.set _ZN7rocprim17ROCPRIM_400000_NS6detail17trampoline_kernelINS0_13select_configILj256ELj13ELNS0_17block_load_methodE3ELS4_3ELS4_3ELNS0_20block_scan_algorithmE0ELj4294967295EEENS1_25partition_config_selectorILNS1_17partition_subalgoE4EjNS0_10empty_typeEbEEZZNS1_14partition_implILS8_4ELb0ES6_15HIP_vector_typeIjLj2EENS0_17counting_iteratorIjlEEPS9_SG_NS0_5tupleIJPjSI_NS0_16reverse_iteratorISI_EEEEENSH_IJSG_SG_SG_EEES9_SI_JZNS1_25segmented_radix_sort_implINS0_14default_configELb1EPKsPsPKlPlN2at6native12_GLOBAL__N_18offset_tEEE10hipError_tPvRmT1_PNSt15iterator_traitsIS12_E10value_typeET2_T3_PNS13_IS18_E10value_typeET4_jRbjT5_S1E_jjP12ihipStream_tbEUljE_ZNSN_ISO_Lb1ESQ_SR_ST_SU_SY_EESZ_S10_S11_S12_S16_S17_S18_S1B_S1C_jS1D_jS1E_S1E_jjS1G_bEUljE0_EEESZ_S10_S11_S18_S1C_S1E_T6_T7_T9_mT8_S1G_bDpT10_ENKUlT_T0_E_clISt17integral_constantIbLb0EES1U_EEDaS1P_S1Q_EUlS1P_E_NS1_11comp_targetILNS1_3genE4ELNS1_11target_archE910ELNS1_3gpuE8ELNS1_3repE0EEENS1_30default_config_static_selectorELNS0_4arch9wavefront6targetE1EEEvS12_.num_named_barrier, 0
	.set _ZN7rocprim17ROCPRIM_400000_NS6detail17trampoline_kernelINS0_13select_configILj256ELj13ELNS0_17block_load_methodE3ELS4_3ELS4_3ELNS0_20block_scan_algorithmE0ELj4294967295EEENS1_25partition_config_selectorILNS1_17partition_subalgoE4EjNS0_10empty_typeEbEEZZNS1_14partition_implILS8_4ELb0ES6_15HIP_vector_typeIjLj2EENS0_17counting_iteratorIjlEEPS9_SG_NS0_5tupleIJPjSI_NS0_16reverse_iteratorISI_EEEEENSH_IJSG_SG_SG_EEES9_SI_JZNS1_25segmented_radix_sort_implINS0_14default_configELb1EPKsPsPKlPlN2at6native12_GLOBAL__N_18offset_tEEE10hipError_tPvRmT1_PNSt15iterator_traitsIS12_E10value_typeET2_T3_PNS13_IS18_E10value_typeET4_jRbjT5_S1E_jjP12ihipStream_tbEUljE_ZNSN_ISO_Lb1ESQ_SR_ST_SU_SY_EESZ_S10_S11_S12_S16_S17_S18_S1B_S1C_jS1D_jS1E_S1E_jjS1G_bEUljE0_EEESZ_S10_S11_S18_S1C_S1E_T6_T7_T9_mT8_S1G_bDpT10_ENKUlT_T0_E_clISt17integral_constantIbLb0EES1U_EEDaS1P_S1Q_EUlS1P_E_NS1_11comp_targetILNS1_3genE4ELNS1_11target_archE910ELNS1_3gpuE8ELNS1_3repE0EEENS1_30default_config_static_selectorELNS0_4arch9wavefront6targetE1EEEvS12_.private_seg_size, 0
	.set _ZN7rocprim17ROCPRIM_400000_NS6detail17trampoline_kernelINS0_13select_configILj256ELj13ELNS0_17block_load_methodE3ELS4_3ELS4_3ELNS0_20block_scan_algorithmE0ELj4294967295EEENS1_25partition_config_selectorILNS1_17partition_subalgoE4EjNS0_10empty_typeEbEEZZNS1_14partition_implILS8_4ELb0ES6_15HIP_vector_typeIjLj2EENS0_17counting_iteratorIjlEEPS9_SG_NS0_5tupleIJPjSI_NS0_16reverse_iteratorISI_EEEEENSH_IJSG_SG_SG_EEES9_SI_JZNS1_25segmented_radix_sort_implINS0_14default_configELb1EPKsPsPKlPlN2at6native12_GLOBAL__N_18offset_tEEE10hipError_tPvRmT1_PNSt15iterator_traitsIS12_E10value_typeET2_T3_PNS13_IS18_E10value_typeET4_jRbjT5_S1E_jjP12ihipStream_tbEUljE_ZNSN_ISO_Lb1ESQ_SR_ST_SU_SY_EESZ_S10_S11_S12_S16_S17_S18_S1B_S1C_jS1D_jS1E_S1E_jjS1G_bEUljE0_EEESZ_S10_S11_S18_S1C_S1E_T6_T7_T9_mT8_S1G_bDpT10_ENKUlT_T0_E_clISt17integral_constantIbLb0EES1U_EEDaS1P_S1Q_EUlS1P_E_NS1_11comp_targetILNS1_3genE4ELNS1_11target_archE910ELNS1_3gpuE8ELNS1_3repE0EEENS1_30default_config_static_selectorELNS0_4arch9wavefront6targetE1EEEvS12_.uses_vcc, 0
	.set _ZN7rocprim17ROCPRIM_400000_NS6detail17trampoline_kernelINS0_13select_configILj256ELj13ELNS0_17block_load_methodE3ELS4_3ELS4_3ELNS0_20block_scan_algorithmE0ELj4294967295EEENS1_25partition_config_selectorILNS1_17partition_subalgoE4EjNS0_10empty_typeEbEEZZNS1_14partition_implILS8_4ELb0ES6_15HIP_vector_typeIjLj2EENS0_17counting_iteratorIjlEEPS9_SG_NS0_5tupleIJPjSI_NS0_16reverse_iteratorISI_EEEEENSH_IJSG_SG_SG_EEES9_SI_JZNS1_25segmented_radix_sort_implINS0_14default_configELb1EPKsPsPKlPlN2at6native12_GLOBAL__N_18offset_tEEE10hipError_tPvRmT1_PNSt15iterator_traitsIS12_E10value_typeET2_T3_PNS13_IS18_E10value_typeET4_jRbjT5_S1E_jjP12ihipStream_tbEUljE_ZNSN_ISO_Lb1ESQ_SR_ST_SU_SY_EESZ_S10_S11_S12_S16_S17_S18_S1B_S1C_jS1D_jS1E_S1E_jjS1G_bEUljE0_EEESZ_S10_S11_S18_S1C_S1E_T6_T7_T9_mT8_S1G_bDpT10_ENKUlT_T0_E_clISt17integral_constantIbLb0EES1U_EEDaS1P_S1Q_EUlS1P_E_NS1_11comp_targetILNS1_3genE4ELNS1_11target_archE910ELNS1_3gpuE8ELNS1_3repE0EEENS1_30default_config_static_selectorELNS0_4arch9wavefront6targetE1EEEvS12_.uses_flat_scratch, 0
	.set _ZN7rocprim17ROCPRIM_400000_NS6detail17trampoline_kernelINS0_13select_configILj256ELj13ELNS0_17block_load_methodE3ELS4_3ELS4_3ELNS0_20block_scan_algorithmE0ELj4294967295EEENS1_25partition_config_selectorILNS1_17partition_subalgoE4EjNS0_10empty_typeEbEEZZNS1_14partition_implILS8_4ELb0ES6_15HIP_vector_typeIjLj2EENS0_17counting_iteratorIjlEEPS9_SG_NS0_5tupleIJPjSI_NS0_16reverse_iteratorISI_EEEEENSH_IJSG_SG_SG_EEES9_SI_JZNS1_25segmented_radix_sort_implINS0_14default_configELb1EPKsPsPKlPlN2at6native12_GLOBAL__N_18offset_tEEE10hipError_tPvRmT1_PNSt15iterator_traitsIS12_E10value_typeET2_T3_PNS13_IS18_E10value_typeET4_jRbjT5_S1E_jjP12ihipStream_tbEUljE_ZNSN_ISO_Lb1ESQ_SR_ST_SU_SY_EESZ_S10_S11_S12_S16_S17_S18_S1B_S1C_jS1D_jS1E_S1E_jjS1G_bEUljE0_EEESZ_S10_S11_S18_S1C_S1E_T6_T7_T9_mT8_S1G_bDpT10_ENKUlT_T0_E_clISt17integral_constantIbLb0EES1U_EEDaS1P_S1Q_EUlS1P_E_NS1_11comp_targetILNS1_3genE4ELNS1_11target_archE910ELNS1_3gpuE8ELNS1_3repE0EEENS1_30default_config_static_selectorELNS0_4arch9wavefront6targetE1EEEvS12_.has_dyn_sized_stack, 0
	.set _ZN7rocprim17ROCPRIM_400000_NS6detail17trampoline_kernelINS0_13select_configILj256ELj13ELNS0_17block_load_methodE3ELS4_3ELS4_3ELNS0_20block_scan_algorithmE0ELj4294967295EEENS1_25partition_config_selectorILNS1_17partition_subalgoE4EjNS0_10empty_typeEbEEZZNS1_14partition_implILS8_4ELb0ES6_15HIP_vector_typeIjLj2EENS0_17counting_iteratorIjlEEPS9_SG_NS0_5tupleIJPjSI_NS0_16reverse_iteratorISI_EEEEENSH_IJSG_SG_SG_EEES9_SI_JZNS1_25segmented_radix_sort_implINS0_14default_configELb1EPKsPsPKlPlN2at6native12_GLOBAL__N_18offset_tEEE10hipError_tPvRmT1_PNSt15iterator_traitsIS12_E10value_typeET2_T3_PNS13_IS18_E10value_typeET4_jRbjT5_S1E_jjP12ihipStream_tbEUljE_ZNSN_ISO_Lb1ESQ_SR_ST_SU_SY_EESZ_S10_S11_S12_S16_S17_S18_S1B_S1C_jS1D_jS1E_S1E_jjS1G_bEUljE0_EEESZ_S10_S11_S18_S1C_S1E_T6_T7_T9_mT8_S1G_bDpT10_ENKUlT_T0_E_clISt17integral_constantIbLb0EES1U_EEDaS1P_S1Q_EUlS1P_E_NS1_11comp_targetILNS1_3genE4ELNS1_11target_archE910ELNS1_3gpuE8ELNS1_3repE0EEENS1_30default_config_static_selectorELNS0_4arch9wavefront6targetE1EEEvS12_.has_recursion, 0
	.set _ZN7rocprim17ROCPRIM_400000_NS6detail17trampoline_kernelINS0_13select_configILj256ELj13ELNS0_17block_load_methodE3ELS4_3ELS4_3ELNS0_20block_scan_algorithmE0ELj4294967295EEENS1_25partition_config_selectorILNS1_17partition_subalgoE4EjNS0_10empty_typeEbEEZZNS1_14partition_implILS8_4ELb0ES6_15HIP_vector_typeIjLj2EENS0_17counting_iteratorIjlEEPS9_SG_NS0_5tupleIJPjSI_NS0_16reverse_iteratorISI_EEEEENSH_IJSG_SG_SG_EEES9_SI_JZNS1_25segmented_radix_sort_implINS0_14default_configELb1EPKsPsPKlPlN2at6native12_GLOBAL__N_18offset_tEEE10hipError_tPvRmT1_PNSt15iterator_traitsIS12_E10value_typeET2_T3_PNS13_IS18_E10value_typeET4_jRbjT5_S1E_jjP12ihipStream_tbEUljE_ZNSN_ISO_Lb1ESQ_SR_ST_SU_SY_EESZ_S10_S11_S12_S16_S17_S18_S1B_S1C_jS1D_jS1E_S1E_jjS1G_bEUljE0_EEESZ_S10_S11_S18_S1C_S1E_T6_T7_T9_mT8_S1G_bDpT10_ENKUlT_T0_E_clISt17integral_constantIbLb0EES1U_EEDaS1P_S1Q_EUlS1P_E_NS1_11comp_targetILNS1_3genE4ELNS1_11target_archE910ELNS1_3gpuE8ELNS1_3repE0EEENS1_30default_config_static_selectorELNS0_4arch9wavefront6targetE1EEEvS12_.has_indirect_call, 0
	.section	.AMDGPU.csdata,"",@progbits
; Kernel info:
; codeLenInByte = 0
; TotalNumSgprs: 4
; NumVgprs: 0
; ScratchSize: 0
; MemoryBound: 0
; FloatMode: 240
; IeeeMode: 1
; LDSByteSize: 0 bytes/workgroup (compile time only)
; SGPRBlocks: 0
; VGPRBlocks: 0
; NumSGPRsForWavesPerEU: 4
; NumVGPRsForWavesPerEU: 1
; Occupancy: 10
; WaveLimiterHint : 0
; COMPUTE_PGM_RSRC2:SCRATCH_EN: 0
; COMPUTE_PGM_RSRC2:USER_SGPR: 6
; COMPUTE_PGM_RSRC2:TRAP_HANDLER: 0
; COMPUTE_PGM_RSRC2:TGID_X_EN: 1
; COMPUTE_PGM_RSRC2:TGID_Y_EN: 0
; COMPUTE_PGM_RSRC2:TGID_Z_EN: 0
; COMPUTE_PGM_RSRC2:TIDIG_COMP_CNT: 0
	.section	.text._ZN7rocprim17ROCPRIM_400000_NS6detail17trampoline_kernelINS0_13select_configILj256ELj13ELNS0_17block_load_methodE3ELS4_3ELS4_3ELNS0_20block_scan_algorithmE0ELj4294967295EEENS1_25partition_config_selectorILNS1_17partition_subalgoE4EjNS0_10empty_typeEbEEZZNS1_14partition_implILS8_4ELb0ES6_15HIP_vector_typeIjLj2EENS0_17counting_iteratorIjlEEPS9_SG_NS0_5tupleIJPjSI_NS0_16reverse_iteratorISI_EEEEENSH_IJSG_SG_SG_EEES9_SI_JZNS1_25segmented_radix_sort_implINS0_14default_configELb1EPKsPsPKlPlN2at6native12_GLOBAL__N_18offset_tEEE10hipError_tPvRmT1_PNSt15iterator_traitsIS12_E10value_typeET2_T3_PNS13_IS18_E10value_typeET4_jRbjT5_S1E_jjP12ihipStream_tbEUljE_ZNSN_ISO_Lb1ESQ_SR_ST_SU_SY_EESZ_S10_S11_S12_S16_S17_S18_S1B_S1C_jS1D_jS1E_S1E_jjS1G_bEUljE0_EEESZ_S10_S11_S18_S1C_S1E_T6_T7_T9_mT8_S1G_bDpT10_ENKUlT_T0_E_clISt17integral_constantIbLb0EES1U_EEDaS1P_S1Q_EUlS1P_E_NS1_11comp_targetILNS1_3genE3ELNS1_11target_archE908ELNS1_3gpuE7ELNS1_3repE0EEENS1_30default_config_static_selectorELNS0_4arch9wavefront6targetE1EEEvS12_,"axG",@progbits,_ZN7rocprim17ROCPRIM_400000_NS6detail17trampoline_kernelINS0_13select_configILj256ELj13ELNS0_17block_load_methodE3ELS4_3ELS4_3ELNS0_20block_scan_algorithmE0ELj4294967295EEENS1_25partition_config_selectorILNS1_17partition_subalgoE4EjNS0_10empty_typeEbEEZZNS1_14partition_implILS8_4ELb0ES6_15HIP_vector_typeIjLj2EENS0_17counting_iteratorIjlEEPS9_SG_NS0_5tupleIJPjSI_NS0_16reverse_iteratorISI_EEEEENSH_IJSG_SG_SG_EEES9_SI_JZNS1_25segmented_radix_sort_implINS0_14default_configELb1EPKsPsPKlPlN2at6native12_GLOBAL__N_18offset_tEEE10hipError_tPvRmT1_PNSt15iterator_traitsIS12_E10value_typeET2_T3_PNS13_IS18_E10value_typeET4_jRbjT5_S1E_jjP12ihipStream_tbEUljE_ZNSN_ISO_Lb1ESQ_SR_ST_SU_SY_EESZ_S10_S11_S12_S16_S17_S18_S1B_S1C_jS1D_jS1E_S1E_jjS1G_bEUljE0_EEESZ_S10_S11_S18_S1C_S1E_T6_T7_T9_mT8_S1G_bDpT10_ENKUlT_T0_E_clISt17integral_constantIbLb0EES1U_EEDaS1P_S1Q_EUlS1P_E_NS1_11comp_targetILNS1_3genE3ELNS1_11target_archE908ELNS1_3gpuE7ELNS1_3repE0EEENS1_30default_config_static_selectorELNS0_4arch9wavefront6targetE1EEEvS12_,comdat
	.globl	_ZN7rocprim17ROCPRIM_400000_NS6detail17trampoline_kernelINS0_13select_configILj256ELj13ELNS0_17block_load_methodE3ELS4_3ELS4_3ELNS0_20block_scan_algorithmE0ELj4294967295EEENS1_25partition_config_selectorILNS1_17partition_subalgoE4EjNS0_10empty_typeEbEEZZNS1_14partition_implILS8_4ELb0ES6_15HIP_vector_typeIjLj2EENS0_17counting_iteratorIjlEEPS9_SG_NS0_5tupleIJPjSI_NS0_16reverse_iteratorISI_EEEEENSH_IJSG_SG_SG_EEES9_SI_JZNS1_25segmented_radix_sort_implINS0_14default_configELb1EPKsPsPKlPlN2at6native12_GLOBAL__N_18offset_tEEE10hipError_tPvRmT1_PNSt15iterator_traitsIS12_E10value_typeET2_T3_PNS13_IS18_E10value_typeET4_jRbjT5_S1E_jjP12ihipStream_tbEUljE_ZNSN_ISO_Lb1ESQ_SR_ST_SU_SY_EESZ_S10_S11_S12_S16_S17_S18_S1B_S1C_jS1D_jS1E_S1E_jjS1G_bEUljE0_EEESZ_S10_S11_S18_S1C_S1E_T6_T7_T9_mT8_S1G_bDpT10_ENKUlT_T0_E_clISt17integral_constantIbLb0EES1U_EEDaS1P_S1Q_EUlS1P_E_NS1_11comp_targetILNS1_3genE3ELNS1_11target_archE908ELNS1_3gpuE7ELNS1_3repE0EEENS1_30default_config_static_selectorELNS0_4arch9wavefront6targetE1EEEvS12_ ; -- Begin function _ZN7rocprim17ROCPRIM_400000_NS6detail17trampoline_kernelINS0_13select_configILj256ELj13ELNS0_17block_load_methodE3ELS4_3ELS4_3ELNS0_20block_scan_algorithmE0ELj4294967295EEENS1_25partition_config_selectorILNS1_17partition_subalgoE4EjNS0_10empty_typeEbEEZZNS1_14partition_implILS8_4ELb0ES6_15HIP_vector_typeIjLj2EENS0_17counting_iteratorIjlEEPS9_SG_NS0_5tupleIJPjSI_NS0_16reverse_iteratorISI_EEEEENSH_IJSG_SG_SG_EEES9_SI_JZNS1_25segmented_radix_sort_implINS0_14default_configELb1EPKsPsPKlPlN2at6native12_GLOBAL__N_18offset_tEEE10hipError_tPvRmT1_PNSt15iterator_traitsIS12_E10value_typeET2_T3_PNS13_IS18_E10value_typeET4_jRbjT5_S1E_jjP12ihipStream_tbEUljE_ZNSN_ISO_Lb1ESQ_SR_ST_SU_SY_EESZ_S10_S11_S12_S16_S17_S18_S1B_S1C_jS1D_jS1E_S1E_jjS1G_bEUljE0_EEESZ_S10_S11_S18_S1C_S1E_T6_T7_T9_mT8_S1G_bDpT10_ENKUlT_T0_E_clISt17integral_constantIbLb0EES1U_EEDaS1P_S1Q_EUlS1P_E_NS1_11comp_targetILNS1_3genE3ELNS1_11target_archE908ELNS1_3gpuE7ELNS1_3repE0EEENS1_30default_config_static_selectorELNS0_4arch9wavefront6targetE1EEEvS12_
	.p2align	8
	.type	_ZN7rocprim17ROCPRIM_400000_NS6detail17trampoline_kernelINS0_13select_configILj256ELj13ELNS0_17block_load_methodE3ELS4_3ELS4_3ELNS0_20block_scan_algorithmE0ELj4294967295EEENS1_25partition_config_selectorILNS1_17partition_subalgoE4EjNS0_10empty_typeEbEEZZNS1_14partition_implILS8_4ELb0ES6_15HIP_vector_typeIjLj2EENS0_17counting_iteratorIjlEEPS9_SG_NS0_5tupleIJPjSI_NS0_16reverse_iteratorISI_EEEEENSH_IJSG_SG_SG_EEES9_SI_JZNS1_25segmented_radix_sort_implINS0_14default_configELb1EPKsPsPKlPlN2at6native12_GLOBAL__N_18offset_tEEE10hipError_tPvRmT1_PNSt15iterator_traitsIS12_E10value_typeET2_T3_PNS13_IS18_E10value_typeET4_jRbjT5_S1E_jjP12ihipStream_tbEUljE_ZNSN_ISO_Lb1ESQ_SR_ST_SU_SY_EESZ_S10_S11_S12_S16_S17_S18_S1B_S1C_jS1D_jS1E_S1E_jjS1G_bEUljE0_EEESZ_S10_S11_S18_S1C_S1E_T6_T7_T9_mT8_S1G_bDpT10_ENKUlT_T0_E_clISt17integral_constantIbLb0EES1U_EEDaS1P_S1Q_EUlS1P_E_NS1_11comp_targetILNS1_3genE3ELNS1_11target_archE908ELNS1_3gpuE7ELNS1_3repE0EEENS1_30default_config_static_selectorELNS0_4arch9wavefront6targetE1EEEvS12_,@function
_ZN7rocprim17ROCPRIM_400000_NS6detail17trampoline_kernelINS0_13select_configILj256ELj13ELNS0_17block_load_methodE3ELS4_3ELS4_3ELNS0_20block_scan_algorithmE0ELj4294967295EEENS1_25partition_config_selectorILNS1_17partition_subalgoE4EjNS0_10empty_typeEbEEZZNS1_14partition_implILS8_4ELb0ES6_15HIP_vector_typeIjLj2EENS0_17counting_iteratorIjlEEPS9_SG_NS0_5tupleIJPjSI_NS0_16reverse_iteratorISI_EEEEENSH_IJSG_SG_SG_EEES9_SI_JZNS1_25segmented_radix_sort_implINS0_14default_configELb1EPKsPsPKlPlN2at6native12_GLOBAL__N_18offset_tEEE10hipError_tPvRmT1_PNSt15iterator_traitsIS12_E10value_typeET2_T3_PNS13_IS18_E10value_typeET4_jRbjT5_S1E_jjP12ihipStream_tbEUljE_ZNSN_ISO_Lb1ESQ_SR_ST_SU_SY_EESZ_S10_S11_S12_S16_S17_S18_S1B_S1C_jS1D_jS1E_S1E_jjS1G_bEUljE0_EEESZ_S10_S11_S18_S1C_S1E_T6_T7_T9_mT8_S1G_bDpT10_ENKUlT_T0_E_clISt17integral_constantIbLb0EES1U_EEDaS1P_S1Q_EUlS1P_E_NS1_11comp_targetILNS1_3genE3ELNS1_11target_archE908ELNS1_3gpuE7ELNS1_3repE0EEENS1_30default_config_static_selectorELNS0_4arch9wavefront6targetE1EEEvS12_: ; @_ZN7rocprim17ROCPRIM_400000_NS6detail17trampoline_kernelINS0_13select_configILj256ELj13ELNS0_17block_load_methodE3ELS4_3ELS4_3ELNS0_20block_scan_algorithmE0ELj4294967295EEENS1_25partition_config_selectorILNS1_17partition_subalgoE4EjNS0_10empty_typeEbEEZZNS1_14partition_implILS8_4ELb0ES6_15HIP_vector_typeIjLj2EENS0_17counting_iteratorIjlEEPS9_SG_NS0_5tupleIJPjSI_NS0_16reverse_iteratorISI_EEEEENSH_IJSG_SG_SG_EEES9_SI_JZNS1_25segmented_radix_sort_implINS0_14default_configELb1EPKsPsPKlPlN2at6native12_GLOBAL__N_18offset_tEEE10hipError_tPvRmT1_PNSt15iterator_traitsIS12_E10value_typeET2_T3_PNS13_IS18_E10value_typeET4_jRbjT5_S1E_jjP12ihipStream_tbEUljE_ZNSN_ISO_Lb1ESQ_SR_ST_SU_SY_EESZ_S10_S11_S12_S16_S17_S18_S1B_S1C_jS1D_jS1E_S1E_jjS1G_bEUljE0_EEESZ_S10_S11_S18_S1C_S1E_T6_T7_T9_mT8_S1G_bDpT10_ENKUlT_T0_E_clISt17integral_constantIbLb0EES1U_EEDaS1P_S1Q_EUlS1P_E_NS1_11comp_targetILNS1_3genE3ELNS1_11target_archE908ELNS1_3gpuE7ELNS1_3repE0EEENS1_30default_config_static_selectorELNS0_4arch9wavefront6targetE1EEEvS12_
; %bb.0:
	.section	.rodata,"a",@progbits
	.p2align	6, 0x0
	.amdhsa_kernel _ZN7rocprim17ROCPRIM_400000_NS6detail17trampoline_kernelINS0_13select_configILj256ELj13ELNS0_17block_load_methodE3ELS4_3ELS4_3ELNS0_20block_scan_algorithmE0ELj4294967295EEENS1_25partition_config_selectorILNS1_17partition_subalgoE4EjNS0_10empty_typeEbEEZZNS1_14partition_implILS8_4ELb0ES6_15HIP_vector_typeIjLj2EENS0_17counting_iteratorIjlEEPS9_SG_NS0_5tupleIJPjSI_NS0_16reverse_iteratorISI_EEEEENSH_IJSG_SG_SG_EEES9_SI_JZNS1_25segmented_radix_sort_implINS0_14default_configELb1EPKsPsPKlPlN2at6native12_GLOBAL__N_18offset_tEEE10hipError_tPvRmT1_PNSt15iterator_traitsIS12_E10value_typeET2_T3_PNS13_IS18_E10value_typeET4_jRbjT5_S1E_jjP12ihipStream_tbEUljE_ZNSN_ISO_Lb1ESQ_SR_ST_SU_SY_EESZ_S10_S11_S12_S16_S17_S18_S1B_S1C_jS1D_jS1E_S1E_jjS1G_bEUljE0_EEESZ_S10_S11_S18_S1C_S1E_T6_T7_T9_mT8_S1G_bDpT10_ENKUlT_T0_E_clISt17integral_constantIbLb0EES1U_EEDaS1P_S1Q_EUlS1P_E_NS1_11comp_targetILNS1_3genE3ELNS1_11target_archE908ELNS1_3gpuE7ELNS1_3repE0EEENS1_30default_config_static_selectorELNS0_4arch9wavefront6targetE1EEEvS12_
		.amdhsa_group_segment_fixed_size 0
		.amdhsa_private_segment_fixed_size 0
		.amdhsa_kernarg_size 176
		.amdhsa_user_sgpr_count 6
		.amdhsa_user_sgpr_private_segment_buffer 1
		.amdhsa_user_sgpr_dispatch_ptr 0
		.amdhsa_user_sgpr_queue_ptr 0
		.amdhsa_user_sgpr_kernarg_segment_ptr 1
		.amdhsa_user_sgpr_dispatch_id 0
		.amdhsa_user_sgpr_flat_scratch_init 0
		.amdhsa_user_sgpr_private_segment_size 0
		.amdhsa_uses_dynamic_stack 0
		.amdhsa_system_sgpr_private_segment_wavefront_offset 0
		.amdhsa_system_sgpr_workgroup_id_x 1
		.amdhsa_system_sgpr_workgroup_id_y 0
		.amdhsa_system_sgpr_workgroup_id_z 0
		.amdhsa_system_sgpr_workgroup_info 0
		.amdhsa_system_vgpr_workitem_id 0
		.amdhsa_next_free_vgpr 1
		.amdhsa_next_free_sgpr 0
		.amdhsa_reserve_vcc 0
		.amdhsa_reserve_flat_scratch 0
		.amdhsa_float_round_mode_32 0
		.amdhsa_float_round_mode_16_64 0
		.amdhsa_float_denorm_mode_32 3
		.amdhsa_float_denorm_mode_16_64 3
		.amdhsa_dx10_clamp 1
		.amdhsa_ieee_mode 1
		.amdhsa_fp16_overflow 0
		.amdhsa_exception_fp_ieee_invalid_op 0
		.amdhsa_exception_fp_denorm_src 0
		.amdhsa_exception_fp_ieee_div_zero 0
		.amdhsa_exception_fp_ieee_overflow 0
		.amdhsa_exception_fp_ieee_underflow 0
		.amdhsa_exception_fp_ieee_inexact 0
		.amdhsa_exception_int_div_zero 0
	.end_amdhsa_kernel
	.section	.text._ZN7rocprim17ROCPRIM_400000_NS6detail17trampoline_kernelINS0_13select_configILj256ELj13ELNS0_17block_load_methodE3ELS4_3ELS4_3ELNS0_20block_scan_algorithmE0ELj4294967295EEENS1_25partition_config_selectorILNS1_17partition_subalgoE4EjNS0_10empty_typeEbEEZZNS1_14partition_implILS8_4ELb0ES6_15HIP_vector_typeIjLj2EENS0_17counting_iteratorIjlEEPS9_SG_NS0_5tupleIJPjSI_NS0_16reverse_iteratorISI_EEEEENSH_IJSG_SG_SG_EEES9_SI_JZNS1_25segmented_radix_sort_implINS0_14default_configELb1EPKsPsPKlPlN2at6native12_GLOBAL__N_18offset_tEEE10hipError_tPvRmT1_PNSt15iterator_traitsIS12_E10value_typeET2_T3_PNS13_IS18_E10value_typeET4_jRbjT5_S1E_jjP12ihipStream_tbEUljE_ZNSN_ISO_Lb1ESQ_SR_ST_SU_SY_EESZ_S10_S11_S12_S16_S17_S18_S1B_S1C_jS1D_jS1E_S1E_jjS1G_bEUljE0_EEESZ_S10_S11_S18_S1C_S1E_T6_T7_T9_mT8_S1G_bDpT10_ENKUlT_T0_E_clISt17integral_constantIbLb0EES1U_EEDaS1P_S1Q_EUlS1P_E_NS1_11comp_targetILNS1_3genE3ELNS1_11target_archE908ELNS1_3gpuE7ELNS1_3repE0EEENS1_30default_config_static_selectorELNS0_4arch9wavefront6targetE1EEEvS12_,"axG",@progbits,_ZN7rocprim17ROCPRIM_400000_NS6detail17trampoline_kernelINS0_13select_configILj256ELj13ELNS0_17block_load_methodE3ELS4_3ELS4_3ELNS0_20block_scan_algorithmE0ELj4294967295EEENS1_25partition_config_selectorILNS1_17partition_subalgoE4EjNS0_10empty_typeEbEEZZNS1_14partition_implILS8_4ELb0ES6_15HIP_vector_typeIjLj2EENS0_17counting_iteratorIjlEEPS9_SG_NS0_5tupleIJPjSI_NS0_16reverse_iteratorISI_EEEEENSH_IJSG_SG_SG_EEES9_SI_JZNS1_25segmented_radix_sort_implINS0_14default_configELb1EPKsPsPKlPlN2at6native12_GLOBAL__N_18offset_tEEE10hipError_tPvRmT1_PNSt15iterator_traitsIS12_E10value_typeET2_T3_PNS13_IS18_E10value_typeET4_jRbjT5_S1E_jjP12ihipStream_tbEUljE_ZNSN_ISO_Lb1ESQ_SR_ST_SU_SY_EESZ_S10_S11_S12_S16_S17_S18_S1B_S1C_jS1D_jS1E_S1E_jjS1G_bEUljE0_EEESZ_S10_S11_S18_S1C_S1E_T6_T7_T9_mT8_S1G_bDpT10_ENKUlT_T0_E_clISt17integral_constantIbLb0EES1U_EEDaS1P_S1Q_EUlS1P_E_NS1_11comp_targetILNS1_3genE3ELNS1_11target_archE908ELNS1_3gpuE7ELNS1_3repE0EEENS1_30default_config_static_selectorELNS0_4arch9wavefront6targetE1EEEvS12_,comdat
.Lfunc_end850:
	.size	_ZN7rocprim17ROCPRIM_400000_NS6detail17trampoline_kernelINS0_13select_configILj256ELj13ELNS0_17block_load_methodE3ELS4_3ELS4_3ELNS0_20block_scan_algorithmE0ELj4294967295EEENS1_25partition_config_selectorILNS1_17partition_subalgoE4EjNS0_10empty_typeEbEEZZNS1_14partition_implILS8_4ELb0ES6_15HIP_vector_typeIjLj2EENS0_17counting_iteratorIjlEEPS9_SG_NS0_5tupleIJPjSI_NS0_16reverse_iteratorISI_EEEEENSH_IJSG_SG_SG_EEES9_SI_JZNS1_25segmented_radix_sort_implINS0_14default_configELb1EPKsPsPKlPlN2at6native12_GLOBAL__N_18offset_tEEE10hipError_tPvRmT1_PNSt15iterator_traitsIS12_E10value_typeET2_T3_PNS13_IS18_E10value_typeET4_jRbjT5_S1E_jjP12ihipStream_tbEUljE_ZNSN_ISO_Lb1ESQ_SR_ST_SU_SY_EESZ_S10_S11_S12_S16_S17_S18_S1B_S1C_jS1D_jS1E_S1E_jjS1G_bEUljE0_EEESZ_S10_S11_S18_S1C_S1E_T6_T7_T9_mT8_S1G_bDpT10_ENKUlT_T0_E_clISt17integral_constantIbLb0EES1U_EEDaS1P_S1Q_EUlS1P_E_NS1_11comp_targetILNS1_3genE3ELNS1_11target_archE908ELNS1_3gpuE7ELNS1_3repE0EEENS1_30default_config_static_selectorELNS0_4arch9wavefront6targetE1EEEvS12_, .Lfunc_end850-_ZN7rocprim17ROCPRIM_400000_NS6detail17trampoline_kernelINS0_13select_configILj256ELj13ELNS0_17block_load_methodE3ELS4_3ELS4_3ELNS0_20block_scan_algorithmE0ELj4294967295EEENS1_25partition_config_selectorILNS1_17partition_subalgoE4EjNS0_10empty_typeEbEEZZNS1_14partition_implILS8_4ELb0ES6_15HIP_vector_typeIjLj2EENS0_17counting_iteratorIjlEEPS9_SG_NS0_5tupleIJPjSI_NS0_16reverse_iteratorISI_EEEEENSH_IJSG_SG_SG_EEES9_SI_JZNS1_25segmented_radix_sort_implINS0_14default_configELb1EPKsPsPKlPlN2at6native12_GLOBAL__N_18offset_tEEE10hipError_tPvRmT1_PNSt15iterator_traitsIS12_E10value_typeET2_T3_PNS13_IS18_E10value_typeET4_jRbjT5_S1E_jjP12ihipStream_tbEUljE_ZNSN_ISO_Lb1ESQ_SR_ST_SU_SY_EESZ_S10_S11_S12_S16_S17_S18_S1B_S1C_jS1D_jS1E_S1E_jjS1G_bEUljE0_EEESZ_S10_S11_S18_S1C_S1E_T6_T7_T9_mT8_S1G_bDpT10_ENKUlT_T0_E_clISt17integral_constantIbLb0EES1U_EEDaS1P_S1Q_EUlS1P_E_NS1_11comp_targetILNS1_3genE3ELNS1_11target_archE908ELNS1_3gpuE7ELNS1_3repE0EEENS1_30default_config_static_selectorELNS0_4arch9wavefront6targetE1EEEvS12_
                                        ; -- End function
	.set _ZN7rocprim17ROCPRIM_400000_NS6detail17trampoline_kernelINS0_13select_configILj256ELj13ELNS0_17block_load_methodE3ELS4_3ELS4_3ELNS0_20block_scan_algorithmE0ELj4294967295EEENS1_25partition_config_selectorILNS1_17partition_subalgoE4EjNS0_10empty_typeEbEEZZNS1_14partition_implILS8_4ELb0ES6_15HIP_vector_typeIjLj2EENS0_17counting_iteratorIjlEEPS9_SG_NS0_5tupleIJPjSI_NS0_16reverse_iteratorISI_EEEEENSH_IJSG_SG_SG_EEES9_SI_JZNS1_25segmented_radix_sort_implINS0_14default_configELb1EPKsPsPKlPlN2at6native12_GLOBAL__N_18offset_tEEE10hipError_tPvRmT1_PNSt15iterator_traitsIS12_E10value_typeET2_T3_PNS13_IS18_E10value_typeET4_jRbjT5_S1E_jjP12ihipStream_tbEUljE_ZNSN_ISO_Lb1ESQ_SR_ST_SU_SY_EESZ_S10_S11_S12_S16_S17_S18_S1B_S1C_jS1D_jS1E_S1E_jjS1G_bEUljE0_EEESZ_S10_S11_S18_S1C_S1E_T6_T7_T9_mT8_S1G_bDpT10_ENKUlT_T0_E_clISt17integral_constantIbLb0EES1U_EEDaS1P_S1Q_EUlS1P_E_NS1_11comp_targetILNS1_3genE3ELNS1_11target_archE908ELNS1_3gpuE7ELNS1_3repE0EEENS1_30default_config_static_selectorELNS0_4arch9wavefront6targetE1EEEvS12_.num_vgpr, 0
	.set _ZN7rocprim17ROCPRIM_400000_NS6detail17trampoline_kernelINS0_13select_configILj256ELj13ELNS0_17block_load_methodE3ELS4_3ELS4_3ELNS0_20block_scan_algorithmE0ELj4294967295EEENS1_25partition_config_selectorILNS1_17partition_subalgoE4EjNS0_10empty_typeEbEEZZNS1_14partition_implILS8_4ELb0ES6_15HIP_vector_typeIjLj2EENS0_17counting_iteratorIjlEEPS9_SG_NS0_5tupleIJPjSI_NS0_16reverse_iteratorISI_EEEEENSH_IJSG_SG_SG_EEES9_SI_JZNS1_25segmented_radix_sort_implINS0_14default_configELb1EPKsPsPKlPlN2at6native12_GLOBAL__N_18offset_tEEE10hipError_tPvRmT1_PNSt15iterator_traitsIS12_E10value_typeET2_T3_PNS13_IS18_E10value_typeET4_jRbjT5_S1E_jjP12ihipStream_tbEUljE_ZNSN_ISO_Lb1ESQ_SR_ST_SU_SY_EESZ_S10_S11_S12_S16_S17_S18_S1B_S1C_jS1D_jS1E_S1E_jjS1G_bEUljE0_EEESZ_S10_S11_S18_S1C_S1E_T6_T7_T9_mT8_S1G_bDpT10_ENKUlT_T0_E_clISt17integral_constantIbLb0EES1U_EEDaS1P_S1Q_EUlS1P_E_NS1_11comp_targetILNS1_3genE3ELNS1_11target_archE908ELNS1_3gpuE7ELNS1_3repE0EEENS1_30default_config_static_selectorELNS0_4arch9wavefront6targetE1EEEvS12_.num_agpr, 0
	.set _ZN7rocprim17ROCPRIM_400000_NS6detail17trampoline_kernelINS0_13select_configILj256ELj13ELNS0_17block_load_methodE3ELS4_3ELS4_3ELNS0_20block_scan_algorithmE0ELj4294967295EEENS1_25partition_config_selectorILNS1_17partition_subalgoE4EjNS0_10empty_typeEbEEZZNS1_14partition_implILS8_4ELb0ES6_15HIP_vector_typeIjLj2EENS0_17counting_iteratorIjlEEPS9_SG_NS0_5tupleIJPjSI_NS0_16reverse_iteratorISI_EEEEENSH_IJSG_SG_SG_EEES9_SI_JZNS1_25segmented_radix_sort_implINS0_14default_configELb1EPKsPsPKlPlN2at6native12_GLOBAL__N_18offset_tEEE10hipError_tPvRmT1_PNSt15iterator_traitsIS12_E10value_typeET2_T3_PNS13_IS18_E10value_typeET4_jRbjT5_S1E_jjP12ihipStream_tbEUljE_ZNSN_ISO_Lb1ESQ_SR_ST_SU_SY_EESZ_S10_S11_S12_S16_S17_S18_S1B_S1C_jS1D_jS1E_S1E_jjS1G_bEUljE0_EEESZ_S10_S11_S18_S1C_S1E_T6_T7_T9_mT8_S1G_bDpT10_ENKUlT_T0_E_clISt17integral_constantIbLb0EES1U_EEDaS1P_S1Q_EUlS1P_E_NS1_11comp_targetILNS1_3genE3ELNS1_11target_archE908ELNS1_3gpuE7ELNS1_3repE0EEENS1_30default_config_static_selectorELNS0_4arch9wavefront6targetE1EEEvS12_.numbered_sgpr, 0
	.set _ZN7rocprim17ROCPRIM_400000_NS6detail17trampoline_kernelINS0_13select_configILj256ELj13ELNS0_17block_load_methodE3ELS4_3ELS4_3ELNS0_20block_scan_algorithmE0ELj4294967295EEENS1_25partition_config_selectorILNS1_17partition_subalgoE4EjNS0_10empty_typeEbEEZZNS1_14partition_implILS8_4ELb0ES6_15HIP_vector_typeIjLj2EENS0_17counting_iteratorIjlEEPS9_SG_NS0_5tupleIJPjSI_NS0_16reverse_iteratorISI_EEEEENSH_IJSG_SG_SG_EEES9_SI_JZNS1_25segmented_radix_sort_implINS0_14default_configELb1EPKsPsPKlPlN2at6native12_GLOBAL__N_18offset_tEEE10hipError_tPvRmT1_PNSt15iterator_traitsIS12_E10value_typeET2_T3_PNS13_IS18_E10value_typeET4_jRbjT5_S1E_jjP12ihipStream_tbEUljE_ZNSN_ISO_Lb1ESQ_SR_ST_SU_SY_EESZ_S10_S11_S12_S16_S17_S18_S1B_S1C_jS1D_jS1E_S1E_jjS1G_bEUljE0_EEESZ_S10_S11_S18_S1C_S1E_T6_T7_T9_mT8_S1G_bDpT10_ENKUlT_T0_E_clISt17integral_constantIbLb0EES1U_EEDaS1P_S1Q_EUlS1P_E_NS1_11comp_targetILNS1_3genE3ELNS1_11target_archE908ELNS1_3gpuE7ELNS1_3repE0EEENS1_30default_config_static_selectorELNS0_4arch9wavefront6targetE1EEEvS12_.num_named_barrier, 0
	.set _ZN7rocprim17ROCPRIM_400000_NS6detail17trampoline_kernelINS0_13select_configILj256ELj13ELNS0_17block_load_methodE3ELS4_3ELS4_3ELNS0_20block_scan_algorithmE0ELj4294967295EEENS1_25partition_config_selectorILNS1_17partition_subalgoE4EjNS0_10empty_typeEbEEZZNS1_14partition_implILS8_4ELb0ES6_15HIP_vector_typeIjLj2EENS0_17counting_iteratorIjlEEPS9_SG_NS0_5tupleIJPjSI_NS0_16reverse_iteratorISI_EEEEENSH_IJSG_SG_SG_EEES9_SI_JZNS1_25segmented_radix_sort_implINS0_14default_configELb1EPKsPsPKlPlN2at6native12_GLOBAL__N_18offset_tEEE10hipError_tPvRmT1_PNSt15iterator_traitsIS12_E10value_typeET2_T3_PNS13_IS18_E10value_typeET4_jRbjT5_S1E_jjP12ihipStream_tbEUljE_ZNSN_ISO_Lb1ESQ_SR_ST_SU_SY_EESZ_S10_S11_S12_S16_S17_S18_S1B_S1C_jS1D_jS1E_S1E_jjS1G_bEUljE0_EEESZ_S10_S11_S18_S1C_S1E_T6_T7_T9_mT8_S1G_bDpT10_ENKUlT_T0_E_clISt17integral_constantIbLb0EES1U_EEDaS1P_S1Q_EUlS1P_E_NS1_11comp_targetILNS1_3genE3ELNS1_11target_archE908ELNS1_3gpuE7ELNS1_3repE0EEENS1_30default_config_static_selectorELNS0_4arch9wavefront6targetE1EEEvS12_.private_seg_size, 0
	.set _ZN7rocprim17ROCPRIM_400000_NS6detail17trampoline_kernelINS0_13select_configILj256ELj13ELNS0_17block_load_methodE3ELS4_3ELS4_3ELNS0_20block_scan_algorithmE0ELj4294967295EEENS1_25partition_config_selectorILNS1_17partition_subalgoE4EjNS0_10empty_typeEbEEZZNS1_14partition_implILS8_4ELb0ES6_15HIP_vector_typeIjLj2EENS0_17counting_iteratorIjlEEPS9_SG_NS0_5tupleIJPjSI_NS0_16reverse_iteratorISI_EEEEENSH_IJSG_SG_SG_EEES9_SI_JZNS1_25segmented_radix_sort_implINS0_14default_configELb1EPKsPsPKlPlN2at6native12_GLOBAL__N_18offset_tEEE10hipError_tPvRmT1_PNSt15iterator_traitsIS12_E10value_typeET2_T3_PNS13_IS18_E10value_typeET4_jRbjT5_S1E_jjP12ihipStream_tbEUljE_ZNSN_ISO_Lb1ESQ_SR_ST_SU_SY_EESZ_S10_S11_S12_S16_S17_S18_S1B_S1C_jS1D_jS1E_S1E_jjS1G_bEUljE0_EEESZ_S10_S11_S18_S1C_S1E_T6_T7_T9_mT8_S1G_bDpT10_ENKUlT_T0_E_clISt17integral_constantIbLb0EES1U_EEDaS1P_S1Q_EUlS1P_E_NS1_11comp_targetILNS1_3genE3ELNS1_11target_archE908ELNS1_3gpuE7ELNS1_3repE0EEENS1_30default_config_static_selectorELNS0_4arch9wavefront6targetE1EEEvS12_.uses_vcc, 0
	.set _ZN7rocprim17ROCPRIM_400000_NS6detail17trampoline_kernelINS0_13select_configILj256ELj13ELNS0_17block_load_methodE3ELS4_3ELS4_3ELNS0_20block_scan_algorithmE0ELj4294967295EEENS1_25partition_config_selectorILNS1_17partition_subalgoE4EjNS0_10empty_typeEbEEZZNS1_14partition_implILS8_4ELb0ES6_15HIP_vector_typeIjLj2EENS0_17counting_iteratorIjlEEPS9_SG_NS0_5tupleIJPjSI_NS0_16reverse_iteratorISI_EEEEENSH_IJSG_SG_SG_EEES9_SI_JZNS1_25segmented_radix_sort_implINS0_14default_configELb1EPKsPsPKlPlN2at6native12_GLOBAL__N_18offset_tEEE10hipError_tPvRmT1_PNSt15iterator_traitsIS12_E10value_typeET2_T3_PNS13_IS18_E10value_typeET4_jRbjT5_S1E_jjP12ihipStream_tbEUljE_ZNSN_ISO_Lb1ESQ_SR_ST_SU_SY_EESZ_S10_S11_S12_S16_S17_S18_S1B_S1C_jS1D_jS1E_S1E_jjS1G_bEUljE0_EEESZ_S10_S11_S18_S1C_S1E_T6_T7_T9_mT8_S1G_bDpT10_ENKUlT_T0_E_clISt17integral_constantIbLb0EES1U_EEDaS1P_S1Q_EUlS1P_E_NS1_11comp_targetILNS1_3genE3ELNS1_11target_archE908ELNS1_3gpuE7ELNS1_3repE0EEENS1_30default_config_static_selectorELNS0_4arch9wavefront6targetE1EEEvS12_.uses_flat_scratch, 0
	.set _ZN7rocprim17ROCPRIM_400000_NS6detail17trampoline_kernelINS0_13select_configILj256ELj13ELNS0_17block_load_methodE3ELS4_3ELS4_3ELNS0_20block_scan_algorithmE0ELj4294967295EEENS1_25partition_config_selectorILNS1_17partition_subalgoE4EjNS0_10empty_typeEbEEZZNS1_14partition_implILS8_4ELb0ES6_15HIP_vector_typeIjLj2EENS0_17counting_iteratorIjlEEPS9_SG_NS0_5tupleIJPjSI_NS0_16reverse_iteratorISI_EEEEENSH_IJSG_SG_SG_EEES9_SI_JZNS1_25segmented_radix_sort_implINS0_14default_configELb1EPKsPsPKlPlN2at6native12_GLOBAL__N_18offset_tEEE10hipError_tPvRmT1_PNSt15iterator_traitsIS12_E10value_typeET2_T3_PNS13_IS18_E10value_typeET4_jRbjT5_S1E_jjP12ihipStream_tbEUljE_ZNSN_ISO_Lb1ESQ_SR_ST_SU_SY_EESZ_S10_S11_S12_S16_S17_S18_S1B_S1C_jS1D_jS1E_S1E_jjS1G_bEUljE0_EEESZ_S10_S11_S18_S1C_S1E_T6_T7_T9_mT8_S1G_bDpT10_ENKUlT_T0_E_clISt17integral_constantIbLb0EES1U_EEDaS1P_S1Q_EUlS1P_E_NS1_11comp_targetILNS1_3genE3ELNS1_11target_archE908ELNS1_3gpuE7ELNS1_3repE0EEENS1_30default_config_static_selectorELNS0_4arch9wavefront6targetE1EEEvS12_.has_dyn_sized_stack, 0
	.set _ZN7rocprim17ROCPRIM_400000_NS6detail17trampoline_kernelINS0_13select_configILj256ELj13ELNS0_17block_load_methodE3ELS4_3ELS4_3ELNS0_20block_scan_algorithmE0ELj4294967295EEENS1_25partition_config_selectorILNS1_17partition_subalgoE4EjNS0_10empty_typeEbEEZZNS1_14partition_implILS8_4ELb0ES6_15HIP_vector_typeIjLj2EENS0_17counting_iteratorIjlEEPS9_SG_NS0_5tupleIJPjSI_NS0_16reverse_iteratorISI_EEEEENSH_IJSG_SG_SG_EEES9_SI_JZNS1_25segmented_radix_sort_implINS0_14default_configELb1EPKsPsPKlPlN2at6native12_GLOBAL__N_18offset_tEEE10hipError_tPvRmT1_PNSt15iterator_traitsIS12_E10value_typeET2_T3_PNS13_IS18_E10value_typeET4_jRbjT5_S1E_jjP12ihipStream_tbEUljE_ZNSN_ISO_Lb1ESQ_SR_ST_SU_SY_EESZ_S10_S11_S12_S16_S17_S18_S1B_S1C_jS1D_jS1E_S1E_jjS1G_bEUljE0_EEESZ_S10_S11_S18_S1C_S1E_T6_T7_T9_mT8_S1G_bDpT10_ENKUlT_T0_E_clISt17integral_constantIbLb0EES1U_EEDaS1P_S1Q_EUlS1P_E_NS1_11comp_targetILNS1_3genE3ELNS1_11target_archE908ELNS1_3gpuE7ELNS1_3repE0EEENS1_30default_config_static_selectorELNS0_4arch9wavefront6targetE1EEEvS12_.has_recursion, 0
	.set _ZN7rocprim17ROCPRIM_400000_NS6detail17trampoline_kernelINS0_13select_configILj256ELj13ELNS0_17block_load_methodE3ELS4_3ELS4_3ELNS0_20block_scan_algorithmE0ELj4294967295EEENS1_25partition_config_selectorILNS1_17partition_subalgoE4EjNS0_10empty_typeEbEEZZNS1_14partition_implILS8_4ELb0ES6_15HIP_vector_typeIjLj2EENS0_17counting_iteratorIjlEEPS9_SG_NS0_5tupleIJPjSI_NS0_16reverse_iteratorISI_EEEEENSH_IJSG_SG_SG_EEES9_SI_JZNS1_25segmented_radix_sort_implINS0_14default_configELb1EPKsPsPKlPlN2at6native12_GLOBAL__N_18offset_tEEE10hipError_tPvRmT1_PNSt15iterator_traitsIS12_E10value_typeET2_T3_PNS13_IS18_E10value_typeET4_jRbjT5_S1E_jjP12ihipStream_tbEUljE_ZNSN_ISO_Lb1ESQ_SR_ST_SU_SY_EESZ_S10_S11_S12_S16_S17_S18_S1B_S1C_jS1D_jS1E_S1E_jjS1G_bEUljE0_EEESZ_S10_S11_S18_S1C_S1E_T6_T7_T9_mT8_S1G_bDpT10_ENKUlT_T0_E_clISt17integral_constantIbLb0EES1U_EEDaS1P_S1Q_EUlS1P_E_NS1_11comp_targetILNS1_3genE3ELNS1_11target_archE908ELNS1_3gpuE7ELNS1_3repE0EEENS1_30default_config_static_selectorELNS0_4arch9wavefront6targetE1EEEvS12_.has_indirect_call, 0
	.section	.AMDGPU.csdata,"",@progbits
; Kernel info:
; codeLenInByte = 0
; TotalNumSgprs: 4
; NumVgprs: 0
; ScratchSize: 0
; MemoryBound: 0
; FloatMode: 240
; IeeeMode: 1
; LDSByteSize: 0 bytes/workgroup (compile time only)
; SGPRBlocks: 0
; VGPRBlocks: 0
; NumSGPRsForWavesPerEU: 4
; NumVGPRsForWavesPerEU: 1
; Occupancy: 10
; WaveLimiterHint : 0
; COMPUTE_PGM_RSRC2:SCRATCH_EN: 0
; COMPUTE_PGM_RSRC2:USER_SGPR: 6
; COMPUTE_PGM_RSRC2:TRAP_HANDLER: 0
; COMPUTE_PGM_RSRC2:TGID_X_EN: 1
; COMPUTE_PGM_RSRC2:TGID_Y_EN: 0
; COMPUTE_PGM_RSRC2:TGID_Z_EN: 0
; COMPUTE_PGM_RSRC2:TIDIG_COMP_CNT: 0
	.section	.text._ZN7rocprim17ROCPRIM_400000_NS6detail17trampoline_kernelINS0_13select_configILj256ELj13ELNS0_17block_load_methodE3ELS4_3ELS4_3ELNS0_20block_scan_algorithmE0ELj4294967295EEENS1_25partition_config_selectorILNS1_17partition_subalgoE4EjNS0_10empty_typeEbEEZZNS1_14partition_implILS8_4ELb0ES6_15HIP_vector_typeIjLj2EENS0_17counting_iteratorIjlEEPS9_SG_NS0_5tupleIJPjSI_NS0_16reverse_iteratorISI_EEEEENSH_IJSG_SG_SG_EEES9_SI_JZNS1_25segmented_radix_sort_implINS0_14default_configELb1EPKsPsPKlPlN2at6native12_GLOBAL__N_18offset_tEEE10hipError_tPvRmT1_PNSt15iterator_traitsIS12_E10value_typeET2_T3_PNS13_IS18_E10value_typeET4_jRbjT5_S1E_jjP12ihipStream_tbEUljE_ZNSN_ISO_Lb1ESQ_SR_ST_SU_SY_EESZ_S10_S11_S12_S16_S17_S18_S1B_S1C_jS1D_jS1E_S1E_jjS1G_bEUljE0_EEESZ_S10_S11_S18_S1C_S1E_T6_T7_T9_mT8_S1G_bDpT10_ENKUlT_T0_E_clISt17integral_constantIbLb0EES1U_EEDaS1P_S1Q_EUlS1P_E_NS1_11comp_targetILNS1_3genE2ELNS1_11target_archE906ELNS1_3gpuE6ELNS1_3repE0EEENS1_30default_config_static_selectorELNS0_4arch9wavefront6targetE1EEEvS12_,"axG",@progbits,_ZN7rocprim17ROCPRIM_400000_NS6detail17trampoline_kernelINS0_13select_configILj256ELj13ELNS0_17block_load_methodE3ELS4_3ELS4_3ELNS0_20block_scan_algorithmE0ELj4294967295EEENS1_25partition_config_selectorILNS1_17partition_subalgoE4EjNS0_10empty_typeEbEEZZNS1_14partition_implILS8_4ELb0ES6_15HIP_vector_typeIjLj2EENS0_17counting_iteratorIjlEEPS9_SG_NS0_5tupleIJPjSI_NS0_16reverse_iteratorISI_EEEEENSH_IJSG_SG_SG_EEES9_SI_JZNS1_25segmented_radix_sort_implINS0_14default_configELb1EPKsPsPKlPlN2at6native12_GLOBAL__N_18offset_tEEE10hipError_tPvRmT1_PNSt15iterator_traitsIS12_E10value_typeET2_T3_PNS13_IS18_E10value_typeET4_jRbjT5_S1E_jjP12ihipStream_tbEUljE_ZNSN_ISO_Lb1ESQ_SR_ST_SU_SY_EESZ_S10_S11_S12_S16_S17_S18_S1B_S1C_jS1D_jS1E_S1E_jjS1G_bEUljE0_EEESZ_S10_S11_S18_S1C_S1E_T6_T7_T9_mT8_S1G_bDpT10_ENKUlT_T0_E_clISt17integral_constantIbLb0EES1U_EEDaS1P_S1Q_EUlS1P_E_NS1_11comp_targetILNS1_3genE2ELNS1_11target_archE906ELNS1_3gpuE6ELNS1_3repE0EEENS1_30default_config_static_selectorELNS0_4arch9wavefront6targetE1EEEvS12_,comdat
	.globl	_ZN7rocprim17ROCPRIM_400000_NS6detail17trampoline_kernelINS0_13select_configILj256ELj13ELNS0_17block_load_methodE3ELS4_3ELS4_3ELNS0_20block_scan_algorithmE0ELj4294967295EEENS1_25partition_config_selectorILNS1_17partition_subalgoE4EjNS0_10empty_typeEbEEZZNS1_14partition_implILS8_4ELb0ES6_15HIP_vector_typeIjLj2EENS0_17counting_iteratorIjlEEPS9_SG_NS0_5tupleIJPjSI_NS0_16reverse_iteratorISI_EEEEENSH_IJSG_SG_SG_EEES9_SI_JZNS1_25segmented_radix_sort_implINS0_14default_configELb1EPKsPsPKlPlN2at6native12_GLOBAL__N_18offset_tEEE10hipError_tPvRmT1_PNSt15iterator_traitsIS12_E10value_typeET2_T3_PNS13_IS18_E10value_typeET4_jRbjT5_S1E_jjP12ihipStream_tbEUljE_ZNSN_ISO_Lb1ESQ_SR_ST_SU_SY_EESZ_S10_S11_S12_S16_S17_S18_S1B_S1C_jS1D_jS1E_S1E_jjS1G_bEUljE0_EEESZ_S10_S11_S18_S1C_S1E_T6_T7_T9_mT8_S1G_bDpT10_ENKUlT_T0_E_clISt17integral_constantIbLb0EES1U_EEDaS1P_S1Q_EUlS1P_E_NS1_11comp_targetILNS1_3genE2ELNS1_11target_archE906ELNS1_3gpuE6ELNS1_3repE0EEENS1_30default_config_static_selectorELNS0_4arch9wavefront6targetE1EEEvS12_ ; -- Begin function _ZN7rocprim17ROCPRIM_400000_NS6detail17trampoline_kernelINS0_13select_configILj256ELj13ELNS0_17block_load_methodE3ELS4_3ELS4_3ELNS0_20block_scan_algorithmE0ELj4294967295EEENS1_25partition_config_selectorILNS1_17partition_subalgoE4EjNS0_10empty_typeEbEEZZNS1_14partition_implILS8_4ELb0ES6_15HIP_vector_typeIjLj2EENS0_17counting_iteratorIjlEEPS9_SG_NS0_5tupleIJPjSI_NS0_16reverse_iteratorISI_EEEEENSH_IJSG_SG_SG_EEES9_SI_JZNS1_25segmented_radix_sort_implINS0_14default_configELb1EPKsPsPKlPlN2at6native12_GLOBAL__N_18offset_tEEE10hipError_tPvRmT1_PNSt15iterator_traitsIS12_E10value_typeET2_T3_PNS13_IS18_E10value_typeET4_jRbjT5_S1E_jjP12ihipStream_tbEUljE_ZNSN_ISO_Lb1ESQ_SR_ST_SU_SY_EESZ_S10_S11_S12_S16_S17_S18_S1B_S1C_jS1D_jS1E_S1E_jjS1G_bEUljE0_EEESZ_S10_S11_S18_S1C_S1E_T6_T7_T9_mT8_S1G_bDpT10_ENKUlT_T0_E_clISt17integral_constantIbLb0EES1U_EEDaS1P_S1Q_EUlS1P_E_NS1_11comp_targetILNS1_3genE2ELNS1_11target_archE906ELNS1_3gpuE6ELNS1_3repE0EEENS1_30default_config_static_selectorELNS0_4arch9wavefront6targetE1EEEvS12_
	.p2align	8
	.type	_ZN7rocprim17ROCPRIM_400000_NS6detail17trampoline_kernelINS0_13select_configILj256ELj13ELNS0_17block_load_methodE3ELS4_3ELS4_3ELNS0_20block_scan_algorithmE0ELj4294967295EEENS1_25partition_config_selectorILNS1_17partition_subalgoE4EjNS0_10empty_typeEbEEZZNS1_14partition_implILS8_4ELb0ES6_15HIP_vector_typeIjLj2EENS0_17counting_iteratorIjlEEPS9_SG_NS0_5tupleIJPjSI_NS0_16reverse_iteratorISI_EEEEENSH_IJSG_SG_SG_EEES9_SI_JZNS1_25segmented_radix_sort_implINS0_14default_configELb1EPKsPsPKlPlN2at6native12_GLOBAL__N_18offset_tEEE10hipError_tPvRmT1_PNSt15iterator_traitsIS12_E10value_typeET2_T3_PNS13_IS18_E10value_typeET4_jRbjT5_S1E_jjP12ihipStream_tbEUljE_ZNSN_ISO_Lb1ESQ_SR_ST_SU_SY_EESZ_S10_S11_S12_S16_S17_S18_S1B_S1C_jS1D_jS1E_S1E_jjS1G_bEUljE0_EEESZ_S10_S11_S18_S1C_S1E_T6_T7_T9_mT8_S1G_bDpT10_ENKUlT_T0_E_clISt17integral_constantIbLb0EES1U_EEDaS1P_S1Q_EUlS1P_E_NS1_11comp_targetILNS1_3genE2ELNS1_11target_archE906ELNS1_3gpuE6ELNS1_3repE0EEENS1_30default_config_static_selectorELNS0_4arch9wavefront6targetE1EEEvS12_,@function
_ZN7rocprim17ROCPRIM_400000_NS6detail17trampoline_kernelINS0_13select_configILj256ELj13ELNS0_17block_load_methodE3ELS4_3ELS4_3ELNS0_20block_scan_algorithmE0ELj4294967295EEENS1_25partition_config_selectorILNS1_17partition_subalgoE4EjNS0_10empty_typeEbEEZZNS1_14partition_implILS8_4ELb0ES6_15HIP_vector_typeIjLj2EENS0_17counting_iteratorIjlEEPS9_SG_NS0_5tupleIJPjSI_NS0_16reverse_iteratorISI_EEEEENSH_IJSG_SG_SG_EEES9_SI_JZNS1_25segmented_radix_sort_implINS0_14default_configELb1EPKsPsPKlPlN2at6native12_GLOBAL__N_18offset_tEEE10hipError_tPvRmT1_PNSt15iterator_traitsIS12_E10value_typeET2_T3_PNS13_IS18_E10value_typeET4_jRbjT5_S1E_jjP12ihipStream_tbEUljE_ZNSN_ISO_Lb1ESQ_SR_ST_SU_SY_EESZ_S10_S11_S12_S16_S17_S18_S1B_S1C_jS1D_jS1E_S1E_jjS1G_bEUljE0_EEESZ_S10_S11_S18_S1C_S1E_T6_T7_T9_mT8_S1G_bDpT10_ENKUlT_T0_E_clISt17integral_constantIbLb0EES1U_EEDaS1P_S1Q_EUlS1P_E_NS1_11comp_targetILNS1_3genE2ELNS1_11target_archE906ELNS1_3gpuE6ELNS1_3repE0EEENS1_30default_config_static_selectorELNS0_4arch9wavefront6targetE1EEEvS12_: ; @_ZN7rocprim17ROCPRIM_400000_NS6detail17trampoline_kernelINS0_13select_configILj256ELj13ELNS0_17block_load_methodE3ELS4_3ELS4_3ELNS0_20block_scan_algorithmE0ELj4294967295EEENS1_25partition_config_selectorILNS1_17partition_subalgoE4EjNS0_10empty_typeEbEEZZNS1_14partition_implILS8_4ELb0ES6_15HIP_vector_typeIjLj2EENS0_17counting_iteratorIjlEEPS9_SG_NS0_5tupleIJPjSI_NS0_16reverse_iteratorISI_EEEEENSH_IJSG_SG_SG_EEES9_SI_JZNS1_25segmented_radix_sort_implINS0_14default_configELb1EPKsPsPKlPlN2at6native12_GLOBAL__N_18offset_tEEE10hipError_tPvRmT1_PNSt15iterator_traitsIS12_E10value_typeET2_T3_PNS13_IS18_E10value_typeET4_jRbjT5_S1E_jjP12ihipStream_tbEUljE_ZNSN_ISO_Lb1ESQ_SR_ST_SU_SY_EESZ_S10_S11_S12_S16_S17_S18_S1B_S1C_jS1D_jS1E_S1E_jjS1G_bEUljE0_EEESZ_S10_S11_S18_S1C_S1E_T6_T7_T9_mT8_S1G_bDpT10_ENKUlT_T0_E_clISt17integral_constantIbLb0EES1U_EEDaS1P_S1Q_EUlS1P_E_NS1_11comp_targetILNS1_3genE2ELNS1_11target_archE906ELNS1_3gpuE6ELNS1_3repE0EEENS1_30default_config_static_selectorELNS0_4arch9wavefront6targetE1EEEvS12_
; %bb.0:
	s_load_dwordx2 s[0:1], s[4:5], 0x68
	s_load_dwordx4 s[44:47], s[4:5], 0x58
	s_load_dword s8, s[4:5], 0x8
	s_load_dwordx2 s[56:57], s[4:5], 0x10
	s_load_dword s7, s[4:5], 0x80
	s_load_dwordx2 s[58:59], s[4:5], 0xa8
	s_load_dwordx8 s[36:43], s[4:5], 0x88
	s_waitcnt lgkmcnt(0)
	s_load_dwordx4 s[48:51], s[46:47], 0x0
	s_mul_i32 s33, s6, 0xd00
	s_add_i32 s9, s7, -1
	s_mulk_i32 s7, 0xd00
	s_add_u32 s2, s56, s7
	s_addc_u32 s3, s57, 0
	v_mov_b32_e32 v1, s2
	v_mov_b32_e32 v2, s3
	s_cmp_eq_u32 s6, s9
	v_cmp_gt_u64_e32 vcc, s[0:1], v[1:2]
	s_cselect_b64 s[34:35], -1, 0
	s_cmp_lg_u32 s6, s9
	s_cselect_b64 s[2:3], -1, 0
	s_add_i32 s1, s8, s33
	s_or_b64 s[2:3], s[2:3], vcc
	s_add_i32 s1, s1, s56
	s_mov_b64 s[8:9], -1
	s_and_b64 vcc, exec, s[2:3]
	v_add_u32_e32 v1, s1, v0
	s_cbranch_vccz .LBB851_2
; %bb.1:
	v_add_u32_e32 v2, 0x100, v1
	v_lshlrev_b32_e32 v14, 2, v0
	v_add_u32_e32 v3, 0x200, v1
	v_add_u32_e32 v4, 0x300, v1
	;; [unrolled: 1-line block ×11, first 2 shown]
	ds_write2st64_b32 v14, v1, v2 offset1:4
	ds_write2st64_b32 v14, v3, v4 offset0:8 offset1:12
	ds_write2st64_b32 v14, v5, v6 offset0:16 offset1:20
	;; [unrolled: 1-line block ×5, first 2 shown]
	ds_write_b32 v14, v13 offset:12288
	s_waitcnt lgkmcnt(0)
	s_barrier
	s_mov_b64 s[8:9], 0
.LBB851_2:
	s_andn2_b64 vcc, exec, s[8:9]
	s_add_i32 s7, s7, s56
	s_cbranch_vccnz .LBB851_4
; %bb.3:
	v_add_u32_e32 v2, 0x100, v1
	v_lshlrev_b32_e32 v14, 2, v0
	v_add_u32_e32 v3, 0x200, v1
	v_add_u32_e32 v4, 0x300, v1
	;; [unrolled: 1-line block ×11, first 2 shown]
	ds_write2st64_b32 v14, v1, v2 offset1:4
	ds_write2st64_b32 v14, v3, v4 offset0:8 offset1:12
	ds_write2st64_b32 v14, v5, v6 offset0:16 offset1:20
	;; [unrolled: 1-line block ×5, first 2 shown]
	ds_write_b32 v14, v13 offset:12288
	s_waitcnt lgkmcnt(0)
	s_barrier
.LBB851_4:
	v_mul_u32_u24_e32 v30, 13, v0
	v_lshlrev_b32_e32 v1, 2, v30
	s_load_dwordx4 s[52:55], s[4:5], 0x28
	s_load_dwordx2 s[46:47], s[4:5], 0x38
	s_waitcnt lgkmcnt(0)
	ds_read_b32 v29, v1 offset:48
	ds_read2_b32 v[9:10], v1 offset0:10 offset1:11
	ds_read2_b32 v[11:12], v1 offset0:8 offset1:9
	;; [unrolled: 1-line block ×4, first 2 shown]
	ds_read2_b32 v[19:20], v1 offset1:1
	ds_read2_b32 v[17:18], v1 offset0:2 offset1:3
	v_cndmask_b32_e64 v1, 0, 1, s[2:3]
	s_sub_i32 s7, s0, s7
	v_cmp_ne_u32_e64 s[0:1], 1, v1
	s_andn2_b64 vcc, exec, s[2:3]
	s_waitcnt lgkmcnt(0)
	s_barrier
	s_cbranch_vccnz .LBB851_32
; %bb.5:
	v_add_u32_e32 v1, s37, v19
	v_add_u32_e32 v2, s39, v19
	v_mul_lo_u32 v1, v1, s36
	v_mul_lo_u32 v2, v2, s38
	s_mov_b64 s[62:63], 0
	s_mov_b64 s[60:61], 0
	v_sub_u32_e32 v1, v1, v2
	v_cmp_lt_u32_e32 vcc, s40, v1
	v_cmp_ge_u32_e64 s[2:3], s40, v1
	s_and_saveexec_b64 s[8:9], s[2:3]
	s_cbranch_execz .LBB851_7
; %bb.6:
	v_add_u32_e32 v1, s42, v19
	v_add_u32_e32 v2, s58, v19
	v_mul_lo_u32 v1, v1, s41
	v_mul_lo_u32 v2, v2, s43
	v_sub_u32_e32 v1, v1, v2
	v_cmp_lt_u32_e64 s[2:3], s59, v1
	s_and_b64 s[60:61], s[2:3], exec
.LBB851_7:
	s_or_b64 exec, exec, s[8:9]
	v_add_u32_e32 v1, s37, v20
	v_add_u32_e32 v2, s39, v20
	v_mul_lo_u32 v1, v1, s36
	v_mul_lo_u32 v2, v2, s38
	v_sub_u32_e32 v1, v1, v2
	v_cmp_lt_u32_e64 s[2:3], s40, v1
	v_cmp_ge_u32_e64 s[8:9], s40, v1
	s_and_saveexec_b64 s[10:11], s[8:9]
	s_cbranch_execz .LBB851_9
; %bb.8:
	v_add_u32_e32 v1, s42, v20
	v_add_u32_e32 v2, s58, v20
	v_mul_lo_u32 v1, v1, s41
	v_mul_lo_u32 v2, v2, s43
	v_sub_u32_e32 v1, v1, v2
	v_cmp_lt_u32_e64 s[8:9], s59, v1
	s_and_b64 s[62:63], s[8:9], exec
.LBB851_9:
	s_or_b64 exec, exec, s[10:11]
	v_add_u32_e32 v1, s37, v17
	v_add_u32_e32 v2, s39, v17
	v_mul_lo_u32 v1, v1, s36
	v_mul_lo_u32 v2, v2, s38
	s_mov_b64 s[66:67], 0
	s_mov_b64 s[64:65], 0
	v_sub_u32_e32 v1, v1, v2
	v_cmp_lt_u32_e64 s[28:29], s40, v1
	v_cmp_ge_u32_e64 s[8:9], s40, v1
	s_and_saveexec_b64 s[10:11], s[8:9]
	s_cbranch_execz .LBB851_11
; %bb.10:
	v_add_u32_e32 v1, s42, v17
	v_add_u32_e32 v2, s58, v17
	v_mul_lo_u32 v1, v1, s41
	v_mul_lo_u32 v2, v2, s43
	v_sub_u32_e32 v1, v1, v2
	v_cmp_lt_u32_e64 s[8:9], s59, v1
	s_and_b64 s[64:65], s[8:9], exec
.LBB851_11:
	s_or_b64 exec, exec, s[10:11]
	v_add_u32_e32 v1, s37, v18
	v_add_u32_e32 v2, s39, v18
	v_mul_lo_u32 v1, v1, s36
	v_mul_lo_u32 v2, v2, s38
	v_sub_u32_e32 v1, v1, v2
	v_cmp_lt_u32_e64 s[8:9], s40, v1
	v_cmp_ge_u32_e64 s[10:11], s40, v1
	s_and_saveexec_b64 s[12:13], s[10:11]
	s_cbranch_execz .LBB851_13
; %bb.12:
	v_add_u32_e32 v1, s42, v18
	v_add_u32_e32 v2, s58, v18
	v_mul_lo_u32 v1, v1, s41
	v_mul_lo_u32 v2, v2, s43
	v_sub_u32_e32 v1, v1, v2
	v_cmp_lt_u32_e64 s[10:11], s59, v1
	s_and_b64 s[66:67], s[10:11], exec
.LBB851_13:
	s_or_b64 exec, exec, s[12:13]
	v_add_u32_e32 v1, s37, v15
	v_add_u32_e32 v2, s39, v15
	v_mul_lo_u32 v1, v1, s36
	v_mul_lo_u32 v2, v2, s38
	s_mov_b64 s[70:71], 0
	s_mov_b64 s[68:69], 0
	v_sub_u32_e32 v1, v1, v2
	v_cmp_lt_u32_e64 s[10:11], s40, v1
	;; [unrolled: 40-line block ×6, first 2 shown]
	v_cmp_ge_u32_e64 s[30:31], s40, v1
	s_and_saveexec_b64 s[88:89], s[30:31]
	s_cbranch_execz .LBB851_31
; %bb.30:
	v_add_u32_e32 v1, s42, v29
	v_add_u32_e32 v2, s58, v29
	v_mul_lo_u32 v1, v1, s41
	v_mul_lo_u32 v2, v2, s43
	v_sub_u32_e32 v1, v1, v2
	v_cmp_lt_u32_e64 s[30:31], s59, v1
	s_and_b64 s[86:87], s[30:31], exec
.LBB851_31:
	s_or_b64 exec, exec, s[88:89]
	v_cndmask_b32_e64 v2, 0, 1, s[2:3]
	v_cndmask_b32_e64 v1, 0, 1, vcc
	v_cndmask_b32_e64 v4, 0, 1, s[8:9]
	v_lshlrev_b16_e32 v2, 8, v2
	v_cndmask_b32_e64 v3, 0, 1, s[28:29]
	v_or_b32_e32 v1, v1, v2
	v_lshlrev_b16_e32 v2, 8, v4
	v_cndmask_b32_e64 v6, 0, 1, s[12:13]
	v_cndmask_b32_e64 v8, 0, 1, s[16:17]
	v_or_b32_sdwa v2, v3, v2 dst_sel:WORD_1 dst_unused:UNUSED_PAD src0_sel:DWORD src1_sel:DWORD
	v_cndmask_b32_e64 v5, 0, 1, s[10:11]
	v_cndmask_b32_e64 v7, 0, 1, s[14:15]
	v_or_b32_sdwa v31, v1, v2 dst_sel:DWORD dst_unused:UNUSED_PAD src0_sel:WORD_0 src1_sel:DWORD
	v_lshlrev_b16_e32 v1, 8, v6
	v_lshlrev_b16_e32 v2, 8, v8
	v_cndmask_b32_e64 v22, 0, 1, s[20:21]
	v_cndmask_b32_e64 v25, 0, 1, s[24:25]
	v_or_b32_e32 v1, v5, v1
	v_or_b32_sdwa v2, v7, v2 dst_sel:WORD_1 dst_unused:UNUSED_PAD src0_sel:DWORD src1_sel:DWORD
	v_cndmask_b32_e64 v21, 0, 1, s[18:19]
	v_cndmask_b32_e64 v23, 0, 1, s[22:23]
	v_or_b32_sdwa v33, v1, v2 dst_sel:DWORD dst_unused:UNUSED_PAD src0_sel:WORD_0 src1_sel:DWORD
	v_lshlrev_b16_e32 v1, 8, v22
	v_lshlrev_b16_e32 v2, 8, v25
	v_cndmask_b32_e64 v37, 0, 1, s[64:65]
	v_cndmask_b32_e64 v42, 0, 1, s[60:61]
	v_or_b32_e32 v1, v21, v1
	v_or_b32_sdwa v2, v23, v2 dst_sel:WORD_1 dst_unused:UNUSED_PAD src0_sel:DWORD src1_sel:DWORD
	v_cndmask_b32_e64 v41, 0, 1, s[62:63]
	v_cndmask_b32_e64 v43, 0, 1, s[26:27]
	v_or_b32_sdwa v36, v1, v2 dst_sel:DWORD dst_unused:UNUSED_PAD src0_sel:WORD_0 src1_sel:DWORD
	v_lshlrev_b16_e32 v1, 8, v42
	v_lshlrev_b16_e32 v2, 8, v37
	v_cndmask_b32_e64 v32, 0, 1, s[72:73]
	v_cndmask_b32_e64 v39, 0, 1, s[68:69]
	v_or_b32_e32 v1, v43, v1
	v_or_b32_sdwa v2, v41, v2 dst_sel:WORD_1 dst_unused:UNUSED_PAD src0_sel:DWORD src1_sel:DWORD
	v_cndmask_b32_e64 v34, 0, 1, s[70:71]
	v_cndmask_b32_e64 v40, 0, 1, s[66:67]
	v_or_b32_sdwa v37, v1, v2 dst_sel:DWORD dst_unused:UNUSED_PAD src0_sel:WORD_0 src1_sel:DWORD
	v_lshlrev_b16_e32 v1, 8, v39
	v_lshlrev_b16_e32 v2, 8, v32
	v_cndmask_b32_e64 v24, 0, 1, s[84:85]
	v_cndmask_b32_e64 v27, 0, 1, s[76:77]
	v_or_b32_e32 v1, v40, v1
	v_or_b32_sdwa v2, v34, v2 dst_sel:WORD_1 dst_unused:UNUSED_PAD src0_sel:DWORD src1_sel:DWORD
	v_cndmask_b32_e64 v26, 0, 1, s[78:79]
	v_cndmask_b32_e64 v28, 0, 1, s[74:75]
	v_or_b32_sdwa v32, v1, v2 dst_sel:DWORD dst_unused:UNUSED_PAD src0_sel:WORD_0 src1_sel:DWORD
	v_lshlrev_b16_e32 v1, 8, v27
	v_lshlrev_b16_e32 v2, 8, v24
	v_or_b32_e32 v1, v28, v1
	v_or_b32_sdwa v2, v26, v2 dst_sel:WORD_1 dst_unused:UNUSED_PAD src0_sel:DWORD src1_sel:DWORD
	v_cndmask_b32_e64 v35, 0, 1, s[82:83]
	v_cndmask_b32_e64 v38, 0, 1, s[86:87]
	v_or_b32_sdwa v34, v1, v2 dst_sel:DWORD dst_unused:UNUSED_PAD src0_sel:WORD_0 src1_sel:DWORD
	s_load_dwordx2 s[12:13], s[4:5], 0x78
	s_add_i32 s18, s7, 0xd00
	s_and_b64 vcc, exec, s[80:81]
	s_cbranch_vccnz .LBB851_33
	s_branch .LBB851_110
.LBB851_32:
                                        ; implicit-def: $vgpr38
                                        ; implicit-def: $vgpr35
                                        ; implicit-def: $vgpr34
                                        ; implicit-def: $vgpr32
                                        ; implicit-def: $vgpr37
                                        ; implicit-def: $vgpr36
                                        ; implicit-def: $vgpr33
                                        ; implicit-def: $vgpr31
	s_load_dwordx2 s[12:13], s[4:5], 0x78
	s_add_i32 s18, s7, 0xd00
	s_cbranch_execz .LBB851_110
.LBB851_33:
	v_cmp_gt_u32_e32 vcc, s18, v30
	v_mov_b32_e32 v2, 0
	v_mov_b32_e32 v1, 0
	s_and_saveexec_b64 s[4:5], vcc
	s_cbranch_execz .LBB851_37
; %bb.34:
	v_add_u32_e32 v1, s37, v19
	v_add_u32_e32 v2, s39, v19
	v_mul_lo_u32 v1, v1, s36
	v_mul_lo_u32 v2, v2, s38
	s_mov_b64 s[10:11], 0
	v_sub_u32_e32 v1, v1, v2
	v_cmp_lt_u32_e32 vcc, s40, v1
	v_cmp_ge_u32_e64 s[2:3], s40, v1
	s_and_saveexec_b64 s[8:9], s[2:3]
	s_cbranch_execz .LBB851_36
; %bb.35:
	v_add_u32_e32 v1, s42, v19
	v_add_u32_e32 v2, s58, v19
	v_mul_lo_u32 v1, v1, s41
	v_mul_lo_u32 v2, v2, s43
	v_sub_u32_e32 v1, v1, v2
	v_cmp_lt_u32_e64 s[2:3], s59, v1
	s_and_b64 s[10:11], s[2:3], exec
.LBB851_36:
	s_or_b64 exec, exec, s[8:9]
	v_cndmask_b32_e64 v2, 0, 1, s[10:11]
	v_cndmask_b32_e64 v1, 0, 1, vcc
.LBB851_37:
	s_or_b64 exec, exec, s[4:5]
	v_lshlrev_b16_e32 v7, 8, v2
	v_add_u32_e32 v2, 1, v30
	v_cmp_le_u32_e32 vcc, s18, v2
	v_lshlrev_b16_e64 v4, 8, 0
                                        ; implicit-def: $vgpr3
                                        ; implicit-def: $vgpr5
                                        ; implicit-def: $vgpr6
                                        ; implicit-def: $vgpr2
                                        ; implicit-def: $vgpr8
	s_and_saveexec_b64 s[2:3], vcc
	s_xor_b64 s[2:3], exec, s[2:3]
; %bb.38:
	v_mov_b32_e32 v2, 8
	v_lshrrev_b32_sdwa v3, v2, v7 dst_sel:BYTE_1 dst_unused:UNUSED_PAD src0_sel:DWORD src1_sel:DWORD
	v_and_b32_e32 v8, 0xff, v1
	v_or_b32_sdwa v1, v7, v3 dst_sel:DWORD dst_unused:UNUSED_PAD src0_sel:BYTE_0 src1_sel:DWORD
	v_mov_b32_e32 v5, 0
	v_lshlrev_b16_e64 v4, 8, 0
	v_lshlrev_b16_e64 v2, 8, 0
	v_and_b32_e32 v6, 0xffff, v1
	v_lshlrev_b16_e64 v3, 8, 0
                                        ; implicit-def: $vgpr1
                                        ; implicit-def: $vgpr7
; %bb.39:
	s_andn2_saveexec_b64 s[4:5], s[2:3]
	s_cbranch_execz .LBB851_43
; %bb.40:
	v_add_u32_e32 v2, s37, v20
	v_add_u32_e32 v3, s39, v20
	v_mul_lo_u32 v2, v2, s36
	v_mul_lo_u32 v3, v3, s38
	s_mov_b64 s[8:9], 0
	v_sub_u32_e32 v2, v2, v3
	v_cmp_lt_u32_e32 vcc, s40, v2
	v_cmp_ge_u32_e64 s[2:3], s40, v2
	s_and_saveexec_b64 s[10:11], s[2:3]
	s_cbranch_execz .LBB851_42
; %bb.41:
	v_add_u32_e32 v2, s42, v20
	v_add_u32_e32 v3, s58, v20
	v_mul_lo_u32 v2, v2, s41
	v_mul_lo_u32 v3, v3, s43
	v_sub_u32_e32 v2, v2, v3
	v_cmp_lt_u32_e64 s[2:3], s59, v2
	s_and_b64 s[8:9], s[2:3], exec
.LBB851_42:
	s_or_b64 exec, exec, s[10:11]
	v_cndmask_b32_e64 v3, 0, 1, vcc
	v_lshlrev_b16_e32 v3, 8, v3
	v_or_b32_sdwa v1, v1, v3 dst_sel:DWORD dst_unused:UNUSED_PAD src0_sel:BYTE_0 src1_sel:DWORD
	v_and_b32_e32 v8, 0xffff, v1
	v_mov_b32_e32 v1, 8
	v_lshrrev_b32_sdwa v1, v1, v7 dst_sel:BYTE_1 dst_unused:UNUSED_PAD src0_sel:DWORD src1_sel:DWORD
	v_or_b32_sdwa v1, v7, v1 dst_sel:DWORD dst_unused:UNUSED_PAD src0_sel:BYTE_0 src1_sel:DWORD
	v_and_b32_e32 v1, 0xffff, v1
	v_cndmask_b32_e64 v3, 0, 1, s[8:9]
	v_mov_b32_e32 v2, 0
	v_mov_b32_e32 v5, 0
	v_lshl_or_b32 v6, v3, 16, v1
	v_lshlrev_b16_e64 v3, 8, 0
.LBB851_43:
	s_or_b64 exec, exec, s[4:5]
	v_add_u32_e32 v1, 2, v30
	v_cmp_le_u32_e32 vcc, s18, v1
	v_lshrrev_b32_e32 v21, 24, v8
                                        ; implicit-def: $vgpr1
                                        ; implicit-def: $vgpr7
	s_and_saveexec_b64 s[2:3], vcc
	s_xor_b64 s[2:3], exec, s[2:3]
	s_cbranch_execz .LBB851_45
; %bb.44:
	s_mov_b32 s4, 0x40c0100
	v_perm_b32 v7, v21, v8, s4
	v_mov_b32_e32 v8, 8
	v_lshrrev_b32_sdwa v8, v8, v7 dst_sel:BYTE_1 dst_unused:UNUSED_PAD src0_sel:DWORD src1_sel:DWORD
	v_or_b32_sdwa v8, v7, v8 dst_sel:DWORD dst_unused:UNUSED_PAD src0_sel:BYTE_0 src1_sel:DWORD
	v_and_b32_e32 v8, 0xffff, v8
	s_mov_b32 s4, 0xff000000
	v_and_or_b32 v7, v7, s4, v8
	s_mov_b32 s4, 0x3060504
	v_and_b32_e32 v1, 0xff0000, v6
	v_perm_b32 v4, v4, v4, s4
	s_mov_b32 s4, 0x3020504
	v_perm_b32 v1, v6, v1, s4
                                        ; implicit-def: $vgpr8
                                        ; implicit-def: $vgpr21
                                        ; implicit-def: $vgpr6
.LBB851_45:
	s_andn2_saveexec_b64 s[4:5], s[2:3]
	s_cbranch_execz .LBB851_49
; %bb.46:
	v_add_u32_e32 v1, s37, v17
	v_add_u32_e32 v7, s39, v17
	v_mul_lo_u32 v1, v1, s36
	v_mul_lo_u32 v7, v7, s38
	s_mov_b64 s[8:9], 0
	v_sub_u32_e32 v1, v1, v7
	v_cmp_lt_u32_e32 vcc, s40, v1
	v_cmp_ge_u32_e64 s[2:3], s40, v1
	s_and_saveexec_b64 s[10:11], s[2:3]
	s_cbranch_execz .LBB851_48
; %bb.47:
	v_add_u32_e32 v1, s42, v17
	v_add_u32_e32 v7, s58, v17
	v_mul_lo_u32 v1, v1, s41
	v_mul_lo_u32 v7, v7, s43
	v_sub_u32_e32 v1, v1, v7
	v_cmp_lt_u32_e64 s[2:3], s59, v1
	s_and_b64 s[8:9], s[2:3], exec
.LBB851_48:
	s_or_b64 exec, exec, s[10:11]
	v_mov_b32_e32 v23, 8
	v_lshrrev_b32_sdwa v7, v23, v8 dst_sel:BYTE_1 dst_unused:UNUSED_PAD src0_sel:DWORD src1_sel:DWORD
	v_cndmask_b32_e64 v1, 0, 1, vcc
	v_or_b32_sdwa v7, v8, v7 dst_sel:DWORD dst_unused:UNUSED_PAD src0_sel:BYTE_0 src1_sel:DWORD
	v_lshlrev_b16_e32 v8, 8, v21
	v_or_b32_sdwa v1, v1, v8 dst_sel:WORD_1 dst_unused:UNUSED_PAD src0_sel:DWORD src1_sel:DWORD
	v_cndmask_b32_e64 v22, 0, 1, s[8:9]
	s_movk_i32 s2, 0xff
	v_or_b32_sdwa v7, v7, v1 dst_sel:DWORD dst_unused:UNUSED_PAD src0_sel:WORD_0 src1_sel:DWORD
	v_lshrrev_b32_sdwa v1, v23, v6 dst_sel:BYTE_1 dst_unused:UNUSED_PAD src0_sel:DWORD src1_sel:DWORD
	v_or_b32_sdwa v1, v6, v1 dst_sel:DWORD dst_unused:UNUSED_PAD src0_sel:BYTE_0 src1_sel:DWORD
	v_lshlrev_b16_e32 v8, 8, v22
	v_and_b32_sdwa v6, v6, s2 dst_sel:DWORD dst_unused:UNUSED_PAD src0_sel:WORD_1 src1_sel:DWORD
	v_or_b32_sdwa v6, v6, v8 dst_sel:WORD_1 dst_unused:UNUSED_PAD src0_sel:DWORD src1_sel:DWORD
	v_or_b32_sdwa v1, v1, v6 dst_sel:DWORD dst_unused:UNUSED_PAD src0_sel:WORD_0 src1_sel:DWORD
.LBB851_49:
	s_or_b64 exec, exec, s[4:5]
	v_add_u32_e32 v6, 3, v30
	v_cmp_le_u32_e32 vcc, s18, v6
	v_lshrrev_b32_e32 v8, 24, v5
                                        ; implicit-def: $vgpr6
                                        ; implicit-def: $vgpr31
	s_and_saveexec_b64 s[2:3], vcc
	s_xor_b64 s[2:3], exec, s[2:3]
	s_cbranch_execz .LBB851_51
; %bb.50:
	v_and_b32_e32 v6, 0xff0000, v7
	s_mov_b32 s4, 0x3020504
	s_movk_i32 s5, 0xff
	v_perm_b32 v31, v7, v6, s4
	v_lshlrev_b16_e32 v6, 8, v8
	v_and_b32_sdwa v7, v5, s5 dst_sel:DWORD dst_unused:UNUSED_PAD src0_sel:WORD_1 src1_sel:DWORD
	s_mov_b32 s4, 0x3060504
	v_or_b32_sdwa v6, v7, v6 dst_sel:WORD_1 dst_unused:UNUSED_PAD src0_sel:DWORD src1_sel:DWORD
	v_mov_b32_e32 v7, 8
	v_perm_b32 v4, v4, v4, s4
	v_lshrrev_b32_sdwa v6, v7, v5 dst_sel:BYTE_1 dst_unused:UNUSED_PRESERVE src0_sel:DWORD src1_sel:DWORD
	v_perm_b32 v3, v3, v3, s4
                                        ; implicit-def: $vgpr7
                                        ; implicit-def: $vgpr8
                                        ; implicit-def: $vgpr5
.LBB851_51:
	s_andn2_saveexec_b64 s[4:5], s[2:3]
	s_cbranch_execz .LBB851_55
; %bb.52:
	v_add_u32_e32 v6, s37, v18
	v_add_u32_e32 v21, s39, v18
	v_mul_lo_u32 v6, v6, s36
	v_mul_lo_u32 v21, v21, s38
	s_mov_b64 s[8:9], 0
	v_sub_u32_e32 v6, v6, v21
	v_cmp_lt_u32_e32 vcc, s40, v6
	v_cmp_ge_u32_e64 s[2:3], s40, v6
	s_and_saveexec_b64 s[10:11], s[2:3]
	s_cbranch_execz .LBB851_54
; %bb.53:
	v_add_u32_e32 v6, s42, v18
	v_add_u32_e32 v21, s58, v18
	v_mul_lo_u32 v6, v6, s41
	v_mul_lo_u32 v21, v21, s43
	v_sub_u32_e32 v6, v6, v21
	v_cmp_lt_u32_e64 s[2:3], s59, v6
	s_and_b64 s[8:9], s[2:3], exec
.LBB851_54:
	s_or_b64 exec, exec, s[10:11]
	v_mov_b32_e32 v22, 8
	v_cndmask_b32_e64 v6, 0, 1, vcc
	s_movk_i32 s2, 0xff
	v_lshrrev_b32_sdwa v23, v22, v7 dst_sel:BYTE_1 dst_unused:UNUSED_PAD src0_sel:DWORD src1_sel:DWORD
	v_or_b32_sdwa v23, v7, v23 dst_sel:DWORD dst_unused:UNUSED_PAD src0_sel:BYTE_0 src1_sel:DWORD
	v_lshlrev_b16_e32 v6, 8, v6
	v_and_b32_sdwa v7, v7, s2 dst_sel:DWORD dst_unused:UNUSED_PAD src0_sel:WORD_1 src1_sel:DWORD
	v_or_b32_sdwa v6, v7, v6 dst_sel:WORD_1 dst_unused:UNUSED_PAD src0_sel:DWORD src1_sel:DWORD
	v_cndmask_b32_e64 v21, 0, 1, s[8:9]
	v_or_b32_sdwa v31, v23, v6 dst_sel:DWORD dst_unused:UNUSED_PAD src0_sel:WORD_0 src1_sel:DWORD
	v_lshlrev_b16_e32 v6, 8, v8
	v_and_b32_sdwa v7, v5, s2 dst_sel:DWORD dst_unused:UNUSED_PAD src0_sel:WORD_1 src1_sel:DWORD
	v_lshrrev_b32_sdwa v5, v22, v5 dst_sel:BYTE_1 dst_unused:UNUSED_PAD src0_sel:DWORD src1_sel:DWORD
	v_or_b32_sdwa v6, v7, v6 dst_sel:WORD_1 dst_unused:UNUSED_PAD src0_sel:DWORD src1_sel:DWORD
	v_or_b32_e32 v5, v21, v5
	v_or_b32_sdwa v6, v5, v6 dst_sel:DWORD dst_unused:UNUSED_PAD src0_sel:WORD_0 src1_sel:DWORD
.LBB851_55:
	s_or_b64 exec, exec, s[4:5]
	v_add_u32_e32 v5, 4, v30
	v_cmp_le_u32_e32 vcc, s18, v5
	v_lshrrev_b32_e32 v21, 24, v4
	v_lshrrev_b32_e32 v8, 24, v6
                                        ; implicit-def: $vgpr7
                                        ; implicit-def: $vgpr5
	s_and_saveexec_b64 s[2:3], vcc
	s_xor_b64 s[2:3], exec, s[2:3]
	s_cbranch_execz .LBB851_57
; %bb.56:
	s_movk_i32 s4, 0xff
	v_lshlrev_b16_e32 v5, 8, v21
	v_and_b32_sdwa v21, v4, s4 dst_sel:DWORD dst_unused:UNUSED_PAD src0_sel:WORD_1 src1_sel:DWORD
	v_mov_b32_e32 v7, 8
	v_or_b32_sdwa v5, v21, v5 dst_sel:WORD_1 dst_unused:UNUSED_PAD src0_sel:DWORD src1_sel:DWORD
	v_lshrrev_b32_sdwa v5, v7, v4 dst_sel:BYTE_1 dst_unused:UNUSED_PRESERVE src0_sel:DWORD src1_sel:DWORD
	v_lshlrev_b16_e32 v4, 8, v8
	v_and_b32_sdwa v7, v6, s4 dst_sel:DWORD dst_unused:UNUSED_PAD src0_sel:WORD_1 src1_sel:DWORD
	v_or_b32_e32 v4, v7, v4
	s_mov_b32 s4, 0x5040c00
	v_perm_b32 v7, v4, v6, s4
	s_mov_b32 s4, 0x3060504
	v_perm_b32 v3, v3, v3, s4
                                        ; implicit-def: $vgpr21
                                        ; implicit-def: $vgpr4
                                        ; implicit-def: $vgpr6
                                        ; implicit-def: $vgpr8
.LBB851_57:
	s_andn2_saveexec_b64 s[4:5], s[2:3]
	s_cbranch_execz .LBB851_61
; %bb.58:
	v_add_u32_e32 v5, s37, v15
	v_add_u32_e32 v7, s39, v15
	v_mul_lo_u32 v5, v5, s36
	v_mul_lo_u32 v7, v7, s38
	s_mov_b64 s[8:9], 0
	v_sub_u32_e32 v5, v5, v7
	v_cmp_lt_u32_e32 vcc, s40, v5
	v_cmp_ge_u32_e64 s[2:3], s40, v5
	s_and_saveexec_b64 s[10:11], s[2:3]
	s_cbranch_execz .LBB851_60
; %bb.59:
	v_add_u32_e32 v5, s42, v15
	v_add_u32_e32 v7, s58, v15
	v_mul_lo_u32 v5, v5, s41
	v_mul_lo_u32 v7, v7, s43
	v_sub_u32_e32 v5, v5, v7
	v_cmp_lt_u32_e64 s[2:3], s59, v5
	s_and_b64 s[8:9], s[2:3], exec
.LBB851_60:
	s_or_b64 exec, exec, s[10:11]
	s_movk_i32 s2, 0xff
	v_lshlrev_b16_e32 v21, 8, v21
	v_and_b32_sdwa v22, v4, s2 dst_sel:DWORD dst_unused:UNUSED_PAD src0_sel:WORD_1 src1_sel:DWORD
	v_or_b32_sdwa v21, v22, v21 dst_sel:WORD_1 dst_unused:UNUSED_PAD src0_sel:DWORD src1_sel:DWORD
	v_mov_b32_e32 v22, 8
	v_cndmask_b32_e64 v5, 0, 1, vcc
	v_lshrrev_b32_sdwa v4, v22, v4 dst_sel:BYTE_1 dst_unused:UNUSED_PAD src0_sel:DWORD src1_sel:DWORD
	v_cndmask_b32_e64 v7, 0, 1, s[8:9]
	v_or_b32_e32 v4, v5, v4
	v_or_b32_sdwa v5, v4, v21 dst_sel:DWORD dst_unused:UNUSED_PAD src0_sel:WORD_0 src1_sel:DWORD
	v_lshlrev_b16_e32 v4, 8, v7
	v_or_b32_sdwa v4, v6, v4 dst_sel:DWORD dst_unused:UNUSED_PAD src0_sel:BYTE_0 src1_sel:DWORD
	v_lshlrev_b16_e32 v7, 8, v8
	v_and_b32_sdwa v6, v6, s2 dst_sel:DWORD dst_unused:UNUSED_PAD src0_sel:WORD_1 src1_sel:DWORD
	v_or_b32_sdwa v6, v6, v7 dst_sel:WORD_1 dst_unused:UNUSED_PAD src0_sel:DWORD src1_sel:DWORD
	v_or_b32_sdwa v7, v4, v6 dst_sel:DWORD dst_unused:UNUSED_PAD src0_sel:WORD_0 src1_sel:DWORD
.LBB851_61:
	s_or_b64 exec, exec, s[4:5]
	v_add_u32_e32 v4, 5, v30
	v_cmp_le_u32_e32 vcc, s18, v4
	v_lshrrev_b32_e32 v8, 24, v7
	v_lshrrev_b32_e32 v21, 24, v5
                                        ; implicit-def: $vgpr4
                                        ; implicit-def: $vgpr6
	s_and_saveexec_b64 s[2:3], vcc
	s_xor_b64 s[2:3], exec, s[2:3]
	s_cbranch_execz .LBB851_63
; %bb.62:
	s_mov_b32 s4, 0x40c0100
	v_perm_b32 v4, v8, v7, s4
	s_movk_i32 s4, 0xff
	v_lshlrev_b16_e32 v6, 8, v21
	v_and_b32_sdwa v7, v5, s4 dst_sel:DWORD dst_unused:UNUSED_PAD src0_sel:WORD_1 src1_sel:DWORD
	v_or_b32_e32 v6, v7, v6
	s_mov_b32 s4, 0x5040c00
	v_perm_b32 v6, v6, v5, s4
	v_mov_b32_e32 v5, 8
	v_lshrrev_b32_sdwa v5, v5, v4 dst_sel:BYTE_1 dst_unused:UNUSED_PAD src0_sel:DWORD src1_sel:DWORD
	v_or_b32_sdwa v5, v4, v5 dst_sel:DWORD dst_unused:UNUSED_PAD src0_sel:BYTE_0 src1_sel:DWORD
	v_and_b32_e32 v5, 0xffff, v5
	s_mov_b32 s4, 0xff000000
	v_and_or_b32 v4, v4, s4, v5
	s_mov_b32 s4, 0x3060504
	v_perm_b32 v3, v3, v3, s4
                                        ; implicit-def: $vgpr5
                                        ; implicit-def: $vgpr21
                                        ; implicit-def: $vgpr7
                                        ; implicit-def: $vgpr8
.LBB851_63:
	s_andn2_saveexec_b64 s[4:5], s[2:3]
	s_cbranch_execz .LBB851_67
; %bb.64:
	v_add_u32_e32 v4, s37, v16
	v_add_u32_e32 v6, s39, v16
	v_mul_lo_u32 v4, v4, s36
	v_mul_lo_u32 v6, v6, s38
	s_mov_b64 s[8:9], 0
	v_sub_u32_e32 v4, v4, v6
	v_cmp_lt_u32_e32 vcc, s40, v4
	v_cmp_ge_u32_e64 s[2:3], s40, v4
	s_and_saveexec_b64 s[10:11], s[2:3]
	s_cbranch_execz .LBB851_66
; %bb.65:
	v_add_u32_e32 v4, s42, v16
	v_add_u32_e32 v6, s58, v16
	v_mul_lo_u32 v4, v4, s41
	v_mul_lo_u32 v6, v6, s43
	v_sub_u32_e32 v4, v4, v6
	v_cmp_lt_u32_e64 s[2:3], s59, v4
	s_and_b64 s[8:9], s[2:3], exec
.LBB851_66:
	s_or_b64 exec, exec, s[10:11]
	v_cndmask_b32_e64 v4, 0, 1, vcc
	v_lshlrev_b16_e32 v4, 8, v4
	s_movk_i32 s2, 0xff
	v_or_b32_sdwa v4, v5, v4 dst_sel:DWORD dst_unused:UNUSED_PAD src0_sel:BYTE_0 src1_sel:DWORD
	v_lshlrev_b16_e32 v6, 8, v21
	v_and_b32_sdwa v5, v5, s2 dst_sel:DWORD dst_unused:UNUSED_PAD src0_sel:WORD_1 src1_sel:DWORD
	v_or_b32_sdwa v5, v5, v6 dst_sel:WORD_1 dst_unused:UNUSED_PAD src0_sel:DWORD src1_sel:DWORD
	v_or_b32_sdwa v6, v4, v5 dst_sel:DWORD dst_unused:UNUSED_PAD src0_sel:WORD_0 src1_sel:DWORD
	v_mov_b32_e32 v4, 8
	v_cndmask_b32_e64 v22, 0, 1, s[8:9]
	v_lshrrev_b32_sdwa v4, v4, v7 dst_sel:BYTE_1 dst_unused:UNUSED_PAD src0_sel:DWORD src1_sel:DWORD
	v_lshlrev_b16_e32 v5, 8, v8
	v_or_b32_sdwa v4, v7, v4 dst_sel:DWORD dst_unused:UNUSED_PAD src0_sel:BYTE_0 src1_sel:DWORD
	v_or_b32_sdwa v5, v22, v5 dst_sel:WORD_1 dst_unused:UNUSED_PAD src0_sel:DWORD src1_sel:DWORD
	v_or_b32_sdwa v4, v4, v5 dst_sel:DWORD dst_unused:UNUSED_PAD src0_sel:WORD_0 src1_sel:DWORD
.LBB851_67:
	s_or_b64 exec, exec, s[4:5]
	v_add_u32_e32 v5, 6, v30
	v_cmp_le_u32_e32 vcc, s18, v5
	v_lshrrev_b32_e32 v7, 24, v6
                                        ; implicit-def: $vgpr32
                                        ; implicit-def: $vgpr5
	s_and_saveexec_b64 s[2:3], vcc
	s_xor_b64 s[2:3], exec, s[2:3]
	s_cbranch_execz .LBB851_69
; %bb.68:
	s_mov_b32 s4, 0x40c0100
	v_perm_b32 v5, v7, v6, s4
	v_mov_b32_e32 v6, 8
	v_lshrrev_b32_sdwa v6, v6, v5 dst_sel:BYTE_1 dst_unused:UNUSED_PAD src0_sel:DWORD src1_sel:DWORD
	v_or_b32_sdwa v6, v5, v6 dst_sel:DWORD dst_unused:UNUSED_PAD src0_sel:BYTE_0 src1_sel:DWORD
	v_and_b32_e32 v6, 0xffff, v6
	s_mov_b32 s4, 0xff000000
	v_and_b32_e32 v8, 0xff0000, v4
	v_and_or_b32 v5, v5, s4, v6
	s_mov_b32 s4, 0x3020504
	v_perm_b32 v32, v4, v8, s4
	s_mov_b32 s4, 0x3060504
	v_perm_b32 v3, v3, v3, s4
                                        ; implicit-def: $vgpr6
                                        ; implicit-def: $vgpr7
                                        ; implicit-def: $vgpr4
.LBB851_69:
	s_andn2_saveexec_b64 s[4:5], s[2:3]
	s_cbranch_execz .LBB851_73
; %bb.70:
	v_add_u32_e32 v5, s37, v13
	v_add_u32_e32 v8, s39, v13
	v_mul_lo_u32 v5, v5, s36
	v_mul_lo_u32 v8, v8, s38
	s_mov_b64 s[8:9], 0
	v_sub_u32_e32 v5, v5, v8
	v_cmp_lt_u32_e32 vcc, s40, v5
	v_cmp_ge_u32_e64 s[2:3], s40, v5
	s_and_saveexec_b64 s[10:11], s[2:3]
	s_cbranch_execz .LBB851_72
; %bb.71:
	v_add_u32_e32 v5, s42, v13
	v_add_u32_e32 v8, s58, v13
	v_mul_lo_u32 v5, v5, s41
	v_mul_lo_u32 v8, v8, s43
	v_sub_u32_e32 v5, v5, v8
	v_cmp_lt_u32_e64 s[2:3], s59, v5
	s_and_b64 s[8:9], s[2:3], exec
.LBB851_72:
	s_or_b64 exec, exec, s[10:11]
	v_mov_b32_e32 v21, 8
	v_cndmask_b32_e64 v5, 0, 1, vcc
	v_lshrrev_b32_sdwa v22, v21, v6 dst_sel:BYTE_1 dst_unused:UNUSED_PAD src0_sel:DWORD src1_sel:DWORD
	v_lshlrev_b16_e32 v7, 8, v7
	v_or_b32_sdwa v6, v6, v22 dst_sel:DWORD dst_unused:UNUSED_PAD src0_sel:BYTE_0 src1_sel:DWORD
	v_or_b32_sdwa v5, v5, v7 dst_sel:WORD_1 dst_unused:UNUSED_PAD src0_sel:DWORD src1_sel:DWORD
	v_cndmask_b32_e64 v8, 0, 1, s[8:9]
	s_movk_i32 s2, 0xff
	v_or_b32_sdwa v5, v6, v5 dst_sel:DWORD dst_unused:UNUSED_PAD src0_sel:WORD_0 src1_sel:DWORD
	v_lshrrev_b32_sdwa v6, v21, v4 dst_sel:BYTE_1 dst_unused:UNUSED_PAD src0_sel:DWORD src1_sel:DWORD
	v_or_b32_sdwa v6, v4, v6 dst_sel:DWORD dst_unused:UNUSED_PAD src0_sel:BYTE_0 src1_sel:DWORD
	v_lshlrev_b16_e32 v7, 8, v8
	v_and_b32_sdwa v4, v4, s2 dst_sel:DWORD dst_unused:UNUSED_PAD src0_sel:WORD_1 src1_sel:DWORD
	v_or_b32_sdwa v4, v4, v7 dst_sel:WORD_1 dst_unused:UNUSED_PAD src0_sel:DWORD src1_sel:DWORD
	v_or_b32_sdwa v32, v6, v4 dst_sel:DWORD dst_unused:UNUSED_PAD src0_sel:WORD_0 src1_sel:DWORD
.LBB851_73:
	s_or_b64 exec, exec, s[4:5]
	v_add_u32_e32 v4, 7, v30
	v_cmp_le_u32_e32 vcc, s18, v4
	v_lshrrev_b32_e32 v6, 24, v3
                                        ; implicit-def: $vgpr4
                                        ; implicit-def: $vgpr33
	s_and_saveexec_b64 s[2:3], vcc
	s_xor_b64 s[2:3], exec, s[2:3]
; %bb.74:
	v_and_b32_e32 v4, 0xff0000, v5
	s_mov_b32 s4, 0x3020504
	v_perm_b32 v33, v5, v4, s4
	s_movk_i32 s4, 0xff
	v_lshlrev_b16_e32 v4, 8, v6
	v_and_b32_sdwa v5, v3, s4 dst_sel:DWORD dst_unused:UNUSED_PAD src0_sel:WORD_1 src1_sel:DWORD
	v_mov_b32_e32 v7, 8
	v_or_b32_sdwa v4, v5, v4 dst_sel:WORD_1 dst_unused:UNUSED_PAD src0_sel:DWORD src1_sel:DWORD
	v_lshrrev_b32_sdwa v4, v7, v3 dst_sel:BYTE_1 dst_unused:UNUSED_PRESERVE src0_sel:DWORD src1_sel:DWORD
                                        ; implicit-def: $vgpr5
                                        ; implicit-def: $vgpr6
                                        ; implicit-def: $vgpr3
; %bb.75:
	s_andn2_saveexec_b64 s[4:5], s[2:3]
	s_cbranch_execz .LBB851_79
; %bb.76:
	v_add_u32_e32 v4, s37, v14
	v_add_u32_e32 v7, s39, v14
	v_mul_lo_u32 v4, v4, s36
	v_mul_lo_u32 v7, v7, s38
	s_mov_b64 s[8:9], 0
	v_sub_u32_e32 v4, v4, v7
	v_cmp_lt_u32_e32 vcc, s40, v4
	v_cmp_ge_u32_e64 s[2:3], s40, v4
	s_and_saveexec_b64 s[10:11], s[2:3]
	s_cbranch_execz .LBB851_78
; %bb.77:
	v_add_u32_e32 v4, s42, v14
	v_add_u32_e32 v7, s58, v14
	v_mul_lo_u32 v4, v4, s41
	v_mul_lo_u32 v7, v7, s43
	v_sub_u32_e32 v4, v4, v7
	v_cmp_lt_u32_e64 s[2:3], s59, v4
	s_and_b64 s[8:9], s[2:3], exec
.LBB851_78:
	s_or_b64 exec, exec, s[10:11]
	v_mov_b32_e32 v8, 8
	v_cndmask_b32_e64 v4, 0, 1, vcc
	s_movk_i32 s2, 0xff
	v_lshrrev_b32_sdwa v21, v8, v5 dst_sel:BYTE_1 dst_unused:UNUSED_PAD src0_sel:DWORD src1_sel:DWORD
	v_or_b32_sdwa v21, v5, v21 dst_sel:DWORD dst_unused:UNUSED_PAD src0_sel:BYTE_0 src1_sel:DWORD
	v_lshlrev_b16_e32 v4, 8, v4
	v_and_b32_sdwa v5, v5, s2 dst_sel:DWORD dst_unused:UNUSED_PAD src0_sel:WORD_1 src1_sel:DWORD
	v_or_b32_sdwa v4, v5, v4 dst_sel:WORD_1 dst_unused:UNUSED_PAD src0_sel:DWORD src1_sel:DWORD
	v_cndmask_b32_e64 v7, 0, 1, s[8:9]
	v_or_b32_sdwa v33, v21, v4 dst_sel:DWORD dst_unused:UNUSED_PAD src0_sel:WORD_0 src1_sel:DWORD
	v_lshlrev_b16_e32 v4, 8, v6
	v_and_b32_sdwa v5, v3, s2 dst_sel:DWORD dst_unused:UNUSED_PAD src0_sel:WORD_1 src1_sel:DWORD
	v_lshrrev_b32_sdwa v3, v8, v3 dst_sel:BYTE_1 dst_unused:UNUSED_PAD src0_sel:DWORD src1_sel:DWORD
	v_or_b32_sdwa v4, v5, v4 dst_sel:WORD_1 dst_unused:UNUSED_PAD src0_sel:DWORD src1_sel:DWORD
	v_or_b32_e32 v3, v7, v3
	v_or_b32_sdwa v4, v3, v4 dst_sel:DWORD dst_unused:UNUSED_PAD src0_sel:WORD_0 src1_sel:DWORD
.LBB851_79:
	s_or_b64 exec, exec, s[4:5]
	v_add_u32_e32 v3, 8, v30
	v_cmp_le_u32_e32 vcc, s18, v3
	v_lshrrev_b32_e32 v6, 24, v4
	v_lshrrev_b32_e32 v7, 24, v2
                                        ; implicit-def: $vgpr5
                                        ; implicit-def: $vgpr3
	s_and_saveexec_b64 s[2:3], vcc
	s_xor_b64 s[2:3], exec, s[2:3]
	s_cbranch_execz .LBB851_81
; %bb.80:
	s_movk_i32 s4, 0xff
	v_lshlrev_b16_e32 v3, 8, v7
	v_and_b32_sdwa v5, v2, s4 dst_sel:DWORD dst_unused:UNUSED_PAD src0_sel:WORD_1 src1_sel:DWORD
	v_or_b32_sdwa v3, v5, v3 dst_sel:WORD_1 dst_unused:UNUSED_PAD src0_sel:DWORD src1_sel:DWORD
	v_mov_b32_e32 v5, 8
	v_lshrrev_b32_sdwa v3, v5, v2 dst_sel:BYTE_1 dst_unused:UNUSED_PRESERVE src0_sel:DWORD src1_sel:DWORD
	v_lshlrev_b16_e32 v2, 8, v6
	v_and_b32_sdwa v5, v4, s4 dst_sel:DWORD dst_unused:UNUSED_PAD src0_sel:WORD_1 src1_sel:DWORD
	s_mov_b32 s5, 0x3060504
	v_or_b32_e32 v2, v5, v2
	s_mov_b32 s4, 0x5040c00
	v_perm_b32 v1, v1, v1, s5
	v_perm_b32 v5, v2, v4, s4
                                        ; implicit-def: $vgpr7
                                        ; implicit-def: $vgpr2
                                        ; implicit-def: $vgpr4
                                        ; implicit-def: $vgpr6
.LBB851_81:
	s_andn2_saveexec_b64 s[4:5], s[2:3]
	s_cbranch_execz .LBB851_85
; %bb.82:
	v_add_u32_e32 v3, s37, v11
	v_add_u32_e32 v5, s39, v11
	v_mul_lo_u32 v3, v3, s36
	v_mul_lo_u32 v5, v5, s38
	s_mov_b64 s[8:9], 0
	v_sub_u32_e32 v3, v3, v5
	v_cmp_lt_u32_e32 vcc, s40, v3
	v_cmp_ge_u32_e64 s[2:3], s40, v3
	s_and_saveexec_b64 s[10:11], s[2:3]
	s_cbranch_execz .LBB851_84
; %bb.83:
	v_add_u32_e32 v3, s42, v11
	v_add_u32_e32 v5, s58, v11
	v_mul_lo_u32 v3, v3, s41
	v_mul_lo_u32 v5, v5, s43
	v_sub_u32_e32 v3, v3, v5
	v_cmp_lt_u32_e64 s[2:3], s59, v3
	s_and_b64 s[8:9], s[2:3], exec
.LBB851_84:
	s_or_b64 exec, exec, s[10:11]
	s_movk_i32 s2, 0xff
	v_lshlrev_b16_e32 v7, 8, v7
	v_and_b32_sdwa v8, v2, s2 dst_sel:DWORD dst_unused:UNUSED_PAD src0_sel:WORD_1 src1_sel:DWORD
	v_or_b32_sdwa v7, v8, v7 dst_sel:WORD_1 dst_unused:UNUSED_PAD src0_sel:DWORD src1_sel:DWORD
	v_mov_b32_e32 v8, 8
	v_cndmask_b32_e64 v3, 0, 1, vcc
	v_lshrrev_b32_sdwa v2, v8, v2 dst_sel:BYTE_1 dst_unused:UNUSED_PAD src0_sel:DWORD src1_sel:DWORD
	v_cndmask_b32_e64 v5, 0, 1, s[8:9]
	v_or_b32_e32 v2, v3, v2
	v_or_b32_sdwa v3, v2, v7 dst_sel:DWORD dst_unused:UNUSED_PAD src0_sel:WORD_0 src1_sel:DWORD
	v_lshlrev_b16_e32 v2, 8, v5
	v_or_b32_sdwa v2, v4, v2 dst_sel:DWORD dst_unused:UNUSED_PAD src0_sel:BYTE_0 src1_sel:DWORD
	v_lshlrev_b16_e32 v5, 8, v6
	v_and_b32_sdwa v4, v4, s2 dst_sel:DWORD dst_unused:UNUSED_PAD src0_sel:WORD_1 src1_sel:DWORD
	v_or_b32_sdwa v4, v4, v5 dst_sel:WORD_1 dst_unused:UNUSED_PAD src0_sel:DWORD src1_sel:DWORD
	v_or_b32_sdwa v5, v2, v4 dst_sel:DWORD dst_unused:UNUSED_PAD src0_sel:WORD_0 src1_sel:DWORD
.LBB851_85:
	s_or_b64 exec, exec, s[4:5]
	v_add_u32_e32 v2, 9, v30
	v_cmp_le_u32_e32 vcc, s18, v2
	v_lshrrev_b32_e32 v6, 24, v5
	v_lshrrev_b32_e32 v7, 24, v3
                                        ; implicit-def: $vgpr2
                                        ; implicit-def: $vgpr4
	s_and_saveexec_b64 s[2:3], vcc
	s_xor_b64 s[2:3], exec, s[2:3]
	s_cbranch_execz .LBB851_87
; %bb.86:
	s_mov_b32 s4, 0x40c0100
	v_perm_b32 v2, v6, v5, s4
	v_mov_b32_e32 v4, 8
	s_movk_i32 s4, 0xff
	v_lshrrev_b32_sdwa v5, v4, v2 dst_sel:BYTE_1 dst_unused:UNUSED_PAD src0_sel:DWORD src1_sel:DWORD
	v_lshlrev_b16_e32 v4, 8, v7
	v_and_b32_sdwa v6, v3, s4 dst_sel:DWORD dst_unused:UNUSED_PAD src0_sel:WORD_1 src1_sel:DWORD
	v_or_b32_e32 v4, v6, v4
	s_mov_b32 s4, 0x5040c00
	v_perm_b32 v4, v4, v3, s4
	s_mov_b32 s4, 0x3060504
	v_or_b32_sdwa v3, v2, v5 dst_sel:DWORD dst_unused:UNUSED_PAD src0_sel:BYTE_0 src1_sel:DWORD
	v_perm_b32 v1, v1, v1, s4
	v_and_b32_e32 v3, 0xffff, v3
	s_mov_b32 s4, 0xff000000
	v_and_or_b32 v2, v2, s4, v3
                                        ; implicit-def: $vgpr3
                                        ; implicit-def: $vgpr7
                                        ; implicit-def: $vgpr5
                                        ; implicit-def: $vgpr6
.LBB851_87:
	s_andn2_saveexec_b64 s[4:5], s[2:3]
	s_cbranch_execz .LBB851_91
; %bb.88:
	v_add_u32_e32 v2, s37, v12
	v_add_u32_e32 v4, s39, v12
	v_mul_lo_u32 v2, v2, s36
	v_mul_lo_u32 v4, v4, s38
	s_mov_b64 s[8:9], 0
	v_sub_u32_e32 v2, v2, v4
	v_cmp_lt_u32_e32 vcc, s40, v2
	v_cmp_ge_u32_e64 s[2:3], s40, v2
	s_and_saveexec_b64 s[10:11], s[2:3]
	s_cbranch_execz .LBB851_90
; %bb.89:
	v_add_u32_e32 v2, s42, v12
	v_add_u32_e32 v4, s58, v12
	v_mul_lo_u32 v2, v2, s41
	v_mul_lo_u32 v4, v4, s43
	v_sub_u32_e32 v2, v2, v4
	v_cmp_lt_u32_e64 s[2:3], s59, v2
	s_and_b64 s[8:9], s[2:3], exec
.LBB851_90:
	s_or_b64 exec, exec, s[10:11]
	v_cndmask_b32_e64 v2, 0, 1, vcc
	v_lshlrev_b16_e32 v2, 8, v2
	s_movk_i32 s2, 0xff
	v_or_b32_sdwa v2, v3, v2 dst_sel:DWORD dst_unused:UNUSED_PAD src0_sel:BYTE_0 src1_sel:DWORD
	v_lshlrev_b16_e32 v4, 8, v7
	v_and_b32_sdwa v3, v3, s2 dst_sel:DWORD dst_unused:UNUSED_PAD src0_sel:WORD_1 src1_sel:DWORD
	v_or_b32_sdwa v3, v3, v4 dst_sel:WORD_1 dst_unused:UNUSED_PAD src0_sel:DWORD src1_sel:DWORD
	v_or_b32_sdwa v4, v2, v3 dst_sel:DWORD dst_unused:UNUSED_PAD src0_sel:WORD_0 src1_sel:DWORD
	v_mov_b32_e32 v2, 8
	v_cndmask_b32_e64 v8, 0, 1, s[8:9]
	v_lshrrev_b32_sdwa v2, v2, v5 dst_sel:BYTE_1 dst_unused:UNUSED_PAD src0_sel:DWORD src1_sel:DWORD
	v_lshlrev_b16_e32 v3, 8, v6
	v_or_b32_sdwa v2, v5, v2 dst_sel:DWORD dst_unused:UNUSED_PAD src0_sel:BYTE_0 src1_sel:DWORD
	v_or_b32_sdwa v3, v8, v3 dst_sel:WORD_1 dst_unused:UNUSED_PAD src0_sel:DWORD src1_sel:DWORD
	v_or_b32_sdwa v2, v2, v3 dst_sel:DWORD dst_unused:UNUSED_PAD src0_sel:WORD_0 src1_sel:DWORD
.LBB851_91:
	s_or_b64 exec, exec, s[4:5]
	v_add_u32_e32 v3, 10, v30
	v_cmp_le_u32_e32 vcc, s18, v3
	v_lshrrev_b32_e32 v5, 24, v4
                                        ; implicit-def: $vgpr34
                                        ; implicit-def: $vgpr3
	s_and_saveexec_b64 s[2:3], vcc
	s_xor_b64 s[2:3], exec, s[2:3]
	s_cbranch_execz .LBB851_93
; %bb.92:
	s_mov_b32 s4, 0x40c0100
	v_perm_b32 v3, v5, v4, s4
	v_mov_b32_e32 v4, 8
	v_lshrrev_b32_sdwa v4, v4, v3 dst_sel:BYTE_1 dst_unused:UNUSED_PAD src0_sel:DWORD src1_sel:DWORD
	v_or_b32_sdwa v4, v3, v4 dst_sel:DWORD dst_unused:UNUSED_PAD src0_sel:BYTE_0 src1_sel:DWORD
	v_and_b32_e32 v4, 0xffff, v4
	s_mov_b32 s4, 0xff000000
	v_and_or_b32 v3, v3, s4, v4
	s_mov_b32 s4, 0x3060504
	v_and_b32_e32 v6, 0xff0000, v2
	v_perm_b32 v1, v1, v1, s4
	s_mov_b32 s4, 0x3020504
	v_perm_b32 v34, v2, v6, s4
                                        ; implicit-def: $vgpr4
                                        ; implicit-def: $vgpr5
                                        ; implicit-def: $vgpr2
.LBB851_93:
	s_andn2_saveexec_b64 s[4:5], s[2:3]
	s_cbranch_execz .LBB851_97
; %bb.94:
	v_add_u32_e32 v3, s37, v9
	v_add_u32_e32 v6, s39, v9
	v_mul_lo_u32 v3, v3, s36
	v_mul_lo_u32 v6, v6, s38
	s_mov_b64 s[8:9], 0
	v_sub_u32_e32 v3, v3, v6
	v_cmp_lt_u32_e32 vcc, s40, v3
	v_cmp_ge_u32_e64 s[2:3], s40, v3
	s_and_saveexec_b64 s[10:11], s[2:3]
	s_cbranch_execz .LBB851_96
; %bb.95:
	v_add_u32_e32 v3, s42, v9
	v_add_u32_e32 v6, s58, v9
	v_mul_lo_u32 v3, v3, s41
	v_mul_lo_u32 v6, v6, s43
	v_sub_u32_e32 v3, v3, v6
	v_cmp_lt_u32_e64 s[2:3], s59, v3
	s_and_b64 s[8:9], s[2:3], exec
.LBB851_96:
	s_or_b64 exec, exec, s[10:11]
	v_mov_b32_e32 v7, 8
	v_cndmask_b32_e64 v3, 0, 1, vcc
	v_lshrrev_b32_sdwa v8, v7, v4 dst_sel:BYTE_1 dst_unused:UNUSED_PAD src0_sel:DWORD src1_sel:DWORD
	v_lshlrev_b16_e32 v5, 8, v5
	v_or_b32_sdwa v4, v4, v8 dst_sel:DWORD dst_unused:UNUSED_PAD src0_sel:BYTE_0 src1_sel:DWORD
	v_or_b32_sdwa v3, v3, v5 dst_sel:WORD_1 dst_unused:UNUSED_PAD src0_sel:DWORD src1_sel:DWORD
	v_cndmask_b32_e64 v6, 0, 1, s[8:9]
	s_movk_i32 s2, 0xff
	v_or_b32_sdwa v3, v4, v3 dst_sel:DWORD dst_unused:UNUSED_PAD src0_sel:WORD_0 src1_sel:DWORD
	v_lshrrev_b32_sdwa v4, v7, v2 dst_sel:BYTE_1 dst_unused:UNUSED_PAD src0_sel:DWORD src1_sel:DWORD
	v_or_b32_sdwa v4, v2, v4 dst_sel:DWORD dst_unused:UNUSED_PAD src0_sel:BYTE_0 src1_sel:DWORD
	v_lshlrev_b16_e32 v5, 8, v6
	v_and_b32_sdwa v2, v2, s2 dst_sel:DWORD dst_unused:UNUSED_PAD src0_sel:WORD_1 src1_sel:DWORD
	v_or_b32_sdwa v2, v2, v5 dst_sel:WORD_1 dst_unused:UNUSED_PAD src0_sel:DWORD src1_sel:DWORD
	v_or_b32_sdwa v34, v4, v2 dst_sel:DWORD dst_unused:UNUSED_PAD src0_sel:WORD_0 src1_sel:DWORD
.LBB851_97:
	s_or_b64 exec, exec, s[4:5]
	v_add_u32_e32 v2, 11, v30
	v_mov_b32_e32 v35, 0
	v_cmp_le_u32_e32 vcc, s18, v2
                                        ; implicit-def: $vgpr36
	s_and_saveexec_b64 s[2:3], vcc
	s_xor_b64 s[2:3], exec, s[2:3]
; %bb.98:
	v_and_b32_e32 v2, 0xff0000, v3
	s_mov_b32 s4, 0x3020504
	v_perm_b32 v36, v3, v2, s4
	s_mov_b32 s4, 0x3060504
	v_perm_b32 v1, v1, v1, s4
                                        ; implicit-def: $vgpr3
; %bb.99:
	s_andn2_saveexec_b64 s[4:5], s[2:3]
	s_cbranch_execz .LBB851_103
; %bb.100:
	v_add_u32_e32 v2, s37, v10
	v_add_u32_e32 v4, s39, v10
	v_mul_lo_u32 v2, v2, s36
	v_mul_lo_u32 v4, v4, s38
	s_mov_b64 s[8:9], 0
	v_sub_u32_e32 v2, v2, v4
	v_cmp_lt_u32_e32 vcc, s40, v2
	v_cmp_ge_u32_e64 s[2:3], s40, v2
	s_and_saveexec_b64 s[10:11], s[2:3]
	s_cbranch_execz .LBB851_102
; %bb.101:
	v_add_u32_e32 v2, s42, v10
	v_add_u32_e32 v4, s58, v10
	v_mul_lo_u32 v2, v2, s41
	v_mul_lo_u32 v4, v4, s43
	v_sub_u32_e32 v2, v2, v4
	v_cmp_lt_u32_e64 s[2:3], s59, v2
	s_and_b64 s[8:9], s[2:3], exec
.LBB851_102:
	s_or_b64 exec, exec, s[10:11]
	v_mov_b32_e32 v4, 8
	v_cndmask_b32_e64 v2, 0, 1, vcc
	s_movk_i32 s2, 0xff
	v_lshrrev_b32_sdwa v4, v4, v3 dst_sel:BYTE_1 dst_unused:UNUSED_PAD src0_sel:DWORD src1_sel:DWORD
	v_or_b32_sdwa v4, v3, v4 dst_sel:DWORD dst_unused:UNUSED_PAD src0_sel:BYTE_0 src1_sel:DWORD
	v_lshlrev_b16_e32 v2, 8, v2
	v_and_b32_sdwa v3, v3, s2 dst_sel:DWORD dst_unused:UNUSED_PAD src0_sel:WORD_1 src1_sel:DWORD
	v_or_b32_sdwa v2, v3, v2 dst_sel:WORD_1 dst_unused:UNUSED_PAD src0_sel:DWORD src1_sel:DWORD
	v_cndmask_b32_e64 v35, 0, 1, s[8:9]
	v_or_b32_sdwa v36, v4, v2 dst_sel:DWORD dst_unused:UNUSED_PAD src0_sel:WORD_0 src1_sel:DWORD
.LBB851_103:
	s_or_b64 exec, exec, s[4:5]
	v_add_u32_e32 v2, 12, v30
	v_cmp_le_u32_e32 vcc, s18, v2
	v_lshrrev_b32_e32 v2, 24, v1
                                        ; implicit-def: $vgpr37
	s_and_saveexec_b64 s[2:3], vcc
	s_xor_b64 s[2:3], exec, s[2:3]
; %bb.104:
	s_movk_i32 s4, 0xff
	v_lshlrev_b16_e32 v2, 8, v2
	v_and_b32_sdwa v4, v1, s4 dst_sel:DWORD dst_unused:UNUSED_PAD src0_sel:WORD_1 src1_sel:DWORD
	v_mov_b32_e32 v3, 8
	v_or_b32_sdwa v37, v4, v2 dst_sel:WORD_1 dst_unused:UNUSED_PAD src0_sel:DWORD src1_sel:DWORD
	v_lshrrev_b32_sdwa v37, v3, v1 dst_sel:BYTE_1 dst_unused:UNUSED_PRESERVE src0_sel:DWORD src1_sel:DWORD
                                        ; implicit-def: $vgpr2
                                        ; implicit-def: $vgpr1
; %bb.105:
	s_or_saveexec_b64 s[4:5], s[2:3]
	v_mov_b32_e32 v38, 0
	s_xor_b64 exec, exec, s[4:5]
	s_cbranch_execz .LBB851_109
; %bb.106:
	v_add_u32_e32 v3, s37, v29
	v_add_u32_e32 v4, s39, v29
	v_mul_lo_u32 v3, v3, s36
	v_mul_lo_u32 v4, v4, s38
	s_mov_b64 s[8:9], 0
	v_sub_u32_e32 v3, v3, v4
	v_cmp_lt_u32_e32 vcc, s40, v3
	v_cmp_ge_u32_e64 s[2:3], s40, v3
	s_and_saveexec_b64 s[10:11], s[2:3]
	s_cbranch_execz .LBB851_108
; %bb.107:
	v_add_u32_e32 v3, s42, v29
	v_add_u32_e32 v4, s58, v29
	v_mul_lo_u32 v3, v3, s41
	v_mul_lo_u32 v4, v4, s43
	v_sub_u32_e32 v3, v3, v4
	v_cmp_lt_u32_e64 s[2:3], s59, v3
	s_and_b64 s[8:9], s[2:3], exec
.LBB851_108:
	s_or_b64 exec, exec, s[10:11]
	s_movk_i32 s2, 0xff
	v_lshlrev_b16_e32 v2, 8, v2
	v_and_b32_sdwa v4, v1, s2 dst_sel:DWORD dst_unused:UNUSED_PAD src0_sel:WORD_1 src1_sel:DWORD
	v_or_b32_sdwa v2, v4, v2 dst_sel:WORD_1 dst_unused:UNUSED_PAD src0_sel:DWORD src1_sel:DWORD
	v_mov_b32_e32 v4, 8
	v_cndmask_b32_e64 v3, 0, 1, vcc
	v_lshrrev_b32_sdwa v1, v4, v1 dst_sel:BYTE_1 dst_unused:UNUSED_PAD src0_sel:DWORD src1_sel:DWORD
	v_or_b32_e32 v1, v3, v1
	v_cndmask_b32_e64 v38, 0, 1, s[8:9]
	v_or_b32_sdwa v37, v1, v2 dst_sel:DWORD dst_unused:UNUSED_PAD src0_sel:WORD_0 src1_sel:DWORD
.LBB851_109:
	s_or_b64 exec, exec, s[4:5]
.LBB851_110:
	v_and_b32_e32 v48, 0xff, v31
	v_bfe_u32 v45, v31, 8, 8
	v_bfe_u32 v50, v31, 16, 8
	v_lshrrev_b32_e32 v43, 24, v31
	v_and_b32_e32 v51, 0xff, v33
	v_add3_u32 v4, v45, v48, v50
	v_bfe_u32 v46, v33, 8, 8
	v_bfe_u32 v53, v33, 16, 8
	v_add3_u32 v4, v4, v43, v51
	v_bfe_u32 v49, v37, 8, 8
	v_bfe_u32 v57, v37, 16, 8
	v_lshrrev_b32_e32 v44, 24, v37
	v_lshrrev_b32_e32 v41, 24, v33
	v_and_b32_e32 v54, 0xff, v36
	v_add3_u32 v4, v4, v46, v53
	v_and_b32_e32 v58, 0xff, v32
	v_bfe_u32 v52, v32, 8, 8
	v_bfe_u32 v47, v36, 8, 8
	v_bfe_u32 v56, v36, 16, 8
	v_add3_u32 v3, v57, v49, v44
	v_add3_u32 v4, v4, v41, v54
	v_bfe_u32 v59, v32, 16, 8
	v_lshrrev_b32_e32 v42, 24, v32
	v_lshrrev_b32_e32 v39, 24, v36
	v_and_b32_e32 v1, 0xff, v37
	v_add3_u32 v3, v3, v58, v52
	v_add3_u32 v4, v4, v47, v56
	v_and_b32_e32 v60, 0xff, v34
	v_bfe_u32 v55, v34, 8, 8
	v_add3_u32 v3, v3, v59, v42
	v_add3_u32 v68, v4, v39, v1
	v_mbcnt_lo_u32_b32 v1, -1, 0
	v_bfe_u32 v61, v34, 16, 8
	v_lshrrev_b32_e32 v40, 24, v34
	v_add3_u32 v3, v3, v60, v55
	v_mbcnt_hi_u32_b32 v63, -1, v1
	v_and_b32_e32 v62, 0xff, v35
	v_and_b32_e32 v2, 0xff, v38
	v_add3_u32 v3, v3, v61, v40
	v_and_b32_e32 v67, 15, v63
	s_cmp_lg_u32 s6, 0
	v_add3_u32 v69, v3, v62, v2
	v_cmp_eq_u32_e64 s[4:5], 0, v67
	v_cmp_lt_u32_e64 s[2:3], 1, v67
	v_cmp_lt_u32_e64 s[8:9], 3, v67
	;; [unrolled: 1-line block ×3, first 2 shown]
	v_and_b32_e32 v66, 16, v63
	v_cmp_lt_u32_e32 vcc, 31, v63
	v_lshrrev_b32_e32 v64, 6, v0
	v_or_b32_e32 v65, 63, v0
	s_cbranch_scc0 .LBB851_132
; %bb.111:
	v_mov_b32_dpp v1, v68 row_shr:1 row_mask:0xf bank_mask:0xf
	v_mov_b32_dpp v2, v69 row_shr:1 row_mask:0xf bank_mask:0xf
	v_add_u32_e32 v1, v1, v68
	v_add_u32_e32 v2, v2, v69
	v_cndmask_b32_e64 v2, v2, v69, s[4:5]
	v_cndmask_b32_e64 v1, v1, v68, s[4:5]
	s_nop 0
	v_mov_b32_dpp v4, v2 row_shr:2 row_mask:0xf bank_mask:0xf
	v_mov_b32_dpp v3, v1 row_shr:2 row_mask:0xf bank_mask:0xf
	v_add_u32_e32 v3, v1, v3
	v_add_u32_e32 v4, v2, v4
	v_cndmask_b32_e64 v2, v2, v4, s[2:3]
	v_cndmask_b32_e64 v1, v1, v3, s[2:3]
	s_nop 0
	v_mov_b32_dpp v4, v2 row_shr:4 row_mask:0xf bank_mask:0xf
	v_mov_b32_dpp v3, v1 row_shr:4 row_mask:0xf bank_mask:0xf
	v_add_u32_e32 v3, v1, v3
	v_add_u32_e32 v4, v2, v4
	v_cndmask_b32_e64 v2, v2, v4, s[8:9]
	v_cndmask_b32_e64 v1, v1, v3, s[8:9]
	v_cmp_eq_u32_e64 s[8:9], 0, v66
	v_mov_b32_dpp v4, v2 row_shr:8 row_mask:0xf bank_mask:0xf
	v_mov_b32_dpp v3, v1 row_shr:8 row_mask:0xf bank_mask:0xf
	v_add_u32_e32 v3, v1, v3
	v_add_u32_e32 v4, v2, v4
	v_cndmask_b32_e64 v2, v2, v4, s[10:11]
	v_cndmask_b32_e64 v3, v1, v3, s[10:11]
	s_nop 0
	v_mov_b32_dpp v4, v2 row_bcast:15 row_mask:0xf bank_mask:0xf
	v_mov_b32_dpp v1, v3 row_bcast:15 row_mask:0xf bank_mask:0xf
	v_add_u32_e32 v5, v3, v1
	v_add_u32_e32 v1, v2, v4
	v_cndmask_b32_e64 v1, v1, v2, s[8:9]
	v_cndmask_b32_e64 v2, v5, v3, s[8:9]
	v_cmp_eq_u32_e64 s[8:9], v0, v65
	v_mov_b32_dpp v3, v1 row_bcast:31 row_mask:0xf bank_mask:0xf
	v_mov_b32_dpp v4, v2 row_bcast:31 row_mask:0xf bank_mask:0xf
	v_add_u32_e32 v3, v1, v3
	v_add_u32_e32 v4, v2, v4
	s_and_saveexec_b64 s[10:11], s[8:9]
; %bb.112:
	v_lshlrev_b32_e32 v7, 3, v64
	v_cndmask_b32_e32 v6, v1, v3, vcc
	v_cndmask_b32_e32 v5, v2, v4, vcc
	ds_write_b64 v7, v[5:6]
; %bb.113:
	s_or_b64 exec, exec, s[10:11]
	v_cmp_gt_u32_e64 s[8:9], 4, v0
	s_waitcnt lgkmcnt(0)
	s_barrier
	s_and_saveexec_b64 s[10:11], s[8:9]
	s_cbranch_execz .LBB851_115
; %bb.114:
	v_lshlrev_b32_e32 v7, 3, v0
	ds_read_b64 v[5:6], v7
	v_and_b32_e32 v8, 3, v63
	v_cmp_eq_u32_e64 s[8:9], 0, v8
	s_waitcnt lgkmcnt(0)
	v_mov_b32_dpp v21, v5 row_shr:1 row_mask:0xf bank_mask:0xf
	v_mov_b32_dpp v22, v6 row_shr:1 row_mask:0xf bank_mask:0xf
	v_add_u32_e32 v21, v21, v5
	v_add_u32_e32 v22, v22, v6
	v_cndmask_b32_e64 v6, v22, v6, s[8:9]
	v_cndmask_b32_e64 v5, v21, v5, s[8:9]
	v_cmp_lt_u32_e64 s[8:9], 1, v8
	v_mov_b32_dpp v22, v6 row_shr:2 row_mask:0xf bank_mask:0xf
	v_mov_b32_dpp v21, v5 row_shr:2 row_mask:0xf bank_mask:0xf
	v_cndmask_b32_e64 v8, 0, v21, s[8:9]
	v_cndmask_b32_e64 v21, 0, v22, s[8:9]
	v_add_u32_e32 v6, v21, v6
	v_add_u32_e32 v5, v8, v5
	ds_write_b64 v7, v[5:6]
.LBB851_115:
	s_or_b64 exec, exec, s[10:11]
	v_cndmask_b32_e32 v1, v1, v3, vcc
	v_cndmask_b32_e32 v2, v2, v4, vcc
	v_cmp_gt_u32_e32 vcc, 64, v0
	v_cmp_lt_u32_e64 s[8:9], 63, v0
	s_waitcnt lgkmcnt(0)
	s_barrier
                                        ; implicit-def: $vgpr21
	s_and_saveexec_b64 s[10:11], s[8:9]
	s_cbranch_execz .LBB851_117
; %bb.116:
	v_lshl_add_u32 v3, v64, 3, -8
	ds_read_b64 v[21:22], v3
	s_waitcnt lgkmcnt(0)
	v_add_u32_e32 v1, v22, v1
	v_add_u32_e32 v2, v21, v2
.LBB851_117:
	s_or_b64 exec, exec, s[10:11]
	v_subrev_co_u32_e64 v3, s[8:9], 1, v63
	v_and_b32_e32 v4, 64, v63
	v_cmp_lt_i32_e64 s[10:11], v3, v4
	v_cndmask_b32_e64 v3, v3, v63, s[10:11]
	v_lshlrev_b32_e32 v3, 2, v3
	ds_bpermute_b32 v70, v3, v2
	ds_bpermute_b32 v71, v3, v1
	s_and_saveexec_b64 s[10:11], vcc
	s_cbranch_execz .LBB851_137
; %bb.118:
	v_mov_b32_e32 v4, 0
	ds_read_b64 v[1:2], v4 offset:24
	s_and_saveexec_b64 s[14:15], s[8:9]
	s_cbranch_execz .LBB851_120
; %bb.119:
	s_add_i32 s16, s6, 64
	s_mov_b32 s17, 0
	s_lshl_b64 s[16:17], s[16:17], 4
	s_add_u32 s16, s12, s16
	s_addc_u32 s17, s13, s17
	v_mov_b32_e32 v5, s16
	v_mov_b32_e32 v3, 1
	v_mov_b32_e32 v6, s17
	s_waitcnt lgkmcnt(0)
	;;#ASMSTART
	global_store_dwordx4 v[5:6], v[1:4] off	
s_waitcnt vmcnt(0)
	;;#ASMEND
.LBB851_120:
	s_or_b64 exec, exec, s[14:15]
	v_xad_u32 v23, v63, -1, s6
	v_add_u32_e32 v3, 64, v23
	v_lshlrev_b64 v[5:6], 4, v[3:4]
	v_mov_b32_e32 v3, s13
	v_add_co_u32_e32 v24, vcc, s12, v5
	v_addc_co_u32_e32 v25, vcc, v3, v6, vcc
	;;#ASMSTART
	global_load_dwordx4 v[5:8], v[24:25] off glc	
s_waitcnt vmcnt(0)
	;;#ASMEND
	v_cmp_eq_u16_sdwa s[16:17], v7, v4 src0_sel:BYTE_0 src1_sel:DWORD
	s_and_saveexec_b64 s[14:15], s[16:17]
	s_cbranch_execz .LBB851_124
; %bb.121:
	s_mov_b64 s[16:17], 0
	v_mov_b32_e32 v3, 0
.LBB851_122:                            ; =>This Inner Loop Header: Depth=1
	;;#ASMSTART
	global_load_dwordx4 v[5:8], v[24:25] off glc	
s_waitcnt vmcnt(0)
	;;#ASMEND
	v_cmp_ne_u16_sdwa s[20:21], v7, v3 src0_sel:BYTE_0 src1_sel:DWORD
	s_or_b64 s[16:17], s[20:21], s[16:17]
	s_andn2_b64 exec, exec, s[16:17]
	s_cbranch_execnz .LBB851_122
; %bb.123:
	s_or_b64 exec, exec, s[16:17]
.LBB851_124:
	s_or_b64 exec, exec, s[14:15]
	v_and_b32_e32 v73, 63, v63
	v_cmp_ne_u32_e32 vcc, 63, v73
	v_mov_b32_e32 v72, 2
	v_lshlrev_b64 v[25:26], v63, -1
	v_addc_co_u32_e32 v8, vcc, 0, v63, vcc
	v_cmp_eq_u16_sdwa s[14:15], v7, v72 src0_sel:BYTE_0 src1_sel:DWORD
	v_lshlrev_b32_e32 v74, 2, v8
	v_and_b32_e32 v3, s15, v26
	ds_bpermute_b32 v8, v74, v5
	ds_bpermute_b32 v24, v74, v6
	v_or_b32_e32 v3, 0x80000000, v3
	v_and_b32_e32 v4, s14, v25
	v_ffbl_b32_e32 v3, v3
	v_add_u32_e32 v3, 32, v3
	v_ffbl_b32_e32 v4, v4
	v_min_u32_e32 v3, v4, v3
	s_waitcnt lgkmcnt(1)
	v_add_u32_e32 v4, v8, v5
	s_waitcnt lgkmcnt(0)
	v_add_u32_e32 v8, v24, v6
	v_cmp_lt_u32_e32 vcc, v73, v3
	v_cndmask_b32_e32 v6, v6, v8, vcc
	v_cndmask_b32_e32 v4, v5, v4, vcc
	v_cmp_gt_u32_e32 vcc, 62, v73
	v_cndmask_b32_e64 v5, 0, 2, vcc
	v_add_lshl_u32 v75, v5, v63, 2
	ds_bpermute_b32 v5, v75, v4
	ds_bpermute_b32 v8, v75, v6
	v_add_u32_e32 v76, 2, v73
	v_cmp_gt_u32_e32 vcc, v76, v3
	v_add_u32_e32 v78, 4, v73
	s_waitcnt lgkmcnt(1)
	v_add_u32_e32 v5, v4, v5
	s_waitcnt lgkmcnt(0)
	v_add_u32_e32 v8, v6, v8
	v_cndmask_b32_e32 v6, v8, v6, vcc
	v_cndmask_b32_e32 v4, v5, v4, vcc
	v_cmp_gt_u32_e32 vcc, 60, v73
	v_cndmask_b32_e64 v5, 0, 4, vcc
	v_add_lshl_u32 v77, v5, v63, 2
	ds_bpermute_b32 v5, v77, v4
	ds_bpermute_b32 v8, v77, v6
	v_cmp_gt_u32_e32 vcc, v78, v3
	v_add_u32_e32 v80, 8, v73
	v_add_u32_e32 v82, 16, v73
	s_waitcnt lgkmcnt(1)
	v_add_u32_e32 v5, v4, v5
	s_waitcnt lgkmcnt(0)
	v_add_u32_e32 v8, v6, v8
	v_cndmask_b32_e32 v6, v8, v6, vcc
	v_cndmask_b32_e32 v4, v5, v4, vcc
	v_cmp_gt_u32_e32 vcc, 56, v73
	v_cndmask_b32_e64 v5, 0, 8, vcc
	v_add_lshl_u32 v79, v5, v63, 2
	ds_bpermute_b32 v5, v79, v4
	ds_bpermute_b32 v8, v79, v6
	v_cmp_gt_u32_e32 vcc, v80, v3
	v_add_u32_e32 v84, 32, v73
	v_mov_b32_e32 v24, 0
	s_waitcnt lgkmcnt(1)
	v_add_u32_e32 v5, v4, v5
	s_waitcnt lgkmcnt(0)
	v_add_u32_e32 v8, v6, v8
	v_cndmask_b32_e32 v6, v8, v6, vcc
	v_cndmask_b32_e32 v4, v5, v4, vcc
	v_cmp_gt_u32_e32 vcc, 48, v73
	v_cndmask_b32_e64 v5, 0, 16, vcc
	v_add_lshl_u32 v81, v5, v63, 2
	ds_bpermute_b32 v5, v81, v4
	ds_bpermute_b32 v8, v81, v6
	v_cmp_gt_u32_e32 vcc, v82, v3
	s_waitcnt lgkmcnt(1)
	v_add_u32_e32 v5, v4, v5
	s_waitcnt lgkmcnt(0)
	v_add_u32_e32 v8, v6, v8
	v_cndmask_b32_e32 v4, v5, v4, vcc
	v_mov_b32_e32 v5, 0x80
	v_cndmask_b32_e32 v6, v8, v6, vcc
	v_lshl_or_b32 v83, v63, 2, v5
	ds_bpermute_b32 v5, v83, v4
	ds_bpermute_b32 v8, v83, v6
	v_cmp_le_u32_e32 vcc, v84, v3
	s_waitcnt lgkmcnt(1)
	v_cndmask_b32_e32 v3, 0, v5, vcc
	s_waitcnt lgkmcnt(0)
	v_cndmask_b32_e32 v5, 0, v8, vcc
	v_add_u32_e32 v6, v6, v5
	v_add_u32_e32 v5, v4, v3
	s_branch .LBB851_128
.LBB851_125:                            ;   in Loop: Header=BB851_128 Depth=1
	s_or_b64 exec, exec, s[16:17]
.LBB851_126:                            ;   in Loop: Header=BB851_128 Depth=1
	s_or_b64 exec, exec, s[14:15]
	v_cmp_eq_u16_sdwa s[14:15], v7, v72 src0_sel:BYTE_0 src1_sel:DWORD
	v_and_b32_e32 v8, s15, v26
	ds_bpermute_b32 v28, v74, v5
	ds_bpermute_b32 v85, v74, v6
	v_or_b32_e32 v8, 0x80000000, v8
	v_and_b32_e32 v27, s14, v25
	v_ffbl_b32_e32 v8, v8
	v_add_u32_e32 v8, 32, v8
	v_ffbl_b32_e32 v27, v27
	v_min_u32_e32 v8, v27, v8
	s_waitcnt lgkmcnt(1)
	v_add_u32_e32 v27, v28, v5
	s_waitcnt lgkmcnt(0)
	v_add_u32_e32 v28, v85, v6
	v_cmp_lt_u32_e32 vcc, v73, v8
	v_cndmask_b32_e32 v6, v6, v28, vcc
	v_cndmask_b32_e32 v5, v5, v27, vcc
	ds_bpermute_b32 v27, v75, v5
	ds_bpermute_b32 v28, v75, v6
	v_cmp_gt_u32_e32 vcc, v76, v8
	v_subrev_u32_e32 v23, 64, v23
	s_mov_b64 s[14:15], 0
	s_waitcnt lgkmcnt(1)
	v_add_u32_e32 v27, v5, v27
	s_waitcnt lgkmcnt(0)
	v_add_u32_e32 v28, v6, v28
	v_cndmask_b32_e32 v6, v28, v6, vcc
	v_cndmask_b32_e32 v5, v27, v5, vcc
	ds_bpermute_b32 v27, v77, v5
	ds_bpermute_b32 v28, v77, v6
	v_cmp_gt_u32_e32 vcc, v78, v8
	s_waitcnt lgkmcnt(1)
	v_add_u32_e32 v27, v5, v27
	s_waitcnt lgkmcnt(0)
	v_add_u32_e32 v28, v6, v28
	v_cndmask_b32_e32 v6, v28, v6, vcc
	v_cndmask_b32_e32 v5, v27, v5, vcc
	ds_bpermute_b32 v27, v79, v5
	ds_bpermute_b32 v28, v79, v6
	v_cmp_gt_u32_e32 vcc, v80, v8
	;; [unrolled: 9-line block ×3, first 2 shown]
	s_waitcnt lgkmcnt(1)
	v_add_u32_e32 v27, v5, v27
	s_waitcnt lgkmcnt(0)
	v_add_u32_e32 v28, v6, v28
	v_cndmask_b32_e32 v6, v28, v6, vcc
	v_cndmask_b32_e32 v5, v27, v5, vcc
	ds_bpermute_b32 v27, v83, v5
	ds_bpermute_b32 v28, v83, v6
	v_cmp_le_u32_e32 vcc, v84, v8
	s_waitcnt lgkmcnt(1)
	v_cndmask_b32_e32 v8, 0, v27, vcc
	s_waitcnt lgkmcnt(0)
	v_cndmask_b32_e32 v27, 0, v28, vcc
	v_add3_u32 v6, v27, v4, v6
	v_add3_u32 v5, v8, v3, v5
.LBB851_127:                            ;   in Loop: Header=BB851_128 Depth=1
	s_and_b64 vcc, exec, s[14:15]
	s_cbranch_vccnz .LBB851_133
.LBB851_128:                            ; =>This Loop Header: Depth=1
                                        ;     Child Loop BB851_131 Depth 2
	v_mov_b32_e32 v3, v5
	v_cmp_ne_u16_sdwa s[14:15], v7, v72 src0_sel:BYTE_0 src1_sel:DWORD
	v_mov_b32_e32 v4, v6
	s_cmp_lg_u64 s[14:15], exec
	s_mov_b64 s[14:15], -1
                                        ; implicit-def: $vgpr7
                                        ; implicit-def: $vgpr5_vgpr6
	s_cbranch_scc1 .LBB851_127
; %bb.129:                              ;   in Loop: Header=BB851_128 Depth=1
	v_lshlrev_b64 v[5:6], 4, v[23:24]
	v_mov_b32_e32 v7, s13
	v_add_co_u32_e32 v27, vcc, s12, v5
	v_addc_co_u32_e32 v28, vcc, v7, v6, vcc
	;;#ASMSTART
	global_load_dwordx4 v[5:8], v[27:28] off glc	
s_waitcnt vmcnt(0)
	;;#ASMEND
	v_cmp_eq_u16_sdwa s[16:17], v7, v24 src0_sel:BYTE_0 src1_sel:DWORD
	s_and_saveexec_b64 s[14:15], s[16:17]
	s_cbranch_execz .LBB851_126
; %bb.130:                              ;   in Loop: Header=BB851_128 Depth=1
	s_mov_b64 s[16:17], 0
.LBB851_131:                            ;   Parent Loop BB851_128 Depth=1
                                        ; =>  This Inner Loop Header: Depth=2
	;;#ASMSTART
	global_load_dwordx4 v[5:8], v[27:28] off glc	
s_waitcnt vmcnt(0)
	;;#ASMEND
	v_cmp_ne_u16_sdwa s[20:21], v7, v24 src0_sel:BYTE_0 src1_sel:DWORD
	s_or_b64 s[16:17], s[20:21], s[16:17]
	s_andn2_b64 exec, exec, s[16:17]
	s_cbranch_execnz .LBB851_131
	s_branch .LBB851_125
.LBB851_132:
                                        ; implicit-def: $vgpr22
                                        ; implicit-def: $vgpr3
                                        ; implicit-def: $vgpr23
	s_cbranch_execnz .LBB851_138
	s_branch .LBB851_147
.LBB851_133:
	s_and_saveexec_b64 s[14:15], s[8:9]
	s_cbranch_execnz .LBB851_375
; %bb.134:
	s_or_b64 exec, exec, s[14:15]
	s_and_saveexec_b64 s[6:7], s[8:9]
	s_cbranch_execnz .LBB851_376
.LBB851_135:
	s_or_b64 exec, exec, s[6:7]
	v_cmp_eq_u32_e32 vcc, 0, v0
	s_and_b64 exec, exec, vcc
.LBB851_136:
	v_mov_b32_e32 v1, 0
	ds_write_b64 v1, v[3:4] offset:24
.LBB851_137:
	s_or_b64 exec, exec, s[10:11]
	v_mov_b32_e32 v1, 0
	s_waitcnt lgkmcnt(0)
	s_barrier
	ds_read_b64 v[5:6], v1 offset:24
	v_cndmask_b32_e64 v2, v71, v22, s[8:9]
	v_cndmask_b32_e64 v3, v70, v21, s[8:9]
	s_waitcnt lgkmcnt(0)
	s_barrier
	v_add_u32_e32 v7, v5, v3
	v_add_u32_e32 v8, v6, v2
	ds_read_b128 v[1:4], v1 offset:13312
	v_cmp_eq_u32_e32 vcc, 0, v0
	v_cndmask_b32_e32 v22, v8, v6, vcc
	v_cndmask_b32_e32 v23, v7, v5, vcc
	s_branch .LBB851_147
.LBB851_138:
	s_waitcnt lgkmcnt(0)
	v_mov_b32_dpp v1, v68 row_shr:1 row_mask:0xf bank_mask:0xf
	v_mov_b32_dpp v2, v69 row_shr:1 row_mask:0xf bank_mask:0xf
	v_add_u32_e32 v1, v1, v68
	v_add_u32_e32 v2, v2, v69
	v_cndmask_b32_e64 v2, v2, v69, s[4:5]
	v_cndmask_b32_e64 v1, v1, v68, s[4:5]
	v_cmp_lt_u32_e32 vcc, 3, v67
	v_mov_b32_dpp v4, v2 row_shr:2 row_mask:0xf bank_mask:0xf
	v_mov_b32_dpp v3, v1 row_shr:2 row_mask:0xf bank_mask:0xf
	v_add_u32_e32 v3, v1, v3
	v_add_u32_e32 v4, v2, v4
	v_cndmask_b32_e64 v2, v2, v4, s[2:3]
	v_cndmask_b32_e64 v1, v1, v3, s[2:3]
	v_cmp_eq_u32_e64 s[2:3], v0, v65
	v_mov_b32_dpp v4, v2 row_shr:4 row_mask:0xf bank_mask:0xf
	v_mov_b32_dpp v3, v1 row_shr:4 row_mask:0xf bank_mask:0xf
	v_add_u32_e32 v3, v1, v3
	v_add_u32_e32 v4, v2, v4
	v_cndmask_b32_e32 v2, v2, v4, vcc
	v_cndmask_b32_e32 v1, v1, v3, vcc
	v_cmp_lt_u32_e32 vcc, 7, v67
	v_mov_b32_dpp v4, v2 row_shr:8 row_mask:0xf bank_mask:0xf
	v_mov_b32_dpp v3, v1 row_shr:8 row_mask:0xf bank_mask:0xf
	v_add_u32_e32 v3, v1, v3
	v_add_u32_e32 v4, v2, v4
	v_cndmask_b32_e32 v2, v2, v4, vcc
	v_cndmask_b32_e32 v3, v1, v3, vcc
	v_cmp_eq_u32_e32 vcc, 0, v66
	v_mov_b32_dpp v4, v2 row_bcast:15 row_mask:0xf bank_mask:0xf
	v_mov_b32_dpp v1, v3 row_bcast:15 row_mask:0xf bank_mask:0xf
	v_add_u32_e32 v5, v3, v1
	v_add_u32_e32 v1, v2, v4
	v_cndmask_b32_e32 v1, v1, v2, vcc
	v_cndmask_b32_e32 v2, v5, v3, vcc
	v_cmp_lt_u32_e32 vcc, 31, v63
	v_mov_b32_dpp v3, v1 row_bcast:31 row_mask:0xf bank_mask:0xf
	v_mov_b32_dpp v4, v2 row_bcast:31 row_mask:0xf bank_mask:0xf
	v_add_u32_e32 v3, v1, v3
	v_add_u32_e32 v4, v2, v4
	s_and_saveexec_b64 s[4:5], s[2:3]
; %bb.139:
	v_cndmask_b32_e32 v5, v2, v4, vcc
	v_cndmask_b32_e32 v6, v1, v3, vcc
	v_lshlrev_b32_e32 v7, 3, v64
	ds_write_b64 v7, v[5:6]
; %bb.140:
	s_or_b64 exec, exec, s[4:5]
	v_cmp_gt_u32_e64 s[2:3], 4, v0
	s_waitcnt lgkmcnt(0)
	s_barrier
	s_and_saveexec_b64 s[4:5], s[2:3]
	s_cbranch_execz .LBB851_142
; %bb.141:
	v_lshlrev_b32_e32 v7, 3, v0
	ds_read_b64 v[5:6], v7
	v_and_b32_e32 v8, 3, v63
	v_cmp_eq_u32_e64 s[2:3], 0, v8
	s_waitcnt lgkmcnt(0)
	v_mov_b32_dpp v21, v5 row_shr:1 row_mask:0xf bank_mask:0xf
	v_mov_b32_dpp v22, v6 row_shr:1 row_mask:0xf bank_mask:0xf
	v_add_u32_e32 v21, v21, v5
	v_add_u32_e32 v22, v22, v6
	v_cndmask_b32_e64 v6, v22, v6, s[2:3]
	v_cndmask_b32_e64 v5, v21, v5, s[2:3]
	v_cmp_lt_u32_e64 s[2:3], 1, v8
	v_mov_b32_dpp v22, v6 row_shr:2 row_mask:0xf bank_mask:0xf
	v_mov_b32_dpp v21, v5 row_shr:2 row_mask:0xf bank_mask:0xf
	v_cndmask_b32_e64 v8, 0, v21, s[2:3]
	v_cndmask_b32_e64 v21, 0, v22, s[2:3]
	v_add_u32_e32 v6, v21, v6
	v_add_u32_e32 v5, v8, v5
	ds_write_b64 v7, v[5:6]
.LBB851_142:
	s_or_b64 exec, exec, s[4:5]
	v_cmp_lt_u32_e64 s[2:3], 63, v0
	v_mov_b32_e32 v7, 0
	v_mov_b32_e32 v5, 0
	;; [unrolled: 1-line block ×3, first 2 shown]
	s_waitcnt lgkmcnt(0)
	s_barrier
	s_and_saveexec_b64 s[4:5], s[2:3]
; %bb.143:
	v_lshl_add_u32 v5, v64, 3, -8
	ds_read_b64 v[5:6], v5
; %bb.144:
	s_or_b64 exec, exec, s[4:5]
	v_cndmask_b32_e32 v2, v2, v4, vcc
	v_cndmask_b32_e32 v1, v1, v3, vcc
	v_subrev_co_u32_e32 v3, vcc, 1, v63
	v_and_b32_e32 v4, 64, v63
	v_cmp_lt_i32_e64 s[2:3], v3, v4
	v_cndmask_b32_e64 v3, v3, v63, s[2:3]
	s_waitcnt lgkmcnt(0)
	v_add_u32_e32 v1, v6, v1
	v_add_u32_e32 v2, v5, v2
	v_lshlrev_b32_e32 v3, 2, v3
	ds_bpermute_b32 v8, v3, v2
	ds_bpermute_b32 v21, v3, v1
	ds_read_b64 v[1:2], v7 offset:24
	v_cmp_eq_u32_e64 s[2:3], 0, v0
	s_and_saveexec_b64 s[4:5], s[2:3]
	s_cbranch_execz .LBB851_146
; %bb.145:
	s_add_u32 s6, s12, 0x400
	s_addc_u32 s7, s13, 0
	v_mov_b32_e32 v23, s7
	v_mov_b32_e32 v3, 2
	;; [unrolled: 1-line block ×4, first 2 shown]
	s_waitcnt lgkmcnt(0)
	;;#ASMSTART
	global_store_dwordx4 v[22:23], v[1:4] off	
s_waitcnt vmcnt(0)
	;;#ASMEND
.LBB851_146:
	s_or_b64 exec, exec, s[4:5]
	s_waitcnt lgkmcnt(2)
	v_cndmask_b32_e32 v3, v8, v5, vcc
	s_waitcnt lgkmcnt(1)
	v_cndmask_b32_e32 v4, v21, v6, vcc
	v_cndmask_b32_e64 v22, v4, 0, s[2:3]
	v_cndmask_b32_e64 v23, v3, 0, s[2:3]
	v_mov_b32_e32 v4, 0
	v_mov_b32_e32 v3, 0
	s_waitcnt lgkmcnt(0)
	s_barrier
.LBB851_147:
	v_mov_b32_e32 v6, s49
	s_waitcnt lgkmcnt(0)
	v_add_co_u32_e32 v5, vcc, s48, v3
	v_addc_co_u32_e32 v6, vcc, 0, v6, vcc
	v_mov_b32_e32 v27, s51
	v_sub_co_u32_e32 v28, vcc, s50, v1
	v_subbrev_co_u32_e32 v69, vcc, 0, v27, vcc
	v_add_co_u32_e32 v27, vcc, v28, v4
	v_add_u32_e32 v49, v22, v49
	v_addc_co_u32_e32 v28, vcc, 0, v69, vcc
	v_lshlrev_b32_e32 v69, 1, v1
	v_sub_u32_e32 v22, v22, v4
	v_lshrrev_b32_e32 v26, 8, v37
	v_add_u32_e32 v48, v23, v48
	v_add_u32_e32 v70, v69, v2
	v_sub_u32_e32 v23, v23, v3
	v_add_u32_e32 v22, v22, v1
	v_add_u32_e32 v30, v70, v30
	v_and_b32_e32 v26, 1, v26
	v_add_u32_e32 v71, v23, v22
	v_and_b32_e32 v70, 1, v31
	v_sub_u32_e32 v71, v30, v71
	v_cmp_eq_u32_e32 vcc, 1, v26
	v_cndmask_b32_e32 v22, v71, v22, vcc
	v_cmp_eq_u32_e32 vcc, 1, v70
	v_cndmask_b32_e32 v22, v22, v23, vcc
	v_lshlrev_b32_e32 v22, 2, v22
	v_sub_u32_e32 v23, v49, v4
	v_lshrrev_b32_e32 v25, 8, v31
	ds_write_b32 v22, v19
	v_sub_u32_e32 v19, v48, v3
	v_add_u32_e32 v23, v23, v1
	v_add_u32_e32 v45, v48, v45
	v_and_b32_e32 v22, 1, v25
	v_mov_b32_e32 v25, 1
	v_add_u32_e32 v48, v23, v19
	v_and_b32_sdwa v26, v25, v37 dst_sel:DWORD dst_unused:UNUSED_PAD src0_sel:DWORD src1_sel:WORD_1
	v_sub_u32_e32 v48, v30, v48
	v_add_u32_e32 v48, 1, v48
	v_cmp_eq_u32_e32 vcc, 1, v26
	v_cndmask_b32_e32 v23, v48, v23, vcc
	v_cmp_eq_u32_e32 vcc, 1, v22
	v_add_u32_e32 v57, v49, v57
	v_cndmask_b32_e32 v19, v23, v19, vcc
	v_lshlrev_b32_e32 v19, 2, v19
	v_sub_u32_e32 v22, v57, v4
	ds_write_b32 v19, v20
	v_sub_u32_e32 v19, v45, v3
	v_add_u32_e32 v22, v22, v1
	v_add_u32_e32 v26, v22, v19
	v_and_b32_e32 v23, 1, v44
	v_sub_u32_e32 v26, v30, v26
	v_and_b32_sdwa v20, v25, v31 dst_sel:DWORD dst_unused:UNUSED_PAD src0_sel:DWORD src1_sel:WORD_1
	v_add_u32_e32 v26, 2, v26
	v_cmp_eq_u32_e32 vcc, 1, v23
	v_cndmask_b32_e32 v22, v26, v22, vcc
	v_cmp_eq_u32_e32 vcc, 1, v20
	v_add_u32_e32 v63, v57, v44
	v_cndmask_b32_e32 v19, v22, v19, vcc
	v_add_u32_e32 v50, v45, v50
	v_lshlrev_b32_e32 v19, 2, v19
	v_sub_u32_e32 v20, v63, v4
	ds_write_b32 v19, v17
	v_sub_u32_e32 v17, v50, v3
	v_add_u32_e32 v20, v20, v1
	v_add_u32_e32 v23, v17, v20
	v_and_b32_e32 v22, 1, v32
	v_sub_u32_e32 v23, v30, v23
	v_and_b32_e32 v19, 1, v43
	v_add_u32_e32 v23, 3, v23
	v_cmp_eq_u32_e32 vcc, 1, v22
	v_cndmask_b32_e32 v20, v23, v20, vcc
	v_cmp_eq_u32_e32 vcc, 1, v19
	v_add_u32_e32 v58, v63, v58
	v_cndmask_b32_e32 v17, v20, v17, vcc
	v_add_u32_e32 v64, v50, v43
	v_lshlrev_b32_e32 v17, 2, v17
	v_sub_u32_e32 v19, v58, v4
	ds_write_b32 v17, v18
	v_sub_u32_e32 v17, v64, v3
	v_add_u32_e32 v19, v19, v1
	v_lshrrev_b32_e32 v24, 8, v32
	v_add_u32_e32 v22, v17, v19
	v_and_b32_e32 v20, 1, v24
	v_sub_u32_e32 v22, v30, v22
	v_and_b32_e32 v18, 1, v33
	v_add_u32_e32 v22, 4, v22
	v_cmp_eq_u32_e32 vcc, 1, v20
	v_cndmask_b32_e32 v19, v22, v19, vcc
	v_cmp_eq_u32_e32 vcc, 1, v18
	v_add_u32_e32 v52, v58, v52
	v_cndmask_b32_e32 v17, v19, v17, vcc
	v_add_u32_e32 v51, v64, v51
	v_lshlrev_b32_e32 v17, 2, v17
	v_sub_u32_e32 v18, v52, v4
	ds_write_b32 v17, v15
	v_sub_u32_e32 v15, v51, v3
	v_add_u32_e32 v18, v18, v1
	v_add_u32_e32 v20, v15, v18
	v_lshrrev_b32_e32 v21, 8, v33
	v_and_b32_sdwa v19, v25, v32 dst_sel:DWORD dst_unused:UNUSED_PAD src0_sel:DWORD src1_sel:WORD_1
	v_sub_u32_e32 v20, v30, v20
	v_and_b32_e32 v17, 1, v21
	v_add_u32_e32 v20, 5, v20
	v_cmp_eq_u32_e32 vcc, 1, v19
	v_cndmask_b32_e32 v18, v20, v18, vcc
	v_cmp_eq_u32_e32 vcc, 1, v17
	v_add_u32_e32 v59, v52, v59
	v_cndmask_b32_e32 v15, v18, v15, vcc
	v_add_u32_e32 v46, v51, v46
	v_lshlrev_b32_e32 v15, 2, v15
	v_sub_u32_e32 v17, v59, v4
	ds_write_b32 v15, v16
	v_sub_u32_e32 v15, v46, v3
	v_add_u32_e32 v17, v17, v1
	v_add_u32_e32 v19, v15, v17
	v_and_b32_e32 v18, 1, v42
	v_sub_u32_e32 v19, v30, v19
	v_and_b32_sdwa v16, v25, v33 dst_sel:DWORD dst_unused:UNUSED_PAD src0_sel:DWORD src1_sel:WORD_1
	v_add_u32_e32 v19, 6, v19
	v_cmp_eq_u32_e32 vcc, 1, v18
	v_cndmask_b32_e32 v17, v19, v17, vcc
	v_cmp_eq_u32_e32 vcc, 1, v16
	v_add_u32_e32 v65, v59, v42
	v_cndmask_b32_e32 v15, v17, v15, vcc
	v_add_u32_e32 v53, v46, v53
	v_lshlrev_b32_e32 v15, 2, v15
	v_sub_u32_e32 v16, v65, v4
	ds_write_b32 v15, v13
	v_sub_u32_e32 v13, v53, v3
	v_add_u32_e32 v16, v16, v1
	v_add_u32_e32 v18, v13, v16
	v_and_b32_e32 v17, 1, v34
	v_sub_u32_e32 v18, v30, v18
	v_and_b32_e32 v15, 1, v41
	v_add_u32_e32 v18, 7, v18
	v_cmp_eq_u32_e32 vcc, 1, v17
	v_cndmask_b32_e32 v16, v18, v16, vcc
	v_cmp_eq_u32_e32 vcc, 1, v15
	v_add_u32_e32 v60, v65, v60
	v_cndmask_b32_e32 v13, v16, v13, vcc
	v_add_u32_e32 v66, v53, v41
	v_lshlrev_b32_e32 v13, 2, v13
	v_sub_u32_e32 v15, v60, v4
	ds_write_b32 v13, v14
	v_sub_u32_e32 v13, v66, v3
	v_add_u32_e32 v15, v15, v1
	v_lshrrev_b32_e32 v8, 8, v34
	v_add_u32_e32 v16, v13, v15
	v_and_b32_e32 v8, 1, v8
	v_sub_u32_e32 v16, v30, v16
	v_and_b32_e32 v14, 1, v36
	v_add_u32_e32 v16, 8, v16
	v_cmp_eq_u32_e32 vcc, 1, v8
	v_cndmask_b32_e32 v8, v16, v15, vcc
	v_cmp_eq_u32_e32 vcc, 1, v14
	v_cndmask_b32_e32 v8, v8, v13, vcc
	v_add_u32_e32 v55, v60, v55
	v_lshlrev_b32_e32 v8, 2, v8
	v_add_u32_e32 v54, v66, v54
	ds_write_b32 v8, v11
	v_sub_u32_e32 v11, v55, v4
	v_sub_u32_e32 v8, v54, v3
	v_add_u32_e32 v11, v11, v1
	v_add_u32_e32 v14, v8, v11
	v_lshrrev_b32_e32 v7, 8, v36
	v_and_b32_sdwa v13, v25, v34 dst_sel:DWORD dst_unused:UNUSED_PAD src0_sel:DWORD src1_sel:WORD_1
	v_sub_u32_e32 v14, v30, v14
	v_and_b32_e32 v7, 1, v7
	v_add_u32_e32 v14, 9, v14
	v_cmp_eq_u32_e32 vcc, 1, v13
	v_cndmask_b32_e32 v11, v14, v11, vcc
	v_cmp_eq_u32_e32 vcc, 1, v7
	v_add_u32_e32 v61, v55, v61
	v_cndmask_b32_e32 v7, v11, v8, vcc
	v_add_u32_e32 v47, v54, v47
	v_lshlrev_b32_e32 v7, 2, v7
	v_sub_u32_e32 v11, v61, v4
	ds_write_b32 v7, v12
	v_sub_u32_e32 v7, v47, v3
	v_add_u32_e32 v11, v11, v1
	v_add_u32_e32 v13, v7, v11
	v_and_b32_e32 v12, 1, v40
	v_sub_u32_e32 v13, v30, v13
	v_and_b32_sdwa v8, v25, v36 dst_sel:DWORD dst_unused:UNUSED_PAD src0_sel:DWORD src1_sel:WORD_1
	v_add_u32_e32 v13, 10, v13
	v_cmp_eq_u32_e32 vcc, 1, v12
	v_cndmask_b32_e32 v11, v13, v11, vcc
	v_cmp_eq_u32_e32 vcc, 1, v8
	v_cndmask_b32_e32 v7, v11, v7, vcc
	v_add_u32_e32 v67, v61, v40
	v_lshlrev_b32_e32 v7, 2, v7
	v_add_u32_e32 v56, v47, v56
	ds_write_b32 v7, v9
	v_sub_u32_e32 v9, v67, v4
	v_sub_u32_e32 v7, v56, v3
	v_add_u32_e32 v9, v9, v1
	v_add_u32_e32 v12, v7, v9
	v_and_b32_e32 v11, 1, v35
	v_sub_u32_e32 v12, v30, v12
	v_and_b32_e32 v8, 1, v39
	v_add_u32_e32 v12, 11, v12
	v_cmp_eq_u32_e32 vcc, 1, v11
	v_add_u32_e32 v62, v67, v62
	v_cndmask_b32_e32 v9, v12, v9, vcc
	v_cmp_eq_u32_e32 vcc, 1, v8
	v_add_u32_e32 v68, v56, v39
	v_cndmask_b32_e32 v7, v9, v7, vcc
	v_sub_u32_e32 v8, v62, v4
	v_lshlrev_b32_e32 v7, 2, v7
	v_sub_u32_e32 v3, v68, v3
	v_add_u32_e32 v8, v8, v1
	ds_write_b32 v7, v10
	v_add_u32_e32 v10, v3, v8
	v_and_b32_e32 v9, 1, v38
	v_sub_u32_e32 v10, v30, v10
	v_and_b32_e32 v7, 1, v37
	v_add_u32_e32 v10, 12, v10
	v_cmp_eq_u32_e32 vcc, 1, v9
	v_cndmask_b32_e32 v8, v10, v8, vcc
	v_cmp_eq_u32_e32 vcc, 1, v7
	v_cndmask_b32_e32 v3, v8, v3, vcc
	v_lshlrev_b32_e32 v3, 2, v3
	ds_write_b32 v3, v29
	v_add_co_u32_e32 v3, vcc, v2, v69
	v_addc_co_u32_e64 v7, s[2:3], 0, 0, vcc
	v_add_co_u32_e32 v3, vcc, v3, v27
	v_addc_co_u32_e32 v7, vcc, v7, v28, vcc
	s_add_u32 s4, s56, s33
	v_add_co_u32_e32 v3, vcc, v3, v5
	s_addc_u32 s5, s57, 0
	v_addc_co_u32_e32 v7, vcc, v7, v6, vcc
	v_mov_b32_e32 v8, s5
	v_sub_co_u32_e32 v3, vcc, s4, v3
	v_subb_co_u32_e32 v11, vcc, v8, v7, vcc
	v_lshlrev_b64 v[7:8], 2, v[27:28]
	v_mov_b32_e32 v9, s55
	v_add_co_u32_e32 v7, vcc, s54, v7
	v_addc_co_u32_e32 v8, vcc, v9, v8, vcc
	v_lshlrev_b64 v[9:10], 2, v[5:6]
	v_mov_b32_e32 v13, s53
	v_add_co_u32_e32 v9, vcc, s52, v9
	v_addc_co_u32_e32 v10, vcc, v13, v10, vcc
	v_add_u32_e32 v12, v1, v2
	s_and_b64 vcc, exec, s[0:1]
	s_mov_b64 s[0:1], -1
	s_waitcnt lgkmcnt(0)
	s_barrier
	s_cbranch_vccz .LBB851_151
; %bb.148:
	s_and_b64 vcc, exec, s[0:1]
	s_cbranch_vccnz .LBB851_256
.LBB851_149:
	v_cmp_eq_u32_e32 vcc, 0, v0
	s_and_b64 s[0:1], vcc, s[34:35]
	s_and_saveexec_b64 s[2:3], s[0:1]
	s_cbranch_execnz .LBB851_374
.LBB851_150:
	s_endpgm
.LBB851_151:
	v_cmp_ge_u32_e32 vcc, v0, v1
	s_and_saveexec_b64 s[0:1], vcc
	s_xor_b64 s[0:1], exec, s[0:1]
	s_cbranch_execz .LBB851_157
; %bb.152:
	v_cmp_ge_u32_e32 vcc, v0, v12
	s_and_saveexec_b64 s[2:3], vcc
	s_xor_b64 s[2:3], exec, s[2:3]
	s_cbranch_execz .LBB851_154
; %bb.153:
	v_add_co_u32_e32 v13, vcc, v3, v0
	v_lshlrev_b32_e32 v15, 2, v0
	v_addc_co_u32_e32 v14, vcc, 0, v11, vcc
	ds_read_b32 v15, v15
	v_lshlrev_b64 v[13:14], 2, v[13:14]
	v_mov_b32_e32 v16, s47
	v_sub_co_u32_e32 v13, vcc, s46, v13
	v_subb_co_u32_e32 v14, vcc, v16, v14, vcc
	s_waitcnt lgkmcnt(0)
	global_store_dword v[13:14], v15, off offset:-4
.LBB851_154:
	s_andn2_saveexec_b64 s[2:3], s[2:3]
	s_cbranch_execz .LBB851_156
; %bb.155:
	v_lshlrev_b32_e32 v13, 2, v0
	ds_read_b32 v14, v13
	v_readfirstlane_b32 s4, v7
	v_readfirstlane_b32 s5, v8
	s_waitcnt lgkmcnt(0)
	s_nop 3
	global_store_dword v13, v14, s[4:5]
.LBB851_156:
	s_or_b64 exec, exec, s[2:3]
.LBB851_157:
	s_andn2_saveexec_b64 s[0:1], s[0:1]
	s_cbranch_execz .LBB851_159
; %bb.158:
	v_lshlrev_b32_e32 v13, 2, v0
	ds_read_b32 v14, v13
	v_readfirstlane_b32 s2, v9
	v_readfirstlane_b32 s3, v10
	s_waitcnt lgkmcnt(0)
	s_nop 3
	global_store_dword v13, v14, s[2:3]
.LBB851_159:
	s_or_b64 exec, exec, s[0:1]
	v_or_b32_e32 v13, 0x100, v0
	v_cmp_ge_u32_e32 vcc, v13, v1
	s_and_saveexec_b64 s[0:1], vcc
	s_xor_b64 s[0:1], exec, s[0:1]
	s_cbranch_execz .LBB851_165
; %bb.160:
	v_cmp_ge_u32_e32 vcc, v13, v12
	s_and_saveexec_b64 s[2:3], vcc
	s_xor_b64 s[2:3], exec, s[2:3]
	s_cbranch_execz .LBB851_162
; %bb.161:
	v_lshlrev_b32_e32 v13, 2, v0
	ds_read_b32 v15, v13 offset:1024
	v_add_co_u32_e32 v13, vcc, v3, v0
	v_addc_co_u32_e32 v14, vcc, 0, v11, vcc
	v_lshlrev_b64 v[13:14], 2, v[13:14]
	v_mov_b32_e32 v16, s47
	v_sub_co_u32_e32 v13, vcc, s46, v13
	v_subb_co_u32_e32 v14, vcc, v16, v14, vcc
	s_waitcnt lgkmcnt(0)
	global_store_dword v[13:14], v15, off offset:-1028
.LBB851_162:
	s_andn2_saveexec_b64 s[2:3], s[2:3]
	s_cbranch_execz .LBB851_164
; %bb.163:
	v_lshlrev_b32_e32 v13, 2, v0
	ds_read_b32 v14, v13 offset:1024
	v_readfirstlane_b32 s4, v7
	v_readfirstlane_b32 s5, v8
	s_waitcnt lgkmcnt(0)
	s_nop 3
	global_store_dword v13, v14, s[4:5] offset:1024
.LBB851_164:
	s_or_b64 exec, exec, s[2:3]
.LBB851_165:
	s_andn2_saveexec_b64 s[0:1], s[0:1]
	s_cbranch_execz .LBB851_167
; %bb.166:
	v_lshlrev_b32_e32 v13, 2, v0
	ds_read_b32 v14, v13 offset:1024
	v_readfirstlane_b32 s2, v9
	v_readfirstlane_b32 s3, v10
	s_waitcnt lgkmcnt(0)
	s_nop 3
	global_store_dword v13, v14, s[2:3] offset:1024
.LBB851_167:
	s_or_b64 exec, exec, s[0:1]
	v_or_b32_e32 v13, 0x200, v0
	v_cmp_ge_u32_e32 vcc, v13, v1
	s_and_saveexec_b64 s[0:1], vcc
	s_xor_b64 s[0:1], exec, s[0:1]
	s_cbranch_execz .LBB851_173
; %bb.168:
	v_cmp_ge_u32_e32 vcc, v13, v12
	s_and_saveexec_b64 s[2:3], vcc
	s_xor_b64 s[2:3], exec, s[2:3]
	s_cbranch_execz .LBB851_170
; %bb.169:
	v_lshlrev_b32_e32 v13, 2, v0
	ds_read_b32 v15, v13 offset:2048
	v_add_co_u32_e32 v13, vcc, v3, v0
	v_addc_co_u32_e32 v14, vcc, 0, v11, vcc
	v_lshlrev_b64 v[13:14], 2, v[13:14]
	v_mov_b32_e32 v16, s47
	v_sub_co_u32_e32 v13, vcc, s46, v13
	v_subb_co_u32_e32 v14, vcc, v16, v14, vcc
	s_waitcnt lgkmcnt(0)
	global_store_dword v[13:14], v15, off offset:-2052
.LBB851_170:
	s_andn2_saveexec_b64 s[2:3], s[2:3]
	s_cbranch_execz .LBB851_172
; %bb.171:
	v_lshlrev_b32_e32 v13, 2, v0
	ds_read_b32 v14, v13 offset:2048
	v_readfirstlane_b32 s4, v7
	v_readfirstlane_b32 s5, v8
	s_waitcnt lgkmcnt(0)
	s_nop 3
	global_store_dword v13, v14, s[4:5] offset:2048
.LBB851_172:
	s_or_b64 exec, exec, s[2:3]
.LBB851_173:
	s_andn2_saveexec_b64 s[0:1], s[0:1]
	s_cbranch_execz .LBB851_175
; %bb.174:
	v_lshlrev_b32_e32 v13, 2, v0
	ds_read_b32 v14, v13 offset:2048
	v_readfirstlane_b32 s2, v9
	v_readfirstlane_b32 s3, v10
	s_waitcnt lgkmcnt(0)
	s_nop 3
	global_store_dword v13, v14, s[2:3] offset:2048
.LBB851_175:
	;; [unrolled: 47-line block ×3, first 2 shown]
	s_or_b64 exec, exec, s[0:1]
	v_or_b32_e32 v13, 0x400, v0
	v_cmp_ge_u32_e32 vcc, v13, v1
	s_and_saveexec_b64 s[0:1], vcc
	s_xor_b64 s[0:1], exec, s[0:1]
	s_cbranch_execz .LBB851_189
; %bb.184:
	v_cmp_ge_u32_e32 vcc, v13, v12
	s_and_saveexec_b64 s[2:3], vcc
	s_xor_b64 s[2:3], exec, s[2:3]
	s_cbranch_execz .LBB851_186
; %bb.185:
	v_lshlrev_b32_e32 v13, 2, v0
	ds_read_b32 v15, v13 offset:4096
	v_add_co_u32_e32 v13, vcc, v3, v0
	v_addc_co_u32_e32 v14, vcc, 0, v11, vcc
	v_lshlrev_b64 v[13:14], 2, v[13:14]
	v_mov_b32_e32 v16, s47
	v_sub_co_u32_e32 v13, vcc, s46, v13
	v_subb_co_u32_e32 v14, vcc, v16, v14, vcc
	v_add_co_u32_e32 v13, vcc, 0xfffff000, v13
	v_addc_co_u32_e32 v14, vcc, -1, v14, vcc
	s_waitcnt lgkmcnt(0)
	global_store_dword v[13:14], v15, off offset:-4
                                        ; implicit-def: $vgpr13
.LBB851_186:
	s_andn2_saveexec_b64 s[2:3], s[2:3]
	s_cbranch_execz .LBB851_188
; %bb.187:
	v_lshlrev_b32_e32 v14, 2, v0
	ds_read_b32 v14, v14 offset:4096
	v_lshlrev_b32_e32 v13, 2, v13
	v_readfirstlane_b32 s4, v7
	v_readfirstlane_b32 s5, v8
	s_waitcnt lgkmcnt(0)
	s_nop 3
	global_store_dword v13, v14, s[4:5]
.LBB851_188:
	s_or_b64 exec, exec, s[2:3]
                                        ; implicit-def: $vgpr13
.LBB851_189:
	s_andn2_saveexec_b64 s[0:1], s[0:1]
	s_cbranch_execz .LBB851_191
; %bb.190:
	v_lshlrev_b32_e32 v14, 2, v0
	ds_read_b32 v14, v14 offset:4096
	v_lshlrev_b32_e32 v13, 2, v13
	v_readfirstlane_b32 s2, v9
	v_readfirstlane_b32 s3, v10
	s_waitcnt lgkmcnt(0)
	s_nop 3
	global_store_dword v13, v14, s[2:3]
.LBB851_191:
	s_or_b64 exec, exec, s[0:1]
	v_or_b32_e32 v13, 0x500, v0
	v_cmp_ge_u32_e32 vcc, v13, v1
	s_and_saveexec_b64 s[0:1], vcc
	s_xor_b64 s[0:1], exec, s[0:1]
	s_cbranch_execz .LBB851_197
; %bb.192:
	v_cmp_ge_u32_e32 vcc, v13, v12
	s_and_saveexec_b64 s[2:3], vcc
	s_xor_b64 s[2:3], exec, s[2:3]
	s_cbranch_execz .LBB851_194
; %bb.193:
	v_add_co_u32_e32 v13, vcc, v3, v13
	v_lshlrev_b32_e32 v15, 2, v0
	v_addc_co_u32_e32 v14, vcc, 0, v11, vcc
	ds_read_b32 v15, v15 offset:5120
	v_lshlrev_b64 v[13:14], 2, v[13:14]
	v_mov_b32_e32 v16, s47
	v_sub_co_u32_e32 v13, vcc, s46, v13
	v_subb_co_u32_e32 v14, vcc, v16, v14, vcc
	s_waitcnt lgkmcnt(0)
	global_store_dword v[13:14], v15, off offset:-4
                                        ; implicit-def: $vgpr13
.LBB851_194:
	s_andn2_saveexec_b64 s[2:3], s[2:3]
	s_cbranch_execz .LBB851_196
; %bb.195:
	v_lshlrev_b32_e32 v14, 2, v0
	ds_read_b32 v14, v14 offset:5120
	v_lshlrev_b32_e32 v13, 2, v13
	v_readfirstlane_b32 s4, v7
	v_readfirstlane_b32 s5, v8
	s_waitcnt lgkmcnt(0)
	s_nop 3
	global_store_dword v13, v14, s[4:5]
.LBB851_196:
	s_or_b64 exec, exec, s[2:3]
                                        ; implicit-def: $vgpr13
.LBB851_197:
	s_andn2_saveexec_b64 s[0:1], s[0:1]
	s_cbranch_execz .LBB851_199
; %bb.198:
	v_lshlrev_b32_e32 v14, 2, v0
	ds_read_b32 v14, v14 offset:5120
	v_lshlrev_b32_e32 v13, 2, v13
	v_readfirstlane_b32 s2, v9
	v_readfirstlane_b32 s3, v10
	s_waitcnt lgkmcnt(0)
	s_nop 3
	global_store_dword v13, v14, s[2:3]
.LBB851_199:
	s_or_b64 exec, exec, s[0:1]
	v_or_b32_e32 v13, 0x600, v0
	v_cmp_ge_u32_e32 vcc, v13, v1
	s_and_saveexec_b64 s[0:1], vcc
	s_xor_b64 s[0:1], exec, s[0:1]
	s_cbranch_execz .LBB851_205
; %bb.200:
	v_cmp_ge_u32_e32 vcc, v13, v12
	s_and_saveexec_b64 s[2:3], vcc
	s_xor_b64 s[2:3], exec, s[2:3]
	s_cbranch_execz .LBB851_202
; %bb.201:
	v_add_co_u32_e32 v13, vcc, v3, v13
	v_lshlrev_b32_e32 v15, 2, v0
	v_addc_co_u32_e32 v14, vcc, 0, v11, vcc
	ds_read_b32 v15, v15 offset:6144
	v_lshlrev_b64 v[13:14], 2, v[13:14]
	v_mov_b32_e32 v16, s47
	v_sub_co_u32_e32 v13, vcc, s46, v13
	v_subb_co_u32_e32 v14, vcc, v16, v14, vcc
	s_waitcnt lgkmcnt(0)
	global_store_dword v[13:14], v15, off offset:-4
                                        ; implicit-def: $vgpr13
.LBB851_202:
	s_andn2_saveexec_b64 s[2:3], s[2:3]
	s_cbranch_execz .LBB851_204
; %bb.203:
	v_lshlrev_b32_e32 v14, 2, v0
	ds_read_b32 v14, v14 offset:6144
	v_lshlrev_b32_e32 v13, 2, v13
	v_readfirstlane_b32 s4, v7
	v_readfirstlane_b32 s5, v8
	s_waitcnt lgkmcnt(0)
	s_nop 3
	global_store_dword v13, v14, s[4:5]
.LBB851_204:
	s_or_b64 exec, exec, s[2:3]
                                        ; implicit-def: $vgpr13
.LBB851_205:
	;; [unrolled: 51-line block ×8, first 2 shown]
	s_andn2_saveexec_b64 s[0:1], s[0:1]
	s_cbranch_execz .LBB851_255
; %bb.254:
	v_lshlrev_b32_e32 v14, 2, v0
	ds_read_b32 v14, v14 offset:12288
	v_lshlrev_b32_e32 v13, 2, v13
	v_readfirstlane_b32 s2, v9
	v_readfirstlane_b32 s3, v10
	s_waitcnt lgkmcnt(0)
	s_nop 3
	global_store_dword v13, v14, s[2:3]
.LBB851_255:
	s_or_b64 exec, exec, s[0:1]
	s_branch .LBB851_149
.LBB851_256:
	v_cmp_gt_u32_e32 vcc, s18, v0
	s_and_saveexec_b64 s[0:1], vcc
	s_cbranch_execz .LBB851_265
; %bb.257:
	v_cmp_ge_u32_e32 vcc, v0, v1
	s_and_saveexec_b64 s[2:3], vcc
	s_xor_b64 s[2:3], exec, s[2:3]
	s_cbranch_execz .LBB851_263
; %bb.258:
	v_cmp_ge_u32_e32 vcc, v0, v12
	s_and_saveexec_b64 s[4:5], vcc
	s_xor_b64 s[4:5], exec, s[4:5]
	s_cbranch_execz .LBB851_260
; %bb.259:
	v_add_co_u32_e32 v13, vcc, v3, v0
	v_lshlrev_b32_e32 v15, 2, v0
	v_addc_co_u32_e32 v14, vcc, 0, v11, vcc
	ds_read_b32 v15, v15
	v_lshlrev_b64 v[13:14], 2, v[13:14]
	v_mov_b32_e32 v16, s47
	v_sub_co_u32_e32 v13, vcc, s46, v13
	v_subb_co_u32_e32 v14, vcc, v16, v14, vcc
	s_waitcnt lgkmcnt(0)
	global_store_dword v[13:14], v15, off offset:-4
.LBB851_260:
	s_andn2_saveexec_b64 s[4:5], s[4:5]
	s_cbranch_execz .LBB851_262
; %bb.261:
	v_lshlrev_b32_e32 v13, 2, v0
	ds_read_b32 v14, v13
	v_readfirstlane_b32 s6, v7
	v_readfirstlane_b32 s7, v8
	s_waitcnt lgkmcnt(0)
	s_nop 3
	global_store_dword v13, v14, s[6:7]
.LBB851_262:
	s_or_b64 exec, exec, s[4:5]
.LBB851_263:
	s_andn2_saveexec_b64 s[2:3], s[2:3]
	s_cbranch_execz .LBB851_265
; %bb.264:
	v_lshlrev_b32_e32 v13, 2, v0
	ds_read_b32 v14, v13
	v_readfirstlane_b32 s2, v9
	v_readfirstlane_b32 s3, v10
	s_waitcnt lgkmcnt(0)
	s_nop 3
	global_store_dword v13, v14, s[2:3]
.LBB851_265:
	s_or_b64 exec, exec, s[0:1]
	v_or_b32_e32 v13, 0x100, v0
	v_cmp_gt_u32_e32 vcc, s18, v13
	s_and_saveexec_b64 s[0:1], vcc
	s_cbranch_execz .LBB851_274
; %bb.266:
	v_cmp_ge_u32_e32 vcc, v13, v1
	s_and_saveexec_b64 s[2:3], vcc
	s_xor_b64 s[2:3], exec, s[2:3]
	s_cbranch_execz .LBB851_272
; %bb.267:
	v_cmp_ge_u32_e32 vcc, v13, v12
	s_and_saveexec_b64 s[4:5], vcc
	s_xor_b64 s[4:5], exec, s[4:5]
	s_cbranch_execz .LBB851_269
; %bb.268:
	v_lshlrev_b32_e32 v13, 2, v0
	ds_read_b32 v15, v13 offset:1024
	v_add_co_u32_e32 v13, vcc, v3, v0
	v_addc_co_u32_e32 v14, vcc, 0, v11, vcc
	v_lshlrev_b64 v[13:14], 2, v[13:14]
	v_mov_b32_e32 v16, s47
	v_sub_co_u32_e32 v13, vcc, s46, v13
	v_subb_co_u32_e32 v14, vcc, v16, v14, vcc
	s_waitcnt lgkmcnt(0)
	global_store_dword v[13:14], v15, off offset:-1028
.LBB851_269:
	s_andn2_saveexec_b64 s[4:5], s[4:5]
	s_cbranch_execz .LBB851_271
; %bb.270:
	v_lshlrev_b32_e32 v13, 2, v0
	ds_read_b32 v14, v13 offset:1024
	v_readfirstlane_b32 s6, v7
	v_readfirstlane_b32 s7, v8
	s_waitcnt lgkmcnt(0)
	s_nop 3
	global_store_dword v13, v14, s[6:7] offset:1024
.LBB851_271:
	s_or_b64 exec, exec, s[4:5]
.LBB851_272:
	s_andn2_saveexec_b64 s[2:3], s[2:3]
	s_cbranch_execz .LBB851_274
; %bb.273:
	v_lshlrev_b32_e32 v13, 2, v0
	ds_read_b32 v14, v13 offset:1024
	v_readfirstlane_b32 s2, v9
	v_readfirstlane_b32 s3, v10
	s_waitcnt lgkmcnt(0)
	s_nop 3
	global_store_dword v13, v14, s[2:3] offset:1024
.LBB851_274:
	s_or_b64 exec, exec, s[0:1]
	v_or_b32_e32 v13, 0x200, v0
	v_cmp_gt_u32_e32 vcc, s18, v13
	s_and_saveexec_b64 s[0:1], vcc
	s_cbranch_execz .LBB851_283
; %bb.275:
	v_cmp_ge_u32_e32 vcc, v13, v1
	s_and_saveexec_b64 s[2:3], vcc
	s_xor_b64 s[2:3], exec, s[2:3]
	s_cbranch_execz .LBB851_281
; %bb.276:
	v_cmp_ge_u32_e32 vcc, v13, v12
	s_and_saveexec_b64 s[4:5], vcc
	s_xor_b64 s[4:5], exec, s[4:5]
	s_cbranch_execz .LBB851_278
; %bb.277:
	v_lshlrev_b32_e32 v13, 2, v0
	ds_read_b32 v15, v13 offset:2048
	v_add_co_u32_e32 v13, vcc, v3, v0
	v_addc_co_u32_e32 v14, vcc, 0, v11, vcc
	v_lshlrev_b64 v[13:14], 2, v[13:14]
	v_mov_b32_e32 v16, s47
	v_sub_co_u32_e32 v13, vcc, s46, v13
	v_subb_co_u32_e32 v14, vcc, v16, v14, vcc
	s_waitcnt lgkmcnt(0)
	global_store_dword v[13:14], v15, off offset:-2052
.LBB851_278:
	s_andn2_saveexec_b64 s[4:5], s[4:5]
	s_cbranch_execz .LBB851_280
; %bb.279:
	v_lshlrev_b32_e32 v13, 2, v0
	ds_read_b32 v14, v13 offset:2048
	v_readfirstlane_b32 s6, v7
	v_readfirstlane_b32 s7, v8
	s_waitcnt lgkmcnt(0)
	s_nop 3
	global_store_dword v13, v14, s[6:7] offset:2048
.LBB851_280:
	s_or_b64 exec, exec, s[4:5]
.LBB851_281:
	s_andn2_saveexec_b64 s[2:3], s[2:3]
	s_cbranch_execz .LBB851_283
; %bb.282:
	v_lshlrev_b32_e32 v13, 2, v0
	ds_read_b32 v14, v13 offset:2048
	v_readfirstlane_b32 s2, v9
	v_readfirstlane_b32 s3, v10
	s_waitcnt lgkmcnt(0)
	s_nop 3
	global_store_dword v13, v14, s[2:3] offset:2048
.LBB851_283:
	;; [unrolled: 51-line block ×3, first 2 shown]
	s_or_b64 exec, exec, s[0:1]
	v_or_b32_e32 v13, 0x400, v0
	v_cmp_gt_u32_e32 vcc, s18, v13
	s_and_saveexec_b64 s[0:1], vcc
	s_cbranch_execz .LBB851_301
; %bb.293:
	v_cmp_ge_u32_e32 vcc, v13, v1
	s_and_saveexec_b64 s[2:3], vcc
	s_xor_b64 s[2:3], exec, s[2:3]
	s_cbranch_execz .LBB851_299
; %bb.294:
	v_cmp_ge_u32_e32 vcc, v13, v12
	s_and_saveexec_b64 s[4:5], vcc
	s_xor_b64 s[4:5], exec, s[4:5]
	s_cbranch_execz .LBB851_296
; %bb.295:
	v_lshlrev_b32_e32 v13, 2, v0
	ds_read_b32 v15, v13 offset:4096
	v_add_co_u32_e32 v13, vcc, v3, v0
	v_addc_co_u32_e32 v14, vcc, 0, v11, vcc
	v_lshlrev_b64 v[13:14], 2, v[13:14]
	v_mov_b32_e32 v16, s47
	v_sub_co_u32_e32 v13, vcc, s46, v13
	v_subb_co_u32_e32 v14, vcc, v16, v14, vcc
	v_add_co_u32_e32 v13, vcc, 0xfffff000, v13
	v_addc_co_u32_e32 v14, vcc, -1, v14, vcc
	s_waitcnt lgkmcnt(0)
	global_store_dword v[13:14], v15, off offset:-4
                                        ; implicit-def: $vgpr13
.LBB851_296:
	s_andn2_saveexec_b64 s[4:5], s[4:5]
	s_cbranch_execz .LBB851_298
; %bb.297:
	v_lshlrev_b32_e32 v14, 2, v0
	ds_read_b32 v14, v14 offset:4096
	v_lshlrev_b32_e32 v13, 2, v13
	v_readfirstlane_b32 s6, v7
	v_readfirstlane_b32 s7, v8
	s_waitcnt lgkmcnt(0)
	s_nop 3
	global_store_dword v13, v14, s[6:7]
.LBB851_298:
	s_or_b64 exec, exec, s[4:5]
                                        ; implicit-def: $vgpr13
.LBB851_299:
	s_andn2_saveexec_b64 s[2:3], s[2:3]
	s_cbranch_execz .LBB851_301
; %bb.300:
	v_lshlrev_b32_e32 v14, 2, v0
	ds_read_b32 v14, v14 offset:4096
	v_lshlrev_b32_e32 v13, 2, v13
	v_readfirstlane_b32 s2, v9
	v_readfirstlane_b32 s3, v10
	s_waitcnt lgkmcnt(0)
	s_nop 3
	global_store_dword v13, v14, s[2:3]
.LBB851_301:
	s_or_b64 exec, exec, s[0:1]
	v_or_b32_e32 v13, 0x500, v0
	v_cmp_gt_u32_e32 vcc, s18, v13
	s_and_saveexec_b64 s[0:1], vcc
	s_cbranch_execz .LBB851_310
; %bb.302:
	v_cmp_ge_u32_e32 vcc, v13, v1
	s_and_saveexec_b64 s[2:3], vcc
	s_xor_b64 s[2:3], exec, s[2:3]
	s_cbranch_execz .LBB851_308
; %bb.303:
	v_cmp_ge_u32_e32 vcc, v13, v12
	s_and_saveexec_b64 s[4:5], vcc
	s_xor_b64 s[4:5], exec, s[4:5]
	s_cbranch_execz .LBB851_305
; %bb.304:
	v_add_co_u32_e32 v13, vcc, v3, v13
	v_lshlrev_b32_e32 v15, 2, v0
	v_addc_co_u32_e32 v14, vcc, 0, v11, vcc
	ds_read_b32 v15, v15 offset:5120
	v_lshlrev_b64 v[13:14], 2, v[13:14]
	v_mov_b32_e32 v16, s47
	v_sub_co_u32_e32 v13, vcc, s46, v13
	v_subb_co_u32_e32 v14, vcc, v16, v14, vcc
	s_waitcnt lgkmcnt(0)
	global_store_dword v[13:14], v15, off offset:-4
                                        ; implicit-def: $vgpr13
.LBB851_305:
	s_andn2_saveexec_b64 s[4:5], s[4:5]
	s_cbranch_execz .LBB851_307
; %bb.306:
	v_lshlrev_b32_e32 v14, 2, v0
	ds_read_b32 v14, v14 offset:5120
	v_lshlrev_b32_e32 v13, 2, v13
	v_readfirstlane_b32 s6, v7
	v_readfirstlane_b32 s7, v8
	s_waitcnt lgkmcnt(0)
	s_nop 3
	global_store_dword v13, v14, s[6:7]
.LBB851_307:
	s_or_b64 exec, exec, s[4:5]
                                        ; implicit-def: $vgpr13
.LBB851_308:
	s_andn2_saveexec_b64 s[2:3], s[2:3]
	s_cbranch_execz .LBB851_310
; %bb.309:
	v_lshlrev_b32_e32 v14, 2, v0
	ds_read_b32 v14, v14 offset:5120
	v_lshlrev_b32_e32 v13, 2, v13
	v_readfirstlane_b32 s2, v9
	v_readfirstlane_b32 s3, v10
	s_waitcnt lgkmcnt(0)
	s_nop 3
	global_store_dword v13, v14, s[2:3]
.LBB851_310:
	s_or_b64 exec, exec, s[0:1]
	v_or_b32_e32 v13, 0x600, v0
	v_cmp_gt_u32_e32 vcc, s18, v13
	s_and_saveexec_b64 s[0:1], vcc
	s_cbranch_execz .LBB851_319
; %bb.311:
	v_cmp_ge_u32_e32 vcc, v13, v1
	s_and_saveexec_b64 s[2:3], vcc
	s_xor_b64 s[2:3], exec, s[2:3]
	s_cbranch_execz .LBB851_317
; %bb.312:
	v_cmp_ge_u32_e32 vcc, v13, v12
	s_and_saveexec_b64 s[4:5], vcc
	s_xor_b64 s[4:5], exec, s[4:5]
	s_cbranch_execz .LBB851_314
; %bb.313:
	v_add_co_u32_e32 v13, vcc, v3, v13
	v_lshlrev_b32_e32 v15, 2, v0
	v_addc_co_u32_e32 v14, vcc, 0, v11, vcc
	ds_read_b32 v15, v15 offset:6144
	v_lshlrev_b64 v[13:14], 2, v[13:14]
	v_mov_b32_e32 v16, s47
	v_sub_co_u32_e32 v13, vcc, s46, v13
	v_subb_co_u32_e32 v14, vcc, v16, v14, vcc
	s_waitcnt lgkmcnt(0)
	global_store_dword v[13:14], v15, off offset:-4
                                        ; implicit-def: $vgpr13
.LBB851_314:
	s_andn2_saveexec_b64 s[4:5], s[4:5]
	s_cbranch_execz .LBB851_316
; %bb.315:
	v_lshlrev_b32_e32 v14, 2, v0
	ds_read_b32 v14, v14 offset:6144
	v_lshlrev_b32_e32 v13, 2, v13
	v_readfirstlane_b32 s6, v7
	v_readfirstlane_b32 s7, v8
	s_waitcnt lgkmcnt(0)
	s_nop 3
	global_store_dword v13, v14, s[6:7]
.LBB851_316:
	s_or_b64 exec, exec, s[4:5]
                                        ; implicit-def: $vgpr13
.LBB851_317:
	s_andn2_saveexec_b64 s[2:3], s[2:3]
	s_cbranch_execz .LBB851_319
; %bb.318:
	v_lshlrev_b32_e32 v14, 2, v0
	ds_read_b32 v14, v14 offset:6144
	v_lshlrev_b32_e32 v13, 2, v13
	v_readfirstlane_b32 s2, v9
	v_readfirstlane_b32 s3, v10
	s_waitcnt lgkmcnt(0)
	s_nop 3
	global_store_dword v13, v14, s[2:3]
.LBB851_319:
	;; [unrolled: 55-line block ×7, first 2 shown]
	s_or_b64 exec, exec, s[0:1]
	v_or_b32_e32 v13, 0xc00, v0
	v_cmp_gt_u32_e32 vcc, s18, v13
	s_and_saveexec_b64 s[0:1], vcc
	s_cbranch_execz .LBB851_373
; %bb.365:
	v_cmp_ge_u32_e32 vcc, v13, v1
	s_and_saveexec_b64 s[2:3], vcc
	s_xor_b64 s[2:3], exec, s[2:3]
	s_cbranch_execz .LBB851_371
; %bb.366:
	v_cmp_ge_u32_e32 vcc, v13, v12
	s_and_saveexec_b64 s[4:5], vcc
	s_xor_b64 s[4:5], exec, s[4:5]
	s_cbranch_execz .LBB851_368
; %bb.367:
	v_add_co_u32_e32 v7, vcc, v3, v13
	v_lshlrev_b32_e32 v3, 2, v0
	v_addc_co_u32_e32 v8, vcc, 0, v11, vcc
	ds_read_b32 v3, v3 offset:12288
	v_lshlrev_b64 v[7:8], 2, v[7:8]
	v_mov_b32_e32 v9, s47
	v_sub_co_u32_e32 v7, vcc, s46, v7
	v_subb_co_u32_e32 v8, vcc, v9, v8, vcc
	s_waitcnt lgkmcnt(0)
	global_store_dword v[7:8], v3, off offset:-4
                                        ; implicit-def: $vgpr13
                                        ; implicit-def: $vgpr7_vgpr8
.LBB851_368:
	s_andn2_saveexec_b64 s[4:5], s[4:5]
	s_cbranch_execz .LBB851_370
; %bb.369:
	v_lshlrev_b32_e32 v3, 2, v0
	ds_read_b32 v3, v3 offset:12288
	v_lshlrev_b32_e32 v9, 2, v13
	v_readfirstlane_b32 s6, v7
	v_readfirstlane_b32 s7, v8
	s_waitcnt lgkmcnt(0)
	s_nop 3
	global_store_dword v9, v3, s[6:7]
.LBB851_370:
	s_or_b64 exec, exec, s[4:5]
                                        ; implicit-def: $vgpr13
                                        ; implicit-def: $vgpr9_vgpr10
.LBB851_371:
	s_andn2_saveexec_b64 s[2:3], s[2:3]
	s_cbranch_execz .LBB851_373
; %bb.372:
	v_lshlrev_b32_e32 v3, 2, v0
	ds_read_b32 v3, v3 offset:12288
	v_lshlrev_b32_e32 v7, 2, v13
	v_readfirstlane_b32 s2, v9
	v_readfirstlane_b32 s3, v10
	s_waitcnt lgkmcnt(0)
	s_nop 3
	global_store_dword v7, v3, s[2:3]
.LBB851_373:
	s_or_b64 exec, exec, s[0:1]
	v_cmp_eq_u32_e32 vcc, 0, v0
	s_and_b64 s[0:1], vcc, s[34:35]
	s_and_saveexec_b64 s[2:3], s[0:1]
	s_cbranch_execz .LBB851_150
.LBB851_374:
	v_mov_b32_e32 v0, s51
	v_add_co_u32_e32 v2, vcc, s50, v2
	v_addc_co_u32_e32 v0, vcc, 0, v0, vcc
	v_add_co_u32_e32 v2, vcc, v2, v4
	v_addc_co_u32_e32 v3, vcc, 0, v0, vcc
	v_add_co_u32_e32 v0, vcc, v5, v1
	v_mov_b32_e32 v7, 0
	v_addc_co_u32_e32 v1, vcc, 0, v6, vcc
	global_store_dwordx4 v7, v[0:3], s[44:45]
	s_endpgm
.LBB851_375:
	s_add_i32 s6, s6, 64
	s_mov_b32 s7, 0
	s_lshl_b64 s[6:7], s[6:7], 4
	s_add_u32 s6, s12, s6
	s_addc_u32 s7, s13, s7
	v_mov_b32_e32 v24, s7
	v_add_u32_e32 v6, v4, v2
	v_add_u32_e32 v5, v3, v1
	v_mov_b32_e32 v7, 2
	v_mov_b32_e32 v8, 0
	;; [unrolled: 1-line block ×3, first 2 shown]
	;;#ASMSTART
	global_store_dwordx4 v[23:24], v[5:8] off	
s_waitcnt vmcnt(0)
	;;#ASMEND
	s_or_b64 exec, exec, s[14:15]
	s_and_saveexec_b64 s[6:7], s[8:9]
	s_cbranch_execz .LBB851_135
.LBB851_376:
	v_mov_b32_e32 v5, 0
	ds_write_b128 v5, v[1:4] offset:13312
	s_or_b64 exec, exec, s[6:7]
	v_cmp_eq_u32_e32 vcc, 0, v0
	s_and_b64 exec, exec, vcc
	s_cbranch_execnz .LBB851_136
	s_branch .LBB851_137
	.section	.rodata,"a",@progbits
	.p2align	6, 0x0
	.amdhsa_kernel _ZN7rocprim17ROCPRIM_400000_NS6detail17trampoline_kernelINS0_13select_configILj256ELj13ELNS0_17block_load_methodE3ELS4_3ELS4_3ELNS0_20block_scan_algorithmE0ELj4294967295EEENS1_25partition_config_selectorILNS1_17partition_subalgoE4EjNS0_10empty_typeEbEEZZNS1_14partition_implILS8_4ELb0ES6_15HIP_vector_typeIjLj2EENS0_17counting_iteratorIjlEEPS9_SG_NS0_5tupleIJPjSI_NS0_16reverse_iteratorISI_EEEEENSH_IJSG_SG_SG_EEES9_SI_JZNS1_25segmented_radix_sort_implINS0_14default_configELb1EPKsPsPKlPlN2at6native12_GLOBAL__N_18offset_tEEE10hipError_tPvRmT1_PNSt15iterator_traitsIS12_E10value_typeET2_T3_PNS13_IS18_E10value_typeET4_jRbjT5_S1E_jjP12ihipStream_tbEUljE_ZNSN_ISO_Lb1ESQ_SR_ST_SU_SY_EESZ_S10_S11_S12_S16_S17_S18_S1B_S1C_jS1D_jS1E_S1E_jjS1G_bEUljE0_EEESZ_S10_S11_S18_S1C_S1E_T6_T7_T9_mT8_S1G_bDpT10_ENKUlT_T0_E_clISt17integral_constantIbLb0EES1U_EEDaS1P_S1Q_EUlS1P_E_NS1_11comp_targetILNS1_3genE2ELNS1_11target_archE906ELNS1_3gpuE6ELNS1_3repE0EEENS1_30default_config_static_selectorELNS0_4arch9wavefront6targetE1EEEvS12_
		.amdhsa_group_segment_fixed_size 13328
		.amdhsa_private_segment_fixed_size 0
		.amdhsa_kernarg_size 176
		.amdhsa_user_sgpr_count 6
		.amdhsa_user_sgpr_private_segment_buffer 1
		.amdhsa_user_sgpr_dispatch_ptr 0
		.amdhsa_user_sgpr_queue_ptr 0
		.amdhsa_user_sgpr_kernarg_segment_ptr 1
		.amdhsa_user_sgpr_dispatch_id 0
		.amdhsa_user_sgpr_flat_scratch_init 0
		.amdhsa_user_sgpr_private_segment_size 0
		.amdhsa_uses_dynamic_stack 0
		.amdhsa_system_sgpr_private_segment_wavefront_offset 0
		.amdhsa_system_sgpr_workgroup_id_x 1
		.amdhsa_system_sgpr_workgroup_id_y 0
		.amdhsa_system_sgpr_workgroup_id_z 0
		.amdhsa_system_sgpr_workgroup_info 0
		.amdhsa_system_vgpr_workitem_id 0
		.amdhsa_next_free_vgpr 86
		.amdhsa_next_free_sgpr 98
		.amdhsa_reserve_vcc 1
		.amdhsa_reserve_flat_scratch 0
		.amdhsa_float_round_mode_32 0
		.amdhsa_float_round_mode_16_64 0
		.amdhsa_float_denorm_mode_32 3
		.amdhsa_float_denorm_mode_16_64 3
		.amdhsa_dx10_clamp 1
		.amdhsa_ieee_mode 1
		.amdhsa_fp16_overflow 0
		.amdhsa_exception_fp_ieee_invalid_op 0
		.amdhsa_exception_fp_denorm_src 0
		.amdhsa_exception_fp_ieee_div_zero 0
		.amdhsa_exception_fp_ieee_overflow 0
		.amdhsa_exception_fp_ieee_underflow 0
		.amdhsa_exception_fp_ieee_inexact 0
		.amdhsa_exception_int_div_zero 0
	.end_amdhsa_kernel
	.section	.text._ZN7rocprim17ROCPRIM_400000_NS6detail17trampoline_kernelINS0_13select_configILj256ELj13ELNS0_17block_load_methodE3ELS4_3ELS4_3ELNS0_20block_scan_algorithmE0ELj4294967295EEENS1_25partition_config_selectorILNS1_17partition_subalgoE4EjNS0_10empty_typeEbEEZZNS1_14partition_implILS8_4ELb0ES6_15HIP_vector_typeIjLj2EENS0_17counting_iteratorIjlEEPS9_SG_NS0_5tupleIJPjSI_NS0_16reverse_iteratorISI_EEEEENSH_IJSG_SG_SG_EEES9_SI_JZNS1_25segmented_radix_sort_implINS0_14default_configELb1EPKsPsPKlPlN2at6native12_GLOBAL__N_18offset_tEEE10hipError_tPvRmT1_PNSt15iterator_traitsIS12_E10value_typeET2_T3_PNS13_IS18_E10value_typeET4_jRbjT5_S1E_jjP12ihipStream_tbEUljE_ZNSN_ISO_Lb1ESQ_SR_ST_SU_SY_EESZ_S10_S11_S12_S16_S17_S18_S1B_S1C_jS1D_jS1E_S1E_jjS1G_bEUljE0_EEESZ_S10_S11_S18_S1C_S1E_T6_T7_T9_mT8_S1G_bDpT10_ENKUlT_T0_E_clISt17integral_constantIbLb0EES1U_EEDaS1P_S1Q_EUlS1P_E_NS1_11comp_targetILNS1_3genE2ELNS1_11target_archE906ELNS1_3gpuE6ELNS1_3repE0EEENS1_30default_config_static_selectorELNS0_4arch9wavefront6targetE1EEEvS12_,"axG",@progbits,_ZN7rocprim17ROCPRIM_400000_NS6detail17trampoline_kernelINS0_13select_configILj256ELj13ELNS0_17block_load_methodE3ELS4_3ELS4_3ELNS0_20block_scan_algorithmE0ELj4294967295EEENS1_25partition_config_selectorILNS1_17partition_subalgoE4EjNS0_10empty_typeEbEEZZNS1_14partition_implILS8_4ELb0ES6_15HIP_vector_typeIjLj2EENS0_17counting_iteratorIjlEEPS9_SG_NS0_5tupleIJPjSI_NS0_16reverse_iteratorISI_EEEEENSH_IJSG_SG_SG_EEES9_SI_JZNS1_25segmented_radix_sort_implINS0_14default_configELb1EPKsPsPKlPlN2at6native12_GLOBAL__N_18offset_tEEE10hipError_tPvRmT1_PNSt15iterator_traitsIS12_E10value_typeET2_T3_PNS13_IS18_E10value_typeET4_jRbjT5_S1E_jjP12ihipStream_tbEUljE_ZNSN_ISO_Lb1ESQ_SR_ST_SU_SY_EESZ_S10_S11_S12_S16_S17_S18_S1B_S1C_jS1D_jS1E_S1E_jjS1G_bEUljE0_EEESZ_S10_S11_S18_S1C_S1E_T6_T7_T9_mT8_S1G_bDpT10_ENKUlT_T0_E_clISt17integral_constantIbLb0EES1U_EEDaS1P_S1Q_EUlS1P_E_NS1_11comp_targetILNS1_3genE2ELNS1_11target_archE906ELNS1_3gpuE6ELNS1_3repE0EEENS1_30default_config_static_selectorELNS0_4arch9wavefront6targetE1EEEvS12_,comdat
.Lfunc_end851:
	.size	_ZN7rocprim17ROCPRIM_400000_NS6detail17trampoline_kernelINS0_13select_configILj256ELj13ELNS0_17block_load_methodE3ELS4_3ELS4_3ELNS0_20block_scan_algorithmE0ELj4294967295EEENS1_25partition_config_selectorILNS1_17partition_subalgoE4EjNS0_10empty_typeEbEEZZNS1_14partition_implILS8_4ELb0ES6_15HIP_vector_typeIjLj2EENS0_17counting_iteratorIjlEEPS9_SG_NS0_5tupleIJPjSI_NS0_16reverse_iteratorISI_EEEEENSH_IJSG_SG_SG_EEES9_SI_JZNS1_25segmented_radix_sort_implINS0_14default_configELb1EPKsPsPKlPlN2at6native12_GLOBAL__N_18offset_tEEE10hipError_tPvRmT1_PNSt15iterator_traitsIS12_E10value_typeET2_T3_PNS13_IS18_E10value_typeET4_jRbjT5_S1E_jjP12ihipStream_tbEUljE_ZNSN_ISO_Lb1ESQ_SR_ST_SU_SY_EESZ_S10_S11_S12_S16_S17_S18_S1B_S1C_jS1D_jS1E_S1E_jjS1G_bEUljE0_EEESZ_S10_S11_S18_S1C_S1E_T6_T7_T9_mT8_S1G_bDpT10_ENKUlT_T0_E_clISt17integral_constantIbLb0EES1U_EEDaS1P_S1Q_EUlS1P_E_NS1_11comp_targetILNS1_3genE2ELNS1_11target_archE906ELNS1_3gpuE6ELNS1_3repE0EEENS1_30default_config_static_selectorELNS0_4arch9wavefront6targetE1EEEvS12_, .Lfunc_end851-_ZN7rocprim17ROCPRIM_400000_NS6detail17trampoline_kernelINS0_13select_configILj256ELj13ELNS0_17block_load_methodE3ELS4_3ELS4_3ELNS0_20block_scan_algorithmE0ELj4294967295EEENS1_25partition_config_selectorILNS1_17partition_subalgoE4EjNS0_10empty_typeEbEEZZNS1_14partition_implILS8_4ELb0ES6_15HIP_vector_typeIjLj2EENS0_17counting_iteratorIjlEEPS9_SG_NS0_5tupleIJPjSI_NS0_16reverse_iteratorISI_EEEEENSH_IJSG_SG_SG_EEES9_SI_JZNS1_25segmented_radix_sort_implINS0_14default_configELb1EPKsPsPKlPlN2at6native12_GLOBAL__N_18offset_tEEE10hipError_tPvRmT1_PNSt15iterator_traitsIS12_E10value_typeET2_T3_PNS13_IS18_E10value_typeET4_jRbjT5_S1E_jjP12ihipStream_tbEUljE_ZNSN_ISO_Lb1ESQ_SR_ST_SU_SY_EESZ_S10_S11_S12_S16_S17_S18_S1B_S1C_jS1D_jS1E_S1E_jjS1G_bEUljE0_EEESZ_S10_S11_S18_S1C_S1E_T6_T7_T9_mT8_S1G_bDpT10_ENKUlT_T0_E_clISt17integral_constantIbLb0EES1U_EEDaS1P_S1Q_EUlS1P_E_NS1_11comp_targetILNS1_3genE2ELNS1_11target_archE906ELNS1_3gpuE6ELNS1_3repE0EEENS1_30default_config_static_selectorELNS0_4arch9wavefront6targetE1EEEvS12_
                                        ; -- End function
	.set _ZN7rocprim17ROCPRIM_400000_NS6detail17trampoline_kernelINS0_13select_configILj256ELj13ELNS0_17block_load_methodE3ELS4_3ELS4_3ELNS0_20block_scan_algorithmE0ELj4294967295EEENS1_25partition_config_selectorILNS1_17partition_subalgoE4EjNS0_10empty_typeEbEEZZNS1_14partition_implILS8_4ELb0ES6_15HIP_vector_typeIjLj2EENS0_17counting_iteratorIjlEEPS9_SG_NS0_5tupleIJPjSI_NS0_16reverse_iteratorISI_EEEEENSH_IJSG_SG_SG_EEES9_SI_JZNS1_25segmented_radix_sort_implINS0_14default_configELb1EPKsPsPKlPlN2at6native12_GLOBAL__N_18offset_tEEE10hipError_tPvRmT1_PNSt15iterator_traitsIS12_E10value_typeET2_T3_PNS13_IS18_E10value_typeET4_jRbjT5_S1E_jjP12ihipStream_tbEUljE_ZNSN_ISO_Lb1ESQ_SR_ST_SU_SY_EESZ_S10_S11_S12_S16_S17_S18_S1B_S1C_jS1D_jS1E_S1E_jjS1G_bEUljE0_EEESZ_S10_S11_S18_S1C_S1E_T6_T7_T9_mT8_S1G_bDpT10_ENKUlT_T0_E_clISt17integral_constantIbLb0EES1U_EEDaS1P_S1Q_EUlS1P_E_NS1_11comp_targetILNS1_3genE2ELNS1_11target_archE906ELNS1_3gpuE6ELNS1_3repE0EEENS1_30default_config_static_selectorELNS0_4arch9wavefront6targetE1EEEvS12_.num_vgpr, 86
	.set _ZN7rocprim17ROCPRIM_400000_NS6detail17trampoline_kernelINS0_13select_configILj256ELj13ELNS0_17block_load_methodE3ELS4_3ELS4_3ELNS0_20block_scan_algorithmE0ELj4294967295EEENS1_25partition_config_selectorILNS1_17partition_subalgoE4EjNS0_10empty_typeEbEEZZNS1_14partition_implILS8_4ELb0ES6_15HIP_vector_typeIjLj2EENS0_17counting_iteratorIjlEEPS9_SG_NS0_5tupleIJPjSI_NS0_16reverse_iteratorISI_EEEEENSH_IJSG_SG_SG_EEES9_SI_JZNS1_25segmented_radix_sort_implINS0_14default_configELb1EPKsPsPKlPlN2at6native12_GLOBAL__N_18offset_tEEE10hipError_tPvRmT1_PNSt15iterator_traitsIS12_E10value_typeET2_T3_PNS13_IS18_E10value_typeET4_jRbjT5_S1E_jjP12ihipStream_tbEUljE_ZNSN_ISO_Lb1ESQ_SR_ST_SU_SY_EESZ_S10_S11_S12_S16_S17_S18_S1B_S1C_jS1D_jS1E_S1E_jjS1G_bEUljE0_EEESZ_S10_S11_S18_S1C_S1E_T6_T7_T9_mT8_S1G_bDpT10_ENKUlT_T0_E_clISt17integral_constantIbLb0EES1U_EEDaS1P_S1Q_EUlS1P_E_NS1_11comp_targetILNS1_3genE2ELNS1_11target_archE906ELNS1_3gpuE6ELNS1_3repE0EEENS1_30default_config_static_selectorELNS0_4arch9wavefront6targetE1EEEvS12_.num_agpr, 0
	.set _ZN7rocprim17ROCPRIM_400000_NS6detail17trampoline_kernelINS0_13select_configILj256ELj13ELNS0_17block_load_methodE3ELS4_3ELS4_3ELNS0_20block_scan_algorithmE0ELj4294967295EEENS1_25partition_config_selectorILNS1_17partition_subalgoE4EjNS0_10empty_typeEbEEZZNS1_14partition_implILS8_4ELb0ES6_15HIP_vector_typeIjLj2EENS0_17counting_iteratorIjlEEPS9_SG_NS0_5tupleIJPjSI_NS0_16reverse_iteratorISI_EEEEENSH_IJSG_SG_SG_EEES9_SI_JZNS1_25segmented_radix_sort_implINS0_14default_configELb1EPKsPsPKlPlN2at6native12_GLOBAL__N_18offset_tEEE10hipError_tPvRmT1_PNSt15iterator_traitsIS12_E10value_typeET2_T3_PNS13_IS18_E10value_typeET4_jRbjT5_S1E_jjP12ihipStream_tbEUljE_ZNSN_ISO_Lb1ESQ_SR_ST_SU_SY_EESZ_S10_S11_S12_S16_S17_S18_S1B_S1C_jS1D_jS1E_S1E_jjS1G_bEUljE0_EEESZ_S10_S11_S18_S1C_S1E_T6_T7_T9_mT8_S1G_bDpT10_ENKUlT_T0_E_clISt17integral_constantIbLb0EES1U_EEDaS1P_S1Q_EUlS1P_E_NS1_11comp_targetILNS1_3genE2ELNS1_11target_archE906ELNS1_3gpuE6ELNS1_3repE0EEENS1_30default_config_static_selectorELNS0_4arch9wavefront6targetE1EEEvS12_.numbered_sgpr, 90
	.set _ZN7rocprim17ROCPRIM_400000_NS6detail17trampoline_kernelINS0_13select_configILj256ELj13ELNS0_17block_load_methodE3ELS4_3ELS4_3ELNS0_20block_scan_algorithmE0ELj4294967295EEENS1_25partition_config_selectorILNS1_17partition_subalgoE4EjNS0_10empty_typeEbEEZZNS1_14partition_implILS8_4ELb0ES6_15HIP_vector_typeIjLj2EENS0_17counting_iteratorIjlEEPS9_SG_NS0_5tupleIJPjSI_NS0_16reverse_iteratorISI_EEEEENSH_IJSG_SG_SG_EEES9_SI_JZNS1_25segmented_radix_sort_implINS0_14default_configELb1EPKsPsPKlPlN2at6native12_GLOBAL__N_18offset_tEEE10hipError_tPvRmT1_PNSt15iterator_traitsIS12_E10value_typeET2_T3_PNS13_IS18_E10value_typeET4_jRbjT5_S1E_jjP12ihipStream_tbEUljE_ZNSN_ISO_Lb1ESQ_SR_ST_SU_SY_EESZ_S10_S11_S12_S16_S17_S18_S1B_S1C_jS1D_jS1E_S1E_jjS1G_bEUljE0_EEESZ_S10_S11_S18_S1C_S1E_T6_T7_T9_mT8_S1G_bDpT10_ENKUlT_T0_E_clISt17integral_constantIbLb0EES1U_EEDaS1P_S1Q_EUlS1P_E_NS1_11comp_targetILNS1_3genE2ELNS1_11target_archE906ELNS1_3gpuE6ELNS1_3repE0EEENS1_30default_config_static_selectorELNS0_4arch9wavefront6targetE1EEEvS12_.num_named_barrier, 0
	.set _ZN7rocprim17ROCPRIM_400000_NS6detail17trampoline_kernelINS0_13select_configILj256ELj13ELNS0_17block_load_methodE3ELS4_3ELS4_3ELNS0_20block_scan_algorithmE0ELj4294967295EEENS1_25partition_config_selectorILNS1_17partition_subalgoE4EjNS0_10empty_typeEbEEZZNS1_14partition_implILS8_4ELb0ES6_15HIP_vector_typeIjLj2EENS0_17counting_iteratorIjlEEPS9_SG_NS0_5tupleIJPjSI_NS0_16reverse_iteratorISI_EEEEENSH_IJSG_SG_SG_EEES9_SI_JZNS1_25segmented_radix_sort_implINS0_14default_configELb1EPKsPsPKlPlN2at6native12_GLOBAL__N_18offset_tEEE10hipError_tPvRmT1_PNSt15iterator_traitsIS12_E10value_typeET2_T3_PNS13_IS18_E10value_typeET4_jRbjT5_S1E_jjP12ihipStream_tbEUljE_ZNSN_ISO_Lb1ESQ_SR_ST_SU_SY_EESZ_S10_S11_S12_S16_S17_S18_S1B_S1C_jS1D_jS1E_S1E_jjS1G_bEUljE0_EEESZ_S10_S11_S18_S1C_S1E_T6_T7_T9_mT8_S1G_bDpT10_ENKUlT_T0_E_clISt17integral_constantIbLb0EES1U_EEDaS1P_S1Q_EUlS1P_E_NS1_11comp_targetILNS1_3genE2ELNS1_11target_archE906ELNS1_3gpuE6ELNS1_3repE0EEENS1_30default_config_static_selectorELNS0_4arch9wavefront6targetE1EEEvS12_.private_seg_size, 0
	.set _ZN7rocprim17ROCPRIM_400000_NS6detail17trampoline_kernelINS0_13select_configILj256ELj13ELNS0_17block_load_methodE3ELS4_3ELS4_3ELNS0_20block_scan_algorithmE0ELj4294967295EEENS1_25partition_config_selectorILNS1_17partition_subalgoE4EjNS0_10empty_typeEbEEZZNS1_14partition_implILS8_4ELb0ES6_15HIP_vector_typeIjLj2EENS0_17counting_iteratorIjlEEPS9_SG_NS0_5tupleIJPjSI_NS0_16reverse_iteratorISI_EEEEENSH_IJSG_SG_SG_EEES9_SI_JZNS1_25segmented_radix_sort_implINS0_14default_configELb1EPKsPsPKlPlN2at6native12_GLOBAL__N_18offset_tEEE10hipError_tPvRmT1_PNSt15iterator_traitsIS12_E10value_typeET2_T3_PNS13_IS18_E10value_typeET4_jRbjT5_S1E_jjP12ihipStream_tbEUljE_ZNSN_ISO_Lb1ESQ_SR_ST_SU_SY_EESZ_S10_S11_S12_S16_S17_S18_S1B_S1C_jS1D_jS1E_S1E_jjS1G_bEUljE0_EEESZ_S10_S11_S18_S1C_S1E_T6_T7_T9_mT8_S1G_bDpT10_ENKUlT_T0_E_clISt17integral_constantIbLb0EES1U_EEDaS1P_S1Q_EUlS1P_E_NS1_11comp_targetILNS1_3genE2ELNS1_11target_archE906ELNS1_3gpuE6ELNS1_3repE0EEENS1_30default_config_static_selectorELNS0_4arch9wavefront6targetE1EEEvS12_.uses_vcc, 1
	.set _ZN7rocprim17ROCPRIM_400000_NS6detail17trampoline_kernelINS0_13select_configILj256ELj13ELNS0_17block_load_methodE3ELS4_3ELS4_3ELNS0_20block_scan_algorithmE0ELj4294967295EEENS1_25partition_config_selectorILNS1_17partition_subalgoE4EjNS0_10empty_typeEbEEZZNS1_14partition_implILS8_4ELb0ES6_15HIP_vector_typeIjLj2EENS0_17counting_iteratorIjlEEPS9_SG_NS0_5tupleIJPjSI_NS0_16reverse_iteratorISI_EEEEENSH_IJSG_SG_SG_EEES9_SI_JZNS1_25segmented_radix_sort_implINS0_14default_configELb1EPKsPsPKlPlN2at6native12_GLOBAL__N_18offset_tEEE10hipError_tPvRmT1_PNSt15iterator_traitsIS12_E10value_typeET2_T3_PNS13_IS18_E10value_typeET4_jRbjT5_S1E_jjP12ihipStream_tbEUljE_ZNSN_ISO_Lb1ESQ_SR_ST_SU_SY_EESZ_S10_S11_S12_S16_S17_S18_S1B_S1C_jS1D_jS1E_S1E_jjS1G_bEUljE0_EEESZ_S10_S11_S18_S1C_S1E_T6_T7_T9_mT8_S1G_bDpT10_ENKUlT_T0_E_clISt17integral_constantIbLb0EES1U_EEDaS1P_S1Q_EUlS1P_E_NS1_11comp_targetILNS1_3genE2ELNS1_11target_archE906ELNS1_3gpuE6ELNS1_3repE0EEENS1_30default_config_static_selectorELNS0_4arch9wavefront6targetE1EEEvS12_.uses_flat_scratch, 0
	.set _ZN7rocprim17ROCPRIM_400000_NS6detail17trampoline_kernelINS0_13select_configILj256ELj13ELNS0_17block_load_methodE3ELS4_3ELS4_3ELNS0_20block_scan_algorithmE0ELj4294967295EEENS1_25partition_config_selectorILNS1_17partition_subalgoE4EjNS0_10empty_typeEbEEZZNS1_14partition_implILS8_4ELb0ES6_15HIP_vector_typeIjLj2EENS0_17counting_iteratorIjlEEPS9_SG_NS0_5tupleIJPjSI_NS0_16reverse_iteratorISI_EEEEENSH_IJSG_SG_SG_EEES9_SI_JZNS1_25segmented_radix_sort_implINS0_14default_configELb1EPKsPsPKlPlN2at6native12_GLOBAL__N_18offset_tEEE10hipError_tPvRmT1_PNSt15iterator_traitsIS12_E10value_typeET2_T3_PNS13_IS18_E10value_typeET4_jRbjT5_S1E_jjP12ihipStream_tbEUljE_ZNSN_ISO_Lb1ESQ_SR_ST_SU_SY_EESZ_S10_S11_S12_S16_S17_S18_S1B_S1C_jS1D_jS1E_S1E_jjS1G_bEUljE0_EEESZ_S10_S11_S18_S1C_S1E_T6_T7_T9_mT8_S1G_bDpT10_ENKUlT_T0_E_clISt17integral_constantIbLb0EES1U_EEDaS1P_S1Q_EUlS1P_E_NS1_11comp_targetILNS1_3genE2ELNS1_11target_archE906ELNS1_3gpuE6ELNS1_3repE0EEENS1_30default_config_static_selectorELNS0_4arch9wavefront6targetE1EEEvS12_.has_dyn_sized_stack, 0
	.set _ZN7rocprim17ROCPRIM_400000_NS6detail17trampoline_kernelINS0_13select_configILj256ELj13ELNS0_17block_load_methodE3ELS4_3ELS4_3ELNS0_20block_scan_algorithmE0ELj4294967295EEENS1_25partition_config_selectorILNS1_17partition_subalgoE4EjNS0_10empty_typeEbEEZZNS1_14partition_implILS8_4ELb0ES6_15HIP_vector_typeIjLj2EENS0_17counting_iteratorIjlEEPS9_SG_NS0_5tupleIJPjSI_NS0_16reverse_iteratorISI_EEEEENSH_IJSG_SG_SG_EEES9_SI_JZNS1_25segmented_radix_sort_implINS0_14default_configELb1EPKsPsPKlPlN2at6native12_GLOBAL__N_18offset_tEEE10hipError_tPvRmT1_PNSt15iterator_traitsIS12_E10value_typeET2_T3_PNS13_IS18_E10value_typeET4_jRbjT5_S1E_jjP12ihipStream_tbEUljE_ZNSN_ISO_Lb1ESQ_SR_ST_SU_SY_EESZ_S10_S11_S12_S16_S17_S18_S1B_S1C_jS1D_jS1E_S1E_jjS1G_bEUljE0_EEESZ_S10_S11_S18_S1C_S1E_T6_T7_T9_mT8_S1G_bDpT10_ENKUlT_T0_E_clISt17integral_constantIbLb0EES1U_EEDaS1P_S1Q_EUlS1P_E_NS1_11comp_targetILNS1_3genE2ELNS1_11target_archE906ELNS1_3gpuE6ELNS1_3repE0EEENS1_30default_config_static_selectorELNS0_4arch9wavefront6targetE1EEEvS12_.has_recursion, 0
	.set _ZN7rocprim17ROCPRIM_400000_NS6detail17trampoline_kernelINS0_13select_configILj256ELj13ELNS0_17block_load_methodE3ELS4_3ELS4_3ELNS0_20block_scan_algorithmE0ELj4294967295EEENS1_25partition_config_selectorILNS1_17partition_subalgoE4EjNS0_10empty_typeEbEEZZNS1_14partition_implILS8_4ELb0ES6_15HIP_vector_typeIjLj2EENS0_17counting_iteratorIjlEEPS9_SG_NS0_5tupleIJPjSI_NS0_16reverse_iteratorISI_EEEEENSH_IJSG_SG_SG_EEES9_SI_JZNS1_25segmented_radix_sort_implINS0_14default_configELb1EPKsPsPKlPlN2at6native12_GLOBAL__N_18offset_tEEE10hipError_tPvRmT1_PNSt15iterator_traitsIS12_E10value_typeET2_T3_PNS13_IS18_E10value_typeET4_jRbjT5_S1E_jjP12ihipStream_tbEUljE_ZNSN_ISO_Lb1ESQ_SR_ST_SU_SY_EESZ_S10_S11_S12_S16_S17_S18_S1B_S1C_jS1D_jS1E_S1E_jjS1G_bEUljE0_EEESZ_S10_S11_S18_S1C_S1E_T6_T7_T9_mT8_S1G_bDpT10_ENKUlT_T0_E_clISt17integral_constantIbLb0EES1U_EEDaS1P_S1Q_EUlS1P_E_NS1_11comp_targetILNS1_3genE2ELNS1_11target_archE906ELNS1_3gpuE6ELNS1_3repE0EEENS1_30default_config_static_selectorELNS0_4arch9wavefront6targetE1EEEvS12_.has_indirect_call, 0
	.section	.AMDGPU.csdata,"",@progbits
; Kernel info:
; codeLenInByte = 15480
; TotalNumSgprs: 94
; NumVgprs: 86
; ScratchSize: 0
; MemoryBound: 0
; FloatMode: 240
; IeeeMode: 1
; LDSByteSize: 13328 bytes/workgroup (compile time only)
; SGPRBlocks: 12
; VGPRBlocks: 21
; NumSGPRsForWavesPerEU: 102
; NumVGPRsForWavesPerEU: 86
; Occupancy: 2
; WaveLimiterHint : 1
; COMPUTE_PGM_RSRC2:SCRATCH_EN: 0
; COMPUTE_PGM_RSRC2:USER_SGPR: 6
; COMPUTE_PGM_RSRC2:TRAP_HANDLER: 0
; COMPUTE_PGM_RSRC2:TGID_X_EN: 1
; COMPUTE_PGM_RSRC2:TGID_Y_EN: 0
; COMPUTE_PGM_RSRC2:TGID_Z_EN: 0
; COMPUTE_PGM_RSRC2:TIDIG_COMP_CNT: 0
	.section	.text._ZN7rocprim17ROCPRIM_400000_NS6detail17trampoline_kernelINS0_13select_configILj256ELj13ELNS0_17block_load_methodE3ELS4_3ELS4_3ELNS0_20block_scan_algorithmE0ELj4294967295EEENS1_25partition_config_selectorILNS1_17partition_subalgoE4EjNS0_10empty_typeEbEEZZNS1_14partition_implILS8_4ELb0ES6_15HIP_vector_typeIjLj2EENS0_17counting_iteratorIjlEEPS9_SG_NS0_5tupleIJPjSI_NS0_16reverse_iteratorISI_EEEEENSH_IJSG_SG_SG_EEES9_SI_JZNS1_25segmented_radix_sort_implINS0_14default_configELb1EPKsPsPKlPlN2at6native12_GLOBAL__N_18offset_tEEE10hipError_tPvRmT1_PNSt15iterator_traitsIS12_E10value_typeET2_T3_PNS13_IS18_E10value_typeET4_jRbjT5_S1E_jjP12ihipStream_tbEUljE_ZNSN_ISO_Lb1ESQ_SR_ST_SU_SY_EESZ_S10_S11_S12_S16_S17_S18_S1B_S1C_jS1D_jS1E_S1E_jjS1G_bEUljE0_EEESZ_S10_S11_S18_S1C_S1E_T6_T7_T9_mT8_S1G_bDpT10_ENKUlT_T0_E_clISt17integral_constantIbLb0EES1U_EEDaS1P_S1Q_EUlS1P_E_NS1_11comp_targetILNS1_3genE10ELNS1_11target_archE1200ELNS1_3gpuE4ELNS1_3repE0EEENS1_30default_config_static_selectorELNS0_4arch9wavefront6targetE1EEEvS12_,"axG",@progbits,_ZN7rocprim17ROCPRIM_400000_NS6detail17trampoline_kernelINS0_13select_configILj256ELj13ELNS0_17block_load_methodE3ELS4_3ELS4_3ELNS0_20block_scan_algorithmE0ELj4294967295EEENS1_25partition_config_selectorILNS1_17partition_subalgoE4EjNS0_10empty_typeEbEEZZNS1_14partition_implILS8_4ELb0ES6_15HIP_vector_typeIjLj2EENS0_17counting_iteratorIjlEEPS9_SG_NS0_5tupleIJPjSI_NS0_16reverse_iteratorISI_EEEEENSH_IJSG_SG_SG_EEES9_SI_JZNS1_25segmented_radix_sort_implINS0_14default_configELb1EPKsPsPKlPlN2at6native12_GLOBAL__N_18offset_tEEE10hipError_tPvRmT1_PNSt15iterator_traitsIS12_E10value_typeET2_T3_PNS13_IS18_E10value_typeET4_jRbjT5_S1E_jjP12ihipStream_tbEUljE_ZNSN_ISO_Lb1ESQ_SR_ST_SU_SY_EESZ_S10_S11_S12_S16_S17_S18_S1B_S1C_jS1D_jS1E_S1E_jjS1G_bEUljE0_EEESZ_S10_S11_S18_S1C_S1E_T6_T7_T9_mT8_S1G_bDpT10_ENKUlT_T0_E_clISt17integral_constantIbLb0EES1U_EEDaS1P_S1Q_EUlS1P_E_NS1_11comp_targetILNS1_3genE10ELNS1_11target_archE1200ELNS1_3gpuE4ELNS1_3repE0EEENS1_30default_config_static_selectorELNS0_4arch9wavefront6targetE1EEEvS12_,comdat
	.globl	_ZN7rocprim17ROCPRIM_400000_NS6detail17trampoline_kernelINS0_13select_configILj256ELj13ELNS0_17block_load_methodE3ELS4_3ELS4_3ELNS0_20block_scan_algorithmE0ELj4294967295EEENS1_25partition_config_selectorILNS1_17partition_subalgoE4EjNS0_10empty_typeEbEEZZNS1_14partition_implILS8_4ELb0ES6_15HIP_vector_typeIjLj2EENS0_17counting_iteratorIjlEEPS9_SG_NS0_5tupleIJPjSI_NS0_16reverse_iteratorISI_EEEEENSH_IJSG_SG_SG_EEES9_SI_JZNS1_25segmented_radix_sort_implINS0_14default_configELb1EPKsPsPKlPlN2at6native12_GLOBAL__N_18offset_tEEE10hipError_tPvRmT1_PNSt15iterator_traitsIS12_E10value_typeET2_T3_PNS13_IS18_E10value_typeET4_jRbjT5_S1E_jjP12ihipStream_tbEUljE_ZNSN_ISO_Lb1ESQ_SR_ST_SU_SY_EESZ_S10_S11_S12_S16_S17_S18_S1B_S1C_jS1D_jS1E_S1E_jjS1G_bEUljE0_EEESZ_S10_S11_S18_S1C_S1E_T6_T7_T9_mT8_S1G_bDpT10_ENKUlT_T0_E_clISt17integral_constantIbLb0EES1U_EEDaS1P_S1Q_EUlS1P_E_NS1_11comp_targetILNS1_3genE10ELNS1_11target_archE1200ELNS1_3gpuE4ELNS1_3repE0EEENS1_30default_config_static_selectorELNS0_4arch9wavefront6targetE1EEEvS12_ ; -- Begin function _ZN7rocprim17ROCPRIM_400000_NS6detail17trampoline_kernelINS0_13select_configILj256ELj13ELNS0_17block_load_methodE3ELS4_3ELS4_3ELNS0_20block_scan_algorithmE0ELj4294967295EEENS1_25partition_config_selectorILNS1_17partition_subalgoE4EjNS0_10empty_typeEbEEZZNS1_14partition_implILS8_4ELb0ES6_15HIP_vector_typeIjLj2EENS0_17counting_iteratorIjlEEPS9_SG_NS0_5tupleIJPjSI_NS0_16reverse_iteratorISI_EEEEENSH_IJSG_SG_SG_EEES9_SI_JZNS1_25segmented_radix_sort_implINS0_14default_configELb1EPKsPsPKlPlN2at6native12_GLOBAL__N_18offset_tEEE10hipError_tPvRmT1_PNSt15iterator_traitsIS12_E10value_typeET2_T3_PNS13_IS18_E10value_typeET4_jRbjT5_S1E_jjP12ihipStream_tbEUljE_ZNSN_ISO_Lb1ESQ_SR_ST_SU_SY_EESZ_S10_S11_S12_S16_S17_S18_S1B_S1C_jS1D_jS1E_S1E_jjS1G_bEUljE0_EEESZ_S10_S11_S18_S1C_S1E_T6_T7_T9_mT8_S1G_bDpT10_ENKUlT_T0_E_clISt17integral_constantIbLb0EES1U_EEDaS1P_S1Q_EUlS1P_E_NS1_11comp_targetILNS1_3genE10ELNS1_11target_archE1200ELNS1_3gpuE4ELNS1_3repE0EEENS1_30default_config_static_selectorELNS0_4arch9wavefront6targetE1EEEvS12_
	.p2align	8
	.type	_ZN7rocprim17ROCPRIM_400000_NS6detail17trampoline_kernelINS0_13select_configILj256ELj13ELNS0_17block_load_methodE3ELS4_3ELS4_3ELNS0_20block_scan_algorithmE0ELj4294967295EEENS1_25partition_config_selectorILNS1_17partition_subalgoE4EjNS0_10empty_typeEbEEZZNS1_14partition_implILS8_4ELb0ES6_15HIP_vector_typeIjLj2EENS0_17counting_iteratorIjlEEPS9_SG_NS0_5tupleIJPjSI_NS0_16reverse_iteratorISI_EEEEENSH_IJSG_SG_SG_EEES9_SI_JZNS1_25segmented_radix_sort_implINS0_14default_configELb1EPKsPsPKlPlN2at6native12_GLOBAL__N_18offset_tEEE10hipError_tPvRmT1_PNSt15iterator_traitsIS12_E10value_typeET2_T3_PNS13_IS18_E10value_typeET4_jRbjT5_S1E_jjP12ihipStream_tbEUljE_ZNSN_ISO_Lb1ESQ_SR_ST_SU_SY_EESZ_S10_S11_S12_S16_S17_S18_S1B_S1C_jS1D_jS1E_S1E_jjS1G_bEUljE0_EEESZ_S10_S11_S18_S1C_S1E_T6_T7_T9_mT8_S1G_bDpT10_ENKUlT_T0_E_clISt17integral_constantIbLb0EES1U_EEDaS1P_S1Q_EUlS1P_E_NS1_11comp_targetILNS1_3genE10ELNS1_11target_archE1200ELNS1_3gpuE4ELNS1_3repE0EEENS1_30default_config_static_selectorELNS0_4arch9wavefront6targetE1EEEvS12_,@function
_ZN7rocprim17ROCPRIM_400000_NS6detail17trampoline_kernelINS0_13select_configILj256ELj13ELNS0_17block_load_methodE3ELS4_3ELS4_3ELNS0_20block_scan_algorithmE0ELj4294967295EEENS1_25partition_config_selectorILNS1_17partition_subalgoE4EjNS0_10empty_typeEbEEZZNS1_14partition_implILS8_4ELb0ES6_15HIP_vector_typeIjLj2EENS0_17counting_iteratorIjlEEPS9_SG_NS0_5tupleIJPjSI_NS0_16reverse_iteratorISI_EEEEENSH_IJSG_SG_SG_EEES9_SI_JZNS1_25segmented_radix_sort_implINS0_14default_configELb1EPKsPsPKlPlN2at6native12_GLOBAL__N_18offset_tEEE10hipError_tPvRmT1_PNSt15iterator_traitsIS12_E10value_typeET2_T3_PNS13_IS18_E10value_typeET4_jRbjT5_S1E_jjP12ihipStream_tbEUljE_ZNSN_ISO_Lb1ESQ_SR_ST_SU_SY_EESZ_S10_S11_S12_S16_S17_S18_S1B_S1C_jS1D_jS1E_S1E_jjS1G_bEUljE0_EEESZ_S10_S11_S18_S1C_S1E_T6_T7_T9_mT8_S1G_bDpT10_ENKUlT_T0_E_clISt17integral_constantIbLb0EES1U_EEDaS1P_S1Q_EUlS1P_E_NS1_11comp_targetILNS1_3genE10ELNS1_11target_archE1200ELNS1_3gpuE4ELNS1_3repE0EEENS1_30default_config_static_selectorELNS0_4arch9wavefront6targetE1EEEvS12_: ; @_ZN7rocprim17ROCPRIM_400000_NS6detail17trampoline_kernelINS0_13select_configILj256ELj13ELNS0_17block_load_methodE3ELS4_3ELS4_3ELNS0_20block_scan_algorithmE0ELj4294967295EEENS1_25partition_config_selectorILNS1_17partition_subalgoE4EjNS0_10empty_typeEbEEZZNS1_14partition_implILS8_4ELb0ES6_15HIP_vector_typeIjLj2EENS0_17counting_iteratorIjlEEPS9_SG_NS0_5tupleIJPjSI_NS0_16reverse_iteratorISI_EEEEENSH_IJSG_SG_SG_EEES9_SI_JZNS1_25segmented_radix_sort_implINS0_14default_configELb1EPKsPsPKlPlN2at6native12_GLOBAL__N_18offset_tEEE10hipError_tPvRmT1_PNSt15iterator_traitsIS12_E10value_typeET2_T3_PNS13_IS18_E10value_typeET4_jRbjT5_S1E_jjP12ihipStream_tbEUljE_ZNSN_ISO_Lb1ESQ_SR_ST_SU_SY_EESZ_S10_S11_S12_S16_S17_S18_S1B_S1C_jS1D_jS1E_S1E_jjS1G_bEUljE0_EEESZ_S10_S11_S18_S1C_S1E_T6_T7_T9_mT8_S1G_bDpT10_ENKUlT_T0_E_clISt17integral_constantIbLb0EES1U_EEDaS1P_S1Q_EUlS1P_E_NS1_11comp_targetILNS1_3genE10ELNS1_11target_archE1200ELNS1_3gpuE4ELNS1_3repE0EEENS1_30default_config_static_selectorELNS0_4arch9wavefront6targetE1EEEvS12_
; %bb.0:
	.section	.rodata,"a",@progbits
	.p2align	6, 0x0
	.amdhsa_kernel _ZN7rocprim17ROCPRIM_400000_NS6detail17trampoline_kernelINS0_13select_configILj256ELj13ELNS0_17block_load_methodE3ELS4_3ELS4_3ELNS0_20block_scan_algorithmE0ELj4294967295EEENS1_25partition_config_selectorILNS1_17partition_subalgoE4EjNS0_10empty_typeEbEEZZNS1_14partition_implILS8_4ELb0ES6_15HIP_vector_typeIjLj2EENS0_17counting_iteratorIjlEEPS9_SG_NS0_5tupleIJPjSI_NS0_16reverse_iteratorISI_EEEEENSH_IJSG_SG_SG_EEES9_SI_JZNS1_25segmented_radix_sort_implINS0_14default_configELb1EPKsPsPKlPlN2at6native12_GLOBAL__N_18offset_tEEE10hipError_tPvRmT1_PNSt15iterator_traitsIS12_E10value_typeET2_T3_PNS13_IS18_E10value_typeET4_jRbjT5_S1E_jjP12ihipStream_tbEUljE_ZNSN_ISO_Lb1ESQ_SR_ST_SU_SY_EESZ_S10_S11_S12_S16_S17_S18_S1B_S1C_jS1D_jS1E_S1E_jjS1G_bEUljE0_EEESZ_S10_S11_S18_S1C_S1E_T6_T7_T9_mT8_S1G_bDpT10_ENKUlT_T0_E_clISt17integral_constantIbLb0EES1U_EEDaS1P_S1Q_EUlS1P_E_NS1_11comp_targetILNS1_3genE10ELNS1_11target_archE1200ELNS1_3gpuE4ELNS1_3repE0EEENS1_30default_config_static_selectorELNS0_4arch9wavefront6targetE1EEEvS12_
		.amdhsa_group_segment_fixed_size 0
		.amdhsa_private_segment_fixed_size 0
		.amdhsa_kernarg_size 176
		.amdhsa_user_sgpr_count 6
		.amdhsa_user_sgpr_private_segment_buffer 1
		.amdhsa_user_sgpr_dispatch_ptr 0
		.amdhsa_user_sgpr_queue_ptr 0
		.amdhsa_user_sgpr_kernarg_segment_ptr 1
		.amdhsa_user_sgpr_dispatch_id 0
		.amdhsa_user_sgpr_flat_scratch_init 0
		.amdhsa_user_sgpr_private_segment_size 0
		.amdhsa_uses_dynamic_stack 0
		.amdhsa_system_sgpr_private_segment_wavefront_offset 0
		.amdhsa_system_sgpr_workgroup_id_x 1
		.amdhsa_system_sgpr_workgroup_id_y 0
		.amdhsa_system_sgpr_workgroup_id_z 0
		.amdhsa_system_sgpr_workgroup_info 0
		.amdhsa_system_vgpr_workitem_id 0
		.amdhsa_next_free_vgpr 1
		.amdhsa_next_free_sgpr 0
		.amdhsa_reserve_vcc 0
		.amdhsa_reserve_flat_scratch 0
		.amdhsa_float_round_mode_32 0
		.amdhsa_float_round_mode_16_64 0
		.amdhsa_float_denorm_mode_32 3
		.amdhsa_float_denorm_mode_16_64 3
		.amdhsa_dx10_clamp 1
		.amdhsa_ieee_mode 1
		.amdhsa_fp16_overflow 0
		.amdhsa_exception_fp_ieee_invalid_op 0
		.amdhsa_exception_fp_denorm_src 0
		.amdhsa_exception_fp_ieee_div_zero 0
		.amdhsa_exception_fp_ieee_overflow 0
		.amdhsa_exception_fp_ieee_underflow 0
		.amdhsa_exception_fp_ieee_inexact 0
		.amdhsa_exception_int_div_zero 0
	.end_amdhsa_kernel
	.section	.text._ZN7rocprim17ROCPRIM_400000_NS6detail17trampoline_kernelINS0_13select_configILj256ELj13ELNS0_17block_load_methodE3ELS4_3ELS4_3ELNS0_20block_scan_algorithmE0ELj4294967295EEENS1_25partition_config_selectorILNS1_17partition_subalgoE4EjNS0_10empty_typeEbEEZZNS1_14partition_implILS8_4ELb0ES6_15HIP_vector_typeIjLj2EENS0_17counting_iteratorIjlEEPS9_SG_NS0_5tupleIJPjSI_NS0_16reverse_iteratorISI_EEEEENSH_IJSG_SG_SG_EEES9_SI_JZNS1_25segmented_radix_sort_implINS0_14default_configELb1EPKsPsPKlPlN2at6native12_GLOBAL__N_18offset_tEEE10hipError_tPvRmT1_PNSt15iterator_traitsIS12_E10value_typeET2_T3_PNS13_IS18_E10value_typeET4_jRbjT5_S1E_jjP12ihipStream_tbEUljE_ZNSN_ISO_Lb1ESQ_SR_ST_SU_SY_EESZ_S10_S11_S12_S16_S17_S18_S1B_S1C_jS1D_jS1E_S1E_jjS1G_bEUljE0_EEESZ_S10_S11_S18_S1C_S1E_T6_T7_T9_mT8_S1G_bDpT10_ENKUlT_T0_E_clISt17integral_constantIbLb0EES1U_EEDaS1P_S1Q_EUlS1P_E_NS1_11comp_targetILNS1_3genE10ELNS1_11target_archE1200ELNS1_3gpuE4ELNS1_3repE0EEENS1_30default_config_static_selectorELNS0_4arch9wavefront6targetE1EEEvS12_,"axG",@progbits,_ZN7rocprim17ROCPRIM_400000_NS6detail17trampoline_kernelINS0_13select_configILj256ELj13ELNS0_17block_load_methodE3ELS4_3ELS4_3ELNS0_20block_scan_algorithmE0ELj4294967295EEENS1_25partition_config_selectorILNS1_17partition_subalgoE4EjNS0_10empty_typeEbEEZZNS1_14partition_implILS8_4ELb0ES6_15HIP_vector_typeIjLj2EENS0_17counting_iteratorIjlEEPS9_SG_NS0_5tupleIJPjSI_NS0_16reverse_iteratorISI_EEEEENSH_IJSG_SG_SG_EEES9_SI_JZNS1_25segmented_radix_sort_implINS0_14default_configELb1EPKsPsPKlPlN2at6native12_GLOBAL__N_18offset_tEEE10hipError_tPvRmT1_PNSt15iterator_traitsIS12_E10value_typeET2_T3_PNS13_IS18_E10value_typeET4_jRbjT5_S1E_jjP12ihipStream_tbEUljE_ZNSN_ISO_Lb1ESQ_SR_ST_SU_SY_EESZ_S10_S11_S12_S16_S17_S18_S1B_S1C_jS1D_jS1E_S1E_jjS1G_bEUljE0_EEESZ_S10_S11_S18_S1C_S1E_T6_T7_T9_mT8_S1G_bDpT10_ENKUlT_T0_E_clISt17integral_constantIbLb0EES1U_EEDaS1P_S1Q_EUlS1P_E_NS1_11comp_targetILNS1_3genE10ELNS1_11target_archE1200ELNS1_3gpuE4ELNS1_3repE0EEENS1_30default_config_static_selectorELNS0_4arch9wavefront6targetE1EEEvS12_,comdat
.Lfunc_end852:
	.size	_ZN7rocprim17ROCPRIM_400000_NS6detail17trampoline_kernelINS0_13select_configILj256ELj13ELNS0_17block_load_methodE3ELS4_3ELS4_3ELNS0_20block_scan_algorithmE0ELj4294967295EEENS1_25partition_config_selectorILNS1_17partition_subalgoE4EjNS0_10empty_typeEbEEZZNS1_14partition_implILS8_4ELb0ES6_15HIP_vector_typeIjLj2EENS0_17counting_iteratorIjlEEPS9_SG_NS0_5tupleIJPjSI_NS0_16reverse_iteratorISI_EEEEENSH_IJSG_SG_SG_EEES9_SI_JZNS1_25segmented_radix_sort_implINS0_14default_configELb1EPKsPsPKlPlN2at6native12_GLOBAL__N_18offset_tEEE10hipError_tPvRmT1_PNSt15iterator_traitsIS12_E10value_typeET2_T3_PNS13_IS18_E10value_typeET4_jRbjT5_S1E_jjP12ihipStream_tbEUljE_ZNSN_ISO_Lb1ESQ_SR_ST_SU_SY_EESZ_S10_S11_S12_S16_S17_S18_S1B_S1C_jS1D_jS1E_S1E_jjS1G_bEUljE0_EEESZ_S10_S11_S18_S1C_S1E_T6_T7_T9_mT8_S1G_bDpT10_ENKUlT_T0_E_clISt17integral_constantIbLb0EES1U_EEDaS1P_S1Q_EUlS1P_E_NS1_11comp_targetILNS1_3genE10ELNS1_11target_archE1200ELNS1_3gpuE4ELNS1_3repE0EEENS1_30default_config_static_selectorELNS0_4arch9wavefront6targetE1EEEvS12_, .Lfunc_end852-_ZN7rocprim17ROCPRIM_400000_NS6detail17trampoline_kernelINS0_13select_configILj256ELj13ELNS0_17block_load_methodE3ELS4_3ELS4_3ELNS0_20block_scan_algorithmE0ELj4294967295EEENS1_25partition_config_selectorILNS1_17partition_subalgoE4EjNS0_10empty_typeEbEEZZNS1_14partition_implILS8_4ELb0ES6_15HIP_vector_typeIjLj2EENS0_17counting_iteratorIjlEEPS9_SG_NS0_5tupleIJPjSI_NS0_16reverse_iteratorISI_EEEEENSH_IJSG_SG_SG_EEES9_SI_JZNS1_25segmented_radix_sort_implINS0_14default_configELb1EPKsPsPKlPlN2at6native12_GLOBAL__N_18offset_tEEE10hipError_tPvRmT1_PNSt15iterator_traitsIS12_E10value_typeET2_T3_PNS13_IS18_E10value_typeET4_jRbjT5_S1E_jjP12ihipStream_tbEUljE_ZNSN_ISO_Lb1ESQ_SR_ST_SU_SY_EESZ_S10_S11_S12_S16_S17_S18_S1B_S1C_jS1D_jS1E_S1E_jjS1G_bEUljE0_EEESZ_S10_S11_S18_S1C_S1E_T6_T7_T9_mT8_S1G_bDpT10_ENKUlT_T0_E_clISt17integral_constantIbLb0EES1U_EEDaS1P_S1Q_EUlS1P_E_NS1_11comp_targetILNS1_3genE10ELNS1_11target_archE1200ELNS1_3gpuE4ELNS1_3repE0EEENS1_30default_config_static_selectorELNS0_4arch9wavefront6targetE1EEEvS12_
                                        ; -- End function
	.set _ZN7rocprim17ROCPRIM_400000_NS6detail17trampoline_kernelINS0_13select_configILj256ELj13ELNS0_17block_load_methodE3ELS4_3ELS4_3ELNS0_20block_scan_algorithmE0ELj4294967295EEENS1_25partition_config_selectorILNS1_17partition_subalgoE4EjNS0_10empty_typeEbEEZZNS1_14partition_implILS8_4ELb0ES6_15HIP_vector_typeIjLj2EENS0_17counting_iteratorIjlEEPS9_SG_NS0_5tupleIJPjSI_NS0_16reverse_iteratorISI_EEEEENSH_IJSG_SG_SG_EEES9_SI_JZNS1_25segmented_radix_sort_implINS0_14default_configELb1EPKsPsPKlPlN2at6native12_GLOBAL__N_18offset_tEEE10hipError_tPvRmT1_PNSt15iterator_traitsIS12_E10value_typeET2_T3_PNS13_IS18_E10value_typeET4_jRbjT5_S1E_jjP12ihipStream_tbEUljE_ZNSN_ISO_Lb1ESQ_SR_ST_SU_SY_EESZ_S10_S11_S12_S16_S17_S18_S1B_S1C_jS1D_jS1E_S1E_jjS1G_bEUljE0_EEESZ_S10_S11_S18_S1C_S1E_T6_T7_T9_mT8_S1G_bDpT10_ENKUlT_T0_E_clISt17integral_constantIbLb0EES1U_EEDaS1P_S1Q_EUlS1P_E_NS1_11comp_targetILNS1_3genE10ELNS1_11target_archE1200ELNS1_3gpuE4ELNS1_3repE0EEENS1_30default_config_static_selectorELNS0_4arch9wavefront6targetE1EEEvS12_.num_vgpr, 0
	.set _ZN7rocprim17ROCPRIM_400000_NS6detail17trampoline_kernelINS0_13select_configILj256ELj13ELNS0_17block_load_methodE3ELS4_3ELS4_3ELNS0_20block_scan_algorithmE0ELj4294967295EEENS1_25partition_config_selectorILNS1_17partition_subalgoE4EjNS0_10empty_typeEbEEZZNS1_14partition_implILS8_4ELb0ES6_15HIP_vector_typeIjLj2EENS0_17counting_iteratorIjlEEPS9_SG_NS0_5tupleIJPjSI_NS0_16reverse_iteratorISI_EEEEENSH_IJSG_SG_SG_EEES9_SI_JZNS1_25segmented_radix_sort_implINS0_14default_configELb1EPKsPsPKlPlN2at6native12_GLOBAL__N_18offset_tEEE10hipError_tPvRmT1_PNSt15iterator_traitsIS12_E10value_typeET2_T3_PNS13_IS18_E10value_typeET4_jRbjT5_S1E_jjP12ihipStream_tbEUljE_ZNSN_ISO_Lb1ESQ_SR_ST_SU_SY_EESZ_S10_S11_S12_S16_S17_S18_S1B_S1C_jS1D_jS1E_S1E_jjS1G_bEUljE0_EEESZ_S10_S11_S18_S1C_S1E_T6_T7_T9_mT8_S1G_bDpT10_ENKUlT_T0_E_clISt17integral_constantIbLb0EES1U_EEDaS1P_S1Q_EUlS1P_E_NS1_11comp_targetILNS1_3genE10ELNS1_11target_archE1200ELNS1_3gpuE4ELNS1_3repE0EEENS1_30default_config_static_selectorELNS0_4arch9wavefront6targetE1EEEvS12_.num_agpr, 0
	.set _ZN7rocprim17ROCPRIM_400000_NS6detail17trampoline_kernelINS0_13select_configILj256ELj13ELNS0_17block_load_methodE3ELS4_3ELS4_3ELNS0_20block_scan_algorithmE0ELj4294967295EEENS1_25partition_config_selectorILNS1_17partition_subalgoE4EjNS0_10empty_typeEbEEZZNS1_14partition_implILS8_4ELb0ES6_15HIP_vector_typeIjLj2EENS0_17counting_iteratorIjlEEPS9_SG_NS0_5tupleIJPjSI_NS0_16reverse_iteratorISI_EEEEENSH_IJSG_SG_SG_EEES9_SI_JZNS1_25segmented_radix_sort_implINS0_14default_configELb1EPKsPsPKlPlN2at6native12_GLOBAL__N_18offset_tEEE10hipError_tPvRmT1_PNSt15iterator_traitsIS12_E10value_typeET2_T3_PNS13_IS18_E10value_typeET4_jRbjT5_S1E_jjP12ihipStream_tbEUljE_ZNSN_ISO_Lb1ESQ_SR_ST_SU_SY_EESZ_S10_S11_S12_S16_S17_S18_S1B_S1C_jS1D_jS1E_S1E_jjS1G_bEUljE0_EEESZ_S10_S11_S18_S1C_S1E_T6_T7_T9_mT8_S1G_bDpT10_ENKUlT_T0_E_clISt17integral_constantIbLb0EES1U_EEDaS1P_S1Q_EUlS1P_E_NS1_11comp_targetILNS1_3genE10ELNS1_11target_archE1200ELNS1_3gpuE4ELNS1_3repE0EEENS1_30default_config_static_selectorELNS0_4arch9wavefront6targetE1EEEvS12_.numbered_sgpr, 0
	.set _ZN7rocprim17ROCPRIM_400000_NS6detail17trampoline_kernelINS0_13select_configILj256ELj13ELNS0_17block_load_methodE3ELS4_3ELS4_3ELNS0_20block_scan_algorithmE0ELj4294967295EEENS1_25partition_config_selectorILNS1_17partition_subalgoE4EjNS0_10empty_typeEbEEZZNS1_14partition_implILS8_4ELb0ES6_15HIP_vector_typeIjLj2EENS0_17counting_iteratorIjlEEPS9_SG_NS0_5tupleIJPjSI_NS0_16reverse_iteratorISI_EEEEENSH_IJSG_SG_SG_EEES9_SI_JZNS1_25segmented_radix_sort_implINS0_14default_configELb1EPKsPsPKlPlN2at6native12_GLOBAL__N_18offset_tEEE10hipError_tPvRmT1_PNSt15iterator_traitsIS12_E10value_typeET2_T3_PNS13_IS18_E10value_typeET4_jRbjT5_S1E_jjP12ihipStream_tbEUljE_ZNSN_ISO_Lb1ESQ_SR_ST_SU_SY_EESZ_S10_S11_S12_S16_S17_S18_S1B_S1C_jS1D_jS1E_S1E_jjS1G_bEUljE0_EEESZ_S10_S11_S18_S1C_S1E_T6_T7_T9_mT8_S1G_bDpT10_ENKUlT_T0_E_clISt17integral_constantIbLb0EES1U_EEDaS1P_S1Q_EUlS1P_E_NS1_11comp_targetILNS1_3genE10ELNS1_11target_archE1200ELNS1_3gpuE4ELNS1_3repE0EEENS1_30default_config_static_selectorELNS0_4arch9wavefront6targetE1EEEvS12_.num_named_barrier, 0
	.set _ZN7rocprim17ROCPRIM_400000_NS6detail17trampoline_kernelINS0_13select_configILj256ELj13ELNS0_17block_load_methodE3ELS4_3ELS4_3ELNS0_20block_scan_algorithmE0ELj4294967295EEENS1_25partition_config_selectorILNS1_17partition_subalgoE4EjNS0_10empty_typeEbEEZZNS1_14partition_implILS8_4ELb0ES6_15HIP_vector_typeIjLj2EENS0_17counting_iteratorIjlEEPS9_SG_NS0_5tupleIJPjSI_NS0_16reverse_iteratorISI_EEEEENSH_IJSG_SG_SG_EEES9_SI_JZNS1_25segmented_radix_sort_implINS0_14default_configELb1EPKsPsPKlPlN2at6native12_GLOBAL__N_18offset_tEEE10hipError_tPvRmT1_PNSt15iterator_traitsIS12_E10value_typeET2_T3_PNS13_IS18_E10value_typeET4_jRbjT5_S1E_jjP12ihipStream_tbEUljE_ZNSN_ISO_Lb1ESQ_SR_ST_SU_SY_EESZ_S10_S11_S12_S16_S17_S18_S1B_S1C_jS1D_jS1E_S1E_jjS1G_bEUljE0_EEESZ_S10_S11_S18_S1C_S1E_T6_T7_T9_mT8_S1G_bDpT10_ENKUlT_T0_E_clISt17integral_constantIbLb0EES1U_EEDaS1P_S1Q_EUlS1P_E_NS1_11comp_targetILNS1_3genE10ELNS1_11target_archE1200ELNS1_3gpuE4ELNS1_3repE0EEENS1_30default_config_static_selectorELNS0_4arch9wavefront6targetE1EEEvS12_.private_seg_size, 0
	.set _ZN7rocprim17ROCPRIM_400000_NS6detail17trampoline_kernelINS0_13select_configILj256ELj13ELNS0_17block_load_methodE3ELS4_3ELS4_3ELNS0_20block_scan_algorithmE0ELj4294967295EEENS1_25partition_config_selectorILNS1_17partition_subalgoE4EjNS0_10empty_typeEbEEZZNS1_14partition_implILS8_4ELb0ES6_15HIP_vector_typeIjLj2EENS0_17counting_iteratorIjlEEPS9_SG_NS0_5tupleIJPjSI_NS0_16reverse_iteratorISI_EEEEENSH_IJSG_SG_SG_EEES9_SI_JZNS1_25segmented_radix_sort_implINS0_14default_configELb1EPKsPsPKlPlN2at6native12_GLOBAL__N_18offset_tEEE10hipError_tPvRmT1_PNSt15iterator_traitsIS12_E10value_typeET2_T3_PNS13_IS18_E10value_typeET4_jRbjT5_S1E_jjP12ihipStream_tbEUljE_ZNSN_ISO_Lb1ESQ_SR_ST_SU_SY_EESZ_S10_S11_S12_S16_S17_S18_S1B_S1C_jS1D_jS1E_S1E_jjS1G_bEUljE0_EEESZ_S10_S11_S18_S1C_S1E_T6_T7_T9_mT8_S1G_bDpT10_ENKUlT_T0_E_clISt17integral_constantIbLb0EES1U_EEDaS1P_S1Q_EUlS1P_E_NS1_11comp_targetILNS1_3genE10ELNS1_11target_archE1200ELNS1_3gpuE4ELNS1_3repE0EEENS1_30default_config_static_selectorELNS0_4arch9wavefront6targetE1EEEvS12_.uses_vcc, 0
	.set _ZN7rocprim17ROCPRIM_400000_NS6detail17trampoline_kernelINS0_13select_configILj256ELj13ELNS0_17block_load_methodE3ELS4_3ELS4_3ELNS0_20block_scan_algorithmE0ELj4294967295EEENS1_25partition_config_selectorILNS1_17partition_subalgoE4EjNS0_10empty_typeEbEEZZNS1_14partition_implILS8_4ELb0ES6_15HIP_vector_typeIjLj2EENS0_17counting_iteratorIjlEEPS9_SG_NS0_5tupleIJPjSI_NS0_16reverse_iteratorISI_EEEEENSH_IJSG_SG_SG_EEES9_SI_JZNS1_25segmented_radix_sort_implINS0_14default_configELb1EPKsPsPKlPlN2at6native12_GLOBAL__N_18offset_tEEE10hipError_tPvRmT1_PNSt15iterator_traitsIS12_E10value_typeET2_T3_PNS13_IS18_E10value_typeET4_jRbjT5_S1E_jjP12ihipStream_tbEUljE_ZNSN_ISO_Lb1ESQ_SR_ST_SU_SY_EESZ_S10_S11_S12_S16_S17_S18_S1B_S1C_jS1D_jS1E_S1E_jjS1G_bEUljE0_EEESZ_S10_S11_S18_S1C_S1E_T6_T7_T9_mT8_S1G_bDpT10_ENKUlT_T0_E_clISt17integral_constantIbLb0EES1U_EEDaS1P_S1Q_EUlS1P_E_NS1_11comp_targetILNS1_3genE10ELNS1_11target_archE1200ELNS1_3gpuE4ELNS1_3repE0EEENS1_30default_config_static_selectorELNS0_4arch9wavefront6targetE1EEEvS12_.uses_flat_scratch, 0
	.set _ZN7rocprim17ROCPRIM_400000_NS6detail17trampoline_kernelINS0_13select_configILj256ELj13ELNS0_17block_load_methodE3ELS4_3ELS4_3ELNS0_20block_scan_algorithmE0ELj4294967295EEENS1_25partition_config_selectorILNS1_17partition_subalgoE4EjNS0_10empty_typeEbEEZZNS1_14partition_implILS8_4ELb0ES6_15HIP_vector_typeIjLj2EENS0_17counting_iteratorIjlEEPS9_SG_NS0_5tupleIJPjSI_NS0_16reverse_iteratorISI_EEEEENSH_IJSG_SG_SG_EEES9_SI_JZNS1_25segmented_radix_sort_implINS0_14default_configELb1EPKsPsPKlPlN2at6native12_GLOBAL__N_18offset_tEEE10hipError_tPvRmT1_PNSt15iterator_traitsIS12_E10value_typeET2_T3_PNS13_IS18_E10value_typeET4_jRbjT5_S1E_jjP12ihipStream_tbEUljE_ZNSN_ISO_Lb1ESQ_SR_ST_SU_SY_EESZ_S10_S11_S12_S16_S17_S18_S1B_S1C_jS1D_jS1E_S1E_jjS1G_bEUljE0_EEESZ_S10_S11_S18_S1C_S1E_T6_T7_T9_mT8_S1G_bDpT10_ENKUlT_T0_E_clISt17integral_constantIbLb0EES1U_EEDaS1P_S1Q_EUlS1P_E_NS1_11comp_targetILNS1_3genE10ELNS1_11target_archE1200ELNS1_3gpuE4ELNS1_3repE0EEENS1_30default_config_static_selectorELNS0_4arch9wavefront6targetE1EEEvS12_.has_dyn_sized_stack, 0
	.set _ZN7rocprim17ROCPRIM_400000_NS6detail17trampoline_kernelINS0_13select_configILj256ELj13ELNS0_17block_load_methodE3ELS4_3ELS4_3ELNS0_20block_scan_algorithmE0ELj4294967295EEENS1_25partition_config_selectorILNS1_17partition_subalgoE4EjNS0_10empty_typeEbEEZZNS1_14partition_implILS8_4ELb0ES6_15HIP_vector_typeIjLj2EENS0_17counting_iteratorIjlEEPS9_SG_NS0_5tupleIJPjSI_NS0_16reverse_iteratorISI_EEEEENSH_IJSG_SG_SG_EEES9_SI_JZNS1_25segmented_radix_sort_implINS0_14default_configELb1EPKsPsPKlPlN2at6native12_GLOBAL__N_18offset_tEEE10hipError_tPvRmT1_PNSt15iterator_traitsIS12_E10value_typeET2_T3_PNS13_IS18_E10value_typeET4_jRbjT5_S1E_jjP12ihipStream_tbEUljE_ZNSN_ISO_Lb1ESQ_SR_ST_SU_SY_EESZ_S10_S11_S12_S16_S17_S18_S1B_S1C_jS1D_jS1E_S1E_jjS1G_bEUljE0_EEESZ_S10_S11_S18_S1C_S1E_T6_T7_T9_mT8_S1G_bDpT10_ENKUlT_T0_E_clISt17integral_constantIbLb0EES1U_EEDaS1P_S1Q_EUlS1P_E_NS1_11comp_targetILNS1_3genE10ELNS1_11target_archE1200ELNS1_3gpuE4ELNS1_3repE0EEENS1_30default_config_static_selectorELNS0_4arch9wavefront6targetE1EEEvS12_.has_recursion, 0
	.set _ZN7rocprim17ROCPRIM_400000_NS6detail17trampoline_kernelINS0_13select_configILj256ELj13ELNS0_17block_load_methodE3ELS4_3ELS4_3ELNS0_20block_scan_algorithmE0ELj4294967295EEENS1_25partition_config_selectorILNS1_17partition_subalgoE4EjNS0_10empty_typeEbEEZZNS1_14partition_implILS8_4ELb0ES6_15HIP_vector_typeIjLj2EENS0_17counting_iteratorIjlEEPS9_SG_NS0_5tupleIJPjSI_NS0_16reverse_iteratorISI_EEEEENSH_IJSG_SG_SG_EEES9_SI_JZNS1_25segmented_radix_sort_implINS0_14default_configELb1EPKsPsPKlPlN2at6native12_GLOBAL__N_18offset_tEEE10hipError_tPvRmT1_PNSt15iterator_traitsIS12_E10value_typeET2_T3_PNS13_IS18_E10value_typeET4_jRbjT5_S1E_jjP12ihipStream_tbEUljE_ZNSN_ISO_Lb1ESQ_SR_ST_SU_SY_EESZ_S10_S11_S12_S16_S17_S18_S1B_S1C_jS1D_jS1E_S1E_jjS1G_bEUljE0_EEESZ_S10_S11_S18_S1C_S1E_T6_T7_T9_mT8_S1G_bDpT10_ENKUlT_T0_E_clISt17integral_constantIbLb0EES1U_EEDaS1P_S1Q_EUlS1P_E_NS1_11comp_targetILNS1_3genE10ELNS1_11target_archE1200ELNS1_3gpuE4ELNS1_3repE0EEENS1_30default_config_static_selectorELNS0_4arch9wavefront6targetE1EEEvS12_.has_indirect_call, 0
	.section	.AMDGPU.csdata,"",@progbits
; Kernel info:
; codeLenInByte = 0
; TotalNumSgprs: 4
; NumVgprs: 0
; ScratchSize: 0
; MemoryBound: 0
; FloatMode: 240
; IeeeMode: 1
; LDSByteSize: 0 bytes/workgroup (compile time only)
; SGPRBlocks: 0
; VGPRBlocks: 0
; NumSGPRsForWavesPerEU: 4
; NumVGPRsForWavesPerEU: 1
; Occupancy: 10
; WaveLimiterHint : 0
; COMPUTE_PGM_RSRC2:SCRATCH_EN: 0
; COMPUTE_PGM_RSRC2:USER_SGPR: 6
; COMPUTE_PGM_RSRC2:TRAP_HANDLER: 0
; COMPUTE_PGM_RSRC2:TGID_X_EN: 1
; COMPUTE_PGM_RSRC2:TGID_Y_EN: 0
; COMPUTE_PGM_RSRC2:TGID_Z_EN: 0
; COMPUTE_PGM_RSRC2:TIDIG_COMP_CNT: 0
	.section	.text._ZN7rocprim17ROCPRIM_400000_NS6detail17trampoline_kernelINS0_13select_configILj256ELj13ELNS0_17block_load_methodE3ELS4_3ELS4_3ELNS0_20block_scan_algorithmE0ELj4294967295EEENS1_25partition_config_selectorILNS1_17partition_subalgoE4EjNS0_10empty_typeEbEEZZNS1_14partition_implILS8_4ELb0ES6_15HIP_vector_typeIjLj2EENS0_17counting_iteratorIjlEEPS9_SG_NS0_5tupleIJPjSI_NS0_16reverse_iteratorISI_EEEEENSH_IJSG_SG_SG_EEES9_SI_JZNS1_25segmented_radix_sort_implINS0_14default_configELb1EPKsPsPKlPlN2at6native12_GLOBAL__N_18offset_tEEE10hipError_tPvRmT1_PNSt15iterator_traitsIS12_E10value_typeET2_T3_PNS13_IS18_E10value_typeET4_jRbjT5_S1E_jjP12ihipStream_tbEUljE_ZNSN_ISO_Lb1ESQ_SR_ST_SU_SY_EESZ_S10_S11_S12_S16_S17_S18_S1B_S1C_jS1D_jS1E_S1E_jjS1G_bEUljE0_EEESZ_S10_S11_S18_S1C_S1E_T6_T7_T9_mT8_S1G_bDpT10_ENKUlT_T0_E_clISt17integral_constantIbLb0EES1U_EEDaS1P_S1Q_EUlS1P_E_NS1_11comp_targetILNS1_3genE9ELNS1_11target_archE1100ELNS1_3gpuE3ELNS1_3repE0EEENS1_30default_config_static_selectorELNS0_4arch9wavefront6targetE1EEEvS12_,"axG",@progbits,_ZN7rocprim17ROCPRIM_400000_NS6detail17trampoline_kernelINS0_13select_configILj256ELj13ELNS0_17block_load_methodE3ELS4_3ELS4_3ELNS0_20block_scan_algorithmE0ELj4294967295EEENS1_25partition_config_selectorILNS1_17partition_subalgoE4EjNS0_10empty_typeEbEEZZNS1_14partition_implILS8_4ELb0ES6_15HIP_vector_typeIjLj2EENS0_17counting_iteratorIjlEEPS9_SG_NS0_5tupleIJPjSI_NS0_16reverse_iteratorISI_EEEEENSH_IJSG_SG_SG_EEES9_SI_JZNS1_25segmented_radix_sort_implINS0_14default_configELb1EPKsPsPKlPlN2at6native12_GLOBAL__N_18offset_tEEE10hipError_tPvRmT1_PNSt15iterator_traitsIS12_E10value_typeET2_T3_PNS13_IS18_E10value_typeET4_jRbjT5_S1E_jjP12ihipStream_tbEUljE_ZNSN_ISO_Lb1ESQ_SR_ST_SU_SY_EESZ_S10_S11_S12_S16_S17_S18_S1B_S1C_jS1D_jS1E_S1E_jjS1G_bEUljE0_EEESZ_S10_S11_S18_S1C_S1E_T6_T7_T9_mT8_S1G_bDpT10_ENKUlT_T0_E_clISt17integral_constantIbLb0EES1U_EEDaS1P_S1Q_EUlS1P_E_NS1_11comp_targetILNS1_3genE9ELNS1_11target_archE1100ELNS1_3gpuE3ELNS1_3repE0EEENS1_30default_config_static_selectorELNS0_4arch9wavefront6targetE1EEEvS12_,comdat
	.globl	_ZN7rocprim17ROCPRIM_400000_NS6detail17trampoline_kernelINS0_13select_configILj256ELj13ELNS0_17block_load_methodE3ELS4_3ELS4_3ELNS0_20block_scan_algorithmE0ELj4294967295EEENS1_25partition_config_selectorILNS1_17partition_subalgoE4EjNS0_10empty_typeEbEEZZNS1_14partition_implILS8_4ELb0ES6_15HIP_vector_typeIjLj2EENS0_17counting_iteratorIjlEEPS9_SG_NS0_5tupleIJPjSI_NS0_16reverse_iteratorISI_EEEEENSH_IJSG_SG_SG_EEES9_SI_JZNS1_25segmented_radix_sort_implINS0_14default_configELb1EPKsPsPKlPlN2at6native12_GLOBAL__N_18offset_tEEE10hipError_tPvRmT1_PNSt15iterator_traitsIS12_E10value_typeET2_T3_PNS13_IS18_E10value_typeET4_jRbjT5_S1E_jjP12ihipStream_tbEUljE_ZNSN_ISO_Lb1ESQ_SR_ST_SU_SY_EESZ_S10_S11_S12_S16_S17_S18_S1B_S1C_jS1D_jS1E_S1E_jjS1G_bEUljE0_EEESZ_S10_S11_S18_S1C_S1E_T6_T7_T9_mT8_S1G_bDpT10_ENKUlT_T0_E_clISt17integral_constantIbLb0EES1U_EEDaS1P_S1Q_EUlS1P_E_NS1_11comp_targetILNS1_3genE9ELNS1_11target_archE1100ELNS1_3gpuE3ELNS1_3repE0EEENS1_30default_config_static_selectorELNS0_4arch9wavefront6targetE1EEEvS12_ ; -- Begin function _ZN7rocprim17ROCPRIM_400000_NS6detail17trampoline_kernelINS0_13select_configILj256ELj13ELNS0_17block_load_methodE3ELS4_3ELS4_3ELNS0_20block_scan_algorithmE0ELj4294967295EEENS1_25partition_config_selectorILNS1_17partition_subalgoE4EjNS0_10empty_typeEbEEZZNS1_14partition_implILS8_4ELb0ES6_15HIP_vector_typeIjLj2EENS0_17counting_iteratorIjlEEPS9_SG_NS0_5tupleIJPjSI_NS0_16reverse_iteratorISI_EEEEENSH_IJSG_SG_SG_EEES9_SI_JZNS1_25segmented_radix_sort_implINS0_14default_configELb1EPKsPsPKlPlN2at6native12_GLOBAL__N_18offset_tEEE10hipError_tPvRmT1_PNSt15iterator_traitsIS12_E10value_typeET2_T3_PNS13_IS18_E10value_typeET4_jRbjT5_S1E_jjP12ihipStream_tbEUljE_ZNSN_ISO_Lb1ESQ_SR_ST_SU_SY_EESZ_S10_S11_S12_S16_S17_S18_S1B_S1C_jS1D_jS1E_S1E_jjS1G_bEUljE0_EEESZ_S10_S11_S18_S1C_S1E_T6_T7_T9_mT8_S1G_bDpT10_ENKUlT_T0_E_clISt17integral_constantIbLb0EES1U_EEDaS1P_S1Q_EUlS1P_E_NS1_11comp_targetILNS1_3genE9ELNS1_11target_archE1100ELNS1_3gpuE3ELNS1_3repE0EEENS1_30default_config_static_selectorELNS0_4arch9wavefront6targetE1EEEvS12_
	.p2align	8
	.type	_ZN7rocprim17ROCPRIM_400000_NS6detail17trampoline_kernelINS0_13select_configILj256ELj13ELNS0_17block_load_methodE3ELS4_3ELS4_3ELNS0_20block_scan_algorithmE0ELj4294967295EEENS1_25partition_config_selectorILNS1_17partition_subalgoE4EjNS0_10empty_typeEbEEZZNS1_14partition_implILS8_4ELb0ES6_15HIP_vector_typeIjLj2EENS0_17counting_iteratorIjlEEPS9_SG_NS0_5tupleIJPjSI_NS0_16reverse_iteratorISI_EEEEENSH_IJSG_SG_SG_EEES9_SI_JZNS1_25segmented_radix_sort_implINS0_14default_configELb1EPKsPsPKlPlN2at6native12_GLOBAL__N_18offset_tEEE10hipError_tPvRmT1_PNSt15iterator_traitsIS12_E10value_typeET2_T3_PNS13_IS18_E10value_typeET4_jRbjT5_S1E_jjP12ihipStream_tbEUljE_ZNSN_ISO_Lb1ESQ_SR_ST_SU_SY_EESZ_S10_S11_S12_S16_S17_S18_S1B_S1C_jS1D_jS1E_S1E_jjS1G_bEUljE0_EEESZ_S10_S11_S18_S1C_S1E_T6_T7_T9_mT8_S1G_bDpT10_ENKUlT_T0_E_clISt17integral_constantIbLb0EES1U_EEDaS1P_S1Q_EUlS1P_E_NS1_11comp_targetILNS1_3genE9ELNS1_11target_archE1100ELNS1_3gpuE3ELNS1_3repE0EEENS1_30default_config_static_selectorELNS0_4arch9wavefront6targetE1EEEvS12_,@function
_ZN7rocprim17ROCPRIM_400000_NS6detail17trampoline_kernelINS0_13select_configILj256ELj13ELNS0_17block_load_methodE3ELS4_3ELS4_3ELNS0_20block_scan_algorithmE0ELj4294967295EEENS1_25partition_config_selectorILNS1_17partition_subalgoE4EjNS0_10empty_typeEbEEZZNS1_14partition_implILS8_4ELb0ES6_15HIP_vector_typeIjLj2EENS0_17counting_iteratorIjlEEPS9_SG_NS0_5tupleIJPjSI_NS0_16reverse_iteratorISI_EEEEENSH_IJSG_SG_SG_EEES9_SI_JZNS1_25segmented_radix_sort_implINS0_14default_configELb1EPKsPsPKlPlN2at6native12_GLOBAL__N_18offset_tEEE10hipError_tPvRmT1_PNSt15iterator_traitsIS12_E10value_typeET2_T3_PNS13_IS18_E10value_typeET4_jRbjT5_S1E_jjP12ihipStream_tbEUljE_ZNSN_ISO_Lb1ESQ_SR_ST_SU_SY_EESZ_S10_S11_S12_S16_S17_S18_S1B_S1C_jS1D_jS1E_S1E_jjS1G_bEUljE0_EEESZ_S10_S11_S18_S1C_S1E_T6_T7_T9_mT8_S1G_bDpT10_ENKUlT_T0_E_clISt17integral_constantIbLb0EES1U_EEDaS1P_S1Q_EUlS1P_E_NS1_11comp_targetILNS1_3genE9ELNS1_11target_archE1100ELNS1_3gpuE3ELNS1_3repE0EEENS1_30default_config_static_selectorELNS0_4arch9wavefront6targetE1EEEvS12_: ; @_ZN7rocprim17ROCPRIM_400000_NS6detail17trampoline_kernelINS0_13select_configILj256ELj13ELNS0_17block_load_methodE3ELS4_3ELS4_3ELNS0_20block_scan_algorithmE0ELj4294967295EEENS1_25partition_config_selectorILNS1_17partition_subalgoE4EjNS0_10empty_typeEbEEZZNS1_14partition_implILS8_4ELb0ES6_15HIP_vector_typeIjLj2EENS0_17counting_iteratorIjlEEPS9_SG_NS0_5tupleIJPjSI_NS0_16reverse_iteratorISI_EEEEENSH_IJSG_SG_SG_EEES9_SI_JZNS1_25segmented_radix_sort_implINS0_14default_configELb1EPKsPsPKlPlN2at6native12_GLOBAL__N_18offset_tEEE10hipError_tPvRmT1_PNSt15iterator_traitsIS12_E10value_typeET2_T3_PNS13_IS18_E10value_typeET4_jRbjT5_S1E_jjP12ihipStream_tbEUljE_ZNSN_ISO_Lb1ESQ_SR_ST_SU_SY_EESZ_S10_S11_S12_S16_S17_S18_S1B_S1C_jS1D_jS1E_S1E_jjS1G_bEUljE0_EEESZ_S10_S11_S18_S1C_S1E_T6_T7_T9_mT8_S1G_bDpT10_ENKUlT_T0_E_clISt17integral_constantIbLb0EES1U_EEDaS1P_S1Q_EUlS1P_E_NS1_11comp_targetILNS1_3genE9ELNS1_11target_archE1100ELNS1_3gpuE3ELNS1_3repE0EEENS1_30default_config_static_selectorELNS0_4arch9wavefront6targetE1EEEvS12_
; %bb.0:
	.section	.rodata,"a",@progbits
	.p2align	6, 0x0
	.amdhsa_kernel _ZN7rocprim17ROCPRIM_400000_NS6detail17trampoline_kernelINS0_13select_configILj256ELj13ELNS0_17block_load_methodE3ELS4_3ELS4_3ELNS0_20block_scan_algorithmE0ELj4294967295EEENS1_25partition_config_selectorILNS1_17partition_subalgoE4EjNS0_10empty_typeEbEEZZNS1_14partition_implILS8_4ELb0ES6_15HIP_vector_typeIjLj2EENS0_17counting_iteratorIjlEEPS9_SG_NS0_5tupleIJPjSI_NS0_16reverse_iteratorISI_EEEEENSH_IJSG_SG_SG_EEES9_SI_JZNS1_25segmented_radix_sort_implINS0_14default_configELb1EPKsPsPKlPlN2at6native12_GLOBAL__N_18offset_tEEE10hipError_tPvRmT1_PNSt15iterator_traitsIS12_E10value_typeET2_T3_PNS13_IS18_E10value_typeET4_jRbjT5_S1E_jjP12ihipStream_tbEUljE_ZNSN_ISO_Lb1ESQ_SR_ST_SU_SY_EESZ_S10_S11_S12_S16_S17_S18_S1B_S1C_jS1D_jS1E_S1E_jjS1G_bEUljE0_EEESZ_S10_S11_S18_S1C_S1E_T6_T7_T9_mT8_S1G_bDpT10_ENKUlT_T0_E_clISt17integral_constantIbLb0EES1U_EEDaS1P_S1Q_EUlS1P_E_NS1_11comp_targetILNS1_3genE9ELNS1_11target_archE1100ELNS1_3gpuE3ELNS1_3repE0EEENS1_30default_config_static_selectorELNS0_4arch9wavefront6targetE1EEEvS12_
		.amdhsa_group_segment_fixed_size 0
		.amdhsa_private_segment_fixed_size 0
		.amdhsa_kernarg_size 176
		.amdhsa_user_sgpr_count 6
		.amdhsa_user_sgpr_private_segment_buffer 1
		.amdhsa_user_sgpr_dispatch_ptr 0
		.amdhsa_user_sgpr_queue_ptr 0
		.amdhsa_user_sgpr_kernarg_segment_ptr 1
		.amdhsa_user_sgpr_dispatch_id 0
		.amdhsa_user_sgpr_flat_scratch_init 0
		.amdhsa_user_sgpr_private_segment_size 0
		.amdhsa_uses_dynamic_stack 0
		.amdhsa_system_sgpr_private_segment_wavefront_offset 0
		.amdhsa_system_sgpr_workgroup_id_x 1
		.amdhsa_system_sgpr_workgroup_id_y 0
		.amdhsa_system_sgpr_workgroup_id_z 0
		.amdhsa_system_sgpr_workgroup_info 0
		.amdhsa_system_vgpr_workitem_id 0
		.amdhsa_next_free_vgpr 1
		.amdhsa_next_free_sgpr 0
		.amdhsa_reserve_vcc 0
		.amdhsa_reserve_flat_scratch 0
		.amdhsa_float_round_mode_32 0
		.amdhsa_float_round_mode_16_64 0
		.amdhsa_float_denorm_mode_32 3
		.amdhsa_float_denorm_mode_16_64 3
		.amdhsa_dx10_clamp 1
		.amdhsa_ieee_mode 1
		.amdhsa_fp16_overflow 0
		.amdhsa_exception_fp_ieee_invalid_op 0
		.amdhsa_exception_fp_denorm_src 0
		.amdhsa_exception_fp_ieee_div_zero 0
		.amdhsa_exception_fp_ieee_overflow 0
		.amdhsa_exception_fp_ieee_underflow 0
		.amdhsa_exception_fp_ieee_inexact 0
		.amdhsa_exception_int_div_zero 0
	.end_amdhsa_kernel
	.section	.text._ZN7rocprim17ROCPRIM_400000_NS6detail17trampoline_kernelINS0_13select_configILj256ELj13ELNS0_17block_load_methodE3ELS4_3ELS4_3ELNS0_20block_scan_algorithmE0ELj4294967295EEENS1_25partition_config_selectorILNS1_17partition_subalgoE4EjNS0_10empty_typeEbEEZZNS1_14partition_implILS8_4ELb0ES6_15HIP_vector_typeIjLj2EENS0_17counting_iteratorIjlEEPS9_SG_NS0_5tupleIJPjSI_NS0_16reverse_iteratorISI_EEEEENSH_IJSG_SG_SG_EEES9_SI_JZNS1_25segmented_radix_sort_implINS0_14default_configELb1EPKsPsPKlPlN2at6native12_GLOBAL__N_18offset_tEEE10hipError_tPvRmT1_PNSt15iterator_traitsIS12_E10value_typeET2_T3_PNS13_IS18_E10value_typeET4_jRbjT5_S1E_jjP12ihipStream_tbEUljE_ZNSN_ISO_Lb1ESQ_SR_ST_SU_SY_EESZ_S10_S11_S12_S16_S17_S18_S1B_S1C_jS1D_jS1E_S1E_jjS1G_bEUljE0_EEESZ_S10_S11_S18_S1C_S1E_T6_T7_T9_mT8_S1G_bDpT10_ENKUlT_T0_E_clISt17integral_constantIbLb0EES1U_EEDaS1P_S1Q_EUlS1P_E_NS1_11comp_targetILNS1_3genE9ELNS1_11target_archE1100ELNS1_3gpuE3ELNS1_3repE0EEENS1_30default_config_static_selectorELNS0_4arch9wavefront6targetE1EEEvS12_,"axG",@progbits,_ZN7rocprim17ROCPRIM_400000_NS6detail17trampoline_kernelINS0_13select_configILj256ELj13ELNS0_17block_load_methodE3ELS4_3ELS4_3ELNS0_20block_scan_algorithmE0ELj4294967295EEENS1_25partition_config_selectorILNS1_17partition_subalgoE4EjNS0_10empty_typeEbEEZZNS1_14partition_implILS8_4ELb0ES6_15HIP_vector_typeIjLj2EENS0_17counting_iteratorIjlEEPS9_SG_NS0_5tupleIJPjSI_NS0_16reverse_iteratorISI_EEEEENSH_IJSG_SG_SG_EEES9_SI_JZNS1_25segmented_radix_sort_implINS0_14default_configELb1EPKsPsPKlPlN2at6native12_GLOBAL__N_18offset_tEEE10hipError_tPvRmT1_PNSt15iterator_traitsIS12_E10value_typeET2_T3_PNS13_IS18_E10value_typeET4_jRbjT5_S1E_jjP12ihipStream_tbEUljE_ZNSN_ISO_Lb1ESQ_SR_ST_SU_SY_EESZ_S10_S11_S12_S16_S17_S18_S1B_S1C_jS1D_jS1E_S1E_jjS1G_bEUljE0_EEESZ_S10_S11_S18_S1C_S1E_T6_T7_T9_mT8_S1G_bDpT10_ENKUlT_T0_E_clISt17integral_constantIbLb0EES1U_EEDaS1P_S1Q_EUlS1P_E_NS1_11comp_targetILNS1_3genE9ELNS1_11target_archE1100ELNS1_3gpuE3ELNS1_3repE0EEENS1_30default_config_static_selectorELNS0_4arch9wavefront6targetE1EEEvS12_,comdat
.Lfunc_end853:
	.size	_ZN7rocprim17ROCPRIM_400000_NS6detail17trampoline_kernelINS0_13select_configILj256ELj13ELNS0_17block_load_methodE3ELS4_3ELS4_3ELNS0_20block_scan_algorithmE0ELj4294967295EEENS1_25partition_config_selectorILNS1_17partition_subalgoE4EjNS0_10empty_typeEbEEZZNS1_14partition_implILS8_4ELb0ES6_15HIP_vector_typeIjLj2EENS0_17counting_iteratorIjlEEPS9_SG_NS0_5tupleIJPjSI_NS0_16reverse_iteratorISI_EEEEENSH_IJSG_SG_SG_EEES9_SI_JZNS1_25segmented_radix_sort_implINS0_14default_configELb1EPKsPsPKlPlN2at6native12_GLOBAL__N_18offset_tEEE10hipError_tPvRmT1_PNSt15iterator_traitsIS12_E10value_typeET2_T3_PNS13_IS18_E10value_typeET4_jRbjT5_S1E_jjP12ihipStream_tbEUljE_ZNSN_ISO_Lb1ESQ_SR_ST_SU_SY_EESZ_S10_S11_S12_S16_S17_S18_S1B_S1C_jS1D_jS1E_S1E_jjS1G_bEUljE0_EEESZ_S10_S11_S18_S1C_S1E_T6_T7_T9_mT8_S1G_bDpT10_ENKUlT_T0_E_clISt17integral_constantIbLb0EES1U_EEDaS1P_S1Q_EUlS1P_E_NS1_11comp_targetILNS1_3genE9ELNS1_11target_archE1100ELNS1_3gpuE3ELNS1_3repE0EEENS1_30default_config_static_selectorELNS0_4arch9wavefront6targetE1EEEvS12_, .Lfunc_end853-_ZN7rocprim17ROCPRIM_400000_NS6detail17trampoline_kernelINS0_13select_configILj256ELj13ELNS0_17block_load_methodE3ELS4_3ELS4_3ELNS0_20block_scan_algorithmE0ELj4294967295EEENS1_25partition_config_selectorILNS1_17partition_subalgoE4EjNS0_10empty_typeEbEEZZNS1_14partition_implILS8_4ELb0ES6_15HIP_vector_typeIjLj2EENS0_17counting_iteratorIjlEEPS9_SG_NS0_5tupleIJPjSI_NS0_16reverse_iteratorISI_EEEEENSH_IJSG_SG_SG_EEES9_SI_JZNS1_25segmented_radix_sort_implINS0_14default_configELb1EPKsPsPKlPlN2at6native12_GLOBAL__N_18offset_tEEE10hipError_tPvRmT1_PNSt15iterator_traitsIS12_E10value_typeET2_T3_PNS13_IS18_E10value_typeET4_jRbjT5_S1E_jjP12ihipStream_tbEUljE_ZNSN_ISO_Lb1ESQ_SR_ST_SU_SY_EESZ_S10_S11_S12_S16_S17_S18_S1B_S1C_jS1D_jS1E_S1E_jjS1G_bEUljE0_EEESZ_S10_S11_S18_S1C_S1E_T6_T7_T9_mT8_S1G_bDpT10_ENKUlT_T0_E_clISt17integral_constantIbLb0EES1U_EEDaS1P_S1Q_EUlS1P_E_NS1_11comp_targetILNS1_3genE9ELNS1_11target_archE1100ELNS1_3gpuE3ELNS1_3repE0EEENS1_30default_config_static_selectorELNS0_4arch9wavefront6targetE1EEEvS12_
                                        ; -- End function
	.set _ZN7rocprim17ROCPRIM_400000_NS6detail17trampoline_kernelINS0_13select_configILj256ELj13ELNS0_17block_load_methodE3ELS4_3ELS4_3ELNS0_20block_scan_algorithmE0ELj4294967295EEENS1_25partition_config_selectorILNS1_17partition_subalgoE4EjNS0_10empty_typeEbEEZZNS1_14partition_implILS8_4ELb0ES6_15HIP_vector_typeIjLj2EENS0_17counting_iteratorIjlEEPS9_SG_NS0_5tupleIJPjSI_NS0_16reverse_iteratorISI_EEEEENSH_IJSG_SG_SG_EEES9_SI_JZNS1_25segmented_radix_sort_implINS0_14default_configELb1EPKsPsPKlPlN2at6native12_GLOBAL__N_18offset_tEEE10hipError_tPvRmT1_PNSt15iterator_traitsIS12_E10value_typeET2_T3_PNS13_IS18_E10value_typeET4_jRbjT5_S1E_jjP12ihipStream_tbEUljE_ZNSN_ISO_Lb1ESQ_SR_ST_SU_SY_EESZ_S10_S11_S12_S16_S17_S18_S1B_S1C_jS1D_jS1E_S1E_jjS1G_bEUljE0_EEESZ_S10_S11_S18_S1C_S1E_T6_T7_T9_mT8_S1G_bDpT10_ENKUlT_T0_E_clISt17integral_constantIbLb0EES1U_EEDaS1P_S1Q_EUlS1P_E_NS1_11comp_targetILNS1_3genE9ELNS1_11target_archE1100ELNS1_3gpuE3ELNS1_3repE0EEENS1_30default_config_static_selectorELNS0_4arch9wavefront6targetE1EEEvS12_.num_vgpr, 0
	.set _ZN7rocprim17ROCPRIM_400000_NS6detail17trampoline_kernelINS0_13select_configILj256ELj13ELNS0_17block_load_methodE3ELS4_3ELS4_3ELNS0_20block_scan_algorithmE0ELj4294967295EEENS1_25partition_config_selectorILNS1_17partition_subalgoE4EjNS0_10empty_typeEbEEZZNS1_14partition_implILS8_4ELb0ES6_15HIP_vector_typeIjLj2EENS0_17counting_iteratorIjlEEPS9_SG_NS0_5tupleIJPjSI_NS0_16reverse_iteratorISI_EEEEENSH_IJSG_SG_SG_EEES9_SI_JZNS1_25segmented_radix_sort_implINS0_14default_configELb1EPKsPsPKlPlN2at6native12_GLOBAL__N_18offset_tEEE10hipError_tPvRmT1_PNSt15iterator_traitsIS12_E10value_typeET2_T3_PNS13_IS18_E10value_typeET4_jRbjT5_S1E_jjP12ihipStream_tbEUljE_ZNSN_ISO_Lb1ESQ_SR_ST_SU_SY_EESZ_S10_S11_S12_S16_S17_S18_S1B_S1C_jS1D_jS1E_S1E_jjS1G_bEUljE0_EEESZ_S10_S11_S18_S1C_S1E_T6_T7_T9_mT8_S1G_bDpT10_ENKUlT_T0_E_clISt17integral_constantIbLb0EES1U_EEDaS1P_S1Q_EUlS1P_E_NS1_11comp_targetILNS1_3genE9ELNS1_11target_archE1100ELNS1_3gpuE3ELNS1_3repE0EEENS1_30default_config_static_selectorELNS0_4arch9wavefront6targetE1EEEvS12_.num_agpr, 0
	.set _ZN7rocprim17ROCPRIM_400000_NS6detail17trampoline_kernelINS0_13select_configILj256ELj13ELNS0_17block_load_methodE3ELS4_3ELS4_3ELNS0_20block_scan_algorithmE0ELj4294967295EEENS1_25partition_config_selectorILNS1_17partition_subalgoE4EjNS0_10empty_typeEbEEZZNS1_14partition_implILS8_4ELb0ES6_15HIP_vector_typeIjLj2EENS0_17counting_iteratorIjlEEPS9_SG_NS0_5tupleIJPjSI_NS0_16reverse_iteratorISI_EEEEENSH_IJSG_SG_SG_EEES9_SI_JZNS1_25segmented_radix_sort_implINS0_14default_configELb1EPKsPsPKlPlN2at6native12_GLOBAL__N_18offset_tEEE10hipError_tPvRmT1_PNSt15iterator_traitsIS12_E10value_typeET2_T3_PNS13_IS18_E10value_typeET4_jRbjT5_S1E_jjP12ihipStream_tbEUljE_ZNSN_ISO_Lb1ESQ_SR_ST_SU_SY_EESZ_S10_S11_S12_S16_S17_S18_S1B_S1C_jS1D_jS1E_S1E_jjS1G_bEUljE0_EEESZ_S10_S11_S18_S1C_S1E_T6_T7_T9_mT8_S1G_bDpT10_ENKUlT_T0_E_clISt17integral_constantIbLb0EES1U_EEDaS1P_S1Q_EUlS1P_E_NS1_11comp_targetILNS1_3genE9ELNS1_11target_archE1100ELNS1_3gpuE3ELNS1_3repE0EEENS1_30default_config_static_selectorELNS0_4arch9wavefront6targetE1EEEvS12_.numbered_sgpr, 0
	.set _ZN7rocprim17ROCPRIM_400000_NS6detail17trampoline_kernelINS0_13select_configILj256ELj13ELNS0_17block_load_methodE3ELS4_3ELS4_3ELNS0_20block_scan_algorithmE0ELj4294967295EEENS1_25partition_config_selectorILNS1_17partition_subalgoE4EjNS0_10empty_typeEbEEZZNS1_14partition_implILS8_4ELb0ES6_15HIP_vector_typeIjLj2EENS0_17counting_iteratorIjlEEPS9_SG_NS0_5tupleIJPjSI_NS0_16reverse_iteratorISI_EEEEENSH_IJSG_SG_SG_EEES9_SI_JZNS1_25segmented_radix_sort_implINS0_14default_configELb1EPKsPsPKlPlN2at6native12_GLOBAL__N_18offset_tEEE10hipError_tPvRmT1_PNSt15iterator_traitsIS12_E10value_typeET2_T3_PNS13_IS18_E10value_typeET4_jRbjT5_S1E_jjP12ihipStream_tbEUljE_ZNSN_ISO_Lb1ESQ_SR_ST_SU_SY_EESZ_S10_S11_S12_S16_S17_S18_S1B_S1C_jS1D_jS1E_S1E_jjS1G_bEUljE0_EEESZ_S10_S11_S18_S1C_S1E_T6_T7_T9_mT8_S1G_bDpT10_ENKUlT_T0_E_clISt17integral_constantIbLb0EES1U_EEDaS1P_S1Q_EUlS1P_E_NS1_11comp_targetILNS1_3genE9ELNS1_11target_archE1100ELNS1_3gpuE3ELNS1_3repE0EEENS1_30default_config_static_selectorELNS0_4arch9wavefront6targetE1EEEvS12_.num_named_barrier, 0
	.set _ZN7rocprim17ROCPRIM_400000_NS6detail17trampoline_kernelINS0_13select_configILj256ELj13ELNS0_17block_load_methodE3ELS4_3ELS4_3ELNS0_20block_scan_algorithmE0ELj4294967295EEENS1_25partition_config_selectorILNS1_17partition_subalgoE4EjNS0_10empty_typeEbEEZZNS1_14partition_implILS8_4ELb0ES6_15HIP_vector_typeIjLj2EENS0_17counting_iteratorIjlEEPS9_SG_NS0_5tupleIJPjSI_NS0_16reverse_iteratorISI_EEEEENSH_IJSG_SG_SG_EEES9_SI_JZNS1_25segmented_radix_sort_implINS0_14default_configELb1EPKsPsPKlPlN2at6native12_GLOBAL__N_18offset_tEEE10hipError_tPvRmT1_PNSt15iterator_traitsIS12_E10value_typeET2_T3_PNS13_IS18_E10value_typeET4_jRbjT5_S1E_jjP12ihipStream_tbEUljE_ZNSN_ISO_Lb1ESQ_SR_ST_SU_SY_EESZ_S10_S11_S12_S16_S17_S18_S1B_S1C_jS1D_jS1E_S1E_jjS1G_bEUljE0_EEESZ_S10_S11_S18_S1C_S1E_T6_T7_T9_mT8_S1G_bDpT10_ENKUlT_T0_E_clISt17integral_constantIbLb0EES1U_EEDaS1P_S1Q_EUlS1P_E_NS1_11comp_targetILNS1_3genE9ELNS1_11target_archE1100ELNS1_3gpuE3ELNS1_3repE0EEENS1_30default_config_static_selectorELNS0_4arch9wavefront6targetE1EEEvS12_.private_seg_size, 0
	.set _ZN7rocprim17ROCPRIM_400000_NS6detail17trampoline_kernelINS0_13select_configILj256ELj13ELNS0_17block_load_methodE3ELS4_3ELS4_3ELNS0_20block_scan_algorithmE0ELj4294967295EEENS1_25partition_config_selectorILNS1_17partition_subalgoE4EjNS0_10empty_typeEbEEZZNS1_14partition_implILS8_4ELb0ES6_15HIP_vector_typeIjLj2EENS0_17counting_iteratorIjlEEPS9_SG_NS0_5tupleIJPjSI_NS0_16reverse_iteratorISI_EEEEENSH_IJSG_SG_SG_EEES9_SI_JZNS1_25segmented_radix_sort_implINS0_14default_configELb1EPKsPsPKlPlN2at6native12_GLOBAL__N_18offset_tEEE10hipError_tPvRmT1_PNSt15iterator_traitsIS12_E10value_typeET2_T3_PNS13_IS18_E10value_typeET4_jRbjT5_S1E_jjP12ihipStream_tbEUljE_ZNSN_ISO_Lb1ESQ_SR_ST_SU_SY_EESZ_S10_S11_S12_S16_S17_S18_S1B_S1C_jS1D_jS1E_S1E_jjS1G_bEUljE0_EEESZ_S10_S11_S18_S1C_S1E_T6_T7_T9_mT8_S1G_bDpT10_ENKUlT_T0_E_clISt17integral_constantIbLb0EES1U_EEDaS1P_S1Q_EUlS1P_E_NS1_11comp_targetILNS1_3genE9ELNS1_11target_archE1100ELNS1_3gpuE3ELNS1_3repE0EEENS1_30default_config_static_selectorELNS0_4arch9wavefront6targetE1EEEvS12_.uses_vcc, 0
	.set _ZN7rocprim17ROCPRIM_400000_NS6detail17trampoline_kernelINS0_13select_configILj256ELj13ELNS0_17block_load_methodE3ELS4_3ELS4_3ELNS0_20block_scan_algorithmE0ELj4294967295EEENS1_25partition_config_selectorILNS1_17partition_subalgoE4EjNS0_10empty_typeEbEEZZNS1_14partition_implILS8_4ELb0ES6_15HIP_vector_typeIjLj2EENS0_17counting_iteratorIjlEEPS9_SG_NS0_5tupleIJPjSI_NS0_16reverse_iteratorISI_EEEEENSH_IJSG_SG_SG_EEES9_SI_JZNS1_25segmented_radix_sort_implINS0_14default_configELb1EPKsPsPKlPlN2at6native12_GLOBAL__N_18offset_tEEE10hipError_tPvRmT1_PNSt15iterator_traitsIS12_E10value_typeET2_T3_PNS13_IS18_E10value_typeET4_jRbjT5_S1E_jjP12ihipStream_tbEUljE_ZNSN_ISO_Lb1ESQ_SR_ST_SU_SY_EESZ_S10_S11_S12_S16_S17_S18_S1B_S1C_jS1D_jS1E_S1E_jjS1G_bEUljE0_EEESZ_S10_S11_S18_S1C_S1E_T6_T7_T9_mT8_S1G_bDpT10_ENKUlT_T0_E_clISt17integral_constantIbLb0EES1U_EEDaS1P_S1Q_EUlS1P_E_NS1_11comp_targetILNS1_3genE9ELNS1_11target_archE1100ELNS1_3gpuE3ELNS1_3repE0EEENS1_30default_config_static_selectorELNS0_4arch9wavefront6targetE1EEEvS12_.uses_flat_scratch, 0
	.set _ZN7rocprim17ROCPRIM_400000_NS6detail17trampoline_kernelINS0_13select_configILj256ELj13ELNS0_17block_load_methodE3ELS4_3ELS4_3ELNS0_20block_scan_algorithmE0ELj4294967295EEENS1_25partition_config_selectorILNS1_17partition_subalgoE4EjNS0_10empty_typeEbEEZZNS1_14partition_implILS8_4ELb0ES6_15HIP_vector_typeIjLj2EENS0_17counting_iteratorIjlEEPS9_SG_NS0_5tupleIJPjSI_NS0_16reverse_iteratorISI_EEEEENSH_IJSG_SG_SG_EEES9_SI_JZNS1_25segmented_radix_sort_implINS0_14default_configELb1EPKsPsPKlPlN2at6native12_GLOBAL__N_18offset_tEEE10hipError_tPvRmT1_PNSt15iterator_traitsIS12_E10value_typeET2_T3_PNS13_IS18_E10value_typeET4_jRbjT5_S1E_jjP12ihipStream_tbEUljE_ZNSN_ISO_Lb1ESQ_SR_ST_SU_SY_EESZ_S10_S11_S12_S16_S17_S18_S1B_S1C_jS1D_jS1E_S1E_jjS1G_bEUljE0_EEESZ_S10_S11_S18_S1C_S1E_T6_T7_T9_mT8_S1G_bDpT10_ENKUlT_T0_E_clISt17integral_constantIbLb0EES1U_EEDaS1P_S1Q_EUlS1P_E_NS1_11comp_targetILNS1_3genE9ELNS1_11target_archE1100ELNS1_3gpuE3ELNS1_3repE0EEENS1_30default_config_static_selectorELNS0_4arch9wavefront6targetE1EEEvS12_.has_dyn_sized_stack, 0
	.set _ZN7rocprim17ROCPRIM_400000_NS6detail17trampoline_kernelINS0_13select_configILj256ELj13ELNS0_17block_load_methodE3ELS4_3ELS4_3ELNS0_20block_scan_algorithmE0ELj4294967295EEENS1_25partition_config_selectorILNS1_17partition_subalgoE4EjNS0_10empty_typeEbEEZZNS1_14partition_implILS8_4ELb0ES6_15HIP_vector_typeIjLj2EENS0_17counting_iteratorIjlEEPS9_SG_NS0_5tupleIJPjSI_NS0_16reverse_iteratorISI_EEEEENSH_IJSG_SG_SG_EEES9_SI_JZNS1_25segmented_radix_sort_implINS0_14default_configELb1EPKsPsPKlPlN2at6native12_GLOBAL__N_18offset_tEEE10hipError_tPvRmT1_PNSt15iterator_traitsIS12_E10value_typeET2_T3_PNS13_IS18_E10value_typeET4_jRbjT5_S1E_jjP12ihipStream_tbEUljE_ZNSN_ISO_Lb1ESQ_SR_ST_SU_SY_EESZ_S10_S11_S12_S16_S17_S18_S1B_S1C_jS1D_jS1E_S1E_jjS1G_bEUljE0_EEESZ_S10_S11_S18_S1C_S1E_T6_T7_T9_mT8_S1G_bDpT10_ENKUlT_T0_E_clISt17integral_constantIbLb0EES1U_EEDaS1P_S1Q_EUlS1P_E_NS1_11comp_targetILNS1_3genE9ELNS1_11target_archE1100ELNS1_3gpuE3ELNS1_3repE0EEENS1_30default_config_static_selectorELNS0_4arch9wavefront6targetE1EEEvS12_.has_recursion, 0
	.set _ZN7rocprim17ROCPRIM_400000_NS6detail17trampoline_kernelINS0_13select_configILj256ELj13ELNS0_17block_load_methodE3ELS4_3ELS4_3ELNS0_20block_scan_algorithmE0ELj4294967295EEENS1_25partition_config_selectorILNS1_17partition_subalgoE4EjNS0_10empty_typeEbEEZZNS1_14partition_implILS8_4ELb0ES6_15HIP_vector_typeIjLj2EENS0_17counting_iteratorIjlEEPS9_SG_NS0_5tupleIJPjSI_NS0_16reverse_iteratorISI_EEEEENSH_IJSG_SG_SG_EEES9_SI_JZNS1_25segmented_radix_sort_implINS0_14default_configELb1EPKsPsPKlPlN2at6native12_GLOBAL__N_18offset_tEEE10hipError_tPvRmT1_PNSt15iterator_traitsIS12_E10value_typeET2_T3_PNS13_IS18_E10value_typeET4_jRbjT5_S1E_jjP12ihipStream_tbEUljE_ZNSN_ISO_Lb1ESQ_SR_ST_SU_SY_EESZ_S10_S11_S12_S16_S17_S18_S1B_S1C_jS1D_jS1E_S1E_jjS1G_bEUljE0_EEESZ_S10_S11_S18_S1C_S1E_T6_T7_T9_mT8_S1G_bDpT10_ENKUlT_T0_E_clISt17integral_constantIbLb0EES1U_EEDaS1P_S1Q_EUlS1P_E_NS1_11comp_targetILNS1_3genE9ELNS1_11target_archE1100ELNS1_3gpuE3ELNS1_3repE0EEENS1_30default_config_static_selectorELNS0_4arch9wavefront6targetE1EEEvS12_.has_indirect_call, 0
	.section	.AMDGPU.csdata,"",@progbits
; Kernel info:
; codeLenInByte = 0
; TotalNumSgprs: 4
; NumVgprs: 0
; ScratchSize: 0
; MemoryBound: 0
; FloatMode: 240
; IeeeMode: 1
; LDSByteSize: 0 bytes/workgroup (compile time only)
; SGPRBlocks: 0
; VGPRBlocks: 0
; NumSGPRsForWavesPerEU: 4
; NumVGPRsForWavesPerEU: 1
; Occupancy: 10
; WaveLimiterHint : 0
; COMPUTE_PGM_RSRC2:SCRATCH_EN: 0
; COMPUTE_PGM_RSRC2:USER_SGPR: 6
; COMPUTE_PGM_RSRC2:TRAP_HANDLER: 0
; COMPUTE_PGM_RSRC2:TGID_X_EN: 1
; COMPUTE_PGM_RSRC2:TGID_Y_EN: 0
; COMPUTE_PGM_RSRC2:TGID_Z_EN: 0
; COMPUTE_PGM_RSRC2:TIDIG_COMP_CNT: 0
	.section	.text._ZN7rocprim17ROCPRIM_400000_NS6detail17trampoline_kernelINS0_13select_configILj256ELj13ELNS0_17block_load_methodE3ELS4_3ELS4_3ELNS0_20block_scan_algorithmE0ELj4294967295EEENS1_25partition_config_selectorILNS1_17partition_subalgoE4EjNS0_10empty_typeEbEEZZNS1_14partition_implILS8_4ELb0ES6_15HIP_vector_typeIjLj2EENS0_17counting_iteratorIjlEEPS9_SG_NS0_5tupleIJPjSI_NS0_16reverse_iteratorISI_EEEEENSH_IJSG_SG_SG_EEES9_SI_JZNS1_25segmented_radix_sort_implINS0_14default_configELb1EPKsPsPKlPlN2at6native12_GLOBAL__N_18offset_tEEE10hipError_tPvRmT1_PNSt15iterator_traitsIS12_E10value_typeET2_T3_PNS13_IS18_E10value_typeET4_jRbjT5_S1E_jjP12ihipStream_tbEUljE_ZNSN_ISO_Lb1ESQ_SR_ST_SU_SY_EESZ_S10_S11_S12_S16_S17_S18_S1B_S1C_jS1D_jS1E_S1E_jjS1G_bEUljE0_EEESZ_S10_S11_S18_S1C_S1E_T6_T7_T9_mT8_S1G_bDpT10_ENKUlT_T0_E_clISt17integral_constantIbLb0EES1U_EEDaS1P_S1Q_EUlS1P_E_NS1_11comp_targetILNS1_3genE8ELNS1_11target_archE1030ELNS1_3gpuE2ELNS1_3repE0EEENS1_30default_config_static_selectorELNS0_4arch9wavefront6targetE1EEEvS12_,"axG",@progbits,_ZN7rocprim17ROCPRIM_400000_NS6detail17trampoline_kernelINS0_13select_configILj256ELj13ELNS0_17block_load_methodE3ELS4_3ELS4_3ELNS0_20block_scan_algorithmE0ELj4294967295EEENS1_25partition_config_selectorILNS1_17partition_subalgoE4EjNS0_10empty_typeEbEEZZNS1_14partition_implILS8_4ELb0ES6_15HIP_vector_typeIjLj2EENS0_17counting_iteratorIjlEEPS9_SG_NS0_5tupleIJPjSI_NS0_16reverse_iteratorISI_EEEEENSH_IJSG_SG_SG_EEES9_SI_JZNS1_25segmented_radix_sort_implINS0_14default_configELb1EPKsPsPKlPlN2at6native12_GLOBAL__N_18offset_tEEE10hipError_tPvRmT1_PNSt15iterator_traitsIS12_E10value_typeET2_T3_PNS13_IS18_E10value_typeET4_jRbjT5_S1E_jjP12ihipStream_tbEUljE_ZNSN_ISO_Lb1ESQ_SR_ST_SU_SY_EESZ_S10_S11_S12_S16_S17_S18_S1B_S1C_jS1D_jS1E_S1E_jjS1G_bEUljE0_EEESZ_S10_S11_S18_S1C_S1E_T6_T7_T9_mT8_S1G_bDpT10_ENKUlT_T0_E_clISt17integral_constantIbLb0EES1U_EEDaS1P_S1Q_EUlS1P_E_NS1_11comp_targetILNS1_3genE8ELNS1_11target_archE1030ELNS1_3gpuE2ELNS1_3repE0EEENS1_30default_config_static_selectorELNS0_4arch9wavefront6targetE1EEEvS12_,comdat
	.globl	_ZN7rocprim17ROCPRIM_400000_NS6detail17trampoline_kernelINS0_13select_configILj256ELj13ELNS0_17block_load_methodE3ELS4_3ELS4_3ELNS0_20block_scan_algorithmE0ELj4294967295EEENS1_25partition_config_selectorILNS1_17partition_subalgoE4EjNS0_10empty_typeEbEEZZNS1_14partition_implILS8_4ELb0ES6_15HIP_vector_typeIjLj2EENS0_17counting_iteratorIjlEEPS9_SG_NS0_5tupleIJPjSI_NS0_16reverse_iteratorISI_EEEEENSH_IJSG_SG_SG_EEES9_SI_JZNS1_25segmented_radix_sort_implINS0_14default_configELb1EPKsPsPKlPlN2at6native12_GLOBAL__N_18offset_tEEE10hipError_tPvRmT1_PNSt15iterator_traitsIS12_E10value_typeET2_T3_PNS13_IS18_E10value_typeET4_jRbjT5_S1E_jjP12ihipStream_tbEUljE_ZNSN_ISO_Lb1ESQ_SR_ST_SU_SY_EESZ_S10_S11_S12_S16_S17_S18_S1B_S1C_jS1D_jS1E_S1E_jjS1G_bEUljE0_EEESZ_S10_S11_S18_S1C_S1E_T6_T7_T9_mT8_S1G_bDpT10_ENKUlT_T0_E_clISt17integral_constantIbLb0EES1U_EEDaS1P_S1Q_EUlS1P_E_NS1_11comp_targetILNS1_3genE8ELNS1_11target_archE1030ELNS1_3gpuE2ELNS1_3repE0EEENS1_30default_config_static_selectorELNS0_4arch9wavefront6targetE1EEEvS12_ ; -- Begin function _ZN7rocprim17ROCPRIM_400000_NS6detail17trampoline_kernelINS0_13select_configILj256ELj13ELNS0_17block_load_methodE3ELS4_3ELS4_3ELNS0_20block_scan_algorithmE0ELj4294967295EEENS1_25partition_config_selectorILNS1_17partition_subalgoE4EjNS0_10empty_typeEbEEZZNS1_14partition_implILS8_4ELb0ES6_15HIP_vector_typeIjLj2EENS0_17counting_iteratorIjlEEPS9_SG_NS0_5tupleIJPjSI_NS0_16reverse_iteratorISI_EEEEENSH_IJSG_SG_SG_EEES9_SI_JZNS1_25segmented_radix_sort_implINS0_14default_configELb1EPKsPsPKlPlN2at6native12_GLOBAL__N_18offset_tEEE10hipError_tPvRmT1_PNSt15iterator_traitsIS12_E10value_typeET2_T3_PNS13_IS18_E10value_typeET4_jRbjT5_S1E_jjP12ihipStream_tbEUljE_ZNSN_ISO_Lb1ESQ_SR_ST_SU_SY_EESZ_S10_S11_S12_S16_S17_S18_S1B_S1C_jS1D_jS1E_S1E_jjS1G_bEUljE0_EEESZ_S10_S11_S18_S1C_S1E_T6_T7_T9_mT8_S1G_bDpT10_ENKUlT_T0_E_clISt17integral_constantIbLb0EES1U_EEDaS1P_S1Q_EUlS1P_E_NS1_11comp_targetILNS1_3genE8ELNS1_11target_archE1030ELNS1_3gpuE2ELNS1_3repE0EEENS1_30default_config_static_selectorELNS0_4arch9wavefront6targetE1EEEvS12_
	.p2align	8
	.type	_ZN7rocprim17ROCPRIM_400000_NS6detail17trampoline_kernelINS0_13select_configILj256ELj13ELNS0_17block_load_methodE3ELS4_3ELS4_3ELNS0_20block_scan_algorithmE0ELj4294967295EEENS1_25partition_config_selectorILNS1_17partition_subalgoE4EjNS0_10empty_typeEbEEZZNS1_14partition_implILS8_4ELb0ES6_15HIP_vector_typeIjLj2EENS0_17counting_iteratorIjlEEPS9_SG_NS0_5tupleIJPjSI_NS0_16reverse_iteratorISI_EEEEENSH_IJSG_SG_SG_EEES9_SI_JZNS1_25segmented_radix_sort_implINS0_14default_configELb1EPKsPsPKlPlN2at6native12_GLOBAL__N_18offset_tEEE10hipError_tPvRmT1_PNSt15iterator_traitsIS12_E10value_typeET2_T3_PNS13_IS18_E10value_typeET4_jRbjT5_S1E_jjP12ihipStream_tbEUljE_ZNSN_ISO_Lb1ESQ_SR_ST_SU_SY_EESZ_S10_S11_S12_S16_S17_S18_S1B_S1C_jS1D_jS1E_S1E_jjS1G_bEUljE0_EEESZ_S10_S11_S18_S1C_S1E_T6_T7_T9_mT8_S1G_bDpT10_ENKUlT_T0_E_clISt17integral_constantIbLb0EES1U_EEDaS1P_S1Q_EUlS1P_E_NS1_11comp_targetILNS1_3genE8ELNS1_11target_archE1030ELNS1_3gpuE2ELNS1_3repE0EEENS1_30default_config_static_selectorELNS0_4arch9wavefront6targetE1EEEvS12_,@function
_ZN7rocprim17ROCPRIM_400000_NS6detail17trampoline_kernelINS0_13select_configILj256ELj13ELNS0_17block_load_methodE3ELS4_3ELS4_3ELNS0_20block_scan_algorithmE0ELj4294967295EEENS1_25partition_config_selectorILNS1_17partition_subalgoE4EjNS0_10empty_typeEbEEZZNS1_14partition_implILS8_4ELb0ES6_15HIP_vector_typeIjLj2EENS0_17counting_iteratorIjlEEPS9_SG_NS0_5tupleIJPjSI_NS0_16reverse_iteratorISI_EEEEENSH_IJSG_SG_SG_EEES9_SI_JZNS1_25segmented_radix_sort_implINS0_14default_configELb1EPKsPsPKlPlN2at6native12_GLOBAL__N_18offset_tEEE10hipError_tPvRmT1_PNSt15iterator_traitsIS12_E10value_typeET2_T3_PNS13_IS18_E10value_typeET4_jRbjT5_S1E_jjP12ihipStream_tbEUljE_ZNSN_ISO_Lb1ESQ_SR_ST_SU_SY_EESZ_S10_S11_S12_S16_S17_S18_S1B_S1C_jS1D_jS1E_S1E_jjS1G_bEUljE0_EEESZ_S10_S11_S18_S1C_S1E_T6_T7_T9_mT8_S1G_bDpT10_ENKUlT_T0_E_clISt17integral_constantIbLb0EES1U_EEDaS1P_S1Q_EUlS1P_E_NS1_11comp_targetILNS1_3genE8ELNS1_11target_archE1030ELNS1_3gpuE2ELNS1_3repE0EEENS1_30default_config_static_selectorELNS0_4arch9wavefront6targetE1EEEvS12_: ; @_ZN7rocprim17ROCPRIM_400000_NS6detail17trampoline_kernelINS0_13select_configILj256ELj13ELNS0_17block_load_methodE3ELS4_3ELS4_3ELNS0_20block_scan_algorithmE0ELj4294967295EEENS1_25partition_config_selectorILNS1_17partition_subalgoE4EjNS0_10empty_typeEbEEZZNS1_14partition_implILS8_4ELb0ES6_15HIP_vector_typeIjLj2EENS0_17counting_iteratorIjlEEPS9_SG_NS0_5tupleIJPjSI_NS0_16reverse_iteratorISI_EEEEENSH_IJSG_SG_SG_EEES9_SI_JZNS1_25segmented_radix_sort_implINS0_14default_configELb1EPKsPsPKlPlN2at6native12_GLOBAL__N_18offset_tEEE10hipError_tPvRmT1_PNSt15iterator_traitsIS12_E10value_typeET2_T3_PNS13_IS18_E10value_typeET4_jRbjT5_S1E_jjP12ihipStream_tbEUljE_ZNSN_ISO_Lb1ESQ_SR_ST_SU_SY_EESZ_S10_S11_S12_S16_S17_S18_S1B_S1C_jS1D_jS1E_S1E_jjS1G_bEUljE0_EEESZ_S10_S11_S18_S1C_S1E_T6_T7_T9_mT8_S1G_bDpT10_ENKUlT_T0_E_clISt17integral_constantIbLb0EES1U_EEDaS1P_S1Q_EUlS1P_E_NS1_11comp_targetILNS1_3genE8ELNS1_11target_archE1030ELNS1_3gpuE2ELNS1_3repE0EEENS1_30default_config_static_selectorELNS0_4arch9wavefront6targetE1EEEvS12_
; %bb.0:
	.section	.rodata,"a",@progbits
	.p2align	6, 0x0
	.amdhsa_kernel _ZN7rocprim17ROCPRIM_400000_NS6detail17trampoline_kernelINS0_13select_configILj256ELj13ELNS0_17block_load_methodE3ELS4_3ELS4_3ELNS0_20block_scan_algorithmE0ELj4294967295EEENS1_25partition_config_selectorILNS1_17partition_subalgoE4EjNS0_10empty_typeEbEEZZNS1_14partition_implILS8_4ELb0ES6_15HIP_vector_typeIjLj2EENS0_17counting_iteratorIjlEEPS9_SG_NS0_5tupleIJPjSI_NS0_16reverse_iteratorISI_EEEEENSH_IJSG_SG_SG_EEES9_SI_JZNS1_25segmented_radix_sort_implINS0_14default_configELb1EPKsPsPKlPlN2at6native12_GLOBAL__N_18offset_tEEE10hipError_tPvRmT1_PNSt15iterator_traitsIS12_E10value_typeET2_T3_PNS13_IS18_E10value_typeET4_jRbjT5_S1E_jjP12ihipStream_tbEUljE_ZNSN_ISO_Lb1ESQ_SR_ST_SU_SY_EESZ_S10_S11_S12_S16_S17_S18_S1B_S1C_jS1D_jS1E_S1E_jjS1G_bEUljE0_EEESZ_S10_S11_S18_S1C_S1E_T6_T7_T9_mT8_S1G_bDpT10_ENKUlT_T0_E_clISt17integral_constantIbLb0EES1U_EEDaS1P_S1Q_EUlS1P_E_NS1_11comp_targetILNS1_3genE8ELNS1_11target_archE1030ELNS1_3gpuE2ELNS1_3repE0EEENS1_30default_config_static_selectorELNS0_4arch9wavefront6targetE1EEEvS12_
		.amdhsa_group_segment_fixed_size 0
		.amdhsa_private_segment_fixed_size 0
		.amdhsa_kernarg_size 176
		.amdhsa_user_sgpr_count 6
		.amdhsa_user_sgpr_private_segment_buffer 1
		.amdhsa_user_sgpr_dispatch_ptr 0
		.amdhsa_user_sgpr_queue_ptr 0
		.amdhsa_user_sgpr_kernarg_segment_ptr 1
		.amdhsa_user_sgpr_dispatch_id 0
		.amdhsa_user_sgpr_flat_scratch_init 0
		.amdhsa_user_sgpr_private_segment_size 0
		.amdhsa_uses_dynamic_stack 0
		.amdhsa_system_sgpr_private_segment_wavefront_offset 0
		.amdhsa_system_sgpr_workgroup_id_x 1
		.amdhsa_system_sgpr_workgroup_id_y 0
		.amdhsa_system_sgpr_workgroup_id_z 0
		.amdhsa_system_sgpr_workgroup_info 0
		.amdhsa_system_vgpr_workitem_id 0
		.amdhsa_next_free_vgpr 1
		.amdhsa_next_free_sgpr 0
		.amdhsa_reserve_vcc 0
		.amdhsa_reserve_flat_scratch 0
		.amdhsa_float_round_mode_32 0
		.amdhsa_float_round_mode_16_64 0
		.amdhsa_float_denorm_mode_32 3
		.amdhsa_float_denorm_mode_16_64 3
		.amdhsa_dx10_clamp 1
		.amdhsa_ieee_mode 1
		.amdhsa_fp16_overflow 0
		.amdhsa_exception_fp_ieee_invalid_op 0
		.amdhsa_exception_fp_denorm_src 0
		.amdhsa_exception_fp_ieee_div_zero 0
		.amdhsa_exception_fp_ieee_overflow 0
		.amdhsa_exception_fp_ieee_underflow 0
		.amdhsa_exception_fp_ieee_inexact 0
		.amdhsa_exception_int_div_zero 0
	.end_amdhsa_kernel
	.section	.text._ZN7rocprim17ROCPRIM_400000_NS6detail17trampoline_kernelINS0_13select_configILj256ELj13ELNS0_17block_load_methodE3ELS4_3ELS4_3ELNS0_20block_scan_algorithmE0ELj4294967295EEENS1_25partition_config_selectorILNS1_17partition_subalgoE4EjNS0_10empty_typeEbEEZZNS1_14partition_implILS8_4ELb0ES6_15HIP_vector_typeIjLj2EENS0_17counting_iteratorIjlEEPS9_SG_NS0_5tupleIJPjSI_NS0_16reverse_iteratorISI_EEEEENSH_IJSG_SG_SG_EEES9_SI_JZNS1_25segmented_radix_sort_implINS0_14default_configELb1EPKsPsPKlPlN2at6native12_GLOBAL__N_18offset_tEEE10hipError_tPvRmT1_PNSt15iterator_traitsIS12_E10value_typeET2_T3_PNS13_IS18_E10value_typeET4_jRbjT5_S1E_jjP12ihipStream_tbEUljE_ZNSN_ISO_Lb1ESQ_SR_ST_SU_SY_EESZ_S10_S11_S12_S16_S17_S18_S1B_S1C_jS1D_jS1E_S1E_jjS1G_bEUljE0_EEESZ_S10_S11_S18_S1C_S1E_T6_T7_T9_mT8_S1G_bDpT10_ENKUlT_T0_E_clISt17integral_constantIbLb0EES1U_EEDaS1P_S1Q_EUlS1P_E_NS1_11comp_targetILNS1_3genE8ELNS1_11target_archE1030ELNS1_3gpuE2ELNS1_3repE0EEENS1_30default_config_static_selectorELNS0_4arch9wavefront6targetE1EEEvS12_,"axG",@progbits,_ZN7rocprim17ROCPRIM_400000_NS6detail17trampoline_kernelINS0_13select_configILj256ELj13ELNS0_17block_load_methodE3ELS4_3ELS4_3ELNS0_20block_scan_algorithmE0ELj4294967295EEENS1_25partition_config_selectorILNS1_17partition_subalgoE4EjNS0_10empty_typeEbEEZZNS1_14partition_implILS8_4ELb0ES6_15HIP_vector_typeIjLj2EENS0_17counting_iteratorIjlEEPS9_SG_NS0_5tupleIJPjSI_NS0_16reverse_iteratorISI_EEEEENSH_IJSG_SG_SG_EEES9_SI_JZNS1_25segmented_radix_sort_implINS0_14default_configELb1EPKsPsPKlPlN2at6native12_GLOBAL__N_18offset_tEEE10hipError_tPvRmT1_PNSt15iterator_traitsIS12_E10value_typeET2_T3_PNS13_IS18_E10value_typeET4_jRbjT5_S1E_jjP12ihipStream_tbEUljE_ZNSN_ISO_Lb1ESQ_SR_ST_SU_SY_EESZ_S10_S11_S12_S16_S17_S18_S1B_S1C_jS1D_jS1E_S1E_jjS1G_bEUljE0_EEESZ_S10_S11_S18_S1C_S1E_T6_T7_T9_mT8_S1G_bDpT10_ENKUlT_T0_E_clISt17integral_constantIbLb0EES1U_EEDaS1P_S1Q_EUlS1P_E_NS1_11comp_targetILNS1_3genE8ELNS1_11target_archE1030ELNS1_3gpuE2ELNS1_3repE0EEENS1_30default_config_static_selectorELNS0_4arch9wavefront6targetE1EEEvS12_,comdat
.Lfunc_end854:
	.size	_ZN7rocprim17ROCPRIM_400000_NS6detail17trampoline_kernelINS0_13select_configILj256ELj13ELNS0_17block_load_methodE3ELS4_3ELS4_3ELNS0_20block_scan_algorithmE0ELj4294967295EEENS1_25partition_config_selectorILNS1_17partition_subalgoE4EjNS0_10empty_typeEbEEZZNS1_14partition_implILS8_4ELb0ES6_15HIP_vector_typeIjLj2EENS0_17counting_iteratorIjlEEPS9_SG_NS0_5tupleIJPjSI_NS0_16reverse_iteratorISI_EEEEENSH_IJSG_SG_SG_EEES9_SI_JZNS1_25segmented_radix_sort_implINS0_14default_configELb1EPKsPsPKlPlN2at6native12_GLOBAL__N_18offset_tEEE10hipError_tPvRmT1_PNSt15iterator_traitsIS12_E10value_typeET2_T3_PNS13_IS18_E10value_typeET4_jRbjT5_S1E_jjP12ihipStream_tbEUljE_ZNSN_ISO_Lb1ESQ_SR_ST_SU_SY_EESZ_S10_S11_S12_S16_S17_S18_S1B_S1C_jS1D_jS1E_S1E_jjS1G_bEUljE0_EEESZ_S10_S11_S18_S1C_S1E_T6_T7_T9_mT8_S1G_bDpT10_ENKUlT_T0_E_clISt17integral_constantIbLb0EES1U_EEDaS1P_S1Q_EUlS1P_E_NS1_11comp_targetILNS1_3genE8ELNS1_11target_archE1030ELNS1_3gpuE2ELNS1_3repE0EEENS1_30default_config_static_selectorELNS0_4arch9wavefront6targetE1EEEvS12_, .Lfunc_end854-_ZN7rocprim17ROCPRIM_400000_NS6detail17trampoline_kernelINS0_13select_configILj256ELj13ELNS0_17block_load_methodE3ELS4_3ELS4_3ELNS0_20block_scan_algorithmE0ELj4294967295EEENS1_25partition_config_selectorILNS1_17partition_subalgoE4EjNS0_10empty_typeEbEEZZNS1_14partition_implILS8_4ELb0ES6_15HIP_vector_typeIjLj2EENS0_17counting_iteratorIjlEEPS9_SG_NS0_5tupleIJPjSI_NS0_16reverse_iteratorISI_EEEEENSH_IJSG_SG_SG_EEES9_SI_JZNS1_25segmented_radix_sort_implINS0_14default_configELb1EPKsPsPKlPlN2at6native12_GLOBAL__N_18offset_tEEE10hipError_tPvRmT1_PNSt15iterator_traitsIS12_E10value_typeET2_T3_PNS13_IS18_E10value_typeET4_jRbjT5_S1E_jjP12ihipStream_tbEUljE_ZNSN_ISO_Lb1ESQ_SR_ST_SU_SY_EESZ_S10_S11_S12_S16_S17_S18_S1B_S1C_jS1D_jS1E_S1E_jjS1G_bEUljE0_EEESZ_S10_S11_S18_S1C_S1E_T6_T7_T9_mT8_S1G_bDpT10_ENKUlT_T0_E_clISt17integral_constantIbLb0EES1U_EEDaS1P_S1Q_EUlS1P_E_NS1_11comp_targetILNS1_3genE8ELNS1_11target_archE1030ELNS1_3gpuE2ELNS1_3repE0EEENS1_30default_config_static_selectorELNS0_4arch9wavefront6targetE1EEEvS12_
                                        ; -- End function
	.set _ZN7rocprim17ROCPRIM_400000_NS6detail17trampoline_kernelINS0_13select_configILj256ELj13ELNS0_17block_load_methodE3ELS4_3ELS4_3ELNS0_20block_scan_algorithmE0ELj4294967295EEENS1_25partition_config_selectorILNS1_17partition_subalgoE4EjNS0_10empty_typeEbEEZZNS1_14partition_implILS8_4ELb0ES6_15HIP_vector_typeIjLj2EENS0_17counting_iteratorIjlEEPS9_SG_NS0_5tupleIJPjSI_NS0_16reverse_iteratorISI_EEEEENSH_IJSG_SG_SG_EEES9_SI_JZNS1_25segmented_radix_sort_implINS0_14default_configELb1EPKsPsPKlPlN2at6native12_GLOBAL__N_18offset_tEEE10hipError_tPvRmT1_PNSt15iterator_traitsIS12_E10value_typeET2_T3_PNS13_IS18_E10value_typeET4_jRbjT5_S1E_jjP12ihipStream_tbEUljE_ZNSN_ISO_Lb1ESQ_SR_ST_SU_SY_EESZ_S10_S11_S12_S16_S17_S18_S1B_S1C_jS1D_jS1E_S1E_jjS1G_bEUljE0_EEESZ_S10_S11_S18_S1C_S1E_T6_T7_T9_mT8_S1G_bDpT10_ENKUlT_T0_E_clISt17integral_constantIbLb0EES1U_EEDaS1P_S1Q_EUlS1P_E_NS1_11comp_targetILNS1_3genE8ELNS1_11target_archE1030ELNS1_3gpuE2ELNS1_3repE0EEENS1_30default_config_static_selectorELNS0_4arch9wavefront6targetE1EEEvS12_.num_vgpr, 0
	.set _ZN7rocprim17ROCPRIM_400000_NS6detail17trampoline_kernelINS0_13select_configILj256ELj13ELNS0_17block_load_methodE3ELS4_3ELS4_3ELNS0_20block_scan_algorithmE0ELj4294967295EEENS1_25partition_config_selectorILNS1_17partition_subalgoE4EjNS0_10empty_typeEbEEZZNS1_14partition_implILS8_4ELb0ES6_15HIP_vector_typeIjLj2EENS0_17counting_iteratorIjlEEPS9_SG_NS0_5tupleIJPjSI_NS0_16reverse_iteratorISI_EEEEENSH_IJSG_SG_SG_EEES9_SI_JZNS1_25segmented_radix_sort_implINS0_14default_configELb1EPKsPsPKlPlN2at6native12_GLOBAL__N_18offset_tEEE10hipError_tPvRmT1_PNSt15iterator_traitsIS12_E10value_typeET2_T3_PNS13_IS18_E10value_typeET4_jRbjT5_S1E_jjP12ihipStream_tbEUljE_ZNSN_ISO_Lb1ESQ_SR_ST_SU_SY_EESZ_S10_S11_S12_S16_S17_S18_S1B_S1C_jS1D_jS1E_S1E_jjS1G_bEUljE0_EEESZ_S10_S11_S18_S1C_S1E_T6_T7_T9_mT8_S1G_bDpT10_ENKUlT_T0_E_clISt17integral_constantIbLb0EES1U_EEDaS1P_S1Q_EUlS1P_E_NS1_11comp_targetILNS1_3genE8ELNS1_11target_archE1030ELNS1_3gpuE2ELNS1_3repE0EEENS1_30default_config_static_selectorELNS0_4arch9wavefront6targetE1EEEvS12_.num_agpr, 0
	.set _ZN7rocprim17ROCPRIM_400000_NS6detail17trampoline_kernelINS0_13select_configILj256ELj13ELNS0_17block_load_methodE3ELS4_3ELS4_3ELNS0_20block_scan_algorithmE0ELj4294967295EEENS1_25partition_config_selectorILNS1_17partition_subalgoE4EjNS0_10empty_typeEbEEZZNS1_14partition_implILS8_4ELb0ES6_15HIP_vector_typeIjLj2EENS0_17counting_iteratorIjlEEPS9_SG_NS0_5tupleIJPjSI_NS0_16reverse_iteratorISI_EEEEENSH_IJSG_SG_SG_EEES9_SI_JZNS1_25segmented_radix_sort_implINS0_14default_configELb1EPKsPsPKlPlN2at6native12_GLOBAL__N_18offset_tEEE10hipError_tPvRmT1_PNSt15iterator_traitsIS12_E10value_typeET2_T3_PNS13_IS18_E10value_typeET4_jRbjT5_S1E_jjP12ihipStream_tbEUljE_ZNSN_ISO_Lb1ESQ_SR_ST_SU_SY_EESZ_S10_S11_S12_S16_S17_S18_S1B_S1C_jS1D_jS1E_S1E_jjS1G_bEUljE0_EEESZ_S10_S11_S18_S1C_S1E_T6_T7_T9_mT8_S1G_bDpT10_ENKUlT_T0_E_clISt17integral_constantIbLb0EES1U_EEDaS1P_S1Q_EUlS1P_E_NS1_11comp_targetILNS1_3genE8ELNS1_11target_archE1030ELNS1_3gpuE2ELNS1_3repE0EEENS1_30default_config_static_selectorELNS0_4arch9wavefront6targetE1EEEvS12_.numbered_sgpr, 0
	.set _ZN7rocprim17ROCPRIM_400000_NS6detail17trampoline_kernelINS0_13select_configILj256ELj13ELNS0_17block_load_methodE3ELS4_3ELS4_3ELNS0_20block_scan_algorithmE0ELj4294967295EEENS1_25partition_config_selectorILNS1_17partition_subalgoE4EjNS0_10empty_typeEbEEZZNS1_14partition_implILS8_4ELb0ES6_15HIP_vector_typeIjLj2EENS0_17counting_iteratorIjlEEPS9_SG_NS0_5tupleIJPjSI_NS0_16reverse_iteratorISI_EEEEENSH_IJSG_SG_SG_EEES9_SI_JZNS1_25segmented_radix_sort_implINS0_14default_configELb1EPKsPsPKlPlN2at6native12_GLOBAL__N_18offset_tEEE10hipError_tPvRmT1_PNSt15iterator_traitsIS12_E10value_typeET2_T3_PNS13_IS18_E10value_typeET4_jRbjT5_S1E_jjP12ihipStream_tbEUljE_ZNSN_ISO_Lb1ESQ_SR_ST_SU_SY_EESZ_S10_S11_S12_S16_S17_S18_S1B_S1C_jS1D_jS1E_S1E_jjS1G_bEUljE0_EEESZ_S10_S11_S18_S1C_S1E_T6_T7_T9_mT8_S1G_bDpT10_ENKUlT_T0_E_clISt17integral_constantIbLb0EES1U_EEDaS1P_S1Q_EUlS1P_E_NS1_11comp_targetILNS1_3genE8ELNS1_11target_archE1030ELNS1_3gpuE2ELNS1_3repE0EEENS1_30default_config_static_selectorELNS0_4arch9wavefront6targetE1EEEvS12_.num_named_barrier, 0
	.set _ZN7rocprim17ROCPRIM_400000_NS6detail17trampoline_kernelINS0_13select_configILj256ELj13ELNS0_17block_load_methodE3ELS4_3ELS4_3ELNS0_20block_scan_algorithmE0ELj4294967295EEENS1_25partition_config_selectorILNS1_17partition_subalgoE4EjNS0_10empty_typeEbEEZZNS1_14partition_implILS8_4ELb0ES6_15HIP_vector_typeIjLj2EENS0_17counting_iteratorIjlEEPS9_SG_NS0_5tupleIJPjSI_NS0_16reverse_iteratorISI_EEEEENSH_IJSG_SG_SG_EEES9_SI_JZNS1_25segmented_radix_sort_implINS0_14default_configELb1EPKsPsPKlPlN2at6native12_GLOBAL__N_18offset_tEEE10hipError_tPvRmT1_PNSt15iterator_traitsIS12_E10value_typeET2_T3_PNS13_IS18_E10value_typeET4_jRbjT5_S1E_jjP12ihipStream_tbEUljE_ZNSN_ISO_Lb1ESQ_SR_ST_SU_SY_EESZ_S10_S11_S12_S16_S17_S18_S1B_S1C_jS1D_jS1E_S1E_jjS1G_bEUljE0_EEESZ_S10_S11_S18_S1C_S1E_T6_T7_T9_mT8_S1G_bDpT10_ENKUlT_T0_E_clISt17integral_constantIbLb0EES1U_EEDaS1P_S1Q_EUlS1P_E_NS1_11comp_targetILNS1_3genE8ELNS1_11target_archE1030ELNS1_3gpuE2ELNS1_3repE0EEENS1_30default_config_static_selectorELNS0_4arch9wavefront6targetE1EEEvS12_.private_seg_size, 0
	.set _ZN7rocprim17ROCPRIM_400000_NS6detail17trampoline_kernelINS0_13select_configILj256ELj13ELNS0_17block_load_methodE3ELS4_3ELS4_3ELNS0_20block_scan_algorithmE0ELj4294967295EEENS1_25partition_config_selectorILNS1_17partition_subalgoE4EjNS0_10empty_typeEbEEZZNS1_14partition_implILS8_4ELb0ES6_15HIP_vector_typeIjLj2EENS0_17counting_iteratorIjlEEPS9_SG_NS0_5tupleIJPjSI_NS0_16reverse_iteratorISI_EEEEENSH_IJSG_SG_SG_EEES9_SI_JZNS1_25segmented_radix_sort_implINS0_14default_configELb1EPKsPsPKlPlN2at6native12_GLOBAL__N_18offset_tEEE10hipError_tPvRmT1_PNSt15iterator_traitsIS12_E10value_typeET2_T3_PNS13_IS18_E10value_typeET4_jRbjT5_S1E_jjP12ihipStream_tbEUljE_ZNSN_ISO_Lb1ESQ_SR_ST_SU_SY_EESZ_S10_S11_S12_S16_S17_S18_S1B_S1C_jS1D_jS1E_S1E_jjS1G_bEUljE0_EEESZ_S10_S11_S18_S1C_S1E_T6_T7_T9_mT8_S1G_bDpT10_ENKUlT_T0_E_clISt17integral_constantIbLb0EES1U_EEDaS1P_S1Q_EUlS1P_E_NS1_11comp_targetILNS1_3genE8ELNS1_11target_archE1030ELNS1_3gpuE2ELNS1_3repE0EEENS1_30default_config_static_selectorELNS0_4arch9wavefront6targetE1EEEvS12_.uses_vcc, 0
	.set _ZN7rocprim17ROCPRIM_400000_NS6detail17trampoline_kernelINS0_13select_configILj256ELj13ELNS0_17block_load_methodE3ELS4_3ELS4_3ELNS0_20block_scan_algorithmE0ELj4294967295EEENS1_25partition_config_selectorILNS1_17partition_subalgoE4EjNS0_10empty_typeEbEEZZNS1_14partition_implILS8_4ELb0ES6_15HIP_vector_typeIjLj2EENS0_17counting_iteratorIjlEEPS9_SG_NS0_5tupleIJPjSI_NS0_16reverse_iteratorISI_EEEEENSH_IJSG_SG_SG_EEES9_SI_JZNS1_25segmented_radix_sort_implINS0_14default_configELb1EPKsPsPKlPlN2at6native12_GLOBAL__N_18offset_tEEE10hipError_tPvRmT1_PNSt15iterator_traitsIS12_E10value_typeET2_T3_PNS13_IS18_E10value_typeET4_jRbjT5_S1E_jjP12ihipStream_tbEUljE_ZNSN_ISO_Lb1ESQ_SR_ST_SU_SY_EESZ_S10_S11_S12_S16_S17_S18_S1B_S1C_jS1D_jS1E_S1E_jjS1G_bEUljE0_EEESZ_S10_S11_S18_S1C_S1E_T6_T7_T9_mT8_S1G_bDpT10_ENKUlT_T0_E_clISt17integral_constantIbLb0EES1U_EEDaS1P_S1Q_EUlS1P_E_NS1_11comp_targetILNS1_3genE8ELNS1_11target_archE1030ELNS1_3gpuE2ELNS1_3repE0EEENS1_30default_config_static_selectorELNS0_4arch9wavefront6targetE1EEEvS12_.uses_flat_scratch, 0
	.set _ZN7rocprim17ROCPRIM_400000_NS6detail17trampoline_kernelINS0_13select_configILj256ELj13ELNS0_17block_load_methodE3ELS4_3ELS4_3ELNS0_20block_scan_algorithmE0ELj4294967295EEENS1_25partition_config_selectorILNS1_17partition_subalgoE4EjNS0_10empty_typeEbEEZZNS1_14partition_implILS8_4ELb0ES6_15HIP_vector_typeIjLj2EENS0_17counting_iteratorIjlEEPS9_SG_NS0_5tupleIJPjSI_NS0_16reverse_iteratorISI_EEEEENSH_IJSG_SG_SG_EEES9_SI_JZNS1_25segmented_radix_sort_implINS0_14default_configELb1EPKsPsPKlPlN2at6native12_GLOBAL__N_18offset_tEEE10hipError_tPvRmT1_PNSt15iterator_traitsIS12_E10value_typeET2_T3_PNS13_IS18_E10value_typeET4_jRbjT5_S1E_jjP12ihipStream_tbEUljE_ZNSN_ISO_Lb1ESQ_SR_ST_SU_SY_EESZ_S10_S11_S12_S16_S17_S18_S1B_S1C_jS1D_jS1E_S1E_jjS1G_bEUljE0_EEESZ_S10_S11_S18_S1C_S1E_T6_T7_T9_mT8_S1G_bDpT10_ENKUlT_T0_E_clISt17integral_constantIbLb0EES1U_EEDaS1P_S1Q_EUlS1P_E_NS1_11comp_targetILNS1_3genE8ELNS1_11target_archE1030ELNS1_3gpuE2ELNS1_3repE0EEENS1_30default_config_static_selectorELNS0_4arch9wavefront6targetE1EEEvS12_.has_dyn_sized_stack, 0
	.set _ZN7rocprim17ROCPRIM_400000_NS6detail17trampoline_kernelINS0_13select_configILj256ELj13ELNS0_17block_load_methodE3ELS4_3ELS4_3ELNS0_20block_scan_algorithmE0ELj4294967295EEENS1_25partition_config_selectorILNS1_17partition_subalgoE4EjNS0_10empty_typeEbEEZZNS1_14partition_implILS8_4ELb0ES6_15HIP_vector_typeIjLj2EENS0_17counting_iteratorIjlEEPS9_SG_NS0_5tupleIJPjSI_NS0_16reverse_iteratorISI_EEEEENSH_IJSG_SG_SG_EEES9_SI_JZNS1_25segmented_radix_sort_implINS0_14default_configELb1EPKsPsPKlPlN2at6native12_GLOBAL__N_18offset_tEEE10hipError_tPvRmT1_PNSt15iterator_traitsIS12_E10value_typeET2_T3_PNS13_IS18_E10value_typeET4_jRbjT5_S1E_jjP12ihipStream_tbEUljE_ZNSN_ISO_Lb1ESQ_SR_ST_SU_SY_EESZ_S10_S11_S12_S16_S17_S18_S1B_S1C_jS1D_jS1E_S1E_jjS1G_bEUljE0_EEESZ_S10_S11_S18_S1C_S1E_T6_T7_T9_mT8_S1G_bDpT10_ENKUlT_T0_E_clISt17integral_constantIbLb0EES1U_EEDaS1P_S1Q_EUlS1P_E_NS1_11comp_targetILNS1_3genE8ELNS1_11target_archE1030ELNS1_3gpuE2ELNS1_3repE0EEENS1_30default_config_static_selectorELNS0_4arch9wavefront6targetE1EEEvS12_.has_recursion, 0
	.set _ZN7rocprim17ROCPRIM_400000_NS6detail17trampoline_kernelINS0_13select_configILj256ELj13ELNS0_17block_load_methodE3ELS4_3ELS4_3ELNS0_20block_scan_algorithmE0ELj4294967295EEENS1_25partition_config_selectorILNS1_17partition_subalgoE4EjNS0_10empty_typeEbEEZZNS1_14partition_implILS8_4ELb0ES6_15HIP_vector_typeIjLj2EENS0_17counting_iteratorIjlEEPS9_SG_NS0_5tupleIJPjSI_NS0_16reverse_iteratorISI_EEEEENSH_IJSG_SG_SG_EEES9_SI_JZNS1_25segmented_radix_sort_implINS0_14default_configELb1EPKsPsPKlPlN2at6native12_GLOBAL__N_18offset_tEEE10hipError_tPvRmT1_PNSt15iterator_traitsIS12_E10value_typeET2_T3_PNS13_IS18_E10value_typeET4_jRbjT5_S1E_jjP12ihipStream_tbEUljE_ZNSN_ISO_Lb1ESQ_SR_ST_SU_SY_EESZ_S10_S11_S12_S16_S17_S18_S1B_S1C_jS1D_jS1E_S1E_jjS1G_bEUljE0_EEESZ_S10_S11_S18_S1C_S1E_T6_T7_T9_mT8_S1G_bDpT10_ENKUlT_T0_E_clISt17integral_constantIbLb0EES1U_EEDaS1P_S1Q_EUlS1P_E_NS1_11comp_targetILNS1_3genE8ELNS1_11target_archE1030ELNS1_3gpuE2ELNS1_3repE0EEENS1_30default_config_static_selectorELNS0_4arch9wavefront6targetE1EEEvS12_.has_indirect_call, 0
	.section	.AMDGPU.csdata,"",@progbits
; Kernel info:
; codeLenInByte = 0
; TotalNumSgprs: 4
; NumVgprs: 0
; ScratchSize: 0
; MemoryBound: 0
; FloatMode: 240
; IeeeMode: 1
; LDSByteSize: 0 bytes/workgroup (compile time only)
; SGPRBlocks: 0
; VGPRBlocks: 0
; NumSGPRsForWavesPerEU: 4
; NumVGPRsForWavesPerEU: 1
; Occupancy: 10
; WaveLimiterHint : 0
; COMPUTE_PGM_RSRC2:SCRATCH_EN: 0
; COMPUTE_PGM_RSRC2:USER_SGPR: 6
; COMPUTE_PGM_RSRC2:TRAP_HANDLER: 0
; COMPUTE_PGM_RSRC2:TGID_X_EN: 1
; COMPUTE_PGM_RSRC2:TGID_Y_EN: 0
; COMPUTE_PGM_RSRC2:TGID_Z_EN: 0
; COMPUTE_PGM_RSRC2:TIDIG_COMP_CNT: 0
	.section	.text._ZN7rocprim17ROCPRIM_400000_NS6detail17trampoline_kernelINS0_13select_configILj256ELj13ELNS0_17block_load_methodE3ELS4_3ELS4_3ELNS0_20block_scan_algorithmE0ELj4294967295EEENS1_25partition_config_selectorILNS1_17partition_subalgoE4EjNS0_10empty_typeEbEEZZNS1_14partition_implILS8_4ELb0ES6_15HIP_vector_typeIjLj2EENS0_17counting_iteratorIjlEEPS9_SG_NS0_5tupleIJPjSI_NS0_16reverse_iteratorISI_EEEEENSH_IJSG_SG_SG_EEES9_SI_JZNS1_25segmented_radix_sort_implINS0_14default_configELb1EPKsPsPKlPlN2at6native12_GLOBAL__N_18offset_tEEE10hipError_tPvRmT1_PNSt15iterator_traitsIS12_E10value_typeET2_T3_PNS13_IS18_E10value_typeET4_jRbjT5_S1E_jjP12ihipStream_tbEUljE_ZNSN_ISO_Lb1ESQ_SR_ST_SU_SY_EESZ_S10_S11_S12_S16_S17_S18_S1B_S1C_jS1D_jS1E_S1E_jjS1G_bEUljE0_EEESZ_S10_S11_S18_S1C_S1E_T6_T7_T9_mT8_S1G_bDpT10_ENKUlT_T0_E_clISt17integral_constantIbLb1EES1U_EEDaS1P_S1Q_EUlS1P_E_NS1_11comp_targetILNS1_3genE0ELNS1_11target_archE4294967295ELNS1_3gpuE0ELNS1_3repE0EEENS1_30default_config_static_selectorELNS0_4arch9wavefront6targetE1EEEvS12_,"axG",@progbits,_ZN7rocprim17ROCPRIM_400000_NS6detail17trampoline_kernelINS0_13select_configILj256ELj13ELNS0_17block_load_methodE3ELS4_3ELS4_3ELNS0_20block_scan_algorithmE0ELj4294967295EEENS1_25partition_config_selectorILNS1_17partition_subalgoE4EjNS0_10empty_typeEbEEZZNS1_14partition_implILS8_4ELb0ES6_15HIP_vector_typeIjLj2EENS0_17counting_iteratorIjlEEPS9_SG_NS0_5tupleIJPjSI_NS0_16reverse_iteratorISI_EEEEENSH_IJSG_SG_SG_EEES9_SI_JZNS1_25segmented_radix_sort_implINS0_14default_configELb1EPKsPsPKlPlN2at6native12_GLOBAL__N_18offset_tEEE10hipError_tPvRmT1_PNSt15iterator_traitsIS12_E10value_typeET2_T3_PNS13_IS18_E10value_typeET4_jRbjT5_S1E_jjP12ihipStream_tbEUljE_ZNSN_ISO_Lb1ESQ_SR_ST_SU_SY_EESZ_S10_S11_S12_S16_S17_S18_S1B_S1C_jS1D_jS1E_S1E_jjS1G_bEUljE0_EEESZ_S10_S11_S18_S1C_S1E_T6_T7_T9_mT8_S1G_bDpT10_ENKUlT_T0_E_clISt17integral_constantIbLb1EES1U_EEDaS1P_S1Q_EUlS1P_E_NS1_11comp_targetILNS1_3genE0ELNS1_11target_archE4294967295ELNS1_3gpuE0ELNS1_3repE0EEENS1_30default_config_static_selectorELNS0_4arch9wavefront6targetE1EEEvS12_,comdat
	.globl	_ZN7rocprim17ROCPRIM_400000_NS6detail17trampoline_kernelINS0_13select_configILj256ELj13ELNS0_17block_load_methodE3ELS4_3ELS4_3ELNS0_20block_scan_algorithmE0ELj4294967295EEENS1_25partition_config_selectorILNS1_17partition_subalgoE4EjNS0_10empty_typeEbEEZZNS1_14partition_implILS8_4ELb0ES6_15HIP_vector_typeIjLj2EENS0_17counting_iteratorIjlEEPS9_SG_NS0_5tupleIJPjSI_NS0_16reverse_iteratorISI_EEEEENSH_IJSG_SG_SG_EEES9_SI_JZNS1_25segmented_radix_sort_implINS0_14default_configELb1EPKsPsPKlPlN2at6native12_GLOBAL__N_18offset_tEEE10hipError_tPvRmT1_PNSt15iterator_traitsIS12_E10value_typeET2_T3_PNS13_IS18_E10value_typeET4_jRbjT5_S1E_jjP12ihipStream_tbEUljE_ZNSN_ISO_Lb1ESQ_SR_ST_SU_SY_EESZ_S10_S11_S12_S16_S17_S18_S1B_S1C_jS1D_jS1E_S1E_jjS1G_bEUljE0_EEESZ_S10_S11_S18_S1C_S1E_T6_T7_T9_mT8_S1G_bDpT10_ENKUlT_T0_E_clISt17integral_constantIbLb1EES1U_EEDaS1P_S1Q_EUlS1P_E_NS1_11comp_targetILNS1_3genE0ELNS1_11target_archE4294967295ELNS1_3gpuE0ELNS1_3repE0EEENS1_30default_config_static_selectorELNS0_4arch9wavefront6targetE1EEEvS12_ ; -- Begin function _ZN7rocprim17ROCPRIM_400000_NS6detail17trampoline_kernelINS0_13select_configILj256ELj13ELNS0_17block_load_methodE3ELS4_3ELS4_3ELNS0_20block_scan_algorithmE0ELj4294967295EEENS1_25partition_config_selectorILNS1_17partition_subalgoE4EjNS0_10empty_typeEbEEZZNS1_14partition_implILS8_4ELb0ES6_15HIP_vector_typeIjLj2EENS0_17counting_iteratorIjlEEPS9_SG_NS0_5tupleIJPjSI_NS0_16reverse_iteratorISI_EEEEENSH_IJSG_SG_SG_EEES9_SI_JZNS1_25segmented_radix_sort_implINS0_14default_configELb1EPKsPsPKlPlN2at6native12_GLOBAL__N_18offset_tEEE10hipError_tPvRmT1_PNSt15iterator_traitsIS12_E10value_typeET2_T3_PNS13_IS18_E10value_typeET4_jRbjT5_S1E_jjP12ihipStream_tbEUljE_ZNSN_ISO_Lb1ESQ_SR_ST_SU_SY_EESZ_S10_S11_S12_S16_S17_S18_S1B_S1C_jS1D_jS1E_S1E_jjS1G_bEUljE0_EEESZ_S10_S11_S18_S1C_S1E_T6_T7_T9_mT8_S1G_bDpT10_ENKUlT_T0_E_clISt17integral_constantIbLb1EES1U_EEDaS1P_S1Q_EUlS1P_E_NS1_11comp_targetILNS1_3genE0ELNS1_11target_archE4294967295ELNS1_3gpuE0ELNS1_3repE0EEENS1_30default_config_static_selectorELNS0_4arch9wavefront6targetE1EEEvS12_
	.p2align	8
	.type	_ZN7rocprim17ROCPRIM_400000_NS6detail17trampoline_kernelINS0_13select_configILj256ELj13ELNS0_17block_load_methodE3ELS4_3ELS4_3ELNS0_20block_scan_algorithmE0ELj4294967295EEENS1_25partition_config_selectorILNS1_17partition_subalgoE4EjNS0_10empty_typeEbEEZZNS1_14partition_implILS8_4ELb0ES6_15HIP_vector_typeIjLj2EENS0_17counting_iteratorIjlEEPS9_SG_NS0_5tupleIJPjSI_NS0_16reverse_iteratorISI_EEEEENSH_IJSG_SG_SG_EEES9_SI_JZNS1_25segmented_radix_sort_implINS0_14default_configELb1EPKsPsPKlPlN2at6native12_GLOBAL__N_18offset_tEEE10hipError_tPvRmT1_PNSt15iterator_traitsIS12_E10value_typeET2_T3_PNS13_IS18_E10value_typeET4_jRbjT5_S1E_jjP12ihipStream_tbEUljE_ZNSN_ISO_Lb1ESQ_SR_ST_SU_SY_EESZ_S10_S11_S12_S16_S17_S18_S1B_S1C_jS1D_jS1E_S1E_jjS1G_bEUljE0_EEESZ_S10_S11_S18_S1C_S1E_T6_T7_T9_mT8_S1G_bDpT10_ENKUlT_T0_E_clISt17integral_constantIbLb1EES1U_EEDaS1P_S1Q_EUlS1P_E_NS1_11comp_targetILNS1_3genE0ELNS1_11target_archE4294967295ELNS1_3gpuE0ELNS1_3repE0EEENS1_30default_config_static_selectorELNS0_4arch9wavefront6targetE1EEEvS12_,@function
_ZN7rocprim17ROCPRIM_400000_NS6detail17trampoline_kernelINS0_13select_configILj256ELj13ELNS0_17block_load_methodE3ELS4_3ELS4_3ELNS0_20block_scan_algorithmE0ELj4294967295EEENS1_25partition_config_selectorILNS1_17partition_subalgoE4EjNS0_10empty_typeEbEEZZNS1_14partition_implILS8_4ELb0ES6_15HIP_vector_typeIjLj2EENS0_17counting_iteratorIjlEEPS9_SG_NS0_5tupleIJPjSI_NS0_16reverse_iteratorISI_EEEEENSH_IJSG_SG_SG_EEES9_SI_JZNS1_25segmented_radix_sort_implINS0_14default_configELb1EPKsPsPKlPlN2at6native12_GLOBAL__N_18offset_tEEE10hipError_tPvRmT1_PNSt15iterator_traitsIS12_E10value_typeET2_T3_PNS13_IS18_E10value_typeET4_jRbjT5_S1E_jjP12ihipStream_tbEUljE_ZNSN_ISO_Lb1ESQ_SR_ST_SU_SY_EESZ_S10_S11_S12_S16_S17_S18_S1B_S1C_jS1D_jS1E_S1E_jjS1G_bEUljE0_EEESZ_S10_S11_S18_S1C_S1E_T6_T7_T9_mT8_S1G_bDpT10_ENKUlT_T0_E_clISt17integral_constantIbLb1EES1U_EEDaS1P_S1Q_EUlS1P_E_NS1_11comp_targetILNS1_3genE0ELNS1_11target_archE4294967295ELNS1_3gpuE0ELNS1_3repE0EEENS1_30default_config_static_selectorELNS0_4arch9wavefront6targetE1EEEvS12_: ; @_ZN7rocprim17ROCPRIM_400000_NS6detail17trampoline_kernelINS0_13select_configILj256ELj13ELNS0_17block_load_methodE3ELS4_3ELS4_3ELNS0_20block_scan_algorithmE0ELj4294967295EEENS1_25partition_config_selectorILNS1_17partition_subalgoE4EjNS0_10empty_typeEbEEZZNS1_14partition_implILS8_4ELb0ES6_15HIP_vector_typeIjLj2EENS0_17counting_iteratorIjlEEPS9_SG_NS0_5tupleIJPjSI_NS0_16reverse_iteratorISI_EEEEENSH_IJSG_SG_SG_EEES9_SI_JZNS1_25segmented_radix_sort_implINS0_14default_configELb1EPKsPsPKlPlN2at6native12_GLOBAL__N_18offset_tEEE10hipError_tPvRmT1_PNSt15iterator_traitsIS12_E10value_typeET2_T3_PNS13_IS18_E10value_typeET4_jRbjT5_S1E_jjP12ihipStream_tbEUljE_ZNSN_ISO_Lb1ESQ_SR_ST_SU_SY_EESZ_S10_S11_S12_S16_S17_S18_S1B_S1C_jS1D_jS1E_S1E_jjS1G_bEUljE0_EEESZ_S10_S11_S18_S1C_S1E_T6_T7_T9_mT8_S1G_bDpT10_ENKUlT_T0_E_clISt17integral_constantIbLb1EES1U_EEDaS1P_S1Q_EUlS1P_E_NS1_11comp_targetILNS1_3genE0ELNS1_11target_archE4294967295ELNS1_3gpuE0ELNS1_3repE0EEENS1_30default_config_static_selectorELNS0_4arch9wavefront6targetE1EEEvS12_
; %bb.0:
	.section	.rodata,"a",@progbits
	.p2align	6, 0x0
	.amdhsa_kernel _ZN7rocprim17ROCPRIM_400000_NS6detail17trampoline_kernelINS0_13select_configILj256ELj13ELNS0_17block_load_methodE3ELS4_3ELS4_3ELNS0_20block_scan_algorithmE0ELj4294967295EEENS1_25partition_config_selectorILNS1_17partition_subalgoE4EjNS0_10empty_typeEbEEZZNS1_14partition_implILS8_4ELb0ES6_15HIP_vector_typeIjLj2EENS0_17counting_iteratorIjlEEPS9_SG_NS0_5tupleIJPjSI_NS0_16reverse_iteratorISI_EEEEENSH_IJSG_SG_SG_EEES9_SI_JZNS1_25segmented_radix_sort_implINS0_14default_configELb1EPKsPsPKlPlN2at6native12_GLOBAL__N_18offset_tEEE10hipError_tPvRmT1_PNSt15iterator_traitsIS12_E10value_typeET2_T3_PNS13_IS18_E10value_typeET4_jRbjT5_S1E_jjP12ihipStream_tbEUljE_ZNSN_ISO_Lb1ESQ_SR_ST_SU_SY_EESZ_S10_S11_S12_S16_S17_S18_S1B_S1C_jS1D_jS1E_S1E_jjS1G_bEUljE0_EEESZ_S10_S11_S18_S1C_S1E_T6_T7_T9_mT8_S1G_bDpT10_ENKUlT_T0_E_clISt17integral_constantIbLb1EES1U_EEDaS1P_S1Q_EUlS1P_E_NS1_11comp_targetILNS1_3genE0ELNS1_11target_archE4294967295ELNS1_3gpuE0ELNS1_3repE0EEENS1_30default_config_static_selectorELNS0_4arch9wavefront6targetE1EEEvS12_
		.amdhsa_group_segment_fixed_size 0
		.amdhsa_private_segment_fixed_size 0
		.amdhsa_kernarg_size 184
		.amdhsa_user_sgpr_count 6
		.amdhsa_user_sgpr_private_segment_buffer 1
		.amdhsa_user_sgpr_dispatch_ptr 0
		.amdhsa_user_sgpr_queue_ptr 0
		.amdhsa_user_sgpr_kernarg_segment_ptr 1
		.amdhsa_user_sgpr_dispatch_id 0
		.amdhsa_user_sgpr_flat_scratch_init 0
		.amdhsa_user_sgpr_private_segment_size 0
		.amdhsa_uses_dynamic_stack 0
		.amdhsa_system_sgpr_private_segment_wavefront_offset 0
		.amdhsa_system_sgpr_workgroup_id_x 1
		.amdhsa_system_sgpr_workgroup_id_y 0
		.amdhsa_system_sgpr_workgroup_id_z 0
		.amdhsa_system_sgpr_workgroup_info 0
		.amdhsa_system_vgpr_workitem_id 0
		.amdhsa_next_free_vgpr 1
		.amdhsa_next_free_sgpr 0
		.amdhsa_reserve_vcc 0
		.amdhsa_reserve_flat_scratch 0
		.amdhsa_float_round_mode_32 0
		.amdhsa_float_round_mode_16_64 0
		.amdhsa_float_denorm_mode_32 3
		.amdhsa_float_denorm_mode_16_64 3
		.amdhsa_dx10_clamp 1
		.amdhsa_ieee_mode 1
		.amdhsa_fp16_overflow 0
		.amdhsa_exception_fp_ieee_invalid_op 0
		.amdhsa_exception_fp_denorm_src 0
		.amdhsa_exception_fp_ieee_div_zero 0
		.amdhsa_exception_fp_ieee_overflow 0
		.amdhsa_exception_fp_ieee_underflow 0
		.amdhsa_exception_fp_ieee_inexact 0
		.amdhsa_exception_int_div_zero 0
	.end_amdhsa_kernel
	.section	.text._ZN7rocprim17ROCPRIM_400000_NS6detail17trampoline_kernelINS0_13select_configILj256ELj13ELNS0_17block_load_methodE3ELS4_3ELS4_3ELNS0_20block_scan_algorithmE0ELj4294967295EEENS1_25partition_config_selectorILNS1_17partition_subalgoE4EjNS0_10empty_typeEbEEZZNS1_14partition_implILS8_4ELb0ES6_15HIP_vector_typeIjLj2EENS0_17counting_iteratorIjlEEPS9_SG_NS0_5tupleIJPjSI_NS0_16reverse_iteratorISI_EEEEENSH_IJSG_SG_SG_EEES9_SI_JZNS1_25segmented_radix_sort_implINS0_14default_configELb1EPKsPsPKlPlN2at6native12_GLOBAL__N_18offset_tEEE10hipError_tPvRmT1_PNSt15iterator_traitsIS12_E10value_typeET2_T3_PNS13_IS18_E10value_typeET4_jRbjT5_S1E_jjP12ihipStream_tbEUljE_ZNSN_ISO_Lb1ESQ_SR_ST_SU_SY_EESZ_S10_S11_S12_S16_S17_S18_S1B_S1C_jS1D_jS1E_S1E_jjS1G_bEUljE0_EEESZ_S10_S11_S18_S1C_S1E_T6_T7_T9_mT8_S1G_bDpT10_ENKUlT_T0_E_clISt17integral_constantIbLb1EES1U_EEDaS1P_S1Q_EUlS1P_E_NS1_11comp_targetILNS1_3genE0ELNS1_11target_archE4294967295ELNS1_3gpuE0ELNS1_3repE0EEENS1_30default_config_static_selectorELNS0_4arch9wavefront6targetE1EEEvS12_,"axG",@progbits,_ZN7rocprim17ROCPRIM_400000_NS6detail17trampoline_kernelINS0_13select_configILj256ELj13ELNS0_17block_load_methodE3ELS4_3ELS4_3ELNS0_20block_scan_algorithmE0ELj4294967295EEENS1_25partition_config_selectorILNS1_17partition_subalgoE4EjNS0_10empty_typeEbEEZZNS1_14partition_implILS8_4ELb0ES6_15HIP_vector_typeIjLj2EENS0_17counting_iteratorIjlEEPS9_SG_NS0_5tupleIJPjSI_NS0_16reverse_iteratorISI_EEEEENSH_IJSG_SG_SG_EEES9_SI_JZNS1_25segmented_radix_sort_implINS0_14default_configELb1EPKsPsPKlPlN2at6native12_GLOBAL__N_18offset_tEEE10hipError_tPvRmT1_PNSt15iterator_traitsIS12_E10value_typeET2_T3_PNS13_IS18_E10value_typeET4_jRbjT5_S1E_jjP12ihipStream_tbEUljE_ZNSN_ISO_Lb1ESQ_SR_ST_SU_SY_EESZ_S10_S11_S12_S16_S17_S18_S1B_S1C_jS1D_jS1E_S1E_jjS1G_bEUljE0_EEESZ_S10_S11_S18_S1C_S1E_T6_T7_T9_mT8_S1G_bDpT10_ENKUlT_T0_E_clISt17integral_constantIbLb1EES1U_EEDaS1P_S1Q_EUlS1P_E_NS1_11comp_targetILNS1_3genE0ELNS1_11target_archE4294967295ELNS1_3gpuE0ELNS1_3repE0EEENS1_30default_config_static_selectorELNS0_4arch9wavefront6targetE1EEEvS12_,comdat
.Lfunc_end855:
	.size	_ZN7rocprim17ROCPRIM_400000_NS6detail17trampoline_kernelINS0_13select_configILj256ELj13ELNS0_17block_load_methodE3ELS4_3ELS4_3ELNS0_20block_scan_algorithmE0ELj4294967295EEENS1_25partition_config_selectorILNS1_17partition_subalgoE4EjNS0_10empty_typeEbEEZZNS1_14partition_implILS8_4ELb0ES6_15HIP_vector_typeIjLj2EENS0_17counting_iteratorIjlEEPS9_SG_NS0_5tupleIJPjSI_NS0_16reverse_iteratorISI_EEEEENSH_IJSG_SG_SG_EEES9_SI_JZNS1_25segmented_radix_sort_implINS0_14default_configELb1EPKsPsPKlPlN2at6native12_GLOBAL__N_18offset_tEEE10hipError_tPvRmT1_PNSt15iterator_traitsIS12_E10value_typeET2_T3_PNS13_IS18_E10value_typeET4_jRbjT5_S1E_jjP12ihipStream_tbEUljE_ZNSN_ISO_Lb1ESQ_SR_ST_SU_SY_EESZ_S10_S11_S12_S16_S17_S18_S1B_S1C_jS1D_jS1E_S1E_jjS1G_bEUljE0_EEESZ_S10_S11_S18_S1C_S1E_T6_T7_T9_mT8_S1G_bDpT10_ENKUlT_T0_E_clISt17integral_constantIbLb1EES1U_EEDaS1P_S1Q_EUlS1P_E_NS1_11comp_targetILNS1_3genE0ELNS1_11target_archE4294967295ELNS1_3gpuE0ELNS1_3repE0EEENS1_30default_config_static_selectorELNS0_4arch9wavefront6targetE1EEEvS12_, .Lfunc_end855-_ZN7rocprim17ROCPRIM_400000_NS6detail17trampoline_kernelINS0_13select_configILj256ELj13ELNS0_17block_load_methodE3ELS4_3ELS4_3ELNS0_20block_scan_algorithmE0ELj4294967295EEENS1_25partition_config_selectorILNS1_17partition_subalgoE4EjNS0_10empty_typeEbEEZZNS1_14partition_implILS8_4ELb0ES6_15HIP_vector_typeIjLj2EENS0_17counting_iteratorIjlEEPS9_SG_NS0_5tupleIJPjSI_NS0_16reverse_iteratorISI_EEEEENSH_IJSG_SG_SG_EEES9_SI_JZNS1_25segmented_radix_sort_implINS0_14default_configELb1EPKsPsPKlPlN2at6native12_GLOBAL__N_18offset_tEEE10hipError_tPvRmT1_PNSt15iterator_traitsIS12_E10value_typeET2_T3_PNS13_IS18_E10value_typeET4_jRbjT5_S1E_jjP12ihipStream_tbEUljE_ZNSN_ISO_Lb1ESQ_SR_ST_SU_SY_EESZ_S10_S11_S12_S16_S17_S18_S1B_S1C_jS1D_jS1E_S1E_jjS1G_bEUljE0_EEESZ_S10_S11_S18_S1C_S1E_T6_T7_T9_mT8_S1G_bDpT10_ENKUlT_T0_E_clISt17integral_constantIbLb1EES1U_EEDaS1P_S1Q_EUlS1P_E_NS1_11comp_targetILNS1_3genE0ELNS1_11target_archE4294967295ELNS1_3gpuE0ELNS1_3repE0EEENS1_30default_config_static_selectorELNS0_4arch9wavefront6targetE1EEEvS12_
                                        ; -- End function
	.set _ZN7rocprim17ROCPRIM_400000_NS6detail17trampoline_kernelINS0_13select_configILj256ELj13ELNS0_17block_load_methodE3ELS4_3ELS4_3ELNS0_20block_scan_algorithmE0ELj4294967295EEENS1_25partition_config_selectorILNS1_17partition_subalgoE4EjNS0_10empty_typeEbEEZZNS1_14partition_implILS8_4ELb0ES6_15HIP_vector_typeIjLj2EENS0_17counting_iteratorIjlEEPS9_SG_NS0_5tupleIJPjSI_NS0_16reverse_iteratorISI_EEEEENSH_IJSG_SG_SG_EEES9_SI_JZNS1_25segmented_radix_sort_implINS0_14default_configELb1EPKsPsPKlPlN2at6native12_GLOBAL__N_18offset_tEEE10hipError_tPvRmT1_PNSt15iterator_traitsIS12_E10value_typeET2_T3_PNS13_IS18_E10value_typeET4_jRbjT5_S1E_jjP12ihipStream_tbEUljE_ZNSN_ISO_Lb1ESQ_SR_ST_SU_SY_EESZ_S10_S11_S12_S16_S17_S18_S1B_S1C_jS1D_jS1E_S1E_jjS1G_bEUljE0_EEESZ_S10_S11_S18_S1C_S1E_T6_T7_T9_mT8_S1G_bDpT10_ENKUlT_T0_E_clISt17integral_constantIbLb1EES1U_EEDaS1P_S1Q_EUlS1P_E_NS1_11comp_targetILNS1_3genE0ELNS1_11target_archE4294967295ELNS1_3gpuE0ELNS1_3repE0EEENS1_30default_config_static_selectorELNS0_4arch9wavefront6targetE1EEEvS12_.num_vgpr, 0
	.set _ZN7rocprim17ROCPRIM_400000_NS6detail17trampoline_kernelINS0_13select_configILj256ELj13ELNS0_17block_load_methodE3ELS4_3ELS4_3ELNS0_20block_scan_algorithmE0ELj4294967295EEENS1_25partition_config_selectorILNS1_17partition_subalgoE4EjNS0_10empty_typeEbEEZZNS1_14partition_implILS8_4ELb0ES6_15HIP_vector_typeIjLj2EENS0_17counting_iteratorIjlEEPS9_SG_NS0_5tupleIJPjSI_NS0_16reverse_iteratorISI_EEEEENSH_IJSG_SG_SG_EEES9_SI_JZNS1_25segmented_radix_sort_implINS0_14default_configELb1EPKsPsPKlPlN2at6native12_GLOBAL__N_18offset_tEEE10hipError_tPvRmT1_PNSt15iterator_traitsIS12_E10value_typeET2_T3_PNS13_IS18_E10value_typeET4_jRbjT5_S1E_jjP12ihipStream_tbEUljE_ZNSN_ISO_Lb1ESQ_SR_ST_SU_SY_EESZ_S10_S11_S12_S16_S17_S18_S1B_S1C_jS1D_jS1E_S1E_jjS1G_bEUljE0_EEESZ_S10_S11_S18_S1C_S1E_T6_T7_T9_mT8_S1G_bDpT10_ENKUlT_T0_E_clISt17integral_constantIbLb1EES1U_EEDaS1P_S1Q_EUlS1P_E_NS1_11comp_targetILNS1_3genE0ELNS1_11target_archE4294967295ELNS1_3gpuE0ELNS1_3repE0EEENS1_30default_config_static_selectorELNS0_4arch9wavefront6targetE1EEEvS12_.num_agpr, 0
	.set _ZN7rocprim17ROCPRIM_400000_NS6detail17trampoline_kernelINS0_13select_configILj256ELj13ELNS0_17block_load_methodE3ELS4_3ELS4_3ELNS0_20block_scan_algorithmE0ELj4294967295EEENS1_25partition_config_selectorILNS1_17partition_subalgoE4EjNS0_10empty_typeEbEEZZNS1_14partition_implILS8_4ELb0ES6_15HIP_vector_typeIjLj2EENS0_17counting_iteratorIjlEEPS9_SG_NS0_5tupleIJPjSI_NS0_16reverse_iteratorISI_EEEEENSH_IJSG_SG_SG_EEES9_SI_JZNS1_25segmented_radix_sort_implINS0_14default_configELb1EPKsPsPKlPlN2at6native12_GLOBAL__N_18offset_tEEE10hipError_tPvRmT1_PNSt15iterator_traitsIS12_E10value_typeET2_T3_PNS13_IS18_E10value_typeET4_jRbjT5_S1E_jjP12ihipStream_tbEUljE_ZNSN_ISO_Lb1ESQ_SR_ST_SU_SY_EESZ_S10_S11_S12_S16_S17_S18_S1B_S1C_jS1D_jS1E_S1E_jjS1G_bEUljE0_EEESZ_S10_S11_S18_S1C_S1E_T6_T7_T9_mT8_S1G_bDpT10_ENKUlT_T0_E_clISt17integral_constantIbLb1EES1U_EEDaS1P_S1Q_EUlS1P_E_NS1_11comp_targetILNS1_3genE0ELNS1_11target_archE4294967295ELNS1_3gpuE0ELNS1_3repE0EEENS1_30default_config_static_selectorELNS0_4arch9wavefront6targetE1EEEvS12_.numbered_sgpr, 0
	.set _ZN7rocprim17ROCPRIM_400000_NS6detail17trampoline_kernelINS0_13select_configILj256ELj13ELNS0_17block_load_methodE3ELS4_3ELS4_3ELNS0_20block_scan_algorithmE0ELj4294967295EEENS1_25partition_config_selectorILNS1_17partition_subalgoE4EjNS0_10empty_typeEbEEZZNS1_14partition_implILS8_4ELb0ES6_15HIP_vector_typeIjLj2EENS0_17counting_iteratorIjlEEPS9_SG_NS0_5tupleIJPjSI_NS0_16reverse_iteratorISI_EEEEENSH_IJSG_SG_SG_EEES9_SI_JZNS1_25segmented_radix_sort_implINS0_14default_configELb1EPKsPsPKlPlN2at6native12_GLOBAL__N_18offset_tEEE10hipError_tPvRmT1_PNSt15iterator_traitsIS12_E10value_typeET2_T3_PNS13_IS18_E10value_typeET4_jRbjT5_S1E_jjP12ihipStream_tbEUljE_ZNSN_ISO_Lb1ESQ_SR_ST_SU_SY_EESZ_S10_S11_S12_S16_S17_S18_S1B_S1C_jS1D_jS1E_S1E_jjS1G_bEUljE0_EEESZ_S10_S11_S18_S1C_S1E_T6_T7_T9_mT8_S1G_bDpT10_ENKUlT_T0_E_clISt17integral_constantIbLb1EES1U_EEDaS1P_S1Q_EUlS1P_E_NS1_11comp_targetILNS1_3genE0ELNS1_11target_archE4294967295ELNS1_3gpuE0ELNS1_3repE0EEENS1_30default_config_static_selectorELNS0_4arch9wavefront6targetE1EEEvS12_.num_named_barrier, 0
	.set _ZN7rocprim17ROCPRIM_400000_NS6detail17trampoline_kernelINS0_13select_configILj256ELj13ELNS0_17block_load_methodE3ELS4_3ELS4_3ELNS0_20block_scan_algorithmE0ELj4294967295EEENS1_25partition_config_selectorILNS1_17partition_subalgoE4EjNS0_10empty_typeEbEEZZNS1_14partition_implILS8_4ELb0ES6_15HIP_vector_typeIjLj2EENS0_17counting_iteratorIjlEEPS9_SG_NS0_5tupleIJPjSI_NS0_16reverse_iteratorISI_EEEEENSH_IJSG_SG_SG_EEES9_SI_JZNS1_25segmented_radix_sort_implINS0_14default_configELb1EPKsPsPKlPlN2at6native12_GLOBAL__N_18offset_tEEE10hipError_tPvRmT1_PNSt15iterator_traitsIS12_E10value_typeET2_T3_PNS13_IS18_E10value_typeET4_jRbjT5_S1E_jjP12ihipStream_tbEUljE_ZNSN_ISO_Lb1ESQ_SR_ST_SU_SY_EESZ_S10_S11_S12_S16_S17_S18_S1B_S1C_jS1D_jS1E_S1E_jjS1G_bEUljE0_EEESZ_S10_S11_S18_S1C_S1E_T6_T7_T9_mT8_S1G_bDpT10_ENKUlT_T0_E_clISt17integral_constantIbLb1EES1U_EEDaS1P_S1Q_EUlS1P_E_NS1_11comp_targetILNS1_3genE0ELNS1_11target_archE4294967295ELNS1_3gpuE0ELNS1_3repE0EEENS1_30default_config_static_selectorELNS0_4arch9wavefront6targetE1EEEvS12_.private_seg_size, 0
	.set _ZN7rocprim17ROCPRIM_400000_NS6detail17trampoline_kernelINS0_13select_configILj256ELj13ELNS0_17block_load_methodE3ELS4_3ELS4_3ELNS0_20block_scan_algorithmE0ELj4294967295EEENS1_25partition_config_selectorILNS1_17partition_subalgoE4EjNS0_10empty_typeEbEEZZNS1_14partition_implILS8_4ELb0ES6_15HIP_vector_typeIjLj2EENS0_17counting_iteratorIjlEEPS9_SG_NS0_5tupleIJPjSI_NS0_16reverse_iteratorISI_EEEEENSH_IJSG_SG_SG_EEES9_SI_JZNS1_25segmented_radix_sort_implINS0_14default_configELb1EPKsPsPKlPlN2at6native12_GLOBAL__N_18offset_tEEE10hipError_tPvRmT1_PNSt15iterator_traitsIS12_E10value_typeET2_T3_PNS13_IS18_E10value_typeET4_jRbjT5_S1E_jjP12ihipStream_tbEUljE_ZNSN_ISO_Lb1ESQ_SR_ST_SU_SY_EESZ_S10_S11_S12_S16_S17_S18_S1B_S1C_jS1D_jS1E_S1E_jjS1G_bEUljE0_EEESZ_S10_S11_S18_S1C_S1E_T6_T7_T9_mT8_S1G_bDpT10_ENKUlT_T0_E_clISt17integral_constantIbLb1EES1U_EEDaS1P_S1Q_EUlS1P_E_NS1_11comp_targetILNS1_3genE0ELNS1_11target_archE4294967295ELNS1_3gpuE0ELNS1_3repE0EEENS1_30default_config_static_selectorELNS0_4arch9wavefront6targetE1EEEvS12_.uses_vcc, 0
	.set _ZN7rocprim17ROCPRIM_400000_NS6detail17trampoline_kernelINS0_13select_configILj256ELj13ELNS0_17block_load_methodE3ELS4_3ELS4_3ELNS0_20block_scan_algorithmE0ELj4294967295EEENS1_25partition_config_selectorILNS1_17partition_subalgoE4EjNS0_10empty_typeEbEEZZNS1_14partition_implILS8_4ELb0ES6_15HIP_vector_typeIjLj2EENS0_17counting_iteratorIjlEEPS9_SG_NS0_5tupleIJPjSI_NS0_16reverse_iteratorISI_EEEEENSH_IJSG_SG_SG_EEES9_SI_JZNS1_25segmented_radix_sort_implINS0_14default_configELb1EPKsPsPKlPlN2at6native12_GLOBAL__N_18offset_tEEE10hipError_tPvRmT1_PNSt15iterator_traitsIS12_E10value_typeET2_T3_PNS13_IS18_E10value_typeET4_jRbjT5_S1E_jjP12ihipStream_tbEUljE_ZNSN_ISO_Lb1ESQ_SR_ST_SU_SY_EESZ_S10_S11_S12_S16_S17_S18_S1B_S1C_jS1D_jS1E_S1E_jjS1G_bEUljE0_EEESZ_S10_S11_S18_S1C_S1E_T6_T7_T9_mT8_S1G_bDpT10_ENKUlT_T0_E_clISt17integral_constantIbLb1EES1U_EEDaS1P_S1Q_EUlS1P_E_NS1_11comp_targetILNS1_3genE0ELNS1_11target_archE4294967295ELNS1_3gpuE0ELNS1_3repE0EEENS1_30default_config_static_selectorELNS0_4arch9wavefront6targetE1EEEvS12_.uses_flat_scratch, 0
	.set _ZN7rocprim17ROCPRIM_400000_NS6detail17trampoline_kernelINS0_13select_configILj256ELj13ELNS0_17block_load_methodE3ELS4_3ELS4_3ELNS0_20block_scan_algorithmE0ELj4294967295EEENS1_25partition_config_selectorILNS1_17partition_subalgoE4EjNS0_10empty_typeEbEEZZNS1_14partition_implILS8_4ELb0ES6_15HIP_vector_typeIjLj2EENS0_17counting_iteratorIjlEEPS9_SG_NS0_5tupleIJPjSI_NS0_16reverse_iteratorISI_EEEEENSH_IJSG_SG_SG_EEES9_SI_JZNS1_25segmented_radix_sort_implINS0_14default_configELb1EPKsPsPKlPlN2at6native12_GLOBAL__N_18offset_tEEE10hipError_tPvRmT1_PNSt15iterator_traitsIS12_E10value_typeET2_T3_PNS13_IS18_E10value_typeET4_jRbjT5_S1E_jjP12ihipStream_tbEUljE_ZNSN_ISO_Lb1ESQ_SR_ST_SU_SY_EESZ_S10_S11_S12_S16_S17_S18_S1B_S1C_jS1D_jS1E_S1E_jjS1G_bEUljE0_EEESZ_S10_S11_S18_S1C_S1E_T6_T7_T9_mT8_S1G_bDpT10_ENKUlT_T0_E_clISt17integral_constantIbLb1EES1U_EEDaS1P_S1Q_EUlS1P_E_NS1_11comp_targetILNS1_3genE0ELNS1_11target_archE4294967295ELNS1_3gpuE0ELNS1_3repE0EEENS1_30default_config_static_selectorELNS0_4arch9wavefront6targetE1EEEvS12_.has_dyn_sized_stack, 0
	.set _ZN7rocprim17ROCPRIM_400000_NS6detail17trampoline_kernelINS0_13select_configILj256ELj13ELNS0_17block_load_methodE3ELS4_3ELS4_3ELNS0_20block_scan_algorithmE0ELj4294967295EEENS1_25partition_config_selectorILNS1_17partition_subalgoE4EjNS0_10empty_typeEbEEZZNS1_14partition_implILS8_4ELb0ES6_15HIP_vector_typeIjLj2EENS0_17counting_iteratorIjlEEPS9_SG_NS0_5tupleIJPjSI_NS0_16reverse_iteratorISI_EEEEENSH_IJSG_SG_SG_EEES9_SI_JZNS1_25segmented_radix_sort_implINS0_14default_configELb1EPKsPsPKlPlN2at6native12_GLOBAL__N_18offset_tEEE10hipError_tPvRmT1_PNSt15iterator_traitsIS12_E10value_typeET2_T3_PNS13_IS18_E10value_typeET4_jRbjT5_S1E_jjP12ihipStream_tbEUljE_ZNSN_ISO_Lb1ESQ_SR_ST_SU_SY_EESZ_S10_S11_S12_S16_S17_S18_S1B_S1C_jS1D_jS1E_S1E_jjS1G_bEUljE0_EEESZ_S10_S11_S18_S1C_S1E_T6_T7_T9_mT8_S1G_bDpT10_ENKUlT_T0_E_clISt17integral_constantIbLb1EES1U_EEDaS1P_S1Q_EUlS1P_E_NS1_11comp_targetILNS1_3genE0ELNS1_11target_archE4294967295ELNS1_3gpuE0ELNS1_3repE0EEENS1_30default_config_static_selectorELNS0_4arch9wavefront6targetE1EEEvS12_.has_recursion, 0
	.set _ZN7rocprim17ROCPRIM_400000_NS6detail17trampoline_kernelINS0_13select_configILj256ELj13ELNS0_17block_load_methodE3ELS4_3ELS4_3ELNS0_20block_scan_algorithmE0ELj4294967295EEENS1_25partition_config_selectorILNS1_17partition_subalgoE4EjNS0_10empty_typeEbEEZZNS1_14partition_implILS8_4ELb0ES6_15HIP_vector_typeIjLj2EENS0_17counting_iteratorIjlEEPS9_SG_NS0_5tupleIJPjSI_NS0_16reverse_iteratorISI_EEEEENSH_IJSG_SG_SG_EEES9_SI_JZNS1_25segmented_radix_sort_implINS0_14default_configELb1EPKsPsPKlPlN2at6native12_GLOBAL__N_18offset_tEEE10hipError_tPvRmT1_PNSt15iterator_traitsIS12_E10value_typeET2_T3_PNS13_IS18_E10value_typeET4_jRbjT5_S1E_jjP12ihipStream_tbEUljE_ZNSN_ISO_Lb1ESQ_SR_ST_SU_SY_EESZ_S10_S11_S12_S16_S17_S18_S1B_S1C_jS1D_jS1E_S1E_jjS1G_bEUljE0_EEESZ_S10_S11_S18_S1C_S1E_T6_T7_T9_mT8_S1G_bDpT10_ENKUlT_T0_E_clISt17integral_constantIbLb1EES1U_EEDaS1P_S1Q_EUlS1P_E_NS1_11comp_targetILNS1_3genE0ELNS1_11target_archE4294967295ELNS1_3gpuE0ELNS1_3repE0EEENS1_30default_config_static_selectorELNS0_4arch9wavefront6targetE1EEEvS12_.has_indirect_call, 0
	.section	.AMDGPU.csdata,"",@progbits
; Kernel info:
; codeLenInByte = 0
; TotalNumSgprs: 4
; NumVgprs: 0
; ScratchSize: 0
; MemoryBound: 0
; FloatMode: 240
; IeeeMode: 1
; LDSByteSize: 0 bytes/workgroup (compile time only)
; SGPRBlocks: 0
; VGPRBlocks: 0
; NumSGPRsForWavesPerEU: 4
; NumVGPRsForWavesPerEU: 1
; Occupancy: 10
; WaveLimiterHint : 0
; COMPUTE_PGM_RSRC2:SCRATCH_EN: 0
; COMPUTE_PGM_RSRC2:USER_SGPR: 6
; COMPUTE_PGM_RSRC2:TRAP_HANDLER: 0
; COMPUTE_PGM_RSRC2:TGID_X_EN: 1
; COMPUTE_PGM_RSRC2:TGID_Y_EN: 0
; COMPUTE_PGM_RSRC2:TGID_Z_EN: 0
; COMPUTE_PGM_RSRC2:TIDIG_COMP_CNT: 0
	.section	.text._ZN7rocprim17ROCPRIM_400000_NS6detail17trampoline_kernelINS0_13select_configILj256ELj13ELNS0_17block_load_methodE3ELS4_3ELS4_3ELNS0_20block_scan_algorithmE0ELj4294967295EEENS1_25partition_config_selectorILNS1_17partition_subalgoE4EjNS0_10empty_typeEbEEZZNS1_14partition_implILS8_4ELb0ES6_15HIP_vector_typeIjLj2EENS0_17counting_iteratorIjlEEPS9_SG_NS0_5tupleIJPjSI_NS0_16reverse_iteratorISI_EEEEENSH_IJSG_SG_SG_EEES9_SI_JZNS1_25segmented_radix_sort_implINS0_14default_configELb1EPKsPsPKlPlN2at6native12_GLOBAL__N_18offset_tEEE10hipError_tPvRmT1_PNSt15iterator_traitsIS12_E10value_typeET2_T3_PNS13_IS18_E10value_typeET4_jRbjT5_S1E_jjP12ihipStream_tbEUljE_ZNSN_ISO_Lb1ESQ_SR_ST_SU_SY_EESZ_S10_S11_S12_S16_S17_S18_S1B_S1C_jS1D_jS1E_S1E_jjS1G_bEUljE0_EEESZ_S10_S11_S18_S1C_S1E_T6_T7_T9_mT8_S1G_bDpT10_ENKUlT_T0_E_clISt17integral_constantIbLb1EES1U_EEDaS1P_S1Q_EUlS1P_E_NS1_11comp_targetILNS1_3genE5ELNS1_11target_archE942ELNS1_3gpuE9ELNS1_3repE0EEENS1_30default_config_static_selectorELNS0_4arch9wavefront6targetE1EEEvS12_,"axG",@progbits,_ZN7rocprim17ROCPRIM_400000_NS6detail17trampoline_kernelINS0_13select_configILj256ELj13ELNS0_17block_load_methodE3ELS4_3ELS4_3ELNS0_20block_scan_algorithmE0ELj4294967295EEENS1_25partition_config_selectorILNS1_17partition_subalgoE4EjNS0_10empty_typeEbEEZZNS1_14partition_implILS8_4ELb0ES6_15HIP_vector_typeIjLj2EENS0_17counting_iteratorIjlEEPS9_SG_NS0_5tupleIJPjSI_NS0_16reverse_iteratorISI_EEEEENSH_IJSG_SG_SG_EEES9_SI_JZNS1_25segmented_radix_sort_implINS0_14default_configELb1EPKsPsPKlPlN2at6native12_GLOBAL__N_18offset_tEEE10hipError_tPvRmT1_PNSt15iterator_traitsIS12_E10value_typeET2_T3_PNS13_IS18_E10value_typeET4_jRbjT5_S1E_jjP12ihipStream_tbEUljE_ZNSN_ISO_Lb1ESQ_SR_ST_SU_SY_EESZ_S10_S11_S12_S16_S17_S18_S1B_S1C_jS1D_jS1E_S1E_jjS1G_bEUljE0_EEESZ_S10_S11_S18_S1C_S1E_T6_T7_T9_mT8_S1G_bDpT10_ENKUlT_T0_E_clISt17integral_constantIbLb1EES1U_EEDaS1P_S1Q_EUlS1P_E_NS1_11comp_targetILNS1_3genE5ELNS1_11target_archE942ELNS1_3gpuE9ELNS1_3repE0EEENS1_30default_config_static_selectorELNS0_4arch9wavefront6targetE1EEEvS12_,comdat
	.globl	_ZN7rocprim17ROCPRIM_400000_NS6detail17trampoline_kernelINS0_13select_configILj256ELj13ELNS0_17block_load_methodE3ELS4_3ELS4_3ELNS0_20block_scan_algorithmE0ELj4294967295EEENS1_25partition_config_selectorILNS1_17partition_subalgoE4EjNS0_10empty_typeEbEEZZNS1_14partition_implILS8_4ELb0ES6_15HIP_vector_typeIjLj2EENS0_17counting_iteratorIjlEEPS9_SG_NS0_5tupleIJPjSI_NS0_16reverse_iteratorISI_EEEEENSH_IJSG_SG_SG_EEES9_SI_JZNS1_25segmented_radix_sort_implINS0_14default_configELb1EPKsPsPKlPlN2at6native12_GLOBAL__N_18offset_tEEE10hipError_tPvRmT1_PNSt15iterator_traitsIS12_E10value_typeET2_T3_PNS13_IS18_E10value_typeET4_jRbjT5_S1E_jjP12ihipStream_tbEUljE_ZNSN_ISO_Lb1ESQ_SR_ST_SU_SY_EESZ_S10_S11_S12_S16_S17_S18_S1B_S1C_jS1D_jS1E_S1E_jjS1G_bEUljE0_EEESZ_S10_S11_S18_S1C_S1E_T6_T7_T9_mT8_S1G_bDpT10_ENKUlT_T0_E_clISt17integral_constantIbLb1EES1U_EEDaS1P_S1Q_EUlS1P_E_NS1_11comp_targetILNS1_3genE5ELNS1_11target_archE942ELNS1_3gpuE9ELNS1_3repE0EEENS1_30default_config_static_selectorELNS0_4arch9wavefront6targetE1EEEvS12_ ; -- Begin function _ZN7rocprim17ROCPRIM_400000_NS6detail17trampoline_kernelINS0_13select_configILj256ELj13ELNS0_17block_load_methodE3ELS4_3ELS4_3ELNS0_20block_scan_algorithmE0ELj4294967295EEENS1_25partition_config_selectorILNS1_17partition_subalgoE4EjNS0_10empty_typeEbEEZZNS1_14partition_implILS8_4ELb0ES6_15HIP_vector_typeIjLj2EENS0_17counting_iteratorIjlEEPS9_SG_NS0_5tupleIJPjSI_NS0_16reverse_iteratorISI_EEEEENSH_IJSG_SG_SG_EEES9_SI_JZNS1_25segmented_radix_sort_implINS0_14default_configELb1EPKsPsPKlPlN2at6native12_GLOBAL__N_18offset_tEEE10hipError_tPvRmT1_PNSt15iterator_traitsIS12_E10value_typeET2_T3_PNS13_IS18_E10value_typeET4_jRbjT5_S1E_jjP12ihipStream_tbEUljE_ZNSN_ISO_Lb1ESQ_SR_ST_SU_SY_EESZ_S10_S11_S12_S16_S17_S18_S1B_S1C_jS1D_jS1E_S1E_jjS1G_bEUljE0_EEESZ_S10_S11_S18_S1C_S1E_T6_T7_T9_mT8_S1G_bDpT10_ENKUlT_T0_E_clISt17integral_constantIbLb1EES1U_EEDaS1P_S1Q_EUlS1P_E_NS1_11comp_targetILNS1_3genE5ELNS1_11target_archE942ELNS1_3gpuE9ELNS1_3repE0EEENS1_30default_config_static_selectorELNS0_4arch9wavefront6targetE1EEEvS12_
	.p2align	8
	.type	_ZN7rocprim17ROCPRIM_400000_NS6detail17trampoline_kernelINS0_13select_configILj256ELj13ELNS0_17block_load_methodE3ELS4_3ELS4_3ELNS0_20block_scan_algorithmE0ELj4294967295EEENS1_25partition_config_selectorILNS1_17partition_subalgoE4EjNS0_10empty_typeEbEEZZNS1_14partition_implILS8_4ELb0ES6_15HIP_vector_typeIjLj2EENS0_17counting_iteratorIjlEEPS9_SG_NS0_5tupleIJPjSI_NS0_16reverse_iteratorISI_EEEEENSH_IJSG_SG_SG_EEES9_SI_JZNS1_25segmented_radix_sort_implINS0_14default_configELb1EPKsPsPKlPlN2at6native12_GLOBAL__N_18offset_tEEE10hipError_tPvRmT1_PNSt15iterator_traitsIS12_E10value_typeET2_T3_PNS13_IS18_E10value_typeET4_jRbjT5_S1E_jjP12ihipStream_tbEUljE_ZNSN_ISO_Lb1ESQ_SR_ST_SU_SY_EESZ_S10_S11_S12_S16_S17_S18_S1B_S1C_jS1D_jS1E_S1E_jjS1G_bEUljE0_EEESZ_S10_S11_S18_S1C_S1E_T6_T7_T9_mT8_S1G_bDpT10_ENKUlT_T0_E_clISt17integral_constantIbLb1EES1U_EEDaS1P_S1Q_EUlS1P_E_NS1_11comp_targetILNS1_3genE5ELNS1_11target_archE942ELNS1_3gpuE9ELNS1_3repE0EEENS1_30default_config_static_selectorELNS0_4arch9wavefront6targetE1EEEvS12_,@function
_ZN7rocprim17ROCPRIM_400000_NS6detail17trampoline_kernelINS0_13select_configILj256ELj13ELNS0_17block_load_methodE3ELS4_3ELS4_3ELNS0_20block_scan_algorithmE0ELj4294967295EEENS1_25partition_config_selectorILNS1_17partition_subalgoE4EjNS0_10empty_typeEbEEZZNS1_14partition_implILS8_4ELb0ES6_15HIP_vector_typeIjLj2EENS0_17counting_iteratorIjlEEPS9_SG_NS0_5tupleIJPjSI_NS0_16reverse_iteratorISI_EEEEENSH_IJSG_SG_SG_EEES9_SI_JZNS1_25segmented_radix_sort_implINS0_14default_configELb1EPKsPsPKlPlN2at6native12_GLOBAL__N_18offset_tEEE10hipError_tPvRmT1_PNSt15iterator_traitsIS12_E10value_typeET2_T3_PNS13_IS18_E10value_typeET4_jRbjT5_S1E_jjP12ihipStream_tbEUljE_ZNSN_ISO_Lb1ESQ_SR_ST_SU_SY_EESZ_S10_S11_S12_S16_S17_S18_S1B_S1C_jS1D_jS1E_S1E_jjS1G_bEUljE0_EEESZ_S10_S11_S18_S1C_S1E_T6_T7_T9_mT8_S1G_bDpT10_ENKUlT_T0_E_clISt17integral_constantIbLb1EES1U_EEDaS1P_S1Q_EUlS1P_E_NS1_11comp_targetILNS1_3genE5ELNS1_11target_archE942ELNS1_3gpuE9ELNS1_3repE0EEENS1_30default_config_static_selectorELNS0_4arch9wavefront6targetE1EEEvS12_: ; @_ZN7rocprim17ROCPRIM_400000_NS6detail17trampoline_kernelINS0_13select_configILj256ELj13ELNS0_17block_load_methodE3ELS4_3ELS4_3ELNS0_20block_scan_algorithmE0ELj4294967295EEENS1_25partition_config_selectorILNS1_17partition_subalgoE4EjNS0_10empty_typeEbEEZZNS1_14partition_implILS8_4ELb0ES6_15HIP_vector_typeIjLj2EENS0_17counting_iteratorIjlEEPS9_SG_NS0_5tupleIJPjSI_NS0_16reverse_iteratorISI_EEEEENSH_IJSG_SG_SG_EEES9_SI_JZNS1_25segmented_radix_sort_implINS0_14default_configELb1EPKsPsPKlPlN2at6native12_GLOBAL__N_18offset_tEEE10hipError_tPvRmT1_PNSt15iterator_traitsIS12_E10value_typeET2_T3_PNS13_IS18_E10value_typeET4_jRbjT5_S1E_jjP12ihipStream_tbEUljE_ZNSN_ISO_Lb1ESQ_SR_ST_SU_SY_EESZ_S10_S11_S12_S16_S17_S18_S1B_S1C_jS1D_jS1E_S1E_jjS1G_bEUljE0_EEESZ_S10_S11_S18_S1C_S1E_T6_T7_T9_mT8_S1G_bDpT10_ENKUlT_T0_E_clISt17integral_constantIbLb1EES1U_EEDaS1P_S1Q_EUlS1P_E_NS1_11comp_targetILNS1_3genE5ELNS1_11target_archE942ELNS1_3gpuE9ELNS1_3repE0EEENS1_30default_config_static_selectorELNS0_4arch9wavefront6targetE1EEEvS12_
; %bb.0:
	.section	.rodata,"a",@progbits
	.p2align	6, 0x0
	.amdhsa_kernel _ZN7rocprim17ROCPRIM_400000_NS6detail17trampoline_kernelINS0_13select_configILj256ELj13ELNS0_17block_load_methodE3ELS4_3ELS4_3ELNS0_20block_scan_algorithmE0ELj4294967295EEENS1_25partition_config_selectorILNS1_17partition_subalgoE4EjNS0_10empty_typeEbEEZZNS1_14partition_implILS8_4ELb0ES6_15HIP_vector_typeIjLj2EENS0_17counting_iteratorIjlEEPS9_SG_NS0_5tupleIJPjSI_NS0_16reverse_iteratorISI_EEEEENSH_IJSG_SG_SG_EEES9_SI_JZNS1_25segmented_radix_sort_implINS0_14default_configELb1EPKsPsPKlPlN2at6native12_GLOBAL__N_18offset_tEEE10hipError_tPvRmT1_PNSt15iterator_traitsIS12_E10value_typeET2_T3_PNS13_IS18_E10value_typeET4_jRbjT5_S1E_jjP12ihipStream_tbEUljE_ZNSN_ISO_Lb1ESQ_SR_ST_SU_SY_EESZ_S10_S11_S12_S16_S17_S18_S1B_S1C_jS1D_jS1E_S1E_jjS1G_bEUljE0_EEESZ_S10_S11_S18_S1C_S1E_T6_T7_T9_mT8_S1G_bDpT10_ENKUlT_T0_E_clISt17integral_constantIbLb1EES1U_EEDaS1P_S1Q_EUlS1P_E_NS1_11comp_targetILNS1_3genE5ELNS1_11target_archE942ELNS1_3gpuE9ELNS1_3repE0EEENS1_30default_config_static_selectorELNS0_4arch9wavefront6targetE1EEEvS12_
		.amdhsa_group_segment_fixed_size 0
		.amdhsa_private_segment_fixed_size 0
		.amdhsa_kernarg_size 184
		.amdhsa_user_sgpr_count 6
		.amdhsa_user_sgpr_private_segment_buffer 1
		.amdhsa_user_sgpr_dispatch_ptr 0
		.amdhsa_user_sgpr_queue_ptr 0
		.amdhsa_user_sgpr_kernarg_segment_ptr 1
		.amdhsa_user_sgpr_dispatch_id 0
		.amdhsa_user_sgpr_flat_scratch_init 0
		.amdhsa_user_sgpr_private_segment_size 0
		.amdhsa_uses_dynamic_stack 0
		.amdhsa_system_sgpr_private_segment_wavefront_offset 0
		.amdhsa_system_sgpr_workgroup_id_x 1
		.amdhsa_system_sgpr_workgroup_id_y 0
		.amdhsa_system_sgpr_workgroup_id_z 0
		.amdhsa_system_sgpr_workgroup_info 0
		.amdhsa_system_vgpr_workitem_id 0
		.amdhsa_next_free_vgpr 1
		.amdhsa_next_free_sgpr 0
		.amdhsa_reserve_vcc 0
		.amdhsa_reserve_flat_scratch 0
		.amdhsa_float_round_mode_32 0
		.amdhsa_float_round_mode_16_64 0
		.amdhsa_float_denorm_mode_32 3
		.amdhsa_float_denorm_mode_16_64 3
		.amdhsa_dx10_clamp 1
		.amdhsa_ieee_mode 1
		.amdhsa_fp16_overflow 0
		.amdhsa_exception_fp_ieee_invalid_op 0
		.amdhsa_exception_fp_denorm_src 0
		.amdhsa_exception_fp_ieee_div_zero 0
		.amdhsa_exception_fp_ieee_overflow 0
		.amdhsa_exception_fp_ieee_underflow 0
		.amdhsa_exception_fp_ieee_inexact 0
		.amdhsa_exception_int_div_zero 0
	.end_amdhsa_kernel
	.section	.text._ZN7rocprim17ROCPRIM_400000_NS6detail17trampoline_kernelINS0_13select_configILj256ELj13ELNS0_17block_load_methodE3ELS4_3ELS4_3ELNS0_20block_scan_algorithmE0ELj4294967295EEENS1_25partition_config_selectorILNS1_17partition_subalgoE4EjNS0_10empty_typeEbEEZZNS1_14partition_implILS8_4ELb0ES6_15HIP_vector_typeIjLj2EENS0_17counting_iteratorIjlEEPS9_SG_NS0_5tupleIJPjSI_NS0_16reverse_iteratorISI_EEEEENSH_IJSG_SG_SG_EEES9_SI_JZNS1_25segmented_radix_sort_implINS0_14default_configELb1EPKsPsPKlPlN2at6native12_GLOBAL__N_18offset_tEEE10hipError_tPvRmT1_PNSt15iterator_traitsIS12_E10value_typeET2_T3_PNS13_IS18_E10value_typeET4_jRbjT5_S1E_jjP12ihipStream_tbEUljE_ZNSN_ISO_Lb1ESQ_SR_ST_SU_SY_EESZ_S10_S11_S12_S16_S17_S18_S1B_S1C_jS1D_jS1E_S1E_jjS1G_bEUljE0_EEESZ_S10_S11_S18_S1C_S1E_T6_T7_T9_mT8_S1G_bDpT10_ENKUlT_T0_E_clISt17integral_constantIbLb1EES1U_EEDaS1P_S1Q_EUlS1P_E_NS1_11comp_targetILNS1_3genE5ELNS1_11target_archE942ELNS1_3gpuE9ELNS1_3repE0EEENS1_30default_config_static_selectorELNS0_4arch9wavefront6targetE1EEEvS12_,"axG",@progbits,_ZN7rocprim17ROCPRIM_400000_NS6detail17trampoline_kernelINS0_13select_configILj256ELj13ELNS0_17block_load_methodE3ELS4_3ELS4_3ELNS0_20block_scan_algorithmE0ELj4294967295EEENS1_25partition_config_selectorILNS1_17partition_subalgoE4EjNS0_10empty_typeEbEEZZNS1_14partition_implILS8_4ELb0ES6_15HIP_vector_typeIjLj2EENS0_17counting_iteratorIjlEEPS9_SG_NS0_5tupleIJPjSI_NS0_16reverse_iteratorISI_EEEEENSH_IJSG_SG_SG_EEES9_SI_JZNS1_25segmented_radix_sort_implINS0_14default_configELb1EPKsPsPKlPlN2at6native12_GLOBAL__N_18offset_tEEE10hipError_tPvRmT1_PNSt15iterator_traitsIS12_E10value_typeET2_T3_PNS13_IS18_E10value_typeET4_jRbjT5_S1E_jjP12ihipStream_tbEUljE_ZNSN_ISO_Lb1ESQ_SR_ST_SU_SY_EESZ_S10_S11_S12_S16_S17_S18_S1B_S1C_jS1D_jS1E_S1E_jjS1G_bEUljE0_EEESZ_S10_S11_S18_S1C_S1E_T6_T7_T9_mT8_S1G_bDpT10_ENKUlT_T0_E_clISt17integral_constantIbLb1EES1U_EEDaS1P_S1Q_EUlS1P_E_NS1_11comp_targetILNS1_3genE5ELNS1_11target_archE942ELNS1_3gpuE9ELNS1_3repE0EEENS1_30default_config_static_selectorELNS0_4arch9wavefront6targetE1EEEvS12_,comdat
.Lfunc_end856:
	.size	_ZN7rocprim17ROCPRIM_400000_NS6detail17trampoline_kernelINS0_13select_configILj256ELj13ELNS0_17block_load_methodE3ELS4_3ELS4_3ELNS0_20block_scan_algorithmE0ELj4294967295EEENS1_25partition_config_selectorILNS1_17partition_subalgoE4EjNS0_10empty_typeEbEEZZNS1_14partition_implILS8_4ELb0ES6_15HIP_vector_typeIjLj2EENS0_17counting_iteratorIjlEEPS9_SG_NS0_5tupleIJPjSI_NS0_16reverse_iteratorISI_EEEEENSH_IJSG_SG_SG_EEES9_SI_JZNS1_25segmented_radix_sort_implINS0_14default_configELb1EPKsPsPKlPlN2at6native12_GLOBAL__N_18offset_tEEE10hipError_tPvRmT1_PNSt15iterator_traitsIS12_E10value_typeET2_T3_PNS13_IS18_E10value_typeET4_jRbjT5_S1E_jjP12ihipStream_tbEUljE_ZNSN_ISO_Lb1ESQ_SR_ST_SU_SY_EESZ_S10_S11_S12_S16_S17_S18_S1B_S1C_jS1D_jS1E_S1E_jjS1G_bEUljE0_EEESZ_S10_S11_S18_S1C_S1E_T6_T7_T9_mT8_S1G_bDpT10_ENKUlT_T0_E_clISt17integral_constantIbLb1EES1U_EEDaS1P_S1Q_EUlS1P_E_NS1_11comp_targetILNS1_3genE5ELNS1_11target_archE942ELNS1_3gpuE9ELNS1_3repE0EEENS1_30default_config_static_selectorELNS0_4arch9wavefront6targetE1EEEvS12_, .Lfunc_end856-_ZN7rocprim17ROCPRIM_400000_NS6detail17trampoline_kernelINS0_13select_configILj256ELj13ELNS0_17block_load_methodE3ELS4_3ELS4_3ELNS0_20block_scan_algorithmE0ELj4294967295EEENS1_25partition_config_selectorILNS1_17partition_subalgoE4EjNS0_10empty_typeEbEEZZNS1_14partition_implILS8_4ELb0ES6_15HIP_vector_typeIjLj2EENS0_17counting_iteratorIjlEEPS9_SG_NS0_5tupleIJPjSI_NS0_16reverse_iteratorISI_EEEEENSH_IJSG_SG_SG_EEES9_SI_JZNS1_25segmented_radix_sort_implINS0_14default_configELb1EPKsPsPKlPlN2at6native12_GLOBAL__N_18offset_tEEE10hipError_tPvRmT1_PNSt15iterator_traitsIS12_E10value_typeET2_T3_PNS13_IS18_E10value_typeET4_jRbjT5_S1E_jjP12ihipStream_tbEUljE_ZNSN_ISO_Lb1ESQ_SR_ST_SU_SY_EESZ_S10_S11_S12_S16_S17_S18_S1B_S1C_jS1D_jS1E_S1E_jjS1G_bEUljE0_EEESZ_S10_S11_S18_S1C_S1E_T6_T7_T9_mT8_S1G_bDpT10_ENKUlT_T0_E_clISt17integral_constantIbLb1EES1U_EEDaS1P_S1Q_EUlS1P_E_NS1_11comp_targetILNS1_3genE5ELNS1_11target_archE942ELNS1_3gpuE9ELNS1_3repE0EEENS1_30default_config_static_selectorELNS0_4arch9wavefront6targetE1EEEvS12_
                                        ; -- End function
	.set _ZN7rocprim17ROCPRIM_400000_NS6detail17trampoline_kernelINS0_13select_configILj256ELj13ELNS0_17block_load_methodE3ELS4_3ELS4_3ELNS0_20block_scan_algorithmE0ELj4294967295EEENS1_25partition_config_selectorILNS1_17partition_subalgoE4EjNS0_10empty_typeEbEEZZNS1_14partition_implILS8_4ELb0ES6_15HIP_vector_typeIjLj2EENS0_17counting_iteratorIjlEEPS9_SG_NS0_5tupleIJPjSI_NS0_16reverse_iteratorISI_EEEEENSH_IJSG_SG_SG_EEES9_SI_JZNS1_25segmented_radix_sort_implINS0_14default_configELb1EPKsPsPKlPlN2at6native12_GLOBAL__N_18offset_tEEE10hipError_tPvRmT1_PNSt15iterator_traitsIS12_E10value_typeET2_T3_PNS13_IS18_E10value_typeET4_jRbjT5_S1E_jjP12ihipStream_tbEUljE_ZNSN_ISO_Lb1ESQ_SR_ST_SU_SY_EESZ_S10_S11_S12_S16_S17_S18_S1B_S1C_jS1D_jS1E_S1E_jjS1G_bEUljE0_EEESZ_S10_S11_S18_S1C_S1E_T6_T7_T9_mT8_S1G_bDpT10_ENKUlT_T0_E_clISt17integral_constantIbLb1EES1U_EEDaS1P_S1Q_EUlS1P_E_NS1_11comp_targetILNS1_3genE5ELNS1_11target_archE942ELNS1_3gpuE9ELNS1_3repE0EEENS1_30default_config_static_selectorELNS0_4arch9wavefront6targetE1EEEvS12_.num_vgpr, 0
	.set _ZN7rocprim17ROCPRIM_400000_NS6detail17trampoline_kernelINS0_13select_configILj256ELj13ELNS0_17block_load_methodE3ELS4_3ELS4_3ELNS0_20block_scan_algorithmE0ELj4294967295EEENS1_25partition_config_selectorILNS1_17partition_subalgoE4EjNS0_10empty_typeEbEEZZNS1_14partition_implILS8_4ELb0ES6_15HIP_vector_typeIjLj2EENS0_17counting_iteratorIjlEEPS9_SG_NS0_5tupleIJPjSI_NS0_16reverse_iteratorISI_EEEEENSH_IJSG_SG_SG_EEES9_SI_JZNS1_25segmented_radix_sort_implINS0_14default_configELb1EPKsPsPKlPlN2at6native12_GLOBAL__N_18offset_tEEE10hipError_tPvRmT1_PNSt15iterator_traitsIS12_E10value_typeET2_T3_PNS13_IS18_E10value_typeET4_jRbjT5_S1E_jjP12ihipStream_tbEUljE_ZNSN_ISO_Lb1ESQ_SR_ST_SU_SY_EESZ_S10_S11_S12_S16_S17_S18_S1B_S1C_jS1D_jS1E_S1E_jjS1G_bEUljE0_EEESZ_S10_S11_S18_S1C_S1E_T6_T7_T9_mT8_S1G_bDpT10_ENKUlT_T0_E_clISt17integral_constantIbLb1EES1U_EEDaS1P_S1Q_EUlS1P_E_NS1_11comp_targetILNS1_3genE5ELNS1_11target_archE942ELNS1_3gpuE9ELNS1_3repE0EEENS1_30default_config_static_selectorELNS0_4arch9wavefront6targetE1EEEvS12_.num_agpr, 0
	.set _ZN7rocprim17ROCPRIM_400000_NS6detail17trampoline_kernelINS0_13select_configILj256ELj13ELNS0_17block_load_methodE3ELS4_3ELS4_3ELNS0_20block_scan_algorithmE0ELj4294967295EEENS1_25partition_config_selectorILNS1_17partition_subalgoE4EjNS0_10empty_typeEbEEZZNS1_14partition_implILS8_4ELb0ES6_15HIP_vector_typeIjLj2EENS0_17counting_iteratorIjlEEPS9_SG_NS0_5tupleIJPjSI_NS0_16reverse_iteratorISI_EEEEENSH_IJSG_SG_SG_EEES9_SI_JZNS1_25segmented_radix_sort_implINS0_14default_configELb1EPKsPsPKlPlN2at6native12_GLOBAL__N_18offset_tEEE10hipError_tPvRmT1_PNSt15iterator_traitsIS12_E10value_typeET2_T3_PNS13_IS18_E10value_typeET4_jRbjT5_S1E_jjP12ihipStream_tbEUljE_ZNSN_ISO_Lb1ESQ_SR_ST_SU_SY_EESZ_S10_S11_S12_S16_S17_S18_S1B_S1C_jS1D_jS1E_S1E_jjS1G_bEUljE0_EEESZ_S10_S11_S18_S1C_S1E_T6_T7_T9_mT8_S1G_bDpT10_ENKUlT_T0_E_clISt17integral_constantIbLb1EES1U_EEDaS1P_S1Q_EUlS1P_E_NS1_11comp_targetILNS1_3genE5ELNS1_11target_archE942ELNS1_3gpuE9ELNS1_3repE0EEENS1_30default_config_static_selectorELNS0_4arch9wavefront6targetE1EEEvS12_.numbered_sgpr, 0
	.set _ZN7rocprim17ROCPRIM_400000_NS6detail17trampoline_kernelINS0_13select_configILj256ELj13ELNS0_17block_load_methodE3ELS4_3ELS4_3ELNS0_20block_scan_algorithmE0ELj4294967295EEENS1_25partition_config_selectorILNS1_17partition_subalgoE4EjNS0_10empty_typeEbEEZZNS1_14partition_implILS8_4ELb0ES6_15HIP_vector_typeIjLj2EENS0_17counting_iteratorIjlEEPS9_SG_NS0_5tupleIJPjSI_NS0_16reverse_iteratorISI_EEEEENSH_IJSG_SG_SG_EEES9_SI_JZNS1_25segmented_radix_sort_implINS0_14default_configELb1EPKsPsPKlPlN2at6native12_GLOBAL__N_18offset_tEEE10hipError_tPvRmT1_PNSt15iterator_traitsIS12_E10value_typeET2_T3_PNS13_IS18_E10value_typeET4_jRbjT5_S1E_jjP12ihipStream_tbEUljE_ZNSN_ISO_Lb1ESQ_SR_ST_SU_SY_EESZ_S10_S11_S12_S16_S17_S18_S1B_S1C_jS1D_jS1E_S1E_jjS1G_bEUljE0_EEESZ_S10_S11_S18_S1C_S1E_T6_T7_T9_mT8_S1G_bDpT10_ENKUlT_T0_E_clISt17integral_constantIbLb1EES1U_EEDaS1P_S1Q_EUlS1P_E_NS1_11comp_targetILNS1_3genE5ELNS1_11target_archE942ELNS1_3gpuE9ELNS1_3repE0EEENS1_30default_config_static_selectorELNS0_4arch9wavefront6targetE1EEEvS12_.num_named_barrier, 0
	.set _ZN7rocprim17ROCPRIM_400000_NS6detail17trampoline_kernelINS0_13select_configILj256ELj13ELNS0_17block_load_methodE3ELS4_3ELS4_3ELNS0_20block_scan_algorithmE0ELj4294967295EEENS1_25partition_config_selectorILNS1_17partition_subalgoE4EjNS0_10empty_typeEbEEZZNS1_14partition_implILS8_4ELb0ES6_15HIP_vector_typeIjLj2EENS0_17counting_iteratorIjlEEPS9_SG_NS0_5tupleIJPjSI_NS0_16reverse_iteratorISI_EEEEENSH_IJSG_SG_SG_EEES9_SI_JZNS1_25segmented_radix_sort_implINS0_14default_configELb1EPKsPsPKlPlN2at6native12_GLOBAL__N_18offset_tEEE10hipError_tPvRmT1_PNSt15iterator_traitsIS12_E10value_typeET2_T3_PNS13_IS18_E10value_typeET4_jRbjT5_S1E_jjP12ihipStream_tbEUljE_ZNSN_ISO_Lb1ESQ_SR_ST_SU_SY_EESZ_S10_S11_S12_S16_S17_S18_S1B_S1C_jS1D_jS1E_S1E_jjS1G_bEUljE0_EEESZ_S10_S11_S18_S1C_S1E_T6_T7_T9_mT8_S1G_bDpT10_ENKUlT_T0_E_clISt17integral_constantIbLb1EES1U_EEDaS1P_S1Q_EUlS1P_E_NS1_11comp_targetILNS1_3genE5ELNS1_11target_archE942ELNS1_3gpuE9ELNS1_3repE0EEENS1_30default_config_static_selectorELNS0_4arch9wavefront6targetE1EEEvS12_.private_seg_size, 0
	.set _ZN7rocprim17ROCPRIM_400000_NS6detail17trampoline_kernelINS0_13select_configILj256ELj13ELNS0_17block_load_methodE3ELS4_3ELS4_3ELNS0_20block_scan_algorithmE0ELj4294967295EEENS1_25partition_config_selectorILNS1_17partition_subalgoE4EjNS0_10empty_typeEbEEZZNS1_14partition_implILS8_4ELb0ES6_15HIP_vector_typeIjLj2EENS0_17counting_iteratorIjlEEPS9_SG_NS0_5tupleIJPjSI_NS0_16reverse_iteratorISI_EEEEENSH_IJSG_SG_SG_EEES9_SI_JZNS1_25segmented_radix_sort_implINS0_14default_configELb1EPKsPsPKlPlN2at6native12_GLOBAL__N_18offset_tEEE10hipError_tPvRmT1_PNSt15iterator_traitsIS12_E10value_typeET2_T3_PNS13_IS18_E10value_typeET4_jRbjT5_S1E_jjP12ihipStream_tbEUljE_ZNSN_ISO_Lb1ESQ_SR_ST_SU_SY_EESZ_S10_S11_S12_S16_S17_S18_S1B_S1C_jS1D_jS1E_S1E_jjS1G_bEUljE0_EEESZ_S10_S11_S18_S1C_S1E_T6_T7_T9_mT8_S1G_bDpT10_ENKUlT_T0_E_clISt17integral_constantIbLb1EES1U_EEDaS1P_S1Q_EUlS1P_E_NS1_11comp_targetILNS1_3genE5ELNS1_11target_archE942ELNS1_3gpuE9ELNS1_3repE0EEENS1_30default_config_static_selectorELNS0_4arch9wavefront6targetE1EEEvS12_.uses_vcc, 0
	.set _ZN7rocprim17ROCPRIM_400000_NS6detail17trampoline_kernelINS0_13select_configILj256ELj13ELNS0_17block_load_methodE3ELS4_3ELS4_3ELNS0_20block_scan_algorithmE0ELj4294967295EEENS1_25partition_config_selectorILNS1_17partition_subalgoE4EjNS0_10empty_typeEbEEZZNS1_14partition_implILS8_4ELb0ES6_15HIP_vector_typeIjLj2EENS0_17counting_iteratorIjlEEPS9_SG_NS0_5tupleIJPjSI_NS0_16reverse_iteratorISI_EEEEENSH_IJSG_SG_SG_EEES9_SI_JZNS1_25segmented_radix_sort_implINS0_14default_configELb1EPKsPsPKlPlN2at6native12_GLOBAL__N_18offset_tEEE10hipError_tPvRmT1_PNSt15iterator_traitsIS12_E10value_typeET2_T3_PNS13_IS18_E10value_typeET4_jRbjT5_S1E_jjP12ihipStream_tbEUljE_ZNSN_ISO_Lb1ESQ_SR_ST_SU_SY_EESZ_S10_S11_S12_S16_S17_S18_S1B_S1C_jS1D_jS1E_S1E_jjS1G_bEUljE0_EEESZ_S10_S11_S18_S1C_S1E_T6_T7_T9_mT8_S1G_bDpT10_ENKUlT_T0_E_clISt17integral_constantIbLb1EES1U_EEDaS1P_S1Q_EUlS1P_E_NS1_11comp_targetILNS1_3genE5ELNS1_11target_archE942ELNS1_3gpuE9ELNS1_3repE0EEENS1_30default_config_static_selectorELNS0_4arch9wavefront6targetE1EEEvS12_.uses_flat_scratch, 0
	.set _ZN7rocprim17ROCPRIM_400000_NS6detail17trampoline_kernelINS0_13select_configILj256ELj13ELNS0_17block_load_methodE3ELS4_3ELS4_3ELNS0_20block_scan_algorithmE0ELj4294967295EEENS1_25partition_config_selectorILNS1_17partition_subalgoE4EjNS0_10empty_typeEbEEZZNS1_14partition_implILS8_4ELb0ES6_15HIP_vector_typeIjLj2EENS0_17counting_iteratorIjlEEPS9_SG_NS0_5tupleIJPjSI_NS0_16reverse_iteratorISI_EEEEENSH_IJSG_SG_SG_EEES9_SI_JZNS1_25segmented_radix_sort_implINS0_14default_configELb1EPKsPsPKlPlN2at6native12_GLOBAL__N_18offset_tEEE10hipError_tPvRmT1_PNSt15iterator_traitsIS12_E10value_typeET2_T3_PNS13_IS18_E10value_typeET4_jRbjT5_S1E_jjP12ihipStream_tbEUljE_ZNSN_ISO_Lb1ESQ_SR_ST_SU_SY_EESZ_S10_S11_S12_S16_S17_S18_S1B_S1C_jS1D_jS1E_S1E_jjS1G_bEUljE0_EEESZ_S10_S11_S18_S1C_S1E_T6_T7_T9_mT8_S1G_bDpT10_ENKUlT_T0_E_clISt17integral_constantIbLb1EES1U_EEDaS1P_S1Q_EUlS1P_E_NS1_11comp_targetILNS1_3genE5ELNS1_11target_archE942ELNS1_3gpuE9ELNS1_3repE0EEENS1_30default_config_static_selectorELNS0_4arch9wavefront6targetE1EEEvS12_.has_dyn_sized_stack, 0
	.set _ZN7rocprim17ROCPRIM_400000_NS6detail17trampoline_kernelINS0_13select_configILj256ELj13ELNS0_17block_load_methodE3ELS4_3ELS4_3ELNS0_20block_scan_algorithmE0ELj4294967295EEENS1_25partition_config_selectorILNS1_17partition_subalgoE4EjNS0_10empty_typeEbEEZZNS1_14partition_implILS8_4ELb0ES6_15HIP_vector_typeIjLj2EENS0_17counting_iteratorIjlEEPS9_SG_NS0_5tupleIJPjSI_NS0_16reverse_iteratorISI_EEEEENSH_IJSG_SG_SG_EEES9_SI_JZNS1_25segmented_radix_sort_implINS0_14default_configELb1EPKsPsPKlPlN2at6native12_GLOBAL__N_18offset_tEEE10hipError_tPvRmT1_PNSt15iterator_traitsIS12_E10value_typeET2_T3_PNS13_IS18_E10value_typeET4_jRbjT5_S1E_jjP12ihipStream_tbEUljE_ZNSN_ISO_Lb1ESQ_SR_ST_SU_SY_EESZ_S10_S11_S12_S16_S17_S18_S1B_S1C_jS1D_jS1E_S1E_jjS1G_bEUljE0_EEESZ_S10_S11_S18_S1C_S1E_T6_T7_T9_mT8_S1G_bDpT10_ENKUlT_T0_E_clISt17integral_constantIbLb1EES1U_EEDaS1P_S1Q_EUlS1P_E_NS1_11comp_targetILNS1_3genE5ELNS1_11target_archE942ELNS1_3gpuE9ELNS1_3repE0EEENS1_30default_config_static_selectorELNS0_4arch9wavefront6targetE1EEEvS12_.has_recursion, 0
	.set _ZN7rocprim17ROCPRIM_400000_NS6detail17trampoline_kernelINS0_13select_configILj256ELj13ELNS0_17block_load_methodE3ELS4_3ELS4_3ELNS0_20block_scan_algorithmE0ELj4294967295EEENS1_25partition_config_selectorILNS1_17partition_subalgoE4EjNS0_10empty_typeEbEEZZNS1_14partition_implILS8_4ELb0ES6_15HIP_vector_typeIjLj2EENS0_17counting_iteratorIjlEEPS9_SG_NS0_5tupleIJPjSI_NS0_16reverse_iteratorISI_EEEEENSH_IJSG_SG_SG_EEES9_SI_JZNS1_25segmented_radix_sort_implINS0_14default_configELb1EPKsPsPKlPlN2at6native12_GLOBAL__N_18offset_tEEE10hipError_tPvRmT1_PNSt15iterator_traitsIS12_E10value_typeET2_T3_PNS13_IS18_E10value_typeET4_jRbjT5_S1E_jjP12ihipStream_tbEUljE_ZNSN_ISO_Lb1ESQ_SR_ST_SU_SY_EESZ_S10_S11_S12_S16_S17_S18_S1B_S1C_jS1D_jS1E_S1E_jjS1G_bEUljE0_EEESZ_S10_S11_S18_S1C_S1E_T6_T7_T9_mT8_S1G_bDpT10_ENKUlT_T0_E_clISt17integral_constantIbLb1EES1U_EEDaS1P_S1Q_EUlS1P_E_NS1_11comp_targetILNS1_3genE5ELNS1_11target_archE942ELNS1_3gpuE9ELNS1_3repE0EEENS1_30default_config_static_selectorELNS0_4arch9wavefront6targetE1EEEvS12_.has_indirect_call, 0
	.section	.AMDGPU.csdata,"",@progbits
; Kernel info:
; codeLenInByte = 0
; TotalNumSgprs: 4
; NumVgprs: 0
; ScratchSize: 0
; MemoryBound: 0
; FloatMode: 240
; IeeeMode: 1
; LDSByteSize: 0 bytes/workgroup (compile time only)
; SGPRBlocks: 0
; VGPRBlocks: 0
; NumSGPRsForWavesPerEU: 4
; NumVGPRsForWavesPerEU: 1
; Occupancy: 10
; WaveLimiterHint : 0
; COMPUTE_PGM_RSRC2:SCRATCH_EN: 0
; COMPUTE_PGM_RSRC2:USER_SGPR: 6
; COMPUTE_PGM_RSRC2:TRAP_HANDLER: 0
; COMPUTE_PGM_RSRC2:TGID_X_EN: 1
; COMPUTE_PGM_RSRC2:TGID_Y_EN: 0
; COMPUTE_PGM_RSRC2:TGID_Z_EN: 0
; COMPUTE_PGM_RSRC2:TIDIG_COMP_CNT: 0
	.section	.text._ZN7rocprim17ROCPRIM_400000_NS6detail17trampoline_kernelINS0_13select_configILj256ELj13ELNS0_17block_load_methodE3ELS4_3ELS4_3ELNS0_20block_scan_algorithmE0ELj4294967295EEENS1_25partition_config_selectorILNS1_17partition_subalgoE4EjNS0_10empty_typeEbEEZZNS1_14partition_implILS8_4ELb0ES6_15HIP_vector_typeIjLj2EENS0_17counting_iteratorIjlEEPS9_SG_NS0_5tupleIJPjSI_NS0_16reverse_iteratorISI_EEEEENSH_IJSG_SG_SG_EEES9_SI_JZNS1_25segmented_radix_sort_implINS0_14default_configELb1EPKsPsPKlPlN2at6native12_GLOBAL__N_18offset_tEEE10hipError_tPvRmT1_PNSt15iterator_traitsIS12_E10value_typeET2_T3_PNS13_IS18_E10value_typeET4_jRbjT5_S1E_jjP12ihipStream_tbEUljE_ZNSN_ISO_Lb1ESQ_SR_ST_SU_SY_EESZ_S10_S11_S12_S16_S17_S18_S1B_S1C_jS1D_jS1E_S1E_jjS1G_bEUljE0_EEESZ_S10_S11_S18_S1C_S1E_T6_T7_T9_mT8_S1G_bDpT10_ENKUlT_T0_E_clISt17integral_constantIbLb1EES1U_EEDaS1P_S1Q_EUlS1P_E_NS1_11comp_targetILNS1_3genE4ELNS1_11target_archE910ELNS1_3gpuE8ELNS1_3repE0EEENS1_30default_config_static_selectorELNS0_4arch9wavefront6targetE1EEEvS12_,"axG",@progbits,_ZN7rocprim17ROCPRIM_400000_NS6detail17trampoline_kernelINS0_13select_configILj256ELj13ELNS0_17block_load_methodE3ELS4_3ELS4_3ELNS0_20block_scan_algorithmE0ELj4294967295EEENS1_25partition_config_selectorILNS1_17partition_subalgoE4EjNS0_10empty_typeEbEEZZNS1_14partition_implILS8_4ELb0ES6_15HIP_vector_typeIjLj2EENS0_17counting_iteratorIjlEEPS9_SG_NS0_5tupleIJPjSI_NS0_16reverse_iteratorISI_EEEEENSH_IJSG_SG_SG_EEES9_SI_JZNS1_25segmented_radix_sort_implINS0_14default_configELb1EPKsPsPKlPlN2at6native12_GLOBAL__N_18offset_tEEE10hipError_tPvRmT1_PNSt15iterator_traitsIS12_E10value_typeET2_T3_PNS13_IS18_E10value_typeET4_jRbjT5_S1E_jjP12ihipStream_tbEUljE_ZNSN_ISO_Lb1ESQ_SR_ST_SU_SY_EESZ_S10_S11_S12_S16_S17_S18_S1B_S1C_jS1D_jS1E_S1E_jjS1G_bEUljE0_EEESZ_S10_S11_S18_S1C_S1E_T6_T7_T9_mT8_S1G_bDpT10_ENKUlT_T0_E_clISt17integral_constantIbLb1EES1U_EEDaS1P_S1Q_EUlS1P_E_NS1_11comp_targetILNS1_3genE4ELNS1_11target_archE910ELNS1_3gpuE8ELNS1_3repE0EEENS1_30default_config_static_selectorELNS0_4arch9wavefront6targetE1EEEvS12_,comdat
	.globl	_ZN7rocprim17ROCPRIM_400000_NS6detail17trampoline_kernelINS0_13select_configILj256ELj13ELNS0_17block_load_methodE3ELS4_3ELS4_3ELNS0_20block_scan_algorithmE0ELj4294967295EEENS1_25partition_config_selectorILNS1_17partition_subalgoE4EjNS0_10empty_typeEbEEZZNS1_14partition_implILS8_4ELb0ES6_15HIP_vector_typeIjLj2EENS0_17counting_iteratorIjlEEPS9_SG_NS0_5tupleIJPjSI_NS0_16reverse_iteratorISI_EEEEENSH_IJSG_SG_SG_EEES9_SI_JZNS1_25segmented_radix_sort_implINS0_14default_configELb1EPKsPsPKlPlN2at6native12_GLOBAL__N_18offset_tEEE10hipError_tPvRmT1_PNSt15iterator_traitsIS12_E10value_typeET2_T3_PNS13_IS18_E10value_typeET4_jRbjT5_S1E_jjP12ihipStream_tbEUljE_ZNSN_ISO_Lb1ESQ_SR_ST_SU_SY_EESZ_S10_S11_S12_S16_S17_S18_S1B_S1C_jS1D_jS1E_S1E_jjS1G_bEUljE0_EEESZ_S10_S11_S18_S1C_S1E_T6_T7_T9_mT8_S1G_bDpT10_ENKUlT_T0_E_clISt17integral_constantIbLb1EES1U_EEDaS1P_S1Q_EUlS1P_E_NS1_11comp_targetILNS1_3genE4ELNS1_11target_archE910ELNS1_3gpuE8ELNS1_3repE0EEENS1_30default_config_static_selectorELNS0_4arch9wavefront6targetE1EEEvS12_ ; -- Begin function _ZN7rocprim17ROCPRIM_400000_NS6detail17trampoline_kernelINS0_13select_configILj256ELj13ELNS0_17block_load_methodE3ELS4_3ELS4_3ELNS0_20block_scan_algorithmE0ELj4294967295EEENS1_25partition_config_selectorILNS1_17partition_subalgoE4EjNS0_10empty_typeEbEEZZNS1_14partition_implILS8_4ELb0ES6_15HIP_vector_typeIjLj2EENS0_17counting_iteratorIjlEEPS9_SG_NS0_5tupleIJPjSI_NS0_16reverse_iteratorISI_EEEEENSH_IJSG_SG_SG_EEES9_SI_JZNS1_25segmented_radix_sort_implINS0_14default_configELb1EPKsPsPKlPlN2at6native12_GLOBAL__N_18offset_tEEE10hipError_tPvRmT1_PNSt15iterator_traitsIS12_E10value_typeET2_T3_PNS13_IS18_E10value_typeET4_jRbjT5_S1E_jjP12ihipStream_tbEUljE_ZNSN_ISO_Lb1ESQ_SR_ST_SU_SY_EESZ_S10_S11_S12_S16_S17_S18_S1B_S1C_jS1D_jS1E_S1E_jjS1G_bEUljE0_EEESZ_S10_S11_S18_S1C_S1E_T6_T7_T9_mT8_S1G_bDpT10_ENKUlT_T0_E_clISt17integral_constantIbLb1EES1U_EEDaS1P_S1Q_EUlS1P_E_NS1_11comp_targetILNS1_3genE4ELNS1_11target_archE910ELNS1_3gpuE8ELNS1_3repE0EEENS1_30default_config_static_selectorELNS0_4arch9wavefront6targetE1EEEvS12_
	.p2align	8
	.type	_ZN7rocprim17ROCPRIM_400000_NS6detail17trampoline_kernelINS0_13select_configILj256ELj13ELNS0_17block_load_methodE3ELS4_3ELS4_3ELNS0_20block_scan_algorithmE0ELj4294967295EEENS1_25partition_config_selectorILNS1_17partition_subalgoE4EjNS0_10empty_typeEbEEZZNS1_14partition_implILS8_4ELb0ES6_15HIP_vector_typeIjLj2EENS0_17counting_iteratorIjlEEPS9_SG_NS0_5tupleIJPjSI_NS0_16reverse_iteratorISI_EEEEENSH_IJSG_SG_SG_EEES9_SI_JZNS1_25segmented_radix_sort_implINS0_14default_configELb1EPKsPsPKlPlN2at6native12_GLOBAL__N_18offset_tEEE10hipError_tPvRmT1_PNSt15iterator_traitsIS12_E10value_typeET2_T3_PNS13_IS18_E10value_typeET4_jRbjT5_S1E_jjP12ihipStream_tbEUljE_ZNSN_ISO_Lb1ESQ_SR_ST_SU_SY_EESZ_S10_S11_S12_S16_S17_S18_S1B_S1C_jS1D_jS1E_S1E_jjS1G_bEUljE0_EEESZ_S10_S11_S18_S1C_S1E_T6_T7_T9_mT8_S1G_bDpT10_ENKUlT_T0_E_clISt17integral_constantIbLb1EES1U_EEDaS1P_S1Q_EUlS1P_E_NS1_11comp_targetILNS1_3genE4ELNS1_11target_archE910ELNS1_3gpuE8ELNS1_3repE0EEENS1_30default_config_static_selectorELNS0_4arch9wavefront6targetE1EEEvS12_,@function
_ZN7rocprim17ROCPRIM_400000_NS6detail17trampoline_kernelINS0_13select_configILj256ELj13ELNS0_17block_load_methodE3ELS4_3ELS4_3ELNS0_20block_scan_algorithmE0ELj4294967295EEENS1_25partition_config_selectorILNS1_17partition_subalgoE4EjNS0_10empty_typeEbEEZZNS1_14partition_implILS8_4ELb0ES6_15HIP_vector_typeIjLj2EENS0_17counting_iteratorIjlEEPS9_SG_NS0_5tupleIJPjSI_NS0_16reverse_iteratorISI_EEEEENSH_IJSG_SG_SG_EEES9_SI_JZNS1_25segmented_radix_sort_implINS0_14default_configELb1EPKsPsPKlPlN2at6native12_GLOBAL__N_18offset_tEEE10hipError_tPvRmT1_PNSt15iterator_traitsIS12_E10value_typeET2_T3_PNS13_IS18_E10value_typeET4_jRbjT5_S1E_jjP12ihipStream_tbEUljE_ZNSN_ISO_Lb1ESQ_SR_ST_SU_SY_EESZ_S10_S11_S12_S16_S17_S18_S1B_S1C_jS1D_jS1E_S1E_jjS1G_bEUljE0_EEESZ_S10_S11_S18_S1C_S1E_T6_T7_T9_mT8_S1G_bDpT10_ENKUlT_T0_E_clISt17integral_constantIbLb1EES1U_EEDaS1P_S1Q_EUlS1P_E_NS1_11comp_targetILNS1_3genE4ELNS1_11target_archE910ELNS1_3gpuE8ELNS1_3repE0EEENS1_30default_config_static_selectorELNS0_4arch9wavefront6targetE1EEEvS12_: ; @_ZN7rocprim17ROCPRIM_400000_NS6detail17trampoline_kernelINS0_13select_configILj256ELj13ELNS0_17block_load_methodE3ELS4_3ELS4_3ELNS0_20block_scan_algorithmE0ELj4294967295EEENS1_25partition_config_selectorILNS1_17partition_subalgoE4EjNS0_10empty_typeEbEEZZNS1_14partition_implILS8_4ELb0ES6_15HIP_vector_typeIjLj2EENS0_17counting_iteratorIjlEEPS9_SG_NS0_5tupleIJPjSI_NS0_16reverse_iteratorISI_EEEEENSH_IJSG_SG_SG_EEES9_SI_JZNS1_25segmented_radix_sort_implINS0_14default_configELb1EPKsPsPKlPlN2at6native12_GLOBAL__N_18offset_tEEE10hipError_tPvRmT1_PNSt15iterator_traitsIS12_E10value_typeET2_T3_PNS13_IS18_E10value_typeET4_jRbjT5_S1E_jjP12ihipStream_tbEUljE_ZNSN_ISO_Lb1ESQ_SR_ST_SU_SY_EESZ_S10_S11_S12_S16_S17_S18_S1B_S1C_jS1D_jS1E_S1E_jjS1G_bEUljE0_EEESZ_S10_S11_S18_S1C_S1E_T6_T7_T9_mT8_S1G_bDpT10_ENKUlT_T0_E_clISt17integral_constantIbLb1EES1U_EEDaS1P_S1Q_EUlS1P_E_NS1_11comp_targetILNS1_3genE4ELNS1_11target_archE910ELNS1_3gpuE8ELNS1_3repE0EEENS1_30default_config_static_selectorELNS0_4arch9wavefront6targetE1EEEvS12_
; %bb.0:
	.section	.rodata,"a",@progbits
	.p2align	6, 0x0
	.amdhsa_kernel _ZN7rocprim17ROCPRIM_400000_NS6detail17trampoline_kernelINS0_13select_configILj256ELj13ELNS0_17block_load_methodE3ELS4_3ELS4_3ELNS0_20block_scan_algorithmE0ELj4294967295EEENS1_25partition_config_selectorILNS1_17partition_subalgoE4EjNS0_10empty_typeEbEEZZNS1_14partition_implILS8_4ELb0ES6_15HIP_vector_typeIjLj2EENS0_17counting_iteratorIjlEEPS9_SG_NS0_5tupleIJPjSI_NS0_16reverse_iteratorISI_EEEEENSH_IJSG_SG_SG_EEES9_SI_JZNS1_25segmented_radix_sort_implINS0_14default_configELb1EPKsPsPKlPlN2at6native12_GLOBAL__N_18offset_tEEE10hipError_tPvRmT1_PNSt15iterator_traitsIS12_E10value_typeET2_T3_PNS13_IS18_E10value_typeET4_jRbjT5_S1E_jjP12ihipStream_tbEUljE_ZNSN_ISO_Lb1ESQ_SR_ST_SU_SY_EESZ_S10_S11_S12_S16_S17_S18_S1B_S1C_jS1D_jS1E_S1E_jjS1G_bEUljE0_EEESZ_S10_S11_S18_S1C_S1E_T6_T7_T9_mT8_S1G_bDpT10_ENKUlT_T0_E_clISt17integral_constantIbLb1EES1U_EEDaS1P_S1Q_EUlS1P_E_NS1_11comp_targetILNS1_3genE4ELNS1_11target_archE910ELNS1_3gpuE8ELNS1_3repE0EEENS1_30default_config_static_selectorELNS0_4arch9wavefront6targetE1EEEvS12_
		.amdhsa_group_segment_fixed_size 0
		.amdhsa_private_segment_fixed_size 0
		.amdhsa_kernarg_size 184
		.amdhsa_user_sgpr_count 6
		.amdhsa_user_sgpr_private_segment_buffer 1
		.amdhsa_user_sgpr_dispatch_ptr 0
		.amdhsa_user_sgpr_queue_ptr 0
		.amdhsa_user_sgpr_kernarg_segment_ptr 1
		.amdhsa_user_sgpr_dispatch_id 0
		.amdhsa_user_sgpr_flat_scratch_init 0
		.amdhsa_user_sgpr_private_segment_size 0
		.amdhsa_uses_dynamic_stack 0
		.amdhsa_system_sgpr_private_segment_wavefront_offset 0
		.amdhsa_system_sgpr_workgroup_id_x 1
		.amdhsa_system_sgpr_workgroup_id_y 0
		.amdhsa_system_sgpr_workgroup_id_z 0
		.amdhsa_system_sgpr_workgroup_info 0
		.amdhsa_system_vgpr_workitem_id 0
		.amdhsa_next_free_vgpr 1
		.amdhsa_next_free_sgpr 0
		.amdhsa_reserve_vcc 0
		.amdhsa_reserve_flat_scratch 0
		.amdhsa_float_round_mode_32 0
		.amdhsa_float_round_mode_16_64 0
		.amdhsa_float_denorm_mode_32 3
		.amdhsa_float_denorm_mode_16_64 3
		.amdhsa_dx10_clamp 1
		.amdhsa_ieee_mode 1
		.amdhsa_fp16_overflow 0
		.amdhsa_exception_fp_ieee_invalid_op 0
		.amdhsa_exception_fp_denorm_src 0
		.amdhsa_exception_fp_ieee_div_zero 0
		.amdhsa_exception_fp_ieee_overflow 0
		.amdhsa_exception_fp_ieee_underflow 0
		.amdhsa_exception_fp_ieee_inexact 0
		.amdhsa_exception_int_div_zero 0
	.end_amdhsa_kernel
	.section	.text._ZN7rocprim17ROCPRIM_400000_NS6detail17trampoline_kernelINS0_13select_configILj256ELj13ELNS0_17block_load_methodE3ELS4_3ELS4_3ELNS0_20block_scan_algorithmE0ELj4294967295EEENS1_25partition_config_selectorILNS1_17partition_subalgoE4EjNS0_10empty_typeEbEEZZNS1_14partition_implILS8_4ELb0ES6_15HIP_vector_typeIjLj2EENS0_17counting_iteratorIjlEEPS9_SG_NS0_5tupleIJPjSI_NS0_16reverse_iteratorISI_EEEEENSH_IJSG_SG_SG_EEES9_SI_JZNS1_25segmented_radix_sort_implINS0_14default_configELb1EPKsPsPKlPlN2at6native12_GLOBAL__N_18offset_tEEE10hipError_tPvRmT1_PNSt15iterator_traitsIS12_E10value_typeET2_T3_PNS13_IS18_E10value_typeET4_jRbjT5_S1E_jjP12ihipStream_tbEUljE_ZNSN_ISO_Lb1ESQ_SR_ST_SU_SY_EESZ_S10_S11_S12_S16_S17_S18_S1B_S1C_jS1D_jS1E_S1E_jjS1G_bEUljE0_EEESZ_S10_S11_S18_S1C_S1E_T6_T7_T9_mT8_S1G_bDpT10_ENKUlT_T0_E_clISt17integral_constantIbLb1EES1U_EEDaS1P_S1Q_EUlS1P_E_NS1_11comp_targetILNS1_3genE4ELNS1_11target_archE910ELNS1_3gpuE8ELNS1_3repE0EEENS1_30default_config_static_selectorELNS0_4arch9wavefront6targetE1EEEvS12_,"axG",@progbits,_ZN7rocprim17ROCPRIM_400000_NS6detail17trampoline_kernelINS0_13select_configILj256ELj13ELNS0_17block_load_methodE3ELS4_3ELS4_3ELNS0_20block_scan_algorithmE0ELj4294967295EEENS1_25partition_config_selectorILNS1_17partition_subalgoE4EjNS0_10empty_typeEbEEZZNS1_14partition_implILS8_4ELb0ES6_15HIP_vector_typeIjLj2EENS0_17counting_iteratorIjlEEPS9_SG_NS0_5tupleIJPjSI_NS0_16reverse_iteratorISI_EEEEENSH_IJSG_SG_SG_EEES9_SI_JZNS1_25segmented_radix_sort_implINS0_14default_configELb1EPKsPsPKlPlN2at6native12_GLOBAL__N_18offset_tEEE10hipError_tPvRmT1_PNSt15iterator_traitsIS12_E10value_typeET2_T3_PNS13_IS18_E10value_typeET4_jRbjT5_S1E_jjP12ihipStream_tbEUljE_ZNSN_ISO_Lb1ESQ_SR_ST_SU_SY_EESZ_S10_S11_S12_S16_S17_S18_S1B_S1C_jS1D_jS1E_S1E_jjS1G_bEUljE0_EEESZ_S10_S11_S18_S1C_S1E_T6_T7_T9_mT8_S1G_bDpT10_ENKUlT_T0_E_clISt17integral_constantIbLb1EES1U_EEDaS1P_S1Q_EUlS1P_E_NS1_11comp_targetILNS1_3genE4ELNS1_11target_archE910ELNS1_3gpuE8ELNS1_3repE0EEENS1_30default_config_static_selectorELNS0_4arch9wavefront6targetE1EEEvS12_,comdat
.Lfunc_end857:
	.size	_ZN7rocprim17ROCPRIM_400000_NS6detail17trampoline_kernelINS0_13select_configILj256ELj13ELNS0_17block_load_methodE3ELS4_3ELS4_3ELNS0_20block_scan_algorithmE0ELj4294967295EEENS1_25partition_config_selectorILNS1_17partition_subalgoE4EjNS0_10empty_typeEbEEZZNS1_14partition_implILS8_4ELb0ES6_15HIP_vector_typeIjLj2EENS0_17counting_iteratorIjlEEPS9_SG_NS0_5tupleIJPjSI_NS0_16reverse_iteratorISI_EEEEENSH_IJSG_SG_SG_EEES9_SI_JZNS1_25segmented_radix_sort_implINS0_14default_configELb1EPKsPsPKlPlN2at6native12_GLOBAL__N_18offset_tEEE10hipError_tPvRmT1_PNSt15iterator_traitsIS12_E10value_typeET2_T3_PNS13_IS18_E10value_typeET4_jRbjT5_S1E_jjP12ihipStream_tbEUljE_ZNSN_ISO_Lb1ESQ_SR_ST_SU_SY_EESZ_S10_S11_S12_S16_S17_S18_S1B_S1C_jS1D_jS1E_S1E_jjS1G_bEUljE0_EEESZ_S10_S11_S18_S1C_S1E_T6_T7_T9_mT8_S1G_bDpT10_ENKUlT_T0_E_clISt17integral_constantIbLb1EES1U_EEDaS1P_S1Q_EUlS1P_E_NS1_11comp_targetILNS1_3genE4ELNS1_11target_archE910ELNS1_3gpuE8ELNS1_3repE0EEENS1_30default_config_static_selectorELNS0_4arch9wavefront6targetE1EEEvS12_, .Lfunc_end857-_ZN7rocprim17ROCPRIM_400000_NS6detail17trampoline_kernelINS0_13select_configILj256ELj13ELNS0_17block_load_methodE3ELS4_3ELS4_3ELNS0_20block_scan_algorithmE0ELj4294967295EEENS1_25partition_config_selectorILNS1_17partition_subalgoE4EjNS0_10empty_typeEbEEZZNS1_14partition_implILS8_4ELb0ES6_15HIP_vector_typeIjLj2EENS0_17counting_iteratorIjlEEPS9_SG_NS0_5tupleIJPjSI_NS0_16reverse_iteratorISI_EEEEENSH_IJSG_SG_SG_EEES9_SI_JZNS1_25segmented_radix_sort_implINS0_14default_configELb1EPKsPsPKlPlN2at6native12_GLOBAL__N_18offset_tEEE10hipError_tPvRmT1_PNSt15iterator_traitsIS12_E10value_typeET2_T3_PNS13_IS18_E10value_typeET4_jRbjT5_S1E_jjP12ihipStream_tbEUljE_ZNSN_ISO_Lb1ESQ_SR_ST_SU_SY_EESZ_S10_S11_S12_S16_S17_S18_S1B_S1C_jS1D_jS1E_S1E_jjS1G_bEUljE0_EEESZ_S10_S11_S18_S1C_S1E_T6_T7_T9_mT8_S1G_bDpT10_ENKUlT_T0_E_clISt17integral_constantIbLb1EES1U_EEDaS1P_S1Q_EUlS1P_E_NS1_11comp_targetILNS1_3genE4ELNS1_11target_archE910ELNS1_3gpuE8ELNS1_3repE0EEENS1_30default_config_static_selectorELNS0_4arch9wavefront6targetE1EEEvS12_
                                        ; -- End function
	.set _ZN7rocprim17ROCPRIM_400000_NS6detail17trampoline_kernelINS0_13select_configILj256ELj13ELNS0_17block_load_methodE3ELS4_3ELS4_3ELNS0_20block_scan_algorithmE0ELj4294967295EEENS1_25partition_config_selectorILNS1_17partition_subalgoE4EjNS0_10empty_typeEbEEZZNS1_14partition_implILS8_4ELb0ES6_15HIP_vector_typeIjLj2EENS0_17counting_iteratorIjlEEPS9_SG_NS0_5tupleIJPjSI_NS0_16reverse_iteratorISI_EEEEENSH_IJSG_SG_SG_EEES9_SI_JZNS1_25segmented_radix_sort_implINS0_14default_configELb1EPKsPsPKlPlN2at6native12_GLOBAL__N_18offset_tEEE10hipError_tPvRmT1_PNSt15iterator_traitsIS12_E10value_typeET2_T3_PNS13_IS18_E10value_typeET4_jRbjT5_S1E_jjP12ihipStream_tbEUljE_ZNSN_ISO_Lb1ESQ_SR_ST_SU_SY_EESZ_S10_S11_S12_S16_S17_S18_S1B_S1C_jS1D_jS1E_S1E_jjS1G_bEUljE0_EEESZ_S10_S11_S18_S1C_S1E_T6_T7_T9_mT8_S1G_bDpT10_ENKUlT_T0_E_clISt17integral_constantIbLb1EES1U_EEDaS1P_S1Q_EUlS1P_E_NS1_11comp_targetILNS1_3genE4ELNS1_11target_archE910ELNS1_3gpuE8ELNS1_3repE0EEENS1_30default_config_static_selectorELNS0_4arch9wavefront6targetE1EEEvS12_.num_vgpr, 0
	.set _ZN7rocprim17ROCPRIM_400000_NS6detail17trampoline_kernelINS0_13select_configILj256ELj13ELNS0_17block_load_methodE3ELS4_3ELS4_3ELNS0_20block_scan_algorithmE0ELj4294967295EEENS1_25partition_config_selectorILNS1_17partition_subalgoE4EjNS0_10empty_typeEbEEZZNS1_14partition_implILS8_4ELb0ES6_15HIP_vector_typeIjLj2EENS0_17counting_iteratorIjlEEPS9_SG_NS0_5tupleIJPjSI_NS0_16reverse_iteratorISI_EEEEENSH_IJSG_SG_SG_EEES9_SI_JZNS1_25segmented_radix_sort_implINS0_14default_configELb1EPKsPsPKlPlN2at6native12_GLOBAL__N_18offset_tEEE10hipError_tPvRmT1_PNSt15iterator_traitsIS12_E10value_typeET2_T3_PNS13_IS18_E10value_typeET4_jRbjT5_S1E_jjP12ihipStream_tbEUljE_ZNSN_ISO_Lb1ESQ_SR_ST_SU_SY_EESZ_S10_S11_S12_S16_S17_S18_S1B_S1C_jS1D_jS1E_S1E_jjS1G_bEUljE0_EEESZ_S10_S11_S18_S1C_S1E_T6_T7_T9_mT8_S1G_bDpT10_ENKUlT_T0_E_clISt17integral_constantIbLb1EES1U_EEDaS1P_S1Q_EUlS1P_E_NS1_11comp_targetILNS1_3genE4ELNS1_11target_archE910ELNS1_3gpuE8ELNS1_3repE0EEENS1_30default_config_static_selectorELNS0_4arch9wavefront6targetE1EEEvS12_.num_agpr, 0
	.set _ZN7rocprim17ROCPRIM_400000_NS6detail17trampoline_kernelINS0_13select_configILj256ELj13ELNS0_17block_load_methodE3ELS4_3ELS4_3ELNS0_20block_scan_algorithmE0ELj4294967295EEENS1_25partition_config_selectorILNS1_17partition_subalgoE4EjNS0_10empty_typeEbEEZZNS1_14partition_implILS8_4ELb0ES6_15HIP_vector_typeIjLj2EENS0_17counting_iteratorIjlEEPS9_SG_NS0_5tupleIJPjSI_NS0_16reverse_iteratorISI_EEEEENSH_IJSG_SG_SG_EEES9_SI_JZNS1_25segmented_radix_sort_implINS0_14default_configELb1EPKsPsPKlPlN2at6native12_GLOBAL__N_18offset_tEEE10hipError_tPvRmT1_PNSt15iterator_traitsIS12_E10value_typeET2_T3_PNS13_IS18_E10value_typeET4_jRbjT5_S1E_jjP12ihipStream_tbEUljE_ZNSN_ISO_Lb1ESQ_SR_ST_SU_SY_EESZ_S10_S11_S12_S16_S17_S18_S1B_S1C_jS1D_jS1E_S1E_jjS1G_bEUljE0_EEESZ_S10_S11_S18_S1C_S1E_T6_T7_T9_mT8_S1G_bDpT10_ENKUlT_T0_E_clISt17integral_constantIbLb1EES1U_EEDaS1P_S1Q_EUlS1P_E_NS1_11comp_targetILNS1_3genE4ELNS1_11target_archE910ELNS1_3gpuE8ELNS1_3repE0EEENS1_30default_config_static_selectorELNS0_4arch9wavefront6targetE1EEEvS12_.numbered_sgpr, 0
	.set _ZN7rocprim17ROCPRIM_400000_NS6detail17trampoline_kernelINS0_13select_configILj256ELj13ELNS0_17block_load_methodE3ELS4_3ELS4_3ELNS0_20block_scan_algorithmE0ELj4294967295EEENS1_25partition_config_selectorILNS1_17partition_subalgoE4EjNS0_10empty_typeEbEEZZNS1_14partition_implILS8_4ELb0ES6_15HIP_vector_typeIjLj2EENS0_17counting_iteratorIjlEEPS9_SG_NS0_5tupleIJPjSI_NS0_16reverse_iteratorISI_EEEEENSH_IJSG_SG_SG_EEES9_SI_JZNS1_25segmented_radix_sort_implINS0_14default_configELb1EPKsPsPKlPlN2at6native12_GLOBAL__N_18offset_tEEE10hipError_tPvRmT1_PNSt15iterator_traitsIS12_E10value_typeET2_T3_PNS13_IS18_E10value_typeET4_jRbjT5_S1E_jjP12ihipStream_tbEUljE_ZNSN_ISO_Lb1ESQ_SR_ST_SU_SY_EESZ_S10_S11_S12_S16_S17_S18_S1B_S1C_jS1D_jS1E_S1E_jjS1G_bEUljE0_EEESZ_S10_S11_S18_S1C_S1E_T6_T7_T9_mT8_S1G_bDpT10_ENKUlT_T0_E_clISt17integral_constantIbLb1EES1U_EEDaS1P_S1Q_EUlS1P_E_NS1_11comp_targetILNS1_3genE4ELNS1_11target_archE910ELNS1_3gpuE8ELNS1_3repE0EEENS1_30default_config_static_selectorELNS0_4arch9wavefront6targetE1EEEvS12_.num_named_barrier, 0
	.set _ZN7rocprim17ROCPRIM_400000_NS6detail17trampoline_kernelINS0_13select_configILj256ELj13ELNS0_17block_load_methodE3ELS4_3ELS4_3ELNS0_20block_scan_algorithmE0ELj4294967295EEENS1_25partition_config_selectorILNS1_17partition_subalgoE4EjNS0_10empty_typeEbEEZZNS1_14partition_implILS8_4ELb0ES6_15HIP_vector_typeIjLj2EENS0_17counting_iteratorIjlEEPS9_SG_NS0_5tupleIJPjSI_NS0_16reverse_iteratorISI_EEEEENSH_IJSG_SG_SG_EEES9_SI_JZNS1_25segmented_radix_sort_implINS0_14default_configELb1EPKsPsPKlPlN2at6native12_GLOBAL__N_18offset_tEEE10hipError_tPvRmT1_PNSt15iterator_traitsIS12_E10value_typeET2_T3_PNS13_IS18_E10value_typeET4_jRbjT5_S1E_jjP12ihipStream_tbEUljE_ZNSN_ISO_Lb1ESQ_SR_ST_SU_SY_EESZ_S10_S11_S12_S16_S17_S18_S1B_S1C_jS1D_jS1E_S1E_jjS1G_bEUljE0_EEESZ_S10_S11_S18_S1C_S1E_T6_T7_T9_mT8_S1G_bDpT10_ENKUlT_T0_E_clISt17integral_constantIbLb1EES1U_EEDaS1P_S1Q_EUlS1P_E_NS1_11comp_targetILNS1_3genE4ELNS1_11target_archE910ELNS1_3gpuE8ELNS1_3repE0EEENS1_30default_config_static_selectorELNS0_4arch9wavefront6targetE1EEEvS12_.private_seg_size, 0
	.set _ZN7rocprim17ROCPRIM_400000_NS6detail17trampoline_kernelINS0_13select_configILj256ELj13ELNS0_17block_load_methodE3ELS4_3ELS4_3ELNS0_20block_scan_algorithmE0ELj4294967295EEENS1_25partition_config_selectorILNS1_17partition_subalgoE4EjNS0_10empty_typeEbEEZZNS1_14partition_implILS8_4ELb0ES6_15HIP_vector_typeIjLj2EENS0_17counting_iteratorIjlEEPS9_SG_NS0_5tupleIJPjSI_NS0_16reverse_iteratorISI_EEEEENSH_IJSG_SG_SG_EEES9_SI_JZNS1_25segmented_radix_sort_implINS0_14default_configELb1EPKsPsPKlPlN2at6native12_GLOBAL__N_18offset_tEEE10hipError_tPvRmT1_PNSt15iterator_traitsIS12_E10value_typeET2_T3_PNS13_IS18_E10value_typeET4_jRbjT5_S1E_jjP12ihipStream_tbEUljE_ZNSN_ISO_Lb1ESQ_SR_ST_SU_SY_EESZ_S10_S11_S12_S16_S17_S18_S1B_S1C_jS1D_jS1E_S1E_jjS1G_bEUljE0_EEESZ_S10_S11_S18_S1C_S1E_T6_T7_T9_mT8_S1G_bDpT10_ENKUlT_T0_E_clISt17integral_constantIbLb1EES1U_EEDaS1P_S1Q_EUlS1P_E_NS1_11comp_targetILNS1_3genE4ELNS1_11target_archE910ELNS1_3gpuE8ELNS1_3repE0EEENS1_30default_config_static_selectorELNS0_4arch9wavefront6targetE1EEEvS12_.uses_vcc, 0
	.set _ZN7rocprim17ROCPRIM_400000_NS6detail17trampoline_kernelINS0_13select_configILj256ELj13ELNS0_17block_load_methodE3ELS4_3ELS4_3ELNS0_20block_scan_algorithmE0ELj4294967295EEENS1_25partition_config_selectorILNS1_17partition_subalgoE4EjNS0_10empty_typeEbEEZZNS1_14partition_implILS8_4ELb0ES6_15HIP_vector_typeIjLj2EENS0_17counting_iteratorIjlEEPS9_SG_NS0_5tupleIJPjSI_NS0_16reverse_iteratorISI_EEEEENSH_IJSG_SG_SG_EEES9_SI_JZNS1_25segmented_radix_sort_implINS0_14default_configELb1EPKsPsPKlPlN2at6native12_GLOBAL__N_18offset_tEEE10hipError_tPvRmT1_PNSt15iterator_traitsIS12_E10value_typeET2_T3_PNS13_IS18_E10value_typeET4_jRbjT5_S1E_jjP12ihipStream_tbEUljE_ZNSN_ISO_Lb1ESQ_SR_ST_SU_SY_EESZ_S10_S11_S12_S16_S17_S18_S1B_S1C_jS1D_jS1E_S1E_jjS1G_bEUljE0_EEESZ_S10_S11_S18_S1C_S1E_T6_T7_T9_mT8_S1G_bDpT10_ENKUlT_T0_E_clISt17integral_constantIbLb1EES1U_EEDaS1P_S1Q_EUlS1P_E_NS1_11comp_targetILNS1_3genE4ELNS1_11target_archE910ELNS1_3gpuE8ELNS1_3repE0EEENS1_30default_config_static_selectorELNS0_4arch9wavefront6targetE1EEEvS12_.uses_flat_scratch, 0
	.set _ZN7rocprim17ROCPRIM_400000_NS6detail17trampoline_kernelINS0_13select_configILj256ELj13ELNS0_17block_load_methodE3ELS4_3ELS4_3ELNS0_20block_scan_algorithmE0ELj4294967295EEENS1_25partition_config_selectorILNS1_17partition_subalgoE4EjNS0_10empty_typeEbEEZZNS1_14partition_implILS8_4ELb0ES6_15HIP_vector_typeIjLj2EENS0_17counting_iteratorIjlEEPS9_SG_NS0_5tupleIJPjSI_NS0_16reverse_iteratorISI_EEEEENSH_IJSG_SG_SG_EEES9_SI_JZNS1_25segmented_radix_sort_implINS0_14default_configELb1EPKsPsPKlPlN2at6native12_GLOBAL__N_18offset_tEEE10hipError_tPvRmT1_PNSt15iterator_traitsIS12_E10value_typeET2_T3_PNS13_IS18_E10value_typeET4_jRbjT5_S1E_jjP12ihipStream_tbEUljE_ZNSN_ISO_Lb1ESQ_SR_ST_SU_SY_EESZ_S10_S11_S12_S16_S17_S18_S1B_S1C_jS1D_jS1E_S1E_jjS1G_bEUljE0_EEESZ_S10_S11_S18_S1C_S1E_T6_T7_T9_mT8_S1G_bDpT10_ENKUlT_T0_E_clISt17integral_constantIbLb1EES1U_EEDaS1P_S1Q_EUlS1P_E_NS1_11comp_targetILNS1_3genE4ELNS1_11target_archE910ELNS1_3gpuE8ELNS1_3repE0EEENS1_30default_config_static_selectorELNS0_4arch9wavefront6targetE1EEEvS12_.has_dyn_sized_stack, 0
	.set _ZN7rocprim17ROCPRIM_400000_NS6detail17trampoline_kernelINS0_13select_configILj256ELj13ELNS0_17block_load_methodE3ELS4_3ELS4_3ELNS0_20block_scan_algorithmE0ELj4294967295EEENS1_25partition_config_selectorILNS1_17partition_subalgoE4EjNS0_10empty_typeEbEEZZNS1_14partition_implILS8_4ELb0ES6_15HIP_vector_typeIjLj2EENS0_17counting_iteratorIjlEEPS9_SG_NS0_5tupleIJPjSI_NS0_16reverse_iteratorISI_EEEEENSH_IJSG_SG_SG_EEES9_SI_JZNS1_25segmented_radix_sort_implINS0_14default_configELb1EPKsPsPKlPlN2at6native12_GLOBAL__N_18offset_tEEE10hipError_tPvRmT1_PNSt15iterator_traitsIS12_E10value_typeET2_T3_PNS13_IS18_E10value_typeET4_jRbjT5_S1E_jjP12ihipStream_tbEUljE_ZNSN_ISO_Lb1ESQ_SR_ST_SU_SY_EESZ_S10_S11_S12_S16_S17_S18_S1B_S1C_jS1D_jS1E_S1E_jjS1G_bEUljE0_EEESZ_S10_S11_S18_S1C_S1E_T6_T7_T9_mT8_S1G_bDpT10_ENKUlT_T0_E_clISt17integral_constantIbLb1EES1U_EEDaS1P_S1Q_EUlS1P_E_NS1_11comp_targetILNS1_3genE4ELNS1_11target_archE910ELNS1_3gpuE8ELNS1_3repE0EEENS1_30default_config_static_selectorELNS0_4arch9wavefront6targetE1EEEvS12_.has_recursion, 0
	.set _ZN7rocprim17ROCPRIM_400000_NS6detail17trampoline_kernelINS0_13select_configILj256ELj13ELNS0_17block_load_methodE3ELS4_3ELS4_3ELNS0_20block_scan_algorithmE0ELj4294967295EEENS1_25partition_config_selectorILNS1_17partition_subalgoE4EjNS0_10empty_typeEbEEZZNS1_14partition_implILS8_4ELb0ES6_15HIP_vector_typeIjLj2EENS0_17counting_iteratorIjlEEPS9_SG_NS0_5tupleIJPjSI_NS0_16reverse_iteratorISI_EEEEENSH_IJSG_SG_SG_EEES9_SI_JZNS1_25segmented_radix_sort_implINS0_14default_configELb1EPKsPsPKlPlN2at6native12_GLOBAL__N_18offset_tEEE10hipError_tPvRmT1_PNSt15iterator_traitsIS12_E10value_typeET2_T3_PNS13_IS18_E10value_typeET4_jRbjT5_S1E_jjP12ihipStream_tbEUljE_ZNSN_ISO_Lb1ESQ_SR_ST_SU_SY_EESZ_S10_S11_S12_S16_S17_S18_S1B_S1C_jS1D_jS1E_S1E_jjS1G_bEUljE0_EEESZ_S10_S11_S18_S1C_S1E_T6_T7_T9_mT8_S1G_bDpT10_ENKUlT_T0_E_clISt17integral_constantIbLb1EES1U_EEDaS1P_S1Q_EUlS1P_E_NS1_11comp_targetILNS1_3genE4ELNS1_11target_archE910ELNS1_3gpuE8ELNS1_3repE0EEENS1_30default_config_static_selectorELNS0_4arch9wavefront6targetE1EEEvS12_.has_indirect_call, 0
	.section	.AMDGPU.csdata,"",@progbits
; Kernel info:
; codeLenInByte = 0
; TotalNumSgprs: 4
; NumVgprs: 0
; ScratchSize: 0
; MemoryBound: 0
; FloatMode: 240
; IeeeMode: 1
; LDSByteSize: 0 bytes/workgroup (compile time only)
; SGPRBlocks: 0
; VGPRBlocks: 0
; NumSGPRsForWavesPerEU: 4
; NumVGPRsForWavesPerEU: 1
; Occupancy: 10
; WaveLimiterHint : 0
; COMPUTE_PGM_RSRC2:SCRATCH_EN: 0
; COMPUTE_PGM_RSRC2:USER_SGPR: 6
; COMPUTE_PGM_RSRC2:TRAP_HANDLER: 0
; COMPUTE_PGM_RSRC2:TGID_X_EN: 1
; COMPUTE_PGM_RSRC2:TGID_Y_EN: 0
; COMPUTE_PGM_RSRC2:TGID_Z_EN: 0
; COMPUTE_PGM_RSRC2:TIDIG_COMP_CNT: 0
	.section	.text._ZN7rocprim17ROCPRIM_400000_NS6detail17trampoline_kernelINS0_13select_configILj256ELj13ELNS0_17block_load_methodE3ELS4_3ELS4_3ELNS0_20block_scan_algorithmE0ELj4294967295EEENS1_25partition_config_selectorILNS1_17partition_subalgoE4EjNS0_10empty_typeEbEEZZNS1_14partition_implILS8_4ELb0ES6_15HIP_vector_typeIjLj2EENS0_17counting_iteratorIjlEEPS9_SG_NS0_5tupleIJPjSI_NS0_16reverse_iteratorISI_EEEEENSH_IJSG_SG_SG_EEES9_SI_JZNS1_25segmented_radix_sort_implINS0_14default_configELb1EPKsPsPKlPlN2at6native12_GLOBAL__N_18offset_tEEE10hipError_tPvRmT1_PNSt15iterator_traitsIS12_E10value_typeET2_T3_PNS13_IS18_E10value_typeET4_jRbjT5_S1E_jjP12ihipStream_tbEUljE_ZNSN_ISO_Lb1ESQ_SR_ST_SU_SY_EESZ_S10_S11_S12_S16_S17_S18_S1B_S1C_jS1D_jS1E_S1E_jjS1G_bEUljE0_EEESZ_S10_S11_S18_S1C_S1E_T6_T7_T9_mT8_S1G_bDpT10_ENKUlT_T0_E_clISt17integral_constantIbLb1EES1U_EEDaS1P_S1Q_EUlS1P_E_NS1_11comp_targetILNS1_3genE3ELNS1_11target_archE908ELNS1_3gpuE7ELNS1_3repE0EEENS1_30default_config_static_selectorELNS0_4arch9wavefront6targetE1EEEvS12_,"axG",@progbits,_ZN7rocprim17ROCPRIM_400000_NS6detail17trampoline_kernelINS0_13select_configILj256ELj13ELNS0_17block_load_methodE3ELS4_3ELS4_3ELNS0_20block_scan_algorithmE0ELj4294967295EEENS1_25partition_config_selectorILNS1_17partition_subalgoE4EjNS0_10empty_typeEbEEZZNS1_14partition_implILS8_4ELb0ES6_15HIP_vector_typeIjLj2EENS0_17counting_iteratorIjlEEPS9_SG_NS0_5tupleIJPjSI_NS0_16reverse_iteratorISI_EEEEENSH_IJSG_SG_SG_EEES9_SI_JZNS1_25segmented_radix_sort_implINS0_14default_configELb1EPKsPsPKlPlN2at6native12_GLOBAL__N_18offset_tEEE10hipError_tPvRmT1_PNSt15iterator_traitsIS12_E10value_typeET2_T3_PNS13_IS18_E10value_typeET4_jRbjT5_S1E_jjP12ihipStream_tbEUljE_ZNSN_ISO_Lb1ESQ_SR_ST_SU_SY_EESZ_S10_S11_S12_S16_S17_S18_S1B_S1C_jS1D_jS1E_S1E_jjS1G_bEUljE0_EEESZ_S10_S11_S18_S1C_S1E_T6_T7_T9_mT8_S1G_bDpT10_ENKUlT_T0_E_clISt17integral_constantIbLb1EES1U_EEDaS1P_S1Q_EUlS1P_E_NS1_11comp_targetILNS1_3genE3ELNS1_11target_archE908ELNS1_3gpuE7ELNS1_3repE0EEENS1_30default_config_static_selectorELNS0_4arch9wavefront6targetE1EEEvS12_,comdat
	.globl	_ZN7rocprim17ROCPRIM_400000_NS6detail17trampoline_kernelINS0_13select_configILj256ELj13ELNS0_17block_load_methodE3ELS4_3ELS4_3ELNS0_20block_scan_algorithmE0ELj4294967295EEENS1_25partition_config_selectorILNS1_17partition_subalgoE4EjNS0_10empty_typeEbEEZZNS1_14partition_implILS8_4ELb0ES6_15HIP_vector_typeIjLj2EENS0_17counting_iteratorIjlEEPS9_SG_NS0_5tupleIJPjSI_NS0_16reverse_iteratorISI_EEEEENSH_IJSG_SG_SG_EEES9_SI_JZNS1_25segmented_radix_sort_implINS0_14default_configELb1EPKsPsPKlPlN2at6native12_GLOBAL__N_18offset_tEEE10hipError_tPvRmT1_PNSt15iterator_traitsIS12_E10value_typeET2_T3_PNS13_IS18_E10value_typeET4_jRbjT5_S1E_jjP12ihipStream_tbEUljE_ZNSN_ISO_Lb1ESQ_SR_ST_SU_SY_EESZ_S10_S11_S12_S16_S17_S18_S1B_S1C_jS1D_jS1E_S1E_jjS1G_bEUljE0_EEESZ_S10_S11_S18_S1C_S1E_T6_T7_T9_mT8_S1G_bDpT10_ENKUlT_T0_E_clISt17integral_constantIbLb1EES1U_EEDaS1P_S1Q_EUlS1P_E_NS1_11comp_targetILNS1_3genE3ELNS1_11target_archE908ELNS1_3gpuE7ELNS1_3repE0EEENS1_30default_config_static_selectorELNS0_4arch9wavefront6targetE1EEEvS12_ ; -- Begin function _ZN7rocprim17ROCPRIM_400000_NS6detail17trampoline_kernelINS0_13select_configILj256ELj13ELNS0_17block_load_methodE3ELS4_3ELS4_3ELNS0_20block_scan_algorithmE0ELj4294967295EEENS1_25partition_config_selectorILNS1_17partition_subalgoE4EjNS0_10empty_typeEbEEZZNS1_14partition_implILS8_4ELb0ES6_15HIP_vector_typeIjLj2EENS0_17counting_iteratorIjlEEPS9_SG_NS0_5tupleIJPjSI_NS0_16reverse_iteratorISI_EEEEENSH_IJSG_SG_SG_EEES9_SI_JZNS1_25segmented_radix_sort_implINS0_14default_configELb1EPKsPsPKlPlN2at6native12_GLOBAL__N_18offset_tEEE10hipError_tPvRmT1_PNSt15iterator_traitsIS12_E10value_typeET2_T3_PNS13_IS18_E10value_typeET4_jRbjT5_S1E_jjP12ihipStream_tbEUljE_ZNSN_ISO_Lb1ESQ_SR_ST_SU_SY_EESZ_S10_S11_S12_S16_S17_S18_S1B_S1C_jS1D_jS1E_S1E_jjS1G_bEUljE0_EEESZ_S10_S11_S18_S1C_S1E_T6_T7_T9_mT8_S1G_bDpT10_ENKUlT_T0_E_clISt17integral_constantIbLb1EES1U_EEDaS1P_S1Q_EUlS1P_E_NS1_11comp_targetILNS1_3genE3ELNS1_11target_archE908ELNS1_3gpuE7ELNS1_3repE0EEENS1_30default_config_static_selectorELNS0_4arch9wavefront6targetE1EEEvS12_
	.p2align	8
	.type	_ZN7rocprim17ROCPRIM_400000_NS6detail17trampoline_kernelINS0_13select_configILj256ELj13ELNS0_17block_load_methodE3ELS4_3ELS4_3ELNS0_20block_scan_algorithmE0ELj4294967295EEENS1_25partition_config_selectorILNS1_17partition_subalgoE4EjNS0_10empty_typeEbEEZZNS1_14partition_implILS8_4ELb0ES6_15HIP_vector_typeIjLj2EENS0_17counting_iteratorIjlEEPS9_SG_NS0_5tupleIJPjSI_NS0_16reverse_iteratorISI_EEEEENSH_IJSG_SG_SG_EEES9_SI_JZNS1_25segmented_radix_sort_implINS0_14default_configELb1EPKsPsPKlPlN2at6native12_GLOBAL__N_18offset_tEEE10hipError_tPvRmT1_PNSt15iterator_traitsIS12_E10value_typeET2_T3_PNS13_IS18_E10value_typeET4_jRbjT5_S1E_jjP12ihipStream_tbEUljE_ZNSN_ISO_Lb1ESQ_SR_ST_SU_SY_EESZ_S10_S11_S12_S16_S17_S18_S1B_S1C_jS1D_jS1E_S1E_jjS1G_bEUljE0_EEESZ_S10_S11_S18_S1C_S1E_T6_T7_T9_mT8_S1G_bDpT10_ENKUlT_T0_E_clISt17integral_constantIbLb1EES1U_EEDaS1P_S1Q_EUlS1P_E_NS1_11comp_targetILNS1_3genE3ELNS1_11target_archE908ELNS1_3gpuE7ELNS1_3repE0EEENS1_30default_config_static_selectorELNS0_4arch9wavefront6targetE1EEEvS12_,@function
_ZN7rocprim17ROCPRIM_400000_NS6detail17trampoline_kernelINS0_13select_configILj256ELj13ELNS0_17block_load_methodE3ELS4_3ELS4_3ELNS0_20block_scan_algorithmE0ELj4294967295EEENS1_25partition_config_selectorILNS1_17partition_subalgoE4EjNS0_10empty_typeEbEEZZNS1_14partition_implILS8_4ELb0ES6_15HIP_vector_typeIjLj2EENS0_17counting_iteratorIjlEEPS9_SG_NS0_5tupleIJPjSI_NS0_16reverse_iteratorISI_EEEEENSH_IJSG_SG_SG_EEES9_SI_JZNS1_25segmented_radix_sort_implINS0_14default_configELb1EPKsPsPKlPlN2at6native12_GLOBAL__N_18offset_tEEE10hipError_tPvRmT1_PNSt15iterator_traitsIS12_E10value_typeET2_T3_PNS13_IS18_E10value_typeET4_jRbjT5_S1E_jjP12ihipStream_tbEUljE_ZNSN_ISO_Lb1ESQ_SR_ST_SU_SY_EESZ_S10_S11_S12_S16_S17_S18_S1B_S1C_jS1D_jS1E_S1E_jjS1G_bEUljE0_EEESZ_S10_S11_S18_S1C_S1E_T6_T7_T9_mT8_S1G_bDpT10_ENKUlT_T0_E_clISt17integral_constantIbLb1EES1U_EEDaS1P_S1Q_EUlS1P_E_NS1_11comp_targetILNS1_3genE3ELNS1_11target_archE908ELNS1_3gpuE7ELNS1_3repE0EEENS1_30default_config_static_selectorELNS0_4arch9wavefront6targetE1EEEvS12_: ; @_ZN7rocprim17ROCPRIM_400000_NS6detail17trampoline_kernelINS0_13select_configILj256ELj13ELNS0_17block_load_methodE3ELS4_3ELS4_3ELNS0_20block_scan_algorithmE0ELj4294967295EEENS1_25partition_config_selectorILNS1_17partition_subalgoE4EjNS0_10empty_typeEbEEZZNS1_14partition_implILS8_4ELb0ES6_15HIP_vector_typeIjLj2EENS0_17counting_iteratorIjlEEPS9_SG_NS0_5tupleIJPjSI_NS0_16reverse_iteratorISI_EEEEENSH_IJSG_SG_SG_EEES9_SI_JZNS1_25segmented_radix_sort_implINS0_14default_configELb1EPKsPsPKlPlN2at6native12_GLOBAL__N_18offset_tEEE10hipError_tPvRmT1_PNSt15iterator_traitsIS12_E10value_typeET2_T3_PNS13_IS18_E10value_typeET4_jRbjT5_S1E_jjP12ihipStream_tbEUljE_ZNSN_ISO_Lb1ESQ_SR_ST_SU_SY_EESZ_S10_S11_S12_S16_S17_S18_S1B_S1C_jS1D_jS1E_S1E_jjS1G_bEUljE0_EEESZ_S10_S11_S18_S1C_S1E_T6_T7_T9_mT8_S1G_bDpT10_ENKUlT_T0_E_clISt17integral_constantIbLb1EES1U_EEDaS1P_S1Q_EUlS1P_E_NS1_11comp_targetILNS1_3genE3ELNS1_11target_archE908ELNS1_3gpuE7ELNS1_3repE0EEENS1_30default_config_static_selectorELNS0_4arch9wavefront6targetE1EEEvS12_
; %bb.0:
	.section	.rodata,"a",@progbits
	.p2align	6, 0x0
	.amdhsa_kernel _ZN7rocprim17ROCPRIM_400000_NS6detail17trampoline_kernelINS0_13select_configILj256ELj13ELNS0_17block_load_methodE3ELS4_3ELS4_3ELNS0_20block_scan_algorithmE0ELj4294967295EEENS1_25partition_config_selectorILNS1_17partition_subalgoE4EjNS0_10empty_typeEbEEZZNS1_14partition_implILS8_4ELb0ES6_15HIP_vector_typeIjLj2EENS0_17counting_iteratorIjlEEPS9_SG_NS0_5tupleIJPjSI_NS0_16reverse_iteratorISI_EEEEENSH_IJSG_SG_SG_EEES9_SI_JZNS1_25segmented_radix_sort_implINS0_14default_configELb1EPKsPsPKlPlN2at6native12_GLOBAL__N_18offset_tEEE10hipError_tPvRmT1_PNSt15iterator_traitsIS12_E10value_typeET2_T3_PNS13_IS18_E10value_typeET4_jRbjT5_S1E_jjP12ihipStream_tbEUljE_ZNSN_ISO_Lb1ESQ_SR_ST_SU_SY_EESZ_S10_S11_S12_S16_S17_S18_S1B_S1C_jS1D_jS1E_S1E_jjS1G_bEUljE0_EEESZ_S10_S11_S18_S1C_S1E_T6_T7_T9_mT8_S1G_bDpT10_ENKUlT_T0_E_clISt17integral_constantIbLb1EES1U_EEDaS1P_S1Q_EUlS1P_E_NS1_11comp_targetILNS1_3genE3ELNS1_11target_archE908ELNS1_3gpuE7ELNS1_3repE0EEENS1_30default_config_static_selectorELNS0_4arch9wavefront6targetE1EEEvS12_
		.amdhsa_group_segment_fixed_size 0
		.amdhsa_private_segment_fixed_size 0
		.amdhsa_kernarg_size 184
		.amdhsa_user_sgpr_count 6
		.amdhsa_user_sgpr_private_segment_buffer 1
		.amdhsa_user_sgpr_dispatch_ptr 0
		.amdhsa_user_sgpr_queue_ptr 0
		.amdhsa_user_sgpr_kernarg_segment_ptr 1
		.amdhsa_user_sgpr_dispatch_id 0
		.amdhsa_user_sgpr_flat_scratch_init 0
		.amdhsa_user_sgpr_private_segment_size 0
		.amdhsa_uses_dynamic_stack 0
		.amdhsa_system_sgpr_private_segment_wavefront_offset 0
		.amdhsa_system_sgpr_workgroup_id_x 1
		.amdhsa_system_sgpr_workgroup_id_y 0
		.amdhsa_system_sgpr_workgroup_id_z 0
		.amdhsa_system_sgpr_workgroup_info 0
		.amdhsa_system_vgpr_workitem_id 0
		.amdhsa_next_free_vgpr 1
		.amdhsa_next_free_sgpr 0
		.amdhsa_reserve_vcc 0
		.amdhsa_reserve_flat_scratch 0
		.amdhsa_float_round_mode_32 0
		.amdhsa_float_round_mode_16_64 0
		.amdhsa_float_denorm_mode_32 3
		.amdhsa_float_denorm_mode_16_64 3
		.amdhsa_dx10_clamp 1
		.amdhsa_ieee_mode 1
		.amdhsa_fp16_overflow 0
		.amdhsa_exception_fp_ieee_invalid_op 0
		.amdhsa_exception_fp_denorm_src 0
		.amdhsa_exception_fp_ieee_div_zero 0
		.amdhsa_exception_fp_ieee_overflow 0
		.amdhsa_exception_fp_ieee_underflow 0
		.amdhsa_exception_fp_ieee_inexact 0
		.amdhsa_exception_int_div_zero 0
	.end_amdhsa_kernel
	.section	.text._ZN7rocprim17ROCPRIM_400000_NS6detail17trampoline_kernelINS0_13select_configILj256ELj13ELNS0_17block_load_methodE3ELS4_3ELS4_3ELNS0_20block_scan_algorithmE0ELj4294967295EEENS1_25partition_config_selectorILNS1_17partition_subalgoE4EjNS0_10empty_typeEbEEZZNS1_14partition_implILS8_4ELb0ES6_15HIP_vector_typeIjLj2EENS0_17counting_iteratorIjlEEPS9_SG_NS0_5tupleIJPjSI_NS0_16reverse_iteratorISI_EEEEENSH_IJSG_SG_SG_EEES9_SI_JZNS1_25segmented_radix_sort_implINS0_14default_configELb1EPKsPsPKlPlN2at6native12_GLOBAL__N_18offset_tEEE10hipError_tPvRmT1_PNSt15iterator_traitsIS12_E10value_typeET2_T3_PNS13_IS18_E10value_typeET4_jRbjT5_S1E_jjP12ihipStream_tbEUljE_ZNSN_ISO_Lb1ESQ_SR_ST_SU_SY_EESZ_S10_S11_S12_S16_S17_S18_S1B_S1C_jS1D_jS1E_S1E_jjS1G_bEUljE0_EEESZ_S10_S11_S18_S1C_S1E_T6_T7_T9_mT8_S1G_bDpT10_ENKUlT_T0_E_clISt17integral_constantIbLb1EES1U_EEDaS1P_S1Q_EUlS1P_E_NS1_11comp_targetILNS1_3genE3ELNS1_11target_archE908ELNS1_3gpuE7ELNS1_3repE0EEENS1_30default_config_static_selectorELNS0_4arch9wavefront6targetE1EEEvS12_,"axG",@progbits,_ZN7rocprim17ROCPRIM_400000_NS6detail17trampoline_kernelINS0_13select_configILj256ELj13ELNS0_17block_load_methodE3ELS4_3ELS4_3ELNS0_20block_scan_algorithmE0ELj4294967295EEENS1_25partition_config_selectorILNS1_17partition_subalgoE4EjNS0_10empty_typeEbEEZZNS1_14partition_implILS8_4ELb0ES6_15HIP_vector_typeIjLj2EENS0_17counting_iteratorIjlEEPS9_SG_NS0_5tupleIJPjSI_NS0_16reverse_iteratorISI_EEEEENSH_IJSG_SG_SG_EEES9_SI_JZNS1_25segmented_radix_sort_implINS0_14default_configELb1EPKsPsPKlPlN2at6native12_GLOBAL__N_18offset_tEEE10hipError_tPvRmT1_PNSt15iterator_traitsIS12_E10value_typeET2_T3_PNS13_IS18_E10value_typeET4_jRbjT5_S1E_jjP12ihipStream_tbEUljE_ZNSN_ISO_Lb1ESQ_SR_ST_SU_SY_EESZ_S10_S11_S12_S16_S17_S18_S1B_S1C_jS1D_jS1E_S1E_jjS1G_bEUljE0_EEESZ_S10_S11_S18_S1C_S1E_T6_T7_T9_mT8_S1G_bDpT10_ENKUlT_T0_E_clISt17integral_constantIbLb1EES1U_EEDaS1P_S1Q_EUlS1P_E_NS1_11comp_targetILNS1_3genE3ELNS1_11target_archE908ELNS1_3gpuE7ELNS1_3repE0EEENS1_30default_config_static_selectorELNS0_4arch9wavefront6targetE1EEEvS12_,comdat
.Lfunc_end858:
	.size	_ZN7rocprim17ROCPRIM_400000_NS6detail17trampoline_kernelINS0_13select_configILj256ELj13ELNS0_17block_load_methodE3ELS4_3ELS4_3ELNS0_20block_scan_algorithmE0ELj4294967295EEENS1_25partition_config_selectorILNS1_17partition_subalgoE4EjNS0_10empty_typeEbEEZZNS1_14partition_implILS8_4ELb0ES6_15HIP_vector_typeIjLj2EENS0_17counting_iteratorIjlEEPS9_SG_NS0_5tupleIJPjSI_NS0_16reverse_iteratorISI_EEEEENSH_IJSG_SG_SG_EEES9_SI_JZNS1_25segmented_radix_sort_implINS0_14default_configELb1EPKsPsPKlPlN2at6native12_GLOBAL__N_18offset_tEEE10hipError_tPvRmT1_PNSt15iterator_traitsIS12_E10value_typeET2_T3_PNS13_IS18_E10value_typeET4_jRbjT5_S1E_jjP12ihipStream_tbEUljE_ZNSN_ISO_Lb1ESQ_SR_ST_SU_SY_EESZ_S10_S11_S12_S16_S17_S18_S1B_S1C_jS1D_jS1E_S1E_jjS1G_bEUljE0_EEESZ_S10_S11_S18_S1C_S1E_T6_T7_T9_mT8_S1G_bDpT10_ENKUlT_T0_E_clISt17integral_constantIbLb1EES1U_EEDaS1P_S1Q_EUlS1P_E_NS1_11comp_targetILNS1_3genE3ELNS1_11target_archE908ELNS1_3gpuE7ELNS1_3repE0EEENS1_30default_config_static_selectorELNS0_4arch9wavefront6targetE1EEEvS12_, .Lfunc_end858-_ZN7rocprim17ROCPRIM_400000_NS6detail17trampoline_kernelINS0_13select_configILj256ELj13ELNS0_17block_load_methodE3ELS4_3ELS4_3ELNS0_20block_scan_algorithmE0ELj4294967295EEENS1_25partition_config_selectorILNS1_17partition_subalgoE4EjNS0_10empty_typeEbEEZZNS1_14partition_implILS8_4ELb0ES6_15HIP_vector_typeIjLj2EENS0_17counting_iteratorIjlEEPS9_SG_NS0_5tupleIJPjSI_NS0_16reverse_iteratorISI_EEEEENSH_IJSG_SG_SG_EEES9_SI_JZNS1_25segmented_radix_sort_implINS0_14default_configELb1EPKsPsPKlPlN2at6native12_GLOBAL__N_18offset_tEEE10hipError_tPvRmT1_PNSt15iterator_traitsIS12_E10value_typeET2_T3_PNS13_IS18_E10value_typeET4_jRbjT5_S1E_jjP12ihipStream_tbEUljE_ZNSN_ISO_Lb1ESQ_SR_ST_SU_SY_EESZ_S10_S11_S12_S16_S17_S18_S1B_S1C_jS1D_jS1E_S1E_jjS1G_bEUljE0_EEESZ_S10_S11_S18_S1C_S1E_T6_T7_T9_mT8_S1G_bDpT10_ENKUlT_T0_E_clISt17integral_constantIbLb1EES1U_EEDaS1P_S1Q_EUlS1P_E_NS1_11comp_targetILNS1_3genE3ELNS1_11target_archE908ELNS1_3gpuE7ELNS1_3repE0EEENS1_30default_config_static_selectorELNS0_4arch9wavefront6targetE1EEEvS12_
                                        ; -- End function
	.set _ZN7rocprim17ROCPRIM_400000_NS6detail17trampoline_kernelINS0_13select_configILj256ELj13ELNS0_17block_load_methodE3ELS4_3ELS4_3ELNS0_20block_scan_algorithmE0ELj4294967295EEENS1_25partition_config_selectorILNS1_17partition_subalgoE4EjNS0_10empty_typeEbEEZZNS1_14partition_implILS8_4ELb0ES6_15HIP_vector_typeIjLj2EENS0_17counting_iteratorIjlEEPS9_SG_NS0_5tupleIJPjSI_NS0_16reverse_iteratorISI_EEEEENSH_IJSG_SG_SG_EEES9_SI_JZNS1_25segmented_radix_sort_implINS0_14default_configELb1EPKsPsPKlPlN2at6native12_GLOBAL__N_18offset_tEEE10hipError_tPvRmT1_PNSt15iterator_traitsIS12_E10value_typeET2_T3_PNS13_IS18_E10value_typeET4_jRbjT5_S1E_jjP12ihipStream_tbEUljE_ZNSN_ISO_Lb1ESQ_SR_ST_SU_SY_EESZ_S10_S11_S12_S16_S17_S18_S1B_S1C_jS1D_jS1E_S1E_jjS1G_bEUljE0_EEESZ_S10_S11_S18_S1C_S1E_T6_T7_T9_mT8_S1G_bDpT10_ENKUlT_T0_E_clISt17integral_constantIbLb1EES1U_EEDaS1P_S1Q_EUlS1P_E_NS1_11comp_targetILNS1_3genE3ELNS1_11target_archE908ELNS1_3gpuE7ELNS1_3repE0EEENS1_30default_config_static_selectorELNS0_4arch9wavefront6targetE1EEEvS12_.num_vgpr, 0
	.set _ZN7rocprim17ROCPRIM_400000_NS6detail17trampoline_kernelINS0_13select_configILj256ELj13ELNS0_17block_load_methodE3ELS4_3ELS4_3ELNS0_20block_scan_algorithmE0ELj4294967295EEENS1_25partition_config_selectorILNS1_17partition_subalgoE4EjNS0_10empty_typeEbEEZZNS1_14partition_implILS8_4ELb0ES6_15HIP_vector_typeIjLj2EENS0_17counting_iteratorIjlEEPS9_SG_NS0_5tupleIJPjSI_NS0_16reverse_iteratorISI_EEEEENSH_IJSG_SG_SG_EEES9_SI_JZNS1_25segmented_radix_sort_implINS0_14default_configELb1EPKsPsPKlPlN2at6native12_GLOBAL__N_18offset_tEEE10hipError_tPvRmT1_PNSt15iterator_traitsIS12_E10value_typeET2_T3_PNS13_IS18_E10value_typeET4_jRbjT5_S1E_jjP12ihipStream_tbEUljE_ZNSN_ISO_Lb1ESQ_SR_ST_SU_SY_EESZ_S10_S11_S12_S16_S17_S18_S1B_S1C_jS1D_jS1E_S1E_jjS1G_bEUljE0_EEESZ_S10_S11_S18_S1C_S1E_T6_T7_T9_mT8_S1G_bDpT10_ENKUlT_T0_E_clISt17integral_constantIbLb1EES1U_EEDaS1P_S1Q_EUlS1P_E_NS1_11comp_targetILNS1_3genE3ELNS1_11target_archE908ELNS1_3gpuE7ELNS1_3repE0EEENS1_30default_config_static_selectorELNS0_4arch9wavefront6targetE1EEEvS12_.num_agpr, 0
	.set _ZN7rocprim17ROCPRIM_400000_NS6detail17trampoline_kernelINS0_13select_configILj256ELj13ELNS0_17block_load_methodE3ELS4_3ELS4_3ELNS0_20block_scan_algorithmE0ELj4294967295EEENS1_25partition_config_selectorILNS1_17partition_subalgoE4EjNS0_10empty_typeEbEEZZNS1_14partition_implILS8_4ELb0ES6_15HIP_vector_typeIjLj2EENS0_17counting_iteratorIjlEEPS9_SG_NS0_5tupleIJPjSI_NS0_16reverse_iteratorISI_EEEEENSH_IJSG_SG_SG_EEES9_SI_JZNS1_25segmented_radix_sort_implINS0_14default_configELb1EPKsPsPKlPlN2at6native12_GLOBAL__N_18offset_tEEE10hipError_tPvRmT1_PNSt15iterator_traitsIS12_E10value_typeET2_T3_PNS13_IS18_E10value_typeET4_jRbjT5_S1E_jjP12ihipStream_tbEUljE_ZNSN_ISO_Lb1ESQ_SR_ST_SU_SY_EESZ_S10_S11_S12_S16_S17_S18_S1B_S1C_jS1D_jS1E_S1E_jjS1G_bEUljE0_EEESZ_S10_S11_S18_S1C_S1E_T6_T7_T9_mT8_S1G_bDpT10_ENKUlT_T0_E_clISt17integral_constantIbLb1EES1U_EEDaS1P_S1Q_EUlS1P_E_NS1_11comp_targetILNS1_3genE3ELNS1_11target_archE908ELNS1_3gpuE7ELNS1_3repE0EEENS1_30default_config_static_selectorELNS0_4arch9wavefront6targetE1EEEvS12_.numbered_sgpr, 0
	.set _ZN7rocprim17ROCPRIM_400000_NS6detail17trampoline_kernelINS0_13select_configILj256ELj13ELNS0_17block_load_methodE3ELS4_3ELS4_3ELNS0_20block_scan_algorithmE0ELj4294967295EEENS1_25partition_config_selectorILNS1_17partition_subalgoE4EjNS0_10empty_typeEbEEZZNS1_14partition_implILS8_4ELb0ES6_15HIP_vector_typeIjLj2EENS0_17counting_iteratorIjlEEPS9_SG_NS0_5tupleIJPjSI_NS0_16reverse_iteratorISI_EEEEENSH_IJSG_SG_SG_EEES9_SI_JZNS1_25segmented_radix_sort_implINS0_14default_configELb1EPKsPsPKlPlN2at6native12_GLOBAL__N_18offset_tEEE10hipError_tPvRmT1_PNSt15iterator_traitsIS12_E10value_typeET2_T3_PNS13_IS18_E10value_typeET4_jRbjT5_S1E_jjP12ihipStream_tbEUljE_ZNSN_ISO_Lb1ESQ_SR_ST_SU_SY_EESZ_S10_S11_S12_S16_S17_S18_S1B_S1C_jS1D_jS1E_S1E_jjS1G_bEUljE0_EEESZ_S10_S11_S18_S1C_S1E_T6_T7_T9_mT8_S1G_bDpT10_ENKUlT_T0_E_clISt17integral_constantIbLb1EES1U_EEDaS1P_S1Q_EUlS1P_E_NS1_11comp_targetILNS1_3genE3ELNS1_11target_archE908ELNS1_3gpuE7ELNS1_3repE0EEENS1_30default_config_static_selectorELNS0_4arch9wavefront6targetE1EEEvS12_.num_named_barrier, 0
	.set _ZN7rocprim17ROCPRIM_400000_NS6detail17trampoline_kernelINS0_13select_configILj256ELj13ELNS0_17block_load_methodE3ELS4_3ELS4_3ELNS0_20block_scan_algorithmE0ELj4294967295EEENS1_25partition_config_selectorILNS1_17partition_subalgoE4EjNS0_10empty_typeEbEEZZNS1_14partition_implILS8_4ELb0ES6_15HIP_vector_typeIjLj2EENS0_17counting_iteratorIjlEEPS9_SG_NS0_5tupleIJPjSI_NS0_16reverse_iteratorISI_EEEEENSH_IJSG_SG_SG_EEES9_SI_JZNS1_25segmented_radix_sort_implINS0_14default_configELb1EPKsPsPKlPlN2at6native12_GLOBAL__N_18offset_tEEE10hipError_tPvRmT1_PNSt15iterator_traitsIS12_E10value_typeET2_T3_PNS13_IS18_E10value_typeET4_jRbjT5_S1E_jjP12ihipStream_tbEUljE_ZNSN_ISO_Lb1ESQ_SR_ST_SU_SY_EESZ_S10_S11_S12_S16_S17_S18_S1B_S1C_jS1D_jS1E_S1E_jjS1G_bEUljE0_EEESZ_S10_S11_S18_S1C_S1E_T6_T7_T9_mT8_S1G_bDpT10_ENKUlT_T0_E_clISt17integral_constantIbLb1EES1U_EEDaS1P_S1Q_EUlS1P_E_NS1_11comp_targetILNS1_3genE3ELNS1_11target_archE908ELNS1_3gpuE7ELNS1_3repE0EEENS1_30default_config_static_selectorELNS0_4arch9wavefront6targetE1EEEvS12_.private_seg_size, 0
	.set _ZN7rocprim17ROCPRIM_400000_NS6detail17trampoline_kernelINS0_13select_configILj256ELj13ELNS0_17block_load_methodE3ELS4_3ELS4_3ELNS0_20block_scan_algorithmE0ELj4294967295EEENS1_25partition_config_selectorILNS1_17partition_subalgoE4EjNS0_10empty_typeEbEEZZNS1_14partition_implILS8_4ELb0ES6_15HIP_vector_typeIjLj2EENS0_17counting_iteratorIjlEEPS9_SG_NS0_5tupleIJPjSI_NS0_16reverse_iteratorISI_EEEEENSH_IJSG_SG_SG_EEES9_SI_JZNS1_25segmented_radix_sort_implINS0_14default_configELb1EPKsPsPKlPlN2at6native12_GLOBAL__N_18offset_tEEE10hipError_tPvRmT1_PNSt15iterator_traitsIS12_E10value_typeET2_T3_PNS13_IS18_E10value_typeET4_jRbjT5_S1E_jjP12ihipStream_tbEUljE_ZNSN_ISO_Lb1ESQ_SR_ST_SU_SY_EESZ_S10_S11_S12_S16_S17_S18_S1B_S1C_jS1D_jS1E_S1E_jjS1G_bEUljE0_EEESZ_S10_S11_S18_S1C_S1E_T6_T7_T9_mT8_S1G_bDpT10_ENKUlT_T0_E_clISt17integral_constantIbLb1EES1U_EEDaS1P_S1Q_EUlS1P_E_NS1_11comp_targetILNS1_3genE3ELNS1_11target_archE908ELNS1_3gpuE7ELNS1_3repE0EEENS1_30default_config_static_selectorELNS0_4arch9wavefront6targetE1EEEvS12_.uses_vcc, 0
	.set _ZN7rocprim17ROCPRIM_400000_NS6detail17trampoline_kernelINS0_13select_configILj256ELj13ELNS0_17block_load_methodE3ELS4_3ELS4_3ELNS0_20block_scan_algorithmE0ELj4294967295EEENS1_25partition_config_selectorILNS1_17partition_subalgoE4EjNS0_10empty_typeEbEEZZNS1_14partition_implILS8_4ELb0ES6_15HIP_vector_typeIjLj2EENS0_17counting_iteratorIjlEEPS9_SG_NS0_5tupleIJPjSI_NS0_16reverse_iteratorISI_EEEEENSH_IJSG_SG_SG_EEES9_SI_JZNS1_25segmented_radix_sort_implINS0_14default_configELb1EPKsPsPKlPlN2at6native12_GLOBAL__N_18offset_tEEE10hipError_tPvRmT1_PNSt15iterator_traitsIS12_E10value_typeET2_T3_PNS13_IS18_E10value_typeET4_jRbjT5_S1E_jjP12ihipStream_tbEUljE_ZNSN_ISO_Lb1ESQ_SR_ST_SU_SY_EESZ_S10_S11_S12_S16_S17_S18_S1B_S1C_jS1D_jS1E_S1E_jjS1G_bEUljE0_EEESZ_S10_S11_S18_S1C_S1E_T6_T7_T9_mT8_S1G_bDpT10_ENKUlT_T0_E_clISt17integral_constantIbLb1EES1U_EEDaS1P_S1Q_EUlS1P_E_NS1_11comp_targetILNS1_3genE3ELNS1_11target_archE908ELNS1_3gpuE7ELNS1_3repE0EEENS1_30default_config_static_selectorELNS0_4arch9wavefront6targetE1EEEvS12_.uses_flat_scratch, 0
	.set _ZN7rocprim17ROCPRIM_400000_NS6detail17trampoline_kernelINS0_13select_configILj256ELj13ELNS0_17block_load_methodE3ELS4_3ELS4_3ELNS0_20block_scan_algorithmE0ELj4294967295EEENS1_25partition_config_selectorILNS1_17partition_subalgoE4EjNS0_10empty_typeEbEEZZNS1_14partition_implILS8_4ELb0ES6_15HIP_vector_typeIjLj2EENS0_17counting_iteratorIjlEEPS9_SG_NS0_5tupleIJPjSI_NS0_16reverse_iteratorISI_EEEEENSH_IJSG_SG_SG_EEES9_SI_JZNS1_25segmented_radix_sort_implINS0_14default_configELb1EPKsPsPKlPlN2at6native12_GLOBAL__N_18offset_tEEE10hipError_tPvRmT1_PNSt15iterator_traitsIS12_E10value_typeET2_T3_PNS13_IS18_E10value_typeET4_jRbjT5_S1E_jjP12ihipStream_tbEUljE_ZNSN_ISO_Lb1ESQ_SR_ST_SU_SY_EESZ_S10_S11_S12_S16_S17_S18_S1B_S1C_jS1D_jS1E_S1E_jjS1G_bEUljE0_EEESZ_S10_S11_S18_S1C_S1E_T6_T7_T9_mT8_S1G_bDpT10_ENKUlT_T0_E_clISt17integral_constantIbLb1EES1U_EEDaS1P_S1Q_EUlS1P_E_NS1_11comp_targetILNS1_3genE3ELNS1_11target_archE908ELNS1_3gpuE7ELNS1_3repE0EEENS1_30default_config_static_selectorELNS0_4arch9wavefront6targetE1EEEvS12_.has_dyn_sized_stack, 0
	.set _ZN7rocprim17ROCPRIM_400000_NS6detail17trampoline_kernelINS0_13select_configILj256ELj13ELNS0_17block_load_methodE3ELS4_3ELS4_3ELNS0_20block_scan_algorithmE0ELj4294967295EEENS1_25partition_config_selectorILNS1_17partition_subalgoE4EjNS0_10empty_typeEbEEZZNS1_14partition_implILS8_4ELb0ES6_15HIP_vector_typeIjLj2EENS0_17counting_iteratorIjlEEPS9_SG_NS0_5tupleIJPjSI_NS0_16reverse_iteratorISI_EEEEENSH_IJSG_SG_SG_EEES9_SI_JZNS1_25segmented_radix_sort_implINS0_14default_configELb1EPKsPsPKlPlN2at6native12_GLOBAL__N_18offset_tEEE10hipError_tPvRmT1_PNSt15iterator_traitsIS12_E10value_typeET2_T3_PNS13_IS18_E10value_typeET4_jRbjT5_S1E_jjP12ihipStream_tbEUljE_ZNSN_ISO_Lb1ESQ_SR_ST_SU_SY_EESZ_S10_S11_S12_S16_S17_S18_S1B_S1C_jS1D_jS1E_S1E_jjS1G_bEUljE0_EEESZ_S10_S11_S18_S1C_S1E_T6_T7_T9_mT8_S1G_bDpT10_ENKUlT_T0_E_clISt17integral_constantIbLb1EES1U_EEDaS1P_S1Q_EUlS1P_E_NS1_11comp_targetILNS1_3genE3ELNS1_11target_archE908ELNS1_3gpuE7ELNS1_3repE0EEENS1_30default_config_static_selectorELNS0_4arch9wavefront6targetE1EEEvS12_.has_recursion, 0
	.set _ZN7rocprim17ROCPRIM_400000_NS6detail17trampoline_kernelINS0_13select_configILj256ELj13ELNS0_17block_load_methodE3ELS4_3ELS4_3ELNS0_20block_scan_algorithmE0ELj4294967295EEENS1_25partition_config_selectorILNS1_17partition_subalgoE4EjNS0_10empty_typeEbEEZZNS1_14partition_implILS8_4ELb0ES6_15HIP_vector_typeIjLj2EENS0_17counting_iteratorIjlEEPS9_SG_NS0_5tupleIJPjSI_NS0_16reverse_iteratorISI_EEEEENSH_IJSG_SG_SG_EEES9_SI_JZNS1_25segmented_radix_sort_implINS0_14default_configELb1EPKsPsPKlPlN2at6native12_GLOBAL__N_18offset_tEEE10hipError_tPvRmT1_PNSt15iterator_traitsIS12_E10value_typeET2_T3_PNS13_IS18_E10value_typeET4_jRbjT5_S1E_jjP12ihipStream_tbEUljE_ZNSN_ISO_Lb1ESQ_SR_ST_SU_SY_EESZ_S10_S11_S12_S16_S17_S18_S1B_S1C_jS1D_jS1E_S1E_jjS1G_bEUljE0_EEESZ_S10_S11_S18_S1C_S1E_T6_T7_T9_mT8_S1G_bDpT10_ENKUlT_T0_E_clISt17integral_constantIbLb1EES1U_EEDaS1P_S1Q_EUlS1P_E_NS1_11comp_targetILNS1_3genE3ELNS1_11target_archE908ELNS1_3gpuE7ELNS1_3repE0EEENS1_30default_config_static_selectorELNS0_4arch9wavefront6targetE1EEEvS12_.has_indirect_call, 0
	.section	.AMDGPU.csdata,"",@progbits
; Kernel info:
; codeLenInByte = 0
; TotalNumSgprs: 4
; NumVgprs: 0
; ScratchSize: 0
; MemoryBound: 0
; FloatMode: 240
; IeeeMode: 1
; LDSByteSize: 0 bytes/workgroup (compile time only)
; SGPRBlocks: 0
; VGPRBlocks: 0
; NumSGPRsForWavesPerEU: 4
; NumVGPRsForWavesPerEU: 1
; Occupancy: 10
; WaveLimiterHint : 0
; COMPUTE_PGM_RSRC2:SCRATCH_EN: 0
; COMPUTE_PGM_RSRC2:USER_SGPR: 6
; COMPUTE_PGM_RSRC2:TRAP_HANDLER: 0
; COMPUTE_PGM_RSRC2:TGID_X_EN: 1
; COMPUTE_PGM_RSRC2:TGID_Y_EN: 0
; COMPUTE_PGM_RSRC2:TGID_Z_EN: 0
; COMPUTE_PGM_RSRC2:TIDIG_COMP_CNT: 0
	.section	.text._ZN7rocprim17ROCPRIM_400000_NS6detail17trampoline_kernelINS0_13select_configILj256ELj13ELNS0_17block_load_methodE3ELS4_3ELS4_3ELNS0_20block_scan_algorithmE0ELj4294967295EEENS1_25partition_config_selectorILNS1_17partition_subalgoE4EjNS0_10empty_typeEbEEZZNS1_14partition_implILS8_4ELb0ES6_15HIP_vector_typeIjLj2EENS0_17counting_iteratorIjlEEPS9_SG_NS0_5tupleIJPjSI_NS0_16reverse_iteratorISI_EEEEENSH_IJSG_SG_SG_EEES9_SI_JZNS1_25segmented_radix_sort_implINS0_14default_configELb1EPKsPsPKlPlN2at6native12_GLOBAL__N_18offset_tEEE10hipError_tPvRmT1_PNSt15iterator_traitsIS12_E10value_typeET2_T3_PNS13_IS18_E10value_typeET4_jRbjT5_S1E_jjP12ihipStream_tbEUljE_ZNSN_ISO_Lb1ESQ_SR_ST_SU_SY_EESZ_S10_S11_S12_S16_S17_S18_S1B_S1C_jS1D_jS1E_S1E_jjS1G_bEUljE0_EEESZ_S10_S11_S18_S1C_S1E_T6_T7_T9_mT8_S1G_bDpT10_ENKUlT_T0_E_clISt17integral_constantIbLb1EES1U_EEDaS1P_S1Q_EUlS1P_E_NS1_11comp_targetILNS1_3genE2ELNS1_11target_archE906ELNS1_3gpuE6ELNS1_3repE0EEENS1_30default_config_static_selectorELNS0_4arch9wavefront6targetE1EEEvS12_,"axG",@progbits,_ZN7rocprim17ROCPRIM_400000_NS6detail17trampoline_kernelINS0_13select_configILj256ELj13ELNS0_17block_load_methodE3ELS4_3ELS4_3ELNS0_20block_scan_algorithmE0ELj4294967295EEENS1_25partition_config_selectorILNS1_17partition_subalgoE4EjNS0_10empty_typeEbEEZZNS1_14partition_implILS8_4ELb0ES6_15HIP_vector_typeIjLj2EENS0_17counting_iteratorIjlEEPS9_SG_NS0_5tupleIJPjSI_NS0_16reverse_iteratorISI_EEEEENSH_IJSG_SG_SG_EEES9_SI_JZNS1_25segmented_radix_sort_implINS0_14default_configELb1EPKsPsPKlPlN2at6native12_GLOBAL__N_18offset_tEEE10hipError_tPvRmT1_PNSt15iterator_traitsIS12_E10value_typeET2_T3_PNS13_IS18_E10value_typeET4_jRbjT5_S1E_jjP12ihipStream_tbEUljE_ZNSN_ISO_Lb1ESQ_SR_ST_SU_SY_EESZ_S10_S11_S12_S16_S17_S18_S1B_S1C_jS1D_jS1E_S1E_jjS1G_bEUljE0_EEESZ_S10_S11_S18_S1C_S1E_T6_T7_T9_mT8_S1G_bDpT10_ENKUlT_T0_E_clISt17integral_constantIbLb1EES1U_EEDaS1P_S1Q_EUlS1P_E_NS1_11comp_targetILNS1_3genE2ELNS1_11target_archE906ELNS1_3gpuE6ELNS1_3repE0EEENS1_30default_config_static_selectorELNS0_4arch9wavefront6targetE1EEEvS12_,comdat
	.globl	_ZN7rocprim17ROCPRIM_400000_NS6detail17trampoline_kernelINS0_13select_configILj256ELj13ELNS0_17block_load_methodE3ELS4_3ELS4_3ELNS0_20block_scan_algorithmE0ELj4294967295EEENS1_25partition_config_selectorILNS1_17partition_subalgoE4EjNS0_10empty_typeEbEEZZNS1_14partition_implILS8_4ELb0ES6_15HIP_vector_typeIjLj2EENS0_17counting_iteratorIjlEEPS9_SG_NS0_5tupleIJPjSI_NS0_16reverse_iteratorISI_EEEEENSH_IJSG_SG_SG_EEES9_SI_JZNS1_25segmented_radix_sort_implINS0_14default_configELb1EPKsPsPKlPlN2at6native12_GLOBAL__N_18offset_tEEE10hipError_tPvRmT1_PNSt15iterator_traitsIS12_E10value_typeET2_T3_PNS13_IS18_E10value_typeET4_jRbjT5_S1E_jjP12ihipStream_tbEUljE_ZNSN_ISO_Lb1ESQ_SR_ST_SU_SY_EESZ_S10_S11_S12_S16_S17_S18_S1B_S1C_jS1D_jS1E_S1E_jjS1G_bEUljE0_EEESZ_S10_S11_S18_S1C_S1E_T6_T7_T9_mT8_S1G_bDpT10_ENKUlT_T0_E_clISt17integral_constantIbLb1EES1U_EEDaS1P_S1Q_EUlS1P_E_NS1_11comp_targetILNS1_3genE2ELNS1_11target_archE906ELNS1_3gpuE6ELNS1_3repE0EEENS1_30default_config_static_selectorELNS0_4arch9wavefront6targetE1EEEvS12_ ; -- Begin function _ZN7rocprim17ROCPRIM_400000_NS6detail17trampoline_kernelINS0_13select_configILj256ELj13ELNS0_17block_load_methodE3ELS4_3ELS4_3ELNS0_20block_scan_algorithmE0ELj4294967295EEENS1_25partition_config_selectorILNS1_17partition_subalgoE4EjNS0_10empty_typeEbEEZZNS1_14partition_implILS8_4ELb0ES6_15HIP_vector_typeIjLj2EENS0_17counting_iteratorIjlEEPS9_SG_NS0_5tupleIJPjSI_NS0_16reverse_iteratorISI_EEEEENSH_IJSG_SG_SG_EEES9_SI_JZNS1_25segmented_radix_sort_implINS0_14default_configELb1EPKsPsPKlPlN2at6native12_GLOBAL__N_18offset_tEEE10hipError_tPvRmT1_PNSt15iterator_traitsIS12_E10value_typeET2_T3_PNS13_IS18_E10value_typeET4_jRbjT5_S1E_jjP12ihipStream_tbEUljE_ZNSN_ISO_Lb1ESQ_SR_ST_SU_SY_EESZ_S10_S11_S12_S16_S17_S18_S1B_S1C_jS1D_jS1E_S1E_jjS1G_bEUljE0_EEESZ_S10_S11_S18_S1C_S1E_T6_T7_T9_mT8_S1G_bDpT10_ENKUlT_T0_E_clISt17integral_constantIbLb1EES1U_EEDaS1P_S1Q_EUlS1P_E_NS1_11comp_targetILNS1_3genE2ELNS1_11target_archE906ELNS1_3gpuE6ELNS1_3repE0EEENS1_30default_config_static_selectorELNS0_4arch9wavefront6targetE1EEEvS12_
	.p2align	8
	.type	_ZN7rocprim17ROCPRIM_400000_NS6detail17trampoline_kernelINS0_13select_configILj256ELj13ELNS0_17block_load_methodE3ELS4_3ELS4_3ELNS0_20block_scan_algorithmE0ELj4294967295EEENS1_25partition_config_selectorILNS1_17partition_subalgoE4EjNS0_10empty_typeEbEEZZNS1_14partition_implILS8_4ELb0ES6_15HIP_vector_typeIjLj2EENS0_17counting_iteratorIjlEEPS9_SG_NS0_5tupleIJPjSI_NS0_16reverse_iteratorISI_EEEEENSH_IJSG_SG_SG_EEES9_SI_JZNS1_25segmented_radix_sort_implINS0_14default_configELb1EPKsPsPKlPlN2at6native12_GLOBAL__N_18offset_tEEE10hipError_tPvRmT1_PNSt15iterator_traitsIS12_E10value_typeET2_T3_PNS13_IS18_E10value_typeET4_jRbjT5_S1E_jjP12ihipStream_tbEUljE_ZNSN_ISO_Lb1ESQ_SR_ST_SU_SY_EESZ_S10_S11_S12_S16_S17_S18_S1B_S1C_jS1D_jS1E_S1E_jjS1G_bEUljE0_EEESZ_S10_S11_S18_S1C_S1E_T6_T7_T9_mT8_S1G_bDpT10_ENKUlT_T0_E_clISt17integral_constantIbLb1EES1U_EEDaS1P_S1Q_EUlS1P_E_NS1_11comp_targetILNS1_3genE2ELNS1_11target_archE906ELNS1_3gpuE6ELNS1_3repE0EEENS1_30default_config_static_selectorELNS0_4arch9wavefront6targetE1EEEvS12_,@function
_ZN7rocprim17ROCPRIM_400000_NS6detail17trampoline_kernelINS0_13select_configILj256ELj13ELNS0_17block_load_methodE3ELS4_3ELS4_3ELNS0_20block_scan_algorithmE0ELj4294967295EEENS1_25partition_config_selectorILNS1_17partition_subalgoE4EjNS0_10empty_typeEbEEZZNS1_14partition_implILS8_4ELb0ES6_15HIP_vector_typeIjLj2EENS0_17counting_iteratorIjlEEPS9_SG_NS0_5tupleIJPjSI_NS0_16reverse_iteratorISI_EEEEENSH_IJSG_SG_SG_EEES9_SI_JZNS1_25segmented_radix_sort_implINS0_14default_configELb1EPKsPsPKlPlN2at6native12_GLOBAL__N_18offset_tEEE10hipError_tPvRmT1_PNSt15iterator_traitsIS12_E10value_typeET2_T3_PNS13_IS18_E10value_typeET4_jRbjT5_S1E_jjP12ihipStream_tbEUljE_ZNSN_ISO_Lb1ESQ_SR_ST_SU_SY_EESZ_S10_S11_S12_S16_S17_S18_S1B_S1C_jS1D_jS1E_S1E_jjS1G_bEUljE0_EEESZ_S10_S11_S18_S1C_S1E_T6_T7_T9_mT8_S1G_bDpT10_ENKUlT_T0_E_clISt17integral_constantIbLb1EES1U_EEDaS1P_S1Q_EUlS1P_E_NS1_11comp_targetILNS1_3genE2ELNS1_11target_archE906ELNS1_3gpuE6ELNS1_3repE0EEENS1_30default_config_static_selectorELNS0_4arch9wavefront6targetE1EEEvS12_: ; @_ZN7rocprim17ROCPRIM_400000_NS6detail17trampoline_kernelINS0_13select_configILj256ELj13ELNS0_17block_load_methodE3ELS4_3ELS4_3ELNS0_20block_scan_algorithmE0ELj4294967295EEENS1_25partition_config_selectorILNS1_17partition_subalgoE4EjNS0_10empty_typeEbEEZZNS1_14partition_implILS8_4ELb0ES6_15HIP_vector_typeIjLj2EENS0_17counting_iteratorIjlEEPS9_SG_NS0_5tupleIJPjSI_NS0_16reverse_iteratorISI_EEEEENSH_IJSG_SG_SG_EEES9_SI_JZNS1_25segmented_radix_sort_implINS0_14default_configELb1EPKsPsPKlPlN2at6native12_GLOBAL__N_18offset_tEEE10hipError_tPvRmT1_PNSt15iterator_traitsIS12_E10value_typeET2_T3_PNS13_IS18_E10value_typeET4_jRbjT5_S1E_jjP12ihipStream_tbEUljE_ZNSN_ISO_Lb1ESQ_SR_ST_SU_SY_EESZ_S10_S11_S12_S16_S17_S18_S1B_S1C_jS1D_jS1E_S1E_jjS1G_bEUljE0_EEESZ_S10_S11_S18_S1C_S1E_T6_T7_T9_mT8_S1G_bDpT10_ENKUlT_T0_E_clISt17integral_constantIbLb1EES1U_EEDaS1P_S1Q_EUlS1P_E_NS1_11comp_targetILNS1_3genE2ELNS1_11target_archE906ELNS1_3gpuE6ELNS1_3repE0EEENS1_30default_config_static_selectorELNS0_4arch9wavefront6targetE1EEEvS12_
; %bb.0:
	s_endpgm
	.section	.rodata,"a",@progbits
	.p2align	6, 0x0
	.amdhsa_kernel _ZN7rocprim17ROCPRIM_400000_NS6detail17trampoline_kernelINS0_13select_configILj256ELj13ELNS0_17block_load_methodE3ELS4_3ELS4_3ELNS0_20block_scan_algorithmE0ELj4294967295EEENS1_25partition_config_selectorILNS1_17partition_subalgoE4EjNS0_10empty_typeEbEEZZNS1_14partition_implILS8_4ELb0ES6_15HIP_vector_typeIjLj2EENS0_17counting_iteratorIjlEEPS9_SG_NS0_5tupleIJPjSI_NS0_16reverse_iteratorISI_EEEEENSH_IJSG_SG_SG_EEES9_SI_JZNS1_25segmented_radix_sort_implINS0_14default_configELb1EPKsPsPKlPlN2at6native12_GLOBAL__N_18offset_tEEE10hipError_tPvRmT1_PNSt15iterator_traitsIS12_E10value_typeET2_T3_PNS13_IS18_E10value_typeET4_jRbjT5_S1E_jjP12ihipStream_tbEUljE_ZNSN_ISO_Lb1ESQ_SR_ST_SU_SY_EESZ_S10_S11_S12_S16_S17_S18_S1B_S1C_jS1D_jS1E_S1E_jjS1G_bEUljE0_EEESZ_S10_S11_S18_S1C_S1E_T6_T7_T9_mT8_S1G_bDpT10_ENKUlT_T0_E_clISt17integral_constantIbLb1EES1U_EEDaS1P_S1Q_EUlS1P_E_NS1_11comp_targetILNS1_3genE2ELNS1_11target_archE906ELNS1_3gpuE6ELNS1_3repE0EEENS1_30default_config_static_selectorELNS0_4arch9wavefront6targetE1EEEvS12_
		.amdhsa_group_segment_fixed_size 0
		.amdhsa_private_segment_fixed_size 0
		.amdhsa_kernarg_size 184
		.amdhsa_user_sgpr_count 6
		.amdhsa_user_sgpr_private_segment_buffer 1
		.amdhsa_user_sgpr_dispatch_ptr 0
		.amdhsa_user_sgpr_queue_ptr 0
		.amdhsa_user_sgpr_kernarg_segment_ptr 1
		.amdhsa_user_sgpr_dispatch_id 0
		.amdhsa_user_sgpr_flat_scratch_init 0
		.amdhsa_user_sgpr_private_segment_size 0
		.amdhsa_uses_dynamic_stack 0
		.amdhsa_system_sgpr_private_segment_wavefront_offset 0
		.amdhsa_system_sgpr_workgroup_id_x 1
		.amdhsa_system_sgpr_workgroup_id_y 0
		.amdhsa_system_sgpr_workgroup_id_z 0
		.amdhsa_system_sgpr_workgroup_info 0
		.amdhsa_system_vgpr_workitem_id 0
		.amdhsa_next_free_vgpr 1
		.amdhsa_next_free_sgpr 0
		.amdhsa_reserve_vcc 0
		.amdhsa_reserve_flat_scratch 0
		.amdhsa_float_round_mode_32 0
		.amdhsa_float_round_mode_16_64 0
		.amdhsa_float_denorm_mode_32 3
		.amdhsa_float_denorm_mode_16_64 3
		.amdhsa_dx10_clamp 1
		.amdhsa_ieee_mode 1
		.amdhsa_fp16_overflow 0
		.amdhsa_exception_fp_ieee_invalid_op 0
		.amdhsa_exception_fp_denorm_src 0
		.amdhsa_exception_fp_ieee_div_zero 0
		.amdhsa_exception_fp_ieee_overflow 0
		.amdhsa_exception_fp_ieee_underflow 0
		.amdhsa_exception_fp_ieee_inexact 0
		.amdhsa_exception_int_div_zero 0
	.end_amdhsa_kernel
	.section	.text._ZN7rocprim17ROCPRIM_400000_NS6detail17trampoline_kernelINS0_13select_configILj256ELj13ELNS0_17block_load_methodE3ELS4_3ELS4_3ELNS0_20block_scan_algorithmE0ELj4294967295EEENS1_25partition_config_selectorILNS1_17partition_subalgoE4EjNS0_10empty_typeEbEEZZNS1_14partition_implILS8_4ELb0ES6_15HIP_vector_typeIjLj2EENS0_17counting_iteratorIjlEEPS9_SG_NS0_5tupleIJPjSI_NS0_16reverse_iteratorISI_EEEEENSH_IJSG_SG_SG_EEES9_SI_JZNS1_25segmented_radix_sort_implINS0_14default_configELb1EPKsPsPKlPlN2at6native12_GLOBAL__N_18offset_tEEE10hipError_tPvRmT1_PNSt15iterator_traitsIS12_E10value_typeET2_T3_PNS13_IS18_E10value_typeET4_jRbjT5_S1E_jjP12ihipStream_tbEUljE_ZNSN_ISO_Lb1ESQ_SR_ST_SU_SY_EESZ_S10_S11_S12_S16_S17_S18_S1B_S1C_jS1D_jS1E_S1E_jjS1G_bEUljE0_EEESZ_S10_S11_S18_S1C_S1E_T6_T7_T9_mT8_S1G_bDpT10_ENKUlT_T0_E_clISt17integral_constantIbLb1EES1U_EEDaS1P_S1Q_EUlS1P_E_NS1_11comp_targetILNS1_3genE2ELNS1_11target_archE906ELNS1_3gpuE6ELNS1_3repE0EEENS1_30default_config_static_selectorELNS0_4arch9wavefront6targetE1EEEvS12_,"axG",@progbits,_ZN7rocprim17ROCPRIM_400000_NS6detail17trampoline_kernelINS0_13select_configILj256ELj13ELNS0_17block_load_methodE3ELS4_3ELS4_3ELNS0_20block_scan_algorithmE0ELj4294967295EEENS1_25partition_config_selectorILNS1_17partition_subalgoE4EjNS0_10empty_typeEbEEZZNS1_14partition_implILS8_4ELb0ES6_15HIP_vector_typeIjLj2EENS0_17counting_iteratorIjlEEPS9_SG_NS0_5tupleIJPjSI_NS0_16reverse_iteratorISI_EEEEENSH_IJSG_SG_SG_EEES9_SI_JZNS1_25segmented_radix_sort_implINS0_14default_configELb1EPKsPsPKlPlN2at6native12_GLOBAL__N_18offset_tEEE10hipError_tPvRmT1_PNSt15iterator_traitsIS12_E10value_typeET2_T3_PNS13_IS18_E10value_typeET4_jRbjT5_S1E_jjP12ihipStream_tbEUljE_ZNSN_ISO_Lb1ESQ_SR_ST_SU_SY_EESZ_S10_S11_S12_S16_S17_S18_S1B_S1C_jS1D_jS1E_S1E_jjS1G_bEUljE0_EEESZ_S10_S11_S18_S1C_S1E_T6_T7_T9_mT8_S1G_bDpT10_ENKUlT_T0_E_clISt17integral_constantIbLb1EES1U_EEDaS1P_S1Q_EUlS1P_E_NS1_11comp_targetILNS1_3genE2ELNS1_11target_archE906ELNS1_3gpuE6ELNS1_3repE0EEENS1_30default_config_static_selectorELNS0_4arch9wavefront6targetE1EEEvS12_,comdat
.Lfunc_end859:
	.size	_ZN7rocprim17ROCPRIM_400000_NS6detail17trampoline_kernelINS0_13select_configILj256ELj13ELNS0_17block_load_methodE3ELS4_3ELS4_3ELNS0_20block_scan_algorithmE0ELj4294967295EEENS1_25partition_config_selectorILNS1_17partition_subalgoE4EjNS0_10empty_typeEbEEZZNS1_14partition_implILS8_4ELb0ES6_15HIP_vector_typeIjLj2EENS0_17counting_iteratorIjlEEPS9_SG_NS0_5tupleIJPjSI_NS0_16reverse_iteratorISI_EEEEENSH_IJSG_SG_SG_EEES9_SI_JZNS1_25segmented_radix_sort_implINS0_14default_configELb1EPKsPsPKlPlN2at6native12_GLOBAL__N_18offset_tEEE10hipError_tPvRmT1_PNSt15iterator_traitsIS12_E10value_typeET2_T3_PNS13_IS18_E10value_typeET4_jRbjT5_S1E_jjP12ihipStream_tbEUljE_ZNSN_ISO_Lb1ESQ_SR_ST_SU_SY_EESZ_S10_S11_S12_S16_S17_S18_S1B_S1C_jS1D_jS1E_S1E_jjS1G_bEUljE0_EEESZ_S10_S11_S18_S1C_S1E_T6_T7_T9_mT8_S1G_bDpT10_ENKUlT_T0_E_clISt17integral_constantIbLb1EES1U_EEDaS1P_S1Q_EUlS1P_E_NS1_11comp_targetILNS1_3genE2ELNS1_11target_archE906ELNS1_3gpuE6ELNS1_3repE0EEENS1_30default_config_static_selectorELNS0_4arch9wavefront6targetE1EEEvS12_, .Lfunc_end859-_ZN7rocprim17ROCPRIM_400000_NS6detail17trampoline_kernelINS0_13select_configILj256ELj13ELNS0_17block_load_methodE3ELS4_3ELS4_3ELNS0_20block_scan_algorithmE0ELj4294967295EEENS1_25partition_config_selectorILNS1_17partition_subalgoE4EjNS0_10empty_typeEbEEZZNS1_14partition_implILS8_4ELb0ES6_15HIP_vector_typeIjLj2EENS0_17counting_iteratorIjlEEPS9_SG_NS0_5tupleIJPjSI_NS0_16reverse_iteratorISI_EEEEENSH_IJSG_SG_SG_EEES9_SI_JZNS1_25segmented_radix_sort_implINS0_14default_configELb1EPKsPsPKlPlN2at6native12_GLOBAL__N_18offset_tEEE10hipError_tPvRmT1_PNSt15iterator_traitsIS12_E10value_typeET2_T3_PNS13_IS18_E10value_typeET4_jRbjT5_S1E_jjP12ihipStream_tbEUljE_ZNSN_ISO_Lb1ESQ_SR_ST_SU_SY_EESZ_S10_S11_S12_S16_S17_S18_S1B_S1C_jS1D_jS1E_S1E_jjS1G_bEUljE0_EEESZ_S10_S11_S18_S1C_S1E_T6_T7_T9_mT8_S1G_bDpT10_ENKUlT_T0_E_clISt17integral_constantIbLb1EES1U_EEDaS1P_S1Q_EUlS1P_E_NS1_11comp_targetILNS1_3genE2ELNS1_11target_archE906ELNS1_3gpuE6ELNS1_3repE0EEENS1_30default_config_static_selectorELNS0_4arch9wavefront6targetE1EEEvS12_
                                        ; -- End function
	.set _ZN7rocprim17ROCPRIM_400000_NS6detail17trampoline_kernelINS0_13select_configILj256ELj13ELNS0_17block_load_methodE3ELS4_3ELS4_3ELNS0_20block_scan_algorithmE0ELj4294967295EEENS1_25partition_config_selectorILNS1_17partition_subalgoE4EjNS0_10empty_typeEbEEZZNS1_14partition_implILS8_4ELb0ES6_15HIP_vector_typeIjLj2EENS0_17counting_iteratorIjlEEPS9_SG_NS0_5tupleIJPjSI_NS0_16reverse_iteratorISI_EEEEENSH_IJSG_SG_SG_EEES9_SI_JZNS1_25segmented_radix_sort_implINS0_14default_configELb1EPKsPsPKlPlN2at6native12_GLOBAL__N_18offset_tEEE10hipError_tPvRmT1_PNSt15iterator_traitsIS12_E10value_typeET2_T3_PNS13_IS18_E10value_typeET4_jRbjT5_S1E_jjP12ihipStream_tbEUljE_ZNSN_ISO_Lb1ESQ_SR_ST_SU_SY_EESZ_S10_S11_S12_S16_S17_S18_S1B_S1C_jS1D_jS1E_S1E_jjS1G_bEUljE0_EEESZ_S10_S11_S18_S1C_S1E_T6_T7_T9_mT8_S1G_bDpT10_ENKUlT_T0_E_clISt17integral_constantIbLb1EES1U_EEDaS1P_S1Q_EUlS1P_E_NS1_11comp_targetILNS1_3genE2ELNS1_11target_archE906ELNS1_3gpuE6ELNS1_3repE0EEENS1_30default_config_static_selectorELNS0_4arch9wavefront6targetE1EEEvS12_.num_vgpr, 0
	.set _ZN7rocprim17ROCPRIM_400000_NS6detail17trampoline_kernelINS0_13select_configILj256ELj13ELNS0_17block_load_methodE3ELS4_3ELS4_3ELNS0_20block_scan_algorithmE0ELj4294967295EEENS1_25partition_config_selectorILNS1_17partition_subalgoE4EjNS0_10empty_typeEbEEZZNS1_14partition_implILS8_4ELb0ES6_15HIP_vector_typeIjLj2EENS0_17counting_iteratorIjlEEPS9_SG_NS0_5tupleIJPjSI_NS0_16reverse_iteratorISI_EEEEENSH_IJSG_SG_SG_EEES9_SI_JZNS1_25segmented_radix_sort_implINS0_14default_configELb1EPKsPsPKlPlN2at6native12_GLOBAL__N_18offset_tEEE10hipError_tPvRmT1_PNSt15iterator_traitsIS12_E10value_typeET2_T3_PNS13_IS18_E10value_typeET4_jRbjT5_S1E_jjP12ihipStream_tbEUljE_ZNSN_ISO_Lb1ESQ_SR_ST_SU_SY_EESZ_S10_S11_S12_S16_S17_S18_S1B_S1C_jS1D_jS1E_S1E_jjS1G_bEUljE0_EEESZ_S10_S11_S18_S1C_S1E_T6_T7_T9_mT8_S1G_bDpT10_ENKUlT_T0_E_clISt17integral_constantIbLb1EES1U_EEDaS1P_S1Q_EUlS1P_E_NS1_11comp_targetILNS1_3genE2ELNS1_11target_archE906ELNS1_3gpuE6ELNS1_3repE0EEENS1_30default_config_static_selectorELNS0_4arch9wavefront6targetE1EEEvS12_.num_agpr, 0
	.set _ZN7rocprim17ROCPRIM_400000_NS6detail17trampoline_kernelINS0_13select_configILj256ELj13ELNS0_17block_load_methodE3ELS4_3ELS4_3ELNS0_20block_scan_algorithmE0ELj4294967295EEENS1_25partition_config_selectorILNS1_17partition_subalgoE4EjNS0_10empty_typeEbEEZZNS1_14partition_implILS8_4ELb0ES6_15HIP_vector_typeIjLj2EENS0_17counting_iteratorIjlEEPS9_SG_NS0_5tupleIJPjSI_NS0_16reverse_iteratorISI_EEEEENSH_IJSG_SG_SG_EEES9_SI_JZNS1_25segmented_radix_sort_implINS0_14default_configELb1EPKsPsPKlPlN2at6native12_GLOBAL__N_18offset_tEEE10hipError_tPvRmT1_PNSt15iterator_traitsIS12_E10value_typeET2_T3_PNS13_IS18_E10value_typeET4_jRbjT5_S1E_jjP12ihipStream_tbEUljE_ZNSN_ISO_Lb1ESQ_SR_ST_SU_SY_EESZ_S10_S11_S12_S16_S17_S18_S1B_S1C_jS1D_jS1E_S1E_jjS1G_bEUljE0_EEESZ_S10_S11_S18_S1C_S1E_T6_T7_T9_mT8_S1G_bDpT10_ENKUlT_T0_E_clISt17integral_constantIbLb1EES1U_EEDaS1P_S1Q_EUlS1P_E_NS1_11comp_targetILNS1_3genE2ELNS1_11target_archE906ELNS1_3gpuE6ELNS1_3repE0EEENS1_30default_config_static_selectorELNS0_4arch9wavefront6targetE1EEEvS12_.numbered_sgpr, 0
	.set _ZN7rocprim17ROCPRIM_400000_NS6detail17trampoline_kernelINS0_13select_configILj256ELj13ELNS0_17block_load_methodE3ELS4_3ELS4_3ELNS0_20block_scan_algorithmE0ELj4294967295EEENS1_25partition_config_selectorILNS1_17partition_subalgoE4EjNS0_10empty_typeEbEEZZNS1_14partition_implILS8_4ELb0ES6_15HIP_vector_typeIjLj2EENS0_17counting_iteratorIjlEEPS9_SG_NS0_5tupleIJPjSI_NS0_16reverse_iteratorISI_EEEEENSH_IJSG_SG_SG_EEES9_SI_JZNS1_25segmented_radix_sort_implINS0_14default_configELb1EPKsPsPKlPlN2at6native12_GLOBAL__N_18offset_tEEE10hipError_tPvRmT1_PNSt15iterator_traitsIS12_E10value_typeET2_T3_PNS13_IS18_E10value_typeET4_jRbjT5_S1E_jjP12ihipStream_tbEUljE_ZNSN_ISO_Lb1ESQ_SR_ST_SU_SY_EESZ_S10_S11_S12_S16_S17_S18_S1B_S1C_jS1D_jS1E_S1E_jjS1G_bEUljE0_EEESZ_S10_S11_S18_S1C_S1E_T6_T7_T9_mT8_S1G_bDpT10_ENKUlT_T0_E_clISt17integral_constantIbLb1EES1U_EEDaS1P_S1Q_EUlS1P_E_NS1_11comp_targetILNS1_3genE2ELNS1_11target_archE906ELNS1_3gpuE6ELNS1_3repE0EEENS1_30default_config_static_selectorELNS0_4arch9wavefront6targetE1EEEvS12_.num_named_barrier, 0
	.set _ZN7rocprim17ROCPRIM_400000_NS6detail17trampoline_kernelINS0_13select_configILj256ELj13ELNS0_17block_load_methodE3ELS4_3ELS4_3ELNS0_20block_scan_algorithmE0ELj4294967295EEENS1_25partition_config_selectorILNS1_17partition_subalgoE4EjNS0_10empty_typeEbEEZZNS1_14partition_implILS8_4ELb0ES6_15HIP_vector_typeIjLj2EENS0_17counting_iteratorIjlEEPS9_SG_NS0_5tupleIJPjSI_NS0_16reverse_iteratorISI_EEEEENSH_IJSG_SG_SG_EEES9_SI_JZNS1_25segmented_radix_sort_implINS0_14default_configELb1EPKsPsPKlPlN2at6native12_GLOBAL__N_18offset_tEEE10hipError_tPvRmT1_PNSt15iterator_traitsIS12_E10value_typeET2_T3_PNS13_IS18_E10value_typeET4_jRbjT5_S1E_jjP12ihipStream_tbEUljE_ZNSN_ISO_Lb1ESQ_SR_ST_SU_SY_EESZ_S10_S11_S12_S16_S17_S18_S1B_S1C_jS1D_jS1E_S1E_jjS1G_bEUljE0_EEESZ_S10_S11_S18_S1C_S1E_T6_T7_T9_mT8_S1G_bDpT10_ENKUlT_T0_E_clISt17integral_constantIbLb1EES1U_EEDaS1P_S1Q_EUlS1P_E_NS1_11comp_targetILNS1_3genE2ELNS1_11target_archE906ELNS1_3gpuE6ELNS1_3repE0EEENS1_30default_config_static_selectorELNS0_4arch9wavefront6targetE1EEEvS12_.private_seg_size, 0
	.set _ZN7rocprim17ROCPRIM_400000_NS6detail17trampoline_kernelINS0_13select_configILj256ELj13ELNS0_17block_load_methodE3ELS4_3ELS4_3ELNS0_20block_scan_algorithmE0ELj4294967295EEENS1_25partition_config_selectorILNS1_17partition_subalgoE4EjNS0_10empty_typeEbEEZZNS1_14partition_implILS8_4ELb0ES6_15HIP_vector_typeIjLj2EENS0_17counting_iteratorIjlEEPS9_SG_NS0_5tupleIJPjSI_NS0_16reverse_iteratorISI_EEEEENSH_IJSG_SG_SG_EEES9_SI_JZNS1_25segmented_radix_sort_implINS0_14default_configELb1EPKsPsPKlPlN2at6native12_GLOBAL__N_18offset_tEEE10hipError_tPvRmT1_PNSt15iterator_traitsIS12_E10value_typeET2_T3_PNS13_IS18_E10value_typeET4_jRbjT5_S1E_jjP12ihipStream_tbEUljE_ZNSN_ISO_Lb1ESQ_SR_ST_SU_SY_EESZ_S10_S11_S12_S16_S17_S18_S1B_S1C_jS1D_jS1E_S1E_jjS1G_bEUljE0_EEESZ_S10_S11_S18_S1C_S1E_T6_T7_T9_mT8_S1G_bDpT10_ENKUlT_T0_E_clISt17integral_constantIbLb1EES1U_EEDaS1P_S1Q_EUlS1P_E_NS1_11comp_targetILNS1_3genE2ELNS1_11target_archE906ELNS1_3gpuE6ELNS1_3repE0EEENS1_30default_config_static_selectorELNS0_4arch9wavefront6targetE1EEEvS12_.uses_vcc, 0
	.set _ZN7rocprim17ROCPRIM_400000_NS6detail17trampoline_kernelINS0_13select_configILj256ELj13ELNS0_17block_load_methodE3ELS4_3ELS4_3ELNS0_20block_scan_algorithmE0ELj4294967295EEENS1_25partition_config_selectorILNS1_17partition_subalgoE4EjNS0_10empty_typeEbEEZZNS1_14partition_implILS8_4ELb0ES6_15HIP_vector_typeIjLj2EENS0_17counting_iteratorIjlEEPS9_SG_NS0_5tupleIJPjSI_NS0_16reverse_iteratorISI_EEEEENSH_IJSG_SG_SG_EEES9_SI_JZNS1_25segmented_radix_sort_implINS0_14default_configELb1EPKsPsPKlPlN2at6native12_GLOBAL__N_18offset_tEEE10hipError_tPvRmT1_PNSt15iterator_traitsIS12_E10value_typeET2_T3_PNS13_IS18_E10value_typeET4_jRbjT5_S1E_jjP12ihipStream_tbEUljE_ZNSN_ISO_Lb1ESQ_SR_ST_SU_SY_EESZ_S10_S11_S12_S16_S17_S18_S1B_S1C_jS1D_jS1E_S1E_jjS1G_bEUljE0_EEESZ_S10_S11_S18_S1C_S1E_T6_T7_T9_mT8_S1G_bDpT10_ENKUlT_T0_E_clISt17integral_constantIbLb1EES1U_EEDaS1P_S1Q_EUlS1P_E_NS1_11comp_targetILNS1_3genE2ELNS1_11target_archE906ELNS1_3gpuE6ELNS1_3repE0EEENS1_30default_config_static_selectorELNS0_4arch9wavefront6targetE1EEEvS12_.uses_flat_scratch, 0
	.set _ZN7rocprim17ROCPRIM_400000_NS6detail17trampoline_kernelINS0_13select_configILj256ELj13ELNS0_17block_load_methodE3ELS4_3ELS4_3ELNS0_20block_scan_algorithmE0ELj4294967295EEENS1_25partition_config_selectorILNS1_17partition_subalgoE4EjNS0_10empty_typeEbEEZZNS1_14partition_implILS8_4ELb0ES6_15HIP_vector_typeIjLj2EENS0_17counting_iteratorIjlEEPS9_SG_NS0_5tupleIJPjSI_NS0_16reverse_iteratorISI_EEEEENSH_IJSG_SG_SG_EEES9_SI_JZNS1_25segmented_radix_sort_implINS0_14default_configELb1EPKsPsPKlPlN2at6native12_GLOBAL__N_18offset_tEEE10hipError_tPvRmT1_PNSt15iterator_traitsIS12_E10value_typeET2_T3_PNS13_IS18_E10value_typeET4_jRbjT5_S1E_jjP12ihipStream_tbEUljE_ZNSN_ISO_Lb1ESQ_SR_ST_SU_SY_EESZ_S10_S11_S12_S16_S17_S18_S1B_S1C_jS1D_jS1E_S1E_jjS1G_bEUljE0_EEESZ_S10_S11_S18_S1C_S1E_T6_T7_T9_mT8_S1G_bDpT10_ENKUlT_T0_E_clISt17integral_constantIbLb1EES1U_EEDaS1P_S1Q_EUlS1P_E_NS1_11comp_targetILNS1_3genE2ELNS1_11target_archE906ELNS1_3gpuE6ELNS1_3repE0EEENS1_30default_config_static_selectorELNS0_4arch9wavefront6targetE1EEEvS12_.has_dyn_sized_stack, 0
	.set _ZN7rocprim17ROCPRIM_400000_NS6detail17trampoline_kernelINS0_13select_configILj256ELj13ELNS0_17block_load_methodE3ELS4_3ELS4_3ELNS0_20block_scan_algorithmE0ELj4294967295EEENS1_25partition_config_selectorILNS1_17partition_subalgoE4EjNS0_10empty_typeEbEEZZNS1_14partition_implILS8_4ELb0ES6_15HIP_vector_typeIjLj2EENS0_17counting_iteratorIjlEEPS9_SG_NS0_5tupleIJPjSI_NS0_16reverse_iteratorISI_EEEEENSH_IJSG_SG_SG_EEES9_SI_JZNS1_25segmented_radix_sort_implINS0_14default_configELb1EPKsPsPKlPlN2at6native12_GLOBAL__N_18offset_tEEE10hipError_tPvRmT1_PNSt15iterator_traitsIS12_E10value_typeET2_T3_PNS13_IS18_E10value_typeET4_jRbjT5_S1E_jjP12ihipStream_tbEUljE_ZNSN_ISO_Lb1ESQ_SR_ST_SU_SY_EESZ_S10_S11_S12_S16_S17_S18_S1B_S1C_jS1D_jS1E_S1E_jjS1G_bEUljE0_EEESZ_S10_S11_S18_S1C_S1E_T6_T7_T9_mT8_S1G_bDpT10_ENKUlT_T0_E_clISt17integral_constantIbLb1EES1U_EEDaS1P_S1Q_EUlS1P_E_NS1_11comp_targetILNS1_3genE2ELNS1_11target_archE906ELNS1_3gpuE6ELNS1_3repE0EEENS1_30default_config_static_selectorELNS0_4arch9wavefront6targetE1EEEvS12_.has_recursion, 0
	.set _ZN7rocprim17ROCPRIM_400000_NS6detail17trampoline_kernelINS0_13select_configILj256ELj13ELNS0_17block_load_methodE3ELS4_3ELS4_3ELNS0_20block_scan_algorithmE0ELj4294967295EEENS1_25partition_config_selectorILNS1_17partition_subalgoE4EjNS0_10empty_typeEbEEZZNS1_14partition_implILS8_4ELb0ES6_15HIP_vector_typeIjLj2EENS0_17counting_iteratorIjlEEPS9_SG_NS0_5tupleIJPjSI_NS0_16reverse_iteratorISI_EEEEENSH_IJSG_SG_SG_EEES9_SI_JZNS1_25segmented_radix_sort_implINS0_14default_configELb1EPKsPsPKlPlN2at6native12_GLOBAL__N_18offset_tEEE10hipError_tPvRmT1_PNSt15iterator_traitsIS12_E10value_typeET2_T3_PNS13_IS18_E10value_typeET4_jRbjT5_S1E_jjP12ihipStream_tbEUljE_ZNSN_ISO_Lb1ESQ_SR_ST_SU_SY_EESZ_S10_S11_S12_S16_S17_S18_S1B_S1C_jS1D_jS1E_S1E_jjS1G_bEUljE0_EEESZ_S10_S11_S18_S1C_S1E_T6_T7_T9_mT8_S1G_bDpT10_ENKUlT_T0_E_clISt17integral_constantIbLb1EES1U_EEDaS1P_S1Q_EUlS1P_E_NS1_11comp_targetILNS1_3genE2ELNS1_11target_archE906ELNS1_3gpuE6ELNS1_3repE0EEENS1_30default_config_static_selectorELNS0_4arch9wavefront6targetE1EEEvS12_.has_indirect_call, 0
	.section	.AMDGPU.csdata,"",@progbits
; Kernel info:
; codeLenInByte = 4
; TotalNumSgprs: 4
; NumVgprs: 0
; ScratchSize: 0
; MemoryBound: 0
; FloatMode: 240
; IeeeMode: 1
; LDSByteSize: 0 bytes/workgroup (compile time only)
; SGPRBlocks: 0
; VGPRBlocks: 0
; NumSGPRsForWavesPerEU: 4
; NumVGPRsForWavesPerEU: 1
; Occupancy: 10
; WaveLimiterHint : 0
; COMPUTE_PGM_RSRC2:SCRATCH_EN: 0
; COMPUTE_PGM_RSRC2:USER_SGPR: 6
; COMPUTE_PGM_RSRC2:TRAP_HANDLER: 0
; COMPUTE_PGM_RSRC2:TGID_X_EN: 1
; COMPUTE_PGM_RSRC2:TGID_Y_EN: 0
; COMPUTE_PGM_RSRC2:TGID_Z_EN: 0
; COMPUTE_PGM_RSRC2:TIDIG_COMP_CNT: 0
	.section	.text._ZN7rocprim17ROCPRIM_400000_NS6detail17trampoline_kernelINS0_13select_configILj256ELj13ELNS0_17block_load_methodE3ELS4_3ELS4_3ELNS0_20block_scan_algorithmE0ELj4294967295EEENS1_25partition_config_selectorILNS1_17partition_subalgoE4EjNS0_10empty_typeEbEEZZNS1_14partition_implILS8_4ELb0ES6_15HIP_vector_typeIjLj2EENS0_17counting_iteratorIjlEEPS9_SG_NS0_5tupleIJPjSI_NS0_16reverse_iteratorISI_EEEEENSH_IJSG_SG_SG_EEES9_SI_JZNS1_25segmented_radix_sort_implINS0_14default_configELb1EPKsPsPKlPlN2at6native12_GLOBAL__N_18offset_tEEE10hipError_tPvRmT1_PNSt15iterator_traitsIS12_E10value_typeET2_T3_PNS13_IS18_E10value_typeET4_jRbjT5_S1E_jjP12ihipStream_tbEUljE_ZNSN_ISO_Lb1ESQ_SR_ST_SU_SY_EESZ_S10_S11_S12_S16_S17_S18_S1B_S1C_jS1D_jS1E_S1E_jjS1G_bEUljE0_EEESZ_S10_S11_S18_S1C_S1E_T6_T7_T9_mT8_S1G_bDpT10_ENKUlT_T0_E_clISt17integral_constantIbLb1EES1U_EEDaS1P_S1Q_EUlS1P_E_NS1_11comp_targetILNS1_3genE10ELNS1_11target_archE1200ELNS1_3gpuE4ELNS1_3repE0EEENS1_30default_config_static_selectorELNS0_4arch9wavefront6targetE1EEEvS12_,"axG",@progbits,_ZN7rocprim17ROCPRIM_400000_NS6detail17trampoline_kernelINS0_13select_configILj256ELj13ELNS0_17block_load_methodE3ELS4_3ELS4_3ELNS0_20block_scan_algorithmE0ELj4294967295EEENS1_25partition_config_selectorILNS1_17partition_subalgoE4EjNS0_10empty_typeEbEEZZNS1_14partition_implILS8_4ELb0ES6_15HIP_vector_typeIjLj2EENS0_17counting_iteratorIjlEEPS9_SG_NS0_5tupleIJPjSI_NS0_16reverse_iteratorISI_EEEEENSH_IJSG_SG_SG_EEES9_SI_JZNS1_25segmented_radix_sort_implINS0_14default_configELb1EPKsPsPKlPlN2at6native12_GLOBAL__N_18offset_tEEE10hipError_tPvRmT1_PNSt15iterator_traitsIS12_E10value_typeET2_T3_PNS13_IS18_E10value_typeET4_jRbjT5_S1E_jjP12ihipStream_tbEUljE_ZNSN_ISO_Lb1ESQ_SR_ST_SU_SY_EESZ_S10_S11_S12_S16_S17_S18_S1B_S1C_jS1D_jS1E_S1E_jjS1G_bEUljE0_EEESZ_S10_S11_S18_S1C_S1E_T6_T7_T9_mT8_S1G_bDpT10_ENKUlT_T0_E_clISt17integral_constantIbLb1EES1U_EEDaS1P_S1Q_EUlS1P_E_NS1_11comp_targetILNS1_3genE10ELNS1_11target_archE1200ELNS1_3gpuE4ELNS1_3repE0EEENS1_30default_config_static_selectorELNS0_4arch9wavefront6targetE1EEEvS12_,comdat
	.globl	_ZN7rocprim17ROCPRIM_400000_NS6detail17trampoline_kernelINS0_13select_configILj256ELj13ELNS0_17block_load_methodE3ELS4_3ELS4_3ELNS0_20block_scan_algorithmE0ELj4294967295EEENS1_25partition_config_selectorILNS1_17partition_subalgoE4EjNS0_10empty_typeEbEEZZNS1_14partition_implILS8_4ELb0ES6_15HIP_vector_typeIjLj2EENS0_17counting_iteratorIjlEEPS9_SG_NS0_5tupleIJPjSI_NS0_16reverse_iteratorISI_EEEEENSH_IJSG_SG_SG_EEES9_SI_JZNS1_25segmented_radix_sort_implINS0_14default_configELb1EPKsPsPKlPlN2at6native12_GLOBAL__N_18offset_tEEE10hipError_tPvRmT1_PNSt15iterator_traitsIS12_E10value_typeET2_T3_PNS13_IS18_E10value_typeET4_jRbjT5_S1E_jjP12ihipStream_tbEUljE_ZNSN_ISO_Lb1ESQ_SR_ST_SU_SY_EESZ_S10_S11_S12_S16_S17_S18_S1B_S1C_jS1D_jS1E_S1E_jjS1G_bEUljE0_EEESZ_S10_S11_S18_S1C_S1E_T6_T7_T9_mT8_S1G_bDpT10_ENKUlT_T0_E_clISt17integral_constantIbLb1EES1U_EEDaS1P_S1Q_EUlS1P_E_NS1_11comp_targetILNS1_3genE10ELNS1_11target_archE1200ELNS1_3gpuE4ELNS1_3repE0EEENS1_30default_config_static_selectorELNS0_4arch9wavefront6targetE1EEEvS12_ ; -- Begin function _ZN7rocprim17ROCPRIM_400000_NS6detail17trampoline_kernelINS0_13select_configILj256ELj13ELNS0_17block_load_methodE3ELS4_3ELS4_3ELNS0_20block_scan_algorithmE0ELj4294967295EEENS1_25partition_config_selectorILNS1_17partition_subalgoE4EjNS0_10empty_typeEbEEZZNS1_14partition_implILS8_4ELb0ES6_15HIP_vector_typeIjLj2EENS0_17counting_iteratorIjlEEPS9_SG_NS0_5tupleIJPjSI_NS0_16reverse_iteratorISI_EEEEENSH_IJSG_SG_SG_EEES9_SI_JZNS1_25segmented_radix_sort_implINS0_14default_configELb1EPKsPsPKlPlN2at6native12_GLOBAL__N_18offset_tEEE10hipError_tPvRmT1_PNSt15iterator_traitsIS12_E10value_typeET2_T3_PNS13_IS18_E10value_typeET4_jRbjT5_S1E_jjP12ihipStream_tbEUljE_ZNSN_ISO_Lb1ESQ_SR_ST_SU_SY_EESZ_S10_S11_S12_S16_S17_S18_S1B_S1C_jS1D_jS1E_S1E_jjS1G_bEUljE0_EEESZ_S10_S11_S18_S1C_S1E_T6_T7_T9_mT8_S1G_bDpT10_ENKUlT_T0_E_clISt17integral_constantIbLb1EES1U_EEDaS1P_S1Q_EUlS1P_E_NS1_11comp_targetILNS1_3genE10ELNS1_11target_archE1200ELNS1_3gpuE4ELNS1_3repE0EEENS1_30default_config_static_selectorELNS0_4arch9wavefront6targetE1EEEvS12_
	.p2align	8
	.type	_ZN7rocprim17ROCPRIM_400000_NS6detail17trampoline_kernelINS0_13select_configILj256ELj13ELNS0_17block_load_methodE3ELS4_3ELS4_3ELNS0_20block_scan_algorithmE0ELj4294967295EEENS1_25partition_config_selectorILNS1_17partition_subalgoE4EjNS0_10empty_typeEbEEZZNS1_14partition_implILS8_4ELb0ES6_15HIP_vector_typeIjLj2EENS0_17counting_iteratorIjlEEPS9_SG_NS0_5tupleIJPjSI_NS0_16reverse_iteratorISI_EEEEENSH_IJSG_SG_SG_EEES9_SI_JZNS1_25segmented_radix_sort_implINS0_14default_configELb1EPKsPsPKlPlN2at6native12_GLOBAL__N_18offset_tEEE10hipError_tPvRmT1_PNSt15iterator_traitsIS12_E10value_typeET2_T3_PNS13_IS18_E10value_typeET4_jRbjT5_S1E_jjP12ihipStream_tbEUljE_ZNSN_ISO_Lb1ESQ_SR_ST_SU_SY_EESZ_S10_S11_S12_S16_S17_S18_S1B_S1C_jS1D_jS1E_S1E_jjS1G_bEUljE0_EEESZ_S10_S11_S18_S1C_S1E_T6_T7_T9_mT8_S1G_bDpT10_ENKUlT_T0_E_clISt17integral_constantIbLb1EES1U_EEDaS1P_S1Q_EUlS1P_E_NS1_11comp_targetILNS1_3genE10ELNS1_11target_archE1200ELNS1_3gpuE4ELNS1_3repE0EEENS1_30default_config_static_selectorELNS0_4arch9wavefront6targetE1EEEvS12_,@function
_ZN7rocprim17ROCPRIM_400000_NS6detail17trampoline_kernelINS0_13select_configILj256ELj13ELNS0_17block_load_methodE3ELS4_3ELS4_3ELNS0_20block_scan_algorithmE0ELj4294967295EEENS1_25partition_config_selectorILNS1_17partition_subalgoE4EjNS0_10empty_typeEbEEZZNS1_14partition_implILS8_4ELb0ES6_15HIP_vector_typeIjLj2EENS0_17counting_iteratorIjlEEPS9_SG_NS0_5tupleIJPjSI_NS0_16reverse_iteratorISI_EEEEENSH_IJSG_SG_SG_EEES9_SI_JZNS1_25segmented_radix_sort_implINS0_14default_configELb1EPKsPsPKlPlN2at6native12_GLOBAL__N_18offset_tEEE10hipError_tPvRmT1_PNSt15iterator_traitsIS12_E10value_typeET2_T3_PNS13_IS18_E10value_typeET4_jRbjT5_S1E_jjP12ihipStream_tbEUljE_ZNSN_ISO_Lb1ESQ_SR_ST_SU_SY_EESZ_S10_S11_S12_S16_S17_S18_S1B_S1C_jS1D_jS1E_S1E_jjS1G_bEUljE0_EEESZ_S10_S11_S18_S1C_S1E_T6_T7_T9_mT8_S1G_bDpT10_ENKUlT_T0_E_clISt17integral_constantIbLb1EES1U_EEDaS1P_S1Q_EUlS1P_E_NS1_11comp_targetILNS1_3genE10ELNS1_11target_archE1200ELNS1_3gpuE4ELNS1_3repE0EEENS1_30default_config_static_selectorELNS0_4arch9wavefront6targetE1EEEvS12_: ; @_ZN7rocprim17ROCPRIM_400000_NS6detail17trampoline_kernelINS0_13select_configILj256ELj13ELNS0_17block_load_methodE3ELS4_3ELS4_3ELNS0_20block_scan_algorithmE0ELj4294967295EEENS1_25partition_config_selectorILNS1_17partition_subalgoE4EjNS0_10empty_typeEbEEZZNS1_14partition_implILS8_4ELb0ES6_15HIP_vector_typeIjLj2EENS0_17counting_iteratorIjlEEPS9_SG_NS0_5tupleIJPjSI_NS0_16reverse_iteratorISI_EEEEENSH_IJSG_SG_SG_EEES9_SI_JZNS1_25segmented_radix_sort_implINS0_14default_configELb1EPKsPsPKlPlN2at6native12_GLOBAL__N_18offset_tEEE10hipError_tPvRmT1_PNSt15iterator_traitsIS12_E10value_typeET2_T3_PNS13_IS18_E10value_typeET4_jRbjT5_S1E_jjP12ihipStream_tbEUljE_ZNSN_ISO_Lb1ESQ_SR_ST_SU_SY_EESZ_S10_S11_S12_S16_S17_S18_S1B_S1C_jS1D_jS1E_S1E_jjS1G_bEUljE0_EEESZ_S10_S11_S18_S1C_S1E_T6_T7_T9_mT8_S1G_bDpT10_ENKUlT_T0_E_clISt17integral_constantIbLb1EES1U_EEDaS1P_S1Q_EUlS1P_E_NS1_11comp_targetILNS1_3genE10ELNS1_11target_archE1200ELNS1_3gpuE4ELNS1_3repE0EEENS1_30default_config_static_selectorELNS0_4arch9wavefront6targetE1EEEvS12_
; %bb.0:
	.section	.rodata,"a",@progbits
	.p2align	6, 0x0
	.amdhsa_kernel _ZN7rocprim17ROCPRIM_400000_NS6detail17trampoline_kernelINS0_13select_configILj256ELj13ELNS0_17block_load_methodE3ELS4_3ELS4_3ELNS0_20block_scan_algorithmE0ELj4294967295EEENS1_25partition_config_selectorILNS1_17partition_subalgoE4EjNS0_10empty_typeEbEEZZNS1_14partition_implILS8_4ELb0ES6_15HIP_vector_typeIjLj2EENS0_17counting_iteratorIjlEEPS9_SG_NS0_5tupleIJPjSI_NS0_16reverse_iteratorISI_EEEEENSH_IJSG_SG_SG_EEES9_SI_JZNS1_25segmented_radix_sort_implINS0_14default_configELb1EPKsPsPKlPlN2at6native12_GLOBAL__N_18offset_tEEE10hipError_tPvRmT1_PNSt15iterator_traitsIS12_E10value_typeET2_T3_PNS13_IS18_E10value_typeET4_jRbjT5_S1E_jjP12ihipStream_tbEUljE_ZNSN_ISO_Lb1ESQ_SR_ST_SU_SY_EESZ_S10_S11_S12_S16_S17_S18_S1B_S1C_jS1D_jS1E_S1E_jjS1G_bEUljE0_EEESZ_S10_S11_S18_S1C_S1E_T6_T7_T9_mT8_S1G_bDpT10_ENKUlT_T0_E_clISt17integral_constantIbLb1EES1U_EEDaS1P_S1Q_EUlS1P_E_NS1_11comp_targetILNS1_3genE10ELNS1_11target_archE1200ELNS1_3gpuE4ELNS1_3repE0EEENS1_30default_config_static_selectorELNS0_4arch9wavefront6targetE1EEEvS12_
		.amdhsa_group_segment_fixed_size 0
		.amdhsa_private_segment_fixed_size 0
		.amdhsa_kernarg_size 184
		.amdhsa_user_sgpr_count 6
		.amdhsa_user_sgpr_private_segment_buffer 1
		.amdhsa_user_sgpr_dispatch_ptr 0
		.amdhsa_user_sgpr_queue_ptr 0
		.amdhsa_user_sgpr_kernarg_segment_ptr 1
		.amdhsa_user_sgpr_dispatch_id 0
		.amdhsa_user_sgpr_flat_scratch_init 0
		.amdhsa_user_sgpr_private_segment_size 0
		.amdhsa_uses_dynamic_stack 0
		.amdhsa_system_sgpr_private_segment_wavefront_offset 0
		.amdhsa_system_sgpr_workgroup_id_x 1
		.amdhsa_system_sgpr_workgroup_id_y 0
		.amdhsa_system_sgpr_workgroup_id_z 0
		.amdhsa_system_sgpr_workgroup_info 0
		.amdhsa_system_vgpr_workitem_id 0
		.amdhsa_next_free_vgpr 1
		.amdhsa_next_free_sgpr 0
		.amdhsa_reserve_vcc 0
		.amdhsa_reserve_flat_scratch 0
		.amdhsa_float_round_mode_32 0
		.amdhsa_float_round_mode_16_64 0
		.amdhsa_float_denorm_mode_32 3
		.amdhsa_float_denorm_mode_16_64 3
		.amdhsa_dx10_clamp 1
		.amdhsa_ieee_mode 1
		.amdhsa_fp16_overflow 0
		.amdhsa_exception_fp_ieee_invalid_op 0
		.amdhsa_exception_fp_denorm_src 0
		.amdhsa_exception_fp_ieee_div_zero 0
		.amdhsa_exception_fp_ieee_overflow 0
		.amdhsa_exception_fp_ieee_underflow 0
		.amdhsa_exception_fp_ieee_inexact 0
		.amdhsa_exception_int_div_zero 0
	.end_amdhsa_kernel
	.section	.text._ZN7rocprim17ROCPRIM_400000_NS6detail17trampoline_kernelINS0_13select_configILj256ELj13ELNS0_17block_load_methodE3ELS4_3ELS4_3ELNS0_20block_scan_algorithmE0ELj4294967295EEENS1_25partition_config_selectorILNS1_17partition_subalgoE4EjNS0_10empty_typeEbEEZZNS1_14partition_implILS8_4ELb0ES6_15HIP_vector_typeIjLj2EENS0_17counting_iteratorIjlEEPS9_SG_NS0_5tupleIJPjSI_NS0_16reverse_iteratorISI_EEEEENSH_IJSG_SG_SG_EEES9_SI_JZNS1_25segmented_radix_sort_implINS0_14default_configELb1EPKsPsPKlPlN2at6native12_GLOBAL__N_18offset_tEEE10hipError_tPvRmT1_PNSt15iterator_traitsIS12_E10value_typeET2_T3_PNS13_IS18_E10value_typeET4_jRbjT5_S1E_jjP12ihipStream_tbEUljE_ZNSN_ISO_Lb1ESQ_SR_ST_SU_SY_EESZ_S10_S11_S12_S16_S17_S18_S1B_S1C_jS1D_jS1E_S1E_jjS1G_bEUljE0_EEESZ_S10_S11_S18_S1C_S1E_T6_T7_T9_mT8_S1G_bDpT10_ENKUlT_T0_E_clISt17integral_constantIbLb1EES1U_EEDaS1P_S1Q_EUlS1P_E_NS1_11comp_targetILNS1_3genE10ELNS1_11target_archE1200ELNS1_3gpuE4ELNS1_3repE0EEENS1_30default_config_static_selectorELNS0_4arch9wavefront6targetE1EEEvS12_,"axG",@progbits,_ZN7rocprim17ROCPRIM_400000_NS6detail17trampoline_kernelINS0_13select_configILj256ELj13ELNS0_17block_load_methodE3ELS4_3ELS4_3ELNS0_20block_scan_algorithmE0ELj4294967295EEENS1_25partition_config_selectorILNS1_17partition_subalgoE4EjNS0_10empty_typeEbEEZZNS1_14partition_implILS8_4ELb0ES6_15HIP_vector_typeIjLj2EENS0_17counting_iteratorIjlEEPS9_SG_NS0_5tupleIJPjSI_NS0_16reverse_iteratorISI_EEEEENSH_IJSG_SG_SG_EEES9_SI_JZNS1_25segmented_radix_sort_implINS0_14default_configELb1EPKsPsPKlPlN2at6native12_GLOBAL__N_18offset_tEEE10hipError_tPvRmT1_PNSt15iterator_traitsIS12_E10value_typeET2_T3_PNS13_IS18_E10value_typeET4_jRbjT5_S1E_jjP12ihipStream_tbEUljE_ZNSN_ISO_Lb1ESQ_SR_ST_SU_SY_EESZ_S10_S11_S12_S16_S17_S18_S1B_S1C_jS1D_jS1E_S1E_jjS1G_bEUljE0_EEESZ_S10_S11_S18_S1C_S1E_T6_T7_T9_mT8_S1G_bDpT10_ENKUlT_T0_E_clISt17integral_constantIbLb1EES1U_EEDaS1P_S1Q_EUlS1P_E_NS1_11comp_targetILNS1_3genE10ELNS1_11target_archE1200ELNS1_3gpuE4ELNS1_3repE0EEENS1_30default_config_static_selectorELNS0_4arch9wavefront6targetE1EEEvS12_,comdat
.Lfunc_end860:
	.size	_ZN7rocprim17ROCPRIM_400000_NS6detail17trampoline_kernelINS0_13select_configILj256ELj13ELNS0_17block_load_methodE3ELS4_3ELS4_3ELNS0_20block_scan_algorithmE0ELj4294967295EEENS1_25partition_config_selectorILNS1_17partition_subalgoE4EjNS0_10empty_typeEbEEZZNS1_14partition_implILS8_4ELb0ES6_15HIP_vector_typeIjLj2EENS0_17counting_iteratorIjlEEPS9_SG_NS0_5tupleIJPjSI_NS0_16reverse_iteratorISI_EEEEENSH_IJSG_SG_SG_EEES9_SI_JZNS1_25segmented_radix_sort_implINS0_14default_configELb1EPKsPsPKlPlN2at6native12_GLOBAL__N_18offset_tEEE10hipError_tPvRmT1_PNSt15iterator_traitsIS12_E10value_typeET2_T3_PNS13_IS18_E10value_typeET4_jRbjT5_S1E_jjP12ihipStream_tbEUljE_ZNSN_ISO_Lb1ESQ_SR_ST_SU_SY_EESZ_S10_S11_S12_S16_S17_S18_S1B_S1C_jS1D_jS1E_S1E_jjS1G_bEUljE0_EEESZ_S10_S11_S18_S1C_S1E_T6_T7_T9_mT8_S1G_bDpT10_ENKUlT_T0_E_clISt17integral_constantIbLb1EES1U_EEDaS1P_S1Q_EUlS1P_E_NS1_11comp_targetILNS1_3genE10ELNS1_11target_archE1200ELNS1_3gpuE4ELNS1_3repE0EEENS1_30default_config_static_selectorELNS0_4arch9wavefront6targetE1EEEvS12_, .Lfunc_end860-_ZN7rocprim17ROCPRIM_400000_NS6detail17trampoline_kernelINS0_13select_configILj256ELj13ELNS0_17block_load_methodE3ELS4_3ELS4_3ELNS0_20block_scan_algorithmE0ELj4294967295EEENS1_25partition_config_selectorILNS1_17partition_subalgoE4EjNS0_10empty_typeEbEEZZNS1_14partition_implILS8_4ELb0ES6_15HIP_vector_typeIjLj2EENS0_17counting_iteratorIjlEEPS9_SG_NS0_5tupleIJPjSI_NS0_16reverse_iteratorISI_EEEEENSH_IJSG_SG_SG_EEES9_SI_JZNS1_25segmented_radix_sort_implINS0_14default_configELb1EPKsPsPKlPlN2at6native12_GLOBAL__N_18offset_tEEE10hipError_tPvRmT1_PNSt15iterator_traitsIS12_E10value_typeET2_T3_PNS13_IS18_E10value_typeET4_jRbjT5_S1E_jjP12ihipStream_tbEUljE_ZNSN_ISO_Lb1ESQ_SR_ST_SU_SY_EESZ_S10_S11_S12_S16_S17_S18_S1B_S1C_jS1D_jS1E_S1E_jjS1G_bEUljE0_EEESZ_S10_S11_S18_S1C_S1E_T6_T7_T9_mT8_S1G_bDpT10_ENKUlT_T0_E_clISt17integral_constantIbLb1EES1U_EEDaS1P_S1Q_EUlS1P_E_NS1_11comp_targetILNS1_3genE10ELNS1_11target_archE1200ELNS1_3gpuE4ELNS1_3repE0EEENS1_30default_config_static_selectorELNS0_4arch9wavefront6targetE1EEEvS12_
                                        ; -- End function
	.set _ZN7rocprim17ROCPRIM_400000_NS6detail17trampoline_kernelINS0_13select_configILj256ELj13ELNS0_17block_load_methodE3ELS4_3ELS4_3ELNS0_20block_scan_algorithmE0ELj4294967295EEENS1_25partition_config_selectorILNS1_17partition_subalgoE4EjNS0_10empty_typeEbEEZZNS1_14partition_implILS8_4ELb0ES6_15HIP_vector_typeIjLj2EENS0_17counting_iteratorIjlEEPS9_SG_NS0_5tupleIJPjSI_NS0_16reverse_iteratorISI_EEEEENSH_IJSG_SG_SG_EEES9_SI_JZNS1_25segmented_radix_sort_implINS0_14default_configELb1EPKsPsPKlPlN2at6native12_GLOBAL__N_18offset_tEEE10hipError_tPvRmT1_PNSt15iterator_traitsIS12_E10value_typeET2_T3_PNS13_IS18_E10value_typeET4_jRbjT5_S1E_jjP12ihipStream_tbEUljE_ZNSN_ISO_Lb1ESQ_SR_ST_SU_SY_EESZ_S10_S11_S12_S16_S17_S18_S1B_S1C_jS1D_jS1E_S1E_jjS1G_bEUljE0_EEESZ_S10_S11_S18_S1C_S1E_T6_T7_T9_mT8_S1G_bDpT10_ENKUlT_T0_E_clISt17integral_constantIbLb1EES1U_EEDaS1P_S1Q_EUlS1P_E_NS1_11comp_targetILNS1_3genE10ELNS1_11target_archE1200ELNS1_3gpuE4ELNS1_3repE0EEENS1_30default_config_static_selectorELNS0_4arch9wavefront6targetE1EEEvS12_.num_vgpr, 0
	.set _ZN7rocprim17ROCPRIM_400000_NS6detail17trampoline_kernelINS0_13select_configILj256ELj13ELNS0_17block_load_methodE3ELS4_3ELS4_3ELNS0_20block_scan_algorithmE0ELj4294967295EEENS1_25partition_config_selectorILNS1_17partition_subalgoE4EjNS0_10empty_typeEbEEZZNS1_14partition_implILS8_4ELb0ES6_15HIP_vector_typeIjLj2EENS0_17counting_iteratorIjlEEPS9_SG_NS0_5tupleIJPjSI_NS0_16reverse_iteratorISI_EEEEENSH_IJSG_SG_SG_EEES9_SI_JZNS1_25segmented_radix_sort_implINS0_14default_configELb1EPKsPsPKlPlN2at6native12_GLOBAL__N_18offset_tEEE10hipError_tPvRmT1_PNSt15iterator_traitsIS12_E10value_typeET2_T3_PNS13_IS18_E10value_typeET4_jRbjT5_S1E_jjP12ihipStream_tbEUljE_ZNSN_ISO_Lb1ESQ_SR_ST_SU_SY_EESZ_S10_S11_S12_S16_S17_S18_S1B_S1C_jS1D_jS1E_S1E_jjS1G_bEUljE0_EEESZ_S10_S11_S18_S1C_S1E_T6_T7_T9_mT8_S1G_bDpT10_ENKUlT_T0_E_clISt17integral_constantIbLb1EES1U_EEDaS1P_S1Q_EUlS1P_E_NS1_11comp_targetILNS1_3genE10ELNS1_11target_archE1200ELNS1_3gpuE4ELNS1_3repE0EEENS1_30default_config_static_selectorELNS0_4arch9wavefront6targetE1EEEvS12_.num_agpr, 0
	.set _ZN7rocprim17ROCPRIM_400000_NS6detail17trampoline_kernelINS0_13select_configILj256ELj13ELNS0_17block_load_methodE3ELS4_3ELS4_3ELNS0_20block_scan_algorithmE0ELj4294967295EEENS1_25partition_config_selectorILNS1_17partition_subalgoE4EjNS0_10empty_typeEbEEZZNS1_14partition_implILS8_4ELb0ES6_15HIP_vector_typeIjLj2EENS0_17counting_iteratorIjlEEPS9_SG_NS0_5tupleIJPjSI_NS0_16reverse_iteratorISI_EEEEENSH_IJSG_SG_SG_EEES9_SI_JZNS1_25segmented_radix_sort_implINS0_14default_configELb1EPKsPsPKlPlN2at6native12_GLOBAL__N_18offset_tEEE10hipError_tPvRmT1_PNSt15iterator_traitsIS12_E10value_typeET2_T3_PNS13_IS18_E10value_typeET4_jRbjT5_S1E_jjP12ihipStream_tbEUljE_ZNSN_ISO_Lb1ESQ_SR_ST_SU_SY_EESZ_S10_S11_S12_S16_S17_S18_S1B_S1C_jS1D_jS1E_S1E_jjS1G_bEUljE0_EEESZ_S10_S11_S18_S1C_S1E_T6_T7_T9_mT8_S1G_bDpT10_ENKUlT_T0_E_clISt17integral_constantIbLb1EES1U_EEDaS1P_S1Q_EUlS1P_E_NS1_11comp_targetILNS1_3genE10ELNS1_11target_archE1200ELNS1_3gpuE4ELNS1_3repE0EEENS1_30default_config_static_selectorELNS0_4arch9wavefront6targetE1EEEvS12_.numbered_sgpr, 0
	.set _ZN7rocprim17ROCPRIM_400000_NS6detail17trampoline_kernelINS0_13select_configILj256ELj13ELNS0_17block_load_methodE3ELS4_3ELS4_3ELNS0_20block_scan_algorithmE0ELj4294967295EEENS1_25partition_config_selectorILNS1_17partition_subalgoE4EjNS0_10empty_typeEbEEZZNS1_14partition_implILS8_4ELb0ES6_15HIP_vector_typeIjLj2EENS0_17counting_iteratorIjlEEPS9_SG_NS0_5tupleIJPjSI_NS0_16reverse_iteratorISI_EEEEENSH_IJSG_SG_SG_EEES9_SI_JZNS1_25segmented_radix_sort_implINS0_14default_configELb1EPKsPsPKlPlN2at6native12_GLOBAL__N_18offset_tEEE10hipError_tPvRmT1_PNSt15iterator_traitsIS12_E10value_typeET2_T3_PNS13_IS18_E10value_typeET4_jRbjT5_S1E_jjP12ihipStream_tbEUljE_ZNSN_ISO_Lb1ESQ_SR_ST_SU_SY_EESZ_S10_S11_S12_S16_S17_S18_S1B_S1C_jS1D_jS1E_S1E_jjS1G_bEUljE0_EEESZ_S10_S11_S18_S1C_S1E_T6_T7_T9_mT8_S1G_bDpT10_ENKUlT_T0_E_clISt17integral_constantIbLb1EES1U_EEDaS1P_S1Q_EUlS1P_E_NS1_11comp_targetILNS1_3genE10ELNS1_11target_archE1200ELNS1_3gpuE4ELNS1_3repE0EEENS1_30default_config_static_selectorELNS0_4arch9wavefront6targetE1EEEvS12_.num_named_barrier, 0
	.set _ZN7rocprim17ROCPRIM_400000_NS6detail17trampoline_kernelINS0_13select_configILj256ELj13ELNS0_17block_load_methodE3ELS4_3ELS4_3ELNS0_20block_scan_algorithmE0ELj4294967295EEENS1_25partition_config_selectorILNS1_17partition_subalgoE4EjNS0_10empty_typeEbEEZZNS1_14partition_implILS8_4ELb0ES6_15HIP_vector_typeIjLj2EENS0_17counting_iteratorIjlEEPS9_SG_NS0_5tupleIJPjSI_NS0_16reverse_iteratorISI_EEEEENSH_IJSG_SG_SG_EEES9_SI_JZNS1_25segmented_radix_sort_implINS0_14default_configELb1EPKsPsPKlPlN2at6native12_GLOBAL__N_18offset_tEEE10hipError_tPvRmT1_PNSt15iterator_traitsIS12_E10value_typeET2_T3_PNS13_IS18_E10value_typeET4_jRbjT5_S1E_jjP12ihipStream_tbEUljE_ZNSN_ISO_Lb1ESQ_SR_ST_SU_SY_EESZ_S10_S11_S12_S16_S17_S18_S1B_S1C_jS1D_jS1E_S1E_jjS1G_bEUljE0_EEESZ_S10_S11_S18_S1C_S1E_T6_T7_T9_mT8_S1G_bDpT10_ENKUlT_T0_E_clISt17integral_constantIbLb1EES1U_EEDaS1P_S1Q_EUlS1P_E_NS1_11comp_targetILNS1_3genE10ELNS1_11target_archE1200ELNS1_3gpuE4ELNS1_3repE0EEENS1_30default_config_static_selectorELNS0_4arch9wavefront6targetE1EEEvS12_.private_seg_size, 0
	.set _ZN7rocprim17ROCPRIM_400000_NS6detail17trampoline_kernelINS0_13select_configILj256ELj13ELNS0_17block_load_methodE3ELS4_3ELS4_3ELNS0_20block_scan_algorithmE0ELj4294967295EEENS1_25partition_config_selectorILNS1_17partition_subalgoE4EjNS0_10empty_typeEbEEZZNS1_14partition_implILS8_4ELb0ES6_15HIP_vector_typeIjLj2EENS0_17counting_iteratorIjlEEPS9_SG_NS0_5tupleIJPjSI_NS0_16reverse_iteratorISI_EEEEENSH_IJSG_SG_SG_EEES9_SI_JZNS1_25segmented_radix_sort_implINS0_14default_configELb1EPKsPsPKlPlN2at6native12_GLOBAL__N_18offset_tEEE10hipError_tPvRmT1_PNSt15iterator_traitsIS12_E10value_typeET2_T3_PNS13_IS18_E10value_typeET4_jRbjT5_S1E_jjP12ihipStream_tbEUljE_ZNSN_ISO_Lb1ESQ_SR_ST_SU_SY_EESZ_S10_S11_S12_S16_S17_S18_S1B_S1C_jS1D_jS1E_S1E_jjS1G_bEUljE0_EEESZ_S10_S11_S18_S1C_S1E_T6_T7_T9_mT8_S1G_bDpT10_ENKUlT_T0_E_clISt17integral_constantIbLb1EES1U_EEDaS1P_S1Q_EUlS1P_E_NS1_11comp_targetILNS1_3genE10ELNS1_11target_archE1200ELNS1_3gpuE4ELNS1_3repE0EEENS1_30default_config_static_selectorELNS0_4arch9wavefront6targetE1EEEvS12_.uses_vcc, 0
	.set _ZN7rocprim17ROCPRIM_400000_NS6detail17trampoline_kernelINS0_13select_configILj256ELj13ELNS0_17block_load_methodE3ELS4_3ELS4_3ELNS0_20block_scan_algorithmE0ELj4294967295EEENS1_25partition_config_selectorILNS1_17partition_subalgoE4EjNS0_10empty_typeEbEEZZNS1_14partition_implILS8_4ELb0ES6_15HIP_vector_typeIjLj2EENS0_17counting_iteratorIjlEEPS9_SG_NS0_5tupleIJPjSI_NS0_16reverse_iteratorISI_EEEEENSH_IJSG_SG_SG_EEES9_SI_JZNS1_25segmented_radix_sort_implINS0_14default_configELb1EPKsPsPKlPlN2at6native12_GLOBAL__N_18offset_tEEE10hipError_tPvRmT1_PNSt15iterator_traitsIS12_E10value_typeET2_T3_PNS13_IS18_E10value_typeET4_jRbjT5_S1E_jjP12ihipStream_tbEUljE_ZNSN_ISO_Lb1ESQ_SR_ST_SU_SY_EESZ_S10_S11_S12_S16_S17_S18_S1B_S1C_jS1D_jS1E_S1E_jjS1G_bEUljE0_EEESZ_S10_S11_S18_S1C_S1E_T6_T7_T9_mT8_S1G_bDpT10_ENKUlT_T0_E_clISt17integral_constantIbLb1EES1U_EEDaS1P_S1Q_EUlS1P_E_NS1_11comp_targetILNS1_3genE10ELNS1_11target_archE1200ELNS1_3gpuE4ELNS1_3repE0EEENS1_30default_config_static_selectorELNS0_4arch9wavefront6targetE1EEEvS12_.uses_flat_scratch, 0
	.set _ZN7rocprim17ROCPRIM_400000_NS6detail17trampoline_kernelINS0_13select_configILj256ELj13ELNS0_17block_load_methodE3ELS4_3ELS4_3ELNS0_20block_scan_algorithmE0ELj4294967295EEENS1_25partition_config_selectorILNS1_17partition_subalgoE4EjNS0_10empty_typeEbEEZZNS1_14partition_implILS8_4ELb0ES6_15HIP_vector_typeIjLj2EENS0_17counting_iteratorIjlEEPS9_SG_NS0_5tupleIJPjSI_NS0_16reverse_iteratorISI_EEEEENSH_IJSG_SG_SG_EEES9_SI_JZNS1_25segmented_radix_sort_implINS0_14default_configELb1EPKsPsPKlPlN2at6native12_GLOBAL__N_18offset_tEEE10hipError_tPvRmT1_PNSt15iterator_traitsIS12_E10value_typeET2_T3_PNS13_IS18_E10value_typeET4_jRbjT5_S1E_jjP12ihipStream_tbEUljE_ZNSN_ISO_Lb1ESQ_SR_ST_SU_SY_EESZ_S10_S11_S12_S16_S17_S18_S1B_S1C_jS1D_jS1E_S1E_jjS1G_bEUljE0_EEESZ_S10_S11_S18_S1C_S1E_T6_T7_T9_mT8_S1G_bDpT10_ENKUlT_T0_E_clISt17integral_constantIbLb1EES1U_EEDaS1P_S1Q_EUlS1P_E_NS1_11comp_targetILNS1_3genE10ELNS1_11target_archE1200ELNS1_3gpuE4ELNS1_3repE0EEENS1_30default_config_static_selectorELNS0_4arch9wavefront6targetE1EEEvS12_.has_dyn_sized_stack, 0
	.set _ZN7rocprim17ROCPRIM_400000_NS6detail17trampoline_kernelINS0_13select_configILj256ELj13ELNS0_17block_load_methodE3ELS4_3ELS4_3ELNS0_20block_scan_algorithmE0ELj4294967295EEENS1_25partition_config_selectorILNS1_17partition_subalgoE4EjNS0_10empty_typeEbEEZZNS1_14partition_implILS8_4ELb0ES6_15HIP_vector_typeIjLj2EENS0_17counting_iteratorIjlEEPS9_SG_NS0_5tupleIJPjSI_NS0_16reverse_iteratorISI_EEEEENSH_IJSG_SG_SG_EEES9_SI_JZNS1_25segmented_radix_sort_implINS0_14default_configELb1EPKsPsPKlPlN2at6native12_GLOBAL__N_18offset_tEEE10hipError_tPvRmT1_PNSt15iterator_traitsIS12_E10value_typeET2_T3_PNS13_IS18_E10value_typeET4_jRbjT5_S1E_jjP12ihipStream_tbEUljE_ZNSN_ISO_Lb1ESQ_SR_ST_SU_SY_EESZ_S10_S11_S12_S16_S17_S18_S1B_S1C_jS1D_jS1E_S1E_jjS1G_bEUljE0_EEESZ_S10_S11_S18_S1C_S1E_T6_T7_T9_mT8_S1G_bDpT10_ENKUlT_T0_E_clISt17integral_constantIbLb1EES1U_EEDaS1P_S1Q_EUlS1P_E_NS1_11comp_targetILNS1_3genE10ELNS1_11target_archE1200ELNS1_3gpuE4ELNS1_3repE0EEENS1_30default_config_static_selectorELNS0_4arch9wavefront6targetE1EEEvS12_.has_recursion, 0
	.set _ZN7rocprim17ROCPRIM_400000_NS6detail17trampoline_kernelINS0_13select_configILj256ELj13ELNS0_17block_load_methodE3ELS4_3ELS4_3ELNS0_20block_scan_algorithmE0ELj4294967295EEENS1_25partition_config_selectorILNS1_17partition_subalgoE4EjNS0_10empty_typeEbEEZZNS1_14partition_implILS8_4ELb0ES6_15HIP_vector_typeIjLj2EENS0_17counting_iteratorIjlEEPS9_SG_NS0_5tupleIJPjSI_NS0_16reverse_iteratorISI_EEEEENSH_IJSG_SG_SG_EEES9_SI_JZNS1_25segmented_radix_sort_implINS0_14default_configELb1EPKsPsPKlPlN2at6native12_GLOBAL__N_18offset_tEEE10hipError_tPvRmT1_PNSt15iterator_traitsIS12_E10value_typeET2_T3_PNS13_IS18_E10value_typeET4_jRbjT5_S1E_jjP12ihipStream_tbEUljE_ZNSN_ISO_Lb1ESQ_SR_ST_SU_SY_EESZ_S10_S11_S12_S16_S17_S18_S1B_S1C_jS1D_jS1E_S1E_jjS1G_bEUljE0_EEESZ_S10_S11_S18_S1C_S1E_T6_T7_T9_mT8_S1G_bDpT10_ENKUlT_T0_E_clISt17integral_constantIbLb1EES1U_EEDaS1P_S1Q_EUlS1P_E_NS1_11comp_targetILNS1_3genE10ELNS1_11target_archE1200ELNS1_3gpuE4ELNS1_3repE0EEENS1_30default_config_static_selectorELNS0_4arch9wavefront6targetE1EEEvS12_.has_indirect_call, 0
	.section	.AMDGPU.csdata,"",@progbits
; Kernel info:
; codeLenInByte = 0
; TotalNumSgprs: 4
; NumVgprs: 0
; ScratchSize: 0
; MemoryBound: 0
; FloatMode: 240
; IeeeMode: 1
; LDSByteSize: 0 bytes/workgroup (compile time only)
; SGPRBlocks: 0
; VGPRBlocks: 0
; NumSGPRsForWavesPerEU: 4
; NumVGPRsForWavesPerEU: 1
; Occupancy: 10
; WaveLimiterHint : 0
; COMPUTE_PGM_RSRC2:SCRATCH_EN: 0
; COMPUTE_PGM_RSRC2:USER_SGPR: 6
; COMPUTE_PGM_RSRC2:TRAP_HANDLER: 0
; COMPUTE_PGM_RSRC2:TGID_X_EN: 1
; COMPUTE_PGM_RSRC2:TGID_Y_EN: 0
; COMPUTE_PGM_RSRC2:TGID_Z_EN: 0
; COMPUTE_PGM_RSRC2:TIDIG_COMP_CNT: 0
	.section	.text._ZN7rocprim17ROCPRIM_400000_NS6detail17trampoline_kernelINS0_13select_configILj256ELj13ELNS0_17block_load_methodE3ELS4_3ELS4_3ELNS0_20block_scan_algorithmE0ELj4294967295EEENS1_25partition_config_selectorILNS1_17partition_subalgoE4EjNS0_10empty_typeEbEEZZNS1_14partition_implILS8_4ELb0ES6_15HIP_vector_typeIjLj2EENS0_17counting_iteratorIjlEEPS9_SG_NS0_5tupleIJPjSI_NS0_16reverse_iteratorISI_EEEEENSH_IJSG_SG_SG_EEES9_SI_JZNS1_25segmented_radix_sort_implINS0_14default_configELb1EPKsPsPKlPlN2at6native12_GLOBAL__N_18offset_tEEE10hipError_tPvRmT1_PNSt15iterator_traitsIS12_E10value_typeET2_T3_PNS13_IS18_E10value_typeET4_jRbjT5_S1E_jjP12ihipStream_tbEUljE_ZNSN_ISO_Lb1ESQ_SR_ST_SU_SY_EESZ_S10_S11_S12_S16_S17_S18_S1B_S1C_jS1D_jS1E_S1E_jjS1G_bEUljE0_EEESZ_S10_S11_S18_S1C_S1E_T6_T7_T9_mT8_S1G_bDpT10_ENKUlT_T0_E_clISt17integral_constantIbLb1EES1U_EEDaS1P_S1Q_EUlS1P_E_NS1_11comp_targetILNS1_3genE9ELNS1_11target_archE1100ELNS1_3gpuE3ELNS1_3repE0EEENS1_30default_config_static_selectorELNS0_4arch9wavefront6targetE1EEEvS12_,"axG",@progbits,_ZN7rocprim17ROCPRIM_400000_NS6detail17trampoline_kernelINS0_13select_configILj256ELj13ELNS0_17block_load_methodE3ELS4_3ELS4_3ELNS0_20block_scan_algorithmE0ELj4294967295EEENS1_25partition_config_selectorILNS1_17partition_subalgoE4EjNS0_10empty_typeEbEEZZNS1_14partition_implILS8_4ELb0ES6_15HIP_vector_typeIjLj2EENS0_17counting_iteratorIjlEEPS9_SG_NS0_5tupleIJPjSI_NS0_16reverse_iteratorISI_EEEEENSH_IJSG_SG_SG_EEES9_SI_JZNS1_25segmented_radix_sort_implINS0_14default_configELb1EPKsPsPKlPlN2at6native12_GLOBAL__N_18offset_tEEE10hipError_tPvRmT1_PNSt15iterator_traitsIS12_E10value_typeET2_T3_PNS13_IS18_E10value_typeET4_jRbjT5_S1E_jjP12ihipStream_tbEUljE_ZNSN_ISO_Lb1ESQ_SR_ST_SU_SY_EESZ_S10_S11_S12_S16_S17_S18_S1B_S1C_jS1D_jS1E_S1E_jjS1G_bEUljE0_EEESZ_S10_S11_S18_S1C_S1E_T6_T7_T9_mT8_S1G_bDpT10_ENKUlT_T0_E_clISt17integral_constantIbLb1EES1U_EEDaS1P_S1Q_EUlS1P_E_NS1_11comp_targetILNS1_3genE9ELNS1_11target_archE1100ELNS1_3gpuE3ELNS1_3repE0EEENS1_30default_config_static_selectorELNS0_4arch9wavefront6targetE1EEEvS12_,comdat
	.globl	_ZN7rocprim17ROCPRIM_400000_NS6detail17trampoline_kernelINS0_13select_configILj256ELj13ELNS0_17block_load_methodE3ELS4_3ELS4_3ELNS0_20block_scan_algorithmE0ELj4294967295EEENS1_25partition_config_selectorILNS1_17partition_subalgoE4EjNS0_10empty_typeEbEEZZNS1_14partition_implILS8_4ELb0ES6_15HIP_vector_typeIjLj2EENS0_17counting_iteratorIjlEEPS9_SG_NS0_5tupleIJPjSI_NS0_16reverse_iteratorISI_EEEEENSH_IJSG_SG_SG_EEES9_SI_JZNS1_25segmented_radix_sort_implINS0_14default_configELb1EPKsPsPKlPlN2at6native12_GLOBAL__N_18offset_tEEE10hipError_tPvRmT1_PNSt15iterator_traitsIS12_E10value_typeET2_T3_PNS13_IS18_E10value_typeET4_jRbjT5_S1E_jjP12ihipStream_tbEUljE_ZNSN_ISO_Lb1ESQ_SR_ST_SU_SY_EESZ_S10_S11_S12_S16_S17_S18_S1B_S1C_jS1D_jS1E_S1E_jjS1G_bEUljE0_EEESZ_S10_S11_S18_S1C_S1E_T6_T7_T9_mT8_S1G_bDpT10_ENKUlT_T0_E_clISt17integral_constantIbLb1EES1U_EEDaS1P_S1Q_EUlS1P_E_NS1_11comp_targetILNS1_3genE9ELNS1_11target_archE1100ELNS1_3gpuE3ELNS1_3repE0EEENS1_30default_config_static_selectorELNS0_4arch9wavefront6targetE1EEEvS12_ ; -- Begin function _ZN7rocprim17ROCPRIM_400000_NS6detail17trampoline_kernelINS0_13select_configILj256ELj13ELNS0_17block_load_methodE3ELS4_3ELS4_3ELNS0_20block_scan_algorithmE0ELj4294967295EEENS1_25partition_config_selectorILNS1_17partition_subalgoE4EjNS0_10empty_typeEbEEZZNS1_14partition_implILS8_4ELb0ES6_15HIP_vector_typeIjLj2EENS0_17counting_iteratorIjlEEPS9_SG_NS0_5tupleIJPjSI_NS0_16reverse_iteratorISI_EEEEENSH_IJSG_SG_SG_EEES9_SI_JZNS1_25segmented_radix_sort_implINS0_14default_configELb1EPKsPsPKlPlN2at6native12_GLOBAL__N_18offset_tEEE10hipError_tPvRmT1_PNSt15iterator_traitsIS12_E10value_typeET2_T3_PNS13_IS18_E10value_typeET4_jRbjT5_S1E_jjP12ihipStream_tbEUljE_ZNSN_ISO_Lb1ESQ_SR_ST_SU_SY_EESZ_S10_S11_S12_S16_S17_S18_S1B_S1C_jS1D_jS1E_S1E_jjS1G_bEUljE0_EEESZ_S10_S11_S18_S1C_S1E_T6_T7_T9_mT8_S1G_bDpT10_ENKUlT_T0_E_clISt17integral_constantIbLb1EES1U_EEDaS1P_S1Q_EUlS1P_E_NS1_11comp_targetILNS1_3genE9ELNS1_11target_archE1100ELNS1_3gpuE3ELNS1_3repE0EEENS1_30default_config_static_selectorELNS0_4arch9wavefront6targetE1EEEvS12_
	.p2align	8
	.type	_ZN7rocprim17ROCPRIM_400000_NS6detail17trampoline_kernelINS0_13select_configILj256ELj13ELNS0_17block_load_methodE3ELS4_3ELS4_3ELNS0_20block_scan_algorithmE0ELj4294967295EEENS1_25partition_config_selectorILNS1_17partition_subalgoE4EjNS0_10empty_typeEbEEZZNS1_14partition_implILS8_4ELb0ES6_15HIP_vector_typeIjLj2EENS0_17counting_iteratorIjlEEPS9_SG_NS0_5tupleIJPjSI_NS0_16reverse_iteratorISI_EEEEENSH_IJSG_SG_SG_EEES9_SI_JZNS1_25segmented_radix_sort_implINS0_14default_configELb1EPKsPsPKlPlN2at6native12_GLOBAL__N_18offset_tEEE10hipError_tPvRmT1_PNSt15iterator_traitsIS12_E10value_typeET2_T3_PNS13_IS18_E10value_typeET4_jRbjT5_S1E_jjP12ihipStream_tbEUljE_ZNSN_ISO_Lb1ESQ_SR_ST_SU_SY_EESZ_S10_S11_S12_S16_S17_S18_S1B_S1C_jS1D_jS1E_S1E_jjS1G_bEUljE0_EEESZ_S10_S11_S18_S1C_S1E_T6_T7_T9_mT8_S1G_bDpT10_ENKUlT_T0_E_clISt17integral_constantIbLb1EES1U_EEDaS1P_S1Q_EUlS1P_E_NS1_11comp_targetILNS1_3genE9ELNS1_11target_archE1100ELNS1_3gpuE3ELNS1_3repE0EEENS1_30default_config_static_selectorELNS0_4arch9wavefront6targetE1EEEvS12_,@function
_ZN7rocprim17ROCPRIM_400000_NS6detail17trampoline_kernelINS0_13select_configILj256ELj13ELNS0_17block_load_methodE3ELS4_3ELS4_3ELNS0_20block_scan_algorithmE0ELj4294967295EEENS1_25partition_config_selectorILNS1_17partition_subalgoE4EjNS0_10empty_typeEbEEZZNS1_14partition_implILS8_4ELb0ES6_15HIP_vector_typeIjLj2EENS0_17counting_iteratorIjlEEPS9_SG_NS0_5tupleIJPjSI_NS0_16reverse_iteratorISI_EEEEENSH_IJSG_SG_SG_EEES9_SI_JZNS1_25segmented_radix_sort_implINS0_14default_configELb1EPKsPsPKlPlN2at6native12_GLOBAL__N_18offset_tEEE10hipError_tPvRmT1_PNSt15iterator_traitsIS12_E10value_typeET2_T3_PNS13_IS18_E10value_typeET4_jRbjT5_S1E_jjP12ihipStream_tbEUljE_ZNSN_ISO_Lb1ESQ_SR_ST_SU_SY_EESZ_S10_S11_S12_S16_S17_S18_S1B_S1C_jS1D_jS1E_S1E_jjS1G_bEUljE0_EEESZ_S10_S11_S18_S1C_S1E_T6_T7_T9_mT8_S1G_bDpT10_ENKUlT_T0_E_clISt17integral_constantIbLb1EES1U_EEDaS1P_S1Q_EUlS1P_E_NS1_11comp_targetILNS1_3genE9ELNS1_11target_archE1100ELNS1_3gpuE3ELNS1_3repE0EEENS1_30default_config_static_selectorELNS0_4arch9wavefront6targetE1EEEvS12_: ; @_ZN7rocprim17ROCPRIM_400000_NS6detail17trampoline_kernelINS0_13select_configILj256ELj13ELNS0_17block_load_methodE3ELS4_3ELS4_3ELNS0_20block_scan_algorithmE0ELj4294967295EEENS1_25partition_config_selectorILNS1_17partition_subalgoE4EjNS0_10empty_typeEbEEZZNS1_14partition_implILS8_4ELb0ES6_15HIP_vector_typeIjLj2EENS0_17counting_iteratorIjlEEPS9_SG_NS0_5tupleIJPjSI_NS0_16reverse_iteratorISI_EEEEENSH_IJSG_SG_SG_EEES9_SI_JZNS1_25segmented_radix_sort_implINS0_14default_configELb1EPKsPsPKlPlN2at6native12_GLOBAL__N_18offset_tEEE10hipError_tPvRmT1_PNSt15iterator_traitsIS12_E10value_typeET2_T3_PNS13_IS18_E10value_typeET4_jRbjT5_S1E_jjP12ihipStream_tbEUljE_ZNSN_ISO_Lb1ESQ_SR_ST_SU_SY_EESZ_S10_S11_S12_S16_S17_S18_S1B_S1C_jS1D_jS1E_S1E_jjS1G_bEUljE0_EEESZ_S10_S11_S18_S1C_S1E_T6_T7_T9_mT8_S1G_bDpT10_ENKUlT_T0_E_clISt17integral_constantIbLb1EES1U_EEDaS1P_S1Q_EUlS1P_E_NS1_11comp_targetILNS1_3genE9ELNS1_11target_archE1100ELNS1_3gpuE3ELNS1_3repE0EEENS1_30default_config_static_selectorELNS0_4arch9wavefront6targetE1EEEvS12_
; %bb.0:
	.section	.rodata,"a",@progbits
	.p2align	6, 0x0
	.amdhsa_kernel _ZN7rocprim17ROCPRIM_400000_NS6detail17trampoline_kernelINS0_13select_configILj256ELj13ELNS0_17block_load_methodE3ELS4_3ELS4_3ELNS0_20block_scan_algorithmE0ELj4294967295EEENS1_25partition_config_selectorILNS1_17partition_subalgoE4EjNS0_10empty_typeEbEEZZNS1_14partition_implILS8_4ELb0ES6_15HIP_vector_typeIjLj2EENS0_17counting_iteratorIjlEEPS9_SG_NS0_5tupleIJPjSI_NS0_16reverse_iteratorISI_EEEEENSH_IJSG_SG_SG_EEES9_SI_JZNS1_25segmented_radix_sort_implINS0_14default_configELb1EPKsPsPKlPlN2at6native12_GLOBAL__N_18offset_tEEE10hipError_tPvRmT1_PNSt15iterator_traitsIS12_E10value_typeET2_T3_PNS13_IS18_E10value_typeET4_jRbjT5_S1E_jjP12ihipStream_tbEUljE_ZNSN_ISO_Lb1ESQ_SR_ST_SU_SY_EESZ_S10_S11_S12_S16_S17_S18_S1B_S1C_jS1D_jS1E_S1E_jjS1G_bEUljE0_EEESZ_S10_S11_S18_S1C_S1E_T6_T7_T9_mT8_S1G_bDpT10_ENKUlT_T0_E_clISt17integral_constantIbLb1EES1U_EEDaS1P_S1Q_EUlS1P_E_NS1_11comp_targetILNS1_3genE9ELNS1_11target_archE1100ELNS1_3gpuE3ELNS1_3repE0EEENS1_30default_config_static_selectorELNS0_4arch9wavefront6targetE1EEEvS12_
		.amdhsa_group_segment_fixed_size 0
		.amdhsa_private_segment_fixed_size 0
		.amdhsa_kernarg_size 184
		.amdhsa_user_sgpr_count 6
		.amdhsa_user_sgpr_private_segment_buffer 1
		.amdhsa_user_sgpr_dispatch_ptr 0
		.amdhsa_user_sgpr_queue_ptr 0
		.amdhsa_user_sgpr_kernarg_segment_ptr 1
		.amdhsa_user_sgpr_dispatch_id 0
		.amdhsa_user_sgpr_flat_scratch_init 0
		.amdhsa_user_sgpr_private_segment_size 0
		.amdhsa_uses_dynamic_stack 0
		.amdhsa_system_sgpr_private_segment_wavefront_offset 0
		.amdhsa_system_sgpr_workgroup_id_x 1
		.amdhsa_system_sgpr_workgroup_id_y 0
		.amdhsa_system_sgpr_workgroup_id_z 0
		.amdhsa_system_sgpr_workgroup_info 0
		.amdhsa_system_vgpr_workitem_id 0
		.amdhsa_next_free_vgpr 1
		.amdhsa_next_free_sgpr 0
		.amdhsa_reserve_vcc 0
		.amdhsa_reserve_flat_scratch 0
		.amdhsa_float_round_mode_32 0
		.amdhsa_float_round_mode_16_64 0
		.amdhsa_float_denorm_mode_32 3
		.amdhsa_float_denorm_mode_16_64 3
		.amdhsa_dx10_clamp 1
		.amdhsa_ieee_mode 1
		.amdhsa_fp16_overflow 0
		.amdhsa_exception_fp_ieee_invalid_op 0
		.amdhsa_exception_fp_denorm_src 0
		.amdhsa_exception_fp_ieee_div_zero 0
		.amdhsa_exception_fp_ieee_overflow 0
		.amdhsa_exception_fp_ieee_underflow 0
		.amdhsa_exception_fp_ieee_inexact 0
		.amdhsa_exception_int_div_zero 0
	.end_amdhsa_kernel
	.section	.text._ZN7rocprim17ROCPRIM_400000_NS6detail17trampoline_kernelINS0_13select_configILj256ELj13ELNS0_17block_load_methodE3ELS4_3ELS4_3ELNS0_20block_scan_algorithmE0ELj4294967295EEENS1_25partition_config_selectorILNS1_17partition_subalgoE4EjNS0_10empty_typeEbEEZZNS1_14partition_implILS8_4ELb0ES6_15HIP_vector_typeIjLj2EENS0_17counting_iteratorIjlEEPS9_SG_NS0_5tupleIJPjSI_NS0_16reverse_iteratorISI_EEEEENSH_IJSG_SG_SG_EEES9_SI_JZNS1_25segmented_radix_sort_implINS0_14default_configELb1EPKsPsPKlPlN2at6native12_GLOBAL__N_18offset_tEEE10hipError_tPvRmT1_PNSt15iterator_traitsIS12_E10value_typeET2_T3_PNS13_IS18_E10value_typeET4_jRbjT5_S1E_jjP12ihipStream_tbEUljE_ZNSN_ISO_Lb1ESQ_SR_ST_SU_SY_EESZ_S10_S11_S12_S16_S17_S18_S1B_S1C_jS1D_jS1E_S1E_jjS1G_bEUljE0_EEESZ_S10_S11_S18_S1C_S1E_T6_T7_T9_mT8_S1G_bDpT10_ENKUlT_T0_E_clISt17integral_constantIbLb1EES1U_EEDaS1P_S1Q_EUlS1P_E_NS1_11comp_targetILNS1_3genE9ELNS1_11target_archE1100ELNS1_3gpuE3ELNS1_3repE0EEENS1_30default_config_static_selectorELNS0_4arch9wavefront6targetE1EEEvS12_,"axG",@progbits,_ZN7rocprim17ROCPRIM_400000_NS6detail17trampoline_kernelINS0_13select_configILj256ELj13ELNS0_17block_load_methodE3ELS4_3ELS4_3ELNS0_20block_scan_algorithmE0ELj4294967295EEENS1_25partition_config_selectorILNS1_17partition_subalgoE4EjNS0_10empty_typeEbEEZZNS1_14partition_implILS8_4ELb0ES6_15HIP_vector_typeIjLj2EENS0_17counting_iteratorIjlEEPS9_SG_NS0_5tupleIJPjSI_NS0_16reverse_iteratorISI_EEEEENSH_IJSG_SG_SG_EEES9_SI_JZNS1_25segmented_radix_sort_implINS0_14default_configELb1EPKsPsPKlPlN2at6native12_GLOBAL__N_18offset_tEEE10hipError_tPvRmT1_PNSt15iterator_traitsIS12_E10value_typeET2_T3_PNS13_IS18_E10value_typeET4_jRbjT5_S1E_jjP12ihipStream_tbEUljE_ZNSN_ISO_Lb1ESQ_SR_ST_SU_SY_EESZ_S10_S11_S12_S16_S17_S18_S1B_S1C_jS1D_jS1E_S1E_jjS1G_bEUljE0_EEESZ_S10_S11_S18_S1C_S1E_T6_T7_T9_mT8_S1G_bDpT10_ENKUlT_T0_E_clISt17integral_constantIbLb1EES1U_EEDaS1P_S1Q_EUlS1P_E_NS1_11comp_targetILNS1_3genE9ELNS1_11target_archE1100ELNS1_3gpuE3ELNS1_3repE0EEENS1_30default_config_static_selectorELNS0_4arch9wavefront6targetE1EEEvS12_,comdat
.Lfunc_end861:
	.size	_ZN7rocprim17ROCPRIM_400000_NS6detail17trampoline_kernelINS0_13select_configILj256ELj13ELNS0_17block_load_methodE3ELS4_3ELS4_3ELNS0_20block_scan_algorithmE0ELj4294967295EEENS1_25partition_config_selectorILNS1_17partition_subalgoE4EjNS0_10empty_typeEbEEZZNS1_14partition_implILS8_4ELb0ES6_15HIP_vector_typeIjLj2EENS0_17counting_iteratorIjlEEPS9_SG_NS0_5tupleIJPjSI_NS0_16reverse_iteratorISI_EEEEENSH_IJSG_SG_SG_EEES9_SI_JZNS1_25segmented_radix_sort_implINS0_14default_configELb1EPKsPsPKlPlN2at6native12_GLOBAL__N_18offset_tEEE10hipError_tPvRmT1_PNSt15iterator_traitsIS12_E10value_typeET2_T3_PNS13_IS18_E10value_typeET4_jRbjT5_S1E_jjP12ihipStream_tbEUljE_ZNSN_ISO_Lb1ESQ_SR_ST_SU_SY_EESZ_S10_S11_S12_S16_S17_S18_S1B_S1C_jS1D_jS1E_S1E_jjS1G_bEUljE0_EEESZ_S10_S11_S18_S1C_S1E_T6_T7_T9_mT8_S1G_bDpT10_ENKUlT_T0_E_clISt17integral_constantIbLb1EES1U_EEDaS1P_S1Q_EUlS1P_E_NS1_11comp_targetILNS1_3genE9ELNS1_11target_archE1100ELNS1_3gpuE3ELNS1_3repE0EEENS1_30default_config_static_selectorELNS0_4arch9wavefront6targetE1EEEvS12_, .Lfunc_end861-_ZN7rocprim17ROCPRIM_400000_NS6detail17trampoline_kernelINS0_13select_configILj256ELj13ELNS0_17block_load_methodE3ELS4_3ELS4_3ELNS0_20block_scan_algorithmE0ELj4294967295EEENS1_25partition_config_selectorILNS1_17partition_subalgoE4EjNS0_10empty_typeEbEEZZNS1_14partition_implILS8_4ELb0ES6_15HIP_vector_typeIjLj2EENS0_17counting_iteratorIjlEEPS9_SG_NS0_5tupleIJPjSI_NS0_16reverse_iteratorISI_EEEEENSH_IJSG_SG_SG_EEES9_SI_JZNS1_25segmented_radix_sort_implINS0_14default_configELb1EPKsPsPKlPlN2at6native12_GLOBAL__N_18offset_tEEE10hipError_tPvRmT1_PNSt15iterator_traitsIS12_E10value_typeET2_T3_PNS13_IS18_E10value_typeET4_jRbjT5_S1E_jjP12ihipStream_tbEUljE_ZNSN_ISO_Lb1ESQ_SR_ST_SU_SY_EESZ_S10_S11_S12_S16_S17_S18_S1B_S1C_jS1D_jS1E_S1E_jjS1G_bEUljE0_EEESZ_S10_S11_S18_S1C_S1E_T6_T7_T9_mT8_S1G_bDpT10_ENKUlT_T0_E_clISt17integral_constantIbLb1EES1U_EEDaS1P_S1Q_EUlS1P_E_NS1_11comp_targetILNS1_3genE9ELNS1_11target_archE1100ELNS1_3gpuE3ELNS1_3repE0EEENS1_30default_config_static_selectorELNS0_4arch9wavefront6targetE1EEEvS12_
                                        ; -- End function
	.set _ZN7rocprim17ROCPRIM_400000_NS6detail17trampoline_kernelINS0_13select_configILj256ELj13ELNS0_17block_load_methodE3ELS4_3ELS4_3ELNS0_20block_scan_algorithmE0ELj4294967295EEENS1_25partition_config_selectorILNS1_17partition_subalgoE4EjNS0_10empty_typeEbEEZZNS1_14partition_implILS8_4ELb0ES6_15HIP_vector_typeIjLj2EENS0_17counting_iteratorIjlEEPS9_SG_NS0_5tupleIJPjSI_NS0_16reverse_iteratorISI_EEEEENSH_IJSG_SG_SG_EEES9_SI_JZNS1_25segmented_radix_sort_implINS0_14default_configELb1EPKsPsPKlPlN2at6native12_GLOBAL__N_18offset_tEEE10hipError_tPvRmT1_PNSt15iterator_traitsIS12_E10value_typeET2_T3_PNS13_IS18_E10value_typeET4_jRbjT5_S1E_jjP12ihipStream_tbEUljE_ZNSN_ISO_Lb1ESQ_SR_ST_SU_SY_EESZ_S10_S11_S12_S16_S17_S18_S1B_S1C_jS1D_jS1E_S1E_jjS1G_bEUljE0_EEESZ_S10_S11_S18_S1C_S1E_T6_T7_T9_mT8_S1G_bDpT10_ENKUlT_T0_E_clISt17integral_constantIbLb1EES1U_EEDaS1P_S1Q_EUlS1P_E_NS1_11comp_targetILNS1_3genE9ELNS1_11target_archE1100ELNS1_3gpuE3ELNS1_3repE0EEENS1_30default_config_static_selectorELNS0_4arch9wavefront6targetE1EEEvS12_.num_vgpr, 0
	.set _ZN7rocprim17ROCPRIM_400000_NS6detail17trampoline_kernelINS0_13select_configILj256ELj13ELNS0_17block_load_methodE3ELS4_3ELS4_3ELNS0_20block_scan_algorithmE0ELj4294967295EEENS1_25partition_config_selectorILNS1_17partition_subalgoE4EjNS0_10empty_typeEbEEZZNS1_14partition_implILS8_4ELb0ES6_15HIP_vector_typeIjLj2EENS0_17counting_iteratorIjlEEPS9_SG_NS0_5tupleIJPjSI_NS0_16reverse_iteratorISI_EEEEENSH_IJSG_SG_SG_EEES9_SI_JZNS1_25segmented_radix_sort_implINS0_14default_configELb1EPKsPsPKlPlN2at6native12_GLOBAL__N_18offset_tEEE10hipError_tPvRmT1_PNSt15iterator_traitsIS12_E10value_typeET2_T3_PNS13_IS18_E10value_typeET4_jRbjT5_S1E_jjP12ihipStream_tbEUljE_ZNSN_ISO_Lb1ESQ_SR_ST_SU_SY_EESZ_S10_S11_S12_S16_S17_S18_S1B_S1C_jS1D_jS1E_S1E_jjS1G_bEUljE0_EEESZ_S10_S11_S18_S1C_S1E_T6_T7_T9_mT8_S1G_bDpT10_ENKUlT_T0_E_clISt17integral_constantIbLb1EES1U_EEDaS1P_S1Q_EUlS1P_E_NS1_11comp_targetILNS1_3genE9ELNS1_11target_archE1100ELNS1_3gpuE3ELNS1_3repE0EEENS1_30default_config_static_selectorELNS0_4arch9wavefront6targetE1EEEvS12_.num_agpr, 0
	.set _ZN7rocprim17ROCPRIM_400000_NS6detail17trampoline_kernelINS0_13select_configILj256ELj13ELNS0_17block_load_methodE3ELS4_3ELS4_3ELNS0_20block_scan_algorithmE0ELj4294967295EEENS1_25partition_config_selectorILNS1_17partition_subalgoE4EjNS0_10empty_typeEbEEZZNS1_14partition_implILS8_4ELb0ES6_15HIP_vector_typeIjLj2EENS0_17counting_iteratorIjlEEPS9_SG_NS0_5tupleIJPjSI_NS0_16reverse_iteratorISI_EEEEENSH_IJSG_SG_SG_EEES9_SI_JZNS1_25segmented_radix_sort_implINS0_14default_configELb1EPKsPsPKlPlN2at6native12_GLOBAL__N_18offset_tEEE10hipError_tPvRmT1_PNSt15iterator_traitsIS12_E10value_typeET2_T3_PNS13_IS18_E10value_typeET4_jRbjT5_S1E_jjP12ihipStream_tbEUljE_ZNSN_ISO_Lb1ESQ_SR_ST_SU_SY_EESZ_S10_S11_S12_S16_S17_S18_S1B_S1C_jS1D_jS1E_S1E_jjS1G_bEUljE0_EEESZ_S10_S11_S18_S1C_S1E_T6_T7_T9_mT8_S1G_bDpT10_ENKUlT_T0_E_clISt17integral_constantIbLb1EES1U_EEDaS1P_S1Q_EUlS1P_E_NS1_11comp_targetILNS1_3genE9ELNS1_11target_archE1100ELNS1_3gpuE3ELNS1_3repE0EEENS1_30default_config_static_selectorELNS0_4arch9wavefront6targetE1EEEvS12_.numbered_sgpr, 0
	.set _ZN7rocprim17ROCPRIM_400000_NS6detail17trampoline_kernelINS0_13select_configILj256ELj13ELNS0_17block_load_methodE3ELS4_3ELS4_3ELNS0_20block_scan_algorithmE0ELj4294967295EEENS1_25partition_config_selectorILNS1_17partition_subalgoE4EjNS0_10empty_typeEbEEZZNS1_14partition_implILS8_4ELb0ES6_15HIP_vector_typeIjLj2EENS0_17counting_iteratorIjlEEPS9_SG_NS0_5tupleIJPjSI_NS0_16reverse_iteratorISI_EEEEENSH_IJSG_SG_SG_EEES9_SI_JZNS1_25segmented_radix_sort_implINS0_14default_configELb1EPKsPsPKlPlN2at6native12_GLOBAL__N_18offset_tEEE10hipError_tPvRmT1_PNSt15iterator_traitsIS12_E10value_typeET2_T3_PNS13_IS18_E10value_typeET4_jRbjT5_S1E_jjP12ihipStream_tbEUljE_ZNSN_ISO_Lb1ESQ_SR_ST_SU_SY_EESZ_S10_S11_S12_S16_S17_S18_S1B_S1C_jS1D_jS1E_S1E_jjS1G_bEUljE0_EEESZ_S10_S11_S18_S1C_S1E_T6_T7_T9_mT8_S1G_bDpT10_ENKUlT_T0_E_clISt17integral_constantIbLb1EES1U_EEDaS1P_S1Q_EUlS1P_E_NS1_11comp_targetILNS1_3genE9ELNS1_11target_archE1100ELNS1_3gpuE3ELNS1_3repE0EEENS1_30default_config_static_selectorELNS0_4arch9wavefront6targetE1EEEvS12_.num_named_barrier, 0
	.set _ZN7rocprim17ROCPRIM_400000_NS6detail17trampoline_kernelINS0_13select_configILj256ELj13ELNS0_17block_load_methodE3ELS4_3ELS4_3ELNS0_20block_scan_algorithmE0ELj4294967295EEENS1_25partition_config_selectorILNS1_17partition_subalgoE4EjNS0_10empty_typeEbEEZZNS1_14partition_implILS8_4ELb0ES6_15HIP_vector_typeIjLj2EENS0_17counting_iteratorIjlEEPS9_SG_NS0_5tupleIJPjSI_NS0_16reverse_iteratorISI_EEEEENSH_IJSG_SG_SG_EEES9_SI_JZNS1_25segmented_radix_sort_implINS0_14default_configELb1EPKsPsPKlPlN2at6native12_GLOBAL__N_18offset_tEEE10hipError_tPvRmT1_PNSt15iterator_traitsIS12_E10value_typeET2_T3_PNS13_IS18_E10value_typeET4_jRbjT5_S1E_jjP12ihipStream_tbEUljE_ZNSN_ISO_Lb1ESQ_SR_ST_SU_SY_EESZ_S10_S11_S12_S16_S17_S18_S1B_S1C_jS1D_jS1E_S1E_jjS1G_bEUljE0_EEESZ_S10_S11_S18_S1C_S1E_T6_T7_T9_mT8_S1G_bDpT10_ENKUlT_T0_E_clISt17integral_constantIbLb1EES1U_EEDaS1P_S1Q_EUlS1P_E_NS1_11comp_targetILNS1_3genE9ELNS1_11target_archE1100ELNS1_3gpuE3ELNS1_3repE0EEENS1_30default_config_static_selectorELNS0_4arch9wavefront6targetE1EEEvS12_.private_seg_size, 0
	.set _ZN7rocprim17ROCPRIM_400000_NS6detail17trampoline_kernelINS0_13select_configILj256ELj13ELNS0_17block_load_methodE3ELS4_3ELS4_3ELNS0_20block_scan_algorithmE0ELj4294967295EEENS1_25partition_config_selectorILNS1_17partition_subalgoE4EjNS0_10empty_typeEbEEZZNS1_14partition_implILS8_4ELb0ES6_15HIP_vector_typeIjLj2EENS0_17counting_iteratorIjlEEPS9_SG_NS0_5tupleIJPjSI_NS0_16reverse_iteratorISI_EEEEENSH_IJSG_SG_SG_EEES9_SI_JZNS1_25segmented_radix_sort_implINS0_14default_configELb1EPKsPsPKlPlN2at6native12_GLOBAL__N_18offset_tEEE10hipError_tPvRmT1_PNSt15iterator_traitsIS12_E10value_typeET2_T3_PNS13_IS18_E10value_typeET4_jRbjT5_S1E_jjP12ihipStream_tbEUljE_ZNSN_ISO_Lb1ESQ_SR_ST_SU_SY_EESZ_S10_S11_S12_S16_S17_S18_S1B_S1C_jS1D_jS1E_S1E_jjS1G_bEUljE0_EEESZ_S10_S11_S18_S1C_S1E_T6_T7_T9_mT8_S1G_bDpT10_ENKUlT_T0_E_clISt17integral_constantIbLb1EES1U_EEDaS1P_S1Q_EUlS1P_E_NS1_11comp_targetILNS1_3genE9ELNS1_11target_archE1100ELNS1_3gpuE3ELNS1_3repE0EEENS1_30default_config_static_selectorELNS0_4arch9wavefront6targetE1EEEvS12_.uses_vcc, 0
	.set _ZN7rocprim17ROCPRIM_400000_NS6detail17trampoline_kernelINS0_13select_configILj256ELj13ELNS0_17block_load_methodE3ELS4_3ELS4_3ELNS0_20block_scan_algorithmE0ELj4294967295EEENS1_25partition_config_selectorILNS1_17partition_subalgoE4EjNS0_10empty_typeEbEEZZNS1_14partition_implILS8_4ELb0ES6_15HIP_vector_typeIjLj2EENS0_17counting_iteratorIjlEEPS9_SG_NS0_5tupleIJPjSI_NS0_16reverse_iteratorISI_EEEEENSH_IJSG_SG_SG_EEES9_SI_JZNS1_25segmented_radix_sort_implINS0_14default_configELb1EPKsPsPKlPlN2at6native12_GLOBAL__N_18offset_tEEE10hipError_tPvRmT1_PNSt15iterator_traitsIS12_E10value_typeET2_T3_PNS13_IS18_E10value_typeET4_jRbjT5_S1E_jjP12ihipStream_tbEUljE_ZNSN_ISO_Lb1ESQ_SR_ST_SU_SY_EESZ_S10_S11_S12_S16_S17_S18_S1B_S1C_jS1D_jS1E_S1E_jjS1G_bEUljE0_EEESZ_S10_S11_S18_S1C_S1E_T6_T7_T9_mT8_S1G_bDpT10_ENKUlT_T0_E_clISt17integral_constantIbLb1EES1U_EEDaS1P_S1Q_EUlS1P_E_NS1_11comp_targetILNS1_3genE9ELNS1_11target_archE1100ELNS1_3gpuE3ELNS1_3repE0EEENS1_30default_config_static_selectorELNS0_4arch9wavefront6targetE1EEEvS12_.uses_flat_scratch, 0
	.set _ZN7rocprim17ROCPRIM_400000_NS6detail17trampoline_kernelINS0_13select_configILj256ELj13ELNS0_17block_load_methodE3ELS4_3ELS4_3ELNS0_20block_scan_algorithmE0ELj4294967295EEENS1_25partition_config_selectorILNS1_17partition_subalgoE4EjNS0_10empty_typeEbEEZZNS1_14partition_implILS8_4ELb0ES6_15HIP_vector_typeIjLj2EENS0_17counting_iteratorIjlEEPS9_SG_NS0_5tupleIJPjSI_NS0_16reverse_iteratorISI_EEEEENSH_IJSG_SG_SG_EEES9_SI_JZNS1_25segmented_radix_sort_implINS0_14default_configELb1EPKsPsPKlPlN2at6native12_GLOBAL__N_18offset_tEEE10hipError_tPvRmT1_PNSt15iterator_traitsIS12_E10value_typeET2_T3_PNS13_IS18_E10value_typeET4_jRbjT5_S1E_jjP12ihipStream_tbEUljE_ZNSN_ISO_Lb1ESQ_SR_ST_SU_SY_EESZ_S10_S11_S12_S16_S17_S18_S1B_S1C_jS1D_jS1E_S1E_jjS1G_bEUljE0_EEESZ_S10_S11_S18_S1C_S1E_T6_T7_T9_mT8_S1G_bDpT10_ENKUlT_T0_E_clISt17integral_constantIbLb1EES1U_EEDaS1P_S1Q_EUlS1P_E_NS1_11comp_targetILNS1_3genE9ELNS1_11target_archE1100ELNS1_3gpuE3ELNS1_3repE0EEENS1_30default_config_static_selectorELNS0_4arch9wavefront6targetE1EEEvS12_.has_dyn_sized_stack, 0
	.set _ZN7rocprim17ROCPRIM_400000_NS6detail17trampoline_kernelINS0_13select_configILj256ELj13ELNS0_17block_load_methodE3ELS4_3ELS4_3ELNS0_20block_scan_algorithmE0ELj4294967295EEENS1_25partition_config_selectorILNS1_17partition_subalgoE4EjNS0_10empty_typeEbEEZZNS1_14partition_implILS8_4ELb0ES6_15HIP_vector_typeIjLj2EENS0_17counting_iteratorIjlEEPS9_SG_NS0_5tupleIJPjSI_NS0_16reverse_iteratorISI_EEEEENSH_IJSG_SG_SG_EEES9_SI_JZNS1_25segmented_radix_sort_implINS0_14default_configELb1EPKsPsPKlPlN2at6native12_GLOBAL__N_18offset_tEEE10hipError_tPvRmT1_PNSt15iterator_traitsIS12_E10value_typeET2_T3_PNS13_IS18_E10value_typeET4_jRbjT5_S1E_jjP12ihipStream_tbEUljE_ZNSN_ISO_Lb1ESQ_SR_ST_SU_SY_EESZ_S10_S11_S12_S16_S17_S18_S1B_S1C_jS1D_jS1E_S1E_jjS1G_bEUljE0_EEESZ_S10_S11_S18_S1C_S1E_T6_T7_T9_mT8_S1G_bDpT10_ENKUlT_T0_E_clISt17integral_constantIbLb1EES1U_EEDaS1P_S1Q_EUlS1P_E_NS1_11comp_targetILNS1_3genE9ELNS1_11target_archE1100ELNS1_3gpuE3ELNS1_3repE0EEENS1_30default_config_static_selectorELNS0_4arch9wavefront6targetE1EEEvS12_.has_recursion, 0
	.set _ZN7rocprim17ROCPRIM_400000_NS6detail17trampoline_kernelINS0_13select_configILj256ELj13ELNS0_17block_load_methodE3ELS4_3ELS4_3ELNS0_20block_scan_algorithmE0ELj4294967295EEENS1_25partition_config_selectorILNS1_17partition_subalgoE4EjNS0_10empty_typeEbEEZZNS1_14partition_implILS8_4ELb0ES6_15HIP_vector_typeIjLj2EENS0_17counting_iteratorIjlEEPS9_SG_NS0_5tupleIJPjSI_NS0_16reverse_iteratorISI_EEEEENSH_IJSG_SG_SG_EEES9_SI_JZNS1_25segmented_radix_sort_implINS0_14default_configELb1EPKsPsPKlPlN2at6native12_GLOBAL__N_18offset_tEEE10hipError_tPvRmT1_PNSt15iterator_traitsIS12_E10value_typeET2_T3_PNS13_IS18_E10value_typeET4_jRbjT5_S1E_jjP12ihipStream_tbEUljE_ZNSN_ISO_Lb1ESQ_SR_ST_SU_SY_EESZ_S10_S11_S12_S16_S17_S18_S1B_S1C_jS1D_jS1E_S1E_jjS1G_bEUljE0_EEESZ_S10_S11_S18_S1C_S1E_T6_T7_T9_mT8_S1G_bDpT10_ENKUlT_T0_E_clISt17integral_constantIbLb1EES1U_EEDaS1P_S1Q_EUlS1P_E_NS1_11comp_targetILNS1_3genE9ELNS1_11target_archE1100ELNS1_3gpuE3ELNS1_3repE0EEENS1_30default_config_static_selectorELNS0_4arch9wavefront6targetE1EEEvS12_.has_indirect_call, 0
	.section	.AMDGPU.csdata,"",@progbits
; Kernel info:
; codeLenInByte = 0
; TotalNumSgprs: 4
; NumVgprs: 0
; ScratchSize: 0
; MemoryBound: 0
; FloatMode: 240
; IeeeMode: 1
; LDSByteSize: 0 bytes/workgroup (compile time only)
; SGPRBlocks: 0
; VGPRBlocks: 0
; NumSGPRsForWavesPerEU: 4
; NumVGPRsForWavesPerEU: 1
; Occupancy: 10
; WaveLimiterHint : 0
; COMPUTE_PGM_RSRC2:SCRATCH_EN: 0
; COMPUTE_PGM_RSRC2:USER_SGPR: 6
; COMPUTE_PGM_RSRC2:TRAP_HANDLER: 0
; COMPUTE_PGM_RSRC2:TGID_X_EN: 1
; COMPUTE_PGM_RSRC2:TGID_Y_EN: 0
; COMPUTE_PGM_RSRC2:TGID_Z_EN: 0
; COMPUTE_PGM_RSRC2:TIDIG_COMP_CNT: 0
	.section	.text._ZN7rocprim17ROCPRIM_400000_NS6detail17trampoline_kernelINS0_13select_configILj256ELj13ELNS0_17block_load_methodE3ELS4_3ELS4_3ELNS0_20block_scan_algorithmE0ELj4294967295EEENS1_25partition_config_selectorILNS1_17partition_subalgoE4EjNS0_10empty_typeEbEEZZNS1_14partition_implILS8_4ELb0ES6_15HIP_vector_typeIjLj2EENS0_17counting_iteratorIjlEEPS9_SG_NS0_5tupleIJPjSI_NS0_16reverse_iteratorISI_EEEEENSH_IJSG_SG_SG_EEES9_SI_JZNS1_25segmented_radix_sort_implINS0_14default_configELb1EPKsPsPKlPlN2at6native12_GLOBAL__N_18offset_tEEE10hipError_tPvRmT1_PNSt15iterator_traitsIS12_E10value_typeET2_T3_PNS13_IS18_E10value_typeET4_jRbjT5_S1E_jjP12ihipStream_tbEUljE_ZNSN_ISO_Lb1ESQ_SR_ST_SU_SY_EESZ_S10_S11_S12_S16_S17_S18_S1B_S1C_jS1D_jS1E_S1E_jjS1G_bEUljE0_EEESZ_S10_S11_S18_S1C_S1E_T6_T7_T9_mT8_S1G_bDpT10_ENKUlT_T0_E_clISt17integral_constantIbLb1EES1U_EEDaS1P_S1Q_EUlS1P_E_NS1_11comp_targetILNS1_3genE8ELNS1_11target_archE1030ELNS1_3gpuE2ELNS1_3repE0EEENS1_30default_config_static_selectorELNS0_4arch9wavefront6targetE1EEEvS12_,"axG",@progbits,_ZN7rocprim17ROCPRIM_400000_NS6detail17trampoline_kernelINS0_13select_configILj256ELj13ELNS0_17block_load_methodE3ELS4_3ELS4_3ELNS0_20block_scan_algorithmE0ELj4294967295EEENS1_25partition_config_selectorILNS1_17partition_subalgoE4EjNS0_10empty_typeEbEEZZNS1_14partition_implILS8_4ELb0ES6_15HIP_vector_typeIjLj2EENS0_17counting_iteratorIjlEEPS9_SG_NS0_5tupleIJPjSI_NS0_16reverse_iteratorISI_EEEEENSH_IJSG_SG_SG_EEES9_SI_JZNS1_25segmented_radix_sort_implINS0_14default_configELb1EPKsPsPKlPlN2at6native12_GLOBAL__N_18offset_tEEE10hipError_tPvRmT1_PNSt15iterator_traitsIS12_E10value_typeET2_T3_PNS13_IS18_E10value_typeET4_jRbjT5_S1E_jjP12ihipStream_tbEUljE_ZNSN_ISO_Lb1ESQ_SR_ST_SU_SY_EESZ_S10_S11_S12_S16_S17_S18_S1B_S1C_jS1D_jS1E_S1E_jjS1G_bEUljE0_EEESZ_S10_S11_S18_S1C_S1E_T6_T7_T9_mT8_S1G_bDpT10_ENKUlT_T0_E_clISt17integral_constantIbLb1EES1U_EEDaS1P_S1Q_EUlS1P_E_NS1_11comp_targetILNS1_3genE8ELNS1_11target_archE1030ELNS1_3gpuE2ELNS1_3repE0EEENS1_30default_config_static_selectorELNS0_4arch9wavefront6targetE1EEEvS12_,comdat
	.globl	_ZN7rocprim17ROCPRIM_400000_NS6detail17trampoline_kernelINS0_13select_configILj256ELj13ELNS0_17block_load_methodE3ELS4_3ELS4_3ELNS0_20block_scan_algorithmE0ELj4294967295EEENS1_25partition_config_selectorILNS1_17partition_subalgoE4EjNS0_10empty_typeEbEEZZNS1_14partition_implILS8_4ELb0ES6_15HIP_vector_typeIjLj2EENS0_17counting_iteratorIjlEEPS9_SG_NS0_5tupleIJPjSI_NS0_16reverse_iteratorISI_EEEEENSH_IJSG_SG_SG_EEES9_SI_JZNS1_25segmented_radix_sort_implINS0_14default_configELb1EPKsPsPKlPlN2at6native12_GLOBAL__N_18offset_tEEE10hipError_tPvRmT1_PNSt15iterator_traitsIS12_E10value_typeET2_T3_PNS13_IS18_E10value_typeET4_jRbjT5_S1E_jjP12ihipStream_tbEUljE_ZNSN_ISO_Lb1ESQ_SR_ST_SU_SY_EESZ_S10_S11_S12_S16_S17_S18_S1B_S1C_jS1D_jS1E_S1E_jjS1G_bEUljE0_EEESZ_S10_S11_S18_S1C_S1E_T6_T7_T9_mT8_S1G_bDpT10_ENKUlT_T0_E_clISt17integral_constantIbLb1EES1U_EEDaS1P_S1Q_EUlS1P_E_NS1_11comp_targetILNS1_3genE8ELNS1_11target_archE1030ELNS1_3gpuE2ELNS1_3repE0EEENS1_30default_config_static_selectorELNS0_4arch9wavefront6targetE1EEEvS12_ ; -- Begin function _ZN7rocprim17ROCPRIM_400000_NS6detail17trampoline_kernelINS0_13select_configILj256ELj13ELNS0_17block_load_methodE3ELS4_3ELS4_3ELNS0_20block_scan_algorithmE0ELj4294967295EEENS1_25partition_config_selectorILNS1_17partition_subalgoE4EjNS0_10empty_typeEbEEZZNS1_14partition_implILS8_4ELb0ES6_15HIP_vector_typeIjLj2EENS0_17counting_iteratorIjlEEPS9_SG_NS0_5tupleIJPjSI_NS0_16reverse_iteratorISI_EEEEENSH_IJSG_SG_SG_EEES9_SI_JZNS1_25segmented_radix_sort_implINS0_14default_configELb1EPKsPsPKlPlN2at6native12_GLOBAL__N_18offset_tEEE10hipError_tPvRmT1_PNSt15iterator_traitsIS12_E10value_typeET2_T3_PNS13_IS18_E10value_typeET4_jRbjT5_S1E_jjP12ihipStream_tbEUljE_ZNSN_ISO_Lb1ESQ_SR_ST_SU_SY_EESZ_S10_S11_S12_S16_S17_S18_S1B_S1C_jS1D_jS1E_S1E_jjS1G_bEUljE0_EEESZ_S10_S11_S18_S1C_S1E_T6_T7_T9_mT8_S1G_bDpT10_ENKUlT_T0_E_clISt17integral_constantIbLb1EES1U_EEDaS1P_S1Q_EUlS1P_E_NS1_11comp_targetILNS1_3genE8ELNS1_11target_archE1030ELNS1_3gpuE2ELNS1_3repE0EEENS1_30default_config_static_selectorELNS0_4arch9wavefront6targetE1EEEvS12_
	.p2align	8
	.type	_ZN7rocprim17ROCPRIM_400000_NS6detail17trampoline_kernelINS0_13select_configILj256ELj13ELNS0_17block_load_methodE3ELS4_3ELS4_3ELNS0_20block_scan_algorithmE0ELj4294967295EEENS1_25partition_config_selectorILNS1_17partition_subalgoE4EjNS0_10empty_typeEbEEZZNS1_14partition_implILS8_4ELb0ES6_15HIP_vector_typeIjLj2EENS0_17counting_iteratorIjlEEPS9_SG_NS0_5tupleIJPjSI_NS0_16reverse_iteratorISI_EEEEENSH_IJSG_SG_SG_EEES9_SI_JZNS1_25segmented_radix_sort_implINS0_14default_configELb1EPKsPsPKlPlN2at6native12_GLOBAL__N_18offset_tEEE10hipError_tPvRmT1_PNSt15iterator_traitsIS12_E10value_typeET2_T3_PNS13_IS18_E10value_typeET4_jRbjT5_S1E_jjP12ihipStream_tbEUljE_ZNSN_ISO_Lb1ESQ_SR_ST_SU_SY_EESZ_S10_S11_S12_S16_S17_S18_S1B_S1C_jS1D_jS1E_S1E_jjS1G_bEUljE0_EEESZ_S10_S11_S18_S1C_S1E_T6_T7_T9_mT8_S1G_bDpT10_ENKUlT_T0_E_clISt17integral_constantIbLb1EES1U_EEDaS1P_S1Q_EUlS1P_E_NS1_11comp_targetILNS1_3genE8ELNS1_11target_archE1030ELNS1_3gpuE2ELNS1_3repE0EEENS1_30default_config_static_selectorELNS0_4arch9wavefront6targetE1EEEvS12_,@function
_ZN7rocprim17ROCPRIM_400000_NS6detail17trampoline_kernelINS0_13select_configILj256ELj13ELNS0_17block_load_methodE3ELS4_3ELS4_3ELNS0_20block_scan_algorithmE0ELj4294967295EEENS1_25partition_config_selectorILNS1_17partition_subalgoE4EjNS0_10empty_typeEbEEZZNS1_14partition_implILS8_4ELb0ES6_15HIP_vector_typeIjLj2EENS0_17counting_iteratorIjlEEPS9_SG_NS0_5tupleIJPjSI_NS0_16reverse_iteratorISI_EEEEENSH_IJSG_SG_SG_EEES9_SI_JZNS1_25segmented_radix_sort_implINS0_14default_configELb1EPKsPsPKlPlN2at6native12_GLOBAL__N_18offset_tEEE10hipError_tPvRmT1_PNSt15iterator_traitsIS12_E10value_typeET2_T3_PNS13_IS18_E10value_typeET4_jRbjT5_S1E_jjP12ihipStream_tbEUljE_ZNSN_ISO_Lb1ESQ_SR_ST_SU_SY_EESZ_S10_S11_S12_S16_S17_S18_S1B_S1C_jS1D_jS1E_S1E_jjS1G_bEUljE0_EEESZ_S10_S11_S18_S1C_S1E_T6_T7_T9_mT8_S1G_bDpT10_ENKUlT_T0_E_clISt17integral_constantIbLb1EES1U_EEDaS1P_S1Q_EUlS1P_E_NS1_11comp_targetILNS1_3genE8ELNS1_11target_archE1030ELNS1_3gpuE2ELNS1_3repE0EEENS1_30default_config_static_selectorELNS0_4arch9wavefront6targetE1EEEvS12_: ; @_ZN7rocprim17ROCPRIM_400000_NS6detail17trampoline_kernelINS0_13select_configILj256ELj13ELNS0_17block_load_methodE3ELS4_3ELS4_3ELNS0_20block_scan_algorithmE0ELj4294967295EEENS1_25partition_config_selectorILNS1_17partition_subalgoE4EjNS0_10empty_typeEbEEZZNS1_14partition_implILS8_4ELb0ES6_15HIP_vector_typeIjLj2EENS0_17counting_iteratorIjlEEPS9_SG_NS0_5tupleIJPjSI_NS0_16reverse_iteratorISI_EEEEENSH_IJSG_SG_SG_EEES9_SI_JZNS1_25segmented_radix_sort_implINS0_14default_configELb1EPKsPsPKlPlN2at6native12_GLOBAL__N_18offset_tEEE10hipError_tPvRmT1_PNSt15iterator_traitsIS12_E10value_typeET2_T3_PNS13_IS18_E10value_typeET4_jRbjT5_S1E_jjP12ihipStream_tbEUljE_ZNSN_ISO_Lb1ESQ_SR_ST_SU_SY_EESZ_S10_S11_S12_S16_S17_S18_S1B_S1C_jS1D_jS1E_S1E_jjS1G_bEUljE0_EEESZ_S10_S11_S18_S1C_S1E_T6_T7_T9_mT8_S1G_bDpT10_ENKUlT_T0_E_clISt17integral_constantIbLb1EES1U_EEDaS1P_S1Q_EUlS1P_E_NS1_11comp_targetILNS1_3genE8ELNS1_11target_archE1030ELNS1_3gpuE2ELNS1_3repE0EEENS1_30default_config_static_selectorELNS0_4arch9wavefront6targetE1EEEvS12_
; %bb.0:
	.section	.rodata,"a",@progbits
	.p2align	6, 0x0
	.amdhsa_kernel _ZN7rocprim17ROCPRIM_400000_NS6detail17trampoline_kernelINS0_13select_configILj256ELj13ELNS0_17block_load_methodE3ELS4_3ELS4_3ELNS0_20block_scan_algorithmE0ELj4294967295EEENS1_25partition_config_selectorILNS1_17partition_subalgoE4EjNS0_10empty_typeEbEEZZNS1_14partition_implILS8_4ELb0ES6_15HIP_vector_typeIjLj2EENS0_17counting_iteratorIjlEEPS9_SG_NS0_5tupleIJPjSI_NS0_16reverse_iteratorISI_EEEEENSH_IJSG_SG_SG_EEES9_SI_JZNS1_25segmented_radix_sort_implINS0_14default_configELb1EPKsPsPKlPlN2at6native12_GLOBAL__N_18offset_tEEE10hipError_tPvRmT1_PNSt15iterator_traitsIS12_E10value_typeET2_T3_PNS13_IS18_E10value_typeET4_jRbjT5_S1E_jjP12ihipStream_tbEUljE_ZNSN_ISO_Lb1ESQ_SR_ST_SU_SY_EESZ_S10_S11_S12_S16_S17_S18_S1B_S1C_jS1D_jS1E_S1E_jjS1G_bEUljE0_EEESZ_S10_S11_S18_S1C_S1E_T6_T7_T9_mT8_S1G_bDpT10_ENKUlT_T0_E_clISt17integral_constantIbLb1EES1U_EEDaS1P_S1Q_EUlS1P_E_NS1_11comp_targetILNS1_3genE8ELNS1_11target_archE1030ELNS1_3gpuE2ELNS1_3repE0EEENS1_30default_config_static_selectorELNS0_4arch9wavefront6targetE1EEEvS12_
		.amdhsa_group_segment_fixed_size 0
		.amdhsa_private_segment_fixed_size 0
		.amdhsa_kernarg_size 184
		.amdhsa_user_sgpr_count 6
		.amdhsa_user_sgpr_private_segment_buffer 1
		.amdhsa_user_sgpr_dispatch_ptr 0
		.amdhsa_user_sgpr_queue_ptr 0
		.amdhsa_user_sgpr_kernarg_segment_ptr 1
		.amdhsa_user_sgpr_dispatch_id 0
		.amdhsa_user_sgpr_flat_scratch_init 0
		.amdhsa_user_sgpr_private_segment_size 0
		.amdhsa_uses_dynamic_stack 0
		.amdhsa_system_sgpr_private_segment_wavefront_offset 0
		.amdhsa_system_sgpr_workgroup_id_x 1
		.amdhsa_system_sgpr_workgroup_id_y 0
		.amdhsa_system_sgpr_workgroup_id_z 0
		.amdhsa_system_sgpr_workgroup_info 0
		.amdhsa_system_vgpr_workitem_id 0
		.amdhsa_next_free_vgpr 1
		.amdhsa_next_free_sgpr 0
		.amdhsa_reserve_vcc 0
		.amdhsa_reserve_flat_scratch 0
		.amdhsa_float_round_mode_32 0
		.amdhsa_float_round_mode_16_64 0
		.amdhsa_float_denorm_mode_32 3
		.amdhsa_float_denorm_mode_16_64 3
		.amdhsa_dx10_clamp 1
		.amdhsa_ieee_mode 1
		.amdhsa_fp16_overflow 0
		.amdhsa_exception_fp_ieee_invalid_op 0
		.amdhsa_exception_fp_denorm_src 0
		.amdhsa_exception_fp_ieee_div_zero 0
		.amdhsa_exception_fp_ieee_overflow 0
		.amdhsa_exception_fp_ieee_underflow 0
		.amdhsa_exception_fp_ieee_inexact 0
		.amdhsa_exception_int_div_zero 0
	.end_amdhsa_kernel
	.section	.text._ZN7rocprim17ROCPRIM_400000_NS6detail17trampoline_kernelINS0_13select_configILj256ELj13ELNS0_17block_load_methodE3ELS4_3ELS4_3ELNS0_20block_scan_algorithmE0ELj4294967295EEENS1_25partition_config_selectorILNS1_17partition_subalgoE4EjNS0_10empty_typeEbEEZZNS1_14partition_implILS8_4ELb0ES6_15HIP_vector_typeIjLj2EENS0_17counting_iteratorIjlEEPS9_SG_NS0_5tupleIJPjSI_NS0_16reverse_iteratorISI_EEEEENSH_IJSG_SG_SG_EEES9_SI_JZNS1_25segmented_radix_sort_implINS0_14default_configELb1EPKsPsPKlPlN2at6native12_GLOBAL__N_18offset_tEEE10hipError_tPvRmT1_PNSt15iterator_traitsIS12_E10value_typeET2_T3_PNS13_IS18_E10value_typeET4_jRbjT5_S1E_jjP12ihipStream_tbEUljE_ZNSN_ISO_Lb1ESQ_SR_ST_SU_SY_EESZ_S10_S11_S12_S16_S17_S18_S1B_S1C_jS1D_jS1E_S1E_jjS1G_bEUljE0_EEESZ_S10_S11_S18_S1C_S1E_T6_T7_T9_mT8_S1G_bDpT10_ENKUlT_T0_E_clISt17integral_constantIbLb1EES1U_EEDaS1P_S1Q_EUlS1P_E_NS1_11comp_targetILNS1_3genE8ELNS1_11target_archE1030ELNS1_3gpuE2ELNS1_3repE0EEENS1_30default_config_static_selectorELNS0_4arch9wavefront6targetE1EEEvS12_,"axG",@progbits,_ZN7rocprim17ROCPRIM_400000_NS6detail17trampoline_kernelINS0_13select_configILj256ELj13ELNS0_17block_load_methodE3ELS4_3ELS4_3ELNS0_20block_scan_algorithmE0ELj4294967295EEENS1_25partition_config_selectorILNS1_17partition_subalgoE4EjNS0_10empty_typeEbEEZZNS1_14partition_implILS8_4ELb0ES6_15HIP_vector_typeIjLj2EENS0_17counting_iteratorIjlEEPS9_SG_NS0_5tupleIJPjSI_NS0_16reverse_iteratorISI_EEEEENSH_IJSG_SG_SG_EEES9_SI_JZNS1_25segmented_radix_sort_implINS0_14default_configELb1EPKsPsPKlPlN2at6native12_GLOBAL__N_18offset_tEEE10hipError_tPvRmT1_PNSt15iterator_traitsIS12_E10value_typeET2_T3_PNS13_IS18_E10value_typeET4_jRbjT5_S1E_jjP12ihipStream_tbEUljE_ZNSN_ISO_Lb1ESQ_SR_ST_SU_SY_EESZ_S10_S11_S12_S16_S17_S18_S1B_S1C_jS1D_jS1E_S1E_jjS1G_bEUljE0_EEESZ_S10_S11_S18_S1C_S1E_T6_T7_T9_mT8_S1G_bDpT10_ENKUlT_T0_E_clISt17integral_constantIbLb1EES1U_EEDaS1P_S1Q_EUlS1P_E_NS1_11comp_targetILNS1_3genE8ELNS1_11target_archE1030ELNS1_3gpuE2ELNS1_3repE0EEENS1_30default_config_static_selectorELNS0_4arch9wavefront6targetE1EEEvS12_,comdat
.Lfunc_end862:
	.size	_ZN7rocprim17ROCPRIM_400000_NS6detail17trampoline_kernelINS0_13select_configILj256ELj13ELNS0_17block_load_methodE3ELS4_3ELS4_3ELNS0_20block_scan_algorithmE0ELj4294967295EEENS1_25partition_config_selectorILNS1_17partition_subalgoE4EjNS0_10empty_typeEbEEZZNS1_14partition_implILS8_4ELb0ES6_15HIP_vector_typeIjLj2EENS0_17counting_iteratorIjlEEPS9_SG_NS0_5tupleIJPjSI_NS0_16reverse_iteratorISI_EEEEENSH_IJSG_SG_SG_EEES9_SI_JZNS1_25segmented_radix_sort_implINS0_14default_configELb1EPKsPsPKlPlN2at6native12_GLOBAL__N_18offset_tEEE10hipError_tPvRmT1_PNSt15iterator_traitsIS12_E10value_typeET2_T3_PNS13_IS18_E10value_typeET4_jRbjT5_S1E_jjP12ihipStream_tbEUljE_ZNSN_ISO_Lb1ESQ_SR_ST_SU_SY_EESZ_S10_S11_S12_S16_S17_S18_S1B_S1C_jS1D_jS1E_S1E_jjS1G_bEUljE0_EEESZ_S10_S11_S18_S1C_S1E_T6_T7_T9_mT8_S1G_bDpT10_ENKUlT_T0_E_clISt17integral_constantIbLb1EES1U_EEDaS1P_S1Q_EUlS1P_E_NS1_11comp_targetILNS1_3genE8ELNS1_11target_archE1030ELNS1_3gpuE2ELNS1_3repE0EEENS1_30default_config_static_selectorELNS0_4arch9wavefront6targetE1EEEvS12_, .Lfunc_end862-_ZN7rocprim17ROCPRIM_400000_NS6detail17trampoline_kernelINS0_13select_configILj256ELj13ELNS0_17block_load_methodE3ELS4_3ELS4_3ELNS0_20block_scan_algorithmE0ELj4294967295EEENS1_25partition_config_selectorILNS1_17partition_subalgoE4EjNS0_10empty_typeEbEEZZNS1_14partition_implILS8_4ELb0ES6_15HIP_vector_typeIjLj2EENS0_17counting_iteratorIjlEEPS9_SG_NS0_5tupleIJPjSI_NS0_16reverse_iteratorISI_EEEEENSH_IJSG_SG_SG_EEES9_SI_JZNS1_25segmented_radix_sort_implINS0_14default_configELb1EPKsPsPKlPlN2at6native12_GLOBAL__N_18offset_tEEE10hipError_tPvRmT1_PNSt15iterator_traitsIS12_E10value_typeET2_T3_PNS13_IS18_E10value_typeET4_jRbjT5_S1E_jjP12ihipStream_tbEUljE_ZNSN_ISO_Lb1ESQ_SR_ST_SU_SY_EESZ_S10_S11_S12_S16_S17_S18_S1B_S1C_jS1D_jS1E_S1E_jjS1G_bEUljE0_EEESZ_S10_S11_S18_S1C_S1E_T6_T7_T9_mT8_S1G_bDpT10_ENKUlT_T0_E_clISt17integral_constantIbLb1EES1U_EEDaS1P_S1Q_EUlS1P_E_NS1_11comp_targetILNS1_3genE8ELNS1_11target_archE1030ELNS1_3gpuE2ELNS1_3repE0EEENS1_30default_config_static_selectorELNS0_4arch9wavefront6targetE1EEEvS12_
                                        ; -- End function
	.set _ZN7rocprim17ROCPRIM_400000_NS6detail17trampoline_kernelINS0_13select_configILj256ELj13ELNS0_17block_load_methodE3ELS4_3ELS4_3ELNS0_20block_scan_algorithmE0ELj4294967295EEENS1_25partition_config_selectorILNS1_17partition_subalgoE4EjNS0_10empty_typeEbEEZZNS1_14partition_implILS8_4ELb0ES6_15HIP_vector_typeIjLj2EENS0_17counting_iteratorIjlEEPS9_SG_NS0_5tupleIJPjSI_NS0_16reverse_iteratorISI_EEEEENSH_IJSG_SG_SG_EEES9_SI_JZNS1_25segmented_radix_sort_implINS0_14default_configELb1EPKsPsPKlPlN2at6native12_GLOBAL__N_18offset_tEEE10hipError_tPvRmT1_PNSt15iterator_traitsIS12_E10value_typeET2_T3_PNS13_IS18_E10value_typeET4_jRbjT5_S1E_jjP12ihipStream_tbEUljE_ZNSN_ISO_Lb1ESQ_SR_ST_SU_SY_EESZ_S10_S11_S12_S16_S17_S18_S1B_S1C_jS1D_jS1E_S1E_jjS1G_bEUljE0_EEESZ_S10_S11_S18_S1C_S1E_T6_T7_T9_mT8_S1G_bDpT10_ENKUlT_T0_E_clISt17integral_constantIbLb1EES1U_EEDaS1P_S1Q_EUlS1P_E_NS1_11comp_targetILNS1_3genE8ELNS1_11target_archE1030ELNS1_3gpuE2ELNS1_3repE0EEENS1_30default_config_static_selectorELNS0_4arch9wavefront6targetE1EEEvS12_.num_vgpr, 0
	.set _ZN7rocprim17ROCPRIM_400000_NS6detail17trampoline_kernelINS0_13select_configILj256ELj13ELNS0_17block_load_methodE3ELS4_3ELS4_3ELNS0_20block_scan_algorithmE0ELj4294967295EEENS1_25partition_config_selectorILNS1_17partition_subalgoE4EjNS0_10empty_typeEbEEZZNS1_14partition_implILS8_4ELb0ES6_15HIP_vector_typeIjLj2EENS0_17counting_iteratorIjlEEPS9_SG_NS0_5tupleIJPjSI_NS0_16reverse_iteratorISI_EEEEENSH_IJSG_SG_SG_EEES9_SI_JZNS1_25segmented_radix_sort_implINS0_14default_configELb1EPKsPsPKlPlN2at6native12_GLOBAL__N_18offset_tEEE10hipError_tPvRmT1_PNSt15iterator_traitsIS12_E10value_typeET2_T3_PNS13_IS18_E10value_typeET4_jRbjT5_S1E_jjP12ihipStream_tbEUljE_ZNSN_ISO_Lb1ESQ_SR_ST_SU_SY_EESZ_S10_S11_S12_S16_S17_S18_S1B_S1C_jS1D_jS1E_S1E_jjS1G_bEUljE0_EEESZ_S10_S11_S18_S1C_S1E_T6_T7_T9_mT8_S1G_bDpT10_ENKUlT_T0_E_clISt17integral_constantIbLb1EES1U_EEDaS1P_S1Q_EUlS1P_E_NS1_11comp_targetILNS1_3genE8ELNS1_11target_archE1030ELNS1_3gpuE2ELNS1_3repE0EEENS1_30default_config_static_selectorELNS0_4arch9wavefront6targetE1EEEvS12_.num_agpr, 0
	.set _ZN7rocprim17ROCPRIM_400000_NS6detail17trampoline_kernelINS0_13select_configILj256ELj13ELNS0_17block_load_methodE3ELS4_3ELS4_3ELNS0_20block_scan_algorithmE0ELj4294967295EEENS1_25partition_config_selectorILNS1_17partition_subalgoE4EjNS0_10empty_typeEbEEZZNS1_14partition_implILS8_4ELb0ES6_15HIP_vector_typeIjLj2EENS0_17counting_iteratorIjlEEPS9_SG_NS0_5tupleIJPjSI_NS0_16reverse_iteratorISI_EEEEENSH_IJSG_SG_SG_EEES9_SI_JZNS1_25segmented_radix_sort_implINS0_14default_configELb1EPKsPsPKlPlN2at6native12_GLOBAL__N_18offset_tEEE10hipError_tPvRmT1_PNSt15iterator_traitsIS12_E10value_typeET2_T3_PNS13_IS18_E10value_typeET4_jRbjT5_S1E_jjP12ihipStream_tbEUljE_ZNSN_ISO_Lb1ESQ_SR_ST_SU_SY_EESZ_S10_S11_S12_S16_S17_S18_S1B_S1C_jS1D_jS1E_S1E_jjS1G_bEUljE0_EEESZ_S10_S11_S18_S1C_S1E_T6_T7_T9_mT8_S1G_bDpT10_ENKUlT_T0_E_clISt17integral_constantIbLb1EES1U_EEDaS1P_S1Q_EUlS1P_E_NS1_11comp_targetILNS1_3genE8ELNS1_11target_archE1030ELNS1_3gpuE2ELNS1_3repE0EEENS1_30default_config_static_selectorELNS0_4arch9wavefront6targetE1EEEvS12_.numbered_sgpr, 0
	.set _ZN7rocprim17ROCPRIM_400000_NS6detail17trampoline_kernelINS0_13select_configILj256ELj13ELNS0_17block_load_methodE3ELS4_3ELS4_3ELNS0_20block_scan_algorithmE0ELj4294967295EEENS1_25partition_config_selectorILNS1_17partition_subalgoE4EjNS0_10empty_typeEbEEZZNS1_14partition_implILS8_4ELb0ES6_15HIP_vector_typeIjLj2EENS0_17counting_iteratorIjlEEPS9_SG_NS0_5tupleIJPjSI_NS0_16reverse_iteratorISI_EEEEENSH_IJSG_SG_SG_EEES9_SI_JZNS1_25segmented_radix_sort_implINS0_14default_configELb1EPKsPsPKlPlN2at6native12_GLOBAL__N_18offset_tEEE10hipError_tPvRmT1_PNSt15iterator_traitsIS12_E10value_typeET2_T3_PNS13_IS18_E10value_typeET4_jRbjT5_S1E_jjP12ihipStream_tbEUljE_ZNSN_ISO_Lb1ESQ_SR_ST_SU_SY_EESZ_S10_S11_S12_S16_S17_S18_S1B_S1C_jS1D_jS1E_S1E_jjS1G_bEUljE0_EEESZ_S10_S11_S18_S1C_S1E_T6_T7_T9_mT8_S1G_bDpT10_ENKUlT_T0_E_clISt17integral_constantIbLb1EES1U_EEDaS1P_S1Q_EUlS1P_E_NS1_11comp_targetILNS1_3genE8ELNS1_11target_archE1030ELNS1_3gpuE2ELNS1_3repE0EEENS1_30default_config_static_selectorELNS0_4arch9wavefront6targetE1EEEvS12_.num_named_barrier, 0
	.set _ZN7rocprim17ROCPRIM_400000_NS6detail17trampoline_kernelINS0_13select_configILj256ELj13ELNS0_17block_load_methodE3ELS4_3ELS4_3ELNS0_20block_scan_algorithmE0ELj4294967295EEENS1_25partition_config_selectorILNS1_17partition_subalgoE4EjNS0_10empty_typeEbEEZZNS1_14partition_implILS8_4ELb0ES6_15HIP_vector_typeIjLj2EENS0_17counting_iteratorIjlEEPS9_SG_NS0_5tupleIJPjSI_NS0_16reverse_iteratorISI_EEEEENSH_IJSG_SG_SG_EEES9_SI_JZNS1_25segmented_radix_sort_implINS0_14default_configELb1EPKsPsPKlPlN2at6native12_GLOBAL__N_18offset_tEEE10hipError_tPvRmT1_PNSt15iterator_traitsIS12_E10value_typeET2_T3_PNS13_IS18_E10value_typeET4_jRbjT5_S1E_jjP12ihipStream_tbEUljE_ZNSN_ISO_Lb1ESQ_SR_ST_SU_SY_EESZ_S10_S11_S12_S16_S17_S18_S1B_S1C_jS1D_jS1E_S1E_jjS1G_bEUljE0_EEESZ_S10_S11_S18_S1C_S1E_T6_T7_T9_mT8_S1G_bDpT10_ENKUlT_T0_E_clISt17integral_constantIbLb1EES1U_EEDaS1P_S1Q_EUlS1P_E_NS1_11comp_targetILNS1_3genE8ELNS1_11target_archE1030ELNS1_3gpuE2ELNS1_3repE0EEENS1_30default_config_static_selectorELNS0_4arch9wavefront6targetE1EEEvS12_.private_seg_size, 0
	.set _ZN7rocprim17ROCPRIM_400000_NS6detail17trampoline_kernelINS0_13select_configILj256ELj13ELNS0_17block_load_methodE3ELS4_3ELS4_3ELNS0_20block_scan_algorithmE0ELj4294967295EEENS1_25partition_config_selectorILNS1_17partition_subalgoE4EjNS0_10empty_typeEbEEZZNS1_14partition_implILS8_4ELb0ES6_15HIP_vector_typeIjLj2EENS0_17counting_iteratorIjlEEPS9_SG_NS0_5tupleIJPjSI_NS0_16reverse_iteratorISI_EEEEENSH_IJSG_SG_SG_EEES9_SI_JZNS1_25segmented_radix_sort_implINS0_14default_configELb1EPKsPsPKlPlN2at6native12_GLOBAL__N_18offset_tEEE10hipError_tPvRmT1_PNSt15iterator_traitsIS12_E10value_typeET2_T3_PNS13_IS18_E10value_typeET4_jRbjT5_S1E_jjP12ihipStream_tbEUljE_ZNSN_ISO_Lb1ESQ_SR_ST_SU_SY_EESZ_S10_S11_S12_S16_S17_S18_S1B_S1C_jS1D_jS1E_S1E_jjS1G_bEUljE0_EEESZ_S10_S11_S18_S1C_S1E_T6_T7_T9_mT8_S1G_bDpT10_ENKUlT_T0_E_clISt17integral_constantIbLb1EES1U_EEDaS1P_S1Q_EUlS1P_E_NS1_11comp_targetILNS1_3genE8ELNS1_11target_archE1030ELNS1_3gpuE2ELNS1_3repE0EEENS1_30default_config_static_selectorELNS0_4arch9wavefront6targetE1EEEvS12_.uses_vcc, 0
	.set _ZN7rocprim17ROCPRIM_400000_NS6detail17trampoline_kernelINS0_13select_configILj256ELj13ELNS0_17block_load_methodE3ELS4_3ELS4_3ELNS0_20block_scan_algorithmE0ELj4294967295EEENS1_25partition_config_selectorILNS1_17partition_subalgoE4EjNS0_10empty_typeEbEEZZNS1_14partition_implILS8_4ELb0ES6_15HIP_vector_typeIjLj2EENS0_17counting_iteratorIjlEEPS9_SG_NS0_5tupleIJPjSI_NS0_16reverse_iteratorISI_EEEEENSH_IJSG_SG_SG_EEES9_SI_JZNS1_25segmented_radix_sort_implINS0_14default_configELb1EPKsPsPKlPlN2at6native12_GLOBAL__N_18offset_tEEE10hipError_tPvRmT1_PNSt15iterator_traitsIS12_E10value_typeET2_T3_PNS13_IS18_E10value_typeET4_jRbjT5_S1E_jjP12ihipStream_tbEUljE_ZNSN_ISO_Lb1ESQ_SR_ST_SU_SY_EESZ_S10_S11_S12_S16_S17_S18_S1B_S1C_jS1D_jS1E_S1E_jjS1G_bEUljE0_EEESZ_S10_S11_S18_S1C_S1E_T6_T7_T9_mT8_S1G_bDpT10_ENKUlT_T0_E_clISt17integral_constantIbLb1EES1U_EEDaS1P_S1Q_EUlS1P_E_NS1_11comp_targetILNS1_3genE8ELNS1_11target_archE1030ELNS1_3gpuE2ELNS1_3repE0EEENS1_30default_config_static_selectorELNS0_4arch9wavefront6targetE1EEEvS12_.uses_flat_scratch, 0
	.set _ZN7rocprim17ROCPRIM_400000_NS6detail17trampoline_kernelINS0_13select_configILj256ELj13ELNS0_17block_load_methodE3ELS4_3ELS4_3ELNS0_20block_scan_algorithmE0ELj4294967295EEENS1_25partition_config_selectorILNS1_17partition_subalgoE4EjNS0_10empty_typeEbEEZZNS1_14partition_implILS8_4ELb0ES6_15HIP_vector_typeIjLj2EENS0_17counting_iteratorIjlEEPS9_SG_NS0_5tupleIJPjSI_NS0_16reverse_iteratorISI_EEEEENSH_IJSG_SG_SG_EEES9_SI_JZNS1_25segmented_radix_sort_implINS0_14default_configELb1EPKsPsPKlPlN2at6native12_GLOBAL__N_18offset_tEEE10hipError_tPvRmT1_PNSt15iterator_traitsIS12_E10value_typeET2_T3_PNS13_IS18_E10value_typeET4_jRbjT5_S1E_jjP12ihipStream_tbEUljE_ZNSN_ISO_Lb1ESQ_SR_ST_SU_SY_EESZ_S10_S11_S12_S16_S17_S18_S1B_S1C_jS1D_jS1E_S1E_jjS1G_bEUljE0_EEESZ_S10_S11_S18_S1C_S1E_T6_T7_T9_mT8_S1G_bDpT10_ENKUlT_T0_E_clISt17integral_constantIbLb1EES1U_EEDaS1P_S1Q_EUlS1P_E_NS1_11comp_targetILNS1_3genE8ELNS1_11target_archE1030ELNS1_3gpuE2ELNS1_3repE0EEENS1_30default_config_static_selectorELNS0_4arch9wavefront6targetE1EEEvS12_.has_dyn_sized_stack, 0
	.set _ZN7rocprim17ROCPRIM_400000_NS6detail17trampoline_kernelINS0_13select_configILj256ELj13ELNS0_17block_load_methodE3ELS4_3ELS4_3ELNS0_20block_scan_algorithmE0ELj4294967295EEENS1_25partition_config_selectorILNS1_17partition_subalgoE4EjNS0_10empty_typeEbEEZZNS1_14partition_implILS8_4ELb0ES6_15HIP_vector_typeIjLj2EENS0_17counting_iteratorIjlEEPS9_SG_NS0_5tupleIJPjSI_NS0_16reverse_iteratorISI_EEEEENSH_IJSG_SG_SG_EEES9_SI_JZNS1_25segmented_radix_sort_implINS0_14default_configELb1EPKsPsPKlPlN2at6native12_GLOBAL__N_18offset_tEEE10hipError_tPvRmT1_PNSt15iterator_traitsIS12_E10value_typeET2_T3_PNS13_IS18_E10value_typeET4_jRbjT5_S1E_jjP12ihipStream_tbEUljE_ZNSN_ISO_Lb1ESQ_SR_ST_SU_SY_EESZ_S10_S11_S12_S16_S17_S18_S1B_S1C_jS1D_jS1E_S1E_jjS1G_bEUljE0_EEESZ_S10_S11_S18_S1C_S1E_T6_T7_T9_mT8_S1G_bDpT10_ENKUlT_T0_E_clISt17integral_constantIbLb1EES1U_EEDaS1P_S1Q_EUlS1P_E_NS1_11comp_targetILNS1_3genE8ELNS1_11target_archE1030ELNS1_3gpuE2ELNS1_3repE0EEENS1_30default_config_static_selectorELNS0_4arch9wavefront6targetE1EEEvS12_.has_recursion, 0
	.set _ZN7rocprim17ROCPRIM_400000_NS6detail17trampoline_kernelINS0_13select_configILj256ELj13ELNS0_17block_load_methodE3ELS4_3ELS4_3ELNS0_20block_scan_algorithmE0ELj4294967295EEENS1_25partition_config_selectorILNS1_17partition_subalgoE4EjNS0_10empty_typeEbEEZZNS1_14partition_implILS8_4ELb0ES6_15HIP_vector_typeIjLj2EENS0_17counting_iteratorIjlEEPS9_SG_NS0_5tupleIJPjSI_NS0_16reverse_iteratorISI_EEEEENSH_IJSG_SG_SG_EEES9_SI_JZNS1_25segmented_radix_sort_implINS0_14default_configELb1EPKsPsPKlPlN2at6native12_GLOBAL__N_18offset_tEEE10hipError_tPvRmT1_PNSt15iterator_traitsIS12_E10value_typeET2_T3_PNS13_IS18_E10value_typeET4_jRbjT5_S1E_jjP12ihipStream_tbEUljE_ZNSN_ISO_Lb1ESQ_SR_ST_SU_SY_EESZ_S10_S11_S12_S16_S17_S18_S1B_S1C_jS1D_jS1E_S1E_jjS1G_bEUljE0_EEESZ_S10_S11_S18_S1C_S1E_T6_T7_T9_mT8_S1G_bDpT10_ENKUlT_T0_E_clISt17integral_constantIbLb1EES1U_EEDaS1P_S1Q_EUlS1P_E_NS1_11comp_targetILNS1_3genE8ELNS1_11target_archE1030ELNS1_3gpuE2ELNS1_3repE0EEENS1_30default_config_static_selectorELNS0_4arch9wavefront6targetE1EEEvS12_.has_indirect_call, 0
	.section	.AMDGPU.csdata,"",@progbits
; Kernel info:
; codeLenInByte = 0
; TotalNumSgprs: 4
; NumVgprs: 0
; ScratchSize: 0
; MemoryBound: 0
; FloatMode: 240
; IeeeMode: 1
; LDSByteSize: 0 bytes/workgroup (compile time only)
; SGPRBlocks: 0
; VGPRBlocks: 0
; NumSGPRsForWavesPerEU: 4
; NumVGPRsForWavesPerEU: 1
; Occupancy: 10
; WaveLimiterHint : 0
; COMPUTE_PGM_RSRC2:SCRATCH_EN: 0
; COMPUTE_PGM_RSRC2:USER_SGPR: 6
; COMPUTE_PGM_RSRC2:TRAP_HANDLER: 0
; COMPUTE_PGM_RSRC2:TGID_X_EN: 1
; COMPUTE_PGM_RSRC2:TGID_Y_EN: 0
; COMPUTE_PGM_RSRC2:TGID_Z_EN: 0
; COMPUTE_PGM_RSRC2:TIDIG_COMP_CNT: 0
	.section	.text._ZN7rocprim17ROCPRIM_400000_NS6detail17trampoline_kernelINS0_13select_configILj256ELj13ELNS0_17block_load_methodE3ELS4_3ELS4_3ELNS0_20block_scan_algorithmE0ELj4294967295EEENS1_25partition_config_selectorILNS1_17partition_subalgoE4EjNS0_10empty_typeEbEEZZNS1_14partition_implILS8_4ELb0ES6_15HIP_vector_typeIjLj2EENS0_17counting_iteratorIjlEEPS9_SG_NS0_5tupleIJPjSI_NS0_16reverse_iteratorISI_EEEEENSH_IJSG_SG_SG_EEES9_SI_JZNS1_25segmented_radix_sort_implINS0_14default_configELb1EPKsPsPKlPlN2at6native12_GLOBAL__N_18offset_tEEE10hipError_tPvRmT1_PNSt15iterator_traitsIS12_E10value_typeET2_T3_PNS13_IS18_E10value_typeET4_jRbjT5_S1E_jjP12ihipStream_tbEUljE_ZNSN_ISO_Lb1ESQ_SR_ST_SU_SY_EESZ_S10_S11_S12_S16_S17_S18_S1B_S1C_jS1D_jS1E_S1E_jjS1G_bEUljE0_EEESZ_S10_S11_S18_S1C_S1E_T6_T7_T9_mT8_S1G_bDpT10_ENKUlT_T0_E_clISt17integral_constantIbLb1EES1T_IbLb0EEEEDaS1P_S1Q_EUlS1P_E_NS1_11comp_targetILNS1_3genE0ELNS1_11target_archE4294967295ELNS1_3gpuE0ELNS1_3repE0EEENS1_30default_config_static_selectorELNS0_4arch9wavefront6targetE1EEEvS12_,"axG",@progbits,_ZN7rocprim17ROCPRIM_400000_NS6detail17trampoline_kernelINS0_13select_configILj256ELj13ELNS0_17block_load_methodE3ELS4_3ELS4_3ELNS0_20block_scan_algorithmE0ELj4294967295EEENS1_25partition_config_selectorILNS1_17partition_subalgoE4EjNS0_10empty_typeEbEEZZNS1_14partition_implILS8_4ELb0ES6_15HIP_vector_typeIjLj2EENS0_17counting_iteratorIjlEEPS9_SG_NS0_5tupleIJPjSI_NS0_16reverse_iteratorISI_EEEEENSH_IJSG_SG_SG_EEES9_SI_JZNS1_25segmented_radix_sort_implINS0_14default_configELb1EPKsPsPKlPlN2at6native12_GLOBAL__N_18offset_tEEE10hipError_tPvRmT1_PNSt15iterator_traitsIS12_E10value_typeET2_T3_PNS13_IS18_E10value_typeET4_jRbjT5_S1E_jjP12ihipStream_tbEUljE_ZNSN_ISO_Lb1ESQ_SR_ST_SU_SY_EESZ_S10_S11_S12_S16_S17_S18_S1B_S1C_jS1D_jS1E_S1E_jjS1G_bEUljE0_EEESZ_S10_S11_S18_S1C_S1E_T6_T7_T9_mT8_S1G_bDpT10_ENKUlT_T0_E_clISt17integral_constantIbLb1EES1T_IbLb0EEEEDaS1P_S1Q_EUlS1P_E_NS1_11comp_targetILNS1_3genE0ELNS1_11target_archE4294967295ELNS1_3gpuE0ELNS1_3repE0EEENS1_30default_config_static_selectorELNS0_4arch9wavefront6targetE1EEEvS12_,comdat
	.globl	_ZN7rocprim17ROCPRIM_400000_NS6detail17trampoline_kernelINS0_13select_configILj256ELj13ELNS0_17block_load_methodE3ELS4_3ELS4_3ELNS0_20block_scan_algorithmE0ELj4294967295EEENS1_25partition_config_selectorILNS1_17partition_subalgoE4EjNS0_10empty_typeEbEEZZNS1_14partition_implILS8_4ELb0ES6_15HIP_vector_typeIjLj2EENS0_17counting_iteratorIjlEEPS9_SG_NS0_5tupleIJPjSI_NS0_16reverse_iteratorISI_EEEEENSH_IJSG_SG_SG_EEES9_SI_JZNS1_25segmented_radix_sort_implINS0_14default_configELb1EPKsPsPKlPlN2at6native12_GLOBAL__N_18offset_tEEE10hipError_tPvRmT1_PNSt15iterator_traitsIS12_E10value_typeET2_T3_PNS13_IS18_E10value_typeET4_jRbjT5_S1E_jjP12ihipStream_tbEUljE_ZNSN_ISO_Lb1ESQ_SR_ST_SU_SY_EESZ_S10_S11_S12_S16_S17_S18_S1B_S1C_jS1D_jS1E_S1E_jjS1G_bEUljE0_EEESZ_S10_S11_S18_S1C_S1E_T6_T7_T9_mT8_S1G_bDpT10_ENKUlT_T0_E_clISt17integral_constantIbLb1EES1T_IbLb0EEEEDaS1P_S1Q_EUlS1P_E_NS1_11comp_targetILNS1_3genE0ELNS1_11target_archE4294967295ELNS1_3gpuE0ELNS1_3repE0EEENS1_30default_config_static_selectorELNS0_4arch9wavefront6targetE1EEEvS12_ ; -- Begin function _ZN7rocprim17ROCPRIM_400000_NS6detail17trampoline_kernelINS0_13select_configILj256ELj13ELNS0_17block_load_methodE3ELS4_3ELS4_3ELNS0_20block_scan_algorithmE0ELj4294967295EEENS1_25partition_config_selectorILNS1_17partition_subalgoE4EjNS0_10empty_typeEbEEZZNS1_14partition_implILS8_4ELb0ES6_15HIP_vector_typeIjLj2EENS0_17counting_iteratorIjlEEPS9_SG_NS0_5tupleIJPjSI_NS0_16reverse_iteratorISI_EEEEENSH_IJSG_SG_SG_EEES9_SI_JZNS1_25segmented_radix_sort_implINS0_14default_configELb1EPKsPsPKlPlN2at6native12_GLOBAL__N_18offset_tEEE10hipError_tPvRmT1_PNSt15iterator_traitsIS12_E10value_typeET2_T3_PNS13_IS18_E10value_typeET4_jRbjT5_S1E_jjP12ihipStream_tbEUljE_ZNSN_ISO_Lb1ESQ_SR_ST_SU_SY_EESZ_S10_S11_S12_S16_S17_S18_S1B_S1C_jS1D_jS1E_S1E_jjS1G_bEUljE0_EEESZ_S10_S11_S18_S1C_S1E_T6_T7_T9_mT8_S1G_bDpT10_ENKUlT_T0_E_clISt17integral_constantIbLb1EES1T_IbLb0EEEEDaS1P_S1Q_EUlS1P_E_NS1_11comp_targetILNS1_3genE0ELNS1_11target_archE4294967295ELNS1_3gpuE0ELNS1_3repE0EEENS1_30default_config_static_selectorELNS0_4arch9wavefront6targetE1EEEvS12_
	.p2align	8
	.type	_ZN7rocprim17ROCPRIM_400000_NS6detail17trampoline_kernelINS0_13select_configILj256ELj13ELNS0_17block_load_methodE3ELS4_3ELS4_3ELNS0_20block_scan_algorithmE0ELj4294967295EEENS1_25partition_config_selectorILNS1_17partition_subalgoE4EjNS0_10empty_typeEbEEZZNS1_14partition_implILS8_4ELb0ES6_15HIP_vector_typeIjLj2EENS0_17counting_iteratorIjlEEPS9_SG_NS0_5tupleIJPjSI_NS0_16reverse_iteratorISI_EEEEENSH_IJSG_SG_SG_EEES9_SI_JZNS1_25segmented_radix_sort_implINS0_14default_configELb1EPKsPsPKlPlN2at6native12_GLOBAL__N_18offset_tEEE10hipError_tPvRmT1_PNSt15iterator_traitsIS12_E10value_typeET2_T3_PNS13_IS18_E10value_typeET4_jRbjT5_S1E_jjP12ihipStream_tbEUljE_ZNSN_ISO_Lb1ESQ_SR_ST_SU_SY_EESZ_S10_S11_S12_S16_S17_S18_S1B_S1C_jS1D_jS1E_S1E_jjS1G_bEUljE0_EEESZ_S10_S11_S18_S1C_S1E_T6_T7_T9_mT8_S1G_bDpT10_ENKUlT_T0_E_clISt17integral_constantIbLb1EES1T_IbLb0EEEEDaS1P_S1Q_EUlS1P_E_NS1_11comp_targetILNS1_3genE0ELNS1_11target_archE4294967295ELNS1_3gpuE0ELNS1_3repE0EEENS1_30default_config_static_selectorELNS0_4arch9wavefront6targetE1EEEvS12_,@function
_ZN7rocprim17ROCPRIM_400000_NS6detail17trampoline_kernelINS0_13select_configILj256ELj13ELNS0_17block_load_methodE3ELS4_3ELS4_3ELNS0_20block_scan_algorithmE0ELj4294967295EEENS1_25partition_config_selectorILNS1_17partition_subalgoE4EjNS0_10empty_typeEbEEZZNS1_14partition_implILS8_4ELb0ES6_15HIP_vector_typeIjLj2EENS0_17counting_iteratorIjlEEPS9_SG_NS0_5tupleIJPjSI_NS0_16reverse_iteratorISI_EEEEENSH_IJSG_SG_SG_EEES9_SI_JZNS1_25segmented_radix_sort_implINS0_14default_configELb1EPKsPsPKlPlN2at6native12_GLOBAL__N_18offset_tEEE10hipError_tPvRmT1_PNSt15iterator_traitsIS12_E10value_typeET2_T3_PNS13_IS18_E10value_typeET4_jRbjT5_S1E_jjP12ihipStream_tbEUljE_ZNSN_ISO_Lb1ESQ_SR_ST_SU_SY_EESZ_S10_S11_S12_S16_S17_S18_S1B_S1C_jS1D_jS1E_S1E_jjS1G_bEUljE0_EEESZ_S10_S11_S18_S1C_S1E_T6_T7_T9_mT8_S1G_bDpT10_ENKUlT_T0_E_clISt17integral_constantIbLb1EES1T_IbLb0EEEEDaS1P_S1Q_EUlS1P_E_NS1_11comp_targetILNS1_3genE0ELNS1_11target_archE4294967295ELNS1_3gpuE0ELNS1_3repE0EEENS1_30default_config_static_selectorELNS0_4arch9wavefront6targetE1EEEvS12_: ; @_ZN7rocprim17ROCPRIM_400000_NS6detail17trampoline_kernelINS0_13select_configILj256ELj13ELNS0_17block_load_methodE3ELS4_3ELS4_3ELNS0_20block_scan_algorithmE0ELj4294967295EEENS1_25partition_config_selectorILNS1_17partition_subalgoE4EjNS0_10empty_typeEbEEZZNS1_14partition_implILS8_4ELb0ES6_15HIP_vector_typeIjLj2EENS0_17counting_iteratorIjlEEPS9_SG_NS0_5tupleIJPjSI_NS0_16reverse_iteratorISI_EEEEENSH_IJSG_SG_SG_EEES9_SI_JZNS1_25segmented_radix_sort_implINS0_14default_configELb1EPKsPsPKlPlN2at6native12_GLOBAL__N_18offset_tEEE10hipError_tPvRmT1_PNSt15iterator_traitsIS12_E10value_typeET2_T3_PNS13_IS18_E10value_typeET4_jRbjT5_S1E_jjP12ihipStream_tbEUljE_ZNSN_ISO_Lb1ESQ_SR_ST_SU_SY_EESZ_S10_S11_S12_S16_S17_S18_S1B_S1C_jS1D_jS1E_S1E_jjS1G_bEUljE0_EEESZ_S10_S11_S18_S1C_S1E_T6_T7_T9_mT8_S1G_bDpT10_ENKUlT_T0_E_clISt17integral_constantIbLb1EES1T_IbLb0EEEEDaS1P_S1Q_EUlS1P_E_NS1_11comp_targetILNS1_3genE0ELNS1_11target_archE4294967295ELNS1_3gpuE0ELNS1_3repE0EEENS1_30default_config_static_selectorELNS0_4arch9wavefront6targetE1EEEvS12_
; %bb.0:
	.section	.rodata,"a",@progbits
	.p2align	6, 0x0
	.amdhsa_kernel _ZN7rocprim17ROCPRIM_400000_NS6detail17trampoline_kernelINS0_13select_configILj256ELj13ELNS0_17block_load_methodE3ELS4_3ELS4_3ELNS0_20block_scan_algorithmE0ELj4294967295EEENS1_25partition_config_selectorILNS1_17partition_subalgoE4EjNS0_10empty_typeEbEEZZNS1_14partition_implILS8_4ELb0ES6_15HIP_vector_typeIjLj2EENS0_17counting_iteratorIjlEEPS9_SG_NS0_5tupleIJPjSI_NS0_16reverse_iteratorISI_EEEEENSH_IJSG_SG_SG_EEES9_SI_JZNS1_25segmented_radix_sort_implINS0_14default_configELb1EPKsPsPKlPlN2at6native12_GLOBAL__N_18offset_tEEE10hipError_tPvRmT1_PNSt15iterator_traitsIS12_E10value_typeET2_T3_PNS13_IS18_E10value_typeET4_jRbjT5_S1E_jjP12ihipStream_tbEUljE_ZNSN_ISO_Lb1ESQ_SR_ST_SU_SY_EESZ_S10_S11_S12_S16_S17_S18_S1B_S1C_jS1D_jS1E_S1E_jjS1G_bEUljE0_EEESZ_S10_S11_S18_S1C_S1E_T6_T7_T9_mT8_S1G_bDpT10_ENKUlT_T0_E_clISt17integral_constantIbLb1EES1T_IbLb0EEEEDaS1P_S1Q_EUlS1P_E_NS1_11comp_targetILNS1_3genE0ELNS1_11target_archE4294967295ELNS1_3gpuE0ELNS1_3repE0EEENS1_30default_config_static_selectorELNS0_4arch9wavefront6targetE1EEEvS12_
		.amdhsa_group_segment_fixed_size 0
		.amdhsa_private_segment_fixed_size 0
		.amdhsa_kernarg_size 176
		.amdhsa_user_sgpr_count 6
		.amdhsa_user_sgpr_private_segment_buffer 1
		.amdhsa_user_sgpr_dispatch_ptr 0
		.amdhsa_user_sgpr_queue_ptr 0
		.amdhsa_user_sgpr_kernarg_segment_ptr 1
		.amdhsa_user_sgpr_dispatch_id 0
		.amdhsa_user_sgpr_flat_scratch_init 0
		.amdhsa_user_sgpr_private_segment_size 0
		.amdhsa_uses_dynamic_stack 0
		.amdhsa_system_sgpr_private_segment_wavefront_offset 0
		.amdhsa_system_sgpr_workgroup_id_x 1
		.amdhsa_system_sgpr_workgroup_id_y 0
		.amdhsa_system_sgpr_workgroup_id_z 0
		.amdhsa_system_sgpr_workgroup_info 0
		.amdhsa_system_vgpr_workitem_id 0
		.amdhsa_next_free_vgpr 1
		.amdhsa_next_free_sgpr 0
		.amdhsa_reserve_vcc 0
		.amdhsa_reserve_flat_scratch 0
		.amdhsa_float_round_mode_32 0
		.amdhsa_float_round_mode_16_64 0
		.amdhsa_float_denorm_mode_32 3
		.amdhsa_float_denorm_mode_16_64 3
		.amdhsa_dx10_clamp 1
		.amdhsa_ieee_mode 1
		.amdhsa_fp16_overflow 0
		.amdhsa_exception_fp_ieee_invalid_op 0
		.amdhsa_exception_fp_denorm_src 0
		.amdhsa_exception_fp_ieee_div_zero 0
		.amdhsa_exception_fp_ieee_overflow 0
		.amdhsa_exception_fp_ieee_underflow 0
		.amdhsa_exception_fp_ieee_inexact 0
		.amdhsa_exception_int_div_zero 0
	.end_amdhsa_kernel
	.section	.text._ZN7rocprim17ROCPRIM_400000_NS6detail17trampoline_kernelINS0_13select_configILj256ELj13ELNS0_17block_load_methodE3ELS4_3ELS4_3ELNS0_20block_scan_algorithmE0ELj4294967295EEENS1_25partition_config_selectorILNS1_17partition_subalgoE4EjNS0_10empty_typeEbEEZZNS1_14partition_implILS8_4ELb0ES6_15HIP_vector_typeIjLj2EENS0_17counting_iteratorIjlEEPS9_SG_NS0_5tupleIJPjSI_NS0_16reverse_iteratorISI_EEEEENSH_IJSG_SG_SG_EEES9_SI_JZNS1_25segmented_radix_sort_implINS0_14default_configELb1EPKsPsPKlPlN2at6native12_GLOBAL__N_18offset_tEEE10hipError_tPvRmT1_PNSt15iterator_traitsIS12_E10value_typeET2_T3_PNS13_IS18_E10value_typeET4_jRbjT5_S1E_jjP12ihipStream_tbEUljE_ZNSN_ISO_Lb1ESQ_SR_ST_SU_SY_EESZ_S10_S11_S12_S16_S17_S18_S1B_S1C_jS1D_jS1E_S1E_jjS1G_bEUljE0_EEESZ_S10_S11_S18_S1C_S1E_T6_T7_T9_mT8_S1G_bDpT10_ENKUlT_T0_E_clISt17integral_constantIbLb1EES1T_IbLb0EEEEDaS1P_S1Q_EUlS1P_E_NS1_11comp_targetILNS1_3genE0ELNS1_11target_archE4294967295ELNS1_3gpuE0ELNS1_3repE0EEENS1_30default_config_static_selectorELNS0_4arch9wavefront6targetE1EEEvS12_,"axG",@progbits,_ZN7rocprim17ROCPRIM_400000_NS6detail17trampoline_kernelINS0_13select_configILj256ELj13ELNS0_17block_load_methodE3ELS4_3ELS4_3ELNS0_20block_scan_algorithmE0ELj4294967295EEENS1_25partition_config_selectorILNS1_17partition_subalgoE4EjNS0_10empty_typeEbEEZZNS1_14partition_implILS8_4ELb0ES6_15HIP_vector_typeIjLj2EENS0_17counting_iteratorIjlEEPS9_SG_NS0_5tupleIJPjSI_NS0_16reverse_iteratorISI_EEEEENSH_IJSG_SG_SG_EEES9_SI_JZNS1_25segmented_radix_sort_implINS0_14default_configELb1EPKsPsPKlPlN2at6native12_GLOBAL__N_18offset_tEEE10hipError_tPvRmT1_PNSt15iterator_traitsIS12_E10value_typeET2_T3_PNS13_IS18_E10value_typeET4_jRbjT5_S1E_jjP12ihipStream_tbEUljE_ZNSN_ISO_Lb1ESQ_SR_ST_SU_SY_EESZ_S10_S11_S12_S16_S17_S18_S1B_S1C_jS1D_jS1E_S1E_jjS1G_bEUljE0_EEESZ_S10_S11_S18_S1C_S1E_T6_T7_T9_mT8_S1G_bDpT10_ENKUlT_T0_E_clISt17integral_constantIbLb1EES1T_IbLb0EEEEDaS1P_S1Q_EUlS1P_E_NS1_11comp_targetILNS1_3genE0ELNS1_11target_archE4294967295ELNS1_3gpuE0ELNS1_3repE0EEENS1_30default_config_static_selectorELNS0_4arch9wavefront6targetE1EEEvS12_,comdat
.Lfunc_end863:
	.size	_ZN7rocprim17ROCPRIM_400000_NS6detail17trampoline_kernelINS0_13select_configILj256ELj13ELNS0_17block_load_methodE3ELS4_3ELS4_3ELNS0_20block_scan_algorithmE0ELj4294967295EEENS1_25partition_config_selectorILNS1_17partition_subalgoE4EjNS0_10empty_typeEbEEZZNS1_14partition_implILS8_4ELb0ES6_15HIP_vector_typeIjLj2EENS0_17counting_iteratorIjlEEPS9_SG_NS0_5tupleIJPjSI_NS0_16reverse_iteratorISI_EEEEENSH_IJSG_SG_SG_EEES9_SI_JZNS1_25segmented_radix_sort_implINS0_14default_configELb1EPKsPsPKlPlN2at6native12_GLOBAL__N_18offset_tEEE10hipError_tPvRmT1_PNSt15iterator_traitsIS12_E10value_typeET2_T3_PNS13_IS18_E10value_typeET4_jRbjT5_S1E_jjP12ihipStream_tbEUljE_ZNSN_ISO_Lb1ESQ_SR_ST_SU_SY_EESZ_S10_S11_S12_S16_S17_S18_S1B_S1C_jS1D_jS1E_S1E_jjS1G_bEUljE0_EEESZ_S10_S11_S18_S1C_S1E_T6_T7_T9_mT8_S1G_bDpT10_ENKUlT_T0_E_clISt17integral_constantIbLb1EES1T_IbLb0EEEEDaS1P_S1Q_EUlS1P_E_NS1_11comp_targetILNS1_3genE0ELNS1_11target_archE4294967295ELNS1_3gpuE0ELNS1_3repE0EEENS1_30default_config_static_selectorELNS0_4arch9wavefront6targetE1EEEvS12_, .Lfunc_end863-_ZN7rocprim17ROCPRIM_400000_NS6detail17trampoline_kernelINS0_13select_configILj256ELj13ELNS0_17block_load_methodE3ELS4_3ELS4_3ELNS0_20block_scan_algorithmE0ELj4294967295EEENS1_25partition_config_selectorILNS1_17partition_subalgoE4EjNS0_10empty_typeEbEEZZNS1_14partition_implILS8_4ELb0ES6_15HIP_vector_typeIjLj2EENS0_17counting_iteratorIjlEEPS9_SG_NS0_5tupleIJPjSI_NS0_16reverse_iteratorISI_EEEEENSH_IJSG_SG_SG_EEES9_SI_JZNS1_25segmented_radix_sort_implINS0_14default_configELb1EPKsPsPKlPlN2at6native12_GLOBAL__N_18offset_tEEE10hipError_tPvRmT1_PNSt15iterator_traitsIS12_E10value_typeET2_T3_PNS13_IS18_E10value_typeET4_jRbjT5_S1E_jjP12ihipStream_tbEUljE_ZNSN_ISO_Lb1ESQ_SR_ST_SU_SY_EESZ_S10_S11_S12_S16_S17_S18_S1B_S1C_jS1D_jS1E_S1E_jjS1G_bEUljE0_EEESZ_S10_S11_S18_S1C_S1E_T6_T7_T9_mT8_S1G_bDpT10_ENKUlT_T0_E_clISt17integral_constantIbLb1EES1T_IbLb0EEEEDaS1P_S1Q_EUlS1P_E_NS1_11comp_targetILNS1_3genE0ELNS1_11target_archE4294967295ELNS1_3gpuE0ELNS1_3repE0EEENS1_30default_config_static_selectorELNS0_4arch9wavefront6targetE1EEEvS12_
                                        ; -- End function
	.set _ZN7rocprim17ROCPRIM_400000_NS6detail17trampoline_kernelINS0_13select_configILj256ELj13ELNS0_17block_load_methodE3ELS4_3ELS4_3ELNS0_20block_scan_algorithmE0ELj4294967295EEENS1_25partition_config_selectorILNS1_17partition_subalgoE4EjNS0_10empty_typeEbEEZZNS1_14partition_implILS8_4ELb0ES6_15HIP_vector_typeIjLj2EENS0_17counting_iteratorIjlEEPS9_SG_NS0_5tupleIJPjSI_NS0_16reverse_iteratorISI_EEEEENSH_IJSG_SG_SG_EEES9_SI_JZNS1_25segmented_radix_sort_implINS0_14default_configELb1EPKsPsPKlPlN2at6native12_GLOBAL__N_18offset_tEEE10hipError_tPvRmT1_PNSt15iterator_traitsIS12_E10value_typeET2_T3_PNS13_IS18_E10value_typeET4_jRbjT5_S1E_jjP12ihipStream_tbEUljE_ZNSN_ISO_Lb1ESQ_SR_ST_SU_SY_EESZ_S10_S11_S12_S16_S17_S18_S1B_S1C_jS1D_jS1E_S1E_jjS1G_bEUljE0_EEESZ_S10_S11_S18_S1C_S1E_T6_T7_T9_mT8_S1G_bDpT10_ENKUlT_T0_E_clISt17integral_constantIbLb1EES1T_IbLb0EEEEDaS1P_S1Q_EUlS1P_E_NS1_11comp_targetILNS1_3genE0ELNS1_11target_archE4294967295ELNS1_3gpuE0ELNS1_3repE0EEENS1_30default_config_static_selectorELNS0_4arch9wavefront6targetE1EEEvS12_.num_vgpr, 0
	.set _ZN7rocprim17ROCPRIM_400000_NS6detail17trampoline_kernelINS0_13select_configILj256ELj13ELNS0_17block_load_methodE3ELS4_3ELS4_3ELNS0_20block_scan_algorithmE0ELj4294967295EEENS1_25partition_config_selectorILNS1_17partition_subalgoE4EjNS0_10empty_typeEbEEZZNS1_14partition_implILS8_4ELb0ES6_15HIP_vector_typeIjLj2EENS0_17counting_iteratorIjlEEPS9_SG_NS0_5tupleIJPjSI_NS0_16reverse_iteratorISI_EEEEENSH_IJSG_SG_SG_EEES9_SI_JZNS1_25segmented_radix_sort_implINS0_14default_configELb1EPKsPsPKlPlN2at6native12_GLOBAL__N_18offset_tEEE10hipError_tPvRmT1_PNSt15iterator_traitsIS12_E10value_typeET2_T3_PNS13_IS18_E10value_typeET4_jRbjT5_S1E_jjP12ihipStream_tbEUljE_ZNSN_ISO_Lb1ESQ_SR_ST_SU_SY_EESZ_S10_S11_S12_S16_S17_S18_S1B_S1C_jS1D_jS1E_S1E_jjS1G_bEUljE0_EEESZ_S10_S11_S18_S1C_S1E_T6_T7_T9_mT8_S1G_bDpT10_ENKUlT_T0_E_clISt17integral_constantIbLb1EES1T_IbLb0EEEEDaS1P_S1Q_EUlS1P_E_NS1_11comp_targetILNS1_3genE0ELNS1_11target_archE4294967295ELNS1_3gpuE0ELNS1_3repE0EEENS1_30default_config_static_selectorELNS0_4arch9wavefront6targetE1EEEvS12_.num_agpr, 0
	.set _ZN7rocprim17ROCPRIM_400000_NS6detail17trampoline_kernelINS0_13select_configILj256ELj13ELNS0_17block_load_methodE3ELS4_3ELS4_3ELNS0_20block_scan_algorithmE0ELj4294967295EEENS1_25partition_config_selectorILNS1_17partition_subalgoE4EjNS0_10empty_typeEbEEZZNS1_14partition_implILS8_4ELb0ES6_15HIP_vector_typeIjLj2EENS0_17counting_iteratorIjlEEPS9_SG_NS0_5tupleIJPjSI_NS0_16reverse_iteratorISI_EEEEENSH_IJSG_SG_SG_EEES9_SI_JZNS1_25segmented_radix_sort_implINS0_14default_configELb1EPKsPsPKlPlN2at6native12_GLOBAL__N_18offset_tEEE10hipError_tPvRmT1_PNSt15iterator_traitsIS12_E10value_typeET2_T3_PNS13_IS18_E10value_typeET4_jRbjT5_S1E_jjP12ihipStream_tbEUljE_ZNSN_ISO_Lb1ESQ_SR_ST_SU_SY_EESZ_S10_S11_S12_S16_S17_S18_S1B_S1C_jS1D_jS1E_S1E_jjS1G_bEUljE0_EEESZ_S10_S11_S18_S1C_S1E_T6_T7_T9_mT8_S1G_bDpT10_ENKUlT_T0_E_clISt17integral_constantIbLb1EES1T_IbLb0EEEEDaS1P_S1Q_EUlS1P_E_NS1_11comp_targetILNS1_3genE0ELNS1_11target_archE4294967295ELNS1_3gpuE0ELNS1_3repE0EEENS1_30default_config_static_selectorELNS0_4arch9wavefront6targetE1EEEvS12_.numbered_sgpr, 0
	.set _ZN7rocprim17ROCPRIM_400000_NS6detail17trampoline_kernelINS0_13select_configILj256ELj13ELNS0_17block_load_methodE3ELS4_3ELS4_3ELNS0_20block_scan_algorithmE0ELj4294967295EEENS1_25partition_config_selectorILNS1_17partition_subalgoE4EjNS0_10empty_typeEbEEZZNS1_14partition_implILS8_4ELb0ES6_15HIP_vector_typeIjLj2EENS0_17counting_iteratorIjlEEPS9_SG_NS0_5tupleIJPjSI_NS0_16reverse_iteratorISI_EEEEENSH_IJSG_SG_SG_EEES9_SI_JZNS1_25segmented_radix_sort_implINS0_14default_configELb1EPKsPsPKlPlN2at6native12_GLOBAL__N_18offset_tEEE10hipError_tPvRmT1_PNSt15iterator_traitsIS12_E10value_typeET2_T3_PNS13_IS18_E10value_typeET4_jRbjT5_S1E_jjP12ihipStream_tbEUljE_ZNSN_ISO_Lb1ESQ_SR_ST_SU_SY_EESZ_S10_S11_S12_S16_S17_S18_S1B_S1C_jS1D_jS1E_S1E_jjS1G_bEUljE0_EEESZ_S10_S11_S18_S1C_S1E_T6_T7_T9_mT8_S1G_bDpT10_ENKUlT_T0_E_clISt17integral_constantIbLb1EES1T_IbLb0EEEEDaS1P_S1Q_EUlS1P_E_NS1_11comp_targetILNS1_3genE0ELNS1_11target_archE4294967295ELNS1_3gpuE0ELNS1_3repE0EEENS1_30default_config_static_selectorELNS0_4arch9wavefront6targetE1EEEvS12_.num_named_barrier, 0
	.set _ZN7rocprim17ROCPRIM_400000_NS6detail17trampoline_kernelINS0_13select_configILj256ELj13ELNS0_17block_load_methodE3ELS4_3ELS4_3ELNS0_20block_scan_algorithmE0ELj4294967295EEENS1_25partition_config_selectorILNS1_17partition_subalgoE4EjNS0_10empty_typeEbEEZZNS1_14partition_implILS8_4ELb0ES6_15HIP_vector_typeIjLj2EENS0_17counting_iteratorIjlEEPS9_SG_NS0_5tupleIJPjSI_NS0_16reverse_iteratorISI_EEEEENSH_IJSG_SG_SG_EEES9_SI_JZNS1_25segmented_radix_sort_implINS0_14default_configELb1EPKsPsPKlPlN2at6native12_GLOBAL__N_18offset_tEEE10hipError_tPvRmT1_PNSt15iterator_traitsIS12_E10value_typeET2_T3_PNS13_IS18_E10value_typeET4_jRbjT5_S1E_jjP12ihipStream_tbEUljE_ZNSN_ISO_Lb1ESQ_SR_ST_SU_SY_EESZ_S10_S11_S12_S16_S17_S18_S1B_S1C_jS1D_jS1E_S1E_jjS1G_bEUljE0_EEESZ_S10_S11_S18_S1C_S1E_T6_T7_T9_mT8_S1G_bDpT10_ENKUlT_T0_E_clISt17integral_constantIbLb1EES1T_IbLb0EEEEDaS1P_S1Q_EUlS1P_E_NS1_11comp_targetILNS1_3genE0ELNS1_11target_archE4294967295ELNS1_3gpuE0ELNS1_3repE0EEENS1_30default_config_static_selectorELNS0_4arch9wavefront6targetE1EEEvS12_.private_seg_size, 0
	.set _ZN7rocprim17ROCPRIM_400000_NS6detail17trampoline_kernelINS0_13select_configILj256ELj13ELNS0_17block_load_methodE3ELS4_3ELS4_3ELNS0_20block_scan_algorithmE0ELj4294967295EEENS1_25partition_config_selectorILNS1_17partition_subalgoE4EjNS0_10empty_typeEbEEZZNS1_14partition_implILS8_4ELb0ES6_15HIP_vector_typeIjLj2EENS0_17counting_iteratorIjlEEPS9_SG_NS0_5tupleIJPjSI_NS0_16reverse_iteratorISI_EEEEENSH_IJSG_SG_SG_EEES9_SI_JZNS1_25segmented_radix_sort_implINS0_14default_configELb1EPKsPsPKlPlN2at6native12_GLOBAL__N_18offset_tEEE10hipError_tPvRmT1_PNSt15iterator_traitsIS12_E10value_typeET2_T3_PNS13_IS18_E10value_typeET4_jRbjT5_S1E_jjP12ihipStream_tbEUljE_ZNSN_ISO_Lb1ESQ_SR_ST_SU_SY_EESZ_S10_S11_S12_S16_S17_S18_S1B_S1C_jS1D_jS1E_S1E_jjS1G_bEUljE0_EEESZ_S10_S11_S18_S1C_S1E_T6_T7_T9_mT8_S1G_bDpT10_ENKUlT_T0_E_clISt17integral_constantIbLb1EES1T_IbLb0EEEEDaS1P_S1Q_EUlS1P_E_NS1_11comp_targetILNS1_3genE0ELNS1_11target_archE4294967295ELNS1_3gpuE0ELNS1_3repE0EEENS1_30default_config_static_selectorELNS0_4arch9wavefront6targetE1EEEvS12_.uses_vcc, 0
	.set _ZN7rocprim17ROCPRIM_400000_NS6detail17trampoline_kernelINS0_13select_configILj256ELj13ELNS0_17block_load_methodE3ELS4_3ELS4_3ELNS0_20block_scan_algorithmE0ELj4294967295EEENS1_25partition_config_selectorILNS1_17partition_subalgoE4EjNS0_10empty_typeEbEEZZNS1_14partition_implILS8_4ELb0ES6_15HIP_vector_typeIjLj2EENS0_17counting_iteratorIjlEEPS9_SG_NS0_5tupleIJPjSI_NS0_16reverse_iteratorISI_EEEEENSH_IJSG_SG_SG_EEES9_SI_JZNS1_25segmented_radix_sort_implINS0_14default_configELb1EPKsPsPKlPlN2at6native12_GLOBAL__N_18offset_tEEE10hipError_tPvRmT1_PNSt15iterator_traitsIS12_E10value_typeET2_T3_PNS13_IS18_E10value_typeET4_jRbjT5_S1E_jjP12ihipStream_tbEUljE_ZNSN_ISO_Lb1ESQ_SR_ST_SU_SY_EESZ_S10_S11_S12_S16_S17_S18_S1B_S1C_jS1D_jS1E_S1E_jjS1G_bEUljE0_EEESZ_S10_S11_S18_S1C_S1E_T6_T7_T9_mT8_S1G_bDpT10_ENKUlT_T0_E_clISt17integral_constantIbLb1EES1T_IbLb0EEEEDaS1P_S1Q_EUlS1P_E_NS1_11comp_targetILNS1_3genE0ELNS1_11target_archE4294967295ELNS1_3gpuE0ELNS1_3repE0EEENS1_30default_config_static_selectorELNS0_4arch9wavefront6targetE1EEEvS12_.uses_flat_scratch, 0
	.set _ZN7rocprim17ROCPRIM_400000_NS6detail17trampoline_kernelINS0_13select_configILj256ELj13ELNS0_17block_load_methodE3ELS4_3ELS4_3ELNS0_20block_scan_algorithmE0ELj4294967295EEENS1_25partition_config_selectorILNS1_17partition_subalgoE4EjNS0_10empty_typeEbEEZZNS1_14partition_implILS8_4ELb0ES6_15HIP_vector_typeIjLj2EENS0_17counting_iteratorIjlEEPS9_SG_NS0_5tupleIJPjSI_NS0_16reverse_iteratorISI_EEEEENSH_IJSG_SG_SG_EEES9_SI_JZNS1_25segmented_radix_sort_implINS0_14default_configELb1EPKsPsPKlPlN2at6native12_GLOBAL__N_18offset_tEEE10hipError_tPvRmT1_PNSt15iterator_traitsIS12_E10value_typeET2_T3_PNS13_IS18_E10value_typeET4_jRbjT5_S1E_jjP12ihipStream_tbEUljE_ZNSN_ISO_Lb1ESQ_SR_ST_SU_SY_EESZ_S10_S11_S12_S16_S17_S18_S1B_S1C_jS1D_jS1E_S1E_jjS1G_bEUljE0_EEESZ_S10_S11_S18_S1C_S1E_T6_T7_T9_mT8_S1G_bDpT10_ENKUlT_T0_E_clISt17integral_constantIbLb1EES1T_IbLb0EEEEDaS1P_S1Q_EUlS1P_E_NS1_11comp_targetILNS1_3genE0ELNS1_11target_archE4294967295ELNS1_3gpuE0ELNS1_3repE0EEENS1_30default_config_static_selectorELNS0_4arch9wavefront6targetE1EEEvS12_.has_dyn_sized_stack, 0
	.set _ZN7rocprim17ROCPRIM_400000_NS6detail17trampoline_kernelINS0_13select_configILj256ELj13ELNS0_17block_load_methodE3ELS4_3ELS4_3ELNS0_20block_scan_algorithmE0ELj4294967295EEENS1_25partition_config_selectorILNS1_17partition_subalgoE4EjNS0_10empty_typeEbEEZZNS1_14partition_implILS8_4ELb0ES6_15HIP_vector_typeIjLj2EENS0_17counting_iteratorIjlEEPS9_SG_NS0_5tupleIJPjSI_NS0_16reverse_iteratorISI_EEEEENSH_IJSG_SG_SG_EEES9_SI_JZNS1_25segmented_radix_sort_implINS0_14default_configELb1EPKsPsPKlPlN2at6native12_GLOBAL__N_18offset_tEEE10hipError_tPvRmT1_PNSt15iterator_traitsIS12_E10value_typeET2_T3_PNS13_IS18_E10value_typeET4_jRbjT5_S1E_jjP12ihipStream_tbEUljE_ZNSN_ISO_Lb1ESQ_SR_ST_SU_SY_EESZ_S10_S11_S12_S16_S17_S18_S1B_S1C_jS1D_jS1E_S1E_jjS1G_bEUljE0_EEESZ_S10_S11_S18_S1C_S1E_T6_T7_T9_mT8_S1G_bDpT10_ENKUlT_T0_E_clISt17integral_constantIbLb1EES1T_IbLb0EEEEDaS1P_S1Q_EUlS1P_E_NS1_11comp_targetILNS1_3genE0ELNS1_11target_archE4294967295ELNS1_3gpuE0ELNS1_3repE0EEENS1_30default_config_static_selectorELNS0_4arch9wavefront6targetE1EEEvS12_.has_recursion, 0
	.set _ZN7rocprim17ROCPRIM_400000_NS6detail17trampoline_kernelINS0_13select_configILj256ELj13ELNS0_17block_load_methodE3ELS4_3ELS4_3ELNS0_20block_scan_algorithmE0ELj4294967295EEENS1_25partition_config_selectorILNS1_17partition_subalgoE4EjNS0_10empty_typeEbEEZZNS1_14partition_implILS8_4ELb0ES6_15HIP_vector_typeIjLj2EENS0_17counting_iteratorIjlEEPS9_SG_NS0_5tupleIJPjSI_NS0_16reverse_iteratorISI_EEEEENSH_IJSG_SG_SG_EEES9_SI_JZNS1_25segmented_radix_sort_implINS0_14default_configELb1EPKsPsPKlPlN2at6native12_GLOBAL__N_18offset_tEEE10hipError_tPvRmT1_PNSt15iterator_traitsIS12_E10value_typeET2_T3_PNS13_IS18_E10value_typeET4_jRbjT5_S1E_jjP12ihipStream_tbEUljE_ZNSN_ISO_Lb1ESQ_SR_ST_SU_SY_EESZ_S10_S11_S12_S16_S17_S18_S1B_S1C_jS1D_jS1E_S1E_jjS1G_bEUljE0_EEESZ_S10_S11_S18_S1C_S1E_T6_T7_T9_mT8_S1G_bDpT10_ENKUlT_T0_E_clISt17integral_constantIbLb1EES1T_IbLb0EEEEDaS1P_S1Q_EUlS1P_E_NS1_11comp_targetILNS1_3genE0ELNS1_11target_archE4294967295ELNS1_3gpuE0ELNS1_3repE0EEENS1_30default_config_static_selectorELNS0_4arch9wavefront6targetE1EEEvS12_.has_indirect_call, 0
	.section	.AMDGPU.csdata,"",@progbits
; Kernel info:
; codeLenInByte = 0
; TotalNumSgprs: 4
; NumVgprs: 0
; ScratchSize: 0
; MemoryBound: 0
; FloatMode: 240
; IeeeMode: 1
; LDSByteSize: 0 bytes/workgroup (compile time only)
; SGPRBlocks: 0
; VGPRBlocks: 0
; NumSGPRsForWavesPerEU: 4
; NumVGPRsForWavesPerEU: 1
; Occupancy: 10
; WaveLimiterHint : 0
; COMPUTE_PGM_RSRC2:SCRATCH_EN: 0
; COMPUTE_PGM_RSRC2:USER_SGPR: 6
; COMPUTE_PGM_RSRC2:TRAP_HANDLER: 0
; COMPUTE_PGM_RSRC2:TGID_X_EN: 1
; COMPUTE_PGM_RSRC2:TGID_Y_EN: 0
; COMPUTE_PGM_RSRC2:TGID_Z_EN: 0
; COMPUTE_PGM_RSRC2:TIDIG_COMP_CNT: 0
	.section	.text._ZN7rocprim17ROCPRIM_400000_NS6detail17trampoline_kernelINS0_13select_configILj256ELj13ELNS0_17block_load_methodE3ELS4_3ELS4_3ELNS0_20block_scan_algorithmE0ELj4294967295EEENS1_25partition_config_selectorILNS1_17partition_subalgoE4EjNS0_10empty_typeEbEEZZNS1_14partition_implILS8_4ELb0ES6_15HIP_vector_typeIjLj2EENS0_17counting_iteratorIjlEEPS9_SG_NS0_5tupleIJPjSI_NS0_16reverse_iteratorISI_EEEEENSH_IJSG_SG_SG_EEES9_SI_JZNS1_25segmented_radix_sort_implINS0_14default_configELb1EPKsPsPKlPlN2at6native12_GLOBAL__N_18offset_tEEE10hipError_tPvRmT1_PNSt15iterator_traitsIS12_E10value_typeET2_T3_PNS13_IS18_E10value_typeET4_jRbjT5_S1E_jjP12ihipStream_tbEUljE_ZNSN_ISO_Lb1ESQ_SR_ST_SU_SY_EESZ_S10_S11_S12_S16_S17_S18_S1B_S1C_jS1D_jS1E_S1E_jjS1G_bEUljE0_EEESZ_S10_S11_S18_S1C_S1E_T6_T7_T9_mT8_S1G_bDpT10_ENKUlT_T0_E_clISt17integral_constantIbLb1EES1T_IbLb0EEEEDaS1P_S1Q_EUlS1P_E_NS1_11comp_targetILNS1_3genE5ELNS1_11target_archE942ELNS1_3gpuE9ELNS1_3repE0EEENS1_30default_config_static_selectorELNS0_4arch9wavefront6targetE1EEEvS12_,"axG",@progbits,_ZN7rocprim17ROCPRIM_400000_NS6detail17trampoline_kernelINS0_13select_configILj256ELj13ELNS0_17block_load_methodE3ELS4_3ELS4_3ELNS0_20block_scan_algorithmE0ELj4294967295EEENS1_25partition_config_selectorILNS1_17partition_subalgoE4EjNS0_10empty_typeEbEEZZNS1_14partition_implILS8_4ELb0ES6_15HIP_vector_typeIjLj2EENS0_17counting_iteratorIjlEEPS9_SG_NS0_5tupleIJPjSI_NS0_16reverse_iteratorISI_EEEEENSH_IJSG_SG_SG_EEES9_SI_JZNS1_25segmented_radix_sort_implINS0_14default_configELb1EPKsPsPKlPlN2at6native12_GLOBAL__N_18offset_tEEE10hipError_tPvRmT1_PNSt15iterator_traitsIS12_E10value_typeET2_T3_PNS13_IS18_E10value_typeET4_jRbjT5_S1E_jjP12ihipStream_tbEUljE_ZNSN_ISO_Lb1ESQ_SR_ST_SU_SY_EESZ_S10_S11_S12_S16_S17_S18_S1B_S1C_jS1D_jS1E_S1E_jjS1G_bEUljE0_EEESZ_S10_S11_S18_S1C_S1E_T6_T7_T9_mT8_S1G_bDpT10_ENKUlT_T0_E_clISt17integral_constantIbLb1EES1T_IbLb0EEEEDaS1P_S1Q_EUlS1P_E_NS1_11comp_targetILNS1_3genE5ELNS1_11target_archE942ELNS1_3gpuE9ELNS1_3repE0EEENS1_30default_config_static_selectorELNS0_4arch9wavefront6targetE1EEEvS12_,comdat
	.globl	_ZN7rocprim17ROCPRIM_400000_NS6detail17trampoline_kernelINS0_13select_configILj256ELj13ELNS0_17block_load_methodE3ELS4_3ELS4_3ELNS0_20block_scan_algorithmE0ELj4294967295EEENS1_25partition_config_selectorILNS1_17partition_subalgoE4EjNS0_10empty_typeEbEEZZNS1_14partition_implILS8_4ELb0ES6_15HIP_vector_typeIjLj2EENS0_17counting_iteratorIjlEEPS9_SG_NS0_5tupleIJPjSI_NS0_16reverse_iteratorISI_EEEEENSH_IJSG_SG_SG_EEES9_SI_JZNS1_25segmented_radix_sort_implINS0_14default_configELb1EPKsPsPKlPlN2at6native12_GLOBAL__N_18offset_tEEE10hipError_tPvRmT1_PNSt15iterator_traitsIS12_E10value_typeET2_T3_PNS13_IS18_E10value_typeET4_jRbjT5_S1E_jjP12ihipStream_tbEUljE_ZNSN_ISO_Lb1ESQ_SR_ST_SU_SY_EESZ_S10_S11_S12_S16_S17_S18_S1B_S1C_jS1D_jS1E_S1E_jjS1G_bEUljE0_EEESZ_S10_S11_S18_S1C_S1E_T6_T7_T9_mT8_S1G_bDpT10_ENKUlT_T0_E_clISt17integral_constantIbLb1EES1T_IbLb0EEEEDaS1P_S1Q_EUlS1P_E_NS1_11comp_targetILNS1_3genE5ELNS1_11target_archE942ELNS1_3gpuE9ELNS1_3repE0EEENS1_30default_config_static_selectorELNS0_4arch9wavefront6targetE1EEEvS12_ ; -- Begin function _ZN7rocprim17ROCPRIM_400000_NS6detail17trampoline_kernelINS0_13select_configILj256ELj13ELNS0_17block_load_methodE3ELS4_3ELS4_3ELNS0_20block_scan_algorithmE0ELj4294967295EEENS1_25partition_config_selectorILNS1_17partition_subalgoE4EjNS0_10empty_typeEbEEZZNS1_14partition_implILS8_4ELb0ES6_15HIP_vector_typeIjLj2EENS0_17counting_iteratorIjlEEPS9_SG_NS0_5tupleIJPjSI_NS0_16reverse_iteratorISI_EEEEENSH_IJSG_SG_SG_EEES9_SI_JZNS1_25segmented_radix_sort_implINS0_14default_configELb1EPKsPsPKlPlN2at6native12_GLOBAL__N_18offset_tEEE10hipError_tPvRmT1_PNSt15iterator_traitsIS12_E10value_typeET2_T3_PNS13_IS18_E10value_typeET4_jRbjT5_S1E_jjP12ihipStream_tbEUljE_ZNSN_ISO_Lb1ESQ_SR_ST_SU_SY_EESZ_S10_S11_S12_S16_S17_S18_S1B_S1C_jS1D_jS1E_S1E_jjS1G_bEUljE0_EEESZ_S10_S11_S18_S1C_S1E_T6_T7_T9_mT8_S1G_bDpT10_ENKUlT_T0_E_clISt17integral_constantIbLb1EES1T_IbLb0EEEEDaS1P_S1Q_EUlS1P_E_NS1_11comp_targetILNS1_3genE5ELNS1_11target_archE942ELNS1_3gpuE9ELNS1_3repE0EEENS1_30default_config_static_selectorELNS0_4arch9wavefront6targetE1EEEvS12_
	.p2align	8
	.type	_ZN7rocprim17ROCPRIM_400000_NS6detail17trampoline_kernelINS0_13select_configILj256ELj13ELNS0_17block_load_methodE3ELS4_3ELS4_3ELNS0_20block_scan_algorithmE0ELj4294967295EEENS1_25partition_config_selectorILNS1_17partition_subalgoE4EjNS0_10empty_typeEbEEZZNS1_14partition_implILS8_4ELb0ES6_15HIP_vector_typeIjLj2EENS0_17counting_iteratorIjlEEPS9_SG_NS0_5tupleIJPjSI_NS0_16reverse_iteratorISI_EEEEENSH_IJSG_SG_SG_EEES9_SI_JZNS1_25segmented_radix_sort_implINS0_14default_configELb1EPKsPsPKlPlN2at6native12_GLOBAL__N_18offset_tEEE10hipError_tPvRmT1_PNSt15iterator_traitsIS12_E10value_typeET2_T3_PNS13_IS18_E10value_typeET4_jRbjT5_S1E_jjP12ihipStream_tbEUljE_ZNSN_ISO_Lb1ESQ_SR_ST_SU_SY_EESZ_S10_S11_S12_S16_S17_S18_S1B_S1C_jS1D_jS1E_S1E_jjS1G_bEUljE0_EEESZ_S10_S11_S18_S1C_S1E_T6_T7_T9_mT8_S1G_bDpT10_ENKUlT_T0_E_clISt17integral_constantIbLb1EES1T_IbLb0EEEEDaS1P_S1Q_EUlS1P_E_NS1_11comp_targetILNS1_3genE5ELNS1_11target_archE942ELNS1_3gpuE9ELNS1_3repE0EEENS1_30default_config_static_selectorELNS0_4arch9wavefront6targetE1EEEvS12_,@function
_ZN7rocprim17ROCPRIM_400000_NS6detail17trampoline_kernelINS0_13select_configILj256ELj13ELNS0_17block_load_methodE3ELS4_3ELS4_3ELNS0_20block_scan_algorithmE0ELj4294967295EEENS1_25partition_config_selectorILNS1_17partition_subalgoE4EjNS0_10empty_typeEbEEZZNS1_14partition_implILS8_4ELb0ES6_15HIP_vector_typeIjLj2EENS0_17counting_iteratorIjlEEPS9_SG_NS0_5tupleIJPjSI_NS0_16reverse_iteratorISI_EEEEENSH_IJSG_SG_SG_EEES9_SI_JZNS1_25segmented_radix_sort_implINS0_14default_configELb1EPKsPsPKlPlN2at6native12_GLOBAL__N_18offset_tEEE10hipError_tPvRmT1_PNSt15iterator_traitsIS12_E10value_typeET2_T3_PNS13_IS18_E10value_typeET4_jRbjT5_S1E_jjP12ihipStream_tbEUljE_ZNSN_ISO_Lb1ESQ_SR_ST_SU_SY_EESZ_S10_S11_S12_S16_S17_S18_S1B_S1C_jS1D_jS1E_S1E_jjS1G_bEUljE0_EEESZ_S10_S11_S18_S1C_S1E_T6_T7_T9_mT8_S1G_bDpT10_ENKUlT_T0_E_clISt17integral_constantIbLb1EES1T_IbLb0EEEEDaS1P_S1Q_EUlS1P_E_NS1_11comp_targetILNS1_3genE5ELNS1_11target_archE942ELNS1_3gpuE9ELNS1_3repE0EEENS1_30default_config_static_selectorELNS0_4arch9wavefront6targetE1EEEvS12_: ; @_ZN7rocprim17ROCPRIM_400000_NS6detail17trampoline_kernelINS0_13select_configILj256ELj13ELNS0_17block_load_methodE3ELS4_3ELS4_3ELNS0_20block_scan_algorithmE0ELj4294967295EEENS1_25partition_config_selectorILNS1_17partition_subalgoE4EjNS0_10empty_typeEbEEZZNS1_14partition_implILS8_4ELb0ES6_15HIP_vector_typeIjLj2EENS0_17counting_iteratorIjlEEPS9_SG_NS0_5tupleIJPjSI_NS0_16reverse_iteratorISI_EEEEENSH_IJSG_SG_SG_EEES9_SI_JZNS1_25segmented_radix_sort_implINS0_14default_configELb1EPKsPsPKlPlN2at6native12_GLOBAL__N_18offset_tEEE10hipError_tPvRmT1_PNSt15iterator_traitsIS12_E10value_typeET2_T3_PNS13_IS18_E10value_typeET4_jRbjT5_S1E_jjP12ihipStream_tbEUljE_ZNSN_ISO_Lb1ESQ_SR_ST_SU_SY_EESZ_S10_S11_S12_S16_S17_S18_S1B_S1C_jS1D_jS1E_S1E_jjS1G_bEUljE0_EEESZ_S10_S11_S18_S1C_S1E_T6_T7_T9_mT8_S1G_bDpT10_ENKUlT_T0_E_clISt17integral_constantIbLb1EES1T_IbLb0EEEEDaS1P_S1Q_EUlS1P_E_NS1_11comp_targetILNS1_3genE5ELNS1_11target_archE942ELNS1_3gpuE9ELNS1_3repE0EEENS1_30default_config_static_selectorELNS0_4arch9wavefront6targetE1EEEvS12_
; %bb.0:
	.section	.rodata,"a",@progbits
	.p2align	6, 0x0
	.amdhsa_kernel _ZN7rocprim17ROCPRIM_400000_NS6detail17trampoline_kernelINS0_13select_configILj256ELj13ELNS0_17block_load_methodE3ELS4_3ELS4_3ELNS0_20block_scan_algorithmE0ELj4294967295EEENS1_25partition_config_selectorILNS1_17partition_subalgoE4EjNS0_10empty_typeEbEEZZNS1_14partition_implILS8_4ELb0ES6_15HIP_vector_typeIjLj2EENS0_17counting_iteratorIjlEEPS9_SG_NS0_5tupleIJPjSI_NS0_16reverse_iteratorISI_EEEEENSH_IJSG_SG_SG_EEES9_SI_JZNS1_25segmented_radix_sort_implINS0_14default_configELb1EPKsPsPKlPlN2at6native12_GLOBAL__N_18offset_tEEE10hipError_tPvRmT1_PNSt15iterator_traitsIS12_E10value_typeET2_T3_PNS13_IS18_E10value_typeET4_jRbjT5_S1E_jjP12ihipStream_tbEUljE_ZNSN_ISO_Lb1ESQ_SR_ST_SU_SY_EESZ_S10_S11_S12_S16_S17_S18_S1B_S1C_jS1D_jS1E_S1E_jjS1G_bEUljE0_EEESZ_S10_S11_S18_S1C_S1E_T6_T7_T9_mT8_S1G_bDpT10_ENKUlT_T0_E_clISt17integral_constantIbLb1EES1T_IbLb0EEEEDaS1P_S1Q_EUlS1P_E_NS1_11comp_targetILNS1_3genE5ELNS1_11target_archE942ELNS1_3gpuE9ELNS1_3repE0EEENS1_30default_config_static_selectorELNS0_4arch9wavefront6targetE1EEEvS12_
		.amdhsa_group_segment_fixed_size 0
		.amdhsa_private_segment_fixed_size 0
		.amdhsa_kernarg_size 176
		.amdhsa_user_sgpr_count 6
		.amdhsa_user_sgpr_private_segment_buffer 1
		.amdhsa_user_sgpr_dispatch_ptr 0
		.amdhsa_user_sgpr_queue_ptr 0
		.amdhsa_user_sgpr_kernarg_segment_ptr 1
		.amdhsa_user_sgpr_dispatch_id 0
		.amdhsa_user_sgpr_flat_scratch_init 0
		.amdhsa_user_sgpr_private_segment_size 0
		.amdhsa_uses_dynamic_stack 0
		.amdhsa_system_sgpr_private_segment_wavefront_offset 0
		.amdhsa_system_sgpr_workgroup_id_x 1
		.amdhsa_system_sgpr_workgroup_id_y 0
		.amdhsa_system_sgpr_workgroup_id_z 0
		.amdhsa_system_sgpr_workgroup_info 0
		.amdhsa_system_vgpr_workitem_id 0
		.amdhsa_next_free_vgpr 1
		.amdhsa_next_free_sgpr 0
		.amdhsa_reserve_vcc 0
		.amdhsa_reserve_flat_scratch 0
		.amdhsa_float_round_mode_32 0
		.amdhsa_float_round_mode_16_64 0
		.amdhsa_float_denorm_mode_32 3
		.amdhsa_float_denorm_mode_16_64 3
		.amdhsa_dx10_clamp 1
		.amdhsa_ieee_mode 1
		.amdhsa_fp16_overflow 0
		.amdhsa_exception_fp_ieee_invalid_op 0
		.amdhsa_exception_fp_denorm_src 0
		.amdhsa_exception_fp_ieee_div_zero 0
		.amdhsa_exception_fp_ieee_overflow 0
		.amdhsa_exception_fp_ieee_underflow 0
		.amdhsa_exception_fp_ieee_inexact 0
		.amdhsa_exception_int_div_zero 0
	.end_amdhsa_kernel
	.section	.text._ZN7rocprim17ROCPRIM_400000_NS6detail17trampoline_kernelINS0_13select_configILj256ELj13ELNS0_17block_load_methodE3ELS4_3ELS4_3ELNS0_20block_scan_algorithmE0ELj4294967295EEENS1_25partition_config_selectorILNS1_17partition_subalgoE4EjNS0_10empty_typeEbEEZZNS1_14partition_implILS8_4ELb0ES6_15HIP_vector_typeIjLj2EENS0_17counting_iteratorIjlEEPS9_SG_NS0_5tupleIJPjSI_NS0_16reverse_iteratorISI_EEEEENSH_IJSG_SG_SG_EEES9_SI_JZNS1_25segmented_radix_sort_implINS0_14default_configELb1EPKsPsPKlPlN2at6native12_GLOBAL__N_18offset_tEEE10hipError_tPvRmT1_PNSt15iterator_traitsIS12_E10value_typeET2_T3_PNS13_IS18_E10value_typeET4_jRbjT5_S1E_jjP12ihipStream_tbEUljE_ZNSN_ISO_Lb1ESQ_SR_ST_SU_SY_EESZ_S10_S11_S12_S16_S17_S18_S1B_S1C_jS1D_jS1E_S1E_jjS1G_bEUljE0_EEESZ_S10_S11_S18_S1C_S1E_T6_T7_T9_mT8_S1G_bDpT10_ENKUlT_T0_E_clISt17integral_constantIbLb1EES1T_IbLb0EEEEDaS1P_S1Q_EUlS1P_E_NS1_11comp_targetILNS1_3genE5ELNS1_11target_archE942ELNS1_3gpuE9ELNS1_3repE0EEENS1_30default_config_static_selectorELNS0_4arch9wavefront6targetE1EEEvS12_,"axG",@progbits,_ZN7rocprim17ROCPRIM_400000_NS6detail17trampoline_kernelINS0_13select_configILj256ELj13ELNS0_17block_load_methodE3ELS4_3ELS4_3ELNS0_20block_scan_algorithmE0ELj4294967295EEENS1_25partition_config_selectorILNS1_17partition_subalgoE4EjNS0_10empty_typeEbEEZZNS1_14partition_implILS8_4ELb0ES6_15HIP_vector_typeIjLj2EENS0_17counting_iteratorIjlEEPS9_SG_NS0_5tupleIJPjSI_NS0_16reverse_iteratorISI_EEEEENSH_IJSG_SG_SG_EEES9_SI_JZNS1_25segmented_radix_sort_implINS0_14default_configELb1EPKsPsPKlPlN2at6native12_GLOBAL__N_18offset_tEEE10hipError_tPvRmT1_PNSt15iterator_traitsIS12_E10value_typeET2_T3_PNS13_IS18_E10value_typeET4_jRbjT5_S1E_jjP12ihipStream_tbEUljE_ZNSN_ISO_Lb1ESQ_SR_ST_SU_SY_EESZ_S10_S11_S12_S16_S17_S18_S1B_S1C_jS1D_jS1E_S1E_jjS1G_bEUljE0_EEESZ_S10_S11_S18_S1C_S1E_T6_T7_T9_mT8_S1G_bDpT10_ENKUlT_T0_E_clISt17integral_constantIbLb1EES1T_IbLb0EEEEDaS1P_S1Q_EUlS1P_E_NS1_11comp_targetILNS1_3genE5ELNS1_11target_archE942ELNS1_3gpuE9ELNS1_3repE0EEENS1_30default_config_static_selectorELNS0_4arch9wavefront6targetE1EEEvS12_,comdat
.Lfunc_end864:
	.size	_ZN7rocprim17ROCPRIM_400000_NS6detail17trampoline_kernelINS0_13select_configILj256ELj13ELNS0_17block_load_methodE3ELS4_3ELS4_3ELNS0_20block_scan_algorithmE0ELj4294967295EEENS1_25partition_config_selectorILNS1_17partition_subalgoE4EjNS0_10empty_typeEbEEZZNS1_14partition_implILS8_4ELb0ES6_15HIP_vector_typeIjLj2EENS0_17counting_iteratorIjlEEPS9_SG_NS0_5tupleIJPjSI_NS0_16reverse_iteratorISI_EEEEENSH_IJSG_SG_SG_EEES9_SI_JZNS1_25segmented_radix_sort_implINS0_14default_configELb1EPKsPsPKlPlN2at6native12_GLOBAL__N_18offset_tEEE10hipError_tPvRmT1_PNSt15iterator_traitsIS12_E10value_typeET2_T3_PNS13_IS18_E10value_typeET4_jRbjT5_S1E_jjP12ihipStream_tbEUljE_ZNSN_ISO_Lb1ESQ_SR_ST_SU_SY_EESZ_S10_S11_S12_S16_S17_S18_S1B_S1C_jS1D_jS1E_S1E_jjS1G_bEUljE0_EEESZ_S10_S11_S18_S1C_S1E_T6_T7_T9_mT8_S1G_bDpT10_ENKUlT_T0_E_clISt17integral_constantIbLb1EES1T_IbLb0EEEEDaS1P_S1Q_EUlS1P_E_NS1_11comp_targetILNS1_3genE5ELNS1_11target_archE942ELNS1_3gpuE9ELNS1_3repE0EEENS1_30default_config_static_selectorELNS0_4arch9wavefront6targetE1EEEvS12_, .Lfunc_end864-_ZN7rocprim17ROCPRIM_400000_NS6detail17trampoline_kernelINS0_13select_configILj256ELj13ELNS0_17block_load_methodE3ELS4_3ELS4_3ELNS0_20block_scan_algorithmE0ELj4294967295EEENS1_25partition_config_selectorILNS1_17partition_subalgoE4EjNS0_10empty_typeEbEEZZNS1_14partition_implILS8_4ELb0ES6_15HIP_vector_typeIjLj2EENS0_17counting_iteratorIjlEEPS9_SG_NS0_5tupleIJPjSI_NS0_16reverse_iteratorISI_EEEEENSH_IJSG_SG_SG_EEES9_SI_JZNS1_25segmented_radix_sort_implINS0_14default_configELb1EPKsPsPKlPlN2at6native12_GLOBAL__N_18offset_tEEE10hipError_tPvRmT1_PNSt15iterator_traitsIS12_E10value_typeET2_T3_PNS13_IS18_E10value_typeET4_jRbjT5_S1E_jjP12ihipStream_tbEUljE_ZNSN_ISO_Lb1ESQ_SR_ST_SU_SY_EESZ_S10_S11_S12_S16_S17_S18_S1B_S1C_jS1D_jS1E_S1E_jjS1G_bEUljE0_EEESZ_S10_S11_S18_S1C_S1E_T6_T7_T9_mT8_S1G_bDpT10_ENKUlT_T0_E_clISt17integral_constantIbLb1EES1T_IbLb0EEEEDaS1P_S1Q_EUlS1P_E_NS1_11comp_targetILNS1_3genE5ELNS1_11target_archE942ELNS1_3gpuE9ELNS1_3repE0EEENS1_30default_config_static_selectorELNS0_4arch9wavefront6targetE1EEEvS12_
                                        ; -- End function
	.set _ZN7rocprim17ROCPRIM_400000_NS6detail17trampoline_kernelINS0_13select_configILj256ELj13ELNS0_17block_load_methodE3ELS4_3ELS4_3ELNS0_20block_scan_algorithmE0ELj4294967295EEENS1_25partition_config_selectorILNS1_17partition_subalgoE4EjNS0_10empty_typeEbEEZZNS1_14partition_implILS8_4ELb0ES6_15HIP_vector_typeIjLj2EENS0_17counting_iteratorIjlEEPS9_SG_NS0_5tupleIJPjSI_NS0_16reverse_iteratorISI_EEEEENSH_IJSG_SG_SG_EEES9_SI_JZNS1_25segmented_radix_sort_implINS0_14default_configELb1EPKsPsPKlPlN2at6native12_GLOBAL__N_18offset_tEEE10hipError_tPvRmT1_PNSt15iterator_traitsIS12_E10value_typeET2_T3_PNS13_IS18_E10value_typeET4_jRbjT5_S1E_jjP12ihipStream_tbEUljE_ZNSN_ISO_Lb1ESQ_SR_ST_SU_SY_EESZ_S10_S11_S12_S16_S17_S18_S1B_S1C_jS1D_jS1E_S1E_jjS1G_bEUljE0_EEESZ_S10_S11_S18_S1C_S1E_T6_T7_T9_mT8_S1G_bDpT10_ENKUlT_T0_E_clISt17integral_constantIbLb1EES1T_IbLb0EEEEDaS1P_S1Q_EUlS1P_E_NS1_11comp_targetILNS1_3genE5ELNS1_11target_archE942ELNS1_3gpuE9ELNS1_3repE0EEENS1_30default_config_static_selectorELNS0_4arch9wavefront6targetE1EEEvS12_.num_vgpr, 0
	.set _ZN7rocprim17ROCPRIM_400000_NS6detail17trampoline_kernelINS0_13select_configILj256ELj13ELNS0_17block_load_methodE3ELS4_3ELS4_3ELNS0_20block_scan_algorithmE0ELj4294967295EEENS1_25partition_config_selectorILNS1_17partition_subalgoE4EjNS0_10empty_typeEbEEZZNS1_14partition_implILS8_4ELb0ES6_15HIP_vector_typeIjLj2EENS0_17counting_iteratorIjlEEPS9_SG_NS0_5tupleIJPjSI_NS0_16reverse_iteratorISI_EEEEENSH_IJSG_SG_SG_EEES9_SI_JZNS1_25segmented_radix_sort_implINS0_14default_configELb1EPKsPsPKlPlN2at6native12_GLOBAL__N_18offset_tEEE10hipError_tPvRmT1_PNSt15iterator_traitsIS12_E10value_typeET2_T3_PNS13_IS18_E10value_typeET4_jRbjT5_S1E_jjP12ihipStream_tbEUljE_ZNSN_ISO_Lb1ESQ_SR_ST_SU_SY_EESZ_S10_S11_S12_S16_S17_S18_S1B_S1C_jS1D_jS1E_S1E_jjS1G_bEUljE0_EEESZ_S10_S11_S18_S1C_S1E_T6_T7_T9_mT8_S1G_bDpT10_ENKUlT_T0_E_clISt17integral_constantIbLb1EES1T_IbLb0EEEEDaS1P_S1Q_EUlS1P_E_NS1_11comp_targetILNS1_3genE5ELNS1_11target_archE942ELNS1_3gpuE9ELNS1_3repE0EEENS1_30default_config_static_selectorELNS0_4arch9wavefront6targetE1EEEvS12_.num_agpr, 0
	.set _ZN7rocprim17ROCPRIM_400000_NS6detail17trampoline_kernelINS0_13select_configILj256ELj13ELNS0_17block_load_methodE3ELS4_3ELS4_3ELNS0_20block_scan_algorithmE0ELj4294967295EEENS1_25partition_config_selectorILNS1_17partition_subalgoE4EjNS0_10empty_typeEbEEZZNS1_14partition_implILS8_4ELb0ES6_15HIP_vector_typeIjLj2EENS0_17counting_iteratorIjlEEPS9_SG_NS0_5tupleIJPjSI_NS0_16reverse_iteratorISI_EEEEENSH_IJSG_SG_SG_EEES9_SI_JZNS1_25segmented_radix_sort_implINS0_14default_configELb1EPKsPsPKlPlN2at6native12_GLOBAL__N_18offset_tEEE10hipError_tPvRmT1_PNSt15iterator_traitsIS12_E10value_typeET2_T3_PNS13_IS18_E10value_typeET4_jRbjT5_S1E_jjP12ihipStream_tbEUljE_ZNSN_ISO_Lb1ESQ_SR_ST_SU_SY_EESZ_S10_S11_S12_S16_S17_S18_S1B_S1C_jS1D_jS1E_S1E_jjS1G_bEUljE0_EEESZ_S10_S11_S18_S1C_S1E_T6_T7_T9_mT8_S1G_bDpT10_ENKUlT_T0_E_clISt17integral_constantIbLb1EES1T_IbLb0EEEEDaS1P_S1Q_EUlS1P_E_NS1_11comp_targetILNS1_3genE5ELNS1_11target_archE942ELNS1_3gpuE9ELNS1_3repE0EEENS1_30default_config_static_selectorELNS0_4arch9wavefront6targetE1EEEvS12_.numbered_sgpr, 0
	.set _ZN7rocprim17ROCPRIM_400000_NS6detail17trampoline_kernelINS0_13select_configILj256ELj13ELNS0_17block_load_methodE3ELS4_3ELS4_3ELNS0_20block_scan_algorithmE0ELj4294967295EEENS1_25partition_config_selectorILNS1_17partition_subalgoE4EjNS0_10empty_typeEbEEZZNS1_14partition_implILS8_4ELb0ES6_15HIP_vector_typeIjLj2EENS0_17counting_iteratorIjlEEPS9_SG_NS0_5tupleIJPjSI_NS0_16reverse_iteratorISI_EEEEENSH_IJSG_SG_SG_EEES9_SI_JZNS1_25segmented_radix_sort_implINS0_14default_configELb1EPKsPsPKlPlN2at6native12_GLOBAL__N_18offset_tEEE10hipError_tPvRmT1_PNSt15iterator_traitsIS12_E10value_typeET2_T3_PNS13_IS18_E10value_typeET4_jRbjT5_S1E_jjP12ihipStream_tbEUljE_ZNSN_ISO_Lb1ESQ_SR_ST_SU_SY_EESZ_S10_S11_S12_S16_S17_S18_S1B_S1C_jS1D_jS1E_S1E_jjS1G_bEUljE0_EEESZ_S10_S11_S18_S1C_S1E_T6_T7_T9_mT8_S1G_bDpT10_ENKUlT_T0_E_clISt17integral_constantIbLb1EES1T_IbLb0EEEEDaS1P_S1Q_EUlS1P_E_NS1_11comp_targetILNS1_3genE5ELNS1_11target_archE942ELNS1_3gpuE9ELNS1_3repE0EEENS1_30default_config_static_selectorELNS0_4arch9wavefront6targetE1EEEvS12_.num_named_barrier, 0
	.set _ZN7rocprim17ROCPRIM_400000_NS6detail17trampoline_kernelINS0_13select_configILj256ELj13ELNS0_17block_load_methodE3ELS4_3ELS4_3ELNS0_20block_scan_algorithmE0ELj4294967295EEENS1_25partition_config_selectorILNS1_17partition_subalgoE4EjNS0_10empty_typeEbEEZZNS1_14partition_implILS8_4ELb0ES6_15HIP_vector_typeIjLj2EENS0_17counting_iteratorIjlEEPS9_SG_NS0_5tupleIJPjSI_NS0_16reverse_iteratorISI_EEEEENSH_IJSG_SG_SG_EEES9_SI_JZNS1_25segmented_radix_sort_implINS0_14default_configELb1EPKsPsPKlPlN2at6native12_GLOBAL__N_18offset_tEEE10hipError_tPvRmT1_PNSt15iterator_traitsIS12_E10value_typeET2_T3_PNS13_IS18_E10value_typeET4_jRbjT5_S1E_jjP12ihipStream_tbEUljE_ZNSN_ISO_Lb1ESQ_SR_ST_SU_SY_EESZ_S10_S11_S12_S16_S17_S18_S1B_S1C_jS1D_jS1E_S1E_jjS1G_bEUljE0_EEESZ_S10_S11_S18_S1C_S1E_T6_T7_T9_mT8_S1G_bDpT10_ENKUlT_T0_E_clISt17integral_constantIbLb1EES1T_IbLb0EEEEDaS1P_S1Q_EUlS1P_E_NS1_11comp_targetILNS1_3genE5ELNS1_11target_archE942ELNS1_3gpuE9ELNS1_3repE0EEENS1_30default_config_static_selectorELNS0_4arch9wavefront6targetE1EEEvS12_.private_seg_size, 0
	.set _ZN7rocprim17ROCPRIM_400000_NS6detail17trampoline_kernelINS0_13select_configILj256ELj13ELNS0_17block_load_methodE3ELS4_3ELS4_3ELNS0_20block_scan_algorithmE0ELj4294967295EEENS1_25partition_config_selectorILNS1_17partition_subalgoE4EjNS0_10empty_typeEbEEZZNS1_14partition_implILS8_4ELb0ES6_15HIP_vector_typeIjLj2EENS0_17counting_iteratorIjlEEPS9_SG_NS0_5tupleIJPjSI_NS0_16reverse_iteratorISI_EEEEENSH_IJSG_SG_SG_EEES9_SI_JZNS1_25segmented_radix_sort_implINS0_14default_configELb1EPKsPsPKlPlN2at6native12_GLOBAL__N_18offset_tEEE10hipError_tPvRmT1_PNSt15iterator_traitsIS12_E10value_typeET2_T3_PNS13_IS18_E10value_typeET4_jRbjT5_S1E_jjP12ihipStream_tbEUljE_ZNSN_ISO_Lb1ESQ_SR_ST_SU_SY_EESZ_S10_S11_S12_S16_S17_S18_S1B_S1C_jS1D_jS1E_S1E_jjS1G_bEUljE0_EEESZ_S10_S11_S18_S1C_S1E_T6_T7_T9_mT8_S1G_bDpT10_ENKUlT_T0_E_clISt17integral_constantIbLb1EES1T_IbLb0EEEEDaS1P_S1Q_EUlS1P_E_NS1_11comp_targetILNS1_3genE5ELNS1_11target_archE942ELNS1_3gpuE9ELNS1_3repE0EEENS1_30default_config_static_selectorELNS0_4arch9wavefront6targetE1EEEvS12_.uses_vcc, 0
	.set _ZN7rocprim17ROCPRIM_400000_NS6detail17trampoline_kernelINS0_13select_configILj256ELj13ELNS0_17block_load_methodE3ELS4_3ELS4_3ELNS0_20block_scan_algorithmE0ELj4294967295EEENS1_25partition_config_selectorILNS1_17partition_subalgoE4EjNS0_10empty_typeEbEEZZNS1_14partition_implILS8_4ELb0ES6_15HIP_vector_typeIjLj2EENS0_17counting_iteratorIjlEEPS9_SG_NS0_5tupleIJPjSI_NS0_16reverse_iteratorISI_EEEEENSH_IJSG_SG_SG_EEES9_SI_JZNS1_25segmented_radix_sort_implINS0_14default_configELb1EPKsPsPKlPlN2at6native12_GLOBAL__N_18offset_tEEE10hipError_tPvRmT1_PNSt15iterator_traitsIS12_E10value_typeET2_T3_PNS13_IS18_E10value_typeET4_jRbjT5_S1E_jjP12ihipStream_tbEUljE_ZNSN_ISO_Lb1ESQ_SR_ST_SU_SY_EESZ_S10_S11_S12_S16_S17_S18_S1B_S1C_jS1D_jS1E_S1E_jjS1G_bEUljE0_EEESZ_S10_S11_S18_S1C_S1E_T6_T7_T9_mT8_S1G_bDpT10_ENKUlT_T0_E_clISt17integral_constantIbLb1EES1T_IbLb0EEEEDaS1P_S1Q_EUlS1P_E_NS1_11comp_targetILNS1_3genE5ELNS1_11target_archE942ELNS1_3gpuE9ELNS1_3repE0EEENS1_30default_config_static_selectorELNS0_4arch9wavefront6targetE1EEEvS12_.uses_flat_scratch, 0
	.set _ZN7rocprim17ROCPRIM_400000_NS6detail17trampoline_kernelINS0_13select_configILj256ELj13ELNS0_17block_load_methodE3ELS4_3ELS4_3ELNS0_20block_scan_algorithmE0ELj4294967295EEENS1_25partition_config_selectorILNS1_17partition_subalgoE4EjNS0_10empty_typeEbEEZZNS1_14partition_implILS8_4ELb0ES6_15HIP_vector_typeIjLj2EENS0_17counting_iteratorIjlEEPS9_SG_NS0_5tupleIJPjSI_NS0_16reverse_iteratorISI_EEEEENSH_IJSG_SG_SG_EEES9_SI_JZNS1_25segmented_radix_sort_implINS0_14default_configELb1EPKsPsPKlPlN2at6native12_GLOBAL__N_18offset_tEEE10hipError_tPvRmT1_PNSt15iterator_traitsIS12_E10value_typeET2_T3_PNS13_IS18_E10value_typeET4_jRbjT5_S1E_jjP12ihipStream_tbEUljE_ZNSN_ISO_Lb1ESQ_SR_ST_SU_SY_EESZ_S10_S11_S12_S16_S17_S18_S1B_S1C_jS1D_jS1E_S1E_jjS1G_bEUljE0_EEESZ_S10_S11_S18_S1C_S1E_T6_T7_T9_mT8_S1G_bDpT10_ENKUlT_T0_E_clISt17integral_constantIbLb1EES1T_IbLb0EEEEDaS1P_S1Q_EUlS1P_E_NS1_11comp_targetILNS1_3genE5ELNS1_11target_archE942ELNS1_3gpuE9ELNS1_3repE0EEENS1_30default_config_static_selectorELNS0_4arch9wavefront6targetE1EEEvS12_.has_dyn_sized_stack, 0
	.set _ZN7rocprim17ROCPRIM_400000_NS6detail17trampoline_kernelINS0_13select_configILj256ELj13ELNS0_17block_load_methodE3ELS4_3ELS4_3ELNS0_20block_scan_algorithmE0ELj4294967295EEENS1_25partition_config_selectorILNS1_17partition_subalgoE4EjNS0_10empty_typeEbEEZZNS1_14partition_implILS8_4ELb0ES6_15HIP_vector_typeIjLj2EENS0_17counting_iteratorIjlEEPS9_SG_NS0_5tupleIJPjSI_NS0_16reverse_iteratorISI_EEEEENSH_IJSG_SG_SG_EEES9_SI_JZNS1_25segmented_radix_sort_implINS0_14default_configELb1EPKsPsPKlPlN2at6native12_GLOBAL__N_18offset_tEEE10hipError_tPvRmT1_PNSt15iterator_traitsIS12_E10value_typeET2_T3_PNS13_IS18_E10value_typeET4_jRbjT5_S1E_jjP12ihipStream_tbEUljE_ZNSN_ISO_Lb1ESQ_SR_ST_SU_SY_EESZ_S10_S11_S12_S16_S17_S18_S1B_S1C_jS1D_jS1E_S1E_jjS1G_bEUljE0_EEESZ_S10_S11_S18_S1C_S1E_T6_T7_T9_mT8_S1G_bDpT10_ENKUlT_T0_E_clISt17integral_constantIbLb1EES1T_IbLb0EEEEDaS1P_S1Q_EUlS1P_E_NS1_11comp_targetILNS1_3genE5ELNS1_11target_archE942ELNS1_3gpuE9ELNS1_3repE0EEENS1_30default_config_static_selectorELNS0_4arch9wavefront6targetE1EEEvS12_.has_recursion, 0
	.set _ZN7rocprim17ROCPRIM_400000_NS6detail17trampoline_kernelINS0_13select_configILj256ELj13ELNS0_17block_load_methodE3ELS4_3ELS4_3ELNS0_20block_scan_algorithmE0ELj4294967295EEENS1_25partition_config_selectorILNS1_17partition_subalgoE4EjNS0_10empty_typeEbEEZZNS1_14partition_implILS8_4ELb0ES6_15HIP_vector_typeIjLj2EENS0_17counting_iteratorIjlEEPS9_SG_NS0_5tupleIJPjSI_NS0_16reverse_iteratorISI_EEEEENSH_IJSG_SG_SG_EEES9_SI_JZNS1_25segmented_radix_sort_implINS0_14default_configELb1EPKsPsPKlPlN2at6native12_GLOBAL__N_18offset_tEEE10hipError_tPvRmT1_PNSt15iterator_traitsIS12_E10value_typeET2_T3_PNS13_IS18_E10value_typeET4_jRbjT5_S1E_jjP12ihipStream_tbEUljE_ZNSN_ISO_Lb1ESQ_SR_ST_SU_SY_EESZ_S10_S11_S12_S16_S17_S18_S1B_S1C_jS1D_jS1E_S1E_jjS1G_bEUljE0_EEESZ_S10_S11_S18_S1C_S1E_T6_T7_T9_mT8_S1G_bDpT10_ENKUlT_T0_E_clISt17integral_constantIbLb1EES1T_IbLb0EEEEDaS1P_S1Q_EUlS1P_E_NS1_11comp_targetILNS1_3genE5ELNS1_11target_archE942ELNS1_3gpuE9ELNS1_3repE0EEENS1_30default_config_static_selectorELNS0_4arch9wavefront6targetE1EEEvS12_.has_indirect_call, 0
	.section	.AMDGPU.csdata,"",@progbits
; Kernel info:
; codeLenInByte = 0
; TotalNumSgprs: 4
; NumVgprs: 0
; ScratchSize: 0
; MemoryBound: 0
; FloatMode: 240
; IeeeMode: 1
; LDSByteSize: 0 bytes/workgroup (compile time only)
; SGPRBlocks: 0
; VGPRBlocks: 0
; NumSGPRsForWavesPerEU: 4
; NumVGPRsForWavesPerEU: 1
; Occupancy: 10
; WaveLimiterHint : 0
; COMPUTE_PGM_RSRC2:SCRATCH_EN: 0
; COMPUTE_PGM_RSRC2:USER_SGPR: 6
; COMPUTE_PGM_RSRC2:TRAP_HANDLER: 0
; COMPUTE_PGM_RSRC2:TGID_X_EN: 1
; COMPUTE_PGM_RSRC2:TGID_Y_EN: 0
; COMPUTE_PGM_RSRC2:TGID_Z_EN: 0
; COMPUTE_PGM_RSRC2:TIDIG_COMP_CNT: 0
	.section	.text._ZN7rocprim17ROCPRIM_400000_NS6detail17trampoline_kernelINS0_13select_configILj256ELj13ELNS0_17block_load_methodE3ELS4_3ELS4_3ELNS0_20block_scan_algorithmE0ELj4294967295EEENS1_25partition_config_selectorILNS1_17partition_subalgoE4EjNS0_10empty_typeEbEEZZNS1_14partition_implILS8_4ELb0ES6_15HIP_vector_typeIjLj2EENS0_17counting_iteratorIjlEEPS9_SG_NS0_5tupleIJPjSI_NS0_16reverse_iteratorISI_EEEEENSH_IJSG_SG_SG_EEES9_SI_JZNS1_25segmented_radix_sort_implINS0_14default_configELb1EPKsPsPKlPlN2at6native12_GLOBAL__N_18offset_tEEE10hipError_tPvRmT1_PNSt15iterator_traitsIS12_E10value_typeET2_T3_PNS13_IS18_E10value_typeET4_jRbjT5_S1E_jjP12ihipStream_tbEUljE_ZNSN_ISO_Lb1ESQ_SR_ST_SU_SY_EESZ_S10_S11_S12_S16_S17_S18_S1B_S1C_jS1D_jS1E_S1E_jjS1G_bEUljE0_EEESZ_S10_S11_S18_S1C_S1E_T6_T7_T9_mT8_S1G_bDpT10_ENKUlT_T0_E_clISt17integral_constantIbLb1EES1T_IbLb0EEEEDaS1P_S1Q_EUlS1P_E_NS1_11comp_targetILNS1_3genE4ELNS1_11target_archE910ELNS1_3gpuE8ELNS1_3repE0EEENS1_30default_config_static_selectorELNS0_4arch9wavefront6targetE1EEEvS12_,"axG",@progbits,_ZN7rocprim17ROCPRIM_400000_NS6detail17trampoline_kernelINS0_13select_configILj256ELj13ELNS0_17block_load_methodE3ELS4_3ELS4_3ELNS0_20block_scan_algorithmE0ELj4294967295EEENS1_25partition_config_selectorILNS1_17partition_subalgoE4EjNS0_10empty_typeEbEEZZNS1_14partition_implILS8_4ELb0ES6_15HIP_vector_typeIjLj2EENS0_17counting_iteratorIjlEEPS9_SG_NS0_5tupleIJPjSI_NS0_16reverse_iteratorISI_EEEEENSH_IJSG_SG_SG_EEES9_SI_JZNS1_25segmented_radix_sort_implINS0_14default_configELb1EPKsPsPKlPlN2at6native12_GLOBAL__N_18offset_tEEE10hipError_tPvRmT1_PNSt15iterator_traitsIS12_E10value_typeET2_T3_PNS13_IS18_E10value_typeET4_jRbjT5_S1E_jjP12ihipStream_tbEUljE_ZNSN_ISO_Lb1ESQ_SR_ST_SU_SY_EESZ_S10_S11_S12_S16_S17_S18_S1B_S1C_jS1D_jS1E_S1E_jjS1G_bEUljE0_EEESZ_S10_S11_S18_S1C_S1E_T6_T7_T9_mT8_S1G_bDpT10_ENKUlT_T0_E_clISt17integral_constantIbLb1EES1T_IbLb0EEEEDaS1P_S1Q_EUlS1P_E_NS1_11comp_targetILNS1_3genE4ELNS1_11target_archE910ELNS1_3gpuE8ELNS1_3repE0EEENS1_30default_config_static_selectorELNS0_4arch9wavefront6targetE1EEEvS12_,comdat
	.globl	_ZN7rocprim17ROCPRIM_400000_NS6detail17trampoline_kernelINS0_13select_configILj256ELj13ELNS0_17block_load_methodE3ELS4_3ELS4_3ELNS0_20block_scan_algorithmE0ELj4294967295EEENS1_25partition_config_selectorILNS1_17partition_subalgoE4EjNS0_10empty_typeEbEEZZNS1_14partition_implILS8_4ELb0ES6_15HIP_vector_typeIjLj2EENS0_17counting_iteratorIjlEEPS9_SG_NS0_5tupleIJPjSI_NS0_16reverse_iteratorISI_EEEEENSH_IJSG_SG_SG_EEES9_SI_JZNS1_25segmented_radix_sort_implINS0_14default_configELb1EPKsPsPKlPlN2at6native12_GLOBAL__N_18offset_tEEE10hipError_tPvRmT1_PNSt15iterator_traitsIS12_E10value_typeET2_T3_PNS13_IS18_E10value_typeET4_jRbjT5_S1E_jjP12ihipStream_tbEUljE_ZNSN_ISO_Lb1ESQ_SR_ST_SU_SY_EESZ_S10_S11_S12_S16_S17_S18_S1B_S1C_jS1D_jS1E_S1E_jjS1G_bEUljE0_EEESZ_S10_S11_S18_S1C_S1E_T6_T7_T9_mT8_S1G_bDpT10_ENKUlT_T0_E_clISt17integral_constantIbLb1EES1T_IbLb0EEEEDaS1P_S1Q_EUlS1P_E_NS1_11comp_targetILNS1_3genE4ELNS1_11target_archE910ELNS1_3gpuE8ELNS1_3repE0EEENS1_30default_config_static_selectorELNS0_4arch9wavefront6targetE1EEEvS12_ ; -- Begin function _ZN7rocprim17ROCPRIM_400000_NS6detail17trampoline_kernelINS0_13select_configILj256ELj13ELNS0_17block_load_methodE3ELS4_3ELS4_3ELNS0_20block_scan_algorithmE0ELj4294967295EEENS1_25partition_config_selectorILNS1_17partition_subalgoE4EjNS0_10empty_typeEbEEZZNS1_14partition_implILS8_4ELb0ES6_15HIP_vector_typeIjLj2EENS0_17counting_iteratorIjlEEPS9_SG_NS0_5tupleIJPjSI_NS0_16reverse_iteratorISI_EEEEENSH_IJSG_SG_SG_EEES9_SI_JZNS1_25segmented_radix_sort_implINS0_14default_configELb1EPKsPsPKlPlN2at6native12_GLOBAL__N_18offset_tEEE10hipError_tPvRmT1_PNSt15iterator_traitsIS12_E10value_typeET2_T3_PNS13_IS18_E10value_typeET4_jRbjT5_S1E_jjP12ihipStream_tbEUljE_ZNSN_ISO_Lb1ESQ_SR_ST_SU_SY_EESZ_S10_S11_S12_S16_S17_S18_S1B_S1C_jS1D_jS1E_S1E_jjS1G_bEUljE0_EEESZ_S10_S11_S18_S1C_S1E_T6_T7_T9_mT8_S1G_bDpT10_ENKUlT_T0_E_clISt17integral_constantIbLb1EES1T_IbLb0EEEEDaS1P_S1Q_EUlS1P_E_NS1_11comp_targetILNS1_3genE4ELNS1_11target_archE910ELNS1_3gpuE8ELNS1_3repE0EEENS1_30default_config_static_selectorELNS0_4arch9wavefront6targetE1EEEvS12_
	.p2align	8
	.type	_ZN7rocprim17ROCPRIM_400000_NS6detail17trampoline_kernelINS0_13select_configILj256ELj13ELNS0_17block_load_methodE3ELS4_3ELS4_3ELNS0_20block_scan_algorithmE0ELj4294967295EEENS1_25partition_config_selectorILNS1_17partition_subalgoE4EjNS0_10empty_typeEbEEZZNS1_14partition_implILS8_4ELb0ES6_15HIP_vector_typeIjLj2EENS0_17counting_iteratorIjlEEPS9_SG_NS0_5tupleIJPjSI_NS0_16reverse_iteratorISI_EEEEENSH_IJSG_SG_SG_EEES9_SI_JZNS1_25segmented_radix_sort_implINS0_14default_configELb1EPKsPsPKlPlN2at6native12_GLOBAL__N_18offset_tEEE10hipError_tPvRmT1_PNSt15iterator_traitsIS12_E10value_typeET2_T3_PNS13_IS18_E10value_typeET4_jRbjT5_S1E_jjP12ihipStream_tbEUljE_ZNSN_ISO_Lb1ESQ_SR_ST_SU_SY_EESZ_S10_S11_S12_S16_S17_S18_S1B_S1C_jS1D_jS1E_S1E_jjS1G_bEUljE0_EEESZ_S10_S11_S18_S1C_S1E_T6_T7_T9_mT8_S1G_bDpT10_ENKUlT_T0_E_clISt17integral_constantIbLb1EES1T_IbLb0EEEEDaS1P_S1Q_EUlS1P_E_NS1_11comp_targetILNS1_3genE4ELNS1_11target_archE910ELNS1_3gpuE8ELNS1_3repE0EEENS1_30default_config_static_selectorELNS0_4arch9wavefront6targetE1EEEvS12_,@function
_ZN7rocprim17ROCPRIM_400000_NS6detail17trampoline_kernelINS0_13select_configILj256ELj13ELNS0_17block_load_methodE3ELS4_3ELS4_3ELNS0_20block_scan_algorithmE0ELj4294967295EEENS1_25partition_config_selectorILNS1_17partition_subalgoE4EjNS0_10empty_typeEbEEZZNS1_14partition_implILS8_4ELb0ES6_15HIP_vector_typeIjLj2EENS0_17counting_iteratorIjlEEPS9_SG_NS0_5tupleIJPjSI_NS0_16reverse_iteratorISI_EEEEENSH_IJSG_SG_SG_EEES9_SI_JZNS1_25segmented_radix_sort_implINS0_14default_configELb1EPKsPsPKlPlN2at6native12_GLOBAL__N_18offset_tEEE10hipError_tPvRmT1_PNSt15iterator_traitsIS12_E10value_typeET2_T3_PNS13_IS18_E10value_typeET4_jRbjT5_S1E_jjP12ihipStream_tbEUljE_ZNSN_ISO_Lb1ESQ_SR_ST_SU_SY_EESZ_S10_S11_S12_S16_S17_S18_S1B_S1C_jS1D_jS1E_S1E_jjS1G_bEUljE0_EEESZ_S10_S11_S18_S1C_S1E_T6_T7_T9_mT8_S1G_bDpT10_ENKUlT_T0_E_clISt17integral_constantIbLb1EES1T_IbLb0EEEEDaS1P_S1Q_EUlS1P_E_NS1_11comp_targetILNS1_3genE4ELNS1_11target_archE910ELNS1_3gpuE8ELNS1_3repE0EEENS1_30default_config_static_selectorELNS0_4arch9wavefront6targetE1EEEvS12_: ; @_ZN7rocprim17ROCPRIM_400000_NS6detail17trampoline_kernelINS0_13select_configILj256ELj13ELNS0_17block_load_methodE3ELS4_3ELS4_3ELNS0_20block_scan_algorithmE0ELj4294967295EEENS1_25partition_config_selectorILNS1_17partition_subalgoE4EjNS0_10empty_typeEbEEZZNS1_14partition_implILS8_4ELb0ES6_15HIP_vector_typeIjLj2EENS0_17counting_iteratorIjlEEPS9_SG_NS0_5tupleIJPjSI_NS0_16reverse_iteratorISI_EEEEENSH_IJSG_SG_SG_EEES9_SI_JZNS1_25segmented_radix_sort_implINS0_14default_configELb1EPKsPsPKlPlN2at6native12_GLOBAL__N_18offset_tEEE10hipError_tPvRmT1_PNSt15iterator_traitsIS12_E10value_typeET2_T3_PNS13_IS18_E10value_typeET4_jRbjT5_S1E_jjP12ihipStream_tbEUljE_ZNSN_ISO_Lb1ESQ_SR_ST_SU_SY_EESZ_S10_S11_S12_S16_S17_S18_S1B_S1C_jS1D_jS1E_S1E_jjS1G_bEUljE0_EEESZ_S10_S11_S18_S1C_S1E_T6_T7_T9_mT8_S1G_bDpT10_ENKUlT_T0_E_clISt17integral_constantIbLb1EES1T_IbLb0EEEEDaS1P_S1Q_EUlS1P_E_NS1_11comp_targetILNS1_3genE4ELNS1_11target_archE910ELNS1_3gpuE8ELNS1_3repE0EEENS1_30default_config_static_selectorELNS0_4arch9wavefront6targetE1EEEvS12_
; %bb.0:
	.section	.rodata,"a",@progbits
	.p2align	6, 0x0
	.amdhsa_kernel _ZN7rocprim17ROCPRIM_400000_NS6detail17trampoline_kernelINS0_13select_configILj256ELj13ELNS0_17block_load_methodE3ELS4_3ELS4_3ELNS0_20block_scan_algorithmE0ELj4294967295EEENS1_25partition_config_selectorILNS1_17partition_subalgoE4EjNS0_10empty_typeEbEEZZNS1_14partition_implILS8_4ELb0ES6_15HIP_vector_typeIjLj2EENS0_17counting_iteratorIjlEEPS9_SG_NS0_5tupleIJPjSI_NS0_16reverse_iteratorISI_EEEEENSH_IJSG_SG_SG_EEES9_SI_JZNS1_25segmented_radix_sort_implINS0_14default_configELb1EPKsPsPKlPlN2at6native12_GLOBAL__N_18offset_tEEE10hipError_tPvRmT1_PNSt15iterator_traitsIS12_E10value_typeET2_T3_PNS13_IS18_E10value_typeET4_jRbjT5_S1E_jjP12ihipStream_tbEUljE_ZNSN_ISO_Lb1ESQ_SR_ST_SU_SY_EESZ_S10_S11_S12_S16_S17_S18_S1B_S1C_jS1D_jS1E_S1E_jjS1G_bEUljE0_EEESZ_S10_S11_S18_S1C_S1E_T6_T7_T9_mT8_S1G_bDpT10_ENKUlT_T0_E_clISt17integral_constantIbLb1EES1T_IbLb0EEEEDaS1P_S1Q_EUlS1P_E_NS1_11comp_targetILNS1_3genE4ELNS1_11target_archE910ELNS1_3gpuE8ELNS1_3repE0EEENS1_30default_config_static_selectorELNS0_4arch9wavefront6targetE1EEEvS12_
		.amdhsa_group_segment_fixed_size 0
		.amdhsa_private_segment_fixed_size 0
		.amdhsa_kernarg_size 176
		.amdhsa_user_sgpr_count 6
		.amdhsa_user_sgpr_private_segment_buffer 1
		.amdhsa_user_sgpr_dispatch_ptr 0
		.amdhsa_user_sgpr_queue_ptr 0
		.amdhsa_user_sgpr_kernarg_segment_ptr 1
		.amdhsa_user_sgpr_dispatch_id 0
		.amdhsa_user_sgpr_flat_scratch_init 0
		.amdhsa_user_sgpr_private_segment_size 0
		.amdhsa_uses_dynamic_stack 0
		.amdhsa_system_sgpr_private_segment_wavefront_offset 0
		.amdhsa_system_sgpr_workgroup_id_x 1
		.amdhsa_system_sgpr_workgroup_id_y 0
		.amdhsa_system_sgpr_workgroup_id_z 0
		.amdhsa_system_sgpr_workgroup_info 0
		.amdhsa_system_vgpr_workitem_id 0
		.amdhsa_next_free_vgpr 1
		.amdhsa_next_free_sgpr 0
		.amdhsa_reserve_vcc 0
		.amdhsa_reserve_flat_scratch 0
		.amdhsa_float_round_mode_32 0
		.amdhsa_float_round_mode_16_64 0
		.amdhsa_float_denorm_mode_32 3
		.amdhsa_float_denorm_mode_16_64 3
		.amdhsa_dx10_clamp 1
		.amdhsa_ieee_mode 1
		.amdhsa_fp16_overflow 0
		.amdhsa_exception_fp_ieee_invalid_op 0
		.amdhsa_exception_fp_denorm_src 0
		.amdhsa_exception_fp_ieee_div_zero 0
		.amdhsa_exception_fp_ieee_overflow 0
		.amdhsa_exception_fp_ieee_underflow 0
		.amdhsa_exception_fp_ieee_inexact 0
		.amdhsa_exception_int_div_zero 0
	.end_amdhsa_kernel
	.section	.text._ZN7rocprim17ROCPRIM_400000_NS6detail17trampoline_kernelINS0_13select_configILj256ELj13ELNS0_17block_load_methodE3ELS4_3ELS4_3ELNS0_20block_scan_algorithmE0ELj4294967295EEENS1_25partition_config_selectorILNS1_17partition_subalgoE4EjNS0_10empty_typeEbEEZZNS1_14partition_implILS8_4ELb0ES6_15HIP_vector_typeIjLj2EENS0_17counting_iteratorIjlEEPS9_SG_NS0_5tupleIJPjSI_NS0_16reverse_iteratorISI_EEEEENSH_IJSG_SG_SG_EEES9_SI_JZNS1_25segmented_radix_sort_implINS0_14default_configELb1EPKsPsPKlPlN2at6native12_GLOBAL__N_18offset_tEEE10hipError_tPvRmT1_PNSt15iterator_traitsIS12_E10value_typeET2_T3_PNS13_IS18_E10value_typeET4_jRbjT5_S1E_jjP12ihipStream_tbEUljE_ZNSN_ISO_Lb1ESQ_SR_ST_SU_SY_EESZ_S10_S11_S12_S16_S17_S18_S1B_S1C_jS1D_jS1E_S1E_jjS1G_bEUljE0_EEESZ_S10_S11_S18_S1C_S1E_T6_T7_T9_mT8_S1G_bDpT10_ENKUlT_T0_E_clISt17integral_constantIbLb1EES1T_IbLb0EEEEDaS1P_S1Q_EUlS1P_E_NS1_11comp_targetILNS1_3genE4ELNS1_11target_archE910ELNS1_3gpuE8ELNS1_3repE0EEENS1_30default_config_static_selectorELNS0_4arch9wavefront6targetE1EEEvS12_,"axG",@progbits,_ZN7rocprim17ROCPRIM_400000_NS6detail17trampoline_kernelINS0_13select_configILj256ELj13ELNS0_17block_load_methodE3ELS4_3ELS4_3ELNS0_20block_scan_algorithmE0ELj4294967295EEENS1_25partition_config_selectorILNS1_17partition_subalgoE4EjNS0_10empty_typeEbEEZZNS1_14partition_implILS8_4ELb0ES6_15HIP_vector_typeIjLj2EENS0_17counting_iteratorIjlEEPS9_SG_NS0_5tupleIJPjSI_NS0_16reverse_iteratorISI_EEEEENSH_IJSG_SG_SG_EEES9_SI_JZNS1_25segmented_radix_sort_implINS0_14default_configELb1EPKsPsPKlPlN2at6native12_GLOBAL__N_18offset_tEEE10hipError_tPvRmT1_PNSt15iterator_traitsIS12_E10value_typeET2_T3_PNS13_IS18_E10value_typeET4_jRbjT5_S1E_jjP12ihipStream_tbEUljE_ZNSN_ISO_Lb1ESQ_SR_ST_SU_SY_EESZ_S10_S11_S12_S16_S17_S18_S1B_S1C_jS1D_jS1E_S1E_jjS1G_bEUljE0_EEESZ_S10_S11_S18_S1C_S1E_T6_T7_T9_mT8_S1G_bDpT10_ENKUlT_T0_E_clISt17integral_constantIbLb1EES1T_IbLb0EEEEDaS1P_S1Q_EUlS1P_E_NS1_11comp_targetILNS1_3genE4ELNS1_11target_archE910ELNS1_3gpuE8ELNS1_3repE0EEENS1_30default_config_static_selectorELNS0_4arch9wavefront6targetE1EEEvS12_,comdat
.Lfunc_end865:
	.size	_ZN7rocprim17ROCPRIM_400000_NS6detail17trampoline_kernelINS0_13select_configILj256ELj13ELNS0_17block_load_methodE3ELS4_3ELS4_3ELNS0_20block_scan_algorithmE0ELj4294967295EEENS1_25partition_config_selectorILNS1_17partition_subalgoE4EjNS0_10empty_typeEbEEZZNS1_14partition_implILS8_4ELb0ES6_15HIP_vector_typeIjLj2EENS0_17counting_iteratorIjlEEPS9_SG_NS0_5tupleIJPjSI_NS0_16reverse_iteratorISI_EEEEENSH_IJSG_SG_SG_EEES9_SI_JZNS1_25segmented_radix_sort_implINS0_14default_configELb1EPKsPsPKlPlN2at6native12_GLOBAL__N_18offset_tEEE10hipError_tPvRmT1_PNSt15iterator_traitsIS12_E10value_typeET2_T3_PNS13_IS18_E10value_typeET4_jRbjT5_S1E_jjP12ihipStream_tbEUljE_ZNSN_ISO_Lb1ESQ_SR_ST_SU_SY_EESZ_S10_S11_S12_S16_S17_S18_S1B_S1C_jS1D_jS1E_S1E_jjS1G_bEUljE0_EEESZ_S10_S11_S18_S1C_S1E_T6_T7_T9_mT8_S1G_bDpT10_ENKUlT_T0_E_clISt17integral_constantIbLb1EES1T_IbLb0EEEEDaS1P_S1Q_EUlS1P_E_NS1_11comp_targetILNS1_3genE4ELNS1_11target_archE910ELNS1_3gpuE8ELNS1_3repE0EEENS1_30default_config_static_selectorELNS0_4arch9wavefront6targetE1EEEvS12_, .Lfunc_end865-_ZN7rocprim17ROCPRIM_400000_NS6detail17trampoline_kernelINS0_13select_configILj256ELj13ELNS0_17block_load_methodE3ELS4_3ELS4_3ELNS0_20block_scan_algorithmE0ELj4294967295EEENS1_25partition_config_selectorILNS1_17partition_subalgoE4EjNS0_10empty_typeEbEEZZNS1_14partition_implILS8_4ELb0ES6_15HIP_vector_typeIjLj2EENS0_17counting_iteratorIjlEEPS9_SG_NS0_5tupleIJPjSI_NS0_16reverse_iteratorISI_EEEEENSH_IJSG_SG_SG_EEES9_SI_JZNS1_25segmented_radix_sort_implINS0_14default_configELb1EPKsPsPKlPlN2at6native12_GLOBAL__N_18offset_tEEE10hipError_tPvRmT1_PNSt15iterator_traitsIS12_E10value_typeET2_T3_PNS13_IS18_E10value_typeET4_jRbjT5_S1E_jjP12ihipStream_tbEUljE_ZNSN_ISO_Lb1ESQ_SR_ST_SU_SY_EESZ_S10_S11_S12_S16_S17_S18_S1B_S1C_jS1D_jS1E_S1E_jjS1G_bEUljE0_EEESZ_S10_S11_S18_S1C_S1E_T6_T7_T9_mT8_S1G_bDpT10_ENKUlT_T0_E_clISt17integral_constantIbLb1EES1T_IbLb0EEEEDaS1P_S1Q_EUlS1P_E_NS1_11comp_targetILNS1_3genE4ELNS1_11target_archE910ELNS1_3gpuE8ELNS1_3repE0EEENS1_30default_config_static_selectorELNS0_4arch9wavefront6targetE1EEEvS12_
                                        ; -- End function
	.set _ZN7rocprim17ROCPRIM_400000_NS6detail17trampoline_kernelINS0_13select_configILj256ELj13ELNS0_17block_load_methodE3ELS4_3ELS4_3ELNS0_20block_scan_algorithmE0ELj4294967295EEENS1_25partition_config_selectorILNS1_17partition_subalgoE4EjNS0_10empty_typeEbEEZZNS1_14partition_implILS8_4ELb0ES6_15HIP_vector_typeIjLj2EENS0_17counting_iteratorIjlEEPS9_SG_NS0_5tupleIJPjSI_NS0_16reverse_iteratorISI_EEEEENSH_IJSG_SG_SG_EEES9_SI_JZNS1_25segmented_radix_sort_implINS0_14default_configELb1EPKsPsPKlPlN2at6native12_GLOBAL__N_18offset_tEEE10hipError_tPvRmT1_PNSt15iterator_traitsIS12_E10value_typeET2_T3_PNS13_IS18_E10value_typeET4_jRbjT5_S1E_jjP12ihipStream_tbEUljE_ZNSN_ISO_Lb1ESQ_SR_ST_SU_SY_EESZ_S10_S11_S12_S16_S17_S18_S1B_S1C_jS1D_jS1E_S1E_jjS1G_bEUljE0_EEESZ_S10_S11_S18_S1C_S1E_T6_T7_T9_mT8_S1G_bDpT10_ENKUlT_T0_E_clISt17integral_constantIbLb1EES1T_IbLb0EEEEDaS1P_S1Q_EUlS1P_E_NS1_11comp_targetILNS1_3genE4ELNS1_11target_archE910ELNS1_3gpuE8ELNS1_3repE0EEENS1_30default_config_static_selectorELNS0_4arch9wavefront6targetE1EEEvS12_.num_vgpr, 0
	.set _ZN7rocprim17ROCPRIM_400000_NS6detail17trampoline_kernelINS0_13select_configILj256ELj13ELNS0_17block_load_methodE3ELS4_3ELS4_3ELNS0_20block_scan_algorithmE0ELj4294967295EEENS1_25partition_config_selectorILNS1_17partition_subalgoE4EjNS0_10empty_typeEbEEZZNS1_14partition_implILS8_4ELb0ES6_15HIP_vector_typeIjLj2EENS0_17counting_iteratorIjlEEPS9_SG_NS0_5tupleIJPjSI_NS0_16reverse_iteratorISI_EEEEENSH_IJSG_SG_SG_EEES9_SI_JZNS1_25segmented_radix_sort_implINS0_14default_configELb1EPKsPsPKlPlN2at6native12_GLOBAL__N_18offset_tEEE10hipError_tPvRmT1_PNSt15iterator_traitsIS12_E10value_typeET2_T3_PNS13_IS18_E10value_typeET4_jRbjT5_S1E_jjP12ihipStream_tbEUljE_ZNSN_ISO_Lb1ESQ_SR_ST_SU_SY_EESZ_S10_S11_S12_S16_S17_S18_S1B_S1C_jS1D_jS1E_S1E_jjS1G_bEUljE0_EEESZ_S10_S11_S18_S1C_S1E_T6_T7_T9_mT8_S1G_bDpT10_ENKUlT_T0_E_clISt17integral_constantIbLb1EES1T_IbLb0EEEEDaS1P_S1Q_EUlS1P_E_NS1_11comp_targetILNS1_3genE4ELNS1_11target_archE910ELNS1_3gpuE8ELNS1_3repE0EEENS1_30default_config_static_selectorELNS0_4arch9wavefront6targetE1EEEvS12_.num_agpr, 0
	.set _ZN7rocprim17ROCPRIM_400000_NS6detail17trampoline_kernelINS0_13select_configILj256ELj13ELNS0_17block_load_methodE3ELS4_3ELS4_3ELNS0_20block_scan_algorithmE0ELj4294967295EEENS1_25partition_config_selectorILNS1_17partition_subalgoE4EjNS0_10empty_typeEbEEZZNS1_14partition_implILS8_4ELb0ES6_15HIP_vector_typeIjLj2EENS0_17counting_iteratorIjlEEPS9_SG_NS0_5tupleIJPjSI_NS0_16reverse_iteratorISI_EEEEENSH_IJSG_SG_SG_EEES9_SI_JZNS1_25segmented_radix_sort_implINS0_14default_configELb1EPKsPsPKlPlN2at6native12_GLOBAL__N_18offset_tEEE10hipError_tPvRmT1_PNSt15iterator_traitsIS12_E10value_typeET2_T3_PNS13_IS18_E10value_typeET4_jRbjT5_S1E_jjP12ihipStream_tbEUljE_ZNSN_ISO_Lb1ESQ_SR_ST_SU_SY_EESZ_S10_S11_S12_S16_S17_S18_S1B_S1C_jS1D_jS1E_S1E_jjS1G_bEUljE0_EEESZ_S10_S11_S18_S1C_S1E_T6_T7_T9_mT8_S1G_bDpT10_ENKUlT_T0_E_clISt17integral_constantIbLb1EES1T_IbLb0EEEEDaS1P_S1Q_EUlS1P_E_NS1_11comp_targetILNS1_3genE4ELNS1_11target_archE910ELNS1_3gpuE8ELNS1_3repE0EEENS1_30default_config_static_selectorELNS0_4arch9wavefront6targetE1EEEvS12_.numbered_sgpr, 0
	.set _ZN7rocprim17ROCPRIM_400000_NS6detail17trampoline_kernelINS0_13select_configILj256ELj13ELNS0_17block_load_methodE3ELS4_3ELS4_3ELNS0_20block_scan_algorithmE0ELj4294967295EEENS1_25partition_config_selectorILNS1_17partition_subalgoE4EjNS0_10empty_typeEbEEZZNS1_14partition_implILS8_4ELb0ES6_15HIP_vector_typeIjLj2EENS0_17counting_iteratorIjlEEPS9_SG_NS0_5tupleIJPjSI_NS0_16reverse_iteratorISI_EEEEENSH_IJSG_SG_SG_EEES9_SI_JZNS1_25segmented_radix_sort_implINS0_14default_configELb1EPKsPsPKlPlN2at6native12_GLOBAL__N_18offset_tEEE10hipError_tPvRmT1_PNSt15iterator_traitsIS12_E10value_typeET2_T3_PNS13_IS18_E10value_typeET4_jRbjT5_S1E_jjP12ihipStream_tbEUljE_ZNSN_ISO_Lb1ESQ_SR_ST_SU_SY_EESZ_S10_S11_S12_S16_S17_S18_S1B_S1C_jS1D_jS1E_S1E_jjS1G_bEUljE0_EEESZ_S10_S11_S18_S1C_S1E_T6_T7_T9_mT8_S1G_bDpT10_ENKUlT_T0_E_clISt17integral_constantIbLb1EES1T_IbLb0EEEEDaS1P_S1Q_EUlS1P_E_NS1_11comp_targetILNS1_3genE4ELNS1_11target_archE910ELNS1_3gpuE8ELNS1_3repE0EEENS1_30default_config_static_selectorELNS0_4arch9wavefront6targetE1EEEvS12_.num_named_barrier, 0
	.set _ZN7rocprim17ROCPRIM_400000_NS6detail17trampoline_kernelINS0_13select_configILj256ELj13ELNS0_17block_load_methodE3ELS4_3ELS4_3ELNS0_20block_scan_algorithmE0ELj4294967295EEENS1_25partition_config_selectorILNS1_17partition_subalgoE4EjNS0_10empty_typeEbEEZZNS1_14partition_implILS8_4ELb0ES6_15HIP_vector_typeIjLj2EENS0_17counting_iteratorIjlEEPS9_SG_NS0_5tupleIJPjSI_NS0_16reverse_iteratorISI_EEEEENSH_IJSG_SG_SG_EEES9_SI_JZNS1_25segmented_radix_sort_implINS0_14default_configELb1EPKsPsPKlPlN2at6native12_GLOBAL__N_18offset_tEEE10hipError_tPvRmT1_PNSt15iterator_traitsIS12_E10value_typeET2_T3_PNS13_IS18_E10value_typeET4_jRbjT5_S1E_jjP12ihipStream_tbEUljE_ZNSN_ISO_Lb1ESQ_SR_ST_SU_SY_EESZ_S10_S11_S12_S16_S17_S18_S1B_S1C_jS1D_jS1E_S1E_jjS1G_bEUljE0_EEESZ_S10_S11_S18_S1C_S1E_T6_T7_T9_mT8_S1G_bDpT10_ENKUlT_T0_E_clISt17integral_constantIbLb1EES1T_IbLb0EEEEDaS1P_S1Q_EUlS1P_E_NS1_11comp_targetILNS1_3genE4ELNS1_11target_archE910ELNS1_3gpuE8ELNS1_3repE0EEENS1_30default_config_static_selectorELNS0_4arch9wavefront6targetE1EEEvS12_.private_seg_size, 0
	.set _ZN7rocprim17ROCPRIM_400000_NS6detail17trampoline_kernelINS0_13select_configILj256ELj13ELNS0_17block_load_methodE3ELS4_3ELS4_3ELNS0_20block_scan_algorithmE0ELj4294967295EEENS1_25partition_config_selectorILNS1_17partition_subalgoE4EjNS0_10empty_typeEbEEZZNS1_14partition_implILS8_4ELb0ES6_15HIP_vector_typeIjLj2EENS0_17counting_iteratorIjlEEPS9_SG_NS0_5tupleIJPjSI_NS0_16reverse_iteratorISI_EEEEENSH_IJSG_SG_SG_EEES9_SI_JZNS1_25segmented_radix_sort_implINS0_14default_configELb1EPKsPsPKlPlN2at6native12_GLOBAL__N_18offset_tEEE10hipError_tPvRmT1_PNSt15iterator_traitsIS12_E10value_typeET2_T3_PNS13_IS18_E10value_typeET4_jRbjT5_S1E_jjP12ihipStream_tbEUljE_ZNSN_ISO_Lb1ESQ_SR_ST_SU_SY_EESZ_S10_S11_S12_S16_S17_S18_S1B_S1C_jS1D_jS1E_S1E_jjS1G_bEUljE0_EEESZ_S10_S11_S18_S1C_S1E_T6_T7_T9_mT8_S1G_bDpT10_ENKUlT_T0_E_clISt17integral_constantIbLb1EES1T_IbLb0EEEEDaS1P_S1Q_EUlS1P_E_NS1_11comp_targetILNS1_3genE4ELNS1_11target_archE910ELNS1_3gpuE8ELNS1_3repE0EEENS1_30default_config_static_selectorELNS0_4arch9wavefront6targetE1EEEvS12_.uses_vcc, 0
	.set _ZN7rocprim17ROCPRIM_400000_NS6detail17trampoline_kernelINS0_13select_configILj256ELj13ELNS0_17block_load_methodE3ELS4_3ELS4_3ELNS0_20block_scan_algorithmE0ELj4294967295EEENS1_25partition_config_selectorILNS1_17partition_subalgoE4EjNS0_10empty_typeEbEEZZNS1_14partition_implILS8_4ELb0ES6_15HIP_vector_typeIjLj2EENS0_17counting_iteratorIjlEEPS9_SG_NS0_5tupleIJPjSI_NS0_16reverse_iteratorISI_EEEEENSH_IJSG_SG_SG_EEES9_SI_JZNS1_25segmented_radix_sort_implINS0_14default_configELb1EPKsPsPKlPlN2at6native12_GLOBAL__N_18offset_tEEE10hipError_tPvRmT1_PNSt15iterator_traitsIS12_E10value_typeET2_T3_PNS13_IS18_E10value_typeET4_jRbjT5_S1E_jjP12ihipStream_tbEUljE_ZNSN_ISO_Lb1ESQ_SR_ST_SU_SY_EESZ_S10_S11_S12_S16_S17_S18_S1B_S1C_jS1D_jS1E_S1E_jjS1G_bEUljE0_EEESZ_S10_S11_S18_S1C_S1E_T6_T7_T9_mT8_S1G_bDpT10_ENKUlT_T0_E_clISt17integral_constantIbLb1EES1T_IbLb0EEEEDaS1P_S1Q_EUlS1P_E_NS1_11comp_targetILNS1_3genE4ELNS1_11target_archE910ELNS1_3gpuE8ELNS1_3repE0EEENS1_30default_config_static_selectorELNS0_4arch9wavefront6targetE1EEEvS12_.uses_flat_scratch, 0
	.set _ZN7rocprim17ROCPRIM_400000_NS6detail17trampoline_kernelINS0_13select_configILj256ELj13ELNS0_17block_load_methodE3ELS4_3ELS4_3ELNS0_20block_scan_algorithmE0ELj4294967295EEENS1_25partition_config_selectorILNS1_17partition_subalgoE4EjNS0_10empty_typeEbEEZZNS1_14partition_implILS8_4ELb0ES6_15HIP_vector_typeIjLj2EENS0_17counting_iteratorIjlEEPS9_SG_NS0_5tupleIJPjSI_NS0_16reverse_iteratorISI_EEEEENSH_IJSG_SG_SG_EEES9_SI_JZNS1_25segmented_radix_sort_implINS0_14default_configELb1EPKsPsPKlPlN2at6native12_GLOBAL__N_18offset_tEEE10hipError_tPvRmT1_PNSt15iterator_traitsIS12_E10value_typeET2_T3_PNS13_IS18_E10value_typeET4_jRbjT5_S1E_jjP12ihipStream_tbEUljE_ZNSN_ISO_Lb1ESQ_SR_ST_SU_SY_EESZ_S10_S11_S12_S16_S17_S18_S1B_S1C_jS1D_jS1E_S1E_jjS1G_bEUljE0_EEESZ_S10_S11_S18_S1C_S1E_T6_T7_T9_mT8_S1G_bDpT10_ENKUlT_T0_E_clISt17integral_constantIbLb1EES1T_IbLb0EEEEDaS1P_S1Q_EUlS1P_E_NS1_11comp_targetILNS1_3genE4ELNS1_11target_archE910ELNS1_3gpuE8ELNS1_3repE0EEENS1_30default_config_static_selectorELNS0_4arch9wavefront6targetE1EEEvS12_.has_dyn_sized_stack, 0
	.set _ZN7rocprim17ROCPRIM_400000_NS6detail17trampoline_kernelINS0_13select_configILj256ELj13ELNS0_17block_load_methodE3ELS4_3ELS4_3ELNS0_20block_scan_algorithmE0ELj4294967295EEENS1_25partition_config_selectorILNS1_17partition_subalgoE4EjNS0_10empty_typeEbEEZZNS1_14partition_implILS8_4ELb0ES6_15HIP_vector_typeIjLj2EENS0_17counting_iteratorIjlEEPS9_SG_NS0_5tupleIJPjSI_NS0_16reverse_iteratorISI_EEEEENSH_IJSG_SG_SG_EEES9_SI_JZNS1_25segmented_radix_sort_implINS0_14default_configELb1EPKsPsPKlPlN2at6native12_GLOBAL__N_18offset_tEEE10hipError_tPvRmT1_PNSt15iterator_traitsIS12_E10value_typeET2_T3_PNS13_IS18_E10value_typeET4_jRbjT5_S1E_jjP12ihipStream_tbEUljE_ZNSN_ISO_Lb1ESQ_SR_ST_SU_SY_EESZ_S10_S11_S12_S16_S17_S18_S1B_S1C_jS1D_jS1E_S1E_jjS1G_bEUljE0_EEESZ_S10_S11_S18_S1C_S1E_T6_T7_T9_mT8_S1G_bDpT10_ENKUlT_T0_E_clISt17integral_constantIbLb1EES1T_IbLb0EEEEDaS1P_S1Q_EUlS1P_E_NS1_11comp_targetILNS1_3genE4ELNS1_11target_archE910ELNS1_3gpuE8ELNS1_3repE0EEENS1_30default_config_static_selectorELNS0_4arch9wavefront6targetE1EEEvS12_.has_recursion, 0
	.set _ZN7rocprim17ROCPRIM_400000_NS6detail17trampoline_kernelINS0_13select_configILj256ELj13ELNS0_17block_load_methodE3ELS4_3ELS4_3ELNS0_20block_scan_algorithmE0ELj4294967295EEENS1_25partition_config_selectorILNS1_17partition_subalgoE4EjNS0_10empty_typeEbEEZZNS1_14partition_implILS8_4ELb0ES6_15HIP_vector_typeIjLj2EENS0_17counting_iteratorIjlEEPS9_SG_NS0_5tupleIJPjSI_NS0_16reverse_iteratorISI_EEEEENSH_IJSG_SG_SG_EEES9_SI_JZNS1_25segmented_radix_sort_implINS0_14default_configELb1EPKsPsPKlPlN2at6native12_GLOBAL__N_18offset_tEEE10hipError_tPvRmT1_PNSt15iterator_traitsIS12_E10value_typeET2_T3_PNS13_IS18_E10value_typeET4_jRbjT5_S1E_jjP12ihipStream_tbEUljE_ZNSN_ISO_Lb1ESQ_SR_ST_SU_SY_EESZ_S10_S11_S12_S16_S17_S18_S1B_S1C_jS1D_jS1E_S1E_jjS1G_bEUljE0_EEESZ_S10_S11_S18_S1C_S1E_T6_T7_T9_mT8_S1G_bDpT10_ENKUlT_T0_E_clISt17integral_constantIbLb1EES1T_IbLb0EEEEDaS1P_S1Q_EUlS1P_E_NS1_11comp_targetILNS1_3genE4ELNS1_11target_archE910ELNS1_3gpuE8ELNS1_3repE0EEENS1_30default_config_static_selectorELNS0_4arch9wavefront6targetE1EEEvS12_.has_indirect_call, 0
	.section	.AMDGPU.csdata,"",@progbits
; Kernel info:
; codeLenInByte = 0
; TotalNumSgprs: 4
; NumVgprs: 0
; ScratchSize: 0
; MemoryBound: 0
; FloatMode: 240
; IeeeMode: 1
; LDSByteSize: 0 bytes/workgroup (compile time only)
; SGPRBlocks: 0
; VGPRBlocks: 0
; NumSGPRsForWavesPerEU: 4
; NumVGPRsForWavesPerEU: 1
; Occupancy: 10
; WaveLimiterHint : 0
; COMPUTE_PGM_RSRC2:SCRATCH_EN: 0
; COMPUTE_PGM_RSRC2:USER_SGPR: 6
; COMPUTE_PGM_RSRC2:TRAP_HANDLER: 0
; COMPUTE_PGM_RSRC2:TGID_X_EN: 1
; COMPUTE_PGM_RSRC2:TGID_Y_EN: 0
; COMPUTE_PGM_RSRC2:TGID_Z_EN: 0
; COMPUTE_PGM_RSRC2:TIDIG_COMP_CNT: 0
	.section	.text._ZN7rocprim17ROCPRIM_400000_NS6detail17trampoline_kernelINS0_13select_configILj256ELj13ELNS0_17block_load_methodE3ELS4_3ELS4_3ELNS0_20block_scan_algorithmE0ELj4294967295EEENS1_25partition_config_selectorILNS1_17partition_subalgoE4EjNS0_10empty_typeEbEEZZNS1_14partition_implILS8_4ELb0ES6_15HIP_vector_typeIjLj2EENS0_17counting_iteratorIjlEEPS9_SG_NS0_5tupleIJPjSI_NS0_16reverse_iteratorISI_EEEEENSH_IJSG_SG_SG_EEES9_SI_JZNS1_25segmented_radix_sort_implINS0_14default_configELb1EPKsPsPKlPlN2at6native12_GLOBAL__N_18offset_tEEE10hipError_tPvRmT1_PNSt15iterator_traitsIS12_E10value_typeET2_T3_PNS13_IS18_E10value_typeET4_jRbjT5_S1E_jjP12ihipStream_tbEUljE_ZNSN_ISO_Lb1ESQ_SR_ST_SU_SY_EESZ_S10_S11_S12_S16_S17_S18_S1B_S1C_jS1D_jS1E_S1E_jjS1G_bEUljE0_EEESZ_S10_S11_S18_S1C_S1E_T6_T7_T9_mT8_S1G_bDpT10_ENKUlT_T0_E_clISt17integral_constantIbLb1EES1T_IbLb0EEEEDaS1P_S1Q_EUlS1P_E_NS1_11comp_targetILNS1_3genE3ELNS1_11target_archE908ELNS1_3gpuE7ELNS1_3repE0EEENS1_30default_config_static_selectorELNS0_4arch9wavefront6targetE1EEEvS12_,"axG",@progbits,_ZN7rocprim17ROCPRIM_400000_NS6detail17trampoline_kernelINS0_13select_configILj256ELj13ELNS0_17block_load_methodE3ELS4_3ELS4_3ELNS0_20block_scan_algorithmE0ELj4294967295EEENS1_25partition_config_selectorILNS1_17partition_subalgoE4EjNS0_10empty_typeEbEEZZNS1_14partition_implILS8_4ELb0ES6_15HIP_vector_typeIjLj2EENS0_17counting_iteratorIjlEEPS9_SG_NS0_5tupleIJPjSI_NS0_16reverse_iteratorISI_EEEEENSH_IJSG_SG_SG_EEES9_SI_JZNS1_25segmented_radix_sort_implINS0_14default_configELb1EPKsPsPKlPlN2at6native12_GLOBAL__N_18offset_tEEE10hipError_tPvRmT1_PNSt15iterator_traitsIS12_E10value_typeET2_T3_PNS13_IS18_E10value_typeET4_jRbjT5_S1E_jjP12ihipStream_tbEUljE_ZNSN_ISO_Lb1ESQ_SR_ST_SU_SY_EESZ_S10_S11_S12_S16_S17_S18_S1B_S1C_jS1D_jS1E_S1E_jjS1G_bEUljE0_EEESZ_S10_S11_S18_S1C_S1E_T6_T7_T9_mT8_S1G_bDpT10_ENKUlT_T0_E_clISt17integral_constantIbLb1EES1T_IbLb0EEEEDaS1P_S1Q_EUlS1P_E_NS1_11comp_targetILNS1_3genE3ELNS1_11target_archE908ELNS1_3gpuE7ELNS1_3repE0EEENS1_30default_config_static_selectorELNS0_4arch9wavefront6targetE1EEEvS12_,comdat
	.globl	_ZN7rocprim17ROCPRIM_400000_NS6detail17trampoline_kernelINS0_13select_configILj256ELj13ELNS0_17block_load_methodE3ELS4_3ELS4_3ELNS0_20block_scan_algorithmE0ELj4294967295EEENS1_25partition_config_selectorILNS1_17partition_subalgoE4EjNS0_10empty_typeEbEEZZNS1_14partition_implILS8_4ELb0ES6_15HIP_vector_typeIjLj2EENS0_17counting_iteratorIjlEEPS9_SG_NS0_5tupleIJPjSI_NS0_16reverse_iteratorISI_EEEEENSH_IJSG_SG_SG_EEES9_SI_JZNS1_25segmented_radix_sort_implINS0_14default_configELb1EPKsPsPKlPlN2at6native12_GLOBAL__N_18offset_tEEE10hipError_tPvRmT1_PNSt15iterator_traitsIS12_E10value_typeET2_T3_PNS13_IS18_E10value_typeET4_jRbjT5_S1E_jjP12ihipStream_tbEUljE_ZNSN_ISO_Lb1ESQ_SR_ST_SU_SY_EESZ_S10_S11_S12_S16_S17_S18_S1B_S1C_jS1D_jS1E_S1E_jjS1G_bEUljE0_EEESZ_S10_S11_S18_S1C_S1E_T6_T7_T9_mT8_S1G_bDpT10_ENKUlT_T0_E_clISt17integral_constantIbLb1EES1T_IbLb0EEEEDaS1P_S1Q_EUlS1P_E_NS1_11comp_targetILNS1_3genE3ELNS1_11target_archE908ELNS1_3gpuE7ELNS1_3repE0EEENS1_30default_config_static_selectorELNS0_4arch9wavefront6targetE1EEEvS12_ ; -- Begin function _ZN7rocprim17ROCPRIM_400000_NS6detail17trampoline_kernelINS0_13select_configILj256ELj13ELNS0_17block_load_methodE3ELS4_3ELS4_3ELNS0_20block_scan_algorithmE0ELj4294967295EEENS1_25partition_config_selectorILNS1_17partition_subalgoE4EjNS0_10empty_typeEbEEZZNS1_14partition_implILS8_4ELb0ES6_15HIP_vector_typeIjLj2EENS0_17counting_iteratorIjlEEPS9_SG_NS0_5tupleIJPjSI_NS0_16reverse_iteratorISI_EEEEENSH_IJSG_SG_SG_EEES9_SI_JZNS1_25segmented_radix_sort_implINS0_14default_configELb1EPKsPsPKlPlN2at6native12_GLOBAL__N_18offset_tEEE10hipError_tPvRmT1_PNSt15iterator_traitsIS12_E10value_typeET2_T3_PNS13_IS18_E10value_typeET4_jRbjT5_S1E_jjP12ihipStream_tbEUljE_ZNSN_ISO_Lb1ESQ_SR_ST_SU_SY_EESZ_S10_S11_S12_S16_S17_S18_S1B_S1C_jS1D_jS1E_S1E_jjS1G_bEUljE0_EEESZ_S10_S11_S18_S1C_S1E_T6_T7_T9_mT8_S1G_bDpT10_ENKUlT_T0_E_clISt17integral_constantIbLb1EES1T_IbLb0EEEEDaS1P_S1Q_EUlS1P_E_NS1_11comp_targetILNS1_3genE3ELNS1_11target_archE908ELNS1_3gpuE7ELNS1_3repE0EEENS1_30default_config_static_selectorELNS0_4arch9wavefront6targetE1EEEvS12_
	.p2align	8
	.type	_ZN7rocprim17ROCPRIM_400000_NS6detail17trampoline_kernelINS0_13select_configILj256ELj13ELNS0_17block_load_methodE3ELS4_3ELS4_3ELNS0_20block_scan_algorithmE0ELj4294967295EEENS1_25partition_config_selectorILNS1_17partition_subalgoE4EjNS0_10empty_typeEbEEZZNS1_14partition_implILS8_4ELb0ES6_15HIP_vector_typeIjLj2EENS0_17counting_iteratorIjlEEPS9_SG_NS0_5tupleIJPjSI_NS0_16reverse_iteratorISI_EEEEENSH_IJSG_SG_SG_EEES9_SI_JZNS1_25segmented_radix_sort_implINS0_14default_configELb1EPKsPsPKlPlN2at6native12_GLOBAL__N_18offset_tEEE10hipError_tPvRmT1_PNSt15iterator_traitsIS12_E10value_typeET2_T3_PNS13_IS18_E10value_typeET4_jRbjT5_S1E_jjP12ihipStream_tbEUljE_ZNSN_ISO_Lb1ESQ_SR_ST_SU_SY_EESZ_S10_S11_S12_S16_S17_S18_S1B_S1C_jS1D_jS1E_S1E_jjS1G_bEUljE0_EEESZ_S10_S11_S18_S1C_S1E_T6_T7_T9_mT8_S1G_bDpT10_ENKUlT_T0_E_clISt17integral_constantIbLb1EES1T_IbLb0EEEEDaS1P_S1Q_EUlS1P_E_NS1_11comp_targetILNS1_3genE3ELNS1_11target_archE908ELNS1_3gpuE7ELNS1_3repE0EEENS1_30default_config_static_selectorELNS0_4arch9wavefront6targetE1EEEvS12_,@function
_ZN7rocprim17ROCPRIM_400000_NS6detail17trampoline_kernelINS0_13select_configILj256ELj13ELNS0_17block_load_methodE3ELS4_3ELS4_3ELNS0_20block_scan_algorithmE0ELj4294967295EEENS1_25partition_config_selectorILNS1_17partition_subalgoE4EjNS0_10empty_typeEbEEZZNS1_14partition_implILS8_4ELb0ES6_15HIP_vector_typeIjLj2EENS0_17counting_iteratorIjlEEPS9_SG_NS0_5tupleIJPjSI_NS0_16reverse_iteratorISI_EEEEENSH_IJSG_SG_SG_EEES9_SI_JZNS1_25segmented_radix_sort_implINS0_14default_configELb1EPKsPsPKlPlN2at6native12_GLOBAL__N_18offset_tEEE10hipError_tPvRmT1_PNSt15iterator_traitsIS12_E10value_typeET2_T3_PNS13_IS18_E10value_typeET4_jRbjT5_S1E_jjP12ihipStream_tbEUljE_ZNSN_ISO_Lb1ESQ_SR_ST_SU_SY_EESZ_S10_S11_S12_S16_S17_S18_S1B_S1C_jS1D_jS1E_S1E_jjS1G_bEUljE0_EEESZ_S10_S11_S18_S1C_S1E_T6_T7_T9_mT8_S1G_bDpT10_ENKUlT_T0_E_clISt17integral_constantIbLb1EES1T_IbLb0EEEEDaS1P_S1Q_EUlS1P_E_NS1_11comp_targetILNS1_3genE3ELNS1_11target_archE908ELNS1_3gpuE7ELNS1_3repE0EEENS1_30default_config_static_selectorELNS0_4arch9wavefront6targetE1EEEvS12_: ; @_ZN7rocprim17ROCPRIM_400000_NS6detail17trampoline_kernelINS0_13select_configILj256ELj13ELNS0_17block_load_methodE3ELS4_3ELS4_3ELNS0_20block_scan_algorithmE0ELj4294967295EEENS1_25partition_config_selectorILNS1_17partition_subalgoE4EjNS0_10empty_typeEbEEZZNS1_14partition_implILS8_4ELb0ES6_15HIP_vector_typeIjLj2EENS0_17counting_iteratorIjlEEPS9_SG_NS0_5tupleIJPjSI_NS0_16reverse_iteratorISI_EEEEENSH_IJSG_SG_SG_EEES9_SI_JZNS1_25segmented_radix_sort_implINS0_14default_configELb1EPKsPsPKlPlN2at6native12_GLOBAL__N_18offset_tEEE10hipError_tPvRmT1_PNSt15iterator_traitsIS12_E10value_typeET2_T3_PNS13_IS18_E10value_typeET4_jRbjT5_S1E_jjP12ihipStream_tbEUljE_ZNSN_ISO_Lb1ESQ_SR_ST_SU_SY_EESZ_S10_S11_S12_S16_S17_S18_S1B_S1C_jS1D_jS1E_S1E_jjS1G_bEUljE0_EEESZ_S10_S11_S18_S1C_S1E_T6_T7_T9_mT8_S1G_bDpT10_ENKUlT_T0_E_clISt17integral_constantIbLb1EES1T_IbLb0EEEEDaS1P_S1Q_EUlS1P_E_NS1_11comp_targetILNS1_3genE3ELNS1_11target_archE908ELNS1_3gpuE7ELNS1_3repE0EEENS1_30default_config_static_selectorELNS0_4arch9wavefront6targetE1EEEvS12_
; %bb.0:
	.section	.rodata,"a",@progbits
	.p2align	6, 0x0
	.amdhsa_kernel _ZN7rocprim17ROCPRIM_400000_NS6detail17trampoline_kernelINS0_13select_configILj256ELj13ELNS0_17block_load_methodE3ELS4_3ELS4_3ELNS0_20block_scan_algorithmE0ELj4294967295EEENS1_25partition_config_selectorILNS1_17partition_subalgoE4EjNS0_10empty_typeEbEEZZNS1_14partition_implILS8_4ELb0ES6_15HIP_vector_typeIjLj2EENS0_17counting_iteratorIjlEEPS9_SG_NS0_5tupleIJPjSI_NS0_16reverse_iteratorISI_EEEEENSH_IJSG_SG_SG_EEES9_SI_JZNS1_25segmented_radix_sort_implINS0_14default_configELb1EPKsPsPKlPlN2at6native12_GLOBAL__N_18offset_tEEE10hipError_tPvRmT1_PNSt15iterator_traitsIS12_E10value_typeET2_T3_PNS13_IS18_E10value_typeET4_jRbjT5_S1E_jjP12ihipStream_tbEUljE_ZNSN_ISO_Lb1ESQ_SR_ST_SU_SY_EESZ_S10_S11_S12_S16_S17_S18_S1B_S1C_jS1D_jS1E_S1E_jjS1G_bEUljE0_EEESZ_S10_S11_S18_S1C_S1E_T6_T7_T9_mT8_S1G_bDpT10_ENKUlT_T0_E_clISt17integral_constantIbLb1EES1T_IbLb0EEEEDaS1P_S1Q_EUlS1P_E_NS1_11comp_targetILNS1_3genE3ELNS1_11target_archE908ELNS1_3gpuE7ELNS1_3repE0EEENS1_30default_config_static_selectorELNS0_4arch9wavefront6targetE1EEEvS12_
		.amdhsa_group_segment_fixed_size 0
		.amdhsa_private_segment_fixed_size 0
		.amdhsa_kernarg_size 176
		.amdhsa_user_sgpr_count 6
		.amdhsa_user_sgpr_private_segment_buffer 1
		.amdhsa_user_sgpr_dispatch_ptr 0
		.amdhsa_user_sgpr_queue_ptr 0
		.amdhsa_user_sgpr_kernarg_segment_ptr 1
		.amdhsa_user_sgpr_dispatch_id 0
		.amdhsa_user_sgpr_flat_scratch_init 0
		.amdhsa_user_sgpr_private_segment_size 0
		.amdhsa_uses_dynamic_stack 0
		.amdhsa_system_sgpr_private_segment_wavefront_offset 0
		.amdhsa_system_sgpr_workgroup_id_x 1
		.amdhsa_system_sgpr_workgroup_id_y 0
		.amdhsa_system_sgpr_workgroup_id_z 0
		.amdhsa_system_sgpr_workgroup_info 0
		.amdhsa_system_vgpr_workitem_id 0
		.amdhsa_next_free_vgpr 1
		.amdhsa_next_free_sgpr 0
		.amdhsa_reserve_vcc 0
		.amdhsa_reserve_flat_scratch 0
		.amdhsa_float_round_mode_32 0
		.amdhsa_float_round_mode_16_64 0
		.amdhsa_float_denorm_mode_32 3
		.amdhsa_float_denorm_mode_16_64 3
		.amdhsa_dx10_clamp 1
		.amdhsa_ieee_mode 1
		.amdhsa_fp16_overflow 0
		.amdhsa_exception_fp_ieee_invalid_op 0
		.amdhsa_exception_fp_denorm_src 0
		.amdhsa_exception_fp_ieee_div_zero 0
		.amdhsa_exception_fp_ieee_overflow 0
		.amdhsa_exception_fp_ieee_underflow 0
		.amdhsa_exception_fp_ieee_inexact 0
		.amdhsa_exception_int_div_zero 0
	.end_amdhsa_kernel
	.section	.text._ZN7rocprim17ROCPRIM_400000_NS6detail17trampoline_kernelINS0_13select_configILj256ELj13ELNS0_17block_load_methodE3ELS4_3ELS4_3ELNS0_20block_scan_algorithmE0ELj4294967295EEENS1_25partition_config_selectorILNS1_17partition_subalgoE4EjNS0_10empty_typeEbEEZZNS1_14partition_implILS8_4ELb0ES6_15HIP_vector_typeIjLj2EENS0_17counting_iteratorIjlEEPS9_SG_NS0_5tupleIJPjSI_NS0_16reverse_iteratorISI_EEEEENSH_IJSG_SG_SG_EEES9_SI_JZNS1_25segmented_radix_sort_implINS0_14default_configELb1EPKsPsPKlPlN2at6native12_GLOBAL__N_18offset_tEEE10hipError_tPvRmT1_PNSt15iterator_traitsIS12_E10value_typeET2_T3_PNS13_IS18_E10value_typeET4_jRbjT5_S1E_jjP12ihipStream_tbEUljE_ZNSN_ISO_Lb1ESQ_SR_ST_SU_SY_EESZ_S10_S11_S12_S16_S17_S18_S1B_S1C_jS1D_jS1E_S1E_jjS1G_bEUljE0_EEESZ_S10_S11_S18_S1C_S1E_T6_T7_T9_mT8_S1G_bDpT10_ENKUlT_T0_E_clISt17integral_constantIbLb1EES1T_IbLb0EEEEDaS1P_S1Q_EUlS1P_E_NS1_11comp_targetILNS1_3genE3ELNS1_11target_archE908ELNS1_3gpuE7ELNS1_3repE0EEENS1_30default_config_static_selectorELNS0_4arch9wavefront6targetE1EEEvS12_,"axG",@progbits,_ZN7rocprim17ROCPRIM_400000_NS6detail17trampoline_kernelINS0_13select_configILj256ELj13ELNS0_17block_load_methodE3ELS4_3ELS4_3ELNS0_20block_scan_algorithmE0ELj4294967295EEENS1_25partition_config_selectorILNS1_17partition_subalgoE4EjNS0_10empty_typeEbEEZZNS1_14partition_implILS8_4ELb0ES6_15HIP_vector_typeIjLj2EENS0_17counting_iteratorIjlEEPS9_SG_NS0_5tupleIJPjSI_NS0_16reverse_iteratorISI_EEEEENSH_IJSG_SG_SG_EEES9_SI_JZNS1_25segmented_radix_sort_implINS0_14default_configELb1EPKsPsPKlPlN2at6native12_GLOBAL__N_18offset_tEEE10hipError_tPvRmT1_PNSt15iterator_traitsIS12_E10value_typeET2_T3_PNS13_IS18_E10value_typeET4_jRbjT5_S1E_jjP12ihipStream_tbEUljE_ZNSN_ISO_Lb1ESQ_SR_ST_SU_SY_EESZ_S10_S11_S12_S16_S17_S18_S1B_S1C_jS1D_jS1E_S1E_jjS1G_bEUljE0_EEESZ_S10_S11_S18_S1C_S1E_T6_T7_T9_mT8_S1G_bDpT10_ENKUlT_T0_E_clISt17integral_constantIbLb1EES1T_IbLb0EEEEDaS1P_S1Q_EUlS1P_E_NS1_11comp_targetILNS1_3genE3ELNS1_11target_archE908ELNS1_3gpuE7ELNS1_3repE0EEENS1_30default_config_static_selectorELNS0_4arch9wavefront6targetE1EEEvS12_,comdat
.Lfunc_end866:
	.size	_ZN7rocprim17ROCPRIM_400000_NS6detail17trampoline_kernelINS0_13select_configILj256ELj13ELNS0_17block_load_methodE3ELS4_3ELS4_3ELNS0_20block_scan_algorithmE0ELj4294967295EEENS1_25partition_config_selectorILNS1_17partition_subalgoE4EjNS0_10empty_typeEbEEZZNS1_14partition_implILS8_4ELb0ES6_15HIP_vector_typeIjLj2EENS0_17counting_iteratorIjlEEPS9_SG_NS0_5tupleIJPjSI_NS0_16reverse_iteratorISI_EEEEENSH_IJSG_SG_SG_EEES9_SI_JZNS1_25segmented_radix_sort_implINS0_14default_configELb1EPKsPsPKlPlN2at6native12_GLOBAL__N_18offset_tEEE10hipError_tPvRmT1_PNSt15iterator_traitsIS12_E10value_typeET2_T3_PNS13_IS18_E10value_typeET4_jRbjT5_S1E_jjP12ihipStream_tbEUljE_ZNSN_ISO_Lb1ESQ_SR_ST_SU_SY_EESZ_S10_S11_S12_S16_S17_S18_S1B_S1C_jS1D_jS1E_S1E_jjS1G_bEUljE0_EEESZ_S10_S11_S18_S1C_S1E_T6_T7_T9_mT8_S1G_bDpT10_ENKUlT_T0_E_clISt17integral_constantIbLb1EES1T_IbLb0EEEEDaS1P_S1Q_EUlS1P_E_NS1_11comp_targetILNS1_3genE3ELNS1_11target_archE908ELNS1_3gpuE7ELNS1_3repE0EEENS1_30default_config_static_selectorELNS0_4arch9wavefront6targetE1EEEvS12_, .Lfunc_end866-_ZN7rocprim17ROCPRIM_400000_NS6detail17trampoline_kernelINS0_13select_configILj256ELj13ELNS0_17block_load_methodE3ELS4_3ELS4_3ELNS0_20block_scan_algorithmE0ELj4294967295EEENS1_25partition_config_selectorILNS1_17partition_subalgoE4EjNS0_10empty_typeEbEEZZNS1_14partition_implILS8_4ELb0ES6_15HIP_vector_typeIjLj2EENS0_17counting_iteratorIjlEEPS9_SG_NS0_5tupleIJPjSI_NS0_16reverse_iteratorISI_EEEEENSH_IJSG_SG_SG_EEES9_SI_JZNS1_25segmented_radix_sort_implINS0_14default_configELb1EPKsPsPKlPlN2at6native12_GLOBAL__N_18offset_tEEE10hipError_tPvRmT1_PNSt15iterator_traitsIS12_E10value_typeET2_T3_PNS13_IS18_E10value_typeET4_jRbjT5_S1E_jjP12ihipStream_tbEUljE_ZNSN_ISO_Lb1ESQ_SR_ST_SU_SY_EESZ_S10_S11_S12_S16_S17_S18_S1B_S1C_jS1D_jS1E_S1E_jjS1G_bEUljE0_EEESZ_S10_S11_S18_S1C_S1E_T6_T7_T9_mT8_S1G_bDpT10_ENKUlT_T0_E_clISt17integral_constantIbLb1EES1T_IbLb0EEEEDaS1P_S1Q_EUlS1P_E_NS1_11comp_targetILNS1_3genE3ELNS1_11target_archE908ELNS1_3gpuE7ELNS1_3repE0EEENS1_30default_config_static_selectorELNS0_4arch9wavefront6targetE1EEEvS12_
                                        ; -- End function
	.set _ZN7rocprim17ROCPRIM_400000_NS6detail17trampoline_kernelINS0_13select_configILj256ELj13ELNS0_17block_load_methodE3ELS4_3ELS4_3ELNS0_20block_scan_algorithmE0ELj4294967295EEENS1_25partition_config_selectorILNS1_17partition_subalgoE4EjNS0_10empty_typeEbEEZZNS1_14partition_implILS8_4ELb0ES6_15HIP_vector_typeIjLj2EENS0_17counting_iteratorIjlEEPS9_SG_NS0_5tupleIJPjSI_NS0_16reverse_iteratorISI_EEEEENSH_IJSG_SG_SG_EEES9_SI_JZNS1_25segmented_radix_sort_implINS0_14default_configELb1EPKsPsPKlPlN2at6native12_GLOBAL__N_18offset_tEEE10hipError_tPvRmT1_PNSt15iterator_traitsIS12_E10value_typeET2_T3_PNS13_IS18_E10value_typeET4_jRbjT5_S1E_jjP12ihipStream_tbEUljE_ZNSN_ISO_Lb1ESQ_SR_ST_SU_SY_EESZ_S10_S11_S12_S16_S17_S18_S1B_S1C_jS1D_jS1E_S1E_jjS1G_bEUljE0_EEESZ_S10_S11_S18_S1C_S1E_T6_T7_T9_mT8_S1G_bDpT10_ENKUlT_T0_E_clISt17integral_constantIbLb1EES1T_IbLb0EEEEDaS1P_S1Q_EUlS1P_E_NS1_11comp_targetILNS1_3genE3ELNS1_11target_archE908ELNS1_3gpuE7ELNS1_3repE0EEENS1_30default_config_static_selectorELNS0_4arch9wavefront6targetE1EEEvS12_.num_vgpr, 0
	.set _ZN7rocprim17ROCPRIM_400000_NS6detail17trampoline_kernelINS0_13select_configILj256ELj13ELNS0_17block_load_methodE3ELS4_3ELS4_3ELNS0_20block_scan_algorithmE0ELj4294967295EEENS1_25partition_config_selectorILNS1_17partition_subalgoE4EjNS0_10empty_typeEbEEZZNS1_14partition_implILS8_4ELb0ES6_15HIP_vector_typeIjLj2EENS0_17counting_iteratorIjlEEPS9_SG_NS0_5tupleIJPjSI_NS0_16reverse_iteratorISI_EEEEENSH_IJSG_SG_SG_EEES9_SI_JZNS1_25segmented_radix_sort_implINS0_14default_configELb1EPKsPsPKlPlN2at6native12_GLOBAL__N_18offset_tEEE10hipError_tPvRmT1_PNSt15iterator_traitsIS12_E10value_typeET2_T3_PNS13_IS18_E10value_typeET4_jRbjT5_S1E_jjP12ihipStream_tbEUljE_ZNSN_ISO_Lb1ESQ_SR_ST_SU_SY_EESZ_S10_S11_S12_S16_S17_S18_S1B_S1C_jS1D_jS1E_S1E_jjS1G_bEUljE0_EEESZ_S10_S11_S18_S1C_S1E_T6_T7_T9_mT8_S1G_bDpT10_ENKUlT_T0_E_clISt17integral_constantIbLb1EES1T_IbLb0EEEEDaS1P_S1Q_EUlS1P_E_NS1_11comp_targetILNS1_3genE3ELNS1_11target_archE908ELNS1_3gpuE7ELNS1_3repE0EEENS1_30default_config_static_selectorELNS0_4arch9wavefront6targetE1EEEvS12_.num_agpr, 0
	.set _ZN7rocprim17ROCPRIM_400000_NS6detail17trampoline_kernelINS0_13select_configILj256ELj13ELNS0_17block_load_methodE3ELS4_3ELS4_3ELNS0_20block_scan_algorithmE0ELj4294967295EEENS1_25partition_config_selectorILNS1_17partition_subalgoE4EjNS0_10empty_typeEbEEZZNS1_14partition_implILS8_4ELb0ES6_15HIP_vector_typeIjLj2EENS0_17counting_iteratorIjlEEPS9_SG_NS0_5tupleIJPjSI_NS0_16reverse_iteratorISI_EEEEENSH_IJSG_SG_SG_EEES9_SI_JZNS1_25segmented_radix_sort_implINS0_14default_configELb1EPKsPsPKlPlN2at6native12_GLOBAL__N_18offset_tEEE10hipError_tPvRmT1_PNSt15iterator_traitsIS12_E10value_typeET2_T3_PNS13_IS18_E10value_typeET4_jRbjT5_S1E_jjP12ihipStream_tbEUljE_ZNSN_ISO_Lb1ESQ_SR_ST_SU_SY_EESZ_S10_S11_S12_S16_S17_S18_S1B_S1C_jS1D_jS1E_S1E_jjS1G_bEUljE0_EEESZ_S10_S11_S18_S1C_S1E_T6_T7_T9_mT8_S1G_bDpT10_ENKUlT_T0_E_clISt17integral_constantIbLb1EES1T_IbLb0EEEEDaS1P_S1Q_EUlS1P_E_NS1_11comp_targetILNS1_3genE3ELNS1_11target_archE908ELNS1_3gpuE7ELNS1_3repE0EEENS1_30default_config_static_selectorELNS0_4arch9wavefront6targetE1EEEvS12_.numbered_sgpr, 0
	.set _ZN7rocprim17ROCPRIM_400000_NS6detail17trampoline_kernelINS0_13select_configILj256ELj13ELNS0_17block_load_methodE3ELS4_3ELS4_3ELNS0_20block_scan_algorithmE0ELj4294967295EEENS1_25partition_config_selectorILNS1_17partition_subalgoE4EjNS0_10empty_typeEbEEZZNS1_14partition_implILS8_4ELb0ES6_15HIP_vector_typeIjLj2EENS0_17counting_iteratorIjlEEPS9_SG_NS0_5tupleIJPjSI_NS0_16reverse_iteratorISI_EEEEENSH_IJSG_SG_SG_EEES9_SI_JZNS1_25segmented_radix_sort_implINS0_14default_configELb1EPKsPsPKlPlN2at6native12_GLOBAL__N_18offset_tEEE10hipError_tPvRmT1_PNSt15iterator_traitsIS12_E10value_typeET2_T3_PNS13_IS18_E10value_typeET4_jRbjT5_S1E_jjP12ihipStream_tbEUljE_ZNSN_ISO_Lb1ESQ_SR_ST_SU_SY_EESZ_S10_S11_S12_S16_S17_S18_S1B_S1C_jS1D_jS1E_S1E_jjS1G_bEUljE0_EEESZ_S10_S11_S18_S1C_S1E_T6_T7_T9_mT8_S1G_bDpT10_ENKUlT_T0_E_clISt17integral_constantIbLb1EES1T_IbLb0EEEEDaS1P_S1Q_EUlS1P_E_NS1_11comp_targetILNS1_3genE3ELNS1_11target_archE908ELNS1_3gpuE7ELNS1_3repE0EEENS1_30default_config_static_selectorELNS0_4arch9wavefront6targetE1EEEvS12_.num_named_barrier, 0
	.set _ZN7rocprim17ROCPRIM_400000_NS6detail17trampoline_kernelINS0_13select_configILj256ELj13ELNS0_17block_load_methodE3ELS4_3ELS4_3ELNS0_20block_scan_algorithmE0ELj4294967295EEENS1_25partition_config_selectorILNS1_17partition_subalgoE4EjNS0_10empty_typeEbEEZZNS1_14partition_implILS8_4ELb0ES6_15HIP_vector_typeIjLj2EENS0_17counting_iteratorIjlEEPS9_SG_NS0_5tupleIJPjSI_NS0_16reverse_iteratorISI_EEEEENSH_IJSG_SG_SG_EEES9_SI_JZNS1_25segmented_radix_sort_implINS0_14default_configELb1EPKsPsPKlPlN2at6native12_GLOBAL__N_18offset_tEEE10hipError_tPvRmT1_PNSt15iterator_traitsIS12_E10value_typeET2_T3_PNS13_IS18_E10value_typeET4_jRbjT5_S1E_jjP12ihipStream_tbEUljE_ZNSN_ISO_Lb1ESQ_SR_ST_SU_SY_EESZ_S10_S11_S12_S16_S17_S18_S1B_S1C_jS1D_jS1E_S1E_jjS1G_bEUljE0_EEESZ_S10_S11_S18_S1C_S1E_T6_T7_T9_mT8_S1G_bDpT10_ENKUlT_T0_E_clISt17integral_constantIbLb1EES1T_IbLb0EEEEDaS1P_S1Q_EUlS1P_E_NS1_11comp_targetILNS1_3genE3ELNS1_11target_archE908ELNS1_3gpuE7ELNS1_3repE0EEENS1_30default_config_static_selectorELNS0_4arch9wavefront6targetE1EEEvS12_.private_seg_size, 0
	.set _ZN7rocprim17ROCPRIM_400000_NS6detail17trampoline_kernelINS0_13select_configILj256ELj13ELNS0_17block_load_methodE3ELS4_3ELS4_3ELNS0_20block_scan_algorithmE0ELj4294967295EEENS1_25partition_config_selectorILNS1_17partition_subalgoE4EjNS0_10empty_typeEbEEZZNS1_14partition_implILS8_4ELb0ES6_15HIP_vector_typeIjLj2EENS0_17counting_iteratorIjlEEPS9_SG_NS0_5tupleIJPjSI_NS0_16reverse_iteratorISI_EEEEENSH_IJSG_SG_SG_EEES9_SI_JZNS1_25segmented_radix_sort_implINS0_14default_configELb1EPKsPsPKlPlN2at6native12_GLOBAL__N_18offset_tEEE10hipError_tPvRmT1_PNSt15iterator_traitsIS12_E10value_typeET2_T3_PNS13_IS18_E10value_typeET4_jRbjT5_S1E_jjP12ihipStream_tbEUljE_ZNSN_ISO_Lb1ESQ_SR_ST_SU_SY_EESZ_S10_S11_S12_S16_S17_S18_S1B_S1C_jS1D_jS1E_S1E_jjS1G_bEUljE0_EEESZ_S10_S11_S18_S1C_S1E_T6_T7_T9_mT8_S1G_bDpT10_ENKUlT_T0_E_clISt17integral_constantIbLb1EES1T_IbLb0EEEEDaS1P_S1Q_EUlS1P_E_NS1_11comp_targetILNS1_3genE3ELNS1_11target_archE908ELNS1_3gpuE7ELNS1_3repE0EEENS1_30default_config_static_selectorELNS0_4arch9wavefront6targetE1EEEvS12_.uses_vcc, 0
	.set _ZN7rocprim17ROCPRIM_400000_NS6detail17trampoline_kernelINS0_13select_configILj256ELj13ELNS0_17block_load_methodE3ELS4_3ELS4_3ELNS0_20block_scan_algorithmE0ELj4294967295EEENS1_25partition_config_selectorILNS1_17partition_subalgoE4EjNS0_10empty_typeEbEEZZNS1_14partition_implILS8_4ELb0ES6_15HIP_vector_typeIjLj2EENS0_17counting_iteratorIjlEEPS9_SG_NS0_5tupleIJPjSI_NS0_16reverse_iteratorISI_EEEEENSH_IJSG_SG_SG_EEES9_SI_JZNS1_25segmented_radix_sort_implINS0_14default_configELb1EPKsPsPKlPlN2at6native12_GLOBAL__N_18offset_tEEE10hipError_tPvRmT1_PNSt15iterator_traitsIS12_E10value_typeET2_T3_PNS13_IS18_E10value_typeET4_jRbjT5_S1E_jjP12ihipStream_tbEUljE_ZNSN_ISO_Lb1ESQ_SR_ST_SU_SY_EESZ_S10_S11_S12_S16_S17_S18_S1B_S1C_jS1D_jS1E_S1E_jjS1G_bEUljE0_EEESZ_S10_S11_S18_S1C_S1E_T6_T7_T9_mT8_S1G_bDpT10_ENKUlT_T0_E_clISt17integral_constantIbLb1EES1T_IbLb0EEEEDaS1P_S1Q_EUlS1P_E_NS1_11comp_targetILNS1_3genE3ELNS1_11target_archE908ELNS1_3gpuE7ELNS1_3repE0EEENS1_30default_config_static_selectorELNS0_4arch9wavefront6targetE1EEEvS12_.uses_flat_scratch, 0
	.set _ZN7rocprim17ROCPRIM_400000_NS6detail17trampoline_kernelINS0_13select_configILj256ELj13ELNS0_17block_load_methodE3ELS4_3ELS4_3ELNS0_20block_scan_algorithmE0ELj4294967295EEENS1_25partition_config_selectorILNS1_17partition_subalgoE4EjNS0_10empty_typeEbEEZZNS1_14partition_implILS8_4ELb0ES6_15HIP_vector_typeIjLj2EENS0_17counting_iteratorIjlEEPS9_SG_NS0_5tupleIJPjSI_NS0_16reverse_iteratorISI_EEEEENSH_IJSG_SG_SG_EEES9_SI_JZNS1_25segmented_radix_sort_implINS0_14default_configELb1EPKsPsPKlPlN2at6native12_GLOBAL__N_18offset_tEEE10hipError_tPvRmT1_PNSt15iterator_traitsIS12_E10value_typeET2_T3_PNS13_IS18_E10value_typeET4_jRbjT5_S1E_jjP12ihipStream_tbEUljE_ZNSN_ISO_Lb1ESQ_SR_ST_SU_SY_EESZ_S10_S11_S12_S16_S17_S18_S1B_S1C_jS1D_jS1E_S1E_jjS1G_bEUljE0_EEESZ_S10_S11_S18_S1C_S1E_T6_T7_T9_mT8_S1G_bDpT10_ENKUlT_T0_E_clISt17integral_constantIbLb1EES1T_IbLb0EEEEDaS1P_S1Q_EUlS1P_E_NS1_11comp_targetILNS1_3genE3ELNS1_11target_archE908ELNS1_3gpuE7ELNS1_3repE0EEENS1_30default_config_static_selectorELNS0_4arch9wavefront6targetE1EEEvS12_.has_dyn_sized_stack, 0
	.set _ZN7rocprim17ROCPRIM_400000_NS6detail17trampoline_kernelINS0_13select_configILj256ELj13ELNS0_17block_load_methodE3ELS4_3ELS4_3ELNS0_20block_scan_algorithmE0ELj4294967295EEENS1_25partition_config_selectorILNS1_17partition_subalgoE4EjNS0_10empty_typeEbEEZZNS1_14partition_implILS8_4ELb0ES6_15HIP_vector_typeIjLj2EENS0_17counting_iteratorIjlEEPS9_SG_NS0_5tupleIJPjSI_NS0_16reverse_iteratorISI_EEEEENSH_IJSG_SG_SG_EEES9_SI_JZNS1_25segmented_radix_sort_implINS0_14default_configELb1EPKsPsPKlPlN2at6native12_GLOBAL__N_18offset_tEEE10hipError_tPvRmT1_PNSt15iterator_traitsIS12_E10value_typeET2_T3_PNS13_IS18_E10value_typeET4_jRbjT5_S1E_jjP12ihipStream_tbEUljE_ZNSN_ISO_Lb1ESQ_SR_ST_SU_SY_EESZ_S10_S11_S12_S16_S17_S18_S1B_S1C_jS1D_jS1E_S1E_jjS1G_bEUljE0_EEESZ_S10_S11_S18_S1C_S1E_T6_T7_T9_mT8_S1G_bDpT10_ENKUlT_T0_E_clISt17integral_constantIbLb1EES1T_IbLb0EEEEDaS1P_S1Q_EUlS1P_E_NS1_11comp_targetILNS1_3genE3ELNS1_11target_archE908ELNS1_3gpuE7ELNS1_3repE0EEENS1_30default_config_static_selectorELNS0_4arch9wavefront6targetE1EEEvS12_.has_recursion, 0
	.set _ZN7rocprim17ROCPRIM_400000_NS6detail17trampoline_kernelINS0_13select_configILj256ELj13ELNS0_17block_load_methodE3ELS4_3ELS4_3ELNS0_20block_scan_algorithmE0ELj4294967295EEENS1_25partition_config_selectorILNS1_17partition_subalgoE4EjNS0_10empty_typeEbEEZZNS1_14partition_implILS8_4ELb0ES6_15HIP_vector_typeIjLj2EENS0_17counting_iteratorIjlEEPS9_SG_NS0_5tupleIJPjSI_NS0_16reverse_iteratorISI_EEEEENSH_IJSG_SG_SG_EEES9_SI_JZNS1_25segmented_radix_sort_implINS0_14default_configELb1EPKsPsPKlPlN2at6native12_GLOBAL__N_18offset_tEEE10hipError_tPvRmT1_PNSt15iterator_traitsIS12_E10value_typeET2_T3_PNS13_IS18_E10value_typeET4_jRbjT5_S1E_jjP12ihipStream_tbEUljE_ZNSN_ISO_Lb1ESQ_SR_ST_SU_SY_EESZ_S10_S11_S12_S16_S17_S18_S1B_S1C_jS1D_jS1E_S1E_jjS1G_bEUljE0_EEESZ_S10_S11_S18_S1C_S1E_T6_T7_T9_mT8_S1G_bDpT10_ENKUlT_T0_E_clISt17integral_constantIbLb1EES1T_IbLb0EEEEDaS1P_S1Q_EUlS1P_E_NS1_11comp_targetILNS1_3genE3ELNS1_11target_archE908ELNS1_3gpuE7ELNS1_3repE0EEENS1_30default_config_static_selectorELNS0_4arch9wavefront6targetE1EEEvS12_.has_indirect_call, 0
	.section	.AMDGPU.csdata,"",@progbits
; Kernel info:
; codeLenInByte = 0
; TotalNumSgprs: 4
; NumVgprs: 0
; ScratchSize: 0
; MemoryBound: 0
; FloatMode: 240
; IeeeMode: 1
; LDSByteSize: 0 bytes/workgroup (compile time only)
; SGPRBlocks: 0
; VGPRBlocks: 0
; NumSGPRsForWavesPerEU: 4
; NumVGPRsForWavesPerEU: 1
; Occupancy: 10
; WaveLimiterHint : 0
; COMPUTE_PGM_RSRC2:SCRATCH_EN: 0
; COMPUTE_PGM_RSRC2:USER_SGPR: 6
; COMPUTE_PGM_RSRC2:TRAP_HANDLER: 0
; COMPUTE_PGM_RSRC2:TGID_X_EN: 1
; COMPUTE_PGM_RSRC2:TGID_Y_EN: 0
; COMPUTE_PGM_RSRC2:TGID_Z_EN: 0
; COMPUTE_PGM_RSRC2:TIDIG_COMP_CNT: 0
	.section	.text._ZN7rocprim17ROCPRIM_400000_NS6detail17trampoline_kernelINS0_13select_configILj256ELj13ELNS0_17block_load_methodE3ELS4_3ELS4_3ELNS0_20block_scan_algorithmE0ELj4294967295EEENS1_25partition_config_selectorILNS1_17partition_subalgoE4EjNS0_10empty_typeEbEEZZNS1_14partition_implILS8_4ELb0ES6_15HIP_vector_typeIjLj2EENS0_17counting_iteratorIjlEEPS9_SG_NS0_5tupleIJPjSI_NS0_16reverse_iteratorISI_EEEEENSH_IJSG_SG_SG_EEES9_SI_JZNS1_25segmented_radix_sort_implINS0_14default_configELb1EPKsPsPKlPlN2at6native12_GLOBAL__N_18offset_tEEE10hipError_tPvRmT1_PNSt15iterator_traitsIS12_E10value_typeET2_T3_PNS13_IS18_E10value_typeET4_jRbjT5_S1E_jjP12ihipStream_tbEUljE_ZNSN_ISO_Lb1ESQ_SR_ST_SU_SY_EESZ_S10_S11_S12_S16_S17_S18_S1B_S1C_jS1D_jS1E_S1E_jjS1G_bEUljE0_EEESZ_S10_S11_S18_S1C_S1E_T6_T7_T9_mT8_S1G_bDpT10_ENKUlT_T0_E_clISt17integral_constantIbLb1EES1T_IbLb0EEEEDaS1P_S1Q_EUlS1P_E_NS1_11comp_targetILNS1_3genE2ELNS1_11target_archE906ELNS1_3gpuE6ELNS1_3repE0EEENS1_30default_config_static_selectorELNS0_4arch9wavefront6targetE1EEEvS12_,"axG",@progbits,_ZN7rocprim17ROCPRIM_400000_NS6detail17trampoline_kernelINS0_13select_configILj256ELj13ELNS0_17block_load_methodE3ELS4_3ELS4_3ELNS0_20block_scan_algorithmE0ELj4294967295EEENS1_25partition_config_selectorILNS1_17partition_subalgoE4EjNS0_10empty_typeEbEEZZNS1_14partition_implILS8_4ELb0ES6_15HIP_vector_typeIjLj2EENS0_17counting_iteratorIjlEEPS9_SG_NS0_5tupleIJPjSI_NS0_16reverse_iteratorISI_EEEEENSH_IJSG_SG_SG_EEES9_SI_JZNS1_25segmented_radix_sort_implINS0_14default_configELb1EPKsPsPKlPlN2at6native12_GLOBAL__N_18offset_tEEE10hipError_tPvRmT1_PNSt15iterator_traitsIS12_E10value_typeET2_T3_PNS13_IS18_E10value_typeET4_jRbjT5_S1E_jjP12ihipStream_tbEUljE_ZNSN_ISO_Lb1ESQ_SR_ST_SU_SY_EESZ_S10_S11_S12_S16_S17_S18_S1B_S1C_jS1D_jS1E_S1E_jjS1G_bEUljE0_EEESZ_S10_S11_S18_S1C_S1E_T6_T7_T9_mT8_S1G_bDpT10_ENKUlT_T0_E_clISt17integral_constantIbLb1EES1T_IbLb0EEEEDaS1P_S1Q_EUlS1P_E_NS1_11comp_targetILNS1_3genE2ELNS1_11target_archE906ELNS1_3gpuE6ELNS1_3repE0EEENS1_30default_config_static_selectorELNS0_4arch9wavefront6targetE1EEEvS12_,comdat
	.globl	_ZN7rocprim17ROCPRIM_400000_NS6detail17trampoline_kernelINS0_13select_configILj256ELj13ELNS0_17block_load_methodE3ELS4_3ELS4_3ELNS0_20block_scan_algorithmE0ELj4294967295EEENS1_25partition_config_selectorILNS1_17partition_subalgoE4EjNS0_10empty_typeEbEEZZNS1_14partition_implILS8_4ELb0ES6_15HIP_vector_typeIjLj2EENS0_17counting_iteratorIjlEEPS9_SG_NS0_5tupleIJPjSI_NS0_16reverse_iteratorISI_EEEEENSH_IJSG_SG_SG_EEES9_SI_JZNS1_25segmented_radix_sort_implINS0_14default_configELb1EPKsPsPKlPlN2at6native12_GLOBAL__N_18offset_tEEE10hipError_tPvRmT1_PNSt15iterator_traitsIS12_E10value_typeET2_T3_PNS13_IS18_E10value_typeET4_jRbjT5_S1E_jjP12ihipStream_tbEUljE_ZNSN_ISO_Lb1ESQ_SR_ST_SU_SY_EESZ_S10_S11_S12_S16_S17_S18_S1B_S1C_jS1D_jS1E_S1E_jjS1G_bEUljE0_EEESZ_S10_S11_S18_S1C_S1E_T6_T7_T9_mT8_S1G_bDpT10_ENKUlT_T0_E_clISt17integral_constantIbLb1EES1T_IbLb0EEEEDaS1P_S1Q_EUlS1P_E_NS1_11comp_targetILNS1_3genE2ELNS1_11target_archE906ELNS1_3gpuE6ELNS1_3repE0EEENS1_30default_config_static_selectorELNS0_4arch9wavefront6targetE1EEEvS12_ ; -- Begin function _ZN7rocprim17ROCPRIM_400000_NS6detail17trampoline_kernelINS0_13select_configILj256ELj13ELNS0_17block_load_methodE3ELS4_3ELS4_3ELNS0_20block_scan_algorithmE0ELj4294967295EEENS1_25partition_config_selectorILNS1_17partition_subalgoE4EjNS0_10empty_typeEbEEZZNS1_14partition_implILS8_4ELb0ES6_15HIP_vector_typeIjLj2EENS0_17counting_iteratorIjlEEPS9_SG_NS0_5tupleIJPjSI_NS0_16reverse_iteratorISI_EEEEENSH_IJSG_SG_SG_EEES9_SI_JZNS1_25segmented_radix_sort_implINS0_14default_configELb1EPKsPsPKlPlN2at6native12_GLOBAL__N_18offset_tEEE10hipError_tPvRmT1_PNSt15iterator_traitsIS12_E10value_typeET2_T3_PNS13_IS18_E10value_typeET4_jRbjT5_S1E_jjP12ihipStream_tbEUljE_ZNSN_ISO_Lb1ESQ_SR_ST_SU_SY_EESZ_S10_S11_S12_S16_S17_S18_S1B_S1C_jS1D_jS1E_S1E_jjS1G_bEUljE0_EEESZ_S10_S11_S18_S1C_S1E_T6_T7_T9_mT8_S1G_bDpT10_ENKUlT_T0_E_clISt17integral_constantIbLb1EES1T_IbLb0EEEEDaS1P_S1Q_EUlS1P_E_NS1_11comp_targetILNS1_3genE2ELNS1_11target_archE906ELNS1_3gpuE6ELNS1_3repE0EEENS1_30default_config_static_selectorELNS0_4arch9wavefront6targetE1EEEvS12_
	.p2align	8
	.type	_ZN7rocprim17ROCPRIM_400000_NS6detail17trampoline_kernelINS0_13select_configILj256ELj13ELNS0_17block_load_methodE3ELS4_3ELS4_3ELNS0_20block_scan_algorithmE0ELj4294967295EEENS1_25partition_config_selectorILNS1_17partition_subalgoE4EjNS0_10empty_typeEbEEZZNS1_14partition_implILS8_4ELb0ES6_15HIP_vector_typeIjLj2EENS0_17counting_iteratorIjlEEPS9_SG_NS0_5tupleIJPjSI_NS0_16reverse_iteratorISI_EEEEENSH_IJSG_SG_SG_EEES9_SI_JZNS1_25segmented_radix_sort_implINS0_14default_configELb1EPKsPsPKlPlN2at6native12_GLOBAL__N_18offset_tEEE10hipError_tPvRmT1_PNSt15iterator_traitsIS12_E10value_typeET2_T3_PNS13_IS18_E10value_typeET4_jRbjT5_S1E_jjP12ihipStream_tbEUljE_ZNSN_ISO_Lb1ESQ_SR_ST_SU_SY_EESZ_S10_S11_S12_S16_S17_S18_S1B_S1C_jS1D_jS1E_S1E_jjS1G_bEUljE0_EEESZ_S10_S11_S18_S1C_S1E_T6_T7_T9_mT8_S1G_bDpT10_ENKUlT_T0_E_clISt17integral_constantIbLb1EES1T_IbLb0EEEEDaS1P_S1Q_EUlS1P_E_NS1_11comp_targetILNS1_3genE2ELNS1_11target_archE906ELNS1_3gpuE6ELNS1_3repE0EEENS1_30default_config_static_selectorELNS0_4arch9wavefront6targetE1EEEvS12_,@function
_ZN7rocprim17ROCPRIM_400000_NS6detail17trampoline_kernelINS0_13select_configILj256ELj13ELNS0_17block_load_methodE3ELS4_3ELS4_3ELNS0_20block_scan_algorithmE0ELj4294967295EEENS1_25partition_config_selectorILNS1_17partition_subalgoE4EjNS0_10empty_typeEbEEZZNS1_14partition_implILS8_4ELb0ES6_15HIP_vector_typeIjLj2EENS0_17counting_iteratorIjlEEPS9_SG_NS0_5tupleIJPjSI_NS0_16reverse_iteratorISI_EEEEENSH_IJSG_SG_SG_EEES9_SI_JZNS1_25segmented_radix_sort_implINS0_14default_configELb1EPKsPsPKlPlN2at6native12_GLOBAL__N_18offset_tEEE10hipError_tPvRmT1_PNSt15iterator_traitsIS12_E10value_typeET2_T3_PNS13_IS18_E10value_typeET4_jRbjT5_S1E_jjP12ihipStream_tbEUljE_ZNSN_ISO_Lb1ESQ_SR_ST_SU_SY_EESZ_S10_S11_S12_S16_S17_S18_S1B_S1C_jS1D_jS1E_S1E_jjS1G_bEUljE0_EEESZ_S10_S11_S18_S1C_S1E_T6_T7_T9_mT8_S1G_bDpT10_ENKUlT_T0_E_clISt17integral_constantIbLb1EES1T_IbLb0EEEEDaS1P_S1Q_EUlS1P_E_NS1_11comp_targetILNS1_3genE2ELNS1_11target_archE906ELNS1_3gpuE6ELNS1_3repE0EEENS1_30default_config_static_selectorELNS0_4arch9wavefront6targetE1EEEvS12_: ; @_ZN7rocprim17ROCPRIM_400000_NS6detail17trampoline_kernelINS0_13select_configILj256ELj13ELNS0_17block_load_methodE3ELS4_3ELS4_3ELNS0_20block_scan_algorithmE0ELj4294967295EEENS1_25partition_config_selectorILNS1_17partition_subalgoE4EjNS0_10empty_typeEbEEZZNS1_14partition_implILS8_4ELb0ES6_15HIP_vector_typeIjLj2EENS0_17counting_iteratorIjlEEPS9_SG_NS0_5tupleIJPjSI_NS0_16reverse_iteratorISI_EEEEENSH_IJSG_SG_SG_EEES9_SI_JZNS1_25segmented_radix_sort_implINS0_14default_configELb1EPKsPsPKlPlN2at6native12_GLOBAL__N_18offset_tEEE10hipError_tPvRmT1_PNSt15iterator_traitsIS12_E10value_typeET2_T3_PNS13_IS18_E10value_typeET4_jRbjT5_S1E_jjP12ihipStream_tbEUljE_ZNSN_ISO_Lb1ESQ_SR_ST_SU_SY_EESZ_S10_S11_S12_S16_S17_S18_S1B_S1C_jS1D_jS1E_S1E_jjS1G_bEUljE0_EEESZ_S10_S11_S18_S1C_S1E_T6_T7_T9_mT8_S1G_bDpT10_ENKUlT_T0_E_clISt17integral_constantIbLb1EES1T_IbLb0EEEEDaS1P_S1Q_EUlS1P_E_NS1_11comp_targetILNS1_3genE2ELNS1_11target_archE906ELNS1_3gpuE6ELNS1_3repE0EEENS1_30default_config_static_selectorELNS0_4arch9wavefront6targetE1EEEvS12_
; %bb.0:
	s_endpgm
	.section	.rodata,"a",@progbits
	.p2align	6, 0x0
	.amdhsa_kernel _ZN7rocprim17ROCPRIM_400000_NS6detail17trampoline_kernelINS0_13select_configILj256ELj13ELNS0_17block_load_methodE3ELS4_3ELS4_3ELNS0_20block_scan_algorithmE0ELj4294967295EEENS1_25partition_config_selectorILNS1_17partition_subalgoE4EjNS0_10empty_typeEbEEZZNS1_14partition_implILS8_4ELb0ES6_15HIP_vector_typeIjLj2EENS0_17counting_iteratorIjlEEPS9_SG_NS0_5tupleIJPjSI_NS0_16reverse_iteratorISI_EEEEENSH_IJSG_SG_SG_EEES9_SI_JZNS1_25segmented_radix_sort_implINS0_14default_configELb1EPKsPsPKlPlN2at6native12_GLOBAL__N_18offset_tEEE10hipError_tPvRmT1_PNSt15iterator_traitsIS12_E10value_typeET2_T3_PNS13_IS18_E10value_typeET4_jRbjT5_S1E_jjP12ihipStream_tbEUljE_ZNSN_ISO_Lb1ESQ_SR_ST_SU_SY_EESZ_S10_S11_S12_S16_S17_S18_S1B_S1C_jS1D_jS1E_S1E_jjS1G_bEUljE0_EEESZ_S10_S11_S18_S1C_S1E_T6_T7_T9_mT8_S1G_bDpT10_ENKUlT_T0_E_clISt17integral_constantIbLb1EES1T_IbLb0EEEEDaS1P_S1Q_EUlS1P_E_NS1_11comp_targetILNS1_3genE2ELNS1_11target_archE906ELNS1_3gpuE6ELNS1_3repE0EEENS1_30default_config_static_selectorELNS0_4arch9wavefront6targetE1EEEvS12_
		.amdhsa_group_segment_fixed_size 0
		.amdhsa_private_segment_fixed_size 0
		.amdhsa_kernarg_size 176
		.amdhsa_user_sgpr_count 6
		.amdhsa_user_sgpr_private_segment_buffer 1
		.amdhsa_user_sgpr_dispatch_ptr 0
		.amdhsa_user_sgpr_queue_ptr 0
		.amdhsa_user_sgpr_kernarg_segment_ptr 1
		.amdhsa_user_sgpr_dispatch_id 0
		.amdhsa_user_sgpr_flat_scratch_init 0
		.amdhsa_user_sgpr_private_segment_size 0
		.amdhsa_uses_dynamic_stack 0
		.amdhsa_system_sgpr_private_segment_wavefront_offset 0
		.amdhsa_system_sgpr_workgroup_id_x 1
		.amdhsa_system_sgpr_workgroup_id_y 0
		.amdhsa_system_sgpr_workgroup_id_z 0
		.amdhsa_system_sgpr_workgroup_info 0
		.amdhsa_system_vgpr_workitem_id 0
		.amdhsa_next_free_vgpr 1
		.amdhsa_next_free_sgpr 0
		.amdhsa_reserve_vcc 0
		.amdhsa_reserve_flat_scratch 0
		.amdhsa_float_round_mode_32 0
		.amdhsa_float_round_mode_16_64 0
		.amdhsa_float_denorm_mode_32 3
		.amdhsa_float_denorm_mode_16_64 3
		.amdhsa_dx10_clamp 1
		.amdhsa_ieee_mode 1
		.amdhsa_fp16_overflow 0
		.amdhsa_exception_fp_ieee_invalid_op 0
		.amdhsa_exception_fp_denorm_src 0
		.amdhsa_exception_fp_ieee_div_zero 0
		.amdhsa_exception_fp_ieee_overflow 0
		.amdhsa_exception_fp_ieee_underflow 0
		.amdhsa_exception_fp_ieee_inexact 0
		.amdhsa_exception_int_div_zero 0
	.end_amdhsa_kernel
	.section	.text._ZN7rocprim17ROCPRIM_400000_NS6detail17trampoline_kernelINS0_13select_configILj256ELj13ELNS0_17block_load_methodE3ELS4_3ELS4_3ELNS0_20block_scan_algorithmE0ELj4294967295EEENS1_25partition_config_selectorILNS1_17partition_subalgoE4EjNS0_10empty_typeEbEEZZNS1_14partition_implILS8_4ELb0ES6_15HIP_vector_typeIjLj2EENS0_17counting_iteratorIjlEEPS9_SG_NS0_5tupleIJPjSI_NS0_16reverse_iteratorISI_EEEEENSH_IJSG_SG_SG_EEES9_SI_JZNS1_25segmented_radix_sort_implINS0_14default_configELb1EPKsPsPKlPlN2at6native12_GLOBAL__N_18offset_tEEE10hipError_tPvRmT1_PNSt15iterator_traitsIS12_E10value_typeET2_T3_PNS13_IS18_E10value_typeET4_jRbjT5_S1E_jjP12ihipStream_tbEUljE_ZNSN_ISO_Lb1ESQ_SR_ST_SU_SY_EESZ_S10_S11_S12_S16_S17_S18_S1B_S1C_jS1D_jS1E_S1E_jjS1G_bEUljE0_EEESZ_S10_S11_S18_S1C_S1E_T6_T7_T9_mT8_S1G_bDpT10_ENKUlT_T0_E_clISt17integral_constantIbLb1EES1T_IbLb0EEEEDaS1P_S1Q_EUlS1P_E_NS1_11comp_targetILNS1_3genE2ELNS1_11target_archE906ELNS1_3gpuE6ELNS1_3repE0EEENS1_30default_config_static_selectorELNS0_4arch9wavefront6targetE1EEEvS12_,"axG",@progbits,_ZN7rocprim17ROCPRIM_400000_NS6detail17trampoline_kernelINS0_13select_configILj256ELj13ELNS0_17block_load_methodE3ELS4_3ELS4_3ELNS0_20block_scan_algorithmE0ELj4294967295EEENS1_25partition_config_selectorILNS1_17partition_subalgoE4EjNS0_10empty_typeEbEEZZNS1_14partition_implILS8_4ELb0ES6_15HIP_vector_typeIjLj2EENS0_17counting_iteratorIjlEEPS9_SG_NS0_5tupleIJPjSI_NS0_16reverse_iteratorISI_EEEEENSH_IJSG_SG_SG_EEES9_SI_JZNS1_25segmented_radix_sort_implINS0_14default_configELb1EPKsPsPKlPlN2at6native12_GLOBAL__N_18offset_tEEE10hipError_tPvRmT1_PNSt15iterator_traitsIS12_E10value_typeET2_T3_PNS13_IS18_E10value_typeET4_jRbjT5_S1E_jjP12ihipStream_tbEUljE_ZNSN_ISO_Lb1ESQ_SR_ST_SU_SY_EESZ_S10_S11_S12_S16_S17_S18_S1B_S1C_jS1D_jS1E_S1E_jjS1G_bEUljE0_EEESZ_S10_S11_S18_S1C_S1E_T6_T7_T9_mT8_S1G_bDpT10_ENKUlT_T0_E_clISt17integral_constantIbLb1EES1T_IbLb0EEEEDaS1P_S1Q_EUlS1P_E_NS1_11comp_targetILNS1_3genE2ELNS1_11target_archE906ELNS1_3gpuE6ELNS1_3repE0EEENS1_30default_config_static_selectorELNS0_4arch9wavefront6targetE1EEEvS12_,comdat
.Lfunc_end867:
	.size	_ZN7rocprim17ROCPRIM_400000_NS6detail17trampoline_kernelINS0_13select_configILj256ELj13ELNS0_17block_load_methodE3ELS4_3ELS4_3ELNS0_20block_scan_algorithmE0ELj4294967295EEENS1_25partition_config_selectorILNS1_17partition_subalgoE4EjNS0_10empty_typeEbEEZZNS1_14partition_implILS8_4ELb0ES6_15HIP_vector_typeIjLj2EENS0_17counting_iteratorIjlEEPS9_SG_NS0_5tupleIJPjSI_NS0_16reverse_iteratorISI_EEEEENSH_IJSG_SG_SG_EEES9_SI_JZNS1_25segmented_radix_sort_implINS0_14default_configELb1EPKsPsPKlPlN2at6native12_GLOBAL__N_18offset_tEEE10hipError_tPvRmT1_PNSt15iterator_traitsIS12_E10value_typeET2_T3_PNS13_IS18_E10value_typeET4_jRbjT5_S1E_jjP12ihipStream_tbEUljE_ZNSN_ISO_Lb1ESQ_SR_ST_SU_SY_EESZ_S10_S11_S12_S16_S17_S18_S1B_S1C_jS1D_jS1E_S1E_jjS1G_bEUljE0_EEESZ_S10_S11_S18_S1C_S1E_T6_T7_T9_mT8_S1G_bDpT10_ENKUlT_T0_E_clISt17integral_constantIbLb1EES1T_IbLb0EEEEDaS1P_S1Q_EUlS1P_E_NS1_11comp_targetILNS1_3genE2ELNS1_11target_archE906ELNS1_3gpuE6ELNS1_3repE0EEENS1_30default_config_static_selectorELNS0_4arch9wavefront6targetE1EEEvS12_, .Lfunc_end867-_ZN7rocprim17ROCPRIM_400000_NS6detail17trampoline_kernelINS0_13select_configILj256ELj13ELNS0_17block_load_methodE3ELS4_3ELS4_3ELNS0_20block_scan_algorithmE0ELj4294967295EEENS1_25partition_config_selectorILNS1_17partition_subalgoE4EjNS0_10empty_typeEbEEZZNS1_14partition_implILS8_4ELb0ES6_15HIP_vector_typeIjLj2EENS0_17counting_iteratorIjlEEPS9_SG_NS0_5tupleIJPjSI_NS0_16reverse_iteratorISI_EEEEENSH_IJSG_SG_SG_EEES9_SI_JZNS1_25segmented_radix_sort_implINS0_14default_configELb1EPKsPsPKlPlN2at6native12_GLOBAL__N_18offset_tEEE10hipError_tPvRmT1_PNSt15iterator_traitsIS12_E10value_typeET2_T3_PNS13_IS18_E10value_typeET4_jRbjT5_S1E_jjP12ihipStream_tbEUljE_ZNSN_ISO_Lb1ESQ_SR_ST_SU_SY_EESZ_S10_S11_S12_S16_S17_S18_S1B_S1C_jS1D_jS1E_S1E_jjS1G_bEUljE0_EEESZ_S10_S11_S18_S1C_S1E_T6_T7_T9_mT8_S1G_bDpT10_ENKUlT_T0_E_clISt17integral_constantIbLb1EES1T_IbLb0EEEEDaS1P_S1Q_EUlS1P_E_NS1_11comp_targetILNS1_3genE2ELNS1_11target_archE906ELNS1_3gpuE6ELNS1_3repE0EEENS1_30default_config_static_selectorELNS0_4arch9wavefront6targetE1EEEvS12_
                                        ; -- End function
	.set _ZN7rocprim17ROCPRIM_400000_NS6detail17trampoline_kernelINS0_13select_configILj256ELj13ELNS0_17block_load_methodE3ELS4_3ELS4_3ELNS0_20block_scan_algorithmE0ELj4294967295EEENS1_25partition_config_selectorILNS1_17partition_subalgoE4EjNS0_10empty_typeEbEEZZNS1_14partition_implILS8_4ELb0ES6_15HIP_vector_typeIjLj2EENS0_17counting_iteratorIjlEEPS9_SG_NS0_5tupleIJPjSI_NS0_16reverse_iteratorISI_EEEEENSH_IJSG_SG_SG_EEES9_SI_JZNS1_25segmented_radix_sort_implINS0_14default_configELb1EPKsPsPKlPlN2at6native12_GLOBAL__N_18offset_tEEE10hipError_tPvRmT1_PNSt15iterator_traitsIS12_E10value_typeET2_T3_PNS13_IS18_E10value_typeET4_jRbjT5_S1E_jjP12ihipStream_tbEUljE_ZNSN_ISO_Lb1ESQ_SR_ST_SU_SY_EESZ_S10_S11_S12_S16_S17_S18_S1B_S1C_jS1D_jS1E_S1E_jjS1G_bEUljE0_EEESZ_S10_S11_S18_S1C_S1E_T6_T7_T9_mT8_S1G_bDpT10_ENKUlT_T0_E_clISt17integral_constantIbLb1EES1T_IbLb0EEEEDaS1P_S1Q_EUlS1P_E_NS1_11comp_targetILNS1_3genE2ELNS1_11target_archE906ELNS1_3gpuE6ELNS1_3repE0EEENS1_30default_config_static_selectorELNS0_4arch9wavefront6targetE1EEEvS12_.num_vgpr, 0
	.set _ZN7rocprim17ROCPRIM_400000_NS6detail17trampoline_kernelINS0_13select_configILj256ELj13ELNS0_17block_load_methodE3ELS4_3ELS4_3ELNS0_20block_scan_algorithmE0ELj4294967295EEENS1_25partition_config_selectorILNS1_17partition_subalgoE4EjNS0_10empty_typeEbEEZZNS1_14partition_implILS8_4ELb0ES6_15HIP_vector_typeIjLj2EENS0_17counting_iteratorIjlEEPS9_SG_NS0_5tupleIJPjSI_NS0_16reverse_iteratorISI_EEEEENSH_IJSG_SG_SG_EEES9_SI_JZNS1_25segmented_radix_sort_implINS0_14default_configELb1EPKsPsPKlPlN2at6native12_GLOBAL__N_18offset_tEEE10hipError_tPvRmT1_PNSt15iterator_traitsIS12_E10value_typeET2_T3_PNS13_IS18_E10value_typeET4_jRbjT5_S1E_jjP12ihipStream_tbEUljE_ZNSN_ISO_Lb1ESQ_SR_ST_SU_SY_EESZ_S10_S11_S12_S16_S17_S18_S1B_S1C_jS1D_jS1E_S1E_jjS1G_bEUljE0_EEESZ_S10_S11_S18_S1C_S1E_T6_T7_T9_mT8_S1G_bDpT10_ENKUlT_T0_E_clISt17integral_constantIbLb1EES1T_IbLb0EEEEDaS1P_S1Q_EUlS1P_E_NS1_11comp_targetILNS1_3genE2ELNS1_11target_archE906ELNS1_3gpuE6ELNS1_3repE0EEENS1_30default_config_static_selectorELNS0_4arch9wavefront6targetE1EEEvS12_.num_agpr, 0
	.set _ZN7rocprim17ROCPRIM_400000_NS6detail17trampoline_kernelINS0_13select_configILj256ELj13ELNS0_17block_load_methodE3ELS4_3ELS4_3ELNS0_20block_scan_algorithmE0ELj4294967295EEENS1_25partition_config_selectorILNS1_17partition_subalgoE4EjNS0_10empty_typeEbEEZZNS1_14partition_implILS8_4ELb0ES6_15HIP_vector_typeIjLj2EENS0_17counting_iteratorIjlEEPS9_SG_NS0_5tupleIJPjSI_NS0_16reverse_iteratorISI_EEEEENSH_IJSG_SG_SG_EEES9_SI_JZNS1_25segmented_radix_sort_implINS0_14default_configELb1EPKsPsPKlPlN2at6native12_GLOBAL__N_18offset_tEEE10hipError_tPvRmT1_PNSt15iterator_traitsIS12_E10value_typeET2_T3_PNS13_IS18_E10value_typeET4_jRbjT5_S1E_jjP12ihipStream_tbEUljE_ZNSN_ISO_Lb1ESQ_SR_ST_SU_SY_EESZ_S10_S11_S12_S16_S17_S18_S1B_S1C_jS1D_jS1E_S1E_jjS1G_bEUljE0_EEESZ_S10_S11_S18_S1C_S1E_T6_T7_T9_mT8_S1G_bDpT10_ENKUlT_T0_E_clISt17integral_constantIbLb1EES1T_IbLb0EEEEDaS1P_S1Q_EUlS1P_E_NS1_11comp_targetILNS1_3genE2ELNS1_11target_archE906ELNS1_3gpuE6ELNS1_3repE0EEENS1_30default_config_static_selectorELNS0_4arch9wavefront6targetE1EEEvS12_.numbered_sgpr, 0
	.set _ZN7rocprim17ROCPRIM_400000_NS6detail17trampoline_kernelINS0_13select_configILj256ELj13ELNS0_17block_load_methodE3ELS4_3ELS4_3ELNS0_20block_scan_algorithmE0ELj4294967295EEENS1_25partition_config_selectorILNS1_17partition_subalgoE4EjNS0_10empty_typeEbEEZZNS1_14partition_implILS8_4ELb0ES6_15HIP_vector_typeIjLj2EENS0_17counting_iteratorIjlEEPS9_SG_NS0_5tupleIJPjSI_NS0_16reverse_iteratorISI_EEEEENSH_IJSG_SG_SG_EEES9_SI_JZNS1_25segmented_radix_sort_implINS0_14default_configELb1EPKsPsPKlPlN2at6native12_GLOBAL__N_18offset_tEEE10hipError_tPvRmT1_PNSt15iterator_traitsIS12_E10value_typeET2_T3_PNS13_IS18_E10value_typeET4_jRbjT5_S1E_jjP12ihipStream_tbEUljE_ZNSN_ISO_Lb1ESQ_SR_ST_SU_SY_EESZ_S10_S11_S12_S16_S17_S18_S1B_S1C_jS1D_jS1E_S1E_jjS1G_bEUljE0_EEESZ_S10_S11_S18_S1C_S1E_T6_T7_T9_mT8_S1G_bDpT10_ENKUlT_T0_E_clISt17integral_constantIbLb1EES1T_IbLb0EEEEDaS1P_S1Q_EUlS1P_E_NS1_11comp_targetILNS1_3genE2ELNS1_11target_archE906ELNS1_3gpuE6ELNS1_3repE0EEENS1_30default_config_static_selectorELNS0_4arch9wavefront6targetE1EEEvS12_.num_named_barrier, 0
	.set _ZN7rocprim17ROCPRIM_400000_NS6detail17trampoline_kernelINS0_13select_configILj256ELj13ELNS0_17block_load_methodE3ELS4_3ELS4_3ELNS0_20block_scan_algorithmE0ELj4294967295EEENS1_25partition_config_selectorILNS1_17partition_subalgoE4EjNS0_10empty_typeEbEEZZNS1_14partition_implILS8_4ELb0ES6_15HIP_vector_typeIjLj2EENS0_17counting_iteratorIjlEEPS9_SG_NS0_5tupleIJPjSI_NS0_16reverse_iteratorISI_EEEEENSH_IJSG_SG_SG_EEES9_SI_JZNS1_25segmented_radix_sort_implINS0_14default_configELb1EPKsPsPKlPlN2at6native12_GLOBAL__N_18offset_tEEE10hipError_tPvRmT1_PNSt15iterator_traitsIS12_E10value_typeET2_T3_PNS13_IS18_E10value_typeET4_jRbjT5_S1E_jjP12ihipStream_tbEUljE_ZNSN_ISO_Lb1ESQ_SR_ST_SU_SY_EESZ_S10_S11_S12_S16_S17_S18_S1B_S1C_jS1D_jS1E_S1E_jjS1G_bEUljE0_EEESZ_S10_S11_S18_S1C_S1E_T6_T7_T9_mT8_S1G_bDpT10_ENKUlT_T0_E_clISt17integral_constantIbLb1EES1T_IbLb0EEEEDaS1P_S1Q_EUlS1P_E_NS1_11comp_targetILNS1_3genE2ELNS1_11target_archE906ELNS1_3gpuE6ELNS1_3repE0EEENS1_30default_config_static_selectorELNS0_4arch9wavefront6targetE1EEEvS12_.private_seg_size, 0
	.set _ZN7rocprim17ROCPRIM_400000_NS6detail17trampoline_kernelINS0_13select_configILj256ELj13ELNS0_17block_load_methodE3ELS4_3ELS4_3ELNS0_20block_scan_algorithmE0ELj4294967295EEENS1_25partition_config_selectorILNS1_17partition_subalgoE4EjNS0_10empty_typeEbEEZZNS1_14partition_implILS8_4ELb0ES6_15HIP_vector_typeIjLj2EENS0_17counting_iteratorIjlEEPS9_SG_NS0_5tupleIJPjSI_NS0_16reverse_iteratorISI_EEEEENSH_IJSG_SG_SG_EEES9_SI_JZNS1_25segmented_radix_sort_implINS0_14default_configELb1EPKsPsPKlPlN2at6native12_GLOBAL__N_18offset_tEEE10hipError_tPvRmT1_PNSt15iterator_traitsIS12_E10value_typeET2_T3_PNS13_IS18_E10value_typeET4_jRbjT5_S1E_jjP12ihipStream_tbEUljE_ZNSN_ISO_Lb1ESQ_SR_ST_SU_SY_EESZ_S10_S11_S12_S16_S17_S18_S1B_S1C_jS1D_jS1E_S1E_jjS1G_bEUljE0_EEESZ_S10_S11_S18_S1C_S1E_T6_T7_T9_mT8_S1G_bDpT10_ENKUlT_T0_E_clISt17integral_constantIbLb1EES1T_IbLb0EEEEDaS1P_S1Q_EUlS1P_E_NS1_11comp_targetILNS1_3genE2ELNS1_11target_archE906ELNS1_3gpuE6ELNS1_3repE0EEENS1_30default_config_static_selectorELNS0_4arch9wavefront6targetE1EEEvS12_.uses_vcc, 0
	.set _ZN7rocprim17ROCPRIM_400000_NS6detail17trampoline_kernelINS0_13select_configILj256ELj13ELNS0_17block_load_methodE3ELS4_3ELS4_3ELNS0_20block_scan_algorithmE0ELj4294967295EEENS1_25partition_config_selectorILNS1_17partition_subalgoE4EjNS0_10empty_typeEbEEZZNS1_14partition_implILS8_4ELb0ES6_15HIP_vector_typeIjLj2EENS0_17counting_iteratorIjlEEPS9_SG_NS0_5tupleIJPjSI_NS0_16reverse_iteratorISI_EEEEENSH_IJSG_SG_SG_EEES9_SI_JZNS1_25segmented_radix_sort_implINS0_14default_configELb1EPKsPsPKlPlN2at6native12_GLOBAL__N_18offset_tEEE10hipError_tPvRmT1_PNSt15iterator_traitsIS12_E10value_typeET2_T3_PNS13_IS18_E10value_typeET4_jRbjT5_S1E_jjP12ihipStream_tbEUljE_ZNSN_ISO_Lb1ESQ_SR_ST_SU_SY_EESZ_S10_S11_S12_S16_S17_S18_S1B_S1C_jS1D_jS1E_S1E_jjS1G_bEUljE0_EEESZ_S10_S11_S18_S1C_S1E_T6_T7_T9_mT8_S1G_bDpT10_ENKUlT_T0_E_clISt17integral_constantIbLb1EES1T_IbLb0EEEEDaS1P_S1Q_EUlS1P_E_NS1_11comp_targetILNS1_3genE2ELNS1_11target_archE906ELNS1_3gpuE6ELNS1_3repE0EEENS1_30default_config_static_selectorELNS0_4arch9wavefront6targetE1EEEvS12_.uses_flat_scratch, 0
	.set _ZN7rocprim17ROCPRIM_400000_NS6detail17trampoline_kernelINS0_13select_configILj256ELj13ELNS0_17block_load_methodE3ELS4_3ELS4_3ELNS0_20block_scan_algorithmE0ELj4294967295EEENS1_25partition_config_selectorILNS1_17partition_subalgoE4EjNS0_10empty_typeEbEEZZNS1_14partition_implILS8_4ELb0ES6_15HIP_vector_typeIjLj2EENS0_17counting_iteratorIjlEEPS9_SG_NS0_5tupleIJPjSI_NS0_16reverse_iteratorISI_EEEEENSH_IJSG_SG_SG_EEES9_SI_JZNS1_25segmented_radix_sort_implINS0_14default_configELb1EPKsPsPKlPlN2at6native12_GLOBAL__N_18offset_tEEE10hipError_tPvRmT1_PNSt15iterator_traitsIS12_E10value_typeET2_T3_PNS13_IS18_E10value_typeET4_jRbjT5_S1E_jjP12ihipStream_tbEUljE_ZNSN_ISO_Lb1ESQ_SR_ST_SU_SY_EESZ_S10_S11_S12_S16_S17_S18_S1B_S1C_jS1D_jS1E_S1E_jjS1G_bEUljE0_EEESZ_S10_S11_S18_S1C_S1E_T6_T7_T9_mT8_S1G_bDpT10_ENKUlT_T0_E_clISt17integral_constantIbLb1EES1T_IbLb0EEEEDaS1P_S1Q_EUlS1P_E_NS1_11comp_targetILNS1_3genE2ELNS1_11target_archE906ELNS1_3gpuE6ELNS1_3repE0EEENS1_30default_config_static_selectorELNS0_4arch9wavefront6targetE1EEEvS12_.has_dyn_sized_stack, 0
	.set _ZN7rocprim17ROCPRIM_400000_NS6detail17trampoline_kernelINS0_13select_configILj256ELj13ELNS0_17block_load_methodE3ELS4_3ELS4_3ELNS0_20block_scan_algorithmE0ELj4294967295EEENS1_25partition_config_selectorILNS1_17partition_subalgoE4EjNS0_10empty_typeEbEEZZNS1_14partition_implILS8_4ELb0ES6_15HIP_vector_typeIjLj2EENS0_17counting_iteratorIjlEEPS9_SG_NS0_5tupleIJPjSI_NS0_16reverse_iteratorISI_EEEEENSH_IJSG_SG_SG_EEES9_SI_JZNS1_25segmented_radix_sort_implINS0_14default_configELb1EPKsPsPKlPlN2at6native12_GLOBAL__N_18offset_tEEE10hipError_tPvRmT1_PNSt15iterator_traitsIS12_E10value_typeET2_T3_PNS13_IS18_E10value_typeET4_jRbjT5_S1E_jjP12ihipStream_tbEUljE_ZNSN_ISO_Lb1ESQ_SR_ST_SU_SY_EESZ_S10_S11_S12_S16_S17_S18_S1B_S1C_jS1D_jS1E_S1E_jjS1G_bEUljE0_EEESZ_S10_S11_S18_S1C_S1E_T6_T7_T9_mT8_S1G_bDpT10_ENKUlT_T0_E_clISt17integral_constantIbLb1EES1T_IbLb0EEEEDaS1P_S1Q_EUlS1P_E_NS1_11comp_targetILNS1_3genE2ELNS1_11target_archE906ELNS1_3gpuE6ELNS1_3repE0EEENS1_30default_config_static_selectorELNS0_4arch9wavefront6targetE1EEEvS12_.has_recursion, 0
	.set _ZN7rocprim17ROCPRIM_400000_NS6detail17trampoline_kernelINS0_13select_configILj256ELj13ELNS0_17block_load_methodE3ELS4_3ELS4_3ELNS0_20block_scan_algorithmE0ELj4294967295EEENS1_25partition_config_selectorILNS1_17partition_subalgoE4EjNS0_10empty_typeEbEEZZNS1_14partition_implILS8_4ELb0ES6_15HIP_vector_typeIjLj2EENS0_17counting_iteratorIjlEEPS9_SG_NS0_5tupleIJPjSI_NS0_16reverse_iteratorISI_EEEEENSH_IJSG_SG_SG_EEES9_SI_JZNS1_25segmented_radix_sort_implINS0_14default_configELb1EPKsPsPKlPlN2at6native12_GLOBAL__N_18offset_tEEE10hipError_tPvRmT1_PNSt15iterator_traitsIS12_E10value_typeET2_T3_PNS13_IS18_E10value_typeET4_jRbjT5_S1E_jjP12ihipStream_tbEUljE_ZNSN_ISO_Lb1ESQ_SR_ST_SU_SY_EESZ_S10_S11_S12_S16_S17_S18_S1B_S1C_jS1D_jS1E_S1E_jjS1G_bEUljE0_EEESZ_S10_S11_S18_S1C_S1E_T6_T7_T9_mT8_S1G_bDpT10_ENKUlT_T0_E_clISt17integral_constantIbLb1EES1T_IbLb0EEEEDaS1P_S1Q_EUlS1P_E_NS1_11comp_targetILNS1_3genE2ELNS1_11target_archE906ELNS1_3gpuE6ELNS1_3repE0EEENS1_30default_config_static_selectorELNS0_4arch9wavefront6targetE1EEEvS12_.has_indirect_call, 0
	.section	.AMDGPU.csdata,"",@progbits
; Kernel info:
; codeLenInByte = 4
; TotalNumSgprs: 4
; NumVgprs: 0
; ScratchSize: 0
; MemoryBound: 0
; FloatMode: 240
; IeeeMode: 1
; LDSByteSize: 0 bytes/workgroup (compile time only)
; SGPRBlocks: 0
; VGPRBlocks: 0
; NumSGPRsForWavesPerEU: 4
; NumVGPRsForWavesPerEU: 1
; Occupancy: 10
; WaveLimiterHint : 0
; COMPUTE_PGM_RSRC2:SCRATCH_EN: 0
; COMPUTE_PGM_RSRC2:USER_SGPR: 6
; COMPUTE_PGM_RSRC2:TRAP_HANDLER: 0
; COMPUTE_PGM_RSRC2:TGID_X_EN: 1
; COMPUTE_PGM_RSRC2:TGID_Y_EN: 0
; COMPUTE_PGM_RSRC2:TGID_Z_EN: 0
; COMPUTE_PGM_RSRC2:TIDIG_COMP_CNT: 0
	.section	.text._ZN7rocprim17ROCPRIM_400000_NS6detail17trampoline_kernelINS0_13select_configILj256ELj13ELNS0_17block_load_methodE3ELS4_3ELS4_3ELNS0_20block_scan_algorithmE0ELj4294967295EEENS1_25partition_config_selectorILNS1_17partition_subalgoE4EjNS0_10empty_typeEbEEZZNS1_14partition_implILS8_4ELb0ES6_15HIP_vector_typeIjLj2EENS0_17counting_iteratorIjlEEPS9_SG_NS0_5tupleIJPjSI_NS0_16reverse_iteratorISI_EEEEENSH_IJSG_SG_SG_EEES9_SI_JZNS1_25segmented_radix_sort_implINS0_14default_configELb1EPKsPsPKlPlN2at6native12_GLOBAL__N_18offset_tEEE10hipError_tPvRmT1_PNSt15iterator_traitsIS12_E10value_typeET2_T3_PNS13_IS18_E10value_typeET4_jRbjT5_S1E_jjP12ihipStream_tbEUljE_ZNSN_ISO_Lb1ESQ_SR_ST_SU_SY_EESZ_S10_S11_S12_S16_S17_S18_S1B_S1C_jS1D_jS1E_S1E_jjS1G_bEUljE0_EEESZ_S10_S11_S18_S1C_S1E_T6_T7_T9_mT8_S1G_bDpT10_ENKUlT_T0_E_clISt17integral_constantIbLb1EES1T_IbLb0EEEEDaS1P_S1Q_EUlS1P_E_NS1_11comp_targetILNS1_3genE10ELNS1_11target_archE1200ELNS1_3gpuE4ELNS1_3repE0EEENS1_30default_config_static_selectorELNS0_4arch9wavefront6targetE1EEEvS12_,"axG",@progbits,_ZN7rocprim17ROCPRIM_400000_NS6detail17trampoline_kernelINS0_13select_configILj256ELj13ELNS0_17block_load_methodE3ELS4_3ELS4_3ELNS0_20block_scan_algorithmE0ELj4294967295EEENS1_25partition_config_selectorILNS1_17partition_subalgoE4EjNS0_10empty_typeEbEEZZNS1_14partition_implILS8_4ELb0ES6_15HIP_vector_typeIjLj2EENS0_17counting_iteratorIjlEEPS9_SG_NS0_5tupleIJPjSI_NS0_16reverse_iteratorISI_EEEEENSH_IJSG_SG_SG_EEES9_SI_JZNS1_25segmented_radix_sort_implINS0_14default_configELb1EPKsPsPKlPlN2at6native12_GLOBAL__N_18offset_tEEE10hipError_tPvRmT1_PNSt15iterator_traitsIS12_E10value_typeET2_T3_PNS13_IS18_E10value_typeET4_jRbjT5_S1E_jjP12ihipStream_tbEUljE_ZNSN_ISO_Lb1ESQ_SR_ST_SU_SY_EESZ_S10_S11_S12_S16_S17_S18_S1B_S1C_jS1D_jS1E_S1E_jjS1G_bEUljE0_EEESZ_S10_S11_S18_S1C_S1E_T6_T7_T9_mT8_S1G_bDpT10_ENKUlT_T0_E_clISt17integral_constantIbLb1EES1T_IbLb0EEEEDaS1P_S1Q_EUlS1P_E_NS1_11comp_targetILNS1_3genE10ELNS1_11target_archE1200ELNS1_3gpuE4ELNS1_3repE0EEENS1_30default_config_static_selectorELNS0_4arch9wavefront6targetE1EEEvS12_,comdat
	.globl	_ZN7rocprim17ROCPRIM_400000_NS6detail17trampoline_kernelINS0_13select_configILj256ELj13ELNS0_17block_load_methodE3ELS4_3ELS4_3ELNS0_20block_scan_algorithmE0ELj4294967295EEENS1_25partition_config_selectorILNS1_17partition_subalgoE4EjNS0_10empty_typeEbEEZZNS1_14partition_implILS8_4ELb0ES6_15HIP_vector_typeIjLj2EENS0_17counting_iteratorIjlEEPS9_SG_NS0_5tupleIJPjSI_NS0_16reverse_iteratorISI_EEEEENSH_IJSG_SG_SG_EEES9_SI_JZNS1_25segmented_radix_sort_implINS0_14default_configELb1EPKsPsPKlPlN2at6native12_GLOBAL__N_18offset_tEEE10hipError_tPvRmT1_PNSt15iterator_traitsIS12_E10value_typeET2_T3_PNS13_IS18_E10value_typeET4_jRbjT5_S1E_jjP12ihipStream_tbEUljE_ZNSN_ISO_Lb1ESQ_SR_ST_SU_SY_EESZ_S10_S11_S12_S16_S17_S18_S1B_S1C_jS1D_jS1E_S1E_jjS1G_bEUljE0_EEESZ_S10_S11_S18_S1C_S1E_T6_T7_T9_mT8_S1G_bDpT10_ENKUlT_T0_E_clISt17integral_constantIbLb1EES1T_IbLb0EEEEDaS1P_S1Q_EUlS1P_E_NS1_11comp_targetILNS1_3genE10ELNS1_11target_archE1200ELNS1_3gpuE4ELNS1_3repE0EEENS1_30default_config_static_selectorELNS0_4arch9wavefront6targetE1EEEvS12_ ; -- Begin function _ZN7rocprim17ROCPRIM_400000_NS6detail17trampoline_kernelINS0_13select_configILj256ELj13ELNS0_17block_load_methodE3ELS4_3ELS4_3ELNS0_20block_scan_algorithmE0ELj4294967295EEENS1_25partition_config_selectorILNS1_17partition_subalgoE4EjNS0_10empty_typeEbEEZZNS1_14partition_implILS8_4ELb0ES6_15HIP_vector_typeIjLj2EENS0_17counting_iteratorIjlEEPS9_SG_NS0_5tupleIJPjSI_NS0_16reverse_iteratorISI_EEEEENSH_IJSG_SG_SG_EEES9_SI_JZNS1_25segmented_radix_sort_implINS0_14default_configELb1EPKsPsPKlPlN2at6native12_GLOBAL__N_18offset_tEEE10hipError_tPvRmT1_PNSt15iterator_traitsIS12_E10value_typeET2_T3_PNS13_IS18_E10value_typeET4_jRbjT5_S1E_jjP12ihipStream_tbEUljE_ZNSN_ISO_Lb1ESQ_SR_ST_SU_SY_EESZ_S10_S11_S12_S16_S17_S18_S1B_S1C_jS1D_jS1E_S1E_jjS1G_bEUljE0_EEESZ_S10_S11_S18_S1C_S1E_T6_T7_T9_mT8_S1G_bDpT10_ENKUlT_T0_E_clISt17integral_constantIbLb1EES1T_IbLb0EEEEDaS1P_S1Q_EUlS1P_E_NS1_11comp_targetILNS1_3genE10ELNS1_11target_archE1200ELNS1_3gpuE4ELNS1_3repE0EEENS1_30default_config_static_selectorELNS0_4arch9wavefront6targetE1EEEvS12_
	.p2align	8
	.type	_ZN7rocprim17ROCPRIM_400000_NS6detail17trampoline_kernelINS0_13select_configILj256ELj13ELNS0_17block_load_methodE3ELS4_3ELS4_3ELNS0_20block_scan_algorithmE0ELj4294967295EEENS1_25partition_config_selectorILNS1_17partition_subalgoE4EjNS0_10empty_typeEbEEZZNS1_14partition_implILS8_4ELb0ES6_15HIP_vector_typeIjLj2EENS0_17counting_iteratorIjlEEPS9_SG_NS0_5tupleIJPjSI_NS0_16reverse_iteratorISI_EEEEENSH_IJSG_SG_SG_EEES9_SI_JZNS1_25segmented_radix_sort_implINS0_14default_configELb1EPKsPsPKlPlN2at6native12_GLOBAL__N_18offset_tEEE10hipError_tPvRmT1_PNSt15iterator_traitsIS12_E10value_typeET2_T3_PNS13_IS18_E10value_typeET4_jRbjT5_S1E_jjP12ihipStream_tbEUljE_ZNSN_ISO_Lb1ESQ_SR_ST_SU_SY_EESZ_S10_S11_S12_S16_S17_S18_S1B_S1C_jS1D_jS1E_S1E_jjS1G_bEUljE0_EEESZ_S10_S11_S18_S1C_S1E_T6_T7_T9_mT8_S1G_bDpT10_ENKUlT_T0_E_clISt17integral_constantIbLb1EES1T_IbLb0EEEEDaS1P_S1Q_EUlS1P_E_NS1_11comp_targetILNS1_3genE10ELNS1_11target_archE1200ELNS1_3gpuE4ELNS1_3repE0EEENS1_30default_config_static_selectorELNS0_4arch9wavefront6targetE1EEEvS12_,@function
_ZN7rocprim17ROCPRIM_400000_NS6detail17trampoline_kernelINS0_13select_configILj256ELj13ELNS0_17block_load_methodE3ELS4_3ELS4_3ELNS0_20block_scan_algorithmE0ELj4294967295EEENS1_25partition_config_selectorILNS1_17partition_subalgoE4EjNS0_10empty_typeEbEEZZNS1_14partition_implILS8_4ELb0ES6_15HIP_vector_typeIjLj2EENS0_17counting_iteratorIjlEEPS9_SG_NS0_5tupleIJPjSI_NS0_16reverse_iteratorISI_EEEEENSH_IJSG_SG_SG_EEES9_SI_JZNS1_25segmented_radix_sort_implINS0_14default_configELb1EPKsPsPKlPlN2at6native12_GLOBAL__N_18offset_tEEE10hipError_tPvRmT1_PNSt15iterator_traitsIS12_E10value_typeET2_T3_PNS13_IS18_E10value_typeET4_jRbjT5_S1E_jjP12ihipStream_tbEUljE_ZNSN_ISO_Lb1ESQ_SR_ST_SU_SY_EESZ_S10_S11_S12_S16_S17_S18_S1B_S1C_jS1D_jS1E_S1E_jjS1G_bEUljE0_EEESZ_S10_S11_S18_S1C_S1E_T6_T7_T9_mT8_S1G_bDpT10_ENKUlT_T0_E_clISt17integral_constantIbLb1EES1T_IbLb0EEEEDaS1P_S1Q_EUlS1P_E_NS1_11comp_targetILNS1_3genE10ELNS1_11target_archE1200ELNS1_3gpuE4ELNS1_3repE0EEENS1_30default_config_static_selectorELNS0_4arch9wavefront6targetE1EEEvS12_: ; @_ZN7rocprim17ROCPRIM_400000_NS6detail17trampoline_kernelINS0_13select_configILj256ELj13ELNS0_17block_load_methodE3ELS4_3ELS4_3ELNS0_20block_scan_algorithmE0ELj4294967295EEENS1_25partition_config_selectorILNS1_17partition_subalgoE4EjNS0_10empty_typeEbEEZZNS1_14partition_implILS8_4ELb0ES6_15HIP_vector_typeIjLj2EENS0_17counting_iteratorIjlEEPS9_SG_NS0_5tupleIJPjSI_NS0_16reverse_iteratorISI_EEEEENSH_IJSG_SG_SG_EEES9_SI_JZNS1_25segmented_radix_sort_implINS0_14default_configELb1EPKsPsPKlPlN2at6native12_GLOBAL__N_18offset_tEEE10hipError_tPvRmT1_PNSt15iterator_traitsIS12_E10value_typeET2_T3_PNS13_IS18_E10value_typeET4_jRbjT5_S1E_jjP12ihipStream_tbEUljE_ZNSN_ISO_Lb1ESQ_SR_ST_SU_SY_EESZ_S10_S11_S12_S16_S17_S18_S1B_S1C_jS1D_jS1E_S1E_jjS1G_bEUljE0_EEESZ_S10_S11_S18_S1C_S1E_T6_T7_T9_mT8_S1G_bDpT10_ENKUlT_T0_E_clISt17integral_constantIbLb1EES1T_IbLb0EEEEDaS1P_S1Q_EUlS1P_E_NS1_11comp_targetILNS1_3genE10ELNS1_11target_archE1200ELNS1_3gpuE4ELNS1_3repE0EEENS1_30default_config_static_selectorELNS0_4arch9wavefront6targetE1EEEvS12_
; %bb.0:
	.section	.rodata,"a",@progbits
	.p2align	6, 0x0
	.amdhsa_kernel _ZN7rocprim17ROCPRIM_400000_NS6detail17trampoline_kernelINS0_13select_configILj256ELj13ELNS0_17block_load_methodE3ELS4_3ELS4_3ELNS0_20block_scan_algorithmE0ELj4294967295EEENS1_25partition_config_selectorILNS1_17partition_subalgoE4EjNS0_10empty_typeEbEEZZNS1_14partition_implILS8_4ELb0ES6_15HIP_vector_typeIjLj2EENS0_17counting_iteratorIjlEEPS9_SG_NS0_5tupleIJPjSI_NS0_16reverse_iteratorISI_EEEEENSH_IJSG_SG_SG_EEES9_SI_JZNS1_25segmented_radix_sort_implINS0_14default_configELb1EPKsPsPKlPlN2at6native12_GLOBAL__N_18offset_tEEE10hipError_tPvRmT1_PNSt15iterator_traitsIS12_E10value_typeET2_T3_PNS13_IS18_E10value_typeET4_jRbjT5_S1E_jjP12ihipStream_tbEUljE_ZNSN_ISO_Lb1ESQ_SR_ST_SU_SY_EESZ_S10_S11_S12_S16_S17_S18_S1B_S1C_jS1D_jS1E_S1E_jjS1G_bEUljE0_EEESZ_S10_S11_S18_S1C_S1E_T6_T7_T9_mT8_S1G_bDpT10_ENKUlT_T0_E_clISt17integral_constantIbLb1EES1T_IbLb0EEEEDaS1P_S1Q_EUlS1P_E_NS1_11comp_targetILNS1_3genE10ELNS1_11target_archE1200ELNS1_3gpuE4ELNS1_3repE0EEENS1_30default_config_static_selectorELNS0_4arch9wavefront6targetE1EEEvS12_
		.amdhsa_group_segment_fixed_size 0
		.amdhsa_private_segment_fixed_size 0
		.amdhsa_kernarg_size 176
		.amdhsa_user_sgpr_count 6
		.amdhsa_user_sgpr_private_segment_buffer 1
		.amdhsa_user_sgpr_dispatch_ptr 0
		.amdhsa_user_sgpr_queue_ptr 0
		.amdhsa_user_sgpr_kernarg_segment_ptr 1
		.amdhsa_user_sgpr_dispatch_id 0
		.amdhsa_user_sgpr_flat_scratch_init 0
		.amdhsa_user_sgpr_private_segment_size 0
		.amdhsa_uses_dynamic_stack 0
		.amdhsa_system_sgpr_private_segment_wavefront_offset 0
		.amdhsa_system_sgpr_workgroup_id_x 1
		.amdhsa_system_sgpr_workgroup_id_y 0
		.amdhsa_system_sgpr_workgroup_id_z 0
		.amdhsa_system_sgpr_workgroup_info 0
		.amdhsa_system_vgpr_workitem_id 0
		.amdhsa_next_free_vgpr 1
		.amdhsa_next_free_sgpr 0
		.amdhsa_reserve_vcc 0
		.amdhsa_reserve_flat_scratch 0
		.amdhsa_float_round_mode_32 0
		.amdhsa_float_round_mode_16_64 0
		.amdhsa_float_denorm_mode_32 3
		.amdhsa_float_denorm_mode_16_64 3
		.amdhsa_dx10_clamp 1
		.amdhsa_ieee_mode 1
		.amdhsa_fp16_overflow 0
		.amdhsa_exception_fp_ieee_invalid_op 0
		.amdhsa_exception_fp_denorm_src 0
		.amdhsa_exception_fp_ieee_div_zero 0
		.amdhsa_exception_fp_ieee_overflow 0
		.amdhsa_exception_fp_ieee_underflow 0
		.amdhsa_exception_fp_ieee_inexact 0
		.amdhsa_exception_int_div_zero 0
	.end_amdhsa_kernel
	.section	.text._ZN7rocprim17ROCPRIM_400000_NS6detail17trampoline_kernelINS0_13select_configILj256ELj13ELNS0_17block_load_methodE3ELS4_3ELS4_3ELNS0_20block_scan_algorithmE0ELj4294967295EEENS1_25partition_config_selectorILNS1_17partition_subalgoE4EjNS0_10empty_typeEbEEZZNS1_14partition_implILS8_4ELb0ES6_15HIP_vector_typeIjLj2EENS0_17counting_iteratorIjlEEPS9_SG_NS0_5tupleIJPjSI_NS0_16reverse_iteratorISI_EEEEENSH_IJSG_SG_SG_EEES9_SI_JZNS1_25segmented_radix_sort_implINS0_14default_configELb1EPKsPsPKlPlN2at6native12_GLOBAL__N_18offset_tEEE10hipError_tPvRmT1_PNSt15iterator_traitsIS12_E10value_typeET2_T3_PNS13_IS18_E10value_typeET4_jRbjT5_S1E_jjP12ihipStream_tbEUljE_ZNSN_ISO_Lb1ESQ_SR_ST_SU_SY_EESZ_S10_S11_S12_S16_S17_S18_S1B_S1C_jS1D_jS1E_S1E_jjS1G_bEUljE0_EEESZ_S10_S11_S18_S1C_S1E_T6_T7_T9_mT8_S1G_bDpT10_ENKUlT_T0_E_clISt17integral_constantIbLb1EES1T_IbLb0EEEEDaS1P_S1Q_EUlS1P_E_NS1_11comp_targetILNS1_3genE10ELNS1_11target_archE1200ELNS1_3gpuE4ELNS1_3repE0EEENS1_30default_config_static_selectorELNS0_4arch9wavefront6targetE1EEEvS12_,"axG",@progbits,_ZN7rocprim17ROCPRIM_400000_NS6detail17trampoline_kernelINS0_13select_configILj256ELj13ELNS0_17block_load_methodE3ELS4_3ELS4_3ELNS0_20block_scan_algorithmE0ELj4294967295EEENS1_25partition_config_selectorILNS1_17partition_subalgoE4EjNS0_10empty_typeEbEEZZNS1_14partition_implILS8_4ELb0ES6_15HIP_vector_typeIjLj2EENS0_17counting_iteratorIjlEEPS9_SG_NS0_5tupleIJPjSI_NS0_16reverse_iteratorISI_EEEEENSH_IJSG_SG_SG_EEES9_SI_JZNS1_25segmented_radix_sort_implINS0_14default_configELb1EPKsPsPKlPlN2at6native12_GLOBAL__N_18offset_tEEE10hipError_tPvRmT1_PNSt15iterator_traitsIS12_E10value_typeET2_T3_PNS13_IS18_E10value_typeET4_jRbjT5_S1E_jjP12ihipStream_tbEUljE_ZNSN_ISO_Lb1ESQ_SR_ST_SU_SY_EESZ_S10_S11_S12_S16_S17_S18_S1B_S1C_jS1D_jS1E_S1E_jjS1G_bEUljE0_EEESZ_S10_S11_S18_S1C_S1E_T6_T7_T9_mT8_S1G_bDpT10_ENKUlT_T0_E_clISt17integral_constantIbLb1EES1T_IbLb0EEEEDaS1P_S1Q_EUlS1P_E_NS1_11comp_targetILNS1_3genE10ELNS1_11target_archE1200ELNS1_3gpuE4ELNS1_3repE0EEENS1_30default_config_static_selectorELNS0_4arch9wavefront6targetE1EEEvS12_,comdat
.Lfunc_end868:
	.size	_ZN7rocprim17ROCPRIM_400000_NS6detail17trampoline_kernelINS0_13select_configILj256ELj13ELNS0_17block_load_methodE3ELS4_3ELS4_3ELNS0_20block_scan_algorithmE0ELj4294967295EEENS1_25partition_config_selectorILNS1_17partition_subalgoE4EjNS0_10empty_typeEbEEZZNS1_14partition_implILS8_4ELb0ES6_15HIP_vector_typeIjLj2EENS0_17counting_iteratorIjlEEPS9_SG_NS0_5tupleIJPjSI_NS0_16reverse_iteratorISI_EEEEENSH_IJSG_SG_SG_EEES9_SI_JZNS1_25segmented_radix_sort_implINS0_14default_configELb1EPKsPsPKlPlN2at6native12_GLOBAL__N_18offset_tEEE10hipError_tPvRmT1_PNSt15iterator_traitsIS12_E10value_typeET2_T3_PNS13_IS18_E10value_typeET4_jRbjT5_S1E_jjP12ihipStream_tbEUljE_ZNSN_ISO_Lb1ESQ_SR_ST_SU_SY_EESZ_S10_S11_S12_S16_S17_S18_S1B_S1C_jS1D_jS1E_S1E_jjS1G_bEUljE0_EEESZ_S10_S11_S18_S1C_S1E_T6_T7_T9_mT8_S1G_bDpT10_ENKUlT_T0_E_clISt17integral_constantIbLb1EES1T_IbLb0EEEEDaS1P_S1Q_EUlS1P_E_NS1_11comp_targetILNS1_3genE10ELNS1_11target_archE1200ELNS1_3gpuE4ELNS1_3repE0EEENS1_30default_config_static_selectorELNS0_4arch9wavefront6targetE1EEEvS12_, .Lfunc_end868-_ZN7rocprim17ROCPRIM_400000_NS6detail17trampoline_kernelINS0_13select_configILj256ELj13ELNS0_17block_load_methodE3ELS4_3ELS4_3ELNS0_20block_scan_algorithmE0ELj4294967295EEENS1_25partition_config_selectorILNS1_17partition_subalgoE4EjNS0_10empty_typeEbEEZZNS1_14partition_implILS8_4ELb0ES6_15HIP_vector_typeIjLj2EENS0_17counting_iteratorIjlEEPS9_SG_NS0_5tupleIJPjSI_NS0_16reverse_iteratorISI_EEEEENSH_IJSG_SG_SG_EEES9_SI_JZNS1_25segmented_radix_sort_implINS0_14default_configELb1EPKsPsPKlPlN2at6native12_GLOBAL__N_18offset_tEEE10hipError_tPvRmT1_PNSt15iterator_traitsIS12_E10value_typeET2_T3_PNS13_IS18_E10value_typeET4_jRbjT5_S1E_jjP12ihipStream_tbEUljE_ZNSN_ISO_Lb1ESQ_SR_ST_SU_SY_EESZ_S10_S11_S12_S16_S17_S18_S1B_S1C_jS1D_jS1E_S1E_jjS1G_bEUljE0_EEESZ_S10_S11_S18_S1C_S1E_T6_T7_T9_mT8_S1G_bDpT10_ENKUlT_T0_E_clISt17integral_constantIbLb1EES1T_IbLb0EEEEDaS1P_S1Q_EUlS1P_E_NS1_11comp_targetILNS1_3genE10ELNS1_11target_archE1200ELNS1_3gpuE4ELNS1_3repE0EEENS1_30default_config_static_selectorELNS0_4arch9wavefront6targetE1EEEvS12_
                                        ; -- End function
	.set _ZN7rocprim17ROCPRIM_400000_NS6detail17trampoline_kernelINS0_13select_configILj256ELj13ELNS0_17block_load_methodE3ELS4_3ELS4_3ELNS0_20block_scan_algorithmE0ELj4294967295EEENS1_25partition_config_selectorILNS1_17partition_subalgoE4EjNS0_10empty_typeEbEEZZNS1_14partition_implILS8_4ELb0ES6_15HIP_vector_typeIjLj2EENS0_17counting_iteratorIjlEEPS9_SG_NS0_5tupleIJPjSI_NS0_16reverse_iteratorISI_EEEEENSH_IJSG_SG_SG_EEES9_SI_JZNS1_25segmented_radix_sort_implINS0_14default_configELb1EPKsPsPKlPlN2at6native12_GLOBAL__N_18offset_tEEE10hipError_tPvRmT1_PNSt15iterator_traitsIS12_E10value_typeET2_T3_PNS13_IS18_E10value_typeET4_jRbjT5_S1E_jjP12ihipStream_tbEUljE_ZNSN_ISO_Lb1ESQ_SR_ST_SU_SY_EESZ_S10_S11_S12_S16_S17_S18_S1B_S1C_jS1D_jS1E_S1E_jjS1G_bEUljE0_EEESZ_S10_S11_S18_S1C_S1E_T6_T7_T9_mT8_S1G_bDpT10_ENKUlT_T0_E_clISt17integral_constantIbLb1EES1T_IbLb0EEEEDaS1P_S1Q_EUlS1P_E_NS1_11comp_targetILNS1_3genE10ELNS1_11target_archE1200ELNS1_3gpuE4ELNS1_3repE0EEENS1_30default_config_static_selectorELNS0_4arch9wavefront6targetE1EEEvS12_.num_vgpr, 0
	.set _ZN7rocprim17ROCPRIM_400000_NS6detail17trampoline_kernelINS0_13select_configILj256ELj13ELNS0_17block_load_methodE3ELS4_3ELS4_3ELNS0_20block_scan_algorithmE0ELj4294967295EEENS1_25partition_config_selectorILNS1_17partition_subalgoE4EjNS0_10empty_typeEbEEZZNS1_14partition_implILS8_4ELb0ES6_15HIP_vector_typeIjLj2EENS0_17counting_iteratorIjlEEPS9_SG_NS0_5tupleIJPjSI_NS0_16reverse_iteratorISI_EEEEENSH_IJSG_SG_SG_EEES9_SI_JZNS1_25segmented_radix_sort_implINS0_14default_configELb1EPKsPsPKlPlN2at6native12_GLOBAL__N_18offset_tEEE10hipError_tPvRmT1_PNSt15iterator_traitsIS12_E10value_typeET2_T3_PNS13_IS18_E10value_typeET4_jRbjT5_S1E_jjP12ihipStream_tbEUljE_ZNSN_ISO_Lb1ESQ_SR_ST_SU_SY_EESZ_S10_S11_S12_S16_S17_S18_S1B_S1C_jS1D_jS1E_S1E_jjS1G_bEUljE0_EEESZ_S10_S11_S18_S1C_S1E_T6_T7_T9_mT8_S1G_bDpT10_ENKUlT_T0_E_clISt17integral_constantIbLb1EES1T_IbLb0EEEEDaS1P_S1Q_EUlS1P_E_NS1_11comp_targetILNS1_3genE10ELNS1_11target_archE1200ELNS1_3gpuE4ELNS1_3repE0EEENS1_30default_config_static_selectorELNS0_4arch9wavefront6targetE1EEEvS12_.num_agpr, 0
	.set _ZN7rocprim17ROCPRIM_400000_NS6detail17trampoline_kernelINS0_13select_configILj256ELj13ELNS0_17block_load_methodE3ELS4_3ELS4_3ELNS0_20block_scan_algorithmE0ELj4294967295EEENS1_25partition_config_selectorILNS1_17partition_subalgoE4EjNS0_10empty_typeEbEEZZNS1_14partition_implILS8_4ELb0ES6_15HIP_vector_typeIjLj2EENS0_17counting_iteratorIjlEEPS9_SG_NS0_5tupleIJPjSI_NS0_16reverse_iteratorISI_EEEEENSH_IJSG_SG_SG_EEES9_SI_JZNS1_25segmented_radix_sort_implINS0_14default_configELb1EPKsPsPKlPlN2at6native12_GLOBAL__N_18offset_tEEE10hipError_tPvRmT1_PNSt15iterator_traitsIS12_E10value_typeET2_T3_PNS13_IS18_E10value_typeET4_jRbjT5_S1E_jjP12ihipStream_tbEUljE_ZNSN_ISO_Lb1ESQ_SR_ST_SU_SY_EESZ_S10_S11_S12_S16_S17_S18_S1B_S1C_jS1D_jS1E_S1E_jjS1G_bEUljE0_EEESZ_S10_S11_S18_S1C_S1E_T6_T7_T9_mT8_S1G_bDpT10_ENKUlT_T0_E_clISt17integral_constantIbLb1EES1T_IbLb0EEEEDaS1P_S1Q_EUlS1P_E_NS1_11comp_targetILNS1_3genE10ELNS1_11target_archE1200ELNS1_3gpuE4ELNS1_3repE0EEENS1_30default_config_static_selectorELNS0_4arch9wavefront6targetE1EEEvS12_.numbered_sgpr, 0
	.set _ZN7rocprim17ROCPRIM_400000_NS6detail17trampoline_kernelINS0_13select_configILj256ELj13ELNS0_17block_load_methodE3ELS4_3ELS4_3ELNS0_20block_scan_algorithmE0ELj4294967295EEENS1_25partition_config_selectorILNS1_17partition_subalgoE4EjNS0_10empty_typeEbEEZZNS1_14partition_implILS8_4ELb0ES6_15HIP_vector_typeIjLj2EENS0_17counting_iteratorIjlEEPS9_SG_NS0_5tupleIJPjSI_NS0_16reverse_iteratorISI_EEEEENSH_IJSG_SG_SG_EEES9_SI_JZNS1_25segmented_radix_sort_implINS0_14default_configELb1EPKsPsPKlPlN2at6native12_GLOBAL__N_18offset_tEEE10hipError_tPvRmT1_PNSt15iterator_traitsIS12_E10value_typeET2_T3_PNS13_IS18_E10value_typeET4_jRbjT5_S1E_jjP12ihipStream_tbEUljE_ZNSN_ISO_Lb1ESQ_SR_ST_SU_SY_EESZ_S10_S11_S12_S16_S17_S18_S1B_S1C_jS1D_jS1E_S1E_jjS1G_bEUljE0_EEESZ_S10_S11_S18_S1C_S1E_T6_T7_T9_mT8_S1G_bDpT10_ENKUlT_T0_E_clISt17integral_constantIbLb1EES1T_IbLb0EEEEDaS1P_S1Q_EUlS1P_E_NS1_11comp_targetILNS1_3genE10ELNS1_11target_archE1200ELNS1_3gpuE4ELNS1_3repE0EEENS1_30default_config_static_selectorELNS0_4arch9wavefront6targetE1EEEvS12_.num_named_barrier, 0
	.set _ZN7rocprim17ROCPRIM_400000_NS6detail17trampoline_kernelINS0_13select_configILj256ELj13ELNS0_17block_load_methodE3ELS4_3ELS4_3ELNS0_20block_scan_algorithmE0ELj4294967295EEENS1_25partition_config_selectorILNS1_17partition_subalgoE4EjNS0_10empty_typeEbEEZZNS1_14partition_implILS8_4ELb0ES6_15HIP_vector_typeIjLj2EENS0_17counting_iteratorIjlEEPS9_SG_NS0_5tupleIJPjSI_NS0_16reverse_iteratorISI_EEEEENSH_IJSG_SG_SG_EEES9_SI_JZNS1_25segmented_radix_sort_implINS0_14default_configELb1EPKsPsPKlPlN2at6native12_GLOBAL__N_18offset_tEEE10hipError_tPvRmT1_PNSt15iterator_traitsIS12_E10value_typeET2_T3_PNS13_IS18_E10value_typeET4_jRbjT5_S1E_jjP12ihipStream_tbEUljE_ZNSN_ISO_Lb1ESQ_SR_ST_SU_SY_EESZ_S10_S11_S12_S16_S17_S18_S1B_S1C_jS1D_jS1E_S1E_jjS1G_bEUljE0_EEESZ_S10_S11_S18_S1C_S1E_T6_T7_T9_mT8_S1G_bDpT10_ENKUlT_T0_E_clISt17integral_constantIbLb1EES1T_IbLb0EEEEDaS1P_S1Q_EUlS1P_E_NS1_11comp_targetILNS1_3genE10ELNS1_11target_archE1200ELNS1_3gpuE4ELNS1_3repE0EEENS1_30default_config_static_selectorELNS0_4arch9wavefront6targetE1EEEvS12_.private_seg_size, 0
	.set _ZN7rocprim17ROCPRIM_400000_NS6detail17trampoline_kernelINS0_13select_configILj256ELj13ELNS0_17block_load_methodE3ELS4_3ELS4_3ELNS0_20block_scan_algorithmE0ELj4294967295EEENS1_25partition_config_selectorILNS1_17partition_subalgoE4EjNS0_10empty_typeEbEEZZNS1_14partition_implILS8_4ELb0ES6_15HIP_vector_typeIjLj2EENS0_17counting_iteratorIjlEEPS9_SG_NS0_5tupleIJPjSI_NS0_16reverse_iteratorISI_EEEEENSH_IJSG_SG_SG_EEES9_SI_JZNS1_25segmented_radix_sort_implINS0_14default_configELb1EPKsPsPKlPlN2at6native12_GLOBAL__N_18offset_tEEE10hipError_tPvRmT1_PNSt15iterator_traitsIS12_E10value_typeET2_T3_PNS13_IS18_E10value_typeET4_jRbjT5_S1E_jjP12ihipStream_tbEUljE_ZNSN_ISO_Lb1ESQ_SR_ST_SU_SY_EESZ_S10_S11_S12_S16_S17_S18_S1B_S1C_jS1D_jS1E_S1E_jjS1G_bEUljE0_EEESZ_S10_S11_S18_S1C_S1E_T6_T7_T9_mT8_S1G_bDpT10_ENKUlT_T0_E_clISt17integral_constantIbLb1EES1T_IbLb0EEEEDaS1P_S1Q_EUlS1P_E_NS1_11comp_targetILNS1_3genE10ELNS1_11target_archE1200ELNS1_3gpuE4ELNS1_3repE0EEENS1_30default_config_static_selectorELNS0_4arch9wavefront6targetE1EEEvS12_.uses_vcc, 0
	.set _ZN7rocprim17ROCPRIM_400000_NS6detail17trampoline_kernelINS0_13select_configILj256ELj13ELNS0_17block_load_methodE3ELS4_3ELS4_3ELNS0_20block_scan_algorithmE0ELj4294967295EEENS1_25partition_config_selectorILNS1_17partition_subalgoE4EjNS0_10empty_typeEbEEZZNS1_14partition_implILS8_4ELb0ES6_15HIP_vector_typeIjLj2EENS0_17counting_iteratorIjlEEPS9_SG_NS0_5tupleIJPjSI_NS0_16reverse_iteratorISI_EEEEENSH_IJSG_SG_SG_EEES9_SI_JZNS1_25segmented_radix_sort_implINS0_14default_configELb1EPKsPsPKlPlN2at6native12_GLOBAL__N_18offset_tEEE10hipError_tPvRmT1_PNSt15iterator_traitsIS12_E10value_typeET2_T3_PNS13_IS18_E10value_typeET4_jRbjT5_S1E_jjP12ihipStream_tbEUljE_ZNSN_ISO_Lb1ESQ_SR_ST_SU_SY_EESZ_S10_S11_S12_S16_S17_S18_S1B_S1C_jS1D_jS1E_S1E_jjS1G_bEUljE0_EEESZ_S10_S11_S18_S1C_S1E_T6_T7_T9_mT8_S1G_bDpT10_ENKUlT_T0_E_clISt17integral_constantIbLb1EES1T_IbLb0EEEEDaS1P_S1Q_EUlS1P_E_NS1_11comp_targetILNS1_3genE10ELNS1_11target_archE1200ELNS1_3gpuE4ELNS1_3repE0EEENS1_30default_config_static_selectorELNS0_4arch9wavefront6targetE1EEEvS12_.uses_flat_scratch, 0
	.set _ZN7rocprim17ROCPRIM_400000_NS6detail17trampoline_kernelINS0_13select_configILj256ELj13ELNS0_17block_load_methodE3ELS4_3ELS4_3ELNS0_20block_scan_algorithmE0ELj4294967295EEENS1_25partition_config_selectorILNS1_17partition_subalgoE4EjNS0_10empty_typeEbEEZZNS1_14partition_implILS8_4ELb0ES6_15HIP_vector_typeIjLj2EENS0_17counting_iteratorIjlEEPS9_SG_NS0_5tupleIJPjSI_NS0_16reverse_iteratorISI_EEEEENSH_IJSG_SG_SG_EEES9_SI_JZNS1_25segmented_radix_sort_implINS0_14default_configELb1EPKsPsPKlPlN2at6native12_GLOBAL__N_18offset_tEEE10hipError_tPvRmT1_PNSt15iterator_traitsIS12_E10value_typeET2_T3_PNS13_IS18_E10value_typeET4_jRbjT5_S1E_jjP12ihipStream_tbEUljE_ZNSN_ISO_Lb1ESQ_SR_ST_SU_SY_EESZ_S10_S11_S12_S16_S17_S18_S1B_S1C_jS1D_jS1E_S1E_jjS1G_bEUljE0_EEESZ_S10_S11_S18_S1C_S1E_T6_T7_T9_mT8_S1G_bDpT10_ENKUlT_T0_E_clISt17integral_constantIbLb1EES1T_IbLb0EEEEDaS1P_S1Q_EUlS1P_E_NS1_11comp_targetILNS1_3genE10ELNS1_11target_archE1200ELNS1_3gpuE4ELNS1_3repE0EEENS1_30default_config_static_selectorELNS0_4arch9wavefront6targetE1EEEvS12_.has_dyn_sized_stack, 0
	.set _ZN7rocprim17ROCPRIM_400000_NS6detail17trampoline_kernelINS0_13select_configILj256ELj13ELNS0_17block_load_methodE3ELS4_3ELS4_3ELNS0_20block_scan_algorithmE0ELj4294967295EEENS1_25partition_config_selectorILNS1_17partition_subalgoE4EjNS0_10empty_typeEbEEZZNS1_14partition_implILS8_4ELb0ES6_15HIP_vector_typeIjLj2EENS0_17counting_iteratorIjlEEPS9_SG_NS0_5tupleIJPjSI_NS0_16reverse_iteratorISI_EEEEENSH_IJSG_SG_SG_EEES9_SI_JZNS1_25segmented_radix_sort_implINS0_14default_configELb1EPKsPsPKlPlN2at6native12_GLOBAL__N_18offset_tEEE10hipError_tPvRmT1_PNSt15iterator_traitsIS12_E10value_typeET2_T3_PNS13_IS18_E10value_typeET4_jRbjT5_S1E_jjP12ihipStream_tbEUljE_ZNSN_ISO_Lb1ESQ_SR_ST_SU_SY_EESZ_S10_S11_S12_S16_S17_S18_S1B_S1C_jS1D_jS1E_S1E_jjS1G_bEUljE0_EEESZ_S10_S11_S18_S1C_S1E_T6_T7_T9_mT8_S1G_bDpT10_ENKUlT_T0_E_clISt17integral_constantIbLb1EES1T_IbLb0EEEEDaS1P_S1Q_EUlS1P_E_NS1_11comp_targetILNS1_3genE10ELNS1_11target_archE1200ELNS1_3gpuE4ELNS1_3repE0EEENS1_30default_config_static_selectorELNS0_4arch9wavefront6targetE1EEEvS12_.has_recursion, 0
	.set _ZN7rocprim17ROCPRIM_400000_NS6detail17trampoline_kernelINS0_13select_configILj256ELj13ELNS0_17block_load_methodE3ELS4_3ELS4_3ELNS0_20block_scan_algorithmE0ELj4294967295EEENS1_25partition_config_selectorILNS1_17partition_subalgoE4EjNS0_10empty_typeEbEEZZNS1_14partition_implILS8_4ELb0ES6_15HIP_vector_typeIjLj2EENS0_17counting_iteratorIjlEEPS9_SG_NS0_5tupleIJPjSI_NS0_16reverse_iteratorISI_EEEEENSH_IJSG_SG_SG_EEES9_SI_JZNS1_25segmented_radix_sort_implINS0_14default_configELb1EPKsPsPKlPlN2at6native12_GLOBAL__N_18offset_tEEE10hipError_tPvRmT1_PNSt15iterator_traitsIS12_E10value_typeET2_T3_PNS13_IS18_E10value_typeET4_jRbjT5_S1E_jjP12ihipStream_tbEUljE_ZNSN_ISO_Lb1ESQ_SR_ST_SU_SY_EESZ_S10_S11_S12_S16_S17_S18_S1B_S1C_jS1D_jS1E_S1E_jjS1G_bEUljE0_EEESZ_S10_S11_S18_S1C_S1E_T6_T7_T9_mT8_S1G_bDpT10_ENKUlT_T0_E_clISt17integral_constantIbLb1EES1T_IbLb0EEEEDaS1P_S1Q_EUlS1P_E_NS1_11comp_targetILNS1_3genE10ELNS1_11target_archE1200ELNS1_3gpuE4ELNS1_3repE0EEENS1_30default_config_static_selectorELNS0_4arch9wavefront6targetE1EEEvS12_.has_indirect_call, 0
	.section	.AMDGPU.csdata,"",@progbits
; Kernel info:
; codeLenInByte = 0
; TotalNumSgprs: 4
; NumVgprs: 0
; ScratchSize: 0
; MemoryBound: 0
; FloatMode: 240
; IeeeMode: 1
; LDSByteSize: 0 bytes/workgroup (compile time only)
; SGPRBlocks: 0
; VGPRBlocks: 0
; NumSGPRsForWavesPerEU: 4
; NumVGPRsForWavesPerEU: 1
; Occupancy: 10
; WaveLimiterHint : 0
; COMPUTE_PGM_RSRC2:SCRATCH_EN: 0
; COMPUTE_PGM_RSRC2:USER_SGPR: 6
; COMPUTE_PGM_RSRC2:TRAP_HANDLER: 0
; COMPUTE_PGM_RSRC2:TGID_X_EN: 1
; COMPUTE_PGM_RSRC2:TGID_Y_EN: 0
; COMPUTE_PGM_RSRC2:TGID_Z_EN: 0
; COMPUTE_PGM_RSRC2:TIDIG_COMP_CNT: 0
	.section	.text._ZN7rocprim17ROCPRIM_400000_NS6detail17trampoline_kernelINS0_13select_configILj256ELj13ELNS0_17block_load_methodE3ELS4_3ELS4_3ELNS0_20block_scan_algorithmE0ELj4294967295EEENS1_25partition_config_selectorILNS1_17partition_subalgoE4EjNS0_10empty_typeEbEEZZNS1_14partition_implILS8_4ELb0ES6_15HIP_vector_typeIjLj2EENS0_17counting_iteratorIjlEEPS9_SG_NS0_5tupleIJPjSI_NS0_16reverse_iteratorISI_EEEEENSH_IJSG_SG_SG_EEES9_SI_JZNS1_25segmented_radix_sort_implINS0_14default_configELb1EPKsPsPKlPlN2at6native12_GLOBAL__N_18offset_tEEE10hipError_tPvRmT1_PNSt15iterator_traitsIS12_E10value_typeET2_T3_PNS13_IS18_E10value_typeET4_jRbjT5_S1E_jjP12ihipStream_tbEUljE_ZNSN_ISO_Lb1ESQ_SR_ST_SU_SY_EESZ_S10_S11_S12_S16_S17_S18_S1B_S1C_jS1D_jS1E_S1E_jjS1G_bEUljE0_EEESZ_S10_S11_S18_S1C_S1E_T6_T7_T9_mT8_S1G_bDpT10_ENKUlT_T0_E_clISt17integral_constantIbLb1EES1T_IbLb0EEEEDaS1P_S1Q_EUlS1P_E_NS1_11comp_targetILNS1_3genE9ELNS1_11target_archE1100ELNS1_3gpuE3ELNS1_3repE0EEENS1_30default_config_static_selectorELNS0_4arch9wavefront6targetE1EEEvS12_,"axG",@progbits,_ZN7rocprim17ROCPRIM_400000_NS6detail17trampoline_kernelINS0_13select_configILj256ELj13ELNS0_17block_load_methodE3ELS4_3ELS4_3ELNS0_20block_scan_algorithmE0ELj4294967295EEENS1_25partition_config_selectorILNS1_17partition_subalgoE4EjNS0_10empty_typeEbEEZZNS1_14partition_implILS8_4ELb0ES6_15HIP_vector_typeIjLj2EENS0_17counting_iteratorIjlEEPS9_SG_NS0_5tupleIJPjSI_NS0_16reverse_iteratorISI_EEEEENSH_IJSG_SG_SG_EEES9_SI_JZNS1_25segmented_radix_sort_implINS0_14default_configELb1EPKsPsPKlPlN2at6native12_GLOBAL__N_18offset_tEEE10hipError_tPvRmT1_PNSt15iterator_traitsIS12_E10value_typeET2_T3_PNS13_IS18_E10value_typeET4_jRbjT5_S1E_jjP12ihipStream_tbEUljE_ZNSN_ISO_Lb1ESQ_SR_ST_SU_SY_EESZ_S10_S11_S12_S16_S17_S18_S1B_S1C_jS1D_jS1E_S1E_jjS1G_bEUljE0_EEESZ_S10_S11_S18_S1C_S1E_T6_T7_T9_mT8_S1G_bDpT10_ENKUlT_T0_E_clISt17integral_constantIbLb1EES1T_IbLb0EEEEDaS1P_S1Q_EUlS1P_E_NS1_11comp_targetILNS1_3genE9ELNS1_11target_archE1100ELNS1_3gpuE3ELNS1_3repE0EEENS1_30default_config_static_selectorELNS0_4arch9wavefront6targetE1EEEvS12_,comdat
	.globl	_ZN7rocprim17ROCPRIM_400000_NS6detail17trampoline_kernelINS0_13select_configILj256ELj13ELNS0_17block_load_methodE3ELS4_3ELS4_3ELNS0_20block_scan_algorithmE0ELj4294967295EEENS1_25partition_config_selectorILNS1_17partition_subalgoE4EjNS0_10empty_typeEbEEZZNS1_14partition_implILS8_4ELb0ES6_15HIP_vector_typeIjLj2EENS0_17counting_iteratorIjlEEPS9_SG_NS0_5tupleIJPjSI_NS0_16reverse_iteratorISI_EEEEENSH_IJSG_SG_SG_EEES9_SI_JZNS1_25segmented_radix_sort_implINS0_14default_configELb1EPKsPsPKlPlN2at6native12_GLOBAL__N_18offset_tEEE10hipError_tPvRmT1_PNSt15iterator_traitsIS12_E10value_typeET2_T3_PNS13_IS18_E10value_typeET4_jRbjT5_S1E_jjP12ihipStream_tbEUljE_ZNSN_ISO_Lb1ESQ_SR_ST_SU_SY_EESZ_S10_S11_S12_S16_S17_S18_S1B_S1C_jS1D_jS1E_S1E_jjS1G_bEUljE0_EEESZ_S10_S11_S18_S1C_S1E_T6_T7_T9_mT8_S1G_bDpT10_ENKUlT_T0_E_clISt17integral_constantIbLb1EES1T_IbLb0EEEEDaS1P_S1Q_EUlS1P_E_NS1_11comp_targetILNS1_3genE9ELNS1_11target_archE1100ELNS1_3gpuE3ELNS1_3repE0EEENS1_30default_config_static_selectorELNS0_4arch9wavefront6targetE1EEEvS12_ ; -- Begin function _ZN7rocprim17ROCPRIM_400000_NS6detail17trampoline_kernelINS0_13select_configILj256ELj13ELNS0_17block_load_methodE3ELS4_3ELS4_3ELNS0_20block_scan_algorithmE0ELj4294967295EEENS1_25partition_config_selectorILNS1_17partition_subalgoE4EjNS0_10empty_typeEbEEZZNS1_14partition_implILS8_4ELb0ES6_15HIP_vector_typeIjLj2EENS0_17counting_iteratorIjlEEPS9_SG_NS0_5tupleIJPjSI_NS0_16reverse_iteratorISI_EEEEENSH_IJSG_SG_SG_EEES9_SI_JZNS1_25segmented_radix_sort_implINS0_14default_configELb1EPKsPsPKlPlN2at6native12_GLOBAL__N_18offset_tEEE10hipError_tPvRmT1_PNSt15iterator_traitsIS12_E10value_typeET2_T3_PNS13_IS18_E10value_typeET4_jRbjT5_S1E_jjP12ihipStream_tbEUljE_ZNSN_ISO_Lb1ESQ_SR_ST_SU_SY_EESZ_S10_S11_S12_S16_S17_S18_S1B_S1C_jS1D_jS1E_S1E_jjS1G_bEUljE0_EEESZ_S10_S11_S18_S1C_S1E_T6_T7_T9_mT8_S1G_bDpT10_ENKUlT_T0_E_clISt17integral_constantIbLb1EES1T_IbLb0EEEEDaS1P_S1Q_EUlS1P_E_NS1_11comp_targetILNS1_3genE9ELNS1_11target_archE1100ELNS1_3gpuE3ELNS1_3repE0EEENS1_30default_config_static_selectorELNS0_4arch9wavefront6targetE1EEEvS12_
	.p2align	8
	.type	_ZN7rocprim17ROCPRIM_400000_NS6detail17trampoline_kernelINS0_13select_configILj256ELj13ELNS0_17block_load_methodE3ELS4_3ELS4_3ELNS0_20block_scan_algorithmE0ELj4294967295EEENS1_25partition_config_selectorILNS1_17partition_subalgoE4EjNS0_10empty_typeEbEEZZNS1_14partition_implILS8_4ELb0ES6_15HIP_vector_typeIjLj2EENS0_17counting_iteratorIjlEEPS9_SG_NS0_5tupleIJPjSI_NS0_16reverse_iteratorISI_EEEEENSH_IJSG_SG_SG_EEES9_SI_JZNS1_25segmented_radix_sort_implINS0_14default_configELb1EPKsPsPKlPlN2at6native12_GLOBAL__N_18offset_tEEE10hipError_tPvRmT1_PNSt15iterator_traitsIS12_E10value_typeET2_T3_PNS13_IS18_E10value_typeET4_jRbjT5_S1E_jjP12ihipStream_tbEUljE_ZNSN_ISO_Lb1ESQ_SR_ST_SU_SY_EESZ_S10_S11_S12_S16_S17_S18_S1B_S1C_jS1D_jS1E_S1E_jjS1G_bEUljE0_EEESZ_S10_S11_S18_S1C_S1E_T6_T7_T9_mT8_S1G_bDpT10_ENKUlT_T0_E_clISt17integral_constantIbLb1EES1T_IbLb0EEEEDaS1P_S1Q_EUlS1P_E_NS1_11comp_targetILNS1_3genE9ELNS1_11target_archE1100ELNS1_3gpuE3ELNS1_3repE0EEENS1_30default_config_static_selectorELNS0_4arch9wavefront6targetE1EEEvS12_,@function
_ZN7rocprim17ROCPRIM_400000_NS6detail17trampoline_kernelINS0_13select_configILj256ELj13ELNS0_17block_load_methodE3ELS4_3ELS4_3ELNS0_20block_scan_algorithmE0ELj4294967295EEENS1_25partition_config_selectorILNS1_17partition_subalgoE4EjNS0_10empty_typeEbEEZZNS1_14partition_implILS8_4ELb0ES6_15HIP_vector_typeIjLj2EENS0_17counting_iteratorIjlEEPS9_SG_NS0_5tupleIJPjSI_NS0_16reverse_iteratorISI_EEEEENSH_IJSG_SG_SG_EEES9_SI_JZNS1_25segmented_radix_sort_implINS0_14default_configELb1EPKsPsPKlPlN2at6native12_GLOBAL__N_18offset_tEEE10hipError_tPvRmT1_PNSt15iterator_traitsIS12_E10value_typeET2_T3_PNS13_IS18_E10value_typeET4_jRbjT5_S1E_jjP12ihipStream_tbEUljE_ZNSN_ISO_Lb1ESQ_SR_ST_SU_SY_EESZ_S10_S11_S12_S16_S17_S18_S1B_S1C_jS1D_jS1E_S1E_jjS1G_bEUljE0_EEESZ_S10_S11_S18_S1C_S1E_T6_T7_T9_mT8_S1G_bDpT10_ENKUlT_T0_E_clISt17integral_constantIbLb1EES1T_IbLb0EEEEDaS1P_S1Q_EUlS1P_E_NS1_11comp_targetILNS1_3genE9ELNS1_11target_archE1100ELNS1_3gpuE3ELNS1_3repE0EEENS1_30default_config_static_selectorELNS0_4arch9wavefront6targetE1EEEvS12_: ; @_ZN7rocprim17ROCPRIM_400000_NS6detail17trampoline_kernelINS0_13select_configILj256ELj13ELNS0_17block_load_methodE3ELS4_3ELS4_3ELNS0_20block_scan_algorithmE0ELj4294967295EEENS1_25partition_config_selectorILNS1_17partition_subalgoE4EjNS0_10empty_typeEbEEZZNS1_14partition_implILS8_4ELb0ES6_15HIP_vector_typeIjLj2EENS0_17counting_iteratorIjlEEPS9_SG_NS0_5tupleIJPjSI_NS0_16reverse_iteratorISI_EEEEENSH_IJSG_SG_SG_EEES9_SI_JZNS1_25segmented_radix_sort_implINS0_14default_configELb1EPKsPsPKlPlN2at6native12_GLOBAL__N_18offset_tEEE10hipError_tPvRmT1_PNSt15iterator_traitsIS12_E10value_typeET2_T3_PNS13_IS18_E10value_typeET4_jRbjT5_S1E_jjP12ihipStream_tbEUljE_ZNSN_ISO_Lb1ESQ_SR_ST_SU_SY_EESZ_S10_S11_S12_S16_S17_S18_S1B_S1C_jS1D_jS1E_S1E_jjS1G_bEUljE0_EEESZ_S10_S11_S18_S1C_S1E_T6_T7_T9_mT8_S1G_bDpT10_ENKUlT_T0_E_clISt17integral_constantIbLb1EES1T_IbLb0EEEEDaS1P_S1Q_EUlS1P_E_NS1_11comp_targetILNS1_3genE9ELNS1_11target_archE1100ELNS1_3gpuE3ELNS1_3repE0EEENS1_30default_config_static_selectorELNS0_4arch9wavefront6targetE1EEEvS12_
; %bb.0:
	.section	.rodata,"a",@progbits
	.p2align	6, 0x0
	.amdhsa_kernel _ZN7rocprim17ROCPRIM_400000_NS6detail17trampoline_kernelINS0_13select_configILj256ELj13ELNS0_17block_load_methodE3ELS4_3ELS4_3ELNS0_20block_scan_algorithmE0ELj4294967295EEENS1_25partition_config_selectorILNS1_17partition_subalgoE4EjNS0_10empty_typeEbEEZZNS1_14partition_implILS8_4ELb0ES6_15HIP_vector_typeIjLj2EENS0_17counting_iteratorIjlEEPS9_SG_NS0_5tupleIJPjSI_NS0_16reverse_iteratorISI_EEEEENSH_IJSG_SG_SG_EEES9_SI_JZNS1_25segmented_radix_sort_implINS0_14default_configELb1EPKsPsPKlPlN2at6native12_GLOBAL__N_18offset_tEEE10hipError_tPvRmT1_PNSt15iterator_traitsIS12_E10value_typeET2_T3_PNS13_IS18_E10value_typeET4_jRbjT5_S1E_jjP12ihipStream_tbEUljE_ZNSN_ISO_Lb1ESQ_SR_ST_SU_SY_EESZ_S10_S11_S12_S16_S17_S18_S1B_S1C_jS1D_jS1E_S1E_jjS1G_bEUljE0_EEESZ_S10_S11_S18_S1C_S1E_T6_T7_T9_mT8_S1G_bDpT10_ENKUlT_T0_E_clISt17integral_constantIbLb1EES1T_IbLb0EEEEDaS1P_S1Q_EUlS1P_E_NS1_11comp_targetILNS1_3genE9ELNS1_11target_archE1100ELNS1_3gpuE3ELNS1_3repE0EEENS1_30default_config_static_selectorELNS0_4arch9wavefront6targetE1EEEvS12_
		.amdhsa_group_segment_fixed_size 0
		.amdhsa_private_segment_fixed_size 0
		.amdhsa_kernarg_size 176
		.amdhsa_user_sgpr_count 6
		.amdhsa_user_sgpr_private_segment_buffer 1
		.amdhsa_user_sgpr_dispatch_ptr 0
		.amdhsa_user_sgpr_queue_ptr 0
		.amdhsa_user_sgpr_kernarg_segment_ptr 1
		.amdhsa_user_sgpr_dispatch_id 0
		.amdhsa_user_sgpr_flat_scratch_init 0
		.amdhsa_user_sgpr_private_segment_size 0
		.amdhsa_uses_dynamic_stack 0
		.amdhsa_system_sgpr_private_segment_wavefront_offset 0
		.amdhsa_system_sgpr_workgroup_id_x 1
		.amdhsa_system_sgpr_workgroup_id_y 0
		.amdhsa_system_sgpr_workgroup_id_z 0
		.amdhsa_system_sgpr_workgroup_info 0
		.amdhsa_system_vgpr_workitem_id 0
		.amdhsa_next_free_vgpr 1
		.amdhsa_next_free_sgpr 0
		.amdhsa_reserve_vcc 0
		.amdhsa_reserve_flat_scratch 0
		.amdhsa_float_round_mode_32 0
		.amdhsa_float_round_mode_16_64 0
		.amdhsa_float_denorm_mode_32 3
		.amdhsa_float_denorm_mode_16_64 3
		.amdhsa_dx10_clamp 1
		.amdhsa_ieee_mode 1
		.amdhsa_fp16_overflow 0
		.amdhsa_exception_fp_ieee_invalid_op 0
		.amdhsa_exception_fp_denorm_src 0
		.amdhsa_exception_fp_ieee_div_zero 0
		.amdhsa_exception_fp_ieee_overflow 0
		.amdhsa_exception_fp_ieee_underflow 0
		.amdhsa_exception_fp_ieee_inexact 0
		.amdhsa_exception_int_div_zero 0
	.end_amdhsa_kernel
	.section	.text._ZN7rocprim17ROCPRIM_400000_NS6detail17trampoline_kernelINS0_13select_configILj256ELj13ELNS0_17block_load_methodE3ELS4_3ELS4_3ELNS0_20block_scan_algorithmE0ELj4294967295EEENS1_25partition_config_selectorILNS1_17partition_subalgoE4EjNS0_10empty_typeEbEEZZNS1_14partition_implILS8_4ELb0ES6_15HIP_vector_typeIjLj2EENS0_17counting_iteratorIjlEEPS9_SG_NS0_5tupleIJPjSI_NS0_16reverse_iteratorISI_EEEEENSH_IJSG_SG_SG_EEES9_SI_JZNS1_25segmented_radix_sort_implINS0_14default_configELb1EPKsPsPKlPlN2at6native12_GLOBAL__N_18offset_tEEE10hipError_tPvRmT1_PNSt15iterator_traitsIS12_E10value_typeET2_T3_PNS13_IS18_E10value_typeET4_jRbjT5_S1E_jjP12ihipStream_tbEUljE_ZNSN_ISO_Lb1ESQ_SR_ST_SU_SY_EESZ_S10_S11_S12_S16_S17_S18_S1B_S1C_jS1D_jS1E_S1E_jjS1G_bEUljE0_EEESZ_S10_S11_S18_S1C_S1E_T6_T7_T9_mT8_S1G_bDpT10_ENKUlT_T0_E_clISt17integral_constantIbLb1EES1T_IbLb0EEEEDaS1P_S1Q_EUlS1P_E_NS1_11comp_targetILNS1_3genE9ELNS1_11target_archE1100ELNS1_3gpuE3ELNS1_3repE0EEENS1_30default_config_static_selectorELNS0_4arch9wavefront6targetE1EEEvS12_,"axG",@progbits,_ZN7rocprim17ROCPRIM_400000_NS6detail17trampoline_kernelINS0_13select_configILj256ELj13ELNS0_17block_load_methodE3ELS4_3ELS4_3ELNS0_20block_scan_algorithmE0ELj4294967295EEENS1_25partition_config_selectorILNS1_17partition_subalgoE4EjNS0_10empty_typeEbEEZZNS1_14partition_implILS8_4ELb0ES6_15HIP_vector_typeIjLj2EENS0_17counting_iteratorIjlEEPS9_SG_NS0_5tupleIJPjSI_NS0_16reverse_iteratorISI_EEEEENSH_IJSG_SG_SG_EEES9_SI_JZNS1_25segmented_radix_sort_implINS0_14default_configELb1EPKsPsPKlPlN2at6native12_GLOBAL__N_18offset_tEEE10hipError_tPvRmT1_PNSt15iterator_traitsIS12_E10value_typeET2_T3_PNS13_IS18_E10value_typeET4_jRbjT5_S1E_jjP12ihipStream_tbEUljE_ZNSN_ISO_Lb1ESQ_SR_ST_SU_SY_EESZ_S10_S11_S12_S16_S17_S18_S1B_S1C_jS1D_jS1E_S1E_jjS1G_bEUljE0_EEESZ_S10_S11_S18_S1C_S1E_T6_T7_T9_mT8_S1G_bDpT10_ENKUlT_T0_E_clISt17integral_constantIbLb1EES1T_IbLb0EEEEDaS1P_S1Q_EUlS1P_E_NS1_11comp_targetILNS1_3genE9ELNS1_11target_archE1100ELNS1_3gpuE3ELNS1_3repE0EEENS1_30default_config_static_selectorELNS0_4arch9wavefront6targetE1EEEvS12_,comdat
.Lfunc_end869:
	.size	_ZN7rocprim17ROCPRIM_400000_NS6detail17trampoline_kernelINS0_13select_configILj256ELj13ELNS0_17block_load_methodE3ELS4_3ELS4_3ELNS0_20block_scan_algorithmE0ELj4294967295EEENS1_25partition_config_selectorILNS1_17partition_subalgoE4EjNS0_10empty_typeEbEEZZNS1_14partition_implILS8_4ELb0ES6_15HIP_vector_typeIjLj2EENS0_17counting_iteratorIjlEEPS9_SG_NS0_5tupleIJPjSI_NS0_16reverse_iteratorISI_EEEEENSH_IJSG_SG_SG_EEES9_SI_JZNS1_25segmented_radix_sort_implINS0_14default_configELb1EPKsPsPKlPlN2at6native12_GLOBAL__N_18offset_tEEE10hipError_tPvRmT1_PNSt15iterator_traitsIS12_E10value_typeET2_T3_PNS13_IS18_E10value_typeET4_jRbjT5_S1E_jjP12ihipStream_tbEUljE_ZNSN_ISO_Lb1ESQ_SR_ST_SU_SY_EESZ_S10_S11_S12_S16_S17_S18_S1B_S1C_jS1D_jS1E_S1E_jjS1G_bEUljE0_EEESZ_S10_S11_S18_S1C_S1E_T6_T7_T9_mT8_S1G_bDpT10_ENKUlT_T0_E_clISt17integral_constantIbLb1EES1T_IbLb0EEEEDaS1P_S1Q_EUlS1P_E_NS1_11comp_targetILNS1_3genE9ELNS1_11target_archE1100ELNS1_3gpuE3ELNS1_3repE0EEENS1_30default_config_static_selectorELNS0_4arch9wavefront6targetE1EEEvS12_, .Lfunc_end869-_ZN7rocprim17ROCPRIM_400000_NS6detail17trampoline_kernelINS0_13select_configILj256ELj13ELNS0_17block_load_methodE3ELS4_3ELS4_3ELNS0_20block_scan_algorithmE0ELj4294967295EEENS1_25partition_config_selectorILNS1_17partition_subalgoE4EjNS0_10empty_typeEbEEZZNS1_14partition_implILS8_4ELb0ES6_15HIP_vector_typeIjLj2EENS0_17counting_iteratorIjlEEPS9_SG_NS0_5tupleIJPjSI_NS0_16reverse_iteratorISI_EEEEENSH_IJSG_SG_SG_EEES9_SI_JZNS1_25segmented_radix_sort_implINS0_14default_configELb1EPKsPsPKlPlN2at6native12_GLOBAL__N_18offset_tEEE10hipError_tPvRmT1_PNSt15iterator_traitsIS12_E10value_typeET2_T3_PNS13_IS18_E10value_typeET4_jRbjT5_S1E_jjP12ihipStream_tbEUljE_ZNSN_ISO_Lb1ESQ_SR_ST_SU_SY_EESZ_S10_S11_S12_S16_S17_S18_S1B_S1C_jS1D_jS1E_S1E_jjS1G_bEUljE0_EEESZ_S10_S11_S18_S1C_S1E_T6_T7_T9_mT8_S1G_bDpT10_ENKUlT_T0_E_clISt17integral_constantIbLb1EES1T_IbLb0EEEEDaS1P_S1Q_EUlS1P_E_NS1_11comp_targetILNS1_3genE9ELNS1_11target_archE1100ELNS1_3gpuE3ELNS1_3repE0EEENS1_30default_config_static_selectorELNS0_4arch9wavefront6targetE1EEEvS12_
                                        ; -- End function
	.set _ZN7rocprim17ROCPRIM_400000_NS6detail17trampoline_kernelINS0_13select_configILj256ELj13ELNS0_17block_load_methodE3ELS4_3ELS4_3ELNS0_20block_scan_algorithmE0ELj4294967295EEENS1_25partition_config_selectorILNS1_17partition_subalgoE4EjNS0_10empty_typeEbEEZZNS1_14partition_implILS8_4ELb0ES6_15HIP_vector_typeIjLj2EENS0_17counting_iteratorIjlEEPS9_SG_NS0_5tupleIJPjSI_NS0_16reverse_iteratorISI_EEEEENSH_IJSG_SG_SG_EEES9_SI_JZNS1_25segmented_radix_sort_implINS0_14default_configELb1EPKsPsPKlPlN2at6native12_GLOBAL__N_18offset_tEEE10hipError_tPvRmT1_PNSt15iterator_traitsIS12_E10value_typeET2_T3_PNS13_IS18_E10value_typeET4_jRbjT5_S1E_jjP12ihipStream_tbEUljE_ZNSN_ISO_Lb1ESQ_SR_ST_SU_SY_EESZ_S10_S11_S12_S16_S17_S18_S1B_S1C_jS1D_jS1E_S1E_jjS1G_bEUljE0_EEESZ_S10_S11_S18_S1C_S1E_T6_T7_T9_mT8_S1G_bDpT10_ENKUlT_T0_E_clISt17integral_constantIbLb1EES1T_IbLb0EEEEDaS1P_S1Q_EUlS1P_E_NS1_11comp_targetILNS1_3genE9ELNS1_11target_archE1100ELNS1_3gpuE3ELNS1_3repE0EEENS1_30default_config_static_selectorELNS0_4arch9wavefront6targetE1EEEvS12_.num_vgpr, 0
	.set _ZN7rocprim17ROCPRIM_400000_NS6detail17trampoline_kernelINS0_13select_configILj256ELj13ELNS0_17block_load_methodE3ELS4_3ELS4_3ELNS0_20block_scan_algorithmE0ELj4294967295EEENS1_25partition_config_selectorILNS1_17partition_subalgoE4EjNS0_10empty_typeEbEEZZNS1_14partition_implILS8_4ELb0ES6_15HIP_vector_typeIjLj2EENS0_17counting_iteratorIjlEEPS9_SG_NS0_5tupleIJPjSI_NS0_16reverse_iteratorISI_EEEEENSH_IJSG_SG_SG_EEES9_SI_JZNS1_25segmented_radix_sort_implINS0_14default_configELb1EPKsPsPKlPlN2at6native12_GLOBAL__N_18offset_tEEE10hipError_tPvRmT1_PNSt15iterator_traitsIS12_E10value_typeET2_T3_PNS13_IS18_E10value_typeET4_jRbjT5_S1E_jjP12ihipStream_tbEUljE_ZNSN_ISO_Lb1ESQ_SR_ST_SU_SY_EESZ_S10_S11_S12_S16_S17_S18_S1B_S1C_jS1D_jS1E_S1E_jjS1G_bEUljE0_EEESZ_S10_S11_S18_S1C_S1E_T6_T7_T9_mT8_S1G_bDpT10_ENKUlT_T0_E_clISt17integral_constantIbLb1EES1T_IbLb0EEEEDaS1P_S1Q_EUlS1P_E_NS1_11comp_targetILNS1_3genE9ELNS1_11target_archE1100ELNS1_3gpuE3ELNS1_3repE0EEENS1_30default_config_static_selectorELNS0_4arch9wavefront6targetE1EEEvS12_.num_agpr, 0
	.set _ZN7rocprim17ROCPRIM_400000_NS6detail17trampoline_kernelINS0_13select_configILj256ELj13ELNS0_17block_load_methodE3ELS4_3ELS4_3ELNS0_20block_scan_algorithmE0ELj4294967295EEENS1_25partition_config_selectorILNS1_17partition_subalgoE4EjNS0_10empty_typeEbEEZZNS1_14partition_implILS8_4ELb0ES6_15HIP_vector_typeIjLj2EENS0_17counting_iteratorIjlEEPS9_SG_NS0_5tupleIJPjSI_NS0_16reverse_iteratorISI_EEEEENSH_IJSG_SG_SG_EEES9_SI_JZNS1_25segmented_radix_sort_implINS0_14default_configELb1EPKsPsPKlPlN2at6native12_GLOBAL__N_18offset_tEEE10hipError_tPvRmT1_PNSt15iterator_traitsIS12_E10value_typeET2_T3_PNS13_IS18_E10value_typeET4_jRbjT5_S1E_jjP12ihipStream_tbEUljE_ZNSN_ISO_Lb1ESQ_SR_ST_SU_SY_EESZ_S10_S11_S12_S16_S17_S18_S1B_S1C_jS1D_jS1E_S1E_jjS1G_bEUljE0_EEESZ_S10_S11_S18_S1C_S1E_T6_T7_T9_mT8_S1G_bDpT10_ENKUlT_T0_E_clISt17integral_constantIbLb1EES1T_IbLb0EEEEDaS1P_S1Q_EUlS1P_E_NS1_11comp_targetILNS1_3genE9ELNS1_11target_archE1100ELNS1_3gpuE3ELNS1_3repE0EEENS1_30default_config_static_selectorELNS0_4arch9wavefront6targetE1EEEvS12_.numbered_sgpr, 0
	.set _ZN7rocprim17ROCPRIM_400000_NS6detail17trampoline_kernelINS0_13select_configILj256ELj13ELNS0_17block_load_methodE3ELS4_3ELS4_3ELNS0_20block_scan_algorithmE0ELj4294967295EEENS1_25partition_config_selectorILNS1_17partition_subalgoE4EjNS0_10empty_typeEbEEZZNS1_14partition_implILS8_4ELb0ES6_15HIP_vector_typeIjLj2EENS0_17counting_iteratorIjlEEPS9_SG_NS0_5tupleIJPjSI_NS0_16reverse_iteratorISI_EEEEENSH_IJSG_SG_SG_EEES9_SI_JZNS1_25segmented_radix_sort_implINS0_14default_configELb1EPKsPsPKlPlN2at6native12_GLOBAL__N_18offset_tEEE10hipError_tPvRmT1_PNSt15iterator_traitsIS12_E10value_typeET2_T3_PNS13_IS18_E10value_typeET4_jRbjT5_S1E_jjP12ihipStream_tbEUljE_ZNSN_ISO_Lb1ESQ_SR_ST_SU_SY_EESZ_S10_S11_S12_S16_S17_S18_S1B_S1C_jS1D_jS1E_S1E_jjS1G_bEUljE0_EEESZ_S10_S11_S18_S1C_S1E_T6_T7_T9_mT8_S1G_bDpT10_ENKUlT_T0_E_clISt17integral_constantIbLb1EES1T_IbLb0EEEEDaS1P_S1Q_EUlS1P_E_NS1_11comp_targetILNS1_3genE9ELNS1_11target_archE1100ELNS1_3gpuE3ELNS1_3repE0EEENS1_30default_config_static_selectorELNS0_4arch9wavefront6targetE1EEEvS12_.num_named_barrier, 0
	.set _ZN7rocprim17ROCPRIM_400000_NS6detail17trampoline_kernelINS0_13select_configILj256ELj13ELNS0_17block_load_methodE3ELS4_3ELS4_3ELNS0_20block_scan_algorithmE0ELj4294967295EEENS1_25partition_config_selectorILNS1_17partition_subalgoE4EjNS0_10empty_typeEbEEZZNS1_14partition_implILS8_4ELb0ES6_15HIP_vector_typeIjLj2EENS0_17counting_iteratorIjlEEPS9_SG_NS0_5tupleIJPjSI_NS0_16reverse_iteratorISI_EEEEENSH_IJSG_SG_SG_EEES9_SI_JZNS1_25segmented_radix_sort_implINS0_14default_configELb1EPKsPsPKlPlN2at6native12_GLOBAL__N_18offset_tEEE10hipError_tPvRmT1_PNSt15iterator_traitsIS12_E10value_typeET2_T3_PNS13_IS18_E10value_typeET4_jRbjT5_S1E_jjP12ihipStream_tbEUljE_ZNSN_ISO_Lb1ESQ_SR_ST_SU_SY_EESZ_S10_S11_S12_S16_S17_S18_S1B_S1C_jS1D_jS1E_S1E_jjS1G_bEUljE0_EEESZ_S10_S11_S18_S1C_S1E_T6_T7_T9_mT8_S1G_bDpT10_ENKUlT_T0_E_clISt17integral_constantIbLb1EES1T_IbLb0EEEEDaS1P_S1Q_EUlS1P_E_NS1_11comp_targetILNS1_3genE9ELNS1_11target_archE1100ELNS1_3gpuE3ELNS1_3repE0EEENS1_30default_config_static_selectorELNS0_4arch9wavefront6targetE1EEEvS12_.private_seg_size, 0
	.set _ZN7rocprim17ROCPRIM_400000_NS6detail17trampoline_kernelINS0_13select_configILj256ELj13ELNS0_17block_load_methodE3ELS4_3ELS4_3ELNS0_20block_scan_algorithmE0ELj4294967295EEENS1_25partition_config_selectorILNS1_17partition_subalgoE4EjNS0_10empty_typeEbEEZZNS1_14partition_implILS8_4ELb0ES6_15HIP_vector_typeIjLj2EENS0_17counting_iteratorIjlEEPS9_SG_NS0_5tupleIJPjSI_NS0_16reverse_iteratorISI_EEEEENSH_IJSG_SG_SG_EEES9_SI_JZNS1_25segmented_radix_sort_implINS0_14default_configELb1EPKsPsPKlPlN2at6native12_GLOBAL__N_18offset_tEEE10hipError_tPvRmT1_PNSt15iterator_traitsIS12_E10value_typeET2_T3_PNS13_IS18_E10value_typeET4_jRbjT5_S1E_jjP12ihipStream_tbEUljE_ZNSN_ISO_Lb1ESQ_SR_ST_SU_SY_EESZ_S10_S11_S12_S16_S17_S18_S1B_S1C_jS1D_jS1E_S1E_jjS1G_bEUljE0_EEESZ_S10_S11_S18_S1C_S1E_T6_T7_T9_mT8_S1G_bDpT10_ENKUlT_T0_E_clISt17integral_constantIbLb1EES1T_IbLb0EEEEDaS1P_S1Q_EUlS1P_E_NS1_11comp_targetILNS1_3genE9ELNS1_11target_archE1100ELNS1_3gpuE3ELNS1_3repE0EEENS1_30default_config_static_selectorELNS0_4arch9wavefront6targetE1EEEvS12_.uses_vcc, 0
	.set _ZN7rocprim17ROCPRIM_400000_NS6detail17trampoline_kernelINS0_13select_configILj256ELj13ELNS0_17block_load_methodE3ELS4_3ELS4_3ELNS0_20block_scan_algorithmE0ELj4294967295EEENS1_25partition_config_selectorILNS1_17partition_subalgoE4EjNS0_10empty_typeEbEEZZNS1_14partition_implILS8_4ELb0ES6_15HIP_vector_typeIjLj2EENS0_17counting_iteratorIjlEEPS9_SG_NS0_5tupleIJPjSI_NS0_16reverse_iteratorISI_EEEEENSH_IJSG_SG_SG_EEES9_SI_JZNS1_25segmented_radix_sort_implINS0_14default_configELb1EPKsPsPKlPlN2at6native12_GLOBAL__N_18offset_tEEE10hipError_tPvRmT1_PNSt15iterator_traitsIS12_E10value_typeET2_T3_PNS13_IS18_E10value_typeET4_jRbjT5_S1E_jjP12ihipStream_tbEUljE_ZNSN_ISO_Lb1ESQ_SR_ST_SU_SY_EESZ_S10_S11_S12_S16_S17_S18_S1B_S1C_jS1D_jS1E_S1E_jjS1G_bEUljE0_EEESZ_S10_S11_S18_S1C_S1E_T6_T7_T9_mT8_S1G_bDpT10_ENKUlT_T0_E_clISt17integral_constantIbLb1EES1T_IbLb0EEEEDaS1P_S1Q_EUlS1P_E_NS1_11comp_targetILNS1_3genE9ELNS1_11target_archE1100ELNS1_3gpuE3ELNS1_3repE0EEENS1_30default_config_static_selectorELNS0_4arch9wavefront6targetE1EEEvS12_.uses_flat_scratch, 0
	.set _ZN7rocprim17ROCPRIM_400000_NS6detail17trampoline_kernelINS0_13select_configILj256ELj13ELNS0_17block_load_methodE3ELS4_3ELS4_3ELNS0_20block_scan_algorithmE0ELj4294967295EEENS1_25partition_config_selectorILNS1_17partition_subalgoE4EjNS0_10empty_typeEbEEZZNS1_14partition_implILS8_4ELb0ES6_15HIP_vector_typeIjLj2EENS0_17counting_iteratorIjlEEPS9_SG_NS0_5tupleIJPjSI_NS0_16reverse_iteratorISI_EEEEENSH_IJSG_SG_SG_EEES9_SI_JZNS1_25segmented_radix_sort_implINS0_14default_configELb1EPKsPsPKlPlN2at6native12_GLOBAL__N_18offset_tEEE10hipError_tPvRmT1_PNSt15iterator_traitsIS12_E10value_typeET2_T3_PNS13_IS18_E10value_typeET4_jRbjT5_S1E_jjP12ihipStream_tbEUljE_ZNSN_ISO_Lb1ESQ_SR_ST_SU_SY_EESZ_S10_S11_S12_S16_S17_S18_S1B_S1C_jS1D_jS1E_S1E_jjS1G_bEUljE0_EEESZ_S10_S11_S18_S1C_S1E_T6_T7_T9_mT8_S1G_bDpT10_ENKUlT_T0_E_clISt17integral_constantIbLb1EES1T_IbLb0EEEEDaS1P_S1Q_EUlS1P_E_NS1_11comp_targetILNS1_3genE9ELNS1_11target_archE1100ELNS1_3gpuE3ELNS1_3repE0EEENS1_30default_config_static_selectorELNS0_4arch9wavefront6targetE1EEEvS12_.has_dyn_sized_stack, 0
	.set _ZN7rocprim17ROCPRIM_400000_NS6detail17trampoline_kernelINS0_13select_configILj256ELj13ELNS0_17block_load_methodE3ELS4_3ELS4_3ELNS0_20block_scan_algorithmE0ELj4294967295EEENS1_25partition_config_selectorILNS1_17partition_subalgoE4EjNS0_10empty_typeEbEEZZNS1_14partition_implILS8_4ELb0ES6_15HIP_vector_typeIjLj2EENS0_17counting_iteratorIjlEEPS9_SG_NS0_5tupleIJPjSI_NS0_16reverse_iteratorISI_EEEEENSH_IJSG_SG_SG_EEES9_SI_JZNS1_25segmented_radix_sort_implINS0_14default_configELb1EPKsPsPKlPlN2at6native12_GLOBAL__N_18offset_tEEE10hipError_tPvRmT1_PNSt15iterator_traitsIS12_E10value_typeET2_T3_PNS13_IS18_E10value_typeET4_jRbjT5_S1E_jjP12ihipStream_tbEUljE_ZNSN_ISO_Lb1ESQ_SR_ST_SU_SY_EESZ_S10_S11_S12_S16_S17_S18_S1B_S1C_jS1D_jS1E_S1E_jjS1G_bEUljE0_EEESZ_S10_S11_S18_S1C_S1E_T6_T7_T9_mT8_S1G_bDpT10_ENKUlT_T0_E_clISt17integral_constantIbLb1EES1T_IbLb0EEEEDaS1P_S1Q_EUlS1P_E_NS1_11comp_targetILNS1_3genE9ELNS1_11target_archE1100ELNS1_3gpuE3ELNS1_3repE0EEENS1_30default_config_static_selectorELNS0_4arch9wavefront6targetE1EEEvS12_.has_recursion, 0
	.set _ZN7rocprim17ROCPRIM_400000_NS6detail17trampoline_kernelINS0_13select_configILj256ELj13ELNS0_17block_load_methodE3ELS4_3ELS4_3ELNS0_20block_scan_algorithmE0ELj4294967295EEENS1_25partition_config_selectorILNS1_17partition_subalgoE4EjNS0_10empty_typeEbEEZZNS1_14partition_implILS8_4ELb0ES6_15HIP_vector_typeIjLj2EENS0_17counting_iteratorIjlEEPS9_SG_NS0_5tupleIJPjSI_NS0_16reverse_iteratorISI_EEEEENSH_IJSG_SG_SG_EEES9_SI_JZNS1_25segmented_radix_sort_implINS0_14default_configELb1EPKsPsPKlPlN2at6native12_GLOBAL__N_18offset_tEEE10hipError_tPvRmT1_PNSt15iterator_traitsIS12_E10value_typeET2_T3_PNS13_IS18_E10value_typeET4_jRbjT5_S1E_jjP12ihipStream_tbEUljE_ZNSN_ISO_Lb1ESQ_SR_ST_SU_SY_EESZ_S10_S11_S12_S16_S17_S18_S1B_S1C_jS1D_jS1E_S1E_jjS1G_bEUljE0_EEESZ_S10_S11_S18_S1C_S1E_T6_T7_T9_mT8_S1G_bDpT10_ENKUlT_T0_E_clISt17integral_constantIbLb1EES1T_IbLb0EEEEDaS1P_S1Q_EUlS1P_E_NS1_11comp_targetILNS1_3genE9ELNS1_11target_archE1100ELNS1_3gpuE3ELNS1_3repE0EEENS1_30default_config_static_selectorELNS0_4arch9wavefront6targetE1EEEvS12_.has_indirect_call, 0
	.section	.AMDGPU.csdata,"",@progbits
; Kernel info:
; codeLenInByte = 0
; TotalNumSgprs: 4
; NumVgprs: 0
; ScratchSize: 0
; MemoryBound: 0
; FloatMode: 240
; IeeeMode: 1
; LDSByteSize: 0 bytes/workgroup (compile time only)
; SGPRBlocks: 0
; VGPRBlocks: 0
; NumSGPRsForWavesPerEU: 4
; NumVGPRsForWavesPerEU: 1
; Occupancy: 10
; WaveLimiterHint : 0
; COMPUTE_PGM_RSRC2:SCRATCH_EN: 0
; COMPUTE_PGM_RSRC2:USER_SGPR: 6
; COMPUTE_PGM_RSRC2:TRAP_HANDLER: 0
; COMPUTE_PGM_RSRC2:TGID_X_EN: 1
; COMPUTE_PGM_RSRC2:TGID_Y_EN: 0
; COMPUTE_PGM_RSRC2:TGID_Z_EN: 0
; COMPUTE_PGM_RSRC2:TIDIG_COMP_CNT: 0
	.section	.text._ZN7rocprim17ROCPRIM_400000_NS6detail17trampoline_kernelINS0_13select_configILj256ELj13ELNS0_17block_load_methodE3ELS4_3ELS4_3ELNS0_20block_scan_algorithmE0ELj4294967295EEENS1_25partition_config_selectorILNS1_17partition_subalgoE4EjNS0_10empty_typeEbEEZZNS1_14partition_implILS8_4ELb0ES6_15HIP_vector_typeIjLj2EENS0_17counting_iteratorIjlEEPS9_SG_NS0_5tupleIJPjSI_NS0_16reverse_iteratorISI_EEEEENSH_IJSG_SG_SG_EEES9_SI_JZNS1_25segmented_radix_sort_implINS0_14default_configELb1EPKsPsPKlPlN2at6native12_GLOBAL__N_18offset_tEEE10hipError_tPvRmT1_PNSt15iterator_traitsIS12_E10value_typeET2_T3_PNS13_IS18_E10value_typeET4_jRbjT5_S1E_jjP12ihipStream_tbEUljE_ZNSN_ISO_Lb1ESQ_SR_ST_SU_SY_EESZ_S10_S11_S12_S16_S17_S18_S1B_S1C_jS1D_jS1E_S1E_jjS1G_bEUljE0_EEESZ_S10_S11_S18_S1C_S1E_T6_T7_T9_mT8_S1G_bDpT10_ENKUlT_T0_E_clISt17integral_constantIbLb1EES1T_IbLb0EEEEDaS1P_S1Q_EUlS1P_E_NS1_11comp_targetILNS1_3genE8ELNS1_11target_archE1030ELNS1_3gpuE2ELNS1_3repE0EEENS1_30default_config_static_selectorELNS0_4arch9wavefront6targetE1EEEvS12_,"axG",@progbits,_ZN7rocprim17ROCPRIM_400000_NS6detail17trampoline_kernelINS0_13select_configILj256ELj13ELNS0_17block_load_methodE3ELS4_3ELS4_3ELNS0_20block_scan_algorithmE0ELj4294967295EEENS1_25partition_config_selectorILNS1_17partition_subalgoE4EjNS0_10empty_typeEbEEZZNS1_14partition_implILS8_4ELb0ES6_15HIP_vector_typeIjLj2EENS0_17counting_iteratorIjlEEPS9_SG_NS0_5tupleIJPjSI_NS0_16reverse_iteratorISI_EEEEENSH_IJSG_SG_SG_EEES9_SI_JZNS1_25segmented_radix_sort_implINS0_14default_configELb1EPKsPsPKlPlN2at6native12_GLOBAL__N_18offset_tEEE10hipError_tPvRmT1_PNSt15iterator_traitsIS12_E10value_typeET2_T3_PNS13_IS18_E10value_typeET4_jRbjT5_S1E_jjP12ihipStream_tbEUljE_ZNSN_ISO_Lb1ESQ_SR_ST_SU_SY_EESZ_S10_S11_S12_S16_S17_S18_S1B_S1C_jS1D_jS1E_S1E_jjS1G_bEUljE0_EEESZ_S10_S11_S18_S1C_S1E_T6_T7_T9_mT8_S1G_bDpT10_ENKUlT_T0_E_clISt17integral_constantIbLb1EES1T_IbLb0EEEEDaS1P_S1Q_EUlS1P_E_NS1_11comp_targetILNS1_3genE8ELNS1_11target_archE1030ELNS1_3gpuE2ELNS1_3repE0EEENS1_30default_config_static_selectorELNS0_4arch9wavefront6targetE1EEEvS12_,comdat
	.globl	_ZN7rocprim17ROCPRIM_400000_NS6detail17trampoline_kernelINS0_13select_configILj256ELj13ELNS0_17block_load_methodE3ELS4_3ELS4_3ELNS0_20block_scan_algorithmE0ELj4294967295EEENS1_25partition_config_selectorILNS1_17partition_subalgoE4EjNS0_10empty_typeEbEEZZNS1_14partition_implILS8_4ELb0ES6_15HIP_vector_typeIjLj2EENS0_17counting_iteratorIjlEEPS9_SG_NS0_5tupleIJPjSI_NS0_16reverse_iteratorISI_EEEEENSH_IJSG_SG_SG_EEES9_SI_JZNS1_25segmented_radix_sort_implINS0_14default_configELb1EPKsPsPKlPlN2at6native12_GLOBAL__N_18offset_tEEE10hipError_tPvRmT1_PNSt15iterator_traitsIS12_E10value_typeET2_T3_PNS13_IS18_E10value_typeET4_jRbjT5_S1E_jjP12ihipStream_tbEUljE_ZNSN_ISO_Lb1ESQ_SR_ST_SU_SY_EESZ_S10_S11_S12_S16_S17_S18_S1B_S1C_jS1D_jS1E_S1E_jjS1G_bEUljE0_EEESZ_S10_S11_S18_S1C_S1E_T6_T7_T9_mT8_S1G_bDpT10_ENKUlT_T0_E_clISt17integral_constantIbLb1EES1T_IbLb0EEEEDaS1P_S1Q_EUlS1P_E_NS1_11comp_targetILNS1_3genE8ELNS1_11target_archE1030ELNS1_3gpuE2ELNS1_3repE0EEENS1_30default_config_static_selectorELNS0_4arch9wavefront6targetE1EEEvS12_ ; -- Begin function _ZN7rocprim17ROCPRIM_400000_NS6detail17trampoline_kernelINS0_13select_configILj256ELj13ELNS0_17block_load_methodE3ELS4_3ELS4_3ELNS0_20block_scan_algorithmE0ELj4294967295EEENS1_25partition_config_selectorILNS1_17partition_subalgoE4EjNS0_10empty_typeEbEEZZNS1_14partition_implILS8_4ELb0ES6_15HIP_vector_typeIjLj2EENS0_17counting_iteratorIjlEEPS9_SG_NS0_5tupleIJPjSI_NS0_16reverse_iteratorISI_EEEEENSH_IJSG_SG_SG_EEES9_SI_JZNS1_25segmented_radix_sort_implINS0_14default_configELb1EPKsPsPKlPlN2at6native12_GLOBAL__N_18offset_tEEE10hipError_tPvRmT1_PNSt15iterator_traitsIS12_E10value_typeET2_T3_PNS13_IS18_E10value_typeET4_jRbjT5_S1E_jjP12ihipStream_tbEUljE_ZNSN_ISO_Lb1ESQ_SR_ST_SU_SY_EESZ_S10_S11_S12_S16_S17_S18_S1B_S1C_jS1D_jS1E_S1E_jjS1G_bEUljE0_EEESZ_S10_S11_S18_S1C_S1E_T6_T7_T9_mT8_S1G_bDpT10_ENKUlT_T0_E_clISt17integral_constantIbLb1EES1T_IbLb0EEEEDaS1P_S1Q_EUlS1P_E_NS1_11comp_targetILNS1_3genE8ELNS1_11target_archE1030ELNS1_3gpuE2ELNS1_3repE0EEENS1_30default_config_static_selectorELNS0_4arch9wavefront6targetE1EEEvS12_
	.p2align	8
	.type	_ZN7rocprim17ROCPRIM_400000_NS6detail17trampoline_kernelINS0_13select_configILj256ELj13ELNS0_17block_load_methodE3ELS4_3ELS4_3ELNS0_20block_scan_algorithmE0ELj4294967295EEENS1_25partition_config_selectorILNS1_17partition_subalgoE4EjNS0_10empty_typeEbEEZZNS1_14partition_implILS8_4ELb0ES6_15HIP_vector_typeIjLj2EENS0_17counting_iteratorIjlEEPS9_SG_NS0_5tupleIJPjSI_NS0_16reverse_iteratorISI_EEEEENSH_IJSG_SG_SG_EEES9_SI_JZNS1_25segmented_radix_sort_implINS0_14default_configELb1EPKsPsPKlPlN2at6native12_GLOBAL__N_18offset_tEEE10hipError_tPvRmT1_PNSt15iterator_traitsIS12_E10value_typeET2_T3_PNS13_IS18_E10value_typeET4_jRbjT5_S1E_jjP12ihipStream_tbEUljE_ZNSN_ISO_Lb1ESQ_SR_ST_SU_SY_EESZ_S10_S11_S12_S16_S17_S18_S1B_S1C_jS1D_jS1E_S1E_jjS1G_bEUljE0_EEESZ_S10_S11_S18_S1C_S1E_T6_T7_T9_mT8_S1G_bDpT10_ENKUlT_T0_E_clISt17integral_constantIbLb1EES1T_IbLb0EEEEDaS1P_S1Q_EUlS1P_E_NS1_11comp_targetILNS1_3genE8ELNS1_11target_archE1030ELNS1_3gpuE2ELNS1_3repE0EEENS1_30default_config_static_selectorELNS0_4arch9wavefront6targetE1EEEvS12_,@function
_ZN7rocprim17ROCPRIM_400000_NS6detail17trampoline_kernelINS0_13select_configILj256ELj13ELNS0_17block_load_methodE3ELS4_3ELS4_3ELNS0_20block_scan_algorithmE0ELj4294967295EEENS1_25partition_config_selectorILNS1_17partition_subalgoE4EjNS0_10empty_typeEbEEZZNS1_14partition_implILS8_4ELb0ES6_15HIP_vector_typeIjLj2EENS0_17counting_iteratorIjlEEPS9_SG_NS0_5tupleIJPjSI_NS0_16reverse_iteratorISI_EEEEENSH_IJSG_SG_SG_EEES9_SI_JZNS1_25segmented_radix_sort_implINS0_14default_configELb1EPKsPsPKlPlN2at6native12_GLOBAL__N_18offset_tEEE10hipError_tPvRmT1_PNSt15iterator_traitsIS12_E10value_typeET2_T3_PNS13_IS18_E10value_typeET4_jRbjT5_S1E_jjP12ihipStream_tbEUljE_ZNSN_ISO_Lb1ESQ_SR_ST_SU_SY_EESZ_S10_S11_S12_S16_S17_S18_S1B_S1C_jS1D_jS1E_S1E_jjS1G_bEUljE0_EEESZ_S10_S11_S18_S1C_S1E_T6_T7_T9_mT8_S1G_bDpT10_ENKUlT_T0_E_clISt17integral_constantIbLb1EES1T_IbLb0EEEEDaS1P_S1Q_EUlS1P_E_NS1_11comp_targetILNS1_3genE8ELNS1_11target_archE1030ELNS1_3gpuE2ELNS1_3repE0EEENS1_30default_config_static_selectorELNS0_4arch9wavefront6targetE1EEEvS12_: ; @_ZN7rocprim17ROCPRIM_400000_NS6detail17trampoline_kernelINS0_13select_configILj256ELj13ELNS0_17block_load_methodE3ELS4_3ELS4_3ELNS0_20block_scan_algorithmE0ELj4294967295EEENS1_25partition_config_selectorILNS1_17partition_subalgoE4EjNS0_10empty_typeEbEEZZNS1_14partition_implILS8_4ELb0ES6_15HIP_vector_typeIjLj2EENS0_17counting_iteratorIjlEEPS9_SG_NS0_5tupleIJPjSI_NS0_16reverse_iteratorISI_EEEEENSH_IJSG_SG_SG_EEES9_SI_JZNS1_25segmented_radix_sort_implINS0_14default_configELb1EPKsPsPKlPlN2at6native12_GLOBAL__N_18offset_tEEE10hipError_tPvRmT1_PNSt15iterator_traitsIS12_E10value_typeET2_T3_PNS13_IS18_E10value_typeET4_jRbjT5_S1E_jjP12ihipStream_tbEUljE_ZNSN_ISO_Lb1ESQ_SR_ST_SU_SY_EESZ_S10_S11_S12_S16_S17_S18_S1B_S1C_jS1D_jS1E_S1E_jjS1G_bEUljE0_EEESZ_S10_S11_S18_S1C_S1E_T6_T7_T9_mT8_S1G_bDpT10_ENKUlT_T0_E_clISt17integral_constantIbLb1EES1T_IbLb0EEEEDaS1P_S1Q_EUlS1P_E_NS1_11comp_targetILNS1_3genE8ELNS1_11target_archE1030ELNS1_3gpuE2ELNS1_3repE0EEENS1_30default_config_static_selectorELNS0_4arch9wavefront6targetE1EEEvS12_
; %bb.0:
	.section	.rodata,"a",@progbits
	.p2align	6, 0x0
	.amdhsa_kernel _ZN7rocprim17ROCPRIM_400000_NS6detail17trampoline_kernelINS0_13select_configILj256ELj13ELNS0_17block_load_methodE3ELS4_3ELS4_3ELNS0_20block_scan_algorithmE0ELj4294967295EEENS1_25partition_config_selectorILNS1_17partition_subalgoE4EjNS0_10empty_typeEbEEZZNS1_14partition_implILS8_4ELb0ES6_15HIP_vector_typeIjLj2EENS0_17counting_iteratorIjlEEPS9_SG_NS0_5tupleIJPjSI_NS0_16reverse_iteratorISI_EEEEENSH_IJSG_SG_SG_EEES9_SI_JZNS1_25segmented_radix_sort_implINS0_14default_configELb1EPKsPsPKlPlN2at6native12_GLOBAL__N_18offset_tEEE10hipError_tPvRmT1_PNSt15iterator_traitsIS12_E10value_typeET2_T3_PNS13_IS18_E10value_typeET4_jRbjT5_S1E_jjP12ihipStream_tbEUljE_ZNSN_ISO_Lb1ESQ_SR_ST_SU_SY_EESZ_S10_S11_S12_S16_S17_S18_S1B_S1C_jS1D_jS1E_S1E_jjS1G_bEUljE0_EEESZ_S10_S11_S18_S1C_S1E_T6_T7_T9_mT8_S1G_bDpT10_ENKUlT_T0_E_clISt17integral_constantIbLb1EES1T_IbLb0EEEEDaS1P_S1Q_EUlS1P_E_NS1_11comp_targetILNS1_3genE8ELNS1_11target_archE1030ELNS1_3gpuE2ELNS1_3repE0EEENS1_30default_config_static_selectorELNS0_4arch9wavefront6targetE1EEEvS12_
		.amdhsa_group_segment_fixed_size 0
		.amdhsa_private_segment_fixed_size 0
		.amdhsa_kernarg_size 176
		.amdhsa_user_sgpr_count 6
		.amdhsa_user_sgpr_private_segment_buffer 1
		.amdhsa_user_sgpr_dispatch_ptr 0
		.amdhsa_user_sgpr_queue_ptr 0
		.amdhsa_user_sgpr_kernarg_segment_ptr 1
		.amdhsa_user_sgpr_dispatch_id 0
		.amdhsa_user_sgpr_flat_scratch_init 0
		.amdhsa_user_sgpr_private_segment_size 0
		.amdhsa_uses_dynamic_stack 0
		.amdhsa_system_sgpr_private_segment_wavefront_offset 0
		.amdhsa_system_sgpr_workgroup_id_x 1
		.amdhsa_system_sgpr_workgroup_id_y 0
		.amdhsa_system_sgpr_workgroup_id_z 0
		.amdhsa_system_sgpr_workgroup_info 0
		.amdhsa_system_vgpr_workitem_id 0
		.amdhsa_next_free_vgpr 1
		.amdhsa_next_free_sgpr 0
		.amdhsa_reserve_vcc 0
		.amdhsa_reserve_flat_scratch 0
		.amdhsa_float_round_mode_32 0
		.amdhsa_float_round_mode_16_64 0
		.amdhsa_float_denorm_mode_32 3
		.amdhsa_float_denorm_mode_16_64 3
		.amdhsa_dx10_clamp 1
		.amdhsa_ieee_mode 1
		.amdhsa_fp16_overflow 0
		.amdhsa_exception_fp_ieee_invalid_op 0
		.amdhsa_exception_fp_denorm_src 0
		.amdhsa_exception_fp_ieee_div_zero 0
		.amdhsa_exception_fp_ieee_overflow 0
		.amdhsa_exception_fp_ieee_underflow 0
		.amdhsa_exception_fp_ieee_inexact 0
		.amdhsa_exception_int_div_zero 0
	.end_amdhsa_kernel
	.section	.text._ZN7rocprim17ROCPRIM_400000_NS6detail17trampoline_kernelINS0_13select_configILj256ELj13ELNS0_17block_load_methodE3ELS4_3ELS4_3ELNS0_20block_scan_algorithmE0ELj4294967295EEENS1_25partition_config_selectorILNS1_17partition_subalgoE4EjNS0_10empty_typeEbEEZZNS1_14partition_implILS8_4ELb0ES6_15HIP_vector_typeIjLj2EENS0_17counting_iteratorIjlEEPS9_SG_NS0_5tupleIJPjSI_NS0_16reverse_iteratorISI_EEEEENSH_IJSG_SG_SG_EEES9_SI_JZNS1_25segmented_radix_sort_implINS0_14default_configELb1EPKsPsPKlPlN2at6native12_GLOBAL__N_18offset_tEEE10hipError_tPvRmT1_PNSt15iterator_traitsIS12_E10value_typeET2_T3_PNS13_IS18_E10value_typeET4_jRbjT5_S1E_jjP12ihipStream_tbEUljE_ZNSN_ISO_Lb1ESQ_SR_ST_SU_SY_EESZ_S10_S11_S12_S16_S17_S18_S1B_S1C_jS1D_jS1E_S1E_jjS1G_bEUljE0_EEESZ_S10_S11_S18_S1C_S1E_T6_T7_T9_mT8_S1G_bDpT10_ENKUlT_T0_E_clISt17integral_constantIbLb1EES1T_IbLb0EEEEDaS1P_S1Q_EUlS1P_E_NS1_11comp_targetILNS1_3genE8ELNS1_11target_archE1030ELNS1_3gpuE2ELNS1_3repE0EEENS1_30default_config_static_selectorELNS0_4arch9wavefront6targetE1EEEvS12_,"axG",@progbits,_ZN7rocprim17ROCPRIM_400000_NS6detail17trampoline_kernelINS0_13select_configILj256ELj13ELNS0_17block_load_methodE3ELS4_3ELS4_3ELNS0_20block_scan_algorithmE0ELj4294967295EEENS1_25partition_config_selectorILNS1_17partition_subalgoE4EjNS0_10empty_typeEbEEZZNS1_14partition_implILS8_4ELb0ES6_15HIP_vector_typeIjLj2EENS0_17counting_iteratorIjlEEPS9_SG_NS0_5tupleIJPjSI_NS0_16reverse_iteratorISI_EEEEENSH_IJSG_SG_SG_EEES9_SI_JZNS1_25segmented_radix_sort_implINS0_14default_configELb1EPKsPsPKlPlN2at6native12_GLOBAL__N_18offset_tEEE10hipError_tPvRmT1_PNSt15iterator_traitsIS12_E10value_typeET2_T3_PNS13_IS18_E10value_typeET4_jRbjT5_S1E_jjP12ihipStream_tbEUljE_ZNSN_ISO_Lb1ESQ_SR_ST_SU_SY_EESZ_S10_S11_S12_S16_S17_S18_S1B_S1C_jS1D_jS1E_S1E_jjS1G_bEUljE0_EEESZ_S10_S11_S18_S1C_S1E_T6_T7_T9_mT8_S1G_bDpT10_ENKUlT_T0_E_clISt17integral_constantIbLb1EES1T_IbLb0EEEEDaS1P_S1Q_EUlS1P_E_NS1_11comp_targetILNS1_3genE8ELNS1_11target_archE1030ELNS1_3gpuE2ELNS1_3repE0EEENS1_30default_config_static_selectorELNS0_4arch9wavefront6targetE1EEEvS12_,comdat
.Lfunc_end870:
	.size	_ZN7rocprim17ROCPRIM_400000_NS6detail17trampoline_kernelINS0_13select_configILj256ELj13ELNS0_17block_load_methodE3ELS4_3ELS4_3ELNS0_20block_scan_algorithmE0ELj4294967295EEENS1_25partition_config_selectorILNS1_17partition_subalgoE4EjNS0_10empty_typeEbEEZZNS1_14partition_implILS8_4ELb0ES6_15HIP_vector_typeIjLj2EENS0_17counting_iteratorIjlEEPS9_SG_NS0_5tupleIJPjSI_NS0_16reverse_iteratorISI_EEEEENSH_IJSG_SG_SG_EEES9_SI_JZNS1_25segmented_radix_sort_implINS0_14default_configELb1EPKsPsPKlPlN2at6native12_GLOBAL__N_18offset_tEEE10hipError_tPvRmT1_PNSt15iterator_traitsIS12_E10value_typeET2_T3_PNS13_IS18_E10value_typeET4_jRbjT5_S1E_jjP12ihipStream_tbEUljE_ZNSN_ISO_Lb1ESQ_SR_ST_SU_SY_EESZ_S10_S11_S12_S16_S17_S18_S1B_S1C_jS1D_jS1E_S1E_jjS1G_bEUljE0_EEESZ_S10_S11_S18_S1C_S1E_T6_T7_T9_mT8_S1G_bDpT10_ENKUlT_T0_E_clISt17integral_constantIbLb1EES1T_IbLb0EEEEDaS1P_S1Q_EUlS1P_E_NS1_11comp_targetILNS1_3genE8ELNS1_11target_archE1030ELNS1_3gpuE2ELNS1_3repE0EEENS1_30default_config_static_selectorELNS0_4arch9wavefront6targetE1EEEvS12_, .Lfunc_end870-_ZN7rocprim17ROCPRIM_400000_NS6detail17trampoline_kernelINS0_13select_configILj256ELj13ELNS0_17block_load_methodE3ELS4_3ELS4_3ELNS0_20block_scan_algorithmE0ELj4294967295EEENS1_25partition_config_selectorILNS1_17partition_subalgoE4EjNS0_10empty_typeEbEEZZNS1_14partition_implILS8_4ELb0ES6_15HIP_vector_typeIjLj2EENS0_17counting_iteratorIjlEEPS9_SG_NS0_5tupleIJPjSI_NS0_16reverse_iteratorISI_EEEEENSH_IJSG_SG_SG_EEES9_SI_JZNS1_25segmented_radix_sort_implINS0_14default_configELb1EPKsPsPKlPlN2at6native12_GLOBAL__N_18offset_tEEE10hipError_tPvRmT1_PNSt15iterator_traitsIS12_E10value_typeET2_T3_PNS13_IS18_E10value_typeET4_jRbjT5_S1E_jjP12ihipStream_tbEUljE_ZNSN_ISO_Lb1ESQ_SR_ST_SU_SY_EESZ_S10_S11_S12_S16_S17_S18_S1B_S1C_jS1D_jS1E_S1E_jjS1G_bEUljE0_EEESZ_S10_S11_S18_S1C_S1E_T6_T7_T9_mT8_S1G_bDpT10_ENKUlT_T0_E_clISt17integral_constantIbLb1EES1T_IbLb0EEEEDaS1P_S1Q_EUlS1P_E_NS1_11comp_targetILNS1_3genE8ELNS1_11target_archE1030ELNS1_3gpuE2ELNS1_3repE0EEENS1_30default_config_static_selectorELNS0_4arch9wavefront6targetE1EEEvS12_
                                        ; -- End function
	.set _ZN7rocprim17ROCPRIM_400000_NS6detail17trampoline_kernelINS0_13select_configILj256ELj13ELNS0_17block_load_methodE3ELS4_3ELS4_3ELNS0_20block_scan_algorithmE0ELj4294967295EEENS1_25partition_config_selectorILNS1_17partition_subalgoE4EjNS0_10empty_typeEbEEZZNS1_14partition_implILS8_4ELb0ES6_15HIP_vector_typeIjLj2EENS0_17counting_iteratorIjlEEPS9_SG_NS0_5tupleIJPjSI_NS0_16reverse_iteratorISI_EEEEENSH_IJSG_SG_SG_EEES9_SI_JZNS1_25segmented_radix_sort_implINS0_14default_configELb1EPKsPsPKlPlN2at6native12_GLOBAL__N_18offset_tEEE10hipError_tPvRmT1_PNSt15iterator_traitsIS12_E10value_typeET2_T3_PNS13_IS18_E10value_typeET4_jRbjT5_S1E_jjP12ihipStream_tbEUljE_ZNSN_ISO_Lb1ESQ_SR_ST_SU_SY_EESZ_S10_S11_S12_S16_S17_S18_S1B_S1C_jS1D_jS1E_S1E_jjS1G_bEUljE0_EEESZ_S10_S11_S18_S1C_S1E_T6_T7_T9_mT8_S1G_bDpT10_ENKUlT_T0_E_clISt17integral_constantIbLb1EES1T_IbLb0EEEEDaS1P_S1Q_EUlS1P_E_NS1_11comp_targetILNS1_3genE8ELNS1_11target_archE1030ELNS1_3gpuE2ELNS1_3repE0EEENS1_30default_config_static_selectorELNS0_4arch9wavefront6targetE1EEEvS12_.num_vgpr, 0
	.set _ZN7rocprim17ROCPRIM_400000_NS6detail17trampoline_kernelINS0_13select_configILj256ELj13ELNS0_17block_load_methodE3ELS4_3ELS4_3ELNS0_20block_scan_algorithmE0ELj4294967295EEENS1_25partition_config_selectorILNS1_17partition_subalgoE4EjNS0_10empty_typeEbEEZZNS1_14partition_implILS8_4ELb0ES6_15HIP_vector_typeIjLj2EENS0_17counting_iteratorIjlEEPS9_SG_NS0_5tupleIJPjSI_NS0_16reverse_iteratorISI_EEEEENSH_IJSG_SG_SG_EEES9_SI_JZNS1_25segmented_radix_sort_implINS0_14default_configELb1EPKsPsPKlPlN2at6native12_GLOBAL__N_18offset_tEEE10hipError_tPvRmT1_PNSt15iterator_traitsIS12_E10value_typeET2_T3_PNS13_IS18_E10value_typeET4_jRbjT5_S1E_jjP12ihipStream_tbEUljE_ZNSN_ISO_Lb1ESQ_SR_ST_SU_SY_EESZ_S10_S11_S12_S16_S17_S18_S1B_S1C_jS1D_jS1E_S1E_jjS1G_bEUljE0_EEESZ_S10_S11_S18_S1C_S1E_T6_T7_T9_mT8_S1G_bDpT10_ENKUlT_T0_E_clISt17integral_constantIbLb1EES1T_IbLb0EEEEDaS1P_S1Q_EUlS1P_E_NS1_11comp_targetILNS1_3genE8ELNS1_11target_archE1030ELNS1_3gpuE2ELNS1_3repE0EEENS1_30default_config_static_selectorELNS0_4arch9wavefront6targetE1EEEvS12_.num_agpr, 0
	.set _ZN7rocprim17ROCPRIM_400000_NS6detail17trampoline_kernelINS0_13select_configILj256ELj13ELNS0_17block_load_methodE3ELS4_3ELS4_3ELNS0_20block_scan_algorithmE0ELj4294967295EEENS1_25partition_config_selectorILNS1_17partition_subalgoE4EjNS0_10empty_typeEbEEZZNS1_14partition_implILS8_4ELb0ES6_15HIP_vector_typeIjLj2EENS0_17counting_iteratorIjlEEPS9_SG_NS0_5tupleIJPjSI_NS0_16reverse_iteratorISI_EEEEENSH_IJSG_SG_SG_EEES9_SI_JZNS1_25segmented_radix_sort_implINS0_14default_configELb1EPKsPsPKlPlN2at6native12_GLOBAL__N_18offset_tEEE10hipError_tPvRmT1_PNSt15iterator_traitsIS12_E10value_typeET2_T3_PNS13_IS18_E10value_typeET4_jRbjT5_S1E_jjP12ihipStream_tbEUljE_ZNSN_ISO_Lb1ESQ_SR_ST_SU_SY_EESZ_S10_S11_S12_S16_S17_S18_S1B_S1C_jS1D_jS1E_S1E_jjS1G_bEUljE0_EEESZ_S10_S11_S18_S1C_S1E_T6_T7_T9_mT8_S1G_bDpT10_ENKUlT_T0_E_clISt17integral_constantIbLb1EES1T_IbLb0EEEEDaS1P_S1Q_EUlS1P_E_NS1_11comp_targetILNS1_3genE8ELNS1_11target_archE1030ELNS1_3gpuE2ELNS1_3repE0EEENS1_30default_config_static_selectorELNS0_4arch9wavefront6targetE1EEEvS12_.numbered_sgpr, 0
	.set _ZN7rocprim17ROCPRIM_400000_NS6detail17trampoline_kernelINS0_13select_configILj256ELj13ELNS0_17block_load_methodE3ELS4_3ELS4_3ELNS0_20block_scan_algorithmE0ELj4294967295EEENS1_25partition_config_selectorILNS1_17partition_subalgoE4EjNS0_10empty_typeEbEEZZNS1_14partition_implILS8_4ELb0ES6_15HIP_vector_typeIjLj2EENS0_17counting_iteratorIjlEEPS9_SG_NS0_5tupleIJPjSI_NS0_16reverse_iteratorISI_EEEEENSH_IJSG_SG_SG_EEES9_SI_JZNS1_25segmented_radix_sort_implINS0_14default_configELb1EPKsPsPKlPlN2at6native12_GLOBAL__N_18offset_tEEE10hipError_tPvRmT1_PNSt15iterator_traitsIS12_E10value_typeET2_T3_PNS13_IS18_E10value_typeET4_jRbjT5_S1E_jjP12ihipStream_tbEUljE_ZNSN_ISO_Lb1ESQ_SR_ST_SU_SY_EESZ_S10_S11_S12_S16_S17_S18_S1B_S1C_jS1D_jS1E_S1E_jjS1G_bEUljE0_EEESZ_S10_S11_S18_S1C_S1E_T6_T7_T9_mT8_S1G_bDpT10_ENKUlT_T0_E_clISt17integral_constantIbLb1EES1T_IbLb0EEEEDaS1P_S1Q_EUlS1P_E_NS1_11comp_targetILNS1_3genE8ELNS1_11target_archE1030ELNS1_3gpuE2ELNS1_3repE0EEENS1_30default_config_static_selectorELNS0_4arch9wavefront6targetE1EEEvS12_.num_named_barrier, 0
	.set _ZN7rocprim17ROCPRIM_400000_NS6detail17trampoline_kernelINS0_13select_configILj256ELj13ELNS0_17block_load_methodE3ELS4_3ELS4_3ELNS0_20block_scan_algorithmE0ELj4294967295EEENS1_25partition_config_selectorILNS1_17partition_subalgoE4EjNS0_10empty_typeEbEEZZNS1_14partition_implILS8_4ELb0ES6_15HIP_vector_typeIjLj2EENS0_17counting_iteratorIjlEEPS9_SG_NS0_5tupleIJPjSI_NS0_16reverse_iteratorISI_EEEEENSH_IJSG_SG_SG_EEES9_SI_JZNS1_25segmented_radix_sort_implINS0_14default_configELb1EPKsPsPKlPlN2at6native12_GLOBAL__N_18offset_tEEE10hipError_tPvRmT1_PNSt15iterator_traitsIS12_E10value_typeET2_T3_PNS13_IS18_E10value_typeET4_jRbjT5_S1E_jjP12ihipStream_tbEUljE_ZNSN_ISO_Lb1ESQ_SR_ST_SU_SY_EESZ_S10_S11_S12_S16_S17_S18_S1B_S1C_jS1D_jS1E_S1E_jjS1G_bEUljE0_EEESZ_S10_S11_S18_S1C_S1E_T6_T7_T9_mT8_S1G_bDpT10_ENKUlT_T0_E_clISt17integral_constantIbLb1EES1T_IbLb0EEEEDaS1P_S1Q_EUlS1P_E_NS1_11comp_targetILNS1_3genE8ELNS1_11target_archE1030ELNS1_3gpuE2ELNS1_3repE0EEENS1_30default_config_static_selectorELNS0_4arch9wavefront6targetE1EEEvS12_.private_seg_size, 0
	.set _ZN7rocprim17ROCPRIM_400000_NS6detail17trampoline_kernelINS0_13select_configILj256ELj13ELNS0_17block_load_methodE3ELS4_3ELS4_3ELNS0_20block_scan_algorithmE0ELj4294967295EEENS1_25partition_config_selectorILNS1_17partition_subalgoE4EjNS0_10empty_typeEbEEZZNS1_14partition_implILS8_4ELb0ES6_15HIP_vector_typeIjLj2EENS0_17counting_iteratorIjlEEPS9_SG_NS0_5tupleIJPjSI_NS0_16reverse_iteratorISI_EEEEENSH_IJSG_SG_SG_EEES9_SI_JZNS1_25segmented_radix_sort_implINS0_14default_configELb1EPKsPsPKlPlN2at6native12_GLOBAL__N_18offset_tEEE10hipError_tPvRmT1_PNSt15iterator_traitsIS12_E10value_typeET2_T3_PNS13_IS18_E10value_typeET4_jRbjT5_S1E_jjP12ihipStream_tbEUljE_ZNSN_ISO_Lb1ESQ_SR_ST_SU_SY_EESZ_S10_S11_S12_S16_S17_S18_S1B_S1C_jS1D_jS1E_S1E_jjS1G_bEUljE0_EEESZ_S10_S11_S18_S1C_S1E_T6_T7_T9_mT8_S1G_bDpT10_ENKUlT_T0_E_clISt17integral_constantIbLb1EES1T_IbLb0EEEEDaS1P_S1Q_EUlS1P_E_NS1_11comp_targetILNS1_3genE8ELNS1_11target_archE1030ELNS1_3gpuE2ELNS1_3repE0EEENS1_30default_config_static_selectorELNS0_4arch9wavefront6targetE1EEEvS12_.uses_vcc, 0
	.set _ZN7rocprim17ROCPRIM_400000_NS6detail17trampoline_kernelINS0_13select_configILj256ELj13ELNS0_17block_load_methodE3ELS4_3ELS4_3ELNS0_20block_scan_algorithmE0ELj4294967295EEENS1_25partition_config_selectorILNS1_17partition_subalgoE4EjNS0_10empty_typeEbEEZZNS1_14partition_implILS8_4ELb0ES6_15HIP_vector_typeIjLj2EENS0_17counting_iteratorIjlEEPS9_SG_NS0_5tupleIJPjSI_NS0_16reverse_iteratorISI_EEEEENSH_IJSG_SG_SG_EEES9_SI_JZNS1_25segmented_radix_sort_implINS0_14default_configELb1EPKsPsPKlPlN2at6native12_GLOBAL__N_18offset_tEEE10hipError_tPvRmT1_PNSt15iterator_traitsIS12_E10value_typeET2_T3_PNS13_IS18_E10value_typeET4_jRbjT5_S1E_jjP12ihipStream_tbEUljE_ZNSN_ISO_Lb1ESQ_SR_ST_SU_SY_EESZ_S10_S11_S12_S16_S17_S18_S1B_S1C_jS1D_jS1E_S1E_jjS1G_bEUljE0_EEESZ_S10_S11_S18_S1C_S1E_T6_T7_T9_mT8_S1G_bDpT10_ENKUlT_T0_E_clISt17integral_constantIbLb1EES1T_IbLb0EEEEDaS1P_S1Q_EUlS1P_E_NS1_11comp_targetILNS1_3genE8ELNS1_11target_archE1030ELNS1_3gpuE2ELNS1_3repE0EEENS1_30default_config_static_selectorELNS0_4arch9wavefront6targetE1EEEvS12_.uses_flat_scratch, 0
	.set _ZN7rocprim17ROCPRIM_400000_NS6detail17trampoline_kernelINS0_13select_configILj256ELj13ELNS0_17block_load_methodE3ELS4_3ELS4_3ELNS0_20block_scan_algorithmE0ELj4294967295EEENS1_25partition_config_selectorILNS1_17partition_subalgoE4EjNS0_10empty_typeEbEEZZNS1_14partition_implILS8_4ELb0ES6_15HIP_vector_typeIjLj2EENS0_17counting_iteratorIjlEEPS9_SG_NS0_5tupleIJPjSI_NS0_16reverse_iteratorISI_EEEEENSH_IJSG_SG_SG_EEES9_SI_JZNS1_25segmented_radix_sort_implINS0_14default_configELb1EPKsPsPKlPlN2at6native12_GLOBAL__N_18offset_tEEE10hipError_tPvRmT1_PNSt15iterator_traitsIS12_E10value_typeET2_T3_PNS13_IS18_E10value_typeET4_jRbjT5_S1E_jjP12ihipStream_tbEUljE_ZNSN_ISO_Lb1ESQ_SR_ST_SU_SY_EESZ_S10_S11_S12_S16_S17_S18_S1B_S1C_jS1D_jS1E_S1E_jjS1G_bEUljE0_EEESZ_S10_S11_S18_S1C_S1E_T6_T7_T9_mT8_S1G_bDpT10_ENKUlT_T0_E_clISt17integral_constantIbLb1EES1T_IbLb0EEEEDaS1P_S1Q_EUlS1P_E_NS1_11comp_targetILNS1_3genE8ELNS1_11target_archE1030ELNS1_3gpuE2ELNS1_3repE0EEENS1_30default_config_static_selectorELNS0_4arch9wavefront6targetE1EEEvS12_.has_dyn_sized_stack, 0
	.set _ZN7rocprim17ROCPRIM_400000_NS6detail17trampoline_kernelINS0_13select_configILj256ELj13ELNS0_17block_load_methodE3ELS4_3ELS4_3ELNS0_20block_scan_algorithmE0ELj4294967295EEENS1_25partition_config_selectorILNS1_17partition_subalgoE4EjNS0_10empty_typeEbEEZZNS1_14partition_implILS8_4ELb0ES6_15HIP_vector_typeIjLj2EENS0_17counting_iteratorIjlEEPS9_SG_NS0_5tupleIJPjSI_NS0_16reverse_iteratorISI_EEEEENSH_IJSG_SG_SG_EEES9_SI_JZNS1_25segmented_radix_sort_implINS0_14default_configELb1EPKsPsPKlPlN2at6native12_GLOBAL__N_18offset_tEEE10hipError_tPvRmT1_PNSt15iterator_traitsIS12_E10value_typeET2_T3_PNS13_IS18_E10value_typeET4_jRbjT5_S1E_jjP12ihipStream_tbEUljE_ZNSN_ISO_Lb1ESQ_SR_ST_SU_SY_EESZ_S10_S11_S12_S16_S17_S18_S1B_S1C_jS1D_jS1E_S1E_jjS1G_bEUljE0_EEESZ_S10_S11_S18_S1C_S1E_T6_T7_T9_mT8_S1G_bDpT10_ENKUlT_T0_E_clISt17integral_constantIbLb1EES1T_IbLb0EEEEDaS1P_S1Q_EUlS1P_E_NS1_11comp_targetILNS1_3genE8ELNS1_11target_archE1030ELNS1_3gpuE2ELNS1_3repE0EEENS1_30default_config_static_selectorELNS0_4arch9wavefront6targetE1EEEvS12_.has_recursion, 0
	.set _ZN7rocprim17ROCPRIM_400000_NS6detail17trampoline_kernelINS0_13select_configILj256ELj13ELNS0_17block_load_methodE3ELS4_3ELS4_3ELNS0_20block_scan_algorithmE0ELj4294967295EEENS1_25partition_config_selectorILNS1_17partition_subalgoE4EjNS0_10empty_typeEbEEZZNS1_14partition_implILS8_4ELb0ES6_15HIP_vector_typeIjLj2EENS0_17counting_iteratorIjlEEPS9_SG_NS0_5tupleIJPjSI_NS0_16reverse_iteratorISI_EEEEENSH_IJSG_SG_SG_EEES9_SI_JZNS1_25segmented_radix_sort_implINS0_14default_configELb1EPKsPsPKlPlN2at6native12_GLOBAL__N_18offset_tEEE10hipError_tPvRmT1_PNSt15iterator_traitsIS12_E10value_typeET2_T3_PNS13_IS18_E10value_typeET4_jRbjT5_S1E_jjP12ihipStream_tbEUljE_ZNSN_ISO_Lb1ESQ_SR_ST_SU_SY_EESZ_S10_S11_S12_S16_S17_S18_S1B_S1C_jS1D_jS1E_S1E_jjS1G_bEUljE0_EEESZ_S10_S11_S18_S1C_S1E_T6_T7_T9_mT8_S1G_bDpT10_ENKUlT_T0_E_clISt17integral_constantIbLb1EES1T_IbLb0EEEEDaS1P_S1Q_EUlS1P_E_NS1_11comp_targetILNS1_3genE8ELNS1_11target_archE1030ELNS1_3gpuE2ELNS1_3repE0EEENS1_30default_config_static_selectorELNS0_4arch9wavefront6targetE1EEEvS12_.has_indirect_call, 0
	.section	.AMDGPU.csdata,"",@progbits
; Kernel info:
; codeLenInByte = 0
; TotalNumSgprs: 4
; NumVgprs: 0
; ScratchSize: 0
; MemoryBound: 0
; FloatMode: 240
; IeeeMode: 1
; LDSByteSize: 0 bytes/workgroup (compile time only)
; SGPRBlocks: 0
; VGPRBlocks: 0
; NumSGPRsForWavesPerEU: 4
; NumVGPRsForWavesPerEU: 1
; Occupancy: 10
; WaveLimiterHint : 0
; COMPUTE_PGM_RSRC2:SCRATCH_EN: 0
; COMPUTE_PGM_RSRC2:USER_SGPR: 6
; COMPUTE_PGM_RSRC2:TRAP_HANDLER: 0
; COMPUTE_PGM_RSRC2:TGID_X_EN: 1
; COMPUTE_PGM_RSRC2:TGID_Y_EN: 0
; COMPUTE_PGM_RSRC2:TGID_Z_EN: 0
; COMPUTE_PGM_RSRC2:TIDIG_COMP_CNT: 0
	.section	.text._ZN7rocprim17ROCPRIM_400000_NS6detail17trampoline_kernelINS0_13select_configILj256ELj13ELNS0_17block_load_methodE3ELS4_3ELS4_3ELNS0_20block_scan_algorithmE0ELj4294967295EEENS1_25partition_config_selectorILNS1_17partition_subalgoE4EjNS0_10empty_typeEbEEZZNS1_14partition_implILS8_4ELb0ES6_15HIP_vector_typeIjLj2EENS0_17counting_iteratorIjlEEPS9_SG_NS0_5tupleIJPjSI_NS0_16reverse_iteratorISI_EEEEENSH_IJSG_SG_SG_EEES9_SI_JZNS1_25segmented_radix_sort_implINS0_14default_configELb1EPKsPsPKlPlN2at6native12_GLOBAL__N_18offset_tEEE10hipError_tPvRmT1_PNSt15iterator_traitsIS12_E10value_typeET2_T3_PNS13_IS18_E10value_typeET4_jRbjT5_S1E_jjP12ihipStream_tbEUljE_ZNSN_ISO_Lb1ESQ_SR_ST_SU_SY_EESZ_S10_S11_S12_S16_S17_S18_S1B_S1C_jS1D_jS1E_S1E_jjS1G_bEUljE0_EEESZ_S10_S11_S18_S1C_S1E_T6_T7_T9_mT8_S1G_bDpT10_ENKUlT_T0_E_clISt17integral_constantIbLb0EES1T_IbLb1EEEEDaS1P_S1Q_EUlS1P_E_NS1_11comp_targetILNS1_3genE0ELNS1_11target_archE4294967295ELNS1_3gpuE0ELNS1_3repE0EEENS1_30default_config_static_selectorELNS0_4arch9wavefront6targetE1EEEvS12_,"axG",@progbits,_ZN7rocprim17ROCPRIM_400000_NS6detail17trampoline_kernelINS0_13select_configILj256ELj13ELNS0_17block_load_methodE3ELS4_3ELS4_3ELNS0_20block_scan_algorithmE0ELj4294967295EEENS1_25partition_config_selectorILNS1_17partition_subalgoE4EjNS0_10empty_typeEbEEZZNS1_14partition_implILS8_4ELb0ES6_15HIP_vector_typeIjLj2EENS0_17counting_iteratorIjlEEPS9_SG_NS0_5tupleIJPjSI_NS0_16reverse_iteratorISI_EEEEENSH_IJSG_SG_SG_EEES9_SI_JZNS1_25segmented_radix_sort_implINS0_14default_configELb1EPKsPsPKlPlN2at6native12_GLOBAL__N_18offset_tEEE10hipError_tPvRmT1_PNSt15iterator_traitsIS12_E10value_typeET2_T3_PNS13_IS18_E10value_typeET4_jRbjT5_S1E_jjP12ihipStream_tbEUljE_ZNSN_ISO_Lb1ESQ_SR_ST_SU_SY_EESZ_S10_S11_S12_S16_S17_S18_S1B_S1C_jS1D_jS1E_S1E_jjS1G_bEUljE0_EEESZ_S10_S11_S18_S1C_S1E_T6_T7_T9_mT8_S1G_bDpT10_ENKUlT_T0_E_clISt17integral_constantIbLb0EES1T_IbLb1EEEEDaS1P_S1Q_EUlS1P_E_NS1_11comp_targetILNS1_3genE0ELNS1_11target_archE4294967295ELNS1_3gpuE0ELNS1_3repE0EEENS1_30default_config_static_selectorELNS0_4arch9wavefront6targetE1EEEvS12_,comdat
	.globl	_ZN7rocprim17ROCPRIM_400000_NS6detail17trampoline_kernelINS0_13select_configILj256ELj13ELNS0_17block_load_methodE3ELS4_3ELS4_3ELNS0_20block_scan_algorithmE0ELj4294967295EEENS1_25partition_config_selectorILNS1_17partition_subalgoE4EjNS0_10empty_typeEbEEZZNS1_14partition_implILS8_4ELb0ES6_15HIP_vector_typeIjLj2EENS0_17counting_iteratorIjlEEPS9_SG_NS0_5tupleIJPjSI_NS0_16reverse_iteratorISI_EEEEENSH_IJSG_SG_SG_EEES9_SI_JZNS1_25segmented_radix_sort_implINS0_14default_configELb1EPKsPsPKlPlN2at6native12_GLOBAL__N_18offset_tEEE10hipError_tPvRmT1_PNSt15iterator_traitsIS12_E10value_typeET2_T3_PNS13_IS18_E10value_typeET4_jRbjT5_S1E_jjP12ihipStream_tbEUljE_ZNSN_ISO_Lb1ESQ_SR_ST_SU_SY_EESZ_S10_S11_S12_S16_S17_S18_S1B_S1C_jS1D_jS1E_S1E_jjS1G_bEUljE0_EEESZ_S10_S11_S18_S1C_S1E_T6_T7_T9_mT8_S1G_bDpT10_ENKUlT_T0_E_clISt17integral_constantIbLb0EES1T_IbLb1EEEEDaS1P_S1Q_EUlS1P_E_NS1_11comp_targetILNS1_3genE0ELNS1_11target_archE4294967295ELNS1_3gpuE0ELNS1_3repE0EEENS1_30default_config_static_selectorELNS0_4arch9wavefront6targetE1EEEvS12_ ; -- Begin function _ZN7rocprim17ROCPRIM_400000_NS6detail17trampoline_kernelINS0_13select_configILj256ELj13ELNS0_17block_load_methodE3ELS4_3ELS4_3ELNS0_20block_scan_algorithmE0ELj4294967295EEENS1_25partition_config_selectorILNS1_17partition_subalgoE4EjNS0_10empty_typeEbEEZZNS1_14partition_implILS8_4ELb0ES6_15HIP_vector_typeIjLj2EENS0_17counting_iteratorIjlEEPS9_SG_NS0_5tupleIJPjSI_NS0_16reverse_iteratorISI_EEEEENSH_IJSG_SG_SG_EEES9_SI_JZNS1_25segmented_radix_sort_implINS0_14default_configELb1EPKsPsPKlPlN2at6native12_GLOBAL__N_18offset_tEEE10hipError_tPvRmT1_PNSt15iterator_traitsIS12_E10value_typeET2_T3_PNS13_IS18_E10value_typeET4_jRbjT5_S1E_jjP12ihipStream_tbEUljE_ZNSN_ISO_Lb1ESQ_SR_ST_SU_SY_EESZ_S10_S11_S12_S16_S17_S18_S1B_S1C_jS1D_jS1E_S1E_jjS1G_bEUljE0_EEESZ_S10_S11_S18_S1C_S1E_T6_T7_T9_mT8_S1G_bDpT10_ENKUlT_T0_E_clISt17integral_constantIbLb0EES1T_IbLb1EEEEDaS1P_S1Q_EUlS1P_E_NS1_11comp_targetILNS1_3genE0ELNS1_11target_archE4294967295ELNS1_3gpuE0ELNS1_3repE0EEENS1_30default_config_static_selectorELNS0_4arch9wavefront6targetE1EEEvS12_
	.p2align	8
	.type	_ZN7rocprim17ROCPRIM_400000_NS6detail17trampoline_kernelINS0_13select_configILj256ELj13ELNS0_17block_load_methodE3ELS4_3ELS4_3ELNS0_20block_scan_algorithmE0ELj4294967295EEENS1_25partition_config_selectorILNS1_17partition_subalgoE4EjNS0_10empty_typeEbEEZZNS1_14partition_implILS8_4ELb0ES6_15HIP_vector_typeIjLj2EENS0_17counting_iteratorIjlEEPS9_SG_NS0_5tupleIJPjSI_NS0_16reverse_iteratorISI_EEEEENSH_IJSG_SG_SG_EEES9_SI_JZNS1_25segmented_radix_sort_implINS0_14default_configELb1EPKsPsPKlPlN2at6native12_GLOBAL__N_18offset_tEEE10hipError_tPvRmT1_PNSt15iterator_traitsIS12_E10value_typeET2_T3_PNS13_IS18_E10value_typeET4_jRbjT5_S1E_jjP12ihipStream_tbEUljE_ZNSN_ISO_Lb1ESQ_SR_ST_SU_SY_EESZ_S10_S11_S12_S16_S17_S18_S1B_S1C_jS1D_jS1E_S1E_jjS1G_bEUljE0_EEESZ_S10_S11_S18_S1C_S1E_T6_T7_T9_mT8_S1G_bDpT10_ENKUlT_T0_E_clISt17integral_constantIbLb0EES1T_IbLb1EEEEDaS1P_S1Q_EUlS1P_E_NS1_11comp_targetILNS1_3genE0ELNS1_11target_archE4294967295ELNS1_3gpuE0ELNS1_3repE0EEENS1_30default_config_static_selectorELNS0_4arch9wavefront6targetE1EEEvS12_,@function
_ZN7rocprim17ROCPRIM_400000_NS6detail17trampoline_kernelINS0_13select_configILj256ELj13ELNS0_17block_load_methodE3ELS4_3ELS4_3ELNS0_20block_scan_algorithmE0ELj4294967295EEENS1_25partition_config_selectorILNS1_17partition_subalgoE4EjNS0_10empty_typeEbEEZZNS1_14partition_implILS8_4ELb0ES6_15HIP_vector_typeIjLj2EENS0_17counting_iteratorIjlEEPS9_SG_NS0_5tupleIJPjSI_NS0_16reverse_iteratorISI_EEEEENSH_IJSG_SG_SG_EEES9_SI_JZNS1_25segmented_radix_sort_implINS0_14default_configELb1EPKsPsPKlPlN2at6native12_GLOBAL__N_18offset_tEEE10hipError_tPvRmT1_PNSt15iterator_traitsIS12_E10value_typeET2_T3_PNS13_IS18_E10value_typeET4_jRbjT5_S1E_jjP12ihipStream_tbEUljE_ZNSN_ISO_Lb1ESQ_SR_ST_SU_SY_EESZ_S10_S11_S12_S16_S17_S18_S1B_S1C_jS1D_jS1E_S1E_jjS1G_bEUljE0_EEESZ_S10_S11_S18_S1C_S1E_T6_T7_T9_mT8_S1G_bDpT10_ENKUlT_T0_E_clISt17integral_constantIbLb0EES1T_IbLb1EEEEDaS1P_S1Q_EUlS1P_E_NS1_11comp_targetILNS1_3genE0ELNS1_11target_archE4294967295ELNS1_3gpuE0ELNS1_3repE0EEENS1_30default_config_static_selectorELNS0_4arch9wavefront6targetE1EEEvS12_: ; @_ZN7rocprim17ROCPRIM_400000_NS6detail17trampoline_kernelINS0_13select_configILj256ELj13ELNS0_17block_load_methodE3ELS4_3ELS4_3ELNS0_20block_scan_algorithmE0ELj4294967295EEENS1_25partition_config_selectorILNS1_17partition_subalgoE4EjNS0_10empty_typeEbEEZZNS1_14partition_implILS8_4ELb0ES6_15HIP_vector_typeIjLj2EENS0_17counting_iteratorIjlEEPS9_SG_NS0_5tupleIJPjSI_NS0_16reverse_iteratorISI_EEEEENSH_IJSG_SG_SG_EEES9_SI_JZNS1_25segmented_radix_sort_implINS0_14default_configELb1EPKsPsPKlPlN2at6native12_GLOBAL__N_18offset_tEEE10hipError_tPvRmT1_PNSt15iterator_traitsIS12_E10value_typeET2_T3_PNS13_IS18_E10value_typeET4_jRbjT5_S1E_jjP12ihipStream_tbEUljE_ZNSN_ISO_Lb1ESQ_SR_ST_SU_SY_EESZ_S10_S11_S12_S16_S17_S18_S1B_S1C_jS1D_jS1E_S1E_jjS1G_bEUljE0_EEESZ_S10_S11_S18_S1C_S1E_T6_T7_T9_mT8_S1G_bDpT10_ENKUlT_T0_E_clISt17integral_constantIbLb0EES1T_IbLb1EEEEDaS1P_S1Q_EUlS1P_E_NS1_11comp_targetILNS1_3genE0ELNS1_11target_archE4294967295ELNS1_3gpuE0ELNS1_3repE0EEENS1_30default_config_static_selectorELNS0_4arch9wavefront6targetE1EEEvS12_
; %bb.0:
	.section	.rodata,"a",@progbits
	.p2align	6, 0x0
	.amdhsa_kernel _ZN7rocprim17ROCPRIM_400000_NS6detail17trampoline_kernelINS0_13select_configILj256ELj13ELNS0_17block_load_methodE3ELS4_3ELS4_3ELNS0_20block_scan_algorithmE0ELj4294967295EEENS1_25partition_config_selectorILNS1_17partition_subalgoE4EjNS0_10empty_typeEbEEZZNS1_14partition_implILS8_4ELb0ES6_15HIP_vector_typeIjLj2EENS0_17counting_iteratorIjlEEPS9_SG_NS0_5tupleIJPjSI_NS0_16reverse_iteratorISI_EEEEENSH_IJSG_SG_SG_EEES9_SI_JZNS1_25segmented_radix_sort_implINS0_14default_configELb1EPKsPsPKlPlN2at6native12_GLOBAL__N_18offset_tEEE10hipError_tPvRmT1_PNSt15iterator_traitsIS12_E10value_typeET2_T3_PNS13_IS18_E10value_typeET4_jRbjT5_S1E_jjP12ihipStream_tbEUljE_ZNSN_ISO_Lb1ESQ_SR_ST_SU_SY_EESZ_S10_S11_S12_S16_S17_S18_S1B_S1C_jS1D_jS1E_S1E_jjS1G_bEUljE0_EEESZ_S10_S11_S18_S1C_S1E_T6_T7_T9_mT8_S1G_bDpT10_ENKUlT_T0_E_clISt17integral_constantIbLb0EES1T_IbLb1EEEEDaS1P_S1Q_EUlS1P_E_NS1_11comp_targetILNS1_3genE0ELNS1_11target_archE4294967295ELNS1_3gpuE0ELNS1_3repE0EEENS1_30default_config_static_selectorELNS0_4arch9wavefront6targetE1EEEvS12_
		.amdhsa_group_segment_fixed_size 0
		.amdhsa_private_segment_fixed_size 0
		.amdhsa_kernarg_size 184
		.amdhsa_user_sgpr_count 6
		.amdhsa_user_sgpr_private_segment_buffer 1
		.amdhsa_user_sgpr_dispatch_ptr 0
		.amdhsa_user_sgpr_queue_ptr 0
		.amdhsa_user_sgpr_kernarg_segment_ptr 1
		.amdhsa_user_sgpr_dispatch_id 0
		.amdhsa_user_sgpr_flat_scratch_init 0
		.amdhsa_user_sgpr_private_segment_size 0
		.amdhsa_uses_dynamic_stack 0
		.amdhsa_system_sgpr_private_segment_wavefront_offset 0
		.amdhsa_system_sgpr_workgroup_id_x 1
		.amdhsa_system_sgpr_workgroup_id_y 0
		.amdhsa_system_sgpr_workgroup_id_z 0
		.amdhsa_system_sgpr_workgroup_info 0
		.amdhsa_system_vgpr_workitem_id 0
		.amdhsa_next_free_vgpr 1
		.amdhsa_next_free_sgpr 0
		.amdhsa_reserve_vcc 0
		.amdhsa_reserve_flat_scratch 0
		.amdhsa_float_round_mode_32 0
		.amdhsa_float_round_mode_16_64 0
		.amdhsa_float_denorm_mode_32 3
		.amdhsa_float_denorm_mode_16_64 3
		.amdhsa_dx10_clamp 1
		.amdhsa_ieee_mode 1
		.amdhsa_fp16_overflow 0
		.amdhsa_exception_fp_ieee_invalid_op 0
		.amdhsa_exception_fp_denorm_src 0
		.amdhsa_exception_fp_ieee_div_zero 0
		.amdhsa_exception_fp_ieee_overflow 0
		.amdhsa_exception_fp_ieee_underflow 0
		.amdhsa_exception_fp_ieee_inexact 0
		.amdhsa_exception_int_div_zero 0
	.end_amdhsa_kernel
	.section	.text._ZN7rocprim17ROCPRIM_400000_NS6detail17trampoline_kernelINS0_13select_configILj256ELj13ELNS0_17block_load_methodE3ELS4_3ELS4_3ELNS0_20block_scan_algorithmE0ELj4294967295EEENS1_25partition_config_selectorILNS1_17partition_subalgoE4EjNS0_10empty_typeEbEEZZNS1_14partition_implILS8_4ELb0ES6_15HIP_vector_typeIjLj2EENS0_17counting_iteratorIjlEEPS9_SG_NS0_5tupleIJPjSI_NS0_16reverse_iteratorISI_EEEEENSH_IJSG_SG_SG_EEES9_SI_JZNS1_25segmented_radix_sort_implINS0_14default_configELb1EPKsPsPKlPlN2at6native12_GLOBAL__N_18offset_tEEE10hipError_tPvRmT1_PNSt15iterator_traitsIS12_E10value_typeET2_T3_PNS13_IS18_E10value_typeET4_jRbjT5_S1E_jjP12ihipStream_tbEUljE_ZNSN_ISO_Lb1ESQ_SR_ST_SU_SY_EESZ_S10_S11_S12_S16_S17_S18_S1B_S1C_jS1D_jS1E_S1E_jjS1G_bEUljE0_EEESZ_S10_S11_S18_S1C_S1E_T6_T7_T9_mT8_S1G_bDpT10_ENKUlT_T0_E_clISt17integral_constantIbLb0EES1T_IbLb1EEEEDaS1P_S1Q_EUlS1P_E_NS1_11comp_targetILNS1_3genE0ELNS1_11target_archE4294967295ELNS1_3gpuE0ELNS1_3repE0EEENS1_30default_config_static_selectorELNS0_4arch9wavefront6targetE1EEEvS12_,"axG",@progbits,_ZN7rocprim17ROCPRIM_400000_NS6detail17trampoline_kernelINS0_13select_configILj256ELj13ELNS0_17block_load_methodE3ELS4_3ELS4_3ELNS0_20block_scan_algorithmE0ELj4294967295EEENS1_25partition_config_selectorILNS1_17partition_subalgoE4EjNS0_10empty_typeEbEEZZNS1_14partition_implILS8_4ELb0ES6_15HIP_vector_typeIjLj2EENS0_17counting_iteratorIjlEEPS9_SG_NS0_5tupleIJPjSI_NS0_16reverse_iteratorISI_EEEEENSH_IJSG_SG_SG_EEES9_SI_JZNS1_25segmented_radix_sort_implINS0_14default_configELb1EPKsPsPKlPlN2at6native12_GLOBAL__N_18offset_tEEE10hipError_tPvRmT1_PNSt15iterator_traitsIS12_E10value_typeET2_T3_PNS13_IS18_E10value_typeET4_jRbjT5_S1E_jjP12ihipStream_tbEUljE_ZNSN_ISO_Lb1ESQ_SR_ST_SU_SY_EESZ_S10_S11_S12_S16_S17_S18_S1B_S1C_jS1D_jS1E_S1E_jjS1G_bEUljE0_EEESZ_S10_S11_S18_S1C_S1E_T6_T7_T9_mT8_S1G_bDpT10_ENKUlT_T0_E_clISt17integral_constantIbLb0EES1T_IbLb1EEEEDaS1P_S1Q_EUlS1P_E_NS1_11comp_targetILNS1_3genE0ELNS1_11target_archE4294967295ELNS1_3gpuE0ELNS1_3repE0EEENS1_30default_config_static_selectorELNS0_4arch9wavefront6targetE1EEEvS12_,comdat
.Lfunc_end871:
	.size	_ZN7rocprim17ROCPRIM_400000_NS6detail17trampoline_kernelINS0_13select_configILj256ELj13ELNS0_17block_load_methodE3ELS4_3ELS4_3ELNS0_20block_scan_algorithmE0ELj4294967295EEENS1_25partition_config_selectorILNS1_17partition_subalgoE4EjNS0_10empty_typeEbEEZZNS1_14partition_implILS8_4ELb0ES6_15HIP_vector_typeIjLj2EENS0_17counting_iteratorIjlEEPS9_SG_NS0_5tupleIJPjSI_NS0_16reverse_iteratorISI_EEEEENSH_IJSG_SG_SG_EEES9_SI_JZNS1_25segmented_radix_sort_implINS0_14default_configELb1EPKsPsPKlPlN2at6native12_GLOBAL__N_18offset_tEEE10hipError_tPvRmT1_PNSt15iterator_traitsIS12_E10value_typeET2_T3_PNS13_IS18_E10value_typeET4_jRbjT5_S1E_jjP12ihipStream_tbEUljE_ZNSN_ISO_Lb1ESQ_SR_ST_SU_SY_EESZ_S10_S11_S12_S16_S17_S18_S1B_S1C_jS1D_jS1E_S1E_jjS1G_bEUljE0_EEESZ_S10_S11_S18_S1C_S1E_T6_T7_T9_mT8_S1G_bDpT10_ENKUlT_T0_E_clISt17integral_constantIbLb0EES1T_IbLb1EEEEDaS1P_S1Q_EUlS1P_E_NS1_11comp_targetILNS1_3genE0ELNS1_11target_archE4294967295ELNS1_3gpuE0ELNS1_3repE0EEENS1_30default_config_static_selectorELNS0_4arch9wavefront6targetE1EEEvS12_, .Lfunc_end871-_ZN7rocprim17ROCPRIM_400000_NS6detail17trampoline_kernelINS0_13select_configILj256ELj13ELNS0_17block_load_methodE3ELS4_3ELS4_3ELNS0_20block_scan_algorithmE0ELj4294967295EEENS1_25partition_config_selectorILNS1_17partition_subalgoE4EjNS0_10empty_typeEbEEZZNS1_14partition_implILS8_4ELb0ES6_15HIP_vector_typeIjLj2EENS0_17counting_iteratorIjlEEPS9_SG_NS0_5tupleIJPjSI_NS0_16reverse_iteratorISI_EEEEENSH_IJSG_SG_SG_EEES9_SI_JZNS1_25segmented_radix_sort_implINS0_14default_configELb1EPKsPsPKlPlN2at6native12_GLOBAL__N_18offset_tEEE10hipError_tPvRmT1_PNSt15iterator_traitsIS12_E10value_typeET2_T3_PNS13_IS18_E10value_typeET4_jRbjT5_S1E_jjP12ihipStream_tbEUljE_ZNSN_ISO_Lb1ESQ_SR_ST_SU_SY_EESZ_S10_S11_S12_S16_S17_S18_S1B_S1C_jS1D_jS1E_S1E_jjS1G_bEUljE0_EEESZ_S10_S11_S18_S1C_S1E_T6_T7_T9_mT8_S1G_bDpT10_ENKUlT_T0_E_clISt17integral_constantIbLb0EES1T_IbLb1EEEEDaS1P_S1Q_EUlS1P_E_NS1_11comp_targetILNS1_3genE0ELNS1_11target_archE4294967295ELNS1_3gpuE0ELNS1_3repE0EEENS1_30default_config_static_selectorELNS0_4arch9wavefront6targetE1EEEvS12_
                                        ; -- End function
	.set _ZN7rocprim17ROCPRIM_400000_NS6detail17trampoline_kernelINS0_13select_configILj256ELj13ELNS0_17block_load_methodE3ELS4_3ELS4_3ELNS0_20block_scan_algorithmE0ELj4294967295EEENS1_25partition_config_selectorILNS1_17partition_subalgoE4EjNS0_10empty_typeEbEEZZNS1_14partition_implILS8_4ELb0ES6_15HIP_vector_typeIjLj2EENS0_17counting_iteratorIjlEEPS9_SG_NS0_5tupleIJPjSI_NS0_16reverse_iteratorISI_EEEEENSH_IJSG_SG_SG_EEES9_SI_JZNS1_25segmented_radix_sort_implINS0_14default_configELb1EPKsPsPKlPlN2at6native12_GLOBAL__N_18offset_tEEE10hipError_tPvRmT1_PNSt15iterator_traitsIS12_E10value_typeET2_T3_PNS13_IS18_E10value_typeET4_jRbjT5_S1E_jjP12ihipStream_tbEUljE_ZNSN_ISO_Lb1ESQ_SR_ST_SU_SY_EESZ_S10_S11_S12_S16_S17_S18_S1B_S1C_jS1D_jS1E_S1E_jjS1G_bEUljE0_EEESZ_S10_S11_S18_S1C_S1E_T6_T7_T9_mT8_S1G_bDpT10_ENKUlT_T0_E_clISt17integral_constantIbLb0EES1T_IbLb1EEEEDaS1P_S1Q_EUlS1P_E_NS1_11comp_targetILNS1_3genE0ELNS1_11target_archE4294967295ELNS1_3gpuE0ELNS1_3repE0EEENS1_30default_config_static_selectorELNS0_4arch9wavefront6targetE1EEEvS12_.num_vgpr, 0
	.set _ZN7rocprim17ROCPRIM_400000_NS6detail17trampoline_kernelINS0_13select_configILj256ELj13ELNS0_17block_load_methodE3ELS4_3ELS4_3ELNS0_20block_scan_algorithmE0ELj4294967295EEENS1_25partition_config_selectorILNS1_17partition_subalgoE4EjNS0_10empty_typeEbEEZZNS1_14partition_implILS8_4ELb0ES6_15HIP_vector_typeIjLj2EENS0_17counting_iteratorIjlEEPS9_SG_NS0_5tupleIJPjSI_NS0_16reverse_iteratorISI_EEEEENSH_IJSG_SG_SG_EEES9_SI_JZNS1_25segmented_radix_sort_implINS0_14default_configELb1EPKsPsPKlPlN2at6native12_GLOBAL__N_18offset_tEEE10hipError_tPvRmT1_PNSt15iterator_traitsIS12_E10value_typeET2_T3_PNS13_IS18_E10value_typeET4_jRbjT5_S1E_jjP12ihipStream_tbEUljE_ZNSN_ISO_Lb1ESQ_SR_ST_SU_SY_EESZ_S10_S11_S12_S16_S17_S18_S1B_S1C_jS1D_jS1E_S1E_jjS1G_bEUljE0_EEESZ_S10_S11_S18_S1C_S1E_T6_T7_T9_mT8_S1G_bDpT10_ENKUlT_T0_E_clISt17integral_constantIbLb0EES1T_IbLb1EEEEDaS1P_S1Q_EUlS1P_E_NS1_11comp_targetILNS1_3genE0ELNS1_11target_archE4294967295ELNS1_3gpuE0ELNS1_3repE0EEENS1_30default_config_static_selectorELNS0_4arch9wavefront6targetE1EEEvS12_.num_agpr, 0
	.set _ZN7rocprim17ROCPRIM_400000_NS6detail17trampoline_kernelINS0_13select_configILj256ELj13ELNS0_17block_load_methodE3ELS4_3ELS4_3ELNS0_20block_scan_algorithmE0ELj4294967295EEENS1_25partition_config_selectorILNS1_17partition_subalgoE4EjNS0_10empty_typeEbEEZZNS1_14partition_implILS8_4ELb0ES6_15HIP_vector_typeIjLj2EENS0_17counting_iteratorIjlEEPS9_SG_NS0_5tupleIJPjSI_NS0_16reverse_iteratorISI_EEEEENSH_IJSG_SG_SG_EEES9_SI_JZNS1_25segmented_radix_sort_implINS0_14default_configELb1EPKsPsPKlPlN2at6native12_GLOBAL__N_18offset_tEEE10hipError_tPvRmT1_PNSt15iterator_traitsIS12_E10value_typeET2_T3_PNS13_IS18_E10value_typeET4_jRbjT5_S1E_jjP12ihipStream_tbEUljE_ZNSN_ISO_Lb1ESQ_SR_ST_SU_SY_EESZ_S10_S11_S12_S16_S17_S18_S1B_S1C_jS1D_jS1E_S1E_jjS1G_bEUljE0_EEESZ_S10_S11_S18_S1C_S1E_T6_T7_T9_mT8_S1G_bDpT10_ENKUlT_T0_E_clISt17integral_constantIbLb0EES1T_IbLb1EEEEDaS1P_S1Q_EUlS1P_E_NS1_11comp_targetILNS1_3genE0ELNS1_11target_archE4294967295ELNS1_3gpuE0ELNS1_3repE0EEENS1_30default_config_static_selectorELNS0_4arch9wavefront6targetE1EEEvS12_.numbered_sgpr, 0
	.set _ZN7rocprim17ROCPRIM_400000_NS6detail17trampoline_kernelINS0_13select_configILj256ELj13ELNS0_17block_load_methodE3ELS4_3ELS4_3ELNS0_20block_scan_algorithmE0ELj4294967295EEENS1_25partition_config_selectorILNS1_17partition_subalgoE4EjNS0_10empty_typeEbEEZZNS1_14partition_implILS8_4ELb0ES6_15HIP_vector_typeIjLj2EENS0_17counting_iteratorIjlEEPS9_SG_NS0_5tupleIJPjSI_NS0_16reverse_iteratorISI_EEEEENSH_IJSG_SG_SG_EEES9_SI_JZNS1_25segmented_radix_sort_implINS0_14default_configELb1EPKsPsPKlPlN2at6native12_GLOBAL__N_18offset_tEEE10hipError_tPvRmT1_PNSt15iterator_traitsIS12_E10value_typeET2_T3_PNS13_IS18_E10value_typeET4_jRbjT5_S1E_jjP12ihipStream_tbEUljE_ZNSN_ISO_Lb1ESQ_SR_ST_SU_SY_EESZ_S10_S11_S12_S16_S17_S18_S1B_S1C_jS1D_jS1E_S1E_jjS1G_bEUljE0_EEESZ_S10_S11_S18_S1C_S1E_T6_T7_T9_mT8_S1G_bDpT10_ENKUlT_T0_E_clISt17integral_constantIbLb0EES1T_IbLb1EEEEDaS1P_S1Q_EUlS1P_E_NS1_11comp_targetILNS1_3genE0ELNS1_11target_archE4294967295ELNS1_3gpuE0ELNS1_3repE0EEENS1_30default_config_static_selectorELNS0_4arch9wavefront6targetE1EEEvS12_.num_named_barrier, 0
	.set _ZN7rocprim17ROCPRIM_400000_NS6detail17trampoline_kernelINS0_13select_configILj256ELj13ELNS0_17block_load_methodE3ELS4_3ELS4_3ELNS0_20block_scan_algorithmE0ELj4294967295EEENS1_25partition_config_selectorILNS1_17partition_subalgoE4EjNS0_10empty_typeEbEEZZNS1_14partition_implILS8_4ELb0ES6_15HIP_vector_typeIjLj2EENS0_17counting_iteratorIjlEEPS9_SG_NS0_5tupleIJPjSI_NS0_16reverse_iteratorISI_EEEEENSH_IJSG_SG_SG_EEES9_SI_JZNS1_25segmented_radix_sort_implINS0_14default_configELb1EPKsPsPKlPlN2at6native12_GLOBAL__N_18offset_tEEE10hipError_tPvRmT1_PNSt15iterator_traitsIS12_E10value_typeET2_T3_PNS13_IS18_E10value_typeET4_jRbjT5_S1E_jjP12ihipStream_tbEUljE_ZNSN_ISO_Lb1ESQ_SR_ST_SU_SY_EESZ_S10_S11_S12_S16_S17_S18_S1B_S1C_jS1D_jS1E_S1E_jjS1G_bEUljE0_EEESZ_S10_S11_S18_S1C_S1E_T6_T7_T9_mT8_S1G_bDpT10_ENKUlT_T0_E_clISt17integral_constantIbLb0EES1T_IbLb1EEEEDaS1P_S1Q_EUlS1P_E_NS1_11comp_targetILNS1_3genE0ELNS1_11target_archE4294967295ELNS1_3gpuE0ELNS1_3repE0EEENS1_30default_config_static_selectorELNS0_4arch9wavefront6targetE1EEEvS12_.private_seg_size, 0
	.set _ZN7rocprim17ROCPRIM_400000_NS6detail17trampoline_kernelINS0_13select_configILj256ELj13ELNS0_17block_load_methodE3ELS4_3ELS4_3ELNS0_20block_scan_algorithmE0ELj4294967295EEENS1_25partition_config_selectorILNS1_17partition_subalgoE4EjNS0_10empty_typeEbEEZZNS1_14partition_implILS8_4ELb0ES6_15HIP_vector_typeIjLj2EENS0_17counting_iteratorIjlEEPS9_SG_NS0_5tupleIJPjSI_NS0_16reverse_iteratorISI_EEEEENSH_IJSG_SG_SG_EEES9_SI_JZNS1_25segmented_radix_sort_implINS0_14default_configELb1EPKsPsPKlPlN2at6native12_GLOBAL__N_18offset_tEEE10hipError_tPvRmT1_PNSt15iterator_traitsIS12_E10value_typeET2_T3_PNS13_IS18_E10value_typeET4_jRbjT5_S1E_jjP12ihipStream_tbEUljE_ZNSN_ISO_Lb1ESQ_SR_ST_SU_SY_EESZ_S10_S11_S12_S16_S17_S18_S1B_S1C_jS1D_jS1E_S1E_jjS1G_bEUljE0_EEESZ_S10_S11_S18_S1C_S1E_T6_T7_T9_mT8_S1G_bDpT10_ENKUlT_T0_E_clISt17integral_constantIbLb0EES1T_IbLb1EEEEDaS1P_S1Q_EUlS1P_E_NS1_11comp_targetILNS1_3genE0ELNS1_11target_archE4294967295ELNS1_3gpuE0ELNS1_3repE0EEENS1_30default_config_static_selectorELNS0_4arch9wavefront6targetE1EEEvS12_.uses_vcc, 0
	.set _ZN7rocprim17ROCPRIM_400000_NS6detail17trampoline_kernelINS0_13select_configILj256ELj13ELNS0_17block_load_methodE3ELS4_3ELS4_3ELNS0_20block_scan_algorithmE0ELj4294967295EEENS1_25partition_config_selectorILNS1_17partition_subalgoE4EjNS0_10empty_typeEbEEZZNS1_14partition_implILS8_4ELb0ES6_15HIP_vector_typeIjLj2EENS0_17counting_iteratorIjlEEPS9_SG_NS0_5tupleIJPjSI_NS0_16reverse_iteratorISI_EEEEENSH_IJSG_SG_SG_EEES9_SI_JZNS1_25segmented_radix_sort_implINS0_14default_configELb1EPKsPsPKlPlN2at6native12_GLOBAL__N_18offset_tEEE10hipError_tPvRmT1_PNSt15iterator_traitsIS12_E10value_typeET2_T3_PNS13_IS18_E10value_typeET4_jRbjT5_S1E_jjP12ihipStream_tbEUljE_ZNSN_ISO_Lb1ESQ_SR_ST_SU_SY_EESZ_S10_S11_S12_S16_S17_S18_S1B_S1C_jS1D_jS1E_S1E_jjS1G_bEUljE0_EEESZ_S10_S11_S18_S1C_S1E_T6_T7_T9_mT8_S1G_bDpT10_ENKUlT_T0_E_clISt17integral_constantIbLb0EES1T_IbLb1EEEEDaS1P_S1Q_EUlS1P_E_NS1_11comp_targetILNS1_3genE0ELNS1_11target_archE4294967295ELNS1_3gpuE0ELNS1_3repE0EEENS1_30default_config_static_selectorELNS0_4arch9wavefront6targetE1EEEvS12_.uses_flat_scratch, 0
	.set _ZN7rocprim17ROCPRIM_400000_NS6detail17trampoline_kernelINS0_13select_configILj256ELj13ELNS0_17block_load_methodE3ELS4_3ELS4_3ELNS0_20block_scan_algorithmE0ELj4294967295EEENS1_25partition_config_selectorILNS1_17partition_subalgoE4EjNS0_10empty_typeEbEEZZNS1_14partition_implILS8_4ELb0ES6_15HIP_vector_typeIjLj2EENS0_17counting_iteratorIjlEEPS9_SG_NS0_5tupleIJPjSI_NS0_16reverse_iteratorISI_EEEEENSH_IJSG_SG_SG_EEES9_SI_JZNS1_25segmented_radix_sort_implINS0_14default_configELb1EPKsPsPKlPlN2at6native12_GLOBAL__N_18offset_tEEE10hipError_tPvRmT1_PNSt15iterator_traitsIS12_E10value_typeET2_T3_PNS13_IS18_E10value_typeET4_jRbjT5_S1E_jjP12ihipStream_tbEUljE_ZNSN_ISO_Lb1ESQ_SR_ST_SU_SY_EESZ_S10_S11_S12_S16_S17_S18_S1B_S1C_jS1D_jS1E_S1E_jjS1G_bEUljE0_EEESZ_S10_S11_S18_S1C_S1E_T6_T7_T9_mT8_S1G_bDpT10_ENKUlT_T0_E_clISt17integral_constantIbLb0EES1T_IbLb1EEEEDaS1P_S1Q_EUlS1P_E_NS1_11comp_targetILNS1_3genE0ELNS1_11target_archE4294967295ELNS1_3gpuE0ELNS1_3repE0EEENS1_30default_config_static_selectorELNS0_4arch9wavefront6targetE1EEEvS12_.has_dyn_sized_stack, 0
	.set _ZN7rocprim17ROCPRIM_400000_NS6detail17trampoline_kernelINS0_13select_configILj256ELj13ELNS0_17block_load_methodE3ELS4_3ELS4_3ELNS0_20block_scan_algorithmE0ELj4294967295EEENS1_25partition_config_selectorILNS1_17partition_subalgoE4EjNS0_10empty_typeEbEEZZNS1_14partition_implILS8_4ELb0ES6_15HIP_vector_typeIjLj2EENS0_17counting_iteratorIjlEEPS9_SG_NS0_5tupleIJPjSI_NS0_16reverse_iteratorISI_EEEEENSH_IJSG_SG_SG_EEES9_SI_JZNS1_25segmented_radix_sort_implINS0_14default_configELb1EPKsPsPKlPlN2at6native12_GLOBAL__N_18offset_tEEE10hipError_tPvRmT1_PNSt15iterator_traitsIS12_E10value_typeET2_T3_PNS13_IS18_E10value_typeET4_jRbjT5_S1E_jjP12ihipStream_tbEUljE_ZNSN_ISO_Lb1ESQ_SR_ST_SU_SY_EESZ_S10_S11_S12_S16_S17_S18_S1B_S1C_jS1D_jS1E_S1E_jjS1G_bEUljE0_EEESZ_S10_S11_S18_S1C_S1E_T6_T7_T9_mT8_S1G_bDpT10_ENKUlT_T0_E_clISt17integral_constantIbLb0EES1T_IbLb1EEEEDaS1P_S1Q_EUlS1P_E_NS1_11comp_targetILNS1_3genE0ELNS1_11target_archE4294967295ELNS1_3gpuE0ELNS1_3repE0EEENS1_30default_config_static_selectorELNS0_4arch9wavefront6targetE1EEEvS12_.has_recursion, 0
	.set _ZN7rocprim17ROCPRIM_400000_NS6detail17trampoline_kernelINS0_13select_configILj256ELj13ELNS0_17block_load_methodE3ELS4_3ELS4_3ELNS0_20block_scan_algorithmE0ELj4294967295EEENS1_25partition_config_selectorILNS1_17partition_subalgoE4EjNS0_10empty_typeEbEEZZNS1_14partition_implILS8_4ELb0ES6_15HIP_vector_typeIjLj2EENS0_17counting_iteratorIjlEEPS9_SG_NS0_5tupleIJPjSI_NS0_16reverse_iteratorISI_EEEEENSH_IJSG_SG_SG_EEES9_SI_JZNS1_25segmented_radix_sort_implINS0_14default_configELb1EPKsPsPKlPlN2at6native12_GLOBAL__N_18offset_tEEE10hipError_tPvRmT1_PNSt15iterator_traitsIS12_E10value_typeET2_T3_PNS13_IS18_E10value_typeET4_jRbjT5_S1E_jjP12ihipStream_tbEUljE_ZNSN_ISO_Lb1ESQ_SR_ST_SU_SY_EESZ_S10_S11_S12_S16_S17_S18_S1B_S1C_jS1D_jS1E_S1E_jjS1G_bEUljE0_EEESZ_S10_S11_S18_S1C_S1E_T6_T7_T9_mT8_S1G_bDpT10_ENKUlT_T0_E_clISt17integral_constantIbLb0EES1T_IbLb1EEEEDaS1P_S1Q_EUlS1P_E_NS1_11comp_targetILNS1_3genE0ELNS1_11target_archE4294967295ELNS1_3gpuE0ELNS1_3repE0EEENS1_30default_config_static_selectorELNS0_4arch9wavefront6targetE1EEEvS12_.has_indirect_call, 0
	.section	.AMDGPU.csdata,"",@progbits
; Kernel info:
; codeLenInByte = 0
; TotalNumSgprs: 4
; NumVgprs: 0
; ScratchSize: 0
; MemoryBound: 0
; FloatMode: 240
; IeeeMode: 1
; LDSByteSize: 0 bytes/workgroup (compile time only)
; SGPRBlocks: 0
; VGPRBlocks: 0
; NumSGPRsForWavesPerEU: 4
; NumVGPRsForWavesPerEU: 1
; Occupancy: 10
; WaveLimiterHint : 0
; COMPUTE_PGM_RSRC2:SCRATCH_EN: 0
; COMPUTE_PGM_RSRC2:USER_SGPR: 6
; COMPUTE_PGM_RSRC2:TRAP_HANDLER: 0
; COMPUTE_PGM_RSRC2:TGID_X_EN: 1
; COMPUTE_PGM_RSRC2:TGID_Y_EN: 0
; COMPUTE_PGM_RSRC2:TGID_Z_EN: 0
; COMPUTE_PGM_RSRC2:TIDIG_COMP_CNT: 0
	.section	.text._ZN7rocprim17ROCPRIM_400000_NS6detail17trampoline_kernelINS0_13select_configILj256ELj13ELNS0_17block_load_methodE3ELS4_3ELS4_3ELNS0_20block_scan_algorithmE0ELj4294967295EEENS1_25partition_config_selectorILNS1_17partition_subalgoE4EjNS0_10empty_typeEbEEZZNS1_14partition_implILS8_4ELb0ES6_15HIP_vector_typeIjLj2EENS0_17counting_iteratorIjlEEPS9_SG_NS0_5tupleIJPjSI_NS0_16reverse_iteratorISI_EEEEENSH_IJSG_SG_SG_EEES9_SI_JZNS1_25segmented_radix_sort_implINS0_14default_configELb1EPKsPsPKlPlN2at6native12_GLOBAL__N_18offset_tEEE10hipError_tPvRmT1_PNSt15iterator_traitsIS12_E10value_typeET2_T3_PNS13_IS18_E10value_typeET4_jRbjT5_S1E_jjP12ihipStream_tbEUljE_ZNSN_ISO_Lb1ESQ_SR_ST_SU_SY_EESZ_S10_S11_S12_S16_S17_S18_S1B_S1C_jS1D_jS1E_S1E_jjS1G_bEUljE0_EEESZ_S10_S11_S18_S1C_S1E_T6_T7_T9_mT8_S1G_bDpT10_ENKUlT_T0_E_clISt17integral_constantIbLb0EES1T_IbLb1EEEEDaS1P_S1Q_EUlS1P_E_NS1_11comp_targetILNS1_3genE5ELNS1_11target_archE942ELNS1_3gpuE9ELNS1_3repE0EEENS1_30default_config_static_selectorELNS0_4arch9wavefront6targetE1EEEvS12_,"axG",@progbits,_ZN7rocprim17ROCPRIM_400000_NS6detail17trampoline_kernelINS0_13select_configILj256ELj13ELNS0_17block_load_methodE3ELS4_3ELS4_3ELNS0_20block_scan_algorithmE0ELj4294967295EEENS1_25partition_config_selectorILNS1_17partition_subalgoE4EjNS0_10empty_typeEbEEZZNS1_14partition_implILS8_4ELb0ES6_15HIP_vector_typeIjLj2EENS0_17counting_iteratorIjlEEPS9_SG_NS0_5tupleIJPjSI_NS0_16reverse_iteratorISI_EEEEENSH_IJSG_SG_SG_EEES9_SI_JZNS1_25segmented_radix_sort_implINS0_14default_configELb1EPKsPsPKlPlN2at6native12_GLOBAL__N_18offset_tEEE10hipError_tPvRmT1_PNSt15iterator_traitsIS12_E10value_typeET2_T3_PNS13_IS18_E10value_typeET4_jRbjT5_S1E_jjP12ihipStream_tbEUljE_ZNSN_ISO_Lb1ESQ_SR_ST_SU_SY_EESZ_S10_S11_S12_S16_S17_S18_S1B_S1C_jS1D_jS1E_S1E_jjS1G_bEUljE0_EEESZ_S10_S11_S18_S1C_S1E_T6_T7_T9_mT8_S1G_bDpT10_ENKUlT_T0_E_clISt17integral_constantIbLb0EES1T_IbLb1EEEEDaS1P_S1Q_EUlS1P_E_NS1_11comp_targetILNS1_3genE5ELNS1_11target_archE942ELNS1_3gpuE9ELNS1_3repE0EEENS1_30default_config_static_selectorELNS0_4arch9wavefront6targetE1EEEvS12_,comdat
	.globl	_ZN7rocprim17ROCPRIM_400000_NS6detail17trampoline_kernelINS0_13select_configILj256ELj13ELNS0_17block_load_methodE3ELS4_3ELS4_3ELNS0_20block_scan_algorithmE0ELj4294967295EEENS1_25partition_config_selectorILNS1_17partition_subalgoE4EjNS0_10empty_typeEbEEZZNS1_14partition_implILS8_4ELb0ES6_15HIP_vector_typeIjLj2EENS0_17counting_iteratorIjlEEPS9_SG_NS0_5tupleIJPjSI_NS0_16reverse_iteratorISI_EEEEENSH_IJSG_SG_SG_EEES9_SI_JZNS1_25segmented_radix_sort_implINS0_14default_configELb1EPKsPsPKlPlN2at6native12_GLOBAL__N_18offset_tEEE10hipError_tPvRmT1_PNSt15iterator_traitsIS12_E10value_typeET2_T3_PNS13_IS18_E10value_typeET4_jRbjT5_S1E_jjP12ihipStream_tbEUljE_ZNSN_ISO_Lb1ESQ_SR_ST_SU_SY_EESZ_S10_S11_S12_S16_S17_S18_S1B_S1C_jS1D_jS1E_S1E_jjS1G_bEUljE0_EEESZ_S10_S11_S18_S1C_S1E_T6_T7_T9_mT8_S1G_bDpT10_ENKUlT_T0_E_clISt17integral_constantIbLb0EES1T_IbLb1EEEEDaS1P_S1Q_EUlS1P_E_NS1_11comp_targetILNS1_3genE5ELNS1_11target_archE942ELNS1_3gpuE9ELNS1_3repE0EEENS1_30default_config_static_selectorELNS0_4arch9wavefront6targetE1EEEvS12_ ; -- Begin function _ZN7rocprim17ROCPRIM_400000_NS6detail17trampoline_kernelINS0_13select_configILj256ELj13ELNS0_17block_load_methodE3ELS4_3ELS4_3ELNS0_20block_scan_algorithmE0ELj4294967295EEENS1_25partition_config_selectorILNS1_17partition_subalgoE4EjNS0_10empty_typeEbEEZZNS1_14partition_implILS8_4ELb0ES6_15HIP_vector_typeIjLj2EENS0_17counting_iteratorIjlEEPS9_SG_NS0_5tupleIJPjSI_NS0_16reverse_iteratorISI_EEEEENSH_IJSG_SG_SG_EEES9_SI_JZNS1_25segmented_radix_sort_implINS0_14default_configELb1EPKsPsPKlPlN2at6native12_GLOBAL__N_18offset_tEEE10hipError_tPvRmT1_PNSt15iterator_traitsIS12_E10value_typeET2_T3_PNS13_IS18_E10value_typeET4_jRbjT5_S1E_jjP12ihipStream_tbEUljE_ZNSN_ISO_Lb1ESQ_SR_ST_SU_SY_EESZ_S10_S11_S12_S16_S17_S18_S1B_S1C_jS1D_jS1E_S1E_jjS1G_bEUljE0_EEESZ_S10_S11_S18_S1C_S1E_T6_T7_T9_mT8_S1G_bDpT10_ENKUlT_T0_E_clISt17integral_constantIbLb0EES1T_IbLb1EEEEDaS1P_S1Q_EUlS1P_E_NS1_11comp_targetILNS1_3genE5ELNS1_11target_archE942ELNS1_3gpuE9ELNS1_3repE0EEENS1_30default_config_static_selectorELNS0_4arch9wavefront6targetE1EEEvS12_
	.p2align	8
	.type	_ZN7rocprim17ROCPRIM_400000_NS6detail17trampoline_kernelINS0_13select_configILj256ELj13ELNS0_17block_load_methodE3ELS4_3ELS4_3ELNS0_20block_scan_algorithmE0ELj4294967295EEENS1_25partition_config_selectorILNS1_17partition_subalgoE4EjNS0_10empty_typeEbEEZZNS1_14partition_implILS8_4ELb0ES6_15HIP_vector_typeIjLj2EENS0_17counting_iteratorIjlEEPS9_SG_NS0_5tupleIJPjSI_NS0_16reverse_iteratorISI_EEEEENSH_IJSG_SG_SG_EEES9_SI_JZNS1_25segmented_radix_sort_implINS0_14default_configELb1EPKsPsPKlPlN2at6native12_GLOBAL__N_18offset_tEEE10hipError_tPvRmT1_PNSt15iterator_traitsIS12_E10value_typeET2_T3_PNS13_IS18_E10value_typeET4_jRbjT5_S1E_jjP12ihipStream_tbEUljE_ZNSN_ISO_Lb1ESQ_SR_ST_SU_SY_EESZ_S10_S11_S12_S16_S17_S18_S1B_S1C_jS1D_jS1E_S1E_jjS1G_bEUljE0_EEESZ_S10_S11_S18_S1C_S1E_T6_T7_T9_mT8_S1G_bDpT10_ENKUlT_T0_E_clISt17integral_constantIbLb0EES1T_IbLb1EEEEDaS1P_S1Q_EUlS1P_E_NS1_11comp_targetILNS1_3genE5ELNS1_11target_archE942ELNS1_3gpuE9ELNS1_3repE0EEENS1_30default_config_static_selectorELNS0_4arch9wavefront6targetE1EEEvS12_,@function
_ZN7rocprim17ROCPRIM_400000_NS6detail17trampoline_kernelINS0_13select_configILj256ELj13ELNS0_17block_load_methodE3ELS4_3ELS4_3ELNS0_20block_scan_algorithmE0ELj4294967295EEENS1_25partition_config_selectorILNS1_17partition_subalgoE4EjNS0_10empty_typeEbEEZZNS1_14partition_implILS8_4ELb0ES6_15HIP_vector_typeIjLj2EENS0_17counting_iteratorIjlEEPS9_SG_NS0_5tupleIJPjSI_NS0_16reverse_iteratorISI_EEEEENSH_IJSG_SG_SG_EEES9_SI_JZNS1_25segmented_radix_sort_implINS0_14default_configELb1EPKsPsPKlPlN2at6native12_GLOBAL__N_18offset_tEEE10hipError_tPvRmT1_PNSt15iterator_traitsIS12_E10value_typeET2_T3_PNS13_IS18_E10value_typeET4_jRbjT5_S1E_jjP12ihipStream_tbEUljE_ZNSN_ISO_Lb1ESQ_SR_ST_SU_SY_EESZ_S10_S11_S12_S16_S17_S18_S1B_S1C_jS1D_jS1E_S1E_jjS1G_bEUljE0_EEESZ_S10_S11_S18_S1C_S1E_T6_T7_T9_mT8_S1G_bDpT10_ENKUlT_T0_E_clISt17integral_constantIbLb0EES1T_IbLb1EEEEDaS1P_S1Q_EUlS1P_E_NS1_11comp_targetILNS1_3genE5ELNS1_11target_archE942ELNS1_3gpuE9ELNS1_3repE0EEENS1_30default_config_static_selectorELNS0_4arch9wavefront6targetE1EEEvS12_: ; @_ZN7rocprim17ROCPRIM_400000_NS6detail17trampoline_kernelINS0_13select_configILj256ELj13ELNS0_17block_load_methodE3ELS4_3ELS4_3ELNS0_20block_scan_algorithmE0ELj4294967295EEENS1_25partition_config_selectorILNS1_17partition_subalgoE4EjNS0_10empty_typeEbEEZZNS1_14partition_implILS8_4ELb0ES6_15HIP_vector_typeIjLj2EENS0_17counting_iteratorIjlEEPS9_SG_NS0_5tupleIJPjSI_NS0_16reverse_iteratorISI_EEEEENSH_IJSG_SG_SG_EEES9_SI_JZNS1_25segmented_radix_sort_implINS0_14default_configELb1EPKsPsPKlPlN2at6native12_GLOBAL__N_18offset_tEEE10hipError_tPvRmT1_PNSt15iterator_traitsIS12_E10value_typeET2_T3_PNS13_IS18_E10value_typeET4_jRbjT5_S1E_jjP12ihipStream_tbEUljE_ZNSN_ISO_Lb1ESQ_SR_ST_SU_SY_EESZ_S10_S11_S12_S16_S17_S18_S1B_S1C_jS1D_jS1E_S1E_jjS1G_bEUljE0_EEESZ_S10_S11_S18_S1C_S1E_T6_T7_T9_mT8_S1G_bDpT10_ENKUlT_T0_E_clISt17integral_constantIbLb0EES1T_IbLb1EEEEDaS1P_S1Q_EUlS1P_E_NS1_11comp_targetILNS1_3genE5ELNS1_11target_archE942ELNS1_3gpuE9ELNS1_3repE0EEENS1_30default_config_static_selectorELNS0_4arch9wavefront6targetE1EEEvS12_
; %bb.0:
	.section	.rodata,"a",@progbits
	.p2align	6, 0x0
	.amdhsa_kernel _ZN7rocprim17ROCPRIM_400000_NS6detail17trampoline_kernelINS0_13select_configILj256ELj13ELNS0_17block_load_methodE3ELS4_3ELS4_3ELNS0_20block_scan_algorithmE0ELj4294967295EEENS1_25partition_config_selectorILNS1_17partition_subalgoE4EjNS0_10empty_typeEbEEZZNS1_14partition_implILS8_4ELb0ES6_15HIP_vector_typeIjLj2EENS0_17counting_iteratorIjlEEPS9_SG_NS0_5tupleIJPjSI_NS0_16reverse_iteratorISI_EEEEENSH_IJSG_SG_SG_EEES9_SI_JZNS1_25segmented_radix_sort_implINS0_14default_configELb1EPKsPsPKlPlN2at6native12_GLOBAL__N_18offset_tEEE10hipError_tPvRmT1_PNSt15iterator_traitsIS12_E10value_typeET2_T3_PNS13_IS18_E10value_typeET4_jRbjT5_S1E_jjP12ihipStream_tbEUljE_ZNSN_ISO_Lb1ESQ_SR_ST_SU_SY_EESZ_S10_S11_S12_S16_S17_S18_S1B_S1C_jS1D_jS1E_S1E_jjS1G_bEUljE0_EEESZ_S10_S11_S18_S1C_S1E_T6_T7_T9_mT8_S1G_bDpT10_ENKUlT_T0_E_clISt17integral_constantIbLb0EES1T_IbLb1EEEEDaS1P_S1Q_EUlS1P_E_NS1_11comp_targetILNS1_3genE5ELNS1_11target_archE942ELNS1_3gpuE9ELNS1_3repE0EEENS1_30default_config_static_selectorELNS0_4arch9wavefront6targetE1EEEvS12_
		.amdhsa_group_segment_fixed_size 0
		.amdhsa_private_segment_fixed_size 0
		.amdhsa_kernarg_size 184
		.amdhsa_user_sgpr_count 6
		.amdhsa_user_sgpr_private_segment_buffer 1
		.amdhsa_user_sgpr_dispatch_ptr 0
		.amdhsa_user_sgpr_queue_ptr 0
		.amdhsa_user_sgpr_kernarg_segment_ptr 1
		.amdhsa_user_sgpr_dispatch_id 0
		.amdhsa_user_sgpr_flat_scratch_init 0
		.amdhsa_user_sgpr_private_segment_size 0
		.amdhsa_uses_dynamic_stack 0
		.amdhsa_system_sgpr_private_segment_wavefront_offset 0
		.amdhsa_system_sgpr_workgroup_id_x 1
		.amdhsa_system_sgpr_workgroup_id_y 0
		.amdhsa_system_sgpr_workgroup_id_z 0
		.amdhsa_system_sgpr_workgroup_info 0
		.amdhsa_system_vgpr_workitem_id 0
		.amdhsa_next_free_vgpr 1
		.amdhsa_next_free_sgpr 0
		.amdhsa_reserve_vcc 0
		.amdhsa_reserve_flat_scratch 0
		.amdhsa_float_round_mode_32 0
		.amdhsa_float_round_mode_16_64 0
		.amdhsa_float_denorm_mode_32 3
		.amdhsa_float_denorm_mode_16_64 3
		.amdhsa_dx10_clamp 1
		.amdhsa_ieee_mode 1
		.amdhsa_fp16_overflow 0
		.amdhsa_exception_fp_ieee_invalid_op 0
		.amdhsa_exception_fp_denorm_src 0
		.amdhsa_exception_fp_ieee_div_zero 0
		.amdhsa_exception_fp_ieee_overflow 0
		.amdhsa_exception_fp_ieee_underflow 0
		.amdhsa_exception_fp_ieee_inexact 0
		.amdhsa_exception_int_div_zero 0
	.end_amdhsa_kernel
	.section	.text._ZN7rocprim17ROCPRIM_400000_NS6detail17trampoline_kernelINS0_13select_configILj256ELj13ELNS0_17block_load_methodE3ELS4_3ELS4_3ELNS0_20block_scan_algorithmE0ELj4294967295EEENS1_25partition_config_selectorILNS1_17partition_subalgoE4EjNS0_10empty_typeEbEEZZNS1_14partition_implILS8_4ELb0ES6_15HIP_vector_typeIjLj2EENS0_17counting_iteratorIjlEEPS9_SG_NS0_5tupleIJPjSI_NS0_16reverse_iteratorISI_EEEEENSH_IJSG_SG_SG_EEES9_SI_JZNS1_25segmented_radix_sort_implINS0_14default_configELb1EPKsPsPKlPlN2at6native12_GLOBAL__N_18offset_tEEE10hipError_tPvRmT1_PNSt15iterator_traitsIS12_E10value_typeET2_T3_PNS13_IS18_E10value_typeET4_jRbjT5_S1E_jjP12ihipStream_tbEUljE_ZNSN_ISO_Lb1ESQ_SR_ST_SU_SY_EESZ_S10_S11_S12_S16_S17_S18_S1B_S1C_jS1D_jS1E_S1E_jjS1G_bEUljE0_EEESZ_S10_S11_S18_S1C_S1E_T6_T7_T9_mT8_S1G_bDpT10_ENKUlT_T0_E_clISt17integral_constantIbLb0EES1T_IbLb1EEEEDaS1P_S1Q_EUlS1P_E_NS1_11comp_targetILNS1_3genE5ELNS1_11target_archE942ELNS1_3gpuE9ELNS1_3repE0EEENS1_30default_config_static_selectorELNS0_4arch9wavefront6targetE1EEEvS12_,"axG",@progbits,_ZN7rocprim17ROCPRIM_400000_NS6detail17trampoline_kernelINS0_13select_configILj256ELj13ELNS0_17block_load_methodE3ELS4_3ELS4_3ELNS0_20block_scan_algorithmE0ELj4294967295EEENS1_25partition_config_selectorILNS1_17partition_subalgoE4EjNS0_10empty_typeEbEEZZNS1_14partition_implILS8_4ELb0ES6_15HIP_vector_typeIjLj2EENS0_17counting_iteratorIjlEEPS9_SG_NS0_5tupleIJPjSI_NS0_16reverse_iteratorISI_EEEEENSH_IJSG_SG_SG_EEES9_SI_JZNS1_25segmented_radix_sort_implINS0_14default_configELb1EPKsPsPKlPlN2at6native12_GLOBAL__N_18offset_tEEE10hipError_tPvRmT1_PNSt15iterator_traitsIS12_E10value_typeET2_T3_PNS13_IS18_E10value_typeET4_jRbjT5_S1E_jjP12ihipStream_tbEUljE_ZNSN_ISO_Lb1ESQ_SR_ST_SU_SY_EESZ_S10_S11_S12_S16_S17_S18_S1B_S1C_jS1D_jS1E_S1E_jjS1G_bEUljE0_EEESZ_S10_S11_S18_S1C_S1E_T6_T7_T9_mT8_S1G_bDpT10_ENKUlT_T0_E_clISt17integral_constantIbLb0EES1T_IbLb1EEEEDaS1P_S1Q_EUlS1P_E_NS1_11comp_targetILNS1_3genE5ELNS1_11target_archE942ELNS1_3gpuE9ELNS1_3repE0EEENS1_30default_config_static_selectorELNS0_4arch9wavefront6targetE1EEEvS12_,comdat
.Lfunc_end872:
	.size	_ZN7rocprim17ROCPRIM_400000_NS6detail17trampoline_kernelINS0_13select_configILj256ELj13ELNS0_17block_load_methodE3ELS4_3ELS4_3ELNS0_20block_scan_algorithmE0ELj4294967295EEENS1_25partition_config_selectorILNS1_17partition_subalgoE4EjNS0_10empty_typeEbEEZZNS1_14partition_implILS8_4ELb0ES6_15HIP_vector_typeIjLj2EENS0_17counting_iteratorIjlEEPS9_SG_NS0_5tupleIJPjSI_NS0_16reverse_iteratorISI_EEEEENSH_IJSG_SG_SG_EEES9_SI_JZNS1_25segmented_radix_sort_implINS0_14default_configELb1EPKsPsPKlPlN2at6native12_GLOBAL__N_18offset_tEEE10hipError_tPvRmT1_PNSt15iterator_traitsIS12_E10value_typeET2_T3_PNS13_IS18_E10value_typeET4_jRbjT5_S1E_jjP12ihipStream_tbEUljE_ZNSN_ISO_Lb1ESQ_SR_ST_SU_SY_EESZ_S10_S11_S12_S16_S17_S18_S1B_S1C_jS1D_jS1E_S1E_jjS1G_bEUljE0_EEESZ_S10_S11_S18_S1C_S1E_T6_T7_T9_mT8_S1G_bDpT10_ENKUlT_T0_E_clISt17integral_constantIbLb0EES1T_IbLb1EEEEDaS1P_S1Q_EUlS1P_E_NS1_11comp_targetILNS1_3genE5ELNS1_11target_archE942ELNS1_3gpuE9ELNS1_3repE0EEENS1_30default_config_static_selectorELNS0_4arch9wavefront6targetE1EEEvS12_, .Lfunc_end872-_ZN7rocprim17ROCPRIM_400000_NS6detail17trampoline_kernelINS0_13select_configILj256ELj13ELNS0_17block_load_methodE3ELS4_3ELS4_3ELNS0_20block_scan_algorithmE0ELj4294967295EEENS1_25partition_config_selectorILNS1_17partition_subalgoE4EjNS0_10empty_typeEbEEZZNS1_14partition_implILS8_4ELb0ES6_15HIP_vector_typeIjLj2EENS0_17counting_iteratorIjlEEPS9_SG_NS0_5tupleIJPjSI_NS0_16reverse_iteratorISI_EEEEENSH_IJSG_SG_SG_EEES9_SI_JZNS1_25segmented_radix_sort_implINS0_14default_configELb1EPKsPsPKlPlN2at6native12_GLOBAL__N_18offset_tEEE10hipError_tPvRmT1_PNSt15iterator_traitsIS12_E10value_typeET2_T3_PNS13_IS18_E10value_typeET4_jRbjT5_S1E_jjP12ihipStream_tbEUljE_ZNSN_ISO_Lb1ESQ_SR_ST_SU_SY_EESZ_S10_S11_S12_S16_S17_S18_S1B_S1C_jS1D_jS1E_S1E_jjS1G_bEUljE0_EEESZ_S10_S11_S18_S1C_S1E_T6_T7_T9_mT8_S1G_bDpT10_ENKUlT_T0_E_clISt17integral_constantIbLb0EES1T_IbLb1EEEEDaS1P_S1Q_EUlS1P_E_NS1_11comp_targetILNS1_3genE5ELNS1_11target_archE942ELNS1_3gpuE9ELNS1_3repE0EEENS1_30default_config_static_selectorELNS0_4arch9wavefront6targetE1EEEvS12_
                                        ; -- End function
	.set _ZN7rocprim17ROCPRIM_400000_NS6detail17trampoline_kernelINS0_13select_configILj256ELj13ELNS0_17block_load_methodE3ELS4_3ELS4_3ELNS0_20block_scan_algorithmE0ELj4294967295EEENS1_25partition_config_selectorILNS1_17partition_subalgoE4EjNS0_10empty_typeEbEEZZNS1_14partition_implILS8_4ELb0ES6_15HIP_vector_typeIjLj2EENS0_17counting_iteratorIjlEEPS9_SG_NS0_5tupleIJPjSI_NS0_16reverse_iteratorISI_EEEEENSH_IJSG_SG_SG_EEES9_SI_JZNS1_25segmented_radix_sort_implINS0_14default_configELb1EPKsPsPKlPlN2at6native12_GLOBAL__N_18offset_tEEE10hipError_tPvRmT1_PNSt15iterator_traitsIS12_E10value_typeET2_T3_PNS13_IS18_E10value_typeET4_jRbjT5_S1E_jjP12ihipStream_tbEUljE_ZNSN_ISO_Lb1ESQ_SR_ST_SU_SY_EESZ_S10_S11_S12_S16_S17_S18_S1B_S1C_jS1D_jS1E_S1E_jjS1G_bEUljE0_EEESZ_S10_S11_S18_S1C_S1E_T6_T7_T9_mT8_S1G_bDpT10_ENKUlT_T0_E_clISt17integral_constantIbLb0EES1T_IbLb1EEEEDaS1P_S1Q_EUlS1P_E_NS1_11comp_targetILNS1_3genE5ELNS1_11target_archE942ELNS1_3gpuE9ELNS1_3repE0EEENS1_30default_config_static_selectorELNS0_4arch9wavefront6targetE1EEEvS12_.num_vgpr, 0
	.set _ZN7rocprim17ROCPRIM_400000_NS6detail17trampoline_kernelINS0_13select_configILj256ELj13ELNS0_17block_load_methodE3ELS4_3ELS4_3ELNS0_20block_scan_algorithmE0ELj4294967295EEENS1_25partition_config_selectorILNS1_17partition_subalgoE4EjNS0_10empty_typeEbEEZZNS1_14partition_implILS8_4ELb0ES6_15HIP_vector_typeIjLj2EENS0_17counting_iteratorIjlEEPS9_SG_NS0_5tupleIJPjSI_NS0_16reverse_iteratorISI_EEEEENSH_IJSG_SG_SG_EEES9_SI_JZNS1_25segmented_radix_sort_implINS0_14default_configELb1EPKsPsPKlPlN2at6native12_GLOBAL__N_18offset_tEEE10hipError_tPvRmT1_PNSt15iterator_traitsIS12_E10value_typeET2_T3_PNS13_IS18_E10value_typeET4_jRbjT5_S1E_jjP12ihipStream_tbEUljE_ZNSN_ISO_Lb1ESQ_SR_ST_SU_SY_EESZ_S10_S11_S12_S16_S17_S18_S1B_S1C_jS1D_jS1E_S1E_jjS1G_bEUljE0_EEESZ_S10_S11_S18_S1C_S1E_T6_T7_T9_mT8_S1G_bDpT10_ENKUlT_T0_E_clISt17integral_constantIbLb0EES1T_IbLb1EEEEDaS1P_S1Q_EUlS1P_E_NS1_11comp_targetILNS1_3genE5ELNS1_11target_archE942ELNS1_3gpuE9ELNS1_3repE0EEENS1_30default_config_static_selectorELNS0_4arch9wavefront6targetE1EEEvS12_.num_agpr, 0
	.set _ZN7rocprim17ROCPRIM_400000_NS6detail17trampoline_kernelINS0_13select_configILj256ELj13ELNS0_17block_load_methodE3ELS4_3ELS4_3ELNS0_20block_scan_algorithmE0ELj4294967295EEENS1_25partition_config_selectorILNS1_17partition_subalgoE4EjNS0_10empty_typeEbEEZZNS1_14partition_implILS8_4ELb0ES6_15HIP_vector_typeIjLj2EENS0_17counting_iteratorIjlEEPS9_SG_NS0_5tupleIJPjSI_NS0_16reverse_iteratorISI_EEEEENSH_IJSG_SG_SG_EEES9_SI_JZNS1_25segmented_radix_sort_implINS0_14default_configELb1EPKsPsPKlPlN2at6native12_GLOBAL__N_18offset_tEEE10hipError_tPvRmT1_PNSt15iterator_traitsIS12_E10value_typeET2_T3_PNS13_IS18_E10value_typeET4_jRbjT5_S1E_jjP12ihipStream_tbEUljE_ZNSN_ISO_Lb1ESQ_SR_ST_SU_SY_EESZ_S10_S11_S12_S16_S17_S18_S1B_S1C_jS1D_jS1E_S1E_jjS1G_bEUljE0_EEESZ_S10_S11_S18_S1C_S1E_T6_T7_T9_mT8_S1G_bDpT10_ENKUlT_T0_E_clISt17integral_constantIbLb0EES1T_IbLb1EEEEDaS1P_S1Q_EUlS1P_E_NS1_11comp_targetILNS1_3genE5ELNS1_11target_archE942ELNS1_3gpuE9ELNS1_3repE0EEENS1_30default_config_static_selectorELNS0_4arch9wavefront6targetE1EEEvS12_.numbered_sgpr, 0
	.set _ZN7rocprim17ROCPRIM_400000_NS6detail17trampoline_kernelINS0_13select_configILj256ELj13ELNS0_17block_load_methodE3ELS4_3ELS4_3ELNS0_20block_scan_algorithmE0ELj4294967295EEENS1_25partition_config_selectorILNS1_17partition_subalgoE4EjNS0_10empty_typeEbEEZZNS1_14partition_implILS8_4ELb0ES6_15HIP_vector_typeIjLj2EENS0_17counting_iteratorIjlEEPS9_SG_NS0_5tupleIJPjSI_NS0_16reverse_iteratorISI_EEEEENSH_IJSG_SG_SG_EEES9_SI_JZNS1_25segmented_radix_sort_implINS0_14default_configELb1EPKsPsPKlPlN2at6native12_GLOBAL__N_18offset_tEEE10hipError_tPvRmT1_PNSt15iterator_traitsIS12_E10value_typeET2_T3_PNS13_IS18_E10value_typeET4_jRbjT5_S1E_jjP12ihipStream_tbEUljE_ZNSN_ISO_Lb1ESQ_SR_ST_SU_SY_EESZ_S10_S11_S12_S16_S17_S18_S1B_S1C_jS1D_jS1E_S1E_jjS1G_bEUljE0_EEESZ_S10_S11_S18_S1C_S1E_T6_T7_T9_mT8_S1G_bDpT10_ENKUlT_T0_E_clISt17integral_constantIbLb0EES1T_IbLb1EEEEDaS1P_S1Q_EUlS1P_E_NS1_11comp_targetILNS1_3genE5ELNS1_11target_archE942ELNS1_3gpuE9ELNS1_3repE0EEENS1_30default_config_static_selectorELNS0_4arch9wavefront6targetE1EEEvS12_.num_named_barrier, 0
	.set _ZN7rocprim17ROCPRIM_400000_NS6detail17trampoline_kernelINS0_13select_configILj256ELj13ELNS0_17block_load_methodE3ELS4_3ELS4_3ELNS0_20block_scan_algorithmE0ELj4294967295EEENS1_25partition_config_selectorILNS1_17partition_subalgoE4EjNS0_10empty_typeEbEEZZNS1_14partition_implILS8_4ELb0ES6_15HIP_vector_typeIjLj2EENS0_17counting_iteratorIjlEEPS9_SG_NS0_5tupleIJPjSI_NS0_16reverse_iteratorISI_EEEEENSH_IJSG_SG_SG_EEES9_SI_JZNS1_25segmented_radix_sort_implINS0_14default_configELb1EPKsPsPKlPlN2at6native12_GLOBAL__N_18offset_tEEE10hipError_tPvRmT1_PNSt15iterator_traitsIS12_E10value_typeET2_T3_PNS13_IS18_E10value_typeET4_jRbjT5_S1E_jjP12ihipStream_tbEUljE_ZNSN_ISO_Lb1ESQ_SR_ST_SU_SY_EESZ_S10_S11_S12_S16_S17_S18_S1B_S1C_jS1D_jS1E_S1E_jjS1G_bEUljE0_EEESZ_S10_S11_S18_S1C_S1E_T6_T7_T9_mT8_S1G_bDpT10_ENKUlT_T0_E_clISt17integral_constantIbLb0EES1T_IbLb1EEEEDaS1P_S1Q_EUlS1P_E_NS1_11comp_targetILNS1_3genE5ELNS1_11target_archE942ELNS1_3gpuE9ELNS1_3repE0EEENS1_30default_config_static_selectorELNS0_4arch9wavefront6targetE1EEEvS12_.private_seg_size, 0
	.set _ZN7rocprim17ROCPRIM_400000_NS6detail17trampoline_kernelINS0_13select_configILj256ELj13ELNS0_17block_load_methodE3ELS4_3ELS4_3ELNS0_20block_scan_algorithmE0ELj4294967295EEENS1_25partition_config_selectorILNS1_17partition_subalgoE4EjNS0_10empty_typeEbEEZZNS1_14partition_implILS8_4ELb0ES6_15HIP_vector_typeIjLj2EENS0_17counting_iteratorIjlEEPS9_SG_NS0_5tupleIJPjSI_NS0_16reverse_iteratorISI_EEEEENSH_IJSG_SG_SG_EEES9_SI_JZNS1_25segmented_radix_sort_implINS0_14default_configELb1EPKsPsPKlPlN2at6native12_GLOBAL__N_18offset_tEEE10hipError_tPvRmT1_PNSt15iterator_traitsIS12_E10value_typeET2_T3_PNS13_IS18_E10value_typeET4_jRbjT5_S1E_jjP12ihipStream_tbEUljE_ZNSN_ISO_Lb1ESQ_SR_ST_SU_SY_EESZ_S10_S11_S12_S16_S17_S18_S1B_S1C_jS1D_jS1E_S1E_jjS1G_bEUljE0_EEESZ_S10_S11_S18_S1C_S1E_T6_T7_T9_mT8_S1G_bDpT10_ENKUlT_T0_E_clISt17integral_constantIbLb0EES1T_IbLb1EEEEDaS1P_S1Q_EUlS1P_E_NS1_11comp_targetILNS1_3genE5ELNS1_11target_archE942ELNS1_3gpuE9ELNS1_3repE0EEENS1_30default_config_static_selectorELNS0_4arch9wavefront6targetE1EEEvS12_.uses_vcc, 0
	.set _ZN7rocprim17ROCPRIM_400000_NS6detail17trampoline_kernelINS0_13select_configILj256ELj13ELNS0_17block_load_methodE3ELS4_3ELS4_3ELNS0_20block_scan_algorithmE0ELj4294967295EEENS1_25partition_config_selectorILNS1_17partition_subalgoE4EjNS0_10empty_typeEbEEZZNS1_14partition_implILS8_4ELb0ES6_15HIP_vector_typeIjLj2EENS0_17counting_iteratorIjlEEPS9_SG_NS0_5tupleIJPjSI_NS0_16reverse_iteratorISI_EEEEENSH_IJSG_SG_SG_EEES9_SI_JZNS1_25segmented_radix_sort_implINS0_14default_configELb1EPKsPsPKlPlN2at6native12_GLOBAL__N_18offset_tEEE10hipError_tPvRmT1_PNSt15iterator_traitsIS12_E10value_typeET2_T3_PNS13_IS18_E10value_typeET4_jRbjT5_S1E_jjP12ihipStream_tbEUljE_ZNSN_ISO_Lb1ESQ_SR_ST_SU_SY_EESZ_S10_S11_S12_S16_S17_S18_S1B_S1C_jS1D_jS1E_S1E_jjS1G_bEUljE0_EEESZ_S10_S11_S18_S1C_S1E_T6_T7_T9_mT8_S1G_bDpT10_ENKUlT_T0_E_clISt17integral_constantIbLb0EES1T_IbLb1EEEEDaS1P_S1Q_EUlS1P_E_NS1_11comp_targetILNS1_3genE5ELNS1_11target_archE942ELNS1_3gpuE9ELNS1_3repE0EEENS1_30default_config_static_selectorELNS0_4arch9wavefront6targetE1EEEvS12_.uses_flat_scratch, 0
	.set _ZN7rocprim17ROCPRIM_400000_NS6detail17trampoline_kernelINS0_13select_configILj256ELj13ELNS0_17block_load_methodE3ELS4_3ELS4_3ELNS0_20block_scan_algorithmE0ELj4294967295EEENS1_25partition_config_selectorILNS1_17partition_subalgoE4EjNS0_10empty_typeEbEEZZNS1_14partition_implILS8_4ELb0ES6_15HIP_vector_typeIjLj2EENS0_17counting_iteratorIjlEEPS9_SG_NS0_5tupleIJPjSI_NS0_16reverse_iteratorISI_EEEEENSH_IJSG_SG_SG_EEES9_SI_JZNS1_25segmented_radix_sort_implINS0_14default_configELb1EPKsPsPKlPlN2at6native12_GLOBAL__N_18offset_tEEE10hipError_tPvRmT1_PNSt15iterator_traitsIS12_E10value_typeET2_T3_PNS13_IS18_E10value_typeET4_jRbjT5_S1E_jjP12ihipStream_tbEUljE_ZNSN_ISO_Lb1ESQ_SR_ST_SU_SY_EESZ_S10_S11_S12_S16_S17_S18_S1B_S1C_jS1D_jS1E_S1E_jjS1G_bEUljE0_EEESZ_S10_S11_S18_S1C_S1E_T6_T7_T9_mT8_S1G_bDpT10_ENKUlT_T0_E_clISt17integral_constantIbLb0EES1T_IbLb1EEEEDaS1P_S1Q_EUlS1P_E_NS1_11comp_targetILNS1_3genE5ELNS1_11target_archE942ELNS1_3gpuE9ELNS1_3repE0EEENS1_30default_config_static_selectorELNS0_4arch9wavefront6targetE1EEEvS12_.has_dyn_sized_stack, 0
	.set _ZN7rocprim17ROCPRIM_400000_NS6detail17trampoline_kernelINS0_13select_configILj256ELj13ELNS0_17block_load_methodE3ELS4_3ELS4_3ELNS0_20block_scan_algorithmE0ELj4294967295EEENS1_25partition_config_selectorILNS1_17partition_subalgoE4EjNS0_10empty_typeEbEEZZNS1_14partition_implILS8_4ELb0ES6_15HIP_vector_typeIjLj2EENS0_17counting_iteratorIjlEEPS9_SG_NS0_5tupleIJPjSI_NS0_16reverse_iteratorISI_EEEEENSH_IJSG_SG_SG_EEES9_SI_JZNS1_25segmented_radix_sort_implINS0_14default_configELb1EPKsPsPKlPlN2at6native12_GLOBAL__N_18offset_tEEE10hipError_tPvRmT1_PNSt15iterator_traitsIS12_E10value_typeET2_T3_PNS13_IS18_E10value_typeET4_jRbjT5_S1E_jjP12ihipStream_tbEUljE_ZNSN_ISO_Lb1ESQ_SR_ST_SU_SY_EESZ_S10_S11_S12_S16_S17_S18_S1B_S1C_jS1D_jS1E_S1E_jjS1G_bEUljE0_EEESZ_S10_S11_S18_S1C_S1E_T6_T7_T9_mT8_S1G_bDpT10_ENKUlT_T0_E_clISt17integral_constantIbLb0EES1T_IbLb1EEEEDaS1P_S1Q_EUlS1P_E_NS1_11comp_targetILNS1_3genE5ELNS1_11target_archE942ELNS1_3gpuE9ELNS1_3repE0EEENS1_30default_config_static_selectorELNS0_4arch9wavefront6targetE1EEEvS12_.has_recursion, 0
	.set _ZN7rocprim17ROCPRIM_400000_NS6detail17trampoline_kernelINS0_13select_configILj256ELj13ELNS0_17block_load_methodE3ELS4_3ELS4_3ELNS0_20block_scan_algorithmE0ELj4294967295EEENS1_25partition_config_selectorILNS1_17partition_subalgoE4EjNS0_10empty_typeEbEEZZNS1_14partition_implILS8_4ELb0ES6_15HIP_vector_typeIjLj2EENS0_17counting_iteratorIjlEEPS9_SG_NS0_5tupleIJPjSI_NS0_16reverse_iteratorISI_EEEEENSH_IJSG_SG_SG_EEES9_SI_JZNS1_25segmented_radix_sort_implINS0_14default_configELb1EPKsPsPKlPlN2at6native12_GLOBAL__N_18offset_tEEE10hipError_tPvRmT1_PNSt15iterator_traitsIS12_E10value_typeET2_T3_PNS13_IS18_E10value_typeET4_jRbjT5_S1E_jjP12ihipStream_tbEUljE_ZNSN_ISO_Lb1ESQ_SR_ST_SU_SY_EESZ_S10_S11_S12_S16_S17_S18_S1B_S1C_jS1D_jS1E_S1E_jjS1G_bEUljE0_EEESZ_S10_S11_S18_S1C_S1E_T6_T7_T9_mT8_S1G_bDpT10_ENKUlT_T0_E_clISt17integral_constantIbLb0EES1T_IbLb1EEEEDaS1P_S1Q_EUlS1P_E_NS1_11comp_targetILNS1_3genE5ELNS1_11target_archE942ELNS1_3gpuE9ELNS1_3repE0EEENS1_30default_config_static_selectorELNS0_4arch9wavefront6targetE1EEEvS12_.has_indirect_call, 0
	.section	.AMDGPU.csdata,"",@progbits
; Kernel info:
; codeLenInByte = 0
; TotalNumSgprs: 4
; NumVgprs: 0
; ScratchSize: 0
; MemoryBound: 0
; FloatMode: 240
; IeeeMode: 1
; LDSByteSize: 0 bytes/workgroup (compile time only)
; SGPRBlocks: 0
; VGPRBlocks: 0
; NumSGPRsForWavesPerEU: 4
; NumVGPRsForWavesPerEU: 1
; Occupancy: 10
; WaveLimiterHint : 0
; COMPUTE_PGM_RSRC2:SCRATCH_EN: 0
; COMPUTE_PGM_RSRC2:USER_SGPR: 6
; COMPUTE_PGM_RSRC2:TRAP_HANDLER: 0
; COMPUTE_PGM_RSRC2:TGID_X_EN: 1
; COMPUTE_PGM_RSRC2:TGID_Y_EN: 0
; COMPUTE_PGM_RSRC2:TGID_Z_EN: 0
; COMPUTE_PGM_RSRC2:TIDIG_COMP_CNT: 0
	.section	.text._ZN7rocprim17ROCPRIM_400000_NS6detail17trampoline_kernelINS0_13select_configILj256ELj13ELNS0_17block_load_methodE3ELS4_3ELS4_3ELNS0_20block_scan_algorithmE0ELj4294967295EEENS1_25partition_config_selectorILNS1_17partition_subalgoE4EjNS0_10empty_typeEbEEZZNS1_14partition_implILS8_4ELb0ES6_15HIP_vector_typeIjLj2EENS0_17counting_iteratorIjlEEPS9_SG_NS0_5tupleIJPjSI_NS0_16reverse_iteratorISI_EEEEENSH_IJSG_SG_SG_EEES9_SI_JZNS1_25segmented_radix_sort_implINS0_14default_configELb1EPKsPsPKlPlN2at6native12_GLOBAL__N_18offset_tEEE10hipError_tPvRmT1_PNSt15iterator_traitsIS12_E10value_typeET2_T3_PNS13_IS18_E10value_typeET4_jRbjT5_S1E_jjP12ihipStream_tbEUljE_ZNSN_ISO_Lb1ESQ_SR_ST_SU_SY_EESZ_S10_S11_S12_S16_S17_S18_S1B_S1C_jS1D_jS1E_S1E_jjS1G_bEUljE0_EEESZ_S10_S11_S18_S1C_S1E_T6_T7_T9_mT8_S1G_bDpT10_ENKUlT_T0_E_clISt17integral_constantIbLb0EES1T_IbLb1EEEEDaS1P_S1Q_EUlS1P_E_NS1_11comp_targetILNS1_3genE4ELNS1_11target_archE910ELNS1_3gpuE8ELNS1_3repE0EEENS1_30default_config_static_selectorELNS0_4arch9wavefront6targetE1EEEvS12_,"axG",@progbits,_ZN7rocprim17ROCPRIM_400000_NS6detail17trampoline_kernelINS0_13select_configILj256ELj13ELNS0_17block_load_methodE3ELS4_3ELS4_3ELNS0_20block_scan_algorithmE0ELj4294967295EEENS1_25partition_config_selectorILNS1_17partition_subalgoE4EjNS0_10empty_typeEbEEZZNS1_14partition_implILS8_4ELb0ES6_15HIP_vector_typeIjLj2EENS0_17counting_iteratorIjlEEPS9_SG_NS0_5tupleIJPjSI_NS0_16reverse_iteratorISI_EEEEENSH_IJSG_SG_SG_EEES9_SI_JZNS1_25segmented_radix_sort_implINS0_14default_configELb1EPKsPsPKlPlN2at6native12_GLOBAL__N_18offset_tEEE10hipError_tPvRmT1_PNSt15iterator_traitsIS12_E10value_typeET2_T3_PNS13_IS18_E10value_typeET4_jRbjT5_S1E_jjP12ihipStream_tbEUljE_ZNSN_ISO_Lb1ESQ_SR_ST_SU_SY_EESZ_S10_S11_S12_S16_S17_S18_S1B_S1C_jS1D_jS1E_S1E_jjS1G_bEUljE0_EEESZ_S10_S11_S18_S1C_S1E_T6_T7_T9_mT8_S1G_bDpT10_ENKUlT_T0_E_clISt17integral_constantIbLb0EES1T_IbLb1EEEEDaS1P_S1Q_EUlS1P_E_NS1_11comp_targetILNS1_3genE4ELNS1_11target_archE910ELNS1_3gpuE8ELNS1_3repE0EEENS1_30default_config_static_selectorELNS0_4arch9wavefront6targetE1EEEvS12_,comdat
	.globl	_ZN7rocprim17ROCPRIM_400000_NS6detail17trampoline_kernelINS0_13select_configILj256ELj13ELNS0_17block_load_methodE3ELS4_3ELS4_3ELNS0_20block_scan_algorithmE0ELj4294967295EEENS1_25partition_config_selectorILNS1_17partition_subalgoE4EjNS0_10empty_typeEbEEZZNS1_14partition_implILS8_4ELb0ES6_15HIP_vector_typeIjLj2EENS0_17counting_iteratorIjlEEPS9_SG_NS0_5tupleIJPjSI_NS0_16reverse_iteratorISI_EEEEENSH_IJSG_SG_SG_EEES9_SI_JZNS1_25segmented_radix_sort_implINS0_14default_configELb1EPKsPsPKlPlN2at6native12_GLOBAL__N_18offset_tEEE10hipError_tPvRmT1_PNSt15iterator_traitsIS12_E10value_typeET2_T3_PNS13_IS18_E10value_typeET4_jRbjT5_S1E_jjP12ihipStream_tbEUljE_ZNSN_ISO_Lb1ESQ_SR_ST_SU_SY_EESZ_S10_S11_S12_S16_S17_S18_S1B_S1C_jS1D_jS1E_S1E_jjS1G_bEUljE0_EEESZ_S10_S11_S18_S1C_S1E_T6_T7_T9_mT8_S1G_bDpT10_ENKUlT_T0_E_clISt17integral_constantIbLb0EES1T_IbLb1EEEEDaS1P_S1Q_EUlS1P_E_NS1_11comp_targetILNS1_3genE4ELNS1_11target_archE910ELNS1_3gpuE8ELNS1_3repE0EEENS1_30default_config_static_selectorELNS0_4arch9wavefront6targetE1EEEvS12_ ; -- Begin function _ZN7rocprim17ROCPRIM_400000_NS6detail17trampoline_kernelINS0_13select_configILj256ELj13ELNS0_17block_load_methodE3ELS4_3ELS4_3ELNS0_20block_scan_algorithmE0ELj4294967295EEENS1_25partition_config_selectorILNS1_17partition_subalgoE4EjNS0_10empty_typeEbEEZZNS1_14partition_implILS8_4ELb0ES6_15HIP_vector_typeIjLj2EENS0_17counting_iteratorIjlEEPS9_SG_NS0_5tupleIJPjSI_NS0_16reverse_iteratorISI_EEEEENSH_IJSG_SG_SG_EEES9_SI_JZNS1_25segmented_radix_sort_implINS0_14default_configELb1EPKsPsPKlPlN2at6native12_GLOBAL__N_18offset_tEEE10hipError_tPvRmT1_PNSt15iterator_traitsIS12_E10value_typeET2_T3_PNS13_IS18_E10value_typeET4_jRbjT5_S1E_jjP12ihipStream_tbEUljE_ZNSN_ISO_Lb1ESQ_SR_ST_SU_SY_EESZ_S10_S11_S12_S16_S17_S18_S1B_S1C_jS1D_jS1E_S1E_jjS1G_bEUljE0_EEESZ_S10_S11_S18_S1C_S1E_T6_T7_T9_mT8_S1G_bDpT10_ENKUlT_T0_E_clISt17integral_constantIbLb0EES1T_IbLb1EEEEDaS1P_S1Q_EUlS1P_E_NS1_11comp_targetILNS1_3genE4ELNS1_11target_archE910ELNS1_3gpuE8ELNS1_3repE0EEENS1_30default_config_static_selectorELNS0_4arch9wavefront6targetE1EEEvS12_
	.p2align	8
	.type	_ZN7rocprim17ROCPRIM_400000_NS6detail17trampoline_kernelINS0_13select_configILj256ELj13ELNS0_17block_load_methodE3ELS4_3ELS4_3ELNS0_20block_scan_algorithmE0ELj4294967295EEENS1_25partition_config_selectorILNS1_17partition_subalgoE4EjNS0_10empty_typeEbEEZZNS1_14partition_implILS8_4ELb0ES6_15HIP_vector_typeIjLj2EENS0_17counting_iteratorIjlEEPS9_SG_NS0_5tupleIJPjSI_NS0_16reverse_iteratorISI_EEEEENSH_IJSG_SG_SG_EEES9_SI_JZNS1_25segmented_radix_sort_implINS0_14default_configELb1EPKsPsPKlPlN2at6native12_GLOBAL__N_18offset_tEEE10hipError_tPvRmT1_PNSt15iterator_traitsIS12_E10value_typeET2_T3_PNS13_IS18_E10value_typeET4_jRbjT5_S1E_jjP12ihipStream_tbEUljE_ZNSN_ISO_Lb1ESQ_SR_ST_SU_SY_EESZ_S10_S11_S12_S16_S17_S18_S1B_S1C_jS1D_jS1E_S1E_jjS1G_bEUljE0_EEESZ_S10_S11_S18_S1C_S1E_T6_T7_T9_mT8_S1G_bDpT10_ENKUlT_T0_E_clISt17integral_constantIbLb0EES1T_IbLb1EEEEDaS1P_S1Q_EUlS1P_E_NS1_11comp_targetILNS1_3genE4ELNS1_11target_archE910ELNS1_3gpuE8ELNS1_3repE0EEENS1_30default_config_static_selectorELNS0_4arch9wavefront6targetE1EEEvS12_,@function
_ZN7rocprim17ROCPRIM_400000_NS6detail17trampoline_kernelINS0_13select_configILj256ELj13ELNS0_17block_load_methodE3ELS4_3ELS4_3ELNS0_20block_scan_algorithmE0ELj4294967295EEENS1_25partition_config_selectorILNS1_17partition_subalgoE4EjNS0_10empty_typeEbEEZZNS1_14partition_implILS8_4ELb0ES6_15HIP_vector_typeIjLj2EENS0_17counting_iteratorIjlEEPS9_SG_NS0_5tupleIJPjSI_NS0_16reverse_iteratorISI_EEEEENSH_IJSG_SG_SG_EEES9_SI_JZNS1_25segmented_radix_sort_implINS0_14default_configELb1EPKsPsPKlPlN2at6native12_GLOBAL__N_18offset_tEEE10hipError_tPvRmT1_PNSt15iterator_traitsIS12_E10value_typeET2_T3_PNS13_IS18_E10value_typeET4_jRbjT5_S1E_jjP12ihipStream_tbEUljE_ZNSN_ISO_Lb1ESQ_SR_ST_SU_SY_EESZ_S10_S11_S12_S16_S17_S18_S1B_S1C_jS1D_jS1E_S1E_jjS1G_bEUljE0_EEESZ_S10_S11_S18_S1C_S1E_T6_T7_T9_mT8_S1G_bDpT10_ENKUlT_T0_E_clISt17integral_constantIbLb0EES1T_IbLb1EEEEDaS1P_S1Q_EUlS1P_E_NS1_11comp_targetILNS1_3genE4ELNS1_11target_archE910ELNS1_3gpuE8ELNS1_3repE0EEENS1_30default_config_static_selectorELNS0_4arch9wavefront6targetE1EEEvS12_: ; @_ZN7rocprim17ROCPRIM_400000_NS6detail17trampoline_kernelINS0_13select_configILj256ELj13ELNS0_17block_load_methodE3ELS4_3ELS4_3ELNS0_20block_scan_algorithmE0ELj4294967295EEENS1_25partition_config_selectorILNS1_17partition_subalgoE4EjNS0_10empty_typeEbEEZZNS1_14partition_implILS8_4ELb0ES6_15HIP_vector_typeIjLj2EENS0_17counting_iteratorIjlEEPS9_SG_NS0_5tupleIJPjSI_NS0_16reverse_iteratorISI_EEEEENSH_IJSG_SG_SG_EEES9_SI_JZNS1_25segmented_radix_sort_implINS0_14default_configELb1EPKsPsPKlPlN2at6native12_GLOBAL__N_18offset_tEEE10hipError_tPvRmT1_PNSt15iterator_traitsIS12_E10value_typeET2_T3_PNS13_IS18_E10value_typeET4_jRbjT5_S1E_jjP12ihipStream_tbEUljE_ZNSN_ISO_Lb1ESQ_SR_ST_SU_SY_EESZ_S10_S11_S12_S16_S17_S18_S1B_S1C_jS1D_jS1E_S1E_jjS1G_bEUljE0_EEESZ_S10_S11_S18_S1C_S1E_T6_T7_T9_mT8_S1G_bDpT10_ENKUlT_T0_E_clISt17integral_constantIbLb0EES1T_IbLb1EEEEDaS1P_S1Q_EUlS1P_E_NS1_11comp_targetILNS1_3genE4ELNS1_11target_archE910ELNS1_3gpuE8ELNS1_3repE0EEENS1_30default_config_static_selectorELNS0_4arch9wavefront6targetE1EEEvS12_
; %bb.0:
	.section	.rodata,"a",@progbits
	.p2align	6, 0x0
	.amdhsa_kernel _ZN7rocprim17ROCPRIM_400000_NS6detail17trampoline_kernelINS0_13select_configILj256ELj13ELNS0_17block_load_methodE3ELS4_3ELS4_3ELNS0_20block_scan_algorithmE0ELj4294967295EEENS1_25partition_config_selectorILNS1_17partition_subalgoE4EjNS0_10empty_typeEbEEZZNS1_14partition_implILS8_4ELb0ES6_15HIP_vector_typeIjLj2EENS0_17counting_iteratorIjlEEPS9_SG_NS0_5tupleIJPjSI_NS0_16reverse_iteratorISI_EEEEENSH_IJSG_SG_SG_EEES9_SI_JZNS1_25segmented_radix_sort_implINS0_14default_configELb1EPKsPsPKlPlN2at6native12_GLOBAL__N_18offset_tEEE10hipError_tPvRmT1_PNSt15iterator_traitsIS12_E10value_typeET2_T3_PNS13_IS18_E10value_typeET4_jRbjT5_S1E_jjP12ihipStream_tbEUljE_ZNSN_ISO_Lb1ESQ_SR_ST_SU_SY_EESZ_S10_S11_S12_S16_S17_S18_S1B_S1C_jS1D_jS1E_S1E_jjS1G_bEUljE0_EEESZ_S10_S11_S18_S1C_S1E_T6_T7_T9_mT8_S1G_bDpT10_ENKUlT_T0_E_clISt17integral_constantIbLb0EES1T_IbLb1EEEEDaS1P_S1Q_EUlS1P_E_NS1_11comp_targetILNS1_3genE4ELNS1_11target_archE910ELNS1_3gpuE8ELNS1_3repE0EEENS1_30default_config_static_selectorELNS0_4arch9wavefront6targetE1EEEvS12_
		.amdhsa_group_segment_fixed_size 0
		.amdhsa_private_segment_fixed_size 0
		.amdhsa_kernarg_size 184
		.amdhsa_user_sgpr_count 6
		.amdhsa_user_sgpr_private_segment_buffer 1
		.amdhsa_user_sgpr_dispatch_ptr 0
		.amdhsa_user_sgpr_queue_ptr 0
		.amdhsa_user_sgpr_kernarg_segment_ptr 1
		.amdhsa_user_sgpr_dispatch_id 0
		.amdhsa_user_sgpr_flat_scratch_init 0
		.amdhsa_user_sgpr_private_segment_size 0
		.amdhsa_uses_dynamic_stack 0
		.amdhsa_system_sgpr_private_segment_wavefront_offset 0
		.amdhsa_system_sgpr_workgroup_id_x 1
		.amdhsa_system_sgpr_workgroup_id_y 0
		.amdhsa_system_sgpr_workgroup_id_z 0
		.amdhsa_system_sgpr_workgroup_info 0
		.amdhsa_system_vgpr_workitem_id 0
		.amdhsa_next_free_vgpr 1
		.amdhsa_next_free_sgpr 0
		.amdhsa_reserve_vcc 0
		.amdhsa_reserve_flat_scratch 0
		.amdhsa_float_round_mode_32 0
		.amdhsa_float_round_mode_16_64 0
		.amdhsa_float_denorm_mode_32 3
		.amdhsa_float_denorm_mode_16_64 3
		.amdhsa_dx10_clamp 1
		.amdhsa_ieee_mode 1
		.amdhsa_fp16_overflow 0
		.amdhsa_exception_fp_ieee_invalid_op 0
		.amdhsa_exception_fp_denorm_src 0
		.amdhsa_exception_fp_ieee_div_zero 0
		.amdhsa_exception_fp_ieee_overflow 0
		.amdhsa_exception_fp_ieee_underflow 0
		.amdhsa_exception_fp_ieee_inexact 0
		.amdhsa_exception_int_div_zero 0
	.end_amdhsa_kernel
	.section	.text._ZN7rocprim17ROCPRIM_400000_NS6detail17trampoline_kernelINS0_13select_configILj256ELj13ELNS0_17block_load_methodE3ELS4_3ELS4_3ELNS0_20block_scan_algorithmE0ELj4294967295EEENS1_25partition_config_selectorILNS1_17partition_subalgoE4EjNS0_10empty_typeEbEEZZNS1_14partition_implILS8_4ELb0ES6_15HIP_vector_typeIjLj2EENS0_17counting_iteratorIjlEEPS9_SG_NS0_5tupleIJPjSI_NS0_16reverse_iteratorISI_EEEEENSH_IJSG_SG_SG_EEES9_SI_JZNS1_25segmented_radix_sort_implINS0_14default_configELb1EPKsPsPKlPlN2at6native12_GLOBAL__N_18offset_tEEE10hipError_tPvRmT1_PNSt15iterator_traitsIS12_E10value_typeET2_T3_PNS13_IS18_E10value_typeET4_jRbjT5_S1E_jjP12ihipStream_tbEUljE_ZNSN_ISO_Lb1ESQ_SR_ST_SU_SY_EESZ_S10_S11_S12_S16_S17_S18_S1B_S1C_jS1D_jS1E_S1E_jjS1G_bEUljE0_EEESZ_S10_S11_S18_S1C_S1E_T6_T7_T9_mT8_S1G_bDpT10_ENKUlT_T0_E_clISt17integral_constantIbLb0EES1T_IbLb1EEEEDaS1P_S1Q_EUlS1P_E_NS1_11comp_targetILNS1_3genE4ELNS1_11target_archE910ELNS1_3gpuE8ELNS1_3repE0EEENS1_30default_config_static_selectorELNS0_4arch9wavefront6targetE1EEEvS12_,"axG",@progbits,_ZN7rocprim17ROCPRIM_400000_NS6detail17trampoline_kernelINS0_13select_configILj256ELj13ELNS0_17block_load_methodE3ELS4_3ELS4_3ELNS0_20block_scan_algorithmE0ELj4294967295EEENS1_25partition_config_selectorILNS1_17partition_subalgoE4EjNS0_10empty_typeEbEEZZNS1_14partition_implILS8_4ELb0ES6_15HIP_vector_typeIjLj2EENS0_17counting_iteratorIjlEEPS9_SG_NS0_5tupleIJPjSI_NS0_16reverse_iteratorISI_EEEEENSH_IJSG_SG_SG_EEES9_SI_JZNS1_25segmented_radix_sort_implINS0_14default_configELb1EPKsPsPKlPlN2at6native12_GLOBAL__N_18offset_tEEE10hipError_tPvRmT1_PNSt15iterator_traitsIS12_E10value_typeET2_T3_PNS13_IS18_E10value_typeET4_jRbjT5_S1E_jjP12ihipStream_tbEUljE_ZNSN_ISO_Lb1ESQ_SR_ST_SU_SY_EESZ_S10_S11_S12_S16_S17_S18_S1B_S1C_jS1D_jS1E_S1E_jjS1G_bEUljE0_EEESZ_S10_S11_S18_S1C_S1E_T6_T7_T9_mT8_S1G_bDpT10_ENKUlT_T0_E_clISt17integral_constantIbLb0EES1T_IbLb1EEEEDaS1P_S1Q_EUlS1P_E_NS1_11comp_targetILNS1_3genE4ELNS1_11target_archE910ELNS1_3gpuE8ELNS1_3repE0EEENS1_30default_config_static_selectorELNS0_4arch9wavefront6targetE1EEEvS12_,comdat
.Lfunc_end873:
	.size	_ZN7rocprim17ROCPRIM_400000_NS6detail17trampoline_kernelINS0_13select_configILj256ELj13ELNS0_17block_load_methodE3ELS4_3ELS4_3ELNS0_20block_scan_algorithmE0ELj4294967295EEENS1_25partition_config_selectorILNS1_17partition_subalgoE4EjNS0_10empty_typeEbEEZZNS1_14partition_implILS8_4ELb0ES6_15HIP_vector_typeIjLj2EENS0_17counting_iteratorIjlEEPS9_SG_NS0_5tupleIJPjSI_NS0_16reverse_iteratorISI_EEEEENSH_IJSG_SG_SG_EEES9_SI_JZNS1_25segmented_radix_sort_implINS0_14default_configELb1EPKsPsPKlPlN2at6native12_GLOBAL__N_18offset_tEEE10hipError_tPvRmT1_PNSt15iterator_traitsIS12_E10value_typeET2_T3_PNS13_IS18_E10value_typeET4_jRbjT5_S1E_jjP12ihipStream_tbEUljE_ZNSN_ISO_Lb1ESQ_SR_ST_SU_SY_EESZ_S10_S11_S12_S16_S17_S18_S1B_S1C_jS1D_jS1E_S1E_jjS1G_bEUljE0_EEESZ_S10_S11_S18_S1C_S1E_T6_T7_T9_mT8_S1G_bDpT10_ENKUlT_T0_E_clISt17integral_constantIbLb0EES1T_IbLb1EEEEDaS1P_S1Q_EUlS1P_E_NS1_11comp_targetILNS1_3genE4ELNS1_11target_archE910ELNS1_3gpuE8ELNS1_3repE0EEENS1_30default_config_static_selectorELNS0_4arch9wavefront6targetE1EEEvS12_, .Lfunc_end873-_ZN7rocprim17ROCPRIM_400000_NS6detail17trampoline_kernelINS0_13select_configILj256ELj13ELNS0_17block_load_methodE3ELS4_3ELS4_3ELNS0_20block_scan_algorithmE0ELj4294967295EEENS1_25partition_config_selectorILNS1_17partition_subalgoE4EjNS0_10empty_typeEbEEZZNS1_14partition_implILS8_4ELb0ES6_15HIP_vector_typeIjLj2EENS0_17counting_iteratorIjlEEPS9_SG_NS0_5tupleIJPjSI_NS0_16reverse_iteratorISI_EEEEENSH_IJSG_SG_SG_EEES9_SI_JZNS1_25segmented_radix_sort_implINS0_14default_configELb1EPKsPsPKlPlN2at6native12_GLOBAL__N_18offset_tEEE10hipError_tPvRmT1_PNSt15iterator_traitsIS12_E10value_typeET2_T3_PNS13_IS18_E10value_typeET4_jRbjT5_S1E_jjP12ihipStream_tbEUljE_ZNSN_ISO_Lb1ESQ_SR_ST_SU_SY_EESZ_S10_S11_S12_S16_S17_S18_S1B_S1C_jS1D_jS1E_S1E_jjS1G_bEUljE0_EEESZ_S10_S11_S18_S1C_S1E_T6_T7_T9_mT8_S1G_bDpT10_ENKUlT_T0_E_clISt17integral_constantIbLb0EES1T_IbLb1EEEEDaS1P_S1Q_EUlS1P_E_NS1_11comp_targetILNS1_3genE4ELNS1_11target_archE910ELNS1_3gpuE8ELNS1_3repE0EEENS1_30default_config_static_selectorELNS0_4arch9wavefront6targetE1EEEvS12_
                                        ; -- End function
	.set _ZN7rocprim17ROCPRIM_400000_NS6detail17trampoline_kernelINS0_13select_configILj256ELj13ELNS0_17block_load_methodE3ELS4_3ELS4_3ELNS0_20block_scan_algorithmE0ELj4294967295EEENS1_25partition_config_selectorILNS1_17partition_subalgoE4EjNS0_10empty_typeEbEEZZNS1_14partition_implILS8_4ELb0ES6_15HIP_vector_typeIjLj2EENS0_17counting_iteratorIjlEEPS9_SG_NS0_5tupleIJPjSI_NS0_16reverse_iteratorISI_EEEEENSH_IJSG_SG_SG_EEES9_SI_JZNS1_25segmented_radix_sort_implINS0_14default_configELb1EPKsPsPKlPlN2at6native12_GLOBAL__N_18offset_tEEE10hipError_tPvRmT1_PNSt15iterator_traitsIS12_E10value_typeET2_T3_PNS13_IS18_E10value_typeET4_jRbjT5_S1E_jjP12ihipStream_tbEUljE_ZNSN_ISO_Lb1ESQ_SR_ST_SU_SY_EESZ_S10_S11_S12_S16_S17_S18_S1B_S1C_jS1D_jS1E_S1E_jjS1G_bEUljE0_EEESZ_S10_S11_S18_S1C_S1E_T6_T7_T9_mT8_S1G_bDpT10_ENKUlT_T0_E_clISt17integral_constantIbLb0EES1T_IbLb1EEEEDaS1P_S1Q_EUlS1P_E_NS1_11comp_targetILNS1_3genE4ELNS1_11target_archE910ELNS1_3gpuE8ELNS1_3repE0EEENS1_30default_config_static_selectorELNS0_4arch9wavefront6targetE1EEEvS12_.num_vgpr, 0
	.set _ZN7rocprim17ROCPRIM_400000_NS6detail17trampoline_kernelINS0_13select_configILj256ELj13ELNS0_17block_load_methodE3ELS4_3ELS4_3ELNS0_20block_scan_algorithmE0ELj4294967295EEENS1_25partition_config_selectorILNS1_17partition_subalgoE4EjNS0_10empty_typeEbEEZZNS1_14partition_implILS8_4ELb0ES6_15HIP_vector_typeIjLj2EENS0_17counting_iteratorIjlEEPS9_SG_NS0_5tupleIJPjSI_NS0_16reverse_iteratorISI_EEEEENSH_IJSG_SG_SG_EEES9_SI_JZNS1_25segmented_radix_sort_implINS0_14default_configELb1EPKsPsPKlPlN2at6native12_GLOBAL__N_18offset_tEEE10hipError_tPvRmT1_PNSt15iterator_traitsIS12_E10value_typeET2_T3_PNS13_IS18_E10value_typeET4_jRbjT5_S1E_jjP12ihipStream_tbEUljE_ZNSN_ISO_Lb1ESQ_SR_ST_SU_SY_EESZ_S10_S11_S12_S16_S17_S18_S1B_S1C_jS1D_jS1E_S1E_jjS1G_bEUljE0_EEESZ_S10_S11_S18_S1C_S1E_T6_T7_T9_mT8_S1G_bDpT10_ENKUlT_T0_E_clISt17integral_constantIbLb0EES1T_IbLb1EEEEDaS1P_S1Q_EUlS1P_E_NS1_11comp_targetILNS1_3genE4ELNS1_11target_archE910ELNS1_3gpuE8ELNS1_3repE0EEENS1_30default_config_static_selectorELNS0_4arch9wavefront6targetE1EEEvS12_.num_agpr, 0
	.set _ZN7rocprim17ROCPRIM_400000_NS6detail17trampoline_kernelINS0_13select_configILj256ELj13ELNS0_17block_load_methodE3ELS4_3ELS4_3ELNS0_20block_scan_algorithmE0ELj4294967295EEENS1_25partition_config_selectorILNS1_17partition_subalgoE4EjNS0_10empty_typeEbEEZZNS1_14partition_implILS8_4ELb0ES6_15HIP_vector_typeIjLj2EENS0_17counting_iteratorIjlEEPS9_SG_NS0_5tupleIJPjSI_NS0_16reverse_iteratorISI_EEEEENSH_IJSG_SG_SG_EEES9_SI_JZNS1_25segmented_radix_sort_implINS0_14default_configELb1EPKsPsPKlPlN2at6native12_GLOBAL__N_18offset_tEEE10hipError_tPvRmT1_PNSt15iterator_traitsIS12_E10value_typeET2_T3_PNS13_IS18_E10value_typeET4_jRbjT5_S1E_jjP12ihipStream_tbEUljE_ZNSN_ISO_Lb1ESQ_SR_ST_SU_SY_EESZ_S10_S11_S12_S16_S17_S18_S1B_S1C_jS1D_jS1E_S1E_jjS1G_bEUljE0_EEESZ_S10_S11_S18_S1C_S1E_T6_T7_T9_mT8_S1G_bDpT10_ENKUlT_T0_E_clISt17integral_constantIbLb0EES1T_IbLb1EEEEDaS1P_S1Q_EUlS1P_E_NS1_11comp_targetILNS1_3genE4ELNS1_11target_archE910ELNS1_3gpuE8ELNS1_3repE0EEENS1_30default_config_static_selectorELNS0_4arch9wavefront6targetE1EEEvS12_.numbered_sgpr, 0
	.set _ZN7rocprim17ROCPRIM_400000_NS6detail17trampoline_kernelINS0_13select_configILj256ELj13ELNS0_17block_load_methodE3ELS4_3ELS4_3ELNS0_20block_scan_algorithmE0ELj4294967295EEENS1_25partition_config_selectorILNS1_17partition_subalgoE4EjNS0_10empty_typeEbEEZZNS1_14partition_implILS8_4ELb0ES6_15HIP_vector_typeIjLj2EENS0_17counting_iteratorIjlEEPS9_SG_NS0_5tupleIJPjSI_NS0_16reverse_iteratorISI_EEEEENSH_IJSG_SG_SG_EEES9_SI_JZNS1_25segmented_radix_sort_implINS0_14default_configELb1EPKsPsPKlPlN2at6native12_GLOBAL__N_18offset_tEEE10hipError_tPvRmT1_PNSt15iterator_traitsIS12_E10value_typeET2_T3_PNS13_IS18_E10value_typeET4_jRbjT5_S1E_jjP12ihipStream_tbEUljE_ZNSN_ISO_Lb1ESQ_SR_ST_SU_SY_EESZ_S10_S11_S12_S16_S17_S18_S1B_S1C_jS1D_jS1E_S1E_jjS1G_bEUljE0_EEESZ_S10_S11_S18_S1C_S1E_T6_T7_T9_mT8_S1G_bDpT10_ENKUlT_T0_E_clISt17integral_constantIbLb0EES1T_IbLb1EEEEDaS1P_S1Q_EUlS1P_E_NS1_11comp_targetILNS1_3genE4ELNS1_11target_archE910ELNS1_3gpuE8ELNS1_3repE0EEENS1_30default_config_static_selectorELNS0_4arch9wavefront6targetE1EEEvS12_.num_named_barrier, 0
	.set _ZN7rocprim17ROCPRIM_400000_NS6detail17trampoline_kernelINS0_13select_configILj256ELj13ELNS0_17block_load_methodE3ELS4_3ELS4_3ELNS0_20block_scan_algorithmE0ELj4294967295EEENS1_25partition_config_selectorILNS1_17partition_subalgoE4EjNS0_10empty_typeEbEEZZNS1_14partition_implILS8_4ELb0ES6_15HIP_vector_typeIjLj2EENS0_17counting_iteratorIjlEEPS9_SG_NS0_5tupleIJPjSI_NS0_16reverse_iteratorISI_EEEEENSH_IJSG_SG_SG_EEES9_SI_JZNS1_25segmented_radix_sort_implINS0_14default_configELb1EPKsPsPKlPlN2at6native12_GLOBAL__N_18offset_tEEE10hipError_tPvRmT1_PNSt15iterator_traitsIS12_E10value_typeET2_T3_PNS13_IS18_E10value_typeET4_jRbjT5_S1E_jjP12ihipStream_tbEUljE_ZNSN_ISO_Lb1ESQ_SR_ST_SU_SY_EESZ_S10_S11_S12_S16_S17_S18_S1B_S1C_jS1D_jS1E_S1E_jjS1G_bEUljE0_EEESZ_S10_S11_S18_S1C_S1E_T6_T7_T9_mT8_S1G_bDpT10_ENKUlT_T0_E_clISt17integral_constantIbLb0EES1T_IbLb1EEEEDaS1P_S1Q_EUlS1P_E_NS1_11comp_targetILNS1_3genE4ELNS1_11target_archE910ELNS1_3gpuE8ELNS1_3repE0EEENS1_30default_config_static_selectorELNS0_4arch9wavefront6targetE1EEEvS12_.private_seg_size, 0
	.set _ZN7rocprim17ROCPRIM_400000_NS6detail17trampoline_kernelINS0_13select_configILj256ELj13ELNS0_17block_load_methodE3ELS4_3ELS4_3ELNS0_20block_scan_algorithmE0ELj4294967295EEENS1_25partition_config_selectorILNS1_17partition_subalgoE4EjNS0_10empty_typeEbEEZZNS1_14partition_implILS8_4ELb0ES6_15HIP_vector_typeIjLj2EENS0_17counting_iteratorIjlEEPS9_SG_NS0_5tupleIJPjSI_NS0_16reverse_iteratorISI_EEEEENSH_IJSG_SG_SG_EEES9_SI_JZNS1_25segmented_radix_sort_implINS0_14default_configELb1EPKsPsPKlPlN2at6native12_GLOBAL__N_18offset_tEEE10hipError_tPvRmT1_PNSt15iterator_traitsIS12_E10value_typeET2_T3_PNS13_IS18_E10value_typeET4_jRbjT5_S1E_jjP12ihipStream_tbEUljE_ZNSN_ISO_Lb1ESQ_SR_ST_SU_SY_EESZ_S10_S11_S12_S16_S17_S18_S1B_S1C_jS1D_jS1E_S1E_jjS1G_bEUljE0_EEESZ_S10_S11_S18_S1C_S1E_T6_T7_T9_mT8_S1G_bDpT10_ENKUlT_T0_E_clISt17integral_constantIbLb0EES1T_IbLb1EEEEDaS1P_S1Q_EUlS1P_E_NS1_11comp_targetILNS1_3genE4ELNS1_11target_archE910ELNS1_3gpuE8ELNS1_3repE0EEENS1_30default_config_static_selectorELNS0_4arch9wavefront6targetE1EEEvS12_.uses_vcc, 0
	.set _ZN7rocprim17ROCPRIM_400000_NS6detail17trampoline_kernelINS0_13select_configILj256ELj13ELNS0_17block_load_methodE3ELS4_3ELS4_3ELNS0_20block_scan_algorithmE0ELj4294967295EEENS1_25partition_config_selectorILNS1_17partition_subalgoE4EjNS0_10empty_typeEbEEZZNS1_14partition_implILS8_4ELb0ES6_15HIP_vector_typeIjLj2EENS0_17counting_iteratorIjlEEPS9_SG_NS0_5tupleIJPjSI_NS0_16reverse_iteratorISI_EEEEENSH_IJSG_SG_SG_EEES9_SI_JZNS1_25segmented_radix_sort_implINS0_14default_configELb1EPKsPsPKlPlN2at6native12_GLOBAL__N_18offset_tEEE10hipError_tPvRmT1_PNSt15iterator_traitsIS12_E10value_typeET2_T3_PNS13_IS18_E10value_typeET4_jRbjT5_S1E_jjP12ihipStream_tbEUljE_ZNSN_ISO_Lb1ESQ_SR_ST_SU_SY_EESZ_S10_S11_S12_S16_S17_S18_S1B_S1C_jS1D_jS1E_S1E_jjS1G_bEUljE0_EEESZ_S10_S11_S18_S1C_S1E_T6_T7_T9_mT8_S1G_bDpT10_ENKUlT_T0_E_clISt17integral_constantIbLb0EES1T_IbLb1EEEEDaS1P_S1Q_EUlS1P_E_NS1_11comp_targetILNS1_3genE4ELNS1_11target_archE910ELNS1_3gpuE8ELNS1_3repE0EEENS1_30default_config_static_selectorELNS0_4arch9wavefront6targetE1EEEvS12_.uses_flat_scratch, 0
	.set _ZN7rocprim17ROCPRIM_400000_NS6detail17trampoline_kernelINS0_13select_configILj256ELj13ELNS0_17block_load_methodE3ELS4_3ELS4_3ELNS0_20block_scan_algorithmE0ELj4294967295EEENS1_25partition_config_selectorILNS1_17partition_subalgoE4EjNS0_10empty_typeEbEEZZNS1_14partition_implILS8_4ELb0ES6_15HIP_vector_typeIjLj2EENS0_17counting_iteratorIjlEEPS9_SG_NS0_5tupleIJPjSI_NS0_16reverse_iteratorISI_EEEEENSH_IJSG_SG_SG_EEES9_SI_JZNS1_25segmented_radix_sort_implINS0_14default_configELb1EPKsPsPKlPlN2at6native12_GLOBAL__N_18offset_tEEE10hipError_tPvRmT1_PNSt15iterator_traitsIS12_E10value_typeET2_T3_PNS13_IS18_E10value_typeET4_jRbjT5_S1E_jjP12ihipStream_tbEUljE_ZNSN_ISO_Lb1ESQ_SR_ST_SU_SY_EESZ_S10_S11_S12_S16_S17_S18_S1B_S1C_jS1D_jS1E_S1E_jjS1G_bEUljE0_EEESZ_S10_S11_S18_S1C_S1E_T6_T7_T9_mT8_S1G_bDpT10_ENKUlT_T0_E_clISt17integral_constantIbLb0EES1T_IbLb1EEEEDaS1P_S1Q_EUlS1P_E_NS1_11comp_targetILNS1_3genE4ELNS1_11target_archE910ELNS1_3gpuE8ELNS1_3repE0EEENS1_30default_config_static_selectorELNS0_4arch9wavefront6targetE1EEEvS12_.has_dyn_sized_stack, 0
	.set _ZN7rocprim17ROCPRIM_400000_NS6detail17trampoline_kernelINS0_13select_configILj256ELj13ELNS0_17block_load_methodE3ELS4_3ELS4_3ELNS0_20block_scan_algorithmE0ELj4294967295EEENS1_25partition_config_selectorILNS1_17partition_subalgoE4EjNS0_10empty_typeEbEEZZNS1_14partition_implILS8_4ELb0ES6_15HIP_vector_typeIjLj2EENS0_17counting_iteratorIjlEEPS9_SG_NS0_5tupleIJPjSI_NS0_16reverse_iteratorISI_EEEEENSH_IJSG_SG_SG_EEES9_SI_JZNS1_25segmented_radix_sort_implINS0_14default_configELb1EPKsPsPKlPlN2at6native12_GLOBAL__N_18offset_tEEE10hipError_tPvRmT1_PNSt15iterator_traitsIS12_E10value_typeET2_T3_PNS13_IS18_E10value_typeET4_jRbjT5_S1E_jjP12ihipStream_tbEUljE_ZNSN_ISO_Lb1ESQ_SR_ST_SU_SY_EESZ_S10_S11_S12_S16_S17_S18_S1B_S1C_jS1D_jS1E_S1E_jjS1G_bEUljE0_EEESZ_S10_S11_S18_S1C_S1E_T6_T7_T9_mT8_S1G_bDpT10_ENKUlT_T0_E_clISt17integral_constantIbLb0EES1T_IbLb1EEEEDaS1P_S1Q_EUlS1P_E_NS1_11comp_targetILNS1_3genE4ELNS1_11target_archE910ELNS1_3gpuE8ELNS1_3repE0EEENS1_30default_config_static_selectorELNS0_4arch9wavefront6targetE1EEEvS12_.has_recursion, 0
	.set _ZN7rocprim17ROCPRIM_400000_NS6detail17trampoline_kernelINS0_13select_configILj256ELj13ELNS0_17block_load_methodE3ELS4_3ELS4_3ELNS0_20block_scan_algorithmE0ELj4294967295EEENS1_25partition_config_selectorILNS1_17partition_subalgoE4EjNS0_10empty_typeEbEEZZNS1_14partition_implILS8_4ELb0ES6_15HIP_vector_typeIjLj2EENS0_17counting_iteratorIjlEEPS9_SG_NS0_5tupleIJPjSI_NS0_16reverse_iteratorISI_EEEEENSH_IJSG_SG_SG_EEES9_SI_JZNS1_25segmented_radix_sort_implINS0_14default_configELb1EPKsPsPKlPlN2at6native12_GLOBAL__N_18offset_tEEE10hipError_tPvRmT1_PNSt15iterator_traitsIS12_E10value_typeET2_T3_PNS13_IS18_E10value_typeET4_jRbjT5_S1E_jjP12ihipStream_tbEUljE_ZNSN_ISO_Lb1ESQ_SR_ST_SU_SY_EESZ_S10_S11_S12_S16_S17_S18_S1B_S1C_jS1D_jS1E_S1E_jjS1G_bEUljE0_EEESZ_S10_S11_S18_S1C_S1E_T6_T7_T9_mT8_S1G_bDpT10_ENKUlT_T0_E_clISt17integral_constantIbLb0EES1T_IbLb1EEEEDaS1P_S1Q_EUlS1P_E_NS1_11comp_targetILNS1_3genE4ELNS1_11target_archE910ELNS1_3gpuE8ELNS1_3repE0EEENS1_30default_config_static_selectorELNS0_4arch9wavefront6targetE1EEEvS12_.has_indirect_call, 0
	.section	.AMDGPU.csdata,"",@progbits
; Kernel info:
; codeLenInByte = 0
; TotalNumSgprs: 4
; NumVgprs: 0
; ScratchSize: 0
; MemoryBound: 0
; FloatMode: 240
; IeeeMode: 1
; LDSByteSize: 0 bytes/workgroup (compile time only)
; SGPRBlocks: 0
; VGPRBlocks: 0
; NumSGPRsForWavesPerEU: 4
; NumVGPRsForWavesPerEU: 1
; Occupancy: 10
; WaveLimiterHint : 0
; COMPUTE_PGM_RSRC2:SCRATCH_EN: 0
; COMPUTE_PGM_RSRC2:USER_SGPR: 6
; COMPUTE_PGM_RSRC2:TRAP_HANDLER: 0
; COMPUTE_PGM_RSRC2:TGID_X_EN: 1
; COMPUTE_PGM_RSRC2:TGID_Y_EN: 0
; COMPUTE_PGM_RSRC2:TGID_Z_EN: 0
; COMPUTE_PGM_RSRC2:TIDIG_COMP_CNT: 0
	.section	.text._ZN7rocprim17ROCPRIM_400000_NS6detail17trampoline_kernelINS0_13select_configILj256ELj13ELNS0_17block_load_methodE3ELS4_3ELS4_3ELNS0_20block_scan_algorithmE0ELj4294967295EEENS1_25partition_config_selectorILNS1_17partition_subalgoE4EjNS0_10empty_typeEbEEZZNS1_14partition_implILS8_4ELb0ES6_15HIP_vector_typeIjLj2EENS0_17counting_iteratorIjlEEPS9_SG_NS0_5tupleIJPjSI_NS0_16reverse_iteratorISI_EEEEENSH_IJSG_SG_SG_EEES9_SI_JZNS1_25segmented_radix_sort_implINS0_14default_configELb1EPKsPsPKlPlN2at6native12_GLOBAL__N_18offset_tEEE10hipError_tPvRmT1_PNSt15iterator_traitsIS12_E10value_typeET2_T3_PNS13_IS18_E10value_typeET4_jRbjT5_S1E_jjP12ihipStream_tbEUljE_ZNSN_ISO_Lb1ESQ_SR_ST_SU_SY_EESZ_S10_S11_S12_S16_S17_S18_S1B_S1C_jS1D_jS1E_S1E_jjS1G_bEUljE0_EEESZ_S10_S11_S18_S1C_S1E_T6_T7_T9_mT8_S1G_bDpT10_ENKUlT_T0_E_clISt17integral_constantIbLb0EES1T_IbLb1EEEEDaS1P_S1Q_EUlS1P_E_NS1_11comp_targetILNS1_3genE3ELNS1_11target_archE908ELNS1_3gpuE7ELNS1_3repE0EEENS1_30default_config_static_selectorELNS0_4arch9wavefront6targetE1EEEvS12_,"axG",@progbits,_ZN7rocprim17ROCPRIM_400000_NS6detail17trampoline_kernelINS0_13select_configILj256ELj13ELNS0_17block_load_methodE3ELS4_3ELS4_3ELNS0_20block_scan_algorithmE0ELj4294967295EEENS1_25partition_config_selectorILNS1_17partition_subalgoE4EjNS0_10empty_typeEbEEZZNS1_14partition_implILS8_4ELb0ES6_15HIP_vector_typeIjLj2EENS0_17counting_iteratorIjlEEPS9_SG_NS0_5tupleIJPjSI_NS0_16reverse_iteratorISI_EEEEENSH_IJSG_SG_SG_EEES9_SI_JZNS1_25segmented_radix_sort_implINS0_14default_configELb1EPKsPsPKlPlN2at6native12_GLOBAL__N_18offset_tEEE10hipError_tPvRmT1_PNSt15iterator_traitsIS12_E10value_typeET2_T3_PNS13_IS18_E10value_typeET4_jRbjT5_S1E_jjP12ihipStream_tbEUljE_ZNSN_ISO_Lb1ESQ_SR_ST_SU_SY_EESZ_S10_S11_S12_S16_S17_S18_S1B_S1C_jS1D_jS1E_S1E_jjS1G_bEUljE0_EEESZ_S10_S11_S18_S1C_S1E_T6_T7_T9_mT8_S1G_bDpT10_ENKUlT_T0_E_clISt17integral_constantIbLb0EES1T_IbLb1EEEEDaS1P_S1Q_EUlS1P_E_NS1_11comp_targetILNS1_3genE3ELNS1_11target_archE908ELNS1_3gpuE7ELNS1_3repE0EEENS1_30default_config_static_selectorELNS0_4arch9wavefront6targetE1EEEvS12_,comdat
	.globl	_ZN7rocprim17ROCPRIM_400000_NS6detail17trampoline_kernelINS0_13select_configILj256ELj13ELNS0_17block_load_methodE3ELS4_3ELS4_3ELNS0_20block_scan_algorithmE0ELj4294967295EEENS1_25partition_config_selectorILNS1_17partition_subalgoE4EjNS0_10empty_typeEbEEZZNS1_14partition_implILS8_4ELb0ES6_15HIP_vector_typeIjLj2EENS0_17counting_iteratorIjlEEPS9_SG_NS0_5tupleIJPjSI_NS0_16reverse_iteratorISI_EEEEENSH_IJSG_SG_SG_EEES9_SI_JZNS1_25segmented_radix_sort_implINS0_14default_configELb1EPKsPsPKlPlN2at6native12_GLOBAL__N_18offset_tEEE10hipError_tPvRmT1_PNSt15iterator_traitsIS12_E10value_typeET2_T3_PNS13_IS18_E10value_typeET4_jRbjT5_S1E_jjP12ihipStream_tbEUljE_ZNSN_ISO_Lb1ESQ_SR_ST_SU_SY_EESZ_S10_S11_S12_S16_S17_S18_S1B_S1C_jS1D_jS1E_S1E_jjS1G_bEUljE0_EEESZ_S10_S11_S18_S1C_S1E_T6_T7_T9_mT8_S1G_bDpT10_ENKUlT_T0_E_clISt17integral_constantIbLb0EES1T_IbLb1EEEEDaS1P_S1Q_EUlS1P_E_NS1_11comp_targetILNS1_3genE3ELNS1_11target_archE908ELNS1_3gpuE7ELNS1_3repE0EEENS1_30default_config_static_selectorELNS0_4arch9wavefront6targetE1EEEvS12_ ; -- Begin function _ZN7rocprim17ROCPRIM_400000_NS6detail17trampoline_kernelINS0_13select_configILj256ELj13ELNS0_17block_load_methodE3ELS4_3ELS4_3ELNS0_20block_scan_algorithmE0ELj4294967295EEENS1_25partition_config_selectorILNS1_17partition_subalgoE4EjNS0_10empty_typeEbEEZZNS1_14partition_implILS8_4ELb0ES6_15HIP_vector_typeIjLj2EENS0_17counting_iteratorIjlEEPS9_SG_NS0_5tupleIJPjSI_NS0_16reverse_iteratorISI_EEEEENSH_IJSG_SG_SG_EEES9_SI_JZNS1_25segmented_radix_sort_implINS0_14default_configELb1EPKsPsPKlPlN2at6native12_GLOBAL__N_18offset_tEEE10hipError_tPvRmT1_PNSt15iterator_traitsIS12_E10value_typeET2_T3_PNS13_IS18_E10value_typeET4_jRbjT5_S1E_jjP12ihipStream_tbEUljE_ZNSN_ISO_Lb1ESQ_SR_ST_SU_SY_EESZ_S10_S11_S12_S16_S17_S18_S1B_S1C_jS1D_jS1E_S1E_jjS1G_bEUljE0_EEESZ_S10_S11_S18_S1C_S1E_T6_T7_T9_mT8_S1G_bDpT10_ENKUlT_T0_E_clISt17integral_constantIbLb0EES1T_IbLb1EEEEDaS1P_S1Q_EUlS1P_E_NS1_11comp_targetILNS1_3genE3ELNS1_11target_archE908ELNS1_3gpuE7ELNS1_3repE0EEENS1_30default_config_static_selectorELNS0_4arch9wavefront6targetE1EEEvS12_
	.p2align	8
	.type	_ZN7rocprim17ROCPRIM_400000_NS6detail17trampoline_kernelINS0_13select_configILj256ELj13ELNS0_17block_load_methodE3ELS4_3ELS4_3ELNS0_20block_scan_algorithmE0ELj4294967295EEENS1_25partition_config_selectorILNS1_17partition_subalgoE4EjNS0_10empty_typeEbEEZZNS1_14partition_implILS8_4ELb0ES6_15HIP_vector_typeIjLj2EENS0_17counting_iteratorIjlEEPS9_SG_NS0_5tupleIJPjSI_NS0_16reverse_iteratorISI_EEEEENSH_IJSG_SG_SG_EEES9_SI_JZNS1_25segmented_radix_sort_implINS0_14default_configELb1EPKsPsPKlPlN2at6native12_GLOBAL__N_18offset_tEEE10hipError_tPvRmT1_PNSt15iterator_traitsIS12_E10value_typeET2_T3_PNS13_IS18_E10value_typeET4_jRbjT5_S1E_jjP12ihipStream_tbEUljE_ZNSN_ISO_Lb1ESQ_SR_ST_SU_SY_EESZ_S10_S11_S12_S16_S17_S18_S1B_S1C_jS1D_jS1E_S1E_jjS1G_bEUljE0_EEESZ_S10_S11_S18_S1C_S1E_T6_T7_T9_mT8_S1G_bDpT10_ENKUlT_T0_E_clISt17integral_constantIbLb0EES1T_IbLb1EEEEDaS1P_S1Q_EUlS1P_E_NS1_11comp_targetILNS1_3genE3ELNS1_11target_archE908ELNS1_3gpuE7ELNS1_3repE0EEENS1_30default_config_static_selectorELNS0_4arch9wavefront6targetE1EEEvS12_,@function
_ZN7rocprim17ROCPRIM_400000_NS6detail17trampoline_kernelINS0_13select_configILj256ELj13ELNS0_17block_load_methodE3ELS4_3ELS4_3ELNS0_20block_scan_algorithmE0ELj4294967295EEENS1_25partition_config_selectorILNS1_17partition_subalgoE4EjNS0_10empty_typeEbEEZZNS1_14partition_implILS8_4ELb0ES6_15HIP_vector_typeIjLj2EENS0_17counting_iteratorIjlEEPS9_SG_NS0_5tupleIJPjSI_NS0_16reverse_iteratorISI_EEEEENSH_IJSG_SG_SG_EEES9_SI_JZNS1_25segmented_radix_sort_implINS0_14default_configELb1EPKsPsPKlPlN2at6native12_GLOBAL__N_18offset_tEEE10hipError_tPvRmT1_PNSt15iterator_traitsIS12_E10value_typeET2_T3_PNS13_IS18_E10value_typeET4_jRbjT5_S1E_jjP12ihipStream_tbEUljE_ZNSN_ISO_Lb1ESQ_SR_ST_SU_SY_EESZ_S10_S11_S12_S16_S17_S18_S1B_S1C_jS1D_jS1E_S1E_jjS1G_bEUljE0_EEESZ_S10_S11_S18_S1C_S1E_T6_T7_T9_mT8_S1G_bDpT10_ENKUlT_T0_E_clISt17integral_constantIbLb0EES1T_IbLb1EEEEDaS1P_S1Q_EUlS1P_E_NS1_11comp_targetILNS1_3genE3ELNS1_11target_archE908ELNS1_3gpuE7ELNS1_3repE0EEENS1_30default_config_static_selectorELNS0_4arch9wavefront6targetE1EEEvS12_: ; @_ZN7rocprim17ROCPRIM_400000_NS6detail17trampoline_kernelINS0_13select_configILj256ELj13ELNS0_17block_load_methodE3ELS4_3ELS4_3ELNS0_20block_scan_algorithmE0ELj4294967295EEENS1_25partition_config_selectorILNS1_17partition_subalgoE4EjNS0_10empty_typeEbEEZZNS1_14partition_implILS8_4ELb0ES6_15HIP_vector_typeIjLj2EENS0_17counting_iteratorIjlEEPS9_SG_NS0_5tupleIJPjSI_NS0_16reverse_iteratorISI_EEEEENSH_IJSG_SG_SG_EEES9_SI_JZNS1_25segmented_radix_sort_implINS0_14default_configELb1EPKsPsPKlPlN2at6native12_GLOBAL__N_18offset_tEEE10hipError_tPvRmT1_PNSt15iterator_traitsIS12_E10value_typeET2_T3_PNS13_IS18_E10value_typeET4_jRbjT5_S1E_jjP12ihipStream_tbEUljE_ZNSN_ISO_Lb1ESQ_SR_ST_SU_SY_EESZ_S10_S11_S12_S16_S17_S18_S1B_S1C_jS1D_jS1E_S1E_jjS1G_bEUljE0_EEESZ_S10_S11_S18_S1C_S1E_T6_T7_T9_mT8_S1G_bDpT10_ENKUlT_T0_E_clISt17integral_constantIbLb0EES1T_IbLb1EEEEDaS1P_S1Q_EUlS1P_E_NS1_11comp_targetILNS1_3genE3ELNS1_11target_archE908ELNS1_3gpuE7ELNS1_3repE0EEENS1_30default_config_static_selectorELNS0_4arch9wavefront6targetE1EEEvS12_
; %bb.0:
	.section	.rodata,"a",@progbits
	.p2align	6, 0x0
	.amdhsa_kernel _ZN7rocprim17ROCPRIM_400000_NS6detail17trampoline_kernelINS0_13select_configILj256ELj13ELNS0_17block_load_methodE3ELS4_3ELS4_3ELNS0_20block_scan_algorithmE0ELj4294967295EEENS1_25partition_config_selectorILNS1_17partition_subalgoE4EjNS0_10empty_typeEbEEZZNS1_14partition_implILS8_4ELb0ES6_15HIP_vector_typeIjLj2EENS0_17counting_iteratorIjlEEPS9_SG_NS0_5tupleIJPjSI_NS0_16reverse_iteratorISI_EEEEENSH_IJSG_SG_SG_EEES9_SI_JZNS1_25segmented_radix_sort_implINS0_14default_configELb1EPKsPsPKlPlN2at6native12_GLOBAL__N_18offset_tEEE10hipError_tPvRmT1_PNSt15iterator_traitsIS12_E10value_typeET2_T3_PNS13_IS18_E10value_typeET4_jRbjT5_S1E_jjP12ihipStream_tbEUljE_ZNSN_ISO_Lb1ESQ_SR_ST_SU_SY_EESZ_S10_S11_S12_S16_S17_S18_S1B_S1C_jS1D_jS1E_S1E_jjS1G_bEUljE0_EEESZ_S10_S11_S18_S1C_S1E_T6_T7_T9_mT8_S1G_bDpT10_ENKUlT_T0_E_clISt17integral_constantIbLb0EES1T_IbLb1EEEEDaS1P_S1Q_EUlS1P_E_NS1_11comp_targetILNS1_3genE3ELNS1_11target_archE908ELNS1_3gpuE7ELNS1_3repE0EEENS1_30default_config_static_selectorELNS0_4arch9wavefront6targetE1EEEvS12_
		.amdhsa_group_segment_fixed_size 0
		.amdhsa_private_segment_fixed_size 0
		.amdhsa_kernarg_size 184
		.amdhsa_user_sgpr_count 6
		.amdhsa_user_sgpr_private_segment_buffer 1
		.amdhsa_user_sgpr_dispatch_ptr 0
		.amdhsa_user_sgpr_queue_ptr 0
		.amdhsa_user_sgpr_kernarg_segment_ptr 1
		.amdhsa_user_sgpr_dispatch_id 0
		.amdhsa_user_sgpr_flat_scratch_init 0
		.amdhsa_user_sgpr_private_segment_size 0
		.amdhsa_uses_dynamic_stack 0
		.amdhsa_system_sgpr_private_segment_wavefront_offset 0
		.amdhsa_system_sgpr_workgroup_id_x 1
		.amdhsa_system_sgpr_workgroup_id_y 0
		.amdhsa_system_sgpr_workgroup_id_z 0
		.amdhsa_system_sgpr_workgroup_info 0
		.amdhsa_system_vgpr_workitem_id 0
		.amdhsa_next_free_vgpr 1
		.amdhsa_next_free_sgpr 0
		.amdhsa_reserve_vcc 0
		.amdhsa_reserve_flat_scratch 0
		.amdhsa_float_round_mode_32 0
		.amdhsa_float_round_mode_16_64 0
		.amdhsa_float_denorm_mode_32 3
		.amdhsa_float_denorm_mode_16_64 3
		.amdhsa_dx10_clamp 1
		.amdhsa_ieee_mode 1
		.amdhsa_fp16_overflow 0
		.amdhsa_exception_fp_ieee_invalid_op 0
		.amdhsa_exception_fp_denorm_src 0
		.amdhsa_exception_fp_ieee_div_zero 0
		.amdhsa_exception_fp_ieee_overflow 0
		.amdhsa_exception_fp_ieee_underflow 0
		.amdhsa_exception_fp_ieee_inexact 0
		.amdhsa_exception_int_div_zero 0
	.end_amdhsa_kernel
	.section	.text._ZN7rocprim17ROCPRIM_400000_NS6detail17trampoline_kernelINS0_13select_configILj256ELj13ELNS0_17block_load_methodE3ELS4_3ELS4_3ELNS0_20block_scan_algorithmE0ELj4294967295EEENS1_25partition_config_selectorILNS1_17partition_subalgoE4EjNS0_10empty_typeEbEEZZNS1_14partition_implILS8_4ELb0ES6_15HIP_vector_typeIjLj2EENS0_17counting_iteratorIjlEEPS9_SG_NS0_5tupleIJPjSI_NS0_16reverse_iteratorISI_EEEEENSH_IJSG_SG_SG_EEES9_SI_JZNS1_25segmented_radix_sort_implINS0_14default_configELb1EPKsPsPKlPlN2at6native12_GLOBAL__N_18offset_tEEE10hipError_tPvRmT1_PNSt15iterator_traitsIS12_E10value_typeET2_T3_PNS13_IS18_E10value_typeET4_jRbjT5_S1E_jjP12ihipStream_tbEUljE_ZNSN_ISO_Lb1ESQ_SR_ST_SU_SY_EESZ_S10_S11_S12_S16_S17_S18_S1B_S1C_jS1D_jS1E_S1E_jjS1G_bEUljE0_EEESZ_S10_S11_S18_S1C_S1E_T6_T7_T9_mT8_S1G_bDpT10_ENKUlT_T0_E_clISt17integral_constantIbLb0EES1T_IbLb1EEEEDaS1P_S1Q_EUlS1P_E_NS1_11comp_targetILNS1_3genE3ELNS1_11target_archE908ELNS1_3gpuE7ELNS1_3repE0EEENS1_30default_config_static_selectorELNS0_4arch9wavefront6targetE1EEEvS12_,"axG",@progbits,_ZN7rocprim17ROCPRIM_400000_NS6detail17trampoline_kernelINS0_13select_configILj256ELj13ELNS0_17block_load_methodE3ELS4_3ELS4_3ELNS0_20block_scan_algorithmE0ELj4294967295EEENS1_25partition_config_selectorILNS1_17partition_subalgoE4EjNS0_10empty_typeEbEEZZNS1_14partition_implILS8_4ELb0ES6_15HIP_vector_typeIjLj2EENS0_17counting_iteratorIjlEEPS9_SG_NS0_5tupleIJPjSI_NS0_16reverse_iteratorISI_EEEEENSH_IJSG_SG_SG_EEES9_SI_JZNS1_25segmented_radix_sort_implINS0_14default_configELb1EPKsPsPKlPlN2at6native12_GLOBAL__N_18offset_tEEE10hipError_tPvRmT1_PNSt15iterator_traitsIS12_E10value_typeET2_T3_PNS13_IS18_E10value_typeET4_jRbjT5_S1E_jjP12ihipStream_tbEUljE_ZNSN_ISO_Lb1ESQ_SR_ST_SU_SY_EESZ_S10_S11_S12_S16_S17_S18_S1B_S1C_jS1D_jS1E_S1E_jjS1G_bEUljE0_EEESZ_S10_S11_S18_S1C_S1E_T6_T7_T9_mT8_S1G_bDpT10_ENKUlT_T0_E_clISt17integral_constantIbLb0EES1T_IbLb1EEEEDaS1P_S1Q_EUlS1P_E_NS1_11comp_targetILNS1_3genE3ELNS1_11target_archE908ELNS1_3gpuE7ELNS1_3repE0EEENS1_30default_config_static_selectorELNS0_4arch9wavefront6targetE1EEEvS12_,comdat
.Lfunc_end874:
	.size	_ZN7rocprim17ROCPRIM_400000_NS6detail17trampoline_kernelINS0_13select_configILj256ELj13ELNS0_17block_load_methodE3ELS4_3ELS4_3ELNS0_20block_scan_algorithmE0ELj4294967295EEENS1_25partition_config_selectorILNS1_17partition_subalgoE4EjNS0_10empty_typeEbEEZZNS1_14partition_implILS8_4ELb0ES6_15HIP_vector_typeIjLj2EENS0_17counting_iteratorIjlEEPS9_SG_NS0_5tupleIJPjSI_NS0_16reverse_iteratorISI_EEEEENSH_IJSG_SG_SG_EEES9_SI_JZNS1_25segmented_radix_sort_implINS0_14default_configELb1EPKsPsPKlPlN2at6native12_GLOBAL__N_18offset_tEEE10hipError_tPvRmT1_PNSt15iterator_traitsIS12_E10value_typeET2_T3_PNS13_IS18_E10value_typeET4_jRbjT5_S1E_jjP12ihipStream_tbEUljE_ZNSN_ISO_Lb1ESQ_SR_ST_SU_SY_EESZ_S10_S11_S12_S16_S17_S18_S1B_S1C_jS1D_jS1E_S1E_jjS1G_bEUljE0_EEESZ_S10_S11_S18_S1C_S1E_T6_T7_T9_mT8_S1G_bDpT10_ENKUlT_T0_E_clISt17integral_constantIbLb0EES1T_IbLb1EEEEDaS1P_S1Q_EUlS1P_E_NS1_11comp_targetILNS1_3genE3ELNS1_11target_archE908ELNS1_3gpuE7ELNS1_3repE0EEENS1_30default_config_static_selectorELNS0_4arch9wavefront6targetE1EEEvS12_, .Lfunc_end874-_ZN7rocprim17ROCPRIM_400000_NS6detail17trampoline_kernelINS0_13select_configILj256ELj13ELNS0_17block_load_methodE3ELS4_3ELS4_3ELNS0_20block_scan_algorithmE0ELj4294967295EEENS1_25partition_config_selectorILNS1_17partition_subalgoE4EjNS0_10empty_typeEbEEZZNS1_14partition_implILS8_4ELb0ES6_15HIP_vector_typeIjLj2EENS0_17counting_iteratorIjlEEPS9_SG_NS0_5tupleIJPjSI_NS0_16reverse_iteratorISI_EEEEENSH_IJSG_SG_SG_EEES9_SI_JZNS1_25segmented_radix_sort_implINS0_14default_configELb1EPKsPsPKlPlN2at6native12_GLOBAL__N_18offset_tEEE10hipError_tPvRmT1_PNSt15iterator_traitsIS12_E10value_typeET2_T3_PNS13_IS18_E10value_typeET4_jRbjT5_S1E_jjP12ihipStream_tbEUljE_ZNSN_ISO_Lb1ESQ_SR_ST_SU_SY_EESZ_S10_S11_S12_S16_S17_S18_S1B_S1C_jS1D_jS1E_S1E_jjS1G_bEUljE0_EEESZ_S10_S11_S18_S1C_S1E_T6_T7_T9_mT8_S1G_bDpT10_ENKUlT_T0_E_clISt17integral_constantIbLb0EES1T_IbLb1EEEEDaS1P_S1Q_EUlS1P_E_NS1_11comp_targetILNS1_3genE3ELNS1_11target_archE908ELNS1_3gpuE7ELNS1_3repE0EEENS1_30default_config_static_selectorELNS0_4arch9wavefront6targetE1EEEvS12_
                                        ; -- End function
	.set _ZN7rocprim17ROCPRIM_400000_NS6detail17trampoline_kernelINS0_13select_configILj256ELj13ELNS0_17block_load_methodE3ELS4_3ELS4_3ELNS0_20block_scan_algorithmE0ELj4294967295EEENS1_25partition_config_selectorILNS1_17partition_subalgoE4EjNS0_10empty_typeEbEEZZNS1_14partition_implILS8_4ELb0ES6_15HIP_vector_typeIjLj2EENS0_17counting_iteratorIjlEEPS9_SG_NS0_5tupleIJPjSI_NS0_16reverse_iteratorISI_EEEEENSH_IJSG_SG_SG_EEES9_SI_JZNS1_25segmented_radix_sort_implINS0_14default_configELb1EPKsPsPKlPlN2at6native12_GLOBAL__N_18offset_tEEE10hipError_tPvRmT1_PNSt15iterator_traitsIS12_E10value_typeET2_T3_PNS13_IS18_E10value_typeET4_jRbjT5_S1E_jjP12ihipStream_tbEUljE_ZNSN_ISO_Lb1ESQ_SR_ST_SU_SY_EESZ_S10_S11_S12_S16_S17_S18_S1B_S1C_jS1D_jS1E_S1E_jjS1G_bEUljE0_EEESZ_S10_S11_S18_S1C_S1E_T6_T7_T9_mT8_S1G_bDpT10_ENKUlT_T0_E_clISt17integral_constantIbLb0EES1T_IbLb1EEEEDaS1P_S1Q_EUlS1P_E_NS1_11comp_targetILNS1_3genE3ELNS1_11target_archE908ELNS1_3gpuE7ELNS1_3repE0EEENS1_30default_config_static_selectorELNS0_4arch9wavefront6targetE1EEEvS12_.num_vgpr, 0
	.set _ZN7rocprim17ROCPRIM_400000_NS6detail17trampoline_kernelINS0_13select_configILj256ELj13ELNS0_17block_load_methodE3ELS4_3ELS4_3ELNS0_20block_scan_algorithmE0ELj4294967295EEENS1_25partition_config_selectorILNS1_17partition_subalgoE4EjNS0_10empty_typeEbEEZZNS1_14partition_implILS8_4ELb0ES6_15HIP_vector_typeIjLj2EENS0_17counting_iteratorIjlEEPS9_SG_NS0_5tupleIJPjSI_NS0_16reverse_iteratorISI_EEEEENSH_IJSG_SG_SG_EEES9_SI_JZNS1_25segmented_radix_sort_implINS0_14default_configELb1EPKsPsPKlPlN2at6native12_GLOBAL__N_18offset_tEEE10hipError_tPvRmT1_PNSt15iterator_traitsIS12_E10value_typeET2_T3_PNS13_IS18_E10value_typeET4_jRbjT5_S1E_jjP12ihipStream_tbEUljE_ZNSN_ISO_Lb1ESQ_SR_ST_SU_SY_EESZ_S10_S11_S12_S16_S17_S18_S1B_S1C_jS1D_jS1E_S1E_jjS1G_bEUljE0_EEESZ_S10_S11_S18_S1C_S1E_T6_T7_T9_mT8_S1G_bDpT10_ENKUlT_T0_E_clISt17integral_constantIbLb0EES1T_IbLb1EEEEDaS1P_S1Q_EUlS1P_E_NS1_11comp_targetILNS1_3genE3ELNS1_11target_archE908ELNS1_3gpuE7ELNS1_3repE0EEENS1_30default_config_static_selectorELNS0_4arch9wavefront6targetE1EEEvS12_.num_agpr, 0
	.set _ZN7rocprim17ROCPRIM_400000_NS6detail17trampoline_kernelINS0_13select_configILj256ELj13ELNS0_17block_load_methodE3ELS4_3ELS4_3ELNS0_20block_scan_algorithmE0ELj4294967295EEENS1_25partition_config_selectorILNS1_17partition_subalgoE4EjNS0_10empty_typeEbEEZZNS1_14partition_implILS8_4ELb0ES6_15HIP_vector_typeIjLj2EENS0_17counting_iteratorIjlEEPS9_SG_NS0_5tupleIJPjSI_NS0_16reverse_iteratorISI_EEEEENSH_IJSG_SG_SG_EEES9_SI_JZNS1_25segmented_radix_sort_implINS0_14default_configELb1EPKsPsPKlPlN2at6native12_GLOBAL__N_18offset_tEEE10hipError_tPvRmT1_PNSt15iterator_traitsIS12_E10value_typeET2_T3_PNS13_IS18_E10value_typeET4_jRbjT5_S1E_jjP12ihipStream_tbEUljE_ZNSN_ISO_Lb1ESQ_SR_ST_SU_SY_EESZ_S10_S11_S12_S16_S17_S18_S1B_S1C_jS1D_jS1E_S1E_jjS1G_bEUljE0_EEESZ_S10_S11_S18_S1C_S1E_T6_T7_T9_mT8_S1G_bDpT10_ENKUlT_T0_E_clISt17integral_constantIbLb0EES1T_IbLb1EEEEDaS1P_S1Q_EUlS1P_E_NS1_11comp_targetILNS1_3genE3ELNS1_11target_archE908ELNS1_3gpuE7ELNS1_3repE0EEENS1_30default_config_static_selectorELNS0_4arch9wavefront6targetE1EEEvS12_.numbered_sgpr, 0
	.set _ZN7rocprim17ROCPRIM_400000_NS6detail17trampoline_kernelINS0_13select_configILj256ELj13ELNS0_17block_load_methodE3ELS4_3ELS4_3ELNS0_20block_scan_algorithmE0ELj4294967295EEENS1_25partition_config_selectorILNS1_17partition_subalgoE4EjNS0_10empty_typeEbEEZZNS1_14partition_implILS8_4ELb0ES6_15HIP_vector_typeIjLj2EENS0_17counting_iteratorIjlEEPS9_SG_NS0_5tupleIJPjSI_NS0_16reverse_iteratorISI_EEEEENSH_IJSG_SG_SG_EEES9_SI_JZNS1_25segmented_radix_sort_implINS0_14default_configELb1EPKsPsPKlPlN2at6native12_GLOBAL__N_18offset_tEEE10hipError_tPvRmT1_PNSt15iterator_traitsIS12_E10value_typeET2_T3_PNS13_IS18_E10value_typeET4_jRbjT5_S1E_jjP12ihipStream_tbEUljE_ZNSN_ISO_Lb1ESQ_SR_ST_SU_SY_EESZ_S10_S11_S12_S16_S17_S18_S1B_S1C_jS1D_jS1E_S1E_jjS1G_bEUljE0_EEESZ_S10_S11_S18_S1C_S1E_T6_T7_T9_mT8_S1G_bDpT10_ENKUlT_T0_E_clISt17integral_constantIbLb0EES1T_IbLb1EEEEDaS1P_S1Q_EUlS1P_E_NS1_11comp_targetILNS1_3genE3ELNS1_11target_archE908ELNS1_3gpuE7ELNS1_3repE0EEENS1_30default_config_static_selectorELNS0_4arch9wavefront6targetE1EEEvS12_.num_named_barrier, 0
	.set _ZN7rocprim17ROCPRIM_400000_NS6detail17trampoline_kernelINS0_13select_configILj256ELj13ELNS0_17block_load_methodE3ELS4_3ELS4_3ELNS0_20block_scan_algorithmE0ELj4294967295EEENS1_25partition_config_selectorILNS1_17partition_subalgoE4EjNS0_10empty_typeEbEEZZNS1_14partition_implILS8_4ELb0ES6_15HIP_vector_typeIjLj2EENS0_17counting_iteratorIjlEEPS9_SG_NS0_5tupleIJPjSI_NS0_16reverse_iteratorISI_EEEEENSH_IJSG_SG_SG_EEES9_SI_JZNS1_25segmented_radix_sort_implINS0_14default_configELb1EPKsPsPKlPlN2at6native12_GLOBAL__N_18offset_tEEE10hipError_tPvRmT1_PNSt15iterator_traitsIS12_E10value_typeET2_T3_PNS13_IS18_E10value_typeET4_jRbjT5_S1E_jjP12ihipStream_tbEUljE_ZNSN_ISO_Lb1ESQ_SR_ST_SU_SY_EESZ_S10_S11_S12_S16_S17_S18_S1B_S1C_jS1D_jS1E_S1E_jjS1G_bEUljE0_EEESZ_S10_S11_S18_S1C_S1E_T6_T7_T9_mT8_S1G_bDpT10_ENKUlT_T0_E_clISt17integral_constantIbLb0EES1T_IbLb1EEEEDaS1P_S1Q_EUlS1P_E_NS1_11comp_targetILNS1_3genE3ELNS1_11target_archE908ELNS1_3gpuE7ELNS1_3repE0EEENS1_30default_config_static_selectorELNS0_4arch9wavefront6targetE1EEEvS12_.private_seg_size, 0
	.set _ZN7rocprim17ROCPRIM_400000_NS6detail17trampoline_kernelINS0_13select_configILj256ELj13ELNS0_17block_load_methodE3ELS4_3ELS4_3ELNS0_20block_scan_algorithmE0ELj4294967295EEENS1_25partition_config_selectorILNS1_17partition_subalgoE4EjNS0_10empty_typeEbEEZZNS1_14partition_implILS8_4ELb0ES6_15HIP_vector_typeIjLj2EENS0_17counting_iteratorIjlEEPS9_SG_NS0_5tupleIJPjSI_NS0_16reverse_iteratorISI_EEEEENSH_IJSG_SG_SG_EEES9_SI_JZNS1_25segmented_radix_sort_implINS0_14default_configELb1EPKsPsPKlPlN2at6native12_GLOBAL__N_18offset_tEEE10hipError_tPvRmT1_PNSt15iterator_traitsIS12_E10value_typeET2_T3_PNS13_IS18_E10value_typeET4_jRbjT5_S1E_jjP12ihipStream_tbEUljE_ZNSN_ISO_Lb1ESQ_SR_ST_SU_SY_EESZ_S10_S11_S12_S16_S17_S18_S1B_S1C_jS1D_jS1E_S1E_jjS1G_bEUljE0_EEESZ_S10_S11_S18_S1C_S1E_T6_T7_T9_mT8_S1G_bDpT10_ENKUlT_T0_E_clISt17integral_constantIbLb0EES1T_IbLb1EEEEDaS1P_S1Q_EUlS1P_E_NS1_11comp_targetILNS1_3genE3ELNS1_11target_archE908ELNS1_3gpuE7ELNS1_3repE0EEENS1_30default_config_static_selectorELNS0_4arch9wavefront6targetE1EEEvS12_.uses_vcc, 0
	.set _ZN7rocprim17ROCPRIM_400000_NS6detail17trampoline_kernelINS0_13select_configILj256ELj13ELNS0_17block_load_methodE3ELS4_3ELS4_3ELNS0_20block_scan_algorithmE0ELj4294967295EEENS1_25partition_config_selectorILNS1_17partition_subalgoE4EjNS0_10empty_typeEbEEZZNS1_14partition_implILS8_4ELb0ES6_15HIP_vector_typeIjLj2EENS0_17counting_iteratorIjlEEPS9_SG_NS0_5tupleIJPjSI_NS0_16reverse_iteratorISI_EEEEENSH_IJSG_SG_SG_EEES9_SI_JZNS1_25segmented_radix_sort_implINS0_14default_configELb1EPKsPsPKlPlN2at6native12_GLOBAL__N_18offset_tEEE10hipError_tPvRmT1_PNSt15iterator_traitsIS12_E10value_typeET2_T3_PNS13_IS18_E10value_typeET4_jRbjT5_S1E_jjP12ihipStream_tbEUljE_ZNSN_ISO_Lb1ESQ_SR_ST_SU_SY_EESZ_S10_S11_S12_S16_S17_S18_S1B_S1C_jS1D_jS1E_S1E_jjS1G_bEUljE0_EEESZ_S10_S11_S18_S1C_S1E_T6_T7_T9_mT8_S1G_bDpT10_ENKUlT_T0_E_clISt17integral_constantIbLb0EES1T_IbLb1EEEEDaS1P_S1Q_EUlS1P_E_NS1_11comp_targetILNS1_3genE3ELNS1_11target_archE908ELNS1_3gpuE7ELNS1_3repE0EEENS1_30default_config_static_selectorELNS0_4arch9wavefront6targetE1EEEvS12_.uses_flat_scratch, 0
	.set _ZN7rocprim17ROCPRIM_400000_NS6detail17trampoline_kernelINS0_13select_configILj256ELj13ELNS0_17block_load_methodE3ELS4_3ELS4_3ELNS0_20block_scan_algorithmE0ELj4294967295EEENS1_25partition_config_selectorILNS1_17partition_subalgoE4EjNS0_10empty_typeEbEEZZNS1_14partition_implILS8_4ELb0ES6_15HIP_vector_typeIjLj2EENS0_17counting_iteratorIjlEEPS9_SG_NS0_5tupleIJPjSI_NS0_16reverse_iteratorISI_EEEEENSH_IJSG_SG_SG_EEES9_SI_JZNS1_25segmented_radix_sort_implINS0_14default_configELb1EPKsPsPKlPlN2at6native12_GLOBAL__N_18offset_tEEE10hipError_tPvRmT1_PNSt15iterator_traitsIS12_E10value_typeET2_T3_PNS13_IS18_E10value_typeET4_jRbjT5_S1E_jjP12ihipStream_tbEUljE_ZNSN_ISO_Lb1ESQ_SR_ST_SU_SY_EESZ_S10_S11_S12_S16_S17_S18_S1B_S1C_jS1D_jS1E_S1E_jjS1G_bEUljE0_EEESZ_S10_S11_S18_S1C_S1E_T6_T7_T9_mT8_S1G_bDpT10_ENKUlT_T0_E_clISt17integral_constantIbLb0EES1T_IbLb1EEEEDaS1P_S1Q_EUlS1P_E_NS1_11comp_targetILNS1_3genE3ELNS1_11target_archE908ELNS1_3gpuE7ELNS1_3repE0EEENS1_30default_config_static_selectorELNS0_4arch9wavefront6targetE1EEEvS12_.has_dyn_sized_stack, 0
	.set _ZN7rocprim17ROCPRIM_400000_NS6detail17trampoline_kernelINS0_13select_configILj256ELj13ELNS0_17block_load_methodE3ELS4_3ELS4_3ELNS0_20block_scan_algorithmE0ELj4294967295EEENS1_25partition_config_selectorILNS1_17partition_subalgoE4EjNS0_10empty_typeEbEEZZNS1_14partition_implILS8_4ELb0ES6_15HIP_vector_typeIjLj2EENS0_17counting_iteratorIjlEEPS9_SG_NS0_5tupleIJPjSI_NS0_16reverse_iteratorISI_EEEEENSH_IJSG_SG_SG_EEES9_SI_JZNS1_25segmented_radix_sort_implINS0_14default_configELb1EPKsPsPKlPlN2at6native12_GLOBAL__N_18offset_tEEE10hipError_tPvRmT1_PNSt15iterator_traitsIS12_E10value_typeET2_T3_PNS13_IS18_E10value_typeET4_jRbjT5_S1E_jjP12ihipStream_tbEUljE_ZNSN_ISO_Lb1ESQ_SR_ST_SU_SY_EESZ_S10_S11_S12_S16_S17_S18_S1B_S1C_jS1D_jS1E_S1E_jjS1G_bEUljE0_EEESZ_S10_S11_S18_S1C_S1E_T6_T7_T9_mT8_S1G_bDpT10_ENKUlT_T0_E_clISt17integral_constantIbLb0EES1T_IbLb1EEEEDaS1P_S1Q_EUlS1P_E_NS1_11comp_targetILNS1_3genE3ELNS1_11target_archE908ELNS1_3gpuE7ELNS1_3repE0EEENS1_30default_config_static_selectorELNS0_4arch9wavefront6targetE1EEEvS12_.has_recursion, 0
	.set _ZN7rocprim17ROCPRIM_400000_NS6detail17trampoline_kernelINS0_13select_configILj256ELj13ELNS0_17block_load_methodE3ELS4_3ELS4_3ELNS0_20block_scan_algorithmE0ELj4294967295EEENS1_25partition_config_selectorILNS1_17partition_subalgoE4EjNS0_10empty_typeEbEEZZNS1_14partition_implILS8_4ELb0ES6_15HIP_vector_typeIjLj2EENS0_17counting_iteratorIjlEEPS9_SG_NS0_5tupleIJPjSI_NS0_16reverse_iteratorISI_EEEEENSH_IJSG_SG_SG_EEES9_SI_JZNS1_25segmented_radix_sort_implINS0_14default_configELb1EPKsPsPKlPlN2at6native12_GLOBAL__N_18offset_tEEE10hipError_tPvRmT1_PNSt15iterator_traitsIS12_E10value_typeET2_T3_PNS13_IS18_E10value_typeET4_jRbjT5_S1E_jjP12ihipStream_tbEUljE_ZNSN_ISO_Lb1ESQ_SR_ST_SU_SY_EESZ_S10_S11_S12_S16_S17_S18_S1B_S1C_jS1D_jS1E_S1E_jjS1G_bEUljE0_EEESZ_S10_S11_S18_S1C_S1E_T6_T7_T9_mT8_S1G_bDpT10_ENKUlT_T0_E_clISt17integral_constantIbLb0EES1T_IbLb1EEEEDaS1P_S1Q_EUlS1P_E_NS1_11comp_targetILNS1_3genE3ELNS1_11target_archE908ELNS1_3gpuE7ELNS1_3repE0EEENS1_30default_config_static_selectorELNS0_4arch9wavefront6targetE1EEEvS12_.has_indirect_call, 0
	.section	.AMDGPU.csdata,"",@progbits
; Kernel info:
; codeLenInByte = 0
; TotalNumSgprs: 4
; NumVgprs: 0
; ScratchSize: 0
; MemoryBound: 0
; FloatMode: 240
; IeeeMode: 1
; LDSByteSize: 0 bytes/workgroup (compile time only)
; SGPRBlocks: 0
; VGPRBlocks: 0
; NumSGPRsForWavesPerEU: 4
; NumVGPRsForWavesPerEU: 1
; Occupancy: 10
; WaveLimiterHint : 0
; COMPUTE_PGM_RSRC2:SCRATCH_EN: 0
; COMPUTE_PGM_RSRC2:USER_SGPR: 6
; COMPUTE_PGM_RSRC2:TRAP_HANDLER: 0
; COMPUTE_PGM_RSRC2:TGID_X_EN: 1
; COMPUTE_PGM_RSRC2:TGID_Y_EN: 0
; COMPUTE_PGM_RSRC2:TGID_Z_EN: 0
; COMPUTE_PGM_RSRC2:TIDIG_COMP_CNT: 0
	.section	.text._ZN7rocprim17ROCPRIM_400000_NS6detail17trampoline_kernelINS0_13select_configILj256ELj13ELNS0_17block_load_methodE3ELS4_3ELS4_3ELNS0_20block_scan_algorithmE0ELj4294967295EEENS1_25partition_config_selectorILNS1_17partition_subalgoE4EjNS0_10empty_typeEbEEZZNS1_14partition_implILS8_4ELb0ES6_15HIP_vector_typeIjLj2EENS0_17counting_iteratorIjlEEPS9_SG_NS0_5tupleIJPjSI_NS0_16reverse_iteratorISI_EEEEENSH_IJSG_SG_SG_EEES9_SI_JZNS1_25segmented_radix_sort_implINS0_14default_configELb1EPKsPsPKlPlN2at6native12_GLOBAL__N_18offset_tEEE10hipError_tPvRmT1_PNSt15iterator_traitsIS12_E10value_typeET2_T3_PNS13_IS18_E10value_typeET4_jRbjT5_S1E_jjP12ihipStream_tbEUljE_ZNSN_ISO_Lb1ESQ_SR_ST_SU_SY_EESZ_S10_S11_S12_S16_S17_S18_S1B_S1C_jS1D_jS1E_S1E_jjS1G_bEUljE0_EEESZ_S10_S11_S18_S1C_S1E_T6_T7_T9_mT8_S1G_bDpT10_ENKUlT_T0_E_clISt17integral_constantIbLb0EES1T_IbLb1EEEEDaS1P_S1Q_EUlS1P_E_NS1_11comp_targetILNS1_3genE2ELNS1_11target_archE906ELNS1_3gpuE6ELNS1_3repE0EEENS1_30default_config_static_selectorELNS0_4arch9wavefront6targetE1EEEvS12_,"axG",@progbits,_ZN7rocprim17ROCPRIM_400000_NS6detail17trampoline_kernelINS0_13select_configILj256ELj13ELNS0_17block_load_methodE3ELS4_3ELS4_3ELNS0_20block_scan_algorithmE0ELj4294967295EEENS1_25partition_config_selectorILNS1_17partition_subalgoE4EjNS0_10empty_typeEbEEZZNS1_14partition_implILS8_4ELb0ES6_15HIP_vector_typeIjLj2EENS0_17counting_iteratorIjlEEPS9_SG_NS0_5tupleIJPjSI_NS0_16reverse_iteratorISI_EEEEENSH_IJSG_SG_SG_EEES9_SI_JZNS1_25segmented_radix_sort_implINS0_14default_configELb1EPKsPsPKlPlN2at6native12_GLOBAL__N_18offset_tEEE10hipError_tPvRmT1_PNSt15iterator_traitsIS12_E10value_typeET2_T3_PNS13_IS18_E10value_typeET4_jRbjT5_S1E_jjP12ihipStream_tbEUljE_ZNSN_ISO_Lb1ESQ_SR_ST_SU_SY_EESZ_S10_S11_S12_S16_S17_S18_S1B_S1C_jS1D_jS1E_S1E_jjS1G_bEUljE0_EEESZ_S10_S11_S18_S1C_S1E_T6_T7_T9_mT8_S1G_bDpT10_ENKUlT_T0_E_clISt17integral_constantIbLb0EES1T_IbLb1EEEEDaS1P_S1Q_EUlS1P_E_NS1_11comp_targetILNS1_3genE2ELNS1_11target_archE906ELNS1_3gpuE6ELNS1_3repE0EEENS1_30default_config_static_selectorELNS0_4arch9wavefront6targetE1EEEvS12_,comdat
	.globl	_ZN7rocprim17ROCPRIM_400000_NS6detail17trampoline_kernelINS0_13select_configILj256ELj13ELNS0_17block_load_methodE3ELS4_3ELS4_3ELNS0_20block_scan_algorithmE0ELj4294967295EEENS1_25partition_config_selectorILNS1_17partition_subalgoE4EjNS0_10empty_typeEbEEZZNS1_14partition_implILS8_4ELb0ES6_15HIP_vector_typeIjLj2EENS0_17counting_iteratorIjlEEPS9_SG_NS0_5tupleIJPjSI_NS0_16reverse_iteratorISI_EEEEENSH_IJSG_SG_SG_EEES9_SI_JZNS1_25segmented_radix_sort_implINS0_14default_configELb1EPKsPsPKlPlN2at6native12_GLOBAL__N_18offset_tEEE10hipError_tPvRmT1_PNSt15iterator_traitsIS12_E10value_typeET2_T3_PNS13_IS18_E10value_typeET4_jRbjT5_S1E_jjP12ihipStream_tbEUljE_ZNSN_ISO_Lb1ESQ_SR_ST_SU_SY_EESZ_S10_S11_S12_S16_S17_S18_S1B_S1C_jS1D_jS1E_S1E_jjS1G_bEUljE0_EEESZ_S10_S11_S18_S1C_S1E_T6_T7_T9_mT8_S1G_bDpT10_ENKUlT_T0_E_clISt17integral_constantIbLb0EES1T_IbLb1EEEEDaS1P_S1Q_EUlS1P_E_NS1_11comp_targetILNS1_3genE2ELNS1_11target_archE906ELNS1_3gpuE6ELNS1_3repE0EEENS1_30default_config_static_selectorELNS0_4arch9wavefront6targetE1EEEvS12_ ; -- Begin function _ZN7rocprim17ROCPRIM_400000_NS6detail17trampoline_kernelINS0_13select_configILj256ELj13ELNS0_17block_load_methodE3ELS4_3ELS4_3ELNS0_20block_scan_algorithmE0ELj4294967295EEENS1_25partition_config_selectorILNS1_17partition_subalgoE4EjNS0_10empty_typeEbEEZZNS1_14partition_implILS8_4ELb0ES6_15HIP_vector_typeIjLj2EENS0_17counting_iteratorIjlEEPS9_SG_NS0_5tupleIJPjSI_NS0_16reverse_iteratorISI_EEEEENSH_IJSG_SG_SG_EEES9_SI_JZNS1_25segmented_radix_sort_implINS0_14default_configELb1EPKsPsPKlPlN2at6native12_GLOBAL__N_18offset_tEEE10hipError_tPvRmT1_PNSt15iterator_traitsIS12_E10value_typeET2_T3_PNS13_IS18_E10value_typeET4_jRbjT5_S1E_jjP12ihipStream_tbEUljE_ZNSN_ISO_Lb1ESQ_SR_ST_SU_SY_EESZ_S10_S11_S12_S16_S17_S18_S1B_S1C_jS1D_jS1E_S1E_jjS1G_bEUljE0_EEESZ_S10_S11_S18_S1C_S1E_T6_T7_T9_mT8_S1G_bDpT10_ENKUlT_T0_E_clISt17integral_constantIbLb0EES1T_IbLb1EEEEDaS1P_S1Q_EUlS1P_E_NS1_11comp_targetILNS1_3genE2ELNS1_11target_archE906ELNS1_3gpuE6ELNS1_3repE0EEENS1_30default_config_static_selectorELNS0_4arch9wavefront6targetE1EEEvS12_
	.p2align	8
	.type	_ZN7rocprim17ROCPRIM_400000_NS6detail17trampoline_kernelINS0_13select_configILj256ELj13ELNS0_17block_load_methodE3ELS4_3ELS4_3ELNS0_20block_scan_algorithmE0ELj4294967295EEENS1_25partition_config_selectorILNS1_17partition_subalgoE4EjNS0_10empty_typeEbEEZZNS1_14partition_implILS8_4ELb0ES6_15HIP_vector_typeIjLj2EENS0_17counting_iteratorIjlEEPS9_SG_NS0_5tupleIJPjSI_NS0_16reverse_iteratorISI_EEEEENSH_IJSG_SG_SG_EEES9_SI_JZNS1_25segmented_radix_sort_implINS0_14default_configELb1EPKsPsPKlPlN2at6native12_GLOBAL__N_18offset_tEEE10hipError_tPvRmT1_PNSt15iterator_traitsIS12_E10value_typeET2_T3_PNS13_IS18_E10value_typeET4_jRbjT5_S1E_jjP12ihipStream_tbEUljE_ZNSN_ISO_Lb1ESQ_SR_ST_SU_SY_EESZ_S10_S11_S12_S16_S17_S18_S1B_S1C_jS1D_jS1E_S1E_jjS1G_bEUljE0_EEESZ_S10_S11_S18_S1C_S1E_T6_T7_T9_mT8_S1G_bDpT10_ENKUlT_T0_E_clISt17integral_constantIbLb0EES1T_IbLb1EEEEDaS1P_S1Q_EUlS1P_E_NS1_11comp_targetILNS1_3genE2ELNS1_11target_archE906ELNS1_3gpuE6ELNS1_3repE0EEENS1_30default_config_static_selectorELNS0_4arch9wavefront6targetE1EEEvS12_,@function
_ZN7rocprim17ROCPRIM_400000_NS6detail17trampoline_kernelINS0_13select_configILj256ELj13ELNS0_17block_load_methodE3ELS4_3ELS4_3ELNS0_20block_scan_algorithmE0ELj4294967295EEENS1_25partition_config_selectorILNS1_17partition_subalgoE4EjNS0_10empty_typeEbEEZZNS1_14partition_implILS8_4ELb0ES6_15HIP_vector_typeIjLj2EENS0_17counting_iteratorIjlEEPS9_SG_NS0_5tupleIJPjSI_NS0_16reverse_iteratorISI_EEEEENSH_IJSG_SG_SG_EEES9_SI_JZNS1_25segmented_radix_sort_implINS0_14default_configELb1EPKsPsPKlPlN2at6native12_GLOBAL__N_18offset_tEEE10hipError_tPvRmT1_PNSt15iterator_traitsIS12_E10value_typeET2_T3_PNS13_IS18_E10value_typeET4_jRbjT5_S1E_jjP12ihipStream_tbEUljE_ZNSN_ISO_Lb1ESQ_SR_ST_SU_SY_EESZ_S10_S11_S12_S16_S17_S18_S1B_S1C_jS1D_jS1E_S1E_jjS1G_bEUljE0_EEESZ_S10_S11_S18_S1C_S1E_T6_T7_T9_mT8_S1G_bDpT10_ENKUlT_T0_E_clISt17integral_constantIbLb0EES1T_IbLb1EEEEDaS1P_S1Q_EUlS1P_E_NS1_11comp_targetILNS1_3genE2ELNS1_11target_archE906ELNS1_3gpuE6ELNS1_3repE0EEENS1_30default_config_static_selectorELNS0_4arch9wavefront6targetE1EEEvS12_: ; @_ZN7rocprim17ROCPRIM_400000_NS6detail17trampoline_kernelINS0_13select_configILj256ELj13ELNS0_17block_load_methodE3ELS4_3ELS4_3ELNS0_20block_scan_algorithmE0ELj4294967295EEENS1_25partition_config_selectorILNS1_17partition_subalgoE4EjNS0_10empty_typeEbEEZZNS1_14partition_implILS8_4ELb0ES6_15HIP_vector_typeIjLj2EENS0_17counting_iteratorIjlEEPS9_SG_NS0_5tupleIJPjSI_NS0_16reverse_iteratorISI_EEEEENSH_IJSG_SG_SG_EEES9_SI_JZNS1_25segmented_radix_sort_implINS0_14default_configELb1EPKsPsPKlPlN2at6native12_GLOBAL__N_18offset_tEEE10hipError_tPvRmT1_PNSt15iterator_traitsIS12_E10value_typeET2_T3_PNS13_IS18_E10value_typeET4_jRbjT5_S1E_jjP12ihipStream_tbEUljE_ZNSN_ISO_Lb1ESQ_SR_ST_SU_SY_EESZ_S10_S11_S12_S16_S17_S18_S1B_S1C_jS1D_jS1E_S1E_jjS1G_bEUljE0_EEESZ_S10_S11_S18_S1C_S1E_T6_T7_T9_mT8_S1G_bDpT10_ENKUlT_T0_E_clISt17integral_constantIbLb0EES1T_IbLb1EEEEDaS1P_S1Q_EUlS1P_E_NS1_11comp_targetILNS1_3genE2ELNS1_11target_archE906ELNS1_3gpuE6ELNS1_3repE0EEENS1_30default_config_static_selectorELNS0_4arch9wavefront6targetE1EEEvS12_
; %bb.0:
	s_load_dwordx2 s[52:53], s[4:5], 0x10
	s_load_dwordx4 s[48:51], s[4:5], 0x28
	s_load_dwordx2 s[30:31], s[4:5], 0x38
	s_load_dwordx4 s[44:47], s[4:5], 0x58
	s_load_dwordx2 s[6:7], s[4:5], 0x68
	s_load_dwordx2 s[54:55], s[4:5], 0x78
	;; [unrolled: 1-line block ×3, first 2 shown]
	s_load_dwordx8 s[36:43], s[4:5], 0x90
	v_cmp_eq_u32_e64 s[0:1], 0, v0
	s_and_saveexec_b64 s[2:3], s[0:1]
	s_cbranch_execz .LBB875_4
; %bb.1:
	s_mov_b64 s[10:11], exec
	v_mbcnt_lo_u32_b32 v1, s10, 0
	v_mbcnt_hi_u32_b32 v1, s11, v1
	v_cmp_eq_u32_e32 vcc, 0, v1
                                        ; implicit-def: $vgpr2
	s_and_saveexec_b64 s[8:9], vcc
	s_cbranch_execz .LBB875_3
; %bb.2:
	s_load_dwordx2 s[12:13], s[4:5], 0x88
	s_bcnt1_i32_b64 s10, s[10:11]
	v_mov_b32_e32 v2, 0
	v_mov_b32_e32 v3, s10
	s_waitcnt lgkmcnt(0)
	global_atomic_add v2, v2, v3, s[12:13] glc
.LBB875_3:
	s_or_b64 exec, exec, s[8:9]
	s_waitcnt vmcnt(0)
	v_readfirstlane_b32 s8, v2
	v_add_u32_e32 v1, s8, v1
	v_mov_b32_e32 v2, 0
	ds_write_b32 v2, v1
.LBB875_4:
	s_or_b64 exec, exec, s[2:3]
	v_mov_b32_e32 v1, 0
	s_load_dword s2, s[4:5], 0x8
	s_load_dword s8, s[4:5], 0x80
	s_waitcnt lgkmcnt(0)
	s_barrier
	ds_read_b32 v7, v1
	s_waitcnt lgkmcnt(0)
	s_barrier
	global_load_dwordx4 v[1:4], v1, s[46:47]
	s_add_i32 s9, s2, s52
	s_movk_i32 s2, 0xd00
	s_add_i32 s4, s8, -1
	s_mulk_i32 s8, 0xd00
	v_mul_lo_u32 v33, v7, s2
	s_add_u32 s2, s52, s8
	s_addc_u32 s3, s53, 0
	v_mov_b32_e32 v6, s3
	v_mov_b32_e32 v5, s2
	v_readfirstlane_b32 s33, v7
	v_cmp_gt_u64_e32 vcc, s[6:7], v[5:6]
	s_cmp_eq_u32 s33, s4
	v_cmp_ne_u32_e64 s[2:3], s4, v7
	s_cselect_b64 s[34:35], -1, 0
	s_or_b64 s[4:5], vcc, s[2:3]
	v_add_u32_e32 v5, s9, v33
	s_mov_b64 s[2:3], -1
	s_and_b64 vcc, exec, s[4:5]
	v_add_u32_e32 v5, v5, v0
	s_cbranch_vccz .LBB875_6
; %bb.5:
	v_add_u32_e32 v6, 0x100, v5
	v_lshlrev_b32_e32 v18, 2, v0
	v_add_u32_e32 v7, 0x200, v5
	v_add_u32_e32 v8, 0x300, v5
	;; [unrolled: 1-line block ×11, first 2 shown]
	ds_write2st64_b32 v18, v5, v6 offset1:4
	ds_write2st64_b32 v18, v7, v8 offset0:8 offset1:12
	ds_write2st64_b32 v18, v9, v10 offset0:16 offset1:20
	;; [unrolled: 1-line block ×5, first 2 shown]
	ds_write_b32 v18, v17 offset:12288
	s_waitcnt vmcnt(0) lgkmcnt(0)
	s_barrier
	s_mov_b64 s[2:3], 0
.LBB875_6:
	s_andn2_b64 vcc, exec, s[2:3]
	s_add_i32 s8, s8, s52
	s_cbranch_vccnz .LBB875_8
; %bb.7:
	v_add_u32_e32 v6, 0x100, v5
	v_lshlrev_b32_e32 v18, 2, v0
	v_add_u32_e32 v7, 0x200, v5
	v_add_u32_e32 v8, 0x300, v5
	;; [unrolled: 1-line block ×11, first 2 shown]
	ds_write2st64_b32 v18, v5, v6 offset1:4
	ds_write2st64_b32 v18, v7, v8 offset0:8 offset1:12
	ds_write2st64_b32 v18, v9, v10 offset0:16 offset1:20
	;; [unrolled: 1-line block ×5, first 2 shown]
	ds_write_b32 v18, v17 offset:12288
	s_waitcnt vmcnt(0) lgkmcnt(0)
	s_barrier
.LBB875_8:
	v_mul_u32_u24_e32 v35, 13, v0
	v_lshlrev_b32_e32 v5, 2, v35
	ds_read_b32 v34, v5 offset:48
	ds_read2_b32 v[13:14], v5 offset0:10 offset1:11
	ds_read2_b32 v[15:16], v5 offset0:8 offset1:9
	;; [unrolled: 1-line block ×4, first 2 shown]
	ds_read2_b32 v[23:24], v5 offset1:1
	ds_read2_b32 v[21:22], v5 offset0:2 offset1:3
	v_cndmask_b32_e64 v5, 0, 1, s[4:5]
	s_sub_i32 s86, s6, s8
	v_cmp_ne_u32_e64 s[2:3], 1, v5
	s_andn2_b64 vcc, exec, s[4:5]
	s_waitcnt vmcnt(0) lgkmcnt(0)
	s_barrier
	s_cbranch_vccnz .LBB875_36
; %bb.9:
	v_add_u32_e32 v5, s37, v23
	v_add_u32_e32 v6, s39, v23
	v_mul_lo_u32 v5, v5, s36
	v_mul_lo_u32 v6, v6, s38
	s_mov_b64 s[58:59], 0
	s_mov_b64 s[46:47], 0
	v_sub_u32_e32 v5, v5, v6
	v_cmp_lt_u32_e32 vcc, s40, v5
	v_cmp_ge_u32_e64 s[4:5], s40, v5
	s_and_saveexec_b64 s[6:7], s[4:5]
	s_cbranch_execz .LBB875_11
; %bb.10:
	v_add_u32_e32 v5, s42, v23
	v_add_u32_e32 v6, s56, v23
	v_mul_lo_u32 v5, v5, s41
	v_mul_lo_u32 v6, v6, s43
	v_sub_u32_e32 v5, v5, v6
	v_cmp_lt_u32_e64 s[4:5], s57, v5
	s_and_b64 s[46:47], s[4:5], exec
.LBB875_11:
	s_or_b64 exec, exec, s[6:7]
	v_add_u32_e32 v5, s37, v24
	v_add_u32_e32 v6, s39, v24
	v_mul_lo_u32 v5, v5, s36
	v_mul_lo_u32 v6, v6, s38
	v_sub_u32_e32 v5, v5, v6
	v_cmp_lt_u32_e64 s[4:5], s40, v5
	v_cmp_ge_u32_e64 s[6:7], s40, v5
	s_and_saveexec_b64 s[8:9], s[6:7]
	s_cbranch_execz .LBB875_13
; %bb.12:
	v_add_u32_e32 v5, s42, v24
	v_add_u32_e32 v6, s56, v24
	v_mul_lo_u32 v5, v5, s41
	v_mul_lo_u32 v6, v6, s43
	v_sub_u32_e32 v5, v5, v6
	v_cmp_lt_u32_e64 s[6:7], s57, v5
	s_and_b64 s[58:59], s[6:7], exec
.LBB875_13:
	s_or_b64 exec, exec, s[8:9]
	v_add_u32_e32 v5, s37, v21
	v_add_u32_e32 v6, s39, v21
	v_mul_lo_u32 v5, v5, s36
	v_mul_lo_u32 v6, v6, s38
	s_mov_b64 s[62:63], 0
	s_mov_b64 s[60:61], 0
	v_sub_u32_e32 v5, v5, v6
	v_cmp_lt_u32_e64 s[6:7], s40, v5
	v_cmp_ge_u32_e64 s[8:9], s40, v5
	s_and_saveexec_b64 s[10:11], s[8:9]
	s_cbranch_execz .LBB875_15
; %bb.14:
	v_add_u32_e32 v5, s42, v21
	v_add_u32_e32 v6, s56, v21
	v_mul_lo_u32 v5, v5, s41
	v_mul_lo_u32 v6, v6, s43
	v_sub_u32_e32 v5, v5, v6
	v_cmp_lt_u32_e64 s[8:9], s57, v5
	s_and_b64 s[60:61], s[8:9], exec
.LBB875_15:
	s_or_b64 exec, exec, s[10:11]
	v_add_u32_e32 v5, s37, v22
	v_add_u32_e32 v6, s39, v22
	v_mul_lo_u32 v5, v5, s36
	v_mul_lo_u32 v6, v6, s38
	v_sub_u32_e32 v5, v5, v6
	v_cmp_lt_u32_e64 s[8:9], s40, v5
	v_cmp_ge_u32_e64 s[10:11], s40, v5
	s_and_saveexec_b64 s[12:13], s[10:11]
	s_cbranch_execz .LBB875_17
; %bb.16:
	v_add_u32_e32 v5, s42, v22
	v_add_u32_e32 v6, s56, v22
	v_mul_lo_u32 v5, v5, s41
	v_mul_lo_u32 v6, v6, s43
	v_sub_u32_e32 v5, v5, v6
	v_cmp_lt_u32_e64 s[10:11], s57, v5
	s_and_b64 s[62:63], s[10:11], exec
.LBB875_17:
	s_or_b64 exec, exec, s[12:13]
	v_add_u32_e32 v5, s37, v19
	v_add_u32_e32 v6, s39, v19
	v_mul_lo_u32 v5, v5, s36
	v_mul_lo_u32 v6, v6, s38
	s_mov_b64 s[66:67], 0
	s_mov_b64 s[64:65], 0
	v_sub_u32_e32 v5, v5, v6
	v_cmp_lt_u32_e64 s[10:11], s40, v5
	;; [unrolled: 40-line block ×6, first 2 shown]
	v_cmp_ge_u32_e64 s[28:29], s40, v5
	s_and_saveexec_b64 s[84:85], s[28:29]
	s_cbranch_execz .LBB875_35
; %bb.34:
	v_add_u32_e32 v5, s42, v34
	v_add_u32_e32 v6, s56, v34
	v_mul_lo_u32 v5, v5, s41
	v_mul_lo_u32 v6, v6, s43
	v_sub_u32_e32 v5, v5, v6
	v_cmp_lt_u32_e64 s[28:29], s57, v5
	s_and_b64 s[82:83], s[28:29], exec
.LBB875_35:
	s_or_b64 exec, exec, s[84:85]
	v_cndmask_b32_e64 v6, 0, 1, s[4:5]
	v_cndmask_b32_e64 v5, 0, 1, vcc
	v_cndmask_b32_e64 v8, 0, 1, s[8:9]
	v_lshlrev_b16_e32 v6, 8, v6
	v_cndmask_b32_e64 v7, 0, 1, s[6:7]
	v_or_b32_e32 v5, v5, v6
	v_lshlrev_b16_e32 v6, 8, v8
	v_cndmask_b32_e64 v10, 0, 1, s[12:13]
	v_cndmask_b32_e64 v12, 0, 1, s[16:17]
	v_or_b32_sdwa v6, v7, v6 dst_sel:WORD_1 dst_unused:UNUSED_PAD src0_sel:DWORD src1_sel:DWORD
	v_cndmask_b32_e64 v9, 0, 1, s[10:11]
	v_cndmask_b32_e64 v11, 0, 1, s[14:15]
	v_or_b32_sdwa v36, v5, v6 dst_sel:DWORD dst_unused:UNUSED_PAD src0_sel:WORD_0 src1_sel:DWORD
	v_lshlrev_b16_e32 v5, 8, v10
	v_lshlrev_b16_e32 v6, 8, v12
	v_cndmask_b32_e64 v26, 0, 1, s[20:21]
	v_cndmask_b32_e64 v29, 0, 1, s[24:25]
	v_or_b32_e32 v5, v9, v5
	v_or_b32_sdwa v6, v11, v6 dst_sel:WORD_1 dst_unused:UNUSED_PAD src0_sel:DWORD src1_sel:DWORD
	v_cndmask_b32_e64 v25, 0, 1, s[18:19]
	v_cndmask_b32_e64 v27, 0, 1, s[22:23]
	v_or_b32_sdwa v38, v5, v6 dst_sel:DWORD dst_unused:UNUSED_PAD src0_sel:WORD_0 src1_sel:DWORD
	v_lshlrev_b16_e32 v5, 8, v26
	v_lshlrev_b16_e32 v6, 8, v29
	v_cndmask_b32_e64 v42, 0, 1, s[60:61]
	v_cndmask_b32_e64 v47, 0, 1, s[46:47]
	v_or_b32_e32 v5, v25, v5
	;; [unrolled: 9-line block ×4, first 2 shown]
	v_or_b32_sdwa v6, v39, v6 dst_sel:WORD_1 dst_unused:UNUSED_PAD src0_sel:DWORD src1_sel:DWORD
	v_cndmask_b32_e64 v30, 0, 1, s[74:75]
	v_cndmask_b32_e64 v32, 0, 1, s[70:71]
	v_or_b32_sdwa v37, v5, v6 dst_sel:DWORD dst_unused:UNUSED_PAD src0_sel:WORD_0 src1_sel:DWORD
	v_lshlrev_b16_e32 v5, 8, v31
	v_lshlrev_b16_e32 v6, 8, v28
	v_or_b32_e32 v5, v32, v5
	v_or_b32_sdwa v6, v30, v6 dst_sel:WORD_1 dst_unused:UNUSED_PAD src0_sel:DWORD src1_sel:DWORD
	v_cndmask_b32_e64 v40, 0, 1, s[78:79]
	v_cndmask_b32_e64 v43, 0, 1, s[82:83]
	v_or_b32_sdwa v39, v5, v6 dst_sel:DWORD dst_unused:UNUSED_PAD src0_sel:WORD_0 src1_sel:DWORD
	s_add_i32 s16, s86, 0xd00
	s_and_b64 vcc, exec, s[76:77]
	s_cbranch_vccnz .LBB875_37
	s_branch .LBB875_114
.LBB875_36:
                                        ; implicit-def: $vgpr43
                                        ; implicit-def: $vgpr40
                                        ; implicit-def: $vgpr39
                                        ; implicit-def: $vgpr37
                                        ; implicit-def: $vgpr42
                                        ; implicit-def: $vgpr41
                                        ; implicit-def: $vgpr38
                                        ; implicit-def: $vgpr36
	s_add_i32 s16, s86, 0xd00
	s_cbranch_execz .LBB875_114
.LBB875_37:
	v_cmp_gt_u32_e32 vcc, s16, v35
	v_mov_b32_e32 v6, 0
	v_mov_b32_e32 v5, 0
	s_and_saveexec_b64 s[6:7], vcc
	s_cbranch_execz .LBB875_41
; %bb.38:
	v_add_u32_e32 v5, s37, v23
	v_add_u32_e32 v6, s39, v23
	v_mul_lo_u32 v5, v5, s36
	v_mul_lo_u32 v6, v6, s38
	s_mov_b64 s[10:11], 0
	v_sub_u32_e32 v5, v5, v6
	v_cmp_lt_u32_e32 vcc, s40, v5
	v_cmp_ge_u32_e64 s[4:5], s40, v5
	s_and_saveexec_b64 s[8:9], s[4:5]
	s_cbranch_execz .LBB875_40
; %bb.39:
	v_add_u32_e32 v5, s42, v23
	v_add_u32_e32 v6, s56, v23
	v_mul_lo_u32 v5, v5, s41
	v_mul_lo_u32 v6, v6, s43
	v_sub_u32_e32 v5, v5, v6
	v_cmp_lt_u32_e64 s[4:5], s57, v5
	s_and_b64 s[10:11], s[4:5], exec
.LBB875_40:
	s_or_b64 exec, exec, s[8:9]
	v_cndmask_b32_e64 v6, 0, 1, s[10:11]
	v_cndmask_b32_e64 v5, 0, 1, vcc
.LBB875_41:
	s_or_b64 exec, exec, s[6:7]
	v_lshlrev_b16_e32 v11, 8, v6
	v_add_u32_e32 v6, 1, v35
	v_cmp_le_u32_e32 vcc, s16, v6
	v_lshlrev_b16_e64 v8, 8, 0
                                        ; implicit-def: $vgpr7
                                        ; implicit-def: $vgpr9
                                        ; implicit-def: $vgpr10
                                        ; implicit-def: $vgpr6
                                        ; implicit-def: $vgpr12
	s_and_saveexec_b64 s[4:5], vcc
	s_xor_b64 s[4:5], exec, s[4:5]
; %bb.42:
	v_mov_b32_e32 v6, 8
	v_lshrrev_b32_sdwa v7, v6, v11 dst_sel:BYTE_1 dst_unused:UNUSED_PAD src0_sel:DWORD src1_sel:DWORD
	v_and_b32_e32 v12, 0xff, v5
	v_or_b32_sdwa v5, v11, v7 dst_sel:DWORD dst_unused:UNUSED_PAD src0_sel:BYTE_0 src1_sel:DWORD
	v_mov_b32_e32 v9, 0
	v_lshlrev_b16_e64 v8, 8, 0
	v_lshlrev_b16_e64 v6, 8, 0
	v_and_b32_e32 v10, 0xffff, v5
	v_lshlrev_b16_e64 v7, 8, 0
                                        ; implicit-def: $vgpr5
                                        ; implicit-def: $vgpr11
; %bb.43:
	s_andn2_saveexec_b64 s[6:7], s[4:5]
	s_cbranch_execz .LBB875_47
; %bb.44:
	v_add_u32_e32 v6, s37, v24
	v_add_u32_e32 v7, s39, v24
	v_mul_lo_u32 v6, v6, s36
	v_mul_lo_u32 v7, v7, s38
	s_mov_b64 s[8:9], 0
	v_sub_u32_e32 v6, v6, v7
	v_cmp_lt_u32_e32 vcc, s40, v6
	v_cmp_ge_u32_e64 s[4:5], s40, v6
	s_and_saveexec_b64 s[10:11], s[4:5]
	s_cbranch_execz .LBB875_46
; %bb.45:
	v_add_u32_e32 v6, s42, v24
	v_add_u32_e32 v7, s56, v24
	v_mul_lo_u32 v6, v6, s41
	v_mul_lo_u32 v7, v7, s43
	v_sub_u32_e32 v6, v6, v7
	v_cmp_lt_u32_e64 s[4:5], s57, v6
	s_and_b64 s[8:9], s[4:5], exec
.LBB875_46:
	s_or_b64 exec, exec, s[10:11]
	v_cndmask_b32_e64 v7, 0, 1, vcc
	v_lshlrev_b16_e32 v7, 8, v7
	v_or_b32_sdwa v5, v5, v7 dst_sel:DWORD dst_unused:UNUSED_PAD src0_sel:BYTE_0 src1_sel:DWORD
	v_and_b32_e32 v12, 0xffff, v5
	v_mov_b32_e32 v5, 8
	v_lshrrev_b32_sdwa v5, v5, v11 dst_sel:BYTE_1 dst_unused:UNUSED_PAD src0_sel:DWORD src1_sel:DWORD
	v_or_b32_sdwa v5, v11, v5 dst_sel:DWORD dst_unused:UNUSED_PAD src0_sel:BYTE_0 src1_sel:DWORD
	v_and_b32_e32 v5, 0xffff, v5
	v_cndmask_b32_e64 v7, 0, 1, s[8:9]
	v_mov_b32_e32 v6, 0
	v_mov_b32_e32 v9, 0
	v_lshl_or_b32 v10, v7, 16, v5
	v_lshlrev_b16_e64 v7, 8, 0
.LBB875_47:
	s_or_b64 exec, exec, s[6:7]
	v_add_u32_e32 v5, 2, v35
	v_cmp_le_u32_e32 vcc, s16, v5
	v_lshrrev_b32_e32 v25, 24, v12
                                        ; implicit-def: $vgpr5
                                        ; implicit-def: $vgpr11
	s_and_saveexec_b64 s[4:5], vcc
	s_xor_b64 s[4:5], exec, s[4:5]
	s_cbranch_execz .LBB875_49
; %bb.48:
	s_mov_b32 s6, 0x40c0100
	v_perm_b32 v11, v25, v12, s6
	v_mov_b32_e32 v12, 8
	v_lshrrev_b32_sdwa v12, v12, v11 dst_sel:BYTE_1 dst_unused:UNUSED_PAD src0_sel:DWORD src1_sel:DWORD
	v_or_b32_sdwa v12, v11, v12 dst_sel:DWORD dst_unused:UNUSED_PAD src0_sel:BYTE_0 src1_sel:DWORD
	v_and_b32_e32 v12, 0xffff, v12
	s_mov_b32 s6, 0xff000000
	v_and_or_b32 v11, v11, s6, v12
	s_mov_b32 s6, 0x3060504
	v_and_b32_e32 v5, 0xff0000, v10
	v_perm_b32 v8, v8, v8, s6
	s_mov_b32 s6, 0x3020504
	v_perm_b32 v5, v10, v5, s6
                                        ; implicit-def: $vgpr12
                                        ; implicit-def: $vgpr25
                                        ; implicit-def: $vgpr10
.LBB875_49:
	s_andn2_saveexec_b64 s[6:7], s[4:5]
	s_cbranch_execz .LBB875_53
; %bb.50:
	v_add_u32_e32 v5, s37, v21
	v_add_u32_e32 v11, s39, v21
	v_mul_lo_u32 v5, v5, s36
	v_mul_lo_u32 v11, v11, s38
	s_mov_b64 s[8:9], 0
	v_sub_u32_e32 v5, v5, v11
	v_cmp_lt_u32_e32 vcc, s40, v5
	v_cmp_ge_u32_e64 s[4:5], s40, v5
	s_and_saveexec_b64 s[10:11], s[4:5]
	s_cbranch_execz .LBB875_52
; %bb.51:
	v_add_u32_e32 v5, s42, v21
	v_add_u32_e32 v11, s56, v21
	v_mul_lo_u32 v5, v5, s41
	v_mul_lo_u32 v11, v11, s43
	v_sub_u32_e32 v5, v5, v11
	v_cmp_lt_u32_e64 s[4:5], s57, v5
	s_and_b64 s[8:9], s[4:5], exec
.LBB875_52:
	s_or_b64 exec, exec, s[10:11]
	v_mov_b32_e32 v27, 8
	v_lshrrev_b32_sdwa v11, v27, v12 dst_sel:BYTE_1 dst_unused:UNUSED_PAD src0_sel:DWORD src1_sel:DWORD
	v_cndmask_b32_e64 v5, 0, 1, vcc
	v_or_b32_sdwa v11, v12, v11 dst_sel:DWORD dst_unused:UNUSED_PAD src0_sel:BYTE_0 src1_sel:DWORD
	v_lshlrev_b16_e32 v12, 8, v25
	v_or_b32_sdwa v5, v5, v12 dst_sel:WORD_1 dst_unused:UNUSED_PAD src0_sel:DWORD src1_sel:DWORD
	v_cndmask_b32_e64 v26, 0, 1, s[8:9]
	s_movk_i32 s4, 0xff
	v_or_b32_sdwa v11, v11, v5 dst_sel:DWORD dst_unused:UNUSED_PAD src0_sel:WORD_0 src1_sel:DWORD
	v_lshrrev_b32_sdwa v5, v27, v10 dst_sel:BYTE_1 dst_unused:UNUSED_PAD src0_sel:DWORD src1_sel:DWORD
	v_or_b32_sdwa v5, v10, v5 dst_sel:DWORD dst_unused:UNUSED_PAD src0_sel:BYTE_0 src1_sel:DWORD
	v_lshlrev_b16_e32 v12, 8, v26
	v_and_b32_sdwa v10, v10, s4 dst_sel:DWORD dst_unused:UNUSED_PAD src0_sel:WORD_1 src1_sel:DWORD
	v_or_b32_sdwa v10, v10, v12 dst_sel:WORD_1 dst_unused:UNUSED_PAD src0_sel:DWORD src1_sel:DWORD
	v_or_b32_sdwa v5, v5, v10 dst_sel:DWORD dst_unused:UNUSED_PAD src0_sel:WORD_0 src1_sel:DWORD
.LBB875_53:
	s_or_b64 exec, exec, s[6:7]
	v_add_u32_e32 v10, 3, v35
	v_cmp_le_u32_e32 vcc, s16, v10
	v_lshrrev_b32_e32 v12, 24, v9
                                        ; implicit-def: $vgpr10
                                        ; implicit-def: $vgpr36
	s_and_saveexec_b64 s[4:5], vcc
	s_xor_b64 s[4:5], exec, s[4:5]
	s_cbranch_execz .LBB875_55
; %bb.54:
	v_and_b32_e32 v10, 0xff0000, v11
	s_mov_b32 s6, 0x3020504
	s_movk_i32 s7, 0xff
	v_perm_b32 v36, v11, v10, s6
	v_lshlrev_b16_e32 v10, 8, v12
	v_and_b32_sdwa v11, v9, s7 dst_sel:DWORD dst_unused:UNUSED_PAD src0_sel:WORD_1 src1_sel:DWORD
	s_mov_b32 s6, 0x3060504
	v_or_b32_sdwa v10, v11, v10 dst_sel:WORD_1 dst_unused:UNUSED_PAD src0_sel:DWORD src1_sel:DWORD
	v_mov_b32_e32 v11, 8
	v_perm_b32 v8, v8, v8, s6
	v_lshrrev_b32_sdwa v10, v11, v9 dst_sel:BYTE_1 dst_unused:UNUSED_PRESERVE src0_sel:DWORD src1_sel:DWORD
	v_perm_b32 v7, v7, v7, s6
                                        ; implicit-def: $vgpr11
                                        ; implicit-def: $vgpr12
                                        ; implicit-def: $vgpr9
.LBB875_55:
	s_andn2_saveexec_b64 s[6:7], s[4:5]
	s_cbranch_execz .LBB875_59
; %bb.56:
	v_add_u32_e32 v10, s37, v22
	v_add_u32_e32 v25, s39, v22
	v_mul_lo_u32 v10, v10, s36
	v_mul_lo_u32 v25, v25, s38
	s_mov_b64 s[8:9], 0
	v_sub_u32_e32 v10, v10, v25
	v_cmp_lt_u32_e32 vcc, s40, v10
	v_cmp_ge_u32_e64 s[4:5], s40, v10
	s_and_saveexec_b64 s[10:11], s[4:5]
	s_cbranch_execz .LBB875_58
; %bb.57:
	v_add_u32_e32 v10, s42, v22
	v_add_u32_e32 v25, s56, v22
	v_mul_lo_u32 v10, v10, s41
	v_mul_lo_u32 v25, v25, s43
	v_sub_u32_e32 v10, v10, v25
	v_cmp_lt_u32_e64 s[4:5], s57, v10
	s_and_b64 s[8:9], s[4:5], exec
.LBB875_58:
	s_or_b64 exec, exec, s[10:11]
	v_mov_b32_e32 v26, 8
	v_cndmask_b32_e64 v10, 0, 1, vcc
	s_movk_i32 s4, 0xff
	v_lshrrev_b32_sdwa v27, v26, v11 dst_sel:BYTE_1 dst_unused:UNUSED_PAD src0_sel:DWORD src1_sel:DWORD
	v_or_b32_sdwa v27, v11, v27 dst_sel:DWORD dst_unused:UNUSED_PAD src0_sel:BYTE_0 src1_sel:DWORD
	v_lshlrev_b16_e32 v10, 8, v10
	v_and_b32_sdwa v11, v11, s4 dst_sel:DWORD dst_unused:UNUSED_PAD src0_sel:WORD_1 src1_sel:DWORD
	v_or_b32_sdwa v10, v11, v10 dst_sel:WORD_1 dst_unused:UNUSED_PAD src0_sel:DWORD src1_sel:DWORD
	v_cndmask_b32_e64 v25, 0, 1, s[8:9]
	v_or_b32_sdwa v36, v27, v10 dst_sel:DWORD dst_unused:UNUSED_PAD src0_sel:WORD_0 src1_sel:DWORD
	v_lshlrev_b16_e32 v10, 8, v12
	v_and_b32_sdwa v11, v9, s4 dst_sel:DWORD dst_unused:UNUSED_PAD src0_sel:WORD_1 src1_sel:DWORD
	v_lshrrev_b32_sdwa v9, v26, v9 dst_sel:BYTE_1 dst_unused:UNUSED_PAD src0_sel:DWORD src1_sel:DWORD
	v_or_b32_sdwa v10, v11, v10 dst_sel:WORD_1 dst_unused:UNUSED_PAD src0_sel:DWORD src1_sel:DWORD
	v_or_b32_e32 v9, v25, v9
	v_or_b32_sdwa v10, v9, v10 dst_sel:DWORD dst_unused:UNUSED_PAD src0_sel:WORD_0 src1_sel:DWORD
.LBB875_59:
	s_or_b64 exec, exec, s[6:7]
	v_add_u32_e32 v9, 4, v35
	v_cmp_le_u32_e32 vcc, s16, v9
	v_lshrrev_b32_e32 v25, 24, v8
	v_lshrrev_b32_e32 v12, 24, v10
                                        ; implicit-def: $vgpr11
                                        ; implicit-def: $vgpr9
	s_and_saveexec_b64 s[4:5], vcc
	s_xor_b64 s[4:5], exec, s[4:5]
	s_cbranch_execz .LBB875_61
; %bb.60:
	s_movk_i32 s6, 0xff
	v_lshlrev_b16_e32 v9, 8, v25
	v_and_b32_sdwa v25, v8, s6 dst_sel:DWORD dst_unused:UNUSED_PAD src0_sel:WORD_1 src1_sel:DWORD
	v_mov_b32_e32 v11, 8
	v_or_b32_sdwa v9, v25, v9 dst_sel:WORD_1 dst_unused:UNUSED_PAD src0_sel:DWORD src1_sel:DWORD
	v_lshrrev_b32_sdwa v9, v11, v8 dst_sel:BYTE_1 dst_unused:UNUSED_PRESERVE src0_sel:DWORD src1_sel:DWORD
	v_lshlrev_b16_e32 v8, 8, v12
	v_and_b32_sdwa v11, v10, s6 dst_sel:DWORD dst_unused:UNUSED_PAD src0_sel:WORD_1 src1_sel:DWORD
	v_or_b32_e32 v8, v11, v8
	s_mov_b32 s6, 0x5040c00
	v_perm_b32 v11, v8, v10, s6
	s_mov_b32 s6, 0x3060504
	v_perm_b32 v7, v7, v7, s6
                                        ; implicit-def: $vgpr25
                                        ; implicit-def: $vgpr8
                                        ; implicit-def: $vgpr10
                                        ; implicit-def: $vgpr12
.LBB875_61:
	s_andn2_saveexec_b64 s[6:7], s[4:5]
	s_cbranch_execz .LBB875_65
; %bb.62:
	v_add_u32_e32 v9, s37, v19
	v_add_u32_e32 v11, s39, v19
	v_mul_lo_u32 v9, v9, s36
	v_mul_lo_u32 v11, v11, s38
	s_mov_b64 s[8:9], 0
	v_sub_u32_e32 v9, v9, v11
	v_cmp_lt_u32_e32 vcc, s40, v9
	v_cmp_ge_u32_e64 s[4:5], s40, v9
	s_and_saveexec_b64 s[10:11], s[4:5]
	s_cbranch_execz .LBB875_64
; %bb.63:
	v_add_u32_e32 v9, s42, v19
	v_add_u32_e32 v11, s56, v19
	v_mul_lo_u32 v9, v9, s41
	v_mul_lo_u32 v11, v11, s43
	v_sub_u32_e32 v9, v9, v11
	v_cmp_lt_u32_e64 s[4:5], s57, v9
	s_and_b64 s[8:9], s[4:5], exec
.LBB875_64:
	s_or_b64 exec, exec, s[10:11]
	s_movk_i32 s4, 0xff
	v_lshlrev_b16_e32 v25, 8, v25
	v_and_b32_sdwa v26, v8, s4 dst_sel:DWORD dst_unused:UNUSED_PAD src0_sel:WORD_1 src1_sel:DWORD
	v_or_b32_sdwa v25, v26, v25 dst_sel:WORD_1 dst_unused:UNUSED_PAD src0_sel:DWORD src1_sel:DWORD
	v_mov_b32_e32 v26, 8
	v_cndmask_b32_e64 v9, 0, 1, vcc
	v_lshrrev_b32_sdwa v8, v26, v8 dst_sel:BYTE_1 dst_unused:UNUSED_PAD src0_sel:DWORD src1_sel:DWORD
	v_cndmask_b32_e64 v11, 0, 1, s[8:9]
	v_or_b32_e32 v8, v9, v8
	v_or_b32_sdwa v9, v8, v25 dst_sel:DWORD dst_unused:UNUSED_PAD src0_sel:WORD_0 src1_sel:DWORD
	v_lshlrev_b16_e32 v8, 8, v11
	v_or_b32_sdwa v8, v10, v8 dst_sel:DWORD dst_unused:UNUSED_PAD src0_sel:BYTE_0 src1_sel:DWORD
	v_lshlrev_b16_e32 v11, 8, v12
	v_and_b32_sdwa v10, v10, s4 dst_sel:DWORD dst_unused:UNUSED_PAD src0_sel:WORD_1 src1_sel:DWORD
	v_or_b32_sdwa v10, v10, v11 dst_sel:WORD_1 dst_unused:UNUSED_PAD src0_sel:DWORD src1_sel:DWORD
	v_or_b32_sdwa v11, v8, v10 dst_sel:DWORD dst_unused:UNUSED_PAD src0_sel:WORD_0 src1_sel:DWORD
.LBB875_65:
	s_or_b64 exec, exec, s[6:7]
	v_add_u32_e32 v8, 5, v35
	v_cmp_le_u32_e32 vcc, s16, v8
	v_lshrrev_b32_e32 v12, 24, v11
	v_lshrrev_b32_e32 v25, 24, v9
                                        ; implicit-def: $vgpr8
                                        ; implicit-def: $vgpr10
	s_and_saveexec_b64 s[4:5], vcc
	s_xor_b64 s[4:5], exec, s[4:5]
	s_cbranch_execz .LBB875_67
; %bb.66:
	s_mov_b32 s6, 0x40c0100
	v_perm_b32 v8, v12, v11, s6
	s_movk_i32 s6, 0xff
	v_lshlrev_b16_e32 v10, 8, v25
	v_and_b32_sdwa v11, v9, s6 dst_sel:DWORD dst_unused:UNUSED_PAD src0_sel:WORD_1 src1_sel:DWORD
	v_or_b32_e32 v10, v11, v10
	s_mov_b32 s6, 0x5040c00
	v_perm_b32 v10, v10, v9, s6
	v_mov_b32_e32 v9, 8
	v_lshrrev_b32_sdwa v9, v9, v8 dst_sel:BYTE_1 dst_unused:UNUSED_PAD src0_sel:DWORD src1_sel:DWORD
	v_or_b32_sdwa v9, v8, v9 dst_sel:DWORD dst_unused:UNUSED_PAD src0_sel:BYTE_0 src1_sel:DWORD
	v_and_b32_e32 v9, 0xffff, v9
	s_mov_b32 s6, 0xff000000
	v_and_or_b32 v8, v8, s6, v9
	s_mov_b32 s6, 0x3060504
	v_perm_b32 v7, v7, v7, s6
                                        ; implicit-def: $vgpr9
                                        ; implicit-def: $vgpr25
                                        ; implicit-def: $vgpr11
                                        ; implicit-def: $vgpr12
.LBB875_67:
	s_andn2_saveexec_b64 s[6:7], s[4:5]
	s_cbranch_execz .LBB875_71
; %bb.68:
	v_add_u32_e32 v8, s37, v20
	v_add_u32_e32 v10, s39, v20
	v_mul_lo_u32 v8, v8, s36
	v_mul_lo_u32 v10, v10, s38
	s_mov_b64 s[8:9], 0
	v_sub_u32_e32 v8, v8, v10
	v_cmp_lt_u32_e32 vcc, s40, v8
	v_cmp_ge_u32_e64 s[4:5], s40, v8
	s_and_saveexec_b64 s[10:11], s[4:5]
	s_cbranch_execz .LBB875_70
; %bb.69:
	v_add_u32_e32 v8, s42, v20
	v_add_u32_e32 v10, s56, v20
	v_mul_lo_u32 v8, v8, s41
	v_mul_lo_u32 v10, v10, s43
	v_sub_u32_e32 v8, v8, v10
	v_cmp_lt_u32_e64 s[4:5], s57, v8
	s_and_b64 s[8:9], s[4:5], exec
.LBB875_70:
	s_or_b64 exec, exec, s[10:11]
	v_cndmask_b32_e64 v8, 0, 1, vcc
	v_lshlrev_b16_e32 v8, 8, v8
	s_movk_i32 s4, 0xff
	v_or_b32_sdwa v8, v9, v8 dst_sel:DWORD dst_unused:UNUSED_PAD src0_sel:BYTE_0 src1_sel:DWORD
	v_lshlrev_b16_e32 v10, 8, v25
	v_and_b32_sdwa v9, v9, s4 dst_sel:DWORD dst_unused:UNUSED_PAD src0_sel:WORD_1 src1_sel:DWORD
	v_or_b32_sdwa v9, v9, v10 dst_sel:WORD_1 dst_unused:UNUSED_PAD src0_sel:DWORD src1_sel:DWORD
	v_or_b32_sdwa v10, v8, v9 dst_sel:DWORD dst_unused:UNUSED_PAD src0_sel:WORD_0 src1_sel:DWORD
	v_mov_b32_e32 v8, 8
	v_cndmask_b32_e64 v26, 0, 1, s[8:9]
	v_lshrrev_b32_sdwa v8, v8, v11 dst_sel:BYTE_1 dst_unused:UNUSED_PAD src0_sel:DWORD src1_sel:DWORD
	v_lshlrev_b16_e32 v9, 8, v12
	v_or_b32_sdwa v8, v11, v8 dst_sel:DWORD dst_unused:UNUSED_PAD src0_sel:BYTE_0 src1_sel:DWORD
	v_or_b32_sdwa v9, v26, v9 dst_sel:WORD_1 dst_unused:UNUSED_PAD src0_sel:DWORD src1_sel:DWORD
	v_or_b32_sdwa v8, v8, v9 dst_sel:DWORD dst_unused:UNUSED_PAD src0_sel:WORD_0 src1_sel:DWORD
.LBB875_71:
	s_or_b64 exec, exec, s[6:7]
	v_add_u32_e32 v9, 6, v35
	v_cmp_le_u32_e32 vcc, s16, v9
	v_lshrrev_b32_e32 v11, 24, v10
                                        ; implicit-def: $vgpr37
                                        ; implicit-def: $vgpr9
	s_and_saveexec_b64 s[4:5], vcc
	s_xor_b64 s[4:5], exec, s[4:5]
	s_cbranch_execz .LBB875_73
; %bb.72:
	s_mov_b32 s6, 0x40c0100
	v_perm_b32 v9, v11, v10, s6
	v_mov_b32_e32 v10, 8
	v_lshrrev_b32_sdwa v10, v10, v9 dst_sel:BYTE_1 dst_unused:UNUSED_PAD src0_sel:DWORD src1_sel:DWORD
	v_or_b32_sdwa v10, v9, v10 dst_sel:DWORD dst_unused:UNUSED_PAD src0_sel:BYTE_0 src1_sel:DWORD
	v_and_b32_e32 v10, 0xffff, v10
	s_mov_b32 s6, 0xff000000
	v_and_b32_e32 v12, 0xff0000, v8
	v_and_or_b32 v9, v9, s6, v10
	s_mov_b32 s6, 0x3020504
	v_perm_b32 v37, v8, v12, s6
	s_mov_b32 s6, 0x3060504
	v_perm_b32 v7, v7, v7, s6
                                        ; implicit-def: $vgpr10
                                        ; implicit-def: $vgpr11
                                        ; implicit-def: $vgpr8
.LBB875_73:
	s_andn2_saveexec_b64 s[6:7], s[4:5]
	s_cbranch_execz .LBB875_77
; %bb.74:
	v_add_u32_e32 v9, s37, v17
	v_add_u32_e32 v12, s39, v17
	v_mul_lo_u32 v9, v9, s36
	v_mul_lo_u32 v12, v12, s38
	s_mov_b64 s[8:9], 0
	v_sub_u32_e32 v9, v9, v12
	v_cmp_lt_u32_e32 vcc, s40, v9
	v_cmp_ge_u32_e64 s[4:5], s40, v9
	s_and_saveexec_b64 s[10:11], s[4:5]
	s_cbranch_execz .LBB875_76
; %bb.75:
	v_add_u32_e32 v9, s42, v17
	v_add_u32_e32 v12, s56, v17
	v_mul_lo_u32 v9, v9, s41
	v_mul_lo_u32 v12, v12, s43
	v_sub_u32_e32 v9, v9, v12
	v_cmp_lt_u32_e64 s[4:5], s57, v9
	s_and_b64 s[8:9], s[4:5], exec
.LBB875_76:
	s_or_b64 exec, exec, s[10:11]
	v_mov_b32_e32 v25, 8
	v_cndmask_b32_e64 v9, 0, 1, vcc
	v_lshrrev_b32_sdwa v26, v25, v10 dst_sel:BYTE_1 dst_unused:UNUSED_PAD src0_sel:DWORD src1_sel:DWORD
	v_lshlrev_b16_e32 v11, 8, v11
	v_or_b32_sdwa v10, v10, v26 dst_sel:DWORD dst_unused:UNUSED_PAD src0_sel:BYTE_0 src1_sel:DWORD
	v_or_b32_sdwa v9, v9, v11 dst_sel:WORD_1 dst_unused:UNUSED_PAD src0_sel:DWORD src1_sel:DWORD
	v_cndmask_b32_e64 v12, 0, 1, s[8:9]
	s_movk_i32 s4, 0xff
	v_or_b32_sdwa v9, v10, v9 dst_sel:DWORD dst_unused:UNUSED_PAD src0_sel:WORD_0 src1_sel:DWORD
	v_lshrrev_b32_sdwa v10, v25, v8 dst_sel:BYTE_1 dst_unused:UNUSED_PAD src0_sel:DWORD src1_sel:DWORD
	v_or_b32_sdwa v10, v8, v10 dst_sel:DWORD dst_unused:UNUSED_PAD src0_sel:BYTE_0 src1_sel:DWORD
	v_lshlrev_b16_e32 v11, 8, v12
	v_and_b32_sdwa v8, v8, s4 dst_sel:DWORD dst_unused:UNUSED_PAD src0_sel:WORD_1 src1_sel:DWORD
	v_or_b32_sdwa v8, v8, v11 dst_sel:WORD_1 dst_unused:UNUSED_PAD src0_sel:DWORD src1_sel:DWORD
	v_or_b32_sdwa v37, v10, v8 dst_sel:DWORD dst_unused:UNUSED_PAD src0_sel:WORD_0 src1_sel:DWORD
.LBB875_77:
	s_or_b64 exec, exec, s[6:7]
	v_add_u32_e32 v8, 7, v35
	v_cmp_le_u32_e32 vcc, s16, v8
	v_lshrrev_b32_e32 v10, 24, v7
                                        ; implicit-def: $vgpr8
                                        ; implicit-def: $vgpr38
	s_and_saveexec_b64 s[4:5], vcc
	s_xor_b64 s[4:5], exec, s[4:5]
; %bb.78:
	v_and_b32_e32 v8, 0xff0000, v9
	s_mov_b32 s6, 0x3020504
	v_perm_b32 v38, v9, v8, s6
	s_movk_i32 s6, 0xff
	v_lshlrev_b16_e32 v8, 8, v10
	v_and_b32_sdwa v9, v7, s6 dst_sel:DWORD dst_unused:UNUSED_PAD src0_sel:WORD_1 src1_sel:DWORD
	v_mov_b32_e32 v11, 8
	v_or_b32_sdwa v8, v9, v8 dst_sel:WORD_1 dst_unused:UNUSED_PAD src0_sel:DWORD src1_sel:DWORD
	v_lshrrev_b32_sdwa v8, v11, v7 dst_sel:BYTE_1 dst_unused:UNUSED_PRESERVE src0_sel:DWORD src1_sel:DWORD
                                        ; implicit-def: $vgpr9
                                        ; implicit-def: $vgpr10
                                        ; implicit-def: $vgpr7
; %bb.79:
	s_andn2_saveexec_b64 s[6:7], s[4:5]
	s_cbranch_execz .LBB875_83
; %bb.80:
	v_add_u32_e32 v8, s37, v18
	v_add_u32_e32 v11, s39, v18
	v_mul_lo_u32 v8, v8, s36
	v_mul_lo_u32 v11, v11, s38
	s_mov_b64 s[8:9], 0
	v_sub_u32_e32 v8, v8, v11
	v_cmp_lt_u32_e32 vcc, s40, v8
	v_cmp_ge_u32_e64 s[4:5], s40, v8
	s_and_saveexec_b64 s[10:11], s[4:5]
	s_cbranch_execz .LBB875_82
; %bb.81:
	v_add_u32_e32 v8, s42, v18
	v_add_u32_e32 v11, s56, v18
	v_mul_lo_u32 v8, v8, s41
	v_mul_lo_u32 v11, v11, s43
	v_sub_u32_e32 v8, v8, v11
	v_cmp_lt_u32_e64 s[4:5], s57, v8
	s_and_b64 s[8:9], s[4:5], exec
.LBB875_82:
	s_or_b64 exec, exec, s[10:11]
	v_mov_b32_e32 v12, 8
	v_cndmask_b32_e64 v8, 0, 1, vcc
	s_movk_i32 s4, 0xff
	v_lshrrev_b32_sdwa v25, v12, v9 dst_sel:BYTE_1 dst_unused:UNUSED_PAD src0_sel:DWORD src1_sel:DWORD
	v_or_b32_sdwa v25, v9, v25 dst_sel:DWORD dst_unused:UNUSED_PAD src0_sel:BYTE_0 src1_sel:DWORD
	v_lshlrev_b16_e32 v8, 8, v8
	v_and_b32_sdwa v9, v9, s4 dst_sel:DWORD dst_unused:UNUSED_PAD src0_sel:WORD_1 src1_sel:DWORD
	v_or_b32_sdwa v8, v9, v8 dst_sel:WORD_1 dst_unused:UNUSED_PAD src0_sel:DWORD src1_sel:DWORD
	v_cndmask_b32_e64 v11, 0, 1, s[8:9]
	v_or_b32_sdwa v38, v25, v8 dst_sel:DWORD dst_unused:UNUSED_PAD src0_sel:WORD_0 src1_sel:DWORD
	v_lshlrev_b16_e32 v8, 8, v10
	v_and_b32_sdwa v9, v7, s4 dst_sel:DWORD dst_unused:UNUSED_PAD src0_sel:WORD_1 src1_sel:DWORD
	v_lshrrev_b32_sdwa v7, v12, v7 dst_sel:BYTE_1 dst_unused:UNUSED_PAD src0_sel:DWORD src1_sel:DWORD
	v_or_b32_sdwa v8, v9, v8 dst_sel:WORD_1 dst_unused:UNUSED_PAD src0_sel:DWORD src1_sel:DWORD
	v_or_b32_e32 v7, v11, v7
	v_or_b32_sdwa v8, v7, v8 dst_sel:DWORD dst_unused:UNUSED_PAD src0_sel:WORD_0 src1_sel:DWORD
.LBB875_83:
	s_or_b64 exec, exec, s[6:7]
	v_add_u32_e32 v7, 8, v35
	v_cmp_le_u32_e32 vcc, s16, v7
	v_lshrrev_b32_e32 v10, 24, v8
	v_lshrrev_b32_e32 v11, 24, v6
                                        ; implicit-def: $vgpr9
                                        ; implicit-def: $vgpr7
	s_and_saveexec_b64 s[4:5], vcc
	s_xor_b64 s[4:5], exec, s[4:5]
	s_cbranch_execz .LBB875_85
; %bb.84:
	s_movk_i32 s6, 0xff
	v_lshlrev_b16_e32 v7, 8, v11
	v_and_b32_sdwa v9, v6, s6 dst_sel:DWORD dst_unused:UNUSED_PAD src0_sel:WORD_1 src1_sel:DWORD
	v_or_b32_sdwa v7, v9, v7 dst_sel:WORD_1 dst_unused:UNUSED_PAD src0_sel:DWORD src1_sel:DWORD
	v_mov_b32_e32 v9, 8
	v_lshrrev_b32_sdwa v7, v9, v6 dst_sel:BYTE_1 dst_unused:UNUSED_PRESERVE src0_sel:DWORD src1_sel:DWORD
	v_lshlrev_b16_e32 v6, 8, v10
	v_and_b32_sdwa v9, v8, s6 dst_sel:DWORD dst_unused:UNUSED_PAD src0_sel:WORD_1 src1_sel:DWORD
	s_mov_b32 s7, 0x3060504
	v_or_b32_e32 v6, v9, v6
	s_mov_b32 s6, 0x5040c00
	v_perm_b32 v5, v5, v5, s7
	v_perm_b32 v9, v6, v8, s6
                                        ; implicit-def: $vgpr11
                                        ; implicit-def: $vgpr6
                                        ; implicit-def: $vgpr8
                                        ; implicit-def: $vgpr10
.LBB875_85:
	s_andn2_saveexec_b64 s[6:7], s[4:5]
	s_cbranch_execz .LBB875_89
; %bb.86:
	v_add_u32_e32 v7, s37, v15
	v_add_u32_e32 v9, s39, v15
	v_mul_lo_u32 v7, v7, s36
	v_mul_lo_u32 v9, v9, s38
	s_mov_b64 s[8:9], 0
	v_sub_u32_e32 v7, v7, v9
	v_cmp_lt_u32_e32 vcc, s40, v7
	v_cmp_ge_u32_e64 s[4:5], s40, v7
	s_and_saveexec_b64 s[10:11], s[4:5]
	s_cbranch_execz .LBB875_88
; %bb.87:
	v_add_u32_e32 v7, s42, v15
	v_add_u32_e32 v9, s56, v15
	v_mul_lo_u32 v7, v7, s41
	v_mul_lo_u32 v9, v9, s43
	v_sub_u32_e32 v7, v7, v9
	v_cmp_lt_u32_e64 s[4:5], s57, v7
	s_and_b64 s[8:9], s[4:5], exec
.LBB875_88:
	s_or_b64 exec, exec, s[10:11]
	s_movk_i32 s4, 0xff
	v_lshlrev_b16_e32 v11, 8, v11
	v_and_b32_sdwa v12, v6, s4 dst_sel:DWORD dst_unused:UNUSED_PAD src0_sel:WORD_1 src1_sel:DWORD
	v_or_b32_sdwa v11, v12, v11 dst_sel:WORD_1 dst_unused:UNUSED_PAD src0_sel:DWORD src1_sel:DWORD
	v_mov_b32_e32 v12, 8
	v_cndmask_b32_e64 v7, 0, 1, vcc
	v_lshrrev_b32_sdwa v6, v12, v6 dst_sel:BYTE_1 dst_unused:UNUSED_PAD src0_sel:DWORD src1_sel:DWORD
	v_cndmask_b32_e64 v9, 0, 1, s[8:9]
	v_or_b32_e32 v6, v7, v6
	v_or_b32_sdwa v7, v6, v11 dst_sel:DWORD dst_unused:UNUSED_PAD src0_sel:WORD_0 src1_sel:DWORD
	v_lshlrev_b16_e32 v6, 8, v9
	v_or_b32_sdwa v6, v8, v6 dst_sel:DWORD dst_unused:UNUSED_PAD src0_sel:BYTE_0 src1_sel:DWORD
	v_lshlrev_b16_e32 v9, 8, v10
	v_and_b32_sdwa v8, v8, s4 dst_sel:DWORD dst_unused:UNUSED_PAD src0_sel:WORD_1 src1_sel:DWORD
	v_or_b32_sdwa v8, v8, v9 dst_sel:WORD_1 dst_unused:UNUSED_PAD src0_sel:DWORD src1_sel:DWORD
	v_or_b32_sdwa v9, v6, v8 dst_sel:DWORD dst_unused:UNUSED_PAD src0_sel:WORD_0 src1_sel:DWORD
.LBB875_89:
	s_or_b64 exec, exec, s[6:7]
	v_add_u32_e32 v6, 9, v35
	v_cmp_le_u32_e32 vcc, s16, v6
	v_lshrrev_b32_e32 v10, 24, v9
	v_lshrrev_b32_e32 v11, 24, v7
                                        ; implicit-def: $vgpr6
                                        ; implicit-def: $vgpr8
	s_and_saveexec_b64 s[4:5], vcc
	s_xor_b64 s[4:5], exec, s[4:5]
	s_cbranch_execz .LBB875_91
; %bb.90:
	s_mov_b32 s6, 0x40c0100
	v_perm_b32 v6, v10, v9, s6
	v_mov_b32_e32 v8, 8
	s_movk_i32 s6, 0xff
	v_lshrrev_b32_sdwa v9, v8, v6 dst_sel:BYTE_1 dst_unused:UNUSED_PAD src0_sel:DWORD src1_sel:DWORD
	v_lshlrev_b16_e32 v8, 8, v11
	v_and_b32_sdwa v10, v7, s6 dst_sel:DWORD dst_unused:UNUSED_PAD src0_sel:WORD_1 src1_sel:DWORD
	v_or_b32_e32 v8, v10, v8
	s_mov_b32 s6, 0x5040c00
	v_perm_b32 v8, v8, v7, s6
	s_mov_b32 s6, 0x3060504
	v_or_b32_sdwa v7, v6, v9 dst_sel:DWORD dst_unused:UNUSED_PAD src0_sel:BYTE_0 src1_sel:DWORD
	v_perm_b32 v5, v5, v5, s6
	v_and_b32_e32 v7, 0xffff, v7
	s_mov_b32 s6, 0xff000000
	v_and_or_b32 v6, v6, s6, v7
                                        ; implicit-def: $vgpr7
                                        ; implicit-def: $vgpr11
                                        ; implicit-def: $vgpr9
                                        ; implicit-def: $vgpr10
.LBB875_91:
	s_andn2_saveexec_b64 s[6:7], s[4:5]
	s_cbranch_execz .LBB875_95
; %bb.92:
	v_add_u32_e32 v6, s37, v16
	v_add_u32_e32 v8, s39, v16
	v_mul_lo_u32 v6, v6, s36
	v_mul_lo_u32 v8, v8, s38
	s_mov_b64 s[8:9], 0
	v_sub_u32_e32 v6, v6, v8
	v_cmp_lt_u32_e32 vcc, s40, v6
	v_cmp_ge_u32_e64 s[4:5], s40, v6
	s_and_saveexec_b64 s[10:11], s[4:5]
	s_cbranch_execz .LBB875_94
; %bb.93:
	v_add_u32_e32 v6, s42, v16
	v_add_u32_e32 v8, s56, v16
	v_mul_lo_u32 v6, v6, s41
	v_mul_lo_u32 v8, v8, s43
	v_sub_u32_e32 v6, v6, v8
	v_cmp_lt_u32_e64 s[4:5], s57, v6
	s_and_b64 s[8:9], s[4:5], exec
.LBB875_94:
	s_or_b64 exec, exec, s[10:11]
	v_cndmask_b32_e64 v6, 0, 1, vcc
	v_lshlrev_b16_e32 v6, 8, v6
	s_movk_i32 s4, 0xff
	v_or_b32_sdwa v6, v7, v6 dst_sel:DWORD dst_unused:UNUSED_PAD src0_sel:BYTE_0 src1_sel:DWORD
	v_lshlrev_b16_e32 v8, 8, v11
	v_and_b32_sdwa v7, v7, s4 dst_sel:DWORD dst_unused:UNUSED_PAD src0_sel:WORD_1 src1_sel:DWORD
	v_or_b32_sdwa v7, v7, v8 dst_sel:WORD_1 dst_unused:UNUSED_PAD src0_sel:DWORD src1_sel:DWORD
	v_or_b32_sdwa v8, v6, v7 dst_sel:DWORD dst_unused:UNUSED_PAD src0_sel:WORD_0 src1_sel:DWORD
	v_mov_b32_e32 v6, 8
	v_cndmask_b32_e64 v12, 0, 1, s[8:9]
	v_lshrrev_b32_sdwa v6, v6, v9 dst_sel:BYTE_1 dst_unused:UNUSED_PAD src0_sel:DWORD src1_sel:DWORD
	v_lshlrev_b16_e32 v7, 8, v10
	v_or_b32_sdwa v6, v9, v6 dst_sel:DWORD dst_unused:UNUSED_PAD src0_sel:BYTE_0 src1_sel:DWORD
	v_or_b32_sdwa v7, v12, v7 dst_sel:WORD_1 dst_unused:UNUSED_PAD src0_sel:DWORD src1_sel:DWORD
	v_or_b32_sdwa v6, v6, v7 dst_sel:DWORD dst_unused:UNUSED_PAD src0_sel:WORD_0 src1_sel:DWORD
.LBB875_95:
	s_or_b64 exec, exec, s[6:7]
	v_add_u32_e32 v7, 10, v35
	v_cmp_le_u32_e32 vcc, s16, v7
	v_lshrrev_b32_e32 v9, 24, v8
                                        ; implicit-def: $vgpr39
                                        ; implicit-def: $vgpr7
	s_and_saveexec_b64 s[4:5], vcc
	s_xor_b64 s[4:5], exec, s[4:5]
	s_cbranch_execz .LBB875_97
; %bb.96:
	s_mov_b32 s6, 0x40c0100
	v_perm_b32 v7, v9, v8, s6
	v_mov_b32_e32 v8, 8
	v_lshrrev_b32_sdwa v8, v8, v7 dst_sel:BYTE_1 dst_unused:UNUSED_PAD src0_sel:DWORD src1_sel:DWORD
	v_or_b32_sdwa v8, v7, v8 dst_sel:DWORD dst_unused:UNUSED_PAD src0_sel:BYTE_0 src1_sel:DWORD
	v_and_b32_e32 v8, 0xffff, v8
	s_mov_b32 s6, 0xff000000
	v_and_or_b32 v7, v7, s6, v8
	s_mov_b32 s6, 0x3060504
	v_and_b32_e32 v10, 0xff0000, v6
	v_perm_b32 v5, v5, v5, s6
	s_mov_b32 s6, 0x3020504
	v_perm_b32 v39, v6, v10, s6
                                        ; implicit-def: $vgpr8
                                        ; implicit-def: $vgpr9
                                        ; implicit-def: $vgpr6
.LBB875_97:
	s_andn2_saveexec_b64 s[6:7], s[4:5]
	s_cbranch_execz .LBB875_101
; %bb.98:
	v_add_u32_e32 v7, s37, v13
	v_add_u32_e32 v10, s39, v13
	v_mul_lo_u32 v7, v7, s36
	v_mul_lo_u32 v10, v10, s38
	s_mov_b64 s[8:9], 0
	v_sub_u32_e32 v7, v7, v10
	v_cmp_lt_u32_e32 vcc, s40, v7
	v_cmp_ge_u32_e64 s[4:5], s40, v7
	s_and_saveexec_b64 s[10:11], s[4:5]
	s_cbranch_execz .LBB875_100
; %bb.99:
	v_add_u32_e32 v7, s42, v13
	v_add_u32_e32 v10, s56, v13
	v_mul_lo_u32 v7, v7, s41
	v_mul_lo_u32 v10, v10, s43
	v_sub_u32_e32 v7, v7, v10
	v_cmp_lt_u32_e64 s[4:5], s57, v7
	s_and_b64 s[8:9], s[4:5], exec
.LBB875_100:
	s_or_b64 exec, exec, s[10:11]
	v_mov_b32_e32 v11, 8
	v_cndmask_b32_e64 v7, 0, 1, vcc
	v_lshrrev_b32_sdwa v12, v11, v8 dst_sel:BYTE_1 dst_unused:UNUSED_PAD src0_sel:DWORD src1_sel:DWORD
	v_lshlrev_b16_e32 v9, 8, v9
	v_or_b32_sdwa v8, v8, v12 dst_sel:DWORD dst_unused:UNUSED_PAD src0_sel:BYTE_0 src1_sel:DWORD
	v_or_b32_sdwa v7, v7, v9 dst_sel:WORD_1 dst_unused:UNUSED_PAD src0_sel:DWORD src1_sel:DWORD
	v_cndmask_b32_e64 v10, 0, 1, s[8:9]
	s_movk_i32 s4, 0xff
	v_or_b32_sdwa v7, v8, v7 dst_sel:DWORD dst_unused:UNUSED_PAD src0_sel:WORD_0 src1_sel:DWORD
	v_lshrrev_b32_sdwa v8, v11, v6 dst_sel:BYTE_1 dst_unused:UNUSED_PAD src0_sel:DWORD src1_sel:DWORD
	v_or_b32_sdwa v8, v6, v8 dst_sel:DWORD dst_unused:UNUSED_PAD src0_sel:BYTE_0 src1_sel:DWORD
	v_lshlrev_b16_e32 v9, 8, v10
	v_and_b32_sdwa v6, v6, s4 dst_sel:DWORD dst_unused:UNUSED_PAD src0_sel:WORD_1 src1_sel:DWORD
	v_or_b32_sdwa v6, v6, v9 dst_sel:WORD_1 dst_unused:UNUSED_PAD src0_sel:DWORD src1_sel:DWORD
	v_or_b32_sdwa v39, v8, v6 dst_sel:DWORD dst_unused:UNUSED_PAD src0_sel:WORD_0 src1_sel:DWORD
.LBB875_101:
	s_or_b64 exec, exec, s[6:7]
	v_add_u32_e32 v6, 11, v35
	v_mov_b32_e32 v40, 0
	v_cmp_le_u32_e32 vcc, s16, v6
                                        ; implicit-def: $vgpr41
	s_and_saveexec_b64 s[4:5], vcc
	s_xor_b64 s[4:5], exec, s[4:5]
; %bb.102:
	v_and_b32_e32 v6, 0xff0000, v7
	s_mov_b32 s6, 0x3020504
	v_perm_b32 v41, v7, v6, s6
	s_mov_b32 s6, 0x3060504
	v_perm_b32 v5, v5, v5, s6
                                        ; implicit-def: $vgpr7
; %bb.103:
	s_andn2_saveexec_b64 s[6:7], s[4:5]
	s_cbranch_execz .LBB875_107
; %bb.104:
	v_add_u32_e32 v6, s37, v14
	v_add_u32_e32 v8, s39, v14
	v_mul_lo_u32 v6, v6, s36
	v_mul_lo_u32 v8, v8, s38
	s_mov_b64 s[8:9], 0
	v_sub_u32_e32 v6, v6, v8
	v_cmp_lt_u32_e32 vcc, s40, v6
	v_cmp_ge_u32_e64 s[4:5], s40, v6
	s_and_saveexec_b64 s[10:11], s[4:5]
	s_cbranch_execz .LBB875_106
; %bb.105:
	v_add_u32_e32 v6, s42, v14
	v_add_u32_e32 v8, s56, v14
	v_mul_lo_u32 v6, v6, s41
	v_mul_lo_u32 v8, v8, s43
	v_sub_u32_e32 v6, v6, v8
	v_cmp_lt_u32_e64 s[4:5], s57, v6
	s_and_b64 s[8:9], s[4:5], exec
.LBB875_106:
	s_or_b64 exec, exec, s[10:11]
	v_mov_b32_e32 v8, 8
	v_cndmask_b32_e64 v6, 0, 1, vcc
	s_movk_i32 s4, 0xff
	v_lshrrev_b32_sdwa v8, v8, v7 dst_sel:BYTE_1 dst_unused:UNUSED_PAD src0_sel:DWORD src1_sel:DWORD
	v_or_b32_sdwa v8, v7, v8 dst_sel:DWORD dst_unused:UNUSED_PAD src0_sel:BYTE_0 src1_sel:DWORD
	v_lshlrev_b16_e32 v6, 8, v6
	v_and_b32_sdwa v7, v7, s4 dst_sel:DWORD dst_unused:UNUSED_PAD src0_sel:WORD_1 src1_sel:DWORD
	v_or_b32_sdwa v6, v7, v6 dst_sel:WORD_1 dst_unused:UNUSED_PAD src0_sel:DWORD src1_sel:DWORD
	v_cndmask_b32_e64 v40, 0, 1, s[8:9]
	v_or_b32_sdwa v41, v8, v6 dst_sel:DWORD dst_unused:UNUSED_PAD src0_sel:WORD_0 src1_sel:DWORD
.LBB875_107:
	s_or_b64 exec, exec, s[6:7]
	v_add_u32_e32 v6, 12, v35
	v_cmp_le_u32_e32 vcc, s16, v6
	v_lshrrev_b32_e32 v6, 24, v5
                                        ; implicit-def: $vgpr42
	s_and_saveexec_b64 s[4:5], vcc
	s_xor_b64 s[4:5], exec, s[4:5]
; %bb.108:
	s_movk_i32 s6, 0xff
	v_lshlrev_b16_e32 v6, 8, v6
	v_and_b32_sdwa v8, v5, s6 dst_sel:DWORD dst_unused:UNUSED_PAD src0_sel:WORD_1 src1_sel:DWORD
	v_mov_b32_e32 v7, 8
	v_or_b32_sdwa v42, v8, v6 dst_sel:WORD_1 dst_unused:UNUSED_PAD src0_sel:DWORD src1_sel:DWORD
	v_lshrrev_b32_sdwa v42, v7, v5 dst_sel:BYTE_1 dst_unused:UNUSED_PRESERVE src0_sel:DWORD src1_sel:DWORD
                                        ; implicit-def: $vgpr6
                                        ; implicit-def: $vgpr5
; %bb.109:
	s_or_saveexec_b64 s[6:7], s[4:5]
	v_mov_b32_e32 v43, 0
	s_xor_b64 exec, exec, s[6:7]
	s_cbranch_execz .LBB875_113
; %bb.110:
	v_add_u32_e32 v7, s37, v34
	v_add_u32_e32 v8, s39, v34
	v_mul_lo_u32 v7, v7, s36
	v_mul_lo_u32 v8, v8, s38
	s_mov_b64 s[8:9], 0
	v_sub_u32_e32 v7, v7, v8
	v_cmp_lt_u32_e32 vcc, s40, v7
	v_cmp_ge_u32_e64 s[4:5], s40, v7
	s_and_saveexec_b64 s[10:11], s[4:5]
	s_cbranch_execz .LBB875_112
; %bb.111:
	v_add_u32_e32 v7, s42, v34
	v_add_u32_e32 v8, s56, v34
	v_mul_lo_u32 v7, v7, s41
	v_mul_lo_u32 v8, v8, s43
	v_sub_u32_e32 v7, v7, v8
	v_cmp_lt_u32_e64 s[4:5], s57, v7
	s_and_b64 s[8:9], s[4:5], exec
.LBB875_112:
	s_or_b64 exec, exec, s[10:11]
	s_movk_i32 s4, 0xff
	v_lshlrev_b16_e32 v6, 8, v6
	v_and_b32_sdwa v8, v5, s4 dst_sel:DWORD dst_unused:UNUSED_PAD src0_sel:WORD_1 src1_sel:DWORD
	v_or_b32_sdwa v6, v8, v6 dst_sel:WORD_1 dst_unused:UNUSED_PAD src0_sel:DWORD src1_sel:DWORD
	v_mov_b32_e32 v8, 8
	v_cndmask_b32_e64 v7, 0, 1, vcc
	v_lshrrev_b32_sdwa v5, v8, v5 dst_sel:BYTE_1 dst_unused:UNUSED_PAD src0_sel:DWORD src1_sel:DWORD
	v_or_b32_e32 v5, v7, v5
	v_cndmask_b32_e64 v43, 0, 1, s[8:9]
	v_or_b32_sdwa v42, v5, v6 dst_sel:DWORD dst_unused:UNUSED_PAD src0_sel:WORD_0 src1_sel:DWORD
.LBB875_113:
	s_or_b64 exec, exec, s[6:7]
.LBB875_114:
	v_and_b32_e32 v53, 0xff, v36
	v_bfe_u32 v50, v36, 8, 8
	v_bfe_u32 v55, v36, 16, 8
	v_lshrrev_b32_e32 v48, 24, v36
	v_and_b32_e32 v56, 0xff, v38
	v_add3_u32 v8, v50, v53, v55
	v_bfe_u32 v51, v38, 8, 8
	v_bfe_u32 v58, v38, 16, 8
	v_add3_u32 v8, v8, v48, v56
	v_bfe_u32 v54, v42, 8, 8
	v_bfe_u32 v62, v42, 16, 8
	v_lshrrev_b32_e32 v49, 24, v42
	v_lshrrev_b32_e32 v46, 24, v38
	v_and_b32_e32 v59, 0xff, v41
	v_add3_u32 v8, v8, v51, v58
	v_and_b32_e32 v63, 0xff, v37
	v_bfe_u32 v57, v37, 8, 8
	v_bfe_u32 v52, v41, 8, 8
	;; [unrolled: 1-line block ×3, first 2 shown]
	v_add3_u32 v7, v62, v54, v49
	v_add3_u32 v8, v8, v46, v59
	v_bfe_u32 v64, v37, 16, 8
	v_lshrrev_b32_e32 v47, 24, v37
	v_lshrrev_b32_e32 v44, 24, v41
	v_and_b32_e32 v5, 0xff, v42
	v_add3_u32 v7, v7, v63, v57
	v_add3_u32 v8, v8, v52, v61
	v_and_b32_e32 v65, 0xff, v39
	v_bfe_u32 v60, v39, 8, 8
	v_add3_u32 v7, v7, v64, v47
	v_add3_u32 v73, v8, v44, v5
	v_mbcnt_lo_u32_b32 v5, -1, 0
	v_bfe_u32 v66, v39, 16, 8
	v_lshrrev_b32_e32 v45, 24, v39
	v_add3_u32 v7, v7, v65, v60
	v_mbcnt_hi_u32_b32 v68, -1, v5
	v_and_b32_e32 v67, 0xff, v40
	v_and_b32_e32 v6, 0xff, v43
	v_add3_u32 v7, v7, v66, v45
	v_and_b32_e32 v72, 15, v68
	s_cmp_lg_u32 s33, 0
	v_add3_u32 v74, v7, v67, v6
	v_cmp_eq_u32_e64 s[6:7], 0, v72
	v_cmp_lt_u32_e64 s[4:5], 1, v72
	v_cmp_lt_u32_e64 s[10:11], 3, v72
	;; [unrolled: 1-line block ×3, first 2 shown]
	v_and_b32_e32 v71, 16, v68
	v_cmp_lt_u32_e32 vcc, 31, v68
	v_lshrrev_b32_e32 v69, 6, v0
	v_or_b32_e32 v70, 63, v0
	s_cbranch_scc0 .LBB875_136
; %bb.115:
	v_mov_b32_dpp v5, v73 row_shr:1 row_mask:0xf bank_mask:0xf
	v_mov_b32_dpp v6, v74 row_shr:1 row_mask:0xf bank_mask:0xf
	v_add_u32_e32 v5, v5, v73
	v_add_u32_e32 v6, v6, v74
	v_cndmask_b32_e64 v6, v6, v74, s[6:7]
	v_cndmask_b32_e64 v5, v5, v73, s[6:7]
	s_nop 0
	v_mov_b32_dpp v8, v6 row_shr:2 row_mask:0xf bank_mask:0xf
	v_mov_b32_dpp v7, v5 row_shr:2 row_mask:0xf bank_mask:0xf
	v_add_u32_e32 v7, v5, v7
	v_add_u32_e32 v8, v6, v8
	v_cndmask_b32_e64 v6, v6, v8, s[4:5]
	v_cndmask_b32_e64 v5, v5, v7, s[4:5]
	s_nop 0
	;; [unrolled: 7-line block ×3, first 2 shown]
	v_mov_b32_dpp v8, v6 row_shr:8 row_mask:0xf bank_mask:0xf
	v_mov_b32_dpp v7, v5 row_shr:8 row_mask:0xf bank_mask:0xf
	v_add_u32_e32 v7, v5, v7
	v_add_u32_e32 v8, v6, v8
	v_cndmask_b32_e64 v6, v6, v8, s[8:9]
	v_cndmask_b32_e64 v7, v5, v7, s[8:9]
	v_cmp_eq_u32_e64 s[8:9], 0, v71
	v_mov_b32_dpp v8, v6 row_bcast:15 row_mask:0xf bank_mask:0xf
	v_mov_b32_dpp v5, v7 row_bcast:15 row_mask:0xf bank_mask:0xf
	v_add_u32_e32 v9, v7, v5
	v_add_u32_e32 v5, v6, v8
	v_cndmask_b32_e64 v5, v5, v6, s[8:9]
	v_cndmask_b32_e64 v6, v9, v7, s[8:9]
	v_cmp_eq_u32_e64 s[8:9], v0, v70
	v_mov_b32_dpp v7, v5 row_bcast:31 row_mask:0xf bank_mask:0xf
	v_mov_b32_dpp v8, v6 row_bcast:31 row_mask:0xf bank_mask:0xf
	v_add_u32_e32 v7, v5, v7
	v_add_u32_e32 v8, v6, v8
	s_and_saveexec_b64 s[10:11], s[8:9]
; %bb.116:
	v_lshlrev_b32_e32 v11, 3, v69
	v_cndmask_b32_e32 v10, v5, v7, vcc
	v_cndmask_b32_e32 v9, v6, v8, vcc
	ds_write_b64 v11, v[9:10]
; %bb.117:
	s_or_b64 exec, exec, s[10:11]
	v_cmp_gt_u32_e64 s[8:9], 4, v0
	s_waitcnt lgkmcnt(0)
	s_barrier
	s_and_saveexec_b64 s[10:11], s[8:9]
	s_cbranch_execz .LBB875_119
; %bb.118:
	v_lshlrev_b32_e32 v11, 3, v0
	ds_read_b64 v[9:10], v11
	v_and_b32_e32 v12, 3, v68
	v_cmp_eq_u32_e64 s[8:9], 0, v12
	s_waitcnt lgkmcnt(0)
	v_mov_b32_dpp v25, v9 row_shr:1 row_mask:0xf bank_mask:0xf
	v_mov_b32_dpp v26, v10 row_shr:1 row_mask:0xf bank_mask:0xf
	v_add_u32_e32 v25, v25, v9
	v_add_u32_e32 v26, v26, v10
	v_cndmask_b32_e64 v10, v26, v10, s[8:9]
	v_cndmask_b32_e64 v9, v25, v9, s[8:9]
	v_cmp_lt_u32_e64 s[8:9], 1, v12
	v_mov_b32_dpp v26, v10 row_shr:2 row_mask:0xf bank_mask:0xf
	v_mov_b32_dpp v25, v9 row_shr:2 row_mask:0xf bank_mask:0xf
	v_cndmask_b32_e64 v12, 0, v25, s[8:9]
	v_cndmask_b32_e64 v25, 0, v26, s[8:9]
	v_add_u32_e32 v10, v25, v10
	v_add_u32_e32 v9, v12, v9
	ds_write_b64 v11, v[9:10]
.LBB875_119:
	s_or_b64 exec, exec, s[10:11]
	v_cndmask_b32_e32 v5, v5, v7, vcc
	v_cndmask_b32_e32 v6, v6, v8, vcc
	v_cmp_gt_u32_e32 vcc, 64, v0
	v_cmp_lt_u32_e64 s[8:9], 63, v0
	s_waitcnt lgkmcnt(0)
	s_barrier
                                        ; implicit-def: $vgpr25
	s_and_saveexec_b64 s[10:11], s[8:9]
	s_cbranch_execz .LBB875_121
; %bb.120:
	v_lshl_add_u32 v7, v69, 3, -8
	ds_read_b64 v[25:26], v7
	s_waitcnt lgkmcnt(0)
	v_add_u32_e32 v5, v26, v5
	v_add_u32_e32 v6, v25, v6
.LBB875_121:
	s_or_b64 exec, exec, s[10:11]
	v_subrev_co_u32_e64 v7, s[8:9], 1, v68
	v_and_b32_e32 v8, 64, v68
	v_cmp_lt_i32_e64 s[10:11], v7, v8
	v_cndmask_b32_e64 v7, v7, v68, s[10:11]
	v_lshlrev_b32_e32 v7, 2, v7
	ds_bpermute_b32 v75, v7, v6
	ds_bpermute_b32 v76, v7, v5
	s_and_saveexec_b64 s[10:11], vcc
	s_cbranch_execz .LBB875_141
; %bb.122:
	v_mov_b32_e32 v8, 0
	ds_read_b64 v[5:6], v8 offset:24
	s_and_saveexec_b64 s[12:13], s[8:9]
	s_cbranch_execz .LBB875_124
; %bb.123:
	s_add_i32 s14, s33, 64
	s_mov_b32 s15, 0
	s_lshl_b64 s[14:15], s[14:15], 4
	s_add_u32 s14, s54, s14
	s_addc_u32 s15, s55, s15
	v_mov_b32_e32 v9, s14
	v_mov_b32_e32 v7, 1
	;; [unrolled: 1-line block ×3, first 2 shown]
	s_waitcnt lgkmcnt(0)
	;;#ASMSTART
	global_store_dwordx4 v[9:10], v[5:8] off	
s_waitcnt vmcnt(0)
	;;#ASMEND
.LBB875_124:
	s_or_b64 exec, exec, s[12:13]
	v_xad_u32 v27, v68, -1, s33
	v_add_u32_e32 v7, 64, v27
	v_lshlrev_b64 v[9:10], 4, v[7:8]
	v_mov_b32_e32 v7, s55
	v_add_co_u32_e32 v28, vcc, s54, v9
	v_addc_co_u32_e32 v29, vcc, v7, v10, vcc
	;;#ASMSTART
	global_load_dwordx4 v[9:12], v[28:29] off glc	
s_waitcnt vmcnt(0)
	;;#ASMEND
	v_cmp_eq_u16_sdwa s[14:15], v11, v8 src0_sel:BYTE_0 src1_sel:DWORD
	s_and_saveexec_b64 s[12:13], s[14:15]
	s_cbranch_execz .LBB875_128
; %bb.125:
	s_mov_b64 s[14:15], 0
	v_mov_b32_e32 v7, 0
.LBB875_126:                            ; =>This Inner Loop Header: Depth=1
	;;#ASMSTART
	global_load_dwordx4 v[9:12], v[28:29] off glc	
s_waitcnt vmcnt(0)
	;;#ASMEND
	v_cmp_ne_u16_sdwa s[18:19], v11, v7 src0_sel:BYTE_0 src1_sel:DWORD
	s_or_b64 s[14:15], s[18:19], s[14:15]
	s_andn2_b64 exec, exec, s[14:15]
	s_cbranch_execnz .LBB875_126
; %bb.127:
	s_or_b64 exec, exec, s[14:15]
.LBB875_128:
	s_or_b64 exec, exec, s[12:13]
	v_and_b32_e32 v78, 63, v68
	v_cmp_ne_u32_e32 vcc, 63, v78
	v_mov_b32_e32 v77, 2
	v_lshlrev_b64 v[29:30], v68, -1
	v_addc_co_u32_e32 v12, vcc, 0, v68, vcc
	v_cmp_eq_u16_sdwa s[12:13], v11, v77 src0_sel:BYTE_0 src1_sel:DWORD
	v_lshlrev_b32_e32 v79, 2, v12
	v_and_b32_e32 v7, s13, v30
	ds_bpermute_b32 v12, v79, v9
	ds_bpermute_b32 v28, v79, v10
	v_or_b32_e32 v7, 0x80000000, v7
	v_and_b32_e32 v8, s12, v29
	v_ffbl_b32_e32 v7, v7
	v_add_u32_e32 v7, 32, v7
	v_ffbl_b32_e32 v8, v8
	v_min_u32_e32 v7, v8, v7
	s_waitcnt lgkmcnt(1)
	v_add_u32_e32 v8, v12, v9
	s_waitcnt lgkmcnt(0)
	v_add_u32_e32 v12, v28, v10
	v_cmp_lt_u32_e32 vcc, v78, v7
	v_cndmask_b32_e32 v10, v10, v12, vcc
	v_cndmask_b32_e32 v8, v9, v8, vcc
	v_cmp_gt_u32_e32 vcc, 62, v78
	v_cndmask_b32_e64 v9, 0, 2, vcc
	v_add_lshl_u32 v80, v9, v68, 2
	ds_bpermute_b32 v9, v80, v8
	ds_bpermute_b32 v12, v80, v10
	v_add_u32_e32 v81, 2, v78
	v_cmp_gt_u32_e32 vcc, v81, v7
	v_add_u32_e32 v83, 4, v78
	s_waitcnt lgkmcnt(1)
	v_add_u32_e32 v9, v8, v9
	s_waitcnt lgkmcnt(0)
	v_add_u32_e32 v12, v10, v12
	v_cndmask_b32_e32 v10, v12, v10, vcc
	v_cndmask_b32_e32 v8, v9, v8, vcc
	v_cmp_gt_u32_e32 vcc, 60, v78
	v_cndmask_b32_e64 v9, 0, 4, vcc
	v_add_lshl_u32 v82, v9, v68, 2
	ds_bpermute_b32 v9, v82, v8
	ds_bpermute_b32 v12, v82, v10
	v_cmp_gt_u32_e32 vcc, v83, v7
	v_add_u32_e32 v85, 8, v78
	v_add_u32_e32 v87, 16, v78
	s_waitcnt lgkmcnt(1)
	v_add_u32_e32 v9, v8, v9
	s_waitcnt lgkmcnt(0)
	v_add_u32_e32 v12, v10, v12
	v_cndmask_b32_e32 v10, v12, v10, vcc
	v_cndmask_b32_e32 v8, v9, v8, vcc
	v_cmp_gt_u32_e32 vcc, 56, v78
	v_cndmask_b32_e64 v9, 0, 8, vcc
	v_add_lshl_u32 v84, v9, v68, 2
	ds_bpermute_b32 v9, v84, v8
	ds_bpermute_b32 v12, v84, v10
	v_cmp_gt_u32_e32 vcc, v85, v7
	v_add_u32_e32 v89, 32, v78
	v_mov_b32_e32 v28, 0
	s_waitcnt lgkmcnt(1)
	v_add_u32_e32 v9, v8, v9
	s_waitcnt lgkmcnt(0)
	v_add_u32_e32 v12, v10, v12
	v_cndmask_b32_e32 v10, v12, v10, vcc
	v_cndmask_b32_e32 v8, v9, v8, vcc
	v_cmp_gt_u32_e32 vcc, 48, v78
	v_cndmask_b32_e64 v9, 0, 16, vcc
	v_add_lshl_u32 v86, v9, v68, 2
	ds_bpermute_b32 v9, v86, v8
	ds_bpermute_b32 v12, v86, v10
	v_cmp_gt_u32_e32 vcc, v87, v7
	s_waitcnt lgkmcnt(1)
	v_add_u32_e32 v9, v8, v9
	s_waitcnt lgkmcnt(0)
	v_add_u32_e32 v12, v10, v12
	v_cndmask_b32_e32 v8, v9, v8, vcc
	v_mov_b32_e32 v9, 0x80
	v_cndmask_b32_e32 v10, v12, v10, vcc
	v_lshl_or_b32 v88, v68, 2, v9
	ds_bpermute_b32 v9, v88, v8
	ds_bpermute_b32 v12, v88, v10
	v_cmp_le_u32_e32 vcc, v89, v7
	s_waitcnt lgkmcnt(1)
	v_cndmask_b32_e32 v7, 0, v9, vcc
	s_waitcnt lgkmcnt(0)
	v_cndmask_b32_e32 v9, 0, v12, vcc
	v_add_u32_e32 v10, v10, v9
	v_add_u32_e32 v9, v8, v7
	s_branch .LBB875_132
.LBB875_129:                            ;   in Loop: Header=BB875_132 Depth=1
	s_or_b64 exec, exec, s[14:15]
.LBB875_130:                            ;   in Loop: Header=BB875_132 Depth=1
	s_or_b64 exec, exec, s[12:13]
	v_cmp_eq_u16_sdwa s[12:13], v11, v77 src0_sel:BYTE_0 src1_sel:DWORD
	v_and_b32_e32 v12, s13, v30
	ds_bpermute_b32 v32, v79, v9
	ds_bpermute_b32 v90, v79, v10
	v_or_b32_e32 v12, 0x80000000, v12
	v_and_b32_e32 v31, s12, v29
	v_ffbl_b32_e32 v12, v12
	v_add_u32_e32 v12, 32, v12
	v_ffbl_b32_e32 v31, v31
	v_min_u32_e32 v12, v31, v12
	s_waitcnt lgkmcnt(1)
	v_add_u32_e32 v31, v32, v9
	s_waitcnt lgkmcnt(0)
	v_add_u32_e32 v32, v90, v10
	v_cmp_lt_u32_e32 vcc, v78, v12
	v_cndmask_b32_e32 v10, v10, v32, vcc
	v_cndmask_b32_e32 v9, v9, v31, vcc
	ds_bpermute_b32 v31, v80, v9
	ds_bpermute_b32 v32, v80, v10
	v_cmp_gt_u32_e32 vcc, v81, v12
	v_subrev_u32_e32 v27, 64, v27
	s_mov_b64 s[12:13], 0
	s_waitcnt lgkmcnt(1)
	v_add_u32_e32 v31, v9, v31
	s_waitcnt lgkmcnt(0)
	v_add_u32_e32 v32, v10, v32
	v_cndmask_b32_e32 v10, v32, v10, vcc
	v_cndmask_b32_e32 v9, v31, v9, vcc
	ds_bpermute_b32 v31, v82, v9
	ds_bpermute_b32 v32, v82, v10
	v_cmp_gt_u32_e32 vcc, v83, v12
	s_waitcnt lgkmcnt(1)
	v_add_u32_e32 v31, v9, v31
	s_waitcnt lgkmcnt(0)
	v_add_u32_e32 v32, v10, v32
	v_cndmask_b32_e32 v10, v32, v10, vcc
	v_cndmask_b32_e32 v9, v31, v9, vcc
	ds_bpermute_b32 v31, v84, v9
	ds_bpermute_b32 v32, v84, v10
	v_cmp_gt_u32_e32 vcc, v85, v12
	;; [unrolled: 9-line block ×3, first 2 shown]
	s_waitcnt lgkmcnt(1)
	v_add_u32_e32 v31, v9, v31
	s_waitcnt lgkmcnt(0)
	v_add_u32_e32 v32, v10, v32
	v_cndmask_b32_e32 v10, v32, v10, vcc
	v_cndmask_b32_e32 v9, v31, v9, vcc
	ds_bpermute_b32 v31, v88, v9
	ds_bpermute_b32 v32, v88, v10
	v_cmp_le_u32_e32 vcc, v89, v12
	s_waitcnt lgkmcnt(1)
	v_cndmask_b32_e32 v12, 0, v31, vcc
	s_waitcnt lgkmcnt(0)
	v_cndmask_b32_e32 v31, 0, v32, vcc
	v_add3_u32 v10, v31, v8, v10
	v_add3_u32 v9, v12, v7, v9
.LBB875_131:                            ;   in Loop: Header=BB875_132 Depth=1
	s_and_b64 vcc, exec, s[12:13]
	s_cbranch_vccnz .LBB875_137
.LBB875_132:                            ; =>This Loop Header: Depth=1
                                        ;     Child Loop BB875_135 Depth 2
	v_mov_b32_e32 v7, v9
	v_cmp_ne_u16_sdwa s[12:13], v11, v77 src0_sel:BYTE_0 src1_sel:DWORD
	v_mov_b32_e32 v8, v10
	s_cmp_lg_u64 s[12:13], exec
	s_mov_b64 s[12:13], -1
                                        ; implicit-def: $vgpr11
                                        ; implicit-def: $vgpr9_vgpr10
	s_cbranch_scc1 .LBB875_131
; %bb.133:                              ;   in Loop: Header=BB875_132 Depth=1
	v_lshlrev_b64 v[9:10], 4, v[27:28]
	v_mov_b32_e32 v11, s55
	v_add_co_u32_e32 v31, vcc, s54, v9
	v_addc_co_u32_e32 v32, vcc, v11, v10, vcc
	;;#ASMSTART
	global_load_dwordx4 v[9:12], v[31:32] off glc	
s_waitcnt vmcnt(0)
	;;#ASMEND
	v_cmp_eq_u16_sdwa s[14:15], v11, v28 src0_sel:BYTE_0 src1_sel:DWORD
	s_and_saveexec_b64 s[12:13], s[14:15]
	s_cbranch_execz .LBB875_130
; %bb.134:                              ;   in Loop: Header=BB875_132 Depth=1
	s_mov_b64 s[14:15], 0
.LBB875_135:                            ;   Parent Loop BB875_132 Depth=1
                                        ; =>  This Inner Loop Header: Depth=2
	;;#ASMSTART
	global_load_dwordx4 v[9:12], v[31:32] off glc	
s_waitcnt vmcnt(0)
	;;#ASMEND
	v_cmp_ne_u16_sdwa s[18:19], v11, v28 src0_sel:BYTE_0 src1_sel:DWORD
	s_or_b64 s[14:15], s[18:19], s[14:15]
	s_andn2_b64 exec, exec, s[14:15]
	s_cbranch_execnz .LBB875_135
	s_branch .LBB875_129
.LBB875_136:
                                        ; implicit-def: $vgpr12
                                        ; implicit-def: $vgpr7
                                        ; implicit-def: $vgpr25
	s_cbranch_execnz .LBB875_142
	s_branch .LBB875_151
.LBB875_137:
	s_and_saveexec_b64 s[12:13], s[8:9]
	s_cbranch_execnz .LBB875_379
; %bb.138:
	s_or_b64 exec, exec, s[12:13]
	s_and_saveexec_b64 s[12:13], s[8:9]
	s_cbranch_execnz .LBB875_380
.LBB875_139:
	s_or_b64 exec, exec, s[12:13]
	s_and_b64 exec, exec, s[0:1]
.LBB875_140:
	v_mov_b32_e32 v5, 0
	ds_write_b64 v5, v[7:8] offset:24
.LBB875_141:
	s_or_b64 exec, exec, s[10:11]
	v_mov_b32_e32 v5, 0
	s_waitcnt lgkmcnt(0)
	s_barrier
	ds_read_b64 v[9:10], v5 offset:24
	v_cndmask_b32_e64 v6, v75, v25, s[8:9]
	s_waitcnt lgkmcnt(0)
	s_barrier
	v_add_u32_e32 v25, v9, v6
	ds_read_b128 v[5:8], v5 offset:13312
	v_cndmask_b32_e64 v11, v76, v26, s[8:9]
	v_add_u32_e32 v11, v10, v11
	v_cndmask_b32_e64 v12, v11, v10, s[0:1]
	v_cndmask_b32_e64 v25, v25, v9, s[0:1]
	s_branch .LBB875_151
.LBB875_142:
	s_waitcnt lgkmcnt(0)
	v_mov_b32_dpp v5, v73 row_shr:1 row_mask:0xf bank_mask:0xf
	v_mov_b32_dpp v6, v74 row_shr:1 row_mask:0xf bank_mask:0xf
	v_add_u32_e32 v5, v5, v73
	v_add_u32_e32 v6, v6, v74
	v_cndmask_b32_e64 v6, v6, v74, s[6:7]
	v_cndmask_b32_e64 v5, v5, v73, s[6:7]
	v_cmp_lt_u32_e32 vcc, 3, v72
	v_mov_b32_dpp v8, v6 row_shr:2 row_mask:0xf bank_mask:0xf
	v_mov_b32_dpp v7, v5 row_shr:2 row_mask:0xf bank_mask:0xf
	v_add_u32_e32 v7, v5, v7
	v_add_u32_e32 v8, v6, v8
	v_cndmask_b32_e64 v6, v6, v8, s[4:5]
	v_cndmask_b32_e64 v5, v5, v7, s[4:5]
	v_cmp_eq_u32_e64 s[4:5], v0, v70
	v_mov_b32_dpp v8, v6 row_shr:4 row_mask:0xf bank_mask:0xf
	v_mov_b32_dpp v7, v5 row_shr:4 row_mask:0xf bank_mask:0xf
	v_add_u32_e32 v7, v5, v7
	v_add_u32_e32 v8, v6, v8
	v_cndmask_b32_e32 v6, v6, v8, vcc
	v_cndmask_b32_e32 v5, v5, v7, vcc
	v_cmp_lt_u32_e32 vcc, 7, v72
	v_mov_b32_dpp v8, v6 row_shr:8 row_mask:0xf bank_mask:0xf
	v_mov_b32_dpp v7, v5 row_shr:8 row_mask:0xf bank_mask:0xf
	v_add_u32_e32 v7, v5, v7
	v_add_u32_e32 v8, v6, v8
	v_cndmask_b32_e32 v6, v6, v8, vcc
	v_cndmask_b32_e32 v7, v5, v7, vcc
	v_cmp_eq_u32_e32 vcc, 0, v71
	v_mov_b32_dpp v8, v6 row_bcast:15 row_mask:0xf bank_mask:0xf
	v_mov_b32_dpp v5, v7 row_bcast:15 row_mask:0xf bank_mask:0xf
	v_add_u32_e32 v9, v7, v5
	v_add_u32_e32 v5, v6, v8
	v_cndmask_b32_e32 v5, v5, v6, vcc
	v_cndmask_b32_e32 v6, v9, v7, vcc
	v_cmp_lt_u32_e32 vcc, 31, v68
	v_mov_b32_dpp v7, v5 row_bcast:31 row_mask:0xf bank_mask:0xf
	v_mov_b32_dpp v8, v6 row_bcast:31 row_mask:0xf bank_mask:0xf
	v_add_u32_e32 v7, v5, v7
	v_add_u32_e32 v8, v6, v8
	s_and_saveexec_b64 s[6:7], s[4:5]
; %bb.143:
	v_cndmask_b32_e32 v9, v6, v8, vcc
	v_cndmask_b32_e32 v10, v5, v7, vcc
	v_lshlrev_b32_e32 v11, 3, v69
	ds_write_b64 v11, v[9:10]
; %bb.144:
	s_or_b64 exec, exec, s[6:7]
	v_cmp_gt_u32_e64 s[4:5], 4, v0
	s_waitcnt lgkmcnt(0)
	s_barrier
	s_and_saveexec_b64 s[6:7], s[4:5]
	s_cbranch_execz .LBB875_146
; %bb.145:
	v_lshlrev_b32_e32 v11, 3, v0
	ds_read_b64 v[9:10], v11
	v_and_b32_e32 v12, 3, v68
	v_cmp_eq_u32_e64 s[4:5], 0, v12
	s_waitcnt lgkmcnt(0)
	v_mov_b32_dpp v25, v9 row_shr:1 row_mask:0xf bank_mask:0xf
	v_mov_b32_dpp v26, v10 row_shr:1 row_mask:0xf bank_mask:0xf
	v_add_u32_e32 v25, v25, v9
	v_add_u32_e32 v26, v26, v10
	v_cndmask_b32_e64 v10, v26, v10, s[4:5]
	v_cndmask_b32_e64 v9, v25, v9, s[4:5]
	v_cmp_lt_u32_e64 s[4:5], 1, v12
	v_mov_b32_dpp v26, v10 row_shr:2 row_mask:0xf bank_mask:0xf
	v_mov_b32_dpp v25, v9 row_shr:2 row_mask:0xf bank_mask:0xf
	v_cndmask_b32_e64 v12, 0, v25, s[4:5]
	v_cndmask_b32_e64 v25, 0, v26, s[4:5]
	v_add_u32_e32 v10, v25, v10
	v_add_u32_e32 v9, v12, v9
	ds_write_b64 v11, v[9:10]
.LBB875_146:
	s_or_b64 exec, exec, s[6:7]
	v_cmp_lt_u32_e64 s[4:5], 63, v0
	v_mov_b32_e32 v11, 0
	v_mov_b32_e32 v9, 0
	;; [unrolled: 1-line block ×3, first 2 shown]
	s_waitcnt lgkmcnt(0)
	s_barrier
	s_and_saveexec_b64 s[6:7], s[4:5]
; %bb.147:
	v_lshl_add_u32 v9, v69, 3, -8
	ds_read_b64 v[9:10], v9
; %bb.148:
	s_or_b64 exec, exec, s[6:7]
	v_cndmask_b32_e32 v6, v6, v8, vcc
	v_cndmask_b32_e32 v5, v5, v7, vcc
	v_subrev_co_u32_e32 v7, vcc, 1, v68
	v_and_b32_e32 v8, 64, v68
	v_cmp_lt_i32_e64 s[4:5], v7, v8
	v_cndmask_b32_e64 v7, v7, v68, s[4:5]
	s_waitcnt lgkmcnt(0)
	v_add_u32_e32 v5, v10, v5
	v_add_u32_e32 v6, v9, v6
	v_lshlrev_b32_e32 v7, 2, v7
	ds_bpermute_b32 v12, v7, v6
	ds_bpermute_b32 v25, v7, v5
	ds_read_b64 v[5:6], v11 offset:24
	s_and_saveexec_b64 s[4:5], s[0:1]
	s_cbranch_execz .LBB875_150
; %bb.149:
	s_add_u32 s6, s54, 0x400
	s_addc_u32 s7, s55, 0
	v_mov_b32_e32 v27, s7
	v_mov_b32_e32 v7, 2
	v_mov_b32_e32 v8, 0
	v_mov_b32_e32 v26, s6
	s_waitcnt lgkmcnt(0)
	;;#ASMSTART
	global_store_dwordx4 v[26:27], v[5:8] off	
s_waitcnt vmcnt(0)
	;;#ASMEND
.LBB875_150:
	s_or_b64 exec, exec, s[4:5]
	s_waitcnt lgkmcnt(2)
	v_cndmask_b32_e32 v7, v12, v9, vcc
	s_waitcnt lgkmcnt(1)
	v_cndmask_b32_e32 v8, v25, v10, vcc
	v_cndmask_b32_e64 v12, v8, 0, s[0:1]
	v_cndmask_b32_e64 v25, v7, 0, s[0:1]
	v_mov_b32_e32 v8, 0
	v_mov_b32_e32 v7, 0
	s_waitcnt lgkmcnt(0)
	s_barrier
.LBB875_151:
	s_waitcnt lgkmcnt(0)
	v_add_co_u32_e32 v1, vcc, v1, v7
	v_addc_co_u32_e32 v2, vcc, 0, v2, vcc
	v_sub_co_u32_e32 v29, vcc, v3, v5
	v_add_u32_e32 v32, v12, v54
	v_subbrev_co_u32_e32 v30, vcc, 0, v4, vcc
	v_lshlrev_b32_e32 v72, 1, v5
	v_sub_u32_e32 v12, v12, v8
	v_lshrrev_b32_e32 v28, 8, v42
	v_add_u32_e32 v31, v25, v53
	v_add_co_u32_e32 v29, vcc, v29, v8
	v_add_u32_e32 v73, v72, v6
	v_sub_u32_e32 v25, v25, v7
	v_add_u32_e32 v12, v12, v5
	v_addc_co_u32_e32 v30, vcc, 0, v30, vcc
	v_add_u32_e32 v35, v73, v35
	v_and_b32_e32 v28, 1, v28
	v_add_u32_e32 v74, v25, v12
	v_and_b32_e32 v73, 1, v36
	v_sub_u32_e32 v74, v35, v74
	v_cmp_eq_u32_e32 vcc, 1, v28
	v_cndmask_b32_e32 v12, v74, v12, vcc
	v_cmp_eq_u32_e32 vcc, 1, v73
	v_cndmask_b32_e32 v12, v12, v25, vcc
	v_lshlrev_b32_e32 v12, 2, v12
	v_sub_u32_e32 v25, v32, v8
	v_lshrrev_b32_e32 v27, 8, v36
	ds_write_b32 v12, v23
	v_sub_u32_e32 v12, v31, v7
	v_add_u32_e32 v25, v25, v5
	v_add_u32_e32 v50, v31, v50
	v_and_b32_e32 v23, 1, v27
	v_mov_b32_e32 v27, 1
	v_add_u32_e32 v31, v25, v12
	v_and_b32_sdwa v28, v27, v42 dst_sel:DWORD dst_unused:UNUSED_PAD src0_sel:DWORD src1_sel:WORD_1
	v_sub_u32_e32 v31, v35, v31
	v_add_u32_e32 v31, 1, v31
	v_cmp_eq_u32_e32 vcc, 1, v28
	v_cndmask_b32_e32 v25, v31, v25, vcc
	v_cmp_eq_u32_e32 vcc, 1, v23
	v_cndmask_b32_e32 v12, v25, v12, vcc
	v_add_u32_e32 v53, v32, v62
	v_lshlrev_b32_e32 v12, 2, v12
	ds_write_b32 v12, v24
	v_sub_u32_e32 v24, v53, v8
	v_sub_u32_e32 v12, v50, v7
	v_add_u32_e32 v24, v24, v5
	v_add_u32_e32 v28, v24, v12
	v_and_b32_e32 v25, 1, v49
	v_sub_u32_e32 v28, v35, v28
	v_and_b32_sdwa v23, v27, v36 dst_sel:DWORD dst_unused:UNUSED_PAD src0_sel:DWORD src1_sel:WORD_1
	v_add_u32_e32 v28, 2, v28
	v_cmp_eq_u32_e32 vcc, 1, v25
	v_cndmask_b32_e32 v24, v28, v24, vcc
	v_cmp_eq_u32_e32 vcc, 1, v23
	v_add_u32_e32 v54, v50, v55
	v_add_u32_e32 v55, v53, v49
	v_cndmask_b32_e32 v12, v24, v12, vcc
	v_lshlrev_b32_e32 v12, 2, v12
	v_sub_u32_e32 v23, v55, v8
	ds_write_b32 v12, v21
	v_sub_u32_e32 v12, v54, v7
	v_add_u32_e32 v23, v23, v5
	v_add_u32_e32 v25, v12, v23
	v_and_b32_e32 v24, 1, v37
	v_sub_u32_e32 v25, v35, v25
	v_and_b32_e32 v21, 1, v48
	v_add_u32_e32 v25, 3, v25
	v_cmp_eq_u32_e32 vcc, 1, v24
	v_cndmask_b32_e32 v23, v25, v23, vcc
	v_cmp_eq_u32_e32 vcc, 1, v21
	v_cndmask_b32_e32 v12, v23, v12, vcc
	v_add_u32_e32 v62, v55, v63
	v_lshlrev_b32_e32 v12, 2, v12
	v_add_u32_e32 v63, v54, v48
	ds_write_b32 v12, v22
	v_sub_u32_e32 v22, v62, v8
	v_sub_u32_e32 v12, v63, v7
	v_add_u32_e32 v22, v22, v5
	v_lshrrev_b32_e32 v26, 8, v37
	v_add_u32_e32 v24, v12, v22
	v_and_b32_e32 v23, 1, v26
	v_sub_u32_e32 v24, v35, v24
	v_and_b32_e32 v21, 1, v38
	v_add_u32_e32 v24, 4, v24
	v_cmp_eq_u32_e32 vcc, 1, v23
	v_cndmask_b32_e32 v22, v24, v22, vcc
	v_cmp_eq_u32_e32 vcc, 1, v21
	v_cndmask_b32_e32 v12, v22, v12, vcc
	v_add_u32_e32 v57, v62, v57
	v_lshlrev_b32_e32 v12, 2, v12
	v_add_u32_e32 v56, v63, v56
	ds_write_b32 v12, v19
	v_sub_u32_e32 v19, v57, v8
	v_sub_u32_e32 v12, v56, v7
	v_add_u32_e32 v19, v19, v5
	v_add_u32_e32 v22, v12, v19
	v_lshrrev_b32_e32 v11, 8, v38
	v_and_b32_sdwa v21, v27, v37 dst_sel:DWORD dst_unused:UNUSED_PAD src0_sel:DWORD src1_sel:WORD_1
	v_sub_u32_e32 v22, v35, v22
	v_and_b32_e32 v11, 1, v11
	v_add_u32_e32 v22, 5, v22
	v_cmp_eq_u32_e32 vcc, 1, v21
	v_cndmask_b32_e32 v19, v22, v19, vcc
	v_cmp_eq_u32_e32 vcc, 1, v11
	v_add_u32_e32 v64, v57, v64
	v_cndmask_b32_e32 v11, v19, v12, vcc
	v_add_u32_e32 v51, v56, v51
	v_lshlrev_b32_e32 v11, 2, v11
	v_sub_u32_e32 v19, v64, v8
	ds_write_b32 v11, v20
	v_sub_u32_e32 v11, v51, v7
	v_add_u32_e32 v19, v19, v5
	v_add_u32_e32 v21, v11, v19
	v_and_b32_e32 v20, 1, v47
	v_sub_u32_e32 v21, v35, v21
	v_and_b32_sdwa v12, v27, v38 dst_sel:DWORD dst_unused:UNUSED_PAD src0_sel:DWORD src1_sel:WORD_1
	v_add_u32_e32 v21, 6, v21
	v_cmp_eq_u32_e32 vcc, 1, v20
	v_cndmask_b32_e32 v19, v21, v19, vcc
	v_cmp_eq_u32_e32 vcc, 1, v12
	v_cndmask_b32_e32 v11, v19, v11, vcc
	v_add_u32_e32 v68, v64, v47
	v_lshlrev_b32_e32 v11, 2, v11
	v_add_u32_e32 v58, v51, v58
	ds_write_b32 v11, v17
	v_sub_u32_e32 v17, v68, v8
	v_sub_u32_e32 v11, v58, v7
	v_add_u32_e32 v17, v17, v5
	v_add_u32_e32 v20, v11, v17
	v_and_b32_e32 v19, 1, v39
	v_sub_u32_e32 v20, v35, v20
	v_and_b32_e32 v12, 1, v46
	v_add_u32_e32 v20, 7, v20
	v_cmp_eq_u32_e32 vcc, 1, v19
	v_cndmask_b32_e32 v17, v20, v17, vcc
	v_cmp_eq_u32_e32 vcc, 1, v12
	v_add_u32_e32 v65, v68, v65
	v_cndmask_b32_e32 v11, v17, v11, vcc
	v_add_u32_e32 v69, v58, v46
	v_lshlrev_b32_e32 v11, 2, v11
	v_sub_u32_e32 v17, v65, v8
	ds_write_b32 v11, v18
	v_sub_u32_e32 v11, v69, v7
	v_add_u32_e32 v17, v17, v5
	v_lshrrev_b32_e32 v10, 8, v39
	v_add_u32_e32 v18, v11, v17
	v_and_b32_e32 v10, 1, v10
	v_sub_u32_e32 v18, v35, v18
	v_and_b32_e32 v12, 1, v41
	v_add_u32_e32 v18, 8, v18
	v_cmp_eq_u32_e32 vcc, 1, v10
	v_cndmask_b32_e32 v10, v18, v17, vcc
	v_cmp_eq_u32_e32 vcc, 1, v12
	v_add_u32_e32 v60, v65, v60
	v_cndmask_b32_e32 v10, v10, v11, vcc
	v_add_u32_e32 v59, v69, v59
	v_lshlrev_b32_e32 v10, 2, v10
	v_sub_u32_e32 v11, v60, v8
	ds_write_b32 v10, v15
	v_sub_u32_e32 v10, v59, v7
	v_add_u32_e32 v11, v11, v5
	v_add_u32_e32 v15, v10, v11
	v_lshrrev_b32_e32 v9, 8, v41
	v_and_b32_sdwa v12, v27, v39 dst_sel:DWORD dst_unused:UNUSED_PAD src0_sel:DWORD src1_sel:WORD_1
	v_sub_u32_e32 v15, v35, v15
	v_and_b32_e32 v9, 1, v9
	v_add_u32_e32 v15, 9, v15
	v_cmp_eq_u32_e32 vcc, 1, v12
	v_cndmask_b32_e32 v11, v15, v11, vcc
	v_cmp_eq_u32_e32 vcc, 1, v9
	v_add_u32_e32 v66, v60, v66
	v_cndmask_b32_e32 v9, v11, v10, vcc
	v_add_u32_e32 v52, v59, v52
	v_lshlrev_b32_e32 v9, 2, v9
	v_sub_u32_e32 v11, v66, v8
	ds_write_b32 v9, v16
	v_sub_u32_e32 v9, v52, v7
	v_add_u32_e32 v11, v11, v5
	v_add_u32_e32 v15, v9, v11
	v_and_b32_e32 v12, 1, v45
	v_sub_u32_e32 v15, v35, v15
	v_and_b32_sdwa v10, v27, v41 dst_sel:DWORD dst_unused:UNUSED_PAD src0_sel:DWORD src1_sel:WORD_1
	v_add_u32_e32 v15, 10, v15
	v_cmp_eq_u32_e32 vcc, 1, v12
	v_cndmask_b32_e32 v11, v15, v11, vcc
	v_cmp_eq_u32_e32 vcc, 1, v10
	v_add_u32_e32 v70, v66, v45
	v_cndmask_b32_e32 v9, v11, v9, vcc
	v_add_u32_e32 v61, v52, v61
	v_lshlrev_b32_e32 v9, 2, v9
	v_sub_u32_e32 v11, v70, v8
	ds_write_b32 v9, v13
	v_sub_u32_e32 v9, v61, v7
	v_add_u32_e32 v11, v11, v5
	v_add_u32_e32 v13, v9, v11
	v_and_b32_e32 v12, 1, v40
	v_sub_u32_e32 v13, v35, v13
	v_add_u32_e32 v67, v70, v67
	v_and_b32_e32 v10, 1, v44
	v_add_u32_e32 v13, 11, v13
	v_cmp_eq_u32_e32 vcc, 1, v12
	v_add_u32_e32 v71, v61, v44
	v_cndmask_b32_e32 v11, v13, v11, vcc
	v_cmp_eq_u32_e32 vcc, 1, v10
	v_sub_u32_e32 v10, v67, v8
	v_sub_u32_e32 v7, v71, v7
	v_add_u32_e32 v10, v10, v5
	v_cndmask_b32_e32 v9, v11, v9, vcc
	v_add_u32_e32 v12, v7, v10
	v_lshlrev_b32_e32 v9, 2, v9
	v_and_b32_e32 v11, 1, v43
	v_sub_u32_e32 v12, v35, v12
	ds_write_b32 v9, v14
	v_and_b32_e32 v9, 1, v42
	v_add_u32_e32 v12, 12, v12
	v_cmp_eq_u32_e32 vcc, 1, v11
	v_cndmask_b32_e32 v10, v12, v10, vcc
	v_cmp_eq_u32_e32 vcc, 1, v9
	v_cndmask_b32_e32 v7, v10, v7, vcc
	v_lshlrev_b32_e32 v7, 2, v7
	ds_write_b32 v7, v34
	v_mov_b32_e32 v7, s53
	v_add_co_u32_e32 v9, vcc, s52, v33
	v_addc_co_u32_e32 v10, vcc, 0, v7, vcc
	v_add_co_u32_e32 v7, vcc, v6, v72
	v_addc_co_u32_e64 v11, s[4:5], 0, 0, vcc
	v_add_co_u32_e32 v7, vcc, v7, v29
	v_addc_co_u32_e32 v11, vcc, v11, v30, vcc
	v_add_co_u32_e32 v7, vcc, v7, v1
	v_addc_co_u32_e32 v11, vcc, v11, v2, vcc
	v_sub_co_u32_e32 v7, vcc, v9, v7
	v_subb_co_u32_e32 v13, vcc, v10, v11, vcc
	v_lshlrev_b64 v[9:10], 2, v[29:30]
	v_mov_b32_e32 v11, s51
	v_add_co_u32_e32 v9, vcc, s50, v9
	v_addc_co_u32_e32 v10, vcc, v11, v10, vcc
	v_lshlrev_b64 v[11:12], 2, v[1:2]
	v_mov_b32_e32 v15, s49
	v_add_co_u32_e32 v11, vcc, s48, v11
	v_addc_co_u32_e32 v12, vcc, v15, v12, vcc
	v_add_u32_e32 v14, v5, v6
	s_and_b64 vcc, exec, s[2:3]
	s_mov_b64 s[2:3], -1
	s_waitcnt lgkmcnt(0)
	s_barrier
	s_cbranch_vccz .LBB875_155
; %bb.152:
	s_and_b64 vcc, exec, s[2:3]
	s_cbranch_vccnz .LBB875_260
.LBB875_153:
	s_and_b64 s[0:1], s[0:1], s[34:35]
	s_and_saveexec_b64 s[2:3], s[0:1]
	s_cbranch_execnz .LBB875_378
.LBB875_154:
	s_endpgm
.LBB875_155:
	v_cmp_ge_u32_e32 vcc, v0, v5
	s_and_saveexec_b64 s[2:3], vcc
	s_xor_b64 s[2:3], exec, s[2:3]
	s_cbranch_execz .LBB875_161
; %bb.156:
	v_cmp_ge_u32_e32 vcc, v0, v14
	s_and_saveexec_b64 s[4:5], vcc
	s_xor_b64 s[4:5], exec, s[4:5]
	s_cbranch_execz .LBB875_158
; %bb.157:
	v_add_co_u32_e32 v15, vcc, v7, v0
	v_lshlrev_b32_e32 v17, 2, v0
	v_addc_co_u32_e32 v16, vcc, 0, v13, vcc
	ds_read_b32 v17, v17
	v_lshlrev_b64 v[15:16], 2, v[15:16]
	v_mov_b32_e32 v18, s31
	v_sub_co_u32_e32 v15, vcc, s30, v15
	v_subb_co_u32_e32 v16, vcc, v18, v16, vcc
	s_waitcnt lgkmcnt(0)
	global_store_dword v[15:16], v17, off offset:-4
.LBB875_158:
	s_andn2_saveexec_b64 s[4:5], s[4:5]
	s_cbranch_execz .LBB875_160
; %bb.159:
	v_lshlrev_b32_e32 v15, 2, v0
	ds_read_b32 v16, v15
	v_readfirstlane_b32 s6, v9
	v_readfirstlane_b32 s7, v10
	s_waitcnt lgkmcnt(0)
	s_nop 3
	global_store_dword v15, v16, s[6:7]
.LBB875_160:
	s_or_b64 exec, exec, s[4:5]
.LBB875_161:
	s_andn2_saveexec_b64 s[2:3], s[2:3]
	s_cbranch_execz .LBB875_163
; %bb.162:
	v_lshlrev_b32_e32 v15, 2, v0
	ds_read_b32 v16, v15
	v_readfirstlane_b32 s4, v11
	v_readfirstlane_b32 s5, v12
	s_waitcnt lgkmcnt(0)
	s_nop 3
	global_store_dword v15, v16, s[4:5]
.LBB875_163:
	s_or_b64 exec, exec, s[2:3]
	v_or_b32_e32 v15, 0x100, v0
	v_cmp_ge_u32_e32 vcc, v15, v5
	s_and_saveexec_b64 s[2:3], vcc
	s_xor_b64 s[2:3], exec, s[2:3]
	s_cbranch_execz .LBB875_169
; %bb.164:
	v_cmp_ge_u32_e32 vcc, v15, v14
	s_and_saveexec_b64 s[4:5], vcc
	s_xor_b64 s[4:5], exec, s[4:5]
	s_cbranch_execz .LBB875_166
; %bb.165:
	v_lshlrev_b32_e32 v15, 2, v0
	ds_read_b32 v17, v15 offset:1024
	v_add_co_u32_e32 v15, vcc, v7, v0
	v_addc_co_u32_e32 v16, vcc, 0, v13, vcc
	v_lshlrev_b64 v[15:16], 2, v[15:16]
	v_mov_b32_e32 v18, s31
	v_sub_co_u32_e32 v15, vcc, s30, v15
	v_subb_co_u32_e32 v16, vcc, v18, v16, vcc
	s_waitcnt lgkmcnt(0)
	global_store_dword v[15:16], v17, off offset:-1028
.LBB875_166:
	s_andn2_saveexec_b64 s[4:5], s[4:5]
	s_cbranch_execz .LBB875_168
; %bb.167:
	v_lshlrev_b32_e32 v15, 2, v0
	ds_read_b32 v16, v15 offset:1024
	v_readfirstlane_b32 s6, v9
	v_readfirstlane_b32 s7, v10
	s_waitcnt lgkmcnt(0)
	s_nop 3
	global_store_dword v15, v16, s[6:7] offset:1024
.LBB875_168:
	s_or_b64 exec, exec, s[4:5]
.LBB875_169:
	s_andn2_saveexec_b64 s[2:3], s[2:3]
	s_cbranch_execz .LBB875_171
; %bb.170:
	v_lshlrev_b32_e32 v15, 2, v0
	ds_read_b32 v16, v15 offset:1024
	v_readfirstlane_b32 s4, v11
	v_readfirstlane_b32 s5, v12
	s_waitcnt lgkmcnt(0)
	s_nop 3
	global_store_dword v15, v16, s[4:5] offset:1024
.LBB875_171:
	s_or_b64 exec, exec, s[2:3]
	v_or_b32_e32 v15, 0x200, v0
	v_cmp_ge_u32_e32 vcc, v15, v5
	s_and_saveexec_b64 s[2:3], vcc
	s_xor_b64 s[2:3], exec, s[2:3]
	s_cbranch_execz .LBB875_177
; %bb.172:
	v_cmp_ge_u32_e32 vcc, v15, v14
	s_and_saveexec_b64 s[4:5], vcc
	s_xor_b64 s[4:5], exec, s[4:5]
	s_cbranch_execz .LBB875_174
; %bb.173:
	v_lshlrev_b32_e32 v15, 2, v0
	ds_read_b32 v17, v15 offset:2048
	v_add_co_u32_e32 v15, vcc, v7, v0
	v_addc_co_u32_e32 v16, vcc, 0, v13, vcc
	v_lshlrev_b64 v[15:16], 2, v[15:16]
	v_mov_b32_e32 v18, s31
	v_sub_co_u32_e32 v15, vcc, s30, v15
	v_subb_co_u32_e32 v16, vcc, v18, v16, vcc
	s_waitcnt lgkmcnt(0)
	global_store_dword v[15:16], v17, off offset:-2052
.LBB875_174:
	s_andn2_saveexec_b64 s[4:5], s[4:5]
	s_cbranch_execz .LBB875_176
; %bb.175:
	v_lshlrev_b32_e32 v15, 2, v0
	ds_read_b32 v16, v15 offset:2048
	v_readfirstlane_b32 s6, v9
	v_readfirstlane_b32 s7, v10
	s_waitcnt lgkmcnt(0)
	s_nop 3
	global_store_dword v15, v16, s[6:7] offset:2048
.LBB875_176:
	s_or_b64 exec, exec, s[4:5]
.LBB875_177:
	s_andn2_saveexec_b64 s[2:3], s[2:3]
	s_cbranch_execz .LBB875_179
; %bb.178:
	v_lshlrev_b32_e32 v15, 2, v0
	ds_read_b32 v16, v15 offset:2048
	v_readfirstlane_b32 s4, v11
	v_readfirstlane_b32 s5, v12
	s_waitcnt lgkmcnt(0)
	s_nop 3
	global_store_dword v15, v16, s[4:5] offset:2048
.LBB875_179:
	;; [unrolled: 47-line block ×3, first 2 shown]
	s_or_b64 exec, exec, s[2:3]
	v_or_b32_e32 v15, 0x400, v0
	v_cmp_ge_u32_e32 vcc, v15, v5
	s_and_saveexec_b64 s[2:3], vcc
	s_xor_b64 s[2:3], exec, s[2:3]
	s_cbranch_execz .LBB875_193
; %bb.188:
	v_cmp_ge_u32_e32 vcc, v15, v14
	s_and_saveexec_b64 s[4:5], vcc
	s_xor_b64 s[4:5], exec, s[4:5]
	s_cbranch_execz .LBB875_190
; %bb.189:
	v_lshlrev_b32_e32 v15, 2, v0
	ds_read_b32 v17, v15 offset:4096
	v_add_co_u32_e32 v15, vcc, v7, v0
	v_addc_co_u32_e32 v16, vcc, 0, v13, vcc
	v_lshlrev_b64 v[15:16], 2, v[15:16]
	v_mov_b32_e32 v18, s31
	v_sub_co_u32_e32 v15, vcc, s30, v15
	v_subb_co_u32_e32 v16, vcc, v18, v16, vcc
	v_add_co_u32_e32 v15, vcc, 0xfffff000, v15
	v_addc_co_u32_e32 v16, vcc, -1, v16, vcc
	s_waitcnt lgkmcnt(0)
	global_store_dword v[15:16], v17, off offset:-4
                                        ; implicit-def: $vgpr15
.LBB875_190:
	s_andn2_saveexec_b64 s[4:5], s[4:5]
	s_cbranch_execz .LBB875_192
; %bb.191:
	v_lshlrev_b32_e32 v16, 2, v0
	ds_read_b32 v16, v16 offset:4096
	v_lshlrev_b32_e32 v15, 2, v15
	v_readfirstlane_b32 s6, v9
	v_readfirstlane_b32 s7, v10
	s_waitcnt lgkmcnt(0)
	s_nop 3
	global_store_dword v15, v16, s[6:7]
.LBB875_192:
	s_or_b64 exec, exec, s[4:5]
                                        ; implicit-def: $vgpr15
.LBB875_193:
	s_andn2_saveexec_b64 s[2:3], s[2:3]
	s_cbranch_execz .LBB875_195
; %bb.194:
	v_lshlrev_b32_e32 v16, 2, v0
	ds_read_b32 v16, v16 offset:4096
	v_lshlrev_b32_e32 v15, 2, v15
	v_readfirstlane_b32 s4, v11
	v_readfirstlane_b32 s5, v12
	s_waitcnt lgkmcnt(0)
	s_nop 3
	global_store_dword v15, v16, s[4:5]
.LBB875_195:
	s_or_b64 exec, exec, s[2:3]
	v_or_b32_e32 v15, 0x500, v0
	v_cmp_ge_u32_e32 vcc, v15, v5
	s_and_saveexec_b64 s[2:3], vcc
	s_xor_b64 s[2:3], exec, s[2:3]
	s_cbranch_execz .LBB875_201
; %bb.196:
	v_cmp_ge_u32_e32 vcc, v15, v14
	s_and_saveexec_b64 s[4:5], vcc
	s_xor_b64 s[4:5], exec, s[4:5]
	s_cbranch_execz .LBB875_198
; %bb.197:
	v_add_co_u32_e32 v15, vcc, v7, v15
	v_lshlrev_b32_e32 v17, 2, v0
	v_addc_co_u32_e32 v16, vcc, 0, v13, vcc
	ds_read_b32 v17, v17 offset:5120
	v_lshlrev_b64 v[15:16], 2, v[15:16]
	v_mov_b32_e32 v18, s31
	v_sub_co_u32_e32 v15, vcc, s30, v15
	v_subb_co_u32_e32 v16, vcc, v18, v16, vcc
	s_waitcnt lgkmcnt(0)
	global_store_dword v[15:16], v17, off offset:-4
                                        ; implicit-def: $vgpr15
.LBB875_198:
	s_andn2_saveexec_b64 s[4:5], s[4:5]
	s_cbranch_execz .LBB875_200
; %bb.199:
	v_lshlrev_b32_e32 v16, 2, v0
	ds_read_b32 v16, v16 offset:5120
	v_lshlrev_b32_e32 v15, 2, v15
	v_readfirstlane_b32 s6, v9
	v_readfirstlane_b32 s7, v10
	s_waitcnt lgkmcnt(0)
	s_nop 3
	global_store_dword v15, v16, s[6:7]
.LBB875_200:
	s_or_b64 exec, exec, s[4:5]
                                        ; implicit-def: $vgpr15
.LBB875_201:
	s_andn2_saveexec_b64 s[2:3], s[2:3]
	s_cbranch_execz .LBB875_203
; %bb.202:
	v_lshlrev_b32_e32 v16, 2, v0
	ds_read_b32 v16, v16 offset:5120
	v_lshlrev_b32_e32 v15, 2, v15
	v_readfirstlane_b32 s4, v11
	v_readfirstlane_b32 s5, v12
	s_waitcnt lgkmcnt(0)
	s_nop 3
	global_store_dword v15, v16, s[4:5]
.LBB875_203:
	s_or_b64 exec, exec, s[2:3]
	v_or_b32_e32 v15, 0x600, v0
	v_cmp_ge_u32_e32 vcc, v15, v5
	s_and_saveexec_b64 s[2:3], vcc
	s_xor_b64 s[2:3], exec, s[2:3]
	s_cbranch_execz .LBB875_209
; %bb.204:
	v_cmp_ge_u32_e32 vcc, v15, v14
	s_and_saveexec_b64 s[4:5], vcc
	s_xor_b64 s[4:5], exec, s[4:5]
	s_cbranch_execz .LBB875_206
; %bb.205:
	v_add_co_u32_e32 v15, vcc, v7, v15
	v_lshlrev_b32_e32 v17, 2, v0
	v_addc_co_u32_e32 v16, vcc, 0, v13, vcc
	ds_read_b32 v17, v17 offset:6144
	v_lshlrev_b64 v[15:16], 2, v[15:16]
	v_mov_b32_e32 v18, s31
	v_sub_co_u32_e32 v15, vcc, s30, v15
	v_subb_co_u32_e32 v16, vcc, v18, v16, vcc
	s_waitcnt lgkmcnt(0)
	global_store_dword v[15:16], v17, off offset:-4
                                        ; implicit-def: $vgpr15
.LBB875_206:
	s_andn2_saveexec_b64 s[4:5], s[4:5]
	s_cbranch_execz .LBB875_208
; %bb.207:
	v_lshlrev_b32_e32 v16, 2, v0
	ds_read_b32 v16, v16 offset:6144
	v_lshlrev_b32_e32 v15, 2, v15
	v_readfirstlane_b32 s6, v9
	v_readfirstlane_b32 s7, v10
	s_waitcnt lgkmcnt(0)
	s_nop 3
	global_store_dword v15, v16, s[6:7]
.LBB875_208:
	s_or_b64 exec, exec, s[4:5]
                                        ; implicit-def: $vgpr15
.LBB875_209:
	;; [unrolled: 51-line block ×8, first 2 shown]
	s_andn2_saveexec_b64 s[2:3], s[2:3]
	s_cbranch_execz .LBB875_259
; %bb.258:
	v_lshlrev_b32_e32 v16, 2, v0
	ds_read_b32 v16, v16 offset:12288
	v_lshlrev_b32_e32 v15, 2, v15
	v_readfirstlane_b32 s4, v11
	v_readfirstlane_b32 s5, v12
	s_waitcnt lgkmcnt(0)
	s_nop 3
	global_store_dword v15, v16, s[4:5]
.LBB875_259:
	s_or_b64 exec, exec, s[2:3]
	s_branch .LBB875_153
.LBB875_260:
	v_cmp_gt_u32_e32 vcc, s16, v0
	s_and_saveexec_b64 s[2:3], vcc
	s_cbranch_execz .LBB875_269
; %bb.261:
	v_cmp_ge_u32_e32 vcc, v0, v5
	s_and_saveexec_b64 s[4:5], vcc
	s_xor_b64 s[4:5], exec, s[4:5]
	s_cbranch_execz .LBB875_267
; %bb.262:
	v_cmp_ge_u32_e32 vcc, v0, v14
	s_and_saveexec_b64 s[6:7], vcc
	s_xor_b64 s[6:7], exec, s[6:7]
	s_cbranch_execz .LBB875_264
; %bb.263:
	v_add_co_u32_e32 v15, vcc, v7, v0
	v_lshlrev_b32_e32 v17, 2, v0
	v_addc_co_u32_e32 v16, vcc, 0, v13, vcc
	ds_read_b32 v17, v17
	v_lshlrev_b64 v[15:16], 2, v[15:16]
	v_mov_b32_e32 v18, s31
	v_sub_co_u32_e32 v15, vcc, s30, v15
	v_subb_co_u32_e32 v16, vcc, v18, v16, vcc
	s_waitcnt lgkmcnt(0)
	global_store_dword v[15:16], v17, off offset:-4
.LBB875_264:
	s_andn2_saveexec_b64 s[6:7], s[6:7]
	s_cbranch_execz .LBB875_266
; %bb.265:
	v_lshlrev_b32_e32 v15, 2, v0
	ds_read_b32 v16, v15
	v_readfirstlane_b32 s8, v9
	v_readfirstlane_b32 s9, v10
	s_waitcnt lgkmcnt(0)
	s_nop 3
	global_store_dword v15, v16, s[8:9]
.LBB875_266:
	s_or_b64 exec, exec, s[6:7]
.LBB875_267:
	s_andn2_saveexec_b64 s[4:5], s[4:5]
	s_cbranch_execz .LBB875_269
; %bb.268:
	v_lshlrev_b32_e32 v15, 2, v0
	ds_read_b32 v16, v15
	v_readfirstlane_b32 s4, v11
	v_readfirstlane_b32 s5, v12
	s_waitcnt lgkmcnt(0)
	s_nop 3
	global_store_dword v15, v16, s[4:5]
.LBB875_269:
	s_or_b64 exec, exec, s[2:3]
	v_or_b32_e32 v15, 0x100, v0
	v_cmp_gt_u32_e32 vcc, s16, v15
	s_and_saveexec_b64 s[2:3], vcc
	s_cbranch_execz .LBB875_278
; %bb.270:
	v_cmp_ge_u32_e32 vcc, v15, v5
	s_and_saveexec_b64 s[4:5], vcc
	s_xor_b64 s[4:5], exec, s[4:5]
	s_cbranch_execz .LBB875_276
; %bb.271:
	v_cmp_ge_u32_e32 vcc, v15, v14
	s_and_saveexec_b64 s[6:7], vcc
	s_xor_b64 s[6:7], exec, s[6:7]
	s_cbranch_execz .LBB875_273
; %bb.272:
	v_lshlrev_b32_e32 v15, 2, v0
	ds_read_b32 v17, v15 offset:1024
	v_add_co_u32_e32 v15, vcc, v7, v0
	v_addc_co_u32_e32 v16, vcc, 0, v13, vcc
	v_lshlrev_b64 v[15:16], 2, v[15:16]
	v_mov_b32_e32 v18, s31
	v_sub_co_u32_e32 v15, vcc, s30, v15
	v_subb_co_u32_e32 v16, vcc, v18, v16, vcc
	s_waitcnt lgkmcnt(0)
	global_store_dword v[15:16], v17, off offset:-1028
.LBB875_273:
	s_andn2_saveexec_b64 s[6:7], s[6:7]
	s_cbranch_execz .LBB875_275
; %bb.274:
	v_lshlrev_b32_e32 v15, 2, v0
	ds_read_b32 v16, v15 offset:1024
	v_readfirstlane_b32 s8, v9
	v_readfirstlane_b32 s9, v10
	s_waitcnt lgkmcnt(0)
	s_nop 3
	global_store_dword v15, v16, s[8:9] offset:1024
.LBB875_275:
	s_or_b64 exec, exec, s[6:7]
.LBB875_276:
	s_andn2_saveexec_b64 s[4:5], s[4:5]
	s_cbranch_execz .LBB875_278
; %bb.277:
	v_lshlrev_b32_e32 v15, 2, v0
	ds_read_b32 v16, v15 offset:1024
	v_readfirstlane_b32 s4, v11
	v_readfirstlane_b32 s5, v12
	s_waitcnt lgkmcnt(0)
	s_nop 3
	global_store_dword v15, v16, s[4:5] offset:1024
.LBB875_278:
	s_or_b64 exec, exec, s[2:3]
	v_or_b32_e32 v15, 0x200, v0
	v_cmp_gt_u32_e32 vcc, s16, v15
	s_and_saveexec_b64 s[2:3], vcc
	s_cbranch_execz .LBB875_287
; %bb.279:
	v_cmp_ge_u32_e32 vcc, v15, v5
	s_and_saveexec_b64 s[4:5], vcc
	s_xor_b64 s[4:5], exec, s[4:5]
	s_cbranch_execz .LBB875_285
; %bb.280:
	v_cmp_ge_u32_e32 vcc, v15, v14
	s_and_saveexec_b64 s[6:7], vcc
	s_xor_b64 s[6:7], exec, s[6:7]
	s_cbranch_execz .LBB875_282
; %bb.281:
	v_lshlrev_b32_e32 v15, 2, v0
	ds_read_b32 v17, v15 offset:2048
	v_add_co_u32_e32 v15, vcc, v7, v0
	v_addc_co_u32_e32 v16, vcc, 0, v13, vcc
	v_lshlrev_b64 v[15:16], 2, v[15:16]
	v_mov_b32_e32 v18, s31
	v_sub_co_u32_e32 v15, vcc, s30, v15
	v_subb_co_u32_e32 v16, vcc, v18, v16, vcc
	s_waitcnt lgkmcnt(0)
	global_store_dword v[15:16], v17, off offset:-2052
.LBB875_282:
	s_andn2_saveexec_b64 s[6:7], s[6:7]
	s_cbranch_execz .LBB875_284
; %bb.283:
	v_lshlrev_b32_e32 v15, 2, v0
	ds_read_b32 v16, v15 offset:2048
	v_readfirstlane_b32 s8, v9
	v_readfirstlane_b32 s9, v10
	s_waitcnt lgkmcnt(0)
	s_nop 3
	global_store_dword v15, v16, s[8:9] offset:2048
.LBB875_284:
	s_or_b64 exec, exec, s[6:7]
.LBB875_285:
	s_andn2_saveexec_b64 s[4:5], s[4:5]
	s_cbranch_execz .LBB875_287
; %bb.286:
	v_lshlrev_b32_e32 v15, 2, v0
	ds_read_b32 v16, v15 offset:2048
	v_readfirstlane_b32 s4, v11
	v_readfirstlane_b32 s5, v12
	s_waitcnt lgkmcnt(0)
	s_nop 3
	global_store_dword v15, v16, s[4:5] offset:2048
.LBB875_287:
	;; [unrolled: 51-line block ×3, first 2 shown]
	s_or_b64 exec, exec, s[2:3]
	v_or_b32_e32 v15, 0x400, v0
	v_cmp_gt_u32_e32 vcc, s16, v15
	s_and_saveexec_b64 s[2:3], vcc
	s_cbranch_execz .LBB875_305
; %bb.297:
	v_cmp_ge_u32_e32 vcc, v15, v5
	s_and_saveexec_b64 s[4:5], vcc
	s_xor_b64 s[4:5], exec, s[4:5]
	s_cbranch_execz .LBB875_303
; %bb.298:
	v_cmp_ge_u32_e32 vcc, v15, v14
	s_and_saveexec_b64 s[6:7], vcc
	s_xor_b64 s[6:7], exec, s[6:7]
	s_cbranch_execz .LBB875_300
; %bb.299:
	v_lshlrev_b32_e32 v15, 2, v0
	ds_read_b32 v17, v15 offset:4096
	v_add_co_u32_e32 v15, vcc, v7, v0
	v_addc_co_u32_e32 v16, vcc, 0, v13, vcc
	v_lshlrev_b64 v[15:16], 2, v[15:16]
	v_mov_b32_e32 v18, s31
	v_sub_co_u32_e32 v15, vcc, s30, v15
	v_subb_co_u32_e32 v16, vcc, v18, v16, vcc
	v_add_co_u32_e32 v15, vcc, 0xfffff000, v15
	v_addc_co_u32_e32 v16, vcc, -1, v16, vcc
	s_waitcnt lgkmcnt(0)
	global_store_dword v[15:16], v17, off offset:-4
                                        ; implicit-def: $vgpr15
.LBB875_300:
	s_andn2_saveexec_b64 s[6:7], s[6:7]
	s_cbranch_execz .LBB875_302
; %bb.301:
	v_lshlrev_b32_e32 v16, 2, v0
	ds_read_b32 v16, v16 offset:4096
	v_lshlrev_b32_e32 v15, 2, v15
	v_readfirstlane_b32 s8, v9
	v_readfirstlane_b32 s9, v10
	s_waitcnt lgkmcnt(0)
	s_nop 3
	global_store_dword v15, v16, s[8:9]
.LBB875_302:
	s_or_b64 exec, exec, s[6:7]
                                        ; implicit-def: $vgpr15
.LBB875_303:
	s_andn2_saveexec_b64 s[4:5], s[4:5]
	s_cbranch_execz .LBB875_305
; %bb.304:
	v_lshlrev_b32_e32 v16, 2, v0
	ds_read_b32 v16, v16 offset:4096
	v_lshlrev_b32_e32 v15, 2, v15
	v_readfirstlane_b32 s4, v11
	v_readfirstlane_b32 s5, v12
	s_waitcnt lgkmcnt(0)
	s_nop 3
	global_store_dword v15, v16, s[4:5]
.LBB875_305:
	s_or_b64 exec, exec, s[2:3]
	v_or_b32_e32 v15, 0x500, v0
	v_cmp_gt_u32_e32 vcc, s16, v15
	s_and_saveexec_b64 s[2:3], vcc
	s_cbranch_execz .LBB875_314
; %bb.306:
	v_cmp_ge_u32_e32 vcc, v15, v5
	s_and_saveexec_b64 s[4:5], vcc
	s_xor_b64 s[4:5], exec, s[4:5]
	s_cbranch_execz .LBB875_312
; %bb.307:
	v_cmp_ge_u32_e32 vcc, v15, v14
	s_and_saveexec_b64 s[6:7], vcc
	s_xor_b64 s[6:7], exec, s[6:7]
	s_cbranch_execz .LBB875_309
; %bb.308:
	v_add_co_u32_e32 v15, vcc, v7, v15
	v_lshlrev_b32_e32 v17, 2, v0
	v_addc_co_u32_e32 v16, vcc, 0, v13, vcc
	ds_read_b32 v17, v17 offset:5120
	v_lshlrev_b64 v[15:16], 2, v[15:16]
	v_mov_b32_e32 v18, s31
	v_sub_co_u32_e32 v15, vcc, s30, v15
	v_subb_co_u32_e32 v16, vcc, v18, v16, vcc
	s_waitcnt lgkmcnt(0)
	global_store_dword v[15:16], v17, off offset:-4
                                        ; implicit-def: $vgpr15
.LBB875_309:
	s_andn2_saveexec_b64 s[6:7], s[6:7]
	s_cbranch_execz .LBB875_311
; %bb.310:
	v_lshlrev_b32_e32 v16, 2, v0
	ds_read_b32 v16, v16 offset:5120
	v_lshlrev_b32_e32 v15, 2, v15
	v_readfirstlane_b32 s8, v9
	v_readfirstlane_b32 s9, v10
	s_waitcnt lgkmcnt(0)
	s_nop 3
	global_store_dword v15, v16, s[8:9]
.LBB875_311:
	s_or_b64 exec, exec, s[6:7]
                                        ; implicit-def: $vgpr15
.LBB875_312:
	s_andn2_saveexec_b64 s[4:5], s[4:5]
	s_cbranch_execz .LBB875_314
; %bb.313:
	v_lshlrev_b32_e32 v16, 2, v0
	ds_read_b32 v16, v16 offset:5120
	v_lshlrev_b32_e32 v15, 2, v15
	v_readfirstlane_b32 s4, v11
	v_readfirstlane_b32 s5, v12
	s_waitcnt lgkmcnt(0)
	s_nop 3
	global_store_dword v15, v16, s[4:5]
.LBB875_314:
	s_or_b64 exec, exec, s[2:3]
	v_or_b32_e32 v15, 0x600, v0
	v_cmp_gt_u32_e32 vcc, s16, v15
	s_and_saveexec_b64 s[2:3], vcc
	s_cbranch_execz .LBB875_323
; %bb.315:
	v_cmp_ge_u32_e32 vcc, v15, v5
	s_and_saveexec_b64 s[4:5], vcc
	s_xor_b64 s[4:5], exec, s[4:5]
	s_cbranch_execz .LBB875_321
; %bb.316:
	v_cmp_ge_u32_e32 vcc, v15, v14
	s_and_saveexec_b64 s[6:7], vcc
	s_xor_b64 s[6:7], exec, s[6:7]
	s_cbranch_execz .LBB875_318
; %bb.317:
	v_add_co_u32_e32 v15, vcc, v7, v15
	v_lshlrev_b32_e32 v17, 2, v0
	v_addc_co_u32_e32 v16, vcc, 0, v13, vcc
	ds_read_b32 v17, v17 offset:6144
	v_lshlrev_b64 v[15:16], 2, v[15:16]
	v_mov_b32_e32 v18, s31
	v_sub_co_u32_e32 v15, vcc, s30, v15
	v_subb_co_u32_e32 v16, vcc, v18, v16, vcc
	s_waitcnt lgkmcnt(0)
	global_store_dword v[15:16], v17, off offset:-4
                                        ; implicit-def: $vgpr15
.LBB875_318:
	s_andn2_saveexec_b64 s[6:7], s[6:7]
	s_cbranch_execz .LBB875_320
; %bb.319:
	v_lshlrev_b32_e32 v16, 2, v0
	ds_read_b32 v16, v16 offset:6144
	v_lshlrev_b32_e32 v15, 2, v15
	v_readfirstlane_b32 s8, v9
	v_readfirstlane_b32 s9, v10
	s_waitcnt lgkmcnt(0)
	s_nop 3
	global_store_dword v15, v16, s[8:9]
.LBB875_320:
	s_or_b64 exec, exec, s[6:7]
                                        ; implicit-def: $vgpr15
.LBB875_321:
	s_andn2_saveexec_b64 s[4:5], s[4:5]
	s_cbranch_execz .LBB875_323
; %bb.322:
	v_lshlrev_b32_e32 v16, 2, v0
	ds_read_b32 v16, v16 offset:6144
	v_lshlrev_b32_e32 v15, 2, v15
	v_readfirstlane_b32 s4, v11
	v_readfirstlane_b32 s5, v12
	s_waitcnt lgkmcnt(0)
	s_nop 3
	global_store_dword v15, v16, s[4:5]
.LBB875_323:
	;; [unrolled: 55-line block ×7, first 2 shown]
	s_or_b64 exec, exec, s[2:3]
	v_or_b32_e32 v15, 0xc00, v0
	v_cmp_gt_u32_e32 vcc, s16, v15
	s_and_saveexec_b64 s[2:3], vcc
	s_cbranch_execz .LBB875_377
; %bb.369:
	v_cmp_ge_u32_e32 vcc, v15, v5
	s_and_saveexec_b64 s[4:5], vcc
	s_xor_b64 s[4:5], exec, s[4:5]
	s_cbranch_execz .LBB875_375
; %bb.370:
	v_cmp_ge_u32_e32 vcc, v15, v14
	s_and_saveexec_b64 s[6:7], vcc
	s_xor_b64 s[6:7], exec, s[6:7]
	s_cbranch_execz .LBB875_372
; %bb.371:
	v_add_co_u32_e32 v9, vcc, v7, v15
	v_lshlrev_b32_e32 v0, 2, v0
	v_addc_co_u32_e32 v10, vcc, 0, v13, vcc
	ds_read_b32 v0, v0 offset:12288
	v_lshlrev_b64 v[9:10], 2, v[9:10]
	v_mov_b32_e32 v7, s31
	v_sub_co_u32_e32 v9, vcc, s30, v9
	v_subb_co_u32_e32 v10, vcc, v7, v10, vcc
	s_waitcnt lgkmcnt(0)
	global_store_dword v[9:10], v0, off offset:-4
                                        ; implicit-def: $vgpr0
                                        ; implicit-def: $vgpr15
                                        ; implicit-def: $vgpr9_vgpr10
.LBB875_372:
	s_andn2_saveexec_b64 s[6:7], s[6:7]
	s_cbranch_execz .LBB875_374
; %bb.373:
	v_lshlrev_b32_e32 v0, 2, v0
	ds_read_b32 v0, v0 offset:12288
	v_lshlrev_b32_e32 v7, 2, v15
	v_readfirstlane_b32 s8, v9
	v_readfirstlane_b32 s9, v10
	s_waitcnt lgkmcnt(0)
	s_nop 3
	global_store_dword v7, v0, s[8:9]
.LBB875_374:
	s_or_b64 exec, exec, s[6:7]
                                        ; implicit-def: $vgpr0
                                        ; implicit-def: $vgpr15
                                        ; implicit-def: $vgpr11_vgpr12
.LBB875_375:
	s_andn2_saveexec_b64 s[4:5], s[4:5]
	s_cbranch_execz .LBB875_377
; %bb.376:
	v_lshlrev_b32_e32 v0, 2, v0
	ds_read_b32 v0, v0 offset:12288
	v_lshlrev_b32_e32 v7, 2, v15
	v_readfirstlane_b32 s4, v11
	v_readfirstlane_b32 s5, v12
	s_waitcnt lgkmcnt(0)
	s_nop 3
	global_store_dword v7, v0, s[4:5]
.LBB875_377:
	s_or_b64 exec, exec, s[2:3]
	s_and_b64 s[0:1], s[0:1], s[34:35]
	s_and_saveexec_b64 s[2:3], s[0:1]
	s_cbranch_execz .LBB875_154
.LBB875_378:
	v_add_co_u32_e32 v3, vcc, v3, v6
	v_addc_co_u32_e32 v4, vcc, 0, v4, vcc
	v_add_co_u32_e32 v3, vcc, v3, v8
	v_addc_co_u32_e32 v4, vcc, 0, v4, vcc
	v_add_co_u32_e32 v1, vcc, v1, v5
	v_mov_b32_e32 v0, 0
	v_addc_co_u32_e32 v2, vcc, 0, v2, vcc
	global_store_dwordx4 v0, v[1:4], s[44:45]
	s_endpgm
.LBB875_379:
	s_add_i32 s14, s33, 64
	s_mov_b32 s15, 0
	s_lshl_b64 s[14:15], s[14:15], 4
	s_add_u32 s14, s54, s14
	s_addc_u32 s15, s55, s15
	v_mov_b32_e32 v28, s15
	v_add_u32_e32 v10, v8, v6
	v_add_u32_e32 v9, v7, v5
	v_mov_b32_e32 v11, 2
	v_mov_b32_e32 v12, 0
	;; [unrolled: 1-line block ×3, first 2 shown]
	;;#ASMSTART
	global_store_dwordx4 v[27:28], v[9:12] off	
s_waitcnt vmcnt(0)
	;;#ASMEND
	s_or_b64 exec, exec, s[12:13]
	s_and_saveexec_b64 s[12:13], s[8:9]
	s_cbranch_execz .LBB875_139
.LBB875_380:
	v_mov_b32_e32 v9, 0
	ds_write_b128 v9, v[5:8] offset:13312
	s_or_b64 exec, exec, s[12:13]
	s_and_b64 exec, exec, s[0:1]
	s_cbranch_execnz .LBB875_140
	s_branch .LBB875_141
	.section	.rodata,"a",@progbits
	.p2align	6, 0x0
	.amdhsa_kernel _ZN7rocprim17ROCPRIM_400000_NS6detail17trampoline_kernelINS0_13select_configILj256ELj13ELNS0_17block_load_methodE3ELS4_3ELS4_3ELNS0_20block_scan_algorithmE0ELj4294967295EEENS1_25partition_config_selectorILNS1_17partition_subalgoE4EjNS0_10empty_typeEbEEZZNS1_14partition_implILS8_4ELb0ES6_15HIP_vector_typeIjLj2EENS0_17counting_iteratorIjlEEPS9_SG_NS0_5tupleIJPjSI_NS0_16reverse_iteratorISI_EEEEENSH_IJSG_SG_SG_EEES9_SI_JZNS1_25segmented_radix_sort_implINS0_14default_configELb1EPKsPsPKlPlN2at6native12_GLOBAL__N_18offset_tEEE10hipError_tPvRmT1_PNSt15iterator_traitsIS12_E10value_typeET2_T3_PNS13_IS18_E10value_typeET4_jRbjT5_S1E_jjP12ihipStream_tbEUljE_ZNSN_ISO_Lb1ESQ_SR_ST_SU_SY_EESZ_S10_S11_S12_S16_S17_S18_S1B_S1C_jS1D_jS1E_S1E_jjS1G_bEUljE0_EEESZ_S10_S11_S18_S1C_S1E_T6_T7_T9_mT8_S1G_bDpT10_ENKUlT_T0_E_clISt17integral_constantIbLb0EES1T_IbLb1EEEEDaS1P_S1Q_EUlS1P_E_NS1_11comp_targetILNS1_3genE2ELNS1_11target_archE906ELNS1_3gpuE6ELNS1_3repE0EEENS1_30default_config_static_selectorELNS0_4arch9wavefront6targetE1EEEvS12_
		.amdhsa_group_segment_fixed_size 13328
		.amdhsa_private_segment_fixed_size 0
		.amdhsa_kernarg_size 184
		.amdhsa_user_sgpr_count 6
		.amdhsa_user_sgpr_private_segment_buffer 1
		.amdhsa_user_sgpr_dispatch_ptr 0
		.amdhsa_user_sgpr_queue_ptr 0
		.amdhsa_user_sgpr_kernarg_segment_ptr 1
		.amdhsa_user_sgpr_dispatch_id 0
		.amdhsa_user_sgpr_flat_scratch_init 0
		.amdhsa_user_sgpr_private_segment_size 0
		.amdhsa_uses_dynamic_stack 0
		.amdhsa_system_sgpr_private_segment_wavefront_offset 0
		.amdhsa_system_sgpr_workgroup_id_x 1
		.amdhsa_system_sgpr_workgroup_id_y 0
		.amdhsa_system_sgpr_workgroup_id_z 0
		.amdhsa_system_sgpr_workgroup_info 0
		.amdhsa_system_vgpr_workitem_id 0
		.amdhsa_next_free_vgpr 91
		.amdhsa_next_free_sgpr 98
		.amdhsa_reserve_vcc 1
		.amdhsa_reserve_flat_scratch 0
		.amdhsa_float_round_mode_32 0
		.amdhsa_float_round_mode_16_64 0
		.amdhsa_float_denorm_mode_32 3
		.amdhsa_float_denorm_mode_16_64 3
		.amdhsa_dx10_clamp 1
		.amdhsa_ieee_mode 1
		.amdhsa_fp16_overflow 0
		.amdhsa_exception_fp_ieee_invalid_op 0
		.amdhsa_exception_fp_denorm_src 0
		.amdhsa_exception_fp_ieee_div_zero 0
		.amdhsa_exception_fp_ieee_overflow 0
		.amdhsa_exception_fp_ieee_underflow 0
		.amdhsa_exception_fp_ieee_inexact 0
		.amdhsa_exception_int_div_zero 0
	.end_amdhsa_kernel
	.section	.text._ZN7rocprim17ROCPRIM_400000_NS6detail17trampoline_kernelINS0_13select_configILj256ELj13ELNS0_17block_load_methodE3ELS4_3ELS4_3ELNS0_20block_scan_algorithmE0ELj4294967295EEENS1_25partition_config_selectorILNS1_17partition_subalgoE4EjNS0_10empty_typeEbEEZZNS1_14partition_implILS8_4ELb0ES6_15HIP_vector_typeIjLj2EENS0_17counting_iteratorIjlEEPS9_SG_NS0_5tupleIJPjSI_NS0_16reverse_iteratorISI_EEEEENSH_IJSG_SG_SG_EEES9_SI_JZNS1_25segmented_radix_sort_implINS0_14default_configELb1EPKsPsPKlPlN2at6native12_GLOBAL__N_18offset_tEEE10hipError_tPvRmT1_PNSt15iterator_traitsIS12_E10value_typeET2_T3_PNS13_IS18_E10value_typeET4_jRbjT5_S1E_jjP12ihipStream_tbEUljE_ZNSN_ISO_Lb1ESQ_SR_ST_SU_SY_EESZ_S10_S11_S12_S16_S17_S18_S1B_S1C_jS1D_jS1E_S1E_jjS1G_bEUljE0_EEESZ_S10_S11_S18_S1C_S1E_T6_T7_T9_mT8_S1G_bDpT10_ENKUlT_T0_E_clISt17integral_constantIbLb0EES1T_IbLb1EEEEDaS1P_S1Q_EUlS1P_E_NS1_11comp_targetILNS1_3genE2ELNS1_11target_archE906ELNS1_3gpuE6ELNS1_3repE0EEENS1_30default_config_static_selectorELNS0_4arch9wavefront6targetE1EEEvS12_,"axG",@progbits,_ZN7rocprim17ROCPRIM_400000_NS6detail17trampoline_kernelINS0_13select_configILj256ELj13ELNS0_17block_load_methodE3ELS4_3ELS4_3ELNS0_20block_scan_algorithmE0ELj4294967295EEENS1_25partition_config_selectorILNS1_17partition_subalgoE4EjNS0_10empty_typeEbEEZZNS1_14partition_implILS8_4ELb0ES6_15HIP_vector_typeIjLj2EENS0_17counting_iteratorIjlEEPS9_SG_NS0_5tupleIJPjSI_NS0_16reverse_iteratorISI_EEEEENSH_IJSG_SG_SG_EEES9_SI_JZNS1_25segmented_radix_sort_implINS0_14default_configELb1EPKsPsPKlPlN2at6native12_GLOBAL__N_18offset_tEEE10hipError_tPvRmT1_PNSt15iterator_traitsIS12_E10value_typeET2_T3_PNS13_IS18_E10value_typeET4_jRbjT5_S1E_jjP12ihipStream_tbEUljE_ZNSN_ISO_Lb1ESQ_SR_ST_SU_SY_EESZ_S10_S11_S12_S16_S17_S18_S1B_S1C_jS1D_jS1E_S1E_jjS1G_bEUljE0_EEESZ_S10_S11_S18_S1C_S1E_T6_T7_T9_mT8_S1G_bDpT10_ENKUlT_T0_E_clISt17integral_constantIbLb0EES1T_IbLb1EEEEDaS1P_S1Q_EUlS1P_E_NS1_11comp_targetILNS1_3genE2ELNS1_11target_archE906ELNS1_3gpuE6ELNS1_3repE0EEENS1_30default_config_static_selectorELNS0_4arch9wavefront6targetE1EEEvS12_,comdat
.Lfunc_end875:
	.size	_ZN7rocprim17ROCPRIM_400000_NS6detail17trampoline_kernelINS0_13select_configILj256ELj13ELNS0_17block_load_methodE3ELS4_3ELS4_3ELNS0_20block_scan_algorithmE0ELj4294967295EEENS1_25partition_config_selectorILNS1_17partition_subalgoE4EjNS0_10empty_typeEbEEZZNS1_14partition_implILS8_4ELb0ES6_15HIP_vector_typeIjLj2EENS0_17counting_iteratorIjlEEPS9_SG_NS0_5tupleIJPjSI_NS0_16reverse_iteratorISI_EEEEENSH_IJSG_SG_SG_EEES9_SI_JZNS1_25segmented_radix_sort_implINS0_14default_configELb1EPKsPsPKlPlN2at6native12_GLOBAL__N_18offset_tEEE10hipError_tPvRmT1_PNSt15iterator_traitsIS12_E10value_typeET2_T3_PNS13_IS18_E10value_typeET4_jRbjT5_S1E_jjP12ihipStream_tbEUljE_ZNSN_ISO_Lb1ESQ_SR_ST_SU_SY_EESZ_S10_S11_S12_S16_S17_S18_S1B_S1C_jS1D_jS1E_S1E_jjS1G_bEUljE0_EEESZ_S10_S11_S18_S1C_S1E_T6_T7_T9_mT8_S1G_bDpT10_ENKUlT_T0_E_clISt17integral_constantIbLb0EES1T_IbLb1EEEEDaS1P_S1Q_EUlS1P_E_NS1_11comp_targetILNS1_3genE2ELNS1_11target_archE906ELNS1_3gpuE6ELNS1_3repE0EEENS1_30default_config_static_selectorELNS0_4arch9wavefront6targetE1EEEvS12_, .Lfunc_end875-_ZN7rocprim17ROCPRIM_400000_NS6detail17trampoline_kernelINS0_13select_configILj256ELj13ELNS0_17block_load_methodE3ELS4_3ELS4_3ELNS0_20block_scan_algorithmE0ELj4294967295EEENS1_25partition_config_selectorILNS1_17partition_subalgoE4EjNS0_10empty_typeEbEEZZNS1_14partition_implILS8_4ELb0ES6_15HIP_vector_typeIjLj2EENS0_17counting_iteratorIjlEEPS9_SG_NS0_5tupleIJPjSI_NS0_16reverse_iteratorISI_EEEEENSH_IJSG_SG_SG_EEES9_SI_JZNS1_25segmented_radix_sort_implINS0_14default_configELb1EPKsPsPKlPlN2at6native12_GLOBAL__N_18offset_tEEE10hipError_tPvRmT1_PNSt15iterator_traitsIS12_E10value_typeET2_T3_PNS13_IS18_E10value_typeET4_jRbjT5_S1E_jjP12ihipStream_tbEUljE_ZNSN_ISO_Lb1ESQ_SR_ST_SU_SY_EESZ_S10_S11_S12_S16_S17_S18_S1B_S1C_jS1D_jS1E_S1E_jjS1G_bEUljE0_EEESZ_S10_S11_S18_S1C_S1E_T6_T7_T9_mT8_S1G_bDpT10_ENKUlT_T0_E_clISt17integral_constantIbLb0EES1T_IbLb1EEEEDaS1P_S1Q_EUlS1P_E_NS1_11comp_targetILNS1_3genE2ELNS1_11target_archE906ELNS1_3gpuE6ELNS1_3repE0EEENS1_30default_config_static_selectorELNS0_4arch9wavefront6targetE1EEEvS12_
                                        ; -- End function
	.set _ZN7rocprim17ROCPRIM_400000_NS6detail17trampoline_kernelINS0_13select_configILj256ELj13ELNS0_17block_load_methodE3ELS4_3ELS4_3ELNS0_20block_scan_algorithmE0ELj4294967295EEENS1_25partition_config_selectorILNS1_17partition_subalgoE4EjNS0_10empty_typeEbEEZZNS1_14partition_implILS8_4ELb0ES6_15HIP_vector_typeIjLj2EENS0_17counting_iteratorIjlEEPS9_SG_NS0_5tupleIJPjSI_NS0_16reverse_iteratorISI_EEEEENSH_IJSG_SG_SG_EEES9_SI_JZNS1_25segmented_radix_sort_implINS0_14default_configELb1EPKsPsPKlPlN2at6native12_GLOBAL__N_18offset_tEEE10hipError_tPvRmT1_PNSt15iterator_traitsIS12_E10value_typeET2_T3_PNS13_IS18_E10value_typeET4_jRbjT5_S1E_jjP12ihipStream_tbEUljE_ZNSN_ISO_Lb1ESQ_SR_ST_SU_SY_EESZ_S10_S11_S12_S16_S17_S18_S1B_S1C_jS1D_jS1E_S1E_jjS1G_bEUljE0_EEESZ_S10_S11_S18_S1C_S1E_T6_T7_T9_mT8_S1G_bDpT10_ENKUlT_T0_E_clISt17integral_constantIbLb0EES1T_IbLb1EEEEDaS1P_S1Q_EUlS1P_E_NS1_11comp_targetILNS1_3genE2ELNS1_11target_archE906ELNS1_3gpuE6ELNS1_3repE0EEENS1_30default_config_static_selectorELNS0_4arch9wavefront6targetE1EEEvS12_.num_vgpr, 91
	.set _ZN7rocprim17ROCPRIM_400000_NS6detail17trampoline_kernelINS0_13select_configILj256ELj13ELNS0_17block_load_methodE3ELS4_3ELS4_3ELNS0_20block_scan_algorithmE0ELj4294967295EEENS1_25partition_config_selectorILNS1_17partition_subalgoE4EjNS0_10empty_typeEbEEZZNS1_14partition_implILS8_4ELb0ES6_15HIP_vector_typeIjLj2EENS0_17counting_iteratorIjlEEPS9_SG_NS0_5tupleIJPjSI_NS0_16reverse_iteratorISI_EEEEENSH_IJSG_SG_SG_EEES9_SI_JZNS1_25segmented_radix_sort_implINS0_14default_configELb1EPKsPsPKlPlN2at6native12_GLOBAL__N_18offset_tEEE10hipError_tPvRmT1_PNSt15iterator_traitsIS12_E10value_typeET2_T3_PNS13_IS18_E10value_typeET4_jRbjT5_S1E_jjP12ihipStream_tbEUljE_ZNSN_ISO_Lb1ESQ_SR_ST_SU_SY_EESZ_S10_S11_S12_S16_S17_S18_S1B_S1C_jS1D_jS1E_S1E_jjS1G_bEUljE0_EEESZ_S10_S11_S18_S1C_S1E_T6_T7_T9_mT8_S1G_bDpT10_ENKUlT_T0_E_clISt17integral_constantIbLb0EES1T_IbLb1EEEEDaS1P_S1Q_EUlS1P_E_NS1_11comp_targetILNS1_3genE2ELNS1_11target_archE906ELNS1_3gpuE6ELNS1_3repE0EEENS1_30default_config_static_selectorELNS0_4arch9wavefront6targetE1EEEvS12_.num_agpr, 0
	.set _ZN7rocprim17ROCPRIM_400000_NS6detail17trampoline_kernelINS0_13select_configILj256ELj13ELNS0_17block_load_methodE3ELS4_3ELS4_3ELNS0_20block_scan_algorithmE0ELj4294967295EEENS1_25partition_config_selectorILNS1_17partition_subalgoE4EjNS0_10empty_typeEbEEZZNS1_14partition_implILS8_4ELb0ES6_15HIP_vector_typeIjLj2EENS0_17counting_iteratorIjlEEPS9_SG_NS0_5tupleIJPjSI_NS0_16reverse_iteratorISI_EEEEENSH_IJSG_SG_SG_EEES9_SI_JZNS1_25segmented_radix_sort_implINS0_14default_configELb1EPKsPsPKlPlN2at6native12_GLOBAL__N_18offset_tEEE10hipError_tPvRmT1_PNSt15iterator_traitsIS12_E10value_typeET2_T3_PNS13_IS18_E10value_typeET4_jRbjT5_S1E_jjP12ihipStream_tbEUljE_ZNSN_ISO_Lb1ESQ_SR_ST_SU_SY_EESZ_S10_S11_S12_S16_S17_S18_S1B_S1C_jS1D_jS1E_S1E_jjS1G_bEUljE0_EEESZ_S10_S11_S18_S1C_S1E_T6_T7_T9_mT8_S1G_bDpT10_ENKUlT_T0_E_clISt17integral_constantIbLb0EES1T_IbLb1EEEEDaS1P_S1Q_EUlS1P_E_NS1_11comp_targetILNS1_3genE2ELNS1_11target_archE906ELNS1_3gpuE6ELNS1_3repE0EEENS1_30default_config_static_selectorELNS0_4arch9wavefront6targetE1EEEvS12_.numbered_sgpr, 87
	.set _ZN7rocprim17ROCPRIM_400000_NS6detail17trampoline_kernelINS0_13select_configILj256ELj13ELNS0_17block_load_methodE3ELS4_3ELS4_3ELNS0_20block_scan_algorithmE0ELj4294967295EEENS1_25partition_config_selectorILNS1_17partition_subalgoE4EjNS0_10empty_typeEbEEZZNS1_14partition_implILS8_4ELb0ES6_15HIP_vector_typeIjLj2EENS0_17counting_iteratorIjlEEPS9_SG_NS0_5tupleIJPjSI_NS0_16reverse_iteratorISI_EEEEENSH_IJSG_SG_SG_EEES9_SI_JZNS1_25segmented_radix_sort_implINS0_14default_configELb1EPKsPsPKlPlN2at6native12_GLOBAL__N_18offset_tEEE10hipError_tPvRmT1_PNSt15iterator_traitsIS12_E10value_typeET2_T3_PNS13_IS18_E10value_typeET4_jRbjT5_S1E_jjP12ihipStream_tbEUljE_ZNSN_ISO_Lb1ESQ_SR_ST_SU_SY_EESZ_S10_S11_S12_S16_S17_S18_S1B_S1C_jS1D_jS1E_S1E_jjS1G_bEUljE0_EEESZ_S10_S11_S18_S1C_S1E_T6_T7_T9_mT8_S1G_bDpT10_ENKUlT_T0_E_clISt17integral_constantIbLb0EES1T_IbLb1EEEEDaS1P_S1Q_EUlS1P_E_NS1_11comp_targetILNS1_3genE2ELNS1_11target_archE906ELNS1_3gpuE6ELNS1_3repE0EEENS1_30default_config_static_selectorELNS0_4arch9wavefront6targetE1EEEvS12_.num_named_barrier, 0
	.set _ZN7rocprim17ROCPRIM_400000_NS6detail17trampoline_kernelINS0_13select_configILj256ELj13ELNS0_17block_load_methodE3ELS4_3ELS4_3ELNS0_20block_scan_algorithmE0ELj4294967295EEENS1_25partition_config_selectorILNS1_17partition_subalgoE4EjNS0_10empty_typeEbEEZZNS1_14partition_implILS8_4ELb0ES6_15HIP_vector_typeIjLj2EENS0_17counting_iteratorIjlEEPS9_SG_NS0_5tupleIJPjSI_NS0_16reverse_iteratorISI_EEEEENSH_IJSG_SG_SG_EEES9_SI_JZNS1_25segmented_radix_sort_implINS0_14default_configELb1EPKsPsPKlPlN2at6native12_GLOBAL__N_18offset_tEEE10hipError_tPvRmT1_PNSt15iterator_traitsIS12_E10value_typeET2_T3_PNS13_IS18_E10value_typeET4_jRbjT5_S1E_jjP12ihipStream_tbEUljE_ZNSN_ISO_Lb1ESQ_SR_ST_SU_SY_EESZ_S10_S11_S12_S16_S17_S18_S1B_S1C_jS1D_jS1E_S1E_jjS1G_bEUljE0_EEESZ_S10_S11_S18_S1C_S1E_T6_T7_T9_mT8_S1G_bDpT10_ENKUlT_T0_E_clISt17integral_constantIbLb0EES1T_IbLb1EEEEDaS1P_S1Q_EUlS1P_E_NS1_11comp_targetILNS1_3genE2ELNS1_11target_archE906ELNS1_3gpuE6ELNS1_3repE0EEENS1_30default_config_static_selectorELNS0_4arch9wavefront6targetE1EEEvS12_.private_seg_size, 0
	.set _ZN7rocprim17ROCPRIM_400000_NS6detail17trampoline_kernelINS0_13select_configILj256ELj13ELNS0_17block_load_methodE3ELS4_3ELS4_3ELNS0_20block_scan_algorithmE0ELj4294967295EEENS1_25partition_config_selectorILNS1_17partition_subalgoE4EjNS0_10empty_typeEbEEZZNS1_14partition_implILS8_4ELb0ES6_15HIP_vector_typeIjLj2EENS0_17counting_iteratorIjlEEPS9_SG_NS0_5tupleIJPjSI_NS0_16reverse_iteratorISI_EEEEENSH_IJSG_SG_SG_EEES9_SI_JZNS1_25segmented_radix_sort_implINS0_14default_configELb1EPKsPsPKlPlN2at6native12_GLOBAL__N_18offset_tEEE10hipError_tPvRmT1_PNSt15iterator_traitsIS12_E10value_typeET2_T3_PNS13_IS18_E10value_typeET4_jRbjT5_S1E_jjP12ihipStream_tbEUljE_ZNSN_ISO_Lb1ESQ_SR_ST_SU_SY_EESZ_S10_S11_S12_S16_S17_S18_S1B_S1C_jS1D_jS1E_S1E_jjS1G_bEUljE0_EEESZ_S10_S11_S18_S1C_S1E_T6_T7_T9_mT8_S1G_bDpT10_ENKUlT_T0_E_clISt17integral_constantIbLb0EES1T_IbLb1EEEEDaS1P_S1Q_EUlS1P_E_NS1_11comp_targetILNS1_3genE2ELNS1_11target_archE906ELNS1_3gpuE6ELNS1_3repE0EEENS1_30default_config_static_selectorELNS0_4arch9wavefront6targetE1EEEvS12_.uses_vcc, 1
	.set _ZN7rocprim17ROCPRIM_400000_NS6detail17trampoline_kernelINS0_13select_configILj256ELj13ELNS0_17block_load_methodE3ELS4_3ELS4_3ELNS0_20block_scan_algorithmE0ELj4294967295EEENS1_25partition_config_selectorILNS1_17partition_subalgoE4EjNS0_10empty_typeEbEEZZNS1_14partition_implILS8_4ELb0ES6_15HIP_vector_typeIjLj2EENS0_17counting_iteratorIjlEEPS9_SG_NS0_5tupleIJPjSI_NS0_16reverse_iteratorISI_EEEEENSH_IJSG_SG_SG_EEES9_SI_JZNS1_25segmented_radix_sort_implINS0_14default_configELb1EPKsPsPKlPlN2at6native12_GLOBAL__N_18offset_tEEE10hipError_tPvRmT1_PNSt15iterator_traitsIS12_E10value_typeET2_T3_PNS13_IS18_E10value_typeET4_jRbjT5_S1E_jjP12ihipStream_tbEUljE_ZNSN_ISO_Lb1ESQ_SR_ST_SU_SY_EESZ_S10_S11_S12_S16_S17_S18_S1B_S1C_jS1D_jS1E_S1E_jjS1G_bEUljE0_EEESZ_S10_S11_S18_S1C_S1E_T6_T7_T9_mT8_S1G_bDpT10_ENKUlT_T0_E_clISt17integral_constantIbLb0EES1T_IbLb1EEEEDaS1P_S1Q_EUlS1P_E_NS1_11comp_targetILNS1_3genE2ELNS1_11target_archE906ELNS1_3gpuE6ELNS1_3repE0EEENS1_30default_config_static_selectorELNS0_4arch9wavefront6targetE1EEEvS12_.uses_flat_scratch, 0
	.set _ZN7rocprim17ROCPRIM_400000_NS6detail17trampoline_kernelINS0_13select_configILj256ELj13ELNS0_17block_load_methodE3ELS4_3ELS4_3ELNS0_20block_scan_algorithmE0ELj4294967295EEENS1_25partition_config_selectorILNS1_17partition_subalgoE4EjNS0_10empty_typeEbEEZZNS1_14partition_implILS8_4ELb0ES6_15HIP_vector_typeIjLj2EENS0_17counting_iteratorIjlEEPS9_SG_NS0_5tupleIJPjSI_NS0_16reverse_iteratorISI_EEEEENSH_IJSG_SG_SG_EEES9_SI_JZNS1_25segmented_radix_sort_implINS0_14default_configELb1EPKsPsPKlPlN2at6native12_GLOBAL__N_18offset_tEEE10hipError_tPvRmT1_PNSt15iterator_traitsIS12_E10value_typeET2_T3_PNS13_IS18_E10value_typeET4_jRbjT5_S1E_jjP12ihipStream_tbEUljE_ZNSN_ISO_Lb1ESQ_SR_ST_SU_SY_EESZ_S10_S11_S12_S16_S17_S18_S1B_S1C_jS1D_jS1E_S1E_jjS1G_bEUljE0_EEESZ_S10_S11_S18_S1C_S1E_T6_T7_T9_mT8_S1G_bDpT10_ENKUlT_T0_E_clISt17integral_constantIbLb0EES1T_IbLb1EEEEDaS1P_S1Q_EUlS1P_E_NS1_11comp_targetILNS1_3genE2ELNS1_11target_archE906ELNS1_3gpuE6ELNS1_3repE0EEENS1_30default_config_static_selectorELNS0_4arch9wavefront6targetE1EEEvS12_.has_dyn_sized_stack, 0
	.set _ZN7rocprim17ROCPRIM_400000_NS6detail17trampoline_kernelINS0_13select_configILj256ELj13ELNS0_17block_load_methodE3ELS4_3ELS4_3ELNS0_20block_scan_algorithmE0ELj4294967295EEENS1_25partition_config_selectorILNS1_17partition_subalgoE4EjNS0_10empty_typeEbEEZZNS1_14partition_implILS8_4ELb0ES6_15HIP_vector_typeIjLj2EENS0_17counting_iteratorIjlEEPS9_SG_NS0_5tupleIJPjSI_NS0_16reverse_iteratorISI_EEEEENSH_IJSG_SG_SG_EEES9_SI_JZNS1_25segmented_radix_sort_implINS0_14default_configELb1EPKsPsPKlPlN2at6native12_GLOBAL__N_18offset_tEEE10hipError_tPvRmT1_PNSt15iterator_traitsIS12_E10value_typeET2_T3_PNS13_IS18_E10value_typeET4_jRbjT5_S1E_jjP12ihipStream_tbEUljE_ZNSN_ISO_Lb1ESQ_SR_ST_SU_SY_EESZ_S10_S11_S12_S16_S17_S18_S1B_S1C_jS1D_jS1E_S1E_jjS1G_bEUljE0_EEESZ_S10_S11_S18_S1C_S1E_T6_T7_T9_mT8_S1G_bDpT10_ENKUlT_T0_E_clISt17integral_constantIbLb0EES1T_IbLb1EEEEDaS1P_S1Q_EUlS1P_E_NS1_11comp_targetILNS1_3genE2ELNS1_11target_archE906ELNS1_3gpuE6ELNS1_3repE0EEENS1_30default_config_static_selectorELNS0_4arch9wavefront6targetE1EEEvS12_.has_recursion, 0
	.set _ZN7rocprim17ROCPRIM_400000_NS6detail17trampoline_kernelINS0_13select_configILj256ELj13ELNS0_17block_load_methodE3ELS4_3ELS4_3ELNS0_20block_scan_algorithmE0ELj4294967295EEENS1_25partition_config_selectorILNS1_17partition_subalgoE4EjNS0_10empty_typeEbEEZZNS1_14partition_implILS8_4ELb0ES6_15HIP_vector_typeIjLj2EENS0_17counting_iteratorIjlEEPS9_SG_NS0_5tupleIJPjSI_NS0_16reverse_iteratorISI_EEEEENSH_IJSG_SG_SG_EEES9_SI_JZNS1_25segmented_radix_sort_implINS0_14default_configELb1EPKsPsPKlPlN2at6native12_GLOBAL__N_18offset_tEEE10hipError_tPvRmT1_PNSt15iterator_traitsIS12_E10value_typeET2_T3_PNS13_IS18_E10value_typeET4_jRbjT5_S1E_jjP12ihipStream_tbEUljE_ZNSN_ISO_Lb1ESQ_SR_ST_SU_SY_EESZ_S10_S11_S12_S16_S17_S18_S1B_S1C_jS1D_jS1E_S1E_jjS1G_bEUljE0_EEESZ_S10_S11_S18_S1C_S1E_T6_T7_T9_mT8_S1G_bDpT10_ENKUlT_T0_E_clISt17integral_constantIbLb0EES1T_IbLb1EEEEDaS1P_S1Q_EUlS1P_E_NS1_11comp_targetILNS1_3genE2ELNS1_11target_archE906ELNS1_3gpuE6ELNS1_3repE0EEENS1_30default_config_static_selectorELNS0_4arch9wavefront6targetE1EEEvS12_.has_indirect_call, 0
	.section	.AMDGPU.csdata,"",@progbits
; Kernel info:
; codeLenInByte = 15580
; TotalNumSgprs: 91
; NumVgprs: 91
; ScratchSize: 0
; MemoryBound: 0
; FloatMode: 240
; IeeeMode: 1
; LDSByteSize: 13328 bytes/workgroup (compile time only)
; SGPRBlocks: 12
; VGPRBlocks: 22
; NumSGPRsForWavesPerEU: 102
; NumVGPRsForWavesPerEU: 91
; Occupancy: 2
; WaveLimiterHint : 1
; COMPUTE_PGM_RSRC2:SCRATCH_EN: 0
; COMPUTE_PGM_RSRC2:USER_SGPR: 6
; COMPUTE_PGM_RSRC2:TRAP_HANDLER: 0
; COMPUTE_PGM_RSRC2:TGID_X_EN: 1
; COMPUTE_PGM_RSRC2:TGID_Y_EN: 0
; COMPUTE_PGM_RSRC2:TGID_Z_EN: 0
; COMPUTE_PGM_RSRC2:TIDIG_COMP_CNT: 0
	.section	.text._ZN7rocprim17ROCPRIM_400000_NS6detail17trampoline_kernelINS0_13select_configILj256ELj13ELNS0_17block_load_methodE3ELS4_3ELS4_3ELNS0_20block_scan_algorithmE0ELj4294967295EEENS1_25partition_config_selectorILNS1_17partition_subalgoE4EjNS0_10empty_typeEbEEZZNS1_14partition_implILS8_4ELb0ES6_15HIP_vector_typeIjLj2EENS0_17counting_iteratorIjlEEPS9_SG_NS0_5tupleIJPjSI_NS0_16reverse_iteratorISI_EEEEENSH_IJSG_SG_SG_EEES9_SI_JZNS1_25segmented_radix_sort_implINS0_14default_configELb1EPKsPsPKlPlN2at6native12_GLOBAL__N_18offset_tEEE10hipError_tPvRmT1_PNSt15iterator_traitsIS12_E10value_typeET2_T3_PNS13_IS18_E10value_typeET4_jRbjT5_S1E_jjP12ihipStream_tbEUljE_ZNSN_ISO_Lb1ESQ_SR_ST_SU_SY_EESZ_S10_S11_S12_S16_S17_S18_S1B_S1C_jS1D_jS1E_S1E_jjS1G_bEUljE0_EEESZ_S10_S11_S18_S1C_S1E_T6_T7_T9_mT8_S1G_bDpT10_ENKUlT_T0_E_clISt17integral_constantIbLb0EES1T_IbLb1EEEEDaS1P_S1Q_EUlS1P_E_NS1_11comp_targetILNS1_3genE10ELNS1_11target_archE1200ELNS1_3gpuE4ELNS1_3repE0EEENS1_30default_config_static_selectorELNS0_4arch9wavefront6targetE1EEEvS12_,"axG",@progbits,_ZN7rocprim17ROCPRIM_400000_NS6detail17trampoline_kernelINS0_13select_configILj256ELj13ELNS0_17block_load_methodE3ELS4_3ELS4_3ELNS0_20block_scan_algorithmE0ELj4294967295EEENS1_25partition_config_selectorILNS1_17partition_subalgoE4EjNS0_10empty_typeEbEEZZNS1_14partition_implILS8_4ELb0ES6_15HIP_vector_typeIjLj2EENS0_17counting_iteratorIjlEEPS9_SG_NS0_5tupleIJPjSI_NS0_16reverse_iteratorISI_EEEEENSH_IJSG_SG_SG_EEES9_SI_JZNS1_25segmented_radix_sort_implINS0_14default_configELb1EPKsPsPKlPlN2at6native12_GLOBAL__N_18offset_tEEE10hipError_tPvRmT1_PNSt15iterator_traitsIS12_E10value_typeET2_T3_PNS13_IS18_E10value_typeET4_jRbjT5_S1E_jjP12ihipStream_tbEUljE_ZNSN_ISO_Lb1ESQ_SR_ST_SU_SY_EESZ_S10_S11_S12_S16_S17_S18_S1B_S1C_jS1D_jS1E_S1E_jjS1G_bEUljE0_EEESZ_S10_S11_S18_S1C_S1E_T6_T7_T9_mT8_S1G_bDpT10_ENKUlT_T0_E_clISt17integral_constantIbLb0EES1T_IbLb1EEEEDaS1P_S1Q_EUlS1P_E_NS1_11comp_targetILNS1_3genE10ELNS1_11target_archE1200ELNS1_3gpuE4ELNS1_3repE0EEENS1_30default_config_static_selectorELNS0_4arch9wavefront6targetE1EEEvS12_,comdat
	.globl	_ZN7rocprim17ROCPRIM_400000_NS6detail17trampoline_kernelINS0_13select_configILj256ELj13ELNS0_17block_load_methodE3ELS4_3ELS4_3ELNS0_20block_scan_algorithmE0ELj4294967295EEENS1_25partition_config_selectorILNS1_17partition_subalgoE4EjNS0_10empty_typeEbEEZZNS1_14partition_implILS8_4ELb0ES6_15HIP_vector_typeIjLj2EENS0_17counting_iteratorIjlEEPS9_SG_NS0_5tupleIJPjSI_NS0_16reverse_iteratorISI_EEEEENSH_IJSG_SG_SG_EEES9_SI_JZNS1_25segmented_radix_sort_implINS0_14default_configELb1EPKsPsPKlPlN2at6native12_GLOBAL__N_18offset_tEEE10hipError_tPvRmT1_PNSt15iterator_traitsIS12_E10value_typeET2_T3_PNS13_IS18_E10value_typeET4_jRbjT5_S1E_jjP12ihipStream_tbEUljE_ZNSN_ISO_Lb1ESQ_SR_ST_SU_SY_EESZ_S10_S11_S12_S16_S17_S18_S1B_S1C_jS1D_jS1E_S1E_jjS1G_bEUljE0_EEESZ_S10_S11_S18_S1C_S1E_T6_T7_T9_mT8_S1G_bDpT10_ENKUlT_T0_E_clISt17integral_constantIbLb0EES1T_IbLb1EEEEDaS1P_S1Q_EUlS1P_E_NS1_11comp_targetILNS1_3genE10ELNS1_11target_archE1200ELNS1_3gpuE4ELNS1_3repE0EEENS1_30default_config_static_selectorELNS0_4arch9wavefront6targetE1EEEvS12_ ; -- Begin function _ZN7rocprim17ROCPRIM_400000_NS6detail17trampoline_kernelINS0_13select_configILj256ELj13ELNS0_17block_load_methodE3ELS4_3ELS4_3ELNS0_20block_scan_algorithmE0ELj4294967295EEENS1_25partition_config_selectorILNS1_17partition_subalgoE4EjNS0_10empty_typeEbEEZZNS1_14partition_implILS8_4ELb0ES6_15HIP_vector_typeIjLj2EENS0_17counting_iteratorIjlEEPS9_SG_NS0_5tupleIJPjSI_NS0_16reverse_iteratorISI_EEEEENSH_IJSG_SG_SG_EEES9_SI_JZNS1_25segmented_radix_sort_implINS0_14default_configELb1EPKsPsPKlPlN2at6native12_GLOBAL__N_18offset_tEEE10hipError_tPvRmT1_PNSt15iterator_traitsIS12_E10value_typeET2_T3_PNS13_IS18_E10value_typeET4_jRbjT5_S1E_jjP12ihipStream_tbEUljE_ZNSN_ISO_Lb1ESQ_SR_ST_SU_SY_EESZ_S10_S11_S12_S16_S17_S18_S1B_S1C_jS1D_jS1E_S1E_jjS1G_bEUljE0_EEESZ_S10_S11_S18_S1C_S1E_T6_T7_T9_mT8_S1G_bDpT10_ENKUlT_T0_E_clISt17integral_constantIbLb0EES1T_IbLb1EEEEDaS1P_S1Q_EUlS1P_E_NS1_11comp_targetILNS1_3genE10ELNS1_11target_archE1200ELNS1_3gpuE4ELNS1_3repE0EEENS1_30default_config_static_selectorELNS0_4arch9wavefront6targetE1EEEvS12_
	.p2align	8
	.type	_ZN7rocprim17ROCPRIM_400000_NS6detail17trampoline_kernelINS0_13select_configILj256ELj13ELNS0_17block_load_methodE3ELS4_3ELS4_3ELNS0_20block_scan_algorithmE0ELj4294967295EEENS1_25partition_config_selectorILNS1_17partition_subalgoE4EjNS0_10empty_typeEbEEZZNS1_14partition_implILS8_4ELb0ES6_15HIP_vector_typeIjLj2EENS0_17counting_iteratorIjlEEPS9_SG_NS0_5tupleIJPjSI_NS0_16reverse_iteratorISI_EEEEENSH_IJSG_SG_SG_EEES9_SI_JZNS1_25segmented_radix_sort_implINS0_14default_configELb1EPKsPsPKlPlN2at6native12_GLOBAL__N_18offset_tEEE10hipError_tPvRmT1_PNSt15iterator_traitsIS12_E10value_typeET2_T3_PNS13_IS18_E10value_typeET4_jRbjT5_S1E_jjP12ihipStream_tbEUljE_ZNSN_ISO_Lb1ESQ_SR_ST_SU_SY_EESZ_S10_S11_S12_S16_S17_S18_S1B_S1C_jS1D_jS1E_S1E_jjS1G_bEUljE0_EEESZ_S10_S11_S18_S1C_S1E_T6_T7_T9_mT8_S1G_bDpT10_ENKUlT_T0_E_clISt17integral_constantIbLb0EES1T_IbLb1EEEEDaS1P_S1Q_EUlS1P_E_NS1_11comp_targetILNS1_3genE10ELNS1_11target_archE1200ELNS1_3gpuE4ELNS1_3repE0EEENS1_30default_config_static_selectorELNS0_4arch9wavefront6targetE1EEEvS12_,@function
_ZN7rocprim17ROCPRIM_400000_NS6detail17trampoline_kernelINS0_13select_configILj256ELj13ELNS0_17block_load_methodE3ELS4_3ELS4_3ELNS0_20block_scan_algorithmE0ELj4294967295EEENS1_25partition_config_selectorILNS1_17partition_subalgoE4EjNS0_10empty_typeEbEEZZNS1_14partition_implILS8_4ELb0ES6_15HIP_vector_typeIjLj2EENS0_17counting_iteratorIjlEEPS9_SG_NS0_5tupleIJPjSI_NS0_16reverse_iteratorISI_EEEEENSH_IJSG_SG_SG_EEES9_SI_JZNS1_25segmented_radix_sort_implINS0_14default_configELb1EPKsPsPKlPlN2at6native12_GLOBAL__N_18offset_tEEE10hipError_tPvRmT1_PNSt15iterator_traitsIS12_E10value_typeET2_T3_PNS13_IS18_E10value_typeET4_jRbjT5_S1E_jjP12ihipStream_tbEUljE_ZNSN_ISO_Lb1ESQ_SR_ST_SU_SY_EESZ_S10_S11_S12_S16_S17_S18_S1B_S1C_jS1D_jS1E_S1E_jjS1G_bEUljE0_EEESZ_S10_S11_S18_S1C_S1E_T6_T7_T9_mT8_S1G_bDpT10_ENKUlT_T0_E_clISt17integral_constantIbLb0EES1T_IbLb1EEEEDaS1P_S1Q_EUlS1P_E_NS1_11comp_targetILNS1_3genE10ELNS1_11target_archE1200ELNS1_3gpuE4ELNS1_3repE0EEENS1_30default_config_static_selectorELNS0_4arch9wavefront6targetE1EEEvS12_: ; @_ZN7rocprim17ROCPRIM_400000_NS6detail17trampoline_kernelINS0_13select_configILj256ELj13ELNS0_17block_load_methodE3ELS4_3ELS4_3ELNS0_20block_scan_algorithmE0ELj4294967295EEENS1_25partition_config_selectorILNS1_17partition_subalgoE4EjNS0_10empty_typeEbEEZZNS1_14partition_implILS8_4ELb0ES6_15HIP_vector_typeIjLj2EENS0_17counting_iteratorIjlEEPS9_SG_NS0_5tupleIJPjSI_NS0_16reverse_iteratorISI_EEEEENSH_IJSG_SG_SG_EEES9_SI_JZNS1_25segmented_radix_sort_implINS0_14default_configELb1EPKsPsPKlPlN2at6native12_GLOBAL__N_18offset_tEEE10hipError_tPvRmT1_PNSt15iterator_traitsIS12_E10value_typeET2_T3_PNS13_IS18_E10value_typeET4_jRbjT5_S1E_jjP12ihipStream_tbEUljE_ZNSN_ISO_Lb1ESQ_SR_ST_SU_SY_EESZ_S10_S11_S12_S16_S17_S18_S1B_S1C_jS1D_jS1E_S1E_jjS1G_bEUljE0_EEESZ_S10_S11_S18_S1C_S1E_T6_T7_T9_mT8_S1G_bDpT10_ENKUlT_T0_E_clISt17integral_constantIbLb0EES1T_IbLb1EEEEDaS1P_S1Q_EUlS1P_E_NS1_11comp_targetILNS1_3genE10ELNS1_11target_archE1200ELNS1_3gpuE4ELNS1_3repE0EEENS1_30default_config_static_selectorELNS0_4arch9wavefront6targetE1EEEvS12_
; %bb.0:
	.section	.rodata,"a",@progbits
	.p2align	6, 0x0
	.amdhsa_kernel _ZN7rocprim17ROCPRIM_400000_NS6detail17trampoline_kernelINS0_13select_configILj256ELj13ELNS0_17block_load_methodE3ELS4_3ELS4_3ELNS0_20block_scan_algorithmE0ELj4294967295EEENS1_25partition_config_selectorILNS1_17partition_subalgoE4EjNS0_10empty_typeEbEEZZNS1_14partition_implILS8_4ELb0ES6_15HIP_vector_typeIjLj2EENS0_17counting_iteratorIjlEEPS9_SG_NS0_5tupleIJPjSI_NS0_16reverse_iteratorISI_EEEEENSH_IJSG_SG_SG_EEES9_SI_JZNS1_25segmented_radix_sort_implINS0_14default_configELb1EPKsPsPKlPlN2at6native12_GLOBAL__N_18offset_tEEE10hipError_tPvRmT1_PNSt15iterator_traitsIS12_E10value_typeET2_T3_PNS13_IS18_E10value_typeET4_jRbjT5_S1E_jjP12ihipStream_tbEUljE_ZNSN_ISO_Lb1ESQ_SR_ST_SU_SY_EESZ_S10_S11_S12_S16_S17_S18_S1B_S1C_jS1D_jS1E_S1E_jjS1G_bEUljE0_EEESZ_S10_S11_S18_S1C_S1E_T6_T7_T9_mT8_S1G_bDpT10_ENKUlT_T0_E_clISt17integral_constantIbLb0EES1T_IbLb1EEEEDaS1P_S1Q_EUlS1P_E_NS1_11comp_targetILNS1_3genE10ELNS1_11target_archE1200ELNS1_3gpuE4ELNS1_3repE0EEENS1_30default_config_static_selectorELNS0_4arch9wavefront6targetE1EEEvS12_
		.amdhsa_group_segment_fixed_size 0
		.amdhsa_private_segment_fixed_size 0
		.amdhsa_kernarg_size 184
		.amdhsa_user_sgpr_count 6
		.amdhsa_user_sgpr_private_segment_buffer 1
		.amdhsa_user_sgpr_dispatch_ptr 0
		.amdhsa_user_sgpr_queue_ptr 0
		.amdhsa_user_sgpr_kernarg_segment_ptr 1
		.amdhsa_user_sgpr_dispatch_id 0
		.amdhsa_user_sgpr_flat_scratch_init 0
		.amdhsa_user_sgpr_private_segment_size 0
		.amdhsa_uses_dynamic_stack 0
		.amdhsa_system_sgpr_private_segment_wavefront_offset 0
		.amdhsa_system_sgpr_workgroup_id_x 1
		.amdhsa_system_sgpr_workgroup_id_y 0
		.amdhsa_system_sgpr_workgroup_id_z 0
		.amdhsa_system_sgpr_workgroup_info 0
		.amdhsa_system_vgpr_workitem_id 0
		.amdhsa_next_free_vgpr 1
		.amdhsa_next_free_sgpr 0
		.amdhsa_reserve_vcc 0
		.amdhsa_reserve_flat_scratch 0
		.amdhsa_float_round_mode_32 0
		.amdhsa_float_round_mode_16_64 0
		.amdhsa_float_denorm_mode_32 3
		.amdhsa_float_denorm_mode_16_64 3
		.amdhsa_dx10_clamp 1
		.amdhsa_ieee_mode 1
		.amdhsa_fp16_overflow 0
		.amdhsa_exception_fp_ieee_invalid_op 0
		.amdhsa_exception_fp_denorm_src 0
		.amdhsa_exception_fp_ieee_div_zero 0
		.amdhsa_exception_fp_ieee_overflow 0
		.amdhsa_exception_fp_ieee_underflow 0
		.amdhsa_exception_fp_ieee_inexact 0
		.amdhsa_exception_int_div_zero 0
	.end_amdhsa_kernel
	.section	.text._ZN7rocprim17ROCPRIM_400000_NS6detail17trampoline_kernelINS0_13select_configILj256ELj13ELNS0_17block_load_methodE3ELS4_3ELS4_3ELNS0_20block_scan_algorithmE0ELj4294967295EEENS1_25partition_config_selectorILNS1_17partition_subalgoE4EjNS0_10empty_typeEbEEZZNS1_14partition_implILS8_4ELb0ES6_15HIP_vector_typeIjLj2EENS0_17counting_iteratorIjlEEPS9_SG_NS0_5tupleIJPjSI_NS0_16reverse_iteratorISI_EEEEENSH_IJSG_SG_SG_EEES9_SI_JZNS1_25segmented_radix_sort_implINS0_14default_configELb1EPKsPsPKlPlN2at6native12_GLOBAL__N_18offset_tEEE10hipError_tPvRmT1_PNSt15iterator_traitsIS12_E10value_typeET2_T3_PNS13_IS18_E10value_typeET4_jRbjT5_S1E_jjP12ihipStream_tbEUljE_ZNSN_ISO_Lb1ESQ_SR_ST_SU_SY_EESZ_S10_S11_S12_S16_S17_S18_S1B_S1C_jS1D_jS1E_S1E_jjS1G_bEUljE0_EEESZ_S10_S11_S18_S1C_S1E_T6_T7_T9_mT8_S1G_bDpT10_ENKUlT_T0_E_clISt17integral_constantIbLb0EES1T_IbLb1EEEEDaS1P_S1Q_EUlS1P_E_NS1_11comp_targetILNS1_3genE10ELNS1_11target_archE1200ELNS1_3gpuE4ELNS1_3repE0EEENS1_30default_config_static_selectorELNS0_4arch9wavefront6targetE1EEEvS12_,"axG",@progbits,_ZN7rocprim17ROCPRIM_400000_NS6detail17trampoline_kernelINS0_13select_configILj256ELj13ELNS0_17block_load_methodE3ELS4_3ELS4_3ELNS0_20block_scan_algorithmE0ELj4294967295EEENS1_25partition_config_selectorILNS1_17partition_subalgoE4EjNS0_10empty_typeEbEEZZNS1_14partition_implILS8_4ELb0ES6_15HIP_vector_typeIjLj2EENS0_17counting_iteratorIjlEEPS9_SG_NS0_5tupleIJPjSI_NS0_16reverse_iteratorISI_EEEEENSH_IJSG_SG_SG_EEES9_SI_JZNS1_25segmented_radix_sort_implINS0_14default_configELb1EPKsPsPKlPlN2at6native12_GLOBAL__N_18offset_tEEE10hipError_tPvRmT1_PNSt15iterator_traitsIS12_E10value_typeET2_T3_PNS13_IS18_E10value_typeET4_jRbjT5_S1E_jjP12ihipStream_tbEUljE_ZNSN_ISO_Lb1ESQ_SR_ST_SU_SY_EESZ_S10_S11_S12_S16_S17_S18_S1B_S1C_jS1D_jS1E_S1E_jjS1G_bEUljE0_EEESZ_S10_S11_S18_S1C_S1E_T6_T7_T9_mT8_S1G_bDpT10_ENKUlT_T0_E_clISt17integral_constantIbLb0EES1T_IbLb1EEEEDaS1P_S1Q_EUlS1P_E_NS1_11comp_targetILNS1_3genE10ELNS1_11target_archE1200ELNS1_3gpuE4ELNS1_3repE0EEENS1_30default_config_static_selectorELNS0_4arch9wavefront6targetE1EEEvS12_,comdat
.Lfunc_end876:
	.size	_ZN7rocprim17ROCPRIM_400000_NS6detail17trampoline_kernelINS0_13select_configILj256ELj13ELNS0_17block_load_methodE3ELS4_3ELS4_3ELNS0_20block_scan_algorithmE0ELj4294967295EEENS1_25partition_config_selectorILNS1_17partition_subalgoE4EjNS0_10empty_typeEbEEZZNS1_14partition_implILS8_4ELb0ES6_15HIP_vector_typeIjLj2EENS0_17counting_iteratorIjlEEPS9_SG_NS0_5tupleIJPjSI_NS0_16reverse_iteratorISI_EEEEENSH_IJSG_SG_SG_EEES9_SI_JZNS1_25segmented_radix_sort_implINS0_14default_configELb1EPKsPsPKlPlN2at6native12_GLOBAL__N_18offset_tEEE10hipError_tPvRmT1_PNSt15iterator_traitsIS12_E10value_typeET2_T3_PNS13_IS18_E10value_typeET4_jRbjT5_S1E_jjP12ihipStream_tbEUljE_ZNSN_ISO_Lb1ESQ_SR_ST_SU_SY_EESZ_S10_S11_S12_S16_S17_S18_S1B_S1C_jS1D_jS1E_S1E_jjS1G_bEUljE0_EEESZ_S10_S11_S18_S1C_S1E_T6_T7_T9_mT8_S1G_bDpT10_ENKUlT_T0_E_clISt17integral_constantIbLb0EES1T_IbLb1EEEEDaS1P_S1Q_EUlS1P_E_NS1_11comp_targetILNS1_3genE10ELNS1_11target_archE1200ELNS1_3gpuE4ELNS1_3repE0EEENS1_30default_config_static_selectorELNS0_4arch9wavefront6targetE1EEEvS12_, .Lfunc_end876-_ZN7rocprim17ROCPRIM_400000_NS6detail17trampoline_kernelINS0_13select_configILj256ELj13ELNS0_17block_load_methodE3ELS4_3ELS4_3ELNS0_20block_scan_algorithmE0ELj4294967295EEENS1_25partition_config_selectorILNS1_17partition_subalgoE4EjNS0_10empty_typeEbEEZZNS1_14partition_implILS8_4ELb0ES6_15HIP_vector_typeIjLj2EENS0_17counting_iteratorIjlEEPS9_SG_NS0_5tupleIJPjSI_NS0_16reverse_iteratorISI_EEEEENSH_IJSG_SG_SG_EEES9_SI_JZNS1_25segmented_radix_sort_implINS0_14default_configELb1EPKsPsPKlPlN2at6native12_GLOBAL__N_18offset_tEEE10hipError_tPvRmT1_PNSt15iterator_traitsIS12_E10value_typeET2_T3_PNS13_IS18_E10value_typeET4_jRbjT5_S1E_jjP12ihipStream_tbEUljE_ZNSN_ISO_Lb1ESQ_SR_ST_SU_SY_EESZ_S10_S11_S12_S16_S17_S18_S1B_S1C_jS1D_jS1E_S1E_jjS1G_bEUljE0_EEESZ_S10_S11_S18_S1C_S1E_T6_T7_T9_mT8_S1G_bDpT10_ENKUlT_T0_E_clISt17integral_constantIbLb0EES1T_IbLb1EEEEDaS1P_S1Q_EUlS1P_E_NS1_11comp_targetILNS1_3genE10ELNS1_11target_archE1200ELNS1_3gpuE4ELNS1_3repE0EEENS1_30default_config_static_selectorELNS0_4arch9wavefront6targetE1EEEvS12_
                                        ; -- End function
	.set _ZN7rocprim17ROCPRIM_400000_NS6detail17trampoline_kernelINS0_13select_configILj256ELj13ELNS0_17block_load_methodE3ELS4_3ELS4_3ELNS0_20block_scan_algorithmE0ELj4294967295EEENS1_25partition_config_selectorILNS1_17partition_subalgoE4EjNS0_10empty_typeEbEEZZNS1_14partition_implILS8_4ELb0ES6_15HIP_vector_typeIjLj2EENS0_17counting_iteratorIjlEEPS9_SG_NS0_5tupleIJPjSI_NS0_16reverse_iteratorISI_EEEEENSH_IJSG_SG_SG_EEES9_SI_JZNS1_25segmented_radix_sort_implINS0_14default_configELb1EPKsPsPKlPlN2at6native12_GLOBAL__N_18offset_tEEE10hipError_tPvRmT1_PNSt15iterator_traitsIS12_E10value_typeET2_T3_PNS13_IS18_E10value_typeET4_jRbjT5_S1E_jjP12ihipStream_tbEUljE_ZNSN_ISO_Lb1ESQ_SR_ST_SU_SY_EESZ_S10_S11_S12_S16_S17_S18_S1B_S1C_jS1D_jS1E_S1E_jjS1G_bEUljE0_EEESZ_S10_S11_S18_S1C_S1E_T6_T7_T9_mT8_S1G_bDpT10_ENKUlT_T0_E_clISt17integral_constantIbLb0EES1T_IbLb1EEEEDaS1P_S1Q_EUlS1P_E_NS1_11comp_targetILNS1_3genE10ELNS1_11target_archE1200ELNS1_3gpuE4ELNS1_3repE0EEENS1_30default_config_static_selectorELNS0_4arch9wavefront6targetE1EEEvS12_.num_vgpr, 0
	.set _ZN7rocprim17ROCPRIM_400000_NS6detail17trampoline_kernelINS0_13select_configILj256ELj13ELNS0_17block_load_methodE3ELS4_3ELS4_3ELNS0_20block_scan_algorithmE0ELj4294967295EEENS1_25partition_config_selectorILNS1_17partition_subalgoE4EjNS0_10empty_typeEbEEZZNS1_14partition_implILS8_4ELb0ES6_15HIP_vector_typeIjLj2EENS0_17counting_iteratorIjlEEPS9_SG_NS0_5tupleIJPjSI_NS0_16reverse_iteratorISI_EEEEENSH_IJSG_SG_SG_EEES9_SI_JZNS1_25segmented_radix_sort_implINS0_14default_configELb1EPKsPsPKlPlN2at6native12_GLOBAL__N_18offset_tEEE10hipError_tPvRmT1_PNSt15iterator_traitsIS12_E10value_typeET2_T3_PNS13_IS18_E10value_typeET4_jRbjT5_S1E_jjP12ihipStream_tbEUljE_ZNSN_ISO_Lb1ESQ_SR_ST_SU_SY_EESZ_S10_S11_S12_S16_S17_S18_S1B_S1C_jS1D_jS1E_S1E_jjS1G_bEUljE0_EEESZ_S10_S11_S18_S1C_S1E_T6_T7_T9_mT8_S1G_bDpT10_ENKUlT_T0_E_clISt17integral_constantIbLb0EES1T_IbLb1EEEEDaS1P_S1Q_EUlS1P_E_NS1_11comp_targetILNS1_3genE10ELNS1_11target_archE1200ELNS1_3gpuE4ELNS1_3repE0EEENS1_30default_config_static_selectorELNS0_4arch9wavefront6targetE1EEEvS12_.num_agpr, 0
	.set _ZN7rocprim17ROCPRIM_400000_NS6detail17trampoline_kernelINS0_13select_configILj256ELj13ELNS0_17block_load_methodE3ELS4_3ELS4_3ELNS0_20block_scan_algorithmE0ELj4294967295EEENS1_25partition_config_selectorILNS1_17partition_subalgoE4EjNS0_10empty_typeEbEEZZNS1_14partition_implILS8_4ELb0ES6_15HIP_vector_typeIjLj2EENS0_17counting_iteratorIjlEEPS9_SG_NS0_5tupleIJPjSI_NS0_16reverse_iteratorISI_EEEEENSH_IJSG_SG_SG_EEES9_SI_JZNS1_25segmented_radix_sort_implINS0_14default_configELb1EPKsPsPKlPlN2at6native12_GLOBAL__N_18offset_tEEE10hipError_tPvRmT1_PNSt15iterator_traitsIS12_E10value_typeET2_T3_PNS13_IS18_E10value_typeET4_jRbjT5_S1E_jjP12ihipStream_tbEUljE_ZNSN_ISO_Lb1ESQ_SR_ST_SU_SY_EESZ_S10_S11_S12_S16_S17_S18_S1B_S1C_jS1D_jS1E_S1E_jjS1G_bEUljE0_EEESZ_S10_S11_S18_S1C_S1E_T6_T7_T9_mT8_S1G_bDpT10_ENKUlT_T0_E_clISt17integral_constantIbLb0EES1T_IbLb1EEEEDaS1P_S1Q_EUlS1P_E_NS1_11comp_targetILNS1_3genE10ELNS1_11target_archE1200ELNS1_3gpuE4ELNS1_3repE0EEENS1_30default_config_static_selectorELNS0_4arch9wavefront6targetE1EEEvS12_.numbered_sgpr, 0
	.set _ZN7rocprim17ROCPRIM_400000_NS6detail17trampoline_kernelINS0_13select_configILj256ELj13ELNS0_17block_load_methodE3ELS4_3ELS4_3ELNS0_20block_scan_algorithmE0ELj4294967295EEENS1_25partition_config_selectorILNS1_17partition_subalgoE4EjNS0_10empty_typeEbEEZZNS1_14partition_implILS8_4ELb0ES6_15HIP_vector_typeIjLj2EENS0_17counting_iteratorIjlEEPS9_SG_NS0_5tupleIJPjSI_NS0_16reverse_iteratorISI_EEEEENSH_IJSG_SG_SG_EEES9_SI_JZNS1_25segmented_radix_sort_implINS0_14default_configELb1EPKsPsPKlPlN2at6native12_GLOBAL__N_18offset_tEEE10hipError_tPvRmT1_PNSt15iterator_traitsIS12_E10value_typeET2_T3_PNS13_IS18_E10value_typeET4_jRbjT5_S1E_jjP12ihipStream_tbEUljE_ZNSN_ISO_Lb1ESQ_SR_ST_SU_SY_EESZ_S10_S11_S12_S16_S17_S18_S1B_S1C_jS1D_jS1E_S1E_jjS1G_bEUljE0_EEESZ_S10_S11_S18_S1C_S1E_T6_T7_T9_mT8_S1G_bDpT10_ENKUlT_T0_E_clISt17integral_constantIbLb0EES1T_IbLb1EEEEDaS1P_S1Q_EUlS1P_E_NS1_11comp_targetILNS1_3genE10ELNS1_11target_archE1200ELNS1_3gpuE4ELNS1_3repE0EEENS1_30default_config_static_selectorELNS0_4arch9wavefront6targetE1EEEvS12_.num_named_barrier, 0
	.set _ZN7rocprim17ROCPRIM_400000_NS6detail17trampoline_kernelINS0_13select_configILj256ELj13ELNS0_17block_load_methodE3ELS4_3ELS4_3ELNS0_20block_scan_algorithmE0ELj4294967295EEENS1_25partition_config_selectorILNS1_17partition_subalgoE4EjNS0_10empty_typeEbEEZZNS1_14partition_implILS8_4ELb0ES6_15HIP_vector_typeIjLj2EENS0_17counting_iteratorIjlEEPS9_SG_NS0_5tupleIJPjSI_NS0_16reverse_iteratorISI_EEEEENSH_IJSG_SG_SG_EEES9_SI_JZNS1_25segmented_radix_sort_implINS0_14default_configELb1EPKsPsPKlPlN2at6native12_GLOBAL__N_18offset_tEEE10hipError_tPvRmT1_PNSt15iterator_traitsIS12_E10value_typeET2_T3_PNS13_IS18_E10value_typeET4_jRbjT5_S1E_jjP12ihipStream_tbEUljE_ZNSN_ISO_Lb1ESQ_SR_ST_SU_SY_EESZ_S10_S11_S12_S16_S17_S18_S1B_S1C_jS1D_jS1E_S1E_jjS1G_bEUljE0_EEESZ_S10_S11_S18_S1C_S1E_T6_T7_T9_mT8_S1G_bDpT10_ENKUlT_T0_E_clISt17integral_constantIbLb0EES1T_IbLb1EEEEDaS1P_S1Q_EUlS1P_E_NS1_11comp_targetILNS1_3genE10ELNS1_11target_archE1200ELNS1_3gpuE4ELNS1_3repE0EEENS1_30default_config_static_selectorELNS0_4arch9wavefront6targetE1EEEvS12_.private_seg_size, 0
	.set _ZN7rocprim17ROCPRIM_400000_NS6detail17trampoline_kernelINS0_13select_configILj256ELj13ELNS0_17block_load_methodE3ELS4_3ELS4_3ELNS0_20block_scan_algorithmE0ELj4294967295EEENS1_25partition_config_selectorILNS1_17partition_subalgoE4EjNS0_10empty_typeEbEEZZNS1_14partition_implILS8_4ELb0ES6_15HIP_vector_typeIjLj2EENS0_17counting_iteratorIjlEEPS9_SG_NS0_5tupleIJPjSI_NS0_16reverse_iteratorISI_EEEEENSH_IJSG_SG_SG_EEES9_SI_JZNS1_25segmented_radix_sort_implINS0_14default_configELb1EPKsPsPKlPlN2at6native12_GLOBAL__N_18offset_tEEE10hipError_tPvRmT1_PNSt15iterator_traitsIS12_E10value_typeET2_T3_PNS13_IS18_E10value_typeET4_jRbjT5_S1E_jjP12ihipStream_tbEUljE_ZNSN_ISO_Lb1ESQ_SR_ST_SU_SY_EESZ_S10_S11_S12_S16_S17_S18_S1B_S1C_jS1D_jS1E_S1E_jjS1G_bEUljE0_EEESZ_S10_S11_S18_S1C_S1E_T6_T7_T9_mT8_S1G_bDpT10_ENKUlT_T0_E_clISt17integral_constantIbLb0EES1T_IbLb1EEEEDaS1P_S1Q_EUlS1P_E_NS1_11comp_targetILNS1_3genE10ELNS1_11target_archE1200ELNS1_3gpuE4ELNS1_3repE0EEENS1_30default_config_static_selectorELNS0_4arch9wavefront6targetE1EEEvS12_.uses_vcc, 0
	.set _ZN7rocprim17ROCPRIM_400000_NS6detail17trampoline_kernelINS0_13select_configILj256ELj13ELNS0_17block_load_methodE3ELS4_3ELS4_3ELNS0_20block_scan_algorithmE0ELj4294967295EEENS1_25partition_config_selectorILNS1_17partition_subalgoE4EjNS0_10empty_typeEbEEZZNS1_14partition_implILS8_4ELb0ES6_15HIP_vector_typeIjLj2EENS0_17counting_iteratorIjlEEPS9_SG_NS0_5tupleIJPjSI_NS0_16reverse_iteratorISI_EEEEENSH_IJSG_SG_SG_EEES9_SI_JZNS1_25segmented_radix_sort_implINS0_14default_configELb1EPKsPsPKlPlN2at6native12_GLOBAL__N_18offset_tEEE10hipError_tPvRmT1_PNSt15iterator_traitsIS12_E10value_typeET2_T3_PNS13_IS18_E10value_typeET4_jRbjT5_S1E_jjP12ihipStream_tbEUljE_ZNSN_ISO_Lb1ESQ_SR_ST_SU_SY_EESZ_S10_S11_S12_S16_S17_S18_S1B_S1C_jS1D_jS1E_S1E_jjS1G_bEUljE0_EEESZ_S10_S11_S18_S1C_S1E_T6_T7_T9_mT8_S1G_bDpT10_ENKUlT_T0_E_clISt17integral_constantIbLb0EES1T_IbLb1EEEEDaS1P_S1Q_EUlS1P_E_NS1_11comp_targetILNS1_3genE10ELNS1_11target_archE1200ELNS1_3gpuE4ELNS1_3repE0EEENS1_30default_config_static_selectorELNS0_4arch9wavefront6targetE1EEEvS12_.uses_flat_scratch, 0
	.set _ZN7rocprim17ROCPRIM_400000_NS6detail17trampoline_kernelINS0_13select_configILj256ELj13ELNS0_17block_load_methodE3ELS4_3ELS4_3ELNS0_20block_scan_algorithmE0ELj4294967295EEENS1_25partition_config_selectorILNS1_17partition_subalgoE4EjNS0_10empty_typeEbEEZZNS1_14partition_implILS8_4ELb0ES6_15HIP_vector_typeIjLj2EENS0_17counting_iteratorIjlEEPS9_SG_NS0_5tupleIJPjSI_NS0_16reverse_iteratorISI_EEEEENSH_IJSG_SG_SG_EEES9_SI_JZNS1_25segmented_radix_sort_implINS0_14default_configELb1EPKsPsPKlPlN2at6native12_GLOBAL__N_18offset_tEEE10hipError_tPvRmT1_PNSt15iterator_traitsIS12_E10value_typeET2_T3_PNS13_IS18_E10value_typeET4_jRbjT5_S1E_jjP12ihipStream_tbEUljE_ZNSN_ISO_Lb1ESQ_SR_ST_SU_SY_EESZ_S10_S11_S12_S16_S17_S18_S1B_S1C_jS1D_jS1E_S1E_jjS1G_bEUljE0_EEESZ_S10_S11_S18_S1C_S1E_T6_T7_T9_mT8_S1G_bDpT10_ENKUlT_T0_E_clISt17integral_constantIbLb0EES1T_IbLb1EEEEDaS1P_S1Q_EUlS1P_E_NS1_11comp_targetILNS1_3genE10ELNS1_11target_archE1200ELNS1_3gpuE4ELNS1_3repE0EEENS1_30default_config_static_selectorELNS0_4arch9wavefront6targetE1EEEvS12_.has_dyn_sized_stack, 0
	.set _ZN7rocprim17ROCPRIM_400000_NS6detail17trampoline_kernelINS0_13select_configILj256ELj13ELNS0_17block_load_methodE3ELS4_3ELS4_3ELNS0_20block_scan_algorithmE0ELj4294967295EEENS1_25partition_config_selectorILNS1_17partition_subalgoE4EjNS0_10empty_typeEbEEZZNS1_14partition_implILS8_4ELb0ES6_15HIP_vector_typeIjLj2EENS0_17counting_iteratorIjlEEPS9_SG_NS0_5tupleIJPjSI_NS0_16reverse_iteratorISI_EEEEENSH_IJSG_SG_SG_EEES9_SI_JZNS1_25segmented_radix_sort_implINS0_14default_configELb1EPKsPsPKlPlN2at6native12_GLOBAL__N_18offset_tEEE10hipError_tPvRmT1_PNSt15iterator_traitsIS12_E10value_typeET2_T3_PNS13_IS18_E10value_typeET4_jRbjT5_S1E_jjP12ihipStream_tbEUljE_ZNSN_ISO_Lb1ESQ_SR_ST_SU_SY_EESZ_S10_S11_S12_S16_S17_S18_S1B_S1C_jS1D_jS1E_S1E_jjS1G_bEUljE0_EEESZ_S10_S11_S18_S1C_S1E_T6_T7_T9_mT8_S1G_bDpT10_ENKUlT_T0_E_clISt17integral_constantIbLb0EES1T_IbLb1EEEEDaS1P_S1Q_EUlS1P_E_NS1_11comp_targetILNS1_3genE10ELNS1_11target_archE1200ELNS1_3gpuE4ELNS1_3repE0EEENS1_30default_config_static_selectorELNS0_4arch9wavefront6targetE1EEEvS12_.has_recursion, 0
	.set _ZN7rocprim17ROCPRIM_400000_NS6detail17trampoline_kernelINS0_13select_configILj256ELj13ELNS0_17block_load_methodE3ELS4_3ELS4_3ELNS0_20block_scan_algorithmE0ELj4294967295EEENS1_25partition_config_selectorILNS1_17partition_subalgoE4EjNS0_10empty_typeEbEEZZNS1_14partition_implILS8_4ELb0ES6_15HIP_vector_typeIjLj2EENS0_17counting_iteratorIjlEEPS9_SG_NS0_5tupleIJPjSI_NS0_16reverse_iteratorISI_EEEEENSH_IJSG_SG_SG_EEES9_SI_JZNS1_25segmented_radix_sort_implINS0_14default_configELb1EPKsPsPKlPlN2at6native12_GLOBAL__N_18offset_tEEE10hipError_tPvRmT1_PNSt15iterator_traitsIS12_E10value_typeET2_T3_PNS13_IS18_E10value_typeET4_jRbjT5_S1E_jjP12ihipStream_tbEUljE_ZNSN_ISO_Lb1ESQ_SR_ST_SU_SY_EESZ_S10_S11_S12_S16_S17_S18_S1B_S1C_jS1D_jS1E_S1E_jjS1G_bEUljE0_EEESZ_S10_S11_S18_S1C_S1E_T6_T7_T9_mT8_S1G_bDpT10_ENKUlT_T0_E_clISt17integral_constantIbLb0EES1T_IbLb1EEEEDaS1P_S1Q_EUlS1P_E_NS1_11comp_targetILNS1_3genE10ELNS1_11target_archE1200ELNS1_3gpuE4ELNS1_3repE0EEENS1_30default_config_static_selectorELNS0_4arch9wavefront6targetE1EEEvS12_.has_indirect_call, 0
	.section	.AMDGPU.csdata,"",@progbits
; Kernel info:
; codeLenInByte = 0
; TotalNumSgprs: 4
; NumVgprs: 0
; ScratchSize: 0
; MemoryBound: 0
; FloatMode: 240
; IeeeMode: 1
; LDSByteSize: 0 bytes/workgroup (compile time only)
; SGPRBlocks: 0
; VGPRBlocks: 0
; NumSGPRsForWavesPerEU: 4
; NumVGPRsForWavesPerEU: 1
; Occupancy: 10
; WaveLimiterHint : 0
; COMPUTE_PGM_RSRC2:SCRATCH_EN: 0
; COMPUTE_PGM_RSRC2:USER_SGPR: 6
; COMPUTE_PGM_RSRC2:TRAP_HANDLER: 0
; COMPUTE_PGM_RSRC2:TGID_X_EN: 1
; COMPUTE_PGM_RSRC2:TGID_Y_EN: 0
; COMPUTE_PGM_RSRC2:TGID_Z_EN: 0
; COMPUTE_PGM_RSRC2:TIDIG_COMP_CNT: 0
	.section	.text._ZN7rocprim17ROCPRIM_400000_NS6detail17trampoline_kernelINS0_13select_configILj256ELj13ELNS0_17block_load_methodE3ELS4_3ELS4_3ELNS0_20block_scan_algorithmE0ELj4294967295EEENS1_25partition_config_selectorILNS1_17partition_subalgoE4EjNS0_10empty_typeEbEEZZNS1_14partition_implILS8_4ELb0ES6_15HIP_vector_typeIjLj2EENS0_17counting_iteratorIjlEEPS9_SG_NS0_5tupleIJPjSI_NS0_16reverse_iteratorISI_EEEEENSH_IJSG_SG_SG_EEES9_SI_JZNS1_25segmented_radix_sort_implINS0_14default_configELb1EPKsPsPKlPlN2at6native12_GLOBAL__N_18offset_tEEE10hipError_tPvRmT1_PNSt15iterator_traitsIS12_E10value_typeET2_T3_PNS13_IS18_E10value_typeET4_jRbjT5_S1E_jjP12ihipStream_tbEUljE_ZNSN_ISO_Lb1ESQ_SR_ST_SU_SY_EESZ_S10_S11_S12_S16_S17_S18_S1B_S1C_jS1D_jS1E_S1E_jjS1G_bEUljE0_EEESZ_S10_S11_S18_S1C_S1E_T6_T7_T9_mT8_S1G_bDpT10_ENKUlT_T0_E_clISt17integral_constantIbLb0EES1T_IbLb1EEEEDaS1P_S1Q_EUlS1P_E_NS1_11comp_targetILNS1_3genE9ELNS1_11target_archE1100ELNS1_3gpuE3ELNS1_3repE0EEENS1_30default_config_static_selectorELNS0_4arch9wavefront6targetE1EEEvS12_,"axG",@progbits,_ZN7rocprim17ROCPRIM_400000_NS6detail17trampoline_kernelINS0_13select_configILj256ELj13ELNS0_17block_load_methodE3ELS4_3ELS4_3ELNS0_20block_scan_algorithmE0ELj4294967295EEENS1_25partition_config_selectorILNS1_17partition_subalgoE4EjNS0_10empty_typeEbEEZZNS1_14partition_implILS8_4ELb0ES6_15HIP_vector_typeIjLj2EENS0_17counting_iteratorIjlEEPS9_SG_NS0_5tupleIJPjSI_NS0_16reverse_iteratorISI_EEEEENSH_IJSG_SG_SG_EEES9_SI_JZNS1_25segmented_radix_sort_implINS0_14default_configELb1EPKsPsPKlPlN2at6native12_GLOBAL__N_18offset_tEEE10hipError_tPvRmT1_PNSt15iterator_traitsIS12_E10value_typeET2_T3_PNS13_IS18_E10value_typeET4_jRbjT5_S1E_jjP12ihipStream_tbEUljE_ZNSN_ISO_Lb1ESQ_SR_ST_SU_SY_EESZ_S10_S11_S12_S16_S17_S18_S1B_S1C_jS1D_jS1E_S1E_jjS1G_bEUljE0_EEESZ_S10_S11_S18_S1C_S1E_T6_T7_T9_mT8_S1G_bDpT10_ENKUlT_T0_E_clISt17integral_constantIbLb0EES1T_IbLb1EEEEDaS1P_S1Q_EUlS1P_E_NS1_11comp_targetILNS1_3genE9ELNS1_11target_archE1100ELNS1_3gpuE3ELNS1_3repE0EEENS1_30default_config_static_selectorELNS0_4arch9wavefront6targetE1EEEvS12_,comdat
	.globl	_ZN7rocprim17ROCPRIM_400000_NS6detail17trampoline_kernelINS0_13select_configILj256ELj13ELNS0_17block_load_methodE3ELS4_3ELS4_3ELNS0_20block_scan_algorithmE0ELj4294967295EEENS1_25partition_config_selectorILNS1_17partition_subalgoE4EjNS0_10empty_typeEbEEZZNS1_14partition_implILS8_4ELb0ES6_15HIP_vector_typeIjLj2EENS0_17counting_iteratorIjlEEPS9_SG_NS0_5tupleIJPjSI_NS0_16reverse_iteratorISI_EEEEENSH_IJSG_SG_SG_EEES9_SI_JZNS1_25segmented_radix_sort_implINS0_14default_configELb1EPKsPsPKlPlN2at6native12_GLOBAL__N_18offset_tEEE10hipError_tPvRmT1_PNSt15iterator_traitsIS12_E10value_typeET2_T3_PNS13_IS18_E10value_typeET4_jRbjT5_S1E_jjP12ihipStream_tbEUljE_ZNSN_ISO_Lb1ESQ_SR_ST_SU_SY_EESZ_S10_S11_S12_S16_S17_S18_S1B_S1C_jS1D_jS1E_S1E_jjS1G_bEUljE0_EEESZ_S10_S11_S18_S1C_S1E_T6_T7_T9_mT8_S1G_bDpT10_ENKUlT_T0_E_clISt17integral_constantIbLb0EES1T_IbLb1EEEEDaS1P_S1Q_EUlS1P_E_NS1_11comp_targetILNS1_3genE9ELNS1_11target_archE1100ELNS1_3gpuE3ELNS1_3repE0EEENS1_30default_config_static_selectorELNS0_4arch9wavefront6targetE1EEEvS12_ ; -- Begin function _ZN7rocprim17ROCPRIM_400000_NS6detail17trampoline_kernelINS0_13select_configILj256ELj13ELNS0_17block_load_methodE3ELS4_3ELS4_3ELNS0_20block_scan_algorithmE0ELj4294967295EEENS1_25partition_config_selectorILNS1_17partition_subalgoE4EjNS0_10empty_typeEbEEZZNS1_14partition_implILS8_4ELb0ES6_15HIP_vector_typeIjLj2EENS0_17counting_iteratorIjlEEPS9_SG_NS0_5tupleIJPjSI_NS0_16reverse_iteratorISI_EEEEENSH_IJSG_SG_SG_EEES9_SI_JZNS1_25segmented_radix_sort_implINS0_14default_configELb1EPKsPsPKlPlN2at6native12_GLOBAL__N_18offset_tEEE10hipError_tPvRmT1_PNSt15iterator_traitsIS12_E10value_typeET2_T3_PNS13_IS18_E10value_typeET4_jRbjT5_S1E_jjP12ihipStream_tbEUljE_ZNSN_ISO_Lb1ESQ_SR_ST_SU_SY_EESZ_S10_S11_S12_S16_S17_S18_S1B_S1C_jS1D_jS1E_S1E_jjS1G_bEUljE0_EEESZ_S10_S11_S18_S1C_S1E_T6_T7_T9_mT8_S1G_bDpT10_ENKUlT_T0_E_clISt17integral_constantIbLb0EES1T_IbLb1EEEEDaS1P_S1Q_EUlS1P_E_NS1_11comp_targetILNS1_3genE9ELNS1_11target_archE1100ELNS1_3gpuE3ELNS1_3repE0EEENS1_30default_config_static_selectorELNS0_4arch9wavefront6targetE1EEEvS12_
	.p2align	8
	.type	_ZN7rocprim17ROCPRIM_400000_NS6detail17trampoline_kernelINS0_13select_configILj256ELj13ELNS0_17block_load_methodE3ELS4_3ELS4_3ELNS0_20block_scan_algorithmE0ELj4294967295EEENS1_25partition_config_selectorILNS1_17partition_subalgoE4EjNS0_10empty_typeEbEEZZNS1_14partition_implILS8_4ELb0ES6_15HIP_vector_typeIjLj2EENS0_17counting_iteratorIjlEEPS9_SG_NS0_5tupleIJPjSI_NS0_16reverse_iteratorISI_EEEEENSH_IJSG_SG_SG_EEES9_SI_JZNS1_25segmented_radix_sort_implINS0_14default_configELb1EPKsPsPKlPlN2at6native12_GLOBAL__N_18offset_tEEE10hipError_tPvRmT1_PNSt15iterator_traitsIS12_E10value_typeET2_T3_PNS13_IS18_E10value_typeET4_jRbjT5_S1E_jjP12ihipStream_tbEUljE_ZNSN_ISO_Lb1ESQ_SR_ST_SU_SY_EESZ_S10_S11_S12_S16_S17_S18_S1B_S1C_jS1D_jS1E_S1E_jjS1G_bEUljE0_EEESZ_S10_S11_S18_S1C_S1E_T6_T7_T9_mT8_S1G_bDpT10_ENKUlT_T0_E_clISt17integral_constantIbLb0EES1T_IbLb1EEEEDaS1P_S1Q_EUlS1P_E_NS1_11comp_targetILNS1_3genE9ELNS1_11target_archE1100ELNS1_3gpuE3ELNS1_3repE0EEENS1_30default_config_static_selectorELNS0_4arch9wavefront6targetE1EEEvS12_,@function
_ZN7rocprim17ROCPRIM_400000_NS6detail17trampoline_kernelINS0_13select_configILj256ELj13ELNS0_17block_load_methodE3ELS4_3ELS4_3ELNS0_20block_scan_algorithmE0ELj4294967295EEENS1_25partition_config_selectorILNS1_17partition_subalgoE4EjNS0_10empty_typeEbEEZZNS1_14partition_implILS8_4ELb0ES6_15HIP_vector_typeIjLj2EENS0_17counting_iteratorIjlEEPS9_SG_NS0_5tupleIJPjSI_NS0_16reverse_iteratorISI_EEEEENSH_IJSG_SG_SG_EEES9_SI_JZNS1_25segmented_radix_sort_implINS0_14default_configELb1EPKsPsPKlPlN2at6native12_GLOBAL__N_18offset_tEEE10hipError_tPvRmT1_PNSt15iterator_traitsIS12_E10value_typeET2_T3_PNS13_IS18_E10value_typeET4_jRbjT5_S1E_jjP12ihipStream_tbEUljE_ZNSN_ISO_Lb1ESQ_SR_ST_SU_SY_EESZ_S10_S11_S12_S16_S17_S18_S1B_S1C_jS1D_jS1E_S1E_jjS1G_bEUljE0_EEESZ_S10_S11_S18_S1C_S1E_T6_T7_T9_mT8_S1G_bDpT10_ENKUlT_T0_E_clISt17integral_constantIbLb0EES1T_IbLb1EEEEDaS1P_S1Q_EUlS1P_E_NS1_11comp_targetILNS1_3genE9ELNS1_11target_archE1100ELNS1_3gpuE3ELNS1_3repE0EEENS1_30default_config_static_selectorELNS0_4arch9wavefront6targetE1EEEvS12_: ; @_ZN7rocprim17ROCPRIM_400000_NS6detail17trampoline_kernelINS0_13select_configILj256ELj13ELNS0_17block_load_methodE3ELS4_3ELS4_3ELNS0_20block_scan_algorithmE0ELj4294967295EEENS1_25partition_config_selectorILNS1_17partition_subalgoE4EjNS0_10empty_typeEbEEZZNS1_14partition_implILS8_4ELb0ES6_15HIP_vector_typeIjLj2EENS0_17counting_iteratorIjlEEPS9_SG_NS0_5tupleIJPjSI_NS0_16reverse_iteratorISI_EEEEENSH_IJSG_SG_SG_EEES9_SI_JZNS1_25segmented_radix_sort_implINS0_14default_configELb1EPKsPsPKlPlN2at6native12_GLOBAL__N_18offset_tEEE10hipError_tPvRmT1_PNSt15iterator_traitsIS12_E10value_typeET2_T3_PNS13_IS18_E10value_typeET4_jRbjT5_S1E_jjP12ihipStream_tbEUljE_ZNSN_ISO_Lb1ESQ_SR_ST_SU_SY_EESZ_S10_S11_S12_S16_S17_S18_S1B_S1C_jS1D_jS1E_S1E_jjS1G_bEUljE0_EEESZ_S10_S11_S18_S1C_S1E_T6_T7_T9_mT8_S1G_bDpT10_ENKUlT_T0_E_clISt17integral_constantIbLb0EES1T_IbLb1EEEEDaS1P_S1Q_EUlS1P_E_NS1_11comp_targetILNS1_3genE9ELNS1_11target_archE1100ELNS1_3gpuE3ELNS1_3repE0EEENS1_30default_config_static_selectorELNS0_4arch9wavefront6targetE1EEEvS12_
; %bb.0:
	.section	.rodata,"a",@progbits
	.p2align	6, 0x0
	.amdhsa_kernel _ZN7rocprim17ROCPRIM_400000_NS6detail17trampoline_kernelINS0_13select_configILj256ELj13ELNS0_17block_load_methodE3ELS4_3ELS4_3ELNS0_20block_scan_algorithmE0ELj4294967295EEENS1_25partition_config_selectorILNS1_17partition_subalgoE4EjNS0_10empty_typeEbEEZZNS1_14partition_implILS8_4ELb0ES6_15HIP_vector_typeIjLj2EENS0_17counting_iteratorIjlEEPS9_SG_NS0_5tupleIJPjSI_NS0_16reverse_iteratorISI_EEEEENSH_IJSG_SG_SG_EEES9_SI_JZNS1_25segmented_radix_sort_implINS0_14default_configELb1EPKsPsPKlPlN2at6native12_GLOBAL__N_18offset_tEEE10hipError_tPvRmT1_PNSt15iterator_traitsIS12_E10value_typeET2_T3_PNS13_IS18_E10value_typeET4_jRbjT5_S1E_jjP12ihipStream_tbEUljE_ZNSN_ISO_Lb1ESQ_SR_ST_SU_SY_EESZ_S10_S11_S12_S16_S17_S18_S1B_S1C_jS1D_jS1E_S1E_jjS1G_bEUljE0_EEESZ_S10_S11_S18_S1C_S1E_T6_T7_T9_mT8_S1G_bDpT10_ENKUlT_T0_E_clISt17integral_constantIbLb0EES1T_IbLb1EEEEDaS1P_S1Q_EUlS1P_E_NS1_11comp_targetILNS1_3genE9ELNS1_11target_archE1100ELNS1_3gpuE3ELNS1_3repE0EEENS1_30default_config_static_selectorELNS0_4arch9wavefront6targetE1EEEvS12_
		.amdhsa_group_segment_fixed_size 0
		.amdhsa_private_segment_fixed_size 0
		.amdhsa_kernarg_size 184
		.amdhsa_user_sgpr_count 6
		.amdhsa_user_sgpr_private_segment_buffer 1
		.amdhsa_user_sgpr_dispatch_ptr 0
		.amdhsa_user_sgpr_queue_ptr 0
		.amdhsa_user_sgpr_kernarg_segment_ptr 1
		.amdhsa_user_sgpr_dispatch_id 0
		.amdhsa_user_sgpr_flat_scratch_init 0
		.amdhsa_user_sgpr_private_segment_size 0
		.amdhsa_uses_dynamic_stack 0
		.amdhsa_system_sgpr_private_segment_wavefront_offset 0
		.amdhsa_system_sgpr_workgroup_id_x 1
		.amdhsa_system_sgpr_workgroup_id_y 0
		.amdhsa_system_sgpr_workgroup_id_z 0
		.amdhsa_system_sgpr_workgroup_info 0
		.amdhsa_system_vgpr_workitem_id 0
		.amdhsa_next_free_vgpr 1
		.amdhsa_next_free_sgpr 0
		.amdhsa_reserve_vcc 0
		.amdhsa_reserve_flat_scratch 0
		.amdhsa_float_round_mode_32 0
		.amdhsa_float_round_mode_16_64 0
		.amdhsa_float_denorm_mode_32 3
		.amdhsa_float_denorm_mode_16_64 3
		.amdhsa_dx10_clamp 1
		.amdhsa_ieee_mode 1
		.amdhsa_fp16_overflow 0
		.amdhsa_exception_fp_ieee_invalid_op 0
		.amdhsa_exception_fp_denorm_src 0
		.amdhsa_exception_fp_ieee_div_zero 0
		.amdhsa_exception_fp_ieee_overflow 0
		.amdhsa_exception_fp_ieee_underflow 0
		.amdhsa_exception_fp_ieee_inexact 0
		.amdhsa_exception_int_div_zero 0
	.end_amdhsa_kernel
	.section	.text._ZN7rocprim17ROCPRIM_400000_NS6detail17trampoline_kernelINS0_13select_configILj256ELj13ELNS0_17block_load_methodE3ELS4_3ELS4_3ELNS0_20block_scan_algorithmE0ELj4294967295EEENS1_25partition_config_selectorILNS1_17partition_subalgoE4EjNS0_10empty_typeEbEEZZNS1_14partition_implILS8_4ELb0ES6_15HIP_vector_typeIjLj2EENS0_17counting_iteratorIjlEEPS9_SG_NS0_5tupleIJPjSI_NS0_16reverse_iteratorISI_EEEEENSH_IJSG_SG_SG_EEES9_SI_JZNS1_25segmented_radix_sort_implINS0_14default_configELb1EPKsPsPKlPlN2at6native12_GLOBAL__N_18offset_tEEE10hipError_tPvRmT1_PNSt15iterator_traitsIS12_E10value_typeET2_T3_PNS13_IS18_E10value_typeET4_jRbjT5_S1E_jjP12ihipStream_tbEUljE_ZNSN_ISO_Lb1ESQ_SR_ST_SU_SY_EESZ_S10_S11_S12_S16_S17_S18_S1B_S1C_jS1D_jS1E_S1E_jjS1G_bEUljE0_EEESZ_S10_S11_S18_S1C_S1E_T6_T7_T9_mT8_S1G_bDpT10_ENKUlT_T0_E_clISt17integral_constantIbLb0EES1T_IbLb1EEEEDaS1P_S1Q_EUlS1P_E_NS1_11comp_targetILNS1_3genE9ELNS1_11target_archE1100ELNS1_3gpuE3ELNS1_3repE0EEENS1_30default_config_static_selectorELNS0_4arch9wavefront6targetE1EEEvS12_,"axG",@progbits,_ZN7rocprim17ROCPRIM_400000_NS6detail17trampoline_kernelINS0_13select_configILj256ELj13ELNS0_17block_load_methodE3ELS4_3ELS4_3ELNS0_20block_scan_algorithmE0ELj4294967295EEENS1_25partition_config_selectorILNS1_17partition_subalgoE4EjNS0_10empty_typeEbEEZZNS1_14partition_implILS8_4ELb0ES6_15HIP_vector_typeIjLj2EENS0_17counting_iteratorIjlEEPS9_SG_NS0_5tupleIJPjSI_NS0_16reverse_iteratorISI_EEEEENSH_IJSG_SG_SG_EEES9_SI_JZNS1_25segmented_radix_sort_implINS0_14default_configELb1EPKsPsPKlPlN2at6native12_GLOBAL__N_18offset_tEEE10hipError_tPvRmT1_PNSt15iterator_traitsIS12_E10value_typeET2_T3_PNS13_IS18_E10value_typeET4_jRbjT5_S1E_jjP12ihipStream_tbEUljE_ZNSN_ISO_Lb1ESQ_SR_ST_SU_SY_EESZ_S10_S11_S12_S16_S17_S18_S1B_S1C_jS1D_jS1E_S1E_jjS1G_bEUljE0_EEESZ_S10_S11_S18_S1C_S1E_T6_T7_T9_mT8_S1G_bDpT10_ENKUlT_T0_E_clISt17integral_constantIbLb0EES1T_IbLb1EEEEDaS1P_S1Q_EUlS1P_E_NS1_11comp_targetILNS1_3genE9ELNS1_11target_archE1100ELNS1_3gpuE3ELNS1_3repE0EEENS1_30default_config_static_selectorELNS0_4arch9wavefront6targetE1EEEvS12_,comdat
.Lfunc_end877:
	.size	_ZN7rocprim17ROCPRIM_400000_NS6detail17trampoline_kernelINS0_13select_configILj256ELj13ELNS0_17block_load_methodE3ELS4_3ELS4_3ELNS0_20block_scan_algorithmE0ELj4294967295EEENS1_25partition_config_selectorILNS1_17partition_subalgoE4EjNS0_10empty_typeEbEEZZNS1_14partition_implILS8_4ELb0ES6_15HIP_vector_typeIjLj2EENS0_17counting_iteratorIjlEEPS9_SG_NS0_5tupleIJPjSI_NS0_16reverse_iteratorISI_EEEEENSH_IJSG_SG_SG_EEES9_SI_JZNS1_25segmented_radix_sort_implINS0_14default_configELb1EPKsPsPKlPlN2at6native12_GLOBAL__N_18offset_tEEE10hipError_tPvRmT1_PNSt15iterator_traitsIS12_E10value_typeET2_T3_PNS13_IS18_E10value_typeET4_jRbjT5_S1E_jjP12ihipStream_tbEUljE_ZNSN_ISO_Lb1ESQ_SR_ST_SU_SY_EESZ_S10_S11_S12_S16_S17_S18_S1B_S1C_jS1D_jS1E_S1E_jjS1G_bEUljE0_EEESZ_S10_S11_S18_S1C_S1E_T6_T7_T9_mT8_S1G_bDpT10_ENKUlT_T0_E_clISt17integral_constantIbLb0EES1T_IbLb1EEEEDaS1P_S1Q_EUlS1P_E_NS1_11comp_targetILNS1_3genE9ELNS1_11target_archE1100ELNS1_3gpuE3ELNS1_3repE0EEENS1_30default_config_static_selectorELNS0_4arch9wavefront6targetE1EEEvS12_, .Lfunc_end877-_ZN7rocprim17ROCPRIM_400000_NS6detail17trampoline_kernelINS0_13select_configILj256ELj13ELNS0_17block_load_methodE3ELS4_3ELS4_3ELNS0_20block_scan_algorithmE0ELj4294967295EEENS1_25partition_config_selectorILNS1_17partition_subalgoE4EjNS0_10empty_typeEbEEZZNS1_14partition_implILS8_4ELb0ES6_15HIP_vector_typeIjLj2EENS0_17counting_iteratorIjlEEPS9_SG_NS0_5tupleIJPjSI_NS0_16reverse_iteratorISI_EEEEENSH_IJSG_SG_SG_EEES9_SI_JZNS1_25segmented_radix_sort_implINS0_14default_configELb1EPKsPsPKlPlN2at6native12_GLOBAL__N_18offset_tEEE10hipError_tPvRmT1_PNSt15iterator_traitsIS12_E10value_typeET2_T3_PNS13_IS18_E10value_typeET4_jRbjT5_S1E_jjP12ihipStream_tbEUljE_ZNSN_ISO_Lb1ESQ_SR_ST_SU_SY_EESZ_S10_S11_S12_S16_S17_S18_S1B_S1C_jS1D_jS1E_S1E_jjS1G_bEUljE0_EEESZ_S10_S11_S18_S1C_S1E_T6_T7_T9_mT8_S1G_bDpT10_ENKUlT_T0_E_clISt17integral_constantIbLb0EES1T_IbLb1EEEEDaS1P_S1Q_EUlS1P_E_NS1_11comp_targetILNS1_3genE9ELNS1_11target_archE1100ELNS1_3gpuE3ELNS1_3repE0EEENS1_30default_config_static_selectorELNS0_4arch9wavefront6targetE1EEEvS12_
                                        ; -- End function
	.set _ZN7rocprim17ROCPRIM_400000_NS6detail17trampoline_kernelINS0_13select_configILj256ELj13ELNS0_17block_load_methodE3ELS4_3ELS4_3ELNS0_20block_scan_algorithmE0ELj4294967295EEENS1_25partition_config_selectorILNS1_17partition_subalgoE4EjNS0_10empty_typeEbEEZZNS1_14partition_implILS8_4ELb0ES6_15HIP_vector_typeIjLj2EENS0_17counting_iteratorIjlEEPS9_SG_NS0_5tupleIJPjSI_NS0_16reverse_iteratorISI_EEEEENSH_IJSG_SG_SG_EEES9_SI_JZNS1_25segmented_radix_sort_implINS0_14default_configELb1EPKsPsPKlPlN2at6native12_GLOBAL__N_18offset_tEEE10hipError_tPvRmT1_PNSt15iterator_traitsIS12_E10value_typeET2_T3_PNS13_IS18_E10value_typeET4_jRbjT5_S1E_jjP12ihipStream_tbEUljE_ZNSN_ISO_Lb1ESQ_SR_ST_SU_SY_EESZ_S10_S11_S12_S16_S17_S18_S1B_S1C_jS1D_jS1E_S1E_jjS1G_bEUljE0_EEESZ_S10_S11_S18_S1C_S1E_T6_T7_T9_mT8_S1G_bDpT10_ENKUlT_T0_E_clISt17integral_constantIbLb0EES1T_IbLb1EEEEDaS1P_S1Q_EUlS1P_E_NS1_11comp_targetILNS1_3genE9ELNS1_11target_archE1100ELNS1_3gpuE3ELNS1_3repE0EEENS1_30default_config_static_selectorELNS0_4arch9wavefront6targetE1EEEvS12_.num_vgpr, 0
	.set _ZN7rocprim17ROCPRIM_400000_NS6detail17trampoline_kernelINS0_13select_configILj256ELj13ELNS0_17block_load_methodE3ELS4_3ELS4_3ELNS0_20block_scan_algorithmE0ELj4294967295EEENS1_25partition_config_selectorILNS1_17partition_subalgoE4EjNS0_10empty_typeEbEEZZNS1_14partition_implILS8_4ELb0ES6_15HIP_vector_typeIjLj2EENS0_17counting_iteratorIjlEEPS9_SG_NS0_5tupleIJPjSI_NS0_16reverse_iteratorISI_EEEEENSH_IJSG_SG_SG_EEES9_SI_JZNS1_25segmented_radix_sort_implINS0_14default_configELb1EPKsPsPKlPlN2at6native12_GLOBAL__N_18offset_tEEE10hipError_tPvRmT1_PNSt15iterator_traitsIS12_E10value_typeET2_T3_PNS13_IS18_E10value_typeET4_jRbjT5_S1E_jjP12ihipStream_tbEUljE_ZNSN_ISO_Lb1ESQ_SR_ST_SU_SY_EESZ_S10_S11_S12_S16_S17_S18_S1B_S1C_jS1D_jS1E_S1E_jjS1G_bEUljE0_EEESZ_S10_S11_S18_S1C_S1E_T6_T7_T9_mT8_S1G_bDpT10_ENKUlT_T0_E_clISt17integral_constantIbLb0EES1T_IbLb1EEEEDaS1P_S1Q_EUlS1P_E_NS1_11comp_targetILNS1_3genE9ELNS1_11target_archE1100ELNS1_3gpuE3ELNS1_3repE0EEENS1_30default_config_static_selectorELNS0_4arch9wavefront6targetE1EEEvS12_.num_agpr, 0
	.set _ZN7rocprim17ROCPRIM_400000_NS6detail17trampoline_kernelINS0_13select_configILj256ELj13ELNS0_17block_load_methodE3ELS4_3ELS4_3ELNS0_20block_scan_algorithmE0ELj4294967295EEENS1_25partition_config_selectorILNS1_17partition_subalgoE4EjNS0_10empty_typeEbEEZZNS1_14partition_implILS8_4ELb0ES6_15HIP_vector_typeIjLj2EENS0_17counting_iteratorIjlEEPS9_SG_NS0_5tupleIJPjSI_NS0_16reverse_iteratorISI_EEEEENSH_IJSG_SG_SG_EEES9_SI_JZNS1_25segmented_radix_sort_implINS0_14default_configELb1EPKsPsPKlPlN2at6native12_GLOBAL__N_18offset_tEEE10hipError_tPvRmT1_PNSt15iterator_traitsIS12_E10value_typeET2_T3_PNS13_IS18_E10value_typeET4_jRbjT5_S1E_jjP12ihipStream_tbEUljE_ZNSN_ISO_Lb1ESQ_SR_ST_SU_SY_EESZ_S10_S11_S12_S16_S17_S18_S1B_S1C_jS1D_jS1E_S1E_jjS1G_bEUljE0_EEESZ_S10_S11_S18_S1C_S1E_T6_T7_T9_mT8_S1G_bDpT10_ENKUlT_T0_E_clISt17integral_constantIbLb0EES1T_IbLb1EEEEDaS1P_S1Q_EUlS1P_E_NS1_11comp_targetILNS1_3genE9ELNS1_11target_archE1100ELNS1_3gpuE3ELNS1_3repE0EEENS1_30default_config_static_selectorELNS0_4arch9wavefront6targetE1EEEvS12_.numbered_sgpr, 0
	.set _ZN7rocprim17ROCPRIM_400000_NS6detail17trampoline_kernelINS0_13select_configILj256ELj13ELNS0_17block_load_methodE3ELS4_3ELS4_3ELNS0_20block_scan_algorithmE0ELj4294967295EEENS1_25partition_config_selectorILNS1_17partition_subalgoE4EjNS0_10empty_typeEbEEZZNS1_14partition_implILS8_4ELb0ES6_15HIP_vector_typeIjLj2EENS0_17counting_iteratorIjlEEPS9_SG_NS0_5tupleIJPjSI_NS0_16reverse_iteratorISI_EEEEENSH_IJSG_SG_SG_EEES9_SI_JZNS1_25segmented_radix_sort_implINS0_14default_configELb1EPKsPsPKlPlN2at6native12_GLOBAL__N_18offset_tEEE10hipError_tPvRmT1_PNSt15iterator_traitsIS12_E10value_typeET2_T3_PNS13_IS18_E10value_typeET4_jRbjT5_S1E_jjP12ihipStream_tbEUljE_ZNSN_ISO_Lb1ESQ_SR_ST_SU_SY_EESZ_S10_S11_S12_S16_S17_S18_S1B_S1C_jS1D_jS1E_S1E_jjS1G_bEUljE0_EEESZ_S10_S11_S18_S1C_S1E_T6_T7_T9_mT8_S1G_bDpT10_ENKUlT_T0_E_clISt17integral_constantIbLb0EES1T_IbLb1EEEEDaS1P_S1Q_EUlS1P_E_NS1_11comp_targetILNS1_3genE9ELNS1_11target_archE1100ELNS1_3gpuE3ELNS1_3repE0EEENS1_30default_config_static_selectorELNS0_4arch9wavefront6targetE1EEEvS12_.num_named_barrier, 0
	.set _ZN7rocprim17ROCPRIM_400000_NS6detail17trampoline_kernelINS0_13select_configILj256ELj13ELNS0_17block_load_methodE3ELS4_3ELS4_3ELNS0_20block_scan_algorithmE0ELj4294967295EEENS1_25partition_config_selectorILNS1_17partition_subalgoE4EjNS0_10empty_typeEbEEZZNS1_14partition_implILS8_4ELb0ES6_15HIP_vector_typeIjLj2EENS0_17counting_iteratorIjlEEPS9_SG_NS0_5tupleIJPjSI_NS0_16reverse_iteratorISI_EEEEENSH_IJSG_SG_SG_EEES9_SI_JZNS1_25segmented_radix_sort_implINS0_14default_configELb1EPKsPsPKlPlN2at6native12_GLOBAL__N_18offset_tEEE10hipError_tPvRmT1_PNSt15iterator_traitsIS12_E10value_typeET2_T3_PNS13_IS18_E10value_typeET4_jRbjT5_S1E_jjP12ihipStream_tbEUljE_ZNSN_ISO_Lb1ESQ_SR_ST_SU_SY_EESZ_S10_S11_S12_S16_S17_S18_S1B_S1C_jS1D_jS1E_S1E_jjS1G_bEUljE0_EEESZ_S10_S11_S18_S1C_S1E_T6_T7_T9_mT8_S1G_bDpT10_ENKUlT_T0_E_clISt17integral_constantIbLb0EES1T_IbLb1EEEEDaS1P_S1Q_EUlS1P_E_NS1_11comp_targetILNS1_3genE9ELNS1_11target_archE1100ELNS1_3gpuE3ELNS1_3repE0EEENS1_30default_config_static_selectorELNS0_4arch9wavefront6targetE1EEEvS12_.private_seg_size, 0
	.set _ZN7rocprim17ROCPRIM_400000_NS6detail17trampoline_kernelINS0_13select_configILj256ELj13ELNS0_17block_load_methodE3ELS4_3ELS4_3ELNS0_20block_scan_algorithmE0ELj4294967295EEENS1_25partition_config_selectorILNS1_17partition_subalgoE4EjNS0_10empty_typeEbEEZZNS1_14partition_implILS8_4ELb0ES6_15HIP_vector_typeIjLj2EENS0_17counting_iteratorIjlEEPS9_SG_NS0_5tupleIJPjSI_NS0_16reverse_iteratorISI_EEEEENSH_IJSG_SG_SG_EEES9_SI_JZNS1_25segmented_radix_sort_implINS0_14default_configELb1EPKsPsPKlPlN2at6native12_GLOBAL__N_18offset_tEEE10hipError_tPvRmT1_PNSt15iterator_traitsIS12_E10value_typeET2_T3_PNS13_IS18_E10value_typeET4_jRbjT5_S1E_jjP12ihipStream_tbEUljE_ZNSN_ISO_Lb1ESQ_SR_ST_SU_SY_EESZ_S10_S11_S12_S16_S17_S18_S1B_S1C_jS1D_jS1E_S1E_jjS1G_bEUljE0_EEESZ_S10_S11_S18_S1C_S1E_T6_T7_T9_mT8_S1G_bDpT10_ENKUlT_T0_E_clISt17integral_constantIbLb0EES1T_IbLb1EEEEDaS1P_S1Q_EUlS1P_E_NS1_11comp_targetILNS1_3genE9ELNS1_11target_archE1100ELNS1_3gpuE3ELNS1_3repE0EEENS1_30default_config_static_selectorELNS0_4arch9wavefront6targetE1EEEvS12_.uses_vcc, 0
	.set _ZN7rocprim17ROCPRIM_400000_NS6detail17trampoline_kernelINS0_13select_configILj256ELj13ELNS0_17block_load_methodE3ELS4_3ELS4_3ELNS0_20block_scan_algorithmE0ELj4294967295EEENS1_25partition_config_selectorILNS1_17partition_subalgoE4EjNS0_10empty_typeEbEEZZNS1_14partition_implILS8_4ELb0ES6_15HIP_vector_typeIjLj2EENS0_17counting_iteratorIjlEEPS9_SG_NS0_5tupleIJPjSI_NS0_16reverse_iteratorISI_EEEEENSH_IJSG_SG_SG_EEES9_SI_JZNS1_25segmented_radix_sort_implINS0_14default_configELb1EPKsPsPKlPlN2at6native12_GLOBAL__N_18offset_tEEE10hipError_tPvRmT1_PNSt15iterator_traitsIS12_E10value_typeET2_T3_PNS13_IS18_E10value_typeET4_jRbjT5_S1E_jjP12ihipStream_tbEUljE_ZNSN_ISO_Lb1ESQ_SR_ST_SU_SY_EESZ_S10_S11_S12_S16_S17_S18_S1B_S1C_jS1D_jS1E_S1E_jjS1G_bEUljE0_EEESZ_S10_S11_S18_S1C_S1E_T6_T7_T9_mT8_S1G_bDpT10_ENKUlT_T0_E_clISt17integral_constantIbLb0EES1T_IbLb1EEEEDaS1P_S1Q_EUlS1P_E_NS1_11comp_targetILNS1_3genE9ELNS1_11target_archE1100ELNS1_3gpuE3ELNS1_3repE0EEENS1_30default_config_static_selectorELNS0_4arch9wavefront6targetE1EEEvS12_.uses_flat_scratch, 0
	.set _ZN7rocprim17ROCPRIM_400000_NS6detail17trampoline_kernelINS0_13select_configILj256ELj13ELNS0_17block_load_methodE3ELS4_3ELS4_3ELNS0_20block_scan_algorithmE0ELj4294967295EEENS1_25partition_config_selectorILNS1_17partition_subalgoE4EjNS0_10empty_typeEbEEZZNS1_14partition_implILS8_4ELb0ES6_15HIP_vector_typeIjLj2EENS0_17counting_iteratorIjlEEPS9_SG_NS0_5tupleIJPjSI_NS0_16reverse_iteratorISI_EEEEENSH_IJSG_SG_SG_EEES9_SI_JZNS1_25segmented_radix_sort_implINS0_14default_configELb1EPKsPsPKlPlN2at6native12_GLOBAL__N_18offset_tEEE10hipError_tPvRmT1_PNSt15iterator_traitsIS12_E10value_typeET2_T3_PNS13_IS18_E10value_typeET4_jRbjT5_S1E_jjP12ihipStream_tbEUljE_ZNSN_ISO_Lb1ESQ_SR_ST_SU_SY_EESZ_S10_S11_S12_S16_S17_S18_S1B_S1C_jS1D_jS1E_S1E_jjS1G_bEUljE0_EEESZ_S10_S11_S18_S1C_S1E_T6_T7_T9_mT8_S1G_bDpT10_ENKUlT_T0_E_clISt17integral_constantIbLb0EES1T_IbLb1EEEEDaS1P_S1Q_EUlS1P_E_NS1_11comp_targetILNS1_3genE9ELNS1_11target_archE1100ELNS1_3gpuE3ELNS1_3repE0EEENS1_30default_config_static_selectorELNS0_4arch9wavefront6targetE1EEEvS12_.has_dyn_sized_stack, 0
	.set _ZN7rocprim17ROCPRIM_400000_NS6detail17trampoline_kernelINS0_13select_configILj256ELj13ELNS0_17block_load_methodE3ELS4_3ELS4_3ELNS0_20block_scan_algorithmE0ELj4294967295EEENS1_25partition_config_selectorILNS1_17partition_subalgoE4EjNS0_10empty_typeEbEEZZNS1_14partition_implILS8_4ELb0ES6_15HIP_vector_typeIjLj2EENS0_17counting_iteratorIjlEEPS9_SG_NS0_5tupleIJPjSI_NS0_16reverse_iteratorISI_EEEEENSH_IJSG_SG_SG_EEES9_SI_JZNS1_25segmented_radix_sort_implINS0_14default_configELb1EPKsPsPKlPlN2at6native12_GLOBAL__N_18offset_tEEE10hipError_tPvRmT1_PNSt15iterator_traitsIS12_E10value_typeET2_T3_PNS13_IS18_E10value_typeET4_jRbjT5_S1E_jjP12ihipStream_tbEUljE_ZNSN_ISO_Lb1ESQ_SR_ST_SU_SY_EESZ_S10_S11_S12_S16_S17_S18_S1B_S1C_jS1D_jS1E_S1E_jjS1G_bEUljE0_EEESZ_S10_S11_S18_S1C_S1E_T6_T7_T9_mT8_S1G_bDpT10_ENKUlT_T0_E_clISt17integral_constantIbLb0EES1T_IbLb1EEEEDaS1P_S1Q_EUlS1P_E_NS1_11comp_targetILNS1_3genE9ELNS1_11target_archE1100ELNS1_3gpuE3ELNS1_3repE0EEENS1_30default_config_static_selectorELNS0_4arch9wavefront6targetE1EEEvS12_.has_recursion, 0
	.set _ZN7rocprim17ROCPRIM_400000_NS6detail17trampoline_kernelINS0_13select_configILj256ELj13ELNS0_17block_load_methodE3ELS4_3ELS4_3ELNS0_20block_scan_algorithmE0ELj4294967295EEENS1_25partition_config_selectorILNS1_17partition_subalgoE4EjNS0_10empty_typeEbEEZZNS1_14partition_implILS8_4ELb0ES6_15HIP_vector_typeIjLj2EENS0_17counting_iteratorIjlEEPS9_SG_NS0_5tupleIJPjSI_NS0_16reverse_iteratorISI_EEEEENSH_IJSG_SG_SG_EEES9_SI_JZNS1_25segmented_radix_sort_implINS0_14default_configELb1EPKsPsPKlPlN2at6native12_GLOBAL__N_18offset_tEEE10hipError_tPvRmT1_PNSt15iterator_traitsIS12_E10value_typeET2_T3_PNS13_IS18_E10value_typeET4_jRbjT5_S1E_jjP12ihipStream_tbEUljE_ZNSN_ISO_Lb1ESQ_SR_ST_SU_SY_EESZ_S10_S11_S12_S16_S17_S18_S1B_S1C_jS1D_jS1E_S1E_jjS1G_bEUljE0_EEESZ_S10_S11_S18_S1C_S1E_T6_T7_T9_mT8_S1G_bDpT10_ENKUlT_T0_E_clISt17integral_constantIbLb0EES1T_IbLb1EEEEDaS1P_S1Q_EUlS1P_E_NS1_11comp_targetILNS1_3genE9ELNS1_11target_archE1100ELNS1_3gpuE3ELNS1_3repE0EEENS1_30default_config_static_selectorELNS0_4arch9wavefront6targetE1EEEvS12_.has_indirect_call, 0
	.section	.AMDGPU.csdata,"",@progbits
; Kernel info:
; codeLenInByte = 0
; TotalNumSgprs: 4
; NumVgprs: 0
; ScratchSize: 0
; MemoryBound: 0
; FloatMode: 240
; IeeeMode: 1
; LDSByteSize: 0 bytes/workgroup (compile time only)
; SGPRBlocks: 0
; VGPRBlocks: 0
; NumSGPRsForWavesPerEU: 4
; NumVGPRsForWavesPerEU: 1
; Occupancy: 10
; WaveLimiterHint : 0
; COMPUTE_PGM_RSRC2:SCRATCH_EN: 0
; COMPUTE_PGM_RSRC2:USER_SGPR: 6
; COMPUTE_PGM_RSRC2:TRAP_HANDLER: 0
; COMPUTE_PGM_RSRC2:TGID_X_EN: 1
; COMPUTE_PGM_RSRC2:TGID_Y_EN: 0
; COMPUTE_PGM_RSRC2:TGID_Z_EN: 0
; COMPUTE_PGM_RSRC2:TIDIG_COMP_CNT: 0
	.section	.text._ZN7rocprim17ROCPRIM_400000_NS6detail17trampoline_kernelINS0_13select_configILj256ELj13ELNS0_17block_load_methodE3ELS4_3ELS4_3ELNS0_20block_scan_algorithmE0ELj4294967295EEENS1_25partition_config_selectorILNS1_17partition_subalgoE4EjNS0_10empty_typeEbEEZZNS1_14partition_implILS8_4ELb0ES6_15HIP_vector_typeIjLj2EENS0_17counting_iteratorIjlEEPS9_SG_NS0_5tupleIJPjSI_NS0_16reverse_iteratorISI_EEEEENSH_IJSG_SG_SG_EEES9_SI_JZNS1_25segmented_radix_sort_implINS0_14default_configELb1EPKsPsPKlPlN2at6native12_GLOBAL__N_18offset_tEEE10hipError_tPvRmT1_PNSt15iterator_traitsIS12_E10value_typeET2_T3_PNS13_IS18_E10value_typeET4_jRbjT5_S1E_jjP12ihipStream_tbEUljE_ZNSN_ISO_Lb1ESQ_SR_ST_SU_SY_EESZ_S10_S11_S12_S16_S17_S18_S1B_S1C_jS1D_jS1E_S1E_jjS1G_bEUljE0_EEESZ_S10_S11_S18_S1C_S1E_T6_T7_T9_mT8_S1G_bDpT10_ENKUlT_T0_E_clISt17integral_constantIbLb0EES1T_IbLb1EEEEDaS1P_S1Q_EUlS1P_E_NS1_11comp_targetILNS1_3genE8ELNS1_11target_archE1030ELNS1_3gpuE2ELNS1_3repE0EEENS1_30default_config_static_selectorELNS0_4arch9wavefront6targetE1EEEvS12_,"axG",@progbits,_ZN7rocprim17ROCPRIM_400000_NS6detail17trampoline_kernelINS0_13select_configILj256ELj13ELNS0_17block_load_methodE3ELS4_3ELS4_3ELNS0_20block_scan_algorithmE0ELj4294967295EEENS1_25partition_config_selectorILNS1_17partition_subalgoE4EjNS0_10empty_typeEbEEZZNS1_14partition_implILS8_4ELb0ES6_15HIP_vector_typeIjLj2EENS0_17counting_iteratorIjlEEPS9_SG_NS0_5tupleIJPjSI_NS0_16reverse_iteratorISI_EEEEENSH_IJSG_SG_SG_EEES9_SI_JZNS1_25segmented_radix_sort_implINS0_14default_configELb1EPKsPsPKlPlN2at6native12_GLOBAL__N_18offset_tEEE10hipError_tPvRmT1_PNSt15iterator_traitsIS12_E10value_typeET2_T3_PNS13_IS18_E10value_typeET4_jRbjT5_S1E_jjP12ihipStream_tbEUljE_ZNSN_ISO_Lb1ESQ_SR_ST_SU_SY_EESZ_S10_S11_S12_S16_S17_S18_S1B_S1C_jS1D_jS1E_S1E_jjS1G_bEUljE0_EEESZ_S10_S11_S18_S1C_S1E_T6_T7_T9_mT8_S1G_bDpT10_ENKUlT_T0_E_clISt17integral_constantIbLb0EES1T_IbLb1EEEEDaS1P_S1Q_EUlS1P_E_NS1_11comp_targetILNS1_3genE8ELNS1_11target_archE1030ELNS1_3gpuE2ELNS1_3repE0EEENS1_30default_config_static_selectorELNS0_4arch9wavefront6targetE1EEEvS12_,comdat
	.globl	_ZN7rocprim17ROCPRIM_400000_NS6detail17trampoline_kernelINS0_13select_configILj256ELj13ELNS0_17block_load_methodE3ELS4_3ELS4_3ELNS0_20block_scan_algorithmE0ELj4294967295EEENS1_25partition_config_selectorILNS1_17partition_subalgoE4EjNS0_10empty_typeEbEEZZNS1_14partition_implILS8_4ELb0ES6_15HIP_vector_typeIjLj2EENS0_17counting_iteratorIjlEEPS9_SG_NS0_5tupleIJPjSI_NS0_16reverse_iteratorISI_EEEEENSH_IJSG_SG_SG_EEES9_SI_JZNS1_25segmented_radix_sort_implINS0_14default_configELb1EPKsPsPKlPlN2at6native12_GLOBAL__N_18offset_tEEE10hipError_tPvRmT1_PNSt15iterator_traitsIS12_E10value_typeET2_T3_PNS13_IS18_E10value_typeET4_jRbjT5_S1E_jjP12ihipStream_tbEUljE_ZNSN_ISO_Lb1ESQ_SR_ST_SU_SY_EESZ_S10_S11_S12_S16_S17_S18_S1B_S1C_jS1D_jS1E_S1E_jjS1G_bEUljE0_EEESZ_S10_S11_S18_S1C_S1E_T6_T7_T9_mT8_S1G_bDpT10_ENKUlT_T0_E_clISt17integral_constantIbLb0EES1T_IbLb1EEEEDaS1P_S1Q_EUlS1P_E_NS1_11comp_targetILNS1_3genE8ELNS1_11target_archE1030ELNS1_3gpuE2ELNS1_3repE0EEENS1_30default_config_static_selectorELNS0_4arch9wavefront6targetE1EEEvS12_ ; -- Begin function _ZN7rocprim17ROCPRIM_400000_NS6detail17trampoline_kernelINS0_13select_configILj256ELj13ELNS0_17block_load_methodE3ELS4_3ELS4_3ELNS0_20block_scan_algorithmE0ELj4294967295EEENS1_25partition_config_selectorILNS1_17partition_subalgoE4EjNS0_10empty_typeEbEEZZNS1_14partition_implILS8_4ELb0ES6_15HIP_vector_typeIjLj2EENS0_17counting_iteratorIjlEEPS9_SG_NS0_5tupleIJPjSI_NS0_16reverse_iteratorISI_EEEEENSH_IJSG_SG_SG_EEES9_SI_JZNS1_25segmented_radix_sort_implINS0_14default_configELb1EPKsPsPKlPlN2at6native12_GLOBAL__N_18offset_tEEE10hipError_tPvRmT1_PNSt15iterator_traitsIS12_E10value_typeET2_T3_PNS13_IS18_E10value_typeET4_jRbjT5_S1E_jjP12ihipStream_tbEUljE_ZNSN_ISO_Lb1ESQ_SR_ST_SU_SY_EESZ_S10_S11_S12_S16_S17_S18_S1B_S1C_jS1D_jS1E_S1E_jjS1G_bEUljE0_EEESZ_S10_S11_S18_S1C_S1E_T6_T7_T9_mT8_S1G_bDpT10_ENKUlT_T0_E_clISt17integral_constantIbLb0EES1T_IbLb1EEEEDaS1P_S1Q_EUlS1P_E_NS1_11comp_targetILNS1_3genE8ELNS1_11target_archE1030ELNS1_3gpuE2ELNS1_3repE0EEENS1_30default_config_static_selectorELNS0_4arch9wavefront6targetE1EEEvS12_
	.p2align	8
	.type	_ZN7rocprim17ROCPRIM_400000_NS6detail17trampoline_kernelINS0_13select_configILj256ELj13ELNS0_17block_load_methodE3ELS4_3ELS4_3ELNS0_20block_scan_algorithmE0ELj4294967295EEENS1_25partition_config_selectorILNS1_17partition_subalgoE4EjNS0_10empty_typeEbEEZZNS1_14partition_implILS8_4ELb0ES6_15HIP_vector_typeIjLj2EENS0_17counting_iteratorIjlEEPS9_SG_NS0_5tupleIJPjSI_NS0_16reverse_iteratorISI_EEEEENSH_IJSG_SG_SG_EEES9_SI_JZNS1_25segmented_radix_sort_implINS0_14default_configELb1EPKsPsPKlPlN2at6native12_GLOBAL__N_18offset_tEEE10hipError_tPvRmT1_PNSt15iterator_traitsIS12_E10value_typeET2_T3_PNS13_IS18_E10value_typeET4_jRbjT5_S1E_jjP12ihipStream_tbEUljE_ZNSN_ISO_Lb1ESQ_SR_ST_SU_SY_EESZ_S10_S11_S12_S16_S17_S18_S1B_S1C_jS1D_jS1E_S1E_jjS1G_bEUljE0_EEESZ_S10_S11_S18_S1C_S1E_T6_T7_T9_mT8_S1G_bDpT10_ENKUlT_T0_E_clISt17integral_constantIbLb0EES1T_IbLb1EEEEDaS1P_S1Q_EUlS1P_E_NS1_11comp_targetILNS1_3genE8ELNS1_11target_archE1030ELNS1_3gpuE2ELNS1_3repE0EEENS1_30default_config_static_selectorELNS0_4arch9wavefront6targetE1EEEvS12_,@function
_ZN7rocprim17ROCPRIM_400000_NS6detail17trampoline_kernelINS0_13select_configILj256ELj13ELNS0_17block_load_methodE3ELS4_3ELS4_3ELNS0_20block_scan_algorithmE0ELj4294967295EEENS1_25partition_config_selectorILNS1_17partition_subalgoE4EjNS0_10empty_typeEbEEZZNS1_14partition_implILS8_4ELb0ES6_15HIP_vector_typeIjLj2EENS0_17counting_iteratorIjlEEPS9_SG_NS0_5tupleIJPjSI_NS0_16reverse_iteratorISI_EEEEENSH_IJSG_SG_SG_EEES9_SI_JZNS1_25segmented_radix_sort_implINS0_14default_configELb1EPKsPsPKlPlN2at6native12_GLOBAL__N_18offset_tEEE10hipError_tPvRmT1_PNSt15iterator_traitsIS12_E10value_typeET2_T3_PNS13_IS18_E10value_typeET4_jRbjT5_S1E_jjP12ihipStream_tbEUljE_ZNSN_ISO_Lb1ESQ_SR_ST_SU_SY_EESZ_S10_S11_S12_S16_S17_S18_S1B_S1C_jS1D_jS1E_S1E_jjS1G_bEUljE0_EEESZ_S10_S11_S18_S1C_S1E_T6_T7_T9_mT8_S1G_bDpT10_ENKUlT_T0_E_clISt17integral_constantIbLb0EES1T_IbLb1EEEEDaS1P_S1Q_EUlS1P_E_NS1_11comp_targetILNS1_3genE8ELNS1_11target_archE1030ELNS1_3gpuE2ELNS1_3repE0EEENS1_30default_config_static_selectorELNS0_4arch9wavefront6targetE1EEEvS12_: ; @_ZN7rocprim17ROCPRIM_400000_NS6detail17trampoline_kernelINS0_13select_configILj256ELj13ELNS0_17block_load_methodE3ELS4_3ELS4_3ELNS0_20block_scan_algorithmE0ELj4294967295EEENS1_25partition_config_selectorILNS1_17partition_subalgoE4EjNS0_10empty_typeEbEEZZNS1_14partition_implILS8_4ELb0ES6_15HIP_vector_typeIjLj2EENS0_17counting_iteratorIjlEEPS9_SG_NS0_5tupleIJPjSI_NS0_16reverse_iteratorISI_EEEEENSH_IJSG_SG_SG_EEES9_SI_JZNS1_25segmented_radix_sort_implINS0_14default_configELb1EPKsPsPKlPlN2at6native12_GLOBAL__N_18offset_tEEE10hipError_tPvRmT1_PNSt15iterator_traitsIS12_E10value_typeET2_T3_PNS13_IS18_E10value_typeET4_jRbjT5_S1E_jjP12ihipStream_tbEUljE_ZNSN_ISO_Lb1ESQ_SR_ST_SU_SY_EESZ_S10_S11_S12_S16_S17_S18_S1B_S1C_jS1D_jS1E_S1E_jjS1G_bEUljE0_EEESZ_S10_S11_S18_S1C_S1E_T6_T7_T9_mT8_S1G_bDpT10_ENKUlT_T0_E_clISt17integral_constantIbLb0EES1T_IbLb1EEEEDaS1P_S1Q_EUlS1P_E_NS1_11comp_targetILNS1_3genE8ELNS1_11target_archE1030ELNS1_3gpuE2ELNS1_3repE0EEENS1_30default_config_static_selectorELNS0_4arch9wavefront6targetE1EEEvS12_
; %bb.0:
	.section	.rodata,"a",@progbits
	.p2align	6, 0x0
	.amdhsa_kernel _ZN7rocprim17ROCPRIM_400000_NS6detail17trampoline_kernelINS0_13select_configILj256ELj13ELNS0_17block_load_methodE3ELS4_3ELS4_3ELNS0_20block_scan_algorithmE0ELj4294967295EEENS1_25partition_config_selectorILNS1_17partition_subalgoE4EjNS0_10empty_typeEbEEZZNS1_14partition_implILS8_4ELb0ES6_15HIP_vector_typeIjLj2EENS0_17counting_iteratorIjlEEPS9_SG_NS0_5tupleIJPjSI_NS0_16reverse_iteratorISI_EEEEENSH_IJSG_SG_SG_EEES9_SI_JZNS1_25segmented_radix_sort_implINS0_14default_configELb1EPKsPsPKlPlN2at6native12_GLOBAL__N_18offset_tEEE10hipError_tPvRmT1_PNSt15iterator_traitsIS12_E10value_typeET2_T3_PNS13_IS18_E10value_typeET4_jRbjT5_S1E_jjP12ihipStream_tbEUljE_ZNSN_ISO_Lb1ESQ_SR_ST_SU_SY_EESZ_S10_S11_S12_S16_S17_S18_S1B_S1C_jS1D_jS1E_S1E_jjS1G_bEUljE0_EEESZ_S10_S11_S18_S1C_S1E_T6_T7_T9_mT8_S1G_bDpT10_ENKUlT_T0_E_clISt17integral_constantIbLb0EES1T_IbLb1EEEEDaS1P_S1Q_EUlS1P_E_NS1_11comp_targetILNS1_3genE8ELNS1_11target_archE1030ELNS1_3gpuE2ELNS1_3repE0EEENS1_30default_config_static_selectorELNS0_4arch9wavefront6targetE1EEEvS12_
		.amdhsa_group_segment_fixed_size 0
		.amdhsa_private_segment_fixed_size 0
		.amdhsa_kernarg_size 184
		.amdhsa_user_sgpr_count 6
		.amdhsa_user_sgpr_private_segment_buffer 1
		.amdhsa_user_sgpr_dispatch_ptr 0
		.amdhsa_user_sgpr_queue_ptr 0
		.amdhsa_user_sgpr_kernarg_segment_ptr 1
		.amdhsa_user_sgpr_dispatch_id 0
		.amdhsa_user_sgpr_flat_scratch_init 0
		.amdhsa_user_sgpr_private_segment_size 0
		.amdhsa_uses_dynamic_stack 0
		.amdhsa_system_sgpr_private_segment_wavefront_offset 0
		.amdhsa_system_sgpr_workgroup_id_x 1
		.amdhsa_system_sgpr_workgroup_id_y 0
		.amdhsa_system_sgpr_workgroup_id_z 0
		.amdhsa_system_sgpr_workgroup_info 0
		.amdhsa_system_vgpr_workitem_id 0
		.amdhsa_next_free_vgpr 1
		.amdhsa_next_free_sgpr 0
		.amdhsa_reserve_vcc 0
		.amdhsa_reserve_flat_scratch 0
		.amdhsa_float_round_mode_32 0
		.amdhsa_float_round_mode_16_64 0
		.amdhsa_float_denorm_mode_32 3
		.amdhsa_float_denorm_mode_16_64 3
		.amdhsa_dx10_clamp 1
		.amdhsa_ieee_mode 1
		.amdhsa_fp16_overflow 0
		.amdhsa_exception_fp_ieee_invalid_op 0
		.amdhsa_exception_fp_denorm_src 0
		.amdhsa_exception_fp_ieee_div_zero 0
		.amdhsa_exception_fp_ieee_overflow 0
		.amdhsa_exception_fp_ieee_underflow 0
		.amdhsa_exception_fp_ieee_inexact 0
		.amdhsa_exception_int_div_zero 0
	.end_amdhsa_kernel
	.section	.text._ZN7rocprim17ROCPRIM_400000_NS6detail17trampoline_kernelINS0_13select_configILj256ELj13ELNS0_17block_load_methodE3ELS4_3ELS4_3ELNS0_20block_scan_algorithmE0ELj4294967295EEENS1_25partition_config_selectorILNS1_17partition_subalgoE4EjNS0_10empty_typeEbEEZZNS1_14partition_implILS8_4ELb0ES6_15HIP_vector_typeIjLj2EENS0_17counting_iteratorIjlEEPS9_SG_NS0_5tupleIJPjSI_NS0_16reverse_iteratorISI_EEEEENSH_IJSG_SG_SG_EEES9_SI_JZNS1_25segmented_radix_sort_implINS0_14default_configELb1EPKsPsPKlPlN2at6native12_GLOBAL__N_18offset_tEEE10hipError_tPvRmT1_PNSt15iterator_traitsIS12_E10value_typeET2_T3_PNS13_IS18_E10value_typeET4_jRbjT5_S1E_jjP12ihipStream_tbEUljE_ZNSN_ISO_Lb1ESQ_SR_ST_SU_SY_EESZ_S10_S11_S12_S16_S17_S18_S1B_S1C_jS1D_jS1E_S1E_jjS1G_bEUljE0_EEESZ_S10_S11_S18_S1C_S1E_T6_T7_T9_mT8_S1G_bDpT10_ENKUlT_T0_E_clISt17integral_constantIbLb0EES1T_IbLb1EEEEDaS1P_S1Q_EUlS1P_E_NS1_11comp_targetILNS1_3genE8ELNS1_11target_archE1030ELNS1_3gpuE2ELNS1_3repE0EEENS1_30default_config_static_selectorELNS0_4arch9wavefront6targetE1EEEvS12_,"axG",@progbits,_ZN7rocprim17ROCPRIM_400000_NS6detail17trampoline_kernelINS0_13select_configILj256ELj13ELNS0_17block_load_methodE3ELS4_3ELS4_3ELNS0_20block_scan_algorithmE0ELj4294967295EEENS1_25partition_config_selectorILNS1_17partition_subalgoE4EjNS0_10empty_typeEbEEZZNS1_14partition_implILS8_4ELb0ES6_15HIP_vector_typeIjLj2EENS0_17counting_iteratorIjlEEPS9_SG_NS0_5tupleIJPjSI_NS0_16reverse_iteratorISI_EEEEENSH_IJSG_SG_SG_EEES9_SI_JZNS1_25segmented_radix_sort_implINS0_14default_configELb1EPKsPsPKlPlN2at6native12_GLOBAL__N_18offset_tEEE10hipError_tPvRmT1_PNSt15iterator_traitsIS12_E10value_typeET2_T3_PNS13_IS18_E10value_typeET4_jRbjT5_S1E_jjP12ihipStream_tbEUljE_ZNSN_ISO_Lb1ESQ_SR_ST_SU_SY_EESZ_S10_S11_S12_S16_S17_S18_S1B_S1C_jS1D_jS1E_S1E_jjS1G_bEUljE0_EEESZ_S10_S11_S18_S1C_S1E_T6_T7_T9_mT8_S1G_bDpT10_ENKUlT_T0_E_clISt17integral_constantIbLb0EES1T_IbLb1EEEEDaS1P_S1Q_EUlS1P_E_NS1_11comp_targetILNS1_3genE8ELNS1_11target_archE1030ELNS1_3gpuE2ELNS1_3repE0EEENS1_30default_config_static_selectorELNS0_4arch9wavefront6targetE1EEEvS12_,comdat
.Lfunc_end878:
	.size	_ZN7rocprim17ROCPRIM_400000_NS6detail17trampoline_kernelINS0_13select_configILj256ELj13ELNS0_17block_load_methodE3ELS4_3ELS4_3ELNS0_20block_scan_algorithmE0ELj4294967295EEENS1_25partition_config_selectorILNS1_17partition_subalgoE4EjNS0_10empty_typeEbEEZZNS1_14partition_implILS8_4ELb0ES6_15HIP_vector_typeIjLj2EENS0_17counting_iteratorIjlEEPS9_SG_NS0_5tupleIJPjSI_NS0_16reverse_iteratorISI_EEEEENSH_IJSG_SG_SG_EEES9_SI_JZNS1_25segmented_radix_sort_implINS0_14default_configELb1EPKsPsPKlPlN2at6native12_GLOBAL__N_18offset_tEEE10hipError_tPvRmT1_PNSt15iterator_traitsIS12_E10value_typeET2_T3_PNS13_IS18_E10value_typeET4_jRbjT5_S1E_jjP12ihipStream_tbEUljE_ZNSN_ISO_Lb1ESQ_SR_ST_SU_SY_EESZ_S10_S11_S12_S16_S17_S18_S1B_S1C_jS1D_jS1E_S1E_jjS1G_bEUljE0_EEESZ_S10_S11_S18_S1C_S1E_T6_T7_T9_mT8_S1G_bDpT10_ENKUlT_T0_E_clISt17integral_constantIbLb0EES1T_IbLb1EEEEDaS1P_S1Q_EUlS1P_E_NS1_11comp_targetILNS1_3genE8ELNS1_11target_archE1030ELNS1_3gpuE2ELNS1_3repE0EEENS1_30default_config_static_selectorELNS0_4arch9wavefront6targetE1EEEvS12_, .Lfunc_end878-_ZN7rocprim17ROCPRIM_400000_NS6detail17trampoline_kernelINS0_13select_configILj256ELj13ELNS0_17block_load_methodE3ELS4_3ELS4_3ELNS0_20block_scan_algorithmE0ELj4294967295EEENS1_25partition_config_selectorILNS1_17partition_subalgoE4EjNS0_10empty_typeEbEEZZNS1_14partition_implILS8_4ELb0ES6_15HIP_vector_typeIjLj2EENS0_17counting_iteratorIjlEEPS9_SG_NS0_5tupleIJPjSI_NS0_16reverse_iteratorISI_EEEEENSH_IJSG_SG_SG_EEES9_SI_JZNS1_25segmented_radix_sort_implINS0_14default_configELb1EPKsPsPKlPlN2at6native12_GLOBAL__N_18offset_tEEE10hipError_tPvRmT1_PNSt15iterator_traitsIS12_E10value_typeET2_T3_PNS13_IS18_E10value_typeET4_jRbjT5_S1E_jjP12ihipStream_tbEUljE_ZNSN_ISO_Lb1ESQ_SR_ST_SU_SY_EESZ_S10_S11_S12_S16_S17_S18_S1B_S1C_jS1D_jS1E_S1E_jjS1G_bEUljE0_EEESZ_S10_S11_S18_S1C_S1E_T6_T7_T9_mT8_S1G_bDpT10_ENKUlT_T0_E_clISt17integral_constantIbLb0EES1T_IbLb1EEEEDaS1P_S1Q_EUlS1P_E_NS1_11comp_targetILNS1_3genE8ELNS1_11target_archE1030ELNS1_3gpuE2ELNS1_3repE0EEENS1_30default_config_static_selectorELNS0_4arch9wavefront6targetE1EEEvS12_
                                        ; -- End function
	.set _ZN7rocprim17ROCPRIM_400000_NS6detail17trampoline_kernelINS0_13select_configILj256ELj13ELNS0_17block_load_methodE3ELS4_3ELS4_3ELNS0_20block_scan_algorithmE0ELj4294967295EEENS1_25partition_config_selectorILNS1_17partition_subalgoE4EjNS0_10empty_typeEbEEZZNS1_14partition_implILS8_4ELb0ES6_15HIP_vector_typeIjLj2EENS0_17counting_iteratorIjlEEPS9_SG_NS0_5tupleIJPjSI_NS0_16reverse_iteratorISI_EEEEENSH_IJSG_SG_SG_EEES9_SI_JZNS1_25segmented_radix_sort_implINS0_14default_configELb1EPKsPsPKlPlN2at6native12_GLOBAL__N_18offset_tEEE10hipError_tPvRmT1_PNSt15iterator_traitsIS12_E10value_typeET2_T3_PNS13_IS18_E10value_typeET4_jRbjT5_S1E_jjP12ihipStream_tbEUljE_ZNSN_ISO_Lb1ESQ_SR_ST_SU_SY_EESZ_S10_S11_S12_S16_S17_S18_S1B_S1C_jS1D_jS1E_S1E_jjS1G_bEUljE0_EEESZ_S10_S11_S18_S1C_S1E_T6_T7_T9_mT8_S1G_bDpT10_ENKUlT_T0_E_clISt17integral_constantIbLb0EES1T_IbLb1EEEEDaS1P_S1Q_EUlS1P_E_NS1_11comp_targetILNS1_3genE8ELNS1_11target_archE1030ELNS1_3gpuE2ELNS1_3repE0EEENS1_30default_config_static_selectorELNS0_4arch9wavefront6targetE1EEEvS12_.num_vgpr, 0
	.set _ZN7rocprim17ROCPRIM_400000_NS6detail17trampoline_kernelINS0_13select_configILj256ELj13ELNS0_17block_load_methodE3ELS4_3ELS4_3ELNS0_20block_scan_algorithmE0ELj4294967295EEENS1_25partition_config_selectorILNS1_17partition_subalgoE4EjNS0_10empty_typeEbEEZZNS1_14partition_implILS8_4ELb0ES6_15HIP_vector_typeIjLj2EENS0_17counting_iteratorIjlEEPS9_SG_NS0_5tupleIJPjSI_NS0_16reverse_iteratorISI_EEEEENSH_IJSG_SG_SG_EEES9_SI_JZNS1_25segmented_radix_sort_implINS0_14default_configELb1EPKsPsPKlPlN2at6native12_GLOBAL__N_18offset_tEEE10hipError_tPvRmT1_PNSt15iterator_traitsIS12_E10value_typeET2_T3_PNS13_IS18_E10value_typeET4_jRbjT5_S1E_jjP12ihipStream_tbEUljE_ZNSN_ISO_Lb1ESQ_SR_ST_SU_SY_EESZ_S10_S11_S12_S16_S17_S18_S1B_S1C_jS1D_jS1E_S1E_jjS1G_bEUljE0_EEESZ_S10_S11_S18_S1C_S1E_T6_T7_T9_mT8_S1G_bDpT10_ENKUlT_T0_E_clISt17integral_constantIbLb0EES1T_IbLb1EEEEDaS1P_S1Q_EUlS1P_E_NS1_11comp_targetILNS1_3genE8ELNS1_11target_archE1030ELNS1_3gpuE2ELNS1_3repE0EEENS1_30default_config_static_selectorELNS0_4arch9wavefront6targetE1EEEvS12_.num_agpr, 0
	.set _ZN7rocprim17ROCPRIM_400000_NS6detail17trampoline_kernelINS0_13select_configILj256ELj13ELNS0_17block_load_methodE3ELS4_3ELS4_3ELNS0_20block_scan_algorithmE0ELj4294967295EEENS1_25partition_config_selectorILNS1_17partition_subalgoE4EjNS0_10empty_typeEbEEZZNS1_14partition_implILS8_4ELb0ES6_15HIP_vector_typeIjLj2EENS0_17counting_iteratorIjlEEPS9_SG_NS0_5tupleIJPjSI_NS0_16reverse_iteratorISI_EEEEENSH_IJSG_SG_SG_EEES9_SI_JZNS1_25segmented_radix_sort_implINS0_14default_configELb1EPKsPsPKlPlN2at6native12_GLOBAL__N_18offset_tEEE10hipError_tPvRmT1_PNSt15iterator_traitsIS12_E10value_typeET2_T3_PNS13_IS18_E10value_typeET4_jRbjT5_S1E_jjP12ihipStream_tbEUljE_ZNSN_ISO_Lb1ESQ_SR_ST_SU_SY_EESZ_S10_S11_S12_S16_S17_S18_S1B_S1C_jS1D_jS1E_S1E_jjS1G_bEUljE0_EEESZ_S10_S11_S18_S1C_S1E_T6_T7_T9_mT8_S1G_bDpT10_ENKUlT_T0_E_clISt17integral_constantIbLb0EES1T_IbLb1EEEEDaS1P_S1Q_EUlS1P_E_NS1_11comp_targetILNS1_3genE8ELNS1_11target_archE1030ELNS1_3gpuE2ELNS1_3repE0EEENS1_30default_config_static_selectorELNS0_4arch9wavefront6targetE1EEEvS12_.numbered_sgpr, 0
	.set _ZN7rocprim17ROCPRIM_400000_NS6detail17trampoline_kernelINS0_13select_configILj256ELj13ELNS0_17block_load_methodE3ELS4_3ELS4_3ELNS0_20block_scan_algorithmE0ELj4294967295EEENS1_25partition_config_selectorILNS1_17partition_subalgoE4EjNS0_10empty_typeEbEEZZNS1_14partition_implILS8_4ELb0ES6_15HIP_vector_typeIjLj2EENS0_17counting_iteratorIjlEEPS9_SG_NS0_5tupleIJPjSI_NS0_16reverse_iteratorISI_EEEEENSH_IJSG_SG_SG_EEES9_SI_JZNS1_25segmented_radix_sort_implINS0_14default_configELb1EPKsPsPKlPlN2at6native12_GLOBAL__N_18offset_tEEE10hipError_tPvRmT1_PNSt15iterator_traitsIS12_E10value_typeET2_T3_PNS13_IS18_E10value_typeET4_jRbjT5_S1E_jjP12ihipStream_tbEUljE_ZNSN_ISO_Lb1ESQ_SR_ST_SU_SY_EESZ_S10_S11_S12_S16_S17_S18_S1B_S1C_jS1D_jS1E_S1E_jjS1G_bEUljE0_EEESZ_S10_S11_S18_S1C_S1E_T6_T7_T9_mT8_S1G_bDpT10_ENKUlT_T0_E_clISt17integral_constantIbLb0EES1T_IbLb1EEEEDaS1P_S1Q_EUlS1P_E_NS1_11comp_targetILNS1_3genE8ELNS1_11target_archE1030ELNS1_3gpuE2ELNS1_3repE0EEENS1_30default_config_static_selectorELNS0_4arch9wavefront6targetE1EEEvS12_.num_named_barrier, 0
	.set _ZN7rocprim17ROCPRIM_400000_NS6detail17trampoline_kernelINS0_13select_configILj256ELj13ELNS0_17block_load_methodE3ELS4_3ELS4_3ELNS0_20block_scan_algorithmE0ELj4294967295EEENS1_25partition_config_selectorILNS1_17partition_subalgoE4EjNS0_10empty_typeEbEEZZNS1_14partition_implILS8_4ELb0ES6_15HIP_vector_typeIjLj2EENS0_17counting_iteratorIjlEEPS9_SG_NS0_5tupleIJPjSI_NS0_16reverse_iteratorISI_EEEEENSH_IJSG_SG_SG_EEES9_SI_JZNS1_25segmented_radix_sort_implINS0_14default_configELb1EPKsPsPKlPlN2at6native12_GLOBAL__N_18offset_tEEE10hipError_tPvRmT1_PNSt15iterator_traitsIS12_E10value_typeET2_T3_PNS13_IS18_E10value_typeET4_jRbjT5_S1E_jjP12ihipStream_tbEUljE_ZNSN_ISO_Lb1ESQ_SR_ST_SU_SY_EESZ_S10_S11_S12_S16_S17_S18_S1B_S1C_jS1D_jS1E_S1E_jjS1G_bEUljE0_EEESZ_S10_S11_S18_S1C_S1E_T6_T7_T9_mT8_S1G_bDpT10_ENKUlT_T0_E_clISt17integral_constantIbLb0EES1T_IbLb1EEEEDaS1P_S1Q_EUlS1P_E_NS1_11comp_targetILNS1_3genE8ELNS1_11target_archE1030ELNS1_3gpuE2ELNS1_3repE0EEENS1_30default_config_static_selectorELNS0_4arch9wavefront6targetE1EEEvS12_.private_seg_size, 0
	.set _ZN7rocprim17ROCPRIM_400000_NS6detail17trampoline_kernelINS0_13select_configILj256ELj13ELNS0_17block_load_methodE3ELS4_3ELS4_3ELNS0_20block_scan_algorithmE0ELj4294967295EEENS1_25partition_config_selectorILNS1_17partition_subalgoE4EjNS0_10empty_typeEbEEZZNS1_14partition_implILS8_4ELb0ES6_15HIP_vector_typeIjLj2EENS0_17counting_iteratorIjlEEPS9_SG_NS0_5tupleIJPjSI_NS0_16reverse_iteratorISI_EEEEENSH_IJSG_SG_SG_EEES9_SI_JZNS1_25segmented_radix_sort_implINS0_14default_configELb1EPKsPsPKlPlN2at6native12_GLOBAL__N_18offset_tEEE10hipError_tPvRmT1_PNSt15iterator_traitsIS12_E10value_typeET2_T3_PNS13_IS18_E10value_typeET4_jRbjT5_S1E_jjP12ihipStream_tbEUljE_ZNSN_ISO_Lb1ESQ_SR_ST_SU_SY_EESZ_S10_S11_S12_S16_S17_S18_S1B_S1C_jS1D_jS1E_S1E_jjS1G_bEUljE0_EEESZ_S10_S11_S18_S1C_S1E_T6_T7_T9_mT8_S1G_bDpT10_ENKUlT_T0_E_clISt17integral_constantIbLb0EES1T_IbLb1EEEEDaS1P_S1Q_EUlS1P_E_NS1_11comp_targetILNS1_3genE8ELNS1_11target_archE1030ELNS1_3gpuE2ELNS1_3repE0EEENS1_30default_config_static_selectorELNS0_4arch9wavefront6targetE1EEEvS12_.uses_vcc, 0
	.set _ZN7rocprim17ROCPRIM_400000_NS6detail17trampoline_kernelINS0_13select_configILj256ELj13ELNS0_17block_load_methodE3ELS4_3ELS4_3ELNS0_20block_scan_algorithmE0ELj4294967295EEENS1_25partition_config_selectorILNS1_17partition_subalgoE4EjNS0_10empty_typeEbEEZZNS1_14partition_implILS8_4ELb0ES6_15HIP_vector_typeIjLj2EENS0_17counting_iteratorIjlEEPS9_SG_NS0_5tupleIJPjSI_NS0_16reverse_iteratorISI_EEEEENSH_IJSG_SG_SG_EEES9_SI_JZNS1_25segmented_radix_sort_implINS0_14default_configELb1EPKsPsPKlPlN2at6native12_GLOBAL__N_18offset_tEEE10hipError_tPvRmT1_PNSt15iterator_traitsIS12_E10value_typeET2_T3_PNS13_IS18_E10value_typeET4_jRbjT5_S1E_jjP12ihipStream_tbEUljE_ZNSN_ISO_Lb1ESQ_SR_ST_SU_SY_EESZ_S10_S11_S12_S16_S17_S18_S1B_S1C_jS1D_jS1E_S1E_jjS1G_bEUljE0_EEESZ_S10_S11_S18_S1C_S1E_T6_T7_T9_mT8_S1G_bDpT10_ENKUlT_T0_E_clISt17integral_constantIbLb0EES1T_IbLb1EEEEDaS1P_S1Q_EUlS1P_E_NS1_11comp_targetILNS1_3genE8ELNS1_11target_archE1030ELNS1_3gpuE2ELNS1_3repE0EEENS1_30default_config_static_selectorELNS0_4arch9wavefront6targetE1EEEvS12_.uses_flat_scratch, 0
	.set _ZN7rocprim17ROCPRIM_400000_NS6detail17trampoline_kernelINS0_13select_configILj256ELj13ELNS0_17block_load_methodE3ELS4_3ELS4_3ELNS0_20block_scan_algorithmE0ELj4294967295EEENS1_25partition_config_selectorILNS1_17partition_subalgoE4EjNS0_10empty_typeEbEEZZNS1_14partition_implILS8_4ELb0ES6_15HIP_vector_typeIjLj2EENS0_17counting_iteratorIjlEEPS9_SG_NS0_5tupleIJPjSI_NS0_16reverse_iteratorISI_EEEEENSH_IJSG_SG_SG_EEES9_SI_JZNS1_25segmented_radix_sort_implINS0_14default_configELb1EPKsPsPKlPlN2at6native12_GLOBAL__N_18offset_tEEE10hipError_tPvRmT1_PNSt15iterator_traitsIS12_E10value_typeET2_T3_PNS13_IS18_E10value_typeET4_jRbjT5_S1E_jjP12ihipStream_tbEUljE_ZNSN_ISO_Lb1ESQ_SR_ST_SU_SY_EESZ_S10_S11_S12_S16_S17_S18_S1B_S1C_jS1D_jS1E_S1E_jjS1G_bEUljE0_EEESZ_S10_S11_S18_S1C_S1E_T6_T7_T9_mT8_S1G_bDpT10_ENKUlT_T0_E_clISt17integral_constantIbLb0EES1T_IbLb1EEEEDaS1P_S1Q_EUlS1P_E_NS1_11comp_targetILNS1_3genE8ELNS1_11target_archE1030ELNS1_3gpuE2ELNS1_3repE0EEENS1_30default_config_static_selectorELNS0_4arch9wavefront6targetE1EEEvS12_.has_dyn_sized_stack, 0
	.set _ZN7rocprim17ROCPRIM_400000_NS6detail17trampoline_kernelINS0_13select_configILj256ELj13ELNS0_17block_load_methodE3ELS4_3ELS4_3ELNS0_20block_scan_algorithmE0ELj4294967295EEENS1_25partition_config_selectorILNS1_17partition_subalgoE4EjNS0_10empty_typeEbEEZZNS1_14partition_implILS8_4ELb0ES6_15HIP_vector_typeIjLj2EENS0_17counting_iteratorIjlEEPS9_SG_NS0_5tupleIJPjSI_NS0_16reverse_iteratorISI_EEEEENSH_IJSG_SG_SG_EEES9_SI_JZNS1_25segmented_radix_sort_implINS0_14default_configELb1EPKsPsPKlPlN2at6native12_GLOBAL__N_18offset_tEEE10hipError_tPvRmT1_PNSt15iterator_traitsIS12_E10value_typeET2_T3_PNS13_IS18_E10value_typeET4_jRbjT5_S1E_jjP12ihipStream_tbEUljE_ZNSN_ISO_Lb1ESQ_SR_ST_SU_SY_EESZ_S10_S11_S12_S16_S17_S18_S1B_S1C_jS1D_jS1E_S1E_jjS1G_bEUljE0_EEESZ_S10_S11_S18_S1C_S1E_T6_T7_T9_mT8_S1G_bDpT10_ENKUlT_T0_E_clISt17integral_constantIbLb0EES1T_IbLb1EEEEDaS1P_S1Q_EUlS1P_E_NS1_11comp_targetILNS1_3genE8ELNS1_11target_archE1030ELNS1_3gpuE2ELNS1_3repE0EEENS1_30default_config_static_selectorELNS0_4arch9wavefront6targetE1EEEvS12_.has_recursion, 0
	.set _ZN7rocprim17ROCPRIM_400000_NS6detail17trampoline_kernelINS0_13select_configILj256ELj13ELNS0_17block_load_methodE3ELS4_3ELS4_3ELNS0_20block_scan_algorithmE0ELj4294967295EEENS1_25partition_config_selectorILNS1_17partition_subalgoE4EjNS0_10empty_typeEbEEZZNS1_14partition_implILS8_4ELb0ES6_15HIP_vector_typeIjLj2EENS0_17counting_iteratorIjlEEPS9_SG_NS0_5tupleIJPjSI_NS0_16reverse_iteratorISI_EEEEENSH_IJSG_SG_SG_EEES9_SI_JZNS1_25segmented_radix_sort_implINS0_14default_configELb1EPKsPsPKlPlN2at6native12_GLOBAL__N_18offset_tEEE10hipError_tPvRmT1_PNSt15iterator_traitsIS12_E10value_typeET2_T3_PNS13_IS18_E10value_typeET4_jRbjT5_S1E_jjP12ihipStream_tbEUljE_ZNSN_ISO_Lb1ESQ_SR_ST_SU_SY_EESZ_S10_S11_S12_S16_S17_S18_S1B_S1C_jS1D_jS1E_S1E_jjS1G_bEUljE0_EEESZ_S10_S11_S18_S1C_S1E_T6_T7_T9_mT8_S1G_bDpT10_ENKUlT_T0_E_clISt17integral_constantIbLb0EES1T_IbLb1EEEEDaS1P_S1Q_EUlS1P_E_NS1_11comp_targetILNS1_3genE8ELNS1_11target_archE1030ELNS1_3gpuE2ELNS1_3repE0EEENS1_30default_config_static_selectorELNS0_4arch9wavefront6targetE1EEEvS12_.has_indirect_call, 0
	.section	.AMDGPU.csdata,"",@progbits
; Kernel info:
; codeLenInByte = 0
; TotalNumSgprs: 4
; NumVgprs: 0
; ScratchSize: 0
; MemoryBound: 0
; FloatMode: 240
; IeeeMode: 1
; LDSByteSize: 0 bytes/workgroup (compile time only)
; SGPRBlocks: 0
; VGPRBlocks: 0
; NumSGPRsForWavesPerEU: 4
; NumVGPRsForWavesPerEU: 1
; Occupancy: 10
; WaveLimiterHint : 0
; COMPUTE_PGM_RSRC2:SCRATCH_EN: 0
; COMPUTE_PGM_RSRC2:USER_SGPR: 6
; COMPUTE_PGM_RSRC2:TRAP_HANDLER: 0
; COMPUTE_PGM_RSRC2:TGID_X_EN: 1
; COMPUTE_PGM_RSRC2:TGID_Y_EN: 0
; COMPUTE_PGM_RSRC2:TGID_Z_EN: 0
; COMPUTE_PGM_RSRC2:TIDIG_COMP_CNT: 0
	.section	.text._ZN7rocprim17ROCPRIM_400000_NS6detail17trampoline_kernelINS0_13select_configILj256ELj13ELNS0_17block_load_methodE3ELS4_3ELS4_3ELNS0_20block_scan_algorithmE0ELj4294967295EEENS1_25partition_config_selectorILNS1_17partition_subalgoE3EjNS0_10empty_typeEbEEZZNS1_14partition_implILS8_3ELb0ES6_jNS0_17counting_iteratorIjlEEPS9_SE_NS0_5tupleIJPjSE_EEENSF_IJSE_SE_EEES9_SG_JZNS1_25segmented_radix_sort_implINS0_14default_configELb1EPKsPsPKlPlN2at6native12_GLOBAL__N_18offset_tEEE10hipError_tPvRmT1_PNSt15iterator_traitsISY_E10value_typeET2_T3_PNSZ_IS14_E10value_typeET4_jRbjT5_S1A_jjP12ihipStream_tbEUljE_EEESV_SW_SX_S14_S18_S1A_T6_T7_T9_mT8_S1C_bDpT10_ENKUlT_T0_E_clISt17integral_constantIbLb0EES1P_EEDaS1K_S1L_EUlS1K_E_NS1_11comp_targetILNS1_3genE0ELNS1_11target_archE4294967295ELNS1_3gpuE0ELNS1_3repE0EEENS1_30default_config_static_selectorELNS0_4arch9wavefront6targetE1EEEvSY_,"axG",@progbits,_ZN7rocprim17ROCPRIM_400000_NS6detail17trampoline_kernelINS0_13select_configILj256ELj13ELNS0_17block_load_methodE3ELS4_3ELS4_3ELNS0_20block_scan_algorithmE0ELj4294967295EEENS1_25partition_config_selectorILNS1_17partition_subalgoE3EjNS0_10empty_typeEbEEZZNS1_14partition_implILS8_3ELb0ES6_jNS0_17counting_iteratorIjlEEPS9_SE_NS0_5tupleIJPjSE_EEENSF_IJSE_SE_EEES9_SG_JZNS1_25segmented_radix_sort_implINS0_14default_configELb1EPKsPsPKlPlN2at6native12_GLOBAL__N_18offset_tEEE10hipError_tPvRmT1_PNSt15iterator_traitsISY_E10value_typeET2_T3_PNSZ_IS14_E10value_typeET4_jRbjT5_S1A_jjP12ihipStream_tbEUljE_EEESV_SW_SX_S14_S18_S1A_T6_T7_T9_mT8_S1C_bDpT10_ENKUlT_T0_E_clISt17integral_constantIbLb0EES1P_EEDaS1K_S1L_EUlS1K_E_NS1_11comp_targetILNS1_3genE0ELNS1_11target_archE4294967295ELNS1_3gpuE0ELNS1_3repE0EEENS1_30default_config_static_selectorELNS0_4arch9wavefront6targetE1EEEvSY_,comdat
	.globl	_ZN7rocprim17ROCPRIM_400000_NS6detail17trampoline_kernelINS0_13select_configILj256ELj13ELNS0_17block_load_methodE3ELS4_3ELS4_3ELNS0_20block_scan_algorithmE0ELj4294967295EEENS1_25partition_config_selectorILNS1_17partition_subalgoE3EjNS0_10empty_typeEbEEZZNS1_14partition_implILS8_3ELb0ES6_jNS0_17counting_iteratorIjlEEPS9_SE_NS0_5tupleIJPjSE_EEENSF_IJSE_SE_EEES9_SG_JZNS1_25segmented_radix_sort_implINS0_14default_configELb1EPKsPsPKlPlN2at6native12_GLOBAL__N_18offset_tEEE10hipError_tPvRmT1_PNSt15iterator_traitsISY_E10value_typeET2_T3_PNSZ_IS14_E10value_typeET4_jRbjT5_S1A_jjP12ihipStream_tbEUljE_EEESV_SW_SX_S14_S18_S1A_T6_T7_T9_mT8_S1C_bDpT10_ENKUlT_T0_E_clISt17integral_constantIbLb0EES1P_EEDaS1K_S1L_EUlS1K_E_NS1_11comp_targetILNS1_3genE0ELNS1_11target_archE4294967295ELNS1_3gpuE0ELNS1_3repE0EEENS1_30default_config_static_selectorELNS0_4arch9wavefront6targetE1EEEvSY_ ; -- Begin function _ZN7rocprim17ROCPRIM_400000_NS6detail17trampoline_kernelINS0_13select_configILj256ELj13ELNS0_17block_load_methodE3ELS4_3ELS4_3ELNS0_20block_scan_algorithmE0ELj4294967295EEENS1_25partition_config_selectorILNS1_17partition_subalgoE3EjNS0_10empty_typeEbEEZZNS1_14partition_implILS8_3ELb0ES6_jNS0_17counting_iteratorIjlEEPS9_SE_NS0_5tupleIJPjSE_EEENSF_IJSE_SE_EEES9_SG_JZNS1_25segmented_radix_sort_implINS0_14default_configELb1EPKsPsPKlPlN2at6native12_GLOBAL__N_18offset_tEEE10hipError_tPvRmT1_PNSt15iterator_traitsISY_E10value_typeET2_T3_PNSZ_IS14_E10value_typeET4_jRbjT5_S1A_jjP12ihipStream_tbEUljE_EEESV_SW_SX_S14_S18_S1A_T6_T7_T9_mT8_S1C_bDpT10_ENKUlT_T0_E_clISt17integral_constantIbLb0EES1P_EEDaS1K_S1L_EUlS1K_E_NS1_11comp_targetILNS1_3genE0ELNS1_11target_archE4294967295ELNS1_3gpuE0ELNS1_3repE0EEENS1_30default_config_static_selectorELNS0_4arch9wavefront6targetE1EEEvSY_
	.p2align	8
	.type	_ZN7rocprim17ROCPRIM_400000_NS6detail17trampoline_kernelINS0_13select_configILj256ELj13ELNS0_17block_load_methodE3ELS4_3ELS4_3ELNS0_20block_scan_algorithmE0ELj4294967295EEENS1_25partition_config_selectorILNS1_17partition_subalgoE3EjNS0_10empty_typeEbEEZZNS1_14partition_implILS8_3ELb0ES6_jNS0_17counting_iteratorIjlEEPS9_SE_NS0_5tupleIJPjSE_EEENSF_IJSE_SE_EEES9_SG_JZNS1_25segmented_radix_sort_implINS0_14default_configELb1EPKsPsPKlPlN2at6native12_GLOBAL__N_18offset_tEEE10hipError_tPvRmT1_PNSt15iterator_traitsISY_E10value_typeET2_T3_PNSZ_IS14_E10value_typeET4_jRbjT5_S1A_jjP12ihipStream_tbEUljE_EEESV_SW_SX_S14_S18_S1A_T6_T7_T9_mT8_S1C_bDpT10_ENKUlT_T0_E_clISt17integral_constantIbLb0EES1P_EEDaS1K_S1L_EUlS1K_E_NS1_11comp_targetILNS1_3genE0ELNS1_11target_archE4294967295ELNS1_3gpuE0ELNS1_3repE0EEENS1_30default_config_static_selectorELNS0_4arch9wavefront6targetE1EEEvSY_,@function
_ZN7rocprim17ROCPRIM_400000_NS6detail17trampoline_kernelINS0_13select_configILj256ELj13ELNS0_17block_load_methodE3ELS4_3ELS4_3ELNS0_20block_scan_algorithmE0ELj4294967295EEENS1_25partition_config_selectorILNS1_17partition_subalgoE3EjNS0_10empty_typeEbEEZZNS1_14partition_implILS8_3ELb0ES6_jNS0_17counting_iteratorIjlEEPS9_SE_NS0_5tupleIJPjSE_EEENSF_IJSE_SE_EEES9_SG_JZNS1_25segmented_radix_sort_implINS0_14default_configELb1EPKsPsPKlPlN2at6native12_GLOBAL__N_18offset_tEEE10hipError_tPvRmT1_PNSt15iterator_traitsISY_E10value_typeET2_T3_PNSZ_IS14_E10value_typeET4_jRbjT5_S1A_jjP12ihipStream_tbEUljE_EEESV_SW_SX_S14_S18_S1A_T6_T7_T9_mT8_S1C_bDpT10_ENKUlT_T0_E_clISt17integral_constantIbLb0EES1P_EEDaS1K_S1L_EUlS1K_E_NS1_11comp_targetILNS1_3genE0ELNS1_11target_archE4294967295ELNS1_3gpuE0ELNS1_3repE0EEENS1_30default_config_static_selectorELNS0_4arch9wavefront6targetE1EEEvSY_: ; @_ZN7rocprim17ROCPRIM_400000_NS6detail17trampoline_kernelINS0_13select_configILj256ELj13ELNS0_17block_load_methodE3ELS4_3ELS4_3ELNS0_20block_scan_algorithmE0ELj4294967295EEENS1_25partition_config_selectorILNS1_17partition_subalgoE3EjNS0_10empty_typeEbEEZZNS1_14partition_implILS8_3ELb0ES6_jNS0_17counting_iteratorIjlEEPS9_SE_NS0_5tupleIJPjSE_EEENSF_IJSE_SE_EEES9_SG_JZNS1_25segmented_radix_sort_implINS0_14default_configELb1EPKsPsPKlPlN2at6native12_GLOBAL__N_18offset_tEEE10hipError_tPvRmT1_PNSt15iterator_traitsISY_E10value_typeET2_T3_PNSZ_IS14_E10value_typeET4_jRbjT5_S1A_jjP12ihipStream_tbEUljE_EEESV_SW_SX_S14_S18_S1A_T6_T7_T9_mT8_S1C_bDpT10_ENKUlT_T0_E_clISt17integral_constantIbLb0EES1P_EEDaS1K_S1L_EUlS1K_E_NS1_11comp_targetILNS1_3genE0ELNS1_11target_archE4294967295ELNS1_3gpuE0ELNS1_3repE0EEENS1_30default_config_static_selectorELNS0_4arch9wavefront6targetE1EEEvSY_
; %bb.0:
	.section	.rodata,"a",@progbits
	.p2align	6, 0x0
	.amdhsa_kernel _ZN7rocprim17ROCPRIM_400000_NS6detail17trampoline_kernelINS0_13select_configILj256ELj13ELNS0_17block_load_methodE3ELS4_3ELS4_3ELNS0_20block_scan_algorithmE0ELj4294967295EEENS1_25partition_config_selectorILNS1_17partition_subalgoE3EjNS0_10empty_typeEbEEZZNS1_14partition_implILS8_3ELb0ES6_jNS0_17counting_iteratorIjlEEPS9_SE_NS0_5tupleIJPjSE_EEENSF_IJSE_SE_EEES9_SG_JZNS1_25segmented_radix_sort_implINS0_14default_configELb1EPKsPsPKlPlN2at6native12_GLOBAL__N_18offset_tEEE10hipError_tPvRmT1_PNSt15iterator_traitsISY_E10value_typeET2_T3_PNSZ_IS14_E10value_typeET4_jRbjT5_S1A_jjP12ihipStream_tbEUljE_EEESV_SW_SX_S14_S18_S1A_T6_T7_T9_mT8_S1C_bDpT10_ENKUlT_T0_E_clISt17integral_constantIbLb0EES1P_EEDaS1K_S1L_EUlS1K_E_NS1_11comp_targetILNS1_3genE0ELNS1_11target_archE4294967295ELNS1_3gpuE0ELNS1_3repE0EEENS1_30default_config_static_selectorELNS0_4arch9wavefront6targetE1EEEvSY_
		.amdhsa_group_segment_fixed_size 0
		.amdhsa_private_segment_fixed_size 0
		.amdhsa_kernarg_size 144
		.amdhsa_user_sgpr_count 6
		.amdhsa_user_sgpr_private_segment_buffer 1
		.amdhsa_user_sgpr_dispatch_ptr 0
		.amdhsa_user_sgpr_queue_ptr 0
		.amdhsa_user_sgpr_kernarg_segment_ptr 1
		.amdhsa_user_sgpr_dispatch_id 0
		.amdhsa_user_sgpr_flat_scratch_init 0
		.amdhsa_user_sgpr_private_segment_size 0
		.amdhsa_uses_dynamic_stack 0
		.amdhsa_system_sgpr_private_segment_wavefront_offset 0
		.amdhsa_system_sgpr_workgroup_id_x 1
		.amdhsa_system_sgpr_workgroup_id_y 0
		.amdhsa_system_sgpr_workgroup_id_z 0
		.amdhsa_system_sgpr_workgroup_info 0
		.amdhsa_system_vgpr_workitem_id 0
		.amdhsa_next_free_vgpr 1
		.amdhsa_next_free_sgpr 0
		.amdhsa_reserve_vcc 0
		.amdhsa_reserve_flat_scratch 0
		.amdhsa_float_round_mode_32 0
		.amdhsa_float_round_mode_16_64 0
		.amdhsa_float_denorm_mode_32 3
		.amdhsa_float_denorm_mode_16_64 3
		.amdhsa_dx10_clamp 1
		.amdhsa_ieee_mode 1
		.amdhsa_fp16_overflow 0
		.amdhsa_exception_fp_ieee_invalid_op 0
		.amdhsa_exception_fp_denorm_src 0
		.amdhsa_exception_fp_ieee_div_zero 0
		.amdhsa_exception_fp_ieee_overflow 0
		.amdhsa_exception_fp_ieee_underflow 0
		.amdhsa_exception_fp_ieee_inexact 0
		.amdhsa_exception_int_div_zero 0
	.end_amdhsa_kernel
	.section	.text._ZN7rocprim17ROCPRIM_400000_NS6detail17trampoline_kernelINS0_13select_configILj256ELj13ELNS0_17block_load_methodE3ELS4_3ELS4_3ELNS0_20block_scan_algorithmE0ELj4294967295EEENS1_25partition_config_selectorILNS1_17partition_subalgoE3EjNS0_10empty_typeEbEEZZNS1_14partition_implILS8_3ELb0ES6_jNS0_17counting_iteratorIjlEEPS9_SE_NS0_5tupleIJPjSE_EEENSF_IJSE_SE_EEES9_SG_JZNS1_25segmented_radix_sort_implINS0_14default_configELb1EPKsPsPKlPlN2at6native12_GLOBAL__N_18offset_tEEE10hipError_tPvRmT1_PNSt15iterator_traitsISY_E10value_typeET2_T3_PNSZ_IS14_E10value_typeET4_jRbjT5_S1A_jjP12ihipStream_tbEUljE_EEESV_SW_SX_S14_S18_S1A_T6_T7_T9_mT8_S1C_bDpT10_ENKUlT_T0_E_clISt17integral_constantIbLb0EES1P_EEDaS1K_S1L_EUlS1K_E_NS1_11comp_targetILNS1_3genE0ELNS1_11target_archE4294967295ELNS1_3gpuE0ELNS1_3repE0EEENS1_30default_config_static_selectorELNS0_4arch9wavefront6targetE1EEEvSY_,"axG",@progbits,_ZN7rocprim17ROCPRIM_400000_NS6detail17trampoline_kernelINS0_13select_configILj256ELj13ELNS0_17block_load_methodE3ELS4_3ELS4_3ELNS0_20block_scan_algorithmE0ELj4294967295EEENS1_25partition_config_selectorILNS1_17partition_subalgoE3EjNS0_10empty_typeEbEEZZNS1_14partition_implILS8_3ELb0ES6_jNS0_17counting_iteratorIjlEEPS9_SE_NS0_5tupleIJPjSE_EEENSF_IJSE_SE_EEES9_SG_JZNS1_25segmented_radix_sort_implINS0_14default_configELb1EPKsPsPKlPlN2at6native12_GLOBAL__N_18offset_tEEE10hipError_tPvRmT1_PNSt15iterator_traitsISY_E10value_typeET2_T3_PNSZ_IS14_E10value_typeET4_jRbjT5_S1A_jjP12ihipStream_tbEUljE_EEESV_SW_SX_S14_S18_S1A_T6_T7_T9_mT8_S1C_bDpT10_ENKUlT_T0_E_clISt17integral_constantIbLb0EES1P_EEDaS1K_S1L_EUlS1K_E_NS1_11comp_targetILNS1_3genE0ELNS1_11target_archE4294967295ELNS1_3gpuE0ELNS1_3repE0EEENS1_30default_config_static_selectorELNS0_4arch9wavefront6targetE1EEEvSY_,comdat
.Lfunc_end879:
	.size	_ZN7rocprim17ROCPRIM_400000_NS6detail17trampoline_kernelINS0_13select_configILj256ELj13ELNS0_17block_load_methodE3ELS4_3ELS4_3ELNS0_20block_scan_algorithmE0ELj4294967295EEENS1_25partition_config_selectorILNS1_17partition_subalgoE3EjNS0_10empty_typeEbEEZZNS1_14partition_implILS8_3ELb0ES6_jNS0_17counting_iteratorIjlEEPS9_SE_NS0_5tupleIJPjSE_EEENSF_IJSE_SE_EEES9_SG_JZNS1_25segmented_radix_sort_implINS0_14default_configELb1EPKsPsPKlPlN2at6native12_GLOBAL__N_18offset_tEEE10hipError_tPvRmT1_PNSt15iterator_traitsISY_E10value_typeET2_T3_PNSZ_IS14_E10value_typeET4_jRbjT5_S1A_jjP12ihipStream_tbEUljE_EEESV_SW_SX_S14_S18_S1A_T6_T7_T9_mT8_S1C_bDpT10_ENKUlT_T0_E_clISt17integral_constantIbLb0EES1P_EEDaS1K_S1L_EUlS1K_E_NS1_11comp_targetILNS1_3genE0ELNS1_11target_archE4294967295ELNS1_3gpuE0ELNS1_3repE0EEENS1_30default_config_static_selectorELNS0_4arch9wavefront6targetE1EEEvSY_, .Lfunc_end879-_ZN7rocprim17ROCPRIM_400000_NS6detail17trampoline_kernelINS0_13select_configILj256ELj13ELNS0_17block_load_methodE3ELS4_3ELS4_3ELNS0_20block_scan_algorithmE0ELj4294967295EEENS1_25partition_config_selectorILNS1_17partition_subalgoE3EjNS0_10empty_typeEbEEZZNS1_14partition_implILS8_3ELb0ES6_jNS0_17counting_iteratorIjlEEPS9_SE_NS0_5tupleIJPjSE_EEENSF_IJSE_SE_EEES9_SG_JZNS1_25segmented_radix_sort_implINS0_14default_configELb1EPKsPsPKlPlN2at6native12_GLOBAL__N_18offset_tEEE10hipError_tPvRmT1_PNSt15iterator_traitsISY_E10value_typeET2_T3_PNSZ_IS14_E10value_typeET4_jRbjT5_S1A_jjP12ihipStream_tbEUljE_EEESV_SW_SX_S14_S18_S1A_T6_T7_T9_mT8_S1C_bDpT10_ENKUlT_T0_E_clISt17integral_constantIbLb0EES1P_EEDaS1K_S1L_EUlS1K_E_NS1_11comp_targetILNS1_3genE0ELNS1_11target_archE4294967295ELNS1_3gpuE0ELNS1_3repE0EEENS1_30default_config_static_selectorELNS0_4arch9wavefront6targetE1EEEvSY_
                                        ; -- End function
	.set _ZN7rocprim17ROCPRIM_400000_NS6detail17trampoline_kernelINS0_13select_configILj256ELj13ELNS0_17block_load_methodE3ELS4_3ELS4_3ELNS0_20block_scan_algorithmE0ELj4294967295EEENS1_25partition_config_selectorILNS1_17partition_subalgoE3EjNS0_10empty_typeEbEEZZNS1_14partition_implILS8_3ELb0ES6_jNS0_17counting_iteratorIjlEEPS9_SE_NS0_5tupleIJPjSE_EEENSF_IJSE_SE_EEES9_SG_JZNS1_25segmented_radix_sort_implINS0_14default_configELb1EPKsPsPKlPlN2at6native12_GLOBAL__N_18offset_tEEE10hipError_tPvRmT1_PNSt15iterator_traitsISY_E10value_typeET2_T3_PNSZ_IS14_E10value_typeET4_jRbjT5_S1A_jjP12ihipStream_tbEUljE_EEESV_SW_SX_S14_S18_S1A_T6_T7_T9_mT8_S1C_bDpT10_ENKUlT_T0_E_clISt17integral_constantIbLb0EES1P_EEDaS1K_S1L_EUlS1K_E_NS1_11comp_targetILNS1_3genE0ELNS1_11target_archE4294967295ELNS1_3gpuE0ELNS1_3repE0EEENS1_30default_config_static_selectorELNS0_4arch9wavefront6targetE1EEEvSY_.num_vgpr, 0
	.set _ZN7rocprim17ROCPRIM_400000_NS6detail17trampoline_kernelINS0_13select_configILj256ELj13ELNS0_17block_load_methodE3ELS4_3ELS4_3ELNS0_20block_scan_algorithmE0ELj4294967295EEENS1_25partition_config_selectorILNS1_17partition_subalgoE3EjNS0_10empty_typeEbEEZZNS1_14partition_implILS8_3ELb0ES6_jNS0_17counting_iteratorIjlEEPS9_SE_NS0_5tupleIJPjSE_EEENSF_IJSE_SE_EEES9_SG_JZNS1_25segmented_radix_sort_implINS0_14default_configELb1EPKsPsPKlPlN2at6native12_GLOBAL__N_18offset_tEEE10hipError_tPvRmT1_PNSt15iterator_traitsISY_E10value_typeET2_T3_PNSZ_IS14_E10value_typeET4_jRbjT5_S1A_jjP12ihipStream_tbEUljE_EEESV_SW_SX_S14_S18_S1A_T6_T7_T9_mT8_S1C_bDpT10_ENKUlT_T0_E_clISt17integral_constantIbLb0EES1P_EEDaS1K_S1L_EUlS1K_E_NS1_11comp_targetILNS1_3genE0ELNS1_11target_archE4294967295ELNS1_3gpuE0ELNS1_3repE0EEENS1_30default_config_static_selectorELNS0_4arch9wavefront6targetE1EEEvSY_.num_agpr, 0
	.set _ZN7rocprim17ROCPRIM_400000_NS6detail17trampoline_kernelINS0_13select_configILj256ELj13ELNS0_17block_load_methodE3ELS4_3ELS4_3ELNS0_20block_scan_algorithmE0ELj4294967295EEENS1_25partition_config_selectorILNS1_17partition_subalgoE3EjNS0_10empty_typeEbEEZZNS1_14partition_implILS8_3ELb0ES6_jNS0_17counting_iteratorIjlEEPS9_SE_NS0_5tupleIJPjSE_EEENSF_IJSE_SE_EEES9_SG_JZNS1_25segmented_radix_sort_implINS0_14default_configELb1EPKsPsPKlPlN2at6native12_GLOBAL__N_18offset_tEEE10hipError_tPvRmT1_PNSt15iterator_traitsISY_E10value_typeET2_T3_PNSZ_IS14_E10value_typeET4_jRbjT5_S1A_jjP12ihipStream_tbEUljE_EEESV_SW_SX_S14_S18_S1A_T6_T7_T9_mT8_S1C_bDpT10_ENKUlT_T0_E_clISt17integral_constantIbLb0EES1P_EEDaS1K_S1L_EUlS1K_E_NS1_11comp_targetILNS1_3genE0ELNS1_11target_archE4294967295ELNS1_3gpuE0ELNS1_3repE0EEENS1_30default_config_static_selectorELNS0_4arch9wavefront6targetE1EEEvSY_.numbered_sgpr, 0
	.set _ZN7rocprim17ROCPRIM_400000_NS6detail17trampoline_kernelINS0_13select_configILj256ELj13ELNS0_17block_load_methodE3ELS4_3ELS4_3ELNS0_20block_scan_algorithmE0ELj4294967295EEENS1_25partition_config_selectorILNS1_17partition_subalgoE3EjNS0_10empty_typeEbEEZZNS1_14partition_implILS8_3ELb0ES6_jNS0_17counting_iteratorIjlEEPS9_SE_NS0_5tupleIJPjSE_EEENSF_IJSE_SE_EEES9_SG_JZNS1_25segmented_radix_sort_implINS0_14default_configELb1EPKsPsPKlPlN2at6native12_GLOBAL__N_18offset_tEEE10hipError_tPvRmT1_PNSt15iterator_traitsISY_E10value_typeET2_T3_PNSZ_IS14_E10value_typeET4_jRbjT5_S1A_jjP12ihipStream_tbEUljE_EEESV_SW_SX_S14_S18_S1A_T6_T7_T9_mT8_S1C_bDpT10_ENKUlT_T0_E_clISt17integral_constantIbLb0EES1P_EEDaS1K_S1L_EUlS1K_E_NS1_11comp_targetILNS1_3genE0ELNS1_11target_archE4294967295ELNS1_3gpuE0ELNS1_3repE0EEENS1_30default_config_static_selectorELNS0_4arch9wavefront6targetE1EEEvSY_.num_named_barrier, 0
	.set _ZN7rocprim17ROCPRIM_400000_NS6detail17trampoline_kernelINS0_13select_configILj256ELj13ELNS0_17block_load_methodE3ELS4_3ELS4_3ELNS0_20block_scan_algorithmE0ELj4294967295EEENS1_25partition_config_selectorILNS1_17partition_subalgoE3EjNS0_10empty_typeEbEEZZNS1_14partition_implILS8_3ELb0ES6_jNS0_17counting_iteratorIjlEEPS9_SE_NS0_5tupleIJPjSE_EEENSF_IJSE_SE_EEES9_SG_JZNS1_25segmented_radix_sort_implINS0_14default_configELb1EPKsPsPKlPlN2at6native12_GLOBAL__N_18offset_tEEE10hipError_tPvRmT1_PNSt15iterator_traitsISY_E10value_typeET2_T3_PNSZ_IS14_E10value_typeET4_jRbjT5_S1A_jjP12ihipStream_tbEUljE_EEESV_SW_SX_S14_S18_S1A_T6_T7_T9_mT8_S1C_bDpT10_ENKUlT_T0_E_clISt17integral_constantIbLb0EES1P_EEDaS1K_S1L_EUlS1K_E_NS1_11comp_targetILNS1_3genE0ELNS1_11target_archE4294967295ELNS1_3gpuE0ELNS1_3repE0EEENS1_30default_config_static_selectorELNS0_4arch9wavefront6targetE1EEEvSY_.private_seg_size, 0
	.set _ZN7rocprim17ROCPRIM_400000_NS6detail17trampoline_kernelINS0_13select_configILj256ELj13ELNS0_17block_load_methodE3ELS4_3ELS4_3ELNS0_20block_scan_algorithmE0ELj4294967295EEENS1_25partition_config_selectorILNS1_17partition_subalgoE3EjNS0_10empty_typeEbEEZZNS1_14partition_implILS8_3ELb0ES6_jNS0_17counting_iteratorIjlEEPS9_SE_NS0_5tupleIJPjSE_EEENSF_IJSE_SE_EEES9_SG_JZNS1_25segmented_radix_sort_implINS0_14default_configELb1EPKsPsPKlPlN2at6native12_GLOBAL__N_18offset_tEEE10hipError_tPvRmT1_PNSt15iterator_traitsISY_E10value_typeET2_T3_PNSZ_IS14_E10value_typeET4_jRbjT5_S1A_jjP12ihipStream_tbEUljE_EEESV_SW_SX_S14_S18_S1A_T6_T7_T9_mT8_S1C_bDpT10_ENKUlT_T0_E_clISt17integral_constantIbLb0EES1P_EEDaS1K_S1L_EUlS1K_E_NS1_11comp_targetILNS1_3genE0ELNS1_11target_archE4294967295ELNS1_3gpuE0ELNS1_3repE0EEENS1_30default_config_static_selectorELNS0_4arch9wavefront6targetE1EEEvSY_.uses_vcc, 0
	.set _ZN7rocprim17ROCPRIM_400000_NS6detail17trampoline_kernelINS0_13select_configILj256ELj13ELNS0_17block_load_methodE3ELS4_3ELS4_3ELNS0_20block_scan_algorithmE0ELj4294967295EEENS1_25partition_config_selectorILNS1_17partition_subalgoE3EjNS0_10empty_typeEbEEZZNS1_14partition_implILS8_3ELb0ES6_jNS0_17counting_iteratorIjlEEPS9_SE_NS0_5tupleIJPjSE_EEENSF_IJSE_SE_EEES9_SG_JZNS1_25segmented_radix_sort_implINS0_14default_configELb1EPKsPsPKlPlN2at6native12_GLOBAL__N_18offset_tEEE10hipError_tPvRmT1_PNSt15iterator_traitsISY_E10value_typeET2_T3_PNSZ_IS14_E10value_typeET4_jRbjT5_S1A_jjP12ihipStream_tbEUljE_EEESV_SW_SX_S14_S18_S1A_T6_T7_T9_mT8_S1C_bDpT10_ENKUlT_T0_E_clISt17integral_constantIbLb0EES1P_EEDaS1K_S1L_EUlS1K_E_NS1_11comp_targetILNS1_3genE0ELNS1_11target_archE4294967295ELNS1_3gpuE0ELNS1_3repE0EEENS1_30default_config_static_selectorELNS0_4arch9wavefront6targetE1EEEvSY_.uses_flat_scratch, 0
	.set _ZN7rocprim17ROCPRIM_400000_NS6detail17trampoline_kernelINS0_13select_configILj256ELj13ELNS0_17block_load_methodE3ELS4_3ELS4_3ELNS0_20block_scan_algorithmE0ELj4294967295EEENS1_25partition_config_selectorILNS1_17partition_subalgoE3EjNS0_10empty_typeEbEEZZNS1_14partition_implILS8_3ELb0ES6_jNS0_17counting_iteratorIjlEEPS9_SE_NS0_5tupleIJPjSE_EEENSF_IJSE_SE_EEES9_SG_JZNS1_25segmented_radix_sort_implINS0_14default_configELb1EPKsPsPKlPlN2at6native12_GLOBAL__N_18offset_tEEE10hipError_tPvRmT1_PNSt15iterator_traitsISY_E10value_typeET2_T3_PNSZ_IS14_E10value_typeET4_jRbjT5_S1A_jjP12ihipStream_tbEUljE_EEESV_SW_SX_S14_S18_S1A_T6_T7_T9_mT8_S1C_bDpT10_ENKUlT_T0_E_clISt17integral_constantIbLb0EES1P_EEDaS1K_S1L_EUlS1K_E_NS1_11comp_targetILNS1_3genE0ELNS1_11target_archE4294967295ELNS1_3gpuE0ELNS1_3repE0EEENS1_30default_config_static_selectorELNS0_4arch9wavefront6targetE1EEEvSY_.has_dyn_sized_stack, 0
	.set _ZN7rocprim17ROCPRIM_400000_NS6detail17trampoline_kernelINS0_13select_configILj256ELj13ELNS0_17block_load_methodE3ELS4_3ELS4_3ELNS0_20block_scan_algorithmE0ELj4294967295EEENS1_25partition_config_selectorILNS1_17partition_subalgoE3EjNS0_10empty_typeEbEEZZNS1_14partition_implILS8_3ELb0ES6_jNS0_17counting_iteratorIjlEEPS9_SE_NS0_5tupleIJPjSE_EEENSF_IJSE_SE_EEES9_SG_JZNS1_25segmented_radix_sort_implINS0_14default_configELb1EPKsPsPKlPlN2at6native12_GLOBAL__N_18offset_tEEE10hipError_tPvRmT1_PNSt15iterator_traitsISY_E10value_typeET2_T3_PNSZ_IS14_E10value_typeET4_jRbjT5_S1A_jjP12ihipStream_tbEUljE_EEESV_SW_SX_S14_S18_S1A_T6_T7_T9_mT8_S1C_bDpT10_ENKUlT_T0_E_clISt17integral_constantIbLb0EES1P_EEDaS1K_S1L_EUlS1K_E_NS1_11comp_targetILNS1_3genE0ELNS1_11target_archE4294967295ELNS1_3gpuE0ELNS1_3repE0EEENS1_30default_config_static_selectorELNS0_4arch9wavefront6targetE1EEEvSY_.has_recursion, 0
	.set _ZN7rocprim17ROCPRIM_400000_NS6detail17trampoline_kernelINS0_13select_configILj256ELj13ELNS0_17block_load_methodE3ELS4_3ELS4_3ELNS0_20block_scan_algorithmE0ELj4294967295EEENS1_25partition_config_selectorILNS1_17partition_subalgoE3EjNS0_10empty_typeEbEEZZNS1_14partition_implILS8_3ELb0ES6_jNS0_17counting_iteratorIjlEEPS9_SE_NS0_5tupleIJPjSE_EEENSF_IJSE_SE_EEES9_SG_JZNS1_25segmented_radix_sort_implINS0_14default_configELb1EPKsPsPKlPlN2at6native12_GLOBAL__N_18offset_tEEE10hipError_tPvRmT1_PNSt15iterator_traitsISY_E10value_typeET2_T3_PNSZ_IS14_E10value_typeET4_jRbjT5_S1A_jjP12ihipStream_tbEUljE_EEESV_SW_SX_S14_S18_S1A_T6_T7_T9_mT8_S1C_bDpT10_ENKUlT_T0_E_clISt17integral_constantIbLb0EES1P_EEDaS1K_S1L_EUlS1K_E_NS1_11comp_targetILNS1_3genE0ELNS1_11target_archE4294967295ELNS1_3gpuE0ELNS1_3repE0EEENS1_30default_config_static_selectorELNS0_4arch9wavefront6targetE1EEEvSY_.has_indirect_call, 0
	.section	.AMDGPU.csdata,"",@progbits
; Kernel info:
; codeLenInByte = 0
; TotalNumSgprs: 4
; NumVgprs: 0
; ScratchSize: 0
; MemoryBound: 0
; FloatMode: 240
; IeeeMode: 1
; LDSByteSize: 0 bytes/workgroup (compile time only)
; SGPRBlocks: 0
; VGPRBlocks: 0
; NumSGPRsForWavesPerEU: 4
; NumVGPRsForWavesPerEU: 1
; Occupancy: 10
; WaveLimiterHint : 0
; COMPUTE_PGM_RSRC2:SCRATCH_EN: 0
; COMPUTE_PGM_RSRC2:USER_SGPR: 6
; COMPUTE_PGM_RSRC2:TRAP_HANDLER: 0
; COMPUTE_PGM_RSRC2:TGID_X_EN: 1
; COMPUTE_PGM_RSRC2:TGID_Y_EN: 0
; COMPUTE_PGM_RSRC2:TGID_Z_EN: 0
; COMPUTE_PGM_RSRC2:TIDIG_COMP_CNT: 0
	.section	.text._ZN7rocprim17ROCPRIM_400000_NS6detail17trampoline_kernelINS0_13select_configILj256ELj13ELNS0_17block_load_methodE3ELS4_3ELS4_3ELNS0_20block_scan_algorithmE0ELj4294967295EEENS1_25partition_config_selectorILNS1_17partition_subalgoE3EjNS0_10empty_typeEbEEZZNS1_14partition_implILS8_3ELb0ES6_jNS0_17counting_iteratorIjlEEPS9_SE_NS0_5tupleIJPjSE_EEENSF_IJSE_SE_EEES9_SG_JZNS1_25segmented_radix_sort_implINS0_14default_configELb1EPKsPsPKlPlN2at6native12_GLOBAL__N_18offset_tEEE10hipError_tPvRmT1_PNSt15iterator_traitsISY_E10value_typeET2_T3_PNSZ_IS14_E10value_typeET4_jRbjT5_S1A_jjP12ihipStream_tbEUljE_EEESV_SW_SX_S14_S18_S1A_T6_T7_T9_mT8_S1C_bDpT10_ENKUlT_T0_E_clISt17integral_constantIbLb0EES1P_EEDaS1K_S1L_EUlS1K_E_NS1_11comp_targetILNS1_3genE5ELNS1_11target_archE942ELNS1_3gpuE9ELNS1_3repE0EEENS1_30default_config_static_selectorELNS0_4arch9wavefront6targetE1EEEvSY_,"axG",@progbits,_ZN7rocprim17ROCPRIM_400000_NS6detail17trampoline_kernelINS0_13select_configILj256ELj13ELNS0_17block_load_methodE3ELS4_3ELS4_3ELNS0_20block_scan_algorithmE0ELj4294967295EEENS1_25partition_config_selectorILNS1_17partition_subalgoE3EjNS0_10empty_typeEbEEZZNS1_14partition_implILS8_3ELb0ES6_jNS0_17counting_iteratorIjlEEPS9_SE_NS0_5tupleIJPjSE_EEENSF_IJSE_SE_EEES9_SG_JZNS1_25segmented_radix_sort_implINS0_14default_configELb1EPKsPsPKlPlN2at6native12_GLOBAL__N_18offset_tEEE10hipError_tPvRmT1_PNSt15iterator_traitsISY_E10value_typeET2_T3_PNSZ_IS14_E10value_typeET4_jRbjT5_S1A_jjP12ihipStream_tbEUljE_EEESV_SW_SX_S14_S18_S1A_T6_T7_T9_mT8_S1C_bDpT10_ENKUlT_T0_E_clISt17integral_constantIbLb0EES1P_EEDaS1K_S1L_EUlS1K_E_NS1_11comp_targetILNS1_3genE5ELNS1_11target_archE942ELNS1_3gpuE9ELNS1_3repE0EEENS1_30default_config_static_selectorELNS0_4arch9wavefront6targetE1EEEvSY_,comdat
	.globl	_ZN7rocprim17ROCPRIM_400000_NS6detail17trampoline_kernelINS0_13select_configILj256ELj13ELNS0_17block_load_methodE3ELS4_3ELS4_3ELNS0_20block_scan_algorithmE0ELj4294967295EEENS1_25partition_config_selectorILNS1_17partition_subalgoE3EjNS0_10empty_typeEbEEZZNS1_14partition_implILS8_3ELb0ES6_jNS0_17counting_iteratorIjlEEPS9_SE_NS0_5tupleIJPjSE_EEENSF_IJSE_SE_EEES9_SG_JZNS1_25segmented_radix_sort_implINS0_14default_configELb1EPKsPsPKlPlN2at6native12_GLOBAL__N_18offset_tEEE10hipError_tPvRmT1_PNSt15iterator_traitsISY_E10value_typeET2_T3_PNSZ_IS14_E10value_typeET4_jRbjT5_S1A_jjP12ihipStream_tbEUljE_EEESV_SW_SX_S14_S18_S1A_T6_T7_T9_mT8_S1C_bDpT10_ENKUlT_T0_E_clISt17integral_constantIbLb0EES1P_EEDaS1K_S1L_EUlS1K_E_NS1_11comp_targetILNS1_3genE5ELNS1_11target_archE942ELNS1_3gpuE9ELNS1_3repE0EEENS1_30default_config_static_selectorELNS0_4arch9wavefront6targetE1EEEvSY_ ; -- Begin function _ZN7rocprim17ROCPRIM_400000_NS6detail17trampoline_kernelINS0_13select_configILj256ELj13ELNS0_17block_load_methodE3ELS4_3ELS4_3ELNS0_20block_scan_algorithmE0ELj4294967295EEENS1_25partition_config_selectorILNS1_17partition_subalgoE3EjNS0_10empty_typeEbEEZZNS1_14partition_implILS8_3ELb0ES6_jNS0_17counting_iteratorIjlEEPS9_SE_NS0_5tupleIJPjSE_EEENSF_IJSE_SE_EEES9_SG_JZNS1_25segmented_radix_sort_implINS0_14default_configELb1EPKsPsPKlPlN2at6native12_GLOBAL__N_18offset_tEEE10hipError_tPvRmT1_PNSt15iterator_traitsISY_E10value_typeET2_T3_PNSZ_IS14_E10value_typeET4_jRbjT5_S1A_jjP12ihipStream_tbEUljE_EEESV_SW_SX_S14_S18_S1A_T6_T7_T9_mT8_S1C_bDpT10_ENKUlT_T0_E_clISt17integral_constantIbLb0EES1P_EEDaS1K_S1L_EUlS1K_E_NS1_11comp_targetILNS1_3genE5ELNS1_11target_archE942ELNS1_3gpuE9ELNS1_3repE0EEENS1_30default_config_static_selectorELNS0_4arch9wavefront6targetE1EEEvSY_
	.p2align	8
	.type	_ZN7rocprim17ROCPRIM_400000_NS6detail17trampoline_kernelINS0_13select_configILj256ELj13ELNS0_17block_load_methodE3ELS4_3ELS4_3ELNS0_20block_scan_algorithmE0ELj4294967295EEENS1_25partition_config_selectorILNS1_17partition_subalgoE3EjNS0_10empty_typeEbEEZZNS1_14partition_implILS8_3ELb0ES6_jNS0_17counting_iteratorIjlEEPS9_SE_NS0_5tupleIJPjSE_EEENSF_IJSE_SE_EEES9_SG_JZNS1_25segmented_radix_sort_implINS0_14default_configELb1EPKsPsPKlPlN2at6native12_GLOBAL__N_18offset_tEEE10hipError_tPvRmT1_PNSt15iterator_traitsISY_E10value_typeET2_T3_PNSZ_IS14_E10value_typeET4_jRbjT5_S1A_jjP12ihipStream_tbEUljE_EEESV_SW_SX_S14_S18_S1A_T6_T7_T9_mT8_S1C_bDpT10_ENKUlT_T0_E_clISt17integral_constantIbLb0EES1P_EEDaS1K_S1L_EUlS1K_E_NS1_11comp_targetILNS1_3genE5ELNS1_11target_archE942ELNS1_3gpuE9ELNS1_3repE0EEENS1_30default_config_static_selectorELNS0_4arch9wavefront6targetE1EEEvSY_,@function
_ZN7rocprim17ROCPRIM_400000_NS6detail17trampoline_kernelINS0_13select_configILj256ELj13ELNS0_17block_load_methodE3ELS4_3ELS4_3ELNS0_20block_scan_algorithmE0ELj4294967295EEENS1_25partition_config_selectorILNS1_17partition_subalgoE3EjNS0_10empty_typeEbEEZZNS1_14partition_implILS8_3ELb0ES6_jNS0_17counting_iteratorIjlEEPS9_SE_NS0_5tupleIJPjSE_EEENSF_IJSE_SE_EEES9_SG_JZNS1_25segmented_radix_sort_implINS0_14default_configELb1EPKsPsPKlPlN2at6native12_GLOBAL__N_18offset_tEEE10hipError_tPvRmT1_PNSt15iterator_traitsISY_E10value_typeET2_T3_PNSZ_IS14_E10value_typeET4_jRbjT5_S1A_jjP12ihipStream_tbEUljE_EEESV_SW_SX_S14_S18_S1A_T6_T7_T9_mT8_S1C_bDpT10_ENKUlT_T0_E_clISt17integral_constantIbLb0EES1P_EEDaS1K_S1L_EUlS1K_E_NS1_11comp_targetILNS1_3genE5ELNS1_11target_archE942ELNS1_3gpuE9ELNS1_3repE0EEENS1_30default_config_static_selectorELNS0_4arch9wavefront6targetE1EEEvSY_: ; @_ZN7rocprim17ROCPRIM_400000_NS6detail17trampoline_kernelINS0_13select_configILj256ELj13ELNS0_17block_load_methodE3ELS4_3ELS4_3ELNS0_20block_scan_algorithmE0ELj4294967295EEENS1_25partition_config_selectorILNS1_17partition_subalgoE3EjNS0_10empty_typeEbEEZZNS1_14partition_implILS8_3ELb0ES6_jNS0_17counting_iteratorIjlEEPS9_SE_NS0_5tupleIJPjSE_EEENSF_IJSE_SE_EEES9_SG_JZNS1_25segmented_radix_sort_implINS0_14default_configELb1EPKsPsPKlPlN2at6native12_GLOBAL__N_18offset_tEEE10hipError_tPvRmT1_PNSt15iterator_traitsISY_E10value_typeET2_T3_PNSZ_IS14_E10value_typeET4_jRbjT5_S1A_jjP12ihipStream_tbEUljE_EEESV_SW_SX_S14_S18_S1A_T6_T7_T9_mT8_S1C_bDpT10_ENKUlT_T0_E_clISt17integral_constantIbLb0EES1P_EEDaS1K_S1L_EUlS1K_E_NS1_11comp_targetILNS1_3genE5ELNS1_11target_archE942ELNS1_3gpuE9ELNS1_3repE0EEENS1_30default_config_static_selectorELNS0_4arch9wavefront6targetE1EEEvSY_
; %bb.0:
	.section	.rodata,"a",@progbits
	.p2align	6, 0x0
	.amdhsa_kernel _ZN7rocprim17ROCPRIM_400000_NS6detail17trampoline_kernelINS0_13select_configILj256ELj13ELNS0_17block_load_methodE3ELS4_3ELS4_3ELNS0_20block_scan_algorithmE0ELj4294967295EEENS1_25partition_config_selectorILNS1_17partition_subalgoE3EjNS0_10empty_typeEbEEZZNS1_14partition_implILS8_3ELb0ES6_jNS0_17counting_iteratorIjlEEPS9_SE_NS0_5tupleIJPjSE_EEENSF_IJSE_SE_EEES9_SG_JZNS1_25segmented_radix_sort_implINS0_14default_configELb1EPKsPsPKlPlN2at6native12_GLOBAL__N_18offset_tEEE10hipError_tPvRmT1_PNSt15iterator_traitsISY_E10value_typeET2_T3_PNSZ_IS14_E10value_typeET4_jRbjT5_S1A_jjP12ihipStream_tbEUljE_EEESV_SW_SX_S14_S18_S1A_T6_T7_T9_mT8_S1C_bDpT10_ENKUlT_T0_E_clISt17integral_constantIbLb0EES1P_EEDaS1K_S1L_EUlS1K_E_NS1_11comp_targetILNS1_3genE5ELNS1_11target_archE942ELNS1_3gpuE9ELNS1_3repE0EEENS1_30default_config_static_selectorELNS0_4arch9wavefront6targetE1EEEvSY_
		.amdhsa_group_segment_fixed_size 0
		.amdhsa_private_segment_fixed_size 0
		.amdhsa_kernarg_size 144
		.amdhsa_user_sgpr_count 6
		.amdhsa_user_sgpr_private_segment_buffer 1
		.amdhsa_user_sgpr_dispatch_ptr 0
		.amdhsa_user_sgpr_queue_ptr 0
		.amdhsa_user_sgpr_kernarg_segment_ptr 1
		.amdhsa_user_sgpr_dispatch_id 0
		.amdhsa_user_sgpr_flat_scratch_init 0
		.amdhsa_user_sgpr_private_segment_size 0
		.amdhsa_uses_dynamic_stack 0
		.amdhsa_system_sgpr_private_segment_wavefront_offset 0
		.amdhsa_system_sgpr_workgroup_id_x 1
		.amdhsa_system_sgpr_workgroup_id_y 0
		.amdhsa_system_sgpr_workgroup_id_z 0
		.amdhsa_system_sgpr_workgroup_info 0
		.amdhsa_system_vgpr_workitem_id 0
		.amdhsa_next_free_vgpr 1
		.amdhsa_next_free_sgpr 0
		.amdhsa_reserve_vcc 0
		.amdhsa_reserve_flat_scratch 0
		.amdhsa_float_round_mode_32 0
		.amdhsa_float_round_mode_16_64 0
		.amdhsa_float_denorm_mode_32 3
		.amdhsa_float_denorm_mode_16_64 3
		.amdhsa_dx10_clamp 1
		.amdhsa_ieee_mode 1
		.amdhsa_fp16_overflow 0
		.amdhsa_exception_fp_ieee_invalid_op 0
		.amdhsa_exception_fp_denorm_src 0
		.amdhsa_exception_fp_ieee_div_zero 0
		.amdhsa_exception_fp_ieee_overflow 0
		.amdhsa_exception_fp_ieee_underflow 0
		.amdhsa_exception_fp_ieee_inexact 0
		.amdhsa_exception_int_div_zero 0
	.end_amdhsa_kernel
	.section	.text._ZN7rocprim17ROCPRIM_400000_NS6detail17trampoline_kernelINS0_13select_configILj256ELj13ELNS0_17block_load_methodE3ELS4_3ELS4_3ELNS0_20block_scan_algorithmE0ELj4294967295EEENS1_25partition_config_selectorILNS1_17partition_subalgoE3EjNS0_10empty_typeEbEEZZNS1_14partition_implILS8_3ELb0ES6_jNS0_17counting_iteratorIjlEEPS9_SE_NS0_5tupleIJPjSE_EEENSF_IJSE_SE_EEES9_SG_JZNS1_25segmented_radix_sort_implINS0_14default_configELb1EPKsPsPKlPlN2at6native12_GLOBAL__N_18offset_tEEE10hipError_tPvRmT1_PNSt15iterator_traitsISY_E10value_typeET2_T3_PNSZ_IS14_E10value_typeET4_jRbjT5_S1A_jjP12ihipStream_tbEUljE_EEESV_SW_SX_S14_S18_S1A_T6_T7_T9_mT8_S1C_bDpT10_ENKUlT_T0_E_clISt17integral_constantIbLb0EES1P_EEDaS1K_S1L_EUlS1K_E_NS1_11comp_targetILNS1_3genE5ELNS1_11target_archE942ELNS1_3gpuE9ELNS1_3repE0EEENS1_30default_config_static_selectorELNS0_4arch9wavefront6targetE1EEEvSY_,"axG",@progbits,_ZN7rocprim17ROCPRIM_400000_NS6detail17trampoline_kernelINS0_13select_configILj256ELj13ELNS0_17block_load_methodE3ELS4_3ELS4_3ELNS0_20block_scan_algorithmE0ELj4294967295EEENS1_25partition_config_selectorILNS1_17partition_subalgoE3EjNS0_10empty_typeEbEEZZNS1_14partition_implILS8_3ELb0ES6_jNS0_17counting_iteratorIjlEEPS9_SE_NS0_5tupleIJPjSE_EEENSF_IJSE_SE_EEES9_SG_JZNS1_25segmented_radix_sort_implINS0_14default_configELb1EPKsPsPKlPlN2at6native12_GLOBAL__N_18offset_tEEE10hipError_tPvRmT1_PNSt15iterator_traitsISY_E10value_typeET2_T3_PNSZ_IS14_E10value_typeET4_jRbjT5_S1A_jjP12ihipStream_tbEUljE_EEESV_SW_SX_S14_S18_S1A_T6_T7_T9_mT8_S1C_bDpT10_ENKUlT_T0_E_clISt17integral_constantIbLb0EES1P_EEDaS1K_S1L_EUlS1K_E_NS1_11comp_targetILNS1_3genE5ELNS1_11target_archE942ELNS1_3gpuE9ELNS1_3repE0EEENS1_30default_config_static_selectorELNS0_4arch9wavefront6targetE1EEEvSY_,comdat
.Lfunc_end880:
	.size	_ZN7rocprim17ROCPRIM_400000_NS6detail17trampoline_kernelINS0_13select_configILj256ELj13ELNS0_17block_load_methodE3ELS4_3ELS4_3ELNS0_20block_scan_algorithmE0ELj4294967295EEENS1_25partition_config_selectorILNS1_17partition_subalgoE3EjNS0_10empty_typeEbEEZZNS1_14partition_implILS8_3ELb0ES6_jNS0_17counting_iteratorIjlEEPS9_SE_NS0_5tupleIJPjSE_EEENSF_IJSE_SE_EEES9_SG_JZNS1_25segmented_radix_sort_implINS0_14default_configELb1EPKsPsPKlPlN2at6native12_GLOBAL__N_18offset_tEEE10hipError_tPvRmT1_PNSt15iterator_traitsISY_E10value_typeET2_T3_PNSZ_IS14_E10value_typeET4_jRbjT5_S1A_jjP12ihipStream_tbEUljE_EEESV_SW_SX_S14_S18_S1A_T6_T7_T9_mT8_S1C_bDpT10_ENKUlT_T0_E_clISt17integral_constantIbLb0EES1P_EEDaS1K_S1L_EUlS1K_E_NS1_11comp_targetILNS1_3genE5ELNS1_11target_archE942ELNS1_3gpuE9ELNS1_3repE0EEENS1_30default_config_static_selectorELNS0_4arch9wavefront6targetE1EEEvSY_, .Lfunc_end880-_ZN7rocprim17ROCPRIM_400000_NS6detail17trampoline_kernelINS0_13select_configILj256ELj13ELNS0_17block_load_methodE3ELS4_3ELS4_3ELNS0_20block_scan_algorithmE0ELj4294967295EEENS1_25partition_config_selectorILNS1_17partition_subalgoE3EjNS0_10empty_typeEbEEZZNS1_14partition_implILS8_3ELb0ES6_jNS0_17counting_iteratorIjlEEPS9_SE_NS0_5tupleIJPjSE_EEENSF_IJSE_SE_EEES9_SG_JZNS1_25segmented_radix_sort_implINS0_14default_configELb1EPKsPsPKlPlN2at6native12_GLOBAL__N_18offset_tEEE10hipError_tPvRmT1_PNSt15iterator_traitsISY_E10value_typeET2_T3_PNSZ_IS14_E10value_typeET4_jRbjT5_S1A_jjP12ihipStream_tbEUljE_EEESV_SW_SX_S14_S18_S1A_T6_T7_T9_mT8_S1C_bDpT10_ENKUlT_T0_E_clISt17integral_constantIbLb0EES1P_EEDaS1K_S1L_EUlS1K_E_NS1_11comp_targetILNS1_3genE5ELNS1_11target_archE942ELNS1_3gpuE9ELNS1_3repE0EEENS1_30default_config_static_selectorELNS0_4arch9wavefront6targetE1EEEvSY_
                                        ; -- End function
	.set _ZN7rocprim17ROCPRIM_400000_NS6detail17trampoline_kernelINS0_13select_configILj256ELj13ELNS0_17block_load_methodE3ELS4_3ELS4_3ELNS0_20block_scan_algorithmE0ELj4294967295EEENS1_25partition_config_selectorILNS1_17partition_subalgoE3EjNS0_10empty_typeEbEEZZNS1_14partition_implILS8_3ELb0ES6_jNS0_17counting_iteratorIjlEEPS9_SE_NS0_5tupleIJPjSE_EEENSF_IJSE_SE_EEES9_SG_JZNS1_25segmented_radix_sort_implINS0_14default_configELb1EPKsPsPKlPlN2at6native12_GLOBAL__N_18offset_tEEE10hipError_tPvRmT1_PNSt15iterator_traitsISY_E10value_typeET2_T3_PNSZ_IS14_E10value_typeET4_jRbjT5_S1A_jjP12ihipStream_tbEUljE_EEESV_SW_SX_S14_S18_S1A_T6_T7_T9_mT8_S1C_bDpT10_ENKUlT_T0_E_clISt17integral_constantIbLb0EES1P_EEDaS1K_S1L_EUlS1K_E_NS1_11comp_targetILNS1_3genE5ELNS1_11target_archE942ELNS1_3gpuE9ELNS1_3repE0EEENS1_30default_config_static_selectorELNS0_4arch9wavefront6targetE1EEEvSY_.num_vgpr, 0
	.set _ZN7rocprim17ROCPRIM_400000_NS6detail17trampoline_kernelINS0_13select_configILj256ELj13ELNS0_17block_load_methodE3ELS4_3ELS4_3ELNS0_20block_scan_algorithmE0ELj4294967295EEENS1_25partition_config_selectorILNS1_17partition_subalgoE3EjNS0_10empty_typeEbEEZZNS1_14partition_implILS8_3ELb0ES6_jNS0_17counting_iteratorIjlEEPS9_SE_NS0_5tupleIJPjSE_EEENSF_IJSE_SE_EEES9_SG_JZNS1_25segmented_radix_sort_implINS0_14default_configELb1EPKsPsPKlPlN2at6native12_GLOBAL__N_18offset_tEEE10hipError_tPvRmT1_PNSt15iterator_traitsISY_E10value_typeET2_T3_PNSZ_IS14_E10value_typeET4_jRbjT5_S1A_jjP12ihipStream_tbEUljE_EEESV_SW_SX_S14_S18_S1A_T6_T7_T9_mT8_S1C_bDpT10_ENKUlT_T0_E_clISt17integral_constantIbLb0EES1P_EEDaS1K_S1L_EUlS1K_E_NS1_11comp_targetILNS1_3genE5ELNS1_11target_archE942ELNS1_3gpuE9ELNS1_3repE0EEENS1_30default_config_static_selectorELNS0_4arch9wavefront6targetE1EEEvSY_.num_agpr, 0
	.set _ZN7rocprim17ROCPRIM_400000_NS6detail17trampoline_kernelINS0_13select_configILj256ELj13ELNS0_17block_load_methodE3ELS4_3ELS4_3ELNS0_20block_scan_algorithmE0ELj4294967295EEENS1_25partition_config_selectorILNS1_17partition_subalgoE3EjNS0_10empty_typeEbEEZZNS1_14partition_implILS8_3ELb0ES6_jNS0_17counting_iteratorIjlEEPS9_SE_NS0_5tupleIJPjSE_EEENSF_IJSE_SE_EEES9_SG_JZNS1_25segmented_radix_sort_implINS0_14default_configELb1EPKsPsPKlPlN2at6native12_GLOBAL__N_18offset_tEEE10hipError_tPvRmT1_PNSt15iterator_traitsISY_E10value_typeET2_T3_PNSZ_IS14_E10value_typeET4_jRbjT5_S1A_jjP12ihipStream_tbEUljE_EEESV_SW_SX_S14_S18_S1A_T6_T7_T9_mT8_S1C_bDpT10_ENKUlT_T0_E_clISt17integral_constantIbLb0EES1P_EEDaS1K_S1L_EUlS1K_E_NS1_11comp_targetILNS1_3genE5ELNS1_11target_archE942ELNS1_3gpuE9ELNS1_3repE0EEENS1_30default_config_static_selectorELNS0_4arch9wavefront6targetE1EEEvSY_.numbered_sgpr, 0
	.set _ZN7rocprim17ROCPRIM_400000_NS6detail17trampoline_kernelINS0_13select_configILj256ELj13ELNS0_17block_load_methodE3ELS4_3ELS4_3ELNS0_20block_scan_algorithmE0ELj4294967295EEENS1_25partition_config_selectorILNS1_17partition_subalgoE3EjNS0_10empty_typeEbEEZZNS1_14partition_implILS8_3ELb0ES6_jNS0_17counting_iteratorIjlEEPS9_SE_NS0_5tupleIJPjSE_EEENSF_IJSE_SE_EEES9_SG_JZNS1_25segmented_radix_sort_implINS0_14default_configELb1EPKsPsPKlPlN2at6native12_GLOBAL__N_18offset_tEEE10hipError_tPvRmT1_PNSt15iterator_traitsISY_E10value_typeET2_T3_PNSZ_IS14_E10value_typeET4_jRbjT5_S1A_jjP12ihipStream_tbEUljE_EEESV_SW_SX_S14_S18_S1A_T6_T7_T9_mT8_S1C_bDpT10_ENKUlT_T0_E_clISt17integral_constantIbLb0EES1P_EEDaS1K_S1L_EUlS1K_E_NS1_11comp_targetILNS1_3genE5ELNS1_11target_archE942ELNS1_3gpuE9ELNS1_3repE0EEENS1_30default_config_static_selectorELNS0_4arch9wavefront6targetE1EEEvSY_.num_named_barrier, 0
	.set _ZN7rocprim17ROCPRIM_400000_NS6detail17trampoline_kernelINS0_13select_configILj256ELj13ELNS0_17block_load_methodE3ELS4_3ELS4_3ELNS0_20block_scan_algorithmE0ELj4294967295EEENS1_25partition_config_selectorILNS1_17partition_subalgoE3EjNS0_10empty_typeEbEEZZNS1_14partition_implILS8_3ELb0ES6_jNS0_17counting_iteratorIjlEEPS9_SE_NS0_5tupleIJPjSE_EEENSF_IJSE_SE_EEES9_SG_JZNS1_25segmented_radix_sort_implINS0_14default_configELb1EPKsPsPKlPlN2at6native12_GLOBAL__N_18offset_tEEE10hipError_tPvRmT1_PNSt15iterator_traitsISY_E10value_typeET2_T3_PNSZ_IS14_E10value_typeET4_jRbjT5_S1A_jjP12ihipStream_tbEUljE_EEESV_SW_SX_S14_S18_S1A_T6_T7_T9_mT8_S1C_bDpT10_ENKUlT_T0_E_clISt17integral_constantIbLb0EES1P_EEDaS1K_S1L_EUlS1K_E_NS1_11comp_targetILNS1_3genE5ELNS1_11target_archE942ELNS1_3gpuE9ELNS1_3repE0EEENS1_30default_config_static_selectorELNS0_4arch9wavefront6targetE1EEEvSY_.private_seg_size, 0
	.set _ZN7rocprim17ROCPRIM_400000_NS6detail17trampoline_kernelINS0_13select_configILj256ELj13ELNS0_17block_load_methodE3ELS4_3ELS4_3ELNS0_20block_scan_algorithmE0ELj4294967295EEENS1_25partition_config_selectorILNS1_17partition_subalgoE3EjNS0_10empty_typeEbEEZZNS1_14partition_implILS8_3ELb0ES6_jNS0_17counting_iteratorIjlEEPS9_SE_NS0_5tupleIJPjSE_EEENSF_IJSE_SE_EEES9_SG_JZNS1_25segmented_radix_sort_implINS0_14default_configELb1EPKsPsPKlPlN2at6native12_GLOBAL__N_18offset_tEEE10hipError_tPvRmT1_PNSt15iterator_traitsISY_E10value_typeET2_T3_PNSZ_IS14_E10value_typeET4_jRbjT5_S1A_jjP12ihipStream_tbEUljE_EEESV_SW_SX_S14_S18_S1A_T6_T7_T9_mT8_S1C_bDpT10_ENKUlT_T0_E_clISt17integral_constantIbLb0EES1P_EEDaS1K_S1L_EUlS1K_E_NS1_11comp_targetILNS1_3genE5ELNS1_11target_archE942ELNS1_3gpuE9ELNS1_3repE0EEENS1_30default_config_static_selectorELNS0_4arch9wavefront6targetE1EEEvSY_.uses_vcc, 0
	.set _ZN7rocprim17ROCPRIM_400000_NS6detail17trampoline_kernelINS0_13select_configILj256ELj13ELNS0_17block_load_methodE3ELS4_3ELS4_3ELNS0_20block_scan_algorithmE0ELj4294967295EEENS1_25partition_config_selectorILNS1_17partition_subalgoE3EjNS0_10empty_typeEbEEZZNS1_14partition_implILS8_3ELb0ES6_jNS0_17counting_iteratorIjlEEPS9_SE_NS0_5tupleIJPjSE_EEENSF_IJSE_SE_EEES9_SG_JZNS1_25segmented_radix_sort_implINS0_14default_configELb1EPKsPsPKlPlN2at6native12_GLOBAL__N_18offset_tEEE10hipError_tPvRmT1_PNSt15iterator_traitsISY_E10value_typeET2_T3_PNSZ_IS14_E10value_typeET4_jRbjT5_S1A_jjP12ihipStream_tbEUljE_EEESV_SW_SX_S14_S18_S1A_T6_T7_T9_mT8_S1C_bDpT10_ENKUlT_T0_E_clISt17integral_constantIbLb0EES1P_EEDaS1K_S1L_EUlS1K_E_NS1_11comp_targetILNS1_3genE5ELNS1_11target_archE942ELNS1_3gpuE9ELNS1_3repE0EEENS1_30default_config_static_selectorELNS0_4arch9wavefront6targetE1EEEvSY_.uses_flat_scratch, 0
	.set _ZN7rocprim17ROCPRIM_400000_NS6detail17trampoline_kernelINS0_13select_configILj256ELj13ELNS0_17block_load_methodE3ELS4_3ELS4_3ELNS0_20block_scan_algorithmE0ELj4294967295EEENS1_25partition_config_selectorILNS1_17partition_subalgoE3EjNS0_10empty_typeEbEEZZNS1_14partition_implILS8_3ELb0ES6_jNS0_17counting_iteratorIjlEEPS9_SE_NS0_5tupleIJPjSE_EEENSF_IJSE_SE_EEES9_SG_JZNS1_25segmented_radix_sort_implINS0_14default_configELb1EPKsPsPKlPlN2at6native12_GLOBAL__N_18offset_tEEE10hipError_tPvRmT1_PNSt15iterator_traitsISY_E10value_typeET2_T3_PNSZ_IS14_E10value_typeET4_jRbjT5_S1A_jjP12ihipStream_tbEUljE_EEESV_SW_SX_S14_S18_S1A_T6_T7_T9_mT8_S1C_bDpT10_ENKUlT_T0_E_clISt17integral_constantIbLb0EES1P_EEDaS1K_S1L_EUlS1K_E_NS1_11comp_targetILNS1_3genE5ELNS1_11target_archE942ELNS1_3gpuE9ELNS1_3repE0EEENS1_30default_config_static_selectorELNS0_4arch9wavefront6targetE1EEEvSY_.has_dyn_sized_stack, 0
	.set _ZN7rocprim17ROCPRIM_400000_NS6detail17trampoline_kernelINS0_13select_configILj256ELj13ELNS0_17block_load_methodE3ELS4_3ELS4_3ELNS0_20block_scan_algorithmE0ELj4294967295EEENS1_25partition_config_selectorILNS1_17partition_subalgoE3EjNS0_10empty_typeEbEEZZNS1_14partition_implILS8_3ELb0ES6_jNS0_17counting_iteratorIjlEEPS9_SE_NS0_5tupleIJPjSE_EEENSF_IJSE_SE_EEES9_SG_JZNS1_25segmented_radix_sort_implINS0_14default_configELb1EPKsPsPKlPlN2at6native12_GLOBAL__N_18offset_tEEE10hipError_tPvRmT1_PNSt15iterator_traitsISY_E10value_typeET2_T3_PNSZ_IS14_E10value_typeET4_jRbjT5_S1A_jjP12ihipStream_tbEUljE_EEESV_SW_SX_S14_S18_S1A_T6_T7_T9_mT8_S1C_bDpT10_ENKUlT_T0_E_clISt17integral_constantIbLb0EES1P_EEDaS1K_S1L_EUlS1K_E_NS1_11comp_targetILNS1_3genE5ELNS1_11target_archE942ELNS1_3gpuE9ELNS1_3repE0EEENS1_30default_config_static_selectorELNS0_4arch9wavefront6targetE1EEEvSY_.has_recursion, 0
	.set _ZN7rocprim17ROCPRIM_400000_NS6detail17trampoline_kernelINS0_13select_configILj256ELj13ELNS0_17block_load_methodE3ELS4_3ELS4_3ELNS0_20block_scan_algorithmE0ELj4294967295EEENS1_25partition_config_selectorILNS1_17partition_subalgoE3EjNS0_10empty_typeEbEEZZNS1_14partition_implILS8_3ELb0ES6_jNS0_17counting_iteratorIjlEEPS9_SE_NS0_5tupleIJPjSE_EEENSF_IJSE_SE_EEES9_SG_JZNS1_25segmented_radix_sort_implINS0_14default_configELb1EPKsPsPKlPlN2at6native12_GLOBAL__N_18offset_tEEE10hipError_tPvRmT1_PNSt15iterator_traitsISY_E10value_typeET2_T3_PNSZ_IS14_E10value_typeET4_jRbjT5_S1A_jjP12ihipStream_tbEUljE_EEESV_SW_SX_S14_S18_S1A_T6_T7_T9_mT8_S1C_bDpT10_ENKUlT_T0_E_clISt17integral_constantIbLb0EES1P_EEDaS1K_S1L_EUlS1K_E_NS1_11comp_targetILNS1_3genE5ELNS1_11target_archE942ELNS1_3gpuE9ELNS1_3repE0EEENS1_30default_config_static_selectorELNS0_4arch9wavefront6targetE1EEEvSY_.has_indirect_call, 0
	.section	.AMDGPU.csdata,"",@progbits
; Kernel info:
; codeLenInByte = 0
; TotalNumSgprs: 4
; NumVgprs: 0
; ScratchSize: 0
; MemoryBound: 0
; FloatMode: 240
; IeeeMode: 1
; LDSByteSize: 0 bytes/workgroup (compile time only)
; SGPRBlocks: 0
; VGPRBlocks: 0
; NumSGPRsForWavesPerEU: 4
; NumVGPRsForWavesPerEU: 1
; Occupancy: 10
; WaveLimiterHint : 0
; COMPUTE_PGM_RSRC2:SCRATCH_EN: 0
; COMPUTE_PGM_RSRC2:USER_SGPR: 6
; COMPUTE_PGM_RSRC2:TRAP_HANDLER: 0
; COMPUTE_PGM_RSRC2:TGID_X_EN: 1
; COMPUTE_PGM_RSRC2:TGID_Y_EN: 0
; COMPUTE_PGM_RSRC2:TGID_Z_EN: 0
; COMPUTE_PGM_RSRC2:TIDIG_COMP_CNT: 0
	.section	.text._ZN7rocprim17ROCPRIM_400000_NS6detail17trampoline_kernelINS0_13select_configILj256ELj13ELNS0_17block_load_methodE3ELS4_3ELS4_3ELNS0_20block_scan_algorithmE0ELj4294967295EEENS1_25partition_config_selectorILNS1_17partition_subalgoE3EjNS0_10empty_typeEbEEZZNS1_14partition_implILS8_3ELb0ES6_jNS0_17counting_iteratorIjlEEPS9_SE_NS0_5tupleIJPjSE_EEENSF_IJSE_SE_EEES9_SG_JZNS1_25segmented_radix_sort_implINS0_14default_configELb1EPKsPsPKlPlN2at6native12_GLOBAL__N_18offset_tEEE10hipError_tPvRmT1_PNSt15iterator_traitsISY_E10value_typeET2_T3_PNSZ_IS14_E10value_typeET4_jRbjT5_S1A_jjP12ihipStream_tbEUljE_EEESV_SW_SX_S14_S18_S1A_T6_T7_T9_mT8_S1C_bDpT10_ENKUlT_T0_E_clISt17integral_constantIbLb0EES1P_EEDaS1K_S1L_EUlS1K_E_NS1_11comp_targetILNS1_3genE4ELNS1_11target_archE910ELNS1_3gpuE8ELNS1_3repE0EEENS1_30default_config_static_selectorELNS0_4arch9wavefront6targetE1EEEvSY_,"axG",@progbits,_ZN7rocprim17ROCPRIM_400000_NS6detail17trampoline_kernelINS0_13select_configILj256ELj13ELNS0_17block_load_methodE3ELS4_3ELS4_3ELNS0_20block_scan_algorithmE0ELj4294967295EEENS1_25partition_config_selectorILNS1_17partition_subalgoE3EjNS0_10empty_typeEbEEZZNS1_14partition_implILS8_3ELb0ES6_jNS0_17counting_iteratorIjlEEPS9_SE_NS0_5tupleIJPjSE_EEENSF_IJSE_SE_EEES9_SG_JZNS1_25segmented_radix_sort_implINS0_14default_configELb1EPKsPsPKlPlN2at6native12_GLOBAL__N_18offset_tEEE10hipError_tPvRmT1_PNSt15iterator_traitsISY_E10value_typeET2_T3_PNSZ_IS14_E10value_typeET4_jRbjT5_S1A_jjP12ihipStream_tbEUljE_EEESV_SW_SX_S14_S18_S1A_T6_T7_T9_mT8_S1C_bDpT10_ENKUlT_T0_E_clISt17integral_constantIbLb0EES1P_EEDaS1K_S1L_EUlS1K_E_NS1_11comp_targetILNS1_3genE4ELNS1_11target_archE910ELNS1_3gpuE8ELNS1_3repE0EEENS1_30default_config_static_selectorELNS0_4arch9wavefront6targetE1EEEvSY_,comdat
	.globl	_ZN7rocprim17ROCPRIM_400000_NS6detail17trampoline_kernelINS0_13select_configILj256ELj13ELNS0_17block_load_methodE3ELS4_3ELS4_3ELNS0_20block_scan_algorithmE0ELj4294967295EEENS1_25partition_config_selectorILNS1_17partition_subalgoE3EjNS0_10empty_typeEbEEZZNS1_14partition_implILS8_3ELb0ES6_jNS0_17counting_iteratorIjlEEPS9_SE_NS0_5tupleIJPjSE_EEENSF_IJSE_SE_EEES9_SG_JZNS1_25segmented_radix_sort_implINS0_14default_configELb1EPKsPsPKlPlN2at6native12_GLOBAL__N_18offset_tEEE10hipError_tPvRmT1_PNSt15iterator_traitsISY_E10value_typeET2_T3_PNSZ_IS14_E10value_typeET4_jRbjT5_S1A_jjP12ihipStream_tbEUljE_EEESV_SW_SX_S14_S18_S1A_T6_T7_T9_mT8_S1C_bDpT10_ENKUlT_T0_E_clISt17integral_constantIbLb0EES1P_EEDaS1K_S1L_EUlS1K_E_NS1_11comp_targetILNS1_3genE4ELNS1_11target_archE910ELNS1_3gpuE8ELNS1_3repE0EEENS1_30default_config_static_selectorELNS0_4arch9wavefront6targetE1EEEvSY_ ; -- Begin function _ZN7rocprim17ROCPRIM_400000_NS6detail17trampoline_kernelINS0_13select_configILj256ELj13ELNS0_17block_load_methodE3ELS4_3ELS4_3ELNS0_20block_scan_algorithmE0ELj4294967295EEENS1_25partition_config_selectorILNS1_17partition_subalgoE3EjNS0_10empty_typeEbEEZZNS1_14partition_implILS8_3ELb0ES6_jNS0_17counting_iteratorIjlEEPS9_SE_NS0_5tupleIJPjSE_EEENSF_IJSE_SE_EEES9_SG_JZNS1_25segmented_radix_sort_implINS0_14default_configELb1EPKsPsPKlPlN2at6native12_GLOBAL__N_18offset_tEEE10hipError_tPvRmT1_PNSt15iterator_traitsISY_E10value_typeET2_T3_PNSZ_IS14_E10value_typeET4_jRbjT5_S1A_jjP12ihipStream_tbEUljE_EEESV_SW_SX_S14_S18_S1A_T6_T7_T9_mT8_S1C_bDpT10_ENKUlT_T0_E_clISt17integral_constantIbLb0EES1P_EEDaS1K_S1L_EUlS1K_E_NS1_11comp_targetILNS1_3genE4ELNS1_11target_archE910ELNS1_3gpuE8ELNS1_3repE0EEENS1_30default_config_static_selectorELNS0_4arch9wavefront6targetE1EEEvSY_
	.p2align	8
	.type	_ZN7rocprim17ROCPRIM_400000_NS6detail17trampoline_kernelINS0_13select_configILj256ELj13ELNS0_17block_load_methodE3ELS4_3ELS4_3ELNS0_20block_scan_algorithmE0ELj4294967295EEENS1_25partition_config_selectorILNS1_17partition_subalgoE3EjNS0_10empty_typeEbEEZZNS1_14partition_implILS8_3ELb0ES6_jNS0_17counting_iteratorIjlEEPS9_SE_NS0_5tupleIJPjSE_EEENSF_IJSE_SE_EEES9_SG_JZNS1_25segmented_radix_sort_implINS0_14default_configELb1EPKsPsPKlPlN2at6native12_GLOBAL__N_18offset_tEEE10hipError_tPvRmT1_PNSt15iterator_traitsISY_E10value_typeET2_T3_PNSZ_IS14_E10value_typeET4_jRbjT5_S1A_jjP12ihipStream_tbEUljE_EEESV_SW_SX_S14_S18_S1A_T6_T7_T9_mT8_S1C_bDpT10_ENKUlT_T0_E_clISt17integral_constantIbLb0EES1P_EEDaS1K_S1L_EUlS1K_E_NS1_11comp_targetILNS1_3genE4ELNS1_11target_archE910ELNS1_3gpuE8ELNS1_3repE0EEENS1_30default_config_static_selectorELNS0_4arch9wavefront6targetE1EEEvSY_,@function
_ZN7rocprim17ROCPRIM_400000_NS6detail17trampoline_kernelINS0_13select_configILj256ELj13ELNS0_17block_load_methodE3ELS4_3ELS4_3ELNS0_20block_scan_algorithmE0ELj4294967295EEENS1_25partition_config_selectorILNS1_17partition_subalgoE3EjNS0_10empty_typeEbEEZZNS1_14partition_implILS8_3ELb0ES6_jNS0_17counting_iteratorIjlEEPS9_SE_NS0_5tupleIJPjSE_EEENSF_IJSE_SE_EEES9_SG_JZNS1_25segmented_radix_sort_implINS0_14default_configELb1EPKsPsPKlPlN2at6native12_GLOBAL__N_18offset_tEEE10hipError_tPvRmT1_PNSt15iterator_traitsISY_E10value_typeET2_T3_PNSZ_IS14_E10value_typeET4_jRbjT5_S1A_jjP12ihipStream_tbEUljE_EEESV_SW_SX_S14_S18_S1A_T6_T7_T9_mT8_S1C_bDpT10_ENKUlT_T0_E_clISt17integral_constantIbLb0EES1P_EEDaS1K_S1L_EUlS1K_E_NS1_11comp_targetILNS1_3genE4ELNS1_11target_archE910ELNS1_3gpuE8ELNS1_3repE0EEENS1_30default_config_static_selectorELNS0_4arch9wavefront6targetE1EEEvSY_: ; @_ZN7rocprim17ROCPRIM_400000_NS6detail17trampoline_kernelINS0_13select_configILj256ELj13ELNS0_17block_load_methodE3ELS4_3ELS4_3ELNS0_20block_scan_algorithmE0ELj4294967295EEENS1_25partition_config_selectorILNS1_17partition_subalgoE3EjNS0_10empty_typeEbEEZZNS1_14partition_implILS8_3ELb0ES6_jNS0_17counting_iteratorIjlEEPS9_SE_NS0_5tupleIJPjSE_EEENSF_IJSE_SE_EEES9_SG_JZNS1_25segmented_radix_sort_implINS0_14default_configELb1EPKsPsPKlPlN2at6native12_GLOBAL__N_18offset_tEEE10hipError_tPvRmT1_PNSt15iterator_traitsISY_E10value_typeET2_T3_PNSZ_IS14_E10value_typeET4_jRbjT5_S1A_jjP12ihipStream_tbEUljE_EEESV_SW_SX_S14_S18_S1A_T6_T7_T9_mT8_S1C_bDpT10_ENKUlT_T0_E_clISt17integral_constantIbLb0EES1P_EEDaS1K_S1L_EUlS1K_E_NS1_11comp_targetILNS1_3genE4ELNS1_11target_archE910ELNS1_3gpuE8ELNS1_3repE0EEENS1_30default_config_static_selectorELNS0_4arch9wavefront6targetE1EEEvSY_
; %bb.0:
	.section	.rodata,"a",@progbits
	.p2align	6, 0x0
	.amdhsa_kernel _ZN7rocprim17ROCPRIM_400000_NS6detail17trampoline_kernelINS0_13select_configILj256ELj13ELNS0_17block_load_methodE3ELS4_3ELS4_3ELNS0_20block_scan_algorithmE0ELj4294967295EEENS1_25partition_config_selectorILNS1_17partition_subalgoE3EjNS0_10empty_typeEbEEZZNS1_14partition_implILS8_3ELb0ES6_jNS0_17counting_iteratorIjlEEPS9_SE_NS0_5tupleIJPjSE_EEENSF_IJSE_SE_EEES9_SG_JZNS1_25segmented_radix_sort_implINS0_14default_configELb1EPKsPsPKlPlN2at6native12_GLOBAL__N_18offset_tEEE10hipError_tPvRmT1_PNSt15iterator_traitsISY_E10value_typeET2_T3_PNSZ_IS14_E10value_typeET4_jRbjT5_S1A_jjP12ihipStream_tbEUljE_EEESV_SW_SX_S14_S18_S1A_T6_T7_T9_mT8_S1C_bDpT10_ENKUlT_T0_E_clISt17integral_constantIbLb0EES1P_EEDaS1K_S1L_EUlS1K_E_NS1_11comp_targetILNS1_3genE4ELNS1_11target_archE910ELNS1_3gpuE8ELNS1_3repE0EEENS1_30default_config_static_selectorELNS0_4arch9wavefront6targetE1EEEvSY_
		.amdhsa_group_segment_fixed_size 0
		.amdhsa_private_segment_fixed_size 0
		.amdhsa_kernarg_size 144
		.amdhsa_user_sgpr_count 6
		.amdhsa_user_sgpr_private_segment_buffer 1
		.amdhsa_user_sgpr_dispatch_ptr 0
		.amdhsa_user_sgpr_queue_ptr 0
		.amdhsa_user_sgpr_kernarg_segment_ptr 1
		.amdhsa_user_sgpr_dispatch_id 0
		.amdhsa_user_sgpr_flat_scratch_init 0
		.amdhsa_user_sgpr_private_segment_size 0
		.amdhsa_uses_dynamic_stack 0
		.amdhsa_system_sgpr_private_segment_wavefront_offset 0
		.amdhsa_system_sgpr_workgroup_id_x 1
		.amdhsa_system_sgpr_workgroup_id_y 0
		.amdhsa_system_sgpr_workgroup_id_z 0
		.amdhsa_system_sgpr_workgroup_info 0
		.amdhsa_system_vgpr_workitem_id 0
		.amdhsa_next_free_vgpr 1
		.amdhsa_next_free_sgpr 0
		.amdhsa_reserve_vcc 0
		.amdhsa_reserve_flat_scratch 0
		.amdhsa_float_round_mode_32 0
		.amdhsa_float_round_mode_16_64 0
		.amdhsa_float_denorm_mode_32 3
		.amdhsa_float_denorm_mode_16_64 3
		.amdhsa_dx10_clamp 1
		.amdhsa_ieee_mode 1
		.amdhsa_fp16_overflow 0
		.amdhsa_exception_fp_ieee_invalid_op 0
		.amdhsa_exception_fp_denorm_src 0
		.amdhsa_exception_fp_ieee_div_zero 0
		.amdhsa_exception_fp_ieee_overflow 0
		.amdhsa_exception_fp_ieee_underflow 0
		.amdhsa_exception_fp_ieee_inexact 0
		.amdhsa_exception_int_div_zero 0
	.end_amdhsa_kernel
	.section	.text._ZN7rocprim17ROCPRIM_400000_NS6detail17trampoline_kernelINS0_13select_configILj256ELj13ELNS0_17block_load_methodE3ELS4_3ELS4_3ELNS0_20block_scan_algorithmE0ELj4294967295EEENS1_25partition_config_selectorILNS1_17partition_subalgoE3EjNS0_10empty_typeEbEEZZNS1_14partition_implILS8_3ELb0ES6_jNS0_17counting_iteratorIjlEEPS9_SE_NS0_5tupleIJPjSE_EEENSF_IJSE_SE_EEES9_SG_JZNS1_25segmented_radix_sort_implINS0_14default_configELb1EPKsPsPKlPlN2at6native12_GLOBAL__N_18offset_tEEE10hipError_tPvRmT1_PNSt15iterator_traitsISY_E10value_typeET2_T3_PNSZ_IS14_E10value_typeET4_jRbjT5_S1A_jjP12ihipStream_tbEUljE_EEESV_SW_SX_S14_S18_S1A_T6_T7_T9_mT8_S1C_bDpT10_ENKUlT_T0_E_clISt17integral_constantIbLb0EES1P_EEDaS1K_S1L_EUlS1K_E_NS1_11comp_targetILNS1_3genE4ELNS1_11target_archE910ELNS1_3gpuE8ELNS1_3repE0EEENS1_30default_config_static_selectorELNS0_4arch9wavefront6targetE1EEEvSY_,"axG",@progbits,_ZN7rocprim17ROCPRIM_400000_NS6detail17trampoline_kernelINS0_13select_configILj256ELj13ELNS0_17block_load_methodE3ELS4_3ELS4_3ELNS0_20block_scan_algorithmE0ELj4294967295EEENS1_25partition_config_selectorILNS1_17partition_subalgoE3EjNS0_10empty_typeEbEEZZNS1_14partition_implILS8_3ELb0ES6_jNS0_17counting_iteratorIjlEEPS9_SE_NS0_5tupleIJPjSE_EEENSF_IJSE_SE_EEES9_SG_JZNS1_25segmented_radix_sort_implINS0_14default_configELb1EPKsPsPKlPlN2at6native12_GLOBAL__N_18offset_tEEE10hipError_tPvRmT1_PNSt15iterator_traitsISY_E10value_typeET2_T3_PNSZ_IS14_E10value_typeET4_jRbjT5_S1A_jjP12ihipStream_tbEUljE_EEESV_SW_SX_S14_S18_S1A_T6_T7_T9_mT8_S1C_bDpT10_ENKUlT_T0_E_clISt17integral_constantIbLb0EES1P_EEDaS1K_S1L_EUlS1K_E_NS1_11comp_targetILNS1_3genE4ELNS1_11target_archE910ELNS1_3gpuE8ELNS1_3repE0EEENS1_30default_config_static_selectorELNS0_4arch9wavefront6targetE1EEEvSY_,comdat
.Lfunc_end881:
	.size	_ZN7rocprim17ROCPRIM_400000_NS6detail17trampoline_kernelINS0_13select_configILj256ELj13ELNS0_17block_load_methodE3ELS4_3ELS4_3ELNS0_20block_scan_algorithmE0ELj4294967295EEENS1_25partition_config_selectorILNS1_17partition_subalgoE3EjNS0_10empty_typeEbEEZZNS1_14partition_implILS8_3ELb0ES6_jNS0_17counting_iteratorIjlEEPS9_SE_NS0_5tupleIJPjSE_EEENSF_IJSE_SE_EEES9_SG_JZNS1_25segmented_radix_sort_implINS0_14default_configELb1EPKsPsPKlPlN2at6native12_GLOBAL__N_18offset_tEEE10hipError_tPvRmT1_PNSt15iterator_traitsISY_E10value_typeET2_T3_PNSZ_IS14_E10value_typeET4_jRbjT5_S1A_jjP12ihipStream_tbEUljE_EEESV_SW_SX_S14_S18_S1A_T6_T7_T9_mT8_S1C_bDpT10_ENKUlT_T0_E_clISt17integral_constantIbLb0EES1P_EEDaS1K_S1L_EUlS1K_E_NS1_11comp_targetILNS1_3genE4ELNS1_11target_archE910ELNS1_3gpuE8ELNS1_3repE0EEENS1_30default_config_static_selectorELNS0_4arch9wavefront6targetE1EEEvSY_, .Lfunc_end881-_ZN7rocprim17ROCPRIM_400000_NS6detail17trampoline_kernelINS0_13select_configILj256ELj13ELNS0_17block_load_methodE3ELS4_3ELS4_3ELNS0_20block_scan_algorithmE0ELj4294967295EEENS1_25partition_config_selectorILNS1_17partition_subalgoE3EjNS0_10empty_typeEbEEZZNS1_14partition_implILS8_3ELb0ES6_jNS0_17counting_iteratorIjlEEPS9_SE_NS0_5tupleIJPjSE_EEENSF_IJSE_SE_EEES9_SG_JZNS1_25segmented_radix_sort_implINS0_14default_configELb1EPKsPsPKlPlN2at6native12_GLOBAL__N_18offset_tEEE10hipError_tPvRmT1_PNSt15iterator_traitsISY_E10value_typeET2_T3_PNSZ_IS14_E10value_typeET4_jRbjT5_S1A_jjP12ihipStream_tbEUljE_EEESV_SW_SX_S14_S18_S1A_T6_T7_T9_mT8_S1C_bDpT10_ENKUlT_T0_E_clISt17integral_constantIbLb0EES1P_EEDaS1K_S1L_EUlS1K_E_NS1_11comp_targetILNS1_3genE4ELNS1_11target_archE910ELNS1_3gpuE8ELNS1_3repE0EEENS1_30default_config_static_selectorELNS0_4arch9wavefront6targetE1EEEvSY_
                                        ; -- End function
	.set _ZN7rocprim17ROCPRIM_400000_NS6detail17trampoline_kernelINS0_13select_configILj256ELj13ELNS0_17block_load_methodE3ELS4_3ELS4_3ELNS0_20block_scan_algorithmE0ELj4294967295EEENS1_25partition_config_selectorILNS1_17partition_subalgoE3EjNS0_10empty_typeEbEEZZNS1_14partition_implILS8_3ELb0ES6_jNS0_17counting_iteratorIjlEEPS9_SE_NS0_5tupleIJPjSE_EEENSF_IJSE_SE_EEES9_SG_JZNS1_25segmented_radix_sort_implINS0_14default_configELb1EPKsPsPKlPlN2at6native12_GLOBAL__N_18offset_tEEE10hipError_tPvRmT1_PNSt15iterator_traitsISY_E10value_typeET2_T3_PNSZ_IS14_E10value_typeET4_jRbjT5_S1A_jjP12ihipStream_tbEUljE_EEESV_SW_SX_S14_S18_S1A_T6_T7_T9_mT8_S1C_bDpT10_ENKUlT_T0_E_clISt17integral_constantIbLb0EES1P_EEDaS1K_S1L_EUlS1K_E_NS1_11comp_targetILNS1_3genE4ELNS1_11target_archE910ELNS1_3gpuE8ELNS1_3repE0EEENS1_30default_config_static_selectorELNS0_4arch9wavefront6targetE1EEEvSY_.num_vgpr, 0
	.set _ZN7rocprim17ROCPRIM_400000_NS6detail17trampoline_kernelINS0_13select_configILj256ELj13ELNS0_17block_load_methodE3ELS4_3ELS4_3ELNS0_20block_scan_algorithmE0ELj4294967295EEENS1_25partition_config_selectorILNS1_17partition_subalgoE3EjNS0_10empty_typeEbEEZZNS1_14partition_implILS8_3ELb0ES6_jNS0_17counting_iteratorIjlEEPS9_SE_NS0_5tupleIJPjSE_EEENSF_IJSE_SE_EEES9_SG_JZNS1_25segmented_radix_sort_implINS0_14default_configELb1EPKsPsPKlPlN2at6native12_GLOBAL__N_18offset_tEEE10hipError_tPvRmT1_PNSt15iterator_traitsISY_E10value_typeET2_T3_PNSZ_IS14_E10value_typeET4_jRbjT5_S1A_jjP12ihipStream_tbEUljE_EEESV_SW_SX_S14_S18_S1A_T6_T7_T9_mT8_S1C_bDpT10_ENKUlT_T0_E_clISt17integral_constantIbLb0EES1P_EEDaS1K_S1L_EUlS1K_E_NS1_11comp_targetILNS1_3genE4ELNS1_11target_archE910ELNS1_3gpuE8ELNS1_3repE0EEENS1_30default_config_static_selectorELNS0_4arch9wavefront6targetE1EEEvSY_.num_agpr, 0
	.set _ZN7rocprim17ROCPRIM_400000_NS6detail17trampoline_kernelINS0_13select_configILj256ELj13ELNS0_17block_load_methodE3ELS4_3ELS4_3ELNS0_20block_scan_algorithmE0ELj4294967295EEENS1_25partition_config_selectorILNS1_17partition_subalgoE3EjNS0_10empty_typeEbEEZZNS1_14partition_implILS8_3ELb0ES6_jNS0_17counting_iteratorIjlEEPS9_SE_NS0_5tupleIJPjSE_EEENSF_IJSE_SE_EEES9_SG_JZNS1_25segmented_radix_sort_implINS0_14default_configELb1EPKsPsPKlPlN2at6native12_GLOBAL__N_18offset_tEEE10hipError_tPvRmT1_PNSt15iterator_traitsISY_E10value_typeET2_T3_PNSZ_IS14_E10value_typeET4_jRbjT5_S1A_jjP12ihipStream_tbEUljE_EEESV_SW_SX_S14_S18_S1A_T6_T7_T9_mT8_S1C_bDpT10_ENKUlT_T0_E_clISt17integral_constantIbLb0EES1P_EEDaS1K_S1L_EUlS1K_E_NS1_11comp_targetILNS1_3genE4ELNS1_11target_archE910ELNS1_3gpuE8ELNS1_3repE0EEENS1_30default_config_static_selectorELNS0_4arch9wavefront6targetE1EEEvSY_.numbered_sgpr, 0
	.set _ZN7rocprim17ROCPRIM_400000_NS6detail17trampoline_kernelINS0_13select_configILj256ELj13ELNS0_17block_load_methodE3ELS4_3ELS4_3ELNS0_20block_scan_algorithmE0ELj4294967295EEENS1_25partition_config_selectorILNS1_17partition_subalgoE3EjNS0_10empty_typeEbEEZZNS1_14partition_implILS8_3ELb0ES6_jNS0_17counting_iteratorIjlEEPS9_SE_NS0_5tupleIJPjSE_EEENSF_IJSE_SE_EEES9_SG_JZNS1_25segmented_radix_sort_implINS0_14default_configELb1EPKsPsPKlPlN2at6native12_GLOBAL__N_18offset_tEEE10hipError_tPvRmT1_PNSt15iterator_traitsISY_E10value_typeET2_T3_PNSZ_IS14_E10value_typeET4_jRbjT5_S1A_jjP12ihipStream_tbEUljE_EEESV_SW_SX_S14_S18_S1A_T6_T7_T9_mT8_S1C_bDpT10_ENKUlT_T0_E_clISt17integral_constantIbLb0EES1P_EEDaS1K_S1L_EUlS1K_E_NS1_11comp_targetILNS1_3genE4ELNS1_11target_archE910ELNS1_3gpuE8ELNS1_3repE0EEENS1_30default_config_static_selectorELNS0_4arch9wavefront6targetE1EEEvSY_.num_named_barrier, 0
	.set _ZN7rocprim17ROCPRIM_400000_NS6detail17trampoline_kernelINS0_13select_configILj256ELj13ELNS0_17block_load_methodE3ELS4_3ELS4_3ELNS0_20block_scan_algorithmE0ELj4294967295EEENS1_25partition_config_selectorILNS1_17partition_subalgoE3EjNS0_10empty_typeEbEEZZNS1_14partition_implILS8_3ELb0ES6_jNS0_17counting_iteratorIjlEEPS9_SE_NS0_5tupleIJPjSE_EEENSF_IJSE_SE_EEES9_SG_JZNS1_25segmented_radix_sort_implINS0_14default_configELb1EPKsPsPKlPlN2at6native12_GLOBAL__N_18offset_tEEE10hipError_tPvRmT1_PNSt15iterator_traitsISY_E10value_typeET2_T3_PNSZ_IS14_E10value_typeET4_jRbjT5_S1A_jjP12ihipStream_tbEUljE_EEESV_SW_SX_S14_S18_S1A_T6_T7_T9_mT8_S1C_bDpT10_ENKUlT_T0_E_clISt17integral_constantIbLb0EES1P_EEDaS1K_S1L_EUlS1K_E_NS1_11comp_targetILNS1_3genE4ELNS1_11target_archE910ELNS1_3gpuE8ELNS1_3repE0EEENS1_30default_config_static_selectorELNS0_4arch9wavefront6targetE1EEEvSY_.private_seg_size, 0
	.set _ZN7rocprim17ROCPRIM_400000_NS6detail17trampoline_kernelINS0_13select_configILj256ELj13ELNS0_17block_load_methodE3ELS4_3ELS4_3ELNS0_20block_scan_algorithmE0ELj4294967295EEENS1_25partition_config_selectorILNS1_17partition_subalgoE3EjNS0_10empty_typeEbEEZZNS1_14partition_implILS8_3ELb0ES6_jNS0_17counting_iteratorIjlEEPS9_SE_NS0_5tupleIJPjSE_EEENSF_IJSE_SE_EEES9_SG_JZNS1_25segmented_radix_sort_implINS0_14default_configELb1EPKsPsPKlPlN2at6native12_GLOBAL__N_18offset_tEEE10hipError_tPvRmT1_PNSt15iterator_traitsISY_E10value_typeET2_T3_PNSZ_IS14_E10value_typeET4_jRbjT5_S1A_jjP12ihipStream_tbEUljE_EEESV_SW_SX_S14_S18_S1A_T6_T7_T9_mT8_S1C_bDpT10_ENKUlT_T0_E_clISt17integral_constantIbLb0EES1P_EEDaS1K_S1L_EUlS1K_E_NS1_11comp_targetILNS1_3genE4ELNS1_11target_archE910ELNS1_3gpuE8ELNS1_3repE0EEENS1_30default_config_static_selectorELNS0_4arch9wavefront6targetE1EEEvSY_.uses_vcc, 0
	.set _ZN7rocprim17ROCPRIM_400000_NS6detail17trampoline_kernelINS0_13select_configILj256ELj13ELNS0_17block_load_methodE3ELS4_3ELS4_3ELNS0_20block_scan_algorithmE0ELj4294967295EEENS1_25partition_config_selectorILNS1_17partition_subalgoE3EjNS0_10empty_typeEbEEZZNS1_14partition_implILS8_3ELb0ES6_jNS0_17counting_iteratorIjlEEPS9_SE_NS0_5tupleIJPjSE_EEENSF_IJSE_SE_EEES9_SG_JZNS1_25segmented_radix_sort_implINS0_14default_configELb1EPKsPsPKlPlN2at6native12_GLOBAL__N_18offset_tEEE10hipError_tPvRmT1_PNSt15iterator_traitsISY_E10value_typeET2_T3_PNSZ_IS14_E10value_typeET4_jRbjT5_S1A_jjP12ihipStream_tbEUljE_EEESV_SW_SX_S14_S18_S1A_T6_T7_T9_mT8_S1C_bDpT10_ENKUlT_T0_E_clISt17integral_constantIbLb0EES1P_EEDaS1K_S1L_EUlS1K_E_NS1_11comp_targetILNS1_3genE4ELNS1_11target_archE910ELNS1_3gpuE8ELNS1_3repE0EEENS1_30default_config_static_selectorELNS0_4arch9wavefront6targetE1EEEvSY_.uses_flat_scratch, 0
	.set _ZN7rocprim17ROCPRIM_400000_NS6detail17trampoline_kernelINS0_13select_configILj256ELj13ELNS0_17block_load_methodE3ELS4_3ELS4_3ELNS0_20block_scan_algorithmE0ELj4294967295EEENS1_25partition_config_selectorILNS1_17partition_subalgoE3EjNS0_10empty_typeEbEEZZNS1_14partition_implILS8_3ELb0ES6_jNS0_17counting_iteratorIjlEEPS9_SE_NS0_5tupleIJPjSE_EEENSF_IJSE_SE_EEES9_SG_JZNS1_25segmented_radix_sort_implINS0_14default_configELb1EPKsPsPKlPlN2at6native12_GLOBAL__N_18offset_tEEE10hipError_tPvRmT1_PNSt15iterator_traitsISY_E10value_typeET2_T3_PNSZ_IS14_E10value_typeET4_jRbjT5_S1A_jjP12ihipStream_tbEUljE_EEESV_SW_SX_S14_S18_S1A_T6_T7_T9_mT8_S1C_bDpT10_ENKUlT_T0_E_clISt17integral_constantIbLb0EES1P_EEDaS1K_S1L_EUlS1K_E_NS1_11comp_targetILNS1_3genE4ELNS1_11target_archE910ELNS1_3gpuE8ELNS1_3repE0EEENS1_30default_config_static_selectorELNS0_4arch9wavefront6targetE1EEEvSY_.has_dyn_sized_stack, 0
	.set _ZN7rocprim17ROCPRIM_400000_NS6detail17trampoline_kernelINS0_13select_configILj256ELj13ELNS0_17block_load_methodE3ELS4_3ELS4_3ELNS0_20block_scan_algorithmE0ELj4294967295EEENS1_25partition_config_selectorILNS1_17partition_subalgoE3EjNS0_10empty_typeEbEEZZNS1_14partition_implILS8_3ELb0ES6_jNS0_17counting_iteratorIjlEEPS9_SE_NS0_5tupleIJPjSE_EEENSF_IJSE_SE_EEES9_SG_JZNS1_25segmented_radix_sort_implINS0_14default_configELb1EPKsPsPKlPlN2at6native12_GLOBAL__N_18offset_tEEE10hipError_tPvRmT1_PNSt15iterator_traitsISY_E10value_typeET2_T3_PNSZ_IS14_E10value_typeET4_jRbjT5_S1A_jjP12ihipStream_tbEUljE_EEESV_SW_SX_S14_S18_S1A_T6_T7_T9_mT8_S1C_bDpT10_ENKUlT_T0_E_clISt17integral_constantIbLb0EES1P_EEDaS1K_S1L_EUlS1K_E_NS1_11comp_targetILNS1_3genE4ELNS1_11target_archE910ELNS1_3gpuE8ELNS1_3repE0EEENS1_30default_config_static_selectorELNS0_4arch9wavefront6targetE1EEEvSY_.has_recursion, 0
	.set _ZN7rocprim17ROCPRIM_400000_NS6detail17trampoline_kernelINS0_13select_configILj256ELj13ELNS0_17block_load_methodE3ELS4_3ELS4_3ELNS0_20block_scan_algorithmE0ELj4294967295EEENS1_25partition_config_selectorILNS1_17partition_subalgoE3EjNS0_10empty_typeEbEEZZNS1_14partition_implILS8_3ELb0ES6_jNS0_17counting_iteratorIjlEEPS9_SE_NS0_5tupleIJPjSE_EEENSF_IJSE_SE_EEES9_SG_JZNS1_25segmented_radix_sort_implINS0_14default_configELb1EPKsPsPKlPlN2at6native12_GLOBAL__N_18offset_tEEE10hipError_tPvRmT1_PNSt15iterator_traitsISY_E10value_typeET2_T3_PNSZ_IS14_E10value_typeET4_jRbjT5_S1A_jjP12ihipStream_tbEUljE_EEESV_SW_SX_S14_S18_S1A_T6_T7_T9_mT8_S1C_bDpT10_ENKUlT_T0_E_clISt17integral_constantIbLb0EES1P_EEDaS1K_S1L_EUlS1K_E_NS1_11comp_targetILNS1_3genE4ELNS1_11target_archE910ELNS1_3gpuE8ELNS1_3repE0EEENS1_30default_config_static_selectorELNS0_4arch9wavefront6targetE1EEEvSY_.has_indirect_call, 0
	.section	.AMDGPU.csdata,"",@progbits
; Kernel info:
; codeLenInByte = 0
; TotalNumSgprs: 4
; NumVgprs: 0
; ScratchSize: 0
; MemoryBound: 0
; FloatMode: 240
; IeeeMode: 1
; LDSByteSize: 0 bytes/workgroup (compile time only)
; SGPRBlocks: 0
; VGPRBlocks: 0
; NumSGPRsForWavesPerEU: 4
; NumVGPRsForWavesPerEU: 1
; Occupancy: 10
; WaveLimiterHint : 0
; COMPUTE_PGM_RSRC2:SCRATCH_EN: 0
; COMPUTE_PGM_RSRC2:USER_SGPR: 6
; COMPUTE_PGM_RSRC2:TRAP_HANDLER: 0
; COMPUTE_PGM_RSRC2:TGID_X_EN: 1
; COMPUTE_PGM_RSRC2:TGID_Y_EN: 0
; COMPUTE_PGM_RSRC2:TGID_Z_EN: 0
; COMPUTE_PGM_RSRC2:TIDIG_COMP_CNT: 0
	.section	.text._ZN7rocprim17ROCPRIM_400000_NS6detail17trampoline_kernelINS0_13select_configILj256ELj13ELNS0_17block_load_methodE3ELS4_3ELS4_3ELNS0_20block_scan_algorithmE0ELj4294967295EEENS1_25partition_config_selectorILNS1_17partition_subalgoE3EjNS0_10empty_typeEbEEZZNS1_14partition_implILS8_3ELb0ES6_jNS0_17counting_iteratorIjlEEPS9_SE_NS0_5tupleIJPjSE_EEENSF_IJSE_SE_EEES9_SG_JZNS1_25segmented_radix_sort_implINS0_14default_configELb1EPKsPsPKlPlN2at6native12_GLOBAL__N_18offset_tEEE10hipError_tPvRmT1_PNSt15iterator_traitsISY_E10value_typeET2_T3_PNSZ_IS14_E10value_typeET4_jRbjT5_S1A_jjP12ihipStream_tbEUljE_EEESV_SW_SX_S14_S18_S1A_T6_T7_T9_mT8_S1C_bDpT10_ENKUlT_T0_E_clISt17integral_constantIbLb0EES1P_EEDaS1K_S1L_EUlS1K_E_NS1_11comp_targetILNS1_3genE3ELNS1_11target_archE908ELNS1_3gpuE7ELNS1_3repE0EEENS1_30default_config_static_selectorELNS0_4arch9wavefront6targetE1EEEvSY_,"axG",@progbits,_ZN7rocprim17ROCPRIM_400000_NS6detail17trampoline_kernelINS0_13select_configILj256ELj13ELNS0_17block_load_methodE3ELS4_3ELS4_3ELNS0_20block_scan_algorithmE0ELj4294967295EEENS1_25partition_config_selectorILNS1_17partition_subalgoE3EjNS0_10empty_typeEbEEZZNS1_14partition_implILS8_3ELb0ES6_jNS0_17counting_iteratorIjlEEPS9_SE_NS0_5tupleIJPjSE_EEENSF_IJSE_SE_EEES9_SG_JZNS1_25segmented_radix_sort_implINS0_14default_configELb1EPKsPsPKlPlN2at6native12_GLOBAL__N_18offset_tEEE10hipError_tPvRmT1_PNSt15iterator_traitsISY_E10value_typeET2_T3_PNSZ_IS14_E10value_typeET4_jRbjT5_S1A_jjP12ihipStream_tbEUljE_EEESV_SW_SX_S14_S18_S1A_T6_T7_T9_mT8_S1C_bDpT10_ENKUlT_T0_E_clISt17integral_constantIbLb0EES1P_EEDaS1K_S1L_EUlS1K_E_NS1_11comp_targetILNS1_3genE3ELNS1_11target_archE908ELNS1_3gpuE7ELNS1_3repE0EEENS1_30default_config_static_selectorELNS0_4arch9wavefront6targetE1EEEvSY_,comdat
	.globl	_ZN7rocprim17ROCPRIM_400000_NS6detail17trampoline_kernelINS0_13select_configILj256ELj13ELNS0_17block_load_methodE3ELS4_3ELS4_3ELNS0_20block_scan_algorithmE0ELj4294967295EEENS1_25partition_config_selectorILNS1_17partition_subalgoE3EjNS0_10empty_typeEbEEZZNS1_14partition_implILS8_3ELb0ES6_jNS0_17counting_iteratorIjlEEPS9_SE_NS0_5tupleIJPjSE_EEENSF_IJSE_SE_EEES9_SG_JZNS1_25segmented_radix_sort_implINS0_14default_configELb1EPKsPsPKlPlN2at6native12_GLOBAL__N_18offset_tEEE10hipError_tPvRmT1_PNSt15iterator_traitsISY_E10value_typeET2_T3_PNSZ_IS14_E10value_typeET4_jRbjT5_S1A_jjP12ihipStream_tbEUljE_EEESV_SW_SX_S14_S18_S1A_T6_T7_T9_mT8_S1C_bDpT10_ENKUlT_T0_E_clISt17integral_constantIbLb0EES1P_EEDaS1K_S1L_EUlS1K_E_NS1_11comp_targetILNS1_3genE3ELNS1_11target_archE908ELNS1_3gpuE7ELNS1_3repE0EEENS1_30default_config_static_selectorELNS0_4arch9wavefront6targetE1EEEvSY_ ; -- Begin function _ZN7rocprim17ROCPRIM_400000_NS6detail17trampoline_kernelINS0_13select_configILj256ELj13ELNS0_17block_load_methodE3ELS4_3ELS4_3ELNS0_20block_scan_algorithmE0ELj4294967295EEENS1_25partition_config_selectorILNS1_17partition_subalgoE3EjNS0_10empty_typeEbEEZZNS1_14partition_implILS8_3ELb0ES6_jNS0_17counting_iteratorIjlEEPS9_SE_NS0_5tupleIJPjSE_EEENSF_IJSE_SE_EEES9_SG_JZNS1_25segmented_radix_sort_implINS0_14default_configELb1EPKsPsPKlPlN2at6native12_GLOBAL__N_18offset_tEEE10hipError_tPvRmT1_PNSt15iterator_traitsISY_E10value_typeET2_T3_PNSZ_IS14_E10value_typeET4_jRbjT5_S1A_jjP12ihipStream_tbEUljE_EEESV_SW_SX_S14_S18_S1A_T6_T7_T9_mT8_S1C_bDpT10_ENKUlT_T0_E_clISt17integral_constantIbLb0EES1P_EEDaS1K_S1L_EUlS1K_E_NS1_11comp_targetILNS1_3genE3ELNS1_11target_archE908ELNS1_3gpuE7ELNS1_3repE0EEENS1_30default_config_static_selectorELNS0_4arch9wavefront6targetE1EEEvSY_
	.p2align	8
	.type	_ZN7rocprim17ROCPRIM_400000_NS6detail17trampoline_kernelINS0_13select_configILj256ELj13ELNS0_17block_load_methodE3ELS4_3ELS4_3ELNS0_20block_scan_algorithmE0ELj4294967295EEENS1_25partition_config_selectorILNS1_17partition_subalgoE3EjNS0_10empty_typeEbEEZZNS1_14partition_implILS8_3ELb0ES6_jNS0_17counting_iteratorIjlEEPS9_SE_NS0_5tupleIJPjSE_EEENSF_IJSE_SE_EEES9_SG_JZNS1_25segmented_radix_sort_implINS0_14default_configELb1EPKsPsPKlPlN2at6native12_GLOBAL__N_18offset_tEEE10hipError_tPvRmT1_PNSt15iterator_traitsISY_E10value_typeET2_T3_PNSZ_IS14_E10value_typeET4_jRbjT5_S1A_jjP12ihipStream_tbEUljE_EEESV_SW_SX_S14_S18_S1A_T6_T7_T9_mT8_S1C_bDpT10_ENKUlT_T0_E_clISt17integral_constantIbLb0EES1P_EEDaS1K_S1L_EUlS1K_E_NS1_11comp_targetILNS1_3genE3ELNS1_11target_archE908ELNS1_3gpuE7ELNS1_3repE0EEENS1_30default_config_static_selectorELNS0_4arch9wavefront6targetE1EEEvSY_,@function
_ZN7rocprim17ROCPRIM_400000_NS6detail17trampoline_kernelINS0_13select_configILj256ELj13ELNS0_17block_load_methodE3ELS4_3ELS4_3ELNS0_20block_scan_algorithmE0ELj4294967295EEENS1_25partition_config_selectorILNS1_17partition_subalgoE3EjNS0_10empty_typeEbEEZZNS1_14partition_implILS8_3ELb0ES6_jNS0_17counting_iteratorIjlEEPS9_SE_NS0_5tupleIJPjSE_EEENSF_IJSE_SE_EEES9_SG_JZNS1_25segmented_radix_sort_implINS0_14default_configELb1EPKsPsPKlPlN2at6native12_GLOBAL__N_18offset_tEEE10hipError_tPvRmT1_PNSt15iterator_traitsISY_E10value_typeET2_T3_PNSZ_IS14_E10value_typeET4_jRbjT5_S1A_jjP12ihipStream_tbEUljE_EEESV_SW_SX_S14_S18_S1A_T6_T7_T9_mT8_S1C_bDpT10_ENKUlT_T0_E_clISt17integral_constantIbLb0EES1P_EEDaS1K_S1L_EUlS1K_E_NS1_11comp_targetILNS1_3genE3ELNS1_11target_archE908ELNS1_3gpuE7ELNS1_3repE0EEENS1_30default_config_static_selectorELNS0_4arch9wavefront6targetE1EEEvSY_: ; @_ZN7rocprim17ROCPRIM_400000_NS6detail17trampoline_kernelINS0_13select_configILj256ELj13ELNS0_17block_load_methodE3ELS4_3ELS4_3ELNS0_20block_scan_algorithmE0ELj4294967295EEENS1_25partition_config_selectorILNS1_17partition_subalgoE3EjNS0_10empty_typeEbEEZZNS1_14partition_implILS8_3ELb0ES6_jNS0_17counting_iteratorIjlEEPS9_SE_NS0_5tupleIJPjSE_EEENSF_IJSE_SE_EEES9_SG_JZNS1_25segmented_radix_sort_implINS0_14default_configELb1EPKsPsPKlPlN2at6native12_GLOBAL__N_18offset_tEEE10hipError_tPvRmT1_PNSt15iterator_traitsISY_E10value_typeET2_T3_PNSZ_IS14_E10value_typeET4_jRbjT5_S1A_jjP12ihipStream_tbEUljE_EEESV_SW_SX_S14_S18_S1A_T6_T7_T9_mT8_S1C_bDpT10_ENKUlT_T0_E_clISt17integral_constantIbLb0EES1P_EEDaS1K_S1L_EUlS1K_E_NS1_11comp_targetILNS1_3genE3ELNS1_11target_archE908ELNS1_3gpuE7ELNS1_3repE0EEENS1_30default_config_static_selectorELNS0_4arch9wavefront6targetE1EEEvSY_
; %bb.0:
	.section	.rodata,"a",@progbits
	.p2align	6, 0x0
	.amdhsa_kernel _ZN7rocprim17ROCPRIM_400000_NS6detail17trampoline_kernelINS0_13select_configILj256ELj13ELNS0_17block_load_methodE3ELS4_3ELS4_3ELNS0_20block_scan_algorithmE0ELj4294967295EEENS1_25partition_config_selectorILNS1_17partition_subalgoE3EjNS0_10empty_typeEbEEZZNS1_14partition_implILS8_3ELb0ES6_jNS0_17counting_iteratorIjlEEPS9_SE_NS0_5tupleIJPjSE_EEENSF_IJSE_SE_EEES9_SG_JZNS1_25segmented_radix_sort_implINS0_14default_configELb1EPKsPsPKlPlN2at6native12_GLOBAL__N_18offset_tEEE10hipError_tPvRmT1_PNSt15iterator_traitsISY_E10value_typeET2_T3_PNSZ_IS14_E10value_typeET4_jRbjT5_S1A_jjP12ihipStream_tbEUljE_EEESV_SW_SX_S14_S18_S1A_T6_T7_T9_mT8_S1C_bDpT10_ENKUlT_T0_E_clISt17integral_constantIbLb0EES1P_EEDaS1K_S1L_EUlS1K_E_NS1_11comp_targetILNS1_3genE3ELNS1_11target_archE908ELNS1_3gpuE7ELNS1_3repE0EEENS1_30default_config_static_selectorELNS0_4arch9wavefront6targetE1EEEvSY_
		.amdhsa_group_segment_fixed_size 0
		.amdhsa_private_segment_fixed_size 0
		.amdhsa_kernarg_size 144
		.amdhsa_user_sgpr_count 6
		.amdhsa_user_sgpr_private_segment_buffer 1
		.amdhsa_user_sgpr_dispatch_ptr 0
		.amdhsa_user_sgpr_queue_ptr 0
		.amdhsa_user_sgpr_kernarg_segment_ptr 1
		.amdhsa_user_sgpr_dispatch_id 0
		.amdhsa_user_sgpr_flat_scratch_init 0
		.amdhsa_user_sgpr_private_segment_size 0
		.amdhsa_uses_dynamic_stack 0
		.amdhsa_system_sgpr_private_segment_wavefront_offset 0
		.amdhsa_system_sgpr_workgroup_id_x 1
		.amdhsa_system_sgpr_workgroup_id_y 0
		.amdhsa_system_sgpr_workgroup_id_z 0
		.amdhsa_system_sgpr_workgroup_info 0
		.amdhsa_system_vgpr_workitem_id 0
		.amdhsa_next_free_vgpr 1
		.amdhsa_next_free_sgpr 0
		.amdhsa_reserve_vcc 0
		.amdhsa_reserve_flat_scratch 0
		.amdhsa_float_round_mode_32 0
		.amdhsa_float_round_mode_16_64 0
		.amdhsa_float_denorm_mode_32 3
		.amdhsa_float_denorm_mode_16_64 3
		.amdhsa_dx10_clamp 1
		.amdhsa_ieee_mode 1
		.amdhsa_fp16_overflow 0
		.amdhsa_exception_fp_ieee_invalid_op 0
		.amdhsa_exception_fp_denorm_src 0
		.amdhsa_exception_fp_ieee_div_zero 0
		.amdhsa_exception_fp_ieee_overflow 0
		.amdhsa_exception_fp_ieee_underflow 0
		.amdhsa_exception_fp_ieee_inexact 0
		.amdhsa_exception_int_div_zero 0
	.end_amdhsa_kernel
	.section	.text._ZN7rocprim17ROCPRIM_400000_NS6detail17trampoline_kernelINS0_13select_configILj256ELj13ELNS0_17block_load_methodE3ELS4_3ELS4_3ELNS0_20block_scan_algorithmE0ELj4294967295EEENS1_25partition_config_selectorILNS1_17partition_subalgoE3EjNS0_10empty_typeEbEEZZNS1_14partition_implILS8_3ELb0ES6_jNS0_17counting_iteratorIjlEEPS9_SE_NS0_5tupleIJPjSE_EEENSF_IJSE_SE_EEES9_SG_JZNS1_25segmented_radix_sort_implINS0_14default_configELb1EPKsPsPKlPlN2at6native12_GLOBAL__N_18offset_tEEE10hipError_tPvRmT1_PNSt15iterator_traitsISY_E10value_typeET2_T3_PNSZ_IS14_E10value_typeET4_jRbjT5_S1A_jjP12ihipStream_tbEUljE_EEESV_SW_SX_S14_S18_S1A_T6_T7_T9_mT8_S1C_bDpT10_ENKUlT_T0_E_clISt17integral_constantIbLb0EES1P_EEDaS1K_S1L_EUlS1K_E_NS1_11comp_targetILNS1_3genE3ELNS1_11target_archE908ELNS1_3gpuE7ELNS1_3repE0EEENS1_30default_config_static_selectorELNS0_4arch9wavefront6targetE1EEEvSY_,"axG",@progbits,_ZN7rocprim17ROCPRIM_400000_NS6detail17trampoline_kernelINS0_13select_configILj256ELj13ELNS0_17block_load_methodE3ELS4_3ELS4_3ELNS0_20block_scan_algorithmE0ELj4294967295EEENS1_25partition_config_selectorILNS1_17partition_subalgoE3EjNS0_10empty_typeEbEEZZNS1_14partition_implILS8_3ELb0ES6_jNS0_17counting_iteratorIjlEEPS9_SE_NS0_5tupleIJPjSE_EEENSF_IJSE_SE_EEES9_SG_JZNS1_25segmented_radix_sort_implINS0_14default_configELb1EPKsPsPKlPlN2at6native12_GLOBAL__N_18offset_tEEE10hipError_tPvRmT1_PNSt15iterator_traitsISY_E10value_typeET2_T3_PNSZ_IS14_E10value_typeET4_jRbjT5_S1A_jjP12ihipStream_tbEUljE_EEESV_SW_SX_S14_S18_S1A_T6_T7_T9_mT8_S1C_bDpT10_ENKUlT_T0_E_clISt17integral_constantIbLb0EES1P_EEDaS1K_S1L_EUlS1K_E_NS1_11comp_targetILNS1_3genE3ELNS1_11target_archE908ELNS1_3gpuE7ELNS1_3repE0EEENS1_30default_config_static_selectorELNS0_4arch9wavefront6targetE1EEEvSY_,comdat
.Lfunc_end882:
	.size	_ZN7rocprim17ROCPRIM_400000_NS6detail17trampoline_kernelINS0_13select_configILj256ELj13ELNS0_17block_load_methodE3ELS4_3ELS4_3ELNS0_20block_scan_algorithmE0ELj4294967295EEENS1_25partition_config_selectorILNS1_17partition_subalgoE3EjNS0_10empty_typeEbEEZZNS1_14partition_implILS8_3ELb0ES6_jNS0_17counting_iteratorIjlEEPS9_SE_NS0_5tupleIJPjSE_EEENSF_IJSE_SE_EEES9_SG_JZNS1_25segmented_radix_sort_implINS0_14default_configELb1EPKsPsPKlPlN2at6native12_GLOBAL__N_18offset_tEEE10hipError_tPvRmT1_PNSt15iterator_traitsISY_E10value_typeET2_T3_PNSZ_IS14_E10value_typeET4_jRbjT5_S1A_jjP12ihipStream_tbEUljE_EEESV_SW_SX_S14_S18_S1A_T6_T7_T9_mT8_S1C_bDpT10_ENKUlT_T0_E_clISt17integral_constantIbLb0EES1P_EEDaS1K_S1L_EUlS1K_E_NS1_11comp_targetILNS1_3genE3ELNS1_11target_archE908ELNS1_3gpuE7ELNS1_3repE0EEENS1_30default_config_static_selectorELNS0_4arch9wavefront6targetE1EEEvSY_, .Lfunc_end882-_ZN7rocprim17ROCPRIM_400000_NS6detail17trampoline_kernelINS0_13select_configILj256ELj13ELNS0_17block_load_methodE3ELS4_3ELS4_3ELNS0_20block_scan_algorithmE0ELj4294967295EEENS1_25partition_config_selectorILNS1_17partition_subalgoE3EjNS0_10empty_typeEbEEZZNS1_14partition_implILS8_3ELb0ES6_jNS0_17counting_iteratorIjlEEPS9_SE_NS0_5tupleIJPjSE_EEENSF_IJSE_SE_EEES9_SG_JZNS1_25segmented_radix_sort_implINS0_14default_configELb1EPKsPsPKlPlN2at6native12_GLOBAL__N_18offset_tEEE10hipError_tPvRmT1_PNSt15iterator_traitsISY_E10value_typeET2_T3_PNSZ_IS14_E10value_typeET4_jRbjT5_S1A_jjP12ihipStream_tbEUljE_EEESV_SW_SX_S14_S18_S1A_T6_T7_T9_mT8_S1C_bDpT10_ENKUlT_T0_E_clISt17integral_constantIbLb0EES1P_EEDaS1K_S1L_EUlS1K_E_NS1_11comp_targetILNS1_3genE3ELNS1_11target_archE908ELNS1_3gpuE7ELNS1_3repE0EEENS1_30default_config_static_selectorELNS0_4arch9wavefront6targetE1EEEvSY_
                                        ; -- End function
	.set _ZN7rocprim17ROCPRIM_400000_NS6detail17trampoline_kernelINS0_13select_configILj256ELj13ELNS0_17block_load_methodE3ELS4_3ELS4_3ELNS0_20block_scan_algorithmE0ELj4294967295EEENS1_25partition_config_selectorILNS1_17partition_subalgoE3EjNS0_10empty_typeEbEEZZNS1_14partition_implILS8_3ELb0ES6_jNS0_17counting_iteratorIjlEEPS9_SE_NS0_5tupleIJPjSE_EEENSF_IJSE_SE_EEES9_SG_JZNS1_25segmented_radix_sort_implINS0_14default_configELb1EPKsPsPKlPlN2at6native12_GLOBAL__N_18offset_tEEE10hipError_tPvRmT1_PNSt15iterator_traitsISY_E10value_typeET2_T3_PNSZ_IS14_E10value_typeET4_jRbjT5_S1A_jjP12ihipStream_tbEUljE_EEESV_SW_SX_S14_S18_S1A_T6_T7_T9_mT8_S1C_bDpT10_ENKUlT_T0_E_clISt17integral_constantIbLb0EES1P_EEDaS1K_S1L_EUlS1K_E_NS1_11comp_targetILNS1_3genE3ELNS1_11target_archE908ELNS1_3gpuE7ELNS1_3repE0EEENS1_30default_config_static_selectorELNS0_4arch9wavefront6targetE1EEEvSY_.num_vgpr, 0
	.set _ZN7rocprim17ROCPRIM_400000_NS6detail17trampoline_kernelINS0_13select_configILj256ELj13ELNS0_17block_load_methodE3ELS4_3ELS4_3ELNS0_20block_scan_algorithmE0ELj4294967295EEENS1_25partition_config_selectorILNS1_17partition_subalgoE3EjNS0_10empty_typeEbEEZZNS1_14partition_implILS8_3ELb0ES6_jNS0_17counting_iteratorIjlEEPS9_SE_NS0_5tupleIJPjSE_EEENSF_IJSE_SE_EEES9_SG_JZNS1_25segmented_radix_sort_implINS0_14default_configELb1EPKsPsPKlPlN2at6native12_GLOBAL__N_18offset_tEEE10hipError_tPvRmT1_PNSt15iterator_traitsISY_E10value_typeET2_T3_PNSZ_IS14_E10value_typeET4_jRbjT5_S1A_jjP12ihipStream_tbEUljE_EEESV_SW_SX_S14_S18_S1A_T6_T7_T9_mT8_S1C_bDpT10_ENKUlT_T0_E_clISt17integral_constantIbLb0EES1P_EEDaS1K_S1L_EUlS1K_E_NS1_11comp_targetILNS1_3genE3ELNS1_11target_archE908ELNS1_3gpuE7ELNS1_3repE0EEENS1_30default_config_static_selectorELNS0_4arch9wavefront6targetE1EEEvSY_.num_agpr, 0
	.set _ZN7rocprim17ROCPRIM_400000_NS6detail17trampoline_kernelINS0_13select_configILj256ELj13ELNS0_17block_load_methodE3ELS4_3ELS4_3ELNS0_20block_scan_algorithmE0ELj4294967295EEENS1_25partition_config_selectorILNS1_17partition_subalgoE3EjNS0_10empty_typeEbEEZZNS1_14partition_implILS8_3ELb0ES6_jNS0_17counting_iteratorIjlEEPS9_SE_NS0_5tupleIJPjSE_EEENSF_IJSE_SE_EEES9_SG_JZNS1_25segmented_radix_sort_implINS0_14default_configELb1EPKsPsPKlPlN2at6native12_GLOBAL__N_18offset_tEEE10hipError_tPvRmT1_PNSt15iterator_traitsISY_E10value_typeET2_T3_PNSZ_IS14_E10value_typeET4_jRbjT5_S1A_jjP12ihipStream_tbEUljE_EEESV_SW_SX_S14_S18_S1A_T6_T7_T9_mT8_S1C_bDpT10_ENKUlT_T0_E_clISt17integral_constantIbLb0EES1P_EEDaS1K_S1L_EUlS1K_E_NS1_11comp_targetILNS1_3genE3ELNS1_11target_archE908ELNS1_3gpuE7ELNS1_3repE0EEENS1_30default_config_static_selectorELNS0_4arch9wavefront6targetE1EEEvSY_.numbered_sgpr, 0
	.set _ZN7rocprim17ROCPRIM_400000_NS6detail17trampoline_kernelINS0_13select_configILj256ELj13ELNS0_17block_load_methodE3ELS4_3ELS4_3ELNS0_20block_scan_algorithmE0ELj4294967295EEENS1_25partition_config_selectorILNS1_17partition_subalgoE3EjNS0_10empty_typeEbEEZZNS1_14partition_implILS8_3ELb0ES6_jNS0_17counting_iteratorIjlEEPS9_SE_NS0_5tupleIJPjSE_EEENSF_IJSE_SE_EEES9_SG_JZNS1_25segmented_radix_sort_implINS0_14default_configELb1EPKsPsPKlPlN2at6native12_GLOBAL__N_18offset_tEEE10hipError_tPvRmT1_PNSt15iterator_traitsISY_E10value_typeET2_T3_PNSZ_IS14_E10value_typeET4_jRbjT5_S1A_jjP12ihipStream_tbEUljE_EEESV_SW_SX_S14_S18_S1A_T6_T7_T9_mT8_S1C_bDpT10_ENKUlT_T0_E_clISt17integral_constantIbLb0EES1P_EEDaS1K_S1L_EUlS1K_E_NS1_11comp_targetILNS1_3genE3ELNS1_11target_archE908ELNS1_3gpuE7ELNS1_3repE0EEENS1_30default_config_static_selectorELNS0_4arch9wavefront6targetE1EEEvSY_.num_named_barrier, 0
	.set _ZN7rocprim17ROCPRIM_400000_NS6detail17trampoline_kernelINS0_13select_configILj256ELj13ELNS0_17block_load_methodE3ELS4_3ELS4_3ELNS0_20block_scan_algorithmE0ELj4294967295EEENS1_25partition_config_selectorILNS1_17partition_subalgoE3EjNS0_10empty_typeEbEEZZNS1_14partition_implILS8_3ELb0ES6_jNS0_17counting_iteratorIjlEEPS9_SE_NS0_5tupleIJPjSE_EEENSF_IJSE_SE_EEES9_SG_JZNS1_25segmented_radix_sort_implINS0_14default_configELb1EPKsPsPKlPlN2at6native12_GLOBAL__N_18offset_tEEE10hipError_tPvRmT1_PNSt15iterator_traitsISY_E10value_typeET2_T3_PNSZ_IS14_E10value_typeET4_jRbjT5_S1A_jjP12ihipStream_tbEUljE_EEESV_SW_SX_S14_S18_S1A_T6_T7_T9_mT8_S1C_bDpT10_ENKUlT_T0_E_clISt17integral_constantIbLb0EES1P_EEDaS1K_S1L_EUlS1K_E_NS1_11comp_targetILNS1_3genE3ELNS1_11target_archE908ELNS1_3gpuE7ELNS1_3repE0EEENS1_30default_config_static_selectorELNS0_4arch9wavefront6targetE1EEEvSY_.private_seg_size, 0
	.set _ZN7rocprim17ROCPRIM_400000_NS6detail17trampoline_kernelINS0_13select_configILj256ELj13ELNS0_17block_load_methodE3ELS4_3ELS4_3ELNS0_20block_scan_algorithmE0ELj4294967295EEENS1_25partition_config_selectorILNS1_17partition_subalgoE3EjNS0_10empty_typeEbEEZZNS1_14partition_implILS8_3ELb0ES6_jNS0_17counting_iteratorIjlEEPS9_SE_NS0_5tupleIJPjSE_EEENSF_IJSE_SE_EEES9_SG_JZNS1_25segmented_radix_sort_implINS0_14default_configELb1EPKsPsPKlPlN2at6native12_GLOBAL__N_18offset_tEEE10hipError_tPvRmT1_PNSt15iterator_traitsISY_E10value_typeET2_T3_PNSZ_IS14_E10value_typeET4_jRbjT5_S1A_jjP12ihipStream_tbEUljE_EEESV_SW_SX_S14_S18_S1A_T6_T7_T9_mT8_S1C_bDpT10_ENKUlT_T0_E_clISt17integral_constantIbLb0EES1P_EEDaS1K_S1L_EUlS1K_E_NS1_11comp_targetILNS1_3genE3ELNS1_11target_archE908ELNS1_3gpuE7ELNS1_3repE0EEENS1_30default_config_static_selectorELNS0_4arch9wavefront6targetE1EEEvSY_.uses_vcc, 0
	.set _ZN7rocprim17ROCPRIM_400000_NS6detail17trampoline_kernelINS0_13select_configILj256ELj13ELNS0_17block_load_methodE3ELS4_3ELS4_3ELNS0_20block_scan_algorithmE0ELj4294967295EEENS1_25partition_config_selectorILNS1_17partition_subalgoE3EjNS0_10empty_typeEbEEZZNS1_14partition_implILS8_3ELb0ES6_jNS0_17counting_iteratorIjlEEPS9_SE_NS0_5tupleIJPjSE_EEENSF_IJSE_SE_EEES9_SG_JZNS1_25segmented_radix_sort_implINS0_14default_configELb1EPKsPsPKlPlN2at6native12_GLOBAL__N_18offset_tEEE10hipError_tPvRmT1_PNSt15iterator_traitsISY_E10value_typeET2_T3_PNSZ_IS14_E10value_typeET4_jRbjT5_S1A_jjP12ihipStream_tbEUljE_EEESV_SW_SX_S14_S18_S1A_T6_T7_T9_mT8_S1C_bDpT10_ENKUlT_T0_E_clISt17integral_constantIbLb0EES1P_EEDaS1K_S1L_EUlS1K_E_NS1_11comp_targetILNS1_3genE3ELNS1_11target_archE908ELNS1_3gpuE7ELNS1_3repE0EEENS1_30default_config_static_selectorELNS0_4arch9wavefront6targetE1EEEvSY_.uses_flat_scratch, 0
	.set _ZN7rocprim17ROCPRIM_400000_NS6detail17trampoline_kernelINS0_13select_configILj256ELj13ELNS0_17block_load_methodE3ELS4_3ELS4_3ELNS0_20block_scan_algorithmE0ELj4294967295EEENS1_25partition_config_selectorILNS1_17partition_subalgoE3EjNS0_10empty_typeEbEEZZNS1_14partition_implILS8_3ELb0ES6_jNS0_17counting_iteratorIjlEEPS9_SE_NS0_5tupleIJPjSE_EEENSF_IJSE_SE_EEES9_SG_JZNS1_25segmented_radix_sort_implINS0_14default_configELb1EPKsPsPKlPlN2at6native12_GLOBAL__N_18offset_tEEE10hipError_tPvRmT1_PNSt15iterator_traitsISY_E10value_typeET2_T3_PNSZ_IS14_E10value_typeET4_jRbjT5_S1A_jjP12ihipStream_tbEUljE_EEESV_SW_SX_S14_S18_S1A_T6_T7_T9_mT8_S1C_bDpT10_ENKUlT_T0_E_clISt17integral_constantIbLb0EES1P_EEDaS1K_S1L_EUlS1K_E_NS1_11comp_targetILNS1_3genE3ELNS1_11target_archE908ELNS1_3gpuE7ELNS1_3repE0EEENS1_30default_config_static_selectorELNS0_4arch9wavefront6targetE1EEEvSY_.has_dyn_sized_stack, 0
	.set _ZN7rocprim17ROCPRIM_400000_NS6detail17trampoline_kernelINS0_13select_configILj256ELj13ELNS0_17block_load_methodE3ELS4_3ELS4_3ELNS0_20block_scan_algorithmE0ELj4294967295EEENS1_25partition_config_selectorILNS1_17partition_subalgoE3EjNS0_10empty_typeEbEEZZNS1_14partition_implILS8_3ELb0ES6_jNS0_17counting_iteratorIjlEEPS9_SE_NS0_5tupleIJPjSE_EEENSF_IJSE_SE_EEES9_SG_JZNS1_25segmented_radix_sort_implINS0_14default_configELb1EPKsPsPKlPlN2at6native12_GLOBAL__N_18offset_tEEE10hipError_tPvRmT1_PNSt15iterator_traitsISY_E10value_typeET2_T3_PNSZ_IS14_E10value_typeET4_jRbjT5_S1A_jjP12ihipStream_tbEUljE_EEESV_SW_SX_S14_S18_S1A_T6_T7_T9_mT8_S1C_bDpT10_ENKUlT_T0_E_clISt17integral_constantIbLb0EES1P_EEDaS1K_S1L_EUlS1K_E_NS1_11comp_targetILNS1_3genE3ELNS1_11target_archE908ELNS1_3gpuE7ELNS1_3repE0EEENS1_30default_config_static_selectorELNS0_4arch9wavefront6targetE1EEEvSY_.has_recursion, 0
	.set _ZN7rocprim17ROCPRIM_400000_NS6detail17trampoline_kernelINS0_13select_configILj256ELj13ELNS0_17block_load_methodE3ELS4_3ELS4_3ELNS0_20block_scan_algorithmE0ELj4294967295EEENS1_25partition_config_selectorILNS1_17partition_subalgoE3EjNS0_10empty_typeEbEEZZNS1_14partition_implILS8_3ELb0ES6_jNS0_17counting_iteratorIjlEEPS9_SE_NS0_5tupleIJPjSE_EEENSF_IJSE_SE_EEES9_SG_JZNS1_25segmented_radix_sort_implINS0_14default_configELb1EPKsPsPKlPlN2at6native12_GLOBAL__N_18offset_tEEE10hipError_tPvRmT1_PNSt15iterator_traitsISY_E10value_typeET2_T3_PNSZ_IS14_E10value_typeET4_jRbjT5_S1A_jjP12ihipStream_tbEUljE_EEESV_SW_SX_S14_S18_S1A_T6_T7_T9_mT8_S1C_bDpT10_ENKUlT_T0_E_clISt17integral_constantIbLb0EES1P_EEDaS1K_S1L_EUlS1K_E_NS1_11comp_targetILNS1_3genE3ELNS1_11target_archE908ELNS1_3gpuE7ELNS1_3repE0EEENS1_30default_config_static_selectorELNS0_4arch9wavefront6targetE1EEEvSY_.has_indirect_call, 0
	.section	.AMDGPU.csdata,"",@progbits
; Kernel info:
; codeLenInByte = 0
; TotalNumSgprs: 4
; NumVgprs: 0
; ScratchSize: 0
; MemoryBound: 0
; FloatMode: 240
; IeeeMode: 1
; LDSByteSize: 0 bytes/workgroup (compile time only)
; SGPRBlocks: 0
; VGPRBlocks: 0
; NumSGPRsForWavesPerEU: 4
; NumVGPRsForWavesPerEU: 1
; Occupancy: 10
; WaveLimiterHint : 0
; COMPUTE_PGM_RSRC2:SCRATCH_EN: 0
; COMPUTE_PGM_RSRC2:USER_SGPR: 6
; COMPUTE_PGM_RSRC2:TRAP_HANDLER: 0
; COMPUTE_PGM_RSRC2:TGID_X_EN: 1
; COMPUTE_PGM_RSRC2:TGID_Y_EN: 0
; COMPUTE_PGM_RSRC2:TGID_Z_EN: 0
; COMPUTE_PGM_RSRC2:TIDIG_COMP_CNT: 0
	.section	.text._ZN7rocprim17ROCPRIM_400000_NS6detail17trampoline_kernelINS0_13select_configILj256ELj13ELNS0_17block_load_methodE3ELS4_3ELS4_3ELNS0_20block_scan_algorithmE0ELj4294967295EEENS1_25partition_config_selectorILNS1_17partition_subalgoE3EjNS0_10empty_typeEbEEZZNS1_14partition_implILS8_3ELb0ES6_jNS0_17counting_iteratorIjlEEPS9_SE_NS0_5tupleIJPjSE_EEENSF_IJSE_SE_EEES9_SG_JZNS1_25segmented_radix_sort_implINS0_14default_configELb1EPKsPsPKlPlN2at6native12_GLOBAL__N_18offset_tEEE10hipError_tPvRmT1_PNSt15iterator_traitsISY_E10value_typeET2_T3_PNSZ_IS14_E10value_typeET4_jRbjT5_S1A_jjP12ihipStream_tbEUljE_EEESV_SW_SX_S14_S18_S1A_T6_T7_T9_mT8_S1C_bDpT10_ENKUlT_T0_E_clISt17integral_constantIbLb0EES1P_EEDaS1K_S1L_EUlS1K_E_NS1_11comp_targetILNS1_3genE2ELNS1_11target_archE906ELNS1_3gpuE6ELNS1_3repE0EEENS1_30default_config_static_selectorELNS0_4arch9wavefront6targetE1EEEvSY_,"axG",@progbits,_ZN7rocprim17ROCPRIM_400000_NS6detail17trampoline_kernelINS0_13select_configILj256ELj13ELNS0_17block_load_methodE3ELS4_3ELS4_3ELNS0_20block_scan_algorithmE0ELj4294967295EEENS1_25partition_config_selectorILNS1_17partition_subalgoE3EjNS0_10empty_typeEbEEZZNS1_14partition_implILS8_3ELb0ES6_jNS0_17counting_iteratorIjlEEPS9_SE_NS0_5tupleIJPjSE_EEENSF_IJSE_SE_EEES9_SG_JZNS1_25segmented_radix_sort_implINS0_14default_configELb1EPKsPsPKlPlN2at6native12_GLOBAL__N_18offset_tEEE10hipError_tPvRmT1_PNSt15iterator_traitsISY_E10value_typeET2_T3_PNSZ_IS14_E10value_typeET4_jRbjT5_S1A_jjP12ihipStream_tbEUljE_EEESV_SW_SX_S14_S18_S1A_T6_T7_T9_mT8_S1C_bDpT10_ENKUlT_T0_E_clISt17integral_constantIbLb0EES1P_EEDaS1K_S1L_EUlS1K_E_NS1_11comp_targetILNS1_3genE2ELNS1_11target_archE906ELNS1_3gpuE6ELNS1_3repE0EEENS1_30default_config_static_selectorELNS0_4arch9wavefront6targetE1EEEvSY_,comdat
	.globl	_ZN7rocprim17ROCPRIM_400000_NS6detail17trampoline_kernelINS0_13select_configILj256ELj13ELNS0_17block_load_methodE3ELS4_3ELS4_3ELNS0_20block_scan_algorithmE0ELj4294967295EEENS1_25partition_config_selectorILNS1_17partition_subalgoE3EjNS0_10empty_typeEbEEZZNS1_14partition_implILS8_3ELb0ES6_jNS0_17counting_iteratorIjlEEPS9_SE_NS0_5tupleIJPjSE_EEENSF_IJSE_SE_EEES9_SG_JZNS1_25segmented_radix_sort_implINS0_14default_configELb1EPKsPsPKlPlN2at6native12_GLOBAL__N_18offset_tEEE10hipError_tPvRmT1_PNSt15iterator_traitsISY_E10value_typeET2_T3_PNSZ_IS14_E10value_typeET4_jRbjT5_S1A_jjP12ihipStream_tbEUljE_EEESV_SW_SX_S14_S18_S1A_T6_T7_T9_mT8_S1C_bDpT10_ENKUlT_T0_E_clISt17integral_constantIbLb0EES1P_EEDaS1K_S1L_EUlS1K_E_NS1_11comp_targetILNS1_3genE2ELNS1_11target_archE906ELNS1_3gpuE6ELNS1_3repE0EEENS1_30default_config_static_selectorELNS0_4arch9wavefront6targetE1EEEvSY_ ; -- Begin function _ZN7rocprim17ROCPRIM_400000_NS6detail17trampoline_kernelINS0_13select_configILj256ELj13ELNS0_17block_load_methodE3ELS4_3ELS4_3ELNS0_20block_scan_algorithmE0ELj4294967295EEENS1_25partition_config_selectorILNS1_17partition_subalgoE3EjNS0_10empty_typeEbEEZZNS1_14partition_implILS8_3ELb0ES6_jNS0_17counting_iteratorIjlEEPS9_SE_NS0_5tupleIJPjSE_EEENSF_IJSE_SE_EEES9_SG_JZNS1_25segmented_radix_sort_implINS0_14default_configELb1EPKsPsPKlPlN2at6native12_GLOBAL__N_18offset_tEEE10hipError_tPvRmT1_PNSt15iterator_traitsISY_E10value_typeET2_T3_PNSZ_IS14_E10value_typeET4_jRbjT5_S1A_jjP12ihipStream_tbEUljE_EEESV_SW_SX_S14_S18_S1A_T6_T7_T9_mT8_S1C_bDpT10_ENKUlT_T0_E_clISt17integral_constantIbLb0EES1P_EEDaS1K_S1L_EUlS1K_E_NS1_11comp_targetILNS1_3genE2ELNS1_11target_archE906ELNS1_3gpuE6ELNS1_3repE0EEENS1_30default_config_static_selectorELNS0_4arch9wavefront6targetE1EEEvSY_
	.p2align	8
	.type	_ZN7rocprim17ROCPRIM_400000_NS6detail17trampoline_kernelINS0_13select_configILj256ELj13ELNS0_17block_load_methodE3ELS4_3ELS4_3ELNS0_20block_scan_algorithmE0ELj4294967295EEENS1_25partition_config_selectorILNS1_17partition_subalgoE3EjNS0_10empty_typeEbEEZZNS1_14partition_implILS8_3ELb0ES6_jNS0_17counting_iteratorIjlEEPS9_SE_NS0_5tupleIJPjSE_EEENSF_IJSE_SE_EEES9_SG_JZNS1_25segmented_radix_sort_implINS0_14default_configELb1EPKsPsPKlPlN2at6native12_GLOBAL__N_18offset_tEEE10hipError_tPvRmT1_PNSt15iterator_traitsISY_E10value_typeET2_T3_PNSZ_IS14_E10value_typeET4_jRbjT5_S1A_jjP12ihipStream_tbEUljE_EEESV_SW_SX_S14_S18_S1A_T6_T7_T9_mT8_S1C_bDpT10_ENKUlT_T0_E_clISt17integral_constantIbLb0EES1P_EEDaS1K_S1L_EUlS1K_E_NS1_11comp_targetILNS1_3genE2ELNS1_11target_archE906ELNS1_3gpuE6ELNS1_3repE0EEENS1_30default_config_static_selectorELNS0_4arch9wavefront6targetE1EEEvSY_,@function
_ZN7rocprim17ROCPRIM_400000_NS6detail17trampoline_kernelINS0_13select_configILj256ELj13ELNS0_17block_load_methodE3ELS4_3ELS4_3ELNS0_20block_scan_algorithmE0ELj4294967295EEENS1_25partition_config_selectorILNS1_17partition_subalgoE3EjNS0_10empty_typeEbEEZZNS1_14partition_implILS8_3ELb0ES6_jNS0_17counting_iteratorIjlEEPS9_SE_NS0_5tupleIJPjSE_EEENSF_IJSE_SE_EEES9_SG_JZNS1_25segmented_radix_sort_implINS0_14default_configELb1EPKsPsPKlPlN2at6native12_GLOBAL__N_18offset_tEEE10hipError_tPvRmT1_PNSt15iterator_traitsISY_E10value_typeET2_T3_PNSZ_IS14_E10value_typeET4_jRbjT5_S1A_jjP12ihipStream_tbEUljE_EEESV_SW_SX_S14_S18_S1A_T6_T7_T9_mT8_S1C_bDpT10_ENKUlT_T0_E_clISt17integral_constantIbLb0EES1P_EEDaS1K_S1L_EUlS1K_E_NS1_11comp_targetILNS1_3genE2ELNS1_11target_archE906ELNS1_3gpuE6ELNS1_3repE0EEENS1_30default_config_static_selectorELNS0_4arch9wavefront6targetE1EEEvSY_: ; @_ZN7rocprim17ROCPRIM_400000_NS6detail17trampoline_kernelINS0_13select_configILj256ELj13ELNS0_17block_load_methodE3ELS4_3ELS4_3ELNS0_20block_scan_algorithmE0ELj4294967295EEENS1_25partition_config_selectorILNS1_17partition_subalgoE3EjNS0_10empty_typeEbEEZZNS1_14partition_implILS8_3ELb0ES6_jNS0_17counting_iteratorIjlEEPS9_SE_NS0_5tupleIJPjSE_EEENSF_IJSE_SE_EEES9_SG_JZNS1_25segmented_radix_sort_implINS0_14default_configELb1EPKsPsPKlPlN2at6native12_GLOBAL__N_18offset_tEEE10hipError_tPvRmT1_PNSt15iterator_traitsISY_E10value_typeET2_T3_PNSZ_IS14_E10value_typeET4_jRbjT5_S1A_jjP12ihipStream_tbEUljE_EEESV_SW_SX_S14_S18_S1A_T6_T7_T9_mT8_S1C_bDpT10_ENKUlT_T0_E_clISt17integral_constantIbLb0EES1P_EEDaS1K_S1L_EUlS1K_E_NS1_11comp_targetILNS1_3genE2ELNS1_11target_archE906ELNS1_3gpuE6ELNS1_3repE0EEENS1_30default_config_static_selectorELNS0_4arch9wavefront6targetE1EEEvSY_
; %bb.0:
	s_load_dwordx2 s[28:29], s[4:5], 0x58
	s_load_dwordx4 s[24:27], s[4:5], 0x48
	s_load_dword s12, s[4:5], 0x8
	s_load_dwordx2 s[30:31], s[4:5], 0x10
	s_load_dword s0, s[4:5], 0x70
	s_load_dword s7, s[4:5], 0x88
	s_load_dwordx4 s[8:11], s[4:5], 0x78
	s_waitcnt lgkmcnt(0)
	s_load_dwordx2 s[34:35], s[26:27], 0x0
	s_mul_i32 s44, s6, 0xd00
	s_add_i32 s2, s0, -1
	s_mulk_i32 s0, 0xd00
	s_add_i32 s1, s0, s30
	s_sub_i32 s33, s28, s1
	s_addk_i32 s33, 0xd00
	s_add_u32 s0, s30, s0
	s_addc_u32 s1, s31, 0
	v_mov_b32_e32 v2, s1
	v_mov_b32_e32 v1, s0
	s_cmp_eq_u32 s6, s2
	v_cmp_gt_u64_e32 vcc, s[28:29], v[1:2]
	s_cselect_b64 s[22:23], -1, 0
	s_cmp_lg_u32 s6, s2
	s_cselect_b64 s[0:1], -1, 0
	s_add_i32 s12, s12, s44
	s_or_b64 s[2:3], s[0:1], vcc
	s_add_i32 s12, s12, s30
	s_mov_b64 s[0:1], -1
	s_and_b64 vcc, exec, s[2:3]
	v_add_u32_e32 v1, s12, v0
	v_lshlrev_b32_e32 v23, 2, v0
	s_cbranch_vccz .LBB883_2
; %bb.1:
	v_add_u32_e32 v2, 0x100, v1
	v_add_u32_e32 v3, 0x200, v1
	;; [unrolled: 1-line block ×12, first 2 shown]
	ds_write2st64_b32 v23, v1, v2 offset1:4
	ds_write2st64_b32 v23, v3, v4 offset0:8 offset1:12
	ds_write2st64_b32 v23, v5, v6 offset0:16 offset1:20
	;; [unrolled: 1-line block ×5, first 2 shown]
	ds_write_b32 v23, v13 offset:12288
	s_waitcnt lgkmcnt(0)
	s_barrier
	s_mov_b64 s[0:1], 0
.LBB883_2:
	s_andn2_b64 vcc, exec, s[0:1]
	v_cmp_gt_u32_e64 s[0:1], s33, v0
	s_cbranch_vccnz .LBB883_4
; %bb.3:
	v_or_b32_e32 v2, 0x100, v0
	v_add_u32_e32 v3, s12, v2
	v_cmp_gt_u32_e32 vcc, s33, v2
	v_cndmask_b32_e32 v2, 0, v3, vcc
	v_or_b32_e32 v3, 0x200, v0
	v_add_u32_e32 v4, s12, v3
	v_cmp_gt_u32_e32 vcc, s33, v3
	v_cndmask_b32_e32 v3, 0, v4, vcc
	;; [unrolled: 4-line block ×11, first 2 shown]
	v_or_b32_e32 v13, 0xc00, v0
	v_cndmask_b32_e64 v1, 0, v1, s[0:1]
	v_add_u32_e32 v14, s12, v13
	v_cmp_gt_u32_e32 vcc, s33, v13
	v_cndmask_b32_e32 v13, 0, v14, vcc
	ds_write2st64_b32 v23, v1, v2 offset1:4
	ds_write2st64_b32 v23, v3, v4 offset0:8 offset1:12
	ds_write2st64_b32 v23, v5, v6 offset0:16 offset1:20
	ds_write2st64_b32 v23, v7, v8 offset0:24 offset1:28
	ds_write2st64_b32 v23, v9, v10 offset0:32 offset1:36
	ds_write2st64_b32 v23, v11, v12 offset0:40 offset1:44
	ds_write_b32 v23, v13 offset:12288
	s_waitcnt lgkmcnt(0)
	s_barrier
.LBB883_4:
	v_mul_u32_u24_e32 v25, 13, v0
	v_lshlrev_b32_e32 v1, 2, v25
	s_waitcnt lgkmcnt(0)
	ds_read2_b32 v[13:14], v1 offset1:1
	ds_read2_b32 v[11:12], v1 offset0:2 offset1:3
	ds_read2_b32 v[9:10], v1 offset0:4 offset1:5
	;; [unrolled: 1-line block ×5, first 2 shown]
	ds_read_b32 v24, v1 offset:48
	v_cndmask_b32_e64 v1, 0, 1, s[2:3]
	v_cmp_ne_u32_e64 s[0:1], 1, v1
	s_andn2_b64 vcc, exec, s[2:3]
	s_waitcnt lgkmcnt(0)
	s_barrier
	s_cbranch_vccnz .LBB883_6
; %bb.5:
	v_add_u32_e32 v1, s9, v13
	v_add_u32_e32 v2, s11, v13
	v_mul_lo_u32 v1, v1, s8
	v_mul_lo_u32 v2, v2, s10
	v_add_u32_e32 v15, s9, v11
	v_add_u32_e32 v16, s11, v11
	v_mul_lo_u32 v15, v15, s8
	v_sub_u32_e32 v1, v1, v2
	v_cmp_lt_u32_e32 vcc, s7, v1
	v_add_u32_e32 v1, s9, v14
	v_add_u32_e32 v2, s11, v14
	v_mul_lo_u32 v1, v1, s8
	v_mul_lo_u32 v2, v2, s10
	;; [unrolled: 1-line block ×3, first 2 shown]
	v_cndmask_b32_e64 v26, 0, 1, vcc
	v_sub_u32_e32 v1, v1, v2
	v_cmp_lt_u32_e32 vcc, s7, v1
	v_sub_u32_e32 v1, v15, v16
	v_cndmask_b32_e64 v27, 0, 1, vcc
	v_cmp_lt_u32_e32 vcc, s7, v1
	v_add_u32_e32 v1, s9, v12
	v_add_u32_e32 v2, s11, v12
	v_mul_lo_u32 v1, v1, s8
	v_mul_lo_u32 v2, v2, s10
	v_add_u32_e32 v15, s9, v9
	v_add_u32_e32 v16, s11, v9
	v_mul_lo_u32 v15, v15, s8
	v_mul_lo_u32 v16, v16, s10
	v_sub_u32_e32 v1, v1, v2
	v_cndmask_b32_e64 v28, 0, 1, vcc
	v_cmp_lt_u32_e32 vcc, s7, v1
	v_sub_u32_e32 v1, v15, v16
	v_cndmask_b32_e64 v29, 0, 1, vcc
	v_cmp_lt_u32_e32 vcc, s7, v1
	v_add_u32_e32 v1, s9, v10
	v_add_u32_e32 v2, s11, v10
	v_mul_lo_u32 v1, v1, s8
	v_mul_lo_u32 v2, v2, s10
	v_add_u32_e32 v15, s9, v7
	v_add_u32_e32 v16, s11, v7
	v_mul_lo_u32 v15, v15, s8
	v_mul_lo_u32 v16, v16, s10
	v_sub_u32_e32 v1, v1, v2
	v_cndmask_b32_e64 v30, 0, 1, vcc
	v_cmp_lt_u32_e32 vcc, s7, v1
	v_sub_u32_e32 v1, v15, v16
	v_cndmask_b32_e64 v31, 0, 1, vcc
	v_cmp_lt_u32_e32 vcc, s7, v1
	v_add_u32_e32 v1, s9, v8
	v_add_u32_e32 v2, s11, v8
	v_mul_lo_u32 v1, v1, s8
	v_mul_lo_u32 v2, v2, s10
	v_add_u32_e32 v15, s9, v5
	v_add_u32_e32 v16, s11, v5
	v_mul_lo_u32 v15, v15, s8
	v_mul_lo_u32 v16, v16, s10
	v_sub_u32_e32 v1, v1, v2
	v_cndmask_b32_e64 v32, 0, 1, vcc
	v_cmp_lt_u32_e32 vcc, s7, v1
	v_sub_u32_e32 v1, v15, v16
	v_cndmask_b32_e64 v33, 0, 1, vcc
	v_cmp_lt_u32_e32 vcc, s7, v1
	v_add_u32_e32 v1, s9, v6
	v_add_u32_e32 v2, s11, v6
	v_mul_lo_u32 v1, v1, s8
	v_mul_lo_u32 v2, v2, s10
	v_add_u32_e32 v15, s9, v3
	v_add_u32_e32 v16, s11, v3
	v_mul_lo_u32 v15, v15, s8
	v_mul_lo_u32 v16, v16, s10
	v_sub_u32_e32 v1, v1, v2
	v_cndmask_b32_e64 v34, 0, 1, vcc
	v_cmp_lt_u32_e32 vcc, s7, v1
	v_sub_u32_e32 v1, v15, v16
	v_cndmask_b32_e64 v35, 0, 1, vcc
	v_cmp_lt_u32_e32 vcc, s7, v1
	v_add_u32_e32 v1, s9, v4
	v_add_u32_e32 v2, s11, v4
	v_mul_lo_u32 v1, v1, s8
	v_mul_lo_u32 v2, v2, s10
	v_add_u32_e32 v15, s9, v24
	v_add_u32_e32 v16, s11, v24
	v_mul_lo_u32 v15, v15, s8
	v_mul_lo_u32 v16, v16, s10
	v_sub_u32_e32 v1, v1, v2
	v_cndmask_b32_e64 v36, 0, 1, vcc
	v_cmp_lt_u32_e32 vcc, s7, v1
	v_sub_u32_e32 v1, v15, v16
	v_cndmask_b32_e64 v37, 0, 1, vcc
	v_cmp_lt_u32_e64 s[38:39], s7, v1
	s_load_dwordx2 s[26:27], s[4:5], 0x28
	s_load_dwordx2 s[36:37], s[4:5], 0x68
	s_cbranch_execz .LBB883_7
	s_branch .LBB883_34
.LBB883_6:
                                        ; implicit-def: $sgpr38_sgpr39
                                        ; implicit-def: $vgpr37
                                        ; implicit-def: $vgpr36
                                        ; implicit-def: $vgpr35
                                        ; implicit-def: $vgpr34
                                        ; implicit-def: $vgpr33
                                        ; implicit-def: $vgpr32
                                        ; implicit-def: $vgpr31
                                        ; implicit-def: $vgpr30
                                        ; implicit-def: $vgpr26
                                        ; implicit-def: $vgpr27
                                        ; implicit-def: $vgpr28
                                        ; implicit-def: $vgpr29
	s_load_dwordx2 s[26:27], s[4:5], 0x28
	s_load_dwordx2 s[36:37], s[4:5], 0x68
.LBB883_7:
	v_cmp_gt_u32_e32 vcc, s33, v25
	v_mov_b32_e32 v27, 0
	v_mov_b32_e32 v26, 0
	s_and_saveexec_b64 s[2:3], vcc
	s_cbranch_execz .LBB883_9
; %bb.8:
	v_add_u32_e32 v1, s9, v13
	v_add_u32_e32 v2, s11, v13
	v_mul_lo_u32 v1, v1, s8
	v_mul_lo_u32 v2, v2, s10
	v_sub_u32_e32 v1, v1, v2
	v_cmp_lt_u32_e32 vcc, s7, v1
	v_cndmask_b32_e64 v26, 0, 1, vcc
.LBB883_9:
	s_or_b64 exec, exec, s[2:3]
	v_add_u32_e32 v1, 1, v25
	v_cmp_gt_u32_e32 vcc, s33, v1
	s_and_saveexec_b64 s[2:3], vcc
	s_cbranch_execz .LBB883_11
; %bb.10:
	v_add_u32_e32 v1, s9, v14
	v_add_u32_e32 v2, s11, v14
	v_mul_lo_u32 v1, v1, s8
	v_mul_lo_u32 v2, v2, s10
	v_sub_u32_e32 v1, v1, v2
	v_cmp_lt_u32_e32 vcc, s7, v1
	v_cndmask_b32_e64 v27, 0, 1, vcc
.LBB883_11:
	s_or_b64 exec, exec, s[2:3]
	v_add_u32_e32 v1, 2, v25
	v_cmp_gt_u32_e32 vcc, s33, v1
	v_mov_b32_e32 v29, 0
	v_mov_b32_e32 v28, 0
	s_and_saveexec_b64 s[2:3], vcc
	s_cbranch_execz .LBB883_13
; %bb.12:
	v_add_u32_e32 v1, s9, v11
	v_add_u32_e32 v2, s11, v11
	v_mul_lo_u32 v1, v1, s8
	v_mul_lo_u32 v2, v2, s10
	v_sub_u32_e32 v1, v1, v2
	v_cmp_lt_u32_e32 vcc, s7, v1
	v_cndmask_b32_e64 v28, 0, 1, vcc
.LBB883_13:
	s_or_b64 exec, exec, s[2:3]
	v_add_u32_e32 v1, 3, v25
	v_cmp_gt_u32_e32 vcc, s33, v1
	s_and_saveexec_b64 s[2:3], vcc
	s_cbranch_execz .LBB883_15
; %bb.14:
	v_add_u32_e32 v1, s9, v12
	v_add_u32_e32 v2, s11, v12
	v_mul_lo_u32 v1, v1, s8
	v_mul_lo_u32 v2, v2, s10
	v_sub_u32_e32 v1, v1, v2
	v_cmp_lt_u32_e32 vcc, s7, v1
	v_cndmask_b32_e64 v29, 0, 1, vcc
.LBB883_15:
	s_or_b64 exec, exec, s[2:3]
	v_add_u32_e32 v1, 4, v25
	;; [unrolled: 30-line block ×6, first 2 shown]
	v_cmp_gt_u32_e32 vcc, s33, v1
	s_mov_b64 s[38:39], 0
	s_and_saveexec_b64 s[2:3], vcc
	s_cbranch_execz .LBB883_33
; %bb.32:
	v_add_u32_e32 v1, s9, v24
	v_add_u32_e32 v2, s11, v24
	v_mul_lo_u32 v1, v1, s8
	v_mul_lo_u32 v2, v2, s10
	v_sub_u32_e32 v1, v1, v2
	v_cmp_lt_u32_e32 vcc, s7, v1
	s_and_b64 s[38:39], vcc, exec
.LBB883_33:
	s_or_b64 exec, exec, s[2:3]
.LBB883_34:
	v_and_b32_e32 v40, 0xff, v27
	v_and_b32_e32 v41, 0xff, v28
	;; [unrolled: 1-line block ×5, first 2 shown]
	v_add3_u32 v2, v41, v42, v40
	v_and_b32_e32 v44, 0xff, v31
	v_and_b32_e32 v45, 0xff, v32
	v_add3_u32 v2, v2, v39, v43
	v_and_b32_e32 v46, 0xff, v33
	v_and_b32_e32 v47, 0xff, v34
	v_add3_u32 v2, v2, v44, v45
	v_and_b32_e32 v48, 0xff, v35
	v_and_b32_e32 v49, 0xff, v36
	v_add3_u32 v2, v2, v46, v47
	v_and_b32_e32 v38, 0xff, v37
	v_cndmask_b32_e64 v1, 0, 1, s[38:39]
	v_add3_u32 v2, v2, v48, v49
	v_add3_u32 v52, v2, v38, v1
	v_mbcnt_lo_u32_b32 v1, -1, 0
	v_mbcnt_hi_u32_b32 v50, -1, v1
	v_and_b32_e32 v1, 15, v50
	v_cmp_eq_u32_e64 s[14:15], 0, v1
	v_cmp_lt_u32_e64 s[12:13], 1, v1
	v_cmp_lt_u32_e64 s[10:11], 3, v1
	;; [unrolled: 1-line block ×3, first 2 shown]
	v_and_b32_e32 v1, 16, v50
	v_cmp_eq_u32_e64 s[18:19], 0, v1
	v_or_b32_e32 v1, 63, v0
	s_cmp_lg_u32 s6, 0
	v_cmp_lt_u32_e64 s[2:3], 31, v50
	v_lshrrev_b32_e32 v51, 6, v0
	v_cmp_eq_u32_e64 s[4:5], v0, v1
	s_cbranch_scc0 .LBB883_56
; %bb.35:
	v_mov_b32_dpp v1, v52 row_shr:1 row_mask:0xf bank_mask:0xf
	v_cndmask_b32_e64 v1, v1, 0, s[14:15]
	v_add_u32_e32 v1, v1, v52
	s_nop 1
	v_mov_b32_dpp v2, v1 row_shr:2 row_mask:0xf bank_mask:0xf
	v_cndmask_b32_e64 v2, 0, v2, s[12:13]
	v_add_u32_e32 v1, v1, v2
	s_nop 1
	;; [unrolled: 4-line block ×4, first 2 shown]
	v_mov_b32_dpp v2, v1 row_bcast:15 row_mask:0xf bank_mask:0xf
	v_cndmask_b32_e64 v2, v2, 0, s[18:19]
	v_add_u32_e32 v1, v1, v2
	s_nop 1
	v_mov_b32_dpp v2, v1 row_bcast:31 row_mask:0xf bank_mask:0xf
	v_cndmask_b32_e64 v2, 0, v2, s[2:3]
	v_add_u32_e32 v1, v1, v2
	s_and_saveexec_b64 s[16:17], s[4:5]
; %bb.36:
	v_lshlrev_b32_e32 v2, 2, v51
	ds_write_b32 v2, v1
; %bb.37:
	s_or_b64 exec, exec, s[16:17]
	v_cmp_gt_u32_e32 vcc, 4, v0
	s_waitcnt lgkmcnt(0)
	s_barrier
	s_and_saveexec_b64 s[16:17], vcc
	s_cbranch_execz .LBB883_39
; %bb.38:
	ds_read_b32 v2, v23
	v_and_b32_e32 v15, 3, v50
	v_cmp_ne_u32_e32 vcc, 0, v15
	s_waitcnt lgkmcnt(0)
	v_mov_b32_dpp v16, v2 row_shr:1 row_mask:0xf bank_mask:0xf
	v_cndmask_b32_e32 v16, 0, v16, vcc
	v_add_u32_e32 v2, v16, v2
	v_cmp_lt_u32_e32 vcc, 1, v15
	s_nop 0
	v_mov_b32_dpp v16, v2 row_shr:2 row_mask:0xf bank_mask:0xf
	v_cndmask_b32_e32 v15, 0, v16, vcc
	v_add_u32_e32 v2, v2, v15
	ds_write_b32 v23, v2
.LBB883_39:
	s_or_b64 exec, exec, s[16:17]
	v_cmp_gt_u32_e32 vcc, 64, v0
	v_cmp_lt_u32_e64 s[16:17], 63, v0
	s_waitcnt lgkmcnt(0)
	s_barrier
                                        ; implicit-def: $vgpr53
	s_and_saveexec_b64 s[20:21], s[16:17]
	s_cbranch_execz .LBB883_41
; %bb.40:
	v_lshl_add_u32 v2, v51, 2, -4
	ds_read_b32 v53, v2
	s_waitcnt lgkmcnt(0)
	v_add_u32_e32 v1, v53, v1
.LBB883_41:
	s_or_b64 exec, exec, s[20:21]
	v_subrev_co_u32_e64 v2, s[16:17], 1, v50
	v_and_b32_e32 v15, 64, v50
	v_cmp_lt_i32_e64 s[20:21], v2, v15
	v_cndmask_b32_e64 v2, v2, v50, s[20:21]
	v_lshlrev_b32_e32 v2, 2, v2
	ds_bpermute_b32 v54, v2, v1
	s_and_saveexec_b64 s[20:21], vcc
	s_cbranch_execz .LBB883_61
; %bb.42:
	v_mov_b32_e32 v19, 0
	ds_read_b32 v1, v19 offset:12
	s_and_saveexec_b64 s[40:41], s[16:17]
	s_cbranch_execz .LBB883_44
; %bb.43:
	s_add_i32 s42, s6, 64
	s_mov_b32 s43, 0
	s_lshl_b64 s[42:43], s[42:43], 3
	s_add_u32 s42, s36, s42
	v_mov_b32_e32 v2, 1
	s_addc_u32 s43, s37, s43
	s_waitcnt lgkmcnt(0)
	global_store_dwordx2 v19, v[1:2], s[42:43]
.LBB883_44:
	s_or_b64 exec, exec, s[40:41]
	v_xad_u32 v15, v50, -1, s6
	v_add_u32_e32 v18, 64, v15
	v_lshlrev_b64 v[16:17], 3, v[18:19]
	v_mov_b32_e32 v2, s37
	v_add_co_u32_e32 v20, vcc, s36, v16
	v_addc_co_u32_e32 v21, vcc, v2, v17, vcc
	global_load_dwordx2 v[17:18], v[20:21], off glc
	s_waitcnt vmcnt(0)
	v_cmp_eq_u16_sdwa s[42:43], v18, v19 src0_sel:BYTE_0 src1_sel:DWORD
	s_and_saveexec_b64 s[40:41], s[42:43]
	s_cbranch_execz .LBB883_48
; %bb.45:
	s_mov_b64 s[42:43], 0
	v_mov_b32_e32 v2, 0
.LBB883_46:                             ; =>This Inner Loop Header: Depth=1
	global_load_dwordx2 v[17:18], v[20:21], off glc
	s_waitcnt vmcnt(0)
	v_cmp_ne_u16_sdwa s[46:47], v18, v2 src0_sel:BYTE_0 src1_sel:DWORD
	s_or_b64 s[42:43], s[46:47], s[42:43]
	s_andn2_b64 exec, exec, s[42:43]
	s_cbranch_execnz .LBB883_46
; %bb.47:
	s_or_b64 exec, exec, s[42:43]
.LBB883_48:
	s_or_b64 exec, exec, s[40:41]
	v_and_b32_e32 v56, 63, v50
	v_mov_b32_e32 v55, 2
	v_lshlrev_b64 v[19:20], v50, -1
	v_cmp_ne_u32_e32 vcc, 63, v56
	v_cmp_eq_u16_sdwa s[40:41], v18, v55 src0_sel:BYTE_0 src1_sel:DWORD
	v_addc_co_u32_e32 v21, vcc, 0, v50, vcc
	v_and_b32_e32 v2, s41, v20
	v_lshlrev_b32_e32 v57, 2, v21
	v_or_b32_e32 v2, 0x80000000, v2
	ds_bpermute_b32 v21, v57, v17
	v_and_b32_e32 v16, s40, v19
	v_ffbl_b32_e32 v2, v2
	v_add_u32_e32 v2, 32, v2
	v_ffbl_b32_e32 v16, v16
	v_min_u32_e32 v2, v16, v2
	v_cmp_lt_u32_e32 vcc, v56, v2
	s_waitcnt lgkmcnt(0)
	v_cndmask_b32_e32 v16, 0, v21, vcc
	v_cmp_gt_u32_e32 vcc, 62, v56
	v_add_u32_e32 v16, v16, v17
	v_cndmask_b32_e64 v17, 0, 2, vcc
	v_add_lshl_u32 v58, v17, v50, 2
	ds_bpermute_b32 v17, v58, v16
	v_add_u32_e32 v59, 2, v56
	v_cmp_le_u32_e32 vcc, v59, v2
	v_add_u32_e32 v61, 4, v56
	v_add_u32_e32 v63, 8, v56
	s_waitcnt lgkmcnt(0)
	v_cndmask_b32_e32 v17, 0, v17, vcc
	v_cmp_gt_u32_e32 vcc, 60, v56
	v_add_u32_e32 v16, v16, v17
	v_cndmask_b32_e64 v17, 0, 4, vcc
	v_add_lshl_u32 v60, v17, v50, 2
	ds_bpermute_b32 v17, v60, v16
	v_cmp_le_u32_e32 vcc, v61, v2
	v_add_u32_e32 v65, 16, v56
	v_add_u32_e32 v67, 32, v56
	s_waitcnt lgkmcnt(0)
	v_cndmask_b32_e32 v17, 0, v17, vcc
	v_cmp_gt_u32_e32 vcc, 56, v56
	v_add_u32_e32 v16, v16, v17
	v_cndmask_b32_e64 v17, 0, 8, vcc
	v_add_lshl_u32 v62, v17, v50, 2
	ds_bpermute_b32 v17, v62, v16
	v_cmp_le_u32_e32 vcc, v63, v2
	s_waitcnt lgkmcnt(0)
	v_cndmask_b32_e32 v17, 0, v17, vcc
	v_cmp_gt_u32_e32 vcc, 48, v56
	v_add_u32_e32 v16, v16, v17
	v_cndmask_b32_e64 v17, 0, 16, vcc
	v_add_lshl_u32 v64, v17, v50, 2
	ds_bpermute_b32 v17, v64, v16
	v_cmp_le_u32_e32 vcc, v65, v2
	s_waitcnt lgkmcnt(0)
	v_cndmask_b32_e32 v17, 0, v17, vcc
	v_add_u32_e32 v16, v16, v17
	v_mov_b32_e32 v17, 0x80
	v_lshl_or_b32 v66, v50, 2, v17
	ds_bpermute_b32 v17, v66, v16
	v_cmp_le_u32_e32 vcc, v67, v2
	s_waitcnt lgkmcnt(0)
	v_cndmask_b32_e32 v2, 0, v17, vcc
	v_add_u32_e32 v17, v16, v2
	v_mov_b32_e32 v16, 0
	s_branch .LBB883_52
.LBB883_49:                             ;   in Loop: Header=BB883_52 Depth=1
	s_or_b64 exec, exec, s[42:43]
.LBB883_50:                             ;   in Loop: Header=BB883_52 Depth=1
	s_or_b64 exec, exec, s[40:41]
	v_cmp_eq_u16_sdwa s[40:41], v18, v55 src0_sel:BYTE_0 src1_sel:DWORD
	v_and_b32_e32 v21, s41, v20
	v_or_b32_e32 v21, 0x80000000, v21
	ds_bpermute_b32 v68, v57, v17
	v_and_b32_e32 v22, s40, v19
	v_ffbl_b32_e32 v21, v21
	v_add_u32_e32 v21, 32, v21
	v_ffbl_b32_e32 v22, v22
	v_min_u32_e32 v21, v22, v21
	v_cmp_lt_u32_e32 vcc, v56, v21
	s_waitcnt lgkmcnt(0)
	v_cndmask_b32_e32 v22, 0, v68, vcc
	v_add_u32_e32 v17, v22, v17
	ds_bpermute_b32 v22, v58, v17
	v_cmp_le_u32_e32 vcc, v59, v21
	v_subrev_u32_e32 v15, 64, v15
	s_mov_b64 s[40:41], 0
	s_waitcnt lgkmcnt(0)
	v_cndmask_b32_e32 v22, 0, v22, vcc
	v_add_u32_e32 v17, v17, v22
	ds_bpermute_b32 v22, v60, v17
	v_cmp_le_u32_e32 vcc, v61, v21
	s_waitcnt lgkmcnt(0)
	v_cndmask_b32_e32 v22, 0, v22, vcc
	v_add_u32_e32 v17, v17, v22
	ds_bpermute_b32 v22, v62, v17
	v_cmp_le_u32_e32 vcc, v63, v21
	;; [unrolled: 5-line block ×4, first 2 shown]
	s_waitcnt lgkmcnt(0)
	v_cndmask_b32_e32 v21, 0, v22, vcc
	v_add3_u32 v17, v21, v2, v17
.LBB883_51:                             ;   in Loop: Header=BB883_52 Depth=1
	s_and_b64 vcc, exec, s[40:41]
	s_cbranch_vccnz .LBB883_57
.LBB883_52:                             ; =>This Loop Header: Depth=1
                                        ;     Child Loop BB883_55 Depth 2
	v_cmp_ne_u16_sdwa s[40:41], v18, v55 src0_sel:BYTE_0 src1_sel:DWORD
	v_mov_b32_e32 v2, v17
	s_cmp_lg_u64 s[40:41], exec
	s_mov_b64 s[40:41], -1
                                        ; implicit-def: $vgpr17
                                        ; implicit-def: $vgpr18
	s_cbranch_scc1 .LBB883_51
; %bb.53:                               ;   in Loop: Header=BB883_52 Depth=1
	v_lshlrev_b64 v[17:18], 3, v[15:16]
	v_mov_b32_e32 v22, s37
	v_add_co_u32_e32 v21, vcc, s36, v17
	v_addc_co_u32_e32 v22, vcc, v22, v18, vcc
	global_load_dwordx2 v[17:18], v[21:22], off glc
	s_waitcnt vmcnt(0)
	v_cmp_eq_u16_sdwa s[42:43], v18, v16 src0_sel:BYTE_0 src1_sel:DWORD
	s_and_saveexec_b64 s[40:41], s[42:43]
	s_cbranch_execz .LBB883_50
; %bb.54:                               ;   in Loop: Header=BB883_52 Depth=1
	s_mov_b64 s[42:43], 0
.LBB883_55:                             ;   Parent Loop BB883_52 Depth=1
                                        ; =>  This Inner Loop Header: Depth=2
	global_load_dwordx2 v[17:18], v[21:22], off glc
	s_waitcnt vmcnt(0)
	v_cmp_ne_u16_sdwa s[46:47], v18, v16 src0_sel:BYTE_0 src1_sel:DWORD
	s_or_b64 s[42:43], s[46:47], s[42:43]
	s_andn2_b64 exec, exec, s[42:43]
	s_cbranch_execnz .LBB883_55
	s_branch .LBB883_49
.LBB883_56:
                                        ; implicit-def: $vgpr2
                                        ; implicit-def: $vgpr15
	s_cbranch_execnz .LBB883_62
	s_branch .LBB883_71
.LBB883_57:
	s_and_saveexec_b64 s[40:41], s[16:17]
	s_cbranch_execz .LBB883_59
; %bb.58:
	s_add_i32 s6, s6, 64
	s_mov_b32 s7, 0
	s_lshl_b64 s[6:7], s[6:7], 3
	s_add_u32 s6, s36, s6
	v_add_u32_e32 v15, v2, v1
	v_mov_b32_e32 v16, 2
	s_addc_u32 s7, s37, s7
	v_mov_b32_e32 v17, 0
	global_store_dwordx2 v17, v[15:16], s[6:7]
	ds_write_b64 v17, v[1:2] offset:13312
.LBB883_59:
	s_or_b64 exec, exec, s[40:41]
	v_cmp_eq_u32_e32 vcc, 0, v0
	s_and_b64 exec, exec, vcc
; %bb.60:
	v_mov_b32_e32 v1, 0
	ds_write_b32 v1, v2 offset:12
.LBB883_61:
	s_or_b64 exec, exec, s[20:21]
	v_mov_b32_e32 v1, 0
	s_waitcnt vmcnt(0) lgkmcnt(0)
	s_barrier
	ds_read_b32 v16, v1 offset:12
	s_waitcnt lgkmcnt(0)
	s_barrier
	ds_read_b64 v[1:2], v1 offset:13312
	v_cndmask_b32_e64 v15, v54, v53, s[16:17]
	v_cmp_ne_u32_e32 vcc, 0, v0
	v_cndmask_b32_e32 v15, 0, v15, vcc
	v_add_u32_e32 v15, v16, v15
	s_branch .LBB883_71
.LBB883_62:
	s_waitcnt lgkmcnt(0)
	v_mov_b32_dpp v1, v52 row_shr:1 row_mask:0xf bank_mask:0xf
	v_cndmask_b32_e64 v1, v1, 0, s[14:15]
	v_add_u32_e32 v1, v1, v52
	s_nop 1
	v_mov_b32_dpp v2, v1 row_shr:2 row_mask:0xf bank_mask:0xf
	v_cndmask_b32_e64 v2, 0, v2, s[12:13]
	v_add_u32_e32 v1, v1, v2
	s_nop 1
	;; [unrolled: 4-line block ×4, first 2 shown]
	v_mov_b32_dpp v2, v1 row_bcast:15 row_mask:0xf bank_mask:0xf
	v_cndmask_b32_e64 v2, v2, 0, s[18:19]
	v_add_u32_e32 v1, v1, v2
	s_nop 1
	v_mov_b32_dpp v2, v1 row_bcast:31 row_mask:0xf bank_mask:0xf
	v_cndmask_b32_e64 v2, 0, v2, s[2:3]
	v_add_u32_e32 v1, v1, v2
	s_and_saveexec_b64 s[2:3], s[4:5]
; %bb.63:
	v_lshlrev_b32_e32 v2, 2, v51
	ds_write_b32 v2, v1
; %bb.64:
	s_or_b64 exec, exec, s[2:3]
	v_cmp_gt_u32_e32 vcc, 4, v0
	s_waitcnt lgkmcnt(0)
	s_barrier
	s_and_saveexec_b64 s[2:3], vcc
	s_cbranch_execz .LBB883_66
; %bb.65:
	ds_read_b32 v2, v23
	v_and_b32_e32 v15, 3, v50
	v_cmp_ne_u32_e32 vcc, 0, v15
	s_waitcnt lgkmcnt(0)
	v_mov_b32_dpp v16, v2 row_shr:1 row_mask:0xf bank_mask:0xf
	v_cndmask_b32_e32 v16, 0, v16, vcc
	v_add_u32_e32 v2, v16, v2
	v_cmp_lt_u32_e32 vcc, 1, v15
	s_nop 0
	v_mov_b32_dpp v16, v2 row_shr:2 row_mask:0xf bank_mask:0xf
	v_cndmask_b32_e32 v15, 0, v16, vcc
	v_add_u32_e32 v2, v2, v15
	ds_write_b32 v23, v2
.LBB883_66:
	s_or_b64 exec, exec, s[2:3]
	v_cmp_lt_u32_e32 vcc, 63, v0
	v_mov_b32_e32 v2, 0
	v_mov_b32_e32 v15, 0
	s_waitcnt lgkmcnt(0)
	s_barrier
	s_and_saveexec_b64 s[2:3], vcc
; %bb.67:
	v_lshl_add_u32 v15, v51, 2, -4
	ds_read_b32 v15, v15
; %bb.68:
	s_or_b64 exec, exec, s[2:3]
	v_subrev_co_u32_e32 v16, vcc, 1, v50
	v_and_b32_e32 v17, 64, v50
	v_cmp_lt_i32_e64 s[2:3], v16, v17
	v_cndmask_b32_e64 v16, v16, v50, s[2:3]
	s_waitcnt lgkmcnt(0)
	v_add_u32_e32 v1, v15, v1
	v_lshlrev_b32_e32 v16, 2, v16
	ds_bpermute_b32 v16, v16, v1
	ds_read_b32 v1, v2 offset:12
	v_cmp_eq_u32_e64 s[2:3], 0, v0
	s_and_saveexec_b64 s[4:5], s[2:3]
	s_cbranch_execz .LBB883_70
; %bb.69:
	v_mov_b32_e32 v17, 0
	v_mov_b32_e32 v2, 2
	s_waitcnt lgkmcnt(0)
	global_store_dwordx2 v17, v[1:2], s[36:37] offset:512
.LBB883_70:
	s_or_b64 exec, exec, s[4:5]
	s_waitcnt lgkmcnt(1)
	v_cndmask_b32_e32 v2, v16, v15, vcc
	v_cndmask_b32_e64 v15, v2, 0, s[2:3]
	s_waitcnt vmcnt(0) lgkmcnt(0)
	s_barrier
	v_mov_b32_e32 v2, 0
.LBB883_71:
	v_add_u32_e32 v16, v15, v39
	v_add_u32_e32 v17, v16, v40
	;; [unrolled: 1-line block ×4, first 2 shown]
	s_waitcnt lgkmcnt(0)
	v_add_u32_e32 v25, v1, v25
	v_sub_u32_e32 v15, v15, v2
	v_and_b32_e32 v26, 1, v26
	v_add_u32_e32 v20, v19, v43
	v_sub_u32_e32 v43, v25, v15
	v_cmp_eq_u32_e32 vcc, 1, v26
	v_cndmask_b32_e32 v15, v43, v15, vcc
	v_lshlrev_b32_e32 v15, 2, v15
	ds_write_b32 v15, v13
	v_sub_u32_e32 v13, v16, v2
	v_sub_u32_e32 v15, v25, v13
	v_and_b32_e32 v16, 1, v27
	v_add_u32_e32 v15, 1, v15
	v_cmp_eq_u32_e32 vcc, 1, v16
	v_cndmask_b32_e32 v13, v15, v13, vcc
	v_lshlrev_b32_e32 v13, 2, v13
	ds_write_b32 v13, v14
	v_sub_u32_e32 v13, v17, v2
	v_sub_u32_e32 v14, v25, v13
	v_and_b32_e32 v15, 1, v28
	v_add_u32_e32 v14, 2, v14
	;; [unrolled: 8-line block ×5, first 2 shown]
	v_cmp_eq_u32_e32 vcc, 1, v12
	v_cndmask_b32_e32 v9, v11, v9, vcc
	v_add_u32_e32 v21, v20, v44
	v_lshlrev_b32_e32 v9, 2, v9
	ds_write_b32 v9, v10
	v_sub_u32_e32 v9, v21, v2
	v_sub_u32_e32 v10, v25, v9
	v_and_b32_e32 v11, 1, v32
	v_add_u32_e32 v10, 6, v10
	v_cmp_eq_u32_e32 vcc, 1, v11
	v_cndmask_b32_e32 v9, v10, v9, vcc
	v_add_u32_e32 v22, v21, v45
	v_lshlrev_b32_e32 v9, 2, v9
	ds_write_b32 v9, v7
	v_sub_u32_e32 v7, v22, v2
	v_sub_u32_e32 v9, v25, v7
	v_and_b32_e32 v10, 1, v33
	v_add_u32_e32 v9, 7, v9
	;; [unrolled: 9-line block ×6, first 2 shown]
	v_cmp_eq_u32_e32 vcc, 1, v6
	v_cndmask_b32_e32 v3, v5, v3, vcc
	v_lshlrev_b32_e32 v3, 2, v3
	ds_write_b32 v3, v4
	v_sub_u32_e32 v3, v38, v2
	v_add_u32_e32 v3, v42, v3
	v_sub_u32_e32 v4, v25, v3
	v_add_u32_e32 v4, 12, v4
	v_cndmask_b32_e64 v3, v4, v3, s[38:39]
	v_lshlrev_b32_e32 v3, 2, v3
	ds_write_b32 v3, v24
	s_waitcnt lgkmcnt(0)
	s_barrier
	ds_read2st64_b32 v[13:14], v23 offset1:4
	ds_read2st64_b32 v[11:12], v23 offset0:8 offset1:12
	ds_read2st64_b32 v[9:10], v23 offset0:16 offset1:20
	;; [unrolled: 1-line block ×5, first 2 shown]
	ds_read_b32 v19, v23 offset:12288
	v_mov_b32_e32 v15, s35
	s_and_b64 vcc, exec, s[0:1]
	v_add_co_u32_e64 v17, s[0:1], s34, v2
	v_or_b32_e32 v33, 0x100, v0
	v_or_b32_e32 v31, 0x200, v0
	;; [unrolled: 1-line block ×12, first 2 shown]
	v_addc_co_u32_e64 v18, s[0:1], 0, v15, s[0:1]
	s_cbranch_vccnz .LBB883_125
; %bb.72:
	v_mov_b32_e32 v2, s31
	v_subrev_co_u32_e32 v15, vcc, s30, v17
	s_sub_u32 s0, s28, s44
	v_subb_co_u32_e32 v16, vcc, v18, v2, vcc
	s_subb_u32 s1, s29, 0
	v_mov_b32_e32 v2, s1
	v_add_co_u32_e32 v23, vcc, s0, v1
	v_addc_co_u32_e32 v32, vcc, 0, v2, vcc
	v_add_co_u32_e32 v2, vcc, v23, v15
	v_addc_co_u32_e32 v23, vcc, v32, v16, vcc
	v_cmp_ge_u32_e32 vcc, v0, v1
                                        ; implicit-def: $vgpr15_vgpr16
	s_and_saveexec_b64 s[0:1], vcc
	s_xor_b64 s[0:1], exec, s[0:1]
; %bb.73:
	v_not_b32_e32 v15, v0
	v_ashrrev_i32_e32 v16, 31, v15
	v_add_co_u32_e32 v15, vcc, v2, v15
	v_addc_co_u32_e32 v16, vcc, v23, v16, vcc
; %bb.74:
	s_andn2_saveexec_b64 s[0:1], s[0:1]
; %bb.75:
	v_add_co_u32_e32 v15, vcc, v17, v0
	v_addc_co_u32_e32 v16, vcc, 0, v18, vcc
; %bb.76:
	s_or_b64 exec, exec, s[0:1]
	v_lshlrev_b64 v[15:16], 2, v[15:16]
	v_mov_b32_e32 v32, s27
	v_add_co_u32_e32 v15, vcc, s26, v15
	v_addc_co_u32_e32 v16, vcc, v32, v16, vcc
	v_cmp_ge_u32_e32 vcc, v33, v1
	s_waitcnt lgkmcnt(6)
	global_store_dword v[15:16], v13, off
                                        ; implicit-def: $vgpr15_vgpr16
	s_and_saveexec_b64 s[0:1], vcc
	s_xor_b64 s[0:1], exec, s[0:1]
; %bb.77:
	v_xor_b32_e32 v15, 0xfffffeff, v0
	v_ashrrev_i32_e32 v16, 31, v15
	v_add_co_u32_e32 v15, vcc, v2, v15
	v_addc_co_u32_e32 v16, vcc, v23, v16, vcc
; %bb.78:
	s_andn2_saveexec_b64 s[0:1], s[0:1]
; %bb.79:
	v_add_co_u32_e32 v15, vcc, v17, v33
	v_addc_co_u32_e32 v16, vcc, 0, v18, vcc
; %bb.80:
	s_or_b64 exec, exec, s[0:1]
	v_lshlrev_b64 v[15:16], 2, v[15:16]
	v_mov_b32_e32 v32, s27
	v_add_co_u32_e32 v15, vcc, s26, v15
	v_addc_co_u32_e32 v16, vcc, v32, v16, vcc
	v_cmp_ge_u32_e32 vcc, v31, v1
	global_store_dword v[15:16], v14, off
                                        ; implicit-def: $vgpr15_vgpr16
	s_and_saveexec_b64 s[0:1], vcc
	s_xor_b64 s[0:1], exec, s[0:1]
; %bb.81:
	v_xor_b32_e32 v15, 0xfffffdff, v0
	v_ashrrev_i32_e32 v16, 31, v15
	v_add_co_u32_e32 v15, vcc, v2, v15
	v_addc_co_u32_e32 v16, vcc, v23, v16, vcc
; %bb.82:
	s_andn2_saveexec_b64 s[0:1], s[0:1]
; %bb.83:
	v_add_co_u32_e32 v15, vcc, v17, v31
	v_addc_co_u32_e32 v16, vcc, 0, v18, vcc
; %bb.84:
	s_or_b64 exec, exec, s[0:1]
	v_lshlrev_b64 v[15:16], 2, v[15:16]
	v_mov_b32_e32 v32, s27
	v_add_co_u32_e32 v15, vcc, s26, v15
	v_addc_co_u32_e32 v16, vcc, v32, v16, vcc
	v_cmp_ge_u32_e32 vcc, v30, v1
	s_waitcnt lgkmcnt(5)
	global_store_dword v[15:16], v11, off
                                        ; implicit-def: $vgpr15_vgpr16
	s_and_saveexec_b64 s[0:1], vcc
	s_xor_b64 s[0:1], exec, s[0:1]
; %bb.85:
	v_xor_b32_e32 v15, 0xfffffcff, v0
	v_ashrrev_i32_e32 v16, 31, v15
	v_add_co_u32_e32 v15, vcc, v2, v15
	v_addc_co_u32_e32 v16, vcc, v23, v16, vcc
; %bb.86:
	s_andn2_saveexec_b64 s[0:1], s[0:1]
; %bb.87:
	v_add_co_u32_e32 v15, vcc, v17, v30
	v_addc_co_u32_e32 v16, vcc, 0, v18, vcc
; %bb.88:
	s_or_b64 exec, exec, s[0:1]
	v_lshlrev_b64 v[15:16], 2, v[15:16]
	v_mov_b32_e32 v32, s27
	v_add_co_u32_e32 v15, vcc, s26, v15
	v_addc_co_u32_e32 v16, vcc, v32, v16, vcc
	v_cmp_ge_u32_e32 vcc, v29, v1
	global_store_dword v[15:16], v12, off
                                        ; implicit-def: $vgpr15_vgpr16
	s_and_saveexec_b64 s[0:1], vcc
	s_xor_b64 s[0:1], exec, s[0:1]
; %bb.89:
	v_xor_b32_e32 v15, 0xfffffbff, v0
	;; [unrolled: 43-line block ×6, first 2 shown]
	v_ashrrev_i32_e32 v16, 31, v15
	v_add_co_u32_e32 v15, vcc, v2, v15
	v_addc_co_u32_e32 v16, vcc, v23, v16, vcc
; %bb.122:
	s_andn2_saveexec_b64 s[0:1], s[0:1]
; %bb.123:
	v_add_co_u32_e32 v15, vcc, v17, v20
	v_addc_co_u32_e32 v16, vcc, 0, v18, vcc
; %bb.124:
	s_or_b64 exec, exec, s[0:1]
	s_mov_b64 s[0:1], -1
	s_branch .LBB883_205
.LBB883_125:
	s_mov_b64 s[0:1], 0
                                        ; implicit-def: $vgpr15_vgpr16
	s_cbranch_execz .LBB883_205
; %bb.126:
	s_add_u32 s2, s30, s44
	s_addc_u32 s3, s31, 0
	s_sub_u32 s2, s28, s2
	s_subb_u32 s3, s29, s3
	v_mov_b32_e32 v2, s3
	v_add_co_u32_e32 v15, vcc, s2, v1
	v_addc_co_u32_e32 v2, vcc, 0, v2, vcc
	v_add_co_u32_e32 v23, vcc, v15, v17
	v_addc_co_u32_e32 v32, vcc, v2, v18, vcc
	v_cmp_gt_u32_e32 vcc, s33, v0
	s_and_saveexec_b64 s[2:3], vcc
	s_cbranch_execz .LBB883_162
; %bb.127:
	v_cmp_ge_u32_e32 vcc, v0, v1
                                        ; implicit-def: $vgpr15_vgpr16
	s_and_saveexec_b64 s[4:5], vcc
	s_xor_b64 s[4:5], exec, s[4:5]
; %bb.128:
	v_not_b32_e32 v2, v0
	v_ashrrev_i32_e32 v16, 31, v2
	v_add_co_u32_e32 v15, vcc, v23, v2
	v_addc_co_u32_e32 v16, vcc, v32, v16, vcc
; %bb.129:
	s_andn2_saveexec_b64 s[4:5], s[4:5]
; %bb.130:
	v_add_co_u32_e32 v15, vcc, v17, v0
	v_addc_co_u32_e32 v16, vcc, 0, v18, vcc
; %bb.131:
	s_or_b64 exec, exec, s[4:5]
	v_lshlrev_b64 v[15:16], 2, v[15:16]
	v_mov_b32_e32 v2, s27
	v_add_co_u32_e32 v15, vcc, s26, v15
	v_addc_co_u32_e32 v16, vcc, v2, v16, vcc
	s_waitcnt lgkmcnt(6)
	global_store_dword v[15:16], v13, off
	s_or_b64 exec, exec, s[2:3]
	v_cmp_gt_u32_e32 vcc, s33, v33
	s_and_saveexec_b64 s[2:3], vcc
	s_cbranch_execnz .LBB883_163
.LBB883_132:
	s_or_b64 exec, exec, s[2:3]
	v_cmp_gt_u32_e32 vcc, s33, v31
	s_and_saveexec_b64 s[2:3], vcc
	s_cbranch_execz .LBB883_168
.LBB883_133:
	v_cmp_ge_u32_e32 vcc, v31, v1
                                        ; implicit-def: $vgpr13_vgpr14
	s_and_saveexec_b64 s[4:5], vcc
	s_xor_b64 s[4:5], exec, s[4:5]
	s_cbranch_execz .LBB883_135
; %bb.134:
	v_xor_b32_e32 v2, 0xfffffdff, v0
	s_waitcnt lgkmcnt(6)
	v_ashrrev_i32_e32 v14, 31, v2
	v_add_co_u32_e32 v13, vcc, v23, v2
	v_addc_co_u32_e32 v14, vcc, v32, v14, vcc
                                        ; implicit-def: $vgpr31
.LBB883_135:
	s_andn2_saveexec_b64 s[4:5], s[4:5]
	s_cbranch_execz .LBB883_137
; %bb.136:
	s_waitcnt lgkmcnt(6)
	v_add_co_u32_e32 v13, vcc, v17, v31
	v_addc_co_u32_e32 v14, vcc, 0, v18, vcc
.LBB883_137:
	s_or_b64 exec, exec, s[4:5]
	s_waitcnt lgkmcnt(6)
	v_lshlrev_b64 v[13:14], 2, v[13:14]
	v_mov_b32_e32 v2, s27
	v_add_co_u32_e32 v13, vcc, s26, v13
	v_addc_co_u32_e32 v14, vcc, v2, v14, vcc
	s_waitcnt lgkmcnt(5)
	global_store_dword v[13:14], v11, off
	s_or_b64 exec, exec, s[2:3]
	v_cmp_gt_u32_e32 vcc, s33, v30
	s_and_saveexec_b64 s[2:3], vcc
	s_cbranch_execnz .LBB883_169
.LBB883_138:
	s_or_b64 exec, exec, s[2:3]
	v_cmp_gt_u32_e32 vcc, s33, v29
	s_and_saveexec_b64 s[2:3], vcc
	s_cbranch_execz .LBB883_174
.LBB883_139:
	v_cmp_ge_u32_e32 vcc, v29, v1
                                        ; implicit-def: $vgpr11_vgpr12
	s_and_saveexec_b64 s[4:5], vcc
	s_xor_b64 s[4:5], exec, s[4:5]
	s_cbranch_execz .LBB883_141
; %bb.140:
	v_xor_b32_e32 v2, 0xfffffbff, v0
	s_waitcnt lgkmcnt(5)
	v_ashrrev_i32_e32 v12, 31, v2
	v_add_co_u32_e32 v11, vcc, v23, v2
	v_addc_co_u32_e32 v12, vcc, v32, v12, vcc
                                        ; implicit-def: $vgpr29
.LBB883_141:
	s_andn2_saveexec_b64 s[4:5], s[4:5]
	s_cbranch_execz .LBB883_143
; %bb.142:
	s_waitcnt lgkmcnt(5)
	v_add_co_u32_e32 v11, vcc, v17, v29
	v_addc_co_u32_e32 v12, vcc, 0, v18, vcc
.LBB883_143:
	s_or_b64 exec, exec, s[4:5]
	s_waitcnt lgkmcnt(5)
	v_lshlrev_b64 v[11:12], 2, v[11:12]
	v_mov_b32_e32 v2, s27
	v_add_co_u32_e32 v11, vcc, s26, v11
	v_addc_co_u32_e32 v12, vcc, v2, v12, vcc
	s_waitcnt lgkmcnt(4)
	global_store_dword v[11:12], v9, off
	s_or_b64 exec, exec, s[2:3]
	v_cmp_gt_u32_e32 vcc, s33, v28
	s_and_saveexec_b64 s[2:3], vcc
	s_cbranch_execnz .LBB883_175
.LBB883_144:
	s_or_b64 exec, exec, s[2:3]
	v_cmp_gt_u32_e32 vcc, s33, v27
	s_and_saveexec_b64 s[2:3], vcc
	s_cbranch_execz .LBB883_180
.LBB883_145:
	v_cmp_ge_u32_e32 vcc, v27, v1
                                        ; implicit-def: $vgpr9_vgpr10
	s_and_saveexec_b64 s[4:5], vcc
	s_xor_b64 s[4:5], exec, s[4:5]
	s_cbranch_execz .LBB883_147
; %bb.146:
	v_xor_b32_e32 v2, 0xfffff9ff, v0
	s_waitcnt lgkmcnt(4)
	v_ashrrev_i32_e32 v10, 31, v2
	v_add_co_u32_e32 v9, vcc, v23, v2
	v_addc_co_u32_e32 v10, vcc, v32, v10, vcc
                                        ; implicit-def: $vgpr27
.LBB883_147:
	s_andn2_saveexec_b64 s[4:5], s[4:5]
	s_cbranch_execz .LBB883_149
; %bb.148:
	s_waitcnt lgkmcnt(4)
	v_add_co_u32_e32 v9, vcc, v17, v27
	v_addc_co_u32_e32 v10, vcc, 0, v18, vcc
.LBB883_149:
	s_or_b64 exec, exec, s[4:5]
	s_waitcnt lgkmcnt(4)
	v_lshlrev_b64 v[9:10], 2, v[9:10]
	v_mov_b32_e32 v2, s27
	v_add_co_u32_e32 v9, vcc, s26, v9
	v_addc_co_u32_e32 v10, vcc, v2, v10, vcc
	s_waitcnt lgkmcnt(3)
	global_store_dword v[9:10], v7, off
	s_or_b64 exec, exec, s[2:3]
	v_cmp_gt_u32_e32 vcc, s33, v26
	s_and_saveexec_b64 s[2:3], vcc
	s_cbranch_execnz .LBB883_181
.LBB883_150:
	s_or_b64 exec, exec, s[2:3]
	v_cmp_gt_u32_e32 vcc, s33, v25
	s_and_saveexec_b64 s[2:3], vcc
	s_cbranch_execz .LBB883_186
.LBB883_151:
	v_cmp_ge_u32_e32 vcc, v25, v1
                                        ; implicit-def: $vgpr7_vgpr8
	s_and_saveexec_b64 s[4:5], vcc
	s_xor_b64 s[4:5], exec, s[4:5]
	s_cbranch_execz .LBB883_153
; %bb.152:
	v_xor_b32_e32 v2, 0xfffff7ff, v0
	s_waitcnt lgkmcnt(3)
	v_ashrrev_i32_e32 v8, 31, v2
	v_add_co_u32_e32 v7, vcc, v23, v2
	v_addc_co_u32_e32 v8, vcc, v32, v8, vcc
                                        ; implicit-def: $vgpr25
.LBB883_153:
	s_andn2_saveexec_b64 s[4:5], s[4:5]
	s_cbranch_execz .LBB883_155
; %bb.154:
	s_waitcnt lgkmcnt(3)
	v_add_co_u32_e32 v7, vcc, v17, v25
	v_addc_co_u32_e32 v8, vcc, 0, v18, vcc
.LBB883_155:
	s_or_b64 exec, exec, s[4:5]
	s_waitcnt lgkmcnt(3)
	v_lshlrev_b64 v[7:8], 2, v[7:8]
	v_mov_b32_e32 v2, s27
	v_add_co_u32_e32 v7, vcc, s26, v7
	v_addc_co_u32_e32 v8, vcc, v2, v8, vcc
	s_waitcnt lgkmcnt(2)
	global_store_dword v[7:8], v5, off
	s_or_b64 exec, exec, s[2:3]
	v_cmp_gt_u32_e32 vcc, s33, v24
	s_and_saveexec_b64 s[2:3], vcc
	s_cbranch_execnz .LBB883_187
.LBB883_156:
	s_or_b64 exec, exec, s[2:3]
	v_cmp_gt_u32_e32 vcc, s33, v22
	s_and_saveexec_b64 s[2:3], vcc
	s_cbranch_execz .LBB883_192
.LBB883_157:
	v_cmp_ge_u32_e32 vcc, v22, v1
                                        ; implicit-def: $vgpr5_vgpr6
	s_and_saveexec_b64 s[4:5], vcc
	s_xor_b64 s[4:5], exec, s[4:5]
	s_cbranch_execz .LBB883_159
; %bb.158:
	v_xor_b32_e32 v2, 0xfffff5ff, v0
	s_waitcnt lgkmcnt(2)
	v_ashrrev_i32_e32 v6, 31, v2
	v_add_co_u32_e32 v5, vcc, v23, v2
	v_addc_co_u32_e32 v6, vcc, v32, v6, vcc
                                        ; implicit-def: $vgpr22
.LBB883_159:
	s_andn2_saveexec_b64 s[4:5], s[4:5]
	s_cbranch_execz .LBB883_161
; %bb.160:
	s_waitcnt lgkmcnt(2)
	v_add_co_u32_e32 v5, vcc, v17, v22
	v_addc_co_u32_e32 v6, vcc, 0, v18, vcc
.LBB883_161:
	s_or_b64 exec, exec, s[4:5]
	s_waitcnt lgkmcnt(2)
	v_lshlrev_b64 v[5:6], 2, v[5:6]
	v_mov_b32_e32 v2, s27
	v_add_co_u32_e32 v5, vcc, s26, v5
	v_addc_co_u32_e32 v6, vcc, v2, v6, vcc
	s_waitcnt lgkmcnt(1)
	global_store_dword v[5:6], v3, off
	s_or_b64 exec, exec, s[2:3]
	v_cmp_gt_u32_e32 vcc, s33, v21
	s_and_saveexec_b64 s[2:3], vcc
	s_cbranch_execz .LBB883_198
	s_branch .LBB883_193
.LBB883_162:
	s_or_b64 exec, exec, s[2:3]
	v_cmp_gt_u32_e32 vcc, s33, v33
	s_and_saveexec_b64 s[2:3], vcc
	s_cbranch_execz .LBB883_132
.LBB883_163:
	v_cmp_ge_u32_e32 vcc, v33, v1
                                        ; implicit-def: $vgpr15_vgpr16
	s_and_saveexec_b64 s[4:5], vcc
	s_xor_b64 s[4:5], exec, s[4:5]
	s_cbranch_execz .LBB883_165
; %bb.164:
	v_xor_b32_e32 v2, 0xfffffeff, v0
	s_waitcnt lgkmcnt(6)
	v_ashrrev_i32_e32 v13, 31, v2
	v_add_co_u32_e32 v15, vcc, v23, v2
	v_addc_co_u32_e32 v16, vcc, v32, v13, vcc
                                        ; implicit-def: $vgpr33
.LBB883_165:
	s_andn2_saveexec_b64 s[4:5], s[4:5]
; %bb.166:
	v_add_co_u32_e32 v15, vcc, v17, v33
	v_addc_co_u32_e32 v16, vcc, 0, v18, vcc
; %bb.167:
	s_or_b64 exec, exec, s[4:5]
	v_lshlrev_b64 v[15:16], 2, v[15:16]
	v_mov_b32_e32 v2, s27
	v_add_co_u32_e32 v15, vcc, s26, v15
	v_addc_co_u32_e32 v16, vcc, v2, v16, vcc
	s_waitcnt lgkmcnt(6)
	global_store_dword v[15:16], v14, off
	s_or_b64 exec, exec, s[2:3]
	v_cmp_gt_u32_e32 vcc, s33, v31
	s_and_saveexec_b64 s[2:3], vcc
	s_cbranch_execnz .LBB883_133
.LBB883_168:
	s_or_b64 exec, exec, s[2:3]
	v_cmp_gt_u32_e32 vcc, s33, v30
	s_and_saveexec_b64 s[2:3], vcc
	s_cbranch_execz .LBB883_138
.LBB883_169:
	v_cmp_ge_u32_e32 vcc, v30, v1
                                        ; implicit-def: $vgpr13_vgpr14
	s_and_saveexec_b64 s[4:5], vcc
	s_xor_b64 s[4:5], exec, s[4:5]
	s_cbranch_execz .LBB883_171
; %bb.170:
	v_xor_b32_e32 v2, 0xfffffcff, v0
	s_waitcnt lgkmcnt(5)
	v_ashrrev_i32_e32 v11, 31, v2
	v_add_co_u32_e32 v13, vcc, v23, v2
	v_addc_co_u32_e32 v14, vcc, v32, v11, vcc
                                        ; implicit-def: $vgpr30
.LBB883_171:
	s_andn2_saveexec_b64 s[4:5], s[4:5]
	s_cbranch_execz .LBB883_173
; %bb.172:
	s_waitcnt lgkmcnt(6)
	v_add_co_u32_e32 v13, vcc, v17, v30
	v_addc_co_u32_e32 v14, vcc, 0, v18, vcc
.LBB883_173:
	s_or_b64 exec, exec, s[4:5]
	s_waitcnt lgkmcnt(6)
	v_lshlrev_b64 v[13:14], 2, v[13:14]
	v_mov_b32_e32 v2, s27
	v_add_co_u32_e32 v13, vcc, s26, v13
	v_addc_co_u32_e32 v14, vcc, v2, v14, vcc
	s_waitcnt lgkmcnt(5)
	global_store_dword v[13:14], v12, off
	s_or_b64 exec, exec, s[2:3]
	v_cmp_gt_u32_e32 vcc, s33, v29
	s_and_saveexec_b64 s[2:3], vcc
	s_cbranch_execnz .LBB883_139
.LBB883_174:
	s_or_b64 exec, exec, s[2:3]
	v_cmp_gt_u32_e32 vcc, s33, v28
	s_and_saveexec_b64 s[2:3], vcc
	s_cbranch_execz .LBB883_144
.LBB883_175:
	v_cmp_ge_u32_e32 vcc, v28, v1
                                        ; implicit-def: $vgpr11_vgpr12
	s_and_saveexec_b64 s[4:5], vcc
	s_xor_b64 s[4:5], exec, s[4:5]
	s_cbranch_execz .LBB883_177
; %bb.176:
	v_xor_b32_e32 v2, 0xfffffaff, v0
	s_waitcnt lgkmcnt(4)
	v_ashrrev_i32_e32 v9, 31, v2
	v_add_co_u32_e32 v11, vcc, v23, v2
	v_addc_co_u32_e32 v12, vcc, v32, v9, vcc
                                        ; implicit-def: $vgpr28
.LBB883_177:
	s_andn2_saveexec_b64 s[4:5], s[4:5]
	s_cbranch_execz .LBB883_179
; %bb.178:
	s_waitcnt lgkmcnt(5)
	v_add_co_u32_e32 v11, vcc, v17, v28
	v_addc_co_u32_e32 v12, vcc, 0, v18, vcc
.LBB883_179:
	s_or_b64 exec, exec, s[4:5]
	s_waitcnt lgkmcnt(5)
	v_lshlrev_b64 v[11:12], 2, v[11:12]
	v_mov_b32_e32 v2, s27
	v_add_co_u32_e32 v11, vcc, s26, v11
	v_addc_co_u32_e32 v12, vcc, v2, v12, vcc
	s_waitcnt lgkmcnt(4)
	global_store_dword v[11:12], v10, off
	s_or_b64 exec, exec, s[2:3]
	v_cmp_gt_u32_e32 vcc, s33, v27
	s_and_saveexec_b64 s[2:3], vcc
	s_cbranch_execnz .LBB883_145
.LBB883_180:
	s_or_b64 exec, exec, s[2:3]
	v_cmp_gt_u32_e32 vcc, s33, v26
	s_and_saveexec_b64 s[2:3], vcc
	s_cbranch_execz .LBB883_150
.LBB883_181:
	v_cmp_ge_u32_e32 vcc, v26, v1
                                        ; implicit-def: $vgpr9_vgpr10
	s_and_saveexec_b64 s[4:5], vcc
	s_xor_b64 s[4:5], exec, s[4:5]
	s_cbranch_execz .LBB883_183
; %bb.182:
	v_xor_b32_e32 v2, 0xfffff8ff, v0
	s_waitcnt lgkmcnt(3)
	v_ashrrev_i32_e32 v7, 31, v2
	v_add_co_u32_e32 v9, vcc, v23, v2
	v_addc_co_u32_e32 v10, vcc, v32, v7, vcc
                                        ; implicit-def: $vgpr26
.LBB883_183:
	s_andn2_saveexec_b64 s[4:5], s[4:5]
	s_cbranch_execz .LBB883_185
; %bb.184:
	s_waitcnt lgkmcnt(4)
	v_add_co_u32_e32 v9, vcc, v17, v26
	v_addc_co_u32_e32 v10, vcc, 0, v18, vcc
.LBB883_185:
	s_or_b64 exec, exec, s[4:5]
	s_waitcnt lgkmcnt(4)
	v_lshlrev_b64 v[9:10], 2, v[9:10]
	v_mov_b32_e32 v2, s27
	v_add_co_u32_e32 v9, vcc, s26, v9
	v_addc_co_u32_e32 v10, vcc, v2, v10, vcc
	s_waitcnt lgkmcnt(3)
	global_store_dword v[9:10], v8, off
	s_or_b64 exec, exec, s[2:3]
	v_cmp_gt_u32_e32 vcc, s33, v25
	s_and_saveexec_b64 s[2:3], vcc
	s_cbranch_execnz .LBB883_151
.LBB883_186:
	s_or_b64 exec, exec, s[2:3]
	v_cmp_gt_u32_e32 vcc, s33, v24
	s_and_saveexec_b64 s[2:3], vcc
	s_cbranch_execz .LBB883_156
.LBB883_187:
	v_cmp_ge_u32_e32 vcc, v24, v1
                                        ; implicit-def: $vgpr7_vgpr8
	s_and_saveexec_b64 s[4:5], vcc
	s_xor_b64 s[4:5], exec, s[4:5]
	s_cbranch_execz .LBB883_189
; %bb.188:
	v_xor_b32_e32 v2, 0xfffff6ff, v0
	s_waitcnt lgkmcnt(2)
	v_ashrrev_i32_e32 v5, 31, v2
	v_add_co_u32_e32 v7, vcc, v23, v2
	v_addc_co_u32_e32 v8, vcc, v32, v5, vcc
                                        ; implicit-def: $vgpr24
.LBB883_189:
	s_andn2_saveexec_b64 s[4:5], s[4:5]
	s_cbranch_execz .LBB883_191
; %bb.190:
	s_waitcnt lgkmcnt(3)
	v_add_co_u32_e32 v7, vcc, v17, v24
	v_addc_co_u32_e32 v8, vcc, 0, v18, vcc
.LBB883_191:
	s_or_b64 exec, exec, s[4:5]
	s_waitcnt lgkmcnt(3)
	v_lshlrev_b64 v[7:8], 2, v[7:8]
	v_mov_b32_e32 v2, s27
	v_add_co_u32_e32 v7, vcc, s26, v7
	v_addc_co_u32_e32 v8, vcc, v2, v8, vcc
	s_waitcnt lgkmcnt(2)
	global_store_dword v[7:8], v6, off
	s_or_b64 exec, exec, s[2:3]
	v_cmp_gt_u32_e32 vcc, s33, v22
	s_and_saveexec_b64 s[2:3], vcc
	s_cbranch_execnz .LBB883_157
.LBB883_192:
	s_or_b64 exec, exec, s[2:3]
	v_cmp_gt_u32_e32 vcc, s33, v21
	s_and_saveexec_b64 s[2:3], vcc
	s_cbranch_execz .LBB883_198
.LBB883_193:
	v_cmp_ge_u32_e32 vcc, v21, v1
                                        ; implicit-def: $vgpr2_vgpr3
	s_and_saveexec_b64 s[4:5], vcc
	s_xor_b64 s[4:5], exec, s[4:5]
	s_cbranch_execz .LBB883_195
; %bb.194:
	v_xor_b32_e32 v2, 0xfffff4ff, v0
	s_waitcnt lgkmcnt(1)
	v_ashrrev_i32_e32 v3, 31, v2
	v_add_co_u32_e32 v2, vcc, v23, v2
	v_addc_co_u32_e32 v3, vcc, v32, v3, vcc
                                        ; implicit-def: $vgpr21
.LBB883_195:
	s_andn2_saveexec_b64 s[4:5], s[4:5]
	s_cbranch_execz .LBB883_197
; %bb.196:
	v_add_co_u32_e32 v2, vcc, v17, v21
	s_waitcnt lgkmcnt(1)
	v_addc_co_u32_e32 v3, vcc, 0, v18, vcc
.LBB883_197:
	s_or_b64 exec, exec, s[4:5]
	s_waitcnt lgkmcnt(1)
	v_lshlrev_b64 v[2:3], 2, v[2:3]
	v_mov_b32_e32 v5, s27
	v_add_co_u32_e32 v2, vcc, s26, v2
	v_addc_co_u32_e32 v3, vcc, v5, v3, vcc
	global_store_dword v[2:3], v4, off
.LBB883_198:
	s_or_b64 exec, exec, s[2:3]
	v_cmp_gt_u32_e32 vcc, s33, v20
                                        ; implicit-def: $vgpr15_vgpr16
	s_and_saveexec_b64 s[2:3], vcc
	s_cbranch_execz .LBB883_204
; %bb.199:
	v_cmp_ge_u32_e32 vcc, v20, v1
                                        ; implicit-def: $vgpr15_vgpr16
	s_and_saveexec_b64 s[4:5], vcc
	s_xor_b64 s[4:5], exec, s[4:5]
	s_cbranch_execz .LBB883_201
; %bb.200:
	v_xor_b32_e32 v2, 0xfffff3ff, v0
	s_waitcnt lgkmcnt(1)
	v_ashrrev_i32_e32 v3, 31, v2
	v_add_co_u32_e32 v15, vcc, v23, v2
	v_addc_co_u32_e32 v16, vcc, v32, v3, vcc
                                        ; implicit-def: $vgpr20
.LBB883_201:
	s_andn2_saveexec_b64 s[4:5], s[4:5]
; %bb.202:
	v_add_co_u32_e32 v15, vcc, v17, v20
	v_addc_co_u32_e32 v16, vcc, 0, v18, vcc
; %bb.203:
	s_or_b64 exec, exec, s[4:5]
	s_or_b64 s[0:1], s[0:1], exec
.LBB883_204:
	s_or_b64 exec, exec, s[2:3]
.LBB883_205:
	s_and_saveexec_b64 s[2:3], s[0:1]
	s_cbranch_execz .LBB883_207
; %bb.206:
	s_waitcnt lgkmcnt(1)
	v_lshlrev_b64 v[2:3], 2, v[15:16]
	v_mov_b32_e32 v4, s27
	v_add_co_u32_e32 v2, vcc, s26, v2
	v_addc_co_u32_e32 v3, vcc, v4, v3, vcc
	s_waitcnt lgkmcnt(0)
	global_store_dword v[2:3], v19, off
.LBB883_207:
	s_or_b64 exec, exec, s[2:3]
	v_cmp_eq_u32_e32 vcc, 0, v0
	s_and_b64 s[0:1], vcc, s[22:23]
	s_and_saveexec_b64 s[2:3], s[0:1]
	s_cbranch_execz .LBB883_209
; %bb.208:
	v_add_co_u32_e32 v0, vcc, v17, v1
	v_mov_b32_e32 v2, 0
	v_addc_co_u32_e32 v1, vcc, 0, v18, vcc
	global_store_dwordx2 v2, v[0:1], s[24:25]
.LBB883_209:
	s_endpgm
	.section	.rodata,"a",@progbits
	.p2align	6, 0x0
	.amdhsa_kernel _ZN7rocprim17ROCPRIM_400000_NS6detail17trampoline_kernelINS0_13select_configILj256ELj13ELNS0_17block_load_methodE3ELS4_3ELS4_3ELNS0_20block_scan_algorithmE0ELj4294967295EEENS1_25partition_config_selectorILNS1_17partition_subalgoE3EjNS0_10empty_typeEbEEZZNS1_14partition_implILS8_3ELb0ES6_jNS0_17counting_iteratorIjlEEPS9_SE_NS0_5tupleIJPjSE_EEENSF_IJSE_SE_EEES9_SG_JZNS1_25segmented_radix_sort_implINS0_14default_configELb1EPKsPsPKlPlN2at6native12_GLOBAL__N_18offset_tEEE10hipError_tPvRmT1_PNSt15iterator_traitsISY_E10value_typeET2_T3_PNSZ_IS14_E10value_typeET4_jRbjT5_S1A_jjP12ihipStream_tbEUljE_EEESV_SW_SX_S14_S18_S1A_T6_T7_T9_mT8_S1C_bDpT10_ENKUlT_T0_E_clISt17integral_constantIbLb0EES1P_EEDaS1K_S1L_EUlS1K_E_NS1_11comp_targetILNS1_3genE2ELNS1_11target_archE906ELNS1_3gpuE6ELNS1_3repE0EEENS1_30default_config_static_selectorELNS0_4arch9wavefront6targetE1EEEvSY_
		.amdhsa_group_segment_fixed_size 13320
		.amdhsa_private_segment_fixed_size 0
		.amdhsa_kernarg_size 144
		.amdhsa_user_sgpr_count 6
		.amdhsa_user_sgpr_private_segment_buffer 1
		.amdhsa_user_sgpr_dispatch_ptr 0
		.amdhsa_user_sgpr_queue_ptr 0
		.amdhsa_user_sgpr_kernarg_segment_ptr 1
		.amdhsa_user_sgpr_dispatch_id 0
		.amdhsa_user_sgpr_flat_scratch_init 0
		.amdhsa_user_sgpr_private_segment_size 0
		.amdhsa_uses_dynamic_stack 0
		.amdhsa_system_sgpr_private_segment_wavefront_offset 0
		.amdhsa_system_sgpr_workgroup_id_x 1
		.amdhsa_system_sgpr_workgroup_id_y 0
		.amdhsa_system_sgpr_workgroup_id_z 0
		.amdhsa_system_sgpr_workgroup_info 0
		.amdhsa_system_vgpr_workitem_id 0
		.amdhsa_next_free_vgpr 69
		.amdhsa_next_free_sgpr 98
		.amdhsa_reserve_vcc 1
		.amdhsa_reserve_flat_scratch 0
		.amdhsa_float_round_mode_32 0
		.amdhsa_float_round_mode_16_64 0
		.amdhsa_float_denorm_mode_32 3
		.amdhsa_float_denorm_mode_16_64 3
		.amdhsa_dx10_clamp 1
		.amdhsa_ieee_mode 1
		.amdhsa_fp16_overflow 0
		.amdhsa_exception_fp_ieee_invalid_op 0
		.amdhsa_exception_fp_denorm_src 0
		.amdhsa_exception_fp_ieee_div_zero 0
		.amdhsa_exception_fp_ieee_overflow 0
		.amdhsa_exception_fp_ieee_underflow 0
		.amdhsa_exception_fp_ieee_inexact 0
		.amdhsa_exception_int_div_zero 0
	.end_amdhsa_kernel
	.section	.text._ZN7rocprim17ROCPRIM_400000_NS6detail17trampoline_kernelINS0_13select_configILj256ELj13ELNS0_17block_load_methodE3ELS4_3ELS4_3ELNS0_20block_scan_algorithmE0ELj4294967295EEENS1_25partition_config_selectorILNS1_17partition_subalgoE3EjNS0_10empty_typeEbEEZZNS1_14partition_implILS8_3ELb0ES6_jNS0_17counting_iteratorIjlEEPS9_SE_NS0_5tupleIJPjSE_EEENSF_IJSE_SE_EEES9_SG_JZNS1_25segmented_radix_sort_implINS0_14default_configELb1EPKsPsPKlPlN2at6native12_GLOBAL__N_18offset_tEEE10hipError_tPvRmT1_PNSt15iterator_traitsISY_E10value_typeET2_T3_PNSZ_IS14_E10value_typeET4_jRbjT5_S1A_jjP12ihipStream_tbEUljE_EEESV_SW_SX_S14_S18_S1A_T6_T7_T9_mT8_S1C_bDpT10_ENKUlT_T0_E_clISt17integral_constantIbLb0EES1P_EEDaS1K_S1L_EUlS1K_E_NS1_11comp_targetILNS1_3genE2ELNS1_11target_archE906ELNS1_3gpuE6ELNS1_3repE0EEENS1_30default_config_static_selectorELNS0_4arch9wavefront6targetE1EEEvSY_,"axG",@progbits,_ZN7rocprim17ROCPRIM_400000_NS6detail17trampoline_kernelINS0_13select_configILj256ELj13ELNS0_17block_load_methodE3ELS4_3ELS4_3ELNS0_20block_scan_algorithmE0ELj4294967295EEENS1_25partition_config_selectorILNS1_17partition_subalgoE3EjNS0_10empty_typeEbEEZZNS1_14partition_implILS8_3ELb0ES6_jNS0_17counting_iteratorIjlEEPS9_SE_NS0_5tupleIJPjSE_EEENSF_IJSE_SE_EEES9_SG_JZNS1_25segmented_radix_sort_implINS0_14default_configELb1EPKsPsPKlPlN2at6native12_GLOBAL__N_18offset_tEEE10hipError_tPvRmT1_PNSt15iterator_traitsISY_E10value_typeET2_T3_PNSZ_IS14_E10value_typeET4_jRbjT5_S1A_jjP12ihipStream_tbEUljE_EEESV_SW_SX_S14_S18_S1A_T6_T7_T9_mT8_S1C_bDpT10_ENKUlT_T0_E_clISt17integral_constantIbLb0EES1P_EEDaS1K_S1L_EUlS1K_E_NS1_11comp_targetILNS1_3genE2ELNS1_11target_archE906ELNS1_3gpuE6ELNS1_3repE0EEENS1_30default_config_static_selectorELNS0_4arch9wavefront6targetE1EEEvSY_,comdat
.Lfunc_end883:
	.size	_ZN7rocprim17ROCPRIM_400000_NS6detail17trampoline_kernelINS0_13select_configILj256ELj13ELNS0_17block_load_methodE3ELS4_3ELS4_3ELNS0_20block_scan_algorithmE0ELj4294967295EEENS1_25partition_config_selectorILNS1_17partition_subalgoE3EjNS0_10empty_typeEbEEZZNS1_14partition_implILS8_3ELb0ES6_jNS0_17counting_iteratorIjlEEPS9_SE_NS0_5tupleIJPjSE_EEENSF_IJSE_SE_EEES9_SG_JZNS1_25segmented_radix_sort_implINS0_14default_configELb1EPKsPsPKlPlN2at6native12_GLOBAL__N_18offset_tEEE10hipError_tPvRmT1_PNSt15iterator_traitsISY_E10value_typeET2_T3_PNSZ_IS14_E10value_typeET4_jRbjT5_S1A_jjP12ihipStream_tbEUljE_EEESV_SW_SX_S14_S18_S1A_T6_T7_T9_mT8_S1C_bDpT10_ENKUlT_T0_E_clISt17integral_constantIbLb0EES1P_EEDaS1K_S1L_EUlS1K_E_NS1_11comp_targetILNS1_3genE2ELNS1_11target_archE906ELNS1_3gpuE6ELNS1_3repE0EEENS1_30default_config_static_selectorELNS0_4arch9wavefront6targetE1EEEvSY_, .Lfunc_end883-_ZN7rocprim17ROCPRIM_400000_NS6detail17trampoline_kernelINS0_13select_configILj256ELj13ELNS0_17block_load_methodE3ELS4_3ELS4_3ELNS0_20block_scan_algorithmE0ELj4294967295EEENS1_25partition_config_selectorILNS1_17partition_subalgoE3EjNS0_10empty_typeEbEEZZNS1_14partition_implILS8_3ELb0ES6_jNS0_17counting_iteratorIjlEEPS9_SE_NS0_5tupleIJPjSE_EEENSF_IJSE_SE_EEES9_SG_JZNS1_25segmented_radix_sort_implINS0_14default_configELb1EPKsPsPKlPlN2at6native12_GLOBAL__N_18offset_tEEE10hipError_tPvRmT1_PNSt15iterator_traitsISY_E10value_typeET2_T3_PNSZ_IS14_E10value_typeET4_jRbjT5_S1A_jjP12ihipStream_tbEUljE_EEESV_SW_SX_S14_S18_S1A_T6_T7_T9_mT8_S1C_bDpT10_ENKUlT_T0_E_clISt17integral_constantIbLb0EES1P_EEDaS1K_S1L_EUlS1K_E_NS1_11comp_targetILNS1_3genE2ELNS1_11target_archE906ELNS1_3gpuE6ELNS1_3repE0EEENS1_30default_config_static_selectorELNS0_4arch9wavefront6targetE1EEEvSY_
                                        ; -- End function
	.set _ZN7rocprim17ROCPRIM_400000_NS6detail17trampoline_kernelINS0_13select_configILj256ELj13ELNS0_17block_load_methodE3ELS4_3ELS4_3ELNS0_20block_scan_algorithmE0ELj4294967295EEENS1_25partition_config_selectorILNS1_17partition_subalgoE3EjNS0_10empty_typeEbEEZZNS1_14partition_implILS8_3ELb0ES6_jNS0_17counting_iteratorIjlEEPS9_SE_NS0_5tupleIJPjSE_EEENSF_IJSE_SE_EEES9_SG_JZNS1_25segmented_radix_sort_implINS0_14default_configELb1EPKsPsPKlPlN2at6native12_GLOBAL__N_18offset_tEEE10hipError_tPvRmT1_PNSt15iterator_traitsISY_E10value_typeET2_T3_PNSZ_IS14_E10value_typeET4_jRbjT5_S1A_jjP12ihipStream_tbEUljE_EEESV_SW_SX_S14_S18_S1A_T6_T7_T9_mT8_S1C_bDpT10_ENKUlT_T0_E_clISt17integral_constantIbLb0EES1P_EEDaS1K_S1L_EUlS1K_E_NS1_11comp_targetILNS1_3genE2ELNS1_11target_archE906ELNS1_3gpuE6ELNS1_3repE0EEENS1_30default_config_static_selectorELNS0_4arch9wavefront6targetE1EEEvSY_.num_vgpr, 69
	.set _ZN7rocprim17ROCPRIM_400000_NS6detail17trampoline_kernelINS0_13select_configILj256ELj13ELNS0_17block_load_methodE3ELS4_3ELS4_3ELNS0_20block_scan_algorithmE0ELj4294967295EEENS1_25partition_config_selectorILNS1_17partition_subalgoE3EjNS0_10empty_typeEbEEZZNS1_14partition_implILS8_3ELb0ES6_jNS0_17counting_iteratorIjlEEPS9_SE_NS0_5tupleIJPjSE_EEENSF_IJSE_SE_EEES9_SG_JZNS1_25segmented_radix_sort_implINS0_14default_configELb1EPKsPsPKlPlN2at6native12_GLOBAL__N_18offset_tEEE10hipError_tPvRmT1_PNSt15iterator_traitsISY_E10value_typeET2_T3_PNSZ_IS14_E10value_typeET4_jRbjT5_S1A_jjP12ihipStream_tbEUljE_EEESV_SW_SX_S14_S18_S1A_T6_T7_T9_mT8_S1C_bDpT10_ENKUlT_T0_E_clISt17integral_constantIbLb0EES1P_EEDaS1K_S1L_EUlS1K_E_NS1_11comp_targetILNS1_3genE2ELNS1_11target_archE906ELNS1_3gpuE6ELNS1_3repE0EEENS1_30default_config_static_selectorELNS0_4arch9wavefront6targetE1EEEvSY_.num_agpr, 0
	.set _ZN7rocprim17ROCPRIM_400000_NS6detail17trampoline_kernelINS0_13select_configILj256ELj13ELNS0_17block_load_methodE3ELS4_3ELS4_3ELNS0_20block_scan_algorithmE0ELj4294967295EEENS1_25partition_config_selectorILNS1_17partition_subalgoE3EjNS0_10empty_typeEbEEZZNS1_14partition_implILS8_3ELb0ES6_jNS0_17counting_iteratorIjlEEPS9_SE_NS0_5tupleIJPjSE_EEENSF_IJSE_SE_EEES9_SG_JZNS1_25segmented_radix_sort_implINS0_14default_configELb1EPKsPsPKlPlN2at6native12_GLOBAL__N_18offset_tEEE10hipError_tPvRmT1_PNSt15iterator_traitsISY_E10value_typeET2_T3_PNSZ_IS14_E10value_typeET4_jRbjT5_S1A_jjP12ihipStream_tbEUljE_EEESV_SW_SX_S14_S18_S1A_T6_T7_T9_mT8_S1C_bDpT10_ENKUlT_T0_E_clISt17integral_constantIbLb0EES1P_EEDaS1K_S1L_EUlS1K_E_NS1_11comp_targetILNS1_3genE2ELNS1_11target_archE906ELNS1_3gpuE6ELNS1_3repE0EEENS1_30default_config_static_selectorELNS0_4arch9wavefront6targetE1EEEvSY_.numbered_sgpr, 48
	.set _ZN7rocprim17ROCPRIM_400000_NS6detail17trampoline_kernelINS0_13select_configILj256ELj13ELNS0_17block_load_methodE3ELS4_3ELS4_3ELNS0_20block_scan_algorithmE0ELj4294967295EEENS1_25partition_config_selectorILNS1_17partition_subalgoE3EjNS0_10empty_typeEbEEZZNS1_14partition_implILS8_3ELb0ES6_jNS0_17counting_iteratorIjlEEPS9_SE_NS0_5tupleIJPjSE_EEENSF_IJSE_SE_EEES9_SG_JZNS1_25segmented_radix_sort_implINS0_14default_configELb1EPKsPsPKlPlN2at6native12_GLOBAL__N_18offset_tEEE10hipError_tPvRmT1_PNSt15iterator_traitsISY_E10value_typeET2_T3_PNSZ_IS14_E10value_typeET4_jRbjT5_S1A_jjP12ihipStream_tbEUljE_EEESV_SW_SX_S14_S18_S1A_T6_T7_T9_mT8_S1C_bDpT10_ENKUlT_T0_E_clISt17integral_constantIbLb0EES1P_EEDaS1K_S1L_EUlS1K_E_NS1_11comp_targetILNS1_3genE2ELNS1_11target_archE906ELNS1_3gpuE6ELNS1_3repE0EEENS1_30default_config_static_selectorELNS0_4arch9wavefront6targetE1EEEvSY_.num_named_barrier, 0
	.set _ZN7rocprim17ROCPRIM_400000_NS6detail17trampoline_kernelINS0_13select_configILj256ELj13ELNS0_17block_load_methodE3ELS4_3ELS4_3ELNS0_20block_scan_algorithmE0ELj4294967295EEENS1_25partition_config_selectorILNS1_17partition_subalgoE3EjNS0_10empty_typeEbEEZZNS1_14partition_implILS8_3ELb0ES6_jNS0_17counting_iteratorIjlEEPS9_SE_NS0_5tupleIJPjSE_EEENSF_IJSE_SE_EEES9_SG_JZNS1_25segmented_radix_sort_implINS0_14default_configELb1EPKsPsPKlPlN2at6native12_GLOBAL__N_18offset_tEEE10hipError_tPvRmT1_PNSt15iterator_traitsISY_E10value_typeET2_T3_PNSZ_IS14_E10value_typeET4_jRbjT5_S1A_jjP12ihipStream_tbEUljE_EEESV_SW_SX_S14_S18_S1A_T6_T7_T9_mT8_S1C_bDpT10_ENKUlT_T0_E_clISt17integral_constantIbLb0EES1P_EEDaS1K_S1L_EUlS1K_E_NS1_11comp_targetILNS1_3genE2ELNS1_11target_archE906ELNS1_3gpuE6ELNS1_3repE0EEENS1_30default_config_static_selectorELNS0_4arch9wavefront6targetE1EEEvSY_.private_seg_size, 0
	.set _ZN7rocprim17ROCPRIM_400000_NS6detail17trampoline_kernelINS0_13select_configILj256ELj13ELNS0_17block_load_methodE3ELS4_3ELS4_3ELNS0_20block_scan_algorithmE0ELj4294967295EEENS1_25partition_config_selectorILNS1_17partition_subalgoE3EjNS0_10empty_typeEbEEZZNS1_14partition_implILS8_3ELb0ES6_jNS0_17counting_iteratorIjlEEPS9_SE_NS0_5tupleIJPjSE_EEENSF_IJSE_SE_EEES9_SG_JZNS1_25segmented_radix_sort_implINS0_14default_configELb1EPKsPsPKlPlN2at6native12_GLOBAL__N_18offset_tEEE10hipError_tPvRmT1_PNSt15iterator_traitsISY_E10value_typeET2_T3_PNSZ_IS14_E10value_typeET4_jRbjT5_S1A_jjP12ihipStream_tbEUljE_EEESV_SW_SX_S14_S18_S1A_T6_T7_T9_mT8_S1C_bDpT10_ENKUlT_T0_E_clISt17integral_constantIbLb0EES1P_EEDaS1K_S1L_EUlS1K_E_NS1_11comp_targetILNS1_3genE2ELNS1_11target_archE906ELNS1_3gpuE6ELNS1_3repE0EEENS1_30default_config_static_selectorELNS0_4arch9wavefront6targetE1EEEvSY_.uses_vcc, 1
	.set _ZN7rocprim17ROCPRIM_400000_NS6detail17trampoline_kernelINS0_13select_configILj256ELj13ELNS0_17block_load_methodE3ELS4_3ELS4_3ELNS0_20block_scan_algorithmE0ELj4294967295EEENS1_25partition_config_selectorILNS1_17partition_subalgoE3EjNS0_10empty_typeEbEEZZNS1_14partition_implILS8_3ELb0ES6_jNS0_17counting_iteratorIjlEEPS9_SE_NS0_5tupleIJPjSE_EEENSF_IJSE_SE_EEES9_SG_JZNS1_25segmented_radix_sort_implINS0_14default_configELb1EPKsPsPKlPlN2at6native12_GLOBAL__N_18offset_tEEE10hipError_tPvRmT1_PNSt15iterator_traitsISY_E10value_typeET2_T3_PNSZ_IS14_E10value_typeET4_jRbjT5_S1A_jjP12ihipStream_tbEUljE_EEESV_SW_SX_S14_S18_S1A_T6_T7_T9_mT8_S1C_bDpT10_ENKUlT_T0_E_clISt17integral_constantIbLb0EES1P_EEDaS1K_S1L_EUlS1K_E_NS1_11comp_targetILNS1_3genE2ELNS1_11target_archE906ELNS1_3gpuE6ELNS1_3repE0EEENS1_30default_config_static_selectorELNS0_4arch9wavefront6targetE1EEEvSY_.uses_flat_scratch, 0
	.set _ZN7rocprim17ROCPRIM_400000_NS6detail17trampoline_kernelINS0_13select_configILj256ELj13ELNS0_17block_load_methodE3ELS4_3ELS4_3ELNS0_20block_scan_algorithmE0ELj4294967295EEENS1_25partition_config_selectorILNS1_17partition_subalgoE3EjNS0_10empty_typeEbEEZZNS1_14partition_implILS8_3ELb0ES6_jNS0_17counting_iteratorIjlEEPS9_SE_NS0_5tupleIJPjSE_EEENSF_IJSE_SE_EEES9_SG_JZNS1_25segmented_radix_sort_implINS0_14default_configELb1EPKsPsPKlPlN2at6native12_GLOBAL__N_18offset_tEEE10hipError_tPvRmT1_PNSt15iterator_traitsISY_E10value_typeET2_T3_PNSZ_IS14_E10value_typeET4_jRbjT5_S1A_jjP12ihipStream_tbEUljE_EEESV_SW_SX_S14_S18_S1A_T6_T7_T9_mT8_S1C_bDpT10_ENKUlT_T0_E_clISt17integral_constantIbLb0EES1P_EEDaS1K_S1L_EUlS1K_E_NS1_11comp_targetILNS1_3genE2ELNS1_11target_archE906ELNS1_3gpuE6ELNS1_3repE0EEENS1_30default_config_static_selectorELNS0_4arch9wavefront6targetE1EEEvSY_.has_dyn_sized_stack, 0
	.set _ZN7rocprim17ROCPRIM_400000_NS6detail17trampoline_kernelINS0_13select_configILj256ELj13ELNS0_17block_load_methodE3ELS4_3ELS4_3ELNS0_20block_scan_algorithmE0ELj4294967295EEENS1_25partition_config_selectorILNS1_17partition_subalgoE3EjNS0_10empty_typeEbEEZZNS1_14partition_implILS8_3ELb0ES6_jNS0_17counting_iteratorIjlEEPS9_SE_NS0_5tupleIJPjSE_EEENSF_IJSE_SE_EEES9_SG_JZNS1_25segmented_radix_sort_implINS0_14default_configELb1EPKsPsPKlPlN2at6native12_GLOBAL__N_18offset_tEEE10hipError_tPvRmT1_PNSt15iterator_traitsISY_E10value_typeET2_T3_PNSZ_IS14_E10value_typeET4_jRbjT5_S1A_jjP12ihipStream_tbEUljE_EEESV_SW_SX_S14_S18_S1A_T6_T7_T9_mT8_S1C_bDpT10_ENKUlT_T0_E_clISt17integral_constantIbLb0EES1P_EEDaS1K_S1L_EUlS1K_E_NS1_11comp_targetILNS1_3genE2ELNS1_11target_archE906ELNS1_3gpuE6ELNS1_3repE0EEENS1_30default_config_static_selectorELNS0_4arch9wavefront6targetE1EEEvSY_.has_recursion, 0
	.set _ZN7rocprim17ROCPRIM_400000_NS6detail17trampoline_kernelINS0_13select_configILj256ELj13ELNS0_17block_load_methodE3ELS4_3ELS4_3ELNS0_20block_scan_algorithmE0ELj4294967295EEENS1_25partition_config_selectorILNS1_17partition_subalgoE3EjNS0_10empty_typeEbEEZZNS1_14partition_implILS8_3ELb0ES6_jNS0_17counting_iteratorIjlEEPS9_SE_NS0_5tupleIJPjSE_EEENSF_IJSE_SE_EEES9_SG_JZNS1_25segmented_radix_sort_implINS0_14default_configELb1EPKsPsPKlPlN2at6native12_GLOBAL__N_18offset_tEEE10hipError_tPvRmT1_PNSt15iterator_traitsISY_E10value_typeET2_T3_PNSZ_IS14_E10value_typeET4_jRbjT5_S1A_jjP12ihipStream_tbEUljE_EEESV_SW_SX_S14_S18_S1A_T6_T7_T9_mT8_S1C_bDpT10_ENKUlT_T0_E_clISt17integral_constantIbLb0EES1P_EEDaS1K_S1L_EUlS1K_E_NS1_11comp_targetILNS1_3genE2ELNS1_11target_archE906ELNS1_3gpuE6ELNS1_3repE0EEENS1_30default_config_static_selectorELNS0_4arch9wavefront6targetE1EEEvSY_.has_indirect_call, 0
	.section	.AMDGPU.csdata,"",@progbits
; Kernel info:
; codeLenInByte = 7612
; TotalNumSgprs: 52
; NumVgprs: 69
; ScratchSize: 0
; MemoryBound: 0
; FloatMode: 240
; IeeeMode: 1
; LDSByteSize: 13320 bytes/workgroup (compile time only)
; SGPRBlocks: 12
; VGPRBlocks: 17
; NumSGPRsForWavesPerEU: 102
; NumVGPRsForWavesPerEU: 69
; Occupancy: 3
; WaveLimiterHint : 0
; COMPUTE_PGM_RSRC2:SCRATCH_EN: 0
; COMPUTE_PGM_RSRC2:USER_SGPR: 6
; COMPUTE_PGM_RSRC2:TRAP_HANDLER: 0
; COMPUTE_PGM_RSRC2:TGID_X_EN: 1
; COMPUTE_PGM_RSRC2:TGID_Y_EN: 0
; COMPUTE_PGM_RSRC2:TGID_Z_EN: 0
; COMPUTE_PGM_RSRC2:TIDIG_COMP_CNT: 0
	.section	.text._ZN7rocprim17ROCPRIM_400000_NS6detail17trampoline_kernelINS0_13select_configILj256ELj13ELNS0_17block_load_methodE3ELS4_3ELS4_3ELNS0_20block_scan_algorithmE0ELj4294967295EEENS1_25partition_config_selectorILNS1_17partition_subalgoE3EjNS0_10empty_typeEbEEZZNS1_14partition_implILS8_3ELb0ES6_jNS0_17counting_iteratorIjlEEPS9_SE_NS0_5tupleIJPjSE_EEENSF_IJSE_SE_EEES9_SG_JZNS1_25segmented_radix_sort_implINS0_14default_configELb1EPKsPsPKlPlN2at6native12_GLOBAL__N_18offset_tEEE10hipError_tPvRmT1_PNSt15iterator_traitsISY_E10value_typeET2_T3_PNSZ_IS14_E10value_typeET4_jRbjT5_S1A_jjP12ihipStream_tbEUljE_EEESV_SW_SX_S14_S18_S1A_T6_T7_T9_mT8_S1C_bDpT10_ENKUlT_T0_E_clISt17integral_constantIbLb0EES1P_EEDaS1K_S1L_EUlS1K_E_NS1_11comp_targetILNS1_3genE10ELNS1_11target_archE1200ELNS1_3gpuE4ELNS1_3repE0EEENS1_30default_config_static_selectorELNS0_4arch9wavefront6targetE1EEEvSY_,"axG",@progbits,_ZN7rocprim17ROCPRIM_400000_NS6detail17trampoline_kernelINS0_13select_configILj256ELj13ELNS0_17block_load_methodE3ELS4_3ELS4_3ELNS0_20block_scan_algorithmE0ELj4294967295EEENS1_25partition_config_selectorILNS1_17partition_subalgoE3EjNS0_10empty_typeEbEEZZNS1_14partition_implILS8_3ELb0ES6_jNS0_17counting_iteratorIjlEEPS9_SE_NS0_5tupleIJPjSE_EEENSF_IJSE_SE_EEES9_SG_JZNS1_25segmented_radix_sort_implINS0_14default_configELb1EPKsPsPKlPlN2at6native12_GLOBAL__N_18offset_tEEE10hipError_tPvRmT1_PNSt15iterator_traitsISY_E10value_typeET2_T3_PNSZ_IS14_E10value_typeET4_jRbjT5_S1A_jjP12ihipStream_tbEUljE_EEESV_SW_SX_S14_S18_S1A_T6_T7_T9_mT8_S1C_bDpT10_ENKUlT_T0_E_clISt17integral_constantIbLb0EES1P_EEDaS1K_S1L_EUlS1K_E_NS1_11comp_targetILNS1_3genE10ELNS1_11target_archE1200ELNS1_3gpuE4ELNS1_3repE0EEENS1_30default_config_static_selectorELNS0_4arch9wavefront6targetE1EEEvSY_,comdat
	.globl	_ZN7rocprim17ROCPRIM_400000_NS6detail17trampoline_kernelINS0_13select_configILj256ELj13ELNS0_17block_load_methodE3ELS4_3ELS4_3ELNS0_20block_scan_algorithmE0ELj4294967295EEENS1_25partition_config_selectorILNS1_17partition_subalgoE3EjNS0_10empty_typeEbEEZZNS1_14partition_implILS8_3ELb0ES6_jNS0_17counting_iteratorIjlEEPS9_SE_NS0_5tupleIJPjSE_EEENSF_IJSE_SE_EEES9_SG_JZNS1_25segmented_radix_sort_implINS0_14default_configELb1EPKsPsPKlPlN2at6native12_GLOBAL__N_18offset_tEEE10hipError_tPvRmT1_PNSt15iterator_traitsISY_E10value_typeET2_T3_PNSZ_IS14_E10value_typeET4_jRbjT5_S1A_jjP12ihipStream_tbEUljE_EEESV_SW_SX_S14_S18_S1A_T6_T7_T9_mT8_S1C_bDpT10_ENKUlT_T0_E_clISt17integral_constantIbLb0EES1P_EEDaS1K_S1L_EUlS1K_E_NS1_11comp_targetILNS1_3genE10ELNS1_11target_archE1200ELNS1_3gpuE4ELNS1_3repE0EEENS1_30default_config_static_selectorELNS0_4arch9wavefront6targetE1EEEvSY_ ; -- Begin function _ZN7rocprim17ROCPRIM_400000_NS6detail17trampoline_kernelINS0_13select_configILj256ELj13ELNS0_17block_load_methodE3ELS4_3ELS4_3ELNS0_20block_scan_algorithmE0ELj4294967295EEENS1_25partition_config_selectorILNS1_17partition_subalgoE3EjNS0_10empty_typeEbEEZZNS1_14partition_implILS8_3ELb0ES6_jNS0_17counting_iteratorIjlEEPS9_SE_NS0_5tupleIJPjSE_EEENSF_IJSE_SE_EEES9_SG_JZNS1_25segmented_radix_sort_implINS0_14default_configELb1EPKsPsPKlPlN2at6native12_GLOBAL__N_18offset_tEEE10hipError_tPvRmT1_PNSt15iterator_traitsISY_E10value_typeET2_T3_PNSZ_IS14_E10value_typeET4_jRbjT5_S1A_jjP12ihipStream_tbEUljE_EEESV_SW_SX_S14_S18_S1A_T6_T7_T9_mT8_S1C_bDpT10_ENKUlT_T0_E_clISt17integral_constantIbLb0EES1P_EEDaS1K_S1L_EUlS1K_E_NS1_11comp_targetILNS1_3genE10ELNS1_11target_archE1200ELNS1_3gpuE4ELNS1_3repE0EEENS1_30default_config_static_selectorELNS0_4arch9wavefront6targetE1EEEvSY_
	.p2align	8
	.type	_ZN7rocprim17ROCPRIM_400000_NS6detail17trampoline_kernelINS0_13select_configILj256ELj13ELNS0_17block_load_methodE3ELS4_3ELS4_3ELNS0_20block_scan_algorithmE0ELj4294967295EEENS1_25partition_config_selectorILNS1_17partition_subalgoE3EjNS0_10empty_typeEbEEZZNS1_14partition_implILS8_3ELb0ES6_jNS0_17counting_iteratorIjlEEPS9_SE_NS0_5tupleIJPjSE_EEENSF_IJSE_SE_EEES9_SG_JZNS1_25segmented_radix_sort_implINS0_14default_configELb1EPKsPsPKlPlN2at6native12_GLOBAL__N_18offset_tEEE10hipError_tPvRmT1_PNSt15iterator_traitsISY_E10value_typeET2_T3_PNSZ_IS14_E10value_typeET4_jRbjT5_S1A_jjP12ihipStream_tbEUljE_EEESV_SW_SX_S14_S18_S1A_T6_T7_T9_mT8_S1C_bDpT10_ENKUlT_T0_E_clISt17integral_constantIbLb0EES1P_EEDaS1K_S1L_EUlS1K_E_NS1_11comp_targetILNS1_3genE10ELNS1_11target_archE1200ELNS1_3gpuE4ELNS1_3repE0EEENS1_30default_config_static_selectorELNS0_4arch9wavefront6targetE1EEEvSY_,@function
_ZN7rocprim17ROCPRIM_400000_NS6detail17trampoline_kernelINS0_13select_configILj256ELj13ELNS0_17block_load_methodE3ELS4_3ELS4_3ELNS0_20block_scan_algorithmE0ELj4294967295EEENS1_25partition_config_selectorILNS1_17partition_subalgoE3EjNS0_10empty_typeEbEEZZNS1_14partition_implILS8_3ELb0ES6_jNS0_17counting_iteratorIjlEEPS9_SE_NS0_5tupleIJPjSE_EEENSF_IJSE_SE_EEES9_SG_JZNS1_25segmented_radix_sort_implINS0_14default_configELb1EPKsPsPKlPlN2at6native12_GLOBAL__N_18offset_tEEE10hipError_tPvRmT1_PNSt15iterator_traitsISY_E10value_typeET2_T3_PNSZ_IS14_E10value_typeET4_jRbjT5_S1A_jjP12ihipStream_tbEUljE_EEESV_SW_SX_S14_S18_S1A_T6_T7_T9_mT8_S1C_bDpT10_ENKUlT_T0_E_clISt17integral_constantIbLb0EES1P_EEDaS1K_S1L_EUlS1K_E_NS1_11comp_targetILNS1_3genE10ELNS1_11target_archE1200ELNS1_3gpuE4ELNS1_3repE0EEENS1_30default_config_static_selectorELNS0_4arch9wavefront6targetE1EEEvSY_: ; @_ZN7rocprim17ROCPRIM_400000_NS6detail17trampoline_kernelINS0_13select_configILj256ELj13ELNS0_17block_load_methodE3ELS4_3ELS4_3ELNS0_20block_scan_algorithmE0ELj4294967295EEENS1_25partition_config_selectorILNS1_17partition_subalgoE3EjNS0_10empty_typeEbEEZZNS1_14partition_implILS8_3ELb0ES6_jNS0_17counting_iteratorIjlEEPS9_SE_NS0_5tupleIJPjSE_EEENSF_IJSE_SE_EEES9_SG_JZNS1_25segmented_radix_sort_implINS0_14default_configELb1EPKsPsPKlPlN2at6native12_GLOBAL__N_18offset_tEEE10hipError_tPvRmT1_PNSt15iterator_traitsISY_E10value_typeET2_T3_PNSZ_IS14_E10value_typeET4_jRbjT5_S1A_jjP12ihipStream_tbEUljE_EEESV_SW_SX_S14_S18_S1A_T6_T7_T9_mT8_S1C_bDpT10_ENKUlT_T0_E_clISt17integral_constantIbLb0EES1P_EEDaS1K_S1L_EUlS1K_E_NS1_11comp_targetILNS1_3genE10ELNS1_11target_archE1200ELNS1_3gpuE4ELNS1_3repE0EEENS1_30default_config_static_selectorELNS0_4arch9wavefront6targetE1EEEvSY_
; %bb.0:
	.section	.rodata,"a",@progbits
	.p2align	6, 0x0
	.amdhsa_kernel _ZN7rocprim17ROCPRIM_400000_NS6detail17trampoline_kernelINS0_13select_configILj256ELj13ELNS0_17block_load_methodE3ELS4_3ELS4_3ELNS0_20block_scan_algorithmE0ELj4294967295EEENS1_25partition_config_selectorILNS1_17partition_subalgoE3EjNS0_10empty_typeEbEEZZNS1_14partition_implILS8_3ELb0ES6_jNS0_17counting_iteratorIjlEEPS9_SE_NS0_5tupleIJPjSE_EEENSF_IJSE_SE_EEES9_SG_JZNS1_25segmented_radix_sort_implINS0_14default_configELb1EPKsPsPKlPlN2at6native12_GLOBAL__N_18offset_tEEE10hipError_tPvRmT1_PNSt15iterator_traitsISY_E10value_typeET2_T3_PNSZ_IS14_E10value_typeET4_jRbjT5_S1A_jjP12ihipStream_tbEUljE_EEESV_SW_SX_S14_S18_S1A_T6_T7_T9_mT8_S1C_bDpT10_ENKUlT_T0_E_clISt17integral_constantIbLb0EES1P_EEDaS1K_S1L_EUlS1K_E_NS1_11comp_targetILNS1_3genE10ELNS1_11target_archE1200ELNS1_3gpuE4ELNS1_3repE0EEENS1_30default_config_static_selectorELNS0_4arch9wavefront6targetE1EEEvSY_
		.amdhsa_group_segment_fixed_size 0
		.amdhsa_private_segment_fixed_size 0
		.amdhsa_kernarg_size 144
		.amdhsa_user_sgpr_count 6
		.amdhsa_user_sgpr_private_segment_buffer 1
		.amdhsa_user_sgpr_dispatch_ptr 0
		.amdhsa_user_sgpr_queue_ptr 0
		.amdhsa_user_sgpr_kernarg_segment_ptr 1
		.amdhsa_user_sgpr_dispatch_id 0
		.amdhsa_user_sgpr_flat_scratch_init 0
		.amdhsa_user_sgpr_private_segment_size 0
		.amdhsa_uses_dynamic_stack 0
		.amdhsa_system_sgpr_private_segment_wavefront_offset 0
		.amdhsa_system_sgpr_workgroup_id_x 1
		.amdhsa_system_sgpr_workgroup_id_y 0
		.amdhsa_system_sgpr_workgroup_id_z 0
		.amdhsa_system_sgpr_workgroup_info 0
		.amdhsa_system_vgpr_workitem_id 0
		.amdhsa_next_free_vgpr 1
		.amdhsa_next_free_sgpr 0
		.amdhsa_reserve_vcc 0
		.amdhsa_reserve_flat_scratch 0
		.amdhsa_float_round_mode_32 0
		.amdhsa_float_round_mode_16_64 0
		.amdhsa_float_denorm_mode_32 3
		.amdhsa_float_denorm_mode_16_64 3
		.amdhsa_dx10_clamp 1
		.amdhsa_ieee_mode 1
		.amdhsa_fp16_overflow 0
		.amdhsa_exception_fp_ieee_invalid_op 0
		.amdhsa_exception_fp_denorm_src 0
		.amdhsa_exception_fp_ieee_div_zero 0
		.amdhsa_exception_fp_ieee_overflow 0
		.amdhsa_exception_fp_ieee_underflow 0
		.amdhsa_exception_fp_ieee_inexact 0
		.amdhsa_exception_int_div_zero 0
	.end_amdhsa_kernel
	.section	.text._ZN7rocprim17ROCPRIM_400000_NS6detail17trampoline_kernelINS0_13select_configILj256ELj13ELNS0_17block_load_methodE3ELS4_3ELS4_3ELNS0_20block_scan_algorithmE0ELj4294967295EEENS1_25partition_config_selectorILNS1_17partition_subalgoE3EjNS0_10empty_typeEbEEZZNS1_14partition_implILS8_3ELb0ES6_jNS0_17counting_iteratorIjlEEPS9_SE_NS0_5tupleIJPjSE_EEENSF_IJSE_SE_EEES9_SG_JZNS1_25segmented_radix_sort_implINS0_14default_configELb1EPKsPsPKlPlN2at6native12_GLOBAL__N_18offset_tEEE10hipError_tPvRmT1_PNSt15iterator_traitsISY_E10value_typeET2_T3_PNSZ_IS14_E10value_typeET4_jRbjT5_S1A_jjP12ihipStream_tbEUljE_EEESV_SW_SX_S14_S18_S1A_T6_T7_T9_mT8_S1C_bDpT10_ENKUlT_T0_E_clISt17integral_constantIbLb0EES1P_EEDaS1K_S1L_EUlS1K_E_NS1_11comp_targetILNS1_3genE10ELNS1_11target_archE1200ELNS1_3gpuE4ELNS1_3repE0EEENS1_30default_config_static_selectorELNS0_4arch9wavefront6targetE1EEEvSY_,"axG",@progbits,_ZN7rocprim17ROCPRIM_400000_NS6detail17trampoline_kernelINS0_13select_configILj256ELj13ELNS0_17block_load_methodE3ELS4_3ELS4_3ELNS0_20block_scan_algorithmE0ELj4294967295EEENS1_25partition_config_selectorILNS1_17partition_subalgoE3EjNS0_10empty_typeEbEEZZNS1_14partition_implILS8_3ELb0ES6_jNS0_17counting_iteratorIjlEEPS9_SE_NS0_5tupleIJPjSE_EEENSF_IJSE_SE_EEES9_SG_JZNS1_25segmented_radix_sort_implINS0_14default_configELb1EPKsPsPKlPlN2at6native12_GLOBAL__N_18offset_tEEE10hipError_tPvRmT1_PNSt15iterator_traitsISY_E10value_typeET2_T3_PNSZ_IS14_E10value_typeET4_jRbjT5_S1A_jjP12ihipStream_tbEUljE_EEESV_SW_SX_S14_S18_S1A_T6_T7_T9_mT8_S1C_bDpT10_ENKUlT_T0_E_clISt17integral_constantIbLb0EES1P_EEDaS1K_S1L_EUlS1K_E_NS1_11comp_targetILNS1_3genE10ELNS1_11target_archE1200ELNS1_3gpuE4ELNS1_3repE0EEENS1_30default_config_static_selectorELNS0_4arch9wavefront6targetE1EEEvSY_,comdat
.Lfunc_end884:
	.size	_ZN7rocprim17ROCPRIM_400000_NS6detail17trampoline_kernelINS0_13select_configILj256ELj13ELNS0_17block_load_methodE3ELS4_3ELS4_3ELNS0_20block_scan_algorithmE0ELj4294967295EEENS1_25partition_config_selectorILNS1_17partition_subalgoE3EjNS0_10empty_typeEbEEZZNS1_14partition_implILS8_3ELb0ES6_jNS0_17counting_iteratorIjlEEPS9_SE_NS0_5tupleIJPjSE_EEENSF_IJSE_SE_EEES9_SG_JZNS1_25segmented_radix_sort_implINS0_14default_configELb1EPKsPsPKlPlN2at6native12_GLOBAL__N_18offset_tEEE10hipError_tPvRmT1_PNSt15iterator_traitsISY_E10value_typeET2_T3_PNSZ_IS14_E10value_typeET4_jRbjT5_S1A_jjP12ihipStream_tbEUljE_EEESV_SW_SX_S14_S18_S1A_T6_T7_T9_mT8_S1C_bDpT10_ENKUlT_T0_E_clISt17integral_constantIbLb0EES1P_EEDaS1K_S1L_EUlS1K_E_NS1_11comp_targetILNS1_3genE10ELNS1_11target_archE1200ELNS1_3gpuE4ELNS1_3repE0EEENS1_30default_config_static_selectorELNS0_4arch9wavefront6targetE1EEEvSY_, .Lfunc_end884-_ZN7rocprim17ROCPRIM_400000_NS6detail17trampoline_kernelINS0_13select_configILj256ELj13ELNS0_17block_load_methodE3ELS4_3ELS4_3ELNS0_20block_scan_algorithmE0ELj4294967295EEENS1_25partition_config_selectorILNS1_17partition_subalgoE3EjNS0_10empty_typeEbEEZZNS1_14partition_implILS8_3ELb0ES6_jNS0_17counting_iteratorIjlEEPS9_SE_NS0_5tupleIJPjSE_EEENSF_IJSE_SE_EEES9_SG_JZNS1_25segmented_radix_sort_implINS0_14default_configELb1EPKsPsPKlPlN2at6native12_GLOBAL__N_18offset_tEEE10hipError_tPvRmT1_PNSt15iterator_traitsISY_E10value_typeET2_T3_PNSZ_IS14_E10value_typeET4_jRbjT5_S1A_jjP12ihipStream_tbEUljE_EEESV_SW_SX_S14_S18_S1A_T6_T7_T9_mT8_S1C_bDpT10_ENKUlT_T0_E_clISt17integral_constantIbLb0EES1P_EEDaS1K_S1L_EUlS1K_E_NS1_11comp_targetILNS1_3genE10ELNS1_11target_archE1200ELNS1_3gpuE4ELNS1_3repE0EEENS1_30default_config_static_selectorELNS0_4arch9wavefront6targetE1EEEvSY_
                                        ; -- End function
	.set _ZN7rocprim17ROCPRIM_400000_NS6detail17trampoline_kernelINS0_13select_configILj256ELj13ELNS0_17block_load_methodE3ELS4_3ELS4_3ELNS0_20block_scan_algorithmE0ELj4294967295EEENS1_25partition_config_selectorILNS1_17partition_subalgoE3EjNS0_10empty_typeEbEEZZNS1_14partition_implILS8_3ELb0ES6_jNS0_17counting_iteratorIjlEEPS9_SE_NS0_5tupleIJPjSE_EEENSF_IJSE_SE_EEES9_SG_JZNS1_25segmented_radix_sort_implINS0_14default_configELb1EPKsPsPKlPlN2at6native12_GLOBAL__N_18offset_tEEE10hipError_tPvRmT1_PNSt15iterator_traitsISY_E10value_typeET2_T3_PNSZ_IS14_E10value_typeET4_jRbjT5_S1A_jjP12ihipStream_tbEUljE_EEESV_SW_SX_S14_S18_S1A_T6_T7_T9_mT8_S1C_bDpT10_ENKUlT_T0_E_clISt17integral_constantIbLb0EES1P_EEDaS1K_S1L_EUlS1K_E_NS1_11comp_targetILNS1_3genE10ELNS1_11target_archE1200ELNS1_3gpuE4ELNS1_3repE0EEENS1_30default_config_static_selectorELNS0_4arch9wavefront6targetE1EEEvSY_.num_vgpr, 0
	.set _ZN7rocprim17ROCPRIM_400000_NS6detail17trampoline_kernelINS0_13select_configILj256ELj13ELNS0_17block_load_methodE3ELS4_3ELS4_3ELNS0_20block_scan_algorithmE0ELj4294967295EEENS1_25partition_config_selectorILNS1_17partition_subalgoE3EjNS0_10empty_typeEbEEZZNS1_14partition_implILS8_3ELb0ES6_jNS0_17counting_iteratorIjlEEPS9_SE_NS0_5tupleIJPjSE_EEENSF_IJSE_SE_EEES9_SG_JZNS1_25segmented_radix_sort_implINS0_14default_configELb1EPKsPsPKlPlN2at6native12_GLOBAL__N_18offset_tEEE10hipError_tPvRmT1_PNSt15iterator_traitsISY_E10value_typeET2_T3_PNSZ_IS14_E10value_typeET4_jRbjT5_S1A_jjP12ihipStream_tbEUljE_EEESV_SW_SX_S14_S18_S1A_T6_T7_T9_mT8_S1C_bDpT10_ENKUlT_T0_E_clISt17integral_constantIbLb0EES1P_EEDaS1K_S1L_EUlS1K_E_NS1_11comp_targetILNS1_3genE10ELNS1_11target_archE1200ELNS1_3gpuE4ELNS1_3repE0EEENS1_30default_config_static_selectorELNS0_4arch9wavefront6targetE1EEEvSY_.num_agpr, 0
	.set _ZN7rocprim17ROCPRIM_400000_NS6detail17trampoline_kernelINS0_13select_configILj256ELj13ELNS0_17block_load_methodE3ELS4_3ELS4_3ELNS0_20block_scan_algorithmE0ELj4294967295EEENS1_25partition_config_selectorILNS1_17partition_subalgoE3EjNS0_10empty_typeEbEEZZNS1_14partition_implILS8_3ELb0ES6_jNS0_17counting_iteratorIjlEEPS9_SE_NS0_5tupleIJPjSE_EEENSF_IJSE_SE_EEES9_SG_JZNS1_25segmented_radix_sort_implINS0_14default_configELb1EPKsPsPKlPlN2at6native12_GLOBAL__N_18offset_tEEE10hipError_tPvRmT1_PNSt15iterator_traitsISY_E10value_typeET2_T3_PNSZ_IS14_E10value_typeET4_jRbjT5_S1A_jjP12ihipStream_tbEUljE_EEESV_SW_SX_S14_S18_S1A_T6_T7_T9_mT8_S1C_bDpT10_ENKUlT_T0_E_clISt17integral_constantIbLb0EES1P_EEDaS1K_S1L_EUlS1K_E_NS1_11comp_targetILNS1_3genE10ELNS1_11target_archE1200ELNS1_3gpuE4ELNS1_3repE0EEENS1_30default_config_static_selectorELNS0_4arch9wavefront6targetE1EEEvSY_.numbered_sgpr, 0
	.set _ZN7rocprim17ROCPRIM_400000_NS6detail17trampoline_kernelINS0_13select_configILj256ELj13ELNS0_17block_load_methodE3ELS4_3ELS4_3ELNS0_20block_scan_algorithmE0ELj4294967295EEENS1_25partition_config_selectorILNS1_17partition_subalgoE3EjNS0_10empty_typeEbEEZZNS1_14partition_implILS8_3ELb0ES6_jNS0_17counting_iteratorIjlEEPS9_SE_NS0_5tupleIJPjSE_EEENSF_IJSE_SE_EEES9_SG_JZNS1_25segmented_radix_sort_implINS0_14default_configELb1EPKsPsPKlPlN2at6native12_GLOBAL__N_18offset_tEEE10hipError_tPvRmT1_PNSt15iterator_traitsISY_E10value_typeET2_T3_PNSZ_IS14_E10value_typeET4_jRbjT5_S1A_jjP12ihipStream_tbEUljE_EEESV_SW_SX_S14_S18_S1A_T6_T7_T9_mT8_S1C_bDpT10_ENKUlT_T0_E_clISt17integral_constantIbLb0EES1P_EEDaS1K_S1L_EUlS1K_E_NS1_11comp_targetILNS1_3genE10ELNS1_11target_archE1200ELNS1_3gpuE4ELNS1_3repE0EEENS1_30default_config_static_selectorELNS0_4arch9wavefront6targetE1EEEvSY_.num_named_barrier, 0
	.set _ZN7rocprim17ROCPRIM_400000_NS6detail17trampoline_kernelINS0_13select_configILj256ELj13ELNS0_17block_load_methodE3ELS4_3ELS4_3ELNS0_20block_scan_algorithmE0ELj4294967295EEENS1_25partition_config_selectorILNS1_17partition_subalgoE3EjNS0_10empty_typeEbEEZZNS1_14partition_implILS8_3ELb0ES6_jNS0_17counting_iteratorIjlEEPS9_SE_NS0_5tupleIJPjSE_EEENSF_IJSE_SE_EEES9_SG_JZNS1_25segmented_radix_sort_implINS0_14default_configELb1EPKsPsPKlPlN2at6native12_GLOBAL__N_18offset_tEEE10hipError_tPvRmT1_PNSt15iterator_traitsISY_E10value_typeET2_T3_PNSZ_IS14_E10value_typeET4_jRbjT5_S1A_jjP12ihipStream_tbEUljE_EEESV_SW_SX_S14_S18_S1A_T6_T7_T9_mT8_S1C_bDpT10_ENKUlT_T0_E_clISt17integral_constantIbLb0EES1P_EEDaS1K_S1L_EUlS1K_E_NS1_11comp_targetILNS1_3genE10ELNS1_11target_archE1200ELNS1_3gpuE4ELNS1_3repE0EEENS1_30default_config_static_selectorELNS0_4arch9wavefront6targetE1EEEvSY_.private_seg_size, 0
	.set _ZN7rocprim17ROCPRIM_400000_NS6detail17trampoline_kernelINS0_13select_configILj256ELj13ELNS0_17block_load_methodE3ELS4_3ELS4_3ELNS0_20block_scan_algorithmE0ELj4294967295EEENS1_25partition_config_selectorILNS1_17partition_subalgoE3EjNS0_10empty_typeEbEEZZNS1_14partition_implILS8_3ELb0ES6_jNS0_17counting_iteratorIjlEEPS9_SE_NS0_5tupleIJPjSE_EEENSF_IJSE_SE_EEES9_SG_JZNS1_25segmented_radix_sort_implINS0_14default_configELb1EPKsPsPKlPlN2at6native12_GLOBAL__N_18offset_tEEE10hipError_tPvRmT1_PNSt15iterator_traitsISY_E10value_typeET2_T3_PNSZ_IS14_E10value_typeET4_jRbjT5_S1A_jjP12ihipStream_tbEUljE_EEESV_SW_SX_S14_S18_S1A_T6_T7_T9_mT8_S1C_bDpT10_ENKUlT_T0_E_clISt17integral_constantIbLb0EES1P_EEDaS1K_S1L_EUlS1K_E_NS1_11comp_targetILNS1_3genE10ELNS1_11target_archE1200ELNS1_3gpuE4ELNS1_3repE0EEENS1_30default_config_static_selectorELNS0_4arch9wavefront6targetE1EEEvSY_.uses_vcc, 0
	.set _ZN7rocprim17ROCPRIM_400000_NS6detail17trampoline_kernelINS0_13select_configILj256ELj13ELNS0_17block_load_methodE3ELS4_3ELS4_3ELNS0_20block_scan_algorithmE0ELj4294967295EEENS1_25partition_config_selectorILNS1_17partition_subalgoE3EjNS0_10empty_typeEbEEZZNS1_14partition_implILS8_3ELb0ES6_jNS0_17counting_iteratorIjlEEPS9_SE_NS0_5tupleIJPjSE_EEENSF_IJSE_SE_EEES9_SG_JZNS1_25segmented_radix_sort_implINS0_14default_configELb1EPKsPsPKlPlN2at6native12_GLOBAL__N_18offset_tEEE10hipError_tPvRmT1_PNSt15iterator_traitsISY_E10value_typeET2_T3_PNSZ_IS14_E10value_typeET4_jRbjT5_S1A_jjP12ihipStream_tbEUljE_EEESV_SW_SX_S14_S18_S1A_T6_T7_T9_mT8_S1C_bDpT10_ENKUlT_T0_E_clISt17integral_constantIbLb0EES1P_EEDaS1K_S1L_EUlS1K_E_NS1_11comp_targetILNS1_3genE10ELNS1_11target_archE1200ELNS1_3gpuE4ELNS1_3repE0EEENS1_30default_config_static_selectorELNS0_4arch9wavefront6targetE1EEEvSY_.uses_flat_scratch, 0
	.set _ZN7rocprim17ROCPRIM_400000_NS6detail17trampoline_kernelINS0_13select_configILj256ELj13ELNS0_17block_load_methodE3ELS4_3ELS4_3ELNS0_20block_scan_algorithmE0ELj4294967295EEENS1_25partition_config_selectorILNS1_17partition_subalgoE3EjNS0_10empty_typeEbEEZZNS1_14partition_implILS8_3ELb0ES6_jNS0_17counting_iteratorIjlEEPS9_SE_NS0_5tupleIJPjSE_EEENSF_IJSE_SE_EEES9_SG_JZNS1_25segmented_radix_sort_implINS0_14default_configELb1EPKsPsPKlPlN2at6native12_GLOBAL__N_18offset_tEEE10hipError_tPvRmT1_PNSt15iterator_traitsISY_E10value_typeET2_T3_PNSZ_IS14_E10value_typeET4_jRbjT5_S1A_jjP12ihipStream_tbEUljE_EEESV_SW_SX_S14_S18_S1A_T6_T7_T9_mT8_S1C_bDpT10_ENKUlT_T0_E_clISt17integral_constantIbLb0EES1P_EEDaS1K_S1L_EUlS1K_E_NS1_11comp_targetILNS1_3genE10ELNS1_11target_archE1200ELNS1_3gpuE4ELNS1_3repE0EEENS1_30default_config_static_selectorELNS0_4arch9wavefront6targetE1EEEvSY_.has_dyn_sized_stack, 0
	.set _ZN7rocprim17ROCPRIM_400000_NS6detail17trampoline_kernelINS0_13select_configILj256ELj13ELNS0_17block_load_methodE3ELS4_3ELS4_3ELNS0_20block_scan_algorithmE0ELj4294967295EEENS1_25partition_config_selectorILNS1_17partition_subalgoE3EjNS0_10empty_typeEbEEZZNS1_14partition_implILS8_3ELb0ES6_jNS0_17counting_iteratorIjlEEPS9_SE_NS0_5tupleIJPjSE_EEENSF_IJSE_SE_EEES9_SG_JZNS1_25segmented_radix_sort_implINS0_14default_configELb1EPKsPsPKlPlN2at6native12_GLOBAL__N_18offset_tEEE10hipError_tPvRmT1_PNSt15iterator_traitsISY_E10value_typeET2_T3_PNSZ_IS14_E10value_typeET4_jRbjT5_S1A_jjP12ihipStream_tbEUljE_EEESV_SW_SX_S14_S18_S1A_T6_T7_T9_mT8_S1C_bDpT10_ENKUlT_T0_E_clISt17integral_constantIbLb0EES1P_EEDaS1K_S1L_EUlS1K_E_NS1_11comp_targetILNS1_3genE10ELNS1_11target_archE1200ELNS1_3gpuE4ELNS1_3repE0EEENS1_30default_config_static_selectorELNS0_4arch9wavefront6targetE1EEEvSY_.has_recursion, 0
	.set _ZN7rocprim17ROCPRIM_400000_NS6detail17trampoline_kernelINS0_13select_configILj256ELj13ELNS0_17block_load_methodE3ELS4_3ELS4_3ELNS0_20block_scan_algorithmE0ELj4294967295EEENS1_25partition_config_selectorILNS1_17partition_subalgoE3EjNS0_10empty_typeEbEEZZNS1_14partition_implILS8_3ELb0ES6_jNS0_17counting_iteratorIjlEEPS9_SE_NS0_5tupleIJPjSE_EEENSF_IJSE_SE_EEES9_SG_JZNS1_25segmented_radix_sort_implINS0_14default_configELb1EPKsPsPKlPlN2at6native12_GLOBAL__N_18offset_tEEE10hipError_tPvRmT1_PNSt15iterator_traitsISY_E10value_typeET2_T3_PNSZ_IS14_E10value_typeET4_jRbjT5_S1A_jjP12ihipStream_tbEUljE_EEESV_SW_SX_S14_S18_S1A_T6_T7_T9_mT8_S1C_bDpT10_ENKUlT_T0_E_clISt17integral_constantIbLb0EES1P_EEDaS1K_S1L_EUlS1K_E_NS1_11comp_targetILNS1_3genE10ELNS1_11target_archE1200ELNS1_3gpuE4ELNS1_3repE0EEENS1_30default_config_static_selectorELNS0_4arch9wavefront6targetE1EEEvSY_.has_indirect_call, 0
	.section	.AMDGPU.csdata,"",@progbits
; Kernel info:
; codeLenInByte = 0
; TotalNumSgprs: 4
; NumVgprs: 0
; ScratchSize: 0
; MemoryBound: 0
; FloatMode: 240
; IeeeMode: 1
; LDSByteSize: 0 bytes/workgroup (compile time only)
; SGPRBlocks: 0
; VGPRBlocks: 0
; NumSGPRsForWavesPerEU: 4
; NumVGPRsForWavesPerEU: 1
; Occupancy: 10
; WaveLimiterHint : 0
; COMPUTE_PGM_RSRC2:SCRATCH_EN: 0
; COMPUTE_PGM_RSRC2:USER_SGPR: 6
; COMPUTE_PGM_RSRC2:TRAP_HANDLER: 0
; COMPUTE_PGM_RSRC2:TGID_X_EN: 1
; COMPUTE_PGM_RSRC2:TGID_Y_EN: 0
; COMPUTE_PGM_RSRC2:TGID_Z_EN: 0
; COMPUTE_PGM_RSRC2:TIDIG_COMP_CNT: 0
	.section	.text._ZN7rocprim17ROCPRIM_400000_NS6detail17trampoline_kernelINS0_13select_configILj256ELj13ELNS0_17block_load_methodE3ELS4_3ELS4_3ELNS0_20block_scan_algorithmE0ELj4294967295EEENS1_25partition_config_selectorILNS1_17partition_subalgoE3EjNS0_10empty_typeEbEEZZNS1_14partition_implILS8_3ELb0ES6_jNS0_17counting_iteratorIjlEEPS9_SE_NS0_5tupleIJPjSE_EEENSF_IJSE_SE_EEES9_SG_JZNS1_25segmented_radix_sort_implINS0_14default_configELb1EPKsPsPKlPlN2at6native12_GLOBAL__N_18offset_tEEE10hipError_tPvRmT1_PNSt15iterator_traitsISY_E10value_typeET2_T3_PNSZ_IS14_E10value_typeET4_jRbjT5_S1A_jjP12ihipStream_tbEUljE_EEESV_SW_SX_S14_S18_S1A_T6_T7_T9_mT8_S1C_bDpT10_ENKUlT_T0_E_clISt17integral_constantIbLb0EES1P_EEDaS1K_S1L_EUlS1K_E_NS1_11comp_targetILNS1_3genE9ELNS1_11target_archE1100ELNS1_3gpuE3ELNS1_3repE0EEENS1_30default_config_static_selectorELNS0_4arch9wavefront6targetE1EEEvSY_,"axG",@progbits,_ZN7rocprim17ROCPRIM_400000_NS6detail17trampoline_kernelINS0_13select_configILj256ELj13ELNS0_17block_load_methodE3ELS4_3ELS4_3ELNS0_20block_scan_algorithmE0ELj4294967295EEENS1_25partition_config_selectorILNS1_17partition_subalgoE3EjNS0_10empty_typeEbEEZZNS1_14partition_implILS8_3ELb0ES6_jNS0_17counting_iteratorIjlEEPS9_SE_NS0_5tupleIJPjSE_EEENSF_IJSE_SE_EEES9_SG_JZNS1_25segmented_radix_sort_implINS0_14default_configELb1EPKsPsPKlPlN2at6native12_GLOBAL__N_18offset_tEEE10hipError_tPvRmT1_PNSt15iterator_traitsISY_E10value_typeET2_T3_PNSZ_IS14_E10value_typeET4_jRbjT5_S1A_jjP12ihipStream_tbEUljE_EEESV_SW_SX_S14_S18_S1A_T6_T7_T9_mT8_S1C_bDpT10_ENKUlT_T0_E_clISt17integral_constantIbLb0EES1P_EEDaS1K_S1L_EUlS1K_E_NS1_11comp_targetILNS1_3genE9ELNS1_11target_archE1100ELNS1_3gpuE3ELNS1_3repE0EEENS1_30default_config_static_selectorELNS0_4arch9wavefront6targetE1EEEvSY_,comdat
	.globl	_ZN7rocprim17ROCPRIM_400000_NS6detail17trampoline_kernelINS0_13select_configILj256ELj13ELNS0_17block_load_methodE3ELS4_3ELS4_3ELNS0_20block_scan_algorithmE0ELj4294967295EEENS1_25partition_config_selectorILNS1_17partition_subalgoE3EjNS0_10empty_typeEbEEZZNS1_14partition_implILS8_3ELb0ES6_jNS0_17counting_iteratorIjlEEPS9_SE_NS0_5tupleIJPjSE_EEENSF_IJSE_SE_EEES9_SG_JZNS1_25segmented_radix_sort_implINS0_14default_configELb1EPKsPsPKlPlN2at6native12_GLOBAL__N_18offset_tEEE10hipError_tPvRmT1_PNSt15iterator_traitsISY_E10value_typeET2_T3_PNSZ_IS14_E10value_typeET4_jRbjT5_S1A_jjP12ihipStream_tbEUljE_EEESV_SW_SX_S14_S18_S1A_T6_T7_T9_mT8_S1C_bDpT10_ENKUlT_T0_E_clISt17integral_constantIbLb0EES1P_EEDaS1K_S1L_EUlS1K_E_NS1_11comp_targetILNS1_3genE9ELNS1_11target_archE1100ELNS1_3gpuE3ELNS1_3repE0EEENS1_30default_config_static_selectorELNS0_4arch9wavefront6targetE1EEEvSY_ ; -- Begin function _ZN7rocprim17ROCPRIM_400000_NS6detail17trampoline_kernelINS0_13select_configILj256ELj13ELNS0_17block_load_methodE3ELS4_3ELS4_3ELNS0_20block_scan_algorithmE0ELj4294967295EEENS1_25partition_config_selectorILNS1_17partition_subalgoE3EjNS0_10empty_typeEbEEZZNS1_14partition_implILS8_3ELb0ES6_jNS0_17counting_iteratorIjlEEPS9_SE_NS0_5tupleIJPjSE_EEENSF_IJSE_SE_EEES9_SG_JZNS1_25segmented_radix_sort_implINS0_14default_configELb1EPKsPsPKlPlN2at6native12_GLOBAL__N_18offset_tEEE10hipError_tPvRmT1_PNSt15iterator_traitsISY_E10value_typeET2_T3_PNSZ_IS14_E10value_typeET4_jRbjT5_S1A_jjP12ihipStream_tbEUljE_EEESV_SW_SX_S14_S18_S1A_T6_T7_T9_mT8_S1C_bDpT10_ENKUlT_T0_E_clISt17integral_constantIbLb0EES1P_EEDaS1K_S1L_EUlS1K_E_NS1_11comp_targetILNS1_3genE9ELNS1_11target_archE1100ELNS1_3gpuE3ELNS1_3repE0EEENS1_30default_config_static_selectorELNS0_4arch9wavefront6targetE1EEEvSY_
	.p2align	8
	.type	_ZN7rocprim17ROCPRIM_400000_NS6detail17trampoline_kernelINS0_13select_configILj256ELj13ELNS0_17block_load_methodE3ELS4_3ELS4_3ELNS0_20block_scan_algorithmE0ELj4294967295EEENS1_25partition_config_selectorILNS1_17partition_subalgoE3EjNS0_10empty_typeEbEEZZNS1_14partition_implILS8_3ELb0ES6_jNS0_17counting_iteratorIjlEEPS9_SE_NS0_5tupleIJPjSE_EEENSF_IJSE_SE_EEES9_SG_JZNS1_25segmented_radix_sort_implINS0_14default_configELb1EPKsPsPKlPlN2at6native12_GLOBAL__N_18offset_tEEE10hipError_tPvRmT1_PNSt15iterator_traitsISY_E10value_typeET2_T3_PNSZ_IS14_E10value_typeET4_jRbjT5_S1A_jjP12ihipStream_tbEUljE_EEESV_SW_SX_S14_S18_S1A_T6_T7_T9_mT8_S1C_bDpT10_ENKUlT_T0_E_clISt17integral_constantIbLb0EES1P_EEDaS1K_S1L_EUlS1K_E_NS1_11comp_targetILNS1_3genE9ELNS1_11target_archE1100ELNS1_3gpuE3ELNS1_3repE0EEENS1_30default_config_static_selectorELNS0_4arch9wavefront6targetE1EEEvSY_,@function
_ZN7rocprim17ROCPRIM_400000_NS6detail17trampoline_kernelINS0_13select_configILj256ELj13ELNS0_17block_load_methodE3ELS4_3ELS4_3ELNS0_20block_scan_algorithmE0ELj4294967295EEENS1_25partition_config_selectorILNS1_17partition_subalgoE3EjNS0_10empty_typeEbEEZZNS1_14partition_implILS8_3ELb0ES6_jNS0_17counting_iteratorIjlEEPS9_SE_NS0_5tupleIJPjSE_EEENSF_IJSE_SE_EEES9_SG_JZNS1_25segmented_radix_sort_implINS0_14default_configELb1EPKsPsPKlPlN2at6native12_GLOBAL__N_18offset_tEEE10hipError_tPvRmT1_PNSt15iterator_traitsISY_E10value_typeET2_T3_PNSZ_IS14_E10value_typeET4_jRbjT5_S1A_jjP12ihipStream_tbEUljE_EEESV_SW_SX_S14_S18_S1A_T6_T7_T9_mT8_S1C_bDpT10_ENKUlT_T0_E_clISt17integral_constantIbLb0EES1P_EEDaS1K_S1L_EUlS1K_E_NS1_11comp_targetILNS1_3genE9ELNS1_11target_archE1100ELNS1_3gpuE3ELNS1_3repE0EEENS1_30default_config_static_selectorELNS0_4arch9wavefront6targetE1EEEvSY_: ; @_ZN7rocprim17ROCPRIM_400000_NS6detail17trampoline_kernelINS0_13select_configILj256ELj13ELNS0_17block_load_methodE3ELS4_3ELS4_3ELNS0_20block_scan_algorithmE0ELj4294967295EEENS1_25partition_config_selectorILNS1_17partition_subalgoE3EjNS0_10empty_typeEbEEZZNS1_14partition_implILS8_3ELb0ES6_jNS0_17counting_iteratorIjlEEPS9_SE_NS0_5tupleIJPjSE_EEENSF_IJSE_SE_EEES9_SG_JZNS1_25segmented_radix_sort_implINS0_14default_configELb1EPKsPsPKlPlN2at6native12_GLOBAL__N_18offset_tEEE10hipError_tPvRmT1_PNSt15iterator_traitsISY_E10value_typeET2_T3_PNSZ_IS14_E10value_typeET4_jRbjT5_S1A_jjP12ihipStream_tbEUljE_EEESV_SW_SX_S14_S18_S1A_T6_T7_T9_mT8_S1C_bDpT10_ENKUlT_T0_E_clISt17integral_constantIbLb0EES1P_EEDaS1K_S1L_EUlS1K_E_NS1_11comp_targetILNS1_3genE9ELNS1_11target_archE1100ELNS1_3gpuE3ELNS1_3repE0EEENS1_30default_config_static_selectorELNS0_4arch9wavefront6targetE1EEEvSY_
; %bb.0:
	.section	.rodata,"a",@progbits
	.p2align	6, 0x0
	.amdhsa_kernel _ZN7rocprim17ROCPRIM_400000_NS6detail17trampoline_kernelINS0_13select_configILj256ELj13ELNS0_17block_load_methodE3ELS4_3ELS4_3ELNS0_20block_scan_algorithmE0ELj4294967295EEENS1_25partition_config_selectorILNS1_17partition_subalgoE3EjNS0_10empty_typeEbEEZZNS1_14partition_implILS8_3ELb0ES6_jNS0_17counting_iteratorIjlEEPS9_SE_NS0_5tupleIJPjSE_EEENSF_IJSE_SE_EEES9_SG_JZNS1_25segmented_radix_sort_implINS0_14default_configELb1EPKsPsPKlPlN2at6native12_GLOBAL__N_18offset_tEEE10hipError_tPvRmT1_PNSt15iterator_traitsISY_E10value_typeET2_T3_PNSZ_IS14_E10value_typeET4_jRbjT5_S1A_jjP12ihipStream_tbEUljE_EEESV_SW_SX_S14_S18_S1A_T6_T7_T9_mT8_S1C_bDpT10_ENKUlT_T0_E_clISt17integral_constantIbLb0EES1P_EEDaS1K_S1L_EUlS1K_E_NS1_11comp_targetILNS1_3genE9ELNS1_11target_archE1100ELNS1_3gpuE3ELNS1_3repE0EEENS1_30default_config_static_selectorELNS0_4arch9wavefront6targetE1EEEvSY_
		.amdhsa_group_segment_fixed_size 0
		.amdhsa_private_segment_fixed_size 0
		.amdhsa_kernarg_size 144
		.amdhsa_user_sgpr_count 6
		.amdhsa_user_sgpr_private_segment_buffer 1
		.amdhsa_user_sgpr_dispatch_ptr 0
		.amdhsa_user_sgpr_queue_ptr 0
		.amdhsa_user_sgpr_kernarg_segment_ptr 1
		.amdhsa_user_sgpr_dispatch_id 0
		.amdhsa_user_sgpr_flat_scratch_init 0
		.amdhsa_user_sgpr_private_segment_size 0
		.amdhsa_uses_dynamic_stack 0
		.amdhsa_system_sgpr_private_segment_wavefront_offset 0
		.amdhsa_system_sgpr_workgroup_id_x 1
		.amdhsa_system_sgpr_workgroup_id_y 0
		.amdhsa_system_sgpr_workgroup_id_z 0
		.amdhsa_system_sgpr_workgroup_info 0
		.amdhsa_system_vgpr_workitem_id 0
		.amdhsa_next_free_vgpr 1
		.amdhsa_next_free_sgpr 0
		.amdhsa_reserve_vcc 0
		.amdhsa_reserve_flat_scratch 0
		.amdhsa_float_round_mode_32 0
		.amdhsa_float_round_mode_16_64 0
		.amdhsa_float_denorm_mode_32 3
		.amdhsa_float_denorm_mode_16_64 3
		.amdhsa_dx10_clamp 1
		.amdhsa_ieee_mode 1
		.amdhsa_fp16_overflow 0
		.amdhsa_exception_fp_ieee_invalid_op 0
		.amdhsa_exception_fp_denorm_src 0
		.amdhsa_exception_fp_ieee_div_zero 0
		.amdhsa_exception_fp_ieee_overflow 0
		.amdhsa_exception_fp_ieee_underflow 0
		.amdhsa_exception_fp_ieee_inexact 0
		.amdhsa_exception_int_div_zero 0
	.end_amdhsa_kernel
	.section	.text._ZN7rocprim17ROCPRIM_400000_NS6detail17trampoline_kernelINS0_13select_configILj256ELj13ELNS0_17block_load_methodE3ELS4_3ELS4_3ELNS0_20block_scan_algorithmE0ELj4294967295EEENS1_25partition_config_selectorILNS1_17partition_subalgoE3EjNS0_10empty_typeEbEEZZNS1_14partition_implILS8_3ELb0ES6_jNS0_17counting_iteratorIjlEEPS9_SE_NS0_5tupleIJPjSE_EEENSF_IJSE_SE_EEES9_SG_JZNS1_25segmented_radix_sort_implINS0_14default_configELb1EPKsPsPKlPlN2at6native12_GLOBAL__N_18offset_tEEE10hipError_tPvRmT1_PNSt15iterator_traitsISY_E10value_typeET2_T3_PNSZ_IS14_E10value_typeET4_jRbjT5_S1A_jjP12ihipStream_tbEUljE_EEESV_SW_SX_S14_S18_S1A_T6_T7_T9_mT8_S1C_bDpT10_ENKUlT_T0_E_clISt17integral_constantIbLb0EES1P_EEDaS1K_S1L_EUlS1K_E_NS1_11comp_targetILNS1_3genE9ELNS1_11target_archE1100ELNS1_3gpuE3ELNS1_3repE0EEENS1_30default_config_static_selectorELNS0_4arch9wavefront6targetE1EEEvSY_,"axG",@progbits,_ZN7rocprim17ROCPRIM_400000_NS6detail17trampoline_kernelINS0_13select_configILj256ELj13ELNS0_17block_load_methodE3ELS4_3ELS4_3ELNS0_20block_scan_algorithmE0ELj4294967295EEENS1_25partition_config_selectorILNS1_17partition_subalgoE3EjNS0_10empty_typeEbEEZZNS1_14partition_implILS8_3ELb0ES6_jNS0_17counting_iteratorIjlEEPS9_SE_NS0_5tupleIJPjSE_EEENSF_IJSE_SE_EEES9_SG_JZNS1_25segmented_radix_sort_implINS0_14default_configELb1EPKsPsPKlPlN2at6native12_GLOBAL__N_18offset_tEEE10hipError_tPvRmT1_PNSt15iterator_traitsISY_E10value_typeET2_T3_PNSZ_IS14_E10value_typeET4_jRbjT5_S1A_jjP12ihipStream_tbEUljE_EEESV_SW_SX_S14_S18_S1A_T6_T7_T9_mT8_S1C_bDpT10_ENKUlT_T0_E_clISt17integral_constantIbLb0EES1P_EEDaS1K_S1L_EUlS1K_E_NS1_11comp_targetILNS1_3genE9ELNS1_11target_archE1100ELNS1_3gpuE3ELNS1_3repE0EEENS1_30default_config_static_selectorELNS0_4arch9wavefront6targetE1EEEvSY_,comdat
.Lfunc_end885:
	.size	_ZN7rocprim17ROCPRIM_400000_NS6detail17trampoline_kernelINS0_13select_configILj256ELj13ELNS0_17block_load_methodE3ELS4_3ELS4_3ELNS0_20block_scan_algorithmE0ELj4294967295EEENS1_25partition_config_selectorILNS1_17partition_subalgoE3EjNS0_10empty_typeEbEEZZNS1_14partition_implILS8_3ELb0ES6_jNS0_17counting_iteratorIjlEEPS9_SE_NS0_5tupleIJPjSE_EEENSF_IJSE_SE_EEES9_SG_JZNS1_25segmented_radix_sort_implINS0_14default_configELb1EPKsPsPKlPlN2at6native12_GLOBAL__N_18offset_tEEE10hipError_tPvRmT1_PNSt15iterator_traitsISY_E10value_typeET2_T3_PNSZ_IS14_E10value_typeET4_jRbjT5_S1A_jjP12ihipStream_tbEUljE_EEESV_SW_SX_S14_S18_S1A_T6_T7_T9_mT8_S1C_bDpT10_ENKUlT_T0_E_clISt17integral_constantIbLb0EES1P_EEDaS1K_S1L_EUlS1K_E_NS1_11comp_targetILNS1_3genE9ELNS1_11target_archE1100ELNS1_3gpuE3ELNS1_3repE0EEENS1_30default_config_static_selectorELNS0_4arch9wavefront6targetE1EEEvSY_, .Lfunc_end885-_ZN7rocprim17ROCPRIM_400000_NS6detail17trampoline_kernelINS0_13select_configILj256ELj13ELNS0_17block_load_methodE3ELS4_3ELS4_3ELNS0_20block_scan_algorithmE0ELj4294967295EEENS1_25partition_config_selectorILNS1_17partition_subalgoE3EjNS0_10empty_typeEbEEZZNS1_14partition_implILS8_3ELb0ES6_jNS0_17counting_iteratorIjlEEPS9_SE_NS0_5tupleIJPjSE_EEENSF_IJSE_SE_EEES9_SG_JZNS1_25segmented_radix_sort_implINS0_14default_configELb1EPKsPsPKlPlN2at6native12_GLOBAL__N_18offset_tEEE10hipError_tPvRmT1_PNSt15iterator_traitsISY_E10value_typeET2_T3_PNSZ_IS14_E10value_typeET4_jRbjT5_S1A_jjP12ihipStream_tbEUljE_EEESV_SW_SX_S14_S18_S1A_T6_T7_T9_mT8_S1C_bDpT10_ENKUlT_T0_E_clISt17integral_constantIbLb0EES1P_EEDaS1K_S1L_EUlS1K_E_NS1_11comp_targetILNS1_3genE9ELNS1_11target_archE1100ELNS1_3gpuE3ELNS1_3repE0EEENS1_30default_config_static_selectorELNS0_4arch9wavefront6targetE1EEEvSY_
                                        ; -- End function
	.set _ZN7rocprim17ROCPRIM_400000_NS6detail17trampoline_kernelINS0_13select_configILj256ELj13ELNS0_17block_load_methodE3ELS4_3ELS4_3ELNS0_20block_scan_algorithmE0ELj4294967295EEENS1_25partition_config_selectorILNS1_17partition_subalgoE3EjNS0_10empty_typeEbEEZZNS1_14partition_implILS8_3ELb0ES6_jNS0_17counting_iteratorIjlEEPS9_SE_NS0_5tupleIJPjSE_EEENSF_IJSE_SE_EEES9_SG_JZNS1_25segmented_radix_sort_implINS0_14default_configELb1EPKsPsPKlPlN2at6native12_GLOBAL__N_18offset_tEEE10hipError_tPvRmT1_PNSt15iterator_traitsISY_E10value_typeET2_T3_PNSZ_IS14_E10value_typeET4_jRbjT5_S1A_jjP12ihipStream_tbEUljE_EEESV_SW_SX_S14_S18_S1A_T6_T7_T9_mT8_S1C_bDpT10_ENKUlT_T0_E_clISt17integral_constantIbLb0EES1P_EEDaS1K_S1L_EUlS1K_E_NS1_11comp_targetILNS1_3genE9ELNS1_11target_archE1100ELNS1_3gpuE3ELNS1_3repE0EEENS1_30default_config_static_selectorELNS0_4arch9wavefront6targetE1EEEvSY_.num_vgpr, 0
	.set _ZN7rocprim17ROCPRIM_400000_NS6detail17trampoline_kernelINS0_13select_configILj256ELj13ELNS0_17block_load_methodE3ELS4_3ELS4_3ELNS0_20block_scan_algorithmE0ELj4294967295EEENS1_25partition_config_selectorILNS1_17partition_subalgoE3EjNS0_10empty_typeEbEEZZNS1_14partition_implILS8_3ELb0ES6_jNS0_17counting_iteratorIjlEEPS9_SE_NS0_5tupleIJPjSE_EEENSF_IJSE_SE_EEES9_SG_JZNS1_25segmented_radix_sort_implINS0_14default_configELb1EPKsPsPKlPlN2at6native12_GLOBAL__N_18offset_tEEE10hipError_tPvRmT1_PNSt15iterator_traitsISY_E10value_typeET2_T3_PNSZ_IS14_E10value_typeET4_jRbjT5_S1A_jjP12ihipStream_tbEUljE_EEESV_SW_SX_S14_S18_S1A_T6_T7_T9_mT8_S1C_bDpT10_ENKUlT_T0_E_clISt17integral_constantIbLb0EES1P_EEDaS1K_S1L_EUlS1K_E_NS1_11comp_targetILNS1_3genE9ELNS1_11target_archE1100ELNS1_3gpuE3ELNS1_3repE0EEENS1_30default_config_static_selectorELNS0_4arch9wavefront6targetE1EEEvSY_.num_agpr, 0
	.set _ZN7rocprim17ROCPRIM_400000_NS6detail17trampoline_kernelINS0_13select_configILj256ELj13ELNS0_17block_load_methodE3ELS4_3ELS4_3ELNS0_20block_scan_algorithmE0ELj4294967295EEENS1_25partition_config_selectorILNS1_17partition_subalgoE3EjNS0_10empty_typeEbEEZZNS1_14partition_implILS8_3ELb0ES6_jNS0_17counting_iteratorIjlEEPS9_SE_NS0_5tupleIJPjSE_EEENSF_IJSE_SE_EEES9_SG_JZNS1_25segmented_radix_sort_implINS0_14default_configELb1EPKsPsPKlPlN2at6native12_GLOBAL__N_18offset_tEEE10hipError_tPvRmT1_PNSt15iterator_traitsISY_E10value_typeET2_T3_PNSZ_IS14_E10value_typeET4_jRbjT5_S1A_jjP12ihipStream_tbEUljE_EEESV_SW_SX_S14_S18_S1A_T6_T7_T9_mT8_S1C_bDpT10_ENKUlT_T0_E_clISt17integral_constantIbLb0EES1P_EEDaS1K_S1L_EUlS1K_E_NS1_11comp_targetILNS1_3genE9ELNS1_11target_archE1100ELNS1_3gpuE3ELNS1_3repE0EEENS1_30default_config_static_selectorELNS0_4arch9wavefront6targetE1EEEvSY_.numbered_sgpr, 0
	.set _ZN7rocprim17ROCPRIM_400000_NS6detail17trampoline_kernelINS0_13select_configILj256ELj13ELNS0_17block_load_methodE3ELS4_3ELS4_3ELNS0_20block_scan_algorithmE0ELj4294967295EEENS1_25partition_config_selectorILNS1_17partition_subalgoE3EjNS0_10empty_typeEbEEZZNS1_14partition_implILS8_3ELb0ES6_jNS0_17counting_iteratorIjlEEPS9_SE_NS0_5tupleIJPjSE_EEENSF_IJSE_SE_EEES9_SG_JZNS1_25segmented_radix_sort_implINS0_14default_configELb1EPKsPsPKlPlN2at6native12_GLOBAL__N_18offset_tEEE10hipError_tPvRmT1_PNSt15iterator_traitsISY_E10value_typeET2_T3_PNSZ_IS14_E10value_typeET4_jRbjT5_S1A_jjP12ihipStream_tbEUljE_EEESV_SW_SX_S14_S18_S1A_T6_T7_T9_mT8_S1C_bDpT10_ENKUlT_T0_E_clISt17integral_constantIbLb0EES1P_EEDaS1K_S1L_EUlS1K_E_NS1_11comp_targetILNS1_3genE9ELNS1_11target_archE1100ELNS1_3gpuE3ELNS1_3repE0EEENS1_30default_config_static_selectorELNS0_4arch9wavefront6targetE1EEEvSY_.num_named_barrier, 0
	.set _ZN7rocprim17ROCPRIM_400000_NS6detail17trampoline_kernelINS0_13select_configILj256ELj13ELNS0_17block_load_methodE3ELS4_3ELS4_3ELNS0_20block_scan_algorithmE0ELj4294967295EEENS1_25partition_config_selectorILNS1_17partition_subalgoE3EjNS0_10empty_typeEbEEZZNS1_14partition_implILS8_3ELb0ES6_jNS0_17counting_iteratorIjlEEPS9_SE_NS0_5tupleIJPjSE_EEENSF_IJSE_SE_EEES9_SG_JZNS1_25segmented_radix_sort_implINS0_14default_configELb1EPKsPsPKlPlN2at6native12_GLOBAL__N_18offset_tEEE10hipError_tPvRmT1_PNSt15iterator_traitsISY_E10value_typeET2_T3_PNSZ_IS14_E10value_typeET4_jRbjT5_S1A_jjP12ihipStream_tbEUljE_EEESV_SW_SX_S14_S18_S1A_T6_T7_T9_mT8_S1C_bDpT10_ENKUlT_T0_E_clISt17integral_constantIbLb0EES1P_EEDaS1K_S1L_EUlS1K_E_NS1_11comp_targetILNS1_3genE9ELNS1_11target_archE1100ELNS1_3gpuE3ELNS1_3repE0EEENS1_30default_config_static_selectorELNS0_4arch9wavefront6targetE1EEEvSY_.private_seg_size, 0
	.set _ZN7rocprim17ROCPRIM_400000_NS6detail17trampoline_kernelINS0_13select_configILj256ELj13ELNS0_17block_load_methodE3ELS4_3ELS4_3ELNS0_20block_scan_algorithmE0ELj4294967295EEENS1_25partition_config_selectorILNS1_17partition_subalgoE3EjNS0_10empty_typeEbEEZZNS1_14partition_implILS8_3ELb0ES6_jNS0_17counting_iteratorIjlEEPS9_SE_NS0_5tupleIJPjSE_EEENSF_IJSE_SE_EEES9_SG_JZNS1_25segmented_radix_sort_implINS0_14default_configELb1EPKsPsPKlPlN2at6native12_GLOBAL__N_18offset_tEEE10hipError_tPvRmT1_PNSt15iterator_traitsISY_E10value_typeET2_T3_PNSZ_IS14_E10value_typeET4_jRbjT5_S1A_jjP12ihipStream_tbEUljE_EEESV_SW_SX_S14_S18_S1A_T6_T7_T9_mT8_S1C_bDpT10_ENKUlT_T0_E_clISt17integral_constantIbLb0EES1P_EEDaS1K_S1L_EUlS1K_E_NS1_11comp_targetILNS1_3genE9ELNS1_11target_archE1100ELNS1_3gpuE3ELNS1_3repE0EEENS1_30default_config_static_selectorELNS0_4arch9wavefront6targetE1EEEvSY_.uses_vcc, 0
	.set _ZN7rocprim17ROCPRIM_400000_NS6detail17trampoline_kernelINS0_13select_configILj256ELj13ELNS0_17block_load_methodE3ELS4_3ELS4_3ELNS0_20block_scan_algorithmE0ELj4294967295EEENS1_25partition_config_selectorILNS1_17partition_subalgoE3EjNS0_10empty_typeEbEEZZNS1_14partition_implILS8_3ELb0ES6_jNS0_17counting_iteratorIjlEEPS9_SE_NS0_5tupleIJPjSE_EEENSF_IJSE_SE_EEES9_SG_JZNS1_25segmented_radix_sort_implINS0_14default_configELb1EPKsPsPKlPlN2at6native12_GLOBAL__N_18offset_tEEE10hipError_tPvRmT1_PNSt15iterator_traitsISY_E10value_typeET2_T3_PNSZ_IS14_E10value_typeET4_jRbjT5_S1A_jjP12ihipStream_tbEUljE_EEESV_SW_SX_S14_S18_S1A_T6_T7_T9_mT8_S1C_bDpT10_ENKUlT_T0_E_clISt17integral_constantIbLb0EES1P_EEDaS1K_S1L_EUlS1K_E_NS1_11comp_targetILNS1_3genE9ELNS1_11target_archE1100ELNS1_3gpuE3ELNS1_3repE0EEENS1_30default_config_static_selectorELNS0_4arch9wavefront6targetE1EEEvSY_.uses_flat_scratch, 0
	.set _ZN7rocprim17ROCPRIM_400000_NS6detail17trampoline_kernelINS0_13select_configILj256ELj13ELNS0_17block_load_methodE3ELS4_3ELS4_3ELNS0_20block_scan_algorithmE0ELj4294967295EEENS1_25partition_config_selectorILNS1_17partition_subalgoE3EjNS0_10empty_typeEbEEZZNS1_14partition_implILS8_3ELb0ES6_jNS0_17counting_iteratorIjlEEPS9_SE_NS0_5tupleIJPjSE_EEENSF_IJSE_SE_EEES9_SG_JZNS1_25segmented_radix_sort_implINS0_14default_configELb1EPKsPsPKlPlN2at6native12_GLOBAL__N_18offset_tEEE10hipError_tPvRmT1_PNSt15iterator_traitsISY_E10value_typeET2_T3_PNSZ_IS14_E10value_typeET4_jRbjT5_S1A_jjP12ihipStream_tbEUljE_EEESV_SW_SX_S14_S18_S1A_T6_T7_T9_mT8_S1C_bDpT10_ENKUlT_T0_E_clISt17integral_constantIbLb0EES1P_EEDaS1K_S1L_EUlS1K_E_NS1_11comp_targetILNS1_3genE9ELNS1_11target_archE1100ELNS1_3gpuE3ELNS1_3repE0EEENS1_30default_config_static_selectorELNS0_4arch9wavefront6targetE1EEEvSY_.has_dyn_sized_stack, 0
	.set _ZN7rocprim17ROCPRIM_400000_NS6detail17trampoline_kernelINS0_13select_configILj256ELj13ELNS0_17block_load_methodE3ELS4_3ELS4_3ELNS0_20block_scan_algorithmE0ELj4294967295EEENS1_25partition_config_selectorILNS1_17partition_subalgoE3EjNS0_10empty_typeEbEEZZNS1_14partition_implILS8_3ELb0ES6_jNS0_17counting_iteratorIjlEEPS9_SE_NS0_5tupleIJPjSE_EEENSF_IJSE_SE_EEES9_SG_JZNS1_25segmented_radix_sort_implINS0_14default_configELb1EPKsPsPKlPlN2at6native12_GLOBAL__N_18offset_tEEE10hipError_tPvRmT1_PNSt15iterator_traitsISY_E10value_typeET2_T3_PNSZ_IS14_E10value_typeET4_jRbjT5_S1A_jjP12ihipStream_tbEUljE_EEESV_SW_SX_S14_S18_S1A_T6_T7_T9_mT8_S1C_bDpT10_ENKUlT_T0_E_clISt17integral_constantIbLb0EES1P_EEDaS1K_S1L_EUlS1K_E_NS1_11comp_targetILNS1_3genE9ELNS1_11target_archE1100ELNS1_3gpuE3ELNS1_3repE0EEENS1_30default_config_static_selectorELNS0_4arch9wavefront6targetE1EEEvSY_.has_recursion, 0
	.set _ZN7rocprim17ROCPRIM_400000_NS6detail17trampoline_kernelINS0_13select_configILj256ELj13ELNS0_17block_load_methodE3ELS4_3ELS4_3ELNS0_20block_scan_algorithmE0ELj4294967295EEENS1_25partition_config_selectorILNS1_17partition_subalgoE3EjNS0_10empty_typeEbEEZZNS1_14partition_implILS8_3ELb0ES6_jNS0_17counting_iteratorIjlEEPS9_SE_NS0_5tupleIJPjSE_EEENSF_IJSE_SE_EEES9_SG_JZNS1_25segmented_radix_sort_implINS0_14default_configELb1EPKsPsPKlPlN2at6native12_GLOBAL__N_18offset_tEEE10hipError_tPvRmT1_PNSt15iterator_traitsISY_E10value_typeET2_T3_PNSZ_IS14_E10value_typeET4_jRbjT5_S1A_jjP12ihipStream_tbEUljE_EEESV_SW_SX_S14_S18_S1A_T6_T7_T9_mT8_S1C_bDpT10_ENKUlT_T0_E_clISt17integral_constantIbLb0EES1P_EEDaS1K_S1L_EUlS1K_E_NS1_11comp_targetILNS1_3genE9ELNS1_11target_archE1100ELNS1_3gpuE3ELNS1_3repE0EEENS1_30default_config_static_selectorELNS0_4arch9wavefront6targetE1EEEvSY_.has_indirect_call, 0
	.section	.AMDGPU.csdata,"",@progbits
; Kernel info:
; codeLenInByte = 0
; TotalNumSgprs: 4
; NumVgprs: 0
; ScratchSize: 0
; MemoryBound: 0
; FloatMode: 240
; IeeeMode: 1
; LDSByteSize: 0 bytes/workgroup (compile time only)
; SGPRBlocks: 0
; VGPRBlocks: 0
; NumSGPRsForWavesPerEU: 4
; NumVGPRsForWavesPerEU: 1
; Occupancy: 10
; WaveLimiterHint : 0
; COMPUTE_PGM_RSRC2:SCRATCH_EN: 0
; COMPUTE_PGM_RSRC2:USER_SGPR: 6
; COMPUTE_PGM_RSRC2:TRAP_HANDLER: 0
; COMPUTE_PGM_RSRC2:TGID_X_EN: 1
; COMPUTE_PGM_RSRC2:TGID_Y_EN: 0
; COMPUTE_PGM_RSRC2:TGID_Z_EN: 0
; COMPUTE_PGM_RSRC2:TIDIG_COMP_CNT: 0
	.section	.text._ZN7rocprim17ROCPRIM_400000_NS6detail17trampoline_kernelINS0_13select_configILj256ELj13ELNS0_17block_load_methodE3ELS4_3ELS4_3ELNS0_20block_scan_algorithmE0ELj4294967295EEENS1_25partition_config_selectorILNS1_17partition_subalgoE3EjNS0_10empty_typeEbEEZZNS1_14partition_implILS8_3ELb0ES6_jNS0_17counting_iteratorIjlEEPS9_SE_NS0_5tupleIJPjSE_EEENSF_IJSE_SE_EEES9_SG_JZNS1_25segmented_radix_sort_implINS0_14default_configELb1EPKsPsPKlPlN2at6native12_GLOBAL__N_18offset_tEEE10hipError_tPvRmT1_PNSt15iterator_traitsISY_E10value_typeET2_T3_PNSZ_IS14_E10value_typeET4_jRbjT5_S1A_jjP12ihipStream_tbEUljE_EEESV_SW_SX_S14_S18_S1A_T6_T7_T9_mT8_S1C_bDpT10_ENKUlT_T0_E_clISt17integral_constantIbLb0EES1P_EEDaS1K_S1L_EUlS1K_E_NS1_11comp_targetILNS1_3genE8ELNS1_11target_archE1030ELNS1_3gpuE2ELNS1_3repE0EEENS1_30default_config_static_selectorELNS0_4arch9wavefront6targetE1EEEvSY_,"axG",@progbits,_ZN7rocprim17ROCPRIM_400000_NS6detail17trampoline_kernelINS0_13select_configILj256ELj13ELNS0_17block_load_methodE3ELS4_3ELS4_3ELNS0_20block_scan_algorithmE0ELj4294967295EEENS1_25partition_config_selectorILNS1_17partition_subalgoE3EjNS0_10empty_typeEbEEZZNS1_14partition_implILS8_3ELb0ES6_jNS0_17counting_iteratorIjlEEPS9_SE_NS0_5tupleIJPjSE_EEENSF_IJSE_SE_EEES9_SG_JZNS1_25segmented_radix_sort_implINS0_14default_configELb1EPKsPsPKlPlN2at6native12_GLOBAL__N_18offset_tEEE10hipError_tPvRmT1_PNSt15iterator_traitsISY_E10value_typeET2_T3_PNSZ_IS14_E10value_typeET4_jRbjT5_S1A_jjP12ihipStream_tbEUljE_EEESV_SW_SX_S14_S18_S1A_T6_T7_T9_mT8_S1C_bDpT10_ENKUlT_T0_E_clISt17integral_constantIbLb0EES1P_EEDaS1K_S1L_EUlS1K_E_NS1_11comp_targetILNS1_3genE8ELNS1_11target_archE1030ELNS1_3gpuE2ELNS1_3repE0EEENS1_30default_config_static_selectorELNS0_4arch9wavefront6targetE1EEEvSY_,comdat
	.globl	_ZN7rocprim17ROCPRIM_400000_NS6detail17trampoline_kernelINS0_13select_configILj256ELj13ELNS0_17block_load_methodE3ELS4_3ELS4_3ELNS0_20block_scan_algorithmE0ELj4294967295EEENS1_25partition_config_selectorILNS1_17partition_subalgoE3EjNS0_10empty_typeEbEEZZNS1_14partition_implILS8_3ELb0ES6_jNS0_17counting_iteratorIjlEEPS9_SE_NS0_5tupleIJPjSE_EEENSF_IJSE_SE_EEES9_SG_JZNS1_25segmented_radix_sort_implINS0_14default_configELb1EPKsPsPKlPlN2at6native12_GLOBAL__N_18offset_tEEE10hipError_tPvRmT1_PNSt15iterator_traitsISY_E10value_typeET2_T3_PNSZ_IS14_E10value_typeET4_jRbjT5_S1A_jjP12ihipStream_tbEUljE_EEESV_SW_SX_S14_S18_S1A_T6_T7_T9_mT8_S1C_bDpT10_ENKUlT_T0_E_clISt17integral_constantIbLb0EES1P_EEDaS1K_S1L_EUlS1K_E_NS1_11comp_targetILNS1_3genE8ELNS1_11target_archE1030ELNS1_3gpuE2ELNS1_3repE0EEENS1_30default_config_static_selectorELNS0_4arch9wavefront6targetE1EEEvSY_ ; -- Begin function _ZN7rocprim17ROCPRIM_400000_NS6detail17trampoline_kernelINS0_13select_configILj256ELj13ELNS0_17block_load_methodE3ELS4_3ELS4_3ELNS0_20block_scan_algorithmE0ELj4294967295EEENS1_25partition_config_selectorILNS1_17partition_subalgoE3EjNS0_10empty_typeEbEEZZNS1_14partition_implILS8_3ELb0ES6_jNS0_17counting_iteratorIjlEEPS9_SE_NS0_5tupleIJPjSE_EEENSF_IJSE_SE_EEES9_SG_JZNS1_25segmented_radix_sort_implINS0_14default_configELb1EPKsPsPKlPlN2at6native12_GLOBAL__N_18offset_tEEE10hipError_tPvRmT1_PNSt15iterator_traitsISY_E10value_typeET2_T3_PNSZ_IS14_E10value_typeET4_jRbjT5_S1A_jjP12ihipStream_tbEUljE_EEESV_SW_SX_S14_S18_S1A_T6_T7_T9_mT8_S1C_bDpT10_ENKUlT_T0_E_clISt17integral_constantIbLb0EES1P_EEDaS1K_S1L_EUlS1K_E_NS1_11comp_targetILNS1_3genE8ELNS1_11target_archE1030ELNS1_3gpuE2ELNS1_3repE0EEENS1_30default_config_static_selectorELNS0_4arch9wavefront6targetE1EEEvSY_
	.p2align	8
	.type	_ZN7rocprim17ROCPRIM_400000_NS6detail17trampoline_kernelINS0_13select_configILj256ELj13ELNS0_17block_load_methodE3ELS4_3ELS4_3ELNS0_20block_scan_algorithmE0ELj4294967295EEENS1_25partition_config_selectorILNS1_17partition_subalgoE3EjNS0_10empty_typeEbEEZZNS1_14partition_implILS8_3ELb0ES6_jNS0_17counting_iteratorIjlEEPS9_SE_NS0_5tupleIJPjSE_EEENSF_IJSE_SE_EEES9_SG_JZNS1_25segmented_radix_sort_implINS0_14default_configELb1EPKsPsPKlPlN2at6native12_GLOBAL__N_18offset_tEEE10hipError_tPvRmT1_PNSt15iterator_traitsISY_E10value_typeET2_T3_PNSZ_IS14_E10value_typeET4_jRbjT5_S1A_jjP12ihipStream_tbEUljE_EEESV_SW_SX_S14_S18_S1A_T6_T7_T9_mT8_S1C_bDpT10_ENKUlT_T0_E_clISt17integral_constantIbLb0EES1P_EEDaS1K_S1L_EUlS1K_E_NS1_11comp_targetILNS1_3genE8ELNS1_11target_archE1030ELNS1_3gpuE2ELNS1_3repE0EEENS1_30default_config_static_selectorELNS0_4arch9wavefront6targetE1EEEvSY_,@function
_ZN7rocprim17ROCPRIM_400000_NS6detail17trampoline_kernelINS0_13select_configILj256ELj13ELNS0_17block_load_methodE3ELS4_3ELS4_3ELNS0_20block_scan_algorithmE0ELj4294967295EEENS1_25partition_config_selectorILNS1_17partition_subalgoE3EjNS0_10empty_typeEbEEZZNS1_14partition_implILS8_3ELb0ES6_jNS0_17counting_iteratorIjlEEPS9_SE_NS0_5tupleIJPjSE_EEENSF_IJSE_SE_EEES9_SG_JZNS1_25segmented_radix_sort_implINS0_14default_configELb1EPKsPsPKlPlN2at6native12_GLOBAL__N_18offset_tEEE10hipError_tPvRmT1_PNSt15iterator_traitsISY_E10value_typeET2_T3_PNSZ_IS14_E10value_typeET4_jRbjT5_S1A_jjP12ihipStream_tbEUljE_EEESV_SW_SX_S14_S18_S1A_T6_T7_T9_mT8_S1C_bDpT10_ENKUlT_T0_E_clISt17integral_constantIbLb0EES1P_EEDaS1K_S1L_EUlS1K_E_NS1_11comp_targetILNS1_3genE8ELNS1_11target_archE1030ELNS1_3gpuE2ELNS1_3repE0EEENS1_30default_config_static_selectorELNS0_4arch9wavefront6targetE1EEEvSY_: ; @_ZN7rocprim17ROCPRIM_400000_NS6detail17trampoline_kernelINS0_13select_configILj256ELj13ELNS0_17block_load_methodE3ELS4_3ELS4_3ELNS0_20block_scan_algorithmE0ELj4294967295EEENS1_25partition_config_selectorILNS1_17partition_subalgoE3EjNS0_10empty_typeEbEEZZNS1_14partition_implILS8_3ELb0ES6_jNS0_17counting_iteratorIjlEEPS9_SE_NS0_5tupleIJPjSE_EEENSF_IJSE_SE_EEES9_SG_JZNS1_25segmented_radix_sort_implINS0_14default_configELb1EPKsPsPKlPlN2at6native12_GLOBAL__N_18offset_tEEE10hipError_tPvRmT1_PNSt15iterator_traitsISY_E10value_typeET2_T3_PNSZ_IS14_E10value_typeET4_jRbjT5_S1A_jjP12ihipStream_tbEUljE_EEESV_SW_SX_S14_S18_S1A_T6_T7_T9_mT8_S1C_bDpT10_ENKUlT_T0_E_clISt17integral_constantIbLb0EES1P_EEDaS1K_S1L_EUlS1K_E_NS1_11comp_targetILNS1_3genE8ELNS1_11target_archE1030ELNS1_3gpuE2ELNS1_3repE0EEENS1_30default_config_static_selectorELNS0_4arch9wavefront6targetE1EEEvSY_
; %bb.0:
	.section	.rodata,"a",@progbits
	.p2align	6, 0x0
	.amdhsa_kernel _ZN7rocprim17ROCPRIM_400000_NS6detail17trampoline_kernelINS0_13select_configILj256ELj13ELNS0_17block_load_methodE3ELS4_3ELS4_3ELNS0_20block_scan_algorithmE0ELj4294967295EEENS1_25partition_config_selectorILNS1_17partition_subalgoE3EjNS0_10empty_typeEbEEZZNS1_14partition_implILS8_3ELb0ES6_jNS0_17counting_iteratorIjlEEPS9_SE_NS0_5tupleIJPjSE_EEENSF_IJSE_SE_EEES9_SG_JZNS1_25segmented_radix_sort_implINS0_14default_configELb1EPKsPsPKlPlN2at6native12_GLOBAL__N_18offset_tEEE10hipError_tPvRmT1_PNSt15iterator_traitsISY_E10value_typeET2_T3_PNSZ_IS14_E10value_typeET4_jRbjT5_S1A_jjP12ihipStream_tbEUljE_EEESV_SW_SX_S14_S18_S1A_T6_T7_T9_mT8_S1C_bDpT10_ENKUlT_T0_E_clISt17integral_constantIbLb0EES1P_EEDaS1K_S1L_EUlS1K_E_NS1_11comp_targetILNS1_3genE8ELNS1_11target_archE1030ELNS1_3gpuE2ELNS1_3repE0EEENS1_30default_config_static_selectorELNS0_4arch9wavefront6targetE1EEEvSY_
		.amdhsa_group_segment_fixed_size 0
		.amdhsa_private_segment_fixed_size 0
		.amdhsa_kernarg_size 144
		.amdhsa_user_sgpr_count 6
		.amdhsa_user_sgpr_private_segment_buffer 1
		.amdhsa_user_sgpr_dispatch_ptr 0
		.amdhsa_user_sgpr_queue_ptr 0
		.amdhsa_user_sgpr_kernarg_segment_ptr 1
		.amdhsa_user_sgpr_dispatch_id 0
		.amdhsa_user_sgpr_flat_scratch_init 0
		.amdhsa_user_sgpr_private_segment_size 0
		.amdhsa_uses_dynamic_stack 0
		.amdhsa_system_sgpr_private_segment_wavefront_offset 0
		.amdhsa_system_sgpr_workgroup_id_x 1
		.amdhsa_system_sgpr_workgroup_id_y 0
		.amdhsa_system_sgpr_workgroup_id_z 0
		.amdhsa_system_sgpr_workgroup_info 0
		.amdhsa_system_vgpr_workitem_id 0
		.amdhsa_next_free_vgpr 1
		.amdhsa_next_free_sgpr 0
		.amdhsa_reserve_vcc 0
		.amdhsa_reserve_flat_scratch 0
		.amdhsa_float_round_mode_32 0
		.amdhsa_float_round_mode_16_64 0
		.amdhsa_float_denorm_mode_32 3
		.amdhsa_float_denorm_mode_16_64 3
		.amdhsa_dx10_clamp 1
		.amdhsa_ieee_mode 1
		.amdhsa_fp16_overflow 0
		.amdhsa_exception_fp_ieee_invalid_op 0
		.amdhsa_exception_fp_denorm_src 0
		.amdhsa_exception_fp_ieee_div_zero 0
		.amdhsa_exception_fp_ieee_overflow 0
		.amdhsa_exception_fp_ieee_underflow 0
		.amdhsa_exception_fp_ieee_inexact 0
		.amdhsa_exception_int_div_zero 0
	.end_amdhsa_kernel
	.section	.text._ZN7rocprim17ROCPRIM_400000_NS6detail17trampoline_kernelINS0_13select_configILj256ELj13ELNS0_17block_load_methodE3ELS4_3ELS4_3ELNS0_20block_scan_algorithmE0ELj4294967295EEENS1_25partition_config_selectorILNS1_17partition_subalgoE3EjNS0_10empty_typeEbEEZZNS1_14partition_implILS8_3ELb0ES6_jNS0_17counting_iteratorIjlEEPS9_SE_NS0_5tupleIJPjSE_EEENSF_IJSE_SE_EEES9_SG_JZNS1_25segmented_radix_sort_implINS0_14default_configELb1EPKsPsPKlPlN2at6native12_GLOBAL__N_18offset_tEEE10hipError_tPvRmT1_PNSt15iterator_traitsISY_E10value_typeET2_T3_PNSZ_IS14_E10value_typeET4_jRbjT5_S1A_jjP12ihipStream_tbEUljE_EEESV_SW_SX_S14_S18_S1A_T6_T7_T9_mT8_S1C_bDpT10_ENKUlT_T0_E_clISt17integral_constantIbLb0EES1P_EEDaS1K_S1L_EUlS1K_E_NS1_11comp_targetILNS1_3genE8ELNS1_11target_archE1030ELNS1_3gpuE2ELNS1_3repE0EEENS1_30default_config_static_selectorELNS0_4arch9wavefront6targetE1EEEvSY_,"axG",@progbits,_ZN7rocprim17ROCPRIM_400000_NS6detail17trampoline_kernelINS0_13select_configILj256ELj13ELNS0_17block_load_methodE3ELS4_3ELS4_3ELNS0_20block_scan_algorithmE0ELj4294967295EEENS1_25partition_config_selectorILNS1_17partition_subalgoE3EjNS0_10empty_typeEbEEZZNS1_14partition_implILS8_3ELb0ES6_jNS0_17counting_iteratorIjlEEPS9_SE_NS0_5tupleIJPjSE_EEENSF_IJSE_SE_EEES9_SG_JZNS1_25segmented_radix_sort_implINS0_14default_configELb1EPKsPsPKlPlN2at6native12_GLOBAL__N_18offset_tEEE10hipError_tPvRmT1_PNSt15iterator_traitsISY_E10value_typeET2_T3_PNSZ_IS14_E10value_typeET4_jRbjT5_S1A_jjP12ihipStream_tbEUljE_EEESV_SW_SX_S14_S18_S1A_T6_T7_T9_mT8_S1C_bDpT10_ENKUlT_T0_E_clISt17integral_constantIbLb0EES1P_EEDaS1K_S1L_EUlS1K_E_NS1_11comp_targetILNS1_3genE8ELNS1_11target_archE1030ELNS1_3gpuE2ELNS1_3repE0EEENS1_30default_config_static_selectorELNS0_4arch9wavefront6targetE1EEEvSY_,comdat
.Lfunc_end886:
	.size	_ZN7rocprim17ROCPRIM_400000_NS6detail17trampoline_kernelINS0_13select_configILj256ELj13ELNS0_17block_load_methodE3ELS4_3ELS4_3ELNS0_20block_scan_algorithmE0ELj4294967295EEENS1_25partition_config_selectorILNS1_17partition_subalgoE3EjNS0_10empty_typeEbEEZZNS1_14partition_implILS8_3ELb0ES6_jNS0_17counting_iteratorIjlEEPS9_SE_NS0_5tupleIJPjSE_EEENSF_IJSE_SE_EEES9_SG_JZNS1_25segmented_radix_sort_implINS0_14default_configELb1EPKsPsPKlPlN2at6native12_GLOBAL__N_18offset_tEEE10hipError_tPvRmT1_PNSt15iterator_traitsISY_E10value_typeET2_T3_PNSZ_IS14_E10value_typeET4_jRbjT5_S1A_jjP12ihipStream_tbEUljE_EEESV_SW_SX_S14_S18_S1A_T6_T7_T9_mT8_S1C_bDpT10_ENKUlT_T0_E_clISt17integral_constantIbLb0EES1P_EEDaS1K_S1L_EUlS1K_E_NS1_11comp_targetILNS1_3genE8ELNS1_11target_archE1030ELNS1_3gpuE2ELNS1_3repE0EEENS1_30default_config_static_selectorELNS0_4arch9wavefront6targetE1EEEvSY_, .Lfunc_end886-_ZN7rocprim17ROCPRIM_400000_NS6detail17trampoline_kernelINS0_13select_configILj256ELj13ELNS0_17block_load_methodE3ELS4_3ELS4_3ELNS0_20block_scan_algorithmE0ELj4294967295EEENS1_25partition_config_selectorILNS1_17partition_subalgoE3EjNS0_10empty_typeEbEEZZNS1_14partition_implILS8_3ELb0ES6_jNS0_17counting_iteratorIjlEEPS9_SE_NS0_5tupleIJPjSE_EEENSF_IJSE_SE_EEES9_SG_JZNS1_25segmented_radix_sort_implINS0_14default_configELb1EPKsPsPKlPlN2at6native12_GLOBAL__N_18offset_tEEE10hipError_tPvRmT1_PNSt15iterator_traitsISY_E10value_typeET2_T3_PNSZ_IS14_E10value_typeET4_jRbjT5_S1A_jjP12ihipStream_tbEUljE_EEESV_SW_SX_S14_S18_S1A_T6_T7_T9_mT8_S1C_bDpT10_ENKUlT_T0_E_clISt17integral_constantIbLb0EES1P_EEDaS1K_S1L_EUlS1K_E_NS1_11comp_targetILNS1_3genE8ELNS1_11target_archE1030ELNS1_3gpuE2ELNS1_3repE0EEENS1_30default_config_static_selectorELNS0_4arch9wavefront6targetE1EEEvSY_
                                        ; -- End function
	.set _ZN7rocprim17ROCPRIM_400000_NS6detail17trampoline_kernelINS0_13select_configILj256ELj13ELNS0_17block_load_methodE3ELS4_3ELS4_3ELNS0_20block_scan_algorithmE0ELj4294967295EEENS1_25partition_config_selectorILNS1_17partition_subalgoE3EjNS0_10empty_typeEbEEZZNS1_14partition_implILS8_3ELb0ES6_jNS0_17counting_iteratorIjlEEPS9_SE_NS0_5tupleIJPjSE_EEENSF_IJSE_SE_EEES9_SG_JZNS1_25segmented_radix_sort_implINS0_14default_configELb1EPKsPsPKlPlN2at6native12_GLOBAL__N_18offset_tEEE10hipError_tPvRmT1_PNSt15iterator_traitsISY_E10value_typeET2_T3_PNSZ_IS14_E10value_typeET4_jRbjT5_S1A_jjP12ihipStream_tbEUljE_EEESV_SW_SX_S14_S18_S1A_T6_T7_T9_mT8_S1C_bDpT10_ENKUlT_T0_E_clISt17integral_constantIbLb0EES1P_EEDaS1K_S1L_EUlS1K_E_NS1_11comp_targetILNS1_3genE8ELNS1_11target_archE1030ELNS1_3gpuE2ELNS1_3repE0EEENS1_30default_config_static_selectorELNS0_4arch9wavefront6targetE1EEEvSY_.num_vgpr, 0
	.set _ZN7rocprim17ROCPRIM_400000_NS6detail17trampoline_kernelINS0_13select_configILj256ELj13ELNS0_17block_load_methodE3ELS4_3ELS4_3ELNS0_20block_scan_algorithmE0ELj4294967295EEENS1_25partition_config_selectorILNS1_17partition_subalgoE3EjNS0_10empty_typeEbEEZZNS1_14partition_implILS8_3ELb0ES6_jNS0_17counting_iteratorIjlEEPS9_SE_NS0_5tupleIJPjSE_EEENSF_IJSE_SE_EEES9_SG_JZNS1_25segmented_radix_sort_implINS0_14default_configELb1EPKsPsPKlPlN2at6native12_GLOBAL__N_18offset_tEEE10hipError_tPvRmT1_PNSt15iterator_traitsISY_E10value_typeET2_T3_PNSZ_IS14_E10value_typeET4_jRbjT5_S1A_jjP12ihipStream_tbEUljE_EEESV_SW_SX_S14_S18_S1A_T6_T7_T9_mT8_S1C_bDpT10_ENKUlT_T0_E_clISt17integral_constantIbLb0EES1P_EEDaS1K_S1L_EUlS1K_E_NS1_11comp_targetILNS1_3genE8ELNS1_11target_archE1030ELNS1_3gpuE2ELNS1_3repE0EEENS1_30default_config_static_selectorELNS0_4arch9wavefront6targetE1EEEvSY_.num_agpr, 0
	.set _ZN7rocprim17ROCPRIM_400000_NS6detail17trampoline_kernelINS0_13select_configILj256ELj13ELNS0_17block_load_methodE3ELS4_3ELS4_3ELNS0_20block_scan_algorithmE0ELj4294967295EEENS1_25partition_config_selectorILNS1_17partition_subalgoE3EjNS0_10empty_typeEbEEZZNS1_14partition_implILS8_3ELb0ES6_jNS0_17counting_iteratorIjlEEPS9_SE_NS0_5tupleIJPjSE_EEENSF_IJSE_SE_EEES9_SG_JZNS1_25segmented_radix_sort_implINS0_14default_configELb1EPKsPsPKlPlN2at6native12_GLOBAL__N_18offset_tEEE10hipError_tPvRmT1_PNSt15iterator_traitsISY_E10value_typeET2_T3_PNSZ_IS14_E10value_typeET4_jRbjT5_S1A_jjP12ihipStream_tbEUljE_EEESV_SW_SX_S14_S18_S1A_T6_T7_T9_mT8_S1C_bDpT10_ENKUlT_T0_E_clISt17integral_constantIbLb0EES1P_EEDaS1K_S1L_EUlS1K_E_NS1_11comp_targetILNS1_3genE8ELNS1_11target_archE1030ELNS1_3gpuE2ELNS1_3repE0EEENS1_30default_config_static_selectorELNS0_4arch9wavefront6targetE1EEEvSY_.numbered_sgpr, 0
	.set _ZN7rocprim17ROCPRIM_400000_NS6detail17trampoline_kernelINS0_13select_configILj256ELj13ELNS0_17block_load_methodE3ELS4_3ELS4_3ELNS0_20block_scan_algorithmE0ELj4294967295EEENS1_25partition_config_selectorILNS1_17partition_subalgoE3EjNS0_10empty_typeEbEEZZNS1_14partition_implILS8_3ELb0ES6_jNS0_17counting_iteratorIjlEEPS9_SE_NS0_5tupleIJPjSE_EEENSF_IJSE_SE_EEES9_SG_JZNS1_25segmented_radix_sort_implINS0_14default_configELb1EPKsPsPKlPlN2at6native12_GLOBAL__N_18offset_tEEE10hipError_tPvRmT1_PNSt15iterator_traitsISY_E10value_typeET2_T3_PNSZ_IS14_E10value_typeET4_jRbjT5_S1A_jjP12ihipStream_tbEUljE_EEESV_SW_SX_S14_S18_S1A_T6_T7_T9_mT8_S1C_bDpT10_ENKUlT_T0_E_clISt17integral_constantIbLb0EES1P_EEDaS1K_S1L_EUlS1K_E_NS1_11comp_targetILNS1_3genE8ELNS1_11target_archE1030ELNS1_3gpuE2ELNS1_3repE0EEENS1_30default_config_static_selectorELNS0_4arch9wavefront6targetE1EEEvSY_.num_named_barrier, 0
	.set _ZN7rocprim17ROCPRIM_400000_NS6detail17trampoline_kernelINS0_13select_configILj256ELj13ELNS0_17block_load_methodE3ELS4_3ELS4_3ELNS0_20block_scan_algorithmE0ELj4294967295EEENS1_25partition_config_selectorILNS1_17partition_subalgoE3EjNS0_10empty_typeEbEEZZNS1_14partition_implILS8_3ELb0ES6_jNS0_17counting_iteratorIjlEEPS9_SE_NS0_5tupleIJPjSE_EEENSF_IJSE_SE_EEES9_SG_JZNS1_25segmented_radix_sort_implINS0_14default_configELb1EPKsPsPKlPlN2at6native12_GLOBAL__N_18offset_tEEE10hipError_tPvRmT1_PNSt15iterator_traitsISY_E10value_typeET2_T3_PNSZ_IS14_E10value_typeET4_jRbjT5_S1A_jjP12ihipStream_tbEUljE_EEESV_SW_SX_S14_S18_S1A_T6_T7_T9_mT8_S1C_bDpT10_ENKUlT_T0_E_clISt17integral_constantIbLb0EES1P_EEDaS1K_S1L_EUlS1K_E_NS1_11comp_targetILNS1_3genE8ELNS1_11target_archE1030ELNS1_3gpuE2ELNS1_3repE0EEENS1_30default_config_static_selectorELNS0_4arch9wavefront6targetE1EEEvSY_.private_seg_size, 0
	.set _ZN7rocprim17ROCPRIM_400000_NS6detail17trampoline_kernelINS0_13select_configILj256ELj13ELNS0_17block_load_methodE3ELS4_3ELS4_3ELNS0_20block_scan_algorithmE0ELj4294967295EEENS1_25partition_config_selectorILNS1_17partition_subalgoE3EjNS0_10empty_typeEbEEZZNS1_14partition_implILS8_3ELb0ES6_jNS0_17counting_iteratorIjlEEPS9_SE_NS0_5tupleIJPjSE_EEENSF_IJSE_SE_EEES9_SG_JZNS1_25segmented_radix_sort_implINS0_14default_configELb1EPKsPsPKlPlN2at6native12_GLOBAL__N_18offset_tEEE10hipError_tPvRmT1_PNSt15iterator_traitsISY_E10value_typeET2_T3_PNSZ_IS14_E10value_typeET4_jRbjT5_S1A_jjP12ihipStream_tbEUljE_EEESV_SW_SX_S14_S18_S1A_T6_T7_T9_mT8_S1C_bDpT10_ENKUlT_T0_E_clISt17integral_constantIbLb0EES1P_EEDaS1K_S1L_EUlS1K_E_NS1_11comp_targetILNS1_3genE8ELNS1_11target_archE1030ELNS1_3gpuE2ELNS1_3repE0EEENS1_30default_config_static_selectorELNS0_4arch9wavefront6targetE1EEEvSY_.uses_vcc, 0
	.set _ZN7rocprim17ROCPRIM_400000_NS6detail17trampoline_kernelINS0_13select_configILj256ELj13ELNS0_17block_load_methodE3ELS4_3ELS4_3ELNS0_20block_scan_algorithmE0ELj4294967295EEENS1_25partition_config_selectorILNS1_17partition_subalgoE3EjNS0_10empty_typeEbEEZZNS1_14partition_implILS8_3ELb0ES6_jNS0_17counting_iteratorIjlEEPS9_SE_NS0_5tupleIJPjSE_EEENSF_IJSE_SE_EEES9_SG_JZNS1_25segmented_radix_sort_implINS0_14default_configELb1EPKsPsPKlPlN2at6native12_GLOBAL__N_18offset_tEEE10hipError_tPvRmT1_PNSt15iterator_traitsISY_E10value_typeET2_T3_PNSZ_IS14_E10value_typeET4_jRbjT5_S1A_jjP12ihipStream_tbEUljE_EEESV_SW_SX_S14_S18_S1A_T6_T7_T9_mT8_S1C_bDpT10_ENKUlT_T0_E_clISt17integral_constantIbLb0EES1P_EEDaS1K_S1L_EUlS1K_E_NS1_11comp_targetILNS1_3genE8ELNS1_11target_archE1030ELNS1_3gpuE2ELNS1_3repE0EEENS1_30default_config_static_selectorELNS0_4arch9wavefront6targetE1EEEvSY_.uses_flat_scratch, 0
	.set _ZN7rocprim17ROCPRIM_400000_NS6detail17trampoline_kernelINS0_13select_configILj256ELj13ELNS0_17block_load_methodE3ELS4_3ELS4_3ELNS0_20block_scan_algorithmE0ELj4294967295EEENS1_25partition_config_selectorILNS1_17partition_subalgoE3EjNS0_10empty_typeEbEEZZNS1_14partition_implILS8_3ELb0ES6_jNS0_17counting_iteratorIjlEEPS9_SE_NS0_5tupleIJPjSE_EEENSF_IJSE_SE_EEES9_SG_JZNS1_25segmented_radix_sort_implINS0_14default_configELb1EPKsPsPKlPlN2at6native12_GLOBAL__N_18offset_tEEE10hipError_tPvRmT1_PNSt15iterator_traitsISY_E10value_typeET2_T3_PNSZ_IS14_E10value_typeET4_jRbjT5_S1A_jjP12ihipStream_tbEUljE_EEESV_SW_SX_S14_S18_S1A_T6_T7_T9_mT8_S1C_bDpT10_ENKUlT_T0_E_clISt17integral_constantIbLb0EES1P_EEDaS1K_S1L_EUlS1K_E_NS1_11comp_targetILNS1_3genE8ELNS1_11target_archE1030ELNS1_3gpuE2ELNS1_3repE0EEENS1_30default_config_static_selectorELNS0_4arch9wavefront6targetE1EEEvSY_.has_dyn_sized_stack, 0
	.set _ZN7rocprim17ROCPRIM_400000_NS6detail17trampoline_kernelINS0_13select_configILj256ELj13ELNS0_17block_load_methodE3ELS4_3ELS4_3ELNS0_20block_scan_algorithmE0ELj4294967295EEENS1_25partition_config_selectorILNS1_17partition_subalgoE3EjNS0_10empty_typeEbEEZZNS1_14partition_implILS8_3ELb0ES6_jNS0_17counting_iteratorIjlEEPS9_SE_NS0_5tupleIJPjSE_EEENSF_IJSE_SE_EEES9_SG_JZNS1_25segmented_radix_sort_implINS0_14default_configELb1EPKsPsPKlPlN2at6native12_GLOBAL__N_18offset_tEEE10hipError_tPvRmT1_PNSt15iterator_traitsISY_E10value_typeET2_T3_PNSZ_IS14_E10value_typeET4_jRbjT5_S1A_jjP12ihipStream_tbEUljE_EEESV_SW_SX_S14_S18_S1A_T6_T7_T9_mT8_S1C_bDpT10_ENKUlT_T0_E_clISt17integral_constantIbLb0EES1P_EEDaS1K_S1L_EUlS1K_E_NS1_11comp_targetILNS1_3genE8ELNS1_11target_archE1030ELNS1_3gpuE2ELNS1_3repE0EEENS1_30default_config_static_selectorELNS0_4arch9wavefront6targetE1EEEvSY_.has_recursion, 0
	.set _ZN7rocprim17ROCPRIM_400000_NS6detail17trampoline_kernelINS0_13select_configILj256ELj13ELNS0_17block_load_methodE3ELS4_3ELS4_3ELNS0_20block_scan_algorithmE0ELj4294967295EEENS1_25partition_config_selectorILNS1_17partition_subalgoE3EjNS0_10empty_typeEbEEZZNS1_14partition_implILS8_3ELb0ES6_jNS0_17counting_iteratorIjlEEPS9_SE_NS0_5tupleIJPjSE_EEENSF_IJSE_SE_EEES9_SG_JZNS1_25segmented_radix_sort_implINS0_14default_configELb1EPKsPsPKlPlN2at6native12_GLOBAL__N_18offset_tEEE10hipError_tPvRmT1_PNSt15iterator_traitsISY_E10value_typeET2_T3_PNSZ_IS14_E10value_typeET4_jRbjT5_S1A_jjP12ihipStream_tbEUljE_EEESV_SW_SX_S14_S18_S1A_T6_T7_T9_mT8_S1C_bDpT10_ENKUlT_T0_E_clISt17integral_constantIbLb0EES1P_EEDaS1K_S1L_EUlS1K_E_NS1_11comp_targetILNS1_3genE8ELNS1_11target_archE1030ELNS1_3gpuE2ELNS1_3repE0EEENS1_30default_config_static_selectorELNS0_4arch9wavefront6targetE1EEEvSY_.has_indirect_call, 0
	.section	.AMDGPU.csdata,"",@progbits
; Kernel info:
; codeLenInByte = 0
; TotalNumSgprs: 4
; NumVgprs: 0
; ScratchSize: 0
; MemoryBound: 0
; FloatMode: 240
; IeeeMode: 1
; LDSByteSize: 0 bytes/workgroup (compile time only)
; SGPRBlocks: 0
; VGPRBlocks: 0
; NumSGPRsForWavesPerEU: 4
; NumVGPRsForWavesPerEU: 1
; Occupancy: 10
; WaveLimiterHint : 0
; COMPUTE_PGM_RSRC2:SCRATCH_EN: 0
; COMPUTE_PGM_RSRC2:USER_SGPR: 6
; COMPUTE_PGM_RSRC2:TRAP_HANDLER: 0
; COMPUTE_PGM_RSRC2:TGID_X_EN: 1
; COMPUTE_PGM_RSRC2:TGID_Y_EN: 0
; COMPUTE_PGM_RSRC2:TGID_Z_EN: 0
; COMPUTE_PGM_RSRC2:TIDIG_COMP_CNT: 0
	.section	.text._ZN7rocprim17ROCPRIM_400000_NS6detail17trampoline_kernelINS0_13select_configILj256ELj13ELNS0_17block_load_methodE3ELS4_3ELS4_3ELNS0_20block_scan_algorithmE0ELj4294967295EEENS1_25partition_config_selectorILNS1_17partition_subalgoE3EjNS0_10empty_typeEbEEZZNS1_14partition_implILS8_3ELb0ES6_jNS0_17counting_iteratorIjlEEPS9_SE_NS0_5tupleIJPjSE_EEENSF_IJSE_SE_EEES9_SG_JZNS1_25segmented_radix_sort_implINS0_14default_configELb1EPKsPsPKlPlN2at6native12_GLOBAL__N_18offset_tEEE10hipError_tPvRmT1_PNSt15iterator_traitsISY_E10value_typeET2_T3_PNSZ_IS14_E10value_typeET4_jRbjT5_S1A_jjP12ihipStream_tbEUljE_EEESV_SW_SX_S14_S18_S1A_T6_T7_T9_mT8_S1C_bDpT10_ENKUlT_T0_E_clISt17integral_constantIbLb1EES1P_EEDaS1K_S1L_EUlS1K_E_NS1_11comp_targetILNS1_3genE0ELNS1_11target_archE4294967295ELNS1_3gpuE0ELNS1_3repE0EEENS1_30default_config_static_selectorELNS0_4arch9wavefront6targetE1EEEvSY_,"axG",@progbits,_ZN7rocprim17ROCPRIM_400000_NS6detail17trampoline_kernelINS0_13select_configILj256ELj13ELNS0_17block_load_methodE3ELS4_3ELS4_3ELNS0_20block_scan_algorithmE0ELj4294967295EEENS1_25partition_config_selectorILNS1_17partition_subalgoE3EjNS0_10empty_typeEbEEZZNS1_14partition_implILS8_3ELb0ES6_jNS0_17counting_iteratorIjlEEPS9_SE_NS0_5tupleIJPjSE_EEENSF_IJSE_SE_EEES9_SG_JZNS1_25segmented_radix_sort_implINS0_14default_configELb1EPKsPsPKlPlN2at6native12_GLOBAL__N_18offset_tEEE10hipError_tPvRmT1_PNSt15iterator_traitsISY_E10value_typeET2_T3_PNSZ_IS14_E10value_typeET4_jRbjT5_S1A_jjP12ihipStream_tbEUljE_EEESV_SW_SX_S14_S18_S1A_T6_T7_T9_mT8_S1C_bDpT10_ENKUlT_T0_E_clISt17integral_constantIbLb1EES1P_EEDaS1K_S1L_EUlS1K_E_NS1_11comp_targetILNS1_3genE0ELNS1_11target_archE4294967295ELNS1_3gpuE0ELNS1_3repE0EEENS1_30default_config_static_selectorELNS0_4arch9wavefront6targetE1EEEvSY_,comdat
	.globl	_ZN7rocprim17ROCPRIM_400000_NS6detail17trampoline_kernelINS0_13select_configILj256ELj13ELNS0_17block_load_methodE3ELS4_3ELS4_3ELNS0_20block_scan_algorithmE0ELj4294967295EEENS1_25partition_config_selectorILNS1_17partition_subalgoE3EjNS0_10empty_typeEbEEZZNS1_14partition_implILS8_3ELb0ES6_jNS0_17counting_iteratorIjlEEPS9_SE_NS0_5tupleIJPjSE_EEENSF_IJSE_SE_EEES9_SG_JZNS1_25segmented_radix_sort_implINS0_14default_configELb1EPKsPsPKlPlN2at6native12_GLOBAL__N_18offset_tEEE10hipError_tPvRmT1_PNSt15iterator_traitsISY_E10value_typeET2_T3_PNSZ_IS14_E10value_typeET4_jRbjT5_S1A_jjP12ihipStream_tbEUljE_EEESV_SW_SX_S14_S18_S1A_T6_T7_T9_mT8_S1C_bDpT10_ENKUlT_T0_E_clISt17integral_constantIbLb1EES1P_EEDaS1K_S1L_EUlS1K_E_NS1_11comp_targetILNS1_3genE0ELNS1_11target_archE4294967295ELNS1_3gpuE0ELNS1_3repE0EEENS1_30default_config_static_selectorELNS0_4arch9wavefront6targetE1EEEvSY_ ; -- Begin function _ZN7rocprim17ROCPRIM_400000_NS6detail17trampoline_kernelINS0_13select_configILj256ELj13ELNS0_17block_load_methodE3ELS4_3ELS4_3ELNS0_20block_scan_algorithmE0ELj4294967295EEENS1_25partition_config_selectorILNS1_17partition_subalgoE3EjNS0_10empty_typeEbEEZZNS1_14partition_implILS8_3ELb0ES6_jNS0_17counting_iteratorIjlEEPS9_SE_NS0_5tupleIJPjSE_EEENSF_IJSE_SE_EEES9_SG_JZNS1_25segmented_radix_sort_implINS0_14default_configELb1EPKsPsPKlPlN2at6native12_GLOBAL__N_18offset_tEEE10hipError_tPvRmT1_PNSt15iterator_traitsISY_E10value_typeET2_T3_PNSZ_IS14_E10value_typeET4_jRbjT5_S1A_jjP12ihipStream_tbEUljE_EEESV_SW_SX_S14_S18_S1A_T6_T7_T9_mT8_S1C_bDpT10_ENKUlT_T0_E_clISt17integral_constantIbLb1EES1P_EEDaS1K_S1L_EUlS1K_E_NS1_11comp_targetILNS1_3genE0ELNS1_11target_archE4294967295ELNS1_3gpuE0ELNS1_3repE0EEENS1_30default_config_static_selectorELNS0_4arch9wavefront6targetE1EEEvSY_
	.p2align	8
	.type	_ZN7rocprim17ROCPRIM_400000_NS6detail17trampoline_kernelINS0_13select_configILj256ELj13ELNS0_17block_load_methodE3ELS4_3ELS4_3ELNS0_20block_scan_algorithmE0ELj4294967295EEENS1_25partition_config_selectorILNS1_17partition_subalgoE3EjNS0_10empty_typeEbEEZZNS1_14partition_implILS8_3ELb0ES6_jNS0_17counting_iteratorIjlEEPS9_SE_NS0_5tupleIJPjSE_EEENSF_IJSE_SE_EEES9_SG_JZNS1_25segmented_radix_sort_implINS0_14default_configELb1EPKsPsPKlPlN2at6native12_GLOBAL__N_18offset_tEEE10hipError_tPvRmT1_PNSt15iterator_traitsISY_E10value_typeET2_T3_PNSZ_IS14_E10value_typeET4_jRbjT5_S1A_jjP12ihipStream_tbEUljE_EEESV_SW_SX_S14_S18_S1A_T6_T7_T9_mT8_S1C_bDpT10_ENKUlT_T0_E_clISt17integral_constantIbLb1EES1P_EEDaS1K_S1L_EUlS1K_E_NS1_11comp_targetILNS1_3genE0ELNS1_11target_archE4294967295ELNS1_3gpuE0ELNS1_3repE0EEENS1_30default_config_static_selectorELNS0_4arch9wavefront6targetE1EEEvSY_,@function
_ZN7rocprim17ROCPRIM_400000_NS6detail17trampoline_kernelINS0_13select_configILj256ELj13ELNS0_17block_load_methodE3ELS4_3ELS4_3ELNS0_20block_scan_algorithmE0ELj4294967295EEENS1_25partition_config_selectorILNS1_17partition_subalgoE3EjNS0_10empty_typeEbEEZZNS1_14partition_implILS8_3ELb0ES6_jNS0_17counting_iteratorIjlEEPS9_SE_NS0_5tupleIJPjSE_EEENSF_IJSE_SE_EEES9_SG_JZNS1_25segmented_radix_sort_implINS0_14default_configELb1EPKsPsPKlPlN2at6native12_GLOBAL__N_18offset_tEEE10hipError_tPvRmT1_PNSt15iterator_traitsISY_E10value_typeET2_T3_PNSZ_IS14_E10value_typeET4_jRbjT5_S1A_jjP12ihipStream_tbEUljE_EEESV_SW_SX_S14_S18_S1A_T6_T7_T9_mT8_S1C_bDpT10_ENKUlT_T0_E_clISt17integral_constantIbLb1EES1P_EEDaS1K_S1L_EUlS1K_E_NS1_11comp_targetILNS1_3genE0ELNS1_11target_archE4294967295ELNS1_3gpuE0ELNS1_3repE0EEENS1_30default_config_static_selectorELNS0_4arch9wavefront6targetE1EEEvSY_: ; @_ZN7rocprim17ROCPRIM_400000_NS6detail17trampoline_kernelINS0_13select_configILj256ELj13ELNS0_17block_load_methodE3ELS4_3ELS4_3ELNS0_20block_scan_algorithmE0ELj4294967295EEENS1_25partition_config_selectorILNS1_17partition_subalgoE3EjNS0_10empty_typeEbEEZZNS1_14partition_implILS8_3ELb0ES6_jNS0_17counting_iteratorIjlEEPS9_SE_NS0_5tupleIJPjSE_EEENSF_IJSE_SE_EEES9_SG_JZNS1_25segmented_radix_sort_implINS0_14default_configELb1EPKsPsPKlPlN2at6native12_GLOBAL__N_18offset_tEEE10hipError_tPvRmT1_PNSt15iterator_traitsISY_E10value_typeET2_T3_PNSZ_IS14_E10value_typeET4_jRbjT5_S1A_jjP12ihipStream_tbEUljE_EEESV_SW_SX_S14_S18_S1A_T6_T7_T9_mT8_S1C_bDpT10_ENKUlT_T0_E_clISt17integral_constantIbLb1EES1P_EEDaS1K_S1L_EUlS1K_E_NS1_11comp_targetILNS1_3genE0ELNS1_11target_archE4294967295ELNS1_3gpuE0ELNS1_3repE0EEENS1_30default_config_static_selectorELNS0_4arch9wavefront6targetE1EEEvSY_
; %bb.0:
	.section	.rodata,"a",@progbits
	.p2align	6, 0x0
	.amdhsa_kernel _ZN7rocprim17ROCPRIM_400000_NS6detail17trampoline_kernelINS0_13select_configILj256ELj13ELNS0_17block_load_methodE3ELS4_3ELS4_3ELNS0_20block_scan_algorithmE0ELj4294967295EEENS1_25partition_config_selectorILNS1_17partition_subalgoE3EjNS0_10empty_typeEbEEZZNS1_14partition_implILS8_3ELb0ES6_jNS0_17counting_iteratorIjlEEPS9_SE_NS0_5tupleIJPjSE_EEENSF_IJSE_SE_EEES9_SG_JZNS1_25segmented_radix_sort_implINS0_14default_configELb1EPKsPsPKlPlN2at6native12_GLOBAL__N_18offset_tEEE10hipError_tPvRmT1_PNSt15iterator_traitsISY_E10value_typeET2_T3_PNSZ_IS14_E10value_typeET4_jRbjT5_S1A_jjP12ihipStream_tbEUljE_EEESV_SW_SX_S14_S18_S1A_T6_T7_T9_mT8_S1C_bDpT10_ENKUlT_T0_E_clISt17integral_constantIbLb1EES1P_EEDaS1K_S1L_EUlS1K_E_NS1_11comp_targetILNS1_3genE0ELNS1_11target_archE4294967295ELNS1_3gpuE0ELNS1_3repE0EEENS1_30default_config_static_selectorELNS0_4arch9wavefront6targetE1EEEvSY_
		.amdhsa_group_segment_fixed_size 0
		.amdhsa_private_segment_fixed_size 0
		.amdhsa_kernarg_size 152
		.amdhsa_user_sgpr_count 6
		.amdhsa_user_sgpr_private_segment_buffer 1
		.amdhsa_user_sgpr_dispatch_ptr 0
		.amdhsa_user_sgpr_queue_ptr 0
		.amdhsa_user_sgpr_kernarg_segment_ptr 1
		.amdhsa_user_sgpr_dispatch_id 0
		.amdhsa_user_sgpr_flat_scratch_init 0
		.amdhsa_user_sgpr_private_segment_size 0
		.amdhsa_uses_dynamic_stack 0
		.amdhsa_system_sgpr_private_segment_wavefront_offset 0
		.amdhsa_system_sgpr_workgroup_id_x 1
		.amdhsa_system_sgpr_workgroup_id_y 0
		.amdhsa_system_sgpr_workgroup_id_z 0
		.amdhsa_system_sgpr_workgroup_info 0
		.amdhsa_system_vgpr_workitem_id 0
		.amdhsa_next_free_vgpr 1
		.amdhsa_next_free_sgpr 0
		.amdhsa_reserve_vcc 0
		.amdhsa_reserve_flat_scratch 0
		.amdhsa_float_round_mode_32 0
		.amdhsa_float_round_mode_16_64 0
		.amdhsa_float_denorm_mode_32 3
		.amdhsa_float_denorm_mode_16_64 3
		.amdhsa_dx10_clamp 1
		.amdhsa_ieee_mode 1
		.amdhsa_fp16_overflow 0
		.amdhsa_exception_fp_ieee_invalid_op 0
		.amdhsa_exception_fp_denorm_src 0
		.amdhsa_exception_fp_ieee_div_zero 0
		.amdhsa_exception_fp_ieee_overflow 0
		.amdhsa_exception_fp_ieee_underflow 0
		.amdhsa_exception_fp_ieee_inexact 0
		.amdhsa_exception_int_div_zero 0
	.end_amdhsa_kernel
	.section	.text._ZN7rocprim17ROCPRIM_400000_NS6detail17trampoline_kernelINS0_13select_configILj256ELj13ELNS0_17block_load_methodE3ELS4_3ELS4_3ELNS0_20block_scan_algorithmE0ELj4294967295EEENS1_25partition_config_selectorILNS1_17partition_subalgoE3EjNS0_10empty_typeEbEEZZNS1_14partition_implILS8_3ELb0ES6_jNS0_17counting_iteratorIjlEEPS9_SE_NS0_5tupleIJPjSE_EEENSF_IJSE_SE_EEES9_SG_JZNS1_25segmented_radix_sort_implINS0_14default_configELb1EPKsPsPKlPlN2at6native12_GLOBAL__N_18offset_tEEE10hipError_tPvRmT1_PNSt15iterator_traitsISY_E10value_typeET2_T3_PNSZ_IS14_E10value_typeET4_jRbjT5_S1A_jjP12ihipStream_tbEUljE_EEESV_SW_SX_S14_S18_S1A_T6_T7_T9_mT8_S1C_bDpT10_ENKUlT_T0_E_clISt17integral_constantIbLb1EES1P_EEDaS1K_S1L_EUlS1K_E_NS1_11comp_targetILNS1_3genE0ELNS1_11target_archE4294967295ELNS1_3gpuE0ELNS1_3repE0EEENS1_30default_config_static_selectorELNS0_4arch9wavefront6targetE1EEEvSY_,"axG",@progbits,_ZN7rocprim17ROCPRIM_400000_NS6detail17trampoline_kernelINS0_13select_configILj256ELj13ELNS0_17block_load_methodE3ELS4_3ELS4_3ELNS0_20block_scan_algorithmE0ELj4294967295EEENS1_25partition_config_selectorILNS1_17partition_subalgoE3EjNS0_10empty_typeEbEEZZNS1_14partition_implILS8_3ELb0ES6_jNS0_17counting_iteratorIjlEEPS9_SE_NS0_5tupleIJPjSE_EEENSF_IJSE_SE_EEES9_SG_JZNS1_25segmented_radix_sort_implINS0_14default_configELb1EPKsPsPKlPlN2at6native12_GLOBAL__N_18offset_tEEE10hipError_tPvRmT1_PNSt15iterator_traitsISY_E10value_typeET2_T3_PNSZ_IS14_E10value_typeET4_jRbjT5_S1A_jjP12ihipStream_tbEUljE_EEESV_SW_SX_S14_S18_S1A_T6_T7_T9_mT8_S1C_bDpT10_ENKUlT_T0_E_clISt17integral_constantIbLb1EES1P_EEDaS1K_S1L_EUlS1K_E_NS1_11comp_targetILNS1_3genE0ELNS1_11target_archE4294967295ELNS1_3gpuE0ELNS1_3repE0EEENS1_30default_config_static_selectorELNS0_4arch9wavefront6targetE1EEEvSY_,comdat
.Lfunc_end887:
	.size	_ZN7rocprim17ROCPRIM_400000_NS6detail17trampoline_kernelINS0_13select_configILj256ELj13ELNS0_17block_load_methodE3ELS4_3ELS4_3ELNS0_20block_scan_algorithmE0ELj4294967295EEENS1_25partition_config_selectorILNS1_17partition_subalgoE3EjNS0_10empty_typeEbEEZZNS1_14partition_implILS8_3ELb0ES6_jNS0_17counting_iteratorIjlEEPS9_SE_NS0_5tupleIJPjSE_EEENSF_IJSE_SE_EEES9_SG_JZNS1_25segmented_radix_sort_implINS0_14default_configELb1EPKsPsPKlPlN2at6native12_GLOBAL__N_18offset_tEEE10hipError_tPvRmT1_PNSt15iterator_traitsISY_E10value_typeET2_T3_PNSZ_IS14_E10value_typeET4_jRbjT5_S1A_jjP12ihipStream_tbEUljE_EEESV_SW_SX_S14_S18_S1A_T6_T7_T9_mT8_S1C_bDpT10_ENKUlT_T0_E_clISt17integral_constantIbLb1EES1P_EEDaS1K_S1L_EUlS1K_E_NS1_11comp_targetILNS1_3genE0ELNS1_11target_archE4294967295ELNS1_3gpuE0ELNS1_3repE0EEENS1_30default_config_static_selectorELNS0_4arch9wavefront6targetE1EEEvSY_, .Lfunc_end887-_ZN7rocprim17ROCPRIM_400000_NS6detail17trampoline_kernelINS0_13select_configILj256ELj13ELNS0_17block_load_methodE3ELS4_3ELS4_3ELNS0_20block_scan_algorithmE0ELj4294967295EEENS1_25partition_config_selectorILNS1_17partition_subalgoE3EjNS0_10empty_typeEbEEZZNS1_14partition_implILS8_3ELb0ES6_jNS0_17counting_iteratorIjlEEPS9_SE_NS0_5tupleIJPjSE_EEENSF_IJSE_SE_EEES9_SG_JZNS1_25segmented_radix_sort_implINS0_14default_configELb1EPKsPsPKlPlN2at6native12_GLOBAL__N_18offset_tEEE10hipError_tPvRmT1_PNSt15iterator_traitsISY_E10value_typeET2_T3_PNSZ_IS14_E10value_typeET4_jRbjT5_S1A_jjP12ihipStream_tbEUljE_EEESV_SW_SX_S14_S18_S1A_T6_T7_T9_mT8_S1C_bDpT10_ENKUlT_T0_E_clISt17integral_constantIbLb1EES1P_EEDaS1K_S1L_EUlS1K_E_NS1_11comp_targetILNS1_3genE0ELNS1_11target_archE4294967295ELNS1_3gpuE0ELNS1_3repE0EEENS1_30default_config_static_selectorELNS0_4arch9wavefront6targetE1EEEvSY_
                                        ; -- End function
	.set _ZN7rocprim17ROCPRIM_400000_NS6detail17trampoline_kernelINS0_13select_configILj256ELj13ELNS0_17block_load_methodE3ELS4_3ELS4_3ELNS0_20block_scan_algorithmE0ELj4294967295EEENS1_25partition_config_selectorILNS1_17partition_subalgoE3EjNS0_10empty_typeEbEEZZNS1_14partition_implILS8_3ELb0ES6_jNS0_17counting_iteratorIjlEEPS9_SE_NS0_5tupleIJPjSE_EEENSF_IJSE_SE_EEES9_SG_JZNS1_25segmented_radix_sort_implINS0_14default_configELb1EPKsPsPKlPlN2at6native12_GLOBAL__N_18offset_tEEE10hipError_tPvRmT1_PNSt15iterator_traitsISY_E10value_typeET2_T3_PNSZ_IS14_E10value_typeET4_jRbjT5_S1A_jjP12ihipStream_tbEUljE_EEESV_SW_SX_S14_S18_S1A_T6_T7_T9_mT8_S1C_bDpT10_ENKUlT_T0_E_clISt17integral_constantIbLb1EES1P_EEDaS1K_S1L_EUlS1K_E_NS1_11comp_targetILNS1_3genE0ELNS1_11target_archE4294967295ELNS1_3gpuE0ELNS1_3repE0EEENS1_30default_config_static_selectorELNS0_4arch9wavefront6targetE1EEEvSY_.num_vgpr, 0
	.set _ZN7rocprim17ROCPRIM_400000_NS6detail17trampoline_kernelINS0_13select_configILj256ELj13ELNS0_17block_load_methodE3ELS4_3ELS4_3ELNS0_20block_scan_algorithmE0ELj4294967295EEENS1_25partition_config_selectorILNS1_17partition_subalgoE3EjNS0_10empty_typeEbEEZZNS1_14partition_implILS8_3ELb0ES6_jNS0_17counting_iteratorIjlEEPS9_SE_NS0_5tupleIJPjSE_EEENSF_IJSE_SE_EEES9_SG_JZNS1_25segmented_radix_sort_implINS0_14default_configELb1EPKsPsPKlPlN2at6native12_GLOBAL__N_18offset_tEEE10hipError_tPvRmT1_PNSt15iterator_traitsISY_E10value_typeET2_T3_PNSZ_IS14_E10value_typeET4_jRbjT5_S1A_jjP12ihipStream_tbEUljE_EEESV_SW_SX_S14_S18_S1A_T6_T7_T9_mT8_S1C_bDpT10_ENKUlT_T0_E_clISt17integral_constantIbLb1EES1P_EEDaS1K_S1L_EUlS1K_E_NS1_11comp_targetILNS1_3genE0ELNS1_11target_archE4294967295ELNS1_3gpuE0ELNS1_3repE0EEENS1_30default_config_static_selectorELNS0_4arch9wavefront6targetE1EEEvSY_.num_agpr, 0
	.set _ZN7rocprim17ROCPRIM_400000_NS6detail17trampoline_kernelINS0_13select_configILj256ELj13ELNS0_17block_load_methodE3ELS4_3ELS4_3ELNS0_20block_scan_algorithmE0ELj4294967295EEENS1_25partition_config_selectorILNS1_17partition_subalgoE3EjNS0_10empty_typeEbEEZZNS1_14partition_implILS8_3ELb0ES6_jNS0_17counting_iteratorIjlEEPS9_SE_NS0_5tupleIJPjSE_EEENSF_IJSE_SE_EEES9_SG_JZNS1_25segmented_radix_sort_implINS0_14default_configELb1EPKsPsPKlPlN2at6native12_GLOBAL__N_18offset_tEEE10hipError_tPvRmT1_PNSt15iterator_traitsISY_E10value_typeET2_T3_PNSZ_IS14_E10value_typeET4_jRbjT5_S1A_jjP12ihipStream_tbEUljE_EEESV_SW_SX_S14_S18_S1A_T6_T7_T9_mT8_S1C_bDpT10_ENKUlT_T0_E_clISt17integral_constantIbLb1EES1P_EEDaS1K_S1L_EUlS1K_E_NS1_11comp_targetILNS1_3genE0ELNS1_11target_archE4294967295ELNS1_3gpuE0ELNS1_3repE0EEENS1_30default_config_static_selectorELNS0_4arch9wavefront6targetE1EEEvSY_.numbered_sgpr, 0
	.set _ZN7rocprim17ROCPRIM_400000_NS6detail17trampoline_kernelINS0_13select_configILj256ELj13ELNS0_17block_load_methodE3ELS4_3ELS4_3ELNS0_20block_scan_algorithmE0ELj4294967295EEENS1_25partition_config_selectorILNS1_17partition_subalgoE3EjNS0_10empty_typeEbEEZZNS1_14partition_implILS8_3ELb0ES6_jNS0_17counting_iteratorIjlEEPS9_SE_NS0_5tupleIJPjSE_EEENSF_IJSE_SE_EEES9_SG_JZNS1_25segmented_radix_sort_implINS0_14default_configELb1EPKsPsPKlPlN2at6native12_GLOBAL__N_18offset_tEEE10hipError_tPvRmT1_PNSt15iterator_traitsISY_E10value_typeET2_T3_PNSZ_IS14_E10value_typeET4_jRbjT5_S1A_jjP12ihipStream_tbEUljE_EEESV_SW_SX_S14_S18_S1A_T6_T7_T9_mT8_S1C_bDpT10_ENKUlT_T0_E_clISt17integral_constantIbLb1EES1P_EEDaS1K_S1L_EUlS1K_E_NS1_11comp_targetILNS1_3genE0ELNS1_11target_archE4294967295ELNS1_3gpuE0ELNS1_3repE0EEENS1_30default_config_static_selectorELNS0_4arch9wavefront6targetE1EEEvSY_.num_named_barrier, 0
	.set _ZN7rocprim17ROCPRIM_400000_NS6detail17trampoline_kernelINS0_13select_configILj256ELj13ELNS0_17block_load_methodE3ELS4_3ELS4_3ELNS0_20block_scan_algorithmE0ELj4294967295EEENS1_25partition_config_selectorILNS1_17partition_subalgoE3EjNS0_10empty_typeEbEEZZNS1_14partition_implILS8_3ELb0ES6_jNS0_17counting_iteratorIjlEEPS9_SE_NS0_5tupleIJPjSE_EEENSF_IJSE_SE_EEES9_SG_JZNS1_25segmented_radix_sort_implINS0_14default_configELb1EPKsPsPKlPlN2at6native12_GLOBAL__N_18offset_tEEE10hipError_tPvRmT1_PNSt15iterator_traitsISY_E10value_typeET2_T3_PNSZ_IS14_E10value_typeET4_jRbjT5_S1A_jjP12ihipStream_tbEUljE_EEESV_SW_SX_S14_S18_S1A_T6_T7_T9_mT8_S1C_bDpT10_ENKUlT_T0_E_clISt17integral_constantIbLb1EES1P_EEDaS1K_S1L_EUlS1K_E_NS1_11comp_targetILNS1_3genE0ELNS1_11target_archE4294967295ELNS1_3gpuE0ELNS1_3repE0EEENS1_30default_config_static_selectorELNS0_4arch9wavefront6targetE1EEEvSY_.private_seg_size, 0
	.set _ZN7rocprim17ROCPRIM_400000_NS6detail17trampoline_kernelINS0_13select_configILj256ELj13ELNS0_17block_load_methodE3ELS4_3ELS4_3ELNS0_20block_scan_algorithmE0ELj4294967295EEENS1_25partition_config_selectorILNS1_17partition_subalgoE3EjNS0_10empty_typeEbEEZZNS1_14partition_implILS8_3ELb0ES6_jNS0_17counting_iteratorIjlEEPS9_SE_NS0_5tupleIJPjSE_EEENSF_IJSE_SE_EEES9_SG_JZNS1_25segmented_radix_sort_implINS0_14default_configELb1EPKsPsPKlPlN2at6native12_GLOBAL__N_18offset_tEEE10hipError_tPvRmT1_PNSt15iterator_traitsISY_E10value_typeET2_T3_PNSZ_IS14_E10value_typeET4_jRbjT5_S1A_jjP12ihipStream_tbEUljE_EEESV_SW_SX_S14_S18_S1A_T6_T7_T9_mT8_S1C_bDpT10_ENKUlT_T0_E_clISt17integral_constantIbLb1EES1P_EEDaS1K_S1L_EUlS1K_E_NS1_11comp_targetILNS1_3genE0ELNS1_11target_archE4294967295ELNS1_3gpuE0ELNS1_3repE0EEENS1_30default_config_static_selectorELNS0_4arch9wavefront6targetE1EEEvSY_.uses_vcc, 0
	.set _ZN7rocprim17ROCPRIM_400000_NS6detail17trampoline_kernelINS0_13select_configILj256ELj13ELNS0_17block_load_methodE3ELS4_3ELS4_3ELNS0_20block_scan_algorithmE0ELj4294967295EEENS1_25partition_config_selectorILNS1_17partition_subalgoE3EjNS0_10empty_typeEbEEZZNS1_14partition_implILS8_3ELb0ES6_jNS0_17counting_iteratorIjlEEPS9_SE_NS0_5tupleIJPjSE_EEENSF_IJSE_SE_EEES9_SG_JZNS1_25segmented_radix_sort_implINS0_14default_configELb1EPKsPsPKlPlN2at6native12_GLOBAL__N_18offset_tEEE10hipError_tPvRmT1_PNSt15iterator_traitsISY_E10value_typeET2_T3_PNSZ_IS14_E10value_typeET4_jRbjT5_S1A_jjP12ihipStream_tbEUljE_EEESV_SW_SX_S14_S18_S1A_T6_T7_T9_mT8_S1C_bDpT10_ENKUlT_T0_E_clISt17integral_constantIbLb1EES1P_EEDaS1K_S1L_EUlS1K_E_NS1_11comp_targetILNS1_3genE0ELNS1_11target_archE4294967295ELNS1_3gpuE0ELNS1_3repE0EEENS1_30default_config_static_selectorELNS0_4arch9wavefront6targetE1EEEvSY_.uses_flat_scratch, 0
	.set _ZN7rocprim17ROCPRIM_400000_NS6detail17trampoline_kernelINS0_13select_configILj256ELj13ELNS0_17block_load_methodE3ELS4_3ELS4_3ELNS0_20block_scan_algorithmE0ELj4294967295EEENS1_25partition_config_selectorILNS1_17partition_subalgoE3EjNS0_10empty_typeEbEEZZNS1_14partition_implILS8_3ELb0ES6_jNS0_17counting_iteratorIjlEEPS9_SE_NS0_5tupleIJPjSE_EEENSF_IJSE_SE_EEES9_SG_JZNS1_25segmented_radix_sort_implINS0_14default_configELb1EPKsPsPKlPlN2at6native12_GLOBAL__N_18offset_tEEE10hipError_tPvRmT1_PNSt15iterator_traitsISY_E10value_typeET2_T3_PNSZ_IS14_E10value_typeET4_jRbjT5_S1A_jjP12ihipStream_tbEUljE_EEESV_SW_SX_S14_S18_S1A_T6_T7_T9_mT8_S1C_bDpT10_ENKUlT_T0_E_clISt17integral_constantIbLb1EES1P_EEDaS1K_S1L_EUlS1K_E_NS1_11comp_targetILNS1_3genE0ELNS1_11target_archE4294967295ELNS1_3gpuE0ELNS1_3repE0EEENS1_30default_config_static_selectorELNS0_4arch9wavefront6targetE1EEEvSY_.has_dyn_sized_stack, 0
	.set _ZN7rocprim17ROCPRIM_400000_NS6detail17trampoline_kernelINS0_13select_configILj256ELj13ELNS0_17block_load_methodE3ELS4_3ELS4_3ELNS0_20block_scan_algorithmE0ELj4294967295EEENS1_25partition_config_selectorILNS1_17partition_subalgoE3EjNS0_10empty_typeEbEEZZNS1_14partition_implILS8_3ELb0ES6_jNS0_17counting_iteratorIjlEEPS9_SE_NS0_5tupleIJPjSE_EEENSF_IJSE_SE_EEES9_SG_JZNS1_25segmented_radix_sort_implINS0_14default_configELb1EPKsPsPKlPlN2at6native12_GLOBAL__N_18offset_tEEE10hipError_tPvRmT1_PNSt15iterator_traitsISY_E10value_typeET2_T3_PNSZ_IS14_E10value_typeET4_jRbjT5_S1A_jjP12ihipStream_tbEUljE_EEESV_SW_SX_S14_S18_S1A_T6_T7_T9_mT8_S1C_bDpT10_ENKUlT_T0_E_clISt17integral_constantIbLb1EES1P_EEDaS1K_S1L_EUlS1K_E_NS1_11comp_targetILNS1_3genE0ELNS1_11target_archE4294967295ELNS1_3gpuE0ELNS1_3repE0EEENS1_30default_config_static_selectorELNS0_4arch9wavefront6targetE1EEEvSY_.has_recursion, 0
	.set _ZN7rocprim17ROCPRIM_400000_NS6detail17trampoline_kernelINS0_13select_configILj256ELj13ELNS0_17block_load_methodE3ELS4_3ELS4_3ELNS0_20block_scan_algorithmE0ELj4294967295EEENS1_25partition_config_selectorILNS1_17partition_subalgoE3EjNS0_10empty_typeEbEEZZNS1_14partition_implILS8_3ELb0ES6_jNS0_17counting_iteratorIjlEEPS9_SE_NS0_5tupleIJPjSE_EEENSF_IJSE_SE_EEES9_SG_JZNS1_25segmented_radix_sort_implINS0_14default_configELb1EPKsPsPKlPlN2at6native12_GLOBAL__N_18offset_tEEE10hipError_tPvRmT1_PNSt15iterator_traitsISY_E10value_typeET2_T3_PNSZ_IS14_E10value_typeET4_jRbjT5_S1A_jjP12ihipStream_tbEUljE_EEESV_SW_SX_S14_S18_S1A_T6_T7_T9_mT8_S1C_bDpT10_ENKUlT_T0_E_clISt17integral_constantIbLb1EES1P_EEDaS1K_S1L_EUlS1K_E_NS1_11comp_targetILNS1_3genE0ELNS1_11target_archE4294967295ELNS1_3gpuE0ELNS1_3repE0EEENS1_30default_config_static_selectorELNS0_4arch9wavefront6targetE1EEEvSY_.has_indirect_call, 0
	.section	.AMDGPU.csdata,"",@progbits
; Kernel info:
; codeLenInByte = 0
; TotalNumSgprs: 4
; NumVgprs: 0
; ScratchSize: 0
; MemoryBound: 0
; FloatMode: 240
; IeeeMode: 1
; LDSByteSize: 0 bytes/workgroup (compile time only)
; SGPRBlocks: 0
; VGPRBlocks: 0
; NumSGPRsForWavesPerEU: 4
; NumVGPRsForWavesPerEU: 1
; Occupancy: 10
; WaveLimiterHint : 0
; COMPUTE_PGM_RSRC2:SCRATCH_EN: 0
; COMPUTE_PGM_RSRC2:USER_SGPR: 6
; COMPUTE_PGM_RSRC2:TRAP_HANDLER: 0
; COMPUTE_PGM_RSRC2:TGID_X_EN: 1
; COMPUTE_PGM_RSRC2:TGID_Y_EN: 0
; COMPUTE_PGM_RSRC2:TGID_Z_EN: 0
; COMPUTE_PGM_RSRC2:TIDIG_COMP_CNT: 0
	.section	.text._ZN7rocprim17ROCPRIM_400000_NS6detail17trampoline_kernelINS0_13select_configILj256ELj13ELNS0_17block_load_methodE3ELS4_3ELS4_3ELNS0_20block_scan_algorithmE0ELj4294967295EEENS1_25partition_config_selectorILNS1_17partition_subalgoE3EjNS0_10empty_typeEbEEZZNS1_14partition_implILS8_3ELb0ES6_jNS0_17counting_iteratorIjlEEPS9_SE_NS0_5tupleIJPjSE_EEENSF_IJSE_SE_EEES9_SG_JZNS1_25segmented_radix_sort_implINS0_14default_configELb1EPKsPsPKlPlN2at6native12_GLOBAL__N_18offset_tEEE10hipError_tPvRmT1_PNSt15iterator_traitsISY_E10value_typeET2_T3_PNSZ_IS14_E10value_typeET4_jRbjT5_S1A_jjP12ihipStream_tbEUljE_EEESV_SW_SX_S14_S18_S1A_T6_T7_T9_mT8_S1C_bDpT10_ENKUlT_T0_E_clISt17integral_constantIbLb1EES1P_EEDaS1K_S1L_EUlS1K_E_NS1_11comp_targetILNS1_3genE5ELNS1_11target_archE942ELNS1_3gpuE9ELNS1_3repE0EEENS1_30default_config_static_selectorELNS0_4arch9wavefront6targetE1EEEvSY_,"axG",@progbits,_ZN7rocprim17ROCPRIM_400000_NS6detail17trampoline_kernelINS0_13select_configILj256ELj13ELNS0_17block_load_methodE3ELS4_3ELS4_3ELNS0_20block_scan_algorithmE0ELj4294967295EEENS1_25partition_config_selectorILNS1_17partition_subalgoE3EjNS0_10empty_typeEbEEZZNS1_14partition_implILS8_3ELb0ES6_jNS0_17counting_iteratorIjlEEPS9_SE_NS0_5tupleIJPjSE_EEENSF_IJSE_SE_EEES9_SG_JZNS1_25segmented_radix_sort_implINS0_14default_configELb1EPKsPsPKlPlN2at6native12_GLOBAL__N_18offset_tEEE10hipError_tPvRmT1_PNSt15iterator_traitsISY_E10value_typeET2_T3_PNSZ_IS14_E10value_typeET4_jRbjT5_S1A_jjP12ihipStream_tbEUljE_EEESV_SW_SX_S14_S18_S1A_T6_T7_T9_mT8_S1C_bDpT10_ENKUlT_T0_E_clISt17integral_constantIbLb1EES1P_EEDaS1K_S1L_EUlS1K_E_NS1_11comp_targetILNS1_3genE5ELNS1_11target_archE942ELNS1_3gpuE9ELNS1_3repE0EEENS1_30default_config_static_selectorELNS0_4arch9wavefront6targetE1EEEvSY_,comdat
	.globl	_ZN7rocprim17ROCPRIM_400000_NS6detail17trampoline_kernelINS0_13select_configILj256ELj13ELNS0_17block_load_methodE3ELS4_3ELS4_3ELNS0_20block_scan_algorithmE0ELj4294967295EEENS1_25partition_config_selectorILNS1_17partition_subalgoE3EjNS0_10empty_typeEbEEZZNS1_14partition_implILS8_3ELb0ES6_jNS0_17counting_iteratorIjlEEPS9_SE_NS0_5tupleIJPjSE_EEENSF_IJSE_SE_EEES9_SG_JZNS1_25segmented_radix_sort_implINS0_14default_configELb1EPKsPsPKlPlN2at6native12_GLOBAL__N_18offset_tEEE10hipError_tPvRmT1_PNSt15iterator_traitsISY_E10value_typeET2_T3_PNSZ_IS14_E10value_typeET4_jRbjT5_S1A_jjP12ihipStream_tbEUljE_EEESV_SW_SX_S14_S18_S1A_T6_T7_T9_mT8_S1C_bDpT10_ENKUlT_T0_E_clISt17integral_constantIbLb1EES1P_EEDaS1K_S1L_EUlS1K_E_NS1_11comp_targetILNS1_3genE5ELNS1_11target_archE942ELNS1_3gpuE9ELNS1_3repE0EEENS1_30default_config_static_selectorELNS0_4arch9wavefront6targetE1EEEvSY_ ; -- Begin function _ZN7rocprim17ROCPRIM_400000_NS6detail17trampoline_kernelINS0_13select_configILj256ELj13ELNS0_17block_load_methodE3ELS4_3ELS4_3ELNS0_20block_scan_algorithmE0ELj4294967295EEENS1_25partition_config_selectorILNS1_17partition_subalgoE3EjNS0_10empty_typeEbEEZZNS1_14partition_implILS8_3ELb0ES6_jNS0_17counting_iteratorIjlEEPS9_SE_NS0_5tupleIJPjSE_EEENSF_IJSE_SE_EEES9_SG_JZNS1_25segmented_radix_sort_implINS0_14default_configELb1EPKsPsPKlPlN2at6native12_GLOBAL__N_18offset_tEEE10hipError_tPvRmT1_PNSt15iterator_traitsISY_E10value_typeET2_T3_PNSZ_IS14_E10value_typeET4_jRbjT5_S1A_jjP12ihipStream_tbEUljE_EEESV_SW_SX_S14_S18_S1A_T6_T7_T9_mT8_S1C_bDpT10_ENKUlT_T0_E_clISt17integral_constantIbLb1EES1P_EEDaS1K_S1L_EUlS1K_E_NS1_11comp_targetILNS1_3genE5ELNS1_11target_archE942ELNS1_3gpuE9ELNS1_3repE0EEENS1_30default_config_static_selectorELNS0_4arch9wavefront6targetE1EEEvSY_
	.p2align	8
	.type	_ZN7rocprim17ROCPRIM_400000_NS6detail17trampoline_kernelINS0_13select_configILj256ELj13ELNS0_17block_load_methodE3ELS4_3ELS4_3ELNS0_20block_scan_algorithmE0ELj4294967295EEENS1_25partition_config_selectorILNS1_17partition_subalgoE3EjNS0_10empty_typeEbEEZZNS1_14partition_implILS8_3ELb0ES6_jNS0_17counting_iteratorIjlEEPS9_SE_NS0_5tupleIJPjSE_EEENSF_IJSE_SE_EEES9_SG_JZNS1_25segmented_radix_sort_implINS0_14default_configELb1EPKsPsPKlPlN2at6native12_GLOBAL__N_18offset_tEEE10hipError_tPvRmT1_PNSt15iterator_traitsISY_E10value_typeET2_T3_PNSZ_IS14_E10value_typeET4_jRbjT5_S1A_jjP12ihipStream_tbEUljE_EEESV_SW_SX_S14_S18_S1A_T6_T7_T9_mT8_S1C_bDpT10_ENKUlT_T0_E_clISt17integral_constantIbLb1EES1P_EEDaS1K_S1L_EUlS1K_E_NS1_11comp_targetILNS1_3genE5ELNS1_11target_archE942ELNS1_3gpuE9ELNS1_3repE0EEENS1_30default_config_static_selectorELNS0_4arch9wavefront6targetE1EEEvSY_,@function
_ZN7rocprim17ROCPRIM_400000_NS6detail17trampoline_kernelINS0_13select_configILj256ELj13ELNS0_17block_load_methodE3ELS4_3ELS4_3ELNS0_20block_scan_algorithmE0ELj4294967295EEENS1_25partition_config_selectorILNS1_17partition_subalgoE3EjNS0_10empty_typeEbEEZZNS1_14partition_implILS8_3ELb0ES6_jNS0_17counting_iteratorIjlEEPS9_SE_NS0_5tupleIJPjSE_EEENSF_IJSE_SE_EEES9_SG_JZNS1_25segmented_radix_sort_implINS0_14default_configELb1EPKsPsPKlPlN2at6native12_GLOBAL__N_18offset_tEEE10hipError_tPvRmT1_PNSt15iterator_traitsISY_E10value_typeET2_T3_PNSZ_IS14_E10value_typeET4_jRbjT5_S1A_jjP12ihipStream_tbEUljE_EEESV_SW_SX_S14_S18_S1A_T6_T7_T9_mT8_S1C_bDpT10_ENKUlT_T0_E_clISt17integral_constantIbLb1EES1P_EEDaS1K_S1L_EUlS1K_E_NS1_11comp_targetILNS1_3genE5ELNS1_11target_archE942ELNS1_3gpuE9ELNS1_3repE0EEENS1_30default_config_static_selectorELNS0_4arch9wavefront6targetE1EEEvSY_: ; @_ZN7rocprim17ROCPRIM_400000_NS6detail17trampoline_kernelINS0_13select_configILj256ELj13ELNS0_17block_load_methodE3ELS4_3ELS4_3ELNS0_20block_scan_algorithmE0ELj4294967295EEENS1_25partition_config_selectorILNS1_17partition_subalgoE3EjNS0_10empty_typeEbEEZZNS1_14partition_implILS8_3ELb0ES6_jNS0_17counting_iteratorIjlEEPS9_SE_NS0_5tupleIJPjSE_EEENSF_IJSE_SE_EEES9_SG_JZNS1_25segmented_radix_sort_implINS0_14default_configELb1EPKsPsPKlPlN2at6native12_GLOBAL__N_18offset_tEEE10hipError_tPvRmT1_PNSt15iterator_traitsISY_E10value_typeET2_T3_PNSZ_IS14_E10value_typeET4_jRbjT5_S1A_jjP12ihipStream_tbEUljE_EEESV_SW_SX_S14_S18_S1A_T6_T7_T9_mT8_S1C_bDpT10_ENKUlT_T0_E_clISt17integral_constantIbLb1EES1P_EEDaS1K_S1L_EUlS1K_E_NS1_11comp_targetILNS1_3genE5ELNS1_11target_archE942ELNS1_3gpuE9ELNS1_3repE0EEENS1_30default_config_static_selectorELNS0_4arch9wavefront6targetE1EEEvSY_
; %bb.0:
	.section	.rodata,"a",@progbits
	.p2align	6, 0x0
	.amdhsa_kernel _ZN7rocprim17ROCPRIM_400000_NS6detail17trampoline_kernelINS0_13select_configILj256ELj13ELNS0_17block_load_methodE3ELS4_3ELS4_3ELNS0_20block_scan_algorithmE0ELj4294967295EEENS1_25partition_config_selectorILNS1_17partition_subalgoE3EjNS0_10empty_typeEbEEZZNS1_14partition_implILS8_3ELb0ES6_jNS0_17counting_iteratorIjlEEPS9_SE_NS0_5tupleIJPjSE_EEENSF_IJSE_SE_EEES9_SG_JZNS1_25segmented_radix_sort_implINS0_14default_configELb1EPKsPsPKlPlN2at6native12_GLOBAL__N_18offset_tEEE10hipError_tPvRmT1_PNSt15iterator_traitsISY_E10value_typeET2_T3_PNSZ_IS14_E10value_typeET4_jRbjT5_S1A_jjP12ihipStream_tbEUljE_EEESV_SW_SX_S14_S18_S1A_T6_T7_T9_mT8_S1C_bDpT10_ENKUlT_T0_E_clISt17integral_constantIbLb1EES1P_EEDaS1K_S1L_EUlS1K_E_NS1_11comp_targetILNS1_3genE5ELNS1_11target_archE942ELNS1_3gpuE9ELNS1_3repE0EEENS1_30default_config_static_selectorELNS0_4arch9wavefront6targetE1EEEvSY_
		.amdhsa_group_segment_fixed_size 0
		.amdhsa_private_segment_fixed_size 0
		.amdhsa_kernarg_size 152
		.amdhsa_user_sgpr_count 6
		.amdhsa_user_sgpr_private_segment_buffer 1
		.amdhsa_user_sgpr_dispatch_ptr 0
		.amdhsa_user_sgpr_queue_ptr 0
		.amdhsa_user_sgpr_kernarg_segment_ptr 1
		.amdhsa_user_sgpr_dispatch_id 0
		.amdhsa_user_sgpr_flat_scratch_init 0
		.amdhsa_user_sgpr_private_segment_size 0
		.amdhsa_uses_dynamic_stack 0
		.amdhsa_system_sgpr_private_segment_wavefront_offset 0
		.amdhsa_system_sgpr_workgroup_id_x 1
		.amdhsa_system_sgpr_workgroup_id_y 0
		.amdhsa_system_sgpr_workgroup_id_z 0
		.amdhsa_system_sgpr_workgroup_info 0
		.amdhsa_system_vgpr_workitem_id 0
		.amdhsa_next_free_vgpr 1
		.amdhsa_next_free_sgpr 0
		.amdhsa_reserve_vcc 0
		.amdhsa_reserve_flat_scratch 0
		.amdhsa_float_round_mode_32 0
		.amdhsa_float_round_mode_16_64 0
		.amdhsa_float_denorm_mode_32 3
		.amdhsa_float_denorm_mode_16_64 3
		.amdhsa_dx10_clamp 1
		.amdhsa_ieee_mode 1
		.amdhsa_fp16_overflow 0
		.amdhsa_exception_fp_ieee_invalid_op 0
		.amdhsa_exception_fp_denorm_src 0
		.amdhsa_exception_fp_ieee_div_zero 0
		.amdhsa_exception_fp_ieee_overflow 0
		.amdhsa_exception_fp_ieee_underflow 0
		.amdhsa_exception_fp_ieee_inexact 0
		.amdhsa_exception_int_div_zero 0
	.end_amdhsa_kernel
	.section	.text._ZN7rocprim17ROCPRIM_400000_NS6detail17trampoline_kernelINS0_13select_configILj256ELj13ELNS0_17block_load_methodE3ELS4_3ELS4_3ELNS0_20block_scan_algorithmE0ELj4294967295EEENS1_25partition_config_selectorILNS1_17partition_subalgoE3EjNS0_10empty_typeEbEEZZNS1_14partition_implILS8_3ELb0ES6_jNS0_17counting_iteratorIjlEEPS9_SE_NS0_5tupleIJPjSE_EEENSF_IJSE_SE_EEES9_SG_JZNS1_25segmented_radix_sort_implINS0_14default_configELb1EPKsPsPKlPlN2at6native12_GLOBAL__N_18offset_tEEE10hipError_tPvRmT1_PNSt15iterator_traitsISY_E10value_typeET2_T3_PNSZ_IS14_E10value_typeET4_jRbjT5_S1A_jjP12ihipStream_tbEUljE_EEESV_SW_SX_S14_S18_S1A_T6_T7_T9_mT8_S1C_bDpT10_ENKUlT_T0_E_clISt17integral_constantIbLb1EES1P_EEDaS1K_S1L_EUlS1K_E_NS1_11comp_targetILNS1_3genE5ELNS1_11target_archE942ELNS1_3gpuE9ELNS1_3repE0EEENS1_30default_config_static_selectorELNS0_4arch9wavefront6targetE1EEEvSY_,"axG",@progbits,_ZN7rocprim17ROCPRIM_400000_NS6detail17trampoline_kernelINS0_13select_configILj256ELj13ELNS0_17block_load_methodE3ELS4_3ELS4_3ELNS0_20block_scan_algorithmE0ELj4294967295EEENS1_25partition_config_selectorILNS1_17partition_subalgoE3EjNS0_10empty_typeEbEEZZNS1_14partition_implILS8_3ELb0ES6_jNS0_17counting_iteratorIjlEEPS9_SE_NS0_5tupleIJPjSE_EEENSF_IJSE_SE_EEES9_SG_JZNS1_25segmented_radix_sort_implINS0_14default_configELb1EPKsPsPKlPlN2at6native12_GLOBAL__N_18offset_tEEE10hipError_tPvRmT1_PNSt15iterator_traitsISY_E10value_typeET2_T3_PNSZ_IS14_E10value_typeET4_jRbjT5_S1A_jjP12ihipStream_tbEUljE_EEESV_SW_SX_S14_S18_S1A_T6_T7_T9_mT8_S1C_bDpT10_ENKUlT_T0_E_clISt17integral_constantIbLb1EES1P_EEDaS1K_S1L_EUlS1K_E_NS1_11comp_targetILNS1_3genE5ELNS1_11target_archE942ELNS1_3gpuE9ELNS1_3repE0EEENS1_30default_config_static_selectorELNS0_4arch9wavefront6targetE1EEEvSY_,comdat
.Lfunc_end888:
	.size	_ZN7rocprim17ROCPRIM_400000_NS6detail17trampoline_kernelINS0_13select_configILj256ELj13ELNS0_17block_load_methodE3ELS4_3ELS4_3ELNS0_20block_scan_algorithmE0ELj4294967295EEENS1_25partition_config_selectorILNS1_17partition_subalgoE3EjNS0_10empty_typeEbEEZZNS1_14partition_implILS8_3ELb0ES6_jNS0_17counting_iteratorIjlEEPS9_SE_NS0_5tupleIJPjSE_EEENSF_IJSE_SE_EEES9_SG_JZNS1_25segmented_radix_sort_implINS0_14default_configELb1EPKsPsPKlPlN2at6native12_GLOBAL__N_18offset_tEEE10hipError_tPvRmT1_PNSt15iterator_traitsISY_E10value_typeET2_T3_PNSZ_IS14_E10value_typeET4_jRbjT5_S1A_jjP12ihipStream_tbEUljE_EEESV_SW_SX_S14_S18_S1A_T6_T7_T9_mT8_S1C_bDpT10_ENKUlT_T0_E_clISt17integral_constantIbLb1EES1P_EEDaS1K_S1L_EUlS1K_E_NS1_11comp_targetILNS1_3genE5ELNS1_11target_archE942ELNS1_3gpuE9ELNS1_3repE0EEENS1_30default_config_static_selectorELNS0_4arch9wavefront6targetE1EEEvSY_, .Lfunc_end888-_ZN7rocprim17ROCPRIM_400000_NS6detail17trampoline_kernelINS0_13select_configILj256ELj13ELNS0_17block_load_methodE3ELS4_3ELS4_3ELNS0_20block_scan_algorithmE0ELj4294967295EEENS1_25partition_config_selectorILNS1_17partition_subalgoE3EjNS0_10empty_typeEbEEZZNS1_14partition_implILS8_3ELb0ES6_jNS0_17counting_iteratorIjlEEPS9_SE_NS0_5tupleIJPjSE_EEENSF_IJSE_SE_EEES9_SG_JZNS1_25segmented_radix_sort_implINS0_14default_configELb1EPKsPsPKlPlN2at6native12_GLOBAL__N_18offset_tEEE10hipError_tPvRmT1_PNSt15iterator_traitsISY_E10value_typeET2_T3_PNSZ_IS14_E10value_typeET4_jRbjT5_S1A_jjP12ihipStream_tbEUljE_EEESV_SW_SX_S14_S18_S1A_T6_T7_T9_mT8_S1C_bDpT10_ENKUlT_T0_E_clISt17integral_constantIbLb1EES1P_EEDaS1K_S1L_EUlS1K_E_NS1_11comp_targetILNS1_3genE5ELNS1_11target_archE942ELNS1_3gpuE9ELNS1_3repE0EEENS1_30default_config_static_selectorELNS0_4arch9wavefront6targetE1EEEvSY_
                                        ; -- End function
	.set _ZN7rocprim17ROCPRIM_400000_NS6detail17trampoline_kernelINS0_13select_configILj256ELj13ELNS0_17block_load_methodE3ELS4_3ELS4_3ELNS0_20block_scan_algorithmE0ELj4294967295EEENS1_25partition_config_selectorILNS1_17partition_subalgoE3EjNS0_10empty_typeEbEEZZNS1_14partition_implILS8_3ELb0ES6_jNS0_17counting_iteratorIjlEEPS9_SE_NS0_5tupleIJPjSE_EEENSF_IJSE_SE_EEES9_SG_JZNS1_25segmented_radix_sort_implINS0_14default_configELb1EPKsPsPKlPlN2at6native12_GLOBAL__N_18offset_tEEE10hipError_tPvRmT1_PNSt15iterator_traitsISY_E10value_typeET2_T3_PNSZ_IS14_E10value_typeET4_jRbjT5_S1A_jjP12ihipStream_tbEUljE_EEESV_SW_SX_S14_S18_S1A_T6_T7_T9_mT8_S1C_bDpT10_ENKUlT_T0_E_clISt17integral_constantIbLb1EES1P_EEDaS1K_S1L_EUlS1K_E_NS1_11comp_targetILNS1_3genE5ELNS1_11target_archE942ELNS1_3gpuE9ELNS1_3repE0EEENS1_30default_config_static_selectorELNS0_4arch9wavefront6targetE1EEEvSY_.num_vgpr, 0
	.set _ZN7rocprim17ROCPRIM_400000_NS6detail17trampoline_kernelINS0_13select_configILj256ELj13ELNS0_17block_load_methodE3ELS4_3ELS4_3ELNS0_20block_scan_algorithmE0ELj4294967295EEENS1_25partition_config_selectorILNS1_17partition_subalgoE3EjNS0_10empty_typeEbEEZZNS1_14partition_implILS8_3ELb0ES6_jNS0_17counting_iteratorIjlEEPS9_SE_NS0_5tupleIJPjSE_EEENSF_IJSE_SE_EEES9_SG_JZNS1_25segmented_radix_sort_implINS0_14default_configELb1EPKsPsPKlPlN2at6native12_GLOBAL__N_18offset_tEEE10hipError_tPvRmT1_PNSt15iterator_traitsISY_E10value_typeET2_T3_PNSZ_IS14_E10value_typeET4_jRbjT5_S1A_jjP12ihipStream_tbEUljE_EEESV_SW_SX_S14_S18_S1A_T6_T7_T9_mT8_S1C_bDpT10_ENKUlT_T0_E_clISt17integral_constantIbLb1EES1P_EEDaS1K_S1L_EUlS1K_E_NS1_11comp_targetILNS1_3genE5ELNS1_11target_archE942ELNS1_3gpuE9ELNS1_3repE0EEENS1_30default_config_static_selectorELNS0_4arch9wavefront6targetE1EEEvSY_.num_agpr, 0
	.set _ZN7rocprim17ROCPRIM_400000_NS6detail17trampoline_kernelINS0_13select_configILj256ELj13ELNS0_17block_load_methodE3ELS4_3ELS4_3ELNS0_20block_scan_algorithmE0ELj4294967295EEENS1_25partition_config_selectorILNS1_17partition_subalgoE3EjNS0_10empty_typeEbEEZZNS1_14partition_implILS8_3ELb0ES6_jNS0_17counting_iteratorIjlEEPS9_SE_NS0_5tupleIJPjSE_EEENSF_IJSE_SE_EEES9_SG_JZNS1_25segmented_radix_sort_implINS0_14default_configELb1EPKsPsPKlPlN2at6native12_GLOBAL__N_18offset_tEEE10hipError_tPvRmT1_PNSt15iterator_traitsISY_E10value_typeET2_T3_PNSZ_IS14_E10value_typeET4_jRbjT5_S1A_jjP12ihipStream_tbEUljE_EEESV_SW_SX_S14_S18_S1A_T6_T7_T9_mT8_S1C_bDpT10_ENKUlT_T0_E_clISt17integral_constantIbLb1EES1P_EEDaS1K_S1L_EUlS1K_E_NS1_11comp_targetILNS1_3genE5ELNS1_11target_archE942ELNS1_3gpuE9ELNS1_3repE0EEENS1_30default_config_static_selectorELNS0_4arch9wavefront6targetE1EEEvSY_.numbered_sgpr, 0
	.set _ZN7rocprim17ROCPRIM_400000_NS6detail17trampoline_kernelINS0_13select_configILj256ELj13ELNS0_17block_load_methodE3ELS4_3ELS4_3ELNS0_20block_scan_algorithmE0ELj4294967295EEENS1_25partition_config_selectorILNS1_17partition_subalgoE3EjNS0_10empty_typeEbEEZZNS1_14partition_implILS8_3ELb0ES6_jNS0_17counting_iteratorIjlEEPS9_SE_NS0_5tupleIJPjSE_EEENSF_IJSE_SE_EEES9_SG_JZNS1_25segmented_radix_sort_implINS0_14default_configELb1EPKsPsPKlPlN2at6native12_GLOBAL__N_18offset_tEEE10hipError_tPvRmT1_PNSt15iterator_traitsISY_E10value_typeET2_T3_PNSZ_IS14_E10value_typeET4_jRbjT5_S1A_jjP12ihipStream_tbEUljE_EEESV_SW_SX_S14_S18_S1A_T6_T7_T9_mT8_S1C_bDpT10_ENKUlT_T0_E_clISt17integral_constantIbLb1EES1P_EEDaS1K_S1L_EUlS1K_E_NS1_11comp_targetILNS1_3genE5ELNS1_11target_archE942ELNS1_3gpuE9ELNS1_3repE0EEENS1_30default_config_static_selectorELNS0_4arch9wavefront6targetE1EEEvSY_.num_named_barrier, 0
	.set _ZN7rocprim17ROCPRIM_400000_NS6detail17trampoline_kernelINS0_13select_configILj256ELj13ELNS0_17block_load_methodE3ELS4_3ELS4_3ELNS0_20block_scan_algorithmE0ELj4294967295EEENS1_25partition_config_selectorILNS1_17partition_subalgoE3EjNS0_10empty_typeEbEEZZNS1_14partition_implILS8_3ELb0ES6_jNS0_17counting_iteratorIjlEEPS9_SE_NS0_5tupleIJPjSE_EEENSF_IJSE_SE_EEES9_SG_JZNS1_25segmented_radix_sort_implINS0_14default_configELb1EPKsPsPKlPlN2at6native12_GLOBAL__N_18offset_tEEE10hipError_tPvRmT1_PNSt15iterator_traitsISY_E10value_typeET2_T3_PNSZ_IS14_E10value_typeET4_jRbjT5_S1A_jjP12ihipStream_tbEUljE_EEESV_SW_SX_S14_S18_S1A_T6_T7_T9_mT8_S1C_bDpT10_ENKUlT_T0_E_clISt17integral_constantIbLb1EES1P_EEDaS1K_S1L_EUlS1K_E_NS1_11comp_targetILNS1_3genE5ELNS1_11target_archE942ELNS1_3gpuE9ELNS1_3repE0EEENS1_30default_config_static_selectorELNS0_4arch9wavefront6targetE1EEEvSY_.private_seg_size, 0
	.set _ZN7rocprim17ROCPRIM_400000_NS6detail17trampoline_kernelINS0_13select_configILj256ELj13ELNS0_17block_load_methodE3ELS4_3ELS4_3ELNS0_20block_scan_algorithmE0ELj4294967295EEENS1_25partition_config_selectorILNS1_17partition_subalgoE3EjNS0_10empty_typeEbEEZZNS1_14partition_implILS8_3ELb0ES6_jNS0_17counting_iteratorIjlEEPS9_SE_NS0_5tupleIJPjSE_EEENSF_IJSE_SE_EEES9_SG_JZNS1_25segmented_radix_sort_implINS0_14default_configELb1EPKsPsPKlPlN2at6native12_GLOBAL__N_18offset_tEEE10hipError_tPvRmT1_PNSt15iterator_traitsISY_E10value_typeET2_T3_PNSZ_IS14_E10value_typeET4_jRbjT5_S1A_jjP12ihipStream_tbEUljE_EEESV_SW_SX_S14_S18_S1A_T6_T7_T9_mT8_S1C_bDpT10_ENKUlT_T0_E_clISt17integral_constantIbLb1EES1P_EEDaS1K_S1L_EUlS1K_E_NS1_11comp_targetILNS1_3genE5ELNS1_11target_archE942ELNS1_3gpuE9ELNS1_3repE0EEENS1_30default_config_static_selectorELNS0_4arch9wavefront6targetE1EEEvSY_.uses_vcc, 0
	.set _ZN7rocprim17ROCPRIM_400000_NS6detail17trampoline_kernelINS0_13select_configILj256ELj13ELNS0_17block_load_methodE3ELS4_3ELS4_3ELNS0_20block_scan_algorithmE0ELj4294967295EEENS1_25partition_config_selectorILNS1_17partition_subalgoE3EjNS0_10empty_typeEbEEZZNS1_14partition_implILS8_3ELb0ES6_jNS0_17counting_iteratorIjlEEPS9_SE_NS0_5tupleIJPjSE_EEENSF_IJSE_SE_EEES9_SG_JZNS1_25segmented_radix_sort_implINS0_14default_configELb1EPKsPsPKlPlN2at6native12_GLOBAL__N_18offset_tEEE10hipError_tPvRmT1_PNSt15iterator_traitsISY_E10value_typeET2_T3_PNSZ_IS14_E10value_typeET4_jRbjT5_S1A_jjP12ihipStream_tbEUljE_EEESV_SW_SX_S14_S18_S1A_T6_T7_T9_mT8_S1C_bDpT10_ENKUlT_T0_E_clISt17integral_constantIbLb1EES1P_EEDaS1K_S1L_EUlS1K_E_NS1_11comp_targetILNS1_3genE5ELNS1_11target_archE942ELNS1_3gpuE9ELNS1_3repE0EEENS1_30default_config_static_selectorELNS0_4arch9wavefront6targetE1EEEvSY_.uses_flat_scratch, 0
	.set _ZN7rocprim17ROCPRIM_400000_NS6detail17trampoline_kernelINS0_13select_configILj256ELj13ELNS0_17block_load_methodE3ELS4_3ELS4_3ELNS0_20block_scan_algorithmE0ELj4294967295EEENS1_25partition_config_selectorILNS1_17partition_subalgoE3EjNS0_10empty_typeEbEEZZNS1_14partition_implILS8_3ELb0ES6_jNS0_17counting_iteratorIjlEEPS9_SE_NS0_5tupleIJPjSE_EEENSF_IJSE_SE_EEES9_SG_JZNS1_25segmented_radix_sort_implINS0_14default_configELb1EPKsPsPKlPlN2at6native12_GLOBAL__N_18offset_tEEE10hipError_tPvRmT1_PNSt15iterator_traitsISY_E10value_typeET2_T3_PNSZ_IS14_E10value_typeET4_jRbjT5_S1A_jjP12ihipStream_tbEUljE_EEESV_SW_SX_S14_S18_S1A_T6_T7_T9_mT8_S1C_bDpT10_ENKUlT_T0_E_clISt17integral_constantIbLb1EES1P_EEDaS1K_S1L_EUlS1K_E_NS1_11comp_targetILNS1_3genE5ELNS1_11target_archE942ELNS1_3gpuE9ELNS1_3repE0EEENS1_30default_config_static_selectorELNS0_4arch9wavefront6targetE1EEEvSY_.has_dyn_sized_stack, 0
	.set _ZN7rocprim17ROCPRIM_400000_NS6detail17trampoline_kernelINS0_13select_configILj256ELj13ELNS0_17block_load_methodE3ELS4_3ELS4_3ELNS0_20block_scan_algorithmE0ELj4294967295EEENS1_25partition_config_selectorILNS1_17partition_subalgoE3EjNS0_10empty_typeEbEEZZNS1_14partition_implILS8_3ELb0ES6_jNS0_17counting_iteratorIjlEEPS9_SE_NS0_5tupleIJPjSE_EEENSF_IJSE_SE_EEES9_SG_JZNS1_25segmented_radix_sort_implINS0_14default_configELb1EPKsPsPKlPlN2at6native12_GLOBAL__N_18offset_tEEE10hipError_tPvRmT1_PNSt15iterator_traitsISY_E10value_typeET2_T3_PNSZ_IS14_E10value_typeET4_jRbjT5_S1A_jjP12ihipStream_tbEUljE_EEESV_SW_SX_S14_S18_S1A_T6_T7_T9_mT8_S1C_bDpT10_ENKUlT_T0_E_clISt17integral_constantIbLb1EES1P_EEDaS1K_S1L_EUlS1K_E_NS1_11comp_targetILNS1_3genE5ELNS1_11target_archE942ELNS1_3gpuE9ELNS1_3repE0EEENS1_30default_config_static_selectorELNS0_4arch9wavefront6targetE1EEEvSY_.has_recursion, 0
	.set _ZN7rocprim17ROCPRIM_400000_NS6detail17trampoline_kernelINS0_13select_configILj256ELj13ELNS0_17block_load_methodE3ELS4_3ELS4_3ELNS0_20block_scan_algorithmE0ELj4294967295EEENS1_25partition_config_selectorILNS1_17partition_subalgoE3EjNS0_10empty_typeEbEEZZNS1_14partition_implILS8_3ELb0ES6_jNS0_17counting_iteratorIjlEEPS9_SE_NS0_5tupleIJPjSE_EEENSF_IJSE_SE_EEES9_SG_JZNS1_25segmented_radix_sort_implINS0_14default_configELb1EPKsPsPKlPlN2at6native12_GLOBAL__N_18offset_tEEE10hipError_tPvRmT1_PNSt15iterator_traitsISY_E10value_typeET2_T3_PNSZ_IS14_E10value_typeET4_jRbjT5_S1A_jjP12ihipStream_tbEUljE_EEESV_SW_SX_S14_S18_S1A_T6_T7_T9_mT8_S1C_bDpT10_ENKUlT_T0_E_clISt17integral_constantIbLb1EES1P_EEDaS1K_S1L_EUlS1K_E_NS1_11comp_targetILNS1_3genE5ELNS1_11target_archE942ELNS1_3gpuE9ELNS1_3repE0EEENS1_30default_config_static_selectorELNS0_4arch9wavefront6targetE1EEEvSY_.has_indirect_call, 0
	.section	.AMDGPU.csdata,"",@progbits
; Kernel info:
; codeLenInByte = 0
; TotalNumSgprs: 4
; NumVgprs: 0
; ScratchSize: 0
; MemoryBound: 0
; FloatMode: 240
; IeeeMode: 1
; LDSByteSize: 0 bytes/workgroup (compile time only)
; SGPRBlocks: 0
; VGPRBlocks: 0
; NumSGPRsForWavesPerEU: 4
; NumVGPRsForWavesPerEU: 1
; Occupancy: 10
; WaveLimiterHint : 0
; COMPUTE_PGM_RSRC2:SCRATCH_EN: 0
; COMPUTE_PGM_RSRC2:USER_SGPR: 6
; COMPUTE_PGM_RSRC2:TRAP_HANDLER: 0
; COMPUTE_PGM_RSRC2:TGID_X_EN: 1
; COMPUTE_PGM_RSRC2:TGID_Y_EN: 0
; COMPUTE_PGM_RSRC2:TGID_Z_EN: 0
; COMPUTE_PGM_RSRC2:TIDIG_COMP_CNT: 0
	.section	.text._ZN7rocprim17ROCPRIM_400000_NS6detail17trampoline_kernelINS0_13select_configILj256ELj13ELNS0_17block_load_methodE3ELS4_3ELS4_3ELNS0_20block_scan_algorithmE0ELj4294967295EEENS1_25partition_config_selectorILNS1_17partition_subalgoE3EjNS0_10empty_typeEbEEZZNS1_14partition_implILS8_3ELb0ES6_jNS0_17counting_iteratorIjlEEPS9_SE_NS0_5tupleIJPjSE_EEENSF_IJSE_SE_EEES9_SG_JZNS1_25segmented_radix_sort_implINS0_14default_configELb1EPKsPsPKlPlN2at6native12_GLOBAL__N_18offset_tEEE10hipError_tPvRmT1_PNSt15iterator_traitsISY_E10value_typeET2_T3_PNSZ_IS14_E10value_typeET4_jRbjT5_S1A_jjP12ihipStream_tbEUljE_EEESV_SW_SX_S14_S18_S1A_T6_T7_T9_mT8_S1C_bDpT10_ENKUlT_T0_E_clISt17integral_constantIbLb1EES1P_EEDaS1K_S1L_EUlS1K_E_NS1_11comp_targetILNS1_3genE4ELNS1_11target_archE910ELNS1_3gpuE8ELNS1_3repE0EEENS1_30default_config_static_selectorELNS0_4arch9wavefront6targetE1EEEvSY_,"axG",@progbits,_ZN7rocprim17ROCPRIM_400000_NS6detail17trampoline_kernelINS0_13select_configILj256ELj13ELNS0_17block_load_methodE3ELS4_3ELS4_3ELNS0_20block_scan_algorithmE0ELj4294967295EEENS1_25partition_config_selectorILNS1_17partition_subalgoE3EjNS0_10empty_typeEbEEZZNS1_14partition_implILS8_3ELb0ES6_jNS0_17counting_iteratorIjlEEPS9_SE_NS0_5tupleIJPjSE_EEENSF_IJSE_SE_EEES9_SG_JZNS1_25segmented_radix_sort_implINS0_14default_configELb1EPKsPsPKlPlN2at6native12_GLOBAL__N_18offset_tEEE10hipError_tPvRmT1_PNSt15iterator_traitsISY_E10value_typeET2_T3_PNSZ_IS14_E10value_typeET4_jRbjT5_S1A_jjP12ihipStream_tbEUljE_EEESV_SW_SX_S14_S18_S1A_T6_T7_T9_mT8_S1C_bDpT10_ENKUlT_T0_E_clISt17integral_constantIbLb1EES1P_EEDaS1K_S1L_EUlS1K_E_NS1_11comp_targetILNS1_3genE4ELNS1_11target_archE910ELNS1_3gpuE8ELNS1_3repE0EEENS1_30default_config_static_selectorELNS0_4arch9wavefront6targetE1EEEvSY_,comdat
	.globl	_ZN7rocprim17ROCPRIM_400000_NS6detail17trampoline_kernelINS0_13select_configILj256ELj13ELNS0_17block_load_methodE3ELS4_3ELS4_3ELNS0_20block_scan_algorithmE0ELj4294967295EEENS1_25partition_config_selectorILNS1_17partition_subalgoE3EjNS0_10empty_typeEbEEZZNS1_14partition_implILS8_3ELb0ES6_jNS0_17counting_iteratorIjlEEPS9_SE_NS0_5tupleIJPjSE_EEENSF_IJSE_SE_EEES9_SG_JZNS1_25segmented_radix_sort_implINS0_14default_configELb1EPKsPsPKlPlN2at6native12_GLOBAL__N_18offset_tEEE10hipError_tPvRmT1_PNSt15iterator_traitsISY_E10value_typeET2_T3_PNSZ_IS14_E10value_typeET4_jRbjT5_S1A_jjP12ihipStream_tbEUljE_EEESV_SW_SX_S14_S18_S1A_T6_T7_T9_mT8_S1C_bDpT10_ENKUlT_T0_E_clISt17integral_constantIbLb1EES1P_EEDaS1K_S1L_EUlS1K_E_NS1_11comp_targetILNS1_3genE4ELNS1_11target_archE910ELNS1_3gpuE8ELNS1_3repE0EEENS1_30default_config_static_selectorELNS0_4arch9wavefront6targetE1EEEvSY_ ; -- Begin function _ZN7rocprim17ROCPRIM_400000_NS6detail17trampoline_kernelINS0_13select_configILj256ELj13ELNS0_17block_load_methodE3ELS4_3ELS4_3ELNS0_20block_scan_algorithmE0ELj4294967295EEENS1_25partition_config_selectorILNS1_17partition_subalgoE3EjNS0_10empty_typeEbEEZZNS1_14partition_implILS8_3ELb0ES6_jNS0_17counting_iteratorIjlEEPS9_SE_NS0_5tupleIJPjSE_EEENSF_IJSE_SE_EEES9_SG_JZNS1_25segmented_radix_sort_implINS0_14default_configELb1EPKsPsPKlPlN2at6native12_GLOBAL__N_18offset_tEEE10hipError_tPvRmT1_PNSt15iterator_traitsISY_E10value_typeET2_T3_PNSZ_IS14_E10value_typeET4_jRbjT5_S1A_jjP12ihipStream_tbEUljE_EEESV_SW_SX_S14_S18_S1A_T6_T7_T9_mT8_S1C_bDpT10_ENKUlT_T0_E_clISt17integral_constantIbLb1EES1P_EEDaS1K_S1L_EUlS1K_E_NS1_11comp_targetILNS1_3genE4ELNS1_11target_archE910ELNS1_3gpuE8ELNS1_3repE0EEENS1_30default_config_static_selectorELNS0_4arch9wavefront6targetE1EEEvSY_
	.p2align	8
	.type	_ZN7rocprim17ROCPRIM_400000_NS6detail17trampoline_kernelINS0_13select_configILj256ELj13ELNS0_17block_load_methodE3ELS4_3ELS4_3ELNS0_20block_scan_algorithmE0ELj4294967295EEENS1_25partition_config_selectorILNS1_17partition_subalgoE3EjNS0_10empty_typeEbEEZZNS1_14partition_implILS8_3ELb0ES6_jNS0_17counting_iteratorIjlEEPS9_SE_NS0_5tupleIJPjSE_EEENSF_IJSE_SE_EEES9_SG_JZNS1_25segmented_radix_sort_implINS0_14default_configELb1EPKsPsPKlPlN2at6native12_GLOBAL__N_18offset_tEEE10hipError_tPvRmT1_PNSt15iterator_traitsISY_E10value_typeET2_T3_PNSZ_IS14_E10value_typeET4_jRbjT5_S1A_jjP12ihipStream_tbEUljE_EEESV_SW_SX_S14_S18_S1A_T6_T7_T9_mT8_S1C_bDpT10_ENKUlT_T0_E_clISt17integral_constantIbLb1EES1P_EEDaS1K_S1L_EUlS1K_E_NS1_11comp_targetILNS1_3genE4ELNS1_11target_archE910ELNS1_3gpuE8ELNS1_3repE0EEENS1_30default_config_static_selectorELNS0_4arch9wavefront6targetE1EEEvSY_,@function
_ZN7rocprim17ROCPRIM_400000_NS6detail17trampoline_kernelINS0_13select_configILj256ELj13ELNS0_17block_load_methodE3ELS4_3ELS4_3ELNS0_20block_scan_algorithmE0ELj4294967295EEENS1_25partition_config_selectorILNS1_17partition_subalgoE3EjNS0_10empty_typeEbEEZZNS1_14partition_implILS8_3ELb0ES6_jNS0_17counting_iteratorIjlEEPS9_SE_NS0_5tupleIJPjSE_EEENSF_IJSE_SE_EEES9_SG_JZNS1_25segmented_radix_sort_implINS0_14default_configELb1EPKsPsPKlPlN2at6native12_GLOBAL__N_18offset_tEEE10hipError_tPvRmT1_PNSt15iterator_traitsISY_E10value_typeET2_T3_PNSZ_IS14_E10value_typeET4_jRbjT5_S1A_jjP12ihipStream_tbEUljE_EEESV_SW_SX_S14_S18_S1A_T6_T7_T9_mT8_S1C_bDpT10_ENKUlT_T0_E_clISt17integral_constantIbLb1EES1P_EEDaS1K_S1L_EUlS1K_E_NS1_11comp_targetILNS1_3genE4ELNS1_11target_archE910ELNS1_3gpuE8ELNS1_3repE0EEENS1_30default_config_static_selectorELNS0_4arch9wavefront6targetE1EEEvSY_: ; @_ZN7rocprim17ROCPRIM_400000_NS6detail17trampoline_kernelINS0_13select_configILj256ELj13ELNS0_17block_load_methodE3ELS4_3ELS4_3ELNS0_20block_scan_algorithmE0ELj4294967295EEENS1_25partition_config_selectorILNS1_17partition_subalgoE3EjNS0_10empty_typeEbEEZZNS1_14partition_implILS8_3ELb0ES6_jNS0_17counting_iteratorIjlEEPS9_SE_NS0_5tupleIJPjSE_EEENSF_IJSE_SE_EEES9_SG_JZNS1_25segmented_radix_sort_implINS0_14default_configELb1EPKsPsPKlPlN2at6native12_GLOBAL__N_18offset_tEEE10hipError_tPvRmT1_PNSt15iterator_traitsISY_E10value_typeET2_T3_PNSZ_IS14_E10value_typeET4_jRbjT5_S1A_jjP12ihipStream_tbEUljE_EEESV_SW_SX_S14_S18_S1A_T6_T7_T9_mT8_S1C_bDpT10_ENKUlT_T0_E_clISt17integral_constantIbLb1EES1P_EEDaS1K_S1L_EUlS1K_E_NS1_11comp_targetILNS1_3genE4ELNS1_11target_archE910ELNS1_3gpuE8ELNS1_3repE0EEENS1_30default_config_static_selectorELNS0_4arch9wavefront6targetE1EEEvSY_
; %bb.0:
	.section	.rodata,"a",@progbits
	.p2align	6, 0x0
	.amdhsa_kernel _ZN7rocprim17ROCPRIM_400000_NS6detail17trampoline_kernelINS0_13select_configILj256ELj13ELNS0_17block_load_methodE3ELS4_3ELS4_3ELNS0_20block_scan_algorithmE0ELj4294967295EEENS1_25partition_config_selectorILNS1_17partition_subalgoE3EjNS0_10empty_typeEbEEZZNS1_14partition_implILS8_3ELb0ES6_jNS0_17counting_iteratorIjlEEPS9_SE_NS0_5tupleIJPjSE_EEENSF_IJSE_SE_EEES9_SG_JZNS1_25segmented_radix_sort_implINS0_14default_configELb1EPKsPsPKlPlN2at6native12_GLOBAL__N_18offset_tEEE10hipError_tPvRmT1_PNSt15iterator_traitsISY_E10value_typeET2_T3_PNSZ_IS14_E10value_typeET4_jRbjT5_S1A_jjP12ihipStream_tbEUljE_EEESV_SW_SX_S14_S18_S1A_T6_T7_T9_mT8_S1C_bDpT10_ENKUlT_T0_E_clISt17integral_constantIbLb1EES1P_EEDaS1K_S1L_EUlS1K_E_NS1_11comp_targetILNS1_3genE4ELNS1_11target_archE910ELNS1_3gpuE8ELNS1_3repE0EEENS1_30default_config_static_selectorELNS0_4arch9wavefront6targetE1EEEvSY_
		.amdhsa_group_segment_fixed_size 0
		.amdhsa_private_segment_fixed_size 0
		.amdhsa_kernarg_size 152
		.amdhsa_user_sgpr_count 6
		.amdhsa_user_sgpr_private_segment_buffer 1
		.amdhsa_user_sgpr_dispatch_ptr 0
		.amdhsa_user_sgpr_queue_ptr 0
		.amdhsa_user_sgpr_kernarg_segment_ptr 1
		.amdhsa_user_sgpr_dispatch_id 0
		.amdhsa_user_sgpr_flat_scratch_init 0
		.amdhsa_user_sgpr_private_segment_size 0
		.amdhsa_uses_dynamic_stack 0
		.amdhsa_system_sgpr_private_segment_wavefront_offset 0
		.amdhsa_system_sgpr_workgroup_id_x 1
		.amdhsa_system_sgpr_workgroup_id_y 0
		.amdhsa_system_sgpr_workgroup_id_z 0
		.amdhsa_system_sgpr_workgroup_info 0
		.amdhsa_system_vgpr_workitem_id 0
		.amdhsa_next_free_vgpr 1
		.amdhsa_next_free_sgpr 0
		.amdhsa_reserve_vcc 0
		.amdhsa_reserve_flat_scratch 0
		.amdhsa_float_round_mode_32 0
		.amdhsa_float_round_mode_16_64 0
		.amdhsa_float_denorm_mode_32 3
		.amdhsa_float_denorm_mode_16_64 3
		.amdhsa_dx10_clamp 1
		.amdhsa_ieee_mode 1
		.amdhsa_fp16_overflow 0
		.amdhsa_exception_fp_ieee_invalid_op 0
		.amdhsa_exception_fp_denorm_src 0
		.amdhsa_exception_fp_ieee_div_zero 0
		.amdhsa_exception_fp_ieee_overflow 0
		.amdhsa_exception_fp_ieee_underflow 0
		.amdhsa_exception_fp_ieee_inexact 0
		.amdhsa_exception_int_div_zero 0
	.end_amdhsa_kernel
	.section	.text._ZN7rocprim17ROCPRIM_400000_NS6detail17trampoline_kernelINS0_13select_configILj256ELj13ELNS0_17block_load_methodE3ELS4_3ELS4_3ELNS0_20block_scan_algorithmE0ELj4294967295EEENS1_25partition_config_selectorILNS1_17partition_subalgoE3EjNS0_10empty_typeEbEEZZNS1_14partition_implILS8_3ELb0ES6_jNS0_17counting_iteratorIjlEEPS9_SE_NS0_5tupleIJPjSE_EEENSF_IJSE_SE_EEES9_SG_JZNS1_25segmented_radix_sort_implINS0_14default_configELb1EPKsPsPKlPlN2at6native12_GLOBAL__N_18offset_tEEE10hipError_tPvRmT1_PNSt15iterator_traitsISY_E10value_typeET2_T3_PNSZ_IS14_E10value_typeET4_jRbjT5_S1A_jjP12ihipStream_tbEUljE_EEESV_SW_SX_S14_S18_S1A_T6_T7_T9_mT8_S1C_bDpT10_ENKUlT_T0_E_clISt17integral_constantIbLb1EES1P_EEDaS1K_S1L_EUlS1K_E_NS1_11comp_targetILNS1_3genE4ELNS1_11target_archE910ELNS1_3gpuE8ELNS1_3repE0EEENS1_30default_config_static_selectorELNS0_4arch9wavefront6targetE1EEEvSY_,"axG",@progbits,_ZN7rocprim17ROCPRIM_400000_NS6detail17trampoline_kernelINS0_13select_configILj256ELj13ELNS0_17block_load_methodE3ELS4_3ELS4_3ELNS0_20block_scan_algorithmE0ELj4294967295EEENS1_25partition_config_selectorILNS1_17partition_subalgoE3EjNS0_10empty_typeEbEEZZNS1_14partition_implILS8_3ELb0ES6_jNS0_17counting_iteratorIjlEEPS9_SE_NS0_5tupleIJPjSE_EEENSF_IJSE_SE_EEES9_SG_JZNS1_25segmented_radix_sort_implINS0_14default_configELb1EPKsPsPKlPlN2at6native12_GLOBAL__N_18offset_tEEE10hipError_tPvRmT1_PNSt15iterator_traitsISY_E10value_typeET2_T3_PNSZ_IS14_E10value_typeET4_jRbjT5_S1A_jjP12ihipStream_tbEUljE_EEESV_SW_SX_S14_S18_S1A_T6_T7_T9_mT8_S1C_bDpT10_ENKUlT_T0_E_clISt17integral_constantIbLb1EES1P_EEDaS1K_S1L_EUlS1K_E_NS1_11comp_targetILNS1_3genE4ELNS1_11target_archE910ELNS1_3gpuE8ELNS1_3repE0EEENS1_30default_config_static_selectorELNS0_4arch9wavefront6targetE1EEEvSY_,comdat
.Lfunc_end889:
	.size	_ZN7rocprim17ROCPRIM_400000_NS6detail17trampoline_kernelINS0_13select_configILj256ELj13ELNS0_17block_load_methodE3ELS4_3ELS4_3ELNS0_20block_scan_algorithmE0ELj4294967295EEENS1_25partition_config_selectorILNS1_17partition_subalgoE3EjNS0_10empty_typeEbEEZZNS1_14partition_implILS8_3ELb0ES6_jNS0_17counting_iteratorIjlEEPS9_SE_NS0_5tupleIJPjSE_EEENSF_IJSE_SE_EEES9_SG_JZNS1_25segmented_radix_sort_implINS0_14default_configELb1EPKsPsPKlPlN2at6native12_GLOBAL__N_18offset_tEEE10hipError_tPvRmT1_PNSt15iterator_traitsISY_E10value_typeET2_T3_PNSZ_IS14_E10value_typeET4_jRbjT5_S1A_jjP12ihipStream_tbEUljE_EEESV_SW_SX_S14_S18_S1A_T6_T7_T9_mT8_S1C_bDpT10_ENKUlT_T0_E_clISt17integral_constantIbLb1EES1P_EEDaS1K_S1L_EUlS1K_E_NS1_11comp_targetILNS1_3genE4ELNS1_11target_archE910ELNS1_3gpuE8ELNS1_3repE0EEENS1_30default_config_static_selectorELNS0_4arch9wavefront6targetE1EEEvSY_, .Lfunc_end889-_ZN7rocprim17ROCPRIM_400000_NS6detail17trampoline_kernelINS0_13select_configILj256ELj13ELNS0_17block_load_methodE3ELS4_3ELS4_3ELNS0_20block_scan_algorithmE0ELj4294967295EEENS1_25partition_config_selectorILNS1_17partition_subalgoE3EjNS0_10empty_typeEbEEZZNS1_14partition_implILS8_3ELb0ES6_jNS0_17counting_iteratorIjlEEPS9_SE_NS0_5tupleIJPjSE_EEENSF_IJSE_SE_EEES9_SG_JZNS1_25segmented_radix_sort_implINS0_14default_configELb1EPKsPsPKlPlN2at6native12_GLOBAL__N_18offset_tEEE10hipError_tPvRmT1_PNSt15iterator_traitsISY_E10value_typeET2_T3_PNSZ_IS14_E10value_typeET4_jRbjT5_S1A_jjP12ihipStream_tbEUljE_EEESV_SW_SX_S14_S18_S1A_T6_T7_T9_mT8_S1C_bDpT10_ENKUlT_T0_E_clISt17integral_constantIbLb1EES1P_EEDaS1K_S1L_EUlS1K_E_NS1_11comp_targetILNS1_3genE4ELNS1_11target_archE910ELNS1_3gpuE8ELNS1_3repE0EEENS1_30default_config_static_selectorELNS0_4arch9wavefront6targetE1EEEvSY_
                                        ; -- End function
	.set _ZN7rocprim17ROCPRIM_400000_NS6detail17trampoline_kernelINS0_13select_configILj256ELj13ELNS0_17block_load_methodE3ELS4_3ELS4_3ELNS0_20block_scan_algorithmE0ELj4294967295EEENS1_25partition_config_selectorILNS1_17partition_subalgoE3EjNS0_10empty_typeEbEEZZNS1_14partition_implILS8_3ELb0ES6_jNS0_17counting_iteratorIjlEEPS9_SE_NS0_5tupleIJPjSE_EEENSF_IJSE_SE_EEES9_SG_JZNS1_25segmented_radix_sort_implINS0_14default_configELb1EPKsPsPKlPlN2at6native12_GLOBAL__N_18offset_tEEE10hipError_tPvRmT1_PNSt15iterator_traitsISY_E10value_typeET2_T3_PNSZ_IS14_E10value_typeET4_jRbjT5_S1A_jjP12ihipStream_tbEUljE_EEESV_SW_SX_S14_S18_S1A_T6_T7_T9_mT8_S1C_bDpT10_ENKUlT_T0_E_clISt17integral_constantIbLb1EES1P_EEDaS1K_S1L_EUlS1K_E_NS1_11comp_targetILNS1_3genE4ELNS1_11target_archE910ELNS1_3gpuE8ELNS1_3repE0EEENS1_30default_config_static_selectorELNS0_4arch9wavefront6targetE1EEEvSY_.num_vgpr, 0
	.set _ZN7rocprim17ROCPRIM_400000_NS6detail17trampoline_kernelINS0_13select_configILj256ELj13ELNS0_17block_load_methodE3ELS4_3ELS4_3ELNS0_20block_scan_algorithmE0ELj4294967295EEENS1_25partition_config_selectorILNS1_17partition_subalgoE3EjNS0_10empty_typeEbEEZZNS1_14partition_implILS8_3ELb0ES6_jNS0_17counting_iteratorIjlEEPS9_SE_NS0_5tupleIJPjSE_EEENSF_IJSE_SE_EEES9_SG_JZNS1_25segmented_radix_sort_implINS0_14default_configELb1EPKsPsPKlPlN2at6native12_GLOBAL__N_18offset_tEEE10hipError_tPvRmT1_PNSt15iterator_traitsISY_E10value_typeET2_T3_PNSZ_IS14_E10value_typeET4_jRbjT5_S1A_jjP12ihipStream_tbEUljE_EEESV_SW_SX_S14_S18_S1A_T6_T7_T9_mT8_S1C_bDpT10_ENKUlT_T0_E_clISt17integral_constantIbLb1EES1P_EEDaS1K_S1L_EUlS1K_E_NS1_11comp_targetILNS1_3genE4ELNS1_11target_archE910ELNS1_3gpuE8ELNS1_3repE0EEENS1_30default_config_static_selectorELNS0_4arch9wavefront6targetE1EEEvSY_.num_agpr, 0
	.set _ZN7rocprim17ROCPRIM_400000_NS6detail17trampoline_kernelINS0_13select_configILj256ELj13ELNS0_17block_load_methodE3ELS4_3ELS4_3ELNS0_20block_scan_algorithmE0ELj4294967295EEENS1_25partition_config_selectorILNS1_17partition_subalgoE3EjNS0_10empty_typeEbEEZZNS1_14partition_implILS8_3ELb0ES6_jNS0_17counting_iteratorIjlEEPS9_SE_NS0_5tupleIJPjSE_EEENSF_IJSE_SE_EEES9_SG_JZNS1_25segmented_radix_sort_implINS0_14default_configELb1EPKsPsPKlPlN2at6native12_GLOBAL__N_18offset_tEEE10hipError_tPvRmT1_PNSt15iterator_traitsISY_E10value_typeET2_T3_PNSZ_IS14_E10value_typeET4_jRbjT5_S1A_jjP12ihipStream_tbEUljE_EEESV_SW_SX_S14_S18_S1A_T6_T7_T9_mT8_S1C_bDpT10_ENKUlT_T0_E_clISt17integral_constantIbLb1EES1P_EEDaS1K_S1L_EUlS1K_E_NS1_11comp_targetILNS1_3genE4ELNS1_11target_archE910ELNS1_3gpuE8ELNS1_3repE0EEENS1_30default_config_static_selectorELNS0_4arch9wavefront6targetE1EEEvSY_.numbered_sgpr, 0
	.set _ZN7rocprim17ROCPRIM_400000_NS6detail17trampoline_kernelINS0_13select_configILj256ELj13ELNS0_17block_load_methodE3ELS4_3ELS4_3ELNS0_20block_scan_algorithmE0ELj4294967295EEENS1_25partition_config_selectorILNS1_17partition_subalgoE3EjNS0_10empty_typeEbEEZZNS1_14partition_implILS8_3ELb0ES6_jNS0_17counting_iteratorIjlEEPS9_SE_NS0_5tupleIJPjSE_EEENSF_IJSE_SE_EEES9_SG_JZNS1_25segmented_radix_sort_implINS0_14default_configELb1EPKsPsPKlPlN2at6native12_GLOBAL__N_18offset_tEEE10hipError_tPvRmT1_PNSt15iterator_traitsISY_E10value_typeET2_T3_PNSZ_IS14_E10value_typeET4_jRbjT5_S1A_jjP12ihipStream_tbEUljE_EEESV_SW_SX_S14_S18_S1A_T6_T7_T9_mT8_S1C_bDpT10_ENKUlT_T0_E_clISt17integral_constantIbLb1EES1P_EEDaS1K_S1L_EUlS1K_E_NS1_11comp_targetILNS1_3genE4ELNS1_11target_archE910ELNS1_3gpuE8ELNS1_3repE0EEENS1_30default_config_static_selectorELNS0_4arch9wavefront6targetE1EEEvSY_.num_named_barrier, 0
	.set _ZN7rocprim17ROCPRIM_400000_NS6detail17trampoline_kernelINS0_13select_configILj256ELj13ELNS0_17block_load_methodE3ELS4_3ELS4_3ELNS0_20block_scan_algorithmE0ELj4294967295EEENS1_25partition_config_selectorILNS1_17partition_subalgoE3EjNS0_10empty_typeEbEEZZNS1_14partition_implILS8_3ELb0ES6_jNS0_17counting_iteratorIjlEEPS9_SE_NS0_5tupleIJPjSE_EEENSF_IJSE_SE_EEES9_SG_JZNS1_25segmented_radix_sort_implINS0_14default_configELb1EPKsPsPKlPlN2at6native12_GLOBAL__N_18offset_tEEE10hipError_tPvRmT1_PNSt15iterator_traitsISY_E10value_typeET2_T3_PNSZ_IS14_E10value_typeET4_jRbjT5_S1A_jjP12ihipStream_tbEUljE_EEESV_SW_SX_S14_S18_S1A_T6_T7_T9_mT8_S1C_bDpT10_ENKUlT_T0_E_clISt17integral_constantIbLb1EES1P_EEDaS1K_S1L_EUlS1K_E_NS1_11comp_targetILNS1_3genE4ELNS1_11target_archE910ELNS1_3gpuE8ELNS1_3repE0EEENS1_30default_config_static_selectorELNS0_4arch9wavefront6targetE1EEEvSY_.private_seg_size, 0
	.set _ZN7rocprim17ROCPRIM_400000_NS6detail17trampoline_kernelINS0_13select_configILj256ELj13ELNS0_17block_load_methodE3ELS4_3ELS4_3ELNS0_20block_scan_algorithmE0ELj4294967295EEENS1_25partition_config_selectorILNS1_17partition_subalgoE3EjNS0_10empty_typeEbEEZZNS1_14partition_implILS8_3ELb0ES6_jNS0_17counting_iteratorIjlEEPS9_SE_NS0_5tupleIJPjSE_EEENSF_IJSE_SE_EEES9_SG_JZNS1_25segmented_radix_sort_implINS0_14default_configELb1EPKsPsPKlPlN2at6native12_GLOBAL__N_18offset_tEEE10hipError_tPvRmT1_PNSt15iterator_traitsISY_E10value_typeET2_T3_PNSZ_IS14_E10value_typeET4_jRbjT5_S1A_jjP12ihipStream_tbEUljE_EEESV_SW_SX_S14_S18_S1A_T6_T7_T9_mT8_S1C_bDpT10_ENKUlT_T0_E_clISt17integral_constantIbLb1EES1P_EEDaS1K_S1L_EUlS1K_E_NS1_11comp_targetILNS1_3genE4ELNS1_11target_archE910ELNS1_3gpuE8ELNS1_3repE0EEENS1_30default_config_static_selectorELNS0_4arch9wavefront6targetE1EEEvSY_.uses_vcc, 0
	.set _ZN7rocprim17ROCPRIM_400000_NS6detail17trampoline_kernelINS0_13select_configILj256ELj13ELNS0_17block_load_methodE3ELS4_3ELS4_3ELNS0_20block_scan_algorithmE0ELj4294967295EEENS1_25partition_config_selectorILNS1_17partition_subalgoE3EjNS0_10empty_typeEbEEZZNS1_14partition_implILS8_3ELb0ES6_jNS0_17counting_iteratorIjlEEPS9_SE_NS0_5tupleIJPjSE_EEENSF_IJSE_SE_EEES9_SG_JZNS1_25segmented_radix_sort_implINS0_14default_configELb1EPKsPsPKlPlN2at6native12_GLOBAL__N_18offset_tEEE10hipError_tPvRmT1_PNSt15iterator_traitsISY_E10value_typeET2_T3_PNSZ_IS14_E10value_typeET4_jRbjT5_S1A_jjP12ihipStream_tbEUljE_EEESV_SW_SX_S14_S18_S1A_T6_T7_T9_mT8_S1C_bDpT10_ENKUlT_T0_E_clISt17integral_constantIbLb1EES1P_EEDaS1K_S1L_EUlS1K_E_NS1_11comp_targetILNS1_3genE4ELNS1_11target_archE910ELNS1_3gpuE8ELNS1_3repE0EEENS1_30default_config_static_selectorELNS0_4arch9wavefront6targetE1EEEvSY_.uses_flat_scratch, 0
	.set _ZN7rocprim17ROCPRIM_400000_NS6detail17trampoline_kernelINS0_13select_configILj256ELj13ELNS0_17block_load_methodE3ELS4_3ELS4_3ELNS0_20block_scan_algorithmE0ELj4294967295EEENS1_25partition_config_selectorILNS1_17partition_subalgoE3EjNS0_10empty_typeEbEEZZNS1_14partition_implILS8_3ELb0ES6_jNS0_17counting_iteratorIjlEEPS9_SE_NS0_5tupleIJPjSE_EEENSF_IJSE_SE_EEES9_SG_JZNS1_25segmented_radix_sort_implINS0_14default_configELb1EPKsPsPKlPlN2at6native12_GLOBAL__N_18offset_tEEE10hipError_tPvRmT1_PNSt15iterator_traitsISY_E10value_typeET2_T3_PNSZ_IS14_E10value_typeET4_jRbjT5_S1A_jjP12ihipStream_tbEUljE_EEESV_SW_SX_S14_S18_S1A_T6_T7_T9_mT8_S1C_bDpT10_ENKUlT_T0_E_clISt17integral_constantIbLb1EES1P_EEDaS1K_S1L_EUlS1K_E_NS1_11comp_targetILNS1_3genE4ELNS1_11target_archE910ELNS1_3gpuE8ELNS1_3repE0EEENS1_30default_config_static_selectorELNS0_4arch9wavefront6targetE1EEEvSY_.has_dyn_sized_stack, 0
	.set _ZN7rocprim17ROCPRIM_400000_NS6detail17trampoline_kernelINS0_13select_configILj256ELj13ELNS0_17block_load_methodE3ELS4_3ELS4_3ELNS0_20block_scan_algorithmE0ELj4294967295EEENS1_25partition_config_selectorILNS1_17partition_subalgoE3EjNS0_10empty_typeEbEEZZNS1_14partition_implILS8_3ELb0ES6_jNS0_17counting_iteratorIjlEEPS9_SE_NS0_5tupleIJPjSE_EEENSF_IJSE_SE_EEES9_SG_JZNS1_25segmented_radix_sort_implINS0_14default_configELb1EPKsPsPKlPlN2at6native12_GLOBAL__N_18offset_tEEE10hipError_tPvRmT1_PNSt15iterator_traitsISY_E10value_typeET2_T3_PNSZ_IS14_E10value_typeET4_jRbjT5_S1A_jjP12ihipStream_tbEUljE_EEESV_SW_SX_S14_S18_S1A_T6_T7_T9_mT8_S1C_bDpT10_ENKUlT_T0_E_clISt17integral_constantIbLb1EES1P_EEDaS1K_S1L_EUlS1K_E_NS1_11comp_targetILNS1_3genE4ELNS1_11target_archE910ELNS1_3gpuE8ELNS1_3repE0EEENS1_30default_config_static_selectorELNS0_4arch9wavefront6targetE1EEEvSY_.has_recursion, 0
	.set _ZN7rocprim17ROCPRIM_400000_NS6detail17trampoline_kernelINS0_13select_configILj256ELj13ELNS0_17block_load_methodE3ELS4_3ELS4_3ELNS0_20block_scan_algorithmE0ELj4294967295EEENS1_25partition_config_selectorILNS1_17partition_subalgoE3EjNS0_10empty_typeEbEEZZNS1_14partition_implILS8_3ELb0ES6_jNS0_17counting_iteratorIjlEEPS9_SE_NS0_5tupleIJPjSE_EEENSF_IJSE_SE_EEES9_SG_JZNS1_25segmented_radix_sort_implINS0_14default_configELb1EPKsPsPKlPlN2at6native12_GLOBAL__N_18offset_tEEE10hipError_tPvRmT1_PNSt15iterator_traitsISY_E10value_typeET2_T3_PNSZ_IS14_E10value_typeET4_jRbjT5_S1A_jjP12ihipStream_tbEUljE_EEESV_SW_SX_S14_S18_S1A_T6_T7_T9_mT8_S1C_bDpT10_ENKUlT_T0_E_clISt17integral_constantIbLb1EES1P_EEDaS1K_S1L_EUlS1K_E_NS1_11comp_targetILNS1_3genE4ELNS1_11target_archE910ELNS1_3gpuE8ELNS1_3repE0EEENS1_30default_config_static_selectorELNS0_4arch9wavefront6targetE1EEEvSY_.has_indirect_call, 0
	.section	.AMDGPU.csdata,"",@progbits
; Kernel info:
; codeLenInByte = 0
; TotalNumSgprs: 4
; NumVgprs: 0
; ScratchSize: 0
; MemoryBound: 0
; FloatMode: 240
; IeeeMode: 1
; LDSByteSize: 0 bytes/workgroup (compile time only)
; SGPRBlocks: 0
; VGPRBlocks: 0
; NumSGPRsForWavesPerEU: 4
; NumVGPRsForWavesPerEU: 1
; Occupancy: 10
; WaveLimiterHint : 0
; COMPUTE_PGM_RSRC2:SCRATCH_EN: 0
; COMPUTE_PGM_RSRC2:USER_SGPR: 6
; COMPUTE_PGM_RSRC2:TRAP_HANDLER: 0
; COMPUTE_PGM_RSRC2:TGID_X_EN: 1
; COMPUTE_PGM_RSRC2:TGID_Y_EN: 0
; COMPUTE_PGM_RSRC2:TGID_Z_EN: 0
; COMPUTE_PGM_RSRC2:TIDIG_COMP_CNT: 0
	.section	.text._ZN7rocprim17ROCPRIM_400000_NS6detail17trampoline_kernelINS0_13select_configILj256ELj13ELNS0_17block_load_methodE3ELS4_3ELS4_3ELNS0_20block_scan_algorithmE0ELj4294967295EEENS1_25partition_config_selectorILNS1_17partition_subalgoE3EjNS0_10empty_typeEbEEZZNS1_14partition_implILS8_3ELb0ES6_jNS0_17counting_iteratorIjlEEPS9_SE_NS0_5tupleIJPjSE_EEENSF_IJSE_SE_EEES9_SG_JZNS1_25segmented_radix_sort_implINS0_14default_configELb1EPKsPsPKlPlN2at6native12_GLOBAL__N_18offset_tEEE10hipError_tPvRmT1_PNSt15iterator_traitsISY_E10value_typeET2_T3_PNSZ_IS14_E10value_typeET4_jRbjT5_S1A_jjP12ihipStream_tbEUljE_EEESV_SW_SX_S14_S18_S1A_T6_T7_T9_mT8_S1C_bDpT10_ENKUlT_T0_E_clISt17integral_constantIbLb1EES1P_EEDaS1K_S1L_EUlS1K_E_NS1_11comp_targetILNS1_3genE3ELNS1_11target_archE908ELNS1_3gpuE7ELNS1_3repE0EEENS1_30default_config_static_selectorELNS0_4arch9wavefront6targetE1EEEvSY_,"axG",@progbits,_ZN7rocprim17ROCPRIM_400000_NS6detail17trampoline_kernelINS0_13select_configILj256ELj13ELNS0_17block_load_methodE3ELS4_3ELS4_3ELNS0_20block_scan_algorithmE0ELj4294967295EEENS1_25partition_config_selectorILNS1_17partition_subalgoE3EjNS0_10empty_typeEbEEZZNS1_14partition_implILS8_3ELb0ES6_jNS0_17counting_iteratorIjlEEPS9_SE_NS0_5tupleIJPjSE_EEENSF_IJSE_SE_EEES9_SG_JZNS1_25segmented_radix_sort_implINS0_14default_configELb1EPKsPsPKlPlN2at6native12_GLOBAL__N_18offset_tEEE10hipError_tPvRmT1_PNSt15iterator_traitsISY_E10value_typeET2_T3_PNSZ_IS14_E10value_typeET4_jRbjT5_S1A_jjP12ihipStream_tbEUljE_EEESV_SW_SX_S14_S18_S1A_T6_T7_T9_mT8_S1C_bDpT10_ENKUlT_T0_E_clISt17integral_constantIbLb1EES1P_EEDaS1K_S1L_EUlS1K_E_NS1_11comp_targetILNS1_3genE3ELNS1_11target_archE908ELNS1_3gpuE7ELNS1_3repE0EEENS1_30default_config_static_selectorELNS0_4arch9wavefront6targetE1EEEvSY_,comdat
	.globl	_ZN7rocprim17ROCPRIM_400000_NS6detail17trampoline_kernelINS0_13select_configILj256ELj13ELNS0_17block_load_methodE3ELS4_3ELS4_3ELNS0_20block_scan_algorithmE0ELj4294967295EEENS1_25partition_config_selectorILNS1_17partition_subalgoE3EjNS0_10empty_typeEbEEZZNS1_14partition_implILS8_3ELb0ES6_jNS0_17counting_iteratorIjlEEPS9_SE_NS0_5tupleIJPjSE_EEENSF_IJSE_SE_EEES9_SG_JZNS1_25segmented_radix_sort_implINS0_14default_configELb1EPKsPsPKlPlN2at6native12_GLOBAL__N_18offset_tEEE10hipError_tPvRmT1_PNSt15iterator_traitsISY_E10value_typeET2_T3_PNSZ_IS14_E10value_typeET4_jRbjT5_S1A_jjP12ihipStream_tbEUljE_EEESV_SW_SX_S14_S18_S1A_T6_T7_T9_mT8_S1C_bDpT10_ENKUlT_T0_E_clISt17integral_constantIbLb1EES1P_EEDaS1K_S1L_EUlS1K_E_NS1_11comp_targetILNS1_3genE3ELNS1_11target_archE908ELNS1_3gpuE7ELNS1_3repE0EEENS1_30default_config_static_selectorELNS0_4arch9wavefront6targetE1EEEvSY_ ; -- Begin function _ZN7rocprim17ROCPRIM_400000_NS6detail17trampoline_kernelINS0_13select_configILj256ELj13ELNS0_17block_load_methodE3ELS4_3ELS4_3ELNS0_20block_scan_algorithmE0ELj4294967295EEENS1_25partition_config_selectorILNS1_17partition_subalgoE3EjNS0_10empty_typeEbEEZZNS1_14partition_implILS8_3ELb0ES6_jNS0_17counting_iteratorIjlEEPS9_SE_NS0_5tupleIJPjSE_EEENSF_IJSE_SE_EEES9_SG_JZNS1_25segmented_radix_sort_implINS0_14default_configELb1EPKsPsPKlPlN2at6native12_GLOBAL__N_18offset_tEEE10hipError_tPvRmT1_PNSt15iterator_traitsISY_E10value_typeET2_T3_PNSZ_IS14_E10value_typeET4_jRbjT5_S1A_jjP12ihipStream_tbEUljE_EEESV_SW_SX_S14_S18_S1A_T6_T7_T9_mT8_S1C_bDpT10_ENKUlT_T0_E_clISt17integral_constantIbLb1EES1P_EEDaS1K_S1L_EUlS1K_E_NS1_11comp_targetILNS1_3genE3ELNS1_11target_archE908ELNS1_3gpuE7ELNS1_3repE0EEENS1_30default_config_static_selectorELNS0_4arch9wavefront6targetE1EEEvSY_
	.p2align	8
	.type	_ZN7rocprim17ROCPRIM_400000_NS6detail17trampoline_kernelINS0_13select_configILj256ELj13ELNS0_17block_load_methodE3ELS4_3ELS4_3ELNS0_20block_scan_algorithmE0ELj4294967295EEENS1_25partition_config_selectorILNS1_17partition_subalgoE3EjNS0_10empty_typeEbEEZZNS1_14partition_implILS8_3ELb0ES6_jNS0_17counting_iteratorIjlEEPS9_SE_NS0_5tupleIJPjSE_EEENSF_IJSE_SE_EEES9_SG_JZNS1_25segmented_radix_sort_implINS0_14default_configELb1EPKsPsPKlPlN2at6native12_GLOBAL__N_18offset_tEEE10hipError_tPvRmT1_PNSt15iterator_traitsISY_E10value_typeET2_T3_PNSZ_IS14_E10value_typeET4_jRbjT5_S1A_jjP12ihipStream_tbEUljE_EEESV_SW_SX_S14_S18_S1A_T6_T7_T9_mT8_S1C_bDpT10_ENKUlT_T0_E_clISt17integral_constantIbLb1EES1P_EEDaS1K_S1L_EUlS1K_E_NS1_11comp_targetILNS1_3genE3ELNS1_11target_archE908ELNS1_3gpuE7ELNS1_3repE0EEENS1_30default_config_static_selectorELNS0_4arch9wavefront6targetE1EEEvSY_,@function
_ZN7rocprim17ROCPRIM_400000_NS6detail17trampoline_kernelINS0_13select_configILj256ELj13ELNS0_17block_load_methodE3ELS4_3ELS4_3ELNS0_20block_scan_algorithmE0ELj4294967295EEENS1_25partition_config_selectorILNS1_17partition_subalgoE3EjNS0_10empty_typeEbEEZZNS1_14partition_implILS8_3ELb0ES6_jNS0_17counting_iteratorIjlEEPS9_SE_NS0_5tupleIJPjSE_EEENSF_IJSE_SE_EEES9_SG_JZNS1_25segmented_radix_sort_implINS0_14default_configELb1EPKsPsPKlPlN2at6native12_GLOBAL__N_18offset_tEEE10hipError_tPvRmT1_PNSt15iterator_traitsISY_E10value_typeET2_T3_PNSZ_IS14_E10value_typeET4_jRbjT5_S1A_jjP12ihipStream_tbEUljE_EEESV_SW_SX_S14_S18_S1A_T6_T7_T9_mT8_S1C_bDpT10_ENKUlT_T0_E_clISt17integral_constantIbLb1EES1P_EEDaS1K_S1L_EUlS1K_E_NS1_11comp_targetILNS1_3genE3ELNS1_11target_archE908ELNS1_3gpuE7ELNS1_3repE0EEENS1_30default_config_static_selectorELNS0_4arch9wavefront6targetE1EEEvSY_: ; @_ZN7rocprim17ROCPRIM_400000_NS6detail17trampoline_kernelINS0_13select_configILj256ELj13ELNS0_17block_load_methodE3ELS4_3ELS4_3ELNS0_20block_scan_algorithmE0ELj4294967295EEENS1_25partition_config_selectorILNS1_17partition_subalgoE3EjNS0_10empty_typeEbEEZZNS1_14partition_implILS8_3ELb0ES6_jNS0_17counting_iteratorIjlEEPS9_SE_NS0_5tupleIJPjSE_EEENSF_IJSE_SE_EEES9_SG_JZNS1_25segmented_radix_sort_implINS0_14default_configELb1EPKsPsPKlPlN2at6native12_GLOBAL__N_18offset_tEEE10hipError_tPvRmT1_PNSt15iterator_traitsISY_E10value_typeET2_T3_PNSZ_IS14_E10value_typeET4_jRbjT5_S1A_jjP12ihipStream_tbEUljE_EEESV_SW_SX_S14_S18_S1A_T6_T7_T9_mT8_S1C_bDpT10_ENKUlT_T0_E_clISt17integral_constantIbLb1EES1P_EEDaS1K_S1L_EUlS1K_E_NS1_11comp_targetILNS1_3genE3ELNS1_11target_archE908ELNS1_3gpuE7ELNS1_3repE0EEENS1_30default_config_static_selectorELNS0_4arch9wavefront6targetE1EEEvSY_
; %bb.0:
	.section	.rodata,"a",@progbits
	.p2align	6, 0x0
	.amdhsa_kernel _ZN7rocprim17ROCPRIM_400000_NS6detail17trampoline_kernelINS0_13select_configILj256ELj13ELNS0_17block_load_methodE3ELS4_3ELS4_3ELNS0_20block_scan_algorithmE0ELj4294967295EEENS1_25partition_config_selectorILNS1_17partition_subalgoE3EjNS0_10empty_typeEbEEZZNS1_14partition_implILS8_3ELb0ES6_jNS0_17counting_iteratorIjlEEPS9_SE_NS0_5tupleIJPjSE_EEENSF_IJSE_SE_EEES9_SG_JZNS1_25segmented_radix_sort_implINS0_14default_configELb1EPKsPsPKlPlN2at6native12_GLOBAL__N_18offset_tEEE10hipError_tPvRmT1_PNSt15iterator_traitsISY_E10value_typeET2_T3_PNSZ_IS14_E10value_typeET4_jRbjT5_S1A_jjP12ihipStream_tbEUljE_EEESV_SW_SX_S14_S18_S1A_T6_T7_T9_mT8_S1C_bDpT10_ENKUlT_T0_E_clISt17integral_constantIbLb1EES1P_EEDaS1K_S1L_EUlS1K_E_NS1_11comp_targetILNS1_3genE3ELNS1_11target_archE908ELNS1_3gpuE7ELNS1_3repE0EEENS1_30default_config_static_selectorELNS0_4arch9wavefront6targetE1EEEvSY_
		.amdhsa_group_segment_fixed_size 0
		.amdhsa_private_segment_fixed_size 0
		.amdhsa_kernarg_size 152
		.amdhsa_user_sgpr_count 6
		.amdhsa_user_sgpr_private_segment_buffer 1
		.amdhsa_user_sgpr_dispatch_ptr 0
		.amdhsa_user_sgpr_queue_ptr 0
		.amdhsa_user_sgpr_kernarg_segment_ptr 1
		.amdhsa_user_sgpr_dispatch_id 0
		.amdhsa_user_sgpr_flat_scratch_init 0
		.amdhsa_user_sgpr_private_segment_size 0
		.amdhsa_uses_dynamic_stack 0
		.amdhsa_system_sgpr_private_segment_wavefront_offset 0
		.amdhsa_system_sgpr_workgroup_id_x 1
		.amdhsa_system_sgpr_workgroup_id_y 0
		.amdhsa_system_sgpr_workgroup_id_z 0
		.amdhsa_system_sgpr_workgroup_info 0
		.amdhsa_system_vgpr_workitem_id 0
		.amdhsa_next_free_vgpr 1
		.amdhsa_next_free_sgpr 0
		.amdhsa_reserve_vcc 0
		.amdhsa_reserve_flat_scratch 0
		.amdhsa_float_round_mode_32 0
		.amdhsa_float_round_mode_16_64 0
		.amdhsa_float_denorm_mode_32 3
		.amdhsa_float_denorm_mode_16_64 3
		.amdhsa_dx10_clamp 1
		.amdhsa_ieee_mode 1
		.amdhsa_fp16_overflow 0
		.amdhsa_exception_fp_ieee_invalid_op 0
		.amdhsa_exception_fp_denorm_src 0
		.amdhsa_exception_fp_ieee_div_zero 0
		.amdhsa_exception_fp_ieee_overflow 0
		.amdhsa_exception_fp_ieee_underflow 0
		.amdhsa_exception_fp_ieee_inexact 0
		.amdhsa_exception_int_div_zero 0
	.end_amdhsa_kernel
	.section	.text._ZN7rocprim17ROCPRIM_400000_NS6detail17trampoline_kernelINS0_13select_configILj256ELj13ELNS0_17block_load_methodE3ELS4_3ELS4_3ELNS0_20block_scan_algorithmE0ELj4294967295EEENS1_25partition_config_selectorILNS1_17partition_subalgoE3EjNS0_10empty_typeEbEEZZNS1_14partition_implILS8_3ELb0ES6_jNS0_17counting_iteratorIjlEEPS9_SE_NS0_5tupleIJPjSE_EEENSF_IJSE_SE_EEES9_SG_JZNS1_25segmented_radix_sort_implINS0_14default_configELb1EPKsPsPKlPlN2at6native12_GLOBAL__N_18offset_tEEE10hipError_tPvRmT1_PNSt15iterator_traitsISY_E10value_typeET2_T3_PNSZ_IS14_E10value_typeET4_jRbjT5_S1A_jjP12ihipStream_tbEUljE_EEESV_SW_SX_S14_S18_S1A_T6_T7_T9_mT8_S1C_bDpT10_ENKUlT_T0_E_clISt17integral_constantIbLb1EES1P_EEDaS1K_S1L_EUlS1K_E_NS1_11comp_targetILNS1_3genE3ELNS1_11target_archE908ELNS1_3gpuE7ELNS1_3repE0EEENS1_30default_config_static_selectorELNS0_4arch9wavefront6targetE1EEEvSY_,"axG",@progbits,_ZN7rocprim17ROCPRIM_400000_NS6detail17trampoline_kernelINS0_13select_configILj256ELj13ELNS0_17block_load_methodE3ELS4_3ELS4_3ELNS0_20block_scan_algorithmE0ELj4294967295EEENS1_25partition_config_selectorILNS1_17partition_subalgoE3EjNS0_10empty_typeEbEEZZNS1_14partition_implILS8_3ELb0ES6_jNS0_17counting_iteratorIjlEEPS9_SE_NS0_5tupleIJPjSE_EEENSF_IJSE_SE_EEES9_SG_JZNS1_25segmented_radix_sort_implINS0_14default_configELb1EPKsPsPKlPlN2at6native12_GLOBAL__N_18offset_tEEE10hipError_tPvRmT1_PNSt15iterator_traitsISY_E10value_typeET2_T3_PNSZ_IS14_E10value_typeET4_jRbjT5_S1A_jjP12ihipStream_tbEUljE_EEESV_SW_SX_S14_S18_S1A_T6_T7_T9_mT8_S1C_bDpT10_ENKUlT_T0_E_clISt17integral_constantIbLb1EES1P_EEDaS1K_S1L_EUlS1K_E_NS1_11comp_targetILNS1_3genE3ELNS1_11target_archE908ELNS1_3gpuE7ELNS1_3repE0EEENS1_30default_config_static_selectorELNS0_4arch9wavefront6targetE1EEEvSY_,comdat
.Lfunc_end890:
	.size	_ZN7rocprim17ROCPRIM_400000_NS6detail17trampoline_kernelINS0_13select_configILj256ELj13ELNS0_17block_load_methodE3ELS4_3ELS4_3ELNS0_20block_scan_algorithmE0ELj4294967295EEENS1_25partition_config_selectorILNS1_17partition_subalgoE3EjNS0_10empty_typeEbEEZZNS1_14partition_implILS8_3ELb0ES6_jNS0_17counting_iteratorIjlEEPS9_SE_NS0_5tupleIJPjSE_EEENSF_IJSE_SE_EEES9_SG_JZNS1_25segmented_radix_sort_implINS0_14default_configELb1EPKsPsPKlPlN2at6native12_GLOBAL__N_18offset_tEEE10hipError_tPvRmT1_PNSt15iterator_traitsISY_E10value_typeET2_T3_PNSZ_IS14_E10value_typeET4_jRbjT5_S1A_jjP12ihipStream_tbEUljE_EEESV_SW_SX_S14_S18_S1A_T6_T7_T9_mT8_S1C_bDpT10_ENKUlT_T0_E_clISt17integral_constantIbLb1EES1P_EEDaS1K_S1L_EUlS1K_E_NS1_11comp_targetILNS1_3genE3ELNS1_11target_archE908ELNS1_3gpuE7ELNS1_3repE0EEENS1_30default_config_static_selectorELNS0_4arch9wavefront6targetE1EEEvSY_, .Lfunc_end890-_ZN7rocprim17ROCPRIM_400000_NS6detail17trampoline_kernelINS0_13select_configILj256ELj13ELNS0_17block_load_methodE3ELS4_3ELS4_3ELNS0_20block_scan_algorithmE0ELj4294967295EEENS1_25partition_config_selectorILNS1_17partition_subalgoE3EjNS0_10empty_typeEbEEZZNS1_14partition_implILS8_3ELb0ES6_jNS0_17counting_iteratorIjlEEPS9_SE_NS0_5tupleIJPjSE_EEENSF_IJSE_SE_EEES9_SG_JZNS1_25segmented_radix_sort_implINS0_14default_configELb1EPKsPsPKlPlN2at6native12_GLOBAL__N_18offset_tEEE10hipError_tPvRmT1_PNSt15iterator_traitsISY_E10value_typeET2_T3_PNSZ_IS14_E10value_typeET4_jRbjT5_S1A_jjP12ihipStream_tbEUljE_EEESV_SW_SX_S14_S18_S1A_T6_T7_T9_mT8_S1C_bDpT10_ENKUlT_T0_E_clISt17integral_constantIbLb1EES1P_EEDaS1K_S1L_EUlS1K_E_NS1_11comp_targetILNS1_3genE3ELNS1_11target_archE908ELNS1_3gpuE7ELNS1_3repE0EEENS1_30default_config_static_selectorELNS0_4arch9wavefront6targetE1EEEvSY_
                                        ; -- End function
	.set _ZN7rocprim17ROCPRIM_400000_NS6detail17trampoline_kernelINS0_13select_configILj256ELj13ELNS0_17block_load_methodE3ELS4_3ELS4_3ELNS0_20block_scan_algorithmE0ELj4294967295EEENS1_25partition_config_selectorILNS1_17partition_subalgoE3EjNS0_10empty_typeEbEEZZNS1_14partition_implILS8_3ELb0ES6_jNS0_17counting_iteratorIjlEEPS9_SE_NS0_5tupleIJPjSE_EEENSF_IJSE_SE_EEES9_SG_JZNS1_25segmented_radix_sort_implINS0_14default_configELb1EPKsPsPKlPlN2at6native12_GLOBAL__N_18offset_tEEE10hipError_tPvRmT1_PNSt15iterator_traitsISY_E10value_typeET2_T3_PNSZ_IS14_E10value_typeET4_jRbjT5_S1A_jjP12ihipStream_tbEUljE_EEESV_SW_SX_S14_S18_S1A_T6_T7_T9_mT8_S1C_bDpT10_ENKUlT_T0_E_clISt17integral_constantIbLb1EES1P_EEDaS1K_S1L_EUlS1K_E_NS1_11comp_targetILNS1_3genE3ELNS1_11target_archE908ELNS1_3gpuE7ELNS1_3repE0EEENS1_30default_config_static_selectorELNS0_4arch9wavefront6targetE1EEEvSY_.num_vgpr, 0
	.set _ZN7rocprim17ROCPRIM_400000_NS6detail17trampoline_kernelINS0_13select_configILj256ELj13ELNS0_17block_load_methodE3ELS4_3ELS4_3ELNS0_20block_scan_algorithmE0ELj4294967295EEENS1_25partition_config_selectorILNS1_17partition_subalgoE3EjNS0_10empty_typeEbEEZZNS1_14partition_implILS8_3ELb0ES6_jNS0_17counting_iteratorIjlEEPS9_SE_NS0_5tupleIJPjSE_EEENSF_IJSE_SE_EEES9_SG_JZNS1_25segmented_radix_sort_implINS0_14default_configELb1EPKsPsPKlPlN2at6native12_GLOBAL__N_18offset_tEEE10hipError_tPvRmT1_PNSt15iterator_traitsISY_E10value_typeET2_T3_PNSZ_IS14_E10value_typeET4_jRbjT5_S1A_jjP12ihipStream_tbEUljE_EEESV_SW_SX_S14_S18_S1A_T6_T7_T9_mT8_S1C_bDpT10_ENKUlT_T0_E_clISt17integral_constantIbLb1EES1P_EEDaS1K_S1L_EUlS1K_E_NS1_11comp_targetILNS1_3genE3ELNS1_11target_archE908ELNS1_3gpuE7ELNS1_3repE0EEENS1_30default_config_static_selectorELNS0_4arch9wavefront6targetE1EEEvSY_.num_agpr, 0
	.set _ZN7rocprim17ROCPRIM_400000_NS6detail17trampoline_kernelINS0_13select_configILj256ELj13ELNS0_17block_load_methodE3ELS4_3ELS4_3ELNS0_20block_scan_algorithmE0ELj4294967295EEENS1_25partition_config_selectorILNS1_17partition_subalgoE3EjNS0_10empty_typeEbEEZZNS1_14partition_implILS8_3ELb0ES6_jNS0_17counting_iteratorIjlEEPS9_SE_NS0_5tupleIJPjSE_EEENSF_IJSE_SE_EEES9_SG_JZNS1_25segmented_radix_sort_implINS0_14default_configELb1EPKsPsPKlPlN2at6native12_GLOBAL__N_18offset_tEEE10hipError_tPvRmT1_PNSt15iterator_traitsISY_E10value_typeET2_T3_PNSZ_IS14_E10value_typeET4_jRbjT5_S1A_jjP12ihipStream_tbEUljE_EEESV_SW_SX_S14_S18_S1A_T6_T7_T9_mT8_S1C_bDpT10_ENKUlT_T0_E_clISt17integral_constantIbLb1EES1P_EEDaS1K_S1L_EUlS1K_E_NS1_11comp_targetILNS1_3genE3ELNS1_11target_archE908ELNS1_3gpuE7ELNS1_3repE0EEENS1_30default_config_static_selectorELNS0_4arch9wavefront6targetE1EEEvSY_.numbered_sgpr, 0
	.set _ZN7rocprim17ROCPRIM_400000_NS6detail17trampoline_kernelINS0_13select_configILj256ELj13ELNS0_17block_load_methodE3ELS4_3ELS4_3ELNS0_20block_scan_algorithmE0ELj4294967295EEENS1_25partition_config_selectorILNS1_17partition_subalgoE3EjNS0_10empty_typeEbEEZZNS1_14partition_implILS8_3ELb0ES6_jNS0_17counting_iteratorIjlEEPS9_SE_NS0_5tupleIJPjSE_EEENSF_IJSE_SE_EEES9_SG_JZNS1_25segmented_radix_sort_implINS0_14default_configELb1EPKsPsPKlPlN2at6native12_GLOBAL__N_18offset_tEEE10hipError_tPvRmT1_PNSt15iterator_traitsISY_E10value_typeET2_T3_PNSZ_IS14_E10value_typeET4_jRbjT5_S1A_jjP12ihipStream_tbEUljE_EEESV_SW_SX_S14_S18_S1A_T6_T7_T9_mT8_S1C_bDpT10_ENKUlT_T0_E_clISt17integral_constantIbLb1EES1P_EEDaS1K_S1L_EUlS1K_E_NS1_11comp_targetILNS1_3genE3ELNS1_11target_archE908ELNS1_3gpuE7ELNS1_3repE0EEENS1_30default_config_static_selectorELNS0_4arch9wavefront6targetE1EEEvSY_.num_named_barrier, 0
	.set _ZN7rocprim17ROCPRIM_400000_NS6detail17trampoline_kernelINS0_13select_configILj256ELj13ELNS0_17block_load_methodE3ELS4_3ELS4_3ELNS0_20block_scan_algorithmE0ELj4294967295EEENS1_25partition_config_selectorILNS1_17partition_subalgoE3EjNS0_10empty_typeEbEEZZNS1_14partition_implILS8_3ELb0ES6_jNS0_17counting_iteratorIjlEEPS9_SE_NS0_5tupleIJPjSE_EEENSF_IJSE_SE_EEES9_SG_JZNS1_25segmented_radix_sort_implINS0_14default_configELb1EPKsPsPKlPlN2at6native12_GLOBAL__N_18offset_tEEE10hipError_tPvRmT1_PNSt15iterator_traitsISY_E10value_typeET2_T3_PNSZ_IS14_E10value_typeET4_jRbjT5_S1A_jjP12ihipStream_tbEUljE_EEESV_SW_SX_S14_S18_S1A_T6_T7_T9_mT8_S1C_bDpT10_ENKUlT_T0_E_clISt17integral_constantIbLb1EES1P_EEDaS1K_S1L_EUlS1K_E_NS1_11comp_targetILNS1_3genE3ELNS1_11target_archE908ELNS1_3gpuE7ELNS1_3repE0EEENS1_30default_config_static_selectorELNS0_4arch9wavefront6targetE1EEEvSY_.private_seg_size, 0
	.set _ZN7rocprim17ROCPRIM_400000_NS6detail17trampoline_kernelINS0_13select_configILj256ELj13ELNS0_17block_load_methodE3ELS4_3ELS4_3ELNS0_20block_scan_algorithmE0ELj4294967295EEENS1_25partition_config_selectorILNS1_17partition_subalgoE3EjNS0_10empty_typeEbEEZZNS1_14partition_implILS8_3ELb0ES6_jNS0_17counting_iteratorIjlEEPS9_SE_NS0_5tupleIJPjSE_EEENSF_IJSE_SE_EEES9_SG_JZNS1_25segmented_radix_sort_implINS0_14default_configELb1EPKsPsPKlPlN2at6native12_GLOBAL__N_18offset_tEEE10hipError_tPvRmT1_PNSt15iterator_traitsISY_E10value_typeET2_T3_PNSZ_IS14_E10value_typeET4_jRbjT5_S1A_jjP12ihipStream_tbEUljE_EEESV_SW_SX_S14_S18_S1A_T6_T7_T9_mT8_S1C_bDpT10_ENKUlT_T0_E_clISt17integral_constantIbLb1EES1P_EEDaS1K_S1L_EUlS1K_E_NS1_11comp_targetILNS1_3genE3ELNS1_11target_archE908ELNS1_3gpuE7ELNS1_3repE0EEENS1_30default_config_static_selectorELNS0_4arch9wavefront6targetE1EEEvSY_.uses_vcc, 0
	.set _ZN7rocprim17ROCPRIM_400000_NS6detail17trampoline_kernelINS0_13select_configILj256ELj13ELNS0_17block_load_methodE3ELS4_3ELS4_3ELNS0_20block_scan_algorithmE0ELj4294967295EEENS1_25partition_config_selectorILNS1_17partition_subalgoE3EjNS0_10empty_typeEbEEZZNS1_14partition_implILS8_3ELb0ES6_jNS0_17counting_iteratorIjlEEPS9_SE_NS0_5tupleIJPjSE_EEENSF_IJSE_SE_EEES9_SG_JZNS1_25segmented_radix_sort_implINS0_14default_configELb1EPKsPsPKlPlN2at6native12_GLOBAL__N_18offset_tEEE10hipError_tPvRmT1_PNSt15iterator_traitsISY_E10value_typeET2_T3_PNSZ_IS14_E10value_typeET4_jRbjT5_S1A_jjP12ihipStream_tbEUljE_EEESV_SW_SX_S14_S18_S1A_T6_T7_T9_mT8_S1C_bDpT10_ENKUlT_T0_E_clISt17integral_constantIbLb1EES1P_EEDaS1K_S1L_EUlS1K_E_NS1_11comp_targetILNS1_3genE3ELNS1_11target_archE908ELNS1_3gpuE7ELNS1_3repE0EEENS1_30default_config_static_selectorELNS0_4arch9wavefront6targetE1EEEvSY_.uses_flat_scratch, 0
	.set _ZN7rocprim17ROCPRIM_400000_NS6detail17trampoline_kernelINS0_13select_configILj256ELj13ELNS0_17block_load_methodE3ELS4_3ELS4_3ELNS0_20block_scan_algorithmE0ELj4294967295EEENS1_25partition_config_selectorILNS1_17partition_subalgoE3EjNS0_10empty_typeEbEEZZNS1_14partition_implILS8_3ELb0ES6_jNS0_17counting_iteratorIjlEEPS9_SE_NS0_5tupleIJPjSE_EEENSF_IJSE_SE_EEES9_SG_JZNS1_25segmented_radix_sort_implINS0_14default_configELb1EPKsPsPKlPlN2at6native12_GLOBAL__N_18offset_tEEE10hipError_tPvRmT1_PNSt15iterator_traitsISY_E10value_typeET2_T3_PNSZ_IS14_E10value_typeET4_jRbjT5_S1A_jjP12ihipStream_tbEUljE_EEESV_SW_SX_S14_S18_S1A_T6_T7_T9_mT8_S1C_bDpT10_ENKUlT_T0_E_clISt17integral_constantIbLb1EES1P_EEDaS1K_S1L_EUlS1K_E_NS1_11comp_targetILNS1_3genE3ELNS1_11target_archE908ELNS1_3gpuE7ELNS1_3repE0EEENS1_30default_config_static_selectorELNS0_4arch9wavefront6targetE1EEEvSY_.has_dyn_sized_stack, 0
	.set _ZN7rocprim17ROCPRIM_400000_NS6detail17trampoline_kernelINS0_13select_configILj256ELj13ELNS0_17block_load_methodE3ELS4_3ELS4_3ELNS0_20block_scan_algorithmE0ELj4294967295EEENS1_25partition_config_selectorILNS1_17partition_subalgoE3EjNS0_10empty_typeEbEEZZNS1_14partition_implILS8_3ELb0ES6_jNS0_17counting_iteratorIjlEEPS9_SE_NS0_5tupleIJPjSE_EEENSF_IJSE_SE_EEES9_SG_JZNS1_25segmented_radix_sort_implINS0_14default_configELb1EPKsPsPKlPlN2at6native12_GLOBAL__N_18offset_tEEE10hipError_tPvRmT1_PNSt15iterator_traitsISY_E10value_typeET2_T3_PNSZ_IS14_E10value_typeET4_jRbjT5_S1A_jjP12ihipStream_tbEUljE_EEESV_SW_SX_S14_S18_S1A_T6_T7_T9_mT8_S1C_bDpT10_ENKUlT_T0_E_clISt17integral_constantIbLb1EES1P_EEDaS1K_S1L_EUlS1K_E_NS1_11comp_targetILNS1_3genE3ELNS1_11target_archE908ELNS1_3gpuE7ELNS1_3repE0EEENS1_30default_config_static_selectorELNS0_4arch9wavefront6targetE1EEEvSY_.has_recursion, 0
	.set _ZN7rocprim17ROCPRIM_400000_NS6detail17trampoline_kernelINS0_13select_configILj256ELj13ELNS0_17block_load_methodE3ELS4_3ELS4_3ELNS0_20block_scan_algorithmE0ELj4294967295EEENS1_25partition_config_selectorILNS1_17partition_subalgoE3EjNS0_10empty_typeEbEEZZNS1_14partition_implILS8_3ELb0ES6_jNS0_17counting_iteratorIjlEEPS9_SE_NS0_5tupleIJPjSE_EEENSF_IJSE_SE_EEES9_SG_JZNS1_25segmented_radix_sort_implINS0_14default_configELb1EPKsPsPKlPlN2at6native12_GLOBAL__N_18offset_tEEE10hipError_tPvRmT1_PNSt15iterator_traitsISY_E10value_typeET2_T3_PNSZ_IS14_E10value_typeET4_jRbjT5_S1A_jjP12ihipStream_tbEUljE_EEESV_SW_SX_S14_S18_S1A_T6_T7_T9_mT8_S1C_bDpT10_ENKUlT_T0_E_clISt17integral_constantIbLb1EES1P_EEDaS1K_S1L_EUlS1K_E_NS1_11comp_targetILNS1_3genE3ELNS1_11target_archE908ELNS1_3gpuE7ELNS1_3repE0EEENS1_30default_config_static_selectorELNS0_4arch9wavefront6targetE1EEEvSY_.has_indirect_call, 0
	.section	.AMDGPU.csdata,"",@progbits
; Kernel info:
; codeLenInByte = 0
; TotalNumSgprs: 4
; NumVgprs: 0
; ScratchSize: 0
; MemoryBound: 0
; FloatMode: 240
; IeeeMode: 1
; LDSByteSize: 0 bytes/workgroup (compile time only)
; SGPRBlocks: 0
; VGPRBlocks: 0
; NumSGPRsForWavesPerEU: 4
; NumVGPRsForWavesPerEU: 1
; Occupancy: 10
; WaveLimiterHint : 0
; COMPUTE_PGM_RSRC2:SCRATCH_EN: 0
; COMPUTE_PGM_RSRC2:USER_SGPR: 6
; COMPUTE_PGM_RSRC2:TRAP_HANDLER: 0
; COMPUTE_PGM_RSRC2:TGID_X_EN: 1
; COMPUTE_PGM_RSRC2:TGID_Y_EN: 0
; COMPUTE_PGM_RSRC2:TGID_Z_EN: 0
; COMPUTE_PGM_RSRC2:TIDIG_COMP_CNT: 0
	.section	.text._ZN7rocprim17ROCPRIM_400000_NS6detail17trampoline_kernelINS0_13select_configILj256ELj13ELNS0_17block_load_methodE3ELS4_3ELS4_3ELNS0_20block_scan_algorithmE0ELj4294967295EEENS1_25partition_config_selectorILNS1_17partition_subalgoE3EjNS0_10empty_typeEbEEZZNS1_14partition_implILS8_3ELb0ES6_jNS0_17counting_iteratorIjlEEPS9_SE_NS0_5tupleIJPjSE_EEENSF_IJSE_SE_EEES9_SG_JZNS1_25segmented_radix_sort_implINS0_14default_configELb1EPKsPsPKlPlN2at6native12_GLOBAL__N_18offset_tEEE10hipError_tPvRmT1_PNSt15iterator_traitsISY_E10value_typeET2_T3_PNSZ_IS14_E10value_typeET4_jRbjT5_S1A_jjP12ihipStream_tbEUljE_EEESV_SW_SX_S14_S18_S1A_T6_T7_T9_mT8_S1C_bDpT10_ENKUlT_T0_E_clISt17integral_constantIbLb1EES1P_EEDaS1K_S1L_EUlS1K_E_NS1_11comp_targetILNS1_3genE2ELNS1_11target_archE906ELNS1_3gpuE6ELNS1_3repE0EEENS1_30default_config_static_selectorELNS0_4arch9wavefront6targetE1EEEvSY_,"axG",@progbits,_ZN7rocprim17ROCPRIM_400000_NS6detail17trampoline_kernelINS0_13select_configILj256ELj13ELNS0_17block_load_methodE3ELS4_3ELS4_3ELNS0_20block_scan_algorithmE0ELj4294967295EEENS1_25partition_config_selectorILNS1_17partition_subalgoE3EjNS0_10empty_typeEbEEZZNS1_14partition_implILS8_3ELb0ES6_jNS0_17counting_iteratorIjlEEPS9_SE_NS0_5tupleIJPjSE_EEENSF_IJSE_SE_EEES9_SG_JZNS1_25segmented_radix_sort_implINS0_14default_configELb1EPKsPsPKlPlN2at6native12_GLOBAL__N_18offset_tEEE10hipError_tPvRmT1_PNSt15iterator_traitsISY_E10value_typeET2_T3_PNSZ_IS14_E10value_typeET4_jRbjT5_S1A_jjP12ihipStream_tbEUljE_EEESV_SW_SX_S14_S18_S1A_T6_T7_T9_mT8_S1C_bDpT10_ENKUlT_T0_E_clISt17integral_constantIbLb1EES1P_EEDaS1K_S1L_EUlS1K_E_NS1_11comp_targetILNS1_3genE2ELNS1_11target_archE906ELNS1_3gpuE6ELNS1_3repE0EEENS1_30default_config_static_selectorELNS0_4arch9wavefront6targetE1EEEvSY_,comdat
	.globl	_ZN7rocprim17ROCPRIM_400000_NS6detail17trampoline_kernelINS0_13select_configILj256ELj13ELNS0_17block_load_methodE3ELS4_3ELS4_3ELNS0_20block_scan_algorithmE0ELj4294967295EEENS1_25partition_config_selectorILNS1_17partition_subalgoE3EjNS0_10empty_typeEbEEZZNS1_14partition_implILS8_3ELb0ES6_jNS0_17counting_iteratorIjlEEPS9_SE_NS0_5tupleIJPjSE_EEENSF_IJSE_SE_EEES9_SG_JZNS1_25segmented_radix_sort_implINS0_14default_configELb1EPKsPsPKlPlN2at6native12_GLOBAL__N_18offset_tEEE10hipError_tPvRmT1_PNSt15iterator_traitsISY_E10value_typeET2_T3_PNSZ_IS14_E10value_typeET4_jRbjT5_S1A_jjP12ihipStream_tbEUljE_EEESV_SW_SX_S14_S18_S1A_T6_T7_T9_mT8_S1C_bDpT10_ENKUlT_T0_E_clISt17integral_constantIbLb1EES1P_EEDaS1K_S1L_EUlS1K_E_NS1_11comp_targetILNS1_3genE2ELNS1_11target_archE906ELNS1_3gpuE6ELNS1_3repE0EEENS1_30default_config_static_selectorELNS0_4arch9wavefront6targetE1EEEvSY_ ; -- Begin function _ZN7rocprim17ROCPRIM_400000_NS6detail17trampoline_kernelINS0_13select_configILj256ELj13ELNS0_17block_load_methodE3ELS4_3ELS4_3ELNS0_20block_scan_algorithmE0ELj4294967295EEENS1_25partition_config_selectorILNS1_17partition_subalgoE3EjNS0_10empty_typeEbEEZZNS1_14partition_implILS8_3ELb0ES6_jNS0_17counting_iteratorIjlEEPS9_SE_NS0_5tupleIJPjSE_EEENSF_IJSE_SE_EEES9_SG_JZNS1_25segmented_radix_sort_implINS0_14default_configELb1EPKsPsPKlPlN2at6native12_GLOBAL__N_18offset_tEEE10hipError_tPvRmT1_PNSt15iterator_traitsISY_E10value_typeET2_T3_PNSZ_IS14_E10value_typeET4_jRbjT5_S1A_jjP12ihipStream_tbEUljE_EEESV_SW_SX_S14_S18_S1A_T6_T7_T9_mT8_S1C_bDpT10_ENKUlT_T0_E_clISt17integral_constantIbLb1EES1P_EEDaS1K_S1L_EUlS1K_E_NS1_11comp_targetILNS1_3genE2ELNS1_11target_archE906ELNS1_3gpuE6ELNS1_3repE0EEENS1_30default_config_static_selectorELNS0_4arch9wavefront6targetE1EEEvSY_
	.p2align	8
	.type	_ZN7rocprim17ROCPRIM_400000_NS6detail17trampoline_kernelINS0_13select_configILj256ELj13ELNS0_17block_load_methodE3ELS4_3ELS4_3ELNS0_20block_scan_algorithmE0ELj4294967295EEENS1_25partition_config_selectorILNS1_17partition_subalgoE3EjNS0_10empty_typeEbEEZZNS1_14partition_implILS8_3ELb0ES6_jNS0_17counting_iteratorIjlEEPS9_SE_NS0_5tupleIJPjSE_EEENSF_IJSE_SE_EEES9_SG_JZNS1_25segmented_radix_sort_implINS0_14default_configELb1EPKsPsPKlPlN2at6native12_GLOBAL__N_18offset_tEEE10hipError_tPvRmT1_PNSt15iterator_traitsISY_E10value_typeET2_T3_PNSZ_IS14_E10value_typeET4_jRbjT5_S1A_jjP12ihipStream_tbEUljE_EEESV_SW_SX_S14_S18_S1A_T6_T7_T9_mT8_S1C_bDpT10_ENKUlT_T0_E_clISt17integral_constantIbLb1EES1P_EEDaS1K_S1L_EUlS1K_E_NS1_11comp_targetILNS1_3genE2ELNS1_11target_archE906ELNS1_3gpuE6ELNS1_3repE0EEENS1_30default_config_static_selectorELNS0_4arch9wavefront6targetE1EEEvSY_,@function
_ZN7rocprim17ROCPRIM_400000_NS6detail17trampoline_kernelINS0_13select_configILj256ELj13ELNS0_17block_load_methodE3ELS4_3ELS4_3ELNS0_20block_scan_algorithmE0ELj4294967295EEENS1_25partition_config_selectorILNS1_17partition_subalgoE3EjNS0_10empty_typeEbEEZZNS1_14partition_implILS8_3ELb0ES6_jNS0_17counting_iteratorIjlEEPS9_SE_NS0_5tupleIJPjSE_EEENSF_IJSE_SE_EEES9_SG_JZNS1_25segmented_radix_sort_implINS0_14default_configELb1EPKsPsPKlPlN2at6native12_GLOBAL__N_18offset_tEEE10hipError_tPvRmT1_PNSt15iterator_traitsISY_E10value_typeET2_T3_PNSZ_IS14_E10value_typeET4_jRbjT5_S1A_jjP12ihipStream_tbEUljE_EEESV_SW_SX_S14_S18_S1A_T6_T7_T9_mT8_S1C_bDpT10_ENKUlT_T0_E_clISt17integral_constantIbLb1EES1P_EEDaS1K_S1L_EUlS1K_E_NS1_11comp_targetILNS1_3genE2ELNS1_11target_archE906ELNS1_3gpuE6ELNS1_3repE0EEENS1_30default_config_static_selectorELNS0_4arch9wavefront6targetE1EEEvSY_: ; @_ZN7rocprim17ROCPRIM_400000_NS6detail17trampoline_kernelINS0_13select_configILj256ELj13ELNS0_17block_load_methodE3ELS4_3ELS4_3ELNS0_20block_scan_algorithmE0ELj4294967295EEENS1_25partition_config_selectorILNS1_17partition_subalgoE3EjNS0_10empty_typeEbEEZZNS1_14partition_implILS8_3ELb0ES6_jNS0_17counting_iteratorIjlEEPS9_SE_NS0_5tupleIJPjSE_EEENSF_IJSE_SE_EEES9_SG_JZNS1_25segmented_radix_sort_implINS0_14default_configELb1EPKsPsPKlPlN2at6native12_GLOBAL__N_18offset_tEEE10hipError_tPvRmT1_PNSt15iterator_traitsISY_E10value_typeET2_T3_PNSZ_IS14_E10value_typeET4_jRbjT5_S1A_jjP12ihipStream_tbEUljE_EEESV_SW_SX_S14_S18_S1A_T6_T7_T9_mT8_S1C_bDpT10_ENKUlT_T0_E_clISt17integral_constantIbLb1EES1P_EEDaS1K_S1L_EUlS1K_E_NS1_11comp_targetILNS1_3genE2ELNS1_11target_archE906ELNS1_3gpuE6ELNS1_3repE0EEENS1_30default_config_static_selectorELNS0_4arch9wavefront6targetE1EEEvSY_
; %bb.0:
	s_endpgm
	.section	.rodata,"a",@progbits
	.p2align	6, 0x0
	.amdhsa_kernel _ZN7rocprim17ROCPRIM_400000_NS6detail17trampoline_kernelINS0_13select_configILj256ELj13ELNS0_17block_load_methodE3ELS4_3ELS4_3ELNS0_20block_scan_algorithmE0ELj4294967295EEENS1_25partition_config_selectorILNS1_17partition_subalgoE3EjNS0_10empty_typeEbEEZZNS1_14partition_implILS8_3ELb0ES6_jNS0_17counting_iteratorIjlEEPS9_SE_NS0_5tupleIJPjSE_EEENSF_IJSE_SE_EEES9_SG_JZNS1_25segmented_radix_sort_implINS0_14default_configELb1EPKsPsPKlPlN2at6native12_GLOBAL__N_18offset_tEEE10hipError_tPvRmT1_PNSt15iterator_traitsISY_E10value_typeET2_T3_PNSZ_IS14_E10value_typeET4_jRbjT5_S1A_jjP12ihipStream_tbEUljE_EEESV_SW_SX_S14_S18_S1A_T6_T7_T9_mT8_S1C_bDpT10_ENKUlT_T0_E_clISt17integral_constantIbLb1EES1P_EEDaS1K_S1L_EUlS1K_E_NS1_11comp_targetILNS1_3genE2ELNS1_11target_archE906ELNS1_3gpuE6ELNS1_3repE0EEENS1_30default_config_static_selectorELNS0_4arch9wavefront6targetE1EEEvSY_
		.amdhsa_group_segment_fixed_size 0
		.amdhsa_private_segment_fixed_size 0
		.amdhsa_kernarg_size 152
		.amdhsa_user_sgpr_count 6
		.amdhsa_user_sgpr_private_segment_buffer 1
		.amdhsa_user_sgpr_dispatch_ptr 0
		.amdhsa_user_sgpr_queue_ptr 0
		.amdhsa_user_sgpr_kernarg_segment_ptr 1
		.amdhsa_user_sgpr_dispatch_id 0
		.amdhsa_user_sgpr_flat_scratch_init 0
		.amdhsa_user_sgpr_private_segment_size 0
		.amdhsa_uses_dynamic_stack 0
		.amdhsa_system_sgpr_private_segment_wavefront_offset 0
		.amdhsa_system_sgpr_workgroup_id_x 1
		.amdhsa_system_sgpr_workgroup_id_y 0
		.amdhsa_system_sgpr_workgroup_id_z 0
		.amdhsa_system_sgpr_workgroup_info 0
		.amdhsa_system_vgpr_workitem_id 0
		.amdhsa_next_free_vgpr 1
		.amdhsa_next_free_sgpr 0
		.amdhsa_reserve_vcc 0
		.amdhsa_reserve_flat_scratch 0
		.amdhsa_float_round_mode_32 0
		.amdhsa_float_round_mode_16_64 0
		.amdhsa_float_denorm_mode_32 3
		.amdhsa_float_denorm_mode_16_64 3
		.amdhsa_dx10_clamp 1
		.amdhsa_ieee_mode 1
		.amdhsa_fp16_overflow 0
		.amdhsa_exception_fp_ieee_invalid_op 0
		.amdhsa_exception_fp_denorm_src 0
		.amdhsa_exception_fp_ieee_div_zero 0
		.amdhsa_exception_fp_ieee_overflow 0
		.amdhsa_exception_fp_ieee_underflow 0
		.amdhsa_exception_fp_ieee_inexact 0
		.amdhsa_exception_int_div_zero 0
	.end_amdhsa_kernel
	.section	.text._ZN7rocprim17ROCPRIM_400000_NS6detail17trampoline_kernelINS0_13select_configILj256ELj13ELNS0_17block_load_methodE3ELS4_3ELS4_3ELNS0_20block_scan_algorithmE0ELj4294967295EEENS1_25partition_config_selectorILNS1_17partition_subalgoE3EjNS0_10empty_typeEbEEZZNS1_14partition_implILS8_3ELb0ES6_jNS0_17counting_iteratorIjlEEPS9_SE_NS0_5tupleIJPjSE_EEENSF_IJSE_SE_EEES9_SG_JZNS1_25segmented_radix_sort_implINS0_14default_configELb1EPKsPsPKlPlN2at6native12_GLOBAL__N_18offset_tEEE10hipError_tPvRmT1_PNSt15iterator_traitsISY_E10value_typeET2_T3_PNSZ_IS14_E10value_typeET4_jRbjT5_S1A_jjP12ihipStream_tbEUljE_EEESV_SW_SX_S14_S18_S1A_T6_T7_T9_mT8_S1C_bDpT10_ENKUlT_T0_E_clISt17integral_constantIbLb1EES1P_EEDaS1K_S1L_EUlS1K_E_NS1_11comp_targetILNS1_3genE2ELNS1_11target_archE906ELNS1_3gpuE6ELNS1_3repE0EEENS1_30default_config_static_selectorELNS0_4arch9wavefront6targetE1EEEvSY_,"axG",@progbits,_ZN7rocprim17ROCPRIM_400000_NS6detail17trampoline_kernelINS0_13select_configILj256ELj13ELNS0_17block_load_methodE3ELS4_3ELS4_3ELNS0_20block_scan_algorithmE0ELj4294967295EEENS1_25partition_config_selectorILNS1_17partition_subalgoE3EjNS0_10empty_typeEbEEZZNS1_14partition_implILS8_3ELb0ES6_jNS0_17counting_iteratorIjlEEPS9_SE_NS0_5tupleIJPjSE_EEENSF_IJSE_SE_EEES9_SG_JZNS1_25segmented_radix_sort_implINS0_14default_configELb1EPKsPsPKlPlN2at6native12_GLOBAL__N_18offset_tEEE10hipError_tPvRmT1_PNSt15iterator_traitsISY_E10value_typeET2_T3_PNSZ_IS14_E10value_typeET4_jRbjT5_S1A_jjP12ihipStream_tbEUljE_EEESV_SW_SX_S14_S18_S1A_T6_T7_T9_mT8_S1C_bDpT10_ENKUlT_T0_E_clISt17integral_constantIbLb1EES1P_EEDaS1K_S1L_EUlS1K_E_NS1_11comp_targetILNS1_3genE2ELNS1_11target_archE906ELNS1_3gpuE6ELNS1_3repE0EEENS1_30default_config_static_selectorELNS0_4arch9wavefront6targetE1EEEvSY_,comdat
.Lfunc_end891:
	.size	_ZN7rocprim17ROCPRIM_400000_NS6detail17trampoline_kernelINS0_13select_configILj256ELj13ELNS0_17block_load_methodE3ELS4_3ELS4_3ELNS0_20block_scan_algorithmE0ELj4294967295EEENS1_25partition_config_selectorILNS1_17partition_subalgoE3EjNS0_10empty_typeEbEEZZNS1_14partition_implILS8_3ELb0ES6_jNS0_17counting_iteratorIjlEEPS9_SE_NS0_5tupleIJPjSE_EEENSF_IJSE_SE_EEES9_SG_JZNS1_25segmented_radix_sort_implINS0_14default_configELb1EPKsPsPKlPlN2at6native12_GLOBAL__N_18offset_tEEE10hipError_tPvRmT1_PNSt15iterator_traitsISY_E10value_typeET2_T3_PNSZ_IS14_E10value_typeET4_jRbjT5_S1A_jjP12ihipStream_tbEUljE_EEESV_SW_SX_S14_S18_S1A_T6_T7_T9_mT8_S1C_bDpT10_ENKUlT_T0_E_clISt17integral_constantIbLb1EES1P_EEDaS1K_S1L_EUlS1K_E_NS1_11comp_targetILNS1_3genE2ELNS1_11target_archE906ELNS1_3gpuE6ELNS1_3repE0EEENS1_30default_config_static_selectorELNS0_4arch9wavefront6targetE1EEEvSY_, .Lfunc_end891-_ZN7rocprim17ROCPRIM_400000_NS6detail17trampoline_kernelINS0_13select_configILj256ELj13ELNS0_17block_load_methodE3ELS4_3ELS4_3ELNS0_20block_scan_algorithmE0ELj4294967295EEENS1_25partition_config_selectorILNS1_17partition_subalgoE3EjNS0_10empty_typeEbEEZZNS1_14partition_implILS8_3ELb0ES6_jNS0_17counting_iteratorIjlEEPS9_SE_NS0_5tupleIJPjSE_EEENSF_IJSE_SE_EEES9_SG_JZNS1_25segmented_radix_sort_implINS0_14default_configELb1EPKsPsPKlPlN2at6native12_GLOBAL__N_18offset_tEEE10hipError_tPvRmT1_PNSt15iterator_traitsISY_E10value_typeET2_T3_PNSZ_IS14_E10value_typeET4_jRbjT5_S1A_jjP12ihipStream_tbEUljE_EEESV_SW_SX_S14_S18_S1A_T6_T7_T9_mT8_S1C_bDpT10_ENKUlT_T0_E_clISt17integral_constantIbLb1EES1P_EEDaS1K_S1L_EUlS1K_E_NS1_11comp_targetILNS1_3genE2ELNS1_11target_archE906ELNS1_3gpuE6ELNS1_3repE0EEENS1_30default_config_static_selectorELNS0_4arch9wavefront6targetE1EEEvSY_
                                        ; -- End function
	.set _ZN7rocprim17ROCPRIM_400000_NS6detail17trampoline_kernelINS0_13select_configILj256ELj13ELNS0_17block_load_methodE3ELS4_3ELS4_3ELNS0_20block_scan_algorithmE0ELj4294967295EEENS1_25partition_config_selectorILNS1_17partition_subalgoE3EjNS0_10empty_typeEbEEZZNS1_14partition_implILS8_3ELb0ES6_jNS0_17counting_iteratorIjlEEPS9_SE_NS0_5tupleIJPjSE_EEENSF_IJSE_SE_EEES9_SG_JZNS1_25segmented_radix_sort_implINS0_14default_configELb1EPKsPsPKlPlN2at6native12_GLOBAL__N_18offset_tEEE10hipError_tPvRmT1_PNSt15iterator_traitsISY_E10value_typeET2_T3_PNSZ_IS14_E10value_typeET4_jRbjT5_S1A_jjP12ihipStream_tbEUljE_EEESV_SW_SX_S14_S18_S1A_T6_T7_T9_mT8_S1C_bDpT10_ENKUlT_T0_E_clISt17integral_constantIbLb1EES1P_EEDaS1K_S1L_EUlS1K_E_NS1_11comp_targetILNS1_3genE2ELNS1_11target_archE906ELNS1_3gpuE6ELNS1_3repE0EEENS1_30default_config_static_selectorELNS0_4arch9wavefront6targetE1EEEvSY_.num_vgpr, 0
	.set _ZN7rocprim17ROCPRIM_400000_NS6detail17trampoline_kernelINS0_13select_configILj256ELj13ELNS0_17block_load_methodE3ELS4_3ELS4_3ELNS0_20block_scan_algorithmE0ELj4294967295EEENS1_25partition_config_selectorILNS1_17partition_subalgoE3EjNS0_10empty_typeEbEEZZNS1_14partition_implILS8_3ELb0ES6_jNS0_17counting_iteratorIjlEEPS9_SE_NS0_5tupleIJPjSE_EEENSF_IJSE_SE_EEES9_SG_JZNS1_25segmented_radix_sort_implINS0_14default_configELb1EPKsPsPKlPlN2at6native12_GLOBAL__N_18offset_tEEE10hipError_tPvRmT1_PNSt15iterator_traitsISY_E10value_typeET2_T3_PNSZ_IS14_E10value_typeET4_jRbjT5_S1A_jjP12ihipStream_tbEUljE_EEESV_SW_SX_S14_S18_S1A_T6_T7_T9_mT8_S1C_bDpT10_ENKUlT_T0_E_clISt17integral_constantIbLb1EES1P_EEDaS1K_S1L_EUlS1K_E_NS1_11comp_targetILNS1_3genE2ELNS1_11target_archE906ELNS1_3gpuE6ELNS1_3repE0EEENS1_30default_config_static_selectorELNS0_4arch9wavefront6targetE1EEEvSY_.num_agpr, 0
	.set _ZN7rocprim17ROCPRIM_400000_NS6detail17trampoline_kernelINS0_13select_configILj256ELj13ELNS0_17block_load_methodE3ELS4_3ELS4_3ELNS0_20block_scan_algorithmE0ELj4294967295EEENS1_25partition_config_selectorILNS1_17partition_subalgoE3EjNS0_10empty_typeEbEEZZNS1_14partition_implILS8_3ELb0ES6_jNS0_17counting_iteratorIjlEEPS9_SE_NS0_5tupleIJPjSE_EEENSF_IJSE_SE_EEES9_SG_JZNS1_25segmented_radix_sort_implINS0_14default_configELb1EPKsPsPKlPlN2at6native12_GLOBAL__N_18offset_tEEE10hipError_tPvRmT1_PNSt15iterator_traitsISY_E10value_typeET2_T3_PNSZ_IS14_E10value_typeET4_jRbjT5_S1A_jjP12ihipStream_tbEUljE_EEESV_SW_SX_S14_S18_S1A_T6_T7_T9_mT8_S1C_bDpT10_ENKUlT_T0_E_clISt17integral_constantIbLb1EES1P_EEDaS1K_S1L_EUlS1K_E_NS1_11comp_targetILNS1_3genE2ELNS1_11target_archE906ELNS1_3gpuE6ELNS1_3repE0EEENS1_30default_config_static_selectorELNS0_4arch9wavefront6targetE1EEEvSY_.numbered_sgpr, 0
	.set _ZN7rocprim17ROCPRIM_400000_NS6detail17trampoline_kernelINS0_13select_configILj256ELj13ELNS0_17block_load_methodE3ELS4_3ELS4_3ELNS0_20block_scan_algorithmE0ELj4294967295EEENS1_25partition_config_selectorILNS1_17partition_subalgoE3EjNS0_10empty_typeEbEEZZNS1_14partition_implILS8_3ELb0ES6_jNS0_17counting_iteratorIjlEEPS9_SE_NS0_5tupleIJPjSE_EEENSF_IJSE_SE_EEES9_SG_JZNS1_25segmented_radix_sort_implINS0_14default_configELb1EPKsPsPKlPlN2at6native12_GLOBAL__N_18offset_tEEE10hipError_tPvRmT1_PNSt15iterator_traitsISY_E10value_typeET2_T3_PNSZ_IS14_E10value_typeET4_jRbjT5_S1A_jjP12ihipStream_tbEUljE_EEESV_SW_SX_S14_S18_S1A_T6_T7_T9_mT8_S1C_bDpT10_ENKUlT_T0_E_clISt17integral_constantIbLb1EES1P_EEDaS1K_S1L_EUlS1K_E_NS1_11comp_targetILNS1_3genE2ELNS1_11target_archE906ELNS1_3gpuE6ELNS1_3repE0EEENS1_30default_config_static_selectorELNS0_4arch9wavefront6targetE1EEEvSY_.num_named_barrier, 0
	.set _ZN7rocprim17ROCPRIM_400000_NS6detail17trampoline_kernelINS0_13select_configILj256ELj13ELNS0_17block_load_methodE3ELS4_3ELS4_3ELNS0_20block_scan_algorithmE0ELj4294967295EEENS1_25partition_config_selectorILNS1_17partition_subalgoE3EjNS0_10empty_typeEbEEZZNS1_14partition_implILS8_3ELb0ES6_jNS0_17counting_iteratorIjlEEPS9_SE_NS0_5tupleIJPjSE_EEENSF_IJSE_SE_EEES9_SG_JZNS1_25segmented_radix_sort_implINS0_14default_configELb1EPKsPsPKlPlN2at6native12_GLOBAL__N_18offset_tEEE10hipError_tPvRmT1_PNSt15iterator_traitsISY_E10value_typeET2_T3_PNSZ_IS14_E10value_typeET4_jRbjT5_S1A_jjP12ihipStream_tbEUljE_EEESV_SW_SX_S14_S18_S1A_T6_T7_T9_mT8_S1C_bDpT10_ENKUlT_T0_E_clISt17integral_constantIbLb1EES1P_EEDaS1K_S1L_EUlS1K_E_NS1_11comp_targetILNS1_3genE2ELNS1_11target_archE906ELNS1_3gpuE6ELNS1_3repE0EEENS1_30default_config_static_selectorELNS0_4arch9wavefront6targetE1EEEvSY_.private_seg_size, 0
	.set _ZN7rocprim17ROCPRIM_400000_NS6detail17trampoline_kernelINS0_13select_configILj256ELj13ELNS0_17block_load_methodE3ELS4_3ELS4_3ELNS0_20block_scan_algorithmE0ELj4294967295EEENS1_25partition_config_selectorILNS1_17partition_subalgoE3EjNS0_10empty_typeEbEEZZNS1_14partition_implILS8_3ELb0ES6_jNS0_17counting_iteratorIjlEEPS9_SE_NS0_5tupleIJPjSE_EEENSF_IJSE_SE_EEES9_SG_JZNS1_25segmented_radix_sort_implINS0_14default_configELb1EPKsPsPKlPlN2at6native12_GLOBAL__N_18offset_tEEE10hipError_tPvRmT1_PNSt15iterator_traitsISY_E10value_typeET2_T3_PNSZ_IS14_E10value_typeET4_jRbjT5_S1A_jjP12ihipStream_tbEUljE_EEESV_SW_SX_S14_S18_S1A_T6_T7_T9_mT8_S1C_bDpT10_ENKUlT_T0_E_clISt17integral_constantIbLb1EES1P_EEDaS1K_S1L_EUlS1K_E_NS1_11comp_targetILNS1_3genE2ELNS1_11target_archE906ELNS1_3gpuE6ELNS1_3repE0EEENS1_30default_config_static_selectorELNS0_4arch9wavefront6targetE1EEEvSY_.uses_vcc, 0
	.set _ZN7rocprim17ROCPRIM_400000_NS6detail17trampoline_kernelINS0_13select_configILj256ELj13ELNS0_17block_load_methodE3ELS4_3ELS4_3ELNS0_20block_scan_algorithmE0ELj4294967295EEENS1_25partition_config_selectorILNS1_17partition_subalgoE3EjNS0_10empty_typeEbEEZZNS1_14partition_implILS8_3ELb0ES6_jNS0_17counting_iteratorIjlEEPS9_SE_NS0_5tupleIJPjSE_EEENSF_IJSE_SE_EEES9_SG_JZNS1_25segmented_radix_sort_implINS0_14default_configELb1EPKsPsPKlPlN2at6native12_GLOBAL__N_18offset_tEEE10hipError_tPvRmT1_PNSt15iterator_traitsISY_E10value_typeET2_T3_PNSZ_IS14_E10value_typeET4_jRbjT5_S1A_jjP12ihipStream_tbEUljE_EEESV_SW_SX_S14_S18_S1A_T6_T7_T9_mT8_S1C_bDpT10_ENKUlT_T0_E_clISt17integral_constantIbLb1EES1P_EEDaS1K_S1L_EUlS1K_E_NS1_11comp_targetILNS1_3genE2ELNS1_11target_archE906ELNS1_3gpuE6ELNS1_3repE0EEENS1_30default_config_static_selectorELNS0_4arch9wavefront6targetE1EEEvSY_.uses_flat_scratch, 0
	.set _ZN7rocprim17ROCPRIM_400000_NS6detail17trampoline_kernelINS0_13select_configILj256ELj13ELNS0_17block_load_methodE3ELS4_3ELS4_3ELNS0_20block_scan_algorithmE0ELj4294967295EEENS1_25partition_config_selectorILNS1_17partition_subalgoE3EjNS0_10empty_typeEbEEZZNS1_14partition_implILS8_3ELb0ES6_jNS0_17counting_iteratorIjlEEPS9_SE_NS0_5tupleIJPjSE_EEENSF_IJSE_SE_EEES9_SG_JZNS1_25segmented_radix_sort_implINS0_14default_configELb1EPKsPsPKlPlN2at6native12_GLOBAL__N_18offset_tEEE10hipError_tPvRmT1_PNSt15iterator_traitsISY_E10value_typeET2_T3_PNSZ_IS14_E10value_typeET4_jRbjT5_S1A_jjP12ihipStream_tbEUljE_EEESV_SW_SX_S14_S18_S1A_T6_T7_T9_mT8_S1C_bDpT10_ENKUlT_T0_E_clISt17integral_constantIbLb1EES1P_EEDaS1K_S1L_EUlS1K_E_NS1_11comp_targetILNS1_3genE2ELNS1_11target_archE906ELNS1_3gpuE6ELNS1_3repE0EEENS1_30default_config_static_selectorELNS0_4arch9wavefront6targetE1EEEvSY_.has_dyn_sized_stack, 0
	.set _ZN7rocprim17ROCPRIM_400000_NS6detail17trampoline_kernelINS0_13select_configILj256ELj13ELNS0_17block_load_methodE3ELS4_3ELS4_3ELNS0_20block_scan_algorithmE0ELj4294967295EEENS1_25partition_config_selectorILNS1_17partition_subalgoE3EjNS0_10empty_typeEbEEZZNS1_14partition_implILS8_3ELb0ES6_jNS0_17counting_iteratorIjlEEPS9_SE_NS0_5tupleIJPjSE_EEENSF_IJSE_SE_EEES9_SG_JZNS1_25segmented_radix_sort_implINS0_14default_configELb1EPKsPsPKlPlN2at6native12_GLOBAL__N_18offset_tEEE10hipError_tPvRmT1_PNSt15iterator_traitsISY_E10value_typeET2_T3_PNSZ_IS14_E10value_typeET4_jRbjT5_S1A_jjP12ihipStream_tbEUljE_EEESV_SW_SX_S14_S18_S1A_T6_T7_T9_mT8_S1C_bDpT10_ENKUlT_T0_E_clISt17integral_constantIbLb1EES1P_EEDaS1K_S1L_EUlS1K_E_NS1_11comp_targetILNS1_3genE2ELNS1_11target_archE906ELNS1_3gpuE6ELNS1_3repE0EEENS1_30default_config_static_selectorELNS0_4arch9wavefront6targetE1EEEvSY_.has_recursion, 0
	.set _ZN7rocprim17ROCPRIM_400000_NS6detail17trampoline_kernelINS0_13select_configILj256ELj13ELNS0_17block_load_methodE3ELS4_3ELS4_3ELNS0_20block_scan_algorithmE0ELj4294967295EEENS1_25partition_config_selectorILNS1_17partition_subalgoE3EjNS0_10empty_typeEbEEZZNS1_14partition_implILS8_3ELb0ES6_jNS0_17counting_iteratorIjlEEPS9_SE_NS0_5tupleIJPjSE_EEENSF_IJSE_SE_EEES9_SG_JZNS1_25segmented_radix_sort_implINS0_14default_configELb1EPKsPsPKlPlN2at6native12_GLOBAL__N_18offset_tEEE10hipError_tPvRmT1_PNSt15iterator_traitsISY_E10value_typeET2_T3_PNSZ_IS14_E10value_typeET4_jRbjT5_S1A_jjP12ihipStream_tbEUljE_EEESV_SW_SX_S14_S18_S1A_T6_T7_T9_mT8_S1C_bDpT10_ENKUlT_T0_E_clISt17integral_constantIbLb1EES1P_EEDaS1K_S1L_EUlS1K_E_NS1_11comp_targetILNS1_3genE2ELNS1_11target_archE906ELNS1_3gpuE6ELNS1_3repE0EEENS1_30default_config_static_selectorELNS0_4arch9wavefront6targetE1EEEvSY_.has_indirect_call, 0
	.section	.AMDGPU.csdata,"",@progbits
; Kernel info:
; codeLenInByte = 4
; TotalNumSgprs: 4
; NumVgprs: 0
; ScratchSize: 0
; MemoryBound: 0
; FloatMode: 240
; IeeeMode: 1
; LDSByteSize: 0 bytes/workgroup (compile time only)
; SGPRBlocks: 0
; VGPRBlocks: 0
; NumSGPRsForWavesPerEU: 4
; NumVGPRsForWavesPerEU: 1
; Occupancy: 10
; WaveLimiterHint : 0
; COMPUTE_PGM_RSRC2:SCRATCH_EN: 0
; COMPUTE_PGM_RSRC2:USER_SGPR: 6
; COMPUTE_PGM_RSRC2:TRAP_HANDLER: 0
; COMPUTE_PGM_RSRC2:TGID_X_EN: 1
; COMPUTE_PGM_RSRC2:TGID_Y_EN: 0
; COMPUTE_PGM_RSRC2:TGID_Z_EN: 0
; COMPUTE_PGM_RSRC2:TIDIG_COMP_CNT: 0
	.section	.text._ZN7rocprim17ROCPRIM_400000_NS6detail17trampoline_kernelINS0_13select_configILj256ELj13ELNS0_17block_load_methodE3ELS4_3ELS4_3ELNS0_20block_scan_algorithmE0ELj4294967295EEENS1_25partition_config_selectorILNS1_17partition_subalgoE3EjNS0_10empty_typeEbEEZZNS1_14partition_implILS8_3ELb0ES6_jNS0_17counting_iteratorIjlEEPS9_SE_NS0_5tupleIJPjSE_EEENSF_IJSE_SE_EEES9_SG_JZNS1_25segmented_radix_sort_implINS0_14default_configELb1EPKsPsPKlPlN2at6native12_GLOBAL__N_18offset_tEEE10hipError_tPvRmT1_PNSt15iterator_traitsISY_E10value_typeET2_T3_PNSZ_IS14_E10value_typeET4_jRbjT5_S1A_jjP12ihipStream_tbEUljE_EEESV_SW_SX_S14_S18_S1A_T6_T7_T9_mT8_S1C_bDpT10_ENKUlT_T0_E_clISt17integral_constantIbLb1EES1P_EEDaS1K_S1L_EUlS1K_E_NS1_11comp_targetILNS1_3genE10ELNS1_11target_archE1200ELNS1_3gpuE4ELNS1_3repE0EEENS1_30default_config_static_selectorELNS0_4arch9wavefront6targetE1EEEvSY_,"axG",@progbits,_ZN7rocprim17ROCPRIM_400000_NS6detail17trampoline_kernelINS0_13select_configILj256ELj13ELNS0_17block_load_methodE3ELS4_3ELS4_3ELNS0_20block_scan_algorithmE0ELj4294967295EEENS1_25partition_config_selectorILNS1_17partition_subalgoE3EjNS0_10empty_typeEbEEZZNS1_14partition_implILS8_3ELb0ES6_jNS0_17counting_iteratorIjlEEPS9_SE_NS0_5tupleIJPjSE_EEENSF_IJSE_SE_EEES9_SG_JZNS1_25segmented_radix_sort_implINS0_14default_configELb1EPKsPsPKlPlN2at6native12_GLOBAL__N_18offset_tEEE10hipError_tPvRmT1_PNSt15iterator_traitsISY_E10value_typeET2_T3_PNSZ_IS14_E10value_typeET4_jRbjT5_S1A_jjP12ihipStream_tbEUljE_EEESV_SW_SX_S14_S18_S1A_T6_T7_T9_mT8_S1C_bDpT10_ENKUlT_T0_E_clISt17integral_constantIbLb1EES1P_EEDaS1K_S1L_EUlS1K_E_NS1_11comp_targetILNS1_3genE10ELNS1_11target_archE1200ELNS1_3gpuE4ELNS1_3repE0EEENS1_30default_config_static_selectorELNS0_4arch9wavefront6targetE1EEEvSY_,comdat
	.globl	_ZN7rocprim17ROCPRIM_400000_NS6detail17trampoline_kernelINS0_13select_configILj256ELj13ELNS0_17block_load_methodE3ELS4_3ELS4_3ELNS0_20block_scan_algorithmE0ELj4294967295EEENS1_25partition_config_selectorILNS1_17partition_subalgoE3EjNS0_10empty_typeEbEEZZNS1_14partition_implILS8_3ELb0ES6_jNS0_17counting_iteratorIjlEEPS9_SE_NS0_5tupleIJPjSE_EEENSF_IJSE_SE_EEES9_SG_JZNS1_25segmented_radix_sort_implINS0_14default_configELb1EPKsPsPKlPlN2at6native12_GLOBAL__N_18offset_tEEE10hipError_tPvRmT1_PNSt15iterator_traitsISY_E10value_typeET2_T3_PNSZ_IS14_E10value_typeET4_jRbjT5_S1A_jjP12ihipStream_tbEUljE_EEESV_SW_SX_S14_S18_S1A_T6_T7_T9_mT8_S1C_bDpT10_ENKUlT_T0_E_clISt17integral_constantIbLb1EES1P_EEDaS1K_S1L_EUlS1K_E_NS1_11comp_targetILNS1_3genE10ELNS1_11target_archE1200ELNS1_3gpuE4ELNS1_3repE0EEENS1_30default_config_static_selectorELNS0_4arch9wavefront6targetE1EEEvSY_ ; -- Begin function _ZN7rocprim17ROCPRIM_400000_NS6detail17trampoline_kernelINS0_13select_configILj256ELj13ELNS0_17block_load_methodE3ELS4_3ELS4_3ELNS0_20block_scan_algorithmE0ELj4294967295EEENS1_25partition_config_selectorILNS1_17partition_subalgoE3EjNS0_10empty_typeEbEEZZNS1_14partition_implILS8_3ELb0ES6_jNS0_17counting_iteratorIjlEEPS9_SE_NS0_5tupleIJPjSE_EEENSF_IJSE_SE_EEES9_SG_JZNS1_25segmented_radix_sort_implINS0_14default_configELb1EPKsPsPKlPlN2at6native12_GLOBAL__N_18offset_tEEE10hipError_tPvRmT1_PNSt15iterator_traitsISY_E10value_typeET2_T3_PNSZ_IS14_E10value_typeET4_jRbjT5_S1A_jjP12ihipStream_tbEUljE_EEESV_SW_SX_S14_S18_S1A_T6_T7_T9_mT8_S1C_bDpT10_ENKUlT_T0_E_clISt17integral_constantIbLb1EES1P_EEDaS1K_S1L_EUlS1K_E_NS1_11comp_targetILNS1_3genE10ELNS1_11target_archE1200ELNS1_3gpuE4ELNS1_3repE0EEENS1_30default_config_static_selectorELNS0_4arch9wavefront6targetE1EEEvSY_
	.p2align	8
	.type	_ZN7rocprim17ROCPRIM_400000_NS6detail17trampoline_kernelINS0_13select_configILj256ELj13ELNS0_17block_load_methodE3ELS4_3ELS4_3ELNS0_20block_scan_algorithmE0ELj4294967295EEENS1_25partition_config_selectorILNS1_17partition_subalgoE3EjNS0_10empty_typeEbEEZZNS1_14partition_implILS8_3ELb0ES6_jNS0_17counting_iteratorIjlEEPS9_SE_NS0_5tupleIJPjSE_EEENSF_IJSE_SE_EEES9_SG_JZNS1_25segmented_radix_sort_implINS0_14default_configELb1EPKsPsPKlPlN2at6native12_GLOBAL__N_18offset_tEEE10hipError_tPvRmT1_PNSt15iterator_traitsISY_E10value_typeET2_T3_PNSZ_IS14_E10value_typeET4_jRbjT5_S1A_jjP12ihipStream_tbEUljE_EEESV_SW_SX_S14_S18_S1A_T6_T7_T9_mT8_S1C_bDpT10_ENKUlT_T0_E_clISt17integral_constantIbLb1EES1P_EEDaS1K_S1L_EUlS1K_E_NS1_11comp_targetILNS1_3genE10ELNS1_11target_archE1200ELNS1_3gpuE4ELNS1_3repE0EEENS1_30default_config_static_selectorELNS0_4arch9wavefront6targetE1EEEvSY_,@function
_ZN7rocprim17ROCPRIM_400000_NS6detail17trampoline_kernelINS0_13select_configILj256ELj13ELNS0_17block_load_methodE3ELS4_3ELS4_3ELNS0_20block_scan_algorithmE0ELj4294967295EEENS1_25partition_config_selectorILNS1_17partition_subalgoE3EjNS0_10empty_typeEbEEZZNS1_14partition_implILS8_3ELb0ES6_jNS0_17counting_iteratorIjlEEPS9_SE_NS0_5tupleIJPjSE_EEENSF_IJSE_SE_EEES9_SG_JZNS1_25segmented_radix_sort_implINS0_14default_configELb1EPKsPsPKlPlN2at6native12_GLOBAL__N_18offset_tEEE10hipError_tPvRmT1_PNSt15iterator_traitsISY_E10value_typeET2_T3_PNSZ_IS14_E10value_typeET4_jRbjT5_S1A_jjP12ihipStream_tbEUljE_EEESV_SW_SX_S14_S18_S1A_T6_T7_T9_mT8_S1C_bDpT10_ENKUlT_T0_E_clISt17integral_constantIbLb1EES1P_EEDaS1K_S1L_EUlS1K_E_NS1_11comp_targetILNS1_3genE10ELNS1_11target_archE1200ELNS1_3gpuE4ELNS1_3repE0EEENS1_30default_config_static_selectorELNS0_4arch9wavefront6targetE1EEEvSY_: ; @_ZN7rocprim17ROCPRIM_400000_NS6detail17trampoline_kernelINS0_13select_configILj256ELj13ELNS0_17block_load_methodE3ELS4_3ELS4_3ELNS0_20block_scan_algorithmE0ELj4294967295EEENS1_25partition_config_selectorILNS1_17partition_subalgoE3EjNS0_10empty_typeEbEEZZNS1_14partition_implILS8_3ELb0ES6_jNS0_17counting_iteratorIjlEEPS9_SE_NS0_5tupleIJPjSE_EEENSF_IJSE_SE_EEES9_SG_JZNS1_25segmented_radix_sort_implINS0_14default_configELb1EPKsPsPKlPlN2at6native12_GLOBAL__N_18offset_tEEE10hipError_tPvRmT1_PNSt15iterator_traitsISY_E10value_typeET2_T3_PNSZ_IS14_E10value_typeET4_jRbjT5_S1A_jjP12ihipStream_tbEUljE_EEESV_SW_SX_S14_S18_S1A_T6_T7_T9_mT8_S1C_bDpT10_ENKUlT_T0_E_clISt17integral_constantIbLb1EES1P_EEDaS1K_S1L_EUlS1K_E_NS1_11comp_targetILNS1_3genE10ELNS1_11target_archE1200ELNS1_3gpuE4ELNS1_3repE0EEENS1_30default_config_static_selectorELNS0_4arch9wavefront6targetE1EEEvSY_
; %bb.0:
	.section	.rodata,"a",@progbits
	.p2align	6, 0x0
	.amdhsa_kernel _ZN7rocprim17ROCPRIM_400000_NS6detail17trampoline_kernelINS0_13select_configILj256ELj13ELNS0_17block_load_methodE3ELS4_3ELS4_3ELNS0_20block_scan_algorithmE0ELj4294967295EEENS1_25partition_config_selectorILNS1_17partition_subalgoE3EjNS0_10empty_typeEbEEZZNS1_14partition_implILS8_3ELb0ES6_jNS0_17counting_iteratorIjlEEPS9_SE_NS0_5tupleIJPjSE_EEENSF_IJSE_SE_EEES9_SG_JZNS1_25segmented_radix_sort_implINS0_14default_configELb1EPKsPsPKlPlN2at6native12_GLOBAL__N_18offset_tEEE10hipError_tPvRmT1_PNSt15iterator_traitsISY_E10value_typeET2_T3_PNSZ_IS14_E10value_typeET4_jRbjT5_S1A_jjP12ihipStream_tbEUljE_EEESV_SW_SX_S14_S18_S1A_T6_T7_T9_mT8_S1C_bDpT10_ENKUlT_T0_E_clISt17integral_constantIbLb1EES1P_EEDaS1K_S1L_EUlS1K_E_NS1_11comp_targetILNS1_3genE10ELNS1_11target_archE1200ELNS1_3gpuE4ELNS1_3repE0EEENS1_30default_config_static_selectorELNS0_4arch9wavefront6targetE1EEEvSY_
		.amdhsa_group_segment_fixed_size 0
		.amdhsa_private_segment_fixed_size 0
		.amdhsa_kernarg_size 152
		.amdhsa_user_sgpr_count 6
		.amdhsa_user_sgpr_private_segment_buffer 1
		.amdhsa_user_sgpr_dispatch_ptr 0
		.amdhsa_user_sgpr_queue_ptr 0
		.amdhsa_user_sgpr_kernarg_segment_ptr 1
		.amdhsa_user_sgpr_dispatch_id 0
		.amdhsa_user_sgpr_flat_scratch_init 0
		.amdhsa_user_sgpr_private_segment_size 0
		.amdhsa_uses_dynamic_stack 0
		.amdhsa_system_sgpr_private_segment_wavefront_offset 0
		.amdhsa_system_sgpr_workgroup_id_x 1
		.amdhsa_system_sgpr_workgroup_id_y 0
		.amdhsa_system_sgpr_workgroup_id_z 0
		.amdhsa_system_sgpr_workgroup_info 0
		.amdhsa_system_vgpr_workitem_id 0
		.amdhsa_next_free_vgpr 1
		.amdhsa_next_free_sgpr 0
		.amdhsa_reserve_vcc 0
		.amdhsa_reserve_flat_scratch 0
		.amdhsa_float_round_mode_32 0
		.amdhsa_float_round_mode_16_64 0
		.amdhsa_float_denorm_mode_32 3
		.amdhsa_float_denorm_mode_16_64 3
		.amdhsa_dx10_clamp 1
		.amdhsa_ieee_mode 1
		.amdhsa_fp16_overflow 0
		.amdhsa_exception_fp_ieee_invalid_op 0
		.amdhsa_exception_fp_denorm_src 0
		.amdhsa_exception_fp_ieee_div_zero 0
		.amdhsa_exception_fp_ieee_overflow 0
		.amdhsa_exception_fp_ieee_underflow 0
		.amdhsa_exception_fp_ieee_inexact 0
		.amdhsa_exception_int_div_zero 0
	.end_amdhsa_kernel
	.section	.text._ZN7rocprim17ROCPRIM_400000_NS6detail17trampoline_kernelINS0_13select_configILj256ELj13ELNS0_17block_load_methodE3ELS4_3ELS4_3ELNS0_20block_scan_algorithmE0ELj4294967295EEENS1_25partition_config_selectorILNS1_17partition_subalgoE3EjNS0_10empty_typeEbEEZZNS1_14partition_implILS8_3ELb0ES6_jNS0_17counting_iteratorIjlEEPS9_SE_NS0_5tupleIJPjSE_EEENSF_IJSE_SE_EEES9_SG_JZNS1_25segmented_radix_sort_implINS0_14default_configELb1EPKsPsPKlPlN2at6native12_GLOBAL__N_18offset_tEEE10hipError_tPvRmT1_PNSt15iterator_traitsISY_E10value_typeET2_T3_PNSZ_IS14_E10value_typeET4_jRbjT5_S1A_jjP12ihipStream_tbEUljE_EEESV_SW_SX_S14_S18_S1A_T6_T7_T9_mT8_S1C_bDpT10_ENKUlT_T0_E_clISt17integral_constantIbLb1EES1P_EEDaS1K_S1L_EUlS1K_E_NS1_11comp_targetILNS1_3genE10ELNS1_11target_archE1200ELNS1_3gpuE4ELNS1_3repE0EEENS1_30default_config_static_selectorELNS0_4arch9wavefront6targetE1EEEvSY_,"axG",@progbits,_ZN7rocprim17ROCPRIM_400000_NS6detail17trampoline_kernelINS0_13select_configILj256ELj13ELNS0_17block_load_methodE3ELS4_3ELS4_3ELNS0_20block_scan_algorithmE0ELj4294967295EEENS1_25partition_config_selectorILNS1_17partition_subalgoE3EjNS0_10empty_typeEbEEZZNS1_14partition_implILS8_3ELb0ES6_jNS0_17counting_iteratorIjlEEPS9_SE_NS0_5tupleIJPjSE_EEENSF_IJSE_SE_EEES9_SG_JZNS1_25segmented_radix_sort_implINS0_14default_configELb1EPKsPsPKlPlN2at6native12_GLOBAL__N_18offset_tEEE10hipError_tPvRmT1_PNSt15iterator_traitsISY_E10value_typeET2_T3_PNSZ_IS14_E10value_typeET4_jRbjT5_S1A_jjP12ihipStream_tbEUljE_EEESV_SW_SX_S14_S18_S1A_T6_T7_T9_mT8_S1C_bDpT10_ENKUlT_T0_E_clISt17integral_constantIbLb1EES1P_EEDaS1K_S1L_EUlS1K_E_NS1_11comp_targetILNS1_3genE10ELNS1_11target_archE1200ELNS1_3gpuE4ELNS1_3repE0EEENS1_30default_config_static_selectorELNS0_4arch9wavefront6targetE1EEEvSY_,comdat
.Lfunc_end892:
	.size	_ZN7rocprim17ROCPRIM_400000_NS6detail17trampoline_kernelINS0_13select_configILj256ELj13ELNS0_17block_load_methodE3ELS4_3ELS4_3ELNS0_20block_scan_algorithmE0ELj4294967295EEENS1_25partition_config_selectorILNS1_17partition_subalgoE3EjNS0_10empty_typeEbEEZZNS1_14partition_implILS8_3ELb0ES6_jNS0_17counting_iteratorIjlEEPS9_SE_NS0_5tupleIJPjSE_EEENSF_IJSE_SE_EEES9_SG_JZNS1_25segmented_radix_sort_implINS0_14default_configELb1EPKsPsPKlPlN2at6native12_GLOBAL__N_18offset_tEEE10hipError_tPvRmT1_PNSt15iterator_traitsISY_E10value_typeET2_T3_PNSZ_IS14_E10value_typeET4_jRbjT5_S1A_jjP12ihipStream_tbEUljE_EEESV_SW_SX_S14_S18_S1A_T6_T7_T9_mT8_S1C_bDpT10_ENKUlT_T0_E_clISt17integral_constantIbLb1EES1P_EEDaS1K_S1L_EUlS1K_E_NS1_11comp_targetILNS1_3genE10ELNS1_11target_archE1200ELNS1_3gpuE4ELNS1_3repE0EEENS1_30default_config_static_selectorELNS0_4arch9wavefront6targetE1EEEvSY_, .Lfunc_end892-_ZN7rocprim17ROCPRIM_400000_NS6detail17trampoline_kernelINS0_13select_configILj256ELj13ELNS0_17block_load_methodE3ELS4_3ELS4_3ELNS0_20block_scan_algorithmE0ELj4294967295EEENS1_25partition_config_selectorILNS1_17partition_subalgoE3EjNS0_10empty_typeEbEEZZNS1_14partition_implILS8_3ELb0ES6_jNS0_17counting_iteratorIjlEEPS9_SE_NS0_5tupleIJPjSE_EEENSF_IJSE_SE_EEES9_SG_JZNS1_25segmented_radix_sort_implINS0_14default_configELb1EPKsPsPKlPlN2at6native12_GLOBAL__N_18offset_tEEE10hipError_tPvRmT1_PNSt15iterator_traitsISY_E10value_typeET2_T3_PNSZ_IS14_E10value_typeET4_jRbjT5_S1A_jjP12ihipStream_tbEUljE_EEESV_SW_SX_S14_S18_S1A_T6_T7_T9_mT8_S1C_bDpT10_ENKUlT_T0_E_clISt17integral_constantIbLb1EES1P_EEDaS1K_S1L_EUlS1K_E_NS1_11comp_targetILNS1_3genE10ELNS1_11target_archE1200ELNS1_3gpuE4ELNS1_3repE0EEENS1_30default_config_static_selectorELNS0_4arch9wavefront6targetE1EEEvSY_
                                        ; -- End function
	.set _ZN7rocprim17ROCPRIM_400000_NS6detail17trampoline_kernelINS0_13select_configILj256ELj13ELNS0_17block_load_methodE3ELS4_3ELS4_3ELNS0_20block_scan_algorithmE0ELj4294967295EEENS1_25partition_config_selectorILNS1_17partition_subalgoE3EjNS0_10empty_typeEbEEZZNS1_14partition_implILS8_3ELb0ES6_jNS0_17counting_iteratorIjlEEPS9_SE_NS0_5tupleIJPjSE_EEENSF_IJSE_SE_EEES9_SG_JZNS1_25segmented_radix_sort_implINS0_14default_configELb1EPKsPsPKlPlN2at6native12_GLOBAL__N_18offset_tEEE10hipError_tPvRmT1_PNSt15iterator_traitsISY_E10value_typeET2_T3_PNSZ_IS14_E10value_typeET4_jRbjT5_S1A_jjP12ihipStream_tbEUljE_EEESV_SW_SX_S14_S18_S1A_T6_T7_T9_mT8_S1C_bDpT10_ENKUlT_T0_E_clISt17integral_constantIbLb1EES1P_EEDaS1K_S1L_EUlS1K_E_NS1_11comp_targetILNS1_3genE10ELNS1_11target_archE1200ELNS1_3gpuE4ELNS1_3repE0EEENS1_30default_config_static_selectorELNS0_4arch9wavefront6targetE1EEEvSY_.num_vgpr, 0
	.set _ZN7rocprim17ROCPRIM_400000_NS6detail17trampoline_kernelINS0_13select_configILj256ELj13ELNS0_17block_load_methodE3ELS4_3ELS4_3ELNS0_20block_scan_algorithmE0ELj4294967295EEENS1_25partition_config_selectorILNS1_17partition_subalgoE3EjNS0_10empty_typeEbEEZZNS1_14partition_implILS8_3ELb0ES6_jNS0_17counting_iteratorIjlEEPS9_SE_NS0_5tupleIJPjSE_EEENSF_IJSE_SE_EEES9_SG_JZNS1_25segmented_radix_sort_implINS0_14default_configELb1EPKsPsPKlPlN2at6native12_GLOBAL__N_18offset_tEEE10hipError_tPvRmT1_PNSt15iterator_traitsISY_E10value_typeET2_T3_PNSZ_IS14_E10value_typeET4_jRbjT5_S1A_jjP12ihipStream_tbEUljE_EEESV_SW_SX_S14_S18_S1A_T6_T7_T9_mT8_S1C_bDpT10_ENKUlT_T0_E_clISt17integral_constantIbLb1EES1P_EEDaS1K_S1L_EUlS1K_E_NS1_11comp_targetILNS1_3genE10ELNS1_11target_archE1200ELNS1_3gpuE4ELNS1_3repE0EEENS1_30default_config_static_selectorELNS0_4arch9wavefront6targetE1EEEvSY_.num_agpr, 0
	.set _ZN7rocprim17ROCPRIM_400000_NS6detail17trampoline_kernelINS0_13select_configILj256ELj13ELNS0_17block_load_methodE3ELS4_3ELS4_3ELNS0_20block_scan_algorithmE0ELj4294967295EEENS1_25partition_config_selectorILNS1_17partition_subalgoE3EjNS0_10empty_typeEbEEZZNS1_14partition_implILS8_3ELb0ES6_jNS0_17counting_iteratorIjlEEPS9_SE_NS0_5tupleIJPjSE_EEENSF_IJSE_SE_EEES9_SG_JZNS1_25segmented_radix_sort_implINS0_14default_configELb1EPKsPsPKlPlN2at6native12_GLOBAL__N_18offset_tEEE10hipError_tPvRmT1_PNSt15iterator_traitsISY_E10value_typeET2_T3_PNSZ_IS14_E10value_typeET4_jRbjT5_S1A_jjP12ihipStream_tbEUljE_EEESV_SW_SX_S14_S18_S1A_T6_T7_T9_mT8_S1C_bDpT10_ENKUlT_T0_E_clISt17integral_constantIbLb1EES1P_EEDaS1K_S1L_EUlS1K_E_NS1_11comp_targetILNS1_3genE10ELNS1_11target_archE1200ELNS1_3gpuE4ELNS1_3repE0EEENS1_30default_config_static_selectorELNS0_4arch9wavefront6targetE1EEEvSY_.numbered_sgpr, 0
	.set _ZN7rocprim17ROCPRIM_400000_NS6detail17trampoline_kernelINS0_13select_configILj256ELj13ELNS0_17block_load_methodE3ELS4_3ELS4_3ELNS0_20block_scan_algorithmE0ELj4294967295EEENS1_25partition_config_selectorILNS1_17partition_subalgoE3EjNS0_10empty_typeEbEEZZNS1_14partition_implILS8_3ELb0ES6_jNS0_17counting_iteratorIjlEEPS9_SE_NS0_5tupleIJPjSE_EEENSF_IJSE_SE_EEES9_SG_JZNS1_25segmented_radix_sort_implINS0_14default_configELb1EPKsPsPKlPlN2at6native12_GLOBAL__N_18offset_tEEE10hipError_tPvRmT1_PNSt15iterator_traitsISY_E10value_typeET2_T3_PNSZ_IS14_E10value_typeET4_jRbjT5_S1A_jjP12ihipStream_tbEUljE_EEESV_SW_SX_S14_S18_S1A_T6_T7_T9_mT8_S1C_bDpT10_ENKUlT_T0_E_clISt17integral_constantIbLb1EES1P_EEDaS1K_S1L_EUlS1K_E_NS1_11comp_targetILNS1_3genE10ELNS1_11target_archE1200ELNS1_3gpuE4ELNS1_3repE0EEENS1_30default_config_static_selectorELNS0_4arch9wavefront6targetE1EEEvSY_.num_named_barrier, 0
	.set _ZN7rocprim17ROCPRIM_400000_NS6detail17trampoline_kernelINS0_13select_configILj256ELj13ELNS0_17block_load_methodE3ELS4_3ELS4_3ELNS0_20block_scan_algorithmE0ELj4294967295EEENS1_25partition_config_selectorILNS1_17partition_subalgoE3EjNS0_10empty_typeEbEEZZNS1_14partition_implILS8_3ELb0ES6_jNS0_17counting_iteratorIjlEEPS9_SE_NS0_5tupleIJPjSE_EEENSF_IJSE_SE_EEES9_SG_JZNS1_25segmented_radix_sort_implINS0_14default_configELb1EPKsPsPKlPlN2at6native12_GLOBAL__N_18offset_tEEE10hipError_tPvRmT1_PNSt15iterator_traitsISY_E10value_typeET2_T3_PNSZ_IS14_E10value_typeET4_jRbjT5_S1A_jjP12ihipStream_tbEUljE_EEESV_SW_SX_S14_S18_S1A_T6_T7_T9_mT8_S1C_bDpT10_ENKUlT_T0_E_clISt17integral_constantIbLb1EES1P_EEDaS1K_S1L_EUlS1K_E_NS1_11comp_targetILNS1_3genE10ELNS1_11target_archE1200ELNS1_3gpuE4ELNS1_3repE0EEENS1_30default_config_static_selectorELNS0_4arch9wavefront6targetE1EEEvSY_.private_seg_size, 0
	.set _ZN7rocprim17ROCPRIM_400000_NS6detail17trampoline_kernelINS0_13select_configILj256ELj13ELNS0_17block_load_methodE3ELS4_3ELS4_3ELNS0_20block_scan_algorithmE0ELj4294967295EEENS1_25partition_config_selectorILNS1_17partition_subalgoE3EjNS0_10empty_typeEbEEZZNS1_14partition_implILS8_3ELb0ES6_jNS0_17counting_iteratorIjlEEPS9_SE_NS0_5tupleIJPjSE_EEENSF_IJSE_SE_EEES9_SG_JZNS1_25segmented_radix_sort_implINS0_14default_configELb1EPKsPsPKlPlN2at6native12_GLOBAL__N_18offset_tEEE10hipError_tPvRmT1_PNSt15iterator_traitsISY_E10value_typeET2_T3_PNSZ_IS14_E10value_typeET4_jRbjT5_S1A_jjP12ihipStream_tbEUljE_EEESV_SW_SX_S14_S18_S1A_T6_T7_T9_mT8_S1C_bDpT10_ENKUlT_T0_E_clISt17integral_constantIbLb1EES1P_EEDaS1K_S1L_EUlS1K_E_NS1_11comp_targetILNS1_3genE10ELNS1_11target_archE1200ELNS1_3gpuE4ELNS1_3repE0EEENS1_30default_config_static_selectorELNS0_4arch9wavefront6targetE1EEEvSY_.uses_vcc, 0
	.set _ZN7rocprim17ROCPRIM_400000_NS6detail17trampoline_kernelINS0_13select_configILj256ELj13ELNS0_17block_load_methodE3ELS4_3ELS4_3ELNS0_20block_scan_algorithmE0ELj4294967295EEENS1_25partition_config_selectorILNS1_17partition_subalgoE3EjNS0_10empty_typeEbEEZZNS1_14partition_implILS8_3ELb0ES6_jNS0_17counting_iteratorIjlEEPS9_SE_NS0_5tupleIJPjSE_EEENSF_IJSE_SE_EEES9_SG_JZNS1_25segmented_radix_sort_implINS0_14default_configELb1EPKsPsPKlPlN2at6native12_GLOBAL__N_18offset_tEEE10hipError_tPvRmT1_PNSt15iterator_traitsISY_E10value_typeET2_T3_PNSZ_IS14_E10value_typeET4_jRbjT5_S1A_jjP12ihipStream_tbEUljE_EEESV_SW_SX_S14_S18_S1A_T6_T7_T9_mT8_S1C_bDpT10_ENKUlT_T0_E_clISt17integral_constantIbLb1EES1P_EEDaS1K_S1L_EUlS1K_E_NS1_11comp_targetILNS1_3genE10ELNS1_11target_archE1200ELNS1_3gpuE4ELNS1_3repE0EEENS1_30default_config_static_selectorELNS0_4arch9wavefront6targetE1EEEvSY_.uses_flat_scratch, 0
	.set _ZN7rocprim17ROCPRIM_400000_NS6detail17trampoline_kernelINS0_13select_configILj256ELj13ELNS0_17block_load_methodE3ELS4_3ELS4_3ELNS0_20block_scan_algorithmE0ELj4294967295EEENS1_25partition_config_selectorILNS1_17partition_subalgoE3EjNS0_10empty_typeEbEEZZNS1_14partition_implILS8_3ELb0ES6_jNS0_17counting_iteratorIjlEEPS9_SE_NS0_5tupleIJPjSE_EEENSF_IJSE_SE_EEES9_SG_JZNS1_25segmented_radix_sort_implINS0_14default_configELb1EPKsPsPKlPlN2at6native12_GLOBAL__N_18offset_tEEE10hipError_tPvRmT1_PNSt15iterator_traitsISY_E10value_typeET2_T3_PNSZ_IS14_E10value_typeET4_jRbjT5_S1A_jjP12ihipStream_tbEUljE_EEESV_SW_SX_S14_S18_S1A_T6_T7_T9_mT8_S1C_bDpT10_ENKUlT_T0_E_clISt17integral_constantIbLb1EES1P_EEDaS1K_S1L_EUlS1K_E_NS1_11comp_targetILNS1_3genE10ELNS1_11target_archE1200ELNS1_3gpuE4ELNS1_3repE0EEENS1_30default_config_static_selectorELNS0_4arch9wavefront6targetE1EEEvSY_.has_dyn_sized_stack, 0
	.set _ZN7rocprim17ROCPRIM_400000_NS6detail17trampoline_kernelINS0_13select_configILj256ELj13ELNS0_17block_load_methodE3ELS4_3ELS4_3ELNS0_20block_scan_algorithmE0ELj4294967295EEENS1_25partition_config_selectorILNS1_17partition_subalgoE3EjNS0_10empty_typeEbEEZZNS1_14partition_implILS8_3ELb0ES6_jNS0_17counting_iteratorIjlEEPS9_SE_NS0_5tupleIJPjSE_EEENSF_IJSE_SE_EEES9_SG_JZNS1_25segmented_radix_sort_implINS0_14default_configELb1EPKsPsPKlPlN2at6native12_GLOBAL__N_18offset_tEEE10hipError_tPvRmT1_PNSt15iterator_traitsISY_E10value_typeET2_T3_PNSZ_IS14_E10value_typeET4_jRbjT5_S1A_jjP12ihipStream_tbEUljE_EEESV_SW_SX_S14_S18_S1A_T6_T7_T9_mT8_S1C_bDpT10_ENKUlT_T0_E_clISt17integral_constantIbLb1EES1P_EEDaS1K_S1L_EUlS1K_E_NS1_11comp_targetILNS1_3genE10ELNS1_11target_archE1200ELNS1_3gpuE4ELNS1_3repE0EEENS1_30default_config_static_selectorELNS0_4arch9wavefront6targetE1EEEvSY_.has_recursion, 0
	.set _ZN7rocprim17ROCPRIM_400000_NS6detail17trampoline_kernelINS0_13select_configILj256ELj13ELNS0_17block_load_methodE3ELS4_3ELS4_3ELNS0_20block_scan_algorithmE0ELj4294967295EEENS1_25partition_config_selectorILNS1_17partition_subalgoE3EjNS0_10empty_typeEbEEZZNS1_14partition_implILS8_3ELb0ES6_jNS0_17counting_iteratorIjlEEPS9_SE_NS0_5tupleIJPjSE_EEENSF_IJSE_SE_EEES9_SG_JZNS1_25segmented_radix_sort_implINS0_14default_configELb1EPKsPsPKlPlN2at6native12_GLOBAL__N_18offset_tEEE10hipError_tPvRmT1_PNSt15iterator_traitsISY_E10value_typeET2_T3_PNSZ_IS14_E10value_typeET4_jRbjT5_S1A_jjP12ihipStream_tbEUljE_EEESV_SW_SX_S14_S18_S1A_T6_T7_T9_mT8_S1C_bDpT10_ENKUlT_T0_E_clISt17integral_constantIbLb1EES1P_EEDaS1K_S1L_EUlS1K_E_NS1_11comp_targetILNS1_3genE10ELNS1_11target_archE1200ELNS1_3gpuE4ELNS1_3repE0EEENS1_30default_config_static_selectorELNS0_4arch9wavefront6targetE1EEEvSY_.has_indirect_call, 0
	.section	.AMDGPU.csdata,"",@progbits
; Kernel info:
; codeLenInByte = 0
; TotalNumSgprs: 4
; NumVgprs: 0
; ScratchSize: 0
; MemoryBound: 0
; FloatMode: 240
; IeeeMode: 1
; LDSByteSize: 0 bytes/workgroup (compile time only)
; SGPRBlocks: 0
; VGPRBlocks: 0
; NumSGPRsForWavesPerEU: 4
; NumVGPRsForWavesPerEU: 1
; Occupancy: 10
; WaveLimiterHint : 0
; COMPUTE_PGM_RSRC2:SCRATCH_EN: 0
; COMPUTE_PGM_RSRC2:USER_SGPR: 6
; COMPUTE_PGM_RSRC2:TRAP_HANDLER: 0
; COMPUTE_PGM_RSRC2:TGID_X_EN: 1
; COMPUTE_PGM_RSRC2:TGID_Y_EN: 0
; COMPUTE_PGM_RSRC2:TGID_Z_EN: 0
; COMPUTE_PGM_RSRC2:TIDIG_COMP_CNT: 0
	.section	.text._ZN7rocprim17ROCPRIM_400000_NS6detail17trampoline_kernelINS0_13select_configILj256ELj13ELNS0_17block_load_methodE3ELS4_3ELS4_3ELNS0_20block_scan_algorithmE0ELj4294967295EEENS1_25partition_config_selectorILNS1_17partition_subalgoE3EjNS0_10empty_typeEbEEZZNS1_14partition_implILS8_3ELb0ES6_jNS0_17counting_iteratorIjlEEPS9_SE_NS0_5tupleIJPjSE_EEENSF_IJSE_SE_EEES9_SG_JZNS1_25segmented_radix_sort_implINS0_14default_configELb1EPKsPsPKlPlN2at6native12_GLOBAL__N_18offset_tEEE10hipError_tPvRmT1_PNSt15iterator_traitsISY_E10value_typeET2_T3_PNSZ_IS14_E10value_typeET4_jRbjT5_S1A_jjP12ihipStream_tbEUljE_EEESV_SW_SX_S14_S18_S1A_T6_T7_T9_mT8_S1C_bDpT10_ENKUlT_T0_E_clISt17integral_constantIbLb1EES1P_EEDaS1K_S1L_EUlS1K_E_NS1_11comp_targetILNS1_3genE9ELNS1_11target_archE1100ELNS1_3gpuE3ELNS1_3repE0EEENS1_30default_config_static_selectorELNS0_4arch9wavefront6targetE1EEEvSY_,"axG",@progbits,_ZN7rocprim17ROCPRIM_400000_NS6detail17trampoline_kernelINS0_13select_configILj256ELj13ELNS0_17block_load_methodE3ELS4_3ELS4_3ELNS0_20block_scan_algorithmE0ELj4294967295EEENS1_25partition_config_selectorILNS1_17partition_subalgoE3EjNS0_10empty_typeEbEEZZNS1_14partition_implILS8_3ELb0ES6_jNS0_17counting_iteratorIjlEEPS9_SE_NS0_5tupleIJPjSE_EEENSF_IJSE_SE_EEES9_SG_JZNS1_25segmented_radix_sort_implINS0_14default_configELb1EPKsPsPKlPlN2at6native12_GLOBAL__N_18offset_tEEE10hipError_tPvRmT1_PNSt15iterator_traitsISY_E10value_typeET2_T3_PNSZ_IS14_E10value_typeET4_jRbjT5_S1A_jjP12ihipStream_tbEUljE_EEESV_SW_SX_S14_S18_S1A_T6_T7_T9_mT8_S1C_bDpT10_ENKUlT_T0_E_clISt17integral_constantIbLb1EES1P_EEDaS1K_S1L_EUlS1K_E_NS1_11comp_targetILNS1_3genE9ELNS1_11target_archE1100ELNS1_3gpuE3ELNS1_3repE0EEENS1_30default_config_static_selectorELNS0_4arch9wavefront6targetE1EEEvSY_,comdat
	.globl	_ZN7rocprim17ROCPRIM_400000_NS6detail17trampoline_kernelINS0_13select_configILj256ELj13ELNS0_17block_load_methodE3ELS4_3ELS4_3ELNS0_20block_scan_algorithmE0ELj4294967295EEENS1_25partition_config_selectorILNS1_17partition_subalgoE3EjNS0_10empty_typeEbEEZZNS1_14partition_implILS8_3ELb0ES6_jNS0_17counting_iteratorIjlEEPS9_SE_NS0_5tupleIJPjSE_EEENSF_IJSE_SE_EEES9_SG_JZNS1_25segmented_radix_sort_implINS0_14default_configELb1EPKsPsPKlPlN2at6native12_GLOBAL__N_18offset_tEEE10hipError_tPvRmT1_PNSt15iterator_traitsISY_E10value_typeET2_T3_PNSZ_IS14_E10value_typeET4_jRbjT5_S1A_jjP12ihipStream_tbEUljE_EEESV_SW_SX_S14_S18_S1A_T6_T7_T9_mT8_S1C_bDpT10_ENKUlT_T0_E_clISt17integral_constantIbLb1EES1P_EEDaS1K_S1L_EUlS1K_E_NS1_11comp_targetILNS1_3genE9ELNS1_11target_archE1100ELNS1_3gpuE3ELNS1_3repE0EEENS1_30default_config_static_selectorELNS0_4arch9wavefront6targetE1EEEvSY_ ; -- Begin function _ZN7rocprim17ROCPRIM_400000_NS6detail17trampoline_kernelINS0_13select_configILj256ELj13ELNS0_17block_load_methodE3ELS4_3ELS4_3ELNS0_20block_scan_algorithmE0ELj4294967295EEENS1_25partition_config_selectorILNS1_17partition_subalgoE3EjNS0_10empty_typeEbEEZZNS1_14partition_implILS8_3ELb0ES6_jNS0_17counting_iteratorIjlEEPS9_SE_NS0_5tupleIJPjSE_EEENSF_IJSE_SE_EEES9_SG_JZNS1_25segmented_radix_sort_implINS0_14default_configELb1EPKsPsPKlPlN2at6native12_GLOBAL__N_18offset_tEEE10hipError_tPvRmT1_PNSt15iterator_traitsISY_E10value_typeET2_T3_PNSZ_IS14_E10value_typeET4_jRbjT5_S1A_jjP12ihipStream_tbEUljE_EEESV_SW_SX_S14_S18_S1A_T6_T7_T9_mT8_S1C_bDpT10_ENKUlT_T0_E_clISt17integral_constantIbLb1EES1P_EEDaS1K_S1L_EUlS1K_E_NS1_11comp_targetILNS1_3genE9ELNS1_11target_archE1100ELNS1_3gpuE3ELNS1_3repE0EEENS1_30default_config_static_selectorELNS0_4arch9wavefront6targetE1EEEvSY_
	.p2align	8
	.type	_ZN7rocprim17ROCPRIM_400000_NS6detail17trampoline_kernelINS0_13select_configILj256ELj13ELNS0_17block_load_methodE3ELS4_3ELS4_3ELNS0_20block_scan_algorithmE0ELj4294967295EEENS1_25partition_config_selectorILNS1_17partition_subalgoE3EjNS0_10empty_typeEbEEZZNS1_14partition_implILS8_3ELb0ES6_jNS0_17counting_iteratorIjlEEPS9_SE_NS0_5tupleIJPjSE_EEENSF_IJSE_SE_EEES9_SG_JZNS1_25segmented_radix_sort_implINS0_14default_configELb1EPKsPsPKlPlN2at6native12_GLOBAL__N_18offset_tEEE10hipError_tPvRmT1_PNSt15iterator_traitsISY_E10value_typeET2_T3_PNSZ_IS14_E10value_typeET4_jRbjT5_S1A_jjP12ihipStream_tbEUljE_EEESV_SW_SX_S14_S18_S1A_T6_T7_T9_mT8_S1C_bDpT10_ENKUlT_T0_E_clISt17integral_constantIbLb1EES1P_EEDaS1K_S1L_EUlS1K_E_NS1_11comp_targetILNS1_3genE9ELNS1_11target_archE1100ELNS1_3gpuE3ELNS1_3repE0EEENS1_30default_config_static_selectorELNS0_4arch9wavefront6targetE1EEEvSY_,@function
_ZN7rocprim17ROCPRIM_400000_NS6detail17trampoline_kernelINS0_13select_configILj256ELj13ELNS0_17block_load_methodE3ELS4_3ELS4_3ELNS0_20block_scan_algorithmE0ELj4294967295EEENS1_25partition_config_selectorILNS1_17partition_subalgoE3EjNS0_10empty_typeEbEEZZNS1_14partition_implILS8_3ELb0ES6_jNS0_17counting_iteratorIjlEEPS9_SE_NS0_5tupleIJPjSE_EEENSF_IJSE_SE_EEES9_SG_JZNS1_25segmented_radix_sort_implINS0_14default_configELb1EPKsPsPKlPlN2at6native12_GLOBAL__N_18offset_tEEE10hipError_tPvRmT1_PNSt15iterator_traitsISY_E10value_typeET2_T3_PNSZ_IS14_E10value_typeET4_jRbjT5_S1A_jjP12ihipStream_tbEUljE_EEESV_SW_SX_S14_S18_S1A_T6_T7_T9_mT8_S1C_bDpT10_ENKUlT_T0_E_clISt17integral_constantIbLb1EES1P_EEDaS1K_S1L_EUlS1K_E_NS1_11comp_targetILNS1_3genE9ELNS1_11target_archE1100ELNS1_3gpuE3ELNS1_3repE0EEENS1_30default_config_static_selectorELNS0_4arch9wavefront6targetE1EEEvSY_: ; @_ZN7rocprim17ROCPRIM_400000_NS6detail17trampoline_kernelINS0_13select_configILj256ELj13ELNS0_17block_load_methodE3ELS4_3ELS4_3ELNS0_20block_scan_algorithmE0ELj4294967295EEENS1_25partition_config_selectorILNS1_17partition_subalgoE3EjNS0_10empty_typeEbEEZZNS1_14partition_implILS8_3ELb0ES6_jNS0_17counting_iteratorIjlEEPS9_SE_NS0_5tupleIJPjSE_EEENSF_IJSE_SE_EEES9_SG_JZNS1_25segmented_radix_sort_implINS0_14default_configELb1EPKsPsPKlPlN2at6native12_GLOBAL__N_18offset_tEEE10hipError_tPvRmT1_PNSt15iterator_traitsISY_E10value_typeET2_T3_PNSZ_IS14_E10value_typeET4_jRbjT5_S1A_jjP12ihipStream_tbEUljE_EEESV_SW_SX_S14_S18_S1A_T6_T7_T9_mT8_S1C_bDpT10_ENKUlT_T0_E_clISt17integral_constantIbLb1EES1P_EEDaS1K_S1L_EUlS1K_E_NS1_11comp_targetILNS1_3genE9ELNS1_11target_archE1100ELNS1_3gpuE3ELNS1_3repE0EEENS1_30default_config_static_selectorELNS0_4arch9wavefront6targetE1EEEvSY_
; %bb.0:
	.section	.rodata,"a",@progbits
	.p2align	6, 0x0
	.amdhsa_kernel _ZN7rocprim17ROCPRIM_400000_NS6detail17trampoline_kernelINS0_13select_configILj256ELj13ELNS0_17block_load_methodE3ELS4_3ELS4_3ELNS0_20block_scan_algorithmE0ELj4294967295EEENS1_25partition_config_selectorILNS1_17partition_subalgoE3EjNS0_10empty_typeEbEEZZNS1_14partition_implILS8_3ELb0ES6_jNS0_17counting_iteratorIjlEEPS9_SE_NS0_5tupleIJPjSE_EEENSF_IJSE_SE_EEES9_SG_JZNS1_25segmented_radix_sort_implINS0_14default_configELb1EPKsPsPKlPlN2at6native12_GLOBAL__N_18offset_tEEE10hipError_tPvRmT1_PNSt15iterator_traitsISY_E10value_typeET2_T3_PNSZ_IS14_E10value_typeET4_jRbjT5_S1A_jjP12ihipStream_tbEUljE_EEESV_SW_SX_S14_S18_S1A_T6_T7_T9_mT8_S1C_bDpT10_ENKUlT_T0_E_clISt17integral_constantIbLb1EES1P_EEDaS1K_S1L_EUlS1K_E_NS1_11comp_targetILNS1_3genE9ELNS1_11target_archE1100ELNS1_3gpuE3ELNS1_3repE0EEENS1_30default_config_static_selectorELNS0_4arch9wavefront6targetE1EEEvSY_
		.amdhsa_group_segment_fixed_size 0
		.amdhsa_private_segment_fixed_size 0
		.amdhsa_kernarg_size 152
		.amdhsa_user_sgpr_count 6
		.amdhsa_user_sgpr_private_segment_buffer 1
		.amdhsa_user_sgpr_dispatch_ptr 0
		.amdhsa_user_sgpr_queue_ptr 0
		.amdhsa_user_sgpr_kernarg_segment_ptr 1
		.amdhsa_user_sgpr_dispatch_id 0
		.amdhsa_user_sgpr_flat_scratch_init 0
		.amdhsa_user_sgpr_private_segment_size 0
		.amdhsa_uses_dynamic_stack 0
		.amdhsa_system_sgpr_private_segment_wavefront_offset 0
		.amdhsa_system_sgpr_workgroup_id_x 1
		.amdhsa_system_sgpr_workgroup_id_y 0
		.amdhsa_system_sgpr_workgroup_id_z 0
		.amdhsa_system_sgpr_workgroup_info 0
		.amdhsa_system_vgpr_workitem_id 0
		.amdhsa_next_free_vgpr 1
		.amdhsa_next_free_sgpr 0
		.amdhsa_reserve_vcc 0
		.amdhsa_reserve_flat_scratch 0
		.amdhsa_float_round_mode_32 0
		.amdhsa_float_round_mode_16_64 0
		.amdhsa_float_denorm_mode_32 3
		.amdhsa_float_denorm_mode_16_64 3
		.amdhsa_dx10_clamp 1
		.amdhsa_ieee_mode 1
		.amdhsa_fp16_overflow 0
		.amdhsa_exception_fp_ieee_invalid_op 0
		.amdhsa_exception_fp_denorm_src 0
		.amdhsa_exception_fp_ieee_div_zero 0
		.amdhsa_exception_fp_ieee_overflow 0
		.amdhsa_exception_fp_ieee_underflow 0
		.amdhsa_exception_fp_ieee_inexact 0
		.amdhsa_exception_int_div_zero 0
	.end_amdhsa_kernel
	.section	.text._ZN7rocprim17ROCPRIM_400000_NS6detail17trampoline_kernelINS0_13select_configILj256ELj13ELNS0_17block_load_methodE3ELS4_3ELS4_3ELNS0_20block_scan_algorithmE0ELj4294967295EEENS1_25partition_config_selectorILNS1_17partition_subalgoE3EjNS0_10empty_typeEbEEZZNS1_14partition_implILS8_3ELb0ES6_jNS0_17counting_iteratorIjlEEPS9_SE_NS0_5tupleIJPjSE_EEENSF_IJSE_SE_EEES9_SG_JZNS1_25segmented_radix_sort_implINS0_14default_configELb1EPKsPsPKlPlN2at6native12_GLOBAL__N_18offset_tEEE10hipError_tPvRmT1_PNSt15iterator_traitsISY_E10value_typeET2_T3_PNSZ_IS14_E10value_typeET4_jRbjT5_S1A_jjP12ihipStream_tbEUljE_EEESV_SW_SX_S14_S18_S1A_T6_T7_T9_mT8_S1C_bDpT10_ENKUlT_T0_E_clISt17integral_constantIbLb1EES1P_EEDaS1K_S1L_EUlS1K_E_NS1_11comp_targetILNS1_3genE9ELNS1_11target_archE1100ELNS1_3gpuE3ELNS1_3repE0EEENS1_30default_config_static_selectorELNS0_4arch9wavefront6targetE1EEEvSY_,"axG",@progbits,_ZN7rocprim17ROCPRIM_400000_NS6detail17trampoline_kernelINS0_13select_configILj256ELj13ELNS0_17block_load_methodE3ELS4_3ELS4_3ELNS0_20block_scan_algorithmE0ELj4294967295EEENS1_25partition_config_selectorILNS1_17partition_subalgoE3EjNS0_10empty_typeEbEEZZNS1_14partition_implILS8_3ELb0ES6_jNS0_17counting_iteratorIjlEEPS9_SE_NS0_5tupleIJPjSE_EEENSF_IJSE_SE_EEES9_SG_JZNS1_25segmented_radix_sort_implINS0_14default_configELb1EPKsPsPKlPlN2at6native12_GLOBAL__N_18offset_tEEE10hipError_tPvRmT1_PNSt15iterator_traitsISY_E10value_typeET2_T3_PNSZ_IS14_E10value_typeET4_jRbjT5_S1A_jjP12ihipStream_tbEUljE_EEESV_SW_SX_S14_S18_S1A_T6_T7_T9_mT8_S1C_bDpT10_ENKUlT_T0_E_clISt17integral_constantIbLb1EES1P_EEDaS1K_S1L_EUlS1K_E_NS1_11comp_targetILNS1_3genE9ELNS1_11target_archE1100ELNS1_3gpuE3ELNS1_3repE0EEENS1_30default_config_static_selectorELNS0_4arch9wavefront6targetE1EEEvSY_,comdat
.Lfunc_end893:
	.size	_ZN7rocprim17ROCPRIM_400000_NS6detail17trampoline_kernelINS0_13select_configILj256ELj13ELNS0_17block_load_methodE3ELS4_3ELS4_3ELNS0_20block_scan_algorithmE0ELj4294967295EEENS1_25partition_config_selectorILNS1_17partition_subalgoE3EjNS0_10empty_typeEbEEZZNS1_14partition_implILS8_3ELb0ES6_jNS0_17counting_iteratorIjlEEPS9_SE_NS0_5tupleIJPjSE_EEENSF_IJSE_SE_EEES9_SG_JZNS1_25segmented_radix_sort_implINS0_14default_configELb1EPKsPsPKlPlN2at6native12_GLOBAL__N_18offset_tEEE10hipError_tPvRmT1_PNSt15iterator_traitsISY_E10value_typeET2_T3_PNSZ_IS14_E10value_typeET4_jRbjT5_S1A_jjP12ihipStream_tbEUljE_EEESV_SW_SX_S14_S18_S1A_T6_T7_T9_mT8_S1C_bDpT10_ENKUlT_T0_E_clISt17integral_constantIbLb1EES1P_EEDaS1K_S1L_EUlS1K_E_NS1_11comp_targetILNS1_3genE9ELNS1_11target_archE1100ELNS1_3gpuE3ELNS1_3repE0EEENS1_30default_config_static_selectorELNS0_4arch9wavefront6targetE1EEEvSY_, .Lfunc_end893-_ZN7rocprim17ROCPRIM_400000_NS6detail17trampoline_kernelINS0_13select_configILj256ELj13ELNS0_17block_load_methodE3ELS4_3ELS4_3ELNS0_20block_scan_algorithmE0ELj4294967295EEENS1_25partition_config_selectorILNS1_17partition_subalgoE3EjNS0_10empty_typeEbEEZZNS1_14partition_implILS8_3ELb0ES6_jNS0_17counting_iteratorIjlEEPS9_SE_NS0_5tupleIJPjSE_EEENSF_IJSE_SE_EEES9_SG_JZNS1_25segmented_radix_sort_implINS0_14default_configELb1EPKsPsPKlPlN2at6native12_GLOBAL__N_18offset_tEEE10hipError_tPvRmT1_PNSt15iterator_traitsISY_E10value_typeET2_T3_PNSZ_IS14_E10value_typeET4_jRbjT5_S1A_jjP12ihipStream_tbEUljE_EEESV_SW_SX_S14_S18_S1A_T6_T7_T9_mT8_S1C_bDpT10_ENKUlT_T0_E_clISt17integral_constantIbLb1EES1P_EEDaS1K_S1L_EUlS1K_E_NS1_11comp_targetILNS1_3genE9ELNS1_11target_archE1100ELNS1_3gpuE3ELNS1_3repE0EEENS1_30default_config_static_selectorELNS0_4arch9wavefront6targetE1EEEvSY_
                                        ; -- End function
	.set _ZN7rocprim17ROCPRIM_400000_NS6detail17trampoline_kernelINS0_13select_configILj256ELj13ELNS0_17block_load_methodE3ELS4_3ELS4_3ELNS0_20block_scan_algorithmE0ELj4294967295EEENS1_25partition_config_selectorILNS1_17partition_subalgoE3EjNS0_10empty_typeEbEEZZNS1_14partition_implILS8_3ELb0ES6_jNS0_17counting_iteratorIjlEEPS9_SE_NS0_5tupleIJPjSE_EEENSF_IJSE_SE_EEES9_SG_JZNS1_25segmented_radix_sort_implINS0_14default_configELb1EPKsPsPKlPlN2at6native12_GLOBAL__N_18offset_tEEE10hipError_tPvRmT1_PNSt15iterator_traitsISY_E10value_typeET2_T3_PNSZ_IS14_E10value_typeET4_jRbjT5_S1A_jjP12ihipStream_tbEUljE_EEESV_SW_SX_S14_S18_S1A_T6_T7_T9_mT8_S1C_bDpT10_ENKUlT_T0_E_clISt17integral_constantIbLb1EES1P_EEDaS1K_S1L_EUlS1K_E_NS1_11comp_targetILNS1_3genE9ELNS1_11target_archE1100ELNS1_3gpuE3ELNS1_3repE0EEENS1_30default_config_static_selectorELNS0_4arch9wavefront6targetE1EEEvSY_.num_vgpr, 0
	.set _ZN7rocprim17ROCPRIM_400000_NS6detail17trampoline_kernelINS0_13select_configILj256ELj13ELNS0_17block_load_methodE3ELS4_3ELS4_3ELNS0_20block_scan_algorithmE0ELj4294967295EEENS1_25partition_config_selectorILNS1_17partition_subalgoE3EjNS0_10empty_typeEbEEZZNS1_14partition_implILS8_3ELb0ES6_jNS0_17counting_iteratorIjlEEPS9_SE_NS0_5tupleIJPjSE_EEENSF_IJSE_SE_EEES9_SG_JZNS1_25segmented_radix_sort_implINS0_14default_configELb1EPKsPsPKlPlN2at6native12_GLOBAL__N_18offset_tEEE10hipError_tPvRmT1_PNSt15iterator_traitsISY_E10value_typeET2_T3_PNSZ_IS14_E10value_typeET4_jRbjT5_S1A_jjP12ihipStream_tbEUljE_EEESV_SW_SX_S14_S18_S1A_T6_T7_T9_mT8_S1C_bDpT10_ENKUlT_T0_E_clISt17integral_constantIbLb1EES1P_EEDaS1K_S1L_EUlS1K_E_NS1_11comp_targetILNS1_3genE9ELNS1_11target_archE1100ELNS1_3gpuE3ELNS1_3repE0EEENS1_30default_config_static_selectorELNS0_4arch9wavefront6targetE1EEEvSY_.num_agpr, 0
	.set _ZN7rocprim17ROCPRIM_400000_NS6detail17trampoline_kernelINS0_13select_configILj256ELj13ELNS0_17block_load_methodE3ELS4_3ELS4_3ELNS0_20block_scan_algorithmE0ELj4294967295EEENS1_25partition_config_selectorILNS1_17partition_subalgoE3EjNS0_10empty_typeEbEEZZNS1_14partition_implILS8_3ELb0ES6_jNS0_17counting_iteratorIjlEEPS9_SE_NS0_5tupleIJPjSE_EEENSF_IJSE_SE_EEES9_SG_JZNS1_25segmented_radix_sort_implINS0_14default_configELb1EPKsPsPKlPlN2at6native12_GLOBAL__N_18offset_tEEE10hipError_tPvRmT1_PNSt15iterator_traitsISY_E10value_typeET2_T3_PNSZ_IS14_E10value_typeET4_jRbjT5_S1A_jjP12ihipStream_tbEUljE_EEESV_SW_SX_S14_S18_S1A_T6_T7_T9_mT8_S1C_bDpT10_ENKUlT_T0_E_clISt17integral_constantIbLb1EES1P_EEDaS1K_S1L_EUlS1K_E_NS1_11comp_targetILNS1_3genE9ELNS1_11target_archE1100ELNS1_3gpuE3ELNS1_3repE0EEENS1_30default_config_static_selectorELNS0_4arch9wavefront6targetE1EEEvSY_.numbered_sgpr, 0
	.set _ZN7rocprim17ROCPRIM_400000_NS6detail17trampoline_kernelINS0_13select_configILj256ELj13ELNS0_17block_load_methodE3ELS4_3ELS4_3ELNS0_20block_scan_algorithmE0ELj4294967295EEENS1_25partition_config_selectorILNS1_17partition_subalgoE3EjNS0_10empty_typeEbEEZZNS1_14partition_implILS8_3ELb0ES6_jNS0_17counting_iteratorIjlEEPS9_SE_NS0_5tupleIJPjSE_EEENSF_IJSE_SE_EEES9_SG_JZNS1_25segmented_radix_sort_implINS0_14default_configELb1EPKsPsPKlPlN2at6native12_GLOBAL__N_18offset_tEEE10hipError_tPvRmT1_PNSt15iterator_traitsISY_E10value_typeET2_T3_PNSZ_IS14_E10value_typeET4_jRbjT5_S1A_jjP12ihipStream_tbEUljE_EEESV_SW_SX_S14_S18_S1A_T6_T7_T9_mT8_S1C_bDpT10_ENKUlT_T0_E_clISt17integral_constantIbLb1EES1P_EEDaS1K_S1L_EUlS1K_E_NS1_11comp_targetILNS1_3genE9ELNS1_11target_archE1100ELNS1_3gpuE3ELNS1_3repE0EEENS1_30default_config_static_selectorELNS0_4arch9wavefront6targetE1EEEvSY_.num_named_barrier, 0
	.set _ZN7rocprim17ROCPRIM_400000_NS6detail17trampoline_kernelINS0_13select_configILj256ELj13ELNS0_17block_load_methodE3ELS4_3ELS4_3ELNS0_20block_scan_algorithmE0ELj4294967295EEENS1_25partition_config_selectorILNS1_17partition_subalgoE3EjNS0_10empty_typeEbEEZZNS1_14partition_implILS8_3ELb0ES6_jNS0_17counting_iteratorIjlEEPS9_SE_NS0_5tupleIJPjSE_EEENSF_IJSE_SE_EEES9_SG_JZNS1_25segmented_radix_sort_implINS0_14default_configELb1EPKsPsPKlPlN2at6native12_GLOBAL__N_18offset_tEEE10hipError_tPvRmT1_PNSt15iterator_traitsISY_E10value_typeET2_T3_PNSZ_IS14_E10value_typeET4_jRbjT5_S1A_jjP12ihipStream_tbEUljE_EEESV_SW_SX_S14_S18_S1A_T6_T7_T9_mT8_S1C_bDpT10_ENKUlT_T0_E_clISt17integral_constantIbLb1EES1P_EEDaS1K_S1L_EUlS1K_E_NS1_11comp_targetILNS1_3genE9ELNS1_11target_archE1100ELNS1_3gpuE3ELNS1_3repE0EEENS1_30default_config_static_selectorELNS0_4arch9wavefront6targetE1EEEvSY_.private_seg_size, 0
	.set _ZN7rocprim17ROCPRIM_400000_NS6detail17trampoline_kernelINS0_13select_configILj256ELj13ELNS0_17block_load_methodE3ELS4_3ELS4_3ELNS0_20block_scan_algorithmE0ELj4294967295EEENS1_25partition_config_selectorILNS1_17partition_subalgoE3EjNS0_10empty_typeEbEEZZNS1_14partition_implILS8_3ELb0ES6_jNS0_17counting_iteratorIjlEEPS9_SE_NS0_5tupleIJPjSE_EEENSF_IJSE_SE_EEES9_SG_JZNS1_25segmented_radix_sort_implINS0_14default_configELb1EPKsPsPKlPlN2at6native12_GLOBAL__N_18offset_tEEE10hipError_tPvRmT1_PNSt15iterator_traitsISY_E10value_typeET2_T3_PNSZ_IS14_E10value_typeET4_jRbjT5_S1A_jjP12ihipStream_tbEUljE_EEESV_SW_SX_S14_S18_S1A_T6_T7_T9_mT8_S1C_bDpT10_ENKUlT_T0_E_clISt17integral_constantIbLb1EES1P_EEDaS1K_S1L_EUlS1K_E_NS1_11comp_targetILNS1_3genE9ELNS1_11target_archE1100ELNS1_3gpuE3ELNS1_3repE0EEENS1_30default_config_static_selectorELNS0_4arch9wavefront6targetE1EEEvSY_.uses_vcc, 0
	.set _ZN7rocprim17ROCPRIM_400000_NS6detail17trampoline_kernelINS0_13select_configILj256ELj13ELNS0_17block_load_methodE3ELS4_3ELS4_3ELNS0_20block_scan_algorithmE0ELj4294967295EEENS1_25partition_config_selectorILNS1_17partition_subalgoE3EjNS0_10empty_typeEbEEZZNS1_14partition_implILS8_3ELb0ES6_jNS0_17counting_iteratorIjlEEPS9_SE_NS0_5tupleIJPjSE_EEENSF_IJSE_SE_EEES9_SG_JZNS1_25segmented_radix_sort_implINS0_14default_configELb1EPKsPsPKlPlN2at6native12_GLOBAL__N_18offset_tEEE10hipError_tPvRmT1_PNSt15iterator_traitsISY_E10value_typeET2_T3_PNSZ_IS14_E10value_typeET4_jRbjT5_S1A_jjP12ihipStream_tbEUljE_EEESV_SW_SX_S14_S18_S1A_T6_T7_T9_mT8_S1C_bDpT10_ENKUlT_T0_E_clISt17integral_constantIbLb1EES1P_EEDaS1K_S1L_EUlS1K_E_NS1_11comp_targetILNS1_3genE9ELNS1_11target_archE1100ELNS1_3gpuE3ELNS1_3repE0EEENS1_30default_config_static_selectorELNS0_4arch9wavefront6targetE1EEEvSY_.uses_flat_scratch, 0
	.set _ZN7rocprim17ROCPRIM_400000_NS6detail17trampoline_kernelINS0_13select_configILj256ELj13ELNS0_17block_load_methodE3ELS4_3ELS4_3ELNS0_20block_scan_algorithmE0ELj4294967295EEENS1_25partition_config_selectorILNS1_17partition_subalgoE3EjNS0_10empty_typeEbEEZZNS1_14partition_implILS8_3ELb0ES6_jNS0_17counting_iteratorIjlEEPS9_SE_NS0_5tupleIJPjSE_EEENSF_IJSE_SE_EEES9_SG_JZNS1_25segmented_radix_sort_implINS0_14default_configELb1EPKsPsPKlPlN2at6native12_GLOBAL__N_18offset_tEEE10hipError_tPvRmT1_PNSt15iterator_traitsISY_E10value_typeET2_T3_PNSZ_IS14_E10value_typeET4_jRbjT5_S1A_jjP12ihipStream_tbEUljE_EEESV_SW_SX_S14_S18_S1A_T6_T7_T9_mT8_S1C_bDpT10_ENKUlT_T0_E_clISt17integral_constantIbLb1EES1P_EEDaS1K_S1L_EUlS1K_E_NS1_11comp_targetILNS1_3genE9ELNS1_11target_archE1100ELNS1_3gpuE3ELNS1_3repE0EEENS1_30default_config_static_selectorELNS0_4arch9wavefront6targetE1EEEvSY_.has_dyn_sized_stack, 0
	.set _ZN7rocprim17ROCPRIM_400000_NS6detail17trampoline_kernelINS0_13select_configILj256ELj13ELNS0_17block_load_methodE3ELS4_3ELS4_3ELNS0_20block_scan_algorithmE0ELj4294967295EEENS1_25partition_config_selectorILNS1_17partition_subalgoE3EjNS0_10empty_typeEbEEZZNS1_14partition_implILS8_3ELb0ES6_jNS0_17counting_iteratorIjlEEPS9_SE_NS0_5tupleIJPjSE_EEENSF_IJSE_SE_EEES9_SG_JZNS1_25segmented_radix_sort_implINS0_14default_configELb1EPKsPsPKlPlN2at6native12_GLOBAL__N_18offset_tEEE10hipError_tPvRmT1_PNSt15iterator_traitsISY_E10value_typeET2_T3_PNSZ_IS14_E10value_typeET4_jRbjT5_S1A_jjP12ihipStream_tbEUljE_EEESV_SW_SX_S14_S18_S1A_T6_T7_T9_mT8_S1C_bDpT10_ENKUlT_T0_E_clISt17integral_constantIbLb1EES1P_EEDaS1K_S1L_EUlS1K_E_NS1_11comp_targetILNS1_3genE9ELNS1_11target_archE1100ELNS1_3gpuE3ELNS1_3repE0EEENS1_30default_config_static_selectorELNS0_4arch9wavefront6targetE1EEEvSY_.has_recursion, 0
	.set _ZN7rocprim17ROCPRIM_400000_NS6detail17trampoline_kernelINS0_13select_configILj256ELj13ELNS0_17block_load_methodE3ELS4_3ELS4_3ELNS0_20block_scan_algorithmE0ELj4294967295EEENS1_25partition_config_selectorILNS1_17partition_subalgoE3EjNS0_10empty_typeEbEEZZNS1_14partition_implILS8_3ELb0ES6_jNS0_17counting_iteratorIjlEEPS9_SE_NS0_5tupleIJPjSE_EEENSF_IJSE_SE_EEES9_SG_JZNS1_25segmented_radix_sort_implINS0_14default_configELb1EPKsPsPKlPlN2at6native12_GLOBAL__N_18offset_tEEE10hipError_tPvRmT1_PNSt15iterator_traitsISY_E10value_typeET2_T3_PNSZ_IS14_E10value_typeET4_jRbjT5_S1A_jjP12ihipStream_tbEUljE_EEESV_SW_SX_S14_S18_S1A_T6_T7_T9_mT8_S1C_bDpT10_ENKUlT_T0_E_clISt17integral_constantIbLb1EES1P_EEDaS1K_S1L_EUlS1K_E_NS1_11comp_targetILNS1_3genE9ELNS1_11target_archE1100ELNS1_3gpuE3ELNS1_3repE0EEENS1_30default_config_static_selectorELNS0_4arch9wavefront6targetE1EEEvSY_.has_indirect_call, 0
	.section	.AMDGPU.csdata,"",@progbits
; Kernel info:
; codeLenInByte = 0
; TotalNumSgprs: 4
; NumVgprs: 0
; ScratchSize: 0
; MemoryBound: 0
; FloatMode: 240
; IeeeMode: 1
; LDSByteSize: 0 bytes/workgroup (compile time only)
; SGPRBlocks: 0
; VGPRBlocks: 0
; NumSGPRsForWavesPerEU: 4
; NumVGPRsForWavesPerEU: 1
; Occupancy: 10
; WaveLimiterHint : 0
; COMPUTE_PGM_RSRC2:SCRATCH_EN: 0
; COMPUTE_PGM_RSRC2:USER_SGPR: 6
; COMPUTE_PGM_RSRC2:TRAP_HANDLER: 0
; COMPUTE_PGM_RSRC2:TGID_X_EN: 1
; COMPUTE_PGM_RSRC2:TGID_Y_EN: 0
; COMPUTE_PGM_RSRC2:TGID_Z_EN: 0
; COMPUTE_PGM_RSRC2:TIDIG_COMP_CNT: 0
	.section	.text._ZN7rocprim17ROCPRIM_400000_NS6detail17trampoline_kernelINS0_13select_configILj256ELj13ELNS0_17block_load_methodE3ELS4_3ELS4_3ELNS0_20block_scan_algorithmE0ELj4294967295EEENS1_25partition_config_selectorILNS1_17partition_subalgoE3EjNS0_10empty_typeEbEEZZNS1_14partition_implILS8_3ELb0ES6_jNS0_17counting_iteratorIjlEEPS9_SE_NS0_5tupleIJPjSE_EEENSF_IJSE_SE_EEES9_SG_JZNS1_25segmented_radix_sort_implINS0_14default_configELb1EPKsPsPKlPlN2at6native12_GLOBAL__N_18offset_tEEE10hipError_tPvRmT1_PNSt15iterator_traitsISY_E10value_typeET2_T3_PNSZ_IS14_E10value_typeET4_jRbjT5_S1A_jjP12ihipStream_tbEUljE_EEESV_SW_SX_S14_S18_S1A_T6_T7_T9_mT8_S1C_bDpT10_ENKUlT_T0_E_clISt17integral_constantIbLb1EES1P_EEDaS1K_S1L_EUlS1K_E_NS1_11comp_targetILNS1_3genE8ELNS1_11target_archE1030ELNS1_3gpuE2ELNS1_3repE0EEENS1_30default_config_static_selectorELNS0_4arch9wavefront6targetE1EEEvSY_,"axG",@progbits,_ZN7rocprim17ROCPRIM_400000_NS6detail17trampoline_kernelINS0_13select_configILj256ELj13ELNS0_17block_load_methodE3ELS4_3ELS4_3ELNS0_20block_scan_algorithmE0ELj4294967295EEENS1_25partition_config_selectorILNS1_17partition_subalgoE3EjNS0_10empty_typeEbEEZZNS1_14partition_implILS8_3ELb0ES6_jNS0_17counting_iteratorIjlEEPS9_SE_NS0_5tupleIJPjSE_EEENSF_IJSE_SE_EEES9_SG_JZNS1_25segmented_radix_sort_implINS0_14default_configELb1EPKsPsPKlPlN2at6native12_GLOBAL__N_18offset_tEEE10hipError_tPvRmT1_PNSt15iterator_traitsISY_E10value_typeET2_T3_PNSZ_IS14_E10value_typeET4_jRbjT5_S1A_jjP12ihipStream_tbEUljE_EEESV_SW_SX_S14_S18_S1A_T6_T7_T9_mT8_S1C_bDpT10_ENKUlT_T0_E_clISt17integral_constantIbLb1EES1P_EEDaS1K_S1L_EUlS1K_E_NS1_11comp_targetILNS1_3genE8ELNS1_11target_archE1030ELNS1_3gpuE2ELNS1_3repE0EEENS1_30default_config_static_selectorELNS0_4arch9wavefront6targetE1EEEvSY_,comdat
	.globl	_ZN7rocprim17ROCPRIM_400000_NS6detail17trampoline_kernelINS0_13select_configILj256ELj13ELNS0_17block_load_methodE3ELS4_3ELS4_3ELNS0_20block_scan_algorithmE0ELj4294967295EEENS1_25partition_config_selectorILNS1_17partition_subalgoE3EjNS0_10empty_typeEbEEZZNS1_14partition_implILS8_3ELb0ES6_jNS0_17counting_iteratorIjlEEPS9_SE_NS0_5tupleIJPjSE_EEENSF_IJSE_SE_EEES9_SG_JZNS1_25segmented_radix_sort_implINS0_14default_configELb1EPKsPsPKlPlN2at6native12_GLOBAL__N_18offset_tEEE10hipError_tPvRmT1_PNSt15iterator_traitsISY_E10value_typeET2_T3_PNSZ_IS14_E10value_typeET4_jRbjT5_S1A_jjP12ihipStream_tbEUljE_EEESV_SW_SX_S14_S18_S1A_T6_T7_T9_mT8_S1C_bDpT10_ENKUlT_T0_E_clISt17integral_constantIbLb1EES1P_EEDaS1K_S1L_EUlS1K_E_NS1_11comp_targetILNS1_3genE8ELNS1_11target_archE1030ELNS1_3gpuE2ELNS1_3repE0EEENS1_30default_config_static_selectorELNS0_4arch9wavefront6targetE1EEEvSY_ ; -- Begin function _ZN7rocprim17ROCPRIM_400000_NS6detail17trampoline_kernelINS0_13select_configILj256ELj13ELNS0_17block_load_methodE3ELS4_3ELS4_3ELNS0_20block_scan_algorithmE0ELj4294967295EEENS1_25partition_config_selectorILNS1_17partition_subalgoE3EjNS0_10empty_typeEbEEZZNS1_14partition_implILS8_3ELb0ES6_jNS0_17counting_iteratorIjlEEPS9_SE_NS0_5tupleIJPjSE_EEENSF_IJSE_SE_EEES9_SG_JZNS1_25segmented_radix_sort_implINS0_14default_configELb1EPKsPsPKlPlN2at6native12_GLOBAL__N_18offset_tEEE10hipError_tPvRmT1_PNSt15iterator_traitsISY_E10value_typeET2_T3_PNSZ_IS14_E10value_typeET4_jRbjT5_S1A_jjP12ihipStream_tbEUljE_EEESV_SW_SX_S14_S18_S1A_T6_T7_T9_mT8_S1C_bDpT10_ENKUlT_T0_E_clISt17integral_constantIbLb1EES1P_EEDaS1K_S1L_EUlS1K_E_NS1_11comp_targetILNS1_3genE8ELNS1_11target_archE1030ELNS1_3gpuE2ELNS1_3repE0EEENS1_30default_config_static_selectorELNS0_4arch9wavefront6targetE1EEEvSY_
	.p2align	8
	.type	_ZN7rocprim17ROCPRIM_400000_NS6detail17trampoline_kernelINS0_13select_configILj256ELj13ELNS0_17block_load_methodE3ELS4_3ELS4_3ELNS0_20block_scan_algorithmE0ELj4294967295EEENS1_25partition_config_selectorILNS1_17partition_subalgoE3EjNS0_10empty_typeEbEEZZNS1_14partition_implILS8_3ELb0ES6_jNS0_17counting_iteratorIjlEEPS9_SE_NS0_5tupleIJPjSE_EEENSF_IJSE_SE_EEES9_SG_JZNS1_25segmented_radix_sort_implINS0_14default_configELb1EPKsPsPKlPlN2at6native12_GLOBAL__N_18offset_tEEE10hipError_tPvRmT1_PNSt15iterator_traitsISY_E10value_typeET2_T3_PNSZ_IS14_E10value_typeET4_jRbjT5_S1A_jjP12ihipStream_tbEUljE_EEESV_SW_SX_S14_S18_S1A_T6_T7_T9_mT8_S1C_bDpT10_ENKUlT_T0_E_clISt17integral_constantIbLb1EES1P_EEDaS1K_S1L_EUlS1K_E_NS1_11comp_targetILNS1_3genE8ELNS1_11target_archE1030ELNS1_3gpuE2ELNS1_3repE0EEENS1_30default_config_static_selectorELNS0_4arch9wavefront6targetE1EEEvSY_,@function
_ZN7rocprim17ROCPRIM_400000_NS6detail17trampoline_kernelINS0_13select_configILj256ELj13ELNS0_17block_load_methodE3ELS4_3ELS4_3ELNS0_20block_scan_algorithmE0ELj4294967295EEENS1_25partition_config_selectorILNS1_17partition_subalgoE3EjNS0_10empty_typeEbEEZZNS1_14partition_implILS8_3ELb0ES6_jNS0_17counting_iteratorIjlEEPS9_SE_NS0_5tupleIJPjSE_EEENSF_IJSE_SE_EEES9_SG_JZNS1_25segmented_radix_sort_implINS0_14default_configELb1EPKsPsPKlPlN2at6native12_GLOBAL__N_18offset_tEEE10hipError_tPvRmT1_PNSt15iterator_traitsISY_E10value_typeET2_T3_PNSZ_IS14_E10value_typeET4_jRbjT5_S1A_jjP12ihipStream_tbEUljE_EEESV_SW_SX_S14_S18_S1A_T6_T7_T9_mT8_S1C_bDpT10_ENKUlT_T0_E_clISt17integral_constantIbLb1EES1P_EEDaS1K_S1L_EUlS1K_E_NS1_11comp_targetILNS1_3genE8ELNS1_11target_archE1030ELNS1_3gpuE2ELNS1_3repE0EEENS1_30default_config_static_selectorELNS0_4arch9wavefront6targetE1EEEvSY_: ; @_ZN7rocprim17ROCPRIM_400000_NS6detail17trampoline_kernelINS0_13select_configILj256ELj13ELNS0_17block_load_methodE3ELS4_3ELS4_3ELNS0_20block_scan_algorithmE0ELj4294967295EEENS1_25partition_config_selectorILNS1_17partition_subalgoE3EjNS0_10empty_typeEbEEZZNS1_14partition_implILS8_3ELb0ES6_jNS0_17counting_iteratorIjlEEPS9_SE_NS0_5tupleIJPjSE_EEENSF_IJSE_SE_EEES9_SG_JZNS1_25segmented_radix_sort_implINS0_14default_configELb1EPKsPsPKlPlN2at6native12_GLOBAL__N_18offset_tEEE10hipError_tPvRmT1_PNSt15iterator_traitsISY_E10value_typeET2_T3_PNSZ_IS14_E10value_typeET4_jRbjT5_S1A_jjP12ihipStream_tbEUljE_EEESV_SW_SX_S14_S18_S1A_T6_T7_T9_mT8_S1C_bDpT10_ENKUlT_T0_E_clISt17integral_constantIbLb1EES1P_EEDaS1K_S1L_EUlS1K_E_NS1_11comp_targetILNS1_3genE8ELNS1_11target_archE1030ELNS1_3gpuE2ELNS1_3repE0EEENS1_30default_config_static_selectorELNS0_4arch9wavefront6targetE1EEEvSY_
; %bb.0:
	.section	.rodata,"a",@progbits
	.p2align	6, 0x0
	.amdhsa_kernel _ZN7rocprim17ROCPRIM_400000_NS6detail17trampoline_kernelINS0_13select_configILj256ELj13ELNS0_17block_load_methodE3ELS4_3ELS4_3ELNS0_20block_scan_algorithmE0ELj4294967295EEENS1_25partition_config_selectorILNS1_17partition_subalgoE3EjNS0_10empty_typeEbEEZZNS1_14partition_implILS8_3ELb0ES6_jNS0_17counting_iteratorIjlEEPS9_SE_NS0_5tupleIJPjSE_EEENSF_IJSE_SE_EEES9_SG_JZNS1_25segmented_radix_sort_implINS0_14default_configELb1EPKsPsPKlPlN2at6native12_GLOBAL__N_18offset_tEEE10hipError_tPvRmT1_PNSt15iterator_traitsISY_E10value_typeET2_T3_PNSZ_IS14_E10value_typeET4_jRbjT5_S1A_jjP12ihipStream_tbEUljE_EEESV_SW_SX_S14_S18_S1A_T6_T7_T9_mT8_S1C_bDpT10_ENKUlT_T0_E_clISt17integral_constantIbLb1EES1P_EEDaS1K_S1L_EUlS1K_E_NS1_11comp_targetILNS1_3genE8ELNS1_11target_archE1030ELNS1_3gpuE2ELNS1_3repE0EEENS1_30default_config_static_selectorELNS0_4arch9wavefront6targetE1EEEvSY_
		.amdhsa_group_segment_fixed_size 0
		.amdhsa_private_segment_fixed_size 0
		.amdhsa_kernarg_size 152
		.amdhsa_user_sgpr_count 6
		.amdhsa_user_sgpr_private_segment_buffer 1
		.amdhsa_user_sgpr_dispatch_ptr 0
		.amdhsa_user_sgpr_queue_ptr 0
		.amdhsa_user_sgpr_kernarg_segment_ptr 1
		.amdhsa_user_sgpr_dispatch_id 0
		.amdhsa_user_sgpr_flat_scratch_init 0
		.amdhsa_user_sgpr_private_segment_size 0
		.amdhsa_uses_dynamic_stack 0
		.amdhsa_system_sgpr_private_segment_wavefront_offset 0
		.amdhsa_system_sgpr_workgroup_id_x 1
		.amdhsa_system_sgpr_workgroup_id_y 0
		.amdhsa_system_sgpr_workgroup_id_z 0
		.amdhsa_system_sgpr_workgroup_info 0
		.amdhsa_system_vgpr_workitem_id 0
		.amdhsa_next_free_vgpr 1
		.amdhsa_next_free_sgpr 0
		.amdhsa_reserve_vcc 0
		.amdhsa_reserve_flat_scratch 0
		.amdhsa_float_round_mode_32 0
		.amdhsa_float_round_mode_16_64 0
		.amdhsa_float_denorm_mode_32 3
		.amdhsa_float_denorm_mode_16_64 3
		.amdhsa_dx10_clamp 1
		.amdhsa_ieee_mode 1
		.amdhsa_fp16_overflow 0
		.amdhsa_exception_fp_ieee_invalid_op 0
		.amdhsa_exception_fp_denorm_src 0
		.amdhsa_exception_fp_ieee_div_zero 0
		.amdhsa_exception_fp_ieee_overflow 0
		.amdhsa_exception_fp_ieee_underflow 0
		.amdhsa_exception_fp_ieee_inexact 0
		.amdhsa_exception_int_div_zero 0
	.end_amdhsa_kernel
	.section	.text._ZN7rocprim17ROCPRIM_400000_NS6detail17trampoline_kernelINS0_13select_configILj256ELj13ELNS0_17block_load_methodE3ELS4_3ELS4_3ELNS0_20block_scan_algorithmE0ELj4294967295EEENS1_25partition_config_selectorILNS1_17partition_subalgoE3EjNS0_10empty_typeEbEEZZNS1_14partition_implILS8_3ELb0ES6_jNS0_17counting_iteratorIjlEEPS9_SE_NS0_5tupleIJPjSE_EEENSF_IJSE_SE_EEES9_SG_JZNS1_25segmented_radix_sort_implINS0_14default_configELb1EPKsPsPKlPlN2at6native12_GLOBAL__N_18offset_tEEE10hipError_tPvRmT1_PNSt15iterator_traitsISY_E10value_typeET2_T3_PNSZ_IS14_E10value_typeET4_jRbjT5_S1A_jjP12ihipStream_tbEUljE_EEESV_SW_SX_S14_S18_S1A_T6_T7_T9_mT8_S1C_bDpT10_ENKUlT_T0_E_clISt17integral_constantIbLb1EES1P_EEDaS1K_S1L_EUlS1K_E_NS1_11comp_targetILNS1_3genE8ELNS1_11target_archE1030ELNS1_3gpuE2ELNS1_3repE0EEENS1_30default_config_static_selectorELNS0_4arch9wavefront6targetE1EEEvSY_,"axG",@progbits,_ZN7rocprim17ROCPRIM_400000_NS6detail17trampoline_kernelINS0_13select_configILj256ELj13ELNS0_17block_load_methodE3ELS4_3ELS4_3ELNS0_20block_scan_algorithmE0ELj4294967295EEENS1_25partition_config_selectorILNS1_17partition_subalgoE3EjNS0_10empty_typeEbEEZZNS1_14partition_implILS8_3ELb0ES6_jNS0_17counting_iteratorIjlEEPS9_SE_NS0_5tupleIJPjSE_EEENSF_IJSE_SE_EEES9_SG_JZNS1_25segmented_radix_sort_implINS0_14default_configELb1EPKsPsPKlPlN2at6native12_GLOBAL__N_18offset_tEEE10hipError_tPvRmT1_PNSt15iterator_traitsISY_E10value_typeET2_T3_PNSZ_IS14_E10value_typeET4_jRbjT5_S1A_jjP12ihipStream_tbEUljE_EEESV_SW_SX_S14_S18_S1A_T6_T7_T9_mT8_S1C_bDpT10_ENKUlT_T0_E_clISt17integral_constantIbLb1EES1P_EEDaS1K_S1L_EUlS1K_E_NS1_11comp_targetILNS1_3genE8ELNS1_11target_archE1030ELNS1_3gpuE2ELNS1_3repE0EEENS1_30default_config_static_selectorELNS0_4arch9wavefront6targetE1EEEvSY_,comdat
.Lfunc_end894:
	.size	_ZN7rocprim17ROCPRIM_400000_NS6detail17trampoline_kernelINS0_13select_configILj256ELj13ELNS0_17block_load_methodE3ELS4_3ELS4_3ELNS0_20block_scan_algorithmE0ELj4294967295EEENS1_25partition_config_selectorILNS1_17partition_subalgoE3EjNS0_10empty_typeEbEEZZNS1_14partition_implILS8_3ELb0ES6_jNS0_17counting_iteratorIjlEEPS9_SE_NS0_5tupleIJPjSE_EEENSF_IJSE_SE_EEES9_SG_JZNS1_25segmented_radix_sort_implINS0_14default_configELb1EPKsPsPKlPlN2at6native12_GLOBAL__N_18offset_tEEE10hipError_tPvRmT1_PNSt15iterator_traitsISY_E10value_typeET2_T3_PNSZ_IS14_E10value_typeET4_jRbjT5_S1A_jjP12ihipStream_tbEUljE_EEESV_SW_SX_S14_S18_S1A_T6_T7_T9_mT8_S1C_bDpT10_ENKUlT_T0_E_clISt17integral_constantIbLb1EES1P_EEDaS1K_S1L_EUlS1K_E_NS1_11comp_targetILNS1_3genE8ELNS1_11target_archE1030ELNS1_3gpuE2ELNS1_3repE0EEENS1_30default_config_static_selectorELNS0_4arch9wavefront6targetE1EEEvSY_, .Lfunc_end894-_ZN7rocprim17ROCPRIM_400000_NS6detail17trampoline_kernelINS0_13select_configILj256ELj13ELNS0_17block_load_methodE3ELS4_3ELS4_3ELNS0_20block_scan_algorithmE0ELj4294967295EEENS1_25partition_config_selectorILNS1_17partition_subalgoE3EjNS0_10empty_typeEbEEZZNS1_14partition_implILS8_3ELb0ES6_jNS0_17counting_iteratorIjlEEPS9_SE_NS0_5tupleIJPjSE_EEENSF_IJSE_SE_EEES9_SG_JZNS1_25segmented_radix_sort_implINS0_14default_configELb1EPKsPsPKlPlN2at6native12_GLOBAL__N_18offset_tEEE10hipError_tPvRmT1_PNSt15iterator_traitsISY_E10value_typeET2_T3_PNSZ_IS14_E10value_typeET4_jRbjT5_S1A_jjP12ihipStream_tbEUljE_EEESV_SW_SX_S14_S18_S1A_T6_T7_T9_mT8_S1C_bDpT10_ENKUlT_T0_E_clISt17integral_constantIbLb1EES1P_EEDaS1K_S1L_EUlS1K_E_NS1_11comp_targetILNS1_3genE8ELNS1_11target_archE1030ELNS1_3gpuE2ELNS1_3repE0EEENS1_30default_config_static_selectorELNS0_4arch9wavefront6targetE1EEEvSY_
                                        ; -- End function
	.set _ZN7rocprim17ROCPRIM_400000_NS6detail17trampoline_kernelINS0_13select_configILj256ELj13ELNS0_17block_load_methodE3ELS4_3ELS4_3ELNS0_20block_scan_algorithmE0ELj4294967295EEENS1_25partition_config_selectorILNS1_17partition_subalgoE3EjNS0_10empty_typeEbEEZZNS1_14partition_implILS8_3ELb0ES6_jNS0_17counting_iteratorIjlEEPS9_SE_NS0_5tupleIJPjSE_EEENSF_IJSE_SE_EEES9_SG_JZNS1_25segmented_radix_sort_implINS0_14default_configELb1EPKsPsPKlPlN2at6native12_GLOBAL__N_18offset_tEEE10hipError_tPvRmT1_PNSt15iterator_traitsISY_E10value_typeET2_T3_PNSZ_IS14_E10value_typeET4_jRbjT5_S1A_jjP12ihipStream_tbEUljE_EEESV_SW_SX_S14_S18_S1A_T6_T7_T9_mT8_S1C_bDpT10_ENKUlT_T0_E_clISt17integral_constantIbLb1EES1P_EEDaS1K_S1L_EUlS1K_E_NS1_11comp_targetILNS1_3genE8ELNS1_11target_archE1030ELNS1_3gpuE2ELNS1_3repE0EEENS1_30default_config_static_selectorELNS0_4arch9wavefront6targetE1EEEvSY_.num_vgpr, 0
	.set _ZN7rocprim17ROCPRIM_400000_NS6detail17trampoline_kernelINS0_13select_configILj256ELj13ELNS0_17block_load_methodE3ELS4_3ELS4_3ELNS0_20block_scan_algorithmE0ELj4294967295EEENS1_25partition_config_selectorILNS1_17partition_subalgoE3EjNS0_10empty_typeEbEEZZNS1_14partition_implILS8_3ELb0ES6_jNS0_17counting_iteratorIjlEEPS9_SE_NS0_5tupleIJPjSE_EEENSF_IJSE_SE_EEES9_SG_JZNS1_25segmented_radix_sort_implINS0_14default_configELb1EPKsPsPKlPlN2at6native12_GLOBAL__N_18offset_tEEE10hipError_tPvRmT1_PNSt15iterator_traitsISY_E10value_typeET2_T3_PNSZ_IS14_E10value_typeET4_jRbjT5_S1A_jjP12ihipStream_tbEUljE_EEESV_SW_SX_S14_S18_S1A_T6_T7_T9_mT8_S1C_bDpT10_ENKUlT_T0_E_clISt17integral_constantIbLb1EES1P_EEDaS1K_S1L_EUlS1K_E_NS1_11comp_targetILNS1_3genE8ELNS1_11target_archE1030ELNS1_3gpuE2ELNS1_3repE0EEENS1_30default_config_static_selectorELNS0_4arch9wavefront6targetE1EEEvSY_.num_agpr, 0
	.set _ZN7rocprim17ROCPRIM_400000_NS6detail17trampoline_kernelINS0_13select_configILj256ELj13ELNS0_17block_load_methodE3ELS4_3ELS4_3ELNS0_20block_scan_algorithmE0ELj4294967295EEENS1_25partition_config_selectorILNS1_17partition_subalgoE3EjNS0_10empty_typeEbEEZZNS1_14partition_implILS8_3ELb0ES6_jNS0_17counting_iteratorIjlEEPS9_SE_NS0_5tupleIJPjSE_EEENSF_IJSE_SE_EEES9_SG_JZNS1_25segmented_radix_sort_implINS0_14default_configELb1EPKsPsPKlPlN2at6native12_GLOBAL__N_18offset_tEEE10hipError_tPvRmT1_PNSt15iterator_traitsISY_E10value_typeET2_T3_PNSZ_IS14_E10value_typeET4_jRbjT5_S1A_jjP12ihipStream_tbEUljE_EEESV_SW_SX_S14_S18_S1A_T6_T7_T9_mT8_S1C_bDpT10_ENKUlT_T0_E_clISt17integral_constantIbLb1EES1P_EEDaS1K_S1L_EUlS1K_E_NS1_11comp_targetILNS1_3genE8ELNS1_11target_archE1030ELNS1_3gpuE2ELNS1_3repE0EEENS1_30default_config_static_selectorELNS0_4arch9wavefront6targetE1EEEvSY_.numbered_sgpr, 0
	.set _ZN7rocprim17ROCPRIM_400000_NS6detail17trampoline_kernelINS0_13select_configILj256ELj13ELNS0_17block_load_methodE3ELS4_3ELS4_3ELNS0_20block_scan_algorithmE0ELj4294967295EEENS1_25partition_config_selectorILNS1_17partition_subalgoE3EjNS0_10empty_typeEbEEZZNS1_14partition_implILS8_3ELb0ES6_jNS0_17counting_iteratorIjlEEPS9_SE_NS0_5tupleIJPjSE_EEENSF_IJSE_SE_EEES9_SG_JZNS1_25segmented_radix_sort_implINS0_14default_configELb1EPKsPsPKlPlN2at6native12_GLOBAL__N_18offset_tEEE10hipError_tPvRmT1_PNSt15iterator_traitsISY_E10value_typeET2_T3_PNSZ_IS14_E10value_typeET4_jRbjT5_S1A_jjP12ihipStream_tbEUljE_EEESV_SW_SX_S14_S18_S1A_T6_T7_T9_mT8_S1C_bDpT10_ENKUlT_T0_E_clISt17integral_constantIbLb1EES1P_EEDaS1K_S1L_EUlS1K_E_NS1_11comp_targetILNS1_3genE8ELNS1_11target_archE1030ELNS1_3gpuE2ELNS1_3repE0EEENS1_30default_config_static_selectorELNS0_4arch9wavefront6targetE1EEEvSY_.num_named_barrier, 0
	.set _ZN7rocprim17ROCPRIM_400000_NS6detail17trampoline_kernelINS0_13select_configILj256ELj13ELNS0_17block_load_methodE3ELS4_3ELS4_3ELNS0_20block_scan_algorithmE0ELj4294967295EEENS1_25partition_config_selectorILNS1_17partition_subalgoE3EjNS0_10empty_typeEbEEZZNS1_14partition_implILS8_3ELb0ES6_jNS0_17counting_iteratorIjlEEPS9_SE_NS0_5tupleIJPjSE_EEENSF_IJSE_SE_EEES9_SG_JZNS1_25segmented_radix_sort_implINS0_14default_configELb1EPKsPsPKlPlN2at6native12_GLOBAL__N_18offset_tEEE10hipError_tPvRmT1_PNSt15iterator_traitsISY_E10value_typeET2_T3_PNSZ_IS14_E10value_typeET4_jRbjT5_S1A_jjP12ihipStream_tbEUljE_EEESV_SW_SX_S14_S18_S1A_T6_T7_T9_mT8_S1C_bDpT10_ENKUlT_T0_E_clISt17integral_constantIbLb1EES1P_EEDaS1K_S1L_EUlS1K_E_NS1_11comp_targetILNS1_3genE8ELNS1_11target_archE1030ELNS1_3gpuE2ELNS1_3repE0EEENS1_30default_config_static_selectorELNS0_4arch9wavefront6targetE1EEEvSY_.private_seg_size, 0
	.set _ZN7rocprim17ROCPRIM_400000_NS6detail17trampoline_kernelINS0_13select_configILj256ELj13ELNS0_17block_load_methodE3ELS4_3ELS4_3ELNS0_20block_scan_algorithmE0ELj4294967295EEENS1_25partition_config_selectorILNS1_17partition_subalgoE3EjNS0_10empty_typeEbEEZZNS1_14partition_implILS8_3ELb0ES6_jNS0_17counting_iteratorIjlEEPS9_SE_NS0_5tupleIJPjSE_EEENSF_IJSE_SE_EEES9_SG_JZNS1_25segmented_radix_sort_implINS0_14default_configELb1EPKsPsPKlPlN2at6native12_GLOBAL__N_18offset_tEEE10hipError_tPvRmT1_PNSt15iterator_traitsISY_E10value_typeET2_T3_PNSZ_IS14_E10value_typeET4_jRbjT5_S1A_jjP12ihipStream_tbEUljE_EEESV_SW_SX_S14_S18_S1A_T6_T7_T9_mT8_S1C_bDpT10_ENKUlT_T0_E_clISt17integral_constantIbLb1EES1P_EEDaS1K_S1L_EUlS1K_E_NS1_11comp_targetILNS1_3genE8ELNS1_11target_archE1030ELNS1_3gpuE2ELNS1_3repE0EEENS1_30default_config_static_selectorELNS0_4arch9wavefront6targetE1EEEvSY_.uses_vcc, 0
	.set _ZN7rocprim17ROCPRIM_400000_NS6detail17trampoline_kernelINS0_13select_configILj256ELj13ELNS0_17block_load_methodE3ELS4_3ELS4_3ELNS0_20block_scan_algorithmE0ELj4294967295EEENS1_25partition_config_selectorILNS1_17partition_subalgoE3EjNS0_10empty_typeEbEEZZNS1_14partition_implILS8_3ELb0ES6_jNS0_17counting_iteratorIjlEEPS9_SE_NS0_5tupleIJPjSE_EEENSF_IJSE_SE_EEES9_SG_JZNS1_25segmented_radix_sort_implINS0_14default_configELb1EPKsPsPKlPlN2at6native12_GLOBAL__N_18offset_tEEE10hipError_tPvRmT1_PNSt15iterator_traitsISY_E10value_typeET2_T3_PNSZ_IS14_E10value_typeET4_jRbjT5_S1A_jjP12ihipStream_tbEUljE_EEESV_SW_SX_S14_S18_S1A_T6_T7_T9_mT8_S1C_bDpT10_ENKUlT_T0_E_clISt17integral_constantIbLb1EES1P_EEDaS1K_S1L_EUlS1K_E_NS1_11comp_targetILNS1_3genE8ELNS1_11target_archE1030ELNS1_3gpuE2ELNS1_3repE0EEENS1_30default_config_static_selectorELNS0_4arch9wavefront6targetE1EEEvSY_.uses_flat_scratch, 0
	.set _ZN7rocprim17ROCPRIM_400000_NS6detail17trampoline_kernelINS0_13select_configILj256ELj13ELNS0_17block_load_methodE3ELS4_3ELS4_3ELNS0_20block_scan_algorithmE0ELj4294967295EEENS1_25partition_config_selectorILNS1_17partition_subalgoE3EjNS0_10empty_typeEbEEZZNS1_14partition_implILS8_3ELb0ES6_jNS0_17counting_iteratorIjlEEPS9_SE_NS0_5tupleIJPjSE_EEENSF_IJSE_SE_EEES9_SG_JZNS1_25segmented_radix_sort_implINS0_14default_configELb1EPKsPsPKlPlN2at6native12_GLOBAL__N_18offset_tEEE10hipError_tPvRmT1_PNSt15iterator_traitsISY_E10value_typeET2_T3_PNSZ_IS14_E10value_typeET4_jRbjT5_S1A_jjP12ihipStream_tbEUljE_EEESV_SW_SX_S14_S18_S1A_T6_T7_T9_mT8_S1C_bDpT10_ENKUlT_T0_E_clISt17integral_constantIbLb1EES1P_EEDaS1K_S1L_EUlS1K_E_NS1_11comp_targetILNS1_3genE8ELNS1_11target_archE1030ELNS1_3gpuE2ELNS1_3repE0EEENS1_30default_config_static_selectorELNS0_4arch9wavefront6targetE1EEEvSY_.has_dyn_sized_stack, 0
	.set _ZN7rocprim17ROCPRIM_400000_NS6detail17trampoline_kernelINS0_13select_configILj256ELj13ELNS0_17block_load_methodE3ELS4_3ELS4_3ELNS0_20block_scan_algorithmE0ELj4294967295EEENS1_25partition_config_selectorILNS1_17partition_subalgoE3EjNS0_10empty_typeEbEEZZNS1_14partition_implILS8_3ELb0ES6_jNS0_17counting_iteratorIjlEEPS9_SE_NS0_5tupleIJPjSE_EEENSF_IJSE_SE_EEES9_SG_JZNS1_25segmented_radix_sort_implINS0_14default_configELb1EPKsPsPKlPlN2at6native12_GLOBAL__N_18offset_tEEE10hipError_tPvRmT1_PNSt15iterator_traitsISY_E10value_typeET2_T3_PNSZ_IS14_E10value_typeET4_jRbjT5_S1A_jjP12ihipStream_tbEUljE_EEESV_SW_SX_S14_S18_S1A_T6_T7_T9_mT8_S1C_bDpT10_ENKUlT_T0_E_clISt17integral_constantIbLb1EES1P_EEDaS1K_S1L_EUlS1K_E_NS1_11comp_targetILNS1_3genE8ELNS1_11target_archE1030ELNS1_3gpuE2ELNS1_3repE0EEENS1_30default_config_static_selectorELNS0_4arch9wavefront6targetE1EEEvSY_.has_recursion, 0
	.set _ZN7rocprim17ROCPRIM_400000_NS6detail17trampoline_kernelINS0_13select_configILj256ELj13ELNS0_17block_load_methodE3ELS4_3ELS4_3ELNS0_20block_scan_algorithmE0ELj4294967295EEENS1_25partition_config_selectorILNS1_17partition_subalgoE3EjNS0_10empty_typeEbEEZZNS1_14partition_implILS8_3ELb0ES6_jNS0_17counting_iteratorIjlEEPS9_SE_NS0_5tupleIJPjSE_EEENSF_IJSE_SE_EEES9_SG_JZNS1_25segmented_radix_sort_implINS0_14default_configELb1EPKsPsPKlPlN2at6native12_GLOBAL__N_18offset_tEEE10hipError_tPvRmT1_PNSt15iterator_traitsISY_E10value_typeET2_T3_PNSZ_IS14_E10value_typeET4_jRbjT5_S1A_jjP12ihipStream_tbEUljE_EEESV_SW_SX_S14_S18_S1A_T6_T7_T9_mT8_S1C_bDpT10_ENKUlT_T0_E_clISt17integral_constantIbLb1EES1P_EEDaS1K_S1L_EUlS1K_E_NS1_11comp_targetILNS1_3genE8ELNS1_11target_archE1030ELNS1_3gpuE2ELNS1_3repE0EEENS1_30default_config_static_selectorELNS0_4arch9wavefront6targetE1EEEvSY_.has_indirect_call, 0
	.section	.AMDGPU.csdata,"",@progbits
; Kernel info:
; codeLenInByte = 0
; TotalNumSgprs: 4
; NumVgprs: 0
; ScratchSize: 0
; MemoryBound: 0
; FloatMode: 240
; IeeeMode: 1
; LDSByteSize: 0 bytes/workgroup (compile time only)
; SGPRBlocks: 0
; VGPRBlocks: 0
; NumSGPRsForWavesPerEU: 4
; NumVGPRsForWavesPerEU: 1
; Occupancy: 10
; WaveLimiterHint : 0
; COMPUTE_PGM_RSRC2:SCRATCH_EN: 0
; COMPUTE_PGM_RSRC2:USER_SGPR: 6
; COMPUTE_PGM_RSRC2:TRAP_HANDLER: 0
; COMPUTE_PGM_RSRC2:TGID_X_EN: 1
; COMPUTE_PGM_RSRC2:TGID_Y_EN: 0
; COMPUTE_PGM_RSRC2:TGID_Z_EN: 0
; COMPUTE_PGM_RSRC2:TIDIG_COMP_CNT: 0
	.section	.text._ZN7rocprim17ROCPRIM_400000_NS6detail17trampoline_kernelINS0_13select_configILj256ELj13ELNS0_17block_load_methodE3ELS4_3ELS4_3ELNS0_20block_scan_algorithmE0ELj4294967295EEENS1_25partition_config_selectorILNS1_17partition_subalgoE3EjNS0_10empty_typeEbEEZZNS1_14partition_implILS8_3ELb0ES6_jNS0_17counting_iteratorIjlEEPS9_SE_NS0_5tupleIJPjSE_EEENSF_IJSE_SE_EEES9_SG_JZNS1_25segmented_radix_sort_implINS0_14default_configELb1EPKsPsPKlPlN2at6native12_GLOBAL__N_18offset_tEEE10hipError_tPvRmT1_PNSt15iterator_traitsISY_E10value_typeET2_T3_PNSZ_IS14_E10value_typeET4_jRbjT5_S1A_jjP12ihipStream_tbEUljE_EEESV_SW_SX_S14_S18_S1A_T6_T7_T9_mT8_S1C_bDpT10_ENKUlT_T0_E_clISt17integral_constantIbLb1EES1O_IbLb0EEEEDaS1K_S1L_EUlS1K_E_NS1_11comp_targetILNS1_3genE0ELNS1_11target_archE4294967295ELNS1_3gpuE0ELNS1_3repE0EEENS1_30default_config_static_selectorELNS0_4arch9wavefront6targetE1EEEvSY_,"axG",@progbits,_ZN7rocprim17ROCPRIM_400000_NS6detail17trampoline_kernelINS0_13select_configILj256ELj13ELNS0_17block_load_methodE3ELS4_3ELS4_3ELNS0_20block_scan_algorithmE0ELj4294967295EEENS1_25partition_config_selectorILNS1_17partition_subalgoE3EjNS0_10empty_typeEbEEZZNS1_14partition_implILS8_3ELb0ES6_jNS0_17counting_iteratorIjlEEPS9_SE_NS0_5tupleIJPjSE_EEENSF_IJSE_SE_EEES9_SG_JZNS1_25segmented_radix_sort_implINS0_14default_configELb1EPKsPsPKlPlN2at6native12_GLOBAL__N_18offset_tEEE10hipError_tPvRmT1_PNSt15iterator_traitsISY_E10value_typeET2_T3_PNSZ_IS14_E10value_typeET4_jRbjT5_S1A_jjP12ihipStream_tbEUljE_EEESV_SW_SX_S14_S18_S1A_T6_T7_T9_mT8_S1C_bDpT10_ENKUlT_T0_E_clISt17integral_constantIbLb1EES1O_IbLb0EEEEDaS1K_S1L_EUlS1K_E_NS1_11comp_targetILNS1_3genE0ELNS1_11target_archE4294967295ELNS1_3gpuE0ELNS1_3repE0EEENS1_30default_config_static_selectorELNS0_4arch9wavefront6targetE1EEEvSY_,comdat
	.globl	_ZN7rocprim17ROCPRIM_400000_NS6detail17trampoline_kernelINS0_13select_configILj256ELj13ELNS0_17block_load_methodE3ELS4_3ELS4_3ELNS0_20block_scan_algorithmE0ELj4294967295EEENS1_25partition_config_selectorILNS1_17partition_subalgoE3EjNS0_10empty_typeEbEEZZNS1_14partition_implILS8_3ELb0ES6_jNS0_17counting_iteratorIjlEEPS9_SE_NS0_5tupleIJPjSE_EEENSF_IJSE_SE_EEES9_SG_JZNS1_25segmented_radix_sort_implINS0_14default_configELb1EPKsPsPKlPlN2at6native12_GLOBAL__N_18offset_tEEE10hipError_tPvRmT1_PNSt15iterator_traitsISY_E10value_typeET2_T3_PNSZ_IS14_E10value_typeET4_jRbjT5_S1A_jjP12ihipStream_tbEUljE_EEESV_SW_SX_S14_S18_S1A_T6_T7_T9_mT8_S1C_bDpT10_ENKUlT_T0_E_clISt17integral_constantIbLb1EES1O_IbLb0EEEEDaS1K_S1L_EUlS1K_E_NS1_11comp_targetILNS1_3genE0ELNS1_11target_archE4294967295ELNS1_3gpuE0ELNS1_3repE0EEENS1_30default_config_static_selectorELNS0_4arch9wavefront6targetE1EEEvSY_ ; -- Begin function _ZN7rocprim17ROCPRIM_400000_NS6detail17trampoline_kernelINS0_13select_configILj256ELj13ELNS0_17block_load_methodE3ELS4_3ELS4_3ELNS0_20block_scan_algorithmE0ELj4294967295EEENS1_25partition_config_selectorILNS1_17partition_subalgoE3EjNS0_10empty_typeEbEEZZNS1_14partition_implILS8_3ELb0ES6_jNS0_17counting_iteratorIjlEEPS9_SE_NS0_5tupleIJPjSE_EEENSF_IJSE_SE_EEES9_SG_JZNS1_25segmented_radix_sort_implINS0_14default_configELb1EPKsPsPKlPlN2at6native12_GLOBAL__N_18offset_tEEE10hipError_tPvRmT1_PNSt15iterator_traitsISY_E10value_typeET2_T3_PNSZ_IS14_E10value_typeET4_jRbjT5_S1A_jjP12ihipStream_tbEUljE_EEESV_SW_SX_S14_S18_S1A_T6_T7_T9_mT8_S1C_bDpT10_ENKUlT_T0_E_clISt17integral_constantIbLb1EES1O_IbLb0EEEEDaS1K_S1L_EUlS1K_E_NS1_11comp_targetILNS1_3genE0ELNS1_11target_archE4294967295ELNS1_3gpuE0ELNS1_3repE0EEENS1_30default_config_static_selectorELNS0_4arch9wavefront6targetE1EEEvSY_
	.p2align	8
	.type	_ZN7rocprim17ROCPRIM_400000_NS6detail17trampoline_kernelINS0_13select_configILj256ELj13ELNS0_17block_load_methodE3ELS4_3ELS4_3ELNS0_20block_scan_algorithmE0ELj4294967295EEENS1_25partition_config_selectorILNS1_17partition_subalgoE3EjNS0_10empty_typeEbEEZZNS1_14partition_implILS8_3ELb0ES6_jNS0_17counting_iteratorIjlEEPS9_SE_NS0_5tupleIJPjSE_EEENSF_IJSE_SE_EEES9_SG_JZNS1_25segmented_radix_sort_implINS0_14default_configELb1EPKsPsPKlPlN2at6native12_GLOBAL__N_18offset_tEEE10hipError_tPvRmT1_PNSt15iterator_traitsISY_E10value_typeET2_T3_PNSZ_IS14_E10value_typeET4_jRbjT5_S1A_jjP12ihipStream_tbEUljE_EEESV_SW_SX_S14_S18_S1A_T6_T7_T9_mT8_S1C_bDpT10_ENKUlT_T0_E_clISt17integral_constantIbLb1EES1O_IbLb0EEEEDaS1K_S1L_EUlS1K_E_NS1_11comp_targetILNS1_3genE0ELNS1_11target_archE4294967295ELNS1_3gpuE0ELNS1_3repE0EEENS1_30default_config_static_selectorELNS0_4arch9wavefront6targetE1EEEvSY_,@function
_ZN7rocprim17ROCPRIM_400000_NS6detail17trampoline_kernelINS0_13select_configILj256ELj13ELNS0_17block_load_methodE3ELS4_3ELS4_3ELNS0_20block_scan_algorithmE0ELj4294967295EEENS1_25partition_config_selectorILNS1_17partition_subalgoE3EjNS0_10empty_typeEbEEZZNS1_14partition_implILS8_3ELb0ES6_jNS0_17counting_iteratorIjlEEPS9_SE_NS0_5tupleIJPjSE_EEENSF_IJSE_SE_EEES9_SG_JZNS1_25segmented_radix_sort_implINS0_14default_configELb1EPKsPsPKlPlN2at6native12_GLOBAL__N_18offset_tEEE10hipError_tPvRmT1_PNSt15iterator_traitsISY_E10value_typeET2_T3_PNSZ_IS14_E10value_typeET4_jRbjT5_S1A_jjP12ihipStream_tbEUljE_EEESV_SW_SX_S14_S18_S1A_T6_T7_T9_mT8_S1C_bDpT10_ENKUlT_T0_E_clISt17integral_constantIbLb1EES1O_IbLb0EEEEDaS1K_S1L_EUlS1K_E_NS1_11comp_targetILNS1_3genE0ELNS1_11target_archE4294967295ELNS1_3gpuE0ELNS1_3repE0EEENS1_30default_config_static_selectorELNS0_4arch9wavefront6targetE1EEEvSY_: ; @_ZN7rocprim17ROCPRIM_400000_NS6detail17trampoline_kernelINS0_13select_configILj256ELj13ELNS0_17block_load_methodE3ELS4_3ELS4_3ELNS0_20block_scan_algorithmE0ELj4294967295EEENS1_25partition_config_selectorILNS1_17partition_subalgoE3EjNS0_10empty_typeEbEEZZNS1_14partition_implILS8_3ELb0ES6_jNS0_17counting_iteratorIjlEEPS9_SE_NS0_5tupleIJPjSE_EEENSF_IJSE_SE_EEES9_SG_JZNS1_25segmented_radix_sort_implINS0_14default_configELb1EPKsPsPKlPlN2at6native12_GLOBAL__N_18offset_tEEE10hipError_tPvRmT1_PNSt15iterator_traitsISY_E10value_typeET2_T3_PNSZ_IS14_E10value_typeET4_jRbjT5_S1A_jjP12ihipStream_tbEUljE_EEESV_SW_SX_S14_S18_S1A_T6_T7_T9_mT8_S1C_bDpT10_ENKUlT_T0_E_clISt17integral_constantIbLb1EES1O_IbLb0EEEEDaS1K_S1L_EUlS1K_E_NS1_11comp_targetILNS1_3genE0ELNS1_11target_archE4294967295ELNS1_3gpuE0ELNS1_3repE0EEENS1_30default_config_static_selectorELNS0_4arch9wavefront6targetE1EEEvSY_
; %bb.0:
	.section	.rodata,"a",@progbits
	.p2align	6, 0x0
	.amdhsa_kernel _ZN7rocprim17ROCPRIM_400000_NS6detail17trampoline_kernelINS0_13select_configILj256ELj13ELNS0_17block_load_methodE3ELS4_3ELS4_3ELNS0_20block_scan_algorithmE0ELj4294967295EEENS1_25partition_config_selectorILNS1_17partition_subalgoE3EjNS0_10empty_typeEbEEZZNS1_14partition_implILS8_3ELb0ES6_jNS0_17counting_iteratorIjlEEPS9_SE_NS0_5tupleIJPjSE_EEENSF_IJSE_SE_EEES9_SG_JZNS1_25segmented_radix_sort_implINS0_14default_configELb1EPKsPsPKlPlN2at6native12_GLOBAL__N_18offset_tEEE10hipError_tPvRmT1_PNSt15iterator_traitsISY_E10value_typeET2_T3_PNSZ_IS14_E10value_typeET4_jRbjT5_S1A_jjP12ihipStream_tbEUljE_EEESV_SW_SX_S14_S18_S1A_T6_T7_T9_mT8_S1C_bDpT10_ENKUlT_T0_E_clISt17integral_constantIbLb1EES1O_IbLb0EEEEDaS1K_S1L_EUlS1K_E_NS1_11comp_targetILNS1_3genE0ELNS1_11target_archE4294967295ELNS1_3gpuE0ELNS1_3repE0EEENS1_30default_config_static_selectorELNS0_4arch9wavefront6targetE1EEEvSY_
		.amdhsa_group_segment_fixed_size 0
		.amdhsa_private_segment_fixed_size 0
		.amdhsa_kernarg_size 144
		.amdhsa_user_sgpr_count 6
		.amdhsa_user_sgpr_private_segment_buffer 1
		.amdhsa_user_sgpr_dispatch_ptr 0
		.amdhsa_user_sgpr_queue_ptr 0
		.amdhsa_user_sgpr_kernarg_segment_ptr 1
		.amdhsa_user_sgpr_dispatch_id 0
		.amdhsa_user_sgpr_flat_scratch_init 0
		.amdhsa_user_sgpr_private_segment_size 0
		.amdhsa_uses_dynamic_stack 0
		.amdhsa_system_sgpr_private_segment_wavefront_offset 0
		.amdhsa_system_sgpr_workgroup_id_x 1
		.amdhsa_system_sgpr_workgroup_id_y 0
		.amdhsa_system_sgpr_workgroup_id_z 0
		.amdhsa_system_sgpr_workgroup_info 0
		.amdhsa_system_vgpr_workitem_id 0
		.amdhsa_next_free_vgpr 1
		.amdhsa_next_free_sgpr 0
		.amdhsa_reserve_vcc 0
		.amdhsa_reserve_flat_scratch 0
		.amdhsa_float_round_mode_32 0
		.amdhsa_float_round_mode_16_64 0
		.amdhsa_float_denorm_mode_32 3
		.amdhsa_float_denorm_mode_16_64 3
		.amdhsa_dx10_clamp 1
		.amdhsa_ieee_mode 1
		.amdhsa_fp16_overflow 0
		.amdhsa_exception_fp_ieee_invalid_op 0
		.amdhsa_exception_fp_denorm_src 0
		.amdhsa_exception_fp_ieee_div_zero 0
		.amdhsa_exception_fp_ieee_overflow 0
		.amdhsa_exception_fp_ieee_underflow 0
		.amdhsa_exception_fp_ieee_inexact 0
		.amdhsa_exception_int_div_zero 0
	.end_amdhsa_kernel
	.section	.text._ZN7rocprim17ROCPRIM_400000_NS6detail17trampoline_kernelINS0_13select_configILj256ELj13ELNS0_17block_load_methodE3ELS4_3ELS4_3ELNS0_20block_scan_algorithmE0ELj4294967295EEENS1_25partition_config_selectorILNS1_17partition_subalgoE3EjNS0_10empty_typeEbEEZZNS1_14partition_implILS8_3ELb0ES6_jNS0_17counting_iteratorIjlEEPS9_SE_NS0_5tupleIJPjSE_EEENSF_IJSE_SE_EEES9_SG_JZNS1_25segmented_radix_sort_implINS0_14default_configELb1EPKsPsPKlPlN2at6native12_GLOBAL__N_18offset_tEEE10hipError_tPvRmT1_PNSt15iterator_traitsISY_E10value_typeET2_T3_PNSZ_IS14_E10value_typeET4_jRbjT5_S1A_jjP12ihipStream_tbEUljE_EEESV_SW_SX_S14_S18_S1A_T6_T7_T9_mT8_S1C_bDpT10_ENKUlT_T0_E_clISt17integral_constantIbLb1EES1O_IbLb0EEEEDaS1K_S1L_EUlS1K_E_NS1_11comp_targetILNS1_3genE0ELNS1_11target_archE4294967295ELNS1_3gpuE0ELNS1_3repE0EEENS1_30default_config_static_selectorELNS0_4arch9wavefront6targetE1EEEvSY_,"axG",@progbits,_ZN7rocprim17ROCPRIM_400000_NS6detail17trampoline_kernelINS0_13select_configILj256ELj13ELNS0_17block_load_methodE3ELS4_3ELS4_3ELNS0_20block_scan_algorithmE0ELj4294967295EEENS1_25partition_config_selectorILNS1_17partition_subalgoE3EjNS0_10empty_typeEbEEZZNS1_14partition_implILS8_3ELb0ES6_jNS0_17counting_iteratorIjlEEPS9_SE_NS0_5tupleIJPjSE_EEENSF_IJSE_SE_EEES9_SG_JZNS1_25segmented_radix_sort_implINS0_14default_configELb1EPKsPsPKlPlN2at6native12_GLOBAL__N_18offset_tEEE10hipError_tPvRmT1_PNSt15iterator_traitsISY_E10value_typeET2_T3_PNSZ_IS14_E10value_typeET4_jRbjT5_S1A_jjP12ihipStream_tbEUljE_EEESV_SW_SX_S14_S18_S1A_T6_T7_T9_mT8_S1C_bDpT10_ENKUlT_T0_E_clISt17integral_constantIbLb1EES1O_IbLb0EEEEDaS1K_S1L_EUlS1K_E_NS1_11comp_targetILNS1_3genE0ELNS1_11target_archE4294967295ELNS1_3gpuE0ELNS1_3repE0EEENS1_30default_config_static_selectorELNS0_4arch9wavefront6targetE1EEEvSY_,comdat
.Lfunc_end895:
	.size	_ZN7rocprim17ROCPRIM_400000_NS6detail17trampoline_kernelINS0_13select_configILj256ELj13ELNS0_17block_load_methodE3ELS4_3ELS4_3ELNS0_20block_scan_algorithmE0ELj4294967295EEENS1_25partition_config_selectorILNS1_17partition_subalgoE3EjNS0_10empty_typeEbEEZZNS1_14partition_implILS8_3ELb0ES6_jNS0_17counting_iteratorIjlEEPS9_SE_NS0_5tupleIJPjSE_EEENSF_IJSE_SE_EEES9_SG_JZNS1_25segmented_radix_sort_implINS0_14default_configELb1EPKsPsPKlPlN2at6native12_GLOBAL__N_18offset_tEEE10hipError_tPvRmT1_PNSt15iterator_traitsISY_E10value_typeET2_T3_PNSZ_IS14_E10value_typeET4_jRbjT5_S1A_jjP12ihipStream_tbEUljE_EEESV_SW_SX_S14_S18_S1A_T6_T7_T9_mT8_S1C_bDpT10_ENKUlT_T0_E_clISt17integral_constantIbLb1EES1O_IbLb0EEEEDaS1K_S1L_EUlS1K_E_NS1_11comp_targetILNS1_3genE0ELNS1_11target_archE4294967295ELNS1_3gpuE0ELNS1_3repE0EEENS1_30default_config_static_selectorELNS0_4arch9wavefront6targetE1EEEvSY_, .Lfunc_end895-_ZN7rocprim17ROCPRIM_400000_NS6detail17trampoline_kernelINS0_13select_configILj256ELj13ELNS0_17block_load_methodE3ELS4_3ELS4_3ELNS0_20block_scan_algorithmE0ELj4294967295EEENS1_25partition_config_selectorILNS1_17partition_subalgoE3EjNS0_10empty_typeEbEEZZNS1_14partition_implILS8_3ELb0ES6_jNS0_17counting_iteratorIjlEEPS9_SE_NS0_5tupleIJPjSE_EEENSF_IJSE_SE_EEES9_SG_JZNS1_25segmented_radix_sort_implINS0_14default_configELb1EPKsPsPKlPlN2at6native12_GLOBAL__N_18offset_tEEE10hipError_tPvRmT1_PNSt15iterator_traitsISY_E10value_typeET2_T3_PNSZ_IS14_E10value_typeET4_jRbjT5_S1A_jjP12ihipStream_tbEUljE_EEESV_SW_SX_S14_S18_S1A_T6_T7_T9_mT8_S1C_bDpT10_ENKUlT_T0_E_clISt17integral_constantIbLb1EES1O_IbLb0EEEEDaS1K_S1L_EUlS1K_E_NS1_11comp_targetILNS1_3genE0ELNS1_11target_archE4294967295ELNS1_3gpuE0ELNS1_3repE0EEENS1_30default_config_static_selectorELNS0_4arch9wavefront6targetE1EEEvSY_
                                        ; -- End function
	.set _ZN7rocprim17ROCPRIM_400000_NS6detail17trampoline_kernelINS0_13select_configILj256ELj13ELNS0_17block_load_methodE3ELS4_3ELS4_3ELNS0_20block_scan_algorithmE0ELj4294967295EEENS1_25partition_config_selectorILNS1_17partition_subalgoE3EjNS0_10empty_typeEbEEZZNS1_14partition_implILS8_3ELb0ES6_jNS0_17counting_iteratorIjlEEPS9_SE_NS0_5tupleIJPjSE_EEENSF_IJSE_SE_EEES9_SG_JZNS1_25segmented_radix_sort_implINS0_14default_configELb1EPKsPsPKlPlN2at6native12_GLOBAL__N_18offset_tEEE10hipError_tPvRmT1_PNSt15iterator_traitsISY_E10value_typeET2_T3_PNSZ_IS14_E10value_typeET4_jRbjT5_S1A_jjP12ihipStream_tbEUljE_EEESV_SW_SX_S14_S18_S1A_T6_T7_T9_mT8_S1C_bDpT10_ENKUlT_T0_E_clISt17integral_constantIbLb1EES1O_IbLb0EEEEDaS1K_S1L_EUlS1K_E_NS1_11comp_targetILNS1_3genE0ELNS1_11target_archE4294967295ELNS1_3gpuE0ELNS1_3repE0EEENS1_30default_config_static_selectorELNS0_4arch9wavefront6targetE1EEEvSY_.num_vgpr, 0
	.set _ZN7rocprim17ROCPRIM_400000_NS6detail17trampoline_kernelINS0_13select_configILj256ELj13ELNS0_17block_load_methodE3ELS4_3ELS4_3ELNS0_20block_scan_algorithmE0ELj4294967295EEENS1_25partition_config_selectorILNS1_17partition_subalgoE3EjNS0_10empty_typeEbEEZZNS1_14partition_implILS8_3ELb0ES6_jNS0_17counting_iteratorIjlEEPS9_SE_NS0_5tupleIJPjSE_EEENSF_IJSE_SE_EEES9_SG_JZNS1_25segmented_radix_sort_implINS0_14default_configELb1EPKsPsPKlPlN2at6native12_GLOBAL__N_18offset_tEEE10hipError_tPvRmT1_PNSt15iterator_traitsISY_E10value_typeET2_T3_PNSZ_IS14_E10value_typeET4_jRbjT5_S1A_jjP12ihipStream_tbEUljE_EEESV_SW_SX_S14_S18_S1A_T6_T7_T9_mT8_S1C_bDpT10_ENKUlT_T0_E_clISt17integral_constantIbLb1EES1O_IbLb0EEEEDaS1K_S1L_EUlS1K_E_NS1_11comp_targetILNS1_3genE0ELNS1_11target_archE4294967295ELNS1_3gpuE0ELNS1_3repE0EEENS1_30default_config_static_selectorELNS0_4arch9wavefront6targetE1EEEvSY_.num_agpr, 0
	.set _ZN7rocprim17ROCPRIM_400000_NS6detail17trampoline_kernelINS0_13select_configILj256ELj13ELNS0_17block_load_methodE3ELS4_3ELS4_3ELNS0_20block_scan_algorithmE0ELj4294967295EEENS1_25partition_config_selectorILNS1_17partition_subalgoE3EjNS0_10empty_typeEbEEZZNS1_14partition_implILS8_3ELb0ES6_jNS0_17counting_iteratorIjlEEPS9_SE_NS0_5tupleIJPjSE_EEENSF_IJSE_SE_EEES9_SG_JZNS1_25segmented_radix_sort_implINS0_14default_configELb1EPKsPsPKlPlN2at6native12_GLOBAL__N_18offset_tEEE10hipError_tPvRmT1_PNSt15iterator_traitsISY_E10value_typeET2_T3_PNSZ_IS14_E10value_typeET4_jRbjT5_S1A_jjP12ihipStream_tbEUljE_EEESV_SW_SX_S14_S18_S1A_T6_T7_T9_mT8_S1C_bDpT10_ENKUlT_T0_E_clISt17integral_constantIbLb1EES1O_IbLb0EEEEDaS1K_S1L_EUlS1K_E_NS1_11comp_targetILNS1_3genE0ELNS1_11target_archE4294967295ELNS1_3gpuE0ELNS1_3repE0EEENS1_30default_config_static_selectorELNS0_4arch9wavefront6targetE1EEEvSY_.numbered_sgpr, 0
	.set _ZN7rocprim17ROCPRIM_400000_NS6detail17trampoline_kernelINS0_13select_configILj256ELj13ELNS0_17block_load_methodE3ELS4_3ELS4_3ELNS0_20block_scan_algorithmE0ELj4294967295EEENS1_25partition_config_selectorILNS1_17partition_subalgoE3EjNS0_10empty_typeEbEEZZNS1_14partition_implILS8_3ELb0ES6_jNS0_17counting_iteratorIjlEEPS9_SE_NS0_5tupleIJPjSE_EEENSF_IJSE_SE_EEES9_SG_JZNS1_25segmented_radix_sort_implINS0_14default_configELb1EPKsPsPKlPlN2at6native12_GLOBAL__N_18offset_tEEE10hipError_tPvRmT1_PNSt15iterator_traitsISY_E10value_typeET2_T3_PNSZ_IS14_E10value_typeET4_jRbjT5_S1A_jjP12ihipStream_tbEUljE_EEESV_SW_SX_S14_S18_S1A_T6_T7_T9_mT8_S1C_bDpT10_ENKUlT_T0_E_clISt17integral_constantIbLb1EES1O_IbLb0EEEEDaS1K_S1L_EUlS1K_E_NS1_11comp_targetILNS1_3genE0ELNS1_11target_archE4294967295ELNS1_3gpuE0ELNS1_3repE0EEENS1_30default_config_static_selectorELNS0_4arch9wavefront6targetE1EEEvSY_.num_named_barrier, 0
	.set _ZN7rocprim17ROCPRIM_400000_NS6detail17trampoline_kernelINS0_13select_configILj256ELj13ELNS0_17block_load_methodE3ELS4_3ELS4_3ELNS0_20block_scan_algorithmE0ELj4294967295EEENS1_25partition_config_selectorILNS1_17partition_subalgoE3EjNS0_10empty_typeEbEEZZNS1_14partition_implILS8_3ELb0ES6_jNS0_17counting_iteratorIjlEEPS9_SE_NS0_5tupleIJPjSE_EEENSF_IJSE_SE_EEES9_SG_JZNS1_25segmented_radix_sort_implINS0_14default_configELb1EPKsPsPKlPlN2at6native12_GLOBAL__N_18offset_tEEE10hipError_tPvRmT1_PNSt15iterator_traitsISY_E10value_typeET2_T3_PNSZ_IS14_E10value_typeET4_jRbjT5_S1A_jjP12ihipStream_tbEUljE_EEESV_SW_SX_S14_S18_S1A_T6_T7_T9_mT8_S1C_bDpT10_ENKUlT_T0_E_clISt17integral_constantIbLb1EES1O_IbLb0EEEEDaS1K_S1L_EUlS1K_E_NS1_11comp_targetILNS1_3genE0ELNS1_11target_archE4294967295ELNS1_3gpuE0ELNS1_3repE0EEENS1_30default_config_static_selectorELNS0_4arch9wavefront6targetE1EEEvSY_.private_seg_size, 0
	.set _ZN7rocprim17ROCPRIM_400000_NS6detail17trampoline_kernelINS0_13select_configILj256ELj13ELNS0_17block_load_methodE3ELS4_3ELS4_3ELNS0_20block_scan_algorithmE0ELj4294967295EEENS1_25partition_config_selectorILNS1_17partition_subalgoE3EjNS0_10empty_typeEbEEZZNS1_14partition_implILS8_3ELb0ES6_jNS0_17counting_iteratorIjlEEPS9_SE_NS0_5tupleIJPjSE_EEENSF_IJSE_SE_EEES9_SG_JZNS1_25segmented_radix_sort_implINS0_14default_configELb1EPKsPsPKlPlN2at6native12_GLOBAL__N_18offset_tEEE10hipError_tPvRmT1_PNSt15iterator_traitsISY_E10value_typeET2_T3_PNSZ_IS14_E10value_typeET4_jRbjT5_S1A_jjP12ihipStream_tbEUljE_EEESV_SW_SX_S14_S18_S1A_T6_T7_T9_mT8_S1C_bDpT10_ENKUlT_T0_E_clISt17integral_constantIbLb1EES1O_IbLb0EEEEDaS1K_S1L_EUlS1K_E_NS1_11comp_targetILNS1_3genE0ELNS1_11target_archE4294967295ELNS1_3gpuE0ELNS1_3repE0EEENS1_30default_config_static_selectorELNS0_4arch9wavefront6targetE1EEEvSY_.uses_vcc, 0
	.set _ZN7rocprim17ROCPRIM_400000_NS6detail17trampoline_kernelINS0_13select_configILj256ELj13ELNS0_17block_load_methodE3ELS4_3ELS4_3ELNS0_20block_scan_algorithmE0ELj4294967295EEENS1_25partition_config_selectorILNS1_17partition_subalgoE3EjNS0_10empty_typeEbEEZZNS1_14partition_implILS8_3ELb0ES6_jNS0_17counting_iteratorIjlEEPS9_SE_NS0_5tupleIJPjSE_EEENSF_IJSE_SE_EEES9_SG_JZNS1_25segmented_radix_sort_implINS0_14default_configELb1EPKsPsPKlPlN2at6native12_GLOBAL__N_18offset_tEEE10hipError_tPvRmT1_PNSt15iterator_traitsISY_E10value_typeET2_T3_PNSZ_IS14_E10value_typeET4_jRbjT5_S1A_jjP12ihipStream_tbEUljE_EEESV_SW_SX_S14_S18_S1A_T6_T7_T9_mT8_S1C_bDpT10_ENKUlT_T0_E_clISt17integral_constantIbLb1EES1O_IbLb0EEEEDaS1K_S1L_EUlS1K_E_NS1_11comp_targetILNS1_3genE0ELNS1_11target_archE4294967295ELNS1_3gpuE0ELNS1_3repE0EEENS1_30default_config_static_selectorELNS0_4arch9wavefront6targetE1EEEvSY_.uses_flat_scratch, 0
	.set _ZN7rocprim17ROCPRIM_400000_NS6detail17trampoline_kernelINS0_13select_configILj256ELj13ELNS0_17block_load_methodE3ELS4_3ELS4_3ELNS0_20block_scan_algorithmE0ELj4294967295EEENS1_25partition_config_selectorILNS1_17partition_subalgoE3EjNS0_10empty_typeEbEEZZNS1_14partition_implILS8_3ELb0ES6_jNS0_17counting_iteratorIjlEEPS9_SE_NS0_5tupleIJPjSE_EEENSF_IJSE_SE_EEES9_SG_JZNS1_25segmented_radix_sort_implINS0_14default_configELb1EPKsPsPKlPlN2at6native12_GLOBAL__N_18offset_tEEE10hipError_tPvRmT1_PNSt15iterator_traitsISY_E10value_typeET2_T3_PNSZ_IS14_E10value_typeET4_jRbjT5_S1A_jjP12ihipStream_tbEUljE_EEESV_SW_SX_S14_S18_S1A_T6_T7_T9_mT8_S1C_bDpT10_ENKUlT_T0_E_clISt17integral_constantIbLb1EES1O_IbLb0EEEEDaS1K_S1L_EUlS1K_E_NS1_11comp_targetILNS1_3genE0ELNS1_11target_archE4294967295ELNS1_3gpuE0ELNS1_3repE0EEENS1_30default_config_static_selectorELNS0_4arch9wavefront6targetE1EEEvSY_.has_dyn_sized_stack, 0
	.set _ZN7rocprim17ROCPRIM_400000_NS6detail17trampoline_kernelINS0_13select_configILj256ELj13ELNS0_17block_load_methodE3ELS4_3ELS4_3ELNS0_20block_scan_algorithmE0ELj4294967295EEENS1_25partition_config_selectorILNS1_17partition_subalgoE3EjNS0_10empty_typeEbEEZZNS1_14partition_implILS8_3ELb0ES6_jNS0_17counting_iteratorIjlEEPS9_SE_NS0_5tupleIJPjSE_EEENSF_IJSE_SE_EEES9_SG_JZNS1_25segmented_radix_sort_implINS0_14default_configELb1EPKsPsPKlPlN2at6native12_GLOBAL__N_18offset_tEEE10hipError_tPvRmT1_PNSt15iterator_traitsISY_E10value_typeET2_T3_PNSZ_IS14_E10value_typeET4_jRbjT5_S1A_jjP12ihipStream_tbEUljE_EEESV_SW_SX_S14_S18_S1A_T6_T7_T9_mT8_S1C_bDpT10_ENKUlT_T0_E_clISt17integral_constantIbLb1EES1O_IbLb0EEEEDaS1K_S1L_EUlS1K_E_NS1_11comp_targetILNS1_3genE0ELNS1_11target_archE4294967295ELNS1_3gpuE0ELNS1_3repE0EEENS1_30default_config_static_selectorELNS0_4arch9wavefront6targetE1EEEvSY_.has_recursion, 0
	.set _ZN7rocprim17ROCPRIM_400000_NS6detail17trampoline_kernelINS0_13select_configILj256ELj13ELNS0_17block_load_methodE3ELS4_3ELS4_3ELNS0_20block_scan_algorithmE0ELj4294967295EEENS1_25partition_config_selectorILNS1_17partition_subalgoE3EjNS0_10empty_typeEbEEZZNS1_14partition_implILS8_3ELb0ES6_jNS0_17counting_iteratorIjlEEPS9_SE_NS0_5tupleIJPjSE_EEENSF_IJSE_SE_EEES9_SG_JZNS1_25segmented_radix_sort_implINS0_14default_configELb1EPKsPsPKlPlN2at6native12_GLOBAL__N_18offset_tEEE10hipError_tPvRmT1_PNSt15iterator_traitsISY_E10value_typeET2_T3_PNSZ_IS14_E10value_typeET4_jRbjT5_S1A_jjP12ihipStream_tbEUljE_EEESV_SW_SX_S14_S18_S1A_T6_T7_T9_mT8_S1C_bDpT10_ENKUlT_T0_E_clISt17integral_constantIbLb1EES1O_IbLb0EEEEDaS1K_S1L_EUlS1K_E_NS1_11comp_targetILNS1_3genE0ELNS1_11target_archE4294967295ELNS1_3gpuE0ELNS1_3repE0EEENS1_30default_config_static_selectorELNS0_4arch9wavefront6targetE1EEEvSY_.has_indirect_call, 0
	.section	.AMDGPU.csdata,"",@progbits
; Kernel info:
; codeLenInByte = 0
; TotalNumSgprs: 4
; NumVgprs: 0
; ScratchSize: 0
; MemoryBound: 0
; FloatMode: 240
; IeeeMode: 1
; LDSByteSize: 0 bytes/workgroup (compile time only)
; SGPRBlocks: 0
; VGPRBlocks: 0
; NumSGPRsForWavesPerEU: 4
; NumVGPRsForWavesPerEU: 1
; Occupancy: 10
; WaveLimiterHint : 0
; COMPUTE_PGM_RSRC2:SCRATCH_EN: 0
; COMPUTE_PGM_RSRC2:USER_SGPR: 6
; COMPUTE_PGM_RSRC2:TRAP_HANDLER: 0
; COMPUTE_PGM_RSRC2:TGID_X_EN: 1
; COMPUTE_PGM_RSRC2:TGID_Y_EN: 0
; COMPUTE_PGM_RSRC2:TGID_Z_EN: 0
; COMPUTE_PGM_RSRC2:TIDIG_COMP_CNT: 0
	.section	.text._ZN7rocprim17ROCPRIM_400000_NS6detail17trampoline_kernelINS0_13select_configILj256ELj13ELNS0_17block_load_methodE3ELS4_3ELS4_3ELNS0_20block_scan_algorithmE0ELj4294967295EEENS1_25partition_config_selectorILNS1_17partition_subalgoE3EjNS0_10empty_typeEbEEZZNS1_14partition_implILS8_3ELb0ES6_jNS0_17counting_iteratorIjlEEPS9_SE_NS0_5tupleIJPjSE_EEENSF_IJSE_SE_EEES9_SG_JZNS1_25segmented_radix_sort_implINS0_14default_configELb1EPKsPsPKlPlN2at6native12_GLOBAL__N_18offset_tEEE10hipError_tPvRmT1_PNSt15iterator_traitsISY_E10value_typeET2_T3_PNSZ_IS14_E10value_typeET4_jRbjT5_S1A_jjP12ihipStream_tbEUljE_EEESV_SW_SX_S14_S18_S1A_T6_T7_T9_mT8_S1C_bDpT10_ENKUlT_T0_E_clISt17integral_constantIbLb1EES1O_IbLb0EEEEDaS1K_S1L_EUlS1K_E_NS1_11comp_targetILNS1_3genE5ELNS1_11target_archE942ELNS1_3gpuE9ELNS1_3repE0EEENS1_30default_config_static_selectorELNS0_4arch9wavefront6targetE1EEEvSY_,"axG",@progbits,_ZN7rocprim17ROCPRIM_400000_NS6detail17trampoline_kernelINS0_13select_configILj256ELj13ELNS0_17block_load_methodE3ELS4_3ELS4_3ELNS0_20block_scan_algorithmE0ELj4294967295EEENS1_25partition_config_selectorILNS1_17partition_subalgoE3EjNS0_10empty_typeEbEEZZNS1_14partition_implILS8_3ELb0ES6_jNS0_17counting_iteratorIjlEEPS9_SE_NS0_5tupleIJPjSE_EEENSF_IJSE_SE_EEES9_SG_JZNS1_25segmented_radix_sort_implINS0_14default_configELb1EPKsPsPKlPlN2at6native12_GLOBAL__N_18offset_tEEE10hipError_tPvRmT1_PNSt15iterator_traitsISY_E10value_typeET2_T3_PNSZ_IS14_E10value_typeET4_jRbjT5_S1A_jjP12ihipStream_tbEUljE_EEESV_SW_SX_S14_S18_S1A_T6_T7_T9_mT8_S1C_bDpT10_ENKUlT_T0_E_clISt17integral_constantIbLb1EES1O_IbLb0EEEEDaS1K_S1L_EUlS1K_E_NS1_11comp_targetILNS1_3genE5ELNS1_11target_archE942ELNS1_3gpuE9ELNS1_3repE0EEENS1_30default_config_static_selectorELNS0_4arch9wavefront6targetE1EEEvSY_,comdat
	.globl	_ZN7rocprim17ROCPRIM_400000_NS6detail17trampoline_kernelINS0_13select_configILj256ELj13ELNS0_17block_load_methodE3ELS4_3ELS4_3ELNS0_20block_scan_algorithmE0ELj4294967295EEENS1_25partition_config_selectorILNS1_17partition_subalgoE3EjNS0_10empty_typeEbEEZZNS1_14partition_implILS8_3ELb0ES6_jNS0_17counting_iteratorIjlEEPS9_SE_NS0_5tupleIJPjSE_EEENSF_IJSE_SE_EEES9_SG_JZNS1_25segmented_radix_sort_implINS0_14default_configELb1EPKsPsPKlPlN2at6native12_GLOBAL__N_18offset_tEEE10hipError_tPvRmT1_PNSt15iterator_traitsISY_E10value_typeET2_T3_PNSZ_IS14_E10value_typeET4_jRbjT5_S1A_jjP12ihipStream_tbEUljE_EEESV_SW_SX_S14_S18_S1A_T6_T7_T9_mT8_S1C_bDpT10_ENKUlT_T0_E_clISt17integral_constantIbLb1EES1O_IbLb0EEEEDaS1K_S1L_EUlS1K_E_NS1_11comp_targetILNS1_3genE5ELNS1_11target_archE942ELNS1_3gpuE9ELNS1_3repE0EEENS1_30default_config_static_selectorELNS0_4arch9wavefront6targetE1EEEvSY_ ; -- Begin function _ZN7rocprim17ROCPRIM_400000_NS6detail17trampoline_kernelINS0_13select_configILj256ELj13ELNS0_17block_load_methodE3ELS4_3ELS4_3ELNS0_20block_scan_algorithmE0ELj4294967295EEENS1_25partition_config_selectorILNS1_17partition_subalgoE3EjNS0_10empty_typeEbEEZZNS1_14partition_implILS8_3ELb0ES6_jNS0_17counting_iteratorIjlEEPS9_SE_NS0_5tupleIJPjSE_EEENSF_IJSE_SE_EEES9_SG_JZNS1_25segmented_radix_sort_implINS0_14default_configELb1EPKsPsPKlPlN2at6native12_GLOBAL__N_18offset_tEEE10hipError_tPvRmT1_PNSt15iterator_traitsISY_E10value_typeET2_T3_PNSZ_IS14_E10value_typeET4_jRbjT5_S1A_jjP12ihipStream_tbEUljE_EEESV_SW_SX_S14_S18_S1A_T6_T7_T9_mT8_S1C_bDpT10_ENKUlT_T0_E_clISt17integral_constantIbLb1EES1O_IbLb0EEEEDaS1K_S1L_EUlS1K_E_NS1_11comp_targetILNS1_3genE5ELNS1_11target_archE942ELNS1_3gpuE9ELNS1_3repE0EEENS1_30default_config_static_selectorELNS0_4arch9wavefront6targetE1EEEvSY_
	.p2align	8
	.type	_ZN7rocprim17ROCPRIM_400000_NS6detail17trampoline_kernelINS0_13select_configILj256ELj13ELNS0_17block_load_methodE3ELS4_3ELS4_3ELNS0_20block_scan_algorithmE0ELj4294967295EEENS1_25partition_config_selectorILNS1_17partition_subalgoE3EjNS0_10empty_typeEbEEZZNS1_14partition_implILS8_3ELb0ES6_jNS0_17counting_iteratorIjlEEPS9_SE_NS0_5tupleIJPjSE_EEENSF_IJSE_SE_EEES9_SG_JZNS1_25segmented_radix_sort_implINS0_14default_configELb1EPKsPsPKlPlN2at6native12_GLOBAL__N_18offset_tEEE10hipError_tPvRmT1_PNSt15iterator_traitsISY_E10value_typeET2_T3_PNSZ_IS14_E10value_typeET4_jRbjT5_S1A_jjP12ihipStream_tbEUljE_EEESV_SW_SX_S14_S18_S1A_T6_T7_T9_mT8_S1C_bDpT10_ENKUlT_T0_E_clISt17integral_constantIbLb1EES1O_IbLb0EEEEDaS1K_S1L_EUlS1K_E_NS1_11comp_targetILNS1_3genE5ELNS1_11target_archE942ELNS1_3gpuE9ELNS1_3repE0EEENS1_30default_config_static_selectorELNS0_4arch9wavefront6targetE1EEEvSY_,@function
_ZN7rocprim17ROCPRIM_400000_NS6detail17trampoline_kernelINS0_13select_configILj256ELj13ELNS0_17block_load_methodE3ELS4_3ELS4_3ELNS0_20block_scan_algorithmE0ELj4294967295EEENS1_25partition_config_selectorILNS1_17partition_subalgoE3EjNS0_10empty_typeEbEEZZNS1_14partition_implILS8_3ELb0ES6_jNS0_17counting_iteratorIjlEEPS9_SE_NS0_5tupleIJPjSE_EEENSF_IJSE_SE_EEES9_SG_JZNS1_25segmented_radix_sort_implINS0_14default_configELb1EPKsPsPKlPlN2at6native12_GLOBAL__N_18offset_tEEE10hipError_tPvRmT1_PNSt15iterator_traitsISY_E10value_typeET2_T3_PNSZ_IS14_E10value_typeET4_jRbjT5_S1A_jjP12ihipStream_tbEUljE_EEESV_SW_SX_S14_S18_S1A_T6_T7_T9_mT8_S1C_bDpT10_ENKUlT_T0_E_clISt17integral_constantIbLb1EES1O_IbLb0EEEEDaS1K_S1L_EUlS1K_E_NS1_11comp_targetILNS1_3genE5ELNS1_11target_archE942ELNS1_3gpuE9ELNS1_3repE0EEENS1_30default_config_static_selectorELNS0_4arch9wavefront6targetE1EEEvSY_: ; @_ZN7rocprim17ROCPRIM_400000_NS6detail17trampoline_kernelINS0_13select_configILj256ELj13ELNS0_17block_load_methodE3ELS4_3ELS4_3ELNS0_20block_scan_algorithmE0ELj4294967295EEENS1_25partition_config_selectorILNS1_17partition_subalgoE3EjNS0_10empty_typeEbEEZZNS1_14partition_implILS8_3ELb0ES6_jNS0_17counting_iteratorIjlEEPS9_SE_NS0_5tupleIJPjSE_EEENSF_IJSE_SE_EEES9_SG_JZNS1_25segmented_radix_sort_implINS0_14default_configELb1EPKsPsPKlPlN2at6native12_GLOBAL__N_18offset_tEEE10hipError_tPvRmT1_PNSt15iterator_traitsISY_E10value_typeET2_T3_PNSZ_IS14_E10value_typeET4_jRbjT5_S1A_jjP12ihipStream_tbEUljE_EEESV_SW_SX_S14_S18_S1A_T6_T7_T9_mT8_S1C_bDpT10_ENKUlT_T0_E_clISt17integral_constantIbLb1EES1O_IbLb0EEEEDaS1K_S1L_EUlS1K_E_NS1_11comp_targetILNS1_3genE5ELNS1_11target_archE942ELNS1_3gpuE9ELNS1_3repE0EEENS1_30default_config_static_selectorELNS0_4arch9wavefront6targetE1EEEvSY_
; %bb.0:
	.section	.rodata,"a",@progbits
	.p2align	6, 0x0
	.amdhsa_kernel _ZN7rocprim17ROCPRIM_400000_NS6detail17trampoline_kernelINS0_13select_configILj256ELj13ELNS0_17block_load_methodE3ELS4_3ELS4_3ELNS0_20block_scan_algorithmE0ELj4294967295EEENS1_25partition_config_selectorILNS1_17partition_subalgoE3EjNS0_10empty_typeEbEEZZNS1_14partition_implILS8_3ELb0ES6_jNS0_17counting_iteratorIjlEEPS9_SE_NS0_5tupleIJPjSE_EEENSF_IJSE_SE_EEES9_SG_JZNS1_25segmented_radix_sort_implINS0_14default_configELb1EPKsPsPKlPlN2at6native12_GLOBAL__N_18offset_tEEE10hipError_tPvRmT1_PNSt15iterator_traitsISY_E10value_typeET2_T3_PNSZ_IS14_E10value_typeET4_jRbjT5_S1A_jjP12ihipStream_tbEUljE_EEESV_SW_SX_S14_S18_S1A_T6_T7_T9_mT8_S1C_bDpT10_ENKUlT_T0_E_clISt17integral_constantIbLb1EES1O_IbLb0EEEEDaS1K_S1L_EUlS1K_E_NS1_11comp_targetILNS1_3genE5ELNS1_11target_archE942ELNS1_3gpuE9ELNS1_3repE0EEENS1_30default_config_static_selectorELNS0_4arch9wavefront6targetE1EEEvSY_
		.amdhsa_group_segment_fixed_size 0
		.amdhsa_private_segment_fixed_size 0
		.amdhsa_kernarg_size 144
		.amdhsa_user_sgpr_count 6
		.amdhsa_user_sgpr_private_segment_buffer 1
		.amdhsa_user_sgpr_dispatch_ptr 0
		.amdhsa_user_sgpr_queue_ptr 0
		.amdhsa_user_sgpr_kernarg_segment_ptr 1
		.amdhsa_user_sgpr_dispatch_id 0
		.amdhsa_user_sgpr_flat_scratch_init 0
		.amdhsa_user_sgpr_private_segment_size 0
		.amdhsa_uses_dynamic_stack 0
		.amdhsa_system_sgpr_private_segment_wavefront_offset 0
		.amdhsa_system_sgpr_workgroup_id_x 1
		.amdhsa_system_sgpr_workgroup_id_y 0
		.amdhsa_system_sgpr_workgroup_id_z 0
		.amdhsa_system_sgpr_workgroup_info 0
		.amdhsa_system_vgpr_workitem_id 0
		.amdhsa_next_free_vgpr 1
		.amdhsa_next_free_sgpr 0
		.amdhsa_reserve_vcc 0
		.amdhsa_reserve_flat_scratch 0
		.amdhsa_float_round_mode_32 0
		.amdhsa_float_round_mode_16_64 0
		.amdhsa_float_denorm_mode_32 3
		.amdhsa_float_denorm_mode_16_64 3
		.amdhsa_dx10_clamp 1
		.amdhsa_ieee_mode 1
		.amdhsa_fp16_overflow 0
		.amdhsa_exception_fp_ieee_invalid_op 0
		.amdhsa_exception_fp_denorm_src 0
		.amdhsa_exception_fp_ieee_div_zero 0
		.amdhsa_exception_fp_ieee_overflow 0
		.amdhsa_exception_fp_ieee_underflow 0
		.amdhsa_exception_fp_ieee_inexact 0
		.amdhsa_exception_int_div_zero 0
	.end_amdhsa_kernel
	.section	.text._ZN7rocprim17ROCPRIM_400000_NS6detail17trampoline_kernelINS0_13select_configILj256ELj13ELNS0_17block_load_methodE3ELS4_3ELS4_3ELNS0_20block_scan_algorithmE0ELj4294967295EEENS1_25partition_config_selectorILNS1_17partition_subalgoE3EjNS0_10empty_typeEbEEZZNS1_14partition_implILS8_3ELb0ES6_jNS0_17counting_iteratorIjlEEPS9_SE_NS0_5tupleIJPjSE_EEENSF_IJSE_SE_EEES9_SG_JZNS1_25segmented_radix_sort_implINS0_14default_configELb1EPKsPsPKlPlN2at6native12_GLOBAL__N_18offset_tEEE10hipError_tPvRmT1_PNSt15iterator_traitsISY_E10value_typeET2_T3_PNSZ_IS14_E10value_typeET4_jRbjT5_S1A_jjP12ihipStream_tbEUljE_EEESV_SW_SX_S14_S18_S1A_T6_T7_T9_mT8_S1C_bDpT10_ENKUlT_T0_E_clISt17integral_constantIbLb1EES1O_IbLb0EEEEDaS1K_S1L_EUlS1K_E_NS1_11comp_targetILNS1_3genE5ELNS1_11target_archE942ELNS1_3gpuE9ELNS1_3repE0EEENS1_30default_config_static_selectorELNS0_4arch9wavefront6targetE1EEEvSY_,"axG",@progbits,_ZN7rocprim17ROCPRIM_400000_NS6detail17trampoline_kernelINS0_13select_configILj256ELj13ELNS0_17block_load_methodE3ELS4_3ELS4_3ELNS0_20block_scan_algorithmE0ELj4294967295EEENS1_25partition_config_selectorILNS1_17partition_subalgoE3EjNS0_10empty_typeEbEEZZNS1_14partition_implILS8_3ELb0ES6_jNS0_17counting_iteratorIjlEEPS9_SE_NS0_5tupleIJPjSE_EEENSF_IJSE_SE_EEES9_SG_JZNS1_25segmented_radix_sort_implINS0_14default_configELb1EPKsPsPKlPlN2at6native12_GLOBAL__N_18offset_tEEE10hipError_tPvRmT1_PNSt15iterator_traitsISY_E10value_typeET2_T3_PNSZ_IS14_E10value_typeET4_jRbjT5_S1A_jjP12ihipStream_tbEUljE_EEESV_SW_SX_S14_S18_S1A_T6_T7_T9_mT8_S1C_bDpT10_ENKUlT_T0_E_clISt17integral_constantIbLb1EES1O_IbLb0EEEEDaS1K_S1L_EUlS1K_E_NS1_11comp_targetILNS1_3genE5ELNS1_11target_archE942ELNS1_3gpuE9ELNS1_3repE0EEENS1_30default_config_static_selectorELNS0_4arch9wavefront6targetE1EEEvSY_,comdat
.Lfunc_end896:
	.size	_ZN7rocprim17ROCPRIM_400000_NS6detail17trampoline_kernelINS0_13select_configILj256ELj13ELNS0_17block_load_methodE3ELS4_3ELS4_3ELNS0_20block_scan_algorithmE0ELj4294967295EEENS1_25partition_config_selectorILNS1_17partition_subalgoE3EjNS0_10empty_typeEbEEZZNS1_14partition_implILS8_3ELb0ES6_jNS0_17counting_iteratorIjlEEPS9_SE_NS0_5tupleIJPjSE_EEENSF_IJSE_SE_EEES9_SG_JZNS1_25segmented_radix_sort_implINS0_14default_configELb1EPKsPsPKlPlN2at6native12_GLOBAL__N_18offset_tEEE10hipError_tPvRmT1_PNSt15iterator_traitsISY_E10value_typeET2_T3_PNSZ_IS14_E10value_typeET4_jRbjT5_S1A_jjP12ihipStream_tbEUljE_EEESV_SW_SX_S14_S18_S1A_T6_T7_T9_mT8_S1C_bDpT10_ENKUlT_T0_E_clISt17integral_constantIbLb1EES1O_IbLb0EEEEDaS1K_S1L_EUlS1K_E_NS1_11comp_targetILNS1_3genE5ELNS1_11target_archE942ELNS1_3gpuE9ELNS1_3repE0EEENS1_30default_config_static_selectorELNS0_4arch9wavefront6targetE1EEEvSY_, .Lfunc_end896-_ZN7rocprim17ROCPRIM_400000_NS6detail17trampoline_kernelINS0_13select_configILj256ELj13ELNS0_17block_load_methodE3ELS4_3ELS4_3ELNS0_20block_scan_algorithmE0ELj4294967295EEENS1_25partition_config_selectorILNS1_17partition_subalgoE3EjNS0_10empty_typeEbEEZZNS1_14partition_implILS8_3ELb0ES6_jNS0_17counting_iteratorIjlEEPS9_SE_NS0_5tupleIJPjSE_EEENSF_IJSE_SE_EEES9_SG_JZNS1_25segmented_radix_sort_implINS0_14default_configELb1EPKsPsPKlPlN2at6native12_GLOBAL__N_18offset_tEEE10hipError_tPvRmT1_PNSt15iterator_traitsISY_E10value_typeET2_T3_PNSZ_IS14_E10value_typeET4_jRbjT5_S1A_jjP12ihipStream_tbEUljE_EEESV_SW_SX_S14_S18_S1A_T6_T7_T9_mT8_S1C_bDpT10_ENKUlT_T0_E_clISt17integral_constantIbLb1EES1O_IbLb0EEEEDaS1K_S1L_EUlS1K_E_NS1_11comp_targetILNS1_3genE5ELNS1_11target_archE942ELNS1_3gpuE9ELNS1_3repE0EEENS1_30default_config_static_selectorELNS0_4arch9wavefront6targetE1EEEvSY_
                                        ; -- End function
	.set _ZN7rocprim17ROCPRIM_400000_NS6detail17trampoline_kernelINS0_13select_configILj256ELj13ELNS0_17block_load_methodE3ELS4_3ELS4_3ELNS0_20block_scan_algorithmE0ELj4294967295EEENS1_25partition_config_selectorILNS1_17partition_subalgoE3EjNS0_10empty_typeEbEEZZNS1_14partition_implILS8_3ELb0ES6_jNS0_17counting_iteratorIjlEEPS9_SE_NS0_5tupleIJPjSE_EEENSF_IJSE_SE_EEES9_SG_JZNS1_25segmented_radix_sort_implINS0_14default_configELb1EPKsPsPKlPlN2at6native12_GLOBAL__N_18offset_tEEE10hipError_tPvRmT1_PNSt15iterator_traitsISY_E10value_typeET2_T3_PNSZ_IS14_E10value_typeET4_jRbjT5_S1A_jjP12ihipStream_tbEUljE_EEESV_SW_SX_S14_S18_S1A_T6_T7_T9_mT8_S1C_bDpT10_ENKUlT_T0_E_clISt17integral_constantIbLb1EES1O_IbLb0EEEEDaS1K_S1L_EUlS1K_E_NS1_11comp_targetILNS1_3genE5ELNS1_11target_archE942ELNS1_3gpuE9ELNS1_3repE0EEENS1_30default_config_static_selectorELNS0_4arch9wavefront6targetE1EEEvSY_.num_vgpr, 0
	.set _ZN7rocprim17ROCPRIM_400000_NS6detail17trampoline_kernelINS0_13select_configILj256ELj13ELNS0_17block_load_methodE3ELS4_3ELS4_3ELNS0_20block_scan_algorithmE0ELj4294967295EEENS1_25partition_config_selectorILNS1_17partition_subalgoE3EjNS0_10empty_typeEbEEZZNS1_14partition_implILS8_3ELb0ES6_jNS0_17counting_iteratorIjlEEPS9_SE_NS0_5tupleIJPjSE_EEENSF_IJSE_SE_EEES9_SG_JZNS1_25segmented_radix_sort_implINS0_14default_configELb1EPKsPsPKlPlN2at6native12_GLOBAL__N_18offset_tEEE10hipError_tPvRmT1_PNSt15iterator_traitsISY_E10value_typeET2_T3_PNSZ_IS14_E10value_typeET4_jRbjT5_S1A_jjP12ihipStream_tbEUljE_EEESV_SW_SX_S14_S18_S1A_T6_T7_T9_mT8_S1C_bDpT10_ENKUlT_T0_E_clISt17integral_constantIbLb1EES1O_IbLb0EEEEDaS1K_S1L_EUlS1K_E_NS1_11comp_targetILNS1_3genE5ELNS1_11target_archE942ELNS1_3gpuE9ELNS1_3repE0EEENS1_30default_config_static_selectorELNS0_4arch9wavefront6targetE1EEEvSY_.num_agpr, 0
	.set _ZN7rocprim17ROCPRIM_400000_NS6detail17trampoline_kernelINS0_13select_configILj256ELj13ELNS0_17block_load_methodE3ELS4_3ELS4_3ELNS0_20block_scan_algorithmE0ELj4294967295EEENS1_25partition_config_selectorILNS1_17partition_subalgoE3EjNS0_10empty_typeEbEEZZNS1_14partition_implILS8_3ELb0ES6_jNS0_17counting_iteratorIjlEEPS9_SE_NS0_5tupleIJPjSE_EEENSF_IJSE_SE_EEES9_SG_JZNS1_25segmented_radix_sort_implINS0_14default_configELb1EPKsPsPKlPlN2at6native12_GLOBAL__N_18offset_tEEE10hipError_tPvRmT1_PNSt15iterator_traitsISY_E10value_typeET2_T3_PNSZ_IS14_E10value_typeET4_jRbjT5_S1A_jjP12ihipStream_tbEUljE_EEESV_SW_SX_S14_S18_S1A_T6_T7_T9_mT8_S1C_bDpT10_ENKUlT_T0_E_clISt17integral_constantIbLb1EES1O_IbLb0EEEEDaS1K_S1L_EUlS1K_E_NS1_11comp_targetILNS1_3genE5ELNS1_11target_archE942ELNS1_3gpuE9ELNS1_3repE0EEENS1_30default_config_static_selectorELNS0_4arch9wavefront6targetE1EEEvSY_.numbered_sgpr, 0
	.set _ZN7rocprim17ROCPRIM_400000_NS6detail17trampoline_kernelINS0_13select_configILj256ELj13ELNS0_17block_load_methodE3ELS4_3ELS4_3ELNS0_20block_scan_algorithmE0ELj4294967295EEENS1_25partition_config_selectorILNS1_17partition_subalgoE3EjNS0_10empty_typeEbEEZZNS1_14partition_implILS8_3ELb0ES6_jNS0_17counting_iteratorIjlEEPS9_SE_NS0_5tupleIJPjSE_EEENSF_IJSE_SE_EEES9_SG_JZNS1_25segmented_radix_sort_implINS0_14default_configELb1EPKsPsPKlPlN2at6native12_GLOBAL__N_18offset_tEEE10hipError_tPvRmT1_PNSt15iterator_traitsISY_E10value_typeET2_T3_PNSZ_IS14_E10value_typeET4_jRbjT5_S1A_jjP12ihipStream_tbEUljE_EEESV_SW_SX_S14_S18_S1A_T6_T7_T9_mT8_S1C_bDpT10_ENKUlT_T0_E_clISt17integral_constantIbLb1EES1O_IbLb0EEEEDaS1K_S1L_EUlS1K_E_NS1_11comp_targetILNS1_3genE5ELNS1_11target_archE942ELNS1_3gpuE9ELNS1_3repE0EEENS1_30default_config_static_selectorELNS0_4arch9wavefront6targetE1EEEvSY_.num_named_barrier, 0
	.set _ZN7rocprim17ROCPRIM_400000_NS6detail17trampoline_kernelINS0_13select_configILj256ELj13ELNS0_17block_load_methodE3ELS4_3ELS4_3ELNS0_20block_scan_algorithmE0ELj4294967295EEENS1_25partition_config_selectorILNS1_17partition_subalgoE3EjNS0_10empty_typeEbEEZZNS1_14partition_implILS8_3ELb0ES6_jNS0_17counting_iteratorIjlEEPS9_SE_NS0_5tupleIJPjSE_EEENSF_IJSE_SE_EEES9_SG_JZNS1_25segmented_radix_sort_implINS0_14default_configELb1EPKsPsPKlPlN2at6native12_GLOBAL__N_18offset_tEEE10hipError_tPvRmT1_PNSt15iterator_traitsISY_E10value_typeET2_T3_PNSZ_IS14_E10value_typeET4_jRbjT5_S1A_jjP12ihipStream_tbEUljE_EEESV_SW_SX_S14_S18_S1A_T6_T7_T9_mT8_S1C_bDpT10_ENKUlT_T0_E_clISt17integral_constantIbLb1EES1O_IbLb0EEEEDaS1K_S1L_EUlS1K_E_NS1_11comp_targetILNS1_3genE5ELNS1_11target_archE942ELNS1_3gpuE9ELNS1_3repE0EEENS1_30default_config_static_selectorELNS0_4arch9wavefront6targetE1EEEvSY_.private_seg_size, 0
	.set _ZN7rocprim17ROCPRIM_400000_NS6detail17trampoline_kernelINS0_13select_configILj256ELj13ELNS0_17block_load_methodE3ELS4_3ELS4_3ELNS0_20block_scan_algorithmE0ELj4294967295EEENS1_25partition_config_selectorILNS1_17partition_subalgoE3EjNS0_10empty_typeEbEEZZNS1_14partition_implILS8_3ELb0ES6_jNS0_17counting_iteratorIjlEEPS9_SE_NS0_5tupleIJPjSE_EEENSF_IJSE_SE_EEES9_SG_JZNS1_25segmented_radix_sort_implINS0_14default_configELb1EPKsPsPKlPlN2at6native12_GLOBAL__N_18offset_tEEE10hipError_tPvRmT1_PNSt15iterator_traitsISY_E10value_typeET2_T3_PNSZ_IS14_E10value_typeET4_jRbjT5_S1A_jjP12ihipStream_tbEUljE_EEESV_SW_SX_S14_S18_S1A_T6_T7_T9_mT8_S1C_bDpT10_ENKUlT_T0_E_clISt17integral_constantIbLb1EES1O_IbLb0EEEEDaS1K_S1L_EUlS1K_E_NS1_11comp_targetILNS1_3genE5ELNS1_11target_archE942ELNS1_3gpuE9ELNS1_3repE0EEENS1_30default_config_static_selectorELNS0_4arch9wavefront6targetE1EEEvSY_.uses_vcc, 0
	.set _ZN7rocprim17ROCPRIM_400000_NS6detail17trampoline_kernelINS0_13select_configILj256ELj13ELNS0_17block_load_methodE3ELS4_3ELS4_3ELNS0_20block_scan_algorithmE0ELj4294967295EEENS1_25partition_config_selectorILNS1_17partition_subalgoE3EjNS0_10empty_typeEbEEZZNS1_14partition_implILS8_3ELb0ES6_jNS0_17counting_iteratorIjlEEPS9_SE_NS0_5tupleIJPjSE_EEENSF_IJSE_SE_EEES9_SG_JZNS1_25segmented_radix_sort_implINS0_14default_configELb1EPKsPsPKlPlN2at6native12_GLOBAL__N_18offset_tEEE10hipError_tPvRmT1_PNSt15iterator_traitsISY_E10value_typeET2_T3_PNSZ_IS14_E10value_typeET4_jRbjT5_S1A_jjP12ihipStream_tbEUljE_EEESV_SW_SX_S14_S18_S1A_T6_T7_T9_mT8_S1C_bDpT10_ENKUlT_T0_E_clISt17integral_constantIbLb1EES1O_IbLb0EEEEDaS1K_S1L_EUlS1K_E_NS1_11comp_targetILNS1_3genE5ELNS1_11target_archE942ELNS1_3gpuE9ELNS1_3repE0EEENS1_30default_config_static_selectorELNS0_4arch9wavefront6targetE1EEEvSY_.uses_flat_scratch, 0
	.set _ZN7rocprim17ROCPRIM_400000_NS6detail17trampoline_kernelINS0_13select_configILj256ELj13ELNS0_17block_load_methodE3ELS4_3ELS4_3ELNS0_20block_scan_algorithmE0ELj4294967295EEENS1_25partition_config_selectorILNS1_17partition_subalgoE3EjNS0_10empty_typeEbEEZZNS1_14partition_implILS8_3ELb0ES6_jNS0_17counting_iteratorIjlEEPS9_SE_NS0_5tupleIJPjSE_EEENSF_IJSE_SE_EEES9_SG_JZNS1_25segmented_radix_sort_implINS0_14default_configELb1EPKsPsPKlPlN2at6native12_GLOBAL__N_18offset_tEEE10hipError_tPvRmT1_PNSt15iterator_traitsISY_E10value_typeET2_T3_PNSZ_IS14_E10value_typeET4_jRbjT5_S1A_jjP12ihipStream_tbEUljE_EEESV_SW_SX_S14_S18_S1A_T6_T7_T9_mT8_S1C_bDpT10_ENKUlT_T0_E_clISt17integral_constantIbLb1EES1O_IbLb0EEEEDaS1K_S1L_EUlS1K_E_NS1_11comp_targetILNS1_3genE5ELNS1_11target_archE942ELNS1_3gpuE9ELNS1_3repE0EEENS1_30default_config_static_selectorELNS0_4arch9wavefront6targetE1EEEvSY_.has_dyn_sized_stack, 0
	.set _ZN7rocprim17ROCPRIM_400000_NS6detail17trampoline_kernelINS0_13select_configILj256ELj13ELNS0_17block_load_methodE3ELS4_3ELS4_3ELNS0_20block_scan_algorithmE0ELj4294967295EEENS1_25partition_config_selectorILNS1_17partition_subalgoE3EjNS0_10empty_typeEbEEZZNS1_14partition_implILS8_3ELb0ES6_jNS0_17counting_iteratorIjlEEPS9_SE_NS0_5tupleIJPjSE_EEENSF_IJSE_SE_EEES9_SG_JZNS1_25segmented_radix_sort_implINS0_14default_configELb1EPKsPsPKlPlN2at6native12_GLOBAL__N_18offset_tEEE10hipError_tPvRmT1_PNSt15iterator_traitsISY_E10value_typeET2_T3_PNSZ_IS14_E10value_typeET4_jRbjT5_S1A_jjP12ihipStream_tbEUljE_EEESV_SW_SX_S14_S18_S1A_T6_T7_T9_mT8_S1C_bDpT10_ENKUlT_T0_E_clISt17integral_constantIbLb1EES1O_IbLb0EEEEDaS1K_S1L_EUlS1K_E_NS1_11comp_targetILNS1_3genE5ELNS1_11target_archE942ELNS1_3gpuE9ELNS1_3repE0EEENS1_30default_config_static_selectorELNS0_4arch9wavefront6targetE1EEEvSY_.has_recursion, 0
	.set _ZN7rocprim17ROCPRIM_400000_NS6detail17trampoline_kernelINS0_13select_configILj256ELj13ELNS0_17block_load_methodE3ELS4_3ELS4_3ELNS0_20block_scan_algorithmE0ELj4294967295EEENS1_25partition_config_selectorILNS1_17partition_subalgoE3EjNS0_10empty_typeEbEEZZNS1_14partition_implILS8_3ELb0ES6_jNS0_17counting_iteratorIjlEEPS9_SE_NS0_5tupleIJPjSE_EEENSF_IJSE_SE_EEES9_SG_JZNS1_25segmented_radix_sort_implINS0_14default_configELb1EPKsPsPKlPlN2at6native12_GLOBAL__N_18offset_tEEE10hipError_tPvRmT1_PNSt15iterator_traitsISY_E10value_typeET2_T3_PNSZ_IS14_E10value_typeET4_jRbjT5_S1A_jjP12ihipStream_tbEUljE_EEESV_SW_SX_S14_S18_S1A_T6_T7_T9_mT8_S1C_bDpT10_ENKUlT_T0_E_clISt17integral_constantIbLb1EES1O_IbLb0EEEEDaS1K_S1L_EUlS1K_E_NS1_11comp_targetILNS1_3genE5ELNS1_11target_archE942ELNS1_3gpuE9ELNS1_3repE0EEENS1_30default_config_static_selectorELNS0_4arch9wavefront6targetE1EEEvSY_.has_indirect_call, 0
	.section	.AMDGPU.csdata,"",@progbits
; Kernel info:
; codeLenInByte = 0
; TotalNumSgprs: 4
; NumVgprs: 0
; ScratchSize: 0
; MemoryBound: 0
; FloatMode: 240
; IeeeMode: 1
; LDSByteSize: 0 bytes/workgroup (compile time only)
; SGPRBlocks: 0
; VGPRBlocks: 0
; NumSGPRsForWavesPerEU: 4
; NumVGPRsForWavesPerEU: 1
; Occupancy: 10
; WaveLimiterHint : 0
; COMPUTE_PGM_RSRC2:SCRATCH_EN: 0
; COMPUTE_PGM_RSRC2:USER_SGPR: 6
; COMPUTE_PGM_RSRC2:TRAP_HANDLER: 0
; COMPUTE_PGM_RSRC2:TGID_X_EN: 1
; COMPUTE_PGM_RSRC2:TGID_Y_EN: 0
; COMPUTE_PGM_RSRC2:TGID_Z_EN: 0
; COMPUTE_PGM_RSRC2:TIDIG_COMP_CNT: 0
	.section	.text._ZN7rocprim17ROCPRIM_400000_NS6detail17trampoline_kernelINS0_13select_configILj256ELj13ELNS0_17block_load_methodE3ELS4_3ELS4_3ELNS0_20block_scan_algorithmE0ELj4294967295EEENS1_25partition_config_selectorILNS1_17partition_subalgoE3EjNS0_10empty_typeEbEEZZNS1_14partition_implILS8_3ELb0ES6_jNS0_17counting_iteratorIjlEEPS9_SE_NS0_5tupleIJPjSE_EEENSF_IJSE_SE_EEES9_SG_JZNS1_25segmented_radix_sort_implINS0_14default_configELb1EPKsPsPKlPlN2at6native12_GLOBAL__N_18offset_tEEE10hipError_tPvRmT1_PNSt15iterator_traitsISY_E10value_typeET2_T3_PNSZ_IS14_E10value_typeET4_jRbjT5_S1A_jjP12ihipStream_tbEUljE_EEESV_SW_SX_S14_S18_S1A_T6_T7_T9_mT8_S1C_bDpT10_ENKUlT_T0_E_clISt17integral_constantIbLb1EES1O_IbLb0EEEEDaS1K_S1L_EUlS1K_E_NS1_11comp_targetILNS1_3genE4ELNS1_11target_archE910ELNS1_3gpuE8ELNS1_3repE0EEENS1_30default_config_static_selectorELNS0_4arch9wavefront6targetE1EEEvSY_,"axG",@progbits,_ZN7rocprim17ROCPRIM_400000_NS6detail17trampoline_kernelINS0_13select_configILj256ELj13ELNS0_17block_load_methodE3ELS4_3ELS4_3ELNS0_20block_scan_algorithmE0ELj4294967295EEENS1_25partition_config_selectorILNS1_17partition_subalgoE3EjNS0_10empty_typeEbEEZZNS1_14partition_implILS8_3ELb0ES6_jNS0_17counting_iteratorIjlEEPS9_SE_NS0_5tupleIJPjSE_EEENSF_IJSE_SE_EEES9_SG_JZNS1_25segmented_radix_sort_implINS0_14default_configELb1EPKsPsPKlPlN2at6native12_GLOBAL__N_18offset_tEEE10hipError_tPvRmT1_PNSt15iterator_traitsISY_E10value_typeET2_T3_PNSZ_IS14_E10value_typeET4_jRbjT5_S1A_jjP12ihipStream_tbEUljE_EEESV_SW_SX_S14_S18_S1A_T6_T7_T9_mT8_S1C_bDpT10_ENKUlT_T0_E_clISt17integral_constantIbLb1EES1O_IbLb0EEEEDaS1K_S1L_EUlS1K_E_NS1_11comp_targetILNS1_3genE4ELNS1_11target_archE910ELNS1_3gpuE8ELNS1_3repE0EEENS1_30default_config_static_selectorELNS0_4arch9wavefront6targetE1EEEvSY_,comdat
	.globl	_ZN7rocprim17ROCPRIM_400000_NS6detail17trampoline_kernelINS0_13select_configILj256ELj13ELNS0_17block_load_methodE3ELS4_3ELS4_3ELNS0_20block_scan_algorithmE0ELj4294967295EEENS1_25partition_config_selectorILNS1_17partition_subalgoE3EjNS0_10empty_typeEbEEZZNS1_14partition_implILS8_3ELb0ES6_jNS0_17counting_iteratorIjlEEPS9_SE_NS0_5tupleIJPjSE_EEENSF_IJSE_SE_EEES9_SG_JZNS1_25segmented_radix_sort_implINS0_14default_configELb1EPKsPsPKlPlN2at6native12_GLOBAL__N_18offset_tEEE10hipError_tPvRmT1_PNSt15iterator_traitsISY_E10value_typeET2_T3_PNSZ_IS14_E10value_typeET4_jRbjT5_S1A_jjP12ihipStream_tbEUljE_EEESV_SW_SX_S14_S18_S1A_T6_T7_T9_mT8_S1C_bDpT10_ENKUlT_T0_E_clISt17integral_constantIbLb1EES1O_IbLb0EEEEDaS1K_S1L_EUlS1K_E_NS1_11comp_targetILNS1_3genE4ELNS1_11target_archE910ELNS1_3gpuE8ELNS1_3repE0EEENS1_30default_config_static_selectorELNS0_4arch9wavefront6targetE1EEEvSY_ ; -- Begin function _ZN7rocprim17ROCPRIM_400000_NS6detail17trampoline_kernelINS0_13select_configILj256ELj13ELNS0_17block_load_methodE3ELS4_3ELS4_3ELNS0_20block_scan_algorithmE0ELj4294967295EEENS1_25partition_config_selectorILNS1_17partition_subalgoE3EjNS0_10empty_typeEbEEZZNS1_14partition_implILS8_3ELb0ES6_jNS0_17counting_iteratorIjlEEPS9_SE_NS0_5tupleIJPjSE_EEENSF_IJSE_SE_EEES9_SG_JZNS1_25segmented_radix_sort_implINS0_14default_configELb1EPKsPsPKlPlN2at6native12_GLOBAL__N_18offset_tEEE10hipError_tPvRmT1_PNSt15iterator_traitsISY_E10value_typeET2_T3_PNSZ_IS14_E10value_typeET4_jRbjT5_S1A_jjP12ihipStream_tbEUljE_EEESV_SW_SX_S14_S18_S1A_T6_T7_T9_mT8_S1C_bDpT10_ENKUlT_T0_E_clISt17integral_constantIbLb1EES1O_IbLb0EEEEDaS1K_S1L_EUlS1K_E_NS1_11comp_targetILNS1_3genE4ELNS1_11target_archE910ELNS1_3gpuE8ELNS1_3repE0EEENS1_30default_config_static_selectorELNS0_4arch9wavefront6targetE1EEEvSY_
	.p2align	8
	.type	_ZN7rocprim17ROCPRIM_400000_NS6detail17trampoline_kernelINS0_13select_configILj256ELj13ELNS0_17block_load_methodE3ELS4_3ELS4_3ELNS0_20block_scan_algorithmE0ELj4294967295EEENS1_25partition_config_selectorILNS1_17partition_subalgoE3EjNS0_10empty_typeEbEEZZNS1_14partition_implILS8_3ELb0ES6_jNS0_17counting_iteratorIjlEEPS9_SE_NS0_5tupleIJPjSE_EEENSF_IJSE_SE_EEES9_SG_JZNS1_25segmented_radix_sort_implINS0_14default_configELb1EPKsPsPKlPlN2at6native12_GLOBAL__N_18offset_tEEE10hipError_tPvRmT1_PNSt15iterator_traitsISY_E10value_typeET2_T3_PNSZ_IS14_E10value_typeET4_jRbjT5_S1A_jjP12ihipStream_tbEUljE_EEESV_SW_SX_S14_S18_S1A_T6_T7_T9_mT8_S1C_bDpT10_ENKUlT_T0_E_clISt17integral_constantIbLb1EES1O_IbLb0EEEEDaS1K_S1L_EUlS1K_E_NS1_11comp_targetILNS1_3genE4ELNS1_11target_archE910ELNS1_3gpuE8ELNS1_3repE0EEENS1_30default_config_static_selectorELNS0_4arch9wavefront6targetE1EEEvSY_,@function
_ZN7rocprim17ROCPRIM_400000_NS6detail17trampoline_kernelINS0_13select_configILj256ELj13ELNS0_17block_load_methodE3ELS4_3ELS4_3ELNS0_20block_scan_algorithmE0ELj4294967295EEENS1_25partition_config_selectorILNS1_17partition_subalgoE3EjNS0_10empty_typeEbEEZZNS1_14partition_implILS8_3ELb0ES6_jNS0_17counting_iteratorIjlEEPS9_SE_NS0_5tupleIJPjSE_EEENSF_IJSE_SE_EEES9_SG_JZNS1_25segmented_radix_sort_implINS0_14default_configELb1EPKsPsPKlPlN2at6native12_GLOBAL__N_18offset_tEEE10hipError_tPvRmT1_PNSt15iterator_traitsISY_E10value_typeET2_T3_PNSZ_IS14_E10value_typeET4_jRbjT5_S1A_jjP12ihipStream_tbEUljE_EEESV_SW_SX_S14_S18_S1A_T6_T7_T9_mT8_S1C_bDpT10_ENKUlT_T0_E_clISt17integral_constantIbLb1EES1O_IbLb0EEEEDaS1K_S1L_EUlS1K_E_NS1_11comp_targetILNS1_3genE4ELNS1_11target_archE910ELNS1_3gpuE8ELNS1_3repE0EEENS1_30default_config_static_selectorELNS0_4arch9wavefront6targetE1EEEvSY_: ; @_ZN7rocprim17ROCPRIM_400000_NS6detail17trampoline_kernelINS0_13select_configILj256ELj13ELNS0_17block_load_methodE3ELS4_3ELS4_3ELNS0_20block_scan_algorithmE0ELj4294967295EEENS1_25partition_config_selectorILNS1_17partition_subalgoE3EjNS0_10empty_typeEbEEZZNS1_14partition_implILS8_3ELb0ES6_jNS0_17counting_iteratorIjlEEPS9_SE_NS0_5tupleIJPjSE_EEENSF_IJSE_SE_EEES9_SG_JZNS1_25segmented_radix_sort_implINS0_14default_configELb1EPKsPsPKlPlN2at6native12_GLOBAL__N_18offset_tEEE10hipError_tPvRmT1_PNSt15iterator_traitsISY_E10value_typeET2_T3_PNSZ_IS14_E10value_typeET4_jRbjT5_S1A_jjP12ihipStream_tbEUljE_EEESV_SW_SX_S14_S18_S1A_T6_T7_T9_mT8_S1C_bDpT10_ENKUlT_T0_E_clISt17integral_constantIbLb1EES1O_IbLb0EEEEDaS1K_S1L_EUlS1K_E_NS1_11comp_targetILNS1_3genE4ELNS1_11target_archE910ELNS1_3gpuE8ELNS1_3repE0EEENS1_30default_config_static_selectorELNS0_4arch9wavefront6targetE1EEEvSY_
; %bb.0:
	.section	.rodata,"a",@progbits
	.p2align	6, 0x0
	.amdhsa_kernel _ZN7rocprim17ROCPRIM_400000_NS6detail17trampoline_kernelINS0_13select_configILj256ELj13ELNS0_17block_load_methodE3ELS4_3ELS4_3ELNS0_20block_scan_algorithmE0ELj4294967295EEENS1_25partition_config_selectorILNS1_17partition_subalgoE3EjNS0_10empty_typeEbEEZZNS1_14partition_implILS8_3ELb0ES6_jNS0_17counting_iteratorIjlEEPS9_SE_NS0_5tupleIJPjSE_EEENSF_IJSE_SE_EEES9_SG_JZNS1_25segmented_radix_sort_implINS0_14default_configELb1EPKsPsPKlPlN2at6native12_GLOBAL__N_18offset_tEEE10hipError_tPvRmT1_PNSt15iterator_traitsISY_E10value_typeET2_T3_PNSZ_IS14_E10value_typeET4_jRbjT5_S1A_jjP12ihipStream_tbEUljE_EEESV_SW_SX_S14_S18_S1A_T6_T7_T9_mT8_S1C_bDpT10_ENKUlT_T0_E_clISt17integral_constantIbLb1EES1O_IbLb0EEEEDaS1K_S1L_EUlS1K_E_NS1_11comp_targetILNS1_3genE4ELNS1_11target_archE910ELNS1_3gpuE8ELNS1_3repE0EEENS1_30default_config_static_selectorELNS0_4arch9wavefront6targetE1EEEvSY_
		.amdhsa_group_segment_fixed_size 0
		.amdhsa_private_segment_fixed_size 0
		.amdhsa_kernarg_size 144
		.amdhsa_user_sgpr_count 6
		.amdhsa_user_sgpr_private_segment_buffer 1
		.amdhsa_user_sgpr_dispatch_ptr 0
		.amdhsa_user_sgpr_queue_ptr 0
		.amdhsa_user_sgpr_kernarg_segment_ptr 1
		.amdhsa_user_sgpr_dispatch_id 0
		.amdhsa_user_sgpr_flat_scratch_init 0
		.amdhsa_user_sgpr_private_segment_size 0
		.amdhsa_uses_dynamic_stack 0
		.amdhsa_system_sgpr_private_segment_wavefront_offset 0
		.amdhsa_system_sgpr_workgroup_id_x 1
		.amdhsa_system_sgpr_workgroup_id_y 0
		.amdhsa_system_sgpr_workgroup_id_z 0
		.amdhsa_system_sgpr_workgroup_info 0
		.amdhsa_system_vgpr_workitem_id 0
		.amdhsa_next_free_vgpr 1
		.amdhsa_next_free_sgpr 0
		.amdhsa_reserve_vcc 0
		.amdhsa_reserve_flat_scratch 0
		.amdhsa_float_round_mode_32 0
		.amdhsa_float_round_mode_16_64 0
		.amdhsa_float_denorm_mode_32 3
		.amdhsa_float_denorm_mode_16_64 3
		.amdhsa_dx10_clamp 1
		.amdhsa_ieee_mode 1
		.amdhsa_fp16_overflow 0
		.amdhsa_exception_fp_ieee_invalid_op 0
		.amdhsa_exception_fp_denorm_src 0
		.amdhsa_exception_fp_ieee_div_zero 0
		.amdhsa_exception_fp_ieee_overflow 0
		.amdhsa_exception_fp_ieee_underflow 0
		.amdhsa_exception_fp_ieee_inexact 0
		.amdhsa_exception_int_div_zero 0
	.end_amdhsa_kernel
	.section	.text._ZN7rocprim17ROCPRIM_400000_NS6detail17trampoline_kernelINS0_13select_configILj256ELj13ELNS0_17block_load_methodE3ELS4_3ELS4_3ELNS0_20block_scan_algorithmE0ELj4294967295EEENS1_25partition_config_selectorILNS1_17partition_subalgoE3EjNS0_10empty_typeEbEEZZNS1_14partition_implILS8_3ELb0ES6_jNS0_17counting_iteratorIjlEEPS9_SE_NS0_5tupleIJPjSE_EEENSF_IJSE_SE_EEES9_SG_JZNS1_25segmented_radix_sort_implINS0_14default_configELb1EPKsPsPKlPlN2at6native12_GLOBAL__N_18offset_tEEE10hipError_tPvRmT1_PNSt15iterator_traitsISY_E10value_typeET2_T3_PNSZ_IS14_E10value_typeET4_jRbjT5_S1A_jjP12ihipStream_tbEUljE_EEESV_SW_SX_S14_S18_S1A_T6_T7_T9_mT8_S1C_bDpT10_ENKUlT_T0_E_clISt17integral_constantIbLb1EES1O_IbLb0EEEEDaS1K_S1L_EUlS1K_E_NS1_11comp_targetILNS1_3genE4ELNS1_11target_archE910ELNS1_3gpuE8ELNS1_3repE0EEENS1_30default_config_static_selectorELNS0_4arch9wavefront6targetE1EEEvSY_,"axG",@progbits,_ZN7rocprim17ROCPRIM_400000_NS6detail17trampoline_kernelINS0_13select_configILj256ELj13ELNS0_17block_load_methodE3ELS4_3ELS4_3ELNS0_20block_scan_algorithmE0ELj4294967295EEENS1_25partition_config_selectorILNS1_17partition_subalgoE3EjNS0_10empty_typeEbEEZZNS1_14partition_implILS8_3ELb0ES6_jNS0_17counting_iteratorIjlEEPS9_SE_NS0_5tupleIJPjSE_EEENSF_IJSE_SE_EEES9_SG_JZNS1_25segmented_radix_sort_implINS0_14default_configELb1EPKsPsPKlPlN2at6native12_GLOBAL__N_18offset_tEEE10hipError_tPvRmT1_PNSt15iterator_traitsISY_E10value_typeET2_T3_PNSZ_IS14_E10value_typeET4_jRbjT5_S1A_jjP12ihipStream_tbEUljE_EEESV_SW_SX_S14_S18_S1A_T6_T7_T9_mT8_S1C_bDpT10_ENKUlT_T0_E_clISt17integral_constantIbLb1EES1O_IbLb0EEEEDaS1K_S1L_EUlS1K_E_NS1_11comp_targetILNS1_3genE4ELNS1_11target_archE910ELNS1_3gpuE8ELNS1_3repE0EEENS1_30default_config_static_selectorELNS0_4arch9wavefront6targetE1EEEvSY_,comdat
.Lfunc_end897:
	.size	_ZN7rocprim17ROCPRIM_400000_NS6detail17trampoline_kernelINS0_13select_configILj256ELj13ELNS0_17block_load_methodE3ELS4_3ELS4_3ELNS0_20block_scan_algorithmE0ELj4294967295EEENS1_25partition_config_selectorILNS1_17partition_subalgoE3EjNS0_10empty_typeEbEEZZNS1_14partition_implILS8_3ELb0ES6_jNS0_17counting_iteratorIjlEEPS9_SE_NS0_5tupleIJPjSE_EEENSF_IJSE_SE_EEES9_SG_JZNS1_25segmented_radix_sort_implINS0_14default_configELb1EPKsPsPKlPlN2at6native12_GLOBAL__N_18offset_tEEE10hipError_tPvRmT1_PNSt15iterator_traitsISY_E10value_typeET2_T3_PNSZ_IS14_E10value_typeET4_jRbjT5_S1A_jjP12ihipStream_tbEUljE_EEESV_SW_SX_S14_S18_S1A_T6_T7_T9_mT8_S1C_bDpT10_ENKUlT_T0_E_clISt17integral_constantIbLb1EES1O_IbLb0EEEEDaS1K_S1L_EUlS1K_E_NS1_11comp_targetILNS1_3genE4ELNS1_11target_archE910ELNS1_3gpuE8ELNS1_3repE0EEENS1_30default_config_static_selectorELNS0_4arch9wavefront6targetE1EEEvSY_, .Lfunc_end897-_ZN7rocprim17ROCPRIM_400000_NS6detail17trampoline_kernelINS0_13select_configILj256ELj13ELNS0_17block_load_methodE3ELS4_3ELS4_3ELNS0_20block_scan_algorithmE0ELj4294967295EEENS1_25partition_config_selectorILNS1_17partition_subalgoE3EjNS0_10empty_typeEbEEZZNS1_14partition_implILS8_3ELb0ES6_jNS0_17counting_iteratorIjlEEPS9_SE_NS0_5tupleIJPjSE_EEENSF_IJSE_SE_EEES9_SG_JZNS1_25segmented_radix_sort_implINS0_14default_configELb1EPKsPsPKlPlN2at6native12_GLOBAL__N_18offset_tEEE10hipError_tPvRmT1_PNSt15iterator_traitsISY_E10value_typeET2_T3_PNSZ_IS14_E10value_typeET4_jRbjT5_S1A_jjP12ihipStream_tbEUljE_EEESV_SW_SX_S14_S18_S1A_T6_T7_T9_mT8_S1C_bDpT10_ENKUlT_T0_E_clISt17integral_constantIbLb1EES1O_IbLb0EEEEDaS1K_S1L_EUlS1K_E_NS1_11comp_targetILNS1_3genE4ELNS1_11target_archE910ELNS1_3gpuE8ELNS1_3repE0EEENS1_30default_config_static_selectorELNS0_4arch9wavefront6targetE1EEEvSY_
                                        ; -- End function
	.set _ZN7rocprim17ROCPRIM_400000_NS6detail17trampoline_kernelINS0_13select_configILj256ELj13ELNS0_17block_load_methodE3ELS4_3ELS4_3ELNS0_20block_scan_algorithmE0ELj4294967295EEENS1_25partition_config_selectorILNS1_17partition_subalgoE3EjNS0_10empty_typeEbEEZZNS1_14partition_implILS8_3ELb0ES6_jNS0_17counting_iteratorIjlEEPS9_SE_NS0_5tupleIJPjSE_EEENSF_IJSE_SE_EEES9_SG_JZNS1_25segmented_radix_sort_implINS0_14default_configELb1EPKsPsPKlPlN2at6native12_GLOBAL__N_18offset_tEEE10hipError_tPvRmT1_PNSt15iterator_traitsISY_E10value_typeET2_T3_PNSZ_IS14_E10value_typeET4_jRbjT5_S1A_jjP12ihipStream_tbEUljE_EEESV_SW_SX_S14_S18_S1A_T6_T7_T9_mT8_S1C_bDpT10_ENKUlT_T0_E_clISt17integral_constantIbLb1EES1O_IbLb0EEEEDaS1K_S1L_EUlS1K_E_NS1_11comp_targetILNS1_3genE4ELNS1_11target_archE910ELNS1_3gpuE8ELNS1_3repE0EEENS1_30default_config_static_selectorELNS0_4arch9wavefront6targetE1EEEvSY_.num_vgpr, 0
	.set _ZN7rocprim17ROCPRIM_400000_NS6detail17trampoline_kernelINS0_13select_configILj256ELj13ELNS0_17block_load_methodE3ELS4_3ELS4_3ELNS0_20block_scan_algorithmE0ELj4294967295EEENS1_25partition_config_selectorILNS1_17partition_subalgoE3EjNS0_10empty_typeEbEEZZNS1_14partition_implILS8_3ELb0ES6_jNS0_17counting_iteratorIjlEEPS9_SE_NS0_5tupleIJPjSE_EEENSF_IJSE_SE_EEES9_SG_JZNS1_25segmented_radix_sort_implINS0_14default_configELb1EPKsPsPKlPlN2at6native12_GLOBAL__N_18offset_tEEE10hipError_tPvRmT1_PNSt15iterator_traitsISY_E10value_typeET2_T3_PNSZ_IS14_E10value_typeET4_jRbjT5_S1A_jjP12ihipStream_tbEUljE_EEESV_SW_SX_S14_S18_S1A_T6_T7_T9_mT8_S1C_bDpT10_ENKUlT_T0_E_clISt17integral_constantIbLb1EES1O_IbLb0EEEEDaS1K_S1L_EUlS1K_E_NS1_11comp_targetILNS1_3genE4ELNS1_11target_archE910ELNS1_3gpuE8ELNS1_3repE0EEENS1_30default_config_static_selectorELNS0_4arch9wavefront6targetE1EEEvSY_.num_agpr, 0
	.set _ZN7rocprim17ROCPRIM_400000_NS6detail17trampoline_kernelINS0_13select_configILj256ELj13ELNS0_17block_load_methodE3ELS4_3ELS4_3ELNS0_20block_scan_algorithmE0ELj4294967295EEENS1_25partition_config_selectorILNS1_17partition_subalgoE3EjNS0_10empty_typeEbEEZZNS1_14partition_implILS8_3ELb0ES6_jNS0_17counting_iteratorIjlEEPS9_SE_NS0_5tupleIJPjSE_EEENSF_IJSE_SE_EEES9_SG_JZNS1_25segmented_radix_sort_implINS0_14default_configELb1EPKsPsPKlPlN2at6native12_GLOBAL__N_18offset_tEEE10hipError_tPvRmT1_PNSt15iterator_traitsISY_E10value_typeET2_T3_PNSZ_IS14_E10value_typeET4_jRbjT5_S1A_jjP12ihipStream_tbEUljE_EEESV_SW_SX_S14_S18_S1A_T6_T7_T9_mT8_S1C_bDpT10_ENKUlT_T0_E_clISt17integral_constantIbLb1EES1O_IbLb0EEEEDaS1K_S1L_EUlS1K_E_NS1_11comp_targetILNS1_3genE4ELNS1_11target_archE910ELNS1_3gpuE8ELNS1_3repE0EEENS1_30default_config_static_selectorELNS0_4arch9wavefront6targetE1EEEvSY_.numbered_sgpr, 0
	.set _ZN7rocprim17ROCPRIM_400000_NS6detail17trampoline_kernelINS0_13select_configILj256ELj13ELNS0_17block_load_methodE3ELS4_3ELS4_3ELNS0_20block_scan_algorithmE0ELj4294967295EEENS1_25partition_config_selectorILNS1_17partition_subalgoE3EjNS0_10empty_typeEbEEZZNS1_14partition_implILS8_3ELb0ES6_jNS0_17counting_iteratorIjlEEPS9_SE_NS0_5tupleIJPjSE_EEENSF_IJSE_SE_EEES9_SG_JZNS1_25segmented_radix_sort_implINS0_14default_configELb1EPKsPsPKlPlN2at6native12_GLOBAL__N_18offset_tEEE10hipError_tPvRmT1_PNSt15iterator_traitsISY_E10value_typeET2_T3_PNSZ_IS14_E10value_typeET4_jRbjT5_S1A_jjP12ihipStream_tbEUljE_EEESV_SW_SX_S14_S18_S1A_T6_T7_T9_mT8_S1C_bDpT10_ENKUlT_T0_E_clISt17integral_constantIbLb1EES1O_IbLb0EEEEDaS1K_S1L_EUlS1K_E_NS1_11comp_targetILNS1_3genE4ELNS1_11target_archE910ELNS1_3gpuE8ELNS1_3repE0EEENS1_30default_config_static_selectorELNS0_4arch9wavefront6targetE1EEEvSY_.num_named_barrier, 0
	.set _ZN7rocprim17ROCPRIM_400000_NS6detail17trampoline_kernelINS0_13select_configILj256ELj13ELNS0_17block_load_methodE3ELS4_3ELS4_3ELNS0_20block_scan_algorithmE0ELj4294967295EEENS1_25partition_config_selectorILNS1_17partition_subalgoE3EjNS0_10empty_typeEbEEZZNS1_14partition_implILS8_3ELb0ES6_jNS0_17counting_iteratorIjlEEPS9_SE_NS0_5tupleIJPjSE_EEENSF_IJSE_SE_EEES9_SG_JZNS1_25segmented_radix_sort_implINS0_14default_configELb1EPKsPsPKlPlN2at6native12_GLOBAL__N_18offset_tEEE10hipError_tPvRmT1_PNSt15iterator_traitsISY_E10value_typeET2_T3_PNSZ_IS14_E10value_typeET4_jRbjT5_S1A_jjP12ihipStream_tbEUljE_EEESV_SW_SX_S14_S18_S1A_T6_T7_T9_mT8_S1C_bDpT10_ENKUlT_T0_E_clISt17integral_constantIbLb1EES1O_IbLb0EEEEDaS1K_S1L_EUlS1K_E_NS1_11comp_targetILNS1_3genE4ELNS1_11target_archE910ELNS1_3gpuE8ELNS1_3repE0EEENS1_30default_config_static_selectorELNS0_4arch9wavefront6targetE1EEEvSY_.private_seg_size, 0
	.set _ZN7rocprim17ROCPRIM_400000_NS6detail17trampoline_kernelINS0_13select_configILj256ELj13ELNS0_17block_load_methodE3ELS4_3ELS4_3ELNS0_20block_scan_algorithmE0ELj4294967295EEENS1_25partition_config_selectorILNS1_17partition_subalgoE3EjNS0_10empty_typeEbEEZZNS1_14partition_implILS8_3ELb0ES6_jNS0_17counting_iteratorIjlEEPS9_SE_NS0_5tupleIJPjSE_EEENSF_IJSE_SE_EEES9_SG_JZNS1_25segmented_radix_sort_implINS0_14default_configELb1EPKsPsPKlPlN2at6native12_GLOBAL__N_18offset_tEEE10hipError_tPvRmT1_PNSt15iterator_traitsISY_E10value_typeET2_T3_PNSZ_IS14_E10value_typeET4_jRbjT5_S1A_jjP12ihipStream_tbEUljE_EEESV_SW_SX_S14_S18_S1A_T6_T7_T9_mT8_S1C_bDpT10_ENKUlT_T0_E_clISt17integral_constantIbLb1EES1O_IbLb0EEEEDaS1K_S1L_EUlS1K_E_NS1_11comp_targetILNS1_3genE4ELNS1_11target_archE910ELNS1_3gpuE8ELNS1_3repE0EEENS1_30default_config_static_selectorELNS0_4arch9wavefront6targetE1EEEvSY_.uses_vcc, 0
	.set _ZN7rocprim17ROCPRIM_400000_NS6detail17trampoline_kernelINS0_13select_configILj256ELj13ELNS0_17block_load_methodE3ELS4_3ELS4_3ELNS0_20block_scan_algorithmE0ELj4294967295EEENS1_25partition_config_selectorILNS1_17partition_subalgoE3EjNS0_10empty_typeEbEEZZNS1_14partition_implILS8_3ELb0ES6_jNS0_17counting_iteratorIjlEEPS9_SE_NS0_5tupleIJPjSE_EEENSF_IJSE_SE_EEES9_SG_JZNS1_25segmented_radix_sort_implINS0_14default_configELb1EPKsPsPKlPlN2at6native12_GLOBAL__N_18offset_tEEE10hipError_tPvRmT1_PNSt15iterator_traitsISY_E10value_typeET2_T3_PNSZ_IS14_E10value_typeET4_jRbjT5_S1A_jjP12ihipStream_tbEUljE_EEESV_SW_SX_S14_S18_S1A_T6_T7_T9_mT8_S1C_bDpT10_ENKUlT_T0_E_clISt17integral_constantIbLb1EES1O_IbLb0EEEEDaS1K_S1L_EUlS1K_E_NS1_11comp_targetILNS1_3genE4ELNS1_11target_archE910ELNS1_3gpuE8ELNS1_3repE0EEENS1_30default_config_static_selectorELNS0_4arch9wavefront6targetE1EEEvSY_.uses_flat_scratch, 0
	.set _ZN7rocprim17ROCPRIM_400000_NS6detail17trampoline_kernelINS0_13select_configILj256ELj13ELNS0_17block_load_methodE3ELS4_3ELS4_3ELNS0_20block_scan_algorithmE0ELj4294967295EEENS1_25partition_config_selectorILNS1_17partition_subalgoE3EjNS0_10empty_typeEbEEZZNS1_14partition_implILS8_3ELb0ES6_jNS0_17counting_iteratorIjlEEPS9_SE_NS0_5tupleIJPjSE_EEENSF_IJSE_SE_EEES9_SG_JZNS1_25segmented_radix_sort_implINS0_14default_configELb1EPKsPsPKlPlN2at6native12_GLOBAL__N_18offset_tEEE10hipError_tPvRmT1_PNSt15iterator_traitsISY_E10value_typeET2_T3_PNSZ_IS14_E10value_typeET4_jRbjT5_S1A_jjP12ihipStream_tbEUljE_EEESV_SW_SX_S14_S18_S1A_T6_T7_T9_mT8_S1C_bDpT10_ENKUlT_T0_E_clISt17integral_constantIbLb1EES1O_IbLb0EEEEDaS1K_S1L_EUlS1K_E_NS1_11comp_targetILNS1_3genE4ELNS1_11target_archE910ELNS1_3gpuE8ELNS1_3repE0EEENS1_30default_config_static_selectorELNS0_4arch9wavefront6targetE1EEEvSY_.has_dyn_sized_stack, 0
	.set _ZN7rocprim17ROCPRIM_400000_NS6detail17trampoline_kernelINS0_13select_configILj256ELj13ELNS0_17block_load_methodE3ELS4_3ELS4_3ELNS0_20block_scan_algorithmE0ELj4294967295EEENS1_25partition_config_selectorILNS1_17partition_subalgoE3EjNS0_10empty_typeEbEEZZNS1_14partition_implILS8_3ELb0ES6_jNS0_17counting_iteratorIjlEEPS9_SE_NS0_5tupleIJPjSE_EEENSF_IJSE_SE_EEES9_SG_JZNS1_25segmented_radix_sort_implINS0_14default_configELb1EPKsPsPKlPlN2at6native12_GLOBAL__N_18offset_tEEE10hipError_tPvRmT1_PNSt15iterator_traitsISY_E10value_typeET2_T3_PNSZ_IS14_E10value_typeET4_jRbjT5_S1A_jjP12ihipStream_tbEUljE_EEESV_SW_SX_S14_S18_S1A_T6_T7_T9_mT8_S1C_bDpT10_ENKUlT_T0_E_clISt17integral_constantIbLb1EES1O_IbLb0EEEEDaS1K_S1L_EUlS1K_E_NS1_11comp_targetILNS1_3genE4ELNS1_11target_archE910ELNS1_3gpuE8ELNS1_3repE0EEENS1_30default_config_static_selectorELNS0_4arch9wavefront6targetE1EEEvSY_.has_recursion, 0
	.set _ZN7rocprim17ROCPRIM_400000_NS6detail17trampoline_kernelINS0_13select_configILj256ELj13ELNS0_17block_load_methodE3ELS4_3ELS4_3ELNS0_20block_scan_algorithmE0ELj4294967295EEENS1_25partition_config_selectorILNS1_17partition_subalgoE3EjNS0_10empty_typeEbEEZZNS1_14partition_implILS8_3ELb0ES6_jNS0_17counting_iteratorIjlEEPS9_SE_NS0_5tupleIJPjSE_EEENSF_IJSE_SE_EEES9_SG_JZNS1_25segmented_radix_sort_implINS0_14default_configELb1EPKsPsPKlPlN2at6native12_GLOBAL__N_18offset_tEEE10hipError_tPvRmT1_PNSt15iterator_traitsISY_E10value_typeET2_T3_PNSZ_IS14_E10value_typeET4_jRbjT5_S1A_jjP12ihipStream_tbEUljE_EEESV_SW_SX_S14_S18_S1A_T6_T7_T9_mT8_S1C_bDpT10_ENKUlT_T0_E_clISt17integral_constantIbLb1EES1O_IbLb0EEEEDaS1K_S1L_EUlS1K_E_NS1_11comp_targetILNS1_3genE4ELNS1_11target_archE910ELNS1_3gpuE8ELNS1_3repE0EEENS1_30default_config_static_selectorELNS0_4arch9wavefront6targetE1EEEvSY_.has_indirect_call, 0
	.section	.AMDGPU.csdata,"",@progbits
; Kernel info:
; codeLenInByte = 0
; TotalNumSgprs: 4
; NumVgprs: 0
; ScratchSize: 0
; MemoryBound: 0
; FloatMode: 240
; IeeeMode: 1
; LDSByteSize: 0 bytes/workgroup (compile time only)
; SGPRBlocks: 0
; VGPRBlocks: 0
; NumSGPRsForWavesPerEU: 4
; NumVGPRsForWavesPerEU: 1
; Occupancy: 10
; WaveLimiterHint : 0
; COMPUTE_PGM_RSRC2:SCRATCH_EN: 0
; COMPUTE_PGM_RSRC2:USER_SGPR: 6
; COMPUTE_PGM_RSRC2:TRAP_HANDLER: 0
; COMPUTE_PGM_RSRC2:TGID_X_EN: 1
; COMPUTE_PGM_RSRC2:TGID_Y_EN: 0
; COMPUTE_PGM_RSRC2:TGID_Z_EN: 0
; COMPUTE_PGM_RSRC2:TIDIG_COMP_CNT: 0
	.section	.text._ZN7rocprim17ROCPRIM_400000_NS6detail17trampoline_kernelINS0_13select_configILj256ELj13ELNS0_17block_load_methodE3ELS4_3ELS4_3ELNS0_20block_scan_algorithmE0ELj4294967295EEENS1_25partition_config_selectorILNS1_17partition_subalgoE3EjNS0_10empty_typeEbEEZZNS1_14partition_implILS8_3ELb0ES6_jNS0_17counting_iteratorIjlEEPS9_SE_NS0_5tupleIJPjSE_EEENSF_IJSE_SE_EEES9_SG_JZNS1_25segmented_radix_sort_implINS0_14default_configELb1EPKsPsPKlPlN2at6native12_GLOBAL__N_18offset_tEEE10hipError_tPvRmT1_PNSt15iterator_traitsISY_E10value_typeET2_T3_PNSZ_IS14_E10value_typeET4_jRbjT5_S1A_jjP12ihipStream_tbEUljE_EEESV_SW_SX_S14_S18_S1A_T6_T7_T9_mT8_S1C_bDpT10_ENKUlT_T0_E_clISt17integral_constantIbLb1EES1O_IbLb0EEEEDaS1K_S1L_EUlS1K_E_NS1_11comp_targetILNS1_3genE3ELNS1_11target_archE908ELNS1_3gpuE7ELNS1_3repE0EEENS1_30default_config_static_selectorELNS0_4arch9wavefront6targetE1EEEvSY_,"axG",@progbits,_ZN7rocprim17ROCPRIM_400000_NS6detail17trampoline_kernelINS0_13select_configILj256ELj13ELNS0_17block_load_methodE3ELS4_3ELS4_3ELNS0_20block_scan_algorithmE0ELj4294967295EEENS1_25partition_config_selectorILNS1_17partition_subalgoE3EjNS0_10empty_typeEbEEZZNS1_14partition_implILS8_3ELb0ES6_jNS0_17counting_iteratorIjlEEPS9_SE_NS0_5tupleIJPjSE_EEENSF_IJSE_SE_EEES9_SG_JZNS1_25segmented_radix_sort_implINS0_14default_configELb1EPKsPsPKlPlN2at6native12_GLOBAL__N_18offset_tEEE10hipError_tPvRmT1_PNSt15iterator_traitsISY_E10value_typeET2_T3_PNSZ_IS14_E10value_typeET4_jRbjT5_S1A_jjP12ihipStream_tbEUljE_EEESV_SW_SX_S14_S18_S1A_T6_T7_T9_mT8_S1C_bDpT10_ENKUlT_T0_E_clISt17integral_constantIbLb1EES1O_IbLb0EEEEDaS1K_S1L_EUlS1K_E_NS1_11comp_targetILNS1_3genE3ELNS1_11target_archE908ELNS1_3gpuE7ELNS1_3repE0EEENS1_30default_config_static_selectorELNS0_4arch9wavefront6targetE1EEEvSY_,comdat
	.globl	_ZN7rocprim17ROCPRIM_400000_NS6detail17trampoline_kernelINS0_13select_configILj256ELj13ELNS0_17block_load_methodE3ELS4_3ELS4_3ELNS0_20block_scan_algorithmE0ELj4294967295EEENS1_25partition_config_selectorILNS1_17partition_subalgoE3EjNS0_10empty_typeEbEEZZNS1_14partition_implILS8_3ELb0ES6_jNS0_17counting_iteratorIjlEEPS9_SE_NS0_5tupleIJPjSE_EEENSF_IJSE_SE_EEES9_SG_JZNS1_25segmented_radix_sort_implINS0_14default_configELb1EPKsPsPKlPlN2at6native12_GLOBAL__N_18offset_tEEE10hipError_tPvRmT1_PNSt15iterator_traitsISY_E10value_typeET2_T3_PNSZ_IS14_E10value_typeET4_jRbjT5_S1A_jjP12ihipStream_tbEUljE_EEESV_SW_SX_S14_S18_S1A_T6_T7_T9_mT8_S1C_bDpT10_ENKUlT_T0_E_clISt17integral_constantIbLb1EES1O_IbLb0EEEEDaS1K_S1L_EUlS1K_E_NS1_11comp_targetILNS1_3genE3ELNS1_11target_archE908ELNS1_3gpuE7ELNS1_3repE0EEENS1_30default_config_static_selectorELNS0_4arch9wavefront6targetE1EEEvSY_ ; -- Begin function _ZN7rocprim17ROCPRIM_400000_NS6detail17trampoline_kernelINS0_13select_configILj256ELj13ELNS0_17block_load_methodE3ELS4_3ELS4_3ELNS0_20block_scan_algorithmE0ELj4294967295EEENS1_25partition_config_selectorILNS1_17partition_subalgoE3EjNS0_10empty_typeEbEEZZNS1_14partition_implILS8_3ELb0ES6_jNS0_17counting_iteratorIjlEEPS9_SE_NS0_5tupleIJPjSE_EEENSF_IJSE_SE_EEES9_SG_JZNS1_25segmented_radix_sort_implINS0_14default_configELb1EPKsPsPKlPlN2at6native12_GLOBAL__N_18offset_tEEE10hipError_tPvRmT1_PNSt15iterator_traitsISY_E10value_typeET2_T3_PNSZ_IS14_E10value_typeET4_jRbjT5_S1A_jjP12ihipStream_tbEUljE_EEESV_SW_SX_S14_S18_S1A_T6_T7_T9_mT8_S1C_bDpT10_ENKUlT_T0_E_clISt17integral_constantIbLb1EES1O_IbLb0EEEEDaS1K_S1L_EUlS1K_E_NS1_11comp_targetILNS1_3genE3ELNS1_11target_archE908ELNS1_3gpuE7ELNS1_3repE0EEENS1_30default_config_static_selectorELNS0_4arch9wavefront6targetE1EEEvSY_
	.p2align	8
	.type	_ZN7rocprim17ROCPRIM_400000_NS6detail17trampoline_kernelINS0_13select_configILj256ELj13ELNS0_17block_load_methodE3ELS4_3ELS4_3ELNS0_20block_scan_algorithmE0ELj4294967295EEENS1_25partition_config_selectorILNS1_17partition_subalgoE3EjNS0_10empty_typeEbEEZZNS1_14partition_implILS8_3ELb0ES6_jNS0_17counting_iteratorIjlEEPS9_SE_NS0_5tupleIJPjSE_EEENSF_IJSE_SE_EEES9_SG_JZNS1_25segmented_radix_sort_implINS0_14default_configELb1EPKsPsPKlPlN2at6native12_GLOBAL__N_18offset_tEEE10hipError_tPvRmT1_PNSt15iterator_traitsISY_E10value_typeET2_T3_PNSZ_IS14_E10value_typeET4_jRbjT5_S1A_jjP12ihipStream_tbEUljE_EEESV_SW_SX_S14_S18_S1A_T6_T7_T9_mT8_S1C_bDpT10_ENKUlT_T0_E_clISt17integral_constantIbLb1EES1O_IbLb0EEEEDaS1K_S1L_EUlS1K_E_NS1_11comp_targetILNS1_3genE3ELNS1_11target_archE908ELNS1_3gpuE7ELNS1_3repE0EEENS1_30default_config_static_selectorELNS0_4arch9wavefront6targetE1EEEvSY_,@function
_ZN7rocprim17ROCPRIM_400000_NS6detail17trampoline_kernelINS0_13select_configILj256ELj13ELNS0_17block_load_methodE3ELS4_3ELS4_3ELNS0_20block_scan_algorithmE0ELj4294967295EEENS1_25partition_config_selectorILNS1_17partition_subalgoE3EjNS0_10empty_typeEbEEZZNS1_14partition_implILS8_3ELb0ES6_jNS0_17counting_iteratorIjlEEPS9_SE_NS0_5tupleIJPjSE_EEENSF_IJSE_SE_EEES9_SG_JZNS1_25segmented_radix_sort_implINS0_14default_configELb1EPKsPsPKlPlN2at6native12_GLOBAL__N_18offset_tEEE10hipError_tPvRmT1_PNSt15iterator_traitsISY_E10value_typeET2_T3_PNSZ_IS14_E10value_typeET4_jRbjT5_S1A_jjP12ihipStream_tbEUljE_EEESV_SW_SX_S14_S18_S1A_T6_T7_T9_mT8_S1C_bDpT10_ENKUlT_T0_E_clISt17integral_constantIbLb1EES1O_IbLb0EEEEDaS1K_S1L_EUlS1K_E_NS1_11comp_targetILNS1_3genE3ELNS1_11target_archE908ELNS1_3gpuE7ELNS1_3repE0EEENS1_30default_config_static_selectorELNS0_4arch9wavefront6targetE1EEEvSY_: ; @_ZN7rocprim17ROCPRIM_400000_NS6detail17trampoline_kernelINS0_13select_configILj256ELj13ELNS0_17block_load_methodE3ELS4_3ELS4_3ELNS0_20block_scan_algorithmE0ELj4294967295EEENS1_25partition_config_selectorILNS1_17partition_subalgoE3EjNS0_10empty_typeEbEEZZNS1_14partition_implILS8_3ELb0ES6_jNS0_17counting_iteratorIjlEEPS9_SE_NS0_5tupleIJPjSE_EEENSF_IJSE_SE_EEES9_SG_JZNS1_25segmented_radix_sort_implINS0_14default_configELb1EPKsPsPKlPlN2at6native12_GLOBAL__N_18offset_tEEE10hipError_tPvRmT1_PNSt15iterator_traitsISY_E10value_typeET2_T3_PNSZ_IS14_E10value_typeET4_jRbjT5_S1A_jjP12ihipStream_tbEUljE_EEESV_SW_SX_S14_S18_S1A_T6_T7_T9_mT8_S1C_bDpT10_ENKUlT_T0_E_clISt17integral_constantIbLb1EES1O_IbLb0EEEEDaS1K_S1L_EUlS1K_E_NS1_11comp_targetILNS1_3genE3ELNS1_11target_archE908ELNS1_3gpuE7ELNS1_3repE0EEENS1_30default_config_static_selectorELNS0_4arch9wavefront6targetE1EEEvSY_
; %bb.0:
	.section	.rodata,"a",@progbits
	.p2align	6, 0x0
	.amdhsa_kernel _ZN7rocprim17ROCPRIM_400000_NS6detail17trampoline_kernelINS0_13select_configILj256ELj13ELNS0_17block_load_methodE3ELS4_3ELS4_3ELNS0_20block_scan_algorithmE0ELj4294967295EEENS1_25partition_config_selectorILNS1_17partition_subalgoE3EjNS0_10empty_typeEbEEZZNS1_14partition_implILS8_3ELb0ES6_jNS0_17counting_iteratorIjlEEPS9_SE_NS0_5tupleIJPjSE_EEENSF_IJSE_SE_EEES9_SG_JZNS1_25segmented_radix_sort_implINS0_14default_configELb1EPKsPsPKlPlN2at6native12_GLOBAL__N_18offset_tEEE10hipError_tPvRmT1_PNSt15iterator_traitsISY_E10value_typeET2_T3_PNSZ_IS14_E10value_typeET4_jRbjT5_S1A_jjP12ihipStream_tbEUljE_EEESV_SW_SX_S14_S18_S1A_T6_T7_T9_mT8_S1C_bDpT10_ENKUlT_T0_E_clISt17integral_constantIbLb1EES1O_IbLb0EEEEDaS1K_S1L_EUlS1K_E_NS1_11comp_targetILNS1_3genE3ELNS1_11target_archE908ELNS1_3gpuE7ELNS1_3repE0EEENS1_30default_config_static_selectorELNS0_4arch9wavefront6targetE1EEEvSY_
		.amdhsa_group_segment_fixed_size 0
		.amdhsa_private_segment_fixed_size 0
		.amdhsa_kernarg_size 144
		.amdhsa_user_sgpr_count 6
		.amdhsa_user_sgpr_private_segment_buffer 1
		.amdhsa_user_sgpr_dispatch_ptr 0
		.amdhsa_user_sgpr_queue_ptr 0
		.amdhsa_user_sgpr_kernarg_segment_ptr 1
		.amdhsa_user_sgpr_dispatch_id 0
		.amdhsa_user_sgpr_flat_scratch_init 0
		.amdhsa_user_sgpr_private_segment_size 0
		.amdhsa_uses_dynamic_stack 0
		.amdhsa_system_sgpr_private_segment_wavefront_offset 0
		.amdhsa_system_sgpr_workgroup_id_x 1
		.amdhsa_system_sgpr_workgroup_id_y 0
		.amdhsa_system_sgpr_workgroup_id_z 0
		.amdhsa_system_sgpr_workgroup_info 0
		.amdhsa_system_vgpr_workitem_id 0
		.amdhsa_next_free_vgpr 1
		.amdhsa_next_free_sgpr 0
		.amdhsa_reserve_vcc 0
		.amdhsa_reserve_flat_scratch 0
		.amdhsa_float_round_mode_32 0
		.amdhsa_float_round_mode_16_64 0
		.amdhsa_float_denorm_mode_32 3
		.amdhsa_float_denorm_mode_16_64 3
		.amdhsa_dx10_clamp 1
		.amdhsa_ieee_mode 1
		.amdhsa_fp16_overflow 0
		.amdhsa_exception_fp_ieee_invalid_op 0
		.amdhsa_exception_fp_denorm_src 0
		.amdhsa_exception_fp_ieee_div_zero 0
		.amdhsa_exception_fp_ieee_overflow 0
		.amdhsa_exception_fp_ieee_underflow 0
		.amdhsa_exception_fp_ieee_inexact 0
		.amdhsa_exception_int_div_zero 0
	.end_amdhsa_kernel
	.section	.text._ZN7rocprim17ROCPRIM_400000_NS6detail17trampoline_kernelINS0_13select_configILj256ELj13ELNS0_17block_load_methodE3ELS4_3ELS4_3ELNS0_20block_scan_algorithmE0ELj4294967295EEENS1_25partition_config_selectorILNS1_17partition_subalgoE3EjNS0_10empty_typeEbEEZZNS1_14partition_implILS8_3ELb0ES6_jNS0_17counting_iteratorIjlEEPS9_SE_NS0_5tupleIJPjSE_EEENSF_IJSE_SE_EEES9_SG_JZNS1_25segmented_radix_sort_implINS0_14default_configELb1EPKsPsPKlPlN2at6native12_GLOBAL__N_18offset_tEEE10hipError_tPvRmT1_PNSt15iterator_traitsISY_E10value_typeET2_T3_PNSZ_IS14_E10value_typeET4_jRbjT5_S1A_jjP12ihipStream_tbEUljE_EEESV_SW_SX_S14_S18_S1A_T6_T7_T9_mT8_S1C_bDpT10_ENKUlT_T0_E_clISt17integral_constantIbLb1EES1O_IbLb0EEEEDaS1K_S1L_EUlS1K_E_NS1_11comp_targetILNS1_3genE3ELNS1_11target_archE908ELNS1_3gpuE7ELNS1_3repE0EEENS1_30default_config_static_selectorELNS0_4arch9wavefront6targetE1EEEvSY_,"axG",@progbits,_ZN7rocprim17ROCPRIM_400000_NS6detail17trampoline_kernelINS0_13select_configILj256ELj13ELNS0_17block_load_methodE3ELS4_3ELS4_3ELNS0_20block_scan_algorithmE0ELj4294967295EEENS1_25partition_config_selectorILNS1_17partition_subalgoE3EjNS0_10empty_typeEbEEZZNS1_14partition_implILS8_3ELb0ES6_jNS0_17counting_iteratorIjlEEPS9_SE_NS0_5tupleIJPjSE_EEENSF_IJSE_SE_EEES9_SG_JZNS1_25segmented_radix_sort_implINS0_14default_configELb1EPKsPsPKlPlN2at6native12_GLOBAL__N_18offset_tEEE10hipError_tPvRmT1_PNSt15iterator_traitsISY_E10value_typeET2_T3_PNSZ_IS14_E10value_typeET4_jRbjT5_S1A_jjP12ihipStream_tbEUljE_EEESV_SW_SX_S14_S18_S1A_T6_T7_T9_mT8_S1C_bDpT10_ENKUlT_T0_E_clISt17integral_constantIbLb1EES1O_IbLb0EEEEDaS1K_S1L_EUlS1K_E_NS1_11comp_targetILNS1_3genE3ELNS1_11target_archE908ELNS1_3gpuE7ELNS1_3repE0EEENS1_30default_config_static_selectorELNS0_4arch9wavefront6targetE1EEEvSY_,comdat
.Lfunc_end898:
	.size	_ZN7rocprim17ROCPRIM_400000_NS6detail17trampoline_kernelINS0_13select_configILj256ELj13ELNS0_17block_load_methodE3ELS4_3ELS4_3ELNS0_20block_scan_algorithmE0ELj4294967295EEENS1_25partition_config_selectorILNS1_17partition_subalgoE3EjNS0_10empty_typeEbEEZZNS1_14partition_implILS8_3ELb0ES6_jNS0_17counting_iteratorIjlEEPS9_SE_NS0_5tupleIJPjSE_EEENSF_IJSE_SE_EEES9_SG_JZNS1_25segmented_radix_sort_implINS0_14default_configELb1EPKsPsPKlPlN2at6native12_GLOBAL__N_18offset_tEEE10hipError_tPvRmT1_PNSt15iterator_traitsISY_E10value_typeET2_T3_PNSZ_IS14_E10value_typeET4_jRbjT5_S1A_jjP12ihipStream_tbEUljE_EEESV_SW_SX_S14_S18_S1A_T6_T7_T9_mT8_S1C_bDpT10_ENKUlT_T0_E_clISt17integral_constantIbLb1EES1O_IbLb0EEEEDaS1K_S1L_EUlS1K_E_NS1_11comp_targetILNS1_3genE3ELNS1_11target_archE908ELNS1_3gpuE7ELNS1_3repE0EEENS1_30default_config_static_selectorELNS0_4arch9wavefront6targetE1EEEvSY_, .Lfunc_end898-_ZN7rocprim17ROCPRIM_400000_NS6detail17trampoline_kernelINS0_13select_configILj256ELj13ELNS0_17block_load_methodE3ELS4_3ELS4_3ELNS0_20block_scan_algorithmE0ELj4294967295EEENS1_25partition_config_selectorILNS1_17partition_subalgoE3EjNS0_10empty_typeEbEEZZNS1_14partition_implILS8_3ELb0ES6_jNS0_17counting_iteratorIjlEEPS9_SE_NS0_5tupleIJPjSE_EEENSF_IJSE_SE_EEES9_SG_JZNS1_25segmented_radix_sort_implINS0_14default_configELb1EPKsPsPKlPlN2at6native12_GLOBAL__N_18offset_tEEE10hipError_tPvRmT1_PNSt15iterator_traitsISY_E10value_typeET2_T3_PNSZ_IS14_E10value_typeET4_jRbjT5_S1A_jjP12ihipStream_tbEUljE_EEESV_SW_SX_S14_S18_S1A_T6_T7_T9_mT8_S1C_bDpT10_ENKUlT_T0_E_clISt17integral_constantIbLb1EES1O_IbLb0EEEEDaS1K_S1L_EUlS1K_E_NS1_11comp_targetILNS1_3genE3ELNS1_11target_archE908ELNS1_3gpuE7ELNS1_3repE0EEENS1_30default_config_static_selectorELNS0_4arch9wavefront6targetE1EEEvSY_
                                        ; -- End function
	.set _ZN7rocprim17ROCPRIM_400000_NS6detail17trampoline_kernelINS0_13select_configILj256ELj13ELNS0_17block_load_methodE3ELS4_3ELS4_3ELNS0_20block_scan_algorithmE0ELj4294967295EEENS1_25partition_config_selectorILNS1_17partition_subalgoE3EjNS0_10empty_typeEbEEZZNS1_14partition_implILS8_3ELb0ES6_jNS0_17counting_iteratorIjlEEPS9_SE_NS0_5tupleIJPjSE_EEENSF_IJSE_SE_EEES9_SG_JZNS1_25segmented_radix_sort_implINS0_14default_configELb1EPKsPsPKlPlN2at6native12_GLOBAL__N_18offset_tEEE10hipError_tPvRmT1_PNSt15iterator_traitsISY_E10value_typeET2_T3_PNSZ_IS14_E10value_typeET4_jRbjT5_S1A_jjP12ihipStream_tbEUljE_EEESV_SW_SX_S14_S18_S1A_T6_T7_T9_mT8_S1C_bDpT10_ENKUlT_T0_E_clISt17integral_constantIbLb1EES1O_IbLb0EEEEDaS1K_S1L_EUlS1K_E_NS1_11comp_targetILNS1_3genE3ELNS1_11target_archE908ELNS1_3gpuE7ELNS1_3repE0EEENS1_30default_config_static_selectorELNS0_4arch9wavefront6targetE1EEEvSY_.num_vgpr, 0
	.set _ZN7rocprim17ROCPRIM_400000_NS6detail17trampoline_kernelINS0_13select_configILj256ELj13ELNS0_17block_load_methodE3ELS4_3ELS4_3ELNS0_20block_scan_algorithmE0ELj4294967295EEENS1_25partition_config_selectorILNS1_17partition_subalgoE3EjNS0_10empty_typeEbEEZZNS1_14partition_implILS8_3ELb0ES6_jNS0_17counting_iteratorIjlEEPS9_SE_NS0_5tupleIJPjSE_EEENSF_IJSE_SE_EEES9_SG_JZNS1_25segmented_radix_sort_implINS0_14default_configELb1EPKsPsPKlPlN2at6native12_GLOBAL__N_18offset_tEEE10hipError_tPvRmT1_PNSt15iterator_traitsISY_E10value_typeET2_T3_PNSZ_IS14_E10value_typeET4_jRbjT5_S1A_jjP12ihipStream_tbEUljE_EEESV_SW_SX_S14_S18_S1A_T6_T7_T9_mT8_S1C_bDpT10_ENKUlT_T0_E_clISt17integral_constantIbLb1EES1O_IbLb0EEEEDaS1K_S1L_EUlS1K_E_NS1_11comp_targetILNS1_3genE3ELNS1_11target_archE908ELNS1_3gpuE7ELNS1_3repE0EEENS1_30default_config_static_selectorELNS0_4arch9wavefront6targetE1EEEvSY_.num_agpr, 0
	.set _ZN7rocprim17ROCPRIM_400000_NS6detail17trampoline_kernelINS0_13select_configILj256ELj13ELNS0_17block_load_methodE3ELS4_3ELS4_3ELNS0_20block_scan_algorithmE0ELj4294967295EEENS1_25partition_config_selectorILNS1_17partition_subalgoE3EjNS0_10empty_typeEbEEZZNS1_14partition_implILS8_3ELb0ES6_jNS0_17counting_iteratorIjlEEPS9_SE_NS0_5tupleIJPjSE_EEENSF_IJSE_SE_EEES9_SG_JZNS1_25segmented_radix_sort_implINS0_14default_configELb1EPKsPsPKlPlN2at6native12_GLOBAL__N_18offset_tEEE10hipError_tPvRmT1_PNSt15iterator_traitsISY_E10value_typeET2_T3_PNSZ_IS14_E10value_typeET4_jRbjT5_S1A_jjP12ihipStream_tbEUljE_EEESV_SW_SX_S14_S18_S1A_T6_T7_T9_mT8_S1C_bDpT10_ENKUlT_T0_E_clISt17integral_constantIbLb1EES1O_IbLb0EEEEDaS1K_S1L_EUlS1K_E_NS1_11comp_targetILNS1_3genE3ELNS1_11target_archE908ELNS1_3gpuE7ELNS1_3repE0EEENS1_30default_config_static_selectorELNS0_4arch9wavefront6targetE1EEEvSY_.numbered_sgpr, 0
	.set _ZN7rocprim17ROCPRIM_400000_NS6detail17trampoline_kernelINS0_13select_configILj256ELj13ELNS0_17block_load_methodE3ELS4_3ELS4_3ELNS0_20block_scan_algorithmE0ELj4294967295EEENS1_25partition_config_selectorILNS1_17partition_subalgoE3EjNS0_10empty_typeEbEEZZNS1_14partition_implILS8_3ELb0ES6_jNS0_17counting_iteratorIjlEEPS9_SE_NS0_5tupleIJPjSE_EEENSF_IJSE_SE_EEES9_SG_JZNS1_25segmented_radix_sort_implINS0_14default_configELb1EPKsPsPKlPlN2at6native12_GLOBAL__N_18offset_tEEE10hipError_tPvRmT1_PNSt15iterator_traitsISY_E10value_typeET2_T3_PNSZ_IS14_E10value_typeET4_jRbjT5_S1A_jjP12ihipStream_tbEUljE_EEESV_SW_SX_S14_S18_S1A_T6_T7_T9_mT8_S1C_bDpT10_ENKUlT_T0_E_clISt17integral_constantIbLb1EES1O_IbLb0EEEEDaS1K_S1L_EUlS1K_E_NS1_11comp_targetILNS1_3genE3ELNS1_11target_archE908ELNS1_3gpuE7ELNS1_3repE0EEENS1_30default_config_static_selectorELNS0_4arch9wavefront6targetE1EEEvSY_.num_named_barrier, 0
	.set _ZN7rocprim17ROCPRIM_400000_NS6detail17trampoline_kernelINS0_13select_configILj256ELj13ELNS0_17block_load_methodE3ELS4_3ELS4_3ELNS0_20block_scan_algorithmE0ELj4294967295EEENS1_25partition_config_selectorILNS1_17partition_subalgoE3EjNS0_10empty_typeEbEEZZNS1_14partition_implILS8_3ELb0ES6_jNS0_17counting_iteratorIjlEEPS9_SE_NS0_5tupleIJPjSE_EEENSF_IJSE_SE_EEES9_SG_JZNS1_25segmented_radix_sort_implINS0_14default_configELb1EPKsPsPKlPlN2at6native12_GLOBAL__N_18offset_tEEE10hipError_tPvRmT1_PNSt15iterator_traitsISY_E10value_typeET2_T3_PNSZ_IS14_E10value_typeET4_jRbjT5_S1A_jjP12ihipStream_tbEUljE_EEESV_SW_SX_S14_S18_S1A_T6_T7_T9_mT8_S1C_bDpT10_ENKUlT_T0_E_clISt17integral_constantIbLb1EES1O_IbLb0EEEEDaS1K_S1L_EUlS1K_E_NS1_11comp_targetILNS1_3genE3ELNS1_11target_archE908ELNS1_3gpuE7ELNS1_3repE0EEENS1_30default_config_static_selectorELNS0_4arch9wavefront6targetE1EEEvSY_.private_seg_size, 0
	.set _ZN7rocprim17ROCPRIM_400000_NS6detail17trampoline_kernelINS0_13select_configILj256ELj13ELNS0_17block_load_methodE3ELS4_3ELS4_3ELNS0_20block_scan_algorithmE0ELj4294967295EEENS1_25partition_config_selectorILNS1_17partition_subalgoE3EjNS0_10empty_typeEbEEZZNS1_14partition_implILS8_3ELb0ES6_jNS0_17counting_iteratorIjlEEPS9_SE_NS0_5tupleIJPjSE_EEENSF_IJSE_SE_EEES9_SG_JZNS1_25segmented_radix_sort_implINS0_14default_configELb1EPKsPsPKlPlN2at6native12_GLOBAL__N_18offset_tEEE10hipError_tPvRmT1_PNSt15iterator_traitsISY_E10value_typeET2_T3_PNSZ_IS14_E10value_typeET4_jRbjT5_S1A_jjP12ihipStream_tbEUljE_EEESV_SW_SX_S14_S18_S1A_T6_T7_T9_mT8_S1C_bDpT10_ENKUlT_T0_E_clISt17integral_constantIbLb1EES1O_IbLb0EEEEDaS1K_S1L_EUlS1K_E_NS1_11comp_targetILNS1_3genE3ELNS1_11target_archE908ELNS1_3gpuE7ELNS1_3repE0EEENS1_30default_config_static_selectorELNS0_4arch9wavefront6targetE1EEEvSY_.uses_vcc, 0
	.set _ZN7rocprim17ROCPRIM_400000_NS6detail17trampoline_kernelINS0_13select_configILj256ELj13ELNS0_17block_load_methodE3ELS4_3ELS4_3ELNS0_20block_scan_algorithmE0ELj4294967295EEENS1_25partition_config_selectorILNS1_17partition_subalgoE3EjNS0_10empty_typeEbEEZZNS1_14partition_implILS8_3ELb0ES6_jNS0_17counting_iteratorIjlEEPS9_SE_NS0_5tupleIJPjSE_EEENSF_IJSE_SE_EEES9_SG_JZNS1_25segmented_radix_sort_implINS0_14default_configELb1EPKsPsPKlPlN2at6native12_GLOBAL__N_18offset_tEEE10hipError_tPvRmT1_PNSt15iterator_traitsISY_E10value_typeET2_T3_PNSZ_IS14_E10value_typeET4_jRbjT5_S1A_jjP12ihipStream_tbEUljE_EEESV_SW_SX_S14_S18_S1A_T6_T7_T9_mT8_S1C_bDpT10_ENKUlT_T0_E_clISt17integral_constantIbLb1EES1O_IbLb0EEEEDaS1K_S1L_EUlS1K_E_NS1_11comp_targetILNS1_3genE3ELNS1_11target_archE908ELNS1_3gpuE7ELNS1_3repE0EEENS1_30default_config_static_selectorELNS0_4arch9wavefront6targetE1EEEvSY_.uses_flat_scratch, 0
	.set _ZN7rocprim17ROCPRIM_400000_NS6detail17trampoline_kernelINS0_13select_configILj256ELj13ELNS0_17block_load_methodE3ELS4_3ELS4_3ELNS0_20block_scan_algorithmE0ELj4294967295EEENS1_25partition_config_selectorILNS1_17partition_subalgoE3EjNS0_10empty_typeEbEEZZNS1_14partition_implILS8_3ELb0ES6_jNS0_17counting_iteratorIjlEEPS9_SE_NS0_5tupleIJPjSE_EEENSF_IJSE_SE_EEES9_SG_JZNS1_25segmented_radix_sort_implINS0_14default_configELb1EPKsPsPKlPlN2at6native12_GLOBAL__N_18offset_tEEE10hipError_tPvRmT1_PNSt15iterator_traitsISY_E10value_typeET2_T3_PNSZ_IS14_E10value_typeET4_jRbjT5_S1A_jjP12ihipStream_tbEUljE_EEESV_SW_SX_S14_S18_S1A_T6_T7_T9_mT8_S1C_bDpT10_ENKUlT_T0_E_clISt17integral_constantIbLb1EES1O_IbLb0EEEEDaS1K_S1L_EUlS1K_E_NS1_11comp_targetILNS1_3genE3ELNS1_11target_archE908ELNS1_3gpuE7ELNS1_3repE0EEENS1_30default_config_static_selectorELNS0_4arch9wavefront6targetE1EEEvSY_.has_dyn_sized_stack, 0
	.set _ZN7rocprim17ROCPRIM_400000_NS6detail17trampoline_kernelINS0_13select_configILj256ELj13ELNS0_17block_load_methodE3ELS4_3ELS4_3ELNS0_20block_scan_algorithmE0ELj4294967295EEENS1_25partition_config_selectorILNS1_17partition_subalgoE3EjNS0_10empty_typeEbEEZZNS1_14partition_implILS8_3ELb0ES6_jNS0_17counting_iteratorIjlEEPS9_SE_NS0_5tupleIJPjSE_EEENSF_IJSE_SE_EEES9_SG_JZNS1_25segmented_radix_sort_implINS0_14default_configELb1EPKsPsPKlPlN2at6native12_GLOBAL__N_18offset_tEEE10hipError_tPvRmT1_PNSt15iterator_traitsISY_E10value_typeET2_T3_PNSZ_IS14_E10value_typeET4_jRbjT5_S1A_jjP12ihipStream_tbEUljE_EEESV_SW_SX_S14_S18_S1A_T6_T7_T9_mT8_S1C_bDpT10_ENKUlT_T0_E_clISt17integral_constantIbLb1EES1O_IbLb0EEEEDaS1K_S1L_EUlS1K_E_NS1_11comp_targetILNS1_3genE3ELNS1_11target_archE908ELNS1_3gpuE7ELNS1_3repE0EEENS1_30default_config_static_selectorELNS0_4arch9wavefront6targetE1EEEvSY_.has_recursion, 0
	.set _ZN7rocprim17ROCPRIM_400000_NS6detail17trampoline_kernelINS0_13select_configILj256ELj13ELNS0_17block_load_methodE3ELS4_3ELS4_3ELNS0_20block_scan_algorithmE0ELj4294967295EEENS1_25partition_config_selectorILNS1_17partition_subalgoE3EjNS0_10empty_typeEbEEZZNS1_14partition_implILS8_3ELb0ES6_jNS0_17counting_iteratorIjlEEPS9_SE_NS0_5tupleIJPjSE_EEENSF_IJSE_SE_EEES9_SG_JZNS1_25segmented_radix_sort_implINS0_14default_configELb1EPKsPsPKlPlN2at6native12_GLOBAL__N_18offset_tEEE10hipError_tPvRmT1_PNSt15iterator_traitsISY_E10value_typeET2_T3_PNSZ_IS14_E10value_typeET4_jRbjT5_S1A_jjP12ihipStream_tbEUljE_EEESV_SW_SX_S14_S18_S1A_T6_T7_T9_mT8_S1C_bDpT10_ENKUlT_T0_E_clISt17integral_constantIbLb1EES1O_IbLb0EEEEDaS1K_S1L_EUlS1K_E_NS1_11comp_targetILNS1_3genE3ELNS1_11target_archE908ELNS1_3gpuE7ELNS1_3repE0EEENS1_30default_config_static_selectorELNS0_4arch9wavefront6targetE1EEEvSY_.has_indirect_call, 0
	.section	.AMDGPU.csdata,"",@progbits
; Kernel info:
; codeLenInByte = 0
; TotalNumSgprs: 4
; NumVgprs: 0
; ScratchSize: 0
; MemoryBound: 0
; FloatMode: 240
; IeeeMode: 1
; LDSByteSize: 0 bytes/workgroup (compile time only)
; SGPRBlocks: 0
; VGPRBlocks: 0
; NumSGPRsForWavesPerEU: 4
; NumVGPRsForWavesPerEU: 1
; Occupancy: 10
; WaveLimiterHint : 0
; COMPUTE_PGM_RSRC2:SCRATCH_EN: 0
; COMPUTE_PGM_RSRC2:USER_SGPR: 6
; COMPUTE_PGM_RSRC2:TRAP_HANDLER: 0
; COMPUTE_PGM_RSRC2:TGID_X_EN: 1
; COMPUTE_PGM_RSRC2:TGID_Y_EN: 0
; COMPUTE_PGM_RSRC2:TGID_Z_EN: 0
; COMPUTE_PGM_RSRC2:TIDIG_COMP_CNT: 0
	.section	.text._ZN7rocprim17ROCPRIM_400000_NS6detail17trampoline_kernelINS0_13select_configILj256ELj13ELNS0_17block_load_methodE3ELS4_3ELS4_3ELNS0_20block_scan_algorithmE0ELj4294967295EEENS1_25partition_config_selectorILNS1_17partition_subalgoE3EjNS0_10empty_typeEbEEZZNS1_14partition_implILS8_3ELb0ES6_jNS0_17counting_iteratorIjlEEPS9_SE_NS0_5tupleIJPjSE_EEENSF_IJSE_SE_EEES9_SG_JZNS1_25segmented_radix_sort_implINS0_14default_configELb1EPKsPsPKlPlN2at6native12_GLOBAL__N_18offset_tEEE10hipError_tPvRmT1_PNSt15iterator_traitsISY_E10value_typeET2_T3_PNSZ_IS14_E10value_typeET4_jRbjT5_S1A_jjP12ihipStream_tbEUljE_EEESV_SW_SX_S14_S18_S1A_T6_T7_T9_mT8_S1C_bDpT10_ENKUlT_T0_E_clISt17integral_constantIbLb1EES1O_IbLb0EEEEDaS1K_S1L_EUlS1K_E_NS1_11comp_targetILNS1_3genE2ELNS1_11target_archE906ELNS1_3gpuE6ELNS1_3repE0EEENS1_30default_config_static_selectorELNS0_4arch9wavefront6targetE1EEEvSY_,"axG",@progbits,_ZN7rocprim17ROCPRIM_400000_NS6detail17trampoline_kernelINS0_13select_configILj256ELj13ELNS0_17block_load_methodE3ELS4_3ELS4_3ELNS0_20block_scan_algorithmE0ELj4294967295EEENS1_25partition_config_selectorILNS1_17partition_subalgoE3EjNS0_10empty_typeEbEEZZNS1_14partition_implILS8_3ELb0ES6_jNS0_17counting_iteratorIjlEEPS9_SE_NS0_5tupleIJPjSE_EEENSF_IJSE_SE_EEES9_SG_JZNS1_25segmented_radix_sort_implINS0_14default_configELb1EPKsPsPKlPlN2at6native12_GLOBAL__N_18offset_tEEE10hipError_tPvRmT1_PNSt15iterator_traitsISY_E10value_typeET2_T3_PNSZ_IS14_E10value_typeET4_jRbjT5_S1A_jjP12ihipStream_tbEUljE_EEESV_SW_SX_S14_S18_S1A_T6_T7_T9_mT8_S1C_bDpT10_ENKUlT_T0_E_clISt17integral_constantIbLb1EES1O_IbLb0EEEEDaS1K_S1L_EUlS1K_E_NS1_11comp_targetILNS1_3genE2ELNS1_11target_archE906ELNS1_3gpuE6ELNS1_3repE0EEENS1_30default_config_static_selectorELNS0_4arch9wavefront6targetE1EEEvSY_,comdat
	.globl	_ZN7rocprim17ROCPRIM_400000_NS6detail17trampoline_kernelINS0_13select_configILj256ELj13ELNS0_17block_load_methodE3ELS4_3ELS4_3ELNS0_20block_scan_algorithmE0ELj4294967295EEENS1_25partition_config_selectorILNS1_17partition_subalgoE3EjNS0_10empty_typeEbEEZZNS1_14partition_implILS8_3ELb0ES6_jNS0_17counting_iteratorIjlEEPS9_SE_NS0_5tupleIJPjSE_EEENSF_IJSE_SE_EEES9_SG_JZNS1_25segmented_radix_sort_implINS0_14default_configELb1EPKsPsPKlPlN2at6native12_GLOBAL__N_18offset_tEEE10hipError_tPvRmT1_PNSt15iterator_traitsISY_E10value_typeET2_T3_PNSZ_IS14_E10value_typeET4_jRbjT5_S1A_jjP12ihipStream_tbEUljE_EEESV_SW_SX_S14_S18_S1A_T6_T7_T9_mT8_S1C_bDpT10_ENKUlT_T0_E_clISt17integral_constantIbLb1EES1O_IbLb0EEEEDaS1K_S1L_EUlS1K_E_NS1_11comp_targetILNS1_3genE2ELNS1_11target_archE906ELNS1_3gpuE6ELNS1_3repE0EEENS1_30default_config_static_selectorELNS0_4arch9wavefront6targetE1EEEvSY_ ; -- Begin function _ZN7rocprim17ROCPRIM_400000_NS6detail17trampoline_kernelINS0_13select_configILj256ELj13ELNS0_17block_load_methodE3ELS4_3ELS4_3ELNS0_20block_scan_algorithmE0ELj4294967295EEENS1_25partition_config_selectorILNS1_17partition_subalgoE3EjNS0_10empty_typeEbEEZZNS1_14partition_implILS8_3ELb0ES6_jNS0_17counting_iteratorIjlEEPS9_SE_NS0_5tupleIJPjSE_EEENSF_IJSE_SE_EEES9_SG_JZNS1_25segmented_radix_sort_implINS0_14default_configELb1EPKsPsPKlPlN2at6native12_GLOBAL__N_18offset_tEEE10hipError_tPvRmT1_PNSt15iterator_traitsISY_E10value_typeET2_T3_PNSZ_IS14_E10value_typeET4_jRbjT5_S1A_jjP12ihipStream_tbEUljE_EEESV_SW_SX_S14_S18_S1A_T6_T7_T9_mT8_S1C_bDpT10_ENKUlT_T0_E_clISt17integral_constantIbLb1EES1O_IbLb0EEEEDaS1K_S1L_EUlS1K_E_NS1_11comp_targetILNS1_3genE2ELNS1_11target_archE906ELNS1_3gpuE6ELNS1_3repE0EEENS1_30default_config_static_selectorELNS0_4arch9wavefront6targetE1EEEvSY_
	.p2align	8
	.type	_ZN7rocprim17ROCPRIM_400000_NS6detail17trampoline_kernelINS0_13select_configILj256ELj13ELNS0_17block_load_methodE3ELS4_3ELS4_3ELNS0_20block_scan_algorithmE0ELj4294967295EEENS1_25partition_config_selectorILNS1_17partition_subalgoE3EjNS0_10empty_typeEbEEZZNS1_14partition_implILS8_3ELb0ES6_jNS0_17counting_iteratorIjlEEPS9_SE_NS0_5tupleIJPjSE_EEENSF_IJSE_SE_EEES9_SG_JZNS1_25segmented_radix_sort_implINS0_14default_configELb1EPKsPsPKlPlN2at6native12_GLOBAL__N_18offset_tEEE10hipError_tPvRmT1_PNSt15iterator_traitsISY_E10value_typeET2_T3_PNSZ_IS14_E10value_typeET4_jRbjT5_S1A_jjP12ihipStream_tbEUljE_EEESV_SW_SX_S14_S18_S1A_T6_T7_T9_mT8_S1C_bDpT10_ENKUlT_T0_E_clISt17integral_constantIbLb1EES1O_IbLb0EEEEDaS1K_S1L_EUlS1K_E_NS1_11comp_targetILNS1_3genE2ELNS1_11target_archE906ELNS1_3gpuE6ELNS1_3repE0EEENS1_30default_config_static_selectorELNS0_4arch9wavefront6targetE1EEEvSY_,@function
_ZN7rocprim17ROCPRIM_400000_NS6detail17trampoline_kernelINS0_13select_configILj256ELj13ELNS0_17block_load_methodE3ELS4_3ELS4_3ELNS0_20block_scan_algorithmE0ELj4294967295EEENS1_25partition_config_selectorILNS1_17partition_subalgoE3EjNS0_10empty_typeEbEEZZNS1_14partition_implILS8_3ELb0ES6_jNS0_17counting_iteratorIjlEEPS9_SE_NS0_5tupleIJPjSE_EEENSF_IJSE_SE_EEES9_SG_JZNS1_25segmented_radix_sort_implINS0_14default_configELb1EPKsPsPKlPlN2at6native12_GLOBAL__N_18offset_tEEE10hipError_tPvRmT1_PNSt15iterator_traitsISY_E10value_typeET2_T3_PNSZ_IS14_E10value_typeET4_jRbjT5_S1A_jjP12ihipStream_tbEUljE_EEESV_SW_SX_S14_S18_S1A_T6_T7_T9_mT8_S1C_bDpT10_ENKUlT_T0_E_clISt17integral_constantIbLb1EES1O_IbLb0EEEEDaS1K_S1L_EUlS1K_E_NS1_11comp_targetILNS1_3genE2ELNS1_11target_archE906ELNS1_3gpuE6ELNS1_3repE0EEENS1_30default_config_static_selectorELNS0_4arch9wavefront6targetE1EEEvSY_: ; @_ZN7rocprim17ROCPRIM_400000_NS6detail17trampoline_kernelINS0_13select_configILj256ELj13ELNS0_17block_load_methodE3ELS4_3ELS4_3ELNS0_20block_scan_algorithmE0ELj4294967295EEENS1_25partition_config_selectorILNS1_17partition_subalgoE3EjNS0_10empty_typeEbEEZZNS1_14partition_implILS8_3ELb0ES6_jNS0_17counting_iteratorIjlEEPS9_SE_NS0_5tupleIJPjSE_EEENSF_IJSE_SE_EEES9_SG_JZNS1_25segmented_radix_sort_implINS0_14default_configELb1EPKsPsPKlPlN2at6native12_GLOBAL__N_18offset_tEEE10hipError_tPvRmT1_PNSt15iterator_traitsISY_E10value_typeET2_T3_PNSZ_IS14_E10value_typeET4_jRbjT5_S1A_jjP12ihipStream_tbEUljE_EEESV_SW_SX_S14_S18_S1A_T6_T7_T9_mT8_S1C_bDpT10_ENKUlT_T0_E_clISt17integral_constantIbLb1EES1O_IbLb0EEEEDaS1K_S1L_EUlS1K_E_NS1_11comp_targetILNS1_3genE2ELNS1_11target_archE906ELNS1_3gpuE6ELNS1_3repE0EEENS1_30default_config_static_selectorELNS0_4arch9wavefront6targetE1EEEvSY_
; %bb.0:
	s_endpgm
	.section	.rodata,"a",@progbits
	.p2align	6, 0x0
	.amdhsa_kernel _ZN7rocprim17ROCPRIM_400000_NS6detail17trampoline_kernelINS0_13select_configILj256ELj13ELNS0_17block_load_methodE3ELS4_3ELS4_3ELNS0_20block_scan_algorithmE0ELj4294967295EEENS1_25partition_config_selectorILNS1_17partition_subalgoE3EjNS0_10empty_typeEbEEZZNS1_14partition_implILS8_3ELb0ES6_jNS0_17counting_iteratorIjlEEPS9_SE_NS0_5tupleIJPjSE_EEENSF_IJSE_SE_EEES9_SG_JZNS1_25segmented_radix_sort_implINS0_14default_configELb1EPKsPsPKlPlN2at6native12_GLOBAL__N_18offset_tEEE10hipError_tPvRmT1_PNSt15iterator_traitsISY_E10value_typeET2_T3_PNSZ_IS14_E10value_typeET4_jRbjT5_S1A_jjP12ihipStream_tbEUljE_EEESV_SW_SX_S14_S18_S1A_T6_T7_T9_mT8_S1C_bDpT10_ENKUlT_T0_E_clISt17integral_constantIbLb1EES1O_IbLb0EEEEDaS1K_S1L_EUlS1K_E_NS1_11comp_targetILNS1_3genE2ELNS1_11target_archE906ELNS1_3gpuE6ELNS1_3repE0EEENS1_30default_config_static_selectorELNS0_4arch9wavefront6targetE1EEEvSY_
		.amdhsa_group_segment_fixed_size 0
		.amdhsa_private_segment_fixed_size 0
		.amdhsa_kernarg_size 144
		.amdhsa_user_sgpr_count 6
		.amdhsa_user_sgpr_private_segment_buffer 1
		.amdhsa_user_sgpr_dispatch_ptr 0
		.amdhsa_user_sgpr_queue_ptr 0
		.amdhsa_user_sgpr_kernarg_segment_ptr 1
		.amdhsa_user_sgpr_dispatch_id 0
		.amdhsa_user_sgpr_flat_scratch_init 0
		.amdhsa_user_sgpr_private_segment_size 0
		.amdhsa_uses_dynamic_stack 0
		.amdhsa_system_sgpr_private_segment_wavefront_offset 0
		.amdhsa_system_sgpr_workgroup_id_x 1
		.amdhsa_system_sgpr_workgroup_id_y 0
		.amdhsa_system_sgpr_workgroup_id_z 0
		.amdhsa_system_sgpr_workgroup_info 0
		.amdhsa_system_vgpr_workitem_id 0
		.amdhsa_next_free_vgpr 1
		.amdhsa_next_free_sgpr 0
		.amdhsa_reserve_vcc 0
		.amdhsa_reserve_flat_scratch 0
		.amdhsa_float_round_mode_32 0
		.amdhsa_float_round_mode_16_64 0
		.amdhsa_float_denorm_mode_32 3
		.amdhsa_float_denorm_mode_16_64 3
		.amdhsa_dx10_clamp 1
		.amdhsa_ieee_mode 1
		.amdhsa_fp16_overflow 0
		.amdhsa_exception_fp_ieee_invalid_op 0
		.amdhsa_exception_fp_denorm_src 0
		.amdhsa_exception_fp_ieee_div_zero 0
		.amdhsa_exception_fp_ieee_overflow 0
		.amdhsa_exception_fp_ieee_underflow 0
		.amdhsa_exception_fp_ieee_inexact 0
		.amdhsa_exception_int_div_zero 0
	.end_amdhsa_kernel
	.section	.text._ZN7rocprim17ROCPRIM_400000_NS6detail17trampoline_kernelINS0_13select_configILj256ELj13ELNS0_17block_load_methodE3ELS4_3ELS4_3ELNS0_20block_scan_algorithmE0ELj4294967295EEENS1_25partition_config_selectorILNS1_17partition_subalgoE3EjNS0_10empty_typeEbEEZZNS1_14partition_implILS8_3ELb0ES6_jNS0_17counting_iteratorIjlEEPS9_SE_NS0_5tupleIJPjSE_EEENSF_IJSE_SE_EEES9_SG_JZNS1_25segmented_radix_sort_implINS0_14default_configELb1EPKsPsPKlPlN2at6native12_GLOBAL__N_18offset_tEEE10hipError_tPvRmT1_PNSt15iterator_traitsISY_E10value_typeET2_T3_PNSZ_IS14_E10value_typeET4_jRbjT5_S1A_jjP12ihipStream_tbEUljE_EEESV_SW_SX_S14_S18_S1A_T6_T7_T9_mT8_S1C_bDpT10_ENKUlT_T0_E_clISt17integral_constantIbLb1EES1O_IbLb0EEEEDaS1K_S1L_EUlS1K_E_NS1_11comp_targetILNS1_3genE2ELNS1_11target_archE906ELNS1_3gpuE6ELNS1_3repE0EEENS1_30default_config_static_selectorELNS0_4arch9wavefront6targetE1EEEvSY_,"axG",@progbits,_ZN7rocprim17ROCPRIM_400000_NS6detail17trampoline_kernelINS0_13select_configILj256ELj13ELNS0_17block_load_methodE3ELS4_3ELS4_3ELNS0_20block_scan_algorithmE0ELj4294967295EEENS1_25partition_config_selectorILNS1_17partition_subalgoE3EjNS0_10empty_typeEbEEZZNS1_14partition_implILS8_3ELb0ES6_jNS0_17counting_iteratorIjlEEPS9_SE_NS0_5tupleIJPjSE_EEENSF_IJSE_SE_EEES9_SG_JZNS1_25segmented_radix_sort_implINS0_14default_configELb1EPKsPsPKlPlN2at6native12_GLOBAL__N_18offset_tEEE10hipError_tPvRmT1_PNSt15iterator_traitsISY_E10value_typeET2_T3_PNSZ_IS14_E10value_typeET4_jRbjT5_S1A_jjP12ihipStream_tbEUljE_EEESV_SW_SX_S14_S18_S1A_T6_T7_T9_mT8_S1C_bDpT10_ENKUlT_T0_E_clISt17integral_constantIbLb1EES1O_IbLb0EEEEDaS1K_S1L_EUlS1K_E_NS1_11comp_targetILNS1_3genE2ELNS1_11target_archE906ELNS1_3gpuE6ELNS1_3repE0EEENS1_30default_config_static_selectorELNS0_4arch9wavefront6targetE1EEEvSY_,comdat
.Lfunc_end899:
	.size	_ZN7rocprim17ROCPRIM_400000_NS6detail17trampoline_kernelINS0_13select_configILj256ELj13ELNS0_17block_load_methodE3ELS4_3ELS4_3ELNS0_20block_scan_algorithmE0ELj4294967295EEENS1_25partition_config_selectorILNS1_17partition_subalgoE3EjNS0_10empty_typeEbEEZZNS1_14partition_implILS8_3ELb0ES6_jNS0_17counting_iteratorIjlEEPS9_SE_NS0_5tupleIJPjSE_EEENSF_IJSE_SE_EEES9_SG_JZNS1_25segmented_radix_sort_implINS0_14default_configELb1EPKsPsPKlPlN2at6native12_GLOBAL__N_18offset_tEEE10hipError_tPvRmT1_PNSt15iterator_traitsISY_E10value_typeET2_T3_PNSZ_IS14_E10value_typeET4_jRbjT5_S1A_jjP12ihipStream_tbEUljE_EEESV_SW_SX_S14_S18_S1A_T6_T7_T9_mT8_S1C_bDpT10_ENKUlT_T0_E_clISt17integral_constantIbLb1EES1O_IbLb0EEEEDaS1K_S1L_EUlS1K_E_NS1_11comp_targetILNS1_3genE2ELNS1_11target_archE906ELNS1_3gpuE6ELNS1_3repE0EEENS1_30default_config_static_selectorELNS0_4arch9wavefront6targetE1EEEvSY_, .Lfunc_end899-_ZN7rocprim17ROCPRIM_400000_NS6detail17trampoline_kernelINS0_13select_configILj256ELj13ELNS0_17block_load_methodE3ELS4_3ELS4_3ELNS0_20block_scan_algorithmE0ELj4294967295EEENS1_25partition_config_selectorILNS1_17partition_subalgoE3EjNS0_10empty_typeEbEEZZNS1_14partition_implILS8_3ELb0ES6_jNS0_17counting_iteratorIjlEEPS9_SE_NS0_5tupleIJPjSE_EEENSF_IJSE_SE_EEES9_SG_JZNS1_25segmented_radix_sort_implINS0_14default_configELb1EPKsPsPKlPlN2at6native12_GLOBAL__N_18offset_tEEE10hipError_tPvRmT1_PNSt15iterator_traitsISY_E10value_typeET2_T3_PNSZ_IS14_E10value_typeET4_jRbjT5_S1A_jjP12ihipStream_tbEUljE_EEESV_SW_SX_S14_S18_S1A_T6_T7_T9_mT8_S1C_bDpT10_ENKUlT_T0_E_clISt17integral_constantIbLb1EES1O_IbLb0EEEEDaS1K_S1L_EUlS1K_E_NS1_11comp_targetILNS1_3genE2ELNS1_11target_archE906ELNS1_3gpuE6ELNS1_3repE0EEENS1_30default_config_static_selectorELNS0_4arch9wavefront6targetE1EEEvSY_
                                        ; -- End function
	.set _ZN7rocprim17ROCPRIM_400000_NS6detail17trampoline_kernelINS0_13select_configILj256ELj13ELNS0_17block_load_methodE3ELS4_3ELS4_3ELNS0_20block_scan_algorithmE0ELj4294967295EEENS1_25partition_config_selectorILNS1_17partition_subalgoE3EjNS0_10empty_typeEbEEZZNS1_14partition_implILS8_3ELb0ES6_jNS0_17counting_iteratorIjlEEPS9_SE_NS0_5tupleIJPjSE_EEENSF_IJSE_SE_EEES9_SG_JZNS1_25segmented_radix_sort_implINS0_14default_configELb1EPKsPsPKlPlN2at6native12_GLOBAL__N_18offset_tEEE10hipError_tPvRmT1_PNSt15iterator_traitsISY_E10value_typeET2_T3_PNSZ_IS14_E10value_typeET4_jRbjT5_S1A_jjP12ihipStream_tbEUljE_EEESV_SW_SX_S14_S18_S1A_T6_T7_T9_mT8_S1C_bDpT10_ENKUlT_T0_E_clISt17integral_constantIbLb1EES1O_IbLb0EEEEDaS1K_S1L_EUlS1K_E_NS1_11comp_targetILNS1_3genE2ELNS1_11target_archE906ELNS1_3gpuE6ELNS1_3repE0EEENS1_30default_config_static_selectorELNS0_4arch9wavefront6targetE1EEEvSY_.num_vgpr, 0
	.set _ZN7rocprim17ROCPRIM_400000_NS6detail17trampoline_kernelINS0_13select_configILj256ELj13ELNS0_17block_load_methodE3ELS4_3ELS4_3ELNS0_20block_scan_algorithmE0ELj4294967295EEENS1_25partition_config_selectorILNS1_17partition_subalgoE3EjNS0_10empty_typeEbEEZZNS1_14partition_implILS8_3ELb0ES6_jNS0_17counting_iteratorIjlEEPS9_SE_NS0_5tupleIJPjSE_EEENSF_IJSE_SE_EEES9_SG_JZNS1_25segmented_radix_sort_implINS0_14default_configELb1EPKsPsPKlPlN2at6native12_GLOBAL__N_18offset_tEEE10hipError_tPvRmT1_PNSt15iterator_traitsISY_E10value_typeET2_T3_PNSZ_IS14_E10value_typeET4_jRbjT5_S1A_jjP12ihipStream_tbEUljE_EEESV_SW_SX_S14_S18_S1A_T6_T7_T9_mT8_S1C_bDpT10_ENKUlT_T0_E_clISt17integral_constantIbLb1EES1O_IbLb0EEEEDaS1K_S1L_EUlS1K_E_NS1_11comp_targetILNS1_3genE2ELNS1_11target_archE906ELNS1_3gpuE6ELNS1_3repE0EEENS1_30default_config_static_selectorELNS0_4arch9wavefront6targetE1EEEvSY_.num_agpr, 0
	.set _ZN7rocprim17ROCPRIM_400000_NS6detail17trampoline_kernelINS0_13select_configILj256ELj13ELNS0_17block_load_methodE3ELS4_3ELS4_3ELNS0_20block_scan_algorithmE0ELj4294967295EEENS1_25partition_config_selectorILNS1_17partition_subalgoE3EjNS0_10empty_typeEbEEZZNS1_14partition_implILS8_3ELb0ES6_jNS0_17counting_iteratorIjlEEPS9_SE_NS0_5tupleIJPjSE_EEENSF_IJSE_SE_EEES9_SG_JZNS1_25segmented_radix_sort_implINS0_14default_configELb1EPKsPsPKlPlN2at6native12_GLOBAL__N_18offset_tEEE10hipError_tPvRmT1_PNSt15iterator_traitsISY_E10value_typeET2_T3_PNSZ_IS14_E10value_typeET4_jRbjT5_S1A_jjP12ihipStream_tbEUljE_EEESV_SW_SX_S14_S18_S1A_T6_T7_T9_mT8_S1C_bDpT10_ENKUlT_T0_E_clISt17integral_constantIbLb1EES1O_IbLb0EEEEDaS1K_S1L_EUlS1K_E_NS1_11comp_targetILNS1_3genE2ELNS1_11target_archE906ELNS1_3gpuE6ELNS1_3repE0EEENS1_30default_config_static_selectorELNS0_4arch9wavefront6targetE1EEEvSY_.numbered_sgpr, 0
	.set _ZN7rocprim17ROCPRIM_400000_NS6detail17trampoline_kernelINS0_13select_configILj256ELj13ELNS0_17block_load_methodE3ELS4_3ELS4_3ELNS0_20block_scan_algorithmE0ELj4294967295EEENS1_25partition_config_selectorILNS1_17partition_subalgoE3EjNS0_10empty_typeEbEEZZNS1_14partition_implILS8_3ELb0ES6_jNS0_17counting_iteratorIjlEEPS9_SE_NS0_5tupleIJPjSE_EEENSF_IJSE_SE_EEES9_SG_JZNS1_25segmented_radix_sort_implINS0_14default_configELb1EPKsPsPKlPlN2at6native12_GLOBAL__N_18offset_tEEE10hipError_tPvRmT1_PNSt15iterator_traitsISY_E10value_typeET2_T3_PNSZ_IS14_E10value_typeET4_jRbjT5_S1A_jjP12ihipStream_tbEUljE_EEESV_SW_SX_S14_S18_S1A_T6_T7_T9_mT8_S1C_bDpT10_ENKUlT_T0_E_clISt17integral_constantIbLb1EES1O_IbLb0EEEEDaS1K_S1L_EUlS1K_E_NS1_11comp_targetILNS1_3genE2ELNS1_11target_archE906ELNS1_3gpuE6ELNS1_3repE0EEENS1_30default_config_static_selectorELNS0_4arch9wavefront6targetE1EEEvSY_.num_named_barrier, 0
	.set _ZN7rocprim17ROCPRIM_400000_NS6detail17trampoline_kernelINS0_13select_configILj256ELj13ELNS0_17block_load_methodE3ELS4_3ELS4_3ELNS0_20block_scan_algorithmE0ELj4294967295EEENS1_25partition_config_selectorILNS1_17partition_subalgoE3EjNS0_10empty_typeEbEEZZNS1_14partition_implILS8_3ELb0ES6_jNS0_17counting_iteratorIjlEEPS9_SE_NS0_5tupleIJPjSE_EEENSF_IJSE_SE_EEES9_SG_JZNS1_25segmented_radix_sort_implINS0_14default_configELb1EPKsPsPKlPlN2at6native12_GLOBAL__N_18offset_tEEE10hipError_tPvRmT1_PNSt15iterator_traitsISY_E10value_typeET2_T3_PNSZ_IS14_E10value_typeET4_jRbjT5_S1A_jjP12ihipStream_tbEUljE_EEESV_SW_SX_S14_S18_S1A_T6_T7_T9_mT8_S1C_bDpT10_ENKUlT_T0_E_clISt17integral_constantIbLb1EES1O_IbLb0EEEEDaS1K_S1L_EUlS1K_E_NS1_11comp_targetILNS1_3genE2ELNS1_11target_archE906ELNS1_3gpuE6ELNS1_3repE0EEENS1_30default_config_static_selectorELNS0_4arch9wavefront6targetE1EEEvSY_.private_seg_size, 0
	.set _ZN7rocprim17ROCPRIM_400000_NS6detail17trampoline_kernelINS0_13select_configILj256ELj13ELNS0_17block_load_methodE3ELS4_3ELS4_3ELNS0_20block_scan_algorithmE0ELj4294967295EEENS1_25partition_config_selectorILNS1_17partition_subalgoE3EjNS0_10empty_typeEbEEZZNS1_14partition_implILS8_3ELb0ES6_jNS0_17counting_iteratorIjlEEPS9_SE_NS0_5tupleIJPjSE_EEENSF_IJSE_SE_EEES9_SG_JZNS1_25segmented_radix_sort_implINS0_14default_configELb1EPKsPsPKlPlN2at6native12_GLOBAL__N_18offset_tEEE10hipError_tPvRmT1_PNSt15iterator_traitsISY_E10value_typeET2_T3_PNSZ_IS14_E10value_typeET4_jRbjT5_S1A_jjP12ihipStream_tbEUljE_EEESV_SW_SX_S14_S18_S1A_T6_T7_T9_mT8_S1C_bDpT10_ENKUlT_T0_E_clISt17integral_constantIbLb1EES1O_IbLb0EEEEDaS1K_S1L_EUlS1K_E_NS1_11comp_targetILNS1_3genE2ELNS1_11target_archE906ELNS1_3gpuE6ELNS1_3repE0EEENS1_30default_config_static_selectorELNS0_4arch9wavefront6targetE1EEEvSY_.uses_vcc, 0
	.set _ZN7rocprim17ROCPRIM_400000_NS6detail17trampoline_kernelINS0_13select_configILj256ELj13ELNS0_17block_load_methodE3ELS4_3ELS4_3ELNS0_20block_scan_algorithmE0ELj4294967295EEENS1_25partition_config_selectorILNS1_17partition_subalgoE3EjNS0_10empty_typeEbEEZZNS1_14partition_implILS8_3ELb0ES6_jNS0_17counting_iteratorIjlEEPS9_SE_NS0_5tupleIJPjSE_EEENSF_IJSE_SE_EEES9_SG_JZNS1_25segmented_radix_sort_implINS0_14default_configELb1EPKsPsPKlPlN2at6native12_GLOBAL__N_18offset_tEEE10hipError_tPvRmT1_PNSt15iterator_traitsISY_E10value_typeET2_T3_PNSZ_IS14_E10value_typeET4_jRbjT5_S1A_jjP12ihipStream_tbEUljE_EEESV_SW_SX_S14_S18_S1A_T6_T7_T9_mT8_S1C_bDpT10_ENKUlT_T0_E_clISt17integral_constantIbLb1EES1O_IbLb0EEEEDaS1K_S1L_EUlS1K_E_NS1_11comp_targetILNS1_3genE2ELNS1_11target_archE906ELNS1_3gpuE6ELNS1_3repE0EEENS1_30default_config_static_selectorELNS0_4arch9wavefront6targetE1EEEvSY_.uses_flat_scratch, 0
	.set _ZN7rocprim17ROCPRIM_400000_NS6detail17trampoline_kernelINS0_13select_configILj256ELj13ELNS0_17block_load_methodE3ELS4_3ELS4_3ELNS0_20block_scan_algorithmE0ELj4294967295EEENS1_25partition_config_selectorILNS1_17partition_subalgoE3EjNS0_10empty_typeEbEEZZNS1_14partition_implILS8_3ELb0ES6_jNS0_17counting_iteratorIjlEEPS9_SE_NS0_5tupleIJPjSE_EEENSF_IJSE_SE_EEES9_SG_JZNS1_25segmented_radix_sort_implINS0_14default_configELb1EPKsPsPKlPlN2at6native12_GLOBAL__N_18offset_tEEE10hipError_tPvRmT1_PNSt15iterator_traitsISY_E10value_typeET2_T3_PNSZ_IS14_E10value_typeET4_jRbjT5_S1A_jjP12ihipStream_tbEUljE_EEESV_SW_SX_S14_S18_S1A_T6_T7_T9_mT8_S1C_bDpT10_ENKUlT_T0_E_clISt17integral_constantIbLb1EES1O_IbLb0EEEEDaS1K_S1L_EUlS1K_E_NS1_11comp_targetILNS1_3genE2ELNS1_11target_archE906ELNS1_3gpuE6ELNS1_3repE0EEENS1_30default_config_static_selectorELNS0_4arch9wavefront6targetE1EEEvSY_.has_dyn_sized_stack, 0
	.set _ZN7rocprim17ROCPRIM_400000_NS6detail17trampoline_kernelINS0_13select_configILj256ELj13ELNS0_17block_load_methodE3ELS4_3ELS4_3ELNS0_20block_scan_algorithmE0ELj4294967295EEENS1_25partition_config_selectorILNS1_17partition_subalgoE3EjNS0_10empty_typeEbEEZZNS1_14partition_implILS8_3ELb0ES6_jNS0_17counting_iteratorIjlEEPS9_SE_NS0_5tupleIJPjSE_EEENSF_IJSE_SE_EEES9_SG_JZNS1_25segmented_radix_sort_implINS0_14default_configELb1EPKsPsPKlPlN2at6native12_GLOBAL__N_18offset_tEEE10hipError_tPvRmT1_PNSt15iterator_traitsISY_E10value_typeET2_T3_PNSZ_IS14_E10value_typeET4_jRbjT5_S1A_jjP12ihipStream_tbEUljE_EEESV_SW_SX_S14_S18_S1A_T6_T7_T9_mT8_S1C_bDpT10_ENKUlT_T0_E_clISt17integral_constantIbLb1EES1O_IbLb0EEEEDaS1K_S1L_EUlS1K_E_NS1_11comp_targetILNS1_3genE2ELNS1_11target_archE906ELNS1_3gpuE6ELNS1_3repE0EEENS1_30default_config_static_selectorELNS0_4arch9wavefront6targetE1EEEvSY_.has_recursion, 0
	.set _ZN7rocprim17ROCPRIM_400000_NS6detail17trampoline_kernelINS0_13select_configILj256ELj13ELNS0_17block_load_methodE3ELS4_3ELS4_3ELNS0_20block_scan_algorithmE0ELj4294967295EEENS1_25partition_config_selectorILNS1_17partition_subalgoE3EjNS0_10empty_typeEbEEZZNS1_14partition_implILS8_3ELb0ES6_jNS0_17counting_iteratorIjlEEPS9_SE_NS0_5tupleIJPjSE_EEENSF_IJSE_SE_EEES9_SG_JZNS1_25segmented_radix_sort_implINS0_14default_configELb1EPKsPsPKlPlN2at6native12_GLOBAL__N_18offset_tEEE10hipError_tPvRmT1_PNSt15iterator_traitsISY_E10value_typeET2_T3_PNSZ_IS14_E10value_typeET4_jRbjT5_S1A_jjP12ihipStream_tbEUljE_EEESV_SW_SX_S14_S18_S1A_T6_T7_T9_mT8_S1C_bDpT10_ENKUlT_T0_E_clISt17integral_constantIbLb1EES1O_IbLb0EEEEDaS1K_S1L_EUlS1K_E_NS1_11comp_targetILNS1_3genE2ELNS1_11target_archE906ELNS1_3gpuE6ELNS1_3repE0EEENS1_30default_config_static_selectorELNS0_4arch9wavefront6targetE1EEEvSY_.has_indirect_call, 0
	.section	.AMDGPU.csdata,"",@progbits
; Kernel info:
; codeLenInByte = 4
; TotalNumSgprs: 4
; NumVgprs: 0
; ScratchSize: 0
; MemoryBound: 0
; FloatMode: 240
; IeeeMode: 1
; LDSByteSize: 0 bytes/workgroup (compile time only)
; SGPRBlocks: 0
; VGPRBlocks: 0
; NumSGPRsForWavesPerEU: 4
; NumVGPRsForWavesPerEU: 1
; Occupancy: 10
; WaveLimiterHint : 0
; COMPUTE_PGM_RSRC2:SCRATCH_EN: 0
; COMPUTE_PGM_RSRC2:USER_SGPR: 6
; COMPUTE_PGM_RSRC2:TRAP_HANDLER: 0
; COMPUTE_PGM_RSRC2:TGID_X_EN: 1
; COMPUTE_PGM_RSRC2:TGID_Y_EN: 0
; COMPUTE_PGM_RSRC2:TGID_Z_EN: 0
; COMPUTE_PGM_RSRC2:TIDIG_COMP_CNT: 0
	.section	.text._ZN7rocprim17ROCPRIM_400000_NS6detail17trampoline_kernelINS0_13select_configILj256ELj13ELNS0_17block_load_methodE3ELS4_3ELS4_3ELNS0_20block_scan_algorithmE0ELj4294967295EEENS1_25partition_config_selectorILNS1_17partition_subalgoE3EjNS0_10empty_typeEbEEZZNS1_14partition_implILS8_3ELb0ES6_jNS0_17counting_iteratorIjlEEPS9_SE_NS0_5tupleIJPjSE_EEENSF_IJSE_SE_EEES9_SG_JZNS1_25segmented_radix_sort_implINS0_14default_configELb1EPKsPsPKlPlN2at6native12_GLOBAL__N_18offset_tEEE10hipError_tPvRmT1_PNSt15iterator_traitsISY_E10value_typeET2_T3_PNSZ_IS14_E10value_typeET4_jRbjT5_S1A_jjP12ihipStream_tbEUljE_EEESV_SW_SX_S14_S18_S1A_T6_T7_T9_mT8_S1C_bDpT10_ENKUlT_T0_E_clISt17integral_constantIbLb1EES1O_IbLb0EEEEDaS1K_S1L_EUlS1K_E_NS1_11comp_targetILNS1_3genE10ELNS1_11target_archE1200ELNS1_3gpuE4ELNS1_3repE0EEENS1_30default_config_static_selectorELNS0_4arch9wavefront6targetE1EEEvSY_,"axG",@progbits,_ZN7rocprim17ROCPRIM_400000_NS6detail17trampoline_kernelINS0_13select_configILj256ELj13ELNS0_17block_load_methodE3ELS4_3ELS4_3ELNS0_20block_scan_algorithmE0ELj4294967295EEENS1_25partition_config_selectorILNS1_17partition_subalgoE3EjNS0_10empty_typeEbEEZZNS1_14partition_implILS8_3ELb0ES6_jNS0_17counting_iteratorIjlEEPS9_SE_NS0_5tupleIJPjSE_EEENSF_IJSE_SE_EEES9_SG_JZNS1_25segmented_radix_sort_implINS0_14default_configELb1EPKsPsPKlPlN2at6native12_GLOBAL__N_18offset_tEEE10hipError_tPvRmT1_PNSt15iterator_traitsISY_E10value_typeET2_T3_PNSZ_IS14_E10value_typeET4_jRbjT5_S1A_jjP12ihipStream_tbEUljE_EEESV_SW_SX_S14_S18_S1A_T6_T7_T9_mT8_S1C_bDpT10_ENKUlT_T0_E_clISt17integral_constantIbLb1EES1O_IbLb0EEEEDaS1K_S1L_EUlS1K_E_NS1_11comp_targetILNS1_3genE10ELNS1_11target_archE1200ELNS1_3gpuE4ELNS1_3repE0EEENS1_30default_config_static_selectorELNS0_4arch9wavefront6targetE1EEEvSY_,comdat
	.globl	_ZN7rocprim17ROCPRIM_400000_NS6detail17trampoline_kernelINS0_13select_configILj256ELj13ELNS0_17block_load_methodE3ELS4_3ELS4_3ELNS0_20block_scan_algorithmE0ELj4294967295EEENS1_25partition_config_selectorILNS1_17partition_subalgoE3EjNS0_10empty_typeEbEEZZNS1_14partition_implILS8_3ELb0ES6_jNS0_17counting_iteratorIjlEEPS9_SE_NS0_5tupleIJPjSE_EEENSF_IJSE_SE_EEES9_SG_JZNS1_25segmented_radix_sort_implINS0_14default_configELb1EPKsPsPKlPlN2at6native12_GLOBAL__N_18offset_tEEE10hipError_tPvRmT1_PNSt15iterator_traitsISY_E10value_typeET2_T3_PNSZ_IS14_E10value_typeET4_jRbjT5_S1A_jjP12ihipStream_tbEUljE_EEESV_SW_SX_S14_S18_S1A_T6_T7_T9_mT8_S1C_bDpT10_ENKUlT_T0_E_clISt17integral_constantIbLb1EES1O_IbLb0EEEEDaS1K_S1L_EUlS1K_E_NS1_11comp_targetILNS1_3genE10ELNS1_11target_archE1200ELNS1_3gpuE4ELNS1_3repE0EEENS1_30default_config_static_selectorELNS0_4arch9wavefront6targetE1EEEvSY_ ; -- Begin function _ZN7rocprim17ROCPRIM_400000_NS6detail17trampoline_kernelINS0_13select_configILj256ELj13ELNS0_17block_load_methodE3ELS4_3ELS4_3ELNS0_20block_scan_algorithmE0ELj4294967295EEENS1_25partition_config_selectorILNS1_17partition_subalgoE3EjNS0_10empty_typeEbEEZZNS1_14partition_implILS8_3ELb0ES6_jNS0_17counting_iteratorIjlEEPS9_SE_NS0_5tupleIJPjSE_EEENSF_IJSE_SE_EEES9_SG_JZNS1_25segmented_radix_sort_implINS0_14default_configELb1EPKsPsPKlPlN2at6native12_GLOBAL__N_18offset_tEEE10hipError_tPvRmT1_PNSt15iterator_traitsISY_E10value_typeET2_T3_PNSZ_IS14_E10value_typeET4_jRbjT5_S1A_jjP12ihipStream_tbEUljE_EEESV_SW_SX_S14_S18_S1A_T6_T7_T9_mT8_S1C_bDpT10_ENKUlT_T0_E_clISt17integral_constantIbLb1EES1O_IbLb0EEEEDaS1K_S1L_EUlS1K_E_NS1_11comp_targetILNS1_3genE10ELNS1_11target_archE1200ELNS1_3gpuE4ELNS1_3repE0EEENS1_30default_config_static_selectorELNS0_4arch9wavefront6targetE1EEEvSY_
	.p2align	8
	.type	_ZN7rocprim17ROCPRIM_400000_NS6detail17trampoline_kernelINS0_13select_configILj256ELj13ELNS0_17block_load_methodE3ELS4_3ELS4_3ELNS0_20block_scan_algorithmE0ELj4294967295EEENS1_25partition_config_selectorILNS1_17partition_subalgoE3EjNS0_10empty_typeEbEEZZNS1_14partition_implILS8_3ELb0ES6_jNS0_17counting_iteratorIjlEEPS9_SE_NS0_5tupleIJPjSE_EEENSF_IJSE_SE_EEES9_SG_JZNS1_25segmented_radix_sort_implINS0_14default_configELb1EPKsPsPKlPlN2at6native12_GLOBAL__N_18offset_tEEE10hipError_tPvRmT1_PNSt15iterator_traitsISY_E10value_typeET2_T3_PNSZ_IS14_E10value_typeET4_jRbjT5_S1A_jjP12ihipStream_tbEUljE_EEESV_SW_SX_S14_S18_S1A_T6_T7_T9_mT8_S1C_bDpT10_ENKUlT_T0_E_clISt17integral_constantIbLb1EES1O_IbLb0EEEEDaS1K_S1L_EUlS1K_E_NS1_11comp_targetILNS1_3genE10ELNS1_11target_archE1200ELNS1_3gpuE4ELNS1_3repE0EEENS1_30default_config_static_selectorELNS0_4arch9wavefront6targetE1EEEvSY_,@function
_ZN7rocprim17ROCPRIM_400000_NS6detail17trampoline_kernelINS0_13select_configILj256ELj13ELNS0_17block_load_methodE3ELS4_3ELS4_3ELNS0_20block_scan_algorithmE0ELj4294967295EEENS1_25partition_config_selectorILNS1_17partition_subalgoE3EjNS0_10empty_typeEbEEZZNS1_14partition_implILS8_3ELb0ES6_jNS0_17counting_iteratorIjlEEPS9_SE_NS0_5tupleIJPjSE_EEENSF_IJSE_SE_EEES9_SG_JZNS1_25segmented_radix_sort_implINS0_14default_configELb1EPKsPsPKlPlN2at6native12_GLOBAL__N_18offset_tEEE10hipError_tPvRmT1_PNSt15iterator_traitsISY_E10value_typeET2_T3_PNSZ_IS14_E10value_typeET4_jRbjT5_S1A_jjP12ihipStream_tbEUljE_EEESV_SW_SX_S14_S18_S1A_T6_T7_T9_mT8_S1C_bDpT10_ENKUlT_T0_E_clISt17integral_constantIbLb1EES1O_IbLb0EEEEDaS1K_S1L_EUlS1K_E_NS1_11comp_targetILNS1_3genE10ELNS1_11target_archE1200ELNS1_3gpuE4ELNS1_3repE0EEENS1_30default_config_static_selectorELNS0_4arch9wavefront6targetE1EEEvSY_: ; @_ZN7rocprim17ROCPRIM_400000_NS6detail17trampoline_kernelINS0_13select_configILj256ELj13ELNS0_17block_load_methodE3ELS4_3ELS4_3ELNS0_20block_scan_algorithmE0ELj4294967295EEENS1_25partition_config_selectorILNS1_17partition_subalgoE3EjNS0_10empty_typeEbEEZZNS1_14partition_implILS8_3ELb0ES6_jNS0_17counting_iteratorIjlEEPS9_SE_NS0_5tupleIJPjSE_EEENSF_IJSE_SE_EEES9_SG_JZNS1_25segmented_radix_sort_implINS0_14default_configELb1EPKsPsPKlPlN2at6native12_GLOBAL__N_18offset_tEEE10hipError_tPvRmT1_PNSt15iterator_traitsISY_E10value_typeET2_T3_PNSZ_IS14_E10value_typeET4_jRbjT5_S1A_jjP12ihipStream_tbEUljE_EEESV_SW_SX_S14_S18_S1A_T6_T7_T9_mT8_S1C_bDpT10_ENKUlT_T0_E_clISt17integral_constantIbLb1EES1O_IbLb0EEEEDaS1K_S1L_EUlS1K_E_NS1_11comp_targetILNS1_3genE10ELNS1_11target_archE1200ELNS1_3gpuE4ELNS1_3repE0EEENS1_30default_config_static_selectorELNS0_4arch9wavefront6targetE1EEEvSY_
; %bb.0:
	.section	.rodata,"a",@progbits
	.p2align	6, 0x0
	.amdhsa_kernel _ZN7rocprim17ROCPRIM_400000_NS6detail17trampoline_kernelINS0_13select_configILj256ELj13ELNS0_17block_load_methodE3ELS4_3ELS4_3ELNS0_20block_scan_algorithmE0ELj4294967295EEENS1_25partition_config_selectorILNS1_17partition_subalgoE3EjNS0_10empty_typeEbEEZZNS1_14partition_implILS8_3ELb0ES6_jNS0_17counting_iteratorIjlEEPS9_SE_NS0_5tupleIJPjSE_EEENSF_IJSE_SE_EEES9_SG_JZNS1_25segmented_radix_sort_implINS0_14default_configELb1EPKsPsPKlPlN2at6native12_GLOBAL__N_18offset_tEEE10hipError_tPvRmT1_PNSt15iterator_traitsISY_E10value_typeET2_T3_PNSZ_IS14_E10value_typeET4_jRbjT5_S1A_jjP12ihipStream_tbEUljE_EEESV_SW_SX_S14_S18_S1A_T6_T7_T9_mT8_S1C_bDpT10_ENKUlT_T0_E_clISt17integral_constantIbLb1EES1O_IbLb0EEEEDaS1K_S1L_EUlS1K_E_NS1_11comp_targetILNS1_3genE10ELNS1_11target_archE1200ELNS1_3gpuE4ELNS1_3repE0EEENS1_30default_config_static_selectorELNS0_4arch9wavefront6targetE1EEEvSY_
		.amdhsa_group_segment_fixed_size 0
		.amdhsa_private_segment_fixed_size 0
		.amdhsa_kernarg_size 144
		.amdhsa_user_sgpr_count 6
		.amdhsa_user_sgpr_private_segment_buffer 1
		.amdhsa_user_sgpr_dispatch_ptr 0
		.amdhsa_user_sgpr_queue_ptr 0
		.amdhsa_user_sgpr_kernarg_segment_ptr 1
		.amdhsa_user_sgpr_dispatch_id 0
		.amdhsa_user_sgpr_flat_scratch_init 0
		.amdhsa_user_sgpr_private_segment_size 0
		.amdhsa_uses_dynamic_stack 0
		.amdhsa_system_sgpr_private_segment_wavefront_offset 0
		.amdhsa_system_sgpr_workgroup_id_x 1
		.amdhsa_system_sgpr_workgroup_id_y 0
		.amdhsa_system_sgpr_workgroup_id_z 0
		.amdhsa_system_sgpr_workgroup_info 0
		.amdhsa_system_vgpr_workitem_id 0
		.amdhsa_next_free_vgpr 1
		.amdhsa_next_free_sgpr 0
		.amdhsa_reserve_vcc 0
		.amdhsa_reserve_flat_scratch 0
		.amdhsa_float_round_mode_32 0
		.amdhsa_float_round_mode_16_64 0
		.amdhsa_float_denorm_mode_32 3
		.amdhsa_float_denorm_mode_16_64 3
		.amdhsa_dx10_clamp 1
		.amdhsa_ieee_mode 1
		.amdhsa_fp16_overflow 0
		.amdhsa_exception_fp_ieee_invalid_op 0
		.amdhsa_exception_fp_denorm_src 0
		.amdhsa_exception_fp_ieee_div_zero 0
		.amdhsa_exception_fp_ieee_overflow 0
		.amdhsa_exception_fp_ieee_underflow 0
		.amdhsa_exception_fp_ieee_inexact 0
		.amdhsa_exception_int_div_zero 0
	.end_amdhsa_kernel
	.section	.text._ZN7rocprim17ROCPRIM_400000_NS6detail17trampoline_kernelINS0_13select_configILj256ELj13ELNS0_17block_load_methodE3ELS4_3ELS4_3ELNS0_20block_scan_algorithmE0ELj4294967295EEENS1_25partition_config_selectorILNS1_17partition_subalgoE3EjNS0_10empty_typeEbEEZZNS1_14partition_implILS8_3ELb0ES6_jNS0_17counting_iteratorIjlEEPS9_SE_NS0_5tupleIJPjSE_EEENSF_IJSE_SE_EEES9_SG_JZNS1_25segmented_radix_sort_implINS0_14default_configELb1EPKsPsPKlPlN2at6native12_GLOBAL__N_18offset_tEEE10hipError_tPvRmT1_PNSt15iterator_traitsISY_E10value_typeET2_T3_PNSZ_IS14_E10value_typeET4_jRbjT5_S1A_jjP12ihipStream_tbEUljE_EEESV_SW_SX_S14_S18_S1A_T6_T7_T9_mT8_S1C_bDpT10_ENKUlT_T0_E_clISt17integral_constantIbLb1EES1O_IbLb0EEEEDaS1K_S1L_EUlS1K_E_NS1_11comp_targetILNS1_3genE10ELNS1_11target_archE1200ELNS1_3gpuE4ELNS1_3repE0EEENS1_30default_config_static_selectorELNS0_4arch9wavefront6targetE1EEEvSY_,"axG",@progbits,_ZN7rocprim17ROCPRIM_400000_NS6detail17trampoline_kernelINS0_13select_configILj256ELj13ELNS0_17block_load_methodE3ELS4_3ELS4_3ELNS0_20block_scan_algorithmE0ELj4294967295EEENS1_25partition_config_selectorILNS1_17partition_subalgoE3EjNS0_10empty_typeEbEEZZNS1_14partition_implILS8_3ELb0ES6_jNS0_17counting_iteratorIjlEEPS9_SE_NS0_5tupleIJPjSE_EEENSF_IJSE_SE_EEES9_SG_JZNS1_25segmented_radix_sort_implINS0_14default_configELb1EPKsPsPKlPlN2at6native12_GLOBAL__N_18offset_tEEE10hipError_tPvRmT1_PNSt15iterator_traitsISY_E10value_typeET2_T3_PNSZ_IS14_E10value_typeET4_jRbjT5_S1A_jjP12ihipStream_tbEUljE_EEESV_SW_SX_S14_S18_S1A_T6_T7_T9_mT8_S1C_bDpT10_ENKUlT_T0_E_clISt17integral_constantIbLb1EES1O_IbLb0EEEEDaS1K_S1L_EUlS1K_E_NS1_11comp_targetILNS1_3genE10ELNS1_11target_archE1200ELNS1_3gpuE4ELNS1_3repE0EEENS1_30default_config_static_selectorELNS0_4arch9wavefront6targetE1EEEvSY_,comdat
.Lfunc_end900:
	.size	_ZN7rocprim17ROCPRIM_400000_NS6detail17trampoline_kernelINS0_13select_configILj256ELj13ELNS0_17block_load_methodE3ELS4_3ELS4_3ELNS0_20block_scan_algorithmE0ELj4294967295EEENS1_25partition_config_selectorILNS1_17partition_subalgoE3EjNS0_10empty_typeEbEEZZNS1_14partition_implILS8_3ELb0ES6_jNS0_17counting_iteratorIjlEEPS9_SE_NS0_5tupleIJPjSE_EEENSF_IJSE_SE_EEES9_SG_JZNS1_25segmented_radix_sort_implINS0_14default_configELb1EPKsPsPKlPlN2at6native12_GLOBAL__N_18offset_tEEE10hipError_tPvRmT1_PNSt15iterator_traitsISY_E10value_typeET2_T3_PNSZ_IS14_E10value_typeET4_jRbjT5_S1A_jjP12ihipStream_tbEUljE_EEESV_SW_SX_S14_S18_S1A_T6_T7_T9_mT8_S1C_bDpT10_ENKUlT_T0_E_clISt17integral_constantIbLb1EES1O_IbLb0EEEEDaS1K_S1L_EUlS1K_E_NS1_11comp_targetILNS1_3genE10ELNS1_11target_archE1200ELNS1_3gpuE4ELNS1_3repE0EEENS1_30default_config_static_selectorELNS0_4arch9wavefront6targetE1EEEvSY_, .Lfunc_end900-_ZN7rocprim17ROCPRIM_400000_NS6detail17trampoline_kernelINS0_13select_configILj256ELj13ELNS0_17block_load_methodE3ELS4_3ELS4_3ELNS0_20block_scan_algorithmE0ELj4294967295EEENS1_25partition_config_selectorILNS1_17partition_subalgoE3EjNS0_10empty_typeEbEEZZNS1_14partition_implILS8_3ELb0ES6_jNS0_17counting_iteratorIjlEEPS9_SE_NS0_5tupleIJPjSE_EEENSF_IJSE_SE_EEES9_SG_JZNS1_25segmented_radix_sort_implINS0_14default_configELb1EPKsPsPKlPlN2at6native12_GLOBAL__N_18offset_tEEE10hipError_tPvRmT1_PNSt15iterator_traitsISY_E10value_typeET2_T3_PNSZ_IS14_E10value_typeET4_jRbjT5_S1A_jjP12ihipStream_tbEUljE_EEESV_SW_SX_S14_S18_S1A_T6_T7_T9_mT8_S1C_bDpT10_ENKUlT_T0_E_clISt17integral_constantIbLb1EES1O_IbLb0EEEEDaS1K_S1L_EUlS1K_E_NS1_11comp_targetILNS1_3genE10ELNS1_11target_archE1200ELNS1_3gpuE4ELNS1_3repE0EEENS1_30default_config_static_selectorELNS0_4arch9wavefront6targetE1EEEvSY_
                                        ; -- End function
	.set _ZN7rocprim17ROCPRIM_400000_NS6detail17trampoline_kernelINS0_13select_configILj256ELj13ELNS0_17block_load_methodE3ELS4_3ELS4_3ELNS0_20block_scan_algorithmE0ELj4294967295EEENS1_25partition_config_selectorILNS1_17partition_subalgoE3EjNS0_10empty_typeEbEEZZNS1_14partition_implILS8_3ELb0ES6_jNS0_17counting_iteratorIjlEEPS9_SE_NS0_5tupleIJPjSE_EEENSF_IJSE_SE_EEES9_SG_JZNS1_25segmented_radix_sort_implINS0_14default_configELb1EPKsPsPKlPlN2at6native12_GLOBAL__N_18offset_tEEE10hipError_tPvRmT1_PNSt15iterator_traitsISY_E10value_typeET2_T3_PNSZ_IS14_E10value_typeET4_jRbjT5_S1A_jjP12ihipStream_tbEUljE_EEESV_SW_SX_S14_S18_S1A_T6_T7_T9_mT8_S1C_bDpT10_ENKUlT_T0_E_clISt17integral_constantIbLb1EES1O_IbLb0EEEEDaS1K_S1L_EUlS1K_E_NS1_11comp_targetILNS1_3genE10ELNS1_11target_archE1200ELNS1_3gpuE4ELNS1_3repE0EEENS1_30default_config_static_selectorELNS0_4arch9wavefront6targetE1EEEvSY_.num_vgpr, 0
	.set _ZN7rocprim17ROCPRIM_400000_NS6detail17trampoline_kernelINS0_13select_configILj256ELj13ELNS0_17block_load_methodE3ELS4_3ELS4_3ELNS0_20block_scan_algorithmE0ELj4294967295EEENS1_25partition_config_selectorILNS1_17partition_subalgoE3EjNS0_10empty_typeEbEEZZNS1_14partition_implILS8_3ELb0ES6_jNS0_17counting_iteratorIjlEEPS9_SE_NS0_5tupleIJPjSE_EEENSF_IJSE_SE_EEES9_SG_JZNS1_25segmented_radix_sort_implINS0_14default_configELb1EPKsPsPKlPlN2at6native12_GLOBAL__N_18offset_tEEE10hipError_tPvRmT1_PNSt15iterator_traitsISY_E10value_typeET2_T3_PNSZ_IS14_E10value_typeET4_jRbjT5_S1A_jjP12ihipStream_tbEUljE_EEESV_SW_SX_S14_S18_S1A_T6_T7_T9_mT8_S1C_bDpT10_ENKUlT_T0_E_clISt17integral_constantIbLb1EES1O_IbLb0EEEEDaS1K_S1L_EUlS1K_E_NS1_11comp_targetILNS1_3genE10ELNS1_11target_archE1200ELNS1_3gpuE4ELNS1_3repE0EEENS1_30default_config_static_selectorELNS0_4arch9wavefront6targetE1EEEvSY_.num_agpr, 0
	.set _ZN7rocprim17ROCPRIM_400000_NS6detail17trampoline_kernelINS0_13select_configILj256ELj13ELNS0_17block_load_methodE3ELS4_3ELS4_3ELNS0_20block_scan_algorithmE0ELj4294967295EEENS1_25partition_config_selectorILNS1_17partition_subalgoE3EjNS0_10empty_typeEbEEZZNS1_14partition_implILS8_3ELb0ES6_jNS0_17counting_iteratorIjlEEPS9_SE_NS0_5tupleIJPjSE_EEENSF_IJSE_SE_EEES9_SG_JZNS1_25segmented_radix_sort_implINS0_14default_configELb1EPKsPsPKlPlN2at6native12_GLOBAL__N_18offset_tEEE10hipError_tPvRmT1_PNSt15iterator_traitsISY_E10value_typeET2_T3_PNSZ_IS14_E10value_typeET4_jRbjT5_S1A_jjP12ihipStream_tbEUljE_EEESV_SW_SX_S14_S18_S1A_T6_T7_T9_mT8_S1C_bDpT10_ENKUlT_T0_E_clISt17integral_constantIbLb1EES1O_IbLb0EEEEDaS1K_S1L_EUlS1K_E_NS1_11comp_targetILNS1_3genE10ELNS1_11target_archE1200ELNS1_3gpuE4ELNS1_3repE0EEENS1_30default_config_static_selectorELNS0_4arch9wavefront6targetE1EEEvSY_.numbered_sgpr, 0
	.set _ZN7rocprim17ROCPRIM_400000_NS6detail17trampoline_kernelINS0_13select_configILj256ELj13ELNS0_17block_load_methodE3ELS4_3ELS4_3ELNS0_20block_scan_algorithmE0ELj4294967295EEENS1_25partition_config_selectorILNS1_17partition_subalgoE3EjNS0_10empty_typeEbEEZZNS1_14partition_implILS8_3ELb0ES6_jNS0_17counting_iteratorIjlEEPS9_SE_NS0_5tupleIJPjSE_EEENSF_IJSE_SE_EEES9_SG_JZNS1_25segmented_radix_sort_implINS0_14default_configELb1EPKsPsPKlPlN2at6native12_GLOBAL__N_18offset_tEEE10hipError_tPvRmT1_PNSt15iterator_traitsISY_E10value_typeET2_T3_PNSZ_IS14_E10value_typeET4_jRbjT5_S1A_jjP12ihipStream_tbEUljE_EEESV_SW_SX_S14_S18_S1A_T6_T7_T9_mT8_S1C_bDpT10_ENKUlT_T0_E_clISt17integral_constantIbLb1EES1O_IbLb0EEEEDaS1K_S1L_EUlS1K_E_NS1_11comp_targetILNS1_3genE10ELNS1_11target_archE1200ELNS1_3gpuE4ELNS1_3repE0EEENS1_30default_config_static_selectorELNS0_4arch9wavefront6targetE1EEEvSY_.num_named_barrier, 0
	.set _ZN7rocprim17ROCPRIM_400000_NS6detail17trampoline_kernelINS0_13select_configILj256ELj13ELNS0_17block_load_methodE3ELS4_3ELS4_3ELNS0_20block_scan_algorithmE0ELj4294967295EEENS1_25partition_config_selectorILNS1_17partition_subalgoE3EjNS0_10empty_typeEbEEZZNS1_14partition_implILS8_3ELb0ES6_jNS0_17counting_iteratorIjlEEPS9_SE_NS0_5tupleIJPjSE_EEENSF_IJSE_SE_EEES9_SG_JZNS1_25segmented_radix_sort_implINS0_14default_configELb1EPKsPsPKlPlN2at6native12_GLOBAL__N_18offset_tEEE10hipError_tPvRmT1_PNSt15iterator_traitsISY_E10value_typeET2_T3_PNSZ_IS14_E10value_typeET4_jRbjT5_S1A_jjP12ihipStream_tbEUljE_EEESV_SW_SX_S14_S18_S1A_T6_T7_T9_mT8_S1C_bDpT10_ENKUlT_T0_E_clISt17integral_constantIbLb1EES1O_IbLb0EEEEDaS1K_S1L_EUlS1K_E_NS1_11comp_targetILNS1_3genE10ELNS1_11target_archE1200ELNS1_3gpuE4ELNS1_3repE0EEENS1_30default_config_static_selectorELNS0_4arch9wavefront6targetE1EEEvSY_.private_seg_size, 0
	.set _ZN7rocprim17ROCPRIM_400000_NS6detail17trampoline_kernelINS0_13select_configILj256ELj13ELNS0_17block_load_methodE3ELS4_3ELS4_3ELNS0_20block_scan_algorithmE0ELj4294967295EEENS1_25partition_config_selectorILNS1_17partition_subalgoE3EjNS0_10empty_typeEbEEZZNS1_14partition_implILS8_3ELb0ES6_jNS0_17counting_iteratorIjlEEPS9_SE_NS0_5tupleIJPjSE_EEENSF_IJSE_SE_EEES9_SG_JZNS1_25segmented_radix_sort_implINS0_14default_configELb1EPKsPsPKlPlN2at6native12_GLOBAL__N_18offset_tEEE10hipError_tPvRmT1_PNSt15iterator_traitsISY_E10value_typeET2_T3_PNSZ_IS14_E10value_typeET4_jRbjT5_S1A_jjP12ihipStream_tbEUljE_EEESV_SW_SX_S14_S18_S1A_T6_T7_T9_mT8_S1C_bDpT10_ENKUlT_T0_E_clISt17integral_constantIbLb1EES1O_IbLb0EEEEDaS1K_S1L_EUlS1K_E_NS1_11comp_targetILNS1_3genE10ELNS1_11target_archE1200ELNS1_3gpuE4ELNS1_3repE0EEENS1_30default_config_static_selectorELNS0_4arch9wavefront6targetE1EEEvSY_.uses_vcc, 0
	.set _ZN7rocprim17ROCPRIM_400000_NS6detail17trampoline_kernelINS0_13select_configILj256ELj13ELNS0_17block_load_methodE3ELS4_3ELS4_3ELNS0_20block_scan_algorithmE0ELj4294967295EEENS1_25partition_config_selectorILNS1_17partition_subalgoE3EjNS0_10empty_typeEbEEZZNS1_14partition_implILS8_3ELb0ES6_jNS0_17counting_iteratorIjlEEPS9_SE_NS0_5tupleIJPjSE_EEENSF_IJSE_SE_EEES9_SG_JZNS1_25segmented_radix_sort_implINS0_14default_configELb1EPKsPsPKlPlN2at6native12_GLOBAL__N_18offset_tEEE10hipError_tPvRmT1_PNSt15iterator_traitsISY_E10value_typeET2_T3_PNSZ_IS14_E10value_typeET4_jRbjT5_S1A_jjP12ihipStream_tbEUljE_EEESV_SW_SX_S14_S18_S1A_T6_T7_T9_mT8_S1C_bDpT10_ENKUlT_T0_E_clISt17integral_constantIbLb1EES1O_IbLb0EEEEDaS1K_S1L_EUlS1K_E_NS1_11comp_targetILNS1_3genE10ELNS1_11target_archE1200ELNS1_3gpuE4ELNS1_3repE0EEENS1_30default_config_static_selectorELNS0_4arch9wavefront6targetE1EEEvSY_.uses_flat_scratch, 0
	.set _ZN7rocprim17ROCPRIM_400000_NS6detail17trampoline_kernelINS0_13select_configILj256ELj13ELNS0_17block_load_methodE3ELS4_3ELS4_3ELNS0_20block_scan_algorithmE0ELj4294967295EEENS1_25partition_config_selectorILNS1_17partition_subalgoE3EjNS0_10empty_typeEbEEZZNS1_14partition_implILS8_3ELb0ES6_jNS0_17counting_iteratorIjlEEPS9_SE_NS0_5tupleIJPjSE_EEENSF_IJSE_SE_EEES9_SG_JZNS1_25segmented_radix_sort_implINS0_14default_configELb1EPKsPsPKlPlN2at6native12_GLOBAL__N_18offset_tEEE10hipError_tPvRmT1_PNSt15iterator_traitsISY_E10value_typeET2_T3_PNSZ_IS14_E10value_typeET4_jRbjT5_S1A_jjP12ihipStream_tbEUljE_EEESV_SW_SX_S14_S18_S1A_T6_T7_T9_mT8_S1C_bDpT10_ENKUlT_T0_E_clISt17integral_constantIbLb1EES1O_IbLb0EEEEDaS1K_S1L_EUlS1K_E_NS1_11comp_targetILNS1_3genE10ELNS1_11target_archE1200ELNS1_3gpuE4ELNS1_3repE0EEENS1_30default_config_static_selectorELNS0_4arch9wavefront6targetE1EEEvSY_.has_dyn_sized_stack, 0
	.set _ZN7rocprim17ROCPRIM_400000_NS6detail17trampoline_kernelINS0_13select_configILj256ELj13ELNS0_17block_load_methodE3ELS4_3ELS4_3ELNS0_20block_scan_algorithmE0ELj4294967295EEENS1_25partition_config_selectorILNS1_17partition_subalgoE3EjNS0_10empty_typeEbEEZZNS1_14partition_implILS8_3ELb0ES6_jNS0_17counting_iteratorIjlEEPS9_SE_NS0_5tupleIJPjSE_EEENSF_IJSE_SE_EEES9_SG_JZNS1_25segmented_radix_sort_implINS0_14default_configELb1EPKsPsPKlPlN2at6native12_GLOBAL__N_18offset_tEEE10hipError_tPvRmT1_PNSt15iterator_traitsISY_E10value_typeET2_T3_PNSZ_IS14_E10value_typeET4_jRbjT5_S1A_jjP12ihipStream_tbEUljE_EEESV_SW_SX_S14_S18_S1A_T6_T7_T9_mT8_S1C_bDpT10_ENKUlT_T0_E_clISt17integral_constantIbLb1EES1O_IbLb0EEEEDaS1K_S1L_EUlS1K_E_NS1_11comp_targetILNS1_3genE10ELNS1_11target_archE1200ELNS1_3gpuE4ELNS1_3repE0EEENS1_30default_config_static_selectorELNS0_4arch9wavefront6targetE1EEEvSY_.has_recursion, 0
	.set _ZN7rocprim17ROCPRIM_400000_NS6detail17trampoline_kernelINS0_13select_configILj256ELj13ELNS0_17block_load_methodE3ELS4_3ELS4_3ELNS0_20block_scan_algorithmE0ELj4294967295EEENS1_25partition_config_selectorILNS1_17partition_subalgoE3EjNS0_10empty_typeEbEEZZNS1_14partition_implILS8_3ELb0ES6_jNS0_17counting_iteratorIjlEEPS9_SE_NS0_5tupleIJPjSE_EEENSF_IJSE_SE_EEES9_SG_JZNS1_25segmented_radix_sort_implINS0_14default_configELb1EPKsPsPKlPlN2at6native12_GLOBAL__N_18offset_tEEE10hipError_tPvRmT1_PNSt15iterator_traitsISY_E10value_typeET2_T3_PNSZ_IS14_E10value_typeET4_jRbjT5_S1A_jjP12ihipStream_tbEUljE_EEESV_SW_SX_S14_S18_S1A_T6_T7_T9_mT8_S1C_bDpT10_ENKUlT_T0_E_clISt17integral_constantIbLb1EES1O_IbLb0EEEEDaS1K_S1L_EUlS1K_E_NS1_11comp_targetILNS1_3genE10ELNS1_11target_archE1200ELNS1_3gpuE4ELNS1_3repE0EEENS1_30default_config_static_selectorELNS0_4arch9wavefront6targetE1EEEvSY_.has_indirect_call, 0
	.section	.AMDGPU.csdata,"",@progbits
; Kernel info:
; codeLenInByte = 0
; TotalNumSgprs: 4
; NumVgprs: 0
; ScratchSize: 0
; MemoryBound: 0
; FloatMode: 240
; IeeeMode: 1
; LDSByteSize: 0 bytes/workgroup (compile time only)
; SGPRBlocks: 0
; VGPRBlocks: 0
; NumSGPRsForWavesPerEU: 4
; NumVGPRsForWavesPerEU: 1
; Occupancy: 10
; WaveLimiterHint : 0
; COMPUTE_PGM_RSRC2:SCRATCH_EN: 0
; COMPUTE_PGM_RSRC2:USER_SGPR: 6
; COMPUTE_PGM_RSRC2:TRAP_HANDLER: 0
; COMPUTE_PGM_RSRC2:TGID_X_EN: 1
; COMPUTE_PGM_RSRC2:TGID_Y_EN: 0
; COMPUTE_PGM_RSRC2:TGID_Z_EN: 0
; COMPUTE_PGM_RSRC2:TIDIG_COMP_CNT: 0
	.section	.text._ZN7rocprim17ROCPRIM_400000_NS6detail17trampoline_kernelINS0_13select_configILj256ELj13ELNS0_17block_load_methodE3ELS4_3ELS4_3ELNS0_20block_scan_algorithmE0ELj4294967295EEENS1_25partition_config_selectorILNS1_17partition_subalgoE3EjNS0_10empty_typeEbEEZZNS1_14partition_implILS8_3ELb0ES6_jNS0_17counting_iteratorIjlEEPS9_SE_NS0_5tupleIJPjSE_EEENSF_IJSE_SE_EEES9_SG_JZNS1_25segmented_radix_sort_implINS0_14default_configELb1EPKsPsPKlPlN2at6native12_GLOBAL__N_18offset_tEEE10hipError_tPvRmT1_PNSt15iterator_traitsISY_E10value_typeET2_T3_PNSZ_IS14_E10value_typeET4_jRbjT5_S1A_jjP12ihipStream_tbEUljE_EEESV_SW_SX_S14_S18_S1A_T6_T7_T9_mT8_S1C_bDpT10_ENKUlT_T0_E_clISt17integral_constantIbLb1EES1O_IbLb0EEEEDaS1K_S1L_EUlS1K_E_NS1_11comp_targetILNS1_3genE9ELNS1_11target_archE1100ELNS1_3gpuE3ELNS1_3repE0EEENS1_30default_config_static_selectorELNS0_4arch9wavefront6targetE1EEEvSY_,"axG",@progbits,_ZN7rocprim17ROCPRIM_400000_NS6detail17trampoline_kernelINS0_13select_configILj256ELj13ELNS0_17block_load_methodE3ELS4_3ELS4_3ELNS0_20block_scan_algorithmE0ELj4294967295EEENS1_25partition_config_selectorILNS1_17partition_subalgoE3EjNS0_10empty_typeEbEEZZNS1_14partition_implILS8_3ELb0ES6_jNS0_17counting_iteratorIjlEEPS9_SE_NS0_5tupleIJPjSE_EEENSF_IJSE_SE_EEES9_SG_JZNS1_25segmented_radix_sort_implINS0_14default_configELb1EPKsPsPKlPlN2at6native12_GLOBAL__N_18offset_tEEE10hipError_tPvRmT1_PNSt15iterator_traitsISY_E10value_typeET2_T3_PNSZ_IS14_E10value_typeET4_jRbjT5_S1A_jjP12ihipStream_tbEUljE_EEESV_SW_SX_S14_S18_S1A_T6_T7_T9_mT8_S1C_bDpT10_ENKUlT_T0_E_clISt17integral_constantIbLb1EES1O_IbLb0EEEEDaS1K_S1L_EUlS1K_E_NS1_11comp_targetILNS1_3genE9ELNS1_11target_archE1100ELNS1_3gpuE3ELNS1_3repE0EEENS1_30default_config_static_selectorELNS0_4arch9wavefront6targetE1EEEvSY_,comdat
	.globl	_ZN7rocprim17ROCPRIM_400000_NS6detail17trampoline_kernelINS0_13select_configILj256ELj13ELNS0_17block_load_methodE3ELS4_3ELS4_3ELNS0_20block_scan_algorithmE0ELj4294967295EEENS1_25partition_config_selectorILNS1_17partition_subalgoE3EjNS0_10empty_typeEbEEZZNS1_14partition_implILS8_3ELb0ES6_jNS0_17counting_iteratorIjlEEPS9_SE_NS0_5tupleIJPjSE_EEENSF_IJSE_SE_EEES9_SG_JZNS1_25segmented_radix_sort_implINS0_14default_configELb1EPKsPsPKlPlN2at6native12_GLOBAL__N_18offset_tEEE10hipError_tPvRmT1_PNSt15iterator_traitsISY_E10value_typeET2_T3_PNSZ_IS14_E10value_typeET4_jRbjT5_S1A_jjP12ihipStream_tbEUljE_EEESV_SW_SX_S14_S18_S1A_T6_T7_T9_mT8_S1C_bDpT10_ENKUlT_T0_E_clISt17integral_constantIbLb1EES1O_IbLb0EEEEDaS1K_S1L_EUlS1K_E_NS1_11comp_targetILNS1_3genE9ELNS1_11target_archE1100ELNS1_3gpuE3ELNS1_3repE0EEENS1_30default_config_static_selectorELNS0_4arch9wavefront6targetE1EEEvSY_ ; -- Begin function _ZN7rocprim17ROCPRIM_400000_NS6detail17trampoline_kernelINS0_13select_configILj256ELj13ELNS0_17block_load_methodE3ELS4_3ELS4_3ELNS0_20block_scan_algorithmE0ELj4294967295EEENS1_25partition_config_selectorILNS1_17partition_subalgoE3EjNS0_10empty_typeEbEEZZNS1_14partition_implILS8_3ELb0ES6_jNS0_17counting_iteratorIjlEEPS9_SE_NS0_5tupleIJPjSE_EEENSF_IJSE_SE_EEES9_SG_JZNS1_25segmented_radix_sort_implINS0_14default_configELb1EPKsPsPKlPlN2at6native12_GLOBAL__N_18offset_tEEE10hipError_tPvRmT1_PNSt15iterator_traitsISY_E10value_typeET2_T3_PNSZ_IS14_E10value_typeET4_jRbjT5_S1A_jjP12ihipStream_tbEUljE_EEESV_SW_SX_S14_S18_S1A_T6_T7_T9_mT8_S1C_bDpT10_ENKUlT_T0_E_clISt17integral_constantIbLb1EES1O_IbLb0EEEEDaS1K_S1L_EUlS1K_E_NS1_11comp_targetILNS1_3genE9ELNS1_11target_archE1100ELNS1_3gpuE3ELNS1_3repE0EEENS1_30default_config_static_selectorELNS0_4arch9wavefront6targetE1EEEvSY_
	.p2align	8
	.type	_ZN7rocprim17ROCPRIM_400000_NS6detail17trampoline_kernelINS0_13select_configILj256ELj13ELNS0_17block_load_methodE3ELS4_3ELS4_3ELNS0_20block_scan_algorithmE0ELj4294967295EEENS1_25partition_config_selectorILNS1_17partition_subalgoE3EjNS0_10empty_typeEbEEZZNS1_14partition_implILS8_3ELb0ES6_jNS0_17counting_iteratorIjlEEPS9_SE_NS0_5tupleIJPjSE_EEENSF_IJSE_SE_EEES9_SG_JZNS1_25segmented_radix_sort_implINS0_14default_configELb1EPKsPsPKlPlN2at6native12_GLOBAL__N_18offset_tEEE10hipError_tPvRmT1_PNSt15iterator_traitsISY_E10value_typeET2_T3_PNSZ_IS14_E10value_typeET4_jRbjT5_S1A_jjP12ihipStream_tbEUljE_EEESV_SW_SX_S14_S18_S1A_T6_T7_T9_mT8_S1C_bDpT10_ENKUlT_T0_E_clISt17integral_constantIbLb1EES1O_IbLb0EEEEDaS1K_S1L_EUlS1K_E_NS1_11comp_targetILNS1_3genE9ELNS1_11target_archE1100ELNS1_3gpuE3ELNS1_3repE0EEENS1_30default_config_static_selectorELNS0_4arch9wavefront6targetE1EEEvSY_,@function
_ZN7rocprim17ROCPRIM_400000_NS6detail17trampoline_kernelINS0_13select_configILj256ELj13ELNS0_17block_load_methodE3ELS4_3ELS4_3ELNS0_20block_scan_algorithmE0ELj4294967295EEENS1_25partition_config_selectorILNS1_17partition_subalgoE3EjNS0_10empty_typeEbEEZZNS1_14partition_implILS8_3ELb0ES6_jNS0_17counting_iteratorIjlEEPS9_SE_NS0_5tupleIJPjSE_EEENSF_IJSE_SE_EEES9_SG_JZNS1_25segmented_radix_sort_implINS0_14default_configELb1EPKsPsPKlPlN2at6native12_GLOBAL__N_18offset_tEEE10hipError_tPvRmT1_PNSt15iterator_traitsISY_E10value_typeET2_T3_PNSZ_IS14_E10value_typeET4_jRbjT5_S1A_jjP12ihipStream_tbEUljE_EEESV_SW_SX_S14_S18_S1A_T6_T7_T9_mT8_S1C_bDpT10_ENKUlT_T0_E_clISt17integral_constantIbLb1EES1O_IbLb0EEEEDaS1K_S1L_EUlS1K_E_NS1_11comp_targetILNS1_3genE9ELNS1_11target_archE1100ELNS1_3gpuE3ELNS1_3repE0EEENS1_30default_config_static_selectorELNS0_4arch9wavefront6targetE1EEEvSY_: ; @_ZN7rocprim17ROCPRIM_400000_NS6detail17trampoline_kernelINS0_13select_configILj256ELj13ELNS0_17block_load_methodE3ELS4_3ELS4_3ELNS0_20block_scan_algorithmE0ELj4294967295EEENS1_25partition_config_selectorILNS1_17partition_subalgoE3EjNS0_10empty_typeEbEEZZNS1_14partition_implILS8_3ELb0ES6_jNS0_17counting_iteratorIjlEEPS9_SE_NS0_5tupleIJPjSE_EEENSF_IJSE_SE_EEES9_SG_JZNS1_25segmented_radix_sort_implINS0_14default_configELb1EPKsPsPKlPlN2at6native12_GLOBAL__N_18offset_tEEE10hipError_tPvRmT1_PNSt15iterator_traitsISY_E10value_typeET2_T3_PNSZ_IS14_E10value_typeET4_jRbjT5_S1A_jjP12ihipStream_tbEUljE_EEESV_SW_SX_S14_S18_S1A_T6_T7_T9_mT8_S1C_bDpT10_ENKUlT_T0_E_clISt17integral_constantIbLb1EES1O_IbLb0EEEEDaS1K_S1L_EUlS1K_E_NS1_11comp_targetILNS1_3genE9ELNS1_11target_archE1100ELNS1_3gpuE3ELNS1_3repE0EEENS1_30default_config_static_selectorELNS0_4arch9wavefront6targetE1EEEvSY_
; %bb.0:
	.section	.rodata,"a",@progbits
	.p2align	6, 0x0
	.amdhsa_kernel _ZN7rocprim17ROCPRIM_400000_NS6detail17trampoline_kernelINS0_13select_configILj256ELj13ELNS0_17block_load_methodE3ELS4_3ELS4_3ELNS0_20block_scan_algorithmE0ELj4294967295EEENS1_25partition_config_selectorILNS1_17partition_subalgoE3EjNS0_10empty_typeEbEEZZNS1_14partition_implILS8_3ELb0ES6_jNS0_17counting_iteratorIjlEEPS9_SE_NS0_5tupleIJPjSE_EEENSF_IJSE_SE_EEES9_SG_JZNS1_25segmented_radix_sort_implINS0_14default_configELb1EPKsPsPKlPlN2at6native12_GLOBAL__N_18offset_tEEE10hipError_tPvRmT1_PNSt15iterator_traitsISY_E10value_typeET2_T3_PNSZ_IS14_E10value_typeET4_jRbjT5_S1A_jjP12ihipStream_tbEUljE_EEESV_SW_SX_S14_S18_S1A_T6_T7_T9_mT8_S1C_bDpT10_ENKUlT_T0_E_clISt17integral_constantIbLb1EES1O_IbLb0EEEEDaS1K_S1L_EUlS1K_E_NS1_11comp_targetILNS1_3genE9ELNS1_11target_archE1100ELNS1_3gpuE3ELNS1_3repE0EEENS1_30default_config_static_selectorELNS0_4arch9wavefront6targetE1EEEvSY_
		.amdhsa_group_segment_fixed_size 0
		.amdhsa_private_segment_fixed_size 0
		.amdhsa_kernarg_size 144
		.amdhsa_user_sgpr_count 6
		.amdhsa_user_sgpr_private_segment_buffer 1
		.amdhsa_user_sgpr_dispatch_ptr 0
		.amdhsa_user_sgpr_queue_ptr 0
		.amdhsa_user_sgpr_kernarg_segment_ptr 1
		.amdhsa_user_sgpr_dispatch_id 0
		.amdhsa_user_sgpr_flat_scratch_init 0
		.amdhsa_user_sgpr_private_segment_size 0
		.amdhsa_uses_dynamic_stack 0
		.amdhsa_system_sgpr_private_segment_wavefront_offset 0
		.amdhsa_system_sgpr_workgroup_id_x 1
		.amdhsa_system_sgpr_workgroup_id_y 0
		.amdhsa_system_sgpr_workgroup_id_z 0
		.amdhsa_system_sgpr_workgroup_info 0
		.amdhsa_system_vgpr_workitem_id 0
		.amdhsa_next_free_vgpr 1
		.amdhsa_next_free_sgpr 0
		.amdhsa_reserve_vcc 0
		.amdhsa_reserve_flat_scratch 0
		.amdhsa_float_round_mode_32 0
		.amdhsa_float_round_mode_16_64 0
		.amdhsa_float_denorm_mode_32 3
		.amdhsa_float_denorm_mode_16_64 3
		.amdhsa_dx10_clamp 1
		.amdhsa_ieee_mode 1
		.amdhsa_fp16_overflow 0
		.amdhsa_exception_fp_ieee_invalid_op 0
		.amdhsa_exception_fp_denorm_src 0
		.amdhsa_exception_fp_ieee_div_zero 0
		.amdhsa_exception_fp_ieee_overflow 0
		.amdhsa_exception_fp_ieee_underflow 0
		.amdhsa_exception_fp_ieee_inexact 0
		.amdhsa_exception_int_div_zero 0
	.end_amdhsa_kernel
	.section	.text._ZN7rocprim17ROCPRIM_400000_NS6detail17trampoline_kernelINS0_13select_configILj256ELj13ELNS0_17block_load_methodE3ELS4_3ELS4_3ELNS0_20block_scan_algorithmE0ELj4294967295EEENS1_25partition_config_selectorILNS1_17partition_subalgoE3EjNS0_10empty_typeEbEEZZNS1_14partition_implILS8_3ELb0ES6_jNS0_17counting_iteratorIjlEEPS9_SE_NS0_5tupleIJPjSE_EEENSF_IJSE_SE_EEES9_SG_JZNS1_25segmented_radix_sort_implINS0_14default_configELb1EPKsPsPKlPlN2at6native12_GLOBAL__N_18offset_tEEE10hipError_tPvRmT1_PNSt15iterator_traitsISY_E10value_typeET2_T3_PNSZ_IS14_E10value_typeET4_jRbjT5_S1A_jjP12ihipStream_tbEUljE_EEESV_SW_SX_S14_S18_S1A_T6_T7_T9_mT8_S1C_bDpT10_ENKUlT_T0_E_clISt17integral_constantIbLb1EES1O_IbLb0EEEEDaS1K_S1L_EUlS1K_E_NS1_11comp_targetILNS1_3genE9ELNS1_11target_archE1100ELNS1_3gpuE3ELNS1_3repE0EEENS1_30default_config_static_selectorELNS0_4arch9wavefront6targetE1EEEvSY_,"axG",@progbits,_ZN7rocprim17ROCPRIM_400000_NS6detail17trampoline_kernelINS0_13select_configILj256ELj13ELNS0_17block_load_methodE3ELS4_3ELS4_3ELNS0_20block_scan_algorithmE0ELj4294967295EEENS1_25partition_config_selectorILNS1_17partition_subalgoE3EjNS0_10empty_typeEbEEZZNS1_14partition_implILS8_3ELb0ES6_jNS0_17counting_iteratorIjlEEPS9_SE_NS0_5tupleIJPjSE_EEENSF_IJSE_SE_EEES9_SG_JZNS1_25segmented_radix_sort_implINS0_14default_configELb1EPKsPsPKlPlN2at6native12_GLOBAL__N_18offset_tEEE10hipError_tPvRmT1_PNSt15iterator_traitsISY_E10value_typeET2_T3_PNSZ_IS14_E10value_typeET4_jRbjT5_S1A_jjP12ihipStream_tbEUljE_EEESV_SW_SX_S14_S18_S1A_T6_T7_T9_mT8_S1C_bDpT10_ENKUlT_T0_E_clISt17integral_constantIbLb1EES1O_IbLb0EEEEDaS1K_S1L_EUlS1K_E_NS1_11comp_targetILNS1_3genE9ELNS1_11target_archE1100ELNS1_3gpuE3ELNS1_3repE0EEENS1_30default_config_static_selectorELNS0_4arch9wavefront6targetE1EEEvSY_,comdat
.Lfunc_end901:
	.size	_ZN7rocprim17ROCPRIM_400000_NS6detail17trampoline_kernelINS0_13select_configILj256ELj13ELNS0_17block_load_methodE3ELS4_3ELS4_3ELNS0_20block_scan_algorithmE0ELj4294967295EEENS1_25partition_config_selectorILNS1_17partition_subalgoE3EjNS0_10empty_typeEbEEZZNS1_14partition_implILS8_3ELb0ES6_jNS0_17counting_iteratorIjlEEPS9_SE_NS0_5tupleIJPjSE_EEENSF_IJSE_SE_EEES9_SG_JZNS1_25segmented_radix_sort_implINS0_14default_configELb1EPKsPsPKlPlN2at6native12_GLOBAL__N_18offset_tEEE10hipError_tPvRmT1_PNSt15iterator_traitsISY_E10value_typeET2_T3_PNSZ_IS14_E10value_typeET4_jRbjT5_S1A_jjP12ihipStream_tbEUljE_EEESV_SW_SX_S14_S18_S1A_T6_T7_T9_mT8_S1C_bDpT10_ENKUlT_T0_E_clISt17integral_constantIbLb1EES1O_IbLb0EEEEDaS1K_S1L_EUlS1K_E_NS1_11comp_targetILNS1_3genE9ELNS1_11target_archE1100ELNS1_3gpuE3ELNS1_3repE0EEENS1_30default_config_static_selectorELNS0_4arch9wavefront6targetE1EEEvSY_, .Lfunc_end901-_ZN7rocprim17ROCPRIM_400000_NS6detail17trampoline_kernelINS0_13select_configILj256ELj13ELNS0_17block_load_methodE3ELS4_3ELS4_3ELNS0_20block_scan_algorithmE0ELj4294967295EEENS1_25partition_config_selectorILNS1_17partition_subalgoE3EjNS0_10empty_typeEbEEZZNS1_14partition_implILS8_3ELb0ES6_jNS0_17counting_iteratorIjlEEPS9_SE_NS0_5tupleIJPjSE_EEENSF_IJSE_SE_EEES9_SG_JZNS1_25segmented_radix_sort_implINS0_14default_configELb1EPKsPsPKlPlN2at6native12_GLOBAL__N_18offset_tEEE10hipError_tPvRmT1_PNSt15iterator_traitsISY_E10value_typeET2_T3_PNSZ_IS14_E10value_typeET4_jRbjT5_S1A_jjP12ihipStream_tbEUljE_EEESV_SW_SX_S14_S18_S1A_T6_T7_T9_mT8_S1C_bDpT10_ENKUlT_T0_E_clISt17integral_constantIbLb1EES1O_IbLb0EEEEDaS1K_S1L_EUlS1K_E_NS1_11comp_targetILNS1_3genE9ELNS1_11target_archE1100ELNS1_3gpuE3ELNS1_3repE0EEENS1_30default_config_static_selectorELNS0_4arch9wavefront6targetE1EEEvSY_
                                        ; -- End function
	.set _ZN7rocprim17ROCPRIM_400000_NS6detail17trampoline_kernelINS0_13select_configILj256ELj13ELNS0_17block_load_methodE3ELS4_3ELS4_3ELNS0_20block_scan_algorithmE0ELj4294967295EEENS1_25partition_config_selectorILNS1_17partition_subalgoE3EjNS0_10empty_typeEbEEZZNS1_14partition_implILS8_3ELb0ES6_jNS0_17counting_iteratorIjlEEPS9_SE_NS0_5tupleIJPjSE_EEENSF_IJSE_SE_EEES9_SG_JZNS1_25segmented_radix_sort_implINS0_14default_configELb1EPKsPsPKlPlN2at6native12_GLOBAL__N_18offset_tEEE10hipError_tPvRmT1_PNSt15iterator_traitsISY_E10value_typeET2_T3_PNSZ_IS14_E10value_typeET4_jRbjT5_S1A_jjP12ihipStream_tbEUljE_EEESV_SW_SX_S14_S18_S1A_T6_T7_T9_mT8_S1C_bDpT10_ENKUlT_T0_E_clISt17integral_constantIbLb1EES1O_IbLb0EEEEDaS1K_S1L_EUlS1K_E_NS1_11comp_targetILNS1_3genE9ELNS1_11target_archE1100ELNS1_3gpuE3ELNS1_3repE0EEENS1_30default_config_static_selectorELNS0_4arch9wavefront6targetE1EEEvSY_.num_vgpr, 0
	.set _ZN7rocprim17ROCPRIM_400000_NS6detail17trampoline_kernelINS0_13select_configILj256ELj13ELNS0_17block_load_methodE3ELS4_3ELS4_3ELNS0_20block_scan_algorithmE0ELj4294967295EEENS1_25partition_config_selectorILNS1_17partition_subalgoE3EjNS0_10empty_typeEbEEZZNS1_14partition_implILS8_3ELb0ES6_jNS0_17counting_iteratorIjlEEPS9_SE_NS0_5tupleIJPjSE_EEENSF_IJSE_SE_EEES9_SG_JZNS1_25segmented_radix_sort_implINS0_14default_configELb1EPKsPsPKlPlN2at6native12_GLOBAL__N_18offset_tEEE10hipError_tPvRmT1_PNSt15iterator_traitsISY_E10value_typeET2_T3_PNSZ_IS14_E10value_typeET4_jRbjT5_S1A_jjP12ihipStream_tbEUljE_EEESV_SW_SX_S14_S18_S1A_T6_T7_T9_mT8_S1C_bDpT10_ENKUlT_T0_E_clISt17integral_constantIbLb1EES1O_IbLb0EEEEDaS1K_S1L_EUlS1K_E_NS1_11comp_targetILNS1_3genE9ELNS1_11target_archE1100ELNS1_3gpuE3ELNS1_3repE0EEENS1_30default_config_static_selectorELNS0_4arch9wavefront6targetE1EEEvSY_.num_agpr, 0
	.set _ZN7rocprim17ROCPRIM_400000_NS6detail17trampoline_kernelINS0_13select_configILj256ELj13ELNS0_17block_load_methodE3ELS4_3ELS4_3ELNS0_20block_scan_algorithmE0ELj4294967295EEENS1_25partition_config_selectorILNS1_17partition_subalgoE3EjNS0_10empty_typeEbEEZZNS1_14partition_implILS8_3ELb0ES6_jNS0_17counting_iteratorIjlEEPS9_SE_NS0_5tupleIJPjSE_EEENSF_IJSE_SE_EEES9_SG_JZNS1_25segmented_radix_sort_implINS0_14default_configELb1EPKsPsPKlPlN2at6native12_GLOBAL__N_18offset_tEEE10hipError_tPvRmT1_PNSt15iterator_traitsISY_E10value_typeET2_T3_PNSZ_IS14_E10value_typeET4_jRbjT5_S1A_jjP12ihipStream_tbEUljE_EEESV_SW_SX_S14_S18_S1A_T6_T7_T9_mT8_S1C_bDpT10_ENKUlT_T0_E_clISt17integral_constantIbLb1EES1O_IbLb0EEEEDaS1K_S1L_EUlS1K_E_NS1_11comp_targetILNS1_3genE9ELNS1_11target_archE1100ELNS1_3gpuE3ELNS1_3repE0EEENS1_30default_config_static_selectorELNS0_4arch9wavefront6targetE1EEEvSY_.numbered_sgpr, 0
	.set _ZN7rocprim17ROCPRIM_400000_NS6detail17trampoline_kernelINS0_13select_configILj256ELj13ELNS0_17block_load_methodE3ELS4_3ELS4_3ELNS0_20block_scan_algorithmE0ELj4294967295EEENS1_25partition_config_selectorILNS1_17partition_subalgoE3EjNS0_10empty_typeEbEEZZNS1_14partition_implILS8_3ELb0ES6_jNS0_17counting_iteratorIjlEEPS9_SE_NS0_5tupleIJPjSE_EEENSF_IJSE_SE_EEES9_SG_JZNS1_25segmented_radix_sort_implINS0_14default_configELb1EPKsPsPKlPlN2at6native12_GLOBAL__N_18offset_tEEE10hipError_tPvRmT1_PNSt15iterator_traitsISY_E10value_typeET2_T3_PNSZ_IS14_E10value_typeET4_jRbjT5_S1A_jjP12ihipStream_tbEUljE_EEESV_SW_SX_S14_S18_S1A_T6_T7_T9_mT8_S1C_bDpT10_ENKUlT_T0_E_clISt17integral_constantIbLb1EES1O_IbLb0EEEEDaS1K_S1L_EUlS1K_E_NS1_11comp_targetILNS1_3genE9ELNS1_11target_archE1100ELNS1_3gpuE3ELNS1_3repE0EEENS1_30default_config_static_selectorELNS0_4arch9wavefront6targetE1EEEvSY_.num_named_barrier, 0
	.set _ZN7rocprim17ROCPRIM_400000_NS6detail17trampoline_kernelINS0_13select_configILj256ELj13ELNS0_17block_load_methodE3ELS4_3ELS4_3ELNS0_20block_scan_algorithmE0ELj4294967295EEENS1_25partition_config_selectorILNS1_17partition_subalgoE3EjNS0_10empty_typeEbEEZZNS1_14partition_implILS8_3ELb0ES6_jNS0_17counting_iteratorIjlEEPS9_SE_NS0_5tupleIJPjSE_EEENSF_IJSE_SE_EEES9_SG_JZNS1_25segmented_radix_sort_implINS0_14default_configELb1EPKsPsPKlPlN2at6native12_GLOBAL__N_18offset_tEEE10hipError_tPvRmT1_PNSt15iterator_traitsISY_E10value_typeET2_T3_PNSZ_IS14_E10value_typeET4_jRbjT5_S1A_jjP12ihipStream_tbEUljE_EEESV_SW_SX_S14_S18_S1A_T6_T7_T9_mT8_S1C_bDpT10_ENKUlT_T0_E_clISt17integral_constantIbLb1EES1O_IbLb0EEEEDaS1K_S1L_EUlS1K_E_NS1_11comp_targetILNS1_3genE9ELNS1_11target_archE1100ELNS1_3gpuE3ELNS1_3repE0EEENS1_30default_config_static_selectorELNS0_4arch9wavefront6targetE1EEEvSY_.private_seg_size, 0
	.set _ZN7rocprim17ROCPRIM_400000_NS6detail17trampoline_kernelINS0_13select_configILj256ELj13ELNS0_17block_load_methodE3ELS4_3ELS4_3ELNS0_20block_scan_algorithmE0ELj4294967295EEENS1_25partition_config_selectorILNS1_17partition_subalgoE3EjNS0_10empty_typeEbEEZZNS1_14partition_implILS8_3ELb0ES6_jNS0_17counting_iteratorIjlEEPS9_SE_NS0_5tupleIJPjSE_EEENSF_IJSE_SE_EEES9_SG_JZNS1_25segmented_radix_sort_implINS0_14default_configELb1EPKsPsPKlPlN2at6native12_GLOBAL__N_18offset_tEEE10hipError_tPvRmT1_PNSt15iterator_traitsISY_E10value_typeET2_T3_PNSZ_IS14_E10value_typeET4_jRbjT5_S1A_jjP12ihipStream_tbEUljE_EEESV_SW_SX_S14_S18_S1A_T6_T7_T9_mT8_S1C_bDpT10_ENKUlT_T0_E_clISt17integral_constantIbLb1EES1O_IbLb0EEEEDaS1K_S1L_EUlS1K_E_NS1_11comp_targetILNS1_3genE9ELNS1_11target_archE1100ELNS1_3gpuE3ELNS1_3repE0EEENS1_30default_config_static_selectorELNS0_4arch9wavefront6targetE1EEEvSY_.uses_vcc, 0
	.set _ZN7rocprim17ROCPRIM_400000_NS6detail17trampoline_kernelINS0_13select_configILj256ELj13ELNS0_17block_load_methodE3ELS4_3ELS4_3ELNS0_20block_scan_algorithmE0ELj4294967295EEENS1_25partition_config_selectorILNS1_17partition_subalgoE3EjNS0_10empty_typeEbEEZZNS1_14partition_implILS8_3ELb0ES6_jNS0_17counting_iteratorIjlEEPS9_SE_NS0_5tupleIJPjSE_EEENSF_IJSE_SE_EEES9_SG_JZNS1_25segmented_radix_sort_implINS0_14default_configELb1EPKsPsPKlPlN2at6native12_GLOBAL__N_18offset_tEEE10hipError_tPvRmT1_PNSt15iterator_traitsISY_E10value_typeET2_T3_PNSZ_IS14_E10value_typeET4_jRbjT5_S1A_jjP12ihipStream_tbEUljE_EEESV_SW_SX_S14_S18_S1A_T6_T7_T9_mT8_S1C_bDpT10_ENKUlT_T0_E_clISt17integral_constantIbLb1EES1O_IbLb0EEEEDaS1K_S1L_EUlS1K_E_NS1_11comp_targetILNS1_3genE9ELNS1_11target_archE1100ELNS1_3gpuE3ELNS1_3repE0EEENS1_30default_config_static_selectorELNS0_4arch9wavefront6targetE1EEEvSY_.uses_flat_scratch, 0
	.set _ZN7rocprim17ROCPRIM_400000_NS6detail17trampoline_kernelINS0_13select_configILj256ELj13ELNS0_17block_load_methodE3ELS4_3ELS4_3ELNS0_20block_scan_algorithmE0ELj4294967295EEENS1_25partition_config_selectorILNS1_17partition_subalgoE3EjNS0_10empty_typeEbEEZZNS1_14partition_implILS8_3ELb0ES6_jNS0_17counting_iteratorIjlEEPS9_SE_NS0_5tupleIJPjSE_EEENSF_IJSE_SE_EEES9_SG_JZNS1_25segmented_radix_sort_implINS0_14default_configELb1EPKsPsPKlPlN2at6native12_GLOBAL__N_18offset_tEEE10hipError_tPvRmT1_PNSt15iterator_traitsISY_E10value_typeET2_T3_PNSZ_IS14_E10value_typeET4_jRbjT5_S1A_jjP12ihipStream_tbEUljE_EEESV_SW_SX_S14_S18_S1A_T6_T7_T9_mT8_S1C_bDpT10_ENKUlT_T0_E_clISt17integral_constantIbLb1EES1O_IbLb0EEEEDaS1K_S1L_EUlS1K_E_NS1_11comp_targetILNS1_3genE9ELNS1_11target_archE1100ELNS1_3gpuE3ELNS1_3repE0EEENS1_30default_config_static_selectorELNS0_4arch9wavefront6targetE1EEEvSY_.has_dyn_sized_stack, 0
	.set _ZN7rocprim17ROCPRIM_400000_NS6detail17trampoline_kernelINS0_13select_configILj256ELj13ELNS0_17block_load_methodE3ELS4_3ELS4_3ELNS0_20block_scan_algorithmE0ELj4294967295EEENS1_25partition_config_selectorILNS1_17partition_subalgoE3EjNS0_10empty_typeEbEEZZNS1_14partition_implILS8_3ELb0ES6_jNS0_17counting_iteratorIjlEEPS9_SE_NS0_5tupleIJPjSE_EEENSF_IJSE_SE_EEES9_SG_JZNS1_25segmented_radix_sort_implINS0_14default_configELb1EPKsPsPKlPlN2at6native12_GLOBAL__N_18offset_tEEE10hipError_tPvRmT1_PNSt15iterator_traitsISY_E10value_typeET2_T3_PNSZ_IS14_E10value_typeET4_jRbjT5_S1A_jjP12ihipStream_tbEUljE_EEESV_SW_SX_S14_S18_S1A_T6_T7_T9_mT8_S1C_bDpT10_ENKUlT_T0_E_clISt17integral_constantIbLb1EES1O_IbLb0EEEEDaS1K_S1L_EUlS1K_E_NS1_11comp_targetILNS1_3genE9ELNS1_11target_archE1100ELNS1_3gpuE3ELNS1_3repE0EEENS1_30default_config_static_selectorELNS0_4arch9wavefront6targetE1EEEvSY_.has_recursion, 0
	.set _ZN7rocprim17ROCPRIM_400000_NS6detail17trampoline_kernelINS0_13select_configILj256ELj13ELNS0_17block_load_methodE3ELS4_3ELS4_3ELNS0_20block_scan_algorithmE0ELj4294967295EEENS1_25partition_config_selectorILNS1_17partition_subalgoE3EjNS0_10empty_typeEbEEZZNS1_14partition_implILS8_3ELb0ES6_jNS0_17counting_iteratorIjlEEPS9_SE_NS0_5tupleIJPjSE_EEENSF_IJSE_SE_EEES9_SG_JZNS1_25segmented_radix_sort_implINS0_14default_configELb1EPKsPsPKlPlN2at6native12_GLOBAL__N_18offset_tEEE10hipError_tPvRmT1_PNSt15iterator_traitsISY_E10value_typeET2_T3_PNSZ_IS14_E10value_typeET4_jRbjT5_S1A_jjP12ihipStream_tbEUljE_EEESV_SW_SX_S14_S18_S1A_T6_T7_T9_mT8_S1C_bDpT10_ENKUlT_T0_E_clISt17integral_constantIbLb1EES1O_IbLb0EEEEDaS1K_S1L_EUlS1K_E_NS1_11comp_targetILNS1_3genE9ELNS1_11target_archE1100ELNS1_3gpuE3ELNS1_3repE0EEENS1_30default_config_static_selectorELNS0_4arch9wavefront6targetE1EEEvSY_.has_indirect_call, 0
	.section	.AMDGPU.csdata,"",@progbits
; Kernel info:
; codeLenInByte = 0
; TotalNumSgprs: 4
; NumVgprs: 0
; ScratchSize: 0
; MemoryBound: 0
; FloatMode: 240
; IeeeMode: 1
; LDSByteSize: 0 bytes/workgroup (compile time only)
; SGPRBlocks: 0
; VGPRBlocks: 0
; NumSGPRsForWavesPerEU: 4
; NumVGPRsForWavesPerEU: 1
; Occupancy: 10
; WaveLimiterHint : 0
; COMPUTE_PGM_RSRC2:SCRATCH_EN: 0
; COMPUTE_PGM_RSRC2:USER_SGPR: 6
; COMPUTE_PGM_RSRC2:TRAP_HANDLER: 0
; COMPUTE_PGM_RSRC2:TGID_X_EN: 1
; COMPUTE_PGM_RSRC2:TGID_Y_EN: 0
; COMPUTE_PGM_RSRC2:TGID_Z_EN: 0
; COMPUTE_PGM_RSRC2:TIDIG_COMP_CNT: 0
	.section	.text._ZN7rocprim17ROCPRIM_400000_NS6detail17trampoline_kernelINS0_13select_configILj256ELj13ELNS0_17block_load_methodE3ELS4_3ELS4_3ELNS0_20block_scan_algorithmE0ELj4294967295EEENS1_25partition_config_selectorILNS1_17partition_subalgoE3EjNS0_10empty_typeEbEEZZNS1_14partition_implILS8_3ELb0ES6_jNS0_17counting_iteratorIjlEEPS9_SE_NS0_5tupleIJPjSE_EEENSF_IJSE_SE_EEES9_SG_JZNS1_25segmented_radix_sort_implINS0_14default_configELb1EPKsPsPKlPlN2at6native12_GLOBAL__N_18offset_tEEE10hipError_tPvRmT1_PNSt15iterator_traitsISY_E10value_typeET2_T3_PNSZ_IS14_E10value_typeET4_jRbjT5_S1A_jjP12ihipStream_tbEUljE_EEESV_SW_SX_S14_S18_S1A_T6_T7_T9_mT8_S1C_bDpT10_ENKUlT_T0_E_clISt17integral_constantIbLb1EES1O_IbLb0EEEEDaS1K_S1L_EUlS1K_E_NS1_11comp_targetILNS1_3genE8ELNS1_11target_archE1030ELNS1_3gpuE2ELNS1_3repE0EEENS1_30default_config_static_selectorELNS0_4arch9wavefront6targetE1EEEvSY_,"axG",@progbits,_ZN7rocprim17ROCPRIM_400000_NS6detail17trampoline_kernelINS0_13select_configILj256ELj13ELNS0_17block_load_methodE3ELS4_3ELS4_3ELNS0_20block_scan_algorithmE0ELj4294967295EEENS1_25partition_config_selectorILNS1_17partition_subalgoE3EjNS0_10empty_typeEbEEZZNS1_14partition_implILS8_3ELb0ES6_jNS0_17counting_iteratorIjlEEPS9_SE_NS0_5tupleIJPjSE_EEENSF_IJSE_SE_EEES9_SG_JZNS1_25segmented_radix_sort_implINS0_14default_configELb1EPKsPsPKlPlN2at6native12_GLOBAL__N_18offset_tEEE10hipError_tPvRmT1_PNSt15iterator_traitsISY_E10value_typeET2_T3_PNSZ_IS14_E10value_typeET4_jRbjT5_S1A_jjP12ihipStream_tbEUljE_EEESV_SW_SX_S14_S18_S1A_T6_T7_T9_mT8_S1C_bDpT10_ENKUlT_T0_E_clISt17integral_constantIbLb1EES1O_IbLb0EEEEDaS1K_S1L_EUlS1K_E_NS1_11comp_targetILNS1_3genE8ELNS1_11target_archE1030ELNS1_3gpuE2ELNS1_3repE0EEENS1_30default_config_static_selectorELNS0_4arch9wavefront6targetE1EEEvSY_,comdat
	.globl	_ZN7rocprim17ROCPRIM_400000_NS6detail17trampoline_kernelINS0_13select_configILj256ELj13ELNS0_17block_load_methodE3ELS4_3ELS4_3ELNS0_20block_scan_algorithmE0ELj4294967295EEENS1_25partition_config_selectorILNS1_17partition_subalgoE3EjNS0_10empty_typeEbEEZZNS1_14partition_implILS8_3ELb0ES6_jNS0_17counting_iteratorIjlEEPS9_SE_NS0_5tupleIJPjSE_EEENSF_IJSE_SE_EEES9_SG_JZNS1_25segmented_radix_sort_implINS0_14default_configELb1EPKsPsPKlPlN2at6native12_GLOBAL__N_18offset_tEEE10hipError_tPvRmT1_PNSt15iterator_traitsISY_E10value_typeET2_T3_PNSZ_IS14_E10value_typeET4_jRbjT5_S1A_jjP12ihipStream_tbEUljE_EEESV_SW_SX_S14_S18_S1A_T6_T7_T9_mT8_S1C_bDpT10_ENKUlT_T0_E_clISt17integral_constantIbLb1EES1O_IbLb0EEEEDaS1K_S1L_EUlS1K_E_NS1_11comp_targetILNS1_3genE8ELNS1_11target_archE1030ELNS1_3gpuE2ELNS1_3repE0EEENS1_30default_config_static_selectorELNS0_4arch9wavefront6targetE1EEEvSY_ ; -- Begin function _ZN7rocprim17ROCPRIM_400000_NS6detail17trampoline_kernelINS0_13select_configILj256ELj13ELNS0_17block_load_methodE3ELS4_3ELS4_3ELNS0_20block_scan_algorithmE0ELj4294967295EEENS1_25partition_config_selectorILNS1_17partition_subalgoE3EjNS0_10empty_typeEbEEZZNS1_14partition_implILS8_3ELb0ES6_jNS0_17counting_iteratorIjlEEPS9_SE_NS0_5tupleIJPjSE_EEENSF_IJSE_SE_EEES9_SG_JZNS1_25segmented_radix_sort_implINS0_14default_configELb1EPKsPsPKlPlN2at6native12_GLOBAL__N_18offset_tEEE10hipError_tPvRmT1_PNSt15iterator_traitsISY_E10value_typeET2_T3_PNSZ_IS14_E10value_typeET4_jRbjT5_S1A_jjP12ihipStream_tbEUljE_EEESV_SW_SX_S14_S18_S1A_T6_T7_T9_mT8_S1C_bDpT10_ENKUlT_T0_E_clISt17integral_constantIbLb1EES1O_IbLb0EEEEDaS1K_S1L_EUlS1K_E_NS1_11comp_targetILNS1_3genE8ELNS1_11target_archE1030ELNS1_3gpuE2ELNS1_3repE0EEENS1_30default_config_static_selectorELNS0_4arch9wavefront6targetE1EEEvSY_
	.p2align	8
	.type	_ZN7rocprim17ROCPRIM_400000_NS6detail17trampoline_kernelINS0_13select_configILj256ELj13ELNS0_17block_load_methodE3ELS4_3ELS4_3ELNS0_20block_scan_algorithmE0ELj4294967295EEENS1_25partition_config_selectorILNS1_17partition_subalgoE3EjNS0_10empty_typeEbEEZZNS1_14partition_implILS8_3ELb0ES6_jNS0_17counting_iteratorIjlEEPS9_SE_NS0_5tupleIJPjSE_EEENSF_IJSE_SE_EEES9_SG_JZNS1_25segmented_radix_sort_implINS0_14default_configELb1EPKsPsPKlPlN2at6native12_GLOBAL__N_18offset_tEEE10hipError_tPvRmT1_PNSt15iterator_traitsISY_E10value_typeET2_T3_PNSZ_IS14_E10value_typeET4_jRbjT5_S1A_jjP12ihipStream_tbEUljE_EEESV_SW_SX_S14_S18_S1A_T6_T7_T9_mT8_S1C_bDpT10_ENKUlT_T0_E_clISt17integral_constantIbLb1EES1O_IbLb0EEEEDaS1K_S1L_EUlS1K_E_NS1_11comp_targetILNS1_3genE8ELNS1_11target_archE1030ELNS1_3gpuE2ELNS1_3repE0EEENS1_30default_config_static_selectorELNS0_4arch9wavefront6targetE1EEEvSY_,@function
_ZN7rocprim17ROCPRIM_400000_NS6detail17trampoline_kernelINS0_13select_configILj256ELj13ELNS0_17block_load_methodE3ELS4_3ELS4_3ELNS0_20block_scan_algorithmE0ELj4294967295EEENS1_25partition_config_selectorILNS1_17partition_subalgoE3EjNS0_10empty_typeEbEEZZNS1_14partition_implILS8_3ELb0ES6_jNS0_17counting_iteratorIjlEEPS9_SE_NS0_5tupleIJPjSE_EEENSF_IJSE_SE_EEES9_SG_JZNS1_25segmented_radix_sort_implINS0_14default_configELb1EPKsPsPKlPlN2at6native12_GLOBAL__N_18offset_tEEE10hipError_tPvRmT1_PNSt15iterator_traitsISY_E10value_typeET2_T3_PNSZ_IS14_E10value_typeET4_jRbjT5_S1A_jjP12ihipStream_tbEUljE_EEESV_SW_SX_S14_S18_S1A_T6_T7_T9_mT8_S1C_bDpT10_ENKUlT_T0_E_clISt17integral_constantIbLb1EES1O_IbLb0EEEEDaS1K_S1L_EUlS1K_E_NS1_11comp_targetILNS1_3genE8ELNS1_11target_archE1030ELNS1_3gpuE2ELNS1_3repE0EEENS1_30default_config_static_selectorELNS0_4arch9wavefront6targetE1EEEvSY_: ; @_ZN7rocprim17ROCPRIM_400000_NS6detail17trampoline_kernelINS0_13select_configILj256ELj13ELNS0_17block_load_methodE3ELS4_3ELS4_3ELNS0_20block_scan_algorithmE0ELj4294967295EEENS1_25partition_config_selectorILNS1_17partition_subalgoE3EjNS0_10empty_typeEbEEZZNS1_14partition_implILS8_3ELb0ES6_jNS0_17counting_iteratorIjlEEPS9_SE_NS0_5tupleIJPjSE_EEENSF_IJSE_SE_EEES9_SG_JZNS1_25segmented_radix_sort_implINS0_14default_configELb1EPKsPsPKlPlN2at6native12_GLOBAL__N_18offset_tEEE10hipError_tPvRmT1_PNSt15iterator_traitsISY_E10value_typeET2_T3_PNSZ_IS14_E10value_typeET4_jRbjT5_S1A_jjP12ihipStream_tbEUljE_EEESV_SW_SX_S14_S18_S1A_T6_T7_T9_mT8_S1C_bDpT10_ENKUlT_T0_E_clISt17integral_constantIbLb1EES1O_IbLb0EEEEDaS1K_S1L_EUlS1K_E_NS1_11comp_targetILNS1_3genE8ELNS1_11target_archE1030ELNS1_3gpuE2ELNS1_3repE0EEENS1_30default_config_static_selectorELNS0_4arch9wavefront6targetE1EEEvSY_
; %bb.0:
	.section	.rodata,"a",@progbits
	.p2align	6, 0x0
	.amdhsa_kernel _ZN7rocprim17ROCPRIM_400000_NS6detail17trampoline_kernelINS0_13select_configILj256ELj13ELNS0_17block_load_methodE3ELS4_3ELS4_3ELNS0_20block_scan_algorithmE0ELj4294967295EEENS1_25partition_config_selectorILNS1_17partition_subalgoE3EjNS0_10empty_typeEbEEZZNS1_14partition_implILS8_3ELb0ES6_jNS0_17counting_iteratorIjlEEPS9_SE_NS0_5tupleIJPjSE_EEENSF_IJSE_SE_EEES9_SG_JZNS1_25segmented_radix_sort_implINS0_14default_configELb1EPKsPsPKlPlN2at6native12_GLOBAL__N_18offset_tEEE10hipError_tPvRmT1_PNSt15iterator_traitsISY_E10value_typeET2_T3_PNSZ_IS14_E10value_typeET4_jRbjT5_S1A_jjP12ihipStream_tbEUljE_EEESV_SW_SX_S14_S18_S1A_T6_T7_T9_mT8_S1C_bDpT10_ENKUlT_T0_E_clISt17integral_constantIbLb1EES1O_IbLb0EEEEDaS1K_S1L_EUlS1K_E_NS1_11comp_targetILNS1_3genE8ELNS1_11target_archE1030ELNS1_3gpuE2ELNS1_3repE0EEENS1_30default_config_static_selectorELNS0_4arch9wavefront6targetE1EEEvSY_
		.amdhsa_group_segment_fixed_size 0
		.amdhsa_private_segment_fixed_size 0
		.amdhsa_kernarg_size 144
		.amdhsa_user_sgpr_count 6
		.amdhsa_user_sgpr_private_segment_buffer 1
		.amdhsa_user_sgpr_dispatch_ptr 0
		.amdhsa_user_sgpr_queue_ptr 0
		.amdhsa_user_sgpr_kernarg_segment_ptr 1
		.amdhsa_user_sgpr_dispatch_id 0
		.amdhsa_user_sgpr_flat_scratch_init 0
		.amdhsa_user_sgpr_private_segment_size 0
		.amdhsa_uses_dynamic_stack 0
		.amdhsa_system_sgpr_private_segment_wavefront_offset 0
		.amdhsa_system_sgpr_workgroup_id_x 1
		.amdhsa_system_sgpr_workgroup_id_y 0
		.amdhsa_system_sgpr_workgroup_id_z 0
		.amdhsa_system_sgpr_workgroup_info 0
		.amdhsa_system_vgpr_workitem_id 0
		.amdhsa_next_free_vgpr 1
		.amdhsa_next_free_sgpr 0
		.amdhsa_reserve_vcc 0
		.amdhsa_reserve_flat_scratch 0
		.amdhsa_float_round_mode_32 0
		.amdhsa_float_round_mode_16_64 0
		.amdhsa_float_denorm_mode_32 3
		.amdhsa_float_denorm_mode_16_64 3
		.amdhsa_dx10_clamp 1
		.amdhsa_ieee_mode 1
		.amdhsa_fp16_overflow 0
		.amdhsa_exception_fp_ieee_invalid_op 0
		.amdhsa_exception_fp_denorm_src 0
		.amdhsa_exception_fp_ieee_div_zero 0
		.amdhsa_exception_fp_ieee_overflow 0
		.amdhsa_exception_fp_ieee_underflow 0
		.amdhsa_exception_fp_ieee_inexact 0
		.amdhsa_exception_int_div_zero 0
	.end_amdhsa_kernel
	.section	.text._ZN7rocprim17ROCPRIM_400000_NS6detail17trampoline_kernelINS0_13select_configILj256ELj13ELNS0_17block_load_methodE3ELS4_3ELS4_3ELNS0_20block_scan_algorithmE0ELj4294967295EEENS1_25partition_config_selectorILNS1_17partition_subalgoE3EjNS0_10empty_typeEbEEZZNS1_14partition_implILS8_3ELb0ES6_jNS0_17counting_iteratorIjlEEPS9_SE_NS0_5tupleIJPjSE_EEENSF_IJSE_SE_EEES9_SG_JZNS1_25segmented_radix_sort_implINS0_14default_configELb1EPKsPsPKlPlN2at6native12_GLOBAL__N_18offset_tEEE10hipError_tPvRmT1_PNSt15iterator_traitsISY_E10value_typeET2_T3_PNSZ_IS14_E10value_typeET4_jRbjT5_S1A_jjP12ihipStream_tbEUljE_EEESV_SW_SX_S14_S18_S1A_T6_T7_T9_mT8_S1C_bDpT10_ENKUlT_T0_E_clISt17integral_constantIbLb1EES1O_IbLb0EEEEDaS1K_S1L_EUlS1K_E_NS1_11comp_targetILNS1_3genE8ELNS1_11target_archE1030ELNS1_3gpuE2ELNS1_3repE0EEENS1_30default_config_static_selectorELNS0_4arch9wavefront6targetE1EEEvSY_,"axG",@progbits,_ZN7rocprim17ROCPRIM_400000_NS6detail17trampoline_kernelINS0_13select_configILj256ELj13ELNS0_17block_load_methodE3ELS4_3ELS4_3ELNS0_20block_scan_algorithmE0ELj4294967295EEENS1_25partition_config_selectorILNS1_17partition_subalgoE3EjNS0_10empty_typeEbEEZZNS1_14partition_implILS8_3ELb0ES6_jNS0_17counting_iteratorIjlEEPS9_SE_NS0_5tupleIJPjSE_EEENSF_IJSE_SE_EEES9_SG_JZNS1_25segmented_radix_sort_implINS0_14default_configELb1EPKsPsPKlPlN2at6native12_GLOBAL__N_18offset_tEEE10hipError_tPvRmT1_PNSt15iterator_traitsISY_E10value_typeET2_T3_PNSZ_IS14_E10value_typeET4_jRbjT5_S1A_jjP12ihipStream_tbEUljE_EEESV_SW_SX_S14_S18_S1A_T6_T7_T9_mT8_S1C_bDpT10_ENKUlT_T0_E_clISt17integral_constantIbLb1EES1O_IbLb0EEEEDaS1K_S1L_EUlS1K_E_NS1_11comp_targetILNS1_3genE8ELNS1_11target_archE1030ELNS1_3gpuE2ELNS1_3repE0EEENS1_30default_config_static_selectorELNS0_4arch9wavefront6targetE1EEEvSY_,comdat
.Lfunc_end902:
	.size	_ZN7rocprim17ROCPRIM_400000_NS6detail17trampoline_kernelINS0_13select_configILj256ELj13ELNS0_17block_load_methodE3ELS4_3ELS4_3ELNS0_20block_scan_algorithmE0ELj4294967295EEENS1_25partition_config_selectorILNS1_17partition_subalgoE3EjNS0_10empty_typeEbEEZZNS1_14partition_implILS8_3ELb0ES6_jNS0_17counting_iteratorIjlEEPS9_SE_NS0_5tupleIJPjSE_EEENSF_IJSE_SE_EEES9_SG_JZNS1_25segmented_radix_sort_implINS0_14default_configELb1EPKsPsPKlPlN2at6native12_GLOBAL__N_18offset_tEEE10hipError_tPvRmT1_PNSt15iterator_traitsISY_E10value_typeET2_T3_PNSZ_IS14_E10value_typeET4_jRbjT5_S1A_jjP12ihipStream_tbEUljE_EEESV_SW_SX_S14_S18_S1A_T6_T7_T9_mT8_S1C_bDpT10_ENKUlT_T0_E_clISt17integral_constantIbLb1EES1O_IbLb0EEEEDaS1K_S1L_EUlS1K_E_NS1_11comp_targetILNS1_3genE8ELNS1_11target_archE1030ELNS1_3gpuE2ELNS1_3repE0EEENS1_30default_config_static_selectorELNS0_4arch9wavefront6targetE1EEEvSY_, .Lfunc_end902-_ZN7rocprim17ROCPRIM_400000_NS6detail17trampoline_kernelINS0_13select_configILj256ELj13ELNS0_17block_load_methodE3ELS4_3ELS4_3ELNS0_20block_scan_algorithmE0ELj4294967295EEENS1_25partition_config_selectorILNS1_17partition_subalgoE3EjNS0_10empty_typeEbEEZZNS1_14partition_implILS8_3ELb0ES6_jNS0_17counting_iteratorIjlEEPS9_SE_NS0_5tupleIJPjSE_EEENSF_IJSE_SE_EEES9_SG_JZNS1_25segmented_radix_sort_implINS0_14default_configELb1EPKsPsPKlPlN2at6native12_GLOBAL__N_18offset_tEEE10hipError_tPvRmT1_PNSt15iterator_traitsISY_E10value_typeET2_T3_PNSZ_IS14_E10value_typeET4_jRbjT5_S1A_jjP12ihipStream_tbEUljE_EEESV_SW_SX_S14_S18_S1A_T6_T7_T9_mT8_S1C_bDpT10_ENKUlT_T0_E_clISt17integral_constantIbLb1EES1O_IbLb0EEEEDaS1K_S1L_EUlS1K_E_NS1_11comp_targetILNS1_3genE8ELNS1_11target_archE1030ELNS1_3gpuE2ELNS1_3repE0EEENS1_30default_config_static_selectorELNS0_4arch9wavefront6targetE1EEEvSY_
                                        ; -- End function
	.set _ZN7rocprim17ROCPRIM_400000_NS6detail17trampoline_kernelINS0_13select_configILj256ELj13ELNS0_17block_load_methodE3ELS4_3ELS4_3ELNS0_20block_scan_algorithmE0ELj4294967295EEENS1_25partition_config_selectorILNS1_17partition_subalgoE3EjNS0_10empty_typeEbEEZZNS1_14partition_implILS8_3ELb0ES6_jNS0_17counting_iteratorIjlEEPS9_SE_NS0_5tupleIJPjSE_EEENSF_IJSE_SE_EEES9_SG_JZNS1_25segmented_radix_sort_implINS0_14default_configELb1EPKsPsPKlPlN2at6native12_GLOBAL__N_18offset_tEEE10hipError_tPvRmT1_PNSt15iterator_traitsISY_E10value_typeET2_T3_PNSZ_IS14_E10value_typeET4_jRbjT5_S1A_jjP12ihipStream_tbEUljE_EEESV_SW_SX_S14_S18_S1A_T6_T7_T9_mT8_S1C_bDpT10_ENKUlT_T0_E_clISt17integral_constantIbLb1EES1O_IbLb0EEEEDaS1K_S1L_EUlS1K_E_NS1_11comp_targetILNS1_3genE8ELNS1_11target_archE1030ELNS1_3gpuE2ELNS1_3repE0EEENS1_30default_config_static_selectorELNS0_4arch9wavefront6targetE1EEEvSY_.num_vgpr, 0
	.set _ZN7rocprim17ROCPRIM_400000_NS6detail17trampoline_kernelINS0_13select_configILj256ELj13ELNS0_17block_load_methodE3ELS4_3ELS4_3ELNS0_20block_scan_algorithmE0ELj4294967295EEENS1_25partition_config_selectorILNS1_17partition_subalgoE3EjNS0_10empty_typeEbEEZZNS1_14partition_implILS8_3ELb0ES6_jNS0_17counting_iteratorIjlEEPS9_SE_NS0_5tupleIJPjSE_EEENSF_IJSE_SE_EEES9_SG_JZNS1_25segmented_radix_sort_implINS0_14default_configELb1EPKsPsPKlPlN2at6native12_GLOBAL__N_18offset_tEEE10hipError_tPvRmT1_PNSt15iterator_traitsISY_E10value_typeET2_T3_PNSZ_IS14_E10value_typeET4_jRbjT5_S1A_jjP12ihipStream_tbEUljE_EEESV_SW_SX_S14_S18_S1A_T6_T7_T9_mT8_S1C_bDpT10_ENKUlT_T0_E_clISt17integral_constantIbLb1EES1O_IbLb0EEEEDaS1K_S1L_EUlS1K_E_NS1_11comp_targetILNS1_3genE8ELNS1_11target_archE1030ELNS1_3gpuE2ELNS1_3repE0EEENS1_30default_config_static_selectorELNS0_4arch9wavefront6targetE1EEEvSY_.num_agpr, 0
	.set _ZN7rocprim17ROCPRIM_400000_NS6detail17trampoline_kernelINS0_13select_configILj256ELj13ELNS0_17block_load_methodE3ELS4_3ELS4_3ELNS0_20block_scan_algorithmE0ELj4294967295EEENS1_25partition_config_selectorILNS1_17partition_subalgoE3EjNS0_10empty_typeEbEEZZNS1_14partition_implILS8_3ELb0ES6_jNS0_17counting_iteratorIjlEEPS9_SE_NS0_5tupleIJPjSE_EEENSF_IJSE_SE_EEES9_SG_JZNS1_25segmented_radix_sort_implINS0_14default_configELb1EPKsPsPKlPlN2at6native12_GLOBAL__N_18offset_tEEE10hipError_tPvRmT1_PNSt15iterator_traitsISY_E10value_typeET2_T3_PNSZ_IS14_E10value_typeET4_jRbjT5_S1A_jjP12ihipStream_tbEUljE_EEESV_SW_SX_S14_S18_S1A_T6_T7_T9_mT8_S1C_bDpT10_ENKUlT_T0_E_clISt17integral_constantIbLb1EES1O_IbLb0EEEEDaS1K_S1L_EUlS1K_E_NS1_11comp_targetILNS1_3genE8ELNS1_11target_archE1030ELNS1_3gpuE2ELNS1_3repE0EEENS1_30default_config_static_selectorELNS0_4arch9wavefront6targetE1EEEvSY_.numbered_sgpr, 0
	.set _ZN7rocprim17ROCPRIM_400000_NS6detail17trampoline_kernelINS0_13select_configILj256ELj13ELNS0_17block_load_methodE3ELS4_3ELS4_3ELNS0_20block_scan_algorithmE0ELj4294967295EEENS1_25partition_config_selectorILNS1_17partition_subalgoE3EjNS0_10empty_typeEbEEZZNS1_14partition_implILS8_3ELb0ES6_jNS0_17counting_iteratorIjlEEPS9_SE_NS0_5tupleIJPjSE_EEENSF_IJSE_SE_EEES9_SG_JZNS1_25segmented_radix_sort_implINS0_14default_configELb1EPKsPsPKlPlN2at6native12_GLOBAL__N_18offset_tEEE10hipError_tPvRmT1_PNSt15iterator_traitsISY_E10value_typeET2_T3_PNSZ_IS14_E10value_typeET4_jRbjT5_S1A_jjP12ihipStream_tbEUljE_EEESV_SW_SX_S14_S18_S1A_T6_T7_T9_mT8_S1C_bDpT10_ENKUlT_T0_E_clISt17integral_constantIbLb1EES1O_IbLb0EEEEDaS1K_S1L_EUlS1K_E_NS1_11comp_targetILNS1_3genE8ELNS1_11target_archE1030ELNS1_3gpuE2ELNS1_3repE0EEENS1_30default_config_static_selectorELNS0_4arch9wavefront6targetE1EEEvSY_.num_named_barrier, 0
	.set _ZN7rocprim17ROCPRIM_400000_NS6detail17trampoline_kernelINS0_13select_configILj256ELj13ELNS0_17block_load_methodE3ELS4_3ELS4_3ELNS0_20block_scan_algorithmE0ELj4294967295EEENS1_25partition_config_selectorILNS1_17partition_subalgoE3EjNS0_10empty_typeEbEEZZNS1_14partition_implILS8_3ELb0ES6_jNS0_17counting_iteratorIjlEEPS9_SE_NS0_5tupleIJPjSE_EEENSF_IJSE_SE_EEES9_SG_JZNS1_25segmented_radix_sort_implINS0_14default_configELb1EPKsPsPKlPlN2at6native12_GLOBAL__N_18offset_tEEE10hipError_tPvRmT1_PNSt15iterator_traitsISY_E10value_typeET2_T3_PNSZ_IS14_E10value_typeET4_jRbjT5_S1A_jjP12ihipStream_tbEUljE_EEESV_SW_SX_S14_S18_S1A_T6_T7_T9_mT8_S1C_bDpT10_ENKUlT_T0_E_clISt17integral_constantIbLb1EES1O_IbLb0EEEEDaS1K_S1L_EUlS1K_E_NS1_11comp_targetILNS1_3genE8ELNS1_11target_archE1030ELNS1_3gpuE2ELNS1_3repE0EEENS1_30default_config_static_selectorELNS0_4arch9wavefront6targetE1EEEvSY_.private_seg_size, 0
	.set _ZN7rocprim17ROCPRIM_400000_NS6detail17trampoline_kernelINS0_13select_configILj256ELj13ELNS0_17block_load_methodE3ELS4_3ELS4_3ELNS0_20block_scan_algorithmE0ELj4294967295EEENS1_25partition_config_selectorILNS1_17partition_subalgoE3EjNS0_10empty_typeEbEEZZNS1_14partition_implILS8_3ELb0ES6_jNS0_17counting_iteratorIjlEEPS9_SE_NS0_5tupleIJPjSE_EEENSF_IJSE_SE_EEES9_SG_JZNS1_25segmented_radix_sort_implINS0_14default_configELb1EPKsPsPKlPlN2at6native12_GLOBAL__N_18offset_tEEE10hipError_tPvRmT1_PNSt15iterator_traitsISY_E10value_typeET2_T3_PNSZ_IS14_E10value_typeET4_jRbjT5_S1A_jjP12ihipStream_tbEUljE_EEESV_SW_SX_S14_S18_S1A_T6_T7_T9_mT8_S1C_bDpT10_ENKUlT_T0_E_clISt17integral_constantIbLb1EES1O_IbLb0EEEEDaS1K_S1L_EUlS1K_E_NS1_11comp_targetILNS1_3genE8ELNS1_11target_archE1030ELNS1_3gpuE2ELNS1_3repE0EEENS1_30default_config_static_selectorELNS0_4arch9wavefront6targetE1EEEvSY_.uses_vcc, 0
	.set _ZN7rocprim17ROCPRIM_400000_NS6detail17trampoline_kernelINS0_13select_configILj256ELj13ELNS0_17block_load_methodE3ELS4_3ELS4_3ELNS0_20block_scan_algorithmE0ELj4294967295EEENS1_25partition_config_selectorILNS1_17partition_subalgoE3EjNS0_10empty_typeEbEEZZNS1_14partition_implILS8_3ELb0ES6_jNS0_17counting_iteratorIjlEEPS9_SE_NS0_5tupleIJPjSE_EEENSF_IJSE_SE_EEES9_SG_JZNS1_25segmented_radix_sort_implINS0_14default_configELb1EPKsPsPKlPlN2at6native12_GLOBAL__N_18offset_tEEE10hipError_tPvRmT1_PNSt15iterator_traitsISY_E10value_typeET2_T3_PNSZ_IS14_E10value_typeET4_jRbjT5_S1A_jjP12ihipStream_tbEUljE_EEESV_SW_SX_S14_S18_S1A_T6_T7_T9_mT8_S1C_bDpT10_ENKUlT_T0_E_clISt17integral_constantIbLb1EES1O_IbLb0EEEEDaS1K_S1L_EUlS1K_E_NS1_11comp_targetILNS1_3genE8ELNS1_11target_archE1030ELNS1_3gpuE2ELNS1_3repE0EEENS1_30default_config_static_selectorELNS0_4arch9wavefront6targetE1EEEvSY_.uses_flat_scratch, 0
	.set _ZN7rocprim17ROCPRIM_400000_NS6detail17trampoline_kernelINS0_13select_configILj256ELj13ELNS0_17block_load_methodE3ELS4_3ELS4_3ELNS0_20block_scan_algorithmE0ELj4294967295EEENS1_25partition_config_selectorILNS1_17partition_subalgoE3EjNS0_10empty_typeEbEEZZNS1_14partition_implILS8_3ELb0ES6_jNS0_17counting_iteratorIjlEEPS9_SE_NS0_5tupleIJPjSE_EEENSF_IJSE_SE_EEES9_SG_JZNS1_25segmented_radix_sort_implINS0_14default_configELb1EPKsPsPKlPlN2at6native12_GLOBAL__N_18offset_tEEE10hipError_tPvRmT1_PNSt15iterator_traitsISY_E10value_typeET2_T3_PNSZ_IS14_E10value_typeET4_jRbjT5_S1A_jjP12ihipStream_tbEUljE_EEESV_SW_SX_S14_S18_S1A_T6_T7_T9_mT8_S1C_bDpT10_ENKUlT_T0_E_clISt17integral_constantIbLb1EES1O_IbLb0EEEEDaS1K_S1L_EUlS1K_E_NS1_11comp_targetILNS1_3genE8ELNS1_11target_archE1030ELNS1_3gpuE2ELNS1_3repE0EEENS1_30default_config_static_selectorELNS0_4arch9wavefront6targetE1EEEvSY_.has_dyn_sized_stack, 0
	.set _ZN7rocprim17ROCPRIM_400000_NS6detail17trampoline_kernelINS0_13select_configILj256ELj13ELNS0_17block_load_methodE3ELS4_3ELS4_3ELNS0_20block_scan_algorithmE0ELj4294967295EEENS1_25partition_config_selectorILNS1_17partition_subalgoE3EjNS0_10empty_typeEbEEZZNS1_14partition_implILS8_3ELb0ES6_jNS0_17counting_iteratorIjlEEPS9_SE_NS0_5tupleIJPjSE_EEENSF_IJSE_SE_EEES9_SG_JZNS1_25segmented_radix_sort_implINS0_14default_configELb1EPKsPsPKlPlN2at6native12_GLOBAL__N_18offset_tEEE10hipError_tPvRmT1_PNSt15iterator_traitsISY_E10value_typeET2_T3_PNSZ_IS14_E10value_typeET4_jRbjT5_S1A_jjP12ihipStream_tbEUljE_EEESV_SW_SX_S14_S18_S1A_T6_T7_T9_mT8_S1C_bDpT10_ENKUlT_T0_E_clISt17integral_constantIbLb1EES1O_IbLb0EEEEDaS1K_S1L_EUlS1K_E_NS1_11comp_targetILNS1_3genE8ELNS1_11target_archE1030ELNS1_3gpuE2ELNS1_3repE0EEENS1_30default_config_static_selectorELNS0_4arch9wavefront6targetE1EEEvSY_.has_recursion, 0
	.set _ZN7rocprim17ROCPRIM_400000_NS6detail17trampoline_kernelINS0_13select_configILj256ELj13ELNS0_17block_load_methodE3ELS4_3ELS4_3ELNS0_20block_scan_algorithmE0ELj4294967295EEENS1_25partition_config_selectorILNS1_17partition_subalgoE3EjNS0_10empty_typeEbEEZZNS1_14partition_implILS8_3ELb0ES6_jNS0_17counting_iteratorIjlEEPS9_SE_NS0_5tupleIJPjSE_EEENSF_IJSE_SE_EEES9_SG_JZNS1_25segmented_radix_sort_implINS0_14default_configELb1EPKsPsPKlPlN2at6native12_GLOBAL__N_18offset_tEEE10hipError_tPvRmT1_PNSt15iterator_traitsISY_E10value_typeET2_T3_PNSZ_IS14_E10value_typeET4_jRbjT5_S1A_jjP12ihipStream_tbEUljE_EEESV_SW_SX_S14_S18_S1A_T6_T7_T9_mT8_S1C_bDpT10_ENKUlT_T0_E_clISt17integral_constantIbLb1EES1O_IbLb0EEEEDaS1K_S1L_EUlS1K_E_NS1_11comp_targetILNS1_3genE8ELNS1_11target_archE1030ELNS1_3gpuE2ELNS1_3repE0EEENS1_30default_config_static_selectorELNS0_4arch9wavefront6targetE1EEEvSY_.has_indirect_call, 0
	.section	.AMDGPU.csdata,"",@progbits
; Kernel info:
; codeLenInByte = 0
; TotalNumSgprs: 4
; NumVgprs: 0
; ScratchSize: 0
; MemoryBound: 0
; FloatMode: 240
; IeeeMode: 1
; LDSByteSize: 0 bytes/workgroup (compile time only)
; SGPRBlocks: 0
; VGPRBlocks: 0
; NumSGPRsForWavesPerEU: 4
; NumVGPRsForWavesPerEU: 1
; Occupancy: 10
; WaveLimiterHint : 0
; COMPUTE_PGM_RSRC2:SCRATCH_EN: 0
; COMPUTE_PGM_RSRC2:USER_SGPR: 6
; COMPUTE_PGM_RSRC2:TRAP_HANDLER: 0
; COMPUTE_PGM_RSRC2:TGID_X_EN: 1
; COMPUTE_PGM_RSRC2:TGID_Y_EN: 0
; COMPUTE_PGM_RSRC2:TGID_Z_EN: 0
; COMPUTE_PGM_RSRC2:TIDIG_COMP_CNT: 0
	.section	.text._ZN7rocprim17ROCPRIM_400000_NS6detail17trampoline_kernelINS0_13select_configILj256ELj13ELNS0_17block_load_methodE3ELS4_3ELS4_3ELNS0_20block_scan_algorithmE0ELj4294967295EEENS1_25partition_config_selectorILNS1_17partition_subalgoE3EjNS0_10empty_typeEbEEZZNS1_14partition_implILS8_3ELb0ES6_jNS0_17counting_iteratorIjlEEPS9_SE_NS0_5tupleIJPjSE_EEENSF_IJSE_SE_EEES9_SG_JZNS1_25segmented_radix_sort_implINS0_14default_configELb1EPKsPsPKlPlN2at6native12_GLOBAL__N_18offset_tEEE10hipError_tPvRmT1_PNSt15iterator_traitsISY_E10value_typeET2_T3_PNSZ_IS14_E10value_typeET4_jRbjT5_S1A_jjP12ihipStream_tbEUljE_EEESV_SW_SX_S14_S18_S1A_T6_T7_T9_mT8_S1C_bDpT10_ENKUlT_T0_E_clISt17integral_constantIbLb0EES1O_IbLb1EEEEDaS1K_S1L_EUlS1K_E_NS1_11comp_targetILNS1_3genE0ELNS1_11target_archE4294967295ELNS1_3gpuE0ELNS1_3repE0EEENS1_30default_config_static_selectorELNS0_4arch9wavefront6targetE1EEEvSY_,"axG",@progbits,_ZN7rocprim17ROCPRIM_400000_NS6detail17trampoline_kernelINS0_13select_configILj256ELj13ELNS0_17block_load_methodE3ELS4_3ELS4_3ELNS0_20block_scan_algorithmE0ELj4294967295EEENS1_25partition_config_selectorILNS1_17partition_subalgoE3EjNS0_10empty_typeEbEEZZNS1_14partition_implILS8_3ELb0ES6_jNS0_17counting_iteratorIjlEEPS9_SE_NS0_5tupleIJPjSE_EEENSF_IJSE_SE_EEES9_SG_JZNS1_25segmented_radix_sort_implINS0_14default_configELb1EPKsPsPKlPlN2at6native12_GLOBAL__N_18offset_tEEE10hipError_tPvRmT1_PNSt15iterator_traitsISY_E10value_typeET2_T3_PNSZ_IS14_E10value_typeET4_jRbjT5_S1A_jjP12ihipStream_tbEUljE_EEESV_SW_SX_S14_S18_S1A_T6_T7_T9_mT8_S1C_bDpT10_ENKUlT_T0_E_clISt17integral_constantIbLb0EES1O_IbLb1EEEEDaS1K_S1L_EUlS1K_E_NS1_11comp_targetILNS1_3genE0ELNS1_11target_archE4294967295ELNS1_3gpuE0ELNS1_3repE0EEENS1_30default_config_static_selectorELNS0_4arch9wavefront6targetE1EEEvSY_,comdat
	.globl	_ZN7rocprim17ROCPRIM_400000_NS6detail17trampoline_kernelINS0_13select_configILj256ELj13ELNS0_17block_load_methodE3ELS4_3ELS4_3ELNS0_20block_scan_algorithmE0ELj4294967295EEENS1_25partition_config_selectorILNS1_17partition_subalgoE3EjNS0_10empty_typeEbEEZZNS1_14partition_implILS8_3ELb0ES6_jNS0_17counting_iteratorIjlEEPS9_SE_NS0_5tupleIJPjSE_EEENSF_IJSE_SE_EEES9_SG_JZNS1_25segmented_radix_sort_implINS0_14default_configELb1EPKsPsPKlPlN2at6native12_GLOBAL__N_18offset_tEEE10hipError_tPvRmT1_PNSt15iterator_traitsISY_E10value_typeET2_T3_PNSZ_IS14_E10value_typeET4_jRbjT5_S1A_jjP12ihipStream_tbEUljE_EEESV_SW_SX_S14_S18_S1A_T6_T7_T9_mT8_S1C_bDpT10_ENKUlT_T0_E_clISt17integral_constantIbLb0EES1O_IbLb1EEEEDaS1K_S1L_EUlS1K_E_NS1_11comp_targetILNS1_3genE0ELNS1_11target_archE4294967295ELNS1_3gpuE0ELNS1_3repE0EEENS1_30default_config_static_selectorELNS0_4arch9wavefront6targetE1EEEvSY_ ; -- Begin function _ZN7rocprim17ROCPRIM_400000_NS6detail17trampoline_kernelINS0_13select_configILj256ELj13ELNS0_17block_load_methodE3ELS4_3ELS4_3ELNS0_20block_scan_algorithmE0ELj4294967295EEENS1_25partition_config_selectorILNS1_17partition_subalgoE3EjNS0_10empty_typeEbEEZZNS1_14partition_implILS8_3ELb0ES6_jNS0_17counting_iteratorIjlEEPS9_SE_NS0_5tupleIJPjSE_EEENSF_IJSE_SE_EEES9_SG_JZNS1_25segmented_radix_sort_implINS0_14default_configELb1EPKsPsPKlPlN2at6native12_GLOBAL__N_18offset_tEEE10hipError_tPvRmT1_PNSt15iterator_traitsISY_E10value_typeET2_T3_PNSZ_IS14_E10value_typeET4_jRbjT5_S1A_jjP12ihipStream_tbEUljE_EEESV_SW_SX_S14_S18_S1A_T6_T7_T9_mT8_S1C_bDpT10_ENKUlT_T0_E_clISt17integral_constantIbLb0EES1O_IbLb1EEEEDaS1K_S1L_EUlS1K_E_NS1_11comp_targetILNS1_3genE0ELNS1_11target_archE4294967295ELNS1_3gpuE0ELNS1_3repE0EEENS1_30default_config_static_selectorELNS0_4arch9wavefront6targetE1EEEvSY_
	.p2align	8
	.type	_ZN7rocprim17ROCPRIM_400000_NS6detail17trampoline_kernelINS0_13select_configILj256ELj13ELNS0_17block_load_methodE3ELS4_3ELS4_3ELNS0_20block_scan_algorithmE0ELj4294967295EEENS1_25partition_config_selectorILNS1_17partition_subalgoE3EjNS0_10empty_typeEbEEZZNS1_14partition_implILS8_3ELb0ES6_jNS0_17counting_iteratorIjlEEPS9_SE_NS0_5tupleIJPjSE_EEENSF_IJSE_SE_EEES9_SG_JZNS1_25segmented_radix_sort_implINS0_14default_configELb1EPKsPsPKlPlN2at6native12_GLOBAL__N_18offset_tEEE10hipError_tPvRmT1_PNSt15iterator_traitsISY_E10value_typeET2_T3_PNSZ_IS14_E10value_typeET4_jRbjT5_S1A_jjP12ihipStream_tbEUljE_EEESV_SW_SX_S14_S18_S1A_T6_T7_T9_mT8_S1C_bDpT10_ENKUlT_T0_E_clISt17integral_constantIbLb0EES1O_IbLb1EEEEDaS1K_S1L_EUlS1K_E_NS1_11comp_targetILNS1_3genE0ELNS1_11target_archE4294967295ELNS1_3gpuE0ELNS1_3repE0EEENS1_30default_config_static_selectorELNS0_4arch9wavefront6targetE1EEEvSY_,@function
_ZN7rocprim17ROCPRIM_400000_NS6detail17trampoline_kernelINS0_13select_configILj256ELj13ELNS0_17block_load_methodE3ELS4_3ELS4_3ELNS0_20block_scan_algorithmE0ELj4294967295EEENS1_25partition_config_selectorILNS1_17partition_subalgoE3EjNS0_10empty_typeEbEEZZNS1_14partition_implILS8_3ELb0ES6_jNS0_17counting_iteratorIjlEEPS9_SE_NS0_5tupleIJPjSE_EEENSF_IJSE_SE_EEES9_SG_JZNS1_25segmented_radix_sort_implINS0_14default_configELb1EPKsPsPKlPlN2at6native12_GLOBAL__N_18offset_tEEE10hipError_tPvRmT1_PNSt15iterator_traitsISY_E10value_typeET2_T3_PNSZ_IS14_E10value_typeET4_jRbjT5_S1A_jjP12ihipStream_tbEUljE_EEESV_SW_SX_S14_S18_S1A_T6_T7_T9_mT8_S1C_bDpT10_ENKUlT_T0_E_clISt17integral_constantIbLb0EES1O_IbLb1EEEEDaS1K_S1L_EUlS1K_E_NS1_11comp_targetILNS1_3genE0ELNS1_11target_archE4294967295ELNS1_3gpuE0ELNS1_3repE0EEENS1_30default_config_static_selectorELNS0_4arch9wavefront6targetE1EEEvSY_: ; @_ZN7rocprim17ROCPRIM_400000_NS6detail17trampoline_kernelINS0_13select_configILj256ELj13ELNS0_17block_load_methodE3ELS4_3ELS4_3ELNS0_20block_scan_algorithmE0ELj4294967295EEENS1_25partition_config_selectorILNS1_17partition_subalgoE3EjNS0_10empty_typeEbEEZZNS1_14partition_implILS8_3ELb0ES6_jNS0_17counting_iteratorIjlEEPS9_SE_NS0_5tupleIJPjSE_EEENSF_IJSE_SE_EEES9_SG_JZNS1_25segmented_radix_sort_implINS0_14default_configELb1EPKsPsPKlPlN2at6native12_GLOBAL__N_18offset_tEEE10hipError_tPvRmT1_PNSt15iterator_traitsISY_E10value_typeET2_T3_PNSZ_IS14_E10value_typeET4_jRbjT5_S1A_jjP12ihipStream_tbEUljE_EEESV_SW_SX_S14_S18_S1A_T6_T7_T9_mT8_S1C_bDpT10_ENKUlT_T0_E_clISt17integral_constantIbLb0EES1O_IbLb1EEEEDaS1K_S1L_EUlS1K_E_NS1_11comp_targetILNS1_3genE0ELNS1_11target_archE4294967295ELNS1_3gpuE0ELNS1_3repE0EEENS1_30default_config_static_selectorELNS0_4arch9wavefront6targetE1EEEvSY_
; %bb.0:
	.section	.rodata,"a",@progbits
	.p2align	6, 0x0
	.amdhsa_kernel _ZN7rocprim17ROCPRIM_400000_NS6detail17trampoline_kernelINS0_13select_configILj256ELj13ELNS0_17block_load_methodE3ELS4_3ELS4_3ELNS0_20block_scan_algorithmE0ELj4294967295EEENS1_25partition_config_selectorILNS1_17partition_subalgoE3EjNS0_10empty_typeEbEEZZNS1_14partition_implILS8_3ELb0ES6_jNS0_17counting_iteratorIjlEEPS9_SE_NS0_5tupleIJPjSE_EEENSF_IJSE_SE_EEES9_SG_JZNS1_25segmented_radix_sort_implINS0_14default_configELb1EPKsPsPKlPlN2at6native12_GLOBAL__N_18offset_tEEE10hipError_tPvRmT1_PNSt15iterator_traitsISY_E10value_typeET2_T3_PNSZ_IS14_E10value_typeET4_jRbjT5_S1A_jjP12ihipStream_tbEUljE_EEESV_SW_SX_S14_S18_S1A_T6_T7_T9_mT8_S1C_bDpT10_ENKUlT_T0_E_clISt17integral_constantIbLb0EES1O_IbLb1EEEEDaS1K_S1L_EUlS1K_E_NS1_11comp_targetILNS1_3genE0ELNS1_11target_archE4294967295ELNS1_3gpuE0ELNS1_3repE0EEENS1_30default_config_static_selectorELNS0_4arch9wavefront6targetE1EEEvSY_
		.amdhsa_group_segment_fixed_size 0
		.amdhsa_private_segment_fixed_size 0
		.amdhsa_kernarg_size 152
		.amdhsa_user_sgpr_count 6
		.amdhsa_user_sgpr_private_segment_buffer 1
		.amdhsa_user_sgpr_dispatch_ptr 0
		.amdhsa_user_sgpr_queue_ptr 0
		.amdhsa_user_sgpr_kernarg_segment_ptr 1
		.amdhsa_user_sgpr_dispatch_id 0
		.amdhsa_user_sgpr_flat_scratch_init 0
		.amdhsa_user_sgpr_private_segment_size 0
		.amdhsa_uses_dynamic_stack 0
		.amdhsa_system_sgpr_private_segment_wavefront_offset 0
		.amdhsa_system_sgpr_workgroup_id_x 1
		.amdhsa_system_sgpr_workgroup_id_y 0
		.amdhsa_system_sgpr_workgroup_id_z 0
		.amdhsa_system_sgpr_workgroup_info 0
		.amdhsa_system_vgpr_workitem_id 0
		.amdhsa_next_free_vgpr 1
		.amdhsa_next_free_sgpr 0
		.amdhsa_reserve_vcc 0
		.amdhsa_reserve_flat_scratch 0
		.amdhsa_float_round_mode_32 0
		.amdhsa_float_round_mode_16_64 0
		.amdhsa_float_denorm_mode_32 3
		.amdhsa_float_denorm_mode_16_64 3
		.amdhsa_dx10_clamp 1
		.amdhsa_ieee_mode 1
		.amdhsa_fp16_overflow 0
		.amdhsa_exception_fp_ieee_invalid_op 0
		.amdhsa_exception_fp_denorm_src 0
		.amdhsa_exception_fp_ieee_div_zero 0
		.amdhsa_exception_fp_ieee_overflow 0
		.amdhsa_exception_fp_ieee_underflow 0
		.amdhsa_exception_fp_ieee_inexact 0
		.amdhsa_exception_int_div_zero 0
	.end_amdhsa_kernel
	.section	.text._ZN7rocprim17ROCPRIM_400000_NS6detail17trampoline_kernelINS0_13select_configILj256ELj13ELNS0_17block_load_methodE3ELS4_3ELS4_3ELNS0_20block_scan_algorithmE0ELj4294967295EEENS1_25partition_config_selectorILNS1_17partition_subalgoE3EjNS0_10empty_typeEbEEZZNS1_14partition_implILS8_3ELb0ES6_jNS0_17counting_iteratorIjlEEPS9_SE_NS0_5tupleIJPjSE_EEENSF_IJSE_SE_EEES9_SG_JZNS1_25segmented_radix_sort_implINS0_14default_configELb1EPKsPsPKlPlN2at6native12_GLOBAL__N_18offset_tEEE10hipError_tPvRmT1_PNSt15iterator_traitsISY_E10value_typeET2_T3_PNSZ_IS14_E10value_typeET4_jRbjT5_S1A_jjP12ihipStream_tbEUljE_EEESV_SW_SX_S14_S18_S1A_T6_T7_T9_mT8_S1C_bDpT10_ENKUlT_T0_E_clISt17integral_constantIbLb0EES1O_IbLb1EEEEDaS1K_S1L_EUlS1K_E_NS1_11comp_targetILNS1_3genE0ELNS1_11target_archE4294967295ELNS1_3gpuE0ELNS1_3repE0EEENS1_30default_config_static_selectorELNS0_4arch9wavefront6targetE1EEEvSY_,"axG",@progbits,_ZN7rocprim17ROCPRIM_400000_NS6detail17trampoline_kernelINS0_13select_configILj256ELj13ELNS0_17block_load_methodE3ELS4_3ELS4_3ELNS0_20block_scan_algorithmE0ELj4294967295EEENS1_25partition_config_selectorILNS1_17partition_subalgoE3EjNS0_10empty_typeEbEEZZNS1_14partition_implILS8_3ELb0ES6_jNS0_17counting_iteratorIjlEEPS9_SE_NS0_5tupleIJPjSE_EEENSF_IJSE_SE_EEES9_SG_JZNS1_25segmented_radix_sort_implINS0_14default_configELb1EPKsPsPKlPlN2at6native12_GLOBAL__N_18offset_tEEE10hipError_tPvRmT1_PNSt15iterator_traitsISY_E10value_typeET2_T3_PNSZ_IS14_E10value_typeET4_jRbjT5_S1A_jjP12ihipStream_tbEUljE_EEESV_SW_SX_S14_S18_S1A_T6_T7_T9_mT8_S1C_bDpT10_ENKUlT_T0_E_clISt17integral_constantIbLb0EES1O_IbLb1EEEEDaS1K_S1L_EUlS1K_E_NS1_11comp_targetILNS1_3genE0ELNS1_11target_archE4294967295ELNS1_3gpuE0ELNS1_3repE0EEENS1_30default_config_static_selectorELNS0_4arch9wavefront6targetE1EEEvSY_,comdat
.Lfunc_end903:
	.size	_ZN7rocprim17ROCPRIM_400000_NS6detail17trampoline_kernelINS0_13select_configILj256ELj13ELNS0_17block_load_methodE3ELS4_3ELS4_3ELNS0_20block_scan_algorithmE0ELj4294967295EEENS1_25partition_config_selectorILNS1_17partition_subalgoE3EjNS0_10empty_typeEbEEZZNS1_14partition_implILS8_3ELb0ES6_jNS0_17counting_iteratorIjlEEPS9_SE_NS0_5tupleIJPjSE_EEENSF_IJSE_SE_EEES9_SG_JZNS1_25segmented_radix_sort_implINS0_14default_configELb1EPKsPsPKlPlN2at6native12_GLOBAL__N_18offset_tEEE10hipError_tPvRmT1_PNSt15iterator_traitsISY_E10value_typeET2_T3_PNSZ_IS14_E10value_typeET4_jRbjT5_S1A_jjP12ihipStream_tbEUljE_EEESV_SW_SX_S14_S18_S1A_T6_T7_T9_mT8_S1C_bDpT10_ENKUlT_T0_E_clISt17integral_constantIbLb0EES1O_IbLb1EEEEDaS1K_S1L_EUlS1K_E_NS1_11comp_targetILNS1_3genE0ELNS1_11target_archE4294967295ELNS1_3gpuE0ELNS1_3repE0EEENS1_30default_config_static_selectorELNS0_4arch9wavefront6targetE1EEEvSY_, .Lfunc_end903-_ZN7rocprim17ROCPRIM_400000_NS6detail17trampoline_kernelINS0_13select_configILj256ELj13ELNS0_17block_load_methodE3ELS4_3ELS4_3ELNS0_20block_scan_algorithmE0ELj4294967295EEENS1_25partition_config_selectorILNS1_17partition_subalgoE3EjNS0_10empty_typeEbEEZZNS1_14partition_implILS8_3ELb0ES6_jNS0_17counting_iteratorIjlEEPS9_SE_NS0_5tupleIJPjSE_EEENSF_IJSE_SE_EEES9_SG_JZNS1_25segmented_radix_sort_implINS0_14default_configELb1EPKsPsPKlPlN2at6native12_GLOBAL__N_18offset_tEEE10hipError_tPvRmT1_PNSt15iterator_traitsISY_E10value_typeET2_T3_PNSZ_IS14_E10value_typeET4_jRbjT5_S1A_jjP12ihipStream_tbEUljE_EEESV_SW_SX_S14_S18_S1A_T6_T7_T9_mT8_S1C_bDpT10_ENKUlT_T0_E_clISt17integral_constantIbLb0EES1O_IbLb1EEEEDaS1K_S1L_EUlS1K_E_NS1_11comp_targetILNS1_3genE0ELNS1_11target_archE4294967295ELNS1_3gpuE0ELNS1_3repE0EEENS1_30default_config_static_selectorELNS0_4arch9wavefront6targetE1EEEvSY_
                                        ; -- End function
	.set _ZN7rocprim17ROCPRIM_400000_NS6detail17trampoline_kernelINS0_13select_configILj256ELj13ELNS0_17block_load_methodE3ELS4_3ELS4_3ELNS0_20block_scan_algorithmE0ELj4294967295EEENS1_25partition_config_selectorILNS1_17partition_subalgoE3EjNS0_10empty_typeEbEEZZNS1_14partition_implILS8_3ELb0ES6_jNS0_17counting_iteratorIjlEEPS9_SE_NS0_5tupleIJPjSE_EEENSF_IJSE_SE_EEES9_SG_JZNS1_25segmented_radix_sort_implINS0_14default_configELb1EPKsPsPKlPlN2at6native12_GLOBAL__N_18offset_tEEE10hipError_tPvRmT1_PNSt15iterator_traitsISY_E10value_typeET2_T3_PNSZ_IS14_E10value_typeET4_jRbjT5_S1A_jjP12ihipStream_tbEUljE_EEESV_SW_SX_S14_S18_S1A_T6_T7_T9_mT8_S1C_bDpT10_ENKUlT_T0_E_clISt17integral_constantIbLb0EES1O_IbLb1EEEEDaS1K_S1L_EUlS1K_E_NS1_11comp_targetILNS1_3genE0ELNS1_11target_archE4294967295ELNS1_3gpuE0ELNS1_3repE0EEENS1_30default_config_static_selectorELNS0_4arch9wavefront6targetE1EEEvSY_.num_vgpr, 0
	.set _ZN7rocprim17ROCPRIM_400000_NS6detail17trampoline_kernelINS0_13select_configILj256ELj13ELNS0_17block_load_methodE3ELS4_3ELS4_3ELNS0_20block_scan_algorithmE0ELj4294967295EEENS1_25partition_config_selectorILNS1_17partition_subalgoE3EjNS0_10empty_typeEbEEZZNS1_14partition_implILS8_3ELb0ES6_jNS0_17counting_iteratorIjlEEPS9_SE_NS0_5tupleIJPjSE_EEENSF_IJSE_SE_EEES9_SG_JZNS1_25segmented_radix_sort_implINS0_14default_configELb1EPKsPsPKlPlN2at6native12_GLOBAL__N_18offset_tEEE10hipError_tPvRmT1_PNSt15iterator_traitsISY_E10value_typeET2_T3_PNSZ_IS14_E10value_typeET4_jRbjT5_S1A_jjP12ihipStream_tbEUljE_EEESV_SW_SX_S14_S18_S1A_T6_T7_T9_mT8_S1C_bDpT10_ENKUlT_T0_E_clISt17integral_constantIbLb0EES1O_IbLb1EEEEDaS1K_S1L_EUlS1K_E_NS1_11comp_targetILNS1_3genE0ELNS1_11target_archE4294967295ELNS1_3gpuE0ELNS1_3repE0EEENS1_30default_config_static_selectorELNS0_4arch9wavefront6targetE1EEEvSY_.num_agpr, 0
	.set _ZN7rocprim17ROCPRIM_400000_NS6detail17trampoline_kernelINS0_13select_configILj256ELj13ELNS0_17block_load_methodE3ELS4_3ELS4_3ELNS0_20block_scan_algorithmE0ELj4294967295EEENS1_25partition_config_selectorILNS1_17partition_subalgoE3EjNS0_10empty_typeEbEEZZNS1_14partition_implILS8_3ELb0ES6_jNS0_17counting_iteratorIjlEEPS9_SE_NS0_5tupleIJPjSE_EEENSF_IJSE_SE_EEES9_SG_JZNS1_25segmented_radix_sort_implINS0_14default_configELb1EPKsPsPKlPlN2at6native12_GLOBAL__N_18offset_tEEE10hipError_tPvRmT1_PNSt15iterator_traitsISY_E10value_typeET2_T3_PNSZ_IS14_E10value_typeET4_jRbjT5_S1A_jjP12ihipStream_tbEUljE_EEESV_SW_SX_S14_S18_S1A_T6_T7_T9_mT8_S1C_bDpT10_ENKUlT_T0_E_clISt17integral_constantIbLb0EES1O_IbLb1EEEEDaS1K_S1L_EUlS1K_E_NS1_11comp_targetILNS1_3genE0ELNS1_11target_archE4294967295ELNS1_3gpuE0ELNS1_3repE0EEENS1_30default_config_static_selectorELNS0_4arch9wavefront6targetE1EEEvSY_.numbered_sgpr, 0
	.set _ZN7rocprim17ROCPRIM_400000_NS6detail17trampoline_kernelINS0_13select_configILj256ELj13ELNS0_17block_load_methodE3ELS4_3ELS4_3ELNS0_20block_scan_algorithmE0ELj4294967295EEENS1_25partition_config_selectorILNS1_17partition_subalgoE3EjNS0_10empty_typeEbEEZZNS1_14partition_implILS8_3ELb0ES6_jNS0_17counting_iteratorIjlEEPS9_SE_NS0_5tupleIJPjSE_EEENSF_IJSE_SE_EEES9_SG_JZNS1_25segmented_radix_sort_implINS0_14default_configELb1EPKsPsPKlPlN2at6native12_GLOBAL__N_18offset_tEEE10hipError_tPvRmT1_PNSt15iterator_traitsISY_E10value_typeET2_T3_PNSZ_IS14_E10value_typeET4_jRbjT5_S1A_jjP12ihipStream_tbEUljE_EEESV_SW_SX_S14_S18_S1A_T6_T7_T9_mT8_S1C_bDpT10_ENKUlT_T0_E_clISt17integral_constantIbLb0EES1O_IbLb1EEEEDaS1K_S1L_EUlS1K_E_NS1_11comp_targetILNS1_3genE0ELNS1_11target_archE4294967295ELNS1_3gpuE0ELNS1_3repE0EEENS1_30default_config_static_selectorELNS0_4arch9wavefront6targetE1EEEvSY_.num_named_barrier, 0
	.set _ZN7rocprim17ROCPRIM_400000_NS6detail17trampoline_kernelINS0_13select_configILj256ELj13ELNS0_17block_load_methodE3ELS4_3ELS4_3ELNS0_20block_scan_algorithmE0ELj4294967295EEENS1_25partition_config_selectorILNS1_17partition_subalgoE3EjNS0_10empty_typeEbEEZZNS1_14partition_implILS8_3ELb0ES6_jNS0_17counting_iteratorIjlEEPS9_SE_NS0_5tupleIJPjSE_EEENSF_IJSE_SE_EEES9_SG_JZNS1_25segmented_radix_sort_implINS0_14default_configELb1EPKsPsPKlPlN2at6native12_GLOBAL__N_18offset_tEEE10hipError_tPvRmT1_PNSt15iterator_traitsISY_E10value_typeET2_T3_PNSZ_IS14_E10value_typeET4_jRbjT5_S1A_jjP12ihipStream_tbEUljE_EEESV_SW_SX_S14_S18_S1A_T6_T7_T9_mT8_S1C_bDpT10_ENKUlT_T0_E_clISt17integral_constantIbLb0EES1O_IbLb1EEEEDaS1K_S1L_EUlS1K_E_NS1_11comp_targetILNS1_3genE0ELNS1_11target_archE4294967295ELNS1_3gpuE0ELNS1_3repE0EEENS1_30default_config_static_selectorELNS0_4arch9wavefront6targetE1EEEvSY_.private_seg_size, 0
	.set _ZN7rocprim17ROCPRIM_400000_NS6detail17trampoline_kernelINS0_13select_configILj256ELj13ELNS0_17block_load_methodE3ELS4_3ELS4_3ELNS0_20block_scan_algorithmE0ELj4294967295EEENS1_25partition_config_selectorILNS1_17partition_subalgoE3EjNS0_10empty_typeEbEEZZNS1_14partition_implILS8_3ELb0ES6_jNS0_17counting_iteratorIjlEEPS9_SE_NS0_5tupleIJPjSE_EEENSF_IJSE_SE_EEES9_SG_JZNS1_25segmented_radix_sort_implINS0_14default_configELb1EPKsPsPKlPlN2at6native12_GLOBAL__N_18offset_tEEE10hipError_tPvRmT1_PNSt15iterator_traitsISY_E10value_typeET2_T3_PNSZ_IS14_E10value_typeET4_jRbjT5_S1A_jjP12ihipStream_tbEUljE_EEESV_SW_SX_S14_S18_S1A_T6_T7_T9_mT8_S1C_bDpT10_ENKUlT_T0_E_clISt17integral_constantIbLb0EES1O_IbLb1EEEEDaS1K_S1L_EUlS1K_E_NS1_11comp_targetILNS1_3genE0ELNS1_11target_archE4294967295ELNS1_3gpuE0ELNS1_3repE0EEENS1_30default_config_static_selectorELNS0_4arch9wavefront6targetE1EEEvSY_.uses_vcc, 0
	.set _ZN7rocprim17ROCPRIM_400000_NS6detail17trampoline_kernelINS0_13select_configILj256ELj13ELNS0_17block_load_methodE3ELS4_3ELS4_3ELNS0_20block_scan_algorithmE0ELj4294967295EEENS1_25partition_config_selectorILNS1_17partition_subalgoE3EjNS0_10empty_typeEbEEZZNS1_14partition_implILS8_3ELb0ES6_jNS0_17counting_iteratorIjlEEPS9_SE_NS0_5tupleIJPjSE_EEENSF_IJSE_SE_EEES9_SG_JZNS1_25segmented_radix_sort_implINS0_14default_configELb1EPKsPsPKlPlN2at6native12_GLOBAL__N_18offset_tEEE10hipError_tPvRmT1_PNSt15iterator_traitsISY_E10value_typeET2_T3_PNSZ_IS14_E10value_typeET4_jRbjT5_S1A_jjP12ihipStream_tbEUljE_EEESV_SW_SX_S14_S18_S1A_T6_T7_T9_mT8_S1C_bDpT10_ENKUlT_T0_E_clISt17integral_constantIbLb0EES1O_IbLb1EEEEDaS1K_S1L_EUlS1K_E_NS1_11comp_targetILNS1_3genE0ELNS1_11target_archE4294967295ELNS1_3gpuE0ELNS1_3repE0EEENS1_30default_config_static_selectorELNS0_4arch9wavefront6targetE1EEEvSY_.uses_flat_scratch, 0
	.set _ZN7rocprim17ROCPRIM_400000_NS6detail17trampoline_kernelINS0_13select_configILj256ELj13ELNS0_17block_load_methodE3ELS4_3ELS4_3ELNS0_20block_scan_algorithmE0ELj4294967295EEENS1_25partition_config_selectorILNS1_17partition_subalgoE3EjNS0_10empty_typeEbEEZZNS1_14partition_implILS8_3ELb0ES6_jNS0_17counting_iteratorIjlEEPS9_SE_NS0_5tupleIJPjSE_EEENSF_IJSE_SE_EEES9_SG_JZNS1_25segmented_radix_sort_implINS0_14default_configELb1EPKsPsPKlPlN2at6native12_GLOBAL__N_18offset_tEEE10hipError_tPvRmT1_PNSt15iterator_traitsISY_E10value_typeET2_T3_PNSZ_IS14_E10value_typeET4_jRbjT5_S1A_jjP12ihipStream_tbEUljE_EEESV_SW_SX_S14_S18_S1A_T6_T7_T9_mT8_S1C_bDpT10_ENKUlT_T0_E_clISt17integral_constantIbLb0EES1O_IbLb1EEEEDaS1K_S1L_EUlS1K_E_NS1_11comp_targetILNS1_3genE0ELNS1_11target_archE4294967295ELNS1_3gpuE0ELNS1_3repE0EEENS1_30default_config_static_selectorELNS0_4arch9wavefront6targetE1EEEvSY_.has_dyn_sized_stack, 0
	.set _ZN7rocprim17ROCPRIM_400000_NS6detail17trampoline_kernelINS0_13select_configILj256ELj13ELNS0_17block_load_methodE3ELS4_3ELS4_3ELNS0_20block_scan_algorithmE0ELj4294967295EEENS1_25partition_config_selectorILNS1_17partition_subalgoE3EjNS0_10empty_typeEbEEZZNS1_14partition_implILS8_3ELb0ES6_jNS0_17counting_iteratorIjlEEPS9_SE_NS0_5tupleIJPjSE_EEENSF_IJSE_SE_EEES9_SG_JZNS1_25segmented_radix_sort_implINS0_14default_configELb1EPKsPsPKlPlN2at6native12_GLOBAL__N_18offset_tEEE10hipError_tPvRmT1_PNSt15iterator_traitsISY_E10value_typeET2_T3_PNSZ_IS14_E10value_typeET4_jRbjT5_S1A_jjP12ihipStream_tbEUljE_EEESV_SW_SX_S14_S18_S1A_T6_T7_T9_mT8_S1C_bDpT10_ENKUlT_T0_E_clISt17integral_constantIbLb0EES1O_IbLb1EEEEDaS1K_S1L_EUlS1K_E_NS1_11comp_targetILNS1_3genE0ELNS1_11target_archE4294967295ELNS1_3gpuE0ELNS1_3repE0EEENS1_30default_config_static_selectorELNS0_4arch9wavefront6targetE1EEEvSY_.has_recursion, 0
	.set _ZN7rocprim17ROCPRIM_400000_NS6detail17trampoline_kernelINS0_13select_configILj256ELj13ELNS0_17block_load_methodE3ELS4_3ELS4_3ELNS0_20block_scan_algorithmE0ELj4294967295EEENS1_25partition_config_selectorILNS1_17partition_subalgoE3EjNS0_10empty_typeEbEEZZNS1_14partition_implILS8_3ELb0ES6_jNS0_17counting_iteratorIjlEEPS9_SE_NS0_5tupleIJPjSE_EEENSF_IJSE_SE_EEES9_SG_JZNS1_25segmented_radix_sort_implINS0_14default_configELb1EPKsPsPKlPlN2at6native12_GLOBAL__N_18offset_tEEE10hipError_tPvRmT1_PNSt15iterator_traitsISY_E10value_typeET2_T3_PNSZ_IS14_E10value_typeET4_jRbjT5_S1A_jjP12ihipStream_tbEUljE_EEESV_SW_SX_S14_S18_S1A_T6_T7_T9_mT8_S1C_bDpT10_ENKUlT_T0_E_clISt17integral_constantIbLb0EES1O_IbLb1EEEEDaS1K_S1L_EUlS1K_E_NS1_11comp_targetILNS1_3genE0ELNS1_11target_archE4294967295ELNS1_3gpuE0ELNS1_3repE0EEENS1_30default_config_static_selectorELNS0_4arch9wavefront6targetE1EEEvSY_.has_indirect_call, 0
	.section	.AMDGPU.csdata,"",@progbits
; Kernel info:
; codeLenInByte = 0
; TotalNumSgprs: 4
; NumVgprs: 0
; ScratchSize: 0
; MemoryBound: 0
; FloatMode: 240
; IeeeMode: 1
; LDSByteSize: 0 bytes/workgroup (compile time only)
; SGPRBlocks: 0
; VGPRBlocks: 0
; NumSGPRsForWavesPerEU: 4
; NumVGPRsForWavesPerEU: 1
; Occupancy: 10
; WaveLimiterHint : 0
; COMPUTE_PGM_RSRC2:SCRATCH_EN: 0
; COMPUTE_PGM_RSRC2:USER_SGPR: 6
; COMPUTE_PGM_RSRC2:TRAP_HANDLER: 0
; COMPUTE_PGM_RSRC2:TGID_X_EN: 1
; COMPUTE_PGM_RSRC2:TGID_Y_EN: 0
; COMPUTE_PGM_RSRC2:TGID_Z_EN: 0
; COMPUTE_PGM_RSRC2:TIDIG_COMP_CNT: 0
	.section	.text._ZN7rocprim17ROCPRIM_400000_NS6detail17trampoline_kernelINS0_13select_configILj256ELj13ELNS0_17block_load_methodE3ELS4_3ELS4_3ELNS0_20block_scan_algorithmE0ELj4294967295EEENS1_25partition_config_selectorILNS1_17partition_subalgoE3EjNS0_10empty_typeEbEEZZNS1_14partition_implILS8_3ELb0ES6_jNS0_17counting_iteratorIjlEEPS9_SE_NS0_5tupleIJPjSE_EEENSF_IJSE_SE_EEES9_SG_JZNS1_25segmented_radix_sort_implINS0_14default_configELb1EPKsPsPKlPlN2at6native12_GLOBAL__N_18offset_tEEE10hipError_tPvRmT1_PNSt15iterator_traitsISY_E10value_typeET2_T3_PNSZ_IS14_E10value_typeET4_jRbjT5_S1A_jjP12ihipStream_tbEUljE_EEESV_SW_SX_S14_S18_S1A_T6_T7_T9_mT8_S1C_bDpT10_ENKUlT_T0_E_clISt17integral_constantIbLb0EES1O_IbLb1EEEEDaS1K_S1L_EUlS1K_E_NS1_11comp_targetILNS1_3genE5ELNS1_11target_archE942ELNS1_3gpuE9ELNS1_3repE0EEENS1_30default_config_static_selectorELNS0_4arch9wavefront6targetE1EEEvSY_,"axG",@progbits,_ZN7rocprim17ROCPRIM_400000_NS6detail17trampoline_kernelINS0_13select_configILj256ELj13ELNS0_17block_load_methodE3ELS4_3ELS4_3ELNS0_20block_scan_algorithmE0ELj4294967295EEENS1_25partition_config_selectorILNS1_17partition_subalgoE3EjNS0_10empty_typeEbEEZZNS1_14partition_implILS8_3ELb0ES6_jNS0_17counting_iteratorIjlEEPS9_SE_NS0_5tupleIJPjSE_EEENSF_IJSE_SE_EEES9_SG_JZNS1_25segmented_radix_sort_implINS0_14default_configELb1EPKsPsPKlPlN2at6native12_GLOBAL__N_18offset_tEEE10hipError_tPvRmT1_PNSt15iterator_traitsISY_E10value_typeET2_T3_PNSZ_IS14_E10value_typeET4_jRbjT5_S1A_jjP12ihipStream_tbEUljE_EEESV_SW_SX_S14_S18_S1A_T6_T7_T9_mT8_S1C_bDpT10_ENKUlT_T0_E_clISt17integral_constantIbLb0EES1O_IbLb1EEEEDaS1K_S1L_EUlS1K_E_NS1_11comp_targetILNS1_3genE5ELNS1_11target_archE942ELNS1_3gpuE9ELNS1_3repE0EEENS1_30default_config_static_selectorELNS0_4arch9wavefront6targetE1EEEvSY_,comdat
	.globl	_ZN7rocprim17ROCPRIM_400000_NS6detail17trampoline_kernelINS0_13select_configILj256ELj13ELNS0_17block_load_methodE3ELS4_3ELS4_3ELNS0_20block_scan_algorithmE0ELj4294967295EEENS1_25partition_config_selectorILNS1_17partition_subalgoE3EjNS0_10empty_typeEbEEZZNS1_14partition_implILS8_3ELb0ES6_jNS0_17counting_iteratorIjlEEPS9_SE_NS0_5tupleIJPjSE_EEENSF_IJSE_SE_EEES9_SG_JZNS1_25segmented_radix_sort_implINS0_14default_configELb1EPKsPsPKlPlN2at6native12_GLOBAL__N_18offset_tEEE10hipError_tPvRmT1_PNSt15iterator_traitsISY_E10value_typeET2_T3_PNSZ_IS14_E10value_typeET4_jRbjT5_S1A_jjP12ihipStream_tbEUljE_EEESV_SW_SX_S14_S18_S1A_T6_T7_T9_mT8_S1C_bDpT10_ENKUlT_T0_E_clISt17integral_constantIbLb0EES1O_IbLb1EEEEDaS1K_S1L_EUlS1K_E_NS1_11comp_targetILNS1_3genE5ELNS1_11target_archE942ELNS1_3gpuE9ELNS1_3repE0EEENS1_30default_config_static_selectorELNS0_4arch9wavefront6targetE1EEEvSY_ ; -- Begin function _ZN7rocprim17ROCPRIM_400000_NS6detail17trampoline_kernelINS0_13select_configILj256ELj13ELNS0_17block_load_methodE3ELS4_3ELS4_3ELNS0_20block_scan_algorithmE0ELj4294967295EEENS1_25partition_config_selectorILNS1_17partition_subalgoE3EjNS0_10empty_typeEbEEZZNS1_14partition_implILS8_3ELb0ES6_jNS0_17counting_iteratorIjlEEPS9_SE_NS0_5tupleIJPjSE_EEENSF_IJSE_SE_EEES9_SG_JZNS1_25segmented_radix_sort_implINS0_14default_configELb1EPKsPsPKlPlN2at6native12_GLOBAL__N_18offset_tEEE10hipError_tPvRmT1_PNSt15iterator_traitsISY_E10value_typeET2_T3_PNSZ_IS14_E10value_typeET4_jRbjT5_S1A_jjP12ihipStream_tbEUljE_EEESV_SW_SX_S14_S18_S1A_T6_T7_T9_mT8_S1C_bDpT10_ENKUlT_T0_E_clISt17integral_constantIbLb0EES1O_IbLb1EEEEDaS1K_S1L_EUlS1K_E_NS1_11comp_targetILNS1_3genE5ELNS1_11target_archE942ELNS1_3gpuE9ELNS1_3repE0EEENS1_30default_config_static_selectorELNS0_4arch9wavefront6targetE1EEEvSY_
	.p2align	8
	.type	_ZN7rocprim17ROCPRIM_400000_NS6detail17trampoline_kernelINS0_13select_configILj256ELj13ELNS0_17block_load_methodE3ELS4_3ELS4_3ELNS0_20block_scan_algorithmE0ELj4294967295EEENS1_25partition_config_selectorILNS1_17partition_subalgoE3EjNS0_10empty_typeEbEEZZNS1_14partition_implILS8_3ELb0ES6_jNS0_17counting_iteratorIjlEEPS9_SE_NS0_5tupleIJPjSE_EEENSF_IJSE_SE_EEES9_SG_JZNS1_25segmented_radix_sort_implINS0_14default_configELb1EPKsPsPKlPlN2at6native12_GLOBAL__N_18offset_tEEE10hipError_tPvRmT1_PNSt15iterator_traitsISY_E10value_typeET2_T3_PNSZ_IS14_E10value_typeET4_jRbjT5_S1A_jjP12ihipStream_tbEUljE_EEESV_SW_SX_S14_S18_S1A_T6_T7_T9_mT8_S1C_bDpT10_ENKUlT_T0_E_clISt17integral_constantIbLb0EES1O_IbLb1EEEEDaS1K_S1L_EUlS1K_E_NS1_11comp_targetILNS1_3genE5ELNS1_11target_archE942ELNS1_3gpuE9ELNS1_3repE0EEENS1_30default_config_static_selectorELNS0_4arch9wavefront6targetE1EEEvSY_,@function
_ZN7rocprim17ROCPRIM_400000_NS6detail17trampoline_kernelINS0_13select_configILj256ELj13ELNS0_17block_load_methodE3ELS4_3ELS4_3ELNS0_20block_scan_algorithmE0ELj4294967295EEENS1_25partition_config_selectorILNS1_17partition_subalgoE3EjNS0_10empty_typeEbEEZZNS1_14partition_implILS8_3ELb0ES6_jNS0_17counting_iteratorIjlEEPS9_SE_NS0_5tupleIJPjSE_EEENSF_IJSE_SE_EEES9_SG_JZNS1_25segmented_radix_sort_implINS0_14default_configELb1EPKsPsPKlPlN2at6native12_GLOBAL__N_18offset_tEEE10hipError_tPvRmT1_PNSt15iterator_traitsISY_E10value_typeET2_T3_PNSZ_IS14_E10value_typeET4_jRbjT5_S1A_jjP12ihipStream_tbEUljE_EEESV_SW_SX_S14_S18_S1A_T6_T7_T9_mT8_S1C_bDpT10_ENKUlT_T0_E_clISt17integral_constantIbLb0EES1O_IbLb1EEEEDaS1K_S1L_EUlS1K_E_NS1_11comp_targetILNS1_3genE5ELNS1_11target_archE942ELNS1_3gpuE9ELNS1_3repE0EEENS1_30default_config_static_selectorELNS0_4arch9wavefront6targetE1EEEvSY_: ; @_ZN7rocprim17ROCPRIM_400000_NS6detail17trampoline_kernelINS0_13select_configILj256ELj13ELNS0_17block_load_methodE3ELS4_3ELS4_3ELNS0_20block_scan_algorithmE0ELj4294967295EEENS1_25partition_config_selectorILNS1_17partition_subalgoE3EjNS0_10empty_typeEbEEZZNS1_14partition_implILS8_3ELb0ES6_jNS0_17counting_iteratorIjlEEPS9_SE_NS0_5tupleIJPjSE_EEENSF_IJSE_SE_EEES9_SG_JZNS1_25segmented_radix_sort_implINS0_14default_configELb1EPKsPsPKlPlN2at6native12_GLOBAL__N_18offset_tEEE10hipError_tPvRmT1_PNSt15iterator_traitsISY_E10value_typeET2_T3_PNSZ_IS14_E10value_typeET4_jRbjT5_S1A_jjP12ihipStream_tbEUljE_EEESV_SW_SX_S14_S18_S1A_T6_T7_T9_mT8_S1C_bDpT10_ENKUlT_T0_E_clISt17integral_constantIbLb0EES1O_IbLb1EEEEDaS1K_S1L_EUlS1K_E_NS1_11comp_targetILNS1_3genE5ELNS1_11target_archE942ELNS1_3gpuE9ELNS1_3repE0EEENS1_30default_config_static_selectorELNS0_4arch9wavefront6targetE1EEEvSY_
; %bb.0:
	.section	.rodata,"a",@progbits
	.p2align	6, 0x0
	.amdhsa_kernel _ZN7rocprim17ROCPRIM_400000_NS6detail17trampoline_kernelINS0_13select_configILj256ELj13ELNS0_17block_load_methodE3ELS4_3ELS4_3ELNS0_20block_scan_algorithmE0ELj4294967295EEENS1_25partition_config_selectorILNS1_17partition_subalgoE3EjNS0_10empty_typeEbEEZZNS1_14partition_implILS8_3ELb0ES6_jNS0_17counting_iteratorIjlEEPS9_SE_NS0_5tupleIJPjSE_EEENSF_IJSE_SE_EEES9_SG_JZNS1_25segmented_radix_sort_implINS0_14default_configELb1EPKsPsPKlPlN2at6native12_GLOBAL__N_18offset_tEEE10hipError_tPvRmT1_PNSt15iterator_traitsISY_E10value_typeET2_T3_PNSZ_IS14_E10value_typeET4_jRbjT5_S1A_jjP12ihipStream_tbEUljE_EEESV_SW_SX_S14_S18_S1A_T6_T7_T9_mT8_S1C_bDpT10_ENKUlT_T0_E_clISt17integral_constantIbLb0EES1O_IbLb1EEEEDaS1K_S1L_EUlS1K_E_NS1_11comp_targetILNS1_3genE5ELNS1_11target_archE942ELNS1_3gpuE9ELNS1_3repE0EEENS1_30default_config_static_selectorELNS0_4arch9wavefront6targetE1EEEvSY_
		.amdhsa_group_segment_fixed_size 0
		.amdhsa_private_segment_fixed_size 0
		.amdhsa_kernarg_size 152
		.amdhsa_user_sgpr_count 6
		.amdhsa_user_sgpr_private_segment_buffer 1
		.amdhsa_user_sgpr_dispatch_ptr 0
		.amdhsa_user_sgpr_queue_ptr 0
		.amdhsa_user_sgpr_kernarg_segment_ptr 1
		.amdhsa_user_sgpr_dispatch_id 0
		.amdhsa_user_sgpr_flat_scratch_init 0
		.amdhsa_user_sgpr_private_segment_size 0
		.amdhsa_uses_dynamic_stack 0
		.amdhsa_system_sgpr_private_segment_wavefront_offset 0
		.amdhsa_system_sgpr_workgroup_id_x 1
		.amdhsa_system_sgpr_workgroup_id_y 0
		.amdhsa_system_sgpr_workgroup_id_z 0
		.amdhsa_system_sgpr_workgroup_info 0
		.amdhsa_system_vgpr_workitem_id 0
		.amdhsa_next_free_vgpr 1
		.amdhsa_next_free_sgpr 0
		.amdhsa_reserve_vcc 0
		.amdhsa_reserve_flat_scratch 0
		.amdhsa_float_round_mode_32 0
		.amdhsa_float_round_mode_16_64 0
		.amdhsa_float_denorm_mode_32 3
		.amdhsa_float_denorm_mode_16_64 3
		.amdhsa_dx10_clamp 1
		.amdhsa_ieee_mode 1
		.amdhsa_fp16_overflow 0
		.amdhsa_exception_fp_ieee_invalid_op 0
		.amdhsa_exception_fp_denorm_src 0
		.amdhsa_exception_fp_ieee_div_zero 0
		.amdhsa_exception_fp_ieee_overflow 0
		.amdhsa_exception_fp_ieee_underflow 0
		.amdhsa_exception_fp_ieee_inexact 0
		.amdhsa_exception_int_div_zero 0
	.end_amdhsa_kernel
	.section	.text._ZN7rocprim17ROCPRIM_400000_NS6detail17trampoline_kernelINS0_13select_configILj256ELj13ELNS0_17block_load_methodE3ELS4_3ELS4_3ELNS0_20block_scan_algorithmE0ELj4294967295EEENS1_25partition_config_selectorILNS1_17partition_subalgoE3EjNS0_10empty_typeEbEEZZNS1_14partition_implILS8_3ELb0ES6_jNS0_17counting_iteratorIjlEEPS9_SE_NS0_5tupleIJPjSE_EEENSF_IJSE_SE_EEES9_SG_JZNS1_25segmented_radix_sort_implINS0_14default_configELb1EPKsPsPKlPlN2at6native12_GLOBAL__N_18offset_tEEE10hipError_tPvRmT1_PNSt15iterator_traitsISY_E10value_typeET2_T3_PNSZ_IS14_E10value_typeET4_jRbjT5_S1A_jjP12ihipStream_tbEUljE_EEESV_SW_SX_S14_S18_S1A_T6_T7_T9_mT8_S1C_bDpT10_ENKUlT_T0_E_clISt17integral_constantIbLb0EES1O_IbLb1EEEEDaS1K_S1L_EUlS1K_E_NS1_11comp_targetILNS1_3genE5ELNS1_11target_archE942ELNS1_3gpuE9ELNS1_3repE0EEENS1_30default_config_static_selectorELNS0_4arch9wavefront6targetE1EEEvSY_,"axG",@progbits,_ZN7rocprim17ROCPRIM_400000_NS6detail17trampoline_kernelINS0_13select_configILj256ELj13ELNS0_17block_load_methodE3ELS4_3ELS4_3ELNS0_20block_scan_algorithmE0ELj4294967295EEENS1_25partition_config_selectorILNS1_17partition_subalgoE3EjNS0_10empty_typeEbEEZZNS1_14partition_implILS8_3ELb0ES6_jNS0_17counting_iteratorIjlEEPS9_SE_NS0_5tupleIJPjSE_EEENSF_IJSE_SE_EEES9_SG_JZNS1_25segmented_radix_sort_implINS0_14default_configELb1EPKsPsPKlPlN2at6native12_GLOBAL__N_18offset_tEEE10hipError_tPvRmT1_PNSt15iterator_traitsISY_E10value_typeET2_T3_PNSZ_IS14_E10value_typeET4_jRbjT5_S1A_jjP12ihipStream_tbEUljE_EEESV_SW_SX_S14_S18_S1A_T6_T7_T9_mT8_S1C_bDpT10_ENKUlT_T0_E_clISt17integral_constantIbLb0EES1O_IbLb1EEEEDaS1K_S1L_EUlS1K_E_NS1_11comp_targetILNS1_3genE5ELNS1_11target_archE942ELNS1_3gpuE9ELNS1_3repE0EEENS1_30default_config_static_selectorELNS0_4arch9wavefront6targetE1EEEvSY_,comdat
.Lfunc_end904:
	.size	_ZN7rocprim17ROCPRIM_400000_NS6detail17trampoline_kernelINS0_13select_configILj256ELj13ELNS0_17block_load_methodE3ELS4_3ELS4_3ELNS0_20block_scan_algorithmE0ELj4294967295EEENS1_25partition_config_selectorILNS1_17partition_subalgoE3EjNS0_10empty_typeEbEEZZNS1_14partition_implILS8_3ELb0ES6_jNS0_17counting_iteratorIjlEEPS9_SE_NS0_5tupleIJPjSE_EEENSF_IJSE_SE_EEES9_SG_JZNS1_25segmented_radix_sort_implINS0_14default_configELb1EPKsPsPKlPlN2at6native12_GLOBAL__N_18offset_tEEE10hipError_tPvRmT1_PNSt15iterator_traitsISY_E10value_typeET2_T3_PNSZ_IS14_E10value_typeET4_jRbjT5_S1A_jjP12ihipStream_tbEUljE_EEESV_SW_SX_S14_S18_S1A_T6_T7_T9_mT8_S1C_bDpT10_ENKUlT_T0_E_clISt17integral_constantIbLb0EES1O_IbLb1EEEEDaS1K_S1L_EUlS1K_E_NS1_11comp_targetILNS1_3genE5ELNS1_11target_archE942ELNS1_3gpuE9ELNS1_3repE0EEENS1_30default_config_static_selectorELNS0_4arch9wavefront6targetE1EEEvSY_, .Lfunc_end904-_ZN7rocprim17ROCPRIM_400000_NS6detail17trampoline_kernelINS0_13select_configILj256ELj13ELNS0_17block_load_methodE3ELS4_3ELS4_3ELNS0_20block_scan_algorithmE0ELj4294967295EEENS1_25partition_config_selectorILNS1_17partition_subalgoE3EjNS0_10empty_typeEbEEZZNS1_14partition_implILS8_3ELb0ES6_jNS0_17counting_iteratorIjlEEPS9_SE_NS0_5tupleIJPjSE_EEENSF_IJSE_SE_EEES9_SG_JZNS1_25segmented_radix_sort_implINS0_14default_configELb1EPKsPsPKlPlN2at6native12_GLOBAL__N_18offset_tEEE10hipError_tPvRmT1_PNSt15iterator_traitsISY_E10value_typeET2_T3_PNSZ_IS14_E10value_typeET4_jRbjT5_S1A_jjP12ihipStream_tbEUljE_EEESV_SW_SX_S14_S18_S1A_T6_T7_T9_mT8_S1C_bDpT10_ENKUlT_T0_E_clISt17integral_constantIbLb0EES1O_IbLb1EEEEDaS1K_S1L_EUlS1K_E_NS1_11comp_targetILNS1_3genE5ELNS1_11target_archE942ELNS1_3gpuE9ELNS1_3repE0EEENS1_30default_config_static_selectorELNS0_4arch9wavefront6targetE1EEEvSY_
                                        ; -- End function
	.set _ZN7rocprim17ROCPRIM_400000_NS6detail17trampoline_kernelINS0_13select_configILj256ELj13ELNS0_17block_load_methodE3ELS4_3ELS4_3ELNS0_20block_scan_algorithmE0ELj4294967295EEENS1_25partition_config_selectorILNS1_17partition_subalgoE3EjNS0_10empty_typeEbEEZZNS1_14partition_implILS8_3ELb0ES6_jNS0_17counting_iteratorIjlEEPS9_SE_NS0_5tupleIJPjSE_EEENSF_IJSE_SE_EEES9_SG_JZNS1_25segmented_radix_sort_implINS0_14default_configELb1EPKsPsPKlPlN2at6native12_GLOBAL__N_18offset_tEEE10hipError_tPvRmT1_PNSt15iterator_traitsISY_E10value_typeET2_T3_PNSZ_IS14_E10value_typeET4_jRbjT5_S1A_jjP12ihipStream_tbEUljE_EEESV_SW_SX_S14_S18_S1A_T6_T7_T9_mT8_S1C_bDpT10_ENKUlT_T0_E_clISt17integral_constantIbLb0EES1O_IbLb1EEEEDaS1K_S1L_EUlS1K_E_NS1_11comp_targetILNS1_3genE5ELNS1_11target_archE942ELNS1_3gpuE9ELNS1_3repE0EEENS1_30default_config_static_selectorELNS0_4arch9wavefront6targetE1EEEvSY_.num_vgpr, 0
	.set _ZN7rocprim17ROCPRIM_400000_NS6detail17trampoline_kernelINS0_13select_configILj256ELj13ELNS0_17block_load_methodE3ELS4_3ELS4_3ELNS0_20block_scan_algorithmE0ELj4294967295EEENS1_25partition_config_selectorILNS1_17partition_subalgoE3EjNS0_10empty_typeEbEEZZNS1_14partition_implILS8_3ELb0ES6_jNS0_17counting_iteratorIjlEEPS9_SE_NS0_5tupleIJPjSE_EEENSF_IJSE_SE_EEES9_SG_JZNS1_25segmented_radix_sort_implINS0_14default_configELb1EPKsPsPKlPlN2at6native12_GLOBAL__N_18offset_tEEE10hipError_tPvRmT1_PNSt15iterator_traitsISY_E10value_typeET2_T3_PNSZ_IS14_E10value_typeET4_jRbjT5_S1A_jjP12ihipStream_tbEUljE_EEESV_SW_SX_S14_S18_S1A_T6_T7_T9_mT8_S1C_bDpT10_ENKUlT_T0_E_clISt17integral_constantIbLb0EES1O_IbLb1EEEEDaS1K_S1L_EUlS1K_E_NS1_11comp_targetILNS1_3genE5ELNS1_11target_archE942ELNS1_3gpuE9ELNS1_3repE0EEENS1_30default_config_static_selectorELNS0_4arch9wavefront6targetE1EEEvSY_.num_agpr, 0
	.set _ZN7rocprim17ROCPRIM_400000_NS6detail17trampoline_kernelINS0_13select_configILj256ELj13ELNS0_17block_load_methodE3ELS4_3ELS4_3ELNS0_20block_scan_algorithmE0ELj4294967295EEENS1_25partition_config_selectorILNS1_17partition_subalgoE3EjNS0_10empty_typeEbEEZZNS1_14partition_implILS8_3ELb0ES6_jNS0_17counting_iteratorIjlEEPS9_SE_NS0_5tupleIJPjSE_EEENSF_IJSE_SE_EEES9_SG_JZNS1_25segmented_radix_sort_implINS0_14default_configELb1EPKsPsPKlPlN2at6native12_GLOBAL__N_18offset_tEEE10hipError_tPvRmT1_PNSt15iterator_traitsISY_E10value_typeET2_T3_PNSZ_IS14_E10value_typeET4_jRbjT5_S1A_jjP12ihipStream_tbEUljE_EEESV_SW_SX_S14_S18_S1A_T6_T7_T9_mT8_S1C_bDpT10_ENKUlT_T0_E_clISt17integral_constantIbLb0EES1O_IbLb1EEEEDaS1K_S1L_EUlS1K_E_NS1_11comp_targetILNS1_3genE5ELNS1_11target_archE942ELNS1_3gpuE9ELNS1_3repE0EEENS1_30default_config_static_selectorELNS0_4arch9wavefront6targetE1EEEvSY_.numbered_sgpr, 0
	.set _ZN7rocprim17ROCPRIM_400000_NS6detail17trampoline_kernelINS0_13select_configILj256ELj13ELNS0_17block_load_methodE3ELS4_3ELS4_3ELNS0_20block_scan_algorithmE0ELj4294967295EEENS1_25partition_config_selectorILNS1_17partition_subalgoE3EjNS0_10empty_typeEbEEZZNS1_14partition_implILS8_3ELb0ES6_jNS0_17counting_iteratorIjlEEPS9_SE_NS0_5tupleIJPjSE_EEENSF_IJSE_SE_EEES9_SG_JZNS1_25segmented_radix_sort_implINS0_14default_configELb1EPKsPsPKlPlN2at6native12_GLOBAL__N_18offset_tEEE10hipError_tPvRmT1_PNSt15iterator_traitsISY_E10value_typeET2_T3_PNSZ_IS14_E10value_typeET4_jRbjT5_S1A_jjP12ihipStream_tbEUljE_EEESV_SW_SX_S14_S18_S1A_T6_T7_T9_mT8_S1C_bDpT10_ENKUlT_T0_E_clISt17integral_constantIbLb0EES1O_IbLb1EEEEDaS1K_S1L_EUlS1K_E_NS1_11comp_targetILNS1_3genE5ELNS1_11target_archE942ELNS1_3gpuE9ELNS1_3repE0EEENS1_30default_config_static_selectorELNS0_4arch9wavefront6targetE1EEEvSY_.num_named_barrier, 0
	.set _ZN7rocprim17ROCPRIM_400000_NS6detail17trampoline_kernelINS0_13select_configILj256ELj13ELNS0_17block_load_methodE3ELS4_3ELS4_3ELNS0_20block_scan_algorithmE0ELj4294967295EEENS1_25partition_config_selectorILNS1_17partition_subalgoE3EjNS0_10empty_typeEbEEZZNS1_14partition_implILS8_3ELb0ES6_jNS0_17counting_iteratorIjlEEPS9_SE_NS0_5tupleIJPjSE_EEENSF_IJSE_SE_EEES9_SG_JZNS1_25segmented_radix_sort_implINS0_14default_configELb1EPKsPsPKlPlN2at6native12_GLOBAL__N_18offset_tEEE10hipError_tPvRmT1_PNSt15iterator_traitsISY_E10value_typeET2_T3_PNSZ_IS14_E10value_typeET4_jRbjT5_S1A_jjP12ihipStream_tbEUljE_EEESV_SW_SX_S14_S18_S1A_T6_T7_T9_mT8_S1C_bDpT10_ENKUlT_T0_E_clISt17integral_constantIbLb0EES1O_IbLb1EEEEDaS1K_S1L_EUlS1K_E_NS1_11comp_targetILNS1_3genE5ELNS1_11target_archE942ELNS1_3gpuE9ELNS1_3repE0EEENS1_30default_config_static_selectorELNS0_4arch9wavefront6targetE1EEEvSY_.private_seg_size, 0
	.set _ZN7rocprim17ROCPRIM_400000_NS6detail17trampoline_kernelINS0_13select_configILj256ELj13ELNS0_17block_load_methodE3ELS4_3ELS4_3ELNS0_20block_scan_algorithmE0ELj4294967295EEENS1_25partition_config_selectorILNS1_17partition_subalgoE3EjNS0_10empty_typeEbEEZZNS1_14partition_implILS8_3ELb0ES6_jNS0_17counting_iteratorIjlEEPS9_SE_NS0_5tupleIJPjSE_EEENSF_IJSE_SE_EEES9_SG_JZNS1_25segmented_radix_sort_implINS0_14default_configELb1EPKsPsPKlPlN2at6native12_GLOBAL__N_18offset_tEEE10hipError_tPvRmT1_PNSt15iterator_traitsISY_E10value_typeET2_T3_PNSZ_IS14_E10value_typeET4_jRbjT5_S1A_jjP12ihipStream_tbEUljE_EEESV_SW_SX_S14_S18_S1A_T6_T7_T9_mT8_S1C_bDpT10_ENKUlT_T0_E_clISt17integral_constantIbLb0EES1O_IbLb1EEEEDaS1K_S1L_EUlS1K_E_NS1_11comp_targetILNS1_3genE5ELNS1_11target_archE942ELNS1_3gpuE9ELNS1_3repE0EEENS1_30default_config_static_selectorELNS0_4arch9wavefront6targetE1EEEvSY_.uses_vcc, 0
	.set _ZN7rocprim17ROCPRIM_400000_NS6detail17trampoline_kernelINS0_13select_configILj256ELj13ELNS0_17block_load_methodE3ELS4_3ELS4_3ELNS0_20block_scan_algorithmE0ELj4294967295EEENS1_25partition_config_selectorILNS1_17partition_subalgoE3EjNS0_10empty_typeEbEEZZNS1_14partition_implILS8_3ELb0ES6_jNS0_17counting_iteratorIjlEEPS9_SE_NS0_5tupleIJPjSE_EEENSF_IJSE_SE_EEES9_SG_JZNS1_25segmented_radix_sort_implINS0_14default_configELb1EPKsPsPKlPlN2at6native12_GLOBAL__N_18offset_tEEE10hipError_tPvRmT1_PNSt15iterator_traitsISY_E10value_typeET2_T3_PNSZ_IS14_E10value_typeET4_jRbjT5_S1A_jjP12ihipStream_tbEUljE_EEESV_SW_SX_S14_S18_S1A_T6_T7_T9_mT8_S1C_bDpT10_ENKUlT_T0_E_clISt17integral_constantIbLb0EES1O_IbLb1EEEEDaS1K_S1L_EUlS1K_E_NS1_11comp_targetILNS1_3genE5ELNS1_11target_archE942ELNS1_3gpuE9ELNS1_3repE0EEENS1_30default_config_static_selectorELNS0_4arch9wavefront6targetE1EEEvSY_.uses_flat_scratch, 0
	.set _ZN7rocprim17ROCPRIM_400000_NS6detail17trampoline_kernelINS0_13select_configILj256ELj13ELNS0_17block_load_methodE3ELS4_3ELS4_3ELNS0_20block_scan_algorithmE0ELj4294967295EEENS1_25partition_config_selectorILNS1_17partition_subalgoE3EjNS0_10empty_typeEbEEZZNS1_14partition_implILS8_3ELb0ES6_jNS0_17counting_iteratorIjlEEPS9_SE_NS0_5tupleIJPjSE_EEENSF_IJSE_SE_EEES9_SG_JZNS1_25segmented_radix_sort_implINS0_14default_configELb1EPKsPsPKlPlN2at6native12_GLOBAL__N_18offset_tEEE10hipError_tPvRmT1_PNSt15iterator_traitsISY_E10value_typeET2_T3_PNSZ_IS14_E10value_typeET4_jRbjT5_S1A_jjP12ihipStream_tbEUljE_EEESV_SW_SX_S14_S18_S1A_T6_T7_T9_mT8_S1C_bDpT10_ENKUlT_T0_E_clISt17integral_constantIbLb0EES1O_IbLb1EEEEDaS1K_S1L_EUlS1K_E_NS1_11comp_targetILNS1_3genE5ELNS1_11target_archE942ELNS1_3gpuE9ELNS1_3repE0EEENS1_30default_config_static_selectorELNS0_4arch9wavefront6targetE1EEEvSY_.has_dyn_sized_stack, 0
	.set _ZN7rocprim17ROCPRIM_400000_NS6detail17trampoline_kernelINS0_13select_configILj256ELj13ELNS0_17block_load_methodE3ELS4_3ELS4_3ELNS0_20block_scan_algorithmE0ELj4294967295EEENS1_25partition_config_selectorILNS1_17partition_subalgoE3EjNS0_10empty_typeEbEEZZNS1_14partition_implILS8_3ELb0ES6_jNS0_17counting_iteratorIjlEEPS9_SE_NS0_5tupleIJPjSE_EEENSF_IJSE_SE_EEES9_SG_JZNS1_25segmented_radix_sort_implINS0_14default_configELb1EPKsPsPKlPlN2at6native12_GLOBAL__N_18offset_tEEE10hipError_tPvRmT1_PNSt15iterator_traitsISY_E10value_typeET2_T3_PNSZ_IS14_E10value_typeET4_jRbjT5_S1A_jjP12ihipStream_tbEUljE_EEESV_SW_SX_S14_S18_S1A_T6_T7_T9_mT8_S1C_bDpT10_ENKUlT_T0_E_clISt17integral_constantIbLb0EES1O_IbLb1EEEEDaS1K_S1L_EUlS1K_E_NS1_11comp_targetILNS1_3genE5ELNS1_11target_archE942ELNS1_3gpuE9ELNS1_3repE0EEENS1_30default_config_static_selectorELNS0_4arch9wavefront6targetE1EEEvSY_.has_recursion, 0
	.set _ZN7rocprim17ROCPRIM_400000_NS6detail17trampoline_kernelINS0_13select_configILj256ELj13ELNS0_17block_load_methodE3ELS4_3ELS4_3ELNS0_20block_scan_algorithmE0ELj4294967295EEENS1_25partition_config_selectorILNS1_17partition_subalgoE3EjNS0_10empty_typeEbEEZZNS1_14partition_implILS8_3ELb0ES6_jNS0_17counting_iteratorIjlEEPS9_SE_NS0_5tupleIJPjSE_EEENSF_IJSE_SE_EEES9_SG_JZNS1_25segmented_radix_sort_implINS0_14default_configELb1EPKsPsPKlPlN2at6native12_GLOBAL__N_18offset_tEEE10hipError_tPvRmT1_PNSt15iterator_traitsISY_E10value_typeET2_T3_PNSZ_IS14_E10value_typeET4_jRbjT5_S1A_jjP12ihipStream_tbEUljE_EEESV_SW_SX_S14_S18_S1A_T6_T7_T9_mT8_S1C_bDpT10_ENKUlT_T0_E_clISt17integral_constantIbLb0EES1O_IbLb1EEEEDaS1K_S1L_EUlS1K_E_NS1_11comp_targetILNS1_3genE5ELNS1_11target_archE942ELNS1_3gpuE9ELNS1_3repE0EEENS1_30default_config_static_selectorELNS0_4arch9wavefront6targetE1EEEvSY_.has_indirect_call, 0
	.section	.AMDGPU.csdata,"",@progbits
; Kernel info:
; codeLenInByte = 0
; TotalNumSgprs: 4
; NumVgprs: 0
; ScratchSize: 0
; MemoryBound: 0
; FloatMode: 240
; IeeeMode: 1
; LDSByteSize: 0 bytes/workgroup (compile time only)
; SGPRBlocks: 0
; VGPRBlocks: 0
; NumSGPRsForWavesPerEU: 4
; NumVGPRsForWavesPerEU: 1
; Occupancy: 10
; WaveLimiterHint : 0
; COMPUTE_PGM_RSRC2:SCRATCH_EN: 0
; COMPUTE_PGM_RSRC2:USER_SGPR: 6
; COMPUTE_PGM_RSRC2:TRAP_HANDLER: 0
; COMPUTE_PGM_RSRC2:TGID_X_EN: 1
; COMPUTE_PGM_RSRC2:TGID_Y_EN: 0
; COMPUTE_PGM_RSRC2:TGID_Z_EN: 0
; COMPUTE_PGM_RSRC2:TIDIG_COMP_CNT: 0
	.section	.text._ZN7rocprim17ROCPRIM_400000_NS6detail17trampoline_kernelINS0_13select_configILj256ELj13ELNS0_17block_load_methodE3ELS4_3ELS4_3ELNS0_20block_scan_algorithmE0ELj4294967295EEENS1_25partition_config_selectorILNS1_17partition_subalgoE3EjNS0_10empty_typeEbEEZZNS1_14partition_implILS8_3ELb0ES6_jNS0_17counting_iteratorIjlEEPS9_SE_NS0_5tupleIJPjSE_EEENSF_IJSE_SE_EEES9_SG_JZNS1_25segmented_radix_sort_implINS0_14default_configELb1EPKsPsPKlPlN2at6native12_GLOBAL__N_18offset_tEEE10hipError_tPvRmT1_PNSt15iterator_traitsISY_E10value_typeET2_T3_PNSZ_IS14_E10value_typeET4_jRbjT5_S1A_jjP12ihipStream_tbEUljE_EEESV_SW_SX_S14_S18_S1A_T6_T7_T9_mT8_S1C_bDpT10_ENKUlT_T0_E_clISt17integral_constantIbLb0EES1O_IbLb1EEEEDaS1K_S1L_EUlS1K_E_NS1_11comp_targetILNS1_3genE4ELNS1_11target_archE910ELNS1_3gpuE8ELNS1_3repE0EEENS1_30default_config_static_selectorELNS0_4arch9wavefront6targetE1EEEvSY_,"axG",@progbits,_ZN7rocprim17ROCPRIM_400000_NS6detail17trampoline_kernelINS0_13select_configILj256ELj13ELNS0_17block_load_methodE3ELS4_3ELS4_3ELNS0_20block_scan_algorithmE0ELj4294967295EEENS1_25partition_config_selectorILNS1_17partition_subalgoE3EjNS0_10empty_typeEbEEZZNS1_14partition_implILS8_3ELb0ES6_jNS0_17counting_iteratorIjlEEPS9_SE_NS0_5tupleIJPjSE_EEENSF_IJSE_SE_EEES9_SG_JZNS1_25segmented_radix_sort_implINS0_14default_configELb1EPKsPsPKlPlN2at6native12_GLOBAL__N_18offset_tEEE10hipError_tPvRmT1_PNSt15iterator_traitsISY_E10value_typeET2_T3_PNSZ_IS14_E10value_typeET4_jRbjT5_S1A_jjP12ihipStream_tbEUljE_EEESV_SW_SX_S14_S18_S1A_T6_T7_T9_mT8_S1C_bDpT10_ENKUlT_T0_E_clISt17integral_constantIbLb0EES1O_IbLb1EEEEDaS1K_S1L_EUlS1K_E_NS1_11comp_targetILNS1_3genE4ELNS1_11target_archE910ELNS1_3gpuE8ELNS1_3repE0EEENS1_30default_config_static_selectorELNS0_4arch9wavefront6targetE1EEEvSY_,comdat
	.globl	_ZN7rocprim17ROCPRIM_400000_NS6detail17trampoline_kernelINS0_13select_configILj256ELj13ELNS0_17block_load_methodE3ELS4_3ELS4_3ELNS0_20block_scan_algorithmE0ELj4294967295EEENS1_25partition_config_selectorILNS1_17partition_subalgoE3EjNS0_10empty_typeEbEEZZNS1_14partition_implILS8_3ELb0ES6_jNS0_17counting_iteratorIjlEEPS9_SE_NS0_5tupleIJPjSE_EEENSF_IJSE_SE_EEES9_SG_JZNS1_25segmented_radix_sort_implINS0_14default_configELb1EPKsPsPKlPlN2at6native12_GLOBAL__N_18offset_tEEE10hipError_tPvRmT1_PNSt15iterator_traitsISY_E10value_typeET2_T3_PNSZ_IS14_E10value_typeET4_jRbjT5_S1A_jjP12ihipStream_tbEUljE_EEESV_SW_SX_S14_S18_S1A_T6_T7_T9_mT8_S1C_bDpT10_ENKUlT_T0_E_clISt17integral_constantIbLb0EES1O_IbLb1EEEEDaS1K_S1L_EUlS1K_E_NS1_11comp_targetILNS1_3genE4ELNS1_11target_archE910ELNS1_3gpuE8ELNS1_3repE0EEENS1_30default_config_static_selectorELNS0_4arch9wavefront6targetE1EEEvSY_ ; -- Begin function _ZN7rocprim17ROCPRIM_400000_NS6detail17trampoline_kernelINS0_13select_configILj256ELj13ELNS0_17block_load_methodE3ELS4_3ELS4_3ELNS0_20block_scan_algorithmE0ELj4294967295EEENS1_25partition_config_selectorILNS1_17partition_subalgoE3EjNS0_10empty_typeEbEEZZNS1_14partition_implILS8_3ELb0ES6_jNS0_17counting_iteratorIjlEEPS9_SE_NS0_5tupleIJPjSE_EEENSF_IJSE_SE_EEES9_SG_JZNS1_25segmented_radix_sort_implINS0_14default_configELb1EPKsPsPKlPlN2at6native12_GLOBAL__N_18offset_tEEE10hipError_tPvRmT1_PNSt15iterator_traitsISY_E10value_typeET2_T3_PNSZ_IS14_E10value_typeET4_jRbjT5_S1A_jjP12ihipStream_tbEUljE_EEESV_SW_SX_S14_S18_S1A_T6_T7_T9_mT8_S1C_bDpT10_ENKUlT_T0_E_clISt17integral_constantIbLb0EES1O_IbLb1EEEEDaS1K_S1L_EUlS1K_E_NS1_11comp_targetILNS1_3genE4ELNS1_11target_archE910ELNS1_3gpuE8ELNS1_3repE0EEENS1_30default_config_static_selectorELNS0_4arch9wavefront6targetE1EEEvSY_
	.p2align	8
	.type	_ZN7rocprim17ROCPRIM_400000_NS6detail17trampoline_kernelINS0_13select_configILj256ELj13ELNS0_17block_load_methodE3ELS4_3ELS4_3ELNS0_20block_scan_algorithmE0ELj4294967295EEENS1_25partition_config_selectorILNS1_17partition_subalgoE3EjNS0_10empty_typeEbEEZZNS1_14partition_implILS8_3ELb0ES6_jNS0_17counting_iteratorIjlEEPS9_SE_NS0_5tupleIJPjSE_EEENSF_IJSE_SE_EEES9_SG_JZNS1_25segmented_radix_sort_implINS0_14default_configELb1EPKsPsPKlPlN2at6native12_GLOBAL__N_18offset_tEEE10hipError_tPvRmT1_PNSt15iterator_traitsISY_E10value_typeET2_T3_PNSZ_IS14_E10value_typeET4_jRbjT5_S1A_jjP12ihipStream_tbEUljE_EEESV_SW_SX_S14_S18_S1A_T6_T7_T9_mT8_S1C_bDpT10_ENKUlT_T0_E_clISt17integral_constantIbLb0EES1O_IbLb1EEEEDaS1K_S1L_EUlS1K_E_NS1_11comp_targetILNS1_3genE4ELNS1_11target_archE910ELNS1_3gpuE8ELNS1_3repE0EEENS1_30default_config_static_selectorELNS0_4arch9wavefront6targetE1EEEvSY_,@function
_ZN7rocprim17ROCPRIM_400000_NS6detail17trampoline_kernelINS0_13select_configILj256ELj13ELNS0_17block_load_methodE3ELS4_3ELS4_3ELNS0_20block_scan_algorithmE0ELj4294967295EEENS1_25partition_config_selectorILNS1_17partition_subalgoE3EjNS0_10empty_typeEbEEZZNS1_14partition_implILS8_3ELb0ES6_jNS0_17counting_iteratorIjlEEPS9_SE_NS0_5tupleIJPjSE_EEENSF_IJSE_SE_EEES9_SG_JZNS1_25segmented_radix_sort_implINS0_14default_configELb1EPKsPsPKlPlN2at6native12_GLOBAL__N_18offset_tEEE10hipError_tPvRmT1_PNSt15iterator_traitsISY_E10value_typeET2_T3_PNSZ_IS14_E10value_typeET4_jRbjT5_S1A_jjP12ihipStream_tbEUljE_EEESV_SW_SX_S14_S18_S1A_T6_T7_T9_mT8_S1C_bDpT10_ENKUlT_T0_E_clISt17integral_constantIbLb0EES1O_IbLb1EEEEDaS1K_S1L_EUlS1K_E_NS1_11comp_targetILNS1_3genE4ELNS1_11target_archE910ELNS1_3gpuE8ELNS1_3repE0EEENS1_30default_config_static_selectorELNS0_4arch9wavefront6targetE1EEEvSY_: ; @_ZN7rocprim17ROCPRIM_400000_NS6detail17trampoline_kernelINS0_13select_configILj256ELj13ELNS0_17block_load_methodE3ELS4_3ELS4_3ELNS0_20block_scan_algorithmE0ELj4294967295EEENS1_25partition_config_selectorILNS1_17partition_subalgoE3EjNS0_10empty_typeEbEEZZNS1_14partition_implILS8_3ELb0ES6_jNS0_17counting_iteratorIjlEEPS9_SE_NS0_5tupleIJPjSE_EEENSF_IJSE_SE_EEES9_SG_JZNS1_25segmented_radix_sort_implINS0_14default_configELb1EPKsPsPKlPlN2at6native12_GLOBAL__N_18offset_tEEE10hipError_tPvRmT1_PNSt15iterator_traitsISY_E10value_typeET2_T3_PNSZ_IS14_E10value_typeET4_jRbjT5_S1A_jjP12ihipStream_tbEUljE_EEESV_SW_SX_S14_S18_S1A_T6_T7_T9_mT8_S1C_bDpT10_ENKUlT_T0_E_clISt17integral_constantIbLb0EES1O_IbLb1EEEEDaS1K_S1L_EUlS1K_E_NS1_11comp_targetILNS1_3genE4ELNS1_11target_archE910ELNS1_3gpuE8ELNS1_3repE0EEENS1_30default_config_static_selectorELNS0_4arch9wavefront6targetE1EEEvSY_
; %bb.0:
	.section	.rodata,"a",@progbits
	.p2align	6, 0x0
	.amdhsa_kernel _ZN7rocprim17ROCPRIM_400000_NS6detail17trampoline_kernelINS0_13select_configILj256ELj13ELNS0_17block_load_methodE3ELS4_3ELS4_3ELNS0_20block_scan_algorithmE0ELj4294967295EEENS1_25partition_config_selectorILNS1_17partition_subalgoE3EjNS0_10empty_typeEbEEZZNS1_14partition_implILS8_3ELb0ES6_jNS0_17counting_iteratorIjlEEPS9_SE_NS0_5tupleIJPjSE_EEENSF_IJSE_SE_EEES9_SG_JZNS1_25segmented_radix_sort_implINS0_14default_configELb1EPKsPsPKlPlN2at6native12_GLOBAL__N_18offset_tEEE10hipError_tPvRmT1_PNSt15iterator_traitsISY_E10value_typeET2_T3_PNSZ_IS14_E10value_typeET4_jRbjT5_S1A_jjP12ihipStream_tbEUljE_EEESV_SW_SX_S14_S18_S1A_T6_T7_T9_mT8_S1C_bDpT10_ENKUlT_T0_E_clISt17integral_constantIbLb0EES1O_IbLb1EEEEDaS1K_S1L_EUlS1K_E_NS1_11comp_targetILNS1_3genE4ELNS1_11target_archE910ELNS1_3gpuE8ELNS1_3repE0EEENS1_30default_config_static_selectorELNS0_4arch9wavefront6targetE1EEEvSY_
		.amdhsa_group_segment_fixed_size 0
		.amdhsa_private_segment_fixed_size 0
		.amdhsa_kernarg_size 152
		.amdhsa_user_sgpr_count 6
		.amdhsa_user_sgpr_private_segment_buffer 1
		.amdhsa_user_sgpr_dispatch_ptr 0
		.amdhsa_user_sgpr_queue_ptr 0
		.amdhsa_user_sgpr_kernarg_segment_ptr 1
		.amdhsa_user_sgpr_dispatch_id 0
		.amdhsa_user_sgpr_flat_scratch_init 0
		.amdhsa_user_sgpr_private_segment_size 0
		.amdhsa_uses_dynamic_stack 0
		.amdhsa_system_sgpr_private_segment_wavefront_offset 0
		.amdhsa_system_sgpr_workgroup_id_x 1
		.amdhsa_system_sgpr_workgroup_id_y 0
		.amdhsa_system_sgpr_workgroup_id_z 0
		.amdhsa_system_sgpr_workgroup_info 0
		.amdhsa_system_vgpr_workitem_id 0
		.amdhsa_next_free_vgpr 1
		.amdhsa_next_free_sgpr 0
		.amdhsa_reserve_vcc 0
		.amdhsa_reserve_flat_scratch 0
		.amdhsa_float_round_mode_32 0
		.amdhsa_float_round_mode_16_64 0
		.amdhsa_float_denorm_mode_32 3
		.amdhsa_float_denorm_mode_16_64 3
		.amdhsa_dx10_clamp 1
		.amdhsa_ieee_mode 1
		.amdhsa_fp16_overflow 0
		.amdhsa_exception_fp_ieee_invalid_op 0
		.amdhsa_exception_fp_denorm_src 0
		.amdhsa_exception_fp_ieee_div_zero 0
		.amdhsa_exception_fp_ieee_overflow 0
		.amdhsa_exception_fp_ieee_underflow 0
		.amdhsa_exception_fp_ieee_inexact 0
		.amdhsa_exception_int_div_zero 0
	.end_amdhsa_kernel
	.section	.text._ZN7rocprim17ROCPRIM_400000_NS6detail17trampoline_kernelINS0_13select_configILj256ELj13ELNS0_17block_load_methodE3ELS4_3ELS4_3ELNS0_20block_scan_algorithmE0ELj4294967295EEENS1_25partition_config_selectorILNS1_17partition_subalgoE3EjNS0_10empty_typeEbEEZZNS1_14partition_implILS8_3ELb0ES6_jNS0_17counting_iteratorIjlEEPS9_SE_NS0_5tupleIJPjSE_EEENSF_IJSE_SE_EEES9_SG_JZNS1_25segmented_radix_sort_implINS0_14default_configELb1EPKsPsPKlPlN2at6native12_GLOBAL__N_18offset_tEEE10hipError_tPvRmT1_PNSt15iterator_traitsISY_E10value_typeET2_T3_PNSZ_IS14_E10value_typeET4_jRbjT5_S1A_jjP12ihipStream_tbEUljE_EEESV_SW_SX_S14_S18_S1A_T6_T7_T9_mT8_S1C_bDpT10_ENKUlT_T0_E_clISt17integral_constantIbLb0EES1O_IbLb1EEEEDaS1K_S1L_EUlS1K_E_NS1_11comp_targetILNS1_3genE4ELNS1_11target_archE910ELNS1_3gpuE8ELNS1_3repE0EEENS1_30default_config_static_selectorELNS0_4arch9wavefront6targetE1EEEvSY_,"axG",@progbits,_ZN7rocprim17ROCPRIM_400000_NS6detail17trampoline_kernelINS0_13select_configILj256ELj13ELNS0_17block_load_methodE3ELS4_3ELS4_3ELNS0_20block_scan_algorithmE0ELj4294967295EEENS1_25partition_config_selectorILNS1_17partition_subalgoE3EjNS0_10empty_typeEbEEZZNS1_14partition_implILS8_3ELb0ES6_jNS0_17counting_iteratorIjlEEPS9_SE_NS0_5tupleIJPjSE_EEENSF_IJSE_SE_EEES9_SG_JZNS1_25segmented_radix_sort_implINS0_14default_configELb1EPKsPsPKlPlN2at6native12_GLOBAL__N_18offset_tEEE10hipError_tPvRmT1_PNSt15iterator_traitsISY_E10value_typeET2_T3_PNSZ_IS14_E10value_typeET4_jRbjT5_S1A_jjP12ihipStream_tbEUljE_EEESV_SW_SX_S14_S18_S1A_T6_T7_T9_mT8_S1C_bDpT10_ENKUlT_T0_E_clISt17integral_constantIbLb0EES1O_IbLb1EEEEDaS1K_S1L_EUlS1K_E_NS1_11comp_targetILNS1_3genE4ELNS1_11target_archE910ELNS1_3gpuE8ELNS1_3repE0EEENS1_30default_config_static_selectorELNS0_4arch9wavefront6targetE1EEEvSY_,comdat
.Lfunc_end905:
	.size	_ZN7rocprim17ROCPRIM_400000_NS6detail17trampoline_kernelINS0_13select_configILj256ELj13ELNS0_17block_load_methodE3ELS4_3ELS4_3ELNS0_20block_scan_algorithmE0ELj4294967295EEENS1_25partition_config_selectorILNS1_17partition_subalgoE3EjNS0_10empty_typeEbEEZZNS1_14partition_implILS8_3ELb0ES6_jNS0_17counting_iteratorIjlEEPS9_SE_NS0_5tupleIJPjSE_EEENSF_IJSE_SE_EEES9_SG_JZNS1_25segmented_radix_sort_implINS0_14default_configELb1EPKsPsPKlPlN2at6native12_GLOBAL__N_18offset_tEEE10hipError_tPvRmT1_PNSt15iterator_traitsISY_E10value_typeET2_T3_PNSZ_IS14_E10value_typeET4_jRbjT5_S1A_jjP12ihipStream_tbEUljE_EEESV_SW_SX_S14_S18_S1A_T6_T7_T9_mT8_S1C_bDpT10_ENKUlT_T0_E_clISt17integral_constantIbLb0EES1O_IbLb1EEEEDaS1K_S1L_EUlS1K_E_NS1_11comp_targetILNS1_3genE4ELNS1_11target_archE910ELNS1_3gpuE8ELNS1_3repE0EEENS1_30default_config_static_selectorELNS0_4arch9wavefront6targetE1EEEvSY_, .Lfunc_end905-_ZN7rocprim17ROCPRIM_400000_NS6detail17trampoline_kernelINS0_13select_configILj256ELj13ELNS0_17block_load_methodE3ELS4_3ELS4_3ELNS0_20block_scan_algorithmE0ELj4294967295EEENS1_25partition_config_selectorILNS1_17partition_subalgoE3EjNS0_10empty_typeEbEEZZNS1_14partition_implILS8_3ELb0ES6_jNS0_17counting_iteratorIjlEEPS9_SE_NS0_5tupleIJPjSE_EEENSF_IJSE_SE_EEES9_SG_JZNS1_25segmented_radix_sort_implINS0_14default_configELb1EPKsPsPKlPlN2at6native12_GLOBAL__N_18offset_tEEE10hipError_tPvRmT1_PNSt15iterator_traitsISY_E10value_typeET2_T3_PNSZ_IS14_E10value_typeET4_jRbjT5_S1A_jjP12ihipStream_tbEUljE_EEESV_SW_SX_S14_S18_S1A_T6_T7_T9_mT8_S1C_bDpT10_ENKUlT_T0_E_clISt17integral_constantIbLb0EES1O_IbLb1EEEEDaS1K_S1L_EUlS1K_E_NS1_11comp_targetILNS1_3genE4ELNS1_11target_archE910ELNS1_3gpuE8ELNS1_3repE0EEENS1_30default_config_static_selectorELNS0_4arch9wavefront6targetE1EEEvSY_
                                        ; -- End function
	.set _ZN7rocprim17ROCPRIM_400000_NS6detail17trampoline_kernelINS0_13select_configILj256ELj13ELNS0_17block_load_methodE3ELS4_3ELS4_3ELNS0_20block_scan_algorithmE0ELj4294967295EEENS1_25partition_config_selectorILNS1_17partition_subalgoE3EjNS0_10empty_typeEbEEZZNS1_14partition_implILS8_3ELb0ES6_jNS0_17counting_iteratorIjlEEPS9_SE_NS0_5tupleIJPjSE_EEENSF_IJSE_SE_EEES9_SG_JZNS1_25segmented_radix_sort_implINS0_14default_configELb1EPKsPsPKlPlN2at6native12_GLOBAL__N_18offset_tEEE10hipError_tPvRmT1_PNSt15iterator_traitsISY_E10value_typeET2_T3_PNSZ_IS14_E10value_typeET4_jRbjT5_S1A_jjP12ihipStream_tbEUljE_EEESV_SW_SX_S14_S18_S1A_T6_T7_T9_mT8_S1C_bDpT10_ENKUlT_T0_E_clISt17integral_constantIbLb0EES1O_IbLb1EEEEDaS1K_S1L_EUlS1K_E_NS1_11comp_targetILNS1_3genE4ELNS1_11target_archE910ELNS1_3gpuE8ELNS1_3repE0EEENS1_30default_config_static_selectorELNS0_4arch9wavefront6targetE1EEEvSY_.num_vgpr, 0
	.set _ZN7rocprim17ROCPRIM_400000_NS6detail17trampoline_kernelINS0_13select_configILj256ELj13ELNS0_17block_load_methodE3ELS4_3ELS4_3ELNS0_20block_scan_algorithmE0ELj4294967295EEENS1_25partition_config_selectorILNS1_17partition_subalgoE3EjNS0_10empty_typeEbEEZZNS1_14partition_implILS8_3ELb0ES6_jNS0_17counting_iteratorIjlEEPS9_SE_NS0_5tupleIJPjSE_EEENSF_IJSE_SE_EEES9_SG_JZNS1_25segmented_radix_sort_implINS0_14default_configELb1EPKsPsPKlPlN2at6native12_GLOBAL__N_18offset_tEEE10hipError_tPvRmT1_PNSt15iterator_traitsISY_E10value_typeET2_T3_PNSZ_IS14_E10value_typeET4_jRbjT5_S1A_jjP12ihipStream_tbEUljE_EEESV_SW_SX_S14_S18_S1A_T6_T7_T9_mT8_S1C_bDpT10_ENKUlT_T0_E_clISt17integral_constantIbLb0EES1O_IbLb1EEEEDaS1K_S1L_EUlS1K_E_NS1_11comp_targetILNS1_3genE4ELNS1_11target_archE910ELNS1_3gpuE8ELNS1_3repE0EEENS1_30default_config_static_selectorELNS0_4arch9wavefront6targetE1EEEvSY_.num_agpr, 0
	.set _ZN7rocprim17ROCPRIM_400000_NS6detail17trampoline_kernelINS0_13select_configILj256ELj13ELNS0_17block_load_methodE3ELS4_3ELS4_3ELNS0_20block_scan_algorithmE0ELj4294967295EEENS1_25partition_config_selectorILNS1_17partition_subalgoE3EjNS0_10empty_typeEbEEZZNS1_14partition_implILS8_3ELb0ES6_jNS0_17counting_iteratorIjlEEPS9_SE_NS0_5tupleIJPjSE_EEENSF_IJSE_SE_EEES9_SG_JZNS1_25segmented_radix_sort_implINS0_14default_configELb1EPKsPsPKlPlN2at6native12_GLOBAL__N_18offset_tEEE10hipError_tPvRmT1_PNSt15iterator_traitsISY_E10value_typeET2_T3_PNSZ_IS14_E10value_typeET4_jRbjT5_S1A_jjP12ihipStream_tbEUljE_EEESV_SW_SX_S14_S18_S1A_T6_T7_T9_mT8_S1C_bDpT10_ENKUlT_T0_E_clISt17integral_constantIbLb0EES1O_IbLb1EEEEDaS1K_S1L_EUlS1K_E_NS1_11comp_targetILNS1_3genE4ELNS1_11target_archE910ELNS1_3gpuE8ELNS1_3repE0EEENS1_30default_config_static_selectorELNS0_4arch9wavefront6targetE1EEEvSY_.numbered_sgpr, 0
	.set _ZN7rocprim17ROCPRIM_400000_NS6detail17trampoline_kernelINS0_13select_configILj256ELj13ELNS0_17block_load_methodE3ELS4_3ELS4_3ELNS0_20block_scan_algorithmE0ELj4294967295EEENS1_25partition_config_selectorILNS1_17partition_subalgoE3EjNS0_10empty_typeEbEEZZNS1_14partition_implILS8_3ELb0ES6_jNS0_17counting_iteratorIjlEEPS9_SE_NS0_5tupleIJPjSE_EEENSF_IJSE_SE_EEES9_SG_JZNS1_25segmented_radix_sort_implINS0_14default_configELb1EPKsPsPKlPlN2at6native12_GLOBAL__N_18offset_tEEE10hipError_tPvRmT1_PNSt15iterator_traitsISY_E10value_typeET2_T3_PNSZ_IS14_E10value_typeET4_jRbjT5_S1A_jjP12ihipStream_tbEUljE_EEESV_SW_SX_S14_S18_S1A_T6_T7_T9_mT8_S1C_bDpT10_ENKUlT_T0_E_clISt17integral_constantIbLb0EES1O_IbLb1EEEEDaS1K_S1L_EUlS1K_E_NS1_11comp_targetILNS1_3genE4ELNS1_11target_archE910ELNS1_3gpuE8ELNS1_3repE0EEENS1_30default_config_static_selectorELNS0_4arch9wavefront6targetE1EEEvSY_.num_named_barrier, 0
	.set _ZN7rocprim17ROCPRIM_400000_NS6detail17trampoline_kernelINS0_13select_configILj256ELj13ELNS0_17block_load_methodE3ELS4_3ELS4_3ELNS0_20block_scan_algorithmE0ELj4294967295EEENS1_25partition_config_selectorILNS1_17partition_subalgoE3EjNS0_10empty_typeEbEEZZNS1_14partition_implILS8_3ELb0ES6_jNS0_17counting_iteratorIjlEEPS9_SE_NS0_5tupleIJPjSE_EEENSF_IJSE_SE_EEES9_SG_JZNS1_25segmented_radix_sort_implINS0_14default_configELb1EPKsPsPKlPlN2at6native12_GLOBAL__N_18offset_tEEE10hipError_tPvRmT1_PNSt15iterator_traitsISY_E10value_typeET2_T3_PNSZ_IS14_E10value_typeET4_jRbjT5_S1A_jjP12ihipStream_tbEUljE_EEESV_SW_SX_S14_S18_S1A_T6_T7_T9_mT8_S1C_bDpT10_ENKUlT_T0_E_clISt17integral_constantIbLb0EES1O_IbLb1EEEEDaS1K_S1L_EUlS1K_E_NS1_11comp_targetILNS1_3genE4ELNS1_11target_archE910ELNS1_3gpuE8ELNS1_3repE0EEENS1_30default_config_static_selectorELNS0_4arch9wavefront6targetE1EEEvSY_.private_seg_size, 0
	.set _ZN7rocprim17ROCPRIM_400000_NS6detail17trampoline_kernelINS0_13select_configILj256ELj13ELNS0_17block_load_methodE3ELS4_3ELS4_3ELNS0_20block_scan_algorithmE0ELj4294967295EEENS1_25partition_config_selectorILNS1_17partition_subalgoE3EjNS0_10empty_typeEbEEZZNS1_14partition_implILS8_3ELb0ES6_jNS0_17counting_iteratorIjlEEPS9_SE_NS0_5tupleIJPjSE_EEENSF_IJSE_SE_EEES9_SG_JZNS1_25segmented_radix_sort_implINS0_14default_configELb1EPKsPsPKlPlN2at6native12_GLOBAL__N_18offset_tEEE10hipError_tPvRmT1_PNSt15iterator_traitsISY_E10value_typeET2_T3_PNSZ_IS14_E10value_typeET4_jRbjT5_S1A_jjP12ihipStream_tbEUljE_EEESV_SW_SX_S14_S18_S1A_T6_T7_T9_mT8_S1C_bDpT10_ENKUlT_T0_E_clISt17integral_constantIbLb0EES1O_IbLb1EEEEDaS1K_S1L_EUlS1K_E_NS1_11comp_targetILNS1_3genE4ELNS1_11target_archE910ELNS1_3gpuE8ELNS1_3repE0EEENS1_30default_config_static_selectorELNS0_4arch9wavefront6targetE1EEEvSY_.uses_vcc, 0
	.set _ZN7rocprim17ROCPRIM_400000_NS6detail17trampoline_kernelINS0_13select_configILj256ELj13ELNS0_17block_load_methodE3ELS4_3ELS4_3ELNS0_20block_scan_algorithmE0ELj4294967295EEENS1_25partition_config_selectorILNS1_17partition_subalgoE3EjNS0_10empty_typeEbEEZZNS1_14partition_implILS8_3ELb0ES6_jNS0_17counting_iteratorIjlEEPS9_SE_NS0_5tupleIJPjSE_EEENSF_IJSE_SE_EEES9_SG_JZNS1_25segmented_radix_sort_implINS0_14default_configELb1EPKsPsPKlPlN2at6native12_GLOBAL__N_18offset_tEEE10hipError_tPvRmT1_PNSt15iterator_traitsISY_E10value_typeET2_T3_PNSZ_IS14_E10value_typeET4_jRbjT5_S1A_jjP12ihipStream_tbEUljE_EEESV_SW_SX_S14_S18_S1A_T6_T7_T9_mT8_S1C_bDpT10_ENKUlT_T0_E_clISt17integral_constantIbLb0EES1O_IbLb1EEEEDaS1K_S1L_EUlS1K_E_NS1_11comp_targetILNS1_3genE4ELNS1_11target_archE910ELNS1_3gpuE8ELNS1_3repE0EEENS1_30default_config_static_selectorELNS0_4arch9wavefront6targetE1EEEvSY_.uses_flat_scratch, 0
	.set _ZN7rocprim17ROCPRIM_400000_NS6detail17trampoline_kernelINS0_13select_configILj256ELj13ELNS0_17block_load_methodE3ELS4_3ELS4_3ELNS0_20block_scan_algorithmE0ELj4294967295EEENS1_25partition_config_selectorILNS1_17partition_subalgoE3EjNS0_10empty_typeEbEEZZNS1_14partition_implILS8_3ELb0ES6_jNS0_17counting_iteratorIjlEEPS9_SE_NS0_5tupleIJPjSE_EEENSF_IJSE_SE_EEES9_SG_JZNS1_25segmented_radix_sort_implINS0_14default_configELb1EPKsPsPKlPlN2at6native12_GLOBAL__N_18offset_tEEE10hipError_tPvRmT1_PNSt15iterator_traitsISY_E10value_typeET2_T3_PNSZ_IS14_E10value_typeET4_jRbjT5_S1A_jjP12ihipStream_tbEUljE_EEESV_SW_SX_S14_S18_S1A_T6_T7_T9_mT8_S1C_bDpT10_ENKUlT_T0_E_clISt17integral_constantIbLb0EES1O_IbLb1EEEEDaS1K_S1L_EUlS1K_E_NS1_11comp_targetILNS1_3genE4ELNS1_11target_archE910ELNS1_3gpuE8ELNS1_3repE0EEENS1_30default_config_static_selectorELNS0_4arch9wavefront6targetE1EEEvSY_.has_dyn_sized_stack, 0
	.set _ZN7rocprim17ROCPRIM_400000_NS6detail17trampoline_kernelINS0_13select_configILj256ELj13ELNS0_17block_load_methodE3ELS4_3ELS4_3ELNS0_20block_scan_algorithmE0ELj4294967295EEENS1_25partition_config_selectorILNS1_17partition_subalgoE3EjNS0_10empty_typeEbEEZZNS1_14partition_implILS8_3ELb0ES6_jNS0_17counting_iteratorIjlEEPS9_SE_NS0_5tupleIJPjSE_EEENSF_IJSE_SE_EEES9_SG_JZNS1_25segmented_radix_sort_implINS0_14default_configELb1EPKsPsPKlPlN2at6native12_GLOBAL__N_18offset_tEEE10hipError_tPvRmT1_PNSt15iterator_traitsISY_E10value_typeET2_T3_PNSZ_IS14_E10value_typeET4_jRbjT5_S1A_jjP12ihipStream_tbEUljE_EEESV_SW_SX_S14_S18_S1A_T6_T7_T9_mT8_S1C_bDpT10_ENKUlT_T0_E_clISt17integral_constantIbLb0EES1O_IbLb1EEEEDaS1K_S1L_EUlS1K_E_NS1_11comp_targetILNS1_3genE4ELNS1_11target_archE910ELNS1_3gpuE8ELNS1_3repE0EEENS1_30default_config_static_selectorELNS0_4arch9wavefront6targetE1EEEvSY_.has_recursion, 0
	.set _ZN7rocprim17ROCPRIM_400000_NS6detail17trampoline_kernelINS0_13select_configILj256ELj13ELNS0_17block_load_methodE3ELS4_3ELS4_3ELNS0_20block_scan_algorithmE0ELj4294967295EEENS1_25partition_config_selectorILNS1_17partition_subalgoE3EjNS0_10empty_typeEbEEZZNS1_14partition_implILS8_3ELb0ES6_jNS0_17counting_iteratorIjlEEPS9_SE_NS0_5tupleIJPjSE_EEENSF_IJSE_SE_EEES9_SG_JZNS1_25segmented_radix_sort_implINS0_14default_configELb1EPKsPsPKlPlN2at6native12_GLOBAL__N_18offset_tEEE10hipError_tPvRmT1_PNSt15iterator_traitsISY_E10value_typeET2_T3_PNSZ_IS14_E10value_typeET4_jRbjT5_S1A_jjP12ihipStream_tbEUljE_EEESV_SW_SX_S14_S18_S1A_T6_T7_T9_mT8_S1C_bDpT10_ENKUlT_T0_E_clISt17integral_constantIbLb0EES1O_IbLb1EEEEDaS1K_S1L_EUlS1K_E_NS1_11comp_targetILNS1_3genE4ELNS1_11target_archE910ELNS1_3gpuE8ELNS1_3repE0EEENS1_30default_config_static_selectorELNS0_4arch9wavefront6targetE1EEEvSY_.has_indirect_call, 0
	.section	.AMDGPU.csdata,"",@progbits
; Kernel info:
; codeLenInByte = 0
; TotalNumSgprs: 4
; NumVgprs: 0
; ScratchSize: 0
; MemoryBound: 0
; FloatMode: 240
; IeeeMode: 1
; LDSByteSize: 0 bytes/workgroup (compile time only)
; SGPRBlocks: 0
; VGPRBlocks: 0
; NumSGPRsForWavesPerEU: 4
; NumVGPRsForWavesPerEU: 1
; Occupancy: 10
; WaveLimiterHint : 0
; COMPUTE_PGM_RSRC2:SCRATCH_EN: 0
; COMPUTE_PGM_RSRC2:USER_SGPR: 6
; COMPUTE_PGM_RSRC2:TRAP_HANDLER: 0
; COMPUTE_PGM_RSRC2:TGID_X_EN: 1
; COMPUTE_PGM_RSRC2:TGID_Y_EN: 0
; COMPUTE_PGM_RSRC2:TGID_Z_EN: 0
; COMPUTE_PGM_RSRC2:TIDIG_COMP_CNT: 0
	.section	.text._ZN7rocprim17ROCPRIM_400000_NS6detail17trampoline_kernelINS0_13select_configILj256ELj13ELNS0_17block_load_methodE3ELS4_3ELS4_3ELNS0_20block_scan_algorithmE0ELj4294967295EEENS1_25partition_config_selectorILNS1_17partition_subalgoE3EjNS0_10empty_typeEbEEZZNS1_14partition_implILS8_3ELb0ES6_jNS0_17counting_iteratorIjlEEPS9_SE_NS0_5tupleIJPjSE_EEENSF_IJSE_SE_EEES9_SG_JZNS1_25segmented_radix_sort_implINS0_14default_configELb1EPKsPsPKlPlN2at6native12_GLOBAL__N_18offset_tEEE10hipError_tPvRmT1_PNSt15iterator_traitsISY_E10value_typeET2_T3_PNSZ_IS14_E10value_typeET4_jRbjT5_S1A_jjP12ihipStream_tbEUljE_EEESV_SW_SX_S14_S18_S1A_T6_T7_T9_mT8_S1C_bDpT10_ENKUlT_T0_E_clISt17integral_constantIbLb0EES1O_IbLb1EEEEDaS1K_S1L_EUlS1K_E_NS1_11comp_targetILNS1_3genE3ELNS1_11target_archE908ELNS1_3gpuE7ELNS1_3repE0EEENS1_30default_config_static_selectorELNS0_4arch9wavefront6targetE1EEEvSY_,"axG",@progbits,_ZN7rocprim17ROCPRIM_400000_NS6detail17trampoline_kernelINS0_13select_configILj256ELj13ELNS0_17block_load_methodE3ELS4_3ELS4_3ELNS0_20block_scan_algorithmE0ELj4294967295EEENS1_25partition_config_selectorILNS1_17partition_subalgoE3EjNS0_10empty_typeEbEEZZNS1_14partition_implILS8_3ELb0ES6_jNS0_17counting_iteratorIjlEEPS9_SE_NS0_5tupleIJPjSE_EEENSF_IJSE_SE_EEES9_SG_JZNS1_25segmented_radix_sort_implINS0_14default_configELb1EPKsPsPKlPlN2at6native12_GLOBAL__N_18offset_tEEE10hipError_tPvRmT1_PNSt15iterator_traitsISY_E10value_typeET2_T3_PNSZ_IS14_E10value_typeET4_jRbjT5_S1A_jjP12ihipStream_tbEUljE_EEESV_SW_SX_S14_S18_S1A_T6_T7_T9_mT8_S1C_bDpT10_ENKUlT_T0_E_clISt17integral_constantIbLb0EES1O_IbLb1EEEEDaS1K_S1L_EUlS1K_E_NS1_11comp_targetILNS1_3genE3ELNS1_11target_archE908ELNS1_3gpuE7ELNS1_3repE0EEENS1_30default_config_static_selectorELNS0_4arch9wavefront6targetE1EEEvSY_,comdat
	.globl	_ZN7rocprim17ROCPRIM_400000_NS6detail17trampoline_kernelINS0_13select_configILj256ELj13ELNS0_17block_load_methodE3ELS4_3ELS4_3ELNS0_20block_scan_algorithmE0ELj4294967295EEENS1_25partition_config_selectorILNS1_17partition_subalgoE3EjNS0_10empty_typeEbEEZZNS1_14partition_implILS8_3ELb0ES6_jNS0_17counting_iteratorIjlEEPS9_SE_NS0_5tupleIJPjSE_EEENSF_IJSE_SE_EEES9_SG_JZNS1_25segmented_radix_sort_implINS0_14default_configELb1EPKsPsPKlPlN2at6native12_GLOBAL__N_18offset_tEEE10hipError_tPvRmT1_PNSt15iterator_traitsISY_E10value_typeET2_T3_PNSZ_IS14_E10value_typeET4_jRbjT5_S1A_jjP12ihipStream_tbEUljE_EEESV_SW_SX_S14_S18_S1A_T6_T7_T9_mT8_S1C_bDpT10_ENKUlT_T0_E_clISt17integral_constantIbLb0EES1O_IbLb1EEEEDaS1K_S1L_EUlS1K_E_NS1_11comp_targetILNS1_3genE3ELNS1_11target_archE908ELNS1_3gpuE7ELNS1_3repE0EEENS1_30default_config_static_selectorELNS0_4arch9wavefront6targetE1EEEvSY_ ; -- Begin function _ZN7rocprim17ROCPRIM_400000_NS6detail17trampoline_kernelINS0_13select_configILj256ELj13ELNS0_17block_load_methodE3ELS4_3ELS4_3ELNS0_20block_scan_algorithmE0ELj4294967295EEENS1_25partition_config_selectorILNS1_17partition_subalgoE3EjNS0_10empty_typeEbEEZZNS1_14partition_implILS8_3ELb0ES6_jNS0_17counting_iteratorIjlEEPS9_SE_NS0_5tupleIJPjSE_EEENSF_IJSE_SE_EEES9_SG_JZNS1_25segmented_radix_sort_implINS0_14default_configELb1EPKsPsPKlPlN2at6native12_GLOBAL__N_18offset_tEEE10hipError_tPvRmT1_PNSt15iterator_traitsISY_E10value_typeET2_T3_PNSZ_IS14_E10value_typeET4_jRbjT5_S1A_jjP12ihipStream_tbEUljE_EEESV_SW_SX_S14_S18_S1A_T6_T7_T9_mT8_S1C_bDpT10_ENKUlT_T0_E_clISt17integral_constantIbLb0EES1O_IbLb1EEEEDaS1K_S1L_EUlS1K_E_NS1_11comp_targetILNS1_3genE3ELNS1_11target_archE908ELNS1_3gpuE7ELNS1_3repE0EEENS1_30default_config_static_selectorELNS0_4arch9wavefront6targetE1EEEvSY_
	.p2align	8
	.type	_ZN7rocprim17ROCPRIM_400000_NS6detail17trampoline_kernelINS0_13select_configILj256ELj13ELNS0_17block_load_methodE3ELS4_3ELS4_3ELNS0_20block_scan_algorithmE0ELj4294967295EEENS1_25partition_config_selectorILNS1_17partition_subalgoE3EjNS0_10empty_typeEbEEZZNS1_14partition_implILS8_3ELb0ES6_jNS0_17counting_iteratorIjlEEPS9_SE_NS0_5tupleIJPjSE_EEENSF_IJSE_SE_EEES9_SG_JZNS1_25segmented_radix_sort_implINS0_14default_configELb1EPKsPsPKlPlN2at6native12_GLOBAL__N_18offset_tEEE10hipError_tPvRmT1_PNSt15iterator_traitsISY_E10value_typeET2_T3_PNSZ_IS14_E10value_typeET4_jRbjT5_S1A_jjP12ihipStream_tbEUljE_EEESV_SW_SX_S14_S18_S1A_T6_T7_T9_mT8_S1C_bDpT10_ENKUlT_T0_E_clISt17integral_constantIbLb0EES1O_IbLb1EEEEDaS1K_S1L_EUlS1K_E_NS1_11comp_targetILNS1_3genE3ELNS1_11target_archE908ELNS1_3gpuE7ELNS1_3repE0EEENS1_30default_config_static_selectorELNS0_4arch9wavefront6targetE1EEEvSY_,@function
_ZN7rocprim17ROCPRIM_400000_NS6detail17trampoline_kernelINS0_13select_configILj256ELj13ELNS0_17block_load_methodE3ELS4_3ELS4_3ELNS0_20block_scan_algorithmE0ELj4294967295EEENS1_25partition_config_selectorILNS1_17partition_subalgoE3EjNS0_10empty_typeEbEEZZNS1_14partition_implILS8_3ELb0ES6_jNS0_17counting_iteratorIjlEEPS9_SE_NS0_5tupleIJPjSE_EEENSF_IJSE_SE_EEES9_SG_JZNS1_25segmented_radix_sort_implINS0_14default_configELb1EPKsPsPKlPlN2at6native12_GLOBAL__N_18offset_tEEE10hipError_tPvRmT1_PNSt15iterator_traitsISY_E10value_typeET2_T3_PNSZ_IS14_E10value_typeET4_jRbjT5_S1A_jjP12ihipStream_tbEUljE_EEESV_SW_SX_S14_S18_S1A_T6_T7_T9_mT8_S1C_bDpT10_ENKUlT_T0_E_clISt17integral_constantIbLb0EES1O_IbLb1EEEEDaS1K_S1L_EUlS1K_E_NS1_11comp_targetILNS1_3genE3ELNS1_11target_archE908ELNS1_3gpuE7ELNS1_3repE0EEENS1_30default_config_static_selectorELNS0_4arch9wavefront6targetE1EEEvSY_: ; @_ZN7rocprim17ROCPRIM_400000_NS6detail17trampoline_kernelINS0_13select_configILj256ELj13ELNS0_17block_load_methodE3ELS4_3ELS4_3ELNS0_20block_scan_algorithmE0ELj4294967295EEENS1_25partition_config_selectorILNS1_17partition_subalgoE3EjNS0_10empty_typeEbEEZZNS1_14partition_implILS8_3ELb0ES6_jNS0_17counting_iteratorIjlEEPS9_SE_NS0_5tupleIJPjSE_EEENSF_IJSE_SE_EEES9_SG_JZNS1_25segmented_radix_sort_implINS0_14default_configELb1EPKsPsPKlPlN2at6native12_GLOBAL__N_18offset_tEEE10hipError_tPvRmT1_PNSt15iterator_traitsISY_E10value_typeET2_T3_PNSZ_IS14_E10value_typeET4_jRbjT5_S1A_jjP12ihipStream_tbEUljE_EEESV_SW_SX_S14_S18_S1A_T6_T7_T9_mT8_S1C_bDpT10_ENKUlT_T0_E_clISt17integral_constantIbLb0EES1O_IbLb1EEEEDaS1K_S1L_EUlS1K_E_NS1_11comp_targetILNS1_3genE3ELNS1_11target_archE908ELNS1_3gpuE7ELNS1_3repE0EEENS1_30default_config_static_selectorELNS0_4arch9wavefront6targetE1EEEvSY_
; %bb.0:
	.section	.rodata,"a",@progbits
	.p2align	6, 0x0
	.amdhsa_kernel _ZN7rocprim17ROCPRIM_400000_NS6detail17trampoline_kernelINS0_13select_configILj256ELj13ELNS0_17block_load_methodE3ELS4_3ELS4_3ELNS0_20block_scan_algorithmE0ELj4294967295EEENS1_25partition_config_selectorILNS1_17partition_subalgoE3EjNS0_10empty_typeEbEEZZNS1_14partition_implILS8_3ELb0ES6_jNS0_17counting_iteratorIjlEEPS9_SE_NS0_5tupleIJPjSE_EEENSF_IJSE_SE_EEES9_SG_JZNS1_25segmented_radix_sort_implINS0_14default_configELb1EPKsPsPKlPlN2at6native12_GLOBAL__N_18offset_tEEE10hipError_tPvRmT1_PNSt15iterator_traitsISY_E10value_typeET2_T3_PNSZ_IS14_E10value_typeET4_jRbjT5_S1A_jjP12ihipStream_tbEUljE_EEESV_SW_SX_S14_S18_S1A_T6_T7_T9_mT8_S1C_bDpT10_ENKUlT_T0_E_clISt17integral_constantIbLb0EES1O_IbLb1EEEEDaS1K_S1L_EUlS1K_E_NS1_11comp_targetILNS1_3genE3ELNS1_11target_archE908ELNS1_3gpuE7ELNS1_3repE0EEENS1_30default_config_static_selectorELNS0_4arch9wavefront6targetE1EEEvSY_
		.amdhsa_group_segment_fixed_size 0
		.amdhsa_private_segment_fixed_size 0
		.amdhsa_kernarg_size 152
		.amdhsa_user_sgpr_count 6
		.amdhsa_user_sgpr_private_segment_buffer 1
		.amdhsa_user_sgpr_dispatch_ptr 0
		.amdhsa_user_sgpr_queue_ptr 0
		.amdhsa_user_sgpr_kernarg_segment_ptr 1
		.amdhsa_user_sgpr_dispatch_id 0
		.amdhsa_user_sgpr_flat_scratch_init 0
		.amdhsa_user_sgpr_private_segment_size 0
		.amdhsa_uses_dynamic_stack 0
		.amdhsa_system_sgpr_private_segment_wavefront_offset 0
		.amdhsa_system_sgpr_workgroup_id_x 1
		.amdhsa_system_sgpr_workgroup_id_y 0
		.amdhsa_system_sgpr_workgroup_id_z 0
		.amdhsa_system_sgpr_workgroup_info 0
		.amdhsa_system_vgpr_workitem_id 0
		.amdhsa_next_free_vgpr 1
		.amdhsa_next_free_sgpr 0
		.amdhsa_reserve_vcc 0
		.amdhsa_reserve_flat_scratch 0
		.amdhsa_float_round_mode_32 0
		.amdhsa_float_round_mode_16_64 0
		.amdhsa_float_denorm_mode_32 3
		.amdhsa_float_denorm_mode_16_64 3
		.amdhsa_dx10_clamp 1
		.amdhsa_ieee_mode 1
		.amdhsa_fp16_overflow 0
		.amdhsa_exception_fp_ieee_invalid_op 0
		.amdhsa_exception_fp_denorm_src 0
		.amdhsa_exception_fp_ieee_div_zero 0
		.amdhsa_exception_fp_ieee_overflow 0
		.amdhsa_exception_fp_ieee_underflow 0
		.amdhsa_exception_fp_ieee_inexact 0
		.amdhsa_exception_int_div_zero 0
	.end_amdhsa_kernel
	.section	.text._ZN7rocprim17ROCPRIM_400000_NS6detail17trampoline_kernelINS0_13select_configILj256ELj13ELNS0_17block_load_methodE3ELS4_3ELS4_3ELNS0_20block_scan_algorithmE0ELj4294967295EEENS1_25partition_config_selectorILNS1_17partition_subalgoE3EjNS0_10empty_typeEbEEZZNS1_14partition_implILS8_3ELb0ES6_jNS0_17counting_iteratorIjlEEPS9_SE_NS0_5tupleIJPjSE_EEENSF_IJSE_SE_EEES9_SG_JZNS1_25segmented_radix_sort_implINS0_14default_configELb1EPKsPsPKlPlN2at6native12_GLOBAL__N_18offset_tEEE10hipError_tPvRmT1_PNSt15iterator_traitsISY_E10value_typeET2_T3_PNSZ_IS14_E10value_typeET4_jRbjT5_S1A_jjP12ihipStream_tbEUljE_EEESV_SW_SX_S14_S18_S1A_T6_T7_T9_mT8_S1C_bDpT10_ENKUlT_T0_E_clISt17integral_constantIbLb0EES1O_IbLb1EEEEDaS1K_S1L_EUlS1K_E_NS1_11comp_targetILNS1_3genE3ELNS1_11target_archE908ELNS1_3gpuE7ELNS1_3repE0EEENS1_30default_config_static_selectorELNS0_4arch9wavefront6targetE1EEEvSY_,"axG",@progbits,_ZN7rocprim17ROCPRIM_400000_NS6detail17trampoline_kernelINS0_13select_configILj256ELj13ELNS0_17block_load_methodE3ELS4_3ELS4_3ELNS0_20block_scan_algorithmE0ELj4294967295EEENS1_25partition_config_selectorILNS1_17partition_subalgoE3EjNS0_10empty_typeEbEEZZNS1_14partition_implILS8_3ELb0ES6_jNS0_17counting_iteratorIjlEEPS9_SE_NS0_5tupleIJPjSE_EEENSF_IJSE_SE_EEES9_SG_JZNS1_25segmented_radix_sort_implINS0_14default_configELb1EPKsPsPKlPlN2at6native12_GLOBAL__N_18offset_tEEE10hipError_tPvRmT1_PNSt15iterator_traitsISY_E10value_typeET2_T3_PNSZ_IS14_E10value_typeET4_jRbjT5_S1A_jjP12ihipStream_tbEUljE_EEESV_SW_SX_S14_S18_S1A_T6_T7_T9_mT8_S1C_bDpT10_ENKUlT_T0_E_clISt17integral_constantIbLb0EES1O_IbLb1EEEEDaS1K_S1L_EUlS1K_E_NS1_11comp_targetILNS1_3genE3ELNS1_11target_archE908ELNS1_3gpuE7ELNS1_3repE0EEENS1_30default_config_static_selectorELNS0_4arch9wavefront6targetE1EEEvSY_,comdat
.Lfunc_end906:
	.size	_ZN7rocprim17ROCPRIM_400000_NS6detail17trampoline_kernelINS0_13select_configILj256ELj13ELNS0_17block_load_methodE3ELS4_3ELS4_3ELNS0_20block_scan_algorithmE0ELj4294967295EEENS1_25partition_config_selectorILNS1_17partition_subalgoE3EjNS0_10empty_typeEbEEZZNS1_14partition_implILS8_3ELb0ES6_jNS0_17counting_iteratorIjlEEPS9_SE_NS0_5tupleIJPjSE_EEENSF_IJSE_SE_EEES9_SG_JZNS1_25segmented_radix_sort_implINS0_14default_configELb1EPKsPsPKlPlN2at6native12_GLOBAL__N_18offset_tEEE10hipError_tPvRmT1_PNSt15iterator_traitsISY_E10value_typeET2_T3_PNSZ_IS14_E10value_typeET4_jRbjT5_S1A_jjP12ihipStream_tbEUljE_EEESV_SW_SX_S14_S18_S1A_T6_T7_T9_mT8_S1C_bDpT10_ENKUlT_T0_E_clISt17integral_constantIbLb0EES1O_IbLb1EEEEDaS1K_S1L_EUlS1K_E_NS1_11comp_targetILNS1_3genE3ELNS1_11target_archE908ELNS1_3gpuE7ELNS1_3repE0EEENS1_30default_config_static_selectorELNS0_4arch9wavefront6targetE1EEEvSY_, .Lfunc_end906-_ZN7rocprim17ROCPRIM_400000_NS6detail17trampoline_kernelINS0_13select_configILj256ELj13ELNS0_17block_load_methodE3ELS4_3ELS4_3ELNS0_20block_scan_algorithmE0ELj4294967295EEENS1_25partition_config_selectorILNS1_17partition_subalgoE3EjNS0_10empty_typeEbEEZZNS1_14partition_implILS8_3ELb0ES6_jNS0_17counting_iteratorIjlEEPS9_SE_NS0_5tupleIJPjSE_EEENSF_IJSE_SE_EEES9_SG_JZNS1_25segmented_radix_sort_implINS0_14default_configELb1EPKsPsPKlPlN2at6native12_GLOBAL__N_18offset_tEEE10hipError_tPvRmT1_PNSt15iterator_traitsISY_E10value_typeET2_T3_PNSZ_IS14_E10value_typeET4_jRbjT5_S1A_jjP12ihipStream_tbEUljE_EEESV_SW_SX_S14_S18_S1A_T6_T7_T9_mT8_S1C_bDpT10_ENKUlT_T0_E_clISt17integral_constantIbLb0EES1O_IbLb1EEEEDaS1K_S1L_EUlS1K_E_NS1_11comp_targetILNS1_3genE3ELNS1_11target_archE908ELNS1_3gpuE7ELNS1_3repE0EEENS1_30default_config_static_selectorELNS0_4arch9wavefront6targetE1EEEvSY_
                                        ; -- End function
	.set _ZN7rocprim17ROCPRIM_400000_NS6detail17trampoline_kernelINS0_13select_configILj256ELj13ELNS0_17block_load_methodE3ELS4_3ELS4_3ELNS0_20block_scan_algorithmE0ELj4294967295EEENS1_25partition_config_selectorILNS1_17partition_subalgoE3EjNS0_10empty_typeEbEEZZNS1_14partition_implILS8_3ELb0ES6_jNS0_17counting_iteratorIjlEEPS9_SE_NS0_5tupleIJPjSE_EEENSF_IJSE_SE_EEES9_SG_JZNS1_25segmented_radix_sort_implINS0_14default_configELb1EPKsPsPKlPlN2at6native12_GLOBAL__N_18offset_tEEE10hipError_tPvRmT1_PNSt15iterator_traitsISY_E10value_typeET2_T3_PNSZ_IS14_E10value_typeET4_jRbjT5_S1A_jjP12ihipStream_tbEUljE_EEESV_SW_SX_S14_S18_S1A_T6_T7_T9_mT8_S1C_bDpT10_ENKUlT_T0_E_clISt17integral_constantIbLb0EES1O_IbLb1EEEEDaS1K_S1L_EUlS1K_E_NS1_11comp_targetILNS1_3genE3ELNS1_11target_archE908ELNS1_3gpuE7ELNS1_3repE0EEENS1_30default_config_static_selectorELNS0_4arch9wavefront6targetE1EEEvSY_.num_vgpr, 0
	.set _ZN7rocprim17ROCPRIM_400000_NS6detail17trampoline_kernelINS0_13select_configILj256ELj13ELNS0_17block_load_methodE3ELS4_3ELS4_3ELNS0_20block_scan_algorithmE0ELj4294967295EEENS1_25partition_config_selectorILNS1_17partition_subalgoE3EjNS0_10empty_typeEbEEZZNS1_14partition_implILS8_3ELb0ES6_jNS0_17counting_iteratorIjlEEPS9_SE_NS0_5tupleIJPjSE_EEENSF_IJSE_SE_EEES9_SG_JZNS1_25segmented_radix_sort_implINS0_14default_configELb1EPKsPsPKlPlN2at6native12_GLOBAL__N_18offset_tEEE10hipError_tPvRmT1_PNSt15iterator_traitsISY_E10value_typeET2_T3_PNSZ_IS14_E10value_typeET4_jRbjT5_S1A_jjP12ihipStream_tbEUljE_EEESV_SW_SX_S14_S18_S1A_T6_T7_T9_mT8_S1C_bDpT10_ENKUlT_T0_E_clISt17integral_constantIbLb0EES1O_IbLb1EEEEDaS1K_S1L_EUlS1K_E_NS1_11comp_targetILNS1_3genE3ELNS1_11target_archE908ELNS1_3gpuE7ELNS1_3repE0EEENS1_30default_config_static_selectorELNS0_4arch9wavefront6targetE1EEEvSY_.num_agpr, 0
	.set _ZN7rocprim17ROCPRIM_400000_NS6detail17trampoline_kernelINS0_13select_configILj256ELj13ELNS0_17block_load_methodE3ELS4_3ELS4_3ELNS0_20block_scan_algorithmE0ELj4294967295EEENS1_25partition_config_selectorILNS1_17partition_subalgoE3EjNS0_10empty_typeEbEEZZNS1_14partition_implILS8_3ELb0ES6_jNS0_17counting_iteratorIjlEEPS9_SE_NS0_5tupleIJPjSE_EEENSF_IJSE_SE_EEES9_SG_JZNS1_25segmented_radix_sort_implINS0_14default_configELb1EPKsPsPKlPlN2at6native12_GLOBAL__N_18offset_tEEE10hipError_tPvRmT1_PNSt15iterator_traitsISY_E10value_typeET2_T3_PNSZ_IS14_E10value_typeET4_jRbjT5_S1A_jjP12ihipStream_tbEUljE_EEESV_SW_SX_S14_S18_S1A_T6_T7_T9_mT8_S1C_bDpT10_ENKUlT_T0_E_clISt17integral_constantIbLb0EES1O_IbLb1EEEEDaS1K_S1L_EUlS1K_E_NS1_11comp_targetILNS1_3genE3ELNS1_11target_archE908ELNS1_3gpuE7ELNS1_3repE0EEENS1_30default_config_static_selectorELNS0_4arch9wavefront6targetE1EEEvSY_.numbered_sgpr, 0
	.set _ZN7rocprim17ROCPRIM_400000_NS6detail17trampoline_kernelINS0_13select_configILj256ELj13ELNS0_17block_load_methodE3ELS4_3ELS4_3ELNS0_20block_scan_algorithmE0ELj4294967295EEENS1_25partition_config_selectorILNS1_17partition_subalgoE3EjNS0_10empty_typeEbEEZZNS1_14partition_implILS8_3ELb0ES6_jNS0_17counting_iteratorIjlEEPS9_SE_NS0_5tupleIJPjSE_EEENSF_IJSE_SE_EEES9_SG_JZNS1_25segmented_radix_sort_implINS0_14default_configELb1EPKsPsPKlPlN2at6native12_GLOBAL__N_18offset_tEEE10hipError_tPvRmT1_PNSt15iterator_traitsISY_E10value_typeET2_T3_PNSZ_IS14_E10value_typeET4_jRbjT5_S1A_jjP12ihipStream_tbEUljE_EEESV_SW_SX_S14_S18_S1A_T6_T7_T9_mT8_S1C_bDpT10_ENKUlT_T0_E_clISt17integral_constantIbLb0EES1O_IbLb1EEEEDaS1K_S1L_EUlS1K_E_NS1_11comp_targetILNS1_3genE3ELNS1_11target_archE908ELNS1_3gpuE7ELNS1_3repE0EEENS1_30default_config_static_selectorELNS0_4arch9wavefront6targetE1EEEvSY_.num_named_barrier, 0
	.set _ZN7rocprim17ROCPRIM_400000_NS6detail17trampoline_kernelINS0_13select_configILj256ELj13ELNS0_17block_load_methodE3ELS4_3ELS4_3ELNS0_20block_scan_algorithmE0ELj4294967295EEENS1_25partition_config_selectorILNS1_17partition_subalgoE3EjNS0_10empty_typeEbEEZZNS1_14partition_implILS8_3ELb0ES6_jNS0_17counting_iteratorIjlEEPS9_SE_NS0_5tupleIJPjSE_EEENSF_IJSE_SE_EEES9_SG_JZNS1_25segmented_radix_sort_implINS0_14default_configELb1EPKsPsPKlPlN2at6native12_GLOBAL__N_18offset_tEEE10hipError_tPvRmT1_PNSt15iterator_traitsISY_E10value_typeET2_T3_PNSZ_IS14_E10value_typeET4_jRbjT5_S1A_jjP12ihipStream_tbEUljE_EEESV_SW_SX_S14_S18_S1A_T6_T7_T9_mT8_S1C_bDpT10_ENKUlT_T0_E_clISt17integral_constantIbLb0EES1O_IbLb1EEEEDaS1K_S1L_EUlS1K_E_NS1_11comp_targetILNS1_3genE3ELNS1_11target_archE908ELNS1_3gpuE7ELNS1_3repE0EEENS1_30default_config_static_selectorELNS0_4arch9wavefront6targetE1EEEvSY_.private_seg_size, 0
	.set _ZN7rocprim17ROCPRIM_400000_NS6detail17trampoline_kernelINS0_13select_configILj256ELj13ELNS0_17block_load_methodE3ELS4_3ELS4_3ELNS0_20block_scan_algorithmE0ELj4294967295EEENS1_25partition_config_selectorILNS1_17partition_subalgoE3EjNS0_10empty_typeEbEEZZNS1_14partition_implILS8_3ELb0ES6_jNS0_17counting_iteratorIjlEEPS9_SE_NS0_5tupleIJPjSE_EEENSF_IJSE_SE_EEES9_SG_JZNS1_25segmented_radix_sort_implINS0_14default_configELb1EPKsPsPKlPlN2at6native12_GLOBAL__N_18offset_tEEE10hipError_tPvRmT1_PNSt15iterator_traitsISY_E10value_typeET2_T3_PNSZ_IS14_E10value_typeET4_jRbjT5_S1A_jjP12ihipStream_tbEUljE_EEESV_SW_SX_S14_S18_S1A_T6_T7_T9_mT8_S1C_bDpT10_ENKUlT_T0_E_clISt17integral_constantIbLb0EES1O_IbLb1EEEEDaS1K_S1L_EUlS1K_E_NS1_11comp_targetILNS1_3genE3ELNS1_11target_archE908ELNS1_3gpuE7ELNS1_3repE0EEENS1_30default_config_static_selectorELNS0_4arch9wavefront6targetE1EEEvSY_.uses_vcc, 0
	.set _ZN7rocprim17ROCPRIM_400000_NS6detail17trampoline_kernelINS0_13select_configILj256ELj13ELNS0_17block_load_methodE3ELS4_3ELS4_3ELNS0_20block_scan_algorithmE0ELj4294967295EEENS1_25partition_config_selectorILNS1_17partition_subalgoE3EjNS0_10empty_typeEbEEZZNS1_14partition_implILS8_3ELb0ES6_jNS0_17counting_iteratorIjlEEPS9_SE_NS0_5tupleIJPjSE_EEENSF_IJSE_SE_EEES9_SG_JZNS1_25segmented_radix_sort_implINS0_14default_configELb1EPKsPsPKlPlN2at6native12_GLOBAL__N_18offset_tEEE10hipError_tPvRmT1_PNSt15iterator_traitsISY_E10value_typeET2_T3_PNSZ_IS14_E10value_typeET4_jRbjT5_S1A_jjP12ihipStream_tbEUljE_EEESV_SW_SX_S14_S18_S1A_T6_T7_T9_mT8_S1C_bDpT10_ENKUlT_T0_E_clISt17integral_constantIbLb0EES1O_IbLb1EEEEDaS1K_S1L_EUlS1K_E_NS1_11comp_targetILNS1_3genE3ELNS1_11target_archE908ELNS1_3gpuE7ELNS1_3repE0EEENS1_30default_config_static_selectorELNS0_4arch9wavefront6targetE1EEEvSY_.uses_flat_scratch, 0
	.set _ZN7rocprim17ROCPRIM_400000_NS6detail17trampoline_kernelINS0_13select_configILj256ELj13ELNS0_17block_load_methodE3ELS4_3ELS4_3ELNS0_20block_scan_algorithmE0ELj4294967295EEENS1_25partition_config_selectorILNS1_17partition_subalgoE3EjNS0_10empty_typeEbEEZZNS1_14partition_implILS8_3ELb0ES6_jNS0_17counting_iteratorIjlEEPS9_SE_NS0_5tupleIJPjSE_EEENSF_IJSE_SE_EEES9_SG_JZNS1_25segmented_radix_sort_implINS0_14default_configELb1EPKsPsPKlPlN2at6native12_GLOBAL__N_18offset_tEEE10hipError_tPvRmT1_PNSt15iterator_traitsISY_E10value_typeET2_T3_PNSZ_IS14_E10value_typeET4_jRbjT5_S1A_jjP12ihipStream_tbEUljE_EEESV_SW_SX_S14_S18_S1A_T6_T7_T9_mT8_S1C_bDpT10_ENKUlT_T0_E_clISt17integral_constantIbLb0EES1O_IbLb1EEEEDaS1K_S1L_EUlS1K_E_NS1_11comp_targetILNS1_3genE3ELNS1_11target_archE908ELNS1_3gpuE7ELNS1_3repE0EEENS1_30default_config_static_selectorELNS0_4arch9wavefront6targetE1EEEvSY_.has_dyn_sized_stack, 0
	.set _ZN7rocprim17ROCPRIM_400000_NS6detail17trampoline_kernelINS0_13select_configILj256ELj13ELNS0_17block_load_methodE3ELS4_3ELS4_3ELNS0_20block_scan_algorithmE0ELj4294967295EEENS1_25partition_config_selectorILNS1_17partition_subalgoE3EjNS0_10empty_typeEbEEZZNS1_14partition_implILS8_3ELb0ES6_jNS0_17counting_iteratorIjlEEPS9_SE_NS0_5tupleIJPjSE_EEENSF_IJSE_SE_EEES9_SG_JZNS1_25segmented_radix_sort_implINS0_14default_configELb1EPKsPsPKlPlN2at6native12_GLOBAL__N_18offset_tEEE10hipError_tPvRmT1_PNSt15iterator_traitsISY_E10value_typeET2_T3_PNSZ_IS14_E10value_typeET4_jRbjT5_S1A_jjP12ihipStream_tbEUljE_EEESV_SW_SX_S14_S18_S1A_T6_T7_T9_mT8_S1C_bDpT10_ENKUlT_T0_E_clISt17integral_constantIbLb0EES1O_IbLb1EEEEDaS1K_S1L_EUlS1K_E_NS1_11comp_targetILNS1_3genE3ELNS1_11target_archE908ELNS1_3gpuE7ELNS1_3repE0EEENS1_30default_config_static_selectorELNS0_4arch9wavefront6targetE1EEEvSY_.has_recursion, 0
	.set _ZN7rocprim17ROCPRIM_400000_NS6detail17trampoline_kernelINS0_13select_configILj256ELj13ELNS0_17block_load_methodE3ELS4_3ELS4_3ELNS0_20block_scan_algorithmE0ELj4294967295EEENS1_25partition_config_selectorILNS1_17partition_subalgoE3EjNS0_10empty_typeEbEEZZNS1_14partition_implILS8_3ELb0ES6_jNS0_17counting_iteratorIjlEEPS9_SE_NS0_5tupleIJPjSE_EEENSF_IJSE_SE_EEES9_SG_JZNS1_25segmented_radix_sort_implINS0_14default_configELb1EPKsPsPKlPlN2at6native12_GLOBAL__N_18offset_tEEE10hipError_tPvRmT1_PNSt15iterator_traitsISY_E10value_typeET2_T3_PNSZ_IS14_E10value_typeET4_jRbjT5_S1A_jjP12ihipStream_tbEUljE_EEESV_SW_SX_S14_S18_S1A_T6_T7_T9_mT8_S1C_bDpT10_ENKUlT_T0_E_clISt17integral_constantIbLb0EES1O_IbLb1EEEEDaS1K_S1L_EUlS1K_E_NS1_11comp_targetILNS1_3genE3ELNS1_11target_archE908ELNS1_3gpuE7ELNS1_3repE0EEENS1_30default_config_static_selectorELNS0_4arch9wavefront6targetE1EEEvSY_.has_indirect_call, 0
	.section	.AMDGPU.csdata,"",@progbits
; Kernel info:
; codeLenInByte = 0
; TotalNumSgprs: 4
; NumVgprs: 0
; ScratchSize: 0
; MemoryBound: 0
; FloatMode: 240
; IeeeMode: 1
; LDSByteSize: 0 bytes/workgroup (compile time only)
; SGPRBlocks: 0
; VGPRBlocks: 0
; NumSGPRsForWavesPerEU: 4
; NumVGPRsForWavesPerEU: 1
; Occupancy: 10
; WaveLimiterHint : 0
; COMPUTE_PGM_RSRC2:SCRATCH_EN: 0
; COMPUTE_PGM_RSRC2:USER_SGPR: 6
; COMPUTE_PGM_RSRC2:TRAP_HANDLER: 0
; COMPUTE_PGM_RSRC2:TGID_X_EN: 1
; COMPUTE_PGM_RSRC2:TGID_Y_EN: 0
; COMPUTE_PGM_RSRC2:TGID_Z_EN: 0
; COMPUTE_PGM_RSRC2:TIDIG_COMP_CNT: 0
	.section	.text._ZN7rocprim17ROCPRIM_400000_NS6detail17trampoline_kernelINS0_13select_configILj256ELj13ELNS0_17block_load_methodE3ELS4_3ELS4_3ELNS0_20block_scan_algorithmE0ELj4294967295EEENS1_25partition_config_selectorILNS1_17partition_subalgoE3EjNS0_10empty_typeEbEEZZNS1_14partition_implILS8_3ELb0ES6_jNS0_17counting_iteratorIjlEEPS9_SE_NS0_5tupleIJPjSE_EEENSF_IJSE_SE_EEES9_SG_JZNS1_25segmented_radix_sort_implINS0_14default_configELb1EPKsPsPKlPlN2at6native12_GLOBAL__N_18offset_tEEE10hipError_tPvRmT1_PNSt15iterator_traitsISY_E10value_typeET2_T3_PNSZ_IS14_E10value_typeET4_jRbjT5_S1A_jjP12ihipStream_tbEUljE_EEESV_SW_SX_S14_S18_S1A_T6_T7_T9_mT8_S1C_bDpT10_ENKUlT_T0_E_clISt17integral_constantIbLb0EES1O_IbLb1EEEEDaS1K_S1L_EUlS1K_E_NS1_11comp_targetILNS1_3genE2ELNS1_11target_archE906ELNS1_3gpuE6ELNS1_3repE0EEENS1_30default_config_static_selectorELNS0_4arch9wavefront6targetE1EEEvSY_,"axG",@progbits,_ZN7rocprim17ROCPRIM_400000_NS6detail17trampoline_kernelINS0_13select_configILj256ELj13ELNS0_17block_load_methodE3ELS4_3ELS4_3ELNS0_20block_scan_algorithmE0ELj4294967295EEENS1_25partition_config_selectorILNS1_17partition_subalgoE3EjNS0_10empty_typeEbEEZZNS1_14partition_implILS8_3ELb0ES6_jNS0_17counting_iteratorIjlEEPS9_SE_NS0_5tupleIJPjSE_EEENSF_IJSE_SE_EEES9_SG_JZNS1_25segmented_radix_sort_implINS0_14default_configELb1EPKsPsPKlPlN2at6native12_GLOBAL__N_18offset_tEEE10hipError_tPvRmT1_PNSt15iterator_traitsISY_E10value_typeET2_T3_PNSZ_IS14_E10value_typeET4_jRbjT5_S1A_jjP12ihipStream_tbEUljE_EEESV_SW_SX_S14_S18_S1A_T6_T7_T9_mT8_S1C_bDpT10_ENKUlT_T0_E_clISt17integral_constantIbLb0EES1O_IbLb1EEEEDaS1K_S1L_EUlS1K_E_NS1_11comp_targetILNS1_3genE2ELNS1_11target_archE906ELNS1_3gpuE6ELNS1_3repE0EEENS1_30default_config_static_selectorELNS0_4arch9wavefront6targetE1EEEvSY_,comdat
	.globl	_ZN7rocprim17ROCPRIM_400000_NS6detail17trampoline_kernelINS0_13select_configILj256ELj13ELNS0_17block_load_methodE3ELS4_3ELS4_3ELNS0_20block_scan_algorithmE0ELj4294967295EEENS1_25partition_config_selectorILNS1_17partition_subalgoE3EjNS0_10empty_typeEbEEZZNS1_14partition_implILS8_3ELb0ES6_jNS0_17counting_iteratorIjlEEPS9_SE_NS0_5tupleIJPjSE_EEENSF_IJSE_SE_EEES9_SG_JZNS1_25segmented_radix_sort_implINS0_14default_configELb1EPKsPsPKlPlN2at6native12_GLOBAL__N_18offset_tEEE10hipError_tPvRmT1_PNSt15iterator_traitsISY_E10value_typeET2_T3_PNSZ_IS14_E10value_typeET4_jRbjT5_S1A_jjP12ihipStream_tbEUljE_EEESV_SW_SX_S14_S18_S1A_T6_T7_T9_mT8_S1C_bDpT10_ENKUlT_T0_E_clISt17integral_constantIbLb0EES1O_IbLb1EEEEDaS1K_S1L_EUlS1K_E_NS1_11comp_targetILNS1_3genE2ELNS1_11target_archE906ELNS1_3gpuE6ELNS1_3repE0EEENS1_30default_config_static_selectorELNS0_4arch9wavefront6targetE1EEEvSY_ ; -- Begin function _ZN7rocprim17ROCPRIM_400000_NS6detail17trampoline_kernelINS0_13select_configILj256ELj13ELNS0_17block_load_methodE3ELS4_3ELS4_3ELNS0_20block_scan_algorithmE0ELj4294967295EEENS1_25partition_config_selectorILNS1_17partition_subalgoE3EjNS0_10empty_typeEbEEZZNS1_14partition_implILS8_3ELb0ES6_jNS0_17counting_iteratorIjlEEPS9_SE_NS0_5tupleIJPjSE_EEENSF_IJSE_SE_EEES9_SG_JZNS1_25segmented_radix_sort_implINS0_14default_configELb1EPKsPsPKlPlN2at6native12_GLOBAL__N_18offset_tEEE10hipError_tPvRmT1_PNSt15iterator_traitsISY_E10value_typeET2_T3_PNSZ_IS14_E10value_typeET4_jRbjT5_S1A_jjP12ihipStream_tbEUljE_EEESV_SW_SX_S14_S18_S1A_T6_T7_T9_mT8_S1C_bDpT10_ENKUlT_T0_E_clISt17integral_constantIbLb0EES1O_IbLb1EEEEDaS1K_S1L_EUlS1K_E_NS1_11comp_targetILNS1_3genE2ELNS1_11target_archE906ELNS1_3gpuE6ELNS1_3repE0EEENS1_30default_config_static_selectorELNS0_4arch9wavefront6targetE1EEEvSY_
	.p2align	8
	.type	_ZN7rocprim17ROCPRIM_400000_NS6detail17trampoline_kernelINS0_13select_configILj256ELj13ELNS0_17block_load_methodE3ELS4_3ELS4_3ELNS0_20block_scan_algorithmE0ELj4294967295EEENS1_25partition_config_selectorILNS1_17partition_subalgoE3EjNS0_10empty_typeEbEEZZNS1_14partition_implILS8_3ELb0ES6_jNS0_17counting_iteratorIjlEEPS9_SE_NS0_5tupleIJPjSE_EEENSF_IJSE_SE_EEES9_SG_JZNS1_25segmented_radix_sort_implINS0_14default_configELb1EPKsPsPKlPlN2at6native12_GLOBAL__N_18offset_tEEE10hipError_tPvRmT1_PNSt15iterator_traitsISY_E10value_typeET2_T3_PNSZ_IS14_E10value_typeET4_jRbjT5_S1A_jjP12ihipStream_tbEUljE_EEESV_SW_SX_S14_S18_S1A_T6_T7_T9_mT8_S1C_bDpT10_ENKUlT_T0_E_clISt17integral_constantIbLb0EES1O_IbLb1EEEEDaS1K_S1L_EUlS1K_E_NS1_11comp_targetILNS1_3genE2ELNS1_11target_archE906ELNS1_3gpuE6ELNS1_3repE0EEENS1_30default_config_static_selectorELNS0_4arch9wavefront6targetE1EEEvSY_,@function
_ZN7rocprim17ROCPRIM_400000_NS6detail17trampoline_kernelINS0_13select_configILj256ELj13ELNS0_17block_load_methodE3ELS4_3ELS4_3ELNS0_20block_scan_algorithmE0ELj4294967295EEENS1_25partition_config_selectorILNS1_17partition_subalgoE3EjNS0_10empty_typeEbEEZZNS1_14partition_implILS8_3ELb0ES6_jNS0_17counting_iteratorIjlEEPS9_SE_NS0_5tupleIJPjSE_EEENSF_IJSE_SE_EEES9_SG_JZNS1_25segmented_radix_sort_implINS0_14default_configELb1EPKsPsPKlPlN2at6native12_GLOBAL__N_18offset_tEEE10hipError_tPvRmT1_PNSt15iterator_traitsISY_E10value_typeET2_T3_PNSZ_IS14_E10value_typeET4_jRbjT5_S1A_jjP12ihipStream_tbEUljE_EEESV_SW_SX_S14_S18_S1A_T6_T7_T9_mT8_S1C_bDpT10_ENKUlT_T0_E_clISt17integral_constantIbLb0EES1O_IbLb1EEEEDaS1K_S1L_EUlS1K_E_NS1_11comp_targetILNS1_3genE2ELNS1_11target_archE906ELNS1_3gpuE6ELNS1_3repE0EEENS1_30default_config_static_selectorELNS0_4arch9wavefront6targetE1EEEvSY_: ; @_ZN7rocprim17ROCPRIM_400000_NS6detail17trampoline_kernelINS0_13select_configILj256ELj13ELNS0_17block_load_methodE3ELS4_3ELS4_3ELNS0_20block_scan_algorithmE0ELj4294967295EEENS1_25partition_config_selectorILNS1_17partition_subalgoE3EjNS0_10empty_typeEbEEZZNS1_14partition_implILS8_3ELb0ES6_jNS0_17counting_iteratorIjlEEPS9_SE_NS0_5tupleIJPjSE_EEENSF_IJSE_SE_EEES9_SG_JZNS1_25segmented_radix_sort_implINS0_14default_configELb1EPKsPsPKlPlN2at6native12_GLOBAL__N_18offset_tEEE10hipError_tPvRmT1_PNSt15iterator_traitsISY_E10value_typeET2_T3_PNSZ_IS14_E10value_typeET4_jRbjT5_S1A_jjP12ihipStream_tbEUljE_EEESV_SW_SX_S14_S18_S1A_T6_T7_T9_mT8_S1C_bDpT10_ENKUlT_T0_E_clISt17integral_constantIbLb0EES1O_IbLb1EEEEDaS1K_S1L_EUlS1K_E_NS1_11comp_targetILNS1_3genE2ELNS1_11target_archE906ELNS1_3gpuE6ELNS1_3repE0EEENS1_30default_config_static_selectorELNS0_4arch9wavefront6targetE1EEEvSY_
; %bb.0:
	s_load_dwordx2 s[28:29], s[4:5], 0x10
	s_load_dwordx2 s[22:23], s[4:5], 0x28
	;; [unrolled: 1-line block ×3, first 2 shown]
	s_load_dwordx4 s[24:27], s[4:5], 0x48
	s_load_dword s14, s[4:5], 0x90
	s_load_dwordx2 s[34:35], s[4:5], 0x68
	s_load_dwordx4 s[8:11], s[4:5], 0x80
	v_cmp_eq_u32_e64 s[0:1], 0, v0
	s_and_saveexec_b64 s[2:3], s[0:1]
	s_cbranch_execz .LBB907_4
; %bb.1:
	s_mov_b64 s[12:13], exec
	v_mbcnt_lo_u32_b32 v1, s12, 0
	v_mbcnt_hi_u32_b32 v1, s13, v1
	v_cmp_eq_u32_e32 vcc, 0, v1
                                        ; implicit-def: $vgpr2
	s_and_saveexec_b64 s[6:7], vcc
	s_cbranch_execz .LBB907_3
; %bb.2:
	s_load_dwordx2 s[16:17], s[4:5], 0x78
	s_bcnt1_i32_b64 s12, s[12:13]
	v_mov_b32_e32 v2, 0
	v_mov_b32_e32 v3, s12
	s_waitcnt lgkmcnt(0)
	global_atomic_add v2, v2, v3, s[16:17] glc
.LBB907_3:
	s_or_b64 exec, exec, s[6:7]
	s_waitcnt vmcnt(0)
	v_readfirstlane_b32 s6, v2
	v_add_u32_e32 v1, s6, v1
	v_mov_b32_e32 v2, 0
	ds_write_b32 v2, v1
.LBB907_4:
	s_or_b64 exec, exec, s[2:3]
	v_mov_b32_e32 v1, 0
	s_load_dword s6, s[4:5], 0x8
	s_load_dword s2, s[4:5], 0x70
	s_waitcnt lgkmcnt(0)
	s_barrier
	ds_read_b32 v5, v1
	s_waitcnt lgkmcnt(0)
	s_barrier
	global_load_dwordx2 v[3:4], v1, s[26:27]
	s_add_i32 s4, s2, -1
	s_mulk_i32 s2, 0xd00
	s_add_i32 s3, s2, s28
	s_sub_i32 s33, s30, s3
	s_add_i32 s6, s6, s28
	s_addk_i32 s33, 0xd00
	s_add_u32 s2, s28, s2
	s_addc_u32 s3, s29, 0
	v_mov_b32_e32 v1, s2
	v_mov_b32_e32 v2, s3
	v_readfirstlane_b32 s43, v5
	v_cmp_gt_u64_e32 vcc, s[30:31], v[1:2]
	s_cmp_eq_u32 s43, s4
	v_cmp_ne_u32_e64 s[2:3], s4, v5
	s_cselect_b64 s[26:27], -1, 0
	s_or_b64 s[4:5], vcc, s[2:3]
	s_mul_i32 s42, s43, 0xd00
	s_mov_b64 s[2:3], -1
	s_and_b64 vcc, exec, s[4:5]
	v_lshlrev_b32_e32 v25, 2, v0
	s_cbranch_vccz .LBB907_6
; %bb.5:
	s_add_i32 s2, s42, s6
	v_add_u32_e32 v1, s2, v0
	v_add_u32_e32 v2, 0x100, v1
	;; [unrolled: 1-line block ×13, first 2 shown]
	ds_write2st64_b32 v25, v1, v2 offset1:4
	ds_write2st64_b32 v25, v5, v6 offset0:8 offset1:12
	ds_write2st64_b32 v25, v7, v8 offset0:16 offset1:20
	;; [unrolled: 1-line block ×5, first 2 shown]
	ds_write_b32 v25, v15 offset:12288
	s_waitcnt vmcnt(0) lgkmcnt(0)
	s_barrier
	s_mov_b64 s[2:3], 0
.LBB907_6:
	s_andn2_b64 vcc, exec, s[2:3]
	v_cmp_gt_u32_e64 s[2:3], s33, v0
	s_cbranch_vccnz .LBB907_8
; %bb.7:
	s_add_i32 s6, s42, s6
	v_or_b32_e32 v2, 0x100, v0
	v_add_u32_e32 v5, s6, v2
	v_cmp_gt_u32_e32 vcc, s33, v2
	v_cndmask_b32_e32 v2, 0, v5, vcc
	v_or_b32_e32 v5, 0x200, v0
	v_add_u32_e32 v6, s6, v5
	v_cmp_gt_u32_e32 vcc, s33, v5
	v_cndmask_b32_e32 v5, 0, v6, vcc
	;; [unrolled: 4-line block ×10, first 2 shown]
	v_or_b32_e32 v14, 0xb00, v0
	v_add_u32_e32 v15, s6, v14
	v_cmp_gt_u32_e32 vcc, s33, v14
	v_add_u32_e32 v1, s6, v0
	v_cndmask_b32_e32 v14, 0, v15, vcc
	v_or_b32_e32 v15, 0xc00, v0
	v_cndmask_b32_e64 v1, 0, v1, s[2:3]
	v_add_u32_e32 v16, s6, v15
	v_cmp_gt_u32_e32 vcc, s33, v15
	v_cndmask_b32_e32 v15, 0, v16, vcc
	ds_write2st64_b32 v25, v1, v2 offset1:4
	ds_write2st64_b32 v25, v5, v6 offset0:8 offset1:12
	ds_write2st64_b32 v25, v7, v8 offset0:16 offset1:20
	;; [unrolled: 1-line block ×5, first 2 shown]
	ds_write_b32 v25, v15 offset:12288
	s_waitcnt vmcnt(0) lgkmcnt(0)
	s_barrier
.LBB907_8:
	v_mul_u32_u24_e32 v27, 13, v0
	v_lshlrev_b32_e32 v1, 2, v27
	ds_read2_b32 v[15:16], v1 offset1:1
	ds_read2_b32 v[13:14], v1 offset0:2 offset1:3
	ds_read2_b32 v[11:12], v1 offset0:4 offset1:5
	;; [unrolled: 1-line block ×5, first 2 shown]
	ds_read_b32 v26, v1 offset:48
	v_cndmask_b32_e64 v1, 0, 1, s[4:5]
	v_cmp_ne_u32_e64 s[2:3], 1, v1
	s_andn2_b64 vcc, exec, s[4:5]
	s_waitcnt vmcnt(0) lgkmcnt(0)
	s_barrier
	s_cbranch_vccnz .LBB907_10
; %bb.9:
	v_add_u32_e32 v1, s9, v15
	v_add_u32_e32 v2, s11, v15
	v_mul_lo_u32 v1, v1, s8
	v_mul_lo_u32 v2, v2, s10
	v_add_u32_e32 v17, s9, v13
	v_add_u32_e32 v18, s11, v13
	v_mul_lo_u32 v17, v17, s8
	v_sub_u32_e32 v1, v1, v2
	v_cmp_lt_u32_e32 vcc, s14, v1
	v_add_u32_e32 v1, s9, v16
	v_add_u32_e32 v2, s11, v16
	v_mul_lo_u32 v1, v1, s8
	v_mul_lo_u32 v2, v2, s10
	;; [unrolled: 1-line block ×3, first 2 shown]
	v_cndmask_b32_e64 v28, 0, 1, vcc
	v_sub_u32_e32 v1, v1, v2
	v_cmp_lt_u32_e32 vcc, s14, v1
	v_sub_u32_e32 v1, v17, v18
	v_cndmask_b32_e64 v29, 0, 1, vcc
	v_cmp_lt_u32_e32 vcc, s14, v1
	v_add_u32_e32 v1, s9, v14
	v_add_u32_e32 v2, s11, v14
	v_mul_lo_u32 v1, v1, s8
	v_mul_lo_u32 v2, v2, s10
	v_add_u32_e32 v17, s9, v11
	v_add_u32_e32 v18, s11, v11
	v_mul_lo_u32 v17, v17, s8
	v_mul_lo_u32 v18, v18, s10
	v_sub_u32_e32 v1, v1, v2
	v_cndmask_b32_e64 v30, 0, 1, vcc
	v_cmp_lt_u32_e32 vcc, s14, v1
	v_sub_u32_e32 v1, v17, v18
	v_cndmask_b32_e64 v31, 0, 1, vcc
	v_cmp_lt_u32_e32 vcc, s14, v1
	v_add_u32_e32 v1, s9, v12
	v_add_u32_e32 v2, s11, v12
	v_mul_lo_u32 v1, v1, s8
	v_mul_lo_u32 v2, v2, s10
	v_add_u32_e32 v17, s9, v9
	v_add_u32_e32 v18, s11, v9
	v_mul_lo_u32 v17, v17, s8
	v_mul_lo_u32 v18, v18, s10
	v_sub_u32_e32 v1, v1, v2
	v_cndmask_b32_e64 v32, 0, 1, vcc
	;; [unrolled: 14-line block ×5, first 2 shown]
	v_cmp_lt_u32_e32 vcc, s14, v1
	v_sub_u32_e32 v1, v17, v18
	v_cndmask_b32_e64 v39, 0, 1, vcc
	v_cmp_lt_u32_e64 s[36:37], s14, v1
	s_cbranch_execz .LBB907_11
	s_branch .LBB907_38
.LBB907_10:
                                        ; implicit-def: $sgpr36_sgpr37
                                        ; implicit-def: $vgpr39
                                        ; implicit-def: $vgpr38
                                        ; implicit-def: $vgpr37
                                        ; implicit-def: $vgpr36
                                        ; implicit-def: $vgpr35
                                        ; implicit-def: $vgpr34
                                        ; implicit-def: $vgpr33
                                        ; implicit-def: $vgpr32
                                        ; implicit-def: $vgpr28
                                        ; implicit-def: $vgpr29
                                        ; implicit-def: $vgpr30
                                        ; implicit-def: $vgpr31
.LBB907_11:
	v_cmp_gt_u32_e32 vcc, s33, v27
	v_mov_b32_e32 v29, 0
	v_mov_b32_e32 v28, 0
	s_and_saveexec_b64 s[4:5], vcc
	s_cbranch_execz .LBB907_13
; %bb.12:
	v_add_u32_e32 v1, s9, v15
	v_add_u32_e32 v2, s11, v15
	v_mul_lo_u32 v1, v1, s8
	v_mul_lo_u32 v2, v2, s10
	v_sub_u32_e32 v1, v1, v2
	v_cmp_lt_u32_e32 vcc, s14, v1
	v_cndmask_b32_e64 v28, 0, 1, vcc
.LBB907_13:
	s_or_b64 exec, exec, s[4:5]
	v_add_u32_e32 v1, 1, v27
	v_cmp_gt_u32_e32 vcc, s33, v1
	s_and_saveexec_b64 s[4:5], vcc
	s_cbranch_execz .LBB907_15
; %bb.14:
	v_add_u32_e32 v1, s9, v16
	v_add_u32_e32 v2, s11, v16
	v_mul_lo_u32 v1, v1, s8
	v_mul_lo_u32 v2, v2, s10
	v_sub_u32_e32 v1, v1, v2
	v_cmp_lt_u32_e32 vcc, s14, v1
	v_cndmask_b32_e64 v29, 0, 1, vcc
.LBB907_15:
	s_or_b64 exec, exec, s[4:5]
	v_add_u32_e32 v1, 2, v27
	v_cmp_gt_u32_e32 vcc, s33, v1
	v_mov_b32_e32 v31, 0
	v_mov_b32_e32 v30, 0
	s_and_saveexec_b64 s[4:5], vcc
	s_cbranch_execz .LBB907_17
; %bb.16:
	v_add_u32_e32 v1, s9, v13
	v_add_u32_e32 v2, s11, v13
	v_mul_lo_u32 v1, v1, s8
	v_mul_lo_u32 v2, v2, s10
	v_sub_u32_e32 v1, v1, v2
	v_cmp_lt_u32_e32 vcc, s14, v1
	v_cndmask_b32_e64 v30, 0, 1, vcc
.LBB907_17:
	s_or_b64 exec, exec, s[4:5]
	v_add_u32_e32 v1, 3, v27
	v_cmp_gt_u32_e32 vcc, s33, v1
	s_and_saveexec_b64 s[4:5], vcc
	s_cbranch_execz .LBB907_19
; %bb.18:
	v_add_u32_e32 v1, s9, v14
	v_add_u32_e32 v2, s11, v14
	v_mul_lo_u32 v1, v1, s8
	v_mul_lo_u32 v2, v2, s10
	v_sub_u32_e32 v1, v1, v2
	v_cmp_lt_u32_e32 vcc, s14, v1
	v_cndmask_b32_e64 v31, 0, 1, vcc
.LBB907_19:
	s_or_b64 exec, exec, s[4:5]
	v_add_u32_e32 v1, 4, v27
	;; [unrolled: 30-line block ×6, first 2 shown]
	v_cmp_gt_u32_e32 vcc, s33, v1
	s_mov_b64 s[36:37], 0
	s_and_saveexec_b64 s[4:5], vcc
	s_cbranch_execz .LBB907_37
; %bb.36:
	v_add_u32_e32 v1, s9, v26
	v_add_u32_e32 v2, s11, v26
	v_mul_lo_u32 v1, v1, s8
	v_mul_lo_u32 v2, v2, s10
	v_sub_u32_e32 v1, v1, v2
	v_cmp_lt_u32_e32 vcc, s14, v1
	s_and_b64 s[36:37], vcc, exec
.LBB907_37:
	s_or_b64 exec, exec, s[4:5]
.LBB907_38:
	v_and_b32_e32 v42, 0xff, v29
	v_and_b32_e32 v43, 0xff, v30
	v_and_b32_e32 v44, 0xff, v31
	v_and_b32_e32 v41, 0xff, v28
	v_and_b32_e32 v45, 0xff, v32
	v_add3_u32 v2, v43, v44, v42
	v_and_b32_e32 v46, 0xff, v33
	v_and_b32_e32 v47, 0xff, v34
	v_add3_u32 v2, v2, v41, v45
	v_and_b32_e32 v48, 0xff, v35
	v_and_b32_e32 v49, 0xff, v36
	;; [unrolled: 3-line block ×3, first 2 shown]
	v_add3_u32 v2, v2, v48, v49
	v_and_b32_e32 v40, 0xff, v39
	v_cndmask_b32_e64 v1, 0, 1, s[36:37]
	v_add3_u32 v2, v2, v50, v51
	v_add3_u32 v54, v2, v40, v1
	v_mbcnt_lo_u32_b32 v1, -1, 0
	v_mbcnt_hi_u32_b32 v52, -1, v1
	v_and_b32_e32 v1, 15, v52
	v_cmp_eq_u32_e64 s[16:17], 0, v1
	v_cmp_lt_u32_e64 s[14:15], 1, v1
	v_cmp_lt_u32_e64 s[12:13], 3, v1
	;; [unrolled: 1-line block ×3, first 2 shown]
	v_and_b32_e32 v1, 16, v52
	v_cmp_eq_u32_e64 s[8:9], 0, v1
	v_or_b32_e32 v1, 63, v0
	s_cmp_lg_u32 s43, 0
	v_cmp_lt_u32_e64 s[4:5], 31, v52
	v_lshrrev_b32_e32 v53, 6, v0
	v_cmp_eq_u32_e64 s[6:7], v0, v1
	s_cbranch_scc0 .LBB907_60
; %bb.39:
	v_mov_b32_dpp v1, v54 row_shr:1 row_mask:0xf bank_mask:0xf
	v_cndmask_b32_e64 v1, v1, 0, s[16:17]
	v_add_u32_e32 v1, v1, v54
	s_nop 1
	v_mov_b32_dpp v2, v1 row_shr:2 row_mask:0xf bank_mask:0xf
	v_cndmask_b32_e64 v2, 0, v2, s[14:15]
	v_add_u32_e32 v1, v1, v2
	s_nop 1
	;; [unrolled: 4-line block ×4, first 2 shown]
	v_mov_b32_dpp v2, v1 row_bcast:15 row_mask:0xf bank_mask:0xf
	v_cndmask_b32_e64 v2, v2, 0, s[8:9]
	v_add_u32_e32 v1, v1, v2
	s_nop 1
	v_mov_b32_dpp v2, v1 row_bcast:31 row_mask:0xf bank_mask:0xf
	v_cndmask_b32_e64 v2, 0, v2, s[4:5]
	v_add_u32_e32 v1, v1, v2
	s_and_saveexec_b64 s[18:19], s[6:7]
; %bb.40:
	v_lshlrev_b32_e32 v2, 2, v53
	ds_write_b32 v2, v1
; %bb.41:
	s_or_b64 exec, exec, s[18:19]
	v_cmp_gt_u32_e32 vcc, 4, v0
	s_waitcnt lgkmcnt(0)
	s_barrier
	s_and_saveexec_b64 s[18:19], vcc
	s_cbranch_execz .LBB907_43
; %bb.42:
	ds_read_b32 v2, v25
	v_and_b32_e32 v17, 3, v52
	v_cmp_ne_u32_e32 vcc, 0, v17
	s_waitcnt lgkmcnt(0)
	v_mov_b32_dpp v18, v2 row_shr:1 row_mask:0xf bank_mask:0xf
	v_cndmask_b32_e32 v18, 0, v18, vcc
	v_add_u32_e32 v2, v18, v2
	v_cmp_lt_u32_e32 vcc, 1, v17
	s_nop 0
	v_mov_b32_dpp v18, v2 row_shr:2 row_mask:0xf bank_mask:0xf
	v_cndmask_b32_e32 v17, 0, v18, vcc
	v_add_u32_e32 v2, v2, v17
	ds_write_b32 v25, v2
.LBB907_43:
	s_or_b64 exec, exec, s[18:19]
	v_cmp_gt_u32_e32 vcc, 64, v0
	v_cmp_lt_u32_e64 s[18:19], 63, v0
	s_waitcnt lgkmcnt(0)
	s_barrier
                                        ; implicit-def: $vgpr55
	s_and_saveexec_b64 s[20:21], s[18:19]
	s_cbranch_execz .LBB907_45
; %bb.44:
	v_lshl_add_u32 v2, v53, 2, -4
	ds_read_b32 v55, v2
	s_waitcnt lgkmcnt(0)
	v_add_u32_e32 v1, v55, v1
.LBB907_45:
	s_or_b64 exec, exec, s[20:21]
	v_subrev_co_u32_e64 v2, s[18:19], 1, v52
	v_and_b32_e32 v17, 64, v52
	v_cmp_lt_i32_e64 s[20:21], v2, v17
	v_cndmask_b32_e64 v2, v2, v52, s[20:21]
	v_lshlrev_b32_e32 v2, 2, v2
	ds_bpermute_b32 v56, v2, v1
	s_and_saveexec_b64 s[20:21], vcc
	s_cbranch_execz .LBB907_65
; %bb.46:
	v_mov_b32_e32 v21, 0
	ds_read_b32 v1, v21 offset:12
	s_and_saveexec_b64 s[38:39], s[18:19]
	s_cbranch_execz .LBB907_48
; %bb.47:
	s_add_i32 s40, s43, 64
	s_mov_b32 s41, 0
	s_lshl_b64 s[40:41], s[40:41], 3
	s_add_u32 s40, s34, s40
	v_mov_b32_e32 v2, 1
	s_addc_u32 s41, s35, s41
	s_waitcnt lgkmcnt(0)
	global_store_dwordx2 v21, v[1:2], s[40:41]
.LBB907_48:
	s_or_b64 exec, exec, s[38:39]
	v_xad_u32 v17, v52, -1, s43
	v_add_u32_e32 v20, 64, v17
	v_lshlrev_b64 v[18:19], 3, v[20:21]
	v_mov_b32_e32 v2, s35
	v_add_co_u32_e32 v22, vcc, s34, v18
	v_addc_co_u32_e32 v23, vcc, v2, v19, vcc
	global_load_dwordx2 v[19:20], v[22:23], off glc
	s_waitcnt vmcnt(0)
	v_cmp_eq_u16_sdwa s[40:41], v20, v21 src0_sel:BYTE_0 src1_sel:DWORD
	s_and_saveexec_b64 s[38:39], s[40:41]
	s_cbranch_execz .LBB907_52
; %bb.49:
	s_mov_b64 s[40:41], 0
	v_mov_b32_e32 v2, 0
.LBB907_50:                             ; =>This Inner Loop Header: Depth=1
	global_load_dwordx2 v[19:20], v[22:23], off glc
	s_waitcnt vmcnt(0)
	v_cmp_ne_u16_sdwa s[44:45], v20, v2 src0_sel:BYTE_0 src1_sel:DWORD
	s_or_b64 s[40:41], s[44:45], s[40:41]
	s_andn2_b64 exec, exec, s[40:41]
	s_cbranch_execnz .LBB907_50
; %bb.51:
	s_or_b64 exec, exec, s[40:41]
.LBB907_52:
	s_or_b64 exec, exec, s[38:39]
	v_and_b32_e32 v58, 63, v52
	v_mov_b32_e32 v57, 2
	v_lshlrev_b64 v[21:22], v52, -1
	v_cmp_ne_u32_e32 vcc, 63, v58
	v_cmp_eq_u16_sdwa s[38:39], v20, v57 src0_sel:BYTE_0 src1_sel:DWORD
	v_addc_co_u32_e32 v23, vcc, 0, v52, vcc
	v_and_b32_e32 v2, s39, v22
	v_lshlrev_b32_e32 v59, 2, v23
	v_or_b32_e32 v2, 0x80000000, v2
	ds_bpermute_b32 v23, v59, v19
	v_and_b32_e32 v18, s38, v21
	v_ffbl_b32_e32 v2, v2
	v_add_u32_e32 v2, 32, v2
	v_ffbl_b32_e32 v18, v18
	v_min_u32_e32 v2, v18, v2
	v_cmp_lt_u32_e32 vcc, v58, v2
	s_waitcnt lgkmcnt(0)
	v_cndmask_b32_e32 v18, 0, v23, vcc
	v_cmp_gt_u32_e32 vcc, 62, v58
	v_add_u32_e32 v18, v18, v19
	v_cndmask_b32_e64 v19, 0, 2, vcc
	v_add_lshl_u32 v60, v19, v52, 2
	ds_bpermute_b32 v19, v60, v18
	v_add_u32_e32 v61, 2, v58
	v_cmp_le_u32_e32 vcc, v61, v2
	v_add_u32_e32 v63, 4, v58
	v_add_u32_e32 v65, 8, v58
	s_waitcnt lgkmcnt(0)
	v_cndmask_b32_e32 v19, 0, v19, vcc
	v_cmp_gt_u32_e32 vcc, 60, v58
	v_add_u32_e32 v18, v18, v19
	v_cndmask_b32_e64 v19, 0, 4, vcc
	v_add_lshl_u32 v62, v19, v52, 2
	ds_bpermute_b32 v19, v62, v18
	v_cmp_le_u32_e32 vcc, v63, v2
	v_add_u32_e32 v67, 16, v58
	v_add_u32_e32 v69, 32, v58
	s_waitcnt lgkmcnt(0)
	v_cndmask_b32_e32 v19, 0, v19, vcc
	v_cmp_gt_u32_e32 vcc, 56, v58
	v_add_u32_e32 v18, v18, v19
	v_cndmask_b32_e64 v19, 0, 8, vcc
	v_add_lshl_u32 v64, v19, v52, 2
	ds_bpermute_b32 v19, v64, v18
	v_cmp_le_u32_e32 vcc, v65, v2
	s_waitcnt lgkmcnt(0)
	v_cndmask_b32_e32 v19, 0, v19, vcc
	v_cmp_gt_u32_e32 vcc, 48, v58
	v_add_u32_e32 v18, v18, v19
	v_cndmask_b32_e64 v19, 0, 16, vcc
	v_add_lshl_u32 v66, v19, v52, 2
	ds_bpermute_b32 v19, v66, v18
	v_cmp_le_u32_e32 vcc, v67, v2
	s_waitcnt lgkmcnt(0)
	v_cndmask_b32_e32 v19, 0, v19, vcc
	v_add_u32_e32 v18, v18, v19
	v_mov_b32_e32 v19, 0x80
	v_lshl_or_b32 v68, v52, 2, v19
	ds_bpermute_b32 v19, v68, v18
	v_cmp_le_u32_e32 vcc, v69, v2
	s_waitcnt lgkmcnt(0)
	v_cndmask_b32_e32 v2, 0, v19, vcc
	v_add_u32_e32 v19, v18, v2
	v_mov_b32_e32 v18, 0
	s_branch .LBB907_56
.LBB907_53:                             ;   in Loop: Header=BB907_56 Depth=1
	s_or_b64 exec, exec, s[40:41]
.LBB907_54:                             ;   in Loop: Header=BB907_56 Depth=1
	s_or_b64 exec, exec, s[38:39]
	v_cmp_eq_u16_sdwa s[38:39], v20, v57 src0_sel:BYTE_0 src1_sel:DWORD
	v_and_b32_e32 v23, s39, v22
	v_or_b32_e32 v23, 0x80000000, v23
	ds_bpermute_b32 v70, v59, v19
	v_and_b32_e32 v24, s38, v21
	v_ffbl_b32_e32 v23, v23
	v_add_u32_e32 v23, 32, v23
	v_ffbl_b32_e32 v24, v24
	v_min_u32_e32 v23, v24, v23
	v_cmp_lt_u32_e32 vcc, v58, v23
	s_waitcnt lgkmcnt(0)
	v_cndmask_b32_e32 v24, 0, v70, vcc
	v_add_u32_e32 v19, v24, v19
	ds_bpermute_b32 v24, v60, v19
	v_cmp_le_u32_e32 vcc, v61, v23
	v_subrev_u32_e32 v17, 64, v17
	s_mov_b64 s[38:39], 0
	s_waitcnt lgkmcnt(0)
	v_cndmask_b32_e32 v24, 0, v24, vcc
	v_add_u32_e32 v19, v19, v24
	ds_bpermute_b32 v24, v62, v19
	v_cmp_le_u32_e32 vcc, v63, v23
	s_waitcnt lgkmcnt(0)
	v_cndmask_b32_e32 v24, 0, v24, vcc
	v_add_u32_e32 v19, v19, v24
	ds_bpermute_b32 v24, v64, v19
	v_cmp_le_u32_e32 vcc, v65, v23
	;; [unrolled: 5-line block ×4, first 2 shown]
	s_waitcnt lgkmcnt(0)
	v_cndmask_b32_e32 v23, 0, v24, vcc
	v_add3_u32 v19, v23, v2, v19
.LBB907_55:                             ;   in Loop: Header=BB907_56 Depth=1
	s_and_b64 vcc, exec, s[38:39]
	s_cbranch_vccnz .LBB907_61
.LBB907_56:                             ; =>This Loop Header: Depth=1
                                        ;     Child Loop BB907_59 Depth 2
	v_cmp_ne_u16_sdwa s[38:39], v20, v57 src0_sel:BYTE_0 src1_sel:DWORD
	v_mov_b32_e32 v2, v19
	s_cmp_lg_u64 s[38:39], exec
	s_mov_b64 s[38:39], -1
                                        ; implicit-def: $vgpr19
                                        ; implicit-def: $vgpr20
	s_cbranch_scc1 .LBB907_55
; %bb.57:                               ;   in Loop: Header=BB907_56 Depth=1
	v_lshlrev_b64 v[19:20], 3, v[17:18]
	v_mov_b32_e32 v24, s35
	v_add_co_u32_e32 v23, vcc, s34, v19
	v_addc_co_u32_e32 v24, vcc, v24, v20, vcc
	global_load_dwordx2 v[19:20], v[23:24], off glc
	s_waitcnt vmcnt(0)
	v_cmp_eq_u16_sdwa s[40:41], v20, v18 src0_sel:BYTE_0 src1_sel:DWORD
	s_and_saveexec_b64 s[38:39], s[40:41]
	s_cbranch_execz .LBB907_54
; %bb.58:                               ;   in Loop: Header=BB907_56 Depth=1
	s_mov_b64 s[40:41], 0
.LBB907_59:                             ;   Parent Loop BB907_56 Depth=1
                                        ; =>  This Inner Loop Header: Depth=2
	global_load_dwordx2 v[19:20], v[23:24], off glc
	s_waitcnt vmcnt(0)
	v_cmp_ne_u16_sdwa s[44:45], v20, v18 src0_sel:BYTE_0 src1_sel:DWORD
	s_or_b64 s[40:41], s[44:45], s[40:41]
	s_andn2_b64 exec, exec, s[40:41]
	s_cbranch_execnz .LBB907_59
	s_branch .LBB907_53
.LBB907_60:
                                        ; implicit-def: $vgpr2
                                        ; implicit-def: $vgpr17
	s_cbranch_execnz .LBB907_66
	s_branch .LBB907_75
.LBB907_61:
	s_and_saveexec_b64 s[38:39], s[18:19]
	s_cbranch_execz .LBB907_63
; %bb.62:
	s_add_i32 s40, s43, 64
	s_mov_b32 s41, 0
	s_lshl_b64 s[40:41], s[40:41], 3
	s_add_u32 s40, s34, s40
	v_add_u32_e32 v17, v2, v1
	v_mov_b32_e32 v18, 2
	s_addc_u32 s41, s35, s41
	v_mov_b32_e32 v19, 0
	global_store_dwordx2 v19, v[17:18], s[40:41]
	ds_write_b64 v19, v[1:2] offset:13312
.LBB907_63:
	s_or_b64 exec, exec, s[38:39]
	s_and_b64 exec, exec, s[0:1]
; %bb.64:
	v_mov_b32_e32 v1, 0
	ds_write_b32 v1, v2 offset:12
.LBB907_65:
	s_or_b64 exec, exec, s[20:21]
	v_mov_b32_e32 v1, 0
	s_waitcnt vmcnt(0) lgkmcnt(0)
	s_barrier
	ds_read_b32 v17, v1 offset:12
	s_waitcnt lgkmcnt(0)
	s_barrier
	ds_read_b64 v[1:2], v1 offset:13312
	v_cndmask_b32_e64 v18, v56, v55, s[18:19]
	v_cndmask_b32_e64 v18, v18, 0, s[0:1]
	v_add_u32_e32 v17, v17, v18
	s_branch .LBB907_75
.LBB907_66:
	s_waitcnt lgkmcnt(0)
	v_mov_b32_dpp v1, v54 row_shr:1 row_mask:0xf bank_mask:0xf
	v_cndmask_b32_e64 v1, v1, 0, s[16:17]
	v_add_u32_e32 v1, v1, v54
	s_nop 1
	v_mov_b32_dpp v2, v1 row_shr:2 row_mask:0xf bank_mask:0xf
	v_cndmask_b32_e64 v2, 0, v2, s[14:15]
	v_add_u32_e32 v1, v1, v2
	s_nop 1
	;; [unrolled: 4-line block ×4, first 2 shown]
	v_mov_b32_dpp v2, v1 row_bcast:15 row_mask:0xf bank_mask:0xf
	v_cndmask_b32_e64 v2, v2, 0, s[8:9]
	v_add_u32_e32 v1, v1, v2
	s_nop 1
	v_mov_b32_dpp v2, v1 row_bcast:31 row_mask:0xf bank_mask:0xf
	v_cndmask_b32_e64 v2, 0, v2, s[4:5]
	v_add_u32_e32 v1, v1, v2
	s_and_saveexec_b64 s[4:5], s[6:7]
; %bb.67:
	v_lshlrev_b32_e32 v2, 2, v53
	ds_write_b32 v2, v1
; %bb.68:
	s_or_b64 exec, exec, s[4:5]
	v_cmp_gt_u32_e32 vcc, 4, v0
	s_waitcnt lgkmcnt(0)
	s_barrier
	s_and_saveexec_b64 s[4:5], vcc
	s_cbranch_execz .LBB907_70
; %bb.69:
	ds_read_b32 v2, v25
	v_and_b32_e32 v17, 3, v52
	v_cmp_ne_u32_e32 vcc, 0, v17
	s_waitcnt lgkmcnt(0)
	v_mov_b32_dpp v18, v2 row_shr:1 row_mask:0xf bank_mask:0xf
	v_cndmask_b32_e32 v18, 0, v18, vcc
	v_add_u32_e32 v2, v18, v2
	v_cmp_lt_u32_e32 vcc, 1, v17
	s_nop 0
	v_mov_b32_dpp v18, v2 row_shr:2 row_mask:0xf bank_mask:0xf
	v_cndmask_b32_e32 v17, 0, v18, vcc
	v_add_u32_e32 v2, v2, v17
	ds_write_b32 v25, v2
.LBB907_70:
	s_or_b64 exec, exec, s[4:5]
	v_cmp_lt_u32_e32 vcc, 63, v0
	v_mov_b32_e32 v2, 0
	v_mov_b32_e32 v17, 0
	s_waitcnt lgkmcnt(0)
	s_barrier
	s_and_saveexec_b64 s[4:5], vcc
; %bb.71:
	v_lshl_add_u32 v17, v53, 2, -4
	ds_read_b32 v17, v17
; %bb.72:
	s_or_b64 exec, exec, s[4:5]
	v_subrev_co_u32_e32 v18, vcc, 1, v52
	v_and_b32_e32 v19, 64, v52
	v_cmp_lt_i32_e64 s[4:5], v18, v19
	v_cndmask_b32_e64 v18, v18, v52, s[4:5]
	s_waitcnt lgkmcnt(0)
	v_add_u32_e32 v1, v17, v1
	v_lshlrev_b32_e32 v18, 2, v18
	ds_bpermute_b32 v18, v18, v1
	ds_read_b32 v1, v2 offset:12
	s_and_saveexec_b64 s[4:5], s[0:1]
	s_cbranch_execz .LBB907_74
; %bb.73:
	v_mov_b32_e32 v19, 0
	v_mov_b32_e32 v2, 2
	s_waitcnt lgkmcnt(0)
	global_store_dwordx2 v19, v[1:2], s[34:35] offset:512
.LBB907_74:
	s_or_b64 exec, exec, s[4:5]
	s_waitcnt lgkmcnt(1)
	v_cndmask_b32_e32 v2, v18, v17, vcc
	v_cndmask_b32_e64 v17, v2, 0, s[0:1]
	s_waitcnt vmcnt(0) lgkmcnt(0)
	s_barrier
	v_mov_b32_e32 v2, 0
.LBB907_75:
	v_add_u32_e32 v18, v17, v41
	v_add_u32_e32 v19, v18, v42
	;; [unrolled: 1-line block ×4, first 2 shown]
	s_waitcnt lgkmcnt(0)
	v_add_u32_e32 v27, v1, v27
	v_sub_u32_e32 v17, v17, v2
	v_and_b32_e32 v28, 1, v28
	v_add_u32_e32 v22, v21, v45
	v_sub_u32_e32 v45, v27, v17
	v_cmp_eq_u32_e32 vcc, 1, v28
	v_cndmask_b32_e32 v17, v45, v17, vcc
	v_lshlrev_b32_e32 v17, 2, v17
	ds_write_b32 v17, v15
	v_sub_u32_e32 v15, v18, v2
	v_sub_u32_e32 v17, v27, v15
	v_and_b32_e32 v18, 1, v29
	v_add_u32_e32 v17, 1, v17
	v_cmp_eq_u32_e32 vcc, 1, v18
	v_cndmask_b32_e32 v15, v17, v15, vcc
	v_lshlrev_b32_e32 v15, 2, v15
	ds_write_b32 v15, v16
	v_sub_u32_e32 v15, v19, v2
	v_sub_u32_e32 v16, v27, v15
	v_and_b32_e32 v17, 1, v30
	v_add_u32_e32 v16, 2, v16
	;; [unrolled: 8-line block ×5, first 2 shown]
	v_cmp_eq_u32_e32 vcc, 1, v14
	v_cndmask_b32_e32 v11, v13, v11, vcc
	v_add_u32_e32 v23, v22, v46
	v_lshlrev_b32_e32 v11, 2, v11
	ds_write_b32 v11, v12
	v_sub_u32_e32 v11, v23, v2
	v_sub_u32_e32 v12, v27, v11
	v_and_b32_e32 v13, 1, v34
	v_add_u32_e32 v12, 6, v12
	v_cmp_eq_u32_e32 vcc, 1, v13
	v_cndmask_b32_e32 v11, v12, v11, vcc
	v_add_u32_e32 v24, v23, v47
	v_lshlrev_b32_e32 v11, 2, v11
	ds_write_b32 v11, v9
	v_sub_u32_e32 v9, v24, v2
	v_sub_u32_e32 v11, v27, v9
	v_and_b32_e32 v12, 1, v35
	v_add_u32_e32 v11, 7, v11
	;; [unrolled: 9-line block ×6, first 2 shown]
	v_cmp_eq_u32_e32 vcc, 1, v8
	v_cndmask_b32_e32 v5, v7, v5, vcc
	v_lshlrev_b32_e32 v5, 2, v5
	ds_write_b32 v5, v6
	v_sub_u32_e32 v5, v40, v2
	v_add_u32_e32 v5, v44, v5
	v_sub_u32_e32 v6, v27, v5
	v_add_u32_e32 v6, 12, v6
	v_cndmask_b32_e64 v5, v6, v5, s[36:37]
	v_lshlrev_b32_e32 v5, 2, v5
	ds_write_b32 v5, v26
	s_waitcnt lgkmcnt(0)
	s_barrier
	ds_read2st64_b32 v[15:16], v25 offset1:4
	ds_read2st64_b32 v[13:14], v25 offset0:8 offset1:12
	ds_read2st64_b32 v[11:12], v25 offset0:16 offset1:20
	;; [unrolled: 1-line block ×5, first 2 shown]
	ds_read_b32 v18, v25 offset:12288
	s_and_b64 vcc, exec, s[2:3]
	v_add_co_u32_e64 v17, s[2:3], v3, v2
	v_or_b32_e32 v32, 0x100, v0
	v_or_b32_e32 v30, 0x200, v0
	;; [unrolled: 1-line block ×12, first 2 shown]
	v_addc_co_u32_e64 v4, s[2:3], 0, v4, s[2:3]
	s_cbranch_vccnz .LBB907_132
; %bb.76:
	v_mov_b32_e32 v2, s29
	v_subrev_co_u32_e32 v3, vcc, s28, v17
	s_sub_u32 s2, s30, s42
	v_subb_co_u32_e32 v2, vcc, v4, v2, vcc
	s_subb_u32 s3, s31, 0
	v_mov_b32_e32 v25, s3
	v_add_co_u32_e32 v31, vcc, s2, v1
	v_addc_co_u32_e32 v33, vcc, 0, v25, vcc
	v_add_co_u32_e32 v25, vcc, v31, v3
	v_addc_co_u32_e32 v31, vcc, v33, v2, vcc
	v_cmp_ge_u32_e32 vcc, v0, v1
                                        ; implicit-def: $vgpr2_vgpr3
	s_and_saveexec_b64 s[2:3], vcc
	s_xor_b64 s[2:3], exec, s[2:3]
; %bb.77:
	v_not_b32_e32 v2, v0
	v_ashrrev_i32_e32 v3, 31, v2
	v_add_co_u32_e32 v2, vcc, v25, v2
	v_addc_co_u32_e32 v3, vcc, v31, v3, vcc
; %bb.78:
	s_andn2_saveexec_b64 s[2:3], s[2:3]
; %bb.79:
	v_add_co_u32_e32 v2, vcc, v17, v0
	v_addc_co_u32_e32 v3, vcc, 0, v4, vcc
; %bb.80:
	s_or_b64 exec, exec, s[2:3]
	v_lshlrev_b64 v[2:3], 2, v[2:3]
	v_mov_b32_e32 v33, s23
	v_add_co_u32_e32 v2, vcc, s22, v2
	v_addc_co_u32_e32 v3, vcc, v33, v3, vcc
	v_cmp_ge_u32_e32 vcc, v32, v1
	s_waitcnt lgkmcnt(6)
	global_store_dword v[2:3], v15, off
                                        ; implicit-def: $vgpr2_vgpr3
	s_and_saveexec_b64 s[2:3], vcc
	s_xor_b64 s[2:3], exec, s[2:3]
; %bb.81:
	v_xor_b32_e32 v2, 0xfffffeff, v0
	v_ashrrev_i32_e32 v3, 31, v2
	v_add_co_u32_e32 v2, vcc, v25, v2
	v_addc_co_u32_e32 v3, vcc, v31, v3, vcc
; %bb.82:
	s_andn2_saveexec_b64 s[2:3], s[2:3]
; %bb.83:
	v_add_co_u32_e32 v2, vcc, v17, v32
	v_addc_co_u32_e32 v3, vcc, 0, v4, vcc
; %bb.84:
	s_or_b64 exec, exec, s[2:3]
	v_lshlrev_b64 v[2:3], 2, v[2:3]
	v_mov_b32_e32 v33, s23
	v_add_co_u32_e32 v2, vcc, s22, v2
	v_addc_co_u32_e32 v3, vcc, v33, v3, vcc
	v_cmp_ge_u32_e32 vcc, v30, v1
	global_store_dword v[2:3], v16, off
                                        ; implicit-def: $vgpr2_vgpr3
	s_and_saveexec_b64 s[2:3], vcc
	s_xor_b64 s[2:3], exec, s[2:3]
; %bb.85:
	v_xor_b32_e32 v2, 0xfffffdff, v0
	v_ashrrev_i32_e32 v3, 31, v2
	v_add_co_u32_e32 v2, vcc, v25, v2
	v_addc_co_u32_e32 v3, vcc, v31, v3, vcc
; %bb.86:
	s_andn2_saveexec_b64 s[2:3], s[2:3]
; %bb.87:
	v_add_co_u32_e32 v2, vcc, v17, v30
	v_addc_co_u32_e32 v3, vcc, 0, v4, vcc
; %bb.88:
	s_or_b64 exec, exec, s[2:3]
	v_lshlrev_b64 v[2:3], 2, v[2:3]
	v_mov_b32_e32 v33, s23
	v_add_co_u32_e32 v2, vcc, s22, v2
	v_addc_co_u32_e32 v3, vcc, v33, v3, vcc
	v_cmp_ge_u32_e32 vcc, v29, v1
	s_waitcnt lgkmcnt(5)
	global_store_dword v[2:3], v13, off
                                        ; implicit-def: $vgpr2_vgpr3
	s_and_saveexec_b64 s[2:3], vcc
	s_xor_b64 s[2:3], exec, s[2:3]
; %bb.89:
	v_xor_b32_e32 v2, 0xfffffcff, v0
	v_ashrrev_i32_e32 v3, 31, v2
	v_add_co_u32_e32 v2, vcc, v25, v2
	v_addc_co_u32_e32 v3, vcc, v31, v3, vcc
; %bb.90:
	s_andn2_saveexec_b64 s[2:3], s[2:3]
; %bb.91:
	v_add_co_u32_e32 v2, vcc, v17, v29
	v_addc_co_u32_e32 v3, vcc, 0, v4, vcc
; %bb.92:
	s_or_b64 exec, exec, s[2:3]
	v_lshlrev_b64 v[2:3], 2, v[2:3]
	v_mov_b32_e32 v33, s23
	v_add_co_u32_e32 v2, vcc, s22, v2
	v_addc_co_u32_e32 v3, vcc, v33, v3, vcc
	v_cmp_ge_u32_e32 vcc, v28, v1
	global_store_dword v[2:3], v14, off
                                        ; implicit-def: $vgpr2_vgpr3
	s_and_saveexec_b64 s[2:3], vcc
	s_xor_b64 s[2:3], exec, s[2:3]
; %bb.93:
	v_xor_b32_e32 v2, 0xfffffbff, v0
	;; [unrolled: 43-line block ×6, first 2 shown]
	v_ashrrev_i32_e32 v3, 31, v2
	v_add_co_u32_e32 v2, vcc, v25, v2
	v_addc_co_u32_e32 v3, vcc, v31, v3, vcc
; %bb.126:
	s_andn2_saveexec_b64 s[2:3], s[2:3]
; %bb.127:
	v_add_co_u32_e32 v2, vcc, v17, v19
	v_addc_co_u32_e32 v3, vcc, 0, v4, vcc
; %bb.128:
	s_or_b64 exec, exec, s[2:3]
	s_mov_b64 s[2:3], -1
.LBB907_129:
	s_and_saveexec_b64 s[4:5], s[2:3]
	s_cbranch_execz .LBB907_212
.LBB907_130:
	v_lshlrev_b64 v[2:3], 2, v[2:3]
	v_mov_b32_e32 v0, s23
	v_add_co_u32_e32 v2, vcc, s22, v2
	v_addc_co_u32_e32 v3, vcc, v0, v3, vcc
	s_waitcnt lgkmcnt(0)
	global_store_dword v[2:3], v18, off
	s_or_b64 exec, exec, s[4:5]
	s_and_b64 s[0:1], s[0:1], s[26:27]
	s_and_saveexec_b64 s[2:3], s[0:1]
	s_cbranch_execnz .LBB907_213
.LBB907_131:
	s_endpgm
.LBB907_132:
	s_mov_b64 s[2:3], 0
                                        ; implicit-def: $vgpr2_vgpr3
	s_cbranch_execz .LBB907_129
; %bb.133:
	s_add_u32 s4, s28, s42
	s_addc_u32 s5, s29, 0
	s_sub_u32 s4, s30, s4
	s_subb_u32 s5, s31, s5
	v_mov_b32_e32 v2, s5
	v_add_co_u32_e32 v3, vcc, s4, v1
	v_addc_co_u32_e32 v2, vcc, 0, v2, vcc
	v_add_co_u32_e32 v25, vcc, v3, v17
	v_addc_co_u32_e32 v31, vcc, v2, v4, vcc
	v_cmp_gt_u32_e32 vcc, s33, v0
	s_and_saveexec_b64 s[4:5], vcc
	s_cbranch_execz .LBB907_169
; %bb.134:
	v_cmp_ge_u32_e32 vcc, v0, v1
                                        ; implicit-def: $vgpr2_vgpr3
	s_and_saveexec_b64 s[6:7], vcc
	s_xor_b64 s[6:7], exec, s[6:7]
; %bb.135:
	v_not_b32_e32 v2, v0
	v_ashrrev_i32_e32 v3, 31, v2
	v_add_co_u32_e32 v2, vcc, v25, v2
	v_addc_co_u32_e32 v3, vcc, v31, v3, vcc
; %bb.136:
	s_andn2_saveexec_b64 s[6:7], s[6:7]
; %bb.137:
	v_add_co_u32_e32 v2, vcc, v17, v0
	v_addc_co_u32_e32 v3, vcc, 0, v4, vcc
; %bb.138:
	s_or_b64 exec, exec, s[6:7]
	v_lshlrev_b64 v[2:3], 2, v[2:3]
	v_mov_b32_e32 v33, s23
	v_add_co_u32_e32 v2, vcc, s22, v2
	v_addc_co_u32_e32 v3, vcc, v33, v3, vcc
	s_waitcnt lgkmcnt(6)
	global_store_dword v[2:3], v15, off
	s_or_b64 exec, exec, s[4:5]
	v_cmp_gt_u32_e32 vcc, s33, v32
	s_and_saveexec_b64 s[4:5], vcc
	s_cbranch_execnz .LBB907_170
.LBB907_139:
	s_or_b64 exec, exec, s[4:5]
	v_cmp_gt_u32_e32 vcc, s33, v30
	s_and_saveexec_b64 s[4:5], vcc
	s_cbranch_execz .LBB907_175
.LBB907_140:
	v_cmp_ge_u32_e32 vcc, v30, v1
                                        ; implicit-def: $vgpr2_vgpr3
	s_and_saveexec_b64 s[6:7], vcc
	s_xor_b64 s[6:7], exec, s[6:7]
; %bb.141:
	v_xor_b32_e32 v2, 0xfffffdff, v0
	v_ashrrev_i32_e32 v3, 31, v2
	v_add_co_u32_e32 v2, vcc, v25, v2
	v_addc_co_u32_e32 v3, vcc, v31, v3, vcc
                                        ; implicit-def: $vgpr30
; %bb.142:
	s_andn2_saveexec_b64 s[6:7], s[6:7]
; %bb.143:
	v_add_co_u32_e32 v2, vcc, v17, v30
	v_addc_co_u32_e32 v3, vcc, 0, v4, vcc
; %bb.144:
	s_or_b64 exec, exec, s[6:7]
	v_lshlrev_b64 v[2:3], 2, v[2:3]
	s_waitcnt lgkmcnt(6)
	v_mov_b32_e32 v15, s23
	v_add_co_u32_e32 v2, vcc, s22, v2
	v_addc_co_u32_e32 v3, vcc, v15, v3, vcc
	s_waitcnt lgkmcnt(5)
	global_store_dword v[2:3], v13, off
	s_or_b64 exec, exec, s[4:5]
	v_cmp_gt_u32_e32 vcc, s33, v29
	s_and_saveexec_b64 s[4:5], vcc
	s_cbranch_execnz .LBB907_176
.LBB907_145:
	s_or_b64 exec, exec, s[4:5]
	v_cmp_gt_u32_e32 vcc, s33, v28
	s_and_saveexec_b64 s[4:5], vcc
	s_cbranch_execz .LBB907_181
.LBB907_146:
	v_cmp_ge_u32_e32 vcc, v28, v1
                                        ; implicit-def: $vgpr2_vgpr3
	s_and_saveexec_b64 s[6:7], vcc
	s_xor_b64 s[6:7], exec, s[6:7]
; %bb.147:
	v_xor_b32_e32 v2, 0xfffffbff, v0
	v_ashrrev_i32_e32 v3, 31, v2
	v_add_co_u32_e32 v2, vcc, v25, v2
	v_addc_co_u32_e32 v3, vcc, v31, v3, vcc
                                        ; implicit-def: $vgpr28
; %bb.148:
	s_andn2_saveexec_b64 s[6:7], s[6:7]
; %bb.149:
	v_add_co_u32_e32 v2, vcc, v17, v28
	v_addc_co_u32_e32 v3, vcc, 0, v4, vcc
; %bb.150:
	s_or_b64 exec, exec, s[6:7]
	v_lshlrev_b64 v[2:3], 2, v[2:3]
	s_waitcnt lgkmcnt(5)
	v_mov_b32_e32 v13, s23
	v_add_co_u32_e32 v2, vcc, s22, v2
	v_addc_co_u32_e32 v3, vcc, v13, v3, vcc
	s_waitcnt lgkmcnt(4)
	global_store_dword v[2:3], v11, off
	s_or_b64 exec, exec, s[4:5]
	v_cmp_gt_u32_e32 vcc, s33, v27
	s_and_saveexec_b64 s[4:5], vcc
	s_cbranch_execnz .LBB907_182
.LBB907_151:
	s_or_b64 exec, exec, s[4:5]
	v_cmp_gt_u32_e32 vcc, s33, v26
	s_and_saveexec_b64 s[4:5], vcc
	s_cbranch_execz .LBB907_187
.LBB907_152:
	v_cmp_ge_u32_e32 vcc, v26, v1
                                        ; implicit-def: $vgpr2_vgpr3
	s_and_saveexec_b64 s[6:7], vcc
	s_xor_b64 s[6:7], exec, s[6:7]
; %bb.153:
	v_xor_b32_e32 v2, 0xfffff9ff, v0
	v_ashrrev_i32_e32 v3, 31, v2
	v_add_co_u32_e32 v2, vcc, v25, v2
	v_addc_co_u32_e32 v3, vcc, v31, v3, vcc
                                        ; implicit-def: $vgpr26
; %bb.154:
	s_andn2_saveexec_b64 s[6:7], s[6:7]
; %bb.155:
	v_add_co_u32_e32 v2, vcc, v17, v26
	v_addc_co_u32_e32 v3, vcc, 0, v4, vcc
; %bb.156:
	s_or_b64 exec, exec, s[6:7]
	v_lshlrev_b64 v[2:3], 2, v[2:3]
	s_waitcnt lgkmcnt(4)
	v_mov_b32_e32 v11, s23
	v_add_co_u32_e32 v2, vcc, s22, v2
	v_addc_co_u32_e32 v3, vcc, v11, v3, vcc
	s_waitcnt lgkmcnt(3)
	global_store_dword v[2:3], v9, off
	s_or_b64 exec, exec, s[4:5]
	v_cmp_gt_u32_e32 vcc, s33, v24
	s_and_saveexec_b64 s[4:5], vcc
	s_cbranch_execnz .LBB907_188
.LBB907_157:
	s_or_b64 exec, exec, s[4:5]
	v_cmp_gt_u32_e32 vcc, s33, v23
	s_and_saveexec_b64 s[4:5], vcc
	s_cbranch_execz .LBB907_193
.LBB907_158:
	v_cmp_ge_u32_e32 vcc, v23, v1
                                        ; implicit-def: $vgpr2_vgpr3
	s_and_saveexec_b64 s[6:7], vcc
	s_xor_b64 s[6:7], exec, s[6:7]
; %bb.159:
	v_xor_b32_e32 v2, 0xfffff7ff, v0
	v_ashrrev_i32_e32 v3, 31, v2
	v_add_co_u32_e32 v2, vcc, v25, v2
	v_addc_co_u32_e32 v3, vcc, v31, v3, vcc
                                        ; implicit-def: $vgpr23
; %bb.160:
	s_andn2_saveexec_b64 s[6:7], s[6:7]
; %bb.161:
	v_add_co_u32_e32 v2, vcc, v17, v23
	v_addc_co_u32_e32 v3, vcc, 0, v4, vcc
; %bb.162:
	s_or_b64 exec, exec, s[6:7]
	v_lshlrev_b64 v[2:3], 2, v[2:3]
	s_waitcnt lgkmcnt(3)
	v_mov_b32_e32 v9, s23
	v_add_co_u32_e32 v2, vcc, s22, v2
	v_addc_co_u32_e32 v3, vcc, v9, v3, vcc
	s_waitcnt lgkmcnt(2)
	global_store_dword v[2:3], v7, off
	s_or_b64 exec, exec, s[4:5]
	v_cmp_gt_u32_e32 vcc, s33, v22
	s_and_saveexec_b64 s[4:5], vcc
	s_cbranch_execnz .LBB907_194
.LBB907_163:
	s_or_b64 exec, exec, s[4:5]
	v_cmp_gt_u32_e32 vcc, s33, v21
	s_and_saveexec_b64 s[4:5], vcc
	s_cbranch_execz .LBB907_199
.LBB907_164:
	v_cmp_ge_u32_e32 vcc, v21, v1
                                        ; implicit-def: $vgpr2_vgpr3
	s_and_saveexec_b64 s[6:7], vcc
	s_xor_b64 s[6:7], exec, s[6:7]
; %bb.165:
	v_xor_b32_e32 v2, 0xfffff5ff, v0
	v_ashrrev_i32_e32 v3, 31, v2
	v_add_co_u32_e32 v2, vcc, v25, v2
	v_addc_co_u32_e32 v3, vcc, v31, v3, vcc
                                        ; implicit-def: $vgpr21
; %bb.166:
	s_andn2_saveexec_b64 s[6:7], s[6:7]
; %bb.167:
	v_add_co_u32_e32 v2, vcc, v17, v21
	v_addc_co_u32_e32 v3, vcc, 0, v4, vcc
; %bb.168:
	s_or_b64 exec, exec, s[6:7]
	v_lshlrev_b64 v[2:3], 2, v[2:3]
	s_waitcnt lgkmcnt(2)
	v_mov_b32_e32 v7, s23
	v_add_co_u32_e32 v2, vcc, s22, v2
	v_addc_co_u32_e32 v3, vcc, v7, v3, vcc
	s_waitcnt lgkmcnt(1)
	global_store_dword v[2:3], v5, off
	s_or_b64 exec, exec, s[4:5]
	v_cmp_gt_u32_e32 vcc, s33, v20
	s_and_saveexec_b64 s[4:5], vcc
	s_cbranch_execz .LBB907_205
	s_branch .LBB907_200
.LBB907_169:
	s_or_b64 exec, exec, s[4:5]
	v_cmp_gt_u32_e32 vcc, s33, v32
	s_and_saveexec_b64 s[4:5], vcc
	s_cbranch_execz .LBB907_139
.LBB907_170:
	v_cmp_ge_u32_e32 vcc, v32, v1
                                        ; implicit-def: $vgpr2_vgpr3
	s_and_saveexec_b64 s[6:7], vcc
	s_xor_b64 s[6:7], exec, s[6:7]
; %bb.171:
	v_xor_b32_e32 v2, 0xfffffeff, v0
	v_ashrrev_i32_e32 v3, 31, v2
	v_add_co_u32_e32 v2, vcc, v25, v2
	v_addc_co_u32_e32 v3, vcc, v31, v3, vcc
                                        ; implicit-def: $vgpr32
; %bb.172:
	s_andn2_saveexec_b64 s[6:7], s[6:7]
; %bb.173:
	v_add_co_u32_e32 v2, vcc, v17, v32
	v_addc_co_u32_e32 v3, vcc, 0, v4, vcc
; %bb.174:
	s_or_b64 exec, exec, s[6:7]
	v_lshlrev_b64 v[2:3], 2, v[2:3]
	s_waitcnt lgkmcnt(6)
	v_mov_b32_e32 v15, s23
	v_add_co_u32_e32 v2, vcc, s22, v2
	v_addc_co_u32_e32 v3, vcc, v15, v3, vcc
	global_store_dword v[2:3], v16, off
	s_or_b64 exec, exec, s[4:5]
	v_cmp_gt_u32_e32 vcc, s33, v30
	s_and_saveexec_b64 s[4:5], vcc
	s_cbranch_execnz .LBB907_140
.LBB907_175:
	s_or_b64 exec, exec, s[4:5]
	v_cmp_gt_u32_e32 vcc, s33, v29
	s_and_saveexec_b64 s[4:5], vcc
	s_cbranch_execz .LBB907_145
.LBB907_176:
	v_cmp_ge_u32_e32 vcc, v29, v1
                                        ; implicit-def: $vgpr2_vgpr3
	s_and_saveexec_b64 s[6:7], vcc
	s_xor_b64 s[6:7], exec, s[6:7]
; %bb.177:
	v_xor_b32_e32 v2, 0xfffffcff, v0
	v_ashrrev_i32_e32 v3, 31, v2
	v_add_co_u32_e32 v2, vcc, v25, v2
	v_addc_co_u32_e32 v3, vcc, v31, v3, vcc
                                        ; implicit-def: $vgpr29
; %bb.178:
	s_andn2_saveexec_b64 s[6:7], s[6:7]
; %bb.179:
	v_add_co_u32_e32 v2, vcc, v17, v29
	v_addc_co_u32_e32 v3, vcc, 0, v4, vcc
; %bb.180:
	s_or_b64 exec, exec, s[6:7]
	v_lshlrev_b64 v[2:3], 2, v[2:3]
	s_waitcnt lgkmcnt(5)
	v_mov_b32_e32 v13, s23
	v_add_co_u32_e32 v2, vcc, s22, v2
	v_addc_co_u32_e32 v3, vcc, v13, v3, vcc
	global_store_dword v[2:3], v14, off
	s_or_b64 exec, exec, s[4:5]
	v_cmp_gt_u32_e32 vcc, s33, v28
	s_and_saveexec_b64 s[4:5], vcc
	s_cbranch_execnz .LBB907_146
.LBB907_181:
	s_or_b64 exec, exec, s[4:5]
	v_cmp_gt_u32_e32 vcc, s33, v27
	s_and_saveexec_b64 s[4:5], vcc
	s_cbranch_execz .LBB907_151
.LBB907_182:
	v_cmp_ge_u32_e32 vcc, v27, v1
                                        ; implicit-def: $vgpr2_vgpr3
	s_and_saveexec_b64 s[6:7], vcc
	s_xor_b64 s[6:7], exec, s[6:7]
; %bb.183:
	v_xor_b32_e32 v2, 0xfffffaff, v0
	v_ashrrev_i32_e32 v3, 31, v2
	v_add_co_u32_e32 v2, vcc, v25, v2
	v_addc_co_u32_e32 v3, vcc, v31, v3, vcc
                                        ; implicit-def: $vgpr27
; %bb.184:
	s_andn2_saveexec_b64 s[6:7], s[6:7]
; %bb.185:
	v_add_co_u32_e32 v2, vcc, v17, v27
	v_addc_co_u32_e32 v3, vcc, 0, v4, vcc
; %bb.186:
	s_or_b64 exec, exec, s[6:7]
	v_lshlrev_b64 v[2:3], 2, v[2:3]
	s_waitcnt lgkmcnt(4)
	v_mov_b32_e32 v11, s23
	v_add_co_u32_e32 v2, vcc, s22, v2
	v_addc_co_u32_e32 v3, vcc, v11, v3, vcc
	global_store_dword v[2:3], v12, off
	s_or_b64 exec, exec, s[4:5]
	v_cmp_gt_u32_e32 vcc, s33, v26
	s_and_saveexec_b64 s[4:5], vcc
	s_cbranch_execnz .LBB907_152
.LBB907_187:
	s_or_b64 exec, exec, s[4:5]
	v_cmp_gt_u32_e32 vcc, s33, v24
	s_and_saveexec_b64 s[4:5], vcc
	s_cbranch_execz .LBB907_157
.LBB907_188:
	v_cmp_ge_u32_e32 vcc, v24, v1
                                        ; implicit-def: $vgpr2_vgpr3
	s_and_saveexec_b64 s[6:7], vcc
	s_xor_b64 s[6:7], exec, s[6:7]
; %bb.189:
	v_xor_b32_e32 v2, 0xfffff8ff, v0
	v_ashrrev_i32_e32 v3, 31, v2
	v_add_co_u32_e32 v2, vcc, v25, v2
	v_addc_co_u32_e32 v3, vcc, v31, v3, vcc
                                        ; implicit-def: $vgpr24
; %bb.190:
	s_andn2_saveexec_b64 s[6:7], s[6:7]
; %bb.191:
	v_add_co_u32_e32 v2, vcc, v17, v24
	v_addc_co_u32_e32 v3, vcc, 0, v4, vcc
; %bb.192:
	s_or_b64 exec, exec, s[6:7]
	v_lshlrev_b64 v[2:3], 2, v[2:3]
	s_waitcnt lgkmcnt(3)
	v_mov_b32_e32 v9, s23
	v_add_co_u32_e32 v2, vcc, s22, v2
	v_addc_co_u32_e32 v3, vcc, v9, v3, vcc
	global_store_dword v[2:3], v10, off
	s_or_b64 exec, exec, s[4:5]
	v_cmp_gt_u32_e32 vcc, s33, v23
	s_and_saveexec_b64 s[4:5], vcc
	s_cbranch_execnz .LBB907_158
.LBB907_193:
	s_or_b64 exec, exec, s[4:5]
	v_cmp_gt_u32_e32 vcc, s33, v22
	s_and_saveexec_b64 s[4:5], vcc
	s_cbranch_execz .LBB907_163
.LBB907_194:
	v_cmp_ge_u32_e32 vcc, v22, v1
                                        ; implicit-def: $vgpr2_vgpr3
	s_and_saveexec_b64 s[6:7], vcc
	s_xor_b64 s[6:7], exec, s[6:7]
; %bb.195:
	v_xor_b32_e32 v2, 0xfffff6ff, v0
	v_ashrrev_i32_e32 v3, 31, v2
	v_add_co_u32_e32 v2, vcc, v25, v2
	v_addc_co_u32_e32 v3, vcc, v31, v3, vcc
                                        ; implicit-def: $vgpr22
; %bb.196:
	s_andn2_saveexec_b64 s[6:7], s[6:7]
; %bb.197:
	v_add_co_u32_e32 v2, vcc, v17, v22
	v_addc_co_u32_e32 v3, vcc, 0, v4, vcc
; %bb.198:
	s_or_b64 exec, exec, s[6:7]
	v_lshlrev_b64 v[2:3], 2, v[2:3]
	s_waitcnt lgkmcnt(2)
	v_mov_b32_e32 v7, s23
	v_add_co_u32_e32 v2, vcc, s22, v2
	v_addc_co_u32_e32 v3, vcc, v7, v3, vcc
	global_store_dword v[2:3], v8, off
	s_or_b64 exec, exec, s[4:5]
	v_cmp_gt_u32_e32 vcc, s33, v21
	s_and_saveexec_b64 s[4:5], vcc
	s_cbranch_execnz .LBB907_164
.LBB907_199:
	s_or_b64 exec, exec, s[4:5]
	v_cmp_gt_u32_e32 vcc, s33, v20
	s_and_saveexec_b64 s[4:5], vcc
	s_cbranch_execz .LBB907_205
.LBB907_200:
	v_cmp_ge_u32_e32 vcc, v20, v1
                                        ; implicit-def: $vgpr2_vgpr3
	s_and_saveexec_b64 s[6:7], vcc
	s_xor_b64 s[6:7], exec, s[6:7]
; %bb.201:
	v_xor_b32_e32 v2, 0xfffff4ff, v0
	v_ashrrev_i32_e32 v3, 31, v2
	v_add_co_u32_e32 v2, vcc, v25, v2
	v_addc_co_u32_e32 v3, vcc, v31, v3, vcc
                                        ; implicit-def: $vgpr20
; %bb.202:
	s_andn2_saveexec_b64 s[6:7], s[6:7]
; %bb.203:
	v_add_co_u32_e32 v2, vcc, v17, v20
	v_addc_co_u32_e32 v3, vcc, 0, v4, vcc
; %bb.204:
	s_or_b64 exec, exec, s[6:7]
	v_lshlrev_b64 v[2:3], 2, v[2:3]
	s_waitcnt lgkmcnt(1)
	v_mov_b32_e32 v5, s23
	v_add_co_u32_e32 v2, vcc, s22, v2
	v_addc_co_u32_e32 v3, vcc, v5, v3, vcc
	global_store_dword v[2:3], v6, off
.LBB907_205:
	s_or_b64 exec, exec, s[4:5]
	v_cmp_gt_u32_e32 vcc, s33, v19
                                        ; implicit-def: $vgpr2_vgpr3
	s_and_saveexec_b64 s[4:5], vcc
	s_cbranch_execz .LBB907_211
; %bb.206:
	v_cmp_ge_u32_e32 vcc, v19, v1
                                        ; implicit-def: $vgpr2_vgpr3
	s_and_saveexec_b64 s[6:7], vcc
	s_xor_b64 s[6:7], exec, s[6:7]
; %bb.207:
	v_xor_b32_e32 v0, 0xfffff3ff, v0
	v_ashrrev_i32_e32 v3, 31, v0
	v_add_co_u32_e32 v2, vcc, v25, v0
	v_addc_co_u32_e32 v3, vcc, v31, v3, vcc
                                        ; implicit-def: $vgpr19
; %bb.208:
	s_andn2_saveexec_b64 s[6:7], s[6:7]
; %bb.209:
	v_add_co_u32_e32 v2, vcc, v17, v19
	v_addc_co_u32_e32 v3, vcc, 0, v4, vcc
; %bb.210:
	s_or_b64 exec, exec, s[6:7]
	s_or_b64 s[2:3], s[2:3], exec
.LBB907_211:
	s_or_b64 exec, exec, s[4:5]
	s_and_saveexec_b64 s[4:5], s[2:3]
	s_cbranch_execnz .LBB907_130
.LBB907_212:
	s_or_b64 exec, exec, s[4:5]
	s_and_b64 s[0:1], s[0:1], s[26:27]
	s_and_saveexec_b64 s[2:3], s[0:1]
	s_cbranch_execz .LBB907_131
.LBB907_213:
	v_add_co_u32_e32 v0, vcc, v17, v1
	v_mov_b32_e32 v2, 0
	v_addc_co_u32_e32 v1, vcc, 0, v4, vcc
	global_store_dwordx2 v2, v[0:1], s[24:25]
	s_endpgm
	.section	.rodata,"a",@progbits
	.p2align	6, 0x0
	.amdhsa_kernel _ZN7rocprim17ROCPRIM_400000_NS6detail17trampoline_kernelINS0_13select_configILj256ELj13ELNS0_17block_load_methodE3ELS4_3ELS4_3ELNS0_20block_scan_algorithmE0ELj4294967295EEENS1_25partition_config_selectorILNS1_17partition_subalgoE3EjNS0_10empty_typeEbEEZZNS1_14partition_implILS8_3ELb0ES6_jNS0_17counting_iteratorIjlEEPS9_SE_NS0_5tupleIJPjSE_EEENSF_IJSE_SE_EEES9_SG_JZNS1_25segmented_radix_sort_implINS0_14default_configELb1EPKsPsPKlPlN2at6native12_GLOBAL__N_18offset_tEEE10hipError_tPvRmT1_PNSt15iterator_traitsISY_E10value_typeET2_T3_PNSZ_IS14_E10value_typeET4_jRbjT5_S1A_jjP12ihipStream_tbEUljE_EEESV_SW_SX_S14_S18_S1A_T6_T7_T9_mT8_S1C_bDpT10_ENKUlT_T0_E_clISt17integral_constantIbLb0EES1O_IbLb1EEEEDaS1K_S1L_EUlS1K_E_NS1_11comp_targetILNS1_3genE2ELNS1_11target_archE906ELNS1_3gpuE6ELNS1_3repE0EEENS1_30default_config_static_selectorELNS0_4arch9wavefront6targetE1EEEvSY_
		.amdhsa_group_segment_fixed_size 13320
		.amdhsa_private_segment_fixed_size 0
		.amdhsa_kernarg_size 152
		.amdhsa_user_sgpr_count 6
		.amdhsa_user_sgpr_private_segment_buffer 1
		.amdhsa_user_sgpr_dispatch_ptr 0
		.amdhsa_user_sgpr_queue_ptr 0
		.amdhsa_user_sgpr_kernarg_segment_ptr 1
		.amdhsa_user_sgpr_dispatch_id 0
		.amdhsa_user_sgpr_flat_scratch_init 0
		.amdhsa_user_sgpr_private_segment_size 0
		.amdhsa_uses_dynamic_stack 0
		.amdhsa_system_sgpr_private_segment_wavefront_offset 0
		.amdhsa_system_sgpr_workgroup_id_x 1
		.amdhsa_system_sgpr_workgroup_id_y 0
		.amdhsa_system_sgpr_workgroup_id_z 0
		.amdhsa_system_sgpr_workgroup_info 0
		.amdhsa_system_vgpr_workitem_id 0
		.amdhsa_next_free_vgpr 71
		.amdhsa_next_free_sgpr 98
		.amdhsa_reserve_vcc 1
		.amdhsa_reserve_flat_scratch 0
		.amdhsa_float_round_mode_32 0
		.amdhsa_float_round_mode_16_64 0
		.amdhsa_float_denorm_mode_32 3
		.amdhsa_float_denorm_mode_16_64 3
		.amdhsa_dx10_clamp 1
		.amdhsa_ieee_mode 1
		.amdhsa_fp16_overflow 0
		.amdhsa_exception_fp_ieee_invalid_op 0
		.amdhsa_exception_fp_denorm_src 0
		.amdhsa_exception_fp_ieee_div_zero 0
		.amdhsa_exception_fp_ieee_overflow 0
		.amdhsa_exception_fp_ieee_underflow 0
		.amdhsa_exception_fp_ieee_inexact 0
		.amdhsa_exception_int_div_zero 0
	.end_amdhsa_kernel
	.section	.text._ZN7rocprim17ROCPRIM_400000_NS6detail17trampoline_kernelINS0_13select_configILj256ELj13ELNS0_17block_load_methodE3ELS4_3ELS4_3ELNS0_20block_scan_algorithmE0ELj4294967295EEENS1_25partition_config_selectorILNS1_17partition_subalgoE3EjNS0_10empty_typeEbEEZZNS1_14partition_implILS8_3ELb0ES6_jNS0_17counting_iteratorIjlEEPS9_SE_NS0_5tupleIJPjSE_EEENSF_IJSE_SE_EEES9_SG_JZNS1_25segmented_radix_sort_implINS0_14default_configELb1EPKsPsPKlPlN2at6native12_GLOBAL__N_18offset_tEEE10hipError_tPvRmT1_PNSt15iterator_traitsISY_E10value_typeET2_T3_PNSZ_IS14_E10value_typeET4_jRbjT5_S1A_jjP12ihipStream_tbEUljE_EEESV_SW_SX_S14_S18_S1A_T6_T7_T9_mT8_S1C_bDpT10_ENKUlT_T0_E_clISt17integral_constantIbLb0EES1O_IbLb1EEEEDaS1K_S1L_EUlS1K_E_NS1_11comp_targetILNS1_3genE2ELNS1_11target_archE906ELNS1_3gpuE6ELNS1_3repE0EEENS1_30default_config_static_selectorELNS0_4arch9wavefront6targetE1EEEvSY_,"axG",@progbits,_ZN7rocprim17ROCPRIM_400000_NS6detail17trampoline_kernelINS0_13select_configILj256ELj13ELNS0_17block_load_methodE3ELS4_3ELS4_3ELNS0_20block_scan_algorithmE0ELj4294967295EEENS1_25partition_config_selectorILNS1_17partition_subalgoE3EjNS0_10empty_typeEbEEZZNS1_14partition_implILS8_3ELb0ES6_jNS0_17counting_iteratorIjlEEPS9_SE_NS0_5tupleIJPjSE_EEENSF_IJSE_SE_EEES9_SG_JZNS1_25segmented_radix_sort_implINS0_14default_configELb1EPKsPsPKlPlN2at6native12_GLOBAL__N_18offset_tEEE10hipError_tPvRmT1_PNSt15iterator_traitsISY_E10value_typeET2_T3_PNSZ_IS14_E10value_typeET4_jRbjT5_S1A_jjP12ihipStream_tbEUljE_EEESV_SW_SX_S14_S18_S1A_T6_T7_T9_mT8_S1C_bDpT10_ENKUlT_T0_E_clISt17integral_constantIbLb0EES1O_IbLb1EEEEDaS1K_S1L_EUlS1K_E_NS1_11comp_targetILNS1_3genE2ELNS1_11target_archE906ELNS1_3gpuE6ELNS1_3repE0EEENS1_30default_config_static_selectorELNS0_4arch9wavefront6targetE1EEEvSY_,comdat
.Lfunc_end907:
	.size	_ZN7rocprim17ROCPRIM_400000_NS6detail17trampoline_kernelINS0_13select_configILj256ELj13ELNS0_17block_load_methodE3ELS4_3ELS4_3ELNS0_20block_scan_algorithmE0ELj4294967295EEENS1_25partition_config_selectorILNS1_17partition_subalgoE3EjNS0_10empty_typeEbEEZZNS1_14partition_implILS8_3ELb0ES6_jNS0_17counting_iteratorIjlEEPS9_SE_NS0_5tupleIJPjSE_EEENSF_IJSE_SE_EEES9_SG_JZNS1_25segmented_radix_sort_implINS0_14default_configELb1EPKsPsPKlPlN2at6native12_GLOBAL__N_18offset_tEEE10hipError_tPvRmT1_PNSt15iterator_traitsISY_E10value_typeET2_T3_PNSZ_IS14_E10value_typeET4_jRbjT5_S1A_jjP12ihipStream_tbEUljE_EEESV_SW_SX_S14_S18_S1A_T6_T7_T9_mT8_S1C_bDpT10_ENKUlT_T0_E_clISt17integral_constantIbLb0EES1O_IbLb1EEEEDaS1K_S1L_EUlS1K_E_NS1_11comp_targetILNS1_3genE2ELNS1_11target_archE906ELNS1_3gpuE6ELNS1_3repE0EEENS1_30default_config_static_selectorELNS0_4arch9wavefront6targetE1EEEvSY_, .Lfunc_end907-_ZN7rocprim17ROCPRIM_400000_NS6detail17trampoline_kernelINS0_13select_configILj256ELj13ELNS0_17block_load_methodE3ELS4_3ELS4_3ELNS0_20block_scan_algorithmE0ELj4294967295EEENS1_25partition_config_selectorILNS1_17partition_subalgoE3EjNS0_10empty_typeEbEEZZNS1_14partition_implILS8_3ELb0ES6_jNS0_17counting_iteratorIjlEEPS9_SE_NS0_5tupleIJPjSE_EEENSF_IJSE_SE_EEES9_SG_JZNS1_25segmented_radix_sort_implINS0_14default_configELb1EPKsPsPKlPlN2at6native12_GLOBAL__N_18offset_tEEE10hipError_tPvRmT1_PNSt15iterator_traitsISY_E10value_typeET2_T3_PNSZ_IS14_E10value_typeET4_jRbjT5_S1A_jjP12ihipStream_tbEUljE_EEESV_SW_SX_S14_S18_S1A_T6_T7_T9_mT8_S1C_bDpT10_ENKUlT_T0_E_clISt17integral_constantIbLb0EES1O_IbLb1EEEEDaS1K_S1L_EUlS1K_E_NS1_11comp_targetILNS1_3genE2ELNS1_11target_archE906ELNS1_3gpuE6ELNS1_3repE0EEENS1_30default_config_static_selectorELNS0_4arch9wavefront6targetE1EEEvSY_
                                        ; -- End function
	.set _ZN7rocprim17ROCPRIM_400000_NS6detail17trampoline_kernelINS0_13select_configILj256ELj13ELNS0_17block_load_methodE3ELS4_3ELS4_3ELNS0_20block_scan_algorithmE0ELj4294967295EEENS1_25partition_config_selectorILNS1_17partition_subalgoE3EjNS0_10empty_typeEbEEZZNS1_14partition_implILS8_3ELb0ES6_jNS0_17counting_iteratorIjlEEPS9_SE_NS0_5tupleIJPjSE_EEENSF_IJSE_SE_EEES9_SG_JZNS1_25segmented_radix_sort_implINS0_14default_configELb1EPKsPsPKlPlN2at6native12_GLOBAL__N_18offset_tEEE10hipError_tPvRmT1_PNSt15iterator_traitsISY_E10value_typeET2_T3_PNSZ_IS14_E10value_typeET4_jRbjT5_S1A_jjP12ihipStream_tbEUljE_EEESV_SW_SX_S14_S18_S1A_T6_T7_T9_mT8_S1C_bDpT10_ENKUlT_T0_E_clISt17integral_constantIbLb0EES1O_IbLb1EEEEDaS1K_S1L_EUlS1K_E_NS1_11comp_targetILNS1_3genE2ELNS1_11target_archE906ELNS1_3gpuE6ELNS1_3repE0EEENS1_30default_config_static_selectorELNS0_4arch9wavefront6targetE1EEEvSY_.num_vgpr, 71
	.set _ZN7rocprim17ROCPRIM_400000_NS6detail17trampoline_kernelINS0_13select_configILj256ELj13ELNS0_17block_load_methodE3ELS4_3ELS4_3ELNS0_20block_scan_algorithmE0ELj4294967295EEENS1_25partition_config_selectorILNS1_17partition_subalgoE3EjNS0_10empty_typeEbEEZZNS1_14partition_implILS8_3ELb0ES6_jNS0_17counting_iteratorIjlEEPS9_SE_NS0_5tupleIJPjSE_EEENSF_IJSE_SE_EEES9_SG_JZNS1_25segmented_radix_sort_implINS0_14default_configELb1EPKsPsPKlPlN2at6native12_GLOBAL__N_18offset_tEEE10hipError_tPvRmT1_PNSt15iterator_traitsISY_E10value_typeET2_T3_PNSZ_IS14_E10value_typeET4_jRbjT5_S1A_jjP12ihipStream_tbEUljE_EEESV_SW_SX_S14_S18_S1A_T6_T7_T9_mT8_S1C_bDpT10_ENKUlT_T0_E_clISt17integral_constantIbLb0EES1O_IbLb1EEEEDaS1K_S1L_EUlS1K_E_NS1_11comp_targetILNS1_3genE2ELNS1_11target_archE906ELNS1_3gpuE6ELNS1_3repE0EEENS1_30default_config_static_selectorELNS0_4arch9wavefront6targetE1EEEvSY_.num_agpr, 0
	.set _ZN7rocprim17ROCPRIM_400000_NS6detail17trampoline_kernelINS0_13select_configILj256ELj13ELNS0_17block_load_methodE3ELS4_3ELS4_3ELNS0_20block_scan_algorithmE0ELj4294967295EEENS1_25partition_config_selectorILNS1_17partition_subalgoE3EjNS0_10empty_typeEbEEZZNS1_14partition_implILS8_3ELb0ES6_jNS0_17counting_iteratorIjlEEPS9_SE_NS0_5tupleIJPjSE_EEENSF_IJSE_SE_EEES9_SG_JZNS1_25segmented_radix_sort_implINS0_14default_configELb1EPKsPsPKlPlN2at6native12_GLOBAL__N_18offset_tEEE10hipError_tPvRmT1_PNSt15iterator_traitsISY_E10value_typeET2_T3_PNSZ_IS14_E10value_typeET4_jRbjT5_S1A_jjP12ihipStream_tbEUljE_EEESV_SW_SX_S14_S18_S1A_T6_T7_T9_mT8_S1C_bDpT10_ENKUlT_T0_E_clISt17integral_constantIbLb0EES1O_IbLb1EEEEDaS1K_S1L_EUlS1K_E_NS1_11comp_targetILNS1_3genE2ELNS1_11target_archE906ELNS1_3gpuE6ELNS1_3repE0EEENS1_30default_config_static_selectorELNS0_4arch9wavefront6targetE1EEEvSY_.numbered_sgpr, 46
	.set _ZN7rocprim17ROCPRIM_400000_NS6detail17trampoline_kernelINS0_13select_configILj256ELj13ELNS0_17block_load_methodE3ELS4_3ELS4_3ELNS0_20block_scan_algorithmE0ELj4294967295EEENS1_25partition_config_selectorILNS1_17partition_subalgoE3EjNS0_10empty_typeEbEEZZNS1_14partition_implILS8_3ELb0ES6_jNS0_17counting_iteratorIjlEEPS9_SE_NS0_5tupleIJPjSE_EEENSF_IJSE_SE_EEES9_SG_JZNS1_25segmented_radix_sort_implINS0_14default_configELb1EPKsPsPKlPlN2at6native12_GLOBAL__N_18offset_tEEE10hipError_tPvRmT1_PNSt15iterator_traitsISY_E10value_typeET2_T3_PNSZ_IS14_E10value_typeET4_jRbjT5_S1A_jjP12ihipStream_tbEUljE_EEESV_SW_SX_S14_S18_S1A_T6_T7_T9_mT8_S1C_bDpT10_ENKUlT_T0_E_clISt17integral_constantIbLb0EES1O_IbLb1EEEEDaS1K_S1L_EUlS1K_E_NS1_11comp_targetILNS1_3genE2ELNS1_11target_archE906ELNS1_3gpuE6ELNS1_3repE0EEENS1_30default_config_static_selectorELNS0_4arch9wavefront6targetE1EEEvSY_.num_named_barrier, 0
	.set _ZN7rocprim17ROCPRIM_400000_NS6detail17trampoline_kernelINS0_13select_configILj256ELj13ELNS0_17block_load_methodE3ELS4_3ELS4_3ELNS0_20block_scan_algorithmE0ELj4294967295EEENS1_25partition_config_selectorILNS1_17partition_subalgoE3EjNS0_10empty_typeEbEEZZNS1_14partition_implILS8_3ELb0ES6_jNS0_17counting_iteratorIjlEEPS9_SE_NS0_5tupleIJPjSE_EEENSF_IJSE_SE_EEES9_SG_JZNS1_25segmented_radix_sort_implINS0_14default_configELb1EPKsPsPKlPlN2at6native12_GLOBAL__N_18offset_tEEE10hipError_tPvRmT1_PNSt15iterator_traitsISY_E10value_typeET2_T3_PNSZ_IS14_E10value_typeET4_jRbjT5_S1A_jjP12ihipStream_tbEUljE_EEESV_SW_SX_S14_S18_S1A_T6_T7_T9_mT8_S1C_bDpT10_ENKUlT_T0_E_clISt17integral_constantIbLb0EES1O_IbLb1EEEEDaS1K_S1L_EUlS1K_E_NS1_11comp_targetILNS1_3genE2ELNS1_11target_archE906ELNS1_3gpuE6ELNS1_3repE0EEENS1_30default_config_static_selectorELNS0_4arch9wavefront6targetE1EEEvSY_.private_seg_size, 0
	.set _ZN7rocprim17ROCPRIM_400000_NS6detail17trampoline_kernelINS0_13select_configILj256ELj13ELNS0_17block_load_methodE3ELS4_3ELS4_3ELNS0_20block_scan_algorithmE0ELj4294967295EEENS1_25partition_config_selectorILNS1_17partition_subalgoE3EjNS0_10empty_typeEbEEZZNS1_14partition_implILS8_3ELb0ES6_jNS0_17counting_iteratorIjlEEPS9_SE_NS0_5tupleIJPjSE_EEENSF_IJSE_SE_EEES9_SG_JZNS1_25segmented_radix_sort_implINS0_14default_configELb1EPKsPsPKlPlN2at6native12_GLOBAL__N_18offset_tEEE10hipError_tPvRmT1_PNSt15iterator_traitsISY_E10value_typeET2_T3_PNSZ_IS14_E10value_typeET4_jRbjT5_S1A_jjP12ihipStream_tbEUljE_EEESV_SW_SX_S14_S18_S1A_T6_T7_T9_mT8_S1C_bDpT10_ENKUlT_T0_E_clISt17integral_constantIbLb0EES1O_IbLb1EEEEDaS1K_S1L_EUlS1K_E_NS1_11comp_targetILNS1_3genE2ELNS1_11target_archE906ELNS1_3gpuE6ELNS1_3repE0EEENS1_30default_config_static_selectorELNS0_4arch9wavefront6targetE1EEEvSY_.uses_vcc, 1
	.set _ZN7rocprim17ROCPRIM_400000_NS6detail17trampoline_kernelINS0_13select_configILj256ELj13ELNS0_17block_load_methodE3ELS4_3ELS4_3ELNS0_20block_scan_algorithmE0ELj4294967295EEENS1_25partition_config_selectorILNS1_17partition_subalgoE3EjNS0_10empty_typeEbEEZZNS1_14partition_implILS8_3ELb0ES6_jNS0_17counting_iteratorIjlEEPS9_SE_NS0_5tupleIJPjSE_EEENSF_IJSE_SE_EEES9_SG_JZNS1_25segmented_radix_sort_implINS0_14default_configELb1EPKsPsPKlPlN2at6native12_GLOBAL__N_18offset_tEEE10hipError_tPvRmT1_PNSt15iterator_traitsISY_E10value_typeET2_T3_PNSZ_IS14_E10value_typeET4_jRbjT5_S1A_jjP12ihipStream_tbEUljE_EEESV_SW_SX_S14_S18_S1A_T6_T7_T9_mT8_S1C_bDpT10_ENKUlT_T0_E_clISt17integral_constantIbLb0EES1O_IbLb1EEEEDaS1K_S1L_EUlS1K_E_NS1_11comp_targetILNS1_3genE2ELNS1_11target_archE906ELNS1_3gpuE6ELNS1_3repE0EEENS1_30default_config_static_selectorELNS0_4arch9wavefront6targetE1EEEvSY_.uses_flat_scratch, 0
	.set _ZN7rocprim17ROCPRIM_400000_NS6detail17trampoline_kernelINS0_13select_configILj256ELj13ELNS0_17block_load_methodE3ELS4_3ELS4_3ELNS0_20block_scan_algorithmE0ELj4294967295EEENS1_25partition_config_selectorILNS1_17partition_subalgoE3EjNS0_10empty_typeEbEEZZNS1_14partition_implILS8_3ELb0ES6_jNS0_17counting_iteratorIjlEEPS9_SE_NS0_5tupleIJPjSE_EEENSF_IJSE_SE_EEES9_SG_JZNS1_25segmented_radix_sort_implINS0_14default_configELb1EPKsPsPKlPlN2at6native12_GLOBAL__N_18offset_tEEE10hipError_tPvRmT1_PNSt15iterator_traitsISY_E10value_typeET2_T3_PNSZ_IS14_E10value_typeET4_jRbjT5_S1A_jjP12ihipStream_tbEUljE_EEESV_SW_SX_S14_S18_S1A_T6_T7_T9_mT8_S1C_bDpT10_ENKUlT_T0_E_clISt17integral_constantIbLb0EES1O_IbLb1EEEEDaS1K_S1L_EUlS1K_E_NS1_11comp_targetILNS1_3genE2ELNS1_11target_archE906ELNS1_3gpuE6ELNS1_3repE0EEENS1_30default_config_static_selectorELNS0_4arch9wavefront6targetE1EEEvSY_.has_dyn_sized_stack, 0
	.set _ZN7rocprim17ROCPRIM_400000_NS6detail17trampoline_kernelINS0_13select_configILj256ELj13ELNS0_17block_load_methodE3ELS4_3ELS4_3ELNS0_20block_scan_algorithmE0ELj4294967295EEENS1_25partition_config_selectorILNS1_17partition_subalgoE3EjNS0_10empty_typeEbEEZZNS1_14partition_implILS8_3ELb0ES6_jNS0_17counting_iteratorIjlEEPS9_SE_NS0_5tupleIJPjSE_EEENSF_IJSE_SE_EEES9_SG_JZNS1_25segmented_radix_sort_implINS0_14default_configELb1EPKsPsPKlPlN2at6native12_GLOBAL__N_18offset_tEEE10hipError_tPvRmT1_PNSt15iterator_traitsISY_E10value_typeET2_T3_PNSZ_IS14_E10value_typeET4_jRbjT5_S1A_jjP12ihipStream_tbEUljE_EEESV_SW_SX_S14_S18_S1A_T6_T7_T9_mT8_S1C_bDpT10_ENKUlT_T0_E_clISt17integral_constantIbLb0EES1O_IbLb1EEEEDaS1K_S1L_EUlS1K_E_NS1_11comp_targetILNS1_3genE2ELNS1_11target_archE906ELNS1_3gpuE6ELNS1_3repE0EEENS1_30default_config_static_selectorELNS0_4arch9wavefront6targetE1EEEvSY_.has_recursion, 0
	.set _ZN7rocprim17ROCPRIM_400000_NS6detail17trampoline_kernelINS0_13select_configILj256ELj13ELNS0_17block_load_methodE3ELS4_3ELS4_3ELNS0_20block_scan_algorithmE0ELj4294967295EEENS1_25partition_config_selectorILNS1_17partition_subalgoE3EjNS0_10empty_typeEbEEZZNS1_14partition_implILS8_3ELb0ES6_jNS0_17counting_iteratorIjlEEPS9_SE_NS0_5tupleIJPjSE_EEENSF_IJSE_SE_EEES9_SG_JZNS1_25segmented_radix_sort_implINS0_14default_configELb1EPKsPsPKlPlN2at6native12_GLOBAL__N_18offset_tEEE10hipError_tPvRmT1_PNSt15iterator_traitsISY_E10value_typeET2_T3_PNSZ_IS14_E10value_typeET4_jRbjT5_S1A_jjP12ihipStream_tbEUljE_EEESV_SW_SX_S14_S18_S1A_T6_T7_T9_mT8_S1C_bDpT10_ENKUlT_T0_E_clISt17integral_constantIbLb0EES1O_IbLb1EEEEDaS1K_S1L_EUlS1K_E_NS1_11comp_targetILNS1_3genE2ELNS1_11target_archE906ELNS1_3gpuE6ELNS1_3repE0EEENS1_30default_config_static_selectorELNS0_4arch9wavefront6targetE1EEEvSY_.has_indirect_call, 0
	.section	.AMDGPU.csdata,"",@progbits
; Kernel info:
; codeLenInByte = 7548
; TotalNumSgprs: 50
; NumVgprs: 71
; ScratchSize: 0
; MemoryBound: 0
; FloatMode: 240
; IeeeMode: 1
; LDSByteSize: 13320 bytes/workgroup (compile time only)
; SGPRBlocks: 12
; VGPRBlocks: 17
; NumSGPRsForWavesPerEU: 102
; NumVGPRsForWavesPerEU: 71
; Occupancy: 3
; WaveLimiterHint : 0
; COMPUTE_PGM_RSRC2:SCRATCH_EN: 0
; COMPUTE_PGM_RSRC2:USER_SGPR: 6
; COMPUTE_PGM_RSRC2:TRAP_HANDLER: 0
; COMPUTE_PGM_RSRC2:TGID_X_EN: 1
; COMPUTE_PGM_RSRC2:TGID_Y_EN: 0
; COMPUTE_PGM_RSRC2:TGID_Z_EN: 0
; COMPUTE_PGM_RSRC2:TIDIG_COMP_CNT: 0
	.section	.text._ZN7rocprim17ROCPRIM_400000_NS6detail17trampoline_kernelINS0_13select_configILj256ELj13ELNS0_17block_load_methodE3ELS4_3ELS4_3ELNS0_20block_scan_algorithmE0ELj4294967295EEENS1_25partition_config_selectorILNS1_17partition_subalgoE3EjNS0_10empty_typeEbEEZZNS1_14partition_implILS8_3ELb0ES6_jNS0_17counting_iteratorIjlEEPS9_SE_NS0_5tupleIJPjSE_EEENSF_IJSE_SE_EEES9_SG_JZNS1_25segmented_radix_sort_implINS0_14default_configELb1EPKsPsPKlPlN2at6native12_GLOBAL__N_18offset_tEEE10hipError_tPvRmT1_PNSt15iterator_traitsISY_E10value_typeET2_T3_PNSZ_IS14_E10value_typeET4_jRbjT5_S1A_jjP12ihipStream_tbEUljE_EEESV_SW_SX_S14_S18_S1A_T6_T7_T9_mT8_S1C_bDpT10_ENKUlT_T0_E_clISt17integral_constantIbLb0EES1O_IbLb1EEEEDaS1K_S1L_EUlS1K_E_NS1_11comp_targetILNS1_3genE10ELNS1_11target_archE1200ELNS1_3gpuE4ELNS1_3repE0EEENS1_30default_config_static_selectorELNS0_4arch9wavefront6targetE1EEEvSY_,"axG",@progbits,_ZN7rocprim17ROCPRIM_400000_NS6detail17trampoline_kernelINS0_13select_configILj256ELj13ELNS0_17block_load_methodE3ELS4_3ELS4_3ELNS0_20block_scan_algorithmE0ELj4294967295EEENS1_25partition_config_selectorILNS1_17partition_subalgoE3EjNS0_10empty_typeEbEEZZNS1_14partition_implILS8_3ELb0ES6_jNS0_17counting_iteratorIjlEEPS9_SE_NS0_5tupleIJPjSE_EEENSF_IJSE_SE_EEES9_SG_JZNS1_25segmented_radix_sort_implINS0_14default_configELb1EPKsPsPKlPlN2at6native12_GLOBAL__N_18offset_tEEE10hipError_tPvRmT1_PNSt15iterator_traitsISY_E10value_typeET2_T3_PNSZ_IS14_E10value_typeET4_jRbjT5_S1A_jjP12ihipStream_tbEUljE_EEESV_SW_SX_S14_S18_S1A_T6_T7_T9_mT8_S1C_bDpT10_ENKUlT_T0_E_clISt17integral_constantIbLb0EES1O_IbLb1EEEEDaS1K_S1L_EUlS1K_E_NS1_11comp_targetILNS1_3genE10ELNS1_11target_archE1200ELNS1_3gpuE4ELNS1_3repE0EEENS1_30default_config_static_selectorELNS0_4arch9wavefront6targetE1EEEvSY_,comdat
	.globl	_ZN7rocprim17ROCPRIM_400000_NS6detail17trampoline_kernelINS0_13select_configILj256ELj13ELNS0_17block_load_methodE3ELS4_3ELS4_3ELNS0_20block_scan_algorithmE0ELj4294967295EEENS1_25partition_config_selectorILNS1_17partition_subalgoE3EjNS0_10empty_typeEbEEZZNS1_14partition_implILS8_3ELb0ES6_jNS0_17counting_iteratorIjlEEPS9_SE_NS0_5tupleIJPjSE_EEENSF_IJSE_SE_EEES9_SG_JZNS1_25segmented_radix_sort_implINS0_14default_configELb1EPKsPsPKlPlN2at6native12_GLOBAL__N_18offset_tEEE10hipError_tPvRmT1_PNSt15iterator_traitsISY_E10value_typeET2_T3_PNSZ_IS14_E10value_typeET4_jRbjT5_S1A_jjP12ihipStream_tbEUljE_EEESV_SW_SX_S14_S18_S1A_T6_T7_T9_mT8_S1C_bDpT10_ENKUlT_T0_E_clISt17integral_constantIbLb0EES1O_IbLb1EEEEDaS1K_S1L_EUlS1K_E_NS1_11comp_targetILNS1_3genE10ELNS1_11target_archE1200ELNS1_3gpuE4ELNS1_3repE0EEENS1_30default_config_static_selectorELNS0_4arch9wavefront6targetE1EEEvSY_ ; -- Begin function _ZN7rocprim17ROCPRIM_400000_NS6detail17trampoline_kernelINS0_13select_configILj256ELj13ELNS0_17block_load_methodE3ELS4_3ELS4_3ELNS0_20block_scan_algorithmE0ELj4294967295EEENS1_25partition_config_selectorILNS1_17partition_subalgoE3EjNS0_10empty_typeEbEEZZNS1_14partition_implILS8_3ELb0ES6_jNS0_17counting_iteratorIjlEEPS9_SE_NS0_5tupleIJPjSE_EEENSF_IJSE_SE_EEES9_SG_JZNS1_25segmented_radix_sort_implINS0_14default_configELb1EPKsPsPKlPlN2at6native12_GLOBAL__N_18offset_tEEE10hipError_tPvRmT1_PNSt15iterator_traitsISY_E10value_typeET2_T3_PNSZ_IS14_E10value_typeET4_jRbjT5_S1A_jjP12ihipStream_tbEUljE_EEESV_SW_SX_S14_S18_S1A_T6_T7_T9_mT8_S1C_bDpT10_ENKUlT_T0_E_clISt17integral_constantIbLb0EES1O_IbLb1EEEEDaS1K_S1L_EUlS1K_E_NS1_11comp_targetILNS1_3genE10ELNS1_11target_archE1200ELNS1_3gpuE4ELNS1_3repE0EEENS1_30default_config_static_selectorELNS0_4arch9wavefront6targetE1EEEvSY_
	.p2align	8
	.type	_ZN7rocprim17ROCPRIM_400000_NS6detail17trampoline_kernelINS0_13select_configILj256ELj13ELNS0_17block_load_methodE3ELS4_3ELS4_3ELNS0_20block_scan_algorithmE0ELj4294967295EEENS1_25partition_config_selectorILNS1_17partition_subalgoE3EjNS0_10empty_typeEbEEZZNS1_14partition_implILS8_3ELb0ES6_jNS0_17counting_iteratorIjlEEPS9_SE_NS0_5tupleIJPjSE_EEENSF_IJSE_SE_EEES9_SG_JZNS1_25segmented_radix_sort_implINS0_14default_configELb1EPKsPsPKlPlN2at6native12_GLOBAL__N_18offset_tEEE10hipError_tPvRmT1_PNSt15iterator_traitsISY_E10value_typeET2_T3_PNSZ_IS14_E10value_typeET4_jRbjT5_S1A_jjP12ihipStream_tbEUljE_EEESV_SW_SX_S14_S18_S1A_T6_T7_T9_mT8_S1C_bDpT10_ENKUlT_T0_E_clISt17integral_constantIbLb0EES1O_IbLb1EEEEDaS1K_S1L_EUlS1K_E_NS1_11comp_targetILNS1_3genE10ELNS1_11target_archE1200ELNS1_3gpuE4ELNS1_3repE0EEENS1_30default_config_static_selectorELNS0_4arch9wavefront6targetE1EEEvSY_,@function
_ZN7rocprim17ROCPRIM_400000_NS6detail17trampoline_kernelINS0_13select_configILj256ELj13ELNS0_17block_load_methodE3ELS4_3ELS4_3ELNS0_20block_scan_algorithmE0ELj4294967295EEENS1_25partition_config_selectorILNS1_17partition_subalgoE3EjNS0_10empty_typeEbEEZZNS1_14partition_implILS8_3ELb0ES6_jNS0_17counting_iteratorIjlEEPS9_SE_NS0_5tupleIJPjSE_EEENSF_IJSE_SE_EEES9_SG_JZNS1_25segmented_radix_sort_implINS0_14default_configELb1EPKsPsPKlPlN2at6native12_GLOBAL__N_18offset_tEEE10hipError_tPvRmT1_PNSt15iterator_traitsISY_E10value_typeET2_T3_PNSZ_IS14_E10value_typeET4_jRbjT5_S1A_jjP12ihipStream_tbEUljE_EEESV_SW_SX_S14_S18_S1A_T6_T7_T9_mT8_S1C_bDpT10_ENKUlT_T0_E_clISt17integral_constantIbLb0EES1O_IbLb1EEEEDaS1K_S1L_EUlS1K_E_NS1_11comp_targetILNS1_3genE10ELNS1_11target_archE1200ELNS1_3gpuE4ELNS1_3repE0EEENS1_30default_config_static_selectorELNS0_4arch9wavefront6targetE1EEEvSY_: ; @_ZN7rocprim17ROCPRIM_400000_NS6detail17trampoline_kernelINS0_13select_configILj256ELj13ELNS0_17block_load_methodE3ELS4_3ELS4_3ELNS0_20block_scan_algorithmE0ELj4294967295EEENS1_25partition_config_selectorILNS1_17partition_subalgoE3EjNS0_10empty_typeEbEEZZNS1_14partition_implILS8_3ELb0ES6_jNS0_17counting_iteratorIjlEEPS9_SE_NS0_5tupleIJPjSE_EEENSF_IJSE_SE_EEES9_SG_JZNS1_25segmented_radix_sort_implINS0_14default_configELb1EPKsPsPKlPlN2at6native12_GLOBAL__N_18offset_tEEE10hipError_tPvRmT1_PNSt15iterator_traitsISY_E10value_typeET2_T3_PNSZ_IS14_E10value_typeET4_jRbjT5_S1A_jjP12ihipStream_tbEUljE_EEESV_SW_SX_S14_S18_S1A_T6_T7_T9_mT8_S1C_bDpT10_ENKUlT_T0_E_clISt17integral_constantIbLb0EES1O_IbLb1EEEEDaS1K_S1L_EUlS1K_E_NS1_11comp_targetILNS1_3genE10ELNS1_11target_archE1200ELNS1_3gpuE4ELNS1_3repE0EEENS1_30default_config_static_selectorELNS0_4arch9wavefront6targetE1EEEvSY_
; %bb.0:
	.section	.rodata,"a",@progbits
	.p2align	6, 0x0
	.amdhsa_kernel _ZN7rocprim17ROCPRIM_400000_NS6detail17trampoline_kernelINS0_13select_configILj256ELj13ELNS0_17block_load_methodE3ELS4_3ELS4_3ELNS0_20block_scan_algorithmE0ELj4294967295EEENS1_25partition_config_selectorILNS1_17partition_subalgoE3EjNS0_10empty_typeEbEEZZNS1_14partition_implILS8_3ELb0ES6_jNS0_17counting_iteratorIjlEEPS9_SE_NS0_5tupleIJPjSE_EEENSF_IJSE_SE_EEES9_SG_JZNS1_25segmented_radix_sort_implINS0_14default_configELb1EPKsPsPKlPlN2at6native12_GLOBAL__N_18offset_tEEE10hipError_tPvRmT1_PNSt15iterator_traitsISY_E10value_typeET2_T3_PNSZ_IS14_E10value_typeET4_jRbjT5_S1A_jjP12ihipStream_tbEUljE_EEESV_SW_SX_S14_S18_S1A_T6_T7_T9_mT8_S1C_bDpT10_ENKUlT_T0_E_clISt17integral_constantIbLb0EES1O_IbLb1EEEEDaS1K_S1L_EUlS1K_E_NS1_11comp_targetILNS1_3genE10ELNS1_11target_archE1200ELNS1_3gpuE4ELNS1_3repE0EEENS1_30default_config_static_selectorELNS0_4arch9wavefront6targetE1EEEvSY_
		.amdhsa_group_segment_fixed_size 0
		.amdhsa_private_segment_fixed_size 0
		.amdhsa_kernarg_size 152
		.amdhsa_user_sgpr_count 6
		.amdhsa_user_sgpr_private_segment_buffer 1
		.amdhsa_user_sgpr_dispatch_ptr 0
		.amdhsa_user_sgpr_queue_ptr 0
		.amdhsa_user_sgpr_kernarg_segment_ptr 1
		.amdhsa_user_sgpr_dispatch_id 0
		.amdhsa_user_sgpr_flat_scratch_init 0
		.amdhsa_user_sgpr_private_segment_size 0
		.amdhsa_uses_dynamic_stack 0
		.amdhsa_system_sgpr_private_segment_wavefront_offset 0
		.amdhsa_system_sgpr_workgroup_id_x 1
		.amdhsa_system_sgpr_workgroup_id_y 0
		.amdhsa_system_sgpr_workgroup_id_z 0
		.amdhsa_system_sgpr_workgroup_info 0
		.amdhsa_system_vgpr_workitem_id 0
		.amdhsa_next_free_vgpr 1
		.amdhsa_next_free_sgpr 0
		.amdhsa_reserve_vcc 0
		.amdhsa_reserve_flat_scratch 0
		.amdhsa_float_round_mode_32 0
		.amdhsa_float_round_mode_16_64 0
		.amdhsa_float_denorm_mode_32 3
		.amdhsa_float_denorm_mode_16_64 3
		.amdhsa_dx10_clamp 1
		.amdhsa_ieee_mode 1
		.amdhsa_fp16_overflow 0
		.amdhsa_exception_fp_ieee_invalid_op 0
		.amdhsa_exception_fp_denorm_src 0
		.amdhsa_exception_fp_ieee_div_zero 0
		.amdhsa_exception_fp_ieee_overflow 0
		.amdhsa_exception_fp_ieee_underflow 0
		.amdhsa_exception_fp_ieee_inexact 0
		.amdhsa_exception_int_div_zero 0
	.end_amdhsa_kernel
	.section	.text._ZN7rocprim17ROCPRIM_400000_NS6detail17trampoline_kernelINS0_13select_configILj256ELj13ELNS0_17block_load_methodE3ELS4_3ELS4_3ELNS0_20block_scan_algorithmE0ELj4294967295EEENS1_25partition_config_selectorILNS1_17partition_subalgoE3EjNS0_10empty_typeEbEEZZNS1_14partition_implILS8_3ELb0ES6_jNS0_17counting_iteratorIjlEEPS9_SE_NS0_5tupleIJPjSE_EEENSF_IJSE_SE_EEES9_SG_JZNS1_25segmented_radix_sort_implINS0_14default_configELb1EPKsPsPKlPlN2at6native12_GLOBAL__N_18offset_tEEE10hipError_tPvRmT1_PNSt15iterator_traitsISY_E10value_typeET2_T3_PNSZ_IS14_E10value_typeET4_jRbjT5_S1A_jjP12ihipStream_tbEUljE_EEESV_SW_SX_S14_S18_S1A_T6_T7_T9_mT8_S1C_bDpT10_ENKUlT_T0_E_clISt17integral_constantIbLb0EES1O_IbLb1EEEEDaS1K_S1L_EUlS1K_E_NS1_11comp_targetILNS1_3genE10ELNS1_11target_archE1200ELNS1_3gpuE4ELNS1_3repE0EEENS1_30default_config_static_selectorELNS0_4arch9wavefront6targetE1EEEvSY_,"axG",@progbits,_ZN7rocprim17ROCPRIM_400000_NS6detail17trampoline_kernelINS0_13select_configILj256ELj13ELNS0_17block_load_methodE3ELS4_3ELS4_3ELNS0_20block_scan_algorithmE0ELj4294967295EEENS1_25partition_config_selectorILNS1_17partition_subalgoE3EjNS0_10empty_typeEbEEZZNS1_14partition_implILS8_3ELb0ES6_jNS0_17counting_iteratorIjlEEPS9_SE_NS0_5tupleIJPjSE_EEENSF_IJSE_SE_EEES9_SG_JZNS1_25segmented_radix_sort_implINS0_14default_configELb1EPKsPsPKlPlN2at6native12_GLOBAL__N_18offset_tEEE10hipError_tPvRmT1_PNSt15iterator_traitsISY_E10value_typeET2_T3_PNSZ_IS14_E10value_typeET4_jRbjT5_S1A_jjP12ihipStream_tbEUljE_EEESV_SW_SX_S14_S18_S1A_T6_T7_T9_mT8_S1C_bDpT10_ENKUlT_T0_E_clISt17integral_constantIbLb0EES1O_IbLb1EEEEDaS1K_S1L_EUlS1K_E_NS1_11comp_targetILNS1_3genE10ELNS1_11target_archE1200ELNS1_3gpuE4ELNS1_3repE0EEENS1_30default_config_static_selectorELNS0_4arch9wavefront6targetE1EEEvSY_,comdat
.Lfunc_end908:
	.size	_ZN7rocprim17ROCPRIM_400000_NS6detail17trampoline_kernelINS0_13select_configILj256ELj13ELNS0_17block_load_methodE3ELS4_3ELS4_3ELNS0_20block_scan_algorithmE0ELj4294967295EEENS1_25partition_config_selectorILNS1_17partition_subalgoE3EjNS0_10empty_typeEbEEZZNS1_14partition_implILS8_3ELb0ES6_jNS0_17counting_iteratorIjlEEPS9_SE_NS0_5tupleIJPjSE_EEENSF_IJSE_SE_EEES9_SG_JZNS1_25segmented_radix_sort_implINS0_14default_configELb1EPKsPsPKlPlN2at6native12_GLOBAL__N_18offset_tEEE10hipError_tPvRmT1_PNSt15iterator_traitsISY_E10value_typeET2_T3_PNSZ_IS14_E10value_typeET4_jRbjT5_S1A_jjP12ihipStream_tbEUljE_EEESV_SW_SX_S14_S18_S1A_T6_T7_T9_mT8_S1C_bDpT10_ENKUlT_T0_E_clISt17integral_constantIbLb0EES1O_IbLb1EEEEDaS1K_S1L_EUlS1K_E_NS1_11comp_targetILNS1_3genE10ELNS1_11target_archE1200ELNS1_3gpuE4ELNS1_3repE0EEENS1_30default_config_static_selectorELNS0_4arch9wavefront6targetE1EEEvSY_, .Lfunc_end908-_ZN7rocprim17ROCPRIM_400000_NS6detail17trampoline_kernelINS0_13select_configILj256ELj13ELNS0_17block_load_methodE3ELS4_3ELS4_3ELNS0_20block_scan_algorithmE0ELj4294967295EEENS1_25partition_config_selectorILNS1_17partition_subalgoE3EjNS0_10empty_typeEbEEZZNS1_14partition_implILS8_3ELb0ES6_jNS0_17counting_iteratorIjlEEPS9_SE_NS0_5tupleIJPjSE_EEENSF_IJSE_SE_EEES9_SG_JZNS1_25segmented_radix_sort_implINS0_14default_configELb1EPKsPsPKlPlN2at6native12_GLOBAL__N_18offset_tEEE10hipError_tPvRmT1_PNSt15iterator_traitsISY_E10value_typeET2_T3_PNSZ_IS14_E10value_typeET4_jRbjT5_S1A_jjP12ihipStream_tbEUljE_EEESV_SW_SX_S14_S18_S1A_T6_T7_T9_mT8_S1C_bDpT10_ENKUlT_T0_E_clISt17integral_constantIbLb0EES1O_IbLb1EEEEDaS1K_S1L_EUlS1K_E_NS1_11comp_targetILNS1_3genE10ELNS1_11target_archE1200ELNS1_3gpuE4ELNS1_3repE0EEENS1_30default_config_static_selectorELNS0_4arch9wavefront6targetE1EEEvSY_
                                        ; -- End function
	.set _ZN7rocprim17ROCPRIM_400000_NS6detail17trampoline_kernelINS0_13select_configILj256ELj13ELNS0_17block_load_methodE3ELS4_3ELS4_3ELNS0_20block_scan_algorithmE0ELj4294967295EEENS1_25partition_config_selectorILNS1_17partition_subalgoE3EjNS0_10empty_typeEbEEZZNS1_14partition_implILS8_3ELb0ES6_jNS0_17counting_iteratorIjlEEPS9_SE_NS0_5tupleIJPjSE_EEENSF_IJSE_SE_EEES9_SG_JZNS1_25segmented_radix_sort_implINS0_14default_configELb1EPKsPsPKlPlN2at6native12_GLOBAL__N_18offset_tEEE10hipError_tPvRmT1_PNSt15iterator_traitsISY_E10value_typeET2_T3_PNSZ_IS14_E10value_typeET4_jRbjT5_S1A_jjP12ihipStream_tbEUljE_EEESV_SW_SX_S14_S18_S1A_T6_T7_T9_mT8_S1C_bDpT10_ENKUlT_T0_E_clISt17integral_constantIbLb0EES1O_IbLb1EEEEDaS1K_S1L_EUlS1K_E_NS1_11comp_targetILNS1_3genE10ELNS1_11target_archE1200ELNS1_3gpuE4ELNS1_3repE0EEENS1_30default_config_static_selectorELNS0_4arch9wavefront6targetE1EEEvSY_.num_vgpr, 0
	.set _ZN7rocprim17ROCPRIM_400000_NS6detail17trampoline_kernelINS0_13select_configILj256ELj13ELNS0_17block_load_methodE3ELS4_3ELS4_3ELNS0_20block_scan_algorithmE0ELj4294967295EEENS1_25partition_config_selectorILNS1_17partition_subalgoE3EjNS0_10empty_typeEbEEZZNS1_14partition_implILS8_3ELb0ES6_jNS0_17counting_iteratorIjlEEPS9_SE_NS0_5tupleIJPjSE_EEENSF_IJSE_SE_EEES9_SG_JZNS1_25segmented_radix_sort_implINS0_14default_configELb1EPKsPsPKlPlN2at6native12_GLOBAL__N_18offset_tEEE10hipError_tPvRmT1_PNSt15iterator_traitsISY_E10value_typeET2_T3_PNSZ_IS14_E10value_typeET4_jRbjT5_S1A_jjP12ihipStream_tbEUljE_EEESV_SW_SX_S14_S18_S1A_T6_T7_T9_mT8_S1C_bDpT10_ENKUlT_T0_E_clISt17integral_constantIbLb0EES1O_IbLb1EEEEDaS1K_S1L_EUlS1K_E_NS1_11comp_targetILNS1_3genE10ELNS1_11target_archE1200ELNS1_3gpuE4ELNS1_3repE0EEENS1_30default_config_static_selectorELNS0_4arch9wavefront6targetE1EEEvSY_.num_agpr, 0
	.set _ZN7rocprim17ROCPRIM_400000_NS6detail17trampoline_kernelINS0_13select_configILj256ELj13ELNS0_17block_load_methodE3ELS4_3ELS4_3ELNS0_20block_scan_algorithmE0ELj4294967295EEENS1_25partition_config_selectorILNS1_17partition_subalgoE3EjNS0_10empty_typeEbEEZZNS1_14partition_implILS8_3ELb0ES6_jNS0_17counting_iteratorIjlEEPS9_SE_NS0_5tupleIJPjSE_EEENSF_IJSE_SE_EEES9_SG_JZNS1_25segmented_radix_sort_implINS0_14default_configELb1EPKsPsPKlPlN2at6native12_GLOBAL__N_18offset_tEEE10hipError_tPvRmT1_PNSt15iterator_traitsISY_E10value_typeET2_T3_PNSZ_IS14_E10value_typeET4_jRbjT5_S1A_jjP12ihipStream_tbEUljE_EEESV_SW_SX_S14_S18_S1A_T6_T7_T9_mT8_S1C_bDpT10_ENKUlT_T0_E_clISt17integral_constantIbLb0EES1O_IbLb1EEEEDaS1K_S1L_EUlS1K_E_NS1_11comp_targetILNS1_3genE10ELNS1_11target_archE1200ELNS1_3gpuE4ELNS1_3repE0EEENS1_30default_config_static_selectorELNS0_4arch9wavefront6targetE1EEEvSY_.numbered_sgpr, 0
	.set _ZN7rocprim17ROCPRIM_400000_NS6detail17trampoline_kernelINS0_13select_configILj256ELj13ELNS0_17block_load_methodE3ELS4_3ELS4_3ELNS0_20block_scan_algorithmE0ELj4294967295EEENS1_25partition_config_selectorILNS1_17partition_subalgoE3EjNS0_10empty_typeEbEEZZNS1_14partition_implILS8_3ELb0ES6_jNS0_17counting_iteratorIjlEEPS9_SE_NS0_5tupleIJPjSE_EEENSF_IJSE_SE_EEES9_SG_JZNS1_25segmented_radix_sort_implINS0_14default_configELb1EPKsPsPKlPlN2at6native12_GLOBAL__N_18offset_tEEE10hipError_tPvRmT1_PNSt15iterator_traitsISY_E10value_typeET2_T3_PNSZ_IS14_E10value_typeET4_jRbjT5_S1A_jjP12ihipStream_tbEUljE_EEESV_SW_SX_S14_S18_S1A_T6_T7_T9_mT8_S1C_bDpT10_ENKUlT_T0_E_clISt17integral_constantIbLb0EES1O_IbLb1EEEEDaS1K_S1L_EUlS1K_E_NS1_11comp_targetILNS1_3genE10ELNS1_11target_archE1200ELNS1_3gpuE4ELNS1_3repE0EEENS1_30default_config_static_selectorELNS0_4arch9wavefront6targetE1EEEvSY_.num_named_barrier, 0
	.set _ZN7rocprim17ROCPRIM_400000_NS6detail17trampoline_kernelINS0_13select_configILj256ELj13ELNS0_17block_load_methodE3ELS4_3ELS4_3ELNS0_20block_scan_algorithmE0ELj4294967295EEENS1_25partition_config_selectorILNS1_17partition_subalgoE3EjNS0_10empty_typeEbEEZZNS1_14partition_implILS8_3ELb0ES6_jNS0_17counting_iteratorIjlEEPS9_SE_NS0_5tupleIJPjSE_EEENSF_IJSE_SE_EEES9_SG_JZNS1_25segmented_radix_sort_implINS0_14default_configELb1EPKsPsPKlPlN2at6native12_GLOBAL__N_18offset_tEEE10hipError_tPvRmT1_PNSt15iterator_traitsISY_E10value_typeET2_T3_PNSZ_IS14_E10value_typeET4_jRbjT5_S1A_jjP12ihipStream_tbEUljE_EEESV_SW_SX_S14_S18_S1A_T6_T7_T9_mT8_S1C_bDpT10_ENKUlT_T0_E_clISt17integral_constantIbLb0EES1O_IbLb1EEEEDaS1K_S1L_EUlS1K_E_NS1_11comp_targetILNS1_3genE10ELNS1_11target_archE1200ELNS1_3gpuE4ELNS1_3repE0EEENS1_30default_config_static_selectorELNS0_4arch9wavefront6targetE1EEEvSY_.private_seg_size, 0
	.set _ZN7rocprim17ROCPRIM_400000_NS6detail17trampoline_kernelINS0_13select_configILj256ELj13ELNS0_17block_load_methodE3ELS4_3ELS4_3ELNS0_20block_scan_algorithmE0ELj4294967295EEENS1_25partition_config_selectorILNS1_17partition_subalgoE3EjNS0_10empty_typeEbEEZZNS1_14partition_implILS8_3ELb0ES6_jNS0_17counting_iteratorIjlEEPS9_SE_NS0_5tupleIJPjSE_EEENSF_IJSE_SE_EEES9_SG_JZNS1_25segmented_radix_sort_implINS0_14default_configELb1EPKsPsPKlPlN2at6native12_GLOBAL__N_18offset_tEEE10hipError_tPvRmT1_PNSt15iterator_traitsISY_E10value_typeET2_T3_PNSZ_IS14_E10value_typeET4_jRbjT5_S1A_jjP12ihipStream_tbEUljE_EEESV_SW_SX_S14_S18_S1A_T6_T7_T9_mT8_S1C_bDpT10_ENKUlT_T0_E_clISt17integral_constantIbLb0EES1O_IbLb1EEEEDaS1K_S1L_EUlS1K_E_NS1_11comp_targetILNS1_3genE10ELNS1_11target_archE1200ELNS1_3gpuE4ELNS1_3repE0EEENS1_30default_config_static_selectorELNS0_4arch9wavefront6targetE1EEEvSY_.uses_vcc, 0
	.set _ZN7rocprim17ROCPRIM_400000_NS6detail17trampoline_kernelINS0_13select_configILj256ELj13ELNS0_17block_load_methodE3ELS4_3ELS4_3ELNS0_20block_scan_algorithmE0ELj4294967295EEENS1_25partition_config_selectorILNS1_17partition_subalgoE3EjNS0_10empty_typeEbEEZZNS1_14partition_implILS8_3ELb0ES6_jNS0_17counting_iteratorIjlEEPS9_SE_NS0_5tupleIJPjSE_EEENSF_IJSE_SE_EEES9_SG_JZNS1_25segmented_radix_sort_implINS0_14default_configELb1EPKsPsPKlPlN2at6native12_GLOBAL__N_18offset_tEEE10hipError_tPvRmT1_PNSt15iterator_traitsISY_E10value_typeET2_T3_PNSZ_IS14_E10value_typeET4_jRbjT5_S1A_jjP12ihipStream_tbEUljE_EEESV_SW_SX_S14_S18_S1A_T6_T7_T9_mT8_S1C_bDpT10_ENKUlT_T0_E_clISt17integral_constantIbLb0EES1O_IbLb1EEEEDaS1K_S1L_EUlS1K_E_NS1_11comp_targetILNS1_3genE10ELNS1_11target_archE1200ELNS1_3gpuE4ELNS1_3repE0EEENS1_30default_config_static_selectorELNS0_4arch9wavefront6targetE1EEEvSY_.uses_flat_scratch, 0
	.set _ZN7rocprim17ROCPRIM_400000_NS6detail17trampoline_kernelINS0_13select_configILj256ELj13ELNS0_17block_load_methodE3ELS4_3ELS4_3ELNS0_20block_scan_algorithmE0ELj4294967295EEENS1_25partition_config_selectorILNS1_17partition_subalgoE3EjNS0_10empty_typeEbEEZZNS1_14partition_implILS8_3ELb0ES6_jNS0_17counting_iteratorIjlEEPS9_SE_NS0_5tupleIJPjSE_EEENSF_IJSE_SE_EEES9_SG_JZNS1_25segmented_radix_sort_implINS0_14default_configELb1EPKsPsPKlPlN2at6native12_GLOBAL__N_18offset_tEEE10hipError_tPvRmT1_PNSt15iterator_traitsISY_E10value_typeET2_T3_PNSZ_IS14_E10value_typeET4_jRbjT5_S1A_jjP12ihipStream_tbEUljE_EEESV_SW_SX_S14_S18_S1A_T6_T7_T9_mT8_S1C_bDpT10_ENKUlT_T0_E_clISt17integral_constantIbLb0EES1O_IbLb1EEEEDaS1K_S1L_EUlS1K_E_NS1_11comp_targetILNS1_3genE10ELNS1_11target_archE1200ELNS1_3gpuE4ELNS1_3repE0EEENS1_30default_config_static_selectorELNS0_4arch9wavefront6targetE1EEEvSY_.has_dyn_sized_stack, 0
	.set _ZN7rocprim17ROCPRIM_400000_NS6detail17trampoline_kernelINS0_13select_configILj256ELj13ELNS0_17block_load_methodE3ELS4_3ELS4_3ELNS0_20block_scan_algorithmE0ELj4294967295EEENS1_25partition_config_selectorILNS1_17partition_subalgoE3EjNS0_10empty_typeEbEEZZNS1_14partition_implILS8_3ELb0ES6_jNS0_17counting_iteratorIjlEEPS9_SE_NS0_5tupleIJPjSE_EEENSF_IJSE_SE_EEES9_SG_JZNS1_25segmented_radix_sort_implINS0_14default_configELb1EPKsPsPKlPlN2at6native12_GLOBAL__N_18offset_tEEE10hipError_tPvRmT1_PNSt15iterator_traitsISY_E10value_typeET2_T3_PNSZ_IS14_E10value_typeET4_jRbjT5_S1A_jjP12ihipStream_tbEUljE_EEESV_SW_SX_S14_S18_S1A_T6_T7_T9_mT8_S1C_bDpT10_ENKUlT_T0_E_clISt17integral_constantIbLb0EES1O_IbLb1EEEEDaS1K_S1L_EUlS1K_E_NS1_11comp_targetILNS1_3genE10ELNS1_11target_archE1200ELNS1_3gpuE4ELNS1_3repE0EEENS1_30default_config_static_selectorELNS0_4arch9wavefront6targetE1EEEvSY_.has_recursion, 0
	.set _ZN7rocprim17ROCPRIM_400000_NS6detail17trampoline_kernelINS0_13select_configILj256ELj13ELNS0_17block_load_methodE3ELS4_3ELS4_3ELNS0_20block_scan_algorithmE0ELj4294967295EEENS1_25partition_config_selectorILNS1_17partition_subalgoE3EjNS0_10empty_typeEbEEZZNS1_14partition_implILS8_3ELb0ES6_jNS0_17counting_iteratorIjlEEPS9_SE_NS0_5tupleIJPjSE_EEENSF_IJSE_SE_EEES9_SG_JZNS1_25segmented_radix_sort_implINS0_14default_configELb1EPKsPsPKlPlN2at6native12_GLOBAL__N_18offset_tEEE10hipError_tPvRmT1_PNSt15iterator_traitsISY_E10value_typeET2_T3_PNSZ_IS14_E10value_typeET4_jRbjT5_S1A_jjP12ihipStream_tbEUljE_EEESV_SW_SX_S14_S18_S1A_T6_T7_T9_mT8_S1C_bDpT10_ENKUlT_T0_E_clISt17integral_constantIbLb0EES1O_IbLb1EEEEDaS1K_S1L_EUlS1K_E_NS1_11comp_targetILNS1_3genE10ELNS1_11target_archE1200ELNS1_3gpuE4ELNS1_3repE0EEENS1_30default_config_static_selectorELNS0_4arch9wavefront6targetE1EEEvSY_.has_indirect_call, 0
	.section	.AMDGPU.csdata,"",@progbits
; Kernel info:
; codeLenInByte = 0
; TotalNumSgprs: 4
; NumVgprs: 0
; ScratchSize: 0
; MemoryBound: 0
; FloatMode: 240
; IeeeMode: 1
; LDSByteSize: 0 bytes/workgroup (compile time only)
; SGPRBlocks: 0
; VGPRBlocks: 0
; NumSGPRsForWavesPerEU: 4
; NumVGPRsForWavesPerEU: 1
; Occupancy: 10
; WaveLimiterHint : 0
; COMPUTE_PGM_RSRC2:SCRATCH_EN: 0
; COMPUTE_PGM_RSRC2:USER_SGPR: 6
; COMPUTE_PGM_RSRC2:TRAP_HANDLER: 0
; COMPUTE_PGM_RSRC2:TGID_X_EN: 1
; COMPUTE_PGM_RSRC2:TGID_Y_EN: 0
; COMPUTE_PGM_RSRC2:TGID_Z_EN: 0
; COMPUTE_PGM_RSRC2:TIDIG_COMP_CNT: 0
	.section	.text._ZN7rocprim17ROCPRIM_400000_NS6detail17trampoline_kernelINS0_13select_configILj256ELj13ELNS0_17block_load_methodE3ELS4_3ELS4_3ELNS0_20block_scan_algorithmE0ELj4294967295EEENS1_25partition_config_selectorILNS1_17partition_subalgoE3EjNS0_10empty_typeEbEEZZNS1_14partition_implILS8_3ELb0ES6_jNS0_17counting_iteratorIjlEEPS9_SE_NS0_5tupleIJPjSE_EEENSF_IJSE_SE_EEES9_SG_JZNS1_25segmented_radix_sort_implINS0_14default_configELb1EPKsPsPKlPlN2at6native12_GLOBAL__N_18offset_tEEE10hipError_tPvRmT1_PNSt15iterator_traitsISY_E10value_typeET2_T3_PNSZ_IS14_E10value_typeET4_jRbjT5_S1A_jjP12ihipStream_tbEUljE_EEESV_SW_SX_S14_S18_S1A_T6_T7_T9_mT8_S1C_bDpT10_ENKUlT_T0_E_clISt17integral_constantIbLb0EES1O_IbLb1EEEEDaS1K_S1L_EUlS1K_E_NS1_11comp_targetILNS1_3genE9ELNS1_11target_archE1100ELNS1_3gpuE3ELNS1_3repE0EEENS1_30default_config_static_selectorELNS0_4arch9wavefront6targetE1EEEvSY_,"axG",@progbits,_ZN7rocprim17ROCPRIM_400000_NS6detail17trampoline_kernelINS0_13select_configILj256ELj13ELNS0_17block_load_methodE3ELS4_3ELS4_3ELNS0_20block_scan_algorithmE0ELj4294967295EEENS1_25partition_config_selectorILNS1_17partition_subalgoE3EjNS0_10empty_typeEbEEZZNS1_14partition_implILS8_3ELb0ES6_jNS0_17counting_iteratorIjlEEPS9_SE_NS0_5tupleIJPjSE_EEENSF_IJSE_SE_EEES9_SG_JZNS1_25segmented_radix_sort_implINS0_14default_configELb1EPKsPsPKlPlN2at6native12_GLOBAL__N_18offset_tEEE10hipError_tPvRmT1_PNSt15iterator_traitsISY_E10value_typeET2_T3_PNSZ_IS14_E10value_typeET4_jRbjT5_S1A_jjP12ihipStream_tbEUljE_EEESV_SW_SX_S14_S18_S1A_T6_T7_T9_mT8_S1C_bDpT10_ENKUlT_T0_E_clISt17integral_constantIbLb0EES1O_IbLb1EEEEDaS1K_S1L_EUlS1K_E_NS1_11comp_targetILNS1_3genE9ELNS1_11target_archE1100ELNS1_3gpuE3ELNS1_3repE0EEENS1_30default_config_static_selectorELNS0_4arch9wavefront6targetE1EEEvSY_,comdat
	.globl	_ZN7rocprim17ROCPRIM_400000_NS6detail17trampoline_kernelINS0_13select_configILj256ELj13ELNS0_17block_load_methodE3ELS4_3ELS4_3ELNS0_20block_scan_algorithmE0ELj4294967295EEENS1_25partition_config_selectorILNS1_17partition_subalgoE3EjNS0_10empty_typeEbEEZZNS1_14partition_implILS8_3ELb0ES6_jNS0_17counting_iteratorIjlEEPS9_SE_NS0_5tupleIJPjSE_EEENSF_IJSE_SE_EEES9_SG_JZNS1_25segmented_radix_sort_implINS0_14default_configELb1EPKsPsPKlPlN2at6native12_GLOBAL__N_18offset_tEEE10hipError_tPvRmT1_PNSt15iterator_traitsISY_E10value_typeET2_T3_PNSZ_IS14_E10value_typeET4_jRbjT5_S1A_jjP12ihipStream_tbEUljE_EEESV_SW_SX_S14_S18_S1A_T6_T7_T9_mT8_S1C_bDpT10_ENKUlT_T0_E_clISt17integral_constantIbLb0EES1O_IbLb1EEEEDaS1K_S1L_EUlS1K_E_NS1_11comp_targetILNS1_3genE9ELNS1_11target_archE1100ELNS1_3gpuE3ELNS1_3repE0EEENS1_30default_config_static_selectorELNS0_4arch9wavefront6targetE1EEEvSY_ ; -- Begin function _ZN7rocprim17ROCPRIM_400000_NS6detail17trampoline_kernelINS0_13select_configILj256ELj13ELNS0_17block_load_methodE3ELS4_3ELS4_3ELNS0_20block_scan_algorithmE0ELj4294967295EEENS1_25partition_config_selectorILNS1_17partition_subalgoE3EjNS0_10empty_typeEbEEZZNS1_14partition_implILS8_3ELb0ES6_jNS0_17counting_iteratorIjlEEPS9_SE_NS0_5tupleIJPjSE_EEENSF_IJSE_SE_EEES9_SG_JZNS1_25segmented_radix_sort_implINS0_14default_configELb1EPKsPsPKlPlN2at6native12_GLOBAL__N_18offset_tEEE10hipError_tPvRmT1_PNSt15iterator_traitsISY_E10value_typeET2_T3_PNSZ_IS14_E10value_typeET4_jRbjT5_S1A_jjP12ihipStream_tbEUljE_EEESV_SW_SX_S14_S18_S1A_T6_T7_T9_mT8_S1C_bDpT10_ENKUlT_T0_E_clISt17integral_constantIbLb0EES1O_IbLb1EEEEDaS1K_S1L_EUlS1K_E_NS1_11comp_targetILNS1_3genE9ELNS1_11target_archE1100ELNS1_3gpuE3ELNS1_3repE0EEENS1_30default_config_static_selectorELNS0_4arch9wavefront6targetE1EEEvSY_
	.p2align	8
	.type	_ZN7rocprim17ROCPRIM_400000_NS6detail17trampoline_kernelINS0_13select_configILj256ELj13ELNS0_17block_load_methodE3ELS4_3ELS4_3ELNS0_20block_scan_algorithmE0ELj4294967295EEENS1_25partition_config_selectorILNS1_17partition_subalgoE3EjNS0_10empty_typeEbEEZZNS1_14partition_implILS8_3ELb0ES6_jNS0_17counting_iteratorIjlEEPS9_SE_NS0_5tupleIJPjSE_EEENSF_IJSE_SE_EEES9_SG_JZNS1_25segmented_radix_sort_implINS0_14default_configELb1EPKsPsPKlPlN2at6native12_GLOBAL__N_18offset_tEEE10hipError_tPvRmT1_PNSt15iterator_traitsISY_E10value_typeET2_T3_PNSZ_IS14_E10value_typeET4_jRbjT5_S1A_jjP12ihipStream_tbEUljE_EEESV_SW_SX_S14_S18_S1A_T6_T7_T9_mT8_S1C_bDpT10_ENKUlT_T0_E_clISt17integral_constantIbLb0EES1O_IbLb1EEEEDaS1K_S1L_EUlS1K_E_NS1_11comp_targetILNS1_3genE9ELNS1_11target_archE1100ELNS1_3gpuE3ELNS1_3repE0EEENS1_30default_config_static_selectorELNS0_4arch9wavefront6targetE1EEEvSY_,@function
_ZN7rocprim17ROCPRIM_400000_NS6detail17trampoline_kernelINS0_13select_configILj256ELj13ELNS0_17block_load_methodE3ELS4_3ELS4_3ELNS0_20block_scan_algorithmE0ELj4294967295EEENS1_25partition_config_selectorILNS1_17partition_subalgoE3EjNS0_10empty_typeEbEEZZNS1_14partition_implILS8_3ELb0ES6_jNS0_17counting_iteratorIjlEEPS9_SE_NS0_5tupleIJPjSE_EEENSF_IJSE_SE_EEES9_SG_JZNS1_25segmented_radix_sort_implINS0_14default_configELb1EPKsPsPKlPlN2at6native12_GLOBAL__N_18offset_tEEE10hipError_tPvRmT1_PNSt15iterator_traitsISY_E10value_typeET2_T3_PNSZ_IS14_E10value_typeET4_jRbjT5_S1A_jjP12ihipStream_tbEUljE_EEESV_SW_SX_S14_S18_S1A_T6_T7_T9_mT8_S1C_bDpT10_ENKUlT_T0_E_clISt17integral_constantIbLb0EES1O_IbLb1EEEEDaS1K_S1L_EUlS1K_E_NS1_11comp_targetILNS1_3genE9ELNS1_11target_archE1100ELNS1_3gpuE3ELNS1_3repE0EEENS1_30default_config_static_selectorELNS0_4arch9wavefront6targetE1EEEvSY_: ; @_ZN7rocprim17ROCPRIM_400000_NS6detail17trampoline_kernelINS0_13select_configILj256ELj13ELNS0_17block_load_methodE3ELS4_3ELS4_3ELNS0_20block_scan_algorithmE0ELj4294967295EEENS1_25partition_config_selectorILNS1_17partition_subalgoE3EjNS0_10empty_typeEbEEZZNS1_14partition_implILS8_3ELb0ES6_jNS0_17counting_iteratorIjlEEPS9_SE_NS0_5tupleIJPjSE_EEENSF_IJSE_SE_EEES9_SG_JZNS1_25segmented_radix_sort_implINS0_14default_configELb1EPKsPsPKlPlN2at6native12_GLOBAL__N_18offset_tEEE10hipError_tPvRmT1_PNSt15iterator_traitsISY_E10value_typeET2_T3_PNSZ_IS14_E10value_typeET4_jRbjT5_S1A_jjP12ihipStream_tbEUljE_EEESV_SW_SX_S14_S18_S1A_T6_T7_T9_mT8_S1C_bDpT10_ENKUlT_T0_E_clISt17integral_constantIbLb0EES1O_IbLb1EEEEDaS1K_S1L_EUlS1K_E_NS1_11comp_targetILNS1_3genE9ELNS1_11target_archE1100ELNS1_3gpuE3ELNS1_3repE0EEENS1_30default_config_static_selectorELNS0_4arch9wavefront6targetE1EEEvSY_
; %bb.0:
	.section	.rodata,"a",@progbits
	.p2align	6, 0x0
	.amdhsa_kernel _ZN7rocprim17ROCPRIM_400000_NS6detail17trampoline_kernelINS0_13select_configILj256ELj13ELNS0_17block_load_methodE3ELS4_3ELS4_3ELNS0_20block_scan_algorithmE0ELj4294967295EEENS1_25partition_config_selectorILNS1_17partition_subalgoE3EjNS0_10empty_typeEbEEZZNS1_14partition_implILS8_3ELb0ES6_jNS0_17counting_iteratorIjlEEPS9_SE_NS0_5tupleIJPjSE_EEENSF_IJSE_SE_EEES9_SG_JZNS1_25segmented_radix_sort_implINS0_14default_configELb1EPKsPsPKlPlN2at6native12_GLOBAL__N_18offset_tEEE10hipError_tPvRmT1_PNSt15iterator_traitsISY_E10value_typeET2_T3_PNSZ_IS14_E10value_typeET4_jRbjT5_S1A_jjP12ihipStream_tbEUljE_EEESV_SW_SX_S14_S18_S1A_T6_T7_T9_mT8_S1C_bDpT10_ENKUlT_T0_E_clISt17integral_constantIbLb0EES1O_IbLb1EEEEDaS1K_S1L_EUlS1K_E_NS1_11comp_targetILNS1_3genE9ELNS1_11target_archE1100ELNS1_3gpuE3ELNS1_3repE0EEENS1_30default_config_static_selectorELNS0_4arch9wavefront6targetE1EEEvSY_
		.amdhsa_group_segment_fixed_size 0
		.amdhsa_private_segment_fixed_size 0
		.amdhsa_kernarg_size 152
		.amdhsa_user_sgpr_count 6
		.amdhsa_user_sgpr_private_segment_buffer 1
		.amdhsa_user_sgpr_dispatch_ptr 0
		.amdhsa_user_sgpr_queue_ptr 0
		.amdhsa_user_sgpr_kernarg_segment_ptr 1
		.amdhsa_user_sgpr_dispatch_id 0
		.amdhsa_user_sgpr_flat_scratch_init 0
		.amdhsa_user_sgpr_private_segment_size 0
		.amdhsa_uses_dynamic_stack 0
		.amdhsa_system_sgpr_private_segment_wavefront_offset 0
		.amdhsa_system_sgpr_workgroup_id_x 1
		.amdhsa_system_sgpr_workgroup_id_y 0
		.amdhsa_system_sgpr_workgroup_id_z 0
		.amdhsa_system_sgpr_workgroup_info 0
		.amdhsa_system_vgpr_workitem_id 0
		.amdhsa_next_free_vgpr 1
		.amdhsa_next_free_sgpr 0
		.amdhsa_reserve_vcc 0
		.amdhsa_reserve_flat_scratch 0
		.amdhsa_float_round_mode_32 0
		.amdhsa_float_round_mode_16_64 0
		.amdhsa_float_denorm_mode_32 3
		.amdhsa_float_denorm_mode_16_64 3
		.amdhsa_dx10_clamp 1
		.amdhsa_ieee_mode 1
		.amdhsa_fp16_overflow 0
		.amdhsa_exception_fp_ieee_invalid_op 0
		.amdhsa_exception_fp_denorm_src 0
		.amdhsa_exception_fp_ieee_div_zero 0
		.amdhsa_exception_fp_ieee_overflow 0
		.amdhsa_exception_fp_ieee_underflow 0
		.amdhsa_exception_fp_ieee_inexact 0
		.amdhsa_exception_int_div_zero 0
	.end_amdhsa_kernel
	.section	.text._ZN7rocprim17ROCPRIM_400000_NS6detail17trampoline_kernelINS0_13select_configILj256ELj13ELNS0_17block_load_methodE3ELS4_3ELS4_3ELNS0_20block_scan_algorithmE0ELj4294967295EEENS1_25partition_config_selectorILNS1_17partition_subalgoE3EjNS0_10empty_typeEbEEZZNS1_14partition_implILS8_3ELb0ES6_jNS0_17counting_iteratorIjlEEPS9_SE_NS0_5tupleIJPjSE_EEENSF_IJSE_SE_EEES9_SG_JZNS1_25segmented_radix_sort_implINS0_14default_configELb1EPKsPsPKlPlN2at6native12_GLOBAL__N_18offset_tEEE10hipError_tPvRmT1_PNSt15iterator_traitsISY_E10value_typeET2_T3_PNSZ_IS14_E10value_typeET4_jRbjT5_S1A_jjP12ihipStream_tbEUljE_EEESV_SW_SX_S14_S18_S1A_T6_T7_T9_mT8_S1C_bDpT10_ENKUlT_T0_E_clISt17integral_constantIbLb0EES1O_IbLb1EEEEDaS1K_S1L_EUlS1K_E_NS1_11comp_targetILNS1_3genE9ELNS1_11target_archE1100ELNS1_3gpuE3ELNS1_3repE0EEENS1_30default_config_static_selectorELNS0_4arch9wavefront6targetE1EEEvSY_,"axG",@progbits,_ZN7rocprim17ROCPRIM_400000_NS6detail17trampoline_kernelINS0_13select_configILj256ELj13ELNS0_17block_load_methodE3ELS4_3ELS4_3ELNS0_20block_scan_algorithmE0ELj4294967295EEENS1_25partition_config_selectorILNS1_17partition_subalgoE3EjNS0_10empty_typeEbEEZZNS1_14partition_implILS8_3ELb0ES6_jNS0_17counting_iteratorIjlEEPS9_SE_NS0_5tupleIJPjSE_EEENSF_IJSE_SE_EEES9_SG_JZNS1_25segmented_radix_sort_implINS0_14default_configELb1EPKsPsPKlPlN2at6native12_GLOBAL__N_18offset_tEEE10hipError_tPvRmT1_PNSt15iterator_traitsISY_E10value_typeET2_T3_PNSZ_IS14_E10value_typeET4_jRbjT5_S1A_jjP12ihipStream_tbEUljE_EEESV_SW_SX_S14_S18_S1A_T6_T7_T9_mT8_S1C_bDpT10_ENKUlT_T0_E_clISt17integral_constantIbLb0EES1O_IbLb1EEEEDaS1K_S1L_EUlS1K_E_NS1_11comp_targetILNS1_3genE9ELNS1_11target_archE1100ELNS1_3gpuE3ELNS1_3repE0EEENS1_30default_config_static_selectorELNS0_4arch9wavefront6targetE1EEEvSY_,comdat
.Lfunc_end909:
	.size	_ZN7rocprim17ROCPRIM_400000_NS6detail17trampoline_kernelINS0_13select_configILj256ELj13ELNS0_17block_load_methodE3ELS4_3ELS4_3ELNS0_20block_scan_algorithmE0ELj4294967295EEENS1_25partition_config_selectorILNS1_17partition_subalgoE3EjNS0_10empty_typeEbEEZZNS1_14partition_implILS8_3ELb0ES6_jNS0_17counting_iteratorIjlEEPS9_SE_NS0_5tupleIJPjSE_EEENSF_IJSE_SE_EEES9_SG_JZNS1_25segmented_radix_sort_implINS0_14default_configELb1EPKsPsPKlPlN2at6native12_GLOBAL__N_18offset_tEEE10hipError_tPvRmT1_PNSt15iterator_traitsISY_E10value_typeET2_T3_PNSZ_IS14_E10value_typeET4_jRbjT5_S1A_jjP12ihipStream_tbEUljE_EEESV_SW_SX_S14_S18_S1A_T6_T7_T9_mT8_S1C_bDpT10_ENKUlT_T0_E_clISt17integral_constantIbLb0EES1O_IbLb1EEEEDaS1K_S1L_EUlS1K_E_NS1_11comp_targetILNS1_3genE9ELNS1_11target_archE1100ELNS1_3gpuE3ELNS1_3repE0EEENS1_30default_config_static_selectorELNS0_4arch9wavefront6targetE1EEEvSY_, .Lfunc_end909-_ZN7rocprim17ROCPRIM_400000_NS6detail17trampoline_kernelINS0_13select_configILj256ELj13ELNS0_17block_load_methodE3ELS4_3ELS4_3ELNS0_20block_scan_algorithmE0ELj4294967295EEENS1_25partition_config_selectorILNS1_17partition_subalgoE3EjNS0_10empty_typeEbEEZZNS1_14partition_implILS8_3ELb0ES6_jNS0_17counting_iteratorIjlEEPS9_SE_NS0_5tupleIJPjSE_EEENSF_IJSE_SE_EEES9_SG_JZNS1_25segmented_radix_sort_implINS0_14default_configELb1EPKsPsPKlPlN2at6native12_GLOBAL__N_18offset_tEEE10hipError_tPvRmT1_PNSt15iterator_traitsISY_E10value_typeET2_T3_PNSZ_IS14_E10value_typeET4_jRbjT5_S1A_jjP12ihipStream_tbEUljE_EEESV_SW_SX_S14_S18_S1A_T6_T7_T9_mT8_S1C_bDpT10_ENKUlT_T0_E_clISt17integral_constantIbLb0EES1O_IbLb1EEEEDaS1K_S1L_EUlS1K_E_NS1_11comp_targetILNS1_3genE9ELNS1_11target_archE1100ELNS1_3gpuE3ELNS1_3repE0EEENS1_30default_config_static_selectorELNS0_4arch9wavefront6targetE1EEEvSY_
                                        ; -- End function
	.set _ZN7rocprim17ROCPRIM_400000_NS6detail17trampoline_kernelINS0_13select_configILj256ELj13ELNS0_17block_load_methodE3ELS4_3ELS4_3ELNS0_20block_scan_algorithmE0ELj4294967295EEENS1_25partition_config_selectorILNS1_17partition_subalgoE3EjNS0_10empty_typeEbEEZZNS1_14partition_implILS8_3ELb0ES6_jNS0_17counting_iteratorIjlEEPS9_SE_NS0_5tupleIJPjSE_EEENSF_IJSE_SE_EEES9_SG_JZNS1_25segmented_radix_sort_implINS0_14default_configELb1EPKsPsPKlPlN2at6native12_GLOBAL__N_18offset_tEEE10hipError_tPvRmT1_PNSt15iterator_traitsISY_E10value_typeET2_T3_PNSZ_IS14_E10value_typeET4_jRbjT5_S1A_jjP12ihipStream_tbEUljE_EEESV_SW_SX_S14_S18_S1A_T6_T7_T9_mT8_S1C_bDpT10_ENKUlT_T0_E_clISt17integral_constantIbLb0EES1O_IbLb1EEEEDaS1K_S1L_EUlS1K_E_NS1_11comp_targetILNS1_3genE9ELNS1_11target_archE1100ELNS1_3gpuE3ELNS1_3repE0EEENS1_30default_config_static_selectorELNS0_4arch9wavefront6targetE1EEEvSY_.num_vgpr, 0
	.set _ZN7rocprim17ROCPRIM_400000_NS6detail17trampoline_kernelINS0_13select_configILj256ELj13ELNS0_17block_load_methodE3ELS4_3ELS4_3ELNS0_20block_scan_algorithmE0ELj4294967295EEENS1_25partition_config_selectorILNS1_17partition_subalgoE3EjNS0_10empty_typeEbEEZZNS1_14partition_implILS8_3ELb0ES6_jNS0_17counting_iteratorIjlEEPS9_SE_NS0_5tupleIJPjSE_EEENSF_IJSE_SE_EEES9_SG_JZNS1_25segmented_radix_sort_implINS0_14default_configELb1EPKsPsPKlPlN2at6native12_GLOBAL__N_18offset_tEEE10hipError_tPvRmT1_PNSt15iterator_traitsISY_E10value_typeET2_T3_PNSZ_IS14_E10value_typeET4_jRbjT5_S1A_jjP12ihipStream_tbEUljE_EEESV_SW_SX_S14_S18_S1A_T6_T7_T9_mT8_S1C_bDpT10_ENKUlT_T0_E_clISt17integral_constantIbLb0EES1O_IbLb1EEEEDaS1K_S1L_EUlS1K_E_NS1_11comp_targetILNS1_3genE9ELNS1_11target_archE1100ELNS1_3gpuE3ELNS1_3repE0EEENS1_30default_config_static_selectorELNS0_4arch9wavefront6targetE1EEEvSY_.num_agpr, 0
	.set _ZN7rocprim17ROCPRIM_400000_NS6detail17trampoline_kernelINS0_13select_configILj256ELj13ELNS0_17block_load_methodE3ELS4_3ELS4_3ELNS0_20block_scan_algorithmE0ELj4294967295EEENS1_25partition_config_selectorILNS1_17partition_subalgoE3EjNS0_10empty_typeEbEEZZNS1_14partition_implILS8_3ELb0ES6_jNS0_17counting_iteratorIjlEEPS9_SE_NS0_5tupleIJPjSE_EEENSF_IJSE_SE_EEES9_SG_JZNS1_25segmented_radix_sort_implINS0_14default_configELb1EPKsPsPKlPlN2at6native12_GLOBAL__N_18offset_tEEE10hipError_tPvRmT1_PNSt15iterator_traitsISY_E10value_typeET2_T3_PNSZ_IS14_E10value_typeET4_jRbjT5_S1A_jjP12ihipStream_tbEUljE_EEESV_SW_SX_S14_S18_S1A_T6_T7_T9_mT8_S1C_bDpT10_ENKUlT_T0_E_clISt17integral_constantIbLb0EES1O_IbLb1EEEEDaS1K_S1L_EUlS1K_E_NS1_11comp_targetILNS1_3genE9ELNS1_11target_archE1100ELNS1_3gpuE3ELNS1_3repE0EEENS1_30default_config_static_selectorELNS0_4arch9wavefront6targetE1EEEvSY_.numbered_sgpr, 0
	.set _ZN7rocprim17ROCPRIM_400000_NS6detail17trampoline_kernelINS0_13select_configILj256ELj13ELNS0_17block_load_methodE3ELS4_3ELS4_3ELNS0_20block_scan_algorithmE0ELj4294967295EEENS1_25partition_config_selectorILNS1_17partition_subalgoE3EjNS0_10empty_typeEbEEZZNS1_14partition_implILS8_3ELb0ES6_jNS0_17counting_iteratorIjlEEPS9_SE_NS0_5tupleIJPjSE_EEENSF_IJSE_SE_EEES9_SG_JZNS1_25segmented_radix_sort_implINS0_14default_configELb1EPKsPsPKlPlN2at6native12_GLOBAL__N_18offset_tEEE10hipError_tPvRmT1_PNSt15iterator_traitsISY_E10value_typeET2_T3_PNSZ_IS14_E10value_typeET4_jRbjT5_S1A_jjP12ihipStream_tbEUljE_EEESV_SW_SX_S14_S18_S1A_T6_T7_T9_mT8_S1C_bDpT10_ENKUlT_T0_E_clISt17integral_constantIbLb0EES1O_IbLb1EEEEDaS1K_S1L_EUlS1K_E_NS1_11comp_targetILNS1_3genE9ELNS1_11target_archE1100ELNS1_3gpuE3ELNS1_3repE0EEENS1_30default_config_static_selectorELNS0_4arch9wavefront6targetE1EEEvSY_.num_named_barrier, 0
	.set _ZN7rocprim17ROCPRIM_400000_NS6detail17trampoline_kernelINS0_13select_configILj256ELj13ELNS0_17block_load_methodE3ELS4_3ELS4_3ELNS0_20block_scan_algorithmE0ELj4294967295EEENS1_25partition_config_selectorILNS1_17partition_subalgoE3EjNS0_10empty_typeEbEEZZNS1_14partition_implILS8_3ELb0ES6_jNS0_17counting_iteratorIjlEEPS9_SE_NS0_5tupleIJPjSE_EEENSF_IJSE_SE_EEES9_SG_JZNS1_25segmented_radix_sort_implINS0_14default_configELb1EPKsPsPKlPlN2at6native12_GLOBAL__N_18offset_tEEE10hipError_tPvRmT1_PNSt15iterator_traitsISY_E10value_typeET2_T3_PNSZ_IS14_E10value_typeET4_jRbjT5_S1A_jjP12ihipStream_tbEUljE_EEESV_SW_SX_S14_S18_S1A_T6_T7_T9_mT8_S1C_bDpT10_ENKUlT_T0_E_clISt17integral_constantIbLb0EES1O_IbLb1EEEEDaS1K_S1L_EUlS1K_E_NS1_11comp_targetILNS1_3genE9ELNS1_11target_archE1100ELNS1_3gpuE3ELNS1_3repE0EEENS1_30default_config_static_selectorELNS0_4arch9wavefront6targetE1EEEvSY_.private_seg_size, 0
	.set _ZN7rocprim17ROCPRIM_400000_NS6detail17trampoline_kernelINS0_13select_configILj256ELj13ELNS0_17block_load_methodE3ELS4_3ELS4_3ELNS0_20block_scan_algorithmE0ELj4294967295EEENS1_25partition_config_selectorILNS1_17partition_subalgoE3EjNS0_10empty_typeEbEEZZNS1_14partition_implILS8_3ELb0ES6_jNS0_17counting_iteratorIjlEEPS9_SE_NS0_5tupleIJPjSE_EEENSF_IJSE_SE_EEES9_SG_JZNS1_25segmented_radix_sort_implINS0_14default_configELb1EPKsPsPKlPlN2at6native12_GLOBAL__N_18offset_tEEE10hipError_tPvRmT1_PNSt15iterator_traitsISY_E10value_typeET2_T3_PNSZ_IS14_E10value_typeET4_jRbjT5_S1A_jjP12ihipStream_tbEUljE_EEESV_SW_SX_S14_S18_S1A_T6_T7_T9_mT8_S1C_bDpT10_ENKUlT_T0_E_clISt17integral_constantIbLb0EES1O_IbLb1EEEEDaS1K_S1L_EUlS1K_E_NS1_11comp_targetILNS1_3genE9ELNS1_11target_archE1100ELNS1_3gpuE3ELNS1_3repE0EEENS1_30default_config_static_selectorELNS0_4arch9wavefront6targetE1EEEvSY_.uses_vcc, 0
	.set _ZN7rocprim17ROCPRIM_400000_NS6detail17trampoline_kernelINS0_13select_configILj256ELj13ELNS0_17block_load_methodE3ELS4_3ELS4_3ELNS0_20block_scan_algorithmE0ELj4294967295EEENS1_25partition_config_selectorILNS1_17partition_subalgoE3EjNS0_10empty_typeEbEEZZNS1_14partition_implILS8_3ELb0ES6_jNS0_17counting_iteratorIjlEEPS9_SE_NS0_5tupleIJPjSE_EEENSF_IJSE_SE_EEES9_SG_JZNS1_25segmented_radix_sort_implINS0_14default_configELb1EPKsPsPKlPlN2at6native12_GLOBAL__N_18offset_tEEE10hipError_tPvRmT1_PNSt15iterator_traitsISY_E10value_typeET2_T3_PNSZ_IS14_E10value_typeET4_jRbjT5_S1A_jjP12ihipStream_tbEUljE_EEESV_SW_SX_S14_S18_S1A_T6_T7_T9_mT8_S1C_bDpT10_ENKUlT_T0_E_clISt17integral_constantIbLb0EES1O_IbLb1EEEEDaS1K_S1L_EUlS1K_E_NS1_11comp_targetILNS1_3genE9ELNS1_11target_archE1100ELNS1_3gpuE3ELNS1_3repE0EEENS1_30default_config_static_selectorELNS0_4arch9wavefront6targetE1EEEvSY_.uses_flat_scratch, 0
	.set _ZN7rocprim17ROCPRIM_400000_NS6detail17trampoline_kernelINS0_13select_configILj256ELj13ELNS0_17block_load_methodE3ELS4_3ELS4_3ELNS0_20block_scan_algorithmE0ELj4294967295EEENS1_25partition_config_selectorILNS1_17partition_subalgoE3EjNS0_10empty_typeEbEEZZNS1_14partition_implILS8_3ELb0ES6_jNS0_17counting_iteratorIjlEEPS9_SE_NS0_5tupleIJPjSE_EEENSF_IJSE_SE_EEES9_SG_JZNS1_25segmented_radix_sort_implINS0_14default_configELb1EPKsPsPKlPlN2at6native12_GLOBAL__N_18offset_tEEE10hipError_tPvRmT1_PNSt15iterator_traitsISY_E10value_typeET2_T3_PNSZ_IS14_E10value_typeET4_jRbjT5_S1A_jjP12ihipStream_tbEUljE_EEESV_SW_SX_S14_S18_S1A_T6_T7_T9_mT8_S1C_bDpT10_ENKUlT_T0_E_clISt17integral_constantIbLb0EES1O_IbLb1EEEEDaS1K_S1L_EUlS1K_E_NS1_11comp_targetILNS1_3genE9ELNS1_11target_archE1100ELNS1_3gpuE3ELNS1_3repE0EEENS1_30default_config_static_selectorELNS0_4arch9wavefront6targetE1EEEvSY_.has_dyn_sized_stack, 0
	.set _ZN7rocprim17ROCPRIM_400000_NS6detail17trampoline_kernelINS0_13select_configILj256ELj13ELNS0_17block_load_methodE3ELS4_3ELS4_3ELNS0_20block_scan_algorithmE0ELj4294967295EEENS1_25partition_config_selectorILNS1_17partition_subalgoE3EjNS0_10empty_typeEbEEZZNS1_14partition_implILS8_3ELb0ES6_jNS0_17counting_iteratorIjlEEPS9_SE_NS0_5tupleIJPjSE_EEENSF_IJSE_SE_EEES9_SG_JZNS1_25segmented_radix_sort_implINS0_14default_configELb1EPKsPsPKlPlN2at6native12_GLOBAL__N_18offset_tEEE10hipError_tPvRmT1_PNSt15iterator_traitsISY_E10value_typeET2_T3_PNSZ_IS14_E10value_typeET4_jRbjT5_S1A_jjP12ihipStream_tbEUljE_EEESV_SW_SX_S14_S18_S1A_T6_T7_T9_mT8_S1C_bDpT10_ENKUlT_T0_E_clISt17integral_constantIbLb0EES1O_IbLb1EEEEDaS1K_S1L_EUlS1K_E_NS1_11comp_targetILNS1_3genE9ELNS1_11target_archE1100ELNS1_3gpuE3ELNS1_3repE0EEENS1_30default_config_static_selectorELNS0_4arch9wavefront6targetE1EEEvSY_.has_recursion, 0
	.set _ZN7rocprim17ROCPRIM_400000_NS6detail17trampoline_kernelINS0_13select_configILj256ELj13ELNS0_17block_load_methodE3ELS4_3ELS4_3ELNS0_20block_scan_algorithmE0ELj4294967295EEENS1_25partition_config_selectorILNS1_17partition_subalgoE3EjNS0_10empty_typeEbEEZZNS1_14partition_implILS8_3ELb0ES6_jNS0_17counting_iteratorIjlEEPS9_SE_NS0_5tupleIJPjSE_EEENSF_IJSE_SE_EEES9_SG_JZNS1_25segmented_radix_sort_implINS0_14default_configELb1EPKsPsPKlPlN2at6native12_GLOBAL__N_18offset_tEEE10hipError_tPvRmT1_PNSt15iterator_traitsISY_E10value_typeET2_T3_PNSZ_IS14_E10value_typeET4_jRbjT5_S1A_jjP12ihipStream_tbEUljE_EEESV_SW_SX_S14_S18_S1A_T6_T7_T9_mT8_S1C_bDpT10_ENKUlT_T0_E_clISt17integral_constantIbLb0EES1O_IbLb1EEEEDaS1K_S1L_EUlS1K_E_NS1_11comp_targetILNS1_3genE9ELNS1_11target_archE1100ELNS1_3gpuE3ELNS1_3repE0EEENS1_30default_config_static_selectorELNS0_4arch9wavefront6targetE1EEEvSY_.has_indirect_call, 0
	.section	.AMDGPU.csdata,"",@progbits
; Kernel info:
; codeLenInByte = 0
; TotalNumSgprs: 4
; NumVgprs: 0
; ScratchSize: 0
; MemoryBound: 0
; FloatMode: 240
; IeeeMode: 1
; LDSByteSize: 0 bytes/workgroup (compile time only)
; SGPRBlocks: 0
; VGPRBlocks: 0
; NumSGPRsForWavesPerEU: 4
; NumVGPRsForWavesPerEU: 1
; Occupancy: 10
; WaveLimiterHint : 0
; COMPUTE_PGM_RSRC2:SCRATCH_EN: 0
; COMPUTE_PGM_RSRC2:USER_SGPR: 6
; COMPUTE_PGM_RSRC2:TRAP_HANDLER: 0
; COMPUTE_PGM_RSRC2:TGID_X_EN: 1
; COMPUTE_PGM_RSRC2:TGID_Y_EN: 0
; COMPUTE_PGM_RSRC2:TGID_Z_EN: 0
; COMPUTE_PGM_RSRC2:TIDIG_COMP_CNT: 0
	.section	.text._ZN7rocprim17ROCPRIM_400000_NS6detail17trampoline_kernelINS0_13select_configILj256ELj13ELNS0_17block_load_methodE3ELS4_3ELS4_3ELNS0_20block_scan_algorithmE0ELj4294967295EEENS1_25partition_config_selectorILNS1_17partition_subalgoE3EjNS0_10empty_typeEbEEZZNS1_14partition_implILS8_3ELb0ES6_jNS0_17counting_iteratorIjlEEPS9_SE_NS0_5tupleIJPjSE_EEENSF_IJSE_SE_EEES9_SG_JZNS1_25segmented_radix_sort_implINS0_14default_configELb1EPKsPsPKlPlN2at6native12_GLOBAL__N_18offset_tEEE10hipError_tPvRmT1_PNSt15iterator_traitsISY_E10value_typeET2_T3_PNSZ_IS14_E10value_typeET4_jRbjT5_S1A_jjP12ihipStream_tbEUljE_EEESV_SW_SX_S14_S18_S1A_T6_T7_T9_mT8_S1C_bDpT10_ENKUlT_T0_E_clISt17integral_constantIbLb0EES1O_IbLb1EEEEDaS1K_S1L_EUlS1K_E_NS1_11comp_targetILNS1_3genE8ELNS1_11target_archE1030ELNS1_3gpuE2ELNS1_3repE0EEENS1_30default_config_static_selectorELNS0_4arch9wavefront6targetE1EEEvSY_,"axG",@progbits,_ZN7rocprim17ROCPRIM_400000_NS6detail17trampoline_kernelINS0_13select_configILj256ELj13ELNS0_17block_load_methodE3ELS4_3ELS4_3ELNS0_20block_scan_algorithmE0ELj4294967295EEENS1_25partition_config_selectorILNS1_17partition_subalgoE3EjNS0_10empty_typeEbEEZZNS1_14partition_implILS8_3ELb0ES6_jNS0_17counting_iteratorIjlEEPS9_SE_NS0_5tupleIJPjSE_EEENSF_IJSE_SE_EEES9_SG_JZNS1_25segmented_radix_sort_implINS0_14default_configELb1EPKsPsPKlPlN2at6native12_GLOBAL__N_18offset_tEEE10hipError_tPvRmT1_PNSt15iterator_traitsISY_E10value_typeET2_T3_PNSZ_IS14_E10value_typeET4_jRbjT5_S1A_jjP12ihipStream_tbEUljE_EEESV_SW_SX_S14_S18_S1A_T6_T7_T9_mT8_S1C_bDpT10_ENKUlT_T0_E_clISt17integral_constantIbLb0EES1O_IbLb1EEEEDaS1K_S1L_EUlS1K_E_NS1_11comp_targetILNS1_3genE8ELNS1_11target_archE1030ELNS1_3gpuE2ELNS1_3repE0EEENS1_30default_config_static_selectorELNS0_4arch9wavefront6targetE1EEEvSY_,comdat
	.globl	_ZN7rocprim17ROCPRIM_400000_NS6detail17trampoline_kernelINS0_13select_configILj256ELj13ELNS0_17block_load_methodE3ELS4_3ELS4_3ELNS0_20block_scan_algorithmE0ELj4294967295EEENS1_25partition_config_selectorILNS1_17partition_subalgoE3EjNS0_10empty_typeEbEEZZNS1_14partition_implILS8_3ELb0ES6_jNS0_17counting_iteratorIjlEEPS9_SE_NS0_5tupleIJPjSE_EEENSF_IJSE_SE_EEES9_SG_JZNS1_25segmented_radix_sort_implINS0_14default_configELb1EPKsPsPKlPlN2at6native12_GLOBAL__N_18offset_tEEE10hipError_tPvRmT1_PNSt15iterator_traitsISY_E10value_typeET2_T3_PNSZ_IS14_E10value_typeET4_jRbjT5_S1A_jjP12ihipStream_tbEUljE_EEESV_SW_SX_S14_S18_S1A_T6_T7_T9_mT8_S1C_bDpT10_ENKUlT_T0_E_clISt17integral_constantIbLb0EES1O_IbLb1EEEEDaS1K_S1L_EUlS1K_E_NS1_11comp_targetILNS1_3genE8ELNS1_11target_archE1030ELNS1_3gpuE2ELNS1_3repE0EEENS1_30default_config_static_selectorELNS0_4arch9wavefront6targetE1EEEvSY_ ; -- Begin function _ZN7rocprim17ROCPRIM_400000_NS6detail17trampoline_kernelINS0_13select_configILj256ELj13ELNS0_17block_load_methodE3ELS4_3ELS4_3ELNS0_20block_scan_algorithmE0ELj4294967295EEENS1_25partition_config_selectorILNS1_17partition_subalgoE3EjNS0_10empty_typeEbEEZZNS1_14partition_implILS8_3ELb0ES6_jNS0_17counting_iteratorIjlEEPS9_SE_NS0_5tupleIJPjSE_EEENSF_IJSE_SE_EEES9_SG_JZNS1_25segmented_radix_sort_implINS0_14default_configELb1EPKsPsPKlPlN2at6native12_GLOBAL__N_18offset_tEEE10hipError_tPvRmT1_PNSt15iterator_traitsISY_E10value_typeET2_T3_PNSZ_IS14_E10value_typeET4_jRbjT5_S1A_jjP12ihipStream_tbEUljE_EEESV_SW_SX_S14_S18_S1A_T6_T7_T9_mT8_S1C_bDpT10_ENKUlT_T0_E_clISt17integral_constantIbLb0EES1O_IbLb1EEEEDaS1K_S1L_EUlS1K_E_NS1_11comp_targetILNS1_3genE8ELNS1_11target_archE1030ELNS1_3gpuE2ELNS1_3repE0EEENS1_30default_config_static_selectorELNS0_4arch9wavefront6targetE1EEEvSY_
	.p2align	8
	.type	_ZN7rocprim17ROCPRIM_400000_NS6detail17trampoline_kernelINS0_13select_configILj256ELj13ELNS0_17block_load_methodE3ELS4_3ELS4_3ELNS0_20block_scan_algorithmE0ELj4294967295EEENS1_25partition_config_selectorILNS1_17partition_subalgoE3EjNS0_10empty_typeEbEEZZNS1_14partition_implILS8_3ELb0ES6_jNS0_17counting_iteratorIjlEEPS9_SE_NS0_5tupleIJPjSE_EEENSF_IJSE_SE_EEES9_SG_JZNS1_25segmented_radix_sort_implINS0_14default_configELb1EPKsPsPKlPlN2at6native12_GLOBAL__N_18offset_tEEE10hipError_tPvRmT1_PNSt15iterator_traitsISY_E10value_typeET2_T3_PNSZ_IS14_E10value_typeET4_jRbjT5_S1A_jjP12ihipStream_tbEUljE_EEESV_SW_SX_S14_S18_S1A_T6_T7_T9_mT8_S1C_bDpT10_ENKUlT_T0_E_clISt17integral_constantIbLb0EES1O_IbLb1EEEEDaS1K_S1L_EUlS1K_E_NS1_11comp_targetILNS1_3genE8ELNS1_11target_archE1030ELNS1_3gpuE2ELNS1_3repE0EEENS1_30default_config_static_selectorELNS0_4arch9wavefront6targetE1EEEvSY_,@function
_ZN7rocprim17ROCPRIM_400000_NS6detail17trampoline_kernelINS0_13select_configILj256ELj13ELNS0_17block_load_methodE3ELS4_3ELS4_3ELNS0_20block_scan_algorithmE0ELj4294967295EEENS1_25partition_config_selectorILNS1_17partition_subalgoE3EjNS0_10empty_typeEbEEZZNS1_14partition_implILS8_3ELb0ES6_jNS0_17counting_iteratorIjlEEPS9_SE_NS0_5tupleIJPjSE_EEENSF_IJSE_SE_EEES9_SG_JZNS1_25segmented_radix_sort_implINS0_14default_configELb1EPKsPsPKlPlN2at6native12_GLOBAL__N_18offset_tEEE10hipError_tPvRmT1_PNSt15iterator_traitsISY_E10value_typeET2_T3_PNSZ_IS14_E10value_typeET4_jRbjT5_S1A_jjP12ihipStream_tbEUljE_EEESV_SW_SX_S14_S18_S1A_T6_T7_T9_mT8_S1C_bDpT10_ENKUlT_T0_E_clISt17integral_constantIbLb0EES1O_IbLb1EEEEDaS1K_S1L_EUlS1K_E_NS1_11comp_targetILNS1_3genE8ELNS1_11target_archE1030ELNS1_3gpuE2ELNS1_3repE0EEENS1_30default_config_static_selectorELNS0_4arch9wavefront6targetE1EEEvSY_: ; @_ZN7rocprim17ROCPRIM_400000_NS6detail17trampoline_kernelINS0_13select_configILj256ELj13ELNS0_17block_load_methodE3ELS4_3ELS4_3ELNS0_20block_scan_algorithmE0ELj4294967295EEENS1_25partition_config_selectorILNS1_17partition_subalgoE3EjNS0_10empty_typeEbEEZZNS1_14partition_implILS8_3ELb0ES6_jNS0_17counting_iteratorIjlEEPS9_SE_NS0_5tupleIJPjSE_EEENSF_IJSE_SE_EEES9_SG_JZNS1_25segmented_radix_sort_implINS0_14default_configELb1EPKsPsPKlPlN2at6native12_GLOBAL__N_18offset_tEEE10hipError_tPvRmT1_PNSt15iterator_traitsISY_E10value_typeET2_T3_PNSZ_IS14_E10value_typeET4_jRbjT5_S1A_jjP12ihipStream_tbEUljE_EEESV_SW_SX_S14_S18_S1A_T6_T7_T9_mT8_S1C_bDpT10_ENKUlT_T0_E_clISt17integral_constantIbLb0EES1O_IbLb1EEEEDaS1K_S1L_EUlS1K_E_NS1_11comp_targetILNS1_3genE8ELNS1_11target_archE1030ELNS1_3gpuE2ELNS1_3repE0EEENS1_30default_config_static_selectorELNS0_4arch9wavefront6targetE1EEEvSY_
; %bb.0:
	.section	.rodata,"a",@progbits
	.p2align	6, 0x0
	.amdhsa_kernel _ZN7rocprim17ROCPRIM_400000_NS6detail17trampoline_kernelINS0_13select_configILj256ELj13ELNS0_17block_load_methodE3ELS4_3ELS4_3ELNS0_20block_scan_algorithmE0ELj4294967295EEENS1_25partition_config_selectorILNS1_17partition_subalgoE3EjNS0_10empty_typeEbEEZZNS1_14partition_implILS8_3ELb0ES6_jNS0_17counting_iteratorIjlEEPS9_SE_NS0_5tupleIJPjSE_EEENSF_IJSE_SE_EEES9_SG_JZNS1_25segmented_radix_sort_implINS0_14default_configELb1EPKsPsPKlPlN2at6native12_GLOBAL__N_18offset_tEEE10hipError_tPvRmT1_PNSt15iterator_traitsISY_E10value_typeET2_T3_PNSZ_IS14_E10value_typeET4_jRbjT5_S1A_jjP12ihipStream_tbEUljE_EEESV_SW_SX_S14_S18_S1A_T6_T7_T9_mT8_S1C_bDpT10_ENKUlT_T0_E_clISt17integral_constantIbLb0EES1O_IbLb1EEEEDaS1K_S1L_EUlS1K_E_NS1_11comp_targetILNS1_3genE8ELNS1_11target_archE1030ELNS1_3gpuE2ELNS1_3repE0EEENS1_30default_config_static_selectorELNS0_4arch9wavefront6targetE1EEEvSY_
		.amdhsa_group_segment_fixed_size 0
		.amdhsa_private_segment_fixed_size 0
		.amdhsa_kernarg_size 152
		.amdhsa_user_sgpr_count 6
		.amdhsa_user_sgpr_private_segment_buffer 1
		.amdhsa_user_sgpr_dispatch_ptr 0
		.amdhsa_user_sgpr_queue_ptr 0
		.amdhsa_user_sgpr_kernarg_segment_ptr 1
		.amdhsa_user_sgpr_dispatch_id 0
		.amdhsa_user_sgpr_flat_scratch_init 0
		.amdhsa_user_sgpr_private_segment_size 0
		.amdhsa_uses_dynamic_stack 0
		.amdhsa_system_sgpr_private_segment_wavefront_offset 0
		.amdhsa_system_sgpr_workgroup_id_x 1
		.amdhsa_system_sgpr_workgroup_id_y 0
		.amdhsa_system_sgpr_workgroup_id_z 0
		.amdhsa_system_sgpr_workgroup_info 0
		.amdhsa_system_vgpr_workitem_id 0
		.amdhsa_next_free_vgpr 1
		.amdhsa_next_free_sgpr 0
		.amdhsa_reserve_vcc 0
		.amdhsa_reserve_flat_scratch 0
		.amdhsa_float_round_mode_32 0
		.amdhsa_float_round_mode_16_64 0
		.amdhsa_float_denorm_mode_32 3
		.amdhsa_float_denorm_mode_16_64 3
		.amdhsa_dx10_clamp 1
		.amdhsa_ieee_mode 1
		.amdhsa_fp16_overflow 0
		.amdhsa_exception_fp_ieee_invalid_op 0
		.amdhsa_exception_fp_denorm_src 0
		.amdhsa_exception_fp_ieee_div_zero 0
		.amdhsa_exception_fp_ieee_overflow 0
		.amdhsa_exception_fp_ieee_underflow 0
		.amdhsa_exception_fp_ieee_inexact 0
		.amdhsa_exception_int_div_zero 0
	.end_amdhsa_kernel
	.section	.text._ZN7rocprim17ROCPRIM_400000_NS6detail17trampoline_kernelINS0_13select_configILj256ELj13ELNS0_17block_load_methodE3ELS4_3ELS4_3ELNS0_20block_scan_algorithmE0ELj4294967295EEENS1_25partition_config_selectorILNS1_17partition_subalgoE3EjNS0_10empty_typeEbEEZZNS1_14partition_implILS8_3ELb0ES6_jNS0_17counting_iteratorIjlEEPS9_SE_NS0_5tupleIJPjSE_EEENSF_IJSE_SE_EEES9_SG_JZNS1_25segmented_radix_sort_implINS0_14default_configELb1EPKsPsPKlPlN2at6native12_GLOBAL__N_18offset_tEEE10hipError_tPvRmT1_PNSt15iterator_traitsISY_E10value_typeET2_T3_PNSZ_IS14_E10value_typeET4_jRbjT5_S1A_jjP12ihipStream_tbEUljE_EEESV_SW_SX_S14_S18_S1A_T6_T7_T9_mT8_S1C_bDpT10_ENKUlT_T0_E_clISt17integral_constantIbLb0EES1O_IbLb1EEEEDaS1K_S1L_EUlS1K_E_NS1_11comp_targetILNS1_3genE8ELNS1_11target_archE1030ELNS1_3gpuE2ELNS1_3repE0EEENS1_30default_config_static_selectorELNS0_4arch9wavefront6targetE1EEEvSY_,"axG",@progbits,_ZN7rocprim17ROCPRIM_400000_NS6detail17trampoline_kernelINS0_13select_configILj256ELj13ELNS0_17block_load_methodE3ELS4_3ELS4_3ELNS0_20block_scan_algorithmE0ELj4294967295EEENS1_25partition_config_selectorILNS1_17partition_subalgoE3EjNS0_10empty_typeEbEEZZNS1_14partition_implILS8_3ELb0ES6_jNS0_17counting_iteratorIjlEEPS9_SE_NS0_5tupleIJPjSE_EEENSF_IJSE_SE_EEES9_SG_JZNS1_25segmented_radix_sort_implINS0_14default_configELb1EPKsPsPKlPlN2at6native12_GLOBAL__N_18offset_tEEE10hipError_tPvRmT1_PNSt15iterator_traitsISY_E10value_typeET2_T3_PNSZ_IS14_E10value_typeET4_jRbjT5_S1A_jjP12ihipStream_tbEUljE_EEESV_SW_SX_S14_S18_S1A_T6_T7_T9_mT8_S1C_bDpT10_ENKUlT_T0_E_clISt17integral_constantIbLb0EES1O_IbLb1EEEEDaS1K_S1L_EUlS1K_E_NS1_11comp_targetILNS1_3genE8ELNS1_11target_archE1030ELNS1_3gpuE2ELNS1_3repE0EEENS1_30default_config_static_selectorELNS0_4arch9wavefront6targetE1EEEvSY_,comdat
.Lfunc_end910:
	.size	_ZN7rocprim17ROCPRIM_400000_NS6detail17trampoline_kernelINS0_13select_configILj256ELj13ELNS0_17block_load_methodE3ELS4_3ELS4_3ELNS0_20block_scan_algorithmE0ELj4294967295EEENS1_25partition_config_selectorILNS1_17partition_subalgoE3EjNS0_10empty_typeEbEEZZNS1_14partition_implILS8_3ELb0ES6_jNS0_17counting_iteratorIjlEEPS9_SE_NS0_5tupleIJPjSE_EEENSF_IJSE_SE_EEES9_SG_JZNS1_25segmented_radix_sort_implINS0_14default_configELb1EPKsPsPKlPlN2at6native12_GLOBAL__N_18offset_tEEE10hipError_tPvRmT1_PNSt15iterator_traitsISY_E10value_typeET2_T3_PNSZ_IS14_E10value_typeET4_jRbjT5_S1A_jjP12ihipStream_tbEUljE_EEESV_SW_SX_S14_S18_S1A_T6_T7_T9_mT8_S1C_bDpT10_ENKUlT_T0_E_clISt17integral_constantIbLb0EES1O_IbLb1EEEEDaS1K_S1L_EUlS1K_E_NS1_11comp_targetILNS1_3genE8ELNS1_11target_archE1030ELNS1_3gpuE2ELNS1_3repE0EEENS1_30default_config_static_selectorELNS0_4arch9wavefront6targetE1EEEvSY_, .Lfunc_end910-_ZN7rocprim17ROCPRIM_400000_NS6detail17trampoline_kernelINS0_13select_configILj256ELj13ELNS0_17block_load_methodE3ELS4_3ELS4_3ELNS0_20block_scan_algorithmE0ELj4294967295EEENS1_25partition_config_selectorILNS1_17partition_subalgoE3EjNS0_10empty_typeEbEEZZNS1_14partition_implILS8_3ELb0ES6_jNS0_17counting_iteratorIjlEEPS9_SE_NS0_5tupleIJPjSE_EEENSF_IJSE_SE_EEES9_SG_JZNS1_25segmented_radix_sort_implINS0_14default_configELb1EPKsPsPKlPlN2at6native12_GLOBAL__N_18offset_tEEE10hipError_tPvRmT1_PNSt15iterator_traitsISY_E10value_typeET2_T3_PNSZ_IS14_E10value_typeET4_jRbjT5_S1A_jjP12ihipStream_tbEUljE_EEESV_SW_SX_S14_S18_S1A_T6_T7_T9_mT8_S1C_bDpT10_ENKUlT_T0_E_clISt17integral_constantIbLb0EES1O_IbLb1EEEEDaS1K_S1L_EUlS1K_E_NS1_11comp_targetILNS1_3genE8ELNS1_11target_archE1030ELNS1_3gpuE2ELNS1_3repE0EEENS1_30default_config_static_selectorELNS0_4arch9wavefront6targetE1EEEvSY_
                                        ; -- End function
	.set _ZN7rocprim17ROCPRIM_400000_NS6detail17trampoline_kernelINS0_13select_configILj256ELj13ELNS0_17block_load_methodE3ELS4_3ELS4_3ELNS0_20block_scan_algorithmE0ELj4294967295EEENS1_25partition_config_selectorILNS1_17partition_subalgoE3EjNS0_10empty_typeEbEEZZNS1_14partition_implILS8_3ELb0ES6_jNS0_17counting_iteratorIjlEEPS9_SE_NS0_5tupleIJPjSE_EEENSF_IJSE_SE_EEES9_SG_JZNS1_25segmented_radix_sort_implINS0_14default_configELb1EPKsPsPKlPlN2at6native12_GLOBAL__N_18offset_tEEE10hipError_tPvRmT1_PNSt15iterator_traitsISY_E10value_typeET2_T3_PNSZ_IS14_E10value_typeET4_jRbjT5_S1A_jjP12ihipStream_tbEUljE_EEESV_SW_SX_S14_S18_S1A_T6_T7_T9_mT8_S1C_bDpT10_ENKUlT_T0_E_clISt17integral_constantIbLb0EES1O_IbLb1EEEEDaS1K_S1L_EUlS1K_E_NS1_11comp_targetILNS1_3genE8ELNS1_11target_archE1030ELNS1_3gpuE2ELNS1_3repE0EEENS1_30default_config_static_selectorELNS0_4arch9wavefront6targetE1EEEvSY_.num_vgpr, 0
	.set _ZN7rocprim17ROCPRIM_400000_NS6detail17trampoline_kernelINS0_13select_configILj256ELj13ELNS0_17block_load_methodE3ELS4_3ELS4_3ELNS0_20block_scan_algorithmE0ELj4294967295EEENS1_25partition_config_selectorILNS1_17partition_subalgoE3EjNS0_10empty_typeEbEEZZNS1_14partition_implILS8_3ELb0ES6_jNS0_17counting_iteratorIjlEEPS9_SE_NS0_5tupleIJPjSE_EEENSF_IJSE_SE_EEES9_SG_JZNS1_25segmented_radix_sort_implINS0_14default_configELb1EPKsPsPKlPlN2at6native12_GLOBAL__N_18offset_tEEE10hipError_tPvRmT1_PNSt15iterator_traitsISY_E10value_typeET2_T3_PNSZ_IS14_E10value_typeET4_jRbjT5_S1A_jjP12ihipStream_tbEUljE_EEESV_SW_SX_S14_S18_S1A_T6_T7_T9_mT8_S1C_bDpT10_ENKUlT_T0_E_clISt17integral_constantIbLb0EES1O_IbLb1EEEEDaS1K_S1L_EUlS1K_E_NS1_11comp_targetILNS1_3genE8ELNS1_11target_archE1030ELNS1_3gpuE2ELNS1_3repE0EEENS1_30default_config_static_selectorELNS0_4arch9wavefront6targetE1EEEvSY_.num_agpr, 0
	.set _ZN7rocprim17ROCPRIM_400000_NS6detail17trampoline_kernelINS0_13select_configILj256ELj13ELNS0_17block_load_methodE3ELS4_3ELS4_3ELNS0_20block_scan_algorithmE0ELj4294967295EEENS1_25partition_config_selectorILNS1_17partition_subalgoE3EjNS0_10empty_typeEbEEZZNS1_14partition_implILS8_3ELb0ES6_jNS0_17counting_iteratorIjlEEPS9_SE_NS0_5tupleIJPjSE_EEENSF_IJSE_SE_EEES9_SG_JZNS1_25segmented_radix_sort_implINS0_14default_configELb1EPKsPsPKlPlN2at6native12_GLOBAL__N_18offset_tEEE10hipError_tPvRmT1_PNSt15iterator_traitsISY_E10value_typeET2_T3_PNSZ_IS14_E10value_typeET4_jRbjT5_S1A_jjP12ihipStream_tbEUljE_EEESV_SW_SX_S14_S18_S1A_T6_T7_T9_mT8_S1C_bDpT10_ENKUlT_T0_E_clISt17integral_constantIbLb0EES1O_IbLb1EEEEDaS1K_S1L_EUlS1K_E_NS1_11comp_targetILNS1_3genE8ELNS1_11target_archE1030ELNS1_3gpuE2ELNS1_3repE0EEENS1_30default_config_static_selectorELNS0_4arch9wavefront6targetE1EEEvSY_.numbered_sgpr, 0
	.set _ZN7rocprim17ROCPRIM_400000_NS6detail17trampoline_kernelINS0_13select_configILj256ELj13ELNS0_17block_load_methodE3ELS4_3ELS4_3ELNS0_20block_scan_algorithmE0ELj4294967295EEENS1_25partition_config_selectorILNS1_17partition_subalgoE3EjNS0_10empty_typeEbEEZZNS1_14partition_implILS8_3ELb0ES6_jNS0_17counting_iteratorIjlEEPS9_SE_NS0_5tupleIJPjSE_EEENSF_IJSE_SE_EEES9_SG_JZNS1_25segmented_radix_sort_implINS0_14default_configELb1EPKsPsPKlPlN2at6native12_GLOBAL__N_18offset_tEEE10hipError_tPvRmT1_PNSt15iterator_traitsISY_E10value_typeET2_T3_PNSZ_IS14_E10value_typeET4_jRbjT5_S1A_jjP12ihipStream_tbEUljE_EEESV_SW_SX_S14_S18_S1A_T6_T7_T9_mT8_S1C_bDpT10_ENKUlT_T0_E_clISt17integral_constantIbLb0EES1O_IbLb1EEEEDaS1K_S1L_EUlS1K_E_NS1_11comp_targetILNS1_3genE8ELNS1_11target_archE1030ELNS1_3gpuE2ELNS1_3repE0EEENS1_30default_config_static_selectorELNS0_4arch9wavefront6targetE1EEEvSY_.num_named_barrier, 0
	.set _ZN7rocprim17ROCPRIM_400000_NS6detail17trampoline_kernelINS0_13select_configILj256ELj13ELNS0_17block_load_methodE3ELS4_3ELS4_3ELNS0_20block_scan_algorithmE0ELj4294967295EEENS1_25partition_config_selectorILNS1_17partition_subalgoE3EjNS0_10empty_typeEbEEZZNS1_14partition_implILS8_3ELb0ES6_jNS0_17counting_iteratorIjlEEPS9_SE_NS0_5tupleIJPjSE_EEENSF_IJSE_SE_EEES9_SG_JZNS1_25segmented_radix_sort_implINS0_14default_configELb1EPKsPsPKlPlN2at6native12_GLOBAL__N_18offset_tEEE10hipError_tPvRmT1_PNSt15iterator_traitsISY_E10value_typeET2_T3_PNSZ_IS14_E10value_typeET4_jRbjT5_S1A_jjP12ihipStream_tbEUljE_EEESV_SW_SX_S14_S18_S1A_T6_T7_T9_mT8_S1C_bDpT10_ENKUlT_T0_E_clISt17integral_constantIbLb0EES1O_IbLb1EEEEDaS1K_S1L_EUlS1K_E_NS1_11comp_targetILNS1_3genE8ELNS1_11target_archE1030ELNS1_3gpuE2ELNS1_3repE0EEENS1_30default_config_static_selectorELNS0_4arch9wavefront6targetE1EEEvSY_.private_seg_size, 0
	.set _ZN7rocprim17ROCPRIM_400000_NS6detail17trampoline_kernelINS0_13select_configILj256ELj13ELNS0_17block_load_methodE3ELS4_3ELS4_3ELNS0_20block_scan_algorithmE0ELj4294967295EEENS1_25partition_config_selectorILNS1_17partition_subalgoE3EjNS0_10empty_typeEbEEZZNS1_14partition_implILS8_3ELb0ES6_jNS0_17counting_iteratorIjlEEPS9_SE_NS0_5tupleIJPjSE_EEENSF_IJSE_SE_EEES9_SG_JZNS1_25segmented_radix_sort_implINS0_14default_configELb1EPKsPsPKlPlN2at6native12_GLOBAL__N_18offset_tEEE10hipError_tPvRmT1_PNSt15iterator_traitsISY_E10value_typeET2_T3_PNSZ_IS14_E10value_typeET4_jRbjT5_S1A_jjP12ihipStream_tbEUljE_EEESV_SW_SX_S14_S18_S1A_T6_T7_T9_mT8_S1C_bDpT10_ENKUlT_T0_E_clISt17integral_constantIbLb0EES1O_IbLb1EEEEDaS1K_S1L_EUlS1K_E_NS1_11comp_targetILNS1_3genE8ELNS1_11target_archE1030ELNS1_3gpuE2ELNS1_3repE0EEENS1_30default_config_static_selectorELNS0_4arch9wavefront6targetE1EEEvSY_.uses_vcc, 0
	.set _ZN7rocprim17ROCPRIM_400000_NS6detail17trampoline_kernelINS0_13select_configILj256ELj13ELNS0_17block_load_methodE3ELS4_3ELS4_3ELNS0_20block_scan_algorithmE0ELj4294967295EEENS1_25partition_config_selectorILNS1_17partition_subalgoE3EjNS0_10empty_typeEbEEZZNS1_14partition_implILS8_3ELb0ES6_jNS0_17counting_iteratorIjlEEPS9_SE_NS0_5tupleIJPjSE_EEENSF_IJSE_SE_EEES9_SG_JZNS1_25segmented_radix_sort_implINS0_14default_configELb1EPKsPsPKlPlN2at6native12_GLOBAL__N_18offset_tEEE10hipError_tPvRmT1_PNSt15iterator_traitsISY_E10value_typeET2_T3_PNSZ_IS14_E10value_typeET4_jRbjT5_S1A_jjP12ihipStream_tbEUljE_EEESV_SW_SX_S14_S18_S1A_T6_T7_T9_mT8_S1C_bDpT10_ENKUlT_T0_E_clISt17integral_constantIbLb0EES1O_IbLb1EEEEDaS1K_S1L_EUlS1K_E_NS1_11comp_targetILNS1_3genE8ELNS1_11target_archE1030ELNS1_3gpuE2ELNS1_3repE0EEENS1_30default_config_static_selectorELNS0_4arch9wavefront6targetE1EEEvSY_.uses_flat_scratch, 0
	.set _ZN7rocprim17ROCPRIM_400000_NS6detail17trampoline_kernelINS0_13select_configILj256ELj13ELNS0_17block_load_methodE3ELS4_3ELS4_3ELNS0_20block_scan_algorithmE0ELj4294967295EEENS1_25partition_config_selectorILNS1_17partition_subalgoE3EjNS0_10empty_typeEbEEZZNS1_14partition_implILS8_3ELb0ES6_jNS0_17counting_iteratorIjlEEPS9_SE_NS0_5tupleIJPjSE_EEENSF_IJSE_SE_EEES9_SG_JZNS1_25segmented_radix_sort_implINS0_14default_configELb1EPKsPsPKlPlN2at6native12_GLOBAL__N_18offset_tEEE10hipError_tPvRmT1_PNSt15iterator_traitsISY_E10value_typeET2_T3_PNSZ_IS14_E10value_typeET4_jRbjT5_S1A_jjP12ihipStream_tbEUljE_EEESV_SW_SX_S14_S18_S1A_T6_T7_T9_mT8_S1C_bDpT10_ENKUlT_T0_E_clISt17integral_constantIbLb0EES1O_IbLb1EEEEDaS1K_S1L_EUlS1K_E_NS1_11comp_targetILNS1_3genE8ELNS1_11target_archE1030ELNS1_3gpuE2ELNS1_3repE0EEENS1_30default_config_static_selectorELNS0_4arch9wavefront6targetE1EEEvSY_.has_dyn_sized_stack, 0
	.set _ZN7rocprim17ROCPRIM_400000_NS6detail17trampoline_kernelINS0_13select_configILj256ELj13ELNS0_17block_load_methodE3ELS4_3ELS4_3ELNS0_20block_scan_algorithmE0ELj4294967295EEENS1_25partition_config_selectorILNS1_17partition_subalgoE3EjNS0_10empty_typeEbEEZZNS1_14partition_implILS8_3ELb0ES6_jNS0_17counting_iteratorIjlEEPS9_SE_NS0_5tupleIJPjSE_EEENSF_IJSE_SE_EEES9_SG_JZNS1_25segmented_radix_sort_implINS0_14default_configELb1EPKsPsPKlPlN2at6native12_GLOBAL__N_18offset_tEEE10hipError_tPvRmT1_PNSt15iterator_traitsISY_E10value_typeET2_T3_PNSZ_IS14_E10value_typeET4_jRbjT5_S1A_jjP12ihipStream_tbEUljE_EEESV_SW_SX_S14_S18_S1A_T6_T7_T9_mT8_S1C_bDpT10_ENKUlT_T0_E_clISt17integral_constantIbLb0EES1O_IbLb1EEEEDaS1K_S1L_EUlS1K_E_NS1_11comp_targetILNS1_3genE8ELNS1_11target_archE1030ELNS1_3gpuE2ELNS1_3repE0EEENS1_30default_config_static_selectorELNS0_4arch9wavefront6targetE1EEEvSY_.has_recursion, 0
	.set _ZN7rocprim17ROCPRIM_400000_NS6detail17trampoline_kernelINS0_13select_configILj256ELj13ELNS0_17block_load_methodE3ELS4_3ELS4_3ELNS0_20block_scan_algorithmE0ELj4294967295EEENS1_25partition_config_selectorILNS1_17partition_subalgoE3EjNS0_10empty_typeEbEEZZNS1_14partition_implILS8_3ELb0ES6_jNS0_17counting_iteratorIjlEEPS9_SE_NS0_5tupleIJPjSE_EEENSF_IJSE_SE_EEES9_SG_JZNS1_25segmented_radix_sort_implINS0_14default_configELb1EPKsPsPKlPlN2at6native12_GLOBAL__N_18offset_tEEE10hipError_tPvRmT1_PNSt15iterator_traitsISY_E10value_typeET2_T3_PNSZ_IS14_E10value_typeET4_jRbjT5_S1A_jjP12ihipStream_tbEUljE_EEESV_SW_SX_S14_S18_S1A_T6_T7_T9_mT8_S1C_bDpT10_ENKUlT_T0_E_clISt17integral_constantIbLb0EES1O_IbLb1EEEEDaS1K_S1L_EUlS1K_E_NS1_11comp_targetILNS1_3genE8ELNS1_11target_archE1030ELNS1_3gpuE2ELNS1_3repE0EEENS1_30default_config_static_selectorELNS0_4arch9wavefront6targetE1EEEvSY_.has_indirect_call, 0
	.section	.AMDGPU.csdata,"",@progbits
; Kernel info:
; codeLenInByte = 0
; TotalNumSgprs: 4
; NumVgprs: 0
; ScratchSize: 0
; MemoryBound: 0
; FloatMode: 240
; IeeeMode: 1
; LDSByteSize: 0 bytes/workgroup (compile time only)
; SGPRBlocks: 0
; VGPRBlocks: 0
; NumSGPRsForWavesPerEU: 4
; NumVGPRsForWavesPerEU: 1
; Occupancy: 10
; WaveLimiterHint : 0
; COMPUTE_PGM_RSRC2:SCRATCH_EN: 0
; COMPUTE_PGM_RSRC2:USER_SGPR: 6
; COMPUTE_PGM_RSRC2:TRAP_HANDLER: 0
; COMPUTE_PGM_RSRC2:TGID_X_EN: 1
; COMPUTE_PGM_RSRC2:TGID_Y_EN: 0
; COMPUTE_PGM_RSRC2:TGID_Z_EN: 0
; COMPUTE_PGM_RSRC2:TIDIG_COMP_CNT: 0
	.section	.text._ZN7rocprim17ROCPRIM_400000_NS6detail17trampoline_kernelINS0_14default_configENS1_36segmented_radix_sort_config_selectorIslEEZNS1_25segmented_radix_sort_implIS3_Lb1EPKsPsPKlPlN2at6native12_GLOBAL__N_18offset_tEEE10hipError_tPvRmT1_PNSt15iterator_traitsISK_E10value_typeET2_T3_PNSL_ISQ_E10value_typeET4_jRbjT5_SW_jjP12ihipStream_tbEUlT_E_NS1_11comp_targetILNS1_3genE0ELNS1_11target_archE4294967295ELNS1_3gpuE0ELNS1_3repE0EEENS1_30default_config_static_selectorELNS0_4arch9wavefront6targetE1EEEvSK_,"axG",@progbits,_ZN7rocprim17ROCPRIM_400000_NS6detail17trampoline_kernelINS0_14default_configENS1_36segmented_radix_sort_config_selectorIslEEZNS1_25segmented_radix_sort_implIS3_Lb1EPKsPsPKlPlN2at6native12_GLOBAL__N_18offset_tEEE10hipError_tPvRmT1_PNSt15iterator_traitsISK_E10value_typeET2_T3_PNSL_ISQ_E10value_typeET4_jRbjT5_SW_jjP12ihipStream_tbEUlT_E_NS1_11comp_targetILNS1_3genE0ELNS1_11target_archE4294967295ELNS1_3gpuE0ELNS1_3repE0EEENS1_30default_config_static_selectorELNS0_4arch9wavefront6targetE1EEEvSK_,comdat
	.globl	_ZN7rocprim17ROCPRIM_400000_NS6detail17trampoline_kernelINS0_14default_configENS1_36segmented_radix_sort_config_selectorIslEEZNS1_25segmented_radix_sort_implIS3_Lb1EPKsPsPKlPlN2at6native12_GLOBAL__N_18offset_tEEE10hipError_tPvRmT1_PNSt15iterator_traitsISK_E10value_typeET2_T3_PNSL_ISQ_E10value_typeET4_jRbjT5_SW_jjP12ihipStream_tbEUlT_E_NS1_11comp_targetILNS1_3genE0ELNS1_11target_archE4294967295ELNS1_3gpuE0ELNS1_3repE0EEENS1_30default_config_static_selectorELNS0_4arch9wavefront6targetE1EEEvSK_ ; -- Begin function _ZN7rocprim17ROCPRIM_400000_NS6detail17trampoline_kernelINS0_14default_configENS1_36segmented_radix_sort_config_selectorIslEEZNS1_25segmented_radix_sort_implIS3_Lb1EPKsPsPKlPlN2at6native12_GLOBAL__N_18offset_tEEE10hipError_tPvRmT1_PNSt15iterator_traitsISK_E10value_typeET2_T3_PNSL_ISQ_E10value_typeET4_jRbjT5_SW_jjP12ihipStream_tbEUlT_E_NS1_11comp_targetILNS1_3genE0ELNS1_11target_archE4294967295ELNS1_3gpuE0ELNS1_3repE0EEENS1_30default_config_static_selectorELNS0_4arch9wavefront6targetE1EEEvSK_
	.p2align	8
	.type	_ZN7rocprim17ROCPRIM_400000_NS6detail17trampoline_kernelINS0_14default_configENS1_36segmented_radix_sort_config_selectorIslEEZNS1_25segmented_radix_sort_implIS3_Lb1EPKsPsPKlPlN2at6native12_GLOBAL__N_18offset_tEEE10hipError_tPvRmT1_PNSt15iterator_traitsISK_E10value_typeET2_T3_PNSL_ISQ_E10value_typeET4_jRbjT5_SW_jjP12ihipStream_tbEUlT_E_NS1_11comp_targetILNS1_3genE0ELNS1_11target_archE4294967295ELNS1_3gpuE0ELNS1_3repE0EEENS1_30default_config_static_selectorELNS0_4arch9wavefront6targetE1EEEvSK_,@function
_ZN7rocprim17ROCPRIM_400000_NS6detail17trampoline_kernelINS0_14default_configENS1_36segmented_radix_sort_config_selectorIslEEZNS1_25segmented_radix_sort_implIS3_Lb1EPKsPsPKlPlN2at6native12_GLOBAL__N_18offset_tEEE10hipError_tPvRmT1_PNSt15iterator_traitsISK_E10value_typeET2_T3_PNSL_ISQ_E10value_typeET4_jRbjT5_SW_jjP12ihipStream_tbEUlT_E_NS1_11comp_targetILNS1_3genE0ELNS1_11target_archE4294967295ELNS1_3gpuE0ELNS1_3repE0EEENS1_30default_config_static_selectorELNS0_4arch9wavefront6targetE1EEEvSK_: ; @_ZN7rocprim17ROCPRIM_400000_NS6detail17trampoline_kernelINS0_14default_configENS1_36segmented_radix_sort_config_selectorIslEEZNS1_25segmented_radix_sort_implIS3_Lb1EPKsPsPKlPlN2at6native12_GLOBAL__N_18offset_tEEE10hipError_tPvRmT1_PNSt15iterator_traitsISK_E10value_typeET2_T3_PNSL_ISQ_E10value_typeET4_jRbjT5_SW_jjP12ihipStream_tbEUlT_E_NS1_11comp_targetILNS1_3genE0ELNS1_11target_archE4294967295ELNS1_3gpuE0ELNS1_3repE0EEENS1_30default_config_static_selectorELNS0_4arch9wavefront6targetE1EEEvSK_
; %bb.0:
	.section	.rodata,"a",@progbits
	.p2align	6, 0x0
	.amdhsa_kernel _ZN7rocprim17ROCPRIM_400000_NS6detail17trampoline_kernelINS0_14default_configENS1_36segmented_radix_sort_config_selectorIslEEZNS1_25segmented_radix_sort_implIS3_Lb1EPKsPsPKlPlN2at6native12_GLOBAL__N_18offset_tEEE10hipError_tPvRmT1_PNSt15iterator_traitsISK_E10value_typeET2_T3_PNSL_ISQ_E10value_typeET4_jRbjT5_SW_jjP12ihipStream_tbEUlT_E_NS1_11comp_targetILNS1_3genE0ELNS1_11target_archE4294967295ELNS1_3gpuE0ELNS1_3repE0EEENS1_30default_config_static_selectorELNS0_4arch9wavefront6targetE1EEEvSK_
		.amdhsa_group_segment_fixed_size 0
		.amdhsa_private_segment_fixed_size 0
		.amdhsa_kernarg_size 96
		.amdhsa_user_sgpr_count 6
		.amdhsa_user_sgpr_private_segment_buffer 1
		.amdhsa_user_sgpr_dispatch_ptr 0
		.amdhsa_user_sgpr_queue_ptr 0
		.amdhsa_user_sgpr_kernarg_segment_ptr 1
		.amdhsa_user_sgpr_dispatch_id 0
		.amdhsa_user_sgpr_flat_scratch_init 0
		.amdhsa_user_sgpr_private_segment_size 0
		.amdhsa_uses_dynamic_stack 0
		.amdhsa_system_sgpr_private_segment_wavefront_offset 0
		.amdhsa_system_sgpr_workgroup_id_x 1
		.amdhsa_system_sgpr_workgroup_id_y 0
		.amdhsa_system_sgpr_workgroup_id_z 0
		.amdhsa_system_sgpr_workgroup_info 0
		.amdhsa_system_vgpr_workitem_id 0
		.amdhsa_next_free_vgpr 1
		.amdhsa_next_free_sgpr 0
		.amdhsa_reserve_vcc 0
		.amdhsa_reserve_flat_scratch 0
		.amdhsa_float_round_mode_32 0
		.amdhsa_float_round_mode_16_64 0
		.amdhsa_float_denorm_mode_32 3
		.amdhsa_float_denorm_mode_16_64 3
		.amdhsa_dx10_clamp 1
		.amdhsa_ieee_mode 1
		.amdhsa_fp16_overflow 0
		.amdhsa_exception_fp_ieee_invalid_op 0
		.amdhsa_exception_fp_denorm_src 0
		.amdhsa_exception_fp_ieee_div_zero 0
		.amdhsa_exception_fp_ieee_overflow 0
		.amdhsa_exception_fp_ieee_underflow 0
		.amdhsa_exception_fp_ieee_inexact 0
		.amdhsa_exception_int_div_zero 0
	.end_amdhsa_kernel
	.section	.text._ZN7rocprim17ROCPRIM_400000_NS6detail17trampoline_kernelINS0_14default_configENS1_36segmented_radix_sort_config_selectorIslEEZNS1_25segmented_radix_sort_implIS3_Lb1EPKsPsPKlPlN2at6native12_GLOBAL__N_18offset_tEEE10hipError_tPvRmT1_PNSt15iterator_traitsISK_E10value_typeET2_T3_PNSL_ISQ_E10value_typeET4_jRbjT5_SW_jjP12ihipStream_tbEUlT_E_NS1_11comp_targetILNS1_3genE0ELNS1_11target_archE4294967295ELNS1_3gpuE0ELNS1_3repE0EEENS1_30default_config_static_selectorELNS0_4arch9wavefront6targetE1EEEvSK_,"axG",@progbits,_ZN7rocprim17ROCPRIM_400000_NS6detail17trampoline_kernelINS0_14default_configENS1_36segmented_radix_sort_config_selectorIslEEZNS1_25segmented_radix_sort_implIS3_Lb1EPKsPsPKlPlN2at6native12_GLOBAL__N_18offset_tEEE10hipError_tPvRmT1_PNSt15iterator_traitsISK_E10value_typeET2_T3_PNSL_ISQ_E10value_typeET4_jRbjT5_SW_jjP12ihipStream_tbEUlT_E_NS1_11comp_targetILNS1_3genE0ELNS1_11target_archE4294967295ELNS1_3gpuE0ELNS1_3repE0EEENS1_30default_config_static_selectorELNS0_4arch9wavefront6targetE1EEEvSK_,comdat
.Lfunc_end911:
	.size	_ZN7rocprim17ROCPRIM_400000_NS6detail17trampoline_kernelINS0_14default_configENS1_36segmented_radix_sort_config_selectorIslEEZNS1_25segmented_radix_sort_implIS3_Lb1EPKsPsPKlPlN2at6native12_GLOBAL__N_18offset_tEEE10hipError_tPvRmT1_PNSt15iterator_traitsISK_E10value_typeET2_T3_PNSL_ISQ_E10value_typeET4_jRbjT5_SW_jjP12ihipStream_tbEUlT_E_NS1_11comp_targetILNS1_3genE0ELNS1_11target_archE4294967295ELNS1_3gpuE0ELNS1_3repE0EEENS1_30default_config_static_selectorELNS0_4arch9wavefront6targetE1EEEvSK_, .Lfunc_end911-_ZN7rocprim17ROCPRIM_400000_NS6detail17trampoline_kernelINS0_14default_configENS1_36segmented_radix_sort_config_selectorIslEEZNS1_25segmented_radix_sort_implIS3_Lb1EPKsPsPKlPlN2at6native12_GLOBAL__N_18offset_tEEE10hipError_tPvRmT1_PNSt15iterator_traitsISK_E10value_typeET2_T3_PNSL_ISQ_E10value_typeET4_jRbjT5_SW_jjP12ihipStream_tbEUlT_E_NS1_11comp_targetILNS1_3genE0ELNS1_11target_archE4294967295ELNS1_3gpuE0ELNS1_3repE0EEENS1_30default_config_static_selectorELNS0_4arch9wavefront6targetE1EEEvSK_
                                        ; -- End function
	.set _ZN7rocprim17ROCPRIM_400000_NS6detail17trampoline_kernelINS0_14default_configENS1_36segmented_radix_sort_config_selectorIslEEZNS1_25segmented_radix_sort_implIS3_Lb1EPKsPsPKlPlN2at6native12_GLOBAL__N_18offset_tEEE10hipError_tPvRmT1_PNSt15iterator_traitsISK_E10value_typeET2_T3_PNSL_ISQ_E10value_typeET4_jRbjT5_SW_jjP12ihipStream_tbEUlT_E_NS1_11comp_targetILNS1_3genE0ELNS1_11target_archE4294967295ELNS1_3gpuE0ELNS1_3repE0EEENS1_30default_config_static_selectorELNS0_4arch9wavefront6targetE1EEEvSK_.num_vgpr, 0
	.set _ZN7rocprim17ROCPRIM_400000_NS6detail17trampoline_kernelINS0_14default_configENS1_36segmented_radix_sort_config_selectorIslEEZNS1_25segmented_radix_sort_implIS3_Lb1EPKsPsPKlPlN2at6native12_GLOBAL__N_18offset_tEEE10hipError_tPvRmT1_PNSt15iterator_traitsISK_E10value_typeET2_T3_PNSL_ISQ_E10value_typeET4_jRbjT5_SW_jjP12ihipStream_tbEUlT_E_NS1_11comp_targetILNS1_3genE0ELNS1_11target_archE4294967295ELNS1_3gpuE0ELNS1_3repE0EEENS1_30default_config_static_selectorELNS0_4arch9wavefront6targetE1EEEvSK_.num_agpr, 0
	.set _ZN7rocprim17ROCPRIM_400000_NS6detail17trampoline_kernelINS0_14default_configENS1_36segmented_radix_sort_config_selectorIslEEZNS1_25segmented_radix_sort_implIS3_Lb1EPKsPsPKlPlN2at6native12_GLOBAL__N_18offset_tEEE10hipError_tPvRmT1_PNSt15iterator_traitsISK_E10value_typeET2_T3_PNSL_ISQ_E10value_typeET4_jRbjT5_SW_jjP12ihipStream_tbEUlT_E_NS1_11comp_targetILNS1_3genE0ELNS1_11target_archE4294967295ELNS1_3gpuE0ELNS1_3repE0EEENS1_30default_config_static_selectorELNS0_4arch9wavefront6targetE1EEEvSK_.numbered_sgpr, 0
	.set _ZN7rocprim17ROCPRIM_400000_NS6detail17trampoline_kernelINS0_14default_configENS1_36segmented_radix_sort_config_selectorIslEEZNS1_25segmented_radix_sort_implIS3_Lb1EPKsPsPKlPlN2at6native12_GLOBAL__N_18offset_tEEE10hipError_tPvRmT1_PNSt15iterator_traitsISK_E10value_typeET2_T3_PNSL_ISQ_E10value_typeET4_jRbjT5_SW_jjP12ihipStream_tbEUlT_E_NS1_11comp_targetILNS1_3genE0ELNS1_11target_archE4294967295ELNS1_3gpuE0ELNS1_3repE0EEENS1_30default_config_static_selectorELNS0_4arch9wavefront6targetE1EEEvSK_.num_named_barrier, 0
	.set _ZN7rocprim17ROCPRIM_400000_NS6detail17trampoline_kernelINS0_14default_configENS1_36segmented_radix_sort_config_selectorIslEEZNS1_25segmented_radix_sort_implIS3_Lb1EPKsPsPKlPlN2at6native12_GLOBAL__N_18offset_tEEE10hipError_tPvRmT1_PNSt15iterator_traitsISK_E10value_typeET2_T3_PNSL_ISQ_E10value_typeET4_jRbjT5_SW_jjP12ihipStream_tbEUlT_E_NS1_11comp_targetILNS1_3genE0ELNS1_11target_archE4294967295ELNS1_3gpuE0ELNS1_3repE0EEENS1_30default_config_static_selectorELNS0_4arch9wavefront6targetE1EEEvSK_.private_seg_size, 0
	.set _ZN7rocprim17ROCPRIM_400000_NS6detail17trampoline_kernelINS0_14default_configENS1_36segmented_radix_sort_config_selectorIslEEZNS1_25segmented_radix_sort_implIS3_Lb1EPKsPsPKlPlN2at6native12_GLOBAL__N_18offset_tEEE10hipError_tPvRmT1_PNSt15iterator_traitsISK_E10value_typeET2_T3_PNSL_ISQ_E10value_typeET4_jRbjT5_SW_jjP12ihipStream_tbEUlT_E_NS1_11comp_targetILNS1_3genE0ELNS1_11target_archE4294967295ELNS1_3gpuE0ELNS1_3repE0EEENS1_30default_config_static_selectorELNS0_4arch9wavefront6targetE1EEEvSK_.uses_vcc, 0
	.set _ZN7rocprim17ROCPRIM_400000_NS6detail17trampoline_kernelINS0_14default_configENS1_36segmented_radix_sort_config_selectorIslEEZNS1_25segmented_radix_sort_implIS3_Lb1EPKsPsPKlPlN2at6native12_GLOBAL__N_18offset_tEEE10hipError_tPvRmT1_PNSt15iterator_traitsISK_E10value_typeET2_T3_PNSL_ISQ_E10value_typeET4_jRbjT5_SW_jjP12ihipStream_tbEUlT_E_NS1_11comp_targetILNS1_3genE0ELNS1_11target_archE4294967295ELNS1_3gpuE0ELNS1_3repE0EEENS1_30default_config_static_selectorELNS0_4arch9wavefront6targetE1EEEvSK_.uses_flat_scratch, 0
	.set _ZN7rocprim17ROCPRIM_400000_NS6detail17trampoline_kernelINS0_14default_configENS1_36segmented_radix_sort_config_selectorIslEEZNS1_25segmented_radix_sort_implIS3_Lb1EPKsPsPKlPlN2at6native12_GLOBAL__N_18offset_tEEE10hipError_tPvRmT1_PNSt15iterator_traitsISK_E10value_typeET2_T3_PNSL_ISQ_E10value_typeET4_jRbjT5_SW_jjP12ihipStream_tbEUlT_E_NS1_11comp_targetILNS1_3genE0ELNS1_11target_archE4294967295ELNS1_3gpuE0ELNS1_3repE0EEENS1_30default_config_static_selectorELNS0_4arch9wavefront6targetE1EEEvSK_.has_dyn_sized_stack, 0
	.set _ZN7rocprim17ROCPRIM_400000_NS6detail17trampoline_kernelINS0_14default_configENS1_36segmented_radix_sort_config_selectorIslEEZNS1_25segmented_radix_sort_implIS3_Lb1EPKsPsPKlPlN2at6native12_GLOBAL__N_18offset_tEEE10hipError_tPvRmT1_PNSt15iterator_traitsISK_E10value_typeET2_T3_PNSL_ISQ_E10value_typeET4_jRbjT5_SW_jjP12ihipStream_tbEUlT_E_NS1_11comp_targetILNS1_3genE0ELNS1_11target_archE4294967295ELNS1_3gpuE0ELNS1_3repE0EEENS1_30default_config_static_selectorELNS0_4arch9wavefront6targetE1EEEvSK_.has_recursion, 0
	.set _ZN7rocprim17ROCPRIM_400000_NS6detail17trampoline_kernelINS0_14default_configENS1_36segmented_radix_sort_config_selectorIslEEZNS1_25segmented_radix_sort_implIS3_Lb1EPKsPsPKlPlN2at6native12_GLOBAL__N_18offset_tEEE10hipError_tPvRmT1_PNSt15iterator_traitsISK_E10value_typeET2_T3_PNSL_ISQ_E10value_typeET4_jRbjT5_SW_jjP12ihipStream_tbEUlT_E_NS1_11comp_targetILNS1_3genE0ELNS1_11target_archE4294967295ELNS1_3gpuE0ELNS1_3repE0EEENS1_30default_config_static_selectorELNS0_4arch9wavefront6targetE1EEEvSK_.has_indirect_call, 0
	.section	.AMDGPU.csdata,"",@progbits
; Kernel info:
; codeLenInByte = 0
; TotalNumSgprs: 4
; NumVgprs: 0
; ScratchSize: 0
; MemoryBound: 0
; FloatMode: 240
; IeeeMode: 1
; LDSByteSize: 0 bytes/workgroup (compile time only)
; SGPRBlocks: 0
; VGPRBlocks: 0
; NumSGPRsForWavesPerEU: 4
; NumVGPRsForWavesPerEU: 1
; Occupancy: 10
; WaveLimiterHint : 0
; COMPUTE_PGM_RSRC2:SCRATCH_EN: 0
; COMPUTE_PGM_RSRC2:USER_SGPR: 6
; COMPUTE_PGM_RSRC2:TRAP_HANDLER: 0
; COMPUTE_PGM_RSRC2:TGID_X_EN: 1
; COMPUTE_PGM_RSRC2:TGID_Y_EN: 0
; COMPUTE_PGM_RSRC2:TGID_Z_EN: 0
; COMPUTE_PGM_RSRC2:TIDIG_COMP_CNT: 0
	.section	.text._ZN7rocprim17ROCPRIM_400000_NS6detail17trampoline_kernelINS0_14default_configENS1_36segmented_radix_sort_config_selectorIslEEZNS1_25segmented_radix_sort_implIS3_Lb1EPKsPsPKlPlN2at6native12_GLOBAL__N_18offset_tEEE10hipError_tPvRmT1_PNSt15iterator_traitsISK_E10value_typeET2_T3_PNSL_ISQ_E10value_typeET4_jRbjT5_SW_jjP12ihipStream_tbEUlT_E_NS1_11comp_targetILNS1_3genE5ELNS1_11target_archE942ELNS1_3gpuE9ELNS1_3repE0EEENS1_30default_config_static_selectorELNS0_4arch9wavefront6targetE1EEEvSK_,"axG",@progbits,_ZN7rocprim17ROCPRIM_400000_NS6detail17trampoline_kernelINS0_14default_configENS1_36segmented_radix_sort_config_selectorIslEEZNS1_25segmented_radix_sort_implIS3_Lb1EPKsPsPKlPlN2at6native12_GLOBAL__N_18offset_tEEE10hipError_tPvRmT1_PNSt15iterator_traitsISK_E10value_typeET2_T3_PNSL_ISQ_E10value_typeET4_jRbjT5_SW_jjP12ihipStream_tbEUlT_E_NS1_11comp_targetILNS1_3genE5ELNS1_11target_archE942ELNS1_3gpuE9ELNS1_3repE0EEENS1_30default_config_static_selectorELNS0_4arch9wavefront6targetE1EEEvSK_,comdat
	.globl	_ZN7rocprim17ROCPRIM_400000_NS6detail17trampoline_kernelINS0_14default_configENS1_36segmented_radix_sort_config_selectorIslEEZNS1_25segmented_radix_sort_implIS3_Lb1EPKsPsPKlPlN2at6native12_GLOBAL__N_18offset_tEEE10hipError_tPvRmT1_PNSt15iterator_traitsISK_E10value_typeET2_T3_PNSL_ISQ_E10value_typeET4_jRbjT5_SW_jjP12ihipStream_tbEUlT_E_NS1_11comp_targetILNS1_3genE5ELNS1_11target_archE942ELNS1_3gpuE9ELNS1_3repE0EEENS1_30default_config_static_selectorELNS0_4arch9wavefront6targetE1EEEvSK_ ; -- Begin function _ZN7rocprim17ROCPRIM_400000_NS6detail17trampoline_kernelINS0_14default_configENS1_36segmented_radix_sort_config_selectorIslEEZNS1_25segmented_radix_sort_implIS3_Lb1EPKsPsPKlPlN2at6native12_GLOBAL__N_18offset_tEEE10hipError_tPvRmT1_PNSt15iterator_traitsISK_E10value_typeET2_T3_PNSL_ISQ_E10value_typeET4_jRbjT5_SW_jjP12ihipStream_tbEUlT_E_NS1_11comp_targetILNS1_3genE5ELNS1_11target_archE942ELNS1_3gpuE9ELNS1_3repE0EEENS1_30default_config_static_selectorELNS0_4arch9wavefront6targetE1EEEvSK_
	.p2align	8
	.type	_ZN7rocprim17ROCPRIM_400000_NS6detail17trampoline_kernelINS0_14default_configENS1_36segmented_radix_sort_config_selectorIslEEZNS1_25segmented_radix_sort_implIS3_Lb1EPKsPsPKlPlN2at6native12_GLOBAL__N_18offset_tEEE10hipError_tPvRmT1_PNSt15iterator_traitsISK_E10value_typeET2_T3_PNSL_ISQ_E10value_typeET4_jRbjT5_SW_jjP12ihipStream_tbEUlT_E_NS1_11comp_targetILNS1_3genE5ELNS1_11target_archE942ELNS1_3gpuE9ELNS1_3repE0EEENS1_30default_config_static_selectorELNS0_4arch9wavefront6targetE1EEEvSK_,@function
_ZN7rocprim17ROCPRIM_400000_NS6detail17trampoline_kernelINS0_14default_configENS1_36segmented_radix_sort_config_selectorIslEEZNS1_25segmented_radix_sort_implIS3_Lb1EPKsPsPKlPlN2at6native12_GLOBAL__N_18offset_tEEE10hipError_tPvRmT1_PNSt15iterator_traitsISK_E10value_typeET2_T3_PNSL_ISQ_E10value_typeET4_jRbjT5_SW_jjP12ihipStream_tbEUlT_E_NS1_11comp_targetILNS1_3genE5ELNS1_11target_archE942ELNS1_3gpuE9ELNS1_3repE0EEENS1_30default_config_static_selectorELNS0_4arch9wavefront6targetE1EEEvSK_: ; @_ZN7rocprim17ROCPRIM_400000_NS6detail17trampoline_kernelINS0_14default_configENS1_36segmented_radix_sort_config_selectorIslEEZNS1_25segmented_radix_sort_implIS3_Lb1EPKsPsPKlPlN2at6native12_GLOBAL__N_18offset_tEEE10hipError_tPvRmT1_PNSt15iterator_traitsISK_E10value_typeET2_T3_PNSL_ISQ_E10value_typeET4_jRbjT5_SW_jjP12ihipStream_tbEUlT_E_NS1_11comp_targetILNS1_3genE5ELNS1_11target_archE942ELNS1_3gpuE9ELNS1_3repE0EEENS1_30default_config_static_selectorELNS0_4arch9wavefront6targetE1EEEvSK_
; %bb.0:
	.section	.rodata,"a",@progbits
	.p2align	6, 0x0
	.amdhsa_kernel _ZN7rocprim17ROCPRIM_400000_NS6detail17trampoline_kernelINS0_14default_configENS1_36segmented_radix_sort_config_selectorIslEEZNS1_25segmented_radix_sort_implIS3_Lb1EPKsPsPKlPlN2at6native12_GLOBAL__N_18offset_tEEE10hipError_tPvRmT1_PNSt15iterator_traitsISK_E10value_typeET2_T3_PNSL_ISQ_E10value_typeET4_jRbjT5_SW_jjP12ihipStream_tbEUlT_E_NS1_11comp_targetILNS1_3genE5ELNS1_11target_archE942ELNS1_3gpuE9ELNS1_3repE0EEENS1_30default_config_static_selectorELNS0_4arch9wavefront6targetE1EEEvSK_
		.amdhsa_group_segment_fixed_size 0
		.amdhsa_private_segment_fixed_size 0
		.amdhsa_kernarg_size 96
		.amdhsa_user_sgpr_count 6
		.amdhsa_user_sgpr_private_segment_buffer 1
		.amdhsa_user_sgpr_dispatch_ptr 0
		.amdhsa_user_sgpr_queue_ptr 0
		.amdhsa_user_sgpr_kernarg_segment_ptr 1
		.amdhsa_user_sgpr_dispatch_id 0
		.amdhsa_user_sgpr_flat_scratch_init 0
		.amdhsa_user_sgpr_private_segment_size 0
		.amdhsa_uses_dynamic_stack 0
		.amdhsa_system_sgpr_private_segment_wavefront_offset 0
		.amdhsa_system_sgpr_workgroup_id_x 1
		.amdhsa_system_sgpr_workgroup_id_y 0
		.amdhsa_system_sgpr_workgroup_id_z 0
		.amdhsa_system_sgpr_workgroup_info 0
		.amdhsa_system_vgpr_workitem_id 0
		.amdhsa_next_free_vgpr 1
		.amdhsa_next_free_sgpr 0
		.amdhsa_reserve_vcc 0
		.amdhsa_reserve_flat_scratch 0
		.amdhsa_float_round_mode_32 0
		.amdhsa_float_round_mode_16_64 0
		.amdhsa_float_denorm_mode_32 3
		.amdhsa_float_denorm_mode_16_64 3
		.amdhsa_dx10_clamp 1
		.amdhsa_ieee_mode 1
		.amdhsa_fp16_overflow 0
		.amdhsa_exception_fp_ieee_invalid_op 0
		.amdhsa_exception_fp_denorm_src 0
		.amdhsa_exception_fp_ieee_div_zero 0
		.amdhsa_exception_fp_ieee_overflow 0
		.amdhsa_exception_fp_ieee_underflow 0
		.amdhsa_exception_fp_ieee_inexact 0
		.amdhsa_exception_int_div_zero 0
	.end_amdhsa_kernel
	.section	.text._ZN7rocprim17ROCPRIM_400000_NS6detail17trampoline_kernelINS0_14default_configENS1_36segmented_radix_sort_config_selectorIslEEZNS1_25segmented_radix_sort_implIS3_Lb1EPKsPsPKlPlN2at6native12_GLOBAL__N_18offset_tEEE10hipError_tPvRmT1_PNSt15iterator_traitsISK_E10value_typeET2_T3_PNSL_ISQ_E10value_typeET4_jRbjT5_SW_jjP12ihipStream_tbEUlT_E_NS1_11comp_targetILNS1_3genE5ELNS1_11target_archE942ELNS1_3gpuE9ELNS1_3repE0EEENS1_30default_config_static_selectorELNS0_4arch9wavefront6targetE1EEEvSK_,"axG",@progbits,_ZN7rocprim17ROCPRIM_400000_NS6detail17trampoline_kernelINS0_14default_configENS1_36segmented_radix_sort_config_selectorIslEEZNS1_25segmented_radix_sort_implIS3_Lb1EPKsPsPKlPlN2at6native12_GLOBAL__N_18offset_tEEE10hipError_tPvRmT1_PNSt15iterator_traitsISK_E10value_typeET2_T3_PNSL_ISQ_E10value_typeET4_jRbjT5_SW_jjP12ihipStream_tbEUlT_E_NS1_11comp_targetILNS1_3genE5ELNS1_11target_archE942ELNS1_3gpuE9ELNS1_3repE0EEENS1_30default_config_static_selectorELNS0_4arch9wavefront6targetE1EEEvSK_,comdat
.Lfunc_end912:
	.size	_ZN7rocprim17ROCPRIM_400000_NS6detail17trampoline_kernelINS0_14default_configENS1_36segmented_radix_sort_config_selectorIslEEZNS1_25segmented_radix_sort_implIS3_Lb1EPKsPsPKlPlN2at6native12_GLOBAL__N_18offset_tEEE10hipError_tPvRmT1_PNSt15iterator_traitsISK_E10value_typeET2_T3_PNSL_ISQ_E10value_typeET4_jRbjT5_SW_jjP12ihipStream_tbEUlT_E_NS1_11comp_targetILNS1_3genE5ELNS1_11target_archE942ELNS1_3gpuE9ELNS1_3repE0EEENS1_30default_config_static_selectorELNS0_4arch9wavefront6targetE1EEEvSK_, .Lfunc_end912-_ZN7rocprim17ROCPRIM_400000_NS6detail17trampoline_kernelINS0_14default_configENS1_36segmented_radix_sort_config_selectorIslEEZNS1_25segmented_radix_sort_implIS3_Lb1EPKsPsPKlPlN2at6native12_GLOBAL__N_18offset_tEEE10hipError_tPvRmT1_PNSt15iterator_traitsISK_E10value_typeET2_T3_PNSL_ISQ_E10value_typeET4_jRbjT5_SW_jjP12ihipStream_tbEUlT_E_NS1_11comp_targetILNS1_3genE5ELNS1_11target_archE942ELNS1_3gpuE9ELNS1_3repE0EEENS1_30default_config_static_selectorELNS0_4arch9wavefront6targetE1EEEvSK_
                                        ; -- End function
	.set _ZN7rocprim17ROCPRIM_400000_NS6detail17trampoline_kernelINS0_14default_configENS1_36segmented_radix_sort_config_selectorIslEEZNS1_25segmented_radix_sort_implIS3_Lb1EPKsPsPKlPlN2at6native12_GLOBAL__N_18offset_tEEE10hipError_tPvRmT1_PNSt15iterator_traitsISK_E10value_typeET2_T3_PNSL_ISQ_E10value_typeET4_jRbjT5_SW_jjP12ihipStream_tbEUlT_E_NS1_11comp_targetILNS1_3genE5ELNS1_11target_archE942ELNS1_3gpuE9ELNS1_3repE0EEENS1_30default_config_static_selectorELNS0_4arch9wavefront6targetE1EEEvSK_.num_vgpr, 0
	.set _ZN7rocprim17ROCPRIM_400000_NS6detail17trampoline_kernelINS0_14default_configENS1_36segmented_radix_sort_config_selectorIslEEZNS1_25segmented_radix_sort_implIS3_Lb1EPKsPsPKlPlN2at6native12_GLOBAL__N_18offset_tEEE10hipError_tPvRmT1_PNSt15iterator_traitsISK_E10value_typeET2_T3_PNSL_ISQ_E10value_typeET4_jRbjT5_SW_jjP12ihipStream_tbEUlT_E_NS1_11comp_targetILNS1_3genE5ELNS1_11target_archE942ELNS1_3gpuE9ELNS1_3repE0EEENS1_30default_config_static_selectorELNS0_4arch9wavefront6targetE1EEEvSK_.num_agpr, 0
	.set _ZN7rocprim17ROCPRIM_400000_NS6detail17trampoline_kernelINS0_14default_configENS1_36segmented_radix_sort_config_selectorIslEEZNS1_25segmented_radix_sort_implIS3_Lb1EPKsPsPKlPlN2at6native12_GLOBAL__N_18offset_tEEE10hipError_tPvRmT1_PNSt15iterator_traitsISK_E10value_typeET2_T3_PNSL_ISQ_E10value_typeET4_jRbjT5_SW_jjP12ihipStream_tbEUlT_E_NS1_11comp_targetILNS1_3genE5ELNS1_11target_archE942ELNS1_3gpuE9ELNS1_3repE0EEENS1_30default_config_static_selectorELNS0_4arch9wavefront6targetE1EEEvSK_.numbered_sgpr, 0
	.set _ZN7rocprim17ROCPRIM_400000_NS6detail17trampoline_kernelINS0_14default_configENS1_36segmented_radix_sort_config_selectorIslEEZNS1_25segmented_radix_sort_implIS3_Lb1EPKsPsPKlPlN2at6native12_GLOBAL__N_18offset_tEEE10hipError_tPvRmT1_PNSt15iterator_traitsISK_E10value_typeET2_T3_PNSL_ISQ_E10value_typeET4_jRbjT5_SW_jjP12ihipStream_tbEUlT_E_NS1_11comp_targetILNS1_3genE5ELNS1_11target_archE942ELNS1_3gpuE9ELNS1_3repE0EEENS1_30default_config_static_selectorELNS0_4arch9wavefront6targetE1EEEvSK_.num_named_barrier, 0
	.set _ZN7rocprim17ROCPRIM_400000_NS6detail17trampoline_kernelINS0_14default_configENS1_36segmented_radix_sort_config_selectorIslEEZNS1_25segmented_radix_sort_implIS3_Lb1EPKsPsPKlPlN2at6native12_GLOBAL__N_18offset_tEEE10hipError_tPvRmT1_PNSt15iterator_traitsISK_E10value_typeET2_T3_PNSL_ISQ_E10value_typeET4_jRbjT5_SW_jjP12ihipStream_tbEUlT_E_NS1_11comp_targetILNS1_3genE5ELNS1_11target_archE942ELNS1_3gpuE9ELNS1_3repE0EEENS1_30default_config_static_selectorELNS0_4arch9wavefront6targetE1EEEvSK_.private_seg_size, 0
	.set _ZN7rocprim17ROCPRIM_400000_NS6detail17trampoline_kernelINS0_14default_configENS1_36segmented_radix_sort_config_selectorIslEEZNS1_25segmented_radix_sort_implIS3_Lb1EPKsPsPKlPlN2at6native12_GLOBAL__N_18offset_tEEE10hipError_tPvRmT1_PNSt15iterator_traitsISK_E10value_typeET2_T3_PNSL_ISQ_E10value_typeET4_jRbjT5_SW_jjP12ihipStream_tbEUlT_E_NS1_11comp_targetILNS1_3genE5ELNS1_11target_archE942ELNS1_3gpuE9ELNS1_3repE0EEENS1_30default_config_static_selectorELNS0_4arch9wavefront6targetE1EEEvSK_.uses_vcc, 0
	.set _ZN7rocprim17ROCPRIM_400000_NS6detail17trampoline_kernelINS0_14default_configENS1_36segmented_radix_sort_config_selectorIslEEZNS1_25segmented_radix_sort_implIS3_Lb1EPKsPsPKlPlN2at6native12_GLOBAL__N_18offset_tEEE10hipError_tPvRmT1_PNSt15iterator_traitsISK_E10value_typeET2_T3_PNSL_ISQ_E10value_typeET4_jRbjT5_SW_jjP12ihipStream_tbEUlT_E_NS1_11comp_targetILNS1_3genE5ELNS1_11target_archE942ELNS1_3gpuE9ELNS1_3repE0EEENS1_30default_config_static_selectorELNS0_4arch9wavefront6targetE1EEEvSK_.uses_flat_scratch, 0
	.set _ZN7rocprim17ROCPRIM_400000_NS6detail17trampoline_kernelINS0_14default_configENS1_36segmented_radix_sort_config_selectorIslEEZNS1_25segmented_radix_sort_implIS3_Lb1EPKsPsPKlPlN2at6native12_GLOBAL__N_18offset_tEEE10hipError_tPvRmT1_PNSt15iterator_traitsISK_E10value_typeET2_T3_PNSL_ISQ_E10value_typeET4_jRbjT5_SW_jjP12ihipStream_tbEUlT_E_NS1_11comp_targetILNS1_3genE5ELNS1_11target_archE942ELNS1_3gpuE9ELNS1_3repE0EEENS1_30default_config_static_selectorELNS0_4arch9wavefront6targetE1EEEvSK_.has_dyn_sized_stack, 0
	.set _ZN7rocprim17ROCPRIM_400000_NS6detail17trampoline_kernelINS0_14default_configENS1_36segmented_radix_sort_config_selectorIslEEZNS1_25segmented_radix_sort_implIS3_Lb1EPKsPsPKlPlN2at6native12_GLOBAL__N_18offset_tEEE10hipError_tPvRmT1_PNSt15iterator_traitsISK_E10value_typeET2_T3_PNSL_ISQ_E10value_typeET4_jRbjT5_SW_jjP12ihipStream_tbEUlT_E_NS1_11comp_targetILNS1_3genE5ELNS1_11target_archE942ELNS1_3gpuE9ELNS1_3repE0EEENS1_30default_config_static_selectorELNS0_4arch9wavefront6targetE1EEEvSK_.has_recursion, 0
	.set _ZN7rocprim17ROCPRIM_400000_NS6detail17trampoline_kernelINS0_14default_configENS1_36segmented_radix_sort_config_selectorIslEEZNS1_25segmented_radix_sort_implIS3_Lb1EPKsPsPKlPlN2at6native12_GLOBAL__N_18offset_tEEE10hipError_tPvRmT1_PNSt15iterator_traitsISK_E10value_typeET2_T3_PNSL_ISQ_E10value_typeET4_jRbjT5_SW_jjP12ihipStream_tbEUlT_E_NS1_11comp_targetILNS1_3genE5ELNS1_11target_archE942ELNS1_3gpuE9ELNS1_3repE0EEENS1_30default_config_static_selectorELNS0_4arch9wavefront6targetE1EEEvSK_.has_indirect_call, 0
	.section	.AMDGPU.csdata,"",@progbits
; Kernel info:
; codeLenInByte = 0
; TotalNumSgprs: 4
; NumVgprs: 0
; ScratchSize: 0
; MemoryBound: 0
; FloatMode: 240
; IeeeMode: 1
; LDSByteSize: 0 bytes/workgroup (compile time only)
; SGPRBlocks: 0
; VGPRBlocks: 0
; NumSGPRsForWavesPerEU: 4
; NumVGPRsForWavesPerEU: 1
; Occupancy: 10
; WaveLimiterHint : 0
; COMPUTE_PGM_RSRC2:SCRATCH_EN: 0
; COMPUTE_PGM_RSRC2:USER_SGPR: 6
; COMPUTE_PGM_RSRC2:TRAP_HANDLER: 0
; COMPUTE_PGM_RSRC2:TGID_X_EN: 1
; COMPUTE_PGM_RSRC2:TGID_Y_EN: 0
; COMPUTE_PGM_RSRC2:TGID_Z_EN: 0
; COMPUTE_PGM_RSRC2:TIDIG_COMP_CNT: 0
	.section	.text._ZN7rocprim17ROCPRIM_400000_NS6detail17trampoline_kernelINS0_14default_configENS1_36segmented_radix_sort_config_selectorIslEEZNS1_25segmented_radix_sort_implIS3_Lb1EPKsPsPKlPlN2at6native12_GLOBAL__N_18offset_tEEE10hipError_tPvRmT1_PNSt15iterator_traitsISK_E10value_typeET2_T3_PNSL_ISQ_E10value_typeET4_jRbjT5_SW_jjP12ihipStream_tbEUlT_E_NS1_11comp_targetILNS1_3genE4ELNS1_11target_archE910ELNS1_3gpuE8ELNS1_3repE0EEENS1_30default_config_static_selectorELNS0_4arch9wavefront6targetE1EEEvSK_,"axG",@progbits,_ZN7rocprim17ROCPRIM_400000_NS6detail17trampoline_kernelINS0_14default_configENS1_36segmented_radix_sort_config_selectorIslEEZNS1_25segmented_radix_sort_implIS3_Lb1EPKsPsPKlPlN2at6native12_GLOBAL__N_18offset_tEEE10hipError_tPvRmT1_PNSt15iterator_traitsISK_E10value_typeET2_T3_PNSL_ISQ_E10value_typeET4_jRbjT5_SW_jjP12ihipStream_tbEUlT_E_NS1_11comp_targetILNS1_3genE4ELNS1_11target_archE910ELNS1_3gpuE8ELNS1_3repE0EEENS1_30default_config_static_selectorELNS0_4arch9wavefront6targetE1EEEvSK_,comdat
	.globl	_ZN7rocprim17ROCPRIM_400000_NS6detail17trampoline_kernelINS0_14default_configENS1_36segmented_radix_sort_config_selectorIslEEZNS1_25segmented_radix_sort_implIS3_Lb1EPKsPsPKlPlN2at6native12_GLOBAL__N_18offset_tEEE10hipError_tPvRmT1_PNSt15iterator_traitsISK_E10value_typeET2_T3_PNSL_ISQ_E10value_typeET4_jRbjT5_SW_jjP12ihipStream_tbEUlT_E_NS1_11comp_targetILNS1_3genE4ELNS1_11target_archE910ELNS1_3gpuE8ELNS1_3repE0EEENS1_30default_config_static_selectorELNS0_4arch9wavefront6targetE1EEEvSK_ ; -- Begin function _ZN7rocprim17ROCPRIM_400000_NS6detail17trampoline_kernelINS0_14default_configENS1_36segmented_radix_sort_config_selectorIslEEZNS1_25segmented_radix_sort_implIS3_Lb1EPKsPsPKlPlN2at6native12_GLOBAL__N_18offset_tEEE10hipError_tPvRmT1_PNSt15iterator_traitsISK_E10value_typeET2_T3_PNSL_ISQ_E10value_typeET4_jRbjT5_SW_jjP12ihipStream_tbEUlT_E_NS1_11comp_targetILNS1_3genE4ELNS1_11target_archE910ELNS1_3gpuE8ELNS1_3repE0EEENS1_30default_config_static_selectorELNS0_4arch9wavefront6targetE1EEEvSK_
	.p2align	8
	.type	_ZN7rocprim17ROCPRIM_400000_NS6detail17trampoline_kernelINS0_14default_configENS1_36segmented_radix_sort_config_selectorIslEEZNS1_25segmented_radix_sort_implIS3_Lb1EPKsPsPKlPlN2at6native12_GLOBAL__N_18offset_tEEE10hipError_tPvRmT1_PNSt15iterator_traitsISK_E10value_typeET2_T3_PNSL_ISQ_E10value_typeET4_jRbjT5_SW_jjP12ihipStream_tbEUlT_E_NS1_11comp_targetILNS1_3genE4ELNS1_11target_archE910ELNS1_3gpuE8ELNS1_3repE0EEENS1_30default_config_static_selectorELNS0_4arch9wavefront6targetE1EEEvSK_,@function
_ZN7rocprim17ROCPRIM_400000_NS6detail17trampoline_kernelINS0_14default_configENS1_36segmented_radix_sort_config_selectorIslEEZNS1_25segmented_radix_sort_implIS3_Lb1EPKsPsPKlPlN2at6native12_GLOBAL__N_18offset_tEEE10hipError_tPvRmT1_PNSt15iterator_traitsISK_E10value_typeET2_T3_PNSL_ISQ_E10value_typeET4_jRbjT5_SW_jjP12ihipStream_tbEUlT_E_NS1_11comp_targetILNS1_3genE4ELNS1_11target_archE910ELNS1_3gpuE8ELNS1_3repE0EEENS1_30default_config_static_selectorELNS0_4arch9wavefront6targetE1EEEvSK_: ; @_ZN7rocprim17ROCPRIM_400000_NS6detail17trampoline_kernelINS0_14default_configENS1_36segmented_radix_sort_config_selectorIslEEZNS1_25segmented_radix_sort_implIS3_Lb1EPKsPsPKlPlN2at6native12_GLOBAL__N_18offset_tEEE10hipError_tPvRmT1_PNSt15iterator_traitsISK_E10value_typeET2_T3_PNSL_ISQ_E10value_typeET4_jRbjT5_SW_jjP12ihipStream_tbEUlT_E_NS1_11comp_targetILNS1_3genE4ELNS1_11target_archE910ELNS1_3gpuE8ELNS1_3repE0EEENS1_30default_config_static_selectorELNS0_4arch9wavefront6targetE1EEEvSK_
; %bb.0:
	.section	.rodata,"a",@progbits
	.p2align	6, 0x0
	.amdhsa_kernel _ZN7rocprim17ROCPRIM_400000_NS6detail17trampoline_kernelINS0_14default_configENS1_36segmented_radix_sort_config_selectorIslEEZNS1_25segmented_radix_sort_implIS3_Lb1EPKsPsPKlPlN2at6native12_GLOBAL__N_18offset_tEEE10hipError_tPvRmT1_PNSt15iterator_traitsISK_E10value_typeET2_T3_PNSL_ISQ_E10value_typeET4_jRbjT5_SW_jjP12ihipStream_tbEUlT_E_NS1_11comp_targetILNS1_3genE4ELNS1_11target_archE910ELNS1_3gpuE8ELNS1_3repE0EEENS1_30default_config_static_selectorELNS0_4arch9wavefront6targetE1EEEvSK_
		.amdhsa_group_segment_fixed_size 0
		.amdhsa_private_segment_fixed_size 0
		.amdhsa_kernarg_size 96
		.amdhsa_user_sgpr_count 6
		.amdhsa_user_sgpr_private_segment_buffer 1
		.amdhsa_user_sgpr_dispatch_ptr 0
		.amdhsa_user_sgpr_queue_ptr 0
		.amdhsa_user_sgpr_kernarg_segment_ptr 1
		.amdhsa_user_sgpr_dispatch_id 0
		.amdhsa_user_sgpr_flat_scratch_init 0
		.amdhsa_user_sgpr_private_segment_size 0
		.amdhsa_uses_dynamic_stack 0
		.amdhsa_system_sgpr_private_segment_wavefront_offset 0
		.amdhsa_system_sgpr_workgroup_id_x 1
		.amdhsa_system_sgpr_workgroup_id_y 0
		.amdhsa_system_sgpr_workgroup_id_z 0
		.amdhsa_system_sgpr_workgroup_info 0
		.amdhsa_system_vgpr_workitem_id 0
		.amdhsa_next_free_vgpr 1
		.amdhsa_next_free_sgpr 0
		.amdhsa_reserve_vcc 0
		.amdhsa_reserve_flat_scratch 0
		.amdhsa_float_round_mode_32 0
		.amdhsa_float_round_mode_16_64 0
		.amdhsa_float_denorm_mode_32 3
		.amdhsa_float_denorm_mode_16_64 3
		.amdhsa_dx10_clamp 1
		.amdhsa_ieee_mode 1
		.amdhsa_fp16_overflow 0
		.amdhsa_exception_fp_ieee_invalid_op 0
		.amdhsa_exception_fp_denorm_src 0
		.amdhsa_exception_fp_ieee_div_zero 0
		.amdhsa_exception_fp_ieee_overflow 0
		.amdhsa_exception_fp_ieee_underflow 0
		.amdhsa_exception_fp_ieee_inexact 0
		.amdhsa_exception_int_div_zero 0
	.end_amdhsa_kernel
	.section	.text._ZN7rocprim17ROCPRIM_400000_NS6detail17trampoline_kernelINS0_14default_configENS1_36segmented_radix_sort_config_selectorIslEEZNS1_25segmented_radix_sort_implIS3_Lb1EPKsPsPKlPlN2at6native12_GLOBAL__N_18offset_tEEE10hipError_tPvRmT1_PNSt15iterator_traitsISK_E10value_typeET2_T3_PNSL_ISQ_E10value_typeET4_jRbjT5_SW_jjP12ihipStream_tbEUlT_E_NS1_11comp_targetILNS1_3genE4ELNS1_11target_archE910ELNS1_3gpuE8ELNS1_3repE0EEENS1_30default_config_static_selectorELNS0_4arch9wavefront6targetE1EEEvSK_,"axG",@progbits,_ZN7rocprim17ROCPRIM_400000_NS6detail17trampoline_kernelINS0_14default_configENS1_36segmented_radix_sort_config_selectorIslEEZNS1_25segmented_radix_sort_implIS3_Lb1EPKsPsPKlPlN2at6native12_GLOBAL__N_18offset_tEEE10hipError_tPvRmT1_PNSt15iterator_traitsISK_E10value_typeET2_T3_PNSL_ISQ_E10value_typeET4_jRbjT5_SW_jjP12ihipStream_tbEUlT_E_NS1_11comp_targetILNS1_3genE4ELNS1_11target_archE910ELNS1_3gpuE8ELNS1_3repE0EEENS1_30default_config_static_selectorELNS0_4arch9wavefront6targetE1EEEvSK_,comdat
.Lfunc_end913:
	.size	_ZN7rocprim17ROCPRIM_400000_NS6detail17trampoline_kernelINS0_14default_configENS1_36segmented_radix_sort_config_selectorIslEEZNS1_25segmented_radix_sort_implIS3_Lb1EPKsPsPKlPlN2at6native12_GLOBAL__N_18offset_tEEE10hipError_tPvRmT1_PNSt15iterator_traitsISK_E10value_typeET2_T3_PNSL_ISQ_E10value_typeET4_jRbjT5_SW_jjP12ihipStream_tbEUlT_E_NS1_11comp_targetILNS1_3genE4ELNS1_11target_archE910ELNS1_3gpuE8ELNS1_3repE0EEENS1_30default_config_static_selectorELNS0_4arch9wavefront6targetE1EEEvSK_, .Lfunc_end913-_ZN7rocprim17ROCPRIM_400000_NS6detail17trampoline_kernelINS0_14default_configENS1_36segmented_radix_sort_config_selectorIslEEZNS1_25segmented_radix_sort_implIS3_Lb1EPKsPsPKlPlN2at6native12_GLOBAL__N_18offset_tEEE10hipError_tPvRmT1_PNSt15iterator_traitsISK_E10value_typeET2_T3_PNSL_ISQ_E10value_typeET4_jRbjT5_SW_jjP12ihipStream_tbEUlT_E_NS1_11comp_targetILNS1_3genE4ELNS1_11target_archE910ELNS1_3gpuE8ELNS1_3repE0EEENS1_30default_config_static_selectorELNS0_4arch9wavefront6targetE1EEEvSK_
                                        ; -- End function
	.set _ZN7rocprim17ROCPRIM_400000_NS6detail17trampoline_kernelINS0_14default_configENS1_36segmented_radix_sort_config_selectorIslEEZNS1_25segmented_radix_sort_implIS3_Lb1EPKsPsPKlPlN2at6native12_GLOBAL__N_18offset_tEEE10hipError_tPvRmT1_PNSt15iterator_traitsISK_E10value_typeET2_T3_PNSL_ISQ_E10value_typeET4_jRbjT5_SW_jjP12ihipStream_tbEUlT_E_NS1_11comp_targetILNS1_3genE4ELNS1_11target_archE910ELNS1_3gpuE8ELNS1_3repE0EEENS1_30default_config_static_selectorELNS0_4arch9wavefront6targetE1EEEvSK_.num_vgpr, 0
	.set _ZN7rocprim17ROCPRIM_400000_NS6detail17trampoline_kernelINS0_14default_configENS1_36segmented_radix_sort_config_selectorIslEEZNS1_25segmented_radix_sort_implIS3_Lb1EPKsPsPKlPlN2at6native12_GLOBAL__N_18offset_tEEE10hipError_tPvRmT1_PNSt15iterator_traitsISK_E10value_typeET2_T3_PNSL_ISQ_E10value_typeET4_jRbjT5_SW_jjP12ihipStream_tbEUlT_E_NS1_11comp_targetILNS1_3genE4ELNS1_11target_archE910ELNS1_3gpuE8ELNS1_3repE0EEENS1_30default_config_static_selectorELNS0_4arch9wavefront6targetE1EEEvSK_.num_agpr, 0
	.set _ZN7rocprim17ROCPRIM_400000_NS6detail17trampoline_kernelINS0_14default_configENS1_36segmented_radix_sort_config_selectorIslEEZNS1_25segmented_radix_sort_implIS3_Lb1EPKsPsPKlPlN2at6native12_GLOBAL__N_18offset_tEEE10hipError_tPvRmT1_PNSt15iterator_traitsISK_E10value_typeET2_T3_PNSL_ISQ_E10value_typeET4_jRbjT5_SW_jjP12ihipStream_tbEUlT_E_NS1_11comp_targetILNS1_3genE4ELNS1_11target_archE910ELNS1_3gpuE8ELNS1_3repE0EEENS1_30default_config_static_selectorELNS0_4arch9wavefront6targetE1EEEvSK_.numbered_sgpr, 0
	.set _ZN7rocprim17ROCPRIM_400000_NS6detail17trampoline_kernelINS0_14default_configENS1_36segmented_radix_sort_config_selectorIslEEZNS1_25segmented_radix_sort_implIS3_Lb1EPKsPsPKlPlN2at6native12_GLOBAL__N_18offset_tEEE10hipError_tPvRmT1_PNSt15iterator_traitsISK_E10value_typeET2_T3_PNSL_ISQ_E10value_typeET4_jRbjT5_SW_jjP12ihipStream_tbEUlT_E_NS1_11comp_targetILNS1_3genE4ELNS1_11target_archE910ELNS1_3gpuE8ELNS1_3repE0EEENS1_30default_config_static_selectorELNS0_4arch9wavefront6targetE1EEEvSK_.num_named_barrier, 0
	.set _ZN7rocprim17ROCPRIM_400000_NS6detail17trampoline_kernelINS0_14default_configENS1_36segmented_radix_sort_config_selectorIslEEZNS1_25segmented_radix_sort_implIS3_Lb1EPKsPsPKlPlN2at6native12_GLOBAL__N_18offset_tEEE10hipError_tPvRmT1_PNSt15iterator_traitsISK_E10value_typeET2_T3_PNSL_ISQ_E10value_typeET4_jRbjT5_SW_jjP12ihipStream_tbEUlT_E_NS1_11comp_targetILNS1_3genE4ELNS1_11target_archE910ELNS1_3gpuE8ELNS1_3repE0EEENS1_30default_config_static_selectorELNS0_4arch9wavefront6targetE1EEEvSK_.private_seg_size, 0
	.set _ZN7rocprim17ROCPRIM_400000_NS6detail17trampoline_kernelINS0_14default_configENS1_36segmented_radix_sort_config_selectorIslEEZNS1_25segmented_radix_sort_implIS3_Lb1EPKsPsPKlPlN2at6native12_GLOBAL__N_18offset_tEEE10hipError_tPvRmT1_PNSt15iterator_traitsISK_E10value_typeET2_T3_PNSL_ISQ_E10value_typeET4_jRbjT5_SW_jjP12ihipStream_tbEUlT_E_NS1_11comp_targetILNS1_3genE4ELNS1_11target_archE910ELNS1_3gpuE8ELNS1_3repE0EEENS1_30default_config_static_selectorELNS0_4arch9wavefront6targetE1EEEvSK_.uses_vcc, 0
	.set _ZN7rocprim17ROCPRIM_400000_NS6detail17trampoline_kernelINS0_14default_configENS1_36segmented_radix_sort_config_selectorIslEEZNS1_25segmented_radix_sort_implIS3_Lb1EPKsPsPKlPlN2at6native12_GLOBAL__N_18offset_tEEE10hipError_tPvRmT1_PNSt15iterator_traitsISK_E10value_typeET2_T3_PNSL_ISQ_E10value_typeET4_jRbjT5_SW_jjP12ihipStream_tbEUlT_E_NS1_11comp_targetILNS1_3genE4ELNS1_11target_archE910ELNS1_3gpuE8ELNS1_3repE0EEENS1_30default_config_static_selectorELNS0_4arch9wavefront6targetE1EEEvSK_.uses_flat_scratch, 0
	.set _ZN7rocprim17ROCPRIM_400000_NS6detail17trampoline_kernelINS0_14default_configENS1_36segmented_radix_sort_config_selectorIslEEZNS1_25segmented_radix_sort_implIS3_Lb1EPKsPsPKlPlN2at6native12_GLOBAL__N_18offset_tEEE10hipError_tPvRmT1_PNSt15iterator_traitsISK_E10value_typeET2_T3_PNSL_ISQ_E10value_typeET4_jRbjT5_SW_jjP12ihipStream_tbEUlT_E_NS1_11comp_targetILNS1_3genE4ELNS1_11target_archE910ELNS1_3gpuE8ELNS1_3repE0EEENS1_30default_config_static_selectorELNS0_4arch9wavefront6targetE1EEEvSK_.has_dyn_sized_stack, 0
	.set _ZN7rocprim17ROCPRIM_400000_NS6detail17trampoline_kernelINS0_14default_configENS1_36segmented_radix_sort_config_selectorIslEEZNS1_25segmented_radix_sort_implIS3_Lb1EPKsPsPKlPlN2at6native12_GLOBAL__N_18offset_tEEE10hipError_tPvRmT1_PNSt15iterator_traitsISK_E10value_typeET2_T3_PNSL_ISQ_E10value_typeET4_jRbjT5_SW_jjP12ihipStream_tbEUlT_E_NS1_11comp_targetILNS1_3genE4ELNS1_11target_archE910ELNS1_3gpuE8ELNS1_3repE0EEENS1_30default_config_static_selectorELNS0_4arch9wavefront6targetE1EEEvSK_.has_recursion, 0
	.set _ZN7rocprim17ROCPRIM_400000_NS6detail17trampoline_kernelINS0_14default_configENS1_36segmented_radix_sort_config_selectorIslEEZNS1_25segmented_radix_sort_implIS3_Lb1EPKsPsPKlPlN2at6native12_GLOBAL__N_18offset_tEEE10hipError_tPvRmT1_PNSt15iterator_traitsISK_E10value_typeET2_T3_PNSL_ISQ_E10value_typeET4_jRbjT5_SW_jjP12ihipStream_tbEUlT_E_NS1_11comp_targetILNS1_3genE4ELNS1_11target_archE910ELNS1_3gpuE8ELNS1_3repE0EEENS1_30default_config_static_selectorELNS0_4arch9wavefront6targetE1EEEvSK_.has_indirect_call, 0
	.section	.AMDGPU.csdata,"",@progbits
; Kernel info:
; codeLenInByte = 0
; TotalNumSgprs: 4
; NumVgprs: 0
; ScratchSize: 0
; MemoryBound: 0
; FloatMode: 240
; IeeeMode: 1
; LDSByteSize: 0 bytes/workgroup (compile time only)
; SGPRBlocks: 0
; VGPRBlocks: 0
; NumSGPRsForWavesPerEU: 4
; NumVGPRsForWavesPerEU: 1
; Occupancy: 10
; WaveLimiterHint : 0
; COMPUTE_PGM_RSRC2:SCRATCH_EN: 0
; COMPUTE_PGM_RSRC2:USER_SGPR: 6
; COMPUTE_PGM_RSRC2:TRAP_HANDLER: 0
; COMPUTE_PGM_RSRC2:TGID_X_EN: 1
; COMPUTE_PGM_RSRC2:TGID_Y_EN: 0
; COMPUTE_PGM_RSRC2:TGID_Z_EN: 0
; COMPUTE_PGM_RSRC2:TIDIG_COMP_CNT: 0
	.section	.text._ZN7rocprim17ROCPRIM_400000_NS6detail17trampoline_kernelINS0_14default_configENS1_36segmented_radix_sort_config_selectorIslEEZNS1_25segmented_radix_sort_implIS3_Lb1EPKsPsPKlPlN2at6native12_GLOBAL__N_18offset_tEEE10hipError_tPvRmT1_PNSt15iterator_traitsISK_E10value_typeET2_T3_PNSL_ISQ_E10value_typeET4_jRbjT5_SW_jjP12ihipStream_tbEUlT_E_NS1_11comp_targetILNS1_3genE3ELNS1_11target_archE908ELNS1_3gpuE7ELNS1_3repE0EEENS1_30default_config_static_selectorELNS0_4arch9wavefront6targetE1EEEvSK_,"axG",@progbits,_ZN7rocprim17ROCPRIM_400000_NS6detail17trampoline_kernelINS0_14default_configENS1_36segmented_radix_sort_config_selectorIslEEZNS1_25segmented_radix_sort_implIS3_Lb1EPKsPsPKlPlN2at6native12_GLOBAL__N_18offset_tEEE10hipError_tPvRmT1_PNSt15iterator_traitsISK_E10value_typeET2_T3_PNSL_ISQ_E10value_typeET4_jRbjT5_SW_jjP12ihipStream_tbEUlT_E_NS1_11comp_targetILNS1_3genE3ELNS1_11target_archE908ELNS1_3gpuE7ELNS1_3repE0EEENS1_30default_config_static_selectorELNS0_4arch9wavefront6targetE1EEEvSK_,comdat
	.globl	_ZN7rocprim17ROCPRIM_400000_NS6detail17trampoline_kernelINS0_14default_configENS1_36segmented_radix_sort_config_selectorIslEEZNS1_25segmented_radix_sort_implIS3_Lb1EPKsPsPKlPlN2at6native12_GLOBAL__N_18offset_tEEE10hipError_tPvRmT1_PNSt15iterator_traitsISK_E10value_typeET2_T3_PNSL_ISQ_E10value_typeET4_jRbjT5_SW_jjP12ihipStream_tbEUlT_E_NS1_11comp_targetILNS1_3genE3ELNS1_11target_archE908ELNS1_3gpuE7ELNS1_3repE0EEENS1_30default_config_static_selectorELNS0_4arch9wavefront6targetE1EEEvSK_ ; -- Begin function _ZN7rocprim17ROCPRIM_400000_NS6detail17trampoline_kernelINS0_14default_configENS1_36segmented_radix_sort_config_selectorIslEEZNS1_25segmented_radix_sort_implIS3_Lb1EPKsPsPKlPlN2at6native12_GLOBAL__N_18offset_tEEE10hipError_tPvRmT1_PNSt15iterator_traitsISK_E10value_typeET2_T3_PNSL_ISQ_E10value_typeET4_jRbjT5_SW_jjP12ihipStream_tbEUlT_E_NS1_11comp_targetILNS1_3genE3ELNS1_11target_archE908ELNS1_3gpuE7ELNS1_3repE0EEENS1_30default_config_static_selectorELNS0_4arch9wavefront6targetE1EEEvSK_
	.p2align	8
	.type	_ZN7rocprim17ROCPRIM_400000_NS6detail17trampoline_kernelINS0_14default_configENS1_36segmented_radix_sort_config_selectorIslEEZNS1_25segmented_radix_sort_implIS3_Lb1EPKsPsPKlPlN2at6native12_GLOBAL__N_18offset_tEEE10hipError_tPvRmT1_PNSt15iterator_traitsISK_E10value_typeET2_T3_PNSL_ISQ_E10value_typeET4_jRbjT5_SW_jjP12ihipStream_tbEUlT_E_NS1_11comp_targetILNS1_3genE3ELNS1_11target_archE908ELNS1_3gpuE7ELNS1_3repE0EEENS1_30default_config_static_selectorELNS0_4arch9wavefront6targetE1EEEvSK_,@function
_ZN7rocprim17ROCPRIM_400000_NS6detail17trampoline_kernelINS0_14default_configENS1_36segmented_radix_sort_config_selectorIslEEZNS1_25segmented_radix_sort_implIS3_Lb1EPKsPsPKlPlN2at6native12_GLOBAL__N_18offset_tEEE10hipError_tPvRmT1_PNSt15iterator_traitsISK_E10value_typeET2_T3_PNSL_ISQ_E10value_typeET4_jRbjT5_SW_jjP12ihipStream_tbEUlT_E_NS1_11comp_targetILNS1_3genE3ELNS1_11target_archE908ELNS1_3gpuE7ELNS1_3repE0EEENS1_30default_config_static_selectorELNS0_4arch9wavefront6targetE1EEEvSK_: ; @_ZN7rocprim17ROCPRIM_400000_NS6detail17trampoline_kernelINS0_14default_configENS1_36segmented_radix_sort_config_selectorIslEEZNS1_25segmented_radix_sort_implIS3_Lb1EPKsPsPKlPlN2at6native12_GLOBAL__N_18offset_tEEE10hipError_tPvRmT1_PNSt15iterator_traitsISK_E10value_typeET2_T3_PNSL_ISQ_E10value_typeET4_jRbjT5_SW_jjP12ihipStream_tbEUlT_E_NS1_11comp_targetILNS1_3genE3ELNS1_11target_archE908ELNS1_3gpuE7ELNS1_3repE0EEENS1_30default_config_static_selectorELNS0_4arch9wavefront6targetE1EEEvSK_
; %bb.0:
	.section	.rodata,"a",@progbits
	.p2align	6, 0x0
	.amdhsa_kernel _ZN7rocprim17ROCPRIM_400000_NS6detail17trampoline_kernelINS0_14default_configENS1_36segmented_radix_sort_config_selectorIslEEZNS1_25segmented_radix_sort_implIS3_Lb1EPKsPsPKlPlN2at6native12_GLOBAL__N_18offset_tEEE10hipError_tPvRmT1_PNSt15iterator_traitsISK_E10value_typeET2_T3_PNSL_ISQ_E10value_typeET4_jRbjT5_SW_jjP12ihipStream_tbEUlT_E_NS1_11comp_targetILNS1_3genE3ELNS1_11target_archE908ELNS1_3gpuE7ELNS1_3repE0EEENS1_30default_config_static_selectorELNS0_4arch9wavefront6targetE1EEEvSK_
		.amdhsa_group_segment_fixed_size 0
		.amdhsa_private_segment_fixed_size 0
		.amdhsa_kernarg_size 96
		.amdhsa_user_sgpr_count 6
		.amdhsa_user_sgpr_private_segment_buffer 1
		.amdhsa_user_sgpr_dispatch_ptr 0
		.amdhsa_user_sgpr_queue_ptr 0
		.amdhsa_user_sgpr_kernarg_segment_ptr 1
		.amdhsa_user_sgpr_dispatch_id 0
		.amdhsa_user_sgpr_flat_scratch_init 0
		.amdhsa_user_sgpr_private_segment_size 0
		.amdhsa_uses_dynamic_stack 0
		.amdhsa_system_sgpr_private_segment_wavefront_offset 0
		.amdhsa_system_sgpr_workgroup_id_x 1
		.amdhsa_system_sgpr_workgroup_id_y 0
		.amdhsa_system_sgpr_workgroup_id_z 0
		.amdhsa_system_sgpr_workgroup_info 0
		.amdhsa_system_vgpr_workitem_id 0
		.amdhsa_next_free_vgpr 1
		.amdhsa_next_free_sgpr 0
		.amdhsa_reserve_vcc 0
		.amdhsa_reserve_flat_scratch 0
		.amdhsa_float_round_mode_32 0
		.amdhsa_float_round_mode_16_64 0
		.amdhsa_float_denorm_mode_32 3
		.amdhsa_float_denorm_mode_16_64 3
		.amdhsa_dx10_clamp 1
		.amdhsa_ieee_mode 1
		.amdhsa_fp16_overflow 0
		.amdhsa_exception_fp_ieee_invalid_op 0
		.amdhsa_exception_fp_denorm_src 0
		.amdhsa_exception_fp_ieee_div_zero 0
		.amdhsa_exception_fp_ieee_overflow 0
		.amdhsa_exception_fp_ieee_underflow 0
		.amdhsa_exception_fp_ieee_inexact 0
		.amdhsa_exception_int_div_zero 0
	.end_amdhsa_kernel
	.section	.text._ZN7rocprim17ROCPRIM_400000_NS6detail17trampoline_kernelINS0_14default_configENS1_36segmented_radix_sort_config_selectorIslEEZNS1_25segmented_radix_sort_implIS3_Lb1EPKsPsPKlPlN2at6native12_GLOBAL__N_18offset_tEEE10hipError_tPvRmT1_PNSt15iterator_traitsISK_E10value_typeET2_T3_PNSL_ISQ_E10value_typeET4_jRbjT5_SW_jjP12ihipStream_tbEUlT_E_NS1_11comp_targetILNS1_3genE3ELNS1_11target_archE908ELNS1_3gpuE7ELNS1_3repE0EEENS1_30default_config_static_selectorELNS0_4arch9wavefront6targetE1EEEvSK_,"axG",@progbits,_ZN7rocprim17ROCPRIM_400000_NS6detail17trampoline_kernelINS0_14default_configENS1_36segmented_radix_sort_config_selectorIslEEZNS1_25segmented_radix_sort_implIS3_Lb1EPKsPsPKlPlN2at6native12_GLOBAL__N_18offset_tEEE10hipError_tPvRmT1_PNSt15iterator_traitsISK_E10value_typeET2_T3_PNSL_ISQ_E10value_typeET4_jRbjT5_SW_jjP12ihipStream_tbEUlT_E_NS1_11comp_targetILNS1_3genE3ELNS1_11target_archE908ELNS1_3gpuE7ELNS1_3repE0EEENS1_30default_config_static_selectorELNS0_4arch9wavefront6targetE1EEEvSK_,comdat
.Lfunc_end914:
	.size	_ZN7rocprim17ROCPRIM_400000_NS6detail17trampoline_kernelINS0_14default_configENS1_36segmented_radix_sort_config_selectorIslEEZNS1_25segmented_radix_sort_implIS3_Lb1EPKsPsPKlPlN2at6native12_GLOBAL__N_18offset_tEEE10hipError_tPvRmT1_PNSt15iterator_traitsISK_E10value_typeET2_T3_PNSL_ISQ_E10value_typeET4_jRbjT5_SW_jjP12ihipStream_tbEUlT_E_NS1_11comp_targetILNS1_3genE3ELNS1_11target_archE908ELNS1_3gpuE7ELNS1_3repE0EEENS1_30default_config_static_selectorELNS0_4arch9wavefront6targetE1EEEvSK_, .Lfunc_end914-_ZN7rocprim17ROCPRIM_400000_NS6detail17trampoline_kernelINS0_14default_configENS1_36segmented_radix_sort_config_selectorIslEEZNS1_25segmented_radix_sort_implIS3_Lb1EPKsPsPKlPlN2at6native12_GLOBAL__N_18offset_tEEE10hipError_tPvRmT1_PNSt15iterator_traitsISK_E10value_typeET2_T3_PNSL_ISQ_E10value_typeET4_jRbjT5_SW_jjP12ihipStream_tbEUlT_E_NS1_11comp_targetILNS1_3genE3ELNS1_11target_archE908ELNS1_3gpuE7ELNS1_3repE0EEENS1_30default_config_static_selectorELNS0_4arch9wavefront6targetE1EEEvSK_
                                        ; -- End function
	.set _ZN7rocprim17ROCPRIM_400000_NS6detail17trampoline_kernelINS0_14default_configENS1_36segmented_radix_sort_config_selectorIslEEZNS1_25segmented_radix_sort_implIS3_Lb1EPKsPsPKlPlN2at6native12_GLOBAL__N_18offset_tEEE10hipError_tPvRmT1_PNSt15iterator_traitsISK_E10value_typeET2_T3_PNSL_ISQ_E10value_typeET4_jRbjT5_SW_jjP12ihipStream_tbEUlT_E_NS1_11comp_targetILNS1_3genE3ELNS1_11target_archE908ELNS1_3gpuE7ELNS1_3repE0EEENS1_30default_config_static_selectorELNS0_4arch9wavefront6targetE1EEEvSK_.num_vgpr, 0
	.set _ZN7rocprim17ROCPRIM_400000_NS6detail17trampoline_kernelINS0_14default_configENS1_36segmented_radix_sort_config_selectorIslEEZNS1_25segmented_radix_sort_implIS3_Lb1EPKsPsPKlPlN2at6native12_GLOBAL__N_18offset_tEEE10hipError_tPvRmT1_PNSt15iterator_traitsISK_E10value_typeET2_T3_PNSL_ISQ_E10value_typeET4_jRbjT5_SW_jjP12ihipStream_tbEUlT_E_NS1_11comp_targetILNS1_3genE3ELNS1_11target_archE908ELNS1_3gpuE7ELNS1_3repE0EEENS1_30default_config_static_selectorELNS0_4arch9wavefront6targetE1EEEvSK_.num_agpr, 0
	.set _ZN7rocprim17ROCPRIM_400000_NS6detail17trampoline_kernelINS0_14default_configENS1_36segmented_radix_sort_config_selectorIslEEZNS1_25segmented_radix_sort_implIS3_Lb1EPKsPsPKlPlN2at6native12_GLOBAL__N_18offset_tEEE10hipError_tPvRmT1_PNSt15iterator_traitsISK_E10value_typeET2_T3_PNSL_ISQ_E10value_typeET4_jRbjT5_SW_jjP12ihipStream_tbEUlT_E_NS1_11comp_targetILNS1_3genE3ELNS1_11target_archE908ELNS1_3gpuE7ELNS1_3repE0EEENS1_30default_config_static_selectorELNS0_4arch9wavefront6targetE1EEEvSK_.numbered_sgpr, 0
	.set _ZN7rocprim17ROCPRIM_400000_NS6detail17trampoline_kernelINS0_14default_configENS1_36segmented_radix_sort_config_selectorIslEEZNS1_25segmented_radix_sort_implIS3_Lb1EPKsPsPKlPlN2at6native12_GLOBAL__N_18offset_tEEE10hipError_tPvRmT1_PNSt15iterator_traitsISK_E10value_typeET2_T3_PNSL_ISQ_E10value_typeET4_jRbjT5_SW_jjP12ihipStream_tbEUlT_E_NS1_11comp_targetILNS1_3genE3ELNS1_11target_archE908ELNS1_3gpuE7ELNS1_3repE0EEENS1_30default_config_static_selectorELNS0_4arch9wavefront6targetE1EEEvSK_.num_named_barrier, 0
	.set _ZN7rocprim17ROCPRIM_400000_NS6detail17trampoline_kernelINS0_14default_configENS1_36segmented_radix_sort_config_selectorIslEEZNS1_25segmented_radix_sort_implIS3_Lb1EPKsPsPKlPlN2at6native12_GLOBAL__N_18offset_tEEE10hipError_tPvRmT1_PNSt15iterator_traitsISK_E10value_typeET2_T3_PNSL_ISQ_E10value_typeET4_jRbjT5_SW_jjP12ihipStream_tbEUlT_E_NS1_11comp_targetILNS1_3genE3ELNS1_11target_archE908ELNS1_3gpuE7ELNS1_3repE0EEENS1_30default_config_static_selectorELNS0_4arch9wavefront6targetE1EEEvSK_.private_seg_size, 0
	.set _ZN7rocprim17ROCPRIM_400000_NS6detail17trampoline_kernelINS0_14default_configENS1_36segmented_radix_sort_config_selectorIslEEZNS1_25segmented_radix_sort_implIS3_Lb1EPKsPsPKlPlN2at6native12_GLOBAL__N_18offset_tEEE10hipError_tPvRmT1_PNSt15iterator_traitsISK_E10value_typeET2_T3_PNSL_ISQ_E10value_typeET4_jRbjT5_SW_jjP12ihipStream_tbEUlT_E_NS1_11comp_targetILNS1_3genE3ELNS1_11target_archE908ELNS1_3gpuE7ELNS1_3repE0EEENS1_30default_config_static_selectorELNS0_4arch9wavefront6targetE1EEEvSK_.uses_vcc, 0
	.set _ZN7rocprim17ROCPRIM_400000_NS6detail17trampoline_kernelINS0_14default_configENS1_36segmented_radix_sort_config_selectorIslEEZNS1_25segmented_radix_sort_implIS3_Lb1EPKsPsPKlPlN2at6native12_GLOBAL__N_18offset_tEEE10hipError_tPvRmT1_PNSt15iterator_traitsISK_E10value_typeET2_T3_PNSL_ISQ_E10value_typeET4_jRbjT5_SW_jjP12ihipStream_tbEUlT_E_NS1_11comp_targetILNS1_3genE3ELNS1_11target_archE908ELNS1_3gpuE7ELNS1_3repE0EEENS1_30default_config_static_selectorELNS0_4arch9wavefront6targetE1EEEvSK_.uses_flat_scratch, 0
	.set _ZN7rocprim17ROCPRIM_400000_NS6detail17trampoline_kernelINS0_14default_configENS1_36segmented_radix_sort_config_selectorIslEEZNS1_25segmented_radix_sort_implIS3_Lb1EPKsPsPKlPlN2at6native12_GLOBAL__N_18offset_tEEE10hipError_tPvRmT1_PNSt15iterator_traitsISK_E10value_typeET2_T3_PNSL_ISQ_E10value_typeET4_jRbjT5_SW_jjP12ihipStream_tbEUlT_E_NS1_11comp_targetILNS1_3genE3ELNS1_11target_archE908ELNS1_3gpuE7ELNS1_3repE0EEENS1_30default_config_static_selectorELNS0_4arch9wavefront6targetE1EEEvSK_.has_dyn_sized_stack, 0
	.set _ZN7rocprim17ROCPRIM_400000_NS6detail17trampoline_kernelINS0_14default_configENS1_36segmented_radix_sort_config_selectorIslEEZNS1_25segmented_radix_sort_implIS3_Lb1EPKsPsPKlPlN2at6native12_GLOBAL__N_18offset_tEEE10hipError_tPvRmT1_PNSt15iterator_traitsISK_E10value_typeET2_T3_PNSL_ISQ_E10value_typeET4_jRbjT5_SW_jjP12ihipStream_tbEUlT_E_NS1_11comp_targetILNS1_3genE3ELNS1_11target_archE908ELNS1_3gpuE7ELNS1_3repE0EEENS1_30default_config_static_selectorELNS0_4arch9wavefront6targetE1EEEvSK_.has_recursion, 0
	.set _ZN7rocprim17ROCPRIM_400000_NS6detail17trampoline_kernelINS0_14default_configENS1_36segmented_radix_sort_config_selectorIslEEZNS1_25segmented_radix_sort_implIS3_Lb1EPKsPsPKlPlN2at6native12_GLOBAL__N_18offset_tEEE10hipError_tPvRmT1_PNSt15iterator_traitsISK_E10value_typeET2_T3_PNSL_ISQ_E10value_typeET4_jRbjT5_SW_jjP12ihipStream_tbEUlT_E_NS1_11comp_targetILNS1_3genE3ELNS1_11target_archE908ELNS1_3gpuE7ELNS1_3repE0EEENS1_30default_config_static_selectorELNS0_4arch9wavefront6targetE1EEEvSK_.has_indirect_call, 0
	.section	.AMDGPU.csdata,"",@progbits
; Kernel info:
; codeLenInByte = 0
; TotalNumSgprs: 4
; NumVgprs: 0
; ScratchSize: 0
; MemoryBound: 0
; FloatMode: 240
; IeeeMode: 1
; LDSByteSize: 0 bytes/workgroup (compile time only)
; SGPRBlocks: 0
; VGPRBlocks: 0
; NumSGPRsForWavesPerEU: 4
; NumVGPRsForWavesPerEU: 1
; Occupancy: 10
; WaveLimiterHint : 0
; COMPUTE_PGM_RSRC2:SCRATCH_EN: 0
; COMPUTE_PGM_RSRC2:USER_SGPR: 6
; COMPUTE_PGM_RSRC2:TRAP_HANDLER: 0
; COMPUTE_PGM_RSRC2:TGID_X_EN: 1
; COMPUTE_PGM_RSRC2:TGID_Y_EN: 0
; COMPUTE_PGM_RSRC2:TGID_Z_EN: 0
; COMPUTE_PGM_RSRC2:TIDIG_COMP_CNT: 0
	.text
	.p2align	2                               ; -- Begin function _ZN7rocprim17ROCPRIM_400000_NS6detail40segmented_radix_sort_single_block_helperIslLj256ELj4ELb1EE4sortIPKsPsPKlPlEEbT_T0_T1_T2_jjjjRNS3_12storage_typeE
	.type	_ZN7rocprim17ROCPRIM_400000_NS6detail40segmented_radix_sort_single_block_helperIslLj256ELj4ELb1EE4sortIPKsPsPKlPlEEbT_T0_T1_T2_jjjjRNS3_12storage_typeE,@function
_ZN7rocprim17ROCPRIM_400000_NS6detail40segmented_radix_sort_single_block_helperIslLj256ELj4ELb1EE4sortIPKsPsPKlPlEEbT_T0_T1_T2_jjjjRNS3_12storage_typeE: ; @_ZN7rocprim17ROCPRIM_400000_NS6detail40segmented_radix_sort_single_block_helperIslLj256ELj4ELb1EE4sortIPKsPsPKlPlEEbT_T0_T1_T2_jjjjRNS3_12storage_typeE
; %bb.0:
	s_waitcnt vmcnt(0) expcnt(0) lgkmcnt(0)
	v_sub_u32_e32 v39, v9, v8
	s_movk_i32 s4, 0x401
	v_cmp_gt_u32_e32 vcc, s4, v39
	s_and_saveexec_b64 s[46:47], vcc
	s_cbranch_execz .LBB915_106
; %bb.1:
	s_movk_i32 s4, 0x200
	v_cmp_lt_u32_e32 vcc, s4, v39
	v_bfe_u32 v15, v31, 10, 10
	v_bfe_u32 v19, v31, 20, 10
	v_mbcnt_lo_u32_b32 v18, -1, 0
	s_and_saveexec_b64 s[4:5], vcc
	s_xor_b64 s[56:57], exec, s[4:5]
	s_cbranch_execz .LBB915_47
; %bb.2:
	s_load_dwordx2 s[4:5], s[8:9], 0x0
	v_mov_b32_e32 v9, 0
	v_lshlrev_b64 v[16:17], 1, v[8:9]
	v_and_b32_e32 v14, 0x3ff, v31
	v_add_co_u32_e32 v26, vcc, v0, v16
	s_waitcnt lgkmcnt(0)
	s_cmp_lt_u32 s13, s5
	s_cselect_b32 s5, 14, 20
	s_add_u32 s6, s8, s5
	s_addc_u32 s7, s9, 0
	s_cmp_lt_u32 s12, s4
	s_cselect_b32 s4, 12, 18
	s_add_u32 s4, s8, s4
	global_load_ushort v21, v9, s[6:7]
	s_addc_u32 s5, s9, 0
	global_load_ushort v22, v9, s[4:5]
	v_addc_co_u32_e32 v27, vcc, v1, v17, vcc
	v_mbcnt_hi_u32_b32 v24, -1, v18
	v_and_b32_e32 v25, 63, v24
	v_mov_b32_e32 v23, v9
	v_lshlrev_b32_e32 v18, 1, v25
	v_mov_b32_e32 v20, 0x80008000
	s_waitcnt vmcnt(1)
	v_mad_u32_u24 v0, v19, v21, v15
	s_waitcnt vmcnt(0)
	v_mad_u64_u32 v[0:1], s[4:5], v0, v22, v[14:15]
	v_add_co_u32_e32 v15, vcc, v26, v18
	v_lshlrev_b32_e32 v1, 2, v0
	v_and_b32_e32 v22, 0xffffff00, v1
	v_lshlrev_b64 v[18:19], 1, v[22:23]
	v_addc_co_u32_e32 v21, vcc, 0, v27, vcc
	v_or_b32_e32 v1, v22, v25
	v_add_co_u32_e64 v18, s[4:5], v15, v18
	v_cmp_lt_u32_e32 vcc, v1, v39
	v_addc_co_u32_e64 v19, s[4:5], v21, v19, s[4:5]
	v_mov_b32_e32 v21, v20
	s_and_saveexec_b64 s[4:5], vcc
	s_cbranch_execz .LBB915_4
; %bb.3:
	flat_load_ushort v15, v[18:19]
	s_movk_i32 s6, 0x8000
	v_mov_b32_e32 v21, 0x5040100
	v_mov_b32_e32 v27, v20
	s_waitcnt vmcnt(0) lgkmcnt(0)
	v_perm_b32 v26, s6, v15, v21
	v_mov_b32_e32 v20, v26
	v_mov_b32_e32 v21, v27
.LBB915_4:
	s_or_b64 exec, exec, s[4:5]
	v_or_b32_e32 v15, 64, v1
	v_cmp_lt_u32_e64 s[4:5], v15, v39
	s_and_saveexec_b64 s[6:7], s[4:5]
	s_cbranch_execz .LBB915_6
; %bb.5:
	flat_load_ushort v15, v[18:19] offset:128
	s_mov_b32 s10, 0x5040100
	s_waitcnt vmcnt(0) lgkmcnt(0)
	v_perm_b32 v20, v15, v20, s10
.LBB915_6:
	s_or_b64 exec, exec, s[6:7]
	v_or_b32_e32 v15, 0x80, v1
	v_cmp_lt_u32_e64 s[6:7], v15, v39
	s_and_saveexec_b64 s[10:11], s[6:7]
	s_cbranch_execz .LBB915_8
; %bb.7:
	flat_load_ushort v15, v[18:19] offset:256
	s_mov_b32 s14, 0xffff
	s_waitcnt vmcnt(0) lgkmcnt(0)
	v_bfi_b32 v21, s14, v15, v21
.LBB915_8:
	s_or_b64 exec, exec, s[10:11]
	v_or_b32_e32 v1, 0xc0, v1
	v_cmp_lt_u32_e64 s[10:11], v1, v39
	s_and_saveexec_b64 s[14:15], s[10:11]
	s_cbranch_execz .LBB915_10
; %bb.9:
	flat_load_ushort v1, v[18:19] offset:384
	s_mov_b32 s16, 0x5040100
	s_waitcnt vmcnt(0) lgkmcnt(0)
	v_perm_b32 v21, v1, v21, s16
.LBB915_10:
	s_or_b64 exec, exec, s[14:15]
	v_lshlrev_b64 v[18:19], 3, v[8:9]
                                        ; implicit-def: $vgpr26_vgpr27
	v_add_co_u32_e64 v1, s[14:15], v4, v18
	v_addc_co_u32_e64 v4, s[14:15], v5, v19, s[14:15]
	v_lshlrev_b32_e32 v5, 3, v25
	v_add_co_u32_e64 v1, s[14:15], v1, v5
	v_addc_co_u32_e64 v8, s[14:15], 0, v4, s[14:15]
	v_lshlrev_b64 v[4:5], 3, v[22:23]
	v_add_co_u32_e64 v4, s[14:15], v1, v4
	v_addc_co_u32_e64 v5, s[14:15], v8, v5, s[14:15]
	s_and_saveexec_b64 s[14:15], vcc
	s_cbranch_execnz .LBB915_71
; %bb.11:
	s_or_b64 exec, exec, s[14:15]
                                        ; implicit-def: $vgpr28_vgpr29
	s_and_saveexec_b64 s[14:15], s[4:5]
	s_cbranch_execnz .LBB915_72
.LBB915_12:
	s_or_b64 exec, exec, s[14:15]
                                        ; implicit-def: $vgpr33_vgpr34
	s_and_saveexec_b64 s[4:5], s[6:7]
	s_cbranch_execnz .LBB915_73
.LBB915_13:
	s_or_b64 exec, exec, s[4:5]
                                        ; implicit-def: $vgpr35_vgpr36
	s_and_saveexec_b64 s[4:5], s[10:11]
	s_cbranch_execz .LBB915_15
.LBB915_14:
	flat_load_dwordx2 v[35:36], v[4:5] offset:1536
.LBB915_15:
	s_or_b64 exec, exec, s[4:5]
	s_movk_i32 s4, 0x7fff
	v_lshl_add_u32 v5, v14, 4, v12
	v_xor_b32_sdwa v8, v21, s4 dst_sel:DWORD dst_unused:UNUSED_PAD src0_sel:WORD_1 src1_sel:DWORD
	v_xor_b32_e32 v9, 0x7fff, v20
	v_xor_b32_sdwa v20, v20, s4 dst_sel:DWORD dst_unused:UNUSED_PAD src0_sel:WORD_1 src1_sel:DWORD
	s_getpc_b64 s[4:5]
	s_add_u32 s4, s4, _ZN7rocprim17ROCPRIM_400000_NS16block_radix_sortIsLj256ELj4ElLj1ELj1ELj8ELNS0_26block_radix_rank_algorithmE2ELNS0_18block_padding_hintE2ELNS0_4arch9wavefront6targetE1EE19radix_bits_per_passE@rel32@lo+4
	s_addc_u32 s5, s5, _ZN7rocprim17ROCPRIM_400000_NS16block_radix_sortIsLj256ELj4ElLj1ELj1ELj8ELNS0_26block_radix_rank_algorithmE2ELNS0_18block_padding_hintE2ELNS0_4arch9wavefront6targetE1EE19radix_bits_per_passE@rel32@hi+12
	v_add_u32_e32 v1, 16, v5
	v_add_u32_e32 v15, 20, v5
	;; [unrolled: 1-line block ×4, first 2 shown]
	v_and_b32_e32 v5, 15, v24
	s_load_dword s62, s[4:5], 0x0
	v_cmp_eq_u32_e32 vcc, 0, v5
	v_cmp_lt_u32_e64 s[4:5], 1, v5
	v_cmp_lt_u32_e64 s[6:7], 3, v5
	;; [unrolled: 1-line block ×3, first 2 shown]
	v_and_b32_e32 v5, 16, v24
	v_cmp_eq_u32_e64 s[40:41], 0, v5
	v_and_b32_e32 v5, 0x3c0, v14
	v_min_u32_e32 v5, 0xc0, v5
	v_or_b32_e32 v5, 63, v5
	v_cmp_eq_u32_e64 s[16:17], v14, v5
	v_subrev_co_u32_e64 v5, s[22:23], 1, v24
	v_and_b32_e32 v22, 64, v24
	v_xor_b32_e32 v4, 0x7fff, v21
	v_lshlrev_b32_e32 v21, 2, v14
	v_cmp_lt_i32_e64 s[24:25], v5, v22
	s_movk_i32 s42, 0xf00
	v_cndmask_b32_e64 v5, v5, v24, s[24:25]
	v_add_u32_e32 v67, v12, v21
	v_and_or_b32 v21, v21, s42, v25
	v_lshlrev_b32_e32 v65, 2, v5
	v_lshrrev_b32_e32 v5, 4, v14
	v_lshl_add_u32 v68, v21, 1, v12
	v_mul_u32_u24_e32 v21, 6, v21
	v_and_b32_e32 v5, 60, v5
	v_and_b32_e32 v22, 3, v24
	v_add_u32_e32 v69, v68, v21
	s_mov_b32 s63, 0x5040100
	v_lshrrev_b32_e32 v64, 6, v0
	v_cmp_lt_u32_e64 s[14:15], 31, v24
	v_cmp_gt_u32_e64 s[18:19], 4, v14
	v_cmp_lt_u32_e64 s[20:21], 63, v14
	v_cmp_eq_u32_e64 s[24:25], 0, v14
	v_add_u32_e32 v66, v12, v5
	v_mov_b32_e32 v5, 0
	v_cmp_eq_u32_e64 s[26:27], 0, v22
	v_cmp_lt_u32_e64 s[28:29], 1, v22
	v_add_u32_e32 v70, 0x600, v69
	v_perm_b32 v81, v20, v9, s63
	v_perm_b32 v31, v8, v4, s63
	v_sub_u32_e32 v71, v11, v10
	s_mov_b64 s[58:59], 0
	s_waitcnt vmcnt(0) lgkmcnt(0)
	s_barrier
	s_branch .LBB915_17
.LBB915_16:                             ;   in Loop: Header=BB915_17 Depth=1
	s_or_b64 exec, exec, s[44:45]
	s_and_b64 s[42:43], exec, s[60:61]
	s_or_b64 s[58:59], s[42:43], s[58:59]
	s_andn2_b64 exec, exec, s[58:59]
	s_cbranch_execz .LBB915_33
.LBB915_17:                             ; =>This Inner Loop Header: Depth=1
	v_min_u32_e32 v4, s62, v71
	v_lshlrev_b32_e64 v4, v4, -1
	v_mov_b32_e32 v22, v28
	v_not_b32_e32 v32, v4
	v_lshrrev_b32_sdwa v4, v10, v81 dst_sel:DWORD dst_unused:UNUSED_PAD src0_sel:DWORD src1_sel:WORD_0
	v_mov_b32_e32 v23, v29
	v_and_b32_e32 v28, v4, v32
	v_lshlrev_b32_e32 v4, 2, v28
	v_add_lshl_u32 v4, v4, v64, 2
	v_mov_b32_e32 v24, v26
	v_add_co_u32_e64 v4, s[42:43], v12, v4
	v_mov_b32_e32 v25, v27
	v_add_co_u32_e64 v4, s[42:43], 16, v4
	v_and_b32_e32 v26, 1, v28
	v_add_co_u32_e64 v27, s[42:43], -1, v26
	v_addc_co_u32_e64 v29, s[42:43], 0, -1, s[42:43]
	v_cmp_ne_u32_e64 s[42:43], 0, v26
	v_xor_b32_e32 v26, s43, v29
	v_xor_b32_e32 v27, s42, v27
	v_and_b32_e32 v29, exec_hi, v26
	v_and_b32_e32 v30, exec_lo, v27
	v_lshlrev_b32_e32 v27, 30, v28
	v_mov_b32_e32 v26, v5
	v_cmp_gt_i64_e64 s[42:43], 0, v[26:27]
	v_not_b32_e32 v26, v27
	v_ashrrev_i32_e32 v26, 31, v26
	v_xor_b32_e32 v27, s43, v26
	v_xor_b32_e32 v26, s42, v26
	v_and_b32_e32 v29, v29, v27
	v_and_b32_e32 v30, v30, v26
	v_lshlrev_b32_e32 v27, 29, v28
	v_mov_b32_e32 v26, v5
	v_cmp_gt_i64_e64 s[42:43], 0, v[26:27]
	v_not_b32_e32 v26, v27
	v_ashrrev_i32_e32 v26, 31, v26
	v_xor_b32_e32 v27, s43, v26
	v_xor_b32_e32 v26, s42, v26
	v_and_b32_e32 v29, v29, v27
	v_and_b32_e32 v30, v30, v26
	;; [unrolled: 9-line block ×7, first 2 shown]
	v_mbcnt_lo_u32_b32 v28, v26, 0
	v_mbcnt_hi_u32_b32 v28, v27, v28
	v_cmp_ne_u64_e64 s[42:43], 0, v[26:27]
	v_mov_b32_e32 v20, v33
	v_mov_b32_e32 v8, v35
	v_cmp_eq_u32_e64 s[44:45], 0, v28
	v_mov_b32_e32 v80, v31
	v_mov_b32_e32 v21, v34
	;; [unrolled: 1-line block ×3, first 2 shown]
	s_and_b64 s[44:45], s[42:43], s[44:45]
	ds_write_b32 v1, v5
	ds_write_b32 v15, v5
	;; [unrolled: 1-line block ×4, first 2 shown]
	s_waitcnt lgkmcnt(0)
	s_barrier
	; wave barrier
	s_and_saveexec_b64 s[42:43], s[44:45]
; %bb.18:                               ;   in Loop: Header=BB915_17 Depth=1
	v_bcnt_u32_b32 v26, v26, 0
	v_bcnt_u32_b32 v26, v27, v26
	ds_write_b32 v4, v26
; %bb.19:                               ;   in Loop: Header=BB915_17 Depth=1
	s_or_b64 exec, exec, s[42:43]
	v_lshrrev_b32_e32 v82, 16, v81
	v_lshrrev_b32_e32 v26, v10, v82
	v_and_b32_e32 v31, v26, v32
	v_lshl_add_u32 v26, v31, 2, v64
	v_lshl_add_u32 v26, v26, 2, v12
	; wave barrier
	v_add_u32_e32 v30, 16, v26
	ds_read_b32 v29, v26 offset:16
	v_and_b32_e32 v26, 1, v31
	v_add_co_u32_e64 v27, s[42:43], -1, v26
	v_addc_co_u32_e64 v33, s[42:43], 0, -1, s[42:43]
	v_cmp_ne_u32_e64 s[42:43], 0, v26
	v_xor_b32_e32 v26, s43, v33
	v_xor_b32_e32 v27, s42, v27
	v_and_b32_e32 v33, exec_hi, v26
	v_and_b32_e32 v34, exec_lo, v27
	v_lshlrev_b32_e32 v27, 30, v31
	v_mov_b32_e32 v26, v5
	v_cmp_gt_i64_e64 s[42:43], 0, v[26:27]
	v_not_b32_e32 v26, v27
	v_ashrrev_i32_e32 v26, 31, v26
	v_xor_b32_e32 v27, s43, v26
	v_xor_b32_e32 v26, s42, v26
	v_and_b32_e32 v33, v33, v27
	v_and_b32_e32 v34, v34, v26
	v_lshlrev_b32_e32 v27, 29, v31
	v_mov_b32_e32 v26, v5
	v_cmp_gt_i64_e64 s[42:43], 0, v[26:27]
	v_not_b32_e32 v26, v27
	v_ashrrev_i32_e32 v26, 31, v26
	v_xor_b32_e32 v27, s43, v26
	v_xor_b32_e32 v26, s42, v26
	v_and_b32_e32 v33, v33, v27
	v_and_b32_e32 v34, v34, v26
	;; [unrolled: 9-line block ×7, first 2 shown]
	v_mbcnt_lo_u32_b32 v31, v26, 0
	v_mbcnt_hi_u32_b32 v31, v27, v31
	v_cmp_ne_u64_e64 s[42:43], 0, v[26:27]
	v_cmp_eq_u32_e64 s[44:45], 0, v31
	s_and_b64 s[44:45], s[42:43], s[44:45]
	; wave barrier
	s_and_saveexec_b64 s[42:43], s[44:45]
	s_cbranch_execz .LBB915_21
; %bb.20:                               ;   in Loop: Header=BB915_17 Depth=1
	v_bcnt_u32_b32 v26, v26, 0
	v_bcnt_u32_b32 v26, v27, v26
	s_waitcnt lgkmcnt(0)
	v_add_u32_e32 v26, v29, v26
	ds_write_b32 v30, v26
.LBB915_21:                             ;   in Loop: Header=BB915_17 Depth=1
	s_or_b64 exec, exec, s[42:43]
	v_lshrrev_b32_sdwa v26, v10, v80 dst_sel:DWORD dst_unused:UNUSED_PAD src0_sel:DWORD src1_sel:WORD_0
	v_and_b32_e32 v35, v26, v32
	v_lshl_add_u32 v26, v35, 2, v64
	v_lshl_add_u32 v26, v26, 2, v12
	; wave barrier
	v_add_u32_e32 v34, 16, v26
	ds_read_b32 v33, v26 offset:16
	v_and_b32_e32 v26, 1, v35
	v_add_co_u32_e64 v27, s[42:43], -1, v26
	v_addc_co_u32_e64 v36, s[42:43], 0, -1, s[42:43]
	v_cmp_ne_u32_e64 s[42:43], 0, v26
	v_xor_b32_e32 v26, s43, v36
	v_xor_b32_e32 v27, s42, v27
	v_and_b32_e32 v36, exec_hi, v26
	v_and_b32_e32 v37, exec_lo, v27
	v_lshlrev_b32_e32 v27, 30, v35
	v_mov_b32_e32 v26, v5
	v_cmp_gt_i64_e64 s[42:43], 0, v[26:27]
	v_not_b32_e32 v26, v27
	v_ashrrev_i32_e32 v26, 31, v26
	v_xor_b32_e32 v27, s43, v26
	v_xor_b32_e32 v26, s42, v26
	v_and_b32_e32 v36, v36, v27
	v_and_b32_e32 v37, v37, v26
	v_lshlrev_b32_e32 v27, 29, v35
	v_mov_b32_e32 v26, v5
	v_cmp_gt_i64_e64 s[42:43], 0, v[26:27]
	v_not_b32_e32 v26, v27
	v_ashrrev_i32_e32 v26, 31, v26
	v_xor_b32_e32 v27, s43, v26
	v_xor_b32_e32 v26, s42, v26
	v_and_b32_e32 v36, v36, v27
	v_and_b32_e32 v37, v37, v26
	;; [unrolled: 9-line block ×7, first 2 shown]
	v_mbcnt_lo_u32_b32 v35, v26, 0
	v_mbcnt_hi_u32_b32 v35, v27, v35
	v_cmp_ne_u64_e64 s[42:43], 0, v[26:27]
	v_cmp_eq_u32_e64 s[44:45], 0, v35
	s_and_b64 s[44:45], s[42:43], s[44:45]
	; wave barrier
	s_and_saveexec_b64 s[42:43], s[44:45]
	s_cbranch_execz .LBB915_23
; %bb.22:                               ;   in Loop: Header=BB915_17 Depth=1
	v_bcnt_u32_b32 v26, v26, 0
	v_bcnt_u32_b32 v26, v27, v26
	s_waitcnt lgkmcnt(0)
	v_add_u32_e32 v26, v33, v26
	ds_write_b32 v34, v26
.LBB915_23:                             ;   in Loop: Header=BB915_17 Depth=1
	s_or_b64 exec, exec, s[42:43]
	v_lshrrev_b32_e32 v83, 16, v80
	v_lshrrev_b32_e32 v26, v10, v83
	v_and_b32_e32 v37, v26, v32
	v_lshl_add_u32 v26, v37, 2, v64
	v_lshl_add_u32 v26, v26, 2, v12
	; wave barrier
	v_add_u32_e32 v32, 16, v26
	ds_read_b32 v36, v26 offset:16
	v_and_b32_e32 v26, 1, v37
	v_add_co_u32_e64 v27, s[42:43], -1, v26
	v_addc_co_u32_e64 v38, s[42:43], 0, -1, s[42:43]
	v_cmp_ne_u32_e64 s[42:43], 0, v26
	v_xor_b32_e32 v26, s43, v38
	v_xor_b32_e32 v27, s42, v27
	v_and_b32_e32 v38, exec_hi, v26
	v_and_b32_e32 v48, exec_lo, v27
	v_lshlrev_b32_e32 v27, 30, v37
	v_mov_b32_e32 v26, v5
	v_cmp_gt_i64_e64 s[42:43], 0, v[26:27]
	v_not_b32_e32 v26, v27
	v_ashrrev_i32_e32 v26, 31, v26
	v_xor_b32_e32 v27, s43, v26
	v_xor_b32_e32 v26, s42, v26
	v_and_b32_e32 v38, v38, v27
	v_and_b32_e32 v48, v48, v26
	v_lshlrev_b32_e32 v27, 29, v37
	v_mov_b32_e32 v26, v5
	v_cmp_gt_i64_e64 s[42:43], 0, v[26:27]
	v_not_b32_e32 v26, v27
	v_ashrrev_i32_e32 v26, 31, v26
	v_xor_b32_e32 v27, s43, v26
	v_xor_b32_e32 v26, s42, v26
	v_and_b32_e32 v38, v38, v27
	v_and_b32_e32 v48, v48, v26
	;; [unrolled: 9-line block ×7, first 2 shown]
	v_mbcnt_lo_u32_b32 v37, v26, 0
	v_mbcnt_hi_u32_b32 v37, v27, v37
	v_cmp_ne_u64_e64 s[42:43], 0, v[26:27]
	v_cmp_eq_u32_e64 s[44:45], 0, v37
	s_and_b64 s[44:45], s[42:43], s[44:45]
	; wave barrier
	s_and_saveexec_b64 s[42:43], s[44:45]
	s_cbranch_execz .LBB915_25
; %bb.24:                               ;   in Loop: Header=BB915_17 Depth=1
	v_bcnt_u32_b32 v26, v26, 0
	v_bcnt_u32_b32 v26, v27, v26
	s_waitcnt lgkmcnt(0)
	v_add_u32_e32 v26, v36, v26
	ds_write_b32 v32, v26
.LBB915_25:                             ;   in Loop: Header=BB915_17 Depth=1
	s_or_b64 exec, exec, s[42:43]
	; wave barrier
	s_waitcnt lgkmcnt(0)
	s_barrier
	ds_read_b32 v38, v1
	ds_read_b32 v27, v15
	;; [unrolled: 1-line block ×4, first 2 shown]
	s_waitcnt lgkmcnt(2)
	v_add_u32_e32 v49, v27, v38
	s_waitcnt lgkmcnt(0)
	v_add3_u32 v48, v49, v26, v48
	s_nop 1
	v_mov_b32_dpp v49, v48 row_shr:1 row_mask:0xf bank_mask:0xf
	v_cndmask_b32_e64 v49, v49, 0, vcc
	v_add_u32_e32 v48, v49, v48
	s_nop 1
	v_mov_b32_dpp v49, v48 row_shr:2 row_mask:0xf bank_mask:0xf
	v_cndmask_b32_e64 v49, 0, v49, s[4:5]
	v_add_u32_e32 v48, v48, v49
	s_nop 1
	v_mov_b32_dpp v49, v48 row_shr:4 row_mask:0xf bank_mask:0xf
	v_cndmask_b32_e64 v49, 0, v49, s[6:7]
	;; [unrolled: 4-line block ×3, first 2 shown]
	v_add_u32_e32 v48, v48, v49
	s_nop 1
	v_mov_b32_dpp v49, v48 row_bcast:15 row_mask:0xf bank_mask:0xf
	v_cndmask_b32_e64 v49, v49, 0, s[40:41]
	v_add_u32_e32 v48, v48, v49
	s_nop 1
	v_mov_b32_dpp v49, v48 row_bcast:31 row_mask:0xf bank_mask:0xf
	v_cndmask_b32_e64 v49, 0, v49, s[14:15]
	v_add_u32_e32 v48, v48, v49
	s_and_saveexec_b64 s[42:43], s[16:17]
; %bb.26:                               ;   in Loop: Header=BB915_17 Depth=1
	ds_write_b32 v66, v48
; %bb.27:                               ;   in Loop: Header=BB915_17 Depth=1
	s_or_b64 exec, exec, s[42:43]
	s_waitcnt lgkmcnt(0)
	s_barrier
	s_and_saveexec_b64 s[42:43], s[18:19]
	s_cbranch_execz .LBB915_29
; %bb.28:                               ;   in Loop: Header=BB915_17 Depth=1
	ds_read_b32 v49, v67
	s_waitcnt lgkmcnt(0)
	s_nop 0
	v_mov_b32_dpp v50, v49 row_shr:1 row_mask:0xf bank_mask:0xf
	v_cndmask_b32_e64 v50, v50, 0, s[26:27]
	v_add_u32_e32 v49, v50, v49
	s_nop 1
	v_mov_b32_dpp v50, v49 row_shr:2 row_mask:0xf bank_mask:0xf
	v_cndmask_b32_e64 v50, 0, v50, s[28:29]
	v_add_u32_e32 v49, v49, v50
	ds_write_b32 v67, v49
.LBB915_29:                             ;   in Loop: Header=BB915_17 Depth=1
	s_or_b64 exec, exec, s[42:43]
	v_mov_b32_e32 v49, 0
	s_waitcnt lgkmcnt(0)
	s_barrier
	s_and_saveexec_b64 s[42:43], s[20:21]
; %bb.30:                               ;   in Loop: Header=BB915_17 Depth=1
	v_add_u32_e32 v49, -4, v66
	ds_read_b32 v49, v49
; %bb.31:                               ;   in Loop: Header=BB915_17 Depth=1
	s_or_b64 exec, exec, s[42:43]
	s_waitcnt lgkmcnt(0)
	v_add_u32_e32 v48, v49, v48
	ds_bpermute_b32 v48, v65, v48
	v_add_u32_e32 v10, 8, v10
	v_mov_b32_e32 v84, v81
	v_cmp_lt_u32_e64 s[42:43], v10, v11
	s_mov_b64 s[60:61], -1
	s_waitcnt lgkmcnt(0)
	v_cndmask_b32_e64 v48, v48, v49, s[22:23]
	v_cndmask_b32_e64 v48, v48, 0, s[24:25]
	v_add_u32_e32 v38, v48, v38
	v_add_u32_e32 v27, v38, v27
	ds_write_b32 v1, v48
	ds_write_b32 v15, v38
	v_add_u32_e32 v26, v27, v26
	ds_write_b32 v54, v27
	ds_write_b32 v55, v26
	s_waitcnt lgkmcnt(0)
	s_barrier
	ds_read_b32 v4, v4
	ds_read_b32 v27, v30
	;; [unrolled: 1-line block ×4, first 2 shown]
	s_waitcnt lgkmcnt(0)
	v_add_u32_e32 v26, v4, v28
	v_add3_u32 v4, v31, v29, v27
	v_mov_b32_e32 v27, v5
	v_lshlrev_b64 v[27:28], 1, v[26:27]
	v_add3_u32 v32, v35, v33, v30
	v_add_co_u32_e64 v50, s[44:45], v12, v27
	v_addc_co_u32_e64 v51, s[44:45], v13, v28, s[44:45]
	v_lshlrev_b64 v[27:28], 1, v[4:5]
	v_add3_u32 v30, v37, v36, v34
	v_add_co_u32_e64 v37, s[44:45], v12, v27
	v_mov_b32_e32 v33, v5
	v_addc_co_u32_e64 v38, s[44:45], v13, v28, s[44:45]
	v_lshlrev_b64 v[27:28], 1, v[32:33]
	v_mov_b32_e32 v31, v5
	v_add_co_u32_e64 v48, s[44:45], v12, v27
	v_addc_co_u32_e64 v49, s[44:45], v13, v28, s[44:45]
	v_lshlrev_b64 v[27:28], 1, v[30:31]
	v_mad_u64_u32 v[51:52], s[44:45], v26, 6, v[50:51]
	v_add_co_u32_e64 v52, s[44:45], v12, v27
	v_addc_co_u32_e64 v53, s[44:45], v13, v28, s[44:45]
                                        ; implicit-def: $vgpr31
                                        ; implicit-def: $vgpr26_vgpr27
                                        ; implicit-def: $vgpr28_vgpr29
                                        ; implicit-def: $vgpr33_vgpr34
                                        ; implicit-def: $vgpr35_vgpr36
	s_and_saveexec_b64 s[44:45], s[42:43]
	s_cbranch_execz .LBB915_16
; %bb.32:                               ;   in Loop: Header=BB915_17 Depth=1
	v_add_u32_e32 v26, 0x80, v68
	s_barrier
	ds_write_b16 v50, v81
	ds_write_b16 v37, v82
	;; [unrolled: 1-line block ×4, first 2 shown]
	s_waitcnt lgkmcnt(0)
	s_barrier
	ds_read_u16 v81, v26
	v_add_u32_e32 v26, 0x100, v68
	ds_read_u16 v85, v26
	v_add_u32_e32 v26, 0x180, v68
	ds_read_u16 v86, v26
	v_mad_u64_u32 v[26:27], s[42:43], v4, 6, v[37:38]
	v_mad_u64_u32 v[27:28], s[42:43], v32, 6, v[48:49]
	;; [unrolled: 1-line block ×3, first 2 shown]
	ds_read_u16 v31, v68
	s_waitcnt lgkmcnt(0)
	s_barrier
	ds_write_b64 v51, v[24:25]
	ds_write_b64 v26, v[22:23]
	;; [unrolled: 1-line block ×4, first 2 shown]
	v_add_u32_e32 v28, 0x200, v69
	v_add_u32_e32 v33, 0x400, v69
	s_waitcnt lgkmcnt(0)
	s_barrier
	ds_read_b64 v[26:27], v69
	ds_read_b64 v[28:29], v28
	;; [unrolled: 1-line block ×4, first 2 shown]
	v_perm_b32 v81, v81, v31, s63
	v_perm_b32 v31, v86, v85, s63
	v_add_u32_e32 v71, -8, v71
	s_xor_b64 s[60:61], exec, -1
	s_waitcnt lgkmcnt(0)
	s_barrier
	s_branch .LBB915_16
.LBB915_33:
	s_or_b64 exec, exec, s[58:59]
	v_mad_u64_u32 v[10:11], s[4:5], v4, 6, v[37:38]
	v_lshl_add_u32 v1, v14, 1, v12
	v_mad_u64_u32 v[11:12], s[4:5], v32, 6, v[48:49]
	v_mul_u32_u24_e32 v4, 6, v14
	s_barrier
	ds_write_b16 v50, v84
	ds_write_b16 v37, v82
	;; [unrolled: 1-line block ×4, first 2 shown]
	s_waitcnt lgkmcnt(0)
	s_barrier
	ds_read_u16 v28, v1
	ds_read_u16 v27, v1 offset:512
	ds_read_u16 v26, v1 offset:1024
	;; [unrolled: 1-line block ×3, first 2 shown]
	v_mad_u64_u32 v[12:13], s[4:5], v30, 6, v[52:53]
	v_add_u32_e32 v1, v1, v4
	s_waitcnt lgkmcnt(0)
	s_barrier
	ds_write_b64 v51, v[24:25]
	ds_write_b64 v10, v[22:23]
	;; [unrolled: 1-line block ×4, first 2 shown]
	s_waitcnt lgkmcnt(0)
	s_barrier
	ds_read2st64_b64 v[12:15], v1 offset1:4
	ds_read2st64_b64 v[8:11], v1 offset0:8 offset1:12
	v_add_co_u32_e32 v4, vcc, v2, v16
	v_mov_b32_e32 v1, 0
	v_addc_co_u32_e32 v16, vcc, v3, v17, vcc
	v_lshlrev_b64 v[2:3], 1, v[0:1]
	s_waitcnt lgkmcnt(0)
	v_add_co_u32_e32 v2, vcc, v4, v2
	v_addc_co_u32_e32 v3, vcc, v16, v3, vcc
	v_cmp_lt_u32_e32 vcc, v0, v39
	s_barrier
	s_and_saveexec_b64 s[4:5], vcc
	s_cbranch_execz .LBB915_35
; %bb.34:
	v_xor_b32_e32 v4, 0x7fff, v28
	flat_store_short v[2:3], v4
.LBB915_35:
	s_or_b64 exec, exec, s[4:5]
	v_add_u32_e32 v4, 0x100, v0
	v_cmp_lt_u32_e64 s[4:5], v4, v39
	s_and_saveexec_b64 s[6:7], s[4:5]
	s_cbranch_execz .LBB915_37
; %bb.36:
	v_xor_b32_e32 v4, 0x7fff, v27
	flat_store_short v[2:3], v4 offset:512
.LBB915_37:
	s_or_b64 exec, exec, s[6:7]
	v_add_u32_e32 v4, 0x200, v0
	v_cmp_lt_u32_e64 s[10:11], v4, v39
	s_and_saveexec_b64 s[6:7], s[10:11]
	s_cbranch_execz .LBB915_39
; %bb.38:
	v_xor_b32_e32 v4, 0x7fff, v26
	flat_store_short v[2:3], v4 offset:1024
.LBB915_39:
	s_or_b64 exec, exec, s[6:7]
	v_add_u32_e32 v4, 0x300, v0
	v_cmp_lt_u32_e64 s[6:7], v4, v39
	s_and_saveexec_b64 s[14:15], s[6:7]
	s_cbranch_execz .LBB915_41
; %bb.40:
	v_xor_b32_e32 v4, 0x7fff, v5
	flat_store_short v[2:3], v4 offset:1536
.LBB915_41:
	s_or_b64 exec, exec, s[14:15]
	v_add_co_u32_e64 v2, s[14:15], v6, v18
	v_lshlrev_b64 v[0:1], 3, v[0:1]
	v_addc_co_u32_e64 v3, s[14:15], v7, v19, s[14:15]
	v_add_co_u32_e64 v0, s[14:15], v2, v0
	v_addc_co_u32_e64 v1, s[14:15], v3, v1, s[14:15]
	s_and_saveexec_b64 s[14:15], vcc
	s_cbranch_execnz .LBB915_74
; %bb.42:
	s_or_b64 exec, exec, s[14:15]
	s_and_saveexec_b64 s[14:15], s[4:5]
	s_cbranch_execnz .LBB915_75
.LBB915_43:
	s_or_b64 exec, exec, s[14:15]
	s_and_saveexec_b64 s[4:5], s[10:11]
	s_cbranch_execnz .LBB915_76
.LBB915_44:
	s_or_b64 exec, exec, s[4:5]
	s_and_saveexec_b64 s[4:5], s[6:7]
	s_cbranch_execz .LBB915_46
.LBB915_45:
	v_add_co_u32_e32 v0, vcc, 0x1000, v0
	v_addc_co_u32_e32 v1, vcc, 0, v1, vcc
	flat_store_dwordx2 v[0:1], v[10:11] offset:2048
.LBB915_46:
	s_or_b64 exec, exec, s[4:5]
                                        ; implicit-def: $vgpr39
                                        ; implicit-def: $vgpr0
                                        ; implicit-def: $vgpr1
                                        ; implicit-def: $vgpr2
                                        ; implicit-def: $vgpr3
                                        ; implicit-def: $vgpr4
                                        ; implicit-def: $vgpr5
                                        ; implicit-def: $vgpr6
                                        ; implicit-def: $vgpr7
                                        ; implicit-def: $vgpr8
                                        ; implicit-def: $vgpr10
                                        ; implicit-def: $vgpr11
                                        ; implicit-def: $vgpr12
                                        ; implicit-def: $vgpr13
                                        ; implicit-def: $vgpr31
                                        ; implicit-def: $vgpr15
                                        ; implicit-def: $vgpr19
                                        ; implicit-def: $vgpr18
.LBB915_47:
	s_andn2_saveexec_b64 s[4:5], s[56:57]
	s_cbranch_execz .LBB915_106
; %bb.48:
	s_load_dwordx2 s[4:5], s[8:9], 0x0
	v_mov_b32_e32 v9, 0
	v_and_b32_e32 v17, 0x3ff, v31
	s_waitcnt lgkmcnt(0)
	s_cmp_lt_u32 s13, s5
	s_cselect_b32 s5, 14, 20
	s_add_u32 s6, s8, s5
	s_addc_u32 s7, s9, 0
	s_cmp_lt_u32 s12, s4
	s_cselect_b32 s4, 12, 18
	s_add_u32 s4, s8, s4
	global_load_ushort v14, v9, s[6:7]
	s_addc_u32 s5, s9, 0
	global_load_ushort v16, v9, s[4:5]
	s_waitcnt vmcnt(0)
	v_mad_u32_u24 v14, v19, v14, v15
	v_mad_u64_u32 v[14:15], s[4:5], v14, v16, v[17:18]
	s_movk_i32 s4, 0x100
	v_lshlrev_b64 v[15:16], 1, v[8:9]
	v_cmp_lt_u32_e32 vcc, s4, v39
	s_and_saveexec_b64 s[4:5], vcc
	s_xor_b64 s[42:43], exec, s[4:5]
	s_cbranch_execz .LBB915_86
; %bb.49:
	v_mbcnt_hi_u32_b32 v25, -1, v18
	v_add_co_u32_e32 v0, vcc, v0, v15
	v_and_b32_e32 v24, 63, v25
	v_addc_co_u32_e32 v1, vcc, v1, v16, vcc
	v_lshlrev_b32_e32 v18, 1, v14
	v_lshlrev_b32_e32 v19, 1, v24
	v_and_b32_e32 v18, 0xffffff80, v18
	v_add_co_u32_e32 v20, vcc, v0, v19
	v_mov_b32_e32 v19, v9
	v_addc_co_u32_e32 v21, vcc, 0, v1, vcc
	v_lshlrev_b64 v[0:1], 1, v[18:19]
	v_mov_b32_e32 v26, 0x80008000
	v_add_co_u32_e32 v0, vcc, v20, v0
	v_addc_co_u32_e32 v1, vcc, v21, v1, vcc
	v_or_b32_e32 v20, v24, v18
	v_cmp_lt_u32_e32 vcc, v20, v39
	s_and_saveexec_b64 s[4:5], vcc
	s_cbranch_execz .LBB915_51
; %bb.50:
	flat_load_ushort v21, v[0:1]
	s_movk_i32 s6, 0x8000
	v_mov_b32_e32 v22, 0x5040100
	s_waitcnt vmcnt(0) lgkmcnt(0)
	v_perm_b32 v26, s6, v21, v22
.LBB915_51:
	s_or_b64 exec, exec, s[4:5]
	v_or_b32_e32 v20, 64, v20
	v_cmp_lt_u32_e64 s[4:5], v20, v39
	s_and_saveexec_b64 s[6:7], s[4:5]
	s_cbranch_execz .LBB915_53
; %bb.52:
	flat_load_ushort v0, v[0:1] offset:128
	s_mov_b32 s8, 0x5040100
	s_waitcnt vmcnt(0) lgkmcnt(0)
	v_perm_b32 v26, v0, v26, s8
.LBB915_53:
	s_or_b64 exec, exec, s[6:7]
	v_lshlrev_b64 v[0:1], 3, v[8:9]
	v_lshlrev_b32_e32 v8, 3, v24
	v_add_co_u32_e64 v4, s[6:7], v4, v0
	v_addc_co_u32_e64 v5, s[6:7], v5, v1, s[6:7]
	v_add_co_u32_e64 v8, s[6:7], v4, v8
	v_addc_co_u32_e64 v9, s[6:7], 0, v5, s[6:7]
	v_lshlrev_b64 v[4:5], 3, v[18:19]
	v_mov_b32_e32 v22, 0
	v_mov_b32_e32 v20, 0
	v_add_co_u32_e64 v4, s[6:7], v8, v4
	v_mov_b32_e32 v23, 0
	v_mov_b32_e32 v21, 0
	v_addc_co_u32_e64 v5, s[6:7], v9, v5, s[6:7]
	s_and_saveexec_b64 s[6:7], vcc
	s_cbranch_execz .LBB915_55
; %bb.54:
	flat_load_dwordx2 v[20:21], v[4:5]
.LBB915_55:
	s_or_b64 exec, exec, s[6:7]
	s_and_saveexec_b64 s[6:7], s[4:5]
	s_cbranch_execz .LBB915_57
; %bb.56:
	flat_load_dwordx2 v[22:23], v[4:5] offset:512
.LBB915_57:
	s_or_b64 exec, exec, s[6:7]
	v_lshl_add_u32 v4, v17, 4, v12
	s_getpc_b64 s[4:5]
	s_add_u32 s4, s4, _ZN7rocprim17ROCPRIM_400000_NS16block_radix_sortIsLj256ELj2ElLj1ELj1ELj8ELNS0_26block_radix_rank_algorithmE2ELNS0_18block_padding_hintE2ELNS0_4arch9wavefront6targetE1EE19radix_bits_per_passE@rel32@lo+4
	s_addc_u32 s5, s5, _ZN7rocprim17ROCPRIM_400000_NS16block_radix_sortIsLj256ELj2ElLj1ELj1ELj8ELNS0_26block_radix_rank_algorithmE2ELNS0_18block_padding_hintE2ELNS0_4arch9wavefront6targetE1EE19radix_bits_per_passE@rel32@hi+12
	v_add_u32_e32 v30, 16, v4
	v_add_u32_e32 v31, 20, v4
	;; [unrolled: 1-line block ×4, first 2 shown]
	v_and_b32_e32 v4, 15, v25
	s_load_dword s58, s[4:5], 0x0
	v_cmp_eq_u32_e32 vcc, 0, v4
	v_cmp_lt_u32_e64 s[4:5], 1, v4
	v_cmp_lt_u32_e64 s[6:7], 3, v4
	;; [unrolled: 1-line block ×3, first 2 shown]
	v_and_b32_e32 v4, 16, v25
	v_cmp_eq_u32_e64 s[10:11], 0, v4
	v_and_b32_e32 v4, 0x3c0, v17
	v_min_u32_e32 v4, 0xc0, v4
	v_or_b32_e32 v4, 63, v4
	v_cmp_eq_u32_e64 s[14:15], v17, v4
	v_subrev_co_u32_e64 v4, s[20:21], 1, v25
	v_and_b32_e32 v5, 64, v25
	v_cmp_lt_i32_e64 s[22:23], v4, v5
	v_and_b32_e32 v5, 3, v25
	v_cndmask_b32_e64 v4, v4, v25, s[22:23]
	v_cmp_eq_u32_e64 s[24:25], 0, v5
	v_cmp_lt_u32_e64 s[26:27], 1, v5
	v_lshlrev_b32_e32 v5, 1, v17
	s_movk_i32 s28, 0x780
	v_lshlrev_b32_e32 v36, 2, v4
	v_lshrrev_b32_e32 v4, 4, v17
	v_and_or_b32 v5, v5, s28, v24
	v_and_b32_e32 v4, 60, v4
	v_lshl_add_u32 v49, v5, 1, v12
	v_mul_u32_u24_e32 v5, 6, v5
	v_add_u32_e32 v37, v12, v4
	v_add_u32_e32 v51, v49, v5
	v_xor_b32_e32 v34, 0x7fff7fff, v26
	v_lshrrev_b32_e32 v35, 6, v14
	v_cmp_lt_u32_e64 s[12:13], 31, v25
	v_cmp_gt_u32_e64 s[16:17], 4, v17
	v_cmp_lt_u32_e64 s[18:19], 63, v17
	v_cmp_eq_u32_e64 s[22:23], 0, v17
	v_mov_b32_e32 v4, 0
	v_lshl_add_u32 v38, v17, 2, v12
	v_add_u32_e32 v48, -4, v37
	v_add_u32_e32 v50, 0x80, v49
	v_add_u32_e32 v52, 0x200, v51
	v_sub_u32_e32 v53, v11, v10
	s_mov_b64 s[44:45], 0
	s_mov_b32 s59, 0x5040100
	s_waitcnt vmcnt(0) lgkmcnt(0)
	s_barrier
	s_branch .LBB915_59
.LBB915_58:                             ;   in Loop: Header=BB915_59 Depth=1
	s_or_b64 exec, exec, s[40:41]
	s_and_b64 s[28:29], exec, s[56:57]
	s_or_b64 s[44:45], s[28:29], s[44:45]
	s_andn2_b64 exec, exec, s[44:45]
	s_cbranch_execz .LBB915_77
.LBB915_59:                             ; =>This Inner Loop Header: Depth=1
	v_min_u32_e32 v5, s58, v53
	v_lshlrev_b32_e64 v5, v5, -1
	v_mov_b32_e32 v18, v20
	v_not_b32_e32 v24, v5
	v_lshrrev_b32_sdwa v5, v10, v34 dst_sel:DWORD dst_unused:UNUSED_PAD src0_sel:DWORD src1_sel:WORD_0
	v_mov_b32_e32 v19, v21
	v_and_b32_e32 v20, v5, v24
	v_lshlrev_b32_e32 v5, 2, v20
	v_add_lshl_u32 v5, v5, v35, 2
	v_mov_b32_e32 v8, v22
	v_add_co_u32_e64 v5, s[28:29], v12, v5
	v_mov_b32_e32 v9, v23
	v_add_co_u32_e64 v22, s[28:29], 16, v5
	v_and_b32_e32 v5, 1, v20
	v_add_co_u32_e64 v21, s[28:29], -1, v5
	v_addc_co_u32_e64 v23, s[28:29], 0, -1, s[28:29]
	v_cmp_ne_u32_e64 s[28:29], 0, v5
	v_xor_b32_e32 v5, s29, v23
	v_and_b32_e32 v23, exec_hi, v5
	v_lshlrev_b32_e32 v5, 30, v20
	v_xor_b32_e32 v21, s28, v21
	v_cmp_gt_i64_e64 s[28:29], 0, v[4:5]
	v_not_b32_e32 v5, v5
	v_ashrrev_i32_e32 v5, 31, v5
	v_and_b32_e32 v21, exec_lo, v21
	v_xor_b32_e32 v25, s29, v5
	v_xor_b32_e32 v5, s28, v5
	v_and_b32_e32 v21, v21, v5
	v_lshlrev_b32_e32 v5, 29, v20
	v_cmp_gt_i64_e64 s[28:29], 0, v[4:5]
	v_not_b32_e32 v5, v5
	v_ashrrev_i32_e32 v5, 31, v5
	v_and_b32_e32 v23, v23, v25
	v_xor_b32_e32 v25, s29, v5
	v_xor_b32_e32 v5, s28, v5
	v_and_b32_e32 v21, v21, v5
	v_lshlrev_b32_e32 v5, 28, v20
	v_cmp_gt_i64_e64 s[28:29], 0, v[4:5]
	v_not_b32_e32 v5, v5
	v_ashrrev_i32_e32 v5, 31, v5
	v_and_b32_e32 v23, v23, v25
	;; [unrolled: 8-line block ×5, first 2 shown]
	v_xor_b32_e32 v25, s29, v5
	v_xor_b32_e32 v5, s28, v5
	v_and_b32_e32 v23, v23, v25
	v_and_b32_e32 v25, v21, v5
	v_lshlrev_b32_e32 v5, 24, v20
	v_cmp_gt_i64_e64 s[28:29], 0, v[4:5]
	v_not_b32_e32 v5, v5
	v_ashrrev_i32_e32 v5, 31, v5
	v_xor_b32_e32 v20, s29, v5
	v_xor_b32_e32 v5, s28, v5
	v_and_b32_e32 v21, v23, v20
	v_and_b32_e32 v20, v25, v5
	v_mbcnt_lo_u32_b32 v5, v20, 0
	v_mbcnt_hi_u32_b32 v23, v21, v5
	v_cmp_ne_u64_e64 s[28:29], 0, v[20:21]
	v_cmp_eq_u32_e64 s[40:41], 0, v23
	s_and_b64 s[40:41], s[28:29], s[40:41]
	ds_write_b32 v30, v4
	ds_write_b32 v31, v4
	;; [unrolled: 1-line block ×4, first 2 shown]
	s_waitcnt lgkmcnt(0)
	s_barrier
	; wave barrier
	s_and_saveexec_b64 s[28:29], s[40:41]
; %bb.60:                               ;   in Loop: Header=BB915_59 Depth=1
	v_bcnt_u32_b32 v5, v20, 0
	v_bcnt_u32_b32 v5, v21, v5
	ds_write_b32 v22, v5
; %bb.61:                               ;   in Loop: Header=BB915_59 Depth=1
	s_or_b64 exec, exec, s[28:29]
	v_lshrrev_b32_e32 v54, 16, v34
	v_lshrrev_b32_e32 v5, v10, v54
	v_and_b32_e32 v20, v5, v24
	v_lshl_add_u32 v5, v20, 2, v35
	v_lshl_add_u32 v5, v5, 2, v12
	; wave barrier
	v_add_u32_e32 v25, 16, v5
	ds_read_b32 v24, v5 offset:16
	v_and_b32_e32 v5, 1, v20
	v_add_co_u32_e64 v21, s[28:29], -1, v5
	v_addc_co_u32_e64 v26, s[28:29], 0, -1, s[28:29]
	v_cmp_ne_u32_e64 s[28:29], 0, v5
	v_xor_b32_e32 v5, s29, v26
	v_and_b32_e32 v26, exec_hi, v5
	v_lshlrev_b32_e32 v5, 30, v20
	v_xor_b32_e32 v21, s28, v21
	v_cmp_gt_i64_e64 s[28:29], 0, v[4:5]
	v_not_b32_e32 v5, v5
	v_ashrrev_i32_e32 v5, 31, v5
	v_and_b32_e32 v21, exec_lo, v21
	v_xor_b32_e32 v27, s29, v5
	v_xor_b32_e32 v5, s28, v5
	v_and_b32_e32 v21, v21, v5
	v_lshlrev_b32_e32 v5, 29, v20
	v_cmp_gt_i64_e64 s[28:29], 0, v[4:5]
	v_not_b32_e32 v5, v5
	v_ashrrev_i32_e32 v5, 31, v5
	v_and_b32_e32 v26, v26, v27
	v_xor_b32_e32 v27, s29, v5
	v_xor_b32_e32 v5, s28, v5
	v_and_b32_e32 v21, v21, v5
	v_lshlrev_b32_e32 v5, 28, v20
	v_cmp_gt_i64_e64 s[28:29], 0, v[4:5]
	v_not_b32_e32 v5, v5
	v_ashrrev_i32_e32 v5, 31, v5
	v_and_b32_e32 v26, v26, v27
	;; [unrolled: 8-line block ×5, first 2 shown]
	v_xor_b32_e32 v27, s29, v5
	v_xor_b32_e32 v5, s28, v5
	v_and_b32_e32 v26, v26, v27
	v_and_b32_e32 v27, v21, v5
	v_lshlrev_b32_e32 v5, 24, v20
	v_cmp_gt_i64_e64 s[28:29], 0, v[4:5]
	v_not_b32_e32 v5, v5
	v_ashrrev_i32_e32 v5, 31, v5
	v_xor_b32_e32 v20, s29, v5
	v_xor_b32_e32 v5, s28, v5
	v_and_b32_e32 v21, v26, v20
	v_and_b32_e32 v20, v27, v5
	v_mbcnt_lo_u32_b32 v5, v20, 0
	v_mbcnt_hi_u32_b32 v5, v21, v5
	v_cmp_ne_u64_e64 s[28:29], 0, v[20:21]
	v_cmp_eq_u32_e64 s[40:41], 0, v5
	s_and_b64 s[40:41], s[28:29], s[40:41]
	; wave barrier
	s_and_saveexec_b64 s[28:29], s[40:41]
	s_cbranch_execz .LBB915_63
; %bb.62:                               ;   in Loop: Header=BB915_59 Depth=1
	v_bcnt_u32_b32 v20, v20, 0
	v_bcnt_u32_b32 v20, v21, v20
	s_waitcnt lgkmcnt(0)
	v_add_u32_e32 v20, v24, v20
	ds_write_b32 v25, v20
.LBB915_63:                             ;   in Loop: Header=BB915_59 Depth=1
	s_or_b64 exec, exec, s[28:29]
	; wave barrier
	s_waitcnt lgkmcnt(0)
	s_barrier
	ds_read_b32 v26, v30
	ds_read_b32 v21, v31
	ds_read_b32 v20, v32
	ds_read_b32 v27, v33
	s_waitcnt lgkmcnt(2)
	v_add_u32_e32 v28, v21, v26
	s_waitcnt lgkmcnt(0)
	v_add3_u32 v27, v28, v20, v27
	s_nop 1
	v_mov_b32_dpp v28, v27 row_shr:1 row_mask:0xf bank_mask:0xf
	v_cndmask_b32_e64 v28, v28, 0, vcc
	v_add_u32_e32 v27, v28, v27
	s_nop 1
	v_mov_b32_dpp v28, v27 row_shr:2 row_mask:0xf bank_mask:0xf
	v_cndmask_b32_e64 v28, 0, v28, s[4:5]
	v_add_u32_e32 v27, v27, v28
	s_nop 1
	v_mov_b32_dpp v28, v27 row_shr:4 row_mask:0xf bank_mask:0xf
	v_cndmask_b32_e64 v28, 0, v28, s[6:7]
	;; [unrolled: 4-line block ×3, first 2 shown]
	v_add_u32_e32 v27, v27, v28
	s_nop 1
	v_mov_b32_dpp v28, v27 row_bcast:15 row_mask:0xf bank_mask:0xf
	v_cndmask_b32_e64 v28, v28, 0, s[10:11]
	v_add_u32_e32 v27, v27, v28
	s_nop 1
	v_mov_b32_dpp v28, v27 row_bcast:31 row_mask:0xf bank_mask:0xf
	v_cndmask_b32_e64 v28, 0, v28, s[12:13]
	v_add_u32_e32 v27, v27, v28
	s_and_saveexec_b64 s[28:29], s[14:15]
; %bb.64:                               ;   in Loop: Header=BB915_59 Depth=1
	ds_write_b32 v37, v27
; %bb.65:                               ;   in Loop: Header=BB915_59 Depth=1
	s_or_b64 exec, exec, s[28:29]
	s_waitcnt lgkmcnt(0)
	s_barrier
	s_and_saveexec_b64 s[28:29], s[16:17]
	s_cbranch_execz .LBB915_67
; %bb.66:                               ;   in Loop: Header=BB915_59 Depth=1
	ds_read_b32 v28, v38
	s_waitcnt lgkmcnt(0)
	s_nop 0
	v_mov_b32_dpp v29, v28 row_shr:1 row_mask:0xf bank_mask:0xf
	v_cndmask_b32_e64 v29, v29, 0, s[24:25]
	v_add_u32_e32 v28, v29, v28
	s_nop 1
	v_mov_b32_dpp v29, v28 row_shr:2 row_mask:0xf bank_mask:0xf
	v_cndmask_b32_e64 v29, 0, v29, s[26:27]
	v_add_u32_e32 v28, v28, v29
	ds_write_b32 v38, v28
.LBB915_67:                             ;   in Loop: Header=BB915_59 Depth=1
	s_or_b64 exec, exec, s[28:29]
	v_mov_b32_e32 v28, 0
	s_waitcnt lgkmcnt(0)
	s_barrier
	s_and_saveexec_b64 s[28:29], s[18:19]
; %bb.68:                               ;   in Loop: Header=BB915_59 Depth=1
	ds_read_b32 v28, v48
; %bb.69:                               ;   in Loop: Header=BB915_59 Depth=1
	s_or_b64 exec, exec, s[28:29]
	s_waitcnt lgkmcnt(0)
	v_add_u32_e32 v27, v28, v27
	ds_bpermute_b32 v27, v36, v27
	v_add_u32_e32 v10, 8, v10
	v_mov_b32_e32 v55, v34
	s_mov_b64 s[56:57], -1
	s_waitcnt lgkmcnt(0)
	v_cndmask_b32_e64 v27, v27, v28, s[20:21]
	v_cndmask_b32_e64 v27, v27, 0, s[22:23]
	v_add_u32_e32 v26, v27, v26
	v_add_u32_e32 v21, v26, v21
	;; [unrolled: 1-line block ×3, first 2 shown]
	ds_write_b32 v30, v27
	ds_write_b32 v31, v26
	;; [unrolled: 1-line block ×4, first 2 shown]
	s_waitcnt lgkmcnt(0)
	s_barrier
	ds_read_b32 v20, v22
	ds_read_b32 v21, v25
	s_waitcnt lgkmcnt(0)
	v_add_u32_e32 v20, v20, v23
	v_add3_u32 v22, v5, v24, v21
	v_mov_b32_e32 v21, v4
	v_lshlrev_b64 v[24:25], 1, v[20:21]
	v_mov_b32_e32 v23, v4
	v_add_co_u32_e64 v24, s[28:29], v12, v24
	v_lshlrev_b64 v[26:27], 1, v[22:23]
	v_addc_co_u32_e64 v25, s[28:29], v13, v25, s[28:29]
	v_add_co_u32_e64 v28, s[28:29], v12, v26
	v_addc_co_u32_e64 v29, s[28:29], v13, v27, s[28:29]
	v_mad_u64_u32 v[25:26], s[28:29], v20, 6, v[24:25]
	v_mad_u64_u32 v[26:27], s[28:29], v22, 6, v[28:29]
	v_cmp_lt_u32_e64 s[28:29], v10, v11
                                        ; implicit-def: $vgpr22_vgpr23
                                        ; implicit-def: $vgpr20_vgpr21
	s_and_saveexec_b64 s[40:41], s[28:29]
	s_cbranch_execz .LBB915_58
; %bb.70:                               ;   in Loop: Header=BB915_59 Depth=1
	s_barrier
	ds_write_b16 v24, v34
	ds_write_b16 v28, v54
	s_waitcnt lgkmcnt(0)
	s_barrier
	ds_read_u16 v5, v49
	ds_read_u16 v20, v50
	s_waitcnt lgkmcnt(0)
	s_barrier
	ds_write_b64 v25, v[18:19]
	ds_write_b64 v26, v[8:9]
	v_perm_b32 v34, v20, v5, s59
	s_waitcnt lgkmcnt(0)
	s_barrier
	ds_read_b64 v[20:21], v51
	ds_read_b64 v[22:23], v52
	v_add_u32_e32 v53, -8, v53
	s_xor_b64 s[56:57], exec, -1
	s_waitcnt lgkmcnt(0)
	s_barrier
	s_branch .LBB915_58
.LBB915_71:
	flat_load_dwordx2 v[26:27], v[4:5]
	s_or_b64 exec, exec, s[14:15]
                                        ; implicit-def: $vgpr28_vgpr29
	s_and_saveexec_b64 s[14:15], s[4:5]
	s_cbranch_execz .LBB915_12
.LBB915_72:
	flat_load_dwordx2 v[28:29], v[4:5] offset:512
	s_or_b64 exec, exec, s[14:15]
                                        ; implicit-def: $vgpr33_vgpr34
	s_and_saveexec_b64 s[4:5], s[6:7]
	s_cbranch_execz .LBB915_13
.LBB915_73:
	flat_load_dwordx2 v[33:34], v[4:5] offset:1024
	s_or_b64 exec, exec, s[4:5]
                                        ; implicit-def: $vgpr35_vgpr36
	s_and_saveexec_b64 s[4:5], s[10:11]
	s_cbranch_execnz .LBB915_14
	s_branch .LBB915_15
.LBB915_74:
	flat_store_dwordx2 v[0:1], v[12:13]
	s_or_b64 exec, exec, s[14:15]
	s_and_saveexec_b64 s[14:15], s[4:5]
	s_cbranch_execz .LBB915_43
.LBB915_75:
	flat_store_dwordx2 v[0:1], v[14:15] offset:2048
	s_or_b64 exec, exec, s[14:15]
	s_and_saveexec_b64 s[4:5], s[10:11]
	s_cbranch_execz .LBB915_44
.LBB915_76:
	v_add_co_u32_e32 v2, vcc, 0x1000, v0
	v_addc_co_u32_e32 v3, vcc, 0, v1, vcc
	flat_store_dwordx2 v[2:3], v[8:9]
	s_or_b64 exec, exec, s[4:5]
	s_and_saveexec_b64 s[4:5], s[6:7]
	s_cbranch_execnz .LBB915_45
	s_branch .LBB915_46
.LBB915_77:
	s_or_b64 exec, exec, s[44:45]
	v_lshl_add_u32 v10, v17, 1, v12
	s_barrier
	ds_write_b16 v24, v55
	ds_write_b16 v28, v54
	s_waitcnt lgkmcnt(0)
	s_barrier
	ds_read_u16 v5, v10
	ds_read_u16 v4, v10 offset:512
	s_waitcnt lgkmcnt(0)
	s_barrier
	ds_write_b64 v25, v[18:19]
	ds_write_b64 v26, v[8:9]
	v_mul_u32_u24_e32 v8, 6, v17
	v_add_u32_e32 v8, v10, v8
	v_add_co_u32_e32 v12, vcc, v2, v15
	v_mov_b32_e32 v15, 0
	s_waitcnt lgkmcnt(0)
	s_barrier
	ds_read2st64_b64 v[8:11], v8 offset1:4
	v_addc_co_u32_e32 v13, vcc, v3, v16, vcc
	v_lshlrev_b64 v[2:3], 1, v[14:15]
	s_waitcnt lgkmcnt(0)
	v_add_co_u32_e32 v2, vcc, v12, v2
	v_addc_co_u32_e32 v3, vcc, v13, v3, vcc
	v_cmp_lt_u32_e32 vcc, v14, v39
	s_barrier
	s_and_saveexec_b64 s[4:5], vcc
	s_cbranch_execz .LBB915_79
; %bb.78:
	v_xor_b32_e32 v5, 0x7fff, v5
	flat_store_short v[2:3], v5
.LBB915_79:
	s_or_b64 exec, exec, s[4:5]
	v_add_u32_e32 v5, 0x100, v14
	v_cmp_lt_u32_e64 s[4:5], v5, v39
	s_and_saveexec_b64 s[6:7], s[4:5]
	s_cbranch_execz .LBB915_81
; %bb.80:
	v_xor_b32_e32 v4, 0x7fff, v4
	flat_store_short v[2:3], v4 offset:512
.LBB915_81:
	s_or_b64 exec, exec, s[6:7]
	v_add_co_u32_e64 v2, s[6:7], v6, v0
	v_addc_co_u32_e64 v3, s[6:7], v7, v1, s[6:7]
	v_lshlrev_b64 v[0:1], 3, v[14:15]
	v_add_co_u32_e64 v0, s[6:7], v2, v0
	v_addc_co_u32_e64 v1, s[6:7], v3, v1, s[6:7]
	s_and_saveexec_b64 s[6:7], vcc
	s_cbranch_execz .LBB915_83
; %bb.82:
	flat_store_dwordx2 v[0:1], v[8:9]
.LBB915_83:
	s_or_b64 exec, exec, s[6:7]
	s_and_saveexec_b64 s[6:7], s[4:5]
	s_cbranch_execz .LBB915_85
; %bb.84:
	flat_store_dwordx2 v[0:1], v[10:11] offset:2048
.LBB915_85:
	s_or_b64 exec, exec, s[6:7]
                                        ; implicit-def: $vgpr14_vgpr15
                                        ; implicit-def: $vgpr17
                                        ; implicit-def: $vgpr8_vgpr9
                                        ; implicit-def: $vgpr39
                                        ; implicit-def: $vgpr0
                                        ; implicit-def: $vgpr1
                                        ; implicit-def: $vgpr2
                                        ; implicit-def: $vgpr3
                                        ; implicit-def: $vgpr4
                                        ; implicit-def: $vgpr5
                                        ; implicit-def: $vgpr6
                                        ; implicit-def: $vgpr7
                                        ; implicit-def: $vgpr10
                                        ; implicit-def: $vgpr11
                                        ; implicit-def: $vgpr12
                                        ; implicit-def: $vgpr13
                                        ; implicit-def: $vgpr18
                                        ; implicit-def: $vgpr15_vgpr16
.LBB915_86:
	s_andn2_saveexec_b64 s[4:5], s[42:43]
	s_cbranch_execz .LBB915_106
; %bb.87:
	v_mbcnt_hi_u32_b32 v30, -1, v18
	v_bfi_b32 v18, 63, v30, v14
	v_and_b32_e32 v31, 63, v30
	v_and_b32_e32 v20, 0xffffffc0, v14
	v_cmp_lt_u32_e32 vcc, v18, v39
	v_mov_b32_e32 v35, -1
	s_and_saveexec_b64 s[6:7], vcc
	s_cbranch_execz .LBB915_89
; %bb.88:
	v_add_co_u32_e64 v0, s[4:5], v0, v15
	v_addc_co_u32_e64 v1, s[4:5], v1, v16, s[4:5]
	v_lshlrev_b32_e32 v18, 1, v31
	v_mov_b32_e32 v21, 0
	v_add_co_u32_e64 v18, s[4:5], v0, v18
	v_addc_co_u32_e64 v19, s[4:5], 0, v1, s[4:5]
	v_lshlrev_b64 v[0:1], 1, v[20:21]
	v_add_co_u32_e64 v0, s[4:5], v18, v0
	v_addc_co_u32_e64 v1, s[4:5], v19, v1, s[4:5]
	flat_load_ushort v0, v[0:1]
	s_waitcnt vmcnt(0) lgkmcnt(0)
	v_xor_b32_e32 v35, 0x7fff, v0
.LBB915_89:
	s_or_b64 exec, exec, s[6:7]
	v_lshlrev_b64 v[0:1], 3, v[8:9]
                                        ; implicit-def: $vgpr18_vgpr19
	s_and_saveexec_b64 s[4:5], vcc
	s_cbranch_execz .LBB915_91
; %bb.90:
	v_add_co_u32_e32 v4, vcc, v4, v0
	v_addc_co_u32_e32 v5, vcc, v5, v1, vcc
	v_lshlrev_b32_e32 v8, 3, v31
	v_mov_b32_e32 v21, 0
	v_add_co_u32_e32 v8, vcc, v4, v8
	v_addc_co_u32_e32 v9, vcc, 0, v5, vcc
	v_lshlrev_b64 v[4:5], 3, v[20:21]
	v_add_co_u32_e32 v4, vcc, v8, v4
	v_addc_co_u32_e32 v5, vcc, v9, v5, vcc
	flat_load_dwordx2 v[18:19], v[4:5]
.LBB915_91:
	s_or_b64 exec, exec, s[4:5]
	v_lshl_add_u32 v8, v17, 4, v12
	s_getpc_b64 s[4:5]
	s_add_u32 s4, s4, _ZN7rocprim17ROCPRIM_400000_NS16block_radix_sortIsLj256ELj1ElLj1ELj1ELj8ELNS0_26block_radix_rank_algorithmE2ELNS0_18block_padding_hintE2ELNS0_4arch9wavefront6targetE1EE19radix_bits_per_passE@rel32@lo+4
	s_addc_u32 s5, s5, _ZN7rocprim17ROCPRIM_400000_NS16block_radix_sortIsLj256ELj1ElLj1ELj1ELj8ELNS0_26block_radix_rank_algorithmE2ELNS0_18block_padding_hintE2ELNS0_4arch9wavefront6targetE1EE19radix_bits_per_passE@rel32@hi+12
	v_add_u32_e32 v22, 16, v8
	v_add_u32_e32 v23, 20, v8
	;; [unrolled: 1-line block ×4, first 2 shown]
	v_and_b32_e32 v8, 15, v30
	s_load_dword s56, s[4:5], 0x0
	v_cmp_eq_u32_e32 vcc, 0, v8
	v_cmp_lt_u32_e64 s[4:5], 1, v8
	v_cmp_lt_u32_e64 s[6:7], 3, v8
	;; [unrolled: 1-line block ×3, first 2 shown]
	v_and_b32_e32 v8, 16, v30
	v_cmp_eq_u32_e64 s[10:11], 0, v8
	v_and_b32_e32 v8, 0x3c0, v17
	v_min_u32_e32 v9, 0xc0, v8
	v_or_b32_e32 v9, 63, v9
	v_cmp_eq_u32_e64 s[14:15], v17, v9
	v_subrev_co_u32_e64 v9, s[20:21], 1, v30
	v_and_b32_e32 v20, 64, v30
	v_cmp_lt_i32_e64 s[22:23], v9, v20
	v_lshlrev_b32_e32 v4, 2, v17
	v_cndmask_b32_e64 v9, v9, v30, s[22:23]
	v_lshlrev_b32_e32 v28, 2, v9
	v_lshrrev_b32_e32 v9, 4, v17
	v_add_co_u32_e64 v27, s[24:25], v12, v4
	v_and_b32_e32 v4, 3, v30
	v_and_b32_e32 v9, 60, v9
	v_cmp_eq_u32_e64 s[24:25], 0, v4
	v_cmp_lt_u32_e64 s[26:27], 1, v4
	v_or_b32_e32 v4, v31, v8
	v_add_u32_e32 v29, v12, v9
	v_lshl_add_u32 v31, v4, 1, v12
	v_mul_u32_u24_e32 v4, 6, v4
	v_mov_b32_e32 v5, 0
	v_lshrrev_b32_e32 v26, 6, v14
	v_cmp_lt_u32_e64 s[12:13], 31, v30
	v_cmp_gt_u32_e64 s[16:17], 4, v17
	v_cmp_lt_u32_e64 s[18:19], 63, v17
	v_cmp_eq_u32_e64 s[22:23], 0, v17
	v_add_u32_e32 v30, -4, v29
	v_add_u32_e32 v32, v31, v4
	v_sub_u32_e32 v33, v11, v10
	s_mov_b64 s[42:43], 0
	s_waitcnt vmcnt(0) lgkmcnt(0)
	s_barrier
	s_branch .LBB915_93
.LBB915_92:                             ;   in Loop: Header=BB915_93 Depth=1
	s_or_b64 exec, exec, s[40:41]
	s_and_b64 s[28:29], exec, s[44:45]
	s_or_b64 s[42:43], s[28:29], s[42:43]
	s_andn2_b64 exec, exec, s[42:43]
	s_cbranch_execz .LBB915_103
.LBB915_93:                             ; =>This Inner Loop Header: Depth=1
	v_mov_b32_e32 v8, v18
	v_mov_b32_e32 v34, v35
	;; [unrolled: 1-line block ×3, first 2 shown]
	v_min_u32_e32 v4, s56, v33
	v_lshrrev_b32_sdwa v18, v10, v34 dst_sel:DWORD dst_unused:UNUSED_PAD src0_sel:DWORD src1_sel:WORD_0
	v_bfe_u32 v20, v18, 0, v4
	v_lshlrev_b32_e32 v4, 2, v20
	v_add_lshl_u32 v4, v4, v26, 2
	v_add_co_u32_e64 v4, s[28:29], v12, v4
	v_add_co_u32_e64 v4, s[28:29], 16, v4
	v_and_b32_e32 v18, 1, v20
	v_add_co_u32_e64 v19, s[28:29], -1, v18
	v_addc_co_u32_e64 v21, s[28:29], 0, -1, s[28:29]
	v_cmp_ne_u32_e64 s[28:29], 0, v18
	v_xor_b32_e32 v18, s29, v21
	v_xor_b32_e32 v19, s28, v19
	v_and_b32_e32 v21, exec_hi, v18
	v_and_b32_e32 v35, exec_lo, v19
	v_lshlrev_b32_e32 v19, 30, v20
	v_mov_b32_e32 v18, v5
	v_cmp_gt_i64_e64 s[28:29], 0, v[18:19]
	v_not_b32_e32 v18, v19
	v_ashrrev_i32_e32 v18, 31, v18
	v_xor_b32_e32 v19, s29, v18
	v_xor_b32_e32 v18, s28, v18
	v_and_b32_e32 v21, v21, v19
	v_and_b32_e32 v35, v35, v18
	v_lshlrev_b32_e32 v19, 29, v20
	v_mov_b32_e32 v18, v5
	v_cmp_gt_i64_e64 s[28:29], 0, v[18:19]
	v_not_b32_e32 v18, v19
	v_ashrrev_i32_e32 v18, 31, v18
	v_xor_b32_e32 v19, s29, v18
	v_xor_b32_e32 v18, s28, v18
	v_and_b32_e32 v21, v21, v19
	v_and_b32_e32 v35, v35, v18
	;; [unrolled: 9-line block ×7, first 2 shown]
	v_mbcnt_lo_u32_b32 v20, v18, 0
	v_mbcnt_hi_u32_b32 v20, v19, v20
	v_cmp_ne_u64_e64 s[28:29], 0, v[18:19]
	v_cmp_eq_u32_e64 s[40:41], 0, v20
	s_and_b64 s[40:41], s[28:29], s[40:41]
	ds_write_b32 v22, v5
	ds_write_b32 v23, v5
	;; [unrolled: 1-line block ×4, first 2 shown]
	s_waitcnt lgkmcnt(0)
	s_barrier
	; wave barrier
	s_and_saveexec_b64 s[28:29], s[40:41]
; %bb.94:                               ;   in Loop: Header=BB915_93 Depth=1
	v_bcnt_u32_b32 v18, v18, 0
	v_bcnt_u32_b32 v18, v19, v18
	ds_write_b32 v4, v18
; %bb.95:                               ;   in Loop: Header=BB915_93 Depth=1
	s_or_b64 exec, exec, s[28:29]
	; wave barrier
	s_waitcnt lgkmcnt(0)
	s_barrier
	ds_read_b32 v21, v22
	ds_read_b32 v19, v23
	;; [unrolled: 1-line block ×4, first 2 shown]
	s_waitcnt lgkmcnt(2)
	v_add_u32_e32 v36, v19, v21
	s_waitcnt lgkmcnt(0)
	v_add3_u32 v35, v36, v18, v35
	s_nop 1
	v_mov_b32_dpp v36, v35 row_shr:1 row_mask:0xf bank_mask:0xf
	v_cndmask_b32_e64 v36, v36, 0, vcc
	v_add_u32_e32 v35, v36, v35
	s_nop 1
	v_mov_b32_dpp v36, v35 row_shr:2 row_mask:0xf bank_mask:0xf
	v_cndmask_b32_e64 v36, 0, v36, s[4:5]
	v_add_u32_e32 v35, v35, v36
	s_nop 1
	v_mov_b32_dpp v36, v35 row_shr:4 row_mask:0xf bank_mask:0xf
	v_cndmask_b32_e64 v36, 0, v36, s[6:7]
	;; [unrolled: 4-line block ×3, first 2 shown]
	v_add_u32_e32 v35, v35, v36
	s_nop 1
	v_mov_b32_dpp v36, v35 row_bcast:15 row_mask:0xf bank_mask:0xf
	v_cndmask_b32_e64 v36, v36, 0, s[10:11]
	v_add_u32_e32 v35, v35, v36
	s_nop 1
	v_mov_b32_dpp v36, v35 row_bcast:31 row_mask:0xf bank_mask:0xf
	v_cndmask_b32_e64 v36, 0, v36, s[12:13]
	v_add_u32_e32 v35, v35, v36
	s_and_saveexec_b64 s[28:29], s[14:15]
; %bb.96:                               ;   in Loop: Header=BB915_93 Depth=1
	ds_write_b32 v29, v35
; %bb.97:                               ;   in Loop: Header=BB915_93 Depth=1
	s_or_b64 exec, exec, s[28:29]
	s_waitcnt lgkmcnt(0)
	s_barrier
	s_and_saveexec_b64 s[28:29], s[16:17]
	s_cbranch_execz .LBB915_99
; %bb.98:                               ;   in Loop: Header=BB915_93 Depth=1
	ds_read_b32 v36, v27
	s_waitcnt lgkmcnt(0)
	s_nop 0
	v_mov_b32_dpp v37, v36 row_shr:1 row_mask:0xf bank_mask:0xf
	v_cndmask_b32_e64 v37, v37, 0, s[24:25]
	v_add_u32_e32 v36, v37, v36
	s_nop 1
	v_mov_b32_dpp v37, v36 row_shr:2 row_mask:0xf bank_mask:0xf
	v_cndmask_b32_e64 v37, 0, v37, s[26:27]
	v_add_u32_e32 v36, v36, v37
	ds_write_b32 v27, v36
.LBB915_99:                             ;   in Loop: Header=BB915_93 Depth=1
	s_or_b64 exec, exec, s[28:29]
	v_mov_b32_e32 v36, 0
	s_waitcnt lgkmcnt(0)
	s_barrier
	s_and_saveexec_b64 s[28:29], s[18:19]
; %bb.100:                              ;   in Loop: Header=BB915_93 Depth=1
	ds_read_b32 v36, v30
; %bb.101:                              ;   in Loop: Header=BB915_93 Depth=1
	s_or_b64 exec, exec, s[28:29]
	s_waitcnt lgkmcnt(0)
	v_add_u32_e32 v35, v36, v35
	ds_bpermute_b32 v35, v28, v35
	v_add_u32_e32 v10, 8, v10
	v_cmp_lt_u32_e64 s[28:29], v10, v11
	s_mov_b64 s[44:45], -1
	s_waitcnt lgkmcnt(0)
	v_cndmask_b32_e64 v35, v35, v36, s[20:21]
	v_cndmask_b32_e64 v35, v35, 0, s[22:23]
	v_add_u32_e32 v21, v35, v21
	v_add_u32_e32 v19, v21, v19
	ds_write_b32 v22, v35
	ds_write_b32 v23, v21
	v_add_u32_e32 v18, v19, v18
	ds_write_b32 v24, v19
	ds_write_b32 v25, v18
	s_waitcnt lgkmcnt(0)
	s_barrier
	ds_read_b32 v4, v4
	s_waitcnt lgkmcnt(0)
                                        ; implicit-def: $vgpr35
	v_add_u32_e32 v4, v4, v20
	v_lshlrev_b64 v[18:19], 1, v[4:5]
	v_add_co_u32_e64 v20, s[40:41], v12, v18
	v_addc_co_u32_e64 v21, s[40:41], v13, v19, s[40:41]
                                        ; implicit-def: $vgpr18_vgpr19
	s_and_saveexec_b64 s[40:41], s[28:29]
	s_cbranch_execz .LBB915_92
; %bb.102:                              ;   in Loop: Header=BB915_93 Depth=1
	v_mad_u64_u32 v[18:19], s[28:29], v4, 6, v[20:21]
	s_barrier
	ds_write_b16 v20, v34
	s_waitcnt lgkmcnt(0)
	s_barrier
	ds_read_u16 v35, v31
	s_waitcnt lgkmcnt(0)
	s_barrier
	ds_write_b64 v18, v[8:9]
	s_waitcnt lgkmcnt(0)
	s_barrier
	ds_read_b64 v[18:19], v32
	v_add_u32_e32 v33, -8, v33
	s_xor_b64 s[44:45], exec, -1
	s_waitcnt lgkmcnt(0)
	s_barrier
	s_branch .LBB915_92
.LBB915_103:
	s_or_b64 exec, exec, s[42:43]
	v_lshlrev_b32_e32 v5, 1, v17
	v_sub_u32_e32 v11, v27, v5
	v_mad_u64_u32 v[4:5], s[4:5], v4, 6, v[20:21]
	s_barrier
	ds_write_b16 v20, v34
	s_waitcnt lgkmcnt(0)
	s_barrier
	ds_read_u16 v10, v11
	s_waitcnt lgkmcnt(0)
	s_barrier
	ds_write_b64 v4, v[8:9]
	v_mul_u32_u24_e32 v4, 6, v17
	v_add_u32_e32 v4, v11, v4
	s_waitcnt lgkmcnt(0)
	s_barrier
	ds_read_b64 v[4:5], v4
	v_cmp_lt_u32_e32 vcc, v14, v39
	s_waitcnt lgkmcnt(0)
	s_barrier
	s_and_saveexec_b64 s[4:5], vcc
	s_cbranch_execz .LBB915_105
; %bb.104:
	v_add_co_u32_e32 v8, vcc, v2, v15
	v_mov_b32_e32 v15, 0
	v_addc_co_u32_e32 v9, vcc, v3, v16, vcc
	v_lshlrev_b64 v[2:3], 1, v[14:15]
	v_add_co_u32_e32 v2, vcc, v8, v2
	v_addc_co_u32_e32 v3, vcc, v9, v3, vcc
	v_add_co_u32_e32 v6, vcc, v6, v0
	v_addc_co_u32_e32 v7, vcc, v7, v1, vcc
	v_lshlrev_b64 v[0:1], 3, v[14:15]
	v_xor_b32_e32 v8, 0x7fff, v10
	v_add_co_u32_e32 v0, vcc, v6, v0
	v_addc_co_u32_e32 v1, vcc, v7, v1, vcc
	flat_store_short v[2:3], v8
	flat_store_dwordx2 v[0:1], v[4:5]
.LBB915_105:
	s_or_b64 exec, exec, s[4:5]
.LBB915_106:
	s_or_b64 exec, exec, s[46:47]
	s_waitcnt vmcnt(0) lgkmcnt(0)
	s_setpc_b64 s[30:31]
.Lfunc_end915:
	.size	_ZN7rocprim17ROCPRIM_400000_NS6detail40segmented_radix_sort_single_block_helperIslLj256ELj4ELb1EE4sortIPKsPsPKlPlEEbT_T0_T1_T2_jjjjRNS3_12storage_typeE, .Lfunc_end915-_ZN7rocprim17ROCPRIM_400000_NS6detail40segmented_radix_sort_single_block_helperIslLj256ELj4ELb1EE4sortIPKsPsPKlPlEEbT_T0_T1_T2_jjjjRNS3_12storage_typeE
                                        ; -- End function
	.set .L_ZN7rocprim17ROCPRIM_400000_NS6detail40segmented_radix_sort_single_block_helperIslLj256ELj4ELb1EE4sortIPKsPsPKlPlEEbT_T0_T1_T2_jjjjRNS3_12storage_typeE.num_vgpr, 87
	.set .L_ZN7rocprim17ROCPRIM_400000_NS6detail40segmented_radix_sort_single_block_helperIslLj256ELj4ELb1EE4sortIPKsPsPKlPlEEbT_T0_T1_T2_jjjjRNS3_12storage_typeE.num_agpr, 0
	.set .L_ZN7rocprim17ROCPRIM_400000_NS6detail40segmented_radix_sort_single_block_helperIslLj256ELj4ELb1EE4sortIPKsPsPKlPlEEbT_T0_T1_T2_jjjjRNS3_12storage_typeE.numbered_sgpr, 64
	.set .L_ZN7rocprim17ROCPRIM_400000_NS6detail40segmented_radix_sort_single_block_helperIslLj256ELj4ELb1EE4sortIPKsPsPKlPlEEbT_T0_T1_T2_jjjjRNS3_12storage_typeE.num_named_barrier, 0
	.set .L_ZN7rocprim17ROCPRIM_400000_NS6detail40segmented_radix_sort_single_block_helperIslLj256ELj4ELb1EE4sortIPKsPsPKlPlEEbT_T0_T1_T2_jjjjRNS3_12storage_typeE.private_seg_size, 0
	.set .L_ZN7rocprim17ROCPRIM_400000_NS6detail40segmented_radix_sort_single_block_helperIslLj256ELj4ELb1EE4sortIPKsPsPKlPlEEbT_T0_T1_T2_jjjjRNS3_12storage_typeE.uses_vcc, 1
	.set .L_ZN7rocprim17ROCPRIM_400000_NS6detail40segmented_radix_sort_single_block_helperIslLj256ELj4ELb1EE4sortIPKsPsPKlPlEEbT_T0_T1_T2_jjjjRNS3_12storage_typeE.uses_flat_scratch, 0
	.set .L_ZN7rocprim17ROCPRIM_400000_NS6detail40segmented_radix_sort_single_block_helperIslLj256ELj4ELb1EE4sortIPKsPsPKlPlEEbT_T0_T1_T2_jjjjRNS3_12storage_typeE.has_dyn_sized_stack, 0
	.set .L_ZN7rocprim17ROCPRIM_400000_NS6detail40segmented_radix_sort_single_block_helperIslLj256ELj4ELb1EE4sortIPKsPsPKlPlEEbT_T0_T1_T2_jjjjRNS3_12storage_typeE.has_recursion, 0
	.set .L_ZN7rocprim17ROCPRIM_400000_NS6detail40segmented_radix_sort_single_block_helperIslLj256ELj4ELb1EE4sortIPKsPsPKlPlEEbT_T0_T1_T2_jjjjRNS3_12storage_typeE.has_indirect_call, 0
	.section	.AMDGPU.csdata,"",@progbits
; Function info:
; codeLenInByte = 8776
; TotalNumSgprs: 68
; NumVgprs: 87
; ScratchSize: 0
; MemoryBound: 1
	.section	.text._ZN7rocprim17ROCPRIM_400000_NS6detail17trampoline_kernelINS0_14default_configENS1_36segmented_radix_sort_config_selectorIslEEZNS1_25segmented_radix_sort_implIS3_Lb1EPKsPsPKlPlN2at6native12_GLOBAL__N_18offset_tEEE10hipError_tPvRmT1_PNSt15iterator_traitsISK_E10value_typeET2_T3_PNSL_ISQ_E10value_typeET4_jRbjT5_SW_jjP12ihipStream_tbEUlT_E_NS1_11comp_targetILNS1_3genE2ELNS1_11target_archE906ELNS1_3gpuE6ELNS1_3repE0EEENS1_30default_config_static_selectorELNS0_4arch9wavefront6targetE1EEEvSK_,"axG",@progbits,_ZN7rocprim17ROCPRIM_400000_NS6detail17trampoline_kernelINS0_14default_configENS1_36segmented_radix_sort_config_selectorIslEEZNS1_25segmented_radix_sort_implIS3_Lb1EPKsPsPKlPlN2at6native12_GLOBAL__N_18offset_tEEE10hipError_tPvRmT1_PNSt15iterator_traitsISK_E10value_typeET2_T3_PNSL_ISQ_E10value_typeET4_jRbjT5_SW_jjP12ihipStream_tbEUlT_E_NS1_11comp_targetILNS1_3genE2ELNS1_11target_archE906ELNS1_3gpuE6ELNS1_3repE0EEENS1_30default_config_static_selectorELNS0_4arch9wavefront6targetE1EEEvSK_,comdat
	.globl	_ZN7rocprim17ROCPRIM_400000_NS6detail17trampoline_kernelINS0_14default_configENS1_36segmented_radix_sort_config_selectorIslEEZNS1_25segmented_radix_sort_implIS3_Lb1EPKsPsPKlPlN2at6native12_GLOBAL__N_18offset_tEEE10hipError_tPvRmT1_PNSt15iterator_traitsISK_E10value_typeET2_T3_PNSL_ISQ_E10value_typeET4_jRbjT5_SW_jjP12ihipStream_tbEUlT_E_NS1_11comp_targetILNS1_3genE2ELNS1_11target_archE906ELNS1_3gpuE6ELNS1_3repE0EEENS1_30default_config_static_selectorELNS0_4arch9wavefront6targetE1EEEvSK_ ; -- Begin function _ZN7rocprim17ROCPRIM_400000_NS6detail17trampoline_kernelINS0_14default_configENS1_36segmented_radix_sort_config_selectorIslEEZNS1_25segmented_radix_sort_implIS3_Lb1EPKsPsPKlPlN2at6native12_GLOBAL__N_18offset_tEEE10hipError_tPvRmT1_PNSt15iterator_traitsISK_E10value_typeET2_T3_PNSL_ISQ_E10value_typeET4_jRbjT5_SW_jjP12ihipStream_tbEUlT_E_NS1_11comp_targetILNS1_3genE2ELNS1_11target_archE906ELNS1_3gpuE6ELNS1_3repE0EEENS1_30default_config_static_selectorELNS0_4arch9wavefront6targetE1EEEvSK_
	.p2align	8
	.type	_ZN7rocprim17ROCPRIM_400000_NS6detail17trampoline_kernelINS0_14default_configENS1_36segmented_radix_sort_config_selectorIslEEZNS1_25segmented_radix_sort_implIS3_Lb1EPKsPsPKlPlN2at6native12_GLOBAL__N_18offset_tEEE10hipError_tPvRmT1_PNSt15iterator_traitsISK_E10value_typeET2_T3_PNSL_ISQ_E10value_typeET4_jRbjT5_SW_jjP12ihipStream_tbEUlT_E_NS1_11comp_targetILNS1_3genE2ELNS1_11target_archE906ELNS1_3gpuE6ELNS1_3repE0EEENS1_30default_config_static_selectorELNS0_4arch9wavefront6targetE1EEEvSK_,@function
_ZN7rocprim17ROCPRIM_400000_NS6detail17trampoline_kernelINS0_14default_configENS1_36segmented_radix_sort_config_selectorIslEEZNS1_25segmented_radix_sort_implIS3_Lb1EPKsPsPKlPlN2at6native12_GLOBAL__N_18offset_tEEE10hipError_tPvRmT1_PNSt15iterator_traitsISK_E10value_typeET2_T3_PNSL_ISQ_E10value_typeET4_jRbjT5_SW_jjP12ihipStream_tbEUlT_E_NS1_11comp_targetILNS1_3genE2ELNS1_11target_archE906ELNS1_3gpuE6ELNS1_3repE0EEENS1_30default_config_static_selectorELNS0_4arch9wavefront6targetE1EEEvSK_: ; @_ZN7rocprim17ROCPRIM_400000_NS6detail17trampoline_kernelINS0_14default_configENS1_36segmented_radix_sort_config_selectorIslEEZNS1_25segmented_radix_sort_implIS3_Lb1EPKsPsPKlPlN2at6native12_GLOBAL__N_18offset_tEEE10hipError_tPvRmT1_PNSt15iterator_traitsISK_E10value_typeET2_T3_PNSL_ISQ_E10value_typeET4_jRbjT5_SW_jjP12ihipStream_tbEUlT_E_NS1_11comp_targetILNS1_3genE2ELNS1_11target_archE906ELNS1_3gpuE6ELNS1_3repE0EEENS1_30default_config_static_selectorELNS0_4arch9wavefront6targetE1EEEvSK_
; %bb.0:
	s_add_u32 s0, s0, s8
	s_mov_b64 s[34:35], s[4:5]
	s_load_dwordx2 s[4:5], s[4:5], 0x38
	s_nop 0
	s_load_dwordx4 s[8:11], s[34:35], 0x40
	s_mov_b32 s33, s7
	s_mov_b32 s7, 0
	s_addc_u32 s1, s1, 0
	s_lshl_b64 s[12:13], s[6:7], 2
	s_waitcnt lgkmcnt(0)
	s_add_u32 s4, s4, s12
	s_addc_u32 s5, s5, s13
	s_load_dword s4, s[4:5], 0x0
	s_mov_b32 s32, 0
	s_waitcnt lgkmcnt(0)
	s_add_i32 s74, s4, s9
	s_add_i32 s75, s4, s11
	s_mul_i32 s74, s74, s8
	s_mul_i32 s75, s75, s10
	s_cmp_le_u32 s75, s74
	s_cbranch_scc1 .LBB916_414
; %bb.1:
	s_load_dword s4, s[34:35], 0x30
	s_load_dwordx4 s[64:67], s[34:35], 0x20
	s_load_dwordx4 s[68:71], s[34:35], 0x50
	s_load_dwordx8 s[48:55], s[34:35], 0x0
	s_waitcnt lgkmcnt(0)
	s_bitcmp1_b32 s4, 0
	s_cselect_b64 s[72:73], -1, 0
	s_sub_i32 s71, s75, s74
	s_cmpk_lt_u32 s71, 0x401
	s_mov_b64 s[4:5], -1
	s_cbranch_scc0 .LBB916_7
; %bb.2:
	s_and_b32 s4, s68, 1
	v_cndmask_b32_e64 v3, 0, 1, s[72:73]
	v_cmp_ne_u32_e32 vcc, s4, v3
	s_mov_b64 s[4:5], -1
	v_lshlrev_b32_e32 v41, 20, v2
	v_lshlrev_b32_e32 v42, 10, v1
	s_cbranch_vccnz .LBB916_4
; %bb.3:
	s_add_u32 s8, s34, 0x60
	s_mov_b64 s[4:5], src_shared_base
	s_addc_u32 s9, s35, 0
	s_getpc_b64 s[10:11]
	s_add_u32 s10, s10, _ZN7rocprim17ROCPRIM_400000_NS6detail40segmented_radix_sort_single_block_helperIslLj256ELj4ELb1EE4sortIPKsPsPKlPlEEbT_T0_T1_T2_jjjjRNS3_12storage_typeE@rel32@lo+4
	s_addc_u32 s11, s11, _ZN7rocprim17ROCPRIM_400000_NS6detail40segmented_radix_sort_single_block_helperIslLj256ELj4ELb1EE4sortIPKsPsPKlPlEEbT_T0_T1_T2_jjjjRNS3_12storage_typeE@rel32@hi+12
	v_or3_b32 v31, v0, v42, v41
	s_mov_b32 s12, s6
	s_mov_b32 s13, s33
	v_mov_b32_e32 v40, v0
	v_mov_b32_e32 v0, s48
	v_mov_b32_e32 v43, v1
	v_mov_b32_e32 v1, s49
	v_mov_b32_e32 v44, v2
	v_mov_b32_e32 v2, s52
	v_mov_b32_e32 v3, s53
	v_mov_b32_e32 v4, s54
	v_mov_b32_e32 v5, s55
	v_mov_b32_e32 v6, s66
	v_mov_b32_e32 v7, s67
	v_mov_b32_e32 v8, s74
	v_mov_b32_e32 v9, s75
	v_mov_b32_e32 v10, s69
	v_mov_b32_e32 v11, s70
	v_mov_b32_e32 v12, 0
	v_mov_b32_e32 v13, s5
	s_mov_b32 s36, s6
	s_swappc_b64 s[30:31], s[10:11]
	v_mov_b32_e32 v1, v43
	v_mov_b32_e32 v2, v44
	;; [unrolled: 1-line block ×3, first 2 shown]
	s_mov_b32 s6, s36
	s_mov_b64 s[4:5], 0
.LBB916_4:
	s_andn2_b64 vcc, exec, s[4:5]
	s_cbranch_vccnz .LBB916_6
; %bb.5:
	s_add_u32 s8, s34, 0x60
	s_mov_b64 s[4:5], src_shared_base
	s_addc_u32 s9, s35, 0
	s_getpc_b64 s[10:11]
	s_add_u32 s10, s10, _ZN7rocprim17ROCPRIM_400000_NS6detail40segmented_radix_sort_single_block_helperIslLj256ELj4ELb1EE4sortIPKsPsPKlPlEEbT_T0_T1_T2_jjjjRNS3_12storage_typeE@rel32@lo+4
	s_addc_u32 s11, s11, _ZN7rocprim17ROCPRIM_400000_NS6detail40segmented_radix_sort_single_block_helperIslLj256ELj4ELb1EE4sortIPKsPsPKlPlEEbT_T0_T1_T2_jjjjRNS3_12storage_typeE@rel32@hi+12
	v_or3_b32 v31, v0, v42, v41
	s_mov_b32 s12, s6
	s_mov_b32 s13, s33
	v_mov_b32_e32 v40, v0
	v_mov_b32_e32 v0, s48
	;; [unrolled: 1-line block ×17, first 2 shown]
	s_mov_b32 s36, s6
	s_swappc_b64 s[30:31], s[10:11]
	v_mov_b32_e32 v1, v41
	v_mov_b32_e32 v2, v42
	v_mov_b32_e32 v0, v40
	s_mov_b32 s6, s36
.LBB916_6:
	s_mov_b64 s[4:5], 0
.LBB916_7:
	s_andn2_b64 vcc, exec, s[4:5]
	s_cbranch_vccnz .LBB916_414
; %bb.8:
	s_cmp_ge_u32 s69, s70
	s_cbranch_scc1 .LBB916_414
; %bb.9:
	v_and_b32_e32 v3, 3, v0
	v_lshlrev_b32_e32 v19, 2, v0
	v_lshlrev_b32_e32 v4, 1, v0
	;; [unrolled: 1-line block ×3, first 2 shown]
	v_or_b32_e32 v3, 63, v0
	v_mov_b32_e32 v5, s53
	v_add_co_u32_e32 v21, vcc, s52, v4
	v_mad_u32_u24 v24, v0, 12, v19
	v_cmp_eq_u32_e64 s[8:9], v0, v3
	v_lshrrev_b32_e32 v3, 4, v0
	v_addc_co_u32_e32 v22, vcc, 0, v5, vcc
	v_and_b32_e32 v25, 12, v3
	v_and_b32_e32 v3, 0x300, v19
	v_add_u32_e32 v26, v24, v19
	v_lshlrev_b32_e32 v5, 4, v0
	v_sub_u32_e32 v27, v26, v5
	v_lshlrev_b32_e32 v5, 3, v3
	v_mov_b32_e32 v6, s67
	v_add_co_u32_e32 v28, vcc, s66, v5
	v_addc_co_u32_e32 v29, vcc, 0, v6, vcc
	v_lshlrev_b32_e32 v6, 1, v3
	v_mov_b32_e32 v7, s53
	v_add_co_u32_e32 v30, vcc, s52, v6
	v_addc_co_u32_e32 v31, vcc, 0, v7, vcc
	v_mov_b32_e32 v7, s51
	v_add_co_u32_e32 v33, vcc, s50, v4
	v_addc_co_u32_e32 v34, vcc, 0, v7, vcc
	;; [unrolled: 3-line block ×5, first 2 shown]
	v_sub_u32_e32 v32, v27, v4
	v_mov_b32_e32 v4, s55
	v_add_co_u32_e32 v41, vcc, s54, v5
	v_addc_co_u32_e32 v42, vcc, 0, v4, vcc
	v_mov_b32_e32 v4, s49
	v_add_co_u32_e32 v43, vcc, s48, v6
	v_addc_co_u32_e32 v44, vcc, 0, v4, vcc
	v_mbcnt_lo_u32_b32 v4, -1, 0
	v_mbcnt_hi_u32_b32 v45, -1, v4
	v_and_b32_e32 v4, 63, v45
	s_movk_i32 s4, 0x100
	s_add_u32 s46, s34, 0x60
	s_movk_i32 s7, 0xff
	v_or_b32_e32 v47, v4, v3
	v_or_b32_e32 v20, 0x100, v0
	v_cmp_gt_u32_e64 s[4:5], s4, v0
	v_cmp_gt_u32_e64 s[10:11], 4, v0
	v_cmp_lt_u32_e64 s[12:13], 63, v0
	s_addc_u32 s47, s35, 0
	s_mov_b32 s57, 0
	v_cmp_eq_u32_e64 s[14:15], 0, v0
	v_cmp_ne_u32_e64 s[16:17], s7, v0
	s_mov_b32 s7, 0x5040100
	s_mov_b32 s58, 0xffff
	s_movk_i32 s59, 0x7fff
	s_movk_i32 s60, 0x8000
	v_lshlrev_b32_e32 v46, 3, v4
	v_lshlrev_b32_e32 v48, 1, v4
	s_mov_b32 s61, s69
	v_or_b32_e32 v49, 0x200, v0
	v_or_b32_e32 v50, 0x300, v0
	;; [unrolled: 1-line block ×4, first 2 shown]
	v_add_u32_e32 v53, 0x23fc, v25
	v_mul_u32_u24_e32 v54, 6, v0
	v_mov_b32_e32 v55, 1
	v_add_u32_e32 v56, 0x410, v26
	v_add_u32_e32 v57, 0x418, v26
	v_lshlrev_b32_e32 v58, 1, v0
	v_and_b32_e32 v59, 15, v45
	v_bfe_i32 v60, v45, 4, 1
	v_and_b32_e32 v61, 16, v45
	v_and_b32_e32 v62, 3, v45
	;; [unrolled: 1-line block ×3, first 2 shown]
	v_or_b32_e32 v64, 64, v47
	v_or_b32_e32 v65, 0x80, v47
	;; [unrolled: 1-line block ×3, first 2 shown]
	v_mov_b32_e32 v67, 0x5040100
	v_mov_b32_e32 v3, 0
	;; [unrolled: 1-line block ×3, first 2 shown]
	s_branch .LBB916_12
.LBB916_10:                             ;   in Loop: Header=BB916_12 Depth=1
	s_waitcnt lgkmcnt(0)
	s_barrier
.LBB916_11:                             ;   in Loop: Header=BB916_12 Depth=1
	s_add_i32 s61, s61, 8
	s_cmp_ge_u32 s61, s70
	s_cbranch_scc1 .LBB916_414
.LBB916_12:                             ; =>This Loop Header: Depth=1
                                        ;     Child Loop BB916_16 Depth 2
                                        ;     Child Loop BB916_48 Depth 2
	;; [unrolled: 1-line block ×8, first 2 shown]
	s_sub_i32 s18, s70, s61
	s_min_u32 s18, s18, 8
	s_lshl_b32 s18, -1, s18
	s_xor_b64 s[72:73], s[72:73], -1
	s_not_b32 s62, s18
	s_cmp_lg_u32 s61, s69
	s_mov_b64 s[18:19], -1
	ds_write2st64_b32 v19, v3, v3 offset1:4
	ds_write2st64_b32 v19, v3, v3 offset0:8 offset1:12
	s_waitcnt lgkmcnt(0)
	s_cbranch_scc0 .LBB916_214
; %bb.13:                               ;   in Loop: Header=BB916_12 Depth=1
	s_and_b64 vcc, exec, s[72:73]
	s_cbranch_vccz .LBB916_113
; %bb.14:                               ;   in Loop: Header=BB916_12 Depth=1
	v_mov_b32_e32 v4, v3
	v_mov_b32_e32 v7, v4
	s_mov_b32 s22, s71
	s_mov_b32 s56, s74
	v_mov_b32_e32 v6, v3
	s_barrier
	s_branch .LBB916_16
.LBB916_15:                             ;   in Loop: Header=BB916_16 Depth=2
	s_or_b64 exec, exec, s[18:19]
	s_addk_i32 s22, 0xfc00
	s_cmp_ge_u32 s23, s75
	s_mov_b32 s56, s23
	s_cbranch_scc1 .LBB916_36
.LBB916_16:                             ;   Parent Loop BB916_12 Depth=1
                                        ; =>  This Inner Loop Header: Depth=2
	s_add_i32 s23, s56, 0x400
	s_cmp_gt_u32 s23, s75
	s_mov_b64 s[18:19], -1
                                        ; implicit-def: $vgpr8_vgpr9
	s_cbranch_scc1 .LBB916_18
; %bb.17:                               ;   in Loop: Header=BB916_16 Depth=2
	s_lshl_b64 s[18:19], s[56:57], 1
	v_mov_b32_e32 v4, s19
	v_add_co_u32_e32 v8, vcc, s18, v21
	v_addc_co_u32_e32 v9, vcc, v22, v4, vcc
	global_load_ushort v4, v[8:9], off
	global_load_ushort v10, v[8:9], off offset:1024
	global_load_ushort v11, v[8:9], off offset:1536
	;; [unrolled: 1-line block ×3, first 2 shown]
	s_mov_b64 s[18:19], 0
	s_waitcnt vmcnt(1)
	v_perm_b32 v9, v11, v10, s7
	s_waitcnt vmcnt(0)
	v_perm_b32 v8, v12, v4, s7
.LBB916_18:                             ;   in Loop: Header=BB916_16 Depth=2
	s_andn2_b64 vcc, exec, s[18:19]
	s_movk_i32 s20, 0x400
	s_cbranch_vccnz .LBB916_25
; %bb.19:                               ;   in Loop: Header=BB916_16 Depth=2
	s_lshl_b64 s[18:19], s[56:57], 1
	s_add_u32 s18, s52, s18
	s_addc_u32 s19, s53, s19
	v_cmp_gt_u32_e32 vcc, s22, v0
	s_and_saveexec_b64 s[20:21], vcc
	s_cbranch_execnz .LBB916_33
; %bb.20:                               ;   in Loop: Header=BB916_16 Depth=2
	s_or_b64 exec, exec, s[20:21]
	v_cmp_gt_u32_e32 vcc, s22, v20
	s_and_saveexec_b64 s[20:21], vcc
	s_cbranch_execnz .LBB916_34
.LBB916_21:                             ;   in Loop: Header=BB916_16 Depth=2
	s_or_b64 exec, exec, s[20:21]
	v_cmp_gt_u32_e32 vcc, s22, v49
	s_and_saveexec_b64 s[20:21], vcc
	s_cbranch_execnz .LBB916_35
.LBB916_22:                             ;   in Loop: Header=BB916_16 Depth=2
	s_or_b64 exec, exec, s[20:21]
	v_cmp_gt_u32_e32 vcc, s22, v50
	s_and_saveexec_b64 s[20:21], vcc
	s_cbranch_execz .LBB916_24
.LBB916_23:                             ;   in Loop: Header=BB916_16 Depth=2
	global_load_ushort v4, v58, s[18:19] offset:1536
	s_waitcnt vmcnt(0)
	v_perm_b32 v7, v4, v7, s7
.LBB916_24:                             ;   in Loop: Header=BB916_16 Depth=2
	s_or_b64 exec, exec, s[20:21]
	v_mov_b32_e32 v9, v7
	s_mov_b32 s20, s22
	v_mov_b32_e32 v8, v6
.LBB916_25:                             ;   in Loop: Header=BB916_16 Depth=2
	v_mov_b32_e32 v6, v8
	v_mov_b32_e32 v7, v9
	v_cmp_gt_u32_e32 vcc, s20, v0
	s_and_saveexec_b64 s[18:19], vcc
	s_cbranch_execnz .LBB916_29
; %bb.26:                               ;   in Loop: Header=BB916_16 Depth=2
	s_or_b64 exec, exec, s[18:19]
	v_cmp_gt_u32_e32 vcc, s20, v20
	s_and_saveexec_b64 s[18:19], vcc
	s_cbranch_execnz .LBB916_30
.LBB916_27:                             ;   in Loop: Header=BB916_16 Depth=2
	s_or_b64 exec, exec, s[18:19]
	v_cmp_gt_u32_e32 vcc, s20, v49
	s_and_saveexec_b64 s[18:19], vcc
	s_cbranch_execnz .LBB916_31
.LBB916_28:                             ;   in Loop: Header=BB916_16 Depth=2
	s_or_b64 exec, exec, s[18:19]
	v_cmp_gt_u32_e32 vcc, s20, v50
	s_and_saveexec_b64 s[18:19], vcc
	s_cbranch_execz .LBB916_15
	s_branch .LBB916_32
.LBB916_29:                             ;   in Loop: Header=BB916_16 Depth=2
	v_xor_b32_e32 v4, 0x7fff, v6
	v_lshrrev_b32_sdwa v4, s61, v4 dst_sel:DWORD dst_unused:UNUSED_PAD src0_sel:DWORD src1_sel:WORD_0
	v_and_b32_e32 v4, s62, v4
	v_lshl_or_b32 v4, v4, 4, v23
	ds_add_u32 v4, v55
	s_or_b64 exec, exec, s[18:19]
	v_cmp_gt_u32_e32 vcc, s20, v20
	s_and_saveexec_b64 s[18:19], vcc
	s_cbranch_execz .LBB916_27
.LBB916_30:                             ;   in Loop: Header=BB916_16 Depth=2
	v_xor_b32_sdwa v4, v6, s59 dst_sel:DWORD dst_unused:UNUSED_PAD src0_sel:WORD_1 src1_sel:DWORD
	v_lshrrev_b32_sdwa v4, s61, v4 dst_sel:DWORD dst_unused:UNUSED_PAD src0_sel:DWORD src1_sel:WORD_0
	v_and_b32_e32 v4, s62, v4
	v_lshl_or_b32 v4, v4, 4, v23
	ds_add_u32 v4, v55
	s_or_b64 exec, exec, s[18:19]
	v_cmp_gt_u32_e32 vcc, s20, v49
	s_and_saveexec_b64 s[18:19], vcc
	s_cbranch_execz .LBB916_28
.LBB916_31:                             ;   in Loop: Header=BB916_16 Depth=2
	v_xor_b32_e32 v4, 0x7fff, v7
	v_lshrrev_b32_sdwa v4, s61, v4 dst_sel:DWORD dst_unused:UNUSED_PAD src0_sel:DWORD src1_sel:WORD_0
	v_and_b32_e32 v4, s62, v4
	v_lshl_or_b32 v4, v4, 4, v23
	ds_add_u32 v4, v55
	s_or_b64 exec, exec, s[18:19]
	v_cmp_gt_u32_e32 vcc, s20, v50
	s_and_saveexec_b64 s[18:19], vcc
	s_cbranch_execz .LBB916_15
.LBB916_32:                             ;   in Loop: Header=BB916_16 Depth=2
	v_xor_b32_sdwa v4, v7, s59 dst_sel:DWORD dst_unused:UNUSED_PAD src0_sel:WORD_1 src1_sel:DWORD
	v_lshrrev_b32_sdwa v4, s61, v4 dst_sel:DWORD dst_unused:UNUSED_PAD src0_sel:DWORD src1_sel:WORD_0
	v_and_b32_e32 v4, s62, v4
	v_lshl_or_b32 v4, v4, 4, v23
	ds_add_u32 v4, v55
	s_branch .LBB916_15
.LBB916_33:                             ;   in Loop: Header=BB916_16 Depth=2
	global_load_ushort v4, v58, s[18:19]
	s_waitcnt vmcnt(0)
	v_bfi_b32 v6, s58, v4, v6
	s_or_b64 exec, exec, s[20:21]
	v_cmp_gt_u32_e32 vcc, s22, v20
	s_and_saveexec_b64 s[20:21], vcc
	s_cbranch_execz .LBB916_21
.LBB916_34:                             ;   in Loop: Header=BB916_16 Depth=2
	global_load_ushort v4, v58, s[18:19] offset:512
	s_waitcnt vmcnt(0)
	v_perm_b32 v6, v4, v6, s7
	s_or_b64 exec, exec, s[20:21]
	v_cmp_gt_u32_e32 vcc, s22, v49
	s_and_saveexec_b64 s[20:21], vcc
	s_cbranch_execz .LBB916_22
.LBB916_35:                             ;   in Loop: Header=BB916_16 Depth=2
	global_load_ushort v4, v58, s[18:19] offset:1024
	s_waitcnt vmcnt(0)
	v_bfi_b32 v7, s58, v4, v7
	s_or_b64 exec, exec, s[20:21]
	v_cmp_gt_u32_e32 vcc, s22, v50
	s_and_saveexec_b64 s[20:21], vcc
	s_cbranch_execnz .LBB916_23
	s_branch .LBB916_24
.LBB916_36:                             ;   in Loop: Header=BB916_12 Depth=1
	v_mov_b32_e32 v4, 0
	s_waitcnt lgkmcnt(0)
	s_barrier
	s_and_saveexec_b64 s[18:19], s[4:5]
	s_cbranch_execz .LBB916_38
; %bb.37:                               ;   in Loop: Header=BB916_12 Depth=1
	ds_read2_b64 v[6:9], v24 offset1:1
	s_waitcnt lgkmcnt(0)
	v_add_u32_e32 v4, v7, v6
	v_add3_u32 v4, v4, v8, v9
.LBB916_38:                             ;   in Loop: Header=BB916_12 Depth=1
	s_or_b64 exec, exec, s[18:19]
	s_nop 0
	v_mov_b32_dpp v6, v4 row_shr:1 row_mask:0xf bank_mask:0xf
	v_cmp_eq_u32_e64 s[18:19], 0, v59
	v_cndmask_b32_e64 v6, v6, 0, s[18:19]
	v_add_u32_e32 v4, v6, v4
	v_cmp_lt_u32_e64 s[20:21], 1, v59
	v_cmp_lt_u32_e64 s[22:23], 3, v59
	v_mov_b32_dpp v6, v4 row_shr:2 row_mask:0xf bank_mask:0xf
	v_cndmask_b32_e64 v6, 0, v6, s[20:21]
	v_add_u32_e32 v4, v4, v6
	v_cmp_lt_u32_e64 s[24:25], 7, v59
	v_cmp_lt_u32_e64 s[28:29], 31, v45
	v_mov_b32_dpp v6, v4 row_shr:4 row_mask:0xf bank_mask:0xf
	v_cndmask_b32_e64 v6, 0, v6, s[22:23]
	v_add_u32_e32 v4, v4, v6
	v_cmp_eq_u32_e64 s[26:27], 0, v61
	s_nop 0
	v_mov_b32_dpp v6, v4 row_shr:8 row_mask:0xf bank_mask:0xf
	v_cndmask_b32_e64 v6, 0, v6, s[24:25]
	v_add_u32_e32 v4, v4, v6
	s_nop 1
	v_mov_b32_dpp v6, v4 row_bcast:15 row_mask:0xf bank_mask:0xf
	v_and_b32_e32 v6, v60, v6
	v_add_u32_e32 v4, v4, v6
	s_nop 1
	v_mov_b32_dpp v6, v4 row_bcast:31 row_mask:0xf bank_mask:0xf
	v_cndmask_b32_e64 v6, 0, v6, s[28:29]
	v_add_u32_e32 v4, v4, v6
	s_and_saveexec_b64 s[30:31], s[8:9]
; %bb.39:                               ;   in Loop: Header=BB916_12 Depth=1
	ds_write_b32 v51, v4
; %bb.40:                               ;   in Loop: Header=BB916_12 Depth=1
	s_or_b64 exec, exec, s[30:31]
	s_waitcnt lgkmcnt(0)
	s_barrier
	s_and_saveexec_b64 s[30:31], s[10:11]
	s_cbranch_execz .LBB916_42
; %bb.41:                               ;   in Loop: Header=BB916_12 Depth=1
	ds_read_b32 v6, v52
	v_cmp_ne_u32_e32 vcc, 0, v62
	s_waitcnt lgkmcnt(0)
	v_mov_b32_dpp v7, v6 row_shr:1 row_mask:0xf bank_mask:0xf
	v_cndmask_b32_e32 v7, 0, v7, vcc
	v_add_u32_e32 v6, v7, v6
	v_cmp_lt_u32_e32 vcc, 1, v62
	s_nop 0
	v_mov_b32_dpp v7, v6 row_shr:2 row_mask:0xf bank_mask:0xf
	v_cndmask_b32_e32 v7, 0, v7, vcc
	v_add_u32_e32 v6, v6, v7
	ds_write_b32 v52, v6
.LBB916_42:                             ;   in Loop: Header=BB916_12 Depth=1
	s_or_b64 exec, exec, s[30:31]
	v_mov_b32_e32 v6, 0
	s_waitcnt lgkmcnt(0)
	s_barrier
	s_and_saveexec_b64 s[30:31], s[12:13]
; %bb.43:                               ;   in Loop: Header=BB916_12 Depth=1
	ds_read_b32 v6, v53
; %bb.44:                               ;   in Loop: Header=BB916_12 Depth=1
	s_or_b64 exec, exec, s[30:31]
	v_subrev_co_u32_e64 v7, s[30:31], 1, v45
	v_cmp_lt_i32_e32 vcc, v7, v63
	v_cndmask_b32_e32 v7, v7, v45, vcc
	s_waitcnt lgkmcnt(0)
	v_add_u32_e32 v4, v6, v4
	v_lshlrev_b32_e32 v68, 2, v7
	ds_bpermute_b32 v4, v68, v4
	s_waitcnt lgkmcnt(0)
	s_barrier
	s_and_saveexec_b64 s[34:35], s[4:5]
; %bb.45:                               ;   in Loop: Header=BB916_12 Depth=1
	v_cndmask_b32_e64 v4, v4, v6, s[30:31]
	v_add_u32_e32 v4, s74, v4
	ds_write_b32 v19, v4
; %bb.46:                               ;   in Loop: Header=BB916_12 Depth=1
	s_or_b64 exec, exec, s[34:35]
	s_load_dword s34, s[46:47], 0x4
	s_load_dword s38, s[46:47], 0xc
	v_add_co_u32_e32 v69, vcc, v28, v46
	v_addc_co_u32_e32 v70, vcc, 0, v29, vcc
	s_waitcnt lgkmcnt(0)
	s_cmp_lt_u32 s33, s34
	s_cselect_b32 s34, 14, 20
	s_add_u32 s34, s46, s34
	s_addc_u32 s35, s47, 0
	global_load_ushort v4, v3, s[34:35]
	s_and_b32 s38, s38, 0xffff
	v_add_co_u32_e32 v71, vcc, v30, v48
	v_cmp_eq_u32_e64 s[34:35], 0, v62
	v_cmp_lt_u32_e64 s[36:37], 1, v62
	v_addc_co_u32_e32 v72, vcc, 0, v31, vcc
	s_mov_b32 s63, s71
	s_mov_b32 s56, s74
                                        ; implicit-def: $vgpr9_vgpr10
                                        ; implicit-def: $vgpr11_vgpr12
                                        ; implicit-def: $vgpr13_vgpr14
                                        ; implicit-def: $vgpr73
                                        ; implicit-def: $vgpr74
                                        ; implicit-def: $vgpr76
                                        ; implicit-def: $vgpr77
	s_waitcnt vmcnt(0)
	v_mad_u32_u24 v4, v2, v4, v1
	v_mad_u64_u32 v[6:7], s[38:39], v4, s38, v[0:1]
                                        ; implicit-def: $vgpr7_vgpr8
	v_lshrrev_b32_e32 v4, 4, v6
	v_and_b32_e32 v75, 0xffffffc, v4
	s_branch .LBB916_48
.LBB916_47:                             ;   in Loop: Header=BB916_48 Depth=2
	s_or_b64 exec, exec, s[38:39]
	s_addk_i32 s63, 0xfc00
	s_cmp_lt_u32 s68, s75
	s_mov_b32 s56, s68
	s_cbranch_scc0 .LBB916_112
.LBB916_48:                             ;   Parent Loop BB916_12 Depth=1
                                        ; =>  This Inner Loop Header: Depth=2
	s_add_i32 s68, s56, 0x400
	s_cmp_gt_u32 s68, s75
	s_cbranch_scc1 .LBB916_50
; %bb.49:                               ;   in Loop: Header=BB916_48 Depth=2
	s_lshl_b64 s[38:39], s[56:57], 1
	v_mov_b32_e32 v4, s39
	v_add_co_u32_e32 v15, vcc, s38, v71
	v_addc_co_u32_e32 v16, vcc, v72, v4, vcc
	global_load_ushort v4, v[15:16], off
	global_load_ushort v6, v[15:16], off offset:128
	s_nop 0
	global_load_ushort v16, v[15:16], off offset:256
	s_mov_b64 s[38:39], -1
	s_waitcnt vmcnt(1)
	v_perm_b32 v15, v6, v4, s7
	s_movk_i32 s42, 0x400
	s_cbranch_execz .LBB916_51
	s_branch .LBB916_56
.LBB916_50:                             ;   in Loop: Header=BB916_48 Depth=2
	s_mov_b64 s[38:39], 0
                                        ; implicit-def: $vgpr15_vgpr16
	s_movk_i32 s42, 0x400
.LBB916_51:                             ;   in Loop: Header=BB916_48 Depth=2
	s_lshl_b64 s[38:39], s[56:57], 1
	v_mov_b32_e32 v4, s39
	v_add_co_u32_e32 v17, vcc, s38, v71
	v_mov_b32_e32 v6, v5
	v_addc_co_u32_e32 v18, vcc, v72, v4, vcc
	s_waitcnt vmcnt(0)
	v_mov_b32_e32 v16, v6
	v_cmp_gt_u32_e32 vcc, s63, v47
	v_mov_b32_e32 v15, v5
	s_and_saveexec_b64 s[38:39], vcc
	s_cbranch_execnz .LBB916_110
; %bb.52:                               ;   in Loop: Header=BB916_48 Depth=2
	s_or_b64 exec, exec, s[38:39]
	v_cmp_gt_u32_e32 vcc, s63, v64
	s_and_saveexec_b64 s[38:39], vcc
	s_cbranch_execnz .LBB916_111
.LBB916_53:                             ;   in Loop: Header=BB916_48 Depth=2
	s_or_b64 exec, exec, s[38:39]
	v_cmp_gt_u32_e32 vcc, s63, v65
	s_and_saveexec_b64 s[38:39], vcc
	s_cbranch_execz .LBB916_55
.LBB916_54:                             ;   in Loop: Header=BB916_48 Depth=2
	global_load_ushort v4, v[17:18], off offset:256
	s_waitcnt vmcnt(0)
	v_bfi_b32 v16, s58, v4, v16
.LBB916_55:                             ;   in Loop: Header=BB916_48 Depth=2
	s_or_b64 exec, exec, s[38:39]
	s_sub_i32 s42, s75, s56
	v_cmp_gt_u32_e64 s[38:39], s63, v66
.LBB916_56:                             ;   in Loop: Header=BB916_48 Depth=2
	v_mov_b32_e32 v78, s63
	s_and_saveexec_b64 s[40:41], s[38:39]
	s_cbranch_execz .LBB916_58
; %bb.57:                               ;   in Loop: Header=BB916_48 Depth=2
	s_lshl_b64 s[38:39], s[56:57], 1
	v_mov_b32_e32 v4, s39
	v_add_co_u32_e32 v17, vcc, s38, v71
	v_addc_co_u32_e32 v18, vcc, v72, v4, vcc
	global_load_ushort v4, v[17:18], off offset:384
	v_mov_b32_e32 v78, s42
	s_waitcnt vmcnt(0)
	v_perm_b32 v16, v4, v16, s7
.LBB916_58:                             ;   in Loop: Header=BB916_48 Depth=2
	s_or_b64 exec, exec, s[40:41]
	v_xor_b32_e32 v6, 0x7fff, v15
	v_lshrrev_b32_sdwa v4, s61, v6 dst_sel:DWORD dst_unused:UNUSED_PAD src0_sel:DWORD src1_sel:WORD_0
	v_and_b32_e32 v17, s62, v4
	v_and_b32_e32 v4, 1, v17
	v_add_co_u32_e32 v18, vcc, -1, v4
	v_addc_co_u32_e64 v79, s[38:39], 0, -1, vcc
	v_cmp_ne_u32_e32 vcc, 0, v4
	v_xor_b32_e32 v4, vcc_hi, v79
	v_and_b32_e32 v79, exec_hi, v4
	v_lshlrev_b32_e32 v4, 30, v17
	v_xor_b32_e32 v18, vcc_lo, v18
	v_cmp_gt_i64_e32 vcc, 0, v[3:4]
	v_not_b32_e32 v4, v4
	v_ashrrev_i32_e32 v4, 31, v4
	v_and_b32_e32 v18, exec_lo, v18
	v_xor_b32_e32 v81, vcc_hi, v4
	v_xor_b32_e32 v4, vcc_lo, v4
	v_and_b32_e32 v18, v18, v4
	v_lshlrev_b32_e32 v4, 29, v17
	v_cmp_gt_i64_e32 vcc, 0, v[3:4]
	v_not_b32_e32 v4, v4
	v_ashrrev_i32_e32 v4, 31, v4
	v_and_b32_e32 v79, v79, v81
	v_xor_b32_e32 v81, vcc_hi, v4
	v_xor_b32_e32 v4, vcc_lo, v4
	v_and_b32_e32 v18, v18, v4
	v_lshlrev_b32_e32 v4, 28, v17
	v_cmp_gt_i64_e32 vcc, 0, v[3:4]
	v_not_b32_e32 v4, v4
	v_ashrrev_i32_e32 v4, 31, v4
	v_and_b32_e32 v79, v79, v81
	;; [unrolled: 8-line block ×5, first 2 shown]
	v_xor_b32_e32 v81, vcc_hi, v4
	v_xor_b32_e32 v4, vcc_lo, v4
	v_and_b32_e32 v79, v79, v81
	v_and_b32_e32 v81, v18, v4
	v_lshlrev_b32_e32 v4, 24, v17
	v_cmp_gt_i64_e32 vcc, 0, v[3:4]
	v_not_b32_e32 v4, v4
	v_ashrrev_i32_e32 v4, 31, v4
	v_mul_u32_u24_e32 v80, 20, v17
	v_xor_b32_e32 v17, vcc_hi, v4
	v_xor_b32_e32 v4, vcc_lo, v4
	v_and_b32_e32 v18, v79, v17
	v_and_b32_e32 v17, v81, v4
	v_mbcnt_lo_u32_b32 v4, v17, 0
	v_mbcnt_hi_u32_b32 v79, v18, v4
	v_cmp_ne_u64_e32 vcc, 0, v[17:18]
	v_cmp_eq_u32_e64 s[38:39], 0, v79
	s_and_b64 s[40:41], vcc, s[38:39]
	v_add_u32_e32 v82, v75, v80
	ds_write2_b32 v56, v3, v3 offset1:1
	ds_write2_b32 v57, v3, v3 offset1:1
	ds_write_b32 v26, v3 offset:1056
	s_waitcnt vmcnt(0) lgkmcnt(0)
	s_barrier
	; wave barrier
	s_and_saveexec_b64 s[38:39], s[40:41]
; %bb.59:                               ;   in Loop: Header=BB916_48 Depth=2
	v_bcnt_u32_b32 v4, v17, 0
	v_bcnt_u32_b32 v4, v18, v4
	ds_write_b32 v82, v4 offset:1040
; %bb.60:                               ;   in Loop: Header=BB916_48 Depth=2
	s_or_b64 exec, exec, s[38:39]
	v_xor_b32_sdwa v80, v15, s59 dst_sel:DWORD dst_unused:UNUSED_PAD src0_sel:WORD_1 src1_sel:DWORD
	v_lshrrev_b32_sdwa v4, s61, v80 dst_sel:DWORD dst_unused:UNUSED_PAD src0_sel:DWORD src1_sel:WORD_0
	v_and_b32_e32 v15, s62, v4
	v_mad_u32_u24 v4, v15, 20, v75
	; wave barrier
	ds_read_b32 v81, v4 offset:1040
	v_and_b32_e32 v4, 1, v15
	v_add_co_u32_e32 v17, vcc, -1, v4
	v_addc_co_u32_e64 v18, s[38:39], 0, -1, vcc
	v_cmp_ne_u32_e32 vcc, 0, v4
	v_xor_b32_e32 v4, vcc_hi, v18
	v_and_b32_e32 v18, exec_hi, v4
	v_lshlrev_b32_e32 v4, 30, v15
	v_xor_b32_e32 v17, vcc_lo, v17
	v_cmp_gt_i64_e32 vcc, 0, v[3:4]
	v_not_b32_e32 v4, v4
	v_ashrrev_i32_e32 v4, 31, v4
	v_and_b32_e32 v17, exec_lo, v17
	v_xor_b32_e32 v83, vcc_hi, v4
	v_xor_b32_e32 v4, vcc_lo, v4
	v_and_b32_e32 v17, v17, v4
	v_lshlrev_b32_e32 v4, 29, v15
	v_cmp_gt_i64_e32 vcc, 0, v[3:4]
	v_not_b32_e32 v4, v4
	v_ashrrev_i32_e32 v4, 31, v4
	v_and_b32_e32 v18, v18, v83
	v_xor_b32_e32 v83, vcc_hi, v4
	v_xor_b32_e32 v4, vcc_lo, v4
	v_and_b32_e32 v17, v17, v4
	v_lshlrev_b32_e32 v4, 28, v15
	v_cmp_gt_i64_e32 vcc, 0, v[3:4]
	v_not_b32_e32 v4, v4
	v_ashrrev_i32_e32 v4, 31, v4
	v_and_b32_e32 v18, v18, v83
	;; [unrolled: 8-line block ×5, first 2 shown]
	v_xor_b32_e32 v83, vcc_hi, v4
	v_xor_b32_e32 v4, vcc_lo, v4
	v_and_b32_e32 v17, v17, v4
	v_lshlrev_b32_e32 v4, 24, v15
	v_cmp_gt_i64_e32 vcc, 0, v[3:4]
	v_not_b32_e32 v4, v4
	v_ashrrev_i32_e32 v4, 31, v4
	v_mul_u32_u24_e32 v84, 20, v15
	v_xor_b32_e32 v15, vcc_hi, v4
	v_xor_b32_e32 v4, vcc_lo, v4
	v_and_b32_e32 v18, v18, v83
	v_and_b32_e32 v17, v17, v4
	;; [unrolled: 1-line block ×3, first 2 shown]
	v_mbcnt_lo_u32_b32 v4, v17, 0
	v_mbcnt_hi_u32_b32 v83, v18, v4
	v_cmp_ne_u64_e32 vcc, 0, v[17:18]
	v_cmp_eq_u32_e64 s[38:39], 0, v83
	s_and_b64 s[40:41], vcc, s[38:39]
	v_add_u32_e32 v86, v75, v84
	; wave barrier
	s_and_saveexec_b64 s[38:39], s[40:41]
	s_cbranch_execz .LBB916_62
; %bb.61:                               ;   in Loop: Header=BB916_48 Depth=2
	v_bcnt_u32_b32 v4, v17, 0
	v_bcnt_u32_b32 v4, v18, v4
	s_waitcnt lgkmcnt(0)
	v_add_u32_e32 v4, v81, v4
	ds_write_b32 v86, v4 offset:1040
.LBB916_62:                             ;   in Loop: Header=BB916_48 Depth=2
	s_or_b64 exec, exec, s[38:39]
	v_xor_b32_e32 v84, 0x7fff, v16
	v_lshrrev_b32_sdwa v4, s61, v84 dst_sel:DWORD dst_unused:UNUSED_PAD src0_sel:DWORD src1_sel:WORD_0
	v_and_b32_e32 v15, s62, v4
	v_mad_u32_u24 v4, v15, 20, v75
	; wave barrier
	ds_read_b32 v85, v4 offset:1040
	v_and_b32_e32 v4, 1, v15
	v_add_co_u32_e32 v17, vcc, -1, v4
	v_addc_co_u32_e64 v18, s[38:39], 0, -1, vcc
	v_cmp_ne_u32_e32 vcc, 0, v4
	v_xor_b32_e32 v4, vcc_hi, v18
	v_and_b32_e32 v18, exec_hi, v4
	v_lshlrev_b32_e32 v4, 30, v15
	v_xor_b32_e32 v17, vcc_lo, v17
	v_cmp_gt_i64_e32 vcc, 0, v[3:4]
	v_not_b32_e32 v4, v4
	v_ashrrev_i32_e32 v4, 31, v4
	v_and_b32_e32 v17, exec_lo, v17
	v_xor_b32_e32 v87, vcc_hi, v4
	v_xor_b32_e32 v4, vcc_lo, v4
	v_and_b32_e32 v17, v17, v4
	v_lshlrev_b32_e32 v4, 29, v15
	v_cmp_gt_i64_e32 vcc, 0, v[3:4]
	v_not_b32_e32 v4, v4
	v_ashrrev_i32_e32 v4, 31, v4
	v_and_b32_e32 v18, v18, v87
	v_xor_b32_e32 v87, vcc_hi, v4
	v_xor_b32_e32 v4, vcc_lo, v4
	v_and_b32_e32 v17, v17, v4
	v_lshlrev_b32_e32 v4, 28, v15
	v_cmp_gt_i64_e32 vcc, 0, v[3:4]
	v_not_b32_e32 v4, v4
	v_ashrrev_i32_e32 v4, 31, v4
	v_and_b32_e32 v18, v18, v87
	v_xor_b32_e32 v87, vcc_hi, v4
	v_xor_b32_e32 v4, vcc_lo, v4
	v_and_b32_e32 v17, v17, v4
	v_lshlrev_b32_e32 v4, 27, v15
	v_cmp_gt_i64_e32 vcc, 0, v[3:4]
	v_not_b32_e32 v4, v4
	v_ashrrev_i32_e32 v4, 31, v4
	v_and_b32_e32 v18, v18, v87
	v_xor_b32_e32 v87, vcc_hi, v4
	v_xor_b32_e32 v4, vcc_lo, v4
	v_and_b32_e32 v17, v17, v4
	v_lshlrev_b32_e32 v4, 26, v15
	v_cmp_gt_i64_e32 vcc, 0, v[3:4]
	v_not_b32_e32 v4, v4
	v_ashrrev_i32_e32 v4, 31, v4
	v_and_b32_e32 v18, v18, v87
	v_xor_b32_e32 v87, vcc_hi, v4
	v_xor_b32_e32 v4, vcc_lo, v4
	v_and_b32_e32 v17, v17, v4
	v_lshlrev_b32_e32 v4, 25, v15
	v_cmp_gt_i64_e32 vcc, 0, v[3:4]
	v_not_b32_e32 v4, v4
	v_ashrrev_i32_e32 v4, 31, v4
	v_and_b32_e32 v18, v18, v87
	v_xor_b32_e32 v87, vcc_hi, v4
	v_xor_b32_e32 v4, vcc_lo, v4
	v_and_b32_e32 v17, v17, v4
	v_lshlrev_b32_e32 v4, 24, v15
	v_cmp_gt_i64_e32 vcc, 0, v[3:4]
	v_not_b32_e32 v4, v4
	v_ashrrev_i32_e32 v4, 31, v4
	v_mul_u32_u24_e32 v88, 20, v15
	v_xor_b32_e32 v15, vcc_hi, v4
	v_xor_b32_e32 v4, vcc_lo, v4
	v_and_b32_e32 v18, v18, v87
	v_and_b32_e32 v17, v17, v4
	;; [unrolled: 1-line block ×3, first 2 shown]
	v_mbcnt_lo_u32_b32 v4, v17, 0
	v_mbcnt_hi_u32_b32 v87, v18, v4
	v_cmp_ne_u64_e32 vcc, 0, v[17:18]
	v_cmp_eq_u32_e64 s[38:39], 0, v87
	s_and_b64 s[40:41], vcc, s[38:39]
	v_add_u32_e32 v90, v75, v88
	; wave barrier
	s_and_saveexec_b64 s[38:39], s[40:41]
	s_cbranch_execz .LBB916_64
; %bb.63:                               ;   in Loop: Header=BB916_48 Depth=2
	v_bcnt_u32_b32 v4, v17, 0
	v_bcnt_u32_b32 v4, v18, v4
	s_waitcnt lgkmcnt(0)
	v_add_u32_e32 v4, v85, v4
	ds_write_b32 v90, v4 offset:1040
.LBB916_64:                             ;   in Loop: Header=BB916_48 Depth=2
	s_or_b64 exec, exec, s[38:39]
	v_xor_b32_sdwa v88, v16, s59 dst_sel:DWORD dst_unused:UNUSED_PAD src0_sel:WORD_1 src1_sel:DWORD
	v_lshrrev_b32_sdwa v4, s61, v88 dst_sel:DWORD dst_unused:UNUSED_PAD src0_sel:DWORD src1_sel:WORD_0
	v_and_b32_e32 v15, s62, v4
	v_mad_u32_u24 v4, v15, 20, v75
	; wave barrier
	ds_read_b32 v89, v4 offset:1040
	v_and_b32_e32 v4, 1, v15
	v_add_co_u32_e32 v16, vcc, -1, v4
	v_addc_co_u32_e64 v18, s[38:39], 0, -1, vcc
	v_cmp_ne_u32_e32 vcc, 0, v4
	v_xor_b32_e32 v4, vcc_hi, v18
	v_and_b32_e32 v18, exec_hi, v4
	v_lshlrev_b32_e32 v4, 30, v15
	v_xor_b32_e32 v16, vcc_lo, v16
	v_cmp_gt_i64_e32 vcc, 0, v[3:4]
	v_not_b32_e32 v4, v4
	v_ashrrev_i32_e32 v4, 31, v4
	v_and_b32_e32 v16, exec_lo, v16
	v_xor_b32_e32 v91, vcc_hi, v4
	v_xor_b32_e32 v4, vcc_lo, v4
	v_and_b32_e32 v16, v16, v4
	v_lshlrev_b32_e32 v4, 29, v15
	v_cmp_gt_i64_e32 vcc, 0, v[3:4]
	v_not_b32_e32 v4, v4
	v_ashrrev_i32_e32 v4, 31, v4
	v_and_b32_e32 v18, v18, v91
	v_xor_b32_e32 v91, vcc_hi, v4
	v_xor_b32_e32 v4, vcc_lo, v4
	v_and_b32_e32 v16, v16, v4
	v_lshlrev_b32_e32 v4, 28, v15
	v_cmp_gt_i64_e32 vcc, 0, v[3:4]
	v_not_b32_e32 v4, v4
	v_ashrrev_i32_e32 v4, 31, v4
	v_and_b32_e32 v18, v18, v91
	;; [unrolled: 8-line block ×5, first 2 shown]
	v_xor_b32_e32 v91, vcc_hi, v4
	v_xor_b32_e32 v4, vcc_lo, v4
	v_and_b32_e32 v18, v18, v91
	v_and_b32_e32 v91, v16, v4
	v_lshlrev_b32_e32 v4, 24, v15
	v_cmp_gt_i64_e32 vcc, 0, v[3:4]
	v_not_b32_e32 v4, v4
	v_ashrrev_i32_e32 v4, 31, v4
	v_mul_u32_u24_e32 v17, 20, v15
	v_xor_b32_e32 v15, vcc_hi, v4
	v_xor_b32_e32 v4, vcc_lo, v4
	v_and_b32_e32 v16, v18, v15
	v_and_b32_e32 v15, v91, v4
	v_mbcnt_lo_u32_b32 v4, v15, 0
	v_mbcnt_hi_u32_b32 v4, v16, v4
	v_cmp_ne_u64_e32 vcc, 0, v[15:16]
	v_cmp_eq_u32_e64 s[38:39], 0, v4
	s_and_b64 s[40:41], vcc, s[38:39]
	v_add_u32_e32 v91, v75, v17
	; wave barrier
	s_and_saveexec_b64 s[38:39], s[40:41]
	s_cbranch_execz .LBB916_66
; %bb.65:                               ;   in Loop: Header=BB916_48 Depth=2
	v_bcnt_u32_b32 v15, v15, 0
	v_bcnt_u32_b32 v15, v16, v15
	s_waitcnt lgkmcnt(0)
	v_add_u32_e32 v15, v89, v15
	ds_write_b32 v91, v15 offset:1040
.LBB916_66:                             ;   in Loop: Header=BB916_48 Depth=2
	s_or_b64 exec, exec, s[38:39]
	; wave barrier
	s_waitcnt lgkmcnt(0)
	s_barrier
	ds_read2_b32 v[17:18], v56 offset1:1
	ds_read2_b32 v[15:16], v57 offset1:1
	ds_read_b32 v92, v26 offset:1056
	s_waitcnt lgkmcnt(1)
	v_add3_u32 v93, v18, v17, v15
	s_waitcnt lgkmcnt(0)
	v_add3_u32 v92, v93, v16, v92
	s_nop 1
	v_mov_b32_dpp v93, v92 row_shr:1 row_mask:0xf bank_mask:0xf
	v_cndmask_b32_e64 v93, v93, 0, s[18:19]
	v_add_u32_e32 v92, v93, v92
	s_nop 1
	v_mov_b32_dpp v93, v92 row_shr:2 row_mask:0xf bank_mask:0xf
	v_cndmask_b32_e64 v93, 0, v93, s[20:21]
	v_add_u32_e32 v92, v92, v93
	;; [unrolled: 4-line block ×4, first 2 shown]
	s_nop 1
	v_mov_b32_dpp v93, v92 row_bcast:15 row_mask:0xf bank_mask:0xf
	v_cndmask_b32_e64 v93, v93, 0, s[26:27]
	v_add_u32_e32 v92, v92, v93
	s_nop 1
	v_mov_b32_dpp v93, v92 row_bcast:31 row_mask:0xf bank_mask:0xf
	v_cndmask_b32_e64 v93, 0, v93, s[28:29]
	v_add_u32_e32 v92, v92, v93
	s_and_saveexec_b64 s[38:39], s[8:9]
; %bb.67:                               ;   in Loop: Header=BB916_48 Depth=2
	ds_write_b32 v25, v92 offset:1024
; %bb.68:                               ;   in Loop: Header=BB916_48 Depth=2
	s_or_b64 exec, exec, s[38:39]
	s_waitcnt lgkmcnt(0)
	s_barrier
	s_and_saveexec_b64 s[38:39], s[10:11]
	s_cbranch_execz .LBB916_70
; %bb.69:                               ;   in Loop: Header=BB916_48 Depth=2
	ds_read_b32 v93, v27 offset:1024
	s_waitcnt lgkmcnt(0)
	s_nop 0
	v_mov_b32_dpp v94, v93 row_shr:1 row_mask:0xf bank_mask:0xf
	v_cndmask_b32_e64 v94, v94, 0, s[34:35]
	v_add_u32_e32 v93, v94, v93
	s_nop 1
	v_mov_b32_dpp v94, v93 row_shr:2 row_mask:0xf bank_mask:0xf
	v_cndmask_b32_e64 v94, 0, v94, s[36:37]
	v_add_u32_e32 v93, v93, v94
	ds_write_b32 v27, v93 offset:1024
.LBB916_70:                             ;   in Loop: Header=BB916_48 Depth=2
	s_or_b64 exec, exec, s[38:39]
	v_mov_b32_e32 v93, 0
	s_waitcnt lgkmcnt(0)
	s_barrier
	s_and_saveexec_b64 s[38:39], s[12:13]
; %bb.71:                               ;   in Loop: Header=BB916_48 Depth=2
	ds_read_b32 v93, v25 offset:1020
; %bb.72:                               ;   in Loop: Header=BB916_48 Depth=2
	s_or_b64 exec, exec, s[38:39]
	s_waitcnt lgkmcnt(0)
	v_add_u32_e32 v92, v93, v92
	ds_bpermute_b32 v92, v68, v92
	s_waitcnt lgkmcnt(0)
	v_cndmask_b32_e64 v92, v92, v93, s[30:31]
	v_cndmask_b32_e64 v92, v92, 0, s[14:15]
	v_add_u32_e32 v17, v92, v17
	v_add_u32_e32 v18, v17, v18
	;; [unrolled: 1-line block ×4, first 2 shown]
	ds_write2_b32 v56, v92, v17 offset1:1
	ds_write2_b32 v57, v18, v15 offset1:1
	ds_write_b32 v26, v16 offset:1056
	s_waitcnt lgkmcnt(0)
	s_barrier
	ds_read_b32 v15, v82 offset:1040
	ds_read_b32 v16, v86 offset:1040
	;; [unrolled: 1-line block ×5, first 2 shown]
	v_mov_b32_e32 v82, 0x400
	s_and_saveexec_b64 s[38:39], s[16:17]
; %bb.73:                               ;   in Loop: Header=BB916_48 Depth=2
	ds_read_b32 v82, v26 offset:1060
; %bb.74:                               ;   in Loop: Header=BB916_48 Depth=2
	s_or_b64 exec, exec, s[38:39]
	s_waitcnt lgkmcnt(0)
	s_barrier
	s_and_saveexec_b64 s[38:39], s[4:5]
	s_cbranch_execz .LBB916_76
; %bb.75:                               ;   in Loop: Header=BB916_48 Depth=2
	ds_read_b32 v90, v19
	s_waitcnt lgkmcnt(0)
	v_sub_u32_e32 v86, v90, v86
	ds_write_b32 v19, v86
.LBB916_76:                             ;   in Loop: Header=BB916_48 Depth=2
	s_or_b64 exec, exec, s[38:39]
	v_add_u32_e32 v86, v15, v79
	v_add3_u32 v83, v83, v81, v16
	v_add3_u32 v81, v87, v85, v17
	v_add3_u32 v79, v4, v89, v18
	v_lshlrev_b32_e32 v16, 1, v86
	ds_write_b16 v16, v6 offset:1024
	v_lshlrev_b32_e32 v15, 1, v83
	v_lshlrev_b32_e32 v6, 1, v81
	;; [unrolled: 1-line block ×3, first 2 shown]
	v_cmp_lt_u32_e32 vcc, v0, v78
	ds_write_b16 v15, v80 offset:1024
	ds_write_b16 v6, v84 offset:1024
	;; [unrolled: 1-line block ×3, first 2 shown]
	s_waitcnt lgkmcnt(0)
	s_barrier
	s_and_saveexec_b64 s[40:41], vcc
	s_cbranch_execnz .LBB916_97
; %bb.77:                               ;   in Loop: Header=BB916_48 Depth=2
	s_or_b64 exec, exec, s[40:41]
	v_cmp_lt_u32_e64 s[38:39], v20, v78
	s_and_saveexec_b64 s[42:43], s[38:39]
	s_cbranch_execnz .LBB916_98
.LBB916_78:                             ;   in Loop: Header=BB916_48 Depth=2
	s_or_b64 exec, exec, s[42:43]
	v_cmp_lt_u32_e64 s[40:41], v49, v78
	s_and_saveexec_b64 s[44:45], s[40:41]
	s_cbranch_execnz .LBB916_99
.LBB916_79:                             ;   in Loop: Header=BB916_48 Depth=2
	s_or_b64 exec, exec, s[44:45]
	v_cmp_lt_u32_e64 s[42:43], v50, v78
	s_and_saveexec_b64 s[54:55], s[42:43]
	s_cbranch_execz .LBB916_81
.LBB916_80:                             ;   in Loop: Header=BB916_48 Depth=2
	ds_read_u16 v17, v32 offset:2560
	v_mov_b32_e32 v84, s51
	s_waitcnt lgkmcnt(0)
	v_lshrrev_b32_sdwa v18, s61, v17 dst_sel:DWORD dst_unused:UNUSED_PAD src0_sel:DWORD src1_sel:WORD_0
	v_and_b32_e32 v18, s62, v18
	v_lshlrev_b32_e32 v18, 2, v18
	ds_read_b32 v80, v18
	v_mov_b32_e32 v18, v3
	v_xor_b32_e32 v85, 0x7fff, v17
	s_waitcnt lgkmcnt(0)
	v_add_u32_e32 v17, v80, v50
	v_lshlrev_b64 v[17:18], 1, v[17:18]
	v_add_co_u32_e64 v17, s[44:45], s50, v17
	v_addc_co_u32_e64 v18, s[44:45], v84, v18, s[44:45]
	global_store_short v[17:18], v85, off
.LBB916_81:                             ;   in Loop: Header=BB916_48 Depth=2
	s_or_b64 exec, exec, s[54:55]
	s_lshl_b64 s[44:45], s[56:57], 3
	v_mov_b32_e32 v18, s45
	v_add_co_u32_e64 v17, s[44:45], s44, v69
	v_addc_co_u32_e64 v18, s[44:45], v70, v18, s[44:45]
	v_cmp_lt_u32_e64 s[44:45], v47, v78
	s_and_saveexec_b64 s[54:55], s[44:45]
	s_xor_b64 s[44:45], exec, s[54:55]
	s_cbranch_execnz .LBB916_100
; %bb.82:                               ;   in Loop: Header=BB916_48 Depth=2
	s_or_b64 exec, exec, s[44:45]
	v_cmp_lt_u32_e64 s[44:45], v64, v78
	s_and_saveexec_b64 s[54:55], s[44:45]
	s_cbranch_execnz .LBB916_101
.LBB916_83:                             ;   in Loop: Header=BB916_48 Depth=2
	s_or_b64 exec, exec, s[54:55]
	v_cmp_lt_u32_e64 s[44:45], v65, v78
	s_and_saveexec_b64 s[54:55], s[44:45]
	s_cbranch_execnz .LBB916_102
.LBB916_84:                             ;   in Loop: Header=BB916_48 Depth=2
	s_or_b64 exec, exec, s[54:55]
	v_cmp_lt_u32_e64 s[44:45], v66, v78
	s_and_saveexec_b64 s[54:55], s[44:45]
	s_cbranch_execnz .LBB916_103
.LBB916_85:                             ;   in Loop: Header=BB916_48 Depth=2
	s_or_b64 exec, exec, s[54:55]
	s_and_saveexec_b64 s[44:45], vcc
	s_cbranch_execnz .LBB916_104
.LBB916_86:                             ;   in Loop: Header=BB916_48 Depth=2
	s_or_b64 exec, exec, s[44:45]
	s_and_saveexec_b64 s[44:45], s[38:39]
	s_cbranch_execnz .LBB916_105
.LBB916_87:                             ;   in Loop: Header=BB916_48 Depth=2
	s_or_b64 exec, exec, s[44:45]
	s_and_saveexec_b64 s[44:45], s[40:41]
	s_cbranch_execnz .LBB916_106
.LBB916_88:                             ;   in Loop: Header=BB916_48 Depth=2
	s_or_b64 exec, exec, s[44:45]
	s_and_saveexec_b64 s[44:45], s[42:43]
	s_cbranch_execz .LBB916_90
.LBB916_89:                             ;   in Loop: Header=BB916_48 Depth=2
	ds_read_u16 v17, v32 offset:2560
	s_waitcnt lgkmcnt(0)
	v_lshrrev_b32_e32 v17, s61, v17
	v_and_b32_e32 v73, s62, v17
.LBB916_90:                             ;   in Loop: Header=BB916_48 Depth=2
	s_or_b64 exec, exec, s[44:45]
	v_mad_u64_u32 v[16:17], s[44:45], v86, 6, v[16:17]
	s_waitcnt vmcnt(0)
	v_mad_u64_u32 v[80:81], s[44:45], v81, 6, v[6:7]
	v_mad_u64_u32 v[17:18], s[44:45], v83, 6, v[15:16]
	;; [unrolled: 1-line block ×3, first 2 shown]
	s_barrier
	ds_write_b64 v16, v[13:14] offset:1024
	ds_write_b64 v17, v[11:12] offset:1024
	;; [unrolled: 1-line block ×4, first 2 shown]
	s_waitcnt lgkmcnt(0)
	s_barrier
	s_and_saveexec_b64 s[44:45], vcc
	s_cbranch_execnz .LBB916_107
; %bb.91:                               ;   in Loop: Header=BB916_48 Depth=2
	s_or_b64 exec, exec, s[44:45]
	s_and_saveexec_b64 s[44:45], s[38:39]
	s_cbranch_execnz .LBB916_108
.LBB916_92:                             ;   in Loop: Header=BB916_48 Depth=2
	s_or_b64 exec, exec, s[44:45]
	s_and_saveexec_b64 s[38:39], s[40:41]
	s_cbranch_execnz .LBB916_109
.LBB916_93:                             ;   in Loop: Header=BB916_48 Depth=2
	s_or_b64 exec, exec, s[38:39]
	s_and_saveexec_b64 s[38:39], s[42:43]
	s_cbranch_execz .LBB916_95
.LBB916_94:                             ;   in Loop: Header=BB916_48 Depth=2
	v_lshlrev_b32_e32 v4, 2, v73
	ds_read_b32 v4, v4
	v_add_u32_e32 v6, v32, v54
	ds_read_b64 v[15:16], v6 offset:7168
	v_mov_b32_e32 v18, v3
	v_mov_b32_e32 v6, s65
	s_waitcnt lgkmcnt(1)
	v_add_u32_e32 v17, v4, v50
	v_lshlrev_b64 v[17:18], 3, v[17:18]
	v_add_co_u32_e32 v17, vcc, s64, v17
	v_addc_co_u32_e32 v18, vcc, v6, v18, vcc
	s_waitcnt lgkmcnt(0)
	global_store_dwordx2 v[17:18], v[15:16], off
.LBB916_95:                             ;   in Loop: Header=BB916_48 Depth=2
	s_or_b64 exec, exec, s[38:39]
	s_waitcnt vmcnt(0)
	s_barrier
	s_and_saveexec_b64 s[38:39], s[4:5]
	s_cbranch_execz .LBB916_47
; %bb.96:                               ;   in Loop: Header=BB916_48 Depth=2
	ds_read_b32 v4, v19
	s_waitcnt lgkmcnt(0)
	v_add_u32_e32 v4, v4, v82
	ds_write_b32 v19, v4
	s_branch .LBB916_47
.LBB916_97:                             ;   in Loop: Header=BB916_48 Depth=2
	ds_read_u16 v17, v32 offset:1024
	v_mov_b32_e32 v84, s51
	s_waitcnt lgkmcnt(0)
	v_lshrrev_b32_sdwa v18, s61, v17 dst_sel:DWORD dst_unused:UNUSED_PAD src0_sel:DWORD src1_sel:WORD_0
	v_and_b32_e32 v18, s62, v18
	v_lshlrev_b32_e32 v18, 2, v18
	ds_read_b32 v80, v18
	v_mov_b32_e32 v18, v3
	v_xor_b32_e32 v85, 0x7fff, v17
	s_waitcnt lgkmcnt(0)
	v_add_u32_e32 v17, v80, v0
	v_lshlrev_b64 v[17:18], 1, v[17:18]
	v_add_co_u32_e64 v17, s[38:39], s50, v17
	v_addc_co_u32_e64 v18, s[38:39], v84, v18, s[38:39]
	global_store_short v[17:18], v85, off
	s_or_b64 exec, exec, s[40:41]
	v_cmp_lt_u32_e64 s[38:39], v20, v78
	s_and_saveexec_b64 s[42:43], s[38:39]
	s_cbranch_execz .LBB916_78
.LBB916_98:                             ;   in Loop: Header=BB916_48 Depth=2
	ds_read_u16 v17, v32 offset:1536
	v_mov_b32_e32 v84, s51
	s_waitcnt lgkmcnt(0)
	v_lshrrev_b32_sdwa v18, s61, v17 dst_sel:DWORD dst_unused:UNUSED_PAD src0_sel:DWORD src1_sel:WORD_0
	v_and_b32_e32 v18, s62, v18
	v_lshlrev_b32_e32 v18, 2, v18
	ds_read_b32 v80, v18
	v_mov_b32_e32 v18, v3
	v_xor_b32_e32 v85, 0x7fff, v17
	s_waitcnt lgkmcnt(0)
	v_add_u32_e32 v17, v80, v20
	v_lshlrev_b64 v[17:18], 1, v[17:18]
	v_add_co_u32_e64 v17, s[40:41], s50, v17
	v_addc_co_u32_e64 v18, s[40:41], v84, v18, s[40:41]
	global_store_short v[17:18], v85, off
	s_or_b64 exec, exec, s[42:43]
	v_cmp_lt_u32_e64 s[40:41], v49, v78
	s_and_saveexec_b64 s[44:45], s[40:41]
	s_cbranch_execz .LBB916_79
.LBB916_99:                             ;   in Loop: Header=BB916_48 Depth=2
	ds_read_u16 v17, v32 offset:2048
	v_mov_b32_e32 v84, s51
	s_waitcnt lgkmcnt(0)
	v_lshrrev_b32_sdwa v18, s61, v17 dst_sel:DWORD dst_unused:UNUSED_PAD src0_sel:DWORD src1_sel:WORD_0
	v_and_b32_e32 v18, s62, v18
	v_lshlrev_b32_e32 v18, 2, v18
	ds_read_b32 v80, v18
	v_mov_b32_e32 v18, v3
	v_xor_b32_e32 v85, 0x7fff, v17
	s_waitcnt lgkmcnt(0)
	v_add_u32_e32 v17, v80, v49
	v_lshlrev_b64 v[17:18], 1, v[17:18]
	v_add_co_u32_e64 v17, s[42:43], s50, v17
	v_addc_co_u32_e64 v18, s[42:43], v84, v18, s[42:43]
	global_store_short v[17:18], v85, off
	s_or_b64 exec, exec, s[44:45]
	v_cmp_lt_u32_e64 s[42:43], v50, v78
	s_and_saveexec_b64 s[54:55], s[42:43]
	s_cbranch_execnz .LBB916_80
	s_branch .LBB916_81
.LBB916_100:                            ;   in Loop: Header=BB916_48 Depth=2
	global_load_dwordx2 v[13:14], v[17:18], off
	s_or_b64 exec, exec, s[44:45]
	v_cmp_lt_u32_e64 s[44:45], v64, v78
	s_and_saveexec_b64 s[54:55], s[44:45]
	s_cbranch_execz .LBB916_83
.LBB916_101:                            ;   in Loop: Header=BB916_48 Depth=2
	global_load_dwordx2 v[11:12], v[17:18], off offset:512
	s_or_b64 exec, exec, s[54:55]
	v_cmp_lt_u32_e64 s[44:45], v65, v78
	s_and_saveexec_b64 s[54:55], s[44:45]
	s_cbranch_execz .LBB916_84
.LBB916_102:                            ;   in Loop: Header=BB916_48 Depth=2
	global_load_dwordx2 v[9:10], v[17:18], off offset:1024
	s_or_b64 exec, exec, s[54:55]
	v_cmp_lt_u32_e64 s[44:45], v66, v78
	s_and_saveexec_b64 s[54:55], s[44:45]
	s_cbranch_execz .LBB916_85
.LBB916_103:                            ;   in Loop: Header=BB916_48 Depth=2
	global_load_dwordx2 v[7:8], v[17:18], off offset:1536
	s_or_b64 exec, exec, s[54:55]
	s_and_saveexec_b64 s[44:45], vcc
	s_cbranch_execz .LBB916_86
.LBB916_104:                            ;   in Loop: Header=BB916_48 Depth=2
	ds_read_u16 v17, v32 offset:1024
	s_waitcnt lgkmcnt(0)
	v_lshrrev_b32_e32 v17, s61, v17
	v_and_b32_e32 v77, s62, v17
	s_or_b64 exec, exec, s[44:45]
	s_and_saveexec_b64 s[44:45], s[38:39]
	s_cbranch_execz .LBB916_87
.LBB916_105:                            ;   in Loop: Header=BB916_48 Depth=2
	ds_read_u16 v17, v32 offset:1536
	s_waitcnt lgkmcnt(0)
	v_lshrrev_b32_e32 v17, s61, v17
	v_and_b32_e32 v76, s62, v17
	s_or_b64 exec, exec, s[44:45]
	s_and_saveexec_b64 s[44:45], s[40:41]
	s_cbranch_execz .LBB916_88
.LBB916_106:                            ;   in Loop: Header=BB916_48 Depth=2
	ds_read_u16 v17, v32 offset:2048
	s_waitcnt lgkmcnt(0)
	v_lshrrev_b32_e32 v17, s61, v17
	v_and_b32_e32 v74, s62, v17
	s_or_b64 exec, exec, s[44:45]
	s_and_saveexec_b64 s[44:45], s[42:43]
	s_cbranch_execnz .LBB916_89
	s_branch .LBB916_90
.LBB916_107:                            ;   in Loop: Header=BB916_48 Depth=2
	v_lshlrev_b32_e32 v4, 2, v77
	ds_read_b32 v4, v4
	v_add_u32_e32 v6, v32, v54
	ds_read_b64 v[15:16], v6 offset:1024
	v_mov_b32_e32 v18, v3
	v_mov_b32_e32 v6, s65
	s_waitcnt lgkmcnt(1)
	v_add_u32_e32 v17, v4, v0
	v_lshlrev_b64 v[17:18], 3, v[17:18]
	v_add_co_u32_e32 v17, vcc, s64, v17
	v_addc_co_u32_e32 v18, vcc, v6, v18, vcc
	s_waitcnt lgkmcnt(0)
	global_store_dwordx2 v[17:18], v[15:16], off
	s_or_b64 exec, exec, s[44:45]
	s_and_saveexec_b64 s[44:45], s[38:39]
	s_cbranch_execz .LBB916_92
.LBB916_108:                            ;   in Loop: Header=BB916_48 Depth=2
	v_lshlrev_b32_e32 v4, 2, v76
	ds_read_b32 v4, v4
	v_add_u32_e32 v6, v32, v54
	ds_read_b64 v[15:16], v6 offset:3072
	v_mov_b32_e32 v18, v3
	v_mov_b32_e32 v6, s65
	s_waitcnt lgkmcnt(1)
	v_add_u32_e32 v17, v4, v20
	v_lshlrev_b64 v[17:18], 3, v[17:18]
	v_add_co_u32_e32 v17, vcc, s64, v17
	v_addc_co_u32_e32 v18, vcc, v6, v18, vcc
	s_waitcnt lgkmcnt(0)
	global_store_dwordx2 v[17:18], v[15:16], off
	s_or_b64 exec, exec, s[44:45]
	s_and_saveexec_b64 s[38:39], s[40:41]
	s_cbranch_execz .LBB916_93
.LBB916_109:                            ;   in Loop: Header=BB916_48 Depth=2
	v_lshlrev_b32_e32 v4, 2, v74
	ds_read_b32 v4, v4
	v_add_u32_e32 v6, v32, v54
	ds_read_b64 v[15:16], v6 offset:5120
	v_mov_b32_e32 v18, v3
	v_mov_b32_e32 v6, s65
	s_waitcnt lgkmcnt(1)
	v_add_u32_e32 v17, v4, v49
	v_lshlrev_b64 v[17:18], 3, v[17:18]
	v_add_co_u32_e32 v17, vcc, s64, v17
	v_addc_co_u32_e32 v18, vcc, v6, v18, vcc
	s_waitcnt lgkmcnt(0)
	global_store_dwordx2 v[17:18], v[15:16], off
	s_or_b64 exec, exec, s[38:39]
	s_and_saveexec_b64 s[38:39], s[42:43]
	s_cbranch_execnz .LBB916_94
	s_branch .LBB916_95
.LBB916_110:                            ;   in Loop: Header=BB916_48 Depth=2
	global_load_ushort v4, v[17:18], off
	v_mov_b32_e32 v16, v5
	s_waitcnt vmcnt(0)
	v_perm_b32 v15, s60, v4, v67
	s_or_b64 exec, exec, s[38:39]
	v_cmp_gt_u32_e32 vcc, s63, v64
	s_and_saveexec_b64 s[38:39], vcc
	s_cbranch_execz .LBB916_53
.LBB916_111:                            ;   in Loop: Header=BB916_48 Depth=2
	global_load_ushort v4, v[17:18], off offset:128
	s_waitcnt vmcnt(0)
	v_perm_b32 v15, v4, v15, s7
	s_or_b64 exec, exec, s[38:39]
	v_cmp_gt_u32_e32 vcc, s63, v65
	s_and_saveexec_b64 s[38:39], vcc
	s_cbranch_execnz .LBB916_54
	s_branch .LBB916_55
.LBB916_112:                            ;   in Loop: Header=BB916_12 Depth=1
	s_waitcnt lgkmcnt(0)
	s_barrier
	s_mov_b64 s[18:19], 0
.LBB916_113:                            ;   in Loop: Header=BB916_12 Depth=1
	s_and_b64 vcc, exec, s[18:19]
	s_cbranch_vccz .LBB916_213
; %bb.114:                              ;   in Loop: Header=BB916_12 Depth=1
	v_mov_b32_e32 v4, v3
	v_mov_b32_e32 v7, v4
	s_mov_b32 s22, s71
	s_mov_b32 s56, s74
	v_mov_b32_e32 v6, v3
	s_barrier
	s_branch .LBB916_116
.LBB916_115:                            ;   in Loop: Header=BB916_116 Depth=2
	s_or_b64 exec, exec, s[18:19]
	s_addk_i32 s22, 0xfc00
	s_cmp_ge_u32 s23, s75
	s_mov_b32 s56, s23
	s_cbranch_scc1 .LBB916_136
.LBB916_116:                            ;   Parent Loop BB916_12 Depth=1
                                        ; =>  This Inner Loop Header: Depth=2
	s_add_i32 s23, s56, 0x400
	s_cmp_gt_u32 s23, s75
	s_mov_b64 s[18:19], -1
                                        ; implicit-def: $vgpr8_vgpr9
	s_cbranch_scc1 .LBB916_118
; %bb.117:                              ;   in Loop: Header=BB916_116 Depth=2
	s_lshl_b64 s[18:19], s[56:57], 1
	v_mov_b32_e32 v4, s19
	v_add_co_u32_e32 v8, vcc, s18, v33
	v_addc_co_u32_e32 v9, vcc, v34, v4, vcc
	global_load_ushort v4, v[8:9], off
	global_load_ushort v10, v[8:9], off offset:1024
	global_load_ushort v11, v[8:9], off offset:1536
	global_load_ushort v12, v[8:9], off offset:512
	s_mov_b64 s[18:19], 0
	s_waitcnt vmcnt(1)
	v_perm_b32 v9, v11, v10, s7
	s_waitcnt vmcnt(0)
	v_perm_b32 v8, v12, v4, s7
.LBB916_118:                            ;   in Loop: Header=BB916_116 Depth=2
	s_andn2_b64 vcc, exec, s[18:19]
	s_movk_i32 s20, 0x400
	s_cbranch_vccnz .LBB916_125
; %bb.119:                              ;   in Loop: Header=BB916_116 Depth=2
	s_lshl_b64 s[18:19], s[56:57], 1
	s_add_u32 s18, s50, s18
	s_addc_u32 s19, s51, s19
	v_cmp_gt_u32_e32 vcc, s22, v0
	s_and_saveexec_b64 s[20:21], vcc
	s_cbranch_execnz .LBB916_133
; %bb.120:                              ;   in Loop: Header=BB916_116 Depth=2
	s_or_b64 exec, exec, s[20:21]
	v_cmp_gt_u32_e32 vcc, s22, v20
	s_and_saveexec_b64 s[20:21], vcc
	s_cbranch_execnz .LBB916_134
.LBB916_121:                            ;   in Loop: Header=BB916_116 Depth=2
	s_or_b64 exec, exec, s[20:21]
	v_cmp_gt_u32_e32 vcc, s22, v49
	s_and_saveexec_b64 s[20:21], vcc
	s_cbranch_execnz .LBB916_135
.LBB916_122:                            ;   in Loop: Header=BB916_116 Depth=2
	s_or_b64 exec, exec, s[20:21]
	v_cmp_gt_u32_e32 vcc, s22, v50
	s_and_saveexec_b64 s[20:21], vcc
	s_cbranch_execz .LBB916_124
.LBB916_123:                            ;   in Loop: Header=BB916_116 Depth=2
	global_load_ushort v4, v58, s[18:19] offset:1536
	s_waitcnt vmcnt(0)
	v_perm_b32 v7, v4, v7, s7
.LBB916_124:                            ;   in Loop: Header=BB916_116 Depth=2
	s_or_b64 exec, exec, s[20:21]
	v_mov_b32_e32 v9, v7
	s_mov_b32 s20, s22
	v_mov_b32_e32 v8, v6
.LBB916_125:                            ;   in Loop: Header=BB916_116 Depth=2
	v_mov_b32_e32 v6, v8
	v_mov_b32_e32 v7, v9
	v_cmp_gt_u32_e32 vcc, s20, v0
	s_and_saveexec_b64 s[18:19], vcc
	s_cbranch_execnz .LBB916_129
; %bb.126:                              ;   in Loop: Header=BB916_116 Depth=2
	s_or_b64 exec, exec, s[18:19]
	v_cmp_gt_u32_e32 vcc, s20, v20
	s_and_saveexec_b64 s[18:19], vcc
	s_cbranch_execnz .LBB916_130
.LBB916_127:                            ;   in Loop: Header=BB916_116 Depth=2
	s_or_b64 exec, exec, s[18:19]
	v_cmp_gt_u32_e32 vcc, s20, v49
	s_and_saveexec_b64 s[18:19], vcc
	s_cbranch_execnz .LBB916_131
.LBB916_128:                            ;   in Loop: Header=BB916_116 Depth=2
	s_or_b64 exec, exec, s[18:19]
	v_cmp_gt_u32_e32 vcc, s20, v50
	s_and_saveexec_b64 s[18:19], vcc
	s_cbranch_execz .LBB916_115
	s_branch .LBB916_132
.LBB916_129:                            ;   in Loop: Header=BB916_116 Depth=2
	v_xor_b32_e32 v4, 0x7fff, v6
	v_lshrrev_b32_sdwa v4, s61, v4 dst_sel:DWORD dst_unused:UNUSED_PAD src0_sel:DWORD src1_sel:WORD_0
	v_and_b32_e32 v4, s62, v4
	v_lshl_or_b32 v4, v4, 4, v23
	ds_add_u32 v4, v55
	s_or_b64 exec, exec, s[18:19]
	v_cmp_gt_u32_e32 vcc, s20, v20
	s_and_saveexec_b64 s[18:19], vcc
	s_cbranch_execz .LBB916_127
.LBB916_130:                            ;   in Loop: Header=BB916_116 Depth=2
	v_xor_b32_sdwa v4, v6, s59 dst_sel:DWORD dst_unused:UNUSED_PAD src0_sel:WORD_1 src1_sel:DWORD
	v_lshrrev_b32_sdwa v4, s61, v4 dst_sel:DWORD dst_unused:UNUSED_PAD src0_sel:DWORD src1_sel:WORD_0
	v_and_b32_e32 v4, s62, v4
	v_lshl_or_b32 v4, v4, 4, v23
	ds_add_u32 v4, v55
	s_or_b64 exec, exec, s[18:19]
	v_cmp_gt_u32_e32 vcc, s20, v49
	s_and_saveexec_b64 s[18:19], vcc
	s_cbranch_execz .LBB916_128
.LBB916_131:                            ;   in Loop: Header=BB916_116 Depth=2
	v_xor_b32_e32 v4, 0x7fff, v7
	v_lshrrev_b32_sdwa v4, s61, v4 dst_sel:DWORD dst_unused:UNUSED_PAD src0_sel:DWORD src1_sel:WORD_0
	v_and_b32_e32 v4, s62, v4
	v_lshl_or_b32 v4, v4, 4, v23
	ds_add_u32 v4, v55
	s_or_b64 exec, exec, s[18:19]
	v_cmp_gt_u32_e32 vcc, s20, v50
	s_and_saveexec_b64 s[18:19], vcc
	s_cbranch_execz .LBB916_115
.LBB916_132:                            ;   in Loop: Header=BB916_116 Depth=2
	v_xor_b32_sdwa v4, v7, s59 dst_sel:DWORD dst_unused:UNUSED_PAD src0_sel:WORD_1 src1_sel:DWORD
	v_lshrrev_b32_sdwa v4, s61, v4 dst_sel:DWORD dst_unused:UNUSED_PAD src0_sel:DWORD src1_sel:WORD_0
	v_and_b32_e32 v4, s62, v4
	v_lshl_or_b32 v4, v4, 4, v23
	ds_add_u32 v4, v55
	s_branch .LBB916_115
.LBB916_133:                            ;   in Loop: Header=BB916_116 Depth=2
	global_load_ushort v4, v58, s[18:19]
	s_waitcnt vmcnt(0)
	v_bfi_b32 v6, s58, v4, v6
	s_or_b64 exec, exec, s[20:21]
	v_cmp_gt_u32_e32 vcc, s22, v20
	s_and_saveexec_b64 s[20:21], vcc
	s_cbranch_execz .LBB916_121
.LBB916_134:                            ;   in Loop: Header=BB916_116 Depth=2
	global_load_ushort v4, v58, s[18:19] offset:512
	s_waitcnt vmcnt(0)
	v_perm_b32 v6, v4, v6, s7
	s_or_b64 exec, exec, s[20:21]
	v_cmp_gt_u32_e32 vcc, s22, v49
	s_and_saveexec_b64 s[20:21], vcc
	s_cbranch_execz .LBB916_122
.LBB916_135:                            ;   in Loop: Header=BB916_116 Depth=2
	global_load_ushort v4, v58, s[18:19] offset:1024
	s_waitcnt vmcnt(0)
	v_bfi_b32 v7, s58, v4, v7
	s_or_b64 exec, exec, s[20:21]
	v_cmp_gt_u32_e32 vcc, s22, v50
	s_and_saveexec_b64 s[20:21], vcc
	s_cbranch_execnz .LBB916_123
	s_branch .LBB916_124
.LBB916_136:                            ;   in Loop: Header=BB916_12 Depth=1
	v_mov_b32_e32 v4, 0
	s_waitcnt lgkmcnt(0)
	s_barrier
	s_and_saveexec_b64 s[18:19], s[4:5]
	s_cbranch_execz .LBB916_138
; %bb.137:                              ;   in Loop: Header=BB916_12 Depth=1
	ds_read2_b64 v[6:9], v24 offset1:1
	s_waitcnt lgkmcnt(0)
	v_add_u32_e32 v4, v7, v6
	v_add3_u32 v4, v4, v8, v9
.LBB916_138:                            ;   in Loop: Header=BB916_12 Depth=1
	s_or_b64 exec, exec, s[18:19]
	s_nop 0
	v_mov_b32_dpp v6, v4 row_shr:1 row_mask:0xf bank_mask:0xf
	v_cmp_eq_u32_e64 s[18:19], 0, v59
	v_cndmask_b32_e64 v6, v6, 0, s[18:19]
	v_add_u32_e32 v4, v6, v4
	v_cmp_lt_u32_e64 s[20:21], 1, v59
	v_cmp_lt_u32_e64 s[22:23], 3, v59
	v_mov_b32_dpp v6, v4 row_shr:2 row_mask:0xf bank_mask:0xf
	v_cndmask_b32_e64 v6, 0, v6, s[20:21]
	v_add_u32_e32 v4, v4, v6
	v_cmp_lt_u32_e64 s[24:25], 7, v59
	v_cmp_lt_u32_e64 s[28:29], 31, v45
	v_mov_b32_dpp v6, v4 row_shr:4 row_mask:0xf bank_mask:0xf
	v_cndmask_b32_e64 v6, 0, v6, s[22:23]
	v_add_u32_e32 v4, v4, v6
	v_cmp_eq_u32_e64 s[26:27], 0, v61
	s_nop 0
	v_mov_b32_dpp v6, v4 row_shr:8 row_mask:0xf bank_mask:0xf
	v_cndmask_b32_e64 v6, 0, v6, s[24:25]
	v_add_u32_e32 v4, v4, v6
	s_nop 1
	v_mov_b32_dpp v6, v4 row_bcast:15 row_mask:0xf bank_mask:0xf
	v_and_b32_e32 v6, v60, v6
	v_add_u32_e32 v4, v4, v6
	s_nop 1
	v_mov_b32_dpp v6, v4 row_bcast:31 row_mask:0xf bank_mask:0xf
	v_cndmask_b32_e64 v6, 0, v6, s[28:29]
	v_add_u32_e32 v4, v4, v6
	s_and_saveexec_b64 s[30:31], s[8:9]
; %bb.139:                              ;   in Loop: Header=BB916_12 Depth=1
	ds_write_b32 v51, v4
; %bb.140:                              ;   in Loop: Header=BB916_12 Depth=1
	s_or_b64 exec, exec, s[30:31]
	s_waitcnt lgkmcnt(0)
	s_barrier
	s_and_saveexec_b64 s[30:31], s[10:11]
	s_cbranch_execz .LBB916_142
; %bb.141:                              ;   in Loop: Header=BB916_12 Depth=1
	ds_read_b32 v6, v52
	v_cmp_ne_u32_e32 vcc, 0, v62
	s_waitcnt lgkmcnt(0)
	v_mov_b32_dpp v7, v6 row_shr:1 row_mask:0xf bank_mask:0xf
	v_cndmask_b32_e32 v7, 0, v7, vcc
	v_add_u32_e32 v6, v7, v6
	v_cmp_lt_u32_e32 vcc, 1, v62
	s_nop 0
	v_mov_b32_dpp v7, v6 row_shr:2 row_mask:0xf bank_mask:0xf
	v_cndmask_b32_e32 v7, 0, v7, vcc
	v_add_u32_e32 v6, v6, v7
	ds_write_b32 v52, v6
.LBB916_142:                            ;   in Loop: Header=BB916_12 Depth=1
	s_or_b64 exec, exec, s[30:31]
	v_mov_b32_e32 v6, 0
	s_waitcnt lgkmcnt(0)
	s_barrier
	s_and_saveexec_b64 s[30:31], s[12:13]
; %bb.143:                              ;   in Loop: Header=BB916_12 Depth=1
	ds_read_b32 v6, v53
; %bb.144:                              ;   in Loop: Header=BB916_12 Depth=1
	s_or_b64 exec, exec, s[30:31]
	v_subrev_co_u32_e64 v7, s[30:31], 1, v45
	v_cmp_lt_i32_e32 vcc, v7, v63
	v_cndmask_b32_e32 v7, v7, v45, vcc
	s_waitcnt lgkmcnt(0)
	v_add_u32_e32 v4, v6, v4
	v_lshlrev_b32_e32 v68, 2, v7
	ds_bpermute_b32 v4, v68, v4
	s_waitcnt lgkmcnt(0)
	s_barrier
	s_and_saveexec_b64 s[34:35], s[4:5]
; %bb.145:                              ;   in Loop: Header=BB916_12 Depth=1
	v_cndmask_b32_e64 v4, v4, v6, s[30:31]
	v_add_u32_e32 v4, s74, v4
	ds_write_b32 v19, v4
; %bb.146:                              ;   in Loop: Header=BB916_12 Depth=1
	s_or_b64 exec, exec, s[34:35]
	s_load_dwordx2 s[34:35], s[46:47], 0x0
	v_add_co_u32_e32 v69, vcc, v35, v46
	v_addc_co_u32_e32 v70, vcc, 0, v36, vcc
	s_waitcnt lgkmcnt(0)
	s_cmp_lt_u32 s33, s35
	s_cselect_b32 s35, 14, 20
	s_add_u32 s36, s46, s35
	s_addc_u32 s37, s47, 0
	s_cmp_lt_u32 s6, s34
	s_cselect_b32 s34, 12, 18
	s_add_u32 s34, s46, s34
	global_load_ushort v4, v3, s[36:37]
	s_addc_u32 s35, s47, 0
	global_load_ushort v6, v3, s[34:35]
	v_add_co_u32_e32 v71, vcc, v37, v48
	v_cmp_eq_u32_e64 s[34:35], 0, v62
	v_cmp_lt_u32_e64 s[36:37], 1, v62
	v_addc_co_u32_e32 v72, vcc, 0, v38, vcc
	s_mov_b32 s63, s71
	s_mov_b32 s56, s74
                                        ; implicit-def: $vgpr9_vgpr10
                                        ; implicit-def: $vgpr11_vgpr12
                                        ; implicit-def: $vgpr13_vgpr14
                                        ; implicit-def: $vgpr73
                                        ; implicit-def: $vgpr74
                                        ; implicit-def: $vgpr76
                                        ; implicit-def: $vgpr77
	s_waitcnt vmcnt(1)
	v_mad_u32_u24 v4, v2, v4, v1
	s_waitcnt vmcnt(0)
	v_mad_u64_u32 v[6:7], s[38:39], v4, v6, v[0:1]
                                        ; implicit-def: $vgpr7_vgpr8
	v_lshrrev_b32_e32 v4, 4, v6
	v_and_b32_e32 v75, 0xffffffc, v4
	s_branch .LBB916_148
.LBB916_147:                            ;   in Loop: Header=BB916_148 Depth=2
	s_or_b64 exec, exec, s[38:39]
	s_addk_i32 s63, 0xfc00
	s_cmp_lt_u32 s68, s75
	s_mov_b32 s56, s68
	s_cbranch_scc0 .LBB916_212
.LBB916_148:                            ;   Parent Loop BB916_12 Depth=1
                                        ; =>  This Inner Loop Header: Depth=2
	s_add_i32 s68, s56, 0x400
	s_cmp_gt_u32 s68, s75
	s_cbranch_scc1 .LBB916_150
; %bb.149:                              ;   in Loop: Header=BB916_148 Depth=2
	s_lshl_b64 s[38:39], s[56:57], 1
	v_mov_b32_e32 v4, s39
	v_add_co_u32_e32 v15, vcc, s38, v71
	v_addc_co_u32_e32 v16, vcc, v72, v4, vcc
	global_load_ushort v4, v[15:16], off
	global_load_ushort v6, v[15:16], off offset:128
	s_nop 0
	global_load_ushort v16, v[15:16], off offset:256
	s_mov_b64 s[38:39], -1
	s_waitcnt vmcnt(1)
	v_perm_b32 v15, v6, v4, s7
	s_movk_i32 s42, 0x400
	s_cbranch_execz .LBB916_151
	s_branch .LBB916_156
.LBB916_150:                            ;   in Loop: Header=BB916_148 Depth=2
	s_mov_b64 s[38:39], 0
                                        ; implicit-def: $vgpr15_vgpr16
	s_movk_i32 s42, 0x400
.LBB916_151:                            ;   in Loop: Header=BB916_148 Depth=2
	s_lshl_b64 s[38:39], s[56:57], 1
	v_mov_b32_e32 v4, s39
	v_add_co_u32_e32 v17, vcc, s38, v71
	v_mov_b32_e32 v6, v5
	v_addc_co_u32_e32 v18, vcc, v72, v4, vcc
	s_waitcnt vmcnt(0)
	v_mov_b32_e32 v16, v6
	v_cmp_gt_u32_e32 vcc, s63, v47
	v_mov_b32_e32 v15, v5
	s_and_saveexec_b64 s[38:39], vcc
	s_cbranch_execnz .LBB916_210
; %bb.152:                              ;   in Loop: Header=BB916_148 Depth=2
	s_or_b64 exec, exec, s[38:39]
	v_cmp_gt_u32_e32 vcc, s63, v64
	s_and_saveexec_b64 s[38:39], vcc
	s_cbranch_execnz .LBB916_211
.LBB916_153:                            ;   in Loop: Header=BB916_148 Depth=2
	s_or_b64 exec, exec, s[38:39]
	v_cmp_gt_u32_e32 vcc, s63, v65
	s_and_saveexec_b64 s[38:39], vcc
	s_cbranch_execz .LBB916_155
.LBB916_154:                            ;   in Loop: Header=BB916_148 Depth=2
	global_load_ushort v4, v[17:18], off offset:256
	s_waitcnt vmcnt(0)
	v_bfi_b32 v16, s58, v4, v16
.LBB916_155:                            ;   in Loop: Header=BB916_148 Depth=2
	s_or_b64 exec, exec, s[38:39]
	s_sub_i32 s42, s75, s56
	v_cmp_gt_u32_e64 s[38:39], s63, v66
.LBB916_156:                            ;   in Loop: Header=BB916_148 Depth=2
	v_mov_b32_e32 v78, s63
	s_and_saveexec_b64 s[40:41], s[38:39]
	s_cbranch_execz .LBB916_158
; %bb.157:                              ;   in Loop: Header=BB916_148 Depth=2
	s_lshl_b64 s[38:39], s[56:57], 1
	v_mov_b32_e32 v4, s39
	v_add_co_u32_e32 v17, vcc, s38, v71
	v_addc_co_u32_e32 v18, vcc, v72, v4, vcc
	global_load_ushort v4, v[17:18], off offset:384
	v_mov_b32_e32 v78, s42
	s_waitcnt vmcnt(0)
	v_perm_b32 v16, v4, v16, s7
.LBB916_158:                            ;   in Loop: Header=BB916_148 Depth=2
	s_or_b64 exec, exec, s[40:41]
	v_xor_b32_e32 v6, 0x7fff, v15
	v_lshrrev_b32_sdwa v4, s61, v6 dst_sel:DWORD dst_unused:UNUSED_PAD src0_sel:DWORD src1_sel:WORD_0
	v_and_b32_e32 v17, s62, v4
	v_and_b32_e32 v4, 1, v17
	v_add_co_u32_e32 v18, vcc, -1, v4
	v_addc_co_u32_e64 v79, s[38:39], 0, -1, vcc
	v_cmp_ne_u32_e32 vcc, 0, v4
	v_xor_b32_e32 v4, vcc_hi, v79
	v_and_b32_e32 v79, exec_hi, v4
	v_lshlrev_b32_e32 v4, 30, v17
	v_xor_b32_e32 v18, vcc_lo, v18
	v_cmp_gt_i64_e32 vcc, 0, v[3:4]
	v_not_b32_e32 v4, v4
	v_ashrrev_i32_e32 v4, 31, v4
	v_and_b32_e32 v18, exec_lo, v18
	v_xor_b32_e32 v81, vcc_hi, v4
	v_xor_b32_e32 v4, vcc_lo, v4
	v_and_b32_e32 v18, v18, v4
	v_lshlrev_b32_e32 v4, 29, v17
	v_cmp_gt_i64_e32 vcc, 0, v[3:4]
	v_not_b32_e32 v4, v4
	v_ashrrev_i32_e32 v4, 31, v4
	v_and_b32_e32 v79, v79, v81
	v_xor_b32_e32 v81, vcc_hi, v4
	v_xor_b32_e32 v4, vcc_lo, v4
	v_and_b32_e32 v18, v18, v4
	v_lshlrev_b32_e32 v4, 28, v17
	v_cmp_gt_i64_e32 vcc, 0, v[3:4]
	v_not_b32_e32 v4, v4
	v_ashrrev_i32_e32 v4, 31, v4
	v_and_b32_e32 v79, v79, v81
	;; [unrolled: 8-line block ×5, first 2 shown]
	v_xor_b32_e32 v81, vcc_hi, v4
	v_xor_b32_e32 v4, vcc_lo, v4
	v_and_b32_e32 v79, v79, v81
	v_and_b32_e32 v81, v18, v4
	v_lshlrev_b32_e32 v4, 24, v17
	v_cmp_gt_i64_e32 vcc, 0, v[3:4]
	v_not_b32_e32 v4, v4
	v_ashrrev_i32_e32 v4, 31, v4
	v_mul_u32_u24_e32 v80, 20, v17
	v_xor_b32_e32 v17, vcc_hi, v4
	v_xor_b32_e32 v4, vcc_lo, v4
	v_and_b32_e32 v18, v79, v17
	v_and_b32_e32 v17, v81, v4
	v_mbcnt_lo_u32_b32 v4, v17, 0
	v_mbcnt_hi_u32_b32 v79, v18, v4
	v_cmp_ne_u64_e32 vcc, 0, v[17:18]
	v_cmp_eq_u32_e64 s[38:39], 0, v79
	s_and_b64 s[40:41], vcc, s[38:39]
	v_add_u32_e32 v82, v75, v80
	ds_write2_b32 v56, v3, v3 offset1:1
	ds_write2_b32 v57, v3, v3 offset1:1
	ds_write_b32 v26, v3 offset:1056
	s_waitcnt vmcnt(0) lgkmcnt(0)
	s_barrier
	; wave barrier
	s_and_saveexec_b64 s[38:39], s[40:41]
; %bb.159:                              ;   in Loop: Header=BB916_148 Depth=2
	v_bcnt_u32_b32 v4, v17, 0
	v_bcnt_u32_b32 v4, v18, v4
	ds_write_b32 v82, v4 offset:1040
; %bb.160:                              ;   in Loop: Header=BB916_148 Depth=2
	s_or_b64 exec, exec, s[38:39]
	v_xor_b32_sdwa v80, v15, s59 dst_sel:DWORD dst_unused:UNUSED_PAD src0_sel:WORD_1 src1_sel:DWORD
	v_lshrrev_b32_sdwa v4, s61, v80 dst_sel:DWORD dst_unused:UNUSED_PAD src0_sel:DWORD src1_sel:WORD_0
	v_and_b32_e32 v15, s62, v4
	v_mad_u32_u24 v4, v15, 20, v75
	; wave barrier
	ds_read_b32 v81, v4 offset:1040
	v_and_b32_e32 v4, 1, v15
	v_add_co_u32_e32 v17, vcc, -1, v4
	v_addc_co_u32_e64 v18, s[38:39], 0, -1, vcc
	v_cmp_ne_u32_e32 vcc, 0, v4
	v_xor_b32_e32 v4, vcc_hi, v18
	v_and_b32_e32 v18, exec_hi, v4
	v_lshlrev_b32_e32 v4, 30, v15
	v_xor_b32_e32 v17, vcc_lo, v17
	v_cmp_gt_i64_e32 vcc, 0, v[3:4]
	v_not_b32_e32 v4, v4
	v_ashrrev_i32_e32 v4, 31, v4
	v_and_b32_e32 v17, exec_lo, v17
	v_xor_b32_e32 v83, vcc_hi, v4
	v_xor_b32_e32 v4, vcc_lo, v4
	v_and_b32_e32 v17, v17, v4
	v_lshlrev_b32_e32 v4, 29, v15
	v_cmp_gt_i64_e32 vcc, 0, v[3:4]
	v_not_b32_e32 v4, v4
	v_ashrrev_i32_e32 v4, 31, v4
	v_and_b32_e32 v18, v18, v83
	v_xor_b32_e32 v83, vcc_hi, v4
	v_xor_b32_e32 v4, vcc_lo, v4
	v_and_b32_e32 v17, v17, v4
	v_lshlrev_b32_e32 v4, 28, v15
	v_cmp_gt_i64_e32 vcc, 0, v[3:4]
	v_not_b32_e32 v4, v4
	v_ashrrev_i32_e32 v4, 31, v4
	v_and_b32_e32 v18, v18, v83
	;; [unrolled: 8-line block ×5, first 2 shown]
	v_xor_b32_e32 v83, vcc_hi, v4
	v_xor_b32_e32 v4, vcc_lo, v4
	v_and_b32_e32 v17, v17, v4
	v_lshlrev_b32_e32 v4, 24, v15
	v_cmp_gt_i64_e32 vcc, 0, v[3:4]
	v_not_b32_e32 v4, v4
	v_ashrrev_i32_e32 v4, 31, v4
	v_mul_u32_u24_e32 v84, 20, v15
	v_xor_b32_e32 v15, vcc_hi, v4
	v_xor_b32_e32 v4, vcc_lo, v4
	v_and_b32_e32 v18, v18, v83
	v_and_b32_e32 v17, v17, v4
	;; [unrolled: 1-line block ×3, first 2 shown]
	v_mbcnt_lo_u32_b32 v4, v17, 0
	v_mbcnt_hi_u32_b32 v83, v18, v4
	v_cmp_ne_u64_e32 vcc, 0, v[17:18]
	v_cmp_eq_u32_e64 s[38:39], 0, v83
	s_and_b64 s[40:41], vcc, s[38:39]
	v_add_u32_e32 v86, v75, v84
	; wave barrier
	s_and_saveexec_b64 s[38:39], s[40:41]
	s_cbranch_execz .LBB916_162
; %bb.161:                              ;   in Loop: Header=BB916_148 Depth=2
	v_bcnt_u32_b32 v4, v17, 0
	v_bcnt_u32_b32 v4, v18, v4
	s_waitcnt lgkmcnt(0)
	v_add_u32_e32 v4, v81, v4
	ds_write_b32 v86, v4 offset:1040
.LBB916_162:                            ;   in Loop: Header=BB916_148 Depth=2
	s_or_b64 exec, exec, s[38:39]
	v_xor_b32_e32 v84, 0x7fff, v16
	v_lshrrev_b32_sdwa v4, s61, v84 dst_sel:DWORD dst_unused:UNUSED_PAD src0_sel:DWORD src1_sel:WORD_0
	v_and_b32_e32 v15, s62, v4
	v_mad_u32_u24 v4, v15, 20, v75
	; wave barrier
	ds_read_b32 v85, v4 offset:1040
	v_and_b32_e32 v4, 1, v15
	v_add_co_u32_e32 v17, vcc, -1, v4
	v_addc_co_u32_e64 v18, s[38:39], 0, -1, vcc
	v_cmp_ne_u32_e32 vcc, 0, v4
	v_xor_b32_e32 v4, vcc_hi, v18
	v_and_b32_e32 v18, exec_hi, v4
	v_lshlrev_b32_e32 v4, 30, v15
	v_xor_b32_e32 v17, vcc_lo, v17
	v_cmp_gt_i64_e32 vcc, 0, v[3:4]
	v_not_b32_e32 v4, v4
	v_ashrrev_i32_e32 v4, 31, v4
	v_and_b32_e32 v17, exec_lo, v17
	v_xor_b32_e32 v87, vcc_hi, v4
	v_xor_b32_e32 v4, vcc_lo, v4
	v_and_b32_e32 v17, v17, v4
	v_lshlrev_b32_e32 v4, 29, v15
	v_cmp_gt_i64_e32 vcc, 0, v[3:4]
	v_not_b32_e32 v4, v4
	v_ashrrev_i32_e32 v4, 31, v4
	v_and_b32_e32 v18, v18, v87
	v_xor_b32_e32 v87, vcc_hi, v4
	v_xor_b32_e32 v4, vcc_lo, v4
	v_and_b32_e32 v17, v17, v4
	v_lshlrev_b32_e32 v4, 28, v15
	v_cmp_gt_i64_e32 vcc, 0, v[3:4]
	v_not_b32_e32 v4, v4
	v_ashrrev_i32_e32 v4, 31, v4
	v_and_b32_e32 v18, v18, v87
	v_xor_b32_e32 v87, vcc_hi, v4
	v_xor_b32_e32 v4, vcc_lo, v4
	v_and_b32_e32 v17, v17, v4
	v_lshlrev_b32_e32 v4, 27, v15
	v_cmp_gt_i64_e32 vcc, 0, v[3:4]
	v_not_b32_e32 v4, v4
	v_ashrrev_i32_e32 v4, 31, v4
	v_and_b32_e32 v18, v18, v87
	v_xor_b32_e32 v87, vcc_hi, v4
	v_xor_b32_e32 v4, vcc_lo, v4
	v_and_b32_e32 v17, v17, v4
	v_lshlrev_b32_e32 v4, 26, v15
	v_cmp_gt_i64_e32 vcc, 0, v[3:4]
	v_not_b32_e32 v4, v4
	v_ashrrev_i32_e32 v4, 31, v4
	v_and_b32_e32 v18, v18, v87
	v_xor_b32_e32 v87, vcc_hi, v4
	v_xor_b32_e32 v4, vcc_lo, v4
	v_and_b32_e32 v17, v17, v4
	v_lshlrev_b32_e32 v4, 25, v15
	v_cmp_gt_i64_e32 vcc, 0, v[3:4]
	v_not_b32_e32 v4, v4
	v_ashrrev_i32_e32 v4, 31, v4
	v_and_b32_e32 v18, v18, v87
	v_xor_b32_e32 v87, vcc_hi, v4
	v_xor_b32_e32 v4, vcc_lo, v4
	v_and_b32_e32 v17, v17, v4
	v_lshlrev_b32_e32 v4, 24, v15
	v_cmp_gt_i64_e32 vcc, 0, v[3:4]
	v_not_b32_e32 v4, v4
	v_ashrrev_i32_e32 v4, 31, v4
	v_mul_u32_u24_e32 v88, 20, v15
	v_xor_b32_e32 v15, vcc_hi, v4
	v_xor_b32_e32 v4, vcc_lo, v4
	v_and_b32_e32 v18, v18, v87
	v_and_b32_e32 v17, v17, v4
	v_and_b32_e32 v18, v18, v15
	v_mbcnt_lo_u32_b32 v4, v17, 0
	v_mbcnt_hi_u32_b32 v87, v18, v4
	v_cmp_ne_u64_e32 vcc, 0, v[17:18]
	v_cmp_eq_u32_e64 s[38:39], 0, v87
	s_and_b64 s[40:41], vcc, s[38:39]
	v_add_u32_e32 v90, v75, v88
	; wave barrier
	s_and_saveexec_b64 s[38:39], s[40:41]
	s_cbranch_execz .LBB916_164
; %bb.163:                              ;   in Loop: Header=BB916_148 Depth=2
	v_bcnt_u32_b32 v4, v17, 0
	v_bcnt_u32_b32 v4, v18, v4
	s_waitcnt lgkmcnt(0)
	v_add_u32_e32 v4, v85, v4
	ds_write_b32 v90, v4 offset:1040
.LBB916_164:                            ;   in Loop: Header=BB916_148 Depth=2
	s_or_b64 exec, exec, s[38:39]
	v_xor_b32_sdwa v88, v16, s59 dst_sel:DWORD dst_unused:UNUSED_PAD src0_sel:WORD_1 src1_sel:DWORD
	v_lshrrev_b32_sdwa v4, s61, v88 dst_sel:DWORD dst_unused:UNUSED_PAD src0_sel:DWORD src1_sel:WORD_0
	v_and_b32_e32 v15, s62, v4
	v_mad_u32_u24 v4, v15, 20, v75
	; wave barrier
	ds_read_b32 v89, v4 offset:1040
	v_and_b32_e32 v4, 1, v15
	v_add_co_u32_e32 v16, vcc, -1, v4
	v_addc_co_u32_e64 v18, s[38:39], 0, -1, vcc
	v_cmp_ne_u32_e32 vcc, 0, v4
	v_xor_b32_e32 v4, vcc_hi, v18
	v_and_b32_e32 v18, exec_hi, v4
	v_lshlrev_b32_e32 v4, 30, v15
	v_xor_b32_e32 v16, vcc_lo, v16
	v_cmp_gt_i64_e32 vcc, 0, v[3:4]
	v_not_b32_e32 v4, v4
	v_ashrrev_i32_e32 v4, 31, v4
	v_and_b32_e32 v16, exec_lo, v16
	v_xor_b32_e32 v91, vcc_hi, v4
	v_xor_b32_e32 v4, vcc_lo, v4
	v_and_b32_e32 v16, v16, v4
	v_lshlrev_b32_e32 v4, 29, v15
	v_cmp_gt_i64_e32 vcc, 0, v[3:4]
	v_not_b32_e32 v4, v4
	v_ashrrev_i32_e32 v4, 31, v4
	v_and_b32_e32 v18, v18, v91
	v_xor_b32_e32 v91, vcc_hi, v4
	v_xor_b32_e32 v4, vcc_lo, v4
	v_and_b32_e32 v16, v16, v4
	v_lshlrev_b32_e32 v4, 28, v15
	v_cmp_gt_i64_e32 vcc, 0, v[3:4]
	v_not_b32_e32 v4, v4
	v_ashrrev_i32_e32 v4, 31, v4
	v_and_b32_e32 v18, v18, v91
	;; [unrolled: 8-line block ×5, first 2 shown]
	v_xor_b32_e32 v91, vcc_hi, v4
	v_xor_b32_e32 v4, vcc_lo, v4
	v_and_b32_e32 v18, v18, v91
	v_and_b32_e32 v91, v16, v4
	v_lshlrev_b32_e32 v4, 24, v15
	v_cmp_gt_i64_e32 vcc, 0, v[3:4]
	v_not_b32_e32 v4, v4
	v_ashrrev_i32_e32 v4, 31, v4
	v_mul_u32_u24_e32 v17, 20, v15
	v_xor_b32_e32 v15, vcc_hi, v4
	v_xor_b32_e32 v4, vcc_lo, v4
	v_and_b32_e32 v16, v18, v15
	v_and_b32_e32 v15, v91, v4
	v_mbcnt_lo_u32_b32 v4, v15, 0
	v_mbcnt_hi_u32_b32 v4, v16, v4
	v_cmp_ne_u64_e32 vcc, 0, v[15:16]
	v_cmp_eq_u32_e64 s[38:39], 0, v4
	s_and_b64 s[40:41], vcc, s[38:39]
	v_add_u32_e32 v91, v75, v17
	; wave barrier
	s_and_saveexec_b64 s[38:39], s[40:41]
	s_cbranch_execz .LBB916_166
; %bb.165:                              ;   in Loop: Header=BB916_148 Depth=2
	v_bcnt_u32_b32 v15, v15, 0
	v_bcnt_u32_b32 v15, v16, v15
	s_waitcnt lgkmcnt(0)
	v_add_u32_e32 v15, v89, v15
	ds_write_b32 v91, v15 offset:1040
.LBB916_166:                            ;   in Loop: Header=BB916_148 Depth=2
	s_or_b64 exec, exec, s[38:39]
	; wave barrier
	s_waitcnt lgkmcnt(0)
	s_barrier
	ds_read2_b32 v[17:18], v56 offset1:1
	ds_read2_b32 v[15:16], v57 offset1:1
	ds_read_b32 v92, v26 offset:1056
	s_waitcnt lgkmcnt(1)
	v_add3_u32 v93, v18, v17, v15
	s_waitcnt lgkmcnt(0)
	v_add3_u32 v92, v93, v16, v92
	s_nop 1
	v_mov_b32_dpp v93, v92 row_shr:1 row_mask:0xf bank_mask:0xf
	v_cndmask_b32_e64 v93, v93, 0, s[18:19]
	v_add_u32_e32 v92, v93, v92
	s_nop 1
	v_mov_b32_dpp v93, v92 row_shr:2 row_mask:0xf bank_mask:0xf
	v_cndmask_b32_e64 v93, 0, v93, s[20:21]
	v_add_u32_e32 v92, v92, v93
	;; [unrolled: 4-line block ×4, first 2 shown]
	s_nop 1
	v_mov_b32_dpp v93, v92 row_bcast:15 row_mask:0xf bank_mask:0xf
	v_cndmask_b32_e64 v93, v93, 0, s[26:27]
	v_add_u32_e32 v92, v92, v93
	s_nop 1
	v_mov_b32_dpp v93, v92 row_bcast:31 row_mask:0xf bank_mask:0xf
	v_cndmask_b32_e64 v93, 0, v93, s[28:29]
	v_add_u32_e32 v92, v92, v93
	s_and_saveexec_b64 s[38:39], s[8:9]
; %bb.167:                              ;   in Loop: Header=BB916_148 Depth=2
	ds_write_b32 v25, v92 offset:1024
; %bb.168:                              ;   in Loop: Header=BB916_148 Depth=2
	s_or_b64 exec, exec, s[38:39]
	s_waitcnt lgkmcnt(0)
	s_barrier
	s_and_saveexec_b64 s[38:39], s[10:11]
	s_cbranch_execz .LBB916_170
; %bb.169:                              ;   in Loop: Header=BB916_148 Depth=2
	ds_read_b32 v93, v27 offset:1024
	s_waitcnt lgkmcnt(0)
	s_nop 0
	v_mov_b32_dpp v94, v93 row_shr:1 row_mask:0xf bank_mask:0xf
	v_cndmask_b32_e64 v94, v94, 0, s[34:35]
	v_add_u32_e32 v93, v94, v93
	s_nop 1
	v_mov_b32_dpp v94, v93 row_shr:2 row_mask:0xf bank_mask:0xf
	v_cndmask_b32_e64 v94, 0, v94, s[36:37]
	v_add_u32_e32 v93, v93, v94
	ds_write_b32 v27, v93 offset:1024
.LBB916_170:                            ;   in Loop: Header=BB916_148 Depth=2
	s_or_b64 exec, exec, s[38:39]
	v_mov_b32_e32 v93, 0
	s_waitcnt lgkmcnt(0)
	s_barrier
	s_and_saveexec_b64 s[38:39], s[12:13]
; %bb.171:                              ;   in Loop: Header=BB916_148 Depth=2
	ds_read_b32 v93, v25 offset:1020
; %bb.172:                              ;   in Loop: Header=BB916_148 Depth=2
	s_or_b64 exec, exec, s[38:39]
	s_waitcnt lgkmcnt(0)
	v_add_u32_e32 v92, v93, v92
	ds_bpermute_b32 v92, v68, v92
	s_waitcnt lgkmcnt(0)
	v_cndmask_b32_e64 v92, v92, v93, s[30:31]
	v_cndmask_b32_e64 v92, v92, 0, s[14:15]
	v_add_u32_e32 v17, v92, v17
	v_add_u32_e32 v18, v17, v18
	;; [unrolled: 1-line block ×4, first 2 shown]
	ds_write2_b32 v56, v92, v17 offset1:1
	ds_write2_b32 v57, v18, v15 offset1:1
	ds_write_b32 v26, v16 offset:1056
	s_waitcnt lgkmcnt(0)
	s_barrier
	ds_read_b32 v15, v82 offset:1040
	ds_read_b32 v16, v86 offset:1040
	;; [unrolled: 1-line block ×5, first 2 shown]
	v_mov_b32_e32 v82, 0x400
	s_and_saveexec_b64 s[38:39], s[16:17]
; %bb.173:                              ;   in Loop: Header=BB916_148 Depth=2
	ds_read_b32 v82, v26 offset:1060
; %bb.174:                              ;   in Loop: Header=BB916_148 Depth=2
	s_or_b64 exec, exec, s[38:39]
	s_waitcnt lgkmcnt(0)
	s_barrier
	s_and_saveexec_b64 s[38:39], s[4:5]
	s_cbranch_execz .LBB916_176
; %bb.175:                              ;   in Loop: Header=BB916_148 Depth=2
	ds_read_b32 v90, v19
	s_waitcnt lgkmcnt(0)
	v_sub_u32_e32 v86, v90, v86
	ds_write_b32 v19, v86
.LBB916_176:                            ;   in Loop: Header=BB916_148 Depth=2
	s_or_b64 exec, exec, s[38:39]
	v_add_u32_e32 v86, v15, v79
	v_add3_u32 v83, v83, v81, v16
	v_add3_u32 v81, v87, v85, v17
	;; [unrolled: 1-line block ×3, first 2 shown]
	v_lshlrev_b32_e32 v16, 1, v86
	ds_write_b16 v16, v6 offset:1024
	v_lshlrev_b32_e32 v15, 1, v83
	v_lshlrev_b32_e32 v6, 1, v81
	;; [unrolled: 1-line block ×3, first 2 shown]
	v_cmp_lt_u32_e32 vcc, v0, v78
	ds_write_b16 v15, v80 offset:1024
	ds_write_b16 v6, v84 offset:1024
	;; [unrolled: 1-line block ×3, first 2 shown]
	s_waitcnt lgkmcnt(0)
	s_barrier
	s_and_saveexec_b64 s[40:41], vcc
	s_cbranch_execnz .LBB916_197
; %bb.177:                              ;   in Loop: Header=BB916_148 Depth=2
	s_or_b64 exec, exec, s[40:41]
	v_cmp_lt_u32_e64 s[38:39], v20, v78
	s_and_saveexec_b64 s[42:43], s[38:39]
	s_cbranch_execnz .LBB916_198
.LBB916_178:                            ;   in Loop: Header=BB916_148 Depth=2
	s_or_b64 exec, exec, s[42:43]
	v_cmp_lt_u32_e64 s[40:41], v49, v78
	s_and_saveexec_b64 s[44:45], s[40:41]
	s_cbranch_execnz .LBB916_199
.LBB916_179:                            ;   in Loop: Header=BB916_148 Depth=2
	s_or_b64 exec, exec, s[44:45]
	v_cmp_lt_u32_e64 s[42:43], v50, v78
	s_and_saveexec_b64 s[54:55], s[42:43]
	s_cbranch_execz .LBB916_181
.LBB916_180:                            ;   in Loop: Header=BB916_148 Depth=2
	ds_read_u16 v17, v32 offset:2560
	v_mov_b32_e32 v84, s53
	s_waitcnt lgkmcnt(0)
	v_lshrrev_b32_sdwa v18, s61, v17 dst_sel:DWORD dst_unused:UNUSED_PAD src0_sel:DWORD src1_sel:WORD_0
	v_and_b32_e32 v18, s62, v18
	v_lshlrev_b32_e32 v18, 2, v18
	ds_read_b32 v80, v18
	v_mov_b32_e32 v18, v3
	v_xor_b32_e32 v85, 0x7fff, v17
	s_waitcnt lgkmcnt(0)
	v_add_u32_e32 v17, v80, v50
	v_lshlrev_b64 v[17:18], 1, v[17:18]
	v_add_co_u32_e64 v17, s[44:45], s52, v17
	v_addc_co_u32_e64 v18, s[44:45], v84, v18, s[44:45]
	global_store_short v[17:18], v85, off
.LBB916_181:                            ;   in Loop: Header=BB916_148 Depth=2
	s_or_b64 exec, exec, s[54:55]
	s_lshl_b64 s[44:45], s[56:57], 3
	v_mov_b32_e32 v18, s45
	v_add_co_u32_e64 v17, s[44:45], s44, v69
	v_addc_co_u32_e64 v18, s[44:45], v70, v18, s[44:45]
	v_cmp_lt_u32_e64 s[44:45], v47, v78
	s_and_saveexec_b64 s[54:55], s[44:45]
	s_xor_b64 s[44:45], exec, s[54:55]
	s_cbranch_execnz .LBB916_200
; %bb.182:                              ;   in Loop: Header=BB916_148 Depth=2
	s_or_b64 exec, exec, s[44:45]
	v_cmp_lt_u32_e64 s[44:45], v64, v78
	s_and_saveexec_b64 s[54:55], s[44:45]
	s_cbranch_execnz .LBB916_201
.LBB916_183:                            ;   in Loop: Header=BB916_148 Depth=2
	s_or_b64 exec, exec, s[54:55]
	v_cmp_lt_u32_e64 s[44:45], v65, v78
	s_and_saveexec_b64 s[54:55], s[44:45]
	s_cbranch_execnz .LBB916_202
.LBB916_184:                            ;   in Loop: Header=BB916_148 Depth=2
	s_or_b64 exec, exec, s[54:55]
	v_cmp_lt_u32_e64 s[44:45], v66, v78
	s_and_saveexec_b64 s[54:55], s[44:45]
	s_cbranch_execnz .LBB916_203
.LBB916_185:                            ;   in Loop: Header=BB916_148 Depth=2
	s_or_b64 exec, exec, s[54:55]
	s_and_saveexec_b64 s[44:45], vcc
	s_cbranch_execnz .LBB916_204
.LBB916_186:                            ;   in Loop: Header=BB916_148 Depth=2
	s_or_b64 exec, exec, s[44:45]
	s_and_saveexec_b64 s[44:45], s[38:39]
	s_cbranch_execnz .LBB916_205
.LBB916_187:                            ;   in Loop: Header=BB916_148 Depth=2
	s_or_b64 exec, exec, s[44:45]
	s_and_saveexec_b64 s[44:45], s[40:41]
	s_cbranch_execnz .LBB916_206
.LBB916_188:                            ;   in Loop: Header=BB916_148 Depth=2
	s_or_b64 exec, exec, s[44:45]
	s_and_saveexec_b64 s[44:45], s[42:43]
	s_cbranch_execz .LBB916_190
.LBB916_189:                            ;   in Loop: Header=BB916_148 Depth=2
	ds_read_u16 v17, v32 offset:2560
	s_waitcnt lgkmcnt(0)
	v_lshrrev_b32_e32 v17, s61, v17
	v_and_b32_e32 v73, s62, v17
.LBB916_190:                            ;   in Loop: Header=BB916_148 Depth=2
	s_or_b64 exec, exec, s[44:45]
	v_mad_u64_u32 v[16:17], s[44:45], v86, 6, v[16:17]
	s_waitcnt vmcnt(0)
	v_mad_u64_u32 v[80:81], s[44:45], v81, 6, v[6:7]
	v_mad_u64_u32 v[17:18], s[44:45], v83, 6, v[15:16]
	;; [unrolled: 1-line block ×3, first 2 shown]
	s_barrier
	ds_write_b64 v16, v[13:14] offset:1024
	ds_write_b64 v17, v[11:12] offset:1024
	;; [unrolled: 1-line block ×4, first 2 shown]
	s_waitcnt lgkmcnt(0)
	s_barrier
	s_and_saveexec_b64 s[44:45], vcc
	s_cbranch_execnz .LBB916_207
; %bb.191:                              ;   in Loop: Header=BB916_148 Depth=2
	s_or_b64 exec, exec, s[44:45]
	s_and_saveexec_b64 s[44:45], s[38:39]
	s_cbranch_execnz .LBB916_208
.LBB916_192:                            ;   in Loop: Header=BB916_148 Depth=2
	s_or_b64 exec, exec, s[44:45]
	s_and_saveexec_b64 s[38:39], s[40:41]
	s_cbranch_execnz .LBB916_209
.LBB916_193:                            ;   in Loop: Header=BB916_148 Depth=2
	s_or_b64 exec, exec, s[38:39]
	s_and_saveexec_b64 s[38:39], s[42:43]
	s_cbranch_execz .LBB916_195
.LBB916_194:                            ;   in Loop: Header=BB916_148 Depth=2
	v_lshlrev_b32_e32 v4, 2, v73
	ds_read_b32 v4, v4
	v_add_u32_e32 v6, v32, v54
	ds_read_b64 v[15:16], v6 offset:7168
	v_mov_b32_e32 v18, v3
	v_mov_b32_e32 v6, s67
	s_waitcnt lgkmcnt(1)
	v_add_u32_e32 v17, v4, v50
	v_lshlrev_b64 v[17:18], 3, v[17:18]
	v_add_co_u32_e32 v17, vcc, s66, v17
	v_addc_co_u32_e32 v18, vcc, v6, v18, vcc
	s_waitcnt lgkmcnt(0)
	global_store_dwordx2 v[17:18], v[15:16], off
.LBB916_195:                            ;   in Loop: Header=BB916_148 Depth=2
	s_or_b64 exec, exec, s[38:39]
	s_waitcnt vmcnt(0)
	s_barrier
	s_and_saveexec_b64 s[38:39], s[4:5]
	s_cbranch_execz .LBB916_147
; %bb.196:                              ;   in Loop: Header=BB916_148 Depth=2
	ds_read_b32 v4, v19
	s_waitcnt lgkmcnt(0)
	v_add_u32_e32 v4, v4, v82
	ds_write_b32 v19, v4
	s_branch .LBB916_147
.LBB916_197:                            ;   in Loop: Header=BB916_148 Depth=2
	ds_read_u16 v17, v32 offset:1024
	v_mov_b32_e32 v84, s53
	s_waitcnt lgkmcnt(0)
	v_lshrrev_b32_sdwa v18, s61, v17 dst_sel:DWORD dst_unused:UNUSED_PAD src0_sel:DWORD src1_sel:WORD_0
	v_and_b32_e32 v18, s62, v18
	v_lshlrev_b32_e32 v18, 2, v18
	ds_read_b32 v80, v18
	v_mov_b32_e32 v18, v3
	v_xor_b32_e32 v85, 0x7fff, v17
	s_waitcnt lgkmcnt(0)
	v_add_u32_e32 v17, v80, v0
	v_lshlrev_b64 v[17:18], 1, v[17:18]
	v_add_co_u32_e64 v17, s[38:39], s52, v17
	v_addc_co_u32_e64 v18, s[38:39], v84, v18, s[38:39]
	global_store_short v[17:18], v85, off
	s_or_b64 exec, exec, s[40:41]
	v_cmp_lt_u32_e64 s[38:39], v20, v78
	s_and_saveexec_b64 s[42:43], s[38:39]
	s_cbranch_execz .LBB916_178
.LBB916_198:                            ;   in Loop: Header=BB916_148 Depth=2
	ds_read_u16 v17, v32 offset:1536
	v_mov_b32_e32 v84, s53
	s_waitcnt lgkmcnt(0)
	v_lshrrev_b32_sdwa v18, s61, v17 dst_sel:DWORD dst_unused:UNUSED_PAD src0_sel:DWORD src1_sel:WORD_0
	v_and_b32_e32 v18, s62, v18
	v_lshlrev_b32_e32 v18, 2, v18
	ds_read_b32 v80, v18
	v_mov_b32_e32 v18, v3
	v_xor_b32_e32 v85, 0x7fff, v17
	s_waitcnt lgkmcnt(0)
	v_add_u32_e32 v17, v80, v20
	v_lshlrev_b64 v[17:18], 1, v[17:18]
	v_add_co_u32_e64 v17, s[40:41], s52, v17
	v_addc_co_u32_e64 v18, s[40:41], v84, v18, s[40:41]
	global_store_short v[17:18], v85, off
	s_or_b64 exec, exec, s[42:43]
	v_cmp_lt_u32_e64 s[40:41], v49, v78
	s_and_saveexec_b64 s[44:45], s[40:41]
	s_cbranch_execz .LBB916_179
.LBB916_199:                            ;   in Loop: Header=BB916_148 Depth=2
	ds_read_u16 v17, v32 offset:2048
	v_mov_b32_e32 v84, s53
	s_waitcnt lgkmcnt(0)
	v_lshrrev_b32_sdwa v18, s61, v17 dst_sel:DWORD dst_unused:UNUSED_PAD src0_sel:DWORD src1_sel:WORD_0
	v_and_b32_e32 v18, s62, v18
	v_lshlrev_b32_e32 v18, 2, v18
	ds_read_b32 v80, v18
	v_mov_b32_e32 v18, v3
	v_xor_b32_e32 v85, 0x7fff, v17
	s_waitcnt lgkmcnt(0)
	v_add_u32_e32 v17, v80, v49
	v_lshlrev_b64 v[17:18], 1, v[17:18]
	v_add_co_u32_e64 v17, s[42:43], s52, v17
	v_addc_co_u32_e64 v18, s[42:43], v84, v18, s[42:43]
	global_store_short v[17:18], v85, off
	s_or_b64 exec, exec, s[44:45]
	v_cmp_lt_u32_e64 s[42:43], v50, v78
	s_and_saveexec_b64 s[54:55], s[42:43]
	s_cbranch_execnz .LBB916_180
	s_branch .LBB916_181
.LBB916_200:                            ;   in Loop: Header=BB916_148 Depth=2
	global_load_dwordx2 v[13:14], v[17:18], off
	s_or_b64 exec, exec, s[44:45]
	v_cmp_lt_u32_e64 s[44:45], v64, v78
	s_and_saveexec_b64 s[54:55], s[44:45]
	s_cbranch_execz .LBB916_183
.LBB916_201:                            ;   in Loop: Header=BB916_148 Depth=2
	global_load_dwordx2 v[11:12], v[17:18], off offset:512
	s_or_b64 exec, exec, s[54:55]
	v_cmp_lt_u32_e64 s[44:45], v65, v78
	s_and_saveexec_b64 s[54:55], s[44:45]
	s_cbranch_execz .LBB916_184
.LBB916_202:                            ;   in Loop: Header=BB916_148 Depth=2
	global_load_dwordx2 v[9:10], v[17:18], off offset:1024
	s_or_b64 exec, exec, s[54:55]
	v_cmp_lt_u32_e64 s[44:45], v66, v78
	s_and_saveexec_b64 s[54:55], s[44:45]
	s_cbranch_execz .LBB916_185
.LBB916_203:                            ;   in Loop: Header=BB916_148 Depth=2
	global_load_dwordx2 v[7:8], v[17:18], off offset:1536
	s_or_b64 exec, exec, s[54:55]
	s_and_saveexec_b64 s[44:45], vcc
	s_cbranch_execz .LBB916_186
.LBB916_204:                            ;   in Loop: Header=BB916_148 Depth=2
	ds_read_u16 v17, v32 offset:1024
	s_waitcnt lgkmcnt(0)
	v_lshrrev_b32_e32 v17, s61, v17
	v_and_b32_e32 v77, s62, v17
	s_or_b64 exec, exec, s[44:45]
	s_and_saveexec_b64 s[44:45], s[38:39]
	s_cbranch_execz .LBB916_187
.LBB916_205:                            ;   in Loop: Header=BB916_148 Depth=2
	ds_read_u16 v17, v32 offset:1536
	s_waitcnt lgkmcnt(0)
	v_lshrrev_b32_e32 v17, s61, v17
	v_and_b32_e32 v76, s62, v17
	s_or_b64 exec, exec, s[44:45]
	s_and_saveexec_b64 s[44:45], s[40:41]
	s_cbranch_execz .LBB916_188
.LBB916_206:                            ;   in Loop: Header=BB916_148 Depth=2
	ds_read_u16 v17, v32 offset:2048
	s_waitcnt lgkmcnt(0)
	v_lshrrev_b32_e32 v17, s61, v17
	v_and_b32_e32 v74, s62, v17
	s_or_b64 exec, exec, s[44:45]
	s_and_saveexec_b64 s[44:45], s[42:43]
	s_cbranch_execnz .LBB916_189
	s_branch .LBB916_190
.LBB916_207:                            ;   in Loop: Header=BB916_148 Depth=2
	v_lshlrev_b32_e32 v4, 2, v77
	ds_read_b32 v4, v4
	v_add_u32_e32 v6, v32, v54
	ds_read_b64 v[15:16], v6 offset:1024
	v_mov_b32_e32 v18, v3
	v_mov_b32_e32 v6, s67
	s_waitcnt lgkmcnt(1)
	v_add_u32_e32 v17, v4, v0
	v_lshlrev_b64 v[17:18], 3, v[17:18]
	v_add_co_u32_e32 v17, vcc, s66, v17
	v_addc_co_u32_e32 v18, vcc, v6, v18, vcc
	s_waitcnt lgkmcnt(0)
	global_store_dwordx2 v[17:18], v[15:16], off
	s_or_b64 exec, exec, s[44:45]
	s_and_saveexec_b64 s[44:45], s[38:39]
	s_cbranch_execz .LBB916_192
.LBB916_208:                            ;   in Loop: Header=BB916_148 Depth=2
	v_lshlrev_b32_e32 v4, 2, v76
	ds_read_b32 v4, v4
	v_add_u32_e32 v6, v32, v54
	ds_read_b64 v[15:16], v6 offset:3072
	v_mov_b32_e32 v18, v3
	v_mov_b32_e32 v6, s67
	s_waitcnt lgkmcnt(1)
	v_add_u32_e32 v17, v4, v20
	v_lshlrev_b64 v[17:18], 3, v[17:18]
	v_add_co_u32_e32 v17, vcc, s66, v17
	v_addc_co_u32_e32 v18, vcc, v6, v18, vcc
	s_waitcnt lgkmcnt(0)
	global_store_dwordx2 v[17:18], v[15:16], off
	s_or_b64 exec, exec, s[44:45]
	s_and_saveexec_b64 s[38:39], s[40:41]
	s_cbranch_execz .LBB916_193
.LBB916_209:                            ;   in Loop: Header=BB916_148 Depth=2
	v_lshlrev_b32_e32 v4, 2, v74
	ds_read_b32 v4, v4
	v_add_u32_e32 v6, v32, v54
	ds_read_b64 v[15:16], v6 offset:5120
	v_mov_b32_e32 v18, v3
	v_mov_b32_e32 v6, s67
	s_waitcnt lgkmcnt(1)
	v_add_u32_e32 v17, v4, v49
	v_lshlrev_b64 v[17:18], 3, v[17:18]
	v_add_co_u32_e32 v17, vcc, s66, v17
	v_addc_co_u32_e32 v18, vcc, v6, v18, vcc
	s_waitcnt lgkmcnt(0)
	global_store_dwordx2 v[17:18], v[15:16], off
	s_or_b64 exec, exec, s[38:39]
	s_and_saveexec_b64 s[38:39], s[42:43]
	s_cbranch_execnz .LBB916_194
	s_branch .LBB916_195
.LBB916_210:                            ;   in Loop: Header=BB916_148 Depth=2
	global_load_ushort v4, v[17:18], off
	v_mov_b32_e32 v16, v5
	s_waitcnt vmcnt(0)
	v_perm_b32 v15, s60, v4, v67
	s_or_b64 exec, exec, s[38:39]
	v_cmp_gt_u32_e32 vcc, s63, v64
	s_and_saveexec_b64 s[38:39], vcc
	s_cbranch_execz .LBB916_153
.LBB916_211:                            ;   in Loop: Header=BB916_148 Depth=2
	global_load_ushort v4, v[17:18], off offset:128
	s_waitcnt vmcnt(0)
	v_perm_b32 v15, v4, v15, s7
	s_or_b64 exec, exec, s[38:39]
	v_cmp_gt_u32_e32 vcc, s63, v65
	s_and_saveexec_b64 s[38:39], vcc
	s_cbranch_execnz .LBB916_154
	s_branch .LBB916_155
.LBB916_212:                            ;   in Loop: Header=BB916_12 Depth=1
	s_waitcnt lgkmcnt(0)
	s_barrier
.LBB916_213:                            ;   in Loop: Header=BB916_12 Depth=1
	s_mov_b64 s[18:19], 0
.LBB916_214:                            ;   in Loop: Header=BB916_12 Depth=1
	s_andn2_b64 vcc, exec, s[18:19]
	s_cbranch_vccnz .LBB916_11
; %bb.215:                              ;   in Loop: Header=BB916_12 Depth=1
	s_mov_b64 s[18:19], -1
	s_and_b64 vcc, exec, s[72:73]
	s_cbranch_vccz .LBB916_315
; %bb.216:                              ;   in Loop: Header=BB916_12 Depth=1
	v_mov_b32_e32 v4, v3
	v_mov_b32_e32 v7, v4
	s_mov_b32 s22, s71
	s_mov_b32 s56, s74
	v_mov_b32_e32 v6, v3
	s_barrier
	s_branch .LBB916_218
.LBB916_217:                            ;   in Loop: Header=BB916_218 Depth=2
	s_or_b64 exec, exec, s[18:19]
	s_addk_i32 s22, 0xfc00
	s_cmp_ge_u32 s23, s75
	s_mov_b32 s56, s23
	s_cbranch_scc1 .LBB916_238
.LBB916_218:                            ;   Parent Loop BB916_12 Depth=1
                                        ; =>  This Inner Loop Header: Depth=2
	s_add_i32 s23, s56, 0x400
	s_cmp_gt_u32 s23, s75
	s_mov_b64 s[18:19], -1
                                        ; implicit-def: $vgpr8_vgpr9
	s_cbranch_scc1 .LBB916_220
; %bb.219:                              ;   in Loop: Header=BB916_218 Depth=2
	s_lshl_b64 s[18:19], s[56:57], 1
	v_mov_b32_e32 v4, s19
	v_add_co_u32_e32 v8, vcc, s18, v39
	v_addc_co_u32_e32 v9, vcc, v40, v4, vcc
	global_load_ushort v4, v[8:9], off
	global_load_ushort v10, v[8:9], off offset:1024
	global_load_ushort v11, v[8:9], off offset:1536
	;; [unrolled: 1-line block ×3, first 2 shown]
	s_mov_b64 s[18:19], 0
	s_waitcnt vmcnt(1)
	v_perm_b32 v9, v11, v10, s7
	s_waitcnt vmcnt(0)
	v_perm_b32 v8, v12, v4, s7
.LBB916_220:                            ;   in Loop: Header=BB916_218 Depth=2
	s_andn2_b64 vcc, exec, s[18:19]
	s_movk_i32 s20, 0x400
	s_cbranch_vccnz .LBB916_227
; %bb.221:                              ;   in Loop: Header=BB916_218 Depth=2
	s_lshl_b64 s[18:19], s[56:57], 1
	s_add_u32 s18, s48, s18
	s_addc_u32 s19, s49, s19
	v_cmp_gt_u32_e32 vcc, s22, v0
	s_and_saveexec_b64 s[20:21], vcc
	s_cbranch_execnz .LBB916_235
; %bb.222:                              ;   in Loop: Header=BB916_218 Depth=2
	s_or_b64 exec, exec, s[20:21]
	v_cmp_gt_u32_e32 vcc, s22, v20
	s_and_saveexec_b64 s[20:21], vcc
	s_cbranch_execnz .LBB916_236
.LBB916_223:                            ;   in Loop: Header=BB916_218 Depth=2
	s_or_b64 exec, exec, s[20:21]
	v_cmp_gt_u32_e32 vcc, s22, v49
	s_and_saveexec_b64 s[20:21], vcc
	s_cbranch_execnz .LBB916_237
.LBB916_224:                            ;   in Loop: Header=BB916_218 Depth=2
	s_or_b64 exec, exec, s[20:21]
	v_cmp_gt_u32_e32 vcc, s22, v50
	s_and_saveexec_b64 s[20:21], vcc
	s_cbranch_execz .LBB916_226
.LBB916_225:                            ;   in Loop: Header=BB916_218 Depth=2
	global_load_ushort v4, v58, s[18:19] offset:1536
	s_waitcnt vmcnt(0)
	v_perm_b32 v7, v4, v7, s7
.LBB916_226:                            ;   in Loop: Header=BB916_218 Depth=2
	s_or_b64 exec, exec, s[20:21]
	v_mov_b32_e32 v9, v7
	s_mov_b32 s20, s22
	v_mov_b32_e32 v8, v6
.LBB916_227:                            ;   in Loop: Header=BB916_218 Depth=2
	v_mov_b32_e32 v6, v8
	v_mov_b32_e32 v7, v9
	v_cmp_gt_u32_e32 vcc, s20, v0
	s_and_saveexec_b64 s[18:19], vcc
	s_cbranch_execnz .LBB916_231
; %bb.228:                              ;   in Loop: Header=BB916_218 Depth=2
	s_or_b64 exec, exec, s[18:19]
	v_cmp_gt_u32_e32 vcc, s20, v20
	s_and_saveexec_b64 s[18:19], vcc
	s_cbranch_execnz .LBB916_232
.LBB916_229:                            ;   in Loop: Header=BB916_218 Depth=2
	s_or_b64 exec, exec, s[18:19]
	v_cmp_gt_u32_e32 vcc, s20, v49
	s_and_saveexec_b64 s[18:19], vcc
	s_cbranch_execnz .LBB916_233
.LBB916_230:                            ;   in Loop: Header=BB916_218 Depth=2
	s_or_b64 exec, exec, s[18:19]
	v_cmp_gt_u32_e32 vcc, s20, v50
	s_and_saveexec_b64 s[18:19], vcc
	s_cbranch_execz .LBB916_217
	s_branch .LBB916_234
.LBB916_231:                            ;   in Loop: Header=BB916_218 Depth=2
	v_xor_b32_e32 v4, 0x7fff, v6
	v_lshrrev_b32_sdwa v4, s69, v4 dst_sel:DWORD dst_unused:UNUSED_PAD src0_sel:DWORD src1_sel:WORD_0
	v_and_b32_e32 v4, s62, v4
	v_lshl_or_b32 v4, v4, 4, v23
	ds_add_u32 v4, v55
	s_or_b64 exec, exec, s[18:19]
	v_cmp_gt_u32_e32 vcc, s20, v20
	s_and_saveexec_b64 s[18:19], vcc
	s_cbranch_execz .LBB916_229
.LBB916_232:                            ;   in Loop: Header=BB916_218 Depth=2
	v_xor_b32_sdwa v4, v6, s59 dst_sel:DWORD dst_unused:UNUSED_PAD src0_sel:WORD_1 src1_sel:DWORD
	v_lshrrev_b32_sdwa v4, s69, v4 dst_sel:DWORD dst_unused:UNUSED_PAD src0_sel:DWORD src1_sel:WORD_0
	v_and_b32_e32 v4, s62, v4
	v_lshl_or_b32 v4, v4, 4, v23
	ds_add_u32 v4, v55
	s_or_b64 exec, exec, s[18:19]
	v_cmp_gt_u32_e32 vcc, s20, v49
	s_and_saveexec_b64 s[18:19], vcc
	s_cbranch_execz .LBB916_230
.LBB916_233:                            ;   in Loop: Header=BB916_218 Depth=2
	v_xor_b32_e32 v4, 0x7fff, v7
	v_lshrrev_b32_sdwa v4, s69, v4 dst_sel:DWORD dst_unused:UNUSED_PAD src0_sel:DWORD src1_sel:WORD_0
	v_and_b32_e32 v4, s62, v4
	v_lshl_or_b32 v4, v4, 4, v23
	ds_add_u32 v4, v55
	s_or_b64 exec, exec, s[18:19]
	v_cmp_gt_u32_e32 vcc, s20, v50
	s_and_saveexec_b64 s[18:19], vcc
	s_cbranch_execz .LBB916_217
.LBB916_234:                            ;   in Loop: Header=BB916_218 Depth=2
	v_xor_b32_sdwa v4, v7, s59 dst_sel:DWORD dst_unused:UNUSED_PAD src0_sel:WORD_1 src1_sel:DWORD
	v_lshrrev_b32_sdwa v4, s69, v4 dst_sel:DWORD dst_unused:UNUSED_PAD src0_sel:DWORD src1_sel:WORD_0
	v_and_b32_e32 v4, s62, v4
	v_lshl_or_b32 v4, v4, 4, v23
	ds_add_u32 v4, v55
	s_branch .LBB916_217
.LBB916_235:                            ;   in Loop: Header=BB916_218 Depth=2
	global_load_ushort v4, v58, s[18:19]
	s_waitcnt vmcnt(0)
	v_bfi_b32 v6, s58, v4, v6
	s_or_b64 exec, exec, s[20:21]
	v_cmp_gt_u32_e32 vcc, s22, v20
	s_and_saveexec_b64 s[20:21], vcc
	s_cbranch_execz .LBB916_223
.LBB916_236:                            ;   in Loop: Header=BB916_218 Depth=2
	global_load_ushort v4, v58, s[18:19] offset:512
	s_waitcnt vmcnt(0)
	v_perm_b32 v6, v4, v6, s7
	s_or_b64 exec, exec, s[20:21]
	v_cmp_gt_u32_e32 vcc, s22, v49
	s_and_saveexec_b64 s[20:21], vcc
	s_cbranch_execz .LBB916_224
.LBB916_237:                            ;   in Loop: Header=BB916_218 Depth=2
	global_load_ushort v4, v58, s[18:19] offset:1024
	s_waitcnt vmcnt(0)
	v_bfi_b32 v7, s58, v4, v7
	s_or_b64 exec, exec, s[20:21]
	v_cmp_gt_u32_e32 vcc, s22, v50
	s_and_saveexec_b64 s[20:21], vcc
	s_cbranch_execnz .LBB916_225
	s_branch .LBB916_226
.LBB916_238:                            ;   in Loop: Header=BB916_12 Depth=1
	v_mov_b32_e32 v4, 0
	s_waitcnt lgkmcnt(0)
	s_barrier
	s_and_saveexec_b64 s[18:19], s[4:5]
	s_cbranch_execz .LBB916_240
; %bb.239:                              ;   in Loop: Header=BB916_12 Depth=1
	ds_read2_b64 v[6:9], v24 offset1:1
	s_waitcnt lgkmcnt(0)
	v_add_u32_e32 v4, v7, v6
	v_add3_u32 v4, v4, v8, v9
.LBB916_240:                            ;   in Loop: Header=BB916_12 Depth=1
	s_or_b64 exec, exec, s[18:19]
	s_nop 0
	v_mov_b32_dpp v6, v4 row_shr:1 row_mask:0xf bank_mask:0xf
	v_cmp_eq_u32_e64 s[18:19], 0, v59
	v_cndmask_b32_e64 v6, v6, 0, s[18:19]
	v_add_u32_e32 v4, v6, v4
	v_cmp_lt_u32_e64 s[20:21], 1, v59
	v_cmp_lt_u32_e64 s[22:23], 3, v59
	v_mov_b32_dpp v6, v4 row_shr:2 row_mask:0xf bank_mask:0xf
	v_cndmask_b32_e64 v6, 0, v6, s[20:21]
	v_add_u32_e32 v4, v4, v6
	v_cmp_lt_u32_e64 s[24:25], 7, v59
	v_cmp_lt_u32_e64 s[28:29], 31, v45
	v_mov_b32_dpp v6, v4 row_shr:4 row_mask:0xf bank_mask:0xf
	v_cndmask_b32_e64 v6, 0, v6, s[22:23]
	v_add_u32_e32 v4, v4, v6
	v_cmp_eq_u32_e64 s[26:27], 0, v61
	s_nop 0
	v_mov_b32_dpp v6, v4 row_shr:8 row_mask:0xf bank_mask:0xf
	v_cndmask_b32_e64 v6, 0, v6, s[24:25]
	v_add_u32_e32 v4, v4, v6
	s_nop 1
	v_mov_b32_dpp v6, v4 row_bcast:15 row_mask:0xf bank_mask:0xf
	v_and_b32_e32 v6, v60, v6
	v_add_u32_e32 v4, v4, v6
	s_nop 1
	v_mov_b32_dpp v6, v4 row_bcast:31 row_mask:0xf bank_mask:0xf
	v_cndmask_b32_e64 v6, 0, v6, s[28:29]
	v_add_u32_e32 v4, v4, v6
	s_and_saveexec_b64 s[30:31], s[8:9]
; %bb.241:                              ;   in Loop: Header=BB916_12 Depth=1
	ds_write_b32 v51, v4
; %bb.242:                              ;   in Loop: Header=BB916_12 Depth=1
	s_or_b64 exec, exec, s[30:31]
	s_waitcnt lgkmcnt(0)
	s_barrier
	s_and_saveexec_b64 s[30:31], s[10:11]
	s_cbranch_execz .LBB916_244
; %bb.243:                              ;   in Loop: Header=BB916_12 Depth=1
	ds_read_b32 v6, v52
	v_cmp_ne_u32_e32 vcc, 0, v62
	s_waitcnt lgkmcnt(0)
	v_mov_b32_dpp v7, v6 row_shr:1 row_mask:0xf bank_mask:0xf
	v_cndmask_b32_e32 v7, 0, v7, vcc
	v_add_u32_e32 v6, v7, v6
	v_cmp_lt_u32_e32 vcc, 1, v62
	s_nop 0
	v_mov_b32_dpp v7, v6 row_shr:2 row_mask:0xf bank_mask:0xf
	v_cndmask_b32_e32 v7, 0, v7, vcc
	v_add_u32_e32 v6, v6, v7
	ds_write_b32 v52, v6
.LBB916_244:                            ;   in Loop: Header=BB916_12 Depth=1
	s_or_b64 exec, exec, s[30:31]
	v_mov_b32_e32 v6, 0
	s_waitcnt lgkmcnt(0)
	s_barrier
	s_and_saveexec_b64 s[30:31], s[12:13]
; %bb.245:                              ;   in Loop: Header=BB916_12 Depth=1
	ds_read_b32 v6, v53
; %bb.246:                              ;   in Loop: Header=BB916_12 Depth=1
	s_or_b64 exec, exec, s[30:31]
	v_subrev_co_u32_e64 v7, s[30:31], 1, v45
	v_cmp_lt_i32_e32 vcc, v7, v63
	v_cndmask_b32_e32 v7, v7, v45, vcc
	s_waitcnt lgkmcnt(0)
	v_add_u32_e32 v4, v6, v4
	v_lshlrev_b32_e32 v68, 2, v7
	ds_bpermute_b32 v4, v68, v4
	s_waitcnt lgkmcnt(0)
	s_barrier
	s_and_saveexec_b64 s[34:35], s[4:5]
; %bb.247:                              ;   in Loop: Header=BB916_12 Depth=1
	v_cndmask_b32_e64 v4, v4, v6, s[30:31]
	v_add_u32_e32 v4, s74, v4
	ds_write_b32 v19, v4
; %bb.248:                              ;   in Loop: Header=BB916_12 Depth=1
	s_or_b64 exec, exec, s[34:35]
	s_load_dwordx2 s[34:35], s[46:47], 0x0
	v_add_co_u32_e32 v69, vcc, v41, v46
	v_addc_co_u32_e32 v70, vcc, 0, v42, vcc
	s_waitcnt lgkmcnt(0)
	s_cmp_lt_u32 s33, s35
	s_cselect_b32 s35, 14, 20
	s_add_u32 s36, s46, s35
	s_addc_u32 s37, s47, 0
	s_cmp_lt_u32 s6, s34
	s_cselect_b32 s34, 12, 18
	s_add_u32 s34, s46, s34
	global_load_ushort v4, v3, s[36:37]
	s_addc_u32 s35, s47, 0
	global_load_ushort v6, v3, s[34:35]
	v_add_co_u32_e32 v71, vcc, v43, v48
	v_cmp_eq_u32_e64 s[34:35], 0, v62
	v_cmp_lt_u32_e64 s[36:37], 1, v62
	v_addc_co_u32_e32 v72, vcc, 0, v44, vcc
	s_mov_b32 s63, s71
	s_mov_b32 s56, s74
                                        ; implicit-def: $vgpr9_vgpr10
                                        ; implicit-def: $vgpr11_vgpr12
                                        ; implicit-def: $vgpr13_vgpr14
                                        ; implicit-def: $vgpr73
                                        ; implicit-def: $vgpr74
                                        ; implicit-def: $vgpr76
                                        ; implicit-def: $vgpr77
	s_waitcnt vmcnt(1)
	v_mad_u32_u24 v4, v2, v4, v1
	s_waitcnt vmcnt(0)
	v_mad_u64_u32 v[6:7], s[38:39], v4, v6, v[0:1]
                                        ; implicit-def: $vgpr7_vgpr8
	v_lshrrev_b32_e32 v4, 4, v6
	v_and_b32_e32 v75, 0xffffffc, v4
	s_branch .LBB916_250
.LBB916_249:                            ;   in Loop: Header=BB916_250 Depth=2
	s_or_b64 exec, exec, s[38:39]
	s_addk_i32 s63, 0xfc00
	s_cmp_lt_u32 s68, s75
	s_mov_b32 s56, s68
	s_cbranch_scc0 .LBB916_314
.LBB916_250:                            ;   Parent Loop BB916_12 Depth=1
                                        ; =>  This Inner Loop Header: Depth=2
	s_add_i32 s68, s56, 0x400
	s_cmp_gt_u32 s68, s75
	s_cbranch_scc1 .LBB916_252
; %bb.251:                              ;   in Loop: Header=BB916_250 Depth=2
	s_lshl_b64 s[38:39], s[56:57], 1
	v_mov_b32_e32 v4, s39
	v_add_co_u32_e32 v15, vcc, s38, v71
	v_addc_co_u32_e32 v16, vcc, v72, v4, vcc
	global_load_ushort v4, v[15:16], off
	global_load_ushort v6, v[15:16], off offset:128
	s_nop 0
	global_load_ushort v16, v[15:16], off offset:256
	s_mov_b64 s[38:39], -1
	s_waitcnt vmcnt(1)
	v_perm_b32 v15, v6, v4, s7
	s_movk_i32 s42, 0x400
	s_cbranch_execz .LBB916_253
	s_branch .LBB916_258
.LBB916_252:                            ;   in Loop: Header=BB916_250 Depth=2
	s_mov_b64 s[38:39], 0
                                        ; implicit-def: $vgpr15_vgpr16
	s_movk_i32 s42, 0x400
.LBB916_253:                            ;   in Loop: Header=BB916_250 Depth=2
	s_lshl_b64 s[38:39], s[56:57], 1
	v_mov_b32_e32 v4, s39
	v_add_co_u32_e32 v17, vcc, s38, v71
	v_mov_b32_e32 v6, v5
	v_addc_co_u32_e32 v18, vcc, v72, v4, vcc
	s_waitcnt vmcnt(0)
	v_mov_b32_e32 v16, v6
	v_cmp_gt_u32_e32 vcc, s63, v47
	v_mov_b32_e32 v15, v5
	s_and_saveexec_b64 s[38:39], vcc
	s_cbranch_execnz .LBB916_312
; %bb.254:                              ;   in Loop: Header=BB916_250 Depth=2
	s_or_b64 exec, exec, s[38:39]
	v_cmp_gt_u32_e32 vcc, s63, v64
	s_and_saveexec_b64 s[38:39], vcc
	s_cbranch_execnz .LBB916_313
.LBB916_255:                            ;   in Loop: Header=BB916_250 Depth=2
	s_or_b64 exec, exec, s[38:39]
	v_cmp_gt_u32_e32 vcc, s63, v65
	s_and_saveexec_b64 s[38:39], vcc
	s_cbranch_execz .LBB916_257
.LBB916_256:                            ;   in Loop: Header=BB916_250 Depth=2
	global_load_ushort v4, v[17:18], off offset:256
	s_waitcnt vmcnt(0)
	v_bfi_b32 v16, s58, v4, v16
.LBB916_257:                            ;   in Loop: Header=BB916_250 Depth=2
	s_or_b64 exec, exec, s[38:39]
	s_sub_i32 s42, s75, s56
	v_cmp_gt_u32_e64 s[38:39], s63, v66
.LBB916_258:                            ;   in Loop: Header=BB916_250 Depth=2
	v_mov_b32_e32 v78, s63
	s_and_saveexec_b64 s[40:41], s[38:39]
	s_cbranch_execz .LBB916_260
; %bb.259:                              ;   in Loop: Header=BB916_250 Depth=2
	s_lshl_b64 s[38:39], s[56:57], 1
	v_mov_b32_e32 v4, s39
	v_add_co_u32_e32 v17, vcc, s38, v71
	v_addc_co_u32_e32 v18, vcc, v72, v4, vcc
	global_load_ushort v4, v[17:18], off offset:384
	v_mov_b32_e32 v78, s42
	s_waitcnt vmcnt(0)
	v_perm_b32 v16, v4, v16, s7
.LBB916_260:                            ;   in Loop: Header=BB916_250 Depth=2
	s_or_b64 exec, exec, s[40:41]
	v_xor_b32_e32 v6, 0x7fff, v15
	v_lshrrev_b32_sdwa v4, s69, v6 dst_sel:DWORD dst_unused:UNUSED_PAD src0_sel:DWORD src1_sel:WORD_0
	v_and_b32_e32 v17, s62, v4
	v_and_b32_e32 v4, 1, v17
	v_add_co_u32_e32 v18, vcc, -1, v4
	v_addc_co_u32_e64 v79, s[38:39], 0, -1, vcc
	v_cmp_ne_u32_e32 vcc, 0, v4
	v_xor_b32_e32 v4, vcc_hi, v79
	v_and_b32_e32 v79, exec_hi, v4
	v_lshlrev_b32_e32 v4, 30, v17
	v_xor_b32_e32 v18, vcc_lo, v18
	v_cmp_gt_i64_e32 vcc, 0, v[3:4]
	v_not_b32_e32 v4, v4
	v_ashrrev_i32_e32 v4, 31, v4
	v_and_b32_e32 v18, exec_lo, v18
	v_xor_b32_e32 v81, vcc_hi, v4
	v_xor_b32_e32 v4, vcc_lo, v4
	v_and_b32_e32 v18, v18, v4
	v_lshlrev_b32_e32 v4, 29, v17
	v_cmp_gt_i64_e32 vcc, 0, v[3:4]
	v_not_b32_e32 v4, v4
	v_ashrrev_i32_e32 v4, 31, v4
	v_and_b32_e32 v79, v79, v81
	v_xor_b32_e32 v81, vcc_hi, v4
	v_xor_b32_e32 v4, vcc_lo, v4
	v_and_b32_e32 v18, v18, v4
	v_lshlrev_b32_e32 v4, 28, v17
	v_cmp_gt_i64_e32 vcc, 0, v[3:4]
	v_not_b32_e32 v4, v4
	v_ashrrev_i32_e32 v4, 31, v4
	v_and_b32_e32 v79, v79, v81
	;; [unrolled: 8-line block ×5, first 2 shown]
	v_xor_b32_e32 v81, vcc_hi, v4
	v_xor_b32_e32 v4, vcc_lo, v4
	v_and_b32_e32 v79, v79, v81
	v_and_b32_e32 v81, v18, v4
	v_lshlrev_b32_e32 v4, 24, v17
	v_cmp_gt_i64_e32 vcc, 0, v[3:4]
	v_not_b32_e32 v4, v4
	v_ashrrev_i32_e32 v4, 31, v4
	v_mul_u32_u24_e32 v80, 20, v17
	v_xor_b32_e32 v17, vcc_hi, v4
	v_xor_b32_e32 v4, vcc_lo, v4
	v_and_b32_e32 v18, v79, v17
	v_and_b32_e32 v17, v81, v4
	v_mbcnt_lo_u32_b32 v4, v17, 0
	v_mbcnt_hi_u32_b32 v79, v18, v4
	v_cmp_ne_u64_e32 vcc, 0, v[17:18]
	v_cmp_eq_u32_e64 s[38:39], 0, v79
	s_and_b64 s[40:41], vcc, s[38:39]
	v_add_u32_e32 v82, v75, v80
	ds_write2_b32 v56, v3, v3 offset1:1
	ds_write2_b32 v57, v3, v3 offset1:1
	ds_write_b32 v26, v3 offset:1056
	s_waitcnt vmcnt(0) lgkmcnt(0)
	s_barrier
	; wave barrier
	s_and_saveexec_b64 s[38:39], s[40:41]
; %bb.261:                              ;   in Loop: Header=BB916_250 Depth=2
	v_bcnt_u32_b32 v4, v17, 0
	v_bcnt_u32_b32 v4, v18, v4
	ds_write_b32 v82, v4 offset:1040
; %bb.262:                              ;   in Loop: Header=BB916_250 Depth=2
	s_or_b64 exec, exec, s[38:39]
	v_xor_b32_sdwa v80, v15, s59 dst_sel:DWORD dst_unused:UNUSED_PAD src0_sel:WORD_1 src1_sel:DWORD
	v_lshrrev_b32_sdwa v4, s69, v80 dst_sel:DWORD dst_unused:UNUSED_PAD src0_sel:DWORD src1_sel:WORD_0
	v_and_b32_e32 v15, s62, v4
	v_mad_u32_u24 v4, v15, 20, v75
	; wave barrier
	ds_read_b32 v81, v4 offset:1040
	v_and_b32_e32 v4, 1, v15
	v_add_co_u32_e32 v17, vcc, -1, v4
	v_addc_co_u32_e64 v18, s[38:39], 0, -1, vcc
	v_cmp_ne_u32_e32 vcc, 0, v4
	v_xor_b32_e32 v4, vcc_hi, v18
	v_and_b32_e32 v18, exec_hi, v4
	v_lshlrev_b32_e32 v4, 30, v15
	v_xor_b32_e32 v17, vcc_lo, v17
	v_cmp_gt_i64_e32 vcc, 0, v[3:4]
	v_not_b32_e32 v4, v4
	v_ashrrev_i32_e32 v4, 31, v4
	v_and_b32_e32 v17, exec_lo, v17
	v_xor_b32_e32 v83, vcc_hi, v4
	v_xor_b32_e32 v4, vcc_lo, v4
	v_and_b32_e32 v17, v17, v4
	v_lshlrev_b32_e32 v4, 29, v15
	v_cmp_gt_i64_e32 vcc, 0, v[3:4]
	v_not_b32_e32 v4, v4
	v_ashrrev_i32_e32 v4, 31, v4
	v_and_b32_e32 v18, v18, v83
	v_xor_b32_e32 v83, vcc_hi, v4
	v_xor_b32_e32 v4, vcc_lo, v4
	v_and_b32_e32 v17, v17, v4
	v_lshlrev_b32_e32 v4, 28, v15
	v_cmp_gt_i64_e32 vcc, 0, v[3:4]
	v_not_b32_e32 v4, v4
	v_ashrrev_i32_e32 v4, 31, v4
	v_and_b32_e32 v18, v18, v83
	;; [unrolled: 8-line block ×5, first 2 shown]
	v_xor_b32_e32 v83, vcc_hi, v4
	v_xor_b32_e32 v4, vcc_lo, v4
	v_and_b32_e32 v17, v17, v4
	v_lshlrev_b32_e32 v4, 24, v15
	v_cmp_gt_i64_e32 vcc, 0, v[3:4]
	v_not_b32_e32 v4, v4
	v_ashrrev_i32_e32 v4, 31, v4
	v_mul_u32_u24_e32 v84, 20, v15
	v_xor_b32_e32 v15, vcc_hi, v4
	v_xor_b32_e32 v4, vcc_lo, v4
	v_and_b32_e32 v18, v18, v83
	v_and_b32_e32 v17, v17, v4
	;; [unrolled: 1-line block ×3, first 2 shown]
	v_mbcnt_lo_u32_b32 v4, v17, 0
	v_mbcnt_hi_u32_b32 v83, v18, v4
	v_cmp_ne_u64_e32 vcc, 0, v[17:18]
	v_cmp_eq_u32_e64 s[38:39], 0, v83
	s_and_b64 s[40:41], vcc, s[38:39]
	v_add_u32_e32 v86, v75, v84
	; wave barrier
	s_and_saveexec_b64 s[38:39], s[40:41]
	s_cbranch_execz .LBB916_264
; %bb.263:                              ;   in Loop: Header=BB916_250 Depth=2
	v_bcnt_u32_b32 v4, v17, 0
	v_bcnt_u32_b32 v4, v18, v4
	s_waitcnt lgkmcnt(0)
	v_add_u32_e32 v4, v81, v4
	ds_write_b32 v86, v4 offset:1040
.LBB916_264:                            ;   in Loop: Header=BB916_250 Depth=2
	s_or_b64 exec, exec, s[38:39]
	v_xor_b32_e32 v84, 0x7fff, v16
	v_lshrrev_b32_sdwa v4, s69, v84 dst_sel:DWORD dst_unused:UNUSED_PAD src0_sel:DWORD src1_sel:WORD_0
	v_and_b32_e32 v15, s62, v4
	v_mad_u32_u24 v4, v15, 20, v75
	; wave barrier
	ds_read_b32 v85, v4 offset:1040
	v_and_b32_e32 v4, 1, v15
	v_add_co_u32_e32 v17, vcc, -1, v4
	v_addc_co_u32_e64 v18, s[38:39], 0, -1, vcc
	v_cmp_ne_u32_e32 vcc, 0, v4
	v_xor_b32_e32 v4, vcc_hi, v18
	v_and_b32_e32 v18, exec_hi, v4
	v_lshlrev_b32_e32 v4, 30, v15
	v_xor_b32_e32 v17, vcc_lo, v17
	v_cmp_gt_i64_e32 vcc, 0, v[3:4]
	v_not_b32_e32 v4, v4
	v_ashrrev_i32_e32 v4, 31, v4
	v_and_b32_e32 v17, exec_lo, v17
	v_xor_b32_e32 v87, vcc_hi, v4
	v_xor_b32_e32 v4, vcc_lo, v4
	v_and_b32_e32 v17, v17, v4
	v_lshlrev_b32_e32 v4, 29, v15
	v_cmp_gt_i64_e32 vcc, 0, v[3:4]
	v_not_b32_e32 v4, v4
	v_ashrrev_i32_e32 v4, 31, v4
	v_and_b32_e32 v18, v18, v87
	v_xor_b32_e32 v87, vcc_hi, v4
	v_xor_b32_e32 v4, vcc_lo, v4
	v_and_b32_e32 v17, v17, v4
	v_lshlrev_b32_e32 v4, 28, v15
	v_cmp_gt_i64_e32 vcc, 0, v[3:4]
	v_not_b32_e32 v4, v4
	v_ashrrev_i32_e32 v4, 31, v4
	v_and_b32_e32 v18, v18, v87
	;; [unrolled: 8-line block ×5, first 2 shown]
	v_xor_b32_e32 v87, vcc_hi, v4
	v_xor_b32_e32 v4, vcc_lo, v4
	v_and_b32_e32 v17, v17, v4
	v_lshlrev_b32_e32 v4, 24, v15
	v_cmp_gt_i64_e32 vcc, 0, v[3:4]
	v_not_b32_e32 v4, v4
	v_ashrrev_i32_e32 v4, 31, v4
	v_mul_u32_u24_e32 v88, 20, v15
	v_xor_b32_e32 v15, vcc_hi, v4
	v_xor_b32_e32 v4, vcc_lo, v4
	v_and_b32_e32 v18, v18, v87
	v_and_b32_e32 v17, v17, v4
	;; [unrolled: 1-line block ×3, first 2 shown]
	v_mbcnt_lo_u32_b32 v4, v17, 0
	v_mbcnt_hi_u32_b32 v87, v18, v4
	v_cmp_ne_u64_e32 vcc, 0, v[17:18]
	v_cmp_eq_u32_e64 s[38:39], 0, v87
	s_and_b64 s[40:41], vcc, s[38:39]
	v_add_u32_e32 v90, v75, v88
	; wave barrier
	s_and_saveexec_b64 s[38:39], s[40:41]
	s_cbranch_execz .LBB916_266
; %bb.265:                              ;   in Loop: Header=BB916_250 Depth=2
	v_bcnt_u32_b32 v4, v17, 0
	v_bcnt_u32_b32 v4, v18, v4
	s_waitcnt lgkmcnt(0)
	v_add_u32_e32 v4, v85, v4
	ds_write_b32 v90, v4 offset:1040
.LBB916_266:                            ;   in Loop: Header=BB916_250 Depth=2
	s_or_b64 exec, exec, s[38:39]
	v_xor_b32_sdwa v88, v16, s59 dst_sel:DWORD dst_unused:UNUSED_PAD src0_sel:WORD_1 src1_sel:DWORD
	v_lshrrev_b32_sdwa v4, s69, v88 dst_sel:DWORD dst_unused:UNUSED_PAD src0_sel:DWORD src1_sel:WORD_0
	v_and_b32_e32 v15, s62, v4
	v_mad_u32_u24 v4, v15, 20, v75
	; wave barrier
	ds_read_b32 v89, v4 offset:1040
	v_and_b32_e32 v4, 1, v15
	v_add_co_u32_e32 v16, vcc, -1, v4
	v_addc_co_u32_e64 v18, s[38:39], 0, -1, vcc
	v_cmp_ne_u32_e32 vcc, 0, v4
	v_xor_b32_e32 v4, vcc_hi, v18
	v_and_b32_e32 v18, exec_hi, v4
	v_lshlrev_b32_e32 v4, 30, v15
	v_xor_b32_e32 v16, vcc_lo, v16
	v_cmp_gt_i64_e32 vcc, 0, v[3:4]
	v_not_b32_e32 v4, v4
	v_ashrrev_i32_e32 v4, 31, v4
	v_and_b32_e32 v16, exec_lo, v16
	v_xor_b32_e32 v91, vcc_hi, v4
	v_xor_b32_e32 v4, vcc_lo, v4
	v_and_b32_e32 v16, v16, v4
	v_lshlrev_b32_e32 v4, 29, v15
	v_cmp_gt_i64_e32 vcc, 0, v[3:4]
	v_not_b32_e32 v4, v4
	v_ashrrev_i32_e32 v4, 31, v4
	v_and_b32_e32 v18, v18, v91
	v_xor_b32_e32 v91, vcc_hi, v4
	v_xor_b32_e32 v4, vcc_lo, v4
	v_and_b32_e32 v16, v16, v4
	v_lshlrev_b32_e32 v4, 28, v15
	v_cmp_gt_i64_e32 vcc, 0, v[3:4]
	v_not_b32_e32 v4, v4
	v_ashrrev_i32_e32 v4, 31, v4
	v_and_b32_e32 v18, v18, v91
	;; [unrolled: 8-line block ×5, first 2 shown]
	v_xor_b32_e32 v91, vcc_hi, v4
	v_xor_b32_e32 v4, vcc_lo, v4
	v_and_b32_e32 v18, v18, v91
	v_and_b32_e32 v91, v16, v4
	v_lshlrev_b32_e32 v4, 24, v15
	v_cmp_gt_i64_e32 vcc, 0, v[3:4]
	v_not_b32_e32 v4, v4
	v_ashrrev_i32_e32 v4, 31, v4
	v_mul_u32_u24_e32 v17, 20, v15
	v_xor_b32_e32 v15, vcc_hi, v4
	v_xor_b32_e32 v4, vcc_lo, v4
	v_and_b32_e32 v16, v18, v15
	v_and_b32_e32 v15, v91, v4
	v_mbcnt_lo_u32_b32 v4, v15, 0
	v_mbcnt_hi_u32_b32 v4, v16, v4
	v_cmp_ne_u64_e32 vcc, 0, v[15:16]
	v_cmp_eq_u32_e64 s[38:39], 0, v4
	s_and_b64 s[40:41], vcc, s[38:39]
	v_add_u32_e32 v91, v75, v17
	; wave barrier
	s_and_saveexec_b64 s[38:39], s[40:41]
	s_cbranch_execz .LBB916_268
; %bb.267:                              ;   in Loop: Header=BB916_250 Depth=2
	v_bcnt_u32_b32 v15, v15, 0
	v_bcnt_u32_b32 v15, v16, v15
	s_waitcnt lgkmcnt(0)
	v_add_u32_e32 v15, v89, v15
	ds_write_b32 v91, v15 offset:1040
.LBB916_268:                            ;   in Loop: Header=BB916_250 Depth=2
	s_or_b64 exec, exec, s[38:39]
	; wave barrier
	s_waitcnt lgkmcnt(0)
	s_barrier
	ds_read2_b32 v[17:18], v56 offset1:1
	ds_read2_b32 v[15:16], v57 offset1:1
	ds_read_b32 v92, v26 offset:1056
	s_waitcnt lgkmcnt(1)
	v_add3_u32 v93, v18, v17, v15
	s_waitcnt lgkmcnt(0)
	v_add3_u32 v92, v93, v16, v92
	s_nop 1
	v_mov_b32_dpp v93, v92 row_shr:1 row_mask:0xf bank_mask:0xf
	v_cndmask_b32_e64 v93, v93, 0, s[18:19]
	v_add_u32_e32 v92, v93, v92
	s_nop 1
	v_mov_b32_dpp v93, v92 row_shr:2 row_mask:0xf bank_mask:0xf
	v_cndmask_b32_e64 v93, 0, v93, s[20:21]
	v_add_u32_e32 v92, v92, v93
	;; [unrolled: 4-line block ×4, first 2 shown]
	s_nop 1
	v_mov_b32_dpp v93, v92 row_bcast:15 row_mask:0xf bank_mask:0xf
	v_cndmask_b32_e64 v93, v93, 0, s[26:27]
	v_add_u32_e32 v92, v92, v93
	s_nop 1
	v_mov_b32_dpp v93, v92 row_bcast:31 row_mask:0xf bank_mask:0xf
	v_cndmask_b32_e64 v93, 0, v93, s[28:29]
	v_add_u32_e32 v92, v92, v93
	s_and_saveexec_b64 s[38:39], s[8:9]
; %bb.269:                              ;   in Loop: Header=BB916_250 Depth=2
	ds_write_b32 v25, v92 offset:1024
; %bb.270:                              ;   in Loop: Header=BB916_250 Depth=2
	s_or_b64 exec, exec, s[38:39]
	s_waitcnt lgkmcnt(0)
	s_barrier
	s_and_saveexec_b64 s[38:39], s[10:11]
	s_cbranch_execz .LBB916_272
; %bb.271:                              ;   in Loop: Header=BB916_250 Depth=2
	ds_read_b32 v93, v27 offset:1024
	s_waitcnt lgkmcnt(0)
	s_nop 0
	v_mov_b32_dpp v94, v93 row_shr:1 row_mask:0xf bank_mask:0xf
	v_cndmask_b32_e64 v94, v94, 0, s[34:35]
	v_add_u32_e32 v93, v94, v93
	s_nop 1
	v_mov_b32_dpp v94, v93 row_shr:2 row_mask:0xf bank_mask:0xf
	v_cndmask_b32_e64 v94, 0, v94, s[36:37]
	v_add_u32_e32 v93, v93, v94
	ds_write_b32 v27, v93 offset:1024
.LBB916_272:                            ;   in Loop: Header=BB916_250 Depth=2
	s_or_b64 exec, exec, s[38:39]
	v_mov_b32_e32 v93, 0
	s_waitcnt lgkmcnt(0)
	s_barrier
	s_and_saveexec_b64 s[38:39], s[12:13]
; %bb.273:                              ;   in Loop: Header=BB916_250 Depth=2
	ds_read_b32 v93, v25 offset:1020
; %bb.274:                              ;   in Loop: Header=BB916_250 Depth=2
	s_or_b64 exec, exec, s[38:39]
	s_waitcnt lgkmcnt(0)
	v_add_u32_e32 v92, v93, v92
	ds_bpermute_b32 v92, v68, v92
	s_waitcnt lgkmcnt(0)
	v_cndmask_b32_e64 v92, v92, v93, s[30:31]
	v_cndmask_b32_e64 v92, v92, 0, s[14:15]
	v_add_u32_e32 v17, v92, v17
	v_add_u32_e32 v18, v17, v18
	;; [unrolled: 1-line block ×4, first 2 shown]
	ds_write2_b32 v56, v92, v17 offset1:1
	ds_write2_b32 v57, v18, v15 offset1:1
	ds_write_b32 v26, v16 offset:1056
	s_waitcnt lgkmcnt(0)
	s_barrier
	ds_read_b32 v15, v82 offset:1040
	ds_read_b32 v16, v86 offset:1040
	ds_read_b32 v17, v90 offset:1040
	ds_read_b32 v18, v91 offset:1040
	ds_read_b32 v86, v26 offset:1040
	v_mov_b32_e32 v82, 0x400
	s_and_saveexec_b64 s[38:39], s[16:17]
; %bb.275:                              ;   in Loop: Header=BB916_250 Depth=2
	ds_read_b32 v82, v26 offset:1060
; %bb.276:                              ;   in Loop: Header=BB916_250 Depth=2
	s_or_b64 exec, exec, s[38:39]
	s_waitcnt lgkmcnt(0)
	s_barrier
	s_and_saveexec_b64 s[38:39], s[4:5]
	s_cbranch_execz .LBB916_278
; %bb.277:                              ;   in Loop: Header=BB916_250 Depth=2
	ds_read_b32 v90, v19
	s_waitcnt lgkmcnt(0)
	v_sub_u32_e32 v86, v90, v86
	ds_write_b32 v19, v86
.LBB916_278:                            ;   in Loop: Header=BB916_250 Depth=2
	s_or_b64 exec, exec, s[38:39]
	v_add_u32_e32 v86, v15, v79
	v_add3_u32 v83, v83, v81, v16
	v_add3_u32 v81, v87, v85, v17
	;; [unrolled: 1-line block ×3, first 2 shown]
	v_lshlrev_b32_e32 v16, 1, v86
	ds_write_b16 v16, v6 offset:1024
	v_lshlrev_b32_e32 v15, 1, v83
	v_lshlrev_b32_e32 v6, 1, v81
	v_lshlrev_b32_e32 v4, 1, v79
	v_cmp_lt_u32_e32 vcc, v0, v78
	ds_write_b16 v15, v80 offset:1024
	ds_write_b16 v6, v84 offset:1024
	;; [unrolled: 1-line block ×3, first 2 shown]
	s_waitcnt lgkmcnt(0)
	s_barrier
	s_and_saveexec_b64 s[40:41], vcc
	s_cbranch_execnz .LBB916_299
; %bb.279:                              ;   in Loop: Header=BB916_250 Depth=2
	s_or_b64 exec, exec, s[40:41]
	v_cmp_lt_u32_e64 s[38:39], v20, v78
	s_and_saveexec_b64 s[42:43], s[38:39]
	s_cbranch_execnz .LBB916_300
.LBB916_280:                            ;   in Loop: Header=BB916_250 Depth=2
	s_or_b64 exec, exec, s[42:43]
	v_cmp_lt_u32_e64 s[40:41], v49, v78
	s_and_saveexec_b64 s[44:45], s[40:41]
	s_cbranch_execnz .LBB916_301
.LBB916_281:                            ;   in Loop: Header=BB916_250 Depth=2
	s_or_b64 exec, exec, s[44:45]
	v_cmp_lt_u32_e64 s[42:43], v50, v78
	s_and_saveexec_b64 s[54:55], s[42:43]
	s_cbranch_execz .LBB916_283
.LBB916_282:                            ;   in Loop: Header=BB916_250 Depth=2
	ds_read_u16 v17, v32 offset:2560
	v_mov_b32_e32 v84, s51
	s_waitcnt lgkmcnt(0)
	v_lshrrev_b32_sdwa v18, s69, v17 dst_sel:DWORD dst_unused:UNUSED_PAD src0_sel:DWORD src1_sel:WORD_0
	v_and_b32_e32 v18, s62, v18
	v_lshlrev_b32_e32 v18, 2, v18
	ds_read_b32 v80, v18
	v_mov_b32_e32 v18, v3
	v_xor_b32_e32 v85, 0x7fff, v17
	s_waitcnt lgkmcnt(0)
	v_add_u32_e32 v17, v80, v50
	v_lshlrev_b64 v[17:18], 1, v[17:18]
	v_add_co_u32_e64 v17, s[44:45], s50, v17
	v_addc_co_u32_e64 v18, s[44:45], v84, v18, s[44:45]
	global_store_short v[17:18], v85, off
.LBB916_283:                            ;   in Loop: Header=BB916_250 Depth=2
	s_or_b64 exec, exec, s[54:55]
	s_lshl_b64 s[44:45], s[56:57], 3
	v_mov_b32_e32 v18, s45
	v_add_co_u32_e64 v17, s[44:45], s44, v69
	v_addc_co_u32_e64 v18, s[44:45], v70, v18, s[44:45]
	v_cmp_lt_u32_e64 s[44:45], v47, v78
	s_and_saveexec_b64 s[54:55], s[44:45]
	s_xor_b64 s[44:45], exec, s[54:55]
	s_cbranch_execnz .LBB916_302
; %bb.284:                              ;   in Loop: Header=BB916_250 Depth=2
	s_or_b64 exec, exec, s[44:45]
	v_cmp_lt_u32_e64 s[44:45], v64, v78
	s_and_saveexec_b64 s[54:55], s[44:45]
	s_cbranch_execnz .LBB916_303
.LBB916_285:                            ;   in Loop: Header=BB916_250 Depth=2
	s_or_b64 exec, exec, s[54:55]
	v_cmp_lt_u32_e64 s[44:45], v65, v78
	s_and_saveexec_b64 s[54:55], s[44:45]
	s_cbranch_execnz .LBB916_304
.LBB916_286:                            ;   in Loop: Header=BB916_250 Depth=2
	s_or_b64 exec, exec, s[54:55]
	v_cmp_lt_u32_e64 s[44:45], v66, v78
	s_and_saveexec_b64 s[54:55], s[44:45]
	s_cbranch_execnz .LBB916_305
.LBB916_287:                            ;   in Loop: Header=BB916_250 Depth=2
	s_or_b64 exec, exec, s[54:55]
	s_and_saveexec_b64 s[44:45], vcc
	s_cbranch_execnz .LBB916_306
.LBB916_288:                            ;   in Loop: Header=BB916_250 Depth=2
	s_or_b64 exec, exec, s[44:45]
	s_and_saveexec_b64 s[44:45], s[38:39]
	s_cbranch_execnz .LBB916_307
.LBB916_289:                            ;   in Loop: Header=BB916_250 Depth=2
	s_or_b64 exec, exec, s[44:45]
	s_and_saveexec_b64 s[44:45], s[40:41]
	s_cbranch_execnz .LBB916_308
.LBB916_290:                            ;   in Loop: Header=BB916_250 Depth=2
	s_or_b64 exec, exec, s[44:45]
	s_and_saveexec_b64 s[44:45], s[42:43]
	s_cbranch_execz .LBB916_292
.LBB916_291:                            ;   in Loop: Header=BB916_250 Depth=2
	ds_read_u16 v17, v32 offset:2560
	s_waitcnt lgkmcnt(0)
	v_lshrrev_b32_e32 v17, s69, v17
	v_and_b32_e32 v73, s62, v17
.LBB916_292:                            ;   in Loop: Header=BB916_250 Depth=2
	s_or_b64 exec, exec, s[44:45]
	v_mad_u64_u32 v[16:17], s[44:45], v86, 6, v[16:17]
	s_waitcnt vmcnt(0)
	v_mad_u64_u32 v[80:81], s[44:45], v81, 6, v[6:7]
	v_mad_u64_u32 v[17:18], s[44:45], v83, 6, v[15:16]
	;; [unrolled: 1-line block ×3, first 2 shown]
	s_barrier
	ds_write_b64 v16, v[13:14] offset:1024
	ds_write_b64 v17, v[11:12] offset:1024
	;; [unrolled: 1-line block ×4, first 2 shown]
	s_waitcnt lgkmcnt(0)
	s_barrier
	s_and_saveexec_b64 s[44:45], vcc
	s_cbranch_execnz .LBB916_309
; %bb.293:                              ;   in Loop: Header=BB916_250 Depth=2
	s_or_b64 exec, exec, s[44:45]
	s_and_saveexec_b64 s[44:45], s[38:39]
	s_cbranch_execnz .LBB916_310
.LBB916_294:                            ;   in Loop: Header=BB916_250 Depth=2
	s_or_b64 exec, exec, s[44:45]
	s_and_saveexec_b64 s[38:39], s[40:41]
	s_cbranch_execnz .LBB916_311
.LBB916_295:                            ;   in Loop: Header=BB916_250 Depth=2
	s_or_b64 exec, exec, s[38:39]
	s_and_saveexec_b64 s[38:39], s[42:43]
	s_cbranch_execz .LBB916_297
.LBB916_296:                            ;   in Loop: Header=BB916_250 Depth=2
	v_lshlrev_b32_e32 v4, 2, v73
	ds_read_b32 v4, v4
	v_add_u32_e32 v6, v32, v54
	ds_read_b64 v[15:16], v6 offset:7168
	v_mov_b32_e32 v18, v3
	v_mov_b32_e32 v6, s65
	s_waitcnt lgkmcnt(1)
	v_add_u32_e32 v17, v4, v50
	v_lshlrev_b64 v[17:18], 3, v[17:18]
	v_add_co_u32_e32 v17, vcc, s64, v17
	v_addc_co_u32_e32 v18, vcc, v6, v18, vcc
	s_waitcnt lgkmcnt(0)
	global_store_dwordx2 v[17:18], v[15:16], off
.LBB916_297:                            ;   in Loop: Header=BB916_250 Depth=2
	s_or_b64 exec, exec, s[38:39]
	s_waitcnt vmcnt(0)
	s_barrier
	s_and_saveexec_b64 s[38:39], s[4:5]
	s_cbranch_execz .LBB916_249
; %bb.298:                              ;   in Loop: Header=BB916_250 Depth=2
	ds_read_b32 v4, v19
	s_waitcnt lgkmcnt(0)
	v_add_u32_e32 v4, v4, v82
	ds_write_b32 v19, v4
	s_branch .LBB916_249
.LBB916_299:                            ;   in Loop: Header=BB916_250 Depth=2
	ds_read_u16 v17, v32 offset:1024
	v_mov_b32_e32 v84, s51
	s_waitcnt lgkmcnt(0)
	v_lshrrev_b32_sdwa v18, s69, v17 dst_sel:DWORD dst_unused:UNUSED_PAD src0_sel:DWORD src1_sel:WORD_0
	v_and_b32_e32 v18, s62, v18
	v_lshlrev_b32_e32 v18, 2, v18
	ds_read_b32 v80, v18
	v_mov_b32_e32 v18, v3
	v_xor_b32_e32 v85, 0x7fff, v17
	s_waitcnt lgkmcnt(0)
	v_add_u32_e32 v17, v80, v0
	v_lshlrev_b64 v[17:18], 1, v[17:18]
	v_add_co_u32_e64 v17, s[38:39], s50, v17
	v_addc_co_u32_e64 v18, s[38:39], v84, v18, s[38:39]
	global_store_short v[17:18], v85, off
	s_or_b64 exec, exec, s[40:41]
	v_cmp_lt_u32_e64 s[38:39], v20, v78
	s_and_saveexec_b64 s[42:43], s[38:39]
	s_cbranch_execz .LBB916_280
.LBB916_300:                            ;   in Loop: Header=BB916_250 Depth=2
	ds_read_u16 v17, v32 offset:1536
	v_mov_b32_e32 v84, s51
	s_waitcnt lgkmcnt(0)
	v_lshrrev_b32_sdwa v18, s69, v17 dst_sel:DWORD dst_unused:UNUSED_PAD src0_sel:DWORD src1_sel:WORD_0
	v_and_b32_e32 v18, s62, v18
	v_lshlrev_b32_e32 v18, 2, v18
	ds_read_b32 v80, v18
	v_mov_b32_e32 v18, v3
	v_xor_b32_e32 v85, 0x7fff, v17
	s_waitcnt lgkmcnt(0)
	v_add_u32_e32 v17, v80, v20
	v_lshlrev_b64 v[17:18], 1, v[17:18]
	v_add_co_u32_e64 v17, s[40:41], s50, v17
	v_addc_co_u32_e64 v18, s[40:41], v84, v18, s[40:41]
	global_store_short v[17:18], v85, off
	s_or_b64 exec, exec, s[42:43]
	v_cmp_lt_u32_e64 s[40:41], v49, v78
	s_and_saveexec_b64 s[44:45], s[40:41]
	s_cbranch_execz .LBB916_281
.LBB916_301:                            ;   in Loop: Header=BB916_250 Depth=2
	ds_read_u16 v17, v32 offset:2048
	v_mov_b32_e32 v84, s51
	s_waitcnt lgkmcnt(0)
	v_lshrrev_b32_sdwa v18, s69, v17 dst_sel:DWORD dst_unused:UNUSED_PAD src0_sel:DWORD src1_sel:WORD_0
	v_and_b32_e32 v18, s62, v18
	v_lshlrev_b32_e32 v18, 2, v18
	ds_read_b32 v80, v18
	v_mov_b32_e32 v18, v3
	v_xor_b32_e32 v85, 0x7fff, v17
	s_waitcnt lgkmcnt(0)
	v_add_u32_e32 v17, v80, v49
	v_lshlrev_b64 v[17:18], 1, v[17:18]
	v_add_co_u32_e64 v17, s[42:43], s50, v17
	v_addc_co_u32_e64 v18, s[42:43], v84, v18, s[42:43]
	global_store_short v[17:18], v85, off
	s_or_b64 exec, exec, s[44:45]
	v_cmp_lt_u32_e64 s[42:43], v50, v78
	s_and_saveexec_b64 s[54:55], s[42:43]
	s_cbranch_execnz .LBB916_282
	s_branch .LBB916_283
.LBB916_302:                            ;   in Loop: Header=BB916_250 Depth=2
	global_load_dwordx2 v[13:14], v[17:18], off
	s_or_b64 exec, exec, s[44:45]
	v_cmp_lt_u32_e64 s[44:45], v64, v78
	s_and_saveexec_b64 s[54:55], s[44:45]
	s_cbranch_execz .LBB916_285
.LBB916_303:                            ;   in Loop: Header=BB916_250 Depth=2
	global_load_dwordx2 v[11:12], v[17:18], off offset:512
	s_or_b64 exec, exec, s[54:55]
	v_cmp_lt_u32_e64 s[44:45], v65, v78
	s_and_saveexec_b64 s[54:55], s[44:45]
	s_cbranch_execz .LBB916_286
.LBB916_304:                            ;   in Loop: Header=BB916_250 Depth=2
	global_load_dwordx2 v[9:10], v[17:18], off offset:1024
	s_or_b64 exec, exec, s[54:55]
	v_cmp_lt_u32_e64 s[44:45], v66, v78
	s_and_saveexec_b64 s[54:55], s[44:45]
	s_cbranch_execz .LBB916_287
.LBB916_305:                            ;   in Loop: Header=BB916_250 Depth=2
	global_load_dwordx2 v[7:8], v[17:18], off offset:1536
	s_or_b64 exec, exec, s[54:55]
	s_and_saveexec_b64 s[44:45], vcc
	s_cbranch_execz .LBB916_288
.LBB916_306:                            ;   in Loop: Header=BB916_250 Depth=2
	ds_read_u16 v17, v32 offset:1024
	s_waitcnt lgkmcnt(0)
	v_lshrrev_b32_e32 v17, s69, v17
	v_and_b32_e32 v77, s62, v17
	s_or_b64 exec, exec, s[44:45]
	s_and_saveexec_b64 s[44:45], s[38:39]
	s_cbranch_execz .LBB916_289
.LBB916_307:                            ;   in Loop: Header=BB916_250 Depth=2
	ds_read_u16 v17, v32 offset:1536
	s_waitcnt lgkmcnt(0)
	v_lshrrev_b32_e32 v17, s69, v17
	v_and_b32_e32 v76, s62, v17
	s_or_b64 exec, exec, s[44:45]
	s_and_saveexec_b64 s[44:45], s[40:41]
	s_cbranch_execz .LBB916_290
.LBB916_308:                            ;   in Loop: Header=BB916_250 Depth=2
	ds_read_u16 v17, v32 offset:2048
	s_waitcnt lgkmcnt(0)
	v_lshrrev_b32_e32 v17, s69, v17
	v_and_b32_e32 v74, s62, v17
	s_or_b64 exec, exec, s[44:45]
	s_and_saveexec_b64 s[44:45], s[42:43]
	s_cbranch_execnz .LBB916_291
	s_branch .LBB916_292
.LBB916_309:                            ;   in Loop: Header=BB916_250 Depth=2
	v_lshlrev_b32_e32 v4, 2, v77
	ds_read_b32 v4, v4
	v_add_u32_e32 v6, v32, v54
	ds_read_b64 v[15:16], v6 offset:1024
	v_mov_b32_e32 v18, v3
	v_mov_b32_e32 v6, s65
	s_waitcnt lgkmcnt(1)
	v_add_u32_e32 v17, v4, v0
	v_lshlrev_b64 v[17:18], 3, v[17:18]
	v_add_co_u32_e32 v17, vcc, s64, v17
	v_addc_co_u32_e32 v18, vcc, v6, v18, vcc
	s_waitcnt lgkmcnt(0)
	global_store_dwordx2 v[17:18], v[15:16], off
	s_or_b64 exec, exec, s[44:45]
	s_and_saveexec_b64 s[44:45], s[38:39]
	s_cbranch_execz .LBB916_294
.LBB916_310:                            ;   in Loop: Header=BB916_250 Depth=2
	v_lshlrev_b32_e32 v4, 2, v76
	ds_read_b32 v4, v4
	v_add_u32_e32 v6, v32, v54
	ds_read_b64 v[15:16], v6 offset:3072
	v_mov_b32_e32 v18, v3
	v_mov_b32_e32 v6, s65
	s_waitcnt lgkmcnt(1)
	v_add_u32_e32 v17, v4, v20
	v_lshlrev_b64 v[17:18], 3, v[17:18]
	v_add_co_u32_e32 v17, vcc, s64, v17
	v_addc_co_u32_e32 v18, vcc, v6, v18, vcc
	s_waitcnt lgkmcnt(0)
	global_store_dwordx2 v[17:18], v[15:16], off
	s_or_b64 exec, exec, s[44:45]
	s_and_saveexec_b64 s[38:39], s[40:41]
	s_cbranch_execz .LBB916_295
.LBB916_311:                            ;   in Loop: Header=BB916_250 Depth=2
	v_lshlrev_b32_e32 v4, 2, v74
	ds_read_b32 v4, v4
	v_add_u32_e32 v6, v32, v54
	ds_read_b64 v[15:16], v6 offset:5120
	v_mov_b32_e32 v18, v3
	v_mov_b32_e32 v6, s65
	s_waitcnt lgkmcnt(1)
	v_add_u32_e32 v17, v4, v49
	v_lshlrev_b64 v[17:18], 3, v[17:18]
	v_add_co_u32_e32 v17, vcc, s64, v17
	v_addc_co_u32_e32 v18, vcc, v6, v18, vcc
	s_waitcnt lgkmcnt(0)
	global_store_dwordx2 v[17:18], v[15:16], off
	s_or_b64 exec, exec, s[38:39]
	s_and_saveexec_b64 s[38:39], s[42:43]
	s_cbranch_execnz .LBB916_296
	s_branch .LBB916_297
.LBB916_312:                            ;   in Loop: Header=BB916_250 Depth=2
	global_load_ushort v4, v[17:18], off
	v_mov_b32_e32 v16, v5
	s_waitcnt vmcnt(0)
	v_perm_b32 v15, s60, v4, v67
	s_or_b64 exec, exec, s[38:39]
	v_cmp_gt_u32_e32 vcc, s63, v64
	s_and_saveexec_b64 s[38:39], vcc
	s_cbranch_execz .LBB916_255
.LBB916_313:                            ;   in Loop: Header=BB916_250 Depth=2
	global_load_ushort v4, v[17:18], off offset:128
	s_waitcnt vmcnt(0)
	v_perm_b32 v15, v4, v15, s7
	s_or_b64 exec, exec, s[38:39]
	v_cmp_gt_u32_e32 vcc, s63, v65
	s_and_saveexec_b64 s[38:39], vcc
	s_cbranch_execnz .LBB916_256
	s_branch .LBB916_257
.LBB916_314:                            ;   in Loop: Header=BB916_12 Depth=1
	s_waitcnt lgkmcnt(0)
	s_barrier
	s_mov_b64 s[18:19], 0
.LBB916_315:                            ;   in Loop: Header=BB916_12 Depth=1
	s_and_b64 vcc, exec, s[18:19]
	s_cbranch_vccz .LBB916_11
; %bb.316:                              ;   in Loop: Header=BB916_12 Depth=1
	v_mov_b32_e32 v4, v3
	v_mov_b32_e32 v7, v4
	s_mov_b32 s22, s71
	s_mov_b32 s56, s74
	v_mov_b32_e32 v6, v3
	s_barrier
	s_branch .LBB916_318
.LBB916_317:                            ;   in Loop: Header=BB916_318 Depth=2
	s_or_b64 exec, exec, s[18:19]
	s_addk_i32 s22, 0xfc00
	s_cmp_ge_u32 s23, s75
	s_mov_b32 s56, s23
	s_cbranch_scc1 .LBB916_338
.LBB916_318:                            ;   Parent Loop BB916_12 Depth=1
                                        ; =>  This Inner Loop Header: Depth=2
	s_add_i32 s23, s56, 0x400
	s_cmp_gt_u32 s23, s75
	s_mov_b64 s[18:19], -1
                                        ; implicit-def: $vgpr8_vgpr9
	s_cbranch_scc1 .LBB916_320
; %bb.319:                              ;   in Loop: Header=BB916_318 Depth=2
	s_lshl_b64 s[18:19], s[56:57], 1
	v_mov_b32_e32 v4, s19
	v_add_co_u32_e32 v8, vcc, s18, v39
	v_addc_co_u32_e32 v9, vcc, v40, v4, vcc
	global_load_ushort v4, v[8:9], off
	global_load_ushort v10, v[8:9], off offset:1024
	global_load_ushort v11, v[8:9], off offset:1536
	global_load_ushort v12, v[8:9], off offset:512
	s_mov_b64 s[18:19], 0
	s_waitcnt vmcnt(1)
	v_perm_b32 v9, v11, v10, s7
	s_waitcnt vmcnt(0)
	v_perm_b32 v8, v12, v4, s7
.LBB916_320:                            ;   in Loop: Header=BB916_318 Depth=2
	s_andn2_b64 vcc, exec, s[18:19]
	s_movk_i32 s20, 0x400
	s_cbranch_vccnz .LBB916_327
; %bb.321:                              ;   in Loop: Header=BB916_318 Depth=2
	s_lshl_b64 s[18:19], s[56:57], 1
	s_add_u32 s18, s48, s18
	s_addc_u32 s19, s49, s19
	v_cmp_gt_u32_e32 vcc, s22, v0
	s_and_saveexec_b64 s[20:21], vcc
	s_cbranch_execnz .LBB916_335
; %bb.322:                              ;   in Loop: Header=BB916_318 Depth=2
	s_or_b64 exec, exec, s[20:21]
	v_cmp_gt_u32_e32 vcc, s22, v20
	s_and_saveexec_b64 s[20:21], vcc
	s_cbranch_execnz .LBB916_336
.LBB916_323:                            ;   in Loop: Header=BB916_318 Depth=2
	s_or_b64 exec, exec, s[20:21]
	v_cmp_gt_u32_e32 vcc, s22, v49
	s_and_saveexec_b64 s[20:21], vcc
	s_cbranch_execnz .LBB916_337
.LBB916_324:                            ;   in Loop: Header=BB916_318 Depth=2
	s_or_b64 exec, exec, s[20:21]
	v_cmp_gt_u32_e32 vcc, s22, v50
	s_and_saveexec_b64 s[20:21], vcc
	s_cbranch_execz .LBB916_326
.LBB916_325:                            ;   in Loop: Header=BB916_318 Depth=2
	global_load_ushort v4, v58, s[18:19] offset:1536
	s_waitcnt vmcnt(0)
	v_perm_b32 v7, v4, v7, s7
.LBB916_326:                            ;   in Loop: Header=BB916_318 Depth=2
	s_or_b64 exec, exec, s[20:21]
	v_mov_b32_e32 v9, v7
	s_mov_b32 s20, s22
	v_mov_b32_e32 v8, v6
.LBB916_327:                            ;   in Loop: Header=BB916_318 Depth=2
	v_mov_b32_e32 v6, v8
	v_mov_b32_e32 v7, v9
	v_cmp_gt_u32_e32 vcc, s20, v0
	s_and_saveexec_b64 s[18:19], vcc
	s_cbranch_execnz .LBB916_331
; %bb.328:                              ;   in Loop: Header=BB916_318 Depth=2
	s_or_b64 exec, exec, s[18:19]
	v_cmp_gt_u32_e32 vcc, s20, v20
	s_and_saveexec_b64 s[18:19], vcc
	s_cbranch_execnz .LBB916_332
.LBB916_329:                            ;   in Loop: Header=BB916_318 Depth=2
	s_or_b64 exec, exec, s[18:19]
	v_cmp_gt_u32_e32 vcc, s20, v49
	s_and_saveexec_b64 s[18:19], vcc
	s_cbranch_execnz .LBB916_333
.LBB916_330:                            ;   in Loop: Header=BB916_318 Depth=2
	s_or_b64 exec, exec, s[18:19]
	v_cmp_gt_u32_e32 vcc, s20, v50
	s_and_saveexec_b64 s[18:19], vcc
	s_cbranch_execz .LBB916_317
	s_branch .LBB916_334
.LBB916_331:                            ;   in Loop: Header=BB916_318 Depth=2
	v_xor_b32_e32 v4, 0x7fff, v6
	v_lshrrev_b32_sdwa v4, s69, v4 dst_sel:DWORD dst_unused:UNUSED_PAD src0_sel:DWORD src1_sel:WORD_0
	v_and_b32_e32 v4, s62, v4
	v_lshl_or_b32 v4, v4, 4, v23
	ds_add_u32 v4, v55
	s_or_b64 exec, exec, s[18:19]
	v_cmp_gt_u32_e32 vcc, s20, v20
	s_and_saveexec_b64 s[18:19], vcc
	s_cbranch_execz .LBB916_329
.LBB916_332:                            ;   in Loop: Header=BB916_318 Depth=2
	v_xor_b32_sdwa v4, v6, s59 dst_sel:DWORD dst_unused:UNUSED_PAD src0_sel:WORD_1 src1_sel:DWORD
	v_lshrrev_b32_sdwa v4, s69, v4 dst_sel:DWORD dst_unused:UNUSED_PAD src0_sel:DWORD src1_sel:WORD_0
	v_and_b32_e32 v4, s62, v4
	v_lshl_or_b32 v4, v4, 4, v23
	ds_add_u32 v4, v55
	s_or_b64 exec, exec, s[18:19]
	v_cmp_gt_u32_e32 vcc, s20, v49
	s_and_saveexec_b64 s[18:19], vcc
	s_cbranch_execz .LBB916_330
.LBB916_333:                            ;   in Loop: Header=BB916_318 Depth=2
	v_xor_b32_e32 v4, 0x7fff, v7
	v_lshrrev_b32_sdwa v4, s69, v4 dst_sel:DWORD dst_unused:UNUSED_PAD src0_sel:DWORD src1_sel:WORD_0
	v_and_b32_e32 v4, s62, v4
	v_lshl_or_b32 v4, v4, 4, v23
	ds_add_u32 v4, v55
	s_or_b64 exec, exec, s[18:19]
	v_cmp_gt_u32_e32 vcc, s20, v50
	s_and_saveexec_b64 s[18:19], vcc
	s_cbranch_execz .LBB916_317
.LBB916_334:                            ;   in Loop: Header=BB916_318 Depth=2
	v_xor_b32_sdwa v4, v7, s59 dst_sel:DWORD dst_unused:UNUSED_PAD src0_sel:WORD_1 src1_sel:DWORD
	v_lshrrev_b32_sdwa v4, s69, v4 dst_sel:DWORD dst_unused:UNUSED_PAD src0_sel:DWORD src1_sel:WORD_0
	v_and_b32_e32 v4, s62, v4
	v_lshl_or_b32 v4, v4, 4, v23
	ds_add_u32 v4, v55
	s_branch .LBB916_317
.LBB916_335:                            ;   in Loop: Header=BB916_318 Depth=2
	global_load_ushort v4, v58, s[18:19]
	s_waitcnt vmcnt(0)
	v_bfi_b32 v6, s58, v4, v6
	s_or_b64 exec, exec, s[20:21]
	v_cmp_gt_u32_e32 vcc, s22, v20
	s_and_saveexec_b64 s[20:21], vcc
	s_cbranch_execz .LBB916_323
.LBB916_336:                            ;   in Loop: Header=BB916_318 Depth=2
	global_load_ushort v4, v58, s[18:19] offset:512
	s_waitcnt vmcnt(0)
	v_perm_b32 v6, v4, v6, s7
	s_or_b64 exec, exec, s[20:21]
	v_cmp_gt_u32_e32 vcc, s22, v49
	s_and_saveexec_b64 s[20:21], vcc
	s_cbranch_execz .LBB916_324
.LBB916_337:                            ;   in Loop: Header=BB916_318 Depth=2
	global_load_ushort v4, v58, s[18:19] offset:1024
	s_waitcnt vmcnt(0)
	v_bfi_b32 v7, s58, v4, v7
	s_or_b64 exec, exec, s[20:21]
	v_cmp_gt_u32_e32 vcc, s22, v50
	s_and_saveexec_b64 s[20:21], vcc
	s_cbranch_execnz .LBB916_325
	s_branch .LBB916_326
.LBB916_338:                            ;   in Loop: Header=BB916_12 Depth=1
	v_mov_b32_e32 v4, 0
	s_waitcnt lgkmcnt(0)
	s_barrier
	s_and_saveexec_b64 s[18:19], s[4:5]
	s_cbranch_execz .LBB916_340
; %bb.339:                              ;   in Loop: Header=BB916_12 Depth=1
	ds_read2_b64 v[6:9], v24 offset1:1
	s_waitcnt lgkmcnt(0)
	v_add_u32_e32 v4, v7, v6
	v_add3_u32 v4, v4, v8, v9
.LBB916_340:                            ;   in Loop: Header=BB916_12 Depth=1
	s_or_b64 exec, exec, s[18:19]
	s_nop 0
	v_mov_b32_dpp v6, v4 row_shr:1 row_mask:0xf bank_mask:0xf
	v_cmp_eq_u32_e64 s[18:19], 0, v59
	v_cndmask_b32_e64 v6, v6, 0, s[18:19]
	v_add_u32_e32 v4, v6, v4
	v_cmp_lt_u32_e64 s[20:21], 1, v59
	v_cmp_lt_u32_e64 s[22:23], 3, v59
	v_mov_b32_dpp v6, v4 row_shr:2 row_mask:0xf bank_mask:0xf
	v_cndmask_b32_e64 v6, 0, v6, s[20:21]
	v_add_u32_e32 v4, v4, v6
	v_cmp_lt_u32_e64 s[24:25], 7, v59
	v_cmp_lt_u32_e64 s[28:29], 31, v45
	v_mov_b32_dpp v6, v4 row_shr:4 row_mask:0xf bank_mask:0xf
	v_cndmask_b32_e64 v6, 0, v6, s[22:23]
	v_add_u32_e32 v4, v4, v6
	v_cmp_eq_u32_e64 s[26:27], 0, v61
	s_nop 0
	v_mov_b32_dpp v6, v4 row_shr:8 row_mask:0xf bank_mask:0xf
	v_cndmask_b32_e64 v6, 0, v6, s[24:25]
	v_add_u32_e32 v4, v4, v6
	s_nop 1
	v_mov_b32_dpp v6, v4 row_bcast:15 row_mask:0xf bank_mask:0xf
	v_and_b32_e32 v6, v60, v6
	v_add_u32_e32 v4, v4, v6
	s_nop 1
	v_mov_b32_dpp v6, v4 row_bcast:31 row_mask:0xf bank_mask:0xf
	v_cndmask_b32_e64 v6, 0, v6, s[28:29]
	v_add_u32_e32 v4, v4, v6
	s_and_saveexec_b64 s[30:31], s[8:9]
; %bb.341:                              ;   in Loop: Header=BB916_12 Depth=1
	ds_write_b32 v51, v4
; %bb.342:                              ;   in Loop: Header=BB916_12 Depth=1
	s_or_b64 exec, exec, s[30:31]
	s_waitcnt lgkmcnt(0)
	s_barrier
	s_and_saveexec_b64 s[30:31], s[10:11]
	s_cbranch_execz .LBB916_344
; %bb.343:                              ;   in Loop: Header=BB916_12 Depth=1
	ds_read_b32 v6, v52
	v_cmp_ne_u32_e32 vcc, 0, v62
	s_waitcnt lgkmcnt(0)
	v_mov_b32_dpp v7, v6 row_shr:1 row_mask:0xf bank_mask:0xf
	v_cndmask_b32_e32 v7, 0, v7, vcc
	v_add_u32_e32 v6, v7, v6
	v_cmp_lt_u32_e32 vcc, 1, v62
	s_nop 0
	v_mov_b32_dpp v7, v6 row_shr:2 row_mask:0xf bank_mask:0xf
	v_cndmask_b32_e32 v7, 0, v7, vcc
	v_add_u32_e32 v6, v6, v7
	ds_write_b32 v52, v6
.LBB916_344:                            ;   in Loop: Header=BB916_12 Depth=1
	s_or_b64 exec, exec, s[30:31]
	v_mov_b32_e32 v6, 0
	s_waitcnt lgkmcnt(0)
	s_barrier
	s_and_saveexec_b64 s[30:31], s[12:13]
; %bb.345:                              ;   in Loop: Header=BB916_12 Depth=1
	ds_read_b32 v6, v53
; %bb.346:                              ;   in Loop: Header=BB916_12 Depth=1
	s_or_b64 exec, exec, s[30:31]
	v_subrev_co_u32_e64 v7, s[30:31], 1, v45
	v_cmp_lt_i32_e32 vcc, v7, v63
	v_cndmask_b32_e32 v7, v7, v45, vcc
	s_waitcnt lgkmcnt(0)
	v_add_u32_e32 v4, v6, v4
	v_lshlrev_b32_e32 v68, 2, v7
	ds_bpermute_b32 v4, v68, v4
	s_waitcnt lgkmcnt(0)
	s_barrier
	s_and_saveexec_b64 s[34:35], s[4:5]
; %bb.347:                              ;   in Loop: Header=BB916_12 Depth=1
	v_cndmask_b32_e64 v4, v4, v6, s[30:31]
	v_add_u32_e32 v4, s74, v4
	ds_write_b32 v19, v4
; %bb.348:                              ;   in Loop: Header=BB916_12 Depth=1
	s_or_b64 exec, exec, s[34:35]
	s_load_dwordx2 s[34:35], s[46:47], 0x0
	v_add_co_u32_e32 v69, vcc, v41, v46
	v_addc_co_u32_e32 v70, vcc, 0, v42, vcc
	s_waitcnt lgkmcnt(0)
	s_cmp_lt_u32 s33, s35
	s_cselect_b32 s35, 14, 20
	s_add_u32 s36, s46, s35
	s_addc_u32 s37, s47, 0
	s_cmp_lt_u32 s6, s34
	s_cselect_b32 s34, 12, 18
	s_add_u32 s34, s46, s34
	global_load_ushort v4, v3, s[36:37]
	s_addc_u32 s35, s47, 0
	global_load_ushort v6, v3, s[34:35]
	v_add_co_u32_e32 v71, vcc, v43, v48
	v_cmp_eq_u32_e64 s[34:35], 0, v62
	v_cmp_lt_u32_e64 s[36:37], 1, v62
	v_addc_co_u32_e32 v72, vcc, 0, v44, vcc
	s_mov_b32 s63, s71
	s_mov_b32 s56, s74
                                        ; implicit-def: $vgpr9_vgpr10
                                        ; implicit-def: $vgpr11_vgpr12
                                        ; implicit-def: $vgpr13_vgpr14
                                        ; implicit-def: $vgpr73
                                        ; implicit-def: $vgpr74
                                        ; implicit-def: $vgpr76
                                        ; implicit-def: $vgpr77
	s_waitcnt vmcnt(1)
	v_mad_u32_u24 v4, v2, v4, v1
	s_waitcnt vmcnt(0)
	v_mad_u64_u32 v[6:7], s[38:39], v4, v6, v[0:1]
                                        ; implicit-def: $vgpr7_vgpr8
	v_lshrrev_b32_e32 v4, 4, v6
	v_and_b32_e32 v75, 0xffffffc, v4
	s_branch .LBB916_350
.LBB916_349:                            ;   in Loop: Header=BB916_350 Depth=2
	s_or_b64 exec, exec, s[38:39]
	s_addk_i32 s63, 0xfc00
	s_cmp_lt_u32 s68, s75
	s_mov_b32 s56, s68
	s_cbranch_scc0 .LBB916_10
.LBB916_350:                            ;   Parent Loop BB916_12 Depth=1
                                        ; =>  This Inner Loop Header: Depth=2
	s_add_i32 s68, s56, 0x400
	s_cmp_gt_u32 s68, s75
	s_cbranch_scc1 .LBB916_352
; %bb.351:                              ;   in Loop: Header=BB916_350 Depth=2
	s_lshl_b64 s[38:39], s[56:57], 1
	v_mov_b32_e32 v4, s39
	v_add_co_u32_e32 v15, vcc, s38, v71
	v_addc_co_u32_e32 v16, vcc, v72, v4, vcc
	global_load_ushort v4, v[15:16], off
	global_load_ushort v6, v[15:16], off offset:128
	s_nop 0
	global_load_ushort v16, v[15:16], off offset:256
	s_mov_b64 s[38:39], -1
	s_waitcnt vmcnt(1)
	v_perm_b32 v15, v6, v4, s7
	s_movk_i32 s42, 0x400
	s_cbranch_execz .LBB916_353
	s_branch .LBB916_358
.LBB916_352:                            ;   in Loop: Header=BB916_350 Depth=2
	s_mov_b64 s[38:39], 0
                                        ; implicit-def: $vgpr15_vgpr16
	s_movk_i32 s42, 0x400
.LBB916_353:                            ;   in Loop: Header=BB916_350 Depth=2
	s_lshl_b64 s[38:39], s[56:57], 1
	v_mov_b32_e32 v4, s39
	v_add_co_u32_e32 v17, vcc, s38, v71
	v_mov_b32_e32 v6, v5
	v_addc_co_u32_e32 v18, vcc, v72, v4, vcc
	s_waitcnt vmcnt(0)
	v_mov_b32_e32 v16, v6
	v_cmp_gt_u32_e32 vcc, s63, v47
	v_mov_b32_e32 v15, v5
	s_and_saveexec_b64 s[38:39], vcc
	s_cbranch_execnz .LBB916_412
; %bb.354:                              ;   in Loop: Header=BB916_350 Depth=2
	s_or_b64 exec, exec, s[38:39]
	v_cmp_gt_u32_e32 vcc, s63, v64
	s_and_saveexec_b64 s[38:39], vcc
	s_cbranch_execnz .LBB916_413
.LBB916_355:                            ;   in Loop: Header=BB916_350 Depth=2
	s_or_b64 exec, exec, s[38:39]
	v_cmp_gt_u32_e32 vcc, s63, v65
	s_and_saveexec_b64 s[38:39], vcc
	s_cbranch_execz .LBB916_357
.LBB916_356:                            ;   in Loop: Header=BB916_350 Depth=2
	global_load_ushort v4, v[17:18], off offset:256
	s_waitcnt vmcnt(0)
	v_bfi_b32 v16, s58, v4, v16
.LBB916_357:                            ;   in Loop: Header=BB916_350 Depth=2
	s_or_b64 exec, exec, s[38:39]
	s_sub_i32 s42, s75, s56
	v_cmp_gt_u32_e64 s[38:39], s63, v66
.LBB916_358:                            ;   in Loop: Header=BB916_350 Depth=2
	v_mov_b32_e32 v78, s63
	s_and_saveexec_b64 s[40:41], s[38:39]
	s_cbranch_execz .LBB916_360
; %bb.359:                              ;   in Loop: Header=BB916_350 Depth=2
	s_lshl_b64 s[38:39], s[56:57], 1
	v_mov_b32_e32 v4, s39
	v_add_co_u32_e32 v17, vcc, s38, v71
	v_addc_co_u32_e32 v18, vcc, v72, v4, vcc
	global_load_ushort v4, v[17:18], off offset:384
	v_mov_b32_e32 v78, s42
	s_waitcnt vmcnt(0)
	v_perm_b32 v16, v4, v16, s7
.LBB916_360:                            ;   in Loop: Header=BB916_350 Depth=2
	s_or_b64 exec, exec, s[40:41]
	v_xor_b32_e32 v6, 0x7fff, v15
	v_lshrrev_b32_sdwa v4, s69, v6 dst_sel:DWORD dst_unused:UNUSED_PAD src0_sel:DWORD src1_sel:WORD_0
	v_and_b32_e32 v17, s62, v4
	v_and_b32_e32 v4, 1, v17
	v_add_co_u32_e32 v18, vcc, -1, v4
	v_addc_co_u32_e64 v79, s[38:39], 0, -1, vcc
	v_cmp_ne_u32_e32 vcc, 0, v4
	v_xor_b32_e32 v4, vcc_hi, v79
	v_and_b32_e32 v79, exec_hi, v4
	v_lshlrev_b32_e32 v4, 30, v17
	v_xor_b32_e32 v18, vcc_lo, v18
	v_cmp_gt_i64_e32 vcc, 0, v[3:4]
	v_not_b32_e32 v4, v4
	v_ashrrev_i32_e32 v4, 31, v4
	v_and_b32_e32 v18, exec_lo, v18
	v_xor_b32_e32 v81, vcc_hi, v4
	v_xor_b32_e32 v4, vcc_lo, v4
	v_and_b32_e32 v18, v18, v4
	v_lshlrev_b32_e32 v4, 29, v17
	v_cmp_gt_i64_e32 vcc, 0, v[3:4]
	v_not_b32_e32 v4, v4
	v_ashrrev_i32_e32 v4, 31, v4
	v_and_b32_e32 v79, v79, v81
	v_xor_b32_e32 v81, vcc_hi, v4
	v_xor_b32_e32 v4, vcc_lo, v4
	v_and_b32_e32 v18, v18, v4
	v_lshlrev_b32_e32 v4, 28, v17
	v_cmp_gt_i64_e32 vcc, 0, v[3:4]
	v_not_b32_e32 v4, v4
	v_ashrrev_i32_e32 v4, 31, v4
	v_and_b32_e32 v79, v79, v81
	;; [unrolled: 8-line block ×5, first 2 shown]
	v_xor_b32_e32 v81, vcc_hi, v4
	v_xor_b32_e32 v4, vcc_lo, v4
	v_and_b32_e32 v79, v79, v81
	v_and_b32_e32 v81, v18, v4
	v_lshlrev_b32_e32 v4, 24, v17
	v_cmp_gt_i64_e32 vcc, 0, v[3:4]
	v_not_b32_e32 v4, v4
	v_ashrrev_i32_e32 v4, 31, v4
	v_mul_u32_u24_e32 v80, 20, v17
	v_xor_b32_e32 v17, vcc_hi, v4
	v_xor_b32_e32 v4, vcc_lo, v4
	v_and_b32_e32 v18, v79, v17
	v_and_b32_e32 v17, v81, v4
	v_mbcnt_lo_u32_b32 v4, v17, 0
	v_mbcnt_hi_u32_b32 v79, v18, v4
	v_cmp_ne_u64_e32 vcc, 0, v[17:18]
	v_cmp_eq_u32_e64 s[38:39], 0, v79
	s_and_b64 s[40:41], vcc, s[38:39]
	v_add_u32_e32 v82, v75, v80
	ds_write2_b32 v56, v3, v3 offset1:1
	ds_write2_b32 v57, v3, v3 offset1:1
	ds_write_b32 v26, v3 offset:1056
	s_waitcnt vmcnt(0) lgkmcnt(0)
	s_barrier
	; wave barrier
	s_and_saveexec_b64 s[38:39], s[40:41]
; %bb.361:                              ;   in Loop: Header=BB916_350 Depth=2
	v_bcnt_u32_b32 v4, v17, 0
	v_bcnt_u32_b32 v4, v18, v4
	ds_write_b32 v82, v4 offset:1040
; %bb.362:                              ;   in Loop: Header=BB916_350 Depth=2
	s_or_b64 exec, exec, s[38:39]
	v_xor_b32_sdwa v80, v15, s59 dst_sel:DWORD dst_unused:UNUSED_PAD src0_sel:WORD_1 src1_sel:DWORD
	v_lshrrev_b32_sdwa v4, s69, v80 dst_sel:DWORD dst_unused:UNUSED_PAD src0_sel:DWORD src1_sel:WORD_0
	v_and_b32_e32 v15, s62, v4
	v_mad_u32_u24 v4, v15, 20, v75
	; wave barrier
	ds_read_b32 v81, v4 offset:1040
	v_and_b32_e32 v4, 1, v15
	v_add_co_u32_e32 v17, vcc, -1, v4
	v_addc_co_u32_e64 v18, s[38:39], 0, -1, vcc
	v_cmp_ne_u32_e32 vcc, 0, v4
	v_xor_b32_e32 v4, vcc_hi, v18
	v_and_b32_e32 v18, exec_hi, v4
	v_lshlrev_b32_e32 v4, 30, v15
	v_xor_b32_e32 v17, vcc_lo, v17
	v_cmp_gt_i64_e32 vcc, 0, v[3:4]
	v_not_b32_e32 v4, v4
	v_ashrrev_i32_e32 v4, 31, v4
	v_and_b32_e32 v17, exec_lo, v17
	v_xor_b32_e32 v83, vcc_hi, v4
	v_xor_b32_e32 v4, vcc_lo, v4
	v_and_b32_e32 v17, v17, v4
	v_lshlrev_b32_e32 v4, 29, v15
	v_cmp_gt_i64_e32 vcc, 0, v[3:4]
	v_not_b32_e32 v4, v4
	v_ashrrev_i32_e32 v4, 31, v4
	v_and_b32_e32 v18, v18, v83
	v_xor_b32_e32 v83, vcc_hi, v4
	v_xor_b32_e32 v4, vcc_lo, v4
	v_and_b32_e32 v17, v17, v4
	v_lshlrev_b32_e32 v4, 28, v15
	v_cmp_gt_i64_e32 vcc, 0, v[3:4]
	v_not_b32_e32 v4, v4
	v_ashrrev_i32_e32 v4, 31, v4
	v_and_b32_e32 v18, v18, v83
	;; [unrolled: 8-line block ×5, first 2 shown]
	v_xor_b32_e32 v83, vcc_hi, v4
	v_xor_b32_e32 v4, vcc_lo, v4
	v_and_b32_e32 v17, v17, v4
	v_lshlrev_b32_e32 v4, 24, v15
	v_cmp_gt_i64_e32 vcc, 0, v[3:4]
	v_not_b32_e32 v4, v4
	v_ashrrev_i32_e32 v4, 31, v4
	v_mul_u32_u24_e32 v84, 20, v15
	v_xor_b32_e32 v15, vcc_hi, v4
	v_xor_b32_e32 v4, vcc_lo, v4
	v_and_b32_e32 v18, v18, v83
	v_and_b32_e32 v17, v17, v4
	;; [unrolled: 1-line block ×3, first 2 shown]
	v_mbcnt_lo_u32_b32 v4, v17, 0
	v_mbcnt_hi_u32_b32 v83, v18, v4
	v_cmp_ne_u64_e32 vcc, 0, v[17:18]
	v_cmp_eq_u32_e64 s[38:39], 0, v83
	s_and_b64 s[40:41], vcc, s[38:39]
	v_add_u32_e32 v86, v75, v84
	; wave barrier
	s_and_saveexec_b64 s[38:39], s[40:41]
	s_cbranch_execz .LBB916_364
; %bb.363:                              ;   in Loop: Header=BB916_350 Depth=2
	v_bcnt_u32_b32 v4, v17, 0
	v_bcnt_u32_b32 v4, v18, v4
	s_waitcnt lgkmcnt(0)
	v_add_u32_e32 v4, v81, v4
	ds_write_b32 v86, v4 offset:1040
.LBB916_364:                            ;   in Loop: Header=BB916_350 Depth=2
	s_or_b64 exec, exec, s[38:39]
	v_xor_b32_e32 v84, 0x7fff, v16
	v_lshrrev_b32_sdwa v4, s69, v84 dst_sel:DWORD dst_unused:UNUSED_PAD src0_sel:DWORD src1_sel:WORD_0
	v_and_b32_e32 v15, s62, v4
	v_mad_u32_u24 v4, v15, 20, v75
	; wave barrier
	ds_read_b32 v85, v4 offset:1040
	v_and_b32_e32 v4, 1, v15
	v_add_co_u32_e32 v17, vcc, -1, v4
	v_addc_co_u32_e64 v18, s[38:39], 0, -1, vcc
	v_cmp_ne_u32_e32 vcc, 0, v4
	v_xor_b32_e32 v4, vcc_hi, v18
	v_and_b32_e32 v18, exec_hi, v4
	v_lshlrev_b32_e32 v4, 30, v15
	v_xor_b32_e32 v17, vcc_lo, v17
	v_cmp_gt_i64_e32 vcc, 0, v[3:4]
	v_not_b32_e32 v4, v4
	v_ashrrev_i32_e32 v4, 31, v4
	v_and_b32_e32 v17, exec_lo, v17
	v_xor_b32_e32 v87, vcc_hi, v4
	v_xor_b32_e32 v4, vcc_lo, v4
	v_and_b32_e32 v17, v17, v4
	v_lshlrev_b32_e32 v4, 29, v15
	v_cmp_gt_i64_e32 vcc, 0, v[3:4]
	v_not_b32_e32 v4, v4
	v_ashrrev_i32_e32 v4, 31, v4
	v_and_b32_e32 v18, v18, v87
	v_xor_b32_e32 v87, vcc_hi, v4
	v_xor_b32_e32 v4, vcc_lo, v4
	v_and_b32_e32 v17, v17, v4
	v_lshlrev_b32_e32 v4, 28, v15
	v_cmp_gt_i64_e32 vcc, 0, v[3:4]
	v_not_b32_e32 v4, v4
	v_ashrrev_i32_e32 v4, 31, v4
	v_and_b32_e32 v18, v18, v87
	;; [unrolled: 8-line block ×5, first 2 shown]
	v_xor_b32_e32 v87, vcc_hi, v4
	v_xor_b32_e32 v4, vcc_lo, v4
	v_and_b32_e32 v17, v17, v4
	v_lshlrev_b32_e32 v4, 24, v15
	v_cmp_gt_i64_e32 vcc, 0, v[3:4]
	v_not_b32_e32 v4, v4
	v_ashrrev_i32_e32 v4, 31, v4
	v_mul_u32_u24_e32 v88, 20, v15
	v_xor_b32_e32 v15, vcc_hi, v4
	v_xor_b32_e32 v4, vcc_lo, v4
	v_and_b32_e32 v18, v18, v87
	v_and_b32_e32 v17, v17, v4
	v_and_b32_e32 v18, v18, v15
	v_mbcnt_lo_u32_b32 v4, v17, 0
	v_mbcnt_hi_u32_b32 v87, v18, v4
	v_cmp_ne_u64_e32 vcc, 0, v[17:18]
	v_cmp_eq_u32_e64 s[38:39], 0, v87
	s_and_b64 s[40:41], vcc, s[38:39]
	v_add_u32_e32 v90, v75, v88
	; wave barrier
	s_and_saveexec_b64 s[38:39], s[40:41]
	s_cbranch_execz .LBB916_366
; %bb.365:                              ;   in Loop: Header=BB916_350 Depth=2
	v_bcnt_u32_b32 v4, v17, 0
	v_bcnt_u32_b32 v4, v18, v4
	s_waitcnt lgkmcnt(0)
	v_add_u32_e32 v4, v85, v4
	ds_write_b32 v90, v4 offset:1040
.LBB916_366:                            ;   in Loop: Header=BB916_350 Depth=2
	s_or_b64 exec, exec, s[38:39]
	v_xor_b32_sdwa v88, v16, s59 dst_sel:DWORD dst_unused:UNUSED_PAD src0_sel:WORD_1 src1_sel:DWORD
	v_lshrrev_b32_sdwa v4, s69, v88 dst_sel:DWORD dst_unused:UNUSED_PAD src0_sel:DWORD src1_sel:WORD_0
	v_and_b32_e32 v15, s62, v4
	v_mad_u32_u24 v4, v15, 20, v75
	; wave barrier
	ds_read_b32 v89, v4 offset:1040
	v_and_b32_e32 v4, 1, v15
	v_add_co_u32_e32 v16, vcc, -1, v4
	v_addc_co_u32_e64 v18, s[38:39], 0, -1, vcc
	v_cmp_ne_u32_e32 vcc, 0, v4
	v_xor_b32_e32 v4, vcc_hi, v18
	v_and_b32_e32 v18, exec_hi, v4
	v_lshlrev_b32_e32 v4, 30, v15
	v_xor_b32_e32 v16, vcc_lo, v16
	v_cmp_gt_i64_e32 vcc, 0, v[3:4]
	v_not_b32_e32 v4, v4
	v_ashrrev_i32_e32 v4, 31, v4
	v_and_b32_e32 v16, exec_lo, v16
	v_xor_b32_e32 v91, vcc_hi, v4
	v_xor_b32_e32 v4, vcc_lo, v4
	v_and_b32_e32 v16, v16, v4
	v_lshlrev_b32_e32 v4, 29, v15
	v_cmp_gt_i64_e32 vcc, 0, v[3:4]
	v_not_b32_e32 v4, v4
	v_ashrrev_i32_e32 v4, 31, v4
	v_and_b32_e32 v18, v18, v91
	v_xor_b32_e32 v91, vcc_hi, v4
	v_xor_b32_e32 v4, vcc_lo, v4
	v_and_b32_e32 v16, v16, v4
	v_lshlrev_b32_e32 v4, 28, v15
	v_cmp_gt_i64_e32 vcc, 0, v[3:4]
	v_not_b32_e32 v4, v4
	v_ashrrev_i32_e32 v4, 31, v4
	v_and_b32_e32 v18, v18, v91
	;; [unrolled: 8-line block ×5, first 2 shown]
	v_xor_b32_e32 v91, vcc_hi, v4
	v_xor_b32_e32 v4, vcc_lo, v4
	v_and_b32_e32 v18, v18, v91
	v_and_b32_e32 v91, v16, v4
	v_lshlrev_b32_e32 v4, 24, v15
	v_cmp_gt_i64_e32 vcc, 0, v[3:4]
	v_not_b32_e32 v4, v4
	v_ashrrev_i32_e32 v4, 31, v4
	v_mul_u32_u24_e32 v17, 20, v15
	v_xor_b32_e32 v15, vcc_hi, v4
	v_xor_b32_e32 v4, vcc_lo, v4
	v_and_b32_e32 v16, v18, v15
	v_and_b32_e32 v15, v91, v4
	v_mbcnt_lo_u32_b32 v4, v15, 0
	v_mbcnt_hi_u32_b32 v4, v16, v4
	v_cmp_ne_u64_e32 vcc, 0, v[15:16]
	v_cmp_eq_u32_e64 s[38:39], 0, v4
	s_and_b64 s[40:41], vcc, s[38:39]
	v_add_u32_e32 v91, v75, v17
	; wave barrier
	s_and_saveexec_b64 s[38:39], s[40:41]
	s_cbranch_execz .LBB916_368
; %bb.367:                              ;   in Loop: Header=BB916_350 Depth=2
	v_bcnt_u32_b32 v15, v15, 0
	v_bcnt_u32_b32 v15, v16, v15
	s_waitcnt lgkmcnt(0)
	v_add_u32_e32 v15, v89, v15
	ds_write_b32 v91, v15 offset:1040
.LBB916_368:                            ;   in Loop: Header=BB916_350 Depth=2
	s_or_b64 exec, exec, s[38:39]
	; wave barrier
	s_waitcnt lgkmcnt(0)
	s_barrier
	ds_read2_b32 v[17:18], v56 offset1:1
	ds_read2_b32 v[15:16], v57 offset1:1
	ds_read_b32 v92, v26 offset:1056
	s_waitcnt lgkmcnt(1)
	v_add3_u32 v93, v18, v17, v15
	s_waitcnt lgkmcnt(0)
	v_add3_u32 v92, v93, v16, v92
	s_nop 1
	v_mov_b32_dpp v93, v92 row_shr:1 row_mask:0xf bank_mask:0xf
	v_cndmask_b32_e64 v93, v93, 0, s[18:19]
	v_add_u32_e32 v92, v93, v92
	s_nop 1
	v_mov_b32_dpp v93, v92 row_shr:2 row_mask:0xf bank_mask:0xf
	v_cndmask_b32_e64 v93, 0, v93, s[20:21]
	v_add_u32_e32 v92, v92, v93
	;; [unrolled: 4-line block ×4, first 2 shown]
	s_nop 1
	v_mov_b32_dpp v93, v92 row_bcast:15 row_mask:0xf bank_mask:0xf
	v_cndmask_b32_e64 v93, v93, 0, s[26:27]
	v_add_u32_e32 v92, v92, v93
	s_nop 1
	v_mov_b32_dpp v93, v92 row_bcast:31 row_mask:0xf bank_mask:0xf
	v_cndmask_b32_e64 v93, 0, v93, s[28:29]
	v_add_u32_e32 v92, v92, v93
	s_and_saveexec_b64 s[38:39], s[8:9]
; %bb.369:                              ;   in Loop: Header=BB916_350 Depth=2
	ds_write_b32 v25, v92 offset:1024
; %bb.370:                              ;   in Loop: Header=BB916_350 Depth=2
	s_or_b64 exec, exec, s[38:39]
	s_waitcnt lgkmcnt(0)
	s_barrier
	s_and_saveexec_b64 s[38:39], s[10:11]
	s_cbranch_execz .LBB916_372
; %bb.371:                              ;   in Loop: Header=BB916_350 Depth=2
	ds_read_b32 v93, v27 offset:1024
	s_waitcnt lgkmcnt(0)
	s_nop 0
	v_mov_b32_dpp v94, v93 row_shr:1 row_mask:0xf bank_mask:0xf
	v_cndmask_b32_e64 v94, v94, 0, s[34:35]
	v_add_u32_e32 v93, v94, v93
	s_nop 1
	v_mov_b32_dpp v94, v93 row_shr:2 row_mask:0xf bank_mask:0xf
	v_cndmask_b32_e64 v94, 0, v94, s[36:37]
	v_add_u32_e32 v93, v93, v94
	ds_write_b32 v27, v93 offset:1024
.LBB916_372:                            ;   in Loop: Header=BB916_350 Depth=2
	s_or_b64 exec, exec, s[38:39]
	v_mov_b32_e32 v93, 0
	s_waitcnt lgkmcnt(0)
	s_barrier
	s_and_saveexec_b64 s[38:39], s[12:13]
; %bb.373:                              ;   in Loop: Header=BB916_350 Depth=2
	ds_read_b32 v93, v25 offset:1020
; %bb.374:                              ;   in Loop: Header=BB916_350 Depth=2
	s_or_b64 exec, exec, s[38:39]
	s_waitcnt lgkmcnt(0)
	v_add_u32_e32 v92, v93, v92
	ds_bpermute_b32 v92, v68, v92
	s_waitcnt lgkmcnt(0)
	v_cndmask_b32_e64 v92, v92, v93, s[30:31]
	v_cndmask_b32_e64 v92, v92, 0, s[14:15]
	v_add_u32_e32 v17, v92, v17
	v_add_u32_e32 v18, v17, v18
	;; [unrolled: 1-line block ×4, first 2 shown]
	ds_write2_b32 v56, v92, v17 offset1:1
	ds_write2_b32 v57, v18, v15 offset1:1
	ds_write_b32 v26, v16 offset:1056
	s_waitcnt lgkmcnt(0)
	s_barrier
	ds_read_b32 v15, v82 offset:1040
	ds_read_b32 v16, v86 offset:1040
	;; [unrolled: 1-line block ×5, first 2 shown]
	v_mov_b32_e32 v82, 0x400
	s_and_saveexec_b64 s[38:39], s[16:17]
; %bb.375:                              ;   in Loop: Header=BB916_350 Depth=2
	ds_read_b32 v82, v26 offset:1060
; %bb.376:                              ;   in Loop: Header=BB916_350 Depth=2
	s_or_b64 exec, exec, s[38:39]
	s_waitcnt lgkmcnt(0)
	s_barrier
	s_and_saveexec_b64 s[38:39], s[4:5]
	s_cbranch_execz .LBB916_378
; %bb.377:                              ;   in Loop: Header=BB916_350 Depth=2
	ds_read_b32 v90, v19
	s_waitcnt lgkmcnt(0)
	v_sub_u32_e32 v86, v90, v86
	ds_write_b32 v19, v86
.LBB916_378:                            ;   in Loop: Header=BB916_350 Depth=2
	s_or_b64 exec, exec, s[38:39]
	v_add_u32_e32 v86, v15, v79
	v_add3_u32 v83, v83, v81, v16
	v_add3_u32 v81, v87, v85, v17
	;; [unrolled: 1-line block ×3, first 2 shown]
	v_lshlrev_b32_e32 v16, 1, v86
	ds_write_b16 v16, v6 offset:1024
	v_lshlrev_b32_e32 v15, 1, v83
	v_lshlrev_b32_e32 v6, 1, v81
	;; [unrolled: 1-line block ×3, first 2 shown]
	v_cmp_lt_u32_e32 vcc, v0, v78
	ds_write_b16 v15, v80 offset:1024
	ds_write_b16 v6, v84 offset:1024
	ds_write_b16 v4, v88 offset:1024
	s_waitcnt lgkmcnt(0)
	s_barrier
	s_and_saveexec_b64 s[40:41], vcc
	s_cbranch_execnz .LBB916_399
; %bb.379:                              ;   in Loop: Header=BB916_350 Depth=2
	s_or_b64 exec, exec, s[40:41]
	v_cmp_lt_u32_e64 s[38:39], v20, v78
	s_and_saveexec_b64 s[42:43], s[38:39]
	s_cbranch_execnz .LBB916_400
.LBB916_380:                            ;   in Loop: Header=BB916_350 Depth=2
	s_or_b64 exec, exec, s[42:43]
	v_cmp_lt_u32_e64 s[40:41], v49, v78
	s_and_saveexec_b64 s[44:45], s[40:41]
	s_cbranch_execnz .LBB916_401
.LBB916_381:                            ;   in Loop: Header=BB916_350 Depth=2
	s_or_b64 exec, exec, s[44:45]
	v_cmp_lt_u32_e64 s[42:43], v50, v78
	s_and_saveexec_b64 s[54:55], s[42:43]
	s_cbranch_execz .LBB916_383
.LBB916_382:                            ;   in Loop: Header=BB916_350 Depth=2
	ds_read_u16 v17, v32 offset:2560
	v_mov_b32_e32 v84, s53
	s_waitcnt lgkmcnt(0)
	v_lshrrev_b32_sdwa v18, s69, v17 dst_sel:DWORD dst_unused:UNUSED_PAD src0_sel:DWORD src1_sel:WORD_0
	v_and_b32_e32 v18, s62, v18
	v_lshlrev_b32_e32 v18, 2, v18
	ds_read_b32 v80, v18
	v_mov_b32_e32 v18, v3
	v_xor_b32_e32 v85, 0x7fff, v17
	s_waitcnt lgkmcnt(0)
	v_add_u32_e32 v17, v80, v50
	v_lshlrev_b64 v[17:18], 1, v[17:18]
	v_add_co_u32_e64 v17, s[44:45], s52, v17
	v_addc_co_u32_e64 v18, s[44:45], v84, v18, s[44:45]
	global_store_short v[17:18], v85, off
.LBB916_383:                            ;   in Loop: Header=BB916_350 Depth=2
	s_or_b64 exec, exec, s[54:55]
	s_lshl_b64 s[44:45], s[56:57], 3
	v_mov_b32_e32 v18, s45
	v_add_co_u32_e64 v17, s[44:45], s44, v69
	v_addc_co_u32_e64 v18, s[44:45], v70, v18, s[44:45]
	v_cmp_lt_u32_e64 s[44:45], v47, v78
	s_and_saveexec_b64 s[54:55], s[44:45]
	s_xor_b64 s[44:45], exec, s[54:55]
	s_cbranch_execnz .LBB916_402
; %bb.384:                              ;   in Loop: Header=BB916_350 Depth=2
	s_or_b64 exec, exec, s[44:45]
	v_cmp_lt_u32_e64 s[44:45], v64, v78
	s_and_saveexec_b64 s[54:55], s[44:45]
	s_cbranch_execnz .LBB916_403
.LBB916_385:                            ;   in Loop: Header=BB916_350 Depth=2
	s_or_b64 exec, exec, s[54:55]
	v_cmp_lt_u32_e64 s[44:45], v65, v78
	s_and_saveexec_b64 s[54:55], s[44:45]
	s_cbranch_execnz .LBB916_404
.LBB916_386:                            ;   in Loop: Header=BB916_350 Depth=2
	s_or_b64 exec, exec, s[54:55]
	v_cmp_lt_u32_e64 s[44:45], v66, v78
	s_and_saveexec_b64 s[54:55], s[44:45]
	s_cbranch_execnz .LBB916_405
.LBB916_387:                            ;   in Loop: Header=BB916_350 Depth=2
	s_or_b64 exec, exec, s[54:55]
	s_and_saveexec_b64 s[44:45], vcc
	s_cbranch_execnz .LBB916_406
.LBB916_388:                            ;   in Loop: Header=BB916_350 Depth=2
	s_or_b64 exec, exec, s[44:45]
	s_and_saveexec_b64 s[44:45], s[38:39]
	s_cbranch_execnz .LBB916_407
.LBB916_389:                            ;   in Loop: Header=BB916_350 Depth=2
	s_or_b64 exec, exec, s[44:45]
	s_and_saveexec_b64 s[44:45], s[40:41]
	s_cbranch_execnz .LBB916_408
.LBB916_390:                            ;   in Loop: Header=BB916_350 Depth=2
	s_or_b64 exec, exec, s[44:45]
	s_and_saveexec_b64 s[44:45], s[42:43]
	s_cbranch_execz .LBB916_392
.LBB916_391:                            ;   in Loop: Header=BB916_350 Depth=2
	ds_read_u16 v17, v32 offset:2560
	s_waitcnt lgkmcnt(0)
	v_lshrrev_b32_e32 v17, s69, v17
	v_and_b32_e32 v73, s62, v17
.LBB916_392:                            ;   in Loop: Header=BB916_350 Depth=2
	s_or_b64 exec, exec, s[44:45]
	v_mad_u64_u32 v[16:17], s[44:45], v86, 6, v[16:17]
	s_waitcnt vmcnt(0)
	v_mad_u64_u32 v[80:81], s[44:45], v81, 6, v[6:7]
	v_mad_u64_u32 v[17:18], s[44:45], v83, 6, v[15:16]
	;; [unrolled: 1-line block ×3, first 2 shown]
	v_add_u32_e32 v4, v32, v54
	s_barrier
	ds_write_b64 v16, v[13:14] offset:1024
	ds_write_b64 v17, v[11:12] offset:1024
	;; [unrolled: 1-line block ×4, first 2 shown]
	s_waitcnt lgkmcnt(0)
	s_barrier
	s_and_saveexec_b64 s[44:45], vcc
	s_cbranch_execnz .LBB916_409
; %bb.393:                              ;   in Loop: Header=BB916_350 Depth=2
	s_or_b64 exec, exec, s[44:45]
	s_and_saveexec_b64 s[44:45], s[38:39]
	s_cbranch_execnz .LBB916_410
.LBB916_394:                            ;   in Loop: Header=BB916_350 Depth=2
	s_or_b64 exec, exec, s[44:45]
	s_and_saveexec_b64 s[38:39], s[40:41]
	s_cbranch_execnz .LBB916_411
.LBB916_395:                            ;   in Loop: Header=BB916_350 Depth=2
	s_or_b64 exec, exec, s[38:39]
	s_and_saveexec_b64 s[38:39], s[42:43]
	s_cbranch_execz .LBB916_397
.LBB916_396:                            ;   in Loop: Header=BB916_350 Depth=2
	v_lshlrev_b32_e32 v6, 2, v73
	ds_read_b32 v6, v6
	ds_read_b64 v[15:16], v4 offset:7168
	v_mov_b32_e32 v18, v3
	v_mov_b32_e32 v4, s67
	s_waitcnt lgkmcnt(1)
	v_add_u32_e32 v17, v6, v50
	v_lshlrev_b64 v[17:18], 3, v[17:18]
	v_add_co_u32_e32 v17, vcc, s66, v17
	v_addc_co_u32_e32 v18, vcc, v4, v18, vcc
	s_waitcnt lgkmcnt(0)
	global_store_dwordx2 v[17:18], v[15:16], off
.LBB916_397:                            ;   in Loop: Header=BB916_350 Depth=2
	s_or_b64 exec, exec, s[38:39]
	s_waitcnt vmcnt(0)
	s_barrier
	s_and_saveexec_b64 s[38:39], s[4:5]
	s_cbranch_execz .LBB916_349
; %bb.398:                              ;   in Loop: Header=BB916_350 Depth=2
	ds_read_b32 v4, v19
	s_waitcnt lgkmcnt(0)
	v_add_u32_e32 v4, v4, v82
	ds_write_b32 v19, v4
	s_branch .LBB916_349
.LBB916_399:                            ;   in Loop: Header=BB916_350 Depth=2
	ds_read_u16 v17, v32 offset:1024
	v_mov_b32_e32 v84, s53
	s_waitcnt lgkmcnt(0)
	v_lshrrev_b32_sdwa v18, s69, v17 dst_sel:DWORD dst_unused:UNUSED_PAD src0_sel:DWORD src1_sel:WORD_0
	v_and_b32_e32 v18, s62, v18
	v_lshlrev_b32_e32 v18, 2, v18
	ds_read_b32 v80, v18
	v_mov_b32_e32 v18, v3
	v_xor_b32_e32 v85, 0x7fff, v17
	s_waitcnt lgkmcnt(0)
	v_add_u32_e32 v17, v80, v0
	v_lshlrev_b64 v[17:18], 1, v[17:18]
	v_add_co_u32_e64 v17, s[38:39], s52, v17
	v_addc_co_u32_e64 v18, s[38:39], v84, v18, s[38:39]
	global_store_short v[17:18], v85, off
	s_or_b64 exec, exec, s[40:41]
	v_cmp_lt_u32_e64 s[38:39], v20, v78
	s_and_saveexec_b64 s[42:43], s[38:39]
	s_cbranch_execz .LBB916_380
.LBB916_400:                            ;   in Loop: Header=BB916_350 Depth=2
	ds_read_u16 v17, v32 offset:1536
	v_mov_b32_e32 v84, s53
	s_waitcnt lgkmcnt(0)
	v_lshrrev_b32_sdwa v18, s69, v17 dst_sel:DWORD dst_unused:UNUSED_PAD src0_sel:DWORD src1_sel:WORD_0
	v_and_b32_e32 v18, s62, v18
	v_lshlrev_b32_e32 v18, 2, v18
	ds_read_b32 v80, v18
	v_mov_b32_e32 v18, v3
	v_xor_b32_e32 v85, 0x7fff, v17
	s_waitcnt lgkmcnt(0)
	v_add_u32_e32 v17, v80, v20
	v_lshlrev_b64 v[17:18], 1, v[17:18]
	v_add_co_u32_e64 v17, s[40:41], s52, v17
	v_addc_co_u32_e64 v18, s[40:41], v84, v18, s[40:41]
	global_store_short v[17:18], v85, off
	s_or_b64 exec, exec, s[42:43]
	v_cmp_lt_u32_e64 s[40:41], v49, v78
	s_and_saveexec_b64 s[44:45], s[40:41]
	s_cbranch_execz .LBB916_381
.LBB916_401:                            ;   in Loop: Header=BB916_350 Depth=2
	ds_read_u16 v17, v32 offset:2048
	v_mov_b32_e32 v84, s53
	s_waitcnt lgkmcnt(0)
	v_lshrrev_b32_sdwa v18, s69, v17 dst_sel:DWORD dst_unused:UNUSED_PAD src0_sel:DWORD src1_sel:WORD_0
	v_and_b32_e32 v18, s62, v18
	v_lshlrev_b32_e32 v18, 2, v18
	ds_read_b32 v80, v18
	v_mov_b32_e32 v18, v3
	v_xor_b32_e32 v85, 0x7fff, v17
	s_waitcnt lgkmcnt(0)
	v_add_u32_e32 v17, v80, v49
	v_lshlrev_b64 v[17:18], 1, v[17:18]
	v_add_co_u32_e64 v17, s[42:43], s52, v17
	v_addc_co_u32_e64 v18, s[42:43], v84, v18, s[42:43]
	global_store_short v[17:18], v85, off
	s_or_b64 exec, exec, s[44:45]
	v_cmp_lt_u32_e64 s[42:43], v50, v78
	s_and_saveexec_b64 s[54:55], s[42:43]
	s_cbranch_execnz .LBB916_382
	s_branch .LBB916_383
.LBB916_402:                            ;   in Loop: Header=BB916_350 Depth=2
	global_load_dwordx2 v[13:14], v[17:18], off
	s_or_b64 exec, exec, s[44:45]
	v_cmp_lt_u32_e64 s[44:45], v64, v78
	s_and_saveexec_b64 s[54:55], s[44:45]
	s_cbranch_execz .LBB916_385
.LBB916_403:                            ;   in Loop: Header=BB916_350 Depth=2
	global_load_dwordx2 v[11:12], v[17:18], off offset:512
	s_or_b64 exec, exec, s[54:55]
	v_cmp_lt_u32_e64 s[44:45], v65, v78
	s_and_saveexec_b64 s[54:55], s[44:45]
	s_cbranch_execz .LBB916_386
.LBB916_404:                            ;   in Loop: Header=BB916_350 Depth=2
	global_load_dwordx2 v[9:10], v[17:18], off offset:1024
	s_or_b64 exec, exec, s[54:55]
	v_cmp_lt_u32_e64 s[44:45], v66, v78
	s_and_saveexec_b64 s[54:55], s[44:45]
	s_cbranch_execz .LBB916_387
.LBB916_405:                            ;   in Loop: Header=BB916_350 Depth=2
	global_load_dwordx2 v[7:8], v[17:18], off offset:1536
	s_or_b64 exec, exec, s[54:55]
	s_and_saveexec_b64 s[44:45], vcc
	s_cbranch_execz .LBB916_388
.LBB916_406:                            ;   in Loop: Header=BB916_350 Depth=2
	ds_read_u16 v17, v32 offset:1024
	s_waitcnt lgkmcnt(0)
	v_lshrrev_b32_e32 v17, s69, v17
	v_and_b32_e32 v77, s62, v17
	s_or_b64 exec, exec, s[44:45]
	s_and_saveexec_b64 s[44:45], s[38:39]
	s_cbranch_execz .LBB916_389
.LBB916_407:                            ;   in Loop: Header=BB916_350 Depth=2
	ds_read_u16 v17, v32 offset:1536
	s_waitcnt lgkmcnt(0)
	v_lshrrev_b32_e32 v17, s69, v17
	v_and_b32_e32 v76, s62, v17
	s_or_b64 exec, exec, s[44:45]
	s_and_saveexec_b64 s[44:45], s[40:41]
	s_cbranch_execz .LBB916_390
.LBB916_408:                            ;   in Loop: Header=BB916_350 Depth=2
	ds_read_u16 v17, v32 offset:2048
	s_waitcnt lgkmcnt(0)
	v_lshrrev_b32_e32 v17, s69, v17
	v_and_b32_e32 v74, s62, v17
	s_or_b64 exec, exec, s[44:45]
	s_and_saveexec_b64 s[44:45], s[42:43]
	s_cbranch_execnz .LBB916_391
	s_branch .LBB916_392
.LBB916_409:                            ;   in Loop: Header=BB916_350 Depth=2
	v_lshlrev_b32_e32 v6, 2, v77
	ds_read_b32 v6, v6
	ds_read_b64 v[15:16], v4 offset:1024
	v_mov_b32_e32 v18, v3
	v_mov_b32_e32 v78, s67
	s_waitcnt lgkmcnt(1)
	v_add_u32_e32 v17, v6, v0
	v_lshlrev_b64 v[17:18], 3, v[17:18]
	v_add_co_u32_e32 v17, vcc, s66, v17
	v_addc_co_u32_e32 v18, vcc, v78, v18, vcc
	s_waitcnt lgkmcnt(0)
	global_store_dwordx2 v[17:18], v[15:16], off
	s_or_b64 exec, exec, s[44:45]
	s_and_saveexec_b64 s[44:45], s[38:39]
	s_cbranch_execz .LBB916_394
.LBB916_410:                            ;   in Loop: Header=BB916_350 Depth=2
	v_lshlrev_b32_e32 v6, 2, v76
	ds_read_b32 v6, v6
	ds_read_b64 v[15:16], v4 offset:3072
	v_mov_b32_e32 v18, v3
	v_mov_b32_e32 v78, s67
	s_waitcnt lgkmcnt(1)
	v_add_u32_e32 v17, v6, v20
	v_lshlrev_b64 v[17:18], 3, v[17:18]
	v_add_co_u32_e32 v17, vcc, s66, v17
	v_addc_co_u32_e32 v18, vcc, v78, v18, vcc
	s_waitcnt lgkmcnt(0)
	global_store_dwordx2 v[17:18], v[15:16], off
	s_or_b64 exec, exec, s[44:45]
	s_and_saveexec_b64 s[38:39], s[40:41]
	s_cbranch_execz .LBB916_395
.LBB916_411:                            ;   in Loop: Header=BB916_350 Depth=2
	v_lshlrev_b32_e32 v6, 2, v74
	ds_read_b32 v6, v6
	ds_read_b64 v[15:16], v4 offset:5120
	v_mov_b32_e32 v18, v3
	v_mov_b32_e32 v78, s67
	s_waitcnt lgkmcnt(1)
	v_add_u32_e32 v17, v6, v49
	v_lshlrev_b64 v[17:18], 3, v[17:18]
	v_add_co_u32_e32 v17, vcc, s66, v17
	v_addc_co_u32_e32 v18, vcc, v78, v18, vcc
	s_waitcnt lgkmcnt(0)
	global_store_dwordx2 v[17:18], v[15:16], off
	s_or_b64 exec, exec, s[38:39]
	s_and_saveexec_b64 s[38:39], s[42:43]
	s_cbranch_execnz .LBB916_396
	s_branch .LBB916_397
.LBB916_412:                            ;   in Loop: Header=BB916_350 Depth=2
	global_load_ushort v4, v[17:18], off
	v_mov_b32_e32 v16, v5
	s_waitcnt vmcnt(0)
	v_perm_b32 v15, s60, v4, v67
	s_or_b64 exec, exec, s[38:39]
	v_cmp_gt_u32_e32 vcc, s63, v64
	s_and_saveexec_b64 s[38:39], vcc
	s_cbranch_execz .LBB916_355
.LBB916_413:                            ;   in Loop: Header=BB916_350 Depth=2
	global_load_ushort v4, v[17:18], off offset:128
	s_waitcnt vmcnt(0)
	v_perm_b32 v15, v4, v15, s7
	s_or_b64 exec, exec, s[38:39]
	v_cmp_gt_u32_e32 vcc, s63, v65
	s_and_saveexec_b64 s[38:39], vcc
	s_cbranch_execnz .LBB916_356
	s_branch .LBB916_357
.LBB916_414:
	s_endpgm
	.section	.rodata,"a",@progbits
	.p2align	6, 0x0
	.amdhsa_kernel _ZN7rocprim17ROCPRIM_400000_NS6detail17trampoline_kernelINS0_14default_configENS1_36segmented_radix_sort_config_selectorIslEEZNS1_25segmented_radix_sort_implIS3_Lb1EPKsPsPKlPlN2at6native12_GLOBAL__N_18offset_tEEE10hipError_tPvRmT1_PNSt15iterator_traitsISK_E10value_typeET2_T3_PNSL_ISQ_E10value_typeET4_jRbjT5_SW_jjP12ihipStream_tbEUlT_E_NS1_11comp_targetILNS1_3genE2ELNS1_11target_archE906ELNS1_3gpuE6ELNS1_3repE0EEENS1_30default_config_static_selectorELNS0_4arch9wavefront6targetE1EEEvSK_
		.amdhsa_group_segment_fixed_size 9232
		.amdhsa_private_segment_fixed_size 0
		.amdhsa_kernarg_size 352
		.amdhsa_user_sgpr_count 6
		.amdhsa_user_sgpr_private_segment_buffer 1
		.amdhsa_user_sgpr_dispatch_ptr 0
		.amdhsa_user_sgpr_queue_ptr 0
		.amdhsa_user_sgpr_kernarg_segment_ptr 1
		.amdhsa_user_sgpr_dispatch_id 0
		.amdhsa_user_sgpr_flat_scratch_init 0
		.amdhsa_user_sgpr_private_segment_size 0
		.amdhsa_uses_dynamic_stack 0
		.amdhsa_system_sgpr_private_segment_wavefront_offset 0
		.amdhsa_system_sgpr_workgroup_id_x 1
		.amdhsa_system_sgpr_workgroup_id_y 1
		.amdhsa_system_sgpr_workgroup_id_z 0
		.amdhsa_system_sgpr_workgroup_info 0
		.amdhsa_system_vgpr_workitem_id 2
		.amdhsa_next_free_vgpr 95
		.amdhsa_next_free_sgpr 77
		.amdhsa_reserve_vcc 1
		.amdhsa_reserve_flat_scratch 0
		.amdhsa_float_round_mode_32 0
		.amdhsa_float_round_mode_16_64 0
		.amdhsa_float_denorm_mode_32 3
		.amdhsa_float_denorm_mode_16_64 3
		.amdhsa_dx10_clamp 1
		.amdhsa_ieee_mode 1
		.amdhsa_fp16_overflow 0
		.amdhsa_exception_fp_ieee_invalid_op 0
		.amdhsa_exception_fp_denorm_src 0
		.amdhsa_exception_fp_ieee_div_zero 0
		.amdhsa_exception_fp_ieee_overflow 0
		.amdhsa_exception_fp_ieee_underflow 0
		.amdhsa_exception_fp_ieee_inexact 0
		.amdhsa_exception_int_div_zero 0
	.end_amdhsa_kernel
	.section	.text._ZN7rocprim17ROCPRIM_400000_NS6detail17trampoline_kernelINS0_14default_configENS1_36segmented_radix_sort_config_selectorIslEEZNS1_25segmented_radix_sort_implIS3_Lb1EPKsPsPKlPlN2at6native12_GLOBAL__N_18offset_tEEE10hipError_tPvRmT1_PNSt15iterator_traitsISK_E10value_typeET2_T3_PNSL_ISQ_E10value_typeET4_jRbjT5_SW_jjP12ihipStream_tbEUlT_E_NS1_11comp_targetILNS1_3genE2ELNS1_11target_archE906ELNS1_3gpuE6ELNS1_3repE0EEENS1_30default_config_static_selectorELNS0_4arch9wavefront6targetE1EEEvSK_,"axG",@progbits,_ZN7rocprim17ROCPRIM_400000_NS6detail17trampoline_kernelINS0_14default_configENS1_36segmented_radix_sort_config_selectorIslEEZNS1_25segmented_radix_sort_implIS3_Lb1EPKsPsPKlPlN2at6native12_GLOBAL__N_18offset_tEEE10hipError_tPvRmT1_PNSt15iterator_traitsISK_E10value_typeET2_T3_PNSL_ISQ_E10value_typeET4_jRbjT5_SW_jjP12ihipStream_tbEUlT_E_NS1_11comp_targetILNS1_3genE2ELNS1_11target_archE906ELNS1_3gpuE6ELNS1_3repE0EEENS1_30default_config_static_selectorELNS0_4arch9wavefront6targetE1EEEvSK_,comdat
.Lfunc_end916:
	.size	_ZN7rocprim17ROCPRIM_400000_NS6detail17trampoline_kernelINS0_14default_configENS1_36segmented_radix_sort_config_selectorIslEEZNS1_25segmented_radix_sort_implIS3_Lb1EPKsPsPKlPlN2at6native12_GLOBAL__N_18offset_tEEE10hipError_tPvRmT1_PNSt15iterator_traitsISK_E10value_typeET2_T3_PNSL_ISQ_E10value_typeET4_jRbjT5_SW_jjP12ihipStream_tbEUlT_E_NS1_11comp_targetILNS1_3genE2ELNS1_11target_archE906ELNS1_3gpuE6ELNS1_3repE0EEENS1_30default_config_static_selectorELNS0_4arch9wavefront6targetE1EEEvSK_, .Lfunc_end916-_ZN7rocprim17ROCPRIM_400000_NS6detail17trampoline_kernelINS0_14default_configENS1_36segmented_radix_sort_config_selectorIslEEZNS1_25segmented_radix_sort_implIS3_Lb1EPKsPsPKlPlN2at6native12_GLOBAL__N_18offset_tEEE10hipError_tPvRmT1_PNSt15iterator_traitsISK_E10value_typeET2_T3_PNSL_ISQ_E10value_typeET4_jRbjT5_SW_jjP12ihipStream_tbEUlT_E_NS1_11comp_targetILNS1_3genE2ELNS1_11target_archE906ELNS1_3gpuE6ELNS1_3repE0EEENS1_30default_config_static_selectorELNS0_4arch9wavefront6targetE1EEEvSK_
                                        ; -- End function
	.set _ZN7rocprim17ROCPRIM_400000_NS6detail17trampoline_kernelINS0_14default_configENS1_36segmented_radix_sort_config_selectorIslEEZNS1_25segmented_radix_sort_implIS3_Lb1EPKsPsPKlPlN2at6native12_GLOBAL__N_18offset_tEEE10hipError_tPvRmT1_PNSt15iterator_traitsISK_E10value_typeET2_T3_PNSL_ISQ_E10value_typeET4_jRbjT5_SW_jjP12ihipStream_tbEUlT_E_NS1_11comp_targetILNS1_3genE2ELNS1_11target_archE906ELNS1_3gpuE6ELNS1_3repE0EEENS1_30default_config_static_selectorELNS0_4arch9wavefront6targetE1EEEvSK_.num_vgpr, max(95, .L_ZN7rocprim17ROCPRIM_400000_NS6detail40segmented_radix_sort_single_block_helperIslLj256ELj4ELb1EE4sortIPKsPsPKlPlEEbT_T0_T1_T2_jjjjRNS3_12storage_typeE.num_vgpr)
	.set _ZN7rocprim17ROCPRIM_400000_NS6detail17trampoline_kernelINS0_14default_configENS1_36segmented_radix_sort_config_selectorIslEEZNS1_25segmented_radix_sort_implIS3_Lb1EPKsPsPKlPlN2at6native12_GLOBAL__N_18offset_tEEE10hipError_tPvRmT1_PNSt15iterator_traitsISK_E10value_typeET2_T3_PNSL_ISQ_E10value_typeET4_jRbjT5_SW_jjP12ihipStream_tbEUlT_E_NS1_11comp_targetILNS1_3genE2ELNS1_11target_archE906ELNS1_3gpuE6ELNS1_3repE0EEENS1_30default_config_static_selectorELNS0_4arch9wavefront6targetE1EEEvSK_.num_agpr, max(0, .L_ZN7rocprim17ROCPRIM_400000_NS6detail40segmented_radix_sort_single_block_helperIslLj256ELj4ELb1EE4sortIPKsPsPKlPlEEbT_T0_T1_T2_jjjjRNS3_12storage_typeE.num_agpr)
	.set _ZN7rocprim17ROCPRIM_400000_NS6detail17trampoline_kernelINS0_14default_configENS1_36segmented_radix_sort_config_selectorIslEEZNS1_25segmented_radix_sort_implIS3_Lb1EPKsPsPKlPlN2at6native12_GLOBAL__N_18offset_tEEE10hipError_tPvRmT1_PNSt15iterator_traitsISK_E10value_typeET2_T3_PNSL_ISQ_E10value_typeET4_jRbjT5_SW_jjP12ihipStream_tbEUlT_E_NS1_11comp_targetILNS1_3genE2ELNS1_11target_archE906ELNS1_3gpuE6ELNS1_3repE0EEENS1_30default_config_static_selectorELNS0_4arch9wavefront6targetE1EEEvSK_.numbered_sgpr, max(76, .L_ZN7rocprim17ROCPRIM_400000_NS6detail40segmented_radix_sort_single_block_helperIslLj256ELj4ELb1EE4sortIPKsPsPKlPlEEbT_T0_T1_T2_jjjjRNS3_12storage_typeE.numbered_sgpr)
	.set _ZN7rocprim17ROCPRIM_400000_NS6detail17trampoline_kernelINS0_14default_configENS1_36segmented_radix_sort_config_selectorIslEEZNS1_25segmented_radix_sort_implIS3_Lb1EPKsPsPKlPlN2at6native12_GLOBAL__N_18offset_tEEE10hipError_tPvRmT1_PNSt15iterator_traitsISK_E10value_typeET2_T3_PNSL_ISQ_E10value_typeET4_jRbjT5_SW_jjP12ihipStream_tbEUlT_E_NS1_11comp_targetILNS1_3genE2ELNS1_11target_archE906ELNS1_3gpuE6ELNS1_3repE0EEENS1_30default_config_static_selectorELNS0_4arch9wavefront6targetE1EEEvSK_.num_named_barrier, max(0, .L_ZN7rocprim17ROCPRIM_400000_NS6detail40segmented_radix_sort_single_block_helperIslLj256ELj4ELb1EE4sortIPKsPsPKlPlEEbT_T0_T1_T2_jjjjRNS3_12storage_typeE.num_named_barrier)
	.set _ZN7rocprim17ROCPRIM_400000_NS6detail17trampoline_kernelINS0_14default_configENS1_36segmented_radix_sort_config_selectorIslEEZNS1_25segmented_radix_sort_implIS3_Lb1EPKsPsPKlPlN2at6native12_GLOBAL__N_18offset_tEEE10hipError_tPvRmT1_PNSt15iterator_traitsISK_E10value_typeET2_T3_PNSL_ISQ_E10value_typeET4_jRbjT5_SW_jjP12ihipStream_tbEUlT_E_NS1_11comp_targetILNS1_3genE2ELNS1_11target_archE906ELNS1_3gpuE6ELNS1_3repE0EEENS1_30default_config_static_selectorELNS0_4arch9wavefront6targetE1EEEvSK_.private_seg_size, 0+max(.L_ZN7rocprim17ROCPRIM_400000_NS6detail40segmented_radix_sort_single_block_helperIslLj256ELj4ELb1EE4sortIPKsPsPKlPlEEbT_T0_T1_T2_jjjjRNS3_12storage_typeE.private_seg_size)
	.set _ZN7rocprim17ROCPRIM_400000_NS6detail17trampoline_kernelINS0_14default_configENS1_36segmented_radix_sort_config_selectorIslEEZNS1_25segmented_radix_sort_implIS3_Lb1EPKsPsPKlPlN2at6native12_GLOBAL__N_18offset_tEEE10hipError_tPvRmT1_PNSt15iterator_traitsISK_E10value_typeET2_T3_PNSL_ISQ_E10value_typeET4_jRbjT5_SW_jjP12ihipStream_tbEUlT_E_NS1_11comp_targetILNS1_3genE2ELNS1_11target_archE906ELNS1_3gpuE6ELNS1_3repE0EEENS1_30default_config_static_selectorELNS0_4arch9wavefront6targetE1EEEvSK_.uses_vcc, or(1, .L_ZN7rocprim17ROCPRIM_400000_NS6detail40segmented_radix_sort_single_block_helperIslLj256ELj4ELb1EE4sortIPKsPsPKlPlEEbT_T0_T1_T2_jjjjRNS3_12storage_typeE.uses_vcc)
	.set _ZN7rocprim17ROCPRIM_400000_NS6detail17trampoline_kernelINS0_14default_configENS1_36segmented_radix_sort_config_selectorIslEEZNS1_25segmented_radix_sort_implIS3_Lb1EPKsPsPKlPlN2at6native12_GLOBAL__N_18offset_tEEE10hipError_tPvRmT1_PNSt15iterator_traitsISK_E10value_typeET2_T3_PNSL_ISQ_E10value_typeET4_jRbjT5_SW_jjP12ihipStream_tbEUlT_E_NS1_11comp_targetILNS1_3genE2ELNS1_11target_archE906ELNS1_3gpuE6ELNS1_3repE0EEENS1_30default_config_static_selectorELNS0_4arch9wavefront6targetE1EEEvSK_.uses_flat_scratch, or(0, .L_ZN7rocprim17ROCPRIM_400000_NS6detail40segmented_radix_sort_single_block_helperIslLj256ELj4ELb1EE4sortIPKsPsPKlPlEEbT_T0_T1_T2_jjjjRNS3_12storage_typeE.uses_flat_scratch)
	.set _ZN7rocprim17ROCPRIM_400000_NS6detail17trampoline_kernelINS0_14default_configENS1_36segmented_radix_sort_config_selectorIslEEZNS1_25segmented_radix_sort_implIS3_Lb1EPKsPsPKlPlN2at6native12_GLOBAL__N_18offset_tEEE10hipError_tPvRmT1_PNSt15iterator_traitsISK_E10value_typeET2_T3_PNSL_ISQ_E10value_typeET4_jRbjT5_SW_jjP12ihipStream_tbEUlT_E_NS1_11comp_targetILNS1_3genE2ELNS1_11target_archE906ELNS1_3gpuE6ELNS1_3repE0EEENS1_30default_config_static_selectorELNS0_4arch9wavefront6targetE1EEEvSK_.has_dyn_sized_stack, or(0, .L_ZN7rocprim17ROCPRIM_400000_NS6detail40segmented_radix_sort_single_block_helperIslLj256ELj4ELb1EE4sortIPKsPsPKlPlEEbT_T0_T1_T2_jjjjRNS3_12storage_typeE.has_dyn_sized_stack)
	.set _ZN7rocprim17ROCPRIM_400000_NS6detail17trampoline_kernelINS0_14default_configENS1_36segmented_radix_sort_config_selectorIslEEZNS1_25segmented_radix_sort_implIS3_Lb1EPKsPsPKlPlN2at6native12_GLOBAL__N_18offset_tEEE10hipError_tPvRmT1_PNSt15iterator_traitsISK_E10value_typeET2_T3_PNSL_ISQ_E10value_typeET4_jRbjT5_SW_jjP12ihipStream_tbEUlT_E_NS1_11comp_targetILNS1_3genE2ELNS1_11target_archE906ELNS1_3gpuE6ELNS1_3repE0EEENS1_30default_config_static_selectorELNS0_4arch9wavefront6targetE1EEEvSK_.has_recursion, or(0, .L_ZN7rocprim17ROCPRIM_400000_NS6detail40segmented_radix_sort_single_block_helperIslLj256ELj4ELb1EE4sortIPKsPsPKlPlEEbT_T0_T1_T2_jjjjRNS3_12storage_typeE.has_recursion)
	.set _ZN7rocprim17ROCPRIM_400000_NS6detail17trampoline_kernelINS0_14default_configENS1_36segmented_radix_sort_config_selectorIslEEZNS1_25segmented_radix_sort_implIS3_Lb1EPKsPsPKlPlN2at6native12_GLOBAL__N_18offset_tEEE10hipError_tPvRmT1_PNSt15iterator_traitsISK_E10value_typeET2_T3_PNSL_ISQ_E10value_typeET4_jRbjT5_SW_jjP12ihipStream_tbEUlT_E_NS1_11comp_targetILNS1_3genE2ELNS1_11target_archE906ELNS1_3gpuE6ELNS1_3repE0EEENS1_30default_config_static_selectorELNS0_4arch9wavefront6targetE1EEEvSK_.has_indirect_call, or(0, .L_ZN7rocprim17ROCPRIM_400000_NS6detail40segmented_radix_sort_single_block_helperIslLj256ELj4ELb1EE4sortIPKsPsPKlPlEEbT_T0_T1_T2_jjjjRNS3_12storage_typeE.has_indirect_call)
	.section	.AMDGPU.csdata,"",@progbits
; Kernel info:
; codeLenInByte = 21412
; TotalNumSgprs: 80
; NumVgprs: 95
; ScratchSize: 0
; MemoryBound: 0
; FloatMode: 240
; IeeeMode: 1
; LDSByteSize: 9232 bytes/workgroup (compile time only)
; SGPRBlocks: 10
; VGPRBlocks: 23
; NumSGPRsForWavesPerEU: 81
; NumVGPRsForWavesPerEU: 95
; Occupancy: 2
; WaveLimiterHint : 1
; COMPUTE_PGM_RSRC2:SCRATCH_EN: 0
; COMPUTE_PGM_RSRC2:USER_SGPR: 6
; COMPUTE_PGM_RSRC2:TRAP_HANDLER: 0
; COMPUTE_PGM_RSRC2:TGID_X_EN: 1
; COMPUTE_PGM_RSRC2:TGID_Y_EN: 1
; COMPUTE_PGM_RSRC2:TGID_Z_EN: 0
; COMPUTE_PGM_RSRC2:TIDIG_COMP_CNT: 2
	.section	.text._ZN7rocprim17ROCPRIM_400000_NS6detail17trampoline_kernelINS0_14default_configENS1_36segmented_radix_sort_config_selectorIslEEZNS1_25segmented_radix_sort_implIS3_Lb1EPKsPsPKlPlN2at6native12_GLOBAL__N_18offset_tEEE10hipError_tPvRmT1_PNSt15iterator_traitsISK_E10value_typeET2_T3_PNSL_ISQ_E10value_typeET4_jRbjT5_SW_jjP12ihipStream_tbEUlT_E_NS1_11comp_targetILNS1_3genE10ELNS1_11target_archE1201ELNS1_3gpuE5ELNS1_3repE0EEENS1_30default_config_static_selectorELNS0_4arch9wavefront6targetE1EEEvSK_,"axG",@progbits,_ZN7rocprim17ROCPRIM_400000_NS6detail17trampoline_kernelINS0_14default_configENS1_36segmented_radix_sort_config_selectorIslEEZNS1_25segmented_radix_sort_implIS3_Lb1EPKsPsPKlPlN2at6native12_GLOBAL__N_18offset_tEEE10hipError_tPvRmT1_PNSt15iterator_traitsISK_E10value_typeET2_T3_PNSL_ISQ_E10value_typeET4_jRbjT5_SW_jjP12ihipStream_tbEUlT_E_NS1_11comp_targetILNS1_3genE10ELNS1_11target_archE1201ELNS1_3gpuE5ELNS1_3repE0EEENS1_30default_config_static_selectorELNS0_4arch9wavefront6targetE1EEEvSK_,comdat
	.globl	_ZN7rocprim17ROCPRIM_400000_NS6detail17trampoline_kernelINS0_14default_configENS1_36segmented_radix_sort_config_selectorIslEEZNS1_25segmented_radix_sort_implIS3_Lb1EPKsPsPKlPlN2at6native12_GLOBAL__N_18offset_tEEE10hipError_tPvRmT1_PNSt15iterator_traitsISK_E10value_typeET2_T3_PNSL_ISQ_E10value_typeET4_jRbjT5_SW_jjP12ihipStream_tbEUlT_E_NS1_11comp_targetILNS1_3genE10ELNS1_11target_archE1201ELNS1_3gpuE5ELNS1_3repE0EEENS1_30default_config_static_selectorELNS0_4arch9wavefront6targetE1EEEvSK_ ; -- Begin function _ZN7rocprim17ROCPRIM_400000_NS6detail17trampoline_kernelINS0_14default_configENS1_36segmented_radix_sort_config_selectorIslEEZNS1_25segmented_radix_sort_implIS3_Lb1EPKsPsPKlPlN2at6native12_GLOBAL__N_18offset_tEEE10hipError_tPvRmT1_PNSt15iterator_traitsISK_E10value_typeET2_T3_PNSL_ISQ_E10value_typeET4_jRbjT5_SW_jjP12ihipStream_tbEUlT_E_NS1_11comp_targetILNS1_3genE10ELNS1_11target_archE1201ELNS1_3gpuE5ELNS1_3repE0EEENS1_30default_config_static_selectorELNS0_4arch9wavefront6targetE1EEEvSK_
	.p2align	8
	.type	_ZN7rocprim17ROCPRIM_400000_NS6detail17trampoline_kernelINS0_14default_configENS1_36segmented_radix_sort_config_selectorIslEEZNS1_25segmented_radix_sort_implIS3_Lb1EPKsPsPKlPlN2at6native12_GLOBAL__N_18offset_tEEE10hipError_tPvRmT1_PNSt15iterator_traitsISK_E10value_typeET2_T3_PNSL_ISQ_E10value_typeET4_jRbjT5_SW_jjP12ihipStream_tbEUlT_E_NS1_11comp_targetILNS1_3genE10ELNS1_11target_archE1201ELNS1_3gpuE5ELNS1_3repE0EEENS1_30default_config_static_selectorELNS0_4arch9wavefront6targetE1EEEvSK_,@function
_ZN7rocprim17ROCPRIM_400000_NS6detail17trampoline_kernelINS0_14default_configENS1_36segmented_radix_sort_config_selectorIslEEZNS1_25segmented_radix_sort_implIS3_Lb1EPKsPsPKlPlN2at6native12_GLOBAL__N_18offset_tEEE10hipError_tPvRmT1_PNSt15iterator_traitsISK_E10value_typeET2_T3_PNSL_ISQ_E10value_typeET4_jRbjT5_SW_jjP12ihipStream_tbEUlT_E_NS1_11comp_targetILNS1_3genE10ELNS1_11target_archE1201ELNS1_3gpuE5ELNS1_3repE0EEENS1_30default_config_static_selectorELNS0_4arch9wavefront6targetE1EEEvSK_: ; @_ZN7rocprim17ROCPRIM_400000_NS6detail17trampoline_kernelINS0_14default_configENS1_36segmented_radix_sort_config_selectorIslEEZNS1_25segmented_radix_sort_implIS3_Lb1EPKsPsPKlPlN2at6native12_GLOBAL__N_18offset_tEEE10hipError_tPvRmT1_PNSt15iterator_traitsISK_E10value_typeET2_T3_PNSL_ISQ_E10value_typeET4_jRbjT5_SW_jjP12ihipStream_tbEUlT_E_NS1_11comp_targetILNS1_3genE10ELNS1_11target_archE1201ELNS1_3gpuE5ELNS1_3repE0EEENS1_30default_config_static_selectorELNS0_4arch9wavefront6targetE1EEEvSK_
; %bb.0:
	.section	.rodata,"a",@progbits
	.p2align	6, 0x0
	.amdhsa_kernel _ZN7rocprim17ROCPRIM_400000_NS6detail17trampoline_kernelINS0_14default_configENS1_36segmented_radix_sort_config_selectorIslEEZNS1_25segmented_radix_sort_implIS3_Lb1EPKsPsPKlPlN2at6native12_GLOBAL__N_18offset_tEEE10hipError_tPvRmT1_PNSt15iterator_traitsISK_E10value_typeET2_T3_PNSL_ISQ_E10value_typeET4_jRbjT5_SW_jjP12ihipStream_tbEUlT_E_NS1_11comp_targetILNS1_3genE10ELNS1_11target_archE1201ELNS1_3gpuE5ELNS1_3repE0EEENS1_30default_config_static_selectorELNS0_4arch9wavefront6targetE1EEEvSK_
		.amdhsa_group_segment_fixed_size 0
		.amdhsa_private_segment_fixed_size 0
		.amdhsa_kernarg_size 96
		.amdhsa_user_sgpr_count 6
		.amdhsa_user_sgpr_private_segment_buffer 1
		.amdhsa_user_sgpr_dispatch_ptr 0
		.amdhsa_user_sgpr_queue_ptr 0
		.amdhsa_user_sgpr_kernarg_segment_ptr 1
		.amdhsa_user_sgpr_dispatch_id 0
		.amdhsa_user_sgpr_flat_scratch_init 0
		.amdhsa_user_sgpr_private_segment_size 0
		.amdhsa_uses_dynamic_stack 0
		.amdhsa_system_sgpr_private_segment_wavefront_offset 0
		.amdhsa_system_sgpr_workgroup_id_x 1
		.amdhsa_system_sgpr_workgroup_id_y 0
		.amdhsa_system_sgpr_workgroup_id_z 0
		.amdhsa_system_sgpr_workgroup_info 0
		.amdhsa_system_vgpr_workitem_id 0
		.amdhsa_next_free_vgpr 1
		.amdhsa_next_free_sgpr 0
		.amdhsa_reserve_vcc 0
		.amdhsa_reserve_flat_scratch 0
		.amdhsa_float_round_mode_32 0
		.amdhsa_float_round_mode_16_64 0
		.amdhsa_float_denorm_mode_32 3
		.amdhsa_float_denorm_mode_16_64 3
		.amdhsa_dx10_clamp 1
		.amdhsa_ieee_mode 1
		.amdhsa_fp16_overflow 0
		.amdhsa_exception_fp_ieee_invalid_op 0
		.amdhsa_exception_fp_denorm_src 0
		.amdhsa_exception_fp_ieee_div_zero 0
		.amdhsa_exception_fp_ieee_overflow 0
		.amdhsa_exception_fp_ieee_underflow 0
		.amdhsa_exception_fp_ieee_inexact 0
		.amdhsa_exception_int_div_zero 0
	.end_amdhsa_kernel
	.section	.text._ZN7rocprim17ROCPRIM_400000_NS6detail17trampoline_kernelINS0_14default_configENS1_36segmented_radix_sort_config_selectorIslEEZNS1_25segmented_radix_sort_implIS3_Lb1EPKsPsPKlPlN2at6native12_GLOBAL__N_18offset_tEEE10hipError_tPvRmT1_PNSt15iterator_traitsISK_E10value_typeET2_T3_PNSL_ISQ_E10value_typeET4_jRbjT5_SW_jjP12ihipStream_tbEUlT_E_NS1_11comp_targetILNS1_3genE10ELNS1_11target_archE1201ELNS1_3gpuE5ELNS1_3repE0EEENS1_30default_config_static_selectorELNS0_4arch9wavefront6targetE1EEEvSK_,"axG",@progbits,_ZN7rocprim17ROCPRIM_400000_NS6detail17trampoline_kernelINS0_14default_configENS1_36segmented_radix_sort_config_selectorIslEEZNS1_25segmented_radix_sort_implIS3_Lb1EPKsPsPKlPlN2at6native12_GLOBAL__N_18offset_tEEE10hipError_tPvRmT1_PNSt15iterator_traitsISK_E10value_typeET2_T3_PNSL_ISQ_E10value_typeET4_jRbjT5_SW_jjP12ihipStream_tbEUlT_E_NS1_11comp_targetILNS1_3genE10ELNS1_11target_archE1201ELNS1_3gpuE5ELNS1_3repE0EEENS1_30default_config_static_selectorELNS0_4arch9wavefront6targetE1EEEvSK_,comdat
.Lfunc_end917:
	.size	_ZN7rocprim17ROCPRIM_400000_NS6detail17trampoline_kernelINS0_14default_configENS1_36segmented_radix_sort_config_selectorIslEEZNS1_25segmented_radix_sort_implIS3_Lb1EPKsPsPKlPlN2at6native12_GLOBAL__N_18offset_tEEE10hipError_tPvRmT1_PNSt15iterator_traitsISK_E10value_typeET2_T3_PNSL_ISQ_E10value_typeET4_jRbjT5_SW_jjP12ihipStream_tbEUlT_E_NS1_11comp_targetILNS1_3genE10ELNS1_11target_archE1201ELNS1_3gpuE5ELNS1_3repE0EEENS1_30default_config_static_selectorELNS0_4arch9wavefront6targetE1EEEvSK_, .Lfunc_end917-_ZN7rocprim17ROCPRIM_400000_NS6detail17trampoline_kernelINS0_14default_configENS1_36segmented_radix_sort_config_selectorIslEEZNS1_25segmented_radix_sort_implIS3_Lb1EPKsPsPKlPlN2at6native12_GLOBAL__N_18offset_tEEE10hipError_tPvRmT1_PNSt15iterator_traitsISK_E10value_typeET2_T3_PNSL_ISQ_E10value_typeET4_jRbjT5_SW_jjP12ihipStream_tbEUlT_E_NS1_11comp_targetILNS1_3genE10ELNS1_11target_archE1201ELNS1_3gpuE5ELNS1_3repE0EEENS1_30default_config_static_selectorELNS0_4arch9wavefront6targetE1EEEvSK_
                                        ; -- End function
	.set _ZN7rocprim17ROCPRIM_400000_NS6detail17trampoline_kernelINS0_14default_configENS1_36segmented_radix_sort_config_selectorIslEEZNS1_25segmented_radix_sort_implIS3_Lb1EPKsPsPKlPlN2at6native12_GLOBAL__N_18offset_tEEE10hipError_tPvRmT1_PNSt15iterator_traitsISK_E10value_typeET2_T3_PNSL_ISQ_E10value_typeET4_jRbjT5_SW_jjP12ihipStream_tbEUlT_E_NS1_11comp_targetILNS1_3genE10ELNS1_11target_archE1201ELNS1_3gpuE5ELNS1_3repE0EEENS1_30default_config_static_selectorELNS0_4arch9wavefront6targetE1EEEvSK_.num_vgpr, 0
	.set _ZN7rocprim17ROCPRIM_400000_NS6detail17trampoline_kernelINS0_14default_configENS1_36segmented_radix_sort_config_selectorIslEEZNS1_25segmented_radix_sort_implIS3_Lb1EPKsPsPKlPlN2at6native12_GLOBAL__N_18offset_tEEE10hipError_tPvRmT1_PNSt15iterator_traitsISK_E10value_typeET2_T3_PNSL_ISQ_E10value_typeET4_jRbjT5_SW_jjP12ihipStream_tbEUlT_E_NS1_11comp_targetILNS1_3genE10ELNS1_11target_archE1201ELNS1_3gpuE5ELNS1_3repE0EEENS1_30default_config_static_selectorELNS0_4arch9wavefront6targetE1EEEvSK_.num_agpr, 0
	.set _ZN7rocprim17ROCPRIM_400000_NS6detail17trampoline_kernelINS0_14default_configENS1_36segmented_radix_sort_config_selectorIslEEZNS1_25segmented_radix_sort_implIS3_Lb1EPKsPsPKlPlN2at6native12_GLOBAL__N_18offset_tEEE10hipError_tPvRmT1_PNSt15iterator_traitsISK_E10value_typeET2_T3_PNSL_ISQ_E10value_typeET4_jRbjT5_SW_jjP12ihipStream_tbEUlT_E_NS1_11comp_targetILNS1_3genE10ELNS1_11target_archE1201ELNS1_3gpuE5ELNS1_3repE0EEENS1_30default_config_static_selectorELNS0_4arch9wavefront6targetE1EEEvSK_.numbered_sgpr, 0
	.set _ZN7rocprim17ROCPRIM_400000_NS6detail17trampoline_kernelINS0_14default_configENS1_36segmented_radix_sort_config_selectorIslEEZNS1_25segmented_radix_sort_implIS3_Lb1EPKsPsPKlPlN2at6native12_GLOBAL__N_18offset_tEEE10hipError_tPvRmT1_PNSt15iterator_traitsISK_E10value_typeET2_T3_PNSL_ISQ_E10value_typeET4_jRbjT5_SW_jjP12ihipStream_tbEUlT_E_NS1_11comp_targetILNS1_3genE10ELNS1_11target_archE1201ELNS1_3gpuE5ELNS1_3repE0EEENS1_30default_config_static_selectorELNS0_4arch9wavefront6targetE1EEEvSK_.num_named_barrier, 0
	.set _ZN7rocprim17ROCPRIM_400000_NS6detail17trampoline_kernelINS0_14default_configENS1_36segmented_radix_sort_config_selectorIslEEZNS1_25segmented_radix_sort_implIS3_Lb1EPKsPsPKlPlN2at6native12_GLOBAL__N_18offset_tEEE10hipError_tPvRmT1_PNSt15iterator_traitsISK_E10value_typeET2_T3_PNSL_ISQ_E10value_typeET4_jRbjT5_SW_jjP12ihipStream_tbEUlT_E_NS1_11comp_targetILNS1_3genE10ELNS1_11target_archE1201ELNS1_3gpuE5ELNS1_3repE0EEENS1_30default_config_static_selectorELNS0_4arch9wavefront6targetE1EEEvSK_.private_seg_size, 0
	.set _ZN7rocprim17ROCPRIM_400000_NS6detail17trampoline_kernelINS0_14default_configENS1_36segmented_radix_sort_config_selectorIslEEZNS1_25segmented_radix_sort_implIS3_Lb1EPKsPsPKlPlN2at6native12_GLOBAL__N_18offset_tEEE10hipError_tPvRmT1_PNSt15iterator_traitsISK_E10value_typeET2_T3_PNSL_ISQ_E10value_typeET4_jRbjT5_SW_jjP12ihipStream_tbEUlT_E_NS1_11comp_targetILNS1_3genE10ELNS1_11target_archE1201ELNS1_3gpuE5ELNS1_3repE0EEENS1_30default_config_static_selectorELNS0_4arch9wavefront6targetE1EEEvSK_.uses_vcc, 0
	.set _ZN7rocprim17ROCPRIM_400000_NS6detail17trampoline_kernelINS0_14default_configENS1_36segmented_radix_sort_config_selectorIslEEZNS1_25segmented_radix_sort_implIS3_Lb1EPKsPsPKlPlN2at6native12_GLOBAL__N_18offset_tEEE10hipError_tPvRmT1_PNSt15iterator_traitsISK_E10value_typeET2_T3_PNSL_ISQ_E10value_typeET4_jRbjT5_SW_jjP12ihipStream_tbEUlT_E_NS1_11comp_targetILNS1_3genE10ELNS1_11target_archE1201ELNS1_3gpuE5ELNS1_3repE0EEENS1_30default_config_static_selectorELNS0_4arch9wavefront6targetE1EEEvSK_.uses_flat_scratch, 0
	.set _ZN7rocprim17ROCPRIM_400000_NS6detail17trampoline_kernelINS0_14default_configENS1_36segmented_radix_sort_config_selectorIslEEZNS1_25segmented_radix_sort_implIS3_Lb1EPKsPsPKlPlN2at6native12_GLOBAL__N_18offset_tEEE10hipError_tPvRmT1_PNSt15iterator_traitsISK_E10value_typeET2_T3_PNSL_ISQ_E10value_typeET4_jRbjT5_SW_jjP12ihipStream_tbEUlT_E_NS1_11comp_targetILNS1_3genE10ELNS1_11target_archE1201ELNS1_3gpuE5ELNS1_3repE0EEENS1_30default_config_static_selectorELNS0_4arch9wavefront6targetE1EEEvSK_.has_dyn_sized_stack, 0
	.set _ZN7rocprim17ROCPRIM_400000_NS6detail17trampoline_kernelINS0_14default_configENS1_36segmented_radix_sort_config_selectorIslEEZNS1_25segmented_radix_sort_implIS3_Lb1EPKsPsPKlPlN2at6native12_GLOBAL__N_18offset_tEEE10hipError_tPvRmT1_PNSt15iterator_traitsISK_E10value_typeET2_T3_PNSL_ISQ_E10value_typeET4_jRbjT5_SW_jjP12ihipStream_tbEUlT_E_NS1_11comp_targetILNS1_3genE10ELNS1_11target_archE1201ELNS1_3gpuE5ELNS1_3repE0EEENS1_30default_config_static_selectorELNS0_4arch9wavefront6targetE1EEEvSK_.has_recursion, 0
	.set _ZN7rocprim17ROCPRIM_400000_NS6detail17trampoline_kernelINS0_14default_configENS1_36segmented_radix_sort_config_selectorIslEEZNS1_25segmented_radix_sort_implIS3_Lb1EPKsPsPKlPlN2at6native12_GLOBAL__N_18offset_tEEE10hipError_tPvRmT1_PNSt15iterator_traitsISK_E10value_typeET2_T3_PNSL_ISQ_E10value_typeET4_jRbjT5_SW_jjP12ihipStream_tbEUlT_E_NS1_11comp_targetILNS1_3genE10ELNS1_11target_archE1201ELNS1_3gpuE5ELNS1_3repE0EEENS1_30default_config_static_selectorELNS0_4arch9wavefront6targetE1EEEvSK_.has_indirect_call, 0
	.section	.AMDGPU.csdata,"",@progbits
; Kernel info:
; codeLenInByte = 0
; TotalNumSgprs: 4
; NumVgprs: 0
; ScratchSize: 0
; MemoryBound: 0
; FloatMode: 240
; IeeeMode: 1
; LDSByteSize: 0 bytes/workgroup (compile time only)
; SGPRBlocks: 0
; VGPRBlocks: 0
; NumSGPRsForWavesPerEU: 4
; NumVGPRsForWavesPerEU: 1
; Occupancy: 10
; WaveLimiterHint : 0
; COMPUTE_PGM_RSRC2:SCRATCH_EN: 0
; COMPUTE_PGM_RSRC2:USER_SGPR: 6
; COMPUTE_PGM_RSRC2:TRAP_HANDLER: 0
; COMPUTE_PGM_RSRC2:TGID_X_EN: 1
; COMPUTE_PGM_RSRC2:TGID_Y_EN: 0
; COMPUTE_PGM_RSRC2:TGID_Z_EN: 0
; COMPUTE_PGM_RSRC2:TIDIG_COMP_CNT: 0
	.section	.text._ZN7rocprim17ROCPRIM_400000_NS6detail17trampoline_kernelINS0_14default_configENS1_36segmented_radix_sort_config_selectorIslEEZNS1_25segmented_radix_sort_implIS3_Lb1EPKsPsPKlPlN2at6native12_GLOBAL__N_18offset_tEEE10hipError_tPvRmT1_PNSt15iterator_traitsISK_E10value_typeET2_T3_PNSL_ISQ_E10value_typeET4_jRbjT5_SW_jjP12ihipStream_tbEUlT_E_NS1_11comp_targetILNS1_3genE10ELNS1_11target_archE1200ELNS1_3gpuE4ELNS1_3repE0EEENS1_30default_config_static_selectorELNS0_4arch9wavefront6targetE1EEEvSK_,"axG",@progbits,_ZN7rocprim17ROCPRIM_400000_NS6detail17trampoline_kernelINS0_14default_configENS1_36segmented_radix_sort_config_selectorIslEEZNS1_25segmented_radix_sort_implIS3_Lb1EPKsPsPKlPlN2at6native12_GLOBAL__N_18offset_tEEE10hipError_tPvRmT1_PNSt15iterator_traitsISK_E10value_typeET2_T3_PNSL_ISQ_E10value_typeET4_jRbjT5_SW_jjP12ihipStream_tbEUlT_E_NS1_11comp_targetILNS1_3genE10ELNS1_11target_archE1200ELNS1_3gpuE4ELNS1_3repE0EEENS1_30default_config_static_selectorELNS0_4arch9wavefront6targetE1EEEvSK_,comdat
	.globl	_ZN7rocprim17ROCPRIM_400000_NS6detail17trampoline_kernelINS0_14default_configENS1_36segmented_radix_sort_config_selectorIslEEZNS1_25segmented_radix_sort_implIS3_Lb1EPKsPsPKlPlN2at6native12_GLOBAL__N_18offset_tEEE10hipError_tPvRmT1_PNSt15iterator_traitsISK_E10value_typeET2_T3_PNSL_ISQ_E10value_typeET4_jRbjT5_SW_jjP12ihipStream_tbEUlT_E_NS1_11comp_targetILNS1_3genE10ELNS1_11target_archE1200ELNS1_3gpuE4ELNS1_3repE0EEENS1_30default_config_static_selectorELNS0_4arch9wavefront6targetE1EEEvSK_ ; -- Begin function _ZN7rocprim17ROCPRIM_400000_NS6detail17trampoline_kernelINS0_14default_configENS1_36segmented_radix_sort_config_selectorIslEEZNS1_25segmented_radix_sort_implIS3_Lb1EPKsPsPKlPlN2at6native12_GLOBAL__N_18offset_tEEE10hipError_tPvRmT1_PNSt15iterator_traitsISK_E10value_typeET2_T3_PNSL_ISQ_E10value_typeET4_jRbjT5_SW_jjP12ihipStream_tbEUlT_E_NS1_11comp_targetILNS1_3genE10ELNS1_11target_archE1200ELNS1_3gpuE4ELNS1_3repE0EEENS1_30default_config_static_selectorELNS0_4arch9wavefront6targetE1EEEvSK_
	.p2align	8
	.type	_ZN7rocprim17ROCPRIM_400000_NS6detail17trampoline_kernelINS0_14default_configENS1_36segmented_radix_sort_config_selectorIslEEZNS1_25segmented_radix_sort_implIS3_Lb1EPKsPsPKlPlN2at6native12_GLOBAL__N_18offset_tEEE10hipError_tPvRmT1_PNSt15iterator_traitsISK_E10value_typeET2_T3_PNSL_ISQ_E10value_typeET4_jRbjT5_SW_jjP12ihipStream_tbEUlT_E_NS1_11comp_targetILNS1_3genE10ELNS1_11target_archE1200ELNS1_3gpuE4ELNS1_3repE0EEENS1_30default_config_static_selectorELNS0_4arch9wavefront6targetE1EEEvSK_,@function
_ZN7rocprim17ROCPRIM_400000_NS6detail17trampoline_kernelINS0_14default_configENS1_36segmented_radix_sort_config_selectorIslEEZNS1_25segmented_radix_sort_implIS3_Lb1EPKsPsPKlPlN2at6native12_GLOBAL__N_18offset_tEEE10hipError_tPvRmT1_PNSt15iterator_traitsISK_E10value_typeET2_T3_PNSL_ISQ_E10value_typeET4_jRbjT5_SW_jjP12ihipStream_tbEUlT_E_NS1_11comp_targetILNS1_3genE10ELNS1_11target_archE1200ELNS1_3gpuE4ELNS1_3repE0EEENS1_30default_config_static_selectorELNS0_4arch9wavefront6targetE1EEEvSK_: ; @_ZN7rocprim17ROCPRIM_400000_NS6detail17trampoline_kernelINS0_14default_configENS1_36segmented_radix_sort_config_selectorIslEEZNS1_25segmented_radix_sort_implIS3_Lb1EPKsPsPKlPlN2at6native12_GLOBAL__N_18offset_tEEE10hipError_tPvRmT1_PNSt15iterator_traitsISK_E10value_typeET2_T3_PNSL_ISQ_E10value_typeET4_jRbjT5_SW_jjP12ihipStream_tbEUlT_E_NS1_11comp_targetILNS1_3genE10ELNS1_11target_archE1200ELNS1_3gpuE4ELNS1_3repE0EEENS1_30default_config_static_selectorELNS0_4arch9wavefront6targetE1EEEvSK_
; %bb.0:
	.section	.rodata,"a",@progbits
	.p2align	6, 0x0
	.amdhsa_kernel _ZN7rocprim17ROCPRIM_400000_NS6detail17trampoline_kernelINS0_14default_configENS1_36segmented_radix_sort_config_selectorIslEEZNS1_25segmented_radix_sort_implIS3_Lb1EPKsPsPKlPlN2at6native12_GLOBAL__N_18offset_tEEE10hipError_tPvRmT1_PNSt15iterator_traitsISK_E10value_typeET2_T3_PNSL_ISQ_E10value_typeET4_jRbjT5_SW_jjP12ihipStream_tbEUlT_E_NS1_11comp_targetILNS1_3genE10ELNS1_11target_archE1200ELNS1_3gpuE4ELNS1_3repE0EEENS1_30default_config_static_selectorELNS0_4arch9wavefront6targetE1EEEvSK_
		.amdhsa_group_segment_fixed_size 0
		.amdhsa_private_segment_fixed_size 0
		.amdhsa_kernarg_size 96
		.amdhsa_user_sgpr_count 6
		.amdhsa_user_sgpr_private_segment_buffer 1
		.amdhsa_user_sgpr_dispatch_ptr 0
		.amdhsa_user_sgpr_queue_ptr 0
		.amdhsa_user_sgpr_kernarg_segment_ptr 1
		.amdhsa_user_sgpr_dispatch_id 0
		.amdhsa_user_sgpr_flat_scratch_init 0
		.amdhsa_user_sgpr_private_segment_size 0
		.amdhsa_uses_dynamic_stack 0
		.amdhsa_system_sgpr_private_segment_wavefront_offset 0
		.amdhsa_system_sgpr_workgroup_id_x 1
		.amdhsa_system_sgpr_workgroup_id_y 0
		.amdhsa_system_sgpr_workgroup_id_z 0
		.amdhsa_system_sgpr_workgroup_info 0
		.amdhsa_system_vgpr_workitem_id 0
		.amdhsa_next_free_vgpr 1
		.amdhsa_next_free_sgpr 0
		.amdhsa_reserve_vcc 0
		.amdhsa_reserve_flat_scratch 0
		.amdhsa_float_round_mode_32 0
		.amdhsa_float_round_mode_16_64 0
		.amdhsa_float_denorm_mode_32 3
		.amdhsa_float_denorm_mode_16_64 3
		.amdhsa_dx10_clamp 1
		.amdhsa_ieee_mode 1
		.amdhsa_fp16_overflow 0
		.amdhsa_exception_fp_ieee_invalid_op 0
		.amdhsa_exception_fp_denorm_src 0
		.amdhsa_exception_fp_ieee_div_zero 0
		.amdhsa_exception_fp_ieee_overflow 0
		.amdhsa_exception_fp_ieee_underflow 0
		.amdhsa_exception_fp_ieee_inexact 0
		.amdhsa_exception_int_div_zero 0
	.end_amdhsa_kernel
	.section	.text._ZN7rocprim17ROCPRIM_400000_NS6detail17trampoline_kernelINS0_14default_configENS1_36segmented_radix_sort_config_selectorIslEEZNS1_25segmented_radix_sort_implIS3_Lb1EPKsPsPKlPlN2at6native12_GLOBAL__N_18offset_tEEE10hipError_tPvRmT1_PNSt15iterator_traitsISK_E10value_typeET2_T3_PNSL_ISQ_E10value_typeET4_jRbjT5_SW_jjP12ihipStream_tbEUlT_E_NS1_11comp_targetILNS1_3genE10ELNS1_11target_archE1200ELNS1_3gpuE4ELNS1_3repE0EEENS1_30default_config_static_selectorELNS0_4arch9wavefront6targetE1EEEvSK_,"axG",@progbits,_ZN7rocprim17ROCPRIM_400000_NS6detail17trampoline_kernelINS0_14default_configENS1_36segmented_radix_sort_config_selectorIslEEZNS1_25segmented_radix_sort_implIS3_Lb1EPKsPsPKlPlN2at6native12_GLOBAL__N_18offset_tEEE10hipError_tPvRmT1_PNSt15iterator_traitsISK_E10value_typeET2_T3_PNSL_ISQ_E10value_typeET4_jRbjT5_SW_jjP12ihipStream_tbEUlT_E_NS1_11comp_targetILNS1_3genE10ELNS1_11target_archE1200ELNS1_3gpuE4ELNS1_3repE0EEENS1_30default_config_static_selectorELNS0_4arch9wavefront6targetE1EEEvSK_,comdat
.Lfunc_end918:
	.size	_ZN7rocprim17ROCPRIM_400000_NS6detail17trampoline_kernelINS0_14default_configENS1_36segmented_radix_sort_config_selectorIslEEZNS1_25segmented_radix_sort_implIS3_Lb1EPKsPsPKlPlN2at6native12_GLOBAL__N_18offset_tEEE10hipError_tPvRmT1_PNSt15iterator_traitsISK_E10value_typeET2_T3_PNSL_ISQ_E10value_typeET4_jRbjT5_SW_jjP12ihipStream_tbEUlT_E_NS1_11comp_targetILNS1_3genE10ELNS1_11target_archE1200ELNS1_3gpuE4ELNS1_3repE0EEENS1_30default_config_static_selectorELNS0_4arch9wavefront6targetE1EEEvSK_, .Lfunc_end918-_ZN7rocprim17ROCPRIM_400000_NS6detail17trampoline_kernelINS0_14default_configENS1_36segmented_radix_sort_config_selectorIslEEZNS1_25segmented_radix_sort_implIS3_Lb1EPKsPsPKlPlN2at6native12_GLOBAL__N_18offset_tEEE10hipError_tPvRmT1_PNSt15iterator_traitsISK_E10value_typeET2_T3_PNSL_ISQ_E10value_typeET4_jRbjT5_SW_jjP12ihipStream_tbEUlT_E_NS1_11comp_targetILNS1_3genE10ELNS1_11target_archE1200ELNS1_3gpuE4ELNS1_3repE0EEENS1_30default_config_static_selectorELNS0_4arch9wavefront6targetE1EEEvSK_
                                        ; -- End function
	.set _ZN7rocprim17ROCPRIM_400000_NS6detail17trampoline_kernelINS0_14default_configENS1_36segmented_radix_sort_config_selectorIslEEZNS1_25segmented_radix_sort_implIS3_Lb1EPKsPsPKlPlN2at6native12_GLOBAL__N_18offset_tEEE10hipError_tPvRmT1_PNSt15iterator_traitsISK_E10value_typeET2_T3_PNSL_ISQ_E10value_typeET4_jRbjT5_SW_jjP12ihipStream_tbEUlT_E_NS1_11comp_targetILNS1_3genE10ELNS1_11target_archE1200ELNS1_3gpuE4ELNS1_3repE0EEENS1_30default_config_static_selectorELNS0_4arch9wavefront6targetE1EEEvSK_.num_vgpr, 0
	.set _ZN7rocprim17ROCPRIM_400000_NS6detail17trampoline_kernelINS0_14default_configENS1_36segmented_radix_sort_config_selectorIslEEZNS1_25segmented_radix_sort_implIS3_Lb1EPKsPsPKlPlN2at6native12_GLOBAL__N_18offset_tEEE10hipError_tPvRmT1_PNSt15iterator_traitsISK_E10value_typeET2_T3_PNSL_ISQ_E10value_typeET4_jRbjT5_SW_jjP12ihipStream_tbEUlT_E_NS1_11comp_targetILNS1_3genE10ELNS1_11target_archE1200ELNS1_3gpuE4ELNS1_3repE0EEENS1_30default_config_static_selectorELNS0_4arch9wavefront6targetE1EEEvSK_.num_agpr, 0
	.set _ZN7rocprim17ROCPRIM_400000_NS6detail17trampoline_kernelINS0_14default_configENS1_36segmented_radix_sort_config_selectorIslEEZNS1_25segmented_radix_sort_implIS3_Lb1EPKsPsPKlPlN2at6native12_GLOBAL__N_18offset_tEEE10hipError_tPvRmT1_PNSt15iterator_traitsISK_E10value_typeET2_T3_PNSL_ISQ_E10value_typeET4_jRbjT5_SW_jjP12ihipStream_tbEUlT_E_NS1_11comp_targetILNS1_3genE10ELNS1_11target_archE1200ELNS1_3gpuE4ELNS1_3repE0EEENS1_30default_config_static_selectorELNS0_4arch9wavefront6targetE1EEEvSK_.numbered_sgpr, 0
	.set _ZN7rocprim17ROCPRIM_400000_NS6detail17trampoline_kernelINS0_14default_configENS1_36segmented_radix_sort_config_selectorIslEEZNS1_25segmented_radix_sort_implIS3_Lb1EPKsPsPKlPlN2at6native12_GLOBAL__N_18offset_tEEE10hipError_tPvRmT1_PNSt15iterator_traitsISK_E10value_typeET2_T3_PNSL_ISQ_E10value_typeET4_jRbjT5_SW_jjP12ihipStream_tbEUlT_E_NS1_11comp_targetILNS1_3genE10ELNS1_11target_archE1200ELNS1_3gpuE4ELNS1_3repE0EEENS1_30default_config_static_selectorELNS0_4arch9wavefront6targetE1EEEvSK_.num_named_barrier, 0
	.set _ZN7rocprim17ROCPRIM_400000_NS6detail17trampoline_kernelINS0_14default_configENS1_36segmented_radix_sort_config_selectorIslEEZNS1_25segmented_radix_sort_implIS3_Lb1EPKsPsPKlPlN2at6native12_GLOBAL__N_18offset_tEEE10hipError_tPvRmT1_PNSt15iterator_traitsISK_E10value_typeET2_T3_PNSL_ISQ_E10value_typeET4_jRbjT5_SW_jjP12ihipStream_tbEUlT_E_NS1_11comp_targetILNS1_3genE10ELNS1_11target_archE1200ELNS1_3gpuE4ELNS1_3repE0EEENS1_30default_config_static_selectorELNS0_4arch9wavefront6targetE1EEEvSK_.private_seg_size, 0
	.set _ZN7rocprim17ROCPRIM_400000_NS6detail17trampoline_kernelINS0_14default_configENS1_36segmented_radix_sort_config_selectorIslEEZNS1_25segmented_radix_sort_implIS3_Lb1EPKsPsPKlPlN2at6native12_GLOBAL__N_18offset_tEEE10hipError_tPvRmT1_PNSt15iterator_traitsISK_E10value_typeET2_T3_PNSL_ISQ_E10value_typeET4_jRbjT5_SW_jjP12ihipStream_tbEUlT_E_NS1_11comp_targetILNS1_3genE10ELNS1_11target_archE1200ELNS1_3gpuE4ELNS1_3repE0EEENS1_30default_config_static_selectorELNS0_4arch9wavefront6targetE1EEEvSK_.uses_vcc, 0
	.set _ZN7rocprim17ROCPRIM_400000_NS6detail17trampoline_kernelINS0_14default_configENS1_36segmented_radix_sort_config_selectorIslEEZNS1_25segmented_radix_sort_implIS3_Lb1EPKsPsPKlPlN2at6native12_GLOBAL__N_18offset_tEEE10hipError_tPvRmT1_PNSt15iterator_traitsISK_E10value_typeET2_T3_PNSL_ISQ_E10value_typeET4_jRbjT5_SW_jjP12ihipStream_tbEUlT_E_NS1_11comp_targetILNS1_3genE10ELNS1_11target_archE1200ELNS1_3gpuE4ELNS1_3repE0EEENS1_30default_config_static_selectorELNS0_4arch9wavefront6targetE1EEEvSK_.uses_flat_scratch, 0
	.set _ZN7rocprim17ROCPRIM_400000_NS6detail17trampoline_kernelINS0_14default_configENS1_36segmented_radix_sort_config_selectorIslEEZNS1_25segmented_radix_sort_implIS3_Lb1EPKsPsPKlPlN2at6native12_GLOBAL__N_18offset_tEEE10hipError_tPvRmT1_PNSt15iterator_traitsISK_E10value_typeET2_T3_PNSL_ISQ_E10value_typeET4_jRbjT5_SW_jjP12ihipStream_tbEUlT_E_NS1_11comp_targetILNS1_3genE10ELNS1_11target_archE1200ELNS1_3gpuE4ELNS1_3repE0EEENS1_30default_config_static_selectorELNS0_4arch9wavefront6targetE1EEEvSK_.has_dyn_sized_stack, 0
	.set _ZN7rocprim17ROCPRIM_400000_NS6detail17trampoline_kernelINS0_14default_configENS1_36segmented_radix_sort_config_selectorIslEEZNS1_25segmented_radix_sort_implIS3_Lb1EPKsPsPKlPlN2at6native12_GLOBAL__N_18offset_tEEE10hipError_tPvRmT1_PNSt15iterator_traitsISK_E10value_typeET2_T3_PNSL_ISQ_E10value_typeET4_jRbjT5_SW_jjP12ihipStream_tbEUlT_E_NS1_11comp_targetILNS1_3genE10ELNS1_11target_archE1200ELNS1_3gpuE4ELNS1_3repE0EEENS1_30default_config_static_selectorELNS0_4arch9wavefront6targetE1EEEvSK_.has_recursion, 0
	.set _ZN7rocprim17ROCPRIM_400000_NS6detail17trampoline_kernelINS0_14default_configENS1_36segmented_radix_sort_config_selectorIslEEZNS1_25segmented_radix_sort_implIS3_Lb1EPKsPsPKlPlN2at6native12_GLOBAL__N_18offset_tEEE10hipError_tPvRmT1_PNSt15iterator_traitsISK_E10value_typeET2_T3_PNSL_ISQ_E10value_typeET4_jRbjT5_SW_jjP12ihipStream_tbEUlT_E_NS1_11comp_targetILNS1_3genE10ELNS1_11target_archE1200ELNS1_3gpuE4ELNS1_3repE0EEENS1_30default_config_static_selectorELNS0_4arch9wavefront6targetE1EEEvSK_.has_indirect_call, 0
	.section	.AMDGPU.csdata,"",@progbits
; Kernel info:
; codeLenInByte = 0
; TotalNumSgprs: 4
; NumVgprs: 0
; ScratchSize: 0
; MemoryBound: 0
; FloatMode: 240
; IeeeMode: 1
; LDSByteSize: 0 bytes/workgroup (compile time only)
; SGPRBlocks: 0
; VGPRBlocks: 0
; NumSGPRsForWavesPerEU: 4
; NumVGPRsForWavesPerEU: 1
; Occupancy: 10
; WaveLimiterHint : 0
; COMPUTE_PGM_RSRC2:SCRATCH_EN: 0
; COMPUTE_PGM_RSRC2:USER_SGPR: 6
; COMPUTE_PGM_RSRC2:TRAP_HANDLER: 0
; COMPUTE_PGM_RSRC2:TGID_X_EN: 1
; COMPUTE_PGM_RSRC2:TGID_Y_EN: 0
; COMPUTE_PGM_RSRC2:TGID_Z_EN: 0
; COMPUTE_PGM_RSRC2:TIDIG_COMP_CNT: 0
	.section	.text._ZN7rocprim17ROCPRIM_400000_NS6detail17trampoline_kernelINS0_14default_configENS1_36segmented_radix_sort_config_selectorIslEEZNS1_25segmented_radix_sort_implIS3_Lb1EPKsPsPKlPlN2at6native12_GLOBAL__N_18offset_tEEE10hipError_tPvRmT1_PNSt15iterator_traitsISK_E10value_typeET2_T3_PNSL_ISQ_E10value_typeET4_jRbjT5_SW_jjP12ihipStream_tbEUlT_E_NS1_11comp_targetILNS1_3genE9ELNS1_11target_archE1100ELNS1_3gpuE3ELNS1_3repE0EEENS1_30default_config_static_selectorELNS0_4arch9wavefront6targetE1EEEvSK_,"axG",@progbits,_ZN7rocprim17ROCPRIM_400000_NS6detail17trampoline_kernelINS0_14default_configENS1_36segmented_radix_sort_config_selectorIslEEZNS1_25segmented_radix_sort_implIS3_Lb1EPKsPsPKlPlN2at6native12_GLOBAL__N_18offset_tEEE10hipError_tPvRmT1_PNSt15iterator_traitsISK_E10value_typeET2_T3_PNSL_ISQ_E10value_typeET4_jRbjT5_SW_jjP12ihipStream_tbEUlT_E_NS1_11comp_targetILNS1_3genE9ELNS1_11target_archE1100ELNS1_3gpuE3ELNS1_3repE0EEENS1_30default_config_static_selectorELNS0_4arch9wavefront6targetE1EEEvSK_,comdat
	.globl	_ZN7rocprim17ROCPRIM_400000_NS6detail17trampoline_kernelINS0_14default_configENS1_36segmented_radix_sort_config_selectorIslEEZNS1_25segmented_radix_sort_implIS3_Lb1EPKsPsPKlPlN2at6native12_GLOBAL__N_18offset_tEEE10hipError_tPvRmT1_PNSt15iterator_traitsISK_E10value_typeET2_T3_PNSL_ISQ_E10value_typeET4_jRbjT5_SW_jjP12ihipStream_tbEUlT_E_NS1_11comp_targetILNS1_3genE9ELNS1_11target_archE1100ELNS1_3gpuE3ELNS1_3repE0EEENS1_30default_config_static_selectorELNS0_4arch9wavefront6targetE1EEEvSK_ ; -- Begin function _ZN7rocprim17ROCPRIM_400000_NS6detail17trampoline_kernelINS0_14default_configENS1_36segmented_radix_sort_config_selectorIslEEZNS1_25segmented_radix_sort_implIS3_Lb1EPKsPsPKlPlN2at6native12_GLOBAL__N_18offset_tEEE10hipError_tPvRmT1_PNSt15iterator_traitsISK_E10value_typeET2_T3_PNSL_ISQ_E10value_typeET4_jRbjT5_SW_jjP12ihipStream_tbEUlT_E_NS1_11comp_targetILNS1_3genE9ELNS1_11target_archE1100ELNS1_3gpuE3ELNS1_3repE0EEENS1_30default_config_static_selectorELNS0_4arch9wavefront6targetE1EEEvSK_
	.p2align	8
	.type	_ZN7rocprim17ROCPRIM_400000_NS6detail17trampoline_kernelINS0_14default_configENS1_36segmented_radix_sort_config_selectorIslEEZNS1_25segmented_radix_sort_implIS3_Lb1EPKsPsPKlPlN2at6native12_GLOBAL__N_18offset_tEEE10hipError_tPvRmT1_PNSt15iterator_traitsISK_E10value_typeET2_T3_PNSL_ISQ_E10value_typeET4_jRbjT5_SW_jjP12ihipStream_tbEUlT_E_NS1_11comp_targetILNS1_3genE9ELNS1_11target_archE1100ELNS1_3gpuE3ELNS1_3repE0EEENS1_30default_config_static_selectorELNS0_4arch9wavefront6targetE1EEEvSK_,@function
_ZN7rocprim17ROCPRIM_400000_NS6detail17trampoline_kernelINS0_14default_configENS1_36segmented_radix_sort_config_selectorIslEEZNS1_25segmented_radix_sort_implIS3_Lb1EPKsPsPKlPlN2at6native12_GLOBAL__N_18offset_tEEE10hipError_tPvRmT1_PNSt15iterator_traitsISK_E10value_typeET2_T3_PNSL_ISQ_E10value_typeET4_jRbjT5_SW_jjP12ihipStream_tbEUlT_E_NS1_11comp_targetILNS1_3genE9ELNS1_11target_archE1100ELNS1_3gpuE3ELNS1_3repE0EEENS1_30default_config_static_selectorELNS0_4arch9wavefront6targetE1EEEvSK_: ; @_ZN7rocprim17ROCPRIM_400000_NS6detail17trampoline_kernelINS0_14default_configENS1_36segmented_radix_sort_config_selectorIslEEZNS1_25segmented_radix_sort_implIS3_Lb1EPKsPsPKlPlN2at6native12_GLOBAL__N_18offset_tEEE10hipError_tPvRmT1_PNSt15iterator_traitsISK_E10value_typeET2_T3_PNSL_ISQ_E10value_typeET4_jRbjT5_SW_jjP12ihipStream_tbEUlT_E_NS1_11comp_targetILNS1_3genE9ELNS1_11target_archE1100ELNS1_3gpuE3ELNS1_3repE0EEENS1_30default_config_static_selectorELNS0_4arch9wavefront6targetE1EEEvSK_
; %bb.0:
	.section	.rodata,"a",@progbits
	.p2align	6, 0x0
	.amdhsa_kernel _ZN7rocprim17ROCPRIM_400000_NS6detail17trampoline_kernelINS0_14default_configENS1_36segmented_radix_sort_config_selectorIslEEZNS1_25segmented_radix_sort_implIS3_Lb1EPKsPsPKlPlN2at6native12_GLOBAL__N_18offset_tEEE10hipError_tPvRmT1_PNSt15iterator_traitsISK_E10value_typeET2_T3_PNSL_ISQ_E10value_typeET4_jRbjT5_SW_jjP12ihipStream_tbEUlT_E_NS1_11comp_targetILNS1_3genE9ELNS1_11target_archE1100ELNS1_3gpuE3ELNS1_3repE0EEENS1_30default_config_static_selectorELNS0_4arch9wavefront6targetE1EEEvSK_
		.amdhsa_group_segment_fixed_size 0
		.amdhsa_private_segment_fixed_size 0
		.amdhsa_kernarg_size 96
		.amdhsa_user_sgpr_count 6
		.amdhsa_user_sgpr_private_segment_buffer 1
		.amdhsa_user_sgpr_dispatch_ptr 0
		.amdhsa_user_sgpr_queue_ptr 0
		.amdhsa_user_sgpr_kernarg_segment_ptr 1
		.amdhsa_user_sgpr_dispatch_id 0
		.amdhsa_user_sgpr_flat_scratch_init 0
		.amdhsa_user_sgpr_private_segment_size 0
		.amdhsa_uses_dynamic_stack 0
		.amdhsa_system_sgpr_private_segment_wavefront_offset 0
		.amdhsa_system_sgpr_workgroup_id_x 1
		.amdhsa_system_sgpr_workgroup_id_y 0
		.amdhsa_system_sgpr_workgroup_id_z 0
		.amdhsa_system_sgpr_workgroup_info 0
		.amdhsa_system_vgpr_workitem_id 0
		.amdhsa_next_free_vgpr 1
		.amdhsa_next_free_sgpr 0
		.amdhsa_reserve_vcc 0
		.amdhsa_reserve_flat_scratch 0
		.amdhsa_float_round_mode_32 0
		.amdhsa_float_round_mode_16_64 0
		.amdhsa_float_denorm_mode_32 3
		.amdhsa_float_denorm_mode_16_64 3
		.amdhsa_dx10_clamp 1
		.amdhsa_ieee_mode 1
		.amdhsa_fp16_overflow 0
		.amdhsa_exception_fp_ieee_invalid_op 0
		.amdhsa_exception_fp_denorm_src 0
		.amdhsa_exception_fp_ieee_div_zero 0
		.amdhsa_exception_fp_ieee_overflow 0
		.amdhsa_exception_fp_ieee_underflow 0
		.amdhsa_exception_fp_ieee_inexact 0
		.amdhsa_exception_int_div_zero 0
	.end_amdhsa_kernel
	.section	.text._ZN7rocprim17ROCPRIM_400000_NS6detail17trampoline_kernelINS0_14default_configENS1_36segmented_radix_sort_config_selectorIslEEZNS1_25segmented_radix_sort_implIS3_Lb1EPKsPsPKlPlN2at6native12_GLOBAL__N_18offset_tEEE10hipError_tPvRmT1_PNSt15iterator_traitsISK_E10value_typeET2_T3_PNSL_ISQ_E10value_typeET4_jRbjT5_SW_jjP12ihipStream_tbEUlT_E_NS1_11comp_targetILNS1_3genE9ELNS1_11target_archE1100ELNS1_3gpuE3ELNS1_3repE0EEENS1_30default_config_static_selectorELNS0_4arch9wavefront6targetE1EEEvSK_,"axG",@progbits,_ZN7rocprim17ROCPRIM_400000_NS6detail17trampoline_kernelINS0_14default_configENS1_36segmented_radix_sort_config_selectorIslEEZNS1_25segmented_radix_sort_implIS3_Lb1EPKsPsPKlPlN2at6native12_GLOBAL__N_18offset_tEEE10hipError_tPvRmT1_PNSt15iterator_traitsISK_E10value_typeET2_T3_PNSL_ISQ_E10value_typeET4_jRbjT5_SW_jjP12ihipStream_tbEUlT_E_NS1_11comp_targetILNS1_3genE9ELNS1_11target_archE1100ELNS1_3gpuE3ELNS1_3repE0EEENS1_30default_config_static_selectorELNS0_4arch9wavefront6targetE1EEEvSK_,comdat
.Lfunc_end919:
	.size	_ZN7rocprim17ROCPRIM_400000_NS6detail17trampoline_kernelINS0_14default_configENS1_36segmented_radix_sort_config_selectorIslEEZNS1_25segmented_radix_sort_implIS3_Lb1EPKsPsPKlPlN2at6native12_GLOBAL__N_18offset_tEEE10hipError_tPvRmT1_PNSt15iterator_traitsISK_E10value_typeET2_T3_PNSL_ISQ_E10value_typeET4_jRbjT5_SW_jjP12ihipStream_tbEUlT_E_NS1_11comp_targetILNS1_3genE9ELNS1_11target_archE1100ELNS1_3gpuE3ELNS1_3repE0EEENS1_30default_config_static_selectorELNS0_4arch9wavefront6targetE1EEEvSK_, .Lfunc_end919-_ZN7rocprim17ROCPRIM_400000_NS6detail17trampoline_kernelINS0_14default_configENS1_36segmented_radix_sort_config_selectorIslEEZNS1_25segmented_radix_sort_implIS3_Lb1EPKsPsPKlPlN2at6native12_GLOBAL__N_18offset_tEEE10hipError_tPvRmT1_PNSt15iterator_traitsISK_E10value_typeET2_T3_PNSL_ISQ_E10value_typeET4_jRbjT5_SW_jjP12ihipStream_tbEUlT_E_NS1_11comp_targetILNS1_3genE9ELNS1_11target_archE1100ELNS1_3gpuE3ELNS1_3repE0EEENS1_30default_config_static_selectorELNS0_4arch9wavefront6targetE1EEEvSK_
                                        ; -- End function
	.set _ZN7rocprim17ROCPRIM_400000_NS6detail17trampoline_kernelINS0_14default_configENS1_36segmented_radix_sort_config_selectorIslEEZNS1_25segmented_radix_sort_implIS3_Lb1EPKsPsPKlPlN2at6native12_GLOBAL__N_18offset_tEEE10hipError_tPvRmT1_PNSt15iterator_traitsISK_E10value_typeET2_T3_PNSL_ISQ_E10value_typeET4_jRbjT5_SW_jjP12ihipStream_tbEUlT_E_NS1_11comp_targetILNS1_3genE9ELNS1_11target_archE1100ELNS1_3gpuE3ELNS1_3repE0EEENS1_30default_config_static_selectorELNS0_4arch9wavefront6targetE1EEEvSK_.num_vgpr, 0
	.set _ZN7rocprim17ROCPRIM_400000_NS6detail17trampoline_kernelINS0_14default_configENS1_36segmented_radix_sort_config_selectorIslEEZNS1_25segmented_radix_sort_implIS3_Lb1EPKsPsPKlPlN2at6native12_GLOBAL__N_18offset_tEEE10hipError_tPvRmT1_PNSt15iterator_traitsISK_E10value_typeET2_T3_PNSL_ISQ_E10value_typeET4_jRbjT5_SW_jjP12ihipStream_tbEUlT_E_NS1_11comp_targetILNS1_3genE9ELNS1_11target_archE1100ELNS1_3gpuE3ELNS1_3repE0EEENS1_30default_config_static_selectorELNS0_4arch9wavefront6targetE1EEEvSK_.num_agpr, 0
	.set _ZN7rocprim17ROCPRIM_400000_NS6detail17trampoline_kernelINS0_14default_configENS1_36segmented_radix_sort_config_selectorIslEEZNS1_25segmented_radix_sort_implIS3_Lb1EPKsPsPKlPlN2at6native12_GLOBAL__N_18offset_tEEE10hipError_tPvRmT1_PNSt15iterator_traitsISK_E10value_typeET2_T3_PNSL_ISQ_E10value_typeET4_jRbjT5_SW_jjP12ihipStream_tbEUlT_E_NS1_11comp_targetILNS1_3genE9ELNS1_11target_archE1100ELNS1_3gpuE3ELNS1_3repE0EEENS1_30default_config_static_selectorELNS0_4arch9wavefront6targetE1EEEvSK_.numbered_sgpr, 0
	.set _ZN7rocprim17ROCPRIM_400000_NS6detail17trampoline_kernelINS0_14default_configENS1_36segmented_radix_sort_config_selectorIslEEZNS1_25segmented_radix_sort_implIS3_Lb1EPKsPsPKlPlN2at6native12_GLOBAL__N_18offset_tEEE10hipError_tPvRmT1_PNSt15iterator_traitsISK_E10value_typeET2_T3_PNSL_ISQ_E10value_typeET4_jRbjT5_SW_jjP12ihipStream_tbEUlT_E_NS1_11comp_targetILNS1_3genE9ELNS1_11target_archE1100ELNS1_3gpuE3ELNS1_3repE0EEENS1_30default_config_static_selectorELNS0_4arch9wavefront6targetE1EEEvSK_.num_named_barrier, 0
	.set _ZN7rocprim17ROCPRIM_400000_NS6detail17trampoline_kernelINS0_14default_configENS1_36segmented_radix_sort_config_selectorIslEEZNS1_25segmented_radix_sort_implIS3_Lb1EPKsPsPKlPlN2at6native12_GLOBAL__N_18offset_tEEE10hipError_tPvRmT1_PNSt15iterator_traitsISK_E10value_typeET2_T3_PNSL_ISQ_E10value_typeET4_jRbjT5_SW_jjP12ihipStream_tbEUlT_E_NS1_11comp_targetILNS1_3genE9ELNS1_11target_archE1100ELNS1_3gpuE3ELNS1_3repE0EEENS1_30default_config_static_selectorELNS0_4arch9wavefront6targetE1EEEvSK_.private_seg_size, 0
	.set _ZN7rocprim17ROCPRIM_400000_NS6detail17trampoline_kernelINS0_14default_configENS1_36segmented_radix_sort_config_selectorIslEEZNS1_25segmented_radix_sort_implIS3_Lb1EPKsPsPKlPlN2at6native12_GLOBAL__N_18offset_tEEE10hipError_tPvRmT1_PNSt15iterator_traitsISK_E10value_typeET2_T3_PNSL_ISQ_E10value_typeET4_jRbjT5_SW_jjP12ihipStream_tbEUlT_E_NS1_11comp_targetILNS1_3genE9ELNS1_11target_archE1100ELNS1_3gpuE3ELNS1_3repE0EEENS1_30default_config_static_selectorELNS0_4arch9wavefront6targetE1EEEvSK_.uses_vcc, 0
	.set _ZN7rocprim17ROCPRIM_400000_NS6detail17trampoline_kernelINS0_14default_configENS1_36segmented_radix_sort_config_selectorIslEEZNS1_25segmented_radix_sort_implIS3_Lb1EPKsPsPKlPlN2at6native12_GLOBAL__N_18offset_tEEE10hipError_tPvRmT1_PNSt15iterator_traitsISK_E10value_typeET2_T3_PNSL_ISQ_E10value_typeET4_jRbjT5_SW_jjP12ihipStream_tbEUlT_E_NS1_11comp_targetILNS1_3genE9ELNS1_11target_archE1100ELNS1_3gpuE3ELNS1_3repE0EEENS1_30default_config_static_selectorELNS0_4arch9wavefront6targetE1EEEvSK_.uses_flat_scratch, 0
	.set _ZN7rocprim17ROCPRIM_400000_NS6detail17trampoline_kernelINS0_14default_configENS1_36segmented_radix_sort_config_selectorIslEEZNS1_25segmented_radix_sort_implIS3_Lb1EPKsPsPKlPlN2at6native12_GLOBAL__N_18offset_tEEE10hipError_tPvRmT1_PNSt15iterator_traitsISK_E10value_typeET2_T3_PNSL_ISQ_E10value_typeET4_jRbjT5_SW_jjP12ihipStream_tbEUlT_E_NS1_11comp_targetILNS1_3genE9ELNS1_11target_archE1100ELNS1_3gpuE3ELNS1_3repE0EEENS1_30default_config_static_selectorELNS0_4arch9wavefront6targetE1EEEvSK_.has_dyn_sized_stack, 0
	.set _ZN7rocprim17ROCPRIM_400000_NS6detail17trampoline_kernelINS0_14default_configENS1_36segmented_radix_sort_config_selectorIslEEZNS1_25segmented_radix_sort_implIS3_Lb1EPKsPsPKlPlN2at6native12_GLOBAL__N_18offset_tEEE10hipError_tPvRmT1_PNSt15iterator_traitsISK_E10value_typeET2_T3_PNSL_ISQ_E10value_typeET4_jRbjT5_SW_jjP12ihipStream_tbEUlT_E_NS1_11comp_targetILNS1_3genE9ELNS1_11target_archE1100ELNS1_3gpuE3ELNS1_3repE0EEENS1_30default_config_static_selectorELNS0_4arch9wavefront6targetE1EEEvSK_.has_recursion, 0
	.set _ZN7rocprim17ROCPRIM_400000_NS6detail17trampoline_kernelINS0_14default_configENS1_36segmented_radix_sort_config_selectorIslEEZNS1_25segmented_radix_sort_implIS3_Lb1EPKsPsPKlPlN2at6native12_GLOBAL__N_18offset_tEEE10hipError_tPvRmT1_PNSt15iterator_traitsISK_E10value_typeET2_T3_PNSL_ISQ_E10value_typeET4_jRbjT5_SW_jjP12ihipStream_tbEUlT_E_NS1_11comp_targetILNS1_3genE9ELNS1_11target_archE1100ELNS1_3gpuE3ELNS1_3repE0EEENS1_30default_config_static_selectorELNS0_4arch9wavefront6targetE1EEEvSK_.has_indirect_call, 0
	.section	.AMDGPU.csdata,"",@progbits
; Kernel info:
; codeLenInByte = 0
; TotalNumSgprs: 4
; NumVgprs: 0
; ScratchSize: 0
; MemoryBound: 0
; FloatMode: 240
; IeeeMode: 1
; LDSByteSize: 0 bytes/workgroup (compile time only)
; SGPRBlocks: 0
; VGPRBlocks: 0
; NumSGPRsForWavesPerEU: 4
; NumVGPRsForWavesPerEU: 1
; Occupancy: 10
; WaveLimiterHint : 0
; COMPUTE_PGM_RSRC2:SCRATCH_EN: 0
; COMPUTE_PGM_RSRC2:USER_SGPR: 6
; COMPUTE_PGM_RSRC2:TRAP_HANDLER: 0
; COMPUTE_PGM_RSRC2:TGID_X_EN: 1
; COMPUTE_PGM_RSRC2:TGID_Y_EN: 0
; COMPUTE_PGM_RSRC2:TGID_Z_EN: 0
; COMPUTE_PGM_RSRC2:TIDIG_COMP_CNT: 0
	.section	.text._ZN7rocprim17ROCPRIM_400000_NS6detail17trampoline_kernelINS0_14default_configENS1_36segmented_radix_sort_config_selectorIslEEZNS1_25segmented_radix_sort_implIS3_Lb1EPKsPsPKlPlN2at6native12_GLOBAL__N_18offset_tEEE10hipError_tPvRmT1_PNSt15iterator_traitsISK_E10value_typeET2_T3_PNSL_ISQ_E10value_typeET4_jRbjT5_SW_jjP12ihipStream_tbEUlT_E_NS1_11comp_targetILNS1_3genE8ELNS1_11target_archE1030ELNS1_3gpuE2ELNS1_3repE0EEENS1_30default_config_static_selectorELNS0_4arch9wavefront6targetE1EEEvSK_,"axG",@progbits,_ZN7rocprim17ROCPRIM_400000_NS6detail17trampoline_kernelINS0_14default_configENS1_36segmented_radix_sort_config_selectorIslEEZNS1_25segmented_radix_sort_implIS3_Lb1EPKsPsPKlPlN2at6native12_GLOBAL__N_18offset_tEEE10hipError_tPvRmT1_PNSt15iterator_traitsISK_E10value_typeET2_T3_PNSL_ISQ_E10value_typeET4_jRbjT5_SW_jjP12ihipStream_tbEUlT_E_NS1_11comp_targetILNS1_3genE8ELNS1_11target_archE1030ELNS1_3gpuE2ELNS1_3repE0EEENS1_30default_config_static_selectorELNS0_4arch9wavefront6targetE1EEEvSK_,comdat
	.globl	_ZN7rocprim17ROCPRIM_400000_NS6detail17trampoline_kernelINS0_14default_configENS1_36segmented_radix_sort_config_selectorIslEEZNS1_25segmented_radix_sort_implIS3_Lb1EPKsPsPKlPlN2at6native12_GLOBAL__N_18offset_tEEE10hipError_tPvRmT1_PNSt15iterator_traitsISK_E10value_typeET2_T3_PNSL_ISQ_E10value_typeET4_jRbjT5_SW_jjP12ihipStream_tbEUlT_E_NS1_11comp_targetILNS1_3genE8ELNS1_11target_archE1030ELNS1_3gpuE2ELNS1_3repE0EEENS1_30default_config_static_selectorELNS0_4arch9wavefront6targetE1EEEvSK_ ; -- Begin function _ZN7rocprim17ROCPRIM_400000_NS6detail17trampoline_kernelINS0_14default_configENS1_36segmented_radix_sort_config_selectorIslEEZNS1_25segmented_radix_sort_implIS3_Lb1EPKsPsPKlPlN2at6native12_GLOBAL__N_18offset_tEEE10hipError_tPvRmT1_PNSt15iterator_traitsISK_E10value_typeET2_T3_PNSL_ISQ_E10value_typeET4_jRbjT5_SW_jjP12ihipStream_tbEUlT_E_NS1_11comp_targetILNS1_3genE8ELNS1_11target_archE1030ELNS1_3gpuE2ELNS1_3repE0EEENS1_30default_config_static_selectorELNS0_4arch9wavefront6targetE1EEEvSK_
	.p2align	8
	.type	_ZN7rocprim17ROCPRIM_400000_NS6detail17trampoline_kernelINS0_14default_configENS1_36segmented_radix_sort_config_selectorIslEEZNS1_25segmented_radix_sort_implIS3_Lb1EPKsPsPKlPlN2at6native12_GLOBAL__N_18offset_tEEE10hipError_tPvRmT1_PNSt15iterator_traitsISK_E10value_typeET2_T3_PNSL_ISQ_E10value_typeET4_jRbjT5_SW_jjP12ihipStream_tbEUlT_E_NS1_11comp_targetILNS1_3genE8ELNS1_11target_archE1030ELNS1_3gpuE2ELNS1_3repE0EEENS1_30default_config_static_selectorELNS0_4arch9wavefront6targetE1EEEvSK_,@function
_ZN7rocprim17ROCPRIM_400000_NS6detail17trampoline_kernelINS0_14default_configENS1_36segmented_radix_sort_config_selectorIslEEZNS1_25segmented_radix_sort_implIS3_Lb1EPKsPsPKlPlN2at6native12_GLOBAL__N_18offset_tEEE10hipError_tPvRmT1_PNSt15iterator_traitsISK_E10value_typeET2_T3_PNSL_ISQ_E10value_typeET4_jRbjT5_SW_jjP12ihipStream_tbEUlT_E_NS1_11comp_targetILNS1_3genE8ELNS1_11target_archE1030ELNS1_3gpuE2ELNS1_3repE0EEENS1_30default_config_static_selectorELNS0_4arch9wavefront6targetE1EEEvSK_: ; @_ZN7rocprim17ROCPRIM_400000_NS6detail17trampoline_kernelINS0_14default_configENS1_36segmented_radix_sort_config_selectorIslEEZNS1_25segmented_radix_sort_implIS3_Lb1EPKsPsPKlPlN2at6native12_GLOBAL__N_18offset_tEEE10hipError_tPvRmT1_PNSt15iterator_traitsISK_E10value_typeET2_T3_PNSL_ISQ_E10value_typeET4_jRbjT5_SW_jjP12ihipStream_tbEUlT_E_NS1_11comp_targetILNS1_3genE8ELNS1_11target_archE1030ELNS1_3gpuE2ELNS1_3repE0EEENS1_30default_config_static_selectorELNS0_4arch9wavefront6targetE1EEEvSK_
; %bb.0:
	.section	.rodata,"a",@progbits
	.p2align	6, 0x0
	.amdhsa_kernel _ZN7rocprim17ROCPRIM_400000_NS6detail17trampoline_kernelINS0_14default_configENS1_36segmented_radix_sort_config_selectorIslEEZNS1_25segmented_radix_sort_implIS3_Lb1EPKsPsPKlPlN2at6native12_GLOBAL__N_18offset_tEEE10hipError_tPvRmT1_PNSt15iterator_traitsISK_E10value_typeET2_T3_PNSL_ISQ_E10value_typeET4_jRbjT5_SW_jjP12ihipStream_tbEUlT_E_NS1_11comp_targetILNS1_3genE8ELNS1_11target_archE1030ELNS1_3gpuE2ELNS1_3repE0EEENS1_30default_config_static_selectorELNS0_4arch9wavefront6targetE1EEEvSK_
		.amdhsa_group_segment_fixed_size 0
		.amdhsa_private_segment_fixed_size 0
		.amdhsa_kernarg_size 96
		.amdhsa_user_sgpr_count 6
		.amdhsa_user_sgpr_private_segment_buffer 1
		.amdhsa_user_sgpr_dispatch_ptr 0
		.amdhsa_user_sgpr_queue_ptr 0
		.amdhsa_user_sgpr_kernarg_segment_ptr 1
		.amdhsa_user_sgpr_dispatch_id 0
		.amdhsa_user_sgpr_flat_scratch_init 0
		.amdhsa_user_sgpr_private_segment_size 0
		.amdhsa_uses_dynamic_stack 0
		.amdhsa_system_sgpr_private_segment_wavefront_offset 0
		.amdhsa_system_sgpr_workgroup_id_x 1
		.amdhsa_system_sgpr_workgroup_id_y 0
		.amdhsa_system_sgpr_workgroup_id_z 0
		.amdhsa_system_sgpr_workgroup_info 0
		.amdhsa_system_vgpr_workitem_id 0
		.amdhsa_next_free_vgpr 1
		.amdhsa_next_free_sgpr 0
		.amdhsa_reserve_vcc 0
		.amdhsa_reserve_flat_scratch 0
		.amdhsa_float_round_mode_32 0
		.amdhsa_float_round_mode_16_64 0
		.amdhsa_float_denorm_mode_32 3
		.amdhsa_float_denorm_mode_16_64 3
		.amdhsa_dx10_clamp 1
		.amdhsa_ieee_mode 1
		.amdhsa_fp16_overflow 0
		.amdhsa_exception_fp_ieee_invalid_op 0
		.amdhsa_exception_fp_denorm_src 0
		.amdhsa_exception_fp_ieee_div_zero 0
		.amdhsa_exception_fp_ieee_overflow 0
		.amdhsa_exception_fp_ieee_underflow 0
		.amdhsa_exception_fp_ieee_inexact 0
		.amdhsa_exception_int_div_zero 0
	.end_amdhsa_kernel
	.section	.text._ZN7rocprim17ROCPRIM_400000_NS6detail17trampoline_kernelINS0_14default_configENS1_36segmented_radix_sort_config_selectorIslEEZNS1_25segmented_radix_sort_implIS3_Lb1EPKsPsPKlPlN2at6native12_GLOBAL__N_18offset_tEEE10hipError_tPvRmT1_PNSt15iterator_traitsISK_E10value_typeET2_T3_PNSL_ISQ_E10value_typeET4_jRbjT5_SW_jjP12ihipStream_tbEUlT_E_NS1_11comp_targetILNS1_3genE8ELNS1_11target_archE1030ELNS1_3gpuE2ELNS1_3repE0EEENS1_30default_config_static_selectorELNS0_4arch9wavefront6targetE1EEEvSK_,"axG",@progbits,_ZN7rocprim17ROCPRIM_400000_NS6detail17trampoline_kernelINS0_14default_configENS1_36segmented_radix_sort_config_selectorIslEEZNS1_25segmented_radix_sort_implIS3_Lb1EPKsPsPKlPlN2at6native12_GLOBAL__N_18offset_tEEE10hipError_tPvRmT1_PNSt15iterator_traitsISK_E10value_typeET2_T3_PNSL_ISQ_E10value_typeET4_jRbjT5_SW_jjP12ihipStream_tbEUlT_E_NS1_11comp_targetILNS1_3genE8ELNS1_11target_archE1030ELNS1_3gpuE2ELNS1_3repE0EEENS1_30default_config_static_selectorELNS0_4arch9wavefront6targetE1EEEvSK_,comdat
.Lfunc_end920:
	.size	_ZN7rocprim17ROCPRIM_400000_NS6detail17trampoline_kernelINS0_14default_configENS1_36segmented_radix_sort_config_selectorIslEEZNS1_25segmented_radix_sort_implIS3_Lb1EPKsPsPKlPlN2at6native12_GLOBAL__N_18offset_tEEE10hipError_tPvRmT1_PNSt15iterator_traitsISK_E10value_typeET2_T3_PNSL_ISQ_E10value_typeET4_jRbjT5_SW_jjP12ihipStream_tbEUlT_E_NS1_11comp_targetILNS1_3genE8ELNS1_11target_archE1030ELNS1_3gpuE2ELNS1_3repE0EEENS1_30default_config_static_selectorELNS0_4arch9wavefront6targetE1EEEvSK_, .Lfunc_end920-_ZN7rocprim17ROCPRIM_400000_NS6detail17trampoline_kernelINS0_14default_configENS1_36segmented_radix_sort_config_selectorIslEEZNS1_25segmented_radix_sort_implIS3_Lb1EPKsPsPKlPlN2at6native12_GLOBAL__N_18offset_tEEE10hipError_tPvRmT1_PNSt15iterator_traitsISK_E10value_typeET2_T3_PNSL_ISQ_E10value_typeET4_jRbjT5_SW_jjP12ihipStream_tbEUlT_E_NS1_11comp_targetILNS1_3genE8ELNS1_11target_archE1030ELNS1_3gpuE2ELNS1_3repE0EEENS1_30default_config_static_selectorELNS0_4arch9wavefront6targetE1EEEvSK_
                                        ; -- End function
	.set _ZN7rocprim17ROCPRIM_400000_NS6detail17trampoline_kernelINS0_14default_configENS1_36segmented_radix_sort_config_selectorIslEEZNS1_25segmented_radix_sort_implIS3_Lb1EPKsPsPKlPlN2at6native12_GLOBAL__N_18offset_tEEE10hipError_tPvRmT1_PNSt15iterator_traitsISK_E10value_typeET2_T3_PNSL_ISQ_E10value_typeET4_jRbjT5_SW_jjP12ihipStream_tbEUlT_E_NS1_11comp_targetILNS1_3genE8ELNS1_11target_archE1030ELNS1_3gpuE2ELNS1_3repE0EEENS1_30default_config_static_selectorELNS0_4arch9wavefront6targetE1EEEvSK_.num_vgpr, 0
	.set _ZN7rocprim17ROCPRIM_400000_NS6detail17trampoline_kernelINS0_14default_configENS1_36segmented_radix_sort_config_selectorIslEEZNS1_25segmented_radix_sort_implIS3_Lb1EPKsPsPKlPlN2at6native12_GLOBAL__N_18offset_tEEE10hipError_tPvRmT1_PNSt15iterator_traitsISK_E10value_typeET2_T3_PNSL_ISQ_E10value_typeET4_jRbjT5_SW_jjP12ihipStream_tbEUlT_E_NS1_11comp_targetILNS1_3genE8ELNS1_11target_archE1030ELNS1_3gpuE2ELNS1_3repE0EEENS1_30default_config_static_selectorELNS0_4arch9wavefront6targetE1EEEvSK_.num_agpr, 0
	.set _ZN7rocprim17ROCPRIM_400000_NS6detail17trampoline_kernelINS0_14default_configENS1_36segmented_radix_sort_config_selectorIslEEZNS1_25segmented_radix_sort_implIS3_Lb1EPKsPsPKlPlN2at6native12_GLOBAL__N_18offset_tEEE10hipError_tPvRmT1_PNSt15iterator_traitsISK_E10value_typeET2_T3_PNSL_ISQ_E10value_typeET4_jRbjT5_SW_jjP12ihipStream_tbEUlT_E_NS1_11comp_targetILNS1_3genE8ELNS1_11target_archE1030ELNS1_3gpuE2ELNS1_3repE0EEENS1_30default_config_static_selectorELNS0_4arch9wavefront6targetE1EEEvSK_.numbered_sgpr, 0
	.set _ZN7rocprim17ROCPRIM_400000_NS6detail17trampoline_kernelINS0_14default_configENS1_36segmented_radix_sort_config_selectorIslEEZNS1_25segmented_radix_sort_implIS3_Lb1EPKsPsPKlPlN2at6native12_GLOBAL__N_18offset_tEEE10hipError_tPvRmT1_PNSt15iterator_traitsISK_E10value_typeET2_T3_PNSL_ISQ_E10value_typeET4_jRbjT5_SW_jjP12ihipStream_tbEUlT_E_NS1_11comp_targetILNS1_3genE8ELNS1_11target_archE1030ELNS1_3gpuE2ELNS1_3repE0EEENS1_30default_config_static_selectorELNS0_4arch9wavefront6targetE1EEEvSK_.num_named_barrier, 0
	.set _ZN7rocprim17ROCPRIM_400000_NS6detail17trampoline_kernelINS0_14default_configENS1_36segmented_radix_sort_config_selectorIslEEZNS1_25segmented_radix_sort_implIS3_Lb1EPKsPsPKlPlN2at6native12_GLOBAL__N_18offset_tEEE10hipError_tPvRmT1_PNSt15iterator_traitsISK_E10value_typeET2_T3_PNSL_ISQ_E10value_typeET4_jRbjT5_SW_jjP12ihipStream_tbEUlT_E_NS1_11comp_targetILNS1_3genE8ELNS1_11target_archE1030ELNS1_3gpuE2ELNS1_3repE0EEENS1_30default_config_static_selectorELNS0_4arch9wavefront6targetE1EEEvSK_.private_seg_size, 0
	.set _ZN7rocprim17ROCPRIM_400000_NS6detail17trampoline_kernelINS0_14default_configENS1_36segmented_radix_sort_config_selectorIslEEZNS1_25segmented_radix_sort_implIS3_Lb1EPKsPsPKlPlN2at6native12_GLOBAL__N_18offset_tEEE10hipError_tPvRmT1_PNSt15iterator_traitsISK_E10value_typeET2_T3_PNSL_ISQ_E10value_typeET4_jRbjT5_SW_jjP12ihipStream_tbEUlT_E_NS1_11comp_targetILNS1_3genE8ELNS1_11target_archE1030ELNS1_3gpuE2ELNS1_3repE0EEENS1_30default_config_static_selectorELNS0_4arch9wavefront6targetE1EEEvSK_.uses_vcc, 0
	.set _ZN7rocprim17ROCPRIM_400000_NS6detail17trampoline_kernelINS0_14default_configENS1_36segmented_radix_sort_config_selectorIslEEZNS1_25segmented_radix_sort_implIS3_Lb1EPKsPsPKlPlN2at6native12_GLOBAL__N_18offset_tEEE10hipError_tPvRmT1_PNSt15iterator_traitsISK_E10value_typeET2_T3_PNSL_ISQ_E10value_typeET4_jRbjT5_SW_jjP12ihipStream_tbEUlT_E_NS1_11comp_targetILNS1_3genE8ELNS1_11target_archE1030ELNS1_3gpuE2ELNS1_3repE0EEENS1_30default_config_static_selectorELNS0_4arch9wavefront6targetE1EEEvSK_.uses_flat_scratch, 0
	.set _ZN7rocprim17ROCPRIM_400000_NS6detail17trampoline_kernelINS0_14default_configENS1_36segmented_radix_sort_config_selectorIslEEZNS1_25segmented_radix_sort_implIS3_Lb1EPKsPsPKlPlN2at6native12_GLOBAL__N_18offset_tEEE10hipError_tPvRmT1_PNSt15iterator_traitsISK_E10value_typeET2_T3_PNSL_ISQ_E10value_typeET4_jRbjT5_SW_jjP12ihipStream_tbEUlT_E_NS1_11comp_targetILNS1_3genE8ELNS1_11target_archE1030ELNS1_3gpuE2ELNS1_3repE0EEENS1_30default_config_static_selectorELNS0_4arch9wavefront6targetE1EEEvSK_.has_dyn_sized_stack, 0
	.set _ZN7rocprim17ROCPRIM_400000_NS6detail17trampoline_kernelINS0_14default_configENS1_36segmented_radix_sort_config_selectorIslEEZNS1_25segmented_radix_sort_implIS3_Lb1EPKsPsPKlPlN2at6native12_GLOBAL__N_18offset_tEEE10hipError_tPvRmT1_PNSt15iterator_traitsISK_E10value_typeET2_T3_PNSL_ISQ_E10value_typeET4_jRbjT5_SW_jjP12ihipStream_tbEUlT_E_NS1_11comp_targetILNS1_3genE8ELNS1_11target_archE1030ELNS1_3gpuE2ELNS1_3repE0EEENS1_30default_config_static_selectorELNS0_4arch9wavefront6targetE1EEEvSK_.has_recursion, 0
	.set _ZN7rocprim17ROCPRIM_400000_NS6detail17trampoline_kernelINS0_14default_configENS1_36segmented_radix_sort_config_selectorIslEEZNS1_25segmented_radix_sort_implIS3_Lb1EPKsPsPKlPlN2at6native12_GLOBAL__N_18offset_tEEE10hipError_tPvRmT1_PNSt15iterator_traitsISK_E10value_typeET2_T3_PNSL_ISQ_E10value_typeET4_jRbjT5_SW_jjP12ihipStream_tbEUlT_E_NS1_11comp_targetILNS1_3genE8ELNS1_11target_archE1030ELNS1_3gpuE2ELNS1_3repE0EEENS1_30default_config_static_selectorELNS0_4arch9wavefront6targetE1EEEvSK_.has_indirect_call, 0
	.section	.AMDGPU.csdata,"",@progbits
; Kernel info:
; codeLenInByte = 0
; TotalNumSgprs: 4
; NumVgprs: 0
; ScratchSize: 0
; MemoryBound: 0
; FloatMode: 240
; IeeeMode: 1
; LDSByteSize: 0 bytes/workgroup (compile time only)
; SGPRBlocks: 0
; VGPRBlocks: 0
; NumSGPRsForWavesPerEU: 4
; NumVGPRsForWavesPerEU: 1
; Occupancy: 10
; WaveLimiterHint : 0
; COMPUTE_PGM_RSRC2:SCRATCH_EN: 0
; COMPUTE_PGM_RSRC2:USER_SGPR: 6
; COMPUTE_PGM_RSRC2:TRAP_HANDLER: 0
; COMPUTE_PGM_RSRC2:TGID_X_EN: 1
; COMPUTE_PGM_RSRC2:TGID_Y_EN: 0
; COMPUTE_PGM_RSRC2:TGID_Z_EN: 0
; COMPUTE_PGM_RSRC2:TIDIG_COMP_CNT: 0
	.section	.text._ZN7rocprim17ROCPRIM_400000_NS6detail17trampoline_kernelINS0_14default_configENS1_36segmented_radix_sort_config_selectorIslEEZNS1_25segmented_radix_sort_implIS3_Lb1EPKsPsPKlPlN2at6native12_GLOBAL__N_18offset_tEEE10hipError_tPvRmT1_PNSt15iterator_traitsISK_E10value_typeET2_T3_PNSL_ISQ_E10value_typeET4_jRbjT5_SW_jjP12ihipStream_tbEUlT_E0_NS1_11comp_targetILNS1_3genE0ELNS1_11target_archE4294967295ELNS1_3gpuE0ELNS1_3repE0EEENS1_60segmented_radix_sort_warp_sort_medium_config_static_selectorELNS0_4arch9wavefront6targetE1EEEvSK_,"axG",@progbits,_ZN7rocprim17ROCPRIM_400000_NS6detail17trampoline_kernelINS0_14default_configENS1_36segmented_radix_sort_config_selectorIslEEZNS1_25segmented_radix_sort_implIS3_Lb1EPKsPsPKlPlN2at6native12_GLOBAL__N_18offset_tEEE10hipError_tPvRmT1_PNSt15iterator_traitsISK_E10value_typeET2_T3_PNSL_ISQ_E10value_typeET4_jRbjT5_SW_jjP12ihipStream_tbEUlT_E0_NS1_11comp_targetILNS1_3genE0ELNS1_11target_archE4294967295ELNS1_3gpuE0ELNS1_3repE0EEENS1_60segmented_radix_sort_warp_sort_medium_config_static_selectorELNS0_4arch9wavefront6targetE1EEEvSK_,comdat
	.globl	_ZN7rocprim17ROCPRIM_400000_NS6detail17trampoline_kernelINS0_14default_configENS1_36segmented_radix_sort_config_selectorIslEEZNS1_25segmented_radix_sort_implIS3_Lb1EPKsPsPKlPlN2at6native12_GLOBAL__N_18offset_tEEE10hipError_tPvRmT1_PNSt15iterator_traitsISK_E10value_typeET2_T3_PNSL_ISQ_E10value_typeET4_jRbjT5_SW_jjP12ihipStream_tbEUlT_E0_NS1_11comp_targetILNS1_3genE0ELNS1_11target_archE4294967295ELNS1_3gpuE0ELNS1_3repE0EEENS1_60segmented_radix_sort_warp_sort_medium_config_static_selectorELNS0_4arch9wavefront6targetE1EEEvSK_ ; -- Begin function _ZN7rocprim17ROCPRIM_400000_NS6detail17trampoline_kernelINS0_14default_configENS1_36segmented_radix_sort_config_selectorIslEEZNS1_25segmented_radix_sort_implIS3_Lb1EPKsPsPKlPlN2at6native12_GLOBAL__N_18offset_tEEE10hipError_tPvRmT1_PNSt15iterator_traitsISK_E10value_typeET2_T3_PNSL_ISQ_E10value_typeET4_jRbjT5_SW_jjP12ihipStream_tbEUlT_E0_NS1_11comp_targetILNS1_3genE0ELNS1_11target_archE4294967295ELNS1_3gpuE0ELNS1_3repE0EEENS1_60segmented_radix_sort_warp_sort_medium_config_static_selectorELNS0_4arch9wavefront6targetE1EEEvSK_
	.p2align	8
	.type	_ZN7rocprim17ROCPRIM_400000_NS6detail17trampoline_kernelINS0_14default_configENS1_36segmented_radix_sort_config_selectorIslEEZNS1_25segmented_radix_sort_implIS3_Lb1EPKsPsPKlPlN2at6native12_GLOBAL__N_18offset_tEEE10hipError_tPvRmT1_PNSt15iterator_traitsISK_E10value_typeET2_T3_PNSL_ISQ_E10value_typeET4_jRbjT5_SW_jjP12ihipStream_tbEUlT_E0_NS1_11comp_targetILNS1_3genE0ELNS1_11target_archE4294967295ELNS1_3gpuE0ELNS1_3repE0EEENS1_60segmented_radix_sort_warp_sort_medium_config_static_selectorELNS0_4arch9wavefront6targetE1EEEvSK_,@function
_ZN7rocprim17ROCPRIM_400000_NS6detail17trampoline_kernelINS0_14default_configENS1_36segmented_radix_sort_config_selectorIslEEZNS1_25segmented_radix_sort_implIS3_Lb1EPKsPsPKlPlN2at6native12_GLOBAL__N_18offset_tEEE10hipError_tPvRmT1_PNSt15iterator_traitsISK_E10value_typeET2_T3_PNSL_ISQ_E10value_typeET4_jRbjT5_SW_jjP12ihipStream_tbEUlT_E0_NS1_11comp_targetILNS1_3genE0ELNS1_11target_archE4294967295ELNS1_3gpuE0ELNS1_3repE0EEENS1_60segmented_radix_sort_warp_sort_medium_config_static_selectorELNS0_4arch9wavefront6targetE1EEEvSK_: ; @_ZN7rocprim17ROCPRIM_400000_NS6detail17trampoline_kernelINS0_14default_configENS1_36segmented_radix_sort_config_selectorIslEEZNS1_25segmented_radix_sort_implIS3_Lb1EPKsPsPKlPlN2at6native12_GLOBAL__N_18offset_tEEE10hipError_tPvRmT1_PNSt15iterator_traitsISK_E10value_typeET2_T3_PNSL_ISQ_E10value_typeET4_jRbjT5_SW_jjP12ihipStream_tbEUlT_E0_NS1_11comp_targetILNS1_3genE0ELNS1_11target_archE4294967295ELNS1_3gpuE0ELNS1_3repE0EEENS1_60segmented_radix_sort_warp_sort_medium_config_static_selectorELNS0_4arch9wavefront6targetE1EEEvSK_
; %bb.0:
	.section	.rodata,"a",@progbits
	.p2align	6, 0x0
	.amdhsa_kernel _ZN7rocprim17ROCPRIM_400000_NS6detail17trampoline_kernelINS0_14default_configENS1_36segmented_radix_sort_config_selectorIslEEZNS1_25segmented_radix_sort_implIS3_Lb1EPKsPsPKlPlN2at6native12_GLOBAL__N_18offset_tEEE10hipError_tPvRmT1_PNSt15iterator_traitsISK_E10value_typeET2_T3_PNSL_ISQ_E10value_typeET4_jRbjT5_SW_jjP12ihipStream_tbEUlT_E0_NS1_11comp_targetILNS1_3genE0ELNS1_11target_archE4294967295ELNS1_3gpuE0ELNS1_3repE0EEENS1_60segmented_radix_sort_warp_sort_medium_config_static_selectorELNS0_4arch9wavefront6targetE1EEEvSK_
		.amdhsa_group_segment_fixed_size 0
		.amdhsa_private_segment_fixed_size 0
		.amdhsa_kernarg_size 88
		.amdhsa_user_sgpr_count 6
		.amdhsa_user_sgpr_private_segment_buffer 1
		.amdhsa_user_sgpr_dispatch_ptr 0
		.amdhsa_user_sgpr_queue_ptr 0
		.amdhsa_user_sgpr_kernarg_segment_ptr 1
		.amdhsa_user_sgpr_dispatch_id 0
		.amdhsa_user_sgpr_flat_scratch_init 0
		.amdhsa_user_sgpr_private_segment_size 0
		.amdhsa_uses_dynamic_stack 0
		.amdhsa_system_sgpr_private_segment_wavefront_offset 0
		.amdhsa_system_sgpr_workgroup_id_x 1
		.amdhsa_system_sgpr_workgroup_id_y 0
		.amdhsa_system_sgpr_workgroup_id_z 0
		.amdhsa_system_sgpr_workgroup_info 0
		.amdhsa_system_vgpr_workitem_id 0
		.amdhsa_next_free_vgpr 1
		.amdhsa_next_free_sgpr 0
		.amdhsa_reserve_vcc 0
		.amdhsa_reserve_flat_scratch 0
		.amdhsa_float_round_mode_32 0
		.amdhsa_float_round_mode_16_64 0
		.amdhsa_float_denorm_mode_32 3
		.amdhsa_float_denorm_mode_16_64 3
		.amdhsa_dx10_clamp 1
		.amdhsa_ieee_mode 1
		.amdhsa_fp16_overflow 0
		.amdhsa_exception_fp_ieee_invalid_op 0
		.amdhsa_exception_fp_denorm_src 0
		.amdhsa_exception_fp_ieee_div_zero 0
		.amdhsa_exception_fp_ieee_overflow 0
		.amdhsa_exception_fp_ieee_underflow 0
		.amdhsa_exception_fp_ieee_inexact 0
		.amdhsa_exception_int_div_zero 0
	.end_amdhsa_kernel
	.section	.text._ZN7rocprim17ROCPRIM_400000_NS6detail17trampoline_kernelINS0_14default_configENS1_36segmented_radix_sort_config_selectorIslEEZNS1_25segmented_radix_sort_implIS3_Lb1EPKsPsPKlPlN2at6native12_GLOBAL__N_18offset_tEEE10hipError_tPvRmT1_PNSt15iterator_traitsISK_E10value_typeET2_T3_PNSL_ISQ_E10value_typeET4_jRbjT5_SW_jjP12ihipStream_tbEUlT_E0_NS1_11comp_targetILNS1_3genE0ELNS1_11target_archE4294967295ELNS1_3gpuE0ELNS1_3repE0EEENS1_60segmented_radix_sort_warp_sort_medium_config_static_selectorELNS0_4arch9wavefront6targetE1EEEvSK_,"axG",@progbits,_ZN7rocprim17ROCPRIM_400000_NS6detail17trampoline_kernelINS0_14default_configENS1_36segmented_radix_sort_config_selectorIslEEZNS1_25segmented_radix_sort_implIS3_Lb1EPKsPsPKlPlN2at6native12_GLOBAL__N_18offset_tEEE10hipError_tPvRmT1_PNSt15iterator_traitsISK_E10value_typeET2_T3_PNSL_ISQ_E10value_typeET4_jRbjT5_SW_jjP12ihipStream_tbEUlT_E0_NS1_11comp_targetILNS1_3genE0ELNS1_11target_archE4294967295ELNS1_3gpuE0ELNS1_3repE0EEENS1_60segmented_radix_sort_warp_sort_medium_config_static_selectorELNS0_4arch9wavefront6targetE1EEEvSK_,comdat
.Lfunc_end921:
	.size	_ZN7rocprim17ROCPRIM_400000_NS6detail17trampoline_kernelINS0_14default_configENS1_36segmented_radix_sort_config_selectorIslEEZNS1_25segmented_radix_sort_implIS3_Lb1EPKsPsPKlPlN2at6native12_GLOBAL__N_18offset_tEEE10hipError_tPvRmT1_PNSt15iterator_traitsISK_E10value_typeET2_T3_PNSL_ISQ_E10value_typeET4_jRbjT5_SW_jjP12ihipStream_tbEUlT_E0_NS1_11comp_targetILNS1_3genE0ELNS1_11target_archE4294967295ELNS1_3gpuE0ELNS1_3repE0EEENS1_60segmented_radix_sort_warp_sort_medium_config_static_selectorELNS0_4arch9wavefront6targetE1EEEvSK_, .Lfunc_end921-_ZN7rocprim17ROCPRIM_400000_NS6detail17trampoline_kernelINS0_14default_configENS1_36segmented_radix_sort_config_selectorIslEEZNS1_25segmented_radix_sort_implIS3_Lb1EPKsPsPKlPlN2at6native12_GLOBAL__N_18offset_tEEE10hipError_tPvRmT1_PNSt15iterator_traitsISK_E10value_typeET2_T3_PNSL_ISQ_E10value_typeET4_jRbjT5_SW_jjP12ihipStream_tbEUlT_E0_NS1_11comp_targetILNS1_3genE0ELNS1_11target_archE4294967295ELNS1_3gpuE0ELNS1_3repE0EEENS1_60segmented_radix_sort_warp_sort_medium_config_static_selectorELNS0_4arch9wavefront6targetE1EEEvSK_
                                        ; -- End function
	.set _ZN7rocprim17ROCPRIM_400000_NS6detail17trampoline_kernelINS0_14default_configENS1_36segmented_radix_sort_config_selectorIslEEZNS1_25segmented_radix_sort_implIS3_Lb1EPKsPsPKlPlN2at6native12_GLOBAL__N_18offset_tEEE10hipError_tPvRmT1_PNSt15iterator_traitsISK_E10value_typeET2_T3_PNSL_ISQ_E10value_typeET4_jRbjT5_SW_jjP12ihipStream_tbEUlT_E0_NS1_11comp_targetILNS1_3genE0ELNS1_11target_archE4294967295ELNS1_3gpuE0ELNS1_3repE0EEENS1_60segmented_radix_sort_warp_sort_medium_config_static_selectorELNS0_4arch9wavefront6targetE1EEEvSK_.num_vgpr, 0
	.set _ZN7rocprim17ROCPRIM_400000_NS6detail17trampoline_kernelINS0_14default_configENS1_36segmented_radix_sort_config_selectorIslEEZNS1_25segmented_radix_sort_implIS3_Lb1EPKsPsPKlPlN2at6native12_GLOBAL__N_18offset_tEEE10hipError_tPvRmT1_PNSt15iterator_traitsISK_E10value_typeET2_T3_PNSL_ISQ_E10value_typeET4_jRbjT5_SW_jjP12ihipStream_tbEUlT_E0_NS1_11comp_targetILNS1_3genE0ELNS1_11target_archE4294967295ELNS1_3gpuE0ELNS1_3repE0EEENS1_60segmented_radix_sort_warp_sort_medium_config_static_selectorELNS0_4arch9wavefront6targetE1EEEvSK_.num_agpr, 0
	.set _ZN7rocprim17ROCPRIM_400000_NS6detail17trampoline_kernelINS0_14default_configENS1_36segmented_radix_sort_config_selectorIslEEZNS1_25segmented_radix_sort_implIS3_Lb1EPKsPsPKlPlN2at6native12_GLOBAL__N_18offset_tEEE10hipError_tPvRmT1_PNSt15iterator_traitsISK_E10value_typeET2_T3_PNSL_ISQ_E10value_typeET4_jRbjT5_SW_jjP12ihipStream_tbEUlT_E0_NS1_11comp_targetILNS1_3genE0ELNS1_11target_archE4294967295ELNS1_3gpuE0ELNS1_3repE0EEENS1_60segmented_radix_sort_warp_sort_medium_config_static_selectorELNS0_4arch9wavefront6targetE1EEEvSK_.numbered_sgpr, 0
	.set _ZN7rocprim17ROCPRIM_400000_NS6detail17trampoline_kernelINS0_14default_configENS1_36segmented_radix_sort_config_selectorIslEEZNS1_25segmented_radix_sort_implIS3_Lb1EPKsPsPKlPlN2at6native12_GLOBAL__N_18offset_tEEE10hipError_tPvRmT1_PNSt15iterator_traitsISK_E10value_typeET2_T3_PNSL_ISQ_E10value_typeET4_jRbjT5_SW_jjP12ihipStream_tbEUlT_E0_NS1_11comp_targetILNS1_3genE0ELNS1_11target_archE4294967295ELNS1_3gpuE0ELNS1_3repE0EEENS1_60segmented_radix_sort_warp_sort_medium_config_static_selectorELNS0_4arch9wavefront6targetE1EEEvSK_.num_named_barrier, 0
	.set _ZN7rocprim17ROCPRIM_400000_NS6detail17trampoline_kernelINS0_14default_configENS1_36segmented_radix_sort_config_selectorIslEEZNS1_25segmented_radix_sort_implIS3_Lb1EPKsPsPKlPlN2at6native12_GLOBAL__N_18offset_tEEE10hipError_tPvRmT1_PNSt15iterator_traitsISK_E10value_typeET2_T3_PNSL_ISQ_E10value_typeET4_jRbjT5_SW_jjP12ihipStream_tbEUlT_E0_NS1_11comp_targetILNS1_3genE0ELNS1_11target_archE4294967295ELNS1_3gpuE0ELNS1_3repE0EEENS1_60segmented_radix_sort_warp_sort_medium_config_static_selectorELNS0_4arch9wavefront6targetE1EEEvSK_.private_seg_size, 0
	.set _ZN7rocprim17ROCPRIM_400000_NS6detail17trampoline_kernelINS0_14default_configENS1_36segmented_radix_sort_config_selectorIslEEZNS1_25segmented_radix_sort_implIS3_Lb1EPKsPsPKlPlN2at6native12_GLOBAL__N_18offset_tEEE10hipError_tPvRmT1_PNSt15iterator_traitsISK_E10value_typeET2_T3_PNSL_ISQ_E10value_typeET4_jRbjT5_SW_jjP12ihipStream_tbEUlT_E0_NS1_11comp_targetILNS1_3genE0ELNS1_11target_archE4294967295ELNS1_3gpuE0ELNS1_3repE0EEENS1_60segmented_radix_sort_warp_sort_medium_config_static_selectorELNS0_4arch9wavefront6targetE1EEEvSK_.uses_vcc, 0
	.set _ZN7rocprim17ROCPRIM_400000_NS6detail17trampoline_kernelINS0_14default_configENS1_36segmented_radix_sort_config_selectorIslEEZNS1_25segmented_radix_sort_implIS3_Lb1EPKsPsPKlPlN2at6native12_GLOBAL__N_18offset_tEEE10hipError_tPvRmT1_PNSt15iterator_traitsISK_E10value_typeET2_T3_PNSL_ISQ_E10value_typeET4_jRbjT5_SW_jjP12ihipStream_tbEUlT_E0_NS1_11comp_targetILNS1_3genE0ELNS1_11target_archE4294967295ELNS1_3gpuE0ELNS1_3repE0EEENS1_60segmented_radix_sort_warp_sort_medium_config_static_selectorELNS0_4arch9wavefront6targetE1EEEvSK_.uses_flat_scratch, 0
	.set _ZN7rocprim17ROCPRIM_400000_NS6detail17trampoline_kernelINS0_14default_configENS1_36segmented_radix_sort_config_selectorIslEEZNS1_25segmented_radix_sort_implIS3_Lb1EPKsPsPKlPlN2at6native12_GLOBAL__N_18offset_tEEE10hipError_tPvRmT1_PNSt15iterator_traitsISK_E10value_typeET2_T3_PNSL_ISQ_E10value_typeET4_jRbjT5_SW_jjP12ihipStream_tbEUlT_E0_NS1_11comp_targetILNS1_3genE0ELNS1_11target_archE4294967295ELNS1_3gpuE0ELNS1_3repE0EEENS1_60segmented_radix_sort_warp_sort_medium_config_static_selectorELNS0_4arch9wavefront6targetE1EEEvSK_.has_dyn_sized_stack, 0
	.set _ZN7rocprim17ROCPRIM_400000_NS6detail17trampoline_kernelINS0_14default_configENS1_36segmented_radix_sort_config_selectorIslEEZNS1_25segmented_radix_sort_implIS3_Lb1EPKsPsPKlPlN2at6native12_GLOBAL__N_18offset_tEEE10hipError_tPvRmT1_PNSt15iterator_traitsISK_E10value_typeET2_T3_PNSL_ISQ_E10value_typeET4_jRbjT5_SW_jjP12ihipStream_tbEUlT_E0_NS1_11comp_targetILNS1_3genE0ELNS1_11target_archE4294967295ELNS1_3gpuE0ELNS1_3repE0EEENS1_60segmented_radix_sort_warp_sort_medium_config_static_selectorELNS0_4arch9wavefront6targetE1EEEvSK_.has_recursion, 0
	.set _ZN7rocprim17ROCPRIM_400000_NS6detail17trampoline_kernelINS0_14default_configENS1_36segmented_radix_sort_config_selectorIslEEZNS1_25segmented_radix_sort_implIS3_Lb1EPKsPsPKlPlN2at6native12_GLOBAL__N_18offset_tEEE10hipError_tPvRmT1_PNSt15iterator_traitsISK_E10value_typeET2_T3_PNSL_ISQ_E10value_typeET4_jRbjT5_SW_jjP12ihipStream_tbEUlT_E0_NS1_11comp_targetILNS1_3genE0ELNS1_11target_archE4294967295ELNS1_3gpuE0ELNS1_3repE0EEENS1_60segmented_radix_sort_warp_sort_medium_config_static_selectorELNS0_4arch9wavefront6targetE1EEEvSK_.has_indirect_call, 0
	.section	.AMDGPU.csdata,"",@progbits
; Kernel info:
; codeLenInByte = 0
; TotalNumSgprs: 4
; NumVgprs: 0
; ScratchSize: 0
; MemoryBound: 0
; FloatMode: 240
; IeeeMode: 1
; LDSByteSize: 0 bytes/workgroup (compile time only)
; SGPRBlocks: 0
; VGPRBlocks: 0
; NumSGPRsForWavesPerEU: 4
; NumVGPRsForWavesPerEU: 1
; Occupancy: 10
; WaveLimiterHint : 0
; COMPUTE_PGM_RSRC2:SCRATCH_EN: 0
; COMPUTE_PGM_RSRC2:USER_SGPR: 6
; COMPUTE_PGM_RSRC2:TRAP_HANDLER: 0
; COMPUTE_PGM_RSRC2:TGID_X_EN: 1
; COMPUTE_PGM_RSRC2:TGID_Y_EN: 0
; COMPUTE_PGM_RSRC2:TGID_Z_EN: 0
; COMPUTE_PGM_RSRC2:TIDIG_COMP_CNT: 0
	.section	.text._ZN7rocprim17ROCPRIM_400000_NS6detail17trampoline_kernelINS0_14default_configENS1_36segmented_radix_sort_config_selectorIslEEZNS1_25segmented_radix_sort_implIS3_Lb1EPKsPsPKlPlN2at6native12_GLOBAL__N_18offset_tEEE10hipError_tPvRmT1_PNSt15iterator_traitsISK_E10value_typeET2_T3_PNSL_ISQ_E10value_typeET4_jRbjT5_SW_jjP12ihipStream_tbEUlT_E0_NS1_11comp_targetILNS1_3genE5ELNS1_11target_archE942ELNS1_3gpuE9ELNS1_3repE0EEENS1_60segmented_radix_sort_warp_sort_medium_config_static_selectorELNS0_4arch9wavefront6targetE1EEEvSK_,"axG",@progbits,_ZN7rocprim17ROCPRIM_400000_NS6detail17trampoline_kernelINS0_14default_configENS1_36segmented_radix_sort_config_selectorIslEEZNS1_25segmented_radix_sort_implIS3_Lb1EPKsPsPKlPlN2at6native12_GLOBAL__N_18offset_tEEE10hipError_tPvRmT1_PNSt15iterator_traitsISK_E10value_typeET2_T3_PNSL_ISQ_E10value_typeET4_jRbjT5_SW_jjP12ihipStream_tbEUlT_E0_NS1_11comp_targetILNS1_3genE5ELNS1_11target_archE942ELNS1_3gpuE9ELNS1_3repE0EEENS1_60segmented_radix_sort_warp_sort_medium_config_static_selectorELNS0_4arch9wavefront6targetE1EEEvSK_,comdat
	.globl	_ZN7rocprim17ROCPRIM_400000_NS6detail17trampoline_kernelINS0_14default_configENS1_36segmented_radix_sort_config_selectorIslEEZNS1_25segmented_radix_sort_implIS3_Lb1EPKsPsPKlPlN2at6native12_GLOBAL__N_18offset_tEEE10hipError_tPvRmT1_PNSt15iterator_traitsISK_E10value_typeET2_T3_PNSL_ISQ_E10value_typeET4_jRbjT5_SW_jjP12ihipStream_tbEUlT_E0_NS1_11comp_targetILNS1_3genE5ELNS1_11target_archE942ELNS1_3gpuE9ELNS1_3repE0EEENS1_60segmented_radix_sort_warp_sort_medium_config_static_selectorELNS0_4arch9wavefront6targetE1EEEvSK_ ; -- Begin function _ZN7rocprim17ROCPRIM_400000_NS6detail17trampoline_kernelINS0_14default_configENS1_36segmented_radix_sort_config_selectorIslEEZNS1_25segmented_radix_sort_implIS3_Lb1EPKsPsPKlPlN2at6native12_GLOBAL__N_18offset_tEEE10hipError_tPvRmT1_PNSt15iterator_traitsISK_E10value_typeET2_T3_PNSL_ISQ_E10value_typeET4_jRbjT5_SW_jjP12ihipStream_tbEUlT_E0_NS1_11comp_targetILNS1_3genE5ELNS1_11target_archE942ELNS1_3gpuE9ELNS1_3repE0EEENS1_60segmented_radix_sort_warp_sort_medium_config_static_selectorELNS0_4arch9wavefront6targetE1EEEvSK_
	.p2align	8
	.type	_ZN7rocprim17ROCPRIM_400000_NS6detail17trampoline_kernelINS0_14default_configENS1_36segmented_radix_sort_config_selectorIslEEZNS1_25segmented_radix_sort_implIS3_Lb1EPKsPsPKlPlN2at6native12_GLOBAL__N_18offset_tEEE10hipError_tPvRmT1_PNSt15iterator_traitsISK_E10value_typeET2_T3_PNSL_ISQ_E10value_typeET4_jRbjT5_SW_jjP12ihipStream_tbEUlT_E0_NS1_11comp_targetILNS1_3genE5ELNS1_11target_archE942ELNS1_3gpuE9ELNS1_3repE0EEENS1_60segmented_radix_sort_warp_sort_medium_config_static_selectorELNS0_4arch9wavefront6targetE1EEEvSK_,@function
_ZN7rocprim17ROCPRIM_400000_NS6detail17trampoline_kernelINS0_14default_configENS1_36segmented_radix_sort_config_selectorIslEEZNS1_25segmented_radix_sort_implIS3_Lb1EPKsPsPKlPlN2at6native12_GLOBAL__N_18offset_tEEE10hipError_tPvRmT1_PNSt15iterator_traitsISK_E10value_typeET2_T3_PNSL_ISQ_E10value_typeET4_jRbjT5_SW_jjP12ihipStream_tbEUlT_E0_NS1_11comp_targetILNS1_3genE5ELNS1_11target_archE942ELNS1_3gpuE9ELNS1_3repE0EEENS1_60segmented_radix_sort_warp_sort_medium_config_static_selectorELNS0_4arch9wavefront6targetE1EEEvSK_: ; @_ZN7rocprim17ROCPRIM_400000_NS6detail17trampoline_kernelINS0_14default_configENS1_36segmented_radix_sort_config_selectorIslEEZNS1_25segmented_radix_sort_implIS3_Lb1EPKsPsPKlPlN2at6native12_GLOBAL__N_18offset_tEEE10hipError_tPvRmT1_PNSt15iterator_traitsISK_E10value_typeET2_T3_PNSL_ISQ_E10value_typeET4_jRbjT5_SW_jjP12ihipStream_tbEUlT_E0_NS1_11comp_targetILNS1_3genE5ELNS1_11target_archE942ELNS1_3gpuE9ELNS1_3repE0EEENS1_60segmented_radix_sort_warp_sort_medium_config_static_selectorELNS0_4arch9wavefront6targetE1EEEvSK_
; %bb.0:
	.section	.rodata,"a",@progbits
	.p2align	6, 0x0
	.amdhsa_kernel _ZN7rocprim17ROCPRIM_400000_NS6detail17trampoline_kernelINS0_14default_configENS1_36segmented_radix_sort_config_selectorIslEEZNS1_25segmented_radix_sort_implIS3_Lb1EPKsPsPKlPlN2at6native12_GLOBAL__N_18offset_tEEE10hipError_tPvRmT1_PNSt15iterator_traitsISK_E10value_typeET2_T3_PNSL_ISQ_E10value_typeET4_jRbjT5_SW_jjP12ihipStream_tbEUlT_E0_NS1_11comp_targetILNS1_3genE5ELNS1_11target_archE942ELNS1_3gpuE9ELNS1_3repE0EEENS1_60segmented_radix_sort_warp_sort_medium_config_static_selectorELNS0_4arch9wavefront6targetE1EEEvSK_
		.amdhsa_group_segment_fixed_size 0
		.amdhsa_private_segment_fixed_size 0
		.amdhsa_kernarg_size 88
		.amdhsa_user_sgpr_count 6
		.amdhsa_user_sgpr_private_segment_buffer 1
		.amdhsa_user_sgpr_dispatch_ptr 0
		.amdhsa_user_sgpr_queue_ptr 0
		.amdhsa_user_sgpr_kernarg_segment_ptr 1
		.amdhsa_user_sgpr_dispatch_id 0
		.amdhsa_user_sgpr_flat_scratch_init 0
		.amdhsa_user_sgpr_private_segment_size 0
		.amdhsa_uses_dynamic_stack 0
		.amdhsa_system_sgpr_private_segment_wavefront_offset 0
		.amdhsa_system_sgpr_workgroup_id_x 1
		.amdhsa_system_sgpr_workgroup_id_y 0
		.amdhsa_system_sgpr_workgroup_id_z 0
		.amdhsa_system_sgpr_workgroup_info 0
		.amdhsa_system_vgpr_workitem_id 0
		.amdhsa_next_free_vgpr 1
		.amdhsa_next_free_sgpr 0
		.amdhsa_reserve_vcc 0
		.amdhsa_reserve_flat_scratch 0
		.amdhsa_float_round_mode_32 0
		.amdhsa_float_round_mode_16_64 0
		.amdhsa_float_denorm_mode_32 3
		.amdhsa_float_denorm_mode_16_64 3
		.amdhsa_dx10_clamp 1
		.amdhsa_ieee_mode 1
		.amdhsa_fp16_overflow 0
		.amdhsa_exception_fp_ieee_invalid_op 0
		.amdhsa_exception_fp_denorm_src 0
		.amdhsa_exception_fp_ieee_div_zero 0
		.amdhsa_exception_fp_ieee_overflow 0
		.amdhsa_exception_fp_ieee_underflow 0
		.amdhsa_exception_fp_ieee_inexact 0
		.amdhsa_exception_int_div_zero 0
	.end_amdhsa_kernel
	.section	.text._ZN7rocprim17ROCPRIM_400000_NS6detail17trampoline_kernelINS0_14default_configENS1_36segmented_radix_sort_config_selectorIslEEZNS1_25segmented_radix_sort_implIS3_Lb1EPKsPsPKlPlN2at6native12_GLOBAL__N_18offset_tEEE10hipError_tPvRmT1_PNSt15iterator_traitsISK_E10value_typeET2_T3_PNSL_ISQ_E10value_typeET4_jRbjT5_SW_jjP12ihipStream_tbEUlT_E0_NS1_11comp_targetILNS1_3genE5ELNS1_11target_archE942ELNS1_3gpuE9ELNS1_3repE0EEENS1_60segmented_radix_sort_warp_sort_medium_config_static_selectorELNS0_4arch9wavefront6targetE1EEEvSK_,"axG",@progbits,_ZN7rocprim17ROCPRIM_400000_NS6detail17trampoline_kernelINS0_14default_configENS1_36segmented_radix_sort_config_selectorIslEEZNS1_25segmented_radix_sort_implIS3_Lb1EPKsPsPKlPlN2at6native12_GLOBAL__N_18offset_tEEE10hipError_tPvRmT1_PNSt15iterator_traitsISK_E10value_typeET2_T3_PNSL_ISQ_E10value_typeET4_jRbjT5_SW_jjP12ihipStream_tbEUlT_E0_NS1_11comp_targetILNS1_3genE5ELNS1_11target_archE942ELNS1_3gpuE9ELNS1_3repE0EEENS1_60segmented_radix_sort_warp_sort_medium_config_static_selectorELNS0_4arch9wavefront6targetE1EEEvSK_,comdat
.Lfunc_end922:
	.size	_ZN7rocprim17ROCPRIM_400000_NS6detail17trampoline_kernelINS0_14default_configENS1_36segmented_radix_sort_config_selectorIslEEZNS1_25segmented_radix_sort_implIS3_Lb1EPKsPsPKlPlN2at6native12_GLOBAL__N_18offset_tEEE10hipError_tPvRmT1_PNSt15iterator_traitsISK_E10value_typeET2_T3_PNSL_ISQ_E10value_typeET4_jRbjT5_SW_jjP12ihipStream_tbEUlT_E0_NS1_11comp_targetILNS1_3genE5ELNS1_11target_archE942ELNS1_3gpuE9ELNS1_3repE0EEENS1_60segmented_radix_sort_warp_sort_medium_config_static_selectorELNS0_4arch9wavefront6targetE1EEEvSK_, .Lfunc_end922-_ZN7rocprim17ROCPRIM_400000_NS6detail17trampoline_kernelINS0_14default_configENS1_36segmented_radix_sort_config_selectorIslEEZNS1_25segmented_radix_sort_implIS3_Lb1EPKsPsPKlPlN2at6native12_GLOBAL__N_18offset_tEEE10hipError_tPvRmT1_PNSt15iterator_traitsISK_E10value_typeET2_T3_PNSL_ISQ_E10value_typeET4_jRbjT5_SW_jjP12ihipStream_tbEUlT_E0_NS1_11comp_targetILNS1_3genE5ELNS1_11target_archE942ELNS1_3gpuE9ELNS1_3repE0EEENS1_60segmented_radix_sort_warp_sort_medium_config_static_selectorELNS0_4arch9wavefront6targetE1EEEvSK_
                                        ; -- End function
	.set _ZN7rocprim17ROCPRIM_400000_NS6detail17trampoline_kernelINS0_14default_configENS1_36segmented_radix_sort_config_selectorIslEEZNS1_25segmented_radix_sort_implIS3_Lb1EPKsPsPKlPlN2at6native12_GLOBAL__N_18offset_tEEE10hipError_tPvRmT1_PNSt15iterator_traitsISK_E10value_typeET2_T3_PNSL_ISQ_E10value_typeET4_jRbjT5_SW_jjP12ihipStream_tbEUlT_E0_NS1_11comp_targetILNS1_3genE5ELNS1_11target_archE942ELNS1_3gpuE9ELNS1_3repE0EEENS1_60segmented_radix_sort_warp_sort_medium_config_static_selectorELNS0_4arch9wavefront6targetE1EEEvSK_.num_vgpr, 0
	.set _ZN7rocprim17ROCPRIM_400000_NS6detail17trampoline_kernelINS0_14default_configENS1_36segmented_radix_sort_config_selectorIslEEZNS1_25segmented_radix_sort_implIS3_Lb1EPKsPsPKlPlN2at6native12_GLOBAL__N_18offset_tEEE10hipError_tPvRmT1_PNSt15iterator_traitsISK_E10value_typeET2_T3_PNSL_ISQ_E10value_typeET4_jRbjT5_SW_jjP12ihipStream_tbEUlT_E0_NS1_11comp_targetILNS1_3genE5ELNS1_11target_archE942ELNS1_3gpuE9ELNS1_3repE0EEENS1_60segmented_radix_sort_warp_sort_medium_config_static_selectorELNS0_4arch9wavefront6targetE1EEEvSK_.num_agpr, 0
	.set _ZN7rocprim17ROCPRIM_400000_NS6detail17trampoline_kernelINS0_14default_configENS1_36segmented_radix_sort_config_selectorIslEEZNS1_25segmented_radix_sort_implIS3_Lb1EPKsPsPKlPlN2at6native12_GLOBAL__N_18offset_tEEE10hipError_tPvRmT1_PNSt15iterator_traitsISK_E10value_typeET2_T3_PNSL_ISQ_E10value_typeET4_jRbjT5_SW_jjP12ihipStream_tbEUlT_E0_NS1_11comp_targetILNS1_3genE5ELNS1_11target_archE942ELNS1_3gpuE9ELNS1_3repE0EEENS1_60segmented_radix_sort_warp_sort_medium_config_static_selectorELNS0_4arch9wavefront6targetE1EEEvSK_.numbered_sgpr, 0
	.set _ZN7rocprim17ROCPRIM_400000_NS6detail17trampoline_kernelINS0_14default_configENS1_36segmented_radix_sort_config_selectorIslEEZNS1_25segmented_radix_sort_implIS3_Lb1EPKsPsPKlPlN2at6native12_GLOBAL__N_18offset_tEEE10hipError_tPvRmT1_PNSt15iterator_traitsISK_E10value_typeET2_T3_PNSL_ISQ_E10value_typeET4_jRbjT5_SW_jjP12ihipStream_tbEUlT_E0_NS1_11comp_targetILNS1_3genE5ELNS1_11target_archE942ELNS1_3gpuE9ELNS1_3repE0EEENS1_60segmented_radix_sort_warp_sort_medium_config_static_selectorELNS0_4arch9wavefront6targetE1EEEvSK_.num_named_barrier, 0
	.set _ZN7rocprim17ROCPRIM_400000_NS6detail17trampoline_kernelINS0_14default_configENS1_36segmented_radix_sort_config_selectorIslEEZNS1_25segmented_radix_sort_implIS3_Lb1EPKsPsPKlPlN2at6native12_GLOBAL__N_18offset_tEEE10hipError_tPvRmT1_PNSt15iterator_traitsISK_E10value_typeET2_T3_PNSL_ISQ_E10value_typeET4_jRbjT5_SW_jjP12ihipStream_tbEUlT_E0_NS1_11comp_targetILNS1_3genE5ELNS1_11target_archE942ELNS1_3gpuE9ELNS1_3repE0EEENS1_60segmented_radix_sort_warp_sort_medium_config_static_selectorELNS0_4arch9wavefront6targetE1EEEvSK_.private_seg_size, 0
	.set _ZN7rocprim17ROCPRIM_400000_NS6detail17trampoline_kernelINS0_14default_configENS1_36segmented_radix_sort_config_selectorIslEEZNS1_25segmented_radix_sort_implIS3_Lb1EPKsPsPKlPlN2at6native12_GLOBAL__N_18offset_tEEE10hipError_tPvRmT1_PNSt15iterator_traitsISK_E10value_typeET2_T3_PNSL_ISQ_E10value_typeET4_jRbjT5_SW_jjP12ihipStream_tbEUlT_E0_NS1_11comp_targetILNS1_3genE5ELNS1_11target_archE942ELNS1_3gpuE9ELNS1_3repE0EEENS1_60segmented_radix_sort_warp_sort_medium_config_static_selectorELNS0_4arch9wavefront6targetE1EEEvSK_.uses_vcc, 0
	.set _ZN7rocprim17ROCPRIM_400000_NS6detail17trampoline_kernelINS0_14default_configENS1_36segmented_radix_sort_config_selectorIslEEZNS1_25segmented_radix_sort_implIS3_Lb1EPKsPsPKlPlN2at6native12_GLOBAL__N_18offset_tEEE10hipError_tPvRmT1_PNSt15iterator_traitsISK_E10value_typeET2_T3_PNSL_ISQ_E10value_typeET4_jRbjT5_SW_jjP12ihipStream_tbEUlT_E0_NS1_11comp_targetILNS1_3genE5ELNS1_11target_archE942ELNS1_3gpuE9ELNS1_3repE0EEENS1_60segmented_radix_sort_warp_sort_medium_config_static_selectorELNS0_4arch9wavefront6targetE1EEEvSK_.uses_flat_scratch, 0
	.set _ZN7rocprim17ROCPRIM_400000_NS6detail17trampoline_kernelINS0_14default_configENS1_36segmented_radix_sort_config_selectorIslEEZNS1_25segmented_radix_sort_implIS3_Lb1EPKsPsPKlPlN2at6native12_GLOBAL__N_18offset_tEEE10hipError_tPvRmT1_PNSt15iterator_traitsISK_E10value_typeET2_T3_PNSL_ISQ_E10value_typeET4_jRbjT5_SW_jjP12ihipStream_tbEUlT_E0_NS1_11comp_targetILNS1_3genE5ELNS1_11target_archE942ELNS1_3gpuE9ELNS1_3repE0EEENS1_60segmented_radix_sort_warp_sort_medium_config_static_selectorELNS0_4arch9wavefront6targetE1EEEvSK_.has_dyn_sized_stack, 0
	.set _ZN7rocprim17ROCPRIM_400000_NS6detail17trampoline_kernelINS0_14default_configENS1_36segmented_radix_sort_config_selectorIslEEZNS1_25segmented_radix_sort_implIS3_Lb1EPKsPsPKlPlN2at6native12_GLOBAL__N_18offset_tEEE10hipError_tPvRmT1_PNSt15iterator_traitsISK_E10value_typeET2_T3_PNSL_ISQ_E10value_typeET4_jRbjT5_SW_jjP12ihipStream_tbEUlT_E0_NS1_11comp_targetILNS1_3genE5ELNS1_11target_archE942ELNS1_3gpuE9ELNS1_3repE0EEENS1_60segmented_radix_sort_warp_sort_medium_config_static_selectorELNS0_4arch9wavefront6targetE1EEEvSK_.has_recursion, 0
	.set _ZN7rocprim17ROCPRIM_400000_NS6detail17trampoline_kernelINS0_14default_configENS1_36segmented_radix_sort_config_selectorIslEEZNS1_25segmented_radix_sort_implIS3_Lb1EPKsPsPKlPlN2at6native12_GLOBAL__N_18offset_tEEE10hipError_tPvRmT1_PNSt15iterator_traitsISK_E10value_typeET2_T3_PNSL_ISQ_E10value_typeET4_jRbjT5_SW_jjP12ihipStream_tbEUlT_E0_NS1_11comp_targetILNS1_3genE5ELNS1_11target_archE942ELNS1_3gpuE9ELNS1_3repE0EEENS1_60segmented_radix_sort_warp_sort_medium_config_static_selectorELNS0_4arch9wavefront6targetE1EEEvSK_.has_indirect_call, 0
	.section	.AMDGPU.csdata,"",@progbits
; Kernel info:
; codeLenInByte = 0
; TotalNumSgprs: 4
; NumVgprs: 0
; ScratchSize: 0
; MemoryBound: 0
; FloatMode: 240
; IeeeMode: 1
; LDSByteSize: 0 bytes/workgroup (compile time only)
; SGPRBlocks: 0
; VGPRBlocks: 0
; NumSGPRsForWavesPerEU: 4
; NumVGPRsForWavesPerEU: 1
; Occupancy: 10
; WaveLimiterHint : 0
; COMPUTE_PGM_RSRC2:SCRATCH_EN: 0
; COMPUTE_PGM_RSRC2:USER_SGPR: 6
; COMPUTE_PGM_RSRC2:TRAP_HANDLER: 0
; COMPUTE_PGM_RSRC2:TGID_X_EN: 1
; COMPUTE_PGM_RSRC2:TGID_Y_EN: 0
; COMPUTE_PGM_RSRC2:TGID_Z_EN: 0
; COMPUTE_PGM_RSRC2:TIDIG_COMP_CNT: 0
	.section	.text._ZN7rocprim17ROCPRIM_400000_NS6detail17trampoline_kernelINS0_14default_configENS1_36segmented_radix_sort_config_selectorIslEEZNS1_25segmented_radix_sort_implIS3_Lb1EPKsPsPKlPlN2at6native12_GLOBAL__N_18offset_tEEE10hipError_tPvRmT1_PNSt15iterator_traitsISK_E10value_typeET2_T3_PNSL_ISQ_E10value_typeET4_jRbjT5_SW_jjP12ihipStream_tbEUlT_E0_NS1_11comp_targetILNS1_3genE4ELNS1_11target_archE910ELNS1_3gpuE8ELNS1_3repE0EEENS1_60segmented_radix_sort_warp_sort_medium_config_static_selectorELNS0_4arch9wavefront6targetE1EEEvSK_,"axG",@progbits,_ZN7rocprim17ROCPRIM_400000_NS6detail17trampoline_kernelINS0_14default_configENS1_36segmented_radix_sort_config_selectorIslEEZNS1_25segmented_radix_sort_implIS3_Lb1EPKsPsPKlPlN2at6native12_GLOBAL__N_18offset_tEEE10hipError_tPvRmT1_PNSt15iterator_traitsISK_E10value_typeET2_T3_PNSL_ISQ_E10value_typeET4_jRbjT5_SW_jjP12ihipStream_tbEUlT_E0_NS1_11comp_targetILNS1_3genE4ELNS1_11target_archE910ELNS1_3gpuE8ELNS1_3repE0EEENS1_60segmented_radix_sort_warp_sort_medium_config_static_selectorELNS0_4arch9wavefront6targetE1EEEvSK_,comdat
	.globl	_ZN7rocprim17ROCPRIM_400000_NS6detail17trampoline_kernelINS0_14default_configENS1_36segmented_radix_sort_config_selectorIslEEZNS1_25segmented_radix_sort_implIS3_Lb1EPKsPsPKlPlN2at6native12_GLOBAL__N_18offset_tEEE10hipError_tPvRmT1_PNSt15iterator_traitsISK_E10value_typeET2_T3_PNSL_ISQ_E10value_typeET4_jRbjT5_SW_jjP12ihipStream_tbEUlT_E0_NS1_11comp_targetILNS1_3genE4ELNS1_11target_archE910ELNS1_3gpuE8ELNS1_3repE0EEENS1_60segmented_radix_sort_warp_sort_medium_config_static_selectorELNS0_4arch9wavefront6targetE1EEEvSK_ ; -- Begin function _ZN7rocprim17ROCPRIM_400000_NS6detail17trampoline_kernelINS0_14default_configENS1_36segmented_radix_sort_config_selectorIslEEZNS1_25segmented_radix_sort_implIS3_Lb1EPKsPsPKlPlN2at6native12_GLOBAL__N_18offset_tEEE10hipError_tPvRmT1_PNSt15iterator_traitsISK_E10value_typeET2_T3_PNSL_ISQ_E10value_typeET4_jRbjT5_SW_jjP12ihipStream_tbEUlT_E0_NS1_11comp_targetILNS1_3genE4ELNS1_11target_archE910ELNS1_3gpuE8ELNS1_3repE0EEENS1_60segmented_radix_sort_warp_sort_medium_config_static_selectorELNS0_4arch9wavefront6targetE1EEEvSK_
	.p2align	8
	.type	_ZN7rocprim17ROCPRIM_400000_NS6detail17trampoline_kernelINS0_14default_configENS1_36segmented_radix_sort_config_selectorIslEEZNS1_25segmented_radix_sort_implIS3_Lb1EPKsPsPKlPlN2at6native12_GLOBAL__N_18offset_tEEE10hipError_tPvRmT1_PNSt15iterator_traitsISK_E10value_typeET2_T3_PNSL_ISQ_E10value_typeET4_jRbjT5_SW_jjP12ihipStream_tbEUlT_E0_NS1_11comp_targetILNS1_3genE4ELNS1_11target_archE910ELNS1_3gpuE8ELNS1_3repE0EEENS1_60segmented_radix_sort_warp_sort_medium_config_static_selectorELNS0_4arch9wavefront6targetE1EEEvSK_,@function
_ZN7rocprim17ROCPRIM_400000_NS6detail17trampoline_kernelINS0_14default_configENS1_36segmented_radix_sort_config_selectorIslEEZNS1_25segmented_radix_sort_implIS3_Lb1EPKsPsPKlPlN2at6native12_GLOBAL__N_18offset_tEEE10hipError_tPvRmT1_PNSt15iterator_traitsISK_E10value_typeET2_T3_PNSL_ISQ_E10value_typeET4_jRbjT5_SW_jjP12ihipStream_tbEUlT_E0_NS1_11comp_targetILNS1_3genE4ELNS1_11target_archE910ELNS1_3gpuE8ELNS1_3repE0EEENS1_60segmented_radix_sort_warp_sort_medium_config_static_selectorELNS0_4arch9wavefront6targetE1EEEvSK_: ; @_ZN7rocprim17ROCPRIM_400000_NS6detail17trampoline_kernelINS0_14default_configENS1_36segmented_radix_sort_config_selectorIslEEZNS1_25segmented_radix_sort_implIS3_Lb1EPKsPsPKlPlN2at6native12_GLOBAL__N_18offset_tEEE10hipError_tPvRmT1_PNSt15iterator_traitsISK_E10value_typeET2_T3_PNSL_ISQ_E10value_typeET4_jRbjT5_SW_jjP12ihipStream_tbEUlT_E0_NS1_11comp_targetILNS1_3genE4ELNS1_11target_archE910ELNS1_3gpuE8ELNS1_3repE0EEENS1_60segmented_radix_sort_warp_sort_medium_config_static_selectorELNS0_4arch9wavefront6targetE1EEEvSK_
; %bb.0:
	.section	.rodata,"a",@progbits
	.p2align	6, 0x0
	.amdhsa_kernel _ZN7rocprim17ROCPRIM_400000_NS6detail17trampoline_kernelINS0_14default_configENS1_36segmented_radix_sort_config_selectorIslEEZNS1_25segmented_radix_sort_implIS3_Lb1EPKsPsPKlPlN2at6native12_GLOBAL__N_18offset_tEEE10hipError_tPvRmT1_PNSt15iterator_traitsISK_E10value_typeET2_T3_PNSL_ISQ_E10value_typeET4_jRbjT5_SW_jjP12ihipStream_tbEUlT_E0_NS1_11comp_targetILNS1_3genE4ELNS1_11target_archE910ELNS1_3gpuE8ELNS1_3repE0EEENS1_60segmented_radix_sort_warp_sort_medium_config_static_selectorELNS0_4arch9wavefront6targetE1EEEvSK_
		.amdhsa_group_segment_fixed_size 0
		.amdhsa_private_segment_fixed_size 0
		.amdhsa_kernarg_size 88
		.amdhsa_user_sgpr_count 6
		.amdhsa_user_sgpr_private_segment_buffer 1
		.amdhsa_user_sgpr_dispatch_ptr 0
		.amdhsa_user_sgpr_queue_ptr 0
		.amdhsa_user_sgpr_kernarg_segment_ptr 1
		.amdhsa_user_sgpr_dispatch_id 0
		.amdhsa_user_sgpr_flat_scratch_init 0
		.amdhsa_user_sgpr_private_segment_size 0
		.amdhsa_uses_dynamic_stack 0
		.amdhsa_system_sgpr_private_segment_wavefront_offset 0
		.amdhsa_system_sgpr_workgroup_id_x 1
		.amdhsa_system_sgpr_workgroup_id_y 0
		.amdhsa_system_sgpr_workgroup_id_z 0
		.amdhsa_system_sgpr_workgroup_info 0
		.amdhsa_system_vgpr_workitem_id 0
		.amdhsa_next_free_vgpr 1
		.amdhsa_next_free_sgpr 0
		.amdhsa_reserve_vcc 0
		.amdhsa_reserve_flat_scratch 0
		.amdhsa_float_round_mode_32 0
		.amdhsa_float_round_mode_16_64 0
		.amdhsa_float_denorm_mode_32 3
		.amdhsa_float_denorm_mode_16_64 3
		.amdhsa_dx10_clamp 1
		.amdhsa_ieee_mode 1
		.amdhsa_fp16_overflow 0
		.amdhsa_exception_fp_ieee_invalid_op 0
		.amdhsa_exception_fp_denorm_src 0
		.amdhsa_exception_fp_ieee_div_zero 0
		.amdhsa_exception_fp_ieee_overflow 0
		.amdhsa_exception_fp_ieee_underflow 0
		.amdhsa_exception_fp_ieee_inexact 0
		.amdhsa_exception_int_div_zero 0
	.end_amdhsa_kernel
	.section	.text._ZN7rocprim17ROCPRIM_400000_NS6detail17trampoline_kernelINS0_14default_configENS1_36segmented_radix_sort_config_selectorIslEEZNS1_25segmented_radix_sort_implIS3_Lb1EPKsPsPKlPlN2at6native12_GLOBAL__N_18offset_tEEE10hipError_tPvRmT1_PNSt15iterator_traitsISK_E10value_typeET2_T3_PNSL_ISQ_E10value_typeET4_jRbjT5_SW_jjP12ihipStream_tbEUlT_E0_NS1_11comp_targetILNS1_3genE4ELNS1_11target_archE910ELNS1_3gpuE8ELNS1_3repE0EEENS1_60segmented_radix_sort_warp_sort_medium_config_static_selectorELNS0_4arch9wavefront6targetE1EEEvSK_,"axG",@progbits,_ZN7rocprim17ROCPRIM_400000_NS6detail17trampoline_kernelINS0_14default_configENS1_36segmented_radix_sort_config_selectorIslEEZNS1_25segmented_radix_sort_implIS3_Lb1EPKsPsPKlPlN2at6native12_GLOBAL__N_18offset_tEEE10hipError_tPvRmT1_PNSt15iterator_traitsISK_E10value_typeET2_T3_PNSL_ISQ_E10value_typeET4_jRbjT5_SW_jjP12ihipStream_tbEUlT_E0_NS1_11comp_targetILNS1_3genE4ELNS1_11target_archE910ELNS1_3gpuE8ELNS1_3repE0EEENS1_60segmented_radix_sort_warp_sort_medium_config_static_selectorELNS0_4arch9wavefront6targetE1EEEvSK_,comdat
.Lfunc_end923:
	.size	_ZN7rocprim17ROCPRIM_400000_NS6detail17trampoline_kernelINS0_14default_configENS1_36segmented_radix_sort_config_selectorIslEEZNS1_25segmented_radix_sort_implIS3_Lb1EPKsPsPKlPlN2at6native12_GLOBAL__N_18offset_tEEE10hipError_tPvRmT1_PNSt15iterator_traitsISK_E10value_typeET2_T3_PNSL_ISQ_E10value_typeET4_jRbjT5_SW_jjP12ihipStream_tbEUlT_E0_NS1_11comp_targetILNS1_3genE4ELNS1_11target_archE910ELNS1_3gpuE8ELNS1_3repE0EEENS1_60segmented_radix_sort_warp_sort_medium_config_static_selectorELNS0_4arch9wavefront6targetE1EEEvSK_, .Lfunc_end923-_ZN7rocprim17ROCPRIM_400000_NS6detail17trampoline_kernelINS0_14default_configENS1_36segmented_radix_sort_config_selectorIslEEZNS1_25segmented_radix_sort_implIS3_Lb1EPKsPsPKlPlN2at6native12_GLOBAL__N_18offset_tEEE10hipError_tPvRmT1_PNSt15iterator_traitsISK_E10value_typeET2_T3_PNSL_ISQ_E10value_typeET4_jRbjT5_SW_jjP12ihipStream_tbEUlT_E0_NS1_11comp_targetILNS1_3genE4ELNS1_11target_archE910ELNS1_3gpuE8ELNS1_3repE0EEENS1_60segmented_radix_sort_warp_sort_medium_config_static_selectorELNS0_4arch9wavefront6targetE1EEEvSK_
                                        ; -- End function
	.set _ZN7rocprim17ROCPRIM_400000_NS6detail17trampoline_kernelINS0_14default_configENS1_36segmented_radix_sort_config_selectorIslEEZNS1_25segmented_radix_sort_implIS3_Lb1EPKsPsPKlPlN2at6native12_GLOBAL__N_18offset_tEEE10hipError_tPvRmT1_PNSt15iterator_traitsISK_E10value_typeET2_T3_PNSL_ISQ_E10value_typeET4_jRbjT5_SW_jjP12ihipStream_tbEUlT_E0_NS1_11comp_targetILNS1_3genE4ELNS1_11target_archE910ELNS1_3gpuE8ELNS1_3repE0EEENS1_60segmented_radix_sort_warp_sort_medium_config_static_selectorELNS0_4arch9wavefront6targetE1EEEvSK_.num_vgpr, 0
	.set _ZN7rocprim17ROCPRIM_400000_NS6detail17trampoline_kernelINS0_14default_configENS1_36segmented_radix_sort_config_selectorIslEEZNS1_25segmented_radix_sort_implIS3_Lb1EPKsPsPKlPlN2at6native12_GLOBAL__N_18offset_tEEE10hipError_tPvRmT1_PNSt15iterator_traitsISK_E10value_typeET2_T3_PNSL_ISQ_E10value_typeET4_jRbjT5_SW_jjP12ihipStream_tbEUlT_E0_NS1_11comp_targetILNS1_3genE4ELNS1_11target_archE910ELNS1_3gpuE8ELNS1_3repE0EEENS1_60segmented_radix_sort_warp_sort_medium_config_static_selectorELNS0_4arch9wavefront6targetE1EEEvSK_.num_agpr, 0
	.set _ZN7rocprim17ROCPRIM_400000_NS6detail17trampoline_kernelINS0_14default_configENS1_36segmented_radix_sort_config_selectorIslEEZNS1_25segmented_radix_sort_implIS3_Lb1EPKsPsPKlPlN2at6native12_GLOBAL__N_18offset_tEEE10hipError_tPvRmT1_PNSt15iterator_traitsISK_E10value_typeET2_T3_PNSL_ISQ_E10value_typeET4_jRbjT5_SW_jjP12ihipStream_tbEUlT_E0_NS1_11comp_targetILNS1_3genE4ELNS1_11target_archE910ELNS1_3gpuE8ELNS1_3repE0EEENS1_60segmented_radix_sort_warp_sort_medium_config_static_selectorELNS0_4arch9wavefront6targetE1EEEvSK_.numbered_sgpr, 0
	.set _ZN7rocprim17ROCPRIM_400000_NS6detail17trampoline_kernelINS0_14default_configENS1_36segmented_radix_sort_config_selectorIslEEZNS1_25segmented_radix_sort_implIS3_Lb1EPKsPsPKlPlN2at6native12_GLOBAL__N_18offset_tEEE10hipError_tPvRmT1_PNSt15iterator_traitsISK_E10value_typeET2_T3_PNSL_ISQ_E10value_typeET4_jRbjT5_SW_jjP12ihipStream_tbEUlT_E0_NS1_11comp_targetILNS1_3genE4ELNS1_11target_archE910ELNS1_3gpuE8ELNS1_3repE0EEENS1_60segmented_radix_sort_warp_sort_medium_config_static_selectorELNS0_4arch9wavefront6targetE1EEEvSK_.num_named_barrier, 0
	.set _ZN7rocprim17ROCPRIM_400000_NS6detail17trampoline_kernelINS0_14default_configENS1_36segmented_radix_sort_config_selectorIslEEZNS1_25segmented_radix_sort_implIS3_Lb1EPKsPsPKlPlN2at6native12_GLOBAL__N_18offset_tEEE10hipError_tPvRmT1_PNSt15iterator_traitsISK_E10value_typeET2_T3_PNSL_ISQ_E10value_typeET4_jRbjT5_SW_jjP12ihipStream_tbEUlT_E0_NS1_11comp_targetILNS1_3genE4ELNS1_11target_archE910ELNS1_3gpuE8ELNS1_3repE0EEENS1_60segmented_radix_sort_warp_sort_medium_config_static_selectorELNS0_4arch9wavefront6targetE1EEEvSK_.private_seg_size, 0
	.set _ZN7rocprim17ROCPRIM_400000_NS6detail17trampoline_kernelINS0_14default_configENS1_36segmented_radix_sort_config_selectorIslEEZNS1_25segmented_radix_sort_implIS3_Lb1EPKsPsPKlPlN2at6native12_GLOBAL__N_18offset_tEEE10hipError_tPvRmT1_PNSt15iterator_traitsISK_E10value_typeET2_T3_PNSL_ISQ_E10value_typeET4_jRbjT5_SW_jjP12ihipStream_tbEUlT_E0_NS1_11comp_targetILNS1_3genE4ELNS1_11target_archE910ELNS1_3gpuE8ELNS1_3repE0EEENS1_60segmented_radix_sort_warp_sort_medium_config_static_selectorELNS0_4arch9wavefront6targetE1EEEvSK_.uses_vcc, 0
	.set _ZN7rocprim17ROCPRIM_400000_NS6detail17trampoline_kernelINS0_14default_configENS1_36segmented_radix_sort_config_selectorIslEEZNS1_25segmented_radix_sort_implIS3_Lb1EPKsPsPKlPlN2at6native12_GLOBAL__N_18offset_tEEE10hipError_tPvRmT1_PNSt15iterator_traitsISK_E10value_typeET2_T3_PNSL_ISQ_E10value_typeET4_jRbjT5_SW_jjP12ihipStream_tbEUlT_E0_NS1_11comp_targetILNS1_3genE4ELNS1_11target_archE910ELNS1_3gpuE8ELNS1_3repE0EEENS1_60segmented_radix_sort_warp_sort_medium_config_static_selectorELNS0_4arch9wavefront6targetE1EEEvSK_.uses_flat_scratch, 0
	.set _ZN7rocprim17ROCPRIM_400000_NS6detail17trampoline_kernelINS0_14default_configENS1_36segmented_radix_sort_config_selectorIslEEZNS1_25segmented_radix_sort_implIS3_Lb1EPKsPsPKlPlN2at6native12_GLOBAL__N_18offset_tEEE10hipError_tPvRmT1_PNSt15iterator_traitsISK_E10value_typeET2_T3_PNSL_ISQ_E10value_typeET4_jRbjT5_SW_jjP12ihipStream_tbEUlT_E0_NS1_11comp_targetILNS1_3genE4ELNS1_11target_archE910ELNS1_3gpuE8ELNS1_3repE0EEENS1_60segmented_radix_sort_warp_sort_medium_config_static_selectorELNS0_4arch9wavefront6targetE1EEEvSK_.has_dyn_sized_stack, 0
	.set _ZN7rocprim17ROCPRIM_400000_NS6detail17trampoline_kernelINS0_14default_configENS1_36segmented_radix_sort_config_selectorIslEEZNS1_25segmented_radix_sort_implIS3_Lb1EPKsPsPKlPlN2at6native12_GLOBAL__N_18offset_tEEE10hipError_tPvRmT1_PNSt15iterator_traitsISK_E10value_typeET2_T3_PNSL_ISQ_E10value_typeET4_jRbjT5_SW_jjP12ihipStream_tbEUlT_E0_NS1_11comp_targetILNS1_3genE4ELNS1_11target_archE910ELNS1_3gpuE8ELNS1_3repE0EEENS1_60segmented_radix_sort_warp_sort_medium_config_static_selectorELNS0_4arch9wavefront6targetE1EEEvSK_.has_recursion, 0
	.set _ZN7rocprim17ROCPRIM_400000_NS6detail17trampoline_kernelINS0_14default_configENS1_36segmented_radix_sort_config_selectorIslEEZNS1_25segmented_radix_sort_implIS3_Lb1EPKsPsPKlPlN2at6native12_GLOBAL__N_18offset_tEEE10hipError_tPvRmT1_PNSt15iterator_traitsISK_E10value_typeET2_T3_PNSL_ISQ_E10value_typeET4_jRbjT5_SW_jjP12ihipStream_tbEUlT_E0_NS1_11comp_targetILNS1_3genE4ELNS1_11target_archE910ELNS1_3gpuE8ELNS1_3repE0EEENS1_60segmented_radix_sort_warp_sort_medium_config_static_selectorELNS0_4arch9wavefront6targetE1EEEvSK_.has_indirect_call, 0
	.section	.AMDGPU.csdata,"",@progbits
; Kernel info:
; codeLenInByte = 0
; TotalNumSgprs: 4
; NumVgprs: 0
; ScratchSize: 0
; MemoryBound: 0
; FloatMode: 240
; IeeeMode: 1
; LDSByteSize: 0 bytes/workgroup (compile time only)
; SGPRBlocks: 0
; VGPRBlocks: 0
; NumSGPRsForWavesPerEU: 4
; NumVGPRsForWavesPerEU: 1
; Occupancy: 10
; WaveLimiterHint : 0
; COMPUTE_PGM_RSRC2:SCRATCH_EN: 0
; COMPUTE_PGM_RSRC2:USER_SGPR: 6
; COMPUTE_PGM_RSRC2:TRAP_HANDLER: 0
; COMPUTE_PGM_RSRC2:TGID_X_EN: 1
; COMPUTE_PGM_RSRC2:TGID_Y_EN: 0
; COMPUTE_PGM_RSRC2:TGID_Z_EN: 0
; COMPUTE_PGM_RSRC2:TIDIG_COMP_CNT: 0
	.section	.text._ZN7rocprim17ROCPRIM_400000_NS6detail17trampoline_kernelINS0_14default_configENS1_36segmented_radix_sort_config_selectorIslEEZNS1_25segmented_radix_sort_implIS3_Lb1EPKsPsPKlPlN2at6native12_GLOBAL__N_18offset_tEEE10hipError_tPvRmT1_PNSt15iterator_traitsISK_E10value_typeET2_T3_PNSL_ISQ_E10value_typeET4_jRbjT5_SW_jjP12ihipStream_tbEUlT_E0_NS1_11comp_targetILNS1_3genE3ELNS1_11target_archE908ELNS1_3gpuE7ELNS1_3repE0EEENS1_60segmented_radix_sort_warp_sort_medium_config_static_selectorELNS0_4arch9wavefront6targetE1EEEvSK_,"axG",@progbits,_ZN7rocprim17ROCPRIM_400000_NS6detail17trampoline_kernelINS0_14default_configENS1_36segmented_radix_sort_config_selectorIslEEZNS1_25segmented_radix_sort_implIS3_Lb1EPKsPsPKlPlN2at6native12_GLOBAL__N_18offset_tEEE10hipError_tPvRmT1_PNSt15iterator_traitsISK_E10value_typeET2_T3_PNSL_ISQ_E10value_typeET4_jRbjT5_SW_jjP12ihipStream_tbEUlT_E0_NS1_11comp_targetILNS1_3genE3ELNS1_11target_archE908ELNS1_3gpuE7ELNS1_3repE0EEENS1_60segmented_radix_sort_warp_sort_medium_config_static_selectorELNS0_4arch9wavefront6targetE1EEEvSK_,comdat
	.globl	_ZN7rocprim17ROCPRIM_400000_NS6detail17trampoline_kernelINS0_14default_configENS1_36segmented_radix_sort_config_selectorIslEEZNS1_25segmented_radix_sort_implIS3_Lb1EPKsPsPKlPlN2at6native12_GLOBAL__N_18offset_tEEE10hipError_tPvRmT1_PNSt15iterator_traitsISK_E10value_typeET2_T3_PNSL_ISQ_E10value_typeET4_jRbjT5_SW_jjP12ihipStream_tbEUlT_E0_NS1_11comp_targetILNS1_3genE3ELNS1_11target_archE908ELNS1_3gpuE7ELNS1_3repE0EEENS1_60segmented_radix_sort_warp_sort_medium_config_static_selectorELNS0_4arch9wavefront6targetE1EEEvSK_ ; -- Begin function _ZN7rocprim17ROCPRIM_400000_NS6detail17trampoline_kernelINS0_14default_configENS1_36segmented_radix_sort_config_selectorIslEEZNS1_25segmented_radix_sort_implIS3_Lb1EPKsPsPKlPlN2at6native12_GLOBAL__N_18offset_tEEE10hipError_tPvRmT1_PNSt15iterator_traitsISK_E10value_typeET2_T3_PNSL_ISQ_E10value_typeET4_jRbjT5_SW_jjP12ihipStream_tbEUlT_E0_NS1_11comp_targetILNS1_3genE3ELNS1_11target_archE908ELNS1_3gpuE7ELNS1_3repE0EEENS1_60segmented_radix_sort_warp_sort_medium_config_static_selectorELNS0_4arch9wavefront6targetE1EEEvSK_
	.p2align	8
	.type	_ZN7rocprim17ROCPRIM_400000_NS6detail17trampoline_kernelINS0_14default_configENS1_36segmented_radix_sort_config_selectorIslEEZNS1_25segmented_radix_sort_implIS3_Lb1EPKsPsPKlPlN2at6native12_GLOBAL__N_18offset_tEEE10hipError_tPvRmT1_PNSt15iterator_traitsISK_E10value_typeET2_T3_PNSL_ISQ_E10value_typeET4_jRbjT5_SW_jjP12ihipStream_tbEUlT_E0_NS1_11comp_targetILNS1_3genE3ELNS1_11target_archE908ELNS1_3gpuE7ELNS1_3repE0EEENS1_60segmented_radix_sort_warp_sort_medium_config_static_selectorELNS0_4arch9wavefront6targetE1EEEvSK_,@function
_ZN7rocprim17ROCPRIM_400000_NS6detail17trampoline_kernelINS0_14default_configENS1_36segmented_radix_sort_config_selectorIslEEZNS1_25segmented_radix_sort_implIS3_Lb1EPKsPsPKlPlN2at6native12_GLOBAL__N_18offset_tEEE10hipError_tPvRmT1_PNSt15iterator_traitsISK_E10value_typeET2_T3_PNSL_ISQ_E10value_typeET4_jRbjT5_SW_jjP12ihipStream_tbEUlT_E0_NS1_11comp_targetILNS1_3genE3ELNS1_11target_archE908ELNS1_3gpuE7ELNS1_3repE0EEENS1_60segmented_radix_sort_warp_sort_medium_config_static_selectorELNS0_4arch9wavefront6targetE1EEEvSK_: ; @_ZN7rocprim17ROCPRIM_400000_NS6detail17trampoline_kernelINS0_14default_configENS1_36segmented_radix_sort_config_selectorIslEEZNS1_25segmented_radix_sort_implIS3_Lb1EPKsPsPKlPlN2at6native12_GLOBAL__N_18offset_tEEE10hipError_tPvRmT1_PNSt15iterator_traitsISK_E10value_typeET2_T3_PNSL_ISQ_E10value_typeET4_jRbjT5_SW_jjP12ihipStream_tbEUlT_E0_NS1_11comp_targetILNS1_3genE3ELNS1_11target_archE908ELNS1_3gpuE7ELNS1_3repE0EEENS1_60segmented_radix_sort_warp_sort_medium_config_static_selectorELNS0_4arch9wavefront6targetE1EEEvSK_
; %bb.0:
	.section	.rodata,"a",@progbits
	.p2align	6, 0x0
	.amdhsa_kernel _ZN7rocprim17ROCPRIM_400000_NS6detail17trampoline_kernelINS0_14default_configENS1_36segmented_radix_sort_config_selectorIslEEZNS1_25segmented_radix_sort_implIS3_Lb1EPKsPsPKlPlN2at6native12_GLOBAL__N_18offset_tEEE10hipError_tPvRmT1_PNSt15iterator_traitsISK_E10value_typeET2_T3_PNSL_ISQ_E10value_typeET4_jRbjT5_SW_jjP12ihipStream_tbEUlT_E0_NS1_11comp_targetILNS1_3genE3ELNS1_11target_archE908ELNS1_3gpuE7ELNS1_3repE0EEENS1_60segmented_radix_sort_warp_sort_medium_config_static_selectorELNS0_4arch9wavefront6targetE1EEEvSK_
		.amdhsa_group_segment_fixed_size 0
		.amdhsa_private_segment_fixed_size 0
		.amdhsa_kernarg_size 88
		.amdhsa_user_sgpr_count 6
		.amdhsa_user_sgpr_private_segment_buffer 1
		.amdhsa_user_sgpr_dispatch_ptr 0
		.amdhsa_user_sgpr_queue_ptr 0
		.amdhsa_user_sgpr_kernarg_segment_ptr 1
		.amdhsa_user_sgpr_dispatch_id 0
		.amdhsa_user_sgpr_flat_scratch_init 0
		.amdhsa_user_sgpr_private_segment_size 0
		.amdhsa_uses_dynamic_stack 0
		.amdhsa_system_sgpr_private_segment_wavefront_offset 0
		.amdhsa_system_sgpr_workgroup_id_x 1
		.amdhsa_system_sgpr_workgroup_id_y 0
		.amdhsa_system_sgpr_workgroup_id_z 0
		.amdhsa_system_sgpr_workgroup_info 0
		.amdhsa_system_vgpr_workitem_id 0
		.amdhsa_next_free_vgpr 1
		.amdhsa_next_free_sgpr 0
		.amdhsa_reserve_vcc 0
		.amdhsa_reserve_flat_scratch 0
		.amdhsa_float_round_mode_32 0
		.amdhsa_float_round_mode_16_64 0
		.amdhsa_float_denorm_mode_32 3
		.amdhsa_float_denorm_mode_16_64 3
		.amdhsa_dx10_clamp 1
		.amdhsa_ieee_mode 1
		.amdhsa_fp16_overflow 0
		.amdhsa_exception_fp_ieee_invalid_op 0
		.amdhsa_exception_fp_denorm_src 0
		.amdhsa_exception_fp_ieee_div_zero 0
		.amdhsa_exception_fp_ieee_overflow 0
		.amdhsa_exception_fp_ieee_underflow 0
		.amdhsa_exception_fp_ieee_inexact 0
		.amdhsa_exception_int_div_zero 0
	.end_amdhsa_kernel
	.section	.text._ZN7rocprim17ROCPRIM_400000_NS6detail17trampoline_kernelINS0_14default_configENS1_36segmented_radix_sort_config_selectorIslEEZNS1_25segmented_radix_sort_implIS3_Lb1EPKsPsPKlPlN2at6native12_GLOBAL__N_18offset_tEEE10hipError_tPvRmT1_PNSt15iterator_traitsISK_E10value_typeET2_T3_PNSL_ISQ_E10value_typeET4_jRbjT5_SW_jjP12ihipStream_tbEUlT_E0_NS1_11comp_targetILNS1_3genE3ELNS1_11target_archE908ELNS1_3gpuE7ELNS1_3repE0EEENS1_60segmented_radix_sort_warp_sort_medium_config_static_selectorELNS0_4arch9wavefront6targetE1EEEvSK_,"axG",@progbits,_ZN7rocprim17ROCPRIM_400000_NS6detail17trampoline_kernelINS0_14default_configENS1_36segmented_radix_sort_config_selectorIslEEZNS1_25segmented_radix_sort_implIS3_Lb1EPKsPsPKlPlN2at6native12_GLOBAL__N_18offset_tEEE10hipError_tPvRmT1_PNSt15iterator_traitsISK_E10value_typeET2_T3_PNSL_ISQ_E10value_typeET4_jRbjT5_SW_jjP12ihipStream_tbEUlT_E0_NS1_11comp_targetILNS1_3genE3ELNS1_11target_archE908ELNS1_3gpuE7ELNS1_3repE0EEENS1_60segmented_radix_sort_warp_sort_medium_config_static_selectorELNS0_4arch9wavefront6targetE1EEEvSK_,comdat
.Lfunc_end924:
	.size	_ZN7rocprim17ROCPRIM_400000_NS6detail17trampoline_kernelINS0_14default_configENS1_36segmented_radix_sort_config_selectorIslEEZNS1_25segmented_radix_sort_implIS3_Lb1EPKsPsPKlPlN2at6native12_GLOBAL__N_18offset_tEEE10hipError_tPvRmT1_PNSt15iterator_traitsISK_E10value_typeET2_T3_PNSL_ISQ_E10value_typeET4_jRbjT5_SW_jjP12ihipStream_tbEUlT_E0_NS1_11comp_targetILNS1_3genE3ELNS1_11target_archE908ELNS1_3gpuE7ELNS1_3repE0EEENS1_60segmented_radix_sort_warp_sort_medium_config_static_selectorELNS0_4arch9wavefront6targetE1EEEvSK_, .Lfunc_end924-_ZN7rocprim17ROCPRIM_400000_NS6detail17trampoline_kernelINS0_14default_configENS1_36segmented_radix_sort_config_selectorIslEEZNS1_25segmented_radix_sort_implIS3_Lb1EPKsPsPKlPlN2at6native12_GLOBAL__N_18offset_tEEE10hipError_tPvRmT1_PNSt15iterator_traitsISK_E10value_typeET2_T3_PNSL_ISQ_E10value_typeET4_jRbjT5_SW_jjP12ihipStream_tbEUlT_E0_NS1_11comp_targetILNS1_3genE3ELNS1_11target_archE908ELNS1_3gpuE7ELNS1_3repE0EEENS1_60segmented_radix_sort_warp_sort_medium_config_static_selectorELNS0_4arch9wavefront6targetE1EEEvSK_
                                        ; -- End function
	.set _ZN7rocprim17ROCPRIM_400000_NS6detail17trampoline_kernelINS0_14default_configENS1_36segmented_radix_sort_config_selectorIslEEZNS1_25segmented_radix_sort_implIS3_Lb1EPKsPsPKlPlN2at6native12_GLOBAL__N_18offset_tEEE10hipError_tPvRmT1_PNSt15iterator_traitsISK_E10value_typeET2_T3_PNSL_ISQ_E10value_typeET4_jRbjT5_SW_jjP12ihipStream_tbEUlT_E0_NS1_11comp_targetILNS1_3genE3ELNS1_11target_archE908ELNS1_3gpuE7ELNS1_3repE0EEENS1_60segmented_radix_sort_warp_sort_medium_config_static_selectorELNS0_4arch9wavefront6targetE1EEEvSK_.num_vgpr, 0
	.set _ZN7rocprim17ROCPRIM_400000_NS6detail17trampoline_kernelINS0_14default_configENS1_36segmented_radix_sort_config_selectorIslEEZNS1_25segmented_radix_sort_implIS3_Lb1EPKsPsPKlPlN2at6native12_GLOBAL__N_18offset_tEEE10hipError_tPvRmT1_PNSt15iterator_traitsISK_E10value_typeET2_T3_PNSL_ISQ_E10value_typeET4_jRbjT5_SW_jjP12ihipStream_tbEUlT_E0_NS1_11comp_targetILNS1_3genE3ELNS1_11target_archE908ELNS1_3gpuE7ELNS1_3repE0EEENS1_60segmented_radix_sort_warp_sort_medium_config_static_selectorELNS0_4arch9wavefront6targetE1EEEvSK_.num_agpr, 0
	.set _ZN7rocprim17ROCPRIM_400000_NS6detail17trampoline_kernelINS0_14default_configENS1_36segmented_radix_sort_config_selectorIslEEZNS1_25segmented_radix_sort_implIS3_Lb1EPKsPsPKlPlN2at6native12_GLOBAL__N_18offset_tEEE10hipError_tPvRmT1_PNSt15iterator_traitsISK_E10value_typeET2_T3_PNSL_ISQ_E10value_typeET4_jRbjT5_SW_jjP12ihipStream_tbEUlT_E0_NS1_11comp_targetILNS1_3genE3ELNS1_11target_archE908ELNS1_3gpuE7ELNS1_3repE0EEENS1_60segmented_radix_sort_warp_sort_medium_config_static_selectorELNS0_4arch9wavefront6targetE1EEEvSK_.numbered_sgpr, 0
	.set _ZN7rocprim17ROCPRIM_400000_NS6detail17trampoline_kernelINS0_14default_configENS1_36segmented_radix_sort_config_selectorIslEEZNS1_25segmented_radix_sort_implIS3_Lb1EPKsPsPKlPlN2at6native12_GLOBAL__N_18offset_tEEE10hipError_tPvRmT1_PNSt15iterator_traitsISK_E10value_typeET2_T3_PNSL_ISQ_E10value_typeET4_jRbjT5_SW_jjP12ihipStream_tbEUlT_E0_NS1_11comp_targetILNS1_3genE3ELNS1_11target_archE908ELNS1_3gpuE7ELNS1_3repE0EEENS1_60segmented_radix_sort_warp_sort_medium_config_static_selectorELNS0_4arch9wavefront6targetE1EEEvSK_.num_named_barrier, 0
	.set _ZN7rocprim17ROCPRIM_400000_NS6detail17trampoline_kernelINS0_14default_configENS1_36segmented_radix_sort_config_selectorIslEEZNS1_25segmented_radix_sort_implIS3_Lb1EPKsPsPKlPlN2at6native12_GLOBAL__N_18offset_tEEE10hipError_tPvRmT1_PNSt15iterator_traitsISK_E10value_typeET2_T3_PNSL_ISQ_E10value_typeET4_jRbjT5_SW_jjP12ihipStream_tbEUlT_E0_NS1_11comp_targetILNS1_3genE3ELNS1_11target_archE908ELNS1_3gpuE7ELNS1_3repE0EEENS1_60segmented_radix_sort_warp_sort_medium_config_static_selectorELNS0_4arch9wavefront6targetE1EEEvSK_.private_seg_size, 0
	.set _ZN7rocprim17ROCPRIM_400000_NS6detail17trampoline_kernelINS0_14default_configENS1_36segmented_radix_sort_config_selectorIslEEZNS1_25segmented_radix_sort_implIS3_Lb1EPKsPsPKlPlN2at6native12_GLOBAL__N_18offset_tEEE10hipError_tPvRmT1_PNSt15iterator_traitsISK_E10value_typeET2_T3_PNSL_ISQ_E10value_typeET4_jRbjT5_SW_jjP12ihipStream_tbEUlT_E0_NS1_11comp_targetILNS1_3genE3ELNS1_11target_archE908ELNS1_3gpuE7ELNS1_3repE0EEENS1_60segmented_radix_sort_warp_sort_medium_config_static_selectorELNS0_4arch9wavefront6targetE1EEEvSK_.uses_vcc, 0
	.set _ZN7rocprim17ROCPRIM_400000_NS6detail17trampoline_kernelINS0_14default_configENS1_36segmented_radix_sort_config_selectorIslEEZNS1_25segmented_radix_sort_implIS3_Lb1EPKsPsPKlPlN2at6native12_GLOBAL__N_18offset_tEEE10hipError_tPvRmT1_PNSt15iterator_traitsISK_E10value_typeET2_T3_PNSL_ISQ_E10value_typeET4_jRbjT5_SW_jjP12ihipStream_tbEUlT_E0_NS1_11comp_targetILNS1_3genE3ELNS1_11target_archE908ELNS1_3gpuE7ELNS1_3repE0EEENS1_60segmented_radix_sort_warp_sort_medium_config_static_selectorELNS0_4arch9wavefront6targetE1EEEvSK_.uses_flat_scratch, 0
	.set _ZN7rocprim17ROCPRIM_400000_NS6detail17trampoline_kernelINS0_14default_configENS1_36segmented_radix_sort_config_selectorIslEEZNS1_25segmented_radix_sort_implIS3_Lb1EPKsPsPKlPlN2at6native12_GLOBAL__N_18offset_tEEE10hipError_tPvRmT1_PNSt15iterator_traitsISK_E10value_typeET2_T3_PNSL_ISQ_E10value_typeET4_jRbjT5_SW_jjP12ihipStream_tbEUlT_E0_NS1_11comp_targetILNS1_3genE3ELNS1_11target_archE908ELNS1_3gpuE7ELNS1_3repE0EEENS1_60segmented_radix_sort_warp_sort_medium_config_static_selectorELNS0_4arch9wavefront6targetE1EEEvSK_.has_dyn_sized_stack, 0
	.set _ZN7rocprim17ROCPRIM_400000_NS6detail17trampoline_kernelINS0_14default_configENS1_36segmented_radix_sort_config_selectorIslEEZNS1_25segmented_radix_sort_implIS3_Lb1EPKsPsPKlPlN2at6native12_GLOBAL__N_18offset_tEEE10hipError_tPvRmT1_PNSt15iterator_traitsISK_E10value_typeET2_T3_PNSL_ISQ_E10value_typeET4_jRbjT5_SW_jjP12ihipStream_tbEUlT_E0_NS1_11comp_targetILNS1_3genE3ELNS1_11target_archE908ELNS1_3gpuE7ELNS1_3repE0EEENS1_60segmented_radix_sort_warp_sort_medium_config_static_selectorELNS0_4arch9wavefront6targetE1EEEvSK_.has_recursion, 0
	.set _ZN7rocprim17ROCPRIM_400000_NS6detail17trampoline_kernelINS0_14default_configENS1_36segmented_radix_sort_config_selectorIslEEZNS1_25segmented_radix_sort_implIS3_Lb1EPKsPsPKlPlN2at6native12_GLOBAL__N_18offset_tEEE10hipError_tPvRmT1_PNSt15iterator_traitsISK_E10value_typeET2_T3_PNSL_ISQ_E10value_typeET4_jRbjT5_SW_jjP12ihipStream_tbEUlT_E0_NS1_11comp_targetILNS1_3genE3ELNS1_11target_archE908ELNS1_3gpuE7ELNS1_3repE0EEENS1_60segmented_radix_sort_warp_sort_medium_config_static_selectorELNS0_4arch9wavefront6targetE1EEEvSK_.has_indirect_call, 0
	.section	.AMDGPU.csdata,"",@progbits
; Kernel info:
; codeLenInByte = 0
; TotalNumSgprs: 4
; NumVgprs: 0
; ScratchSize: 0
; MemoryBound: 0
; FloatMode: 240
; IeeeMode: 1
; LDSByteSize: 0 bytes/workgroup (compile time only)
; SGPRBlocks: 0
; VGPRBlocks: 0
; NumSGPRsForWavesPerEU: 4
; NumVGPRsForWavesPerEU: 1
; Occupancy: 10
; WaveLimiterHint : 0
; COMPUTE_PGM_RSRC2:SCRATCH_EN: 0
; COMPUTE_PGM_RSRC2:USER_SGPR: 6
; COMPUTE_PGM_RSRC2:TRAP_HANDLER: 0
; COMPUTE_PGM_RSRC2:TGID_X_EN: 1
; COMPUTE_PGM_RSRC2:TGID_Y_EN: 0
; COMPUTE_PGM_RSRC2:TGID_Z_EN: 0
; COMPUTE_PGM_RSRC2:TIDIG_COMP_CNT: 0
	.text
	.p2align	2                               ; -- Begin function _ZN7rocprim17ROCPRIM_400000_NS6detail26segmented_warp_sort_helperINS1_20WarpSortHelperConfigILj16ELj8ELj256EEEslLi256ELb1EvE4sortIPKsPsPKlPlEEvT_T0_T1_T2_jjjjRNS5_12storage_typeE
	.type	_ZN7rocprim17ROCPRIM_400000_NS6detail26segmented_warp_sort_helperINS1_20WarpSortHelperConfigILj16ELj8ELj256EEEslLi256ELb1EvE4sortIPKsPsPKlPlEEvT_T0_T1_T2_jjjjRNS5_12storage_typeE,@function
_ZN7rocprim17ROCPRIM_400000_NS6detail26segmented_warp_sort_helperINS1_20WarpSortHelperConfigILj16ELj8ELj256EEEslLi256ELb1EvE4sortIPKsPsPKlPlEEvT_T0_T1_T2_jjjjRNS5_12storage_typeE: ; @_ZN7rocprim17ROCPRIM_400000_NS6detail26segmented_warp_sort_helperINS1_20WarpSortHelperConfigILj16ELj8ELj256EEEslLi256ELb1EvE4sortIPKsPsPKlPlEEvT_T0_T1_T2_jjjjRNS5_12storage_typeE
; %bb.0:
	s_waitcnt vmcnt(0) expcnt(0) lgkmcnt(0)
	v_sub_u32_e32 v14, v9, v8
	v_mov_b32_e32 v9, 0
	v_mbcnt_lo_u32_b32 v15, -1, 0
	v_lshlrev_b64 v[12:13], 1, v[8:9]
	v_mbcnt_hi_u32_b32 v15, -1, v15
	v_lshlrev_b32_e32 v33, 3, v15
	v_add_co_u32_e32 v0, vcc, v0, v12
	v_and_b32_e32 v34, 0x78, v33
	v_addc_co_u32_e32 v1, vcc, v1, v13, vcc
	v_lshlrev_b32_e32 v30, 1, v34
	v_add_co_u32_e32 v0, vcc, v0, v30
	v_addc_co_u32_e32 v1, vcc, 0, v1, vcc
	v_cmp_lt_u32_e32 vcc, v34, v14
	v_mov_b32_e32 v38, 0xffff8000
	v_mov_b32_e32 v35, 0xffff8000
	s_and_saveexec_b64 s[4:5], vcc
	s_cbranch_execz .LBB925_2
; %bb.1:
	flat_load_ushort v35, v[0:1]
.LBB925_2:
	s_or_b64 exec, exec, s[4:5]
	v_or_b32_e32 v15, 1, v34
	v_cmp_lt_u32_e64 s[4:5], v15, v14
	s_and_saveexec_b64 s[6:7], s[4:5]
	s_cbranch_execz .LBB925_4
; %bb.3:
	flat_load_ushort v38, v[0:1] offset:2
.LBB925_4:
	s_or_b64 exec, exec, s[6:7]
	v_or_b32_e32 v15, 2, v34
	v_cmp_lt_u32_e64 s[6:7], v15, v14
	v_mov_b32_e32 v49, 0xffff8000
	v_mov_b32_e32 v39, 0xffff8000
	s_and_saveexec_b64 s[10:11], s[6:7]
	s_cbranch_execz .LBB925_6
; %bb.5:
	flat_load_ushort v39, v[0:1] offset:4
.LBB925_6:
	s_or_b64 exec, exec, s[10:11]
	v_or_b32_e32 v15, 3, v34
	v_cmp_lt_u32_e64 s[18:19], v15, v14
	s_and_saveexec_b64 s[10:11], s[18:19]
	s_cbranch_execz .LBB925_8
; %bb.7:
	flat_load_ushort v49, v[0:1] offset:6
.LBB925_8:
	s_or_b64 exec, exec, s[10:11]
	v_or_b32_e32 v15, 4, v34
	v_cmp_lt_u32_e64 s[10:11], v15, v14
	v_mov_b32_e32 v37, 0xffff8000
	v_mov_b32_e32 v48, 0xffff8000
	s_and_saveexec_b64 s[14:15], s[10:11]
	s_cbranch_execz .LBB925_10
; %bb.9:
	flat_load_ushort v48, v[0:1] offset:8
.LBB925_10:
	;; [unrolled: 18-line block ×3, first 2 shown]
	s_or_b64 exec, exec, s[16:17]
	v_or_b32_e32 v15, 7, v34
	v_cmp_lt_u32_e64 s[16:17], v15, v14
	s_and_saveexec_b64 s[20:21], s[16:17]
	s_cbranch_execz .LBB925_16
; %bb.15:
	flat_load_ushort v36, v[0:1] offset:14
.LBB925_16:
	s_or_b64 exec, exec, s[20:21]
	v_lshlrev_b64 v[0:1], 3, v[8:9]
	v_lshlrev_b32_e32 v32, 3, v34
	v_add_co_u32_e64 v4, s[20:21], v4, v0
	v_addc_co_u32_e64 v5, s[20:21], v5, v1, s[20:21]
	v_add_co_u32_e64 v26, s[20:21], v4, v32
	v_addc_co_u32_e64 v27, s[20:21], 0, v5, s[20:21]
	; wave barrier
                                        ; implicit-def: $vgpr4_vgpr5
	s_and_saveexec_b64 s[20:21], vcc
	s_cbranch_execnz .LBB925_243
; %bb.17:
	s_or_b64 exec, exec, s[20:21]
	s_and_saveexec_b64 s[20:21], s[4:5]
                                        ; implicit-def: $vgpr8_vgpr9
	s_cbranch_execnz .LBB925_244
.LBB925_18:
	s_or_b64 exec, exec, s[20:21]
                                        ; implicit-def: $vgpr14_vgpr15
	s_and_saveexec_b64 s[20:21], s[6:7]
	s_cbranch_execnz .LBB925_245
.LBB925_19:
	s_or_b64 exec, exec, s[20:21]
	s_and_saveexec_b64 s[20:21], s[18:19]
                                        ; implicit-def: $vgpr16_vgpr17
	s_cbranch_execnz .LBB925_246
.LBB925_20:
	s_or_b64 exec, exec, s[20:21]
                                        ; implicit-def: $vgpr20_vgpr21
	s_and_saveexec_b64 s[20:21], s[10:11]
	s_cbranch_execnz .LBB925_247
.LBB925_21:
	s_or_b64 exec, exec, s[20:21]
	s_and_saveexec_b64 s[20:21], s[26:27]
                                        ; implicit-def: $vgpr22_vgpr23
	s_cbranch_execnz .LBB925_248
.LBB925_22:
	s_or_b64 exec, exec, s[20:21]
                                        ; implicit-def: $vgpr18_vgpr19
	s_and_saveexec_b64 s[20:21], s[14:15]
	s_cbranch_execnz .LBB925_249
.LBB925_23:
	s_or_b64 exec, exec, s[20:21]
	s_and_saveexec_b64 s[20:21], s[16:17]
                                        ; implicit-def: $vgpr24_vgpr25
	s_cbranch_execz .LBB925_25
.LBB925_24:
	flat_load_dwordx2 v[24:25], v[26:27] offset:56
.LBB925_25:
	s_or_b64 exec, exec, s[20:21]
	v_cmp_ne_u32_e64 s[20:21], 0, v10
	v_cmp_ne_u32_e64 s[22:23], 16, v11
	s_or_b64 s[20:21], s[20:21], s[22:23]
	v_bfe_u32 v26, v31, 10, 10
	v_bfe_u32 v27, v31, 20, 10
	; wave barrier
	s_and_saveexec_b64 s[22:23], s[20:21]
	s_xor_b64 s[58:59], exec, s[22:23]
	s_cbranch_execz .LBB925_125
; %bb.26:
	s_load_dwordx2 s[20:21], s[8:9], 0x0
	v_mov_b32_e32 v28, 0
	v_lshlrev_b32_e64 v11, v11, -1
	v_lshlrev_b32_e64 v10, v10, -1
	s_waitcnt lgkmcnt(0)
	s_cmp_lt_u32 s13, s21
	s_cselect_b32 s21, 14, 20
	s_add_u32 s22, s8, s21
	s_addc_u32 s23, s9, 0
	s_cmp_lt_u32 s12, s20
	s_cselect_b32 s20, 12, 18
	s_add_u32 s20, s8, s20
	s_addc_u32 s21, s9, 0
	global_load_ushort v29, v28, s[22:23]
	global_load_ushort v51, v28, s[20:21]
	s_movk_i32 s20, 0x800
	s_waitcnt vmcnt(0)
	v_mad_u32_u24 v26, v27, v29, v26
	v_mul_lo_u32 v26, v26, v51
	v_and_b32_e32 v27, 0x3ff, v31
	v_xor_b32_e32 v31, v11, v10
	v_add_lshl_u32 v51, v26, v27, 3
	v_cmp_gt_u32_e64 s[20:21], s20, v51
	s_and_saveexec_b64 s[22:23], s[20:21]
	s_cbranch_execz .LBB925_84
; %bb.27:
	v_and_b32_e32 v10, v38, v31
	v_and_b32_e32 v11, v35, v31
	v_mov_b32_e32 v27, v9
	v_cmp_gt_i16_e64 s[20:21], v10, v11
	v_mov_b32_e32 v52, v38
	v_mov_b32_e32 v26, v8
	s_and_saveexec_b64 s[24:25], s[20:21]
; %bb.28:
	v_mov_b32_e32 v27, v5
	v_mov_b32_e32 v26, v4
	v_mov_b32_e32 v4, v8
	v_mov_b32_e32 v52, v35
	v_mov_b32_e32 v35, v38
	v_mov_b32_e32 v5, v9
; %bb.29:
	s_or_b64 exec, exec, s[24:25]
	v_and_b32_e32 v8, v49, v31
	v_and_b32_e32 v9, v39, v31
	v_mov_b32_e32 v29, v17
	v_cmp_gt_i16_e64 s[20:21], v8, v9
	v_mov_b32_e32 v54, v49
	v_mov_b32_e32 v28, v16
	s_and_saveexec_b64 s[24:25], s[20:21]
; %bb.30:
	v_mov_b32_e32 v29, v15
	v_mov_b32_e32 v28, v14
	v_mov_b32_e32 v14, v16
	v_mov_b32_e32 v54, v39
	v_mov_b32_e32 v39, v49
	v_mov_b32_e32 v15, v17
; %bb.31:
	s_or_b64 exec, exec, s[24:25]
	;; [unrolled: 16-line block ×3, first 2 shown]
	v_and_b32_e32 v8, v36, v31
	v_and_b32_e32 v9, v50, v31
	v_cmp_gt_i16_e64 s[20:21], v8, v9
	v_mov_b32_e32 v8, v24
	v_mov_b32_e32 v9, v25
	;; [unrolled: 1-line block ×3, first 2 shown]
	s_and_saveexec_b64 s[24:25], s[20:21]
; %bb.34:
	v_mov_b32_e32 v8, v18
	v_mov_b32_e32 v9, v19
	;; [unrolled: 1-line block ×6, first 2 shown]
; %bb.35:
	s_or_b64 exec, exec, s[24:25]
	v_and_b32_e32 v16, v39, v31
	v_and_b32_e32 v17, v52, v31
	v_mov_b32_e32 v23, v15
	v_cmp_gt_i16_e64 s[20:21], v16, v17
	v_mov_b32_e32 v38, v39
	v_mov_b32_e32 v22, v14
	s_and_saveexec_b64 s[24:25], s[20:21]
	s_xor_b64 s[20:21], exec, s[24:25]
; %bb.36:
	v_mov_b32_e32 v22, v26
	v_mov_b32_e32 v23, v27
	;; [unrolled: 1-line block ×6, first 2 shown]
; %bb.37:
	s_or_b64 exec, exec, s[20:21]
	v_and_b32_e32 v14, v53, v31
	v_and_b32_e32 v15, v54, v31
	v_mov_b32_e32 v25, v21
	v_cmp_gt_i16_e64 s[20:21], v14, v15
	v_mov_b32_e32 v16, v54
	v_mov_b32_e32 v24, v20
	s_and_saveexec_b64 s[24:25], s[20:21]
; %bb.38:
	v_mov_b32_e32 v24, v28
	v_mov_b32_e32 v25, v29
	;; [unrolled: 1-line block ×6, first 2 shown]
; %bb.39:
	s_or_b64 exec, exec, s[24:25]
	v_and_b32_e32 v14, v48, v31
	v_and_b32_e32 v15, v37, v31
	v_cmp_gt_i16_e64 s[20:21], v14, v15
	v_mov_b32_e32 v14, v18
	v_mov_b32_e32 v15, v19
	;; [unrolled: 1-line block ×3, first 2 shown]
	s_and_saveexec_b64 s[24:25], s[20:21]
; %bb.40:
	v_mov_b32_e32 v15, v11
	v_mov_b32_e32 v14, v10
	;; [unrolled: 1-line block ×6, first 2 shown]
; %bb.41:
	s_or_b64 exec, exec, s[24:25]
	v_and_b32_e32 v17, v52, v31
	v_and_b32_e32 v18, v35, v31
	v_mov_b32_e32 v20, v26
	v_cmp_gt_i16_e64 s[20:21], v17, v18
	v_mov_b32_e32 v37, v52
	v_mov_b32_e32 v21, v27
	s_and_saveexec_b64 s[24:25], s[20:21]
; %bb.42:
	v_mov_b32_e32 v21, v5
	v_mov_b32_e32 v20, v4
	;; [unrolled: 1-line block ×6, first 2 shown]
; %bb.43:
	s_or_b64 exec, exec, s[24:25]
	v_and_b32_e32 v17, v16, v31
	v_and_b32_e32 v18, v38, v31
	v_mov_b32_e32 v26, v28
	v_cmp_gt_i16_e64 s[20:21], v17, v18
	v_mov_b32_e32 v54, v16
	v_mov_b32_e32 v27, v29
	s_and_saveexec_b64 s[24:25], s[20:21]
; %bb.44:
	v_mov_b32_e32 v27, v23
	v_mov_b32_e32 v26, v22
	;; [unrolled: 1-line block ×6, first 2 shown]
; %bb.45:
	s_or_b64 exec, exec, s[24:25]
	v_and_b32_e32 v16, v49, v31
	v_and_b32_e32 v17, v53, v31
	v_cmp_gt_i16_e64 s[20:21], v16, v17
	v_mov_b32_e32 v17, v11
	v_mov_b32_e32 v16, v10
	v_mov_b32_e32 v52, v53
	s_and_saveexec_b64 s[24:25], s[20:21]
; %bb.46:
	v_mov_b32_e32 v16, v24
	v_mov_b32_e32 v17, v25
	;; [unrolled: 1-line block ×6, first 2 shown]
; %bb.47:
	s_or_b64 exec, exec, s[24:25]
	v_and_b32_e32 v10, v36, v31
	v_and_b32_e32 v11, v48, v31
	v_cmp_gt_i16_e64 s[20:21], v10, v11
	v_mov_b32_e32 v11, v9
	v_mov_b32_e32 v10, v8
	;; [unrolled: 1-line block ×3, first 2 shown]
	s_and_saveexec_b64 s[24:25], s[20:21]
; %bb.48:
	v_mov_b32_e32 v10, v14
	v_mov_b32_e32 v11, v15
	;; [unrolled: 1-line block ×6, first 2 shown]
; %bb.49:
	s_or_b64 exec, exec, s[24:25]
	v_and_b32_e32 v8, v38, v31
	v_and_b32_e32 v9, v37, v31
	v_mov_b32_e32 v29, v23
	v_cmp_gt_i16_e64 s[20:21], v8, v9
	v_mov_b32_e32 v39, v38
	v_mov_b32_e32 v28, v22
	s_and_saveexec_b64 s[24:25], s[20:21]
; %bb.50:
	v_mov_b32_e32 v29, v21
	v_mov_b32_e32 v28, v20
	v_mov_b32_e32 v20, v22
	v_mov_b32_e32 v39, v37
	v_mov_b32_e32 v37, v38
	v_mov_b32_e32 v21, v23
; %bb.51:
	s_or_b64 exec, exec, s[24:25]
	v_and_b32_e32 v8, v52, v31
	v_and_b32_e32 v9, v54, v31
	v_mov_b32_e32 v18, v24
	v_cmp_gt_i16_e64 s[20:21], v8, v9
	v_mov_b32_e32 v53, v54
	v_mov_b32_e32 v19, v25
	s_and_saveexec_b64 s[24:25], s[20:21]
; %bb.52:
	v_mov_b32_e32 v18, v26
	v_mov_b32_e32 v19, v27
	;; [unrolled: 1-line block ×6, first 2 shown]
; %bb.53:
	s_or_b64 exec, exec, s[24:25]
	v_and_b32_e32 v8, v50, v31
	v_and_b32_e32 v9, v49, v31
	v_cmp_gt_i16_e64 s[20:21], v8, v9
	v_mov_b32_e32 v8, v14
	v_mov_b32_e32 v9, v15
	;; [unrolled: 1-line block ×3, first 2 shown]
	s_and_saveexec_b64 s[24:25], s[20:21]
; %bb.54:
	v_mov_b32_e32 v8, v16
	v_mov_b32_e32 v9, v17
	v_mov_b32_e32 v17, v15
	v_mov_b32_e32 v16, v14
	v_mov_b32_e32 v38, v50
	v_mov_b32_e32 v50, v49
; %bb.55:
	s_or_b64 exec, exec, s[24:25]
	v_and_b32_e32 v14, v37, v31
	v_and_b32_e32 v15, v35, v31
	v_mov_b32_e32 v23, v21
	v_cmp_gt_i16_e64 s[20:21], v14, v15
	v_mov_b32_e32 v48, v37
	v_mov_b32_e32 v22, v20
	s_and_saveexec_b64 s[24:25], s[20:21]
; %bb.56:
	v_mov_b32_e32 v23, v5
	v_mov_b32_e32 v22, v4
	v_mov_b32_e32 v4, v20
	v_mov_b32_e32 v48, v35
	v_mov_b32_e32 v35, v37
	v_mov_b32_e32 v5, v21
; %bb.57:
	s_or_b64 exec, exec, s[24:25]
	v_and_b32_e32 v14, v53, v31
	v_and_b32_e32 v15, v39, v31
	v_mov_b32_e32 v24, v26
	v_cmp_gt_i16_e64 s[20:21], v14, v15
	v_mov_b32_e32 v37, v53
	v_mov_b32_e32 v25, v27
	;; [unrolled: 16-line block ×3, first 2 shown]
	s_and_saveexec_b64 s[24:25], s[20:21]
; %bb.60:
	v_mov_b32_e32 v21, v19
	v_mov_b32_e32 v20, v18
	;; [unrolled: 1-line block ×6, first 2 shown]
; %bb.61:
	s_or_b64 exec, exec, s[24:25]
	v_and_b32_e32 v14, v36, v31
	v_and_b32_e32 v15, v50, v31
	v_cmp_gt_i16_e64 s[20:21], v14, v15
	v_mov_b32_e32 v15, v11
	v_mov_b32_e32 v14, v10
	;; [unrolled: 1-line block ×3, first 2 shown]
	s_and_saveexec_b64 s[24:25], s[20:21]
; %bb.62:
	v_mov_b32_e32 v15, v9
	v_mov_b32_e32 v14, v8
	;; [unrolled: 1-line block ×6, first 2 shown]
; %bb.63:
	s_or_b64 exec, exec, s[24:25]
	v_and_b32_e32 v10, v39, v31
	v_and_b32_e32 v11, v48, v31
	v_mov_b32_e32 v26, v28
	v_cmp_gt_i16_e64 s[20:21], v10, v11
	v_mov_b32_e32 v49, v39
	v_mov_b32_e32 v27, v29
	s_and_saveexec_b64 s[24:25], s[20:21]
; %bb.64:
	v_mov_b32_e32 v27, v23
	v_mov_b32_e32 v26, v22
	;; [unrolled: 1-line block ×6, first 2 shown]
; %bb.65:
	s_or_b64 exec, exec, s[24:25]
	v_and_b32_e32 v10, v53, v31
	v_and_b32_e32 v11, v37, v31
	v_cmp_gt_i16_e64 s[20:21], v10, v11
	v_mov_b32_e32 v10, v18
	v_mov_b32_e32 v28, v37
	v_mov_b32_e32 v11, v19
	s_and_saveexec_b64 s[24:25], s[20:21]
; %bb.66:
	v_mov_b32_e32 v10, v24
	v_mov_b32_e32 v11, v25
	;; [unrolled: 1-line block ×6, first 2 shown]
; %bb.67:
	s_or_b64 exec, exec, s[24:25]
	v_and_b32_e32 v16, v52, v31
	v_and_b32_e32 v17, v38, v31
	v_mov_b32_e32 v19, v9
	v_cmp_gt_i16_e64 s[20:21], v16, v17
	v_mov_b32_e32 v18, v8
	v_mov_b32_e32 v37, v38
	s_and_saveexec_b64 s[24:25], s[20:21]
; %bb.68:
	v_mov_b32_e32 v18, v20
	v_mov_b32_e32 v19, v21
	;; [unrolled: 1-line block ×6, first 2 shown]
; %bb.69:
	s_or_b64 exec, exec, s[24:25]
	v_and_b32_e32 v8, v48, v31
	v_and_b32_e32 v9, v35, v31
	v_cmp_gt_i16_e64 s[20:21], v8, v9
	v_mov_b32_e32 v8, v22
	v_mov_b32_e32 v38, v48
	;; [unrolled: 1-line block ×3, first 2 shown]
	s_and_saveexec_b64 s[24:25], s[20:21]
; %bb.70:
	v_mov_b32_e32 v9, v5
	v_mov_b32_e32 v8, v4
	;; [unrolled: 1-line block ×6, first 2 shown]
; %bb.71:
	s_or_b64 exec, exec, s[24:25]
	v_and_b32_e32 v16, v28, v31
	v_and_b32_e32 v17, v49, v31
	v_cmp_gt_i16_e64 s[20:21], v16, v17
	v_mov_b32_e32 v16, v24
	v_mov_b32_e32 v22, v28
	;; [unrolled: 1-line block ×3, first 2 shown]
	s_and_saveexec_b64 s[24:25], s[20:21]
; %bb.72:
	v_mov_b32_e32 v16, v26
	v_mov_b32_e32 v17, v27
	;; [unrolled: 1-line block ×6, first 2 shown]
; %bb.73:
	s_or_b64 exec, exec, s[24:25]
	v_and_b32_e32 v23, v37, v31
	v_and_b32_e32 v24, v53, v31
	v_mov_b32_e32 v29, v21
	v_cmp_gt_i16_e64 s[20:21], v23, v24
	v_mov_b32_e32 v28, v20
	v_mov_b32_e32 v48, v53
	s_and_saveexec_b64 s[24:25], s[20:21]
; %bb.74:
	v_mov_b32_e32 v29, v11
	v_mov_b32_e32 v28, v10
	;; [unrolled: 1-line block ×6, first 2 shown]
; %bb.75:
	s_or_b64 exec, exec, s[24:25]
	v_and_b32_e32 v20, v36, v31
	v_and_b32_e32 v21, v52, v31
	v_mov_b32_e32 v25, v15
	v_cmp_gt_i16_e64 s[20:21], v20, v21
	v_mov_b32_e32 v24, v14
	v_mov_b32_e32 v53, v52
	s_and_saveexec_b64 s[24:25], s[20:21]
; %bb.76:
	v_mov_b32_e32 v25, v19
	v_mov_b32_e32 v24, v18
	;; [unrolled: 1-line block ×6, first 2 shown]
; %bb.77:
	s_or_b64 exec, exec, s[24:25]
	v_and_b32_e32 v14, v49, v31
	v_and_b32_e32 v15, v38, v31
	v_cmp_gt_i16_e64 s[20:21], v14, v15
	v_mov_b32_e32 v14, v26
	v_mov_b32_e32 v39, v49
	;; [unrolled: 1-line block ×3, first 2 shown]
	s_and_saveexec_b64 s[24:25], s[20:21]
; %bb.78:
	v_mov_b32_e32 v15, v9
	v_mov_b32_e32 v14, v8
	;; [unrolled: 1-line block ×6, first 2 shown]
; %bb.79:
	s_or_b64 exec, exec, s[24:25]
	v_and_b32_e32 v20, v48, v31
	v_and_b32_e32 v21, v22, v31
	v_cmp_gt_i16_e64 s[20:21], v20, v21
	v_mov_b32_e32 v21, v11
	v_mov_b32_e32 v49, v22
	;; [unrolled: 1-line block ×3, first 2 shown]
	s_and_saveexec_b64 s[24:25], s[20:21]
; %bb.80:
	v_mov_b32_e32 v21, v17
	v_mov_b32_e32 v20, v16
	;; [unrolled: 1-line block ×6, first 2 shown]
; %bb.81:
	s_or_b64 exec, exec, s[24:25]
	v_and_b32_e32 v10, v53, v31
	v_and_b32_e32 v11, v37, v31
	v_mov_b32_e32 v22, v28
	v_cmp_gt_i16_e64 s[20:21], v10, v11
	v_mov_b32_e32 v50, v53
	v_mov_b32_e32 v23, v29
	s_and_saveexec_b64 s[24:25], s[20:21]
; %bb.82:
	v_mov_b32_e32 v23, v19
	v_mov_b32_e32 v22, v18
	;; [unrolled: 1-line block ×6, first 2 shown]
; %bb.83:
	s_or_b64 exec, exec, s[24:25]
.LBB925_84:
	s_or_b64 exec, exec, s[22:23]
	v_and_b32_e32 v27, 0xfffffe00, v51
	v_lshlrev_b32_e32 v26, 1, v27
	v_mad_u64_u32 v[10:11], s[20:21], v27, 6, v[26:27]
	s_movk_i32 s20, 0x800
	v_sub_u32_e64 v11, s20, v27 clamp
	v_lshl_add_u32 v28, v33, 3, v10
	v_add_u32_e32 v29, 0x1000, v28
	ds_write2_b64 v29, v[4:5], v[8:9] offset1:1
	v_add_u32_e32 v29, 0x1010, v28
	ds_write2_b64 v29, v[14:15], v[16:17] offset1:1
	v_add_u32_e32 v29, 0x1020, v28
	s_mov_b32 s20, 0x5040100
	v_lshl_add_u32 v27, v33, 1, v26
	ds_write2_b64 v29, v[20:21], v[22:23] offset1:1
	v_add_u32_e32 v29, 0x1030, v28
	v_perm_b32 v52, v36, v50, s20
	v_perm_b32 v51, v37, v48, s20
	;; [unrolled: 1-line block ×4, first 2 shown]
	ds_write2_b64 v27, v[53:54], v[51:52] offset1:1
	ds_write2_b64 v29, v[18:19], v[24:25] offset1:1
	v_or_b32_e32 v29, 8, v33
	v_min_u32_e32 v29, v11, v29
	v_add_u32_e32 v51, 8, v29
	v_and_b32_e32 v54, 0x3f0, v33
	v_min_u32_e32 v51, v11, v51
	v_and_b32_e32 v52, 8, v33
	v_min_u32_e32 v55, v11, v52
	v_sub_u32_e32 v64, v29, v54
	v_sub_u32_e32 v53, v51, v29
	v_sub_u32_e64 v53, v55, v53 clamp
	v_min_u32_e32 v64, v55, v64
	v_lshl_add_u32 v52, v54, 1, v26
	v_cmp_lt_u32_e64 s[20:21], v53, v64
	; wave barrier
	s_and_saveexec_b64 s[22:23], s[20:21]
	s_cbranch_execz .LBB925_88
; %bb.85:
	v_lshlrev_b32_e32 v65, 1, v29
	v_lshlrev_b32_e32 v66, 1, v55
	v_add3_u32 v65, v26, v65, v66
	s_mov_b64 s[24:25], 0
.LBB925_86:                             ; =>This Inner Loop Header: Depth=1
	v_add_u32_e32 v66, v64, v53
	v_lshrrev_b32_e32 v67, 1, v66
	v_and_b32_e32 v66, -2, v66
	v_not_b32_e32 v68, v67
	v_add_u32_e32 v66, v52, v66
	v_lshl_add_u32 v68, v68, 1, v65
	ds_read_u16 v66, v66
	ds_read_u16 v68, v68
	v_add_u32_e32 v69, 1, v67
	s_waitcnt lgkmcnt(1)
	v_and_b32_e32 v66, v66, v31
	s_waitcnt lgkmcnt(0)
	v_and_b32_e32 v68, v68, v31
	v_cmp_gt_i16_e64 s[20:21], v68, v66
	v_cndmask_b32_e64 v64, v64, v67, s[20:21]
	v_cndmask_b32_e64 v53, v69, v53, s[20:21]
	v_cmp_ge_u32_e64 s[20:21], v53, v64
	s_or_b64 s[24:25], s[20:21], s[24:25]
	s_andn2_b64 exec, exec, s[24:25]
	s_cbranch_execnz .LBB925_86
; %bb.87:
	s_or_b64 exec, exec, s[24:25]
.LBB925_88:
	s_or_b64 exec, exec, s[22:23]
	v_add_u32_e32 v55, v29, v55
	v_add_u32_e32 v54, v53, v54
	v_sub_u32_e32 v55, v55, v53
	v_cmp_le_u32_e64 s[20:21], v54, v29
	v_cmp_le_u32_e64 s[22:23], v55, v51
	s_or_b64 s[20:21], s[20:21], s[22:23]
	s_and_saveexec_b64 s[60:61], s[20:21]
	s_cbranch_execz .LBB925_94
; %bb.89:
	v_cmp_lt_u32_e64 s[20:21], v54, v29
                                        ; implicit-def: $vgpr24
	s_and_saveexec_b64 s[22:23], s[20:21]
; %bb.90:
	v_lshl_add_u32 v4, v53, 1, v52
	ds_read_u16 v24, v4
; %bb.91:
	s_or_b64 exec, exec, s[22:23]
	v_cmp_ge_u32_e64 s[22:23], v55, v51
	v_cmp_lt_u32_e64 s[24:25], v55, v51
                                        ; implicit-def: $vgpr25
	s_and_saveexec_b64 s[28:29], s[24:25]
; %bb.92:
	v_lshl_add_u32 v4, v55, 1, v26
	ds_read_u16 v25, v4
; %bb.93:
	s_or_b64 exec, exec, s[28:29]
	s_waitcnt lgkmcnt(0)
	v_and_b32_e32 v4, v25, v31
	v_and_b32_e32 v5, v24, v31
	v_cmp_le_i16_e64 s[24:25], v4, v5
	s_and_b64 s[20:21], s[20:21], s[24:25]
	s_or_b64 s[20:21], s[22:23], s[20:21]
	v_cndmask_b32_e64 v4, v55, v54, s[20:21]
	v_cndmask_b32_e64 v5, v51, v29, s[20:21]
	v_add_u32_e32 v8, 1, v4
	v_add_u32_e32 v5, -1, v5
	v_min_u32_e32 v5, v8, v5
	v_lshl_add_u32 v5, v5, 1, v26
	ds_read_u16 v5, v5
	v_lshl_add_u32 v4, v4, 3, v10
	s_waitcnt lgkmcnt(0)
	v_cndmask_b32_e64 v36, v5, v25, s[20:21]
	v_cndmask_b32_e64 v37, v24, v5, s[20:21]
	;; [unrolled: 1-line block ×4, first 2 shown]
	v_and_b32_e32 v9, v36, v31
	v_and_b32_e32 v14, v37, v31
	v_cmp_lt_u32_e64 s[24:25], v8, v29
	v_cmp_le_i16_e64 s[28:29], v9, v14
	v_cmp_ge_u32_e64 s[22:23], v5, v51
	s_and_b64 s[24:25], s[24:25], s[28:29]
	s_or_b64 s[22:23], s[22:23], s[24:25]
	v_cndmask_b32_e64 v9, v5, v8, s[22:23]
	v_cndmask_b32_e64 v14, v51, v29, s[22:23]
	v_add_u32_e32 v15, 1, v9
	v_add_u32_e32 v14, -1, v14
	v_min_u32_e32 v14, v15, v14
	v_lshl_add_u32 v14, v14, 1, v26
	ds_read_u16 v14, v14
	v_cndmask_b32_e64 v5, v15, v5, s[22:23]
	v_cndmask_b32_e64 v8, v8, v15, s[22:23]
	v_cmp_lt_u32_e64 s[28:29], v8, v29
	v_cmp_ge_u32_e64 s[24:25], v5, v51
	s_waitcnt lgkmcnt(0)
	v_cndmask_b32_e64 v39, v14, v36, s[22:23]
	v_cndmask_b32_e64 v48, v37, v14, s[22:23]
	v_and_b32_e32 v14, v39, v31
	v_and_b32_e32 v15, v48, v31
	v_cmp_le_i16_e64 s[40:41], v14, v15
	s_and_b64 s[28:29], s[28:29], s[40:41]
	s_or_b64 s[24:25], s[24:25], s[28:29]
	v_cndmask_b32_e64 v14, v5, v8, s[24:25]
	v_cndmask_b32_e64 v15, v51, v29, s[24:25]
	v_add_u32_e32 v16, 1, v14
	v_add_u32_e32 v15, -1, v15
	v_min_u32_e32 v15, v16, v15
	v_lshl_add_u32 v15, v15, 1, v26
	ds_read_u16 v15, v15
	v_lshl_add_u32 v14, v14, 3, v10
	s_waitcnt lgkmcnt(0)
	v_cndmask_b32_e64 v49, v15, v39, s[24:25]
	v_cndmask_b32_e64 v50, v48, v15, s[24:25]
	;; [unrolled: 1-line block ×4, first 2 shown]
	v_and_b32_e32 v5, v49, v31
	v_and_b32_e32 v8, v50, v31
	v_cmp_lt_u32_e64 s[40:41], v16, v29
	v_cmp_le_i16_e64 s[42:43], v5, v8
	v_cmp_ge_u32_e64 s[28:29], v15, v51
	s_and_b64 s[40:41], s[40:41], s[42:43]
	s_or_b64 s[28:29], s[28:29], s[40:41]
	v_cndmask_b32_e64 v17, v15, v16, s[28:29]
	v_cndmask_b32_e64 v5, v51, v29, s[28:29]
	v_add_u32_e32 v18, 1, v17
	v_add_u32_e32 v5, -1, v5
	v_min_u32_e32 v5, v18, v5
	v_lshl_add_u32 v5, v5, 1, v26
	ds_read_u16 v19, v5
	v_lshl_add_u32 v8, v9, 3, v10
	ds_read_b64 v[4:5], v4 offset:4096
	ds_read_b64 v[8:9], v8 offset:4096
	v_cndmask_b32_e64 v39, v39, v48, s[24:25]
	s_waitcnt lgkmcnt(2)
	v_cndmask_b32_e64 v52, v19, v49, s[28:29]
	v_cndmask_b32_e64 v53, v50, v19, s[28:29]
	;; [unrolled: 1-line block ×4, first 2 shown]
	v_and_b32_e32 v15, v52, v31
	v_and_b32_e32 v16, v53, v31
	v_cmp_lt_u32_e64 s[42:43], v18, v29
	v_cmp_le_i16_e64 s[44:45], v15, v16
	v_cmp_ge_u32_e64 s[40:41], v19, v51
	s_and_b64 s[42:43], s[42:43], s[44:45]
	s_or_b64 s[40:41], s[40:41], s[42:43]
	v_cndmask_b32_e64 v20, v19, v18, s[40:41]
	v_cndmask_b32_e64 v15, v51, v29, s[40:41]
	v_add_u32_e32 v21, 1, v20
	v_add_u32_e32 v15, -1, v15
	v_min_u32_e32 v15, v21, v15
	v_lshl_add_u32 v15, v15, 1, v26
	ds_read_u16 v22, v15
	v_cndmask_b32_e64 v19, v21, v19, s[40:41]
	v_cndmask_b32_e64 v18, v18, v21, s[40:41]
	v_cmp_lt_u32_e64 s[44:45], v18, v29
	v_cmp_ge_u32_e64 s[42:43], v19, v51
	s_waitcnt lgkmcnt(0)
	v_cndmask_b32_e64 v54, v22, v52, s[40:41]
	v_cndmask_b32_e64 v55, v53, v22, s[40:41]
	v_and_b32_e32 v21, v54, v31
	v_and_b32_e32 v22, v55, v31
	v_cmp_le_i16_e64 s[46:47], v21, v22
	s_and_b64 s[44:45], s[44:45], s[46:47]
	s_or_b64 s[42:43], s[42:43], s[44:45]
	v_cndmask_b32_e64 v22, v19, v18, s[42:43]
	v_cndmask_b32_e64 v21, v51, v29, s[42:43]
	v_add_u32_e32 v35, 1, v22
	v_add_u32_e32 v21, -1, v21
	v_min_u32_e32 v21, v35, v21
	v_lshl_add_u32 v21, v21, 1, v26
	ds_read_u16 v38, v21
	v_cndmask_b32_e64 v66, v35, v19, s[42:43]
	v_cndmask_b32_e64 v67, v18, v35, s[42:43]
	v_cmp_lt_u32_e64 s[46:47], v67, v29
	v_cmp_ge_u32_e64 s[44:45], v66, v51
	s_waitcnt lgkmcnt(0)
	v_cndmask_b32_e64 v64, v38, v54, s[42:43]
	v_cndmask_b32_e64 v65, v55, v38, s[42:43]
	v_and_b32_e32 v18, v64, v31
	v_and_b32_e32 v19, v65, v31
	v_cmp_le_i16_e64 s[56:57], v18, v19
	s_and_b64 s[46:47], s[46:47], s[56:57]
	s_or_b64 s[44:45], s[44:45], s[46:47]
	v_cndmask_b32_e64 v18, v66, v67, s[44:45]
	v_cndmask_b32_e64 v19, v51, v29, s[44:45]
	v_lshl_add_u32 v35, v18, 3, v10
	v_add_u32_e32 v68, 1, v18
	v_add_u32_e32 v18, -1, v19
	v_lshl_add_u32 v16, v17, 3, v10
	v_lshl_add_u32 v20, v20, 3, v10
	;; [unrolled: 1-line block ×3, first 2 shown]
	v_min_u32_e32 v18, v68, v18
	ds_read_b64 v[14:15], v14 offset:4096
	ds_read_b64 v[16:17], v16 offset:4096
	;; [unrolled: 1-line block ×4, first 2 shown]
	v_lshl_add_u32 v38, v18, 1, v26
	ds_read_b64 v[18:19], v35 offset:4096
	ds_read_u16 v69, v38
	v_cndmask_b32_e64 v35, v25, v24, s[20:21]
	v_cndmask_b32_e64 v38, v36, v37, s[22:23]
	;; [unrolled: 1-line block ×3, first 2 shown]
	v_cmp_lt_u32_e64 s[22:23], v25, v29
	s_waitcnt lgkmcnt(0)
	v_cndmask_b32_e64 v36, v69, v64, s[44:45]
	v_cndmask_b32_e64 v69, v65, v69, s[44:45]
	v_and_b32_e32 v29, v36, v31
	v_and_b32_e32 v37, v69, v31
	v_cndmask_b32_e64 v24, v68, v66, s[44:45]
	v_cmp_le_i16_e64 s[24:25], v29, v37
	v_cmp_ge_u32_e64 s[20:21], v24, v51
	s_and_b64 s[22:23], s[22:23], s[24:25]
	s_or_b64 s[20:21], s[20:21], s[22:23]
	v_cndmask_b32_e64 v24, v24, v25, s[20:21]
	v_lshl_add_u32 v24, v24, 3, v10
	ds_read_b64 v[24:25], v24 offset:4096
	v_cndmask_b32_e64 v49, v49, v50, s[28:29]
	v_cndmask_b32_e64 v48, v52, v53, s[40:41]
	;; [unrolled: 1-line block ×5, first 2 shown]
.LBB925_94:
	s_or_b64 exec, exec, s[60:61]
	v_add_u32_e32 v29, 0x1000, v28
	; wave barrier
	ds_write2_b64 v29, v[4:5], v[8:9] offset1:1
	v_add_u32_e32 v29, 0x1010, v28
	s_mov_b32 s20, 0x5040100
	ds_write2_b64 v29, v[14:15], v[16:17] offset1:1
	v_add_u32_e32 v29, 0x1020, v28
	v_perm_b32 v52, v36, v50, s20
	v_perm_b32 v51, v37, v48, s20
	v_perm_b32 v54, v49, v39, s20
	v_perm_b32 v53, v38, v35, s20
	ds_write2_b64 v29, v[20:21], v[22:23] offset1:1
	v_add_u32_e32 v29, 0x1030, v28
	ds_write2_b64 v27, v[53:54], v[51:52] offset1:1
	s_waitcnt lgkmcnt(4)
	ds_write2_b64 v29, v[18:19], v[24:25] offset1:1
	v_and_b32_e32 v54, 0x3e0, v33
	v_or_b32_e32 v29, 16, v54
	v_min_u32_e32 v29, v11, v29
	v_add_u32_e32 v51, 16, v29
	v_min_u32_e32 v51, v11, v51
	v_and_b32_e32 v52, 24, v33
	v_min_u32_e32 v55, v11, v52
	v_sub_u32_e32 v64, v29, v54
	v_sub_u32_e32 v53, v51, v29
	v_sub_u32_e64 v53, v55, v53 clamp
	v_min_u32_e32 v64, v55, v64
	v_lshl_add_u32 v52, v54, 1, v26
	v_cmp_lt_u32_e64 s[20:21], v53, v64
	; wave barrier
	s_and_saveexec_b64 s[22:23], s[20:21]
	s_cbranch_execz .LBB925_98
; %bb.95:
	v_lshlrev_b32_e32 v65, 1, v29
	v_lshlrev_b32_e32 v66, 1, v55
	v_add3_u32 v65, v26, v65, v66
	s_mov_b64 s[24:25], 0
.LBB925_96:                             ; =>This Inner Loop Header: Depth=1
	v_add_u32_e32 v66, v64, v53
	v_lshrrev_b32_e32 v67, 1, v66
	v_and_b32_e32 v66, -2, v66
	v_not_b32_e32 v68, v67
	v_add_u32_e32 v66, v52, v66
	v_lshl_add_u32 v68, v68, 1, v65
	ds_read_u16 v66, v66
	ds_read_u16 v68, v68
	v_add_u32_e32 v69, 1, v67
	s_waitcnt lgkmcnt(1)
	v_and_b32_e32 v66, v66, v31
	s_waitcnt lgkmcnt(0)
	v_and_b32_e32 v68, v68, v31
	v_cmp_gt_i16_e64 s[20:21], v68, v66
	v_cndmask_b32_e64 v64, v64, v67, s[20:21]
	v_cndmask_b32_e64 v53, v69, v53, s[20:21]
	v_cmp_ge_u32_e64 s[20:21], v53, v64
	s_or_b64 s[24:25], s[20:21], s[24:25]
	s_andn2_b64 exec, exec, s[24:25]
	s_cbranch_execnz .LBB925_96
; %bb.97:
	s_or_b64 exec, exec, s[24:25]
.LBB925_98:
	s_or_b64 exec, exec, s[22:23]
	v_add_u32_e32 v55, v29, v55
	v_add_u32_e32 v54, v53, v54
	v_sub_u32_e32 v55, v55, v53
	v_cmp_le_u32_e64 s[20:21], v54, v29
	v_cmp_le_u32_e64 s[22:23], v55, v51
	s_or_b64 s[20:21], s[20:21], s[22:23]
	s_and_saveexec_b64 s[60:61], s[20:21]
	s_cbranch_execz .LBB925_104
; %bb.99:
	v_cmp_lt_u32_e64 s[20:21], v54, v29
                                        ; implicit-def: $vgpr24
	s_and_saveexec_b64 s[22:23], s[20:21]
; %bb.100:
	v_lshl_add_u32 v4, v53, 1, v52
	ds_read_u16 v24, v4
; %bb.101:
	s_or_b64 exec, exec, s[22:23]
	v_cmp_ge_u32_e64 s[22:23], v55, v51
	v_cmp_lt_u32_e64 s[24:25], v55, v51
                                        ; implicit-def: $vgpr25
	s_and_saveexec_b64 s[28:29], s[24:25]
; %bb.102:
	v_lshl_add_u32 v4, v55, 1, v26
	ds_read_u16 v25, v4
; %bb.103:
	s_or_b64 exec, exec, s[28:29]
	s_waitcnt lgkmcnt(0)
	v_and_b32_e32 v4, v25, v31
	v_and_b32_e32 v5, v24, v31
	v_cmp_le_i16_e64 s[24:25], v4, v5
	s_and_b64 s[20:21], s[20:21], s[24:25]
	s_or_b64 s[20:21], s[22:23], s[20:21]
	v_cndmask_b32_e64 v4, v55, v54, s[20:21]
	v_cndmask_b32_e64 v5, v51, v29, s[20:21]
	v_add_u32_e32 v8, 1, v4
	v_add_u32_e32 v5, -1, v5
	v_min_u32_e32 v5, v8, v5
	v_lshl_add_u32 v5, v5, 1, v26
	ds_read_u16 v5, v5
	v_lshl_add_u32 v4, v4, 3, v10
	s_waitcnt lgkmcnt(0)
	v_cndmask_b32_e64 v36, v5, v25, s[20:21]
	v_cndmask_b32_e64 v37, v24, v5, s[20:21]
	;; [unrolled: 1-line block ×4, first 2 shown]
	v_and_b32_e32 v9, v36, v31
	v_and_b32_e32 v14, v37, v31
	v_cmp_lt_u32_e64 s[24:25], v8, v29
	v_cmp_le_i16_e64 s[28:29], v9, v14
	v_cmp_ge_u32_e64 s[22:23], v5, v51
	s_and_b64 s[24:25], s[24:25], s[28:29]
	s_or_b64 s[22:23], s[22:23], s[24:25]
	v_cndmask_b32_e64 v9, v5, v8, s[22:23]
	v_cndmask_b32_e64 v14, v51, v29, s[22:23]
	v_add_u32_e32 v15, 1, v9
	v_add_u32_e32 v14, -1, v14
	v_min_u32_e32 v14, v15, v14
	v_lshl_add_u32 v14, v14, 1, v26
	ds_read_u16 v14, v14
	v_cndmask_b32_e64 v5, v15, v5, s[22:23]
	v_cndmask_b32_e64 v8, v8, v15, s[22:23]
	v_cmp_lt_u32_e64 s[28:29], v8, v29
	v_cmp_ge_u32_e64 s[24:25], v5, v51
	s_waitcnt lgkmcnt(0)
	v_cndmask_b32_e64 v39, v14, v36, s[22:23]
	v_cndmask_b32_e64 v48, v37, v14, s[22:23]
	v_and_b32_e32 v14, v39, v31
	v_and_b32_e32 v15, v48, v31
	v_cmp_le_i16_e64 s[40:41], v14, v15
	s_and_b64 s[28:29], s[28:29], s[40:41]
	s_or_b64 s[24:25], s[24:25], s[28:29]
	v_cndmask_b32_e64 v14, v5, v8, s[24:25]
	v_cndmask_b32_e64 v15, v51, v29, s[24:25]
	v_add_u32_e32 v16, 1, v14
	v_add_u32_e32 v15, -1, v15
	v_min_u32_e32 v15, v16, v15
	v_lshl_add_u32 v15, v15, 1, v26
	ds_read_u16 v15, v15
	v_lshl_add_u32 v14, v14, 3, v10
	s_waitcnt lgkmcnt(0)
	v_cndmask_b32_e64 v49, v15, v39, s[24:25]
	v_cndmask_b32_e64 v50, v48, v15, s[24:25]
	;; [unrolled: 1-line block ×4, first 2 shown]
	v_and_b32_e32 v5, v49, v31
	v_and_b32_e32 v8, v50, v31
	v_cmp_lt_u32_e64 s[40:41], v16, v29
	v_cmp_le_i16_e64 s[42:43], v5, v8
	v_cmp_ge_u32_e64 s[28:29], v15, v51
	s_and_b64 s[40:41], s[40:41], s[42:43]
	s_or_b64 s[28:29], s[28:29], s[40:41]
	v_cndmask_b32_e64 v17, v15, v16, s[28:29]
	v_cndmask_b32_e64 v5, v51, v29, s[28:29]
	v_add_u32_e32 v18, 1, v17
	v_add_u32_e32 v5, -1, v5
	v_min_u32_e32 v5, v18, v5
	v_lshl_add_u32 v5, v5, 1, v26
	ds_read_u16 v19, v5
	v_lshl_add_u32 v8, v9, 3, v10
	ds_read_b64 v[4:5], v4 offset:4096
	ds_read_b64 v[8:9], v8 offset:4096
	v_cndmask_b32_e64 v39, v39, v48, s[24:25]
	s_waitcnt lgkmcnt(2)
	v_cndmask_b32_e64 v52, v19, v49, s[28:29]
	v_cndmask_b32_e64 v53, v50, v19, s[28:29]
	;; [unrolled: 1-line block ×4, first 2 shown]
	v_and_b32_e32 v15, v52, v31
	v_and_b32_e32 v16, v53, v31
	v_cmp_lt_u32_e64 s[42:43], v18, v29
	v_cmp_le_i16_e64 s[44:45], v15, v16
	v_cmp_ge_u32_e64 s[40:41], v19, v51
	s_and_b64 s[42:43], s[42:43], s[44:45]
	s_or_b64 s[40:41], s[40:41], s[42:43]
	v_cndmask_b32_e64 v20, v19, v18, s[40:41]
	v_cndmask_b32_e64 v15, v51, v29, s[40:41]
	v_add_u32_e32 v21, 1, v20
	v_add_u32_e32 v15, -1, v15
	v_min_u32_e32 v15, v21, v15
	v_lshl_add_u32 v15, v15, 1, v26
	ds_read_u16 v22, v15
	v_cndmask_b32_e64 v19, v21, v19, s[40:41]
	v_cndmask_b32_e64 v18, v18, v21, s[40:41]
	v_cmp_lt_u32_e64 s[44:45], v18, v29
	v_cmp_ge_u32_e64 s[42:43], v19, v51
	s_waitcnt lgkmcnt(0)
	v_cndmask_b32_e64 v54, v22, v52, s[40:41]
	v_cndmask_b32_e64 v55, v53, v22, s[40:41]
	v_and_b32_e32 v21, v54, v31
	v_and_b32_e32 v22, v55, v31
	v_cmp_le_i16_e64 s[46:47], v21, v22
	s_and_b64 s[44:45], s[44:45], s[46:47]
	s_or_b64 s[42:43], s[42:43], s[44:45]
	v_cndmask_b32_e64 v22, v19, v18, s[42:43]
	v_cndmask_b32_e64 v21, v51, v29, s[42:43]
	v_add_u32_e32 v35, 1, v22
	v_add_u32_e32 v21, -1, v21
	v_min_u32_e32 v21, v35, v21
	v_lshl_add_u32 v21, v21, 1, v26
	ds_read_u16 v38, v21
	v_cndmask_b32_e64 v66, v35, v19, s[42:43]
	v_cndmask_b32_e64 v67, v18, v35, s[42:43]
	v_cmp_lt_u32_e64 s[46:47], v67, v29
	v_cmp_ge_u32_e64 s[44:45], v66, v51
	s_waitcnt lgkmcnt(0)
	v_cndmask_b32_e64 v64, v38, v54, s[42:43]
	v_cndmask_b32_e64 v65, v55, v38, s[42:43]
	v_and_b32_e32 v18, v64, v31
	v_and_b32_e32 v19, v65, v31
	v_cmp_le_i16_e64 s[56:57], v18, v19
	s_and_b64 s[46:47], s[46:47], s[56:57]
	s_or_b64 s[44:45], s[44:45], s[46:47]
	v_cndmask_b32_e64 v18, v66, v67, s[44:45]
	v_cndmask_b32_e64 v19, v51, v29, s[44:45]
	v_lshl_add_u32 v35, v18, 3, v10
	v_add_u32_e32 v68, 1, v18
	v_add_u32_e32 v18, -1, v19
	v_lshl_add_u32 v16, v17, 3, v10
	v_lshl_add_u32 v20, v20, 3, v10
	;; [unrolled: 1-line block ×3, first 2 shown]
	v_min_u32_e32 v18, v68, v18
	ds_read_b64 v[14:15], v14 offset:4096
	ds_read_b64 v[16:17], v16 offset:4096
	;; [unrolled: 1-line block ×4, first 2 shown]
	v_lshl_add_u32 v38, v18, 1, v26
	ds_read_b64 v[18:19], v35 offset:4096
	ds_read_u16 v69, v38
	v_cndmask_b32_e64 v35, v25, v24, s[20:21]
	v_cndmask_b32_e64 v38, v36, v37, s[22:23]
	;; [unrolled: 1-line block ×3, first 2 shown]
	v_cmp_lt_u32_e64 s[22:23], v25, v29
	s_waitcnt lgkmcnt(0)
	v_cndmask_b32_e64 v36, v69, v64, s[44:45]
	v_cndmask_b32_e64 v69, v65, v69, s[44:45]
	v_and_b32_e32 v29, v36, v31
	v_and_b32_e32 v37, v69, v31
	v_cndmask_b32_e64 v24, v68, v66, s[44:45]
	v_cmp_le_i16_e64 s[24:25], v29, v37
	v_cmp_ge_u32_e64 s[20:21], v24, v51
	s_and_b64 s[22:23], s[22:23], s[24:25]
	s_or_b64 s[20:21], s[20:21], s[22:23]
	v_cndmask_b32_e64 v24, v24, v25, s[20:21]
	v_lshl_add_u32 v24, v24, 3, v10
	ds_read_b64 v[24:25], v24 offset:4096
	v_cndmask_b32_e64 v49, v49, v50, s[28:29]
	v_cndmask_b32_e64 v48, v52, v53, s[40:41]
	;; [unrolled: 1-line block ×5, first 2 shown]
.LBB925_104:
	s_or_b64 exec, exec, s[60:61]
	v_add_u32_e32 v29, 0x1000, v28
	; wave barrier
	ds_write2_b64 v29, v[4:5], v[8:9] offset1:1
	v_add_u32_e32 v29, 0x1010, v28
	s_mov_b32 s20, 0x5040100
	ds_write2_b64 v29, v[14:15], v[16:17] offset1:1
	v_add_u32_e32 v29, 0x1020, v28
	v_perm_b32 v52, v36, v50, s20
	v_perm_b32 v51, v37, v48, s20
	v_perm_b32 v54, v49, v39, s20
	v_perm_b32 v53, v38, v35, s20
	ds_write2_b64 v29, v[20:21], v[22:23] offset1:1
	v_add_u32_e32 v29, 0x1030, v28
	ds_write2_b64 v27, v[53:54], v[51:52] offset1:1
	s_waitcnt lgkmcnt(4)
	ds_write2_b64 v29, v[18:19], v[24:25] offset1:1
	v_and_b32_e32 v54, 0x3c0, v33
	v_or_b32_e32 v29, 32, v54
	v_min_u32_e32 v29, v11, v29
	v_add_u32_e32 v51, 32, v29
	v_min_u32_e32 v51, v11, v51
	v_and_b32_e32 v52, 56, v33
	v_min_u32_e32 v55, v11, v52
	v_sub_u32_e32 v64, v29, v54
	v_sub_u32_e32 v53, v51, v29
	v_sub_u32_e64 v53, v55, v53 clamp
	v_min_u32_e32 v64, v55, v64
	v_lshl_add_u32 v52, v54, 1, v26
	v_cmp_lt_u32_e64 s[20:21], v53, v64
	; wave barrier
	s_and_saveexec_b64 s[22:23], s[20:21]
	s_cbranch_execz .LBB925_108
; %bb.105:
	v_lshlrev_b32_e32 v65, 1, v29
	v_lshlrev_b32_e32 v66, 1, v55
	v_add3_u32 v65, v26, v65, v66
	s_mov_b64 s[24:25], 0
.LBB925_106:                            ; =>This Inner Loop Header: Depth=1
	v_add_u32_e32 v66, v64, v53
	v_lshrrev_b32_e32 v67, 1, v66
	v_and_b32_e32 v66, -2, v66
	v_not_b32_e32 v68, v67
	v_add_u32_e32 v66, v52, v66
	v_lshl_add_u32 v68, v68, 1, v65
	ds_read_u16 v66, v66
	ds_read_u16 v68, v68
	v_add_u32_e32 v69, 1, v67
	s_waitcnt lgkmcnt(1)
	v_and_b32_e32 v66, v66, v31
	s_waitcnt lgkmcnt(0)
	v_and_b32_e32 v68, v68, v31
	v_cmp_gt_i16_e64 s[20:21], v68, v66
	v_cndmask_b32_e64 v64, v64, v67, s[20:21]
	v_cndmask_b32_e64 v53, v69, v53, s[20:21]
	v_cmp_ge_u32_e64 s[20:21], v53, v64
	s_or_b64 s[24:25], s[20:21], s[24:25]
	s_andn2_b64 exec, exec, s[24:25]
	s_cbranch_execnz .LBB925_106
; %bb.107:
	s_or_b64 exec, exec, s[24:25]
.LBB925_108:
	s_or_b64 exec, exec, s[22:23]
	v_add_u32_e32 v55, v29, v55
	v_add_u32_e32 v54, v53, v54
	v_sub_u32_e32 v55, v55, v53
	v_cmp_le_u32_e64 s[20:21], v54, v29
	v_cmp_le_u32_e64 s[22:23], v55, v51
	s_or_b64 s[20:21], s[20:21], s[22:23]
	s_and_saveexec_b64 s[60:61], s[20:21]
	s_cbranch_execz .LBB925_114
; %bb.109:
	v_cmp_lt_u32_e64 s[20:21], v54, v29
                                        ; implicit-def: $vgpr24
	s_and_saveexec_b64 s[22:23], s[20:21]
; %bb.110:
	v_lshl_add_u32 v4, v53, 1, v52
	ds_read_u16 v24, v4
; %bb.111:
	s_or_b64 exec, exec, s[22:23]
	v_cmp_ge_u32_e64 s[22:23], v55, v51
	v_cmp_lt_u32_e64 s[24:25], v55, v51
                                        ; implicit-def: $vgpr25
	s_and_saveexec_b64 s[28:29], s[24:25]
; %bb.112:
	v_lshl_add_u32 v4, v55, 1, v26
	ds_read_u16 v25, v4
; %bb.113:
	s_or_b64 exec, exec, s[28:29]
	s_waitcnt lgkmcnt(0)
	v_and_b32_e32 v4, v25, v31
	v_and_b32_e32 v5, v24, v31
	v_cmp_le_i16_e64 s[24:25], v4, v5
	s_and_b64 s[20:21], s[20:21], s[24:25]
	s_or_b64 s[20:21], s[22:23], s[20:21]
	v_cndmask_b32_e64 v4, v55, v54, s[20:21]
	v_cndmask_b32_e64 v5, v51, v29, s[20:21]
	v_add_u32_e32 v8, 1, v4
	v_add_u32_e32 v5, -1, v5
	v_min_u32_e32 v5, v8, v5
	v_lshl_add_u32 v5, v5, 1, v26
	ds_read_u16 v5, v5
	v_lshl_add_u32 v4, v4, 3, v10
	s_waitcnt lgkmcnt(0)
	v_cndmask_b32_e64 v36, v5, v25, s[20:21]
	v_cndmask_b32_e64 v37, v24, v5, s[20:21]
	;; [unrolled: 1-line block ×4, first 2 shown]
	v_and_b32_e32 v9, v36, v31
	v_and_b32_e32 v14, v37, v31
	v_cmp_lt_u32_e64 s[24:25], v8, v29
	v_cmp_le_i16_e64 s[28:29], v9, v14
	v_cmp_ge_u32_e64 s[22:23], v5, v51
	s_and_b64 s[24:25], s[24:25], s[28:29]
	s_or_b64 s[22:23], s[22:23], s[24:25]
	v_cndmask_b32_e64 v9, v5, v8, s[22:23]
	v_cndmask_b32_e64 v14, v51, v29, s[22:23]
	v_add_u32_e32 v15, 1, v9
	v_add_u32_e32 v14, -1, v14
	v_min_u32_e32 v14, v15, v14
	v_lshl_add_u32 v14, v14, 1, v26
	ds_read_u16 v14, v14
	v_cndmask_b32_e64 v5, v15, v5, s[22:23]
	v_cndmask_b32_e64 v8, v8, v15, s[22:23]
	v_cmp_lt_u32_e64 s[28:29], v8, v29
	v_cmp_ge_u32_e64 s[24:25], v5, v51
	s_waitcnt lgkmcnt(0)
	v_cndmask_b32_e64 v39, v14, v36, s[22:23]
	v_cndmask_b32_e64 v48, v37, v14, s[22:23]
	v_and_b32_e32 v14, v39, v31
	v_and_b32_e32 v15, v48, v31
	v_cmp_le_i16_e64 s[40:41], v14, v15
	s_and_b64 s[28:29], s[28:29], s[40:41]
	s_or_b64 s[24:25], s[24:25], s[28:29]
	v_cndmask_b32_e64 v14, v5, v8, s[24:25]
	v_cndmask_b32_e64 v15, v51, v29, s[24:25]
	v_add_u32_e32 v16, 1, v14
	v_add_u32_e32 v15, -1, v15
	v_min_u32_e32 v15, v16, v15
	v_lshl_add_u32 v15, v15, 1, v26
	ds_read_u16 v15, v15
	v_lshl_add_u32 v14, v14, 3, v10
	s_waitcnt lgkmcnt(0)
	v_cndmask_b32_e64 v49, v15, v39, s[24:25]
	v_cndmask_b32_e64 v50, v48, v15, s[24:25]
	;; [unrolled: 1-line block ×4, first 2 shown]
	v_and_b32_e32 v5, v49, v31
	v_and_b32_e32 v8, v50, v31
	v_cmp_lt_u32_e64 s[40:41], v16, v29
	v_cmp_le_i16_e64 s[42:43], v5, v8
	v_cmp_ge_u32_e64 s[28:29], v15, v51
	s_and_b64 s[40:41], s[40:41], s[42:43]
	s_or_b64 s[28:29], s[28:29], s[40:41]
	v_cndmask_b32_e64 v17, v15, v16, s[28:29]
	v_cndmask_b32_e64 v5, v51, v29, s[28:29]
	v_add_u32_e32 v18, 1, v17
	v_add_u32_e32 v5, -1, v5
	v_min_u32_e32 v5, v18, v5
	v_lshl_add_u32 v5, v5, 1, v26
	ds_read_u16 v19, v5
	v_lshl_add_u32 v8, v9, 3, v10
	ds_read_b64 v[4:5], v4 offset:4096
	ds_read_b64 v[8:9], v8 offset:4096
	v_cndmask_b32_e64 v39, v39, v48, s[24:25]
	s_waitcnt lgkmcnt(2)
	v_cndmask_b32_e64 v52, v19, v49, s[28:29]
	v_cndmask_b32_e64 v53, v50, v19, s[28:29]
	;; [unrolled: 1-line block ×4, first 2 shown]
	v_and_b32_e32 v15, v52, v31
	v_and_b32_e32 v16, v53, v31
	v_cmp_lt_u32_e64 s[42:43], v18, v29
	v_cmp_le_i16_e64 s[44:45], v15, v16
	v_cmp_ge_u32_e64 s[40:41], v19, v51
	s_and_b64 s[42:43], s[42:43], s[44:45]
	s_or_b64 s[40:41], s[40:41], s[42:43]
	v_cndmask_b32_e64 v20, v19, v18, s[40:41]
	v_cndmask_b32_e64 v15, v51, v29, s[40:41]
	v_add_u32_e32 v21, 1, v20
	v_add_u32_e32 v15, -1, v15
	v_min_u32_e32 v15, v21, v15
	v_lshl_add_u32 v15, v15, 1, v26
	ds_read_u16 v22, v15
	v_cndmask_b32_e64 v19, v21, v19, s[40:41]
	v_cndmask_b32_e64 v18, v18, v21, s[40:41]
	v_cmp_lt_u32_e64 s[44:45], v18, v29
	v_cmp_ge_u32_e64 s[42:43], v19, v51
	s_waitcnt lgkmcnt(0)
	v_cndmask_b32_e64 v54, v22, v52, s[40:41]
	v_cndmask_b32_e64 v55, v53, v22, s[40:41]
	v_and_b32_e32 v21, v54, v31
	v_and_b32_e32 v22, v55, v31
	v_cmp_le_i16_e64 s[46:47], v21, v22
	s_and_b64 s[44:45], s[44:45], s[46:47]
	s_or_b64 s[42:43], s[42:43], s[44:45]
	v_cndmask_b32_e64 v22, v19, v18, s[42:43]
	v_cndmask_b32_e64 v21, v51, v29, s[42:43]
	v_add_u32_e32 v35, 1, v22
	v_add_u32_e32 v21, -1, v21
	v_min_u32_e32 v21, v35, v21
	v_lshl_add_u32 v21, v21, 1, v26
	ds_read_u16 v38, v21
	v_cndmask_b32_e64 v66, v35, v19, s[42:43]
	v_cndmask_b32_e64 v67, v18, v35, s[42:43]
	v_cmp_lt_u32_e64 s[46:47], v67, v29
	v_cmp_ge_u32_e64 s[44:45], v66, v51
	s_waitcnt lgkmcnt(0)
	v_cndmask_b32_e64 v64, v38, v54, s[42:43]
	v_cndmask_b32_e64 v65, v55, v38, s[42:43]
	v_and_b32_e32 v18, v64, v31
	v_and_b32_e32 v19, v65, v31
	v_cmp_le_i16_e64 s[56:57], v18, v19
	s_and_b64 s[46:47], s[46:47], s[56:57]
	s_or_b64 s[44:45], s[44:45], s[46:47]
	v_cndmask_b32_e64 v18, v66, v67, s[44:45]
	v_cndmask_b32_e64 v19, v51, v29, s[44:45]
	v_lshl_add_u32 v35, v18, 3, v10
	v_add_u32_e32 v68, 1, v18
	v_add_u32_e32 v18, -1, v19
	v_lshl_add_u32 v16, v17, 3, v10
	v_lshl_add_u32 v20, v20, 3, v10
	;; [unrolled: 1-line block ×3, first 2 shown]
	v_min_u32_e32 v18, v68, v18
	ds_read_b64 v[14:15], v14 offset:4096
	ds_read_b64 v[16:17], v16 offset:4096
	;; [unrolled: 1-line block ×4, first 2 shown]
	v_lshl_add_u32 v38, v18, 1, v26
	ds_read_b64 v[18:19], v35 offset:4096
	ds_read_u16 v69, v38
	v_cndmask_b32_e64 v35, v25, v24, s[20:21]
	v_cndmask_b32_e64 v38, v36, v37, s[22:23]
	;; [unrolled: 1-line block ×3, first 2 shown]
	v_cmp_lt_u32_e64 s[22:23], v25, v29
	s_waitcnt lgkmcnt(0)
	v_cndmask_b32_e64 v36, v69, v64, s[44:45]
	v_cndmask_b32_e64 v69, v65, v69, s[44:45]
	v_and_b32_e32 v29, v36, v31
	v_and_b32_e32 v37, v69, v31
	v_cndmask_b32_e64 v24, v68, v66, s[44:45]
	v_cmp_le_i16_e64 s[24:25], v29, v37
	v_cmp_ge_u32_e64 s[20:21], v24, v51
	s_and_b64 s[22:23], s[22:23], s[24:25]
	s_or_b64 s[20:21], s[20:21], s[22:23]
	v_cndmask_b32_e64 v24, v24, v25, s[20:21]
	v_lshl_add_u32 v24, v24, 3, v10
	ds_read_b64 v[24:25], v24 offset:4096
	v_cndmask_b32_e64 v49, v49, v50, s[28:29]
	v_cndmask_b32_e64 v48, v52, v53, s[40:41]
	v_cndmask_b32_e64 v37, v54, v55, s[42:43]
	v_cndmask_b32_e64 v50, v64, v65, s[44:45]
	v_cndmask_b32_e64 v36, v36, v69, s[20:21]
.LBB925_114:
	s_or_b64 exec, exec, s[60:61]
	v_add_u32_e32 v29, 0x1000, v28
	; wave barrier
	ds_write2_b64 v29, v[4:5], v[8:9] offset1:1
	v_add_u32_e32 v29, 0x1010, v28
	ds_write2_b64 v29, v[14:15], v[16:17] offset1:1
	v_add_u32_e32 v29, 0x1020, v28
	s_mov_b32 s20, 0x5040100
	ds_write2_b64 v29, v[20:21], v[22:23] offset1:1
	v_add_u32_e32 v53, 0x1030, v28
	v_perm_b32 v29, v36, v50, s20
	v_perm_b32 v28, v37, v48, s20
	;; [unrolled: 1-line block ×4, first 2 shown]
	ds_write2_b64 v27, v[51:52], v[28:29] offset1:1
	s_waitcnt lgkmcnt(4)
	ds_write2_b64 v53, v[18:19], v[24:25] offset1:1
	v_and_b32_e32 v51, 0x380, v33
	v_or_b32_e32 v27, 64, v51
	v_min_u32_e32 v27, v11, v27
	v_add_u32_e32 v28, 64, v27
	v_min_u32_e32 v28, v11, v28
	v_min_u32_e32 v11, v11, v34
	v_sub_u32_e32 v34, v27, v51
	v_sub_u32_e32 v33, v28, v27
	v_sub_u32_e64 v33, v11, v33 clamp
	v_min_u32_e32 v34, v11, v34
	v_lshl_add_u32 v29, v51, 1, v26
	v_cmp_lt_u32_e64 s[20:21], v33, v34
	; wave barrier
	s_and_saveexec_b64 s[22:23], s[20:21]
	s_cbranch_execz .LBB925_118
; %bb.115:
	v_lshlrev_b32_e32 v52, 1, v27
	v_lshlrev_b32_e32 v53, 1, v11
	v_add3_u32 v52, v26, v52, v53
	s_mov_b64 s[24:25], 0
.LBB925_116:                            ; =>This Inner Loop Header: Depth=1
	v_add_u32_e32 v53, v34, v33
	v_lshrrev_b32_e32 v54, 1, v53
	v_and_b32_e32 v53, -2, v53
	v_not_b32_e32 v55, v54
	v_add_u32_e32 v53, v29, v53
	v_lshl_add_u32 v55, v55, 1, v52
	ds_read_u16 v53, v53
	ds_read_u16 v55, v55
	v_add_u32_e32 v64, 1, v54
	s_waitcnt lgkmcnt(1)
	v_and_b32_e32 v53, v53, v31
	s_waitcnt lgkmcnt(0)
	v_and_b32_e32 v55, v55, v31
	v_cmp_gt_i16_e64 s[20:21], v55, v53
	v_cndmask_b32_e64 v34, v34, v54, s[20:21]
	v_cndmask_b32_e64 v33, v64, v33, s[20:21]
	v_cmp_ge_u32_e64 s[20:21], v33, v34
	s_or_b64 s[24:25], s[20:21], s[24:25]
	s_andn2_b64 exec, exec, s[24:25]
	s_cbranch_execnz .LBB925_116
; %bb.117:
	s_or_b64 exec, exec, s[24:25]
.LBB925_118:
	s_or_b64 exec, exec, s[22:23]
	v_add_u32_e32 v11, v27, v11
	v_add_u32_e32 v34, v33, v51
	v_sub_u32_e32 v51, v11, v33
	v_cmp_le_u32_e64 s[20:21], v34, v27
	v_cmp_le_u32_e64 s[22:23], v51, v28
	s_or_b64 s[20:21], s[20:21], s[22:23]
	s_and_saveexec_b64 s[60:61], s[20:21]
	s_cbranch_execz .LBB925_124
; %bb.119:
	v_cmp_lt_u32_e64 s[20:21], v34, v27
                                        ; implicit-def: $vgpr11
	s_and_saveexec_b64 s[22:23], s[20:21]
; %bb.120:
	v_lshl_add_u32 v4, v33, 1, v29
	ds_read_u16 v11, v4
; %bb.121:
	s_or_b64 exec, exec, s[22:23]
	v_cmp_ge_u32_e64 s[22:23], v51, v28
	v_cmp_lt_u32_e64 s[24:25], v51, v28
                                        ; implicit-def: $vgpr24
	s_and_saveexec_b64 s[28:29], s[24:25]
; %bb.122:
	v_lshl_add_u32 v4, v51, 1, v26
	ds_read_u16 v24, v4
; %bb.123:
	s_or_b64 exec, exec, s[28:29]
	s_waitcnt lgkmcnt(0)
	v_and_b32_e32 v4, v24, v31
	v_and_b32_e32 v5, v11, v31
	v_cmp_le_i16_e64 s[24:25], v4, v5
	s_and_b64 s[20:21], s[20:21], s[24:25]
	s_or_b64 s[20:21], s[22:23], s[20:21]
	v_cndmask_b32_e64 v4, v51, v34, s[20:21]
	v_cndmask_b32_e64 v5, v28, v27, s[20:21]
	v_add_u32_e32 v8, 1, v4
	v_add_u32_e32 v5, -1, v5
	v_min_u32_e32 v5, v8, v5
	v_lshl_add_u32 v5, v5, 1, v26
	ds_read_u16 v5, v5
	v_lshl_add_u32 v4, v4, 3, v10
	s_waitcnt lgkmcnt(0)
	v_cndmask_b32_e64 v25, v5, v24, s[20:21]
	v_cndmask_b32_e64 v29, v11, v5, s[20:21]
	v_cndmask_b32_e64 v5, v8, v51, s[20:21]
	v_cndmask_b32_e64 v8, v34, v8, s[20:21]
	v_and_b32_e32 v9, v25, v31
	v_and_b32_e32 v14, v29, v31
	v_cmp_lt_u32_e64 s[24:25], v8, v27
	v_cmp_le_i16_e64 s[28:29], v9, v14
	v_cmp_ge_u32_e64 s[22:23], v5, v28
	s_and_b64 s[24:25], s[24:25], s[28:29]
	s_or_b64 s[22:23], s[22:23], s[24:25]
	v_cndmask_b32_e64 v9, v5, v8, s[22:23]
	v_cndmask_b32_e64 v14, v28, v27, s[22:23]
	v_add_u32_e32 v15, 1, v9
	v_add_u32_e32 v14, -1, v14
	v_min_u32_e32 v14, v15, v14
	v_lshl_add_u32 v14, v14, 1, v26
	ds_read_u16 v14, v14
	v_cndmask_b32_e64 v5, v15, v5, s[22:23]
	v_cndmask_b32_e64 v8, v8, v15, s[22:23]
	v_cmp_lt_u32_e64 s[28:29], v8, v27
	v_cmp_ge_u32_e64 s[24:25], v5, v28
	s_waitcnt lgkmcnt(0)
	v_cndmask_b32_e64 v33, v14, v25, s[22:23]
	v_cndmask_b32_e64 v34, v29, v14, s[22:23]
	v_and_b32_e32 v14, v33, v31
	v_and_b32_e32 v15, v34, v31
	v_cmp_le_i16_e64 s[40:41], v14, v15
	s_and_b64 s[28:29], s[28:29], s[40:41]
	s_or_b64 s[24:25], s[24:25], s[28:29]
	v_cndmask_b32_e64 v14, v5, v8, s[24:25]
	v_cndmask_b32_e64 v15, v28, v27, s[24:25]
	v_add_u32_e32 v16, 1, v14
	v_add_u32_e32 v15, -1, v15
	v_min_u32_e32 v15, v16, v15
	v_lshl_add_u32 v15, v15, 1, v26
	ds_read_u16 v15, v15
	v_lshl_add_u32 v14, v14, 3, v10
	v_cndmask_b32_e64 v39, v33, v34, s[24:25]
	s_waitcnt lgkmcnt(0)
	v_cndmask_b32_e64 v36, v15, v33, s[24:25]
	v_cndmask_b32_e64 v37, v34, v15, s[24:25]
	;; [unrolled: 1-line block ×4, first 2 shown]
	v_and_b32_e32 v5, v36, v31
	v_and_b32_e32 v8, v37, v31
	v_cmp_lt_u32_e64 s[40:41], v16, v27
	v_cmp_le_i16_e64 s[42:43], v5, v8
	v_cmp_ge_u32_e64 s[28:29], v15, v28
	s_and_b64 s[40:41], s[40:41], s[42:43]
	s_or_b64 s[28:29], s[28:29], s[40:41]
	v_cndmask_b32_e64 v17, v15, v16, s[28:29]
	v_cndmask_b32_e64 v5, v28, v27, s[28:29]
	v_add_u32_e32 v18, 1, v17
	v_add_u32_e32 v5, -1, v5
	v_min_u32_e32 v5, v18, v5
	v_lshl_add_u32 v5, v5, 1, v26
	ds_read_u16 v19, v5
	v_lshl_add_u32 v8, v9, 3, v10
	ds_read_b64 v[4:5], v4 offset:4096
	ds_read_b64 v[8:9], v8 offset:4096
	v_cndmask_b32_e64 v49, v36, v37, s[28:29]
	s_waitcnt lgkmcnt(2)
	v_cndmask_b32_e64 v48, v19, v36, s[28:29]
	v_cndmask_b32_e64 v50, v37, v19, s[28:29]
	;; [unrolled: 1-line block ×4, first 2 shown]
	v_and_b32_e32 v15, v48, v31
	v_and_b32_e32 v16, v50, v31
	v_cmp_lt_u32_e64 s[42:43], v18, v27
	v_cmp_le_i16_e64 s[44:45], v15, v16
	v_cmp_ge_u32_e64 s[40:41], v19, v28
	s_and_b64 s[42:43], s[42:43], s[44:45]
	s_or_b64 s[40:41], s[40:41], s[42:43]
	v_cndmask_b32_e64 v20, v19, v18, s[40:41]
	v_cndmask_b32_e64 v15, v28, v27, s[40:41]
	v_add_u32_e32 v21, 1, v20
	v_add_u32_e32 v15, -1, v15
	v_min_u32_e32 v15, v21, v15
	v_lshl_add_u32 v15, v15, 1, v26
	ds_read_u16 v22, v15
	v_cndmask_b32_e64 v19, v21, v19, s[40:41]
	v_cndmask_b32_e64 v18, v18, v21, s[40:41]
	v_cmp_lt_u32_e64 s[44:45], v18, v27
	v_cmp_ge_u32_e64 s[42:43], v19, v28
	s_waitcnt lgkmcnt(0)
	v_cndmask_b32_e64 v51, v22, v48, s[40:41]
	v_cndmask_b32_e64 v52, v50, v22, s[40:41]
	v_and_b32_e32 v21, v51, v31
	v_and_b32_e32 v22, v52, v31
	v_cmp_le_i16_e64 s[46:47], v21, v22
	s_and_b64 s[44:45], s[44:45], s[46:47]
	s_or_b64 s[42:43], s[42:43], s[44:45]
	v_cndmask_b32_e64 v22, v19, v18, s[42:43]
	v_cndmask_b32_e64 v21, v28, v27, s[42:43]
	v_add_u32_e32 v35, 1, v22
	v_add_u32_e32 v21, -1, v21
	v_min_u32_e32 v21, v35, v21
	v_lshl_add_u32 v21, v21, 1, v26
	ds_read_u16 v38, v21
	v_cndmask_b32_e64 v55, v35, v19, s[42:43]
	v_cndmask_b32_e64 v64, v18, v35, s[42:43]
	v_cmp_lt_u32_e64 s[46:47], v64, v27
	v_cmp_ge_u32_e64 s[44:45], v55, v28
	s_waitcnt lgkmcnt(0)
	v_cndmask_b32_e64 v53, v38, v51, s[42:43]
	v_cndmask_b32_e64 v54, v52, v38, s[42:43]
	v_and_b32_e32 v18, v53, v31
	v_and_b32_e32 v19, v54, v31
	v_cmp_le_i16_e64 s[56:57], v18, v19
	s_and_b64 s[46:47], s[46:47], s[56:57]
	s_or_b64 s[44:45], s[44:45], s[46:47]
	v_cndmask_b32_e64 v18, v55, v64, s[44:45]
	v_cndmask_b32_e64 v19, v28, v27, s[44:45]
	v_lshl_add_u32 v35, v18, 3, v10
	v_add_u32_e32 v65, 1, v18
	v_add_u32_e32 v18, -1, v19
	v_min_u32_e32 v18, v65, v18
	v_lshl_add_u32 v16, v17, 3, v10
	v_lshl_add_u32 v20, v20, 3, v10
	;; [unrolled: 1-line block ×4, first 2 shown]
	ds_read_b64 v[14:15], v14 offset:4096
	ds_read_b64 v[16:17], v16 offset:4096
	;; [unrolled: 1-line block ×5, first 2 shown]
	ds_read_u16 v26, v26
	v_cndmask_b32_e64 v35, v24, v11, s[20:21]
	v_cndmask_b32_e64 v38, v25, v29, s[22:23]
	;; [unrolled: 1-line block ×4, first 2 shown]
	s_waitcnt lgkmcnt(0)
	v_cndmask_b32_e64 v11, v26, v53, s[44:45]
	v_cndmask_b32_e64 v26, v54, v26, s[44:45]
	v_cmp_ge_u32_e64 s[20:21], v24, v28
	v_cmp_lt_u32_e64 s[22:23], v25, v27
	v_and_b32_e32 v27, v11, v31
	v_and_b32_e32 v28, v26, v31
	v_cmp_le_i16_e64 s[24:25], v27, v28
	s_and_b64 s[22:23], s[22:23], s[24:25]
	s_or_b64 s[20:21], s[20:21], s[22:23]
	v_cndmask_b32_e64 v24, v24, v25, s[20:21]
	v_lshl_add_u32 v10, v24, 3, v10
	ds_read_b64 v[24:25], v10 offset:4096
	v_cndmask_b32_e64 v48, v48, v50, s[40:41]
	v_cndmask_b32_e64 v37, v51, v52, s[42:43]
	;; [unrolled: 1-line block ×4, first 2 shown]
.LBB925_124:
	s_or_b64 exec, exec, s[60:61]
	; wave barrier
	s_waitcnt lgkmcnt(0)
	s_barrier
                                        ; implicit-def: $vgpr33
                                        ; implicit-def: $vgpr34
                                        ; implicit-def: $vgpr31
                                        ; implicit-def: $vgpr26
                                        ; implicit-def: $vgpr27
.LBB925_125:
	s_andn2_saveexec_b64 s[46:47], s[58:59]
	s_cbranch_execz .LBB925_225
; %bb.126:
	s_load_dwordx2 s[20:21], s[8:9], 0x0
	v_mov_b32_e32 v10, 0
	s_waitcnt lgkmcnt(0)
	s_cmp_lt_u32 s13, s21
	s_cselect_b32 s13, 14, 20
	s_add_u32 s22, s8, s13
	s_addc_u32 s23, s9, 0
	s_cmp_lt_u32 s12, s20
	s_cselect_b32 s12, 12, 18
	s_add_u32 s8, s8, s12
	s_addc_u32 s9, s9, 0
	global_load_ushort v11, v10, s[22:23]
	global_load_ushort v28, v10, s[8:9]
	s_movk_i32 s8, 0x800
	s_waitcnt vmcnt(0)
	v_mad_u32_u24 v10, v27, v11, v26
	v_mul_lo_u32 v10, v10, v28
	v_and_b32_e32 v11, 0x3ff, v31
	v_add_lshl_u32 v31, v10, v11, 3
	v_cmp_gt_u32_e64 s[8:9], s8, v31
	s_and_saveexec_b64 s[12:13], s[8:9]
	s_cbranch_execz .LBB925_184
; %bb.127:
	v_mov_b32_e32 v27, v9
	v_cmp_gt_i16_e64 s[8:9], v38, v35
	v_mov_b32_e32 v51, v38
	v_mov_b32_e32 v26, v8
	s_and_saveexec_b64 s[20:21], s[8:9]
; %bb.128:
	v_mov_b32_e32 v27, v5
	v_mov_b32_e32 v26, v4
	v_mov_b32_e32 v4, v8
	v_mov_b32_e32 v51, v35
	v_mov_b32_e32 v35, v38
	v_mov_b32_e32 v5, v9
; %bb.129:
	s_or_b64 exec, exec, s[20:21]
	v_mov_b32_e32 v29, v17
	v_cmp_gt_i16_e64 s[8:9], v49, v39
	v_mov_b32_e32 v53, v49
	v_mov_b32_e32 v28, v16
	s_and_saveexec_b64 s[20:21], s[8:9]
; %bb.130:
	v_mov_b32_e32 v29, v15
	v_mov_b32_e32 v28, v14
	v_mov_b32_e32 v14, v16
	v_mov_b32_e32 v53, v39
	v_mov_b32_e32 v39, v49
	v_mov_b32_e32 v15, v17
; %bb.131:
	s_or_b64 exec, exec, s[20:21]
	;; [unrolled: 14-line block ×4, first 2 shown]
	v_mov_b32_e32 v23, v15
	v_cmp_gt_i16_e64 s[8:9], v39, v51
	v_mov_b32_e32 v38, v39
	v_mov_b32_e32 v22, v14
	s_and_saveexec_b64 s[20:21], s[8:9]
	s_xor_b64 s[8:9], exec, s[20:21]
; %bb.136:
	v_mov_b32_e32 v22, v26
	v_mov_b32_e32 v23, v27
	v_mov_b32_e32 v27, v15
	v_mov_b32_e32 v38, v51
	v_mov_b32_e32 v51, v39
	v_mov_b32_e32 v26, v14
; %bb.137:
	s_or_b64 exec, exec, s[8:9]
	v_mov_b32_e32 v25, v21
	v_cmp_gt_i16_e64 s[8:9], v52, v53
	v_mov_b32_e32 v16, v53
	v_mov_b32_e32 v24, v20
	s_and_saveexec_b64 s[20:21], s[8:9]
; %bb.138:
	v_mov_b32_e32 v24, v28
	v_mov_b32_e32 v25, v29
	v_mov_b32_e32 v29, v21
	v_mov_b32_e32 v16, v52
	v_mov_b32_e32 v28, v20
	v_mov_b32_e32 v52, v53
; %bb.139:
	s_or_b64 exec, exec, s[20:21]
	v_mov_b32_e32 v14, v18
	v_cmp_gt_i16_e64 s[8:9], v48, v37
	v_mov_b32_e32 v15, v19
	v_mov_b32_e32 v49, v37
	s_and_saveexec_b64 s[20:21], s[8:9]
	;; [unrolled: 14-line block ×23, first 2 shown]
; %bb.182:
	v_mov_b32_e32 v23, v19
	v_mov_b32_e32 v22, v18
	;; [unrolled: 1-line block ×6, first 2 shown]
; %bb.183:
	s_or_b64 exec, exec, s[20:21]
.LBB925_184:
	s_or_b64 exec, exec, s[12:13]
	v_and_b32_e32 v27, 0xfffffe00, v31
	v_lshlrev_b32_e32 v26, 1, v27
	v_mad_u64_u32 v[10:11], s[8:9], v27, 6, v[26:27]
	s_movk_i32 s8, 0x800
	v_sub_u32_e64 v11, s8, v27 clamp
	v_lshl_add_u32 v28, v33, 3, v10
	v_add_u32_e32 v29, 0x1000, v28
	ds_write2_b64 v29, v[4:5], v[8:9] offset1:1
	v_add_u32_e32 v29, 0x1010, v28
	ds_write2_b64 v29, v[14:15], v[16:17] offset1:1
	v_add_u32_e32 v29, 0x1020, v28
	s_mov_b32 s8, 0x5040100
	v_lshl_add_u32 v27, v33, 1, v26
	ds_write2_b64 v29, v[20:21], v[22:23] offset1:1
	v_add_u32_e32 v29, 0x1030, v28
	v_perm_b32 v52, v36, v50, s8
	v_perm_b32 v51, v37, v48, s8
	;; [unrolled: 1-line block ×4, first 2 shown]
	ds_write2_b64 v27, v[53:54], v[51:52] offset1:1
	ds_write2_b64 v29, v[18:19], v[24:25] offset1:1
	v_or_b32_e32 v29, 8, v33
	v_min_u32_e32 v29, v11, v29
	v_add_u32_e32 v31, 8, v29
	v_and_b32_e32 v53, 0x3f0, v33
	v_min_u32_e32 v31, v11, v31
	v_and_b32_e32 v51, 8, v33
	v_min_u32_e32 v54, v11, v51
	v_sub_u32_e32 v51, v31, v29
	v_sub_u32_e32 v52, v29, v53
	v_sub_u32_e64 v51, v54, v51 clamp
	v_min_u32_e32 v55, v54, v52
	v_cmp_lt_u32_e64 s[8:9], v51, v55
	v_lshl_add_u32 v52, v53, 1, v26
	; wave barrier
	s_and_saveexec_b64 s[12:13], s[8:9]
	s_cbranch_execz .LBB925_188
; %bb.185:
	v_lshlrev_b32_e32 v64, 1, v29
	v_lshlrev_b32_e32 v65, 1, v54
	v_add3_u32 v64, v26, v64, v65
	s_mov_b64 s[20:21], 0
.LBB925_186:                            ; =>This Inner Loop Header: Depth=1
	v_add_u32_e32 v65, v55, v51
	v_lshrrev_b32_e32 v66, 1, v65
	v_and_b32_e32 v65, -2, v65
	v_not_b32_e32 v67, v66
	v_add_u32_e32 v65, v52, v65
	v_lshl_add_u32 v67, v67, 1, v64
	ds_read_u16 v65, v65
	ds_read_u16 v67, v67
	v_add_u32_e32 v68, 1, v66
	s_waitcnt lgkmcnt(0)
	v_cmp_gt_i16_e64 s[8:9], v67, v65
	v_cndmask_b32_e64 v55, v55, v66, s[8:9]
	v_cndmask_b32_e64 v51, v68, v51, s[8:9]
	v_cmp_ge_u32_e64 s[8:9], v51, v55
	s_or_b64 s[20:21], s[8:9], s[20:21]
	s_andn2_b64 exec, exec, s[20:21]
	s_cbranch_execnz .LBB925_186
; %bb.187:
	s_or_b64 exec, exec, s[20:21]
.LBB925_188:
	s_or_b64 exec, exec, s[12:13]
	v_add_u32_e32 v54, v29, v54
	v_add_u32_e32 v53, v51, v53
	v_sub_u32_e32 v54, v54, v51
	v_cmp_le_u32_e64 s[8:9], v53, v29
	v_cmp_le_u32_e64 s[12:13], v54, v31
	s_or_b64 s[8:9], s[8:9], s[12:13]
	s_and_saveexec_b64 s[56:57], s[8:9]
	s_cbranch_execz .LBB925_194
; %bb.189:
	v_cmp_lt_u32_e64 s[8:9], v53, v29
                                        ; implicit-def: $vgpr24
	s_and_saveexec_b64 s[12:13], s[8:9]
; %bb.190:
	v_lshl_add_u32 v4, v51, 1, v52
	ds_read_u16 v24, v4
; %bb.191:
	s_or_b64 exec, exec, s[12:13]
	v_cmp_ge_u32_e64 s[20:21], v54, v31
	v_cmp_lt_u32_e64 s[12:13], v54, v31
                                        ; implicit-def: $vgpr25
	s_and_saveexec_b64 s[22:23], s[12:13]
; %bb.192:
	v_lshl_add_u32 v4, v54, 1, v26
	ds_read_u16 v25, v4
; %bb.193:
	s_or_b64 exec, exec, s[22:23]
	s_waitcnt lgkmcnt(0)
	v_cmp_le_i16_e64 s[12:13], v25, v24
	s_and_b64 s[8:9], s[8:9], s[12:13]
	s_or_b64 s[8:9], s[20:21], s[8:9]
	v_cndmask_b32_e64 v4, v54, v53, s[8:9]
	v_cndmask_b32_e64 v5, v31, v29, s[8:9]
	v_add_u32_e32 v8, 1, v4
	v_add_u32_e32 v5, -1, v5
	v_min_u32_e32 v5, v8, v5
	v_lshl_add_u32 v5, v5, 1, v26
	ds_read_u16 v5, v5
	v_cndmask_b32_e64 v9, v8, v54, s[8:9]
	v_cmp_ge_u32_e64 s[12:13], v9, v31
	v_lshl_add_u32 v4, v4, 3, v10
	s_waitcnt lgkmcnt(0)
	v_cndmask_b32_e64 v36, v5, v25, s[8:9]
	v_cndmask_b32_e64 v37, v24, v5, s[8:9]
	;; [unrolled: 1-line block ×3, first 2 shown]
	v_cmp_lt_u32_e64 s[20:21], v5, v29
	v_cmp_le_i16_e64 s[22:23], v36, v37
	s_and_b64 s[20:21], s[20:21], s[22:23]
	s_or_b64 s[20:21], s[12:13], s[20:21]
	v_cndmask_b32_e64 v8, v9, v5, s[20:21]
	v_cndmask_b32_e64 v14, v31, v29, s[20:21]
	v_add_u32_e32 v15, 1, v8
	v_add_u32_e32 v14, -1, v14
	v_min_u32_e32 v14, v15, v14
	v_lshl_add_u32 v14, v14, 1, v26
	ds_read_u16 v14, v14
	v_cndmask_b32_e64 v5, v5, v15, s[20:21]
	v_cndmask_b32_e64 v9, v15, v9, s[20:21]
	v_cmp_lt_u32_e64 s[22:23], v5, v29
	v_cmp_ge_u32_e64 s[12:13], v9, v31
	s_waitcnt lgkmcnt(0)
	v_cndmask_b32_e64 v39, v14, v36, s[20:21]
	v_cndmask_b32_e64 v48, v37, v14, s[20:21]
	v_cmp_le_i16_e64 s[24:25], v39, v48
	s_and_b64 s[22:23], s[22:23], s[24:25]
	s_or_b64 s[22:23], s[12:13], s[22:23]
	v_cndmask_b32_e64 v14, v9, v5, s[22:23]
	v_cndmask_b32_e64 v15, v31, v29, s[22:23]
	v_add_u32_e32 v16, 1, v14
	v_add_u32_e32 v15, -1, v15
	v_min_u32_e32 v15, v16, v15
	v_lshl_add_u32 v15, v15, 1, v26
	ds_read_u16 v15, v15
	v_lshl_add_u32 v8, v8, 3, v10
	v_lshl_add_u32 v14, v14, 3, v10
	s_waitcnt lgkmcnt(0)
	v_cndmask_b32_e64 v49, v15, v39, s[22:23]
	v_cndmask_b32_e64 v50, v48, v15, s[22:23]
	v_cndmask_b32_e64 v15, v16, v9, s[22:23]
	v_cndmask_b32_e64 v16, v5, v16, s[22:23]
	v_cmp_lt_u32_e64 s[24:25], v16, v29
	v_cmp_le_i16_e64 s[28:29], v49, v50
	v_cmp_ge_u32_e64 s[12:13], v15, v31
	s_and_b64 s[24:25], s[24:25], s[28:29]
	s_or_b64 s[12:13], s[12:13], s[24:25]
	v_cndmask_b32_e64 v17, v15, v16, s[12:13]
	v_cndmask_b32_e64 v5, v31, v29, s[12:13]
	v_add_u32_e32 v18, 1, v17
	v_add_u32_e32 v5, -1, v5
	v_min_u32_e32 v5, v18, v5
	v_lshl_add_u32 v5, v5, 1, v26
	ds_read_u16 v19, v5
	ds_read_b64 v[4:5], v4 offset:4096
	ds_read_b64 v[8:9], v8 offset:4096
	v_cndmask_b32_e64 v39, v39, v48, s[22:23]
	s_waitcnt lgkmcnt(2)
	v_cndmask_b32_e64 v51, v19, v49, s[12:13]
	v_cndmask_b32_e64 v52, v50, v19, s[12:13]
	;; [unrolled: 1-line block ×4, first 2 shown]
	v_cmp_lt_u32_e64 s[28:29], v18, v29
	v_cmp_le_i16_e64 s[40:41], v51, v52
	v_cmp_ge_u32_e64 s[24:25], v19, v31
	s_and_b64 s[28:29], s[28:29], s[40:41]
	s_or_b64 s[24:25], s[24:25], s[28:29]
	v_cndmask_b32_e64 v20, v19, v18, s[24:25]
	v_cndmask_b32_e64 v15, v31, v29, s[24:25]
	v_add_u32_e32 v21, 1, v20
	v_add_u32_e32 v15, -1, v15
	v_min_u32_e32 v15, v21, v15
	v_lshl_add_u32 v15, v15, 1, v26
	ds_read_u16 v22, v15
	v_cndmask_b32_e64 v18, v18, v21, s[24:25]
	v_cndmask_b32_e64 v19, v21, v19, s[24:25]
	v_cmp_lt_u32_e64 s[40:41], v18, v29
	v_cmp_ge_u32_e64 s[28:29], v19, v31
	s_waitcnt lgkmcnt(0)
	v_cndmask_b32_e64 v53, v22, v51, s[24:25]
	v_cndmask_b32_e64 v54, v52, v22, s[24:25]
	v_cmp_le_i16_e64 s[42:43], v53, v54
	s_and_b64 s[40:41], s[40:41], s[42:43]
	s_or_b64 s[28:29], s[28:29], s[40:41]
	v_cndmask_b32_e64 v22, v19, v18, s[28:29]
	v_cndmask_b32_e64 v21, v31, v29, s[28:29]
	v_add_u32_e32 v35, 1, v22
	v_add_u32_e32 v21, -1, v21
	v_min_u32_e32 v21, v35, v21
	v_lshl_add_u32 v21, v21, 1, v26
	ds_read_u16 v38, v21
	v_cndmask_b32_e64 v66, v18, v35, s[28:29]
	v_cndmask_b32_e64 v65, v35, v19, s[28:29]
	v_cmp_lt_u32_e64 s[42:43], v66, v29
	v_cmp_ge_u32_e64 s[40:41], v65, v31
	s_waitcnt lgkmcnt(0)
	v_cndmask_b32_e64 v55, v38, v53, s[28:29]
	v_cndmask_b32_e64 v64, v54, v38, s[28:29]
	v_cmp_le_i16_e64 s[44:45], v55, v64
	s_and_b64 s[42:43], s[42:43], s[44:45]
	s_or_b64 s[40:41], s[40:41], s[42:43]
	v_cndmask_b32_e64 v18, v65, v66, s[40:41]
	v_cndmask_b32_e64 v19, v31, v29, s[40:41]
	v_lshl_add_u32 v35, v18, 3, v10
	v_add_u32_e32 v67, 1, v18
	v_add_u32_e32 v18, -1, v19
	v_lshl_add_u32 v16, v17, 3, v10
	v_lshl_add_u32 v20, v20, 3, v10
	;; [unrolled: 1-line block ×3, first 2 shown]
	v_min_u32_e32 v18, v67, v18
	ds_read_b64 v[14:15], v14 offset:4096
	ds_read_b64 v[16:17], v16 offset:4096
	;; [unrolled: 1-line block ×4, first 2 shown]
	v_lshl_add_u32 v38, v18, 1, v26
	ds_read_b64 v[18:19], v35 offset:4096
	ds_read_u16 v68, v38
	v_cndmask_b32_e64 v35, v25, v24, s[8:9]
	v_cndmask_b32_e64 v38, v36, v37, s[20:21]
	;; [unrolled: 1-line block ×4, first 2 shown]
	s_waitcnt lgkmcnt(0)
	v_cndmask_b32_e64 v36, v68, v55, s[40:41]
	v_cndmask_b32_e64 v68, v64, v68, s[40:41]
	;; [unrolled: 1-line block ×3, first 2 shown]
	v_cmp_lt_u32_e64 s[12:13], v25, v29
	v_cmp_le_i16_e64 s[20:21], v36, v68
	v_cmp_ge_u32_e64 s[8:9], v24, v31
	s_and_b64 s[12:13], s[12:13], s[20:21]
	s_or_b64 s[8:9], s[8:9], s[12:13]
	v_cndmask_b32_e64 v24, v24, v25, s[8:9]
	v_lshl_add_u32 v24, v24, 3, v10
	ds_read_b64 v[24:25], v24 offset:4096
	v_cndmask_b32_e64 v48, v51, v52, s[24:25]
	v_cndmask_b32_e64 v37, v53, v54, s[28:29]
	;; [unrolled: 1-line block ×4, first 2 shown]
.LBB925_194:
	s_or_b64 exec, exec, s[56:57]
	v_add_u32_e32 v29, 0x1000, v28
	; wave barrier
	ds_write2_b64 v29, v[4:5], v[8:9] offset1:1
	v_add_u32_e32 v29, 0x1010, v28
	s_mov_b32 s8, 0x5040100
	ds_write2_b64 v29, v[14:15], v[16:17] offset1:1
	v_add_u32_e32 v29, 0x1020, v28
	v_perm_b32 v52, v36, v50, s8
	v_perm_b32 v51, v37, v48, s8
	;; [unrolled: 1-line block ×4, first 2 shown]
	ds_write2_b64 v29, v[20:21], v[22:23] offset1:1
	v_add_u32_e32 v29, 0x1030, v28
	ds_write2_b64 v27, v[53:54], v[51:52] offset1:1
	s_waitcnt lgkmcnt(4)
	ds_write2_b64 v29, v[18:19], v[24:25] offset1:1
	v_and_b32_e32 v53, 0x3e0, v33
	v_or_b32_e32 v29, 16, v53
	v_min_u32_e32 v29, v11, v29
	v_add_u32_e32 v31, 16, v29
	v_min_u32_e32 v31, v11, v31
	v_and_b32_e32 v51, 24, v33
	v_min_u32_e32 v54, v11, v51
	v_sub_u32_e32 v55, v29, v53
	v_sub_u32_e32 v52, v31, v29
	v_sub_u32_e64 v52, v54, v52 clamp
	v_min_u32_e32 v55, v54, v55
	v_lshl_add_u32 v51, v53, 1, v26
	v_cmp_lt_u32_e64 s[8:9], v52, v55
	; wave barrier
	s_and_saveexec_b64 s[12:13], s[8:9]
	s_cbranch_execz .LBB925_198
; %bb.195:
	v_lshlrev_b32_e32 v64, 1, v29
	v_lshlrev_b32_e32 v65, 1, v54
	v_add3_u32 v64, v26, v64, v65
	s_mov_b64 s[20:21], 0
.LBB925_196:                            ; =>This Inner Loop Header: Depth=1
	v_add_u32_e32 v65, v55, v52
	v_lshrrev_b32_e32 v66, 1, v65
	v_and_b32_e32 v65, -2, v65
	v_not_b32_e32 v67, v66
	v_add_u32_e32 v65, v51, v65
	v_lshl_add_u32 v67, v67, 1, v64
	ds_read_u16 v65, v65
	ds_read_u16 v67, v67
	v_add_u32_e32 v68, 1, v66
	s_waitcnt lgkmcnt(0)
	v_cmp_gt_i16_e64 s[8:9], v67, v65
	v_cndmask_b32_e64 v55, v55, v66, s[8:9]
	v_cndmask_b32_e64 v52, v68, v52, s[8:9]
	v_cmp_ge_u32_e64 s[8:9], v52, v55
	s_or_b64 s[20:21], s[8:9], s[20:21]
	s_andn2_b64 exec, exec, s[20:21]
	s_cbranch_execnz .LBB925_196
; %bb.197:
	s_or_b64 exec, exec, s[20:21]
.LBB925_198:
	s_or_b64 exec, exec, s[12:13]
	v_add_u32_e32 v54, v29, v54
	v_add_u32_e32 v53, v52, v53
	v_sub_u32_e32 v54, v54, v52
	v_cmp_le_u32_e64 s[8:9], v53, v29
	v_cmp_le_u32_e64 s[12:13], v54, v31
	s_or_b64 s[8:9], s[8:9], s[12:13]
	s_and_saveexec_b64 s[56:57], s[8:9]
	s_cbranch_execz .LBB925_204
; %bb.199:
	v_cmp_lt_u32_e64 s[8:9], v53, v29
                                        ; implicit-def: $vgpr24
	s_and_saveexec_b64 s[12:13], s[8:9]
; %bb.200:
	v_lshl_add_u32 v4, v52, 1, v51
	ds_read_u16 v24, v4
; %bb.201:
	s_or_b64 exec, exec, s[12:13]
	v_cmp_ge_u32_e64 s[20:21], v54, v31
	v_cmp_lt_u32_e64 s[12:13], v54, v31
                                        ; implicit-def: $vgpr25
	s_and_saveexec_b64 s[22:23], s[12:13]
; %bb.202:
	v_lshl_add_u32 v4, v54, 1, v26
	ds_read_u16 v25, v4
; %bb.203:
	s_or_b64 exec, exec, s[22:23]
	s_waitcnt lgkmcnt(0)
	v_cmp_le_i16_e64 s[12:13], v25, v24
	s_and_b64 s[8:9], s[8:9], s[12:13]
	s_or_b64 s[8:9], s[20:21], s[8:9]
	v_cndmask_b32_e64 v4, v54, v53, s[8:9]
	v_cndmask_b32_e64 v5, v31, v29, s[8:9]
	v_add_u32_e32 v8, 1, v4
	v_add_u32_e32 v5, -1, v5
	v_min_u32_e32 v5, v8, v5
	v_lshl_add_u32 v5, v5, 1, v26
	ds_read_u16 v5, v5
	v_cndmask_b32_e64 v9, v8, v54, s[8:9]
	v_cmp_ge_u32_e64 s[12:13], v9, v31
	v_lshl_add_u32 v4, v4, 3, v10
	s_waitcnt lgkmcnt(0)
	v_cndmask_b32_e64 v36, v5, v25, s[8:9]
	v_cndmask_b32_e64 v37, v24, v5, s[8:9]
	;; [unrolled: 1-line block ×3, first 2 shown]
	v_cmp_lt_u32_e64 s[20:21], v5, v29
	v_cmp_le_i16_e64 s[22:23], v36, v37
	s_and_b64 s[20:21], s[20:21], s[22:23]
	s_or_b64 s[20:21], s[12:13], s[20:21]
	v_cndmask_b32_e64 v8, v9, v5, s[20:21]
	v_cndmask_b32_e64 v14, v31, v29, s[20:21]
	v_add_u32_e32 v15, 1, v8
	v_add_u32_e32 v14, -1, v14
	v_min_u32_e32 v14, v15, v14
	v_lshl_add_u32 v14, v14, 1, v26
	ds_read_u16 v14, v14
	v_cndmask_b32_e64 v5, v5, v15, s[20:21]
	v_cndmask_b32_e64 v9, v15, v9, s[20:21]
	v_cmp_lt_u32_e64 s[22:23], v5, v29
	v_cmp_ge_u32_e64 s[12:13], v9, v31
	s_waitcnt lgkmcnt(0)
	v_cndmask_b32_e64 v39, v14, v36, s[20:21]
	v_cndmask_b32_e64 v48, v37, v14, s[20:21]
	v_cmp_le_i16_e64 s[24:25], v39, v48
	s_and_b64 s[22:23], s[22:23], s[24:25]
	s_or_b64 s[22:23], s[12:13], s[22:23]
	v_cndmask_b32_e64 v14, v9, v5, s[22:23]
	v_cndmask_b32_e64 v15, v31, v29, s[22:23]
	v_add_u32_e32 v16, 1, v14
	v_add_u32_e32 v15, -1, v15
	v_min_u32_e32 v15, v16, v15
	v_lshl_add_u32 v15, v15, 1, v26
	ds_read_u16 v15, v15
	v_lshl_add_u32 v8, v8, 3, v10
	v_lshl_add_u32 v14, v14, 3, v10
	s_waitcnt lgkmcnt(0)
	v_cndmask_b32_e64 v49, v15, v39, s[22:23]
	v_cndmask_b32_e64 v50, v48, v15, s[22:23]
	;; [unrolled: 1-line block ×4, first 2 shown]
	v_cmp_lt_u32_e64 s[24:25], v16, v29
	v_cmp_le_i16_e64 s[28:29], v49, v50
	v_cmp_ge_u32_e64 s[12:13], v15, v31
	s_and_b64 s[24:25], s[24:25], s[28:29]
	s_or_b64 s[12:13], s[12:13], s[24:25]
	v_cndmask_b32_e64 v17, v15, v16, s[12:13]
	v_cndmask_b32_e64 v5, v31, v29, s[12:13]
	v_add_u32_e32 v18, 1, v17
	v_add_u32_e32 v5, -1, v5
	v_min_u32_e32 v5, v18, v5
	v_lshl_add_u32 v5, v5, 1, v26
	ds_read_u16 v19, v5
	ds_read_b64 v[4:5], v4 offset:4096
	ds_read_b64 v[8:9], v8 offset:4096
	v_cndmask_b32_e64 v39, v39, v48, s[22:23]
	s_waitcnt lgkmcnt(2)
	v_cndmask_b32_e64 v51, v19, v49, s[12:13]
	v_cndmask_b32_e64 v52, v50, v19, s[12:13]
	v_cndmask_b32_e64 v19, v18, v15, s[12:13]
	v_cndmask_b32_e64 v18, v16, v18, s[12:13]
	v_cmp_lt_u32_e64 s[28:29], v18, v29
	v_cmp_le_i16_e64 s[40:41], v51, v52
	v_cmp_ge_u32_e64 s[24:25], v19, v31
	s_and_b64 s[28:29], s[28:29], s[40:41]
	s_or_b64 s[24:25], s[24:25], s[28:29]
	v_cndmask_b32_e64 v20, v19, v18, s[24:25]
	v_cndmask_b32_e64 v15, v31, v29, s[24:25]
	v_add_u32_e32 v21, 1, v20
	v_add_u32_e32 v15, -1, v15
	v_min_u32_e32 v15, v21, v15
	v_lshl_add_u32 v15, v15, 1, v26
	ds_read_u16 v22, v15
	v_cndmask_b32_e64 v18, v18, v21, s[24:25]
	v_cndmask_b32_e64 v19, v21, v19, s[24:25]
	v_cmp_lt_u32_e64 s[40:41], v18, v29
	v_cmp_ge_u32_e64 s[28:29], v19, v31
	s_waitcnt lgkmcnt(0)
	v_cndmask_b32_e64 v53, v22, v51, s[24:25]
	v_cndmask_b32_e64 v54, v52, v22, s[24:25]
	v_cmp_le_i16_e64 s[42:43], v53, v54
	s_and_b64 s[40:41], s[40:41], s[42:43]
	s_or_b64 s[28:29], s[28:29], s[40:41]
	v_cndmask_b32_e64 v22, v19, v18, s[28:29]
	v_cndmask_b32_e64 v21, v31, v29, s[28:29]
	v_add_u32_e32 v35, 1, v22
	v_add_u32_e32 v21, -1, v21
	v_min_u32_e32 v21, v35, v21
	v_lshl_add_u32 v21, v21, 1, v26
	ds_read_u16 v38, v21
	v_cndmask_b32_e64 v66, v18, v35, s[28:29]
	v_cndmask_b32_e64 v65, v35, v19, s[28:29]
	v_cmp_lt_u32_e64 s[42:43], v66, v29
	v_cmp_ge_u32_e64 s[40:41], v65, v31
	s_waitcnt lgkmcnt(0)
	v_cndmask_b32_e64 v55, v38, v53, s[28:29]
	v_cndmask_b32_e64 v64, v54, v38, s[28:29]
	v_cmp_le_i16_e64 s[44:45], v55, v64
	s_and_b64 s[42:43], s[42:43], s[44:45]
	s_or_b64 s[40:41], s[40:41], s[42:43]
	v_cndmask_b32_e64 v18, v65, v66, s[40:41]
	v_cndmask_b32_e64 v19, v31, v29, s[40:41]
	v_lshl_add_u32 v35, v18, 3, v10
	v_add_u32_e32 v67, 1, v18
	v_add_u32_e32 v18, -1, v19
	v_lshl_add_u32 v16, v17, 3, v10
	v_lshl_add_u32 v20, v20, 3, v10
	;; [unrolled: 1-line block ×3, first 2 shown]
	v_min_u32_e32 v18, v67, v18
	ds_read_b64 v[14:15], v14 offset:4096
	ds_read_b64 v[16:17], v16 offset:4096
	;; [unrolled: 1-line block ×4, first 2 shown]
	v_lshl_add_u32 v38, v18, 1, v26
	ds_read_b64 v[18:19], v35 offset:4096
	ds_read_u16 v68, v38
	v_cndmask_b32_e64 v35, v25, v24, s[8:9]
	v_cndmask_b32_e64 v38, v36, v37, s[20:21]
	;; [unrolled: 1-line block ×4, first 2 shown]
	s_waitcnt lgkmcnt(0)
	v_cndmask_b32_e64 v36, v68, v55, s[40:41]
	v_cndmask_b32_e64 v68, v64, v68, s[40:41]
	;; [unrolled: 1-line block ×3, first 2 shown]
	v_cmp_lt_u32_e64 s[12:13], v25, v29
	v_cmp_le_i16_e64 s[20:21], v36, v68
	v_cmp_ge_u32_e64 s[8:9], v24, v31
	s_and_b64 s[12:13], s[12:13], s[20:21]
	s_or_b64 s[8:9], s[8:9], s[12:13]
	v_cndmask_b32_e64 v24, v24, v25, s[8:9]
	v_lshl_add_u32 v24, v24, 3, v10
	ds_read_b64 v[24:25], v24 offset:4096
	v_cndmask_b32_e64 v48, v51, v52, s[24:25]
	v_cndmask_b32_e64 v37, v53, v54, s[28:29]
	;; [unrolled: 1-line block ×4, first 2 shown]
.LBB925_204:
	s_or_b64 exec, exec, s[56:57]
	v_add_u32_e32 v29, 0x1000, v28
	; wave barrier
	ds_write2_b64 v29, v[4:5], v[8:9] offset1:1
	v_add_u32_e32 v29, 0x1010, v28
	s_mov_b32 s8, 0x5040100
	ds_write2_b64 v29, v[14:15], v[16:17] offset1:1
	v_add_u32_e32 v29, 0x1020, v28
	v_perm_b32 v52, v36, v50, s8
	v_perm_b32 v51, v37, v48, s8
	;; [unrolled: 1-line block ×4, first 2 shown]
	ds_write2_b64 v29, v[20:21], v[22:23] offset1:1
	v_add_u32_e32 v29, 0x1030, v28
	ds_write2_b64 v27, v[53:54], v[51:52] offset1:1
	s_waitcnt lgkmcnt(4)
	ds_write2_b64 v29, v[18:19], v[24:25] offset1:1
	v_and_b32_e32 v53, 0x3c0, v33
	v_or_b32_e32 v29, 32, v53
	v_min_u32_e32 v29, v11, v29
	v_add_u32_e32 v31, 32, v29
	v_min_u32_e32 v31, v11, v31
	v_and_b32_e32 v51, 56, v33
	v_min_u32_e32 v54, v11, v51
	v_sub_u32_e32 v55, v29, v53
	v_sub_u32_e32 v52, v31, v29
	v_sub_u32_e64 v52, v54, v52 clamp
	v_min_u32_e32 v55, v54, v55
	v_lshl_add_u32 v51, v53, 1, v26
	v_cmp_lt_u32_e64 s[8:9], v52, v55
	; wave barrier
	s_and_saveexec_b64 s[12:13], s[8:9]
	s_cbranch_execz .LBB925_208
; %bb.205:
	v_lshlrev_b32_e32 v64, 1, v29
	v_lshlrev_b32_e32 v65, 1, v54
	v_add3_u32 v64, v26, v64, v65
	s_mov_b64 s[20:21], 0
.LBB925_206:                            ; =>This Inner Loop Header: Depth=1
	v_add_u32_e32 v65, v55, v52
	v_lshrrev_b32_e32 v66, 1, v65
	v_and_b32_e32 v65, -2, v65
	v_not_b32_e32 v67, v66
	v_add_u32_e32 v65, v51, v65
	v_lshl_add_u32 v67, v67, 1, v64
	ds_read_u16 v65, v65
	ds_read_u16 v67, v67
	v_add_u32_e32 v68, 1, v66
	s_waitcnt lgkmcnt(0)
	v_cmp_gt_i16_e64 s[8:9], v67, v65
	v_cndmask_b32_e64 v55, v55, v66, s[8:9]
	v_cndmask_b32_e64 v52, v68, v52, s[8:9]
	v_cmp_ge_u32_e64 s[8:9], v52, v55
	s_or_b64 s[20:21], s[8:9], s[20:21]
	s_andn2_b64 exec, exec, s[20:21]
	s_cbranch_execnz .LBB925_206
; %bb.207:
	s_or_b64 exec, exec, s[20:21]
.LBB925_208:
	s_or_b64 exec, exec, s[12:13]
	v_add_u32_e32 v54, v29, v54
	v_add_u32_e32 v53, v52, v53
	v_sub_u32_e32 v54, v54, v52
	v_cmp_le_u32_e64 s[8:9], v53, v29
	v_cmp_le_u32_e64 s[12:13], v54, v31
	s_or_b64 s[8:9], s[8:9], s[12:13]
	s_and_saveexec_b64 s[56:57], s[8:9]
	s_cbranch_execz .LBB925_214
; %bb.209:
	v_cmp_lt_u32_e64 s[8:9], v53, v29
                                        ; implicit-def: $vgpr24
	s_and_saveexec_b64 s[12:13], s[8:9]
; %bb.210:
	v_lshl_add_u32 v4, v52, 1, v51
	ds_read_u16 v24, v4
; %bb.211:
	s_or_b64 exec, exec, s[12:13]
	v_cmp_ge_u32_e64 s[20:21], v54, v31
	v_cmp_lt_u32_e64 s[12:13], v54, v31
                                        ; implicit-def: $vgpr25
	s_and_saveexec_b64 s[22:23], s[12:13]
; %bb.212:
	v_lshl_add_u32 v4, v54, 1, v26
	ds_read_u16 v25, v4
; %bb.213:
	s_or_b64 exec, exec, s[22:23]
	s_waitcnt lgkmcnt(0)
	v_cmp_le_i16_e64 s[12:13], v25, v24
	s_and_b64 s[8:9], s[8:9], s[12:13]
	s_or_b64 s[8:9], s[20:21], s[8:9]
	v_cndmask_b32_e64 v4, v54, v53, s[8:9]
	v_cndmask_b32_e64 v5, v31, v29, s[8:9]
	v_add_u32_e32 v8, 1, v4
	v_add_u32_e32 v5, -1, v5
	v_min_u32_e32 v5, v8, v5
	v_lshl_add_u32 v5, v5, 1, v26
	ds_read_u16 v5, v5
	v_cndmask_b32_e64 v9, v8, v54, s[8:9]
	v_cmp_ge_u32_e64 s[12:13], v9, v31
	v_lshl_add_u32 v4, v4, 3, v10
	s_waitcnt lgkmcnt(0)
	v_cndmask_b32_e64 v36, v5, v25, s[8:9]
	v_cndmask_b32_e64 v37, v24, v5, s[8:9]
	;; [unrolled: 1-line block ×3, first 2 shown]
	v_cmp_lt_u32_e64 s[20:21], v5, v29
	v_cmp_le_i16_e64 s[22:23], v36, v37
	s_and_b64 s[20:21], s[20:21], s[22:23]
	s_or_b64 s[20:21], s[12:13], s[20:21]
	v_cndmask_b32_e64 v8, v9, v5, s[20:21]
	v_cndmask_b32_e64 v14, v31, v29, s[20:21]
	v_add_u32_e32 v15, 1, v8
	v_add_u32_e32 v14, -1, v14
	v_min_u32_e32 v14, v15, v14
	v_lshl_add_u32 v14, v14, 1, v26
	ds_read_u16 v14, v14
	v_cndmask_b32_e64 v5, v5, v15, s[20:21]
	v_cndmask_b32_e64 v9, v15, v9, s[20:21]
	v_cmp_lt_u32_e64 s[22:23], v5, v29
	v_cmp_ge_u32_e64 s[12:13], v9, v31
	s_waitcnt lgkmcnt(0)
	v_cndmask_b32_e64 v39, v14, v36, s[20:21]
	v_cndmask_b32_e64 v48, v37, v14, s[20:21]
	v_cmp_le_i16_e64 s[24:25], v39, v48
	s_and_b64 s[22:23], s[22:23], s[24:25]
	s_or_b64 s[22:23], s[12:13], s[22:23]
	v_cndmask_b32_e64 v14, v9, v5, s[22:23]
	v_cndmask_b32_e64 v15, v31, v29, s[22:23]
	v_add_u32_e32 v16, 1, v14
	v_add_u32_e32 v15, -1, v15
	v_min_u32_e32 v15, v16, v15
	v_lshl_add_u32 v15, v15, 1, v26
	ds_read_u16 v15, v15
	v_lshl_add_u32 v8, v8, 3, v10
	v_lshl_add_u32 v14, v14, 3, v10
	s_waitcnt lgkmcnt(0)
	v_cndmask_b32_e64 v49, v15, v39, s[22:23]
	v_cndmask_b32_e64 v50, v48, v15, s[22:23]
	;; [unrolled: 1-line block ×4, first 2 shown]
	v_cmp_lt_u32_e64 s[24:25], v16, v29
	v_cmp_le_i16_e64 s[28:29], v49, v50
	v_cmp_ge_u32_e64 s[12:13], v15, v31
	s_and_b64 s[24:25], s[24:25], s[28:29]
	s_or_b64 s[12:13], s[12:13], s[24:25]
	v_cndmask_b32_e64 v17, v15, v16, s[12:13]
	v_cndmask_b32_e64 v5, v31, v29, s[12:13]
	v_add_u32_e32 v18, 1, v17
	v_add_u32_e32 v5, -1, v5
	v_min_u32_e32 v5, v18, v5
	v_lshl_add_u32 v5, v5, 1, v26
	ds_read_u16 v19, v5
	ds_read_b64 v[4:5], v4 offset:4096
	ds_read_b64 v[8:9], v8 offset:4096
	v_cndmask_b32_e64 v39, v39, v48, s[22:23]
	s_waitcnt lgkmcnt(2)
	v_cndmask_b32_e64 v51, v19, v49, s[12:13]
	v_cndmask_b32_e64 v52, v50, v19, s[12:13]
	v_cndmask_b32_e64 v19, v18, v15, s[12:13]
	v_cndmask_b32_e64 v18, v16, v18, s[12:13]
	v_cmp_lt_u32_e64 s[28:29], v18, v29
	v_cmp_le_i16_e64 s[40:41], v51, v52
	v_cmp_ge_u32_e64 s[24:25], v19, v31
	s_and_b64 s[28:29], s[28:29], s[40:41]
	s_or_b64 s[24:25], s[24:25], s[28:29]
	v_cndmask_b32_e64 v20, v19, v18, s[24:25]
	v_cndmask_b32_e64 v15, v31, v29, s[24:25]
	v_add_u32_e32 v21, 1, v20
	v_add_u32_e32 v15, -1, v15
	v_min_u32_e32 v15, v21, v15
	v_lshl_add_u32 v15, v15, 1, v26
	ds_read_u16 v22, v15
	v_cndmask_b32_e64 v18, v18, v21, s[24:25]
	v_cndmask_b32_e64 v19, v21, v19, s[24:25]
	v_cmp_lt_u32_e64 s[40:41], v18, v29
	v_cmp_ge_u32_e64 s[28:29], v19, v31
	s_waitcnt lgkmcnt(0)
	v_cndmask_b32_e64 v53, v22, v51, s[24:25]
	v_cndmask_b32_e64 v54, v52, v22, s[24:25]
	v_cmp_le_i16_e64 s[42:43], v53, v54
	s_and_b64 s[40:41], s[40:41], s[42:43]
	s_or_b64 s[28:29], s[28:29], s[40:41]
	v_cndmask_b32_e64 v22, v19, v18, s[28:29]
	v_cndmask_b32_e64 v21, v31, v29, s[28:29]
	v_add_u32_e32 v35, 1, v22
	v_add_u32_e32 v21, -1, v21
	v_min_u32_e32 v21, v35, v21
	v_lshl_add_u32 v21, v21, 1, v26
	ds_read_u16 v38, v21
	v_cndmask_b32_e64 v66, v18, v35, s[28:29]
	v_cndmask_b32_e64 v65, v35, v19, s[28:29]
	v_cmp_lt_u32_e64 s[42:43], v66, v29
	v_cmp_ge_u32_e64 s[40:41], v65, v31
	s_waitcnt lgkmcnt(0)
	v_cndmask_b32_e64 v55, v38, v53, s[28:29]
	v_cndmask_b32_e64 v64, v54, v38, s[28:29]
	v_cmp_le_i16_e64 s[44:45], v55, v64
	s_and_b64 s[42:43], s[42:43], s[44:45]
	s_or_b64 s[40:41], s[40:41], s[42:43]
	v_cndmask_b32_e64 v18, v65, v66, s[40:41]
	v_cndmask_b32_e64 v19, v31, v29, s[40:41]
	v_lshl_add_u32 v35, v18, 3, v10
	v_add_u32_e32 v67, 1, v18
	v_add_u32_e32 v18, -1, v19
	v_lshl_add_u32 v16, v17, 3, v10
	v_lshl_add_u32 v20, v20, 3, v10
	;; [unrolled: 1-line block ×3, first 2 shown]
	v_min_u32_e32 v18, v67, v18
	ds_read_b64 v[14:15], v14 offset:4096
	ds_read_b64 v[16:17], v16 offset:4096
	;; [unrolled: 1-line block ×4, first 2 shown]
	v_lshl_add_u32 v38, v18, 1, v26
	ds_read_b64 v[18:19], v35 offset:4096
	ds_read_u16 v68, v38
	v_cndmask_b32_e64 v35, v25, v24, s[8:9]
	v_cndmask_b32_e64 v38, v36, v37, s[20:21]
	;; [unrolled: 1-line block ×4, first 2 shown]
	s_waitcnt lgkmcnt(0)
	v_cndmask_b32_e64 v36, v68, v55, s[40:41]
	v_cndmask_b32_e64 v68, v64, v68, s[40:41]
	;; [unrolled: 1-line block ×3, first 2 shown]
	v_cmp_lt_u32_e64 s[12:13], v25, v29
	v_cmp_le_i16_e64 s[20:21], v36, v68
	v_cmp_ge_u32_e64 s[8:9], v24, v31
	s_and_b64 s[12:13], s[12:13], s[20:21]
	s_or_b64 s[8:9], s[8:9], s[12:13]
	v_cndmask_b32_e64 v24, v24, v25, s[8:9]
	v_lshl_add_u32 v24, v24, 3, v10
	ds_read_b64 v[24:25], v24 offset:4096
	v_cndmask_b32_e64 v48, v51, v52, s[24:25]
	v_cndmask_b32_e64 v37, v53, v54, s[28:29]
	;; [unrolled: 1-line block ×4, first 2 shown]
.LBB925_214:
	s_or_b64 exec, exec, s[56:57]
	v_add_u32_e32 v29, 0x1000, v28
	; wave barrier
	ds_write2_b64 v29, v[4:5], v[8:9] offset1:1
	v_add_u32_e32 v29, 0x1010, v28
	ds_write2_b64 v29, v[14:15], v[16:17] offset1:1
	v_add_u32_e32 v29, 0x1020, v28
	s_mov_b32 s8, 0x5040100
	ds_write2_b64 v29, v[20:21], v[22:23] offset1:1
	v_add_u32_e32 v31, 0x1030, v28
	v_perm_b32 v29, v36, v50, s8
	v_perm_b32 v28, v37, v48, s8
	;; [unrolled: 1-line block ×4, first 2 shown]
	v_and_b32_e32 v33, 0x380, v33
	ds_write2_b64 v27, v[51:52], v[28:29] offset1:1
	s_waitcnt lgkmcnt(4)
	ds_write2_b64 v31, v[18:19], v[24:25] offset1:1
	v_or_b32_e32 v27, 64, v33
	v_min_u32_e32 v27, v11, v27
	v_add_u32_e32 v28, 64, v27
	v_min_u32_e32 v28, v11, v28
	v_min_u32_e32 v11, v11, v34
	v_sub_u32_e32 v34, v27, v33
	v_sub_u32_e32 v31, v28, v27
	v_sub_u32_e64 v31, v11, v31 clamp
	v_min_u32_e32 v34, v11, v34
	v_lshl_add_u32 v29, v33, 1, v26
	v_cmp_lt_u32_e64 s[8:9], v31, v34
	; wave barrier
	s_and_saveexec_b64 s[12:13], s[8:9]
	s_cbranch_execz .LBB925_218
; %bb.215:
	v_lshlrev_b32_e32 v51, 1, v27
	v_lshlrev_b32_e32 v52, 1, v11
	v_add3_u32 v51, v26, v51, v52
	s_mov_b64 s[20:21], 0
.LBB925_216:                            ; =>This Inner Loop Header: Depth=1
	v_add_u32_e32 v52, v34, v31
	v_lshrrev_b32_e32 v53, 1, v52
	v_and_b32_e32 v52, -2, v52
	v_not_b32_e32 v54, v53
	v_add_u32_e32 v52, v29, v52
	v_lshl_add_u32 v54, v54, 1, v51
	ds_read_u16 v52, v52
	ds_read_u16 v54, v54
	v_add_u32_e32 v55, 1, v53
	s_waitcnt lgkmcnt(0)
	v_cmp_gt_i16_e64 s[8:9], v54, v52
	v_cndmask_b32_e64 v34, v34, v53, s[8:9]
	v_cndmask_b32_e64 v31, v55, v31, s[8:9]
	v_cmp_ge_u32_e64 s[8:9], v31, v34
	s_or_b64 s[20:21], s[8:9], s[20:21]
	s_andn2_b64 exec, exec, s[20:21]
	s_cbranch_execnz .LBB925_216
; %bb.217:
	s_or_b64 exec, exec, s[20:21]
.LBB925_218:
	s_or_b64 exec, exec, s[12:13]
	v_add_u32_e32 v11, v27, v11
	v_add_u32_e32 v33, v31, v33
	v_sub_u32_e32 v34, v11, v31
	v_cmp_le_u32_e64 s[8:9], v33, v27
	v_cmp_le_u32_e64 s[12:13], v34, v28
	s_or_b64 s[8:9], s[8:9], s[12:13]
	s_and_saveexec_b64 s[56:57], s[8:9]
	s_cbranch_execz .LBB925_224
; %bb.219:
	v_cmp_lt_u32_e64 s[8:9], v33, v27
                                        ; implicit-def: $vgpr11
	s_and_saveexec_b64 s[12:13], s[8:9]
; %bb.220:
	v_lshl_add_u32 v4, v31, 1, v29
	ds_read_u16 v11, v4
; %bb.221:
	s_or_b64 exec, exec, s[12:13]
	v_cmp_ge_u32_e64 s[20:21], v34, v28
	v_cmp_lt_u32_e64 s[12:13], v34, v28
                                        ; implicit-def: $vgpr24
	s_and_saveexec_b64 s[22:23], s[12:13]
; %bb.222:
	v_lshl_add_u32 v4, v34, 1, v26
	ds_read_u16 v24, v4
; %bb.223:
	s_or_b64 exec, exec, s[22:23]
	s_waitcnt lgkmcnt(0)
	v_cmp_le_i16_e64 s[12:13], v24, v11
	s_and_b64 s[8:9], s[8:9], s[12:13]
	s_or_b64 s[8:9], s[20:21], s[8:9]
	v_cndmask_b32_e64 v4, v34, v33, s[8:9]
	v_cndmask_b32_e64 v5, v28, v27, s[8:9]
	v_add_u32_e32 v8, 1, v4
	v_add_u32_e32 v5, -1, v5
	v_min_u32_e32 v5, v8, v5
	v_lshl_add_u32 v5, v5, 1, v26
	ds_read_u16 v5, v5
	v_cndmask_b32_e64 v9, v8, v34, s[8:9]
	v_cmp_ge_u32_e64 s[12:13], v9, v28
	v_lshl_add_u32 v4, v4, 3, v10
	s_waitcnt lgkmcnt(0)
	v_cndmask_b32_e64 v25, v5, v24, s[8:9]
	v_cndmask_b32_e64 v29, v11, v5, s[8:9]
	;; [unrolled: 1-line block ×3, first 2 shown]
	v_cmp_lt_u32_e64 s[20:21], v5, v27
	v_cmp_le_i16_e64 s[22:23], v25, v29
	s_and_b64 s[20:21], s[20:21], s[22:23]
	s_or_b64 s[20:21], s[12:13], s[20:21]
	v_cndmask_b32_e64 v8, v9, v5, s[20:21]
	v_cndmask_b32_e64 v14, v28, v27, s[20:21]
	v_add_u32_e32 v15, 1, v8
	v_add_u32_e32 v14, -1, v14
	v_min_u32_e32 v14, v15, v14
	v_lshl_add_u32 v14, v14, 1, v26
	ds_read_u16 v14, v14
	v_cndmask_b32_e64 v5, v5, v15, s[20:21]
	v_cndmask_b32_e64 v9, v15, v9, s[20:21]
	v_cmp_lt_u32_e64 s[22:23], v5, v27
	v_cmp_ge_u32_e64 s[12:13], v9, v28
	s_waitcnt lgkmcnt(0)
	v_cndmask_b32_e64 v31, v14, v25, s[20:21]
	v_cndmask_b32_e64 v33, v29, v14, s[20:21]
	v_cmp_le_i16_e64 s[24:25], v31, v33
	s_and_b64 s[22:23], s[22:23], s[24:25]
	s_or_b64 s[22:23], s[12:13], s[22:23]
	v_cndmask_b32_e64 v14, v9, v5, s[22:23]
	v_cndmask_b32_e64 v15, v28, v27, s[22:23]
	v_add_u32_e32 v16, 1, v14
	v_add_u32_e32 v15, -1, v15
	v_min_u32_e32 v15, v16, v15
	v_lshl_add_u32 v15, v15, 1, v26
	ds_read_u16 v15, v15
	v_lshl_add_u32 v8, v8, 3, v10
	v_lshl_add_u32 v14, v14, 3, v10
	v_cndmask_b32_e64 v39, v31, v33, s[22:23]
	s_waitcnt lgkmcnt(0)
	v_cndmask_b32_e64 v34, v15, v31, s[22:23]
	v_cndmask_b32_e64 v36, v33, v15, s[22:23]
	;; [unrolled: 1-line block ×4, first 2 shown]
	v_cmp_lt_u32_e64 s[24:25], v16, v27
	v_cmp_le_i16_e64 s[28:29], v34, v36
	v_cmp_ge_u32_e64 s[12:13], v15, v28
	s_and_b64 s[24:25], s[24:25], s[28:29]
	s_or_b64 s[12:13], s[12:13], s[24:25]
	v_cndmask_b32_e64 v17, v15, v16, s[12:13]
	v_cndmask_b32_e64 v5, v28, v27, s[12:13]
	v_add_u32_e32 v18, 1, v17
	v_add_u32_e32 v5, -1, v5
	v_min_u32_e32 v5, v18, v5
	v_lshl_add_u32 v5, v5, 1, v26
	ds_read_u16 v19, v5
	ds_read_b64 v[4:5], v4 offset:4096
	ds_read_b64 v[8:9], v8 offset:4096
	v_cndmask_b32_e64 v49, v34, v36, s[12:13]
	s_waitcnt lgkmcnt(2)
	v_cndmask_b32_e64 v37, v19, v34, s[12:13]
	v_cndmask_b32_e64 v48, v36, v19, s[12:13]
	;; [unrolled: 1-line block ×4, first 2 shown]
	v_cmp_lt_u32_e64 s[28:29], v18, v27
	v_cmp_le_i16_e64 s[40:41], v37, v48
	v_cmp_ge_u32_e64 s[24:25], v19, v28
	s_and_b64 s[28:29], s[28:29], s[40:41]
	s_or_b64 s[24:25], s[24:25], s[28:29]
	v_cndmask_b32_e64 v20, v19, v18, s[24:25]
	v_cndmask_b32_e64 v15, v28, v27, s[24:25]
	v_add_u32_e32 v21, 1, v20
	v_add_u32_e32 v15, -1, v15
	v_min_u32_e32 v15, v21, v15
	v_lshl_add_u32 v15, v15, 1, v26
	ds_read_u16 v22, v15
	v_cndmask_b32_e64 v18, v18, v21, s[24:25]
	v_cndmask_b32_e64 v19, v21, v19, s[24:25]
	v_cmp_lt_u32_e64 s[40:41], v18, v27
	v_cmp_ge_u32_e64 s[28:29], v19, v28
	s_waitcnt lgkmcnt(0)
	v_cndmask_b32_e64 v50, v22, v37, s[24:25]
	v_cndmask_b32_e64 v51, v48, v22, s[24:25]
	v_cmp_le_i16_e64 s[42:43], v50, v51
	s_and_b64 s[40:41], s[40:41], s[42:43]
	s_or_b64 s[28:29], s[28:29], s[40:41]
	v_cndmask_b32_e64 v22, v19, v18, s[28:29]
	v_cndmask_b32_e64 v21, v28, v27, s[28:29]
	v_add_u32_e32 v35, 1, v22
	v_add_u32_e32 v21, -1, v21
	v_min_u32_e32 v21, v35, v21
	v_lshl_add_u32 v21, v21, 1, v26
	ds_read_u16 v38, v21
	v_cndmask_b32_e64 v55, v18, v35, s[28:29]
	v_cndmask_b32_e64 v54, v35, v19, s[28:29]
	v_cmp_lt_u32_e64 s[42:43], v55, v27
	v_cmp_ge_u32_e64 s[40:41], v54, v28
	s_waitcnt lgkmcnt(0)
	v_cndmask_b32_e64 v52, v38, v50, s[28:29]
	v_cndmask_b32_e64 v53, v51, v38, s[28:29]
	v_cmp_le_i16_e64 s[44:45], v52, v53
	s_and_b64 s[42:43], s[42:43], s[44:45]
	s_or_b64 s[40:41], s[40:41], s[42:43]
	v_cndmask_b32_e64 v18, v54, v55, s[40:41]
	v_cndmask_b32_e64 v19, v28, v27, s[40:41]
	v_lshl_add_u32 v35, v18, 3, v10
	v_add_u32_e32 v64, 1, v18
	v_add_u32_e32 v18, -1, v19
	v_min_u32_e32 v18, v64, v18
	v_lshl_add_u32 v16, v17, 3, v10
	v_lshl_add_u32 v20, v20, 3, v10
	;; [unrolled: 1-line block ×4, first 2 shown]
	ds_read_b64 v[14:15], v14 offset:4096
	ds_read_b64 v[16:17], v16 offset:4096
	;; [unrolled: 1-line block ×5, first 2 shown]
	ds_read_u16 v26, v26
	v_cndmask_b32_e64 v35, v24, v11, s[8:9]
	v_cndmask_b32_e64 v38, v25, v29, s[20:21]
	;; [unrolled: 1-line block ×4, first 2 shown]
	s_waitcnt lgkmcnt(0)
	v_cndmask_b32_e64 v11, v26, v52, s[40:41]
	v_cndmask_b32_e64 v26, v53, v26, s[40:41]
	v_cmp_lt_u32_e64 s[12:13], v25, v27
	v_cmp_le_i16_e64 s[20:21], v11, v26
	v_cmp_ge_u32_e64 s[8:9], v24, v28
	s_and_b64 s[12:13], s[12:13], s[20:21]
	s_or_b64 s[8:9], s[8:9], s[12:13]
	v_cndmask_b32_e64 v24, v24, v25, s[8:9]
	v_lshl_add_u32 v10, v24, 3, v10
	ds_read_b64 v[24:25], v10 offset:4096
	v_cndmask_b32_e64 v48, v37, v48, s[24:25]
	v_cndmask_b32_e64 v37, v50, v51, s[28:29]
	;; [unrolled: 1-line block ×4, first 2 shown]
.LBB925_224:
	s_or_b64 exec, exec, s[56:57]
	; wave barrier
	s_waitcnt lgkmcnt(0)
	s_barrier
.LBB925_225:
	s_or_b64 exec, exec, s[46:47]
	v_add_co_u32_e64 v2, s[8:9], v2, v12
	v_addc_co_u32_e64 v3, s[8:9], v3, v13, s[8:9]
	v_add_co_u32_e64 v2, s[8:9], v2, v30
	v_addc_co_u32_e64 v3, s[8:9], 0, v3, s[8:9]
	s_waitcnt lgkmcnt(0)
	; wave barrier
	s_and_saveexec_b64 s[8:9], vcc
	s_cbranch_execnz .LBB925_250
; %bb.226:
	s_or_b64 exec, exec, s[8:9]
	s_and_saveexec_b64 s[8:9], s[4:5]
	s_cbranch_execnz .LBB925_251
.LBB925_227:
	s_or_b64 exec, exec, s[8:9]
	s_and_saveexec_b64 s[8:9], s[6:7]
	s_cbranch_execnz .LBB925_252
.LBB925_228:
	s_or_b64 exec, exec, s[8:9]
	s_and_saveexec_b64 s[8:9], s[18:19]
	s_cbranch_execnz .LBB925_253
.LBB925_229:
	s_or_b64 exec, exec, s[8:9]
	s_and_saveexec_b64 s[8:9], s[10:11]
	s_cbranch_execnz .LBB925_254
.LBB925_230:
	s_or_b64 exec, exec, s[8:9]
	s_and_saveexec_b64 s[8:9], s[26:27]
	s_cbranch_execnz .LBB925_255
.LBB925_231:
	s_or_b64 exec, exec, s[8:9]
	s_and_saveexec_b64 s[8:9], s[14:15]
	s_cbranch_execnz .LBB925_256
.LBB925_232:
	s_or_b64 exec, exec, s[8:9]
	s_and_saveexec_b64 s[8:9], s[16:17]
	s_cbranch_execz .LBB925_234
.LBB925_233:
	s_waitcnt vmcnt(0)
	flat_store_short v[2:3], v36 offset:14
.LBB925_234:
	s_or_b64 exec, exec, s[8:9]
	v_add_co_u32_e64 v0, s[8:9], v6, v0
	v_addc_co_u32_e64 v1, s[8:9], v7, v1, s[8:9]
	v_add_co_u32_e64 v0, s[8:9], v0, v32
	v_addc_co_u32_e64 v1, s[8:9], 0, v1, s[8:9]
	; wave barrier
	s_and_saveexec_b64 s[8:9], vcc
	s_cbranch_execnz .LBB925_257
; %bb.235:
	s_or_b64 exec, exec, s[8:9]
	s_and_saveexec_b64 s[8:9], s[4:5]
	s_cbranch_execnz .LBB925_258
.LBB925_236:
	s_or_b64 exec, exec, s[8:9]
	s_and_saveexec_b64 s[4:5], s[6:7]
	s_cbranch_execnz .LBB925_259
.LBB925_237:
	s_or_b64 exec, exec, s[4:5]
	s_and_saveexec_b64 s[4:5], s[18:19]
	s_cbranch_execnz .LBB925_260
.LBB925_238:
	s_or_b64 exec, exec, s[4:5]
	s_and_saveexec_b64 s[4:5], s[10:11]
	s_cbranch_execnz .LBB925_261
.LBB925_239:
	s_or_b64 exec, exec, s[4:5]
	s_and_saveexec_b64 s[4:5], s[26:27]
	s_cbranch_execnz .LBB925_262
.LBB925_240:
	s_or_b64 exec, exec, s[4:5]
	s_and_saveexec_b64 s[4:5], s[14:15]
	s_cbranch_execnz .LBB925_263
.LBB925_241:
	s_or_b64 exec, exec, s[4:5]
	s_and_saveexec_b64 s[4:5], s[16:17]
	s_cbranch_execnz .LBB925_264
.LBB925_242:
	s_or_b64 exec, exec, s[4:5]
	s_waitcnt vmcnt(0) lgkmcnt(0)
	s_setpc_b64 s[30:31]
.LBB925_243:
	flat_load_dwordx2 v[4:5], v[26:27]
	s_or_b64 exec, exec, s[20:21]
	s_and_saveexec_b64 s[20:21], s[4:5]
                                        ; implicit-def: $vgpr8_vgpr9
	s_cbranch_execz .LBB925_18
.LBB925_244:
	flat_load_dwordx2 v[8:9], v[26:27] offset:8
	s_or_b64 exec, exec, s[20:21]
                                        ; implicit-def: $vgpr14_vgpr15
	s_and_saveexec_b64 s[20:21], s[6:7]
	s_cbranch_execz .LBB925_19
.LBB925_245:
	flat_load_dwordx2 v[14:15], v[26:27] offset:16
	s_or_b64 exec, exec, s[20:21]
	s_and_saveexec_b64 s[20:21], s[18:19]
                                        ; implicit-def: $vgpr16_vgpr17
	s_cbranch_execz .LBB925_20
.LBB925_246:
	flat_load_dwordx2 v[16:17], v[26:27] offset:24
	s_or_b64 exec, exec, s[20:21]
                                        ; implicit-def: $vgpr20_vgpr21
	s_and_saveexec_b64 s[20:21], s[10:11]
	s_cbranch_execz .LBB925_21
.LBB925_247:
	flat_load_dwordx2 v[20:21], v[26:27] offset:32
	s_or_b64 exec, exec, s[20:21]
	s_and_saveexec_b64 s[20:21], s[26:27]
                                        ; implicit-def: $vgpr22_vgpr23
	s_cbranch_execz .LBB925_22
.LBB925_248:
	flat_load_dwordx2 v[22:23], v[26:27] offset:40
	s_or_b64 exec, exec, s[20:21]
                                        ; implicit-def: $vgpr18_vgpr19
	s_and_saveexec_b64 s[20:21], s[14:15]
	s_cbranch_execz .LBB925_23
.LBB925_249:
	flat_load_dwordx2 v[18:19], v[26:27] offset:48
	s_or_b64 exec, exec, s[20:21]
	s_and_saveexec_b64 s[20:21], s[16:17]
                                        ; implicit-def: $vgpr24_vgpr25
	s_cbranch_execnz .LBB925_24
	s_branch .LBB925_25
.LBB925_250:
	s_waitcnt vmcnt(0)
	flat_store_short v[2:3], v35
	s_or_b64 exec, exec, s[8:9]
	s_and_saveexec_b64 s[8:9], s[4:5]
	s_cbranch_execz .LBB925_227
.LBB925_251:
	s_waitcnt vmcnt(0)
	flat_store_short v[2:3], v38 offset:2
	s_or_b64 exec, exec, s[8:9]
	s_and_saveexec_b64 s[8:9], s[6:7]
	s_cbranch_execz .LBB925_228
.LBB925_252:
	s_waitcnt vmcnt(0)
	flat_store_short v[2:3], v39 offset:4
	s_or_b64 exec, exec, s[8:9]
	s_and_saveexec_b64 s[8:9], s[18:19]
	s_cbranch_execz .LBB925_229
.LBB925_253:
	s_waitcnt vmcnt(0)
	flat_store_short v[2:3], v49 offset:6
	s_or_b64 exec, exec, s[8:9]
	s_and_saveexec_b64 s[8:9], s[10:11]
	s_cbranch_execz .LBB925_230
.LBB925_254:
	s_waitcnt vmcnt(0)
	flat_store_short v[2:3], v48 offset:8
	s_or_b64 exec, exec, s[8:9]
	s_and_saveexec_b64 s[8:9], s[26:27]
	s_cbranch_execz .LBB925_231
.LBB925_255:
	s_waitcnt vmcnt(0)
	flat_store_short v[2:3], v37 offset:10
	s_or_b64 exec, exec, s[8:9]
	s_and_saveexec_b64 s[8:9], s[14:15]
	s_cbranch_execz .LBB925_232
.LBB925_256:
	s_waitcnt vmcnt(0)
	flat_store_short v[2:3], v50 offset:12
	s_or_b64 exec, exec, s[8:9]
	s_and_saveexec_b64 s[8:9], s[16:17]
	s_cbranch_execnz .LBB925_233
	s_branch .LBB925_234
.LBB925_257:
	s_waitcnt vmcnt(0)
	flat_store_dwordx2 v[0:1], v[4:5]
	s_or_b64 exec, exec, s[8:9]
	s_and_saveexec_b64 s[8:9], s[4:5]
	s_cbranch_execz .LBB925_236
.LBB925_258:
	s_waitcnt vmcnt(0)
	flat_store_dwordx2 v[0:1], v[8:9] offset:8
	s_or_b64 exec, exec, s[8:9]
	s_and_saveexec_b64 s[4:5], s[6:7]
	s_cbranch_execz .LBB925_237
.LBB925_259:
	s_waitcnt vmcnt(0)
	flat_store_dwordx2 v[0:1], v[14:15] offset:16
	s_or_b64 exec, exec, s[4:5]
	s_and_saveexec_b64 s[4:5], s[18:19]
	s_cbranch_execz .LBB925_238
.LBB925_260:
	s_waitcnt vmcnt(0)
	flat_store_dwordx2 v[0:1], v[16:17] offset:24
	s_or_b64 exec, exec, s[4:5]
	s_and_saveexec_b64 s[4:5], s[10:11]
	s_cbranch_execz .LBB925_239
.LBB925_261:
	s_waitcnt vmcnt(0)
	flat_store_dwordx2 v[0:1], v[20:21] offset:32
	s_or_b64 exec, exec, s[4:5]
	s_and_saveexec_b64 s[4:5], s[26:27]
	s_cbranch_execz .LBB925_240
.LBB925_262:
	s_waitcnt vmcnt(0)
	flat_store_dwordx2 v[0:1], v[22:23] offset:40
	s_or_b64 exec, exec, s[4:5]
	s_and_saveexec_b64 s[4:5], s[14:15]
	s_cbranch_execz .LBB925_241
.LBB925_263:
	s_waitcnt vmcnt(0)
	flat_store_dwordx2 v[0:1], v[18:19] offset:48
	s_or_b64 exec, exec, s[4:5]
	s_and_saveexec_b64 s[4:5], s[16:17]
	s_cbranch_execz .LBB925_242
.LBB925_264:
	s_waitcnt vmcnt(0)
	flat_store_dwordx2 v[0:1], v[24:25] offset:56
	s_or_b64 exec, exec, s[4:5]
	s_waitcnt vmcnt(0) lgkmcnt(0)
	s_setpc_b64 s[30:31]
.Lfunc_end925:
	.size	_ZN7rocprim17ROCPRIM_400000_NS6detail26segmented_warp_sort_helperINS1_20WarpSortHelperConfigILj16ELj8ELj256EEEslLi256ELb1EvE4sortIPKsPsPKlPlEEvT_T0_T1_T2_jjjjRNS5_12storage_typeE, .Lfunc_end925-_ZN7rocprim17ROCPRIM_400000_NS6detail26segmented_warp_sort_helperINS1_20WarpSortHelperConfigILj16ELj8ELj256EEEslLi256ELb1EvE4sortIPKsPsPKlPlEEvT_T0_T1_T2_jjjjRNS5_12storage_typeE
                                        ; -- End function
	.set .L_ZN7rocprim17ROCPRIM_400000_NS6detail26segmented_warp_sort_helperINS1_20WarpSortHelperConfigILj16ELj8ELj256EEEslLi256ELb1EvE4sortIPKsPsPKlPlEEvT_T0_T1_T2_jjjjRNS5_12storage_typeE.num_vgpr, 70
	.set .L_ZN7rocprim17ROCPRIM_400000_NS6detail26segmented_warp_sort_helperINS1_20WarpSortHelperConfigILj16ELj8ELj256EEEslLi256ELb1EvE4sortIPKsPsPKlPlEEvT_T0_T1_T2_jjjjRNS5_12storage_typeE.num_agpr, 0
	.set .L_ZN7rocprim17ROCPRIM_400000_NS6detail26segmented_warp_sort_helperINS1_20WarpSortHelperConfigILj16ELj8ELj256EEEslLi256ELb1EvE4sortIPKsPsPKlPlEEvT_T0_T1_T2_jjjjRNS5_12storage_typeE.numbered_sgpr, 62
	.set .L_ZN7rocprim17ROCPRIM_400000_NS6detail26segmented_warp_sort_helperINS1_20WarpSortHelperConfigILj16ELj8ELj256EEEslLi256ELb1EvE4sortIPKsPsPKlPlEEvT_T0_T1_T2_jjjjRNS5_12storage_typeE.num_named_barrier, 0
	.set .L_ZN7rocprim17ROCPRIM_400000_NS6detail26segmented_warp_sort_helperINS1_20WarpSortHelperConfigILj16ELj8ELj256EEEslLi256ELb1EvE4sortIPKsPsPKlPlEEvT_T0_T1_T2_jjjjRNS5_12storage_typeE.private_seg_size, 0
	.set .L_ZN7rocprim17ROCPRIM_400000_NS6detail26segmented_warp_sort_helperINS1_20WarpSortHelperConfigILj16ELj8ELj256EEEslLi256ELb1EvE4sortIPKsPsPKlPlEEvT_T0_T1_T2_jjjjRNS5_12storage_typeE.uses_vcc, 1
	.set .L_ZN7rocprim17ROCPRIM_400000_NS6detail26segmented_warp_sort_helperINS1_20WarpSortHelperConfigILj16ELj8ELj256EEEslLi256ELb1EvE4sortIPKsPsPKlPlEEvT_T0_T1_T2_jjjjRNS5_12storage_typeE.uses_flat_scratch, 0
	.set .L_ZN7rocprim17ROCPRIM_400000_NS6detail26segmented_warp_sort_helperINS1_20WarpSortHelperConfigILj16ELj8ELj256EEEslLi256ELb1EvE4sortIPKsPsPKlPlEEvT_T0_T1_T2_jjjjRNS5_12storage_typeE.has_dyn_sized_stack, 0
	.set .L_ZN7rocprim17ROCPRIM_400000_NS6detail26segmented_warp_sort_helperINS1_20WarpSortHelperConfigILj16ELj8ELj256EEEslLi256ELb1EvE4sortIPKsPsPKlPlEEvT_T0_T1_T2_jjjjRNS5_12storage_typeE.has_recursion, 0
	.set .L_ZN7rocprim17ROCPRIM_400000_NS6detail26segmented_warp_sort_helperINS1_20WarpSortHelperConfigILj16ELj8ELj256EEEslLi256ELb1EvE4sortIPKsPsPKlPlEEvT_T0_T1_T2_jjjjRNS5_12storage_typeE.has_indirect_call, 0
	.section	.AMDGPU.csdata,"",@progbits
; Function info:
; codeLenInByte = 16676
; TotalNumSgprs: 66
; NumVgprs: 70
; ScratchSize: 0
; MemoryBound: 0
	.section	.text._ZN7rocprim17ROCPRIM_400000_NS6detail17trampoline_kernelINS0_14default_configENS1_36segmented_radix_sort_config_selectorIslEEZNS1_25segmented_radix_sort_implIS3_Lb1EPKsPsPKlPlN2at6native12_GLOBAL__N_18offset_tEEE10hipError_tPvRmT1_PNSt15iterator_traitsISK_E10value_typeET2_T3_PNSL_ISQ_E10value_typeET4_jRbjT5_SW_jjP12ihipStream_tbEUlT_E0_NS1_11comp_targetILNS1_3genE2ELNS1_11target_archE906ELNS1_3gpuE6ELNS1_3repE0EEENS1_60segmented_radix_sort_warp_sort_medium_config_static_selectorELNS0_4arch9wavefront6targetE1EEEvSK_,"axG",@progbits,_ZN7rocprim17ROCPRIM_400000_NS6detail17trampoline_kernelINS0_14default_configENS1_36segmented_radix_sort_config_selectorIslEEZNS1_25segmented_radix_sort_implIS3_Lb1EPKsPsPKlPlN2at6native12_GLOBAL__N_18offset_tEEE10hipError_tPvRmT1_PNSt15iterator_traitsISK_E10value_typeET2_T3_PNSL_ISQ_E10value_typeET4_jRbjT5_SW_jjP12ihipStream_tbEUlT_E0_NS1_11comp_targetILNS1_3genE2ELNS1_11target_archE906ELNS1_3gpuE6ELNS1_3repE0EEENS1_60segmented_radix_sort_warp_sort_medium_config_static_selectorELNS0_4arch9wavefront6targetE1EEEvSK_,comdat
	.globl	_ZN7rocprim17ROCPRIM_400000_NS6detail17trampoline_kernelINS0_14default_configENS1_36segmented_radix_sort_config_selectorIslEEZNS1_25segmented_radix_sort_implIS3_Lb1EPKsPsPKlPlN2at6native12_GLOBAL__N_18offset_tEEE10hipError_tPvRmT1_PNSt15iterator_traitsISK_E10value_typeET2_T3_PNSL_ISQ_E10value_typeET4_jRbjT5_SW_jjP12ihipStream_tbEUlT_E0_NS1_11comp_targetILNS1_3genE2ELNS1_11target_archE906ELNS1_3gpuE6ELNS1_3repE0EEENS1_60segmented_radix_sort_warp_sort_medium_config_static_selectorELNS0_4arch9wavefront6targetE1EEEvSK_ ; -- Begin function _ZN7rocprim17ROCPRIM_400000_NS6detail17trampoline_kernelINS0_14default_configENS1_36segmented_radix_sort_config_selectorIslEEZNS1_25segmented_radix_sort_implIS3_Lb1EPKsPsPKlPlN2at6native12_GLOBAL__N_18offset_tEEE10hipError_tPvRmT1_PNSt15iterator_traitsISK_E10value_typeET2_T3_PNSL_ISQ_E10value_typeET4_jRbjT5_SW_jjP12ihipStream_tbEUlT_E0_NS1_11comp_targetILNS1_3genE2ELNS1_11target_archE906ELNS1_3gpuE6ELNS1_3repE0EEENS1_60segmented_radix_sort_warp_sort_medium_config_static_selectorELNS0_4arch9wavefront6targetE1EEEvSK_
	.p2align	8
	.type	_ZN7rocprim17ROCPRIM_400000_NS6detail17trampoline_kernelINS0_14default_configENS1_36segmented_radix_sort_config_selectorIslEEZNS1_25segmented_radix_sort_implIS3_Lb1EPKsPsPKlPlN2at6native12_GLOBAL__N_18offset_tEEE10hipError_tPvRmT1_PNSt15iterator_traitsISK_E10value_typeET2_T3_PNSL_ISQ_E10value_typeET4_jRbjT5_SW_jjP12ihipStream_tbEUlT_E0_NS1_11comp_targetILNS1_3genE2ELNS1_11target_archE906ELNS1_3gpuE6ELNS1_3repE0EEENS1_60segmented_radix_sort_warp_sort_medium_config_static_selectorELNS0_4arch9wavefront6targetE1EEEvSK_,@function
_ZN7rocprim17ROCPRIM_400000_NS6detail17trampoline_kernelINS0_14default_configENS1_36segmented_radix_sort_config_selectorIslEEZNS1_25segmented_radix_sort_implIS3_Lb1EPKsPsPKlPlN2at6native12_GLOBAL__N_18offset_tEEE10hipError_tPvRmT1_PNSt15iterator_traitsISK_E10value_typeET2_T3_PNSL_ISQ_E10value_typeET4_jRbjT5_SW_jjP12ihipStream_tbEUlT_E0_NS1_11comp_targetILNS1_3genE2ELNS1_11target_archE906ELNS1_3gpuE6ELNS1_3repE0EEENS1_60segmented_radix_sort_warp_sort_medium_config_static_selectorELNS0_4arch9wavefront6targetE1EEEvSK_: ; @_ZN7rocprim17ROCPRIM_400000_NS6detail17trampoline_kernelINS0_14default_configENS1_36segmented_radix_sort_config_selectorIslEEZNS1_25segmented_radix_sort_implIS3_Lb1EPKsPsPKlPlN2at6native12_GLOBAL__N_18offset_tEEE10hipError_tPvRmT1_PNSt15iterator_traitsISK_E10value_typeET2_T3_PNSL_ISQ_E10value_typeET4_jRbjT5_SW_jjP12ihipStream_tbEUlT_E0_NS1_11comp_targetILNS1_3genE2ELNS1_11target_archE906ELNS1_3gpuE6ELNS1_3repE0EEENS1_60segmented_radix_sort_warp_sort_medium_config_static_selectorELNS0_4arch9wavefront6targetE1EEEvSK_
; %bb.0:
	s_add_u32 s0, s0, s8
	s_load_dword s8, s[4:5], 0x64
	s_addc_u32 s1, s1, 0
	s_mov_b32 s32, 0
	s_waitcnt lgkmcnt(0)
	s_lshr_b32 s9, s8, 16
	s_and_b32 s8, s8, 0xffff
	v_mad_u32_u24 v3, v2, s9, v1
	v_mad_u64_u32 v[3:4], s[8:9], v3, s8, v[0:1]
	s_load_dword s8, s[4:5], 0x34
	v_lshrrev_b32_e32 v3, 4, v3
	v_lshl_add_u32 v3, s6, 4, v3
	s_waitcnt lgkmcnt(0)
	v_cmp_gt_u32_e32 vcc, s8, v3
	s_and_saveexec_b64 s[8:9], vcc
	s_cbranch_execz .LBB926_6
; %bb.1:
	s_load_dwordx2 s[12:13], s[4:5], 0x38
	s_load_dwordx4 s[8:11], s[4:5], 0x40
	v_mov_b32_e32 v4, 0
	v_lshlrev_b64 v[3:4], 2, v[3:4]
	s_waitcnt lgkmcnt(0)
	v_mov_b32_e32 v5, s13
	v_add_co_u32_e32 v3, vcc, s12, v3
	v_addc_co_u32_e32 v4, vcc, v5, v4, vcc
	global_load_dword v3, v[3:4], off
	s_waitcnt vmcnt(0)
	v_add_u32_e32 v4, s9, v3
	v_add_u32_e32 v3, s11, v3
	v_mul_lo_u32 v40, v4, s8
	v_mul_lo_u32 v41, v3, s10
	v_cmp_gt_u32_e32 vcc, v41, v40
	s_and_b64 exec, exec, vcc
	s_cbranch_execz .LBB926_6
; %bb.2:
	s_load_dword s10, s[4:5], 0x30
	s_load_dwordx4 s[36:39], s[4:5], 0x20
	s_load_dwordx8 s[48:55], s[4:5], 0x0
	s_load_dwordx2 s[34:35], s[4:5], 0x50
	s_mov_b64 s[8:9], -1
	s_waitcnt lgkmcnt(0)
	s_bitcmp0_b32 s10, 0
	v_lshlrev_b32_e32 v43, 20, v2
	v_lshlrev_b32_e32 v44, 10, v1
	s_cbranch_scc0 .LBB926_4
; %bb.3:
	s_add_u32 s8, s4, 0x58
	s_addc_u32 s9, s5, 0
	s_getpc_b64 s[10:11]
	s_add_u32 s10, s10, _ZN7rocprim17ROCPRIM_400000_NS6detail26segmented_warp_sort_helperINS1_20WarpSortHelperConfigILj16ELj8ELj256EEEslLi256ELb1EvE4sortIPKsPsPKlPlEEvT_T0_T1_T2_jjjjRNS5_12storage_typeE@rel32@lo+4
	s_addc_u32 s11, s11, _ZN7rocprim17ROCPRIM_400000_NS6detail26segmented_warp_sort_helperINS1_20WarpSortHelperConfigILj16ELj8ELj256EEEslLi256ELb1EvE4sortIPKsPsPKlPlEEvT_T0_T1_T2_jjjjRNS5_12storage_typeE@rel32@hi+12
	v_or3_b32 v31, v0, v44, v43
	s_mov_b32 s12, s6
	s_mov_b32 s13, s7
	v_mov_b32_e32 v42, v0
	v_mov_b32_e32 v0, s48
	v_mov_b32_e32 v1, s49
	v_mov_b32_e32 v2, s50
	v_mov_b32_e32 v3, s51
	v_mov_b32_e32 v4, s54
	v_mov_b32_e32 v5, s55
	v_mov_b32_e32 v6, s36
	v_mov_b32_e32 v7, s37
	v_mov_b32_e32 v8, v40
	v_mov_b32_e32 v9, v41
	v_mov_b32_e32 v10, s34
	v_mov_b32_e32 v11, s35
	s_mov_b64 s[36:37], s[4:5]
	s_mov_b32 s50, s7
	s_mov_b32 s33, s6
	s_swappc_b64 s[30:31], s[10:11]
	v_mov_b32_e32 v0, v42
	s_mov_b32 s6, s33
	s_mov_b32 s7, s50
	s_mov_b64 s[4:5], s[36:37]
	s_mov_b64 s[8:9], 0
.LBB926_4:
	s_andn2_b64 vcc, exec, s[8:9]
	s_cbranch_vccnz .LBB926_6
; %bb.5:
	s_add_u32 s8, s4, 0x58
	s_addc_u32 s9, s5, 0
	s_getpc_b64 s[4:5]
	s_add_u32 s4, s4, _ZN7rocprim17ROCPRIM_400000_NS6detail26segmented_warp_sort_helperINS1_20WarpSortHelperConfigILj16ELj8ELj256EEEslLi256ELb1EvE4sortIPKsPsPKlPlEEvT_T0_T1_T2_jjjjRNS5_12storage_typeE@rel32@lo+4
	s_addc_u32 s5, s5, _ZN7rocprim17ROCPRIM_400000_NS6detail26segmented_warp_sort_helperINS1_20WarpSortHelperConfigILj16ELj8ELj256EEEslLi256ELb1EvE4sortIPKsPsPKlPlEEvT_T0_T1_T2_jjjjRNS5_12storage_typeE@rel32@hi+12
	v_or3_b32 v31, v0, v44, v43
	s_mov_b32 s12, s6
	s_mov_b32 s13, s7
	v_mov_b32_e32 v0, s48
	v_mov_b32_e32 v1, s49
	;; [unrolled: 1-line block ×12, first 2 shown]
	s_swappc_b64 s[30:31], s[4:5]
.LBB926_6:
	s_endpgm
	.section	.rodata,"a",@progbits
	.p2align	6, 0x0
	.amdhsa_kernel _ZN7rocprim17ROCPRIM_400000_NS6detail17trampoline_kernelINS0_14default_configENS1_36segmented_radix_sort_config_selectorIslEEZNS1_25segmented_radix_sort_implIS3_Lb1EPKsPsPKlPlN2at6native12_GLOBAL__N_18offset_tEEE10hipError_tPvRmT1_PNSt15iterator_traitsISK_E10value_typeET2_T3_PNSL_ISQ_E10value_typeET4_jRbjT5_SW_jjP12ihipStream_tbEUlT_E0_NS1_11comp_targetILNS1_3genE2ELNS1_11target_archE906ELNS1_3gpuE6ELNS1_3repE0EEENS1_60segmented_radix_sort_warp_sort_medium_config_static_selectorELNS0_4arch9wavefront6targetE1EEEvSK_
		.amdhsa_group_segment_fixed_size 20480
		.amdhsa_private_segment_fixed_size 0
		.amdhsa_kernarg_size 344
		.amdhsa_user_sgpr_count 6
		.amdhsa_user_sgpr_private_segment_buffer 1
		.amdhsa_user_sgpr_dispatch_ptr 0
		.amdhsa_user_sgpr_queue_ptr 0
		.amdhsa_user_sgpr_kernarg_segment_ptr 1
		.amdhsa_user_sgpr_dispatch_id 0
		.amdhsa_user_sgpr_flat_scratch_init 0
		.amdhsa_user_sgpr_private_segment_size 0
		.amdhsa_uses_dynamic_stack 0
		.amdhsa_system_sgpr_private_segment_wavefront_offset 0
		.amdhsa_system_sgpr_workgroup_id_x 1
		.amdhsa_system_sgpr_workgroup_id_y 1
		.amdhsa_system_sgpr_workgroup_id_z 0
		.amdhsa_system_sgpr_workgroup_info 0
		.amdhsa_system_vgpr_workitem_id 2
		.amdhsa_next_free_vgpr 70
		.amdhsa_next_free_sgpr 98
		.amdhsa_reserve_vcc 1
		.amdhsa_reserve_flat_scratch 0
		.amdhsa_float_round_mode_32 0
		.amdhsa_float_round_mode_16_64 0
		.amdhsa_float_denorm_mode_32 3
		.amdhsa_float_denorm_mode_16_64 3
		.amdhsa_dx10_clamp 1
		.amdhsa_ieee_mode 1
		.amdhsa_fp16_overflow 0
		.amdhsa_exception_fp_ieee_invalid_op 0
		.amdhsa_exception_fp_denorm_src 0
		.amdhsa_exception_fp_ieee_div_zero 0
		.amdhsa_exception_fp_ieee_overflow 0
		.amdhsa_exception_fp_ieee_underflow 0
		.amdhsa_exception_fp_ieee_inexact 0
		.amdhsa_exception_int_div_zero 0
	.end_amdhsa_kernel
	.section	.text._ZN7rocprim17ROCPRIM_400000_NS6detail17trampoline_kernelINS0_14default_configENS1_36segmented_radix_sort_config_selectorIslEEZNS1_25segmented_radix_sort_implIS3_Lb1EPKsPsPKlPlN2at6native12_GLOBAL__N_18offset_tEEE10hipError_tPvRmT1_PNSt15iterator_traitsISK_E10value_typeET2_T3_PNSL_ISQ_E10value_typeET4_jRbjT5_SW_jjP12ihipStream_tbEUlT_E0_NS1_11comp_targetILNS1_3genE2ELNS1_11target_archE906ELNS1_3gpuE6ELNS1_3repE0EEENS1_60segmented_radix_sort_warp_sort_medium_config_static_selectorELNS0_4arch9wavefront6targetE1EEEvSK_,"axG",@progbits,_ZN7rocprim17ROCPRIM_400000_NS6detail17trampoline_kernelINS0_14default_configENS1_36segmented_radix_sort_config_selectorIslEEZNS1_25segmented_radix_sort_implIS3_Lb1EPKsPsPKlPlN2at6native12_GLOBAL__N_18offset_tEEE10hipError_tPvRmT1_PNSt15iterator_traitsISK_E10value_typeET2_T3_PNSL_ISQ_E10value_typeET4_jRbjT5_SW_jjP12ihipStream_tbEUlT_E0_NS1_11comp_targetILNS1_3genE2ELNS1_11target_archE906ELNS1_3gpuE6ELNS1_3repE0EEENS1_60segmented_radix_sort_warp_sort_medium_config_static_selectorELNS0_4arch9wavefront6targetE1EEEvSK_,comdat
.Lfunc_end926:
	.size	_ZN7rocprim17ROCPRIM_400000_NS6detail17trampoline_kernelINS0_14default_configENS1_36segmented_radix_sort_config_selectorIslEEZNS1_25segmented_radix_sort_implIS3_Lb1EPKsPsPKlPlN2at6native12_GLOBAL__N_18offset_tEEE10hipError_tPvRmT1_PNSt15iterator_traitsISK_E10value_typeET2_T3_PNSL_ISQ_E10value_typeET4_jRbjT5_SW_jjP12ihipStream_tbEUlT_E0_NS1_11comp_targetILNS1_3genE2ELNS1_11target_archE906ELNS1_3gpuE6ELNS1_3repE0EEENS1_60segmented_radix_sort_warp_sort_medium_config_static_selectorELNS0_4arch9wavefront6targetE1EEEvSK_, .Lfunc_end926-_ZN7rocprim17ROCPRIM_400000_NS6detail17trampoline_kernelINS0_14default_configENS1_36segmented_radix_sort_config_selectorIslEEZNS1_25segmented_radix_sort_implIS3_Lb1EPKsPsPKlPlN2at6native12_GLOBAL__N_18offset_tEEE10hipError_tPvRmT1_PNSt15iterator_traitsISK_E10value_typeET2_T3_PNSL_ISQ_E10value_typeET4_jRbjT5_SW_jjP12ihipStream_tbEUlT_E0_NS1_11comp_targetILNS1_3genE2ELNS1_11target_archE906ELNS1_3gpuE6ELNS1_3repE0EEENS1_60segmented_radix_sort_warp_sort_medium_config_static_selectorELNS0_4arch9wavefront6targetE1EEEvSK_
                                        ; -- End function
	.set _ZN7rocprim17ROCPRIM_400000_NS6detail17trampoline_kernelINS0_14default_configENS1_36segmented_radix_sort_config_selectorIslEEZNS1_25segmented_radix_sort_implIS3_Lb1EPKsPsPKlPlN2at6native12_GLOBAL__N_18offset_tEEE10hipError_tPvRmT1_PNSt15iterator_traitsISK_E10value_typeET2_T3_PNSL_ISQ_E10value_typeET4_jRbjT5_SW_jjP12ihipStream_tbEUlT_E0_NS1_11comp_targetILNS1_3genE2ELNS1_11target_archE906ELNS1_3gpuE6ELNS1_3repE0EEENS1_60segmented_radix_sort_warp_sort_medium_config_static_selectorELNS0_4arch9wavefront6targetE1EEEvSK_.num_vgpr, max(45, .L_ZN7rocprim17ROCPRIM_400000_NS6detail26segmented_warp_sort_helperINS1_20WarpSortHelperConfigILj16ELj8ELj256EEEslLi256ELb1EvE4sortIPKsPsPKlPlEEvT_T0_T1_T2_jjjjRNS5_12storage_typeE.num_vgpr)
	.set _ZN7rocprim17ROCPRIM_400000_NS6detail17trampoline_kernelINS0_14default_configENS1_36segmented_radix_sort_config_selectorIslEEZNS1_25segmented_radix_sort_implIS3_Lb1EPKsPsPKlPlN2at6native12_GLOBAL__N_18offset_tEEE10hipError_tPvRmT1_PNSt15iterator_traitsISK_E10value_typeET2_T3_PNSL_ISQ_E10value_typeET4_jRbjT5_SW_jjP12ihipStream_tbEUlT_E0_NS1_11comp_targetILNS1_3genE2ELNS1_11target_archE906ELNS1_3gpuE6ELNS1_3repE0EEENS1_60segmented_radix_sort_warp_sort_medium_config_static_selectorELNS0_4arch9wavefront6targetE1EEEvSK_.num_agpr, max(0, .L_ZN7rocprim17ROCPRIM_400000_NS6detail26segmented_warp_sort_helperINS1_20WarpSortHelperConfigILj16ELj8ELj256EEEslLi256ELb1EvE4sortIPKsPsPKlPlEEvT_T0_T1_T2_jjjjRNS5_12storage_typeE.num_agpr)
	.set _ZN7rocprim17ROCPRIM_400000_NS6detail17trampoline_kernelINS0_14default_configENS1_36segmented_radix_sort_config_selectorIslEEZNS1_25segmented_radix_sort_implIS3_Lb1EPKsPsPKlPlN2at6native12_GLOBAL__N_18offset_tEEE10hipError_tPvRmT1_PNSt15iterator_traitsISK_E10value_typeET2_T3_PNSL_ISQ_E10value_typeET4_jRbjT5_SW_jjP12ihipStream_tbEUlT_E0_NS1_11comp_targetILNS1_3genE2ELNS1_11target_archE906ELNS1_3gpuE6ELNS1_3repE0EEENS1_60segmented_radix_sort_warp_sort_medium_config_static_selectorELNS0_4arch9wavefront6targetE1EEEvSK_.numbered_sgpr, max(56, .L_ZN7rocprim17ROCPRIM_400000_NS6detail26segmented_warp_sort_helperINS1_20WarpSortHelperConfigILj16ELj8ELj256EEEslLi256ELb1EvE4sortIPKsPsPKlPlEEvT_T0_T1_T2_jjjjRNS5_12storage_typeE.numbered_sgpr)
	.set _ZN7rocprim17ROCPRIM_400000_NS6detail17trampoline_kernelINS0_14default_configENS1_36segmented_radix_sort_config_selectorIslEEZNS1_25segmented_radix_sort_implIS3_Lb1EPKsPsPKlPlN2at6native12_GLOBAL__N_18offset_tEEE10hipError_tPvRmT1_PNSt15iterator_traitsISK_E10value_typeET2_T3_PNSL_ISQ_E10value_typeET4_jRbjT5_SW_jjP12ihipStream_tbEUlT_E0_NS1_11comp_targetILNS1_3genE2ELNS1_11target_archE906ELNS1_3gpuE6ELNS1_3repE0EEENS1_60segmented_radix_sort_warp_sort_medium_config_static_selectorELNS0_4arch9wavefront6targetE1EEEvSK_.num_named_barrier, max(0, .L_ZN7rocprim17ROCPRIM_400000_NS6detail26segmented_warp_sort_helperINS1_20WarpSortHelperConfigILj16ELj8ELj256EEEslLi256ELb1EvE4sortIPKsPsPKlPlEEvT_T0_T1_T2_jjjjRNS5_12storage_typeE.num_named_barrier)
	.set _ZN7rocprim17ROCPRIM_400000_NS6detail17trampoline_kernelINS0_14default_configENS1_36segmented_radix_sort_config_selectorIslEEZNS1_25segmented_radix_sort_implIS3_Lb1EPKsPsPKlPlN2at6native12_GLOBAL__N_18offset_tEEE10hipError_tPvRmT1_PNSt15iterator_traitsISK_E10value_typeET2_T3_PNSL_ISQ_E10value_typeET4_jRbjT5_SW_jjP12ihipStream_tbEUlT_E0_NS1_11comp_targetILNS1_3genE2ELNS1_11target_archE906ELNS1_3gpuE6ELNS1_3repE0EEENS1_60segmented_radix_sort_warp_sort_medium_config_static_selectorELNS0_4arch9wavefront6targetE1EEEvSK_.private_seg_size, 0+max(.L_ZN7rocprim17ROCPRIM_400000_NS6detail26segmented_warp_sort_helperINS1_20WarpSortHelperConfigILj16ELj8ELj256EEEslLi256ELb1EvE4sortIPKsPsPKlPlEEvT_T0_T1_T2_jjjjRNS5_12storage_typeE.private_seg_size)
	.set _ZN7rocprim17ROCPRIM_400000_NS6detail17trampoline_kernelINS0_14default_configENS1_36segmented_radix_sort_config_selectorIslEEZNS1_25segmented_radix_sort_implIS3_Lb1EPKsPsPKlPlN2at6native12_GLOBAL__N_18offset_tEEE10hipError_tPvRmT1_PNSt15iterator_traitsISK_E10value_typeET2_T3_PNSL_ISQ_E10value_typeET4_jRbjT5_SW_jjP12ihipStream_tbEUlT_E0_NS1_11comp_targetILNS1_3genE2ELNS1_11target_archE906ELNS1_3gpuE6ELNS1_3repE0EEENS1_60segmented_radix_sort_warp_sort_medium_config_static_selectorELNS0_4arch9wavefront6targetE1EEEvSK_.uses_vcc, or(1, .L_ZN7rocprim17ROCPRIM_400000_NS6detail26segmented_warp_sort_helperINS1_20WarpSortHelperConfigILj16ELj8ELj256EEEslLi256ELb1EvE4sortIPKsPsPKlPlEEvT_T0_T1_T2_jjjjRNS5_12storage_typeE.uses_vcc)
	.set _ZN7rocprim17ROCPRIM_400000_NS6detail17trampoline_kernelINS0_14default_configENS1_36segmented_radix_sort_config_selectorIslEEZNS1_25segmented_radix_sort_implIS3_Lb1EPKsPsPKlPlN2at6native12_GLOBAL__N_18offset_tEEE10hipError_tPvRmT1_PNSt15iterator_traitsISK_E10value_typeET2_T3_PNSL_ISQ_E10value_typeET4_jRbjT5_SW_jjP12ihipStream_tbEUlT_E0_NS1_11comp_targetILNS1_3genE2ELNS1_11target_archE906ELNS1_3gpuE6ELNS1_3repE0EEENS1_60segmented_radix_sort_warp_sort_medium_config_static_selectorELNS0_4arch9wavefront6targetE1EEEvSK_.uses_flat_scratch, or(0, .L_ZN7rocprim17ROCPRIM_400000_NS6detail26segmented_warp_sort_helperINS1_20WarpSortHelperConfigILj16ELj8ELj256EEEslLi256ELb1EvE4sortIPKsPsPKlPlEEvT_T0_T1_T2_jjjjRNS5_12storage_typeE.uses_flat_scratch)
	.set _ZN7rocprim17ROCPRIM_400000_NS6detail17trampoline_kernelINS0_14default_configENS1_36segmented_radix_sort_config_selectorIslEEZNS1_25segmented_radix_sort_implIS3_Lb1EPKsPsPKlPlN2at6native12_GLOBAL__N_18offset_tEEE10hipError_tPvRmT1_PNSt15iterator_traitsISK_E10value_typeET2_T3_PNSL_ISQ_E10value_typeET4_jRbjT5_SW_jjP12ihipStream_tbEUlT_E0_NS1_11comp_targetILNS1_3genE2ELNS1_11target_archE906ELNS1_3gpuE6ELNS1_3repE0EEENS1_60segmented_radix_sort_warp_sort_medium_config_static_selectorELNS0_4arch9wavefront6targetE1EEEvSK_.has_dyn_sized_stack, or(0, .L_ZN7rocprim17ROCPRIM_400000_NS6detail26segmented_warp_sort_helperINS1_20WarpSortHelperConfigILj16ELj8ELj256EEEslLi256ELb1EvE4sortIPKsPsPKlPlEEvT_T0_T1_T2_jjjjRNS5_12storage_typeE.has_dyn_sized_stack)
	.set _ZN7rocprim17ROCPRIM_400000_NS6detail17trampoline_kernelINS0_14default_configENS1_36segmented_radix_sort_config_selectorIslEEZNS1_25segmented_radix_sort_implIS3_Lb1EPKsPsPKlPlN2at6native12_GLOBAL__N_18offset_tEEE10hipError_tPvRmT1_PNSt15iterator_traitsISK_E10value_typeET2_T3_PNSL_ISQ_E10value_typeET4_jRbjT5_SW_jjP12ihipStream_tbEUlT_E0_NS1_11comp_targetILNS1_3genE2ELNS1_11target_archE906ELNS1_3gpuE6ELNS1_3repE0EEENS1_60segmented_radix_sort_warp_sort_medium_config_static_selectorELNS0_4arch9wavefront6targetE1EEEvSK_.has_recursion, or(0, .L_ZN7rocprim17ROCPRIM_400000_NS6detail26segmented_warp_sort_helperINS1_20WarpSortHelperConfigILj16ELj8ELj256EEEslLi256ELb1EvE4sortIPKsPsPKlPlEEvT_T0_T1_T2_jjjjRNS5_12storage_typeE.has_recursion)
	.set _ZN7rocprim17ROCPRIM_400000_NS6detail17trampoline_kernelINS0_14default_configENS1_36segmented_radix_sort_config_selectorIslEEZNS1_25segmented_radix_sort_implIS3_Lb1EPKsPsPKlPlN2at6native12_GLOBAL__N_18offset_tEEE10hipError_tPvRmT1_PNSt15iterator_traitsISK_E10value_typeET2_T3_PNSL_ISQ_E10value_typeET4_jRbjT5_SW_jjP12ihipStream_tbEUlT_E0_NS1_11comp_targetILNS1_3genE2ELNS1_11target_archE906ELNS1_3gpuE6ELNS1_3repE0EEENS1_60segmented_radix_sort_warp_sort_medium_config_static_selectorELNS0_4arch9wavefront6targetE1EEEvSK_.has_indirect_call, or(0, .L_ZN7rocprim17ROCPRIM_400000_NS6detail26segmented_warp_sort_helperINS1_20WarpSortHelperConfigILj16ELj8ELj256EEEslLi256ELb1EvE4sortIPKsPsPKlPlEEvT_T0_T1_T2_jjjjRNS5_12storage_typeE.has_indirect_call)
	.section	.AMDGPU.csdata,"",@progbits
; Kernel info:
; codeLenInByte = 484
; TotalNumSgprs: 66
; NumVgprs: 70
; ScratchSize: 0
; MemoryBound: 0
; FloatMode: 240
; IeeeMode: 1
; LDSByteSize: 20480 bytes/workgroup (compile time only)
; SGPRBlocks: 12
; VGPRBlocks: 17
; NumSGPRsForWavesPerEU: 102
; NumVGPRsForWavesPerEU: 70
; Occupancy: 3
; WaveLimiterHint : 0
; COMPUTE_PGM_RSRC2:SCRATCH_EN: 0
; COMPUTE_PGM_RSRC2:USER_SGPR: 6
; COMPUTE_PGM_RSRC2:TRAP_HANDLER: 0
; COMPUTE_PGM_RSRC2:TGID_X_EN: 1
; COMPUTE_PGM_RSRC2:TGID_Y_EN: 1
; COMPUTE_PGM_RSRC2:TGID_Z_EN: 0
; COMPUTE_PGM_RSRC2:TIDIG_COMP_CNT: 2
	.section	.text._ZN7rocprim17ROCPRIM_400000_NS6detail17trampoline_kernelINS0_14default_configENS1_36segmented_radix_sort_config_selectorIslEEZNS1_25segmented_radix_sort_implIS3_Lb1EPKsPsPKlPlN2at6native12_GLOBAL__N_18offset_tEEE10hipError_tPvRmT1_PNSt15iterator_traitsISK_E10value_typeET2_T3_PNSL_ISQ_E10value_typeET4_jRbjT5_SW_jjP12ihipStream_tbEUlT_E0_NS1_11comp_targetILNS1_3genE10ELNS1_11target_archE1201ELNS1_3gpuE5ELNS1_3repE0EEENS1_60segmented_radix_sort_warp_sort_medium_config_static_selectorELNS0_4arch9wavefront6targetE1EEEvSK_,"axG",@progbits,_ZN7rocprim17ROCPRIM_400000_NS6detail17trampoline_kernelINS0_14default_configENS1_36segmented_radix_sort_config_selectorIslEEZNS1_25segmented_radix_sort_implIS3_Lb1EPKsPsPKlPlN2at6native12_GLOBAL__N_18offset_tEEE10hipError_tPvRmT1_PNSt15iterator_traitsISK_E10value_typeET2_T3_PNSL_ISQ_E10value_typeET4_jRbjT5_SW_jjP12ihipStream_tbEUlT_E0_NS1_11comp_targetILNS1_3genE10ELNS1_11target_archE1201ELNS1_3gpuE5ELNS1_3repE0EEENS1_60segmented_radix_sort_warp_sort_medium_config_static_selectorELNS0_4arch9wavefront6targetE1EEEvSK_,comdat
	.globl	_ZN7rocprim17ROCPRIM_400000_NS6detail17trampoline_kernelINS0_14default_configENS1_36segmented_radix_sort_config_selectorIslEEZNS1_25segmented_radix_sort_implIS3_Lb1EPKsPsPKlPlN2at6native12_GLOBAL__N_18offset_tEEE10hipError_tPvRmT1_PNSt15iterator_traitsISK_E10value_typeET2_T3_PNSL_ISQ_E10value_typeET4_jRbjT5_SW_jjP12ihipStream_tbEUlT_E0_NS1_11comp_targetILNS1_3genE10ELNS1_11target_archE1201ELNS1_3gpuE5ELNS1_3repE0EEENS1_60segmented_radix_sort_warp_sort_medium_config_static_selectorELNS0_4arch9wavefront6targetE1EEEvSK_ ; -- Begin function _ZN7rocprim17ROCPRIM_400000_NS6detail17trampoline_kernelINS0_14default_configENS1_36segmented_radix_sort_config_selectorIslEEZNS1_25segmented_radix_sort_implIS3_Lb1EPKsPsPKlPlN2at6native12_GLOBAL__N_18offset_tEEE10hipError_tPvRmT1_PNSt15iterator_traitsISK_E10value_typeET2_T3_PNSL_ISQ_E10value_typeET4_jRbjT5_SW_jjP12ihipStream_tbEUlT_E0_NS1_11comp_targetILNS1_3genE10ELNS1_11target_archE1201ELNS1_3gpuE5ELNS1_3repE0EEENS1_60segmented_radix_sort_warp_sort_medium_config_static_selectorELNS0_4arch9wavefront6targetE1EEEvSK_
	.p2align	8
	.type	_ZN7rocprim17ROCPRIM_400000_NS6detail17trampoline_kernelINS0_14default_configENS1_36segmented_radix_sort_config_selectorIslEEZNS1_25segmented_radix_sort_implIS3_Lb1EPKsPsPKlPlN2at6native12_GLOBAL__N_18offset_tEEE10hipError_tPvRmT1_PNSt15iterator_traitsISK_E10value_typeET2_T3_PNSL_ISQ_E10value_typeET4_jRbjT5_SW_jjP12ihipStream_tbEUlT_E0_NS1_11comp_targetILNS1_3genE10ELNS1_11target_archE1201ELNS1_3gpuE5ELNS1_3repE0EEENS1_60segmented_radix_sort_warp_sort_medium_config_static_selectorELNS0_4arch9wavefront6targetE1EEEvSK_,@function
_ZN7rocprim17ROCPRIM_400000_NS6detail17trampoline_kernelINS0_14default_configENS1_36segmented_radix_sort_config_selectorIslEEZNS1_25segmented_radix_sort_implIS3_Lb1EPKsPsPKlPlN2at6native12_GLOBAL__N_18offset_tEEE10hipError_tPvRmT1_PNSt15iterator_traitsISK_E10value_typeET2_T3_PNSL_ISQ_E10value_typeET4_jRbjT5_SW_jjP12ihipStream_tbEUlT_E0_NS1_11comp_targetILNS1_3genE10ELNS1_11target_archE1201ELNS1_3gpuE5ELNS1_3repE0EEENS1_60segmented_radix_sort_warp_sort_medium_config_static_selectorELNS0_4arch9wavefront6targetE1EEEvSK_: ; @_ZN7rocprim17ROCPRIM_400000_NS6detail17trampoline_kernelINS0_14default_configENS1_36segmented_radix_sort_config_selectorIslEEZNS1_25segmented_radix_sort_implIS3_Lb1EPKsPsPKlPlN2at6native12_GLOBAL__N_18offset_tEEE10hipError_tPvRmT1_PNSt15iterator_traitsISK_E10value_typeET2_T3_PNSL_ISQ_E10value_typeET4_jRbjT5_SW_jjP12ihipStream_tbEUlT_E0_NS1_11comp_targetILNS1_3genE10ELNS1_11target_archE1201ELNS1_3gpuE5ELNS1_3repE0EEENS1_60segmented_radix_sort_warp_sort_medium_config_static_selectorELNS0_4arch9wavefront6targetE1EEEvSK_
; %bb.0:
	.section	.rodata,"a",@progbits
	.p2align	6, 0x0
	.amdhsa_kernel _ZN7rocprim17ROCPRIM_400000_NS6detail17trampoline_kernelINS0_14default_configENS1_36segmented_radix_sort_config_selectorIslEEZNS1_25segmented_radix_sort_implIS3_Lb1EPKsPsPKlPlN2at6native12_GLOBAL__N_18offset_tEEE10hipError_tPvRmT1_PNSt15iterator_traitsISK_E10value_typeET2_T3_PNSL_ISQ_E10value_typeET4_jRbjT5_SW_jjP12ihipStream_tbEUlT_E0_NS1_11comp_targetILNS1_3genE10ELNS1_11target_archE1201ELNS1_3gpuE5ELNS1_3repE0EEENS1_60segmented_radix_sort_warp_sort_medium_config_static_selectorELNS0_4arch9wavefront6targetE1EEEvSK_
		.amdhsa_group_segment_fixed_size 0
		.amdhsa_private_segment_fixed_size 0
		.amdhsa_kernarg_size 88
		.amdhsa_user_sgpr_count 6
		.amdhsa_user_sgpr_private_segment_buffer 1
		.amdhsa_user_sgpr_dispatch_ptr 0
		.amdhsa_user_sgpr_queue_ptr 0
		.amdhsa_user_sgpr_kernarg_segment_ptr 1
		.amdhsa_user_sgpr_dispatch_id 0
		.amdhsa_user_sgpr_flat_scratch_init 0
		.amdhsa_user_sgpr_private_segment_size 0
		.amdhsa_uses_dynamic_stack 0
		.amdhsa_system_sgpr_private_segment_wavefront_offset 0
		.amdhsa_system_sgpr_workgroup_id_x 1
		.amdhsa_system_sgpr_workgroup_id_y 0
		.amdhsa_system_sgpr_workgroup_id_z 0
		.amdhsa_system_sgpr_workgroup_info 0
		.amdhsa_system_vgpr_workitem_id 0
		.amdhsa_next_free_vgpr 1
		.amdhsa_next_free_sgpr 0
		.amdhsa_reserve_vcc 0
		.amdhsa_reserve_flat_scratch 0
		.amdhsa_float_round_mode_32 0
		.amdhsa_float_round_mode_16_64 0
		.amdhsa_float_denorm_mode_32 3
		.amdhsa_float_denorm_mode_16_64 3
		.amdhsa_dx10_clamp 1
		.amdhsa_ieee_mode 1
		.amdhsa_fp16_overflow 0
		.amdhsa_exception_fp_ieee_invalid_op 0
		.amdhsa_exception_fp_denorm_src 0
		.amdhsa_exception_fp_ieee_div_zero 0
		.amdhsa_exception_fp_ieee_overflow 0
		.amdhsa_exception_fp_ieee_underflow 0
		.amdhsa_exception_fp_ieee_inexact 0
		.amdhsa_exception_int_div_zero 0
	.end_amdhsa_kernel
	.section	.text._ZN7rocprim17ROCPRIM_400000_NS6detail17trampoline_kernelINS0_14default_configENS1_36segmented_radix_sort_config_selectorIslEEZNS1_25segmented_radix_sort_implIS3_Lb1EPKsPsPKlPlN2at6native12_GLOBAL__N_18offset_tEEE10hipError_tPvRmT1_PNSt15iterator_traitsISK_E10value_typeET2_T3_PNSL_ISQ_E10value_typeET4_jRbjT5_SW_jjP12ihipStream_tbEUlT_E0_NS1_11comp_targetILNS1_3genE10ELNS1_11target_archE1201ELNS1_3gpuE5ELNS1_3repE0EEENS1_60segmented_radix_sort_warp_sort_medium_config_static_selectorELNS0_4arch9wavefront6targetE1EEEvSK_,"axG",@progbits,_ZN7rocprim17ROCPRIM_400000_NS6detail17trampoline_kernelINS0_14default_configENS1_36segmented_radix_sort_config_selectorIslEEZNS1_25segmented_radix_sort_implIS3_Lb1EPKsPsPKlPlN2at6native12_GLOBAL__N_18offset_tEEE10hipError_tPvRmT1_PNSt15iterator_traitsISK_E10value_typeET2_T3_PNSL_ISQ_E10value_typeET4_jRbjT5_SW_jjP12ihipStream_tbEUlT_E0_NS1_11comp_targetILNS1_3genE10ELNS1_11target_archE1201ELNS1_3gpuE5ELNS1_3repE0EEENS1_60segmented_radix_sort_warp_sort_medium_config_static_selectorELNS0_4arch9wavefront6targetE1EEEvSK_,comdat
.Lfunc_end927:
	.size	_ZN7rocprim17ROCPRIM_400000_NS6detail17trampoline_kernelINS0_14default_configENS1_36segmented_radix_sort_config_selectorIslEEZNS1_25segmented_radix_sort_implIS3_Lb1EPKsPsPKlPlN2at6native12_GLOBAL__N_18offset_tEEE10hipError_tPvRmT1_PNSt15iterator_traitsISK_E10value_typeET2_T3_PNSL_ISQ_E10value_typeET4_jRbjT5_SW_jjP12ihipStream_tbEUlT_E0_NS1_11comp_targetILNS1_3genE10ELNS1_11target_archE1201ELNS1_3gpuE5ELNS1_3repE0EEENS1_60segmented_radix_sort_warp_sort_medium_config_static_selectorELNS0_4arch9wavefront6targetE1EEEvSK_, .Lfunc_end927-_ZN7rocprim17ROCPRIM_400000_NS6detail17trampoline_kernelINS0_14default_configENS1_36segmented_radix_sort_config_selectorIslEEZNS1_25segmented_radix_sort_implIS3_Lb1EPKsPsPKlPlN2at6native12_GLOBAL__N_18offset_tEEE10hipError_tPvRmT1_PNSt15iterator_traitsISK_E10value_typeET2_T3_PNSL_ISQ_E10value_typeET4_jRbjT5_SW_jjP12ihipStream_tbEUlT_E0_NS1_11comp_targetILNS1_3genE10ELNS1_11target_archE1201ELNS1_3gpuE5ELNS1_3repE0EEENS1_60segmented_radix_sort_warp_sort_medium_config_static_selectorELNS0_4arch9wavefront6targetE1EEEvSK_
                                        ; -- End function
	.set _ZN7rocprim17ROCPRIM_400000_NS6detail17trampoline_kernelINS0_14default_configENS1_36segmented_radix_sort_config_selectorIslEEZNS1_25segmented_radix_sort_implIS3_Lb1EPKsPsPKlPlN2at6native12_GLOBAL__N_18offset_tEEE10hipError_tPvRmT1_PNSt15iterator_traitsISK_E10value_typeET2_T3_PNSL_ISQ_E10value_typeET4_jRbjT5_SW_jjP12ihipStream_tbEUlT_E0_NS1_11comp_targetILNS1_3genE10ELNS1_11target_archE1201ELNS1_3gpuE5ELNS1_3repE0EEENS1_60segmented_radix_sort_warp_sort_medium_config_static_selectorELNS0_4arch9wavefront6targetE1EEEvSK_.num_vgpr, 0
	.set _ZN7rocprim17ROCPRIM_400000_NS6detail17trampoline_kernelINS0_14default_configENS1_36segmented_radix_sort_config_selectorIslEEZNS1_25segmented_radix_sort_implIS3_Lb1EPKsPsPKlPlN2at6native12_GLOBAL__N_18offset_tEEE10hipError_tPvRmT1_PNSt15iterator_traitsISK_E10value_typeET2_T3_PNSL_ISQ_E10value_typeET4_jRbjT5_SW_jjP12ihipStream_tbEUlT_E0_NS1_11comp_targetILNS1_3genE10ELNS1_11target_archE1201ELNS1_3gpuE5ELNS1_3repE0EEENS1_60segmented_radix_sort_warp_sort_medium_config_static_selectorELNS0_4arch9wavefront6targetE1EEEvSK_.num_agpr, 0
	.set _ZN7rocprim17ROCPRIM_400000_NS6detail17trampoline_kernelINS0_14default_configENS1_36segmented_radix_sort_config_selectorIslEEZNS1_25segmented_radix_sort_implIS3_Lb1EPKsPsPKlPlN2at6native12_GLOBAL__N_18offset_tEEE10hipError_tPvRmT1_PNSt15iterator_traitsISK_E10value_typeET2_T3_PNSL_ISQ_E10value_typeET4_jRbjT5_SW_jjP12ihipStream_tbEUlT_E0_NS1_11comp_targetILNS1_3genE10ELNS1_11target_archE1201ELNS1_3gpuE5ELNS1_3repE0EEENS1_60segmented_radix_sort_warp_sort_medium_config_static_selectorELNS0_4arch9wavefront6targetE1EEEvSK_.numbered_sgpr, 0
	.set _ZN7rocprim17ROCPRIM_400000_NS6detail17trampoline_kernelINS0_14default_configENS1_36segmented_radix_sort_config_selectorIslEEZNS1_25segmented_radix_sort_implIS3_Lb1EPKsPsPKlPlN2at6native12_GLOBAL__N_18offset_tEEE10hipError_tPvRmT1_PNSt15iterator_traitsISK_E10value_typeET2_T3_PNSL_ISQ_E10value_typeET4_jRbjT5_SW_jjP12ihipStream_tbEUlT_E0_NS1_11comp_targetILNS1_3genE10ELNS1_11target_archE1201ELNS1_3gpuE5ELNS1_3repE0EEENS1_60segmented_radix_sort_warp_sort_medium_config_static_selectorELNS0_4arch9wavefront6targetE1EEEvSK_.num_named_barrier, 0
	.set _ZN7rocprim17ROCPRIM_400000_NS6detail17trampoline_kernelINS0_14default_configENS1_36segmented_radix_sort_config_selectorIslEEZNS1_25segmented_radix_sort_implIS3_Lb1EPKsPsPKlPlN2at6native12_GLOBAL__N_18offset_tEEE10hipError_tPvRmT1_PNSt15iterator_traitsISK_E10value_typeET2_T3_PNSL_ISQ_E10value_typeET4_jRbjT5_SW_jjP12ihipStream_tbEUlT_E0_NS1_11comp_targetILNS1_3genE10ELNS1_11target_archE1201ELNS1_3gpuE5ELNS1_3repE0EEENS1_60segmented_radix_sort_warp_sort_medium_config_static_selectorELNS0_4arch9wavefront6targetE1EEEvSK_.private_seg_size, 0
	.set _ZN7rocprim17ROCPRIM_400000_NS6detail17trampoline_kernelINS0_14default_configENS1_36segmented_radix_sort_config_selectorIslEEZNS1_25segmented_radix_sort_implIS3_Lb1EPKsPsPKlPlN2at6native12_GLOBAL__N_18offset_tEEE10hipError_tPvRmT1_PNSt15iterator_traitsISK_E10value_typeET2_T3_PNSL_ISQ_E10value_typeET4_jRbjT5_SW_jjP12ihipStream_tbEUlT_E0_NS1_11comp_targetILNS1_3genE10ELNS1_11target_archE1201ELNS1_3gpuE5ELNS1_3repE0EEENS1_60segmented_radix_sort_warp_sort_medium_config_static_selectorELNS0_4arch9wavefront6targetE1EEEvSK_.uses_vcc, 0
	.set _ZN7rocprim17ROCPRIM_400000_NS6detail17trampoline_kernelINS0_14default_configENS1_36segmented_radix_sort_config_selectorIslEEZNS1_25segmented_radix_sort_implIS3_Lb1EPKsPsPKlPlN2at6native12_GLOBAL__N_18offset_tEEE10hipError_tPvRmT1_PNSt15iterator_traitsISK_E10value_typeET2_T3_PNSL_ISQ_E10value_typeET4_jRbjT5_SW_jjP12ihipStream_tbEUlT_E0_NS1_11comp_targetILNS1_3genE10ELNS1_11target_archE1201ELNS1_3gpuE5ELNS1_3repE0EEENS1_60segmented_radix_sort_warp_sort_medium_config_static_selectorELNS0_4arch9wavefront6targetE1EEEvSK_.uses_flat_scratch, 0
	.set _ZN7rocprim17ROCPRIM_400000_NS6detail17trampoline_kernelINS0_14default_configENS1_36segmented_radix_sort_config_selectorIslEEZNS1_25segmented_radix_sort_implIS3_Lb1EPKsPsPKlPlN2at6native12_GLOBAL__N_18offset_tEEE10hipError_tPvRmT1_PNSt15iterator_traitsISK_E10value_typeET2_T3_PNSL_ISQ_E10value_typeET4_jRbjT5_SW_jjP12ihipStream_tbEUlT_E0_NS1_11comp_targetILNS1_3genE10ELNS1_11target_archE1201ELNS1_3gpuE5ELNS1_3repE0EEENS1_60segmented_radix_sort_warp_sort_medium_config_static_selectorELNS0_4arch9wavefront6targetE1EEEvSK_.has_dyn_sized_stack, 0
	.set _ZN7rocprim17ROCPRIM_400000_NS6detail17trampoline_kernelINS0_14default_configENS1_36segmented_radix_sort_config_selectorIslEEZNS1_25segmented_radix_sort_implIS3_Lb1EPKsPsPKlPlN2at6native12_GLOBAL__N_18offset_tEEE10hipError_tPvRmT1_PNSt15iterator_traitsISK_E10value_typeET2_T3_PNSL_ISQ_E10value_typeET4_jRbjT5_SW_jjP12ihipStream_tbEUlT_E0_NS1_11comp_targetILNS1_3genE10ELNS1_11target_archE1201ELNS1_3gpuE5ELNS1_3repE0EEENS1_60segmented_radix_sort_warp_sort_medium_config_static_selectorELNS0_4arch9wavefront6targetE1EEEvSK_.has_recursion, 0
	.set _ZN7rocprim17ROCPRIM_400000_NS6detail17trampoline_kernelINS0_14default_configENS1_36segmented_radix_sort_config_selectorIslEEZNS1_25segmented_radix_sort_implIS3_Lb1EPKsPsPKlPlN2at6native12_GLOBAL__N_18offset_tEEE10hipError_tPvRmT1_PNSt15iterator_traitsISK_E10value_typeET2_T3_PNSL_ISQ_E10value_typeET4_jRbjT5_SW_jjP12ihipStream_tbEUlT_E0_NS1_11comp_targetILNS1_3genE10ELNS1_11target_archE1201ELNS1_3gpuE5ELNS1_3repE0EEENS1_60segmented_radix_sort_warp_sort_medium_config_static_selectorELNS0_4arch9wavefront6targetE1EEEvSK_.has_indirect_call, 0
	.section	.AMDGPU.csdata,"",@progbits
; Kernel info:
; codeLenInByte = 0
; TotalNumSgprs: 4
; NumVgprs: 0
; ScratchSize: 0
; MemoryBound: 0
; FloatMode: 240
; IeeeMode: 1
; LDSByteSize: 0 bytes/workgroup (compile time only)
; SGPRBlocks: 0
; VGPRBlocks: 0
; NumSGPRsForWavesPerEU: 4
; NumVGPRsForWavesPerEU: 1
; Occupancy: 10
; WaveLimiterHint : 0
; COMPUTE_PGM_RSRC2:SCRATCH_EN: 0
; COMPUTE_PGM_RSRC2:USER_SGPR: 6
; COMPUTE_PGM_RSRC2:TRAP_HANDLER: 0
; COMPUTE_PGM_RSRC2:TGID_X_EN: 1
; COMPUTE_PGM_RSRC2:TGID_Y_EN: 0
; COMPUTE_PGM_RSRC2:TGID_Z_EN: 0
; COMPUTE_PGM_RSRC2:TIDIG_COMP_CNT: 0
	.section	.text._ZN7rocprim17ROCPRIM_400000_NS6detail17trampoline_kernelINS0_14default_configENS1_36segmented_radix_sort_config_selectorIslEEZNS1_25segmented_radix_sort_implIS3_Lb1EPKsPsPKlPlN2at6native12_GLOBAL__N_18offset_tEEE10hipError_tPvRmT1_PNSt15iterator_traitsISK_E10value_typeET2_T3_PNSL_ISQ_E10value_typeET4_jRbjT5_SW_jjP12ihipStream_tbEUlT_E0_NS1_11comp_targetILNS1_3genE10ELNS1_11target_archE1200ELNS1_3gpuE4ELNS1_3repE0EEENS1_60segmented_radix_sort_warp_sort_medium_config_static_selectorELNS0_4arch9wavefront6targetE1EEEvSK_,"axG",@progbits,_ZN7rocprim17ROCPRIM_400000_NS6detail17trampoline_kernelINS0_14default_configENS1_36segmented_radix_sort_config_selectorIslEEZNS1_25segmented_radix_sort_implIS3_Lb1EPKsPsPKlPlN2at6native12_GLOBAL__N_18offset_tEEE10hipError_tPvRmT1_PNSt15iterator_traitsISK_E10value_typeET2_T3_PNSL_ISQ_E10value_typeET4_jRbjT5_SW_jjP12ihipStream_tbEUlT_E0_NS1_11comp_targetILNS1_3genE10ELNS1_11target_archE1200ELNS1_3gpuE4ELNS1_3repE0EEENS1_60segmented_radix_sort_warp_sort_medium_config_static_selectorELNS0_4arch9wavefront6targetE1EEEvSK_,comdat
	.globl	_ZN7rocprim17ROCPRIM_400000_NS6detail17trampoline_kernelINS0_14default_configENS1_36segmented_radix_sort_config_selectorIslEEZNS1_25segmented_radix_sort_implIS3_Lb1EPKsPsPKlPlN2at6native12_GLOBAL__N_18offset_tEEE10hipError_tPvRmT1_PNSt15iterator_traitsISK_E10value_typeET2_T3_PNSL_ISQ_E10value_typeET4_jRbjT5_SW_jjP12ihipStream_tbEUlT_E0_NS1_11comp_targetILNS1_3genE10ELNS1_11target_archE1200ELNS1_3gpuE4ELNS1_3repE0EEENS1_60segmented_radix_sort_warp_sort_medium_config_static_selectorELNS0_4arch9wavefront6targetE1EEEvSK_ ; -- Begin function _ZN7rocprim17ROCPRIM_400000_NS6detail17trampoline_kernelINS0_14default_configENS1_36segmented_radix_sort_config_selectorIslEEZNS1_25segmented_radix_sort_implIS3_Lb1EPKsPsPKlPlN2at6native12_GLOBAL__N_18offset_tEEE10hipError_tPvRmT1_PNSt15iterator_traitsISK_E10value_typeET2_T3_PNSL_ISQ_E10value_typeET4_jRbjT5_SW_jjP12ihipStream_tbEUlT_E0_NS1_11comp_targetILNS1_3genE10ELNS1_11target_archE1200ELNS1_3gpuE4ELNS1_3repE0EEENS1_60segmented_radix_sort_warp_sort_medium_config_static_selectorELNS0_4arch9wavefront6targetE1EEEvSK_
	.p2align	8
	.type	_ZN7rocprim17ROCPRIM_400000_NS6detail17trampoline_kernelINS0_14default_configENS1_36segmented_radix_sort_config_selectorIslEEZNS1_25segmented_radix_sort_implIS3_Lb1EPKsPsPKlPlN2at6native12_GLOBAL__N_18offset_tEEE10hipError_tPvRmT1_PNSt15iterator_traitsISK_E10value_typeET2_T3_PNSL_ISQ_E10value_typeET4_jRbjT5_SW_jjP12ihipStream_tbEUlT_E0_NS1_11comp_targetILNS1_3genE10ELNS1_11target_archE1200ELNS1_3gpuE4ELNS1_3repE0EEENS1_60segmented_radix_sort_warp_sort_medium_config_static_selectorELNS0_4arch9wavefront6targetE1EEEvSK_,@function
_ZN7rocprim17ROCPRIM_400000_NS6detail17trampoline_kernelINS0_14default_configENS1_36segmented_radix_sort_config_selectorIslEEZNS1_25segmented_radix_sort_implIS3_Lb1EPKsPsPKlPlN2at6native12_GLOBAL__N_18offset_tEEE10hipError_tPvRmT1_PNSt15iterator_traitsISK_E10value_typeET2_T3_PNSL_ISQ_E10value_typeET4_jRbjT5_SW_jjP12ihipStream_tbEUlT_E0_NS1_11comp_targetILNS1_3genE10ELNS1_11target_archE1200ELNS1_3gpuE4ELNS1_3repE0EEENS1_60segmented_radix_sort_warp_sort_medium_config_static_selectorELNS0_4arch9wavefront6targetE1EEEvSK_: ; @_ZN7rocprim17ROCPRIM_400000_NS6detail17trampoline_kernelINS0_14default_configENS1_36segmented_radix_sort_config_selectorIslEEZNS1_25segmented_radix_sort_implIS3_Lb1EPKsPsPKlPlN2at6native12_GLOBAL__N_18offset_tEEE10hipError_tPvRmT1_PNSt15iterator_traitsISK_E10value_typeET2_T3_PNSL_ISQ_E10value_typeET4_jRbjT5_SW_jjP12ihipStream_tbEUlT_E0_NS1_11comp_targetILNS1_3genE10ELNS1_11target_archE1200ELNS1_3gpuE4ELNS1_3repE0EEENS1_60segmented_radix_sort_warp_sort_medium_config_static_selectorELNS0_4arch9wavefront6targetE1EEEvSK_
; %bb.0:
	.section	.rodata,"a",@progbits
	.p2align	6, 0x0
	.amdhsa_kernel _ZN7rocprim17ROCPRIM_400000_NS6detail17trampoline_kernelINS0_14default_configENS1_36segmented_radix_sort_config_selectorIslEEZNS1_25segmented_radix_sort_implIS3_Lb1EPKsPsPKlPlN2at6native12_GLOBAL__N_18offset_tEEE10hipError_tPvRmT1_PNSt15iterator_traitsISK_E10value_typeET2_T3_PNSL_ISQ_E10value_typeET4_jRbjT5_SW_jjP12ihipStream_tbEUlT_E0_NS1_11comp_targetILNS1_3genE10ELNS1_11target_archE1200ELNS1_3gpuE4ELNS1_3repE0EEENS1_60segmented_radix_sort_warp_sort_medium_config_static_selectorELNS0_4arch9wavefront6targetE1EEEvSK_
		.amdhsa_group_segment_fixed_size 0
		.amdhsa_private_segment_fixed_size 0
		.amdhsa_kernarg_size 88
		.amdhsa_user_sgpr_count 6
		.amdhsa_user_sgpr_private_segment_buffer 1
		.amdhsa_user_sgpr_dispatch_ptr 0
		.amdhsa_user_sgpr_queue_ptr 0
		.amdhsa_user_sgpr_kernarg_segment_ptr 1
		.amdhsa_user_sgpr_dispatch_id 0
		.amdhsa_user_sgpr_flat_scratch_init 0
		.amdhsa_user_sgpr_private_segment_size 0
		.amdhsa_uses_dynamic_stack 0
		.amdhsa_system_sgpr_private_segment_wavefront_offset 0
		.amdhsa_system_sgpr_workgroup_id_x 1
		.amdhsa_system_sgpr_workgroup_id_y 0
		.amdhsa_system_sgpr_workgroup_id_z 0
		.amdhsa_system_sgpr_workgroup_info 0
		.amdhsa_system_vgpr_workitem_id 0
		.amdhsa_next_free_vgpr 1
		.amdhsa_next_free_sgpr 0
		.amdhsa_reserve_vcc 0
		.amdhsa_reserve_flat_scratch 0
		.amdhsa_float_round_mode_32 0
		.amdhsa_float_round_mode_16_64 0
		.amdhsa_float_denorm_mode_32 3
		.amdhsa_float_denorm_mode_16_64 3
		.amdhsa_dx10_clamp 1
		.amdhsa_ieee_mode 1
		.amdhsa_fp16_overflow 0
		.amdhsa_exception_fp_ieee_invalid_op 0
		.amdhsa_exception_fp_denorm_src 0
		.amdhsa_exception_fp_ieee_div_zero 0
		.amdhsa_exception_fp_ieee_overflow 0
		.amdhsa_exception_fp_ieee_underflow 0
		.amdhsa_exception_fp_ieee_inexact 0
		.amdhsa_exception_int_div_zero 0
	.end_amdhsa_kernel
	.section	.text._ZN7rocprim17ROCPRIM_400000_NS6detail17trampoline_kernelINS0_14default_configENS1_36segmented_radix_sort_config_selectorIslEEZNS1_25segmented_radix_sort_implIS3_Lb1EPKsPsPKlPlN2at6native12_GLOBAL__N_18offset_tEEE10hipError_tPvRmT1_PNSt15iterator_traitsISK_E10value_typeET2_T3_PNSL_ISQ_E10value_typeET4_jRbjT5_SW_jjP12ihipStream_tbEUlT_E0_NS1_11comp_targetILNS1_3genE10ELNS1_11target_archE1200ELNS1_3gpuE4ELNS1_3repE0EEENS1_60segmented_radix_sort_warp_sort_medium_config_static_selectorELNS0_4arch9wavefront6targetE1EEEvSK_,"axG",@progbits,_ZN7rocprim17ROCPRIM_400000_NS6detail17trampoline_kernelINS0_14default_configENS1_36segmented_radix_sort_config_selectorIslEEZNS1_25segmented_radix_sort_implIS3_Lb1EPKsPsPKlPlN2at6native12_GLOBAL__N_18offset_tEEE10hipError_tPvRmT1_PNSt15iterator_traitsISK_E10value_typeET2_T3_PNSL_ISQ_E10value_typeET4_jRbjT5_SW_jjP12ihipStream_tbEUlT_E0_NS1_11comp_targetILNS1_3genE10ELNS1_11target_archE1200ELNS1_3gpuE4ELNS1_3repE0EEENS1_60segmented_radix_sort_warp_sort_medium_config_static_selectorELNS0_4arch9wavefront6targetE1EEEvSK_,comdat
.Lfunc_end928:
	.size	_ZN7rocprim17ROCPRIM_400000_NS6detail17trampoline_kernelINS0_14default_configENS1_36segmented_radix_sort_config_selectorIslEEZNS1_25segmented_radix_sort_implIS3_Lb1EPKsPsPKlPlN2at6native12_GLOBAL__N_18offset_tEEE10hipError_tPvRmT1_PNSt15iterator_traitsISK_E10value_typeET2_T3_PNSL_ISQ_E10value_typeET4_jRbjT5_SW_jjP12ihipStream_tbEUlT_E0_NS1_11comp_targetILNS1_3genE10ELNS1_11target_archE1200ELNS1_3gpuE4ELNS1_3repE0EEENS1_60segmented_radix_sort_warp_sort_medium_config_static_selectorELNS0_4arch9wavefront6targetE1EEEvSK_, .Lfunc_end928-_ZN7rocprim17ROCPRIM_400000_NS6detail17trampoline_kernelINS0_14default_configENS1_36segmented_radix_sort_config_selectorIslEEZNS1_25segmented_radix_sort_implIS3_Lb1EPKsPsPKlPlN2at6native12_GLOBAL__N_18offset_tEEE10hipError_tPvRmT1_PNSt15iterator_traitsISK_E10value_typeET2_T3_PNSL_ISQ_E10value_typeET4_jRbjT5_SW_jjP12ihipStream_tbEUlT_E0_NS1_11comp_targetILNS1_3genE10ELNS1_11target_archE1200ELNS1_3gpuE4ELNS1_3repE0EEENS1_60segmented_radix_sort_warp_sort_medium_config_static_selectorELNS0_4arch9wavefront6targetE1EEEvSK_
                                        ; -- End function
	.set _ZN7rocprim17ROCPRIM_400000_NS6detail17trampoline_kernelINS0_14default_configENS1_36segmented_radix_sort_config_selectorIslEEZNS1_25segmented_radix_sort_implIS3_Lb1EPKsPsPKlPlN2at6native12_GLOBAL__N_18offset_tEEE10hipError_tPvRmT1_PNSt15iterator_traitsISK_E10value_typeET2_T3_PNSL_ISQ_E10value_typeET4_jRbjT5_SW_jjP12ihipStream_tbEUlT_E0_NS1_11comp_targetILNS1_3genE10ELNS1_11target_archE1200ELNS1_3gpuE4ELNS1_3repE0EEENS1_60segmented_radix_sort_warp_sort_medium_config_static_selectorELNS0_4arch9wavefront6targetE1EEEvSK_.num_vgpr, 0
	.set _ZN7rocprim17ROCPRIM_400000_NS6detail17trampoline_kernelINS0_14default_configENS1_36segmented_radix_sort_config_selectorIslEEZNS1_25segmented_radix_sort_implIS3_Lb1EPKsPsPKlPlN2at6native12_GLOBAL__N_18offset_tEEE10hipError_tPvRmT1_PNSt15iterator_traitsISK_E10value_typeET2_T3_PNSL_ISQ_E10value_typeET4_jRbjT5_SW_jjP12ihipStream_tbEUlT_E0_NS1_11comp_targetILNS1_3genE10ELNS1_11target_archE1200ELNS1_3gpuE4ELNS1_3repE0EEENS1_60segmented_radix_sort_warp_sort_medium_config_static_selectorELNS0_4arch9wavefront6targetE1EEEvSK_.num_agpr, 0
	.set _ZN7rocprim17ROCPRIM_400000_NS6detail17trampoline_kernelINS0_14default_configENS1_36segmented_radix_sort_config_selectorIslEEZNS1_25segmented_radix_sort_implIS3_Lb1EPKsPsPKlPlN2at6native12_GLOBAL__N_18offset_tEEE10hipError_tPvRmT1_PNSt15iterator_traitsISK_E10value_typeET2_T3_PNSL_ISQ_E10value_typeET4_jRbjT5_SW_jjP12ihipStream_tbEUlT_E0_NS1_11comp_targetILNS1_3genE10ELNS1_11target_archE1200ELNS1_3gpuE4ELNS1_3repE0EEENS1_60segmented_radix_sort_warp_sort_medium_config_static_selectorELNS0_4arch9wavefront6targetE1EEEvSK_.numbered_sgpr, 0
	.set _ZN7rocprim17ROCPRIM_400000_NS6detail17trampoline_kernelINS0_14default_configENS1_36segmented_radix_sort_config_selectorIslEEZNS1_25segmented_radix_sort_implIS3_Lb1EPKsPsPKlPlN2at6native12_GLOBAL__N_18offset_tEEE10hipError_tPvRmT1_PNSt15iterator_traitsISK_E10value_typeET2_T3_PNSL_ISQ_E10value_typeET4_jRbjT5_SW_jjP12ihipStream_tbEUlT_E0_NS1_11comp_targetILNS1_3genE10ELNS1_11target_archE1200ELNS1_3gpuE4ELNS1_3repE0EEENS1_60segmented_radix_sort_warp_sort_medium_config_static_selectorELNS0_4arch9wavefront6targetE1EEEvSK_.num_named_barrier, 0
	.set _ZN7rocprim17ROCPRIM_400000_NS6detail17trampoline_kernelINS0_14default_configENS1_36segmented_radix_sort_config_selectorIslEEZNS1_25segmented_radix_sort_implIS3_Lb1EPKsPsPKlPlN2at6native12_GLOBAL__N_18offset_tEEE10hipError_tPvRmT1_PNSt15iterator_traitsISK_E10value_typeET2_T3_PNSL_ISQ_E10value_typeET4_jRbjT5_SW_jjP12ihipStream_tbEUlT_E0_NS1_11comp_targetILNS1_3genE10ELNS1_11target_archE1200ELNS1_3gpuE4ELNS1_3repE0EEENS1_60segmented_radix_sort_warp_sort_medium_config_static_selectorELNS0_4arch9wavefront6targetE1EEEvSK_.private_seg_size, 0
	.set _ZN7rocprim17ROCPRIM_400000_NS6detail17trampoline_kernelINS0_14default_configENS1_36segmented_radix_sort_config_selectorIslEEZNS1_25segmented_radix_sort_implIS3_Lb1EPKsPsPKlPlN2at6native12_GLOBAL__N_18offset_tEEE10hipError_tPvRmT1_PNSt15iterator_traitsISK_E10value_typeET2_T3_PNSL_ISQ_E10value_typeET4_jRbjT5_SW_jjP12ihipStream_tbEUlT_E0_NS1_11comp_targetILNS1_3genE10ELNS1_11target_archE1200ELNS1_3gpuE4ELNS1_3repE0EEENS1_60segmented_radix_sort_warp_sort_medium_config_static_selectorELNS0_4arch9wavefront6targetE1EEEvSK_.uses_vcc, 0
	.set _ZN7rocprim17ROCPRIM_400000_NS6detail17trampoline_kernelINS0_14default_configENS1_36segmented_radix_sort_config_selectorIslEEZNS1_25segmented_radix_sort_implIS3_Lb1EPKsPsPKlPlN2at6native12_GLOBAL__N_18offset_tEEE10hipError_tPvRmT1_PNSt15iterator_traitsISK_E10value_typeET2_T3_PNSL_ISQ_E10value_typeET4_jRbjT5_SW_jjP12ihipStream_tbEUlT_E0_NS1_11comp_targetILNS1_3genE10ELNS1_11target_archE1200ELNS1_3gpuE4ELNS1_3repE0EEENS1_60segmented_radix_sort_warp_sort_medium_config_static_selectorELNS0_4arch9wavefront6targetE1EEEvSK_.uses_flat_scratch, 0
	.set _ZN7rocprim17ROCPRIM_400000_NS6detail17trampoline_kernelINS0_14default_configENS1_36segmented_radix_sort_config_selectorIslEEZNS1_25segmented_radix_sort_implIS3_Lb1EPKsPsPKlPlN2at6native12_GLOBAL__N_18offset_tEEE10hipError_tPvRmT1_PNSt15iterator_traitsISK_E10value_typeET2_T3_PNSL_ISQ_E10value_typeET4_jRbjT5_SW_jjP12ihipStream_tbEUlT_E0_NS1_11comp_targetILNS1_3genE10ELNS1_11target_archE1200ELNS1_3gpuE4ELNS1_3repE0EEENS1_60segmented_radix_sort_warp_sort_medium_config_static_selectorELNS0_4arch9wavefront6targetE1EEEvSK_.has_dyn_sized_stack, 0
	.set _ZN7rocprim17ROCPRIM_400000_NS6detail17trampoline_kernelINS0_14default_configENS1_36segmented_radix_sort_config_selectorIslEEZNS1_25segmented_radix_sort_implIS3_Lb1EPKsPsPKlPlN2at6native12_GLOBAL__N_18offset_tEEE10hipError_tPvRmT1_PNSt15iterator_traitsISK_E10value_typeET2_T3_PNSL_ISQ_E10value_typeET4_jRbjT5_SW_jjP12ihipStream_tbEUlT_E0_NS1_11comp_targetILNS1_3genE10ELNS1_11target_archE1200ELNS1_3gpuE4ELNS1_3repE0EEENS1_60segmented_radix_sort_warp_sort_medium_config_static_selectorELNS0_4arch9wavefront6targetE1EEEvSK_.has_recursion, 0
	.set _ZN7rocprim17ROCPRIM_400000_NS6detail17trampoline_kernelINS0_14default_configENS1_36segmented_radix_sort_config_selectorIslEEZNS1_25segmented_radix_sort_implIS3_Lb1EPKsPsPKlPlN2at6native12_GLOBAL__N_18offset_tEEE10hipError_tPvRmT1_PNSt15iterator_traitsISK_E10value_typeET2_T3_PNSL_ISQ_E10value_typeET4_jRbjT5_SW_jjP12ihipStream_tbEUlT_E0_NS1_11comp_targetILNS1_3genE10ELNS1_11target_archE1200ELNS1_3gpuE4ELNS1_3repE0EEENS1_60segmented_radix_sort_warp_sort_medium_config_static_selectorELNS0_4arch9wavefront6targetE1EEEvSK_.has_indirect_call, 0
	.section	.AMDGPU.csdata,"",@progbits
; Kernel info:
; codeLenInByte = 0
; TotalNumSgprs: 4
; NumVgprs: 0
; ScratchSize: 0
; MemoryBound: 0
; FloatMode: 240
; IeeeMode: 1
; LDSByteSize: 0 bytes/workgroup (compile time only)
; SGPRBlocks: 0
; VGPRBlocks: 0
; NumSGPRsForWavesPerEU: 4
; NumVGPRsForWavesPerEU: 1
; Occupancy: 10
; WaveLimiterHint : 0
; COMPUTE_PGM_RSRC2:SCRATCH_EN: 0
; COMPUTE_PGM_RSRC2:USER_SGPR: 6
; COMPUTE_PGM_RSRC2:TRAP_HANDLER: 0
; COMPUTE_PGM_RSRC2:TGID_X_EN: 1
; COMPUTE_PGM_RSRC2:TGID_Y_EN: 0
; COMPUTE_PGM_RSRC2:TGID_Z_EN: 0
; COMPUTE_PGM_RSRC2:TIDIG_COMP_CNT: 0
	.section	.text._ZN7rocprim17ROCPRIM_400000_NS6detail17trampoline_kernelINS0_14default_configENS1_36segmented_radix_sort_config_selectorIslEEZNS1_25segmented_radix_sort_implIS3_Lb1EPKsPsPKlPlN2at6native12_GLOBAL__N_18offset_tEEE10hipError_tPvRmT1_PNSt15iterator_traitsISK_E10value_typeET2_T3_PNSL_ISQ_E10value_typeET4_jRbjT5_SW_jjP12ihipStream_tbEUlT_E0_NS1_11comp_targetILNS1_3genE9ELNS1_11target_archE1100ELNS1_3gpuE3ELNS1_3repE0EEENS1_60segmented_radix_sort_warp_sort_medium_config_static_selectorELNS0_4arch9wavefront6targetE1EEEvSK_,"axG",@progbits,_ZN7rocprim17ROCPRIM_400000_NS6detail17trampoline_kernelINS0_14default_configENS1_36segmented_radix_sort_config_selectorIslEEZNS1_25segmented_radix_sort_implIS3_Lb1EPKsPsPKlPlN2at6native12_GLOBAL__N_18offset_tEEE10hipError_tPvRmT1_PNSt15iterator_traitsISK_E10value_typeET2_T3_PNSL_ISQ_E10value_typeET4_jRbjT5_SW_jjP12ihipStream_tbEUlT_E0_NS1_11comp_targetILNS1_3genE9ELNS1_11target_archE1100ELNS1_3gpuE3ELNS1_3repE0EEENS1_60segmented_radix_sort_warp_sort_medium_config_static_selectorELNS0_4arch9wavefront6targetE1EEEvSK_,comdat
	.globl	_ZN7rocprim17ROCPRIM_400000_NS6detail17trampoline_kernelINS0_14default_configENS1_36segmented_radix_sort_config_selectorIslEEZNS1_25segmented_radix_sort_implIS3_Lb1EPKsPsPKlPlN2at6native12_GLOBAL__N_18offset_tEEE10hipError_tPvRmT1_PNSt15iterator_traitsISK_E10value_typeET2_T3_PNSL_ISQ_E10value_typeET4_jRbjT5_SW_jjP12ihipStream_tbEUlT_E0_NS1_11comp_targetILNS1_3genE9ELNS1_11target_archE1100ELNS1_3gpuE3ELNS1_3repE0EEENS1_60segmented_radix_sort_warp_sort_medium_config_static_selectorELNS0_4arch9wavefront6targetE1EEEvSK_ ; -- Begin function _ZN7rocprim17ROCPRIM_400000_NS6detail17trampoline_kernelINS0_14default_configENS1_36segmented_radix_sort_config_selectorIslEEZNS1_25segmented_radix_sort_implIS3_Lb1EPKsPsPKlPlN2at6native12_GLOBAL__N_18offset_tEEE10hipError_tPvRmT1_PNSt15iterator_traitsISK_E10value_typeET2_T3_PNSL_ISQ_E10value_typeET4_jRbjT5_SW_jjP12ihipStream_tbEUlT_E0_NS1_11comp_targetILNS1_3genE9ELNS1_11target_archE1100ELNS1_3gpuE3ELNS1_3repE0EEENS1_60segmented_radix_sort_warp_sort_medium_config_static_selectorELNS0_4arch9wavefront6targetE1EEEvSK_
	.p2align	8
	.type	_ZN7rocprim17ROCPRIM_400000_NS6detail17trampoline_kernelINS0_14default_configENS1_36segmented_radix_sort_config_selectorIslEEZNS1_25segmented_radix_sort_implIS3_Lb1EPKsPsPKlPlN2at6native12_GLOBAL__N_18offset_tEEE10hipError_tPvRmT1_PNSt15iterator_traitsISK_E10value_typeET2_T3_PNSL_ISQ_E10value_typeET4_jRbjT5_SW_jjP12ihipStream_tbEUlT_E0_NS1_11comp_targetILNS1_3genE9ELNS1_11target_archE1100ELNS1_3gpuE3ELNS1_3repE0EEENS1_60segmented_radix_sort_warp_sort_medium_config_static_selectorELNS0_4arch9wavefront6targetE1EEEvSK_,@function
_ZN7rocprim17ROCPRIM_400000_NS6detail17trampoline_kernelINS0_14default_configENS1_36segmented_radix_sort_config_selectorIslEEZNS1_25segmented_radix_sort_implIS3_Lb1EPKsPsPKlPlN2at6native12_GLOBAL__N_18offset_tEEE10hipError_tPvRmT1_PNSt15iterator_traitsISK_E10value_typeET2_T3_PNSL_ISQ_E10value_typeET4_jRbjT5_SW_jjP12ihipStream_tbEUlT_E0_NS1_11comp_targetILNS1_3genE9ELNS1_11target_archE1100ELNS1_3gpuE3ELNS1_3repE0EEENS1_60segmented_radix_sort_warp_sort_medium_config_static_selectorELNS0_4arch9wavefront6targetE1EEEvSK_: ; @_ZN7rocprim17ROCPRIM_400000_NS6detail17trampoline_kernelINS0_14default_configENS1_36segmented_radix_sort_config_selectorIslEEZNS1_25segmented_radix_sort_implIS3_Lb1EPKsPsPKlPlN2at6native12_GLOBAL__N_18offset_tEEE10hipError_tPvRmT1_PNSt15iterator_traitsISK_E10value_typeET2_T3_PNSL_ISQ_E10value_typeET4_jRbjT5_SW_jjP12ihipStream_tbEUlT_E0_NS1_11comp_targetILNS1_3genE9ELNS1_11target_archE1100ELNS1_3gpuE3ELNS1_3repE0EEENS1_60segmented_radix_sort_warp_sort_medium_config_static_selectorELNS0_4arch9wavefront6targetE1EEEvSK_
; %bb.0:
	.section	.rodata,"a",@progbits
	.p2align	6, 0x0
	.amdhsa_kernel _ZN7rocprim17ROCPRIM_400000_NS6detail17trampoline_kernelINS0_14default_configENS1_36segmented_radix_sort_config_selectorIslEEZNS1_25segmented_radix_sort_implIS3_Lb1EPKsPsPKlPlN2at6native12_GLOBAL__N_18offset_tEEE10hipError_tPvRmT1_PNSt15iterator_traitsISK_E10value_typeET2_T3_PNSL_ISQ_E10value_typeET4_jRbjT5_SW_jjP12ihipStream_tbEUlT_E0_NS1_11comp_targetILNS1_3genE9ELNS1_11target_archE1100ELNS1_3gpuE3ELNS1_3repE0EEENS1_60segmented_radix_sort_warp_sort_medium_config_static_selectorELNS0_4arch9wavefront6targetE1EEEvSK_
		.amdhsa_group_segment_fixed_size 0
		.amdhsa_private_segment_fixed_size 0
		.amdhsa_kernarg_size 88
		.amdhsa_user_sgpr_count 6
		.amdhsa_user_sgpr_private_segment_buffer 1
		.amdhsa_user_sgpr_dispatch_ptr 0
		.amdhsa_user_sgpr_queue_ptr 0
		.amdhsa_user_sgpr_kernarg_segment_ptr 1
		.amdhsa_user_sgpr_dispatch_id 0
		.amdhsa_user_sgpr_flat_scratch_init 0
		.amdhsa_user_sgpr_private_segment_size 0
		.amdhsa_uses_dynamic_stack 0
		.amdhsa_system_sgpr_private_segment_wavefront_offset 0
		.amdhsa_system_sgpr_workgroup_id_x 1
		.amdhsa_system_sgpr_workgroup_id_y 0
		.amdhsa_system_sgpr_workgroup_id_z 0
		.amdhsa_system_sgpr_workgroup_info 0
		.amdhsa_system_vgpr_workitem_id 0
		.amdhsa_next_free_vgpr 1
		.amdhsa_next_free_sgpr 0
		.amdhsa_reserve_vcc 0
		.amdhsa_reserve_flat_scratch 0
		.amdhsa_float_round_mode_32 0
		.amdhsa_float_round_mode_16_64 0
		.amdhsa_float_denorm_mode_32 3
		.amdhsa_float_denorm_mode_16_64 3
		.amdhsa_dx10_clamp 1
		.amdhsa_ieee_mode 1
		.amdhsa_fp16_overflow 0
		.amdhsa_exception_fp_ieee_invalid_op 0
		.amdhsa_exception_fp_denorm_src 0
		.amdhsa_exception_fp_ieee_div_zero 0
		.amdhsa_exception_fp_ieee_overflow 0
		.amdhsa_exception_fp_ieee_underflow 0
		.amdhsa_exception_fp_ieee_inexact 0
		.amdhsa_exception_int_div_zero 0
	.end_amdhsa_kernel
	.section	.text._ZN7rocprim17ROCPRIM_400000_NS6detail17trampoline_kernelINS0_14default_configENS1_36segmented_radix_sort_config_selectorIslEEZNS1_25segmented_radix_sort_implIS3_Lb1EPKsPsPKlPlN2at6native12_GLOBAL__N_18offset_tEEE10hipError_tPvRmT1_PNSt15iterator_traitsISK_E10value_typeET2_T3_PNSL_ISQ_E10value_typeET4_jRbjT5_SW_jjP12ihipStream_tbEUlT_E0_NS1_11comp_targetILNS1_3genE9ELNS1_11target_archE1100ELNS1_3gpuE3ELNS1_3repE0EEENS1_60segmented_radix_sort_warp_sort_medium_config_static_selectorELNS0_4arch9wavefront6targetE1EEEvSK_,"axG",@progbits,_ZN7rocprim17ROCPRIM_400000_NS6detail17trampoline_kernelINS0_14default_configENS1_36segmented_radix_sort_config_selectorIslEEZNS1_25segmented_radix_sort_implIS3_Lb1EPKsPsPKlPlN2at6native12_GLOBAL__N_18offset_tEEE10hipError_tPvRmT1_PNSt15iterator_traitsISK_E10value_typeET2_T3_PNSL_ISQ_E10value_typeET4_jRbjT5_SW_jjP12ihipStream_tbEUlT_E0_NS1_11comp_targetILNS1_3genE9ELNS1_11target_archE1100ELNS1_3gpuE3ELNS1_3repE0EEENS1_60segmented_radix_sort_warp_sort_medium_config_static_selectorELNS0_4arch9wavefront6targetE1EEEvSK_,comdat
.Lfunc_end929:
	.size	_ZN7rocprim17ROCPRIM_400000_NS6detail17trampoline_kernelINS0_14default_configENS1_36segmented_radix_sort_config_selectorIslEEZNS1_25segmented_radix_sort_implIS3_Lb1EPKsPsPKlPlN2at6native12_GLOBAL__N_18offset_tEEE10hipError_tPvRmT1_PNSt15iterator_traitsISK_E10value_typeET2_T3_PNSL_ISQ_E10value_typeET4_jRbjT5_SW_jjP12ihipStream_tbEUlT_E0_NS1_11comp_targetILNS1_3genE9ELNS1_11target_archE1100ELNS1_3gpuE3ELNS1_3repE0EEENS1_60segmented_radix_sort_warp_sort_medium_config_static_selectorELNS0_4arch9wavefront6targetE1EEEvSK_, .Lfunc_end929-_ZN7rocprim17ROCPRIM_400000_NS6detail17trampoline_kernelINS0_14default_configENS1_36segmented_radix_sort_config_selectorIslEEZNS1_25segmented_radix_sort_implIS3_Lb1EPKsPsPKlPlN2at6native12_GLOBAL__N_18offset_tEEE10hipError_tPvRmT1_PNSt15iterator_traitsISK_E10value_typeET2_T3_PNSL_ISQ_E10value_typeET4_jRbjT5_SW_jjP12ihipStream_tbEUlT_E0_NS1_11comp_targetILNS1_3genE9ELNS1_11target_archE1100ELNS1_3gpuE3ELNS1_3repE0EEENS1_60segmented_radix_sort_warp_sort_medium_config_static_selectorELNS0_4arch9wavefront6targetE1EEEvSK_
                                        ; -- End function
	.set _ZN7rocprim17ROCPRIM_400000_NS6detail17trampoline_kernelINS0_14default_configENS1_36segmented_radix_sort_config_selectorIslEEZNS1_25segmented_radix_sort_implIS3_Lb1EPKsPsPKlPlN2at6native12_GLOBAL__N_18offset_tEEE10hipError_tPvRmT1_PNSt15iterator_traitsISK_E10value_typeET2_T3_PNSL_ISQ_E10value_typeET4_jRbjT5_SW_jjP12ihipStream_tbEUlT_E0_NS1_11comp_targetILNS1_3genE9ELNS1_11target_archE1100ELNS1_3gpuE3ELNS1_3repE0EEENS1_60segmented_radix_sort_warp_sort_medium_config_static_selectorELNS0_4arch9wavefront6targetE1EEEvSK_.num_vgpr, 0
	.set _ZN7rocprim17ROCPRIM_400000_NS6detail17trampoline_kernelINS0_14default_configENS1_36segmented_radix_sort_config_selectorIslEEZNS1_25segmented_radix_sort_implIS3_Lb1EPKsPsPKlPlN2at6native12_GLOBAL__N_18offset_tEEE10hipError_tPvRmT1_PNSt15iterator_traitsISK_E10value_typeET2_T3_PNSL_ISQ_E10value_typeET4_jRbjT5_SW_jjP12ihipStream_tbEUlT_E0_NS1_11comp_targetILNS1_3genE9ELNS1_11target_archE1100ELNS1_3gpuE3ELNS1_3repE0EEENS1_60segmented_radix_sort_warp_sort_medium_config_static_selectorELNS0_4arch9wavefront6targetE1EEEvSK_.num_agpr, 0
	.set _ZN7rocprim17ROCPRIM_400000_NS6detail17trampoline_kernelINS0_14default_configENS1_36segmented_radix_sort_config_selectorIslEEZNS1_25segmented_radix_sort_implIS3_Lb1EPKsPsPKlPlN2at6native12_GLOBAL__N_18offset_tEEE10hipError_tPvRmT1_PNSt15iterator_traitsISK_E10value_typeET2_T3_PNSL_ISQ_E10value_typeET4_jRbjT5_SW_jjP12ihipStream_tbEUlT_E0_NS1_11comp_targetILNS1_3genE9ELNS1_11target_archE1100ELNS1_3gpuE3ELNS1_3repE0EEENS1_60segmented_radix_sort_warp_sort_medium_config_static_selectorELNS0_4arch9wavefront6targetE1EEEvSK_.numbered_sgpr, 0
	.set _ZN7rocprim17ROCPRIM_400000_NS6detail17trampoline_kernelINS0_14default_configENS1_36segmented_radix_sort_config_selectorIslEEZNS1_25segmented_radix_sort_implIS3_Lb1EPKsPsPKlPlN2at6native12_GLOBAL__N_18offset_tEEE10hipError_tPvRmT1_PNSt15iterator_traitsISK_E10value_typeET2_T3_PNSL_ISQ_E10value_typeET4_jRbjT5_SW_jjP12ihipStream_tbEUlT_E0_NS1_11comp_targetILNS1_3genE9ELNS1_11target_archE1100ELNS1_3gpuE3ELNS1_3repE0EEENS1_60segmented_radix_sort_warp_sort_medium_config_static_selectorELNS0_4arch9wavefront6targetE1EEEvSK_.num_named_barrier, 0
	.set _ZN7rocprim17ROCPRIM_400000_NS6detail17trampoline_kernelINS0_14default_configENS1_36segmented_radix_sort_config_selectorIslEEZNS1_25segmented_radix_sort_implIS3_Lb1EPKsPsPKlPlN2at6native12_GLOBAL__N_18offset_tEEE10hipError_tPvRmT1_PNSt15iterator_traitsISK_E10value_typeET2_T3_PNSL_ISQ_E10value_typeET4_jRbjT5_SW_jjP12ihipStream_tbEUlT_E0_NS1_11comp_targetILNS1_3genE9ELNS1_11target_archE1100ELNS1_3gpuE3ELNS1_3repE0EEENS1_60segmented_radix_sort_warp_sort_medium_config_static_selectorELNS0_4arch9wavefront6targetE1EEEvSK_.private_seg_size, 0
	.set _ZN7rocprim17ROCPRIM_400000_NS6detail17trampoline_kernelINS0_14default_configENS1_36segmented_radix_sort_config_selectorIslEEZNS1_25segmented_radix_sort_implIS3_Lb1EPKsPsPKlPlN2at6native12_GLOBAL__N_18offset_tEEE10hipError_tPvRmT1_PNSt15iterator_traitsISK_E10value_typeET2_T3_PNSL_ISQ_E10value_typeET4_jRbjT5_SW_jjP12ihipStream_tbEUlT_E0_NS1_11comp_targetILNS1_3genE9ELNS1_11target_archE1100ELNS1_3gpuE3ELNS1_3repE0EEENS1_60segmented_radix_sort_warp_sort_medium_config_static_selectorELNS0_4arch9wavefront6targetE1EEEvSK_.uses_vcc, 0
	.set _ZN7rocprim17ROCPRIM_400000_NS6detail17trampoline_kernelINS0_14default_configENS1_36segmented_radix_sort_config_selectorIslEEZNS1_25segmented_radix_sort_implIS3_Lb1EPKsPsPKlPlN2at6native12_GLOBAL__N_18offset_tEEE10hipError_tPvRmT1_PNSt15iterator_traitsISK_E10value_typeET2_T3_PNSL_ISQ_E10value_typeET4_jRbjT5_SW_jjP12ihipStream_tbEUlT_E0_NS1_11comp_targetILNS1_3genE9ELNS1_11target_archE1100ELNS1_3gpuE3ELNS1_3repE0EEENS1_60segmented_radix_sort_warp_sort_medium_config_static_selectorELNS0_4arch9wavefront6targetE1EEEvSK_.uses_flat_scratch, 0
	.set _ZN7rocprim17ROCPRIM_400000_NS6detail17trampoline_kernelINS0_14default_configENS1_36segmented_radix_sort_config_selectorIslEEZNS1_25segmented_radix_sort_implIS3_Lb1EPKsPsPKlPlN2at6native12_GLOBAL__N_18offset_tEEE10hipError_tPvRmT1_PNSt15iterator_traitsISK_E10value_typeET2_T3_PNSL_ISQ_E10value_typeET4_jRbjT5_SW_jjP12ihipStream_tbEUlT_E0_NS1_11comp_targetILNS1_3genE9ELNS1_11target_archE1100ELNS1_3gpuE3ELNS1_3repE0EEENS1_60segmented_radix_sort_warp_sort_medium_config_static_selectorELNS0_4arch9wavefront6targetE1EEEvSK_.has_dyn_sized_stack, 0
	.set _ZN7rocprim17ROCPRIM_400000_NS6detail17trampoline_kernelINS0_14default_configENS1_36segmented_radix_sort_config_selectorIslEEZNS1_25segmented_radix_sort_implIS3_Lb1EPKsPsPKlPlN2at6native12_GLOBAL__N_18offset_tEEE10hipError_tPvRmT1_PNSt15iterator_traitsISK_E10value_typeET2_T3_PNSL_ISQ_E10value_typeET4_jRbjT5_SW_jjP12ihipStream_tbEUlT_E0_NS1_11comp_targetILNS1_3genE9ELNS1_11target_archE1100ELNS1_3gpuE3ELNS1_3repE0EEENS1_60segmented_radix_sort_warp_sort_medium_config_static_selectorELNS0_4arch9wavefront6targetE1EEEvSK_.has_recursion, 0
	.set _ZN7rocprim17ROCPRIM_400000_NS6detail17trampoline_kernelINS0_14default_configENS1_36segmented_radix_sort_config_selectorIslEEZNS1_25segmented_radix_sort_implIS3_Lb1EPKsPsPKlPlN2at6native12_GLOBAL__N_18offset_tEEE10hipError_tPvRmT1_PNSt15iterator_traitsISK_E10value_typeET2_T3_PNSL_ISQ_E10value_typeET4_jRbjT5_SW_jjP12ihipStream_tbEUlT_E0_NS1_11comp_targetILNS1_3genE9ELNS1_11target_archE1100ELNS1_3gpuE3ELNS1_3repE0EEENS1_60segmented_radix_sort_warp_sort_medium_config_static_selectorELNS0_4arch9wavefront6targetE1EEEvSK_.has_indirect_call, 0
	.section	.AMDGPU.csdata,"",@progbits
; Kernel info:
; codeLenInByte = 0
; TotalNumSgprs: 4
; NumVgprs: 0
; ScratchSize: 0
; MemoryBound: 0
; FloatMode: 240
; IeeeMode: 1
; LDSByteSize: 0 bytes/workgroup (compile time only)
; SGPRBlocks: 0
; VGPRBlocks: 0
; NumSGPRsForWavesPerEU: 4
; NumVGPRsForWavesPerEU: 1
; Occupancy: 10
; WaveLimiterHint : 0
; COMPUTE_PGM_RSRC2:SCRATCH_EN: 0
; COMPUTE_PGM_RSRC2:USER_SGPR: 6
; COMPUTE_PGM_RSRC2:TRAP_HANDLER: 0
; COMPUTE_PGM_RSRC2:TGID_X_EN: 1
; COMPUTE_PGM_RSRC2:TGID_Y_EN: 0
; COMPUTE_PGM_RSRC2:TGID_Z_EN: 0
; COMPUTE_PGM_RSRC2:TIDIG_COMP_CNT: 0
	.section	.text._ZN7rocprim17ROCPRIM_400000_NS6detail17trampoline_kernelINS0_14default_configENS1_36segmented_radix_sort_config_selectorIslEEZNS1_25segmented_radix_sort_implIS3_Lb1EPKsPsPKlPlN2at6native12_GLOBAL__N_18offset_tEEE10hipError_tPvRmT1_PNSt15iterator_traitsISK_E10value_typeET2_T3_PNSL_ISQ_E10value_typeET4_jRbjT5_SW_jjP12ihipStream_tbEUlT_E0_NS1_11comp_targetILNS1_3genE8ELNS1_11target_archE1030ELNS1_3gpuE2ELNS1_3repE0EEENS1_60segmented_radix_sort_warp_sort_medium_config_static_selectorELNS0_4arch9wavefront6targetE1EEEvSK_,"axG",@progbits,_ZN7rocprim17ROCPRIM_400000_NS6detail17trampoline_kernelINS0_14default_configENS1_36segmented_radix_sort_config_selectorIslEEZNS1_25segmented_radix_sort_implIS3_Lb1EPKsPsPKlPlN2at6native12_GLOBAL__N_18offset_tEEE10hipError_tPvRmT1_PNSt15iterator_traitsISK_E10value_typeET2_T3_PNSL_ISQ_E10value_typeET4_jRbjT5_SW_jjP12ihipStream_tbEUlT_E0_NS1_11comp_targetILNS1_3genE8ELNS1_11target_archE1030ELNS1_3gpuE2ELNS1_3repE0EEENS1_60segmented_radix_sort_warp_sort_medium_config_static_selectorELNS0_4arch9wavefront6targetE1EEEvSK_,comdat
	.globl	_ZN7rocprim17ROCPRIM_400000_NS6detail17trampoline_kernelINS0_14default_configENS1_36segmented_radix_sort_config_selectorIslEEZNS1_25segmented_radix_sort_implIS3_Lb1EPKsPsPKlPlN2at6native12_GLOBAL__N_18offset_tEEE10hipError_tPvRmT1_PNSt15iterator_traitsISK_E10value_typeET2_T3_PNSL_ISQ_E10value_typeET4_jRbjT5_SW_jjP12ihipStream_tbEUlT_E0_NS1_11comp_targetILNS1_3genE8ELNS1_11target_archE1030ELNS1_3gpuE2ELNS1_3repE0EEENS1_60segmented_radix_sort_warp_sort_medium_config_static_selectorELNS0_4arch9wavefront6targetE1EEEvSK_ ; -- Begin function _ZN7rocprim17ROCPRIM_400000_NS6detail17trampoline_kernelINS0_14default_configENS1_36segmented_radix_sort_config_selectorIslEEZNS1_25segmented_radix_sort_implIS3_Lb1EPKsPsPKlPlN2at6native12_GLOBAL__N_18offset_tEEE10hipError_tPvRmT1_PNSt15iterator_traitsISK_E10value_typeET2_T3_PNSL_ISQ_E10value_typeET4_jRbjT5_SW_jjP12ihipStream_tbEUlT_E0_NS1_11comp_targetILNS1_3genE8ELNS1_11target_archE1030ELNS1_3gpuE2ELNS1_3repE0EEENS1_60segmented_radix_sort_warp_sort_medium_config_static_selectorELNS0_4arch9wavefront6targetE1EEEvSK_
	.p2align	8
	.type	_ZN7rocprim17ROCPRIM_400000_NS6detail17trampoline_kernelINS0_14default_configENS1_36segmented_radix_sort_config_selectorIslEEZNS1_25segmented_radix_sort_implIS3_Lb1EPKsPsPKlPlN2at6native12_GLOBAL__N_18offset_tEEE10hipError_tPvRmT1_PNSt15iterator_traitsISK_E10value_typeET2_T3_PNSL_ISQ_E10value_typeET4_jRbjT5_SW_jjP12ihipStream_tbEUlT_E0_NS1_11comp_targetILNS1_3genE8ELNS1_11target_archE1030ELNS1_3gpuE2ELNS1_3repE0EEENS1_60segmented_radix_sort_warp_sort_medium_config_static_selectorELNS0_4arch9wavefront6targetE1EEEvSK_,@function
_ZN7rocprim17ROCPRIM_400000_NS6detail17trampoline_kernelINS0_14default_configENS1_36segmented_radix_sort_config_selectorIslEEZNS1_25segmented_radix_sort_implIS3_Lb1EPKsPsPKlPlN2at6native12_GLOBAL__N_18offset_tEEE10hipError_tPvRmT1_PNSt15iterator_traitsISK_E10value_typeET2_T3_PNSL_ISQ_E10value_typeET4_jRbjT5_SW_jjP12ihipStream_tbEUlT_E0_NS1_11comp_targetILNS1_3genE8ELNS1_11target_archE1030ELNS1_3gpuE2ELNS1_3repE0EEENS1_60segmented_radix_sort_warp_sort_medium_config_static_selectorELNS0_4arch9wavefront6targetE1EEEvSK_: ; @_ZN7rocprim17ROCPRIM_400000_NS6detail17trampoline_kernelINS0_14default_configENS1_36segmented_radix_sort_config_selectorIslEEZNS1_25segmented_radix_sort_implIS3_Lb1EPKsPsPKlPlN2at6native12_GLOBAL__N_18offset_tEEE10hipError_tPvRmT1_PNSt15iterator_traitsISK_E10value_typeET2_T3_PNSL_ISQ_E10value_typeET4_jRbjT5_SW_jjP12ihipStream_tbEUlT_E0_NS1_11comp_targetILNS1_3genE8ELNS1_11target_archE1030ELNS1_3gpuE2ELNS1_3repE0EEENS1_60segmented_radix_sort_warp_sort_medium_config_static_selectorELNS0_4arch9wavefront6targetE1EEEvSK_
; %bb.0:
	.section	.rodata,"a",@progbits
	.p2align	6, 0x0
	.amdhsa_kernel _ZN7rocprim17ROCPRIM_400000_NS6detail17trampoline_kernelINS0_14default_configENS1_36segmented_radix_sort_config_selectorIslEEZNS1_25segmented_radix_sort_implIS3_Lb1EPKsPsPKlPlN2at6native12_GLOBAL__N_18offset_tEEE10hipError_tPvRmT1_PNSt15iterator_traitsISK_E10value_typeET2_T3_PNSL_ISQ_E10value_typeET4_jRbjT5_SW_jjP12ihipStream_tbEUlT_E0_NS1_11comp_targetILNS1_3genE8ELNS1_11target_archE1030ELNS1_3gpuE2ELNS1_3repE0EEENS1_60segmented_radix_sort_warp_sort_medium_config_static_selectorELNS0_4arch9wavefront6targetE1EEEvSK_
		.amdhsa_group_segment_fixed_size 0
		.amdhsa_private_segment_fixed_size 0
		.amdhsa_kernarg_size 88
		.amdhsa_user_sgpr_count 6
		.amdhsa_user_sgpr_private_segment_buffer 1
		.amdhsa_user_sgpr_dispatch_ptr 0
		.amdhsa_user_sgpr_queue_ptr 0
		.amdhsa_user_sgpr_kernarg_segment_ptr 1
		.amdhsa_user_sgpr_dispatch_id 0
		.amdhsa_user_sgpr_flat_scratch_init 0
		.amdhsa_user_sgpr_private_segment_size 0
		.amdhsa_uses_dynamic_stack 0
		.amdhsa_system_sgpr_private_segment_wavefront_offset 0
		.amdhsa_system_sgpr_workgroup_id_x 1
		.amdhsa_system_sgpr_workgroup_id_y 0
		.amdhsa_system_sgpr_workgroup_id_z 0
		.amdhsa_system_sgpr_workgroup_info 0
		.amdhsa_system_vgpr_workitem_id 0
		.amdhsa_next_free_vgpr 1
		.amdhsa_next_free_sgpr 0
		.amdhsa_reserve_vcc 0
		.amdhsa_reserve_flat_scratch 0
		.amdhsa_float_round_mode_32 0
		.amdhsa_float_round_mode_16_64 0
		.amdhsa_float_denorm_mode_32 3
		.amdhsa_float_denorm_mode_16_64 3
		.amdhsa_dx10_clamp 1
		.amdhsa_ieee_mode 1
		.amdhsa_fp16_overflow 0
		.amdhsa_exception_fp_ieee_invalid_op 0
		.amdhsa_exception_fp_denorm_src 0
		.amdhsa_exception_fp_ieee_div_zero 0
		.amdhsa_exception_fp_ieee_overflow 0
		.amdhsa_exception_fp_ieee_underflow 0
		.amdhsa_exception_fp_ieee_inexact 0
		.amdhsa_exception_int_div_zero 0
	.end_amdhsa_kernel
	.section	.text._ZN7rocprim17ROCPRIM_400000_NS6detail17trampoline_kernelINS0_14default_configENS1_36segmented_radix_sort_config_selectorIslEEZNS1_25segmented_radix_sort_implIS3_Lb1EPKsPsPKlPlN2at6native12_GLOBAL__N_18offset_tEEE10hipError_tPvRmT1_PNSt15iterator_traitsISK_E10value_typeET2_T3_PNSL_ISQ_E10value_typeET4_jRbjT5_SW_jjP12ihipStream_tbEUlT_E0_NS1_11comp_targetILNS1_3genE8ELNS1_11target_archE1030ELNS1_3gpuE2ELNS1_3repE0EEENS1_60segmented_radix_sort_warp_sort_medium_config_static_selectorELNS0_4arch9wavefront6targetE1EEEvSK_,"axG",@progbits,_ZN7rocprim17ROCPRIM_400000_NS6detail17trampoline_kernelINS0_14default_configENS1_36segmented_radix_sort_config_selectorIslEEZNS1_25segmented_radix_sort_implIS3_Lb1EPKsPsPKlPlN2at6native12_GLOBAL__N_18offset_tEEE10hipError_tPvRmT1_PNSt15iterator_traitsISK_E10value_typeET2_T3_PNSL_ISQ_E10value_typeET4_jRbjT5_SW_jjP12ihipStream_tbEUlT_E0_NS1_11comp_targetILNS1_3genE8ELNS1_11target_archE1030ELNS1_3gpuE2ELNS1_3repE0EEENS1_60segmented_radix_sort_warp_sort_medium_config_static_selectorELNS0_4arch9wavefront6targetE1EEEvSK_,comdat
.Lfunc_end930:
	.size	_ZN7rocprim17ROCPRIM_400000_NS6detail17trampoline_kernelINS0_14default_configENS1_36segmented_radix_sort_config_selectorIslEEZNS1_25segmented_radix_sort_implIS3_Lb1EPKsPsPKlPlN2at6native12_GLOBAL__N_18offset_tEEE10hipError_tPvRmT1_PNSt15iterator_traitsISK_E10value_typeET2_T3_PNSL_ISQ_E10value_typeET4_jRbjT5_SW_jjP12ihipStream_tbEUlT_E0_NS1_11comp_targetILNS1_3genE8ELNS1_11target_archE1030ELNS1_3gpuE2ELNS1_3repE0EEENS1_60segmented_radix_sort_warp_sort_medium_config_static_selectorELNS0_4arch9wavefront6targetE1EEEvSK_, .Lfunc_end930-_ZN7rocprim17ROCPRIM_400000_NS6detail17trampoline_kernelINS0_14default_configENS1_36segmented_radix_sort_config_selectorIslEEZNS1_25segmented_radix_sort_implIS3_Lb1EPKsPsPKlPlN2at6native12_GLOBAL__N_18offset_tEEE10hipError_tPvRmT1_PNSt15iterator_traitsISK_E10value_typeET2_T3_PNSL_ISQ_E10value_typeET4_jRbjT5_SW_jjP12ihipStream_tbEUlT_E0_NS1_11comp_targetILNS1_3genE8ELNS1_11target_archE1030ELNS1_3gpuE2ELNS1_3repE0EEENS1_60segmented_radix_sort_warp_sort_medium_config_static_selectorELNS0_4arch9wavefront6targetE1EEEvSK_
                                        ; -- End function
	.set _ZN7rocprim17ROCPRIM_400000_NS6detail17trampoline_kernelINS0_14default_configENS1_36segmented_radix_sort_config_selectorIslEEZNS1_25segmented_radix_sort_implIS3_Lb1EPKsPsPKlPlN2at6native12_GLOBAL__N_18offset_tEEE10hipError_tPvRmT1_PNSt15iterator_traitsISK_E10value_typeET2_T3_PNSL_ISQ_E10value_typeET4_jRbjT5_SW_jjP12ihipStream_tbEUlT_E0_NS1_11comp_targetILNS1_3genE8ELNS1_11target_archE1030ELNS1_3gpuE2ELNS1_3repE0EEENS1_60segmented_radix_sort_warp_sort_medium_config_static_selectorELNS0_4arch9wavefront6targetE1EEEvSK_.num_vgpr, 0
	.set _ZN7rocprim17ROCPRIM_400000_NS6detail17trampoline_kernelINS0_14default_configENS1_36segmented_radix_sort_config_selectorIslEEZNS1_25segmented_radix_sort_implIS3_Lb1EPKsPsPKlPlN2at6native12_GLOBAL__N_18offset_tEEE10hipError_tPvRmT1_PNSt15iterator_traitsISK_E10value_typeET2_T3_PNSL_ISQ_E10value_typeET4_jRbjT5_SW_jjP12ihipStream_tbEUlT_E0_NS1_11comp_targetILNS1_3genE8ELNS1_11target_archE1030ELNS1_3gpuE2ELNS1_3repE0EEENS1_60segmented_radix_sort_warp_sort_medium_config_static_selectorELNS0_4arch9wavefront6targetE1EEEvSK_.num_agpr, 0
	.set _ZN7rocprim17ROCPRIM_400000_NS6detail17trampoline_kernelINS0_14default_configENS1_36segmented_radix_sort_config_selectorIslEEZNS1_25segmented_radix_sort_implIS3_Lb1EPKsPsPKlPlN2at6native12_GLOBAL__N_18offset_tEEE10hipError_tPvRmT1_PNSt15iterator_traitsISK_E10value_typeET2_T3_PNSL_ISQ_E10value_typeET4_jRbjT5_SW_jjP12ihipStream_tbEUlT_E0_NS1_11comp_targetILNS1_3genE8ELNS1_11target_archE1030ELNS1_3gpuE2ELNS1_3repE0EEENS1_60segmented_radix_sort_warp_sort_medium_config_static_selectorELNS0_4arch9wavefront6targetE1EEEvSK_.numbered_sgpr, 0
	.set _ZN7rocprim17ROCPRIM_400000_NS6detail17trampoline_kernelINS0_14default_configENS1_36segmented_radix_sort_config_selectorIslEEZNS1_25segmented_radix_sort_implIS3_Lb1EPKsPsPKlPlN2at6native12_GLOBAL__N_18offset_tEEE10hipError_tPvRmT1_PNSt15iterator_traitsISK_E10value_typeET2_T3_PNSL_ISQ_E10value_typeET4_jRbjT5_SW_jjP12ihipStream_tbEUlT_E0_NS1_11comp_targetILNS1_3genE8ELNS1_11target_archE1030ELNS1_3gpuE2ELNS1_3repE0EEENS1_60segmented_radix_sort_warp_sort_medium_config_static_selectorELNS0_4arch9wavefront6targetE1EEEvSK_.num_named_barrier, 0
	.set _ZN7rocprim17ROCPRIM_400000_NS6detail17trampoline_kernelINS0_14default_configENS1_36segmented_radix_sort_config_selectorIslEEZNS1_25segmented_radix_sort_implIS3_Lb1EPKsPsPKlPlN2at6native12_GLOBAL__N_18offset_tEEE10hipError_tPvRmT1_PNSt15iterator_traitsISK_E10value_typeET2_T3_PNSL_ISQ_E10value_typeET4_jRbjT5_SW_jjP12ihipStream_tbEUlT_E0_NS1_11comp_targetILNS1_3genE8ELNS1_11target_archE1030ELNS1_3gpuE2ELNS1_3repE0EEENS1_60segmented_radix_sort_warp_sort_medium_config_static_selectorELNS0_4arch9wavefront6targetE1EEEvSK_.private_seg_size, 0
	.set _ZN7rocprim17ROCPRIM_400000_NS6detail17trampoline_kernelINS0_14default_configENS1_36segmented_radix_sort_config_selectorIslEEZNS1_25segmented_radix_sort_implIS3_Lb1EPKsPsPKlPlN2at6native12_GLOBAL__N_18offset_tEEE10hipError_tPvRmT1_PNSt15iterator_traitsISK_E10value_typeET2_T3_PNSL_ISQ_E10value_typeET4_jRbjT5_SW_jjP12ihipStream_tbEUlT_E0_NS1_11comp_targetILNS1_3genE8ELNS1_11target_archE1030ELNS1_3gpuE2ELNS1_3repE0EEENS1_60segmented_radix_sort_warp_sort_medium_config_static_selectorELNS0_4arch9wavefront6targetE1EEEvSK_.uses_vcc, 0
	.set _ZN7rocprim17ROCPRIM_400000_NS6detail17trampoline_kernelINS0_14default_configENS1_36segmented_radix_sort_config_selectorIslEEZNS1_25segmented_radix_sort_implIS3_Lb1EPKsPsPKlPlN2at6native12_GLOBAL__N_18offset_tEEE10hipError_tPvRmT1_PNSt15iterator_traitsISK_E10value_typeET2_T3_PNSL_ISQ_E10value_typeET4_jRbjT5_SW_jjP12ihipStream_tbEUlT_E0_NS1_11comp_targetILNS1_3genE8ELNS1_11target_archE1030ELNS1_3gpuE2ELNS1_3repE0EEENS1_60segmented_radix_sort_warp_sort_medium_config_static_selectorELNS0_4arch9wavefront6targetE1EEEvSK_.uses_flat_scratch, 0
	.set _ZN7rocprim17ROCPRIM_400000_NS6detail17trampoline_kernelINS0_14default_configENS1_36segmented_radix_sort_config_selectorIslEEZNS1_25segmented_radix_sort_implIS3_Lb1EPKsPsPKlPlN2at6native12_GLOBAL__N_18offset_tEEE10hipError_tPvRmT1_PNSt15iterator_traitsISK_E10value_typeET2_T3_PNSL_ISQ_E10value_typeET4_jRbjT5_SW_jjP12ihipStream_tbEUlT_E0_NS1_11comp_targetILNS1_3genE8ELNS1_11target_archE1030ELNS1_3gpuE2ELNS1_3repE0EEENS1_60segmented_radix_sort_warp_sort_medium_config_static_selectorELNS0_4arch9wavefront6targetE1EEEvSK_.has_dyn_sized_stack, 0
	.set _ZN7rocprim17ROCPRIM_400000_NS6detail17trampoline_kernelINS0_14default_configENS1_36segmented_radix_sort_config_selectorIslEEZNS1_25segmented_radix_sort_implIS3_Lb1EPKsPsPKlPlN2at6native12_GLOBAL__N_18offset_tEEE10hipError_tPvRmT1_PNSt15iterator_traitsISK_E10value_typeET2_T3_PNSL_ISQ_E10value_typeET4_jRbjT5_SW_jjP12ihipStream_tbEUlT_E0_NS1_11comp_targetILNS1_3genE8ELNS1_11target_archE1030ELNS1_3gpuE2ELNS1_3repE0EEENS1_60segmented_radix_sort_warp_sort_medium_config_static_selectorELNS0_4arch9wavefront6targetE1EEEvSK_.has_recursion, 0
	.set _ZN7rocprim17ROCPRIM_400000_NS6detail17trampoline_kernelINS0_14default_configENS1_36segmented_radix_sort_config_selectorIslEEZNS1_25segmented_radix_sort_implIS3_Lb1EPKsPsPKlPlN2at6native12_GLOBAL__N_18offset_tEEE10hipError_tPvRmT1_PNSt15iterator_traitsISK_E10value_typeET2_T3_PNSL_ISQ_E10value_typeET4_jRbjT5_SW_jjP12ihipStream_tbEUlT_E0_NS1_11comp_targetILNS1_3genE8ELNS1_11target_archE1030ELNS1_3gpuE2ELNS1_3repE0EEENS1_60segmented_radix_sort_warp_sort_medium_config_static_selectorELNS0_4arch9wavefront6targetE1EEEvSK_.has_indirect_call, 0
	.section	.AMDGPU.csdata,"",@progbits
; Kernel info:
; codeLenInByte = 0
; TotalNumSgprs: 4
; NumVgprs: 0
; ScratchSize: 0
; MemoryBound: 0
; FloatMode: 240
; IeeeMode: 1
; LDSByteSize: 0 bytes/workgroup (compile time only)
; SGPRBlocks: 0
; VGPRBlocks: 0
; NumSGPRsForWavesPerEU: 4
; NumVGPRsForWavesPerEU: 1
; Occupancy: 10
; WaveLimiterHint : 0
; COMPUTE_PGM_RSRC2:SCRATCH_EN: 0
; COMPUTE_PGM_RSRC2:USER_SGPR: 6
; COMPUTE_PGM_RSRC2:TRAP_HANDLER: 0
; COMPUTE_PGM_RSRC2:TGID_X_EN: 1
; COMPUTE_PGM_RSRC2:TGID_Y_EN: 0
; COMPUTE_PGM_RSRC2:TGID_Z_EN: 0
; COMPUTE_PGM_RSRC2:TIDIG_COMP_CNT: 0
	.section	.text._ZN7rocprim17ROCPRIM_400000_NS6detail17trampoline_kernelINS0_14default_configENS1_36segmented_radix_sort_config_selectorIslEEZNS1_25segmented_radix_sort_implIS3_Lb1EPKsPsPKlPlN2at6native12_GLOBAL__N_18offset_tEEE10hipError_tPvRmT1_PNSt15iterator_traitsISK_E10value_typeET2_T3_PNSL_ISQ_E10value_typeET4_jRbjT5_SW_jjP12ihipStream_tbEUlT_E1_NS1_11comp_targetILNS1_3genE0ELNS1_11target_archE4294967295ELNS1_3gpuE0ELNS1_3repE0EEENS1_59segmented_radix_sort_warp_sort_small_config_static_selectorELNS0_4arch9wavefront6targetE1EEEvSK_,"axG",@progbits,_ZN7rocprim17ROCPRIM_400000_NS6detail17trampoline_kernelINS0_14default_configENS1_36segmented_radix_sort_config_selectorIslEEZNS1_25segmented_radix_sort_implIS3_Lb1EPKsPsPKlPlN2at6native12_GLOBAL__N_18offset_tEEE10hipError_tPvRmT1_PNSt15iterator_traitsISK_E10value_typeET2_T3_PNSL_ISQ_E10value_typeET4_jRbjT5_SW_jjP12ihipStream_tbEUlT_E1_NS1_11comp_targetILNS1_3genE0ELNS1_11target_archE4294967295ELNS1_3gpuE0ELNS1_3repE0EEENS1_59segmented_radix_sort_warp_sort_small_config_static_selectorELNS0_4arch9wavefront6targetE1EEEvSK_,comdat
	.globl	_ZN7rocprim17ROCPRIM_400000_NS6detail17trampoline_kernelINS0_14default_configENS1_36segmented_radix_sort_config_selectorIslEEZNS1_25segmented_radix_sort_implIS3_Lb1EPKsPsPKlPlN2at6native12_GLOBAL__N_18offset_tEEE10hipError_tPvRmT1_PNSt15iterator_traitsISK_E10value_typeET2_T3_PNSL_ISQ_E10value_typeET4_jRbjT5_SW_jjP12ihipStream_tbEUlT_E1_NS1_11comp_targetILNS1_3genE0ELNS1_11target_archE4294967295ELNS1_3gpuE0ELNS1_3repE0EEENS1_59segmented_radix_sort_warp_sort_small_config_static_selectorELNS0_4arch9wavefront6targetE1EEEvSK_ ; -- Begin function _ZN7rocprim17ROCPRIM_400000_NS6detail17trampoline_kernelINS0_14default_configENS1_36segmented_radix_sort_config_selectorIslEEZNS1_25segmented_radix_sort_implIS3_Lb1EPKsPsPKlPlN2at6native12_GLOBAL__N_18offset_tEEE10hipError_tPvRmT1_PNSt15iterator_traitsISK_E10value_typeET2_T3_PNSL_ISQ_E10value_typeET4_jRbjT5_SW_jjP12ihipStream_tbEUlT_E1_NS1_11comp_targetILNS1_3genE0ELNS1_11target_archE4294967295ELNS1_3gpuE0ELNS1_3repE0EEENS1_59segmented_radix_sort_warp_sort_small_config_static_selectorELNS0_4arch9wavefront6targetE1EEEvSK_
	.p2align	8
	.type	_ZN7rocprim17ROCPRIM_400000_NS6detail17trampoline_kernelINS0_14default_configENS1_36segmented_radix_sort_config_selectorIslEEZNS1_25segmented_radix_sort_implIS3_Lb1EPKsPsPKlPlN2at6native12_GLOBAL__N_18offset_tEEE10hipError_tPvRmT1_PNSt15iterator_traitsISK_E10value_typeET2_T3_PNSL_ISQ_E10value_typeET4_jRbjT5_SW_jjP12ihipStream_tbEUlT_E1_NS1_11comp_targetILNS1_3genE0ELNS1_11target_archE4294967295ELNS1_3gpuE0ELNS1_3repE0EEENS1_59segmented_radix_sort_warp_sort_small_config_static_selectorELNS0_4arch9wavefront6targetE1EEEvSK_,@function
_ZN7rocprim17ROCPRIM_400000_NS6detail17trampoline_kernelINS0_14default_configENS1_36segmented_radix_sort_config_selectorIslEEZNS1_25segmented_radix_sort_implIS3_Lb1EPKsPsPKlPlN2at6native12_GLOBAL__N_18offset_tEEE10hipError_tPvRmT1_PNSt15iterator_traitsISK_E10value_typeET2_T3_PNSL_ISQ_E10value_typeET4_jRbjT5_SW_jjP12ihipStream_tbEUlT_E1_NS1_11comp_targetILNS1_3genE0ELNS1_11target_archE4294967295ELNS1_3gpuE0ELNS1_3repE0EEENS1_59segmented_radix_sort_warp_sort_small_config_static_selectorELNS0_4arch9wavefront6targetE1EEEvSK_: ; @_ZN7rocprim17ROCPRIM_400000_NS6detail17trampoline_kernelINS0_14default_configENS1_36segmented_radix_sort_config_selectorIslEEZNS1_25segmented_radix_sort_implIS3_Lb1EPKsPsPKlPlN2at6native12_GLOBAL__N_18offset_tEEE10hipError_tPvRmT1_PNSt15iterator_traitsISK_E10value_typeET2_T3_PNSL_ISQ_E10value_typeET4_jRbjT5_SW_jjP12ihipStream_tbEUlT_E1_NS1_11comp_targetILNS1_3genE0ELNS1_11target_archE4294967295ELNS1_3gpuE0ELNS1_3repE0EEENS1_59segmented_radix_sort_warp_sort_small_config_static_selectorELNS0_4arch9wavefront6targetE1EEEvSK_
; %bb.0:
	.section	.rodata,"a",@progbits
	.p2align	6, 0x0
	.amdhsa_kernel _ZN7rocprim17ROCPRIM_400000_NS6detail17trampoline_kernelINS0_14default_configENS1_36segmented_radix_sort_config_selectorIslEEZNS1_25segmented_radix_sort_implIS3_Lb1EPKsPsPKlPlN2at6native12_GLOBAL__N_18offset_tEEE10hipError_tPvRmT1_PNSt15iterator_traitsISK_E10value_typeET2_T3_PNSL_ISQ_E10value_typeET4_jRbjT5_SW_jjP12ihipStream_tbEUlT_E1_NS1_11comp_targetILNS1_3genE0ELNS1_11target_archE4294967295ELNS1_3gpuE0ELNS1_3repE0EEENS1_59segmented_radix_sort_warp_sort_small_config_static_selectorELNS0_4arch9wavefront6targetE1EEEvSK_
		.amdhsa_group_segment_fixed_size 0
		.amdhsa_private_segment_fixed_size 0
		.amdhsa_kernarg_size 88
		.amdhsa_user_sgpr_count 6
		.amdhsa_user_sgpr_private_segment_buffer 1
		.amdhsa_user_sgpr_dispatch_ptr 0
		.amdhsa_user_sgpr_queue_ptr 0
		.amdhsa_user_sgpr_kernarg_segment_ptr 1
		.amdhsa_user_sgpr_dispatch_id 0
		.amdhsa_user_sgpr_flat_scratch_init 0
		.amdhsa_user_sgpr_private_segment_size 0
		.amdhsa_uses_dynamic_stack 0
		.amdhsa_system_sgpr_private_segment_wavefront_offset 0
		.amdhsa_system_sgpr_workgroup_id_x 1
		.amdhsa_system_sgpr_workgroup_id_y 0
		.amdhsa_system_sgpr_workgroup_id_z 0
		.amdhsa_system_sgpr_workgroup_info 0
		.amdhsa_system_vgpr_workitem_id 0
		.amdhsa_next_free_vgpr 1
		.amdhsa_next_free_sgpr 0
		.amdhsa_reserve_vcc 0
		.amdhsa_reserve_flat_scratch 0
		.amdhsa_float_round_mode_32 0
		.amdhsa_float_round_mode_16_64 0
		.amdhsa_float_denorm_mode_32 3
		.amdhsa_float_denorm_mode_16_64 3
		.amdhsa_dx10_clamp 1
		.amdhsa_ieee_mode 1
		.amdhsa_fp16_overflow 0
		.amdhsa_exception_fp_ieee_invalid_op 0
		.amdhsa_exception_fp_denorm_src 0
		.amdhsa_exception_fp_ieee_div_zero 0
		.amdhsa_exception_fp_ieee_overflow 0
		.amdhsa_exception_fp_ieee_underflow 0
		.amdhsa_exception_fp_ieee_inexact 0
		.amdhsa_exception_int_div_zero 0
	.end_amdhsa_kernel
	.section	.text._ZN7rocprim17ROCPRIM_400000_NS6detail17trampoline_kernelINS0_14default_configENS1_36segmented_radix_sort_config_selectorIslEEZNS1_25segmented_radix_sort_implIS3_Lb1EPKsPsPKlPlN2at6native12_GLOBAL__N_18offset_tEEE10hipError_tPvRmT1_PNSt15iterator_traitsISK_E10value_typeET2_T3_PNSL_ISQ_E10value_typeET4_jRbjT5_SW_jjP12ihipStream_tbEUlT_E1_NS1_11comp_targetILNS1_3genE0ELNS1_11target_archE4294967295ELNS1_3gpuE0ELNS1_3repE0EEENS1_59segmented_radix_sort_warp_sort_small_config_static_selectorELNS0_4arch9wavefront6targetE1EEEvSK_,"axG",@progbits,_ZN7rocprim17ROCPRIM_400000_NS6detail17trampoline_kernelINS0_14default_configENS1_36segmented_radix_sort_config_selectorIslEEZNS1_25segmented_radix_sort_implIS3_Lb1EPKsPsPKlPlN2at6native12_GLOBAL__N_18offset_tEEE10hipError_tPvRmT1_PNSt15iterator_traitsISK_E10value_typeET2_T3_PNSL_ISQ_E10value_typeET4_jRbjT5_SW_jjP12ihipStream_tbEUlT_E1_NS1_11comp_targetILNS1_3genE0ELNS1_11target_archE4294967295ELNS1_3gpuE0ELNS1_3repE0EEENS1_59segmented_radix_sort_warp_sort_small_config_static_selectorELNS0_4arch9wavefront6targetE1EEEvSK_,comdat
.Lfunc_end931:
	.size	_ZN7rocprim17ROCPRIM_400000_NS6detail17trampoline_kernelINS0_14default_configENS1_36segmented_radix_sort_config_selectorIslEEZNS1_25segmented_radix_sort_implIS3_Lb1EPKsPsPKlPlN2at6native12_GLOBAL__N_18offset_tEEE10hipError_tPvRmT1_PNSt15iterator_traitsISK_E10value_typeET2_T3_PNSL_ISQ_E10value_typeET4_jRbjT5_SW_jjP12ihipStream_tbEUlT_E1_NS1_11comp_targetILNS1_3genE0ELNS1_11target_archE4294967295ELNS1_3gpuE0ELNS1_3repE0EEENS1_59segmented_radix_sort_warp_sort_small_config_static_selectorELNS0_4arch9wavefront6targetE1EEEvSK_, .Lfunc_end931-_ZN7rocprim17ROCPRIM_400000_NS6detail17trampoline_kernelINS0_14default_configENS1_36segmented_radix_sort_config_selectorIslEEZNS1_25segmented_radix_sort_implIS3_Lb1EPKsPsPKlPlN2at6native12_GLOBAL__N_18offset_tEEE10hipError_tPvRmT1_PNSt15iterator_traitsISK_E10value_typeET2_T3_PNSL_ISQ_E10value_typeET4_jRbjT5_SW_jjP12ihipStream_tbEUlT_E1_NS1_11comp_targetILNS1_3genE0ELNS1_11target_archE4294967295ELNS1_3gpuE0ELNS1_3repE0EEENS1_59segmented_radix_sort_warp_sort_small_config_static_selectorELNS0_4arch9wavefront6targetE1EEEvSK_
                                        ; -- End function
	.set _ZN7rocprim17ROCPRIM_400000_NS6detail17trampoline_kernelINS0_14default_configENS1_36segmented_radix_sort_config_selectorIslEEZNS1_25segmented_radix_sort_implIS3_Lb1EPKsPsPKlPlN2at6native12_GLOBAL__N_18offset_tEEE10hipError_tPvRmT1_PNSt15iterator_traitsISK_E10value_typeET2_T3_PNSL_ISQ_E10value_typeET4_jRbjT5_SW_jjP12ihipStream_tbEUlT_E1_NS1_11comp_targetILNS1_3genE0ELNS1_11target_archE4294967295ELNS1_3gpuE0ELNS1_3repE0EEENS1_59segmented_radix_sort_warp_sort_small_config_static_selectorELNS0_4arch9wavefront6targetE1EEEvSK_.num_vgpr, 0
	.set _ZN7rocprim17ROCPRIM_400000_NS6detail17trampoline_kernelINS0_14default_configENS1_36segmented_radix_sort_config_selectorIslEEZNS1_25segmented_radix_sort_implIS3_Lb1EPKsPsPKlPlN2at6native12_GLOBAL__N_18offset_tEEE10hipError_tPvRmT1_PNSt15iterator_traitsISK_E10value_typeET2_T3_PNSL_ISQ_E10value_typeET4_jRbjT5_SW_jjP12ihipStream_tbEUlT_E1_NS1_11comp_targetILNS1_3genE0ELNS1_11target_archE4294967295ELNS1_3gpuE0ELNS1_3repE0EEENS1_59segmented_radix_sort_warp_sort_small_config_static_selectorELNS0_4arch9wavefront6targetE1EEEvSK_.num_agpr, 0
	.set _ZN7rocprim17ROCPRIM_400000_NS6detail17trampoline_kernelINS0_14default_configENS1_36segmented_radix_sort_config_selectorIslEEZNS1_25segmented_radix_sort_implIS3_Lb1EPKsPsPKlPlN2at6native12_GLOBAL__N_18offset_tEEE10hipError_tPvRmT1_PNSt15iterator_traitsISK_E10value_typeET2_T3_PNSL_ISQ_E10value_typeET4_jRbjT5_SW_jjP12ihipStream_tbEUlT_E1_NS1_11comp_targetILNS1_3genE0ELNS1_11target_archE4294967295ELNS1_3gpuE0ELNS1_3repE0EEENS1_59segmented_radix_sort_warp_sort_small_config_static_selectorELNS0_4arch9wavefront6targetE1EEEvSK_.numbered_sgpr, 0
	.set _ZN7rocprim17ROCPRIM_400000_NS6detail17trampoline_kernelINS0_14default_configENS1_36segmented_radix_sort_config_selectorIslEEZNS1_25segmented_radix_sort_implIS3_Lb1EPKsPsPKlPlN2at6native12_GLOBAL__N_18offset_tEEE10hipError_tPvRmT1_PNSt15iterator_traitsISK_E10value_typeET2_T3_PNSL_ISQ_E10value_typeET4_jRbjT5_SW_jjP12ihipStream_tbEUlT_E1_NS1_11comp_targetILNS1_3genE0ELNS1_11target_archE4294967295ELNS1_3gpuE0ELNS1_3repE0EEENS1_59segmented_radix_sort_warp_sort_small_config_static_selectorELNS0_4arch9wavefront6targetE1EEEvSK_.num_named_barrier, 0
	.set _ZN7rocprim17ROCPRIM_400000_NS6detail17trampoline_kernelINS0_14default_configENS1_36segmented_radix_sort_config_selectorIslEEZNS1_25segmented_radix_sort_implIS3_Lb1EPKsPsPKlPlN2at6native12_GLOBAL__N_18offset_tEEE10hipError_tPvRmT1_PNSt15iterator_traitsISK_E10value_typeET2_T3_PNSL_ISQ_E10value_typeET4_jRbjT5_SW_jjP12ihipStream_tbEUlT_E1_NS1_11comp_targetILNS1_3genE0ELNS1_11target_archE4294967295ELNS1_3gpuE0ELNS1_3repE0EEENS1_59segmented_radix_sort_warp_sort_small_config_static_selectorELNS0_4arch9wavefront6targetE1EEEvSK_.private_seg_size, 0
	.set _ZN7rocprim17ROCPRIM_400000_NS6detail17trampoline_kernelINS0_14default_configENS1_36segmented_radix_sort_config_selectorIslEEZNS1_25segmented_radix_sort_implIS3_Lb1EPKsPsPKlPlN2at6native12_GLOBAL__N_18offset_tEEE10hipError_tPvRmT1_PNSt15iterator_traitsISK_E10value_typeET2_T3_PNSL_ISQ_E10value_typeET4_jRbjT5_SW_jjP12ihipStream_tbEUlT_E1_NS1_11comp_targetILNS1_3genE0ELNS1_11target_archE4294967295ELNS1_3gpuE0ELNS1_3repE0EEENS1_59segmented_radix_sort_warp_sort_small_config_static_selectorELNS0_4arch9wavefront6targetE1EEEvSK_.uses_vcc, 0
	.set _ZN7rocprim17ROCPRIM_400000_NS6detail17trampoline_kernelINS0_14default_configENS1_36segmented_radix_sort_config_selectorIslEEZNS1_25segmented_radix_sort_implIS3_Lb1EPKsPsPKlPlN2at6native12_GLOBAL__N_18offset_tEEE10hipError_tPvRmT1_PNSt15iterator_traitsISK_E10value_typeET2_T3_PNSL_ISQ_E10value_typeET4_jRbjT5_SW_jjP12ihipStream_tbEUlT_E1_NS1_11comp_targetILNS1_3genE0ELNS1_11target_archE4294967295ELNS1_3gpuE0ELNS1_3repE0EEENS1_59segmented_radix_sort_warp_sort_small_config_static_selectorELNS0_4arch9wavefront6targetE1EEEvSK_.uses_flat_scratch, 0
	.set _ZN7rocprim17ROCPRIM_400000_NS6detail17trampoline_kernelINS0_14default_configENS1_36segmented_radix_sort_config_selectorIslEEZNS1_25segmented_radix_sort_implIS3_Lb1EPKsPsPKlPlN2at6native12_GLOBAL__N_18offset_tEEE10hipError_tPvRmT1_PNSt15iterator_traitsISK_E10value_typeET2_T3_PNSL_ISQ_E10value_typeET4_jRbjT5_SW_jjP12ihipStream_tbEUlT_E1_NS1_11comp_targetILNS1_3genE0ELNS1_11target_archE4294967295ELNS1_3gpuE0ELNS1_3repE0EEENS1_59segmented_radix_sort_warp_sort_small_config_static_selectorELNS0_4arch9wavefront6targetE1EEEvSK_.has_dyn_sized_stack, 0
	.set _ZN7rocprim17ROCPRIM_400000_NS6detail17trampoline_kernelINS0_14default_configENS1_36segmented_radix_sort_config_selectorIslEEZNS1_25segmented_radix_sort_implIS3_Lb1EPKsPsPKlPlN2at6native12_GLOBAL__N_18offset_tEEE10hipError_tPvRmT1_PNSt15iterator_traitsISK_E10value_typeET2_T3_PNSL_ISQ_E10value_typeET4_jRbjT5_SW_jjP12ihipStream_tbEUlT_E1_NS1_11comp_targetILNS1_3genE0ELNS1_11target_archE4294967295ELNS1_3gpuE0ELNS1_3repE0EEENS1_59segmented_radix_sort_warp_sort_small_config_static_selectorELNS0_4arch9wavefront6targetE1EEEvSK_.has_recursion, 0
	.set _ZN7rocprim17ROCPRIM_400000_NS6detail17trampoline_kernelINS0_14default_configENS1_36segmented_radix_sort_config_selectorIslEEZNS1_25segmented_radix_sort_implIS3_Lb1EPKsPsPKlPlN2at6native12_GLOBAL__N_18offset_tEEE10hipError_tPvRmT1_PNSt15iterator_traitsISK_E10value_typeET2_T3_PNSL_ISQ_E10value_typeET4_jRbjT5_SW_jjP12ihipStream_tbEUlT_E1_NS1_11comp_targetILNS1_3genE0ELNS1_11target_archE4294967295ELNS1_3gpuE0ELNS1_3repE0EEENS1_59segmented_radix_sort_warp_sort_small_config_static_selectorELNS0_4arch9wavefront6targetE1EEEvSK_.has_indirect_call, 0
	.section	.AMDGPU.csdata,"",@progbits
; Kernel info:
; codeLenInByte = 0
; TotalNumSgprs: 4
; NumVgprs: 0
; ScratchSize: 0
; MemoryBound: 0
; FloatMode: 240
; IeeeMode: 1
; LDSByteSize: 0 bytes/workgroup (compile time only)
; SGPRBlocks: 0
; VGPRBlocks: 0
; NumSGPRsForWavesPerEU: 4
; NumVGPRsForWavesPerEU: 1
; Occupancy: 10
; WaveLimiterHint : 0
; COMPUTE_PGM_RSRC2:SCRATCH_EN: 0
; COMPUTE_PGM_RSRC2:USER_SGPR: 6
; COMPUTE_PGM_RSRC2:TRAP_HANDLER: 0
; COMPUTE_PGM_RSRC2:TGID_X_EN: 1
; COMPUTE_PGM_RSRC2:TGID_Y_EN: 0
; COMPUTE_PGM_RSRC2:TGID_Z_EN: 0
; COMPUTE_PGM_RSRC2:TIDIG_COMP_CNT: 0
	.section	.text._ZN7rocprim17ROCPRIM_400000_NS6detail17trampoline_kernelINS0_14default_configENS1_36segmented_radix_sort_config_selectorIslEEZNS1_25segmented_radix_sort_implIS3_Lb1EPKsPsPKlPlN2at6native12_GLOBAL__N_18offset_tEEE10hipError_tPvRmT1_PNSt15iterator_traitsISK_E10value_typeET2_T3_PNSL_ISQ_E10value_typeET4_jRbjT5_SW_jjP12ihipStream_tbEUlT_E1_NS1_11comp_targetILNS1_3genE5ELNS1_11target_archE942ELNS1_3gpuE9ELNS1_3repE0EEENS1_59segmented_radix_sort_warp_sort_small_config_static_selectorELNS0_4arch9wavefront6targetE1EEEvSK_,"axG",@progbits,_ZN7rocprim17ROCPRIM_400000_NS6detail17trampoline_kernelINS0_14default_configENS1_36segmented_radix_sort_config_selectorIslEEZNS1_25segmented_radix_sort_implIS3_Lb1EPKsPsPKlPlN2at6native12_GLOBAL__N_18offset_tEEE10hipError_tPvRmT1_PNSt15iterator_traitsISK_E10value_typeET2_T3_PNSL_ISQ_E10value_typeET4_jRbjT5_SW_jjP12ihipStream_tbEUlT_E1_NS1_11comp_targetILNS1_3genE5ELNS1_11target_archE942ELNS1_3gpuE9ELNS1_3repE0EEENS1_59segmented_radix_sort_warp_sort_small_config_static_selectorELNS0_4arch9wavefront6targetE1EEEvSK_,comdat
	.globl	_ZN7rocprim17ROCPRIM_400000_NS6detail17trampoline_kernelINS0_14default_configENS1_36segmented_radix_sort_config_selectorIslEEZNS1_25segmented_radix_sort_implIS3_Lb1EPKsPsPKlPlN2at6native12_GLOBAL__N_18offset_tEEE10hipError_tPvRmT1_PNSt15iterator_traitsISK_E10value_typeET2_T3_PNSL_ISQ_E10value_typeET4_jRbjT5_SW_jjP12ihipStream_tbEUlT_E1_NS1_11comp_targetILNS1_3genE5ELNS1_11target_archE942ELNS1_3gpuE9ELNS1_3repE0EEENS1_59segmented_radix_sort_warp_sort_small_config_static_selectorELNS0_4arch9wavefront6targetE1EEEvSK_ ; -- Begin function _ZN7rocprim17ROCPRIM_400000_NS6detail17trampoline_kernelINS0_14default_configENS1_36segmented_radix_sort_config_selectorIslEEZNS1_25segmented_radix_sort_implIS3_Lb1EPKsPsPKlPlN2at6native12_GLOBAL__N_18offset_tEEE10hipError_tPvRmT1_PNSt15iterator_traitsISK_E10value_typeET2_T3_PNSL_ISQ_E10value_typeET4_jRbjT5_SW_jjP12ihipStream_tbEUlT_E1_NS1_11comp_targetILNS1_3genE5ELNS1_11target_archE942ELNS1_3gpuE9ELNS1_3repE0EEENS1_59segmented_radix_sort_warp_sort_small_config_static_selectorELNS0_4arch9wavefront6targetE1EEEvSK_
	.p2align	8
	.type	_ZN7rocprim17ROCPRIM_400000_NS6detail17trampoline_kernelINS0_14default_configENS1_36segmented_radix_sort_config_selectorIslEEZNS1_25segmented_radix_sort_implIS3_Lb1EPKsPsPKlPlN2at6native12_GLOBAL__N_18offset_tEEE10hipError_tPvRmT1_PNSt15iterator_traitsISK_E10value_typeET2_T3_PNSL_ISQ_E10value_typeET4_jRbjT5_SW_jjP12ihipStream_tbEUlT_E1_NS1_11comp_targetILNS1_3genE5ELNS1_11target_archE942ELNS1_3gpuE9ELNS1_3repE0EEENS1_59segmented_radix_sort_warp_sort_small_config_static_selectorELNS0_4arch9wavefront6targetE1EEEvSK_,@function
_ZN7rocprim17ROCPRIM_400000_NS6detail17trampoline_kernelINS0_14default_configENS1_36segmented_radix_sort_config_selectorIslEEZNS1_25segmented_radix_sort_implIS3_Lb1EPKsPsPKlPlN2at6native12_GLOBAL__N_18offset_tEEE10hipError_tPvRmT1_PNSt15iterator_traitsISK_E10value_typeET2_T3_PNSL_ISQ_E10value_typeET4_jRbjT5_SW_jjP12ihipStream_tbEUlT_E1_NS1_11comp_targetILNS1_3genE5ELNS1_11target_archE942ELNS1_3gpuE9ELNS1_3repE0EEENS1_59segmented_radix_sort_warp_sort_small_config_static_selectorELNS0_4arch9wavefront6targetE1EEEvSK_: ; @_ZN7rocprim17ROCPRIM_400000_NS6detail17trampoline_kernelINS0_14default_configENS1_36segmented_radix_sort_config_selectorIslEEZNS1_25segmented_radix_sort_implIS3_Lb1EPKsPsPKlPlN2at6native12_GLOBAL__N_18offset_tEEE10hipError_tPvRmT1_PNSt15iterator_traitsISK_E10value_typeET2_T3_PNSL_ISQ_E10value_typeET4_jRbjT5_SW_jjP12ihipStream_tbEUlT_E1_NS1_11comp_targetILNS1_3genE5ELNS1_11target_archE942ELNS1_3gpuE9ELNS1_3repE0EEENS1_59segmented_radix_sort_warp_sort_small_config_static_selectorELNS0_4arch9wavefront6targetE1EEEvSK_
; %bb.0:
	.section	.rodata,"a",@progbits
	.p2align	6, 0x0
	.amdhsa_kernel _ZN7rocprim17ROCPRIM_400000_NS6detail17trampoline_kernelINS0_14default_configENS1_36segmented_radix_sort_config_selectorIslEEZNS1_25segmented_radix_sort_implIS3_Lb1EPKsPsPKlPlN2at6native12_GLOBAL__N_18offset_tEEE10hipError_tPvRmT1_PNSt15iterator_traitsISK_E10value_typeET2_T3_PNSL_ISQ_E10value_typeET4_jRbjT5_SW_jjP12ihipStream_tbEUlT_E1_NS1_11comp_targetILNS1_3genE5ELNS1_11target_archE942ELNS1_3gpuE9ELNS1_3repE0EEENS1_59segmented_radix_sort_warp_sort_small_config_static_selectorELNS0_4arch9wavefront6targetE1EEEvSK_
		.amdhsa_group_segment_fixed_size 0
		.amdhsa_private_segment_fixed_size 0
		.amdhsa_kernarg_size 88
		.amdhsa_user_sgpr_count 6
		.amdhsa_user_sgpr_private_segment_buffer 1
		.amdhsa_user_sgpr_dispatch_ptr 0
		.amdhsa_user_sgpr_queue_ptr 0
		.amdhsa_user_sgpr_kernarg_segment_ptr 1
		.amdhsa_user_sgpr_dispatch_id 0
		.amdhsa_user_sgpr_flat_scratch_init 0
		.amdhsa_user_sgpr_private_segment_size 0
		.amdhsa_uses_dynamic_stack 0
		.amdhsa_system_sgpr_private_segment_wavefront_offset 0
		.amdhsa_system_sgpr_workgroup_id_x 1
		.amdhsa_system_sgpr_workgroup_id_y 0
		.amdhsa_system_sgpr_workgroup_id_z 0
		.amdhsa_system_sgpr_workgroup_info 0
		.amdhsa_system_vgpr_workitem_id 0
		.amdhsa_next_free_vgpr 1
		.amdhsa_next_free_sgpr 0
		.amdhsa_reserve_vcc 0
		.amdhsa_reserve_flat_scratch 0
		.amdhsa_float_round_mode_32 0
		.amdhsa_float_round_mode_16_64 0
		.amdhsa_float_denorm_mode_32 3
		.amdhsa_float_denorm_mode_16_64 3
		.amdhsa_dx10_clamp 1
		.amdhsa_ieee_mode 1
		.amdhsa_fp16_overflow 0
		.amdhsa_exception_fp_ieee_invalid_op 0
		.amdhsa_exception_fp_denorm_src 0
		.amdhsa_exception_fp_ieee_div_zero 0
		.amdhsa_exception_fp_ieee_overflow 0
		.amdhsa_exception_fp_ieee_underflow 0
		.amdhsa_exception_fp_ieee_inexact 0
		.amdhsa_exception_int_div_zero 0
	.end_amdhsa_kernel
	.section	.text._ZN7rocprim17ROCPRIM_400000_NS6detail17trampoline_kernelINS0_14default_configENS1_36segmented_radix_sort_config_selectorIslEEZNS1_25segmented_radix_sort_implIS3_Lb1EPKsPsPKlPlN2at6native12_GLOBAL__N_18offset_tEEE10hipError_tPvRmT1_PNSt15iterator_traitsISK_E10value_typeET2_T3_PNSL_ISQ_E10value_typeET4_jRbjT5_SW_jjP12ihipStream_tbEUlT_E1_NS1_11comp_targetILNS1_3genE5ELNS1_11target_archE942ELNS1_3gpuE9ELNS1_3repE0EEENS1_59segmented_radix_sort_warp_sort_small_config_static_selectorELNS0_4arch9wavefront6targetE1EEEvSK_,"axG",@progbits,_ZN7rocprim17ROCPRIM_400000_NS6detail17trampoline_kernelINS0_14default_configENS1_36segmented_radix_sort_config_selectorIslEEZNS1_25segmented_radix_sort_implIS3_Lb1EPKsPsPKlPlN2at6native12_GLOBAL__N_18offset_tEEE10hipError_tPvRmT1_PNSt15iterator_traitsISK_E10value_typeET2_T3_PNSL_ISQ_E10value_typeET4_jRbjT5_SW_jjP12ihipStream_tbEUlT_E1_NS1_11comp_targetILNS1_3genE5ELNS1_11target_archE942ELNS1_3gpuE9ELNS1_3repE0EEENS1_59segmented_radix_sort_warp_sort_small_config_static_selectorELNS0_4arch9wavefront6targetE1EEEvSK_,comdat
.Lfunc_end932:
	.size	_ZN7rocprim17ROCPRIM_400000_NS6detail17trampoline_kernelINS0_14default_configENS1_36segmented_radix_sort_config_selectorIslEEZNS1_25segmented_radix_sort_implIS3_Lb1EPKsPsPKlPlN2at6native12_GLOBAL__N_18offset_tEEE10hipError_tPvRmT1_PNSt15iterator_traitsISK_E10value_typeET2_T3_PNSL_ISQ_E10value_typeET4_jRbjT5_SW_jjP12ihipStream_tbEUlT_E1_NS1_11comp_targetILNS1_3genE5ELNS1_11target_archE942ELNS1_3gpuE9ELNS1_3repE0EEENS1_59segmented_radix_sort_warp_sort_small_config_static_selectorELNS0_4arch9wavefront6targetE1EEEvSK_, .Lfunc_end932-_ZN7rocprim17ROCPRIM_400000_NS6detail17trampoline_kernelINS0_14default_configENS1_36segmented_radix_sort_config_selectorIslEEZNS1_25segmented_radix_sort_implIS3_Lb1EPKsPsPKlPlN2at6native12_GLOBAL__N_18offset_tEEE10hipError_tPvRmT1_PNSt15iterator_traitsISK_E10value_typeET2_T3_PNSL_ISQ_E10value_typeET4_jRbjT5_SW_jjP12ihipStream_tbEUlT_E1_NS1_11comp_targetILNS1_3genE5ELNS1_11target_archE942ELNS1_3gpuE9ELNS1_3repE0EEENS1_59segmented_radix_sort_warp_sort_small_config_static_selectorELNS0_4arch9wavefront6targetE1EEEvSK_
                                        ; -- End function
	.set _ZN7rocprim17ROCPRIM_400000_NS6detail17trampoline_kernelINS0_14default_configENS1_36segmented_radix_sort_config_selectorIslEEZNS1_25segmented_radix_sort_implIS3_Lb1EPKsPsPKlPlN2at6native12_GLOBAL__N_18offset_tEEE10hipError_tPvRmT1_PNSt15iterator_traitsISK_E10value_typeET2_T3_PNSL_ISQ_E10value_typeET4_jRbjT5_SW_jjP12ihipStream_tbEUlT_E1_NS1_11comp_targetILNS1_3genE5ELNS1_11target_archE942ELNS1_3gpuE9ELNS1_3repE0EEENS1_59segmented_radix_sort_warp_sort_small_config_static_selectorELNS0_4arch9wavefront6targetE1EEEvSK_.num_vgpr, 0
	.set _ZN7rocprim17ROCPRIM_400000_NS6detail17trampoline_kernelINS0_14default_configENS1_36segmented_radix_sort_config_selectorIslEEZNS1_25segmented_radix_sort_implIS3_Lb1EPKsPsPKlPlN2at6native12_GLOBAL__N_18offset_tEEE10hipError_tPvRmT1_PNSt15iterator_traitsISK_E10value_typeET2_T3_PNSL_ISQ_E10value_typeET4_jRbjT5_SW_jjP12ihipStream_tbEUlT_E1_NS1_11comp_targetILNS1_3genE5ELNS1_11target_archE942ELNS1_3gpuE9ELNS1_3repE0EEENS1_59segmented_radix_sort_warp_sort_small_config_static_selectorELNS0_4arch9wavefront6targetE1EEEvSK_.num_agpr, 0
	.set _ZN7rocprim17ROCPRIM_400000_NS6detail17trampoline_kernelINS0_14default_configENS1_36segmented_radix_sort_config_selectorIslEEZNS1_25segmented_radix_sort_implIS3_Lb1EPKsPsPKlPlN2at6native12_GLOBAL__N_18offset_tEEE10hipError_tPvRmT1_PNSt15iterator_traitsISK_E10value_typeET2_T3_PNSL_ISQ_E10value_typeET4_jRbjT5_SW_jjP12ihipStream_tbEUlT_E1_NS1_11comp_targetILNS1_3genE5ELNS1_11target_archE942ELNS1_3gpuE9ELNS1_3repE0EEENS1_59segmented_radix_sort_warp_sort_small_config_static_selectorELNS0_4arch9wavefront6targetE1EEEvSK_.numbered_sgpr, 0
	.set _ZN7rocprim17ROCPRIM_400000_NS6detail17trampoline_kernelINS0_14default_configENS1_36segmented_radix_sort_config_selectorIslEEZNS1_25segmented_radix_sort_implIS3_Lb1EPKsPsPKlPlN2at6native12_GLOBAL__N_18offset_tEEE10hipError_tPvRmT1_PNSt15iterator_traitsISK_E10value_typeET2_T3_PNSL_ISQ_E10value_typeET4_jRbjT5_SW_jjP12ihipStream_tbEUlT_E1_NS1_11comp_targetILNS1_3genE5ELNS1_11target_archE942ELNS1_3gpuE9ELNS1_3repE0EEENS1_59segmented_radix_sort_warp_sort_small_config_static_selectorELNS0_4arch9wavefront6targetE1EEEvSK_.num_named_barrier, 0
	.set _ZN7rocprim17ROCPRIM_400000_NS6detail17trampoline_kernelINS0_14default_configENS1_36segmented_radix_sort_config_selectorIslEEZNS1_25segmented_radix_sort_implIS3_Lb1EPKsPsPKlPlN2at6native12_GLOBAL__N_18offset_tEEE10hipError_tPvRmT1_PNSt15iterator_traitsISK_E10value_typeET2_T3_PNSL_ISQ_E10value_typeET4_jRbjT5_SW_jjP12ihipStream_tbEUlT_E1_NS1_11comp_targetILNS1_3genE5ELNS1_11target_archE942ELNS1_3gpuE9ELNS1_3repE0EEENS1_59segmented_radix_sort_warp_sort_small_config_static_selectorELNS0_4arch9wavefront6targetE1EEEvSK_.private_seg_size, 0
	.set _ZN7rocprim17ROCPRIM_400000_NS6detail17trampoline_kernelINS0_14default_configENS1_36segmented_radix_sort_config_selectorIslEEZNS1_25segmented_radix_sort_implIS3_Lb1EPKsPsPKlPlN2at6native12_GLOBAL__N_18offset_tEEE10hipError_tPvRmT1_PNSt15iterator_traitsISK_E10value_typeET2_T3_PNSL_ISQ_E10value_typeET4_jRbjT5_SW_jjP12ihipStream_tbEUlT_E1_NS1_11comp_targetILNS1_3genE5ELNS1_11target_archE942ELNS1_3gpuE9ELNS1_3repE0EEENS1_59segmented_radix_sort_warp_sort_small_config_static_selectorELNS0_4arch9wavefront6targetE1EEEvSK_.uses_vcc, 0
	.set _ZN7rocprim17ROCPRIM_400000_NS6detail17trampoline_kernelINS0_14default_configENS1_36segmented_radix_sort_config_selectorIslEEZNS1_25segmented_radix_sort_implIS3_Lb1EPKsPsPKlPlN2at6native12_GLOBAL__N_18offset_tEEE10hipError_tPvRmT1_PNSt15iterator_traitsISK_E10value_typeET2_T3_PNSL_ISQ_E10value_typeET4_jRbjT5_SW_jjP12ihipStream_tbEUlT_E1_NS1_11comp_targetILNS1_3genE5ELNS1_11target_archE942ELNS1_3gpuE9ELNS1_3repE0EEENS1_59segmented_radix_sort_warp_sort_small_config_static_selectorELNS0_4arch9wavefront6targetE1EEEvSK_.uses_flat_scratch, 0
	.set _ZN7rocprim17ROCPRIM_400000_NS6detail17trampoline_kernelINS0_14default_configENS1_36segmented_radix_sort_config_selectorIslEEZNS1_25segmented_radix_sort_implIS3_Lb1EPKsPsPKlPlN2at6native12_GLOBAL__N_18offset_tEEE10hipError_tPvRmT1_PNSt15iterator_traitsISK_E10value_typeET2_T3_PNSL_ISQ_E10value_typeET4_jRbjT5_SW_jjP12ihipStream_tbEUlT_E1_NS1_11comp_targetILNS1_3genE5ELNS1_11target_archE942ELNS1_3gpuE9ELNS1_3repE0EEENS1_59segmented_radix_sort_warp_sort_small_config_static_selectorELNS0_4arch9wavefront6targetE1EEEvSK_.has_dyn_sized_stack, 0
	.set _ZN7rocprim17ROCPRIM_400000_NS6detail17trampoline_kernelINS0_14default_configENS1_36segmented_radix_sort_config_selectorIslEEZNS1_25segmented_radix_sort_implIS3_Lb1EPKsPsPKlPlN2at6native12_GLOBAL__N_18offset_tEEE10hipError_tPvRmT1_PNSt15iterator_traitsISK_E10value_typeET2_T3_PNSL_ISQ_E10value_typeET4_jRbjT5_SW_jjP12ihipStream_tbEUlT_E1_NS1_11comp_targetILNS1_3genE5ELNS1_11target_archE942ELNS1_3gpuE9ELNS1_3repE0EEENS1_59segmented_radix_sort_warp_sort_small_config_static_selectorELNS0_4arch9wavefront6targetE1EEEvSK_.has_recursion, 0
	.set _ZN7rocprim17ROCPRIM_400000_NS6detail17trampoline_kernelINS0_14default_configENS1_36segmented_radix_sort_config_selectorIslEEZNS1_25segmented_radix_sort_implIS3_Lb1EPKsPsPKlPlN2at6native12_GLOBAL__N_18offset_tEEE10hipError_tPvRmT1_PNSt15iterator_traitsISK_E10value_typeET2_T3_PNSL_ISQ_E10value_typeET4_jRbjT5_SW_jjP12ihipStream_tbEUlT_E1_NS1_11comp_targetILNS1_3genE5ELNS1_11target_archE942ELNS1_3gpuE9ELNS1_3repE0EEENS1_59segmented_radix_sort_warp_sort_small_config_static_selectorELNS0_4arch9wavefront6targetE1EEEvSK_.has_indirect_call, 0
	.section	.AMDGPU.csdata,"",@progbits
; Kernel info:
; codeLenInByte = 0
; TotalNumSgprs: 4
; NumVgprs: 0
; ScratchSize: 0
; MemoryBound: 0
; FloatMode: 240
; IeeeMode: 1
; LDSByteSize: 0 bytes/workgroup (compile time only)
; SGPRBlocks: 0
; VGPRBlocks: 0
; NumSGPRsForWavesPerEU: 4
; NumVGPRsForWavesPerEU: 1
; Occupancy: 10
; WaveLimiterHint : 0
; COMPUTE_PGM_RSRC2:SCRATCH_EN: 0
; COMPUTE_PGM_RSRC2:USER_SGPR: 6
; COMPUTE_PGM_RSRC2:TRAP_HANDLER: 0
; COMPUTE_PGM_RSRC2:TGID_X_EN: 1
; COMPUTE_PGM_RSRC2:TGID_Y_EN: 0
; COMPUTE_PGM_RSRC2:TGID_Z_EN: 0
; COMPUTE_PGM_RSRC2:TIDIG_COMP_CNT: 0
	.section	.text._ZN7rocprim17ROCPRIM_400000_NS6detail17trampoline_kernelINS0_14default_configENS1_36segmented_radix_sort_config_selectorIslEEZNS1_25segmented_radix_sort_implIS3_Lb1EPKsPsPKlPlN2at6native12_GLOBAL__N_18offset_tEEE10hipError_tPvRmT1_PNSt15iterator_traitsISK_E10value_typeET2_T3_PNSL_ISQ_E10value_typeET4_jRbjT5_SW_jjP12ihipStream_tbEUlT_E1_NS1_11comp_targetILNS1_3genE4ELNS1_11target_archE910ELNS1_3gpuE8ELNS1_3repE0EEENS1_59segmented_radix_sort_warp_sort_small_config_static_selectorELNS0_4arch9wavefront6targetE1EEEvSK_,"axG",@progbits,_ZN7rocprim17ROCPRIM_400000_NS6detail17trampoline_kernelINS0_14default_configENS1_36segmented_radix_sort_config_selectorIslEEZNS1_25segmented_radix_sort_implIS3_Lb1EPKsPsPKlPlN2at6native12_GLOBAL__N_18offset_tEEE10hipError_tPvRmT1_PNSt15iterator_traitsISK_E10value_typeET2_T3_PNSL_ISQ_E10value_typeET4_jRbjT5_SW_jjP12ihipStream_tbEUlT_E1_NS1_11comp_targetILNS1_3genE4ELNS1_11target_archE910ELNS1_3gpuE8ELNS1_3repE0EEENS1_59segmented_radix_sort_warp_sort_small_config_static_selectorELNS0_4arch9wavefront6targetE1EEEvSK_,comdat
	.globl	_ZN7rocprim17ROCPRIM_400000_NS6detail17trampoline_kernelINS0_14default_configENS1_36segmented_radix_sort_config_selectorIslEEZNS1_25segmented_radix_sort_implIS3_Lb1EPKsPsPKlPlN2at6native12_GLOBAL__N_18offset_tEEE10hipError_tPvRmT1_PNSt15iterator_traitsISK_E10value_typeET2_T3_PNSL_ISQ_E10value_typeET4_jRbjT5_SW_jjP12ihipStream_tbEUlT_E1_NS1_11comp_targetILNS1_3genE4ELNS1_11target_archE910ELNS1_3gpuE8ELNS1_3repE0EEENS1_59segmented_radix_sort_warp_sort_small_config_static_selectorELNS0_4arch9wavefront6targetE1EEEvSK_ ; -- Begin function _ZN7rocprim17ROCPRIM_400000_NS6detail17trampoline_kernelINS0_14default_configENS1_36segmented_radix_sort_config_selectorIslEEZNS1_25segmented_radix_sort_implIS3_Lb1EPKsPsPKlPlN2at6native12_GLOBAL__N_18offset_tEEE10hipError_tPvRmT1_PNSt15iterator_traitsISK_E10value_typeET2_T3_PNSL_ISQ_E10value_typeET4_jRbjT5_SW_jjP12ihipStream_tbEUlT_E1_NS1_11comp_targetILNS1_3genE4ELNS1_11target_archE910ELNS1_3gpuE8ELNS1_3repE0EEENS1_59segmented_radix_sort_warp_sort_small_config_static_selectorELNS0_4arch9wavefront6targetE1EEEvSK_
	.p2align	8
	.type	_ZN7rocprim17ROCPRIM_400000_NS6detail17trampoline_kernelINS0_14default_configENS1_36segmented_radix_sort_config_selectorIslEEZNS1_25segmented_radix_sort_implIS3_Lb1EPKsPsPKlPlN2at6native12_GLOBAL__N_18offset_tEEE10hipError_tPvRmT1_PNSt15iterator_traitsISK_E10value_typeET2_T3_PNSL_ISQ_E10value_typeET4_jRbjT5_SW_jjP12ihipStream_tbEUlT_E1_NS1_11comp_targetILNS1_3genE4ELNS1_11target_archE910ELNS1_3gpuE8ELNS1_3repE0EEENS1_59segmented_radix_sort_warp_sort_small_config_static_selectorELNS0_4arch9wavefront6targetE1EEEvSK_,@function
_ZN7rocprim17ROCPRIM_400000_NS6detail17trampoline_kernelINS0_14default_configENS1_36segmented_radix_sort_config_selectorIslEEZNS1_25segmented_radix_sort_implIS3_Lb1EPKsPsPKlPlN2at6native12_GLOBAL__N_18offset_tEEE10hipError_tPvRmT1_PNSt15iterator_traitsISK_E10value_typeET2_T3_PNSL_ISQ_E10value_typeET4_jRbjT5_SW_jjP12ihipStream_tbEUlT_E1_NS1_11comp_targetILNS1_3genE4ELNS1_11target_archE910ELNS1_3gpuE8ELNS1_3repE0EEENS1_59segmented_radix_sort_warp_sort_small_config_static_selectorELNS0_4arch9wavefront6targetE1EEEvSK_: ; @_ZN7rocprim17ROCPRIM_400000_NS6detail17trampoline_kernelINS0_14default_configENS1_36segmented_radix_sort_config_selectorIslEEZNS1_25segmented_radix_sort_implIS3_Lb1EPKsPsPKlPlN2at6native12_GLOBAL__N_18offset_tEEE10hipError_tPvRmT1_PNSt15iterator_traitsISK_E10value_typeET2_T3_PNSL_ISQ_E10value_typeET4_jRbjT5_SW_jjP12ihipStream_tbEUlT_E1_NS1_11comp_targetILNS1_3genE4ELNS1_11target_archE910ELNS1_3gpuE8ELNS1_3repE0EEENS1_59segmented_radix_sort_warp_sort_small_config_static_selectorELNS0_4arch9wavefront6targetE1EEEvSK_
; %bb.0:
	.section	.rodata,"a",@progbits
	.p2align	6, 0x0
	.amdhsa_kernel _ZN7rocprim17ROCPRIM_400000_NS6detail17trampoline_kernelINS0_14default_configENS1_36segmented_radix_sort_config_selectorIslEEZNS1_25segmented_radix_sort_implIS3_Lb1EPKsPsPKlPlN2at6native12_GLOBAL__N_18offset_tEEE10hipError_tPvRmT1_PNSt15iterator_traitsISK_E10value_typeET2_T3_PNSL_ISQ_E10value_typeET4_jRbjT5_SW_jjP12ihipStream_tbEUlT_E1_NS1_11comp_targetILNS1_3genE4ELNS1_11target_archE910ELNS1_3gpuE8ELNS1_3repE0EEENS1_59segmented_radix_sort_warp_sort_small_config_static_selectorELNS0_4arch9wavefront6targetE1EEEvSK_
		.amdhsa_group_segment_fixed_size 0
		.amdhsa_private_segment_fixed_size 0
		.amdhsa_kernarg_size 88
		.amdhsa_user_sgpr_count 6
		.amdhsa_user_sgpr_private_segment_buffer 1
		.amdhsa_user_sgpr_dispatch_ptr 0
		.amdhsa_user_sgpr_queue_ptr 0
		.amdhsa_user_sgpr_kernarg_segment_ptr 1
		.amdhsa_user_sgpr_dispatch_id 0
		.amdhsa_user_sgpr_flat_scratch_init 0
		.amdhsa_user_sgpr_private_segment_size 0
		.amdhsa_uses_dynamic_stack 0
		.amdhsa_system_sgpr_private_segment_wavefront_offset 0
		.amdhsa_system_sgpr_workgroup_id_x 1
		.amdhsa_system_sgpr_workgroup_id_y 0
		.amdhsa_system_sgpr_workgroup_id_z 0
		.amdhsa_system_sgpr_workgroup_info 0
		.amdhsa_system_vgpr_workitem_id 0
		.amdhsa_next_free_vgpr 1
		.amdhsa_next_free_sgpr 0
		.amdhsa_reserve_vcc 0
		.amdhsa_reserve_flat_scratch 0
		.amdhsa_float_round_mode_32 0
		.amdhsa_float_round_mode_16_64 0
		.amdhsa_float_denorm_mode_32 3
		.amdhsa_float_denorm_mode_16_64 3
		.amdhsa_dx10_clamp 1
		.amdhsa_ieee_mode 1
		.amdhsa_fp16_overflow 0
		.amdhsa_exception_fp_ieee_invalid_op 0
		.amdhsa_exception_fp_denorm_src 0
		.amdhsa_exception_fp_ieee_div_zero 0
		.amdhsa_exception_fp_ieee_overflow 0
		.amdhsa_exception_fp_ieee_underflow 0
		.amdhsa_exception_fp_ieee_inexact 0
		.amdhsa_exception_int_div_zero 0
	.end_amdhsa_kernel
	.section	.text._ZN7rocprim17ROCPRIM_400000_NS6detail17trampoline_kernelINS0_14default_configENS1_36segmented_radix_sort_config_selectorIslEEZNS1_25segmented_radix_sort_implIS3_Lb1EPKsPsPKlPlN2at6native12_GLOBAL__N_18offset_tEEE10hipError_tPvRmT1_PNSt15iterator_traitsISK_E10value_typeET2_T3_PNSL_ISQ_E10value_typeET4_jRbjT5_SW_jjP12ihipStream_tbEUlT_E1_NS1_11comp_targetILNS1_3genE4ELNS1_11target_archE910ELNS1_3gpuE8ELNS1_3repE0EEENS1_59segmented_radix_sort_warp_sort_small_config_static_selectorELNS0_4arch9wavefront6targetE1EEEvSK_,"axG",@progbits,_ZN7rocprim17ROCPRIM_400000_NS6detail17trampoline_kernelINS0_14default_configENS1_36segmented_radix_sort_config_selectorIslEEZNS1_25segmented_radix_sort_implIS3_Lb1EPKsPsPKlPlN2at6native12_GLOBAL__N_18offset_tEEE10hipError_tPvRmT1_PNSt15iterator_traitsISK_E10value_typeET2_T3_PNSL_ISQ_E10value_typeET4_jRbjT5_SW_jjP12ihipStream_tbEUlT_E1_NS1_11comp_targetILNS1_3genE4ELNS1_11target_archE910ELNS1_3gpuE8ELNS1_3repE0EEENS1_59segmented_radix_sort_warp_sort_small_config_static_selectorELNS0_4arch9wavefront6targetE1EEEvSK_,comdat
.Lfunc_end933:
	.size	_ZN7rocprim17ROCPRIM_400000_NS6detail17trampoline_kernelINS0_14default_configENS1_36segmented_radix_sort_config_selectorIslEEZNS1_25segmented_radix_sort_implIS3_Lb1EPKsPsPKlPlN2at6native12_GLOBAL__N_18offset_tEEE10hipError_tPvRmT1_PNSt15iterator_traitsISK_E10value_typeET2_T3_PNSL_ISQ_E10value_typeET4_jRbjT5_SW_jjP12ihipStream_tbEUlT_E1_NS1_11comp_targetILNS1_3genE4ELNS1_11target_archE910ELNS1_3gpuE8ELNS1_3repE0EEENS1_59segmented_radix_sort_warp_sort_small_config_static_selectorELNS0_4arch9wavefront6targetE1EEEvSK_, .Lfunc_end933-_ZN7rocprim17ROCPRIM_400000_NS6detail17trampoline_kernelINS0_14default_configENS1_36segmented_radix_sort_config_selectorIslEEZNS1_25segmented_radix_sort_implIS3_Lb1EPKsPsPKlPlN2at6native12_GLOBAL__N_18offset_tEEE10hipError_tPvRmT1_PNSt15iterator_traitsISK_E10value_typeET2_T3_PNSL_ISQ_E10value_typeET4_jRbjT5_SW_jjP12ihipStream_tbEUlT_E1_NS1_11comp_targetILNS1_3genE4ELNS1_11target_archE910ELNS1_3gpuE8ELNS1_3repE0EEENS1_59segmented_radix_sort_warp_sort_small_config_static_selectorELNS0_4arch9wavefront6targetE1EEEvSK_
                                        ; -- End function
	.set _ZN7rocprim17ROCPRIM_400000_NS6detail17trampoline_kernelINS0_14default_configENS1_36segmented_radix_sort_config_selectorIslEEZNS1_25segmented_radix_sort_implIS3_Lb1EPKsPsPKlPlN2at6native12_GLOBAL__N_18offset_tEEE10hipError_tPvRmT1_PNSt15iterator_traitsISK_E10value_typeET2_T3_PNSL_ISQ_E10value_typeET4_jRbjT5_SW_jjP12ihipStream_tbEUlT_E1_NS1_11comp_targetILNS1_3genE4ELNS1_11target_archE910ELNS1_3gpuE8ELNS1_3repE0EEENS1_59segmented_radix_sort_warp_sort_small_config_static_selectorELNS0_4arch9wavefront6targetE1EEEvSK_.num_vgpr, 0
	.set _ZN7rocprim17ROCPRIM_400000_NS6detail17trampoline_kernelINS0_14default_configENS1_36segmented_radix_sort_config_selectorIslEEZNS1_25segmented_radix_sort_implIS3_Lb1EPKsPsPKlPlN2at6native12_GLOBAL__N_18offset_tEEE10hipError_tPvRmT1_PNSt15iterator_traitsISK_E10value_typeET2_T3_PNSL_ISQ_E10value_typeET4_jRbjT5_SW_jjP12ihipStream_tbEUlT_E1_NS1_11comp_targetILNS1_3genE4ELNS1_11target_archE910ELNS1_3gpuE8ELNS1_3repE0EEENS1_59segmented_radix_sort_warp_sort_small_config_static_selectorELNS0_4arch9wavefront6targetE1EEEvSK_.num_agpr, 0
	.set _ZN7rocprim17ROCPRIM_400000_NS6detail17trampoline_kernelINS0_14default_configENS1_36segmented_radix_sort_config_selectorIslEEZNS1_25segmented_radix_sort_implIS3_Lb1EPKsPsPKlPlN2at6native12_GLOBAL__N_18offset_tEEE10hipError_tPvRmT1_PNSt15iterator_traitsISK_E10value_typeET2_T3_PNSL_ISQ_E10value_typeET4_jRbjT5_SW_jjP12ihipStream_tbEUlT_E1_NS1_11comp_targetILNS1_3genE4ELNS1_11target_archE910ELNS1_3gpuE8ELNS1_3repE0EEENS1_59segmented_radix_sort_warp_sort_small_config_static_selectorELNS0_4arch9wavefront6targetE1EEEvSK_.numbered_sgpr, 0
	.set _ZN7rocprim17ROCPRIM_400000_NS6detail17trampoline_kernelINS0_14default_configENS1_36segmented_radix_sort_config_selectorIslEEZNS1_25segmented_radix_sort_implIS3_Lb1EPKsPsPKlPlN2at6native12_GLOBAL__N_18offset_tEEE10hipError_tPvRmT1_PNSt15iterator_traitsISK_E10value_typeET2_T3_PNSL_ISQ_E10value_typeET4_jRbjT5_SW_jjP12ihipStream_tbEUlT_E1_NS1_11comp_targetILNS1_3genE4ELNS1_11target_archE910ELNS1_3gpuE8ELNS1_3repE0EEENS1_59segmented_radix_sort_warp_sort_small_config_static_selectorELNS0_4arch9wavefront6targetE1EEEvSK_.num_named_barrier, 0
	.set _ZN7rocprim17ROCPRIM_400000_NS6detail17trampoline_kernelINS0_14default_configENS1_36segmented_radix_sort_config_selectorIslEEZNS1_25segmented_radix_sort_implIS3_Lb1EPKsPsPKlPlN2at6native12_GLOBAL__N_18offset_tEEE10hipError_tPvRmT1_PNSt15iterator_traitsISK_E10value_typeET2_T3_PNSL_ISQ_E10value_typeET4_jRbjT5_SW_jjP12ihipStream_tbEUlT_E1_NS1_11comp_targetILNS1_3genE4ELNS1_11target_archE910ELNS1_3gpuE8ELNS1_3repE0EEENS1_59segmented_radix_sort_warp_sort_small_config_static_selectorELNS0_4arch9wavefront6targetE1EEEvSK_.private_seg_size, 0
	.set _ZN7rocprim17ROCPRIM_400000_NS6detail17trampoline_kernelINS0_14default_configENS1_36segmented_radix_sort_config_selectorIslEEZNS1_25segmented_radix_sort_implIS3_Lb1EPKsPsPKlPlN2at6native12_GLOBAL__N_18offset_tEEE10hipError_tPvRmT1_PNSt15iterator_traitsISK_E10value_typeET2_T3_PNSL_ISQ_E10value_typeET4_jRbjT5_SW_jjP12ihipStream_tbEUlT_E1_NS1_11comp_targetILNS1_3genE4ELNS1_11target_archE910ELNS1_3gpuE8ELNS1_3repE0EEENS1_59segmented_radix_sort_warp_sort_small_config_static_selectorELNS0_4arch9wavefront6targetE1EEEvSK_.uses_vcc, 0
	.set _ZN7rocprim17ROCPRIM_400000_NS6detail17trampoline_kernelINS0_14default_configENS1_36segmented_radix_sort_config_selectorIslEEZNS1_25segmented_radix_sort_implIS3_Lb1EPKsPsPKlPlN2at6native12_GLOBAL__N_18offset_tEEE10hipError_tPvRmT1_PNSt15iterator_traitsISK_E10value_typeET2_T3_PNSL_ISQ_E10value_typeET4_jRbjT5_SW_jjP12ihipStream_tbEUlT_E1_NS1_11comp_targetILNS1_3genE4ELNS1_11target_archE910ELNS1_3gpuE8ELNS1_3repE0EEENS1_59segmented_radix_sort_warp_sort_small_config_static_selectorELNS0_4arch9wavefront6targetE1EEEvSK_.uses_flat_scratch, 0
	.set _ZN7rocprim17ROCPRIM_400000_NS6detail17trampoline_kernelINS0_14default_configENS1_36segmented_radix_sort_config_selectorIslEEZNS1_25segmented_radix_sort_implIS3_Lb1EPKsPsPKlPlN2at6native12_GLOBAL__N_18offset_tEEE10hipError_tPvRmT1_PNSt15iterator_traitsISK_E10value_typeET2_T3_PNSL_ISQ_E10value_typeET4_jRbjT5_SW_jjP12ihipStream_tbEUlT_E1_NS1_11comp_targetILNS1_3genE4ELNS1_11target_archE910ELNS1_3gpuE8ELNS1_3repE0EEENS1_59segmented_radix_sort_warp_sort_small_config_static_selectorELNS0_4arch9wavefront6targetE1EEEvSK_.has_dyn_sized_stack, 0
	.set _ZN7rocprim17ROCPRIM_400000_NS6detail17trampoline_kernelINS0_14default_configENS1_36segmented_radix_sort_config_selectorIslEEZNS1_25segmented_radix_sort_implIS3_Lb1EPKsPsPKlPlN2at6native12_GLOBAL__N_18offset_tEEE10hipError_tPvRmT1_PNSt15iterator_traitsISK_E10value_typeET2_T3_PNSL_ISQ_E10value_typeET4_jRbjT5_SW_jjP12ihipStream_tbEUlT_E1_NS1_11comp_targetILNS1_3genE4ELNS1_11target_archE910ELNS1_3gpuE8ELNS1_3repE0EEENS1_59segmented_radix_sort_warp_sort_small_config_static_selectorELNS0_4arch9wavefront6targetE1EEEvSK_.has_recursion, 0
	.set _ZN7rocprim17ROCPRIM_400000_NS6detail17trampoline_kernelINS0_14default_configENS1_36segmented_radix_sort_config_selectorIslEEZNS1_25segmented_radix_sort_implIS3_Lb1EPKsPsPKlPlN2at6native12_GLOBAL__N_18offset_tEEE10hipError_tPvRmT1_PNSt15iterator_traitsISK_E10value_typeET2_T3_PNSL_ISQ_E10value_typeET4_jRbjT5_SW_jjP12ihipStream_tbEUlT_E1_NS1_11comp_targetILNS1_3genE4ELNS1_11target_archE910ELNS1_3gpuE8ELNS1_3repE0EEENS1_59segmented_radix_sort_warp_sort_small_config_static_selectorELNS0_4arch9wavefront6targetE1EEEvSK_.has_indirect_call, 0
	.section	.AMDGPU.csdata,"",@progbits
; Kernel info:
; codeLenInByte = 0
; TotalNumSgprs: 4
; NumVgprs: 0
; ScratchSize: 0
; MemoryBound: 0
; FloatMode: 240
; IeeeMode: 1
; LDSByteSize: 0 bytes/workgroup (compile time only)
; SGPRBlocks: 0
; VGPRBlocks: 0
; NumSGPRsForWavesPerEU: 4
; NumVGPRsForWavesPerEU: 1
; Occupancy: 10
; WaveLimiterHint : 0
; COMPUTE_PGM_RSRC2:SCRATCH_EN: 0
; COMPUTE_PGM_RSRC2:USER_SGPR: 6
; COMPUTE_PGM_RSRC2:TRAP_HANDLER: 0
; COMPUTE_PGM_RSRC2:TGID_X_EN: 1
; COMPUTE_PGM_RSRC2:TGID_Y_EN: 0
; COMPUTE_PGM_RSRC2:TGID_Z_EN: 0
; COMPUTE_PGM_RSRC2:TIDIG_COMP_CNT: 0
	.section	.text._ZN7rocprim17ROCPRIM_400000_NS6detail17trampoline_kernelINS0_14default_configENS1_36segmented_radix_sort_config_selectorIslEEZNS1_25segmented_radix_sort_implIS3_Lb1EPKsPsPKlPlN2at6native12_GLOBAL__N_18offset_tEEE10hipError_tPvRmT1_PNSt15iterator_traitsISK_E10value_typeET2_T3_PNSL_ISQ_E10value_typeET4_jRbjT5_SW_jjP12ihipStream_tbEUlT_E1_NS1_11comp_targetILNS1_3genE3ELNS1_11target_archE908ELNS1_3gpuE7ELNS1_3repE0EEENS1_59segmented_radix_sort_warp_sort_small_config_static_selectorELNS0_4arch9wavefront6targetE1EEEvSK_,"axG",@progbits,_ZN7rocprim17ROCPRIM_400000_NS6detail17trampoline_kernelINS0_14default_configENS1_36segmented_radix_sort_config_selectorIslEEZNS1_25segmented_radix_sort_implIS3_Lb1EPKsPsPKlPlN2at6native12_GLOBAL__N_18offset_tEEE10hipError_tPvRmT1_PNSt15iterator_traitsISK_E10value_typeET2_T3_PNSL_ISQ_E10value_typeET4_jRbjT5_SW_jjP12ihipStream_tbEUlT_E1_NS1_11comp_targetILNS1_3genE3ELNS1_11target_archE908ELNS1_3gpuE7ELNS1_3repE0EEENS1_59segmented_radix_sort_warp_sort_small_config_static_selectorELNS0_4arch9wavefront6targetE1EEEvSK_,comdat
	.globl	_ZN7rocprim17ROCPRIM_400000_NS6detail17trampoline_kernelINS0_14default_configENS1_36segmented_radix_sort_config_selectorIslEEZNS1_25segmented_radix_sort_implIS3_Lb1EPKsPsPKlPlN2at6native12_GLOBAL__N_18offset_tEEE10hipError_tPvRmT1_PNSt15iterator_traitsISK_E10value_typeET2_T3_PNSL_ISQ_E10value_typeET4_jRbjT5_SW_jjP12ihipStream_tbEUlT_E1_NS1_11comp_targetILNS1_3genE3ELNS1_11target_archE908ELNS1_3gpuE7ELNS1_3repE0EEENS1_59segmented_radix_sort_warp_sort_small_config_static_selectorELNS0_4arch9wavefront6targetE1EEEvSK_ ; -- Begin function _ZN7rocprim17ROCPRIM_400000_NS6detail17trampoline_kernelINS0_14default_configENS1_36segmented_radix_sort_config_selectorIslEEZNS1_25segmented_radix_sort_implIS3_Lb1EPKsPsPKlPlN2at6native12_GLOBAL__N_18offset_tEEE10hipError_tPvRmT1_PNSt15iterator_traitsISK_E10value_typeET2_T3_PNSL_ISQ_E10value_typeET4_jRbjT5_SW_jjP12ihipStream_tbEUlT_E1_NS1_11comp_targetILNS1_3genE3ELNS1_11target_archE908ELNS1_3gpuE7ELNS1_3repE0EEENS1_59segmented_radix_sort_warp_sort_small_config_static_selectorELNS0_4arch9wavefront6targetE1EEEvSK_
	.p2align	8
	.type	_ZN7rocprim17ROCPRIM_400000_NS6detail17trampoline_kernelINS0_14default_configENS1_36segmented_radix_sort_config_selectorIslEEZNS1_25segmented_radix_sort_implIS3_Lb1EPKsPsPKlPlN2at6native12_GLOBAL__N_18offset_tEEE10hipError_tPvRmT1_PNSt15iterator_traitsISK_E10value_typeET2_T3_PNSL_ISQ_E10value_typeET4_jRbjT5_SW_jjP12ihipStream_tbEUlT_E1_NS1_11comp_targetILNS1_3genE3ELNS1_11target_archE908ELNS1_3gpuE7ELNS1_3repE0EEENS1_59segmented_radix_sort_warp_sort_small_config_static_selectorELNS0_4arch9wavefront6targetE1EEEvSK_,@function
_ZN7rocprim17ROCPRIM_400000_NS6detail17trampoline_kernelINS0_14default_configENS1_36segmented_radix_sort_config_selectorIslEEZNS1_25segmented_radix_sort_implIS3_Lb1EPKsPsPKlPlN2at6native12_GLOBAL__N_18offset_tEEE10hipError_tPvRmT1_PNSt15iterator_traitsISK_E10value_typeET2_T3_PNSL_ISQ_E10value_typeET4_jRbjT5_SW_jjP12ihipStream_tbEUlT_E1_NS1_11comp_targetILNS1_3genE3ELNS1_11target_archE908ELNS1_3gpuE7ELNS1_3repE0EEENS1_59segmented_radix_sort_warp_sort_small_config_static_selectorELNS0_4arch9wavefront6targetE1EEEvSK_: ; @_ZN7rocprim17ROCPRIM_400000_NS6detail17trampoline_kernelINS0_14default_configENS1_36segmented_radix_sort_config_selectorIslEEZNS1_25segmented_radix_sort_implIS3_Lb1EPKsPsPKlPlN2at6native12_GLOBAL__N_18offset_tEEE10hipError_tPvRmT1_PNSt15iterator_traitsISK_E10value_typeET2_T3_PNSL_ISQ_E10value_typeET4_jRbjT5_SW_jjP12ihipStream_tbEUlT_E1_NS1_11comp_targetILNS1_3genE3ELNS1_11target_archE908ELNS1_3gpuE7ELNS1_3repE0EEENS1_59segmented_radix_sort_warp_sort_small_config_static_selectorELNS0_4arch9wavefront6targetE1EEEvSK_
; %bb.0:
	.section	.rodata,"a",@progbits
	.p2align	6, 0x0
	.amdhsa_kernel _ZN7rocprim17ROCPRIM_400000_NS6detail17trampoline_kernelINS0_14default_configENS1_36segmented_radix_sort_config_selectorIslEEZNS1_25segmented_radix_sort_implIS3_Lb1EPKsPsPKlPlN2at6native12_GLOBAL__N_18offset_tEEE10hipError_tPvRmT1_PNSt15iterator_traitsISK_E10value_typeET2_T3_PNSL_ISQ_E10value_typeET4_jRbjT5_SW_jjP12ihipStream_tbEUlT_E1_NS1_11comp_targetILNS1_3genE3ELNS1_11target_archE908ELNS1_3gpuE7ELNS1_3repE0EEENS1_59segmented_radix_sort_warp_sort_small_config_static_selectorELNS0_4arch9wavefront6targetE1EEEvSK_
		.amdhsa_group_segment_fixed_size 0
		.amdhsa_private_segment_fixed_size 0
		.amdhsa_kernarg_size 88
		.amdhsa_user_sgpr_count 6
		.amdhsa_user_sgpr_private_segment_buffer 1
		.amdhsa_user_sgpr_dispatch_ptr 0
		.amdhsa_user_sgpr_queue_ptr 0
		.amdhsa_user_sgpr_kernarg_segment_ptr 1
		.amdhsa_user_sgpr_dispatch_id 0
		.amdhsa_user_sgpr_flat_scratch_init 0
		.amdhsa_user_sgpr_private_segment_size 0
		.amdhsa_uses_dynamic_stack 0
		.amdhsa_system_sgpr_private_segment_wavefront_offset 0
		.amdhsa_system_sgpr_workgroup_id_x 1
		.amdhsa_system_sgpr_workgroup_id_y 0
		.amdhsa_system_sgpr_workgroup_id_z 0
		.amdhsa_system_sgpr_workgroup_info 0
		.amdhsa_system_vgpr_workitem_id 0
		.amdhsa_next_free_vgpr 1
		.amdhsa_next_free_sgpr 0
		.amdhsa_reserve_vcc 0
		.amdhsa_reserve_flat_scratch 0
		.amdhsa_float_round_mode_32 0
		.amdhsa_float_round_mode_16_64 0
		.amdhsa_float_denorm_mode_32 3
		.amdhsa_float_denorm_mode_16_64 3
		.amdhsa_dx10_clamp 1
		.amdhsa_ieee_mode 1
		.amdhsa_fp16_overflow 0
		.amdhsa_exception_fp_ieee_invalid_op 0
		.amdhsa_exception_fp_denorm_src 0
		.amdhsa_exception_fp_ieee_div_zero 0
		.amdhsa_exception_fp_ieee_overflow 0
		.amdhsa_exception_fp_ieee_underflow 0
		.amdhsa_exception_fp_ieee_inexact 0
		.amdhsa_exception_int_div_zero 0
	.end_amdhsa_kernel
	.section	.text._ZN7rocprim17ROCPRIM_400000_NS6detail17trampoline_kernelINS0_14default_configENS1_36segmented_radix_sort_config_selectorIslEEZNS1_25segmented_radix_sort_implIS3_Lb1EPKsPsPKlPlN2at6native12_GLOBAL__N_18offset_tEEE10hipError_tPvRmT1_PNSt15iterator_traitsISK_E10value_typeET2_T3_PNSL_ISQ_E10value_typeET4_jRbjT5_SW_jjP12ihipStream_tbEUlT_E1_NS1_11comp_targetILNS1_3genE3ELNS1_11target_archE908ELNS1_3gpuE7ELNS1_3repE0EEENS1_59segmented_radix_sort_warp_sort_small_config_static_selectorELNS0_4arch9wavefront6targetE1EEEvSK_,"axG",@progbits,_ZN7rocprim17ROCPRIM_400000_NS6detail17trampoline_kernelINS0_14default_configENS1_36segmented_radix_sort_config_selectorIslEEZNS1_25segmented_radix_sort_implIS3_Lb1EPKsPsPKlPlN2at6native12_GLOBAL__N_18offset_tEEE10hipError_tPvRmT1_PNSt15iterator_traitsISK_E10value_typeET2_T3_PNSL_ISQ_E10value_typeET4_jRbjT5_SW_jjP12ihipStream_tbEUlT_E1_NS1_11comp_targetILNS1_3genE3ELNS1_11target_archE908ELNS1_3gpuE7ELNS1_3repE0EEENS1_59segmented_radix_sort_warp_sort_small_config_static_selectorELNS0_4arch9wavefront6targetE1EEEvSK_,comdat
.Lfunc_end934:
	.size	_ZN7rocprim17ROCPRIM_400000_NS6detail17trampoline_kernelINS0_14default_configENS1_36segmented_radix_sort_config_selectorIslEEZNS1_25segmented_radix_sort_implIS3_Lb1EPKsPsPKlPlN2at6native12_GLOBAL__N_18offset_tEEE10hipError_tPvRmT1_PNSt15iterator_traitsISK_E10value_typeET2_T3_PNSL_ISQ_E10value_typeET4_jRbjT5_SW_jjP12ihipStream_tbEUlT_E1_NS1_11comp_targetILNS1_3genE3ELNS1_11target_archE908ELNS1_3gpuE7ELNS1_3repE0EEENS1_59segmented_radix_sort_warp_sort_small_config_static_selectorELNS0_4arch9wavefront6targetE1EEEvSK_, .Lfunc_end934-_ZN7rocprim17ROCPRIM_400000_NS6detail17trampoline_kernelINS0_14default_configENS1_36segmented_radix_sort_config_selectorIslEEZNS1_25segmented_radix_sort_implIS3_Lb1EPKsPsPKlPlN2at6native12_GLOBAL__N_18offset_tEEE10hipError_tPvRmT1_PNSt15iterator_traitsISK_E10value_typeET2_T3_PNSL_ISQ_E10value_typeET4_jRbjT5_SW_jjP12ihipStream_tbEUlT_E1_NS1_11comp_targetILNS1_3genE3ELNS1_11target_archE908ELNS1_3gpuE7ELNS1_3repE0EEENS1_59segmented_radix_sort_warp_sort_small_config_static_selectorELNS0_4arch9wavefront6targetE1EEEvSK_
                                        ; -- End function
	.set _ZN7rocprim17ROCPRIM_400000_NS6detail17trampoline_kernelINS0_14default_configENS1_36segmented_radix_sort_config_selectorIslEEZNS1_25segmented_radix_sort_implIS3_Lb1EPKsPsPKlPlN2at6native12_GLOBAL__N_18offset_tEEE10hipError_tPvRmT1_PNSt15iterator_traitsISK_E10value_typeET2_T3_PNSL_ISQ_E10value_typeET4_jRbjT5_SW_jjP12ihipStream_tbEUlT_E1_NS1_11comp_targetILNS1_3genE3ELNS1_11target_archE908ELNS1_3gpuE7ELNS1_3repE0EEENS1_59segmented_radix_sort_warp_sort_small_config_static_selectorELNS0_4arch9wavefront6targetE1EEEvSK_.num_vgpr, 0
	.set _ZN7rocprim17ROCPRIM_400000_NS6detail17trampoline_kernelINS0_14default_configENS1_36segmented_radix_sort_config_selectorIslEEZNS1_25segmented_radix_sort_implIS3_Lb1EPKsPsPKlPlN2at6native12_GLOBAL__N_18offset_tEEE10hipError_tPvRmT1_PNSt15iterator_traitsISK_E10value_typeET2_T3_PNSL_ISQ_E10value_typeET4_jRbjT5_SW_jjP12ihipStream_tbEUlT_E1_NS1_11comp_targetILNS1_3genE3ELNS1_11target_archE908ELNS1_3gpuE7ELNS1_3repE0EEENS1_59segmented_radix_sort_warp_sort_small_config_static_selectorELNS0_4arch9wavefront6targetE1EEEvSK_.num_agpr, 0
	.set _ZN7rocprim17ROCPRIM_400000_NS6detail17trampoline_kernelINS0_14default_configENS1_36segmented_radix_sort_config_selectorIslEEZNS1_25segmented_radix_sort_implIS3_Lb1EPKsPsPKlPlN2at6native12_GLOBAL__N_18offset_tEEE10hipError_tPvRmT1_PNSt15iterator_traitsISK_E10value_typeET2_T3_PNSL_ISQ_E10value_typeET4_jRbjT5_SW_jjP12ihipStream_tbEUlT_E1_NS1_11comp_targetILNS1_3genE3ELNS1_11target_archE908ELNS1_3gpuE7ELNS1_3repE0EEENS1_59segmented_radix_sort_warp_sort_small_config_static_selectorELNS0_4arch9wavefront6targetE1EEEvSK_.numbered_sgpr, 0
	.set _ZN7rocprim17ROCPRIM_400000_NS6detail17trampoline_kernelINS0_14default_configENS1_36segmented_radix_sort_config_selectorIslEEZNS1_25segmented_radix_sort_implIS3_Lb1EPKsPsPKlPlN2at6native12_GLOBAL__N_18offset_tEEE10hipError_tPvRmT1_PNSt15iterator_traitsISK_E10value_typeET2_T3_PNSL_ISQ_E10value_typeET4_jRbjT5_SW_jjP12ihipStream_tbEUlT_E1_NS1_11comp_targetILNS1_3genE3ELNS1_11target_archE908ELNS1_3gpuE7ELNS1_3repE0EEENS1_59segmented_radix_sort_warp_sort_small_config_static_selectorELNS0_4arch9wavefront6targetE1EEEvSK_.num_named_barrier, 0
	.set _ZN7rocprim17ROCPRIM_400000_NS6detail17trampoline_kernelINS0_14default_configENS1_36segmented_radix_sort_config_selectorIslEEZNS1_25segmented_radix_sort_implIS3_Lb1EPKsPsPKlPlN2at6native12_GLOBAL__N_18offset_tEEE10hipError_tPvRmT1_PNSt15iterator_traitsISK_E10value_typeET2_T3_PNSL_ISQ_E10value_typeET4_jRbjT5_SW_jjP12ihipStream_tbEUlT_E1_NS1_11comp_targetILNS1_3genE3ELNS1_11target_archE908ELNS1_3gpuE7ELNS1_3repE0EEENS1_59segmented_radix_sort_warp_sort_small_config_static_selectorELNS0_4arch9wavefront6targetE1EEEvSK_.private_seg_size, 0
	.set _ZN7rocprim17ROCPRIM_400000_NS6detail17trampoline_kernelINS0_14default_configENS1_36segmented_radix_sort_config_selectorIslEEZNS1_25segmented_radix_sort_implIS3_Lb1EPKsPsPKlPlN2at6native12_GLOBAL__N_18offset_tEEE10hipError_tPvRmT1_PNSt15iterator_traitsISK_E10value_typeET2_T3_PNSL_ISQ_E10value_typeET4_jRbjT5_SW_jjP12ihipStream_tbEUlT_E1_NS1_11comp_targetILNS1_3genE3ELNS1_11target_archE908ELNS1_3gpuE7ELNS1_3repE0EEENS1_59segmented_radix_sort_warp_sort_small_config_static_selectorELNS0_4arch9wavefront6targetE1EEEvSK_.uses_vcc, 0
	.set _ZN7rocprim17ROCPRIM_400000_NS6detail17trampoline_kernelINS0_14default_configENS1_36segmented_radix_sort_config_selectorIslEEZNS1_25segmented_radix_sort_implIS3_Lb1EPKsPsPKlPlN2at6native12_GLOBAL__N_18offset_tEEE10hipError_tPvRmT1_PNSt15iterator_traitsISK_E10value_typeET2_T3_PNSL_ISQ_E10value_typeET4_jRbjT5_SW_jjP12ihipStream_tbEUlT_E1_NS1_11comp_targetILNS1_3genE3ELNS1_11target_archE908ELNS1_3gpuE7ELNS1_3repE0EEENS1_59segmented_radix_sort_warp_sort_small_config_static_selectorELNS0_4arch9wavefront6targetE1EEEvSK_.uses_flat_scratch, 0
	.set _ZN7rocprim17ROCPRIM_400000_NS6detail17trampoline_kernelINS0_14default_configENS1_36segmented_radix_sort_config_selectorIslEEZNS1_25segmented_radix_sort_implIS3_Lb1EPKsPsPKlPlN2at6native12_GLOBAL__N_18offset_tEEE10hipError_tPvRmT1_PNSt15iterator_traitsISK_E10value_typeET2_T3_PNSL_ISQ_E10value_typeET4_jRbjT5_SW_jjP12ihipStream_tbEUlT_E1_NS1_11comp_targetILNS1_3genE3ELNS1_11target_archE908ELNS1_3gpuE7ELNS1_3repE0EEENS1_59segmented_radix_sort_warp_sort_small_config_static_selectorELNS0_4arch9wavefront6targetE1EEEvSK_.has_dyn_sized_stack, 0
	.set _ZN7rocprim17ROCPRIM_400000_NS6detail17trampoline_kernelINS0_14default_configENS1_36segmented_radix_sort_config_selectorIslEEZNS1_25segmented_radix_sort_implIS3_Lb1EPKsPsPKlPlN2at6native12_GLOBAL__N_18offset_tEEE10hipError_tPvRmT1_PNSt15iterator_traitsISK_E10value_typeET2_T3_PNSL_ISQ_E10value_typeET4_jRbjT5_SW_jjP12ihipStream_tbEUlT_E1_NS1_11comp_targetILNS1_3genE3ELNS1_11target_archE908ELNS1_3gpuE7ELNS1_3repE0EEENS1_59segmented_radix_sort_warp_sort_small_config_static_selectorELNS0_4arch9wavefront6targetE1EEEvSK_.has_recursion, 0
	.set _ZN7rocprim17ROCPRIM_400000_NS6detail17trampoline_kernelINS0_14default_configENS1_36segmented_radix_sort_config_selectorIslEEZNS1_25segmented_radix_sort_implIS3_Lb1EPKsPsPKlPlN2at6native12_GLOBAL__N_18offset_tEEE10hipError_tPvRmT1_PNSt15iterator_traitsISK_E10value_typeET2_T3_PNSL_ISQ_E10value_typeET4_jRbjT5_SW_jjP12ihipStream_tbEUlT_E1_NS1_11comp_targetILNS1_3genE3ELNS1_11target_archE908ELNS1_3gpuE7ELNS1_3repE0EEENS1_59segmented_radix_sort_warp_sort_small_config_static_selectorELNS0_4arch9wavefront6targetE1EEEvSK_.has_indirect_call, 0
	.section	.AMDGPU.csdata,"",@progbits
; Kernel info:
; codeLenInByte = 0
; TotalNumSgprs: 4
; NumVgprs: 0
; ScratchSize: 0
; MemoryBound: 0
; FloatMode: 240
; IeeeMode: 1
; LDSByteSize: 0 bytes/workgroup (compile time only)
; SGPRBlocks: 0
; VGPRBlocks: 0
; NumSGPRsForWavesPerEU: 4
; NumVGPRsForWavesPerEU: 1
; Occupancy: 10
; WaveLimiterHint : 0
; COMPUTE_PGM_RSRC2:SCRATCH_EN: 0
; COMPUTE_PGM_RSRC2:USER_SGPR: 6
; COMPUTE_PGM_RSRC2:TRAP_HANDLER: 0
; COMPUTE_PGM_RSRC2:TGID_X_EN: 1
; COMPUTE_PGM_RSRC2:TGID_Y_EN: 0
; COMPUTE_PGM_RSRC2:TGID_Z_EN: 0
; COMPUTE_PGM_RSRC2:TIDIG_COMP_CNT: 0
	.text
	.p2align	2                               ; -- Begin function _ZN7rocprim17ROCPRIM_400000_NS6detail26segmented_warp_sort_helperINS1_20WarpSortHelperConfigILj8ELj4ELj256EEEslLi256ELb1EvE4sortIPKsPsPKlPlEEvT_T0_T1_T2_jjjjRNS5_12storage_typeE
	.type	_ZN7rocprim17ROCPRIM_400000_NS6detail26segmented_warp_sort_helperINS1_20WarpSortHelperConfigILj8ELj4ELj256EEEslLi256ELb1EvE4sortIPKsPsPKlPlEEvT_T0_T1_T2_jjjjRNS5_12storage_typeE,@function
_ZN7rocprim17ROCPRIM_400000_NS6detail26segmented_warp_sort_helperINS1_20WarpSortHelperConfigILj8ELj4ELj256EEEslLi256ELb1EvE4sortIPKsPsPKlPlEEvT_T0_T1_T2_jjjjRNS5_12storage_typeE: ; @_ZN7rocprim17ROCPRIM_400000_NS6detail26segmented_warp_sort_helperINS1_20WarpSortHelperConfigILj8ELj4ELj256EEEslLi256ELb1EvE4sortIPKsPsPKlPlEEvT_T0_T1_T2_jjjjRNS5_12storage_typeE
; %bb.0:
	s_waitcnt vmcnt(0) expcnt(0) lgkmcnt(0)
	v_mov_b32_e32 v14, v9
	v_mov_b32_e32 v9, 0
	v_mbcnt_lo_u32_b32 v15, -1, 0
	v_lshlrev_b64 v[32:33], 1, v[8:9]
	v_mbcnt_hi_u32_b32 v15, -1, v15
	v_lshlrev_b32_e32 v37, 2, v15
	v_add_co_u32_e32 v0, vcc, v0, v32
	v_and_b32_e32 v38, 28, v37
	v_addc_co_u32_e32 v1, vcc, v1, v33, vcc
	v_lshlrev_b32_e32 v30, 1, v38
	v_add_co_u32_e32 v0, vcc, v0, v30
	v_addc_co_u32_e32 v1, vcc, 0, v1, vcc
	v_sub_u32_e32 v14, v14, v8
	v_cmp_lt_u32_e32 vcc, v38, v14
	v_mov_b32_e32 v39, 0xffff8000
	v_mov_b32_e32 v49, 0xffff8000
	s_and_saveexec_b64 s[4:5], vcc
	s_cbranch_execz .LBB935_2
; %bb.1:
	flat_load_ushort v49, v[0:1]
.LBB935_2:
	s_or_b64 exec, exec, s[4:5]
	v_or_b32_e32 v15, 1, v38
	v_cmp_lt_u32_e64 s[4:5], v15, v14
	s_and_saveexec_b64 s[6:7], s[4:5]
	s_cbranch_execz .LBB935_4
; %bb.3:
	flat_load_ushort v39, v[0:1] offset:2
.LBB935_4:
	s_or_b64 exec, exec, s[6:7]
	v_or_b32_e32 v15, 2, v38
	v_cmp_lt_u32_e64 s[6:7], v15, v14
	v_mov_b32_e32 v48, 0xffff8000
	v_mov_b32_e32 v24, 0xffff8000
	s_and_saveexec_b64 s[10:11], s[6:7]
	s_cbranch_execz .LBB935_6
; %bb.5:
	flat_load_ushort v24, v[0:1] offset:4
.LBB935_6:
	s_or_b64 exec, exec, s[10:11]
	v_or_b32_e32 v15, 3, v38
	v_cmp_lt_u32_e64 s[10:11], v15, v14
	s_and_saveexec_b64 s[14:15], s[10:11]
	s_cbranch_execz .LBB935_8
; %bb.7:
	flat_load_ushort v48, v[0:1] offset:6
.LBB935_8:
	s_or_b64 exec, exec, s[14:15]
	v_lshlrev_b64 v[0:1], 3, v[8:9]
	v_lshlrev_b32_e32 v36, 3, v38
	v_add_co_u32_e64 v14, s[14:15], v4, v0
	v_addc_co_u32_e64 v15, s[14:15], v5, v1, s[14:15]
	v_mov_b32_e32 v8, 0
	v_mov_b32_e32 v4, 0
	v_add_co_u32_e64 v16, s[14:15], v14, v36
	v_mov_b32_e32 v9, 0
	v_mov_b32_e32 v5, 0
	v_addc_co_u32_e64 v17, s[14:15], 0, v15, s[14:15]
	; wave barrier
	s_and_saveexec_b64 s[14:15], vcc
	s_cbranch_execz .LBB935_10
; %bb.9:
	flat_load_dwordx2 v[4:5], v[16:17]
.LBB935_10:
	s_or_b64 exec, exec, s[14:15]
	s_mov_b32 s16, 0
	v_mov_b32_e32 v18, s16
	v_mov_b32_e32 v19, s16
	;; [unrolled: 1-line block ×6, first 2 shown]
	s_and_saveexec_b64 s[14:15], s[4:5]
	s_cbranch_execz .LBB935_12
; %bb.11:
	flat_load_dwordx2 v[18:19], v[16:17] offset:8
	v_mov_b32_e32 v22, s16
	v_mov_b32_e32 v23, s16
	;; [unrolled: 1-line block ×4, first 2 shown]
	s_waitcnt vmcnt(0) lgkmcnt(0)
	v_mov_b32_e32 v8, v18
	v_mov_b32_e32 v9, v19
.LBB935_12:
	s_or_b64 exec, exec, s[14:15]
	v_mov_b32_e32 v20, 0
	v_mov_b32_e32 v14, 0
	;; [unrolled: 1-line block ×4, first 2 shown]
	s_and_saveexec_b64 s[14:15], s[6:7]
	s_cbranch_execz .LBB935_14
; %bb.13:
	flat_load_dwordx2 v[22:23], v[16:17] offset:16
	v_mov_b32_e32 v34, s16
	v_mov_b32_e32 v35, s16
	s_waitcnt vmcnt(0) lgkmcnt(0)
	v_mov_b32_e32 v14, v22
	v_mov_b32_e32 v15, v23
.LBB935_14:
	s_or_b64 exec, exec, s[14:15]
	s_and_saveexec_b64 s[14:15], s[10:11]
	s_cbranch_execz .LBB935_16
; %bb.15:
	flat_load_dwordx2 v[34:35], v[16:17] offset:24
	s_waitcnt vmcnt(0) lgkmcnt(0)
	v_mov_b32_e32 v20, v34
	v_mov_b32_e32 v21, v35
.LBB935_16:
	s_or_b64 exec, exec, s[14:15]
	v_cmp_ne_u32_e64 s[14:15], 0, v10
	v_cmp_ne_u32_e64 s[16:17], 16, v11
	s_or_b64 s[14:15], s[14:15], s[16:17]
	v_bfe_u32 v16, v31, 10, 10
	v_bfe_u32 v25, v31, 20, 10
	; wave barrier
	s_and_saveexec_b64 s[16:17], s[14:15]
	s_xor_b64 s[26:27], exec, s[16:17]
	s_cbranch_execz .LBB935_60
; %bb.17:
	s_load_dwordx2 s[14:15], s[8:9], 0x0
	v_mov_b32_e32 v17, 0
	v_lshlrev_b32_e64 v11, v11, -1
	v_lshlrev_b32_e64 v10, v10, -1
	s_waitcnt lgkmcnt(0)
	s_cmp_lt_u32 s13, s15
	s_cselect_b32 s15, 14, 20
	s_add_u32 s16, s8, s15
	s_addc_u32 s17, s9, 0
	s_cmp_lt_u32 s12, s14
	s_cselect_b32 s14, 12, 18
	s_add_u32 s14, s8, s14
	s_addc_u32 s15, s9, 0
	global_load_ushort v26, v17, s[16:17]
	global_load_ushort v27, v17, s[14:15]
	v_and_b32_e32 v17, 0x3ff, v31
	v_xor_b32_e32 v31, v11, v10
	s_movk_i32 s14, 0x400
	s_waitcnt vmcnt(0)
	v_mad_u32_u24 v16, v25, v26, v16
	v_mul_lo_u32 v16, v16, v27
	v_add_lshl_u32 v10, v16, v17, 2
	v_cmp_gt_u32_e64 s[14:15], s14, v10
	s_and_saveexec_b64 s[18:19], s[14:15]
	s_cbranch_execz .LBB935_29
; %bb.18:
	v_and_b32_e32 v8, v39, v31
	v_and_b32_e32 v9, v49, v31
	v_cmp_gt_i16_e64 s[14:15], v8, v9
	v_cndmask_b32_e64 v17, v19, v5, s[14:15]
	v_cndmask_b32_e64 v16, v18, v4, s[14:15]
	;; [unrolled: 1-line block ×4, first 2 shown]
	v_and_b32_e32 v5, v48, v31
	v_and_b32_e32 v4, v24, v31
	v_mov_b32_e32 v18, v22
	v_cmp_gt_i16_e64 s[16:17], v5, v4
	v_mov_b32_e32 v11, v24
	v_mov_b32_e32 v19, v23
	s_and_saveexec_b64 s[20:21], s[16:17]
; %bb.19:
	v_mov_b32_e32 v18, v34
	v_mov_b32_e32 v19, v35
	;; [unrolled: 1-line block ×7, first 2 shown]
; %bb.20:
	s_or_b64 exec, exec, s[20:21]
	v_cndmask_b32_e64 v5, v39, v49, s[14:15]
	v_mov_b32_e32 v20, v34
	v_and_b32_e32 v8, v5, v31
	v_mov_b32_e32 v29, v21
	v_cmp_le_i16_e64 s[16:17], v4, v8
	v_mov_b32_e32 v23, v15
	v_mov_b32_e32 v22, v14
                                        ; implicit-def: $vgpr50
	v_mov_b32_e32 v28, v20
	v_mov_b32_e32 v27, v19
	;; [unrolled: 1-line block ×5, first 2 shown]
	s_and_saveexec_b64 s[20:21], s[16:17]
	s_xor_b64 s[16:17], exec, s[20:21]
; %bb.21:
	v_and_b32_e32 v50, v11, v31
                                        ; implicit-def: $vgpr22_vgpr23_vgpr24_vgpr25_vgpr26_vgpr27_vgpr28_vgpr29
                                        ; implicit-def: $vgpr4
; %bb.22:
	s_or_saveexec_b64 s[16:17], s[16:17]
	v_mov_b32_e32 v21, v35
	v_mov_b32_e32 v25, v5
	s_xor_b64 exec, exec, s[16:17]
	s_cbranch_execz .LBB935_24
; %bb.23:
	v_mov_b32_e32 v24, v18
	v_mov_b32_e32 v25, v19
	;; [unrolled: 1-line block ×18, first 2 shown]
.LBB935_24:
	s_or_b64 exec, exec, s[16:17]
	v_cndmask_b32_e64 v22, v49, v39, s[14:15]
	v_and_b32_e32 v4, v22, v31
	v_cmp_gt_i16_e64 s[14:15], v8, v4
	v_cndmask_b32_e64 v8, v16, v14, s[14:15]
	v_cndmask_b32_e64 v4, v14, v16, s[14:15]
	v_and_b32_e32 v14, v48, v31
	v_cndmask_b32_e64 v9, v17, v15, s[14:15]
	v_cndmask_b32_e64 v5, v15, v17, s[14:15]
	v_cmp_gt_i16_e64 s[16:17], v14, v50
	v_mov_b32_e32 v16, v11
	s_and_saveexec_b64 s[20:21], s[16:17]
; %bb.25:
	v_mov_b32_e32 v24, v19
	v_mov_b32_e32 v23, v18
	;; [unrolled: 1-line block ×9, first 2 shown]
; %bb.26:
	s_or_b64 exec, exec, s[20:21]
	v_cndmask_b32_e64 v39, v25, v22, s[14:15]
	v_and_b32_e32 v11, v39, v31
	v_mov_b32_e32 v14, v18
	v_cmp_gt_i16_e64 s[16:17], v50, v11
	v_mov_b32_e32 v15, v19
	v_mov_b32_e32 v24, v16
	s_and_saveexec_b64 s[20:21], s[16:17]
; %bb.27:
	v_mov_b32_e32 v15, v9
	v_mov_b32_e32 v14, v8
	;; [unrolled: 1-line block ×6, first 2 shown]
; %bb.28:
	s_or_b64 exec, exec, s[20:21]
	v_cndmask_b32_e64 v49, v22, v25, s[14:15]
.LBB935_29:
	s_or_b64 exec, exec, s[18:19]
	v_and_b32_e32 v16, 0xffffff00, v10
	v_mov_b32_e32 v17, 0
	v_lshlrev_b64 v[10:11], 1, v[16:17]
	s_movk_i32 s16, 0x400
	v_add_co_u32_e64 v12, s[14:15], v12, v10
	v_addc_co_u32_e64 v13, s[14:15], v13, v11, s[14:15]
	v_mad_u64_u32 v[10:11], s[14:15], v16, 6, v[12:13]
	v_sub_u32_e64 v11, s16, v16 clamp
	v_or_b32_e32 v17, 4, v37
	v_min_u32_e32 v26, v11, v17
	v_add_u32_e32 v17, 4, v26
	v_and_b32_e32 v28, 0x1f8, v37
	v_min_u32_e32 v27, v11, v17
	v_and_b32_e32 v17, 4, v37
	v_min_u32_e32 v29, v11, v17
	v_sub_u32_e32 v17, v26, v28
	v_sub_u32_e32 v18, v27, v26
	v_lshl_add_u32 v25, v37, 3, v10
	v_sub_u32_e64 v35, v29, v18 clamp
	v_min_u32_e32 v17, v29, v17
	v_lshl_add_u32 v13, v37, 1, v12
	v_add_u32_e32 v16, 0x800, v25
	v_cmp_lt_u32_e64 s[14:15], v35, v17
	ds_write_b16 v13, v49
	ds_write_b16 v13, v39 offset:2
	ds_write2_b64 v16, v[4:5], v[8:9] offset1:1
	ds_write_b16 v13, v24 offset:4
	ds_write_b16 v13, v48 offset:6
	ds_write2_b64 v16, v[14:15], v[20:21] offset0:2 offset1:3
	; wave barrier
	s_and_saveexec_b64 s[16:17], s[14:15]
	s_cbranch_execz .LBB935_33
; %bb.30:
	v_lshlrev_b32_e32 v18, 1, v28
	v_lshlrev_b32_e32 v19, 1, v26
	v_add_co_u32_e64 v18, s[14:15], v12, v18
	v_add_co_u32_e64 v19, s[14:15], v12, v19
	s_mov_b64 s[18:19], 0
.LBB935_31:                             ; =>This Inner Loop Header: Depth=1
	v_add_u32_e32 v22, v17, v35
	v_lshrrev_b32_e32 v23, 1, v22
	v_and_b32_e32 v22, -2, v22
	v_xad_u32 v34, v23, -1, v29
	v_add_u32_e32 v22, v18, v22
	v_lshl_add_u32 v34, v34, 1, v19
	ds_read_u16 v22, v22
	ds_read_u16 v34, v34
	v_add_u32_e32 v50, 1, v23
	s_waitcnt lgkmcnt(1)
	v_and_b32_e32 v22, v22, v31
	s_waitcnt lgkmcnt(0)
	v_and_b32_e32 v34, v34, v31
	v_cmp_gt_i16_e64 s[14:15], v34, v22
	v_cndmask_b32_e64 v17, v17, v23, s[14:15]
	v_cndmask_b32_e64 v35, v50, v35, s[14:15]
	v_cmp_ge_u32_e64 s[14:15], v35, v17
	s_or_b64 s[18:19], s[14:15], s[18:19]
	s_andn2_b64 exec, exec, s[18:19]
	s_cbranch_execnz .LBB935_31
; %bb.32:
	s_or_b64 exec, exec, s[18:19]
.LBB935_33:
	s_or_b64 exec, exec, s[16:17]
	v_add_u32_e32 v34, v35, v28
	v_add_u32_e32 v28, v26, v29
	v_sub_u32_e32 v29, v28, v35
	v_cmp_le_u32_e64 s[14:15], v34, v26
	v_cmp_le_u32_e64 s[16:17], v29, v27
	v_add_u32_e32 v17, 2, v13
	v_add_u32_e32 v18, 0x808, v25
	;; [unrolled: 1-line block ×6, first 2 shown]
	s_or_b64 s[14:15], s[14:15], s[16:17]
	s_and_saveexec_b64 s[28:29], s[14:15]
	s_cbranch_execz .LBB935_39
; %bb.34:
	v_cmp_lt_u32_e64 s[16:17], v34, v26
                                        ; implicit-def: $vgpr24
	s_and_saveexec_b64 s[14:15], s[16:17]
; %bb.35:
	v_lshl_add_u32 v4, v34, 1, v12
	ds_read_u16 v24, v4
; %bb.36:
	s_or_b64 exec, exec, s[14:15]
	v_cmp_ge_u32_e64 s[14:15], v29, v27
	v_cmp_lt_u32_e64 s[18:19], v29, v27
                                        ; implicit-def: $vgpr28
	s_and_saveexec_b64 s[20:21], s[18:19]
; %bb.37:
	v_lshl_add_u32 v4, v29, 1, v12
	ds_read_u16 v28, v4
; %bb.38:
	s_or_b64 exec, exec, s[20:21]
	s_waitcnt lgkmcnt(0)
	v_and_b32_e32 v4, v28, v31
	v_and_b32_e32 v5, v24, v31
	v_cmp_le_i16_e64 s[18:19], v4, v5
	s_and_b64 s[16:17], s[16:17], s[18:19]
	s_or_b64 s[14:15], s[14:15], s[16:17]
	v_cndmask_b32_e64 v4, v29, v34, s[14:15]
	v_cndmask_b32_e64 v5, v27, v26, s[14:15]
	v_add_u32_e32 v8, 1, v4
	v_add_u32_e32 v5, -1, v5
	v_min_u32_e32 v5, v8, v5
	v_lshl_add_u32 v5, v5, 1, v12
	ds_read_u16 v5, v5
	v_cndmask_b32_e64 v9, v8, v29, s[14:15]
	v_cndmask_b32_e64 v8, v34, v8, s[14:15]
	v_cmp_lt_u32_e64 s[18:19], v8, v26
	v_cmp_ge_u32_e64 s[16:17], v9, v27
	s_waitcnt lgkmcnt(0)
	v_cndmask_b32_e64 v35, v5, v28, s[14:15]
	v_cndmask_b32_e64 v39, v24, v5, s[14:15]
	v_and_b32_e32 v5, v35, v31
	v_and_b32_e32 v14, v39, v31
	v_cmp_le_i16_e64 s[20:21], v5, v14
	s_and_b64 s[18:19], s[18:19], s[20:21]
	s_or_b64 s[16:17], s[16:17], s[18:19]
	v_cndmask_b32_e64 v14, v9, v8, s[16:17]
	v_cndmask_b32_e64 v5, v27, v26, s[16:17]
	v_add_u32_e32 v15, 1, v14
	v_add_u32_e32 v5, -1, v5
	v_min_u32_e32 v5, v15, v5
	v_lshl_add_u32 v5, v5, 1, v12
	ds_read_u16 v20, v5
	v_cndmask_b32_e64 v21, v8, v15, s[16:17]
	v_cmp_lt_u32_e64 s[20:21], v21, v26
	v_lshl_add_u32 v4, v4, 3, v10
	ds_read_b64 v[4:5], v4 offset:2048
	s_waitcnt lgkmcnt(1)
	v_cndmask_b32_e64 v29, v20, v35, s[16:17]
	v_cndmask_b32_e64 v34, v39, v20, s[16:17]
	;; [unrolled: 1-line block ×3, first 2 shown]
	v_and_b32_e32 v8, v29, v31
	v_and_b32_e32 v9, v34, v31
	v_cmp_le_i16_e64 s[22:23], v8, v9
	v_cmp_ge_u32_e64 s[18:19], v20, v27
	s_and_b64 s[20:21], s[20:21], s[22:23]
	s_or_b64 s[18:19], s[18:19], s[20:21]
	v_cndmask_b32_e64 v15, v20, v21, s[18:19]
	v_cndmask_b32_e64 v8, v27, v26, s[18:19]
	v_add_u32_e32 v48, 1, v15
	v_add_u32_e32 v8, -1, v8
	v_min_u32_e32 v8, v48, v8
	v_lshl_add_u32 v8, v8, 1, v12
	ds_read_u16 v49, v8
	v_cndmask_b32_e64 v20, v48, v20, s[18:19]
	v_cndmask_b32_e64 v21, v21, v48, s[18:19]
	v_cmp_ge_u32_e64 s[20:21], v20, v27
	v_cmp_lt_u32_e64 s[22:23], v21, v26
	s_waitcnt lgkmcnt(0)
	v_cndmask_b32_e64 v50, v49, v29, s[18:19]
	v_cndmask_b32_e64 v51, v34, v49, s[18:19]
	v_and_b32_e32 v26, v50, v31
	v_and_b32_e32 v27, v51, v31
	v_cmp_le_i16_e64 s[24:25], v26, v27
	s_and_b64 s[22:23], s[22:23], s[24:25]
	s_or_b64 s[20:21], s[20:21], s[22:23]
	v_cndmask_b32_e64 v20, v20, v21, s[20:21]
	v_lshl_add_u32 v8, v14, 3, v10
	v_lshl_add_u32 v14, v15, 3, v10
	;; [unrolled: 1-line block ×3, first 2 shown]
	ds_read_b64 v[8:9], v8 offset:2048
	ds_read_b64 v[14:15], v14 offset:2048
	;; [unrolled: 1-line block ×3, first 2 shown]
	v_cndmask_b32_e64 v49, v28, v24, s[14:15]
	v_cndmask_b32_e64 v39, v35, v39, s[16:17]
	;; [unrolled: 1-line block ×4, first 2 shown]
.LBB935_39:
	s_or_b64 exec, exec, s[28:29]
	v_and_b32_e32 v28, 0x1f0, v37
	v_or_b32_e32 v26, 8, v28
	v_min_u32_e32 v26, v11, v26
	v_add_u32_e32 v27, 8, v26
	v_min_u32_e32 v27, v11, v27
	v_and_b32_e32 v29, 12, v37
	v_min_u32_e32 v34, v11, v29
	v_sub_u32_e32 v29, v26, v28
	v_sub_u32_e32 v35, v27, v26
	v_sub_u32_e64 v35, v34, v35 clamp
	v_min_u32_e32 v29, v34, v29
	v_cmp_lt_u32_e64 s[14:15], v35, v29
	; wave barrier
	ds_write_b16 v13, v49
	ds_write_b64 v16, v[4:5]
	ds_write_b16 v17, v39
	s_waitcnt lgkmcnt(5)
	ds_write_b64 v18, v[8:9]
	ds_write_b16 v19, v24
	s_waitcnt lgkmcnt(6)
	;; [unrolled: 3-line block ×3, first 2 shown]
	ds_write_b64 v25, v[20:21]
	; wave barrier
	s_and_saveexec_b64 s[16:17], s[14:15]
	s_cbranch_execz .LBB935_43
; %bb.40:
	v_lshlrev_b32_e32 v50, 1, v28
	v_lshlrev_b32_e32 v51, 1, v26
	v_add_co_u32_e64 v50, s[14:15], v12, v50
	v_add_co_u32_e64 v51, s[14:15], v12, v51
	s_mov_b64 s[18:19], 0
.LBB935_41:                             ; =>This Inner Loop Header: Depth=1
	v_add_u32_e32 v52, v29, v35
	v_lshrrev_b32_e32 v53, 1, v52
	v_and_b32_e32 v52, -2, v52
	v_xad_u32 v54, v53, -1, v34
	v_add_u32_e32 v52, v50, v52
	v_lshl_add_u32 v54, v54, 1, v51
	ds_read_u16 v52, v52
	ds_read_u16 v54, v54
	v_add_u32_e32 v55, 1, v53
	s_waitcnt lgkmcnt(1)
	v_and_b32_e32 v52, v52, v31
	s_waitcnt lgkmcnt(0)
	v_and_b32_e32 v54, v54, v31
	v_cmp_gt_i16_e64 s[14:15], v54, v52
	v_cndmask_b32_e64 v29, v29, v53, s[14:15]
	v_cndmask_b32_e64 v35, v55, v35, s[14:15]
	v_cmp_ge_u32_e64 s[14:15], v35, v29
	s_or_b64 s[18:19], s[14:15], s[18:19]
	s_andn2_b64 exec, exec, s[18:19]
	s_cbranch_execnz .LBB935_41
; %bb.42:
	s_or_b64 exec, exec, s[18:19]
.LBB935_43:
	s_or_b64 exec, exec, s[16:17]
	v_add_u32_e32 v29, v35, v28
	v_add_u32_e32 v28, v26, v34
	v_sub_u32_e32 v34, v28, v35
	v_cmp_le_u32_e64 s[14:15], v29, v26
	v_cmp_le_u32_e64 s[16:17], v34, v27
	s_or_b64 s[14:15], s[14:15], s[16:17]
	s_and_saveexec_b64 s[28:29], s[14:15]
	s_cbranch_execz .LBB935_49
; %bb.44:
	v_cmp_lt_u32_e64 s[16:17], v29, v26
                                        ; implicit-def: $vgpr24
	s_and_saveexec_b64 s[14:15], s[16:17]
; %bb.45:
	v_lshl_add_u32 v4, v29, 1, v12
	ds_read_u16 v24, v4
; %bb.46:
	s_or_b64 exec, exec, s[14:15]
	v_cmp_ge_u32_e64 s[14:15], v34, v27
	v_cmp_lt_u32_e64 s[18:19], v34, v27
                                        ; implicit-def: $vgpr28
	s_and_saveexec_b64 s[20:21], s[18:19]
; %bb.47:
	v_lshl_add_u32 v4, v34, 1, v12
	ds_read_u16 v28, v4
; %bb.48:
	s_or_b64 exec, exec, s[20:21]
	s_waitcnt lgkmcnt(0)
	v_and_b32_e32 v4, v28, v31
	v_and_b32_e32 v5, v24, v31
	v_cmp_le_i16_e64 s[18:19], v4, v5
	s_and_b64 s[16:17], s[16:17], s[18:19]
	s_or_b64 s[14:15], s[14:15], s[16:17]
	v_cndmask_b32_e64 v4, v34, v29, s[14:15]
	v_cndmask_b32_e64 v5, v27, v26, s[14:15]
	v_add_u32_e32 v8, 1, v4
	v_add_u32_e32 v5, -1, v5
	v_min_u32_e32 v5, v8, v5
	v_lshl_add_u32 v5, v5, 1, v12
	ds_read_u16 v5, v5
	v_cndmask_b32_e64 v9, v8, v34, s[14:15]
	v_cndmask_b32_e64 v8, v29, v8, s[14:15]
	v_cmp_lt_u32_e64 s[18:19], v8, v26
	v_cmp_ge_u32_e64 s[16:17], v9, v27
	s_waitcnt lgkmcnt(0)
	v_cndmask_b32_e64 v35, v5, v28, s[14:15]
	v_cndmask_b32_e64 v39, v24, v5, s[14:15]
	v_and_b32_e32 v5, v35, v31
	v_and_b32_e32 v14, v39, v31
	v_cmp_le_i16_e64 s[20:21], v5, v14
	s_and_b64 s[18:19], s[18:19], s[20:21]
	s_or_b64 s[16:17], s[16:17], s[18:19]
	v_cndmask_b32_e64 v14, v9, v8, s[16:17]
	v_cndmask_b32_e64 v5, v27, v26, s[16:17]
	v_add_u32_e32 v15, 1, v14
	v_add_u32_e32 v5, -1, v5
	v_min_u32_e32 v5, v15, v5
	v_lshl_add_u32 v5, v5, 1, v12
	ds_read_u16 v20, v5
	v_cndmask_b32_e64 v21, v8, v15, s[16:17]
	v_cmp_lt_u32_e64 s[20:21], v21, v26
	v_lshl_add_u32 v4, v4, 3, v10
	ds_read_b64 v[4:5], v4 offset:2048
	s_waitcnt lgkmcnt(1)
	v_cndmask_b32_e64 v29, v20, v35, s[16:17]
	v_cndmask_b32_e64 v34, v39, v20, s[16:17]
	;; [unrolled: 1-line block ×3, first 2 shown]
	v_and_b32_e32 v8, v29, v31
	v_and_b32_e32 v9, v34, v31
	v_cmp_le_i16_e64 s[22:23], v8, v9
	v_cmp_ge_u32_e64 s[18:19], v20, v27
	s_and_b64 s[20:21], s[20:21], s[22:23]
	s_or_b64 s[18:19], s[18:19], s[20:21]
	v_cndmask_b32_e64 v15, v20, v21, s[18:19]
	v_cndmask_b32_e64 v8, v27, v26, s[18:19]
	v_add_u32_e32 v48, 1, v15
	v_add_u32_e32 v8, -1, v8
	v_min_u32_e32 v8, v48, v8
	v_lshl_add_u32 v8, v8, 1, v12
	ds_read_u16 v49, v8
	v_cndmask_b32_e64 v20, v48, v20, s[18:19]
	v_cndmask_b32_e64 v21, v21, v48, s[18:19]
	v_cmp_ge_u32_e64 s[20:21], v20, v27
	v_cmp_lt_u32_e64 s[22:23], v21, v26
	s_waitcnt lgkmcnt(0)
	v_cndmask_b32_e64 v50, v49, v29, s[18:19]
	v_cndmask_b32_e64 v51, v34, v49, s[18:19]
	v_and_b32_e32 v26, v50, v31
	v_and_b32_e32 v27, v51, v31
	v_cmp_le_i16_e64 s[24:25], v26, v27
	s_and_b64 s[22:23], s[22:23], s[24:25]
	s_or_b64 s[20:21], s[20:21], s[22:23]
	v_cndmask_b32_e64 v20, v20, v21, s[20:21]
	v_lshl_add_u32 v8, v14, 3, v10
	v_lshl_add_u32 v14, v15, 3, v10
	;; [unrolled: 1-line block ×3, first 2 shown]
	ds_read_b64 v[8:9], v8 offset:2048
	ds_read_b64 v[14:15], v14 offset:2048
	;; [unrolled: 1-line block ×3, first 2 shown]
	v_cndmask_b32_e64 v49, v28, v24, s[14:15]
	v_cndmask_b32_e64 v39, v35, v39, s[16:17]
	;; [unrolled: 1-line block ×4, first 2 shown]
.LBB935_49:
	s_or_b64 exec, exec, s[28:29]
	; wave barrier
	ds_write_b16 v13, v49
	ds_write_b64 v16, v[4:5]
	ds_write_b16 v17, v39
	s_waitcnt lgkmcnt(5)
	ds_write_b64 v18, v[8:9]
	ds_write_b16 v19, v24
	s_waitcnt lgkmcnt(6)
	;; [unrolled: 3-line block ×3, first 2 shown]
	ds_write_b64 v25, v[20:21]
	v_and_b32_e32 v17, 0x1e0, v37
	v_or_b32_e32 v13, 16, v17
	v_min_u32_e32 v13, v11, v13
	v_add_u32_e32 v16, 16, v13
	v_min_u32_e32 v16, v11, v16
	v_min_u32_e32 v11, v11, v38
	v_sub_u32_e32 v18, v13, v17
	v_sub_u32_e32 v19, v16, v13
	v_sub_u32_e64 v19, v11, v19 clamp
	v_min_u32_e32 v18, v11, v18
	v_cmp_lt_u32_e64 s[14:15], v19, v18
	; wave barrier
	s_and_saveexec_b64 s[16:17], s[14:15]
	s_cbranch_execz .LBB935_53
; %bb.50:
	v_lshlrev_b32_e32 v22, 1, v17
	v_lshlrev_b32_e32 v23, 1, v13
	v_add_co_u32_e64 v22, s[14:15], v12, v22
	v_add_co_u32_e64 v23, s[14:15], v12, v23
	s_mov_b64 s[18:19], 0
.LBB935_51:                             ; =>This Inner Loop Header: Depth=1
	v_add_u32_e32 v25, v18, v19
	v_lshrrev_b32_e32 v26, 1, v25
	v_and_b32_e32 v25, -2, v25
	v_xad_u32 v27, v26, -1, v11
	v_add_u32_e32 v25, v22, v25
	v_lshl_add_u32 v27, v27, 1, v23
	ds_read_u16 v25, v25
	ds_read_u16 v27, v27
	v_add_u32_e32 v28, 1, v26
	s_waitcnt lgkmcnt(1)
	v_and_b32_e32 v25, v25, v31
	s_waitcnt lgkmcnt(0)
	v_and_b32_e32 v27, v27, v31
	v_cmp_gt_i16_e64 s[14:15], v27, v25
	v_cndmask_b32_e64 v18, v18, v26, s[14:15]
	v_cndmask_b32_e64 v19, v28, v19, s[14:15]
	v_cmp_ge_u32_e64 s[14:15], v19, v18
	s_or_b64 s[18:19], s[14:15], s[18:19]
	s_andn2_b64 exec, exec, s[18:19]
	s_cbranch_execnz .LBB935_51
; %bb.52:
	s_or_b64 exec, exec, s[18:19]
.LBB935_53:
	s_or_b64 exec, exec, s[16:17]
	v_add_u32_e32 v11, v13, v11
	v_add_u32_e32 v18, v19, v17
	v_sub_u32_e32 v19, v11, v19
	v_cmp_le_u32_e64 s[14:15], v18, v13
	v_cmp_le_u32_e64 s[16:17], v19, v16
	s_or_b64 s[14:15], s[14:15], s[16:17]
	s_and_saveexec_b64 s[28:29], s[14:15]
	s_cbranch_execz .LBB935_59
; %bb.54:
	v_cmp_lt_u32_e64 s[16:17], v18, v13
                                        ; implicit-def: $vgpr11
	s_and_saveexec_b64 s[14:15], s[16:17]
; %bb.55:
	v_lshl_add_u32 v4, v18, 1, v12
	ds_read_u16 v11, v4
; %bb.56:
	s_or_b64 exec, exec, s[14:15]
	v_cmp_ge_u32_e64 s[14:15], v19, v16
	v_cmp_lt_u32_e64 s[18:19], v19, v16
                                        ; implicit-def: $vgpr17
	s_and_saveexec_b64 s[20:21], s[18:19]
; %bb.57:
	v_lshl_add_u32 v4, v19, 1, v12
	ds_read_u16 v17, v4
; %bb.58:
	s_or_b64 exec, exec, s[20:21]
	s_waitcnt lgkmcnt(0)
	v_and_b32_e32 v4, v17, v31
	v_and_b32_e32 v5, v11, v31
	v_cmp_le_i16_e64 s[18:19], v4, v5
	s_and_b64 s[16:17], s[16:17], s[18:19]
	s_or_b64 s[14:15], s[14:15], s[16:17]
	v_cndmask_b32_e64 v4, v19, v18, s[14:15]
	v_cndmask_b32_e64 v5, v16, v13, s[14:15]
	v_add_u32_e32 v8, 1, v4
	v_add_u32_e32 v5, -1, v5
	v_min_u32_e32 v5, v8, v5
	v_lshl_add_u32 v5, v5, 1, v12
	ds_read_u16 v5, v5
	v_cndmask_b32_e64 v9, v8, v19, s[14:15]
	v_cndmask_b32_e64 v8, v18, v8, s[14:15]
	v_cmp_lt_u32_e64 s[18:19], v8, v13
	v_cmp_ge_u32_e64 s[16:17], v9, v16
	s_waitcnt lgkmcnt(0)
	v_cndmask_b32_e64 v22, v5, v17, s[14:15]
	v_cndmask_b32_e64 v23, v11, v5, s[14:15]
	v_and_b32_e32 v5, v22, v31
	v_and_b32_e32 v14, v23, v31
	v_cmp_le_i16_e64 s[20:21], v5, v14
	s_and_b64 s[18:19], s[18:19], s[20:21]
	s_or_b64 s[16:17], s[16:17], s[18:19]
	v_cndmask_b32_e64 v14, v9, v8, s[16:17]
	v_cndmask_b32_e64 v5, v16, v13, s[16:17]
	v_add_u32_e32 v15, 1, v14
	v_add_u32_e32 v5, -1, v5
	v_min_u32_e32 v5, v15, v5
	v_lshl_add_u32 v5, v5, 1, v12
	ds_read_u16 v18, v5
	v_cndmask_b32_e64 v20, v15, v9, s[16:17]
	v_cndmask_b32_e64 v21, v8, v15, s[16:17]
	v_cmp_lt_u32_e64 s[20:21], v21, v13
	v_cmp_ge_u32_e64 s[18:19], v20, v16
	s_waitcnt lgkmcnt(0)
	v_cndmask_b32_e64 v19, v18, v22, s[16:17]
	v_cndmask_b32_e64 v18, v23, v18, s[16:17]
	v_and_b32_e32 v8, v19, v31
	v_and_b32_e32 v9, v18, v31
	v_cmp_le_i16_e64 s[22:23], v8, v9
	s_and_b64 s[20:21], s[20:21], s[22:23]
	s_or_b64 s[18:19], s[18:19], s[20:21]
	v_cndmask_b32_e64 v15, v20, v21, s[18:19]
	v_cndmask_b32_e64 v8, v16, v13, s[18:19]
	v_add_u32_e32 v24, 1, v15
	v_add_u32_e32 v8, -1, v8
	v_min_u32_e32 v8, v24, v8
	v_lshl_add_u32 v8, v8, 1, v12
	ds_read_u16 v12, v8
	v_cndmask_b32_e64 v20, v24, v20, s[18:19]
	v_cndmask_b32_e64 v21, v21, v24, s[18:19]
	v_cmp_ge_u32_e64 s[20:21], v20, v16
	v_cmp_lt_u32_e64 s[22:23], v21, v13
	s_waitcnt lgkmcnt(0)
	v_cndmask_b32_e64 v25, v12, v19, s[18:19]
	v_cndmask_b32_e64 v12, v18, v12, s[18:19]
	v_and_b32_e32 v13, v25, v31
	v_and_b32_e32 v16, v12, v31
	v_cmp_le_i16_e64 s[24:25], v13, v16
	s_and_b64 s[22:23], s[22:23], s[24:25]
	s_or_b64 s[20:21], s[20:21], s[22:23]
	v_cndmask_b32_e64 v13, v20, v21, s[20:21]
	v_lshl_add_u32 v4, v4, 3, v10
	v_lshl_add_u32 v8, v14, 3, v10
	;; [unrolled: 1-line block ×4, first 2 shown]
	ds_read_b64 v[4:5], v4 offset:2048
	ds_read_b64 v[8:9], v8 offset:2048
	ds_read_b64 v[14:15], v14 offset:2048
	ds_read_b64 v[20:21], v10 offset:2048
	v_cndmask_b32_e64 v49, v17, v11, s[14:15]
	v_cndmask_b32_e64 v39, v22, v23, s[16:17]
	v_cndmask_b32_e64 v24, v19, v18, s[18:19]
	v_cndmask_b32_e64 v48, v25, v12, s[20:21]
.LBB935_59:
	s_or_b64 exec, exec, s[28:29]
	; wave barrier
	s_waitcnt lgkmcnt(0)
	s_barrier
                                        ; implicit-def: $vgpr37
                                        ; implicit-def: $vgpr12
                                        ; implicit-def: $vgpr13
                                        ; implicit-def: $vgpr38
                                        ; implicit-def: $vgpr31
                                        ; implicit-def: $vgpr16
                                        ; implicit-def: $vgpr25
                                        ; implicit-def: $vgpr34_vgpr35
                                        ; implicit-def: $vgpr22_vgpr23
                                        ; implicit-def: $vgpr18_vgpr19
.LBB935_60:
	s_andn2_saveexec_b64 s[22:23], s[26:27]
	s_cbranch_execz .LBB935_96
; %bb.61:
	s_load_dwordx2 s[14:15], s[8:9], 0x0
	v_mov_b32_e32 v17, 0
	s_movk_i32 s20, 0x400
	s_waitcnt lgkmcnt(0)
	s_cmp_lt_u32 s13, s15
	s_cselect_b32 s13, 14, 20
	s_add_u32 s16, s8, s13
	s_addc_u32 s17, s9, 0
	s_cmp_lt_u32 s12, s14
	s_cselect_b32 s12, 12, 18
	s_add_u32 s8, s8, s12
	s_addc_u32 s9, s9, 0
	global_load_ushort v10, v17, s[16:17]
	global_load_ushort v11, v17, s[8:9]
	s_waitcnt vmcnt(0)
	v_mad_u32_u24 v10, v25, v10, v16
	v_mul_lo_u32 v10, v10, v11
	v_and_b32_e32 v11, 0x3ff, v31
	v_add_lshl_u32 v10, v10, v11, 2
	v_cmp_gt_u32_e64 s[8:9], s20, v10
	s_and_saveexec_b64 s[16:17], s[8:9]
	s_cbranch_execz .LBB935_65
; %bb.62:
	v_cmp_gt_i16_e64 s[8:9], v39, v49
	v_min_i16_e32 v14, v39, v49
	v_cndmask_b32_e64 v8, v4, v18, s[8:9]
	v_cndmask_b32_e64 v9, v5, v19, s[8:9]
	v_cndmask_b32_e64 v5, v19, v5, s[8:9]
	v_cndmask_b32_e64 v4, v18, v4, s[8:9]
	v_max_i16_e32 v15, v48, v24
	v_cmp_gt_i16_e64 s[8:9], v48, v24
	v_max_i16_e32 v11, v39, v49
	v_min_i16_e32 v16, v48, v24
	v_cndmask_b32_e64 v24, v34, v22, s[8:9]
	v_cndmask_b32_e64 v25, v35, v23, s[8:9]
	;; [unrolled: 1-line block ×4, first 2 shown]
	v_cmp_gt_i16_e64 s[8:9], v15, v14
	v_max_i16_e32 v18, v15, v14
	v_min_i16_e32 v19, v15, v14
	v_cndmask_b32_e64 v23, v21, v4, s[8:9]
	v_cndmask_b32_e64 v26, v20, v5, s[8:9]
	;; [unrolled: 1-line block ×4, first 2 shown]
	v_cmp_gt_i16_e64 s[8:9], v15, v11
	v_cmp_lt_i16_e64 s[12:13], v14, v16
	v_cndmask_b32_e64 v39, v18, v11, s[8:9]
	v_cndmask_b32_e64 v22, v19, v16, s[12:13]
	;; [unrolled: 1-line block ×10, first 2 shown]
	v_cmp_gt_i16_e64 s[14:15], v22, v39
	v_mov_b32_e32 v24, v22
	s_and_saveexec_b64 s[18:19], s[14:15]
; %bb.63:
	v_mov_b32_e32 v24, v15
	v_mov_b32_e32 v23, v14
	;; [unrolled: 1-line block ×8, first 2 shown]
; %bb.64:
	s_or_b64 exec, exec, s[18:19]
	v_cndmask_b32_e64 v49, v11, v18, s[8:9]
	v_cndmask_b32_e64 v48, v16, v19, s[12:13]
.LBB935_65:
	s_or_b64 exec, exec, s[16:17]
	v_and_b32_e32 v16, 0xffffff00, v10
	v_lshlrev_b64 v[10:11], 1, v[16:17]
	v_or_b32_e32 v17, 4, v37
	v_add_co_u32_e64 v12, s[8:9], v12, v10
	v_addc_co_u32_e64 v13, s[8:9], v13, v11, s[8:9]
	v_mad_u64_u32 v[10:11], s[8:9], v16, 6, v[12:13]
	v_sub_u32_e64 v11, s20, v16 clamp
	v_min_u32_e32 v26, v11, v17
	v_add_u32_e32 v17, 4, v26
	v_and_b32_e32 v28, 0x1f8, v37
	v_min_u32_e32 v27, v11, v17
	v_and_b32_e32 v17, 4, v37
	v_min_u32_e32 v31, v11, v17
	v_sub_u32_e32 v17, v26, v28
	v_sub_u32_e32 v18, v27, v26
	v_lshl_add_u32 v25, v37, 3, v10
	v_sub_u32_e64 v34, v31, v18 clamp
	v_min_u32_e32 v17, v31, v17
	v_lshl_add_u32 v13, v37, 1, v12
	v_add_u32_e32 v16, 0x800, v25
	v_cmp_lt_u32_e64 s[8:9], v34, v17
	ds_write_b16 v13, v49
	ds_write_b16 v13, v39 offset:2
	ds_write2_b64 v16, v[4:5], v[8:9] offset1:1
	ds_write_b16 v13, v24 offset:4
	ds_write_b16 v13, v48 offset:6
	ds_write2_b64 v16, v[14:15], v[20:21] offset0:2 offset1:3
	; wave barrier
	s_and_saveexec_b64 s[12:13], s[8:9]
	s_cbranch_execz .LBB935_69
; %bb.66:
	v_lshlrev_b32_e32 v18, 1, v28
	v_lshlrev_b32_e32 v19, 1, v26
	v_add_co_u32_e64 v18, s[8:9], v12, v18
	v_add_co_u32_e64 v19, s[8:9], v12, v19
	s_mov_b64 s[14:15], 0
.LBB935_67:                             ; =>This Inner Loop Header: Depth=1
	v_add_u32_e32 v22, v17, v34
	v_lshrrev_b32_e32 v23, 1, v22
	v_and_b32_e32 v22, -2, v22
	v_xad_u32 v29, v23, -1, v31
	v_add_u32_e32 v22, v18, v22
	v_lshl_add_u32 v29, v29, 1, v19
	ds_read_u16 v22, v22
	ds_read_u16 v29, v29
	v_add_u32_e32 v35, 1, v23
	s_waitcnt lgkmcnt(0)
	v_cmp_gt_i16_e64 s[8:9], v29, v22
	v_cndmask_b32_e64 v17, v17, v23, s[8:9]
	v_cndmask_b32_e64 v34, v35, v34, s[8:9]
	v_cmp_ge_u32_e64 s[8:9], v34, v17
	s_or_b64 s[14:15], s[8:9], s[14:15]
	s_andn2_b64 exec, exec, s[14:15]
	s_cbranch_execnz .LBB935_67
; %bb.68:
	s_or_b64 exec, exec, s[14:15]
.LBB935_69:
	s_or_b64 exec, exec, s[12:13]
	v_add_u32_e32 v29, v34, v28
	v_add_u32_e32 v28, v26, v31
	v_sub_u32_e32 v31, v28, v34
	v_cmp_le_u32_e64 s[8:9], v29, v26
	v_cmp_le_u32_e64 s[12:13], v31, v27
	v_add_u32_e32 v17, 2, v13
	v_add_u32_e32 v18, 0x808, v25
	;; [unrolled: 1-line block ×6, first 2 shown]
	s_or_b64 s[8:9], s[8:9], s[12:13]
	s_and_saveexec_b64 s[24:25], s[8:9]
	s_cbranch_execz .LBB935_75
; %bb.70:
	v_cmp_lt_u32_e64 s[8:9], v29, v26
                                        ; implicit-def: $vgpr24
	s_and_saveexec_b64 s[12:13], s[8:9]
; %bb.71:
	v_lshl_add_u32 v4, v29, 1, v12
	ds_read_u16 v24, v4
; %bb.72:
	s_or_b64 exec, exec, s[12:13]
	v_cmp_ge_u32_e64 s[12:13], v31, v27
	v_cmp_lt_u32_e64 s[14:15], v31, v27
                                        ; implicit-def: $vgpr28
	s_and_saveexec_b64 s[16:17], s[14:15]
; %bb.73:
	v_lshl_add_u32 v4, v31, 1, v12
	ds_read_u16 v28, v4
; %bb.74:
	s_or_b64 exec, exec, s[16:17]
	s_waitcnt lgkmcnt(0)
	v_cmp_le_i16_e64 s[14:15], v28, v24
	s_and_b64 s[8:9], s[8:9], s[14:15]
	s_or_b64 s[8:9], s[12:13], s[8:9]
	v_cndmask_b32_e64 v4, v31, v29, s[8:9]
	v_cndmask_b32_e64 v5, v27, v26, s[8:9]
	v_add_u32_e32 v8, 1, v4
	v_add_u32_e32 v5, -1, v5
	v_min_u32_e32 v5, v8, v5
	v_lshl_add_u32 v5, v5, 1, v12
	ds_read_u16 v5, v5
	v_cndmask_b32_e64 v9, v8, v31, s[8:9]
	v_cndmask_b32_e64 v8, v29, v8, s[8:9]
	v_cmp_lt_u32_e64 s[14:15], v8, v26
	v_cmp_ge_u32_e64 s[12:13], v9, v27
	s_waitcnt lgkmcnt(0)
	v_cndmask_b32_e64 v31, v5, v28, s[8:9]
	v_cndmask_b32_e64 v34, v24, v5, s[8:9]
	v_cmp_le_i16_e64 s[16:17], v31, v34
	s_and_b64 s[14:15], s[14:15], s[16:17]
	s_or_b64 s[12:13], s[12:13], s[14:15]
	v_cndmask_b32_e64 v14, v9, v8, s[12:13]
	v_cndmask_b32_e64 v5, v27, v26, s[12:13]
	v_add_u32_e32 v15, 1, v14
	v_add_u32_e32 v5, -1, v5
	v_min_u32_e32 v5, v15, v5
	v_lshl_add_u32 v5, v5, 1, v12
	ds_read_u16 v20, v5
	v_cndmask_b32_e64 v21, v8, v15, s[12:13]
	v_cmp_lt_u32_e64 s[16:17], v21, v26
	v_lshl_add_u32 v4, v4, 3, v10
	ds_read_b64 v[4:5], v4 offset:2048
	s_waitcnt lgkmcnt(1)
	v_cndmask_b32_e64 v29, v20, v31, s[12:13]
	v_cndmask_b32_e64 v35, v34, v20, s[12:13]
	;; [unrolled: 1-line block ×3, first 2 shown]
	v_cmp_le_i16_e64 s[18:19], v29, v35
	v_cmp_ge_u32_e64 s[14:15], v20, v27
	s_and_b64 s[16:17], s[16:17], s[18:19]
	s_or_b64 s[14:15], s[14:15], s[16:17]
	v_cndmask_b32_e64 v15, v20, v21, s[14:15]
	v_cndmask_b32_e64 v8, v27, v26, s[14:15]
	v_add_u32_e32 v39, 1, v15
	v_add_u32_e32 v8, -1, v8
	v_min_u32_e32 v8, v39, v8
	v_lshl_add_u32 v8, v8, 1, v12
	ds_read_u16 v48, v8
	v_cndmask_b32_e64 v21, v21, v39, s[14:15]
	v_cndmask_b32_e64 v20, v39, v20, s[14:15]
	v_cmp_lt_u32_e64 s[18:19], v21, v26
	v_cmp_ge_u32_e64 s[16:17], v20, v27
	s_waitcnt lgkmcnt(0)
	v_cndmask_b32_e64 v50, v48, v29, s[14:15]
	v_cndmask_b32_e64 v48, v35, v48, s[14:15]
	v_cmp_le_i16_e64 s[20:21], v50, v48
	s_and_b64 s[18:19], s[18:19], s[20:21]
	s_or_b64 s[16:17], s[16:17], s[18:19]
	v_cndmask_b32_e64 v20, v20, v21, s[16:17]
	v_lshl_add_u32 v8, v14, 3, v10
	v_lshl_add_u32 v14, v15, 3, v10
	;; [unrolled: 1-line block ×3, first 2 shown]
	ds_read_b64 v[8:9], v8 offset:2048
	ds_read_b64 v[14:15], v14 offset:2048
	;; [unrolled: 1-line block ×3, first 2 shown]
	v_cndmask_b32_e64 v49, v28, v24, s[8:9]
	v_cndmask_b32_e64 v39, v31, v34, s[12:13]
	;; [unrolled: 1-line block ×4, first 2 shown]
.LBB935_75:
	s_or_b64 exec, exec, s[24:25]
	v_and_b32_e32 v28, 0x1f0, v37
	v_or_b32_e32 v26, 8, v28
	v_min_u32_e32 v26, v11, v26
	v_add_u32_e32 v27, 8, v26
	v_min_u32_e32 v27, v11, v27
	v_and_b32_e32 v29, 12, v37
	v_min_u32_e32 v31, v11, v29
	v_sub_u32_e32 v29, v26, v28
	v_sub_u32_e32 v34, v27, v26
	v_sub_u32_e64 v34, v31, v34 clamp
	v_min_u32_e32 v29, v31, v29
	v_cmp_lt_u32_e64 s[8:9], v34, v29
	; wave barrier
	ds_write_b16 v13, v49
	ds_write_b64 v16, v[4:5]
	ds_write_b16 v17, v39
	s_waitcnt lgkmcnt(5)
	ds_write_b64 v18, v[8:9]
	ds_write_b16 v19, v24
	s_waitcnt lgkmcnt(6)
	;; [unrolled: 3-line block ×3, first 2 shown]
	ds_write_b64 v25, v[20:21]
	; wave barrier
	s_and_saveexec_b64 s[12:13], s[8:9]
	s_cbranch_execz .LBB935_79
; %bb.76:
	v_lshlrev_b32_e32 v35, 1, v28
	v_lshlrev_b32_e32 v50, 1, v26
	v_add_co_u32_e64 v35, s[8:9], v12, v35
	v_add_co_u32_e64 v50, s[8:9], v12, v50
	s_mov_b64 s[14:15], 0
.LBB935_77:                             ; =>This Inner Loop Header: Depth=1
	v_add_u32_e32 v51, v29, v34
	v_lshrrev_b32_e32 v52, 1, v51
	v_and_b32_e32 v51, -2, v51
	v_xad_u32 v53, v52, -1, v31
	v_add_u32_e32 v51, v35, v51
	v_lshl_add_u32 v53, v53, 1, v50
	ds_read_u16 v51, v51
	ds_read_u16 v53, v53
	v_add_u32_e32 v54, 1, v52
	s_waitcnt lgkmcnt(0)
	v_cmp_gt_i16_e64 s[8:9], v53, v51
	v_cndmask_b32_e64 v29, v29, v52, s[8:9]
	v_cndmask_b32_e64 v34, v54, v34, s[8:9]
	v_cmp_ge_u32_e64 s[8:9], v34, v29
	s_or_b64 s[14:15], s[8:9], s[14:15]
	s_andn2_b64 exec, exec, s[14:15]
	s_cbranch_execnz .LBB935_77
; %bb.78:
	s_or_b64 exec, exec, s[14:15]
.LBB935_79:
	s_or_b64 exec, exec, s[12:13]
	v_add_u32_e32 v29, v34, v28
	v_add_u32_e32 v28, v26, v31
	v_sub_u32_e32 v31, v28, v34
	v_cmp_le_u32_e64 s[8:9], v29, v26
	v_cmp_le_u32_e64 s[12:13], v31, v27
	s_or_b64 s[8:9], s[8:9], s[12:13]
	s_and_saveexec_b64 s[24:25], s[8:9]
	s_cbranch_execz .LBB935_85
; %bb.80:
	v_cmp_lt_u32_e64 s[8:9], v29, v26
                                        ; implicit-def: $vgpr24
	s_and_saveexec_b64 s[12:13], s[8:9]
; %bb.81:
	v_lshl_add_u32 v4, v29, 1, v12
	ds_read_u16 v24, v4
; %bb.82:
	s_or_b64 exec, exec, s[12:13]
	v_cmp_ge_u32_e64 s[12:13], v31, v27
	v_cmp_lt_u32_e64 s[14:15], v31, v27
                                        ; implicit-def: $vgpr28
	s_and_saveexec_b64 s[16:17], s[14:15]
; %bb.83:
	v_lshl_add_u32 v4, v31, 1, v12
	ds_read_u16 v28, v4
; %bb.84:
	s_or_b64 exec, exec, s[16:17]
	s_waitcnt lgkmcnt(0)
	v_cmp_le_i16_e64 s[14:15], v28, v24
	s_and_b64 s[8:9], s[8:9], s[14:15]
	s_or_b64 s[8:9], s[12:13], s[8:9]
	v_cndmask_b32_e64 v4, v31, v29, s[8:9]
	v_cndmask_b32_e64 v5, v27, v26, s[8:9]
	v_add_u32_e32 v8, 1, v4
	v_add_u32_e32 v5, -1, v5
	v_min_u32_e32 v5, v8, v5
	v_lshl_add_u32 v5, v5, 1, v12
	ds_read_u16 v5, v5
	v_cndmask_b32_e64 v9, v8, v31, s[8:9]
	v_cndmask_b32_e64 v8, v29, v8, s[8:9]
	v_cmp_lt_u32_e64 s[14:15], v8, v26
	v_cmp_ge_u32_e64 s[12:13], v9, v27
	s_waitcnt lgkmcnt(0)
	v_cndmask_b32_e64 v31, v5, v28, s[8:9]
	v_cndmask_b32_e64 v34, v24, v5, s[8:9]
	v_cmp_le_i16_e64 s[16:17], v31, v34
	s_and_b64 s[14:15], s[14:15], s[16:17]
	s_or_b64 s[12:13], s[12:13], s[14:15]
	v_cndmask_b32_e64 v14, v9, v8, s[12:13]
	v_cndmask_b32_e64 v5, v27, v26, s[12:13]
	v_add_u32_e32 v15, 1, v14
	v_add_u32_e32 v5, -1, v5
	v_min_u32_e32 v5, v15, v5
	v_lshl_add_u32 v5, v5, 1, v12
	ds_read_u16 v20, v5
	v_cndmask_b32_e64 v21, v8, v15, s[12:13]
	v_cmp_lt_u32_e64 s[16:17], v21, v26
	v_lshl_add_u32 v4, v4, 3, v10
	ds_read_b64 v[4:5], v4 offset:2048
	s_waitcnt lgkmcnt(1)
	v_cndmask_b32_e64 v29, v20, v31, s[12:13]
	v_cndmask_b32_e64 v35, v34, v20, s[12:13]
	;; [unrolled: 1-line block ×3, first 2 shown]
	v_cmp_le_i16_e64 s[18:19], v29, v35
	v_cmp_ge_u32_e64 s[14:15], v20, v27
	s_and_b64 s[16:17], s[16:17], s[18:19]
	s_or_b64 s[14:15], s[14:15], s[16:17]
	v_cndmask_b32_e64 v15, v20, v21, s[14:15]
	v_cndmask_b32_e64 v8, v27, v26, s[14:15]
	v_add_u32_e32 v39, 1, v15
	v_add_u32_e32 v8, -1, v8
	v_min_u32_e32 v8, v39, v8
	v_lshl_add_u32 v8, v8, 1, v12
	ds_read_u16 v48, v8
	v_cndmask_b32_e64 v21, v21, v39, s[14:15]
	v_cndmask_b32_e64 v20, v39, v20, s[14:15]
	v_cmp_lt_u32_e64 s[18:19], v21, v26
	v_cmp_ge_u32_e64 s[16:17], v20, v27
	s_waitcnt lgkmcnt(0)
	v_cndmask_b32_e64 v50, v48, v29, s[14:15]
	v_cndmask_b32_e64 v48, v35, v48, s[14:15]
	v_cmp_le_i16_e64 s[20:21], v50, v48
	s_and_b64 s[18:19], s[18:19], s[20:21]
	s_or_b64 s[16:17], s[16:17], s[18:19]
	v_cndmask_b32_e64 v20, v20, v21, s[16:17]
	v_lshl_add_u32 v8, v14, 3, v10
	v_lshl_add_u32 v14, v15, 3, v10
	;; [unrolled: 1-line block ×3, first 2 shown]
	ds_read_b64 v[8:9], v8 offset:2048
	ds_read_b64 v[14:15], v14 offset:2048
	;; [unrolled: 1-line block ×3, first 2 shown]
	v_cndmask_b32_e64 v49, v28, v24, s[8:9]
	v_cndmask_b32_e64 v39, v31, v34, s[12:13]
	;; [unrolled: 1-line block ×4, first 2 shown]
.LBB935_85:
	s_or_b64 exec, exec, s[24:25]
	; wave barrier
	ds_write_b16 v13, v49
	ds_write_b64 v16, v[4:5]
	ds_write_b16 v17, v39
	s_waitcnt lgkmcnt(5)
	ds_write_b64 v18, v[8:9]
	ds_write_b16 v19, v24
	s_waitcnt lgkmcnt(6)
	;; [unrolled: 3-line block ×3, first 2 shown]
	ds_write_b64 v25, v[20:21]
	v_and_b32_e32 v17, 0x1e0, v37
	v_or_b32_e32 v13, 16, v17
	v_min_u32_e32 v13, v11, v13
	v_add_u32_e32 v16, 16, v13
	v_min_u32_e32 v16, v11, v16
	v_min_u32_e32 v11, v11, v38
	v_sub_u32_e32 v18, v13, v17
	v_sub_u32_e32 v19, v16, v13
	v_sub_u32_e64 v19, v11, v19 clamp
	v_min_u32_e32 v18, v11, v18
	v_cmp_lt_u32_e64 s[8:9], v19, v18
	; wave barrier
	s_and_saveexec_b64 s[12:13], s[8:9]
	s_cbranch_execz .LBB935_89
; %bb.86:
	v_lshlrev_b32_e32 v22, 1, v17
	v_lshlrev_b32_e32 v23, 1, v13
	v_add_co_u32_e64 v22, s[8:9], v12, v22
	v_add_co_u32_e64 v23, s[8:9], v12, v23
	s_mov_b64 s[14:15], 0
.LBB935_87:                             ; =>This Inner Loop Header: Depth=1
	v_add_u32_e32 v25, v18, v19
	v_lshrrev_b32_e32 v26, 1, v25
	v_and_b32_e32 v25, -2, v25
	v_xad_u32 v27, v26, -1, v11
	v_add_u32_e32 v25, v22, v25
	v_lshl_add_u32 v27, v27, 1, v23
	ds_read_u16 v25, v25
	ds_read_u16 v27, v27
	v_add_u32_e32 v28, 1, v26
	s_waitcnt lgkmcnt(0)
	v_cmp_gt_i16_e64 s[8:9], v27, v25
	v_cndmask_b32_e64 v18, v18, v26, s[8:9]
	v_cndmask_b32_e64 v19, v28, v19, s[8:9]
	v_cmp_ge_u32_e64 s[8:9], v19, v18
	s_or_b64 s[14:15], s[8:9], s[14:15]
	s_andn2_b64 exec, exec, s[14:15]
	s_cbranch_execnz .LBB935_87
; %bb.88:
	s_or_b64 exec, exec, s[14:15]
.LBB935_89:
	s_or_b64 exec, exec, s[12:13]
	v_add_u32_e32 v11, v13, v11
	v_add_u32_e32 v18, v19, v17
	v_sub_u32_e32 v19, v11, v19
	v_cmp_le_u32_e64 s[8:9], v18, v13
	v_cmp_le_u32_e64 s[12:13], v19, v16
	s_or_b64 s[8:9], s[8:9], s[12:13]
	s_and_saveexec_b64 s[24:25], s[8:9]
	s_cbranch_execz .LBB935_95
; %bb.90:
	v_cmp_lt_u32_e64 s[8:9], v18, v13
                                        ; implicit-def: $vgpr11
	s_and_saveexec_b64 s[12:13], s[8:9]
; %bb.91:
	v_lshl_add_u32 v4, v18, 1, v12
	ds_read_u16 v11, v4
; %bb.92:
	s_or_b64 exec, exec, s[12:13]
	v_cmp_ge_u32_e64 s[12:13], v19, v16
	v_cmp_lt_u32_e64 s[14:15], v19, v16
                                        ; implicit-def: $vgpr17
	s_and_saveexec_b64 s[16:17], s[14:15]
; %bb.93:
	v_lshl_add_u32 v4, v19, 1, v12
	ds_read_u16 v17, v4
; %bb.94:
	s_or_b64 exec, exec, s[16:17]
	s_waitcnt lgkmcnt(0)
	v_cmp_le_i16_e64 s[14:15], v17, v11
	s_and_b64 s[8:9], s[8:9], s[14:15]
	s_or_b64 s[8:9], s[12:13], s[8:9]
	v_cndmask_b32_e64 v4, v19, v18, s[8:9]
	v_cndmask_b32_e64 v5, v16, v13, s[8:9]
	v_add_u32_e32 v8, 1, v4
	v_add_u32_e32 v5, -1, v5
	v_min_u32_e32 v5, v8, v5
	v_lshl_add_u32 v5, v5, 1, v12
	ds_read_u16 v5, v5
	v_cndmask_b32_e64 v9, v8, v19, s[8:9]
	v_cndmask_b32_e64 v8, v18, v8, s[8:9]
	v_cmp_lt_u32_e64 s[14:15], v8, v13
	v_cmp_ge_u32_e64 s[12:13], v9, v16
	s_waitcnt lgkmcnt(0)
	v_cndmask_b32_e64 v19, v5, v17, s[8:9]
	v_cndmask_b32_e64 v22, v11, v5, s[8:9]
	v_cmp_le_i16_e64 s[16:17], v19, v22
	s_and_b64 s[14:15], s[14:15], s[16:17]
	s_or_b64 s[12:13], s[12:13], s[14:15]
	v_cndmask_b32_e64 v14, v9, v8, s[12:13]
	v_cndmask_b32_e64 v5, v16, v13, s[12:13]
	v_add_u32_e32 v15, 1, v14
	v_add_u32_e32 v5, -1, v5
	v_min_u32_e32 v5, v15, v5
	v_lshl_add_u32 v5, v5, 1, v12
	ds_read_u16 v18, v5
	v_cndmask_b32_e64 v21, v8, v15, s[12:13]
	v_cndmask_b32_e64 v20, v15, v9, s[12:13]
	v_cmp_lt_u32_e64 s[16:17], v21, v13
	v_cmp_ge_u32_e64 s[14:15], v20, v16
	s_waitcnt lgkmcnt(0)
	v_cndmask_b32_e64 v23, v18, v19, s[12:13]
	v_cndmask_b32_e64 v18, v22, v18, s[12:13]
	;; [unrolled: 17-line block ×3, first 2 shown]
	v_cmp_le_i16_e64 s[20:21], v25, v12
	s_and_b64 s[18:19], s[18:19], s[20:21]
	s_or_b64 s[16:17], s[16:17], s[18:19]
	v_cndmask_b32_e64 v13, v20, v21, s[16:17]
	v_lshl_add_u32 v4, v4, 3, v10
	v_lshl_add_u32 v8, v14, 3, v10
	;; [unrolled: 1-line block ×4, first 2 shown]
	ds_read_b64 v[4:5], v4 offset:2048
	ds_read_b64 v[8:9], v8 offset:2048
	ds_read_b64 v[14:15], v14 offset:2048
	ds_read_b64 v[20:21], v10 offset:2048
	v_cndmask_b32_e64 v49, v17, v11, s[8:9]
	v_cndmask_b32_e64 v39, v19, v22, s[12:13]
	;; [unrolled: 1-line block ×4, first 2 shown]
.LBB935_95:
	s_or_b64 exec, exec, s[24:25]
	; wave barrier
	s_waitcnt lgkmcnt(0)
	s_barrier
.LBB935_96:
	s_or_b64 exec, exec, s[22:23]
	v_add_co_u32_e64 v2, s[8:9], v2, v32
	v_addc_co_u32_e64 v3, s[8:9], v3, v33, s[8:9]
	v_add_co_u32_e64 v2, s[8:9], v2, v30
	v_addc_co_u32_e64 v3, s[8:9], 0, v3, s[8:9]
	s_waitcnt lgkmcnt(0)
	; wave barrier
	s_and_saveexec_b64 s[8:9], vcc
	s_cbranch_execnz .LBB935_106
; %bb.97:
	s_or_b64 exec, exec, s[8:9]
	s_and_saveexec_b64 s[8:9], s[4:5]
	s_cbranch_execnz .LBB935_107
.LBB935_98:
	s_or_b64 exec, exec, s[8:9]
	s_and_saveexec_b64 s[8:9], s[6:7]
	s_cbranch_execnz .LBB935_108
.LBB935_99:
	s_or_b64 exec, exec, s[8:9]
	s_and_saveexec_b64 s[8:9], s[10:11]
	s_cbranch_execz .LBB935_101
.LBB935_100:
	s_waitcnt vmcnt(0)
	flat_store_short v[2:3], v48 offset:6
.LBB935_101:
	s_or_b64 exec, exec, s[8:9]
	v_add_co_u32_e64 v0, s[8:9], v6, v0
	v_addc_co_u32_e64 v1, s[8:9], v7, v1, s[8:9]
	v_add_co_u32_e64 v0, s[8:9], v0, v36
	v_addc_co_u32_e64 v1, s[8:9], 0, v1, s[8:9]
	; wave barrier
	s_and_saveexec_b64 s[8:9], vcc
	s_cbranch_execnz .LBB935_109
; %bb.102:
	s_or_b64 exec, exec, s[8:9]
	s_and_saveexec_b64 s[8:9], s[4:5]
	s_cbranch_execnz .LBB935_110
.LBB935_103:
	s_or_b64 exec, exec, s[8:9]
	s_and_saveexec_b64 s[4:5], s[6:7]
	s_cbranch_execnz .LBB935_111
.LBB935_104:
	s_or_b64 exec, exec, s[4:5]
	s_and_saveexec_b64 s[4:5], s[10:11]
	s_cbranch_execnz .LBB935_112
.LBB935_105:
	s_or_b64 exec, exec, s[4:5]
	s_waitcnt vmcnt(0) lgkmcnt(0)
	s_setpc_b64 s[30:31]
.LBB935_106:
	s_waitcnt vmcnt(0)
	flat_store_short v[2:3], v49
	s_or_b64 exec, exec, s[8:9]
	s_and_saveexec_b64 s[8:9], s[4:5]
	s_cbranch_execz .LBB935_98
.LBB935_107:
	s_waitcnt vmcnt(0)
	flat_store_short v[2:3], v39 offset:2
	s_or_b64 exec, exec, s[8:9]
	s_and_saveexec_b64 s[8:9], s[6:7]
	s_cbranch_execz .LBB935_99
.LBB935_108:
	s_waitcnt vmcnt(0)
	flat_store_short v[2:3], v24 offset:4
	s_or_b64 exec, exec, s[8:9]
	s_and_saveexec_b64 s[8:9], s[10:11]
	s_cbranch_execnz .LBB935_100
	s_branch .LBB935_101
.LBB935_109:
	s_waitcnt vmcnt(0)
	flat_store_dwordx2 v[0:1], v[4:5]
	s_or_b64 exec, exec, s[8:9]
	s_and_saveexec_b64 s[8:9], s[4:5]
	s_cbranch_execz .LBB935_103
.LBB935_110:
	flat_store_dwordx2 v[0:1], v[8:9] offset:8
	s_or_b64 exec, exec, s[8:9]
	s_and_saveexec_b64 s[4:5], s[6:7]
	s_cbranch_execz .LBB935_104
.LBB935_111:
	flat_store_dwordx2 v[0:1], v[14:15] offset:16
	s_or_b64 exec, exec, s[4:5]
	s_and_saveexec_b64 s[4:5], s[10:11]
	s_cbranch_execz .LBB935_105
.LBB935_112:
	flat_store_dwordx2 v[0:1], v[20:21] offset:24
	s_or_b64 exec, exec, s[4:5]
	s_waitcnt vmcnt(0) lgkmcnt(0)
	s_setpc_b64 s[30:31]
.Lfunc_end935:
	.size	_ZN7rocprim17ROCPRIM_400000_NS6detail26segmented_warp_sort_helperINS1_20WarpSortHelperConfigILj8ELj4ELj256EEEslLi256ELb1EvE4sortIPKsPsPKlPlEEvT_T0_T1_T2_jjjjRNS5_12storage_typeE, .Lfunc_end935-_ZN7rocprim17ROCPRIM_400000_NS6detail26segmented_warp_sort_helperINS1_20WarpSortHelperConfigILj8ELj4ELj256EEEslLi256ELb1EvE4sortIPKsPsPKlPlEEvT_T0_T1_T2_jjjjRNS5_12storage_typeE
                                        ; -- End function
	.set .L_ZN7rocprim17ROCPRIM_400000_NS6detail26segmented_warp_sort_helperINS1_20WarpSortHelperConfigILj8ELj4ELj256EEEslLi256ELb1EvE4sortIPKsPsPKlPlEEvT_T0_T1_T2_jjjjRNS5_12storage_typeE.num_vgpr, 56
	.set .L_ZN7rocprim17ROCPRIM_400000_NS6detail26segmented_warp_sort_helperINS1_20WarpSortHelperConfigILj8ELj4ELj256EEEslLi256ELb1EvE4sortIPKsPsPKlPlEEvT_T0_T1_T2_jjjjRNS5_12storage_typeE.num_agpr, 0
	.set .L_ZN7rocprim17ROCPRIM_400000_NS6detail26segmented_warp_sort_helperINS1_20WarpSortHelperConfigILj8ELj4ELj256EEEslLi256ELb1EvE4sortIPKsPsPKlPlEEvT_T0_T1_T2_jjjjRNS5_12storage_typeE.numbered_sgpr, 32
	.set .L_ZN7rocprim17ROCPRIM_400000_NS6detail26segmented_warp_sort_helperINS1_20WarpSortHelperConfigILj8ELj4ELj256EEEslLi256ELb1EvE4sortIPKsPsPKlPlEEvT_T0_T1_T2_jjjjRNS5_12storage_typeE.num_named_barrier, 0
	.set .L_ZN7rocprim17ROCPRIM_400000_NS6detail26segmented_warp_sort_helperINS1_20WarpSortHelperConfigILj8ELj4ELj256EEEslLi256ELb1EvE4sortIPKsPsPKlPlEEvT_T0_T1_T2_jjjjRNS5_12storage_typeE.private_seg_size, 0
	.set .L_ZN7rocprim17ROCPRIM_400000_NS6detail26segmented_warp_sort_helperINS1_20WarpSortHelperConfigILj8ELj4ELj256EEEslLi256ELb1EvE4sortIPKsPsPKlPlEEvT_T0_T1_T2_jjjjRNS5_12storage_typeE.uses_vcc, 1
	.set .L_ZN7rocprim17ROCPRIM_400000_NS6detail26segmented_warp_sort_helperINS1_20WarpSortHelperConfigILj8ELj4ELj256EEEslLi256ELb1EvE4sortIPKsPsPKlPlEEvT_T0_T1_T2_jjjjRNS5_12storage_typeE.uses_flat_scratch, 0
	.set .L_ZN7rocprim17ROCPRIM_400000_NS6detail26segmented_warp_sort_helperINS1_20WarpSortHelperConfigILj8ELj4ELj256EEEslLi256ELb1EvE4sortIPKsPsPKlPlEEvT_T0_T1_T2_jjjjRNS5_12storage_typeE.has_dyn_sized_stack, 0
	.set .L_ZN7rocprim17ROCPRIM_400000_NS6detail26segmented_warp_sort_helperINS1_20WarpSortHelperConfigILj8ELj4ELj256EEEslLi256ELb1EvE4sortIPKsPsPKlPlEEvT_T0_T1_T2_jjjjRNS5_12storage_typeE.has_recursion, 0
	.set .L_ZN7rocprim17ROCPRIM_400000_NS6detail26segmented_warp_sort_helperINS1_20WarpSortHelperConfigILj8ELj4ELj256EEEslLi256ELb1EvE4sortIPKsPsPKlPlEEvT_T0_T1_T2_jjjjRNS5_12storage_typeE.has_indirect_call, 0
	.section	.AMDGPU.csdata,"",@progbits
; Function info:
; codeLenInByte = 7348
; TotalNumSgprs: 36
; NumVgprs: 56
; ScratchSize: 0
; MemoryBound: 1
	.section	.text._ZN7rocprim17ROCPRIM_400000_NS6detail17trampoline_kernelINS0_14default_configENS1_36segmented_radix_sort_config_selectorIslEEZNS1_25segmented_radix_sort_implIS3_Lb1EPKsPsPKlPlN2at6native12_GLOBAL__N_18offset_tEEE10hipError_tPvRmT1_PNSt15iterator_traitsISK_E10value_typeET2_T3_PNSL_ISQ_E10value_typeET4_jRbjT5_SW_jjP12ihipStream_tbEUlT_E1_NS1_11comp_targetILNS1_3genE2ELNS1_11target_archE906ELNS1_3gpuE6ELNS1_3repE0EEENS1_59segmented_radix_sort_warp_sort_small_config_static_selectorELNS0_4arch9wavefront6targetE1EEEvSK_,"axG",@progbits,_ZN7rocprim17ROCPRIM_400000_NS6detail17trampoline_kernelINS0_14default_configENS1_36segmented_radix_sort_config_selectorIslEEZNS1_25segmented_radix_sort_implIS3_Lb1EPKsPsPKlPlN2at6native12_GLOBAL__N_18offset_tEEE10hipError_tPvRmT1_PNSt15iterator_traitsISK_E10value_typeET2_T3_PNSL_ISQ_E10value_typeET4_jRbjT5_SW_jjP12ihipStream_tbEUlT_E1_NS1_11comp_targetILNS1_3genE2ELNS1_11target_archE906ELNS1_3gpuE6ELNS1_3repE0EEENS1_59segmented_radix_sort_warp_sort_small_config_static_selectorELNS0_4arch9wavefront6targetE1EEEvSK_,comdat
	.globl	_ZN7rocprim17ROCPRIM_400000_NS6detail17trampoline_kernelINS0_14default_configENS1_36segmented_radix_sort_config_selectorIslEEZNS1_25segmented_radix_sort_implIS3_Lb1EPKsPsPKlPlN2at6native12_GLOBAL__N_18offset_tEEE10hipError_tPvRmT1_PNSt15iterator_traitsISK_E10value_typeET2_T3_PNSL_ISQ_E10value_typeET4_jRbjT5_SW_jjP12ihipStream_tbEUlT_E1_NS1_11comp_targetILNS1_3genE2ELNS1_11target_archE906ELNS1_3gpuE6ELNS1_3repE0EEENS1_59segmented_radix_sort_warp_sort_small_config_static_selectorELNS0_4arch9wavefront6targetE1EEEvSK_ ; -- Begin function _ZN7rocprim17ROCPRIM_400000_NS6detail17trampoline_kernelINS0_14default_configENS1_36segmented_radix_sort_config_selectorIslEEZNS1_25segmented_radix_sort_implIS3_Lb1EPKsPsPKlPlN2at6native12_GLOBAL__N_18offset_tEEE10hipError_tPvRmT1_PNSt15iterator_traitsISK_E10value_typeET2_T3_PNSL_ISQ_E10value_typeET4_jRbjT5_SW_jjP12ihipStream_tbEUlT_E1_NS1_11comp_targetILNS1_3genE2ELNS1_11target_archE906ELNS1_3gpuE6ELNS1_3repE0EEENS1_59segmented_radix_sort_warp_sort_small_config_static_selectorELNS0_4arch9wavefront6targetE1EEEvSK_
	.p2align	8
	.type	_ZN7rocprim17ROCPRIM_400000_NS6detail17trampoline_kernelINS0_14default_configENS1_36segmented_radix_sort_config_selectorIslEEZNS1_25segmented_radix_sort_implIS3_Lb1EPKsPsPKlPlN2at6native12_GLOBAL__N_18offset_tEEE10hipError_tPvRmT1_PNSt15iterator_traitsISK_E10value_typeET2_T3_PNSL_ISQ_E10value_typeET4_jRbjT5_SW_jjP12ihipStream_tbEUlT_E1_NS1_11comp_targetILNS1_3genE2ELNS1_11target_archE906ELNS1_3gpuE6ELNS1_3repE0EEENS1_59segmented_radix_sort_warp_sort_small_config_static_selectorELNS0_4arch9wavefront6targetE1EEEvSK_,@function
_ZN7rocprim17ROCPRIM_400000_NS6detail17trampoline_kernelINS0_14default_configENS1_36segmented_radix_sort_config_selectorIslEEZNS1_25segmented_radix_sort_implIS3_Lb1EPKsPsPKlPlN2at6native12_GLOBAL__N_18offset_tEEE10hipError_tPvRmT1_PNSt15iterator_traitsISK_E10value_typeET2_T3_PNSL_ISQ_E10value_typeET4_jRbjT5_SW_jjP12ihipStream_tbEUlT_E1_NS1_11comp_targetILNS1_3genE2ELNS1_11target_archE906ELNS1_3gpuE6ELNS1_3repE0EEENS1_59segmented_radix_sort_warp_sort_small_config_static_selectorELNS0_4arch9wavefront6targetE1EEEvSK_: ; @_ZN7rocprim17ROCPRIM_400000_NS6detail17trampoline_kernelINS0_14default_configENS1_36segmented_radix_sort_config_selectorIslEEZNS1_25segmented_radix_sort_implIS3_Lb1EPKsPsPKlPlN2at6native12_GLOBAL__N_18offset_tEEE10hipError_tPvRmT1_PNSt15iterator_traitsISK_E10value_typeET2_T3_PNSL_ISQ_E10value_typeET4_jRbjT5_SW_jjP12ihipStream_tbEUlT_E1_NS1_11comp_targetILNS1_3genE2ELNS1_11target_archE906ELNS1_3gpuE6ELNS1_3repE0EEENS1_59segmented_radix_sort_warp_sort_small_config_static_selectorELNS0_4arch9wavefront6targetE1EEEvSK_
; %bb.0:
	s_add_u32 s0, s0, s8
	s_load_dword s8, s[4:5], 0x64
	s_addc_u32 s1, s1, 0
	s_mov_b32 s32, 0
	s_waitcnt lgkmcnt(0)
	s_lshr_b32 s9, s8, 16
	s_and_b32 s8, s8, 0xffff
	v_mad_u32_u24 v3, v2, s9, v1
	v_mad_u64_u32 v[3:4], s[8:9], v3, s8, v[0:1]
	s_load_dword s8, s[4:5], 0x34
	v_lshrrev_b32_e32 v3, 3, v3
	v_lshl_add_u32 v3, s6, 5, v3
	s_waitcnt lgkmcnt(0)
	v_cmp_gt_u32_e32 vcc, s8, v3
	s_and_saveexec_b64 s[8:9], vcc
	s_cbranch_execz .LBB936_6
; %bb.1:
	s_load_dwordx2 s[12:13], s[4:5], 0x38
	s_load_dwordx4 s[8:11], s[4:5], 0x40
	v_mov_b32_e32 v4, 0
	v_lshlrev_b64 v[3:4], 2, v[3:4]
	s_waitcnt lgkmcnt(0)
	v_mov_b32_e32 v5, s13
	v_sub_co_u32_e32 v3, vcc, s12, v3
	v_subb_co_u32_e32 v4, vcc, v5, v4, vcc
	global_load_dword v3, v[3:4], off offset:-4
	s_waitcnt vmcnt(0)
	v_add_u32_e32 v4, s9, v3
	v_add_u32_e32 v3, s11, v3
	v_mul_lo_u32 v40, v4, s8
	v_mul_lo_u32 v41, v3, s10
	v_cmp_gt_u32_e32 vcc, v41, v40
	s_and_b64 exec, exec, vcc
	s_cbranch_execz .LBB936_6
; %bb.2:
	s_load_dword s10, s[4:5], 0x30
	s_load_dwordx4 s[44:47], s[4:5], 0x20
	s_load_dwordx8 s[36:43], s[4:5], 0x0
	s_load_dwordx2 s[34:35], s[4:5], 0x50
	s_mov_b64 s[8:9], -1
	s_waitcnt lgkmcnt(0)
	s_bitcmp0_b32 s10, 0
	v_lshlrev_b32_e32 v43, 20, v2
	v_lshlrev_b32_e32 v44, 10, v1
	s_cbranch_scc0 .LBB936_4
; %bb.3:
	s_add_u32 s8, s4, 0x58
	s_mov_b64 s[10:11], src_shared_base
	s_addc_u32 s9, s5, 0
	s_getpc_b64 s[14:15]
	s_add_u32 s14, s14, _ZN7rocprim17ROCPRIM_400000_NS6detail26segmented_warp_sort_helperINS1_20WarpSortHelperConfigILj8ELj4ELj256EEEslLi256ELb1EvE4sortIPKsPsPKlPlEEvT_T0_T1_T2_jjjjRNS5_12storage_typeE@rel32@lo+4
	s_addc_u32 s15, s15, _ZN7rocprim17ROCPRIM_400000_NS6detail26segmented_warp_sort_helperINS1_20WarpSortHelperConfigILj8ELj4ELj256EEEslLi256ELb1EvE4sortIPKsPsPKlPlEEvT_T0_T1_T2_jjjjRNS5_12storage_typeE@rel32@hi+12
	v_or3_b32 v31, v0, v44, v43
	s_mov_b32 s12, s6
	s_mov_b32 s13, s7
	v_mov_b32_e32 v42, v0
	v_mov_b32_e32 v0, s36
	;; [unrolled: 1-line block ×15, first 2 shown]
	s_mov_b64 s[38:39], s[4:5]
	s_mov_b32 s44, s7
	s_mov_b32 s33, s6
	s_swappc_b64 s[30:31], s[14:15]
	v_mov_b32_e32 v0, v42
	s_mov_b32 s6, s33
	s_mov_b32 s7, s44
	s_mov_b64 s[4:5], s[38:39]
	s_mov_b64 s[8:9], 0
.LBB936_4:
	s_andn2_b64 vcc, exec, s[8:9]
	s_cbranch_vccnz .LBB936_6
; %bb.5:
	s_add_u32 s8, s4, 0x58
	s_mov_b64 s[10:11], src_shared_base
	s_addc_u32 s9, s5, 0
	s_getpc_b64 s[4:5]
	s_add_u32 s4, s4, _ZN7rocprim17ROCPRIM_400000_NS6detail26segmented_warp_sort_helperINS1_20WarpSortHelperConfigILj8ELj4ELj256EEEslLi256ELb1EvE4sortIPKsPsPKlPlEEvT_T0_T1_T2_jjjjRNS5_12storage_typeE@rel32@lo+4
	s_addc_u32 s5, s5, _ZN7rocprim17ROCPRIM_400000_NS6detail26segmented_warp_sort_helperINS1_20WarpSortHelperConfigILj8ELj4ELj256EEEslLi256ELb1EvE4sortIPKsPsPKlPlEEvT_T0_T1_T2_jjjjRNS5_12storage_typeE@rel32@hi+12
	v_or3_b32 v31, v0, v44, v43
	s_mov_b32 s12, s6
	s_mov_b32 s13, s7
	v_mov_b32_e32 v0, s36
	v_mov_b32_e32 v1, s37
	;; [unrolled: 1-line block ×14, first 2 shown]
	s_swappc_b64 s[30:31], s[4:5]
.LBB936_6:
	s_endpgm
	.section	.rodata,"a",@progbits
	.p2align	6, 0x0
	.amdhsa_kernel _ZN7rocprim17ROCPRIM_400000_NS6detail17trampoline_kernelINS0_14default_configENS1_36segmented_radix_sort_config_selectorIslEEZNS1_25segmented_radix_sort_implIS3_Lb1EPKsPsPKlPlN2at6native12_GLOBAL__N_18offset_tEEE10hipError_tPvRmT1_PNSt15iterator_traitsISK_E10value_typeET2_T3_PNSL_ISQ_E10value_typeET4_jRbjT5_SW_jjP12ihipStream_tbEUlT_E1_NS1_11comp_targetILNS1_3genE2ELNS1_11target_archE906ELNS1_3gpuE6ELNS1_3repE0EEENS1_59segmented_radix_sort_warp_sort_small_config_static_selectorELNS0_4arch9wavefront6targetE1EEEvSK_
		.amdhsa_group_segment_fixed_size 10240
		.amdhsa_private_segment_fixed_size 0
		.amdhsa_kernarg_size 344
		.amdhsa_user_sgpr_count 6
		.amdhsa_user_sgpr_private_segment_buffer 1
		.amdhsa_user_sgpr_dispatch_ptr 0
		.amdhsa_user_sgpr_queue_ptr 0
		.amdhsa_user_sgpr_kernarg_segment_ptr 1
		.amdhsa_user_sgpr_dispatch_id 0
		.amdhsa_user_sgpr_flat_scratch_init 0
		.amdhsa_user_sgpr_private_segment_size 0
		.amdhsa_uses_dynamic_stack 0
		.amdhsa_system_sgpr_private_segment_wavefront_offset 0
		.amdhsa_system_sgpr_workgroup_id_x 1
		.amdhsa_system_sgpr_workgroup_id_y 1
		.amdhsa_system_sgpr_workgroup_id_z 0
		.amdhsa_system_sgpr_workgroup_info 0
		.amdhsa_system_vgpr_workitem_id 2
		.amdhsa_next_free_vgpr 56
		.amdhsa_next_free_sgpr 93
		.amdhsa_reserve_vcc 1
		.amdhsa_reserve_flat_scratch 0
		.amdhsa_float_round_mode_32 0
		.amdhsa_float_round_mode_16_64 0
		.amdhsa_float_denorm_mode_32 3
		.amdhsa_float_denorm_mode_16_64 3
		.amdhsa_dx10_clamp 1
		.amdhsa_ieee_mode 1
		.amdhsa_fp16_overflow 0
		.amdhsa_exception_fp_ieee_invalid_op 0
		.amdhsa_exception_fp_denorm_src 0
		.amdhsa_exception_fp_ieee_div_zero 0
		.amdhsa_exception_fp_ieee_overflow 0
		.amdhsa_exception_fp_ieee_underflow 0
		.amdhsa_exception_fp_ieee_inexact 0
		.amdhsa_exception_int_div_zero 0
	.end_amdhsa_kernel
	.section	.text._ZN7rocprim17ROCPRIM_400000_NS6detail17trampoline_kernelINS0_14default_configENS1_36segmented_radix_sort_config_selectorIslEEZNS1_25segmented_radix_sort_implIS3_Lb1EPKsPsPKlPlN2at6native12_GLOBAL__N_18offset_tEEE10hipError_tPvRmT1_PNSt15iterator_traitsISK_E10value_typeET2_T3_PNSL_ISQ_E10value_typeET4_jRbjT5_SW_jjP12ihipStream_tbEUlT_E1_NS1_11comp_targetILNS1_3genE2ELNS1_11target_archE906ELNS1_3gpuE6ELNS1_3repE0EEENS1_59segmented_radix_sort_warp_sort_small_config_static_selectorELNS0_4arch9wavefront6targetE1EEEvSK_,"axG",@progbits,_ZN7rocprim17ROCPRIM_400000_NS6detail17trampoline_kernelINS0_14default_configENS1_36segmented_radix_sort_config_selectorIslEEZNS1_25segmented_radix_sort_implIS3_Lb1EPKsPsPKlPlN2at6native12_GLOBAL__N_18offset_tEEE10hipError_tPvRmT1_PNSt15iterator_traitsISK_E10value_typeET2_T3_PNSL_ISQ_E10value_typeET4_jRbjT5_SW_jjP12ihipStream_tbEUlT_E1_NS1_11comp_targetILNS1_3genE2ELNS1_11target_archE906ELNS1_3gpuE6ELNS1_3repE0EEENS1_59segmented_radix_sort_warp_sort_small_config_static_selectorELNS0_4arch9wavefront6targetE1EEEvSK_,comdat
.Lfunc_end936:
	.size	_ZN7rocprim17ROCPRIM_400000_NS6detail17trampoline_kernelINS0_14default_configENS1_36segmented_radix_sort_config_selectorIslEEZNS1_25segmented_radix_sort_implIS3_Lb1EPKsPsPKlPlN2at6native12_GLOBAL__N_18offset_tEEE10hipError_tPvRmT1_PNSt15iterator_traitsISK_E10value_typeET2_T3_PNSL_ISQ_E10value_typeET4_jRbjT5_SW_jjP12ihipStream_tbEUlT_E1_NS1_11comp_targetILNS1_3genE2ELNS1_11target_archE906ELNS1_3gpuE6ELNS1_3repE0EEENS1_59segmented_radix_sort_warp_sort_small_config_static_selectorELNS0_4arch9wavefront6targetE1EEEvSK_, .Lfunc_end936-_ZN7rocprim17ROCPRIM_400000_NS6detail17trampoline_kernelINS0_14default_configENS1_36segmented_radix_sort_config_selectorIslEEZNS1_25segmented_radix_sort_implIS3_Lb1EPKsPsPKlPlN2at6native12_GLOBAL__N_18offset_tEEE10hipError_tPvRmT1_PNSt15iterator_traitsISK_E10value_typeET2_T3_PNSL_ISQ_E10value_typeET4_jRbjT5_SW_jjP12ihipStream_tbEUlT_E1_NS1_11comp_targetILNS1_3genE2ELNS1_11target_archE906ELNS1_3gpuE6ELNS1_3repE0EEENS1_59segmented_radix_sort_warp_sort_small_config_static_selectorELNS0_4arch9wavefront6targetE1EEEvSK_
                                        ; -- End function
	.set _ZN7rocprim17ROCPRIM_400000_NS6detail17trampoline_kernelINS0_14default_configENS1_36segmented_radix_sort_config_selectorIslEEZNS1_25segmented_radix_sort_implIS3_Lb1EPKsPsPKlPlN2at6native12_GLOBAL__N_18offset_tEEE10hipError_tPvRmT1_PNSt15iterator_traitsISK_E10value_typeET2_T3_PNSL_ISQ_E10value_typeET4_jRbjT5_SW_jjP12ihipStream_tbEUlT_E1_NS1_11comp_targetILNS1_3genE2ELNS1_11target_archE906ELNS1_3gpuE6ELNS1_3repE0EEENS1_59segmented_radix_sort_warp_sort_small_config_static_selectorELNS0_4arch9wavefront6targetE1EEEvSK_.num_vgpr, max(45, .L_ZN7rocprim17ROCPRIM_400000_NS6detail26segmented_warp_sort_helperINS1_20WarpSortHelperConfigILj8ELj4ELj256EEEslLi256ELb1EvE4sortIPKsPsPKlPlEEvT_T0_T1_T2_jjjjRNS5_12storage_typeE.num_vgpr)
	.set _ZN7rocprim17ROCPRIM_400000_NS6detail17trampoline_kernelINS0_14default_configENS1_36segmented_radix_sort_config_selectorIslEEZNS1_25segmented_radix_sort_implIS3_Lb1EPKsPsPKlPlN2at6native12_GLOBAL__N_18offset_tEEE10hipError_tPvRmT1_PNSt15iterator_traitsISK_E10value_typeET2_T3_PNSL_ISQ_E10value_typeET4_jRbjT5_SW_jjP12ihipStream_tbEUlT_E1_NS1_11comp_targetILNS1_3genE2ELNS1_11target_archE906ELNS1_3gpuE6ELNS1_3repE0EEENS1_59segmented_radix_sort_warp_sort_small_config_static_selectorELNS0_4arch9wavefront6targetE1EEEvSK_.num_agpr, max(0, .L_ZN7rocprim17ROCPRIM_400000_NS6detail26segmented_warp_sort_helperINS1_20WarpSortHelperConfigILj8ELj4ELj256EEEslLi256ELb1EvE4sortIPKsPsPKlPlEEvT_T0_T1_T2_jjjjRNS5_12storage_typeE.num_agpr)
	.set _ZN7rocprim17ROCPRIM_400000_NS6detail17trampoline_kernelINS0_14default_configENS1_36segmented_radix_sort_config_selectorIslEEZNS1_25segmented_radix_sort_implIS3_Lb1EPKsPsPKlPlN2at6native12_GLOBAL__N_18offset_tEEE10hipError_tPvRmT1_PNSt15iterator_traitsISK_E10value_typeET2_T3_PNSL_ISQ_E10value_typeET4_jRbjT5_SW_jjP12ihipStream_tbEUlT_E1_NS1_11comp_targetILNS1_3genE2ELNS1_11target_archE906ELNS1_3gpuE6ELNS1_3repE0EEENS1_59segmented_radix_sort_warp_sort_small_config_static_selectorELNS0_4arch9wavefront6targetE1EEEvSK_.numbered_sgpr, max(48, .L_ZN7rocprim17ROCPRIM_400000_NS6detail26segmented_warp_sort_helperINS1_20WarpSortHelperConfigILj8ELj4ELj256EEEslLi256ELb1EvE4sortIPKsPsPKlPlEEvT_T0_T1_T2_jjjjRNS5_12storage_typeE.numbered_sgpr)
	.set _ZN7rocprim17ROCPRIM_400000_NS6detail17trampoline_kernelINS0_14default_configENS1_36segmented_radix_sort_config_selectorIslEEZNS1_25segmented_radix_sort_implIS3_Lb1EPKsPsPKlPlN2at6native12_GLOBAL__N_18offset_tEEE10hipError_tPvRmT1_PNSt15iterator_traitsISK_E10value_typeET2_T3_PNSL_ISQ_E10value_typeET4_jRbjT5_SW_jjP12ihipStream_tbEUlT_E1_NS1_11comp_targetILNS1_3genE2ELNS1_11target_archE906ELNS1_3gpuE6ELNS1_3repE0EEENS1_59segmented_radix_sort_warp_sort_small_config_static_selectorELNS0_4arch9wavefront6targetE1EEEvSK_.num_named_barrier, max(0, .L_ZN7rocprim17ROCPRIM_400000_NS6detail26segmented_warp_sort_helperINS1_20WarpSortHelperConfigILj8ELj4ELj256EEEslLi256ELb1EvE4sortIPKsPsPKlPlEEvT_T0_T1_T2_jjjjRNS5_12storage_typeE.num_named_barrier)
	.set _ZN7rocprim17ROCPRIM_400000_NS6detail17trampoline_kernelINS0_14default_configENS1_36segmented_radix_sort_config_selectorIslEEZNS1_25segmented_radix_sort_implIS3_Lb1EPKsPsPKlPlN2at6native12_GLOBAL__N_18offset_tEEE10hipError_tPvRmT1_PNSt15iterator_traitsISK_E10value_typeET2_T3_PNSL_ISQ_E10value_typeET4_jRbjT5_SW_jjP12ihipStream_tbEUlT_E1_NS1_11comp_targetILNS1_3genE2ELNS1_11target_archE906ELNS1_3gpuE6ELNS1_3repE0EEENS1_59segmented_radix_sort_warp_sort_small_config_static_selectorELNS0_4arch9wavefront6targetE1EEEvSK_.private_seg_size, 0+max(.L_ZN7rocprim17ROCPRIM_400000_NS6detail26segmented_warp_sort_helperINS1_20WarpSortHelperConfigILj8ELj4ELj256EEEslLi256ELb1EvE4sortIPKsPsPKlPlEEvT_T0_T1_T2_jjjjRNS5_12storage_typeE.private_seg_size)
	.set _ZN7rocprim17ROCPRIM_400000_NS6detail17trampoline_kernelINS0_14default_configENS1_36segmented_radix_sort_config_selectorIslEEZNS1_25segmented_radix_sort_implIS3_Lb1EPKsPsPKlPlN2at6native12_GLOBAL__N_18offset_tEEE10hipError_tPvRmT1_PNSt15iterator_traitsISK_E10value_typeET2_T3_PNSL_ISQ_E10value_typeET4_jRbjT5_SW_jjP12ihipStream_tbEUlT_E1_NS1_11comp_targetILNS1_3genE2ELNS1_11target_archE906ELNS1_3gpuE6ELNS1_3repE0EEENS1_59segmented_radix_sort_warp_sort_small_config_static_selectorELNS0_4arch9wavefront6targetE1EEEvSK_.uses_vcc, or(1, .L_ZN7rocprim17ROCPRIM_400000_NS6detail26segmented_warp_sort_helperINS1_20WarpSortHelperConfigILj8ELj4ELj256EEEslLi256ELb1EvE4sortIPKsPsPKlPlEEvT_T0_T1_T2_jjjjRNS5_12storage_typeE.uses_vcc)
	.set _ZN7rocprim17ROCPRIM_400000_NS6detail17trampoline_kernelINS0_14default_configENS1_36segmented_radix_sort_config_selectorIslEEZNS1_25segmented_radix_sort_implIS3_Lb1EPKsPsPKlPlN2at6native12_GLOBAL__N_18offset_tEEE10hipError_tPvRmT1_PNSt15iterator_traitsISK_E10value_typeET2_T3_PNSL_ISQ_E10value_typeET4_jRbjT5_SW_jjP12ihipStream_tbEUlT_E1_NS1_11comp_targetILNS1_3genE2ELNS1_11target_archE906ELNS1_3gpuE6ELNS1_3repE0EEENS1_59segmented_radix_sort_warp_sort_small_config_static_selectorELNS0_4arch9wavefront6targetE1EEEvSK_.uses_flat_scratch, or(0, .L_ZN7rocprim17ROCPRIM_400000_NS6detail26segmented_warp_sort_helperINS1_20WarpSortHelperConfigILj8ELj4ELj256EEEslLi256ELb1EvE4sortIPKsPsPKlPlEEvT_T0_T1_T2_jjjjRNS5_12storage_typeE.uses_flat_scratch)
	.set _ZN7rocprim17ROCPRIM_400000_NS6detail17trampoline_kernelINS0_14default_configENS1_36segmented_radix_sort_config_selectorIslEEZNS1_25segmented_radix_sort_implIS3_Lb1EPKsPsPKlPlN2at6native12_GLOBAL__N_18offset_tEEE10hipError_tPvRmT1_PNSt15iterator_traitsISK_E10value_typeET2_T3_PNSL_ISQ_E10value_typeET4_jRbjT5_SW_jjP12ihipStream_tbEUlT_E1_NS1_11comp_targetILNS1_3genE2ELNS1_11target_archE906ELNS1_3gpuE6ELNS1_3repE0EEENS1_59segmented_radix_sort_warp_sort_small_config_static_selectorELNS0_4arch9wavefront6targetE1EEEvSK_.has_dyn_sized_stack, or(0, .L_ZN7rocprim17ROCPRIM_400000_NS6detail26segmented_warp_sort_helperINS1_20WarpSortHelperConfigILj8ELj4ELj256EEEslLi256ELb1EvE4sortIPKsPsPKlPlEEvT_T0_T1_T2_jjjjRNS5_12storage_typeE.has_dyn_sized_stack)
	.set _ZN7rocprim17ROCPRIM_400000_NS6detail17trampoline_kernelINS0_14default_configENS1_36segmented_radix_sort_config_selectorIslEEZNS1_25segmented_radix_sort_implIS3_Lb1EPKsPsPKlPlN2at6native12_GLOBAL__N_18offset_tEEE10hipError_tPvRmT1_PNSt15iterator_traitsISK_E10value_typeET2_T3_PNSL_ISQ_E10value_typeET4_jRbjT5_SW_jjP12ihipStream_tbEUlT_E1_NS1_11comp_targetILNS1_3genE2ELNS1_11target_archE906ELNS1_3gpuE6ELNS1_3repE0EEENS1_59segmented_radix_sort_warp_sort_small_config_static_selectorELNS0_4arch9wavefront6targetE1EEEvSK_.has_recursion, or(0, .L_ZN7rocprim17ROCPRIM_400000_NS6detail26segmented_warp_sort_helperINS1_20WarpSortHelperConfigILj8ELj4ELj256EEEslLi256ELb1EvE4sortIPKsPsPKlPlEEvT_T0_T1_T2_jjjjRNS5_12storage_typeE.has_recursion)
	.set _ZN7rocprim17ROCPRIM_400000_NS6detail17trampoline_kernelINS0_14default_configENS1_36segmented_radix_sort_config_selectorIslEEZNS1_25segmented_radix_sort_implIS3_Lb1EPKsPsPKlPlN2at6native12_GLOBAL__N_18offset_tEEE10hipError_tPvRmT1_PNSt15iterator_traitsISK_E10value_typeET2_T3_PNSL_ISQ_E10value_typeET4_jRbjT5_SW_jjP12ihipStream_tbEUlT_E1_NS1_11comp_targetILNS1_3genE2ELNS1_11target_archE906ELNS1_3gpuE6ELNS1_3repE0EEENS1_59segmented_radix_sort_warp_sort_small_config_static_selectorELNS0_4arch9wavefront6targetE1EEEvSK_.has_indirect_call, or(0, .L_ZN7rocprim17ROCPRIM_400000_NS6detail26segmented_warp_sort_helperINS1_20WarpSortHelperConfigILj8ELj4ELj256EEEslLi256ELb1EvE4sortIPKsPsPKlPlEEvT_T0_T1_T2_jjjjRNS5_12storage_typeE.has_indirect_call)
	.section	.AMDGPU.csdata,"",@progbits
; Kernel info:
; codeLenInByte = 508
; TotalNumSgprs: 52
; NumVgprs: 56
; ScratchSize: 0
; MemoryBound: 0
; FloatMode: 240
; IeeeMode: 1
; LDSByteSize: 10240 bytes/workgroup (compile time only)
; SGPRBlocks: 12
; VGPRBlocks: 13
; NumSGPRsForWavesPerEU: 97
; NumVGPRsForWavesPerEU: 56
; Occupancy: 4
; WaveLimiterHint : 0
; COMPUTE_PGM_RSRC2:SCRATCH_EN: 0
; COMPUTE_PGM_RSRC2:USER_SGPR: 6
; COMPUTE_PGM_RSRC2:TRAP_HANDLER: 0
; COMPUTE_PGM_RSRC2:TGID_X_EN: 1
; COMPUTE_PGM_RSRC2:TGID_Y_EN: 1
; COMPUTE_PGM_RSRC2:TGID_Z_EN: 0
; COMPUTE_PGM_RSRC2:TIDIG_COMP_CNT: 2
	.section	.text._ZN7rocprim17ROCPRIM_400000_NS6detail17trampoline_kernelINS0_14default_configENS1_36segmented_radix_sort_config_selectorIslEEZNS1_25segmented_radix_sort_implIS3_Lb1EPKsPsPKlPlN2at6native12_GLOBAL__N_18offset_tEEE10hipError_tPvRmT1_PNSt15iterator_traitsISK_E10value_typeET2_T3_PNSL_ISQ_E10value_typeET4_jRbjT5_SW_jjP12ihipStream_tbEUlT_E1_NS1_11comp_targetILNS1_3genE10ELNS1_11target_archE1201ELNS1_3gpuE5ELNS1_3repE0EEENS1_59segmented_radix_sort_warp_sort_small_config_static_selectorELNS0_4arch9wavefront6targetE1EEEvSK_,"axG",@progbits,_ZN7rocprim17ROCPRIM_400000_NS6detail17trampoline_kernelINS0_14default_configENS1_36segmented_radix_sort_config_selectorIslEEZNS1_25segmented_radix_sort_implIS3_Lb1EPKsPsPKlPlN2at6native12_GLOBAL__N_18offset_tEEE10hipError_tPvRmT1_PNSt15iterator_traitsISK_E10value_typeET2_T3_PNSL_ISQ_E10value_typeET4_jRbjT5_SW_jjP12ihipStream_tbEUlT_E1_NS1_11comp_targetILNS1_3genE10ELNS1_11target_archE1201ELNS1_3gpuE5ELNS1_3repE0EEENS1_59segmented_radix_sort_warp_sort_small_config_static_selectorELNS0_4arch9wavefront6targetE1EEEvSK_,comdat
	.globl	_ZN7rocprim17ROCPRIM_400000_NS6detail17trampoline_kernelINS0_14default_configENS1_36segmented_radix_sort_config_selectorIslEEZNS1_25segmented_radix_sort_implIS3_Lb1EPKsPsPKlPlN2at6native12_GLOBAL__N_18offset_tEEE10hipError_tPvRmT1_PNSt15iterator_traitsISK_E10value_typeET2_T3_PNSL_ISQ_E10value_typeET4_jRbjT5_SW_jjP12ihipStream_tbEUlT_E1_NS1_11comp_targetILNS1_3genE10ELNS1_11target_archE1201ELNS1_3gpuE5ELNS1_3repE0EEENS1_59segmented_radix_sort_warp_sort_small_config_static_selectorELNS0_4arch9wavefront6targetE1EEEvSK_ ; -- Begin function _ZN7rocprim17ROCPRIM_400000_NS6detail17trampoline_kernelINS0_14default_configENS1_36segmented_radix_sort_config_selectorIslEEZNS1_25segmented_radix_sort_implIS3_Lb1EPKsPsPKlPlN2at6native12_GLOBAL__N_18offset_tEEE10hipError_tPvRmT1_PNSt15iterator_traitsISK_E10value_typeET2_T3_PNSL_ISQ_E10value_typeET4_jRbjT5_SW_jjP12ihipStream_tbEUlT_E1_NS1_11comp_targetILNS1_3genE10ELNS1_11target_archE1201ELNS1_3gpuE5ELNS1_3repE0EEENS1_59segmented_radix_sort_warp_sort_small_config_static_selectorELNS0_4arch9wavefront6targetE1EEEvSK_
	.p2align	8
	.type	_ZN7rocprim17ROCPRIM_400000_NS6detail17trampoline_kernelINS0_14default_configENS1_36segmented_radix_sort_config_selectorIslEEZNS1_25segmented_radix_sort_implIS3_Lb1EPKsPsPKlPlN2at6native12_GLOBAL__N_18offset_tEEE10hipError_tPvRmT1_PNSt15iterator_traitsISK_E10value_typeET2_T3_PNSL_ISQ_E10value_typeET4_jRbjT5_SW_jjP12ihipStream_tbEUlT_E1_NS1_11comp_targetILNS1_3genE10ELNS1_11target_archE1201ELNS1_3gpuE5ELNS1_3repE0EEENS1_59segmented_radix_sort_warp_sort_small_config_static_selectorELNS0_4arch9wavefront6targetE1EEEvSK_,@function
_ZN7rocprim17ROCPRIM_400000_NS6detail17trampoline_kernelINS0_14default_configENS1_36segmented_radix_sort_config_selectorIslEEZNS1_25segmented_radix_sort_implIS3_Lb1EPKsPsPKlPlN2at6native12_GLOBAL__N_18offset_tEEE10hipError_tPvRmT1_PNSt15iterator_traitsISK_E10value_typeET2_T3_PNSL_ISQ_E10value_typeET4_jRbjT5_SW_jjP12ihipStream_tbEUlT_E1_NS1_11comp_targetILNS1_3genE10ELNS1_11target_archE1201ELNS1_3gpuE5ELNS1_3repE0EEENS1_59segmented_radix_sort_warp_sort_small_config_static_selectorELNS0_4arch9wavefront6targetE1EEEvSK_: ; @_ZN7rocprim17ROCPRIM_400000_NS6detail17trampoline_kernelINS0_14default_configENS1_36segmented_radix_sort_config_selectorIslEEZNS1_25segmented_radix_sort_implIS3_Lb1EPKsPsPKlPlN2at6native12_GLOBAL__N_18offset_tEEE10hipError_tPvRmT1_PNSt15iterator_traitsISK_E10value_typeET2_T3_PNSL_ISQ_E10value_typeET4_jRbjT5_SW_jjP12ihipStream_tbEUlT_E1_NS1_11comp_targetILNS1_3genE10ELNS1_11target_archE1201ELNS1_3gpuE5ELNS1_3repE0EEENS1_59segmented_radix_sort_warp_sort_small_config_static_selectorELNS0_4arch9wavefront6targetE1EEEvSK_
; %bb.0:
	.section	.rodata,"a",@progbits
	.p2align	6, 0x0
	.amdhsa_kernel _ZN7rocprim17ROCPRIM_400000_NS6detail17trampoline_kernelINS0_14default_configENS1_36segmented_radix_sort_config_selectorIslEEZNS1_25segmented_radix_sort_implIS3_Lb1EPKsPsPKlPlN2at6native12_GLOBAL__N_18offset_tEEE10hipError_tPvRmT1_PNSt15iterator_traitsISK_E10value_typeET2_T3_PNSL_ISQ_E10value_typeET4_jRbjT5_SW_jjP12ihipStream_tbEUlT_E1_NS1_11comp_targetILNS1_3genE10ELNS1_11target_archE1201ELNS1_3gpuE5ELNS1_3repE0EEENS1_59segmented_radix_sort_warp_sort_small_config_static_selectorELNS0_4arch9wavefront6targetE1EEEvSK_
		.amdhsa_group_segment_fixed_size 0
		.amdhsa_private_segment_fixed_size 0
		.amdhsa_kernarg_size 88
		.amdhsa_user_sgpr_count 6
		.amdhsa_user_sgpr_private_segment_buffer 1
		.amdhsa_user_sgpr_dispatch_ptr 0
		.amdhsa_user_sgpr_queue_ptr 0
		.amdhsa_user_sgpr_kernarg_segment_ptr 1
		.amdhsa_user_sgpr_dispatch_id 0
		.amdhsa_user_sgpr_flat_scratch_init 0
		.amdhsa_user_sgpr_private_segment_size 0
		.amdhsa_uses_dynamic_stack 0
		.amdhsa_system_sgpr_private_segment_wavefront_offset 0
		.amdhsa_system_sgpr_workgroup_id_x 1
		.amdhsa_system_sgpr_workgroup_id_y 0
		.amdhsa_system_sgpr_workgroup_id_z 0
		.amdhsa_system_sgpr_workgroup_info 0
		.amdhsa_system_vgpr_workitem_id 0
		.amdhsa_next_free_vgpr 1
		.amdhsa_next_free_sgpr 0
		.amdhsa_reserve_vcc 0
		.amdhsa_reserve_flat_scratch 0
		.amdhsa_float_round_mode_32 0
		.amdhsa_float_round_mode_16_64 0
		.amdhsa_float_denorm_mode_32 3
		.amdhsa_float_denorm_mode_16_64 3
		.amdhsa_dx10_clamp 1
		.amdhsa_ieee_mode 1
		.amdhsa_fp16_overflow 0
		.amdhsa_exception_fp_ieee_invalid_op 0
		.amdhsa_exception_fp_denorm_src 0
		.amdhsa_exception_fp_ieee_div_zero 0
		.amdhsa_exception_fp_ieee_overflow 0
		.amdhsa_exception_fp_ieee_underflow 0
		.amdhsa_exception_fp_ieee_inexact 0
		.amdhsa_exception_int_div_zero 0
	.end_amdhsa_kernel
	.section	.text._ZN7rocprim17ROCPRIM_400000_NS6detail17trampoline_kernelINS0_14default_configENS1_36segmented_radix_sort_config_selectorIslEEZNS1_25segmented_radix_sort_implIS3_Lb1EPKsPsPKlPlN2at6native12_GLOBAL__N_18offset_tEEE10hipError_tPvRmT1_PNSt15iterator_traitsISK_E10value_typeET2_T3_PNSL_ISQ_E10value_typeET4_jRbjT5_SW_jjP12ihipStream_tbEUlT_E1_NS1_11comp_targetILNS1_3genE10ELNS1_11target_archE1201ELNS1_3gpuE5ELNS1_3repE0EEENS1_59segmented_radix_sort_warp_sort_small_config_static_selectorELNS0_4arch9wavefront6targetE1EEEvSK_,"axG",@progbits,_ZN7rocprim17ROCPRIM_400000_NS6detail17trampoline_kernelINS0_14default_configENS1_36segmented_radix_sort_config_selectorIslEEZNS1_25segmented_radix_sort_implIS3_Lb1EPKsPsPKlPlN2at6native12_GLOBAL__N_18offset_tEEE10hipError_tPvRmT1_PNSt15iterator_traitsISK_E10value_typeET2_T3_PNSL_ISQ_E10value_typeET4_jRbjT5_SW_jjP12ihipStream_tbEUlT_E1_NS1_11comp_targetILNS1_3genE10ELNS1_11target_archE1201ELNS1_3gpuE5ELNS1_3repE0EEENS1_59segmented_radix_sort_warp_sort_small_config_static_selectorELNS0_4arch9wavefront6targetE1EEEvSK_,comdat
.Lfunc_end937:
	.size	_ZN7rocprim17ROCPRIM_400000_NS6detail17trampoline_kernelINS0_14default_configENS1_36segmented_radix_sort_config_selectorIslEEZNS1_25segmented_radix_sort_implIS3_Lb1EPKsPsPKlPlN2at6native12_GLOBAL__N_18offset_tEEE10hipError_tPvRmT1_PNSt15iterator_traitsISK_E10value_typeET2_T3_PNSL_ISQ_E10value_typeET4_jRbjT5_SW_jjP12ihipStream_tbEUlT_E1_NS1_11comp_targetILNS1_3genE10ELNS1_11target_archE1201ELNS1_3gpuE5ELNS1_3repE0EEENS1_59segmented_radix_sort_warp_sort_small_config_static_selectorELNS0_4arch9wavefront6targetE1EEEvSK_, .Lfunc_end937-_ZN7rocprim17ROCPRIM_400000_NS6detail17trampoline_kernelINS0_14default_configENS1_36segmented_radix_sort_config_selectorIslEEZNS1_25segmented_radix_sort_implIS3_Lb1EPKsPsPKlPlN2at6native12_GLOBAL__N_18offset_tEEE10hipError_tPvRmT1_PNSt15iterator_traitsISK_E10value_typeET2_T3_PNSL_ISQ_E10value_typeET4_jRbjT5_SW_jjP12ihipStream_tbEUlT_E1_NS1_11comp_targetILNS1_3genE10ELNS1_11target_archE1201ELNS1_3gpuE5ELNS1_3repE0EEENS1_59segmented_radix_sort_warp_sort_small_config_static_selectorELNS0_4arch9wavefront6targetE1EEEvSK_
                                        ; -- End function
	.set _ZN7rocprim17ROCPRIM_400000_NS6detail17trampoline_kernelINS0_14default_configENS1_36segmented_radix_sort_config_selectorIslEEZNS1_25segmented_radix_sort_implIS3_Lb1EPKsPsPKlPlN2at6native12_GLOBAL__N_18offset_tEEE10hipError_tPvRmT1_PNSt15iterator_traitsISK_E10value_typeET2_T3_PNSL_ISQ_E10value_typeET4_jRbjT5_SW_jjP12ihipStream_tbEUlT_E1_NS1_11comp_targetILNS1_3genE10ELNS1_11target_archE1201ELNS1_3gpuE5ELNS1_3repE0EEENS1_59segmented_radix_sort_warp_sort_small_config_static_selectorELNS0_4arch9wavefront6targetE1EEEvSK_.num_vgpr, 0
	.set _ZN7rocprim17ROCPRIM_400000_NS6detail17trampoline_kernelINS0_14default_configENS1_36segmented_radix_sort_config_selectorIslEEZNS1_25segmented_radix_sort_implIS3_Lb1EPKsPsPKlPlN2at6native12_GLOBAL__N_18offset_tEEE10hipError_tPvRmT1_PNSt15iterator_traitsISK_E10value_typeET2_T3_PNSL_ISQ_E10value_typeET4_jRbjT5_SW_jjP12ihipStream_tbEUlT_E1_NS1_11comp_targetILNS1_3genE10ELNS1_11target_archE1201ELNS1_3gpuE5ELNS1_3repE0EEENS1_59segmented_radix_sort_warp_sort_small_config_static_selectorELNS0_4arch9wavefront6targetE1EEEvSK_.num_agpr, 0
	.set _ZN7rocprim17ROCPRIM_400000_NS6detail17trampoline_kernelINS0_14default_configENS1_36segmented_radix_sort_config_selectorIslEEZNS1_25segmented_radix_sort_implIS3_Lb1EPKsPsPKlPlN2at6native12_GLOBAL__N_18offset_tEEE10hipError_tPvRmT1_PNSt15iterator_traitsISK_E10value_typeET2_T3_PNSL_ISQ_E10value_typeET4_jRbjT5_SW_jjP12ihipStream_tbEUlT_E1_NS1_11comp_targetILNS1_3genE10ELNS1_11target_archE1201ELNS1_3gpuE5ELNS1_3repE0EEENS1_59segmented_radix_sort_warp_sort_small_config_static_selectorELNS0_4arch9wavefront6targetE1EEEvSK_.numbered_sgpr, 0
	.set _ZN7rocprim17ROCPRIM_400000_NS6detail17trampoline_kernelINS0_14default_configENS1_36segmented_radix_sort_config_selectorIslEEZNS1_25segmented_radix_sort_implIS3_Lb1EPKsPsPKlPlN2at6native12_GLOBAL__N_18offset_tEEE10hipError_tPvRmT1_PNSt15iterator_traitsISK_E10value_typeET2_T3_PNSL_ISQ_E10value_typeET4_jRbjT5_SW_jjP12ihipStream_tbEUlT_E1_NS1_11comp_targetILNS1_3genE10ELNS1_11target_archE1201ELNS1_3gpuE5ELNS1_3repE0EEENS1_59segmented_radix_sort_warp_sort_small_config_static_selectorELNS0_4arch9wavefront6targetE1EEEvSK_.num_named_barrier, 0
	.set _ZN7rocprim17ROCPRIM_400000_NS6detail17trampoline_kernelINS0_14default_configENS1_36segmented_radix_sort_config_selectorIslEEZNS1_25segmented_radix_sort_implIS3_Lb1EPKsPsPKlPlN2at6native12_GLOBAL__N_18offset_tEEE10hipError_tPvRmT1_PNSt15iterator_traitsISK_E10value_typeET2_T3_PNSL_ISQ_E10value_typeET4_jRbjT5_SW_jjP12ihipStream_tbEUlT_E1_NS1_11comp_targetILNS1_3genE10ELNS1_11target_archE1201ELNS1_3gpuE5ELNS1_3repE0EEENS1_59segmented_radix_sort_warp_sort_small_config_static_selectorELNS0_4arch9wavefront6targetE1EEEvSK_.private_seg_size, 0
	.set _ZN7rocprim17ROCPRIM_400000_NS6detail17trampoline_kernelINS0_14default_configENS1_36segmented_radix_sort_config_selectorIslEEZNS1_25segmented_radix_sort_implIS3_Lb1EPKsPsPKlPlN2at6native12_GLOBAL__N_18offset_tEEE10hipError_tPvRmT1_PNSt15iterator_traitsISK_E10value_typeET2_T3_PNSL_ISQ_E10value_typeET4_jRbjT5_SW_jjP12ihipStream_tbEUlT_E1_NS1_11comp_targetILNS1_3genE10ELNS1_11target_archE1201ELNS1_3gpuE5ELNS1_3repE0EEENS1_59segmented_radix_sort_warp_sort_small_config_static_selectorELNS0_4arch9wavefront6targetE1EEEvSK_.uses_vcc, 0
	.set _ZN7rocprim17ROCPRIM_400000_NS6detail17trampoline_kernelINS0_14default_configENS1_36segmented_radix_sort_config_selectorIslEEZNS1_25segmented_radix_sort_implIS3_Lb1EPKsPsPKlPlN2at6native12_GLOBAL__N_18offset_tEEE10hipError_tPvRmT1_PNSt15iterator_traitsISK_E10value_typeET2_T3_PNSL_ISQ_E10value_typeET4_jRbjT5_SW_jjP12ihipStream_tbEUlT_E1_NS1_11comp_targetILNS1_3genE10ELNS1_11target_archE1201ELNS1_3gpuE5ELNS1_3repE0EEENS1_59segmented_radix_sort_warp_sort_small_config_static_selectorELNS0_4arch9wavefront6targetE1EEEvSK_.uses_flat_scratch, 0
	.set _ZN7rocprim17ROCPRIM_400000_NS6detail17trampoline_kernelINS0_14default_configENS1_36segmented_radix_sort_config_selectorIslEEZNS1_25segmented_radix_sort_implIS3_Lb1EPKsPsPKlPlN2at6native12_GLOBAL__N_18offset_tEEE10hipError_tPvRmT1_PNSt15iterator_traitsISK_E10value_typeET2_T3_PNSL_ISQ_E10value_typeET4_jRbjT5_SW_jjP12ihipStream_tbEUlT_E1_NS1_11comp_targetILNS1_3genE10ELNS1_11target_archE1201ELNS1_3gpuE5ELNS1_3repE0EEENS1_59segmented_radix_sort_warp_sort_small_config_static_selectorELNS0_4arch9wavefront6targetE1EEEvSK_.has_dyn_sized_stack, 0
	.set _ZN7rocprim17ROCPRIM_400000_NS6detail17trampoline_kernelINS0_14default_configENS1_36segmented_radix_sort_config_selectorIslEEZNS1_25segmented_radix_sort_implIS3_Lb1EPKsPsPKlPlN2at6native12_GLOBAL__N_18offset_tEEE10hipError_tPvRmT1_PNSt15iterator_traitsISK_E10value_typeET2_T3_PNSL_ISQ_E10value_typeET4_jRbjT5_SW_jjP12ihipStream_tbEUlT_E1_NS1_11comp_targetILNS1_3genE10ELNS1_11target_archE1201ELNS1_3gpuE5ELNS1_3repE0EEENS1_59segmented_radix_sort_warp_sort_small_config_static_selectorELNS0_4arch9wavefront6targetE1EEEvSK_.has_recursion, 0
	.set _ZN7rocprim17ROCPRIM_400000_NS6detail17trampoline_kernelINS0_14default_configENS1_36segmented_radix_sort_config_selectorIslEEZNS1_25segmented_radix_sort_implIS3_Lb1EPKsPsPKlPlN2at6native12_GLOBAL__N_18offset_tEEE10hipError_tPvRmT1_PNSt15iterator_traitsISK_E10value_typeET2_T3_PNSL_ISQ_E10value_typeET4_jRbjT5_SW_jjP12ihipStream_tbEUlT_E1_NS1_11comp_targetILNS1_3genE10ELNS1_11target_archE1201ELNS1_3gpuE5ELNS1_3repE0EEENS1_59segmented_radix_sort_warp_sort_small_config_static_selectorELNS0_4arch9wavefront6targetE1EEEvSK_.has_indirect_call, 0
	.section	.AMDGPU.csdata,"",@progbits
; Kernel info:
; codeLenInByte = 0
; TotalNumSgprs: 4
; NumVgprs: 0
; ScratchSize: 0
; MemoryBound: 0
; FloatMode: 240
; IeeeMode: 1
; LDSByteSize: 0 bytes/workgroup (compile time only)
; SGPRBlocks: 0
; VGPRBlocks: 0
; NumSGPRsForWavesPerEU: 4
; NumVGPRsForWavesPerEU: 1
; Occupancy: 10
; WaveLimiterHint : 0
; COMPUTE_PGM_RSRC2:SCRATCH_EN: 0
; COMPUTE_PGM_RSRC2:USER_SGPR: 6
; COMPUTE_PGM_RSRC2:TRAP_HANDLER: 0
; COMPUTE_PGM_RSRC2:TGID_X_EN: 1
; COMPUTE_PGM_RSRC2:TGID_Y_EN: 0
; COMPUTE_PGM_RSRC2:TGID_Z_EN: 0
; COMPUTE_PGM_RSRC2:TIDIG_COMP_CNT: 0
	.section	.text._ZN7rocprim17ROCPRIM_400000_NS6detail17trampoline_kernelINS0_14default_configENS1_36segmented_radix_sort_config_selectorIslEEZNS1_25segmented_radix_sort_implIS3_Lb1EPKsPsPKlPlN2at6native12_GLOBAL__N_18offset_tEEE10hipError_tPvRmT1_PNSt15iterator_traitsISK_E10value_typeET2_T3_PNSL_ISQ_E10value_typeET4_jRbjT5_SW_jjP12ihipStream_tbEUlT_E1_NS1_11comp_targetILNS1_3genE10ELNS1_11target_archE1200ELNS1_3gpuE4ELNS1_3repE0EEENS1_59segmented_radix_sort_warp_sort_small_config_static_selectorELNS0_4arch9wavefront6targetE1EEEvSK_,"axG",@progbits,_ZN7rocprim17ROCPRIM_400000_NS6detail17trampoline_kernelINS0_14default_configENS1_36segmented_radix_sort_config_selectorIslEEZNS1_25segmented_radix_sort_implIS3_Lb1EPKsPsPKlPlN2at6native12_GLOBAL__N_18offset_tEEE10hipError_tPvRmT1_PNSt15iterator_traitsISK_E10value_typeET2_T3_PNSL_ISQ_E10value_typeET4_jRbjT5_SW_jjP12ihipStream_tbEUlT_E1_NS1_11comp_targetILNS1_3genE10ELNS1_11target_archE1200ELNS1_3gpuE4ELNS1_3repE0EEENS1_59segmented_radix_sort_warp_sort_small_config_static_selectorELNS0_4arch9wavefront6targetE1EEEvSK_,comdat
	.globl	_ZN7rocprim17ROCPRIM_400000_NS6detail17trampoline_kernelINS0_14default_configENS1_36segmented_radix_sort_config_selectorIslEEZNS1_25segmented_radix_sort_implIS3_Lb1EPKsPsPKlPlN2at6native12_GLOBAL__N_18offset_tEEE10hipError_tPvRmT1_PNSt15iterator_traitsISK_E10value_typeET2_T3_PNSL_ISQ_E10value_typeET4_jRbjT5_SW_jjP12ihipStream_tbEUlT_E1_NS1_11comp_targetILNS1_3genE10ELNS1_11target_archE1200ELNS1_3gpuE4ELNS1_3repE0EEENS1_59segmented_radix_sort_warp_sort_small_config_static_selectorELNS0_4arch9wavefront6targetE1EEEvSK_ ; -- Begin function _ZN7rocprim17ROCPRIM_400000_NS6detail17trampoline_kernelINS0_14default_configENS1_36segmented_radix_sort_config_selectorIslEEZNS1_25segmented_radix_sort_implIS3_Lb1EPKsPsPKlPlN2at6native12_GLOBAL__N_18offset_tEEE10hipError_tPvRmT1_PNSt15iterator_traitsISK_E10value_typeET2_T3_PNSL_ISQ_E10value_typeET4_jRbjT5_SW_jjP12ihipStream_tbEUlT_E1_NS1_11comp_targetILNS1_3genE10ELNS1_11target_archE1200ELNS1_3gpuE4ELNS1_3repE0EEENS1_59segmented_radix_sort_warp_sort_small_config_static_selectorELNS0_4arch9wavefront6targetE1EEEvSK_
	.p2align	8
	.type	_ZN7rocprim17ROCPRIM_400000_NS6detail17trampoline_kernelINS0_14default_configENS1_36segmented_radix_sort_config_selectorIslEEZNS1_25segmented_radix_sort_implIS3_Lb1EPKsPsPKlPlN2at6native12_GLOBAL__N_18offset_tEEE10hipError_tPvRmT1_PNSt15iterator_traitsISK_E10value_typeET2_T3_PNSL_ISQ_E10value_typeET4_jRbjT5_SW_jjP12ihipStream_tbEUlT_E1_NS1_11comp_targetILNS1_3genE10ELNS1_11target_archE1200ELNS1_3gpuE4ELNS1_3repE0EEENS1_59segmented_radix_sort_warp_sort_small_config_static_selectorELNS0_4arch9wavefront6targetE1EEEvSK_,@function
_ZN7rocprim17ROCPRIM_400000_NS6detail17trampoline_kernelINS0_14default_configENS1_36segmented_radix_sort_config_selectorIslEEZNS1_25segmented_radix_sort_implIS3_Lb1EPKsPsPKlPlN2at6native12_GLOBAL__N_18offset_tEEE10hipError_tPvRmT1_PNSt15iterator_traitsISK_E10value_typeET2_T3_PNSL_ISQ_E10value_typeET4_jRbjT5_SW_jjP12ihipStream_tbEUlT_E1_NS1_11comp_targetILNS1_3genE10ELNS1_11target_archE1200ELNS1_3gpuE4ELNS1_3repE0EEENS1_59segmented_radix_sort_warp_sort_small_config_static_selectorELNS0_4arch9wavefront6targetE1EEEvSK_: ; @_ZN7rocprim17ROCPRIM_400000_NS6detail17trampoline_kernelINS0_14default_configENS1_36segmented_radix_sort_config_selectorIslEEZNS1_25segmented_radix_sort_implIS3_Lb1EPKsPsPKlPlN2at6native12_GLOBAL__N_18offset_tEEE10hipError_tPvRmT1_PNSt15iterator_traitsISK_E10value_typeET2_T3_PNSL_ISQ_E10value_typeET4_jRbjT5_SW_jjP12ihipStream_tbEUlT_E1_NS1_11comp_targetILNS1_3genE10ELNS1_11target_archE1200ELNS1_3gpuE4ELNS1_3repE0EEENS1_59segmented_radix_sort_warp_sort_small_config_static_selectorELNS0_4arch9wavefront6targetE1EEEvSK_
; %bb.0:
	.section	.rodata,"a",@progbits
	.p2align	6, 0x0
	.amdhsa_kernel _ZN7rocprim17ROCPRIM_400000_NS6detail17trampoline_kernelINS0_14default_configENS1_36segmented_radix_sort_config_selectorIslEEZNS1_25segmented_radix_sort_implIS3_Lb1EPKsPsPKlPlN2at6native12_GLOBAL__N_18offset_tEEE10hipError_tPvRmT1_PNSt15iterator_traitsISK_E10value_typeET2_T3_PNSL_ISQ_E10value_typeET4_jRbjT5_SW_jjP12ihipStream_tbEUlT_E1_NS1_11comp_targetILNS1_3genE10ELNS1_11target_archE1200ELNS1_3gpuE4ELNS1_3repE0EEENS1_59segmented_radix_sort_warp_sort_small_config_static_selectorELNS0_4arch9wavefront6targetE1EEEvSK_
		.amdhsa_group_segment_fixed_size 0
		.amdhsa_private_segment_fixed_size 0
		.amdhsa_kernarg_size 88
		.amdhsa_user_sgpr_count 6
		.amdhsa_user_sgpr_private_segment_buffer 1
		.amdhsa_user_sgpr_dispatch_ptr 0
		.amdhsa_user_sgpr_queue_ptr 0
		.amdhsa_user_sgpr_kernarg_segment_ptr 1
		.amdhsa_user_sgpr_dispatch_id 0
		.amdhsa_user_sgpr_flat_scratch_init 0
		.amdhsa_user_sgpr_private_segment_size 0
		.amdhsa_uses_dynamic_stack 0
		.amdhsa_system_sgpr_private_segment_wavefront_offset 0
		.amdhsa_system_sgpr_workgroup_id_x 1
		.amdhsa_system_sgpr_workgroup_id_y 0
		.amdhsa_system_sgpr_workgroup_id_z 0
		.amdhsa_system_sgpr_workgroup_info 0
		.amdhsa_system_vgpr_workitem_id 0
		.amdhsa_next_free_vgpr 1
		.amdhsa_next_free_sgpr 0
		.amdhsa_reserve_vcc 0
		.amdhsa_reserve_flat_scratch 0
		.amdhsa_float_round_mode_32 0
		.amdhsa_float_round_mode_16_64 0
		.amdhsa_float_denorm_mode_32 3
		.amdhsa_float_denorm_mode_16_64 3
		.amdhsa_dx10_clamp 1
		.amdhsa_ieee_mode 1
		.amdhsa_fp16_overflow 0
		.amdhsa_exception_fp_ieee_invalid_op 0
		.amdhsa_exception_fp_denorm_src 0
		.amdhsa_exception_fp_ieee_div_zero 0
		.amdhsa_exception_fp_ieee_overflow 0
		.amdhsa_exception_fp_ieee_underflow 0
		.amdhsa_exception_fp_ieee_inexact 0
		.amdhsa_exception_int_div_zero 0
	.end_amdhsa_kernel
	.section	.text._ZN7rocprim17ROCPRIM_400000_NS6detail17trampoline_kernelINS0_14default_configENS1_36segmented_radix_sort_config_selectorIslEEZNS1_25segmented_radix_sort_implIS3_Lb1EPKsPsPKlPlN2at6native12_GLOBAL__N_18offset_tEEE10hipError_tPvRmT1_PNSt15iterator_traitsISK_E10value_typeET2_T3_PNSL_ISQ_E10value_typeET4_jRbjT5_SW_jjP12ihipStream_tbEUlT_E1_NS1_11comp_targetILNS1_3genE10ELNS1_11target_archE1200ELNS1_3gpuE4ELNS1_3repE0EEENS1_59segmented_radix_sort_warp_sort_small_config_static_selectorELNS0_4arch9wavefront6targetE1EEEvSK_,"axG",@progbits,_ZN7rocprim17ROCPRIM_400000_NS6detail17trampoline_kernelINS0_14default_configENS1_36segmented_radix_sort_config_selectorIslEEZNS1_25segmented_radix_sort_implIS3_Lb1EPKsPsPKlPlN2at6native12_GLOBAL__N_18offset_tEEE10hipError_tPvRmT1_PNSt15iterator_traitsISK_E10value_typeET2_T3_PNSL_ISQ_E10value_typeET4_jRbjT5_SW_jjP12ihipStream_tbEUlT_E1_NS1_11comp_targetILNS1_3genE10ELNS1_11target_archE1200ELNS1_3gpuE4ELNS1_3repE0EEENS1_59segmented_radix_sort_warp_sort_small_config_static_selectorELNS0_4arch9wavefront6targetE1EEEvSK_,comdat
.Lfunc_end938:
	.size	_ZN7rocprim17ROCPRIM_400000_NS6detail17trampoline_kernelINS0_14default_configENS1_36segmented_radix_sort_config_selectorIslEEZNS1_25segmented_radix_sort_implIS3_Lb1EPKsPsPKlPlN2at6native12_GLOBAL__N_18offset_tEEE10hipError_tPvRmT1_PNSt15iterator_traitsISK_E10value_typeET2_T3_PNSL_ISQ_E10value_typeET4_jRbjT5_SW_jjP12ihipStream_tbEUlT_E1_NS1_11comp_targetILNS1_3genE10ELNS1_11target_archE1200ELNS1_3gpuE4ELNS1_3repE0EEENS1_59segmented_radix_sort_warp_sort_small_config_static_selectorELNS0_4arch9wavefront6targetE1EEEvSK_, .Lfunc_end938-_ZN7rocprim17ROCPRIM_400000_NS6detail17trampoline_kernelINS0_14default_configENS1_36segmented_radix_sort_config_selectorIslEEZNS1_25segmented_radix_sort_implIS3_Lb1EPKsPsPKlPlN2at6native12_GLOBAL__N_18offset_tEEE10hipError_tPvRmT1_PNSt15iterator_traitsISK_E10value_typeET2_T3_PNSL_ISQ_E10value_typeET4_jRbjT5_SW_jjP12ihipStream_tbEUlT_E1_NS1_11comp_targetILNS1_3genE10ELNS1_11target_archE1200ELNS1_3gpuE4ELNS1_3repE0EEENS1_59segmented_radix_sort_warp_sort_small_config_static_selectorELNS0_4arch9wavefront6targetE1EEEvSK_
                                        ; -- End function
	.set _ZN7rocprim17ROCPRIM_400000_NS6detail17trampoline_kernelINS0_14default_configENS1_36segmented_radix_sort_config_selectorIslEEZNS1_25segmented_radix_sort_implIS3_Lb1EPKsPsPKlPlN2at6native12_GLOBAL__N_18offset_tEEE10hipError_tPvRmT1_PNSt15iterator_traitsISK_E10value_typeET2_T3_PNSL_ISQ_E10value_typeET4_jRbjT5_SW_jjP12ihipStream_tbEUlT_E1_NS1_11comp_targetILNS1_3genE10ELNS1_11target_archE1200ELNS1_3gpuE4ELNS1_3repE0EEENS1_59segmented_radix_sort_warp_sort_small_config_static_selectorELNS0_4arch9wavefront6targetE1EEEvSK_.num_vgpr, 0
	.set _ZN7rocprim17ROCPRIM_400000_NS6detail17trampoline_kernelINS0_14default_configENS1_36segmented_radix_sort_config_selectorIslEEZNS1_25segmented_radix_sort_implIS3_Lb1EPKsPsPKlPlN2at6native12_GLOBAL__N_18offset_tEEE10hipError_tPvRmT1_PNSt15iterator_traitsISK_E10value_typeET2_T3_PNSL_ISQ_E10value_typeET4_jRbjT5_SW_jjP12ihipStream_tbEUlT_E1_NS1_11comp_targetILNS1_3genE10ELNS1_11target_archE1200ELNS1_3gpuE4ELNS1_3repE0EEENS1_59segmented_radix_sort_warp_sort_small_config_static_selectorELNS0_4arch9wavefront6targetE1EEEvSK_.num_agpr, 0
	.set _ZN7rocprim17ROCPRIM_400000_NS6detail17trampoline_kernelINS0_14default_configENS1_36segmented_radix_sort_config_selectorIslEEZNS1_25segmented_radix_sort_implIS3_Lb1EPKsPsPKlPlN2at6native12_GLOBAL__N_18offset_tEEE10hipError_tPvRmT1_PNSt15iterator_traitsISK_E10value_typeET2_T3_PNSL_ISQ_E10value_typeET4_jRbjT5_SW_jjP12ihipStream_tbEUlT_E1_NS1_11comp_targetILNS1_3genE10ELNS1_11target_archE1200ELNS1_3gpuE4ELNS1_3repE0EEENS1_59segmented_radix_sort_warp_sort_small_config_static_selectorELNS0_4arch9wavefront6targetE1EEEvSK_.numbered_sgpr, 0
	.set _ZN7rocprim17ROCPRIM_400000_NS6detail17trampoline_kernelINS0_14default_configENS1_36segmented_radix_sort_config_selectorIslEEZNS1_25segmented_radix_sort_implIS3_Lb1EPKsPsPKlPlN2at6native12_GLOBAL__N_18offset_tEEE10hipError_tPvRmT1_PNSt15iterator_traitsISK_E10value_typeET2_T3_PNSL_ISQ_E10value_typeET4_jRbjT5_SW_jjP12ihipStream_tbEUlT_E1_NS1_11comp_targetILNS1_3genE10ELNS1_11target_archE1200ELNS1_3gpuE4ELNS1_3repE0EEENS1_59segmented_radix_sort_warp_sort_small_config_static_selectorELNS0_4arch9wavefront6targetE1EEEvSK_.num_named_barrier, 0
	.set _ZN7rocprim17ROCPRIM_400000_NS6detail17trampoline_kernelINS0_14default_configENS1_36segmented_radix_sort_config_selectorIslEEZNS1_25segmented_radix_sort_implIS3_Lb1EPKsPsPKlPlN2at6native12_GLOBAL__N_18offset_tEEE10hipError_tPvRmT1_PNSt15iterator_traitsISK_E10value_typeET2_T3_PNSL_ISQ_E10value_typeET4_jRbjT5_SW_jjP12ihipStream_tbEUlT_E1_NS1_11comp_targetILNS1_3genE10ELNS1_11target_archE1200ELNS1_3gpuE4ELNS1_3repE0EEENS1_59segmented_radix_sort_warp_sort_small_config_static_selectorELNS0_4arch9wavefront6targetE1EEEvSK_.private_seg_size, 0
	.set _ZN7rocprim17ROCPRIM_400000_NS6detail17trampoline_kernelINS0_14default_configENS1_36segmented_radix_sort_config_selectorIslEEZNS1_25segmented_radix_sort_implIS3_Lb1EPKsPsPKlPlN2at6native12_GLOBAL__N_18offset_tEEE10hipError_tPvRmT1_PNSt15iterator_traitsISK_E10value_typeET2_T3_PNSL_ISQ_E10value_typeET4_jRbjT5_SW_jjP12ihipStream_tbEUlT_E1_NS1_11comp_targetILNS1_3genE10ELNS1_11target_archE1200ELNS1_3gpuE4ELNS1_3repE0EEENS1_59segmented_radix_sort_warp_sort_small_config_static_selectorELNS0_4arch9wavefront6targetE1EEEvSK_.uses_vcc, 0
	.set _ZN7rocprim17ROCPRIM_400000_NS6detail17trampoline_kernelINS0_14default_configENS1_36segmented_radix_sort_config_selectorIslEEZNS1_25segmented_radix_sort_implIS3_Lb1EPKsPsPKlPlN2at6native12_GLOBAL__N_18offset_tEEE10hipError_tPvRmT1_PNSt15iterator_traitsISK_E10value_typeET2_T3_PNSL_ISQ_E10value_typeET4_jRbjT5_SW_jjP12ihipStream_tbEUlT_E1_NS1_11comp_targetILNS1_3genE10ELNS1_11target_archE1200ELNS1_3gpuE4ELNS1_3repE0EEENS1_59segmented_radix_sort_warp_sort_small_config_static_selectorELNS0_4arch9wavefront6targetE1EEEvSK_.uses_flat_scratch, 0
	.set _ZN7rocprim17ROCPRIM_400000_NS6detail17trampoline_kernelINS0_14default_configENS1_36segmented_radix_sort_config_selectorIslEEZNS1_25segmented_radix_sort_implIS3_Lb1EPKsPsPKlPlN2at6native12_GLOBAL__N_18offset_tEEE10hipError_tPvRmT1_PNSt15iterator_traitsISK_E10value_typeET2_T3_PNSL_ISQ_E10value_typeET4_jRbjT5_SW_jjP12ihipStream_tbEUlT_E1_NS1_11comp_targetILNS1_3genE10ELNS1_11target_archE1200ELNS1_3gpuE4ELNS1_3repE0EEENS1_59segmented_radix_sort_warp_sort_small_config_static_selectorELNS0_4arch9wavefront6targetE1EEEvSK_.has_dyn_sized_stack, 0
	.set _ZN7rocprim17ROCPRIM_400000_NS6detail17trampoline_kernelINS0_14default_configENS1_36segmented_radix_sort_config_selectorIslEEZNS1_25segmented_radix_sort_implIS3_Lb1EPKsPsPKlPlN2at6native12_GLOBAL__N_18offset_tEEE10hipError_tPvRmT1_PNSt15iterator_traitsISK_E10value_typeET2_T3_PNSL_ISQ_E10value_typeET4_jRbjT5_SW_jjP12ihipStream_tbEUlT_E1_NS1_11comp_targetILNS1_3genE10ELNS1_11target_archE1200ELNS1_3gpuE4ELNS1_3repE0EEENS1_59segmented_radix_sort_warp_sort_small_config_static_selectorELNS0_4arch9wavefront6targetE1EEEvSK_.has_recursion, 0
	.set _ZN7rocprim17ROCPRIM_400000_NS6detail17trampoline_kernelINS0_14default_configENS1_36segmented_radix_sort_config_selectorIslEEZNS1_25segmented_radix_sort_implIS3_Lb1EPKsPsPKlPlN2at6native12_GLOBAL__N_18offset_tEEE10hipError_tPvRmT1_PNSt15iterator_traitsISK_E10value_typeET2_T3_PNSL_ISQ_E10value_typeET4_jRbjT5_SW_jjP12ihipStream_tbEUlT_E1_NS1_11comp_targetILNS1_3genE10ELNS1_11target_archE1200ELNS1_3gpuE4ELNS1_3repE0EEENS1_59segmented_radix_sort_warp_sort_small_config_static_selectorELNS0_4arch9wavefront6targetE1EEEvSK_.has_indirect_call, 0
	.section	.AMDGPU.csdata,"",@progbits
; Kernel info:
; codeLenInByte = 0
; TotalNumSgprs: 4
; NumVgprs: 0
; ScratchSize: 0
; MemoryBound: 0
; FloatMode: 240
; IeeeMode: 1
; LDSByteSize: 0 bytes/workgroup (compile time only)
; SGPRBlocks: 0
; VGPRBlocks: 0
; NumSGPRsForWavesPerEU: 4
; NumVGPRsForWavesPerEU: 1
; Occupancy: 10
; WaveLimiterHint : 0
; COMPUTE_PGM_RSRC2:SCRATCH_EN: 0
; COMPUTE_PGM_RSRC2:USER_SGPR: 6
; COMPUTE_PGM_RSRC2:TRAP_HANDLER: 0
; COMPUTE_PGM_RSRC2:TGID_X_EN: 1
; COMPUTE_PGM_RSRC2:TGID_Y_EN: 0
; COMPUTE_PGM_RSRC2:TGID_Z_EN: 0
; COMPUTE_PGM_RSRC2:TIDIG_COMP_CNT: 0
	.section	.text._ZN7rocprim17ROCPRIM_400000_NS6detail17trampoline_kernelINS0_14default_configENS1_36segmented_radix_sort_config_selectorIslEEZNS1_25segmented_radix_sort_implIS3_Lb1EPKsPsPKlPlN2at6native12_GLOBAL__N_18offset_tEEE10hipError_tPvRmT1_PNSt15iterator_traitsISK_E10value_typeET2_T3_PNSL_ISQ_E10value_typeET4_jRbjT5_SW_jjP12ihipStream_tbEUlT_E1_NS1_11comp_targetILNS1_3genE9ELNS1_11target_archE1100ELNS1_3gpuE3ELNS1_3repE0EEENS1_59segmented_radix_sort_warp_sort_small_config_static_selectorELNS0_4arch9wavefront6targetE1EEEvSK_,"axG",@progbits,_ZN7rocprim17ROCPRIM_400000_NS6detail17trampoline_kernelINS0_14default_configENS1_36segmented_radix_sort_config_selectorIslEEZNS1_25segmented_radix_sort_implIS3_Lb1EPKsPsPKlPlN2at6native12_GLOBAL__N_18offset_tEEE10hipError_tPvRmT1_PNSt15iterator_traitsISK_E10value_typeET2_T3_PNSL_ISQ_E10value_typeET4_jRbjT5_SW_jjP12ihipStream_tbEUlT_E1_NS1_11comp_targetILNS1_3genE9ELNS1_11target_archE1100ELNS1_3gpuE3ELNS1_3repE0EEENS1_59segmented_radix_sort_warp_sort_small_config_static_selectorELNS0_4arch9wavefront6targetE1EEEvSK_,comdat
	.globl	_ZN7rocprim17ROCPRIM_400000_NS6detail17trampoline_kernelINS0_14default_configENS1_36segmented_radix_sort_config_selectorIslEEZNS1_25segmented_radix_sort_implIS3_Lb1EPKsPsPKlPlN2at6native12_GLOBAL__N_18offset_tEEE10hipError_tPvRmT1_PNSt15iterator_traitsISK_E10value_typeET2_T3_PNSL_ISQ_E10value_typeET4_jRbjT5_SW_jjP12ihipStream_tbEUlT_E1_NS1_11comp_targetILNS1_3genE9ELNS1_11target_archE1100ELNS1_3gpuE3ELNS1_3repE0EEENS1_59segmented_radix_sort_warp_sort_small_config_static_selectorELNS0_4arch9wavefront6targetE1EEEvSK_ ; -- Begin function _ZN7rocprim17ROCPRIM_400000_NS6detail17trampoline_kernelINS0_14default_configENS1_36segmented_radix_sort_config_selectorIslEEZNS1_25segmented_radix_sort_implIS3_Lb1EPKsPsPKlPlN2at6native12_GLOBAL__N_18offset_tEEE10hipError_tPvRmT1_PNSt15iterator_traitsISK_E10value_typeET2_T3_PNSL_ISQ_E10value_typeET4_jRbjT5_SW_jjP12ihipStream_tbEUlT_E1_NS1_11comp_targetILNS1_3genE9ELNS1_11target_archE1100ELNS1_3gpuE3ELNS1_3repE0EEENS1_59segmented_radix_sort_warp_sort_small_config_static_selectorELNS0_4arch9wavefront6targetE1EEEvSK_
	.p2align	8
	.type	_ZN7rocprim17ROCPRIM_400000_NS6detail17trampoline_kernelINS0_14default_configENS1_36segmented_radix_sort_config_selectorIslEEZNS1_25segmented_radix_sort_implIS3_Lb1EPKsPsPKlPlN2at6native12_GLOBAL__N_18offset_tEEE10hipError_tPvRmT1_PNSt15iterator_traitsISK_E10value_typeET2_T3_PNSL_ISQ_E10value_typeET4_jRbjT5_SW_jjP12ihipStream_tbEUlT_E1_NS1_11comp_targetILNS1_3genE9ELNS1_11target_archE1100ELNS1_3gpuE3ELNS1_3repE0EEENS1_59segmented_radix_sort_warp_sort_small_config_static_selectorELNS0_4arch9wavefront6targetE1EEEvSK_,@function
_ZN7rocprim17ROCPRIM_400000_NS6detail17trampoline_kernelINS0_14default_configENS1_36segmented_radix_sort_config_selectorIslEEZNS1_25segmented_radix_sort_implIS3_Lb1EPKsPsPKlPlN2at6native12_GLOBAL__N_18offset_tEEE10hipError_tPvRmT1_PNSt15iterator_traitsISK_E10value_typeET2_T3_PNSL_ISQ_E10value_typeET4_jRbjT5_SW_jjP12ihipStream_tbEUlT_E1_NS1_11comp_targetILNS1_3genE9ELNS1_11target_archE1100ELNS1_3gpuE3ELNS1_3repE0EEENS1_59segmented_radix_sort_warp_sort_small_config_static_selectorELNS0_4arch9wavefront6targetE1EEEvSK_: ; @_ZN7rocprim17ROCPRIM_400000_NS6detail17trampoline_kernelINS0_14default_configENS1_36segmented_radix_sort_config_selectorIslEEZNS1_25segmented_radix_sort_implIS3_Lb1EPKsPsPKlPlN2at6native12_GLOBAL__N_18offset_tEEE10hipError_tPvRmT1_PNSt15iterator_traitsISK_E10value_typeET2_T3_PNSL_ISQ_E10value_typeET4_jRbjT5_SW_jjP12ihipStream_tbEUlT_E1_NS1_11comp_targetILNS1_3genE9ELNS1_11target_archE1100ELNS1_3gpuE3ELNS1_3repE0EEENS1_59segmented_radix_sort_warp_sort_small_config_static_selectorELNS0_4arch9wavefront6targetE1EEEvSK_
; %bb.0:
	.section	.rodata,"a",@progbits
	.p2align	6, 0x0
	.amdhsa_kernel _ZN7rocprim17ROCPRIM_400000_NS6detail17trampoline_kernelINS0_14default_configENS1_36segmented_radix_sort_config_selectorIslEEZNS1_25segmented_radix_sort_implIS3_Lb1EPKsPsPKlPlN2at6native12_GLOBAL__N_18offset_tEEE10hipError_tPvRmT1_PNSt15iterator_traitsISK_E10value_typeET2_T3_PNSL_ISQ_E10value_typeET4_jRbjT5_SW_jjP12ihipStream_tbEUlT_E1_NS1_11comp_targetILNS1_3genE9ELNS1_11target_archE1100ELNS1_3gpuE3ELNS1_3repE0EEENS1_59segmented_radix_sort_warp_sort_small_config_static_selectorELNS0_4arch9wavefront6targetE1EEEvSK_
		.amdhsa_group_segment_fixed_size 0
		.amdhsa_private_segment_fixed_size 0
		.amdhsa_kernarg_size 88
		.amdhsa_user_sgpr_count 6
		.amdhsa_user_sgpr_private_segment_buffer 1
		.amdhsa_user_sgpr_dispatch_ptr 0
		.amdhsa_user_sgpr_queue_ptr 0
		.amdhsa_user_sgpr_kernarg_segment_ptr 1
		.amdhsa_user_sgpr_dispatch_id 0
		.amdhsa_user_sgpr_flat_scratch_init 0
		.amdhsa_user_sgpr_private_segment_size 0
		.amdhsa_uses_dynamic_stack 0
		.amdhsa_system_sgpr_private_segment_wavefront_offset 0
		.amdhsa_system_sgpr_workgroup_id_x 1
		.amdhsa_system_sgpr_workgroup_id_y 0
		.amdhsa_system_sgpr_workgroup_id_z 0
		.amdhsa_system_sgpr_workgroup_info 0
		.amdhsa_system_vgpr_workitem_id 0
		.amdhsa_next_free_vgpr 1
		.amdhsa_next_free_sgpr 0
		.amdhsa_reserve_vcc 0
		.amdhsa_reserve_flat_scratch 0
		.amdhsa_float_round_mode_32 0
		.amdhsa_float_round_mode_16_64 0
		.amdhsa_float_denorm_mode_32 3
		.amdhsa_float_denorm_mode_16_64 3
		.amdhsa_dx10_clamp 1
		.amdhsa_ieee_mode 1
		.amdhsa_fp16_overflow 0
		.amdhsa_exception_fp_ieee_invalid_op 0
		.amdhsa_exception_fp_denorm_src 0
		.amdhsa_exception_fp_ieee_div_zero 0
		.amdhsa_exception_fp_ieee_overflow 0
		.amdhsa_exception_fp_ieee_underflow 0
		.amdhsa_exception_fp_ieee_inexact 0
		.amdhsa_exception_int_div_zero 0
	.end_amdhsa_kernel
	.section	.text._ZN7rocprim17ROCPRIM_400000_NS6detail17trampoline_kernelINS0_14default_configENS1_36segmented_radix_sort_config_selectorIslEEZNS1_25segmented_radix_sort_implIS3_Lb1EPKsPsPKlPlN2at6native12_GLOBAL__N_18offset_tEEE10hipError_tPvRmT1_PNSt15iterator_traitsISK_E10value_typeET2_T3_PNSL_ISQ_E10value_typeET4_jRbjT5_SW_jjP12ihipStream_tbEUlT_E1_NS1_11comp_targetILNS1_3genE9ELNS1_11target_archE1100ELNS1_3gpuE3ELNS1_3repE0EEENS1_59segmented_radix_sort_warp_sort_small_config_static_selectorELNS0_4arch9wavefront6targetE1EEEvSK_,"axG",@progbits,_ZN7rocprim17ROCPRIM_400000_NS6detail17trampoline_kernelINS0_14default_configENS1_36segmented_radix_sort_config_selectorIslEEZNS1_25segmented_radix_sort_implIS3_Lb1EPKsPsPKlPlN2at6native12_GLOBAL__N_18offset_tEEE10hipError_tPvRmT1_PNSt15iterator_traitsISK_E10value_typeET2_T3_PNSL_ISQ_E10value_typeET4_jRbjT5_SW_jjP12ihipStream_tbEUlT_E1_NS1_11comp_targetILNS1_3genE9ELNS1_11target_archE1100ELNS1_3gpuE3ELNS1_3repE0EEENS1_59segmented_radix_sort_warp_sort_small_config_static_selectorELNS0_4arch9wavefront6targetE1EEEvSK_,comdat
.Lfunc_end939:
	.size	_ZN7rocprim17ROCPRIM_400000_NS6detail17trampoline_kernelINS0_14default_configENS1_36segmented_radix_sort_config_selectorIslEEZNS1_25segmented_radix_sort_implIS3_Lb1EPKsPsPKlPlN2at6native12_GLOBAL__N_18offset_tEEE10hipError_tPvRmT1_PNSt15iterator_traitsISK_E10value_typeET2_T3_PNSL_ISQ_E10value_typeET4_jRbjT5_SW_jjP12ihipStream_tbEUlT_E1_NS1_11comp_targetILNS1_3genE9ELNS1_11target_archE1100ELNS1_3gpuE3ELNS1_3repE0EEENS1_59segmented_radix_sort_warp_sort_small_config_static_selectorELNS0_4arch9wavefront6targetE1EEEvSK_, .Lfunc_end939-_ZN7rocprim17ROCPRIM_400000_NS6detail17trampoline_kernelINS0_14default_configENS1_36segmented_radix_sort_config_selectorIslEEZNS1_25segmented_radix_sort_implIS3_Lb1EPKsPsPKlPlN2at6native12_GLOBAL__N_18offset_tEEE10hipError_tPvRmT1_PNSt15iterator_traitsISK_E10value_typeET2_T3_PNSL_ISQ_E10value_typeET4_jRbjT5_SW_jjP12ihipStream_tbEUlT_E1_NS1_11comp_targetILNS1_3genE9ELNS1_11target_archE1100ELNS1_3gpuE3ELNS1_3repE0EEENS1_59segmented_radix_sort_warp_sort_small_config_static_selectorELNS0_4arch9wavefront6targetE1EEEvSK_
                                        ; -- End function
	.set _ZN7rocprim17ROCPRIM_400000_NS6detail17trampoline_kernelINS0_14default_configENS1_36segmented_radix_sort_config_selectorIslEEZNS1_25segmented_radix_sort_implIS3_Lb1EPKsPsPKlPlN2at6native12_GLOBAL__N_18offset_tEEE10hipError_tPvRmT1_PNSt15iterator_traitsISK_E10value_typeET2_T3_PNSL_ISQ_E10value_typeET4_jRbjT5_SW_jjP12ihipStream_tbEUlT_E1_NS1_11comp_targetILNS1_3genE9ELNS1_11target_archE1100ELNS1_3gpuE3ELNS1_3repE0EEENS1_59segmented_radix_sort_warp_sort_small_config_static_selectorELNS0_4arch9wavefront6targetE1EEEvSK_.num_vgpr, 0
	.set _ZN7rocprim17ROCPRIM_400000_NS6detail17trampoline_kernelINS0_14default_configENS1_36segmented_radix_sort_config_selectorIslEEZNS1_25segmented_radix_sort_implIS3_Lb1EPKsPsPKlPlN2at6native12_GLOBAL__N_18offset_tEEE10hipError_tPvRmT1_PNSt15iterator_traitsISK_E10value_typeET2_T3_PNSL_ISQ_E10value_typeET4_jRbjT5_SW_jjP12ihipStream_tbEUlT_E1_NS1_11comp_targetILNS1_3genE9ELNS1_11target_archE1100ELNS1_3gpuE3ELNS1_3repE0EEENS1_59segmented_radix_sort_warp_sort_small_config_static_selectorELNS0_4arch9wavefront6targetE1EEEvSK_.num_agpr, 0
	.set _ZN7rocprim17ROCPRIM_400000_NS6detail17trampoline_kernelINS0_14default_configENS1_36segmented_radix_sort_config_selectorIslEEZNS1_25segmented_radix_sort_implIS3_Lb1EPKsPsPKlPlN2at6native12_GLOBAL__N_18offset_tEEE10hipError_tPvRmT1_PNSt15iterator_traitsISK_E10value_typeET2_T3_PNSL_ISQ_E10value_typeET4_jRbjT5_SW_jjP12ihipStream_tbEUlT_E1_NS1_11comp_targetILNS1_3genE9ELNS1_11target_archE1100ELNS1_3gpuE3ELNS1_3repE0EEENS1_59segmented_radix_sort_warp_sort_small_config_static_selectorELNS0_4arch9wavefront6targetE1EEEvSK_.numbered_sgpr, 0
	.set _ZN7rocprim17ROCPRIM_400000_NS6detail17trampoline_kernelINS0_14default_configENS1_36segmented_radix_sort_config_selectorIslEEZNS1_25segmented_radix_sort_implIS3_Lb1EPKsPsPKlPlN2at6native12_GLOBAL__N_18offset_tEEE10hipError_tPvRmT1_PNSt15iterator_traitsISK_E10value_typeET2_T3_PNSL_ISQ_E10value_typeET4_jRbjT5_SW_jjP12ihipStream_tbEUlT_E1_NS1_11comp_targetILNS1_3genE9ELNS1_11target_archE1100ELNS1_3gpuE3ELNS1_3repE0EEENS1_59segmented_radix_sort_warp_sort_small_config_static_selectorELNS0_4arch9wavefront6targetE1EEEvSK_.num_named_barrier, 0
	.set _ZN7rocprim17ROCPRIM_400000_NS6detail17trampoline_kernelINS0_14default_configENS1_36segmented_radix_sort_config_selectorIslEEZNS1_25segmented_radix_sort_implIS3_Lb1EPKsPsPKlPlN2at6native12_GLOBAL__N_18offset_tEEE10hipError_tPvRmT1_PNSt15iterator_traitsISK_E10value_typeET2_T3_PNSL_ISQ_E10value_typeET4_jRbjT5_SW_jjP12ihipStream_tbEUlT_E1_NS1_11comp_targetILNS1_3genE9ELNS1_11target_archE1100ELNS1_3gpuE3ELNS1_3repE0EEENS1_59segmented_radix_sort_warp_sort_small_config_static_selectorELNS0_4arch9wavefront6targetE1EEEvSK_.private_seg_size, 0
	.set _ZN7rocprim17ROCPRIM_400000_NS6detail17trampoline_kernelINS0_14default_configENS1_36segmented_radix_sort_config_selectorIslEEZNS1_25segmented_radix_sort_implIS3_Lb1EPKsPsPKlPlN2at6native12_GLOBAL__N_18offset_tEEE10hipError_tPvRmT1_PNSt15iterator_traitsISK_E10value_typeET2_T3_PNSL_ISQ_E10value_typeET4_jRbjT5_SW_jjP12ihipStream_tbEUlT_E1_NS1_11comp_targetILNS1_3genE9ELNS1_11target_archE1100ELNS1_3gpuE3ELNS1_3repE0EEENS1_59segmented_radix_sort_warp_sort_small_config_static_selectorELNS0_4arch9wavefront6targetE1EEEvSK_.uses_vcc, 0
	.set _ZN7rocprim17ROCPRIM_400000_NS6detail17trampoline_kernelINS0_14default_configENS1_36segmented_radix_sort_config_selectorIslEEZNS1_25segmented_radix_sort_implIS3_Lb1EPKsPsPKlPlN2at6native12_GLOBAL__N_18offset_tEEE10hipError_tPvRmT1_PNSt15iterator_traitsISK_E10value_typeET2_T3_PNSL_ISQ_E10value_typeET4_jRbjT5_SW_jjP12ihipStream_tbEUlT_E1_NS1_11comp_targetILNS1_3genE9ELNS1_11target_archE1100ELNS1_3gpuE3ELNS1_3repE0EEENS1_59segmented_radix_sort_warp_sort_small_config_static_selectorELNS0_4arch9wavefront6targetE1EEEvSK_.uses_flat_scratch, 0
	.set _ZN7rocprim17ROCPRIM_400000_NS6detail17trampoline_kernelINS0_14default_configENS1_36segmented_radix_sort_config_selectorIslEEZNS1_25segmented_radix_sort_implIS3_Lb1EPKsPsPKlPlN2at6native12_GLOBAL__N_18offset_tEEE10hipError_tPvRmT1_PNSt15iterator_traitsISK_E10value_typeET2_T3_PNSL_ISQ_E10value_typeET4_jRbjT5_SW_jjP12ihipStream_tbEUlT_E1_NS1_11comp_targetILNS1_3genE9ELNS1_11target_archE1100ELNS1_3gpuE3ELNS1_3repE0EEENS1_59segmented_radix_sort_warp_sort_small_config_static_selectorELNS0_4arch9wavefront6targetE1EEEvSK_.has_dyn_sized_stack, 0
	.set _ZN7rocprim17ROCPRIM_400000_NS6detail17trampoline_kernelINS0_14default_configENS1_36segmented_radix_sort_config_selectorIslEEZNS1_25segmented_radix_sort_implIS3_Lb1EPKsPsPKlPlN2at6native12_GLOBAL__N_18offset_tEEE10hipError_tPvRmT1_PNSt15iterator_traitsISK_E10value_typeET2_T3_PNSL_ISQ_E10value_typeET4_jRbjT5_SW_jjP12ihipStream_tbEUlT_E1_NS1_11comp_targetILNS1_3genE9ELNS1_11target_archE1100ELNS1_3gpuE3ELNS1_3repE0EEENS1_59segmented_radix_sort_warp_sort_small_config_static_selectorELNS0_4arch9wavefront6targetE1EEEvSK_.has_recursion, 0
	.set _ZN7rocprim17ROCPRIM_400000_NS6detail17trampoline_kernelINS0_14default_configENS1_36segmented_radix_sort_config_selectorIslEEZNS1_25segmented_radix_sort_implIS3_Lb1EPKsPsPKlPlN2at6native12_GLOBAL__N_18offset_tEEE10hipError_tPvRmT1_PNSt15iterator_traitsISK_E10value_typeET2_T3_PNSL_ISQ_E10value_typeET4_jRbjT5_SW_jjP12ihipStream_tbEUlT_E1_NS1_11comp_targetILNS1_3genE9ELNS1_11target_archE1100ELNS1_3gpuE3ELNS1_3repE0EEENS1_59segmented_radix_sort_warp_sort_small_config_static_selectorELNS0_4arch9wavefront6targetE1EEEvSK_.has_indirect_call, 0
	.section	.AMDGPU.csdata,"",@progbits
; Kernel info:
; codeLenInByte = 0
; TotalNumSgprs: 4
; NumVgprs: 0
; ScratchSize: 0
; MemoryBound: 0
; FloatMode: 240
; IeeeMode: 1
; LDSByteSize: 0 bytes/workgroup (compile time only)
; SGPRBlocks: 0
; VGPRBlocks: 0
; NumSGPRsForWavesPerEU: 4
; NumVGPRsForWavesPerEU: 1
; Occupancy: 10
; WaveLimiterHint : 0
; COMPUTE_PGM_RSRC2:SCRATCH_EN: 0
; COMPUTE_PGM_RSRC2:USER_SGPR: 6
; COMPUTE_PGM_RSRC2:TRAP_HANDLER: 0
; COMPUTE_PGM_RSRC2:TGID_X_EN: 1
; COMPUTE_PGM_RSRC2:TGID_Y_EN: 0
; COMPUTE_PGM_RSRC2:TGID_Z_EN: 0
; COMPUTE_PGM_RSRC2:TIDIG_COMP_CNT: 0
	.section	.text._ZN7rocprim17ROCPRIM_400000_NS6detail17trampoline_kernelINS0_14default_configENS1_36segmented_radix_sort_config_selectorIslEEZNS1_25segmented_radix_sort_implIS3_Lb1EPKsPsPKlPlN2at6native12_GLOBAL__N_18offset_tEEE10hipError_tPvRmT1_PNSt15iterator_traitsISK_E10value_typeET2_T3_PNSL_ISQ_E10value_typeET4_jRbjT5_SW_jjP12ihipStream_tbEUlT_E1_NS1_11comp_targetILNS1_3genE8ELNS1_11target_archE1030ELNS1_3gpuE2ELNS1_3repE0EEENS1_59segmented_radix_sort_warp_sort_small_config_static_selectorELNS0_4arch9wavefront6targetE1EEEvSK_,"axG",@progbits,_ZN7rocprim17ROCPRIM_400000_NS6detail17trampoline_kernelINS0_14default_configENS1_36segmented_radix_sort_config_selectorIslEEZNS1_25segmented_radix_sort_implIS3_Lb1EPKsPsPKlPlN2at6native12_GLOBAL__N_18offset_tEEE10hipError_tPvRmT1_PNSt15iterator_traitsISK_E10value_typeET2_T3_PNSL_ISQ_E10value_typeET4_jRbjT5_SW_jjP12ihipStream_tbEUlT_E1_NS1_11comp_targetILNS1_3genE8ELNS1_11target_archE1030ELNS1_3gpuE2ELNS1_3repE0EEENS1_59segmented_radix_sort_warp_sort_small_config_static_selectorELNS0_4arch9wavefront6targetE1EEEvSK_,comdat
	.globl	_ZN7rocprim17ROCPRIM_400000_NS6detail17trampoline_kernelINS0_14default_configENS1_36segmented_radix_sort_config_selectorIslEEZNS1_25segmented_radix_sort_implIS3_Lb1EPKsPsPKlPlN2at6native12_GLOBAL__N_18offset_tEEE10hipError_tPvRmT1_PNSt15iterator_traitsISK_E10value_typeET2_T3_PNSL_ISQ_E10value_typeET4_jRbjT5_SW_jjP12ihipStream_tbEUlT_E1_NS1_11comp_targetILNS1_3genE8ELNS1_11target_archE1030ELNS1_3gpuE2ELNS1_3repE0EEENS1_59segmented_radix_sort_warp_sort_small_config_static_selectorELNS0_4arch9wavefront6targetE1EEEvSK_ ; -- Begin function _ZN7rocprim17ROCPRIM_400000_NS6detail17trampoline_kernelINS0_14default_configENS1_36segmented_radix_sort_config_selectorIslEEZNS1_25segmented_radix_sort_implIS3_Lb1EPKsPsPKlPlN2at6native12_GLOBAL__N_18offset_tEEE10hipError_tPvRmT1_PNSt15iterator_traitsISK_E10value_typeET2_T3_PNSL_ISQ_E10value_typeET4_jRbjT5_SW_jjP12ihipStream_tbEUlT_E1_NS1_11comp_targetILNS1_3genE8ELNS1_11target_archE1030ELNS1_3gpuE2ELNS1_3repE0EEENS1_59segmented_radix_sort_warp_sort_small_config_static_selectorELNS0_4arch9wavefront6targetE1EEEvSK_
	.p2align	8
	.type	_ZN7rocprim17ROCPRIM_400000_NS6detail17trampoline_kernelINS0_14default_configENS1_36segmented_radix_sort_config_selectorIslEEZNS1_25segmented_radix_sort_implIS3_Lb1EPKsPsPKlPlN2at6native12_GLOBAL__N_18offset_tEEE10hipError_tPvRmT1_PNSt15iterator_traitsISK_E10value_typeET2_T3_PNSL_ISQ_E10value_typeET4_jRbjT5_SW_jjP12ihipStream_tbEUlT_E1_NS1_11comp_targetILNS1_3genE8ELNS1_11target_archE1030ELNS1_3gpuE2ELNS1_3repE0EEENS1_59segmented_radix_sort_warp_sort_small_config_static_selectorELNS0_4arch9wavefront6targetE1EEEvSK_,@function
_ZN7rocprim17ROCPRIM_400000_NS6detail17trampoline_kernelINS0_14default_configENS1_36segmented_radix_sort_config_selectorIslEEZNS1_25segmented_radix_sort_implIS3_Lb1EPKsPsPKlPlN2at6native12_GLOBAL__N_18offset_tEEE10hipError_tPvRmT1_PNSt15iterator_traitsISK_E10value_typeET2_T3_PNSL_ISQ_E10value_typeET4_jRbjT5_SW_jjP12ihipStream_tbEUlT_E1_NS1_11comp_targetILNS1_3genE8ELNS1_11target_archE1030ELNS1_3gpuE2ELNS1_3repE0EEENS1_59segmented_radix_sort_warp_sort_small_config_static_selectorELNS0_4arch9wavefront6targetE1EEEvSK_: ; @_ZN7rocprim17ROCPRIM_400000_NS6detail17trampoline_kernelINS0_14default_configENS1_36segmented_radix_sort_config_selectorIslEEZNS1_25segmented_radix_sort_implIS3_Lb1EPKsPsPKlPlN2at6native12_GLOBAL__N_18offset_tEEE10hipError_tPvRmT1_PNSt15iterator_traitsISK_E10value_typeET2_T3_PNSL_ISQ_E10value_typeET4_jRbjT5_SW_jjP12ihipStream_tbEUlT_E1_NS1_11comp_targetILNS1_3genE8ELNS1_11target_archE1030ELNS1_3gpuE2ELNS1_3repE0EEENS1_59segmented_radix_sort_warp_sort_small_config_static_selectorELNS0_4arch9wavefront6targetE1EEEvSK_
; %bb.0:
	.section	.rodata,"a",@progbits
	.p2align	6, 0x0
	.amdhsa_kernel _ZN7rocprim17ROCPRIM_400000_NS6detail17trampoline_kernelINS0_14default_configENS1_36segmented_radix_sort_config_selectorIslEEZNS1_25segmented_radix_sort_implIS3_Lb1EPKsPsPKlPlN2at6native12_GLOBAL__N_18offset_tEEE10hipError_tPvRmT1_PNSt15iterator_traitsISK_E10value_typeET2_T3_PNSL_ISQ_E10value_typeET4_jRbjT5_SW_jjP12ihipStream_tbEUlT_E1_NS1_11comp_targetILNS1_3genE8ELNS1_11target_archE1030ELNS1_3gpuE2ELNS1_3repE0EEENS1_59segmented_radix_sort_warp_sort_small_config_static_selectorELNS0_4arch9wavefront6targetE1EEEvSK_
		.amdhsa_group_segment_fixed_size 0
		.amdhsa_private_segment_fixed_size 0
		.amdhsa_kernarg_size 88
		.amdhsa_user_sgpr_count 6
		.amdhsa_user_sgpr_private_segment_buffer 1
		.amdhsa_user_sgpr_dispatch_ptr 0
		.amdhsa_user_sgpr_queue_ptr 0
		.amdhsa_user_sgpr_kernarg_segment_ptr 1
		.amdhsa_user_sgpr_dispatch_id 0
		.amdhsa_user_sgpr_flat_scratch_init 0
		.amdhsa_user_sgpr_private_segment_size 0
		.amdhsa_uses_dynamic_stack 0
		.amdhsa_system_sgpr_private_segment_wavefront_offset 0
		.amdhsa_system_sgpr_workgroup_id_x 1
		.amdhsa_system_sgpr_workgroup_id_y 0
		.amdhsa_system_sgpr_workgroup_id_z 0
		.amdhsa_system_sgpr_workgroup_info 0
		.amdhsa_system_vgpr_workitem_id 0
		.amdhsa_next_free_vgpr 1
		.amdhsa_next_free_sgpr 0
		.amdhsa_reserve_vcc 0
		.amdhsa_reserve_flat_scratch 0
		.amdhsa_float_round_mode_32 0
		.amdhsa_float_round_mode_16_64 0
		.amdhsa_float_denorm_mode_32 3
		.amdhsa_float_denorm_mode_16_64 3
		.amdhsa_dx10_clamp 1
		.amdhsa_ieee_mode 1
		.amdhsa_fp16_overflow 0
		.amdhsa_exception_fp_ieee_invalid_op 0
		.amdhsa_exception_fp_denorm_src 0
		.amdhsa_exception_fp_ieee_div_zero 0
		.amdhsa_exception_fp_ieee_overflow 0
		.amdhsa_exception_fp_ieee_underflow 0
		.amdhsa_exception_fp_ieee_inexact 0
		.amdhsa_exception_int_div_zero 0
	.end_amdhsa_kernel
	.section	.text._ZN7rocprim17ROCPRIM_400000_NS6detail17trampoline_kernelINS0_14default_configENS1_36segmented_radix_sort_config_selectorIslEEZNS1_25segmented_radix_sort_implIS3_Lb1EPKsPsPKlPlN2at6native12_GLOBAL__N_18offset_tEEE10hipError_tPvRmT1_PNSt15iterator_traitsISK_E10value_typeET2_T3_PNSL_ISQ_E10value_typeET4_jRbjT5_SW_jjP12ihipStream_tbEUlT_E1_NS1_11comp_targetILNS1_3genE8ELNS1_11target_archE1030ELNS1_3gpuE2ELNS1_3repE0EEENS1_59segmented_radix_sort_warp_sort_small_config_static_selectorELNS0_4arch9wavefront6targetE1EEEvSK_,"axG",@progbits,_ZN7rocprim17ROCPRIM_400000_NS6detail17trampoline_kernelINS0_14default_configENS1_36segmented_radix_sort_config_selectorIslEEZNS1_25segmented_radix_sort_implIS3_Lb1EPKsPsPKlPlN2at6native12_GLOBAL__N_18offset_tEEE10hipError_tPvRmT1_PNSt15iterator_traitsISK_E10value_typeET2_T3_PNSL_ISQ_E10value_typeET4_jRbjT5_SW_jjP12ihipStream_tbEUlT_E1_NS1_11comp_targetILNS1_3genE8ELNS1_11target_archE1030ELNS1_3gpuE2ELNS1_3repE0EEENS1_59segmented_radix_sort_warp_sort_small_config_static_selectorELNS0_4arch9wavefront6targetE1EEEvSK_,comdat
.Lfunc_end940:
	.size	_ZN7rocprim17ROCPRIM_400000_NS6detail17trampoline_kernelINS0_14default_configENS1_36segmented_radix_sort_config_selectorIslEEZNS1_25segmented_radix_sort_implIS3_Lb1EPKsPsPKlPlN2at6native12_GLOBAL__N_18offset_tEEE10hipError_tPvRmT1_PNSt15iterator_traitsISK_E10value_typeET2_T3_PNSL_ISQ_E10value_typeET4_jRbjT5_SW_jjP12ihipStream_tbEUlT_E1_NS1_11comp_targetILNS1_3genE8ELNS1_11target_archE1030ELNS1_3gpuE2ELNS1_3repE0EEENS1_59segmented_radix_sort_warp_sort_small_config_static_selectorELNS0_4arch9wavefront6targetE1EEEvSK_, .Lfunc_end940-_ZN7rocprim17ROCPRIM_400000_NS6detail17trampoline_kernelINS0_14default_configENS1_36segmented_radix_sort_config_selectorIslEEZNS1_25segmented_radix_sort_implIS3_Lb1EPKsPsPKlPlN2at6native12_GLOBAL__N_18offset_tEEE10hipError_tPvRmT1_PNSt15iterator_traitsISK_E10value_typeET2_T3_PNSL_ISQ_E10value_typeET4_jRbjT5_SW_jjP12ihipStream_tbEUlT_E1_NS1_11comp_targetILNS1_3genE8ELNS1_11target_archE1030ELNS1_3gpuE2ELNS1_3repE0EEENS1_59segmented_radix_sort_warp_sort_small_config_static_selectorELNS0_4arch9wavefront6targetE1EEEvSK_
                                        ; -- End function
	.set _ZN7rocprim17ROCPRIM_400000_NS6detail17trampoline_kernelINS0_14default_configENS1_36segmented_radix_sort_config_selectorIslEEZNS1_25segmented_radix_sort_implIS3_Lb1EPKsPsPKlPlN2at6native12_GLOBAL__N_18offset_tEEE10hipError_tPvRmT1_PNSt15iterator_traitsISK_E10value_typeET2_T3_PNSL_ISQ_E10value_typeET4_jRbjT5_SW_jjP12ihipStream_tbEUlT_E1_NS1_11comp_targetILNS1_3genE8ELNS1_11target_archE1030ELNS1_3gpuE2ELNS1_3repE0EEENS1_59segmented_radix_sort_warp_sort_small_config_static_selectorELNS0_4arch9wavefront6targetE1EEEvSK_.num_vgpr, 0
	.set _ZN7rocprim17ROCPRIM_400000_NS6detail17trampoline_kernelINS0_14default_configENS1_36segmented_radix_sort_config_selectorIslEEZNS1_25segmented_radix_sort_implIS3_Lb1EPKsPsPKlPlN2at6native12_GLOBAL__N_18offset_tEEE10hipError_tPvRmT1_PNSt15iterator_traitsISK_E10value_typeET2_T3_PNSL_ISQ_E10value_typeET4_jRbjT5_SW_jjP12ihipStream_tbEUlT_E1_NS1_11comp_targetILNS1_3genE8ELNS1_11target_archE1030ELNS1_3gpuE2ELNS1_3repE0EEENS1_59segmented_radix_sort_warp_sort_small_config_static_selectorELNS0_4arch9wavefront6targetE1EEEvSK_.num_agpr, 0
	.set _ZN7rocprim17ROCPRIM_400000_NS6detail17trampoline_kernelINS0_14default_configENS1_36segmented_radix_sort_config_selectorIslEEZNS1_25segmented_radix_sort_implIS3_Lb1EPKsPsPKlPlN2at6native12_GLOBAL__N_18offset_tEEE10hipError_tPvRmT1_PNSt15iterator_traitsISK_E10value_typeET2_T3_PNSL_ISQ_E10value_typeET4_jRbjT5_SW_jjP12ihipStream_tbEUlT_E1_NS1_11comp_targetILNS1_3genE8ELNS1_11target_archE1030ELNS1_3gpuE2ELNS1_3repE0EEENS1_59segmented_radix_sort_warp_sort_small_config_static_selectorELNS0_4arch9wavefront6targetE1EEEvSK_.numbered_sgpr, 0
	.set _ZN7rocprim17ROCPRIM_400000_NS6detail17trampoline_kernelINS0_14default_configENS1_36segmented_radix_sort_config_selectorIslEEZNS1_25segmented_radix_sort_implIS3_Lb1EPKsPsPKlPlN2at6native12_GLOBAL__N_18offset_tEEE10hipError_tPvRmT1_PNSt15iterator_traitsISK_E10value_typeET2_T3_PNSL_ISQ_E10value_typeET4_jRbjT5_SW_jjP12ihipStream_tbEUlT_E1_NS1_11comp_targetILNS1_3genE8ELNS1_11target_archE1030ELNS1_3gpuE2ELNS1_3repE0EEENS1_59segmented_radix_sort_warp_sort_small_config_static_selectorELNS0_4arch9wavefront6targetE1EEEvSK_.num_named_barrier, 0
	.set _ZN7rocprim17ROCPRIM_400000_NS6detail17trampoline_kernelINS0_14default_configENS1_36segmented_radix_sort_config_selectorIslEEZNS1_25segmented_radix_sort_implIS3_Lb1EPKsPsPKlPlN2at6native12_GLOBAL__N_18offset_tEEE10hipError_tPvRmT1_PNSt15iterator_traitsISK_E10value_typeET2_T3_PNSL_ISQ_E10value_typeET4_jRbjT5_SW_jjP12ihipStream_tbEUlT_E1_NS1_11comp_targetILNS1_3genE8ELNS1_11target_archE1030ELNS1_3gpuE2ELNS1_3repE0EEENS1_59segmented_radix_sort_warp_sort_small_config_static_selectorELNS0_4arch9wavefront6targetE1EEEvSK_.private_seg_size, 0
	.set _ZN7rocprim17ROCPRIM_400000_NS6detail17trampoline_kernelINS0_14default_configENS1_36segmented_radix_sort_config_selectorIslEEZNS1_25segmented_radix_sort_implIS3_Lb1EPKsPsPKlPlN2at6native12_GLOBAL__N_18offset_tEEE10hipError_tPvRmT1_PNSt15iterator_traitsISK_E10value_typeET2_T3_PNSL_ISQ_E10value_typeET4_jRbjT5_SW_jjP12ihipStream_tbEUlT_E1_NS1_11comp_targetILNS1_3genE8ELNS1_11target_archE1030ELNS1_3gpuE2ELNS1_3repE0EEENS1_59segmented_radix_sort_warp_sort_small_config_static_selectorELNS0_4arch9wavefront6targetE1EEEvSK_.uses_vcc, 0
	.set _ZN7rocprim17ROCPRIM_400000_NS6detail17trampoline_kernelINS0_14default_configENS1_36segmented_radix_sort_config_selectorIslEEZNS1_25segmented_radix_sort_implIS3_Lb1EPKsPsPKlPlN2at6native12_GLOBAL__N_18offset_tEEE10hipError_tPvRmT1_PNSt15iterator_traitsISK_E10value_typeET2_T3_PNSL_ISQ_E10value_typeET4_jRbjT5_SW_jjP12ihipStream_tbEUlT_E1_NS1_11comp_targetILNS1_3genE8ELNS1_11target_archE1030ELNS1_3gpuE2ELNS1_3repE0EEENS1_59segmented_radix_sort_warp_sort_small_config_static_selectorELNS0_4arch9wavefront6targetE1EEEvSK_.uses_flat_scratch, 0
	.set _ZN7rocprim17ROCPRIM_400000_NS6detail17trampoline_kernelINS0_14default_configENS1_36segmented_radix_sort_config_selectorIslEEZNS1_25segmented_radix_sort_implIS3_Lb1EPKsPsPKlPlN2at6native12_GLOBAL__N_18offset_tEEE10hipError_tPvRmT1_PNSt15iterator_traitsISK_E10value_typeET2_T3_PNSL_ISQ_E10value_typeET4_jRbjT5_SW_jjP12ihipStream_tbEUlT_E1_NS1_11comp_targetILNS1_3genE8ELNS1_11target_archE1030ELNS1_3gpuE2ELNS1_3repE0EEENS1_59segmented_radix_sort_warp_sort_small_config_static_selectorELNS0_4arch9wavefront6targetE1EEEvSK_.has_dyn_sized_stack, 0
	.set _ZN7rocprim17ROCPRIM_400000_NS6detail17trampoline_kernelINS0_14default_configENS1_36segmented_radix_sort_config_selectorIslEEZNS1_25segmented_radix_sort_implIS3_Lb1EPKsPsPKlPlN2at6native12_GLOBAL__N_18offset_tEEE10hipError_tPvRmT1_PNSt15iterator_traitsISK_E10value_typeET2_T3_PNSL_ISQ_E10value_typeET4_jRbjT5_SW_jjP12ihipStream_tbEUlT_E1_NS1_11comp_targetILNS1_3genE8ELNS1_11target_archE1030ELNS1_3gpuE2ELNS1_3repE0EEENS1_59segmented_radix_sort_warp_sort_small_config_static_selectorELNS0_4arch9wavefront6targetE1EEEvSK_.has_recursion, 0
	.set _ZN7rocprim17ROCPRIM_400000_NS6detail17trampoline_kernelINS0_14default_configENS1_36segmented_radix_sort_config_selectorIslEEZNS1_25segmented_radix_sort_implIS3_Lb1EPKsPsPKlPlN2at6native12_GLOBAL__N_18offset_tEEE10hipError_tPvRmT1_PNSt15iterator_traitsISK_E10value_typeET2_T3_PNSL_ISQ_E10value_typeET4_jRbjT5_SW_jjP12ihipStream_tbEUlT_E1_NS1_11comp_targetILNS1_3genE8ELNS1_11target_archE1030ELNS1_3gpuE2ELNS1_3repE0EEENS1_59segmented_radix_sort_warp_sort_small_config_static_selectorELNS0_4arch9wavefront6targetE1EEEvSK_.has_indirect_call, 0
	.section	.AMDGPU.csdata,"",@progbits
; Kernel info:
; codeLenInByte = 0
; TotalNumSgprs: 4
; NumVgprs: 0
; ScratchSize: 0
; MemoryBound: 0
; FloatMode: 240
; IeeeMode: 1
; LDSByteSize: 0 bytes/workgroup (compile time only)
; SGPRBlocks: 0
; VGPRBlocks: 0
; NumSGPRsForWavesPerEU: 4
; NumVGPRsForWavesPerEU: 1
; Occupancy: 10
; WaveLimiterHint : 0
; COMPUTE_PGM_RSRC2:SCRATCH_EN: 0
; COMPUTE_PGM_RSRC2:USER_SGPR: 6
; COMPUTE_PGM_RSRC2:TRAP_HANDLER: 0
; COMPUTE_PGM_RSRC2:TGID_X_EN: 1
; COMPUTE_PGM_RSRC2:TGID_Y_EN: 0
; COMPUTE_PGM_RSRC2:TGID_Z_EN: 0
; COMPUTE_PGM_RSRC2:TIDIG_COMP_CNT: 0
	.section	.text._ZN7rocprim17ROCPRIM_400000_NS6detail17trampoline_kernelINS0_14default_configENS1_36segmented_radix_sort_config_selectorIslEEZNS1_25segmented_radix_sort_implIS3_Lb1EPKsPsPKlPlN2at6native12_GLOBAL__N_18offset_tEEE10hipError_tPvRmT1_PNSt15iterator_traitsISK_E10value_typeET2_T3_PNSL_ISQ_E10value_typeET4_jRbjT5_SW_jjP12ihipStream_tbEUlT_E2_NS1_11comp_targetILNS1_3genE0ELNS1_11target_archE4294967295ELNS1_3gpuE0ELNS1_3repE0EEENS1_30default_config_static_selectorELNS0_4arch9wavefront6targetE1EEEvSK_,"axG",@progbits,_ZN7rocprim17ROCPRIM_400000_NS6detail17trampoline_kernelINS0_14default_configENS1_36segmented_radix_sort_config_selectorIslEEZNS1_25segmented_radix_sort_implIS3_Lb1EPKsPsPKlPlN2at6native12_GLOBAL__N_18offset_tEEE10hipError_tPvRmT1_PNSt15iterator_traitsISK_E10value_typeET2_T3_PNSL_ISQ_E10value_typeET4_jRbjT5_SW_jjP12ihipStream_tbEUlT_E2_NS1_11comp_targetILNS1_3genE0ELNS1_11target_archE4294967295ELNS1_3gpuE0ELNS1_3repE0EEENS1_30default_config_static_selectorELNS0_4arch9wavefront6targetE1EEEvSK_,comdat
	.globl	_ZN7rocprim17ROCPRIM_400000_NS6detail17trampoline_kernelINS0_14default_configENS1_36segmented_radix_sort_config_selectorIslEEZNS1_25segmented_radix_sort_implIS3_Lb1EPKsPsPKlPlN2at6native12_GLOBAL__N_18offset_tEEE10hipError_tPvRmT1_PNSt15iterator_traitsISK_E10value_typeET2_T3_PNSL_ISQ_E10value_typeET4_jRbjT5_SW_jjP12ihipStream_tbEUlT_E2_NS1_11comp_targetILNS1_3genE0ELNS1_11target_archE4294967295ELNS1_3gpuE0ELNS1_3repE0EEENS1_30default_config_static_selectorELNS0_4arch9wavefront6targetE1EEEvSK_ ; -- Begin function _ZN7rocprim17ROCPRIM_400000_NS6detail17trampoline_kernelINS0_14default_configENS1_36segmented_radix_sort_config_selectorIslEEZNS1_25segmented_radix_sort_implIS3_Lb1EPKsPsPKlPlN2at6native12_GLOBAL__N_18offset_tEEE10hipError_tPvRmT1_PNSt15iterator_traitsISK_E10value_typeET2_T3_PNSL_ISQ_E10value_typeET4_jRbjT5_SW_jjP12ihipStream_tbEUlT_E2_NS1_11comp_targetILNS1_3genE0ELNS1_11target_archE4294967295ELNS1_3gpuE0ELNS1_3repE0EEENS1_30default_config_static_selectorELNS0_4arch9wavefront6targetE1EEEvSK_
	.p2align	8
	.type	_ZN7rocprim17ROCPRIM_400000_NS6detail17trampoline_kernelINS0_14default_configENS1_36segmented_radix_sort_config_selectorIslEEZNS1_25segmented_radix_sort_implIS3_Lb1EPKsPsPKlPlN2at6native12_GLOBAL__N_18offset_tEEE10hipError_tPvRmT1_PNSt15iterator_traitsISK_E10value_typeET2_T3_PNSL_ISQ_E10value_typeET4_jRbjT5_SW_jjP12ihipStream_tbEUlT_E2_NS1_11comp_targetILNS1_3genE0ELNS1_11target_archE4294967295ELNS1_3gpuE0ELNS1_3repE0EEENS1_30default_config_static_selectorELNS0_4arch9wavefront6targetE1EEEvSK_,@function
_ZN7rocprim17ROCPRIM_400000_NS6detail17trampoline_kernelINS0_14default_configENS1_36segmented_radix_sort_config_selectorIslEEZNS1_25segmented_radix_sort_implIS3_Lb1EPKsPsPKlPlN2at6native12_GLOBAL__N_18offset_tEEE10hipError_tPvRmT1_PNSt15iterator_traitsISK_E10value_typeET2_T3_PNSL_ISQ_E10value_typeET4_jRbjT5_SW_jjP12ihipStream_tbEUlT_E2_NS1_11comp_targetILNS1_3genE0ELNS1_11target_archE4294967295ELNS1_3gpuE0ELNS1_3repE0EEENS1_30default_config_static_selectorELNS0_4arch9wavefront6targetE1EEEvSK_: ; @_ZN7rocprim17ROCPRIM_400000_NS6detail17trampoline_kernelINS0_14default_configENS1_36segmented_radix_sort_config_selectorIslEEZNS1_25segmented_radix_sort_implIS3_Lb1EPKsPsPKlPlN2at6native12_GLOBAL__N_18offset_tEEE10hipError_tPvRmT1_PNSt15iterator_traitsISK_E10value_typeET2_T3_PNSL_ISQ_E10value_typeET4_jRbjT5_SW_jjP12ihipStream_tbEUlT_E2_NS1_11comp_targetILNS1_3genE0ELNS1_11target_archE4294967295ELNS1_3gpuE0ELNS1_3repE0EEENS1_30default_config_static_selectorELNS0_4arch9wavefront6targetE1EEEvSK_
; %bb.0:
	.section	.rodata,"a",@progbits
	.p2align	6, 0x0
	.amdhsa_kernel _ZN7rocprim17ROCPRIM_400000_NS6detail17trampoline_kernelINS0_14default_configENS1_36segmented_radix_sort_config_selectorIslEEZNS1_25segmented_radix_sort_implIS3_Lb1EPKsPsPKlPlN2at6native12_GLOBAL__N_18offset_tEEE10hipError_tPvRmT1_PNSt15iterator_traitsISK_E10value_typeET2_T3_PNSL_ISQ_E10value_typeET4_jRbjT5_SW_jjP12ihipStream_tbEUlT_E2_NS1_11comp_targetILNS1_3genE0ELNS1_11target_archE4294967295ELNS1_3gpuE0ELNS1_3repE0EEENS1_30default_config_static_selectorELNS0_4arch9wavefront6targetE1EEEvSK_
		.amdhsa_group_segment_fixed_size 0
		.amdhsa_private_segment_fixed_size 0
		.amdhsa_kernarg_size 80
		.amdhsa_user_sgpr_count 6
		.amdhsa_user_sgpr_private_segment_buffer 1
		.amdhsa_user_sgpr_dispatch_ptr 0
		.amdhsa_user_sgpr_queue_ptr 0
		.amdhsa_user_sgpr_kernarg_segment_ptr 1
		.amdhsa_user_sgpr_dispatch_id 0
		.amdhsa_user_sgpr_flat_scratch_init 0
		.amdhsa_user_sgpr_private_segment_size 0
		.amdhsa_uses_dynamic_stack 0
		.amdhsa_system_sgpr_private_segment_wavefront_offset 0
		.amdhsa_system_sgpr_workgroup_id_x 1
		.amdhsa_system_sgpr_workgroup_id_y 0
		.amdhsa_system_sgpr_workgroup_id_z 0
		.amdhsa_system_sgpr_workgroup_info 0
		.amdhsa_system_vgpr_workitem_id 0
		.amdhsa_next_free_vgpr 1
		.amdhsa_next_free_sgpr 0
		.amdhsa_reserve_vcc 0
		.amdhsa_reserve_flat_scratch 0
		.amdhsa_float_round_mode_32 0
		.amdhsa_float_round_mode_16_64 0
		.amdhsa_float_denorm_mode_32 3
		.amdhsa_float_denorm_mode_16_64 3
		.amdhsa_dx10_clamp 1
		.amdhsa_ieee_mode 1
		.amdhsa_fp16_overflow 0
		.amdhsa_exception_fp_ieee_invalid_op 0
		.amdhsa_exception_fp_denorm_src 0
		.amdhsa_exception_fp_ieee_div_zero 0
		.amdhsa_exception_fp_ieee_overflow 0
		.amdhsa_exception_fp_ieee_underflow 0
		.amdhsa_exception_fp_ieee_inexact 0
		.amdhsa_exception_int_div_zero 0
	.end_amdhsa_kernel
	.section	.text._ZN7rocprim17ROCPRIM_400000_NS6detail17trampoline_kernelINS0_14default_configENS1_36segmented_radix_sort_config_selectorIslEEZNS1_25segmented_radix_sort_implIS3_Lb1EPKsPsPKlPlN2at6native12_GLOBAL__N_18offset_tEEE10hipError_tPvRmT1_PNSt15iterator_traitsISK_E10value_typeET2_T3_PNSL_ISQ_E10value_typeET4_jRbjT5_SW_jjP12ihipStream_tbEUlT_E2_NS1_11comp_targetILNS1_3genE0ELNS1_11target_archE4294967295ELNS1_3gpuE0ELNS1_3repE0EEENS1_30default_config_static_selectorELNS0_4arch9wavefront6targetE1EEEvSK_,"axG",@progbits,_ZN7rocprim17ROCPRIM_400000_NS6detail17trampoline_kernelINS0_14default_configENS1_36segmented_radix_sort_config_selectorIslEEZNS1_25segmented_radix_sort_implIS3_Lb1EPKsPsPKlPlN2at6native12_GLOBAL__N_18offset_tEEE10hipError_tPvRmT1_PNSt15iterator_traitsISK_E10value_typeET2_T3_PNSL_ISQ_E10value_typeET4_jRbjT5_SW_jjP12ihipStream_tbEUlT_E2_NS1_11comp_targetILNS1_3genE0ELNS1_11target_archE4294967295ELNS1_3gpuE0ELNS1_3repE0EEENS1_30default_config_static_selectorELNS0_4arch9wavefront6targetE1EEEvSK_,comdat
.Lfunc_end941:
	.size	_ZN7rocprim17ROCPRIM_400000_NS6detail17trampoline_kernelINS0_14default_configENS1_36segmented_radix_sort_config_selectorIslEEZNS1_25segmented_radix_sort_implIS3_Lb1EPKsPsPKlPlN2at6native12_GLOBAL__N_18offset_tEEE10hipError_tPvRmT1_PNSt15iterator_traitsISK_E10value_typeET2_T3_PNSL_ISQ_E10value_typeET4_jRbjT5_SW_jjP12ihipStream_tbEUlT_E2_NS1_11comp_targetILNS1_3genE0ELNS1_11target_archE4294967295ELNS1_3gpuE0ELNS1_3repE0EEENS1_30default_config_static_selectorELNS0_4arch9wavefront6targetE1EEEvSK_, .Lfunc_end941-_ZN7rocprim17ROCPRIM_400000_NS6detail17trampoline_kernelINS0_14default_configENS1_36segmented_radix_sort_config_selectorIslEEZNS1_25segmented_radix_sort_implIS3_Lb1EPKsPsPKlPlN2at6native12_GLOBAL__N_18offset_tEEE10hipError_tPvRmT1_PNSt15iterator_traitsISK_E10value_typeET2_T3_PNSL_ISQ_E10value_typeET4_jRbjT5_SW_jjP12ihipStream_tbEUlT_E2_NS1_11comp_targetILNS1_3genE0ELNS1_11target_archE4294967295ELNS1_3gpuE0ELNS1_3repE0EEENS1_30default_config_static_selectorELNS0_4arch9wavefront6targetE1EEEvSK_
                                        ; -- End function
	.set _ZN7rocprim17ROCPRIM_400000_NS6detail17trampoline_kernelINS0_14default_configENS1_36segmented_radix_sort_config_selectorIslEEZNS1_25segmented_radix_sort_implIS3_Lb1EPKsPsPKlPlN2at6native12_GLOBAL__N_18offset_tEEE10hipError_tPvRmT1_PNSt15iterator_traitsISK_E10value_typeET2_T3_PNSL_ISQ_E10value_typeET4_jRbjT5_SW_jjP12ihipStream_tbEUlT_E2_NS1_11comp_targetILNS1_3genE0ELNS1_11target_archE4294967295ELNS1_3gpuE0ELNS1_3repE0EEENS1_30default_config_static_selectorELNS0_4arch9wavefront6targetE1EEEvSK_.num_vgpr, 0
	.set _ZN7rocprim17ROCPRIM_400000_NS6detail17trampoline_kernelINS0_14default_configENS1_36segmented_radix_sort_config_selectorIslEEZNS1_25segmented_radix_sort_implIS3_Lb1EPKsPsPKlPlN2at6native12_GLOBAL__N_18offset_tEEE10hipError_tPvRmT1_PNSt15iterator_traitsISK_E10value_typeET2_T3_PNSL_ISQ_E10value_typeET4_jRbjT5_SW_jjP12ihipStream_tbEUlT_E2_NS1_11comp_targetILNS1_3genE0ELNS1_11target_archE4294967295ELNS1_3gpuE0ELNS1_3repE0EEENS1_30default_config_static_selectorELNS0_4arch9wavefront6targetE1EEEvSK_.num_agpr, 0
	.set _ZN7rocprim17ROCPRIM_400000_NS6detail17trampoline_kernelINS0_14default_configENS1_36segmented_radix_sort_config_selectorIslEEZNS1_25segmented_radix_sort_implIS3_Lb1EPKsPsPKlPlN2at6native12_GLOBAL__N_18offset_tEEE10hipError_tPvRmT1_PNSt15iterator_traitsISK_E10value_typeET2_T3_PNSL_ISQ_E10value_typeET4_jRbjT5_SW_jjP12ihipStream_tbEUlT_E2_NS1_11comp_targetILNS1_3genE0ELNS1_11target_archE4294967295ELNS1_3gpuE0ELNS1_3repE0EEENS1_30default_config_static_selectorELNS0_4arch9wavefront6targetE1EEEvSK_.numbered_sgpr, 0
	.set _ZN7rocprim17ROCPRIM_400000_NS6detail17trampoline_kernelINS0_14default_configENS1_36segmented_radix_sort_config_selectorIslEEZNS1_25segmented_radix_sort_implIS3_Lb1EPKsPsPKlPlN2at6native12_GLOBAL__N_18offset_tEEE10hipError_tPvRmT1_PNSt15iterator_traitsISK_E10value_typeET2_T3_PNSL_ISQ_E10value_typeET4_jRbjT5_SW_jjP12ihipStream_tbEUlT_E2_NS1_11comp_targetILNS1_3genE0ELNS1_11target_archE4294967295ELNS1_3gpuE0ELNS1_3repE0EEENS1_30default_config_static_selectorELNS0_4arch9wavefront6targetE1EEEvSK_.num_named_barrier, 0
	.set _ZN7rocprim17ROCPRIM_400000_NS6detail17trampoline_kernelINS0_14default_configENS1_36segmented_radix_sort_config_selectorIslEEZNS1_25segmented_radix_sort_implIS3_Lb1EPKsPsPKlPlN2at6native12_GLOBAL__N_18offset_tEEE10hipError_tPvRmT1_PNSt15iterator_traitsISK_E10value_typeET2_T3_PNSL_ISQ_E10value_typeET4_jRbjT5_SW_jjP12ihipStream_tbEUlT_E2_NS1_11comp_targetILNS1_3genE0ELNS1_11target_archE4294967295ELNS1_3gpuE0ELNS1_3repE0EEENS1_30default_config_static_selectorELNS0_4arch9wavefront6targetE1EEEvSK_.private_seg_size, 0
	.set _ZN7rocprim17ROCPRIM_400000_NS6detail17trampoline_kernelINS0_14default_configENS1_36segmented_radix_sort_config_selectorIslEEZNS1_25segmented_radix_sort_implIS3_Lb1EPKsPsPKlPlN2at6native12_GLOBAL__N_18offset_tEEE10hipError_tPvRmT1_PNSt15iterator_traitsISK_E10value_typeET2_T3_PNSL_ISQ_E10value_typeET4_jRbjT5_SW_jjP12ihipStream_tbEUlT_E2_NS1_11comp_targetILNS1_3genE0ELNS1_11target_archE4294967295ELNS1_3gpuE0ELNS1_3repE0EEENS1_30default_config_static_selectorELNS0_4arch9wavefront6targetE1EEEvSK_.uses_vcc, 0
	.set _ZN7rocprim17ROCPRIM_400000_NS6detail17trampoline_kernelINS0_14default_configENS1_36segmented_radix_sort_config_selectorIslEEZNS1_25segmented_radix_sort_implIS3_Lb1EPKsPsPKlPlN2at6native12_GLOBAL__N_18offset_tEEE10hipError_tPvRmT1_PNSt15iterator_traitsISK_E10value_typeET2_T3_PNSL_ISQ_E10value_typeET4_jRbjT5_SW_jjP12ihipStream_tbEUlT_E2_NS1_11comp_targetILNS1_3genE0ELNS1_11target_archE4294967295ELNS1_3gpuE0ELNS1_3repE0EEENS1_30default_config_static_selectorELNS0_4arch9wavefront6targetE1EEEvSK_.uses_flat_scratch, 0
	.set _ZN7rocprim17ROCPRIM_400000_NS6detail17trampoline_kernelINS0_14default_configENS1_36segmented_radix_sort_config_selectorIslEEZNS1_25segmented_radix_sort_implIS3_Lb1EPKsPsPKlPlN2at6native12_GLOBAL__N_18offset_tEEE10hipError_tPvRmT1_PNSt15iterator_traitsISK_E10value_typeET2_T3_PNSL_ISQ_E10value_typeET4_jRbjT5_SW_jjP12ihipStream_tbEUlT_E2_NS1_11comp_targetILNS1_3genE0ELNS1_11target_archE4294967295ELNS1_3gpuE0ELNS1_3repE0EEENS1_30default_config_static_selectorELNS0_4arch9wavefront6targetE1EEEvSK_.has_dyn_sized_stack, 0
	.set _ZN7rocprim17ROCPRIM_400000_NS6detail17trampoline_kernelINS0_14default_configENS1_36segmented_radix_sort_config_selectorIslEEZNS1_25segmented_radix_sort_implIS3_Lb1EPKsPsPKlPlN2at6native12_GLOBAL__N_18offset_tEEE10hipError_tPvRmT1_PNSt15iterator_traitsISK_E10value_typeET2_T3_PNSL_ISQ_E10value_typeET4_jRbjT5_SW_jjP12ihipStream_tbEUlT_E2_NS1_11comp_targetILNS1_3genE0ELNS1_11target_archE4294967295ELNS1_3gpuE0ELNS1_3repE0EEENS1_30default_config_static_selectorELNS0_4arch9wavefront6targetE1EEEvSK_.has_recursion, 0
	.set _ZN7rocprim17ROCPRIM_400000_NS6detail17trampoline_kernelINS0_14default_configENS1_36segmented_radix_sort_config_selectorIslEEZNS1_25segmented_radix_sort_implIS3_Lb1EPKsPsPKlPlN2at6native12_GLOBAL__N_18offset_tEEE10hipError_tPvRmT1_PNSt15iterator_traitsISK_E10value_typeET2_T3_PNSL_ISQ_E10value_typeET4_jRbjT5_SW_jjP12ihipStream_tbEUlT_E2_NS1_11comp_targetILNS1_3genE0ELNS1_11target_archE4294967295ELNS1_3gpuE0ELNS1_3repE0EEENS1_30default_config_static_selectorELNS0_4arch9wavefront6targetE1EEEvSK_.has_indirect_call, 0
	.section	.AMDGPU.csdata,"",@progbits
; Kernel info:
; codeLenInByte = 0
; TotalNumSgprs: 4
; NumVgprs: 0
; ScratchSize: 0
; MemoryBound: 0
; FloatMode: 240
; IeeeMode: 1
; LDSByteSize: 0 bytes/workgroup (compile time only)
; SGPRBlocks: 0
; VGPRBlocks: 0
; NumSGPRsForWavesPerEU: 4
; NumVGPRsForWavesPerEU: 1
; Occupancy: 10
; WaveLimiterHint : 0
; COMPUTE_PGM_RSRC2:SCRATCH_EN: 0
; COMPUTE_PGM_RSRC2:USER_SGPR: 6
; COMPUTE_PGM_RSRC2:TRAP_HANDLER: 0
; COMPUTE_PGM_RSRC2:TGID_X_EN: 1
; COMPUTE_PGM_RSRC2:TGID_Y_EN: 0
; COMPUTE_PGM_RSRC2:TGID_Z_EN: 0
; COMPUTE_PGM_RSRC2:TIDIG_COMP_CNT: 0
	.section	.text._ZN7rocprim17ROCPRIM_400000_NS6detail17trampoline_kernelINS0_14default_configENS1_36segmented_radix_sort_config_selectorIslEEZNS1_25segmented_radix_sort_implIS3_Lb1EPKsPsPKlPlN2at6native12_GLOBAL__N_18offset_tEEE10hipError_tPvRmT1_PNSt15iterator_traitsISK_E10value_typeET2_T3_PNSL_ISQ_E10value_typeET4_jRbjT5_SW_jjP12ihipStream_tbEUlT_E2_NS1_11comp_targetILNS1_3genE5ELNS1_11target_archE942ELNS1_3gpuE9ELNS1_3repE0EEENS1_30default_config_static_selectorELNS0_4arch9wavefront6targetE1EEEvSK_,"axG",@progbits,_ZN7rocprim17ROCPRIM_400000_NS6detail17trampoline_kernelINS0_14default_configENS1_36segmented_radix_sort_config_selectorIslEEZNS1_25segmented_radix_sort_implIS3_Lb1EPKsPsPKlPlN2at6native12_GLOBAL__N_18offset_tEEE10hipError_tPvRmT1_PNSt15iterator_traitsISK_E10value_typeET2_T3_PNSL_ISQ_E10value_typeET4_jRbjT5_SW_jjP12ihipStream_tbEUlT_E2_NS1_11comp_targetILNS1_3genE5ELNS1_11target_archE942ELNS1_3gpuE9ELNS1_3repE0EEENS1_30default_config_static_selectorELNS0_4arch9wavefront6targetE1EEEvSK_,comdat
	.globl	_ZN7rocprim17ROCPRIM_400000_NS6detail17trampoline_kernelINS0_14default_configENS1_36segmented_radix_sort_config_selectorIslEEZNS1_25segmented_radix_sort_implIS3_Lb1EPKsPsPKlPlN2at6native12_GLOBAL__N_18offset_tEEE10hipError_tPvRmT1_PNSt15iterator_traitsISK_E10value_typeET2_T3_PNSL_ISQ_E10value_typeET4_jRbjT5_SW_jjP12ihipStream_tbEUlT_E2_NS1_11comp_targetILNS1_3genE5ELNS1_11target_archE942ELNS1_3gpuE9ELNS1_3repE0EEENS1_30default_config_static_selectorELNS0_4arch9wavefront6targetE1EEEvSK_ ; -- Begin function _ZN7rocprim17ROCPRIM_400000_NS6detail17trampoline_kernelINS0_14default_configENS1_36segmented_radix_sort_config_selectorIslEEZNS1_25segmented_radix_sort_implIS3_Lb1EPKsPsPKlPlN2at6native12_GLOBAL__N_18offset_tEEE10hipError_tPvRmT1_PNSt15iterator_traitsISK_E10value_typeET2_T3_PNSL_ISQ_E10value_typeET4_jRbjT5_SW_jjP12ihipStream_tbEUlT_E2_NS1_11comp_targetILNS1_3genE5ELNS1_11target_archE942ELNS1_3gpuE9ELNS1_3repE0EEENS1_30default_config_static_selectorELNS0_4arch9wavefront6targetE1EEEvSK_
	.p2align	8
	.type	_ZN7rocprim17ROCPRIM_400000_NS6detail17trampoline_kernelINS0_14default_configENS1_36segmented_radix_sort_config_selectorIslEEZNS1_25segmented_radix_sort_implIS3_Lb1EPKsPsPKlPlN2at6native12_GLOBAL__N_18offset_tEEE10hipError_tPvRmT1_PNSt15iterator_traitsISK_E10value_typeET2_T3_PNSL_ISQ_E10value_typeET4_jRbjT5_SW_jjP12ihipStream_tbEUlT_E2_NS1_11comp_targetILNS1_3genE5ELNS1_11target_archE942ELNS1_3gpuE9ELNS1_3repE0EEENS1_30default_config_static_selectorELNS0_4arch9wavefront6targetE1EEEvSK_,@function
_ZN7rocprim17ROCPRIM_400000_NS6detail17trampoline_kernelINS0_14default_configENS1_36segmented_radix_sort_config_selectorIslEEZNS1_25segmented_radix_sort_implIS3_Lb1EPKsPsPKlPlN2at6native12_GLOBAL__N_18offset_tEEE10hipError_tPvRmT1_PNSt15iterator_traitsISK_E10value_typeET2_T3_PNSL_ISQ_E10value_typeET4_jRbjT5_SW_jjP12ihipStream_tbEUlT_E2_NS1_11comp_targetILNS1_3genE5ELNS1_11target_archE942ELNS1_3gpuE9ELNS1_3repE0EEENS1_30default_config_static_selectorELNS0_4arch9wavefront6targetE1EEEvSK_: ; @_ZN7rocprim17ROCPRIM_400000_NS6detail17trampoline_kernelINS0_14default_configENS1_36segmented_radix_sort_config_selectorIslEEZNS1_25segmented_radix_sort_implIS3_Lb1EPKsPsPKlPlN2at6native12_GLOBAL__N_18offset_tEEE10hipError_tPvRmT1_PNSt15iterator_traitsISK_E10value_typeET2_T3_PNSL_ISQ_E10value_typeET4_jRbjT5_SW_jjP12ihipStream_tbEUlT_E2_NS1_11comp_targetILNS1_3genE5ELNS1_11target_archE942ELNS1_3gpuE9ELNS1_3repE0EEENS1_30default_config_static_selectorELNS0_4arch9wavefront6targetE1EEEvSK_
; %bb.0:
	.section	.rodata,"a",@progbits
	.p2align	6, 0x0
	.amdhsa_kernel _ZN7rocprim17ROCPRIM_400000_NS6detail17trampoline_kernelINS0_14default_configENS1_36segmented_radix_sort_config_selectorIslEEZNS1_25segmented_radix_sort_implIS3_Lb1EPKsPsPKlPlN2at6native12_GLOBAL__N_18offset_tEEE10hipError_tPvRmT1_PNSt15iterator_traitsISK_E10value_typeET2_T3_PNSL_ISQ_E10value_typeET4_jRbjT5_SW_jjP12ihipStream_tbEUlT_E2_NS1_11comp_targetILNS1_3genE5ELNS1_11target_archE942ELNS1_3gpuE9ELNS1_3repE0EEENS1_30default_config_static_selectorELNS0_4arch9wavefront6targetE1EEEvSK_
		.amdhsa_group_segment_fixed_size 0
		.amdhsa_private_segment_fixed_size 0
		.amdhsa_kernarg_size 80
		.amdhsa_user_sgpr_count 6
		.amdhsa_user_sgpr_private_segment_buffer 1
		.amdhsa_user_sgpr_dispatch_ptr 0
		.amdhsa_user_sgpr_queue_ptr 0
		.amdhsa_user_sgpr_kernarg_segment_ptr 1
		.amdhsa_user_sgpr_dispatch_id 0
		.amdhsa_user_sgpr_flat_scratch_init 0
		.amdhsa_user_sgpr_private_segment_size 0
		.amdhsa_uses_dynamic_stack 0
		.amdhsa_system_sgpr_private_segment_wavefront_offset 0
		.amdhsa_system_sgpr_workgroup_id_x 1
		.amdhsa_system_sgpr_workgroup_id_y 0
		.amdhsa_system_sgpr_workgroup_id_z 0
		.amdhsa_system_sgpr_workgroup_info 0
		.amdhsa_system_vgpr_workitem_id 0
		.amdhsa_next_free_vgpr 1
		.amdhsa_next_free_sgpr 0
		.amdhsa_reserve_vcc 0
		.amdhsa_reserve_flat_scratch 0
		.amdhsa_float_round_mode_32 0
		.amdhsa_float_round_mode_16_64 0
		.amdhsa_float_denorm_mode_32 3
		.amdhsa_float_denorm_mode_16_64 3
		.amdhsa_dx10_clamp 1
		.amdhsa_ieee_mode 1
		.amdhsa_fp16_overflow 0
		.amdhsa_exception_fp_ieee_invalid_op 0
		.amdhsa_exception_fp_denorm_src 0
		.amdhsa_exception_fp_ieee_div_zero 0
		.amdhsa_exception_fp_ieee_overflow 0
		.amdhsa_exception_fp_ieee_underflow 0
		.amdhsa_exception_fp_ieee_inexact 0
		.amdhsa_exception_int_div_zero 0
	.end_amdhsa_kernel
	.section	.text._ZN7rocprim17ROCPRIM_400000_NS6detail17trampoline_kernelINS0_14default_configENS1_36segmented_radix_sort_config_selectorIslEEZNS1_25segmented_radix_sort_implIS3_Lb1EPKsPsPKlPlN2at6native12_GLOBAL__N_18offset_tEEE10hipError_tPvRmT1_PNSt15iterator_traitsISK_E10value_typeET2_T3_PNSL_ISQ_E10value_typeET4_jRbjT5_SW_jjP12ihipStream_tbEUlT_E2_NS1_11comp_targetILNS1_3genE5ELNS1_11target_archE942ELNS1_3gpuE9ELNS1_3repE0EEENS1_30default_config_static_selectorELNS0_4arch9wavefront6targetE1EEEvSK_,"axG",@progbits,_ZN7rocprim17ROCPRIM_400000_NS6detail17trampoline_kernelINS0_14default_configENS1_36segmented_radix_sort_config_selectorIslEEZNS1_25segmented_radix_sort_implIS3_Lb1EPKsPsPKlPlN2at6native12_GLOBAL__N_18offset_tEEE10hipError_tPvRmT1_PNSt15iterator_traitsISK_E10value_typeET2_T3_PNSL_ISQ_E10value_typeET4_jRbjT5_SW_jjP12ihipStream_tbEUlT_E2_NS1_11comp_targetILNS1_3genE5ELNS1_11target_archE942ELNS1_3gpuE9ELNS1_3repE0EEENS1_30default_config_static_selectorELNS0_4arch9wavefront6targetE1EEEvSK_,comdat
.Lfunc_end942:
	.size	_ZN7rocprim17ROCPRIM_400000_NS6detail17trampoline_kernelINS0_14default_configENS1_36segmented_radix_sort_config_selectorIslEEZNS1_25segmented_radix_sort_implIS3_Lb1EPKsPsPKlPlN2at6native12_GLOBAL__N_18offset_tEEE10hipError_tPvRmT1_PNSt15iterator_traitsISK_E10value_typeET2_T3_PNSL_ISQ_E10value_typeET4_jRbjT5_SW_jjP12ihipStream_tbEUlT_E2_NS1_11comp_targetILNS1_3genE5ELNS1_11target_archE942ELNS1_3gpuE9ELNS1_3repE0EEENS1_30default_config_static_selectorELNS0_4arch9wavefront6targetE1EEEvSK_, .Lfunc_end942-_ZN7rocprim17ROCPRIM_400000_NS6detail17trampoline_kernelINS0_14default_configENS1_36segmented_radix_sort_config_selectorIslEEZNS1_25segmented_radix_sort_implIS3_Lb1EPKsPsPKlPlN2at6native12_GLOBAL__N_18offset_tEEE10hipError_tPvRmT1_PNSt15iterator_traitsISK_E10value_typeET2_T3_PNSL_ISQ_E10value_typeET4_jRbjT5_SW_jjP12ihipStream_tbEUlT_E2_NS1_11comp_targetILNS1_3genE5ELNS1_11target_archE942ELNS1_3gpuE9ELNS1_3repE0EEENS1_30default_config_static_selectorELNS0_4arch9wavefront6targetE1EEEvSK_
                                        ; -- End function
	.set _ZN7rocprim17ROCPRIM_400000_NS6detail17trampoline_kernelINS0_14default_configENS1_36segmented_radix_sort_config_selectorIslEEZNS1_25segmented_radix_sort_implIS3_Lb1EPKsPsPKlPlN2at6native12_GLOBAL__N_18offset_tEEE10hipError_tPvRmT1_PNSt15iterator_traitsISK_E10value_typeET2_T3_PNSL_ISQ_E10value_typeET4_jRbjT5_SW_jjP12ihipStream_tbEUlT_E2_NS1_11comp_targetILNS1_3genE5ELNS1_11target_archE942ELNS1_3gpuE9ELNS1_3repE0EEENS1_30default_config_static_selectorELNS0_4arch9wavefront6targetE1EEEvSK_.num_vgpr, 0
	.set _ZN7rocprim17ROCPRIM_400000_NS6detail17trampoline_kernelINS0_14default_configENS1_36segmented_radix_sort_config_selectorIslEEZNS1_25segmented_radix_sort_implIS3_Lb1EPKsPsPKlPlN2at6native12_GLOBAL__N_18offset_tEEE10hipError_tPvRmT1_PNSt15iterator_traitsISK_E10value_typeET2_T3_PNSL_ISQ_E10value_typeET4_jRbjT5_SW_jjP12ihipStream_tbEUlT_E2_NS1_11comp_targetILNS1_3genE5ELNS1_11target_archE942ELNS1_3gpuE9ELNS1_3repE0EEENS1_30default_config_static_selectorELNS0_4arch9wavefront6targetE1EEEvSK_.num_agpr, 0
	.set _ZN7rocprim17ROCPRIM_400000_NS6detail17trampoline_kernelINS0_14default_configENS1_36segmented_radix_sort_config_selectorIslEEZNS1_25segmented_radix_sort_implIS3_Lb1EPKsPsPKlPlN2at6native12_GLOBAL__N_18offset_tEEE10hipError_tPvRmT1_PNSt15iterator_traitsISK_E10value_typeET2_T3_PNSL_ISQ_E10value_typeET4_jRbjT5_SW_jjP12ihipStream_tbEUlT_E2_NS1_11comp_targetILNS1_3genE5ELNS1_11target_archE942ELNS1_3gpuE9ELNS1_3repE0EEENS1_30default_config_static_selectorELNS0_4arch9wavefront6targetE1EEEvSK_.numbered_sgpr, 0
	.set _ZN7rocprim17ROCPRIM_400000_NS6detail17trampoline_kernelINS0_14default_configENS1_36segmented_radix_sort_config_selectorIslEEZNS1_25segmented_radix_sort_implIS3_Lb1EPKsPsPKlPlN2at6native12_GLOBAL__N_18offset_tEEE10hipError_tPvRmT1_PNSt15iterator_traitsISK_E10value_typeET2_T3_PNSL_ISQ_E10value_typeET4_jRbjT5_SW_jjP12ihipStream_tbEUlT_E2_NS1_11comp_targetILNS1_3genE5ELNS1_11target_archE942ELNS1_3gpuE9ELNS1_3repE0EEENS1_30default_config_static_selectorELNS0_4arch9wavefront6targetE1EEEvSK_.num_named_barrier, 0
	.set _ZN7rocprim17ROCPRIM_400000_NS6detail17trampoline_kernelINS0_14default_configENS1_36segmented_radix_sort_config_selectorIslEEZNS1_25segmented_radix_sort_implIS3_Lb1EPKsPsPKlPlN2at6native12_GLOBAL__N_18offset_tEEE10hipError_tPvRmT1_PNSt15iterator_traitsISK_E10value_typeET2_T3_PNSL_ISQ_E10value_typeET4_jRbjT5_SW_jjP12ihipStream_tbEUlT_E2_NS1_11comp_targetILNS1_3genE5ELNS1_11target_archE942ELNS1_3gpuE9ELNS1_3repE0EEENS1_30default_config_static_selectorELNS0_4arch9wavefront6targetE1EEEvSK_.private_seg_size, 0
	.set _ZN7rocprim17ROCPRIM_400000_NS6detail17trampoline_kernelINS0_14default_configENS1_36segmented_radix_sort_config_selectorIslEEZNS1_25segmented_radix_sort_implIS3_Lb1EPKsPsPKlPlN2at6native12_GLOBAL__N_18offset_tEEE10hipError_tPvRmT1_PNSt15iterator_traitsISK_E10value_typeET2_T3_PNSL_ISQ_E10value_typeET4_jRbjT5_SW_jjP12ihipStream_tbEUlT_E2_NS1_11comp_targetILNS1_3genE5ELNS1_11target_archE942ELNS1_3gpuE9ELNS1_3repE0EEENS1_30default_config_static_selectorELNS0_4arch9wavefront6targetE1EEEvSK_.uses_vcc, 0
	.set _ZN7rocprim17ROCPRIM_400000_NS6detail17trampoline_kernelINS0_14default_configENS1_36segmented_radix_sort_config_selectorIslEEZNS1_25segmented_radix_sort_implIS3_Lb1EPKsPsPKlPlN2at6native12_GLOBAL__N_18offset_tEEE10hipError_tPvRmT1_PNSt15iterator_traitsISK_E10value_typeET2_T3_PNSL_ISQ_E10value_typeET4_jRbjT5_SW_jjP12ihipStream_tbEUlT_E2_NS1_11comp_targetILNS1_3genE5ELNS1_11target_archE942ELNS1_3gpuE9ELNS1_3repE0EEENS1_30default_config_static_selectorELNS0_4arch9wavefront6targetE1EEEvSK_.uses_flat_scratch, 0
	.set _ZN7rocprim17ROCPRIM_400000_NS6detail17trampoline_kernelINS0_14default_configENS1_36segmented_radix_sort_config_selectorIslEEZNS1_25segmented_radix_sort_implIS3_Lb1EPKsPsPKlPlN2at6native12_GLOBAL__N_18offset_tEEE10hipError_tPvRmT1_PNSt15iterator_traitsISK_E10value_typeET2_T3_PNSL_ISQ_E10value_typeET4_jRbjT5_SW_jjP12ihipStream_tbEUlT_E2_NS1_11comp_targetILNS1_3genE5ELNS1_11target_archE942ELNS1_3gpuE9ELNS1_3repE0EEENS1_30default_config_static_selectorELNS0_4arch9wavefront6targetE1EEEvSK_.has_dyn_sized_stack, 0
	.set _ZN7rocprim17ROCPRIM_400000_NS6detail17trampoline_kernelINS0_14default_configENS1_36segmented_radix_sort_config_selectorIslEEZNS1_25segmented_radix_sort_implIS3_Lb1EPKsPsPKlPlN2at6native12_GLOBAL__N_18offset_tEEE10hipError_tPvRmT1_PNSt15iterator_traitsISK_E10value_typeET2_T3_PNSL_ISQ_E10value_typeET4_jRbjT5_SW_jjP12ihipStream_tbEUlT_E2_NS1_11comp_targetILNS1_3genE5ELNS1_11target_archE942ELNS1_3gpuE9ELNS1_3repE0EEENS1_30default_config_static_selectorELNS0_4arch9wavefront6targetE1EEEvSK_.has_recursion, 0
	.set _ZN7rocprim17ROCPRIM_400000_NS6detail17trampoline_kernelINS0_14default_configENS1_36segmented_radix_sort_config_selectorIslEEZNS1_25segmented_radix_sort_implIS3_Lb1EPKsPsPKlPlN2at6native12_GLOBAL__N_18offset_tEEE10hipError_tPvRmT1_PNSt15iterator_traitsISK_E10value_typeET2_T3_PNSL_ISQ_E10value_typeET4_jRbjT5_SW_jjP12ihipStream_tbEUlT_E2_NS1_11comp_targetILNS1_3genE5ELNS1_11target_archE942ELNS1_3gpuE9ELNS1_3repE0EEENS1_30default_config_static_selectorELNS0_4arch9wavefront6targetE1EEEvSK_.has_indirect_call, 0
	.section	.AMDGPU.csdata,"",@progbits
; Kernel info:
; codeLenInByte = 0
; TotalNumSgprs: 4
; NumVgprs: 0
; ScratchSize: 0
; MemoryBound: 0
; FloatMode: 240
; IeeeMode: 1
; LDSByteSize: 0 bytes/workgroup (compile time only)
; SGPRBlocks: 0
; VGPRBlocks: 0
; NumSGPRsForWavesPerEU: 4
; NumVGPRsForWavesPerEU: 1
; Occupancy: 10
; WaveLimiterHint : 0
; COMPUTE_PGM_RSRC2:SCRATCH_EN: 0
; COMPUTE_PGM_RSRC2:USER_SGPR: 6
; COMPUTE_PGM_RSRC2:TRAP_HANDLER: 0
; COMPUTE_PGM_RSRC2:TGID_X_EN: 1
; COMPUTE_PGM_RSRC2:TGID_Y_EN: 0
; COMPUTE_PGM_RSRC2:TGID_Z_EN: 0
; COMPUTE_PGM_RSRC2:TIDIG_COMP_CNT: 0
	.section	.text._ZN7rocprim17ROCPRIM_400000_NS6detail17trampoline_kernelINS0_14default_configENS1_36segmented_radix_sort_config_selectorIslEEZNS1_25segmented_radix_sort_implIS3_Lb1EPKsPsPKlPlN2at6native12_GLOBAL__N_18offset_tEEE10hipError_tPvRmT1_PNSt15iterator_traitsISK_E10value_typeET2_T3_PNSL_ISQ_E10value_typeET4_jRbjT5_SW_jjP12ihipStream_tbEUlT_E2_NS1_11comp_targetILNS1_3genE4ELNS1_11target_archE910ELNS1_3gpuE8ELNS1_3repE0EEENS1_30default_config_static_selectorELNS0_4arch9wavefront6targetE1EEEvSK_,"axG",@progbits,_ZN7rocprim17ROCPRIM_400000_NS6detail17trampoline_kernelINS0_14default_configENS1_36segmented_radix_sort_config_selectorIslEEZNS1_25segmented_radix_sort_implIS3_Lb1EPKsPsPKlPlN2at6native12_GLOBAL__N_18offset_tEEE10hipError_tPvRmT1_PNSt15iterator_traitsISK_E10value_typeET2_T3_PNSL_ISQ_E10value_typeET4_jRbjT5_SW_jjP12ihipStream_tbEUlT_E2_NS1_11comp_targetILNS1_3genE4ELNS1_11target_archE910ELNS1_3gpuE8ELNS1_3repE0EEENS1_30default_config_static_selectorELNS0_4arch9wavefront6targetE1EEEvSK_,comdat
	.globl	_ZN7rocprim17ROCPRIM_400000_NS6detail17trampoline_kernelINS0_14default_configENS1_36segmented_radix_sort_config_selectorIslEEZNS1_25segmented_radix_sort_implIS3_Lb1EPKsPsPKlPlN2at6native12_GLOBAL__N_18offset_tEEE10hipError_tPvRmT1_PNSt15iterator_traitsISK_E10value_typeET2_T3_PNSL_ISQ_E10value_typeET4_jRbjT5_SW_jjP12ihipStream_tbEUlT_E2_NS1_11comp_targetILNS1_3genE4ELNS1_11target_archE910ELNS1_3gpuE8ELNS1_3repE0EEENS1_30default_config_static_selectorELNS0_4arch9wavefront6targetE1EEEvSK_ ; -- Begin function _ZN7rocprim17ROCPRIM_400000_NS6detail17trampoline_kernelINS0_14default_configENS1_36segmented_radix_sort_config_selectorIslEEZNS1_25segmented_radix_sort_implIS3_Lb1EPKsPsPKlPlN2at6native12_GLOBAL__N_18offset_tEEE10hipError_tPvRmT1_PNSt15iterator_traitsISK_E10value_typeET2_T3_PNSL_ISQ_E10value_typeET4_jRbjT5_SW_jjP12ihipStream_tbEUlT_E2_NS1_11comp_targetILNS1_3genE4ELNS1_11target_archE910ELNS1_3gpuE8ELNS1_3repE0EEENS1_30default_config_static_selectorELNS0_4arch9wavefront6targetE1EEEvSK_
	.p2align	8
	.type	_ZN7rocprim17ROCPRIM_400000_NS6detail17trampoline_kernelINS0_14default_configENS1_36segmented_radix_sort_config_selectorIslEEZNS1_25segmented_radix_sort_implIS3_Lb1EPKsPsPKlPlN2at6native12_GLOBAL__N_18offset_tEEE10hipError_tPvRmT1_PNSt15iterator_traitsISK_E10value_typeET2_T3_PNSL_ISQ_E10value_typeET4_jRbjT5_SW_jjP12ihipStream_tbEUlT_E2_NS1_11comp_targetILNS1_3genE4ELNS1_11target_archE910ELNS1_3gpuE8ELNS1_3repE0EEENS1_30default_config_static_selectorELNS0_4arch9wavefront6targetE1EEEvSK_,@function
_ZN7rocprim17ROCPRIM_400000_NS6detail17trampoline_kernelINS0_14default_configENS1_36segmented_radix_sort_config_selectorIslEEZNS1_25segmented_radix_sort_implIS3_Lb1EPKsPsPKlPlN2at6native12_GLOBAL__N_18offset_tEEE10hipError_tPvRmT1_PNSt15iterator_traitsISK_E10value_typeET2_T3_PNSL_ISQ_E10value_typeET4_jRbjT5_SW_jjP12ihipStream_tbEUlT_E2_NS1_11comp_targetILNS1_3genE4ELNS1_11target_archE910ELNS1_3gpuE8ELNS1_3repE0EEENS1_30default_config_static_selectorELNS0_4arch9wavefront6targetE1EEEvSK_: ; @_ZN7rocprim17ROCPRIM_400000_NS6detail17trampoline_kernelINS0_14default_configENS1_36segmented_radix_sort_config_selectorIslEEZNS1_25segmented_radix_sort_implIS3_Lb1EPKsPsPKlPlN2at6native12_GLOBAL__N_18offset_tEEE10hipError_tPvRmT1_PNSt15iterator_traitsISK_E10value_typeET2_T3_PNSL_ISQ_E10value_typeET4_jRbjT5_SW_jjP12ihipStream_tbEUlT_E2_NS1_11comp_targetILNS1_3genE4ELNS1_11target_archE910ELNS1_3gpuE8ELNS1_3repE0EEENS1_30default_config_static_selectorELNS0_4arch9wavefront6targetE1EEEvSK_
; %bb.0:
	.section	.rodata,"a",@progbits
	.p2align	6, 0x0
	.amdhsa_kernel _ZN7rocprim17ROCPRIM_400000_NS6detail17trampoline_kernelINS0_14default_configENS1_36segmented_radix_sort_config_selectorIslEEZNS1_25segmented_radix_sort_implIS3_Lb1EPKsPsPKlPlN2at6native12_GLOBAL__N_18offset_tEEE10hipError_tPvRmT1_PNSt15iterator_traitsISK_E10value_typeET2_T3_PNSL_ISQ_E10value_typeET4_jRbjT5_SW_jjP12ihipStream_tbEUlT_E2_NS1_11comp_targetILNS1_3genE4ELNS1_11target_archE910ELNS1_3gpuE8ELNS1_3repE0EEENS1_30default_config_static_selectorELNS0_4arch9wavefront6targetE1EEEvSK_
		.amdhsa_group_segment_fixed_size 0
		.amdhsa_private_segment_fixed_size 0
		.amdhsa_kernarg_size 80
		.amdhsa_user_sgpr_count 6
		.amdhsa_user_sgpr_private_segment_buffer 1
		.amdhsa_user_sgpr_dispatch_ptr 0
		.amdhsa_user_sgpr_queue_ptr 0
		.amdhsa_user_sgpr_kernarg_segment_ptr 1
		.amdhsa_user_sgpr_dispatch_id 0
		.amdhsa_user_sgpr_flat_scratch_init 0
		.amdhsa_user_sgpr_private_segment_size 0
		.amdhsa_uses_dynamic_stack 0
		.amdhsa_system_sgpr_private_segment_wavefront_offset 0
		.amdhsa_system_sgpr_workgroup_id_x 1
		.amdhsa_system_sgpr_workgroup_id_y 0
		.amdhsa_system_sgpr_workgroup_id_z 0
		.amdhsa_system_sgpr_workgroup_info 0
		.amdhsa_system_vgpr_workitem_id 0
		.amdhsa_next_free_vgpr 1
		.amdhsa_next_free_sgpr 0
		.amdhsa_reserve_vcc 0
		.amdhsa_reserve_flat_scratch 0
		.amdhsa_float_round_mode_32 0
		.amdhsa_float_round_mode_16_64 0
		.amdhsa_float_denorm_mode_32 3
		.amdhsa_float_denorm_mode_16_64 3
		.amdhsa_dx10_clamp 1
		.amdhsa_ieee_mode 1
		.amdhsa_fp16_overflow 0
		.amdhsa_exception_fp_ieee_invalid_op 0
		.amdhsa_exception_fp_denorm_src 0
		.amdhsa_exception_fp_ieee_div_zero 0
		.amdhsa_exception_fp_ieee_overflow 0
		.amdhsa_exception_fp_ieee_underflow 0
		.amdhsa_exception_fp_ieee_inexact 0
		.amdhsa_exception_int_div_zero 0
	.end_amdhsa_kernel
	.section	.text._ZN7rocprim17ROCPRIM_400000_NS6detail17trampoline_kernelINS0_14default_configENS1_36segmented_radix_sort_config_selectorIslEEZNS1_25segmented_radix_sort_implIS3_Lb1EPKsPsPKlPlN2at6native12_GLOBAL__N_18offset_tEEE10hipError_tPvRmT1_PNSt15iterator_traitsISK_E10value_typeET2_T3_PNSL_ISQ_E10value_typeET4_jRbjT5_SW_jjP12ihipStream_tbEUlT_E2_NS1_11comp_targetILNS1_3genE4ELNS1_11target_archE910ELNS1_3gpuE8ELNS1_3repE0EEENS1_30default_config_static_selectorELNS0_4arch9wavefront6targetE1EEEvSK_,"axG",@progbits,_ZN7rocprim17ROCPRIM_400000_NS6detail17trampoline_kernelINS0_14default_configENS1_36segmented_radix_sort_config_selectorIslEEZNS1_25segmented_radix_sort_implIS3_Lb1EPKsPsPKlPlN2at6native12_GLOBAL__N_18offset_tEEE10hipError_tPvRmT1_PNSt15iterator_traitsISK_E10value_typeET2_T3_PNSL_ISQ_E10value_typeET4_jRbjT5_SW_jjP12ihipStream_tbEUlT_E2_NS1_11comp_targetILNS1_3genE4ELNS1_11target_archE910ELNS1_3gpuE8ELNS1_3repE0EEENS1_30default_config_static_selectorELNS0_4arch9wavefront6targetE1EEEvSK_,comdat
.Lfunc_end943:
	.size	_ZN7rocprim17ROCPRIM_400000_NS6detail17trampoline_kernelINS0_14default_configENS1_36segmented_radix_sort_config_selectorIslEEZNS1_25segmented_radix_sort_implIS3_Lb1EPKsPsPKlPlN2at6native12_GLOBAL__N_18offset_tEEE10hipError_tPvRmT1_PNSt15iterator_traitsISK_E10value_typeET2_T3_PNSL_ISQ_E10value_typeET4_jRbjT5_SW_jjP12ihipStream_tbEUlT_E2_NS1_11comp_targetILNS1_3genE4ELNS1_11target_archE910ELNS1_3gpuE8ELNS1_3repE0EEENS1_30default_config_static_selectorELNS0_4arch9wavefront6targetE1EEEvSK_, .Lfunc_end943-_ZN7rocprim17ROCPRIM_400000_NS6detail17trampoline_kernelINS0_14default_configENS1_36segmented_radix_sort_config_selectorIslEEZNS1_25segmented_radix_sort_implIS3_Lb1EPKsPsPKlPlN2at6native12_GLOBAL__N_18offset_tEEE10hipError_tPvRmT1_PNSt15iterator_traitsISK_E10value_typeET2_T3_PNSL_ISQ_E10value_typeET4_jRbjT5_SW_jjP12ihipStream_tbEUlT_E2_NS1_11comp_targetILNS1_3genE4ELNS1_11target_archE910ELNS1_3gpuE8ELNS1_3repE0EEENS1_30default_config_static_selectorELNS0_4arch9wavefront6targetE1EEEvSK_
                                        ; -- End function
	.set _ZN7rocprim17ROCPRIM_400000_NS6detail17trampoline_kernelINS0_14default_configENS1_36segmented_radix_sort_config_selectorIslEEZNS1_25segmented_radix_sort_implIS3_Lb1EPKsPsPKlPlN2at6native12_GLOBAL__N_18offset_tEEE10hipError_tPvRmT1_PNSt15iterator_traitsISK_E10value_typeET2_T3_PNSL_ISQ_E10value_typeET4_jRbjT5_SW_jjP12ihipStream_tbEUlT_E2_NS1_11comp_targetILNS1_3genE4ELNS1_11target_archE910ELNS1_3gpuE8ELNS1_3repE0EEENS1_30default_config_static_selectorELNS0_4arch9wavefront6targetE1EEEvSK_.num_vgpr, 0
	.set _ZN7rocprim17ROCPRIM_400000_NS6detail17trampoline_kernelINS0_14default_configENS1_36segmented_radix_sort_config_selectorIslEEZNS1_25segmented_radix_sort_implIS3_Lb1EPKsPsPKlPlN2at6native12_GLOBAL__N_18offset_tEEE10hipError_tPvRmT1_PNSt15iterator_traitsISK_E10value_typeET2_T3_PNSL_ISQ_E10value_typeET4_jRbjT5_SW_jjP12ihipStream_tbEUlT_E2_NS1_11comp_targetILNS1_3genE4ELNS1_11target_archE910ELNS1_3gpuE8ELNS1_3repE0EEENS1_30default_config_static_selectorELNS0_4arch9wavefront6targetE1EEEvSK_.num_agpr, 0
	.set _ZN7rocprim17ROCPRIM_400000_NS6detail17trampoline_kernelINS0_14default_configENS1_36segmented_radix_sort_config_selectorIslEEZNS1_25segmented_radix_sort_implIS3_Lb1EPKsPsPKlPlN2at6native12_GLOBAL__N_18offset_tEEE10hipError_tPvRmT1_PNSt15iterator_traitsISK_E10value_typeET2_T3_PNSL_ISQ_E10value_typeET4_jRbjT5_SW_jjP12ihipStream_tbEUlT_E2_NS1_11comp_targetILNS1_3genE4ELNS1_11target_archE910ELNS1_3gpuE8ELNS1_3repE0EEENS1_30default_config_static_selectorELNS0_4arch9wavefront6targetE1EEEvSK_.numbered_sgpr, 0
	.set _ZN7rocprim17ROCPRIM_400000_NS6detail17trampoline_kernelINS0_14default_configENS1_36segmented_radix_sort_config_selectorIslEEZNS1_25segmented_radix_sort_implIS3_Lb1EPKsPsPKlPlN2at6native12_GLOBAL__N_18offset_tEEE10hipError_tPvRmT1_PNSt15iterator_traitsISK_E10value_typeET2_T3_PNSL_ISQ_E10value_typeET4_jRbjT5_SW_jjP12ihipStream_tbEUlT_E2_NS1_11comp_targetILNS1_3genE4ELNS1_11target_archE910ELNS1_3gpuE8ELNS1_3repE0EEENS1_30default_config_static_selectorELNS0_4arch9wavefront6targetE1EEEvSK_.num_named_barrier, 0
	.set _ZN7rocprim17ROCPRIM_400000_NS6detail17trampoline_kernelINS0_14default_configENS1_36segmented_radix_sort_config_selectorIslEEZNS1_25segmented_radix_sort_implIS3_Lb1EPKsPsPKlPlN2at6native12_GLOBAL__N_18offset_tEEE10hipError_tPvRmT1_PNSt15iterator_traitsISK_E10value_typeET2_T3_PNSL_ISQ_E10value_typeET4_jRbjT5_SW_jjP12ihipStream_tbEUlT_E2_NS1_11comp_targetILNS1_3genE4ELNS1_11target_archE910ELNS1_3gpuE8ELNS1_3repE0EEENS1_30default_config_static_selectorELNS0_4arch9wavefront6targetE1EEEvSK_.private_seg_size, 0
	.set _ZN7rocprim17ROCPRIM_400000_NS6detail17trampoline_kernelINS0_14default_configENS1_36segmented_radix_sort_config_selectorIslEEZNS1_25segmented_radix_sort_implIS3_Lb1EPKsPsPKlPlN2at6native12_GLOBAL__N_18offset_tEEE10hipError_tPvRmT1_PNSt15iterator_traitsISK_E10value_typeET2_T3_PNSL_ISQ_E10value_typeET4_jRbjT5_SW_jjP12ihipStream_tbEUlT_E2_NS1_11comp_targetILNS1_3genE4ELNS1_11target_archE910ELNS1_3gpuE8ELNS1_3repE0EEENS1_30default_config_static_selectorELNS0_4arch9wavefront6targetE1EEEvSK_.uses_vcc, 0
	.set _ZN7rocprim17ROCPRIM_400000_NS6detail17trampoline_kernelINS0_14default_configENS1_36segmented_radix_sort_config_selectorIslEEZNS1_25segmented_radix_sort_implIS3_Lb1EPKsPsPKlPlN2at6native12_GLOBAL__N_18offset_tEEE10hipError_tPvRmT1_PNSt15iterator_traitsISK_E10value_typeET2_T3_PNSL_ISQ_E10value_typeET4_jRbjT5_SW_jjP12ihipStream_tbEUlT_E2_NS1_11comp_targetILNS1_3genE4ELNS1_11target_archE910ELNS1_3gpuE8ELNS1_3repE0EEENS1_30default_config_static_selectorELNS0_4arch9wavefront6targetE1EEEvSK_.uses_flat_scratch, 0
	.set _ZN7rocprim17ROCPRIM_400000_NS6detail17trampoline_kernelINS0_14default_configENS1_36segmented_radix_sort_config_selectorIslEEZNS1_25segmented_radix_sort_implIS3_Lb1EPKsPsPKlPlN2at6native12_GLOBAL__N_18offset_tEEE10hipError_tPvRmT1_PNSt15iterator_traitsISK_E10value_typeET2_T3_PNSL_ISQ_E10value_typeET4_jRbjT5_SW_jjP12ihipStream_tbEUlT_E2_NS1_11comp_targetILNS1_3genE4ELNS1_11target_archE910ELNS1_3gpuE8ELNS1_3repE0EEENS1_30default_config_static_selectorELNS0_4arch9wavefront6targetE1EEEvSK_.has_dyn_sized_stack, 0
	.set _ZN7rocprim17ROCPRIM_400000_NS6detail17trampoline_kernelINS0_14default_configENS1_36segmented_radix_sort_config_selectorIslEEZNS1_25segmented_radix_sort_implIS3_Lb1EPKsPsPKlPlN2at6native12_GLOBAL__N_18offset_tEEE10hipError_tPvRmT1_PNSt15iterator_traitsISK_E10value_typeET2_T3_PNSL_ISQ_E10value_typeET4_jRbjT5_SW_jjP12ihipStream_tbEUlT_E2_NS1_11comp_targetILNS1_3genE4ELNS1_11target_archE910ELNS1_3gpuE8ELNS1_3repE0EEENS1_30default_config_static_selectorELNS0_4arch9wavefront6targetE1EEEvSK_.has_recursion, 0
	.set _ZN7rocprim17ROCPRIM_400000_NS6detail17trampoline_kernelINS0_14default_configENS1_36segmented_radix_sort_config_selectorIslEEZNS1_25segmented_radix_sort_implIS3_Lb1EPKsPsPKlPlN2at6native12_GLOBAL__N_18offset_tEEE10hipError_tPvRmT1_PNSt15iterator_traitsISK_E10value_typeET2_T3_PNSL_ISQ_E10value_typeET4_jRbjT5_SW_jjP12ihipStream_tbEUlT_E2_NS1_11comp_targetILNS1_3genE4ELNS1_11target_archE910ELNS1_3gpuE8ELNS1_3repE0EEENS1_30default_config_static_selectorELNS0_4arch9wavefront6targetE1EEEvSK_.has_indirect_call, 0
	.section	.AMDGPU.csdata,"",@progbits
; Kernel info:
; codeLenInByte = 0
; TotalNumSgprs: 4
; NumVgprs: 0
; ScratchSize: 0
; MemoryBound: 0
; FloatMode: 240
; IeeeMode: 1
; LDSByteSize: 0 bytes/workgroup (compile time only)
; SGPRBlocks: 0
; VGPRBlocks: 0
; NumSGPRsForWavesPerEU: 4
; NumVGPRsForWavesPerEU: 1
; Occupancy: 10
; WaveLimiterHint : 0
; COMPUTE_PGM_RSRC2:SCRATCH_EN: 0
; COMPUTE_PGM_RSRC2:USER_SGPR: 6
; COMPUTE_PGM_RSRC2:TRAP_HANDLER: 0
; COMPUTE_PGM_RSRC2:TGID_X_EN: 1
; COMPUTE_PGM_RSRC2:TGID_Y_EN: 0
; COMPUTE_PGM_RSRC2:TGID_Z_EN: 0
; COMPUTE_PGM_RSRC2:TIDIG_COMP_CNT: 0
	.section	.text._ZN7rocprim17ROCPRIM_400000_NS6detail17trampoline_kernelINS0_14default_configENS1_36segmented_radix_sort_config_selectorIslEEZNS1_25segmented_radix_sort_implIS3_Lb1EPKsPsPKlPlN2at6native12_GLOBAL__N_18offset_tEEE10hipError_tPvRmT1_PNSt15iterator_traitsISK_E10value_typeET2_T3_PNSL_ISQ_E10value_typeET4_jRbjT5_SW_jjP12ihipStream_tbEUlT_E2_NS1_11comp_targetILNS1_3genE3ELNS1_11target_archE908ELNS1_3gpuE7ELNS1_3repE0EEENS1_30default_config_static_selectorELNS0_4arch9wavefront6targetE1EEEvSK_,"axG",@progbits,_ZN7rocprim17ROCPRIM_400000_NS6detail17trampoline_kernelINS0_14default_configENS1_36segmented_radix_sort_config_selectorIslEEZNS1_25segmented_radix_sort_implIS3_Lb1EPKsPsPKlPlN2at6native12_GLOBAL__N_18offset_tEEE10hipError_tPvRmT1_PNSt15iterator_traitsISK_E10value_typeET2_T3_PNSL_ISQ_E10value_typeET4_jRbjT5_SW_jjP12ihipStream_tbEUlT_E2_NS1_11comp_targetILNS1_3genE3ELNS1_11target_archE908ELNS1_3gpuE7ELNS1_3repE0EEENS1_30default_config_static_selectorELNS0_4arch9wavefront6targetE1EEEvSK_,comdat
	.globl	_ZN7rocprim17ROCPRIM_400000_NS6detail17trampoline_kernelINS0_14default_configENS1_36segmented_radix_sort_config_selectorIslEEZNS1_25segmented_radix_sort_implIS3_Lb1EPKsPsPKlPlN2at6native12_GLOBAL__N_18offset_tEEE10hipError_tPvRmT1_PNSt15iterator_traitsISK_E10value_typeET2_T3_PNSL_ISQ_E10value_typeET4_jRbjT5_SW_jjP12ihipStream_tbEUlT_E2_NS1_11comp_targetILNS1_3genE3ELNS1_11target_archE908ELNS1_3gpuE7ELNS1_3repE0EEENS1_30default_config_static_selectorELNS0_4arch9wavefront6targetE1EEEvSK_ ; -- Begin function _ZN7rocprim17ROCPRIM_400000_NS6detail17trampoline_kernelINS0_14default_configENS1_36segmented_radix_sort_config_selectorIslEEZNS1_25segmented_radix_sort_implIS3_Lb1EPKsPsPKlPlN2at6native12_GLOBAL__N_18offset_tEEE10hipError_tPvRmT1_PNSt15iterator_traitsISK_E10value_typeET2_T3_PNSL_ISQ_E10value_typeET4_jRbjT5_SW_jjP12ihipStream_tbEUlT_E2_NS1_11comp_targetILNS1_3genE3ELNS1_11target_archE908ELNS1_3gpuE7ELNS1_3repE0EEENS1_30default_config_static_selectorELNS0_4arch9wavefront6targetE1EEEvSK_
	.p2align	8
	.type	_ZN7rocprim17ROCPRIM_400000_NS6detail17trampoline_kernelINS0_14default_configENS1_36segmented_radix_sort_config_selectorIslEEZNS1_25segmented_radix_sort_implIS3_Lb1EPKsPsPKlPlN2at6native12_GLOBAL__N_18offset_tEEE10hipError_tPvRmT1_PNSt15iterator_traitsISK_E10value_typeET2_T3_PNSL_ISQ_E10value_typeET4_jRbjT5_SW_jjP12ihipStream_tbEUlT_E2_NS1_11comp_targetILNS1_3genE3ELNS1_11target_archE908ELNS1_3gpuE7ELNS1_3repE0EEENS1_30default_config_static_selectorELNS0_4arch9wavefront6targetE1EEEvSK_,@function
_ZN7rocprim17ROCPRIM_400000_NS6detail17trampoline_kernelINS0_14default_configENS1_36segmented_radix_sort_config_selectorIslEEZNS1_25segmented_radix_sort_implIS3_Lb1EPKsPsPKlPlN2at6native12_GLOBAL__N_18offset_tEEE10hipError_tPvRmT1_PNSt15iterator_traitsISK_E10value_typeET2_T3_PNSL_ISQ_E10value_typeET4_jRbjT5_SW_jjP12ihipStream_tbEUlT_E2_NS1_11comp_targetILNS1_3genE3ELNS1_11target_archE908ELNS1_3gpuE7ELNS1_3repE0EEENS1_30default_config_static_selectorELNS0_4arch9wavefront6targetE1EEEvSK_: ; @_ZN7rocprim17ROCPRIM_400000_NS6detail17trampoline_kernelINS0_14default_configENS1_36segmented_radix_sort_config_selectorIslEEZNS1_25segmented_radix_sort_implIS3_Lb1EPKsPsPKlPlN2at6native12_GLOBAL__N_18offset_tEEE10hipError_tPvRmT1_PNSt15iterator_traitsISK_E10value_typeET2_T3_PNSL_ISQ_E10value_typeET4_jRbjT5_SW_jjP12ihipStream_tbEUlT_E2_NS1_11comp_targetILNS1_3genE3ELNS1_11target_archE908ELNS1_3gpuE7ELNS1_3repE0EEENS1_30default_config_static_selectorELNS0_4arch9wavefront6targetE1EEEvSK_
; %bb.0:
	.section	.rodata,"a",@progbits
	.p2align	6, 0x0
	.amdhsa_kernel _ZN7rocprim17ROCPRIM_400000_NS6detail17trampoline_kernelINS0_14default_configENS1_36segmented_radix_sort_config_selectorIslEEZNS1_25segmented_radix_sort_implIS3_Lb1EPKsPsPKlPlN2at6native12_GLOBAL__N_18offset_tEEE10hipError_tPvRmT1_PNSt15iterator_traitsISK_E10value_typeET2_T3_PNSL_ISQ_E10value_typeET4_jRbjT5_SW_jjP12ihipStream_tbEUlT_E2_NS1_11comp_targetILNS1_3genE3ELNS1_11target_archE908ELNS1_3gpuE7ELNS1_3repE0EEENS1_30default_config_static_selectorELNS0_4arch9wavefront6targetE1EEEvSK_
		.amdhsa_group_segment_fixed_size 0
		.amdhsa_private_segment_fixed_size 0
		.amdhsa_kernarg_size 80
		.amdhsa_user_sgpr_count 6
		.amdhsa_user_sgpr_private_segment_buffer 1
		.amdhsa_user_sgpr_dispatch_ptr 0
		.amdhsa_user_sgpr_queue_ptr 0
		.amdhsa_user_sgpr_kernarg_segment_ptr 1
		.amdhsa_user_sgpr_dispatch_id 0
		.amdhsa_user_sgpr_flat_scratch_init 0
		.amdhsa_user_sgpr_private_segment_size 0
		.amdhsa_uses_dynamic_stack 0
		.amdhsa_system_sgpr_private_segment_wavefront_offset 0
		.amdhsa_system_sgpr_workgroup_id_x 1
		.amdhsa_system_sgpr_workgroup_id_y 0
		.amdhsa_system_sgpr_workgroup_id_z 0
		.amdhsa_system_sgpr_workgroup_info 0
		.amdhsa_system_vgpr_workitem_id 0
		.amdhsa_next_free_vgpr 1
		.amdhsa_next_free_sgpr 0
		.amdhsa_reserve_vcc 0
		.amdhsa_reserve_flat_scratch 0
		.amdhsa_float_round_mode_32 0
		.amdhsa_float_round_mode_16_64 0
		.amdhsa_float_denorm_mode_32 3
		.amdhsa_float_denorm_mode_16_64 3
		.amdhsa_dx10_clamp 1
		.amdhsa_ieee_mode 1
		.amdhsa_fp16_overflow 0
		.amdhsa_exception_fp_ieee_invalid_op 0
		.amdhsa_exception_fp_denorm_src 0
		.amdhsa_exception_fp_ieee_div_zero 0
		.amdhsa_exception_fp_ieee_overflow 0
		.amdhsa_exception_fp_ieee_underflow 0
		.amdhsa_exception_fp_ieee_inexact 0
		.amdhsa_exception_int_div_zero 0
	.end_amdhsa_kernel
	.section	.text._ZN7rocprim17ROCPRIM_400000_NS6detail17trampoline_kernelINS0_14default_configENS1_36segmented_radix_sort_config_selectorIslEEZNS1_25segmented_radix_sort_implIS3_Lb1EPKsPsPKlPlN2at6native12_GLOBAL__N_18offset_tEEE10hipError_tPvRmT1_PNSt15iterator_traitsISK_E10value_typeET2_T3_PNSL_ISQ_E10value_typeET4_jRbjT5_SW_jjP12ihipStream_tbEUlT_E2_NS1_11comp_targetILNS1_3genE3ELNS1_11target_archE908ELNS1_3gpuE7ELNS1_3repE0EEENS1_30default_config_static_selectorELNS0_4arch9wavefront6targetE1EEEvSK_,"axG",@progbits,_ZN7rocprim17ROCPRIM_400000_NS6detail17trampoline_kernelINS0_14default_configENS1_36segmented_radix_sort_config_selectorIslEEZNS1_25segmented_radix_sort_implIS3_Lb1EPKsPsPKlPlN2at6native12_GLOBAL__N_18offset_tEEE10hipError_tPvRmT1_PNSt15iterator_traitsISK_E10value_typeET2_T3_PNSL_ISQ_E10value_typeET4_jRbjT5_SW_jjP12ihipStream_tbEUlT_E2_NS1_11comp_targetILNS1_3genE3ELNS1_11target_archE908ELNS1_3gpuE7ELNS1_3repE0EEENS1_30default_config_static_selectorELNS0_4arch9wavefront6targetE1EEEvSK_,comdat
.Lfunc_end944:
	.size	_ZN7rocprim17ROCPRIM_400000_NS6detail17trampoline_kernelINS0_14default_configENS1_36segmented_radix_sort_config_selectorIslEEZNS1_25segmented_radix_sort_implIS3_Lb1EPKsPsPKlPlN2at6native12_GLOBAL__N_18offset_tEEE10hipError_tPvRmT1_PNSt15iterator_traitsISK_E10value_typeET2_T3_PNSL_ISQ_E10value_typeET4_jRbjT5_SW_jjP12ihipStream_tbEUlT_E2_NS1_11comp_targetILNS1_3genE3ELNS1_11target_archE908ELNS1_3gpuE7ELNS1_3repE0EEENS1_30default_config_static_selectorELNS0_4arch9wavefront6targetE1EEEvSK_, .Lfunc_end944-_ZN7rocprim17ROCPRIM_400000_NS6detail17trampoline_kernelINS0_14default_configENS1_36segmented_radix_sort_config_selectorIslEEZNS1_25segmented_radix_sort_implIS3_Lb1EPKsPsPKlPlN2at6native12_GLOBAL__N_18offset_tEEE10hipError_tPvRmT1_PNSt15iterator_traitsISK_E10value_typeET2_T3_PNSL_ISQ_E10value_typeET4_jRbjT5_SW_jjP12ihipStream_tbEUlT_E2_NS1_11comp_targetILNS1_3genE3ELNS1_11target_archE908ELNS1_3gpuE7ELNS1_3repE0EEENS1_30default_config_static_selectorELNS0_4arch9wavefront6targetE1EEEvSK_
                                        ; -- End function
	.set _ZN7rocprim17ROCPRIM_400000_NS6detail17trampoline_kernelINS0_14default_configENS1_36segmented_radix_sort_config_selectorIslEEZNS1_25segmented_radix_sort_implIS3_Lb1EPKsPsPKlPlN2at6native12_GLOBAL__N_18offset_tEEE10hipError_tPvRmT1_PNSt15iterator_traitsISK_E10value_typeET2_T3_PNSL_ISQ_E10value_typeET4_jRbjT5_SW_jjP12ihipStream_tbEUlT_E2_NS1_11comp_targetILNS1_3genE3ELNS1_11target_archE908ELNS1_3gpuE7ELNS1_3repE0EEENS1_30default_config_static_selectorELNS0_4arch9wavefront6targetE1EEEvSK_.num_vgpr, 0
	.set _ZN7rocprim17ROCPRIM_400000_NS6detail17trampoline_kernelINS0_14default_configENS1_36segmented_radix_sort_config_selectorIslEEZNS1_25segmented_radix_sort_implIS3_Lb1EPKsPsPKlPlN2at6native12_GLOBAL__N_18offset_tEEE10hipError_tPvRmT1_PNSt15iterator_traitsISK_E10value_typeET2_T3_PNSL_ISQ_E10value_typeET4_jRbjT5_SW_jjP12ihipStream_tbEUlT_E2_NS1_11comp_targetILNS1_3genE3ELNS1_11target_archE908ELNS1_3gpuE7ELNS1_3repE0EEENS1_30default_config_static_selectorELNS0_4arch9wavefront6targetE1EEEvSK_.num_agpr, 0
	.set _ZN7rocprim17ROCPRIM_400000_NS6detail17trampoline_kernelINS0_14default_configENS1_36segmented_radix_sort_config_selectorIslEEZNS1_25segmented_radix_sort_implIS3_Lb1EPKsPsPKlPlN2at6native12_GLOBAL__N_18offset_tEEE10hipError_tPvRmT1_PNSt15iterator_traitsISK_E10value_typeET2_T3_PNSL_ISQ_E10value_typeET4_jRbjT5_SW_jjP12ihipStream_tbEUlT_E2_NS1_11comp_targetILNS1_3genE3ELNS1_11target_archE908ELNS1_3gpuE7ELNS1_3repE0EEENS1_30default_config_static_selectorELNS0_4arch9wavefront6targetE1EEEvSK_.numbered_sgpr, 0
	.set _ZN7rocprim17ROCPRIM_400000_NS6detail17trampoline_kernelINS0_14default_configENS1_36segmented_radix_sort_config_selectorIslEEZNS1_25segmented_radix_sort_implIS3_Lb1EPKsPsPKlPlN2at6native12_GLOBAL__N_18offset_tEEE10hipError_tPvRmT1_PNSt15iterator_traitsISK_E10value_typeET2_T3_PNSL_ISQ_E10value_typeET4_jRbjT5_SW_jjP12ihipStream_tbEUlT_E2_NS1_11comp_targetILNS1_3genE3ELNS1_11target_archE908ELNS1_3gpuE7ELNS1_3repE0EEENS1_30default_config_static_selectorELNS0_4arch9wavefront6targetE1EEEvSK_.num_named_barrier, 0
	.set _ZN7rocprim17ROCPRIM_400000_NS6detail17trampoline_kernelINS0_14default_configENS1_36segmented_radix_sort_config_selectorIslEEZNS1_25segmented_radix_sort_implIS3_Lb1EPKsPsPKlPlN2at6native12_GLOBAL__N_18offset_tEEE10hipError_tPvRmT1_PNSt15iterator_traitsISK_E10value_typeET2_T3_PNSL_ISQ_E10value_typeET4_jRbjT5_SW_jjP12ihipStream_tbEUlT_E2_NS1_11comp_targetILNS1_3genE3ELNS1_11target_archE908ELNS1_3gpuE7ELNS1_3repE0EEENS1_30default_config_static_selectorELNS0_4arch9wavefront6targetE1EEEvSK_.private_seg_size, 0
	.set _ZN7rocprim17ROCPRIM_400000_NS6detail17trampoline_kernelINS0_14default_configENS1_36segmented_radix_sort_config_selectorIslEEZNS1_25segmented_radix_sort_implIS3_Lb1EPKsPsPKlPlN2at6native12_GLOBAL__N_18offset_tEEE10hipError_tPvRmT1_PNSt15iterator_traitsISK_E10value_typeET2_T3_PNSL_ISQ_E10value_typeET4_jRbjT5_SW_jjP12ihipStream_tbEUlT_E2_NS1_11comp_targetILNS1_3genE3ELNS1_11target_archE908ELNS1_3gpuE7ELNS1_3repE0EEENS1_30default_config_static_selectorELNS0_4arch9wavefront6targetE1EEEvSK_.uses_vcc, 0
	.set _ZN7rocprim17ROCPRIM_400000_NS6detail17trampoline_kernelINS0_14default_configENS1_36segmented_radix_sort_config_selectorIslEEZNS1_25segmented_radix_sort_implIS3_Lb1EPKsPsPKlPlN2at6native12_GLOBAL__N_18offset_tEEE10hipError_tPvRmT1_PNSt15iterator_traitsISK_E10value_typeET2_T3_PNSL_ISQ_E10value_typeET4_jRbjT5_SW_jjP12ihipStream_tbEUlT_E2_NS1_11comp_targetILNS1_3genE3ELNS1_11target_archE908ELNS1_3gpuE7ELNS1_3repE0EEENS1_30default_config_static_selectorELNS0_4arch9wavefront6targetE1EEEvSK_.uses_flat_scratch, 0
	.set _ZN7rocprim17ROCPRIM_400000_NS6detail17trampoline_kernelINS0_14default_configENS1_36segmented_radix_sort_config_selectorIslEEZNS1_25segmented_radix_sort_implIS3_Lb1EPKsPsPKlPlN2at6native12_GLOBAL__N_18offset_tEEE10hipError_tPvRmT1_PNSt15iterator_traitsISK_E10value_typeET2_T3_PNSL_ISQ_E10value_typeET4_jRbjT5_SW_jjP12ihipStream_tbEUlT_E2_NS1_11comp_targetILNS1_3genE3ELNS1_11target_archE908ELNS1_3gpuE7ELNS1_3repE0EEENS1_30default_config_static_selectorELNS0_4arch9wavefront6targetE1EEEvSK_.has_dyn_sized_stack, 0
	.set _ZN7rocprim17ROCPRIM_400000_NS6detail17trampoline_kernelINS0_14default_configENS1_36segmented_radix_sort_config_selectorIslEEZNS1_25segmented_radix_sort_implIS3_Lb1EPKsPsPKlPlN2at6native12_GLOBAL__N_18offset_tEEE10hipError_tPvRmT1_PNSt15iterator_traitsISK_E10value_typeET2_T3_PNSL_ISQ_E10value_typeET4_jRbjT5_SW_jjP12ihipStream_tbEUlT_E2_NS1_11comp_targetILNS1_3genE3ELNS1_11target_archE908ELNS1_3gpuE7ELNS1_3repE0EEENS1_30default_config_static_selectorELNS0_4arch9wavefront6targetE1EEEvSK_.has_recursion, 0
	.set _ZN7rocprim17ROCPRIM_400000_NS6detail17trampoline_kernelINS0_14default_configENS1_36segmented_radix_sort_config_selectorIslEEZNS1_25segmented_radix_sort_implIS3_Lb1EPKsPsPKlPlN2at6native12_GLOBAL__N_18offset_tEEE10hipError_tPvRmT1_PNSt15iterator_traitsISK_E10value_typeET2_T3_PNSL_ISQ_E10value_typeET4_jRbjT5_SW_jjP12ihipStream_tbEUlT_E2_NS1_11comp_targetILNS1_3genE3ELNS1_11target_archE908ELNS1_3gpuE7ELNS1_3repE0EEENS1_30default_config_static_selectorELNS0_4arch9wavefront6targetE1EEEvSK_.has_indirect_call, 0
	.section	.AMDGPU.csdata,"",@progbits
; Kernel info:
; codeLenInByte = 0
; TotalNumSgprs: 4
; NumVgprs: 0
; ScratchSize: 0
; MemoryBound: 0
; FloatMode: 240
; IeeeMode: 1
; LDSByteSize: 0 bytes/workgroup (compile time only)
; SGPRBlocks: 0
; VGPRBlocks: 0
; NumSGPRsForWavesPerEU: 4
; NumVGPRsForWavesPerEU: 1
; Occupancy: 10
; WaveLimiterHint : 0
; COMPUTE_PGM_RSRC2:SCRATCH_EN: 0
; COMPUTE_PGM_RSRC2:USER_SGPR: 6
; COMPUTE_PGM_RSRC2:TRAP_HANDLER: 0
; COMPUTE_PGM_RSRC2:TGID_X_EN: 1
; COMPUTE_PGM_RSRC2:TGID_Y_EN: 0
; COMPUTE_PGM_RSRC2:TGID_Z_EN: 0
; COMPUTE_PGM_RSRC2:TIDIG_COMP_CNT: 0
	.section	.text._ZN7rocprim17ROCPRIM_400000_NS6detail17trampoline_kernelINS0_14default_configENS1_36segmented_radix_sort_config_selectorIslEEZNS1_25segmented_radix_sort_implIS3_Lb1EPKsPsPKlPlN2at6native12_GLOBAL__N_18offset_tEEE10hipError_tPvRmT1_PNSt15iterator_traitsISK_E10value_typeET2_T3_PNSL_ISQ_E10value_typeET4_jRbjT5_SW_jjP12ihipStream_tbEUlT_E2_NS1_11comp_targetILNS1_3genE2ELNS1_11target_archE906ELNS1_3gpuE6ELNS1_3repE0EEENS1_30default_config_static_selectorELNS0_4arch9wavefront6targetE1EEEvSK_,"axG",@progbits,_ZN7rocprim17ROCPRIM_400000_NS6detail17trampoline_kernelINS0_14default_configENS1_36segmented_radix_sort_config_selectorIslEEZNS1_25segmented_radix_sort_implIS3_Lb1EPKsPsPKlPlN2at6native12_GLOBAL__N_18offset_tEEE10hipError_tPvRmT1_PNSt15iterator_traitsISK_E10value_typeET2_T3_PNSL_ISQ_E10value_typeET4_jRbjT5_SW_jjP12ihipStream_tbEUlT_E2_NS1_11comp_targetILNS1_3genE2ELNS1_11target_archE906ELNS1_3gpuE6ELNS1_3repE0EEENS1_30default_config_static_selectorELNS0_4arch9wavefront6targetE1EEEvSK_,comdat
	.globl	_ZN7rocprim17ROCPRIM_400000_NS6detail17trampoline_kernelINS0_14default_configENS1_36segmented_radix_sort_config_selectorIslEEZNS1_25segmented_radix_sort_implIS3_Lb1EPKsPsPKlPlN2at6native12_GLOBAL__N_18offset_tEEE10hipError_tPvRmT1_PNSt15iterator_traitsISK_E10value_typeET2_T3_PNSL_ISQ_E10value_typeET4_jRbjT5_SW_jjP12ihipStream_tbEUlT_E2_NS1_11comp_targetILNS1_3genE2ELNS1_11target_archE906ELNS1_3gpuE6ELNS1_3repE0EEENS1_30default_config_static_selectorELNS0_4arch9wavefront6targetE1EEEvSK_ ; -- Begin function _ZN7rocprim17ROCPRIM_400000_NS6detail17trampoline_kernelINS0_14default_configENS1_36segmented_radix_sort_config_selectorIslEEZNS1_25segmented_radix_sort_implIS3_Lb1EPKsPsPKlPlN2at6native12_GLOBAL__N_18offset_tEEE10hipError_tPvRmT1_PNSt15iterator_traitsISK_E10value_typeET2_T3_PNSL_ISQ_E10value_typeET4_jRbjT5_SW_jjP12ihipStream_tbEUlT_E2_NS1_11comp_targetILNS1_3genE2ELNS1_11target_archE906ELNS1_3gpuE6ELNS1_3repE0EEENS1_30default_config_static_selectorELNS0_4arch9wavefront6targetE1EEEvSK_
	.p2align	8
	.type	_ZN7rocprim17ROCPRIM_400000_NS6detail17trampoline_kernelINS0_14default_configENS1_36segmented_radix_sort_config_selectorIslEEZNS1_25segmented_radix_sort_implIS3_Lb1EPKsPsPKlPlN2at6native12_GLOBAL__N_18offset_tEEE10hipError_tPvRmT1_PNSt15iterator_traitsISK_E10value_typeET2_T3_PNSL_ISQ_E10value_typeET4_jRbjT5_SW_jjP12ihipStream_tbEUlT_E2_NS1_11comp_targetILNS1_3genE2ELNS1_11target_archE906ELNS1_3gpuE6ELNS1_3repE0EEENS1_30default_config_static_selectorELNS0_4arch9wavefront6targetE1EEEvSK_,@function
_ZN7rocprim17ROCPRIM_400000_NS6detail17trampoline_kernelINS0_14default_configENS1_36segmented_radix_sort_config_selectorIslEEZNS1_25segmented_radix_sort_implIS3_Lb1EPKsPsPKlPlN2at6native12_GLOBAL__N_18offset_tEEE10hipError_tPvRmT1_PNSt15iterator_traitsISK_E10value_typeET2_T3_PNSL_ISQ_E10value_typeET4_jRbjT5_SW_jjP12ihipStream_tbEUlT_E2_NS1_11comp_targetILNS1_3genE2ELNS1_11target_archE906ELNS1_3gpuE6ELNS1_3repE0EEENS1_30default_config_static_selectorELNS0_4arch9wavefront6targetE1EEEvSK_: ; @_ZN7rocprim17ROCPRIM_400000_NS6detail17trampoline_kernelINS0_14default_configENS1_36segmented_radix_sort_config_selectorIslEEZNS1_25segmented_radix_sort_implIS3_Lb1EPKsPsPKlPlN2at6native12_GLOBAL__N_18offset_tEEE10hipError_tPvRmT1_PNSt15iterator_traitsISK_E10value_typeET2_T3_PNSL_ISQ_E10value_typeET4_jRbjT5_SW_jjP12ihipStream_tbEUlT_E2_NS1_11comp_targetILNS1_3genE2ELNS1_11target_archE906ELNS1_3gpuE6ELNS1_3repE0EEENS1_30default_config_static_selectorELNS0_4arch9wavefront6targetE1EEEvSK_
; %bb.0:
	s_add_u32 s0, s0, s8
	s_load_dwordx4 s[8:11], s[4:5], 0x34
	s_addc_u32 s1, s1, 0
	s_mov_b32 s32, 0
	s_waitcnt lgkmcnt(0)
	s_add_i32 s49, s9, s6
	s_add_i32 s76, s11, s6
	s_mul_i32 s49, s49, s8
	s_mul_i32 s76, s76, s10
	s_cmp_le_u32 s76, s49
	s_cbranch_scc1 .LBB945_422
; %bb.1:
	s_mov_b32 s48, s6
	s_load_dword s6, s[4:5], 0x30
	s_load_dwordx4 s[52:55], s[4:5], 0x20
	s_load_dwordx4 s[72:75], s[4:5], 0x44
	s_load_dwordx8 s[64:71], s[4:5], 0x0
	s_mov_b32 s33, s7
	s_waitcnt lgkmcnt(0)
	s_bitcmp1_b32 s6, 0
	s_cselect_b64 s[50:51], -1, 0
	s_sub_i32 s75, s76, s49
	s_cmpk_lt_u32 s75, 0x401
	s_mov_b64 s[6:7], -1
	s_cbranch_scc0 .LBB945_15
; %bb.2:
	s_cmp_lt_u32 s75, 33
	s_cbranch_scc0 .LBB945_9
; %bb.3:
	s_load_dword s6, s[4:5], 0x5c
	s_waitcnt lgkmcnt(0)
	s_lshr_b32 s7, s6, 16
	s_and_b32 s6, s6, 0xffff
	v_mad_u32_u24 v3, v2, s7, v1
	v_mad_u64_u32 v[3:4], s[6:7], v3, s6, v[0:1]
	v_cmp_gt_u32_e32 vcc, 8, v3
	s_and_saveexec_b64 s[34:35], vcc
	s_cbranch_execz .LBB945_8
; %bb.4:
	s_and_b32 s6, s72, 1
	v_cndmask_b32_e64 v3, 0, 1, s[50:51]
	v_cmp_ne_u32_e32 vcc, s6, v3
	s_mov_b64 s[6:7], -1
	s_cbranch_vccnz .LBB945_6
; %bb.5:
	s_add_u32 s8, s4, 0x50
	s_mov_b64 s[6:7], src_shared_base
	s_addc_u32 s9, s5, 0
	v_lshlrev_b32_e32 v3, 20, v2
	v_lshlrev_b32_e32 v4, 10, v1
	s_getpc_b64 s[10:11]
	s_add_u32 s10, s10, _ZN7rocprim17ROCPRIM_400000_NS6detail26segmented_warp_sort_helperINS1_20WarpSortHelperConfigILj8ELj4ELj256EEEslLi256ELb1EvE4sortIPKsPsPKlPlEEvT_T0_T1_T2_jjjjRNS5_12storage_typeE@rel32@lo+4
	s_addc_u32 s11, s11, _ZN7rocprim17ROCPRIM_400000_NS6detail26segmented_warp_sort_helperINS1_20WarpSortHelperConfigILj8ELj4ELj256EEEslLi256ELb1EvE4sortIPKsPsPKlPlEEvT_T0_T1_T2_jjjjRNS5_12storage_typeE@rel32@hi+12
	v_or3_b32 v31, v0, v4, v3
	s_mov_b32 s12, s48
	s_mov_b32 s13, s33
	v_mov_b32_e32 v40, v0
	v_mov_b32_e32 v0, s64
	;; [unrolled: 1-line block ×17, first 2 shown]
	s_mov_b64 s[36:37], s[4:5]
	s_swappc_b64 s[30:31], s[10:11]
	v_mov_b32_e32 v1, v41
	v_mov_b32_e32 v2, v42
	;; [unrolled: 1-line block ×3, first 2 shown]
	s_mov_b64 s[4:5], s[36:37]
	s_mov_b64 s[6:7], 0
.LBB945_6:
	s_andn2_b64 vcc, exec, s[6:7]
	s_cbranch_vccnz .LBB945_8
; %bb.7:
	s_add_u32 s8, s4, 0x50
	s_mov_b64 s[6:7], src_shared_base
	s_addc_u32 s9, s5, 0
	v_lshlrev_b32_e32 v3, 20, v2
	v_lshlrev_b32_e32 v4, 10, v1
	s_getpc_b64 s[10:11]
	s_add_u32 s10, s10, _ZN7rocprim17ROCPRIM_400000_NS6detail26segmented_warp_sort_helperINS1_20WarpSortHelperConfigILj8ELj4ELj256EEEslLi256ELb1EvE4sortIPKsPsPKlPlEEvT_T0_T1_T2_jjjjRNS5_12storage_typeE@rel32@lo+4
	s_addc_u32 s11, s11, _ZN7rocprim17ROCPRIM_400000_NS6detail26segmented_warp_sort_helperINS1_20WarpSortHelperConfigILj8ELj4ELj256EEEslLi256ELb1EvE4sortIPKsPsPKlPlEEvT_T0_T1_T2_jjjjRNS5_12storage_typeE@rel32@hi+12
	v_or3_b32 v31, v0, v4, v3
	s_mov_b32 s12, s48
	s_mov_b32 s13, s33
	v_mov_b32_e32 v40, v0
	v_mov_b32_e32 v0, s64
	;; [unrolled: 1-line block ×17, first 2 shown]
	s_mov_b64 s[36:37], s[4:5]
	s_swappc_b64 s[30:31], s[10:11]
	v_mov_b32_e32 v1, v41
	v_mov_b32_e32 v2, v42
	;; [unrolled: 1-line block ×3, first 2 shown]
	s_mov_b64 s[4:5], s[36:37]
.LBB945_8:
	s_or_b64 exec, exec, s[34:35]
	s_mov_b64 s[6:7], 0
.LBB945_9:
	s_andn2_b64 vcc, exec, s[6:7]
	s_cbranch_vccnz .LBB945_14
; %bb.10:
	s_and_b32 s6, s72, 1
	v_cndmask_b32_e64 v3, 0, 1, s[50:51]
	v_cmp_ne_u32_e32 vcc, s6, v3
	s_mov_b64 s[6:7], -1
	v_lshlrev_b32_e32 v41, 20, v2
	v_lshlrev_b32_e32 v42, 10, v1
	s_cbranch_vccnz .LBB945_12
; %bb.11:
	s_add_u32 s8, s4, 0x50
	s_mov_b64 s[6:7], src_shared_base
	s_addc_u32 s9, s5, 0
	s_getpc_b64 s[10:11]
	s_add_u32 s10, s10, _ZN7rocprim17ROCPRIM_400000_NS6detail40segmented_radix_sort_single_block_helperIslLj256ELj4ELb1EE4sortIPKsPsPKlPlEEbT_T0_T1_T2_jjjjRNS3_12storage_typeE@rel32@lo+4
	s_addc_u32 s11, s11, _ZN7rocprim17ROCPRIM_400000_NS6detail40segmented_radix_sort_single_block_helperIslLj256ELj4ELb1EE4sortIPKsPsPKlPlEEbT_T0_T1_T2_jjjjRNS3_12storage_typeE@rel32@hi+12
	v_or3_b32 v31, v0, v42, v41
	s_mov_b32 s12, s48
	s_mov_b32 s13, s33
	v_mov_b32_e32 v40, v0
	v_mov_b32_e32 v0, s64
	;; [unrolled: 1-line block ×17, first 2 shown]
	s_mov_b64 s[34:35], s[4:5]
	s_swappc_b64 s[30:31], s[10:11]
	v_mov_b32_e32 v1, v43
	v_mov_b32_e32 v2, v44
	;; [unrolled: 1-line block ×3, first 2 shown]
	s_mov_b64 s[4:5], s[34:35]
	s_mov_b64 s[6:7], 0
.LBB945_12:
	s_andn2_b64 vcc, exec, s[6:7]
	s_cbranch_vccnz .LBB945_14
; %bb.13:
	s_add_u32 s8, s4, 0x50
	s_mov_b64 s[6:7], src_shared_base
	s_addc_u32 s9, s5, 0
	s_getpc_b64 s[10:11]
	s_add_u32 s10, s10, _ZN7rocprim17ROCPRIM_400000_NS6detail40segmented_radix_sort_single_block_helperIslLj256ELj4ELb1EE4sortIPKsPsPKlPlEEbT_T0_T1_T2_jjjjRNS3_12storage_typeE@rel32@lo+4
	s_addc_u32 s11, s11, _ZN7rocprim17ROCPRIM_400000_NS6detail40segmented_radix_sort_single_block_helperIslLj256ELj4ELb1EE4sortIPKsPsPKlPlEEbT_T0_T1_T2_jjjjRNS3_12storage_typeE@rel32@hi+12
	v_or3_b32 v31, v0, v42, v41
	s_mov_b32 s12, s48
	s_mov_b32 s13, s33
	v_mov_b32_e32 v40, v0
	v_mov_b32_e32 v0, s64
	;; [unrolled: 1-line block ×17, first 2 shown]
	s_mov_b64 s[34:35], s[4:5]
	s_swappc_b64 s[30:31], s[10:11]
	v_mov_b32_e32 v1, v41
	v_mov_b32_e32 v2, v42
	;; [unrolled: 1-line block ×3, first 2 shown]
	s_mov_b64 s[4:5], s[34:35]
.LBB945_14:
	s_mov_b64 s[6:7], 0
.LBB945_15:
	s_andn2_b64 vcc, exec, s[6:7]
	s_cbranch_vccnz .LBB945_422
; %bb.16:
	s_cmp_ge_u32 s73, s74
	s_cbranch_scc1 .LBB945_422
; %bb.17:
	v_and_b32_e32 v3, 3, v0
	v_lshlrev_b32_e32 v19, 2, v0
	s_movk_i32 s6, 0x100
	v_lshlrev_b32_e32 v4, 1, v0
	v_lshlrev_b32_e32 v25, 2, v3
	v_or_b32_e32 v3, 63, v0
	v_mov_b32_e32 v5, s69
	v_add_co_u32_e32 v23, vcc, s68, v4
	s_mov_b64 s[12:13], s[4:5]
	v_cmp_gt_u32_e64 s[4:5], s6, v0
	v_mad_u32_u24 v26, v0, 12, v19
	v_cmp_eq_u32_e64 s[6:7], v0, v3
	v_lshrrev_b32_e32 v3, 4, v0
	v_addc_co_u32_e32 v24, vcc, 0, v5, vcc
	v_and_b32_e32 v27, 12, v3
	v_and_b32_e32 v3, 0x300, v19
	v_add_u32_e32 v30, v26, v19
	v_lshlrev_b32_e32 v5, 4, v0
	v_sub_u32_e32 v31, v30, v5
	v_lshlrev_b32_e32 v5, 3, v3
	v_mov_b32_e32 v6, s55
	v_add_co_u32_e32 v32, vcc, s54, v5
	v_addc_co_u32_e32 v33, vcc, 0, v6, vcc
	v_lshlrev_b32_e32 v6, 1, v3
	v_mov_b32_e32 v7, s69
	v_add_co_u32_e32 v34, vcc, s68, v6
	v_addc_co_u32_e32 v35, vcc, 0, v7, vcc
	v_mov_b32_e32 v7, s67
	v_add_co_u32_e32 v37, vcc, s66, v4
	v_addc_co_u32_e32 v38, vcc, 0, v7, vcc
	;; [unrolled: 3-line block ×5, first 2 shown]
	v_sub_u32_e32 v36, v31, v4
	v_mov_b32_e32 v4, s71
	v_add_co_u32_e32 v45, vcc, s70, v5
	v_addc_co_u32_e32 v46, vcc, 0, v4, vcc
	v_mov_b32_e32 v4, s65
	v_add_co_u32_e32 v47, vcc, s64, v6
	v_addc_co_u32_e32 v48, vcc, 0, v4, vcc
	v_mbcnt_lo_u32_b32 v4, -1, 0
	v_mbcnt_hi_u32_b32 v49, -1, v4
	v_and_b32_e32 v4, 63, v49
	s_add_u32 s44, s12, 0x50
	s_movk_i32 s14, 0xff
	v_or_b32_e32 v51, v4, v3
	v_or_b32_e32 v20, 0x100, v0
	;; [unrolled: 1-line block ×5, first 2 shown]
	v_cmp_gt_u32_e64 s[8:9], 4, v0
	v_or_b32_e32 v29, 0x2800, v19
	v_cmp_lt_u32_e64 s[10:11], 63, v0
	s_addc_u32 s45, s13, 0
	s_mov_b32 s47, 0
	v_cmp_eq_u32_e64 s[12:13], 0, v0
	v_cmp_ne_u32_e64 s[14:15], s14, v0
	s_mov_b32 s58, 0x5040100
	s_mov_b32 s59, 0xffff
	s_movk_i32 s60, 0x7fff
	s_movk_i32 s61, 0x8000
	v_lshlrev_b32_e32 v50, 3, v4
	v_lshlrev_b32_e32 v52, 1, v4
	s_mov_b32 s62, s73
	v_add_u32_e32 v53, 0x27fc, v27
	v_mul_u32_u24_e32 v54, 6, v0
	v_mov_b32_e32 v55, 1
	v_add_u32_e32 v56, 0x410, v30
	v_add_u32_e32 v57, 0x418, v30
	v_lshlrev_b32_e32 v58, 1, v0
	v_and_b32_e32 v59, 15, v49
	v_bfe_i32 v60, v49, 4, 1
	v_and_b32_e32 v61, 16, v49
	v_and_b32_e32 v62, 3, v49
	v_and_b32_e32 v63, 64, v49
	v_or_b32_e32 v64, 64, v51
	v_or_b32_e32 v65, 0x80, v51
	;; [unrolled: 1-line block ×3, first 2 shown]
	v_mov_b32_e32 v67, 0x5040100
	v_mov_b32_e32 v3, 0
	;; [unrolled: 1-line block ×3, first 2 shown]
	s_branch .LBB945_20
.LBB945_18:                             ;   in Loop: Header=BB945_20 Depth=1
	s_waitcnt lgkmcnt(0)
	s_barrier
.LBB945_19:                             ;   in Loop: Header=BB945_20 Depth=1
	s_add_i32 s62, s62, 8
	s_cmp_ge_u32 s62, s74
	s_cbranch_scc1 .LBB945_422
.LBB945_20:                             ; =>This Loop Header: Depth=1
                                        ;     Child Loop BB945_24 Depth 2
                                        ;     Child Loop BB945_56 Depth 2
	;; [unrolled: 1-line block ×8, first 2 shown]
	s_sub_i32 s16, s74, s62
	s_min_u32 s16, s16, 8
	s_lshl_b32 s16, -1, s16
	s_xor_b64 s[50:51], s[50:51], -1
	s_not_b32 s63, s16
	s_cmp_lg_u32 s62, s73
	s_mov_b64 s[16:17], -1
	ds_write2st64_b32 v19, v3, v3 offset1:4
	ds_write2st64_b32 v19, v3, v3 offset0:8 offset1:12
	s_waitcnt lgkmcnt(0)
	s_cbranch_scc0 .LBB945_222
; %bb.21:                               ;   in Loop: Header=BB945_20 Depth=1
	s_and_b64 vcc, exec, s[50:51]
	s_cbranch_vccz .LBB945_121
; %bb.22:                               ;   in Loop: Header=BB945_20 Depth=1
	v_mov_b32_e32 v4, v3
	v_mov_b32_e32 v7, v4
	s_mov_b32 s20, s75
	s_mov_b32 s46, s49
	v_mov_b32_e32 v6, v3
	s_barrier
	s_branch .LBB945_24
.LBB945_23:                             ;   in Loop: Header=BB945_24 Depth=2
	s_or_b64 exec, exec, s[16:17]
	s_addk_i32 s20, 0xfc00
	s_cmp_ge_u32 s21, s76
	s_mov_b32 s46, s21
	s_cbranch_scc1 .LBB945_44
.LBB945_24:                             ;   Parent Loop BB945_20 Depth=1
                                        ; =>  This Inner Loop Header: Depth=2
	s_add_i32 s21, s46, 0x400
	s_cmp_gt_u32 s21, s76
	s_mov_b64 s[16:17], -1
                                        ; implicit-def: $vgpr8_vgpr9
	s_cbranch_scc1 .LBB945_26
; %bb.25:                               ;   in Loop: Header=BB945_24 Depth=2
	s_lshl_b64 s[16:17], s[46:47], 1
	v_mov_b32_e32 v4, s17
	v_add_co_u32_e32 v8, vcc, s16, v23
	v_addc_co_u32_e32 v9, vcc, v24, v4, vcc
	global_load_ushort v4, v[8:9], off
	global_load_ushort v10, v[8:9], off offset:1024
	global_load_ushort v11, v[8:9], off offset:1536
	;; [unrolled: 1-line block ×3, first 2 shown]
	s_mov_b64 s[16:17], 0
	s_waitcnt vmcnt(1)
	v_perm_b32 v9, v11, v10, s58
	s_waitcnt vmcnt(0)
	v_perm_b32 v8, v12, v4, s58
.LBB945_26:                             ;   in Loop: Header=BB945_24 Depth=2
	s_andn2_b64 vcc, exec, s[16:17]
	s_movk_i32 s18, 0x400
	s_cbranch_vccnz .LBB945_33
; %bb.27:                               ;   in Loop: Header=BB945_24 Depth=2
	s_lshl_b64 s[16:17], s[46:47], 1
	s_add_u32 s16, s68, s16
	s_addc_u32 s17, s69, s17
	v_cmp_gt_u32_e32 vcc, s20, v0
	s_and_saveexec_b64 s[18:19], vcc
	s_cbranch_execnz .LBB945_41
; %bb.28:                               ;   in Loop: Header=BB945_24 Depth=2
	s_or_b64 exec, exec, s[18:19]
	v_cmp_gt_u32_e32 vcc, s20, v20
	s_and_saveexec_b64 s[18:19], vcc
	s_cbranch_execnz .LBB945_42
.LBB945_29:                             ;   in Loop: Header=BB945_24 Depth=2
	s_or_b64 exec, exec, s[18:19]
	v_cmp_gt_u32_e32 vcc, s20, v21
	s_and_saveexec_b64 s[18:19], vcc
	s_cbranch_execnz .LBB945_43
.LBB945_30:                             ;   in Loop: Header=BB945_24 Depth=2
	s_or_b64 exec, exec, s[18:19]
	v_cmp_gt_u32_e32 vcc, s20, v22
	s_and_saveexec_b64 s[18:19], vcc
	s_cbranch_execz .LBB945_32
.LBB945_31:                             ;   in Loop: Header=BB945_24 Depth=2
	global_load_ushort v4, v58, s[16:17] offset:1536
	s_waitcnt vmcnt(0)
	v_perm_b32 v7, v4, v7, s58
.LBB945_32:                             ;   in Loop: Header=BB945_24 Depth=2
	s_or_b64 exec, exec, s[18:19]
	v_mov_b32_e32 v9, v7
	s_mov_b32 s18, s20
	v_mov_b32_e32 v8, v6
.LBB945_33:                             ;   in Loop: Header=BB945_24 Depth=2
	v_mov_b32_e32 v6, v8
	v_mov_b32_e32 v7, v9
	v_cmp_gt_u32_e32 vcc, s18, v0
	s_and_saveexec_b64 s[16:17], vcc
	s_cbranch_execnz .LBB945_37
; %bb.34:                               ;   in Loop: Header=BB945_24 Depth=2
	s_or_b64 exec, exec, s[16:17]
	v_cmp_gt_u32_e32 vcc, s18, v20
	s_and_saveexec_b64 s[16:17], vcc
	s_cbranch_execnz .LBB945_38
.LBB945_35:                             ;   in Loop: Header=BB945_24 Depth=2
	s_or_b64 exec, exec, s[16:17]
	v_cmp_gt_u32_e32 vcc, s18, v21
	s_and_saveexec_b64 s[16:17], vcc
	s_cbranch_execnz .LBB945_39
.LBB945_36:                             ;   in Loop: Header=BB945_24 Depth=2
	s_or_b64 exec, exec, s[16:17]
	v_cmp_gt_u32_e32 vcc, s18, v22
	s_and_saveexec_b64 s[16:17], vcc
	s_cbranch_execz .LBB945_23
	s_branch .LBB945_40
.LBB945_37:                             ;   in Loop: Header=BB945_24 Depth=2
	v_xor_b32_e32 v4, 0x7fff, v6
	v_lshrrev_b32_sdwa v4, s62, v4 dst_sel:DWORD dst_unused:UNUSED_PAD src0_sel:DWORD src1_sel:WORD_0
	v_and_b32_e32 v4, s63, v4
	v_lshl_or_b32 v4, v4, 4, v25
	ds_add_u32 v4, v55
	s_or_b64 exec, exec, s[16:17]
	v_cmp_gt_u32_e32 vcc, s18, v20
	s_and_saveexec_b64 s[16:17], vcc
	s_cbranch_execz .LBB945_35
.LBB945_38:                             ;   in Loop: Header=BB945_24 Depth=2
	v_xor_b32_sdwa v4, v6, s60 dst_sel:DWORD dst_unused:UNUSED_PAD src0_sel:WORD_1 src1_sel:DWORD
	v_lshrrev_b32_sdwa v4, s62, v4 dst_sel:DWORD dst_unused:UNUSED_PAD src0_sel:DWORD src1_sel:WORD_0
	v_and_b32_e32 v4, s63, v4
	v_lshl_or_b32 v4, v4, 4, v25
	ds_add_u32 v4, v55
	s_or_b64 exec, exec, s[16:17]
	v_cmp_gt_u32_e32 vcc, s18, v21
	s_and_saveexec_b64 s[16:17], vcc
	s_cbranch_execz .LBB945_36
.LBB945_39:                             ;   in Loop: Header=BB945_24 Depth=2
	v_xor_b32_e32 v4, 0x7fff, v7
	v_lshrrev_b32_sdwa v4, s62, v4 dst_sel:DWORD dst_unused:UNUSED_PAD src0_sel:DWORD src1_sel:WORD_0
	v_and_b32_e32 v4, s63, v4
	v_lshl_or_b32 v4, v4, 4, v25
	ds_add_u32 v4, v55
	s_or_b64 exec, exec, s[16:17]
	v_cmp_gt_u32_e32 vcc, s18, v22
	s_and_saveexec_b64 s[16:17], vcc
	s_cbranch_execz .LBB945_23
.LBB945_40:                             ;   in Loop: Header=BB945_24 Depth=2
	v_xor_b32_sdwa v4, v7, s60 dst_sel:DWORD dst_unused:UNUSED_PAD src0_sel:WORD_1 src1_sel:DWORD
	v_lshrrev_b32_sdwa v4, s62, v4 dst_sel:DWORD dst_unused:UNUSED_PAD src0_sel:DWORD src1_sel:WORD_0
	v_and_b32_e32 v4, s63, v4
	v_lshl_or_b32 v4, v4, 4, v25
	ds_add_u32 v4, v55
	s_branch .LBB945_23
.LBB945_41:                             ;   in Loop: Header=BB945_24 Depth=2
	global_load_ushort v4, v58, s[16:17]
	s_waitcnt vmcnt(0)
	v_bfi_b32 v6, s59, v4, v6
	s_or_b64 exec, exec, s[18:19]
	v_cmp_gt_u32_e32 vcc, s20, v20
	s_and_saveexec_b64 s[18:19], vcc
	s_cbranch_execz .LBB945_29
.LBB945_42:                             ;   in Loop: Header=BB945_24 Depth=2
	global_load_ushort v4, v58, s[16:17] offset:512
	s_waitcnt vmcnt(0)
	v_perm_b32 v6, v4, v6, s58
	s_or_b64 exec, exec, s[18:19]
	v_cmp_gt_u32_e32 vcc, s20, v21
	s_and_saveexec_b64 s[18:19], vcc
	s_cbranch_execz .LBB945_30
.LBB945_43:                             ;   in Loop: Header=BB945_24 Depth=2
	global_load_ushort v4, v58, s[16:17] offset:1024
	s_waitcnt vmcnt(0)
	v_bfi_b32 v7, s59, v4, v7
	s_or_b64 exec, exec, s[18:19]
	v_cmp_gt_u32_e32 vcc, s20, v22
	s_and_saveexec_b64 s[18:19], vcc
	s_cbranch_execnz .LBB945_31
	s_branch .LBB945_32
.LBB945_44:                             ;   in Loop: Header=BB945_20 Depth=1
	v_mov_b32_e32 v4, 0
	s_waitcnt lgkmcnt(0)
	s_barrier
	s_and_saveexec_b64 s[16:17], s[4:5]
	s_cbranch_execz .LBB945_46
; %bb.45:                               ;   in Loop: Header=BB945_20 Depth=1
	ds_read2_b64 v[6:9], v26 offset1:1
	s_waitcnt lgkmcnt(0)
	v_add_u32_e32 v4, v7, v6
	v_add3_u32 v4, v4, v8, v9
.LBB945_46:                             ;   in Loop: Header=BB945_20 Depth=1
	s_or_b64 exec, exec, s[16:17]
	s_nop 0
	v_mov_b32_dpp v6, v4 row_shr:1 row_mask:0xf bank_mask:0xf
	v_cmp_eq_u32_e64 s[16:17], 0, v59
	v_cndmask_b32_e64 v6, v6, 0, s[16:17]
	v_add_u32_e32 v4, v6, v4
	v_cmp_lt_u32_e64 s[18:19], 1, v59
	v_cmp_lt_u32_e64 s[20:21], 3, v59
	v_mov_b32_dpp v6, v4 row_shr:2 row_mask:0xf bank_mask:0xf
	v_cndmask_b32_e64 v6, 0, v6, s[18:19]
	v_add_u32_e32 v4, v4, v6
	v_cmp_lt_u32_e64 s[22:23], 7, v59
	v_cmp_lt_u32_e64 s[26:27], 31, v49
	v_mov_b32_dpp v6, v4 row_shr:4 row_mask:0xf bank_mask:0xf
	v_cndmask_b32_e64 v6, 0, v6, s[20:21]
	v_add_u32_e32 v4, v4, v6
	v_cmp_eq_u32_e64 s[24:25], 0, v61
	s_nop 0
	v_mov_b32_dpp v6, v4 row_shr:8 row_mask:0xf bank_mask:0xf
	v_cndmask_b32_e64 v6, 0, v6, s[22:23]
	v_add_u32_e32 v4, v4, v6
	s_nop 1
	v_mov_b32_dpp v6, v4 row_bcast:15 row_mask:0xf bank_mask:0xf
	v_and_b32_e32 v6, v60, v6
	v_add_u32_e32 v4, v4, v6
	s_nop 1
	v_mov_b32_dpp v6, v4 row_bcast:31 row_mask:0xf bank_mask:0xf
	v_cndmask_b32_e64 v6, 0, v6, s[26:27]
	v_add_u32_e32 v4, v4, v6
	s_and_saveexec_b64 s[28:29], s[6:7]
; %bb.47:                               ;   in Loop: Header=BB945_20 Depth=1
	ds_write_b32 v28, v4
; %bb.48:                               ;   in Loop: Header=BB945_20 Depth=1
	s_or_b64 exec, exec, s[28:29]
	s_waitcnt lgkmcnt(0)
	s_barrier
	s_and_saveexec_b64 s[28:29], s[8:9]
	s_cbranch_execz .LBB945_50
; %bb.49:                               ;   in Loop: Header=BB945_20 Depth=1
	ds_read_b32 v6, v29
	v_cmp_ne_u32_e32 vcc, 0, v62
	s_waitcnt lgkmcnt(0)
	v_mov_b32_dpp v7, v6 row_shr:1 row_mask:0xf bank_mask:0xf
	v_cndmask_b32_e32 v7, 0, v7, vcc
	v_add_u32_e32 v6, v7, v6
	v_cmp_lt_u32_e32 vcc, 1, v62
	s_nop 0
	v_mov_b32_dpp v7, v6 row_shr:2 row_mask:0xf bank_mask:0xf
	v_cndmask_b32_e32 v7, 0, v7, vcc
	v_add_u32_e32 v6, v6, v7
	ds_write_b32 v29, v6
.LBB945_50:                             ;   in Loop: Header=BB945_20 Depth=1
	s_or_b64 exec, exec, s[28:29]
	v_mov_b32_e32 v6, 0
	s_waitcnt lgkmcnt(0)
	s_barrier
	s_and_saveexec_b64 s[28:29], s[10:11]
; %bb.51:                               ;   in Loop: Header=BB945_20 Depth=1
	ds_read_b32 v6, v53
; %bb.52:                               ;   in Loop: Header=BB945_20 Depth=1
	s_or_b64 exec, exec, s[28:29]
	v_subrev_co_u32_e64 v7, s[28:29], 1, v49
	v_cmp_lt_i32_e32 vcc, v7, v63
	v_cndmask_b32_e32 v7, v7, v49, vcc
	s_waitcnt lgkmcnt(0)
	v_add_u32_e32 v4, v6, v4
	v_lshlrev_b32_e32 v68, 2, v7
	ds_bpermute_b32 v4, v68, v4
	s_waitcnt lgkmcnt(0)
	s_barrier
	s_and_saveexec_b64 s[30:31], s[4:5]
; %bb.53:                               ;   in Loop: Header=BB945_20 Depth=1
	v_cndmask_b32_e64 v4, v4, v6, s[28:29]
	v_add_u32_e32 v4, s49, v4
	ds_write_b32 v19, v4
; %bb.54:                               ;   in Loop: Header=BB945_20 Depth=1
	s_or_b64 exec, exec, s[30:31]
	s_load_dword s30, s[44:45], 0x4
	s_load_dword s36, s[44:45], 0xc
	v_add_co_u32_e32 v69, vcc, v32, v50
	v_addc_co_u32_e32 v70, vcc, 0, v33, vcc
	s_waitcnt lgkmcnt(0)
	s_cmp_lt_u32 s33, s30
	s_cselect_b32 s30, 14, 20
	s_add_u32 s30, s44, s30
	s_addc_u32 s31, s45, 0
	global_load_ushort v4, v3, s[30:31]
	s_and_b32 s36, s36, 0xffff
	v_add_co_u32_e32 v71, vcc, v34, v52
	v_cmp_eq_u32_e64 s[30:31], 0, v62
	v_cmp_lt_u32_e64 s[34:35], 1, v62
	v_addc_co_u32_e32 v72, vcc, 0, v35, vcc
	s_mov_b32 s70, s75
	s_mov_b32 s46, s49
                                        ; implicit-def: $vgpr9_vgpr10
                                        ; implicit-def: $vgpr11_vgpr12
                                        ; implicit-def: $vgpr13_vgpr14
                                        ; implicit-def: $vgpr73
                                        ; implicit-def: $vgpr74
                                        ; implicit-def: $vgpr76
                                        ; implicit-def: $vgpr77
	s_waitcnt vmcnt(0)
	v_mad_u32_u24 v4, v2, v4, v1
	v_mad_u64_u32 v[6:7], s[36:37], v4, s36, v[0:1]
                                        ; implicit-def: $vgpr7_vgpr8
	v_lshrrev_b32_e32 v4, 4, v6
	v_and_b32_e32 v75, 0xffffffc, v4
	s_branch .LBB945_56
.LBB945_55:                             ;   in Loop: Header=BB945_56 Depth=2
	s_or_b64 exec, exec, s[36:37]
	s_addk_i32 s70, 0xfc00
	s_cmp_lt_u32 s71, s76
	s_mov_b32 s46, s71
	s_cbranch_scc0 .LBB945_120
.LBB945_56:                             ;   Parent Loop BB945_20 Depth=1
                                        ; =>  This Inner Loop Header: Depth=2
	s_add_i32 s71, s46, 0x400
	s_cmp_gt_u32 s71, s76
	s_cbranch_scc1 .LBB945_58
; %bb.57:                               ;   in Loop: Header=BB945_56 Depth=2
	s_lshl_b64 s[36:37], s[46:47], 1
	v_mov_b32_e32 v4, s37
	v_add_co_u32_e32 v15, vcc, s36, v71
	v_addc_co_u32_e32 v16, vcc, v72, v4, vcc
	global_load_ushort v4, v[15:16], off
	global_load_ushort v6, v[15:16], off offset:128
	s_nop 0
	global_load_ushort v16, v[15:16], off offset:256
	s_mov_b64 s[36:37], -1
	s_waitcnt vmcnt(1)
	v_perm_b32 v15, v6, v4, s58
	s_movk_i32 s40, 0x400
	s_cbranch_execz .LBB945_59
	s_branch .LBB945_64
.LBB945_58:                             ;   in Loop: Header=BB945_56 Depth=2
	s_mov_b64 s[36:37], 0
                                        ; implicit-def: $vgpr15_vgpr16
	s_movk_i32 s40, 0x400
.LBB945_59:                             ;   in Loop: Header=BB945_56 Depth=2
	s_lshl_b64 s[36:37], s[46:47], 1
	v_mov_b32_e32 v4, s37
	v_add_co_u32_e32 v17, vcc, s36, v71
	v_mov_b32_e32 v6, v5
	v_addc_co_u32_e32 v18, vcc, v72, v4, vcc
	s_waitcnt vmcnt(0)
	v_mov_b32_e32 v16, v6
	v_cmp_gt_u32_e32 vcc, s70, v51
	v_mov_b32_e32 v15, v5
	s_and_saveexec_b64 s[36:37], vcc
	s_cbranch_execnz .LBB945_118
; %bb.60:                               ;   in Loop: Header=BB945_56 Depth=2
	s_or_b64 exec, exec, s[36:37]
	v_cmp_gt_u32_e32 vcc, s70, v64
	s_and_saveexec_b64 s[36:37], vcc
	s_cbranch_execnz .LBB945_119
.LBB945_61:                             ;   in Loop: Header=BB945_56 Depth=2
	s_or_b64 exec, exec, s[36:37]
	v_cmp_gt_u32_e32 vcc, s70, v65
	s_and_saveexec_b64 s[36:37], vcc
	s_cbranch_execz .LBB945_63
.LBB945_62:                             ;   in Loop: Header=BB945_56 Depth=2
	global_load_ushort v4, v[17:18], off offset:256
	s_waitcnt vmcnt(0)
	v_bfi_b32 v16, s59, v4, v16
.LBB945_63:                             ;   in Loop: Header=BB945_56 Depth=2
	s_or_b64 exec, exec, s[36:37]
	s_sub_i32 s40, s76, s46
	v_cmp_gt_u32_e64 s[36:37], s70, v66
.LBB945_64:                             ;   in Loop: Header=BB945_56 Depth=2
	v_mov_b32_e32 v78, s70
	s_and_saveexec_b64 s[38:39], s[36:37]
	s_cbranch_execz .LBB945_66
; %bb.65:                               ;   in Loop: Header=BB945_56 Depth=2
	s_lshl_b64 s[36:37], s[46:47], 1
	v_mov_b32_e32 v4, s37
	v_add_co_u32_e32 v17, vcc, s36, v71
	v_addc_co_u32_e32 v18, vcc, v72, v4, vcc
	global_load_ushort v4, v[17:18], off offset:384
	v_mov_b32_e32 v78, s40
	s_waitcnt vmcnt(0)
	v_perm_b32 v16, v4, v16, s58
.LBB945_66:                             ;   in Loop: Header=BB945_56 Depth=2
	s_or_b64 exec, exec, s[38:39]
	v_xor_b32_e32 v6, 0x7fff, v15
	v_lshrrev_b32_sdwa v4, s62, v6 dst_sel:DWORD dst_unused:UNUSED_PAD src0_sel:DWORD src1_sel:WORD_0
	v_and_b32_e32 v17, s63, v4
	v_and_b32_e32 v4, 1, v17
	v_add_co_u32_e32 v18, vcc, -1, v4
	v_addc_co_u32_e64 v79, s[36:37], 0, -1, vcc
	v_cmp_ne_u32_e32 vcc, 0, v4
	v_xor_b32_e32 v4, vcc_hi, v79
	v_and_b32_e32 v79, exec_hi, v4
	v_lshlrev_b32_e32 v4, 30, v17
	v_xor_b32_e32 v18, vcc_lo, v18
	v_cmp_gt_i64_e32 vcc, 0, v[3:4]
	v_not_b32_e32 v4, v4
	v_ashrrev_i32_e32 v4, 31, v4
	v_and_b32_e32 v18, exec_lo, v18
	v_xor_b32_e32 v81, vcc_hi, v4
	v_xor_b32_e32 v4, vcc_lo, v4
	v_and_b32_e32 v18, v18, v4
	v_lshlrev_b32_e32 v4, 29, v17
	v_cmp_gt_i64_e32 vcc, 0, v[3:4]
	v_not_b32_e32 v4, v4
	v_ashrrev_i32_e32 v4, 31, v4
	v_and_b32_e32 v79, v79, v81
	v_xor_b32_e32 v81, vcc_hi, v4
	v_xor_b32_e32 v4, vcc_lo, v4
	v_and_b32_e32 v18, v18, v4
	v_lshlrev_b32_e32 v4, 28, v17
	v_cmp_gt_i64_e32 vcc, 0, v[3:4]
	v_not_b32_e32 v4, v4
	v_ashrrev_i32_e32 v4, 31, v4
	v_and_b32_e32 v79, v79, v81
	;; [unrolled: 8-line block ×5, first 2 shown]
	v_xor_b32_e32 v81, vcc_hi, v4
	v_xor_b32_e32 v4, vcc_lo, v4
	v_and_b32_e32 v79, v79, v81
	v_and_b32_e32 v81, v18, v4
	v_lshlrev_b32_e32 v4, 24, v17
	v_cmp_gt_i64_e32 vcc, 0, v[3:4]
	v_not_b32_e32 v4, v4
	v_ashrrev_i32_e32 v4, 31, v4
	v_mul_u32_u24_e32 v80, 20, v17
	v_xor_b32_e32 v17, vcc_hi, v4
	v_xor_b32_e32 v4, vcc_lo, v4
	v_and_b32_e32 v18, v79, v17
	v_and_b32_e32 v17, v81, v4
	v_mbcnt_lo_u32_b32 v4, v17, 0
	v_mbcnt_hi_u32_b32 v79, v18, v4
	v_cmp_ne_u64_e32 vcc, 0, v[17:18]
	v_cmp_eq_u32_e64 s[36:37], 0, v79
	s_and_b64 s[38:39], vcc, s[36:37]
	v_add_u32_e32 v82, v75, v80
	ds_write2_b32 v56, v3, v3 offset1:1
	ds_write2_b32 v57, v3, v3 offset1:1
	ds_write_b32 v30, v3 offset:1056
	s_waitcnt vmcnt(0) lgkmcnt(0)
	s_barrier
	; wave barrier
	s_and_saveexec_b64 s[36:37], s[38:39]
; %bb.67:                               ;   in Loop: Header=BB945_56 Depth=2
	v_bcnt_u32_b32 v4, v17, 0
	v_bcnt_u32_b32 v4, v18, v4
	ds_write_b32 v82, v4 offset:1040
; %bb.68:                               ;   in Loop: Header=BB945_56 Depth=2
	s_or_b64 exec, exec, s[36:37]
	v_xor_b32_sdwa v80, v15, s60 dst_sel:DWORD dst_unused:UNUSED_PAD src0_sel:WORD_1 src1_sel:DWORD
	v_lshrrev_b32_sdwa v4, s62, v80 dst_sel:DWORD dst_unused:UNUSED_PAD src0_sel:DWORD src1_sel:WORD_0
	v_and_b32_e32 v15, s63, v4
	v_mad_u32_u24 v4, v15, 20, v75
	; wave barrier
	ds_read_b32 v81, v4 offset:1040
	v_and_b32_e32 v4, 1, v15
	v_add_co_u32_e32 v17, vcc, -1, v4
	v_addc_co_u32_e64 v18, s[36:37], 0, -1, vcc
	v_cmp_ne_u32_e32 vcc, 0, v4
	v_xor_b32_e32 v4, vcc_hi, v18
	v_and_b32_e32 v18, exec_hi, v4
	v_lshlrev_b32_e32 v4, 30, v15
	v_xor_b32_e32 v17, vcc_lo, v17
	v_cmp_gt_i64_e32 vcc, 0, v[3:4]
	v_not_b32_e32 v4, v4
	v_ashrrev_i32_e32 v4, 31, v4
	v_and_b32_e32 v17, exec_lo, v17
	v_xor_b32_e32 v83, vcc_hi, v4
	v_xor_b32_e32 v4, vcc_lo, v4
	v_and_b32_e32 v17, v17, v4
	v_lshlrev_b32_e32 v4, 29, v15
	v_cmp_gt_i64_e32 vcc, 0, v[3:4]
	v_not_b32_e32 v4, v4
	v_ashrrev_i32_e32 v4, 31, v4
	v_and_b32_e32 v18, v18, v83
	v_xor_b32_e32 v83, vcc_hi, v4
	v_xor_b32_e32 v4, vcc_lo, v4
	v_and_b32_e32 v17, v17, v4
	v_lshlrev_b32_e32 v4, 28, v15
	v_cmp_gt_i64_e32 vcc, 0, v[3:4]
	v_not_b32_e32 v4, v4
	v_ashrrev_i32_e32 v4, 31, v4
	v_and_b32_e32 v18, v18, v83
	;; [unrolled: 8-line block ×5, first 2 shown]
	v_xor_b32_e32 v83, vcc_hi, v4
	v_xor_b32_e32 v4, vcc_lo, v4
	v_and_b32_e32 v17, v17, v4
	v_lshlrev_b32_e32 v4, 24, v15
	v_cmp_gt_i64_e32 vcc, 0, v[3:4]
	v_not_b32_e32 v4, v4
	v_ashrrev_i32_e32 v4, 31, v4
	v_mul_u32_u24_e32 v84, 20, v15
	v_xor_b32_e32 v15, vcc_hi, v4
	v_xor_b32_e32 v4, vcc_lo, v4
	v_and_b32_e32 v18, v18, v83
	v_and_b32_e32 v17, v17, v4
	;; [unrolled: 1-line block ×3, first 2 shown]
	v_mbcnt_lo_u32_b32 v4, v17, 0
	v_mbcnt_hi_u32_b32 v83, v18, v4
	v_cmp_ne_u64_e32 vcc, 0, v[17:18]
	v_cmp_eq_u32_e64 s[36:37], 0, v83
	s_and_b64 s[38:39], vcc, s[36:37]
	v_add_u32_e32 v86, v75, v84
	; wave barrier
	s_and_saveexec_b64 s[36:37], s[38:39]
	s_cbranch_execz .LBB945_70
; %bb.69:                               ;   in Loop: Header=BB945_56 Depth=2
	v_bcnt_u32_b32 v4, v17, 0
	v_bcnt_u32_b32 v4, v18, v4
	s_waitcnt lgkmcnt(0)
	v_add_u32_e32 v4, v81, v4
	ds_write_b32 v86, v4 offset:1040
.LBB945_70:                             ;   in Loop: Header=BB945_56 Depth=2
	s_or_b64 exec, exec, s[36:37]
	v_xor_b32_e32 v84, 0x7fff, v16
	v_lshrrev_b32_sdwa v4, s62, v84 dst_sel:DWORD dst_unused:UNUSED_PAD src0_sel:DWORD src1_sel:WORD_0
	v_and_b32_e32 v15, s63, v4
	v_mad_u32_u24 v4, v15, 20, v75
	; wave barrier
	ds_read_b32 v85, v4 offset:1040
	v_and_b32_e32 v4, 1, v15
	v_add_co_u32_e32 v17, vcc, -1, v4
	v_addc_co_u32_e64 v18, s[36:37], 0, -1, vcc
	v_cmp_ne_u32_e32 vcc, 0, v4
	v_xor_b32_e32 v4, vcc_hi, v18
	v_and_b32_e32 v18, exec_hi, v4
	v_lshlrev_b32_e32 v4, 30, v15
	v_xor_b32_e32 v17, vcc_lo, v17
	v_cmp_gt_i64_e32 vcc, 0, v[3:4]
	v_not_b32_e32 v4, v4
	v_ashrrev_i32_e32 v4, 31, v4
	v_and_b32_e32 v17, exec_lo, v17
	v_xor_b32_e32 v87, vcc_hi, v4
	v_xor_b32_e32 v4, vcc_lo, v4
	v_and_b32_e32 v17, v17, v4
	v_lshlrev_b32_e32 v4, 29, v15
	v_cmp_gt_i64_e32 vcc, 0, v[3:4]
	v_not_b32_e32 v4, v4
	v_ashrrev_i32_e32 v4, 31, v4
	v_and_b32_e32 v18, v18, v87
	v_xor_b32_e32 v87, vcc_hi, v4
	v_xor_b32_e32 v4, vcc_lo, v4
	v_and_b32_e32 v17, v17, v4
	v_lshlrev_b32_e32 v4, 28, v15
	v_cmp_gt_i64_e32 vcc, 0, v[3:4]
	v_not_b32_e32 v4, v4
	v_ashrrev_i32_e32 v4, 31, v4
	v_and_b32_e32 v18, v18, v87
	;; [unrolled: 8-line block ×5, first 2 shown]
	v_xor_b32_e32 v87, vcc_hi, v4
	v_xor_b32_e32 v4, vcc_lo, v4
	v_and_b32_e32 v17, v17, v4
	v_lshlrev_b32_e32 v4, 24, v15
	v_cmp_gt_i64_e32 vcc, 0, v[3:4]
	v_not_b32_e32 v4, v4
	v_ashrrev_i32_e32 v4, 31, v4
	v_mul_u32_u24_e32 v88, 20, v15
	v_xor_b32_e32 v15, vcc_hi, v4
	v_xor_b32_e32 v4, vcc_lo, v4
	v_and_b32_e32 v18, v18, v87
	v_and_b32_e32 v17, v17, v4
	;; [unrolled: 1-line block ×3, first 2 shown]
	v_mbcnt_lo_u32_b32 v4, v17, 0
	v_mbcnt_hi_u32_b32 v87, v18, v4
	v_cmp_ne_u64_e32 vcc, 0, v[17:18]
	v_cmp_eq_u32_e64 s[36:37], 0, v87
	s_and_b64 s[38:39], vcc, s[36:37]
	v_add_u32_e32 v90, v75, v88
	; wave barrier
	s_and_saveexec_b64 s[36:37], s[38:39]
	s_cbranch_execz .LBB945_72
; %bb.71:                               ;   in Loop: Header=BB945_56 Depth=2
	v_bcnt_u32_b32 v4, v17, 0
	v_bcnt_u32_b32 v4, v18, v4
	s_waitcnt lgkmcnt(0)
	v_add_u32_e32 v4, v85, v4
	ds_write_b32 v90, v4 offset:1040
.LBB945_72:                             ;   in Loop: Header=BB945_56 Depth=2
	s_or_b64 exec, exec, s[36:37]
	v_xor_b32_sdwa v88, v16, s60 dst_sel:DWORD dst_unused:UNUSED_PAD src0_sel:WORD_1 src1_sel:DWORD
	v_lshrrev_b32_sdwa v4, s62, v88 dst_sel:DWORD dst_unused:UNUSED_PAD src0_sel:DWORD src1_sel:WORD_0
	v_and_b32_e32 v15, s63, v4
	v_mad_u32_u24 v4, v15, 20, v75
	; wave barrier
	ds_read_b32 v89, v4 offset:1040
	v_and_b32_e32 v4, 1, v15
	v_add_co_u32_e32 v16, vcc, -1, v4
	v_addc_co_u32_e64 v18, s[36:37], 0, -1, vcc
	v_cmp_ne_u32_e32 vcc, 0, v4
	v_xor_b32_e32 v4, vcc_hi, v18
	v_and_b32_e32 v18, exec_hi, v4
	v_lshlrev_b32_e32 v4, 30, v15
	v_xor_b32_e32 v16, vcc_lo, v16
	v_cmp_gt_i64_e32 vcc, 0, v[3:4]
	v_not_b32_e32 v4, v4
	v_ashrrev_i32_e32 v4, 31, v4
	v_and_b32_e32 v16, exec_lo, v16
	v_xor_b32_e32 v91, vcc_hi, v4
	v_xor_b32_e32 v4, vcc_lo, v4
	v_and_b32_e32 v16, v16, v4
	v_lshlrev_b32_e32 v4, 29, v15
	v_cmp_gt_i64_e32 vcc, 0, v[3:4]
	v_not_b32_e32 v4, v4
	v_ashrrev_i32_e32 v4, 31, v4
	v_and_b32_e32 v18, v18, v91
	v_xor_b32_e32 v91, vcc_hi, v4
	v_xor_b32_e32 v4, vcc_lo, v4
	v_and_b32_e32 v16, v16, v4
	v_lshlrev_b32_e32 v4, 28, v15
	v_cmp_gt_i64_e32 vcc, 0, v[3:4]
	v_not_b32_e32 v4, v4
	v_ashrrev_i32_e32 v4, 31, v4
	v_and_b32_e32 v18, v18, v91
	;; [unrolled: 8-line block ×5, first 2 shown]
	v_xor_b32_e32 v91, vcc_hi, v4
	v_xor_b32_e32 v4, vcc_lo, v4
	v_and_b32_e32 v18, v18, v91
	v_and_b32_e32 v91, v16, v4
	v_lshlrev_b32_e32 v4, 24, v15
	v_cmp_gt_i64_e32 vcc, 0, v[3:4]
	v_not_b32_e32 v4, v4
	v_ashrrev_i32_e32 v4, 31, v4
	v_mul_u32_u24_e32 v17, 20, v15
	v_xor_b32_e32 v15, vcc_hi, v4
	v_xor_b32_e32 v4, vcc_lo, v4
	v_and_b32_e32 v16, v18, v15
	v_and_b32_e32 v15, v91, v4
	v_mbcnt_lo_u32_b32 v4, v15, 0
	v_mbcnt_hi_u32_b32 v4, v16, v4
	v_cmp_ne_u64_e32 vcc, 0, v[15:16]
	v_cmp_eq_u32_e64 s[36:37], 0, v4
	s_and_b64 s[38:39], vcc, s[36:37]
	v_add_u32_e32 v91, v75, v17
	; wave barrier
	s_and_saveexec_b64 s[36:37], s[38:39]
	s_cbranch_execz .LBB945_74
; %bb.73:                               ;   in Loop: Header=BB945_56 Depth=2
	v_bcnt_u32_b32 v15, v15, 0
	v_bcnt_u32_b32 v15, v16, v15
	s_waitcnt lgkmcnt(0)
	v_add_u32_e32 v15, v89, v15
	ds_write_b32 v91, v15 offset:1040
.LBB945_74:                             ;   in Loop: Header=BB945_56 Depth=2
	s_or_b64 exec, exec, s[36:37]
	; wave barrier
	s_waitcnt lgkmcnt(0)
	s_barrier
	ds_read2_b32 v[17:18], v56 offset1:1
	ds_read2_b32 v[15:16], v57 offset1:1
	ds_read_b32 v92, v30 offset:1056
	s_waitcnt lgkmcnt(1)
	v_add3_u32 v93, v18, v17, v15
	s_waitcnt lgkmcnt(0)
	v_add3_u32 v92, v93, v16, v92
	s_nop 1
	v_mov_b32_dpp v93, v92 row_shr:1 row_mask:0xf bank_mask:0xf
	v_cndmask_b32_e64 v93, v93, 0, s[16:17]
	v_add_u32_e32 v92, v93, v92
	s_nop 1
	v_mov_b32_dpp v93, v92 row_shr:2 row_mask:0xf bank_mask:0xf
	v_cndmask_b32_e64 v93, 0, v93, s[18:19]
	v_add_u32_e32 v92, v92, v93
	;; [unrolled: 4-line block ×4, first 2 shown]
	s_nop 1
	v_mov_b32_dpp v93, v92 row_bcast:15 row_mask:0xf bank_mask:0xf
	v_cndmask_b32_e64 v93, v93, 0, s[24:25]
	v_add_u32_e32 v92, v92, v93
	s_nop 1
	v_mov_b32_dpp v93, v92 row_bcast:31 row_mask:0xf bank_mask:0xf
	v_cndmask_b32_e64 v93, 0, v93, s[26:27]
	v_add_u32_e32 v92, v92, v93
	s_and_saveexec_b64 s[36:37], s[6:7]
; %bb.75:                               ;   in Loop: Header=BB945_56 Depth=2
	ds_write_b32 v27, v92 offset:1024
; %bb.76:                               ;   in Loop: Header=BB945_56 Depth=2
	s_or_b64 exec, exec, s[36:37]
	s_waitcnt lgkmcnt(0)
	s_barrier
	s_and_saveexec_b64 s[36:37], s[8:9]
	s_cbranch_execz .LBB945_78
; %bb.77:                               ;   in Loop: Header=BB945_56 Depth=2
	ds_read_b32 v93, v31 offset:1024
	s_waitcnt lgkmcnt(0)
	s_nop 0
	v_mov_b32_dpp v94, v93 row_shr:1 row_mask:0xf bank_mask:0xf
	v_cndmask_b32_e64 v94, v94, 0, s[30:31]
	v_add_u32_e32 v93, v94, v93
	s_nop 1
	v_mov_b32_dpp v94, v93 row_shr:2 row_mask:0xf bank_mask:0xf
	v_cndmask_b32_e64 v94, 0, v94, s[34:35]
	v_add_u32_e32 v93, v93, v94
	ds_write_b32 v31, v93 offset:1024
.LBB945_78:                             ;   in Loop: Header=BB945_56 Depth=2
	s_or_b64 exec, exec, s[36:37]
	v_mov_b32_e32 v93, 0
	s_waitcnt lgkmcnt(0)
	s_barrier
	s_and_saveexec_b64 s[36:37], s[10:11]
; %bb.79:                               ;   in Loop: Header=BB945_56 Depth=2
	ds_read_b32 v93, v27 offset:1020
; %bb.80:                               ;   in Loop: Header=BB945_56 Depth=2
	s_or_b64 exec, exec, s[36:37]
	s_waitcnt lgkmcnt(0)
	v_add_u32_e32 v92, v93, v92
	ds_bpermute_b32 v92, v68, v92
	s_waitcnt lgkmcnt(0)
	v_cndmask_b32_e64 v92, v92, v93, s[28:29]
	v_cndmask_b32_e64 v92, v92, 0, s[12:13]
	v_add_u32_e32 v17, v92, v17
	v_add_u32_e32 v18, v17, v18
	;; [unrolled: 1-line block ×4, first 2 shown]
	ds_write2_b32 v56, v92, v17 offset1:1
	ds_write2_b32 v57, v18, v15 offset1:1
	ds_write_b32 v30, v16 offset:1056
	s_waitcnt lgkmcnt(0)
	s_barrier
	ds_read_b32 v15, v82 offset:1040
	ds_read_b32 v16, v86 offset:1040
	;; [unrolled: 1-line block ×5, first 2 shown]
	v_mov_b32_e32 v82, 0x400
	s_and_saveexec_b64 s[36:37], s[14:15]
; %bb.81:                               ;   in Loop: Header=BB945_56 Depth=2
	ds_read_b32 v82, v30 offset:1060
; %bb.82:                               ;   in Loop: Header=BB945_56 Depth=2
	s_or_b64 exec, exec, s[36:37]
	s_waitcnt lgkmcnt(0)
	s_barrier
	s_and_saveexec_b64 s[36:37], s[4:5]
	s_cbranch_execz .LBB945_84
; %bb.83:                               ;   in Loop: Header=BB945_56 Depth=2
	ds_read_b32 v90, v19
	s_waitcnt lgkmcnt(0)
	v_sub_u32_e32 v86, v90, v86
	ds_write_b32 v19, v86
.LBB945_84:                             ;   in Loop: Header=BB945_56 Depth=2
	s_or_b64 exec, exec, s[36:37]
	v_add_u32_e32 v86, v15, v79
	v_add3_u32 v83, v83, v81, v16
	v_add3_u32 v81, v87, v85, v17
	;; [unrolled: 1-line block ×3, first 2 shown]
	v_lshlrev_b32_e32 v16, 1, v86
	ds_write_b16 v16, v6 offset:1024
	v_lshlrev_b32_e32 v15, 1, v83
	v_lshlrev_b32_e32 v6, 1, v81
	;; [unrolled: 1-line block ×3, first 2 shown]
	v_cmp_lt_u32_e32 vcc, v0, v78
	ds_write_b16 v15, v80 offset:1024
	ds_write_b16 v6, v84 offset:1024
	;; [unrolled: 1-line block ×3, first 2 shown]
	s_waitcnt lgkmcnt(0)
	s_barrier
	s_and_saveexec_b64 s[38:39], vcc
	s_cbranch_execnz .LBB945_105
; %bb.85:                               ;   in Loop: Header=BB945_56 Depth=2
	s_or_b64 exec, exec, s[38:39]
	v_cmp_lt_u32_e64 s[36:37], v20, v78
	s_and_saveexec_b64 s[40:41], s[36:37]
	s_cbranch_execnz .LBB945_106
.LBB945_86:                             ;   in Loop: Header=BB945_56 Depth=2
	s_or_b64 exec, exec, s[40:41]
	v_cmp_lt_u32_e64 s[38:39], v21, v78
	s_and_saveexec_b64 s[42:43], s[38:39]
	s_cbranch_execnz .LBB945_107
.LBB945_87:                             ;   in Loop: Header=BB945_56 Depth=2
	s_or_b64 exec, exec, s[42:43]
	v_cmp_lt_u32_e64 s[40:41], v22, v78
	s_and_saveexec_b64 s[56:57], s[40:41]
	s_cbranch_execz .LBB945_89
.LBB945_88:                             ;   in Loop: Header=BB945_56 Depth=2
	ds_read_u16 v17, v36 offset:2560
	v_mov_b32_e32 v84, s67
	s_waitcnt lgkmcnt(0)
	v_lshrrev_b32_sdwa v18, s62, v17 dst_sel:DWORD dst_unused:UNUSED_PAD src0_sel:DWORD src1_sel:WORD_0
	v_and_b32_e32 v18, s63, v18
	v_lshlrev_b32_e32 v18, 2, v18
	ds_read_b32 v80, v18
	v_mov_b32_e32 v18, v3
	v_xor_b32_e32 v85, 0x7fff, v17
	s_waitcnt lgkmcnt(0)
	v_add_u32_e32 v17, v80, v22
	v_lshlrev_b64 v[17:18], 1, v[17:18]
	v_add_co_u32_e64 v17, s[42:43], s66, v17
	v_addc_co_u32_e64 v18, s[42:43], v84, v18, s[42:43]
	global_store_short v[17:18], v85, off
.LBB945_89:                             ;   in Loop: Header=BB945_56 Depth=2
	s_or_b64 exec, exec, s[56:57]
	s_lshl_b64 s[42:43], s[46:47], 3
	v_mov_b32_e32 v18, s43
	v_add_co_u32_e64 v17, s[42:43], s42, v69
	v_addc_co_u32_e64 v18, s[42:43], v70, v18, s[42:43]
	v_cmp_lt_u32_e64 s[42:43], v51, v78
	s_and_saveexec_b64 s[56:57], s[42:43]
	s_xor_b64 s[42:43], exec, s[56:57]
	s_cbranch_execnz .LBB945_108
; %bb.90:                               ;   in Loop: Header=BB945_56 Depth=2
	s_or_b64 exec, exec, s[42:43]
	v_cmp_lt_u32_e64 s[42:43], v64, v78
	s_and_saveexec_b64 s[56:57], s[42:43]
	s_cbranch_execnz .LBB945_109
.LBB945_91:                             ;   in Loop: Header=BB945_56 Depth=2
	s_or_b64 exec, exec, s[56:57]
	v_cmp_lt_u32_e64 s[42:43], v65, v78
	s_and_saveexec_b64 s[56:57], s[42:43]
	s_cbranch_execnz .LBB945_110
.LBB945_92:                             ;   in Loop: Header=BB945_56 Depth=2
	s_or_b64 exec, exec, s[56:57]
	v_cmp_lt_u32_e64 s[42:43], v66, v78
	s_and_saveexec_b64 s[56:57], s[42:43]
	s_cbranch_execnz .LBB945_111
.LBB945_93:                             ;   in Loop: Header=BB945_56 Depth=2
	s_or_b64 exec, exec, s[56:57]
	s_and_saveexec_b64 s[42:43], vcc
	s_cbranch_execnz .LBB945_112
.LBB945_94:                             ;   in Loop: Header=BB945_56 Depth=2
	s_or_b64 exec, exec, s[42:43]
	s_and_saveexec_b64 s[42:43], s[36:37]
	s_cbranch_execnz .LBB945_113
.LBB945_95:                             ;   in Loop: Header=BB945_56 Depth=2
	s_or_b64 exec, exec, s[42:43]
	s_and_saveexec_b64 s[42:43], s[38:39]
	s_cbranch_execnz .LBB945_114
.LBB945_96:                             ;   in Loop: Header=BB945_56 Depth=2
	s_or_b64 exec, exec, s[42:43]
	s_and_saveexec_b64 s[42:43], s[40:41]
	s_cbranch_execz .LBB945_98
.LBB945_97:                             ;   in Loop: Header=BB945_56 Depth=2
	ds_read_u16 v17, v36 offset:2560
	s_waitcnt lgkmcnt(0)
	v_lshrrev_b32_e32 v17, s62, v17
	v_and_b32_e32 v73, s63, v17
.LBB945_98:                             ;   in Loop: Header=BB945_56 Depth=2
	s_or_b64 exec, exec, s[42:43]
	v_mad_u64_u32 v[16:17], s[42:43], v86, 6, v[16:17]
	s_waitcnt vmcnt(0)
	v_mad_u64_u32 v[80:81], s[42:43], v81, 6, v[6:7]
	v_mad_u64_u32 v[17:18], s[42:43], v83, 6, v[15:16]
	;; [unrolled: 1-line block ×3, first 2 shown]
	s_barrier
	ds_write_b64 v16, v[13:14] offset:1024
	ds_write_b64 v17, v[11:12] offset:1024
	;; [unrolled: 1-line block ×4, first 2 shown]
	s_waitcnt lgkmcnt(0)
	s_barrier
	s_and_saveexec_b64 s[42:43], vcc
	s_cbranch_execnz .LBB945_115
; %bb.99:                               ;   in Loop: Header=BB945_56 Depth=2
	s_or_b64 exec, exec, s[42:43]
	s_and_saveexec_b64 s[42:43], s[36:37]
	s_cbranch_execnz .LBB945_116
.LBB945_100:                            ;   in Loop: Header=BB945_56 Depth=2
	s_or_b64 exec, exec, s[42:43]
	s_and_saveexec_b64 s[36:37], s[38:39]
	s_cbranch_execnz .LBB945_117
.LBB945_101:                            ;   in Loop: Header=BB945_56 Depth=2
	s_or_b64 exec, exec, s[36:37]
	s_and_saveexec_b64 s[36:37], s[40:41]
	s_cbranch_execz .LBB945_103
.LBB945_102:                            ;   in Loop: Header=BB945_56 Depth=2
	v_lshlrev_b32_e32 v4, 2, v73
	ds_read_b32 v4, v4
	v_add_u32_e32 v6, v36, v54
	ds_read_b64 v[15:16], v6 offset:7168
	v_mov_b32_e32 v18, v3
	v_mov_b32_e32 v6, s53
	s_waitcnt lgkmcnt(1)
	v_add_u32_e32 v17, v4, v22
	v_lshlrev_b64 v[17:18], 3, v[17:18]
	v_add_co_u32_e32 v17, vcc, s52, v17
	v_addc_co_u32_e32 v18, vcc, v6, v18, vcc
	s_waitcnt lgkmcnt(0)
	global_store_dwordx2 v[17:18], v[15:16], off
.LBB945_103:                            ;   in Loop: Header=BB945_56 Depth=2
	s_or_b64 exec, exec, s[36:37]
	s_waitcnt vmcnt(0)
	s_barrier
	s_and_saveexec_b64 s[36:37], s[4:5]
	s_cbranch_execz .LBB945_55
; %bb.104:                              ;   in Loop: Header=BB945_56 Depth=2
	ds_read_b32 v4, v19
	s_waitcnt lgkmcnt(0)
	v_add_u32_e32 v4, v4, v82
	ds_write_b32 v19, v4
	s_branch .LBB945_55
.LBB945_105:                            ;   in Loop: Header=BB945_56 Depth=2
	ds_read_u16 v17, v36 offset:1024
	v_mov_b32_e32 v84, s67
	s_waitcnt lgkmcnt(0)
	v_lshrrev_b32_sdwa v18, s62, v17 dst_sel:DWORD dst_unused:UNUSED_PAD src0_sel:DWORD src1_sel:WORD_0
	v_and_b32_e32 v18, s63, v18
	v_lshlrev_b32_e32 v18, 2, v18
	ds_read_b32 v80, v18
	v_mov_b32_e32 v18, v3
	v_xor_b32_e32 v85, 0x7fff, v17
	s_waitcnt lgkmcnt(0)
	v_add_u32_e32 v17, v80, v0
	v_lshlrev_b64 v[17:18], 1, v[17:18]
	v_add_co_u32_e64 v17, s[36:37], s66, v17
	v_addc_co_u32_e64 v18, s[36:37], v84, v18, s[36:37]
	global_store_short v[17:18], v85, off
	s_or_b64 exec, exec, s[38:39]
	v_cmp_lt_u32_e64 s[36:37], v20, v78
	s_and_saveexec_b64 s[40:41], s[36:37]
	s_cbranch_execz .LBB945_86
.LBB945_106:                            ;   in Loop: Header=BB945_56 Depth=2
	ds_read_u16 v17, v36 offset:1536
	v_mov_b32_e32 v84, s67
	s_waitcnt lgkmcnt(0)
	v_lshrrev_b32_sdwa v18, s62, v17 dst_sel:DWORD dst_unused:UNUSED_PAD src0_sel:DWORD src1_sel:WORD_0
	v_and_b32_e32 v18, s63, v18
	v_lshlrev_b32_e32 v18, 2, v18
	ds_read_b32 v80, v18
	v_mov_b32_e32 v18, v3
	v_xor_b32_e32 v85, 0x7fff, v17
	s_waitcnt lgkmcnt(0)
	v_add_u32_e32 v17, v80, v20
	v_lshlrev_b64 v[17:18], 1, v[17:18]
	v_add_co_u32_e64 v17, s[38:39], s66, v17
	v_addc_co_u32_e64 v18, s[38:39], v84, v18, s[38:39]
	global_store_short v[17:18], v85, off
	s_or_b64 exec, exec, s[40:41]
	v_cmp_lt_u32_e64 s[38:39], v21, v78
	s_and_saveexec_b64 s[42:43], s[38:39]
	s_cbranch_execz .LBB945_87
.LBB945_107:                            ;   in Loop: Header=BB945_56 Depth=2
	ds_read_u16 v17, v36 offset:2048
	v_mov_b32_e32 v84, s67
	s_waitcnt lgkmcnt(0)
	v_lshrrev_b32_sdwa v18, s62, v17 dst_sel:DWORD dst_unused:UNUSED_PAD src0_sel:DWORD src1_sel:WORD_0
	v_and_b32_e32 v18, s63, v18
	v_lshlrev_b32_e32 v18, 2, v18
	ds_read_b32 v80, v18
	v_mov_b32_e32 v18, v3
	v_xor_b32_e32 v85, 0x7fff, v17
	s_waitcnt lgkmcnt(0)
	v_add_u32_e32 v17, v80, v21
	v_lshlrev_b64 v[17:18], 1, v[17:18]
	v_add_co_u32_e64 v17, s[40:41], s66, v17
	v_addc_co_u32_e64 v18, s[40:41], v84, v18, s[40:41]
	global_store_short v[17:18], v85, off
	s_or_b64 exec, exec, s[42:43]
	v_cmp_lt_u32_e64 s[40:41], v22, v78
	s_and_saveexec_b64 s[56:57], s[40:41]
	s_cbranch_execnz .LBB945_88
	s_branch .LBB945_89
.LBB945_108:                            ;   in Loop: Header=BB945_56 Depth=2
	global_load_dwordx2 v[13:14], v[17:18], off
	s_or_b64 exec, exec, s[42:43]
	v_cmp_lt_u32_e64 s[42:43], v64, v78
	s_and_saveexec_b64 s[56:57], s[42:43]
	s_cbranch_execz .LBB945_91
.LBB945_109:                            ;   in Loop: Header=BB945_56 Depth=2
	global_load_dwordx2 v[11:12], v[17:18], off offset:512
	s_or_b64 exec, exec, s[56:57]
	v_cmp_lt_u32_e64 s[42:43], v65, v78
	s_and_saveexec_b64 s[56:57], s[42:43]
	s_cbranch_execz .LBB945_92
.LBB945_110:                            ;   in Loop: Header=BB945_56 Depth=2
	global_load_dwordx2 v[9:10], v[17:18], off offset:1024
	s_or_b64 exec, exec, s[56:57]
	v_cmp_lt_u32_e64 s[42:43], v66, v78
	s_and_saveexec_b64 s[56:57], s[42:43]
	s_cbranch_execz .LBB945_93
.LBB945_111:                            ;   in Loop: Header=BB945_56 Depth=2
	global_load_dwordx2 v[7:8], v[17:18], off offset:1536
	s_or_b64 exec, exec, s[56:57]
	s_and_saveexec_b64 s[42:43], vcc
	s_cbranch_execz .LBB945_94
.LBB945_112:                            ;   in Loop: Header=BB945_56 Depth=2
	ds_read_u16 v17, v36 offset:1024
	s_waitcnt lgkmcnt(0)
	v_lshrrev_b32_e32 v17, s62, v17
	v_and_b32_e32 v77, s63, v17
	s_or_b64 exec, exec, s[42:43]
	s_and_saveexec_b64 s[42:43], s[36:37]
	s_cbranch_execz .LBB945_95
.LBB945_113:                            ;   in Loop: Header=BB945_56 Depth=2
	ds_read_u16 v17, v36 offset:1536
	s_waitcnt lgkmcnt(0)
	v_lshrrev_b32_e32 v17, s62, v17
	v_and_b32_e32 v76, s63, v17
	s_or_b64 exec, exec, s[42:43]
	s_and_saveexec_b64 s[42:43], s[38:39]
	s_cbranch_execz .LBB945_96
.LBB945_114:                            ;   in Loop: Header=BB945_56 Depth=2
	ds_read_u16 v17, v36 offset:2048
	s_waitcnt lgkmcnt(0)
	v_lshrrev_b32_e32 v17, s62, v17
	v_and_b32_e32 v74, s63, v17
	s_or_b64 exec, exec, s[42:43]
	s_and_saveexec_b64 s[42:43], s[40:41]
	s_cbranch_execnz .LBB945_97
	s_branch .LBB945_98
.LBB945_115:                            ;   in Loop: Header=BB945_56 Depth=2
	v_lshlrev_b32_e32 v4, 2, v77
	ds_read_b32 v4, v4
	v_add_u32_e32 v6, v36, v54
	ds_read_b64 v[15:16], v6 offset:1024
	v_mov_b32_e32 v18, v3
	v_mov_b32_e32 v6, s53
	s_waitcnt lgkmcnt(1)
	v_add_u32_e32 v17, v4, v0
	v_lshlrev_b64 v[17:18], 3, v[17:18]
	v_add_co_u32_e32 v17, vcc, s52, v17
	v_addc_co_u32_e32 v18, vcc, v6, v18, vcc
	s_waitcnt lgkmcnt(0)
	global_store_dwordx2 v[17:18], v[15:16], off
	s_or_b64 exec, exec, s[42:43]
	s_and_saveexec_b64 s[42:43], s[36:37]
	s_cbranch_execz .LBB945_100
.LBB945_116:                            ;   in Loop: Header=BB945_56 Depth=2
	v_lshlrev_b32_e32 v4, 2, v76
	ds_read_b32 v4, v4
	v_add_u32_e32 v6, v36, v54
	ds_read_b64 v[15:16], v6 offset:3072
	v_mov_b32_e32 v18, v3
	v_mov_b32_e32 v6, s53
	s_waitcnt lgkmcnt(1)
	v_add_u32_e32 v17, v4, v20
	v_lshlrev_b64 v[17:18], 3, v[17:18]
	v_add_co_u32_e32 v17, vcc, s52, v17
	v_addc_co_u32_e32 v18, vcc, v6, v18, vcc
	s_waitcnt lgkmcnt(0)
	global_store_dwordx2 v[17:18], v[15:16], off
	s_or_b64 exec, exec, s[42:43]
	s_and_saveexec_b64 s[36:37], s[38:39]
	s_cbranch_execz .LBB945_101
.LBB945_117:                            ;   in Loop: Header=BB945_56 Depth=2
	v_lshlrev_b32_e32 v4, 2, v74
	ds_read_b32 v4, v4
	v_add_u32_e32 v6, v36, v54
	ds_read_b64 v[15:16], v6 offset:5120
	v_mov_b32_e32 v18, v3
	v_mov_b32_e32 v6, s53
	s_waitcnt lgkmcnt(1)
	v_add_u32_e32 v17, v4, v21
	v_lshlrev_b64 v[17:18], 3, v[17:18]
	v_add_co_u32_e32 v17, vcc, s52, v17
	v_addc_co_u32_e32 v18, vcc, v6, v18, vcc
	s_waitcnt lgkmcnt(0)
	global_store_dwordx2 v[17:18], v[15:16], off
	s_or_b64 exec, exec, s[36:37]
	s_and_saveexec_b64 s[36:37], s[40:41]
	s_cbranch_execnz .LBB945_102
	s_branch .LBB945_103
.LBB945_118:                            ;   in Loop: Header=BB945_56 Depth=2
	global_load_ushort v4, v[17:18], off
	v_mov_b32_e32 v16, v5
	s_waitcnt vmcnt(0)
	v_perm_b32 v15, s61, v4, v67
	s_or_b64 exec, exec, s[36:37]
	v_cmp_gt_u32_e32 vcc, s70, v64
	s_and_saveexec_b64 s[36:37], vcc
	s_cbranch_execz .LBB945_61
.LBB945_119:                            ;   in Loop: Header=BB945_56 Depth=2
	global_load_ushort v4, v[17:18], off offset:128
	s_waitcnt vmcnt(0)
	v_perm_b32 v15, v4, v15, s58
	s_or_b64 exec, exec, s[36:37]
	v_cmp_gt_u32_e32 vcc, s70, v65
	s_and_saveexec_b64 s[36:37], vcc
	s_cbranch_execnz .LBB945_62
	s_branch .LBB945_63
.LBB945_120:                            ;   in Loop: Header=BB945_20 Depth=1
	s_waitcnt lgkmcnt(0)
	s_barrier
	s_mov_b64 s[16:17], 0
.LBB945_121:                            ;   in Loop: Header=BB945_20 Depth=1
	s_and_b64 vcc, exec, s[16:17]
	s_cbranch_vccz .LBB945_221
; %bb.122:                              ;   in Loop: Header=BB945_20 Depth=1
	v_mov_b32_e32 v4, v3
	v_mov_b32_e32 v7, v4
	s_mov_b32 s20, s75
	s_mov_b32 s46, s49
	v_mov_b32_e32 v6, v3
	s_barrier
	s_branch .LBB945_124
.LBB945_123:                            ;   in Loop: Header=BB945_124 Depth=2
	s_or_b64 exec, exec, s[16:17]
	s_addk_i32 s20, 0xfc00
	s_cmp_ge_u32 s21, s76
	s_mov_b32 s46, s21
	s_cbranch_scc1 .LBB945_144
.LBB945_124:                            ;   Parent Loop BB945_20 Depth=1
                                        ; =>  This Inner Loop Header: Depth=2
	s_add_i32 s21, s46, 0x400
	s_cmp_gt_u32 s21, s76
	s_mov_b64 s[16:17], -1
                                        ; implicit-def: $vgpr8_vgpr9
	s_cbranch_scc1 .LBB945_126
; %bb.125:                              ;   in Loop: Header=BB945_124 Depth=2
	s_lshl_b64 s[16:17], s[46:47], 1
	v_mov_b32_e32 v4, s17
	v_add_co_u32_e32 v8, vcc, s16, v37
	v_addc_co_u32_e32 v9, vcc, v38, v4, vcc
	global_load_ushort v4, v[8:9], off
	global_load_ushort v10, v[8:9], off offset:1024
	global_load_ushort v11, v[8:9], off offset:1536
	;; [unrolled: 1-line block ×3, first 2 shown]
	s_mov_b64 s[16:17], 0
	s_waitcnt vmcnt(1)
	v_perm_b32 v9, v11, v10, s58
	s_waitcnt vmcnt(0)
	v_perm_b32 v8, v12, v4, s58
.LBB945_126:                            ;   in Loop: Header=BB945_124 Depth=2
	s_andn2_b64 vcc, exec, s[16:17]
	s_movk_i32 s18, 0x400
	s_cbranch_vccnz .LBB945_133
; %bb.127:                              ;   in Loop: Header=BB945_124 Depth=2
	s_lshl_b64 s[16:17], s[46:47], 1
	s_add_u32 s16, s66, s16
	s_addc_u32 s17, s67, s17
	v_cmp_gt_u32_e32 vcc, s20, v0
	s_and_saveexec_b64 s[18:19], vcc
	s_cbranch_execnz .LBB945_141
; %bb.128:                              ;   in Loop: Header=BB945_124 Depth=2
	s_or_b64 exec, exec, s[18:19]
	v_cmp_gt_u32_e32 vcc, s20, v20
	s_and_saveexec_b64 s[18:19], vcc
	s_cbranch_execnz .LBB945_142
.LBB945_129:                            ;   in Loop: Header=BB945_124 Depth=2
	s_or_b64 exec, exec, s[18:19]
	v_cmp_gt_u32_e32 vcc, s20, v21
	s_and_saveexec_b64 s[18:19], vcc
	s_cbranch_execnz .LBB945_143
.LBB945_130:                            ;   in Loop: Header=BB945_124 Depth=2
	s_or_b64 exec, exec, s[18:19]
	v_cmp_gt_u32_e32 vcc, s20, v22
	s_and_saveexec_b64 s[18:19], vcc
	s_cbranch_execz .LBB945_132
.LBB945_131:                            ;   in Loop: Header=BB945_124 Depth=2
	global_load_ushort v4, v58, s[16:17] offset:1536
	s_waitcnt vmcnt(0)
	v_perm_b32 v7, v4, v7, s58
.LBB945_132:                            ;   in Loop: Header=BB945_124 Depth=2
	s_or_b64 exec, exec, s[18:19]
	v_mov_b32_e32 v9, v7
	s_mov_b32 s18, s20
	v_mov_b32_e32 v8, v6
.LBB945_133:                            ;   in Loop: Header=BB945_124 Depth=2
	v_mov_b32_e32 v6, v8
	v_mov_b32_e32 v7, v9
	v_cmp_gt_u32_e32 vcc, s18, v0
	s_and_saveexec_b64 s[16:17], vcc
	s_cbranch_execnz .LBB945_137
; %bb.134:                              ;   in Loop: Header=BB945_124 Depth=2
	s_or_b64 exec, exec, s[16:17]
	v_cmp_gt_u32_e32 vcc, s18, v20
	s_and_saveexec_b64 s[16:17], vcc
	s_cbranch_execnz .LBB945_138
.LBB945_135:                            ;   in Loop: Header=BB945_124 Depth=2
	s_or_b64 exec, exec, s[16:17]
	v_cmp_gt_u32_e32 vcc, s18, v21
	s_and_saveexec_b64 s[16:17], vcc
	s_cbranch_execnz .LBB945_139
.LBB945_136:                            ;   in Loop: Header=BB945_124 Depth=2
	s_or_b64 exec, exec, s[16:17]
	v_cmp_gt_u32_e32 vcc, s18, v22
	s_and_saveexec_b64 s[16:17], vcc
	s_cbranch_execz .LBB945_123
	s_branch .LBB945_140
.LBB945_137:                            ;   in Loop: Header=BB945_124 Depth=2
	v_xor_b32_e32 v4, 0x7fff, v6
	v_lshrrev_b32_sdwa v4, s62, v4 dst_sel:DWORD dst_unused:UNUSED_PAD src0_sel:DWORD src1_sel:WORD_0
	v_and_b32_e32 v4, s63, v4
	v_lshl_or_b32 v4, v4, 4, v25
	ds_add_u32 v4, v55
	s_or_b64 exec, exec, s[16:17]
	v_cmp_gt_u32_e32 vcc, s18, v20
	s_and_saveexec_b64 s[16:17], vcc
	s_cbranch_execz .LBB945_135
.LBB945_138:                            ;   in Loop: Header=BB945_124 Depth=2
	v_xor_b32_sdwa v4, v6, s60 dst_sel:DWORD dst_unused:UNUSED_PAD src0_sel:WORD_1 src1_sel:DWORD
	v_lshrrev_b32_sdwa v4, s62, v4 dst_sel:DWORD dst_unused:UNUSED_PAD src0_sel:DWORD src1_sel:WORD_0
	v_and_b32_e32 v4, s63, v4
	v_lshl_or_b32 v4, v4, 4, v25
	ds_add_u32 v4, v55
	s_or_b64 exec, exec, s[16:17]
	v_cmp_gt_u32_e32 vcc, s18, v21
	s_and_saveexec_b64 s[16:17], vcc
	s_cbranch_execz .LBB945_136
.LBB945_139:                            ;   in Loop: Header=BB945_124 Depth=2
	v_xor_b32_e32 v4, 0x7fff, v7
	v_lshrrev_b32_sdwa v4, s62, v4 dst_sel:DWORD dst_unused:UNUSED_PAD src0_sel:DWORD src1_sel:WORD_0
	v_and_b32_e32 v4, s63, v4
	v_lshl_or_b32 v4, v4, 4, v25
	ds_add_u32 v4, v55
	s_or_b64 exec, exec, s[16:17]
	v_cmp_gt_u32_e32 vcc, s18, v22
	s_and_saveexec_b64 s[16:17], vcc
	s_cbranch_execz .LBB945_123
.LBB945_140:                            ;   in Loop: Header=BB945_124 Depth=2
	v_xor_b32_sdwa v4, v7, s60 dst_sel:DWORD dst_unused:UNUSED_PAD src0_sel:WORD_1 src1_sel:DWORD
	v_lshrrev_b32_sdwa v4, s62, v4 dst_sel:DWORD dst_unused:UNUSED_PAD src0_sel:DWORD src1_sel:WORD_0
	v_and_b32_e32 v4, s63, v4
	v_lshl_or_b32 v4, v4, 4, v25
	ds_add_u32 v4, v55
	s_branch .LBB945_123
.LBB945_141:                            ;   in Loop: Header=BB945_124 Depth=2
	global_load_ushort v4, v58, s[16:17]
	s_waitcnt vmcnt(0)
	v_bfi_b32 v6, s59, v4, v6
	s_or_b64 exec, exec, s[18:19]
	v_cmp_gt_u32_e32 vcc, s20, v20
	s_and_saveexec_b64 s[18:19], vcc
	s_cbranch_execz .LBB945_129
.LBB945_142:                            ;   in Loop: Header=BB945_124 Depth=2
	global_load_ushort v4, v58, s[16:17] offset:512
	s_waitcnt vmcnt(0)
	v_perm_b32 v6, v4, v6, s58
	s_or_b64 exec, exec, s[18:19]
	v_cmp_gt_u32_e32 vcc, s20, v21
	s_and_saveexec_b64 s[18:19], vcc
	s_cbranch_execz .LBB945_130
.LBB945_143:                            ;   in Loop: Header=BB945_124 Depth=2
	global_load_ushort v4, v58, s[16:17] offset:1024
	s_waitcnt vmcnt(0)
	v_bfi_b32 v7, s59, v4, v7
	s_or_b64 exec, exec, s[18:19]
	v_cmp_gt_u32_e32 vcc, s20, v22
	s_and_saveexec_b64 s[18:19], vcc
	s_cbranch_execnz .LBB945_131
	s_branch .LBB945_132
.LBB945_144:                            ;   in Loop: Header=BB945_20 Depth=1
	v_mov_b32_e32 v4, 0
	s_waitcnt lgkmcnt(0)
	s_barrier
	s_and_saveexec_b64 s[16:17], s[4:5]
	s_cbranch_execz .LBB945_146
; %bb.145:                              ;   in Loop: Header=BB945_20 Depth=1
	ds_read2_b64 v[6:9], v26 offset1:1
	s_waitcnt lgkmcnt(0)
	v_add_u32_e32 v4, v7, v6
	v_add3_u32 v4, v4, v8, v9
.LBB945_146:                            ;   in Loop: Header=BB945_20 Depth=1
	s_or_b64 exec, exec, s[16:17]
	s_nop 0
	v_mov_b32_dpp v6, v4 row_shr:1 row_mask:0xf bank_mask:0xf
	v_cmp_eq_u32_e64 s[16:17], 0, v59
	v_cndmask_b32_e64 v6, v6, 0, s[16:17]
	v_add_u32_e32 v4, v6, v4
	v_cmp_lt_u32_e64 s[18:19], 1, v59
	v_cmp_lt_u32_e64 s[20:21], 3, v59
	v_mov_b32_dpp v6, v4 row_shr:2 row_mask:0xf bank_mask:0xf
	v_cndmask_b32_e64 v6, 0, v6, s[18:19]
	v_add_u32_e32 v4, v4, v6
	v_cmp_lt_u32_e64 s[22:23], 7, v59
	v_cmp_lt_u32_e64 s[26:27], 31, v49
	v_mov_b32_dpp v6, v4 row_shr:4 row_mask:0xf bank_mask:0xf
	v_cndmask_b32_e64 v6, 0, v6, s[20:21]
	v_add_u32_e32 v4, v4, v6
	v_cmp_eq_u32_e64 s[24:25], 0, v61
	s_nop 0
	v_mov_b32_dpp v6, v4 row_shr:8 row_mask:0xf bank_mask:0xf
	v_cndmask_b32_e64 v6, 0, v6, s[22:23]
	v_add_u32_e32 v4, v4, v6
	s_nop 1
	v_mov_b32_dpp v6, v4 row_bcast:15 row_mask:0xf bank_mask:0xf
	v_and_b32_e32 v6, v60, v6
	v_add_u32_e32 v4, v4, v6
	s_nop 1
	v_mov_b32_dpp v6, v4 row_bcast:31 row_mask:0xf bank_mask:0xf
	v_cndmask_b32_e64 v6, 0, v6, s[26:27]
	v_add_u32_e32 v4, v4, v6
	s_and_saveexec_b64 s[28:29], s[6:7]
; %bb.147:                              ;   in Loop: Header=BB945_20 Depth=1
	ds_write_b32 v28, v4
; %bb.148:                              ;   in Loop: Header=BB945_20 Depth=1
	s_or_b64 exec, exec, s[28:29]
	s_waitcnt lgkmcnt(0)
	s_barrier
	s_and_saveexec_b64 s[28:29], s[8:9]
	s_cbranch_execz .LBB945_150
; %bb.149:                              ;   in Loop: Header=BB945_20 Depth=1
	ds_read_b32 v6, v29
	v_cmp_ne_u32_e32 vcc, 0, v62
	s_waitcnt lgkmcnt(0)
	v_mov_b32_dpp v7, v6 row_shr:1 row_mask:0xf bank_mask:0xf
	v_cndmask_b32_e32 v7, 0, v7, vcc
	v_add_u32_e32 v6, v7, v6
	v_cmp_lt_u32_e32 vcc, 1, v62
	s_nop 0
	v_mov_b32_dpp v7, v6 row_shr:2 row_mask:0xf bank_mask:0xf
	v_cndmask_b32_e32 v7, 0, v7, vcc
	v_add_u32_e32 v6, v6, v7
	ds_write_b32 v29, v6
.LBB945_150:                            ;   in Loop: Header=BB945_20 Depth=1
	s_or_b64 exec, exec, s[28:29]
	v_mov_b32_e32 v6, 0
	s_waitcnt lgkmcnt(0)
	s_barrier
	s_and_saveexec_b64 s[28:29], s[10:11]
; %bb.151:                              ;   in Loop: Header=BB945_20 Depth=1
	ds_read_b32 v6, v53
; %bb.152:                              ;   in Loop: Header=BB945_20 Depth=1
	s_or_b64 exec, exec, s[28:29]
	v_subrev_co_u32_e64 v7, s[28:29], 1, v49
	v_cmp_lt_i32_e32 vcc, v7, v63
	v_cndmask_b32_e32 v7, v7, v49, vcc
	s_waitcnt lgkmcnt(0)
	v_add_u32_e32 v4, v6, v4
	v_lshlrev_b32_e32 v68, 2, v7
	ds_bpermute_b32 v4, v68, v4
	s_waitcnt lgkmcnt(0)
	s_barrier
	s_and_saveexec_b64 s[30:31], s[4:5]
; %bb.153:                              ;   in Loop: Header=BB945_20 Depth=1
	v_cndmask_b32_e64 v4, v4, v6, s[28:29]
	v_add_u32_e32 v4, s49, v4
	ds_write_b32 v19, v4
; %bb.154:                              ;   in Loop: Header=BB945_20 Depth=1
	s_or_b64 exec, exec, s[30:31]
	s_load_dwordx2 s[30:31], s[44:45], 0x0
	v_add_co_u32_e32 v69, vcc, v39, v50
	v_addc_co_u32_e32 v70, vcc, 0, v40, vcc
	s_waitcnt lgkmcnt(0)
	s_cmp_lt_u32 s33, s31
	s_cselect_b32 s31, 14, 20
	s_add_u32 s34, s44, s31
	s_addc_u32 s35, s45, 0
	s_cmp_lt_u32 s48, s30
	s_cselect_b32 s30, 12, 18
	s_add_u32 s30, s44, s30
	global_load_ushort v4, v3, s[34:35]
	s_addc_u32 s31, s45, 0
	global_load_ushort v6, v3, s[30:31]
	v_add_co_u32_e32 v71, vcc, v41, v52
	v_cmp_eq_u32_e64 s[30:31], 0, v62
	v_cmp_lt_u32_e64 s[34:35], 1, v62
	v_addc_co_u32_e32 v72, vcc, 0, v42, vcc
	s_mov_b32 s70, s75
	s_mov_b32 s46, s49
                                        ; implicit-def: $vgpr9_vgpr10
                                        ; implicit-def: $vgpr11_vgpr12
                                        ; implicit-def: $vgpr13_vgpr14
                                        ; implicit-def: $vgpr73
                                        ; implicit-def: $vgpr74
                                        ; implicit-def: $vgpr76
                                        ; implicit-def: $vgpr77
	s_waitcnt vmcnt(1)
	v_mad_u32_u24 v4, v2, v4, v1
	s_waitcnt vmcnt(0)
	v_mad_u64_u32 v[6:7], s[36:37], v4, v6, v[0:1]
                                        ; implicit-def: $vgpr7_vgpr8
	v_lshrrev_b32_e32 v4, 4, v6
	v_and_b32_e32 v75, 0xffffffc, v4
	s_branch .LBB945_156
.LBB945_155:                            ;   in Loop: Header=BB945_156 Depth=2
	s_or_b64 exec, exec, s[36:37]
	s_addk_i32 s70, 0xfc00
	s_cmp_lt_u32 s71, s76
	s_mov_b32 s46, s71
	s_cbranch_scc0 .LBB945_220
.LBB945_156:                            ;   Parent Loop BB945_20 Depth=1
                                        ; =>  This Inner Loop Header: Depth=2
	s_add_i32 s71, s46, 0x400
	s_cmp_gt_u32 s71, s76
	s_cbranch_scc1 .LBB945_158
; %bb.157:                              ;   in Loop: Header=BB945_156 Depth=2
	s_lshl_b64 s[36:37], s[46:47], 1
	v_mov_b32_e32 v4, s37
	v_add_co_u32_e32 v15, vcc, s36, v71
	v_addc_co_u32_e32 v16, vcc, v72, v4, vcc
	global_load_ushort v4, v[15:16], off
	global_load_ushort v6, v[15:16], off offset:128
	s_nop 0
	global_load_ushort v16, v[15:16], off offset:256
	s_mov_b64 s[36:37], -1
	s_waitcnt vmcnt(1)
	v_perm_b32 v15, v6, v4, s58
	s_movk_i32 s40, 0x400
	s_cbranch_execz .LBB945_159
	s_branch .LBB945_164
.LBB945_158:                            ;   in Loop: Header=BB945_156 Depth=2
	s_mov_b64 s[36:37], 0
                                        ; implicit-def: $vgpr15_vgpr16
	s_movk_i32 s40, 0x400
.LBB945_159:                            ;   in Loop: Header=BB945_156 Depth=2
	s_lshl_b64 s[36:37], s[46:47], 1
	v_mov_b32_e32 v4, s37
	v_add_co_u32_e32 v17, vcc, s36, v71
	v_mov_b32_e32 v6, v5
	v_addc_co_u32_e32 v18, vcc, v72, v4, vcc
	s_waitcnt vmcnt(0)
	v_mov_b32_e32 v16, v6
	v_cmp_gt_u32_e32 vcc, s70, v51
	v_mov_b32_e32 v15, v5
	s_and_saveexec_b64 s[36:37], vcc
	s_cbranch_execnz .LBB945_218
; %bb.160:                              ;   in Loop: Header=BB945_156 Depth=2
	s_or_b64 exec, exec, s[36:37]
	v_cmp_gt_u32_e32 vcc, s70, v64
	s_and_saveexec_b64 s[36:37], vcc
	s_cbranch_execnz .LBB945_219
.LBB945_161:                            ;   in Loop: Header=BB945_156 Depth=2
	s_or_b64 exec, exec, s[36:37]
	v_cmp_gt_u32_e32 vcc, s70, v65
	s_and_saveexec_b64 s[36:37], vcc
	s_cbranch_execz .LBB945_163
.LBB945_162:                            ;   in Loop: Header=BB945_156 Depth=2
	global_load_ushort v4, v[17:18], off offset:256
	s_waitcnt vmcnt(0)
	v_bfi_b32 v16, s59, v4, v16
.LBB945_163:                            ;   in Loop: Header=BB945_156 Depth=2
	s_or_b64 exec, exec, s[36:37]
	s_sub_i32 s40, s76, s46
	v_cmp_gt_u32_e64 s[36:37], s70, v66
.LBB945_164:                            ;   in Loop: Header=BB945_156 Depth=2
	v_mov_b32_e32 v78, s70
	s_and_saveexec_b64 s[38:39], s[36:37]
	s_cbranch_execz .LBB945_166
; %bb.165:                              ;   in Loop: Header=BB945_156 Depth=2
	s_lshl_b64 s[36:37], s[46:47], 1
	v_mov_b32_e32 v4, s37
	v_add_co_u32_e32 v17, vcc, s36, v71
	v_addc_co_u32_e32 v18, vcc, v72, v4, vcc
	global_load_ushort v4, v[17:18], off offset:384
	v_mov_b32_e32 v78, s40
	s_waitcnt vmcnt(0)
	v_perm_b32 v16, v4, v16, s58
.LBB945_166:                            ;   in Loop: Header=BB945_156 Depth=2
	s_or_b64 exec, exec, s[38:39]
	v_xor_b32_e32 v6, 0x7fff, v15
	v_lshrrev_b32_sdwa v4, s62, v6 dst_sel:DWORD dst_unused:UNUSED_PAD src0_sel:DWORD src1_sel:WORD_0
	v_and_b32_e32 v17, s63, v4
	v_and_b32_e32 v4, 1, v17
	v_add_co_u32_e32 v18, vcc, -1, v4
	v_addc_co_u32_e64 v79, s[36:37], 0, -1, vcc
	v_cmp_ne_u32_e32 vcc, 0, v4
	v_xor_b32_e32 v4, vcc_hi, v79
	v_and_b32_e32 v79, exec_hi, v4
	v_lshlrev_b32_e32 v4, 30, v17
	v_xor_b32_e32 v18, vcc_lo, v18
	v_cmp_gt_i64_e32 vcc, 0, v[3:4]
	v_not_b32_e32 v4, v4
	v_ashrrev_i32_e32 v4, 31, v4
	v_and_b32_e32 v18, exec_lo, v18
	v_xor_b32_e32 v81, vcc_hi, v4
	v_xor_b32_e32 v4, vcc_lo, v4
	v_and_b32_e32 v18, v18, v4
	v_lshlrev_b32_e32 v4, 29, v17
	v_cmp_gt_i64_e32 vcc, 0, v[3:4]
	v_not_b32_e32 v4, v4
	v_ashrrev_i32_e32 v4, 31, v4
	v_and_b32_e32 v79, v79, v81
	v_xor_b32_e32 v81, vcc_hi, v4
	v_xor_b32_e32 v4, vcc_lo, v4
	v_and_b32_e32 v18, v18, v4
	v_lshlrev_b32_e32 v4, 28, v17
	v_cmp_gt_i64_e32 vcc, 0, v[3:4]
	v_not_b32_e32 v4, v4
	v_ashrrev_i32_e32 v4, 31, v4
	v_and_b32_e32 v79, v79, v81
	;; [unrolled: 8-line block ×5, first 2 shown]
	v_xor_b32_e32 v81, vcc_hi, v4
	v_xor_b32_e32 v4, vcc_lo, v4
	v_and_b32_e32 v79, v79, v81
	v_and_b32_e32 v81, v18, v4
	v_lshlrev_b32_e32 v4, 24, v17
	v_cmp_gt_i64_e32 vcc, 0, v[3:4]
	v_not_b32_e32 v4, v4
	v_ashrrev_i32_e32 v4, 31, v4
	v_mul_u32_u24_e32 v80, 20, v17
	v_xor_b32_e32 v17, vcc_hi, v4
	v_xor_b32_e32 v4, vcc_lo, v4
	v_and_b32_e32 v18, v79, v17
	v_and_b32_e32 v17, v81, v4
	v_mbcnt_lo_u32_b32 v4, v17, 0
	v_mbcnt_hi_u32_b32 v79, v18, v4
	v_cmp_ne_u64_e32 vcc, 0, v[17:18]
	v_cmp_eq_u32_e64 s[36:37], 0, v79
	s_and_b64 s[38:39], vcc, s[36:37]
	v_add_u32_e32 v82, v75, v80
	ds_write2_b32 v56, v3, v3 offset1:1
	ds_write2_b32 v57, v3, v3 offset1:1
	ds_write_b32 v30, v3 offset:1056
	s_waitcnt vmcnt(0) lgkmcnt(0)
	s_barrier
	; wave barrier
	s_and_saveexec_b64 s[36:37], s[38:39]
; %bb.167:                              ;   in Loop: Header=BB945_156 Depth=2
	v_bcnt_u32_b32 v4, v17, 0
	v_bcnt_u32_b32 v4, v18, v4
	ds_write_b32 v82, v4 offset:1040
; %bb.168:                              ;   in Loop: Header=BB945_156 Depth=2
	s_or_b64 exec, exec, s[36:37]
	v_xor_b32_sdwa v80, v15, s60 dst_sel:DWORD dst_unused:UNUSED_PAD src0_sel:WORD_1 src1_sel:DWORD
	v_lshrrev_b32_sdwa v4, s62, v80 dst_sel:DWORD dst_unused:UNUSED_PAD src0_sel:DWORD src1_sel:WORD_0
	v_and_b32_e32 v15, s63, v4
	v_mad_u32_u24 v4, v15, 20, v75
	; wave barrier
	ds_read_b32 v81, v4 offset:1040
	v_and_b32_e32 v4, 1, v15
	v_add_co_u32_e32 v17, vcc, -1, v4
	v_addc_co_u32_e64 v18, s[36:37], 0, -1, vcc
	v_cmp_ne_u32_e32 vcc, 0, v4
	v_xor_b32_e32 v4, vcc_hi, v18
	v_and_b32_e32 v18, exec_hi, v4
	v_lshlrev_b32_e32 v4, 30, v15
	v_xor_b32_e32 v17, vcc_lo, v17
	v_cmp_gt_i64_e32 vcc, 0, v[3:4]
	v_not_b32_e32 v4, v4
	v_ashrrev_i32_e32 v4, 31, v4
	v_and_b32_e32 v17, exec_lo, v17
	v_xor_b32_e32 v83, vcc_hi, v4
	v_xor_b32_e32 v4, vcc_lo, v4
	v_and_b32_e32 v17, v17, v4
	v_lshlrev_b32_e32 v4, 29, v15
	v_cmp_gt_i64_e32 vcc, 0, v[3:4]
	v_not_b32_e32 v4, v4
	v_ashrrev_i32_e32 v4, 31, v4
	v_and_b32_e32 v18, v18, v83
	v_xor_b32_e32 v83, vcc_hi, v4
	v_xor_b32_e32 v4, vcc_lo, v4
	v_and_b32_e32 v17, v17, v4
	v_lshlrev_b32_e32 v4, 28, v15
	v_cmp_gt_i64_e32 vcc, 0, v[3:4]
	v_not_b32_e32 v4, v4
	v_ashrrev_i32_e32 v4, 31, v4
	v_and_b32_e32 v18, v18, v83
	;; [unrolled: 8-line block ×5, first 2 shown]
	v_xor_b32_e32 v83, vcc_hi, v4
	v_xor_b32_e32 v4, vcc_lo, v4
	v_and_b32_e32 v17, v17, v4
	v_lshlrev_b32_e32 v4, 24, v15
	v_cmp_gt_i64_e32 vcc, 0, v[3:4]
	v_not_b32_e32 v4, v4
	v_ashrrev_i32_e32 v4, 31, v4
	v_mul_u32_u24_e32 v84, 20, v15
	v_xor_b32_e32 v15, vcc_hi, v4
	v_xor_b32_e32 v4, vcc_lo, v4
	v_and_b32_e32 v18, v18, v83
	v_and_b32_e32 v17, v17, v4
	;; [unrolled: 1-line block ×3, first 2 shown]
	v_mbcnt_lo_u32_b32 v4, v17, 0
	v_mbcnt_hi_u32_b32 v83, v18, v4
	v_cmp_ne_u64_e32 vcc, 0, v[17:18]
	v_cmp_eq_u32_e64 s[36:37], 0, v83
	s_and_b64 s[38:39], vcc, s[36:37]
	v_add_u32_e32 v86, v75, v84
	; wave barrier
	s_and_saveexec_b64 s[36:37], s[38:39]
	s_cbranch_execz .LBB945_170
; %bb.169:                              ;   in Loop: Header=BB945_156 Depth=2
	v_bcnt_u32_b32 v4, v17, 0
	v_bcnt_u32_b32 v4, v18, v4
	s_waitcnt lgkmcnt(0)
	v_add_u32_e32 v4, v81, v4
	ds_write_b32 v86, v4 offset:1040
.LBB945_170:                            ;   in Loop: Header=BB945_156 Depth=2
	s_or_b64 exec, exec, s[36:37]
	v_xor_b32_e32 v84, 0x7fff, v16
	v_lshrrev_b32_sdwa v4, s62, v84 dst_sel:DWORD dst_unused:UNUSED_PAD src0_sel:DWORD src1_sel:WORD_0
	v_and_b32_e32 v15, s63, v4
	v_mad_u32_u24 v4, v15, 20, v75
	; wave barrier
	ds_read_b32 v85, v4 offset:1040
	v_and_b32_e32 v4, 1, v15
	v_add_co_u32_e32 v17, vcc, -1, v4
	v_addc_co_u32_e64 v18, s[36:37], 0, -1, vcc
	v_cmp_ne_u32_e32 vcc, 0, v4
	v_xor_b32_e32 v4, vcc_hi, v18
	v_and_b32_e32 v18, exec_hi, v4
	v_lshlrev_b32_e32 v4, 30, v15
	v_xor_b32_e32 v17, vcc_lo, v17
	v_cmp_gt_i64_e32 vcc, 0, v[3:4]
	v_not_b32_e32 v4, v4
	v_ashrrev_i32_e32 v4, 31, v4
	v_and_b32_e32 v17, exec_lo, v17
	v_xor_b32_e32 v87, vcc_hi, v4
	v_xor_b32_e32 v4, vcc_lo, v4
	v_and_b32_e32 v17, v17, v4
	v_lshlrev_b32_e32 v4, 29, v15
	v_cmp_gt_i64_e32 vcc, 0, v[3:4]
	v_not_b32_e32 v4, v4
	v_ashrrev_i32_e32 v4, 31, v4
	v_and_b32_e32 v18, v18, v87
	v_xor_b32_e32 v87, vcc_hi, v4
	v_xor_b32_e32 v4, vcc_lo, v4
	v_and_b32_e32 v17, v17, v4
	v_lshlrev_b32_e32 v4, 28, v15
	v_cmp_gt_i64_e32 vcc, 0, v[3:4]
	v_not_b32_e32 v4, v4
	v_ashrrev_i32_e32 v4, 31, v4
	v_and_b32_e32 v18, v18, v87
	;; [unrolled: 8-line block ×5, first 2 shown]
	v_xor_b32_e32 v87, vcc_hi, v4
	v_xor_b32_e32 v4, vcc_lo, v4
	v_and_b32_e32 v17, v17, v4
	v_lshlrev_b32_e32 v4, 24, v15
	v_cmp_gt_i64_e32 vcc, 0, v[3:4]
	v_not_b32_e32 v4, v4
	v_ashrrev_i32_e32 v4, 31, v4
	v_mul_u32_u24_e32 v88, 20, v15
	v_xor_b32_e32 v15, vcc_hi, v4
	v_xor_b32_e32 v4, vcc_lo, v4
	v_and_b32_e32 v18, v18, v87
	v_and_b32_e32 v17, v17, v4
	;; [unrolled: 1-line block ×3, first 2 shown]
	v_mbcnt_lo_u32_b32 v4, v17, 0
	v_mbcnt_hi_u32_b32 v87, v18, v4
	v_cmp_ne_u64_e32 vcc, 0, v[17:18]
	v_cmp_eq_u32_e64 s[36:37], 0, v87
	s_and_b64 s[38:39], vcc, s[36:37]
	v_add_u32_e32 v90, v75, v88
	; wave barrier
	s_and_saveexec_b64 s[36:37], s[38:39]
	s_cbranch_execz .LBB945_172
; %bb.171:                              ;   in Loop: Header=BB945_156 Depth=2
	v_bcnt_u32_b32 v4, v17, 0
	v_bcnt_u32_b32 v4, v18, v4
	s_waitcnt lgkmcnt(0)
	v_add_u32_e32 v4, v85, v4
	ds_write_b32 v90, v4 offset:1040
.LBB945_172:                            ;   in Loop: Header=BB945_156 Depth=2
	s_or_b64 exec, exec, s[36:37]
	v_xor_b32_sdwa v88, v16, s60 dst_sel:DWORD dst_unused:UNUSED_PAD src0_sel:WORD_1 src1_sel:DWORD
	v_lshrrev_b32_sdwa v4, s62, v88 dst_sel:DWORD dst_unused:UNUSED_PAD src0_sel:DWORD src1_sel:WORD_0
	v_and_b32_e32 v15, s63, v4
	v_mad_u32_u24 v4, v15, 20, v75
	; wave barrier
	ds_read_b32 v89, v4 offset:1040
	v_and_b32_e32 v4, 1, v15
	v_add_co_u32_e32 v16, vcc, -1, v4
	v_addc_co_u32_e64 v18, s[36:37], 0, -1, vcc
	v_cmp_ne_u32_e32 vcc, 0, v4
	v_xor_b32_e32 v4, vcc_hi, v18
	v_and_b32_e32 v18, exec_hi, v4
	v_lshlrev_b32_e32 v4, 30, v15
	v_xor_b32_e32 v16, vcc_lo, v16
	v_cmp_gt_i64_e32 vcc, 0, v[3:4]
	v_not_b32_e32 v4, v4
	v_ashrrev_i32_e32 v4, 31, v4
	v_and_b32_e32 v16, exec_lo, v16
	v_xor_b32_e32 v91, vcc_hi, v4
	v_xor_b32_e32 v4, vcc_lo, v4
	v_and_b32_e32 v16, v16, v4
	v_lshlrev_b32_e32 v4, 29, v15
	v_cmp_gt_i64_e32 vcc, 0, v[3:4]
	v_not_b32_e32 v4, v4
	v_ashrrev_i32_e32 v4, 31, v4
	v_and_b32_e32 v18, v18, v91
	v_xor_b32_e32 v91, vcc_hi, v4
	v_xor_b32_e32 v4, vcc_lo, v4
	v_and_b32_e32 v16, v16, v4
	v_lshlrev_b32_e32 v4, 28, v15
	v_cmp_gt_i64_e32 vcc, 0, v[3:4]
	v_not_b32_e32 v4, v4
	v_ashrrev_i32_e32 v4, 31, v4
	v_and_b32_e32 v18, v18, v91
	;; [unrolled: 8-line block ×5, first 2 shown]
	v_xor_b32_e32 v91, vcc_hi, v4
	v_xor_b32_e32 v4, vcc_lo, v4
	v_and_b32_e32 v18, v18, v91
	v_and_b32_e32 v91, v16, v4
	v_lshlrev_b32_e32 v4, 24, v15
	v_cmp_gt_i64_e32 vcc, 0, v[3:4]
	v_not_b32_e32 v4, v4
	v_ashrrev_i32_e32 v4, 31, v4
	v_mul_u32_u24_e32 v17, 20, v15
	v_xor_b32_e32 v15, vcc_hi, v4
	v_xor_b32_e32 v4, vcc_lo, v4
	v_and_b32_e32 v16, v18, v15
	v_and_b32_e32 v15, v91, v4
	v_mbcnt_lo_u32_b32 v4, v15, 0
	v_mbcnt_hi_u32_b32 v4, v16, v4
	v_cmp_ne_u64_e32 vcc, 0, v[15:16]
	v_cmp_eq_u32_e64 s[36:37], 0, v4
	s_and_b64 s[38:39], vcc, s[36:37]
	v_add_u32_e32 v91, v75, v17
	; wave barrier
	s_and_saveexec_b64 s[36:37], s[38:39]
	s_cbranch_execz .LBB945_174
; %bb.173:                              ;   in Loop: Header=BB945_156 Depth=2
	v_bcnt_u32_b32 v15, v15, 0
	v_bcnt_u32_b32 v15, v16, v15
	s_waitcnt lgkmcnt(0)
	v_add_u32_e32 v15, v89, v15
	ds_write_b32 v91, v15 offset:1040
.LBB945_174:                            ;   in Loop: Header=BB945_156 Depth=2
	s_or_b64 exec, exec, s[36:37]
	; wave barrier
	s_waitcnt lgkmcnt(0)
	s_barrier
	ds_read2_b32 v[17:18], v56 offset1:1
	ds_read2_b32 v[15:16], v57 offset1:1
	ds_read_b32 v92, v30 offset:1056
	s_waitcnt lgkmcnt(1)
	v_add3_u32 v93, v18, v17, v15
	s_waitcnt lgkmcnt(0)
	v_add3_u32 v92, v93, v16, v92
	s_nop 1
	v_mov_b32_dpp v93, v92 row_shr:1 row_mask:0xf bank_mask:0xf
	v_cndmask_b32_e64 v93, v93, 0, s[16:17]
	v_add_u32_e32 v92, v93, v92
	s_nop 1
	v_mov_b32_dpp v93, v92 row_shr:2 row_mask:0xf bank_mask:0xf
	v_cndmask_b32_e64 v93, 0, v93, s[18:19]
	v_add_u32_e32 v92, v92, v93
	;; [unrolled: 4-line block ×4, first 2 shown]
	s_nop 1
	v_mov_b32_dpp v93, v92 row_bcast:15 row_mask:0xf bank_mask:0xf
	v_cndmask_b32_e64 v93, v93, 0, s[24:25]
	v_add_u32_e32 v92, v92, v93
	s_nop 1
	v_mov_b32_dpp v93, v92 row_bcast:31 row_mask:0xf bank_mask:0xf
	v_cndmask_b32_e64 v93, 0, v93, s[26:27]
	v_add_u32_e32 v92, v92, v93
	s_and_saveexec_b64 s[36:37], s[6:7]
; %bb.175:                              ;   in Loop: Header=BB945_156 Depth=2
	ds_write_b32 v27, v92 offset:1024
; %bb.176:                              ;   in Loop: Header=BB945_156 Depth=2
	s_or_b64 exec, exec, s[36:37]
	s_waitcnt lgkmcnt(0)
	s_barrier
	s_and_saveexec_b64 s[36:37], s[8:9]
	s_cbranch_execz .LBB945_178
; %bb.177:                              ;   in Loop: Header=BB945_156 Depth=2
	ds_read_b32 v93, v31 offset:1024
	s_waitcnt lgkmcnt(0)
	s_nop 0
	v_mov_b32_dpp v94, v93 row_shr:1 row_mask:0xf bank_mask:0xf
	v_cndmask_b32_e64 v94, v94, 0, s[30:31]
	v_add_u32_e32 v93, v94, v93
	s_nop 1
	v_mov_b32_dpp v94, v93 row_shr:2 row_mask:0xf bank_mask:0xf
	v_cndmask_b32_e64 v94, 0, v94, s[34:35]
	v_add_u32_e32 v93, v93, v94
	ds_write_b32 v31, v93 offset:1024
.LBB945_178:                            ;   in Loop: Header=BB945_156 Depth=2
	s_or_b64 exec, exec, s[36:37]
	v_mov_b32_e32 v93, 0
	s_waitcnt lgkmcnt(0)
	s_barrier
	s_and_saveexec_b64 s[36:37], s[10:11]
; %bb.179:                              ;   in Loop: Header=BB945_156 Depth=2
	ds_read_b32 v93, v27 offset:1020
; %bb.180:                              ;   in Loop: Header=BB945_156 Depth=2
	s_or_b64 exec, exec, s[36:37]
	s_waitcnt lgkmcnt(0)
	v_add_u32_e32 v92, v93, v92
	ds_bpermute_b32 v92, v68, v92
	s_waitcnt lgkmcnt(0)
	v_cndmask_b32_e64 v92, v92, v93, s[28:29]
	v_cndmask_b32_e64 v92, v92, 0, s[12:13]
	v_add_u32_e32 v17, v92, v17
	v_add_u32_e32 v18, v17, v18
	;; [unrolled: 1-line block ×4, first 2 shown]
	ds_write2_b32 v56, v92, v17 offset1:1
	ds_write2_b32 v57, v18, v15 offset1:1
	ds_write_b32 v30, v16 offset:1056
	s_waitcnt lgkmcnt(0)
	s_barrier
	ds_read_b32 v15, v82 offset:1040
	ds_read_b32 v16, v86 offset:1040
	;; [unrolled: 1-line block ×5, first 2 shown]
	v_mov_b32_e32 v82, 0x400
	s_and_saveexec_b64 s[36:37], s[14:15]
; %bb.181:                              ;   in Loop: Header=BB945_156 Depth=2
	ds_read_b32 v82, v30 offset:1060
; %bb.182:                              ;   in Loop: Header=BB945_156 Depth=2
	s_or_b64 exec, exec, s[36:37]
	s_waitcnt lgkmcnt(0)
	s_barrier
	s_and_saveexec_b64 s[36:37], s[4:5]
	s_cbranch_execz .LBB945_184
; %bb.183:                              ;   in Loop: Header=BB945_156 Depth=2
	ds_read_b32 v90, v19
	s_waitcnt lgkmcnt(0)
	v_sub_u32_e32 v86, v90, v86
	ds_write_b32 v19, v86
.LBB945_184:                            ;   in Loop: Header=BB945_156 Depth=2
	s_or_b64 exec, exec, s[36:37]
	v_add_u32_e32 v86, v15, v79
	v_add3_u32 v83, v83, v81, v16
	v_add3_u32 v81, v87, v85, v17
	;; [unrolled: 1-line block ×3, first 2 shown]
	v_lshlrev_b32_e32 v16, 1, v86
	ds_write_b16 v16, v6 offset:1024
	v_lshlrev_b32_e32 v15, 1, v83
	v_lshlrev_b32_e32 v6, 1, v81
	;; [unrolled: 1-line block ×3, first 2 shown]
	v_cmp_lt_u32_e32 vcc, v0, v78
	ds_write_b16 v15, v80 offset:1024
	ds_write_b16 v6, v84 offset:1024
	;; [unrolled: 1-line block ×3, first 2 shown]
	s_waitcnt lgkmcnt(0)
	s_barrier
	s_and_saveexec_b64 s[38:39], vcc
	s_cbranch_execnz .LBB945_205
; %bb.185:                              ;   in Loop: Header=BB945_156 Depth=2
	s_or_b64 exec, exec, s[38:39]
	v_cmp_lt_u32_e64 s[36:37], v20, v78
	s_and_saveexec_b64 s[40:41], s[36:37]
	s_cbranch_execnz .LBB945_206
.LBB945_186:                            ;   in Loop: Header=BB945_156 Depth=2
	s_or_b64 exec, exec, s[40:41]
	v_cmp_lt_u32_e64 s[38:39], v21, v78
	s_and_saveexec_b64 s[42:43], s[38:39]
	s_cbranch_execnz .LBB945_207
.LBB945_187:                            ;   in Loop: Header=BB945_156 Depth=2
	s_or_b64 exec, exec, s[42:43]
	v_cmp_lt_u32_e64 s[40:41], v22, v78
	s_and_saveexec_b64 s[56:57], s[40:41]
	s_cbranch_execz .LBB945_189
.LBB945_188:                            ;   in Loop: Header=BB945_156 Depth=2
	ds_read_u16 v17, v36 offset:2560
	v_mov_b32_e32 v84, s69
	s_waitcnt lgkmcnt(0)
	v_lshrrev_b32_sdwa v18, s62, v17 dst_sel:DWORD dst_unused:UNUSED_PAD src0_sel:DWORD src1_sel:WORD_0
	v_and_b32_e32 v18, s63, v18
	v_lshlrev_b32_e32 v18, 2, v18
	ds_read_b32 v80, v18
	v_mov_b32_e32 v18, v3
	v_xor_b32_e32 v85, 0x7fff, v17
	s_waitcnt lgkmcnt(0)
	v_add_u32_e32 v17, v80, v22
	v_lshlrev_b64 v[17:18], 1, v[17:18]
	v_add_co_u32_e64 v17, s[42:43], s68, v17
	v_addc_co_u32_e64 v18, s[42:43], v84, v18, s[42:43]
	global_store_short v[17:18], v85, off
.LBB945_189:                            ;   in Loop: Header=BB945_156 Depth=2
	s_or_b64 exec, exec, s[56:57]
	s_lshl_b64 s[42:43], s[46:47], 3
	v_mov_b32_e32 v18, s43
	v_add_co_u32_e64 v17, s[42:43], s42, v69
	v_addc_co_u32_e64 v18, s[42:43], v70, v18, s[42:43]
	v_cmp_lt_u32_e64 s[42:43], v51, v78
	s_and_saveexec_b64 s[56:57], s[42:43]
	s_xor_b64 s[42:43], exec, s[56:57]
	s_cbranch_execnz .LBB945_208
; %bb.190:                              ;   in Loop: Header=BB945_156 Depth=2
	s_or_b64 exec, exec, s[42:43]
	v_cmp_lt_u32_e64 s[42:43], v64, v78
	s_and_saveexec_b64 s[56:57], s[42:43]
	s_cbranch_execnz .LBB945_209
.LBB945_191:                            ;   in Loop: Header=BB945_156 Depth=2
	s_or_b64 exec, exec, s[56:57]
	v_cmp_lt_u32_e64 s[42:43], v65, v78
	s_and_saveexec_b64 s[56:57], s[42:43]
	s_cbranch_execnz .LBB945_210
.LBB945_192:                            ;   in Loop: Header=BB945_156 Depth=2
	s_or_b64 exec, exec, s[56:57]
	v_cmp_lt_u32_e64 s[42:43], v66, v78
	s_and_saveexec_b64 s[56:57], s[42:43]
	s_cbranch_execnz .LBB945_211
.LBB945_193:                            ;   in Loop: Header=BB945_156 Depth=2
	s_or_b64 exec, exec, s[56:57]
	s_and_saveexec_b64 s[42:43], vcc
	s_cbranch_execnz .LBB945_212
.LBB945_194:                            ;   in Loop: Header=BB945_156 Depth=2
	s_or_b64 exec, exec, s[42:43]
	s_and_saveexec_b64 s[42:43], s[36:37]
	s_cbranch_execnz .LBB945_213
.LBB945_195:                            ;   in Loop: Header=BB945_156 Depth=2
	s_or_b64 exec, exec, s[42:43]
	s_and_saveexec_b64 s[42:43], s[38:39]
	s_cbranch_execnz .LBB945_214
.LBB945_196:                            ;   in Loop: Header=BB945_156 Depth=2
	s_or_b64 exec, exec, s[42:43]
	s_and_saveexec_b64 s[42:43], s[40:41]
	s_cbranch_execz .LBB945_198
.LBB945_197:                            ;   in Loop: Header=BB945_156 Depth=2
	ds_read_u16 v17, v36 offset:2560
	s_waitcnt lgkmcnt(0)
	v_lshrrev_b32_e32 v17, s62, v17
	v_and_b32_e32 v73, s63, v17
.LBB945_198:                            ;   in Loop: Header=BB945_156 Depth=2
	s_or_b64 exec, exec, s[42:43]
	v_mad_u64_u32 v[16:17], s[42:43], v86, 6, v[16:17]
	s_waitcnt vmcnt(0)
	v_mad_u64_u32 v[80:81], s[42:43], v81, 6, v[6:7]
	v_mad_u64_u32 v[17:18], s[42:43], v83, 6, v[15:16]
	;; [unrolled: 1-line block ×3, first 2 shown]
	s_barrier
	ds_write_b64 v16, v[13:14] offset:1024
	ds_write_b64 v17, v[11:12] offset:1024
	;; [unrolled: 1-line block ×4, first 2 shown]
	s_waitcnt lgkmcnt(0)
	s_barrier
	s_and_saveexec_b64 s[42:43], vcc
	s_cbranch_execnz .LBB945_215
; %bb.199:                              ;   in Loop: Header=BB945_156 Depth=2
	s_or_b64 exec, exec, s[42:43]
	s_and_saveexec_b64 s[42:43], s[36:37]
	s_cbranch_execnz .LBB945_216
.LBB945_200:                            ;   in Loop: Header=BB945_156 Depth=2
	s_or_b64 exec, exec, s[42:43]
	s_and_saveexec_b64 s[36:37], s[38:39]
	s_cbranch_execnz .LBB945_217
.LBB945_201:                            ;   in Loop: Header=BB945_156 Depth=2
	s_or_b64 exec, exec, s[36:37]
	s_and_saveexec_b64 s[36:37], s[40:41]
	s_cbranch_execz .LBB945_203
.LBB945_202:                            ;   in Loop: Header=BB945_156 Depth=2
	v_lshlrev_b32_e32 v4, 2, v73
	ds_read_b32 v4, v4
	v_add_u32_e32 v6, v36, v54
	ds_read_b64 v[15:16], v6 offset:7168
	v_mov_b32_e32 v18, v3
	v_mov_b32_e32 v6, s55
	s_waitcnt lgkmcnt(1)
	v_add_u32_e32 v17, v4, v22
	v_lshlrev_b64 v[17:18], 3, v[17:18]
	v_add_co_u32_e32 v17, vcc, s54, v17
	v_addc_co_u32_e32 v18, vcc, v6, v18, vcc
	s_waitcnt lgkmcnt(0)
	global_store_dwordx2 v[17:18], v[15:16], off
.LBB945_203:                            ;   in Loop: Header=BB945_156 Depth=2
	s_or_b64 exec, exec, s[36:37]
	s_waitcnt vmcnt(0)
	s_barrier
	s_and_saveexec_b64 s[36:37], s[4:5]
	s_cbranch_execz .LBB945_155
; %bb.204:                              ;   in Loop: Header=BB945_156 Depth=2
	ds_read_b32 v4, v19
	s_waitcnt lgkmcnt(0)
	v_add_u32_e32 v4, v4, v82
	ds_write_b32 v19, v4
	s_branch .LBB945_155
.LBB945_205:                            ;   in Loop: Header=BB945_156 Depth=2
	ds_read_u16 v17, v36 offset:1024
	v_mov_b32_e32 v84, s69
	s_waitcnt lgkmcnt(0)
	v_lshrrev_b32_sdwa v18, s62, v17 dst_sel:DWORD dst_unused:UNUSED_PAD src0_sel:DWORD src1_sel:WORD_0
	v_and_b32_e32 v18, s63, v18
	v_lshlrev_b32_e32 v18, 2, v18
	ds_read_b32 v80, v18
	v_mov_b32_e32 v18, v3
	v_xor_b32_e32 v85, 0x7fff, v17
	s_waitcnt lgkmcnt(0)
	v_add_u32_e32 v17, v80, v0
	v_lshlrev_b64 v[17:18], 1, v[17:18]
	v_add_co_u32_e64 v17, s[36:37], s68, v17
	v_addc_co_u32_e64 v18, s[36:37], v84, v18, s[36:37]
	global_store_short v[17:18], v85, off
	s_or_b64 exec, exec, s[38:39]
	v_cmp_lt_u32_e64 s[36:37], v20, v78
	s_and_saveexec_b64 s[40:41], s[36:37]
	s_cbranch_execz .LBB945_186
.LBB945_206:                            ;   in Loop: Header=BB945_156 Depth=2
	ds_read_u16 v17, v36 offset:1536
	v_mov_b32_e32 v84, s69
	s_waitcnt lgkmcnt(0)
	v_lshrrev_b32_sdwa v18, s62, v17 dst_sel:DWORD dst_unused:UNUSED_PAD src0_sel:DWORD src1_sel:WORD_0
	v_and_b32_e32 v18, s63, v18
	v_lshlrev_b32_e32 v18, 2, v18
	ds_read_b32 v80, v18
	v_mov_b32_e32 v18, v3
	v_xor_b32_e32 v85, 0x7fff, v17
	s_waitcnt lgkmcnt(0)
	v_add_u32_e32 v17, v80, v20
	v_lshlrev_b64 v[17:18], 1, v[17:18]
	v_add_co_u32_e64 v17, s[38:39], s68, v17
	v_addc_co_u32_e64 v18, s[38:39], v84, v18, s[38:39]
	global_store_short v[17:18], v85, off
	s_or_b64 exec, exec, s[40:41]
	v_cmp_lt_u32_e64 s[38:39], v21, v78
	s_and_saveexec_b64 s[42:43], s[38:39]
	s_cbranch_execz .LBB945_187
.LBB945_207:                            ;   in Loop: Header=BB945_156 Depth=2
	ds_read_u16 v17, v36 offset:2048
	v_mov_b32_e32 v84, s69
	s_waitcnt lgkmcnt(0)
	v_lshrrev_b32_sdwa v18, s62, v17 dst_sel:DWORD dst_unused:UNUSED_PAD src0_sel:DWORD src1_sel:WORD_0
	v_and_b32_e32 v18, s63, v18
	v_lshlrev_b32_e32 v18, 2, v18
	ds_read_b32 v80, v18
	v_mov_b32_e32 v18, v3
	v_xor_b32_e32 v85, 0x7fff, v17
	s_waitcnt lgkmcnt(0)
	v_add_u32_e32 v17, v80, v21
	v_lshlrev_b64 v[17:18], 1, v[17:18]
	v_add_co_u32_e64 v17, s[40:41], s68, v17
	v_addc_co_u32_e64 v18, s[40:41], v84, v18, s[40:41]
	global_store_short v[17:18], v85, off
	s_or_b64 exec, exec, s[42:43]
	v_cmp_lt_u32_e64 s[40:41], v22, v78
	s_and_saveexec_b64 s[56:57], s[40:41]
	s_cbranch_execnz .LBB945_188
	s_branch .LBB945_189
.LBB945_208:                            ;   in Loop: Header=BB945_156 Depth=2
	global_load_dwordx2 v[13:14], v[17:18], off
	s_or_b64 exec, exec, s[42:43]
	v_cmp_lt_u32_e64 s[42:43], v64, v78
	s_and_saveexec_b64 s[56:57], s[42:43]
	s_cbranch_execz .LBB945_191
.LBB945_209:                            ;   in Loop: Header=BB945_156 Depth=2
	global_load_dwordx2 v[11:12], v[17:18], off offset:512
	s_or_b64 exec, exec, s[56:57]
	v_cmp_lt_u32_e64 s[42:43], v65, v78
	s_and_saveexec_b64 s[56:57], s[42:43]
	s_cbranch_execz .LBB945_192
.LBB945_210:                            ;   in Loop: Header=BB945_156 Depth=2
	global_load_dwordx2 v[9:10], v[17:18], off offset:1024
	s_or_b64 exec, exec, s[56:57]
	v_cmp_lt_u32_e64 s[42:43], v66, v78
	s_and_saveexec_b64 s[56:57], s[42:43]
	s_cbranch_execz .LBB945_193
.LBB945_211:                            ;   in Loop: Header=BB945_156 Depth=2
	global_load_dwordx2 v[7:8], v[17:18], off offset:1536
	s_or_b64 exec, exec, s[56:57]
	s_and_saveexec_b64 s[42:43], vcc
	s_cbranch_execz .LBB945_194
.LBB945_212:                            ;   in Loop: Header=BB945_156 Depth=2
	ds_read_u16 v17, v36 offset:1024
	s_waitcnt lgkmcnt(0)
	v_lshrrev_b32_e32 v17, s62, v17
	v_and_b32_e32 v77, s63, v17
	s_or_b64 exec, exec, s[42:43]
	s_and_saveexec_b64 s[42:43], s[36:37]
	s_cbranch_execz .LBB945_195
.LBB945_213:                            ;   in Loop: Header=BB945_156 Depth=2
	ds_read_u16 v17, v36 offset:1536
	s_waitcnt lgkmcnt(0)
	v_lshrrev_b32_e32 v17, s62, v17
	v_and_b32_e32 v76, s63, v17
	s_or_b64 exec, exec, s[42:43]
	s_and_saveexec_b64 s[42:43], s[38:39]
	s_cbranch_execz .LBB945_196
.LBB945_214:                            ;   in Loop: Header=BB945_156 Depth=2
	ds_read_u16 v17, v36 offset:2048
	s_waitcnt lgkmcnt(0)
	v_lshrrev_b32_e32 v17, s62, v17
	v_and_b32_e32 v74, s63, v17
	s_or_b64 exec, exec, s[42:43]
	s_and_saveexec_b64 s[42:43], s[40:41]
	s_cbranch_execnz .LBB945_197
	s_branch .LBB945_198
.LBB945_215:                            ;   in Loop: Header=BB945_156 Depth=2
	v_lshlrev_b32_e32 v4, 2, v77
	ds_read_b32 v4, v4
	v_add_u32_e32 v6, v36, v54
	ds_read_b64 v[15:16], v6 offset:1024
	v_mov_b32_e32 v18, v3
	v_mov_b32_e32 v6, s55
	s_waitcnt lgkmcnt(1)
	v_add_u32_e32 v17, v4, v0
	v_lshlrev_b64 v[17:18], 3, v[17:18]
	v_add_co_u32_e32 v17, vcc, s54, v17
	v_addc_co_u32_e32 v18, vcc, v6, v18, vcc
	s_waitcnt lgkmcnt(0)
	global_store_dwordx2 v[17:18], v[15:16], off
	s_or_b64 exec, exec, s[42:43]
	s_and_saveexec_b64 s[42:43], s[36:37]
	s_cbranch_execz .LBB945_200
.LBB945_216:                            ;   in Loop: Header=BB945_156 Depth=2
	v_lshlrev_b32_e32 v4, 2, v76
	ds_read_b32 v4, v4
	v_add_u32_e32 v6, v36, v54
	ds_read_b64 v[15:16], v6 offset:3072
	v_mov_b32_e32 v18, v3
	v_mov_b32_e32 v6, s55
	s_waitcnt lgkmcnt(1)
	v_add_u32_e32 v17, v4, v20
	v_lshlrev_b64 v[17:18], 3, v[17:18]
	v_add_co_u32_e32 v17, vcc, s54, v17
	v_addc_co_u32_e32 v18, vcc, v6, v18, vcc
	s_waitcnt lgkmcnt(0)
	global_store_dwordx2 v[17:18], v[15:16], off
	s_or_b64 exec, exec, s[42:43]
	s_and_saveexec_b64 s[36:37], s[38:39]
	s_cbranch_execz .LBB945_201
.LBB945_217:                            ;   in Loop: Header=BB945_156 Depth=2
	v_lshlrev_b32_e32 v4, 2, v74
	ds_read_b32 v4, v4
	v_add_u32_e32 v6, v36, v54
	ds_read_b64 v[15:16], v6 offset:5120
	v_mov_b32_e32 v18, v3
	v_mov_b32_e32 v6, s55
	s_waitcnt lgkmcnt(1)
	v_add_u32_e32 v17, v4, v21
	v_lshlrev_b64 v[17:18], 3, v[17:18]
	v_add_co_u32_e32 v17, vcc, s54, v17
	v_addc_co_u32_e32 v18, vcc, v6, v18, vcc
	s_waitcnt lgkmcnt(0)
	global_store_dwordx2 v[17:18], v[15:16], off
	s_or_b64 exec, exec, s[36:37]
	s_and_saveexec_b64 s[36:37], s[40:41]
	s_cbranch_execnz .LBB945_202
	s_branch .LBB945_203
.LBB945_218:                            ;   in Loop: Header=BB945_156 Depth=2
	global_load_ushort v4, v[17:18], off
	v_mov_b32_e32 v16, v5
	s_waitcnt vmcnt(0)
	v_perm_b32 v15, s61, v4, v67
	s_or_b64 exec, exec, s[36:37]
	v_cmp_gt_u32_e32 vcc, s70, v64
	s_and_saveexec_b64 s[36:37], vcc
	s_cbranch_execz .LBB945_161
.LBB945_219:                            ;   in Loop: Header=BB945_156 Depth=2
	global_load_ushort v4, v[17:18], off offset:128
	s_waitcnt vmcnt(0)
	v_perm_b32 v15, v4, v15, s58
	s_or_b64 exec, exec, s[36:37]
	v_cmp_gt_u32_e32 vcc, s70, v65
	s_and_saveexec_b64 s[36:37], vcc
	s_cbranch_execnz .LBB945_162
	s_branch .LBB945_163
.LBB945_220:                            ;   in Loop: Header=BB945_20 Depth=1
	s_waitcnt lgkmcnt(0)
	s_barrier
.LBB945_221:                            ;   in Loop: Header=BB945_20 Depth=1
	s_mov_b64 s[16:17], 0
.LBB945_222:                            ;   in Loop: Header=BB945_20 Depth=1
	s_andn2_b64 vcc, exec, s[16:17]
	s_cbranch_vccnz .LBB945_19
; %bb.223:                              ;   in Loop: Header=BB945_20 Depth=1
	s_mov_b64 s[16:17], -1
	s_and_b64 vcc, exec, s[50:51]
	s_cbranch_vccz .LBB945_323
; %bb.224:                              ;   in Loop: Header=BB945_20 Depth=1
	v_mov_b32_e32 v4, v3
	v_mov_b32_e32 v7, v4
	s_mov_b32 s20, s75
	s_mov_b32 s46, s49
	v_mov_b32_e32 v6, v3
	s_barrier
	s_branch .LBB945_226
.LBB945_225:                            ;   in Loop: Header=BB945_226 Depth=2
	s_or_b64 exec, exec, s[16:17]
	s_addk_i32 s20, 0xfc00
	s_cmp_ge_u32 s21, s76
	s_mov_b32 s46, s21
	s_cbranch_scc1 .LBB945_246
.LBB945_226:                            ;   Parent Loop BB945_20 Depth=1
                                        ; =>  This Inner Loop Header: Depth=2
	s_add_i32 s21, s46, 0x400
	s_cmp_gt_u32 s21, s76
	s_mov_b64 s[16:17], -1
                                        ; implicit-def: $vgpr8_vgpr9
	s_cbranch_scc1 .LBB945_228
; %bb.227:                              ;   in Loop: Header=BB945_226 Depth=2
	s_lshl_b64 s[16:17], s[46:47], 1
	v_mov_b32_e32 v4, s17
	v_add_co_u32_e32 v8, vcc, s16, v43
	v_addc_co_u32_e32 v9, vcc, v44, v4, vcc
	global_load_ushort v4, v[8:9], off
	global_load_ushort v10, v[8:9], off offset:1024
	global_load_ushort v11, v[8:9], off offset:1536
	;; [unrolled: 1-line block ×3, first 2 shown]
	s_mov_b64 s[16:17], 0
	s_waitcnt vmcnt(1)
	v_perm_b32 v9, v11, v10, s58
	s_waitcnt vmcnt(0)
	v_perm_b32 v8, v12, v4, s58
.LBB945_228:                            ;   in Loop: Header=BB945_226 Depth=2
	s_andn2_b64 vcc, exec, s[16:17]
	s_movk_i32 s18, 0x400
	s_cbranch_vccnz .LBB945_235
; %bb.229:                              ;   in Loop: Header=BB945_226 Depth=2
	s_lshl_b64 s[16:17], s[46:47], 1
	s_add_u32 s16, s64, s16
	s_addc_u32 s17, s65, s17
	v_cmp_gt_u32_e32 vcc, s20, v0
	s_and_saveexec_b64 s[18:19], vcc
	s_cbranch_execnz .LBB945_243
; %bb.230:                              ;   in Loop: Header=BB945_226 Depth=2
	s_or_b64 exec, exec, s[18:19]
	v_cmp_gt_u32_e32 vcc, s20, v20
	s_and_saveexec_b64 s[18:19], vcc
	s_cbranch_execnz .LBB945_244
.LBB945_231:                            ;   in Loop: Header=BB945_226 Depth=2
	s_or_b64 exec, exec, s[18:19]
	v_cmp_gt_u32_e32 vcc, s20, v21
	s_and_saveexec_b64 s[18:19], vcc
	s_cbranch_execnz .LBB945_245
.LBB945_232:                            ;   in Loop: Header=BB945_226 Depth=2
	s_or_b64 exec, exec, s[18:19]
	v_cmp_gt_u32_e32 vcc, s20, v22
	s_and_saveexec_b64 s[18:19], vcc
	s_cbranch_execz .LBB945_234
.LBB945_233:                            ;   in Loop: Header=BB945_226 Depth=2
	global_load_ushort v4, v58, s[16:17] offset:1536
	s_waitcnt vmcnt(0)
	v_perm_b32 v7, v4, v7, s58
.LBB945_234:                            ;   in Loop: Header=BB945_226 Depth=2
	s_or_b64 exec, exec, s[18:19]
	v_mov_b32_e32 v9, v7
	s_mov_b32 s18, s20
	v_mov_b32_e32 v8, v6
.LBB945_235:                            ;   in Loop: Header=BB945_226 Depth=2
	v_mov_b32_e32 v6, v8
	v_mov_b32_e32 v7, v9
	v_cmp_gt_u32_e32 vcc, s18, v0
	s_and_saveexec_b64 s[16:17], vcc
	s_cbranch_execnz .LBB945_239
; %bb.236:                              ;   in Loop: Header=BB945_226 Depth=2
	s_or_b64 exec, exec, s[16:17]
	v_cmp_gt_u32_e32 vcc, s18, v20
	s_and_saveexec_b64 s[16:17], vcc
	s_cbranch_execnz .LBB945_240
.LBB945_237:                            ;   in Loop: Header=BB945_226 Depth=2
	s_or_b64 exec, exec, s[16:17]
	v_cmp_gt_u32_e32 vcc, s18, v21
	s_and_saveexec_b64 s[16:17], vcc
	s_cbranch_execnz .LBB945_241
.LBB945_238:                            ;   in Loop: Header=BB945_226 Depth=2
	s_or_b64 exec, exec, s[16:17]
	v_cmp_gt_u32_e32 vcc, s18, v22
	s_and_saveexec_b64 s[16:17], vcc
	s_cbranch_execz .LBB945_225
	s_branch .LBB945_242
.LBB945_239:                            ;   in Loop: Header=BB945_226 Depth=2
	v_xor_b32_e32 v4, 0x7fff, v6
	v_lshrrev_b32_sdwa v4, s73, v4 dst_sel:DWORD dst_unused:UNUSED_PAD src0_sel:DWORD src1_sel:WORD_0
	v_and_b32_e32 v4, s63, v4
	v_lshl_or_b32 v4, v4, 4, v25
	ds_add_u32 v4, v55
	s_or_b64 exec, exec, s[16:17]
	v_cmp_gt_u32_e32 vcc, s18, v20
	s_and_saveexec_b64 s[16:17], vcc
	s_cbranch_execz .LBB945_237
.LBB945_240:                            ;   in Loop: Header=BB945_226 Depth=2
	v_xor_b32_sdwa v4, v6, s60 dst_sel:DWORD dst_unused:UNUSED_PAD src0_sel:WORD_1 src1_sel:DWORD
	v_lshrrev_b32_sdwa v4, s73, v4 dst_sel:DWORD dst_unused:UNUSED_PAD src0_sel:DWORD src1_sel:WORD_0
	v_and_b32_e32 v4, s63, v4
	v_lshl_or_b32 v4, v4, 4, v25
	ds_add_u32 v4, v55
	s_or_b64 exec, exec, s[16:17]
	v_cmp_gt_u32_e32 vcc, s18, v21
	s_and_saveexec_b64 s[16:17], vcc
	s_cbranch_execz .LBB945_238
.LBB945_241:                            ;   in Loop: Header=BB945_226 Depth=2
	v_xor_b32_e32 v4, 0x7fff, v7
	v_lshrrev_b32_sdwa v4, s73, v4 dst_sel:DWORD dst_unused:UNUSED_PAD src0_sel:DWORD src1_sel:WORD_0
	v_and_b32_e32 v4, s63, v4
	v_lshl_or_b32 v4, v4, 4, v25
	ds_add_u32 v4, v55
	s_or_b64 exec, exec, s[16:17]
	v_cmp_gt_u32_e32 vcc, s18, v22
	s_and_saveexec_b64 s[16:17], vcc
	s_cbranch_execz .LBB945_225
.LBB945_242:                            ;   in Loop: Header=BB945_226 Depth=2
	v_xor_b32_sdwa v4, v7, s60 dst_sel:DWORD dst_unused:UNUSED_PAD src0_sel:WORD_1 src1_sel:DWORD
	v_lshrrev_b32_sdwa v4, s73, v4 dst_sel:DWORD dst_unused:UNUSED_PAD src0_sel:DWORD src1_sel:WORD_0
	v_and_b32_e32 v4, s63, v4
	v_lshl_or_b32 v4, v4, 4, v25
	ds_add_u32 v4, v55
	s_branch .LBB945_225
.LBB945_243:                            ;   in Loop: Header=BB945_226 Depth=2
	global_load_ushort v4, v58, s[16:17]
	s_waitcnt vmcnt(0)
	v_bfi_b32 v6, s59, v4, v6
	s_or_b64 exec, exec, s[18:19]
	v_cmp_gt_u32_e32 vcc, s20, v20
	s_and_saveexec_b64 s[18:19], vcc
	s_cbranch_execz .LBB945_231
.LBB945_244:                            ;   in Loop: Header=BB945_226 Depth=2
	global_load_ushort v4, v58, s[16:17] offset:512
	s_waitcnt vmcnt(0)
	v_perm_b32 v6, v4, v6, s58
	s_or_b64 exec, exec, s[18:19]
	v_cmp_gt_u32_e32 vcc, s20, v21
	s_and_saveexec_b64 s[18:19], vcc
	s_cbranch_execz .LBB945_232
.LBB945_245:                            ;   in Loop: Header=BB945_226 Depth=2
	global_load_ushort v4, v58, s[16:17] offset:1024
	s_waitcnt vmcnt(0)
	v_bfi_b32 v7, s59, v4, v7
	s_or_b64 exec, exec, s[18:19]
	v_cmp_gt_u32_e32 vcc, s20, v22
	s_and_saveexec_b64 s[18:19], vcc
	s_cbranch_execnz .LBB945_233
	s_branch .LBB945_234
.LBB945_246:                            ;   in Loop: Header=BB945_20 Depth=1
	v_mov_b32_e32 v4, 0
	s_waitcnt lgkmcnt(0)
	s_barrier
	s_and_saveexec_b64 s[16:17], s[4:5]
	s_cbranch_execz .LBB945_248
; %bb.247:                              ;   in Loop: Header=BB945_20 Depth=1
	ds_read2_b64 v[6:9], v26 offset1:1
	s_waitcnt lgkmcnt(0)
	v_add_u32_e32 v4, v7, v6
	v_add3_u32 v4, v4, v8, v9
.LBB945_248:                            ;   in Loop: Header=BB945_20 Depth=1
	s_or_b64 exec, exec, s[16:17]
	s_nop 0
	v_mov_b32_dpp v6, v4 row_shr:1 row_mask:0xf bank_mask:0xf
	v_cmp_eq_u32_e64 s[16:17], 0, v59
	v_cndmask_b32_e64 v6, v6, 0, s[16:17]
	v_add_u32_e32 v4, v6, v4
	v_cmp_lt_u32_e64 s[18:19], 1, v59
	v_cmp_lt_u32_e64 s[20:21], 3, v59
	v_mov_b32_dpp v6, v4 row_shr:2 row_mask:0xf bank_mask:0xf
	v_cndmask_b32_e64 v6, 0, v6, s[18:19]
	v_add_u32_e32 v4, v4, v6
	v_cmp_lt_u32_e64 s[22:23], 7, v59
	v_cmp_lt_u32_e64 s[26:27], 31, v49
	v_mov_b32_dpp v6, v4 row_shr:4 row_mask:0xf bank_mask:0xf
	v_cndmask_b32_e64 v6, 0, v6, s[20:21]
	v_add_u32_e32 v4, v4, v6
	v_cmp_eq_u32_e64 s[24:25], 0, v61
	s_nop 0
	v_mov_b32_dpp v6, v4 row_shr:8 row_mask:0xf bank_mask:0xf
	v_cndmask_b32_e64 v6, 0, v6, s[22:23]
	v_add_u32_e32 v4, v4, v6
	s_nop 1
	v_mov_b32_dpp v6, v4 row_bcast:15 row_mask:0xf bank_mask:0xf
	v_and_b32_e32 v6, v60, v6
	v_add_u32_e32 v4, v4, v6
	s_nop 1
	v_mov_b32_dpp v6, v4 row_bcast:31 row_mask:0xf bank_mask:0xf
	v_cndmask_b32_e64 v6, 0, v6, s[26:27]
	v_add_u32_e32 v4, v4, v6
	s_and_saveexec_b64 s[28:29], s[6:7]
; %bb.249:                              ;   in Loop: Header=BB945_20 Depth=1
	ds_write_b32 v28, v4
; %bb.250:                              ;   in Loop: Header=BB945_20 Depth=1
	s_or_b64 exec, exec, s[28:29]
	s_waitcnt lgkmcnt(0)
	s_barrier
	s_and_saveexec_b64 s[28:29], s[8:9]
	s_cbranch_execz .LBB945_252
; %bb.251:                              ;   in Loop: Header=BB945_20 Depth=1
	ds_read_b32 v6, v29
	v_cmp_ne_u32_e32 vcc, 0, v62
	s_waitcnt lgkmcnt(0)
	v_mov_b32_dpp v7, v6 row_shr:1 row_mask:0xf bank_mask:0xf
	v_cndmask_b32_e32 v7, 0, v7, vcc
	v_add_u32_e32 v6, v7, v6
	v_cmp_lt_u32_e32 vcc, 1, v62
	s_nop 0
	v_mov_b32_dpp v7, v6 row_shr:2 row_mask:0xf bank_mask:0xf
	v_cndmask_b32_e32 v7, 0, v7, vcc
	v_add_u32_e32 v6, v6, v7
	ds_write_b32 v29, v6
.LBB945_252:                            ;   in Loop: Header=BB945_20 Depth=1
	s_or_b64 exec, exec, s[28:29]
	v_mov_b32_e32 v6, 0
	s_waitcnt lgkmcnt(0)
	s_barrier
	s_and_saveexec_b64 s[28:29], s[10:11]
; %bb.253:                              ;   in Loop: Header=BB945_20 Depth=1
	ds_read_b32 v6, v53
; %bb.254:                              ;   in Loop: Header=BB945_20 Depth=1
	s_or_b64 exec, exec, s[28:29]
	v_subrev_co_u32_e64 v7, s[28:29], 1, v49
	v_cmp_lt_i32_e32 vcc, v7, v63
	v_cndmask_b32_e32 v7, v7, v49, vcc
	s_waitcnt lgkmcnt(0)
	v_add_u32_e32 v4, v6, v4
	v_lshlrev_b32_e32 v68, 2, v7
	ds_bpermute_b32 v4, v68, v4
	s_waitcnt lgkmcnt(0)
	s_barrier
	s_and_saveexec_b64 s[30:31], s[4:5]
; %bb.255:                              ;   in Loop: Header=BB945_20 Depth=1
	v_cndmask_b32_e64 v4, v4, v6, s[28:29]
	v_add_u32_e32 v4, s49, v4
	ds_write_b32 v19, v4
; %bb.256:                              ;   in Loop: Header=BB945_20 Depth=1
	s_or_b64 exec, exec, s[30:31]
	s_load_dwordx2 s[30:31], s[44:45], 0x0
	v_add_co_u32_e32 v69, vcc, v45, v50
	v_addc_co_u32_e32 v70, vcc, 0, v46, vcc
	s_waitcnt lgkmcnt(0)
	s_cmp_lt_u32 s33, s31
	s_cselect_b32 s31, 14, 20
	s_add_u32 s34, s44, s31
	s_addc_u32 s35, s45, 0
	s_cmp_lt_u32 s48, s30
	s_cselect_b32 s30, 12, 18
	s_add_u32 s30, s44, s30
	global_load_ushort v4, v3, s[34:35]
	s_addc_u32 s31, s45, 0
	global_load_ushort v6, v3, s[30:31]
	v_add_co_u32_e32 v71, vcc, v47, v52
	v_cmp_eq_u32_e64 s[30:31], 0, v62
	v_cmp_lt_u32_e64 s[34:35], 1, v62
	v_addc_co_u32_e32 v72, vcc, 0, v48, vcc
	s_mov_b32 s70, s75
	s_mov_b32 s46, s49
                                        ; implicit-def: $vgpr9_vgpr10
                                        ; implicit-def: $vgpr11_vgpr12
                                        ; implicit-def: $vgpr13_vgpr14
                                        ; implicit-def: $vgpr73
                                        ; implicit-def: $vgpr74
                                        ; implicit-def: $vgpr76
                                        ; implicit-def: $vgpr77
	s_waitcnt vmcnt(1)
	v_mad_u32_u24 v4, v2, v4, v1
	s_waitcnt vmcnt(0)
	v_mad_u64_u32 v[6:7], s[36:37], v4, v6, v[0:1]
                                        ; implicit-def: $vgpr7_vgpr8
	v_lshrrev_b32_e32 v4, 4, v6
	v_and_b32_e32 v75, 0xffffffc, v4
	s_branch .LBB945_258
.LBB945_257:                            ;   in Loop: Header=BB945_258 Depth=2
	s_or_b64 exec, exec, s[36:37]
	s_addk_i32 s70, 0xfc00
	s_cmp_lt_u32 s71, s76
	s_mov_b32 s46, s71
	s_cbranch_scc0 .LBB945_322
.LBB945_258:                            ;   Parent Loop BB945_20 Depth=1
                                        ; =>  This Inner Loop Header: Depth=2
	s_add_i32 s71, s46, 0x400
	s_cmp_gt_u32 s71, s76
	s_cbranch_scc1 .LBB945_260
; %bb.259:                              ;   in Loop: Header=BB945_258 Depth=2
	s_lshl_b64 s[36:37], s[46:47], 1
	v_mov_b32_e32 v4, s37
	v_add_co_u32_e32 v15, vcc, s36, v71
	v_addc_co_u32_e32 v16, vcc, v72, v4, vcc
	global_load_ushort v4, v[15:16], off
	global_load_ushort v6, v[15:16], off offset:128
	s_nop 0
	global_load_ushort v16, v[15:16], off offset:256
	s_mov_b64 s[36:37], -1
	s_waitcnt vmcnt(1)
	v_perm_b32 v15, v6, v4, s58
	s_movk_i32 s40, 0x400
	s_cbranch_execz .LBB945_261
	s_branch .LBB945_266
.LBB945_260:                            ;   in Loop: Header=BB945_258 Depth=2
	s_mov_b64 s[36:37], 0
                                        ; implicit-def: $vgpr15_vgpr16
	s_movk_i32 s40, 0x400
.LBB945_261:                            ;   in Loop: Header=BB945_258 Depth=2
	s_lshl_b64 s[36:37], s[46:47], 1
	v_mov_b32_e32 v4, s37
	v_add_co_u32_e32 v17, vcc, s36, v71
	v_mov_b32_e32 v6, v5
	v_addc_co_u32_e32 v18, vcc, v72, v4, vcc
	s_waitcnt vmcnt(0)
	v_mov_b32_e32 v16, v6
	v_cmp_gt_u32_e32 vcc, s70, v51
	v_mov_b32_e32 v15, v5
	s_and_saveexec_b64 s[36:37], vcc
	s_cbranch_execnz .LBB945_320
; %bb.262:                              ;   in Loop: Header=BB945_258 Depth=2
	s_or_b64 exec, exec, s[36:37]
	v_cmp_gt_u32_e32 vcc, s70, v64
	s_and_saveexec_b64 s[36:37], vcc
	s_cbranch_execnz .LBB945_321
.LBB945_263:                            ;   in Loop: Header=BB945_258 Depth=2
	s_or_b64 exec, exec, s[36:37]
	v_cmp_gt_u32_e32 vcc, s70, v65
	s_and_saveexec_b64 s[36:37], vcc
	s_cbranch_execz .LBB945_265
.LBB945_264:                            ;   in Loop: Header=BB945_258 Depth=2
	global_load_ushort v4, v[17:18], off offset:256
	s_waitcnt vmcnt(0)
	v_bfi_b32 v16, s59, v4, v16
.LBB945_265:                            ;   in Loop: Header=BB945_258 Depth=2
	s_or_b64 exec, exec, s[36:37]
	s_sub_i32 s40, s76, s46
	v_cmp_gt_u32_e64 s[36:37], s70, v66
.LBB945_266:                            ;   in Loop: Header=BB945_258 Depth=2
	v_mov_b32_e32 v78, s70
	s_and_saveexec_b64 s[38:39], s[36:37]
	s_cbranch_execz .LBB945_268
; %bb.267:                              ;   in Loop: Header=BB945_258 Depth=2
	s_lshl_b64 s[36:37], s[46:47], 1
	v_mov_b32_e32 v4, s37
	v_add_co_u32_e32 v17, vcc, s36, v71
	v_addc_co_u32_e32 v18, vcc, v72, v4, vcc
	global_load_ushort v4, v[17:18], off offset:384
	v_mov_b32_e32 v78, s40
	s_waitcnt vmcnt(0)
	v_perm_b32 v16, v4, v16, s58
.LBB945_268:                            ;   in Loop: Header=BB945_258 Depth=2
	s_or_b64 exec, exec, s[38:39]
	v_xor_b32_e32 v6, 0x7fff, v15
	v_lshrrev_b32_sdwa v4, s73, v6 dst_sel:DWORD dst_unused:UNUSED_PAD src0_sel:DWORD src1_sel:WORD_0
	v_and_b32_e32 v17, s63, v4
	v_and_b32_e32 v4, 1, v17
	v_add_co_u32_e32 v18, vcc, -1, v4
	v_addc_co_u32_e64 v79, s[36:37], 0, -1, vcc
	v_cmp_ne_u32_e32 vcc, 0, v4
	v_xor_b32_e32 v4, vcc_hi, v79
	v_and_b32_e32 v79, exec_hi, v4
	v_lshlrev_b32_e32 v4, 30, v17
	v_xor_b32_e32 v18, vcc_lo, v18
	v_cmp_gt_i64_e32 vcc, 0, v[3:4]
	v_not_b32_e32 v4, v4
	v_ashrrev_i32_e32 v4, 31, v4
	v_and_b32_e32 v18, exec_lo, v18
	v_xor_b32_e32 v81, vcc_hi, v4
	v_xor_b32_e32 v4, vcc_lo, v4
	v_and_b32_e32 v18, v18, v4
	v_lshlrev_b32_e32 v4, 29, v17
	v_cmp_gt_i64_e32 vcc, 0, v[3:4]
	v_not_b32_e32 v4, v4
	v_ashrrev_i32_e32 v4, 31, v4
	v_and_b32_e32 v79, v79, v81
	v_xor_b32_e32 v81, vcc_hi, v4
	v_xor_b32_e32 v4, vcc_lo, v4
	v_and_b32_e32 v18, v18, v4
	v_lshlrev_b32_e32 v4, 28, v17
	v_cmp_gt_i64_e32 vcc, 0, v[3:4]
	v_not_b32_e32 v4, v4
	v_ashrrev_i32_e32 v4, 31, v4
	v_and_b32_e32 v79, v79, v81
	v_xor_b32_e32 v81, vcc_hi, v4
	v_xor_b32_e32 v4, vcc_lo, v4
	v_and_b32_e32 v18, v18, v4
	v_lshlrev_b32_e32 v4, 27, v17
	v_cmp_gt_i64_e32 vcc, 0, v[3:4]
	v_not_b32_e32 v4, v4
	v_ashrrev_i32_e32 v4, 31, v4
	v_and_b32_e32 v79, v79, v81
	v_xor_b32_e32 v81, vcc_hi, v4
	v_xor_b32_e32 v4, vcc_lo, v4
	v_and_b32_e32 v18, v18, v4
	v_lshlrev_b32_e32 v4, 26, v17
	v_cmp_gt_i64_e32 vcc, 0, v[3:4]
	v_not_b32_e32 v4, v4
	v_ashrrev_i32_e32 v4, 31, v4
	v_and_b32_e32 v79, v79, v81
	v_xor_b32_e32 v81, vcc_hi, v4
	v_xor_b32_e32 v4, vcc_lo, v4
	v_and_b32_e32 v18, v18, v4
	v_lshlrev_b32_e32 v4, 25, v17
	v_cmp_gt_i64_e32 vcc, 0, v[3:4]
	v_not_b32_e32 v4, v4
	v_ashrrev_i32_e32 v4, 31, v4
	v_and_b32_e32 v79, v79, v81
	v_xor_b32_e32 v81, vcc_hi, v4
	v_xor_b32_e32 v4, vcc_lo, v4
	v_and_b32_e32 v79, v79, v81
	v_and_b32_e32 v81, v18, v4
	v_lshlrev_b32_e32 v4, 24, v17
	v_cmp_gt_i64_e32 vcc, 0, v[3:4]
	v_not_b32_e32 v4, v4
	v_ashrrev_i32_e32 v4, 31, v4
	v_mul_u32_u24_e32 v80, 20, v17
	v_xor_b32_e32 v17, vcc_hi, v4
	v_xor_b32_e32 v4, vcc_lo, v4
	v_and_b32_e32 v18, v79, v17
	v_and_b32_e32 v17, v81, v4
	v_mbcnt_lo_u32_b32 v4, v17, 0
	v_mbcnt_hi_u32_b32 v79, v18, v4
	v_cmp_ne_u64_e32 vcc, 0, v[17:18]
	v_cmp_eq_u32_e64 s[36:37], 0, v79
	s_and_b64 s[38:39], vcc, s[36:37]
	v_add_u32_e32 v82, v75, v80
	ds_write2_b32 v56, v3, v3 offset1:1
	ds_write2_b32 v57, v3, v3 offset1:1
	ds_write_b32 v30, v3 offset:1056
	s_waitcnt vmcnt(0) lgkmcnt(0)
	s_barrier
	; wave barrier
	s_and_saveexec_b64 s[36:37], s[38:39]
; %bb.269:                              ;   in Loop: Header=BB945_258 Depth=2
	v_bcnt_u32_b32 v4, v17, 0
	v_bcnt_u32_b32 v4, v18, v4
	ds_write_b32 v82, v4 offset:1040
; %bb.270:                              ;   in Loop: Header=BB945_258 Depth=2
	s_or_b64 exec, exec, s[36:37]
	v_xor_b32_sdwa v80, v15, s60 dst_sel:DWORD dst_unused:UNUSED_PAD src0_sel:WORD_1 src1_sel:DWORD
	v_lshrrev_b32_sdwa v4, s73, v80 dst_sel:DWORD dst_unused:UNUSED_PAD src0_sel:DWORD src1_sel:WORD_0
	v_and_b32_e32 v15, s63, v4
	v_mad_u32_u24 v4, v15, 20, v75
	; wave barrier
	ds_read_b32 v81, v4 offset:1040
	v_and_b32_e32 v4, 1, v15
	v_add_co_u32_e32 v17, vcc, -1, v4
	v_addc_co_u32_e64 v18, s[36:37], 0, -1, vcc
	v_cmp_ne_u32_e32 vcc, 0, v4
	v_xor_b32_e32 v4, vcc_hi, v18
	v_and_b32_e32 v18, exec_hi, v4
	v_lshlrev_b32_e32 v4, 30, v15
	v_xor_b32_e32 v17, vcc_lo, v17
	v_cmp_gt_i64_e32 vcc, 0, v[3:4]
	v_not_b32_e32 v4, v4
	v_ashrrev_i32_e32 v4, 31, v4
	v_and_b32_e32 v17, exec_lo, v17
	v_xor_b32_e32 v83, vcc_hi, v4
	v_xor_b32_e32 v4, vcc_lo, v4
	v_and_b32_e32 v17, v17, v4
	v_lshlrev_b32_e32 v4, 29, v15
	v_cmp_gt_i64_e32 vcc, 0, v[3:4]
	v_not_b32_e32 v4, v4
	v_ashrrev_i32_e32 v4, 31, v4
	v_and_b32_e32 v18, v18, v83
	v_xor_b32_e32 v83, vcc_hi, v4
	v_xor_b32_e32 v4, vcc_lo, v4
	v_and_b32_e32 v17, v17, v4
	v_lshlrev_b32_e32 v4, 28, v15
	v_cmp_gt_i64_e32 vcc, 0, v[3:4]
	v_not_b32_e32 v4, v4
	v_ashrrev_i32_e32 v4, 31, v4
	v_and_b32_e32 v18, v18, v83
	;; [unrolled: 8-line block ×5, first 2 shown]
	v_xor_b32_e32 v83, vcc_hi, v4
	v_xor_b32_e32 v4, vcc_lo, v4
	v_and_b32_e32 v17, v17, v4
	v_lshlrev_b32_e32 v4, 24, v15
	v_cmp_gt_i64_e32 vcc, 0, v[3:4]
	v_not_b32_e32 v4, v4
	v_ashrrev_i32_e32 v4, 31, v4
	v_mul_u32_u24_e32 v84, 20, v15
	v_xor_b32_e32 v15, vcc_hi, v4
	v_xor_b32_e32 v4, vcc_lo, v4
	v_and_b32_e32 v18, v18, v83
	v_and_b32_e32 v17, v17, v4
	;; [unrolled: 1-line block ×3, first 2 shown]
	v_mbcnt_lo_u32_b32 v4, v17, 0
	v_mbcnt_hi_u32_b32 v83, v18, v4
	v_cmp_ne_u64_e32 vcc, 0, v[17:18]
	v_cmp_eq_u32_e64 s[36:37], 0, v83
	s_and_b64 s[38:39], vcc, s[36:37]
	v_add_u32_e32 v86, v75, v84
	; wave barrier
	s_and_saveexec_b64 s[36:37], s[38:39]
	s_cbranch_execz .LBB945_272
; %bb.271:                              ;   in Loop: Header=BB945_258 Depth=2
	v_bcnt_u32_b32 v4, v17, 0
	v_bcnt_u32_b32 v4, v18, v4
	s_waitcnt lgkmcnt(0)
	v_add_u32_e32 v4, v81, v4
	ds_write_b32 v86, v4 offset:1040
.LBB945_272:                            ;   in Loop: Header=BB945_258 Depth=2
	s_or_b64 exec, exec, s[36:37]
	v_xor_b32_e32 v84, 0x7fff, v16
	v_lshrrev_b32_sdwa v4, s73, v84 dst_sel:DWORD dst_unused:UNUSED_PAD src0_sel:DWORD src1_sel:WORD_0
	v_and_b32_e32 v15, s63, v4
	v_mad_u32_u24 v4, v15, 20, v75
	; wave barrier
	ds_read_b32 v85, v4 offset:1040
	v_and_b32_e32 v4, 1, v15
	v_add_co_u32_e32 v17, vcc, -1, v4
	v_addc_co_u32_e64 v18, s[36:37], 0, -1, vcc
	v_cmp_ne_u32_e32 vcc, 0, v4
	v_xor_b32_e32 v4, vcc_hi, v18
	v_and_b32_e32 v18, exec_hi, v4
	v_lshlrev_b32_e32 v4, 30, v15
	v_xor_b32_e32 v17, vcc_lo, v17
	v_cmp_gt_i64_e32 vcc, 0, v[3:4]
	v_not_b32_e32 v4, v4
	v_ashrrev_i32_e32 v4, 31, v4
	v_and_b32_e32 v17, exec_lo, v17
	v_xor_b32_e32 v87, vcc_hi, v4
	v_xor_b32_e32 v4, vcc_lo, v4
	v_and_b32_e32 v17, v17, v4
	v_lshlrev_b32_e32 v4, 29, v15
	v_cmp_gt_i64_e32 vcc, 0, v[3:4]
	v_not_b32_e32 v4, v4
	v_ashrrev_i32_e32 v4, 31, v4
	v_and_b32_e32 v18, v18, v87
	v_xor_b32_e32 v87, vcc_hi, v4
	v_xor_b32_e32 v4, vcc_lo, v4
	v_and_b32_e32 v17, v17, v4
	v_lshlrev_b32_e32 v4, 28, v15
	v_cmp_gt_i64_e32 vcc, 0, v[3:4]
	v_not_b32_e32 v4, v4
	v_ashrrev_i32_e32 v4, 31, v4
	v_and_b32_e32 v18, v18, v87
	;; [unrolled: 8-line block ×5, first 2 shown]
	v_xor_b32_e32 v87, vcc_hi, v4
	v_xor_b32_e32 v4, vcc_lo, v4
	v_and_b32_e32 v17, v17, v4
	v_lshlrev_b32_e32 v4, 24, v15
	v_cmp_gt_i64_e32 vcc, 0, v[3:4]
	v_not_b32_e32 v4, v4
	v_ashrrev_i32_e32 v4, 31, v4
	v_mul_u32_u24_e32 v88, 20, v15
	v_xor_b32_e32 v15, vcc_hi, v4
	v_xor_b32_e32 v4, vcc_lo, v4
	v_and_b32_e32 v18, v18, v87
	v_and_b32_e32 v17, v17, v4
	;; [unrolled: 1-line block ×3, first 2 shown]
	v_mbcnt_lo_u32_b32 v4, v17, 0
	v_mbcnt_hi_u32_b32 v87, v18, v4
	v_cmp_ne_u64_e32 vcc, 0, v[17:18]
	v_cmp_eq_u32_e64 s[36:37], 0, v87
	s_and_b64 s[38:39], vcc, s[36:37]
	v_add_u32_e32 v90, v75, v88
	; wave barrier
	s_and_saveexec_b64 s[36:37], s[38:39]
	s_cbranch_execz .LBB945_274
; %bb.273:                              ;   in Loop: Header=BB945_258 Depth=2
	v_bcnt_u32_b32 v4, v17, 0
	v_bcnt_u32_b32 v4, v18, v4
	s_waitcnt lgkmcnt(0)
	v_add_u32_e32 v4, v85, v4
	ds_write_b32 v90, v4 offset:1040
.LBB945_274:                            ;   in Loop: Header=BB945_258 Depth=2
	s_or_b64 exec, exec, s[36:37]
	v_xor_b32_sdwa v88, v16, s60 dst_sel:DWORD dst_unused:UNUSED_PAD src0_sel:WORD_1 src1_sel:DWORD
	v_lshrrev_b32_sdwa v4, s73, v88 dst_sel:DWORD dst_unused:UNUSED_PAD src0_sel:DWORD src1_sel:WORD_0
	v_and_b32_e32 v15, s63, v4
	v_mad_u32_u24 v4, v15, 20, v75
	; wave barrier
	ds_read_b32 v89, v4 offset:1040
	v_and_b32_e32 v4, 1, v15
	v_add_co_u32_e32 v16, vcc, -1, v4
	v_addc_co_u32_e64 v18, s[36:37], 0, -1, vcc
	v_cmp_ne_u32_e32 vcc, 0, v4
	v_xor_b32_e32 v4, vcc_hi, v18
	v_and_b32_e32 v18, exec_hi, v4
	v_lshlrev_b32_e32 v4, 30, v15
	v_xor_b32_e32 v16, vcc_lo, v16
	v_cmp_gt_i64_e32 vcc, 0, v[3:4]
	v_not_b32_e32 v4, v4
	v_ashrrev_i32_e32 v4, 31, v4
	v_and_b32_e32 v16, exec_lo, v16
	v_xor_b32_e32 v91, vcc_hi, v4
	v_xor_b32_e32 v4, vcc_lo, v4
	v_and_b32_e32 v16, v16, v4
	v_lshlrev_b32_e32 v4, 29, v15
	v_cmp_gt_i64_e32 vcc, 0, v[3:4]
	v_not_b32_e32 v4, v4
	v_ashrrev_i32_e32 v4, 31, v4
	v_and_b32_e32 v18, v18, v91
	v_xor_b32_e32 v91, vcc_hi, v4
	v_xor_b32_e32 v4, vcc_lo, v4
	v_and_b32_e32 v16, v16, v4
	v_lshlrev_b32_e32 v4, 28, v15
	v_cmp_gt_i64_e32 vcc, 0, v[3:4]
	v_not_b32_e32 v4, v4
	v_ashrrev_i32_e32 v4, 31, v4
	v_and_b32_e32 v18, v18, v91
	;; [unrolled: 8-line block ×5, first 2 shown]
	v_xor_b32_e32 v91, vcc_hi, v4
	v_xor_b32_e32 v4, vcc_lo, v4
	v_and_b32_e32 v18, v18, v91
	v_and_b32_e32 v91, v16, v4
	v_lshlrev_b32_e32 v4, 24, v15
	v_cmp_gt_i64_e32 vcc, 0, v[3:4]
	v_not_b32_e32 v4, v4
	v_ashrrev_i32_e32 v4, 31, v4
	v_mul_u32_u24_e32 v17, 20, v15
	v_xor_b32_e32 v15, vcc_hi, v4
	v_xor_b32_e32 v4, vcc_lo, v4
	v_and_b32_e32 v16, v18, v15
	v_and_b32_e32 v15, v91, v4
	v_mbcnt_lo_u32_b32 v4, v15, 0
	v_mbcnt_hi_u32_b32 v4, v16, v4
	v_cmp_ne_u64_e32 vcc, 0, v[15:16]
	v_cmp_eq_u32_e64 s[36:37], 0, v4
	s_and_b64 s[38:39], vcc, s[36:37]
	v_add_u32_e32 v91, v75, v17
	; wave barrier
	s_and_saveexec_b64 s[36:37], s[38:39]
	s_cbranch_execz .LBB945_276
; %bb.275:                              ;   in Loop: Header=BB945_258 Depth=2
	v_bcnt_u32_b32 v15, v15, 0
	v_bcnt_u32_b32 v15, v16, v15
	s_waitcnt lgkmcnt(0)
	v_add_u32_e32 v15, v89, v15
	ds_write_b32 v91, v15 offset:1040
.LBB945_276:                            ;   in Loop: Header=BB945_258 Depth=2
	s_or_b64 exec, exec, s[36:37]
	; wave barrier
	s_waitcnt lgkmcnt(0)
	s_barrier
	ds_read2_b32 v[17:18], v56 offset1:1
	ds_read2_b32 v[15:16], v57 offset1:1
	ds_read_b32 v92, v30 offset:1056
	s_waitcnt lgkmcnt(1)
	v_add3_u32 v93, v18, v17, v15
	s_waitcnt lgkmcnt(0)
	v_add3_u32 v92, v93, v16, v92
	s_nop 1
	v_mov_b32_dpp v93, v92 row_shr:1 row_mask:0xf bank_mask:0xf
	v_cndmask_b32_e64 v93, v93, 0, s[16:17]
	v_add_u32_e32 v92, v93, v92
	s_nop 1
	v_mov_b32_dpp v93, v92 row_shr:2 row_mask:0xf bank_mask:0xf
	v_cndmask_b32_e64 v93, 0, v93, s[18:19]
	v_add_u32_e32 v92, v92, v93
	;; [unrolled: 4-line block ×4, first 2 shown]
	s_nop 1
	v_mov_b32_dpp v93, v92 row_bcast:15 row_mask:0xf bank_mask:0xf
	v_cndmask_b32_e64 v93, v93, 0, s[24:25]
	v_add_u32_e32 v92, v92, v93
	s_nop 1
	v_mov_b32_dpp v93, v92 row_bcast:31 row_mask:0xf bank_mask:0xf
	v_cndmask_b32_e64 v93, 0, v93, s[26:27]
	v_add_u32_e32 v92, v92, v93
	s_and_saveexec_b64 s[36:37], s[6:7]
; %bb.277:                              ;   in Loop: Header=BB945_258 Depth=2
	ds_write_b32 v27, v92 offset:1024
; %bb.278:                              ;   in Loop: Header=BB945_258 Depth=2
	s_or_b64 exec, exec, s[36:37]
	s_waitcnt lgkmcnt(0)
	s_barrier
	s_and_saveexec_b64 s[36:37], s[8:9]
	s_cbranch_execz .LBB945_280
; %bb.279:                              ;   in Loop: Header=BB945_258 Depth=2
	ds_read_b32 v93, v31 offset:1024
	s_waitcnt lgkmcnt(0)
	s_nop 0
	v_mov_b32_dpp v94, v93 row_shr:1 row_mask:0xf bank_mask:0xf
	v_cndmask_b32_e64 v94, v94, 0, s[30:31]
	v_add_u32_e32 v93, v94, v93
	s_nop 1
	v_mov_b32_dpp v94, v93 row_shr:2 row_mask:0xf bank_mask:0xf
	v_cndmask_b32_e64 v94, 0, v94, s[34:35]
	v_add_u32_e32 v93, v93, v94
	ds_write_b32 v31, v93 offset:1024
.LBB945_280:                            ;   in Loop: Header=BB945_258 Depth=2
	s_or_b64 exec, exec, s[36:37]
	v_mov_b32_e32 v93, 0
	s_waitcnt lgkmcnt(0)
	s_barrier
	s_and_saveexec_b64 s[36:37], s[10:11]
; %bb.281:                              ;   in Loop: Header=BB945_258 Depth=2
	ds_read_b32 v93, v27 offset:1020
; %bb.282:                              ;   in Loop: Header=BB945_258 Depth=2
	s_or_b64 exec, exec, s[36:37]
	s_waitcnt lgkmcnt(0)
	v_add_u32_e32 v92, v93, v92
	ds_bpermute_b32 v92, v68, v92
	s_waitcnt lgkmcnt(0)
	v_cndmask_b32_e64 v92, v92, v93, s[28:29]
	v_cndmask_b32_e64 v92, v92, 0, s[12:13]
	v_add_u32_e32 v17, v92, v17
	v_add_u32_e32 v18, v17, v18
	;; [unrolled: 1-line block ×4, first 2 shown]
	ds_write2_b32 v56, v92, v17 offset1:1
	ds_write2_b32 v57, v18, v15 offset1:1
	ds_write_b32 v30, v16 offset:1056
	s_waitcnt lgkmcnt(0)
	s_barrier
	ds_read_b32 v15, v82 offset:1040
	ds_read_b32 v16, v86 offset:1040
	;; [unrolled: 1-line block ×5, first 2 shown]
	v_mov_b32_e32 v82, 0x400
	s_and_saveexec_b64 s[36:37], s[14:15]
; %bb.283:                              ;   in Loop: Header=BB945_258 Depth=2
	ds_read_b32 v82, v30 offset:1060
; %bb.284:                              ;   in Loop: Header=BB945_258 Depth=2
	s_or_b64 exec, exec, s[36:37]
	s_waitcnt lgkmcnt(0)
	s_barrier
	s_and_saveexec_b64 s[36:37], s[4:5]
	s_cbranch_execz .LBB945_286
; %bb.285:                              ;   in Loop: Header=BB945_258 Depth=2
	ds_read_b32 v90, v19
	s_waitcnt lgkmcnt(0)
	v_sub_u32_e32 v86, v90, v86
	ds_write_b32 v19, v86
.LBB945_286:                            ;   in Loop: Header=BB945_258 Depth=2
	s_or_b64 exec, exec, s[36:37]
	v_add_u32_e32 v86, v15, v79
	v_add3_u32 v83, v83, v81, v16
	v_add3_u32 v81, v87, v85, v17
	;; [unrolled: 1-line block ×3, first 2 shown]
	v_lshlrev_b32_e32 v16, 1, v86
	ds_write_b16 v16, v6 offset:1024
	v_lshlrev_b32_e32 v15, 1, v83
	v_lshlrev_b32_e32 v6, 1, v81
	v_lshlrev_b32_e32 v4, 1, v79
	v_cmp_lt_u32_e32 vcc, v0, v78
	ds_write_b16 v15, v80 offset:1024
	ds_write_b16 v6, v84 offset:1024
	ds_write_b16 v4, v88 offset:1024
	s_waitcnt lgkmcnt(0)
	s_barrier
	s_and_saveexec_b64 s[38:39], vcc
	s_cbranch_execnz .LBB945_307
; %bb.287:                              ;   in Loop: Header=BB945_258 Depth=2
	s_or_b64 exec, exec, s[38:39]
	v_cmp_lt_u32_e64 s[36:37], v20, v78
	s_and_saveexec_b64 s[40:41], s[36:37]
	s_cbranch_execnz .LBB945_308
.LBB945_288:                            ;   in Loop: Header=BB945_258 Depth=2
	s_or_b64 exec, exec, s[40:41]
	v_cmp_lt_u32_e64 s[38:39], v21, v78
	s_and_saveexec_b64 s[42:43], s[38:39]
	s_cbranch_execnz .LBB945_309
.LBB945_289:                            ;   in Loop: Header=BB945_258 Depth=2
	s_or_b64 exec, exec, s[42:43]
	v_cmp_lt_u32_e64 s[40:41], v22, v78
	s_and_saveexec_b64 s[56:57], s[40:41]
	s_cbranch_execz .LBB945_291
.LBB945_290:                            ;   in Loop: Header=BB945_258 Depth=2
	ds_read_u16 v17, v36 offset:2560
	v_mov_b32_e32 v84, s67
	s_waitcnt lgkmcnt(0)
	v_lshrrev_b32_sdwa v18, s73, v17 dst_sel:DWORD dst_unused:UNUSED_PAD src0_sel:DWORD src1_sel:WORD_0
	v_and_b32_e32 v18, s63, v18
	v_lshlrev_b32_e32 v18, 2, v18
	ds_read_b32 v80, v18
	v_mov_b32_e32 v18, v3
	v_xor_b32_e32 v85, 0x7fff, v17
	s_waitcnt lgkmcnt(0)
	v_add_u32_e32 v17, v80, v22
	v_lshlrev_b64 v[17:18], 1, v[17:18]
	v_add_co_u32_e64 v17, s[42:43], s66, v17
	v_addc_co_u32_e64 v18, s[42:43], v84, v18, s[42:43]
	global_store_short v[17:18], v85, off
.LBB945_291:                            ;   in Loop: Header=BB945_258 Depth=2
	s_or_b64 exec, exec, s[56:57]
	s_lshl_b64 s[42:43], s[46:47], 3
	v_mov_b32_e32 v18, s43
	v_add_co_u32_e64 v17, s[42:43], s42, v69
	v_addc_co_u32_e64 v18, s[42:43], v70, v18, s[42:43]
	v_cmp_lt_u32_e64 s[42:43], v51, v78
	s_and_saveexec_b64 s[56:57], s[42:43]
	s_xor_b64 s[42:43], exec, s[56:57]
	s_cbranch_execnz .LBB945_310
; %bb.292:                              ;   in Loop: Header=BB945_258 Depth=2
	s_or_b64 exec, exec, s[42:43]
	v_cmp_lt_u32_e64 s[42:43], v64, v78
	s_and_saveexec_b64 s[56:57], s[42:43]
	s_cbranch_execnz .LBB945_311
.LBB945_293:                            ;   in Loop: Header=BB945_258 Depth=2
	s_or_b64 exec, exec, s[56:57]
	v_cmp_lt_u32_e64 s[42:43], v65, v78
	s_and_saveexec_b64 s[56:57], s[42:43]
	s_cbranch_execnz .LBB945_312
.LBB945_294:                            ;   in Loop: Header=BB945_258 Depth=2
	s_or_b64 exec, exec, s[56:57]
	v_cmp_lt_u32_e64 s[42:43], v66, v78
	s_and_saveexec_b64 s[56:57], s[42:43]
	s_cbranch_execnz .LBB945_313
.LBB945_295:                            ;   in Loop: Header=BB945_258 Depth=2
	s_or_b64 exec, exec, s[56:57]
	s_and_saveexec_b64 s[42:43], vcc
	s_cbranch_execnz .LBB945_314
.LBB945_296:                            ;   in Loop: Header=BB945_258 Depth=2
	s_or_b64 exec, exec, s[42:43]
	s_and_saveexec_b64 s[42:43], s[36:37]
	s_cbranch_execnz .LBB945_315
.LBB945_297:                            ;   in Loop: Header=BB945_258 Depth=2
	s_or_b64 exec, exec, s[42:43]
	s_and_saveexec_b64 s[42:43], s[38:39]
	s_cbranch_execnz .LBB945_316
.LBB945_298:                            ;   in Loop: Header=BB945_258 Depth=2
	s_or_b64 exec, exec, s[42:43]
	s_and_saveexec_b64 s[42:43], s[40:41]
	s_cbranch_execz .LBB945_300
.LBB945_299:                            ;   in Loop: Header=BB945_258 Depth=2
	ds_read_u16 v17, v36 offset:2560
	s_waitcnt lgkmcnt(0)
	v_lshrrev_b32_e32 v17, s73, v17
	v_and_b32_e32 v73, s63, v17
.LBB945_300:                            ;   in Loop: Header=BB945_258 Depth=2
	s_or_b64 exec, exec, s[42:43]
	v_mad_u64_u32 v[16:17], s[42:43], v86, 6, v[16:17]
	s_waitcnt vmcnt(0)
	v_mad_u64_u32 v[80:81], s[42:43], v81, 6, v[6:7]
	v_mad_u64_u32 v[17:18], s[42:43], v83, 6, v[15:16]
	;; [unrolled: 1-line block ×3, first 2 shown]
	s_barrier
	ds_write_b64 v16, v[13:14] offset:1024
	ds_write_b64 v17, v[11:12] offset:1024
	;; [unrolled: 1-line block ×4, first 2 shown]
	s_waitcnt lgkmcnt(0)
	s_barrier
	s_and_saveexec_b64 s[42:43], vcc
	s_cbranch_execnz .LBB945_317
; %bb.301:                              ;   in Loop: Header=BB945_258 Depth=2
	s_or_b64 exec, exec, s[42:43]
	s_and_saveexec_b64 s[42:43], s[36:37]
	s_cbranch_execnz .LBB945_318
.LBB945_302:                            ;   in Loop: Header=BB945_258 Depth=2
	s_or_b64 exec, exec, s[42:43]
	s_and_saveexec_b64 s[36:37], s[38:39]
	s_cbranch_execnz .LBB945_319
.LBB945_303:                            ;   in Loop: Header=BB945_258 Depth=2
	s_or_b64 exec, exec, s[36:37]
	s_and_saveexec_b64 s[36:37], s[40:41]
	s_cbranch_execz .LBB945_305
.LBB945_304:                            ;   in Loop: Header=BB945_258 Depth=2
	v_lshlrev_b32_e32 v4, 2, v73
	ds_read_b32 v4, v4
	v_add_u32_e32 v6, v36, v54
	ds_read_b64 v[15:16], v6 offset:7168
	v_mov_b32_e32 v18, v3
	v_mov_b32_e32 v6, s53
	s_waitcnt lgkmcnt(1)
	v_add_u32_e32 v17, v4, v22
	v_lshlrev_b64 v[17:18], 3, v[17:18]
	v_add_co_u32_e32 v17, vcc, s52, v17
	v_addc_co_u32_e32 v18, vcc, v6, v18, vcc
	s_waitcnt lgkmcnt(0)
	global_store_dwordx2 v[17:18], v[15:16], off
.LBB945_305:                            ;   in Loop: Header=BB945_258 Depth=2
	s_or_b64 exec, exec, s[36:37]
	s_waitcnt vmcnt(0)
	s_barrier
	s_and_saveexec_b64 s[36:37], s[4:5]
	s_cbranch_execz .LBB945_257
; %bb.306:                              ;   in Loop: Header=BB945_258 Depth=2
	ds_read_b32 v4, v19
	s_waitcnt lgkmcnt(0)
	v_add_u32_e32 v4, v4, v82
	ds_write_b32 v19, v4
	s_branch .LBB945_257
.LBB945_307:                            ;   in Loop: Header=BB945_258 Depth=2
	ds_read_u16 v17, v36 offset:1024
	v_mov_b32_e32 v84, s67
	s_waitcnt lgkmcnt(0)
	v_lshrrev_b32_sdwa v18, s73, v17 dst_sel:DWORD dst_unused:UNUSED_PAD src0_sel:DWORD src1_sel:WORD_0
	v_and_b32_e32 v18, s63, v18
	v_lshlrev_b32_e32 v18, 2, v18
	ds_read_b32 v80, v18
	v_mov_b32_e32 v18, v3
	v_xor_b32_e32 v85, 0x7fff, v17
	s_waitcnt lgkmcnt(0)
	v_add_u32_e32 v17, v80, v0
	v_lshlrev_b64 v[17:18], 1, v[17:18]
	v_add_co_u32_e64 v17, s[36:37], s66, v17
	v_addc_co_u32_e64 v18, s[36:37], v84, v18, s[36:37]
	global_store_short v[17:18], v85, off
	s_or_b64 exec, exec, s[38:39]
	v_cmp_lt_u32_e64 s[36:37], v20, v78
	s_and_saveexec_b64 s[40:41], s[36:37]
	s_cbranch_execz .LBB945_288
.LBB945_308:                            ;   in Loop: Header=BB945_258 Depth=2
	ds_read_u16 v17, v36 offset:1536
	v_mov_b32_e32 v84, s67
	s_waitcnt lgkmcnt(0)
	v_lshrrev_b32_sdwa v18, s73, v17 dst_sel:DWORD dst_unused:UNUSED_PAD src0_sel:DWORD src1_sel:WORD_0
	v_and_b32_e32 v18, s63, v18
	v_lshlrev_b32_e32 v18, 2, v18
	ds_read_b32 v80, v18
	v_mov_b32_e32 v18, v3
	v_xor_b32_e32 v85, 0x7fff, v17
	s_waitcnt lgkmcnt(0)
	v_add_u32_e32 v17, v80, v20
	v_lshlrev_b64 v[17:18], 1, v[17:18]
	v_add_co_u32_e64 v17, s[38:39], s66, v17
	v_addc_co_u32_e64 v18, s[38:39], v84, v18, s[38:39]
	global_store_short v[17:18], v85, off
	s_or_b64 exec, exec, s[40:41]
	v_cmp_lt_u32_e64 s[38:39], v21, v78
	s_and_saveexec_b64 s[42:43], s[38:39]
	s_cbranch_execz .LBB945_289
.LBB945_309:                            ;   in Loop: Header=BB945_258 Depth=2
	ds_read_u16 v17, v36 offset:2048
	v_mov_b32_e32 v84, s67
	s_waitcnt lgkmcnt(0)
	v_lshrrev_b32_sdwa v18, s73, v17 dst_sel:DWORD dst_unused:UNUSED_PAD src0_sel:DWORD src1_sel:WORD_0
	v_and_b32_e32 v18, s63, v18
	v_lshlrev_b32_e32 v18, 2, v18
	ds_read_b32 v80, v18
	v_mov_b32_e32 v18, v3
	v_xor_b32_e32 v85, 0x7fff, v17
	s_waitcnt lgkmcnt(0)
	v_add_u32_e32 v17, v80, v21
	v_lshlrev_b64 v[17:18], 1, v[17:18]
	v_add_co_u32_e64 v17, s[40:41], s66, v17
	v_addc_co_u32_e64 v18, s[40:41], v84, v18, s[40:41]
	global_store_short v[17:18], v85, off
	s_or_b64 exec, exec, s[42:43]
	v_cmp_lt_u32_e64 s[40:41], v22, v78
	s_and_saveexec_b64 s[56:57], s[40:41]
	s_cbranch_execnz .LBB945_290
	s_branch .LBB945_291
.LBB945_310:                            ;   in Loop: Header=BB945_258 Depth=2
	global_load_dwordx2 v[13:14], v[17:18], off
	s_or_b64 exec, exec, s[42:43]
	v_cmp_lt_u32_e64 s[42:43], v64, v78
	s_and_saveexec_b64 s[56:57], s[42:43]
	s_cbranch_execz .LBB945_293
.LBB945_311:                            ;   in Loop: Header=BB945_258 Depth=2
	global_load_dwordx2 v[11:12], v[17:18], off offset:512
	s_or_b64 exec, exec, s[56:57]
	v_cmp_lt_u32_e64 s[42:43], v65, v78
	s_and_saveexec_b64 s[56:57], s[42:43]
	s_cbranch_execz .LBB945_294
.LBB945_312:                            ;   in Loop: Header=BB945_258 Depth=2
	global_load_dwordx2 v[9:10], v[17:18], off offset:1024
	s_or_b64 exec, exec, s[56:57]
	v_cmp_lt_u32_e64 s[42:43], v66, v78
	s_and_saveexec_b64 s[56:57], s[42:43]
	s_cbranch_execz .LBB945_295
.LBB945_313:                            ;   in Loop: Header=BB945_258 Depth=2
	global_load_dwordx2 v[7:8], v[17:18], off offset:1536
	s_or_b64 exec, exec, s[56:57]
	s_and_saveexec_b64 s[42:43], vcc
	s_cbranch_execz .LBB945_296
.LBB945_314:                            ;   in Loop: Header=BB945_258 Depth=2
	ds_read_u16 v17, v36 offset:1024
	s_waitcnt lgkmcnt(0)
	v_lshrrev_b32_e32 v17, s73, v17
	v_and_b32_e32 v77, s63, v17
	s_or_b64 exec, exec, s[42:43]
	s_and_saveexec_b64 s[42:43], s[36:37]
	s_cbranch_execz .LBB945_297
.LBB945_315:                            ;   in Loop: Header=BB945_258 Depth=2
	ds_read_u16 v17, v36 offset:1536
	s_waitcnt lgkmcnt(0)
	v_lshrrev_b32_e32 v17, s73, v17
	v_and_b32_e32 v76, s63, v17
	s_or_b64 exec, exec, s[42:43]
	s_and_saveexec_b64 s[42:43], s[38:39]
	s_cbranch_execz .LBB945_298
.LBB945_316:                            ;   in Loop: Header=BB945_258 Depth=2
	ds_read_u16 v17, v36 offset:2048
	s_waitcnt lgkmcnt(0)
	v_lshrrev_b32_e32 v17, s73, v17
	v_and_b32_e32 v74, s63, v17
	s_or_b64 exec, exec, s[42:43]
	s_and_saveexec_b64 s[42:43], s[40:41]
	s_cbranch_execnz .LBB945_299
	s_branch .LBB945_300
.LBB945_317:                            ;   in Loop: Header=BB945_258 Depth=2
	v_lshlrev_b32_e32 v4, 2, v77
	ds_read_b32 v4, v4
	v_add_u32_e32 v6, v36, v54
	ds_read_b64 v[15:16], v6 offset:1024
	v_mov_b32_e32 v18, v3
	v_mov_b32_e32 v6, s53
	s_waitcnt lgkmcnt(1)
	v_add_u32_e32 v17, v4, v0
	v_lshlrev_b64 v[17:18], 3, v[17:18]
	v_add_co_u32_e32 v17, vcc, s52, v17
	v_addc_co_u32_e32 v18, vcc, v6, v18, vcc
	s_waitcnt lgkmcnt(0)
	global_store_dwordx2 v[17:18], v[15:16], off
	s_or_b64 exec, exec, s[42:43]
	s_and_saveexec_b64 s[42:43], s[36:37]
	s_cbranch_execz .LBB945_302
.LBB945_318:                            ;   in Loop: Header=BB945_258 Depth=2
	v_lshlrev_b32_e32 v4, 2, v76
	ds_read_b32 v4, v4
	v_add_u32_e32 v6, v36, v54
	ds_read_b64 v[15:16], v6 offset:3072
	v_mov_b32_e32 v18, v3
	v_mov_b32_e32 v6, s53
	s_waitcnt lgkmcnt(1)
	v_add_u32_e32 v17, v4, v20
	v_lshlrev_b64 v[17:18], 3, v[17:18]
	v_add_co_u32_e32 v17, vcc, s52, v17
	v_addc_co_u32_e32 v18, vcc, v6, v18, vcc
	s_waitcnt lgkmcnt(0)
	global_store_dwordx2 v[17:18], v[15:16], off
	s_or_b64 exec, exec, s[42:43]
	s_and_saveexec_b64 s[36:37], s[38:39]
	s_cbranch_execz .LBB945_303
.LBB945_319:                            ;   in Loop: Header=BB945_258 Depth=2
	v_lshlrev_b32_e32 v4, 2, v74
	ds_read_b32 v4, v4
	v_add_u32_e32 v6, v36, v54
	ds_read_b64 v[15:16], v6 offset:5120
	v_mov_b32_e32 v18, v3
	v_mov_b32_e32 v6, s53
	s_waitcnt lgkmcnt(1)
	v_add_u32_e32 v17, v4, v21
	v_lshlrev_b64 v[17:18], 3, v[17:18]
	v_add_co_u32_e32 v17, vcc, s52, v17
	v_addc_co_u32_e32 v18, vcc, v6, v18, vcc
	s_waitcnt lgkmcnt(0)
	global_store_dwordx2 v[17:18], v[15:16], off
	s_or_b64 exec, exec, s[36:37]
	s_and_saveexec_b64 s[36:37], s[40:41]
	s_cbranch_execnz .LBB945_304
	s_branch .LBB945_305
.LBB945_320:                            ;   in Loop: Header=BB945_258 Depth=2
	global_load_ushort v4, v[17:18], off
	v_mov_b32_e32 v16, v5
	s_waitcnt vmcnt(0)
	v_perm_b32 v15, s61, v4, v67
	s_or_b64 exec, exec, s[36:37]
	v_cmp_gt_u32_e32 vcc, s70, v64
	s_and_saveexec_b64 s[36:37], vcc
	s_cbranch_execz .LBB945_263
.LBB945_321:                            ;   in Loop: Header=BB945_258 Depth=2
	global_load_ushort v4, v[17:18], off offset:128
	s_waitcnt vmcnt(0)
	v_perm_b32 v15, v4, v15, s58
	s_or_b64 exec, exec, s[36:37]
	v_cmp_gt_u32_e32 vcc, s70, v65
	s_and_saveexec_b64 s[36:37], vcc
	s_cbranch_execnz .LBB945_264
	s_branch .LBB945_265
.LBB945_322:                            ;   in Loop: Header=BB945_20 Depth=1
	s_waitcnt lgkmcnt(0)
	s_barrier
	s_mov_b64 s[16:17], 0
.LBB945_323:                            ;   in Loop: Header=BB945_20 Depth=1
	s_and_b64 vcc, exec, s[16:17]
	s_cbranch_vccz .LBB945_19
; %bb.324:                              ;   in Loop: Header=BB945_20 Depth=1
	v_mov_b32_e32 v4, v3
	v_mov_b32_e32 v7, v4
	s_mov_b32 s20, s75
	s_mov_b32 s46, s49
	v_mov_b32_e32 v6, v3
	s_barrier
	s_branch .LBB945_326
.LBB945_325:                            ;   in Loop: Header=BB945_326 Depth=2
	s_or_b64 exec, exec, s[16:17]
	s_addk_i32 s20, 0xfc00
	s_cmp_ge_u32 s21, s76
	s_mov_b32 s46, s21
	s_cbranch_scc1 .LBB945_346
.LBB945_326:                            ;   Parent Loop BB945_20 Depth=1
                                        ; =>  This Inner Loop Header: Depth=2
	s_add_i32 s21, s46, 0x400
	s_cmp_gt_u32 s21, s76
	s_mov_b64 s[16:17], -1
                                        ; implicit-def: $vgpr8_vgpr9
	s_cbranch_scc1 .LBB945_328
; %bb.327:                              ;   in Loop: Header=BB945_326 Depth=2
	s_lshl_b64 s[16:17], s[46:47], 1
	v_mov_b32_e32 v4, s17
	v_add_co_u32_e32 v8, vcc, s16, v43
	v_addc_co_u32_e32 v9, vcc, v44, v4, vcc
	global_load_ushort v4, v[8:9], off
	global_load_ushort v10, v[8:9], off offset:1024
	global_load_ushort v11, v[8:9], off offset:1536
	;; [unrolled: 1-line block ×3, first 2 shown]
	s_mov_b64 s[16:17], 0
	s_waitcnt vmcnt(1)
	v_perm_b32 v9, v11, v10, s58
	s_waitcnt vmcnt(0)
	v_perm_b32 v8, v12, v4, s58
.LBB945_328:                            ;   in Loop: Header=BB945_326 Depth=2
	s_andn2_b64 vcc, exec, s[16:17]
	s_movk_i32 s18, 0x400
	s_cbranch_vccnz .LBB945_335
; %bb.329:                              ;   in Loop: Header=BB945_326 Depth=2
	s_lshl_b64 s[16:17], s[46:47], 1
	s_add_u32 s16, s64, s16
	s_addc_u32 s17, s65, s17
	v_cmp_gt_u32_e32 vcc, s20, v0
	s_and_saveexec_b64 s[18:19], vcc
	s_cbranch_execnz .LBB945_343
; %bb.330:                              ;   in Loop: Header=BB945_326 Depth=2
	s_or_b64 exec, exec, s[18:19]
	v_cmp_gt_u32_e32 vcc, s20, v20
	s_and_saveexec_b64 s[18:19], vcc
	s_cbranch_execnz .LBB945_344
.LBB945_331:                            ;   in Loop: Header=BB945_326 Depth=2
	s_or_b64 exec, exec, s[18:19]
	v_cmp_gt_u32_e32 vcc, s20, v21
	s_and_saveexec_b64 s[18:19], vcc
	s_cbranch_execnz .LBB945_345
.LBB945_332:                            ;   in Loop: Header=BB945_326 Depth=2
	s_or_b64 exec, exec, s[18:19]
	v_cmp_gt_u32_e32 vcc, s20, v22
	s_and_saveexec_b64 s[18:19], vcc
	s_cbranch_execz .LBB945_334
.LBB945_333:                            ;   in Loop: Header=BB945_326 Depth=2
	global_load_ushort v4, v58, s[16:17] offset:1536
	s_waitcnt vmcnt(0)
	v_perm_b32 v7, v4, v7, s58
.LBB945_334:                            ;   in Loop: Header=BB945_326 Depth=2
	s_or_b64 exec, exec, s[18:19]
	v_mov_b32_e32 v9, v7
	s_mov_b32 s18, s20
	v_mov_b32_e32 v8, v6
.LBB945_335:                            ;   in Loop: Header=BB945_326 Depth=2
	v_mov_b32_e32 v6, v8
	v_mov_b32_e32 v7, v9
	v_cmp_gt_u32_e32 vcc, s18, v0
	s_and_saveexec_b64 s[16:17], vcc
	s_cbranch_execnz .LBB945_339
; %bb.336:                              ;   in Loop: Header=BB945_326 Depth=2
	s_or_b64 exec, exec, s[16:17]
	v_cmp_gt_u32_e32 vcc, s18, v20
	s_and_saveexec_b64 s[16:17], vcc
	s_cbranch_execnz .LBB945_340
.LBB945_337:                            ;   in Loop: Header=BB945_326 Depth=2
	s_or_b64 exec, exec, s[16:17]
	v_cmp_gt_u32_e32 vcc, s18, v21
	s_and_saveexec_b64 s[16:17], vcc
	s_cbranch_execnz .LBB945_341
.LBB945_338:                            ;   in Loop: Header=BB945_326 Depth=2
	s_or_b64 exec, exec, s[16:17]
	v_cmp_gt_u32_e32 vcc, s18, v22
	s_and_saveexec_b64 s[16:17], vcc
	s_cbranch_execz .LBB945_325
	s_branch .LBB945_342
.LBB945_339:                            ;   in Loop: Header=BB945_326 Depth=2
	v_xor_b32_e32 v4, 0x7fff, v6
	v_lshrrev_b32_sdwa v4, s73, v4 dst_sel:DWORD dst_unused:UNUSED_PAD src0_sel:DWORD src1_sel:WORD_0
	v_and_b32_e32 v4, s63, v4
	v_lshl_or_b32 v4, v4, 4, v25
	ds_add_u32 v4, v55
	s_or_b64 exec, exec, s[16:17]
	v_cmp_gt_u32_e32 vcc, s18, v20
	s_and_saveexec_b64 s[16:17], vcc
	s_cbranch_execz .LBB945_337
.LBB945_340:                            ;   in Loop: Header=BB945_326 Depth=2
	v_xor_b32_sdwa v4, v6, s60 dst_sel:DWORD dst_unused:UNUSED_PAD src0_sel:WORD_1 src1_sel:DWORD
	v_lshrrev_b32_sdwa v4, s73, v4 dst_sel:DWORD dst_unused:UNUSED_PAD src0_sel:DWORD src1_sel:WORD_0
	v_and_b32_e32 v4, s63, v4
	v_lshl_or_b32 v4, v4, 4, v25
	ds_add_u32 v4, v55
	s_or_b64 exec, exec, s[16:17]
	v_cmp_gt_u32_e32 vcc, s18, v21
	s_and_saveexec_b64 s[16:17], vcc
	s_cbranch_execz .LBB945_338
.LBB945_341:                            ;   in Loop: Header=BB945_326 Depth=2
	v_xor_b32_e32 v4, 0x7fff, v7
	v_lshrrev_b32_sdwa v4, s73, v4 dst_sel:DWORD dst_unused:UNUSED_PAD src0_sel:DWORD src1_sel:WORD_0
	v_and_b32_e32 v4, s63, v4
	v_lshl_or_b32 v4, v4, 4, v25
	ds_add_u32 v4, v55
	s_or_b64 exec, exec, s[16:17]
	v_cmp_gt_u32_e32 vcc, s18, v22
	s_and_saveexec_b64 s[16:17], vcc
	s_cbranch_execz .LBB945_325
.LBB945_342:                            ;   in Loop: Header=BB945_326 Depth=2
	v_xor_b32_sdwa v4, v7, s60 dst_sel:DWORD dst_unused:UNUSED_PAD src0_sel:WORD_1 src1_sel:DWORD
	v_lshrrev_b32_sdwa v4, s73, v4 dst_sel:DWORD dst_unused:UNUSED_PAD src0_sel:DWORD src1_sel:WORD_0
	v_and_b32_e32 v4, s63, v4
	v_lshl_or_b32 v4, v4, 4, v25
	ds_add_u32 v4, v55
	s_branch .LBB945_325
.LBB945_343:                            ;   in Loop: Header=BB945_326 Depth=2
	global_load_ushort v4, v58, s[16:17]
	s_waitcnt vmcnt(0)
	v_bfi_b32 v6, s59, v4, v6
	s_or_b64 exec, exec, s[18:19]
	v_cmp_gt_u32_e32 vcc, s20, v20
	s_and_saveexec_b64 s[18:19], vcc
	s_cbranch_execz .LBB945_331
.LBB945_344:                            ;   in Loop: Header=BB945_326 Depth=2
	global_load_ushort v4, v58, s[16:17] offset:512
	s_waitcnt vmcnt(0)
	v_perm_b32 v6, v4, v6, s58
	s_or_b64 exec, exec, s[18:19]
	v_cmp_gt_u32_e32 vcc, s20, v21
	s_and_saveexec_b64 s[18:19], vcc
	s_cbranch_execz .LBB945_332
.LBB945_345:                            ;   in Loop: Header=BB945_326 Depth=2
	global_load_ushort v4, v58, s[16:17] offset:1024
	s_waitcnt vmcnt(0)
	v_bfi_b32 v7, s59, v4, v7
	s_or_b64 exec, exec, s[18:19]
	v_cmp_gt_u32_e32 vcc, s20, v22
	s_and_saveexec_b64 s[18:19], vcc
	s_cbranch_execnz .LBB945_333
	s_branch .LBB945_334
.LBB945_346:                            ;   in Loop: Header=BB945_20 Depth=1
	v_mov_b32_e32 v4, 0
	s_waitcnt lgkmcnt(0)
	s_barrier
	s_and_saveexec_b64 s[16:17], s[4:5]
	s_cbranch_execz .LBB945_348
; %bb.347:                              ;   in Loop: Header=BB945_20 Depth=1
	ds_read2_b64 v[6:9], v26 offset1:1
	s_waitcnt lgkmcnt(0)
	v_add_u32_e32 v4, v7, v6
	v_add3_u32 v4, v4, v8, v9
.LBB945_348:                            ;   in Loop: Header=BB945_20 Depth=1
	s_or_b64 exec, exec, s[16:17]
	s_nop 0
	v_mov_b32_dpp v6, v4 row_shr:1 row_mask:0xf bank_mask:0xf
	v_cmp_eq_u32_e64 s[16:17], 0, v59
	v_cndmask_b32_e64 v6, v6, 0, s[16:17]
	v_add_u32_e32 v4, v6, v4
	v_cmp_lt_u32_e64 s[18:19], 1, v59
	v_cmp_lt_u32_e64 s[20:21], 3, v59
	v_mov_b32_dpp v6, v4 row_shr:2 row_mask:0xf bank_mask:0xf
	v_cndmask_b32_e64 v6, 0, v6, s[18:19]
	v_add_u32_e32 v4, v4, v6
	v_cmp_lt_u32_e64 s[22:23], 7, v59
	v_cmp_lt_u32_e64 s[26:27], 31, v49
	v_mov_b32_dpp v6, v4 row_shr:4 row_mask:0xf bank_mask:0xf
	v_cndmask_b32_e64 v6, 0, v6, s[20:21]
	v_add_u32_e32 v4, v4, v6
	v_cmp_eq_u32_e64 s[24:25], 0, v61
	s_nop 0
	v_mov_b32_dpp v6, v4 row_shr:8 row_mask:0xf bank_mask:0xf
	v_cndmask_b32_e64 v6, 0, v6, s[22:23]
	v_add_u32_e32 v4, v4, v6
	s_nop 1
	v_mov_b32_dpp v6, v4 row_bcast:15 row_mask:0xf bank_mask:0xf
	v_and_b32_e32 v6, v60, v6
	v_add_u32_e32 v4, v4, v6
	s_nop 1
	v_mov_b32_dpp v6, v4 row_bcast:31 row_mask:0xf bank_mask:0xf
	v_cndmask_b32_e64 v6, 0, v6, s[26:27]
	v_add_u32_e32 v4, v4, v6
	s_and_saveexec_b64 s[28:29], s[6:7]
; %bb.349:                              ;   in Loop: Header=BB945_20 Depth=1
	ds_write_b32 v28, v4
; %bb.350:                              ;   in Loop: Header=BB945_20 Depth=1
	s_or_b64 exec, exec, s[28:29]
	s_waitcnt lgkmcnt(0)
	s_barrier
	s_and_saveexec_b64 s[28:29], s[8:9]
	s_cbranch_execz .LBB945_352
; %bb.351:                              ;   in Loop: Header=BB945_20 Depth=1
	ds_read_b32 v6, v29
	v_cmp_ne_u32_e32 vcc, 0, v62
	s_waitcnt lgkmcnt(0)
	v_mov_b32_dpp v7, v6 row_shr:1 row_mask:0xf bank_mask:0xf
	v_cndmask_b32_e32 v7, 0, v7, vcc
	v_add_u32_e32 v6, v7, v6
	v_cmp_lt_u32_e32 vcc, 1, v62
	s_nop 0
	v_mov_b32_dpp v7, v6 row_shr:2 row_mask:0xf bank_mask:0xf
	v_cndmask_b32_e32 v7, 0, v7, vcc
	v_add_u32_e32 v6, v6, v7
	ds_write_b32 v29, v6
.LBB945_352:                            ;   in Loop: Header=BB945_20 Depth=1
	s_or_b64 exec, exec, s[28:29]
	v_mov_b32_e32 v6, 0
	s_waitcnt lgkmcnt(0)
	s_barrier
	s_and_saveexec_b64 s[28:29], s[10:11]
; %bb.353:                              ;   in Loop: Header=BB945_20 Depth=1
	ds_read_b32 v6, v53
; %bb.354:                              ;   in Loop: Header=BB945_20 Depth=1
	s_or_b64 exec, exec, s[28:29]
	v_subrev_co_u32_e64 v7, s[28:29], 1, v49
	v_cmp_lt_i32_e32 vcc, v7, v63
	v_cndmask_b32_e32 v7, v7, v49, vcc
	s_waitcnt lgkmcnt(0)
	v_add_u32_e32 v4, v6, v4
	v_lshlrev_b32_e32 v68, 2, v7
	ds_bpermute_b32 v4, v68, v4
	s_waitcnt lgkmcnt(0)
	s_barrier
	s_and_saveexec_b64 s[30:31], s[4:5]
; %bb.355:                              ;   in Loop: Header=BB945_20 Depth=1
	v_cndmask_b32_e64 v4, v4, v6, s[28:29]
	v_add_u32_e32 v4, s49, v4
	ds_write_b32 v19, v4
; %bb.356:                              ;   in Loop: Header=BB945_20 Depth=1
	s_or_b64 exec, exec, s[30:31]
	s_load_dwordx2 s[30:31], s[44:45], 0x0
	v_add_co_u32_e32 v69, vcc, v45, v50
	v_addc_co_u32_e32 v70, vcc, 0, v46, vcc
	s_waitcnt lgkmcnt(0)
	s_cmp_lt_u32 s33, s31
	s_cselect_b32 s31, 14, 20
	s_add_u32 s34, s44, s31
	s_addc_u32 s35, s45, 0
	s_cmp_lt_u32 s48, s30
	s_cselect_b32 s30, 12, 18
	s_add_u32 s30, s44, s30
	global_load_ushort v4, v3, s[34:35]
	s_addc_u32 s31, s45, 0
	global_load_ushort v6, v3, s[30:31]
	v_add_co_u32_e32 v71, vcc, v47, v52
	v_cmp_eq_u32_e64 s[30:31], 0, v62
	v_cmp_lt_u32_e64 s[34:35], 1, v62
	v_addc_co_u32_e32 v72, vcc, 0, v48, vcc
	s_mov_b32 s70, s75
	s_mov_b32 s46, s49
                                        ; implicit-def: $vgpr9_vgpr10
                                        ; implicit-def: $vgpr11_vgpr12
                                        ; implicit-def: $vgpr13_vgpr14
                                        ; implicit-def: $vgpr73
                                        ; implicit-def: $vgpr74
                                        ; implicit-def: $vgpr76
                                        ; implicit-def: $vgpr77
	s_waitcnt vmcnt(1)
	v_mad_u32_u24 v4, v2, v4, v1
	s_waitcnt vmcnt(0)
	v_mad_u64_u32 v[6:7], s[36:37], v4, v6, v[0:1]
                                        ; implicit-def: $vgpr7_vgpr8
	v_lshrrev_b32_e32 v4, 4, v6
	v_and_b32_e32 v75, 0xffffffc, v4
	s_branch .LBB945_358
.LBB945_357:                            ;   in Loop: Header=BB945_358 Depth=2
	s_or_b64 exec, exec, s[36:37]
	s_addk_i32 s70, 0xfc00
	s_cmp_lt_u32 s71, s76
	s_mov_b32 s46, s71
	s_cbranch_scc0 .LBB945_18
.LBB945_358:                            ;   Parent Loop BB945_20 Depth=1
                                        ; =>  This Inner Loop Header: Depth=2
	s_add_i32 s71, s46, 0x400
	s_cmp_gt_u32 s71, s76
	s_cbranch_scc1 .LBB945_360
; %bb.359:                              ;   in Loop: Header=BB945_358 Depth=2
	s_lshl_b64 s[36:37], s[46:47], 1
	v_mov_b32_e32 v4, s37
	v_add_co_u32_e32 v15, vcc, s36, v71
	v_addc_co_u32_e32 v16, vcc, v72, v4, vcc
	global_load_ushort v4, v[15:16], off
	global_load_ushort v6, v[15:16], off offset:128
	s_nop 0
	global_load_ushort v16, v[15:16], off offset:256
	s_mov_b64 s[36:37], -1
	s_waitcnt vmcnt(1)
	v_perm_b32 v15, v6, v4, s58
	s_movk_i32 s40, 0x400
	s_cbranch_execz .LBB945_361
	s_branch .LBB945_366
.LBB945_360:                            ;   in Loop: Header=BB945_358 Depth=2
	s_mov_b64 s[36:37], 0
                                        ; implicit-def: $vgpr15_vgpr16
	s_movk_i32 s40, 0x400
.LBB945_361:                            ;   in Loop: Header=BB945_358 Depth=2
	s_lshl_b64 s[36:37], s[46:47], 1
	v_mov_b32_e32 v4, s37
	v_add_co_u32_e32 v17, vcc, s36, v71
	v_mov_b32_e32 v6, v5
	v_addc_co_u32_e32 v18, vcc, v72, v4, vcc
	s_waitcnt vmcnt(0)
	v_mov_b32_e32 v16, v6
	v_cmp_gt_u32_e32 vcc, s70, v51
	v_mov_b32_e32 v15, v5
	s_and_saveexec_b64 s[36:37], vcc
	s_cbranch_execnz .LBB945_420
; %bb.362:                              ;   in Loop: Header=BB945_358 Depth=2
	s_or_b64 exec, exec, s[36:37]
	v_cmp_gt_u32_e32 vcc, s70, v64
	s_and_saveexec_b64 s[36:37], vcc
	s_cbranch_execnz .LBB945_421
.LBB945_363:                            ;   in Loop: Header=BB945_358 Depth=2
	s_or_b64 exec, exec, s[36:37]
	v_cmp_gt_u32_e32 vcc, s70, v65
	s_and_saveexec_b64 s[36:37], vcc
	s_cbranch_execz .LBB945_365
.LBB945_364:                            ;   in Loop: Header=BB945_358 Depth=2
	global_load_ushort v4, v[17:18], off offset:256
	s_waitcnt vmcnt(0)
	v_bfi_b32 v16, s59, v4, v16
.LBB945_365:                            ;   in Loop: Header=BB945_358 Depth=2
	s_or_b64 exec, exec, s[36:37]
	s_sub_i32 s40, s76, s46
	v_cmp_gt_u32_e64 s[36:37], s70, v66
.LBB945_366:                            ;   in Loop: Header=BB945_358 Depth=2
	v_mov_b32_e32 v78, s70
	s_and_saveexec_b64 s[38:39], s[36:37]
	s_cbranch_execz .LBB945_368
; %bb.367:                              ;   in Loop: Header=BB945_358 Depth=2
	s_lshl_b64 s[36:37], s[46:47], 1
	v_mov_b32_e32 v4, s37
	v_add_co_u32_e32 v17, vcc, s36, v71
	v_addc_co_u32_e32 v18, vcc, v72, v4, vcc
	global_load_ushort v4, v[17:18], off offset:384
	v_mov_b32_e32 v78, s40
	s_waitcnt vmcnt(0)
	v_perm_b32 v16, v4, v16, s58
.LBB945_368:                            ;   in Loop: Header=BB945_358 Depth=2
	s_or_b64 exec, exec, s[38:39]
	v_xor_b32_e32 v6, 0x7fff, v15
	v_lshrrev_b32_sdwa v4, s73, v6 dst_sel:DWORD dst_unused:UNUSED_PAD src0_sel:DWORD src1_sel:WORD_0
	v_and_b32_e32 v17, s63, v4
	v_and_b32_e32 v4, 1, v17
	v_add_co_u32_e32 v18, vcc, -1, v4
	v_addc_co_u32_e64 v79, s[36:37], 0, -1, vcc
	v_cmp_ne_u32_e32 vcc, 0, v4
	v_xor_b32_e32 v4, vcc_hi, v79
	v_and_b32_e32 v79, exec_hi, v4
	v_lshlrev_b32_e32 v4, 30, v17
	v_xor_b32_e32 v18, vcc_lo, v18
	v_cmp_gt_i64_e32 vcc, 0, v[3:4]
	v_not_b32_e32 v4, v4
	v_ashrrev_i32_e32 v4, 31, v4
	v_and_b32_e32 v18, exec_lo, v18
	v_xor_b32_e32 v81, vcc_hi, v4
	v_xor_b32_e32 v4, vcc_lo, v4
	v_and_b32_e32 v18, v18, v4
	v_lshlrev_b32_e32 v4, 29, v17
	v_cmp_gt_i64_e32 vcc, 0, v[3:4]
	v_not_b32_e32 v4, v4
	v_ashrrev_i32_e32 v4, 31, v4
	v_and_b32_e32 v79, v79, v81
	v_xor_b32_e32 v81, vcc_hi, v4
	v_xor_b32_e32 v4, vcc_lo, v4
	v_and_b32_e32 v18, v18, v4
	v_lshlrev_b32_e32 v4, 28, v17
	v_cmp_gt_i64_e32 vcc, 0, v[3:4]
	v_not_b32_e32 v4, v4
	v_ashrrev_i32_e32 v4, 31, v4
	v_and_b32_e32 v79, v79, v81
	;; [unrolled: 8-line block ×5, first 2 shown]
	v_xor_b32_e32 v81, vcc_hi, v4
	v_xor_b32_e32 v4, vcc_lo, v4
	v_and_b32_e32 v79, v79, v81
	v_and_b32_e32 v81, v18, v4
	v_lshlrev_b32_e32 v4, 24, v17
	v_cmp_gt_i64_e32 vcc, 0, v[3:4]
	v_not_b32_e32 v4, v4
	v_ashrrev_i32_e32 v4, 31, v4
	v_mul_u32_u24_e32 v80, 20, v17
	v_xor_b32_e32 v17, vcc_hi, v4
	v_xor_b32_e32 v4, vcc_lo, v4
	v_and_b32_e32 v18, v79, v17
	v_and_b32_e32 v17, v81, v4
	v_mbcnt_lo_u32_b32 v4, v17, 0
	v_mbcnt_hi_u32_b32 v79, v18, v4
	v_cmp_ne_u64_e32 vcc, 0, v[17:18]
	v_cmp_eq_u32_e64 s[36:37], 0, v79
	s_and_b64 s[38:39], vcc, s[36:37]
	v_add_u32_e32 v82, v75, v80
	ds_write2_b32 v56, v3, v3 offset1:1
	ds_write2_b32 v57, v3, v3 offset1:1
	ds_write_b32 v30, v3 offset:1056
	s_waitcnt vmcnt(0) lgkmcnt(0)
	s_barrier
	; wave barrier
	s_and_saveexec_b64 s[36:37], s[38:39]
; %bb.369:                              ;   in Loop: Header=BB945_358 Depth=2
	v_bcnt_u32_b32 v4, v17, 0
	v_bcnt_u32_b32 v4, v18, v4
	ds_write_b32 v82, v4 offset:1040
; %bb.370:                              ;   in Loop: Header=BB945_358 Depth=2
	s_or_b64 exec, exec, s[36:37]
	v_xor_b32_sdwa v80, v15, s60 dst_sel:DWORD dst_unused:UNUSED_PAD src0_sel:WORD_1 src1_sel:DWORD
	v_lshrrev_b32_sdwa v4, s73, v80 dst_sel:DWORD dst_unused:UNUSED_PAD src0_sel:DWORD src1_sel:WORD_0
	v_and_b32_e32 v15, s63, v4
	v_mad_u32_u24 v4, v15, 20, v75
	; wave barrier
	ds_read_b32 v81, v4 offset:1040
	v_and_b32_e32 v4, 1, v15
	v_add_co_u32_e32 v17, vcc, -1, v4
	v_addc_co_u32_e64 v18, s[36:37], 0, -1, vcc
	v_cmp_ne_u32_e32 vcc, 0, v4
	v_xor_b32_e32 v4, vcc_hi, v18
	v_and_b32_e32 v18, exec_hi, v4
	v_lshlrev_b32_e32 v4, 30, v15
	v_xor_b32_e32 v17, vcc_lo, v17
	v_cmp_gt_i64_e32 vcc, 0, v[3:4]
	v_not_b32_e32 v4, v4
	v_ashrrev_i32_e32 v4, 31, v4
	v_and_b32_e32 v17, exec_lo, v17
	v_xor_b32_e32 v83, vcc_hi, v4
	v_xor_b32_e32 v4, vcc_lo, v4
	v_and_b32_e32 v17, v17, v4
	v_lshlrev_b32_e32 v4, 29, v15
	v_cmp_gt_i64_e32 vcc, 0, v[3:4]
	v_not_b32_e32 v4, v4
	v_ashrrev_i32_e32 v4, 31, v4
	v_and_b32_e32 v18, v18, v83
	v_xor_b32_e32 v83, vcc_hi, v4
	v_xor_b32_e32 v4, vcc_lo, v4
	v_and_b32_e32 v17, v17, v4
	v_lshlrev_b32_e32 v4, 28, v15
	v_cmp_gt_i64_e32 vcc, 0, v[3:4]
	v_not_b32_e32 v4, v4
	v_ashrrev_i32_e32 v4, 31, v4
	v_and_b32_e32 v18, v18, v83
	;; [unrolled: 8-line block ×5, first 2 shown]
	v_xor_b32_e32 v83, vcc_hi, v4
	v_xor_b32_e32 v4, vcc_lo, v4
	v_and_b32_e32 v17, v17, v4
	v_lshlrev_b32_e32 v4, 24, v15
	v_cmp_gt_i64_e32 vcc, 0, v[3:4]
	v_not_b32_e32 v4, v4
	v_ashrrev_i32_e32 v4, 31, v4
	v_mul_u32_u24_e32 v84, 20, v15
	v_xor_b32_e32 v15, vcc_hi, v4
	v_xor_b32_e32 v4, vcc_lo, v4
	v_and_b32_e32 v18, v18, v83
	v_and_b32_e32 v17, v17, v4
	v_and_b32_e32 v18, v18, v15
	v_mbcnt_lo_u32_b32 v4, v17, 0
	v_mbcnt_hi_u32_b32 v83, v18, v4
	v_cmp_ne_u64_e32 vcc, 0, v[17:18]
	v_cmp_eq_u32_e64 s[36:37], 0, v83
	s_and_b64 s[38:39], vcc, s[36:37]
	v_add_u32_e32 v86, v75, v84
	; wave barrier
	s_and_saveexec_b64 s[36:37], s[38:39]
	s_cbranch_execz .LBB945_372
; %bb.371:                              ;   in Loop: Header=BB945_358 Depth=2
	v_bcnt_u32_b32 v4, v17, 0
	v_bcnt_u32_b32 v4, v18, v4
	s_waitcnt lgkmcnt(0)
	v_add_u32_e32 v4, v81, v4
	ds_write_b32 v86, v4 offset:1040
.LBB945_372:                            ;   in Loop: Header=BB945_358 Depth=2
	s_or_b64 exec, exec, s[36:37]
	v_xor_b32_e32 v84, 0x7fff, v16
	v_lshrrev_b32_sdwa v4, s73, v84 dst_sel:DWORD dst_unused:UNUSED_PAD src0_sel:DWORD src1_sel:WORD_0
	v_and_b32_e32 v15, s63, v4
	v_mad_u32_u24 v4, v15, 20, v75
	; wave barrier
	ds_read_b32 v85, v4 offset:1040
	v_and_b32_e32 v4, 1, v15
	v_add_co_u32_e32 v17, vcc, -1, v4
	v_addc_co_u32_e64 v18, s[36:37], 0, -1, vcc
	v_cmp_ne_u32_e32 vcc, 0, v4
	v_xor_b32_e32 v4, vcc_hi, v18
	v_and_b32_e32 v18, exec_hi, v4
	v_lshlrev_b32_e32 v4, 30, v15
	v_xor_b32_e32 v17, vcc_lo, v17
	v_cmp_gt_i64_e32 vcc, 0, v[3:4]
	v_not_b32_e32 v4, v4
	v_ashrrev_i32_e32 v4, 31, v4
	v_and_b32_e32 v17, exec_lo, v17
	v_xor_b32_e32 v87, vcc_hi, v4
	v_xor_b32_e32 v4, vcc_lo, v4
	v_and_b32_e32 v17, v17, v4
	v_lshlrev_b32_e32 v4, 29, v15
	v_cmp_gt_i64_e32 vcc, 0, v[3:4]
	v_not_b32_e32 v4, v4
	v_ashrrev_i32_e32 v4, 31, v4
	v_and_b32_e32 v18, v18, v87
	v_xor_b32_e32 v87, vcc_hi, v4
	v_xor_b32_e32 v4, vcc_lo, v4
	v_and_b32_e32 v17, v17, v4
	v_lshlrev_b32_e32 v4, 28, v15
	v_cmp_gt_i64_e32 vcc, 0, v[3:4]
	v_not_b32_e32 v4, v4
	v_ashrrev_i32_e32 v4, 31, v4
	v_and_b32_e32 v18, v18, v87
	;; [unrolled: 8-line block ×5, first 2 shown]
	v_xor_b32_e32 v87, vcc_hi, v4
	v_xor_b32_e32 v4, vcc_lo, v4
	v_and_b32_e32 v17, v17, v4
	v_lshlrev_b32_e32 v4, 24, v15
	v_cmp_gt_i64_e32 vcc, 0, v[3:4]
	v_not_b32_e32 v4, v4
	v_ashrrev_i32_e32 v4, 31, v4
	v_mul_u32_u24_e32 v88, 20, v15
	v_xor_b32_e32 v15, vcc_hi, v4
	v_xor_b32_e32 v4, vcc_lo, v4
	v_and_b32_e32 v18, v18, v87
	v_and_b32_e32 v17, v17, v4
	;; [unrolled: 1-line block ×3, first 2 shown]
	v_mbcnt_lo_u32_b32 v4, v17, 0
	v_mbcnt_hi_u32_b32 v87, v18, v4
	v_cmp_ne_u64_e32 vcc, 0, v[17:18]
	v_cmp_eq_u32_e64 s[36:37], 0, v87
	s_and_b64 s[38:39], vcc, s[36:37]
	v_add_u32_e32 v90, v75, v88
	; wave barrier
	s_and_saveexec_b64 s[36:37], s[38:39]
	s_cbranch_execz .LBB945_374
; %bb.373:                              ;   in Loop: Header=BB945_358 Depth=2
	v_bcnt_u32_b32 v4, v17, 0
	v_bcnt_u32_b32 v4, v18, v4
	s_waitcnt lgkmcnt(0)
	v_add_u32_e32 v4, v85, v4
	ds_write_b32 v90, v4 offset:1040
.LBB945_374:                            ;   in Loop: Header=BB945_358 Depth=2
	s_or_b64 exec, exec, s[36:37]
	v_xor_b32_sdwa v88, v16, s60 dst_sel:DWORD dst_unused:UNUSED_PAD src0_sel:WORD_1 src1_sel:DWORD
	v_lshrrev_b32_sdwa v4, s73, v88 dst_sel:DWORD dst_unused:UNUSED_PAD src0_sel:DWORD src1_sel:WORD_0
	v_and_b32_e32 v15, s63, v4
	v_mad_u32_u24 v4, v15, 20, v75
	; wave barrier
	ds_read_b32 v89, v4 offset:1040
	v_and_b32_e32 v4, 1, v15
	v_add_co_u32_e32 v16, vcc, -1, v4
	v_addc_co_u32_e64 v18, s[36:37], 0, -1, vcc
	v_cmp_ne_u32_e32 vcc, 0, v4
	v_xor_b32_e32 v4, vcc_hi, v18
	v_and_b32_e32 v18, exec_hi, v4
	v_lshlrev_b32_e32 v4, 30, v15
	v_xor_b32_e32 v16, vcc_lo, v16
	v_cmp_gt_i64_e32 vcc, 0, v[3:4]
	v_not_b32_e32 v4, v4
	v_ashrrev_i32_e32 v4, 31, v4
	v_and_b32_e32 v16, exec_lo, v16
	v_xor_b32_e32 v91, vcc_hi, v4
	v_xor_b32_e32 v4, vcc_lo, v4
	v_and_b32_e32 v16, v16, v4
	v_lshlrev_b32_e32 v4, 29, v15
	v_cmp_gt_i64_e32 vcc, 0, v[3:4]
	v_not_b32_e32 v4, v4
	v_ashrrev_i32_e32 v4, 31, v4
	v_and_b32_e32 v18, v18, v91
	v_xor_b32_e32 v91, vcc_hi, v4
	v_xor_b32_e32 v4, vcc_lo, v4
	v_and_b32_e32 v16, v16, v4
	v_lshlrev_b32_e32 v4, 28, v15
	v_cmp_gt_i64_e32 vcc, 0, v[3:4]
	v_not_b32_e32 v4, v4
	v_ashrrev_i32_e32 v4, 31, v4
	v_and_b32_e32 v18, v18, v91
	;; [unrolled: 8-line block ×5, first 2 shown]
	v_xor_b32_e32 v91, vcc_hi, v4
	v_xor_b32_e32 v4, vcc_lo, v4
	v_and_b32_e32 v18, v18, v91
	v_and_b32_e32 v91, v16, v4
	v_lshlrev_b32_e32 v4, 24, v15
	v_cmp_gt_i64_e32 vcc, 0, v[3:4]
	v_not_b32_e32 v4, v4
	v_ashrrev_i32_e32 v4, 31, v4
	v_mul_u32_u24_e32 v17, 20, v15
	v_xor_b32_e32 v15, vcc_hi, v4
	v_xor_b32_e32 v4, vcc_lo, v4
	v_and_b32_e32 v16, v18, v15
	v_and_b32_e32 v15, v91, v4
	v_mbcnt_lo_u32_b32 v4, v15, 0
	v_mbcnt_hi_u32_b32 v4, v16, v4
	v_cmp_ne_u64_e32 vcc, 0, v[15:16]
	v_cmp_eq_u32_e64 s[36:37], 0, v4
	s_and_b64 s[38:39], vcc, s[36:37]
	v_add_u32_e32 v91, v75, v17
	; wave barrier
	s_and_saveexec_b64 s[36:37], s[38:39]
	s_cbranch_execz .LBB945_376
; %bb.375:                              ;   in Loop: Header=BB945_358 Depth=2
	v_bcnt_u32_b32 v15, v15, 0
	v_bcnt_u32_b32 v15, v16, v15
	s_waitcnt lgkmcnt(0)
	v_add_u32_e32 v15, v89, v15
	ds_write_b32 v91, v15 offset:1040
.LBB945_376:                            ;   in Loop: Header=BB945_358 Depth=2
	s_or_b64 exec, exec, s[36:37]
	; wave barrier
	s_waitcnt lgkmcnt(0)
	s_barrier
	ds_read2_b32 v[17:18], v56 offset1:1
	ds_read2_b32 v[15:16], v57 offset1:1
	ds_read_b32 v92, v30 offset:1056
	s_waitcnt lgkmcnt(1)
	v_add3_u32 v93, v18, v17, v15
	s_waitcnt lgkmcnt(0)
	v_add3_u32 v92, v93, v16, v92
	s_nop 1
	v_mov_b32_dpp v93, v92 row_shr:1 row_mask:0xf bank_mask:0xf
	v_cndmask_b32_e64 v93, v93, 0, s[16:17]
	v_add_u32_e32 v92, v93, v92
	s_nop 1
	v_mov_b32_dpp v93, v92 row_shr:2 row_mask:0xf bank_mask:0xf
	v_cndmask_b32_e64 v93, 0, v93, s[18:19]
	v_add_u32_e32 v92, v92, v93
	;; [unrolled: 4-line block ×4, first 2 shown]
	s_nop 1
	v_mov_b32_dpp v93, v92 row_bcast:15 row_mask:0xf bank_mask:0xf
	v_cndmask_b32_e64 v93, v93, 0, s[24:25]
	v_add_u32_e32 v92, v92, v93
	s_nop 1
	v_mov_b32_dpp v93, v92 row_bcast:31 row_mask:0xf bank_mask:0xf
	v_cndmask_b32_e64 v93, 0, v93, s[26:27]
	v_add_u32_e32 v92, v92, v93
	s_and_saveexec_b64 s[36:37], s[6:7]
; %bb.377:                              ;   in Loop: Header=BB945_358 Depth=2
	ds_write_b32 v27, v92 offset:1024
; %bb.378:                              ;   in Loop: Header=BB945_358 Depth=2
	s_or_b64 exec, exec, s[36:37]
	s_waitcnt lgkmcnt(0)
	s_barrier
	s_and_saveexec_b64 s[36:37], s[8:9]
	s_cbranch_execz .LBB945_380
; %bb.379:                              ;   in Loop: Header=BB945_358 Depth=2
	ds_read_b32 v93, v31 offset:1024
	s_waitcnt lgkmcnt(0)
	s_nop 0
	v_mov_b32_dpp v94, v93 row_shr:1 row_mask:0xf bank_mask:0xf
	v_cndmask_b32_e64 v94, v94, 0, s[30:31]
	v_add_u32_e32 v93, v94, v93
	s_nop 1
	v_mov_b32_dpp v94, v93 row_shr:2 row_mask:0xf bank_mask:0xf
	v_cndmask_b32_e64 v94, 0, v94, s[34:35]
	v_add_u32_e32 v93, v93, v94
	ds_write_b32 v31, v93 offset:1024
.LBB945_380:                            ;   in Loop: Header=BB945_358 Depth=2
	s_or_b64 exec, exec, s[36:37]
	v_mov_b32_e32 v93, 0
	s_waitcnt lgkmcnt(0)
	s_barrier
	s_and_saveexec_b64 s[36:37], s[10:11]
; %bb.381:                              ;   in Loop: Header=BB945_358 Depth=2
	ds_read_b32 v93, v27 offset:1020
; %bb.382:                              ;   in Loop: Header=BB945_358 Depth=2
	s_or_b64 exec, exec, s[36:37]
	s_waitcnt lgkmcnt(0)
	v_add_u32_e32 v92, v93, v92
	ds_bpermute_b32 v92, v68, v92
	s_waitcnt lgkmcnt(0)
	v_cndmask_b32_e64 v92, v92, v93, s[28:29]
	v_cndmask_b32_e64 v92, v92, 0, s[12:13]
	v_add_u32_e32 v17, v92, v17
	v_add_u32_e32 v18, v17, v18
	v_add_u32_e32 v15, v18, v15
	v_add_u32_e32 v16, v15, v16
	ds_write2_b32 v56, v92, v17 offset1:1
	ds_write2_b32 v57, v18, v15 offset1:1
	ds_write_b32 v30, v16 offset:1056
	s_waitcnt lgkmcnt(0)
	s_barrier
	ds_read_b32 v15, v82 offset:1040
	ds_read_b32 v16, v86 offset:1040
	;; [unrolled: 1-line block ×5, first 2 shown]
	v_mov_b32_e32 v82, 0x400
	s_and_saveexec_b64 s[36:37], s[14:15]
; %bb.383:                              ;   in Loop: Header=BB945_358 Depth=2
	ds_read_b32 v82, v30 offset:1060
; %bb.384:                              ;   in Loop: Header=BB945_358 Depth=2
	s_or_b64 exec, exec, s[36:37]
	s_waitcnt lgkmcnt(0)
	s_barrier
	s_and_saveexec_b64 s[36:37], s[4:5]
	s_cbranch_execz .LBB945_386
; %bb.385:                              ;   in Loop: Header=BB945_358 Depth=2
	ds_read_b32 v90, v19
	s_waitcnt lgkmcnt(0)
	v_sub_u32_e32 v86, v90, v86
	ds_write_b32 v19, v86
.LBB945_386:                            ;   in Loop: Header=BB945_358 Depth=2
	s_or_b64 exec, exec, s[36:37]
	v_add_u32_e32 v86, v15, v79
	v_add3_u32 v83, v83, v81, v16
	v_add3_u32 v81, v87, v85, v17
	;; [unrolled: 1-line block ×3, first 2 shown]
	v_lshlrev_b32_e32 v16, 1, v86
	ds_write_b16 v16, v6 offset:1024
	v_lshlrev_b32_e32 v15, 1, v83
	v_lshlrev_b32_e32 v6, 1, v81
	;; [unrolled: 1-line block ×3, first 2 shown]
	v_cmp_lt_u32_e32 vcc, v0, v78
	ds_write_b16 v15, v80 offset:1024
	ds_write_b16 v6, v84 offset:1024
	;; [unrolled: 1-line block ×3, first 2 shown]
	s_waitcnt lgkmcnt(0)
	s_barrier
	s_and_saveexec_b64 s[38:39], vcc
	s_cbranch_execnz .LBB945_407
; %bb.387:                              ;   in Loop: Header=BB945_358 Depth=2
	s_or_b64 exec, exec, s[38:39]
	v_cmp_lt_u32_e64 s[36:37], v20, v78
	s_and_saveexec_b64 s[40:41], s[36:37]
	s_cbranch_execnz .LBB945_408
.LBB945_388:                            ;   in Loop: Header=BB945_358 Depth=2
	s_or_b64 exec, exec, s[40:41]
	v_cmp_lt_u32_e64 s[38:39], v21, v78
	s_and_saveexec_b64 s[42:43], s[38:39]
	s_cbranch_execnz .LBB945_409
.LBB945_389:                            ;   in Loop: Header=BB945_358 Depth=2
	s_or_b64 exec, exec, s[42:43]
	v_cmp_lt_u32_e64 s[40:41], v22, v78
	s_and_saveexec_b64 s[56:57], s[40:41]
	s_cbranch_execz .LBB945_391
.LBB945_390:                            ;   in Loop: Header=BB945_358 Depth=2
	ds_read_u16 v17, v36 offset:2560
	v_mov_b32_e32 v84, s69
	s_waitcnt lgkmcnt(0)
	v_lshrrev_b32_sdwa v18, s73, v17 dst_sel:DWORD dst_unused:UNUSED_PAD src0_sel:DWORD src1_sel:WORD_0
	v_and_b32_e32 v18, s63, v18
	v_lshlrev_b32_e32 v18, 2, v18
	ds_read_b32 v80, v18
	v_mov_b32_e32 v18, v3
	v_xor_b32_e32 v85, 0x7fff, v17
	s_waitcnt lgkmcnt(0)
	v_add_u32_e32 v17, v80, v22
	v_lshlrev_b64 v[17:18], 1, v[17:18]
	v_add_co_u32_e64 v17, s[42:43], s68, v17
	v_addc_co_u32_e64 v18, s[42:43], v84, v18, s[42:43]
	global_store_short v[17:18], v85, off
.LBB945_391:                            ;   in Loop: Header=BB945_358 Depth=2
	s_or_b64 exec, exec, s[56:57]
	s_lshl_b64 s[42:43], s[46:47], 3
	v_mov_b32_e32 v18, s43
	v_add_co_u32_e64 v17, s[42:43], s42, v69
	v_addc_co_u32_e64 v18, s[42:43], v70, v18, s[42:43]
	v_cmp_lt_u32_e64 s[42:43], v51, v78
	s_and_saveexec_b64 s[56:57], s[42:43]
	s_xor_b64 s[42:43], exec, s[56:57]
	s_cbranch_execnz .LBB945_410
; %bb.392:                              ;   in Loop: Header=BB945_358 Depth=2
	s_or_b64 exec, exec, s[42:43]
	v_cmp_lt_u32_e64 s[42:43], v64, v78
	s_and_saveexec_b64 s[56:57], s[42:43]
	s_cbranch_execnz .LBB945_411
.LBB945_393:                            ;   in Loop: Header=BB945_358 Depth=2
	s_or_b64 exec, exec, s[56:57]
	v_cmp_lt_u32_e64 s[42:43], v65, v78
	s_and_saveexec_b64 s[56:57], s[42:43]
	s_cbranch_execnz .LBB945_412
.LBB945_394:                            ;   in Loop: Header=BB945_358 Depth=2
	s_or_b64 exec, exec, s[56:57]
	v_cmp_lt_u32_e64 s[42:43], v66, v78
	s_and_saveexec_b64 s[56:57], s[42:43]
	s_cbranch_execnz .LBB945_413
.LBB945_395:                            ;   in Loop: Header=BB945_358 Depth=2
	s_or_b64 exec, exec, s[56:57]
	s_and_saveexec_b64 s[42:43], vcc
	s_cbranch_execnz .LBB945_414
.LBB945_396:                            ;   in Loop: Header=BB945_358 Depth=2
	s_or_b64 exec, exec, s[42:43]
	s_and_saveexec_b64 s[42:43], s[36:37]
	s_cbranch_execnz .LBB945_415
.LBB945_397:                            ;   in Loop: Header=BB945_358 Depth=2
	s_or_b64 exec, exec, s[42:43]
	s_and_saveexec_b64 s[42:43], s[38:39]
	s_cbranch_execnz .LBB945_416
.LBB945_398:                            ;   in Loop: Header=BB945_358 Depth=2
	s_or_b64 exec, exec, s[42:43]
	s_and_saveexec_b64 s[42:43], s[40:41]
	s_cbranch_execz .LBB945_400
.LBB945_399:                            ;   in Loop: Header=BB945_358 Depth=2
	ds_read_u16 v17, v36 offset:2560
	s_waitcnt lgkmcnt(0)
	v_lshrrev_b32_e32 v17, s73, v17
	v_and_b32_e32 v73, s63, v17
.LBB945_400:                            ;   in Loop: Header=BB945_358 Depth=2
	s_or_b64 exec, exec, s[42:43]
	v_mad_u64_u32 v[16:17], s[42:43], v86, 6, v[16:17]
	s_waitcnt vmcnt(0)
	v_mad_u64_u32 v[80:81], s[42:43], v81, 6, v[6:7]
	v_mad_u64_u32 v[17:18], s[42:43], v83, 6, v[15:16]
	;; [unrolled: 1-line block ×3, first 2 shown]
	v_add_u32_e32 v4, v36, v54
	s_barrier
	ds_write_b64 v16, v[13:14] offset:1024
	ds_write_b64 v17, v[11:12] offset:1024
	;; [unrolled: 1-line block ×4, first 2 shown]
	s_waitcnt lgkmcnt(0)
	s_barrier
	s_and_saveexec_b64 s[42:43], vcc
	s_cbranch_execnz .LBB945_417
; %bb.401:                              ;   in Loop: Header=BB945_358 Depth=2
	s_or_b64 exec, exec, s[42:43]
	s_and_saveexec_b64 s[42:43], s[36:37]
	s_cbranch_execnz .LBB945_418
.LBB945_402:                            ;   in Loop: Header=BB945_358 Depth=2
	s_or_b64 exec, exec, s[42:43]
	s_and_saveexec_b64 s[36:37], s[38:39]
	s_cbranch_execnz .LBB945_419
.LBB945_403:                            ;   in Loop: Header=BB945_358 Depth=2
	s_or_b64 exec, exec, s[36:37]
	s_and_saveexec_b64 s[36:37], s[40:41]
	s_cbranch_execz .LBB945_405
.LBB945_404:                            ;   in Loop: Header=BB945_358 Depth=2
	v_lshlrev_b32_e32 v6, 2, v73
	ds_read_b32 v6, v6
	ds_read_b64 v[15:16], v4 offset:7168
	v_mov_b32_e32 v18, v3
	v_mov_b32_e32 v4, s55
	s_waitcnt lgkmcnt(1)
	v_add_u32_e32 v17, v6, v22
	v_lshlrev_b64 v[17:18], 3, v[17:18]
	v_add_co_u32_e32 v17, vcc, s54, v17
	v_addc_co_u32_e32 v18, vcc, v4, v18, vcc
	s_waitcnt lgkmcnt(0)
	global_store_dwordx2 v[17:18], v[15:16], off
.LBB945_405:                            ;   in Loop: Header=BB945_358 Depth=2
	s_or_b64 exec, exec, s[36:37]
	s_waitcnt vmcnt(0)
	s_barrier
	s_and_saveexec_b64 s[36:37], s[4:5]
	s_cbranch_execz .LBB945_357
; %bb.406:                              ;   in Loop: Header=BB945_358 Depth=2
	ds_read_b32 v4, v19
	s_waitcnt lgkmcnt(0)
	v_add_u32_e32 v4, v4, v82
	ds_write_b32 v19, v4
	s_branch .LBB945_357
.LBB945_407:                            ;   in Loop: Header=BB945_358 Depth=2
	ds_read_u16 v17, v36 offset:1024
	v_mov_b32_e32 v84, s69
	s_waitcnt lgkmcnt(0)
	v_lshrrev_b32_sdwa v18, s73, v17 dst_sel:DWORD dst_unused:UNUSED_PAD src0_sel:DWORD src1_sel:WORD_0
	v_and_b32_e32 v18, s63, v18
	v_lshlrev_b32_e32 v18, 2, v18
	ds_read_b32 v80, v18
	v_mov_b32_e32 v18, v3
	v_xor_b32_e32 v85, 0x7fff, v17
	s_waitcnt lgkmcnt(0)
	v_add_u32_e32 v17, v80, v0
	v_lshlrev_b64 v[17:18], 1, v[17:18]
	v_add_co_u32_e64 v17, s[36:37], s68, v17
	v_addc_co_u32_e64 v18, s[36:37], v84, v18, s[36:37]
	global_store_short v[17:18], v85, off
	s_or_b64 exec, exec, s[38:39]
	v_cmp_lt_u32_e64 s[36:37], v20, v78
	s_and_saveexec_b64 s[40:41], s[36:37]
	s_cbranch_execz .LBB945_388
.LBB945_408:                            ;   in Loop: Header=BB945_358 Depth=2
	ds_read_u16 v17, v36 offset:1536
	v_mov_b32_e32 v84, s69
	s_waitcnt lgkmcnt(0)
	v_lshrrev_b32_sdwa v18, s73, v17 dst_sel:DWORD dst_unused:UNUSED_PAD src0_sel:DWORD src1_sel:WORD_0
	v_and_b32_e32 v18, s63, v18
	v_lshlrev_b32_e32 v18, 2, v18
	ds_read_b32 v80, v18
	v_mov_b32_e32 v18, v3
	v_xor_b32_e32 v85, 0x7fff, v17
	s_waitcnt lgkmcnt(0)
	v_add_u32_e32 v17, v80, v20
	v_lshlrev_b64 v[17:18], 1, v[17:18]
	v_add_co_u32_e64 v17, s[38:39], s68, v17
	v_addc_co_u32_e64 v18, s[38:39], v84, v18, s[38:39]
	global_store_short v[17:18], v85, off
	s_or_b64 exec, exec, s[40:41]
	v_cmp_lt_u32_e64 s[38:39], v21, v78
	s_and_saveexec_b64 s[42:43], s[38:39]
	s_cbranch_execz .LBB945_389
.LBB945_409:                            ;   in Loop: Header=BB945_358 Depth=2
	ds_read_u16 v17, v36 offset:2048
	v_mov_b32_e32 v84, s69
	s_waitcnt lgkmcnt(0)
	v_lshrrev_b32_sdwa v18, s73, v17 dst_sel:DWORD dst_unused:UNUSED_PAD src0_sel:DWORD src1_sel:WORD_0
	v_and_b32_e32 v18, s63, v18
	v_lshlrev_b32_e32 v18, 2, v18
	ds_read_b32 v80, v18
	v_mov_b32_e32 v18, v3
	v_xor_b32_e32 v85, 0x7fff, v17
	s_waitcnt lgkmcnt(0)
	v_add_u32_e32 v17, v80, v21
	v_lshlrev_b64 v[17:18], 1, v[17:18]
	v_add_co_u32_e64 v17, s[40:41], s68, v17
	v_addc_co_u32_e64 v18, s[40:41], v84, v18, s[40:41]
	global_store_short v[17:18], v85, off
	s_or_b64 exec, exec, s[42:43]
	v_cmp_lt_u32_e64 s[40:41], v22, v78
	s_and_saveexec_b64 s[56:57], s[40:41]
	s_cbranch_execnz .LBB945_390
	s_branch .LBB945_391
.LBB945_410:                            ;   in Loop: Header=BB945_358 Depth=2
	global_load_dwordx2 v[13:14], v[17:18], off
	s_or_b64 exec, exec, s[42:43]
	v_cmp_lt_u32_e64 s[42:43], v64, v78
	s_and_saveexec_b64 s[56:57], s[42:43]
	s_cbranch_execz .LBB945_393
.LBB945_411:                            ;   in Loop: Header=BB945_358 Depth=2
	global_load_dwordx2 v[11:12], v[17:18], off offset:512
	s_or_b64 exec, exec, s[56:57]
	v_cmp_lt_u32_e64 s[42:43], v65, v78
	s_and_saveexec_b64 s[56:57], s[42:43]
	s_cbranch_execz .LBB945_394
.LBB945_412:                            ;   in Loop: Header=BB945_358 Depth=2
	global_load_dwordx2 v[9:10], v[17:18], off offset:1024
	s_or_b64 exec, exec, s[56:57]
	v_cmp_lt_u32_e64 s[42:43], v66, v78
	s_and_saveexec_b64 s[56:57], s[42:43]
	s_cbranch_execz .LBB945_395
.LBB945_413:                            ;   in Loop: Header=BB945_358 Depth=2
	global_load_dwordx2 v[7:8], v[17:18], off offset:1536
	s_or_b64 exec, exec, s[56:57]
	s_and_saveexec_b64 s[42:43], vcc
	s_cbranch_execz .LBB945_396
.LBB945_414:                            ;   in Loop: Header=BB945_358 Depth=2
	ds_read_u16 v17, v36 offset:1024
	s_waitcnt lgkmcnt(0)
	v_lshrrev_b32_e32 v17, s73, v17
	v_and_b32_e32 v77, s63, v17
	s_or_b64 exec, exec, s[42:43]
	s_and_saveexec_b64 s[42:43], s[36:37]
	s_cbranch_execz .LBB945_397
.LBB945_415:                            ;   in Loop: Header=BB945_358 Depth=2
	ds_read_u16 v17, v36 offset:1536
	s_waitcnt lgkmcnt(0)
	v_lshrrev_b32_e32 v17, s73, v17
	v_and_b32_e32 v76, s63, v17
	s_or_b64 exec, exec, s[42:43]
	s_and_saveexec_b64 s[42:43], s[38:39]
	s_cbranch_execz .LBB945_398
.LBB945_416:                            ;   in Loop: Header=BB945_358 Depth=2
	ds_read_u16 v17, v36 offset:2048
	s_waitcnt lgkmcnt(0)
	v_lshrrev_b32_e32 v17, s73, v17
	v_and_b32_e32 v74, s63, v17
	s_or_b64 exec, exec, s[42:43]
	s_and_saveexec_b64 s[42:43], s[40:41]
	s_cbranch_execnz .LBB945_399
	s_branch .LBB945_400
.LBB945_417:                            ;   in Loop: Header=BB945_358 Depth=2
	v_lshlrev_b32_e32 v6, 2, v77
	ds_read_b32 v6, v6
	ds_read_b64 v[15:16], v4 offset:1024
	v_mov_b32_e32 v18, v3
	v_mov_b32_e32 v78, s55
	s_waitcnt lgkmcnt(1)
	v_add_u32_e32 v17, v6, v0
	v_lshlrev_b64 v[17:18], 3, v[17:18]
	v_add_co_u32_e32 v17, vcc, s54, v17
	v_addc_co_u32_e32 v18, vcc, v78, v18, vcc
	s_waitcnt lgkmcnt(0)
	global_store_dwordx2 v[17:18], v[15:16], off
	s_or_b64 exec, exec, s[42:43]
	s_and_saveexec_b64 s[42:43], s[36:37]
	s_cbranch_execz .LBB945_402
.LBB945_418:                            ;   in Loop: Header=BB945_358 Depth=2
	v_lshlrev_b32_e32 v6, 2, v76
	ds_read_b32 v6, v6
	ds_read_b64 v[15:16], v4 offset:3072
	v_mov_b32_e32 v18, v3
	v_mov_b32_e32 v78, s55
	s_waitcnt lgkmcnt(1)
	v_add_u32_e32 v17, v6, v20
	v_lshlrev_b64 v[17:18], 3, v[17:18]
	v_add_co_u32_e32 v17, vcc, s54, v17
	v_addc_co_u32_e32 v18, vcc, v78, v18, vcc
	s_waitcnt lgkmcnt(0)
	global_store_dwordx2 v[17:18], v[15:16], off
	s_or_b64 exec, exec, s[42:43]
	s_and_saveexec_b64 s[36:37], s[38:39]
	s_cbranch_execz .LBB945_403
.LBB945_419:                            ;   in Loop: Header=BB945_358 Depth=2
	v_lshlrev_b32_e32 v6, 2, v74
	ds_read_b32 v6, v6
	ds_read_b64 v[15:16], v4 offset:5120
	v_mov_b32_e32 v18, v3
	v_mov_b32_e32 v78, s55
	s_waitcnt lgkmcnt(1)
	v_add_u32_e32 v17, v6, v21
	v_lshlrev_b64 v[17:18], 3, v[17:18]
	v_add_co_u32_e32 v17, vcc, s54, v17
	v_addc_co_u32_e32 v18, vcc, v78, v18, vcc
	s_waitcnt lgkmcnt(0)
	global_store_dwordx2 v[17:18], v[15:16], off
	s_or_b64 exec, exec, s[36:37]
	s_and_saveexec_b64 s[36:37], s[40:41]
	s_cbranch_execnz .LBB945_404
	s_branch .LBB945_405
.LBB945_420:                            ;   in Loop: Header=BB945_358 Depth=2
	global_load_ushort v4, v[17:18], off
	v_mov_b32_e32 v16, v5
	s_waitcnt vmcnt(0)
	v_perm_b32 v15, s61, v4, v67
	s_or_b64 exec, exec, s[36:37]
	v_cmp_gt_u32_e32 vcc, s70, v64
	s_and_saveexec_b64 s[36:37], vcc
	s_cbranch_execz .LBB945_363
.LBB945_421:                            ;   in Loop: Header=BB945_358 Depth=2
	global_load_ushort v4, v[17:18], off offset:128
	s_waitcnt vmcnt(0)
	v_perm_b32 v15, v4, v15, s58
	s_or_b64 exec, exec, s[36:37]
	v_cmp_gt_u32_e32 vcc, s70, v65
	s_and_saveexec_b64 s[36:37], vcc
	s_cbranch_execnz .LBB945_364
	s_branch .LBB945_365
.LBB945_422:
	s_endpgm
	.section	.rodata,"a",@progbits
	.p2align	6, 0x0
	.amdhsa_kernel _ZN7rocprim17ROCPRIM_400000_NS6detail17trampoline_kernelINS0_14default_configENS1_36segmented_radix_sort_config_selectorIslEEZNS1_25segmented_radix_sort_implIS3_Lb1EPKsPsPKlPlN2at6native12_GLOBAL__N_18offset_tEEE10hipError_tPvRmT1_PNSt15iterator_traitsISK_E10value_typeET2_T3_PNSL_ISQ_E10value_typeET4_jRbjT5_SW_jjP12ihipStream_tbEUlT_E2_NS1_11comp_targetILNS1_3genE2ELNS1_11target_archE906ELNS1_3gpuE6ELNS1_3repE0EEENS1_30default_config_static_selectorELNS0_4arch9wavefront6targetE1EEEvSK_
		.amdhsa_group_segment_fixed_size 10256
		.amdhsa_private_segment_fixed_size 0
		.amdhsa_kernarg_size 336
		.amdhsa_user_sgpr_count 6
		.amdhsa_user_sgpr_private_segment_buffer 1
		.amdhsa_user_sgpr_dispatch_ptr 0
		.amdhsa_user_sgpr_queue_ptr 0
		.amdhsa_user_sgpr_kernarg_segment_ptr 1
		.amdhsa_user_sgpr_dispatch_id 0
		.amdhsa_user_sgpr_flat_scratch_init 0
		.amdhsa_user_sgpr_private_segment_size 0
		.amdhsa_uses_dynamic_stack 0
		.amdhsa_system_sgpr_private_segment_wavefront_offset 0
		.amdhsa_system_sgpr_workgroup_id_x 1
		.amdhsa_system_sgpr_workgroup_id_y 1
		.amdhsa_system_sgpr_workgroup_id_z 0
		.amdhsa_system_sgpr_workgroup_info 0
		.amdhsa_system_vgpr_workitem_id 2
		.amdhsa_next_free_vgpr 95
		.amdhsa_next_free_sgpr 93
		.amdhsa_reserve_vcc 1
		.amdhsa_reserve_flat_scratch 0
		.amdhsa_float_round_mode_32 0
		.amdhsa_float_round_mode_16_64 0
		.amdhsa_float_denorm_mode_32 3
		.amdhsa_float_denorm_mode_16_64 3
		.amdhsa_dx10_clamp 1
		.amdhsa_ieee_mode 1
		.amdhsa_fp16_overflow 0
		.amdhsa_exception_fp_ieee_invalid_op 0
		.amdhsa_exception_fp_denorm_src 0
		.amdhsa_exception_fp_ieee_div_zero 0
		.amdhsa_exception_fp_ieee_overflow 0
		.amdhsa_exception_fp_ieee_underflow 0
		.amdhsa_exception_fp_ieee_inexact 0
		.amdhsa_exception_int_div_zero 0
	.end_amdhsa_kernel
	.section	.text._ZN7rocprim17ROCPRIM_400000_NS6detail17trampoline_kernelINS0_14default_configENS1_36segmented_radix_sort_config_selectorIslEEZNS1_25segmented_radix_sort_implIS3_Lb1EPKsPsPKlPlN2at6native12_GLOBAL__N_18offset_tEEE10hipError_tPvRmT1_PNSt15iterator_traitsISK_E10value_typeET2_T3_PNSL_ISQ_E10value_typeET4_jRbjT5_SW_jjP12ihipStream_tbEUlT_E2_NS1_11comp_targetILNS1_3genE2ELNS1_11target_archE906ELNS1_3gpuE6ELNS1_3repE0EEENS1_30default_config_static_selectorELNS0_4arch9wavefront6targetE1EEEvSK_,"axG",@progbits,_ZN7rocprim17ROCPRIM_400000_NS6detail17trampoline_kernelINS0_14default_configENS1_36segmented_radix_sort_config_selectorIslEEZNS1_25segmented_radix_sort_implIS3_Lb1EPKsPsPKlPlN2at6native12_GLOBAL__N_18offset_tEEE10hipError_tPvRmT1_PNSt15iterator_traitsISK_E10value_typeET2_T3_PNSL_ISQ_E10value_typeET4_jRbjT5_SW_jjP12ihipStream_tbEUlT_E2_NS1_11comp_targetILNS1_3genE2ELNS1_11target_archE906ELNS1_3gpuE6ELNS1_3repE0EEENS1_30default_config_static_selectorELNS0_4arch9wavefront6targetE1EEEvSK_,comdat
.Lfunc_end945:
	.size	_ZN7rocprim17ROCPRIM_400000_NS6detail17trampoline_kernelINS0_14default_configENS1_36segmented_radix_sort_config_selectorIslEEZNS1_25segmented_radix_sort_implIS3_Lb1EPKsPsPKlPlN2at6native12_GLOBAL__N_18offset_tEEE10hipError_tPvRmT1_PNSt15iterator_traitsISK_E10value_typeET2_T3_PNSL_ISQ_E10value_typeET4_jRbjT5_SW_jjP12ihipStream_tbEUlT_E2_NS1_11comp_targetILNS1_3genE2ELNS1_11target_archE906ELNS1_3gpuE6ELNS1_3repE0EEENS1_30default_config_static_selectorELNS0_4arch9wavefront6targetE1EEEvSK_, .Lfunc_end945-_ZN7rocprim17ROCPRIM_400000_NS6detail17trampoline_kernelINS0_14default_configENS1_36segmented_radix_sort_config_selectorIslEEZNS1_25segmented_radix_sort_implIS3_Lb1EPKsPsPKlPlN2at6native12_GLOBAL__N_18offset_tEEE10hipError_tPvRmT1_PNSt15iterator_traitsISK_E10value_typeET2_T3_PNSL_ISQ_E10value_typeET4_jRbjT5_SW_jjP12ihipStream_tbEUlT_E2_NS1_11comp_targetILNS1_3genE2ELNS1_11target_archE906ELNS1_3gpuE6ELNS1_3repE0EEENS1_30default_config_static_selectorELNS0_4arch9wavefront6targetE1EEEvSK_
                                        ; -- End function
	.set _ZN7rocprim17ROCPRIM_400000_NS6detail17trampoline_kernelINS0_14default_configENS1_36segmented_radix_sort_config_selectorIslEEZNS1_25segmented_radix_sort_implIS3_Lb1EPKsPsPKlPlN2at6native12_GLOBAL__N_18offset_tEEE10hipError_tPvRmT1_PNSt15iterator_traitsISK_E10value_typeET2_T3_PNSL_ISQ_E10value_typeET4_jRbjT5_SW_jjP12ihipStream_tbEUlT_E2_NS1_11comp_targetILNS1_3genE2ELNS1_11target_archE906ELNS1_3gpuE6ELNS1_3repE0EEENS1_30default_config_static_selectorELNS0_4arch9wavefront6targetE1EEEvSK_.num_vgpr, max(95, .L_ZN7rocprim17ROCPRIM_400000_NS6detail26segmented_warp_sort_helperINS1_20WarpSortHelperConfigILj8ELj4ELj256EEEslLi256ELb1EvE4sortIPKsPsPKlPlEEvT_T0_T1_T2_jjjjRNS5_12storage_typeE.num_vgpr, .L_ZN7rocprim17ROCPRIM_400000_NS6detail40segmented_radix_sort_single_block_helperIslLj256ELj4ELb1EE4sortIPKsPsPKlPlEEbT_T0_T1_T2_jjjjRNS3_12storage_typeE.num_vgpr)
	.set _ZN7rocprim17ROCPRIM_400000_NS6detail17trampoline_kernelINS0_14default_configENS1_36segmented_radix_sort_config_selectorIslEEZNS1_25segmented_radix_sort_implIS3_Lb1EPKsPsPKlPlN2at6native12_GLOBAL__N_18offset_tEEE10hipError_tPvRmT1_PNSt15iterator_traitsISK_E10value_typeET2_T3_PNSL_ISQ_E10value_typeET4_jRbjT5_SW_jjP12ihipStream_tbEUlT_E2_NS1_11comp_targetILNS1_3genE2ELNS1_11target_archE906ELNS1_3gpuE6ELNS1_3repE0EEENS1_30default_config_static_selectorELNS0_4arch9wavefront6targetE1EEEvSK_.num_agpr, max(0, .L_ZN7rocprim17ROCPRIM_400000_NS6detail26segmented_warp_sort_helperINS1_20WarpSortHelperConfigILj8ELj4ELj256EEEslLi256ELb1EvE4sortIPKsPsPKlPlEEvT_T0_T1_T2_jjjjRNS5_12storage_typeE.num_agpr, .L_ZN7rocprim17ROCPRIM_400000_NS6detail40segmented_radix_sort_single_block_helperIslLj256ELj4ELb1EE4sortIPKsPsPKlPlEEbT_T0_T1_T2_jjjjRNS3_12storage_typeE.num_agpr)
	.set _ZN7rocprim17ROCPRIM_400000_NS6detail17trampoline_kernelINS0_14default_configENS1_36segmented_radix_sort_config_selectorIslEEZNS1_25segmented_radix_sort_implIS3_Lb1EPKsPsPKlPlN2at6native12_GLOBAL__N_18offset_tEEE10hipError_tPvRmT1_PNSt15iterator_traitsISK_E10value_typeET2_T3_PNSL_ISQ_E10value_typeET4_jRbjT5_SW_jjP12ihipStream_tbEUlT_E2_NS1_11comp_targetILNS1_3genE2ELNS1_11target_archE906ELNS1_3gpuE6ELNS1_3repE0EEENS1_30default_config_static_selectorELNS0_4arch9wavefront6targetE1EEEvSK_.numbered_sgpr, max(77, .L_ZN7rocprim17ROCPRIM_400000_NS6detail26segmented_warp_sort_helperINS1_20WarpSortHelperConfigILj8ELj4ELj256EEEslLi256ELb1EvE4sortIPKsPsPKlPlEEvT_T0_T1_T2_jjjjRNS5_12storage_typeE.numbered_sgpr, .L_ZN7rocprim17ROCPRIM_400000_NS6detail40segmented_radix_sort_single_block_helperIslLj256ELj4ELb1EE4sortIPKsPsPKlPlEEbT_T0_T1_T2_jjjjRNS3_12storage_typeE.numbered_sgpr)
	.set _ZN7rocprim17ROCPRIM_400000_NS6detail17trampoline_kernelINS0_14default_configENS1_36segmented_radix_sort_config_selectorIslEEZNS1_25segmented_radix_sort_implIS3_Lb1EPKsPsPKlPlN2at6native12_GLOBAL__N_18offset_tEEE10hipError_tPvRmT1_PNSt15iterator_traitsISK_E10value_typeET2_T3_PNSL_ISQ_E10value_typeET4_jRbjT5_SW_jjP12ihipStream_tbEUlT_E2_NS1_11comp_targetILNS1_3genE2ELNS1_11target_archE906ELNS1_3gpuE6ELNS1_3repE0EEENS1_30default_config_static_selectorELNS0_4arch9wavefront6targetE1EEEvSK_.num_named_barrier, max(0, .L_ZN7rocprim17ROCPRIM_400000_NS6detail26segmented_warp_sort_helperINS1_20WarpSortHelperConfigILj8ELj4ELj256EEEslLi256ELb1EvE4sortIPKsPsPKlPlEEvT_T0_T1_T2_jjjjRNS5_12storage_typeE.num_named_barrier, .L_ZN7rocprim17ROCPRIM_400000_NS6detail40segmented_radix_sort_single_block_helperIslLj256ELj4ELb1EE4sortIPKsPsPKlPlEEbT_T0_T1_T2_jjjjRNS3_12storage_typeE.num_named_barrier)
	.set _ZN7rocprim17ROCPRIM_400000_NS6detail17trampoline_kernelINS0_14default_configENS1_36segmented_radix_sort_config_selectorIslEEZNS1_25segmented_radix_sort_implIS3_Lb1EPKsPsPKlPlN2at6native12_GLOBAL__N_18offset_tEEE10hipError_tPvRmT1_PNSt15iterator_traitsISK_E10value_typeET2_T3_PNSL_ISQ_E10value_typeET4_jRbjT5_SW_jjP12ihipStream_tbEUlT_E2_NS1_11comp_targetILNS1_3genE2ELNS1_11target_archE906ELNS1_3gpuE6ELNS1_3repE0EEENS1_30default_config_static_selectorELNS0_4arch9wavefront6targetE1EEEvSK_.private_seg_size, 0+max(.L_ZN7rocprim17ROCPRIM_400000_NS6detail26segmented_warp_sort_helperINS1_20WarpSortHelperConfigILj8ELj4ELj256EEEslLi256ELb1EvE4sortIPKsPsPKlPlEEvT_T0_T1_T2_jjjjRNS5_12storage_typeE.private_seg_size, .L_ZN7rocprim17ROCPRIM_400000_NS6detail40segmented_radix_sort_single_block_helperIslLj256ELj4ELb1EE4sortIPKsPsPKlPlEEbT_T0_T1_T2_jjjjRNS3_12storage_typeE.private_seg_size)
	.set _ZN7rocprim17ROCPRIM_400000_NS6detail17trampoline_kernelINS0_14default_configENS1_36segmented_radix_sort_config_selectorIslEEZNS1_25segmented_radix_sort_implIS3_Lb1EPKsPsPKlPlN2at6native12_GLOBAL__N_18offset_tEEE10hipError_tPvRmT1_PNSt15iterator_traitsISK_E10value_typeET2_T3_PNSL_ISQ_E10value_typeET4_jRbjT5_SW_jjP12ihipStream_tbEUlT_E2_NS1_11comp_targetILNS1_3genE2ELNS1_11target_archE906ELNS1_3gpuE6ELNS1_3repE0EEENS1_30default_config_static_selectorELNS0_4arch9wavefront6targetE1EEEvSK_.uses_vcc, or(1, .L_ZN7rocprim17ROCPRIM_400000_NS6detail26segmented_warp_sort_helperINS1_20WarpSortHelperConfigILj8ELj4ELj256EEEslLi256ELb1EvE4sortIPKsPsPKlPlEEvT_T0_T1_T2_jjjjRNS5_12storage_typeE.uses_vcc, .L_ZN7rocprim17ROCPRIM_400000_NS6detail40segmented_radix_sort_single_block_helperIslLj256ELj4ELb1EE4sortIPKsPsPKlPlEEbT_T0_T1_T2_jjjjRNS3_12storage_typeE.uses_vcc)
	.set _ZN7rocprim17ROCPRIM_400000_NS6detail17trampoline_kernelINS0_14default_configENS1_36segmented_radix_sort_config_selectorIslEEZNS1_25segmented_radix_sort_implIS3_Lb1EPKsPsPKlPlN2at6native12_GLOBAL__N_18offset_tEEE10hipError_tPvRmT1_PNSt15iterator_traitsISK_E10value_typeET2_T3_PNSL_ISQ_E10value_typeET4_jRbjT5_SW_jjP12ihipStream_tbEUlT_E2_NS1_11comp_targetILNS1_3genE2ELNS1_11target_archE906ELNS1_3gpuE6ELNS1_3repE0EEENS1_30default_config_static_selectorELNS0_4arch9wavefront6targetE1EEEvSK_.uses_flat_scratch, or(0, .L_ZN7rocprim17ROCPRIM_400000_NS6detail26segmented_warp_sort_helperINS1_20WarpSortHelperConfigILj8ELj4ELj256EEEslLi256ELb1EvE4sortIPKsPsPKlPlEEvT_T0_T1_T2_jjjjRNS5_12storage_typeE.uses_flat_scratch, .L_ZN7rocprim17ROCPRIM_400000_NS6detail40segmented_radix_sort_single_block_helperIslLj256ELj4ELb1EE4sortIPKsPsPKlPlEEbT_T0_T1_T2_jjjjRNS3_12storage_typeE.uses_flat_scratch)
	.set _ZN7rocprim17ROCPRIM_400000_NS6detail17trampoline_kernelINS0_14default_configENS1_36segmented_radix_sort_config_selectorIslEEZNS1_25segmented_radix_sort_implIS3_Lb1EPKsPsPKlPlN2at6native12_GLOBAL__N_18offset_tEEE10hipError_tPvRmT1_PNSt15iterator_traitsISK_E10value_typeET2_T3_PNSL_ISQ_E10value_typeET4_jRbjT5_SW_jjP12ihipStream_tbEUlT_E2_NS1_11comp_targetILNS1_3genE2ELNS1_11target_archE906ELNS1_3gpuE6ELNS1_3repE0EEENS1_30default_config_static_selectorELNS0_4arch9wavefront6targetE1EEEvSK_.has_dyn_sized_stack, or(0, .L_ZN7rocprim17ROCPRIM_400000_NS6detail26segmented_warp_sort_helperINS1_20WarpSortHelperConfigILj8ELj4ELj256EEEslLi256ELb1EvE4sortIPKsPsPKlPlEEvT_T0_T1_T2_jjjjRNS5_12storage_typeE.has_dyn_sized_stack, .L_ZN7rocprim17ROCPRIM_400000_NS6detail40segmented_radix_sort_single_block_helperIslLj256ELj4ELb1EE4sortIPKsPsPKlPlEEbT_T0_T1_T2_jjjjRNS3_12storage_typeE.has_dyn_sized_stack)
	.set _ZN7rocprim17ROCPRIM_400000_NS6detail17trampoline_kernelINS0_14default_configENS1_36segmented_radix_sort_config_selectorIslEEZNS1_25segmented_radix_sort_implIS3_Lb1EPKsPsPKlPlN2at6native12_GLOBAL__N_18offset_tEEE10hipError_tPvRmT1_PNSt15iterator_traitsISK_E10value_typeET2_T3_PNSL_ISQ_E10value_typeET4_jRbjT5_SW_jjP12ihipStream_tbEUlT_E2_NS1_11comp_targetILNS1_3genE2ELNS1_11target_archE906ELNS1_3gpuE6ELNS1_3repE0EEENS1_30default_config_static_selectorELNS0_4arch9wavefront6targetE1EEEvSK_.has_recursion, or(0, .L_ZN7rocprim17ROCPRIM_400000_NS6detail26segmented_warp_sort_helperINS1_20WarpSortHelperConfigILj8ELj4ELj256EEEslLi256ELb1EvE4sortIPKsPsPKlPlEEvT_T0_T1_T2_jjjjRNS5_12storage_typeE.has_recursion, .L_ZN7rocprim17ROCPRIM_400000_NS6detail40segmented_radix_sort_single_block_helperIslLj256ELj4ELb1EE4sortIPKsPsPKlPlEEbT_T0_T1_T2_jjjjRNS3_12storage_typeE.has_recursion)
	.set _ZN7rocprim17ROCPRIM_400000_NS6detail17trampoline_kernelINS0_14default_configENS1_36segmented_radix_sort_config_selectorIslEEZNS1_25segmented_radix_sort_implIS3_Lb1EPKsPsPKlPlN2at6native12_GLOBAL__N_18offset_tEEE10hipError_tPvRmT1_PNSt15iterator_traitsISK_E10value_typeET2_T3_PNSL_ISQ_E10value_typeET4_jRbjT5_SW_jjP12ihipStream_tbEUlT_E2_NS1_11comp_targetILNS1_3genE2ELNS1_11target_archE906ELNS1_3gpuE6ELNS1_3repE0EEENS1_30default_config_static_selectorELNS0_4arch9wavefront6targetE1EEEvSK_.has_indirect_call, or(0, .L_ZN7rocprim17ROCPRIM_400000_NS6detail26segmented_warp_sort_helperINS1_20WarpSortHelperConfigILj8ELj4ELj256EEEslLi256ELb1EvE4sortIPKsPsPKlPlEEvT_T0_T1_T2_jjjjRNS5_12storage_typeE.has_indirect_call, .L_ZN7rocprim17ROCPRIM_400000_NS6detail40segmented_radix_sort_single_block_helperIslLj256ELj4ELb1EE4sortIPKsPsPKlPlEEbT_T0_T1_T2_jjjjRNS3_12storage_typeE.has_indirect_call)
	.section	.AMDGPU.csdata,"",@progbits
; Kernel info:
; codeLenInByte = 21792
; TotalNumSgprs: 81
; NumVgprs: 95
; ScratchSize: 0
; MemoryBound: 0
; FloatMode: 240
; IeeeMode: 1
; LDSByteSize: 10256 bytes/workgroup (compile time only)
; SGPRBlocks: 12
; VGPRBlocks: 23
; NumSGPRsForWavesPerEU: 97
; NumVGPRsForWavesPerEU: 95
; Occupancy: 2
; WaveLimiterHint : 1
; COMPUTE_PGM_RSRC2:SCRATCH_EN: 0
; COMPUTE_PGM_RSRC2:USER_SGPR: 6
; COMPUTE_PGM_RSRC2:TRAP_HANDLER: 0
; COMPUTE_PGM_RSRC2:TGID_X_EN: 1
; COMPUTE_PGM_RSRC2:TGID_Y_EN: 1
; COMPUTE_PGM_RSRC2:TGID_Z_EN: 0
; COMPUTE_PGM_RSRC2:TIDIG_COMP_CNT: 2
	.section	.text._ZN7rocprim17ROCPRIM_400000_NS6detail17trampoline_kernelINS0_14default_configENS1_36segmented_radix_sort_config_selectorIslEEZNS1_25segmented_radix_sort_implIS3_Lb1EPKsPsPKlPlN2at6native12_GLOBAL__N_18offset_tEEE10hipError_tPvRmT1_PNSt15iterator_traitsISK_E10value_typeET2_T3_PNSL_ISQ_E10value_typeET4_jRbjT5_SW_jjP12ihipStream_tbEUlT_E2_NS1_11comp_targetILNS1_3genE10ELNS1_11target_archE1201ELNS1_3gpuE5ELNS1_3repE0EEENS1_30default_config_static_selectorELNS0_4arch9wavefront6targetE1EEEvSK_,"axG",@progbits,_ZN7rocprim17ROCPRIM_400000_NS6detail17trampoline_kernelINS0_14default_configENS1_36segmented_radix_sort_config_selectorIslEEZNS1_25segmented_radix_sort_implIS3_Lb1EPKsPsPKlPlN2at6native12_GLOBAL__N_18offset_tEEE10hipError_tPvRmT1_PNSt15iterator_traitsISK_E10value_typeET2_T3_PNSL_ISQ_E10value_typeET4_jRbjT5_SW_jjP12ihipStream_tbEUlT_E2_NS1_11comp_targetILNS1_3genE10ELNS1_11target_archE1201ELNS1_3gpuE5ELNS1_3repE0EEENS1_30default_config_static_selectorELNS0_4arch9wavefront6targetE1EEEvSK_,comdat
	.globl	_ZN7rocprim17ROCPRIM_400000_NS6detail17trampoline_kernelINS0_14default_configENS1_36segmented_radix_sort_config_selectorIslEEZNS1_25segmented_radix_sort_implIS3_Lb1EPKsPsPKlPlN2at6native12_GLOBAL__N_18offset_tEEE10hipError_tPvRmT1_PNSt15iterator_traitsISK_E10value_typeET2_T3_PNSL_ISQ_E10value_typeET4_jRbjT5_SW_jjP12ihipStream_tbEUlT_E2_NS1_11comp_targetILNS1_3genE10ELNS1_11target_archE1201ELNS1_3gpuE5ELNS1_3repE0EEENS1_30default_config_static_selectorELNS0_4arch9wavefront6targetE1EEEvSK_ ; -- Begin function _ZN7rocprim17ROCPRIM_400000_NS6detail17trampoline_kernelINS0_14default_configENS1_36segmented_radix_sort_config_selectorIslEEZNS1_25segmented_radix_sort_implIS3_Lb1EPKsPsPKlPlN2at6native12_GLOBAL__N_18offset_tEEE10hipError_tPvRmT1_PNSt15iterator_traitsISK_E10value_typeET2_T3_PNSL_ISQ_E10value_typeET4_jRbjT5_SW_jjP12ihipStream_tbEUlT_E2_NS1_11comp_targetILNS1_3genE10ELNS1_11target_archE1201ELNS1_3gpuE5ELNS1_3repE0EEENS1_30default_config_static_selectorELNS0_4arch9wavefront6targetE1EEEvSK_
	.p2align	8
	.type	_ZN7rocprim17ROCPRIM_400000_NS6detail17trampoline_kernelINS0_14default_configENS1_36segmented_radix_sort_config_selectorIslEEZNS1_25segmented_radix_sort_implIS3_Lb1EPKsPsPKlPlN2at6native12_GLOBAL__N_18offset_tEEE10hipError_tPvRmT1_PNSt15iterator_traitsISK_E10value_typeET2_T3_PNSL_ISQ_E10value_typeET4_jRbjT5_SW_jjP12ihipStream_tbEUlT_E2_NS1_11comp_targetILNS1_3genE10ELNS1_11target_archE1201ELNS1_3gpuE5ELNS1_3repE0EEENS1_30default_config_static_selectorELNS0_4arch9wavefront6targetE1EEEvSK_,@function
_ZN7rocprim17ROCPRIM_400000_NS6detail17trampoline_kernelINS0_14default_configENS1_36segmented_radix_sort_config_selectorIslEEZNS1_25segmented_radix_sort_implIS3_Lb1EPKsPsPKlPlN2at6native12_GLOBAL__N_18offset_tEEE10hipError_tPvRmT1_PNSt15iterator_traitsISK_E10value_typeET2_T3_PNSL_ISQ_E10value_typeET4_jRbjT5_SW_jjP12ihipStream_tbEUlT_E2_NS1_11comp_targetILNS1_3genE10ELNS1_11target_archE1201ELNS1_3gpuE5ELNS1_3repE0EEENS1_30default_config_static_selectorELNS0_4arch9wavefront6targetE1EEEvSK_: ; @_ZN7rocprim17ROCPRIM_400000_NS6detail17trampoline_kernelINS0_14default_configENS1_36segmented_radix_sort_config_selectorIslEEZNS1_25segmented_radix_sort_implIS3_Lb1EPKsPsPKlPlN2at6native12_GLOBAL__N_18offset_tEEE10hipError_tPvRmT1_PNSt15iterator_traitsISK_E10value_typeET2_T3_PNSL_ISQ_E10value_typeET4_jRbjT5_SW_jjP12ihipStream_tbEUlT_E2_NS1_11comp_targetILNS1_3genE10ELNS1_11target_archE1201ELNS1_3gpuE5ELNS1_3repE0EEENS1_30default_config_static_selectorELNS0_4arch9wavefront6targetE1EEEvSK_
; %bb.0:
	.section	.rodata,"a",@progbits
	.p2align	6, 0x0
	.amdhsa_kernel _ZN7rocprim17ROCPRIM_400000_NS6detail17trampoline_kernelINS0_14default_configENS1_36segmented_radix_sort_config_selectorIslEEZNS1_25segmented_radix_sort_implIS3_Lb1EPKsPsPKlPlN2at6native12_GLOBAL__N_18offset_tEEE10hipError_tPvRmT1_PNSt15iterator_traitsISK_E10value_typeET2_T3_PNSL_ISQ_E10value_typeET4_jRbjT5_SW_jjP12ihipStream_tbEUlT_E2_NS1_11comp_targetILNS1_3genE10ELNS1_11target_archE1201ELNS1_3gpuE5ELNS1_3repE0EEENS1_30default_config_static_selectorELNS0_4arch9wavefront6targetE1EEEvSK_
		.amdhsa_group_segment_fixed_size 0
		.amdhsa_private_segment_fixed_size 0
		.amdhsa_kernarg_size 80
		.amdhsa_user_sgpr_count 6
		.amdhsa_user_sgpr_private_segment_buffer 1
		.amdhsa_user_sgpr_dispatch_ptr 0
		.amdhsa_user_sgpr_queue_ptr 0
		.amdhsa_user_sgpr_kernarg_segment_ptr 1
		.amdhsa_user_sgpr_dispatch_id 0
		.amdhsa_user_sgpr_flat_scratch_init 0
		.amdhsa_user_sgpr_private_segment_size 0
		.amdhsa_uses_dynamic_stack 0
		.amdhsa_system_sgpr_private_segment_wavefront_offset 0
		.amdhsa_system_sgpr_workgroup_id_x 1
		.amdhsa_system_sgpr_workgroup_id_y 0
		.amdhsa_system_sgpr_workgroup_id_z 0
		.amdhsa_system_sgpr_workgroup_info 0
		.amdhsa_system_vgpr_workitem_id 0
		.amdhsa_next_free_vgpr 1
		.amdhsa_next_free_sgpr 0
		.amdhsa_reserve_vcc 0
		.amdhsa_reserve_flat_scratch 0
		.amdhsa_float_round_mode_32 0
		.amdhsa_float_round_mode_16_64 0
		.amdhsa_float_denorm_mode_32 3
		.amdhsa_float_denorm_mode_16_64 3
		.amdhsa_dx10_clamp 1
		.amdhsa_ieee_mode 1
		.amdhsa_fp16_overflow 0
		.amdhsa_exception_fp_ieee_invalid_op 0
		.amdhsa_exception_fp_denorm_src 0
		.amdhsa_exception_fp_ieee_div_zero 0
		.amdhsa_exception_fp_ieee_overflow 0
		.amdhsa_exception_fp_ieee_underflow 0
		.amdhsa_exception_fp_ieee_inexact 0
		.amdhsa_exception_int_div_zero 0
	.end_amdhsa_kernel
	.section	.text._ZN7rocprim17ROCPRIM_400000_NS6detail17trampoline_kernelINS0_14default_configENS1_36segmented_radix_sort_config_selectorIslEEZNS1_25segmented_radix_sort_implIS3_Lb1EPKsPsPKlPlN2at6native12_GLOBAL__N_18offset_tEEE10hipError_tPvRmT1_PNSt15iterator_traitsISK_E10value_typeET2_T3_PNSL_ISQ_E10value_typeET4_jRbjT5_SW_jjP12ihipStream_tbEUlT_E2_NS1_11comp_targetILNS1_3genE10ELNS1_11target_archE1201ELNS1_3gpuE5ELNS1_3repE0EEENS1_30default_config_static_selectorELNS0_4arch9wavefront6targetE1EEEvSK_,"axG",@progbits,_ZN7rocprim17ROCPRIM_400000_NS6detail17trampoline_kernelINS0_14default_configENS1_36segmented_radix_sort_config_selectorIslEEZNS1_25segmented_radix_sort_implIS3_Lb1EPKsPsPKlPlN2at6native12_GLOBAL__N_18offset_tEEE10hipError_tPvRmT1_PNSt15iterator_traitsISK_E10value_typeET2_T3_PNSL_ISQ_E10value_typeET4_jRbjT5_SW_jjP12ihipStream_tbEUlT_E2_NS1_11comp_targetILNS1_3genE10ELNS1_11target_archE1201ELNS1_3gpuE5ELNS1_3repE0EEENS1_30default_config_static_selectorELNS0_4arch9wavefront6targetE1EEEvSK_,comdat
.Lfunc_end946:
	.size	_ZN7rocprim17ROCPRIM_400000_NS6detail17trampoline_kernelINS0_14default_configENS1_36segmented_radix_sort_config_selectorIslEEZNS1_25segmented_radix_sort_implIS3_Lb1EPKsPsPKlPlN2at6native12_GLOBAL__N_18offset_tEEE10hipError_tPvRmT1_PNSt15iterator_traitsISK_E10value_typeET2_T3_PNSL_ISQ_E10value_typeET4_jRbjT5_SW_jjP12ihipStream_tbEUlT_E2_NS1_11comp_targetILNS1_3genE10ELNS1_11target_archE1201ELNS1_3gpuE5ELNS1_3repE0EEENS1_30default_config_static_selectorELNS0_4arch9wavefront6targetE1EEEvSK_, .Lfunc_end946-_ZN7rocprim17ROCPRIM_400000_NS6detail17trampoline_kernelINS0_14default_configENS1_36segmented_radix_sort_config_selectorIslEEZNS1_25segmented_radix_sort_implIS3_Lb1EPKsPsPKlPlN2at6native12_GLOBAL__N_18offset_tEEE10hipError_tPvRmT1_PNSt15iterator_traitsISK_E10value_typeET2_T3_PNSL_ISQ_E10value_typeET4_jRbjT5_SW_jjP12ihipStream_tbEUlT_E2_NS1_11comp_targetILNS1_3genE10ELNS1_11target_archE1201ELNS1_3gpuE5ELNS1_3repE0EEENS1_30default_config_static_selectorELNS0_4arch9wavefront6targetE1EEEvSK_
                                        ; -- End function
	.set _ZN7rocprim17ROCPRIM_400000_NS6detail17trampoline_kernelINS0_14default_configENS1_36segmented_radix_sort_config_selectorIslEEZNS1_25segmented_radix_sort_implIS3_Lb1EPKsPsPKlPlN2at6native12_GLOBAL__N_18offset_tEEE10hipError_tPvRmT1_PNSt15iterator_traitsISK_E10value_typeET2_T3_PNSL_ISQ_E10value_typeET4_jRbjT5_SW_jjP12ihipStream_tbEUlT_E2_NS1_11comp_targetILNS1_3genE10ELNS1_11target_archE1201ELNS1_3gpuE5ELNS1_3repE0EEENS1_30default_config_static_selectorELNS0_4arch9wavefront6targetE1EEEvSK_.num_vgpr, 0
	.set _ZN7rocprim17ROCPRIM_400000_NS6detail17trampoline_kernelINS0_14default_configENS1_36segmented_radix_sort_config_selectorIslEEZNS1_25segmented_radix_sort_implIS3_Lb1EPKsPsPKlPlN2at6native12_GLOBAL__N_18offset_tEEE10hipError_tPvRmT1_PNSt15iterator_traitsISK_E10value_typeET2_T3_PNSL_ISQ_E10value_typeET4_jRbjT5_SW_jjP12ihipStream_tbEUlT_E2_NS1_11comp_targetILNS1_3genE10ELNS1_11target_archE1201ELNS1_3gpuE5ELNS1_3repE0EEENS1_30default_config_static_selectorELNS0_4arch9wavefront6targetE1EEEvSK_.num_agpr, 0
	.set _ZN7rocprim17ROCPRIM_400000_NS6detail17trampoline_kernelINS0_14default_configENS1_36segmented_radix_sort_config_selectorIslEEZNS1_25segmented_radix_sort_implIS3_Lb1EPKsPsPKlPlN2at6native12_GLOBAL__N_18offset_tEEE10hipError_tPvRmT1_PNSt15iterator_traitsISK_E10value_typeET2_T3_PNSL_ISQ_E10value_typeET4_jRbjT5_SW_jjP12ihipStream_tbEUlT_E2_NS1_11comp_targetILNS1_3genE10ELNS1_11target_archE1201ELNS1_3gpuE5ELNS1_3repE0EEENS1_30default_config_static_selectorELNS0_4arch9wavefront6targetE1EEEvSK_.numbered_sgpr, 0
	.set _ZN7rocprim17ROCPRIM_400000_NS6detail17trampoline_kernelINS0_14default_configENS1_36segmented_radix_sort_config_selectorIslEEZNS1_25segmented_radix_sort_implIS3_Lb1EPKsPsPKlPlN2at6native12_GLOBAL__N_18offset_tEEE10hipError_tPvRmT1_PNSt15iterator_traitsISK_E10value_typeET2_T3_PNSL_ISQ_E10value_typeET4_jRbjT5_SW_jjP12ihipStream_tbEUlT_E2_NS1_11comp_targetILNS1_3genE10ELNS1_11target_archE1201ELNS1_3gpuE5ELNS1_3repE0EEENS1_30default_config_static_selectorELNS0_4arch9wavefront6targetE1EEEvSK_.num_named_barrier, 0
	.set _ZN7rocprim17ROCPRIM_400000_NS6detail17trampoline_kernelINS0_14default_configENS1_36segmented_radix_sort_config_selectorIslEEZNS1_25segmented_radix_sort_implIS3_Lb1EPKsPsPKlPlN2at6native12_GLOBAL__N_18offset_tEEE10hipError_tPvRmT1_PNSt15iterator_traitsISK_E10value_typeET2_T3_PNSL_ISQ_E10value_typeET4_jRbjT5_SW_jjP12ihipStream_tbEUlT_E2_NS1_11comp_targetILNS1_3genE10ELNS1_11target_archE1201ELNS1_3gpuE5ELNS1_3repE0EEENS1_30default_config_static_selectorELNS0_4arch9wavefront6targetE1EEEvSK_.private_seg_size, 0
	.set _ZN7rocprim17ROCPRIM_400000_NS6detail17trampoline_kernelINS0_14default_configENS1_36segmented_radix_sort_config_selectorIslEEZNS1_25segmented_radix_sort_implIS3_Lb1EPKsPsPKlPlN2at6native12_GLOBAL__N_18offset_tEEE10hipError_tPvRmT1_PNSt15iterator_traitsISK_E10value_typeET2_T3_PNSL_ISQ_E10value_typeET4_jRbjT5_SW_jjP12ihipStream_tbEUlT_E2_NS1_11comp_targetILNS1_3genE10ELNS1_11target_archE1201ELNS1_3gpuE5ELNS1_3repE0EEENS1_30default_config_static_selectorELNS0_4arch9wavefront6targetE1EEEvSK_.uses_vcc, 0
	.set _ZN7rocprim17ROCPRIM_400000_NS6detail17trampoline_kernelINS0_14default_configENS1_36segmented_radix_sort_config_selectorIslEEZNS1_25segmented_radix_sort_implIS3_Lb1EPKsPsPKlPlN2at6native12_GLOBAL__N_18offset_tEEE10hipError_tPvRmT1_PNSt15iterator_traitsISK_E10value_typeET2_T3_PNSL_ISQ_E10value_typeET4_jRbjT5_SW_jjP12ihipStream_tbEUlT_E2_NS1_11comp_targetILNS1_3genE10ELNS1_11target_archE1201ELNS1_3gpuE5ELNS1_3repE0EEENS1_30default_config_static_selectorELNS0_4arch9wavefront6targetE1EEEvSK_.uses_flat_scratch, 0
	.set _ZN7rocprim17ROCPRIM_400000_NS6detail17trampoline_kernelINS0_14default_configENS1_36segmented_radix_sort_config_selectorIslEEZNS1_25segmented_radix_sort_implIS3_Lb1EPKsPsPKlPlN2at6native12_GLOBAL__N_18offset_tEEE10hipError_tPvRmT1_PNSt15iterator_traitsISK_E10value_typeET2_T3_PNSL_ISQ_E10value_typeET4_jRbjT5_SW_jjP12ihipStream_tbEUlT_E2_NS1_11comp_targetILNS1_3genE10ELNS1_11target_archE1201ELNS1_3gpuE5ELNS1_3repE0EEENS1_30default_config_static_selectorELNS0_4arch9wavefront6targetE1EEEvSK_.has_dyn_sized_stack, 0
	.set _ZN7rocprim17ROCPRIM_400000_NS6detail17trampoline_kernelINS0_14default_configENS1_36segmented_radix_sort_config_selectorIslEEZNS1_25segmented_radix_sort_implIS3_Lb1EPKsPsPKlPlN2at6native12_GLOBAL__N_18offset_tEEE10hipError_tPvRmT1_PNSt15iterator_traitsISK_E10value_typeET2_T3_PNSL_ISQ_E10value_typeET4_jRbjT5_SW_jjP12ihipStream_tbEUlT_E2_NS1_11comp_targetILNS1_3genE10ELNS1_11target_archE1201ELNS1_3gpuE5ELNS1_3repE0EEENS1_30default_config_static_selectorELNS0_4arch9wavefront6targetE1EEEvSK_.has_recursion, 0
	.set _ZN7rocprim17ROCPRIM_400000_NS6detail17trampoline_kernelINS0_14default_configENS1_36segmented_radix_sort_config_selectorIslEEZNS1_25segmented_radix_sort_implIS3_Lb1EPKsPsPKlPlN2at6native12_GLOBAL__N_18offset_tEEE10hipError_tPvRmT1_PNSt15iterator_traitsISK_E10value_typeET2_T3_PNSL_ISQ_E10value_typeET4_jRbjT5_SW_jjP12ihipStream_tbEUlT_E2_NS1_11comp_targetILNS1_3genE10ELNS1_11target_archE1201ELNS1_3gpuE5ELNS1_3repE0EEENS1_30default_config_static_selectorELNS0_4arch9wavefront6targetE1EEEvSK_.has_indirect_call, 0
	.section	.AMDGPU.csdata,"",@progbits
; Kernel info:
; codeLenInByte = 0
; TotalNumSgprs: 4
; NumVgprs: 0
; ScratchSize: 0
; MemoryBound: 0
; FloatMode: 240
; IeeeMode: 1
; LDSByteSize: 0 bytes/workgroup (compile time only)
; SGPRBlocks: 0
; VGPRBlocks: 0
; NumSGPRsForWavesPerEU: 4
; NumVGPRsForWavesPerEU: 1
; Occupancy: 10
; WaveLimiterHint : 0
; COMPUTE_PGM_RSRC2:SCRATCH_EN: 0
; COMPUTE_PGM_RSRC2:USER_SGPR: 6
; COMPUTE_PGM_RSRC2:TRAP_HANDLER: 0
; COMPUTE_PGM_RSRC2:TGID_X_EN: 1
; COMPUTE_PGM_RSRC2:TGID_Y_EN: 0
; COMPUTE_PGM_RSRC2:TGID_Z_EN: 0
; COMPUTE_PGM_RSRC2:TIDIG_COMP_CNT: 0
	.section	.text._ZN7rocprim17ROCPRIM_400000_NS6detail17trampoline_kernelINS0_14default_configENS1_36segmented_radix_sort_config_selectorIslEEZNS1_25segmented_radix_sort_implIS3_Lb1EPKsPsPKlPlN2at6native12_GLOBAL__N_18offset_tEEE10hipError_tPvRmT1_PNSt15iterator_traitsISK_E10value_typeET2_T3_PNSL_ISQ_E10value_typeET4_jRbjT5_SW_jjP12ihipStream_tbEUlT_E2_NS1_11comp_targetILNS1_3genE10ELNS1_11target_archE1200ELNS1_3gpuE4ELNS1_3repE0EEENS1_30default_config_static_selectorELNS0_4arch9wavefront6targetE1EEEvSK_,"axG",@progbits,_ZN7rocprim17ROCPRIM_400000_NS6detail17trampoline_kernelINS0_14default_configENS1_36segmented_radix_sort_config_selectorIslEEZNS1_25segmented_radix_sort_implIS3_Lb1EPKsPsPKlPlN2at6native12_GLOBAL__N_18offset_tEEE10hipError_tPvRmT1_PNSt15iterator_traitsISK_E10value_typeET2_T3_PNSL_ISQ_E10value_typeET4_jRbjT5_SW_jjP12ihipStream_tbEUlT_E2_NS1_11comp_targetILNS1_3genE10ELNS1_11target_archE1200ELNS1_3gpuE4ELNS1_3repE0EEENS1_30default_config_static_selectorELNS0_4arch9wavefront6targetE1EEEvSK_,comdat
	.globl	_ZN7rocprim17ROCPRIM_400000_NS6detail17trampoline_kernelINS0_14default_configENS1_36segmented_radix_sort_config_selectorIslEEZNS1_25segmented_radix_sort_implIS3_Lb1EPKsPsPKlPlN2at6native12_GLOBAL__N_18offset_tEEE10hipError_tPvRmT1_PNSt15iterator_traitsISK_E10value_typeET2_T3_PNSL_ISQ_E10value_typeET4_jRbjT5_SW_jjP12ihipStream_tbEUlT_E2_NS1_11comp_targetILNS1_3genE10ELNS1_11target_archE1200ELNS1_3gpuE4ELNS1_3repE0EEENS1_30default_config_static_selectorELNS0_4arch9wavefront6targetE1EEEvSK_ ; -- Begin function _ZN7rocprim17ROCPRIM_400000_NS6detail17trampoline_kernelINS0_14default_configENS1_36segmented_radix_sort_config_selectorIslEEZNS1_25segmented_radix_sort_implIS3_Lb1EPKsPsPKlPlN2at6native12_GLOBAL__N_18offset_tEEE10hipError_tPvRmT1_PNSt15iterator_traitsISK_E10value_typeET2_T3_PNSL_ISQ_E10value_typeET4_jRbjT5_SW_jjP12ihipStream_tbEUlT_E2_NS1_11comp_targetILNS1_3genE10ELNS1_11target_archE1200ELNS1_3gpuE4ELNS1_3repE0EEENS1_30default_config_static_selectorELNS0_4arch9wavefront6targetE1EEEvSK_
	.p2align	8
	.type	_ZN7rocprim17ROCPRIM_400000_NS6detail17trampoline_kernelINS0_14default_configENS1_36segmented_radix_sort_config_selectorIslEEZNS1_25segmented_radix_sort_implIS3_Lb1EPKsPsPKlPlN2at6native12_GLOBAL__N_18offset_tEEE10hipError_tPvRmT1_PNSt15iterator_traitsISK_E10value_typeET2_T3_PNSL_ISQ_E10value_typeET4_jRbjT5_SW_jjP12ihipStream_tbEUlT_E2_NS1_11comp_targetILNS1_3genE10ELNS1_11target_archE1200ELNS1_3gpuE4ELNS1_3repE0EEENS1_30default_config_static_selectorELNS0_4arch9wavefront6targetE1EEEvSK_,@function
_ZN7rocprim17ROCPRIM_400000_NS6detail17trampoline_kernelINS0_14default_configENS1_36segmented_radix_sort_config_selectorIslEEZNS1_25segmented_radix_sort_implIS3_Lb1EPKsPsPKlPlN2at6native12_GLOBAL__N_18offset_tEEE10hipError_tPvRmT1_PNSt15iterator_traitsISK_E10value_typeET2_T3_PNSL_ISQ_E10value_typeET4_jRbjT5_SW_jjP12ihipStream_tbEUlT_E2_NS1_11comp_targetILNS1_3genE10ELNS1_11target_archE1200ELNS1_3gpuE4ELNS1_3repE0EEENS1_30default_config_static_selectorELNS0_4arch9wavefront6targetE1EEEvSK_: ; @_ZN7rocprim17ROCPRIM_400000_NS6detail17trampoline_kernelINS0_14default_configENS1_36segmented_radix_sort_config_selectorIslEEZNS1_25segmented_radix_sort_implIS3_Lb1EPKsPsPKlPlN2at6native12_GLOBAL__N_18offset_tEEE10hipError_tPvRmT1_PNSt15iterator_traitsISK_E10value_typeET2_T3_PNSL_ISQ_E10value_typeET4_jRbjT5_SW_jjP12ihipStream_tbEUlT_E2_NS1_11comp_targetILNS1_3genE10ELNS1_11target_archE1200ELNS1_3gpuE4ELNS1_3repE0EEENS1_30default_config_static_selectorELNS0_4arch9wavefront6targetE1EEEvSK_
; %bb.0:
	.section	.rodata,"a",@progbits
	.p2align	6, 0x0
	.amdhsa_kernel _ZN7rocprim17ROCPRIM_400000_NS6detail17trampoline_kernelINS0_14default_configENS1_36segmented_radix_sort_config_selectorIslEEZNS1_25segmented_radix_sort_implIS3_Lb1EPKsPsPKlPlN2at6native12_GLOBAL__N_18offset_tEEE10hipError_tPvRmT1_PNSt15iterator_traitsISK_E10value_typeET2_T3_PNSL_ISQ_E10value_typeET4_jRbjT5_SW_jjP12ihipStream_tbEUlT_E2_NS1_11comp_targetILNS1_3genE10ELNS1_11target_archE1200ELNS1_3gpuE4ELNS1_3repE0EEENS1_30default_config_static_selectorELNS0_4arch9wavefront6targetE1EEEvSK_
		.amdhsa_group_segment_fixed_size 0
		.amdhsa_private_segment_fixed_size 0
		.amdhsa_kernarg_size 80
		.amdhsa_user_sgpr_count 6
		.amdhsa_user_sgpr_private_segment_buffer 1
		.amdhsa_user_sgpr_dispatch_ptr 0
		.amdhsa_user_sgpr_queue_ptr 0
		.amdhsa_user_sgpr_kernarg_segment_ptr 1
		.amdhsa_user_sgpr_dispatch_id 0
		.amdhsa_user_sgpr_flat_scratch_init 0
		.amdhsa_user_sgpr_private_segment_size 0
		.amdhsa_uses_dynamic_stack 0
		.amdhsa_system_sgpr_private_segment_wavefront_offset 0
		.amdhsa_system_sgpr_workgroup_id_x 1
		.amdhsa_system_sgpr_workgroup_id_y 0
		.amdhsa_system_sgpr_workgroup_id_z 0
		.amdhsa_system_sgpr_workgroup_info 0
		.amdhsa_system_vgpr_workitem_id 0
		.amdhsa_next_free_vgpr 1
		.amdhsa_next_free_sgpr 0
		.amdhsa_reserve_vcc 0
		.amdhsa_reserve_flat_scratch 0
		.amdhsa_float_round_mode_32 0
		.amdhsa_float_round_mode_16_64 0
		.amdhsa_float_denorm_mode_32 3
		.amdhsa_float_denorm_mode_16_64 3
		.amdhsa_dx10_clamp 1
		.amdhsa_ieee_mode 1
		.amdhsa_fp16_overflow 0
		.amdhsa_exception_fp_ieee_invalid_op 0
		.amdhsa_exception_fp_denorm_src 0
		.amdhsa_exception_fp_ieee_div_zero 0
		.amdhsa_exception_fp_ieee_overflow 0
		.amdhsa_exception_fp_ieee_underflow 0
		.amdhsa_exception_fp_ieee_inexact 0
		.amdhsa_exception_int_div_zero 0
	.end_amdhsa_kernel
	.section	.text._ZN7rocprim17ROCPRIM_400000_NS6detail17trampoline_kernelINS0_14default_configENS1_36segmented_radix_sort_config_selectorIslEEZNS1_25segmented_radix_sort_implIS3_Lb1EPKsPsPKlPlN2at6native12_GLOBAL__N_18offset_tEEE10hipError_tPvRmT1_PNSt15iterator_traitsISK_E10value_typeET2_T3_PNSL_ISQ_E10value_typeET4_jRbjT5_SW_jjP12ihipStream_tbEUlT_E2_NS1_11comp_targetILNS1_3genE10ELNS1_11target_archE1200ELNS1_3gpuE4ELNS1_3repE0EEENS1_30default_config_static_selectorELNS0_4arch9wavefront6targetE1EEEvSK_,"axG",@progbits,_ZN7rocprim17ROCPRIM_400000_NS6detail17trampoline_kernelINS0_14default_configENS1_36segmented_radix_sort_config_selectorIslEEZNS1_25segmented_radix_sort_implIS3_Lb1EPKsPsPKlPlN2at6native12_GLOBAL__N_18offset_tEEE10hipError_tPvRmT1_PNSt15iterator_traitsISK_E10value_typeET2_T3_PNSL_ISQ_E10value_typeET4_jRbjT5_SW_jjP12ihipStream_tbEUlT_E2_NS1_11comp_targetILNS1_3genE10ELNS1_11target_archE1200ELNS1_3gpuE4ELNS1_3repE0EEENS1_30default_config_static_selectorELNS0_4arch9wavefront6targetE1EEEvSK_,comdat
.Lfunc_end947:
	.size	_ZN7rocprim17ROCPRIM_400000_NS6detail17trampoline_kernelINS0_14default_configENS1_36segmented_radix_sort_config_selectorIslEEZNS1_25segmented_radix_sort_implIS3_Lb1EPKsPsPKlPlN2at6native12_GLOBAL__N_18offset_tEEE10hipError_tPvRmT1_PNSt15iterator_traitsISK_E10value_typeET2_T3_PNSL_ISQ_E10value_typeET4_jRbjT5_SW_jjP12ihipStream_tbEUlT_E2_NS1_11comp_targetILNS1_3genE10ELNS1_11target_archE1200ELNS1_3gpuE4ELNS1_3repE0EEENS1_30default_config_static_selectorELNS0_4arch9wavefront6targetE1EEEvSK_, .Lfunc_end947-_ZN7rocprim17ROCPRIM_400000_NS6detail17trampoline_kernelINS0_14default_configENS1_36segmented_radix_sort_config_selectorIslEEZNS1_25segmented_radix_sort_implIS3_Lb1EPKsPsPKlPlN2at6native12_GLOBAL__N_18offset_tEEE10hipError_tPvRmT1_PNSt15iterator_traitsISK_E10value_typeET2_T3_PNSL_ISQ_E10value_typeET4_jRbjT5_SW_jjP12ihipStream_tbEUlT_E2_NS1_11comp_targetILNS1_3genE10ELNS1_11target_archE1200ELNS1_3gpuE4ELNS1_3repE0EEENS1_30default_config_static_selectorELNS0_4arch9wavefront6targetE1EEEvSK_
                                        ; -- End function
	.set _ZN7rocprim17ROCPRIM_400000_NS6detail17trampoline_kernelINS0_14default_configENS1_36segmented_radix_sort_config_selectorIslEEZNS1_25segmented_radix_sort_implIS3_Lb1EPKsPsPKlPlN2at6native12_GLOBAL__N_18offset_tEEE10hipError_tPvRmT1_PNSt15iterator_traitsISK_E10value_typeET2_T3_PNSL_ISQ_E10value_typeET4_jRbjT5_SW_jjP12ihipStream_tbEUlT_E2_NS1_11comp_targetILNS1_3genE10ELNS1_11target_archE1200ELNS1_3gpuE4ELNS1_3repE0EEENS1_30default_config_static_selectorELNS0_4arch9wavefront6targetE1EEEvSK_.num_vgpr, 0
	.set _ZN7rocprim17ROCPRIM_400000_NS6detail17trampoline_kernelINS0_14default_configENS1_36segmented_radix_sort_config_selectorIslEEZNS1_25segmented_radix_sort_implIS3_Lb1EPKsPsPKlPlN2at6native12_GLOBAL__N_18offset_tEEE10hipError_tPvRmT1_PNSt15iterator_traitsISK_E10value_typeET2_T3_PNSL_ISQ_E10value_typeET4_jRbjT5_SW_jjP12ihipStream_tbEUlT_E2_NS1_11comp_targetILNS1_3genE10ELNS1_11target_archE1200ELNS1_3gpuE4ELNS1_3repE0EEENS1_30default_config_static_selectorELNS0_4arch9wavefront6targetE1EEEvSK_.num_agpr, 0
	.set _ZN7rocprim17ROCPRIM_400000_NS6detail17trampoline_kernelINS0_14default_configENS1_36segmented_radix_sort_config_selectorIslEEZNS1_25segmented_radix_sort_implIS3_Lb1EPKsPsPKlPlN2at6native12_GLOBAL__N_18offset_tEEE10hipError_tPvRmT1_PNSt15iterator_traitsISK_E10value_typeET2_T3_PNSL_ISQ_E10value_typeET4_jRbjT5_SW_jjP12ihipStream_tbEUlT_E2_NS1_11comp_targetILNS1_3genE10ELNS1_11target_archE1200ELNS1_3gpuE4ELNS1_3repE0EEENS1_30default_config_static_selectorELNS0_4arch9wavefront6targetE1EEEvSK_.numbered_sgpr, 0
	.set _ZN7rocprim17ROCPRIM_400000_NS6detail17trampoline_kernelINS0_14default_configENS1_36segmented_radix_sort_config_selectorIslEEZNS1_25segmented_radix_sort_implIS3_Lb1EPKsPsPKlPlN2at6native12_GLOBAL__N_18offset_tEEE10hipError_tPvRmT1_PNSt15iterator_traitsISK_E10value_typeET2_T3_PNSL_ISQ_E10value_typeET4_jRbjT5_SW_jjP12ihipStream_tbEUlT_E2_NS1_11comp_targetILNS1_3genE10ELNS1_11target_archE1200ELNS1_3gpuE4ELNS1_3repE0EEENS1_30default_config_static_selectorELNS0_4arch9wavefront6targetE1EEEvSK_.num_named_barrier, 0
	.set _ZN7rocprim17ROCPRIM_400000_NS6detail17trampoline_kernelINS0_14default_configENS1_36segmented_radix_sort_config_selectorIslEEZNS1_25segmented_radix_sort_implIS3_Lb1EPKsPsPKlPlN2at6native12_GLOBAL__N_18offset_tEEE10hipError_tPvRmT1_PNSt15iterator_traitsISK_E10value_typeET2_T3_PNSL_ISQ_E10value_typeET4_jRbjT5_SW_jjP12ihipStream_tbEUlT_E2_NS1_11comp_targetILNS1_3genE10ELNS1_11target_archE1200ELNS1_3gpuE4ELNS1_3repE0EEENS1_30default_config_static_selectorELNS0_4arch9wavefront6targetE1EEEvSK_.private_seg_size, 0
	.set _ZN7rocprim17ROCPRIM_400000_NS6detail17trampoline_kernelINS0_14default_configENS1_36segmented_radix_sort_config_selectorIslEEZNS1_25segmented_radix_sort_implIS3_Lb1EPKsPsPKlPlN2at6native12_GLOBAL__N_18offset_tEEE10hipError_tPvRmT1_PNSt15iterator_traitsISK_E10value_typeET2_T3_PNSL_ISQ_E10value_typeET4_jRbjT5_SW_jjP12ihipStream_tbEUlT_E2_NS1_11comp_targetILNS1_3genE10ELNS1_11target_archE1200ELNS1_3gpuE4ELNS1_3repE0EEENS1_30default_config_static_selectorELNS0_4arch9wavefront6targetE1EEEvSK_.uses_vcc, 0
	.set _ZN7rocprim17ROCPRIM_400000_NS6detail17trampoline_kernelINS0_14default_configENS1_36segmented_radix_sort_config_selectorIslEEZNS1_25segmented_radix_sort_implIS3_Lb1EPKsPsPKlPlN2at6native12_GLOBAL__N_18offset_tEEE10hipError_tPvRmT1_PNSt15iterator_traitsISK_E10value_typeET2_T3_PNSL_ISQ_E10value_typeET4_jRbjT5_SW_jjP12ihipStream_tbEUlT_E2_NS1_11comp_targetILNS1_3genE10ELNS1_11target_archE1200ELNS1_3gpuE4ELNS1_3repE0EEENS1_30default_config_static_selectorELNS0_4arch9wavefront6targetE1EEEvSK_.uses_flat_scratch, 0
	.set _ZN7rocprim17ROCPRIM_400000_NS6detail17trampoline_kernelINS0_14default_configENS1_36segmented_radix_sort_config_selectorIslEEZNS1_25segmented_radix_sort_implIS3_Lb1EPKsPsPKlPlN2at6native12_GLOBAL__N_18offset_tEEE10hipError_tPvRmT1_PNSt15iterator_traitsISK_E10value_typeET2_T3_PNSL_ISQ_E10value_typeET4_jRbjT5_SW_jjP12ihipStream_tbEUlT_E2_NS1_11comp_targetILNS1_3genE10ELNS1_11target_archE1200ELNS1_3gpuE4ELNS1_3repE0EEENS1_30default_config_static_selectorELNS0_4arch9wavefront6targetE1EEEvSK_.has_dyn_sized_stack, 0
	.set _ZN7rocprim17ROCPRIM_400000_NS6detail17trampoline_kernelINS0_14default_configENS1_36segmented_radix_sort_config_selectorIslEEZNS1_25segmented_radix_sort_implIS3_Lb1EPKsPsPKlPlN2at6native12_GLOBAL__N_18offset_tEEE10hipError_tPvRmT1_PNSt15iterator_traitsISK_E10value_typeET2_T3_PNSL_ISQ_E10value_typeET4_jRbjT5_SW_jjP12ihipStream_tbEUlT_E2_NS1_11comp_targetILNS1_3genE10ELNS1_11target_archE1200ELNS1_3gpuE4ELNS1_3repE0EEENS1_30default_config_static_selectorELNS0_4arch9wavefront6targetE1EEEvSK_.has_recursion, 0
	.set _ZN7rocprim17ROCPRIM_400000_NS6detail17trampoline_kernelINS0_14default_configENS1_36segmented_radix_sort_config_selectorIslEEZNS1_25segmented_radix_sort_implIS3_Lb1EPKsPsPKlPlN2at6native12_GLOBAL__N_18offset_tEEE10hipError_tPvRmT1_PNSt15iterator_traitsISK_E10value_typeET2_T3_PNSL_ISQ_E10value_typeET4_jRbjT5_SW_jjP12ihipStream_tbEUlT_E2_NS1_11comp_targetILNS1_3genE10ELNS1_11target_archE1200ELNS1_3gpuE4ELNS1_3repE0EEENS1_30default_config_static_selectorELNS0_4arch9wavefront6targetE1EEEvSK_.has_indirect_call, 0
	.section	.AMDGPU.csdata,"",@progbits
; Kernel info:
; codeLenInByte = 0
; TotalNumSgprs: 4
; NumVgprs: 0
; ScratchSize: 0
; MemoryBound: 0
; FloatMode: 240
; IeeeMode: 1
; LDSByteSize: 0 bytes/workgroup (compile time only)
; SGPRBlocks: 0
; VGPRBlocks: 0
; NumSGPRsForWavesPerEU: 4
; NumVGPRsForWavesPerEU: 1
; Occupancy: 10
; WaveLimiterHint : 0
; COMPUTE_PGM_RSRC2:SCRATCH_EN: 0
; COMPUTE_PGM_RSRC2:USER_SGPR: 6
; COMPUTE_PGM_RSRC2:TRAP_HANDLER: 0
; COMPUTE_PGM_RSRC2:TGID_X_EN: 1
; COMPUTE_PGM_RSRC2:TGID_Y_EN: 0
; COMPUTE_PGM_RSRC2:TGID_Z_EN: 0
; COMPUTE_PGM_RSRC2:TIDIG_COMP_CNT: 0
	.section	.text._ZN7rocprim17ROCPRIM_400000_NS6detail17trampoline_kernelINS0_14default_configENS1_36segmented_radix_sort_config_selectorIslEEZNS1_25segmented_radix_sort_implIS3_Lb1EPKsPsPKlPlN2at6native12_GLOBAL__N_18offset_tEEE10hipError_tPvRmT1_PNSt15iterator_traitsISK_E10value_typeET2_T3_PNSL_ISQ_E10value_typeET4_jRbjT5_SW_jjP12ihipStream_tbEUlT_E2_NS1_11comp_targetILNS1_3genE9ELNS1_11target_archE1100ELNS1_3gpuE3ELNS1_3repE0EEENS1_30default_config_static_selectorELNS0_4arch9wavefront6targetE1EEEvSK_,"axG",@progbits,_ZN7rocprim17ROCPRIM_400000_NS6detail17trampoline_kernelINS0_14default_configENS1_36segmented_radix_sort_config_selectorIslEEZNS1_25segmented_radix_sort_implIS3_Lb1EPKsPsPKlPlN2at6native12_GLOBAL__N_18offset_tEEE10hipError_tPvRmT1_PNSt15iterator_traitsISK_E10value_typeET2_T3_PNSL_ISQ_E10value_typeET4_jRbjT5_SW_jjP12ihipStream_tbEUlT_E2_NS1_11comp_targetILNS1_3genE9ELNS1_11target_archE1100ELNS1_3gpuE3ELNS1_3repE0EEENS1_30default_config_static_selectorELNS0_4arch9wavefront6targetE1EEEvSK_,comdat
	.globl	_ZN7rocprim17ROCPRIM_400000_NS6detail17trampoline_kernelINS0_14default_configENS1_36segmented_radix_sort_config_selectorIslEEZNS1_25segmented_radix_sort_implIS3_Lb1EPKsPsPKlPlN2at6native12_GLOBAL__N_18offset_tEEE10hipError_tPvRmT1_PNSt15iterator_traitsISK_E10value_typeET2_T3_PNSL_ISQ_E10value_typeET4_jRbjT5_SW_jjP12ihipStream_tbEUlT_E2_NS1_11comp_targetILNS1_3genE9ELNS1_11target_archE1100ELNS1_3gpuE3ELNS1_3repE0EEENS1_30default_config_static_selectorELNS0_4arch9wavefront6targetE1EEEvSK_ ; -- Begin function _ZN7rocprim17ROCPRIM_400000_NS6detail17trampoline_kernelINS0_14default_configENS1_36segmented_radix_sort_config_selectorIslEEZNS1_25segmented_radix_sort_implIS3_Lb1EPKsPsPKlPlN2at6native12_GLOBAL__N_18offset_tEEE10hipError_tPvRmT1_PNSt15iterator_traitsISK_E10value_typeET2_T3_PNSL_ISQ_E10value_typeET4_jRbjT5_SW_jjP12ihipStream_tbEUlT_E2_NS1_11comp_targetILNS1_3genE9ELNS1_11target_archE1100ELNS1_3gpuE3ELNS1_3repE0EEENS1_30default_config_static_selectorELNS0_4arch9wavefront6targetE1EEEvSK_
	.p2align	8
	.type	_ZN7rocprim17ROCPRIM_400000_NS6detail17trampoline_kernelINS0_14default_configENS1_36segmented_radix_sort_config_selectorIslEEZNS1_25segmented_radix_sort_implIS3_Lb1EPKsPsPKlPlN2at6native12_GLOBAL__N_18offset_tEEE10hipError_tPvRmT1_PNSt15iterator_traitsISK_E10value_typeET2_T3_PNSL_ISQ_E10value_typeET4_jRbjT5_SW_jjP12ihipStream_tbEUlT_E2_NS1_11comp_targetILNS1_3genE9ELNS1_11target_archE1100ELNS1_3gpuE3ELNS1_3repE0EEENS1_30default_config_static_selectorELNS0_4arch9wavefront6targetE1EEEvSK_,@function
_ZN7rocprim17ROCPRIM_400000_NS6detail17trampoline_kernelINS0_14default_configENS1_36segmented_radix_sort_config_selectorIslEEZNS1_25segmented_radix_sort_implIS3_Lb1EPKsPsPKlPlN2at6native12_GLOBAL__N_18offset_tEEE10hipError_tPvRmT1_PNSt15iterator_traitsISK_E10value_typeET2_T3_PNSL_ISQ_E10value_typeET4_jRbjT5_SW_jjP12ihipStream_tbEUlT_E2_NS1_11comp_targetILNS1_3genE9ELNS1_11target_archE1100ELNS1_3gpuE3ELNS1_3repE0EEENS1_30default_config_static_selectorELNS0_4arch9wavefront6targetE1EEEvSK_: ; @_ZN7rocprim17ROCPRIM_400000_NS6detail17trampoline_kernelINS0_14default_configENS1_36segmented_radix_sort_config_selectorIslEEZNS1_25segmented_radix_sort_implIS3_Lb1EPKsPsPKlPlN2at6native12_GLOBAL__N_18offset_tEEE10hipError_tPvRmT1_PNSt15iterator_traitsISK_E10value_typeET2_T3_PNSL_ISQ_E10value_typeET4_jRbjT5_SW_jjP12ihipStream_tbEUlT_E2_NS1_11comp_targetILNS1_3genE9ELNS1_11target_archE1100ELNS1_3gpuE3ELNS1_3repE0EEENS1_30default_config_static_selectorELNS0_4arch9wavefront6targetE1EEEvSK_
; %bb.0:
	.section	.rodata,"a",@progbits
	.p2align	6, 0x0
	.amdhsa_kernel _ZN7rocprim17ROCPRIM_400000_NS6detail17trampoline_kernelINS0_14default_configENS1_36segmented_radix_sort_config_selectorIslEEZNS1_25segmented_radix_sort_implIS3_Lb1EPKsPsPKlPlN2at6native12_GLOBAL__N_18offset_tEEE10hipError_tPvRmT1_PNSt15iterator_traitsISK_E10value_typeET2_T3_PNSL_ISQ_E10value_typeET4_jRbjT5_SW_jjP12ihipStream_tbEUlT_E2_NS1_11comp_targetILNS1_3genE9ELNS1_11target_archE1100ELNS1_3gpuE3ELNS1_3repE0EEENS1_30default_config_static_selectorELNS0_4arch9wavefront6targetE1EEEvSK_
		.amdhsa_group_segment_fixed_size 0
		.amdhsa_private_segment_fixed_size 0
		.amdhsa_kernarg_size 80
		.amdhsa_user_sgpr_count 6
		.amdhsa_user_sgpr_private_segment_buffer 1
		.amdhsa_user_sgpr_dispatch_ptr 0
		.amdhsa_user_sgpr_queue_ptr 0
		.amdhsa_user_sgpr_kernarg_segment_ptr 1
		.amdhsa_user_sgpr_dispatch_id 0
		.amdhsa_user_sgpr_flat_scratch_init 0
		.amdhsa_user_sgpr_private_segment_size 0
		.amdhsa_uses_dynamic_stack 0
		.amdhsa_system_sgpr_private_segment_wavefront_offset 0
		.amdhsa_system_sgpr_workgroup_id_x 1
		.amdhsa_system_sgpr_workgroup_id_y 0
		.amdhsa_system_sgpr_workgroup_id_z 0
		.amdhsa_system_sgpr_workgroup_info 0
		.amdhsa_system_vgpr_workitem_id 0
		.amdhsa_next_free_vgpr 1
		.amdhsa_next_free_sgpr 0
		.amdhsa_reserve_vcc 0
		.amdhsa_reserve_flat_scratch 0
		.amdhsa_float_round_mode_32 0
		.amdhsa_float_round_mode_16_64 0
		.amdhsa_float_denorm_mode_32 3
		.amdhsa_float_denorm_mode_16_64 3
		.amdhsa_dx10_clamp 1
		.amdhsa_ieee_mode 1
		.amdhsa_fp16_overflow 0
		.amdhsa_exception_fp_ieee_invalid_op 0
		.amdhsa_exception_fp_denorm_src 0
		.amdhsa_exception_fp_ieee_div_zero 0
		.amdhsa_exception_fp_ieee_overflow 0
		.amdhsa_exception_fp_ieee_underflow 0
		.amdhsa_exception_fp_ieee_inexact 0
		.amdhsa_exception_int_div_zero 0
	.end_amdhsa_kernel
	.section	.text._ZN7rocprim17ROCPRIM_400000_NS6detail17trampoline_kernelINS0_14default_configENS1_36segmented_radix_sort_config_selectorIslEEZNS1_25segmented_radix_sort_implIS3_Lb1EPKsPsPKlPlN2at6native12_GLOBAL__N_18offset_tEEE10hipError_tPvRmT1_PNSt15iterator_traitsISK_E10value_typeET2_T3_PNSL_ISQ_E10value_typeET4_jRbjT5_SW_jjP12ihipStream_tbEUlT_E2_NS1_11comp_targetILNS1_3genE9ELNS1_11target_archE1100ELNS1_3gpuE3ELNS1_3repE0EEENS1_30default_config_static_selectorELNS0_4arch9wavefront6targetE1EEEvSK_,"axG",@progbits,_ZN7rocprim17ROCPRIM_400000_NS6detail17trampoline_kernelINS0_14default_configENS1_36segmented_radix_sort_config_selectorIslEEZNS1_25segmented_radix_sort_implIS3_Lb1EPKsPsPKlPlN2at6native12_GLOBAL__N_18offset_tEEE10hipError_tPvRmT1_PNSt15iterator_traitsISK_E10value_typeET2_T3_PNSL_ISQ_E10value_typeET4_jRbjT5_SW_jjP12ihipStream_tbEUlT_E2_NS1_11comp_targetILNS1_3genE9ELNS1_11target_archE1100ELNS1_3gpuE3ELNS1_3repE0EEENS1_30default_config_static_selectorELNS0_4arch9wavefront6targetE1EEEvSK_,comdat
.Lfunc_end948:
	.size	_ZN7rocprim17ROCPRIM_400000_NS6detail17trampoline_kernelINS0_14default_configENS1_36segmented_radix_sort_config_selectorIslEEZNS1_25segmented_radix_sort_implIS3_Lb1EPKsPsPKlPlN2at6native12_GLOBAL__N_18offset_tEEE10hipError_tPvRmT1_PNSt15iterator_traitsISK_E10value_typeET2_T3_PNSL_ISQ_E10value_typeET4_jRbjT5_SW_jjP12ihipStream_tbEUlT_E2_NS1_11comp_targetILNS1_3genE9ELNS1_11target_archE1100ELNS1_3gpuE3ELNS1_3repE0EEENS1_30default_config_static_selectorELNS0_4arch9wavefront6targetE1EEEvSK_, .Lfunc_end948-_ZN7rocprim17ROCPRIM_400000_NS6detail17trampoline_kernelINS0_14default_configENS1_36segmented_radix_sort_config_selectorIslEEZNS1_25segmented_radix_sort_implIS3_Lb1EPKsPsPKlPlN2at6native12_GLOBAL__N_18offset_tEEE10hipError_tPvRmT1_PNSt15iterator_traitsISK_E10value_typeET2_T3_PNSL_ISQ_E10value_typeET4_jRbjT5_SW_jjP12ihipStream_tbEUlT_E2_NS1_11comp_targetILNS1_3genE9ELNS1_11target_archE1100ELNS1_3gpuE3ELNS1_3repE0EEENS1_30default_config_static_selectorELNS0_4arch9wavefront6targetE1EEEvSK_
                                        ; -- End function
	.set _ZN7rocprim17ROCPRIM_400000_NS6detail17trampoline_kernelINS0_14default_configENS1_36segmented_radix_sort_config_selectorIslEEZNS1_25segmented_radix_sort_implIS3_Lb1EPKsPsPKlPlN2at6native12_GLOBAL__N_18offset_tEEE10hipError_tPvRmT1_PNSt15iterator_traitsISK_E10value_typeET2_T3_PNSL_ISQ_E10value_typeET4_jRbjT5_SW_jjP12ihipStream_tbEUlT_E2_NS1_11comp_targetILNS1_3genE9ELNS1_11target_archE1100ELNS1_3gpuE3ELNS1_3repE0EEENS1_30default_config_static_selectorELNS0_4arch9wavefront6targetE1EEEvSK_.num_vgpr, 0
	.set _ZN7rocprim17ROCPRIM_400000_NS6detail17trampoline_kernelINS0_14default_configENS1_36segmented_radix_sort_config_selectorIslEEZNS1_25segmented_radix_sort_implIS3_Lb1EPKsPsPKlPlN2at6native12_GLOBAL__N_18offset_tEEE10hipError_tPvRmT1_PNSt15iterator_traitsISK_E10value_typeET2_T3_PNSL_ISQ_E10value_typeET4_jRbjT5_SW_jjP12ihipStream_tbEUlT_E2_NS1_11comp_targetILNS1_3genE9ELNS1_11target_archE1100ELNS1_3gpuE3ELNS1_3repE0EEENS1_30default_config_static_selectorELNS0_4arch9wavefront6targetE1EEEvSK_.num_agpr, 0
	.set _ZN7rocprim17ROCPRIM_400000_NS6detail17trampoline_kernelINS0_14default_configENS1_36segmented_radix_sort_config_selectorIslEEZNS1_25segmented_radix_sort_implIS3_Lb1EPKsPsPKlPlN2at6native12_GLOBAL__N_18offset_tEEE10hipError_tPvRmT1_PNSt15iterator_traitsISK_E10value_typeET2_T3_PNSL_ISQ_E10value_typeET4_jRbjT5_SW_jjP12ihipStream_tbEUlT_E2_NS1_11comp_targetILNS1_3genE9ELNS1_11target_archE1100ELNS1_3gpuE3ELNS1_3repE0EEENS1_30default_config_static_selectorELNS0_4arch9wavefront6targetE1EEEvSK_.numbered_sgpr, 0
	.set _ZN7rocprim17ROCPRIM_400000_NS6detail17trampoline_kernelINS0_14default_configENS1_36segmented_radix_sort_config_selectorIslEEZNS1_25segmented_radix_sort_implIS3_Lb1EPKsPsPKlPlN2at6native12_GLOBAL__N_18offset_tEEE10hipError_tPvRmT1_PNSt15iterator_traitsISK_E10value_typeET2_T3_PNSL_ISQ_E10value_typeET4_jRbjT5_SW_jjP12ihipStream_tbEUlT_E2_NS1_11comp_targetILNS1_3genE9ELNS1_11target_archE1100ELNS1_3gpuE3ELNS1_3repE0EEENS1_30default_config_static_selectorELNS0_4arch9wavefront6targetE1EEEvSK_.num_named_barrier, 0
	.set _ZN7rocprim17ROCPRIM_400000_NS6detail17trampoline_kernelINS0_14default_configENS1_36segmented_radix_sort_config_selectorIslEEZNS1_25segmented_radix_sort_implIS3_Lb1EPKsPsPKlPlN2at6native12_GLOBAL__N_18offset_tEEE10hipError_tPvRmT1_PNSt15iterator_traitsISK_E10value_typeET2_T3_PNSL_ISQ_E10value_typeET4_jRbjT5_SW_jjP12ihipStream_tbEUlT_E2_NS1_11comp_targetILNS1_3genE9ELNS1_11target_archE1100ELNS1_3gpuE3ELNS1_3repE0EEENS1_30default_config_static_selectorELNS0_4arch9wavefront6targetE1EEEvSK_.private_seg_size, 0
	.set _ZN7rocprim17ROCPRIM_400000_NS6detail17trampoline_kernelINS0_14default_configENS1_36segmented_radix_sort_config_selectorIslEEZNS1_25segmented_radix_sort_implIS3_Lb1EPKsPsPKlPlN2at6native12_GLOBAL__N_18offset_tEEE10hipError_tPvRmT1_PNSt15iterator_traitsISK_E10value_typeET2_T3_PNSL_ISQ_E10value_typeET4_jRbjT5_SW_jjP12ihipStream_tbEUlT_E2_NS1_11comp_targetILNS1_3genE9ELNS1_11target_archE1100ELNS1_3gpuE3ELNS1_3repE0EEENS1_30default_config_static_selectorELNS0_4arch9wavefront6targetE1EEEvSK_.uses_vcc, 0
	.set _ZN7rocprim17ROCPRIM_400000_NS6detail17trampoline_kernelINS0_14default_configENS1_36segmented_radix_sort_config_selectorIslEEZNS1_25segmented_radix_sort_implIS3_Lb1EPKsPsPKlPlN2at6native12_GLOBAL__N_18offset_tEEE10hipError_tPvRmT1_PNSt15iterator_traitsISK_E10value_typeET2_T3_PNSL_ISQ_E10value_typeET4_jRbjT5_SW_jjP12ihipStream_tbEUlT_E2_NS1_11comp_targetILNS1_3genE9ELNS1_11target_archE1100ELNS1_3gpuE3ELNS1_3repE0EEENS1_30default_config_static_selectorELNS0_4arch9wavefront6targetE1EEEvSK_.uses_flat_scratch, 0
	.set _ZN7rocprim17ROCPRIM_400000_NS6detail17trampoline_kernelINS0_14default_configENS1_36segmented_radix_sort_config_selectorIslEEZNS1_25segmented_radix_sort_implIS3_Lb1EPKsPsPKlPlN2at6native12_GLOBAL__N_18offset_tEEE10hipError_tPvRmT1_PNSt15iterator_traitsISK_E10value_typeET2_T3_PNSL_ISQ_E10value_typeET4_jRbjT5_SW_jjP12ihipStream_tbEUlT_E2_NS1_11comp_targetILNS1_3genE9ELNS1_11target_archE1100ELNS1_3gpuE3ELNS1_3repE0EEENS1_30default_config_static_selectorELNS0_4arch9wavefront6targetE1EEEvSK_.has_dyn_sized_stack, 0
	.set _ZN7rocprim17ROCPRIM_400000_NS6detail17trampoline_kernelINS0_14default_configENS1_36segmented_radix_sort_config_selectorIslEEZNS1_25segmented_radix_sort_implIS3_Lb1EPKsPsPKlPlN2at6native12_GLOBAL__N_18offset_tEEE10hipError_tPvRmT1_PNSt15iterator_traitsISK_E10value_typeET2_T3_PNSL_ISQ_E10value_typeET4_jRbjT5_SW_jjP12ihipStream_tbEUlT_E2_NS1_11comp_targetILNS1_3genE9ELNS1_11target_archE1100ELNS1_3gpuE3ELNS1_3repE0EEENS1_30default_config_static_selectorELNS0_4arch9wavefront6targetE1EEEvSK_.has_recursion, 0
	.set _ZN7rocprim17ROCPRIM_400000_NS6detail17trampoline_kernelINS0_14default_configENS1_36segmented_radix_sort_config_selectorIslEEZNS1_25segmented_radix_sort_implIS3_Lb1EPKsPsPKlPlN2at6native12_GLOBAL__N_18offset_tEEE10hipError_tPvRmT1_PNSt15iterator_traitsISK_E10value_typeET2_T3_PNSL_ISQ_E10value_typeET4_jRbjT5_SW_jjP12ihipStream_tbEUlT_E2_NS1_11comp_targetILNS1_3genE9ELNS1_11target_archE1100ELNS1_3gpuE3ELNS1_3repE0EEENS1_30default_config_static_selectorELNS0_4arch9wavefront6targetE1EEEvSK_.has_indirect_call, 0
	.section	.AMDGPU.csdata,"",@progbits
; Kernel info:
; codeLenInByte = 0
; TotalNumSgprs: 4
; NumVgprs: 0
; ScratchSize: 0
; MemoryBound: 0
; FloatMode: 240
; IeeeMode: 1
; LDSByteSize: 0 bytes/workgroup (compile time only)
; SGPRBlocks: 0
; VGPRBlocks: 0
; NumSGPRsForWavesPerEU: 4
; NumVGPRsForWavesPerEU: 1
; Occupancy: 10
; WaveLimiterHint : 0
; COMPUTE_PGM_RSRC2:SCRATCH_EN: 0
; COMPUTE_PGM_RSRC2:USER_SGPR: 6
; COMPUTE_PGM_RSRC2:TRAP_HANDLER: 0
; COMPUTE_PGM_RSRC2:TGID_X_EN: 1
; COMPUTE_PGM_RSRC2:TGID_Y_EN: 0
; COMPUTE_PGM_RSRC2:TGID_Z_EN: 0
; COMPUTE_PGM_RSRC2:TIDIG_COMP_CNT: 0
	.section	.text._ZN7rocprim17ROCPRIM_400000_NS6detail17trampoline_kernelINS0_14default_configENS1_36segmented_radix_sort_config_selectorIslEEZNS1_25segmented_radix_sort_implIS3_Lb1EPKsPsPKlPlN2at6native12_GLOBAL__N_18offset_tEEE10hipError_tPvRmT1_PNSt15iterator_traitsISK_E10value_typeET2_T3_PNSL_ISQ_E10value_typeET4_jRbjT5_SW_jjP12ihipStream_tbEUlT_E2_NS1_11comp_targetILNS1_3genE8ELNS1_11target_archE1030ELNS1_3gpuE2ELNS1_3repE0EEENS1_30default_config_static_selectorELNS0_4arch9wavefront6targetE1EEEvSK_,"axG",@progbits,_ZN7rocprim17ROCPRIM_400000_NS6detail17trampoline_kernelINS0_14default_configENS1_36segmented_radix_sort_config_selectorIslEEZNS1_25segmented_radix_sort_implIS3_Lb1EPKsPsPKlPlN2at6native12_GLOBAL__N_18offset_tEEE10hipError_tPvRmT1_PNSt15iterator_traitsISK_E10value_typeET2_T3_PNSL_ISQ_E10value_typeET4_jRbjT5_SW_jjP12ihipStream_tbEUlT_E2_NS1_11comp_targetILNS1_3genE8ELNS1_11target_archE1030ELNS1_3gpuE2ELNS1_3repE0EEENS1_30default_config_static_selectorELNS0_4arch9wavefront6targetE1EEEvSK_,comdat
	.globl	_ZN7rocprim17ROCPRIM_400000_NS6detail17trampoline_kernelINS0_14default_configENS1_36segmented_radix_sort_config_selectorIslEEZNS1_25segmented_radix_sort_implIS3_Lb1EPKsPsPKlPlN2at6native12_GLOBAL__N_18offset_tEEE10hipError_tPvRmT1_PNSt15iterator_traitsISK_E10value_typeET2_T3_PNSL_ISQ_E10value_typeET4_jRbjT5_SW_jjP12ihipStream_tbEUlT_E2_NS1_11comp_targetILNS1_3genE8ELNS1_11target_archE1030ELNS1_3gpuE2ELNS1_3repE0EEENS1_30default_config_static_selectorELNS0_4arch9wavefront6targetE1EEEvSK_ ; -- Begin function _ZN7rocprim17ROCPRIM_400000_NS6detail17trampoline_kernelINS0_14default_configENS1_36segmented_radix_sort_config_selectorIslEEZNS1_25segmented_radix_sort_implIS3_Lb1EPKsPsPKlPlN2at6native12_GLOBAL__N_18offset_tEEE10hipError_tPvRmT1_PNSt15iterator_traitsISK_E10value_typeET2_T3_PNSL_ISQ_E10value_typeET4_jRbjT5_SW_jjP12ihipStream_tbEUlT_E2_NS1_11comp_targetILNS1_3genE8ELNS1_11target_archE1030ELNS1_3gpuE2ELNS1_3repE0EEENS1_30default_config_static_selectorELNS0_4arch9wavefront6targetE1EEEvSK_
	.p2align	8
	.type	_ZN7rocprim17ROCPRIM_400000_NS6detail17trampoline_kernelINS0_14default_configENS1_36segmented_radix_sort_config_selectorIslEEZNS1_25segmented_radix_sort_implIS3_Lb1EPKsPsPKlPlN2at6native12_GLOBAL__N_18offset_tEEE10hipError_tPvRmT1_PNSt15iterator_traitsISK_E10value_typeET2_T3_PNSL_ISQ_E10value_typeET4_jRbjT5_SW_jjP12ihipStream_tbEUlT_E2_NS1_11comp_targetILNS1_3genE8ELNS1_11target_archE1030ELNS1_3gpuE2ELNS1_3repE0EEENS1_30default_config_static_selectorELNS0_4arch9wavefront6targetE1EEEvSK_,@function
_ZN7rocprim17ROCPRIM_400000_NS6detail17trampoline_kernelINS0_14default_configENS1_36segmented_radix_sort_config_selectorIslEEZNS1_25segmented_radix_sort_implIS3_Lb1EPKsPsPKlPlN2at6native12_GLOBAL__N_18offset_tEEE10hipError_tPvRmT1_PNSt15iterator_traitsISK_E10value_typeET2_T3_PNSL_ISQ_E10value_typeET4_jRbjT5_SW_jjP12ihipStream_tbEUlT_E2_NS1_11comp_targetILNS1_3genE8ELNS1_11target_archE1030ELNS1_3gpuE2ELNS1_3repE0EEENS1_30default_config_static_selectorELNS0_4arch9wavefront6targetE1EEEvSK_: ; @_ZN7rocprim17ROCPRIM_400000_NS6detail17trampoline_kernelINS0_14default_configENS1_36segmented_radix_sort_config_selectorIslEEZNS1_25segmented_radix_sort_implIS3_Lb1EPKsPsPKlPlN2at6native12_GLOBAL__N_18offset_tEEE10hipError_tPvRmT1_PNSt15iterator_traitsISK_E10value_typeET2_T3_PNSL_ISQ_E10value_typeET4_jRbjT5_SW_jjP12ihipStream_tbEUlT_E2_NS1_11comp_targetILNS1_3genE8ELNS1_11target_archE1030ELNS1_3gpuE2ELNS1_3repE0EEENS1_30default_config_static_selectorELNS0_4arch9wavefront6targetE1EEEvSK_
; %bb.0:
	.section	.rodata,"a",@progbits
	.p2align	6, 0x0
	.amdhsa_kernel _ZN7rocprim17ROCPRIM_400000_NS6detail17trampoline_kernelINS0_14default_configENS1_36segmented_radix_sort_config_selectorIslEEZNS1_25segmented_radix_sort_implIS3_Lb1EPKsPsPKlPlN2at6native12_GLOBAL__N_18offset_tEEE10hipError_tPvRmT1_PNSt15iterator_traitsISK_E10value_typeET2_T3_PNSL_ISQ_E10value_typeET4_jRbjT5_SW_jjP12ihipStream_tbEUlT_E2_NS1_11comp_targetILNS1_3genE8ELNS1_11target_archE1030ELNS1_3gpuE2ELNS1_3repE0EEENS1_30default_config_static_selectorELNS0_4arch9wavefront6targetE1EEEvSK_
		.amdhsa_group_segment_fixed_size 0
		.amdhsa_private_segment_fixed_size 0
		.amdhsa_kernarg_size 80
		.amdhsa_user_sgpr_count 6
		.amdhsa_user_sgpr_private_segment_buffer 1
		.amdhsa_user_sgpr_dispatch_ptr 0
		.amdhsa_user_sgpr_queue_ptr 0
		.amdhsa_user_sgpr_kernarg_segment_ptr 1
		.amdhsa_user_sgpr_dispatch_id 0
		.amdhsa_user_sgpr_flat_scratch_init 0
		.amdhsa_user_sgpr_private_segment_size 0
		.amdhsa_uses_dynamic_stack 0
		.amdhsa_system_sgpr_private_segment_wavefront_offset 0
		.amdhsa_system_sgpr_workgroup_id_x 1
		.amdhsa_system_sgpr_workgroup_id_y 0
		.amdhsa_system_sgpr_workgroup_id_z 0
		.amdhsa_system_sgpr_workgroup_info 0
		.amdhsa_system_vgpr_workitem_id 0
		.amdhsa_next_free_vgpr 1
		.amdhsa_next_free_sgpr 0
		.amdhsa_reserve_vcc 0
		.amdhsa_reserve_flat_scratch 0
		.amdhsa_float_round_mode_32 0
		.amdhsa_float_round_mode_16_64 0
		.amdhsa_float_denorm_mode_32 3
		.amdhsa_float_denorm_mode_16_64 3
		.amdhsa_dx10_clamp 1
		.amdhsa_ieee_mode 1
		.amdhsa_fp16_overflow 0
		.amdhsa_exception_fp_ieee_invalid_op 0
		.amdhsa_exception_fp_denorm_src 0
		.amdhsa_exception_fp_ieee_div_zero 0
		.amdhsa_exception_fp_ieee_overflow 0
		.amdhsa_exception_fp_ieee_underflow 0
		.amdhsa_exception_fp_ieee_inexact 0
		.amdhsa_exception_int_div_zero 0
	.end_amdhsa_kernel
	.section	.text._ZN7rocprim17ROCPRIM_400000_NS6detail17trampoline_kernelINS0_14default_configENS1_36segmented_radix_sort_config_selectorIslEEZNS1_25segmented_radix_sort_implIS3_Lb1EPKsPsPKlPlN2at6native12_GLOBAL__N_18offset_tEEE10hipError_tPvRmT1_PNSt15iterator_traitsISK_E10value_typeET2_T3_PNSL_ISQ_E10value_typeET4_jRbjT5_SW_jjP12ihipStream_tbEUlT_E2_NS1_11comp_targetILNS1_3genE8ELNS1_11target_archE1030ELNS1_3gpuE2ELNS1_3repE0EEENS1_30default_config_static_selectorELNS0_4arch9wavefront6targetE1EEEvSK_,"axG",@progbits,_ZN7rocprim17ROCPRIM_400000_NS6detail17trampoline_kernelINS0_14default_configENS1_36segmented_radix_sort_config_selectorIslEEZNS1_25segmented_radix_sort_implIS3_Lb1EPKsPsPKlPlN2at6native12_GLOBAL__N_18offset_tEEE10hipError_tPvRmT1_PNSt15iterator_traitsISK_E10value_typeET2_T3_PNSL_ISQ_E10value_typeET4_jRbjT5_SW_jjP12ihipStream_tbEUlT_E2_NS1_11comp_targetILNS1_3genE8ELNS1_11target_archE1030ELNS1_3gpuE2ELNS1_3repE0EEENS1_30default_config_static_selectorELNS0_4arch9wavefront6targetE1EEEvSK_,comdat
.Lfunc_end949:
	.size	_ZN7rocprim17ROCPRIM_400000_NS6detail17trampoline_kernelINS0_14default_configENS1_36segmented_radix_sort_config_selectorIslEEZNS1_25segmented_radix_sort_implIS3_Lb1EPKsPsPKlPlN2at6native12_GLOBAL__N_18offset_tEEE10hipError_tPvRmT1_PNSt15iterator_traitsISK_E10value_typeET2_T3_PNSL_ISQ_E10value_typeET4_jRbjT5_SW_jjP12ihipStream_tbEUlT_E2_NS1_11comp_targetILNS1_3genE8ELNS1_11target_archE1030ELNS1_3gpuE2ELNS1_3repE0EEENS1_30default_config_static_selectorELNS0_4arch9wavefront6targetE1EEEvSK_, .Lfunc_end949-_ZN7rocprim17ROCPRIM_400000_NS6detail17trampoline_kernelINS0_14default_configENS1_36segmented_radix_sort_config_selectorIslEEZNS1_25segmented_radix_sort_implIS3_Lb1EPKsPsPKlPlN2at6native12_GLOBAL__N_18offset_tEEE10hipError_tPvRmT1_PNSt15iterator_traitsISK_E10value_typeET2_T3_PNSL_ISQ_E10value_typeET4_jRbjT5_SW_jjP12ihipStream_tbEUlT_E2_NS1_11comp_targetILNS1_3genE8ELNS1_11target_archE1030ELNS1_3gpuE2ELNS1_3repE0EEENS1_30default_config_static_selectorELNS0_4arch9wavefront6targetE1EEEvSK_
                                        ; -- End function
	.set _ZN7rocprim17ROCPRIM_400000_NS6detail17trampoline_kernelINS0_14default_configENS1_36segmented_radix_sort_config_selectorIslEEZNS1_25segmented_radix_sort_implIS3_Lb1EPKsPsPKlPlN2at6native12_GLOBAL__N_18offset_tEEE10hipError_tPvRmT1_PNSt15iterator_traitsISK_E10value_typeET2_T3_PNSL_ISQ_E10value_typeET4_jRbjT5_SW_jjP12ihipStream_tbEUlT_E2_NS1_11comp_targetILNS1_3genE8ELNS1_11target_archE1030ELNS1_3gpuE2ELNS1_3repE0EEENS1_30default_config_static_selectorELNS0_4arch9wavefront6targetE1EEEvSK_.num_vgpr, 0
	.set _ZN7rocprim17ROCPRIM_400000_NS6detail17trampoline_kernelINS0_14default_configENS1_36segmented_radix_sort_config_selectorIslEEZNS1_25segmented_radix_sort_implIS3_Lb1EPKsPsPKlPlN2at6native12_GLOBAL__N_18offset_tEEE10hipError_tPvRmT1_PNSt15iterator_traitsISK_E10value_typeET2_T3_PNSL_ISQ_E10value_typeET4_jRbjT5_SW_jjP12ihipStream_tbEUlT_E2_NS1_11comp_targetILNS1_3genE8ELNS1_11target_archE1030ELNS1_3gpuE2ELNS1_3repE0EEENS1_30default_config_static_selectorELNS0_4arch9wavefront6targetE1EEEvSK_.num_agpr, 0
	.set _ZN7rocprim17ROCPRIM_400000_NS6detail17trampoline_kernelINS0_14default_configENS1_36segmented_radix_sort_config_selectorIslEEZNS1_25segmented_radix_sort_implIS3_Lb1EPKsPsPKlPlN2at6native12_GLOBAL__N_18offset_tEEE10hipError_tPvRmT1_PNSt15iterator_traitsISK_E10value_typeET2_T3_PNSL_ISQ_E10value_typeET4_jRbjT5_SW_jjP12ihipStream_tbEUlT_E2_NS1_11comp_targetILNS1_3genE8ELNS1_11target_archE1030ELNS1_3gpuE2ELNS1_3repE0EEENS1_30default_config_static_selectorELNS0_4arch9wavefront6targetE1EEEvSK_.numbered_sgpr, 0
	.set _ZN7rocprim17ROCPRIM_400000_NS6detail17trampoline_kernelINS0_14default_configENS1_36segmented_radix_sort_config_selectorIslEEZNS1_25segmented_radix_sort_implIS3_Lb1EPKsPsPKlPlN2at6native12_GLOBAL__N_18offset_tEEE10hipError_tPvRmT1_PNSt15iterator_traitsISK_E10value_typeET2_T3_PNSL_ISQ_E10value_typeET4_jRbjT5_SW_jjP12ihipStream_tbEUlT_E2_NS1_11comp_targetILNS1_3genE8ELNS1_11target_archE1030ELNS1_3gpuE2ELNS1_3repE0EEENS1_30default_config_static_selectorELNS0_4arch9wavefront6targetE1EEEvSK_.num_named_barrier, 0
	.set _ZN7rocprim17ROCPRIM_400000_NS6detail17trampoline_kernelINS0_14default_configENS1_36segmented_radix_sort_config_selectorIslEEZNS1_25segmented_radix_sort_implIS3_Lb1EPKsPsPKlPlN2at6native12_GLOBAL__N_18offset_tEEE10hipError_tPvRmT1_PNSt15iterator_traitsISK_E10value_typeET2_T3_PNSL_ISQ_E10value_typeET4_jRbjT5_SW_jjP12ihipStream_tbEUlT_E2_NS1_11comp_targetILNS1_3genE8ELNS1_11target_archE1030ELNS1_3gpuE2ELNS1_3repE0EEENS1_30default_config_static_selectorELNS0_4arch9wavefront6targetE1EEEvSK_.private_seg_size, 0
	.set _ZN7rocprim17ROCPRIM_400000_NS6detail17trampoline_kernelINS0_14default_configENS1_36segmented_radix_sort_config_selectorIslEEZNS1_25segmented_radix_sort_implIS3_Lb1EPKsPsPKlPlN2at6native12_GLOBAL__N_18offset_tEEE10hipError_tPvRmT1_PNSt15iterator_traitsISK_E10value_typeET2_T3_PNSL_ISQ_E10value_typeET4_jRbjT5_SW_jjP12ihipStream_tbEUlT_E2_NS1_11comp_targetILNS1_3genE8ELNS1_11target_archE1030ELNS1_3gpuE2ELNS1_3repE0EEENS1_30default_config_static_selectorELNS0_4arch9wavefront6targetE1EEEvSK_.uses_vcc, 0
	.set _ZN7rocprim17ROCPRIM_400000_NS6detail17trampoline_kernelINS0_14default_configENS1_36segmented_radix_sort_config_selectorIslEEZNS1_25segmented_radix_sort_implIS3_Lb1EPKsPsPKlPlN2at6native12_GLOBAL__N_18offset_tEEE10hipError_tPvRmT1_PNSt15iterator_traitsISK_E10value_typeET2_T3_PNSL_ISQ_E10value_typeET4_jRbjT5_SW_jjP12ihipStream_tbEUlT_E2_NS1_11comp_targetILNS1_3genE8ELNS1_11target_archE1030ELNS1_3gpuE2ELNS1_3repE0EEENS1_30default_config_static_selectorELNS0_4arch9wavefront6targetE1EEEvSK_.uses_flat_scratch, 0
	.set _ZN7rocprim17ROCPRIM_400000_NS6detail17trampoline_kernelINS0_14default_configENS1_36segmented_radix_sort_config_selectorIslEEZNS1_25segmented_radix_sort_implIS3_Lb1EPKsPsPKlPlN2at6native12_GLOBAL__N_18offset_tEEE10hipError_tPvRmT1_PNSt15iterator_traitsISK_E10value_typeET2_T3_PNSL_ISQ_E10value_typeET4_jRbjT5_SW_jjP12ihipStream_tbEUlT_E2_NS1_11comp_targetILNS1_3genE8ELNS1_11target_archE1030ELNS1_3gpuE2ELNS1_3repE0EEENS1_30default_config_static_selectorELNS0_4arch9wavefront6targetE1EEEvSK_.has_dyn_sized_stack, 0
	.set _ZN7rocprim17ROCPRIM_400000_NS6detail17trampoline_kernelINS0_14default_configENS1_36segmented_radix_sort_config_selectorIslEEZNS1_25segmented_radix_sort_implIS3_Lb1EPKsPsPKlPlN2at6native12_GLOBAL__N_18offset_tEEE10hipError_tPvRmT1_PNSt15iterator_traitsISK_E10value_typeET2_T3_PNSL_ISQ_E10value_typeET4_jRbjT5_SW_jjP12ihipStream_tbEUlT_E2_NS1_11comp_targetILNS1_3genE8ELNS1_11target_archE1030ELNS1_3gpuE2ELNS1_3repE0EEENS1_30default_config_static_selectorELNS0_4arch9wavefront6targetE1EEEvSK_.has_recursion, 0
	.set _ZN7rocprim17ROCPRIM_400000_NS6detail17trampoline_kernelINS0_14default_configENS1_36segmented_radix_sort_config_selectorIslEEZNS1_25segmented_radix_sort_implIS3_Lb1EPKsPsPKlPlN2at6native12_GLOBAL__N_18offset_tEEE10hipError_tPvRmT1_PNSt15iterator_traitsISK_E10value_typeET2_T3_PNSL_ISQ_E10value_typeET4_jRbjT5_SW_jjP12ihipStream_tbEUlT_E2_NS1_11comp_targetILNS1_3genE8ELNS1_11target_archE1030ELNS1_3gpuE2ELNS1_3repE0EEENS1_30default_config_static_selectorELNS0_4arch9wavefront6targetE1EEEvSK_.has_indirect_call, 0
	.section	.AMDGPU.csdata,"",@progbits
; Kernel info:
; codeLenInByte = 0
; TotalNumSgprs: 4
; NumVgprs: 0
; ScratchSize: 0
; MemoryBound: 0
; FloatMode: 240
; IeeeMode: 1
; LDSByteSize: 0 bytes/workgroup (compile time only)
; SGPRBlocks: 0
; VGPRBlocks: 0
; NumSGPRsForWavesPerEU: 4
; NumVGPRsForWavesPerEU: 1
; Occupancy: 10
; WaveLimiterHint : 0
; COMPUTE_PGM_RSRC2:SCRATCH_EN: 0
; COMPUTE_PGM_RSRC2:USER_SGPR: 6
; COMPUTE_PGM_RSRC2:TRAP_HANDLER: 0
; COMPUTE_PGM_RSRC2:TGID_X_EN: 1
; COMPUTE_PGM_RSRC2:TGID_Y_EN: 0
; COMPUTE_PGM_RSRC2:TGID_Z_EN: 0
; COMPUTE_PGM_RSRC2:TIDIG_COMP_CNT: 0
	.section	.text._ZN7rocprim17ROCPRIM_400000_NS6detail17trampoline_kernelINS0_13select_configILj256ELj13ELNS0_17block_load_methodE3ELS4_3ELS4_3ELNS0_20block_scan_algorithmE0ELj4294967295EEENS1_25partition_config_selectorILNS1_17partition_subalgoE4EjNS0_10empty_typeEbEEZZNS1_14partition_implILS8_4ELb0ES6_15HIP_vector_typeIjLj2EENS0_17counting_iteratorIjlEEPS9_SG_NS0_5tupleIJPjSI_NS0_16reverse_iteratorISI_EEEEENSH_IJSG_SG_SG_EEES9_SI_JZNS1_25segmented_radix_sort_implINS0_14default_configELb0EPKsPsPKlPlN2at6native12_GLOBAL__N_18offset_tEEE10hipError_tPvRmT1_PNSt15iterator_traitsIS12_E10value_typeET2_T3_PNS13_IS18_E10value_typeET4_jRbjT5_S1E_jjP12ihipStream_tbEUljE_ZNSN_ISO_Lb0ESQ_SR_ST_SU_SY_EESZ_S10_S11_S12_S16_S17_S18_S1B_S1C_jS1D_jS1E_S1E_jjS1G_bEUljE0_EEESZ_S10_S11_S18_S1C_S1E_T6_T7_T9_mT8_S1G_bDpT10_ENKUlT_T0_E_clISt17integral_constantIbLb0EES1U_EEDaS1P_S1Q_EUlS1P_E_NS1_11comp_targetILNS1_3genE0ELNS1_11target_archE4294967295ELNS1_3gpuE0ELNS1_3repE0EEENS1_30default_config_static_selectorELNS0_4arch9wavefront6targetE1EEEvS12_,"axG",@progbits,_ZN7rocprim17ROCPRIM_400000_NS6detail17trampoline_kernelINS0_13select_configILj256ELj13ELNS0_17block_load_methodE3ELS4_3ELS4_3ELNS0_20block_scan_algorithmE0ELj4294967295EEENS1_25partition_config_selectorILNS1_17partition_subalgoE4EjNS0_10empty_typeEbEEZZNS1_14partition_implILS8_4ELb0ES6_15HIP_vector_typeIjLj2EENS0_17counting_iteratorIjlEEPS9_SG_NS0_5tupleIJPjSI_NS0_16reverse_iteratorISI_EEEEENSH_IJSG_SG_SG_EEES9_SI_JZNS1_25segmented_radix_sort_implINS0_14default_configELb0EPKsPsPKlPlN2at6native12_GLOBAL__N_18offset_tEEE10hipError_tPvRmT1_PNSt15iterator_traitsIS12_E10value_typeET2_T3_PNS13_IS18_E10value_typeET4_jRbjT5_S1E_jjP12ihipStream_tbEUljE_ZNSN_ISO_Lb0ESQ_SR_ST_SU_SY_EESZ_S10_S11_S12_S16_S17_S18_S1B_S1C_jS1D_jS1E_S1E_jjS1G_bEUljE0_EEESZ_S10_S11_S18_S1C_S1E_T6_T7_T9_mT8_S1G_bDpT10_ENKUlT_T0_E_clISt17integral_constantIbLb0EES1U_EEDaS1P_S1Q_EUlS1P_E_NS1_11comp_targetILNS1_3genE0ELNS1_11target_archE4294967295ELNS1_3gpuE0ELNS1_3repE0EEENS1_30default_config_static_selectorELNS0_4arch9wavefront6targetE1EEEvS12_,comdat
	.globl	_ZN7rocprim17ROCPRIM_400000_NS6detail17trampoline_kernelINS0_13select_configILj256ELj13ELNS0_17block_load_methodE3ELS4_3ELS4_3ELNS0_20block_scan_algorithmE0ELj4294967295EEENS1_25partition_config_selectorILNS1_17partition_subalgoE4EjNS0_10empty_typeEbEEZZNS1_14partition_implILS8_4ELb0ES6_15HIP_vector_typeIjLj2EENS0_17counting_iteratorIjlEEPS9_SG_NS0_5tupleIJPjSI_NS0_16reverse_iteratorISI_EEEEENSH_IJSG_SG_SG_EEES9_SI_JZNS1_25segmented_radix_sort_implINS0_14default_configELb0EPKsPsPKlPlN2at6native12_GLOBAL__N_18offset_tEEE10hipError_tPvRmT1_PNSt15iterator_traitsIS12_E10value_typeET2_T3_PNS13_IS18_E10value_typeET4_jRbjT5_S1E_jjP12ihipStream_tbEUljE_ZNSN_ISO_Lb0ESQ_SR_ST_SU_SY_EESZ_S10_S11_S12_S16_S17_S18_S1B_S1C_jS1D_jS1E_S1E_jjS1G_bEUljE0_EEESZ_S10_S11_S18_S1C_S1E_T6_T7_T9_mT8_S1G_bDpT10_ENKUlT_T0_E_clISt17integral_constantIbLb0EES1U_EEDaS1P_S1Q_EUlS1P_E_NS1_11comp_targetILNS1_3genE0ELNS1_11target_archE4294967295ELNS1_3gpuE0ELNS1_3repE0EEENS1_30default_config_static_selectorELNS0_4arch9wavefront6targetE1EEEvS12_ ; -- Begin function _ZN7rocprim17ROCPRIM_400000_NS6detail17trampoline_kernelINS0_13select_configILj256ELj13ELNS0_17block_load_methodE3ELS4_3ELS4_3ELNS0_20block_scan_algorithmE0ELj4294967295EEENS1_25partition_config_selectorILNS1_17partition_subalgoE4EjNS0_10empty_typeEbEEZZNS1_14partition_implILS8_4ELb0ES6_15HIP_vector_typeIjLj2EENS0_17counting_iteratorIjlEEPS9_SG_NS0_5tupleIJPjSI_NS0_16reverse_iteratorISI_EEEEENSH_IJSG_SG_SG_EEES9_SI_JZNS1_25segmented_radix_sort_implINS0_14default_configELb0EPKsPsPKlPlN2at6native12_GLOBAL__N_18offset_tEEE10hipError_tPvRmT1_PNSt15iterator_traitsIS12_E10value_typeET2_T3_PNS13_IS18_E10value_typeET4_jRbjT5_S1E_jjP12ihipStream_tbEUljE_ZNSN_ISO_Lb0ESQ_SR_ST_SU_SY_EESZ_S10_S11_S12_S16_S17_S18_S1B_S1C_jS1D_jS1E_S1E_jjS1G_bEUljE0_EEESZ_S10_S11_S18_S1C_S1E_T6_T7_T9_mT8_S1G_bDpT10_ENKUlT_T0_E_clISt17integral_constantIbLb0EES1U_EEDaS1P_S1Q_EUlS1P_E_NS1_11comp_targetILNS1_3genE0ELNS1_11target_archE4294967295ELNS1_3gpuE0ELNS1_3repE0EEENS1_30default_config_static_selectorELNS0_4arch9wavefront6targetE1EEEvS12_
	.p2align	8
	.type	_ZN7rocprim17ROCPRIM_400000_NS6detail17trampoline_kernelINS0_13select_configILj256ELj13ELNS0_17block_load_methodE3ELS4_3ELS4_3ELNS0_20block_scan_algorithmE0ELj4294967295EEENS1_25partition_config_selectorILNS1_17partition_subalgoE4EjNS0_10empty_typeEbEEZZNS1_14partition_implILS8_4ELb0ES6_15HIP_vector_typeIjLj2EENS0_17counting_iteratorIjlEEPS9_SG_NS0_5tupleIJPjSI_NS0_16reverse_iteratorISI_EEEEENSH_IJSG_SG_SG_EEES9_SI_JZNS1_25segmented_radix_sort_implINS0_14default_configELb0EPKsPsPKlPlN2at6native12_GLOBAL__N_18offset_tEEE10hipError_tPvRmT1_PNSt15iterator_traitsIS12_E10value_typeET2_T3_PNS13_IS18_E10value_typeET4_jRbjT5_S1E_jjP12ihipStream_tbEUljE_ZNSN_ISO_Lb0ESQ_SR_ST_SU_SY_EESZ_S10_S11_S12_S16_S17_S18_S1B_S1C_jS1D_jS1E_S1E_jjS1G_bEUljE0_EEESZ_S10_S11_S18_S1C_S1E_T6_T7_T9_mT8_S1G_bDpT10_ENKUlT_T0_E_clISt17integral_constantIbLb0EES1U_EEDaS1P_S1Q_EUlS1P_E_NS1_11comp_targetILNS1_3genE0ELNS1_11target_archE4294967295ELNS1_3gpuE0ELNS1_3repE0EEENS1_30default_config_static_selectorELNS0_4arch9wavefront6targetE1EEEvS12_,@function
_ZN7rocprim17ROCPRIM_400000_NS6detail17trampoline_kernelINS0_13select_configILj256ELj13ELNS0_17block_load_methodE3ELS4_3ELS4_3ELNS0_20block_scan_algorithmE0ELj4294967295EEENS1_25partition_config_selectorILNS1_17partition_subalgoE4EjNS0_10empty_typeEbEEZZNS1_14partition_implILS8_4ELb0ES6_15HIP_vector_typeIjLj2EENS0_17counting_iteratorIjlEEPS9_SG_NS0_5tupleIJPjSI_NS0_16reverse_iteratorISI_EEEEENSH_IJSG_SG_SG_EEES9_SI_JZNS1_25segmented_radix_sort_implINS0_14default_configELb0EPKsPsPKlPlN2at6native12_GLOBAL__N_18offset_tEEE10hipError_tPvRmT1_PNSt15iterator_traitsIS12_E10value_typeET2_T3_PNS13_IS18_E10value_typeET4_jRbjT5_S1E_jjP12ihipStream_tbEUljE_ZNSN_ISO_Lb0ESQ_SR_ST_SU_SY_EESZ_S10_S11_S12_S16_S17_S18_S1B_S1C_jS1D_jS1E_S1E_jjS1G_bEUljE0_EEESZ_S10_S11_S18_S1C_S1E_T6_T7_T9_mT8_S1G_bDpT10_ENKUlT_T0_E_clISt17integral_constantIbLb0EES1U_EEDaS1P_S1Q_EUlS1P_E_NS1_11comp_targetILNS1_3genE0ELNS1_11target_archE4294967295ELNS1_3gpuE0ELNS1_3repE0EEENS1_30default_config_static_selectorELNS0_4arch9wavefront6targetE1EEEvS12_: ; @_ZN7rocprim17ROCPRIM_400000_NS6detail17trampoline_kernelINS0_13select_configILj256ELj13ELNS0_17block_load_methodE3ELS4_3ELS4_3ELNS0_20block_scan_algorithmE0ELj4294967295EEENS1_25partition_config_selectorILNS1_17partition_subalgoE4EjNS0_10empty_typeEbEEZZNS1_14partition_implILS8_4ELb0ES6_15HIP_vector_typeIjLj2EENS0_17counting_iteratorIjlEEPS9_SG_NS0_5tupleIJPjSI_NS0_16reverse_iteratorISI_EEEEENSH_IJSG_SG_SG_EEES9_SI_JZNS1_25segmented_radix_sort_implINS0_14default_configELb0EPKsPsPKlPlN2at6native12_GLOBAL__N_18offset_tEEE10hipError_tPvRmT1_PNSt15iterator_traitsIS12_E10value_typeET2_T3_PNS13_IS18_E10value_typeET4_jRbjT5_S1E_jjP12ihipStream_tbEUljE_ZNSN_ISO_Lb0ESQ_SR_ST_SU_SY_EESZ_S10_S11_S12_S16_S17_S18_S1B_S1C_jS1D_jS1E_S1E_jjS1G_bEUljE0_EEESZ_S10_S11_S18_S1C_S1E_T6_T7_T9_mT8_S1G_bDpT10_ENKUlT_T0_E_clISt17integral_constantIbLb0EES1U_EEDaS1P_S1Q_EUlS1P_E_NS1_11comp_targetILNS1_3genE0ELNS1_11target_archE4294967295ELNS1_3gpuE0ELNS1_3repE0EEENS1_30default_config_static_selectorELNS0_4arch9wavefront6targetE1EEEvS12_
; %bb.0:
	.section	.rodata,"a",@progbits
	.p2align	6, 0x0
	.amdhsa_kernel _ZN7rocprim17ROCPRIM_400000_NS6detail17trampoline_kernelINS0_13select_configILj256ELj13ELNS0_17block_load_methodE3ELS4_3ELS4_3ELNS0_20block_scan_algorithmE0ELj4294967295EEENS1_25partition_config_selectorILNS1_17partition_subalgoE4EjNS0_10empty_typeEbEEZZNS1_14partition_implILS8_4ELb0ES6_15HIP_vector_typeIjLj2EENS0_17counting_iteratorIjlEEPS9_SG_NS0_5tupleIJPjSI_NS0_16reverse_iteratorISI_EEEEENSH_IJSG_SG_SG_EEES9_SI_JZNS1_25segmented_radix_sort_implINS0_14default_configELb0EPKsPsPKlPlN2at6native12_GLOBAL__N_18offset_tEEE10hipError_tPvRmT1_PNSt15iterator_traitsIS12_E10value_typeET2_T3_PNS13_IS18_E10value_typeET4_jRbjT5_S1E_jjP12ihipStream_tbEUljE_ZNSN_ISO_Lb0ESQ_SR_ST_SU_SY_EESZ_S10_S11_S12_S16_S17_S18_S1B_S1C_jS1D_jS1E_S1E_jjS1G_bEUljE0_EEESZ_S10_S11_S18_S1C_S1E_T6_T7_T9_mT8_S1G_bDpT10_ENKUlT_T0_E_clISt17integral_constantIbLb0EES1U_EEDaS1P_S1Q_EUlS1P_E_NS1_11comp_targetILNS1_3genE0ELNS1_11target_archE4294967295ELNS1_3gpuE0ELNS1_3repE0EEENS1_30default_config_static_selectorELNS0_4arch9wavefront6targetE1EEEvS12_
		.amdhsa_group_segment_fixed_size 0
		.amdhsa_private_segment_fixed_size 0
		.amdhsa_kernarg_size 176
		.amdhsa_user_sgpr_count 6
		.amdhsa_user_sgpr_private_segment_buffer 1
		.amdhsa_user_sgpr_dispatch_ptr 0
		.amdhsa_user_sgpr_queue_ptr 0
		.amdhsa_user_sgpr_kernarg_segment_ptr 1
		.amdhsa_user_sgpr_dispatch_id 0
		.amdhsa_user_sgpr_flat_scratch_init 0
		.amdhsa_user_sgpr_private_segment_size 0
		.amdhsa_uses_dynamic_stack 0
		.amdhsa_system_sgpr_private_segment_wavefront_offset 0
		.amdhsa_system_sgpr_workgroup_id_x 1
		.amdhsa_system_sgpr_workgroup_id_y 0
		.amdhsa_system_sgpr_workgroup_id_z 0
		.amdhsa_system_sgpr_workgroup_info 0
		.amdhsa_system_vgpr_workitem_id 0
		.amdhsa_next_free_vgpr 1
		.amdhsa_next_free_sgpr 0
		.amdhsa_reserve_vcc 0
		.amdhsa_reserve_flat_scratch 0
		.amdhsa_float_round_mode_32 0
		.amdhsa_float_round_mode_16_64 0
		.amdhsa_float_denorm_mode_32 3
		.amdhsa_float_denorm_mode_16_64 3
		.amdhsa_dx10_clamp 1
		.amdhsa_ieee_mode 1
		.amdhsa_fp16_overflow 0
		.amdhsa_exception_fp_ieee_invalid_op 0
		.amdhsa_exception_fp_denorm_src 0
		.amdhsa_exception_fp_ieee_div_zero 0
		.amdhsa_exception_fp_ieee_overflow 0
		.amdhsa_exception_fp_ieee_underflow 0
		.amdhsa_exception_fp_ieee_inexact 0
		.amdhsa_exception_int_div_zero 0
	.end_amdhsa_kernel
	.section	.text._ZN7rocprim17ROCPRIM_400000_NS6detail17trampoline_kernelINS0_13select_configILj256ELj13ELNS0_17block_load_methodE3ELS4_3ELS4_3ELNS0_20block_scan_algorithmE0ELj4294967295EEENS1_25partition_config_selectorILNS1_17partition_subalgoE4EjNS0_10empty_typeEbEEZZNS1_14partition_implILS8_4ELb0ES6_15HIP_vector_typeIjLj2EENS0_17counting_iteratorIjlEEPS9_SG_NS0_5tupleIJPjSI_NS0_16reverse_iteratorISI_EEEEENSH_IJSG_SG_SG_EEES9_SI_JZNS1_25segmented_radix_sort_implINS0_14default_configELb0EPKsPsPKlPlN2at6native12_GLOBAL__N_18offset_tEEE10hipError_tPvRmT1_PNSt15iterator_traitsIS12_E10value_typeET2_T3_PNS13_IS18_E10value_typeET4_jRbjT5_S1E_jjP12ihipStream_tbEUljE_ZNSN_ISO_Lb0ESQ_SR_ST_SU_SY_EESZ_S10_S11_S12_S16_S17_S18_S1B_S1C_jS1D_jS1E_S1E_jjS1G_bEUljE0_EEESZ_S10_S11_S18_S1C_S1E_T6_T7_T9_mT8_S1G_bDpT10_ENKUlT_T0_E_clISt17integral_constantIbLb0EES1U_EEDaS1P_S1Q_EUlS1P_E_NS1_11comp_targetILNS1_3genE0ELNS1_11target_archE4294967295ELNS1_3gpuE0ELNS1_3repE0EEENS1_30default_config_static_selectorELNS0_4arch9wavefront6targetE1EEEvS12_,"axG",@progbits,_ZN7rocprim17ROCPRIM_400000_NS6detail17trampoline_kernelINS0_13select_configILj256ELj13ELNS0_17block_load_methodE3ELS4_3ELS4_3ELNS0_20block_scan_algorithmE0ELj4294967295EEENS1_25partition_config_selectorILNS1_17partition_subalgoE4EjNS0_10empty_typeEbEEZZNS1_14partition_implILS8_4ELb0ES6_15HIP_vector_typeIjLj2EENS0_17counting_iteratorIjlEEPS9_SG_NS0_5tupleIJPjSI_NS0_16reverse_iteratorISI_EEEEENSH_IJSG_SG_SG_EEES9_SI_JZNS1_25segmented_radix_sort_implINS0_14default_configELb0EPKsPsPKlPlN2at6native12_GLOBAL__N_18offset_tEEE10hipError_tPvRmT1_PNSt15iterator_traitsIS12_E10value_typeET2_T3_PNS13_IS18_E10value_typeET4_jRbjT5_S1E_jjP12ihipStream_tbEUljE_ZNSN_ISO_Lb0ESQ_SR_ST_SU_SY_EESZ_S10_S11_S12_S16_S17_S18_S1B_S1C_jS1D_jS1E_S1E_jjS1G_bEUljE0_EEESZ_S10_S11_S18_S1C_S1E_T6_T7_T9_mT8_S1G_bDpT10_ENKUlT_T0_E_clISt17integral_constantIbLb0EES1U_EEDaS1P_S1Q_EUlS1P_E_NS1_11comp_targetILNS1_3genE0ELNS1_11target_archE4294967295ELNS1_3gpuE0ELNS1_3repE0EEENS1_30default_config_static_selectorELNS0_4arch9wavefront6targetE1EEEvS12_,comdat
.Lfunc_end950:
	.size	_ZN7rocprim17ROCPRIM_400000_NS6detail17trampoline_kernelINS0_13select_configILj256ELj13ELNS0_17block_load_methodE3ELS4_3ELS4_3ELNS0_20block_scan_algorithmE0ELj4294967295EEENS1_25partition_config_selectorILNS1_17partition_subalgoE4EjNS0_10empty_typeEbEEZZNS1_14partition_implILS8_4ELb0ES6_15HIP_vector_typeIjLj2EENS0_17counting_iteratorIjlEEPS9_SG_NS0_5tupleIJPjSI_NS0_16reverse_iteratorISI_EEEEENSH_IJSG_SG_SG_EEES9_SI_JZNS1_25segmented_radix_sort_implINS0_14default_configELb0EPKsPsPKlPlN2at6native12_GLOBAL__N_18offset_tEEE10hipError_tPvRmT1_PNSt15iterator_traitsIS12_E10value_typeET2_T3_PNS13_IS18_E10value_typeET4_jRbjT5_S1E_jjP12ihipStream_tbEUljE_ZNSN_ISO_Lb0ESQ_SR_ST_SU_SY_EESZ_S10_S11_S12_S16_S17_S18_S1B_S1C_jS1D_jS1E_S1E_jjS1G_bEUljE0_EEESZ_S10_S11_S18_S1C_S1E_T6_T7_T9_mT8_S1G_bDpT10_ENKUlT_T0_E_clISt17integral_constantIbLb0EES1U_EEDaS1P_S1Q_EUlS1P_E_NS1_11comp_targetILNS1_3genE0ELNS1_11target_archE4294967295ELNS1_3gpuE0ELNS1_3repE0EEENS1_30default_config_static_selectorELNS0_4arch9wavefront6targetE1EEEvS12_, .Lfunc_end950-_ZN7rocprim17ROCPRIM_400000_NS6detail17trampoline_kernelINS0_13select_configILj256ELj13ELNS0_17block_load_methodE3ELS4_3ELS4_3ELNS0_20block_scan_algorithmE0ELj4294967295EEENS1_25partition_config_selectorILNS1_17partition_subalgoE4EjNS0_10empty_typeEbEEZZNS1_14partition_implILS8_4ELb0ES6_15HIP_vector_typeIjLj2EENS0_17counting_iteratorIjlEEPS9_SG_NS0_5tupleIJPjSI_NS0_16reverse_iteratorISI_EEEEENSH_IJSG_SG_SG_EEES9_SI_JZNS1_25segmented_radix_sort_implINS0_14default_configELb0EPKsPsPKlPlN2at6native12_GLOBAL__N_18offset_tEEE10hipError_tPvRmT1_PNSt15iterator_traitsIS12_E10value_typeET2_T3_PNS13_IS18_E10value_typeET4_jRbjT5_S1E_jjP12ihipStream_tbEUljE_ZNSN_ISO_Lb0ESQ_SR_ST_SU_SY_EESZ_S10_S11_S12_S16_S17_S18_S1B_S1C_jS1D_jS1E_S1E_jjS1G_bEUljE0_EEESZ_S10_S11_S18_S1C_S1E_T6_T7_T9_mT8_S1G_bDpT10_ENKUlT_T0_E_clISt17integral_constantIbLb0EES1U_EEDaS1P_S1Q_EUlS1P_E_NS1_11comp_targetILNS1_3genE0ELNS1_11target_archE4294967295ELNS1_3gpuE0ELNS1_3repE0EEENS1_30default_config_static_selectorELNS0_4arch9wavefront6targetE1EEEvS12_
                                        ; -- End function
	.set _ZN7rocprim17ROCPRIM_400000_NS6detail17trampoline_kernelINS0_13select_configILj256ELj13ELNS0_17block_load_methodE3ELS4_3ELS4_3ELNS0_20block_scan_algorithmE0ELj4294967295EEENS1_25partition_config_selectorILNS1_17partition_subalgoE4EjNS0_10empty_typeEbEEZZNS1_14partition_implILS8_4ELb0ES6_15HIP_vector_typeIjLj2EENS0_17counting_iteratorIjlEEPS9_SG_NS0_5tupleIJPjSI_NS0_16reverse_iteratorISI_EEEEENSH_IJSG_SG_SG_EEES9_SI_JZNS1_25segmented_radix_sort_implINS0_14default_configELb0EPKsPsPKlPlN2at6native12_GLOBAL__N_18offset_tEEE10hipError_tPvRmT1_PNSt15iterator_traitsIS12_E10value_typeET2_T3_PNS13_IS18_E10value_typeET4_jRbjT5_S1E_jjP12ihipStream_tbEUljE_ZNSN_ISO_Lb0ESQ_SR_ST_SU_SY_EESZ_S10_S11_S12_S16_S17_S18_S1B_S1C_jS1D_jS1E_S1E_jjS1G_bEUljE0_EEESZ_S10_S11_S18_S1C_S1E_T6_T7_T9_mT8_S1G_bDpT10_ENKUlT_T0_E_clISt17integral_constantIbLb0EES1U_EEDaS1P_S1Q_EUlS1P_E_NS1_11comp_targetILNS1_3genE0ELNS1_11target_archE4294967295ELNS1_3gpuE0ELNS1_3repE0EEENS1_30default_config_static_selectorELNS0_4arch9wavefront6targetE1EEEvS12_.num_vgpr, 0
	.set _ZN7rocprim17ROCPRIM_400000_NS6detail17trampoline_kernelINS0_13select_configILj256ELj13ELNS0_17block_load_methodE3ELS4_3ELS4_3ELNS0_20block_scan_algorithmE0ELj4294967295EEENS1_25partition_config_selectorILNS1_17partition_subalgoE4EjNS0_10empty_typeEbEEZZNS1_14partition_implILS8_4ELb0ES6_15HIP_vector_typeIjLj2EENS0_17counting_iteratorIjlEEPS9_SG_NS0_5tupleIJPjSI_NS0_16reverse_iteratorISI_EEEEENSH_IJSG_SG_SG_EEES9_SI_JZNS1_25segmented_radix_sort_implINS0_14default_configELb0EPKsPsPKlPlN2at6native12_GLOBAL__N_18offset_tEEE10hipError_tPvRmT1_PNSt15iterator_traitsIS12_E10value_typeET2_T3_PNS13_IS18_E10value_typeET4_jRbjT5_S1E_jjP12ihipStream_tbEUljE_ZNSN_ISO_Lb0ESQ_SR_ST_SU_SY_EESZ_S10_S11_S12_S16_S17_S18_S1B_S1C_jS1D_jS1E_S1E_jjS1G_bEUljE0_EEESZ_S10_S11_S18_S1C_S1E_T6_T7_T9_mT8_S1G_bDpT10_ENKUlT_T0_E_clISt17integral_constantIbLb0EES1U_EEDaS1P_S1Q_EUlS1P_E_NS1_11comp_targetILNS1_3genE0ELNS1_11target_archE4294967295ELNS1_3gpuE0ELNS1_3repE0EEENS1_30default_config_static_selectorELNS0_4arch9wavefront6targetE1EEEvS12_.num_agpr, 0
	.set _ZN7rocprim17ROCPRIM_400000_NS6detail17trampoline_kernelINS0_13select_configILj256ELj13ELNS0_17block_load_methodE3ELS4_3ELS4_3ELNS0_20block_scan_algorithmE0ELj4294967295EEENS1_25partition_config_selectorILNS1_17partition_subalgoE4EjNS0_10empty_typeEbEEZZNS1_14partition_implILS8_4ELb0ES6_15HIP_vector_typeIjLj2EENS0_17counting_iteratorIjlEEPS9_SG_NS0_5tupleIJPjSI_NS0_16reverse_iteratorISI_EEEEENSH_IJSG_SG_SG_EEES9_SI_JZNS1_25segmented_radix_sort_implINS0_14default_configELb0EPKsPsPKlPlN2at6native12_GLOBAL__N_18offset_tEEE10hipError_tPvRmT1_PNSt15iterator_traitsIS12_E10value_typeET2_T3_PNS13_IS18_E10value_typeET4_jRbjT5_S1E_jjP12ihipStream_tbEUljE_ZNSN_ISO_Lb0ESQ_SR_ST_SU_SY_EESZ_S10_S11_S12_S16_S17_S18_S1B_S1C_jS1D_jS1E_S1E_jjS1G_bEUljE0_EEESZ_S10_S11_S18_S1C_S1E_T6_T7_T9_mT8_S1G_bDpT10_ENKUlT_T0_E_clISt17integral_constantIbLb0EES1U_EEDaS1P_S1Q_EUlS1P_E_NS1_11comp_targetILNS1_3genE0ELNS1_11target_archE4294967295ELNS1_3gpuE0ELNS1_3repE0EEENS1_30default_config_static_selectorELNS0_4arch9wavefront6targetE1EEEvS12_.numbered_sgpr, 0
	.set _ZN7rocprim17ROCPRIM_400000_NS6detail17trampoline_kernelINS0_13select_configILj256ELj13ELNS0_17block_load_methodE3ELS4_3ELS4_3ELNS0_20block_scan_algorithmE0ELj4294967295EEENS1_25partition_config_selectorILNS1_17partition_subalgoE4EjNS0_10empty_typeEbEEZZNS1_14partition_implILS8_4ELb0ES6_15HIP_vector_typeIjLj2EENS0_17counting_iteratorIjlEEPS9_SG_NS0_5tupleIJPjSI_NS0_16reverse_iteratorISI_EEEEENSH_IJSG_SG_SG_EEES9_SI_JZNS1_25segmented_radix_sort_implINS0_14default_configELb0EPKsPsPKlPlN2at6native12_GLOBAL__N_18offset_tEEE10hipError_tPvRmT1_PNSt15iterator_traitsIS12_E10value_typeET2_T3_PNS13_IS18_E10value_typeET4_jRbjT5_S1E_jjP12ihipStream_tbEUljE_ZNSN_ISO_Lb0ESQ_SR_ST_SU_SY_EESZ_S10_S11_S12_S16_S17_S18_S1B_S1C_jS1D_jS1E_S1E_jjS1G_bEUljE0_EEESZ_S10_S11_S18_S1C_S1E_T6_T7_T9_mT8_S1G_bDpT10_ENKUlT_T0_E_clISt17integral_constantIbLb0EES1U_EEDaS1P_S1Q_EUlS1P_E_NS1_11comp_targetILNS1_3genE0ELNS1_11target_archE4294967295ELNS1_3gpuE0ELNS1_3repE0EEENS1_30default_config_static_selectorELNS0_4arch9wavefront6targetE1EEEvS12_.num_named_barrier, 0
	.set _ZN7rocprim17ROCPRIM_400000_NS6detail17trampoline_kernelINS0_13select_configILj256ELj13ELNS0_17block_load_methodE3ELS4_3ELS4_3ELNS0_20block_scan_algorithmE0ELj4294967295EEENS1_25partition_config_selectorILNS1_17partition_subalgoE4EjNS0_10empty_typeEbEEZZNS1_14partition_implILS8_4ELb0ES6_15HIP_vector_typeIjLj2EENS0_17counting_iteratorIjlEEPS9_SG_NS0_5tupleIJPjSI_NS0_16reverse_iteratorISI_EEEEENSH_IJSG_SG_SG_EEES9_SI_JZNS1_25segmented_radix_sort_implINS0_14default_configELb0EPKsPsPKlPlN2at6native12_GLOBAL__N_18offset_tEEE10hipError_tPvRmT1_PNSt15iterator_traitsIS12_E10value_typeET2_T3_PNS13_IS18_E10value_typeET4_jRbjT5_S1E_jjP12ihipStream_tbEUljE_ZNSN_ISO_Lb0ESQ_SR_ST_SU_SY_EESZ_S10_S11_S12_S16_S17_S18_S1B_S1C_jS1D_jS1E_S1E_jjS1G_bEUljE0_EEESZ_S10_S11_S18_S1C_S1E_T6_T7_T9_mT8_S1G_bDpT10_ENKUlT_T0_E_clISt17integral_constantIbLb0EES1U_EEDaS1P_S1Q_EUlS1P_E_NS1_11comp_targetILNS1_3genE0ELNS1_11target_archE4294967295ELNS1_3gpuE0ELNS1_3repE0EEENS1_30default_config_static_selectorELNS0_4arch9wavefront6targetE1EEEvS12_.private_seg_size, 0
	.set _ZN7rocprim17ROCPRIM_400000_NS6detail17trampoline_kernelINS0_13select_configILj256ELj13ELNS0_17block_load_methodE3ELS4_3ELS4_3ELNS0_20block_scan_algorithmE0ELj4294967295EEENS1_25partition_config_selectorILNS1_17partition_subalgoE4EjNS0_10empty_typeEbEEZZNS1_14partition_implILS8_4ELb0ES6_15HIP_vector_typeIjLj2EENS0_17counting_iteratorIjlEEPS9_SG_NS0_5tupleIJPjSI_NS0_16reverse_iteratorISI_EEEEENSH_IJSG_SG_SG_EEES9_SI_JZNS1_25segmented_radix_sort_implINS0_14default_configELb0EPKsPsPKlPlN2at6native12_GLOBAL__N_18offset_tEEE10hipError_tPvRmT1_PNSt15iterator_traitsIS12_E10value_typeET2_T3_PNS13_IS18_E10value_typeET4_jRbjT5_S1E_jjP12ihipStream_tbEUljE_ZNSN_ISO_Lb0ESQ_SR_ST_SU_SY_EESZ_S10_S11_S12_S16_S17_S18_S1B_S1C_jS1D_jS1E_S1E_jjS1G_bEUljE0_EEESZ_S10_S11_S18_S1C_S1E_T6_T7_T9_mT8_S1G_bDpT10_ENKUlT_T0_E_clISt17integral_constantIbLb0EES1U_EEDaS1P_S1Q_EUlS1P_E_NS1_11comp_targetILNS1_3genE0ELNS1_11target_archE4294967295ELNS1_3gpuE0ELNS1_3repE0EEENS1_30default_config_static_selectorELNS0_4arch9wavefront6targetE1EEEvS12_.uses_vcc, 0
	.set _ZN7rocprim17ROCPRIM_400000_NS6detail17trampoline_kernelINS0_13select_configILj256ELj13ELNS0_17block_load_methodE3ELS4_3ELS4_3ELNS0_20block_scan_algorithmE0ELj4294967295EEENS1_25partition_config_selectorILNS1_17partition_subalgoE4EjNS0_10empty_typeEbEEZZNS1_14partition_implILS8_4ELb0ES6_15HIP_vector_typeIjLj2EENS0_17counting_iteratorIjlEEPS9_SG_NS0_5tupleIJPjSI_NS0_16reverse_iteratorISI_EEEEENSH_IJSG_SG_SG_EEES9_SI_JZNS1_25segmented_radix_sort_implINS0_14default_configELb0EPKsPsPKlPlN2at6native12_GLOBAL__N_18offset_tEEE10hipError_tPvRmT1_PNSt15iterator_traitsIS12_E10value_typeET2_T3_PNS13_IS18_E10value_typeET4_jRbjT5_S1E_jjP12ihipStream_tbEUljE_ZNSN_ISO_Lb0ESQ_SR_ST_SU_SY_EESZ_S10_S11_S12_S16_S17_S18_S1B_S1C_jS1D_jS1E_S1E_jjS1G_bEUljE0_EEESZ_S10_S11_S18_S1C_S1E_T6_T7_T9_mT8_S1G_bDpT10_ENKUlT_T0_E_clISt17integral_constantIbLb0EES1U_EEDaS1P_S1Q_EUlS1P_E_NS1_11comp_targetILNS1_3genE0ELNS1_11target_archE4294967295ELNS1_3gpuE0ELNS1_3repE0EEENS1_30default_config_static_selectorELNS0_4arch9wavefront6targetE1EEEvS12_.uses_flat_scratch, 0
	.set _ZN7rocprim17ROCPRIM_400000_NS6detail17trampoline_kernelINS0_13select_configILj256ELj13ELNS0_17block_load_methodE3ELS4_3ELS4_3ELNS0_20block_scan_algorithmE0ELj4294967295EEENS1_25partition_config_selectorILNS1_17partition_subalgoE4EjNS0_10empty_typeEbEEZZNS1_14partition_implILS8_4ELb0ES6_15HIP_vector_typeIjLj2EENS0_17counting_iteratorIjlEEPS9_SG_NS0_5tupleIJPjSI_NS0_16reverse_iteratorISI_EEEEENSH_IJSG_SG_SG_EEES9_SI_JZNS1_25segmented_radix_sort_implINS0_14default_configELb0EPKsPsPKlPlN2at6native12_GLOBAL__N_18offset_tEEE10hipError_tPvRmT1_PNSt15iterator_traitsIS12_E10value_typeET2_T3_PNS13_IS18_E10value_typeET4_jRbjT5_S1E_jjP12ihipStream_tbEUljE_ZNSN_ISO_Lb0ESQ_SR_ST_SU_SY_EESZ_S10_S11_S12_S16_S17_S18_S1B_S1C_jS1D_jS1E_S1E_jjS1G_bEUljE0_EEESZ_S10_S11_S18_S1C_S1E_T6_T7_T9_mT8_S1G_bDpT10_ENKUlT_T0_E_clISt17integral_constantIbLb0EES1U_EEDaS1P_S1Q_EUlS1P_E_NS1_11comp_targetILNS1_3genE0ELNS1_11target_archE4294967295ELNS1_3gpuE0ELNS1_3repE0EEENS1_30default_config_static_selectorELNS0_4arch9wavefront6targetE1EEEvS12_.has_dyn_sized_stack, 0
	.set _ZN7rocprim17ROCPRIM_400000_NS6detail17trampoline_kernelINS0_13select_configILj256ELj13ELNS0_17block_load_methodE3ELS4_3ELS4_3ELNS0_20block_scan_algorithmE0ELj4294967295EEENS1_25partition_config_selectorILNS1_17partition_subalgoE4EjNS0_10empty_typeEbEEZZNS1_14partition_implILS8_4ELb0ES6_15HIP_vector_typeIjLj2EENS0_17counting_iteratorIjlEEPS9_SG_NS0_5tupleIJPjSI_NS0_16reverse_iteratorISI_EEEEENSH_IJSG_SG_SG_EEES9_SI_JZNS1_25segmented_radix_sort_implINS0_14default_configELb0EPKsPsPKlPlN2at6native12_GLOBAL__N_18offset_tEEE10hipError_tPvRmT1_PNSt15iterator_traitsIS12_E10value_typeET2_T3_PNS13_IS18_E10value_typeET4_jRbjT5_S1E_jjP12ihipStream_tbEUljE_ZNSN_ISO_Lb0ESQ_SR_ST_SU_SY_EESZ_S10_S11_S12_S16_S17_S18_S1B_S1C_jS1D_jS1E_S1E_jjS1G_bEUljE0_EEESZ_S10_S11_S18_S1C_S1E_T6_T7_T9_mT8_S1G_bDpT10_ENKUlT_T0_E_clISt17integral_constantIbLb0EES1U_EEDaS1P_S1Q_EUlS1P_E_NS1_11comp_targetILNS1_3genE0ELNS1_11target_archE4294967295ELNS1_3gpuE0ELNS1_3repE0EEENS1_30default_config_static_selectorELNS0_4arch9wavefront6targetE1EEEvS12_.has_recursion, 0
	.set _ZN7rocprim17ROCPRIM_400000_NS6detail17trampoline_kernelINS0_13select_configILj256ELj13ELNS0_17block_load_methodE3ELS4_3ELS4_3ELNS0_20block_scan_algorithmE0ELj4294967295EEENS1_25partition_config_selectorILNS1_17partition_subalgoE4EjNS0_10empty_typeEbEEZZNS1_14partition_implILS8_4ELb0ES6_15HIP_vector_typeIjLj2EENS0_17counting_iteratorIjlEEPS9_SG_NS0_5tupleIJPjSI_NS0_16reverse_iteratorISI_EEEEENSH_IJSG_SG_SG_EEES9_SI_JZNS1_25segmented_radix_sort_implINS0_14default_configELb0EPKsPsPKlPlN2at6native12_GLOBAL__N_18offset_tEEE10hipError_tPvRmT1_PNSt15iterator_traitsIS12_E10value_typeET2_T3_PNS13_IS18_E10value_typeET4_jRbjT5_S1E_jjP12ihipStream_tbEUljE_ZNSN_ISO_Lb0ESQ_SR_ST_SU_SY_EESZ_S10_S11_S12_S16_S17_S18_S1B_S1C_jS1D_jS1E_S1E_jjS1G_bEUljE0_EEESZ_S10_S11_S18_S1C_S1E_T6_T7_T9_mT8_S1G_bDpT10_ENKUlT_T0_E_clISt17integral_constantIbLb0EES1U_EEDaS1P_S1Q_EUlS1P_E_NS1_11comp_targetILNS1_3genE0ELNS1_11target_archE4294967295ELNS1_3gpuE0ELNS1_3repE0EEENS1_30default_config_static_selectorELNS0_4arch9wavefront6targetE1EEEvS12_.has_indirect_call, 0
	.section	.AMDGPU.csdata,"",@progbits
; Kernel info:
; codeLenInByte = 0
; TotalNumSgprs: 4
; NumVgprs: 0
; ScratchSize: 0
; MemoryBound: 0
; FloatMode: 240
; IeeeMode: 1
; LDSByteSize: 0 bytes/workgroup (compile time only)
; SGPRBlocks: 0
; VGPRBlocks: 0
; NumSGPRsForWavesPerEU: 4
; NumVGPRsForWavesPerEU: 1
; Occupancy: 10
; WaveLimiterHint : 0
; COMPUTE_PGM_RSRC2:SCRATCH_EN: 0
; COMPUTE_PGM_RSRC2:USER_SGPR: 6
; COMPUTE_PGM_RSRC2:TRAP_HANDLER: 0
; COMPUTE_PGM_RSRC2:TGID_X_EN: 1
; COMPUTE_PGM_RSRC2:TGID_Y_EN: 0
; COMPUTE_PGM_RSRC2:TGID_Z_EN: 0
; COMPUTE_PGM_RSRC2:TIDIG_COMP_CNT: 0
	.section	.text._ZN7rocprim17ROCPRIM_400000_NS6detail17trampoline_kernelINS0_13select_configILj256ELj13ELNS0_17block_load_methodE3ELS4_3ELS4_3ELNS0_20block_scan_algorithmE0ELj4294967295EEENS1_25partition_config_selectorILNS1_17partition_subalgoE4EjNS0_10empty_typeEbEEZZNS1_14partition_implILS8_4ELb0ES6_15HIP_vector_typeIjLj2EENS0_17counting_iteratorIjlEEPS9_SG_NS0_5tupleIJPjSI_NS0_16reverse_iteratorISI_EEEEENSH_IJSG_SG_SG_EEES9_SI_JZNS1_25segmented_radix_sort_implINS0_14default_configELb0EPKsPsPKlPlN2at6native12_GLOBAL__N_18offset_tEEE10hipError_tPvRmT1_PNSt15iterator_traitsIS12_E10value_typeET2_T3_PNS13_IS18_E10value_typeET4_jRbjT5_S1E_jjP12ihipStream_tbEUljE_ZNSN_ISO_Lb0ESQ_SR_ST_SU_SY_EESZ_S10_S11_S12_S16_S17_S18_S1B_S1C_jS1D_jS1E_S1E_jjS1G_bEUljE0_EEESZ_S10_S11_S18_S1C_S1E_T6_T7_T9_mT8_S1G_bDpT10_ENKUlT_T0_E_clISt17integral_constantIbLb0EES1U_EEDaS1P_S1Q_EUlS1P_E_NS1_11comp_targetILNS1_3genE5ELNS1_11target_archE942ELNS1_3gpuE9ELNS1_3repE0EEENS1_30default_config_static_selectorELNS0_4arch9wavefront6targetE1EEEvS12_,"axG",@progbits,_ZN7rocprim17ROCPRIM_400000_NS6detail17trampoline_kernelINS0_13select_configILj256ELj13ELNS0_17block_load_methodE3ELS4_3ELS4_3ELNS0_20block_scan_algorithmE0ELj4294967295EEENS1_25partition_config_selectorILNS1_17partition_subalgoE4EjNS0_10empty_typeEbEEZZNS1_14partition_implILS8_4ELb0ES6_15HIP_vector_typeIjLj2EENS0_17counting_iteratorIjlEEPS9_SG_NS0_5tupleIJPjSI_NS0_16reverse_iteratorISI_EEEEENSH_IJSG_SG_SG_EEES9_SI_JZNS1_25segmented_radix_sort_implINS0_14default_configELb0EPKsPsPKlPlN2at6native12_GLOBAL__N_18offset_tEEE10hipError_tPvRmT1_PNSt15iterator_traitsIS12_E10value_typeET2_T3_PNS13_IS18_E10value_typeET4_jRbjT5_S1E_jjP12ihipStream_tbEUljE_ZNSN_ISO_Lb0ESQ_SR_ST_SU_SY_EESZ_S10_S11_S12_S16_S17_S18_S1B_S1C_jS1D_jS1E_S1E_jjS1G_bEUljE0_EEESZ_S10_S11_S18_S1C_S1E_T6_T7_T9_mT8_S1G_bDpT10_ENKUlT_T0_E_clISt17integral_constantIbLb0EES1U_EEDaS1P_S1Q_EUlS1P_E_NS1_11comp_targetILNS1_3genE5ELNS1_11target_archE942ELNS1_3gpuE9ELNS1_3repE0EEENS1_30default_config_static_selectorELNS0_4arch9wavefront6targetE1EEEvS12_,comdat
	.globl	_ZN7rocprim17ROCPRIM_400000_NS6detail17trampoline_kernelINS0_13select_configILj256ELj13ELNS0_17block_load_methodE3ELS4_3ELS4_3ELNS0_20block_scan_algorithmE0ELj4294967295EEENS1_25partition_config_selectorILNS1_17partition_subalgoE4EjNS0_10empty_typeEbEEZZNS1_14partition_implILS8_4ELb0ES6_15HIP_vector_typeIjLj2EENS0_17counting_iteratorIjlEEPS9_SG_NS0_5tupleIJPjSI_NS0_16reverse_iteratorISI_EEEEENSH_IJSG_SG_SG_EEES9_SI_JZNS1_25segmented_radix_sort_implINS0_14default_configELb0EPKsPsPKlPlN2at6native12_GLOBAL__N_18offset_tEEE10hipError_tPvRmT1_PNSt15iterator_traitsIS12_E10value_typeET2_T3_PNS13_IS18_E10value_typeET4_jRbjT5_S1E_jjP12ihipStream_tbEUljE_ZNSN_ISO_Lb0ESQ_SR_ST_SU_SY_EESZ_S10_S11_S12_S16_S17_S18_S1B_S1C_jS1D_jS1E_S1E_jjS1G_bEUljE0_EEESZ_S10_S11_S18_S1C_S1E_T6_T7_T9_mT8_S1G_bDpT10_ENKUlT_T0_E_clISt17integral_constantIbLb0EES1U_EEDaS1P_S1Q_EUlS1P_E_NS1_11comp_targetILNS1_3genE5ELNS1_11target_archE942ELNS1_3gpuE9ELNS1_3repE0EEENS1_30default_config_static_selectorELNS0_4arch9wavefront6targetE1EEEvS12_ ; -- Begin function _ZN7rocprim17ROCPRIM_400000_NS6detail17trampoline_kernelINS0_13select_configILj256ELj13ELNS0_17block_load_methodE3ELS4_3ELS4_3ELNS0_20block_scan_algorithmE0ELj4294967295EEENS1_25partition_config_selectorILNS1_17partition_subalgoE4EjNS0_10empty_typeEbEEZZNS1_14partition_implILS8_4ELb0ES6_15HIP_vector_typeIjLj2EENS0_17counting_iteratorIjlEEPS9_SG_NS0_5tupleIJPjSI_NS0_16reverse_iteratorISI_EEEEENSH_IJSG_SG_SG_EEES9_SI_JZNS1_25segmented_radix_sort_implINS0_14default_configELb0EPKsPsPKlPlN2at6native12_GLOBAL__N_18offset_tEEE10hipError_tPvRmT1_PNSt15iterator_traitsIS12_E10value_typeET2_T3_PNS13_IS18_E10value_typeET4_jRbjT5_S1E_jjP12ihipStream_tbEUljE_ZNSN_ISO_Lb0ESQ_SR_ST_SU_SY_EESZ_S10_S11_S12_S16_S17_S18_S1B_S1C_jS1D_jS1E_S1E_jjS1G_bEUljE0_EEESZ_S10_S11_S18_S1C_S1E_T6_T7_T9_mT8_S1G_bDpT10_ENKUlT_T0_E_clISt17integral_constantIbLb0EES1U_EEDaS1P_S1Q_EUlS1P_E_NS1_11comp_targetILNS1_3genE5ELNS1_11target_archE942ELNS1_3gpuE9ELNS1_3repE0EEENS1_30default_config_static_selectorELNS0_4arch9wavefront6targetE1EEEvS12_
	.p2align	8
	.type	_ZN7rocprim17ROCPRIM_400000_NS6detail17trampoline_kernelINS0_13select_configILj256ELj13ELNS0_17block_load_methodE3ELS4_3ELS4_3ELNS0_20block_scan_algorithmE0ELj4294967295EEENS1_25partition_config_selectorILNS1_17partition_subalgoE4EjNS0_10empty_typeEbEEZZNS1_14partition_implILS8_4ELb0ES6_15HIP_vector_typeIjLj2EENS0_17counting_iteratorIjlEEPS9_SG_NS0_5tupleIJPjSI_NS0_16reverse_iteratorISI_EEEEENSH_IJSG_SG_SG_EEES9_SI_JZNS1_25segmented_radix_sort_implINS0_14default_configELb0EPKsPsPKlPlN2at6native12_GLOBAL__N_18offset_tEEE10hipError_tPvRmT1_PNSt15iterator_traitsIS12_E10value_typeET2_T3_PNS13_IS18_E10value_typeET4_jRbjT5_S1E_jjP12ihipStream_tbEUljE_ZNSN_ISO_Lb0ESQ_SR_ST_SU_SY_EESZ_S10_S11_S12_S16_S17_S18_S1B_S1C_jS1D_jS1E_S1E_jjS1G_bEUljE0_EEESZ_S10_S11_S18_S1C_S1E_T6_T7_T9_mT8_S1G_bDpT10_ENKUlT_T0_E_clISt17integral_constantIbLb0EES1U_EEDaS1P_S1Q_EUlS1P_E_NS1_11comp_targetILNS1_3genE5ELNS1_11target_archE942ELNS1_3gpuE9ELNS1_3repE0EEENS1_30default_config_static_selectorELNS0_4arch9wavefront6targetE1EEEvS12_,@function
_ZN7rocprim17ROCPRIM_400000_NS6detail17trampoline_kernelINS0_13select_configILj256ELj13ELNS0_17block_load_methodE3ELS4_3ELS4_3ELNS0_20block_scan_algorithmE0ELj4294967295EEENS1_25partition_config_selectorILNS1_17partition_subalgoE4EjNS0_10empty_typeEbEEZZNS1_14partition_implILS8_4ELb0ES6_15HIP_vector_typeIjLj2EENS0_17counting_iteratorIjlEEPS9_SG_NS0_5tupleIJPjSI_NS0_16reverse_iteratorISI_EEEEENSH_IJSG_SG_SG_EEES9_SI_JZNS1_25segmented_radix_sort_implINS0_14default_configELb0EPKsPsPKlPlN2at6native12_GLOBAL__N_18offset_tEEE10hipError_tPvRmT1_PNSt15iterator_traitsIS12_E10value_typeET2_T3_PNS13_IS18_E10value_typeET4_jRbjT5_S1E_jjP12ihipStream_tbEUljE_ZNSN_ISO_Lb0ESQ_SR_ST_SU_SY_EESZ_S10_S11_S12_S16_S17_S18_S1B_S1C_jS1D_jS1E_S1E_jjS1G_bEUljE0_EEESZ_S10_S11_S18_S1C_S1E_T6_T7_T9_mT8_S1G_bDpT10_ENKUlT_T0_E_clISt17integral_constantIbLb0EES1U_EEDaS1P_S1Q_EUlS1P_E_NS1_11comp_targetILNS1_3genE5ELNS1_11target_archE942ELNS1_3gpuE9ELNS1_3repE0EEENS1_30default_config_static_selectorELNS0_4arch9wavefront6targetE1EEEvS12_: ; @_ZN7rocprim17ROCPRIM_400000_NS6detail17trampoline_kernelINS0_13select_configILj256ELj13ELNS0_17block_load_methodE3ELS4_3ELS4_3ELNS0_20block_scan_algorithmE0ELj4294967295EEENS1_25partition_config_selectorILNS1_17partition_subalgoE4EjNS0_10empty_typeEbEEZZNS1_14partition_implILS8_4ELb0ES6_15HIP_vector_typeIjLj2EENS0_17counting_iteratorIjlEEPS9_SG_NS0_5tupleIJPjSI_NS0_16reverse_iteratorISI_EEEEENSH_IJSG_SG_SG_EEES9_SI_JZNS1_25segmented_radix_sort_implINS0_14default_configELb0EPKsPsPKlPlN2at6native12_GLOBAL__N_18offset_tEEE10hipError_tPvRmT1_PNSt15iterator_traitsIS12_E10value_typeET2_T3_PNS13_IS18_E10value_typeET4_jRbjT5_S1E_jjP12ihipStream_tbEUljE_ZNSN_ISO_Lb0ESQ_SR_ST_SU_SY_EESZ_S10_S11_S12_S16_S17_S18_S1B_S1C_jS1D_jS1E_S1E_jjS1G_bEUljE0_EEESZ_S10_S11_S18_S1C_S1E_T6_T7_T9_mT8_S1G_bDpT10_ENKUlT_T0_E_clISt17integral_constantIbLb0EES1U_EEDaS1P_S1Q_EUlS1P_E_NS1_11comp_targetILNS1_3genE5ELNS1_11target_archE942ELNS1_3gpuE9ELNS1_3repE0EEENS1_30default_config_static_selectorELNS0_4arch9wavefront6targetE1EEEvS12_
; %bb.0:
	.section	.rodata,"a",@progbits
	.p2align	6, 0x0
	.amdhsa_kernel _ZN7rocprim17ROCPRIM_400000_NS6detail17trampoline_kernelINS0_13select_configILj256ELj13ELNS0_17block_load_methodE3ELS4_3ELS4_3ELNS0_20block_scan_algorithmE0ELj4294967295EEENS1_25partition_config_selectorILNS1_17partition_subalgoE4EjNS0_10empty_typeEbEEZZNS1_14partition_implILS8_4ELb0ES6_15HIP_vector_typeIjLj2EENS0_17counting_iteratorIjlEEPS9_SG_NS0_5tupleIJPjSI_NS0_16reverse_iteratorISI_EEEEENSH_IJSG_SG_SG_EEES9_SI_JZNS1_25segmented_radix_sort_implINS0_14default_configELb0EPKsPsPKlPlN2at6native12_GLOBAL__N_18offset_tEEE10hipError_tPvRmT1_PNSt15iterator_traitsIS12_E10value_typeET2_T3_PNS13_IS18_E10value_typeET4_jRbjT5_S1E_jjP12ihipStream_tbEUljE_ZNSN_ISO_Lb0ESQ_SR_ST_SU_SY_EESZ_S10_S11_S12_S16_S17_S18_S1B_S1C_jS1D_jS1E_S1E_jjS1G_bEUljE0_EEESZ_S10_S11_S18_S1C_S1E_T6_T7_T9_mT8_S1G_bDpT10_ENKUlT_T0_E_clISt17integral_constantIbLb0EES1U_EEDaS1P_S1Q_EUlS1P_E_NS1_11comp_targetILNS1_3genE5ELNS1_11target_archE942ELNS1_3gpuE9ELNS1_3repE0EEENS1_30default_config_static_selectorELNS0_4arch9wavefront6targetE1EEEvS12_
		.amdhsa_group_segment_fixed_size 0
		.amdhsa_private_segment_fixed_size 0
		.amdhsa_kernarg_size 176
		.amdhsa_user_sgpr_count 6
		.amdhsa_user_sgpr_private_segment_buffer 1
		.amdhsa_user_sgpr_dispatch_ptr 0
		.amdhsa_user_sgpr_queue_ptr 0
		.amdhsa_user_sgpr_kernarg_segment_ptr 1
		.amdhsa_user_sgpr_dispatch_id 0
		.amdhsa_user_sgpr_flat_scratch_init 0
		.amdhsa_user_sgpr_private_segment_size 0
		.amdhsa_uses_dynamic_stack 0
		.amdhsa_system_sgpr_private_segment_wavefront_offset 0
		.amdhsa_system_sgpr_workgroup_id_x 1
		.amdhsa_system_sgpr_workgroup_id_y 0
		.amdhsa_system_sgpr_workgroup_id_z 0
		.amdhsa_system_sgpr_workgroup_info 0
		.amdhsa_system_vgpr_workitem_id 0
		.amdhsa_next_free_vgpr 1
		.amdhsa_next_free_sgpr 0
		.amdhsa_reserve_vcc 0
		.amdhsa_reserve_flat_scratch 0
		.amdhsa_float_round_mode_32 0
		.amdhsa_float_round_mode_16_64 0
		.amdhsa_float_denorm_mode_32 3
		.amdhsa_float_denorm_mode_16_64 3
		.amdhsa_dx10_clamp 1
		.amdhsa_ieee_mode 1
		.amdhsa_fp16_overflow 0
		.amdhsa_exception_fp_ieee_invalid_op 0
		.amdhsa_exception_fp_denorm_src 0
		.amdhsa_exception_fp_ieee_div_zero 0
		.amdhsa_exception_fp_ieee_overflow 0
		.amdhsa_exception_fp_ieee_underflow 0
		.amdhsa_exception_fp_ieee_inexact 0
		.amdhsa_exception_int_div_zero 0
	.end_amdhsa_kernel
	.section	.text._ZN7rocprim17ROCPRIM_400000_NS6detail17trampoline_kernelINS0_13select_configILj256ELj13ELNS0_17block_load_methodE3ELS4_3ELS4_3ELNS0_20block_scan_algorithmE0ELj4294967295EEENS1_25partition_config_selectorILNS1_17partition_subalgoE4EjNS0_10empty_typeEbEEZZNS1_14partition_implILS8_4ELb0ES6_15HIP_vector_typeIjLj2EENS0_17counting_iteratorIjlEEPS9_SG_NS0_5tupleIJPjSI_NS0_16reverse_iteratorISI_EEEEENSH_IJSG_SG_SG_EEES9_SI_JZNS1_25segmented_radix_sort_implINS0_14default_configELb0EPKsPsPKlPlN2at6native12_GLOBAL__N_18offset_tEEE10hipError_tPvRmT1_PNSt15iterator_traitsIS12_E10value_typeET2_T3_PNS13_IS18_E10value_typeET4_jRbjT5_S1E_jjP12ihipStream_tbEUljE_ZNSN_ISO_Lb0ESQ_SR_ST_SU_SY_EESZ_S10_S11_S12_S16_S17_S18_S1B_S1C_jS1D_jS1E_S1E_jjS1G_bEUljE0_EEESZ_S10_S11_S18_S1C_S1E_T6_T7_T9_mT8_S1G_bDpT10_ENKUlT_T0_E_clISt17integral_constantIbLb0EES1U_EEDaS1P_S1Q_EUlS1P_E_NS1_11comp_targetILNS1_3genE5ELNS1_11target_archE942ELNS1_3gpuE9ELNS1_3repE0EEENS1_30default_config_static_selectorELNS0_4arch9wavefront6targetE1EEEvS12_,"axG",@progbits,_ZN7rocprim17ROCPRIM_400000_NS6detail17trampoline_kernelINS0_13select_configILj256ELj13ELNS0_17block_load_methodE3ELS4_3ELS4_3ELNS0_20block_scan_algorithmE0ELj4294967295EEENS1_25partition_config_selectorILNS1_17partition_subalgoE4EjNS0_10empty_typeEbEEZZNS1_14partition_implILS8_4ELb0ES6_15HIP_vector_typeIjLj2EENS0_17counting_iteratorIjlEEPS9_SG_NS0_5tupleIJPjSI_NS0_16reverse_iteratorISI_EEEEENSH_IJSG_SG_SG_EEES9_SI_JZNS1_25segmented_radix_sort_implINS0_14default_configELb0EPKsPsPKlPlN2at6native12_GLOBAL__N_18offset_tEEE10hipError_tPvRmT1_PNSt15iterator_traitsIS12_E10value_typeET2_T3_PNS13_IS18_E10value_typeET4_jRbjT5_S1E_jjP12ihipStream_tbEUljE_ZNSN_ISO_Lb0ESQ_SR_ST_SU_SY_EESZ_S10_S11_S12_S16_S17_S18_S1B_S1C_jS1D_jS1E_S1E_jjS1G_bEUljE0_EEESZ_S10_S11_S18_S1C_S1E_T6_T7_T9_mT8_S1G_bDpT10_ENKUlT_T0_E_clISt17integral_constantIbLb0EES1U_EEDaS1P_S1Q_EUlS1P_E_NS1_11comp_targetILNS1_3genE5ELNS1_11target_archE942ELNS1_3gpuE9ELNS1_3repE0EEENS1_30default_config_static_selectorELNS0_4arch9wavefront6targetE1EEEvS12_,comdat
.Lfunc_end951:
	.size	_ZN7rocprim17ROCPRIM_400000_NS6detail17trampoline_kernelINS0_13select_configILj256ELj13ELNS0_17block_load_methodE3ELS4_3ELS4_3ELNS0_20block_scan_algorithmE0ELj4294967295EEENS1_25partition_config_selectorILNS1_17partition_subalgoE4EjNS0_10empty_typeEbEEZZNS1_14partition_implILS8_4ELb0ES6_15HIP_vector_typeIjLj2EENS0_17counting_iteratorIjlEEPS9_SG_NS0_5tupleIJPjSI_NS0_16reverse_iteratorISI_EEEEENSH_IJSG_SG_SG_EEES9_SI_JZNS1_25segmented_radix_sort_implINS0_14default_configELb0EPKsPsPKlPlN2at6native12_GLOBAL__N_18offset_tEEE10hipError_tPvRmT1_PNSt15iterator_traitsIS12_E10value_typeET2_T3_PNS13_IS18_E10value_typeET4_jRbjT5_S1E_jjP12ihipStream_tbEUljE_ZNSN_ISO_Lb0ESQ_SR_ST_SU_SY_EESZ_S10_S11_S12_S16_S17_S18_S1B_S1C_jS1D_jS1E_S1E_jjS1G_bEUljE0_EEESZ_S10_S11_S18_S1C_S1E_T6_T7_T9_mT8_S1G_bDpT10_ENKUlT_T0_E_clISt17integral_constantIbLb0EES1U_EEDaS1P_S1Q_EUlS1P_E_NS1_11comp_targetILNS1_3genE5ELNS1_11target_archE942ELNS1_3gpuE9ELNS1_3repE0EEENS1_30default_config_static_selectorELNS0_4arch9wavefront6targetE1EEEvS12_, .Lfunc_end951-_ZN7rocprim17ROCPRIM_400000_NS6detail17trampoline_kernelINS0_13select_configILj256ELj13ELNS0_17block_load_methodE3ELS4_3ELS4_3ELNS0_20block_scan_algorithmE0ELj4294967295EEENS1_25partition_config_selectorILNS1_17partition_subalgoE4EjNS0_10empty_typeEbEEZZNS1_14partition_implILS8_4ELb0ES6_15HIP_vector_typeIjLj2EENS0_17counting_iteratorIjlEEPS9_SG_NS0_5tupleIJPjSI_NS0_16reverse_iteratorISI_EEEEENSH_IJSG_SG_SG_EEES9_SI_JZNS1_25segmented_radix_sort_implINS0_14default_configELb0EPKsPsPKlPlN2at6native12_GLOBAL__N_18offset_tEEE10hipError_tPvRmT1_PNSt15iterator_traitsIS12_E10value_typeET2_T3_PNS13_IS18_E10value_typeET4_jRbjT5_S1E_jjP12ihipStream_tbEUljE_ZNSN_ISO_Lb0ESQ_SR_ST_SU_SY_EESZ_S10_S11_S12_S16_S17_S18_S1B_S1C_jS1D_jS1E_S1E_jjS1G_bEUljE0_EEESZ_S10_S11_S18_S1C_S1E_T6_T7_T9_mT8_S1G_bDpT10_ENKUlT_T0_E_clISt17integral_constantIbLb0EES1U_EEDaS1P_S1Q_EUlS1P_E_NS1_11comp_targetILNS1_3genE5ELNS1_11target_archE942ELNS1_3gpuE9ELNS1_3repE0EEENS1_30default_config_static_selectorELNS0_4arch9wavefront6targetE1EEEvS12_
                                        ; -- End function
	.set _ZN7rocprim17ROCPRIM_400000_NS6detail17trampoline_kernelINS0_13select_configILj256ELj13ELNS0_17block_load_methodE3ELS4_3ELS4_3ELNS0_20block_scan_algorithmE0ELj4294967295EEENS1_25partition_config_selectorILNS1_17partition_subalgoE4EjNS0_10empty_typeEbEEZZNS1_14partition_implILS8_4ELb0ES6_15HIP_vector_typeIjLj2EENS0_17counting_iteratorIjlEEPS9_SG_NS0_5tupleIJPjSI_NS0_16reverse_iteratorISI_EEEEENSH_IJSG_SG_SG_EEES9_SI_JZNS1_25segmented_radix_sort_implINS0_14default_configELb0EPKsPsPKlPlN2at6native12_GLOBAL__N_18offset_tEEE10hipError_tPvRmT1_PNSt15iterator_traitsIS12_E10value_typeET2_T3_PNS13_IS18_E10value_typeET4_jRbjT5_S1E_jjP12ihipStream_tbEUljE_ZNSN_ISO_Lb0ESQ_SR_ST_SU_SY_EESZ_S10_S11_S12_S16_S17_S18_S1B_S1C_jS1D_jS1E_S1E_jjS1G_bEUljE0_EEESZ_S10_S11_S18_S1C_S1E_T6_T7_T9_mT8_S1G_bDpT10_ENKUlT_T0_E_clISt17integral_constantIbLb0EES1U_EEDaS1P_S1Q_EUlS1P_E_NS1_11comp_targetILNS1_3genE5ELNS1_11target_archE942ELNS1_3gpuE9ELNS1_3repE0EEENS1_30default_config_static_selectorELNS0_4arch9wavefront6targetE1EEEvS12_.num_vgpr, 0
	.set _ZN7rocprim17ROCPRIM_400000_NS6detail17trampoline_kernelINS0_13select_configILj256ELj13ELNS0_17block_load_methodE3ELS4_3ELS4_3ELNS0_20block_scan_algorithmE0ELj4294967295EEENS1_25partition_config_selectorILNS1_17partition_subalgoE4EjNS0_10empty_typeEbEEZZNS1_14partition_implILS8_4ELb0ES6_15HIP_vector_typeIjLj2EENS0_17counting_iteratorIjlEEPS9_SG_NS0_5tupleIJPjSI_NS0_16reverse_iteratorISI_EEEEENSH_IJSG_SG_SG_EEES9_SI_JZNS1_25segmented_radix_sort_implINS0_14default_configELb0EPKsPsPKlPlN2at6native12_GLOBAL__N_18offset_tEEE10hipError_tPvRmT1_PNSt15iterator_traitsIS12_E10value_typeET2_T3_PNS13_IS18_E10value_typeET4_jRbjT5_S1E_jjP12ihipStream_tbEUljE_ZNSN_ISO_Lb0ESQ_SR_ST_SU_SY_EESZ_S10_S11_S12_S16_S17_S18_S1B_S1C_jS1D_jS1E_S1E_jjS1G_bEUljE0_EEESZ_S10_S11_S18_S1C_S1E_T6_T7_T9_mT8_S1G_bDpT10_ENKUlT_T0_E_clISt17integral_constantIbLb0EES1U_EEDaS1P_S1Q_EUlS1P_E_NS1_11comp_targetILNS1_3genE5ELNS1_11target_archE942ELNS1_3gpuE9ELNS1_3repE0EEENS1_30default_config_static_selectorELNS0_4arch9wavefront6targetE1EEEvS12_.num_agpr, 0
	.set _ZN7rocprim17ROCPRIM_400000_NS6detail17trampoline_kernelINS0_13select_configILj256ELj13ELNS0_17block_load_methodE3ELS4_3ELS4_3ELNS0_20block_scan_algorithmE0ELj4294967295EEENS1_25partition_config_selectorILNS1_17partition_subalgoE4EjNS0_10empty_typeEbEEZZNS1_14partition_implILS8_4ELb0ES6_15HIP_vector_typeIjLj2EENS0_17counting_iteratorIjlEEPS9_SG_NS0_5tupleIJPjSI_NS0_16reverse_iteratorISI_EEEEENSH_IJSG_SG_SG_EEES9_SI_JZNS1_25segmented_radix_sort_implINS0_14default_configELb0EPKsPsPKlPlN2at6native12_GLOBAL__N_18offset_tEEE10hipError_tPvRmT1_PNSt15iterator_traitsIS12_E10value_typeET2_T3_PNS13_IS18_E10value_typeET4_jRbjT5_S1E_jjP12ihipStream_tbEUljE_ZNSN_ISO_Lb0ESQ_SR_ST_SU_SY_EESZ_S10_S11_S12_S16_S17_S18_S1B_S1C_jS1D_jS1E_S1E_jjS1G_bEUljE0_EEESZ_S10_S11_S18_S1C_S1E_T6_T7_T9_mT8_S1G_bDpT10_ENKUlT_T0_E_clISt17integral_constantIbLb0EES1U_EEDaS1P_S1Q_EUlS1P_E_NS1_11comp_targetILNS1_3genE5ELNS1_11target_archE942ELNS1_3gpuE9ELNS1_3repE0EEENS1_30default_config_static_selectorELNS0_4arch9wavefront6targetE1EEEvS12_.numbered_sgpr, 0
	.set _ZN7rocprim17ROCPRIM_400000_NS6detail17trampoline_kernelINS0_13select_configILj256ELj13ELNS0_17block_load_methodE3ELS4_3ELS4_3ELNS0_20block_scan_algorithmE0ELj4294967295EEENS1_25partition_config_selectorILNS1_17partition_subalgoE4EjNS0_10empty_typeEbEEZZNS1_14partition_implILS8_4ELb0ES6_15HIP_vector_typeIjLj2EENS0_17counting_iteratorIjlEEPS9_SG_NS0_5tupleIJPjSI_NS0_16reverse_iteratorISI_EEEEENSH_IJSG_SG_SG_EEES9_SI_JZNS1_25segmented_radix_sort_implINS0_14default_configELb0EPKsPsPKlPlN2at6native12_GLOBAL__N_18offset_tEEE10hipError_tPvRmT1_PNSt15iterator_traitsIS12_E10value_typeET2_T3_PNS13_IS18_E10value_typeET4_jRbjT5_S1E_jjP12ihipStream_tbEUljE_ZNSN_ISO_Lb0ESQ_SR_ST_SU_SY_EESZ_S10_S11_S12_S16_S17_S18_S1B_S1C_jS1D_jS1E_S1E_jjS1G_bEUljE0_EEESZ_S10_S11_S18_S1C_S1E_T6_T7_T9_mT8_S1G_bDpT10_ENKUlT_T0_E_clISt17integral_constantIbLb0EES1U_EEDaS1P_S1Q_EUlS1P_E_NS1_11comp_targetILNS1_3genE5ELNS1_11target_archE942ELNS1_3gpuE9ELNS1_3repE0EEENS1_30default_config_static_selectorELNS0_4arch9wavefront6targetE1EEEvS12_.num_named_barrier, 0
	.set _ZN7rocprim17ROCPRIM_400000_NS6detail17trampoline_kernelINS0_13select_configILj256ELj13ELNS0_17block_load_methodE3ELS4_3ELS4_3ELNS0_20block_scan_algorithmE0ELj4294967295EEENS1_25partition_config_selectorILNS1_17partition_subalgoE4EjNS0_10empty_typeEbEEZZNS1_14partition_implILS8_4ELb0ES6_15HIP_vector_typeIjLj2EENS0_17counting_iteratorIjlEEPS9_SG_NS0_5tupleIJPjSI_NS0_16reverse_iteratorISI_EEEEENSH_IJSG_SG_SG_EEES9_SI_JZNS1_25segmented_radix_sort_implINS0_14default_configELb0EPKsPsPKlPlN2at6native12_GLOBAL__N_18offset_tEEE10hipError_tPvRmT1_PNSt15iterator_traitsIS12_E10value_typeET2_T3_PNS13_IS18_E10value_typeET4_jRbjT5_S1E_jjP12ihipStream_tbEUljE_ZNSN_ISO_Lb0ESQ_SR_ST_SU_SY_EESZ_S10_S11_S12_S16_S17_S18_S1B_S1C_jS1D_jS1E_S1E_jjS1G_bEUljE0_EEESZ_S10_S11_S18_S1C_S1E_T6_T7_T9_mT8_S1G_bDpT10_ENKUlT_T0_E_clISt17integral_constantIbLb0EES1U_EEDaS1P_S1Q_EUlS1P_E_NS1_11comp_targetILNS1_3genE5ELNS1_11target_archE942ELNS1_3gpuE9ELNS1_3repE0EEENS1_30default_config_static_selectorELNS0_4arch9wavefront6targetE1EEEvS12_.private_seg_size, 0
	.set _ZN7rocprim17ROCPRIM_400000_NS6detail17trampoline_kernelINS0_13select_configILj256ELj13ELNS0_17block_load_methodE3ELS4_3ELS4_3ELNS0_20block_scan_algorithmE0ELj4294967295EEENS1_25partition_config_selectorILNS1_17partition_subalgoE4EjNS0_10empty_typeEbEEZZNS1_14partition_implILS8_4ELb0ES6_15HIP_vector_typeIjLj2EENS0_17counting_iteratorIjlEEPS9_SG_NS0_5tupleIJPjSI_NS0_16reverse_iteratorISI_EEEEENSH_IJSG_SG_SG_EEES9_SI_JZNS1_25segmented_radix_sort_implINS0_14default_configELb0EPKsPsPKlPlN2at6native12_GLOBAL__N_18offset_tEEE10hipError_tPvRmT1_PNSt15iterator_traitsIS12_E10value_typeET2_T3_PNS13_IS18_E10value_typeET4_jRbjT5_S1E_jjP12ihipStream_tbEUljE_ZNSN_ISO_Lb0ESQ_SR_ST_SU_SY_EESZ_S10_S11_S12_S16_S17_S18_S1B_S1C_jS1D_jS1E_S1E_jjS1G_bEUljE0_EEESZ_S10_S11_S18_S1C_S1E_T6_T7_T9_mT8_S1G_bDpT10_ENKUlT_T0_E_clISt17integral_constantIbLb0EES1U_EEDaS1P_S1Q_EUlS1P_E_NS1_11comp_targetILNS1_3genE5ELNS1_11target_archE942ELNS1_3gpuE9ELNS1_3repE0EEENS1_30default_config_static_selectorELNS0_4arch9wavefront6targetE1EEEvS12_.uses_vcc, 0
	.set _ZN7rocprim17ROCPRIM_400000_NS6detail17trampoline_kernelINS0_13select_configILj256ELj13ELNS0_17block_load_methodE3ELS4_3ELS4_3ELNS0_20block_scan_algorithmE0ELj4294967295EEENS1_25partition_config_selectorILNS1_17partition_subalgoE4EjNS0_10empty_typeEbEEZZNS1_14partition_implILS8_4ELb0ES6_15HIP_vector_typeIjLj2EENS0_17counting_iteratorIjlEEPS9_SG_NS0_5tupleIJPjSI_NS0_16reverse_iteratorISI_EEEEENSH_IJSG_SG_SG_EEES9_SI_JZNS1_25segmented_radix_sort_implINS0_14default_configELb0EPKsPsPKlPlN2at6native12_GLOBAL__N_18offset_tEEE10hipError_tPvRmT1_PNSt15iterator_traitsIS12_E10value_typeET2_T3_PNS13_IS18_E10value_typeET4_jRbjT5_S1E_jjP12ihipStream_tbEUljE_ZNSN_ISO_Lb0ESQ_SR_ST_SU_SY_EESZ_S10_S11_S12_S16_S17_S18_S1B_S1C_jS1D_jS1E_S1E_jjS1G_bEUljE0_EEESZ_S10_S11_S18_S1C_S1E_T6_T7_T9_mT8_S1G_bDpT10_ENKUlT_T0_E_clISt17integral_constantIbLb0EES1U_EEDaS1P_S1Q_EUlS1P_E_NS1_11comp_targetILNS1_3genE5ELNS1_11target_archE942ELNS1_3gpuE9ELNS1_3repE0EEENS1_30default_config_static_selectorELNS0_4arch9wavefront6targetE1EEEvS12_.uses_flat_scratch, 0
	.set _ZN7rocprim17ROCPRIM_400000_NS6detail17trampoline_kernelINS0_13select_configILj256ELj13ELNS0_17block_load_methodE3ELS4_3ELS4_3ELNS0_20block_scan_algorithmE0ELj4294967295EEENS1_25partition_config_selectorILNS1_17partition_subalgoE4EjNS0_10empty_typeEbEEZZNS1_14partition_implILS8_4ELb0ES6_15HIP_vector_typeIjLj2EENS0_17counting_iteratorIjlEEPS9_SG_NS0_5tupleIJPjSI_NS0_16reverse_iteratorISI_EEEEENSH_IJSG_SG_SG_EEES9_SI_JZNS1_25segmented_radix_sort_implINS0_14default_configELb0EPKsPsPKlPlN2at6native12_GLOBAL__N_18offset_tEEE10hipError_tPvRmT1_PNSt15iterator_traitsIS12_E10value_typeET2_T3_PNS13_IS18_E10value_typeET4_jRbjT5_S1E_jjP12ihipStream_tbEUljE_ZNSN_ISO_Lb0ESQ_SR_ST_SU_SY_EESZ_S10_S11_S12_S16_S17_S18_S1B_S1C_jS1D_jS1E_S1E_jjS1G_bEUljE0_EEESZ_S10_S11_S18_S1C_S1E_T6_T7_T9_mT8_S1G_bDpT10_ENKUlT_T0_E_clISt17integral_constantIbLb0EES1U_EEDaS1P_S1Q_EUlS1P_E_NS1_11comp_targetILNS1_3genE5ELNS1_11target_archE942ELNS1_3gpuE9ELNS1_3repE0EEENS1_30default_config_static_selectorELNS0_4arch9wavefront6targetE1EEEvS12_.has_dyn_sized_stack, 0
	.set _ZN7rocprim17ROCPRIM_400000_NS6detail17trampoline_kernelINS0_13select_configILj256ELj13ELNS0_17block_load_methodE3ELS4_3ELS4_3ELNS0_20block_scan_algorithmE0ELj4294967295EEENS1_25partition_config_selectorILNS1_17partition_subalgoE4EjNS0_10empty_typeEbEEZZNS1_14partition_implILS8_4ELb0ES6_15HIP_vector_typeIjLj2EENS0_17counting_iteratorIjlEEPS9_SG_NS0_5tupleIJPjSI_NS0_16reverse_iteratorISI_EEEEENSH_IJSG_SG_SG_EEES9_SI_JZNS1_25segmented_radix_sort_implINS0_14default_configELb0EPKsPsPKlPlN2at6native12_GLOBAL__N_18offset_tEEE10hipError_tPvRmT1_PNSt15iterator_traitsIS12_E10value_typeET2_T3_PNS13_IS18_E10value_typeET4_jRbjT5_S1E_jjP12ihipStream_tbEUljE_ZNSN_ISO_Lb0ESQ_SR_ST_SU_SY_EESZ_S10_S11_S12_S16_S17_S18_S1B_S1C_jS1D_jS1E_S1E_jjS1G_bEUljE0_EEESZ_S10_S11_S18_S1C_S1E_T6_T7_T9_mT8_S1G_bDpT10_ENKUlT_T0_E_clISt17integral_constantIbLb0EES1U_EEDaS1P_S1Q_EUlS1P_E_NS1_11comp_targetILNS1_3genE5ELNS1_11target_archE942ELNS1_3gpuE9ELNS1_3repE0EEENS1_30default_config_static_selectorELNS0_4arch9wavefront6targetE1EEEvS12_.has_recursion, 0
	.set _ZN7rocprim17ROCPRIM_400000_NS6detail17trampoline_kernelINS0_13select_configILj256ELj13ELNS0_17block_load_methodE3ELS4_3ELS4_3ELNS0_20block_scan_algorithmE0ELj4294967295EEENS1_25partition_config_selectorILNS1_17partition_subalgoE4EjNS0_10empty_typeEbEEZZNS1_14partition_implILS8_4ELb0ES6_15HIP_vector_typeIjLj2EENS0_17counting_iteratorIjlEEPS9_SG_NS0_5tupleIJPjSI_NS0_16reverse_iteratorISI_EEEEENSH_IJSG_SG_SG_EEES9_SI_JZNS1_25segmented_radix_sort_implINS0_14default_configELb0EPKsPsPKlPlN2at6native12_GLOBAL__N_18offset_tEEE10hipError_tPvRmT1_PNSt15iterator_traitsIS12_E10value_typeET2_T3_PNS13_IS18_E10value_typeET4_jRbjT5_S1E_jjP12ihipStream_tbEUljE_ZNSN_ISO_Lb0ESQ_SR_ST_SU_SY_EESZ_S10_S11_S12_S16_S17_S18_S1B_S1C_jS1D_jS1E_S1E_jjS1G_bEUljE0_EEESZ_S10_S11_S18_S1C_S1E_T6_T7_T9_mT8_S1G_bDpT10_ENKUlT_T0_E_clISt17integral_constantIbLb0EES1U_EEDaS1P_S1Q_EUlS1P_E_NS1_11comp_targetILNS1_3genE5ELNS1_11target_archE942ELNS1_3gpuE9ELNS1_3repE0EEENS1_30default_config_static_selectorELNS0_4arch9wavefront6targetE1EEEvS12_.has_indirect_call, 0
	.section	.AMDGPU.csdata,"",@progbits
; Kernel info:
; codeLenInByte = 0
; TotalNumSgprs: 4
; NumVgprs: 0
; ScratchSize: 0
; MemoryBound: 0
; FloatMode: 240
; IeeeMode: 1
; LDSByteSize: 0 bytes/workgroup (compile time only)
; SGPRBlocks: 0
; VGPRBlocks: 0
; NumSGPRsForWavesPerEU: 4
; NumVGPRsForWavesPerEU: 1
; Occupancy: 10
; WaveLimiterHint : 0
; COMPUTE_PGM_RSRC2:SCRATCH_EN: 0
; COMPUTE_PGM_RSRC2:USER_SGPR: 6
; COMPUTE_PGM_RSRC2:TRAP_HANDLER: 0
; COMPUTE_PGM_RSRC2:TGID_X_EN: 1
; COMPUTE_PGM_RSRC2:TGID_Y_EN: 0
; COMPUTE_PGM_RSRC2:TGID_Z_EN: 0
; COMPUTE_PGM_RSRC2:TIDIG_COMP_CNT: 0
	.section	.text._ZN7rocprim17ROCPRIM_400000_NS6detail17trampoline_kernelINS0_13select_configILj256ELj13ELNS0_17block_load_methodE3ELS4_3ELS4_3ELNS0_20block_scan_algorithmE0ELj4294967295EEENS1_25partition_config_selectorILNS1_17partition_subalgoE4EjNS0_10empty_typeEbEEZZNS1_14partition_implILS8_4ELb0ES6_15HIP_vector_typeIjLj2EENS0_17counting_iteratorIjlEEPS9_SG_NS0_5tupleIJPjSI_NS0_16reverse_iteratorISI_EEEEENSH_IJSG_SG_SG_EEES9_SI_JZNS1_25segmented_radix_sort_implINS0_14default_configELb0EPKsPsPKlPlN2at6native12_GLOBAL__N_18offset_tEEE10hipError_tPvRmT1_PNSt15iterator_traitsIS12_E10value_typeET2_T3_PNS13_IS18_E10value_typeET4_jRbjT5_S1E_jjP12ihipStream_tbEUljE_ZNSN_ISO_Lb0ESQ_SR_ST_SU_SY_EESZ_S10_S11_S12_S16_S17_S18_S1B_S1C_jS1D_jS1E_S1E_jjS1G_bEUljE0_EEESZ_S10_S11_S18_S1C_S1E_T6_T7_T9_mT8_S1G_bDpT10_ENKUlT_T0_E_clISt17integral_constantIbLb0EES1U_EEDaS1P_S1Q_EUlS1P_E_NS1_11comp_targetILNS1_3genE4ELNS1_11target_archE910ELNS1_3gpuE8ELNS1_3repE0EEENS1_30default_config_static_selectorELNS0_4arch9wavefront6targetE1EEEvS12_,"axG",@progbits,_ZN7rocprim17ROCPRIM_400000_NS6detail17trampoline_kernelINS0_13select_configILj256ELj13ELNS0_17block_load_methodE3ELS4_3ELS4_3ELNS0_20block_scan_algorithmE0ELj4294967295EEENS1_25partition_config_selectorILNS1_17partition_subalgoE4EjNS0_10empty_typeEbEEZZNS1_14partition_implILS8_4ELb0ES6_15HIP_vector_typeIjLj2EENS0_17counting_iteratorIjlEEPS9_SG_NS0_5tupleIJPjSI_NS0_16reverse_iteratorISI_EEEEENSH_IJSG_SG_SG_EEES9_SI_JZNS1_25segmented_radix_sort_implINS0_14default_configELb0EPKsPsPKlPlN2at6native12_GLOBAL__N_18offset_tEEE10hipError_tPvRmT1_PNSt15iterator_traitsIS12_E10value_typeET2_T3_PNS13_IS18_E10value_typeET4_jRbjT5_S1E_jjP12ihipStream_tbEUljE_ZNSN_ISO_Lb0ESQ_SR_ST_SU_SY_EESZ_S10_S11_S12_S16_S17_S18_S1B_S1C_jS1D_jS1E_S1E_jjS1G_bEUljE0_EEESZ_S10_S11_S18_S1C_S1E_T6_T7_T9_mT8_S1G_bDpT10_ENKUlT_T0_E_clISt17integral_constantIbLb0EES1U_EEDaS1P_S1Q_EUlS1P_E_NS1_11comp_targetILNS1_3genE4ELNS1_11target_archE910ELNS1_3gpuE8ELNS1_3repE0EEENS1_30default_config_static_selectorELNS0_4arch9wavefront6targetE1EEEvS12_,comdat
	.globl	_ZN7rocprim17ROCPRIM_400000_NS6detail17trampoline_kernelINS0_13select_configILj256ELj13ELNS0_17block_load_methodE3ELS4_3ELS4_3ELNS0_20block_scan_algorithmE0ELj4294967295EEENS1_25partition_config_selectorILNS1_17partition_subalgoE4EjNS0_10empty_typeEbEEZZNS1_14partition_implILS8_4ELb0ES6_15HIP_vector_typeIjLj2EENS0_17counting_iteratorIjlEEPS9_SG_NS0_5tupleIJPjSI_NS0_16reverse_iteratorISI_EEEEENSH_IJSG_SG_SG_EEES9_SI_JZNS1_25segmented_radix_sort_implINS0_14default_configELb0EPKsPsPKlPlN2at6native12_GLOBAL__N_18offset_tEEE10hipError_tPvRmT1_PNSt15iterator_traitsIS12_E10value_typeET2_T3_PNS13_IS18_E10value_typeET4_jRbjT5_S1E_jjP12ihipStream_tbEUljE_ZNSN_ISO_Lb0ESQ_SR_ST_SU_SY_EESZ_S10_S11_S12_S16_S17_S18_S1B_S1C_jS1D_jS1E_S1E_jjS1G_bEUljE0_EEESZ_S10_S11_S18_S1C_S1E_T6_T7_T9_mT8_S1G_bDpT10_ENKUlT_T0_E_clISt17integral_constantIbLb0EES1U_EEDaS1P_S1Q_EUlS1P_E_NS1_11comp_targetILNS1_3genE4ELNS1_11target_archE910ELNS1_3gpuE8ELNS1_3repE0EEENS1_30default_config_static_selectorELNS0_4arch9wavefront6targetE1EEEvS12_ ; -- Begin function _ZN7rocprim17ROCPRIM_400000_NS6detail17trampoline_kernelINS0_13select_configILj256ELj13ELNS0_17block_load_methodE3ELS4_3ELS4_3ELNS0_20block_scan_algorithmE0ELj4294967295EEENS1_25partition_config_selectorILNS1_17partition_subalgoE4EjNS0_10empty_typeEbEEZZNS1_14partition_implILS8_4ELb0ES6_15HIP_vector_typeIjLj2EENS0_17counting_iteratorIjlEEPS9_SG_NS0_5tupleIJPjSI_NS0_16reverse_iteratorISI_EEEEENSH_IJSG_SG_SG_EEES9_SI_JZNS1_25segmented_radix_sort_implINS0_14default_configELb0EPKsPsPKlPlN2at6native12_GLOBAL__N_18offset_tEEE10hipError_tPvRmT1_PNSt15iterator_traitsIS12_E10value_typeET2_T3_PNS13_IS18_E10value_typeET4_jRbjT5_S1E_jjP12ihipStream_tbEUljE_ZNSN_ISO_Lb0ESQ_SR_ST_SU_SY_EESZ_S10_S11_S12_S16_S17_S18_S1B_S1C_jS1D_jS1E_S1E_jjS1G_bEUljE0_EEESZ_S10_S11_S18_S1C_S1E_T6_T7_T9_mT8_S1G_bDpT10_ENKUlT_T0_E_clISt17integral_constantIbLb0EES1U_EEDaS1P_S1Q_EUlS1P_E_NS1_11comp_targetILNS1_3genE4ELNS1_11target_archE910ELNS1_3gpuE8ELNS1_3repE0EEENS1_30default_config_static_selectorELNS0_4arch9wavefront6targetE1EEEvS12_
	.p2align	8
	.type	_ZN7rocprim17ROCPRIM_400000_NS6detail17trampoline_kernelINS0_13select_configILj256ELj13ELNS0_17block_load_methodE3ELS4_3ELS4_3ELNS0_20block_scan_algorithmE0ELj4294967295EEENS1_25partition_config_selectorILNS1_17partition_subalgoE4EjNS0_10empty_typeEbEEZZNS1_14partition_implILS8_4ELb0ES6_15HIP_vector_typeIjLj2EENS0_17counting_iteratorIjlEEPS9_SG_NS0_5tupleIJPjSI_NS0_16reverse_iteratorISI_EEEEENSH_IJSG_SG_SG_EEES9_SI_JZNS1_25segmented_radix_sort_implINS0_14default_configELb0EPKsPsPKlPlN2at6native12_GLOBAL__N_18offset_tEEE10hipError_tPvRmT1_PNSt15iterator_traitsIS12_E10value_typeET2_T3_PNS13_IS18_E10value_typeET4_jRbjT5_S1E_jjP12ihipStream_tbEUljE_ZNSN_ISO_Lb0ESQ_SR_ST_SU_SY_EESZ_S10_S11_S12_S16_S17_S18_S1B_S1C_jS1D_jS1E_S1E_jjS1G_bEUljE0_EEESZ_S10_S11_S18_S1C_S1E_T6_T7_T9_mT8_S1G_bDpT10_ENKUlT_T0_E_clISt17integral_constantIbLb0EES1U_EEDaS1P_S1Q_EUlS1P_E_NS1_11comp_targetILNS1_3genE4ELNS1_11target_archE910ELNS1_3gpuE8ELNS1_3repE0EEENS1_30default_config_static_selectorELNS0_4arch9wavefront6targetE1EEEvS12_,@function
_ZN7rocprim17ROCPRIM_400000_NS6detail17trampoline_kernelINS0_13select_configILj256ELj13ELNS0_17block_load_methodE3ELS4_3ELS4_3ELNS0_20block_scan_algorithmE0ELj4294967295EEENS1_25partition_config_selectorILNS1_17partition_subalgoE4EjNS0_10empty_typeEbEEZZNS1_14partition_implILS8_4ELb0ES6_15HIP_vector_typeIjLj2EENS0_17counting_iteratorIjlEEPS9_SG_NS0_5tupleIJPjSI_NS0_16reverse_iteratorISI_EEEEENSH_IJSG_SG_SG_EEES9_SI_JZNS1_25segmented_radix_sort_implINS0_14default_configELb0EPKsPsPKlPlN2at6native12_GLOBAL__N_18offset_tEEE10hipError_tPvRmT1_PNSt15iterator_traitsIS12_E10value_typeET2_T3_PNS13_IS18_E10value_typeET4_jRbjT5_S1E_jjP12ihipStream_tbEUljE_ZNSN_ISO_Lb0ESQ_SR_ST_SU_SY_EESZ_S10_S11_S12_S16_S17_S18_S1B_S1C_jS1D_jS1E_S1E_jjS1G_bEUljE0_EEESZ_S10_S11_S18_S1C_S1E_T6_T7_T9_mT8_S1G_bDpT10_ENKUlT_T0_E_clISt17integral_constantIbLb0EES1U_EEDaS1P_S1Q_EUlS1P_E_NS1_11comp_targetILNS1_3genE4ELNS1_11target_archE910ELNS1_3gpuE8ELNS1_3repE0EEENS1_30default_config_static_selectorELNS0_4arch9wavefront6targetE1EEEvS12_: ; @_ZN7rocprim17ROCPRIM_400000_NS6detail17trampoline_kernelINS0_13select_configILj256ELj13ELNS0_17block_load_methodE3ELS4_3ELS4_3ELNS0_20block_scan_algorithmE0ELj4294967295EEENS1_25partition_config_selectorILNS1_17partition_subalgoE4EjNS0_10empty_typeEbEEZZNS1_14partition_implILS8_4ELb0ES6_15HIP_vector_typeIjLj2EENS0_17counting_iteratorIjlEEPS9_SG_NS0_5tupleIJPjSI_NS0_16reverse_iteratorISI_EEEEENSH_IJSG_SG_SG_EEES9_SI_JZNS1_25segmented_radix_sort_implINS0_14default_configELb0EPKsPsPKlPlN2at6native12_GLOBAL__N_18offset_tEEE10hipError_tPvRmT1_PNSt15iterator_traitsIS12_E10value_typeET2_T3_PNS13_IS18_E10value_typeET4_jRbjT5_S1E_jjP12ihipStream_tbEUljE_ZNSN_ISO_Lb0ESQ_SR_ST_SU_SY_EESZ_S10_S11_S12_S16_S17_S18_S1B_S1C_jS1D_jS1E_S1E_jjS1G_bEUljE0_EEESZ_S10_S11_S18_S1C_S1E_T6_T7_T9_mT8_S1G_bDpT10_ENKUlT_T0_E_clISt17integral_constantIbLb0EES1U_EEDaS1P_S1Q_EUlS1P_E_NS1_11comp_targetILNS1_3genE4ELNS1_11target_archE910ELNS1_3gpuE8ELNS1_3repE0EEENS1_30default_config_static_selectorELNS0_4arch9wavefront6targetE1EEEvS12_
; %bb.0:
	.section	.rodata,"a",@progbits
	.p2align	6, 0x0
	.amdhsa_kernel _ZN7rocprim17ROCPRIM_400000_NS6detail17trampoline_kernelINS0_13select_configILj256ELj13ELNS0_17block_load_methodE3ELS4_3ELS4_3ELNS0_20block_scan_algorithmE0ELj4294967295EEENS1_25partition_config_selectorILNS1_17partition_subalgoE4EjNS0_10empty_typeEbEEZZNS1_14partition_implILS8_4ELb0ES6_15HIP_vector_typeIjLj2EENS0_17counting_iteratorIjlEEPS9_SG_NS0_5tupleIJPjSI_NS0_16reverse_iteratorISI_EEEEENSH_IJSG_SG_SG_EEES9_SI_JZNS1_25segmented_radix_sort_implINS0_14default_configELb0EPKsPsPKlPlN2at6native12_GLOBAL__N_18offset_tEEE10hipError_tPvRmT1_PNSt15iterator_traitsIS12_E10value_typeET2_T3_PNS13_IS18_E10value_typeET4_jRbjT5_S1E_jjP12ihipStream_tbEUljE_ZNSN_ISO_Lb0ESQ_SR_ST_SU_SY_EESZ_S10_S11_S12_S16_S17_S18_S1B_S1C_jS1D_jS1E_S1E_jjS1G_bEUljE0_EEESZ_S10_S11_S18_S1C_S1E_T6_T7_T9_mT8_S1G_bDpT10_ENKUlT_T0_E_clISt17integral_constantIbLb0EES1U_EEDaS1P_S1Q_EUlS1P_E_NS1_11comp_targetILNS1_3genE4ELNS1_11target_archE910ELNS1_3gpuE8ELNS1_3repE0EEENS1_30default_config_static_selectorELNS0_4arch9wavefront6targetE1EEEvS12_
		.amdhsa_group_segment_fixed_size 0
		.amdhsa_private_segment_fixed_size 0
		.amdhsa_kernarg_size 176
		.amdhsa_user_sgpr_count 6
		.amdhsa_user_sgpr_private_segment_buffer 1
		.amdhsa_user_sgpr_dispatch_ptr 0
		.amdhsa_user_sgpr_queue_ptr 0
		.amdhsa_user_sgpr_kernarg_segment_ptr 1
		.amdhsa_user_sgpr_dispatch_id 0
		.amdhsa_user_sgpr_flat_scratch_init 0
		.amdhsa_user_sgpr_private_segment_size 0
		.amdhsa_uses_dynamic_stack 0
		.amdhsa_system_sgpr_private_segment_wavefront_offset 0
		.amdhsa_system_sgpr_workgroup_id_x 1
		.amdhsa_system_sgpr_workgroup_id_y 0
		.amdhsa_system_sgpr_workgroup_id_z 0
		.amdhsa_system_sgpr_workgroup_info 0
		.amdhsa_system_vgpr_workitem_id 0
		.amdhsa_next_free_vgpr 1
		.amdhsa_next_free_sgpr 0
		.amdhsa_reserve_vcc 0
		.amdhsa_reserve_flat_scratch 0
		.amdhsa_float_round_mode_32 0
		.amdhsa_float_round_mode_16_64 0
		.amdhsa_float_denorm_mode_32 3
		.amdhsa_float_denorm_mode_16_64 3
		.amdhsa_dx10_clamp 1
		.amdhsa_ieee_mode 1
		.amdhsa_fp16_overflow 0
		.amdhsa_exception_fp_ieee_invalid_op 0
		.amdhsa_exception_fp_denorm_src 0
		.amdhsa_exception_fp_ieee_div_zero 0
		.amdhsa_exception_fp_ieee_overflow 0
		.amdhsa_exception_fp_ieee_underflow 0
		.amdhsa_exception_fp_ieee_inexact 0
		.amdhsa_exception_int_div_zero 0
	.end_amdhsa_kernel
	.section	.text._ZN7rocprim17ROCPRIM_400000_NS6detail17trampoline_kernelINS0_13select_configILj256ELj13ELNS0_17block_load_methodE3ELS4_3ELS4_3ELNS0_20block_scan_algorithmE0ELj4294967295EEENS1_25partition_config_selectorILNS1_17partition_subalgoE4EjNS0_10empty_typeEbEEZZNS1_14partition_implILS8_4ELb0ES6_15HIP_vector_typeIjLj2EENS0_17counting_iteratorIjlEEPS9_SG_NS0_5tupleIJPjSI_NS0_16reverse_iteratorISI_EEEEENSH_IJSG_SG_SG_EEES9_SI_JZNS1_25segmented_radix_sort_implINS0_14default_configELb0EPKsPsPKlPlN2at6native12_GLOBAL__N_18offset_tEEE10hipError_tPvRmT1_PNSt15iterator_traitsIS12_E10value_typeET2_T3_PNS13_IS18_E10value_typeET4_jRbjT5_S1E_jjP12ihipStream_tbEUljE_ZNSN_ISO_Lb0ESQ_SR_ST_SU_SY_EESZ_S10_S11_S12_S16_S17_S18_S1B_S1C_jS1D_jS1E_S1E_jjS1G_bEUljE0_EEESZ_S10_S11_S18_S1C_S1E_T6_T7_T9_mT8_S1G_bDpT10_ENKUlT_T0_E_clISt17integral_constantIbLb0EES1U_EEDaS1P_S1Q_EUlS1P_E_NS1_11comp_targetILNS1_3genE4ELNS1_11target_archE910ELNS1_3gpuE8ELNS1_3repE0EEENS1_30default_config_static_selectorELNS0_4arch9wavefront6targetE1EEEvS12_,"axG",@progbits,_ZN7rocprim17ROCPRIM_400000_NS6detail17trampoline_kernelINS0_13select_configILj256ELj13ELNS0_17block_load_methodE3ELS4_3ELS4_3ELNS0_20block_scan_algorithmE0ELj4294967295EEENS1_25partition_config_selectorILNS1_17partition_subalgoE4EjNS0_10empty_typeEbEEZZNS1_14partition_implILS8_4ELb0ES6_15HIP_vector_typeIjLj2EENS0_17counting_iteratorIjlEEPS9_SG_NS0_5tupleIJPjSI_NS0_16reverse_iteratorISI_EEEEENSH_IJSG_SG_SG_EEES9_SI_JZNS1_25segmented_radix_sort_implINS0_14default_configELb0EPKsPsPKlPlN2at6native12_GLOBAL__N_18offset_tEEE10hipError_tPvRmT1_PNSt15iterator_traitsIS12_E10value_typeET2_T3_PNS13_IS18_E10value_typeET4_jRbjT5_S1E_jjP12ihipStream_tbEUljE_ZNSN_ISO_Lb0ESQ_SR_ST_SU_SY_EESZ_S10_S11_S12_S16_S17_S18_S1B_S1C_jS1D_jS1E_S1E_jjS1G_bEUljE0_EEESZ_S10_S11_S18_S1C_S1E_T6_T7_T9_mT8_S1G_bDpT10_ENKUlT_T0_E_clISt17integral_constantIbLb0EES1U_EEDaS1P_S1Q_EUlS1P_E_NS1_11comp_targetILNS1_3genE4ELNS1_11target_archE910ELNS1_3gpuE8ELNS1_3repE0EEENS1_30default_config_static_selectorELNS0_4arch9wavefront6targetE1EEEvS12_,comdat
.Lfunc_end952:
	.size	_ZN7rocprim17ROCPRIM_400000_NS6detail17trampoline_kernelINS0_13select_configILj256ELj13ELNS0_17block_load_methodE3ELS4_3ELS4_3ELNS0_20block_scan_algorithmE0ELj4294967295EEENS1_25partition_config_selectorILNS1_17partition_subalgoE4EjNS0_10empty_typeEbEEZZNS1_14partition_implILS8_4ELb0ES6_15HIP_vector_typeIjLj2EENS0_17counting_iteratorIjlEEPS9_SG_NS0_5tupleIJPjSI_NS0_16reverse_iteratorISI_EEEEENSH_IJSG_SG_SG_EEES9_SI_JZNS1_25segmented_radix_sort_implINS0_14default_configELb0EPKsPsPKlPlN2at6native12_GLOBAL__N_18offset_tEEE10hipError_tPvRmT1_PNSt15iterator_traitsIS12_E10value_typeET2_T3_PNS13_IS18_E10value_typeET4_jRbjT5_S1E_jjP12ihipStream_tbEUljE_ZNSN_ISO_Lb0ESQ_SR_ST_SU_SY_EESZ_S10_S11_S12_S16_S17_S18_S1B_S1C_jS1D_jS1E_S1E_jjS1G_bEUljE0_EEESZ_S10_S11_S18_S1C_S1E_T6_T7_T9_mT8_S1G_bDpT10_ENKUlT_T0_E_clISt17integral_constantIbLb0EES1U_EEDaS1P_S1Q_EUlS1P_E_NS1_11comp_targetILNS1_3genE4ELNS1_11target_archE910ELNS1_3gpuE8ELNS1_3repE0EEENS1_30default_config_static_selectorELNS0_4arch9wavefront6targetE1EEEvS12_, .Lfunc_end952-_ZN7rocprim17ROCPRIM_400000_NS6detail17trampoline_kernelINS0_13select_configILj256ELj13ELNS0_17block_load_methodE3ELS4_3ELS4_3ELNS0_20block_scan_algorithmE0ELj4294967295EEENS1_25partition_config_selectorILNS1_17partition_subalgoE4EjNS0_10empty_typeEbEEZZNS1_14partition_implILS8_4ELb0ES6_15HIP_vector_typeIjLj2EENS0_17counting_iteratorIjlEEPS9_SG_NS0_5tupleIJPjSI_NS0_16reverse_iteratorISI_EEEEENSH_IJSG_SG_SG_EEES9_SI_JZNS1_25segmented_radix_sort_implINS0_14default_configELb0EPKsPsPKlPlN2at6native12_GLOBAL__N_18offset_tEEE10hipError_tPvRmT1_PNSt15iterator_traitsIS12_E10value_typeET2_T3_PNS13_IS18_E10value_typeET4_jRbjT5_S1E_jjP12ihipStream_tbEUljE_ZNSN_ISO_Lb0ESQ_SR_ST_SU_SY_EESZ_S10_S11_S12_S16_S17_S18_S1B_S1C_jS1D_jS1E_S1E_jjS1G_bEUljE0_EEESZ_S10_S11_S18_S1C_S1E_T6_T7_T9_mT8_S1G_bDpT10_ENKUlT_T0_E_clISt17integral_constantIbLb0EES1U_EEDaS1P_S1Q_EUlS1P_E_NS1_11comp_targetILNS1_3genE4ELNS1_11target_archE910ELNS1_3gpuE8ELNS1_3repE0EEENS1_30default_config_static_selectorELNS0_4arch9wavefront6targetE1EEEvS12_
                                        ; -- End function
	.set _ZN7rocprim17ROCPRIM_400000_NS6detail17trampoline_kernelINS0_13select_configILj256ELj13ELNS0_17block_load_methodE3ELS4_3ELS4_3ELNS0_20block_scan_algorithmE0ELj4294967295EEENS1_25partition_config_selectorILNS1_17partition_subalgoE4EjNS0_10empty_typeEbEEZZNS1_14partition_implILS8_4ELb0ES6_15HIP_vector_typeIjLj2EENS0_17counting_iteratorIjlEEPS9_SG_NS0_5tupleIJPjSI_NS0_16reverse_iteratorISI_EEEEENSH_IJSG_SG_SG_EEES9_SI_JZNS1_25segmented_radix_sort_implINS0_14default_configELb0EPKsPsPKlPlN2at6native12_GLOBAL__N_18offset_tEEE10hipError_tPvRmT1_PNSt15iterator_traitsIS12_E10value_typeET2_T3_PNS13_IS18_E10value_typeET4_jRbjT5_S1E_jjP12ihipStream_tbEUljE_ZNSN_ISO_Lb0ESQ_SR_ST_SU_SY_EESZ_S10_S11_S12_S16_S17_S18_S1B_S1C_jS1D_jS1E_S1E_jjS1G_bEUljE0_EEESZ_S10_S11_S18_S1C_S1E_T6_T7_T9_mT8_S1G_bDpT10_ENKUlT_T0_E_clISt17integral_constantIbLb0EES1U_EEDaS1P_S1Q_EUlS1P_E_NS1_11comp_targetILNS1_3genE4ELNS1_11target_archE910ELNS1_3gpuE8ELNS1_3repE0EEENS1_30default_config_static_selectorELNS0_4arch9wavefront6targetE1EEEvS12_.num_vgpr, 0
	.set _ZN7rocprim17ROCPRIM_400000_NS6detail17trampoline_kernelINS0_13select_configILj256ELj13ELNS0_17block_load_methodE3ELS4_3ELS4_3ELNS0_20block_scan_algorithmE0ELj4294967295EEENS1_25partition_config_selectorILNS1_17partition_subalgoE4EjNS0_10empty_typeEbEEZZNS1_14partition_implILS8_4ELb0ES6_15HIP_vector_typeIjLj2EENS0_17counting_iteratorIjlEEPS9_SG_NS0_5tupleIJPjSI_NS0_16reverse_iteratorISI_EEEEENSH_IJSG_SG_SG_EEES9_SI_JZNS1_25segmented_radix_sort_implINS0_14default_configELb0EPKsPsPKlPlN2at6native12_GLOBAL__N_18offset_tEEE10hipError_tPvRmT1_PNSt15iterator_traitsIS12_E10value_typeET2_T3_PNS13_IS18_E10value_typeET4_jRbjT5_S1E_jjP12ihipStream_tbEUljE_ZNSN_ISO_Lb0ESQ_SR_ST_SU_SY_EESZ_S10_S11_S12_S16_S17_S18_S1B_S1C_jS1D_jS1E_S1E_jjS1G_bEUljE0_EEESZ_S10_S11_S18_S1C_S1E_T6_T7_T9_mT8_S1G_bDpT10_ENKUlT_T0_E_clISt17integral_constantIbLb0EES1U_EEDaS1P_S1Q_EUlS1P_E_NS1_11comp_targetILNS1_3genE4ELNS1_11target_archE910ELNS1_3gpuE8ELNS1_3repE0EEENS1_30default_config_static_selectorELNS0_4arch9wavefront6targetE1EEEvS12_.num_agpr, 0
	.set _ZN7rocprim17ROCPRIM_400000_NS6detail17trampoline_kernelINS0_13select_configILj256ELj13ELNS0_17block_load_methodE3ELS4_3ELS4_3ELNS0_20block_scan_algorithmE0ELj4294967295EEENS1_25partition_config_selectorILNS1_17partition_subalgoE4EjNS0_10empty_typeEbEEZZNS1_14partition_implILS8_4ELb0ES6_15HIP_vector_typeIjLj2EENS0_17counting_iteratorIjlEEPS9_SG_NS0_5tupleIJPjSI_NS0_16reverse_iteratorISI_EEEEENSH_IJSG_SG_SG_EEES9_SI_JZNS1_25segmented_radix_sort_implINS0_14default_configELb0EPKsPsPKlPlN2at6native12_GLOBAL__N_18offset_tEEE10hipError_tPvRmT1_PNSt15iterator_traitsIS12_E10value_typeET2_T3_PNS13_IS18_E10value_typeET4_jRbjT5_S1E_jjP12ihipStream_tbEUljE_ZNSN_ISO_Lb0ESQ_SR_ST_SU_SY_EESZ_S10_S11_S12_S16_S17_S18_S1B_S1C_jS1D_jS1E_S1E_jjS1G_bEUljE0_EEESZ_S10_S11_S18_S1C_S1E_T6_T7_T9_mT8_S1G_bDpT10_ENKUlT_T0_E_clISt17integral_constantIbLb0EES1U_EEDaS1P_S1Q_EUlS1P_E_NS1_11comp_targetILNS1_3genE4ELNS1_11target_archE910ELNS1_3gpuE8ELNS1_3repE0EEENS1_30default_config_static_selectorELNS0_4arch9wavefront6targetE1EEEvS12_.numbered_sgpr, 0
	.set _ZN7rocprim17ROCPRIM_400000_NS6detail17trampoline_kernelINS0_13select_configILj256ELj13ELNS0_17block_load_methodE3ELS4_3ELS4_3ELNS0_20block_scan_algorithmE0ELj4294967295EEENS1_25partition_config_selectorILNS1_17partition_subalgoE4EjNS0_10empty_typeEbEEZZNS1_14partition_implILS8_4ELb0ES6_15HIP_vector_typeIjLj2EENS0_17counting_iteratorIjlEEPS9_SG_NS0_5tupleIJPjSI_NS0_16reverse_iteratorISI_EEEEENSH_IJSG_SG_SG_EEES9_SI_JZNS1_25segmented_radix_sort_implINS0_14default_configELb0EPKsPsPKlPlN2at6native12_GLOBAL__N_18offset_tEEE10hipError_tPvRmT1_PNSt15iterator_traitsIS12_E10value_typeET2_T3_PNS13_IS18_E10value_typeET4_jRbjT5_S1E_jjP12ihipStream_tbEUljE_ZNSN_ISO_Lb0ESQ_SR_ST_SU_SY_EESZ_S10_S11_S12_S16_S17_S18_S1B_S1C_jS1D_jS1E_S1E_jjS1G_bEUljE0_EEESZ_S10_S11_S18_S1C_S1E_T6_T7_T9_mT8_S1G_bDpT10_ENKUlT_T0_E_clISt17integral_constantIbLb0EES1U_EEDaS1P_S1Q_EUlS1P_E_NS1_11comp_targetILNS1_3genE4ELNS1_11target_archE910ELNS1_3gpuE8ELNS1_3repE0EEENS1_30default_config_static_selectorELNS0_4arch9wavefront6targetE1EEEvS12_.num_named_barrier, 0
	.set _ZN7rocprim17ROCPRIM_400000_NS6detail17trampoline_kernelINS0_13select_configILj256ELj13ELNS0_17block_load_methodE3ELS4_3ELS4_3ELNS0_20block_scan_algorithmE0ELj4294967295EEENS1_25partition_config_selectorILNS1_17partition_subalgoE4EjNS0_10empty_typeEbEEZZNS1_14partition_implILS8_4ELb0ES6_15HIP_vector_typeIjLj2EENS0_17counting_iteratorIjlEEPS9_SG_NS0_5tupleIJPjSI_NS0_16reverse_iteratorISI_EEEEENSH_IJSG_SG_SG_EEES9_SI_JZNS1_25segmented_radix_sort_implINS0_14default_configELb0EPKsPsPKlPlN2at6native12_GLOBAL__N_18offset_tEEE10hipError_tPvRmT1_PNSt15iterator_traitsIS12_E10value_typeET2_T3_PNS13_IS18_E10value_typeET4_jRbjT5_S1E_jjP12ihipStream_tbEUljE_ZNSN_ISO_Lb0ESQ_SR_ST_SU_SY_EESZ_S10_S11_S12_S16_S17_S18_S1B_S1C_jS1D_jS1E_S1E_jjS1G_bEUljE0_EEESZ_S10_S11_S18_S1C_S1E_T6_T7_T9_mT8_S1G_bDpT10_ENKUlT_T0_E_clISt17integral_constantIbLb0EES1U_EEDaS1P_S1Q_EUlS1P_E_NS1_11comp_targetILNS1_3genE4ELNS1_11target_archE910ELNS1_3gpuE8ELNS1_3repE0EEENS1_30default_config_static_selectorELNS0_4arch9wavefront6targetE1EEEvS12_.private_seg_size, 0
	.set _ZN7rocprim17ROCPRIM_400000_NS6detail17trampoline_kernelINS0_13select_configILj256ELj13ELNS0_17block_load_methodE3ELS4_3ELS4_3ELNS0_20block_scan_algorithmE0ELj4294967295EEENS1_25partition_config_selectorILNS1_17partition_subalgoE4EjNS0_10empty_typeEbEEZZNS1_14partition_implILS8_4ELb0ES6_15HIP_vector_typeIjLj2EENS0_17counting_iteratorIjlEEPS9_SG_NS0_5tupleIJPjSI_NS0_16reverse_iteratorISI_EEEEENSH_IJSG_SG_SG_EEES9_SI_JZNS1_25segmented_radix_sort_implINS0_14default_configELb0EPKsPsPKlPlN2at6native12_GLOBAL__N_18offset_tEEE10hipError_tPvRmT1_PNSt15iterator_traitsIS12_E10value_typeET2_T3_PNS13_IS18_E10value_typeET4_jRbjT5_S1E_jjP12ihipStream_tbEUljE_ZNSN_ISO_Lb0ESQ_SR_ST_SU_SY_EESZ_S10_S11_S12_S16_S17_S18_S1B_S1C_jS1D_jS1E_S1E_jjS1G_bEUljE0_EEESZ_S10_S11_S18_S1C_S1E_T6_T7_T9_mT8_S1G_bDpT10_ENKUlT_T0_E_clISt17integral_constantIbLb0EES1U_EEDaS1P_S1Q_EUlS1P_E_NS1_11comp_targetILNS1_3genE4ELNS1_11target_archE910ELNS1_3gpuE8ELNS1_3repE0EEENS1_30default_config_static_selectorELNS0_4arch9wavefront6targetE1EEEvS12_.uses_vcc, 0
	.set _ZN7rocprim17ROCPRIM_400000_NS6detail17trampoline_kernelINS0_13select_configILj256ELj13ELNS0_17block_load_methodE3ELS4_3ELS4_3ELNS0_20block_scan_algorithmE0ELj4294967295EEENS1_25partition_config_selectorILNS1_17partition_subalgoE4EjNS0_10empty_typeEbEEZZNS1_14partition_implILS8_4ELb0ES6_15HIP_vector_typeIjLj2EENS0_17counting_iteratorIjlEEPS9_SG_NS0_5tupleIJPjSI_NS0_16reverse_iteratorISI_EEEEENSH_IJSG_SG_SG_EEES9_SI_JZNS1_25segmented_radix_sort_implINS0_14default_configELb0EPKsPsPKlPlN2at6native12_GLOBAL__N_18offset_tEEE10hipError_tPvRmT1_PNSt15iterator_traitsIS12_E10value_typeET2_T3_PNS13_IS18_E10value_typeET4_jRbjT5_S1E_jjP12ihipStream_tbEUljE_ZNSN_ISO_Lb0ESQ_SR_ST_SU_SY_EESZ_S10_S11_S12_S16_S17_S18_S1B_S1C_jS1D_jS1E_S1E_jjS1G_bEUljE0_EEESZ_S10_S11_S18_S1C_S1E_T6_T7_T9_mT8_S1G_bDpT10_ENKUlT_T0_E_clISt17integral_constantIbLb0EES1U_EEDaS1P_S1Q_EUlS1P_E_NS1_11comp_targetILNS1_3genE4ELNS1_11target_archE910ELNS1_3gpuE8ELNS1_3repE0EEENS1_30default_config_static_selectorELNS0_4arch9wavefront6targetE1EEEvS12_.uses_flat_scratch, 0
	.set _ZN7rocprim17ROCPRIM_400000_NS6detail17trampoline_kernelINS0_13select_configILj256ELj13ELNS0_17block_load_methodE3ELS4_3ELS4_3ELNS0_20block_scan_algorithmE0ELj4294967295EEENS1_25partition_config_selectorILNS1_17partition_subalgoE4EjNS0_10empty_typeEbEEZZNS1_14partition_implILS8_4ELb0ES6_15HIP_vector_typeIjLj2EENS0_17counting_iteratorIjlEEPS9_SG_NS0_5tupleIJPjSI_NS0_16reverse_iteratorISI_EEEEENSH_IJSG_SG_SG_EEES9_SI_JZNS1_25segmented_radix_sort_implINS0_14default_configELb0EPKsPsPKlPlN2at6native12_GLOBAL__N_18offset_tEEE10hipError_tPvRmT1_PNSt15iterator_traitsIS12_E10value_typeET2_T3_PNS13_IS18_E10value_typeET4_jRbjT5_S1E_jjP12ihipStream_tbEUljE_ZNSN_ISO_Lb0ESQ_SR_ST_SU_SY_EESZ_S10_S11_S12_S16_S17_S18_S1B_S1C_jS1D_jS1E_S1E_jjS1G_bEUljE0_EEESZ_S10_S11_S18_S1C_S1E_T6_T7_T9_mT8_S1G_bDpT10_ENKUlT_T0_E_clISt17integral_constantIbLb0EES1U_EEDaS1P_S1Q_EUlS1P_E_NS1_11comp_targetILNS1_3genE4ELNS1_11target_archE910ELNS1_3gpuE8ELNS1_3repE0EEENS1_30default_config_static_selectorELNS0_4arch9wavefront6targetE1EEEvS12_.has_dyn_sized_stack, 0
	.set _ZN7rocprim17ROCPRIM_400000_NS6detail17trampoline_kernelINS0_13select_configILj256ELj13ELNS0_17block_load_methodE3ELS4_3ELS4_3ELNS0_20block_scan_algorithmE0ELj4294967295EEENS1_25partition_config_selectorILNS1_17partition_subalgoE4EjNS0_10empty_typeEbEEZZNS1_14partition_implILS8_4ELb0ES6_15HIP_vector_typeIjLj2EENS0_17counting_iteratorIjlEEPS9_SG_NS0_5tupleIJPjSI_NS0_16reverse_iteratorISI_EEEEENSH_IJSG_SG_SG_EEES9_SI_JZNS1_25segmented_radix_sort_implINS0_14default_configELb0EPKsPsPKlPlN2at6native12_GLOBAL__N_18offset_tEEE10hipError_tPvRmT1_PNSt15iterator_traitsIS12_E10value_typeET2_T3_PNS13_IS18_E10value_typeET4_jRbjT5_S1E_jjP12ihipStream_tbEUljE_ZNSN_ISO_Lb0ESQ_SR_ST_SU_SY_EESZ_S10_S11_S12_S16_S17_S18_S1B_S1C_jS1D_jS1E_S1E_jjS1G_bEUljE0_EEESZ_S10_S11_S18_S1C_S1E_T6_T7_T9_mT8_S1G_bDpT10_ENKUlT_T0_E_clISt17integral_constantIbLb0EES1U_EEDaS1P_S1Q_EUlS1P_E_NS1_11comp_targetILNS1_3genE4ELNS1_11target_archE910ELNS1_3gpuE8ELNS1_3repE0EEENS1_30default_config_static_selectorELNS0_4arch9wavefront6targetE1EEEvS12_.has_recursion, 0
	.set _ZN7rocprim17ROCPRIM_400000_NS6detail17trampoline_kernelINS0_13select_configILj256ELj13ELNS0_17block_load_methodE3ELS4_3ELS4_3ELNS0_20block_scan_algorithmE0ELj4294967295EEENS1_25partition_config_selectorILNS1_17partition_subalgoE4EjNS0_10empty_typeEbEEZZNS1_14partition_implILS8_4ELb0ES6_15HIP_vector_typeIjLj2EENS0_17counting_iteratorIjlEEPS9_SG_NS0_5tupleIJPjSI_NS0_16reverse_iteratorISI_EEEEENSH_IJSG_SG_SG_EEES9_SI_JZNS1_25segmented_radix_sort_implINS0_14default_configELb0EPKsPsPKlPlN2at6native12_GLOBAL__N_18offset_tEEE10hipError_tPvRmT1_PNSt15iterator_traitsIS12_E10value_typeET2_T3_PNS13_IS18_E10value_typeET4_jRbjT5_S1E_jjP12ihipStream_tbEUljE_ZNSN_ISO_Lb0ESQ_SR_ST_SU_SY_EESZ_S10_S11_S12_S16_S17_S18_S1B_S1C_jS1D_jS1E_S1E_jjS1G_bEUljE0_EEESZ_S10_S11_S18_S1C_S1E_T6_T7_T9_mT8_S1G_bDpT10_ENKUlT_T0_E_clISt17integral_constantIbLb0EES1U_EEDaS1P_S1Q_EUlS1P_E_NS1_11comp_targetILNS1_3genE4ELNS1_11target_archE910ELNS1_3gpuE8ELNS1_3repE0EEENS1_30default_config_static_selectorELNS0_4arch9wavefront6targetE1EEEvS12_.has_indirect_call, 0
	.section	.AMDGPU.csdata,"",@progbits
; Kernel info:
; codeLenInByte = 0
; TotalNumSgprs: 4
; NumVgprs: 0
; ScratchSize: 0
; MemoryBound: 0
; FloatMode: 240
; IeeeMode: 1
; LDSByteSize: 0 bytes/workgroup (compile time only)
; SGPRBlocks: 0
; VGPRBlocks: 0
; NumSGPRsForWavesPerEU: 4
; NumVGPRsForWavesPerEU: 1
; Occupancy: 10
; WaveLimiterHint : 0
; COMPUTE_PGM_RSRC2:SCRATCH_EN: 0
; COMPUTE_PGM_RSRC2:USER_SGPR: 6
; COMPUTE_PGM_RSRC2:TRAP_HANDLER: 0
; COMPUTE_PGM_RSRC2:TGID_X_EN: 1
; COMPUTE_PGM_RSRC2:TGID_Y_EN: 0
; COMPUTE_PGM_RSRC2:TGID_Z_EN: 0
; COMPUTE_PGM_RSRC2:TIDIG_COMP_CNT: 0
	.section	.text._ZN7rocprim17ROCPRIM_400000_NS6detail17trampoline_kernelINS0_13select_configILj256ELj13ELNS0_17block_load_methodE3ELS4_3ELS4_3ELNS0_20block_scan_algorithmE0ELj4294967295EEENS1_25partition_config_selectorILNS1_17partition_subalgoE4EjNS0_10empty_typeEbEEZZNS1_14partition_implILS8_4ELb0ES6_15HIP_vector_typeIjLj2EENS0_17counting_iteratorIjlEEPS9_SG_NS0_5tupleIJPjSI_NS0_16reverse_iteratorISI_EEEEENSH_IJSG_SG_SG_EEES9_SI_JZNS1_25segmented_radix_sort_implINS0_14default_configELb0EPKsPsPKlPlN2at6native12_GLOBAL__N_18offset_tEEE10hipError_tPvRmT1_PNSt15iterator_traitsIS12_E10value_typeET2_T3_PNS13_IS18_E10value_typeET4_jRbjT5_S1E_jjP12ihipStream_tbEUljE_ZNSN_ISO_Lb0ESQ_SR_ST_SU_SY_EESZ_S10_S11_S12_S16_S17_S18_S1B_S1C_jS1D_jS1E_S1E_jjS1G_bEUljE0_EEESZ_S10_S11_S18_S1C_S1E_T6_T7_T9_mT8_S1G_bDpT10_ENKUlT_T0_E_clISt17integral_constantIbLb0EES1U_EEDaS1P_S1Q_EUlS1P_E_NS1_11comp_targetILNS1_3genE3ELNS1_11target_archE908ELNS1_3gpuE7ELNS1_3repE0EEENS1_30default_config_static_selectorELNS0_4arch9wavefront6targetE1EEEvS12_,"axG",@progbits,_ZN7rocprim17ROCPRIM_400000_NS6detail17trampoline_kernelINS0_13select_configILj256ELj13ELNS0_17block_load_methodE3ELS4_3ELS4_3ELNS0_20block_scan_algorithmE0ELj4294967295EEENS1_25partition_config_selectorILNS1_17partition_subalgoE4EjNS0_10empty_typeEbEEZZNS1_14partition_implILS8_4ELb0ES6_15HIP_vector_typeIjLj2EENS0_17counting_iteratorIjlEEPS9_SG_NS0_5tupleIJPjSI_NS0_16reverse_iteratorISI_EEEEENSH_IJSG_SG_SG_EEES9_SI_JZNS1_25segmented_radix_sort_implINS0_14default_configELb0EPKsPsPKlPlN2at6native12_GLOBAL__N_18offset_tEEE10hipError_tPvRmT1_PNSt15iterator_traitsIS12_E10value_typeET2_T3_PNS13_IS18_E10value_typeET4_jRbjT5_S1E_jjP12ihipStream_tbEUljE_ZNSN_ISO_Lb0ESQ_SR_ST_SU_SY_EESZ_S10_S11_S12_S16_S17_S18_S1B_S1C_jS1D_jS1E_S1E_jjS1G_bEUljE0_EEESZ_S10_S11_S18_S1C_S1E_T6_T7_T9_mT8_S1G_bDpT10_ENKUlT_T0_E_clISt17integral_constantIbLb0EES1U_EEDaS1P_S1Q_EUlS1P_E_NS1_11comp_targetILNS1_3genE3ELNS1_11target_archE908ELNS1_3gpuE7ELNS1_3repE0EEENS1_30default_config_static_selectorELNS0_4arch9wavefront6targetE1EEEvS12_,comdat
	.globl	_ZN7rocprim17ROCPRIM_400000_NS6detail17trampoline_kernelINS0_13select_configILj256ELj13ELNS0_17block_load_methodE3ELS4_3ELS4_3ELNS0_20block_scan_algorithmE0ELj4294967295EEENS1_25partition_config_selectorILNS1_17partition_subalgoE4EjNS0_10empty_typeEbEEZZNS1_14partition_implILS8_4ELb0ES6_15HIP_vector_typeIjLj2EENS0_17counting_iteratorIjlEEPS9_SG_NS0_5tupleIJPjSI_NS0_16reverse_iteratorISI_EEEEENSH_IJSG_SG_SG_EEES9_SI_JZNS1_25segmented_radix_sort_implINS0_14default_configELb0EPKsPsPKlPlN2at6native12_GLOBAL__N_18offset_tEEE10hipError_tPvRmT1_PNSt15iterator_traitsIS12_E10value_typeET2_T3_PNS13_IS18_E10value_typeET4_jRbjT5_S1E_jjP12ihipStream_tbEUljE_ZNSN_ISO_Lb0ESQ_SR_ST_SU_SY_EESZ_S10_S11_S12_S16_S17_S18_S1B_S1C_jS1D_jS1E_S1E_jjS1G_bEUljE0_EEESZ_S10_S11_S18_S1C_S1E_T6_T7_T9_mT8_S1G_bDpT10_ENKUlT_T0_E_clISt17integral_constantIbLb0EES1U_EEDaS1P_S1Q_EUlS1P_E_NS1_11comp_targetILNS1_3genE3ELNS1_11target_archE908ELNS1_3gpuE7ELNS1_3repE0EEENS1_30default_config_static_selectorELNS0_4arch9wavefront6targetE1EEEvS12_ ; -- Begin function _ZN7rocprim17ROCPRIM_400000_NS6detail17trampoline_kernelINS0_13select_configILj256ELj13ELNS0_17block_load_methodE3ELS4_3ELS4_3ELNS0_20block_scan_algorithmE0ELj4294967295EEENS1_25partition_config_selectorILNS1_17partition_subalgoE4EjNS0_10empty_typeEbEEZZNS1_14partition_implILS8_4ELb0ES6_15HIP_vector_typeIjLj2EENS0_17counting_iteratorIjlEEPS9_SG_NS0_5tupleIJPjSI_NS0_16reverse_iteratorISI_EEEEENSH_IJSG_SG_SG_EEES9_SI_JZNS1_25segmented_radix_sort_implINS0_14default_configELb0EPKsPsPKlPlN2at6native12_GLOBAL__N_18offset_tEEE10hipError_tPvRmT1_PNSt15iterator_traitsIS12_E10value_typeET2_T3_PNS13_IS18_E10value_typeET4_jRbjT5_S1E_jjP12ihipStream_tbEUljE_ZNSN_ISO_Lb0ESQ_SR_ST_SU_SY_EESZ_S10_S11_S12_S16_S17_S18_S1B_S1C_jS1D_jS1E_S1E_jjS1G_bEUljE0_EEESZ_S10_S11_S18_S1C_S1E_T6_T7_T9_mT8_S1G_bDpT10_ENKUlT_T0_E_clISt17integral_constantIbLb0EES1U_EEDaS1P_S1Q_EUlS1P_E_NS1_11comp_targetILNS1_3genE3ELNS1_11target_archE908ELNS1_3gpuE7ELNS1_3repE0EEENS1_30default_config_static_selectorELNS0_4arch9wavefront6targetE1EEEvS12_
	.p2align	8
	.type	_ZN7rocprim17ROCPRIM_400000_NS6detail17trampoline_kernelINS0_13select_configILj256ELj13ELNS0_17block_load_methodE3ELS4_3ELS4_3ELNS0_20block_scan_algorithmE0ELj4294967295EEENS1_25partition_config_selectorILNS1_17partition_subalgoE4EjNS0_10empty_typeEbEEZZNS1_14partition_implILS8_4ELb0ES6_15HIP_vector_typeIjLj2EENS0_17counting_iteratorIjlEEPS9_SG_NS0_5tupleIJPjSI_NS0_16reverse_iteratorISI_EEEEENSH_IJSG_SG_SG_EEES9_SI_JZNS1_25segmented_radix_sort_implINS0_14default_configELb0EPKsPsPKlPlN2at6native12_GLOBAL__N_18offset_tEEE10hipError_tPvRmT1_PNSt15iterator_traitsIS12_E10value_typeET2_T3_PNS13_IS18_E10value_typeET4_jRbjT5_S1E_jjP12ihipStream_tbEUljE_ZNSN_ISO_Lb0ESQ_SR_ST_SU_SY_EESZ_S10_S11_S12_S16_S17_S18_S1B_S1C_jS1D_jS1E_S1E_jjS1G_bEUljE0_EEESZ_S10_S11_S18_S1C_S1E_T6_T7_T9_mT8_S1G_bDpT10_ENKUlT_T0_E_clISt17integral_constantIbLb0EES1U_EEDaS1P_S1Q_EUlS1P_E_NS1_11comp_targetILNS1_3genE3ELNS1_11target_archE908ELNS1_3gpuE7ELNS1_3repE0EEENS1_30default_config_static_selectorELNS0_4arch9wavefront6targetE1EEEvS12_,@function
_ZN7rocprim17ROCPRIM_400000_NS6detail17trampoline_kernelINS0_13select_configILj256ELj13ELNS0_17block_load_methodE3ELS4_3ELS4_3ELNS0_20block_scan_algorithmE0ELj4294967295EEENS1_25partition_config_selectorILNS1_17partition_subalgoE4EjNS0_10empty_typeEbEEZZNS1_14partition_implILS8_4ELb0ES6_15HIP_vector_typeIjLj2EENS0_17counting_iteratorIjlEEPS9_SG_NS0_5tupleIJPjSI_NS0_16reverse_iteratorISI_EEEEENSH_IJSG_SG_SG_EEES9_SI_JZNS1_25segmented_radix_sort_implINS0_14default_configELb0EPKsPsPKlPlN2at6native12_GLOBAL__N_18offset_tEEE10hipError_tPvRmT1_PNSt15iterator_traitsIS12_E10value_typeET2_T3_PNS13_IS18_E10value_typeET4_jRbjT5_S1E_jjP12ihipStream_tbEUljE_ZNSN_ISO_Lb0ESQ_SR_ST_SU_SY_EESZ_S10_S11_S12_S16_S17_S18_S1B_S1C_jS1D_jS1E_S1E_jjS1G_bEUljE0_EEESZ_S10_S11_S18_S1C_S1E_T6_T7_T9_mT8_S1G_bDpT10_ENKUlT_T0_E_clISt17integral_constantIbLb0EES1U_EEDaS1P_S1Q_EUlS1P_E_NS1_11comp_targetILNS1_3genE3ELNS1_11target_archE908ELNS1_3gpuE7ELNS1_3repE0EEENS1_30default_config_static_selectorELNS0_4arch9wavefront6targetE1EEEvS12_: ; @_ZN7rocprim17ROCPRIM_400000_NS6detail17trampoline_kernelINS0_13select_configILj256ELj13ELNS0_17block_load_methodE3ELS4_3ELS4_3ELNS0_20block_scan_algorithmE0ELj4294967295EEENS1_25partition_config_selectorILNS1_17partition_subalgoE4EjNS0_10empty_typeEbEEZZNS1_14partition_implILS8_4ELb0ES6_15HIP_vector_typeIjLj2EENS0_17counting_iteratorIjlEEPS9_SG_NS0_5tupleIJPjSI_NS0_16reverse_iteratorISI_EEEEENSH_IJSG_SG_SG_EEES9_SI_JZNS1_25segmented_radix_sort_implINS0_14default_configELb0EPKsPsPKlPlN2at6native12_GLOBAL__N_18offset_tEEE10hipError_tPvRmT1_PNSt15iterator_traitsIS12_E10value_typeET2_T3_PNS13_IS18_E10value_typeET4_jRbjT5_S1E_jjP12ihipStream_tbEUljE_ZNSN_ISO_Lb0ESQ_SR_ST_SU_SY_EESZ_S10_S11_S12_S16_S17_S18_S1B_S1C_jS1D_jS1E_S1E_jjS1G_bEUljE0_EEESZ_S10_S11_S18_S1C_S1E_T6_T7_T9_mT8_S1G_bDpT10_ENKUlT_T0_E_clISt17integral_constantIbLb0EES1U_EEDaS1P_S1Q_EUlS1P_E_NS1_11comp_targetILNS1_3genE3ELNS1_11target_archE908ELNS1_3gpuE7ELNS1_3repE0EEENS1_30default_config_static_selectorELNS0_4arch9wavefront6targetE1EEEvS12_
; %bb.0:
	.section	.rodata,"a",@progbits
	.p2align	6, 0x0
	.amdhsa_kernel _ZN7rocprim17ROCPRIM_400000_NS6detail17trampoline_kernelINS0_13select_configILj256ELj13ELNS0_17block_load_methodE3ELS4_3ELS4_3ELNS0_20block_scan_algorithmE0ELj4294967295EEENS1_25partition_config_selectorILNS1_17partition_subalgoE4EjNS0_10empty_typeEbEEZZNS1_14partition_implILS8_4ELb0ES6_15HIP_vector_typeIjLj2EENS0_17counting_iteratorIjlEEPS9_SG_NS0_5tupleIJPjSI_NS0_16reverse_iteratorISI_EEEEENSH_IJSG_SG_SG_EEES9_SI_JZNS1_25segmented_radix_sort_implINS0_14default_configELb0EPKsPsPKlPlN2at6native12_GLOBAL__N_18offset_tEEE10hipError_tPvRmT1_PNSt15iterator_traitsIS12_E10value_typeET2_T3_PNS13_IS18_E10value_typeET4_jRbjT5_S1E_jjP12ihipStream_tbEUljE_ZNSN_ISO_Lb0ESQ_SR_ST_SU_SY_EESZ_S10_S11_S12_S16_S17_S18_S1B_S1C_jS1D_jS1E_S1E_jjS1G_bEUljE0_EEESZ_S10_S11_S18_S1C_S1E_T6_T7_T9_mT8_S1G_bDpT10_ENKUlT_T0_E_clISt17integral_constantIbLb0EES1U_EEDaS1P_S1Q_EUlS1P_E_NS1_11comp_targetILNS1_3genE3ELNS1_11target_archE908ELNS1_3gpuE7ELNS1_3repE0EEENS1_30default_config_static_selectorELNS0_4arch9wavefront6targetE1EEEvS12_
		.amdhsa_group_segment_fixed_size 0
		.amdhsa_private_segment_fixed_size 0
		.amdhsa_kernarg_size 176
		.amdhsa_user_sgpr_count 6
		.amdhsa_user_sgpr_private_segment_buffer 1
		.amdhsa_user_sgpr_dispatch_ptr 0
		.amdhsa_user_sgpr_queue_ptr 0
		.amdhsa_user_sgpr_kernarg_segment_ptr 1
		.amdhsa_user_sgpr_dispatch_id 0
		.amdhsa_user_sgpr_flat_scratch_init 0
		.amdhsa_user_sgpr_private_segment_size 0
		.amdhsa_uses_dynamic_stack 0
		.amdhsa_system_sgpr_private_segment_wavefront_offset 0
		.amdhsa_system_sgpr_workgroup_id_x 1
		.amdhsa_system_sgpr_workgroup_id_y 0
		.amdhsa_system_sgpr_workgroup_id_z 0
		.amdhsa_system_sgpr_workgroup_info 0
		.amdhsa_system_vgpr_workitem_id 0
		.amdhsa_next_free_vgpr 1
		.amdhsa_next_free_sgpr 0
		.amdhsa_reserve_vcc 0
		.amdhsa_reserve_flat_scratch 0
		.amdhsa_float_round_mode_32 0
		.amdhsa_float_round_mode_16_64 0
		.amdhsa_float_denorm_mode_32 3
		.amdhsa_float_denorm_mode_16_64 3
		.amdhsa_dx10_clamp 1
		.amdhsa_ieee_mode 1
		.amdhsa_fp16_overflow 0
		.amdhsa_exception_fp_ieee_invalid_op 0
		.amdhsa_exception_fp_denorm_src 0
		.amdhsa_exception_fp_ieee_div_zero 0
		.amdhsa_exception_fp_ieee_overflow 0
		.amdhsa_exception_fp_ieee_underflow 0
		.amdhsa_exception_fp_ieee_inexact 0
		.amdhsa_exception_int_div_zero 0
	.end_amdhsa_kernel
	.section	.text._ZN7rocprim17ROCPRIM_400000_NS6detail17trampoline_kernelINS0_13select_configILj256ELj13ELNS0_17block_load_methodE3ELS4_3ELS4_3ELNS0_20block_scan_algorithmE0ELj4294967295EEENS1_25partition_config_selectorILNS1_17partition_subalgoE4EjNS0_10empty_typeEbEEZZNS1_14partition_implILS8_4ELb0ES6_15HIP_vector_typeIjLj2EENS0_17counting_iteratorIjlEEPS9_SG_NS0_5tupleIJPjSI_NS0_16reverse_iteratorISI_EEEEENSH_IJSG_SG_SG_EEES9_SI_JZNS1_25segmented_radix_sort_implINS0_14default_configELb0EPKsPsPKlPlN2at6native12_GLOBAL__N_18offset_tEEE10hipError_tPvRmT1_PNSt15iterator_traitsIS12_E10value_typeET2_T3_PNS13_IS18_E10value_typeET4_jRbjT5_S1E_jjP12ihipStream_tbEUljE_ZNSN_ISO_Lb0ESQ_SR_ST_SU_SY_EESZ_S10_S11_S12_S16_S17_S18_S1B_S1C_jS1D_jS1E_S1E_jjS1G_bEUljE0_EEESZ_S10_S11_S18_S1C_S1E_T6_T7_T9_mT8_S1G_bDpT10_ENKUlT_T0_E_clISt17integral_constantIbLb0EES1U_EEDaS1P_S1Q_EUlS1P_E_NS1_11comp_targetILNS1_3genE3ELNS1_11target_archE908ELNS1_3gpuE7ELNS1_3repE0EEENS1_30default_config_static_selectorELNS0_4arch9wavefront6targetE1EEEvS12_,"axG",@progbits,_ZN7rocprim17ROCPRIM_400000_NS6detail17trampoline_kernelINS0_13select_configILj256ELj13ELNS0_17block_load_methodE3ELS4_3ELS4_3ELNS0_20block_scan_algorithmE0ELj4294967295EEENS1_25partition_config_selectorILNS1_17partition_subalgoE4EjNS0_10empty_typeEbEEZZNS1_14partition_implILS8_4ELb0ES6_15HIP_vector_typeIjLj2EENS0_17counting_iteratorIjlEEPS9_SG_NS0_5tupleIJPjSI_NS0_16reverse_iteratorISI_EEEEENSH_IJSG_SG_SG_EEES9_SI_JZNS1_25segmented_radix_sort_implINS0_14default_configELb0EPKsPsPKlPlN2at6native12_GLOBAL__N_18offset_tEEE10hipError_tPvRmT1_PNSt15iterator_traitsIS12_E10value_typeET2_T3_PNS13_IS18_E10value_typeET4_jRbjT5_S1E_jjP12ihipStream_tbEUljE_ZNSN_ISO_Lb0ESQ_SR_ST_SU_SY_EESZ_S10_S11_S12_S16_S17_S18_S1B_S1C_jS1D_jS1E_S1E_jjS1G_bEUljE0_EEESZ_S10_S11_S18_S1C_S1E_T6_T7_T9_mT8_S1G_bDpT10_ENKUlT_T0_E_clISt17integral_constantIbLb0EES1U_EEDaS1P_S1Q_EUlS1P_E_NS1_11comp_targetILNS1_3genE3ELNS1_11target_archE908ELNS1_3gpuE7ELNS1_3repE0EEENS1_30default_config_static_selectorELNS0_4arch9wavefront6targetE1EEEvS12_,comdat
.Lfunc_end953:
	.size	_ZN7rocprim17ROCPRIM_400000_NS6detail17trampoline_kernelINS0_13select_configILj256ELj13ELNS0_17block_load_methodE3ELS4_3ELS4_3ELNS0_20block_scan_algorithmE0ELj4294967295EEENS1_25partition_config_selectorILNS1_17partition_subalgoE4EjNS0_10empty_typeEbEEZZNS1_14partition_implILS8_4ELb0ES6_15HIP_vector_typeIjLj2EENS0_17counting_iteratorIjlEEPS9_SG_NS0_5tupleIJPjSI_NS0_16reverse_iteratorISI_EEEEENSH_IJSG_SG_SG_EEES9_SI_JZNS1_25segmented_radix_sort_implINS0_14default_configELb0EPKsPsPKlPlN2at6native12_GLOBAL__N_18offset_tEEE10hipError_tPvRmT1_PNSt15iterator_traitsIS12_E10value_typeET2_T3_PNS13_IS18_E10value_typeET4_jRbjT5_S1E_jjP12ihipStream_tbEUljE_ZNSN_ISO_Lb0ESQ_SR_ST_SU_SY_EESZ_S10_S11_S12_S16_S17_S18_S1B_S1C_jS1D_jS1E_S1E_jjS1G_bEUljE0_EEESZ_S10_S11_S18_S1C_S1E_T6_T7_T9_mT8_S1G_bDpT10_ENKUlT_T0_E_clISt17integral_constantIbLb0EES1U_EEDaS1P_S1Q_EUlS1P_E_NS1_11comp_targetILNS1_3genE3ELNS1_11target_archE908ELNS1_3gpuE7ELNS1_3repE0EEENS1_30default_config_static_selectorELNS0_4arch9wavefront6targetE1EEEvS12_, .Lfunc_end953-_ZN7rocprim17ROCPRIM_400000_NS6detail17trampoline_kernelINS0_13select_configILj256ELj13ELNS0_17block_load_methodE3ELS4_3ELS4_3ELNS0_20block_scan_algorithmE0ELj4294967295EEENS1_25partition_config_selectorILNS1_17partition_subalgoE4EjNS0_10empty_typeEbEEZZNS1_14partition_implILS8_4ELb0ES6_15HIP_vector_typeIjLj2EENS0_17counting_iteratorIjlEEPS9_SG_NS0_5tupleIJPjSI_NS0_16reverse_iteratorISI_EEEEENSH_IJSG_SG_SG_EEES9_SI_JZNS1_25segmented_radix_sort_implINS0_14default_configELb0EPKsPsPKlPlN2at6native12_GLOBAL__N_18offset_tEEE10hipError_tPvRmT1_PNSt15iterator_traitsIS12_E10value_typeET2_T3_PNS13_IS18_E10value_typeET4_jRbjT5_S1E_jjP12ihipStream_tbEUljE_ZNSN_ISO_Lb0ESQ_SR_ST_SU_SY_EESZ_S10_S11_S12_S16_S17_S18_S1B_S1C_jS1D_jS1E_S1E_jjS1G_bEUljE0_EEESZ_S10_S11_S18_S1C_S1E_T6_T7_T9_mT8_S1G_bDpT10_ENKUlT_T0_E_clISt17integral_constantIbLb0EES1U_EEDaS1P_S1Q_EUlS1P_E_NS1_11comp_targetILNS1_3genE3ELNS1_11target_archE908ELNS1_3gpuE7ELNS1_3repE0EEENS1_30default_config_static_selectorELNS0_4arch9wavefront6targetE1EEEvS12_
                                        ; -- End function
	.set _ZN7rocprim17ROCPRIM_400000_NS6detail17trampoline_kernelINS0_13select_configILj256ELj13ELNS0_17block_load_methodE3ELS4_3ELS4_3ELNS0_20block_scan_algorithmE0ELj4294967295EEENS1_25partition_config_selectorILNS1_17partition_subalgoE4EjNS0_10empty_typeEbEEZZNS1_14partition_implILS8_4ELb0ES6_15HIP_vector_typeIjLj2EENS0_17counting_iteratorIjlEEPS9_SG_NS0_5tupleIJPjSI_NS0_16reverse_iteratorISI_EEEEENSH_IJSG_SG_SG_EEES9_SI_JZNS1_25segmented_radix_sort_implINS0_14default_configELb0EPKsPsPKlPlN2at6native12_GLOBAL__N_18offset_tEEE10hipError_tPvRmT1_PNSt15iterator_traitsIS12_E10value_typeET2_T3_PNS13_IS18_E10value_typeET4_jRbjT5_S1E_jjP12ihipStream_tbEUljE_ZNSN_ISO_Lb0ESQ_SR_ST_SU_SY_EESZ_S10_S11_S12_S16_S17_S18_S1B_S1C_jS1D_jS1E_S1E_jjS1G_bEUljE0_EEESZ_S10_S11_S18_S1C_S1E_T6_T7_T9_mT8_S1G_bDpT10_ENKUlT_T0_E_clISt17integral_constantIbLb0EES1U_EEDaS1P_S1Q_EUlS1P_E_NS1_11comp_targetILNS1_3genE3ELNS1_11target_archE908ELNS1_3gpuE7ELNS1_3repE0EEENS1_30default_config_static_selectorELNS0_4arch9wavefront6targetE1EEEvS12_.num_vgpr, 0
	.set _ZN7rocprim17ROCPRIM_400000_NS6detail17trampoline_kernelINS0_13select_configILj256ELj13ELNS0_17block_load_methodE3ELS4_3ELS4_3ELNS0_20block_scan_algorithmE0ELj4294967295EEENS1_25partition_config_selectorILNS1_17partition_subalgoE4EjNS0_10empty_typeEbEEZZNS1_14partition_implILS8_4ELb0ES6_15HIP_vector_typeIjLj2EENS0_17counting_iteratorIjlEEPS9_SG_NS0_5tupleIJPjSI_NS0_16reverse_iteratorISI_EEEEENSH_IJSG_SG_SG_EEES9_SI_JZNS1_25segmented_radix_sort_implINS0_14default_configELb0EPKsPsPKlPlN2at6native12_GLOBAL__N_18offset_tEEE10hipError_tPvRmT1_PNSt15iterator_traitsIS12_E10value_typeET2_T3_PNS13_IS18_E10value_typeET4_jRbjT5_S1E_jjP12ihipStream_tbEUljE_ZNSN_ISO_Lb0ESQ_SR_ST_SU_SY_EESZ_S10_S11_S12_S16_S17_S18_S1B_S1C_jS1D_jS1E_S1E_jjS1G_bEUljE0_EEESZ_S10_S11_S18_S1C_S1E_T6_T7_T9_mT8_S1G_bDpT10_ENKUlT_T0_E_clISt17integral_constantIbLb0EES1U_EEDaS1P_S1Q_EUlS1P_E_NS1_11comp_targetILNS1_3genE3ELNS1_11target_archE908ELNS1_3gpuE7ELNS1_3repE0EEENS1_30default_config_static_selectorELNS0_4arch9wavefront6targetE1EEEvS12_.num_agpr, 0
	.set _ZN7rocprim17ROCPRIM_400000_NS6detail17trampoline_kernelINS0_13select_configILj256ELj13ELNS0_17block_load_methodE3ELS4_3ELS4_3ELNS0_20block_scan_algorithmE0ELj4294967295EEENS1_25partition_config_selectorILNS1_17partition_subalgoE4EjNS0_10empty_typeEbEEZZNS1_14partition_implILS8_4ELb0ES6_15HIP_vector_typeIjLj2EENS0_17counting_iteratorIjlEEPS9_SG_NS0_5tupleIJPjSI_NS0_16reverse_iteratorISI_EEEEENSH_IJSG_SG_SG_EEES9_SI_JZNS1_25segmented_radix_sort_implINS0_14default_configELb0EPKsPsPKlPlN2at6native12_GLOBAL__N_18offset_tEEE10hipError_tPvRmT1_PNSt15iterator_traitsIS12_E10value_typeET2_T3_PNS13_IS18_E10value_typeET4_jRbjT5_S1E_jjP12ihipStream_tbEUljE_ZNSN_ISO_Lb0ESQ_SR_ST_SU_SY_EESZ_S10_S11_S12_S16_S17_S18_S1B_S1C_jS1D_jS1E_S1E_jjS1G_bEUljE0_EEESZ_S10_S11_S18_S1C_S1E_T6_T7_T9_mT8_S1G_bDpT10_ENKUlT_T0_E_clISt17integral_constantIbLb0EES1U_EEDaS1P_S1Q_EUlS1P_E_NS1_11comp_targetILNS1_3genE3ELNS1_11target_archE908ELNS1_3gpuE7ELNS1_3repE0EEENS1_30default_config_static_selectorELNS0_4arch9wavefront6targetE1EEEvS12_.numbered_sgpr, 0
	.set _ZN7rocprim17ROCPRIM_400000_NS6detail17trampoline_kernelINS0_13select_configILj256ELj13ELNS0_17block_load_methodE3ELS4_3ELS4_3ELNS0_20block_scan_algorithmE0ELj4294967295EEENS1_25partition_config_selectorILNS1_17partition_subalgoE4EjNS0_10empty_typeEbEEZZNS1_14partition_implILS8_4ELb0ES6_15HIP_vector_typeIjLj2EENS0_17counting_iteratorIjlEEPS9_SG_NS0_5tupleIJPjSI_NS0_16reverse_iteratorISI_EEEEENSH_IJSG_SG_SG_EEES9_SI_JZNS1_25segmented_radix_sort_implINS0_14default_configELb0EPKsPsPKlPlN2at6native12_GLOBAL__N_18offset_tEEE10hipError_tPvRmT1_PNSt15iterator_traitsIS12_E10value_typeET2_T3_PNS13_IS18_E10value_typeET4_jRbjT5_S1E_jjP12ihipStream_tbEUljE_ZNSN_ISO_Lb0ESQ_SR_ST_SU_SY_EESZ_S10_S11_S12_S16_S17_S18_S1B_S1C_jS1D_jS1E_S1E_jjS1G_bEUljE0_EEESZ_S10_S11_S18_S1C_S1E_T6_T7_T9_mT8_S1G_bDpT10_ENKUlT_T0_E_clISt17integral_constantIbLb0EES1U_EEDaS1P_S1Q_EUlS1P_E_NS1_11comp_targetILNS1_3genE3ELNS1_11target_archE908ELNS1_3gpuE7ELNS1_3repE0EEENS1_30default_config_static_selectorELNS0_4arch9wavefront6targetE1EEEvS12_.num_named_barrier, 0
	.set _ZN7rocprim17ROCPRIM_400000_NS6detail17trampoline_kernelINS0_13select_configILj256ELj13ELNS0_17block_load_methodE3ELS4_3ELS4_3ELNS0_20block_scan_algorithmE0ELj4294967295EEENS1_25partition_config_selectorILNS1_17partition_subalgoE4EjNS0_10empty_typeEbEEZZNS1_14partition_implILS8_4ELb0ES6_15HIP_vector_typeIjLj2EENS0_17counting_iteratorIjlEEPS9_SG_NS0_5tupleIJPjSI_NS0_16reverse_iteratorISI_EEEEENSH_IJSG_SG_SG_EEES9_SI_JZNS1_25segmented_radix_sort_implINS0_14default_configELb0EPKsPsPKlPlN2at6native12_GLOBAL__N_18offset_tEEE10hipError_tPvRmT1_PNSt15iterator_traitsIS12_E10value_typeET2_T3_PNS13_IS18_E10value_typeET4_jRbjT5_S1E_jjP12ihipStream_tbEUljE_ZNSN_ISO_Lb0ESQ_SR_ST_SU_SY_EESZ_S10_S11_S12_S16_S17_S18_S1B_S1C_jS1D_jS1E_S1E_jjS1G_bEUljE0_EEESZ_S10_S11_S18_S1C_S1E_T6_T7_T9_mT8_S1G_bDpT10_ENKUlT_T0_E_clISt17integral_constantIbLb0EES1U_EEDaS1P_S1Q_EUlS1P_E_NS1_11comp_targetILNS1_3genE3ELNS1_11target_archE908ELNS1_3gpuE7ELNS1_3repE0EEENS1_30default_config_static_selectorELNS0_4arch9wavefront6targetE1EEEvS12_.private_seg_size, 0
	.set _ZN7rocprim17ROCPRIM_400000_NS6detail17trampoline_kernelINS0_13select_configILj256ELj13ELNS0_17block_load_methodE3ELS4_3ELS4_3ELNS0_20block_scan_algorithmE0ELj4294967295EEENS1_25partition_config_selectorILNS1_17partition_subalgoE4EjNS0_10empty_typeEbEEZZNS1_14partition_implILS8_4ELb0ES6_15HIP_vector_typeIjLj2EENS0_17counting_iteratorIjlEEPS9_SG_NS0_5tupleIJPjSI_NS0_16reverse_iteratorISI_EEEEENSH_IJSG_SG_SG_EEES9_SI_JZNS1_25segmented_radix_sort_implINS0_14default_configELb0EPKsPsPKlPlN2at6native12_GLOBAL__N_18offset_tEEE10hipError_tPvRmT1_PNSt15iterator_traitsIS12_E10value_typeET2_T3_PNS13_IS18_E10value_typeET4_jRbjT5_S1E_jjP12ihipStream_tbEUljE_ZNSN_ISO_Lb0ESQ_SR_ST_SU_SY_EESZ_S10_S11_S12_S16_S17_S18_S1B_S1C_jS1D_jS1E_S1E_jjS1G_bEUljE0_EEESZ_S10_S11_S18_S1C_S1E_T6_T7_T9_mT8_S1G_bDpT10_ENKUlT_T0_E_clISt17integral_constantIbLb0EES1U_EEDaS1P_S1Q_EUlS1P_E_NS1_11comp_targetILNS1_3genE3ELNS1_11target_archE908ELNS1_3gpuE7ELNS1_3repE0EEENS1_30default_config_static_selectorELNS0_4arch9wavefront6targetE1EEEvS12_.uses_vcc, 0
	.set _ZN7rocprim17ROCPRIM_400000_NS6detail17trampoline_kernelINS0_13select_configILj256ELj13ELNS0_17block_load_methodE3ELS4_3ELS4_3ELNS0_20block_scan_algorithmE0ELj4294967295EEENS1_25partition_config_selectorILNS1_17partition_subalgoE4EjNS0_10empty_typeEbEEZZNS1_14partition_implILS8_4ELb0ES6_15HIP_vector_typeIjLj2EENS0_17counting_iteratorIjlEEPS9_SG_NS0_5tupleIJPjSI_NS0_16reverse_iteratorISI_EEEEENSH_IJSG_SG_SG_EEES9_SI_JZNS1_25segmented_radix_sort_implINS0_14default_configELb0EPKsPsPKlPlN2at6native12_GLOBAL__N_18offset_tEEE10hipError_tPvRmT1_PNSt15iterator_traitsIS12_E10value_typeET2_T3_PNS13_IS18_E10value_typeET4_jRbjT5_S1E_jjP12ihipStream_tbEUljE_ZNSN_ISO_Lb0ESQ_SR_ST_SU_SY_EESZ_S10_S11_S12_S16_S17_S18_S1B_S1C_jS1D_jS1E_S1E_jjS1G_bEUljE0_EEESZ_S10_S11_S18_S1C_S1E_T6_T7_T9_mT8_S1G_bDpT10_ENKUlT_T0_E_clISt17integral_constantIbLb0EES1U_EEDaS1P_S1Q_EUlS1P_E_NS1_11comp_targetILNS1_3genE3ELNS1_11target_archE908ELNS1_3gpuE7ELNS1_3repE0EEENS1_30default_config_static_selectorELNS0_4arch9wavefront6targetE1EEEvS12_.uses_flat_scratch, 0
	.set _ZN7rocprim17ROCPRIM_400000_NS6detail17trampoline_kernelINS0_13select_configILj256ELj13ELNS0_17block_load_methodE3ELS4_3ELS4_3ELNS0_20block_scan_algorithmE0ELj4294967295EEENS1_25partition_config_selectorILNS1_17partition_subalgoE4EjNS0_10empty_typeEbEEZZNS1_14partition_implILS8_4ELb0ES6_15HIP_vector_typeIjLj2EENS0_17counting_iteratorIjlEEPS9_SG_NS0_5tupleIJPjSI_NS0_16reverse_iteratorISI_EEEEENSH_IJSG_SG_SG_EEES9_SI_JZNS1_25segmented_radix_sort_implINS0_14default_configELb0EPKsPsPKlPlN2at6native12_GLOBAL__N_18offset_tEEE10hipError_tPvRmT1_PNSt15iterator_traitsIS12_E10value_typeET2_T3_PNS13_IS18_E10value_typeET4_jRbjT5_S1E_jjP12ihipStream_tbEUljE_ZNSN_ISO_Lb0ESQ_SR_ST_SU_SY_EESZ_S10_S11_S12_S16_S17_S18_S1B_S1C_jS1D_jS1E_S1E_jjS1G_bEUljE0_EEESZ_S10_S11_S18_S1C_S1E_T6_T7_T9_mT8_S1G_bDpT10_ENKUlT_T0_E_clISt17integral_constantIbLb0EES1U_EEDaS1P_S1Q_EUlS1P_E_NS1_11comp_targetILNS1_3genE3ELNS1_11target_archE908ELNS1_3gpuE7ELNS1_3repE0EEENS1_30default_config_static_selectorELNS0_4arch9wavefront6targetE1EEEvS12_.has_dyn_sized_stack, 0
	.set _ZN7rocprim17ROCPRIM_400000_NS6detail17trampoline_kernelINS0_13select_configILj256ELj13ELNS0_17block_load_methodE3ELS4_3ELS4_3ELNS0_20block_scan_algorithmE0ELj4294967295EEENS1_25partition_config_selectorILNS1_17partition_subalgoE4EjNS0_10empty_typeEbEEZZNS1_14partition_implILS8_4ELb0ES6_15HIP_vector_typeIjLj2EENS0_17counting_iteratorIjlEEPS9_SG_NS0_5tupleIJPjSI_NS0_16reverse_iteratorISI_EEEEENSH_IJSG_SG_SG_EEES9_SI_JZNS1_25segmented_radix_sort_implINS0_14default_configELb0EPKsPsPKlPlN2at6native12_GLOBAL__N_18offset_tEEE10hipError_tPvRmT1_PNSt15iterator_traitsIS12_E10value_typeET2_T3_PNS13_IS18_E10value_typeET4_jRbjT5_S1E_jjP12ihipStream_tbEUljE_ZNSN_ISO_Lb0ESQ_SR_ST_SU_SY_EESZ_S10_S11_S12_S16_S17_S18_S1B_S1C_jS1D_jS1E_S1E_jjS1G_bEUljE0_EEESZ_S10_S11_S18_S1C_S1E_T6_T7_T9_mT8_S1G_bDpT10_ENKUlT_T0_E_clISt17integral_constantIbLb0EES1U_EEDaS1P_S1Q_EUlS1P_E_NS1_11comp_targetILNS1_3genE3ELNS1_11target_archE908ELNS1_3gpuE7ELNS1_3repE0EEENS1_30default_config_static_selectorELNS0_4arch9wavefront6targetE1EEEvS12_.has_recursion, 0
	.set _ZN7rocprim17ROCPRIM_400000_NS6detail17trampoline_kernelINS0_13select_configILj256ELj13ELNS0_17block_load_methodE3ELS4_3ELS4_3ELNS0_20block_scan_algorithmE0ELj4294967295EEENS1_25partition_config_selectorILNS1_17partition_subalgoE4EjNS0_10empty_typeEbEEZZNS1_14partition_implILS8_4ELb0ES6_15HIP_vector_typeIjLj2EENS0_17counting_iteratorIjlEEPS9_SG_NS0_5tupleIJPjSI_NS0_16reverse_iteratorISI_EEEEENSH_IJSG_SG_SG_EEES9_SI_JZNS1_25segmented_radix_sort_implINS0_14default_configELb0EPKsPsPKlPlN2at6native12_GLOBAL__N_18offset_tEEE10hipError_tPvRmT1_PNSt15iterator_traitsIS12_E10value_typeET2_T3_PNS13_IS18_E10value_typeET4_jRbjT5_S1E_jjP12ihipStream_tbEUljE_ZNSN_ISO_Lb0ESQ_SR_ST_SU_SY_EESZ_S10_S11_S12_S16_S17_S18_S1B_S1C_jS1D_jS1E_S1E_jjS1G_bEUljE0_EEESZ_S10_S11_S18_S1C_S1E_T6_T7_T9_mT8_S1G_bDpT10_ENKUlT_T0_E_clISt17integral_constantIbLb0EES1U_EEDaS1P_S1Q_EUlS1P_E_NS1_11comp_targetILNS1_3genE3ELNS1_11target_archE908ELNS1_3gpuE7ELNS1_3repE0EEENS1_30default_config_static_selectorELNS0_4arch9wavefront6targetE1EEEvS12_.has_indirect_call, 0
	.section	.AMDGPU.csdata,"",@progbits
; Kernel info:
; codeLenInByte = 0
; TotalNumSgprs: 4
; NumVgprs: 0
; ScratchSize: 0
; MemoryBound: 0
; FloatMode: 240
; IeeeMode: 1
; LDSByteSize: 0 bytes/workgroup (compile time only)
; SGPRBlocks: 0
; VGPRBlocks: 0
; NumSGPRsForWavesPerEU: 4
; NumVGPRsForWavesPerEU: 1
; Occupancy: 10
; WaveLimiterHint : 0
; COMPUTE_PGM_RSRC2:SCRATCH_EN: 0
; COMPUTE_PGM_RSRC2:USER_SGPR: 6
; COMPUTE_PGM_RSRC2:TRAP_HANDLER: 0
; COMPUTE_PGM_RSRC2:TGID_X_EN: 1
; COMPUTE_PGM_RSRC2:TGID_Y_EN: 0
; COMPUTE_PGM_RSRC2:TGID_Z_EN: 0
; COMPUTE_PGM_RSRC2:TIDIG_COMP_CNT: 0
	.section	.text._ZN7rocprim17ROCPRIM_400000_NS6detail17trampoline_kernelINS0_13select_configILj256ELj13ELNS0_17block_load_methodE3ELS4_3ELS4_3ELNS0_20block_scan_algorithmE0ELj4294967295EEENS1_25partition_config_selectorILNS1_17partition_subalgoE4EjNS0_10empty_typeEbEEZZNS1_14partition_implILS8_4ELb0ES6_15HIP_vector_typeIjLj2EENS0_17counting_iteratorIjlEEPS9_SG_NS0_5tupleIJPjSI_NS0_16reverse_iteratorISI_EEEEENSH_IJSG_SG_SG_EEES9_SI_JZNS1_25segmented_radix_sort_implINS0_14default_configELb0EPKsPsPKlPlN2at6native12_GLOBAL__N_18offset_tEEE10hipError_tPvRmT1_PNSt15iterator_traitsIS12_E10value_typeET2_T3_PNS13_IS18_E10value_typeET4_jRbjT5_S1E_jjP12ihipStream_tbEUljE_ZNSN_ISO_Lb0ESQ_SR_ST_SU_SY_EESZ_S10_S11_S12_S16_S17_S18_S1B_S1C_jS1D_jS1E_S1E_jjS1G_bEUljE0_EEESZ_S10_S11_S18_S1C_S1E_T6_T7_T9_mT8_S1G_bDpT10_ENKUlT_T0_E_clISt17integral_constantIbLb0EES1U_EEDaS1P_S1Q_EUlS1P_E_NS1_11comp_targetILNS1_3genE2ELNS1_11target_archE906ELNS1_3gpuE6ELNS1_3repE0EEENS1_30default_config_static_selectorELNS0_4arch9wavefront6targetE1EEEvS12_,"axG",@progbits,_ZN7rocprim17ROCPRIM_400000_NS6detail17trampoline_kernelINS0_13select_configILj256ELj13ELNS0_17block_load_methodE3ELS4_3ELS4_3ELNS0_20block_scan_algorithmE0ELj4294967295EEENS1_25partition_config_selectorILNS1_17partition_subalgoE4EjNS0_10empty_typeEbEEZZNS1_14partition_implILS8_4ELb0ES6_15HIP_vector_typeIjLj2EENS0_17counting_iteratorIjlEEPS9_SG_NS0_5tupleIJPjSI_NS0_16reverse_iteratorISI_EEEEENSH_IJSG_SG_SG_EEES9_SI_JZNS1_25segmented_radix_sort_implINS0_14default_configELb0EPKsPsPKlPlN2at6native12_GLOBAL__N_18offset_tEEE10hipError_tPvRmT1_PNSt15iterator_traitsIS12_E10value_typeET2_T3_PNS13_IS18_E10value_typeET4_jRbjT5_S1E_jjP12ihipStream_tbEUljE_ZNSN_ISO_Lb0ESQ_SR_ST_SU_SY_EESZ_S10_S11_S12_S16_S17_S18_S1B_S1C_jS1D_jS1E_S1E_jjS1G_bEUljE0_EEESZ_S10_S11_S18_S1C_S1E_T6_T7_T9_mT8_S1G_bDpT10_ENKUlT_T0_E_clISt17integral_constantIbLb0EES1U_EEDaS1P_S1Q_EUlS1P_E_NS1_11comp_targetILNS1_3genE2ELNS1_11target_archE906ELNS1_3gpuE6ELNS1_3repE0EEENS1_30default_config_static_selectorELNS0_4arch9wavefront6targetE1EEEvS12_,comdat
	.globl	_ZN7rocprim17ROCPRIM_400000_NS6detail17trampoline_kernelINS0_13select_configILj256ELj13ELNS0_17block_load_methodE3ELS4_3ELS4_3ELNS0_20block_scan_algorithmE0ELj4294967295EEENS1_25partition_config_selectorILNS1_17partition_subalgoE4EjNS0_10empty_typeEbEEZZNS1_14partition_implILS8_4ELb0ES6_15HIP_vector_typeIjLj2EENS0_17counting_iteratorIjlEEPS9_SG_NS0_5tupleIJPjSI_NS0_16reverse_iteratorISI_EEEEENSH_IJSG_SG_SG_EEES9_SI_JZNS1_25segmented_radix_sort_implINS0_14default_configELb0EPKsPsPKlPlN2at6native12_GLOBAL__N_18offset_tEEE10hipError_tPvRmT1_PNSt15iterator_traitsIS12_E10value_typeET2_T3_PNS13_IS18_E10value_typeET4_jRbjT5_S1E_jjP12ihipStream_tbEUljE_ZNSN_ISO_Lb0ESQ_SR_ST_SU_SY_EESZ_S10_S11_S12_S16_S17_S18_S1B_S1C_jS1D_jS1E_S1E_jjS1G_bEUljE0_EEESZ_S10_S11_S18_S1C_S1E_T6_T7_T9_mT8_S1G_bDpT10_ENKUlT_T0_E_clISt17integral_constantIbLb0EES1U_EEDaS1P_S1Q_EUlS1P_E_NS1_11comp_targetILNS1_3genE2ELNS1_11target_archE906ELNS1_3gpuE6ELNS1_3repE0EEENS1_30default_config_static_selectorELNS0_4arch9wavefront6targetE1EEEvS12_ ; -- Begin function _ZN7rocprim17ROCPRIM_400000_NS6detail17trampoline_kernelINS0_13select_configILj256ELj13ELNS0_17block_load_methodE3ELS4_3ELS4_3ELNS0_20block_scan_algorithmE0ELj4294967295EEENS1_25partition_config_selectorILNS1_17partition_subalgoE4EjNS0_10empty_typeEbEEZZNS1_14partition_implILS8_4ELb0ES6_15HIP_vector_typeIjLj2EENS0_17counting_iteratorIjlEEPS9_SG_NS0_5tupleIJPjSI_NS0_16reverse_iteratorISI_EEEEENSH_IJSG_SG_SG_EEES9_SI_JZNS1_25segmented_radix_sort_implINS0_14default_configELb0EPKsPsPKlPlN2at6native12_GLOBAL__N_18offset_tEEE10hipError_tPvRmT1_PNSt15iterator_traitsIS12_E10value_typeET2_T3_PNS13_IS18_E10value_typeET4_jRbjT5_S1E_jjP12ihipStream_tbEUljE_ZNSN_ISO_Lb0ESQ_SR_ST_SU_SY_EESZ_S10_S11_S12_S16_S17_S18_S1B_S1C_jS1D_jS1E_S1E_jjS1G_bEUljE0_EEESZ_S10_S11_S18_S1C_S1E_T6_T7_T9_mT8_S1G_bDpT10_ENKUlT_T0_E_clISt17integral_constantIbLb0EES1U_EEDaS1P_S1Q_EUlS1P_E_NS1_11comp_targetILNS1_3genE2ELNS1_11target_archE906ELNS1_3gpuE6ELNS1_3repE0EEENS1_30default_config_static_selectorELNS0_4arch9wavefront6targetE1EEEvS12_
	.p2align	8
	.type	_ZN7rocprim17ROCPRIM_400000_NS6detail17trampoline_kernelINS0_13select_configILj256ELj13ELNS0_17block_load_methodE3ELS4_3ELS4_3ELNS0_20block_scan_algorithmE0ELj4294967295EEENS1_25partition_config_selectorILNS1_17partition_subalgoE4EjNS0_10empty_typeEbEEZZNS1_14partition_implILS8_4ELb0ES6_15HIP_vector_typeIjLj2EENS0_17counting_iteratorIjlEEPS9_SG_NS0_5tupleIJPjSI_NS0_16reverse_iteratorISI_EEEEENSH_IJSG_SG_SG_EEES9_SI_JZNS1_25segmented_radix_sort_implINS0_14default_configELb0EPKsPsPKlPlN2at6native12_GLOBAL__N_18offset_tEEE10hipError_tPvRmT1_PNSt15iterator_traitsIS12_E10value_typeET2_T3_PNS13_IS18_E10value_typeET4_jRbjT5_S1E_jjP12ihipStream_tbEUljE_ZNSN_ISO_Lb0ESQ_SR_ST_SU_SY_EESZ_S10_S11_S12_S16_S17_S18_S1B_S1C_jS1D_jS1E_S1E_jjS1G_bEUljE0_EEESZ_S10_S11_S18_S1C_S1E_T6_T7_T9_mT8_S1G_bDpT10_ENKUlT_T0_E_clISt17integral_constantIbLb0EES1U_EEDaS1P_S1Q_EUlS1P_E_NS1_11comp_targetILNS1_3genE2ELNS1_11target_archE906ELNS1_3gpuE6ELNS1_3repE0EEENS1_30default_config_static_selectorELNS0_4arch9wavefront6targetE1EEEvS12_,@function
_ZN7rocprim17ROCPRIM_400000_NS6detail17trampoline_kernelINS0_13select_configILj256ELj13ELNS0_17block_load_methodE3ELS4_3ELS4_3ELNS0_20block_scan_algorithmE0ELj4294967295EEENS1_25partition_config_selectorILNS1_17partition_subalgoE4EjNS0_10empty_typeEbEEZZNS1_14partition_implILS8_4ELb0ES6_15HIP_vector_typeIjLj2EENS0_17counting_iteratorIjlEEPS9_SG_NS0_5tupleIJPjSI_NS0_16reverse_iteratorISI_EEEEENSH_IJSG_SG_SG_EEES9_SI_JZNS1_25segmented_radix_sort_implINS0_14default_configELb0EPKsPsPKlPlN2at6native12_GLOBAL__N_18offset_tEEE10hipError_tPvRmT1_PNSt15iterator_traitsIS12_E10value_typeET2_T3_PNS13_IS18_E10value_typeET4_jRbjT5_S1E_jjP12ihipStream_tbEUljE_ZNSN_ISO_Lb0ESQ_SR_ST_SU_SY_EESZ_S10_S11_S12_S16_S17_S18_S1B_S1C_jS1D_jS1E_S1E_jjS1G_bEUljE0_EEESZ_S10_S11_S18_S1C_S1E_T6_T7_T9_mT8_S1G_bDpT10_ENKUlT_T0_E_clISt17integral_constantIbLb0EES1U_EEDaS1P_S1Q_EUlS1P_E_NS1_11comp_targetILNS1_3genE2ELNS1_11target_archE906ELNS1_3gpuE6ELNS1_3repE0EEENS1_30default_config_static_selectorELNS0_4arch9wavefront6targetE1EEEvS12_: ; @_ZN7rocprim17ROCPRIM_400000_NS6detail17trampoline_kernelINS0_13select_configILj256ELj13ELNS0_17block_load_methodE3ELS4_3ELS4_3ELNS0_20block_scan_algorithmE0ELj4294967295EEENS1_25partition_config_selectorILNS1_17partition_subalgoE4EjNS0_10empty_typeEbEEZZNS1_14partition_implILS8_4ELb0ES6_15HIP_vector_typeIjLj2EENS0_17counting_iteratorIjlEEPS9_SG_NS0_5tupleIJPjSI_NS0_16reverse_iteratorISI_EEEEENSH_IJSG_SG_SG_EEES9_SI_JZNS1_25segmented_radix_sort_implINS0_14default_configELb0EPKsPsPKlPlN2at6native12_GLOBAL__N_18offset_tEEE10hipError_tPvRmT1_PNSt15iterator_traitsIS12_E10value_typeET2_T3_PNS13_IS18_E10value_typeET4_jRbjT5_S1E_jjP12ihipStream_tbEUljE_ZNSN_ISO_Lb0ESQ_SR_ST_SU_SY_EESZ_S10_S11_S12_S16_S17_S18_S1B_S1C_jS1D_jS1E_S1E_jjS1G_bEUljE0_EEESZ_S10_S11_S18_S1C_S1E_T6_T7_T9_mT8_S1G_bDpT10_ENKUlT_T0_E_clISt17integral_constantIbLb0EES1U_EEDaS1P_S1Q_EUlS1P_E_NS1_11comp_targetILNS1_3genE2ELNS1_11target_archE906ELNS1_3gpuE6ELNS1_3repE0EEENS1_30default_config_static_selectorELNS0_4arch9wavefront6targetE1EEEvS12_
; %bb.0:
	s_load_dwordx2 s[0:1], s[4:5], 0x68
	s_load_dwordx4 s[44:47], s[4:5], 0x58
	s_load_dword s8, s[4:5], 0x8
	s_load_dwordx2 s[56:57], s[4:5], 0x10
	s_load_dword s7, s[4:5], 0x80
	s_load_dwordx2 s[58:59], s[4:5], 0xa8
	s_load_dwordx8 s[36:43], s[4:5], 0x88
	s_waitcnt lgkmcnt(0)
	s_load_dwordx4 s[48:51], s[46:47], 0x0
	s_mul_i32 s33, s6, 0xd00
	s_add_i32 s9, s7, -1
	s_mulk_i32 s7, 0xd00
	s_add_u32 s2, s56, s7
	s_addc_u32 s3, s57, 0
	v_mov_b32_e32 v1, s2
	v_mov_b32_e32 v2, s3
	s_cmp_eq_u32 s6, s9
	v_cmp_gt_u64_e32 vcc, s[0:1], v[1:2]
	s_cselect_b64 s[34:35], -1, 0
	s_cmp_lg_u32 s6, s9
	s_cselect_b64 s[2:3], -1, 0
	s_add_i32 s1, s8, s33
	s_or_b64 s[2:3], s[2:3], vcc
	s_add_i32 s1, s1, s56
	s_mov_b64 s[8:9], -1
	s_and_b64 vcc, exec, s[2:3]
	v_add_u32_e32 v1, s1, v0
	s_cbranch_vccz .LBB954_2
; %bb.1:
	v_add_u32_e32 v2, 0x100, v1
	v_lshlrev_b32_e32 v14, 2, v0
	v_add_u32_e32 v3, 0x200, v1
	v_add_u32_e32 v4, 0x300, v1
	;; [unrolled: 1-line block ×11, first 2 shown]
	ds_write2st64_b32 v14, v1, v2 offset1:4
	ds_write2st64_b32 v14, v3, v4 offset0:8 offset1:12
	ds_write2st64_b32 v14, v5, v6 offset0:16 offset1:20
	;; [unrolled: 1-line block ×5, first 2 shown]
	ds_write_b32 v14, v13 offset:12288
	s_waitcnt lgkmcnt(0)
	s_barrier
	s_mov_b64 s[8:9], 0
.LBB954_2:
	s_andn2_b64 vcc, exec, s[8:9]
	s_add_i32 s7, s7, s56
	s_cbranch_vccnz .LBB954_4
; %bb.3:
	v_add_u32_e32 v2, 0x100, v1
	v_lshlrev_b32_e32 v14, 2, v0
	v_add_u32_e32 v3, 0x200, v1
	v_add_u32_e32 v4, 0x300, v1
	v_add_u32_e32 v5, 0x400, v1
	v_add_u32_e32 v6, 0x500, v1
	v_add_u32_e32 v7, 0x600, v1
	v_add_u32_e32 v8, 0x700, v1
	v_add_u32_e32 v9, 0x800, v1
	v_add_u32_e32 v10, 0x900, v1
	v_add_u32_e32 v11, 0xa00, v1
	v_add_u32_e32 v12, 0xb00, v1
	v_add_u32_e32 v13, 0xc00, v1
	ds_write2st64_b32 v14, v1, v2 offset1:4
	ds_write2st64_b32 v14, v3, v4 offset0:8 offset1:12
	ds_write2st64_b32 v14, v5, v6 offset0:16 offset1:20
	;; [unrolled: 1-line block ×5, first 2 shown]
	ds_write_b32 v14, v13 offset:12288
	s_waitcnt lgkmcnt(0)
	s_barrier
.LBB954_4:
	v_mul_u32_u24_e32 v30, 13, v0
	v_lshlrev_b32_e32 v1, 2, v30
	s_load_dwordx4 s[52:55], s[4:5], 0x28
	s_load_dwordx2 s[46:47], s[4:5], 0x38
	s_waitcnt lgkmcnt(0)
	ds_read_b32 v29, v1 offset:48
	ds_read2_b32 v[9:10], v1 offset0:10 offset1:11
	ds_read2_b32 v[11:12], v1 offset0:8 offset1:9
	;; [unrolled: 1-line block ×4, first 2 shown]
	ds_read2_b32 v[19:20], v1 offset1:1
	ds_read2_b32 v[17:18], v1 offset0:2 offset1:3
	v_cndmask_b32_e64 v1, 0, 1, s[2:3]
	s_sub_i32 s7, s0, s7
	v_cmp_ne_u32_e64 s[0:1], 1, v1
	s_andn2_b64 vcc, exec, s[2:3]
	s_waitcnt lgkmcnt(0)
	s_barrier
	s_cbranch_vccnz .LBB954_32
; %bb.5:
	v_add_u32_e32 v1, s37, v19
	v_add_u32_e32 v2, s39, v19
	v_mul_lo_u32 v1, v1, s36
	v_mul_lo_u32 v2, v2, s38
	s_mov_b64 s[62:63], 0
	s_mov_b64 s[60:61], 0
	v_sub_u32_e32 v1, v1, v2
	v_cmp_lt_u32_e32 vcc, s40, v1
	v_cmp_ge_u32_e64 s[2:3], s40, v1
	s_and_saveexec_b64 s[8:9], s[2:3]
	s_cbranch_execz .LBB954_7
; %bb.6:
	v_add_u32_e32 v1, s42, v19
	v_add_u32_e32 v2, s58, v19
	v_mul_lo_u32 v1, v1, s41
	v_mul_lo_u32 v2, v2, s43
	v_sub_u32_e32 v1, v1, v2
	v_cmp_lt_u32_e64 s[2:3], s59, v1
	s_and_b64 s[60:61], s[2:3], exec
.LBB954_7:
	s_or_b64 exec, exec, s[8:9]
	v_add_u32_e32 v1, s37, v20
	v_add_u32_e32 v2, s39, v20
	v_mul_lo_u32 v1, v1, s36
	v_mul_lo_u32 v2, v2, s38
	v_sub_u32_e32 v1, v1, v2
	v_cmp_lt_u32_e64 s[2:3], s40, v1
	v_cmp_ge_u32_e64 s[8:9], s40, v1
	s_and_saveexec_b64 s[10:11], s[8:9]
	s_cbranch_execz .LBB954_9
; %bb.8:
	v_add_u32_e32 v1, s42, v20
	v_add_u32_e32 v2, s58, v20
	v_mul_lo_u32 v1, v1, s41
	v_mul_lo_u32 v2, v2, s43
	v_sub_u32_e32 v1, v1, v2
	v_cmp_lt_u32_e64 s[8:9], s59, v1
	s_and_b64 s[62:63], s[8:9], exec
.LBB954_9:
	s_or_b64 exec, exec, s[10:11]
	v_add_u32_e32 v1, s37, v17
	v_add_u32_e32 v2, s39, v17
	v_mul_lo_u32 v1, v1, s36
	v_mul_lo_u32 v2, v2, s38
	s_mov_b64 s[66:67], 0
	s_mov_b64 s[64:65], 0
	v_sub_u32_e32 v1, v1, v2
	v_cmp_lt_u32_e64 s[28:29], s40, v1
	v_cmp_ge_u32_e64 s[8:9], s40, v1
	s_and_saveexec_b64 s[10:11], s[8:9]
	s_cbranch_execz .LBB954_11
; %bb.10:
	v_add_u32_e32 v1, s42, v17
	v_add_u32_e32 v2, s58, v17
	v_mul_lo_u32 v1, v1, s41
	v_mul_lo_u32 v2, v2, s43
	v_sub_u32_e32 v1, v1, v2
	v_cmp_lt_u32_e64 s[8:9], s59, v1
	s_and_b64 s[64:65], s[8:9], exec
.LBB954_11:
	s_or_b64 exec, exec, s[10:11]
	v_add_u32_e32 v1, s37, v18
	v_add_u32_e32 v2, s39, v18
	v_mul_lo_u32 v1, v1, s36
	v_mul_lo_u32 v2, v2, s38
	v_sub_u32_e32 v1, v1, v2
	v_cmp_lt_u32_e64 s[8:9], s40, v1
	v_cmp_ge_u32_e64 s[10:11], s40, v1
	s_and_saveexec_b64 s[12:13], s[10:11]
	s_cbranch_execz .LBB954_13
; %bb.12:
	v_add_u32_e32 v1, s42, v18
	v_add_u32_e32 v2, s58, v18
	v_mul_lo_u32 v1, v1, s41
	v_mul_lo_u32 v2, v2, s43
	v_sub_u32_e32 v1, v1, v2
	v_cmp_lt_u32_e64 s[10:11], s59, v1
	s_and_b64 s[66:67], s[10:11], exec
.LBB954_13:
	s_or_b64 exec, exec, s[12:13]
	v_add_u32_e32 v1, s37, v15
	v_add_u32_e32 v2, s39, v15
	v_mul_lo_u32 v1, v1, s36
	v_mul_lo_u32 v2, v2, s38
	s_mov_b64 s[70:71], 0
	s_mov_b64 s[68:69], 0
	v_sub_u32_e32 v1, v1, v2
	v_cmp_lt_u32_e64 s[10:11], s40, v1
	;; [unrolled: 40-line block ×6, first 2 shown]
	v_cmp_ge_u32_e64 s[30:31], s40, v1
	s_and_saveexec_b64 s[88:89], s[30:31]
	s_cbranch_execz .LBB954_31
; %bb.30:
	v_add_u32_e32 v1, s42, v29
	v_add_u32_e32 v2, s58, v29
	v_mul_lo_u32 v1, v1, s41
	v_mul_lo_u32 v2, v2, s43
	v_sub_u32_e32 v1, v1, v2
	v_cmp_lt_u32_e64 s[30:31], s59, v1
	s_and_b64 s[86:87], s[30:31], exec
.LBB954_31:
	s_or_b64 exec, exec, s[88:89]
	v_cndmask_b32_e64 v2, 0, 1, s[2:3]
	v_cndmask_b32_e64 v1, 0, 1, vcc
	v_cndmask_b32_e64 v4, 0, 1, s[8:9]
	v_lshlrev_b16_e32 v2, 8, v2
	v_cndmask_b32_e64 v3, 0, 1, s[28:29]
	v_or_b32_e32 v1, v1, v2
	v_lshlrev_b16_e32 v2, 8, v4
	v_cndmask_b32_e64 v6, 0, 1, s[12:13]
	v_cndmask_b32_e64 v8, 0, 1, s[16:17]
	v_or_b32_sdwa v2, v3, v2 dst_sel:WORD_1 dst_unused:UNUSED_PAD src0_sel:DWORD src1_sel:DWORD
	v_cndmask_b32_e64 v5, 0, 1, s[10:11]
	v_cndmask_b32_e64 v7, 0, 1, s[14:15]
	v_or_b32_sdwa v31, v1, v2 dst_sel:DWORD dst_unused:UNUSED_PAD src0_sel:WORD_0 src1_sel:DWORD
	v_lshlrev_b16_e32 v1, 8, v6
	v_lshlrev_b16_e32 v2, 8, v8
	v_cndmask_b32_e64 v22, 0, 1, s[20:21]
	v_cndmask_b32_e64 v25, 0, 1, s[24:25]
	v_or_b32_e32 v1, v5, v1
	v_or_b32_sdwa v2, v7, v2 dst_sel:WORD_1 dst_unused:UNUSED_PAD src0_sel:DWORD src1_sel:DWORD
	v_cndmask_b32_e64 v21, 0, 1, s[18:19]
	v_cndmask_b32_e64 v23, 0, 1, s[22:23]
	v_or_b32_sdwa v33, v1, v2 dst_sel:DWORD dst_unused:UNUSED_PAD src0_sel:WORD_0 src1_sel:DWORD
	v_lshlrev_b16_e32 v1, 8, v22
	v_lshlrev_b16_e32 v2, 8, v25
	v_cndmask_b32_e64 v37, 0, 1, s[64:65]
	v_cndmask_b32_e64 v42, 0, 1, s[60:61]
	v_or_b32_e32 v1, v21, v1
	;; [unrolled: 9-line block ×4, first 2 shown]
	v_or_b32_sdwa v2, v34, v2 dst_sel:WORD_1 dst_unused:UNUSED_PAD src0_sel:DWORD src1_sel:DWORD
	v_cndmask_b32_e64 v26, 0, 1, s[78:79]
	v_cndmask_b32_e64 v28, 0, 1, s[74:75]
	v_or_b32_sdwa v32, v1, v2 dst_sel:DWORD dst_unused:UNUSED_PAD src0_sel:WORD_0 src1_sel:DWORD
	v_lshlrev_b16_e32 v1, 8, v27
	v_lshlrev_b16_e32 v2, 8, v24
	v_or_b32_e32 v1, v28, v1
	v_or_b32_sdwa v2, v26, v2 dst_sel:WORD_1 dst_unused:UNUSED_PAD src0_sel:DWORD src1_sel:DWORD
	v_cndmask_b32_e64 v35, 0, 1, s[82:83]
	v_cndmask_b32_e64 v38, 0, 1, s[86:87]
	v_or_b32_sdwa v34, v1, v2 dst_sel:DWORD dst_unused:UNUSED_PAD src0_sel:WORD_0 src1_sel:DWORD
	s_load_dwordx2 s[12:13], s[4:5], 0x78
	s_add_i32 s18, s7, 0xd00
	s_and_b64 vcc, exec, s[80:81]
	s_cbranch_vccnz .LBB954_33
	s_branch .LBB954_110
.LBB954_32:
                                        ; implicit-def: $vgpr38
                                        ; implicit-def: $vgpr35
                                        ; implicit-def: $vgpr34
                                        ; implicit-def: $vgpr32
                                        ; implicit-def: $vgpr37
                                        ; implicit-def: $vgpr36
                                        ; implicit-def: $vgpr33
                                        ; implicit-def: $vgpr31
	s_load_dwordx2 s[12:13], s[4:5], 0x78
	s_add_i32 s18, s7, 0xd00
	s_cbranch_execz .LBB954_110
.LBB954_33:
	v_cmp_gt_u32_e32 vcc, s18, v30
	v_mov_b32_e32 v2, 0
	v_mov_b32_e32 v1, 0
	s_and_saveexec_b64 s[4:5], vcc
	s_cbranch_execz .LBB954_37
; %bb.34:
	v_add_u32_e32 v1, s37, v19
	v_add_u32_e32 v2, s39, v19
	v_mul_lo_u32 v1, v1, s36
	v_mul_lo_u32 v2, v2, s38
	s_mov_b64 s[10:11], 0
	v_sub_u32_e32 v1, v1, v2
	v_cmp_lt_u32_e32 vcc, s40, v1
	v_cmp_ge_u32_e64 s[2:3], s40, v1
	s_and_saveexec_b64 s[8:9], s[2:3]
	s_cbranch_execz .LBB954_36
; %bb.35:
	v_add_u32_e32 v1, s42, v19
	v_add_u32_e32 v2, s58, v19
	v_mul_lo_u32 v1, v1, s41
	v_mul_lo_u32 v2, v2, s43
	v_sub_u32_e32 v1, v1, v2
	v_cmp_lt_u32_e64 s[2:3], s59, v1
	s_and_b64 s[10:11], s[2:3], exec
.LBB954_36:
	s_or_b64 exec, exec, s[8:9]
	v_cndmask_b32_e64 v2, 0, 1, s[10:11]
	v_cndmask_b32_e64 v1, 0, 1, vcc
.LBB954_37:
	s_or_b64 exec, exec, s[4:5]
	v_lshlrev_b16_e32 v7, 8, v2
	v_add_u32_e32 v2, 1, v30
	v_cmp_le_u32_e32 vcc, s18, v2
	v_lshlrev_b16_e64 v4, 8, 0
                                        ; implicit-def: $vgpr3
                                        ; implicit-def: $vgpr5
                                        ; implicit-def: $vgpr6
                                        ; implicit-def: $vgpr2
                                        ; implicit-def: $vgpr8
	s_and_saveexec_b64 s[2:3], vcc
	s_xor_b64 s[2:3], exec, s[2:3]
; %bb.38:
	v_mov_b32_e32 v2, 8
	v_lshrrev_b32_sdwa v3, v2, v7 dst_sel:BYTE_1 dst_unused:UNUSED_PAD src0_sel:DWORD src1_sel:DWORD
	v_and_b32_e32 v8, 0xff, v1
	v_or_b32_sdwa v1, v7, v3 dst_sel:DWORD dst_unused:UNUSED_PAD src0_sel:BYTE_0 src1_sel:DWORD
	v_mov_b32_e32 v5, 0
	v_lshlrev_b16_e64 v4, 8, 0
	v_lshlrev_b16_e64 v2, 8, 0
	v_and_b32_e32 v6, 0xffff, v1
	v_lshlrev_b16_e64 v3, 8, 0
                                        ; implicit-def: $vgpr1
                                        ; implicit-def: $vgpr7
; %bb.39:
	s_andn2_saveexec_b64 s[4:5], s[2:3]
	s_cbranch_execz .LBB954_43
; %bb.40:
	v_add_u32_e32 v2, s37, v20
	v_add_u32_e32 v3, s39, v20
	v_mul_lo_u32 v2, v2, s36
	v_mul_lo_u32 v3, v3, s38
	s_mov_b64 s[8:9], 0
	v_sub_u32_e32 v2, v2, v3
	v_cmp_lt_u32_e32 vcc, s40, v2
	v_cmp_ge_u32_e64 s[2:3], s40, v2
	s_and_saveexec_b64 s[10:11], s[2:3]
	s_cbranch_execz .LBB954_42
; %bb.41:
	v_add_u32_e32 v2, s42, v20
	v_add_u32_e32 v3, s58, v20
	v_mul_lo_u32 v2, v2, s41
	v_mul_lo_u32 v3, v3, s43
	v_sub_u32_e32 v2, v2, v3
	v_cmp_lt_u32_e64 s[2:3], s59, v2
	s_and_b64 s[8:9], s[2:3], exec
.LBB954_42:
	s_or_b64 exec, exec, s[10:11]
	v_cndmask_b32_e64 v3, 0, 1, vcc
	v_lshlrev_b16_e32 v3, 8, v3
	v_or_b32_sdwa v1, v1, v3 dst_sel:DWORD dst_unused:UNUSED_PAD src0_sel:BYTE_0 src1_sel:DWORD
	v_and_b32_e32 v8, 0xffff, v1
	v_mov_b32_e32 v1, 8
	v_lshrrev_b32_sdwa v1, v1, v7 dst_sel:BYTE_1 dst_unused:UNUSED_PAD src0_sel:DWORD src1_sel:DWORD
	v_or_b32_sdwa v1, v7, v1 dst_sel:DWORD dst_unused:UNUSED_PAD src0_sel:BYTE_0 src1_sel:DWORD
	v_and_b32_e32 v1, 0xffff, v1
	v_cndmask_b32_e64 v3, 0, 1, s[8:9]
	v_mov_b32_e32 v2, 0
	v_mov_b32_e32 v5, 0
	v_lshl_or_b32 v6, v3, 16, v1
	v_lshlrev_b16_e64 v3, 8, 0
.LBB954_43:
	s_or_b64 exec, exec, s[4:5]
	v_add_u32_e32 v1, 2, v30
	v_cmp_le_u32_e32 vcc, s18, v1
	v_lshrrev_b32_e32 v21, 24, v8
                                        ; implicit-def: $vgpr1
                                        ; implicit-def: $vgpr7
	s_and_saveexec_b64 s[2:3], vcc
	s_xor_b64 s[2:3], exec, s[2:3]
	s_cbranch_execz .LBB954_45
; %bb.44:
	s_mov_b32 s4, 0x40c0100
	v_perm_b32 v7, v21, v8, s4
	v_mov_b32_e32 v8, 8
	v_lshrrev_b32_sdwa v8, v8, v7 dst_sel:BYTE_1 dst_unused:UNUSED_PAD src0_sel:DWORD src1_sel:DWORD
	v_or_b32_sdwa v8, v7, v8 dst_sel:DWORD dst_unused:UNUSED_PAD src0_sel:BYTE_0 src1_sel:DWORD
	v_and_b32_e32 v8, 0xffff, v8
	s_mov_b32 s4, 0xff000000
	v_and_or_b32 v7, v7, s4, v8
	s_mov_b32 s4, 0x3060504
	v_and_b32_e32 v1, 0xff0000, v6
	v_perm_b32 v4, v4, v4, s4
	s_mov_b32 s4, 0x3020504
	v_perm_b32 v1, v6, v1, s4
                                        ; implicit-def: $vgpr8
                                        ; implicit-def: $vgpr21
                                        ; implicit-def: $vgpr6
.LBB954_45:
	s_andn2_saveexec_b64 s[4:5], s[2:3]
	s_cbranch_execz .LBB954_49
; %bb.46:
	v_add_u32_e32 v1, s37, v17
	v_add_u32_e32 v7, s39, v17
	v_mul_lo_u32 v1, v1, s36
	v_mul_lo_u32 v7, v7, s38
	s_mov_b64 s[8:9], 0
	v_sub_u32_e32 v1, v1, v7
	v_cmp_lt_u32_e32 vcc, s40, v1
	v_cmp_ge_u32_e64 s[2:3], s40, v1
	s_and_saveexec_b64 s[10:11], s[2:3]
	s_cbranch_execz .LBB954_48
; %bb.47:
	v_add_u32_e32 v1, s42, v17
	v_add_u32_e32 v7, s58, v17
	v_mul_lo_u32 v1, v1, s41
	v_mul_lo_u32 v7, v7, s43
	v_sub_u32_e32 v1, v1, v7
	v_cmp_lt_u32_e64 s[2:3], s59, v1
	s_and_b64 s[8:9], s[2:3], exec
.LBB954_48:
	s_or_b64 exec, exec, s[10:11]
	v_mov_b32_e32 v23, 8
	v_lshrrev_b32_sdwa v7, v23, v8 dst_sel:BYTE_1 dst_unused:UNUSED_PAD src0_sel:DWORD src1_sel:DWORD
	v_cndmask_b32_e64 v1, 0, 1, vcc
	v_or_b32_sdwa v7, v8, v7 dst_sel:DWORD dst_unused:UNUSED_PAD src0_sel:BYTE_0 src1_sel:DWORD
	v_lshlrev_b16_e32 v8, 8, v21
	v_or_b32_sdwa v1, v1, v8 dst_sel:WORD_1 dst_unused:UNUSED_PAD src0_sel:DWORD src1_sel:DWORD
	v_cndmask_b32_e64 v22, 0, 1, s[8:9]
	s_movk_i32 s2, 0xff
	v_or_b32_sdwa v7, v7, v1 dst_sel:DWORD dst_unused:UNUSED_PAD src0_sel:WORD_0 src1_sel:DWORD
	v_lshrrev_b32_sdwa v1, v23, v6 dst_sel:BYTE_1 dst_unused:UNUSED_PAD src0_sel:DWORD src1_sel:DWORD
	v_or_b32_sdwa v1, v6, v1 dst_sel:DWORD dst_unused:UNUSED_PAD src0_sel:BYTE_0 src1_sel:DWORD
	v_lshlrev_b16_e32 v8, 8, v22
	v_and_b32_sdwa v6, v6, s2 dst_sel:DWORD dst_unused:UNUSED_PAD src0_sel:WORD_1 src1_sel:DWORD
	v_or_b32_sdwa v6, v6, v8 dst_sel:WORD_1 dst_unused:UNUSED_PAD src0_sel:DWORD src1_sel:DWORD
	v_or_b32_sdwa v1, v1, v6 dst_sel:DWORD dst_unused:UNUSED_PAD src0_sel:WORD_0 src1_sel:DWORD
.LBB954_49:
	s_or_b64 exec, exec, s[4:5]
	v_add_u32_e32 v6, 3, v30
	v_cmp_le_u32_e32 vcc, s18, v6
	v_lshrrev_b32_e32 v8, 24, v5
                                        ; implicit-def: $vgpr6
                                        ; implicit-def: $vgpr31
	s_and_saveexec_b64 s[2:3], vcc
	s_xor_b64 s[2:3], exec, s[2:3]
	s_cbranch_execz .LBB954_51
; %bb.50:
	v_and_b32_e32 v6, 0xff0000, v7
	s_mov_b32 s4, 0x3020504
	s_movk_i32 s5, 0xff
	v_perm_b32 v31, v7, v6, s4
	v_lshlrev_b16_e32 v6, 8, v8
	v_and_b32_sdwa v7, v5, s5 dst_sel:DWORD dst_unused:UNUSED_PAD src0_sel:WORD_1 src1_sel:DWORD
	s_mov_b32 s4, 0x3060504
	v_or_b32_sdwa v6, v7, v6 dst_sel:WORD_1 dst_unused:UNUSED_PAD src0_sel:DWORD src1_sel:DWORD
	v_mov_b32_e32 v7, 8
	v_perm_b32 v4, v4, v4, s4
	v_lshrrev_b32_sdwa v6, v7, v5 dst_sel:BYTE_1 dst_unused:UNUSED_PRESERVE src0_sel:DWORD src1_sel:DWORD
	v_perm_b32 v3, v3, v3, s4
                                        ; implicit-def: $vgpr7
                                        ; implicit-def: $vgpr8
                                        ; implicit-def: $vgpr5
.LBB954_51:
	s_andn2_saveexec_b64 s[4:5], s[2:3]
	s_cbranch_execz .LBB954_55
; %bb.52:
	v_add_u32_e32 v6, s37, v18
	v_add_u32_e32 v21, s39, v18
	v_mul_lo_u32 v6, v6, s36
	v_mul_lo_u32 v21, v21, s38
	s_mov_b64 s[8:9], 0
	v_sub_u32_e32 v6, v6, v21
	v_cmp_lt_u32_e32 vcc, s40, v6
	v_cmp_ge_u32_e64 s[2:3], s40, v6
	s_and_saveexec_b64 s[10:11], s[2:3]
	s_cbranch_execz .LBB954_54
; %bb.53:
	v_add_u32_e32 v6, s42, v18
	v_add_u32_e32 v21, s58, v18
	v_mul_lo_u32 v6, v6, s41
	v_mul_lo_u32 v21, v21, s43
	v_sub_u32_e32 v6, v6, v21
	v_cmp_lt_u32_e64 s[2:3], s59, v6
	s_and_b64 s[8:9], s[2:3], exec
.LBB954_54:
	s_or_b64 exec, exec, s[10:11]
	v_mov_b32_e32 v22, 8
	v_cndmask_b32_e64 v6, 0, 1, vcc
	s_movk_i32 s2, 0xff
	v_lshrrev_b32_sdwa v23, v22, v7 dst_sel:BYTE_1 dst_unused:UNUSED_PAD src0_sel:DWORD src1_sel:DWORD
	v_or_b32_sdwa v23, v7, v23 dst_sel:DWORD dst_unused:UNUSED_PAD src0_sel:BYTE_0 src1_sel:DWORD
	v_lshlrev_b16_e32 v6, 8, v6
	v_and_b32_sdwa v7, v7, s2 dst_sel:DWORD dst_unused:UNUSED_PAD src0_sel:WORD_1 src1_sel:DWORD
	v_or_b32_sdwa v6, v7, v6 dst_sel:WORD_1 dst_unused:UNUSED_PAD src0_sel:DWORD src1_sel:DWORD
	v_cndmask_b32_e64 v21, 0, 1, s[8:9]
	v_or_b32_sdwa v31, v23, v6 dst_sel:DWORD dst_unused:UNUSED_PAD src0_sel:WORD_0 src1_sel:DWORD
	v_lshlrev_b16_e32 v6, 8, v8
	v_and_b32_sdwa v7, v5, s2 dst_sel:DWORD dst_unused:UNUSED_PAD src0_sel:WORD_1 src1_sel:DWORD
	v_lshrrev_b32_sdwa v5, v22, v5 dst_sel:BYTE_1 dst_unused:UNUSED_PAD src0_sel:DWORD src1_sel:DWORD
	v_or_b32_sdwa v6, v7, v6 dst_sel:WORD_1 dst_unused:UNUSED_PAD src0_sel:DWORD src1_sel:DWORD
	v_or_b32_e32 v5, v21, v5
	v_or_b32_sdwa v6, v5, v6 dst_sel:DWORD dst_unused:UNUSED_PAD src0_sel:WORD_0 src1_sel:DWORD
.LBB954_55:
	s_or_b64 exec, exec, s[4:5]
	v_add_u32_e32 v5, 4, v30
	v_cmp_le_u32_e32 vcc, s18, v5
	v_lshrrev_b32_e32 v21, 24, v4
	v_lshrrev_b32_e32 v8, 24, v6
                                        ; implicit-def: $vgpr7
                                        ; implicit-def: $vgpr5
	s_and_saveexec_b64 s[2:3], vcc
	s_xor_b64 s[2:3], exec, s[2:3]
	s_cbranch_execz .LBB954_57
; %bb.56:
	s_movk_i32 s4, 0xff
	v_lshlrev_b16_e32 v5, 8, v21
	v_and_b32_sdwa v21, v4, s4 dst_sel:DWORD dst_unused:UNUSED_PAD src0_sel:WORD_1 src1_sel:DWORD
	v_mov_b32_e32 v7, 8
	v_or_b32_sdwa v5, v21, v5 dst_sel:WORD_1 dst_unused:UNUSED_PAD src0_sel:DWORD src1_sel:DWORD
	v_lshrrev_b32_sdwa v5, v7, v4 dst_sel:BYTE_1 dst_unused:UNUSED_PRESERVE src0_sel:DWORD src1_sel:DWORD
	v_lshlrev_b16_e32 v4, 8, v8
	v_and_b32_sdwa v7, v6, s4 dst_sel:DWORD dst_unused:UNUSED_PAD src0_sel:WORD_1 src1_sel:DWORD
	v_or_b32_e32 v4, v7, v4
	s_mov_b32 s4, 0x5040c00
	v_perm_b32 v7, v4, v6, s4
	s_mov_b32 s4, 0x3060504
	v_perm_b32 v3, v3, v3, s4
                                        ; implicit-def: $vgpr21
                                        ; implicit-def: $vgpr4
                                        ; implicit-def: $vgpr6
                                        ; implicit-def: $vgpr8
.LBB954_57:
	s_andn2_saveexec_b64 s[4:5], s[2:3]
	s_cbranch_execz .LBB954_61
; %bb.58:
	v_add_u32_e32 v5, s37, v15
	v_add_u32_e32 v7, s39, v15
	v_mul_lo_u32 v5, v5, s36
	v_mul_lo_u32 v7, v7, s38
	s_mov_b64 s[8:9], 0
	v_sub_u32_e32 v5, v5, v7
	v_cmp_lt_u32_e32 vcc, s40, v5
	v_cmp_ge_u32_e64 s[2:3], s40, v5
	s_and_saveexec_b64 s[10:11], s[2:3]
	s_cbranch_execz .LBB954_60
; %bb.59:
	v_add_u32_e32 v5, s42, v15
	v_add_u32_e32 v7, s58, v15
	v_mul_lo_u32 v5, v5, s41
	v_mul_lo_u32 v7, v7, s43
	v_sub_u32_e32 v5, v5, v7
	v_cmp_lt_u32_e64 s[2:3], s59, v5
	s_and_b64 s[8:9], s[2:3], exec
.LBB954_60:
	s_or_b64 exec, exec, s[10:11]
	s_movk_i32 s2, 0xff
	v_lshlrev_b16_e32 v21, 8, v21
	v_and_b32_sdwa v22, v4, s2 dst_sel:DWORD dst_unused:UNUSED_PAD src0_sel:WORD_1 src1_sel:DWORD
	v_or_b32_sdwa v21, v22, v21 dst_sel:WORD_1 dst_unused:UNUSED_PAD src0_sel:DWORD src1_sel:DWORD
	v_mov_b32_e32 v22, 8
	v_cndmask_b32_e64 v5, 0, 1, vcc
	v_lshrrev_b32_sdwa v4, v22, v4 dst_sel:BYTE_1 dst_unused:UNUSED_PAD src0_sel:DWORD src1_sel:DWORD
	v_cndmask_b32_e64 v7, 0, 1, s[8:9]
	v_or_b32_e32 v4, v5, v4
	v_or_b32_sdwa v5, v4, v21 dst_sel:DWORD dst_unused:UNUSED_PAD src0_sel:WORD_0 src1_sel:DWORD
	v_lshlrev_b16_e32 v4, 8, v7
	v_or_b32_sdwa v4, v6, v4 dst_sel:DWORD dst_unused:UNUSED_PAD src0_sel:BYTE_0 src1_sel:DWORD
	v_lshlrev_b16_e32 v7, 8, v8
	v_and_b32_sdwa v6, v6, s2 dst_sel:DWORD dst_unused:UNUSED_PAD src0_sel:WORD_1 src1_sel:DWORD
	v_or_b32_sdwa v6, v6, v7 dst_sel:WORD_1 dst_unused:UNUSED_PAD src0_sel:DWORD src1_sel:DWORD
	v_or_b32_sdwa v7, v4, v6 dst_sel:DWORD dst_unused:UNUSED_PAD src0_sel:WORD_0 src1_sel:DWORD
.LBB954_61:
	s_or_b64 exec, exec, s[4:5]
	v_add_u32_e32 v4, 5, v30
	v_cmp_le_u32_e32 vcc, s18, v4
	v_lshrrev_b32_e32 v8, 24, v7
	v_lshrrev_b32_e32 v21, 24, v5
                                        ; implicit-def: $vgpr4
                                        ; implicit-def: $vgpr6
	s_and_saveexec_b64 s[2:3], vcc
	s_xor_b64 s[2:3], exec, s[2:3]
	s_cbranch_execz .LBB954_63
; %bb.62:
	s_mov_b32 s4, 0x40c0100
	v_perm_b32 v4, v8, v7, s4
	s_movk_i32 s4, 0xff
	v_lshlrev_b16_e32 v6, 8, v21
	v_and_b32_sdwa v7, v5, s4 dst_sel:DWORD dst_unused:UNUSED_PAD src0_sel:WORD_1 src1_sel:DWORD
	v_or_b32_e32 v6, v7, v6
	s_mov_b32 s4, 0x5040c00
	v_perm_b32 v6, v6, v5, s4
	v_mov_b32_e32 v5, 8
	v_lshrrev_b32_sdwa v5, v5, v4 dst_sel:BYTE_1 dst_unused:UNUSED_PAD src0_sel:DWORD src1_sel:DWORD
	v_or_b32_sdwa v5, v4, v5 dst_sel:DWORD dst_unused:UNUSED_PAD src0_sel:BYTE_0 src1_sel:DWORD
	v_and_b32_e32 v5, 0xffff, v5
	s_mov_b32 s4, 0xff000000
	v_and_or_b32 v4, v4, s4, v5
	s_mov_b32 s4, 0x3060504
	v_perm_b32 v3, v3, v3, s4
                                        ; implicit-def: $vgpr5
                                        ; implicit-def: $vgpr21
                                        ; implicit-def: $vgpr7
                                        ; implicit-def: $vgpr8
.LBB954_63:
	s_andn2_saveexec_b64 s[4:5], s[2:3]
	s_cbranch_execz .LBB954_67
; %bb.64:
	v_add_u32_e32 v4, s37, v16
	v_add_u32_e32 v6, s39, v16
	v_mul_lo_u32 v4, v4, s36
	v_mul_lo_u32 v6, v6, s38
	s_mov_b64 s[8:9], 0
	v_sub_u32_e32 v4, v4, v6
	v_cmp_lt_u32_e32 vcc, s40, v4
	v_cmp_ge_u32_e64 s[2:3], s40, v4
	s_and_saveexec_b64 s[10:11], s[2:3]
	s_cbranch_execz .LBB954_66
; %bb.65:
	v_add_u32_e32 v4, s42, v16
	v_add_u32_e32 v6, s58, v16
	v_mul_lo_u32 v4, v4, s41
	v_mul_lo_u32 v6, v6, s43
	v_sub_u32_e32 v4, v4, v6
	v_cmp_lt_u32_e64 s[2:3], s59, v4
	s_and_b64 s[8:9], s[2:3], exec
.LBB954_66:
	s_or_b64 exec, exec, s[10:11]
	v_cndmask_b32_e64 v4, 0, 1, vcc
	v_lshlrev_b16_e32 v4, 8, v4
	s_movk_i32 s2, 0xff
	v_or_b32_sdwa v4, v5, v4 dst_sel:DWORD dst_unused:UNUSED_PAD src0_sel:BYTE_0 src1_sel:DWORD
	v_lshlrev_b16_e32 v6, 8, v21
	v_and_b32_sdwa v5, v5, s2 dst_sel:DWORD dst_unused:UNUSED_PAD src0_sel:WORD_1 src1_sel:DWORD
	v_or_b32_sdwa v5, v5, v6 dst_sel:WORD_1 dst_unused:UNUSED_PAD src0_sel:DWORD src1_sel:DWORD
	v_or_b32_sdwa v6, v4, v5 dst_sel:DWORD dst_unused:UNUSED_PAD src0_sel:WORD_0 src1_sel:DWORD
	v_mov_b32_e32 v4, 8
	v_cndmask_b32_e64 v22, 0, 1, s[8:9]
	v_lshrrev_b32_sdwa v4, v4, v7 dst_sel:BYTE_1 dst_unused:UNUSED_PAD src0_sel:DWORD src1_sel:DWORD
	v_lshlrev_b16_e32 v5, 8, v8
	v_or_b32_sdwa v4, v7, v4 dst_sel:DWORD dst_unused:UNUSED_PAD src0_sel:BYTE_0 src1_sel:DWORD
	v_or_b32_sdwa v5, v22, v5 dst_sel:WORD_1 dst_unused:UNUSED_PAD src0_sel:DWORD src1_sel:DWORD
	v_or_b32_sdwa v4, v4, v5 dst_sel:DWORD dst_unused:UNUSED_PAD src0_sel:WORD_0 src1_sel:DWORD
.LBB954_67:
	s_or_b64 exec, exec, s[4:5]
	v_add_u32_e32 v5, 6, v30
	v_cmp_le_u32_e32 vcc, s18, v5
	v_lshrrev_b32_e32 v7, 24, v6
                                        ; implicit-def: $vgpr32
                                        ; implicit-def: $vgpr5
	s_and_saveexec_b64 s[2:3], vcc
	s_xor_b64 s[2:3], exec, s[2:3]
	s_cbranch_execz .LBB954_69
; %bb.68:
	s_mov_b32 s4, 0x40c0100
	v_perm_b32 v5, v7, v6, s4
	v_mov_b32_e32 v6, 8
	v_lshrrev_b32_sdwa v6, v6, v5 dst_sel:BYTE_1 dst_unused:UNUSED_PAD src0_sel:DWORD src1_sel:DWORD
	v_or_b32_sdwa v6, v5, v6 dst_sel:DWORD dst_unused:UNUSED_PAD src0_sel:BYTE_0 src1_sel:DWORD
	v_and_b32_e32 v6, 0xffff, v6
	s_mov_b32 s4, 0xff000000
	v_and_b32_e32 v8, 0xff0000, v4
	v_and_or_b32 v5, v5, s4, v6
	s_mov_b32 s4, 0x3020504
	v_perm_b32 v32, v4, v8, s4
	s_mov_b32 s4, 0x3060504
	v_perm_b32 v3, v3, v3, s4
                                        ; implicit-def: $vgpr6
                                        ; implicit-def: $vgpr7
                                        ; implicit-def: $vgpr4
.LBB954_69:
	s_andn2_saveexec_b64 s[4:5], s[2:3]
	s_cbranch_execz .LBB954_73
; %bb.70:
	v_add_u32_e32 v5, s37, v13
	v_add_u32_e32 v8, s39, v13
	v_mul_lo_u32 v5, v5, s36
	v_mul_lo_u32 v8, v8, s38
	s_mov_b64 s[8:9], 0
	v_sub_u32_e32 v5, v5, v8
	v_cmp_lt_u32_e32 vcc, s40, v5
	v_cmp_ge_u32_e64 s[2:3], s40, v5
	s_and_saveexec_b64 s[10:11], s[2:3]
	s_cbranch_execz .LBB954_72
; %bb.71:
	v_add_u32_e32 v5, s42, v13
	v_add_u32_e32 v8, s58, v13
	v_mul_lo_u32 v5, v5, s41
	v_mul_lo_u32 v8, v8, s43
	v_sub_u32_e32 v5, v5, v8
	v_cmp_lt_u32_e64 s[2:3], s59, v5
	s_and_b64 s[8:9], s[2:3], exec
.LBB954_72:
	s_or_b64 exec, exec, s[10:11]
	v_mov_b32_e32 v21, 8
	v_cndmask_b32_e64 v5, 0, 1, vcc
	v_lshrrev_b32_sdwa v22, v21, v6 dst_sel:BYTE_1 dst_unused:UNUSED_PAD src0_sel:DWORD src1_sel:DWORD
	v_lshlrev_b16_e32 v7, 8, v7
	v_or_b32_sdwa v6, v6, v22 dst_sel:DWORD dst_unused:UNUSED_PAD src0_sel:BYTE_0 src1_sel:DWORD
	v_or_b32_sdwa v5, v5, v7 dst_sel:WORD_1 dst_unused:UNUSED_PAD src0_sel:DWORD src1_sel:DWORD
	v_cndmask_b32_e64 v8, 0, 1, s[8:9]
	s_movk_i32 s2, 0xff
	v_or_b32_sdwa v5, v6, v5 dst_sel:DWORD dst_unused:UNUSED_PAD src0_sel:WORD_0 src1_sel:DWORD
	v_lshrrev_b32_sdwa v6, v21, v4 dst_sel:BYTE_1 dst_unused:UNUSED_PAD src0_sel:DWORD src1_sel:DWORD
	v_or_b32_sdwa v6, v4, v6 dst_sel:DWORD dst_unused:UNUSED_PAD src0_sel:BYTE_0 src1_sel:DWORD
	v_lshlrev_b16_e32 v7, 8, v8
	v_and_b32_sdwa v4, v4, s2 dst_sel:DWORD dst_unused:UNUSED_PAD src0_sel:WORD_1 src1_sel:DWORD
	v_or_b32_sdwa v4, v4, v7 dst_sel:WORD_1 dst_unused:UNUSED_PAD src0_sel:DWORD src1_sel:DWORD
	v_or_b32_sdwa v32, v6, v4 dst_sel:DWORD dst_unused:UNUSED_PAD src0_sel:WORD_0 src1_sel:DWORD
.LBB954_73:
	s_or_b64 exec, exec, s[4:5]
	v_add_u32_e32 v4, 7, v30
	v_cmp_le_u32_e32 vcc, s18, v4
	v_lshrrev_b32_e32 v6, 24, v3
                                        ; implicit-def: $vgpr4
                                        ; implicit-def: $vgpr33
	s_and_saveexec_b64 s[2:3], vcc
	s_xor_b64 s[2:3], exec, s[2:3]
; %bb.74:
	v_and_b32_e32 v4, 0xff0000, v5
	s_mov_b32 s4, 0x3020504
	v_perm_b32 v33, v5, v4, s4
	s_movk_i32 s4, 0xff
	v_lshlrev_b16_e32 v4, 8, v6
	v_and_b32_sdwa v5, v3, s4 dst_sel:DWORD dst_unused:UNUSED_PAD src0_sel:WORD_1 src1_sel:DWORD
	v_mov_b32_e32 v7, 8
	v_or_b32_sdwa v4, v5, v4 dst_sel:WORD_1 dst_unused:UNUSED_PAD src0_sel:DWORD src1_sel:DWORD
	v_lshrrev_b32_sdwa v4, v7, v3 dst_sel:BYTE_1 dst_unused:UNUSED_PRESERVE src0_sel:DWORD src1_sel:DWORD
                                        ; implicit-def: $vgpr5
                                        ; implicit-def: $vgpr6
                                        ; implicit-def: $vgpr3
; %bb.75:
	s_andn2_saveexec_b64 s[4:5], s[2:3]
	s_cbranch_execz .LBB954_79
; %bb.76:
	v_add_u32_e32 v4, s37, v14
	v_add_u32_e32 v7, s39, v14
	v_mul_lo_u32 v4, v4, s36
	v_mul_lo_u32 v7, v7, s38
	s_mov_b64 s[8:9], 0
	v_sub_u32_e32 v4, v4, v7
	v_cmp_lt_u32_e32 vcc, s40, v4
	v_cmp_ge_u32_e64 s[2:3], s40, v4
	s_and_saveexec_b64 s[10:11], s[2:3]
	s_cbranch_execz .LBB954_78
; %bb.77:
	v_add_u32_e32 v4, s42, v14
	v_add_u32_e32 v7, s58, v14
	v_mul_lo_u32 v4, v4, s41
	v_mul_lo_u32 v7, v7, s43
	v_sub_u32_e32 v4, v4, v7
	v_cmp_lt_u32_e64 s[2:3], s59, v4
	s_and_b64 s[8:9], s[2:3], exec
.LBB954_78:
	s_or_b64 exec, exec, s[10:11]
	v_mov_b32_e32 v8, 8
	v_cndmask_b32_e64 v4, 0, 1, vcc
	s_movk_i32 s2, 0xff
	v_lshrrev_b32_sdwa v21, v8, v5 dst_sel:BYTE_1 dst_unused:UNUSED_PAD src0_sel:DWORD src1_sel:DWORD
	v_or_b32_sdwa v21, v5, v21 dst_sel:DWORD dst_unused:UNUSED_PAD src0_sel:BYTE_0 src1_sel:DWORD
	v_lshlrev_b16_e32 v4, 8, v4
	v_and_b32_sdwa v5, v5, s2 dst_sel:DWORD dst_unused:UNUSED_PAD src0_sel:WORD_1 src1_sel:DWORD
	v_or_b32_sdwa v4, v5, v4 dst_sel:WORD_1 dst_unused:UNUSED_PAD src0_sel:DWORD src1_sel:DWORD
	v_cndmask_b32_e64 v7, 0, 1, s[8:9]
	v_or_b32_sdwa v33, v21, v4 dst_sel:DWORD dst_unused:UNUSED_PAD src0_sel:WORD_0 src1_sel:DWORD
	v_lshlrev_b16_e32 v4, 8, v6
	v_and_b32_sdwa v5, v3, s2 dst_sel:DWORD dst_unused:UNUSED_PAD src0_sel:WORD_1 src1_sel:DWORD
	v_lshrrev_b32_sdwa v3, v8, v3 dst_sel:BYTE_1 dst_unused:UNUSED_PAD src0_sel:DWORD src1_sel:DWORD
	v_or_b32_sdwa v4, v5, v4 dst_sel:WORD_1 dst_unused:UNUSED_PAD src0_sel:DWORD src1_sel:DWORD
	v_or_b32_e32 v3, v7, v3
	v_or_b32_sdwa v4, v3, v4 dst_sel:DWORD dst_unused:UNUSED_PAD src0_sel:WORD_0 src1_sel:DWORD
.LBB954_79:
	s_or_b64 exec, exec, s[4:5]
	v_add_u32_e32 v3, 8, v30
	v_cmp_le_u32_e32 vcc, s18, v3
	v_lshrrev_b32_e32 v6, 24, v4
	v_lshrrev_b32_e32 v7, 24, v2
                                        ; implicit-def: $vgpr5
                                        ; implicit-def: $vgpr3
	s_and_saveexec_b64 s[2:3], vcc
	s_xor_b64 s[2:3], exec, s[2:3]
	s_cbranch_execz .LBB954_81
; %bb.80:
	s_movk_i32 s4, 0xff
	v_lshlrev_b16_e32 v3, 8, v7
	v_and_b32_sdwa v5, v2, s4 dst_sel:DWORD dst_unused:UNUSED_PAD src0_sel:WORD_1 src1_sel:DWORD
	v_or_b32_sdwa v3, v5, v3 dst_sel:WORD_1 dst_unused:UNUSED_PAD src0_sel:DWORD src1_sel:DWORD
	v_mov_b32_e32 v5, 8
	v_lshrrev_b32_sdwa v3, v5, v2 dst_sel:BYTE_1 dst_unused:UNUSED_PRESERVE src0_sel:DWORD src1_sel:DWORD
	v_lshlrev_b16_e32 v2, 8, v6
	v_and_b32_sdwa v5, v4, s4 dst_sel:DWORD dst_unused:UNUSED_PAD src0_sel:WORD_1 src1_sel:DWORD
	s_mov_b32 s5, 0x3060504
	v_or_b32_e32 v2, v5, v2
	s_mov_b32 s4, 0x5040c00
	v_perm_b32 v1, v1, v1, s5
	v_perm_b32 v5, v2, v4, s4
                                        ; implicit-def: $vgpr7
                                        ; implicit-def: $vgpr2
                                        ; implicit-def: $vgpr4
                                        ; implicit-def: $vgpr6
.LBB954_81:
	s_andn2_saveexec_b64 s[4:5], s[2:3]
	s_cbranch_execz .LBB954_85
; %bb.82:
	v_add_u32_e32 v3, s37, v11
	v_add_u32_e32 v5, s39, v11
	v_mul_lo_u32 v3, v3, s36
	v_mul_lo_u32 v5, v5, s38
	s_mov_b64 s[8:9], 0
	v_sub_u32_e32 v3, v3, v5
	v_cmp_lt_u32_e32 vcc, s40, v3
	v_cmp_ge_u32_e64 s[2:3], s40, v3
	s_and_saveexec_b64 s[10:11], s[2:3]
	s_cbranch_execz .LBB954_84
; %bb.83:
	v_add_u32_e32 v3, s42, v11
	v_add_u32_e32 v5, s58, v11
	v_mul_lo_u32 v3, v3, s41
	v_mul_lo_u32 v5, v5, s43
	v_sub_u32_e32 v3, v3, v5
	v_cmp_lt_u32_e64 s[2:3], s59, v3
	s_and_b64 s[8:9], s[2:3], exec
.LBB954_84:
	s_or_b64 exec, exec, s[10:11]
	s_movk_i32 s2, 0xff
	v_lshlrev_b16_e32 v7, 8, v7
	v_and_b32_sdwa v8, v2, s2 dst_sel:DWORD dst_unused:UNUSED_PAD src0_sel:WORD_1 src1_sel:DWORD
	v_or_b32_sdwa v7, v8, v7 dst_sel:WORD_1 dst_unused:UNUSED_PAD src0_sel:DWORD src1_sel:DWORD
	v_mov_b32_e32 v8, 8
	v_cndmask_b32_e64 v3, 0, 1, vcc
	v_lshrrev_b32_sdwa v2, v8, v2 dst_sel:BYTE_1 dst_unused:UNUSED_PAD src0_sel:DWORD src1_sel:DWORD
	v_cndmask_b32_e64 v5, 0, 1, s[8:9]
	v_or_b32_e32 v2, v3, v2
	v_or_b32_sdwa v3, v2, v7 dst_sel:DWORD dst_unused:UNUSED_PAD src0_sel:WORD_0 src1_sel:DWORD
	v_lshlrev_b16_e32 v2, 8, v5
	v_or_b32_sdwa v2, v4, v2 dst_sel:DWORD dst_unused:UNUSED_PAD src0_sel:BYTE_0 src1_sel:DWORD
	v_lshlrev_b16_e32 v5, 8, v6
	v_and_b32_sdwa v4, v4, s2 dst_sel:DWORD dst_unused:UNUSED_PAD src0_sel:WORD_1 src1_sel:DWORD
	v_or_b32_sdwa v4, v4, v5 dst_sel:WORD_1 dst_unused:UNUSED_PAD src0_sel:DWORD src1_sel:DWORD
	v_or_b32_sdwa v5, v2, v4 dst_sel:DWORD dst_unused:UNUSED_PAD src0_sel:WORD_0 src1_sel:DWORD
.LBB954_85:
	s_or_b64 exec, exec, s[4:5]
	v_add_u32_e32 v2, 9, v30
	v_cmp_le_u32_e32 vcc, s18, v2
	v_lshrrev_b32_e32 v6, 24, v5
	v_lshrrev_b32_e32 v7, 24, v3
                                        ; implicit-def: $vgpr2
                                        ; implicit-def: $vgpr4
	s_and_saveexec_b64 s[2:3], vcc
	s_xor_b64 s[2:3], exec, s[2:3]
	s_cbranch_execz .LBB954_87
; %bb.86:
	s_mov_b32 s4, 0x40c0100
	v_perm_b32 v2, v6, v5, s4
	v_mov_b32_e32 v4, 8
	s_movk_i32 s4, 0xff
	v_lshrrev_b32_sdwa v5, v4, v2 dst_sel:BYTE_1 dst_unused:UNUSED_PAD src0_sel:DWORD src1_sel:DWORD
	v_lshlrev_b16_e32 v4, 8, v7
	v_and_b32_sdwa v6, v3, s4 dst_sel:DWORD dst_unused:UNUSED_PAD src0_sel:WORD_1 src1_sel:DWORD
	v_or_b32_e32 v4, v6, v4
	s_mov_b32 s4, 0x5040c00
	v_perm_b32 v4, v4, v3, s4
	s_mov_b32 s4, 0x3060504
	v_or_b32_sdwa v3, v2, v5 dst_sel:DWORD dst_unused:UNUSED_PAD src0_sel:BYTE_0 src1_sel:DWORD
	v_perm_b32 v1, v1, v1, s4
	v_and_b32_e32 v3, 0xffff, v3
	s_mov_b32 s4, 0xff000000
	v_and_or_b32 v2, v2, s4, v3
                                        ; implicit-def: $vgpr3
                                        ; implicit-def: $vgpr7
                                        ; implicit-def: $vgpr5
                                        ; implicit-def: $vgpr6
.LBB954_87:
	s_andn2_saveexec_b64 s[4:5], s[2:3]
	s_cbranch_execz .LBB954_91
; %bb.88:
	v_add_u32_e32 v2, s37, v12
	v_add_u32_e32 v4, s39, v12
	v_mul_lo_u32 v2, v2, s36
	v_mul_lo_u32 v4, v4, s38
	s_mov_b64 s[8:9], 0
	v_sub_u32_e32 v2, v2, v4
	v_cmp_lt_u32_e32 vcc, s40, v2
	v_cmp_ge_u32_e64 s[2:3], s40, v2
	s_and_saveexec_b64 s[10:11], s[2:3]
	s_cbranch_execz .LBB954_90
; %bb.89:
	v_add_u32_e32 v2, s42, v12
	v_add_u32_e32 v4, s58, v12
	v_mul_lo_u32 v2, v2, s41
	v_mul_lo_u32 v4, v4, s43
	v_sub_u32_e32 v2, v2, v4
	v_cmp_lt_u32_e64 s[2:3], s59, v2
	s_and_b64 s[8:9], s[2:3], exec
.LBB954_90:
	s_or_b64 exec, exec, s[10:11]
	v_cndmask_b32_e64 v2, 0, 1, vcc
	v_lshlrev_b16_e32 v2, 8, v2
	s_movk_i32 s2, 0xff
	v_or_b32_sdwa v2, v3, v2 dst_sel:DWORD dst_unused:UNUSED_PAD src0_sel:BYTE_0 src1_sel:DWORD
	v_lshlrev_b16_e32 v4, 8, v7
	v_and_b32_sdwa v3, v3, s2 dst_sel:DWORD dst_unused:UNUSED_PAD src0_sel:WORD_1 src1_sel:DWORD
	v_or_b32_sdwa v3, v3, v4 dst_sel:WORD_1 dst_unused:UNUSED_PAD src0_sel:DWORD src1_sel:DWORD
	v_or_b32_sdwa v4, v2, v3 dst_sel:DWORD dst_unused:UNUSED_PAD src0_sel:WORD_0 src1_sel:DWORD
	v_mov_b32_e32 v2, 8
	v_cndmask_b32_e64 v8, 0, 1, s[8:9]
	v_lshrrev_b32_sdwa v2, v2, v5 dst_sel:BYTE_1 dst_unused:UNUSED_PAD src0_sel:DWORD src1_sel:DWORD
	v_lshlrev_b16_e32 v3, 8, v6
	v_or_b32_sdwa v2, v5, v2 dst_sel:DWORD dst_unused:UNUSED_PAD src0_sel:BYTE_0 src1_sel:DWORD
	v_or_b32_sdwa v3, v8, v3 dst_sel:WORD_1 dst_unused:UNUSED_PAD src0_sel:DWORD src1_sel:DWORD
	v_or_b32_sdwa v2, v2, v3 dst_sel:DWORD dst_unused:UNUSED_PAD src0_sel:WORD_0 src1_sel:DWORD
.LBB954_91:
	s_or_b64 exec, exec, s[4:5]
	v_add_u32_e32 v3, 10, v30
	v_cmp_le_u32_e32 vcc, s18, v3
	v_lshrrev_b32_e32 v5, 24, v4
                                        ; implicit-def: $vgpr34
                                        ; implicit-def: $vgpr3
	s_and_saveexec_b64 s[2:3], vcc
	s_xor_b64 s[2:3], exec, s[2:3]
	s_cbranch_execz .LBB954_93
; %bb.92:
	s_mov_b32 s4, 0x40c0100
	v_perm_b32 v3, v5, v4, s4
	v_mov_b32_e32 v4, 8
	v_lshrrev_b32_sdwa v4, v4, v3 dst_sel:BYTE_1 dst_unused:UNUSED_PAD src0_sel:DWORD src1_sel:DWORD
	v_or_b32_sdwa v4, v3, v4 dst_sel:DWORD dst_unused:UNUSED_PAD src0_sel:BYTE_0 src1_sel:DWORD
	v_and_b32_e32 v4, 0xffff, v4
	s_mov_b32 s4, 0xff000000
	v_and_or_b32 v3, v3, s4, v4
	s_mov_b32 s4, 0x3060504
	v_and_b32_e32 v6, 0xff0000, v2
	v_perm_b32 v1, v1, v1, s4
	s_mov_b32 s4, 0x3020504
	v_perm_b32 v34, v2, v6, s4
                                        ; implicit-def: $vgpr4
                                        ; implicit-def: $vgpr5
                                        ; implicit-def: $vgpr2
.LBB954_93:
	s_andn2_saveexec_b64 s[4:5], s[2:3]
	s_cbranch_execz .LBB954_97
; %bb.94:
	v_add_u32_e32 v3, s37, v9
	v_add_u32_e32 v6, s39, v9
	v_mul_lo_u32 v3, v3, s36
	v_mul_lo_u32 v6, v6, s38
	s_mov_b64 s[8:9], 0
	v_sub_u32_e32 v3, v3, v6
	v_cmp_lt_u32_e32 vcc, s40, v3
	v_cmp_ge_u32_e64 s[2:3], s40, v3
	s_and_saveexec_b64 s[10:11], s[2:3]
	s_cbranch_execz .LBB954_96
; %bb.95:
	v_add_u32_e32 v3, s42, v9
	v_add_u32_e32 v6, s58, v9
	v_mul_lo_u32 v3, v3, s41
	v_mul_lo_u32 v6, v6, s43
	v_sub_u32_e32 v3, v3, v6
	v_cmp_lt_u32_e64 s[2:3], s59, v3
	s_and_b64 s[8:9], s[2:3], exec
.LBB954_96:
	s_or_b64 exec, exec, s[10:11]
	v_mov_b32_e32 v7, 8
	v_cndmask_b32_e64 v3, 0, 1, vcc
	v_lshrrev_b32_sdwa v8, v7, v4 dst_sel:BYTE_1 dst_unused:UNUSED_PAD src0_sel:DWORD src1_sel:DWORD
	v_lshlrev_b16_e32 v5, 8, v5
	v_or_b32_sdwa v4, v4, v8 dst_sel:DWORD dst_unused:UNUSED_PAD src0_sel:BYTE_0 src1_sel:DWORD
	v_or_b32_sdwa v3, v3, v5 dst_sel:WORD_1 dst_unused:UNUSED_PAD src0_sel:DWORD src1_sel:DWORD
	v_cndmask_b32_e64 v6, 0, 1, s[8:9]
	s_movk_i32 s2, 0xff
	v_or_b32_sdwa v3, v4, v3 dst_sel:DWORD dst_unused:UNUSED_PAD src0_sel:WORD_0 src1_sel:DWORD
	v_lshrrev_b32_sdwa v4, v7, v2 dst_sel:BYTE_1 dst_unused:UNUSED_PAD src0_sel:DWORD src1_sel:DWORD
	v_or_b32_sdwa v4, v2, v4 dst_sel:DWORD dst_unused:UNUSED_PAD src0_sel:BYTE_0 src1_sel:DWORD
	v_lshlrev_b16_e32 v5, 8, v6
	v_and_b32_sdwa v2, v2, s2 dst_sel:DWORD dst_unused:UNUSED_PAD src0_sel:WORD_1 src1_sel:DWORD
	v_or_b32_sdwa v2, v2, v5 dst_sel:WORD_1 dst_unused:UNUSED_PAD src0_sel:DWORD src1_sel:DWORD
	v_or_b32_sdwa v34, v4, v2 dst_sel:DWORD dst_unused:UNUSED_PAD src0_sel:WORD_0 src1_sel:DWORD
.LBB954_97:
	s_or_b64 exec, exec, s[4:5]
	v_add_u32_e32 v2, 11, v30
	v_mov_b32_e32 v35, 0
	v_cmp_le_u32_e32 vcc, s18, v2
                                        ; implicit-def: $vgpr36
	s_and_saveexec_b64 s[2:3], vcc
	s_xor_b64 s[2:3], exec, s[2:3]
; %bb.98:
	v_and_b32_e32 v2, 0xff0000, v3
	s_mov_b32 s4, 0x3020504
	v_perm_b32 v36, v3, v2, s4
	s_mov_b32 s4, 0x3060504
	v_perm_b32 v1, v1, v1, s4
                                        ; implicit-def: $vgpr3
; %bb.99:
	s_andn2_saveexec_b64 s[4:5], s[2:3]
	s_cbranch_execz .LBB954_103
; %bb.100:
	v_add_u32_e32 v2, s37, v10
	v_add_u32_e32 v4, s39, v10
	v_mul_lo_u32 v2, v2, s36
	v_mul_lo_u32 v4, v4, s38
	s_mov_b64 s[8:9], 0
	v_sub_u32_e32 v2, v2, v4
	v_cmp_lt_u32_e32 vcc, s40, v2
	v_cmp_ge_u32_e64 s[2:3], s40, v2
	s_and_saveexec_b64 s[10:11], s[2:3]
	s_cbranch_execz .LBB954_102
; %bb.101:
	v_add_u32_e32 v2, s42, v10
	v_add_u32_e32 v4, s58, v10
	v_mul_lo_u32 v2, v2, s41
	v_mul_lo_u32 v4, v4, s43
	v_sub_u32_e32 v2, v2, v4
	v_cmp_lt_u32_e64 s[2:3], s59, v2
	s_and_b64 s[8:9], s[2:3], exec
.LBB954_102:
	s_or_b64 exec, exec, s[10:11]
	v_mov_b32_e32 v4, 8
	v_cndmask_b32_e64 v2, 0, 1, vcc
	s_movk_i32 s2, 0xff
	v_lshrrev_b32_sdwa v4, v4, v3 dst_sel:BYTE_1 dst_unused:UNUSED_PAD src0_sel:DWORD src1_sel:DWORD
	v_or_b32_sdwa v4, v3, v4 dst_sel:DWORD dst_unused:UNUSED_PAD src0_sel:BYTE_0 src1_sel:DWORD
	v_lshlrev_b16_e32 v2, 8, v2
	v_and_b32_sdwa v3, v3, s2 dst_sel:DWORD dst_unused:UNUSED_PAD src0_sel:WORD_1 src1_sel:DWORD
	v_or_b32_sdwa v2, v3, v2 dst_sel:WORD_1 dst_unused:UNUSED_PAD src0_sel:DWORD src1_sel:DWORD
	v_cndmask_b32_e64 v35, 0, 1, s[8:9]
	v_or_b32_sdwa v36, v4, v2 dst_sel:DWORD dst_unused:UNUSED_PAD src0_sel:WORD_0 src1_sel:DWORD
.LBB954_103:
	s_or_b64 exec, exec, s[4:5]
	v_add_u32_e32 v2, 12, v30
	v_cmp_le_u32_e32 vcc, s18, v2
	v_lshrrev_b32_e32 v2, 24, v1
                                        ; implicit-def: $vgpr37
	s_and_saveexec_b64 s[2:3], vcc
	s_xor_b64 s[2:3], exec, s[2:3]
; %bb.104:
	s_movk_i32 s4, 0xff
	v_lshlrev_b16_e32 v2, 8, v2
	v_and_b32_sdwa v4, v1, s4 dst_sel:DWORD dst_unused:UNUSED_PAD src0_sel:WORD_1 src1_sel:DWORD
	v_mov_b32_e32 v3, 8
	v_or_b32_sdwa v37, v4, v2 dst_sel:WORD_1 dst_unused:UNUSED_PAD src0_sel:DWORD src1_sel:DWORD
	v_lshrrev_b32_sdwa v37, v3, v1 dst_sel:BYTE_1 dst_unused:UNUSED_PRESERVE src0_sel:DWORD src1_sel:DWORD
                                        ; implicit-def: $vgpr2
                                        ; implicit-def: $vgpr1
; %bb.105:
	s_or_saveexec_b64 s[4:5], s[2:3]
	v_mov_b32_e32 v38, 0
	s_xor_b64 exec, exec, s[4:5]
	s_cbranch_execz .LBB954_109
; %bb.106:
	v_add_u32_e32 v3, s37, v29
	v_add_u32_e32 v4, s39, v29
	v_mul_lo_u32 v3, v3, s36
	v_mul_lo_u32 v4, v4, s38
	s_mov_b64 s[8:9], 0
	v_sub_u32_e32 v3, v3, v4
	v_cmp_lt_u32_e32 vcc, s40, v3
	v_cmp_ge_u32_e64 s[2:3], s40, v3
	s_and_saveexec_b64 s[10:11], s[2:3]
	s_cbranch_execz .LBB954_108
; %bb.107:
	v_add_u32_e32 v3, s42, v29
	v_add_u32_e32 v4, s58, v29
	v_mul_lo_u32 v3, v3, s41
	v_mul_lo_u32 v4, v4, s43
	v_sub_u32_e32 v3, v3, v4
	v_cmp_lt_u32_e64 s[2:3], s59, v3
	s_and_b64 s[8:9], s[2:3], exec
.LBB954_108:
	s_or_b64 exec, exec, s[10:11]
	s_movk_i32 s2, 0xff
	v_lshlrev_b16_e32 v2, 8, v2
	v_and_b32_sdwa v4, v1, s2 dst_sel:DWORD dst_unused:UNUSED_PAD src0_sel:WORD_1 src1_sel:DWORD
	v_or_b32_sdwa v2, v4, v2 dst_sel:WORD_1 dst_unused:UNUSED_PAD src0_sel:DWORD src1_sel:DWORD
	v_mov_b32_e32 v4, 8
	v_cndmask_b32_e64 v3, 0, 1, vcc
	v_lshrrev_b32_sdwa v1, v4, v1 dst_sel:BYTE_1 dst_unused:UNUSED_PAD src0_sel:DWORD src1_sel:DWORD
	v_or_b32_e32 v1, v3, v1
	v_cndmask_b32_e64 v38, 0, 1, s[8:9]
	v_or_b32_sdwa v37, v1, v2 dst_sel:DWORD dst_unused:UNUSED_PAD src0_sel:WORD_0 src1_sel:DWORD
.LBB954_109:
	s_or_b64 exec, exec, s[4:5]
.LBB954_110:
	v_and_b32_e32 v48, 0xff, v31
	v_bfe_u32 v45, v31, 8, 8
	v_bfe_u32 v50, v31, 16, 8
	v_lshrrev_b32_e32 v43, 24, v31
	v_and_b32_e32 v51, 0xff, v33
	v_add3_u32 v4, v45, v48, v50
	v_bfe_u32 v46, v33, 8, 8
	v_bfe_u32 v53, v33, 16, 8
	v_add3_u32 v4, v4, v43, v51
	v_bfe_u32 v49, v37, 8, 8
	v_bfe_u32 v57, v37, 16, 8
	v_lshrrev_b32_e32 v44, 24, v37
	v_lshrrev_b32_e32 v41, 24, v33
	v_and_b32_e32 v54, 0xff, v36
	v_add3_u32 v4, v4, v46, v53
	v_and_b32_e32 v58, 0xff, v32
	v_bfe_u32 v52, v32, 8, 8
	v_bfe_u32 v47, v36, 8, 8
	;; [unrolled: 1-line block ×3, first 2 shown]
	v_add3_u32 v3, v57, v49, v44
	v_add3_u32 v4, v4, v41, v54
	v_bfe_u32 v59, v32, 16, 8
	v_lshrrev_b32_e32 v42, 24, v32
	v_lshrrev_b32_e32 v39, 24, v36
	v_and_b32_e32 v1, 0xff, v37
	v_add3_u32 v3, v3, v58, v52
	v_add3_u32 v4, v4, v47, v56
	v_and_b32_e32 v60, 0xff, v34
	v_bfe_u32 v55, v34, 8, 8
	v_add3_u32 v3, v3, v59, v42
	v_add3_u32 v68, v4, v39, v1
	v_mbcnt_lo_u32_b32 v1, -1, 0
	v_bfe_u32 v61, v34, 16, 8
	v_lshrrev_b32_e32 v40, 24, v34
	v_add3_u32 v3, v3, v60, v55
	v_mbcnt_hi_u32_b32 v63, -1, v1
	v_and_b32_e32 v62, 0xff, v35
	v_and_b32_e32 v2, 0xff, v38
	v_add3_u32 v3, v3, v61, v40
	v_and_b32_e32 v67, 15, v63
	s_cmp_lg_u32 s6, 0
	v_add3_u32 v69, v3, v62, v2
	v_cmp_eq_u32_e64 s[4:5], 0, v67
	v_cmp_lt_u32_e64 s[2:3], 1, v67
	v_cmp_lt_u32_e64 s[8:9], 3, v67
	;; [unrolled: 1-line block ×3, first 2 shown]
	v_and_b32_e32 v66, 16, v63
	v_cmp_lt_u32_e32 vcc, 31, v63
	v_lshrrev_b32_e32 v64, 6, v0
	v_or_b32_e32 v65, 63, v0
	s_cbranch_scc0 .LBB954_132
; %bb.111:
	v_mov_b32_dpp v1, v68 row_shr:1 row_mask:0xf bank_mask:0xf
	v_mov_b32_dpp v2, v69 row_shr:1 row_mask:0xf bank_mask:0xf
	v_add_u32_e32 v1, v1, v68
	v_add_u32_e32 v2, v2, v69
	v_cndmask_b32_e64 v2, v2, v69, s[4:5]
	v_cndmask_b32_e64 v1, v1, v68, s[4:5]
	s_nop 0
	v_mov_b32_dpp v4, v2 row_shr:2 row_mask:0xf bank_mask:0xf
	v_mov_b32_dpp v3, v1 row_shr:2 row_mask:0xf bank_mask:0xf
	v_add_u32_e32 v3, v1, v3
	v_add_u32_e32 v4, v2, v4
	v_cndmask_b32_e64 v2, v2, v4, s[2:3]
	v_cndmask_b32_e64 v1, v1, v3, s[2:3]
	s_nop 0
	v_mov_b32_dpp v4, v2 row_shr:4 row_mask:0xf bank_mask:0xf
	v_mov_b32_dpp v3, v1 row_shr:4 row_mask:0xf bank_mask:0xf
	v_add_u32_e32 v3, v1, v3
	v_add_u32_e32 v4, v2, v4
	v_cndmask_b32_e64 v2, v2, v4, s[8:9]
	v_cndmask_b32_e64 v1, v1, v3, s[8:9]
	v_cmp_eq_u32_e64 s[8:9], 0, v66
	v_mov_b32_dpp v4, v2 row_shr:8 row_mask:0xf bank_mask:0xf
	v_mov_b32_dpp v3, v1 row_shr:8 row_mask:0xf bank_mask:0xf
	v_add_u32_e32 v3, v1, v3
	v_add_u32_e32 v4, v2, v4
	v_cndmask_b32_e64 v2, v2, v4, s[10:11]
	v_cndmask_b32_e64 v3, v1, v3, s[10:11]
	s_nop 0
	v_mov_b32_dpp v4, v2 row_bcast:15 row_mask:0xf bank_mask:0xf
	v_mov_b32_dpp v1, v3 row_bcast:15 row_mask:0xf bank_mask:0xf
	v_add_u32_e32 v5, v3, v1
	v_add_u32_e32 v1, v2, v4
	v_cndmask_b32_e64 v1, v1, v2, s[8:9]
	v_cndmask_b32_e64 v2, v5, v3, s[8:9]
	v_cmp_eq_u32_e64 s[8:9], v0, v65
	v_mov_b32_dpp v3, v1 row_bcast:31 row_mask:0xf bank_mask:0xf
	v_mov_b32_dpp v4, v2 row_bcast:31 row_mask:0xf bank_mask:0xf
	v_add_u32_e32 v3, v1, v3
	v_add_u32_e32 v4, v2, v4
	s_and_saveexec_b64 s[10:11], s[8:9]
; %bb.112:
	v_lshlrev_b32_e32 v7, 3, v64
	v_cndmask_b32_e32 v6, v1, v3, vcc
	v_cndmask_b32_e32 v5, v2, v4, vcc
	ds_write_b64 v7, v[5:6]
; %bb.113:
	s_or_b64 exec, exec, s[10:11]
	v_cmp_gt_u32_e64 s[8:9], 4, v0
	s_waitcnt lgkmcnt(0)
	s_barrier
	s_and_saveexec_b64 s[10:11], s[8:9]
	s_cbranch_execz .LBB954_115
; %bb.114:
	v_lshlrev_b32_e32 v7, 3, v0
	ds_read_b64 v[5:6], v7
	v_and_b32_e32 v8, 3, v63
	v_cmp_eq_u32_e64 s[8:9], 0, v8
	s_waitcnt lgkmcnt(0)
	v_mov_b32_dpp v21, v5 row_shr:1 row_mask:0xf bank_mask:0xf
	v_mov_b32_dpp v22, v6 row_shr:1 row_mask:0xf bank_mask:0xf
	v_add_u32_e32 v21, v21, v5
	v_add_u32_e32 v22, v22, v6
	v_cndmask_b32_e64 v6, v22, v6, s[8:9]
	v_cndmask_b32_e64 v5, v21, v5, s[8:9]
	v_cmp_lt_u32_e64 s[8:9], 1, v8
	v_mov_b32_dpp v22, v6 row_shr:2 row_mask:0xf bank_mask:0xf
	v_mov_b32_dpp v21, v5 row_shr:2 row_mask:0xf bank_mask:0xf
	v_cndmask_b32_e64 v8, 0, v21, s[8:9]
	v_cndmask_b32_e64 v21, 0, v22, s[8:9]
	v_add_u32_e32 v6, v21, v6
	v_add_u32_e32 v5, v8, v5
	ds_write_b64 v7, v[5:6]
.LBB954_115:
	s_or_b64 exec, exec, s[10:11]
	v_cndmask_b32_e32 v1, v1, v3, vcc
	v_cndmask_b32_e32 v2, v2, v4, vcc
	v_cmp_gt_u32_e32 vcc, 64, v0
	v_cmp_lt_u32_e64 s[8:9], 63, v0
	s_waitcnt lgkmcnt(0)
	s_barrier
                                        ; implicit-def: $vgpr21
	s_and_saveexec_b64 s[10:11], s[8:9]
	s_cbranch_execz .LBB954_117
; %bb.116:
	v_lshl_add_u32 v3, v64, 3, -8
	ds_read_b64 v[21:22], v3
	s_waitcnt lgkmcnt(0)
	v_add_u32_e32 v1, v22, v1
	v_add_u32_e32 v2, v21, v2
.LBB954_117:
	s_or_b64 exec, exec, s[10:11]
	v_subrev_co_u32_e64 v3, s[8:9], 1, v63
	v_and_b32_e32 v4, 64, v63
	v_cmp_lt_i32_e64 s[10:11], v3, v4
	v_cndmask_b32_e64 v3, v3, v63, s[10:11]
	v_lshlrev_b32_e32 v3, 2, v3
	ds_bpermute_b32 v70, v3, v2
	ds_bpermute_b32 v71, v3, v1
	s_and_saveexec_b64 s[10:11], vcc
	s_cbranch_execz .LBB954_137
; %bb.118:
	v_mov_b32_e32 v4, 0
	ds_read_b64 v[1:2], v4 offset:24
	s_and_saveexec_b64 s[14:15], s[8:9]
	s_cbranch_execz .LBB954_120
; %bb.119:
	s_add_i32 s16, s6, 64
	s_mov_b32 s17, 0
	s_lshl_b64 s[16:17], s[16:17], 4
	s_add_u32 s16, s12, s16
	s_addc_u32 s17, s13, s17
	v_mov_b32_e32 v5, s16
	v_mov_b32_e32 v3, 1
	;; [unrolled: 1-line block ×3, first 2 shown]
	s_waitcnt lgkmcnt(0)
	;;#ASMSTART
	global_store_dwordx4 v[5:6], v[1:4] off	
s_waitcnt vmcnt(0)
	;;#ASMEND
.LBB954_120:
	s_or_b64 exec, exec, s[14:15]
	v_xad_u32 v23, v63, -1, s6
	v_add_u32_e32 v3, 64, v23
	v_lshlrev_b64 v[5:6], 4, v[3:4]
	v_mov_b32_e32 v3, s13
	v_add_co_u32_e32 v24, vcc, s12, v5
	v_addc_co_u32_e32 v25, vcc, v3, v6, vcc
	;;#ASMSTART
	global_load_dwordx4 v[5:8], v[24:25] off glc	
s_waitcnt vmcnt(0)
	;;#ASMEND
	v_cmp_eq_u16_sdwa s[16:17], v7, v4 src0_sel:BYTE_0 src1_sel:DWORD
	s_and_saveexec_b64 s[14:15], s[16:17]
	s_cbranch_execz .LBB954_124
; %bb.121:
	s_mov_b64 s[16:17], 0
	v_mov_b32_e32 v3, 0
.LBB954_122:                            ; =>This Inner Loop Header: Depth=1
	;;#ASMSTART
	global_load_dwordx4 v[5:8], v[24:25] off glc	
s_waitcnt vmcnt(0)
	;;#ASMEND
	v_cmp_ne_u16_sdwa s[20:21], v7, v3 src0_sel:BYTE_0 src1_sel:DWORD
	s_or_b64 s[16:17], s[20:21], s[16:17]
	s_andn2_b64 exec, exec, s[16:17]
	s_cbranch_execnz .LBB954_122
; %bb.123:
	s_or_b64 exec, exec, s[16:17]
.LBB954_124:
	s_or_b64 exec, exec, s[14:15]
	v_and_b32_e32 v73, 63, v63
	v_cmp_ne_u32_e32 vcc, 63, v73
	v_mov_b32_e32 v72, 2
	v_lshlrev_b64 v[25:26], v63, -1
	v_addc_co_u32_e32 v8, vcc, 0, v63, vcc
	v_cmp_eq_u16_sdwa s[14:15], v7, v72 src0_sel:BYTE_0 src1_sel:DWORD
	v_lshlrev_b32_e32 v74, 2, v8
	v_and_b32_e32 v3, s15, v26
	ds_bpermute_b32 v8, v74, v5
	ds_bpermute_b32 v24, v74, v6
	v_or_b32_e32 v3, 0x80000000, v3
	v_and_b32_e32 v4, s14, v25
	v_ffbl_b32_e32 v3, v3
	v_add_u32_e32 v3, 32, v3
	v_ffbl_b32_e32 v4, v4
	v_min_u32_e32 v3, v4, v3
	s_waitcnt lgkmcnt(1)
	v_add_u32_e32 v4, v8, v5
	s_waitcnt lgkmcnt(0)
	v_add_u32_e32 v8, v24, v6
	v_cmp_lt_u32_e32 vcc, v73, v3
	v_cndmask_b32_e32 v6, v6, v8, vcc
	v_cndmask_b32_e32 v4, v5, v4, vcc
	v_cmp_gt_u32_e32 vcc, 62, v73
	v_cndmask_b32_e64 v5, 0, 2, vcc
	v_add_lshl_u32 v75, v5, v63, 2
	ds_bpermute_b32 v5, v75, v4
	ds_bpermute_b32 v8, v75, v6
	v_add_u32_e32 v76, 2, v73
	v_cmp_gt_u32_e32 vcc, v76, v3
	v_add_u32_e32 v78, 4, v73
	s_waitcnt lgkmcnt(1)
	v_add_u32_e32 v5, v4, v5
	s_waitcnt lgkmcnt(0)
	v_add_u32_e32 v8, v6, v8
	v_cndmask_b32_e32 v6, v8, v6, vcc
	v_cndmask_b32_e32 v4, v5, v4, vcc
	v_cmp_gt_u32_e32 vcc, 60, v73
	v_cndmask_b32_e64 v5, 0, 4, vcc
	v_add_lshl_u32 v77, v5, v63, 2
	ds_bpermute_b32 v5, v77, v4
	ds_bpermute_b32 v8, v77, v6
	v_cmp_gt_u32_e32 vcc, v78, v3
	v_add_u32_e32 v80, 8, v73
	v_add_u32_e32 v82, 16, v73
	s_waitcnt lgkmcnt(1)
	v_add_u32_e32 v5, v4, v5
	s_waitcnt lgkmcnt(0)
	v_add_u32_e32 v8, v6, v8
	v_cndmask_b32_e32 v6, v8, v6, vcc
	v_cndmask_b32_e32 v4, v5, v4, vcc
	v_cmp_gt_u32_e32 vcc, 56, v73
	v_cndmask_b32_e64 v5, 0, 8, vcc
	v_add_lshl_u32 v79, v5, v63, 2
	ds_bpermute_b32 v5, v79, v4
	ds_bpermute_b32 v8, v79, v6
	v_cmp_gt_u32_e32 vcc, v80, v3
	v_add_u32_e32 v84, 32, v73
	v_mov_b32_e32 v24, 0
	s_waitcnt lgkmcnt(1)
	v_add_u32_e32 v5, v4, v5
	s_waitcnt lgkmcnt(0)
	v_add_u32_e32 v8, v6, v8
	v_cndmask_b32_e32 v6, v8, v6, vcc
	v_cndmask_b32_e32 v4, v5, v4, vcc
	v_cmp_gt_u32_e32 vcc, 48, v73
	v_cndmask_b32_e64 v5, 0, 16, vcc
	v_add_lshl_u32 v81, v5, v63, 2
	ds_bpermute_b32 v5, v81, v4
	ds_bpermute_b32 v8, v81, v6
	v_cmp_gt_u32_e32 vcc, v82, v3
	s_waitcnt lgkmcnt(1)
	v_add_u32_e32 v5, v4, v5
	s_waitcnt lgkmcnt(0)
	v_add_u32_e32 v8, v6, v8
	v_cndmask_b32_e32 v4, v5, v4, vcc
	v_mov_b32_e32 v5, 0x80
	v_cndmask_b32_e32 v6, v8, v6, vcc
	v_lshl_or_b32 v83, v63, 2, v5
	ds_bpermute_b32 v5, v83, v4
	ds_bpermute_b32 v8, v83, v6
	v_cmp_le_u32_e32 vcc, v84, v3
	s_waitcnt lgkmcnt(1)
	v_cndmask_b32_e32 v3, 0, v5, vcc
	s_waitcnt lgkmcnt(0)
	v_cndmask_b32_e32 v5, 0, v8, vcc
	v_add_u32_e32 v6, v6, v5
	v_add_u32_e32 v5, v4, v3
	s_branch .LBB954_128
.LBB954_125:                            ;   in Loop: Header=BB954_128 Depth=1
	s_or_b64 exec, exec, s[16:17]
.LBB954_126:                            ;   in Loop: Header=BB954_128 Depth=1
	s_or_b64 exec, exec, s[14:15]
	v_cmp_eq_u16_sdwa s[14:15], v7, v72 src0_sel:BYTE_0 src1_sel:DWORD
	v_and_b32_e32 v8, s15, v26
	ds_bpermute_b32 v28, v74, v5
	ds_bpermute_b32 v85, v74, v6
	v_or_b32_e32 v8, 0x80000000, v8
	v_and_b32_e32 v27, s14, v25
	v_ffbl_b32_e32 v8, v8
	v_add_u32_e32 v8, 32, v8
	v_ffbl_b32_e32 v27, v27
	v_min_u32_e32 v8, v27, v8
	s_waitcnt lgkmcnt(1)
	v_add_u32_e32 v27, v28, v5
	s_waitcnt lgkmcnt(0)
	v_add_u32_e32 v28, v85, v6
	v_cmp_lt_u32_e32 vcc, v73, v8
	v_cndmask_b32_e32 v6, v6, v28, vcc
	v_cndmask_b32_e32 v5, v5, v27, vcc
	ds_bpermute_b32 v27, v75, v5
	ds_bpermute_b32 v28, v75, v6
	v_cmp_gt_u32_e32 vcc, v76, v8
	v_subrev_u32_e32 v23, 64, v23
	s_mov_b64 s[14:15], 0
	s_waitcnt lgkmcnt(1)
	v_add_u32_e32 v27, v5, v27
	s_waitcnt lgkmcnt(0)
	v_add_u32_e32 v28, v6, v28
	v_cndmask_b32_e32 v6, v28, v6, vcc
	v_cndmask_b32_e32 v5, v27, v5, vcc
	ds_bpermute_b32 v27, v77, v5
	ds_bpermute_b32 v28, v77, v6
	v_cmp_gt_u32_e32 vcc, v78, v8
	s_waitcnt lgkmcnt(1)
	v_add_u32_e32 v27, v5, v27
	s_waitcnt lgkmcnt(0)
	v_add_u32_e32 v28, v6, v28
	v_cndmask_b32_e32 v6, v28, v6, vcc
	v_cndmask_b32_e32 v5, v27, v5, vcc
	ds_bpermute_b32 v27, v79, v5
	ds_bpermute_b32 v28, v79, v6
	v_cmp_gt_u32_e32 vcc, v80, v8
	;; [unrolled: 9-line block ×3, first 2 shown]
	s_waitcnt lgkmcnt(1)
	v_add_u32_e32 v27, v5, v27
	s_waitcnt lgkmcnt(0)
	v_add_u32_e32 v28, v6, v28
	v_cndmask_b32_e32 v6, v28, v6, vcc
	v_cndmask_b32_e32 v5, v27, v5, vcc
	ds_bpermute_b32 v27, v83, v5
	ds_bpermute_b32 v28, v83, v6
	v_cmp_le_u32_e32 vcc, v84, v8
	s_waitcnt lgkmcnt(1)
	v_cndmask_b32_e32 v8, 0, v27, vcc
	s_waitcnt lgkmcnt(0)
	v_cndmask_b32_e32 v27, 0, v28, vcc
	v_add3_u32 v6, v27, v4, v6
	v_add3_u32 v5, v8, v3, v5
.LBB954_127:                            ;   in Loop: Header=BB954_128 Depth=1
	s_and_b64 vcc, exec, s[14:15]
	s_cbranch_vccnz .LBB954_133
.LBB954_128:                            ; =>This Loop Header: Depth=1
                                        ;     Child Loop BB954_131 Depth 2
	v_mov_b32_e32 v3, v5
	v_cmp_ne_u16_sdwa s[14:15], v7, v72 src0_sel:BYTE_0 src1_sel:DWORD
	v_mov_b32_e32 v4, v6
	s_cmp_lg_u64 s[14:15], exec
	s_mov_b64 s[14:15], -1
                                        ; implicit-def: $vgpr7
                                        ; implicit-def: $vgpr5_vgpr6
	s_cbranch_scc1 .LBB954_127
; %bb.129:                              ;   in Loop: Header=BB954_128 Depth=1
	v_lshlrev_b64 v[5:6], 4, v[23:24]
	v_mov_b32_e32 v7, s13
	v_add_co_u32_e32 v27, vcc, s12, v5
	v_addc_co_u32_e32 v28, vcc, v7, v6, vcc
	;;#ASMSTART
	global_load_dwordx4 v[5:8], v[27:28] off glc	
s_waitcnt vmcnt(0)
	;;#ASMEND
	v_cmp_eq_u16_sdwa s[16:17], v7, v24 src0_sel:BYTE_0 src1_sel:DWORD
	s_and_saveexec_b64 s[14:15], s[16:17]
	s_cbranch_execz .LBB954_126
; %bb.130:                              ;   in Loop: Header=BB954_128 Depth=1
	s_mov_b64 s[16:17], 0
.LBB954_131:                            ;   Parent Loop BB954_128 Depth=1
                                        ; =>  This Inner Loop Header: Depth=2
	;;#ASMSTART
	global_load_dwordx4 v[5:8], v[27:28] off glc	
s_waitcnt vmcnt(0)
	;;#ASMEND
	v_cmp_ne_u16_sdwa s[20:21], v7, v24 src0_sel:BYTE_0 src1_sel:DWORD
	s_or_b64 s[16:17], s[20:21], s[16:17]
	s_andn2_b64 exec, exec, s[16:17]
	s_cbranch_execnz .LBB954_131
	s_branch .LBB954_125
.LBB954_132:
                                        ; implicit-def: $vgpr22
                                        ; implicit-def: $vgpr3
                                        ; implicit-def: $vgpr23
	s_cbranch_execnz .LBB954_138
	s_branch .LBB954_147
.LBB954_133:
	s_and_saveexec_b64 s[14:15], s[8:9]
	s_cbranch_execnz .LBB954_375
; %bb.134:
	s_or_b64 exec, exec, s[14:15]
	s_and_saveexec_b64 s[6:7], s[8:9]
	s_cbranch_execnz .LBB954_376
.LBB954_135:
	s_or_b64 exec, exec, s[6:7]
	v_cmp_eq_u32_e32 vcc, 0, v0
	s_and_b64 exec, exec, vcc
.LBB954_136:
	v_mov_b32_e32 v1, 0
	ds_write_b64 v1, v[3:4] offset:24
.LBB954_137:
	s_or_b64 exec, exec, s[10:11]
	v_mov_b32_e32 v1, 0
	s_waitcnt lgkmcnt(0)
	s_barrier
	ds_read_b64 v[5:6], v1 offset:24
	v_cndmask_b32_e64 v2, v71, v22, s[8:9]
	v_cndmask_b32_e64 v3, v70, v21, s[8:9]
	s_waitcnt lgkmcnt(0)
	s_barrier
	v_add_u32_e32 v7, v5, v3
	v_add_u32_e32 v8, v6, v2
	ds_read_b128 v[1:4], v1 offset:13312
	v_cmp_eq_u32_e32 vcc, 0, v0
	v_cndmask_b32_e32 v22, v8, v6, vcc
	v_cndmask_b32_e32 v23, v7, v5, vcc
	s_branch .LBB954_147
.LBB954_138:
	s_waitcnt lgkmcnt(0)
	v_mov_b32_dpp v1, v68 row_shr:1 row_mask:0xf bank_mask:0xf
	v_mov_b32_dpp v2, v69 row_shr:1 row_mask:0xf bank_mask:0xf
	v_add_u32_e32 v1, v1, v68
	v_add_u32_e32 v2, v2, v69
	v_cndmask_b32_e64 v2, v2, v69, s[4:5]
	v_cndmask_b32_e64 v1, v1, v68, s[4:5]
	v_cmp_lt_u32_e32 vcc, 3, v67
	v_mov_b32_dpp v4, v2 row_shr:2 row_mask:0xf bank_mask:0xf
	v_mov_b32_dpp v3, v1 row_shr:2 row_mask:0xf bank_mask:0xf
	v_add_u32_e32 v3, v1, v3
	v_add_u32_e32 v4, v2, v4
	v_cndmask_b32_e64 v2, v2, v4, s[2:3]
	v_cndmask_b32_e64 v1, v1, v3, s[2:3]
	v_cmp_eq_u32_e64 s[2:3], v0, v65
	v_mov_b32_dpp v4, v2 row_shr:4 row_mask:0xf bank_mask:0xf
	v_mov_b32_dpp v3, v1 row_shr:4 row_mask:0xf bank_mask:0xf
	v_add_u32_e32 v3, v1, v3
	v_add_u32_e32 v4, v2, v4
	v_cndmask_b32_e32 v2, v2, v4, vcc
	v_cndmask_b32_e32 v1, v1, v3, vcc
	v_cmp_lt_u32_e32 vcc, 7, v67
	v_mov_b32_dpp v4, v2 row_shr:8 row_mask:0xf bank_mask:0xf
	v_mov_b32_dpp v3, v1 row_shr:8 row_mask:0xf bank_mask:0xf
	v_add_u32_e32 v3, v1, v3
	v_add_u32_e32 v4, v2, v4
	v_cndmask_b32_e32 v2, v2, v4, vcc
	v_cndmask_b32_e32 v3, v1, v3, vcc
	v_cmp_eq_u32_e32 vcc, 0, v66
	v_mov_b32_dpp v4, v2 row_bcast:15 row_mask:0xf bank_mask:0xf
	v_mov_b32_dpp v1, v3 row_bcast:15 row_mask:0xf bank_mask:0xf
	v_add_u32_e32 v5, v3, v1
	v_add_u32_e32 v1, v2, v4
	v_cndmask_b32_e32 v1, v1, v2, vcc
	v_cndmask_b32_e32 v2, v5, v3, vcc
	v_cmp_lt_u32_e32 vcc, 31, v63
	v_mov_b32_dpp v3, v1 row_bcast:31 row_mask:0xf bank_mask:0xf
	v_mov_b32_dpp v4, v2 row_bcast:31 row_mask:0xf bank_mask:0xf
	v_add_u32_e32 v3, v1, v3
	v_add_u32_e32 v4, v2, v4
	s_and_saveexec_b64 s[4:5], s[2:3]
; %bb.139:
	v_cndmask_b32_e32 v5, v2, v4, vcc
	v_cndmask_b32_e32 v6, v1, v3, vcc
	v_lshlrev_b32_e32 v7, 3, v64
	ds_write_b64 v7, v[5:6]
; %bb.140:
	s_or_b64 exec, exec, s[4:5]
	v_cmp_gt_u32_e64 s[2:3], 4, v0
	s_waitcnt lgkmcnt(0)
	s_barrier
	s_and_saveexec_b64 s[4:5], s[2:3]
	s_cbranch_execz .LBB954_142
; %bb.141:
	v_lshlrev_b32_e32 v7, 3, v0
	ds_read_b64 v[5:6], v7
	v_and_b32_e32 v8, 3, v63
	v_cmp_eq_u32_e64 s[2:3], 0, v8
	s_waitcnt lgkmcnt(0)
	v_mov_b32_dpp v21, v5 row_shr:1 row_mask:0xf bank_mask:0xf
	v_mov_b32_dpp v22, v6 row_shr:1 row_mask:0xf bank_mask:0xf
	v_add_u32_e32 v21, v21, v5
	v_add_u32_e32 v22, v22, v6
	v_cndmask_b32_e64 v6, v22, v6, s[2:3]
	v_cndmask_b32_e64 v5, v21, v5, s[2:3]
	v_cmp_lt_u32_e64 s[2:3], 1, v8
	v_mov_b32_dpp v22, v6 row_shr:2 row_mask:0xf bank_mask:0xf
	v_mov_b32_dpp v21, v5 row_shr:2 row_mask:0xf bank_mask:0xf
	v_cndmask_b32_e64 v8, 0, v21, s[2:3]
	v_cndmask_b32_e64 v21, 0, v22, s[2:3]
	v_add_u32_e32 v6, v21, v6
	v_add_u32_e32 v5, v8, v5
	ds_write_b64 v7, v[5:6]
.LBB954_142:
	s_or_b64 exec, exec, s[4:5]
	v_cmp_lt_u32_e64 s[2:3], 63, v0
	v_mov_b32_e32 v7, 0
	v_mov_b32_e32 v5, 0
	;; [unrolled: 1-line block ×3, first 2 shown]
	s_waitcnt lgkmcnt(0)
	s_barrier
	s_and_saveexec_b64 s[4:5], s[2:3]
; %bb.143:
	v_lshl_add_u32 v5, v64, 3, -8
	ds_read_b64 v[5:6], v5
; %bb.144:
	s_or_b64 exec, exec, s[4:5]
	v_cndmask_b32_e32 v2, v2, v4, vcc
	v_cndmask_b32_e32 v1, v1, v3, vcc
	v_subrev_co_u32_e32 v3, vcc, 1, v63
	v_and_b32_e32 v4, 64, v63
	v_cmp_lt_i32_e64 s[2:3], v3, v4
	v_cndmask_b32_e64 v3, v3, v63, s[2:3]
	s_waitcnt lgkmcnt(0)
	v_add_u32_e32 v1, v6, v1
	v_add_u32_e32 v2, v5, v2
	v_lshlrev_b32_e32 v3, 2, v3
	ds_bpermute_b32 v8, v3, v2
	ds_bpermute_b32 v21, v3, v1
	ds_read_b64 v[1:2], v7 offset:24
	v_cmp_eq_u32_e64 s[2:3], 0, v0
	s_and_saveexec_b64 s[4:5], s[2:3]
	s_cbranch_execz .LBB954_146
; %bb.145:
	s_add_u32 s6, s12, 0x400
	s_addc_u32 s7, s13, 0
	v_mov_b32_e32 v23, s7
	v_mov_b32_e32 v3, 2
	;; [unrolled: 1-line block ×4, first 2 shown]
	s_waitcnt lgkmcnt(0)
	;;#ASMSTART
	global_store_dwordx4 v[22:23], v[1:4] off	
s_waitcnt vmcnt(0)
	;;#ASMEND
.LBB954_146:
	s_or_b64 exec, exec, s[4:5]
	s_waitcnt lgkmcnt(2)
	v_cndmask_b32_e32 v3, v8, v5, vcc
	s_waitcnt lgkmcnt(1)
	v_cndmask_b32_e32 v4, v21, v6, vcc
	v_cndmask_b32_e64 v22, v4, 0, s[2:3]
	v_cndmask_b32_e64 v23, v3, 0, s[2:3]
	v_mov_b32_e32 v4, 0
	v_mov_b32_e32 v3, 0
	s_waitcnt lgkmcnt(0)
	s_barrier
.LBB954_147:
	v_mov_b32_e32 v6, s49
	s_waitcnt lgkmcnt(0)
	v_add_co_u32_e32 v5, vcc, s48, v3
	v_addc_co_u32_e32 v6, vcc, 0, v6, vcc
	v_mov_b32_e32 v27, s51
	v_sub_co_u32_e32 v28, vcc, s50, v1
	v_subbrev_co_u32_e32 v69, vcc, 0, v27, vcc
	v_add_co_u32_e32 v27, vcc, v28, v4
	v_add_u32_e32 v49, v22, v49
	v_addc_co_u32_e32 v28, vcc, 0, v69, vcc
	v_lshlrev_b32_e32 v69, 1, v1
	v_sub_u32_e32 v22, v22, v4
	v_lshrrev_b32_e32 v26, 8, v37
	v_add_u32_e32 v48, v23, v48
	v_add_u32_e32 v70, v69, v2
	v_sub_u32_e32 v23, v23, v3
	v_add_u32_e32 v22, v22, v1
	v_add_u32_e32 v30, v70, v30
	v_and_b32_e32 v26, 1, v26
	v_add_u32_e32 v71, v23, v22
	v_and_b32_e32 v70, 1, v31
	v_sub_u32_e32 v71, v30, v71
	v_cmp_eq_u32_e32 vcc, 1, v26
	v_cndmask_b32_e32 v22, v71, v22, vcc
	v_cmp_eq_u32_e32 vcc, 1, v70
	v_cndmask_b32_e32 v22, v22, v23, vcc
	v_lshlrev_b32_e32 v22, 2, v22
	v_sub_u32_e32 v23, v49, v4
	v_lshrrev_b32_e32 v25, 8, v31
	ds_write_b32 v22, v19
	v_sub_u32_e32 v19, v48, v3
	v_add_u32_e32 v23, v23, v1
	v_add_u32_e32 v45, v48, v45
	v_and_b32_e32 v22, 1, v25
	v_mov_b32_e32 v25, 1
	v_add_u32_e32 v48, v23, v19
	v_and_b32_sdwa v26, v25, v37 dst_sel:DWORD dst_unused:UNUSED_PAD src0_sel:DWORD src1_sel:WORD_1
	v_sub_u32_e32 v48, v30, v48
	v_add_u32_e32 v48, 1, v48
	v_cmp_eq_u32_e32 vcc, 1, v26
	v_cndmask_b32_e32 v23, v48, v23, vcc
	v_cmp_eq_u32_e32 vcc, 1, v22
	v_add_u32_e32 v57, v49, v57
	v_cndmask_b32_e32 v19, v23, v19, vcc
	v_lshlrev_b32_e32 v19, 2, v19
	v_sub_u32_e32 v22, v57, v4
	ds_write_b32 v19, v20
	v_sub_u32_e32 v19, v45, v3
	v_add_u32_e32 v22, v22, v1
	v_add_u32_e32 v26, v22, v19
	v_and_b32_e32 v23, 1, v44
	v_sub_u32_e32 v26, v30, v26
	v_and_b32_sdwa v20, v25, v31 dst_sel:DWORD dst_unused:UNUSED_PAD src0_sel:DWORD src1_sel:WORD_1
	v_add_u32_e32 v26, 2, v26
	v_cmp_eq_u32_e32 vcc, 1, v23
	v_cndmask_b32_e32 v22, v26, v22, vcc
	v_cmp_eq_u32_e32 vcc, 1, v20
	v_add_u32_e32 v63, v57, v44
	v_cndmask_b32_e32 v19, v22, v19, vcc
	v_add_u32_e32 v50, v45, v50
	v_lshlrev_b32_e32 v19, 2, v19
	v_sub_u32_e32 v20, v63, v4
	ds_write_b32 v19, v17
	v_sub_u32_e32 v17, v50, v3
	v_add_u32_e32 v20, v20, v1
	v_add_u32_e32 v23, v17, v20
	v_and_b32_e32 v22, 1, v32
	v_sub_u32_e32 v23, v30, v23
	v_and_b32_e32 v19, 1, v43
	v_add_u32_e32 v23, 3, v23
	v_cmp_eq_u32_e32 vcc, 1, v22
	v_cndmask_b32_e32 v20, v23, v20, vcc
	v_cmp_eq_u32_e32 vcc, 1, v19
	v_add_u32_e32 v58, v63, v58
	v_cndmask_b32_e32 v17, v20, v17, vcc
	v_add_u32_e32 v64, v50, v43
	v_lshlrev_b32_e32 v17, 2, v17
	v_sub_u32_e32 v19, v58, v4
	ds_write_b32 v17, v18
	v_sub_u32_e32 v17, v64, v3
	v_add_u32_e32 v19, v19, v1
	v_lshrrev_b32_e32 v24, 8, v32
	v_add_u32_e32 v22, v17, v19
	v_and_b32_e32 v20, 1, v24
	v_sub_u32_e32 v22, v30, v22
	v_and_b32_e32 v18, 1, v33
	v_add_u32_e32 v22, 4, v22
	v_cmp_eq_u32_e32 vcc, 1, v20
	v_cndmask_b32_e32 v19, v22, v19, vcc
	v_cmp_eq_u32_e32 vcc, 1, v18
	v_add_u32_e32 v52, v58, v52
	v_cndmask_b32_e32 v17, v19, v17, vcc
	v_add_u32_e32 v51, v64, v51
	v_lshlrev_b32_e32 v17, 2, v17
	v_sub_u32_e32 v18, v52, v4
	ds_write_b32 v17, v15
	v_sub_u32_e32 v15, v51, v3
	v_add_u32_e32 v18, v18, v1
	v_add_u32_e32 v20, v15, v18
	v_lshrrev_b32_e32 v21, 8, v33
	v_and_b32_sdwa v19, v25, v32 dst_sel:DWORD dst_unused:UNUSED_PAD src0_sel:DWORD src1_sel:WORD_1
	v_sub_u32_e32 v20, v30, v20
	v_and_b32_e32 v17, 1, v21
	v_add_u32_e32 v20, 5, v20
	v_cmp_eq_u32_e32 vcc, 1, v19
	v_cndmask_b32_e32 v18, v20, v18, vcc
	v_cmp_eq_u32_e32 vcc, 1, v17
	v_add_u32_e32 v59, v52, v59
	v_cndmask_b32_e32 v15, v18, v15, vcc
	v_add_u32_e32 v46, v51, v46
	v_lshlrev_b32_e32 v15, 2, v15
	v_sub_u32_e32 v17, v59, v4
	ds_write_b32 v15, v16
	v_sub_u32_e32 v15, v46, v3
	v_add_u32_e32 v17, v17, v1
	v_add_u32_e32 v19, v15, v17
	v_and_b32_e32 v18, 1, v42
	v_sub_u32_e32 v19, v30, v19
	v_and_b32_sdwa v16, v25, v33 dst_sel:DWORD dst_unused:UNUSED_PAD src0_sel:DWORD src1_sel:WORD_1
	v_add_u32_e32 v19, 6, v19
	v_cmp_eq_u32_e32 vcc, 1, v18
	v_cndmask_b32_e32 v17, v19, v17, vcc
	v_cmp_eq_u32_e32 vcc, 1, v16
	v_add_u32_e32 v65, v59, v42
	v_cndmask_b32_e32 v15, v17, v15, vcc
	v_add_u32_e32 v53, v46, v53
	v_lshlrev_b32_e32 v15, 2, v15
	v_sub_u32_e32 v16, v65, v4
	ds_write_b32 v15, v13
	v_sub_u32_e32 v13, v53, v3
	v_add_u32_e32 v16, v16, v1
	v_add_u32_e32 v18, v13, v16
	v_and_b32_e32 v17, 1, v34
	v_sub_u32_e32 v18, v30, v18
	v_and_b32_e32 v15, 1, v41
	v_add_u32_e32 v18, 7, v18
	v_cmp_eq_u32_e32 vcc, 1, v17
	v_cndmask_b32_e32 v16, v18, v16, vcc
	v_cmp_eq_u32_e32 vcc, 1, v15
	v_add_u32_e32 v60, v65, v60
	v_cndmask_b32_e32 v13, v16, v13, vcc
	v_add_u32_e32 v66, v53, v41
	v_lshlrev_b32_e32 v13, 2, v13
	v_sub_u32_e32 v15, v60, v4
	ds_write_b32 v13, v14
	v_sub_u32_e32 v13, v66, v3
	v_add_u32_e32 v15, v15, v1
	v_lshrrev_b32_e32 v8, 8, v34
	v_add_u32_e32 v16, v13, v15
	v_and_b32_e32 v8, 1, v8
	v_sub_u32_e32 v16, v30, v16
	v_and_b32_e32 v14, 1, v36
	v_add_u32_e32 v16, 8, v16
	v_cmp_eq_u32_e32 vcc, 1, v8
	v_cndmask_b32_e32 v8, v16, v15, vcc
	v_cmp_eq_u32_e32 vcc, 1, v14
	v_cndmask_b32_e32 v8, v8, v13, vcc
	v_add_u32_e32 v55, v60, v55
	v_lshlrev_b32_e32 v8, 2, v8
	v_add_u32_e32 v54, v66, v54
	ds_write_b32 v8, v11
	v_sub_u32_e32 v11, v55, v4
	v_sub_u32_e32 v8, v54, v3
	v_add_u32_e32 v11, v11, v1
	v_add_u32_e32 v14, v8, v11
	v_lshrrev_b32_e32 v7, 8, v36
	v_and_b32_sdwa v13, v25, v34 dst_sel:DWORD dst_unused:UNUSED_PAD src0_sel:DWORD src1_sel:WORD_1
	v_sub_u32_e32 v14, v30, v14
	v_and_b32_e32 v7, 1, v7
	v_add_u32_e32 v14, 9, v14
	v_cmp_eq_u32_e32 vcc, 1, v13
	v_cndmask_b32_e32 v11, v14, v11, vcc
	v_cmp_eq_u32_e32 vcc, 1, v7
	v_add_u32_e32 v61, v55, v61
	v_cndmask_b32_e32 v7, v11, v8, vcc
	v_add_u32_e32 v47, v54, v47
	v_lshlrev_b32_e32 v7, 2, v7
	v_sub_u32_e32 v11, v61, v4
	ds_write_b32 v7, v12
	v_sub_u32_e32 v7, v47, v3
	v_add_u32_e32 v11, v11, v1
	v_add_u32_e32 v13, v7, v11
	v_and_b32_e32 v12, 1, v40
	v_sub_u32_e32 v13, v30, v13
	v_and_b32_sdwa v8, v25, v36 dst_sel:DWORD dst_unused:UNUSED_PAD src0_sel:DWORD src1_sel:WORD_1
	v_add_u32_e32 v13, 10, v13
	v_cmp_eq_u32_e32 vcc, 1, v12
	v_cndmask_b32_e32 v11, v13, v11, vcc
	v_cmp_eq_u32_e32 vcc, 1, v8
	v_cndmask_b32_e32 v7, v11, v7, vcc
	v_add_u32_e32 v67, v61, v40
	v_lshlrev_b32_e32 v7, 2, v7
	v_add_u32_e32 v56, v47, v56
	ds_write_b32 v7, v9
	v_sub_u32_e32 v9, v67, v4
	v_sub_u32_e32 v7, v56, v3
	v_add_u32_e32 v9, v9, v1
	v_add_u32_e32 v12, v7, v9
	v_and_b32_e32 v11, 1, v35
	v_sub_u32_e32 v12, v30, v12
	v_and_b32_e32 v8, 1, v39
	v_add_u32_e32 v12, 11, v12
	v_cmp_eq_u32_e32 vcc, 1, v11
	v_add_u32_e32 v62, v67, v62
	v_cndmask_b32_e32 v9, v12, v9, vcc
	v_cmp_eq_u32_e32 vcc, 1, v8
	v_add_u32_e32 v68, v56, v39
	v_cndmask_b32_e32 v7, v9, v7, vcc
	v_sub_u32_e32 v8, v62, v4
	v_lshlrev_b32_e32 v7, 2, v7
	v_sub_u32_e32 v3, v68, v3
	v_add_u32_e32 v8, v8, v1
	ds_write_b32 v7, v10
	v_add_u32_e32 v10, v3, v8
	v_and_b32_e32 v9, 1, v38
	v_sub_u32_e32 v10, v30, v10
	v_and_b32_e32 v7, 1, v37
	v_add_u32_e32 v10, 12, v10
	v_cmp_eq_u32_e32 vcc, 1, v9
	v_cndmask_b32_e32 v8, v10, v8, vcc
	v_cmp_eq_u32_e32 vcc, 1, v7
	v_cndmask_b32_e32 v3, v8, v3, vcc
	v_lshlrev_b32_e32 v3, 2, v3
	ds_write_b32 v3, v29
	v_add_co_u32_e32 v3, vcc, v2, v69
	v_addc_co_u32_e64 v7, s[2:3], 0, 0, vcc
	v_add_co_u32_e32 v3, vcc, v3, v27
	v_addc_co_u32_e32 v7, vcc, v7, v28, vcc
	s_add_u32 s4, s56, s33
	v_add_co_u32_e32 v3, vcc, v3, v5
	s_addc_u32 s5, s57, 0
	v_addc_co_u32_e32 v7, vcc, v7, v6, vcc
	v_mov_b32_e32 v8, s5
	v_sub_co_u32_e32 v3, vcc, s4, v3
	v_subb_co_u32_e32 v11, vcc, v8, v7, vcc
	v_lshlrev_b64 v[7:8], 2, v[27:28]
	v_mov_b32_e32 v9, s55
	v_add_co_u32_e32 v7, vcc, s54, v7
	v_addc_co_u32_e32 v8, vcc, v9, v8, vcc
	v_lshlrev_b64 v[9:10], 2, v[5:6]
	v_mov_b32_e32 v13, s53
	v_add_co_u32_e32 v9, vcc, s52, v9
	v_addc_co_u32_e32 v10, vcc, v13, v10, vcc
	v_add_u32_e32 v12, v1, v2
	s_and_b64 vcc, exec, s[0:1]
	s_mov_b64 s[0:1], -1
	s_waitcnt lgkmcnt(0)
	s_barrier
	s_cbranch_vccz .LBB954_151
; %bb.148:
	s_and_b64 vcc, exec, s[0:1]
	s_cbranch_vccnz .LBB954_256
.LBB954_149:
	v_cmp_eq_u32_e32 vcc, 0, v0
	s_and_b64 s[0:1], vcc, s[34:35]
	s_and_saveexec_b64 s[2:3], s[0:1]
	s_cbranch_execnz .LBB954_374
.LBB954_150:
	s_endpgm
.LBB954_151:
	v_cmp_ge_u32_e32 vcc, v0, v1
	s_and_saveexec_b64 s[0:1], vcc
	s_xor_b64 s[0:1], exec, s[0:1]
	s_cbranch_execz .LBB954_157
; %bb.152:
	v_cmp_ge_u32_e32 vcc, v0, v12
	s_and_saveexec_b64 s[2:3], vcc
	s_xor_b64 s[2:3], exec, s[2:3]
	s_cbranch_execz .LBB954_154
; %bb.153:
	v_add_co_u32_e32 v13, vcc, v3, v0
	v_lshlrev_b32_e32 v15, 2, v0
	v_addc_co_u32_e32 v14, vcc, 0, v11, vcc
	ds_read_b32 v15, v15
	v_lshlrev_b64 v[13:14], 2, v[13:14]
	v_mov_b32_e32 v16, s47
	v_sub_co_u32_e32 v13, vcc, s46, v13
	v_subb_co_u32_e32 v14, vcc, v16, v14, vcc
	s_waitcnt lgkmcnt(0)
	global_store_dword v[13:14], v15, off offset:-4
.LBB954_154:
	s_andn2_saveexec_b64 s[2:3], s[2:3]
	s_cbranch_execz .LBB954_156
; %bb.155:
	v_lshlrev_b32_e32 v13, 2, v0
	ds_read_b32 v14, v13
	v_readfirstlane_b32 s4, v7
	v_readfirstlane_b32 s5, v8
	s_waitcnt lgkmcnt(0)
	s_nop 3
	global_store_dword v13, v14, s[4:5]
.LBB954_156:
	s_or_b64 exec, exec, s[2:3]
.LBB954_157:
	s_andn2_saveexec_b64 s[0:1], s[0:1]
	s_cbranch_execz .LBB954_159
; %bb.158:
	v_lshlrev_b32_e32 v13, 2, v0
	ds_read_b32 v14, v13
	v_readfirstlane_b32 s2, v9
	v_readfirstlane_b32 s3, v10
	s_waitcnt lgkmcnt(0)
	s_nop 3
	global_store_dword v13, v14, s[2:3]
.LBB954_159:
	s_or_b64 exec, exec, s[0:1]
	v_or_b32_e32 v13, 0x100, v0
	v_cmp_ge_u32_e32 vcc, v13, v1
	s_and_saveexec_b64 s[0:1], vcc
	s_xor_b64 s[0:1], exec, s[0:1]
	s_cbranch_execz .LBB954_165
; %bb.160:
	v_cmp_ge_u32_e32 vcc, v13, v12
	s_and_saveexec_b64 s[2:3], vcc
	s_xor_b64 s[2:3], exec, s[2:3]
	s_cbranch_execz .LBB954_162
; %bb.161:
	v_lshlrev_b32_e32 v13, 2, v0
	ds_read_b32 v15, v13 offset:1024
	v_add_co_u32_e32 v13, vcc, v3, v0
	v_addc_co_u32_e32 v14, vcc, 0, v11, vcc
	v_lshlrev_b64 v[13:14], 2, v[13:14]
	v_mov_b32_e32 v16, s47
	v_sub_co_u32_e32 v13, vcc, s46, v13
	v_subb_co_u32_e32 v14, vcc, v16, v14, vcc
	s_waitcnt lgkmcnt(0)
	global_store_dword v[13:14], v15, off offset:-1028
.LBB954_162:
	s_andn2_saveexec_b64 s[2:3], s[2:3]
	s_cbranch_execz .LBB954_164
; %bb.163:
	v_lshlrev_b32_e32 v13, 2, v0
	ds_read_b32 v14, v13 offset:1024
	v_readfirstlane_b32 s4, v7
	v_readfirstlane_b32 s5, v8
	s_waitcnt lgkmcnt(0)
	s_nop 3
	global_store_dword v13, v14, s[4:5] offset:1024
.LBB954_164:
	s_or_b64 exec, exec, s[2:3]
.LBB954_165:
	s_andn2_saveexec_b64 s[0:1], s[0:1]
	s_cbranch_execz .LBB954_167
; %bb.166:
	v_lshlrev_b32_e32 v13, 2, v0
	ds_read_b32 v14, v13 offset:1024
	v_readfirstlane_b32 s2, v9
	v_readfirstlane_b32 s3, v10
	s_waitcnt lgkmcnt(0)
	s_nop 3
	global_store_dword v13, v14, s[2:3] offset:1024
.LBB954_167:
	s_or_b64 exec, exec, s[0:1]
	v_or_b32_e32 v13, 0x200, v0
	v_cmp_ge_u32_e32 vcc, v13, v1
	s_and_saveexec_b64 s[0:1], vcc
	s_xor_b64 s[0:1], exec, s[0:1]
	s_cbranch_execz .LBB954_173
; %bb.168:
	v_cmp_ge_u32_e32 vcc, v13, v12
	s_and_saveexec_b64 s[2:3], vcc
	s_xor_b64 s[2:3], exec, s[2:3]
	s_cbranch_execz .LBB954_170
; %bb.169:
	v_lshlrev_b32_e32 v13, 2, v0
	ds_read_b32 v15, v13 offset:2048
	v_add_co_u32_e32 v13, vcc, v3, v0
	v_addc_co_u32_e32 v14, vcc, 0, v11, vcc
	v_lshlrev_b64 v[13:14], 2, v[13:14]
	v_mov_b32_e32 v16, s47
	v_sub_co_u32_e32 v13, vcc, s46, v13
	v_subb_co_u32_e32 v14, vcc, v16, v14, vcc
	s_waitcnt lgkmcnt(0)
	global_store_dword v[13:14], v15, off offset:-2052
.LBB954_170:
	s_andn2_saveexec_b64 s[2:3], s[2:3]
	s_cbranch_execz .LBB954_172
; %bb.171:
	v_lshlrev_b32_e32 v13, 2, v0
	ds_read_b32 v14, v13 offset:2048
	v_readfirstlane_b32 s4, v7
	v_readfirstlane_b32 s5, v8
	s_waitcnt lgkmcnt(0)
	s_nop 3
	global_store_dword v13, v14, s[4:5] offset:2048
.LBB954_172:
	s_or_b64 exec, exec, s[2:3]
.LBB954_173:
	s_andn2_saveexec_b64 s[0:1], s[0:1]
	s_cbranch_execz .LBB954_175
; %bb.174:
	v_lshlrev_b32_e32 v13, 2, v0
	ds_read_b32 v14, v13 offset:2048
	v_readfirstlane_b32 s2, v9
	v_readfirstlane_b32 s3, v10
	s_waitcnt lgkmcnt(0)
	s_nop 3
	global_store_dword v13, v14, s[2:3] offset:2048
.LBB954_175:
	;; [unrolled: 47-line block ×3, first 2 shown]
	s_or_b64 exec, exec, s[0:1]
	v_or_b32_e32 v13, 0x400, v0
	v_cmp_ge_u32_e32 vcc, v13, v1
	s_and_saveexec_b64 s[0:1], vcc
	s_xor_b64 s[0:1], exec, s[0:1]
	s_cbranch_execz .LBB954_189
; %bb.184:
	v_cmp_ge_u32_e32 vcc, v13, v12
	s_and_saveexec_b64 s[2:3], vcc
	s_xor_b64 s[2:3], exec, s[2:3]
	s_cbranch_execz .LBB954_186
; %bb.185:
	v_lshlrev_b32_e32 v13, 2, v0
	ds_read_b32 v15, v13 offset:4096
	v_add_co_u32_e32 v13, vcc, v3, v0
	v_addc_co_u32_e32 v14, vcc, 0, v11, vcc
	v_lshlrev_b64 v[13:14], 2, v[13:14]
	v_mov_b32_e32 v16, s47
	v_sub_co_u32_e32 v13, vcc, s46, v13
	v_subb_co_u32_e32 v14, vcc, v16, v14, vcc
	v_add_co_u32_e32 v13, vcc, 0xfffff000, v13
	v_addc_co_u32_e32 v14, vcc, -1, v14, vcc
	s_waitcnt lgkmcnt(0)
	global_store_dword v[13:14], v15, off offset:-4
                                        ; implicit-def: $vgpr13
.LBB954_186:
	s_andn2_saveexec_b64 s[2:3], s[2:3]
	s_cbranch_execz .LBB954_188
; %bb.187:
	v_lshlrev_b32_e32 v14, 2, v0
	ds_read_b32 v14, v14 offset:4096
	v_lshlrev_b32_e32 v13, 2, v13
	v_readfirstlane_b32 s4, v7
	v_readfirstlane_b32 s5, v8
	s_waitcnt lgkmcnt(0)
	s_nop 3
	global_store_dword v13, v14, s[4:5]
.LBB954_188:
	s_or_b64 exec, exec, s[2:3]
                                        ; implicit-def: $vgpr13
.LBB954_189:
	s_andn2_saveexec_b64 s[0:1], s[0:1]
	s_cbranch_execz .LBB954_191
; %bb.190:
	v_lshlrev_b32_e32 v14, 2, v0
	ds_read_b32 v14, v14 offset:4096
	v_lshlrev_b32_e32 v13, 2, v13
	v_readfirstlane_b32 s2, v9
	v_readfirstlane_b32 s3, v10
	s_waitcnt lgkmcnt(0)
	s_nop 3
	global_store_dword v13, v14, s[2:3]
.LBB954_191:
	s_or_b64 exec, exec, s[0:1]
	v_or_b32_e32 v13, 0x500, v0
	v_cmp_ge_u32_e32 vcc, v13, v1
	s_and_saveexec_b64 s[0:1], vcc
	s_xor_b64 s[0:1], exec, s[0:1]
	s_cbranch_execz .LBB954_197
; %bb.192:
	v_cmp_ge_u32_e32 vcc, v13, v12
	s_and_saveexec_b64 s[2:3], vcc
	s_xor_b64 s[2:3], exec, s[2:3]
	s_cbranch_execz .LBB954_194
; %bb.193:
	v_add_co_u32_e32 v13, vcc, v3, v13
	v_lshlrev_b32_e32 v15, 2, v0
	v_addc_co_u32_e32 v14, vcc, 0, v11, vcc
	ds_read_b32 v15, v15 offset:5120
	v_lshlrev_b64 v[13:14], 2, v[13:14]
	v_mov_b32_e32 v16, s47
	v_sub_co_u32_e32 v13, vcc, s46, v13
	v_subb_co_u32_e32 v14, vcc, v16, v14, vcc
	s_waitcnt lgkmcnt(0)
	global_store_dword v[13:14], v15, off offset:-4
                                        ; implicit-def: $vgpr13
.LBB954_194:
	s_andn2_saveexec_b64 s[2:3], s[2:3]
	s_cbranch_execz .LBB954_196
; %bb.195:
	v_lshlrev_b32_e32 v14, 2, v0
	ds_read_b32 v14, v14 offset:5120
	v_lshlrev_b32_e32 v13, 2, v13
	v_readfirstlane_b32 s4, v7
	v_readfirstlane_b32 s5, v8
	s_waitcnt lgkmcnt(0)
	s_nop 3
	global_store_dword v13, v14, s[4:5]
.LBB954_196:
	s_or_b64 exec, exec, s[2:3]
                                        ; implicit-def: $vgpr13
.LBB954_197:
	s_andn2_saveexec_b64 s[0:1], s[0:1]
	s_cbranch_execz .LBB954_199
; %bb.198:
	v_lshlrev_b32_e32 v14, 2, v0
	ds_read_b32 v14, v14 offset:5120
	v_lshlrev_b32_e32 v13, 2, v13
	v_readfirstlane_b32 s2, v9
	v_readfirstlane_b32 s3, v10
	s_waitcnt lgkmcnt(0)
	s_nop 3
	global_store_dword v13, v14, s[2:3]
.LBB954_199:
	s_or_b64 exec, exec, s[0:1]
	v_or_b32_e32 v13, 0x600, v0
	v_cmp_ge_u32_e32 vcc, v13, v1
	s_and_saveexec_b64 s[0:1], vcc
	s_xor_b64 s[0:1], exec, s[0:1]
	s_cbranch_execz .LBB954_205
; %bb.200:
	v_cmp_ge_u32_e32 vcc, v13, v12
	s_and_saveexec_b64 s[2:3], vcc
	s_xor_b64 s[2:3], exec, s[2:3]
	s_cbranch_execz .LBB954_202
; %bb.201:
	v_add_co_u32_e32 v13, vcc, v3, v13
	v_lshlrev_b32_e32 v15, 2, v0
	v_addc_co_u32_e32 v14, vcc, 0, v11, vcc
	ds_read_b32 v15, v15 offset:6144
	v_lshlrev_b64 v[13:14], 2, v[13:14]
	v_mov_b32_e32 v16, s47
	v_sub_co_u32_e32 v13, vcc, s46, v13
	v_subb_co_u32_e32 v14, vcc, v16, v14, vcc
	s_waitcnt lgkmcnt(0)
	global_store_dword v[13:14], v15, off offset:-4
                                        ; implicit-def: $vgpr13
.LBB954_202:
	s_andn2_saveexec_b64 s[2:3], s[2:3]
	s_cbranch_execz .LBB954_204
; %bb.203:
	v_lshlrev_b32_e32 v14, 2, v0
	ds_read_b32 v14, v14 offset:6144
	v_lshlrev_b32_e32 v13, 2, v13
	v_readfirstlane_b32 s4, v7
	v_readfirstlane_b32 s5, v8
	s_waitcnt lgkmcnt(0)
	s_nop 3
	global_store_dword v13, v14, s[4:5]
.LBB954_204:
	s_or_b64 exec, exec, s[2:3]
                                        ; implicit-def: $vgpr13
.LBB954_205:
	;; [unrolled: 51-line block ×8, first 2 shown]
	s_andn2_saveexec_b64 s[0:1], s[0:1]
	s_cbranch_execz .LBB954_255
; %bb.254:
	v_lshlrev_b32_e32 v14, 2, v0
	ds_read_b32 v14, v14 offset:12288
	v_lshlrev_b32_e32 v13, 2, v13
	v_readfirstlane_b32 s2, v9
	v_readfirstlane_b32 s3, v10
	s_waitcnt lgkmcnt(0)
	s_nop 3
	global_store_dword v13, v14, s[2:3]
.LBB954_255:
	s_or_b64 exec, exec, s[0:1]
	s_branch .LBB954_149
.LBB954_256:
	v_cmp_gt_u32_e32 vcc, s18, v0
	s_and_saveexec_b64 s[0:1], vcc
	s_cbranch_execz .LBB954_265
; %bb.257:
	v_cmp_ge_u32_e32 vcc, v0, v1
	s_and_saveexec_b64 s[2:3], vcc
	s_xor_b64 s[2:3], exec, s[2:3]
	s_cbranch_execz .LBB954_263
; %bb.258:
	v_cmp_ge_u32_e32 vcc, v0, v12
	s_and_saveexec_b64 s[4:5], vcc
	s_xor_b64 s[4:5], exec, s[4:5]
	s_cbranch_execz .LBB954_260
; %bb.259:
	v_add_co_u32_e32 v13, vcc, v3, v0
	v_lshlrev_b32_e32 v15, 2, v0
	v_addc_co_u32_e32 v14, vcc, 0, v11, vcc
	ds_read_b32 v15, v15
	v_lshlrev_b64 v[13:14], 2, v[13:14]
	v_mov_b32_e32 v16, s47
	v_sub_co_u32_e32 v13, vcc, s46, v13
	v_subb_co_u32_e32 v14, vcc, v16, v14, vcc
	s_waitcnt lgkmcnt(0)
	global_store_dword v[13:14], v15, off offset:-4
.LBB954_260:
	s_andn2_saveexec_b64 s[4:5], s[4:5]
	s_cbranch_execz .LBB954_262
; %bb.261:
	v_lshlrev_b32_e32 v13, 2, v0
	ds_read_b32 v14, v13
	v_readfirstlane_b32 s6, v7
	v_readfirstlane_b32 s7, v8
	s_waitcnt lgkmcnt(0)
	s_nop 3
	global_store_dword v13, v14, s[6:7]
.LBB954_262:
	s_or_b64 exec, exec, s[4:5]
.LBB954_263:
	s_andn2_saveexec_b64 s[2:3], s[2:3]
	s_cbranch_execz .LBB954_265
; %bb.264:
	v_lshlrev_b32_e32 v13, 2, v0
	ds_read_b32 v14, v13
	v_readfirstlane_b32 s2, v9
	v_readfirstlane_b32 s3, v10
	s_waitcnt lgkmcnt(0)
	s_nop 3
	global_store_dword v13, v14, s[2:3]
.LBB954_265:
	s_or_b64 exec, exec, s[0:1]
	v_or_b32_e32 v13, 0x100, v0
	v_cmp_gt_u32_e32 vcc, s18, v13
	s_and_saveexec_b64 s[0:1], vcc
	s_cbranch_execz .LBB954_274
; %bb.266:
	v_cmp_ge_u32_e32 vcc, v13, v1
	s_and_saveexec_b64 s[2:3], vcc
	s_xor_b64 s[2:3], exec, s[2:3]
	s_cbranch_execz .LBB954_272
; %bb.267:
	v_cmp_ge_u32_e32 vcc, v13, v12
	s_and_saveexec_b64 s[4:5], vcc
	s_xor_b64 s[4:5], exec, s[4:5]
	s_cbranch_execz .LBB954_269
; %bb.268:
	v_lshlrev_b32_e32 v13, 2, v0
	ds_read_b32 v15, v13 offset:1024
	v_add_co_u32_e32 v13, vcc, v3, v0
	v_addc_co_u32_e32 v14, vcc, 0, v11, vcc
	v_lshlrev_b64 v[13:14], 2, v[13:14]
	v_mov_b32_e32 v16, s47
	v_sub_co_u32_e32 v13, vcc, s46, v13
	v_subb_co_u32_e32 v14, vcc, v16, v14, vcc
	s_waitcnt lgkmcnt(0)
	global_store_dword v[13:14], v15, off offset:-1028
.LBB954_269:
	s_andn2_saveexec_b64 s[4:5], s[4:5]
	s_cbranch_execz .LBB954_271
; %bb.270:
	v_lshlrev_b32_e32 v13, 2, v0
	ds_read_b32 v14, v13 offset:1024
	v_readfirstlane_b32 s6, v7
	v_readfirstlane_b32 s7, v8
	s_waitcnt lgkmcnt(0)
	s_nop 3
	global_store_dword v13, v14, s[6:7] offset:1024
.LBB954_271:
	s_or_b64 exec, exec, s[4:5]
.LBB954_272:
	s_andn2_saveexec_b64 s[2:3], s[2:3]
	s_cbranch_execz .LBB954_274
; %bb.273:
	v_lshlrev_b32_e32 v13, 2, v0
	ds_read_b32 v14, v13 offset:1024
	v_readfirstlane_b32 s2, v9
	v_readfirstlane_b32 s3, v10
	s_waitcnt lgkmcnt(0)
	s_nop 3
	global_store_dword v13, v14, s[2:3] offset:1024
.LBB954_274:
	s_or_b64 exec, exec, s[0:1]
	v_or_b32_e32 v13, 0x200, v0
	v_cmp_gt_u32_e32 vcc, s18, v13
	s_and_saveexec_b64 s[0:1], vcc
	s_cbranch_execz .LBB954_283
; %bb.275:
	v_cmp_ge_u32_e32 vcc, v13, v1
	s_and_saveexec_b64 s[2:3], vcc
	s_xor_b64 s[2:3], exec, s[2:3]
	s_cbranch_execz .LBB954_281
; %bb.276:
	v_cmp_ge_u32_e32 vcc, v13, v12
	s_and_saveexec_b64 s[4:5], vcc
	s_xor_b64 s[4:5], exec, s[4:5]
	s_cbranch_execz .LBB954_278
; %bb.277:
	v_lshlrev_b32_e32 v13, 2, v0
	ds_read_b32 v15, v13 offset:2048
	v_add_co_u32_e32 v13, vcc, v3, v0
	v_addc_co_u32_e32 v14, vcc, 0, v11, vcc
	v_lshlrev_b64 v[13:14], 2, v[13:14]
	v_mov_b32_e32 v16, s47
	v_sub_co_u32_e32 v13, vcc, s46, v13
	v_subb_co_u32_e32 v14, vcc, v16, v14, vcc
	s_waitcnt lgkmcnt(0)
	global_store_dword v[13:14], v15, off offset:-2052
.LBB954_278:
	s_andn2_saveexec_b64 s[4:5], s[4:5]
	s_cbranch_execz .LBB954_280
; %bb.279:
	v_lshlrev_b32_e32 v13, 2, v0
	ds_read_b32 v14, v13 offset:2048
	v_readfirstlane_b32 s6, v7
	v_readfirstlane_b32 s7, v8
	s_waitcnt lgkmcnt(0)
	s_nop 3
	global_store_dword v13, v14, s[6:7] offset:2048
.LBB954_280:
	s_or_b64 exec, exec, s[4:5]
.LBB954_281:
	s_andn2_saveexec_b64 s[2:3], s[2:3]
	s_cbranch_execz .LBB954_283
; %bb.282:
	v_lshlrev_b32_e32 v13, 2, v0
	ds_read_b32 v14, v13 offset:2048
	v_readfirstlane_b32 s2, v9
	v_readfirstlane_b32 s3, v10
	s_waitcnt lgkmcnt(0)
	s_nop 3
	global_store_dword v13, v14, s[2:3] offset:2048
.LBB954_283:
	;; [unrolled: 51-line block ×3, first 2 shown]
	s_or_b64 exec, exec, s[0:1]
	v_or_b32_e32 v13, 0x400, v0
	v_cmp_gt_u32_e32 vcc, s18, v13
	s_and_saveexec_b64 s[0:1], vcc
	s_cbranch_execz .LBB954_301
; %bb.293:
	v_cmp_ge_u32_e32 vcc, v13, v1
	s_and_saveexec_b64 s[2:3], vcc
	s_xor_b64 s[2:3], exec, s[2:3]
	s_cbranch_execz .LBB954_299
; %bb.294:
	v_cmp_ge_u32_e32 vcc, v13, v12
	s_and_saveexec_b64 s[4:5], vcc
	s_xor_b64 s[4:5], exec, s[4:5]
	s_cbranch_execz .LBB954_296
; %bb.295:
	v_lshlrev_b32_e32 v13, 2, v0
	ds_read_b32 v15, v13 offset:4096
	v_add_co_u32_e32 v13, vcc, v3, v0
	v_addc_co_u32_e32 v14, vcc, 0, v11, vcc
	v_lshlrev_b64 v[13:14], 2, v[13:14]
	v_mov_b32_e32 v16, s47
	v_sub_co_u32_e32 v13, vcc, s46, v13
	v_subb_co_u32_e32 v14, vcc, v16, v14, vcc
	v_add_co_u32_e32 v13, vcc, 0xfffff000, v13
	v_addc_co_u32_e32 v14, vcc, -1, v14, vcc
	s_waitcnt lgkmcnt(0)
	global_store_dword v[13:14], v15, off offset:-4
                                        ; implicit-def: $vgpr13
.LBB954_296:
	s_andn2_saveexec_b64 s[4:5], s[4:5]
	s_cbranch_execz .LBB954_298
; %bb.297:
	v_lshlrev_b32_e32 v14, 2, v0
	ds_read_b32 v14, v14 offset:4096
	v_lshlrev_b32_e32 v13, 2, v13
	v_readfirstlane_b32 s6, v7
	v_readfirstlane_b32 s7, v8
	s_waitcnt lgkmcnt(0)
	s_nop 3
	global_store_dword v13, v14, s[6:7]
.LBB954_298:
	s_or_b64 exec, exec, s[4:5]
                                        ; implicit-def: $vgpr13
.LBB954_299:
	s_andn2_saveexec_b64 s[2:3], s[2:3]
	s_cbranch_execz .LBB954_301
; %bb.300:
	v_lshlrev_b32_e32 v14, 2, v0
	ds_read_b32 v14, v14 offset:4096
	v_lshlrev_b32_e32 v13, 2, v13
	v_readfirstlane_b32 s2, v9
	v_readfirstlane_b32 s3, v10
	s_waitcnt lgkmcnt(0)
	s_nop 3
	global_store_dword v13, v14, s[2:3]
.LBB954_301:
	s_or_b64 exec, exec, s[0:1]
	v_or_b32_e32 v13, 0x500, v0
	v_cmp_gt_u32_e32 vcc, s18, v13
	s_and_saveexec_b64 s[0:1], vcc
	s_cbranch_execz .LBB954_310
; %bb.302:
	v_cmp_ge_u32_e32 vcc, v13, v1
	s_and_saveexec_b64 s[2:3], vcc
	s_xor_b64 s[2:3], exec, s[2:3]
	s_cbranch_execz .LBB954_308
; %bb.303:
	v_cmp_ge_u32_e32 vcc, v13, v12
	s_and_saveexec_b64 s[4:5], vcc
	s_xor_b64 s[4:5], exec, s[4:5]
	s_cbranch_execz .LBB954_305
; %bb.304:
	v_add_co_u32_e32 v13, vcc, v3, v13
	v_lshlrev_b32_e32 v15, 2, v0
	v_addc_co_u32_e32 v14, vcc, 0, v11, vcc
	ds_read_b32 v15, v15 offset:5120
	v_lshlrev_b64 v[13:14], 2, v[13:14]
	v_mov_b32_e32 v16, s47
	v_sub_co_u32_e32 v13, vcc, s46, v13
	v_subb_co_u32_e32 v14, vcc, v16, v14, vcc
	s_waitcnt lgkmcnt(0)
	global_store_dword v[13:14], v15, off offset:-4
                                        ; implicit-def: $vgpr13
.LBB954_305:
	s_andn2_saveexec_b64 s[4:5], s[4:5]
	s_cbranch_execz .LBB954_307
; %bb.306:
	v_lshlrev_b32_e32 v14, 2, v0
	ds_read_b32 v14, v14 offset:5120
	v_lshlrev_b32_e32 v13, 2, v13
	v_readfirstlane_b32 s6, v7
	v_readfirstlane_b32 s7, v8
	s_waitcnt lgkmcnt(0)
	s_nop 3
	global_store_dword v13, v14, s[6:7]
.LBB954_307:
	s_or_b64 exec, exec, s[4:5]
                                        ; implicit-def: $vgpr13
.LBB954_308:
	s_andn2_saveexec_b64 s[2:3], s[2:3]
	s_cbranch_execz .LBB954_310
; %bb.309:
	v_lshlrev_b32_e32 v14, 2, v0
	ds_read_b32 v14, v14 offset:5120
	v_lshlrev_b32_e32 v13, 2, v13
	v_readfirstlane_b32 s2, v9
	v_readfirstlane_b32 s3, v10
	s_waitcnt lgkmcnt(0)
	s_nop 3
	global_store_dword v13, v14, s[2:3]
.LBB954_310:
	s_or_b64 exec, exec, s[0:1]
	v_or_b32_e32 v13, 0x600, v0
	v_cmp_gt_u32_e32 vcc, s18, v13
	s_and_saveexec_b64 s[0:1], vcc
	s_cbranch_execz .LBB954_319
; %bb.311:
	v_cmp_ge_u32_e32 vcc, v13, v1
	s_and_saveexec_b64 s[2:3], vcc
	s_xor_b64 s[2:3], exec, s[2:3]
	s_cbranch_execz .LBB954_317
; %bb.312:
	v_cmp_ge_u32_e32 vcc, v13, v12
	s_and_saveexec_b64 s[4:5], vcc
	s_xor_b64 s[4:5], exec, s[4:5]
	s_cbranch_execz .LBB954_314
; %bb.313:
	v_add_co_u32_e32 v13, vcc, v3, v13
	v_lshlrev_b32_e32 v15, 2, v0
	v_addc_co_u32_e32 v14, vcc, 0, v11, vcc
	ds_read_b32 v15, v15 offset:6144
	v_lshlrev_b64 v[13:14], 2, v[13:14]
	v_mov_b32_e32 v16, s47
	v_sub_co_u32_e32 v13, vcc, s46, v13
	v_subb_co_u32_e32 v14, vcc, v16, v14, vcc
	s_waitcnt lgkmcnt(0)
	global_store_dword v[13:14], v15, off offset:-4
                                        ; implicit-def: $vgpr13
.LBB954_314:
	s_andn2_saveexec_b64 s[4:5], s[4:5]
	s_cbranch_execz .LBB954_316
; %bb.315:
	v_lshlrev_b32_e32 v14, 2, v0
	ds_read_b32 v14, v14 offset:6144
	v_lshlrev_b32_e32 v13, 2, v13
	v_readfirstlane_b32 s6, v7
	v_readfirstlane_b32 s7, v8
	s_waitcnt lgkmcnt(0)
	s_nop 3
	global_store_dword v13, v14, s[6:7]
.LBB954_316:
	s_or_b64 exec, exec, s[4:5]
                                        ; implicit-def: $vgpr13
.LBB954_317:
	s_andn2_saveexec_b64 s[2:3], s[2:3]
	s_cbranch_execz .LBB954_319
; %bb.318:
	v_lshlrev_b32_e32 v14, 2, v0
	ds_read_b32 v14, v14 offset:6144
	v_lshlrev_b32_e32 v13, 2, v13
	v_readfirstlane_b32 s2, v9
	v_readfirstlane_b32 s3, v10
	s_waitcnt lgkmcnt(0)
	s_nop 3
	global_store_dword v13, v14, s[2:3]
.LBB954_319:
	;; [unrolled: 55-line block ×7, first 2 shown]
	s_or_b64 exec, exec, s[0:1]
	v_or_b32_e32 v13, 0xc00, v0
	v_cmp_gt_u32_e32 vcc, s18, v13
	s_and_saveexec_b64 s[0:1], vcc
	s_cbranch_execz .LBB954_373
; %bb.365:
	v_cmp_ge_u32_e32 vcc, v13, v1
	s_and_saveexec_b64 s[2:3], vcc
	s_xor_b64 s[2:3], exec, s[2:3]
	s_cbranch_execz .LBB954_371
; %bb.366:
	v_cmp_ge_u32_e32 vcc, v13, v12
	s_and_saveexec_b64 s[4:5], vcc
	s_xor_b64 s[4:5], exec, s[4:5]
	s_cbranch_execz .LBB954_368
; %bb.367:
	v_add_co_u32_e32 v7, vcc, v3, v13
	v_lshlrev_b32_e32 v3, 2, v0
	v_addc_co_u32_e32 v8, vcc, 0, v11, vcc
	ds_read_b32 v3, v3 offset:12288
	v_lshlrev_b64 v[7:8], 2, v[7:8]
	v_mov_b32_e32 v9, s47
	v_sub_co_u32_e32 v7, vcc, s46, v7
	v_subb_co_u32_e32 v8, vcc, v9, v8, vcc
	s_waitcnt lgkmcnt(0)
	global_store_dword v[7:8], v3, off offset:-4
                                        ; implicit-def: $vgpr13
                                        ; implicit-def: $vgpr7_vgpr8
.LBB954_368:
	s_andn2_saveexec_b64 s[4:5], s[4:5]
	s_cbranch_execz .LBB954_370
; %bb.369:
	v_lshlrev_b32_e32 v3, 2, v0
	ds_read_b32 v3, v3 offset:12288
	v_lshlrev_b32_e32 v9, 2, v13
	v_readfirstlane_b32 s6, v7
	v_readfirstlane_b32 s7, v8
	s_waitcnt lgkmcnt(0)
	s_nop 3
	global_store_dword v9, v3, s[6:7]
.LBB954_370:
	s_or_b64 exec, exec, s[4:5]
                                        ; implicit-def: $vgpr13
                                        ; implicit-def: $vgpr9_vgpr10
.LBB954_371:
	s_andn2_saveexec_b64 s[2:3], s[2:3]
	s_cbranch_execz .LBB954_373
; %bb.372:
	v_lshlrev_b32_e32 v3, 2, v0
	ds_read_b32 v3, v3 offset:12288
	v_lshlrev_b32_e32 v7, 2, v13
	v_readfirstlane_b32 s2, v9
	v_readfirstlane_b32 s3, v10
	s_waitcnt lgkmcnt(0)
	s_nop 3
	global_store_dword v7, v3, s[2:3]
.LBB954_373:
	s_or_b64 exec, exec, s[0:1]
	v_cmp_eq_u32_e32 vcc, 0, v0
	s_and_b64 s[0:1], vcc, s[34:35]
	s_and_saveexec_b64 s[2:3], s[0:1]
	s_cbranch_execz .LBB954_150
.LBB954_374:
	v_mov_b32_e32 v0, s51
	v_add_co_u32_e32 v2, vcc, s50, v2
	v_addc_co_u32_e32 v0, vcc, 0, v0, vcc
	v_add_co_u32_e32 v2, vcc, v2, v4
	v_addc_co_u32_e32 v3, vcc, 0, v0, vcc
	v_add_co_u32_e32 v0, vcc, v5, v1
	v_mov_b32_e32 v7, 0
	v_addc_co_u32_e32 v1, vcc, 0, v6, vcc
	global_store_dwordx4 v7, v[0:3], s[44:45]
	s_endpgm
.LBB954_375:
	s_add_i32 s6, s6, 64
	s_mov_b32 s7, 0
	s_lshl_b64 s[6:7], s[6:7], 4
	s_add_u32 s6, s12, s6
	s_addc_u32 s7, s13, s7
	v_mov_b32_e32 v24, s7
	v_add_u32_e32 v6, v4, v2
	v_add_u32_e32 v5, v3, v1
	v_mov_b32_e32 v7, 2
	v_mov_b32_e32 v8, 0
	;; [unrolled: 1-line block ×3, first 2 shown]
	;;#ASMSTART
	global_store_dwordx4 v[23:24], v[5:8] off	
s_waitcnt vmcnt(0)
	;;#ASMEND
	s_or_b64 exec, exec, s[14:15]
	s_and_saveexec_b64 s[6:7], s[8:9]
	s_cbranch_execz .LBB954_135
.LBB954_376:
	v_mov_b32_e32 v5, 0
	ds_write_b128 v5, v[1:4] offset:13312
	s_or_b64 exec, exec, s[6:7]
	v_cmp_eq_u32_e32 vcc, 0, v0
	s_and_b64 exec, exec, vcc
	s_cbranch_execnz .LBB954_136
	s_branch .LBB954_137
	.section	.rodata,"a",@progbits
	.p2align	6, 0x0
	.amdhsa_kernel _ZN7rocprim17ROCPRIM_400000_NS6detail17trampoline_kernelINS0_13select_configILj256ELj13ELNS0_17block_load_methodE3ELS4_3ELS4_3ELNS0_20block_scan_algorithmE0ELj4294967295EEENS1_25partition_config_selectorILNS1_17partition_subalgoE4EjNS0_10empty_typeEbEEZZNS1_14partition_implILS8_4ELb0ES6_15HIP_vector_typeIjLj2EENS0_17counting_iteratorIjlEEPS9_SG_NS0_5tupleIJPjSI_NS0_16reverse_iteratorISI_EEEEENSH_IJSG_SG_SG_EEES9_SI_JZNS1_25segmented_radix_sort_implINS0_14default_configELb0EPKsPsPKlPlN2at6native12_GLOBAL__N_18offset_tEEE10hipError_tPvRmT1_PNSt15iterator_traitsIS12_E10value_typeET2_T3_PNS13_IS18_E10value_typeET4_jRbjT5_S1E_jjP12ihipStream_tbEUljE_ZNSN_ISO_Lb0ESQ_SR_ST_SU_SY_EESZ_S10_S11_S12_S16_S17_S18_S1B_S1C_jS1D_jS1E_S1E_jjS1G_bEUljE0_EEESZ_S10_S11_S18_S1C_S1E_T6_T7_T9_mT8_S1G_bDpT10_ENKUlT_T0_E_clISt17integral_constantIbLb0EES1U_EEDaS1P_S1Q_EUlS1P_E_NS1_11comp_targetILNS1_3genE2ELNS1_11target_archE906ELNS1_3gpuE6ELNS1_3repE0EEENS1_30default_config_static_selectorELNS0_4arch9wavefront6targetE1EEEvS12_
		.amdhsa_group_segment_fixed_size 13328
		.amdhsa_private_segment_fixed_size 0
		.amdhsa_kernarg_size 176
		.amdhsa_user_sgpr_count 6
		.amdhsa_user_sgpr_private_segment_buffer 1
		.amdhsa_user_sgpr_dispatch_ptr 0
		.amdhsa_user_sgpr_queue_ptr 0
		.amdhsa_user_sgpr_kernarg_segment_ptr 1
		.amdhsa_user_sgpr_dispatch_id 0
		.amdhsa_user_sgpr_flat_scratch_init 0
		.amdhsa_user_sgpr_private_segment_size 0
		.amdhsa_uses_dynamic_stack 0
		.amdhsa_system_sgpr_private_segment_wavefront_offset 0
		.amdhsa_system_sgpr_workgroup_id_x 1
		.amdhsa_system_sgpr_workgroup_id_y 0
		.amdhsa_system_sgpr_workgroup_id_z 0
		.amdhsa_system_sgpr_workgroup_info 0
		.amdhsa_system_vgpr_workitem_id 0
		.amdhsa_next_free_vgpr 86
		.amdhsa_next_free_sgpr 98
		.amdhsa_reserve_vcc 1
		.amdhsa_reserve_flat_scratch 0
		.amdhsa_float_round_mode_32 0
		.amdhsa_float_round_mode_16_64 0
		.amdhsa_float_denorm_mode_32 3
		.amdhsa_float_denorm_mode_16_64 3
		.amdhsa_dx10_clamp 1
		.amdhsa_ieee_mode 1
		.amdhsa_fp16_overflow 0
		.amdhsa_exception_fp_ieee_invalid_op 0
		.amdhsa_exception_fp_denorm_src 0
		.amdhsa_exception_fp_ieee_div_zero 0
		.amdhsa_exception_fp_ieee_overflow 0
		.amdhsa_exception_fp_ieee_underflow 0
		.amdhsa_exception_fp_ieee_inexact 0
		.amdhsa_exception_int_div_zero 0
	.end_amdhsa_kernel
	.section	.text._ZN7rocprim17ROCPRIM_400000_NS6detail17trampoline_kernelINS0_13select_configILj256ELj13ELNS0_17block_load_methodE3ELS4_3ELS4_3ELNS0_20block_scan_algorithmE0ELj4294967295EEENS1_25partition_config_selectorILNS1_17partition_subalgoE4EjNS0_10empty_typeEbEEZZNS1_14partition_implILS8_4ELb0ES6_15HIP_vector_typeIjLj2EENS0_17counting_iteratorIjlEEPS9_SG_NS0_5tupleIJPjSI_NS0_16reverse_iteratorISI_EEEEENSH_IJSG_SG_SG_EEES9_SI_JZNS1_25segmented_radix_sort_implINS0_14default_configELb0EPKsPsPKlPlN2at6native12_GLOBAL__N_18offset_tEEE10hipError_tPvRmT1_PNSt15iterator_traitsIS12_E10value_typeET2_T3_PNS13_IS18_E10value_typeET4_jRbjT5_S1E_jjP12ihipStream_tbEUljE_ZNSN_ISO_Lb0ESQ_SR_ST_SU_SY_EESZ_S10_S11_S12_S16_S17_S18_S1B_S1C_jS1D_jS1E_S1E_jjS1G_bEUljE0_EEESZ_S10_S11_S18_S1C_S1E_T6_T7_T9_mT8_S1G_bDpT10_ENKUlT_T0_E_clISt17integral_constantIbLb0EES1U_EEDaS1P_S1Q_EUlS1P_E_NS1_11comp_targetILNS1_3genE2ELNS1_11target_archE906ELNS1_3gpuE6ELNS1_3repE0EEENS1_30default_config_static_selectorELNS0_4arch9wavefront6targetE1EEEvS12_,"axG",@progbits,_ZN7rocprim17ROCPRIM_400000_NS6detail17trampoline_kernelINS0_13select_configILj256ELj13ELNS0_17block_load_methodE3ELS4_3ELS4_3ELNS0_20block_scan_algorithmE0ELj4294967295EEENS1_25partition_config_selectorILNS1_17partition_subalgoE4EjNS0_10empty_typeEbEEZZNS1_14partition_implILS8_4ELb0ES6_15HIP_vector_typeIjLj2EENS0_17counting_iteratorIjlEEPS9_SG_NS0_5tupleIJPjSI_NS0_16reverse_iteratorISI_EEEEENSH_IJSG_SG_SG_EEES9_SI_JZNS1_25segmented_radix_sort_implINS0_14default_configELb0EPKsPsPKlPlN2at6native12_GLOBAL__N_18offset_tEEE10hipError_tPvRmT1_PNSt15iterator_traitsIS12_E10value_typeET2_T3_PNS13_IS18_E10value_typeET4_jRbjT5_S1E_jjP12ihipStream_tbEUljE_ZNSN_ISO_Lb0ESQ_SR_ST_SU_SY_EESZ_S10_S11_S12_S16_S17_S18_S1B_S1C_jS1D_jS1E_S1E_jjS1G_bEUljE0_EEESZ_S10_S11_S18_S1C_S1E_T6_T7_T9_mT8_S1G_bDpT10_ENKUlT_T0_E_clISt17integral_constantIbLb0EES1U_EEDaS1P_S1Q_EUlS1P_E_NS1_11comp_targetILNS1_3genE2ELNS1_11target_archE906ELNS1_3gpuE6ELNS1_3repE0EEENS1_30default_config_static_selectorELNS0_4arch9wavefront6targetE1EEEvS12_,comdat
.Lfunc_end954:
	.size	_ZN7rocprim17ROCPRIM_400000_NS6detail17trampoline_kernelINS0_13select_configILj256ELj13ELNS0_17block_load_methodE3ELS4_3ELS4_3ELNS0_20block_scan_algorithmE0ELj4294967295EEENS1_25partition_config_selectorILNS1_17partition_subalgoE4EjNS0_10empty_typeEbEEZZNS1_14partition_implILS8_4ELb0ES6_15HIP_vector_typeIjLj2EENS0_17counting_iteratorIjlEEPS9_SG_NS0_5tupleIJPjSI_NS0_16reverse_iteratorISI_EEEEENSH_IJSG_SG_SG_EEES9_SI_JZNS1_25segmented_radix_sort_implINS0_14default_configELb0EPKsPsPKlPlN2at6native12_GLOBAL__N_18offset_tEEE10hipError_tPvRmT1_PNSt15iterator_traitsIS12_E10value_typeET2_T3_PNS13_IS18_E10value_typeET4_jRbjT5_S1E_jjP12ihipStream_tbEUljE_ZNSN_ISO_Lb0ESQ_SR_ST_SU_SY_EESZ_S10_S11_S12_S16_S17_S18_S1B_S1C_jS1D_jS1E_S1E_jjS1G_bEUljE0_EEESZ_S10_S11_S18_S1C_S1E_T6_T7_T9_mT8_S1G_bDpT10_ENKUlT_T0_E_clISt17integral_constantIbLb0EES1U_EEDaS1P_S1Q_EUlS1P_E_NS1_11comp_targetILNS1_3genE2ELNS1_11target_archE906ELNS1_3gpuE6ELNS1_3repE0EEENS1_30default_config_static_selectorELNS0_4arch9wavefront6targetE1EEEvS12_, .Lfunc_end954-_ZN7rocprim17ROCPRIM_400000_NS6detail17trampoline_kernelINS0_13select_configILj256ELj13ELNS0_17block_load_methodE3ELS4_3ELS4_3ELNS0_20block_scan_algorithmE0ELj4294967295EEENS1_25partition_config_selectorILNS1_17partition_subalgoE4EjNS0_10empty_typeEbEEZZNS1_14partition_implILS8_4ELb0ES6_15HIP_vector_typeIjLj2EENS0_17counting_iteratorIjlEEPS9_SG_NS0_5tupleIJPjSI_NS0_16reverse_iteratorISI_EEEEENSH_IJSG_SG_SG_EEES9_SI_JZNS1_25segmented_radix_sort_implINS0_14default_configELb0EPKsPsPKlPlN2at6native12_GLOBAL__N_18offset_tEEE10hipError_tPvRmT1_PNSt15iterator_traitsIS12_E10value_typeET2_T3_PNS13_IS18_E10value_typeET4_jRbjT5_S1E_jjP12ihipStream_tbEUljE_ZNSN_ISO_Lb0ESQ_SR_ST_SU_SY_EESZ_S10_S11_S12_S16_S17_S18_S1B_S1C_jS1D_jS1E_S1E_jjS1G_bEUljE0_EEESZ_S10_S11_S18_S1C_S1E_T6_T7_T9_mT8_S1G_bDpT10_ENKUlT_T0_E_clISt17integral_constantIbLb0EES1U_EEDaS1P_S1Q_EUlS1P_E_NS1_11comp_targetILNS1_3genE2ELNS1_11target_archE906ELNS1_3gpuE6ELNS1_3repE0EEENS1_30default_config_static_selectorELNS0_4arch9wavefront6targetE1EEEvS12_
                                        ; -- End function
	.set _ZN7rocprim17ROCPRIM_400000_NS6detail17trampoline_kernelINS0_13select_configILj256ELj13ELNS0_17block_load_methodE3ELS4_3ELS4_3ELNS0_20block_scan_algorithmE0ELj4294967295EEENS1_25partition_config_selectorILNS1_17partition_subalgoE4EjNS0_10empty_typeEbEEZZNS1_14partition_implILS8_4ELb0ES6_15HIP_vector_typeIjLj2EENS0_17counting_iteratorIjlEEPS9_SG_NS0_5tupleIJPjSI_NS0_16reverse_iteratorISI_EEEEENSH_IJSG_SG_SG_EEES9_SI_JZNS1_25segmented_radix_sort_implINS0_14default_configELb0EPKsPsPKlPlN2at6native12_GLOBAL__N_18offset_tEEE10hipError_tPvRmT1_PNSt15iterator_traitsIS12_E10value_typeET2_T3_PNS13_IS18_E10value_typeET4_jRbjT5_S1E_jjP12ihipStream_tbEUljE_ZNSN_ISO_Lb0ESQ_SR_ST_SU_SY_EESZ_S10_S11_S12_S16_S17_S18_S1B_S1C_jS1D_jS1E_S1E_jjS1G_bEUljE0_EEESZ_S10_S11_S18_S1C_S1E_T6_T7_T9_mT8_S1G_bDpT10_ENKUlT_T0_E_clISt17integral_constantIbLb0EES1U_EEDaS1P_S1Q_EUlS1P_E_NS1_11comp_targetILNS1_3genE2ELNS1_11target_archE906ELNS1_3gpuE6ELNS1_3repE0EEENS1_30default_config_static_selectorELNS0_4arch9wavefront6targetE1EEEvS12_.num_vgpr, 86
	.set _ZN7rocprim17ROCPRIM_400000_NS6detail17trampoline_kernelINS0_13select_configILj256ELj13ELNS0_17block_load_methodE3ELS4_3ELS4_3ELNS0_20block_scan_algorithmE0ELj4294967295EEENS1_25partition_config_selectorILNS1_17partition_subalgoE4EjNS0_10empty_typeEbEEZZNS1_14partition_implILS8_4ELb0ES6_15HIP_vector_typeIjLj2EENS0_17counting_iteratorIjlEEPS9_SG_NS0_5tupleIJPjSI_NS0_16reverse_iteratorISI_EEEEENSH_IJSG_SG_SG_EEES9_SI_JZNS1_25segmented_radix_sort_implINS0_14default_configELb0EPKsPsPKlPlN2at6native12_GLOBAL__N_18offset_tEEE10hipError_tPvRmT1_PNSt15iterator_traitsIS12_E10value_typeET2_T3_PNS13_IS18_E10value_typeET4_jRbjT5_S1E_jjP12ihipStream_tbEUljE_ZNSN_ISO_Lb0ESQ_SR_ST_SU_SY_EESZ_S10_S11_S12_S16_S17_S18_S1B_S1C_jS1D_jS1E_S1E_jjS1G_bEUljE0_EEESZ_S10_S11_S18_S1C_S1E_T6_T7_T9_mT8_S1G_bDpT10_ENKUlT_T0_E_clISt17integral_constantIbLb0EES1U_EEDaS1P_S1Q_EUlS1P_E_NS1_11comp_targetILNS1_3genE2ELNS1_11target_archE906ELNS1_3gpuE6ELNS1_3repE0EEENS1_30default_config_static_selectorELNS0_4arch9wavefront6targetE1EEEvS12_.num_agpr, 0
	.set _ZN7rocprim17ROCPRIM_400000_NS6detail17trampoline_kernelINS0_13select_configILj256ELj13ELNS0_17block_load_methodE3ELS4_3ELS4_3ELNS0_20block_scan_algorithmE0ELj4294967295EEENS1_25partition_config_selectorILNS1_17partition_subalgoE4EjNS0_10empty_typeEbEEZZNS1_14partition_implILS8_4ELb0ES6_15HIP_vector_typeIjLj2EENS0_17counting_iteratorIjlEEPS9_SG_NS0_5tupleIJPjSI_NS0_16reverse_iteratorISI_EEEEENSH_IJSG_SG_SG_EEES9_SI_JZNS1_25segmented_radix_sort_implINS0_14default_configELb0EPKsPsPKlPlN2at6native12_GLOBAL__N_18offset_tEEE10hipError_tPvRmT1_PNSt15iterator_traitsIS12_E10value_typeET2_T3_PNS13_IS18_E10value_typeET4_jRbjT5_S1E_jjP12ihipStream_tbEUljE_ZNSN_ISO_Lb0ESQ_SR_ST_SU_SY_EESZ_S10_S11_S12_S16_S17_S18_S1B_S1C_jS1D_jS1E_S1E_jjS1G_bEUljE0_EEESZ_S10_S11_S18_S1C_S1E_T6_T7_T9_mT8_S1G_bDpT10_ENKUlT_T0_E_clISt17integral_constantIbLb0EES1U_EEDaS1P_S1Q_EUlS1P_E_NS1_11comp_targetILNS1_3genE2ELNS1_11target_archE906ELNS1_3gpuE6ELNS1_3repE0EEENS1_30default_config_static_selectorELNS0_4arch9wavefront6targetE1EEEvS12_.numbered_sgpr, 90
	.set _ZN7rocprim17ROCPRIM_400000_NS6detail17trampoline_kernelINS0_13select_configILj256ELj13ELNS0_17block_load_methodE3ELS4_3ELS4_3ELNS0_20block_scan_algorithmE0ELj4294967295EEENS1_25partition_config_selectorILNS1_17partition_subalgoE4EjNS0_10empty_typeEbEEZZNS1_14partition_implILS8_4ELb0ES6_15HIP_vector_typeIjLj2EENS0_17counting_iteratorIjlEEPS9_SG_NS0_5tupleIJPjSI_NS0_16reverse_iteratorISI_EEEEENSH_IJSG_SG_SG_EEES9_SI_JZNS1_25segmented_radix_sort_implINS0_14default_configELb0EPKsPsPKlPlN2at6native12_GLOBAL__N_18offset_tEEE10hipError_tPvRmT1_PNSt15iterator_traitsIS12_E10value_typeET2_T3_PNS13_IS18_E10value_typeET4_jRbjT5_S1E_jjP12ihipStream_tbEUljE_ZNSN_ISO_Lb0ESQ_SR_ST_SU_SY_EESZ_S10_S11_S12_S16_S17_S18_S1B_S1C_jS1D_jS1E_S1E_jjS1G_bEUljE0_EEESZ_S10_S11_S18_S1C_S1E_T6_T7_T9_mT8_S1G_bDpT10_ENKUlT_T0_E_clISt17integral_constantIbLb0EES1U_EEDaS1P_S1Q_EUlS1P_E_NS1_11comp_targetILNS1_3genE2ELNS1_11target_archE906ELNS1_3gpuE6ELNS1_3repE0EEENS1_30default_config_static_selectorELNS0_4arch9wavefront6targetE1EEEvS12_.num_named_barrier, 0
	.set _ZN7rocprim17ROCPRIM_400000_NS6detail17trampoline_kernelINS0_13select_configILj256ELj13ELNS0_17block_load_methodE3ELS4_3ELS4_3ELNS0_20block_scan_algorithmE0ELj4294967295EEENS1_25partition_config_selectorILNS1_17partition_subalgoE4EjNS0_10empty_typeEbEEZZNS1_14partition_implILS8_4ELb0ES6_15HIP_vector_typeIjLj2EENS0_17counting_iteratorIjlEEPS9_SG_NS0_5tupleIJPjSI_NS0_16reverse_iteratorISI_EEEEENSH_IJSG_SG_SG_EEES9_SI_JZNS1_25segmented_radix_sort_implINS0_14default_configELb0EPKsPsPKlPlN2at6native12_GLOBAL__N_18offset_tEEE10hipError_tPvRmT1_PNSt15iterator_traitsIS12_E10value_typeET2_T3_PNS13_IS18_E10value_typeET4_jRbjT5_S1E_jjP12ihipStream_tbEUljE_ZNSN_ISO_Lb0ESQ_SR_ST_SU_SY_EESZ_S10_S11_S12_S16_S17_S18_S1B_S1C_jS1D_jS1E_S1E_jjS1G_bEUljE0_EEESZ_S10_S11_S18_S1C_S1E_T6_T7_T9_mT8_S1G_bDpT10_ENKUlT_T0_E_clISt17integral_constantIbLb0EES1U_EEDaS1P_S1Q_EUlS1P_E_NS1_11comp_targetILNS1_3genE2ELNS1_11target_archE906ELNS1_3gpuE6ELNS1_3repE0EEENS1_30default_config_static_selectorELNS0_4arch9wavefront6targetE1EEEvS12_.private_seg_size, 0
	.set _ZN7rocprim17ROCPRIM_400000_NS6detail17trampoline_kernelINS0_13select_configILj256ELj13ELNS0_17block_load_methodE3ELS4_3ELS4_3ELNS0_20block_scan_algorithmE0ELj4294967295EEENS1_25partition_config_selectorILNS1_17partition_subalgoE4EjNS0_10empty_typeEbEEZZNS1_14partition_implILS8_4ELb0ES6_15HIP_vector_typeIjLj2EENS0_17counting_iteratorIjlEEPS9_SG_NS0_5tupleIJPjSI_NS0_16reverse_iteratorISI_EEEEENSH_IJSG_SG_SG_EEES9_SI_JZNS1_25segmented_radix_sort_implINS0_14default_configELb0EPKsPsPKlPlN2at6native12_GLOBAL__N_18offset_tEEE10hipError_tPvRmT1_PNSt15iterator_traitsIS12_E10value_typeET2_T3_PNS13_IS18_E10value_typeET4_jRbjT5_S1E_jjP12ihipStream_tbEUljE_ZNSN_ISO_Lb0ESQ_SR_ST_SU_SY_EESZ_S10_S11_S12_S16_S17_S18_S1B_S1C_jS1D_jS1E_S1E_jjS1G_bEUljE0_EEESZ_S10_S11_S18_S1C_S1E_T6_T7_T9_mT8_S1G_bDpT10_ENKUlT_T0_E_clISt17integral_constantIbLb0EES1U_EEDaS1P_S1Q_EUlS1P_E_NS1_11comp_targetILNS1_3genE2ELNS1_11target_archE906ELNS1_3gpuE6ELNS1_3repE0EEENS1_30default_config_static_selectorELNS0_4arch9wavefront6targetE1EEEvS12_.uses_vcc, 1
	.set _ZN7rocprim17ROCPRIM_400000_NS6detail17trampoline_kernelINS0_13select_configILj256ELj13ELNS0_17block_load_methodE3ELS4_3ELS4_3ELNS0_20block_scan_algorithmE0ELj4294967295EEENS1_25partition_config_selectorILNS1_17partition_subalgoE4EjNS0_10empty_typeEbEEZZNS1_14partition_implILS8_4ELb0ES6_15HIP_vector_typeIjLj2EENS0_17counting_iteratorIjlEEPS9_SG_NS0_5tupleIJPjSI_NS0_16reverse_iteratorISI_EEEEENSH_IJSG_SG_SG_EEES9_SI_JZNS1_25segmented_radix_sort_implINS0_14default_configELb0EPKsPsPKlPlN2at6native12_GLOBAL__N_18offset_tEEE10hipError_tPvRmT1_PNSt15iterator_traitsIS12_E10value_typeET2_T3_PNS13_IS18_E10value_typeET4_jRbjT5_S1E_jjP12ihipStream_tbEUljE_ZNSN_ISO_Lb0ESQ_SR_ST_SU_SY_EESZ_S10_S11_S12_S16_S17_S18_S1B_S1C_jS1D_jS1E_S1E_jjS1G_bEUljE0_EEESZ_S10_S11_S18_S1C_S1E_T6_T7_T9_mT8_S1G_bDpT10_ENKUlT_T0_E_clISt17integral_constantIbLb0EES1U_EEDaS1P_S1Q_EUlS1P_E_NS1_11comp_targetILNS1_3genE2ELNS1_11target_archE906ELNS1_3gpuE6ELNS1_3repE0EEENS1_30default_config_static_selectorELNS0_4arch9wavefront6targetE1EEEvS12_.uses_flat_scratch, 0
	.set _ZN7rocprim17ROCPRIM_400000_NS6detail17trampoline_kernelINS0_13select_configILj256ELj13ELNS0_17block_load_methodE3ELS4_3ELS4_3ELNS0_20block_scan_algorithmE0ELj4294967295EEENS1_25partition_config_selectorILNS1_17partition_subalgoE4EjNS0_10empty_typeEbEEZZNS1_14partition_implILS8_4ELb0ES6_15HIP_vector_typeIjLj2EENS0_17counting_iteratorIjlEEPS9_SG_NS0_5tupleIJPjSI_NS0_16reverse_iteratorISI_EEEEENSH_IJSG_SG_SG_EEES9_SI_JZNS1_25segmented_radix_sort_implINS0_14default_configELb0EPKsPsPKlPlN2at6native12_GLOBAL__N_18offset_tEEE10hipError_tPvRmT1_PNSt15iterator_traitsIS12_E10value_typeET2_T3_PNS13_IS18_E10value_typeET4_jRbjT5_S1E_jjP12ihipStream_tbEUljE_ZNSN_ISO_Lb0ESQ_SR_ST_SU_SY_EESZ_S10_S11_S12_S16_S17_S18_S1B_S1C_jS1D_jS1E_S1E_jjS1G_bEUljE0_EEESZ_S10_S11_S18_S1C_S1E_T6_T7_T9_mT8_S1G_bDpT10_ENKUlT_T0_E_clISt17integral_constantIbLb0EES1U_EEDaS1P_S1Q_EUlS1P_E_NS1_11comp_targetILNS1_3genE2ELNS1_11target_archE906ELNS1_3gpuE6ELNS1_3repE0EEENS1_30default_config_static_selectorELNS0_4arch9wavefront6targetE1EEEvS12_.has_dyn_sized_stack, 0
	.set _ZN7rocprim17ROCPRIM_400000_NS6detail17trampoline_kernelINS0_13select_configILj256ELj13ELNS0_17block_load_methodE3ELS4_3ELS4_3ELNS0_20block_scan_algorithmE0ELj4294967295EEENS1_25partition_config_selectorILNS1_17partition_subalgoE4EjNS0_10empty_typeEbEEZZNS1_14partition_implILS8_4ELb0ES6_15HIP_vector_typeIjLj2EENS0_17counting_iteratorIjlEEPS9_SG_NS0_5tupleIJPjSI_NS0_16reverse_iteratorISI_EEEEENSH_IJSG_SG_SG_EEES9_SI_JZNS1_25segmented_radix_sort_implINS0_14default_configELb0EPKsPsPKlPlN2at6native12_GLOBAL__N_18offset_tEEE10hipError_tPvRmT1_PNSt15iterator_traitsIS12_E10value_typeET2_T3_PNS13_IS18_E10value_typeET4_jRbjT5_S1E_jjP12ihipStream_tbEUljE_ZNSN_ISO_Lb0ESQ_SR_ST_SU_SY_EESZ_S10_S11_S12_S16_S17_S18_S1B_S1C_jS1D_jS1E_S1E_jjS1G_bEUljE0_EEESZ_S10_S11_S18_S1C_S1E_T6_T7_T9_mT8_S1G_bDpT10_ENKUlT_T0_E_clISt17integral_constantIbLb0EES1U_EEDaS1P_S1Q_EUlS1P_E_NS1_11comp_targetILNS1_3genE2ELNS1_11target_archE906ELNS1_3gpuE6ELNS1_3repE0EEENS1_30default_config_static_selectorELNS0_4arch9wavefront6targetE1EEEvS12_.has_recursion, 0
	.set _ZN7rocprim17ROCPRIM_400000_NS6detail17trampoline_kernelINS0_13select_configILj256ELj13ELNS0_17block_load_methodE3ELS4_3ELS4_3ELNS0_20block_scan_algorithmE0ELj4294967295EEENS1_25partition_config_selectorILNS1_17partition_subalgoE4EjNS0_10empty_typeEbEEZZNS1_14partition_implILS8_4ELb0ES6_15HIP_vector_typeIjLj2EENS0_17counting_iteratorIjlEEPS9_SG_NS0_5tupleIJPjSI_NS0_16reverse_iteratorISI_EEEEENSH_IJSG_SG_SG_EEES9_SI_JZNS1_25segmented_radix_sort_implINS0_14default_configELb0EPKsPsPKlPlN2at6native12_GLOBAL__N_18offset_tEEE10hipError_tPvRmT1_PNSt15iterator_traitsIS12_E10value_typeET2_T3_PNS13_IS18_E10value_typeET4_jRbjT5_S1E_jjP12ihipStream_tbEUljE_ZNSN_ISO_Lb0ESQ_SR_ST_SU_SY_EESZ_S10_S11_S12_S16_S17_S18_S1B_S1C_jS1D_jS1E_S1E_jjS1G_bEUljE0_EEESZ_S10_S11_S18_S1C_S1E_T6_T7_T9_mT8_S1G_bDpT10_ENKUlT_T0_E_clISt17integral_constantIbLb0EES1U_EEDaS1P_S1Q_EUlS1P_E_NS1_11comp_targetILNS1_3genE2ELNS1_11target_archE906ELNS1_3gpuE6ELNS1_3repE0EEENS1_30default_config_static_selectorELNS0_4arch9wavefront6targetE1EEEvS12_.has_indirect_call, 0
	.section	.AMDGPU.csdata,"",@progbits
; Kernel info:
; codeLenInByte = 15480
; TotalNumSgprs: 94
; NumVgprs: 86
; ScratchSize: 0
; MemoryBound: 0
; FloatMode: 240
; IeeeMode: 1
; LDSByteSize: 13328 bytes/workgroup (compile time only)
; SGPRBlocks: 12
; VGPRBlocks: 21
; NumSGPRsForWavesPerEU: 102
; NumVGPRsForWavesPerEU: 86
; Occupancy: 2
; WaveLimiterHint : 1
; COMPUTE_PGM_RSRC2:SCRATCH_EN: 0
; COMPUTE_PGM_RSRC2:USER_SGPR: 6
; COMPUTE_PGM_RSRC2:TRAP_HANDLER: 0
; COMPUTE_PGM_RSRC2:TGID_X_EN: 1
; COMPUTE_PGM_RSRC2:TGID_Y_EN: 0
; COMPUTE_PGM_RSRC2:TGID_Z_EN: 0
; COMPUTE_PGM_RSRC2:TIDIG_COMP_CNT: 0
	.section	.text._ZN7rocprim17ROCPRIM_400000_NS6detail17trampoline_kernelINS0_13select_configILj256ELj13ELNS0_17block_load_methodE3ELS4_3ELS4_3ELNS0_20block_scan_algorithmE0ELj4294967295EEENS1_25partition_config_selectorILNS1_17partition_subalgoE4EjNS0_10empty_typeEbEEZZNS1_14partition_implILS8_4ELb0ES6_15HIP_vector_typeIjLj2EENS0_17counting_iteratorIjlEEPS9_SG_NS0_5tupleIJPjSI_NS0_16reverse_iteratorISI_EEEEENSH_IJSG_SG_SG_EEES9_SI_JZNS1_25segmented_radix_sort_implINS0_14default_configELb0EPKsPsPKlPlN2at6native12_GLOBAL__N_18offset_tEEE10hipError_tPvRmT1_PNSt15iterator_traitsIS12_E10value_typeET2_T3_PNS13_IS18_E10value_typeET4_jRbjT5_S1E_jjP12ihipStream_tbEUljE_ZNSN_ISO_Lb0ESQ_SR_ST_SU_SY_EESZ_S10_S11_S12_S16_S17_S18_S1B_S1C_jS1D_jS1E_S1E_jjS1G_bEUljE0_EEESZ_S10_S11_S18_S1C_S1E_T6_T7_T9_mT8_S1G_bDpT10_ENKUlT_T0_E_clISt17integral_constantIbLb0EES1U_EEDaS1P_S1Q_EUlS1P_E_NS1_11comp_targetILNS1_3genE10ELNS1_11target_archE1200ELNS1_3gpuE4ELNS1_3repE0EEENS1_30default_config_static_selectorELNS0_4arch9wavefront6targetE1EEEvS12_,"axG",@progbits,_ZN7rocprim17ROCPRIM_400000_NS6detail17trampoline_kernelINS0_13select_configILj256ELj13ELNS0_17block_load_methodE3ELS4_3ELS4_3ELNS0_20block_scan_algorithmE0ELj4294967295EEENS1_25partition_config_selectorILNS1_17partition_subalgoE4EjNS0_10empty_typeEbEEZZNS1_14partition_implILS8_4ELb0ES6_15HIP_vector_typeIjLj2EENS0_17counting_iteratorIjlEEPS9_SG_NS0_5tupleIJPjSI_NS0_16reverse_iteratorISI_EEEEENSH_IJSG_SG_SG_EEES9_SI_JZNS1_25segmented_radix_sort_implINS0_14default_configELb0EPKsPsPKlPlN2at6native12_GLOBAL__N_18offset_tEEE10hipError_tPvRmT1_PNSt15iterator_traitsIS12_E10value_typeET2_T3_PNS13_IS18_E10value_typeET4_jRbjT5_S1E_jjP12ihipStream_tbEUljE_ZNSN_ISO_Lb0ESQ_SR_ST_SU_SY_EESZ_S10_S11_S12_S16_S17_S18_S1B_S1C_jS1D_jS1E_S1E_jjS1G_bEUljE0_EEESZ_S10_S11_S18_S1C_S1E_T6_T7_T9_mT8_S1G_bDpT10_ENKUlT_T0_E_clISt17integral_constantIbLb0EES1U_EEDaS1P_S1Q_EUlS1P_E_NS1_11comp_targetILNS1_3genE10ELNS1_11target_archE1200ELNS1_3gpuE4ELNS1_3repE0EEENS1_30default_config_static_selectorELNS0_4arch9wavefront6targetE1EEEvS12_,comdat
	.globl	_ZN7rocprim17ROCPRIM_400000_NS6detail17trampoline_kernelINS0_13select_configILj256ELj13ELNS0_17block_load_methodE3ELS4_3ELS4_3ELNS0_20block_scan_algorithmE0ELj4294967295EEENS1_25partition_config_selectorILNS1_17partition_subalgoE4EjNS0_10empty_typeEbEEZZNS1_14partition_implILS8_4ELb0ES6_15HIP_vector_typeIjLj2EENS0_17counting_iteratorIjlEEPS9_SG_NS0_5tupleIJPjSI_NS0_16reverse_iteratorISI_EEEEENSH_IJSG_SG_SG_EEES9_SI_JZNS1_25segmented_radix_sort_implINS0_14default_configELb0EPKsPsPKlPlN2at6native12_GLOBAL__N_18offset_tEEE10hipError_tPvRmT1_PNSt15iterator_traitsIS12_E10value_typeET2_T3_PNS13_IS18_E10value_typeET4_jRbjT5_S1E_jjP12ihipStream_tbEUljE_ZNSN_ISO_Lb0ESQ_SR_ST_SU_SY_EESZ_S10_S11_S12_S16_S17_S18_S1B_S1C_jS1D_jS1E_S1E_jjS1G_bEUljE0_EEESZ_S10_S11_S18_S1C_S1E_T6_T7_T9_mT8_S1G_bDpT10_ENKUlT_T0_E_clISt17integral_constantIbLb0EES1U_EEDaS1P_S1Q_EUlS1P_E_NS1_11comp_targetILNS1_3genE10ELNS1_11target_archE1200ELNS1_3gpuE4ELNS1_3repE0EEENS1_30default_config_static_selectorELNS0_4arch9wavefront6targetE1EEEvS12_ ; -- Begin function _ZN7rocprim17ROCPRIM_400000_NS6detail17trampoline_kernelINS0_13select_configILj256ELj13ELNS0_17block_load_methodE3ELS4_3ELS4_3ELNS0_20block_scan_algorithmE0ELj4294967295EEENS1_25partition_config_selectorILNS1_17partition_subalgoE4EjNS0_10empty_typeEbEEZZNS1_14partition_implILS8_4ELb0ES6_15HIP_vector_typeIjLj2EENS0_17counting_iteratorIjlEEPS9_SG_NS0_5tupleIJPjSI_NS0_16reverse_iteratorISI_EEEEENSH_IJSG_SG_SG_EEES9_SI_JZNS1_25segmented_radix_sort_implINS0_14default_configELb0EPKsPsPKlPlN2at6native12_GLOBAL__N_18offset_tEEE10hipError_tPvRmT1_PNSt15iterator_traitsIS12_E10value_typeET2_T3_PNS13_IS18_E10value_typeET4_jRbjT5_S1E_jjP12ihipStream_tbEUljE_ZNSN_ISO_Lb0ESQ_SR_ST_SU_SY_EESZ_S10_S11_S12_S16_S17_S18_S1B_S1C_jS1D_jS1E_S1E_jjS1G_bEUljE0_EEESZ_S10_S11_S18_S1C_S1E_T6_T7_T9_mT8_S1G_bDpT10_ENKUlT_T0_E_clISt17integral_constantIbLb0EES1U_EEDaS1P_S1Q_EUlS1P_E_NS1_11comp_targetILNS1_3genE10ELNS1_11target_archE1200ELNS1_3gpuE4ELNS1_3repE0EEENS1_30default_config_static_selectorELNS0_4arch9wavefront6targetE1EEEvS12_
	.p2align	8
	.type	_ZN7rocprim17ROCPRIM_400000_NS6detail17trampoline_kernelINS0_13select_configILj256ELj13ELNS0_17block_load_methodE3ELS4_3ELS4_3ELNS0_20block_scan_algorithmE0ELj4294967295EEENS1_25partition_config_selectorILNS1_17partition_subalgoE4EjNS0_10empty_typeEbEEZZNS1_14partition_implILS8_4ELb0ES6_15HIP_vector_typeIjLj2EENS0_17counting_iteratorIjlEEPS9_SG_NS0_5tupleIJPjSI_NS0_16reverse_iteratorISI_EEEEENSH_IJSG_SG_SG_EEES9_SI_JZNS1_25segmented_radix_sort_implINS0_14default_configELb0EPKsPsPKlPlN2at6native12_GLOBAL__N_18offset_tEEE10hipError_tPvRmT1_PNSt15iterator_traitsIS12_E10value_typeET2_T3_PNS13_IS18_E10value_typeET4_jRbjT5_S1E_jjP12ihipStream_tbEUljE_ZNSN_ISO_Lb0ESQ_SR_ST_SU_SY_EESZ_S10_S11_S12_S16_S17_S18_S1B_S1C_jS1D_jS1E_S1E_jjS1G_bEUljE0_EEESZ_S10_S11_S18_S1C_S1E_T6_T7_T9_mT8_S1G_bDpT10_ENKUlT_T0_E_clISt17integral_constantIbLb0EES1U_EEDaS1P_S1Q_EUlS1P_E_NS1_11comp_targetILNS1_3genE10ELNS1_11target_archE1200ELNS1_3gpuE4ELNS1_3repE0EEENS1_30default_config_static_selectorELNS0_4arch9wavefront6targetE1EEEvS12_,@function
_ZN7rocprim17ROCPRIM_400000_NS6detail17trampoline_kernelINS0_13select_configILj256ELj13ELNS0_17block_load_methodE3ELS4_3ELS4_3ELNS0_20block_scan_algorithmE0ELj4294967295EEENS1_25partition_config_selectorILNS1_17partition_subalgoE4EjNS0_10empty_typeEbEEZZNS1_14partition_implILS8_4ELb0ES6_15HIP_vector_typeIjLj2EENS0_17counting_iteratorIjlEEPS9_SG_NS0_5tupleIJPjSI_NS0_16reverse_iteratorISI_EEEEENSH_IJSG_SG_SG_EEES9_SI_JZNS1_25segmented_radix_sort_implINS0_14default_configELb0EPKsPsPKlPlN2at6native12_GLOBAL__N_18offset_tEEE10hipError_tPvRmT1_PNSt15iterator_traitsIS12_E10value_typeET2_T3_PNS13_IS18_E10value_typeET4_jRbjT5_S1E_jjP12ihipStream_tbEUljE_ZNSN_ISO_Lb0ESQ_SR_ST_SU_SY_EESZ_S10_S11_S12_S16_S17_S18_S1B_S1C_jS1D_jS1E_S1E_jjS1G_bEUljE0_EEESZ_S10_S11_S18_S1C_S1E_T6_T7_T9_mT8_S1G_bDpT10_ENKUlT_T0_E_clISt17integral_constantIbLb0EES1U_EEDaS1P_S1Q_EUlS1P_E_NS1_11comp_targetILNS1_3genE10ELNS1_11target_archE1200ELNS1_3gpuE4ELNS1_3repE0EEENS1_30default_config_static_selectorELNS0_4arch9wavefront6targetE1EEEvS12_: ; @_ZN7rocprim17ROCPRIM_400000_NS6detail17trampoline_kernelINS0_13select_configILj256ELj13ELNS0_17block_load_methodE3ELS4_3ELS4_3ELNS0_20block_scan_algorithmE0ELj4294967295EEENS1_25partition_config_selectorILNS1_17partition_subalgoE4EjNS0_10empty_typeEbEEZZNS1_14partition_implILS8_4ELb0ES6_15HIP_vector_typeIjLj2EENS0_17counting_iteratorIjlEEPS9_SG_NS0_5tupleIJPjSI_NS0_16reverse_iteratorISI_EEEEENSH_IJSG_SG_SG_EEES9_SI_JZNS1_25segmented_radix_sort_implINS0_14default_configELb0EPKsPsPKlPlN2at6native12_GLOBAL__N_18offset_tEEE10hipError_tPvRmT1_PNSt15iterator_traitsIS12_E10value_typeET2_T3_PNS13_IS18_E10value_typeET4_jRbjT5_S1E_jjP12ihipStream_tbEUljE_ZNSN_ISO_Lb0ESQ_SR_ST_SU_SY_EESZ_S10_S11_S12_S16_S17_S18_S1B_S1C_jS1D_jS1E_S1E_jjS1G_bEUljE0_EEESZ_S10_S11_S18_S1C_S1E_T6_T7_T9_mT8_S1G_bDpT10_ENKUlT_T0_E_clISt17integral_constantIbLb0EES1U_EEDaS1P_S1Q_EUlS1P_E_NS1_11comp_targetILNS1_3genE10ELNS1_11target_archE1200ELNS1_3gpuE4ELNS1_3repE0EEENS1_30default_config_static_selectorELNS0_4arch9wavefront6targetE1EEEvS12_
; %bb.0:
	.section	.rodata,"a",@progbits
	.p2align	6, 0x0
	.amdhsa_kernel _ZN7rocprim17ROCPRIM_400000_NS6detail17trampoline_kernelINS0_13select_configILj256ELj13ELNS0_17block_load_methodE3ELS4_3ELS4_3ELNS0_20block_scan_algorithmE0ELj4294967295EEENS1_25partition_config_selectorILNS1_17partition_subalgoE4EjNS0_10empty_typeEbEEZZNS1_14partition_implILS8_4ELb0ES6_15HIP_vector_typeIjLj2EENS0_17counting_iteratorIjlEEPS9_SG_NS0_5tupleIJPjSI_NS0_16reverse_iteratorISI_EEEEENSH_IJSG_SG_SG_EEES9_SI_JZNS1_25segmented_radix_sort_implINS0_14default_configELb0EPKsPsPKlPlN2at6native12_GLOBAL__N_18offset_tEEE10hipError_tPvRmT1_PNSt15iterator_traitsIS12_E10value_typeET2_T3_PNS13_IS18_E10value_typeET4_jRbjT5_S1E_jjP12ihipStream_tbEUljE_ZNSN_ISO_Lb0ESQ_SR_ST_SU_SY_EESZ_S10_S11_S12_S16_S17_S18_S1B_S1C_jS1D_jS1E_S1E_jjS1G_bEUljE0_EEESZ_S10_S11_S18_S1C_S1E_T6_T7_T9_mT8_S1G_bDpT10_ENKUlT_T0_E_clISt17integral_constantIbLb0EES1U_EEDaS1P_S1Q_EUlS1P_E_NS1_11comp_targetILNS1_3genE10ELNS1_11target_archE1200ELNS1_3gpuE4ELNS1_3repE0EEENS1_30default_config_static_selectorELNS0_4arch9wavefront6targetE1EEEvS12_
		.amdhsa_group_segment_fixed_size 0
		.amdhsa_private_segment_fixed_size 0
		.amdhsa_kernarg_size 176
		.amdhsa_user_sgpr_count 6
		.amdhsa_user_sgpr_private_segment_buffer 1
		.amdhsa_user_sgpr_dispatch_ptr 0
		.amdhsa_user_sgpr_queue_ptr 0
		.amdhsa_user_sgpr_kernarg_segment_ptr 1
		.amdhsa_user_sgpr_dispatch_id 0
		.amdhsa_user_sgpr_flat_scratch_init 0
		.amdhsa_user_sgpr_private_segment_size 0
		.amdhsa_uses_dynamic_stack 0
		.amdhsa_system_sgpr_private_segment_wavefront_offset 0
		.amdhsa_system_sgpr_workgroup_id_x 1
		.amdhsa_system_sgpr_workgroup_id_y 0
		.amdhsa_system_sgpr_workgroup_id_z 0
		.amdhsa_system_sgpr_workgroup_info 0
		.amdhsa_system_vgpr_workitem_id 0
		.amdhsa_next_free_vgpr 1
		.amdhsa_next_free_sgpr 0
		.amdhsa_reserve_vcc 0
		.amdhsa_reserve_flat_scratch 0
		.amdhsa_float_round_mode_32 0
		.amdhsa_float_round_mode_16_64 0
		.amdhsa_float_denorm_mode_32 3
		.amdhsa_float_denorm_mode_16_64 3
		.amdhsa_dx10_clamp 1
		.amdhsa_ieee_mode 1
		.amdhsa_fp16_overflow 0
		.amdhsa_exception_fp_ieee_invalid_op 0
		.amdhsa_exception_fp_denorm_src 0
		.amdhsa_exception_fp_ieee_div_zero 0
		.amdhsa_exception_fp_ieee_overflow 0
		.amdhsa_exception_fp_ieee_underflow 0
		.amdhsa_exception_fp_ieee_inexact 0
		.amdhsa_exception_int_div_zero 0
	.end_amdhsa_kernel
	.section	.text._ZN7rocprim17ROCPRIM_400000_NS6detail17trampoline_kernelINS0_13select_configILj256ELj13ELNS0_17block_load_methodE3ELS4_3ELS4_3ELNS0_20block_scan_algorithmE0ELj4294967295EEENS1_25partition_config_selectorILNS1_17partition_subalgoE4EjNS0_10empty_typeEbEEZZNS1_14partition_implILS8_4ELb0ES6_15HIP_vector_typeIjLj2EENS0_17counting_iteratorIjlEEPS9_SG_NS0_5tupleIJPjSI_NS0_16reverse_iteratorISI_EEEEENSH_IJSG_SG_SG_EEES9_SI_JZNS1_25segmented_radix_sort_implINS0_14default_configELb0EPKsPsPKlPlN2at6native12_GLOBAL__N_18offset_tEEE10hipError_tPvRmT1_PNSt15iterator_traitsIS12_E10value_typeET2_T3_PNS13_IS18_E10value_typeET4_jRbjT5_S1E_jjP12ihipStream_tbEUljE_ZNSN_ISO_Lb0ESQ_SR_ST_SU_SY_EESZ_S10_S11_S12_S16_S17_S18_S1B_S1C_jS1D_jS1E_S1E_jjS1G_bEUljE0_EEESZ_S10_S11_S18_S1C_S1E_T6_T7_T9_mT8_S1G_bDpT10_ENKUlT_T0_E_clISt17integral_constantIbLb0EES1U_EEDaS1P_S1Q_EUlS1P_E_NS1_11comp_targetILNS1_3genE10ELNS1_11target_archE1200ELNS1_3gpuE4ELNS1_3repE0EEENS1_30default_config_static_selectorELNS0_4arch9wavefront6targetE1EEEvS12_,"axG",@progbits,_ZN7rocprim17ROCPRIM_400000_NS6detail17trampoline_kernelINS0_13select_configILj256ELj13ELNS0_17block_load_methodE3ELS4_3ELS4_3ELNS0_20block_scan_algorithmE0ELj4294967295EEENS1_25partition_config_selectorILNS1_17partition_subalgoE4EjNS0_10empty_typeEbEEZZNS1_14partition_implILS8_4ELb0ES6_15HIP_vector_typeIjLj2EENS0_17counting_iteratorIjlEEPS9_SG_NS0_5tupleIJPjSI_NS0_16reverse_iteratorISI_EEEEENSH_IJSG_SG_SG_EEES9_SI_JZNS1_25segmented_radix_sort_implINS0_14default_configELb0EPKsPsPKlPlN2at6native12_GLOBAL__N_18offset_tEEE10hipError_tPvRmT1_PNSt15iterator_traitsIS12_E10value_typeET2_T3_PNS13_IS18_E10value_typeET4_jRbjT5_S1E_jjP12ihipStream_tbEUljE_ZNSN_ISO_Lb0ESQ_SR_ST_SU_SY_EESZ_S10_S11_S12_S16_S17_S18_S1B_S1C_jS1D_jS1E_S1E_jjS1G_bEUljE0_EEESZ_S10_S11_S18_S1C_S1E_T6_T7_T9_mT8_S1G_bDpT10_ENKUlT_T0_E_clISt17integral_constantIbLb0EES1U_EEDaS1P_S1Q_EUlS1P_E_NS1_11comp_targetILNS1_3genE10ELNS1_11target_archE1200ELNS1_3gpuE4ELNS1_3repE0EEENS1_30default_config_static_selectorELNS0_4arch9wavefront6targetE1EEEvS12_,comdat
.Lfunc_end955:
	.size	_ZN7rocprim17ROCPRIM_400000_NS6detail17trampoline_kernelINS0_13select_configILj256ELj13ELNS0_17block_load_methodE3ELS4_3ELS4_3ELNS0_20block_scan_algorithmE0ELj4294967295EEENS1_25partition_config_selectorILNS1_17partition_subalgoE4EjNS0_10empty_typeEbEEZZNS1_14partition_implILS8_4ELb0ES6_15HIP_vector_typeIjLj2EENS0_17counting_iteratorIjlEEPS9_SG_NS0_5tupleIJPjSI_NS0_16reverse_iteratorISI_EEEEENSH_IJSG_SG_SG_EEES9_SI_JZNS1_25segmented_radix_sort_implINS0_14default_configELb0EPKsPsPKlPlN2at6native12_GLOBAL__N_18offset_tEEE10hipError_tPvRmT1_PNSt15iterator_traitsIS12_E10value_typeET2_T3_PNS13_IS18_E10value_typeET4_jRbjT5_S1E_jjP12ihipStream_tbEUljE_ZNSN_ISO_Lb0ESQ_SR_ST_SU_SY_EESZ_S10_S11_S12_S16_S17_S18_S1B_S1C_jS1D_jS1E_S1E_jjS1G_bEUljE0_EEESZ_S10_S11_S18_S1C_S1E_T6_T7_T9_mT8_S1G_bDpT10_ENKUlT_T0_E_clISt17integral_constantIbLb0EES1U_EEDaS1P_S1Q_EUlS1P_E_NS1_11comp_targetILNS1_3genE10ELNS1_11target_archE1200ELNS1_3gpuE4ELNS1_3repE0EEENS1_30default_config_static_selectorELNS0_4arch9wavefront6targetE1EEEvS12_, .Lfunc_end955-_ZN7rocprim17ROCPRIM_400000_NS6detail17trampoline_kernelINS0_13select_configILj256ELj13ELNS0_17block_load_methodE3ELS4_3ELS4_3ELNS0_20block_scan_algorithmE0ELj4294967295EEENS1_25partition_config_selectorILNS1_17partition_subalgoE4EjNS0_10empty_typeEbEEZZNS1_14partition_implILS8_4ELb0ES6_15HIP_vector_typeIjLj2EENS0_17counting_iteratorIjlEEPS9_SG_NS0_5tupleIJPjSI_NS0_16reverse_iteratorISI_EEEEENSH_IJSG_SG_SG_EEES9_SI_JZNS1_25segmented_radix_sort_implINS0_14default_configELb0EPKsPsPKlPlN2at6native12_GLOBAL__N_18offset_tEEE10hipError_tPvRmT1_PNSt15iterator_traitsIS12_E10value_typeET2_T3_PNS13_IS18_E10value_typeET4_jRbjT5_S1E_jjP12ihipStream_tbEUljE_ZNSN_ISO_Lb0ESQ_SR_ST_SU_SY_EESZ_S10_S11_S12_S16_S17_S18_S1B_S1C_jS1D_jS1E_S1E_jjS1G_bEUljE0_EEESZ_S10_S11_S18_S1C_S1E_T6_T7_T9_mT8_S1G_bDpT10_ENKUlT_T0_E_clISt17integral_constantIbLb0EES1U_EEDaS1P_S1Q_EUlS1P_E_NS1_11comp_targetILNS1_3genE10ELNS1_11target_archE1200ELNS1_3gpuE4ELNS1_3repE0EEENS1_30default_config_static_selectorELNS0_4arch9wavefront6targetE1EEEvS12_
                                        ; -- End function
	.set _ZN7rocprim17ROCPRIM_400000_NS6detail17trampoline_kernelINS0_13select_configILj256ELj13ELNS0_17block_load_methodE3ELS4_3ELS4_3ELNS0_20block_scan_algorithmE0ELj4294967295EEENS1_25partition_config_selectorILNS1_17partition_subalgoE4EjNS0_10empty_typeEbEEZZNS1_14partition_implILS8_4ELb0ES6_15HIP_vector_typeIjLj2EENS0_17counting_iteratorIjlEEPS9_SG_NS0_5tupleIJPjSI_NS0_16reverse_iteratorISI_EEEEENSH_IJSG_SG_SG_EEES9_SI_JZNS1_25segmented_radix_sort_implINS0_14default_configELb0EPKsPsPKlPlN2at6native12_GLOBAL__N_18offset_tEEE10hipError_tPvRmT1_PNSt15iterator_traitsIS12_E10value_typeET2_T3_PNS13_IS18_E10value_typeET4_jRbjT5_S1E_jjP12ihipStream_tbEUljE_ZNSN_ISO_Lb0ESQ_SR_ST_SU_SY_EESZ_S10_S11_S12_S16_S17_S18_S1B_S1C_jS1D_jS1E_S1E_jjS1G_bEUljE0_EEESZ_S10_S11_S18_S1C_S1E_T6_T7_T9_mT8_S1G_bDpT10_ENKUlT_T0_E_clISt17integral_constantIbLb0EES1U_EEDaS1P_S1Q_EUlS1P_E_NS1_11comp_targetILNS1_3genE10ELNS1_11target_archE1200ELNS1_3gpuE4ELNS1_3repE0EEENS1_30default_config_static_selectorELNS0_4arch9wavefront6targetE1EEEvS12_.num_vgpr, 0
	.set _ZN7rocprim17ROCPRIM_400000_NS6detail17trampoline_kernelINS0_13select_configILj256ELj13ELNS0_17block_load_methodE3ELS4_3ELS4_3ELNS0_20block_scan_algorithmE0ELj4294967295EEENS1_25partition_config_selectorILNS1_17partition_subalgoE4EjNS0_10empty_typeEbEEZZNS1_14partition_implILS8_4ELb0ES6_15HIP_vector_typeIjLj2EENS0_17counting_iteratorIjlEEPS9_SG_NS0_5tupleIJPjSI_NS0_16reverse_iteratorISI_EEEEENSH_IJSG_SG_SG_EEES9_SI_JZNS1_25segmented_radix_sort_implINS0_14default_configELb0EPKsPsPKlPlN2at6native12_GLOBAL__N_18offset_tEEE10hipError_tPvRmT1_PNSt15iterator_traitsIS12_E10value_typeET2_T3_PNS13_IS18_E10value_typeET4_jRbjT5_S1E_jjP12ihipStream_tbEUljE_ZNSN_ISO_Lb0ESQ_SR_ST_SU_SY_EESZ_S10_S11_S12_S16_S17_S18_S1B_S1C_jS1D_jS1E_S1E_jjS1G_bEUljE0_EEESZ_S10_S11_S18_S1C_S1E_T6_T7_T9_mT8_S1G_bDpT10_ENKUlT_T0_E_clISt17integral_constantIbLb0EES1U_EEDaS1P_S1Q_EUlS1P_E_NS1_11comp_targetILNS1_3genE10ELNS1_11target_archE1200ELNS1_3gpuE4ELNS1_3repE0EEENS1_30default_config_static_selectorELNS0_4arch9wavefront6targetE1EEEvS12_.num_agpr, 0
	.set _ZN7rocprim17ROCPRIM_400000_NS6detail17trampoline_kernelINS0_13select_configILj256ELj13ELNS0_17block_load_methodE3ELS4_3ELS4_3ELNS0_20block_scan_algorithmE0ELj4294967295EEENS1_25partition_config_selectorILNS1_17partition_subalgoE4EjNS0_10empty_typeEbEEZZNS1_14partition_implILS8_4ELb0ES6_15HIP_vector_typeIjLj2EENS0_17counting_iteratorIjlEEPS9_SG_NS0_5tupleIJPjSI_NS0_16reverse_iteratorISI_EEEEENSH_IJSG_SG_SG_EEES9_SI_JZNS1_25segmented_radix_sort_implINS0_14default_configELb0EPKsPsPKlPlN2at6native12_GLOBAL__N_18offset_tEEE10hipError_tPvRmT1_PNSt15iterator_traitsIS12_E10value_typeET2_T3_PNS13_IS18_E10value_typeET4_jRbjT5_S1E_jjP12ihipStream_tbEUljE_ZNSN_ISO_Lb0ESQ_SR_ST_SU_SY_EESZ_S10_S11_S12_S16_S17_S18_S1B_S1C_jS1D_jS1E_S1E_jjS1G_bEUljE0_EEESZ_S10_S11_S18_S1C_S1E_T6_T7_T9_mT8_S1G_bDpT10_ENKUlT_T0_E_clISt17integral_constantIbLb0EES1U_EEDaS1P_S1Q_EUlS1P_E_NS1_11comp_targetILNS1_3genE10ELNS1_11target_archE1200ELNS1_3gpuE4ELNS1_3repE0EEENS1_30default_config_static_selectorELNS0_4arch9wavefront6targetE1EEEvS12_.numbered_sgpr, 0
	.set _ZN7rocprim17ROCPRIM_400000_NS6detail17trampoline_kernelINS0_13select_configILj256ELj13ELNS0_17block_load_methodE3ELS4_3ELS4_3ELNS0_20block_scan_algorithmE0ELj4294967295EEENS1_25partition_config_selectorILNS1_17partition_subalgoE4EjNS0_10empty_typeEbEEZZNS1_14partition_implILS8_4ELb0ES6_15HIP_vector_typeIjLj2EENS0_17counting_iteratorIjlEEPS9_SG_NS0_5tupleIJPjSI_NS0_16reverse_iteratorISI_EEEEENSH_IJSG_SG_SG_EEES9_SI_JZNS1_25segmented_radix_sort_implINS0_14default_configELb0EPKsPsPKlPlN2at6native12_GLOBAL__N_18offset_tEEE10hipError_tPvRmT1_PNSt15iterator_traitsIS12_E10value_typeET2_T3_PNS13_IS18_E10value_typeET4_jRbjT5_S1E_jjP12ihipStream_tbEUljE_ZNSN_ISO_Lb0ESQ_SR_ST_SU_SY_EESZ_S10_S11_S12_S16_S17_S18_S1B_S1C_jS1D_jS1E_S1E_jjS1G_bEUljE0_EEESZ_S10_S11_S18_S1C_S1E_T6_T7_T9_mT8_S1G_bDpT10_ENKUlT_T0_E_clISt17integral_constantIbLb0EES1U_EEDaS1P_S1Q_EUlS1P_E_NS1_11comp_targetILNS1_3genE10ELNS1_11target_archE1200ELNS1_3gpuE4ELNS1_3repE0EEENS1_30default_config_static_selectorELNS0_4arch9wavefront6targetE1EEEvS12_.num_named_barrier, 0
	.set _ZN7rocprim17ROCPRIM_400000_NS6detail17trampoline_kernelINS0_13select_configILj256ELj13ELNS0_17block_load_methodE3ELS4_3ELS4_3ELNS0_20block_scan_algorithmE0ELj4294967295EEENS1_25partition_config_selectorILNS1_17partition_subalgoE4EjNS0_10empty_typeEbEEZZNS1_14partition_implILS8_4ELb0ES6_15HIP_vector_typeIjLj2EENS0_17counting_iteratorIjlEEPS9_SG_NS0_5tupleIJPjSI_NS0_16reverse_iteratorISI_EEEEENSH_IJSG_SG_SG_EEES9_SI_JZNS1_25segmented_radix_sort_implINS0_14default_configELb0EPKsPsPKlPlN2at6native12_GLOBAL__N_18offset_tEEE10hipError_tPvRmT1_PNSt15iterator_traitsIS12_E10value_typeET2_T3_PNS13_IS18_E10value_typeET4_jRbjT5_S1E_jjP12ihipStream_tbEUljE_ZNSN_ISO_Lb0ESQ_SR_ST_SU_SY_EESZ_S10_S11_S12_S16_S17_S18_S1B_S1C_jS1D_jS1E_S1E_jjS1G_bEUljE0_EEESZ_S10_S11_S18_S1C_S1E_T6_T7_T9_mT8_S1G_bDpT10_ENKUlT_T0_E_clISt17integral_constantIbLb0EES1U_EEDaS1P_S1Q_EUlS1P_E_NS1_11comp_targetILNS1_3genE10ELNS1_11target_archE1200ELNS1_3gpuE4ELNS1_3repE0EEENS1_30default_config_static_selectorELNS0_4arch9wavefront6targetE1EEEvS12_.private_seg_size, 0
	.set _ZN7rocprim17ROCPRIM_400000_NS6detail17trampoline_kernelINS0_13select_configILj256ELj13ELNS0_17block_load_methodE3ELS4_3ELS4_3ELNS0_20block_scan_algorithmE0ELj4294967295EEENS1_25partition_config_selectorILNS1_17partition_subalgoE4EjNS0_10empty_typeEbEEZZNS1_14partition_implILS8_4ELb0ES6_15HIP_vector_typeIjLj2EENS0_17counting_iteratorIjlEEPS9_SG_NS0_5tupleIJPjSI_NS0_16reverse_iteratorISI_EEEEENSH_IJSG_SG_SG_EEES9_SI_JZNS1_25segmented_radix_sort_implINS0_14default_configELb0EPKsPsPKlPlN2at6native12_GLOBAL__N_18offset_tEEE10hipError_tPvRmT1_PNSt15iterator_traitsIS12_E10value_typeET2_T3_PNS13_IS18_E10value_typeET4_jRbjT5_S1E_jjP12ihipStream_tbEUljE_ZNSN_ISO_Lb0ESQ_SR_ST_SU_SY_EESZ_S10_S11_S12_S16_S17_S18_S1B_S1C_jS1D_jS1E_S1E_jjS1G_bEUljE0_EEESZ_S10_S11_S18_S1C_S1E_T6_T7_T9_mT8_S1G_bDpT10_ENKUlT_T0_E_clISt17integral_constantIbLb0EES1U_EEDaS1P_S1Q_EUlS1P_E_NS1_11comp_targetILNS1_3genE10ELNS1_11target_archE1200ELNS1_3gpuE4ELNS1_3repE0EEENS1_30default_config_static_selectorELNS0_4arch9wavefront6targetE1EEEvS12_.uses_vcc, 0
	.set _ZN7rocprim17ROCPRIM_400000_NS6detail17trampoline_kernelINS0_13select_configILj256ELj13ELNS0_17block_load_methodE3ELS4_3ELS4_3ELNS0_20block_scan_algorithmE0ELj4294967295EEENS1_25partition_config_selectorILNS1_17partition_subalgoE4EjNS0_10empty_typeEbEEZZNS1_14partition_implILS8_4ELb0ES6_15HIP_vector_typeIjLj2EENS0_17counting_iteratorIjlEEPS9_SG_NS0_5tupleIJPjSI_NS0_16reverse_iteratorISI_EEEEENSH_IJSG_SG_SG_EEES9_SI_JZNS1_25segmented_radix_sort_implINS0_14default_configELb0EPKsPsPKlPlN2at6native12_GLOBAL__N_18offset_tEEE10hipError_tPvRmT1_PNSt15iterator_traitsIS12_E10value_typeET2_T3_PNS13_IS18_E10value_typeET4_jRbjT5_S1E_jjP12ihipStream_tbEUljE_ZNSN_ISO_Lb0ESQ_SR_ST_SU_SY_EESZ_S10_S11_S12_S16_S17_S18_S1B_S1C_jS1D_jS1E_S1E_jjS1G_bEUljE0_EEESZ_S10_S11_S18_S1C_S1E_T6_T7_T9_mT8_S1G_bDpT10_ENKUlT_T0_E_clISt17integral_constantIbLb0EES1U_EEDaS1P_S1Q_EUlS1P_E_NS1_11comp_targetILNS1_3genE10ELNS1_11target_archE1200ELNS1_3gpuE4ELNS1_3repE0EEENS1_30default_config_static_selectorELNS0_4arch9wavefront6targetE1EEEvS12_.uses_flat_scratch, 0
	.set _ZN7rocprim17ROCPRIM_400000_NS6detail17trampoline_kernelINS0_13select_configILj256ELj13ELNS0_17block_load_methodE3ELS4_3ELS4_3ELNS0_20block_scan_algorithmE0ELj4294967295EEENS1_25partition_config_selectorILNS1_17partition_subalgoE4EjNS0_10empty_typeEbEEZZNS1_14partition_implILS8_4ELb0ES6_15HIP_vector_typeIjLj2EENS0_17counting_iteratorIjlEEPS9_SG_NS0_5tupleIJPjSI_NS0_16reverse_iteratorISI_EEEEENSH_IJSG_SG_SG_EEES9_SI_JZNS1_25segmented_radix_sort_implINS0_14default_configELb0EPKsPsPKlPlN2at6native12_GLOBAL__N_18offset_tEEE10hipError_tPvRmT1_PNSt15iterator_traitsIS12_E10value_typeET2_T3_PNS13_IS18_E10value_typeET4_jRbjT5_S1E_jjP12ihipStream_tbEUljE_ZNSN_ISO_Lb0ESQ_SR_ST_SU_SY_EESZ_S10_S11_S12_S16_S17_S18_S1B_S1C_jS1D_jS1E_S1E_jjS1G_bEUljE0_EEESZ_S10_S11_S18_S1C_S1E_T6_T7_T9_mT8_S1G_bDpT10_ENKUlT_T0_E_clISt17integral_constantIbLb0EES1U_EEDaS1P_S1Q_EUlS1P_E_NS1_11comp_targetILNS1_3genE10ELNS1_11target_archE1200ELNS1_3gpuE4ELNS1_3repE0EEENS1_30default_config_static_selectorELNS0_4arch9wavefront6targetE1EEEvS12_.has_dyn_sized_stack, 0
	.set _ZN7rocprim17ROCPRIM_400000_NS6detail17trampoline_kernelINS0_13select_configILj256ELj13ELNS0_17block_load_methodE3ELS4_3ELS4_3ELNS0_20block_scan_algorithmE0ELj4294967295EEENS1_25partition_config_selectorILNS1_17partition_subalgoE4EjNS0_10empty_typeEbEEZZNS1_14partition_implILS8_4ELb0ES6_15HIP_vector_typeIjLj2EENS0_17counting_iteratorIjlEEPS9_SG_NS0_5tupleIJPjSI_NS0_16reverse_iteratorISI_EEEEENSH_IJSG_SG_SG_EEES9_SI_JZNS1_25segmented_radix_sort_implINS0_14default_configELb0EPKsPsPKlPlN2at6native12_GLOBAL__N_18offset_tEEE10hipError_tPvRmT1_PNSt15iterator_traitsIS12_E10value_typeET2_T3_PNS13_IS18_E10value_typeET4_jRbjT5_S1E_jjP12ihipStream_tbEUljE_ZNSN_ISO_Lb0ESQ_SR_ST_SU_SY_EESZ_S10_S11_S12_S16_S17_S18_S1B_S1C_jS1D_jS1E_S1E_jjS1G_bEUljE0_EEESZ_S10_S11_S18_S1C_S1E_T6_T7_T9_mT8_S1G_bDpT10_ENKUlT_T0_E_clISt17integral_constantIbLb0EES1U_EEDaS1P_S1Q_EUlS1P_E_NS1_11comp_targetILNS1_3genE10ELNS1_11target_archE1200ELNS1_3gpuE4ELNS1_3repE0EEENS1_30default_config_static_selectorELNS0_4arch9wavefront6targetE1EEEvS12_.has_recursion, 0
	.set _ZN7rocprim17ROCPRIM_400000_NS6detail17trampoline_kernelINS0_13select_configILj256ELj13ELNS0_17block_load_methodE3ELS4_3ELS4_3ELNS0_20block_scan_algorithmE0ELj4294967295EEENS1_25partition_config_selectorILNS1_17partition_subalgoE4EjNS0_10empty_typeEbEEZZNS1_14partition_implILS8_4ELb0ES6_15HIP_vector_typeIjLj2EENS0_17counting_iteratorIjlEEPS9_SG_NS0_5tupleIJPjSI_NS0_16reverse_iteratorISI_EEEEENSH_IJSG_SG_SG_EEES9_SI_JZNS1_25segmented_radix_sort_implINS0_14default_configELb0EPKsPsPKlPlN2at6native12_GLOBAL__N_18offset_tEEE10hipError_tPvRmT1_PNSt15iterator_traitsIS12_E10value_typeET2_T3_PNS13_IS18_E10value_typeET4_jRbjT5_S1E_jjP12ihipStream_tbEUljE_ZNSN_ISO_Lb0ESQ_SR_ST_SU_SY_EESZ_S10_S11_S12_S16_S17_S18_S1B_S1C_jS1D_jS1E_S1E_jjS1G_bEUljE0_EEESZ_S10_S11_S18_S1C_S1E_T6_T7_T9_mT8_S1G_bDpT10_ENKUlT_T0_E_clISt17integral_constantIbLb0EES1U_EEDaS1P_S1Q_EUlS1P_E_NS1_11comp_targetILNS1_3genE10ELNS1_11target_archE1200ELNS1_3gpuE4ELNS1_3repE0EEENS1_30default_config_static_selectorELNS0_4arch9wavefront6targetE1EEEvS12_.has_indirect_call, 0
	.section	.AMDGPU.csdata,"",@progbits
; Kernel info:
; codeLenInByte = 0
; TotalNumSgprs: 4
; NumVgprs: 0
; ScratchSize: 0
; MemoryBound: 0
; FloatMode: 240
; IeeeMode: 1
; LDSByteSize: 0 bytes/workgroup (compile time only)
; SGPRBlocks: 0
; VGPRBlocks: 0
; NumSGPRsForWavesPerEU: 4
; NumVGPRsForWavesPerEU: 1
; Occupancy: 10
; WaveLimiterHint : 0
; COMPUTE_PGM_RSRC2:SCRATCH_EN: 0
; COMPUTE_PGM_RSRC2:USER_SGPR: 6
; COMPUTE_PGM_RSRC2:TRAP_HANDLER: 0
; COMPUTE_PGM_RSRC2:TGID_X_EN: 1
; COMPUTE_PGM_RSRC2:TGID_Y_EN: 0
; COMPUTE_PGM_RSRC2:TGID_Z_EN: 0
; COMPUTE_PGM_RSRC2:TIDIG_COMP_CNT: 0
	.section	.text._ZN7rocprim17ROCPRIM_400000_NS6detail17trampoline_kernelINS0_13select_configILj256ELj13ELNS0_17block_load_methodE3ELS4_3ELS4_3ELNS0_20block_scan_algorithmE0ELj4294967295EEENS1_25partition_config_selectorILNS1_17partition_subalgoE4EjNS0_10empty_typeEbEEZZNS1_14partition_implILS8_4ELb0ES6_15HIP_vector_typeIjLj2EENS0_17counting_iteratorIjlEEPS9_SG_NS0_5tupleIJPjSI_NS0_16reverse_iteratorISI_EEEEENSH_IJSG_SG_SG_EEES9_SI_JZNS1_25segmented_radix_sort_implINS0_14default_configELb0EPKsPsPKlPlN2at6native12_GLOBAL__N_18offset_tEEE10hipError_tPvRmT1_PNSt15iterator_traitsIS12_E10value_typeET2_T3_PNS13_IS18_E10value_typeET4_jRbjT5_S1E_jjP12ihipStream_tbEUljE_ZNSN_ISO_Lb0ESQ_SR_ST_SU_SY_EESZ_S10_S11_S12_S16_S17_S18_S1B_S1C_jS1D_jS1E_S1E_jjS1G_bEUljE0_EEESZ_S10_S11_S18_S1C_S1E_T6_T7_T9_mT8_S1G_bDpT10_ENKUlT_T0_E_clISt17integral_constantIbLb0EES1U_EEDaS1P_S1Q_EUlS1P_E_NS1_11comp_targetILNS1_3genE9ELNS1_11target_archE1100ELNS1_3gpuE3ELNS1_3repE0EEENS1_30default_config_static_selectorELNS0_4arch9wavefront6targetE1EEEvS12_,"axG",@progbits,_ZN7rocprim17ROCPRIM_400000_NS6detail17trampoline_kernelINS0_13select_configILj256ELj13ELNS0_17block_load_methodE3ELS4_3ELS4_3ELNS0_20block_scan_algorithmE0ELj4294967295EEENS1_25partition_config_selectorILNS1_17partition_subalgoE4EjNS0_10empty_typeEbEEZZNS1_14partition_implILS8_4ELb0ES6_15HIP_vector_typeIjLj2EENS0_17counting_iteratorIjlEEPS9_SG_NS0_5tupleIJPjSI_NS0_16reverse_iteratorISI_EEEEENSH_IJSG_SG_SG_EEES9_SI_JZNS1_25segmented_radix_sort_implINS0_14default_configELb0EPKsPsPKlPlN2at6native12_GLOBAL__N_18offset_tEEE10hipError_tPvRmT1_PNSt15iterator_traitsIS12_E10value_typeET2_T3_PNS13_IS18_E10value_typeET4_jRbjT5_S1E_jjP12ihipStream_tbEUljE_ZNSN_ISO_Lb0ESQ_SR_ST_SU_SY_EESZ_S10_S11_S12_S16_S17_S18_S1B_S1C_jS1D_jS1E_S1E_jjS1G_bEUljE0_EEESZ_S10_S11_S18_S1C_S1E_T6_T7_T9_mT8_S1G_bDpT10_ENKUlT_T0_E_clISt17integral_constantIbLb0EES1U_EEDaS1P_S1Q_EUlS1P_E_NS1_11comp_targetILNS1_3genE9ELNS1_11target_archE1100ELNS1_3gpuE3ELNS1_3repE0EEENS1_30default_config_static_selectorELNS0_4arch9wavefront6targetE1EEEvS12_,comdat
	.globl	_ZN7rocprim17ROCPRIM_400000_NS6detail17trampoline_kernelINS0_13select_configILj256ELj13ELNS0_17block_load_methodE3ELS4_3ELS4_3ELNS0_20block_scan_algorithmE0ELj4294967295EEENS1_25partition_config_selectorILNS1_17partition_subalgoE4EjNS0_10empty_typeEbEEZZNS1_14partition_implILS8_4ELb0ES6_15HIP_vector_typeIjLj2EENS0_17counting_iteratorIjlEEPS9_SG_NS0_5tupleIJPjSI_NS0_16reverse_iteratorISI_EEEEENSH_IJSG_SG_SG_EEES9_SI_JZNS1_25segmented_radix_sort_implINS0_14default_configELb0EPKsPsPKlPlN2at6native12_GLOBAL__N_18offset_tEEE10hipError_tPvRmT1_PNSt15iterator_traitsIS12_E10value_typeET2_T3_PNS13_IS18_E10value_typeET4_jRbjT5_S1E_jjP12ihipStream_tbEUljE_ZNSN_ISO_Lb0ESQ_SR_ST_SU_SY_EESZ_S10_S11_S12_S16_S17_S18_S1B_S1C_jS1D_jS1E_S1E_jjS1G_bEUljE0_EEESZ_S10_S11_S18_S1C_S1E_T6_T7_T9_mT8_S1G_bDpT10_ENKUlT_T0_E_clISt17integral_constantIbLb0EES1U_EEDaS1P_S1Q_EUlS1P_E_NS1_11comp_targetILNS1_3genE9ELNS1_11target_archE1100ELNS1_3gpuE3ELNS1_3repE0EEENS1_30default_config_static_selectorELNS0_4arch9wavefront6targetE1EEEvS12_ ; -- Begin function _ZN7rocprim17ROCPRIM_400000_NS6detail17trampoline_kernelINS0_13select_configILj256ELj13ELNS0_17block_load_methodE3ELS4_3ELS4_3ELNS0_20block_scan_algorithmE0ELj4294967295EEENS1_25partition_config_selectorILNS1_17partition_subalgoE4EjNS0_10empty_typeEbEEZZNS1_14partition_implILS8_4ELb0ES6_15HIP_vector_typeIjLj2EENS0_17counting_iteratorIjlEEPS9_SG_NS0_5tupleIJPjSI_NS0_16reverse_iteratorISI_EEEEENSH_IJSG_SG_SG_EEES9_SI_JZNS1_25segmented_radix_sort_implINS0_14default_configELb0EPKsPsPKlPlN2at6native12_GLOBAL__N_18offset_tEEE10hipError_tPvRmT1_PNSt15iterator_traitsIS12_E10value_typeET2_T3_PNS13_IS18_E10value_typeET4_jRbjT5_S1E_jjP12ihipStream_tbEUljE_ZNSN_ISO_Lb0ESQ_SR_ST_SU_SY_EESZ_S10_S11_S12_S16_S17_S18_S1B_S1C_jS1D_jS1E_S1E_jjS1G_bEUljE0_EEESZ_S10_S11_S18_S1C_S1E_T6_T7_T9_mT8_S1G_bDpT10_ENKUlT_T0_E_clISt17integral_constantIbLb0EES1U_EEDaS1P_S1Q_EUlS1P_E_NS1_11comp_targetILNS1_3genE9ELNS1_11target_archE1100ELNS1_3gpuE3ELNS1_3repE0EEENS1_30default_config_static_selectorELNS0_4arch9wavefront6targetE1EEEvS12_
	.p2align	8
	.type	_ZN7rocprim17ROCPRIM_400000_NS6detail17trampoline_kernelINS0_13select_configILj256ELj13ELNS0_17block_load_methodE3ELS4_3ELS4_3ELNS0_20block_scan_algorithmE0ELj4294967295EEENS1_25partition_config_selectorILNS1_17partition_subalgoE4EjNS0_10empty_typeEbEEZZNS1_14partition_implILS8_4ELb0ES6_15HIP_vector_typeIjLj2EENS0_17counting_iteratorIjlEEPS9_SG_NS0_5tupleIJPjSI_NS0_16reverse_iteratorISI_EEEEENSH_IJSG_SG_SG_EEES9_SI_JZNS1_25segmented_radix_sort_implINS0_14default_configELb0EPKsPsPKlPlN2at6native12_GLOBAL__N_18offset_tEEE10hipError_tPvRmT1_PNSt15iterator_traitsIS12_E10value_typeET2_T3_PNS13_IS18_E10value_typeET4_jRbjT5_S1E_jjP12ihipStream_tbEUljE_ZNSN_ISO_Lb0ESQ_SR_ST_SU_SY_EESZ_S10_S11_S12_S16_S17_S18_S1B_S1C_jS1D_jS1E_S1E_jjS1G_bEUljE0_EEESZ_S10_S11_S18_S1C_S1E_T6_T7_T9_mT8_S1G_bDpT10_ENKUlT_T0_E_clISt17integral_constantIbLb0EES1U_EEDaS1P_S1Q_EUlS1P_E_NS1_11comp_targetILNS1_3genE9ELNS1_11target_archE1100ELNS1_3gpuE3ELNS1_3repE0EEENS1_30default_config_static_selectorELNS0_4arch9wavefront6targetE1EEEvS12_,@function
_ZN7rocprim17ROCPRIM_400000_NS6detail17trampoline_kernelINS0_13select_configILj256ELj13ELNS0_17block_load_methodE3ELS4_3ELS4_3ELNS0_20block_scan_algorithmE0ELj4294967295EEENS1_25partition_config_selectorILNS1_17partition_subalgoE4EjNS0_10empty_typeEbEEZZNS1_14partition_implILS8_4ELb0ES6_15HIP_vector_typeIjLj2EENS0_17counting_iteratorIjlEEPS9_SG_NS0_5tupleIJPjSI_NS0_16reverse_iteratorISI_EEEEENSH_IJSG_SG_SG_EEES9_SI_JZNS1_25segmented_radix_sort_implINS0_14default_configELb0EPKsPsPKlPlN2at6native12_GLOBAL__N_18offset_tEEE10hipError_tPvRmT1_PNSt15iterator_traitsIS12_E10value_typeET2_T3_PNS13_IS18_E10value_typeET4_jRbjT5_S1E_jjP12ihipStream_tbEUljE_ZNSN_ISO_Lb0ESQ_SR_ST_SU_SY_EESZ_S10_S11_S12_S16_S17_S18_S1B_S1C_jS1D_jS1E_S1E_jjS1G_bEUljE0_EEESZ_S10_S11_S18_S1C_S1E_T6_T7_T9_mT8_S1G_bDpT10_ENKUlT_T0_E_clISt17integral_constantIbLb0EES1U_EEDaS1P_S1Q_EUlS1P_E_NS1_11comp_targetILNS1_3genE9ELNS1_11target_archE1100ELNS1_3gpuE3ELNS1_3repE0EEENS1_30default_config_static_selectorELNS0_4arch9wavefront6targetE1EEEvS12_: ; @_ZN7rocprim17ROCPRIM_400000_NS6detail17trampoline_kernelINS0_13select_configILj256ELj13ELNS0_17block_load_methodE3ELS4_3ELS4_3ELNS0_20block_scan_algorithmE0ELj4294967295EEENS1_25partition_config_selectorILNS1_17partition_subalgoE4EjNS0_10empty_typeEbEEZZNS1_14partition_implILS8_4ELb0ES6_15HIP_vector_typeIjLj2EENS0_17counting_iteratorIjlEEPS9_SG_NS0_5tupleIJPjSI_NS0_16reverse_iteratorISI_EEEEENSH_IJSG_SG_SG_EEES9_SI_JZNS1_25segmented_radix_sort_implINS0_14default_configELb0EPKsPsPKlPlN2at6native12_GLOBAL__N_18offset_tEEE10hipError_tPvRmT1_PNSt15iterator_traitsIS12_E10value_typeET2_T3_PNS13_IS18_E10value_typeET4_jRbjT5_S1E_jjP12ihipStream_tbEUljE_ZNSN_ISO_Lb0ESQ_SR_ST_SU_SY_EESZ_S10_S11_S12_S16_S17_S18_S1B_S1C_jS1D_jS1E_S1E_jjS1G_bEUljE0_EEESZ_S10_S11_S18_S1C_S1E_T6_T7_T9_mT8_S1G_bDpT10_ENKUlT_T0_E_clISt17integral_constantIbLb0EES1U_EEDaS1P_S1Q_EUlS1P_E_NS1_11comp_targetILNS1_3genE9ELNS1_11target_archE1100ELNS1_3gpuE3ELNS1_3repE0EEENS1_30default_config_static_selectorELNS0_4arch9wavefront6targetE1EEEvS12_
; %bb.0:
	.section	.rodata,"a",@progbits
	.p2align	6, 0x0
	.amdhsa_kernel _ZN7rocprim17ROCPRIM_400000_NS6detail17trampoline_kernelINS0_13select_configILj256ELj13ELNS0_17block_load_methodE3ELS4_3ELS4_3ELNS0_20block_scan_algorithmE0ELj4294967295EEENS1_25partition_config_selectorILNS1_17partition_subalgoE4EjNS0_10empty_typeEbEEZZNS1_14partition_implILS8_4ELb0ES6_15HIP_vector_typeIjLj2EENS0_17counting_iteratorIjlEEPS9_SG_NS0_5tupleIJPjSI_NS0_16reverse_iteratorISI_EEEEENSH_IJSG_SG_SG_EEES9_SI_JZNS1_25segmented_radix_sort_implINS0_14default_configELb0EPKsPsPKlPlN2at6native12_GLOBAL__N_18offset_tEEE10hipError_tPvRmT1_PNSt15iterator_traitsIS12_E10value_typeET2_T3_PNS13_IS18_E10value_typeET4_jRbjT5_S1E_jjP12ihipStream_tbEUljE_ZNSN_ISO_Lb0ESQ_SR_ST_SU_SY_EESZ_S10_S11_S12_S16_S17_S18_S1B_S1C_jS1D_jS1E_S1E_jjS1G_bEUljE0_EEESZ_S10_S11_S18_S1C_S1E_T6_T7_T9_mT8_S1G_bDpT10_ENKUlT_T0_E_clISt17integral_constantIbLb0EES1U_EEDaS1P_S1Q_EUlS1P_E_NS1_11comp_targetILNS1_3genE9ELNS1_11target_archE1100ELNS1_3gpuE3ELNS1_3repE0EEENS1_30default_config_static_selectorELNS0_4arch9wavefront6targetE1EEEvS12_
		.amdhsa_group_segment_fixed_size 0
		.amdhsa_private_segment_fixed_size 0
		.amdhsa_kernarg_size 176
		.amdhsa_user_sgpr_count 6
		.amdhsa_user_sgpr_private_segment_buffer 1
		.amdhsa_user_sgpr_dispatch_ptr 0
		.amdhsa_user_sgpr_queue_ptr 0
		.amdhsa_user_sgpr_kernarg_segment_ptr 1
		.amdhsa_user_sgpr_dispatch_id 0
		.amdhsa_user_sgpr_flat_scratch_init 0
		.amdhsa_user_sgpr_private_segment_size 0
		.amdhsa_uses_dynamic_stack 0
		.amdhsa_system_sgpr_private_segment_wavefront_offset 0
		.amdhsa_system_sgpr_workgroup_id_x 1
		.amdhsa_system_sgpr_workgroup_id_y 0
		.amdhsa_system_sgpr_workgroup_id_z 0
		.amdhsa_system_sgpr_workgroup_info 0
		.amdhsa_system_vgpr_workitem_id 0
		.amdhsa_next_free_vgpr 1
		.amdhsa_next_free_sgpr 0
		.amdhsa_reserve_vcc 0
		.amdhsa_reserve_flat_scratch 0
		.amdhsa_float_round_mode_32 0
		.amdhsa_float_round_mode_16_64 0
		.amdhsa_float_denorm_mode_32 3
		.amdhsa_float_denorm_mode_16_64 3
		.amdhsa_dx10_clamp 1
		.amdhsa_ieee_mode 1
		.amdhsa_fp16_overflow 0
		.amdhsa_exception_fp_ieee_invalid_op 0
		.amdhsa_exception_fp_denorm_src 0
		.amdhsa_exception_fp_ieee_div_zero 0
		.amdhsa_exception_fp_ieee_overflow 0
		.amdhsa_exception_fp_ieee_underflow 0
		.amdhsa_exception_fp_ieee_inexact 0
		.amdhsa_exception_int_div_zero 0
	.end_amdhsa_kernel
	.section	.text._ZN7rocprim17ROCPRIM_400000_NS6detail17trampoline_kernelINS0_13select_configILj256ELj13ELNS0_17block_load_methodE3ELS4_3ELS4_3ELNS0_20block_scan_algorithmE0ELj4294967295EEENS1_25partition_config_selectorILNS1_17partition_subalgoE4EjNS0_10empty_typeEbEEZZNS1_14partition_implILS8_4ELb0ES6_15HIP_vector_typeIjLj2EENS0_17counting_iteratorIjlEEPS9_SG_NS0_5tupleIJPjSI_NS0_16reverse_iteratorISI_EEEEENSH_IJSG_SG_SG_EEES9_SI_JZNS1_25segmented_radix_sort_implINS0_14default_configELb0EPKsPsPKlPlN2at6native12_GLOBAL__N_18offset_tEEE10hipError_tPvRmT1_PNSt15iterator_traitsIS12_E10value_typeET2_T3_PNS13_IS18_E10value_typeET4_jRbjT5_S1E_jjP12ihipStream_tbEUljE_ZNSN_ISO_Lb0ESQ_SR_ST_SU_SY_EESZ_S10_S11_S12_S16_S17_S18_S1B_S1C_jS1D_jS1E_S1E_jjS1G_bEUljE0_EEESZ_S10_S11_S18_S1C_S1E_T6_T7_T9_mT8_S1G_bDpT10_ENKUlT_T0_E_clISt17integral_constantIbLb0EES1U_EEDaS1P_S1Q_EUlS1P_E_NS1_11comp_targetILNS1_3genE9ELNS1_11target_archE1100ELNS1_3gpuE3ELNS1_3repE0EEENS1_30default_config_static_selectorELNS0_4arch9wavefront6targetE1EEEvS12_,"axG",@progbits,_ZN7rocprim17ROCPRIM_400000_NS6detail17trampoline_kernelINS0_13select_configILj256ELj13ELNS0_17block_load_methodE3ELS4_3ELS4_3ELNS0_20block_scan_algorithmE0ELj4294967295EEENS1_25partition_config_selectorILNS1_17partition_subalgoE4EjNS0_10empty_typeEbEEZZNS1_14partition_implILS8_4ELb0ES6_15HIP_vector_typeIjLj2EENS0_17counting_iteratorIjlEEPS9_SG_NS0_5tupleIJPjSI_NS0_16reverse_iteratorISI_EEEEENSH_IJSG_SG_SG_EEES9_SI_JZNS1_25segmented_radix_sort_implINS0_14default_configELb0EPKsPsPKlPlN2at6native12_GLOBAL__N_18offset_tEEE10hipError_tPvRmT1_PNSt15iterator_traitsIS12_E10value_typeET2_T3_PNS13_IS18_E10value_typeET4_jRbjT5_S1E_jjP12ihipStream_tbEUljE_ZNSN_ISO_Lb0ESQ_SR_ST_SU_SY_EESZ_S10_S11_S12_S16_S17_S18_S1B_S1C_jS1D_jS1E_S1E_jjS1G_bEUljE0_EEESZ_S10_S11_S18_S1C_S1E_T6_T7_T9_mT8_S1G_bDpT10_ENKUlT_T0_E_clISt17integral_constantIbLb0EES1U_EEDaS1P_S1Q_EUlS1P_E_NS1_11comp_targetILNS1_3genE9ELNS1_11target_archE1100ELNS1_3gpuE3ELNS1_3repE0EEENS1_30default_config_static_selectorELNS0_4arch9wavefront6targetE1EEEvS12_,comdat
.Lfunc_end956:
	.size	_ZN7rocprim17ROCPRIM_400000_NS6detail17trampoline_kernelINS0_13select_configILj256ELj13ELNS0_17block_load_methodE3ELS4_3ELS4_3ELNS0_20block_scan_algorithmE0ELj4294967295EEENS1_25partition_config_selectorILNS1_17partition_subalgoE4EjNS0_10empty_typeEbEEZZNS1_14partition_implILS8_4ELb0ES6_15HIP_vector_typeIjLj2EENS0_17counting_iteratorIjlEEPS9_SG_NS0_5tupleIJPjSI_NS0_16reverse_iteratorISI_EEEEENSH_IJSG_SG_SG_EEES9_SI_JZNS1_25segmented_radix_sort_implINS0_14default_configELb0EPKsPsPKlPlN2at6native12_GLOBAL__N_18offset_tEEE10hipError_tPvRmT1_PNSt15iterator_traitsIS12_E10value_typeET2_T3_PNS13_IS18_E10value_typeET4_jRbjT5_S1E_jjP12ihipStream_tbEUljE_ZNSN_ISO_Lb0ESQ_SR_ST_SU_SY_EESZ_S10_S11_S12_S16_S17_S18_S1B_S1C_jS1D_jS1E_S1E_jjS1G_bEUljE0_EEESZ_S10_S11_S18_S1C_S1E_T6_T7_T9_mT8_S1G_bDpT10_ENKUlT_T0_E_clISt17integral_constantIbLb0EES1U_EEDaS1P_S1Q_EUlS1P_E_NS1_11comp_targetILNS1_3genE9ELNS1_11target_archE1100ELNS1_3gpuE3ELNS1_3repE0EEENS1_30default_config_static_selectorELNS0_4arch9wavefront6targetE1EEEvS12_, .Lfunc_end956-_ZN7rocprim17ROCPRIM_400000_NS6detail17trampoline_kernelINS0_13select_configILj256ELj13ELNS0_17block_load_methodE3ELS4_3ELS4_3ELNS0_20block_scan_algorithmE0ELj4294967295EEENS1_25partition_config_selectorILNS1_17partition_subalgoE4EjNS0_10empty_typeEbEEZZNS1_14partition_implILS8_4ELb0ES6_15HIP_vector_typeIjLj2EENS0_17counting_iteratorIjlEEPS9_SG_NS0_5tupleIJPjSI_NS0_16reverse_iteratorISI_EEEEENSH_IJSG_SG_SG_EEES9_SI_JZNS1_25segmented_radix_sort_implINS0_14default_configELb0EPKsPsPKlPlN2at6native12_GLOBAL__N_18offset_tEEE10hipError_tPvRmT1_PNSt15iterator_traitsIS12_E10value_typeET2_T3_PNS13_IS18_E10value_typeET4_jRbjT5_S1E_jjP12ihipStream_tbEUljE_ZNSN_ISO_Lb0ESQ_SR_ST_SU_SY_EESZ_S10_S11_S12_S16_S17_S18_S1B_S1C_jS1D_jS1E_S1E_jjS1G_bEUljE0_EEESZ_S10_S11_S18_S1C_S1E_T6_T7_T9_mT8_S1G_bDpT10_ENKUlT_T0_E_clISt17integral_constantIbLb0EES1U_EEDaS1P_S1Q_EUlS1P_E_NS1_11comp_targetILNS1_3genE9ELNS1_11target_archE1100ELNS1_3gpuE3ELNS1_3repE0EEENS1_30default_config_static_selectorELNS0_4arch9wavefront6targetE1EEEvS12_
                                        ; -- End function
	.set _ZN7rocprim17ROCPRIM_400000_NS6detail17trampoline_kernelINS0_13select_configILj256ELj13ELNS0_17block_load_methodE3ELS4_3ELS4_3ELNS0_20block_scan_algorithmE0ELj4294967295EEENS1_25partition_config_selectorILNS1_17partition_subalgoE4EjNS0_10empty_typeEbEEZZNS1_14partition_implILS8_4ELb0ES6_15HIP_vector_typeIjLj2EENS0_17counting_iteratorIjlEEPS9_SG_NS0_5tupleIJPjSI_NS0_16reverse_iteratorISI_EEEEENSH_IJSG_SG_SG_EEES9_SI_JZNS1_25segmented_radix_sort_implINS0_14default_configELb0EPKsPsPKlPlN2at6native12_GLOBAL__N_18offset_tEEE10hipError_tPvRmT1_PNSt15iterator_traitsIS12_E10value_typeET2_T3_PNS13_IS18_E10value_typeET4_jRbjT5_S1E_jjP12ihipStream_tbEUljE_ZNSN_ISO_Lb0ESQ_SR_ST_SU_SY_EESZ_S10_S11_S12_S16_S17_S18_S1B_S1C_jS1D_jS1E_S1E_jjS1G_bEUljE0_EEESZ_S10_S11_S18_S1C_S1E_T6_T7_T9_mT8_S1G_bDpT10_ENKUlT_T0_E_clISt17integral_constantIbLb0EES1U_EEDaS1P_S1Q_EUlS1P_E_NS1_11comp_targetILNS1_3genE9ELNS1_11target_archE1100ELNS1_3gpuE3ELNS1_3repE0EEENS1_30default_config_static_selectorELNS0_4arch9wavefront6targetE1EEEvS12_.num_vgpr, 0
	.set _ZN7rocprim17ROCPRIM_400000_NS6detail17trampoline_kernelINS0_13select_configILj256ELj13ELNS0_17block_load_methodE3ELS4_3ELS4_3ELNS0_20block_scan_algorithmE0ELj4294967295EEENS1_25partition_config_selectorILNS1_17partition_subalgoE4EjNS0_10empty_typeEbEEZZNS1_14partition_implILS8_4ELb0ES6_15HIP_vector_typeIjLj2EENS0_17counting_iteratorIjlEEPS9_SG_NS0_5tupleIJPjSI_NS0_16reverse_iteratorISI_EEEEENSH_IJSG_SG_SG_EEES9_SI_JZNS1_25segmented_radix_sort_implINS0_14default_configELb0EPKsPsPKlPlN2at6native12_GLOBAL__N_18offset_tEEE10hipError_tPvRmT1_PNSt15iterator_traitsIS12_E10value_typeET2_T3_PNS13_IS18_E10value_typeET4_jRbjT5_S1E_jjP12ihipStream_tbEUljE_ZNSN_ISO_Lb0ESQ_SR_ST_SU_SY_EESZ_S10_S11_S12_S16_S17_S18_S1B_S1C_jS1D_jS1E_S1E_jjS1G_bEUljE0_EEESZ_S10_S11_S18_S1C_S1E_T6_T7_T9_mT8_S1G_bDpT10_ENKUlT_T0_E_clISt17integral_constantIbLb0EES1U_EEDaS1P_S1Q_EUlS1P_E_NS1_11comp_targetILNS1_3genE9ELNS1_11target_archE1100ELNS1_3gpuE3ELNS1_3repE0EEENS1_30default_config_static_selectorELNS0_4arch9wavefront6targetE1EEEvS12_.num_agpr, 0
	.set _ZN7rocprim17ROCPRIM_400000_NS6detail17trampoline_kernelINS0_13select_configILj256ELj13ELNS0_17block_load_methodE3ELS4_3ELS4_3ELNS0_20block_scan_algorithmE0ELj4294967295EEENS1_25partition_config_selectorILNS1_17partition_subalgoE4EjNS0_10empty_typeEbEEZZNS1_14partition_implILS8_4ELb0ES6_15HIP_vector_typeIjLj2EENS0_17counting_iteratorIjlEEPS9_SG_NS0_5tupleIJPjSI_NS0_16reverse_iteratorISI_EEEEENSH_IJSG_SG_SG_EEES9_SI_JZNS1_25segmented_radix_sort_implINS0_14default_configELb0EPKsPsPKlPlN2at6native12_GLOBAL__N_18offset_tEEE10hipError_tPvRmT1_PNSt15iterator_traitsIS12_E10value_typeET2_T3_PNS13_IS18_E10value_typeET4_jRbjT5_S1E_jjP12ihipStream_tbEUljE_ZNSN_ISO_Lb0ESQ_SR_ST_SU_SY_EESZ_S10_S11_S12_S16_S17_S18_S1B_S1C_jS1D_jS1E_S1E_jjS1G_bEUljE0_EEESZ_S10_S11_S18_S1C_S1E_T6_T7_T9_mT8_S1G_bDpT10_ENKUlT_T0_E_clISt17integral_constantIbLb0EES1U_EEDaS1P_S1Q_EUlS1P_E_NS1_11comp_targetILNS1_3genE9ELNS1_11target_archE1100ELNS1_3gpuE3ELNS1_3repE0EEENS1_30default_config_static_selectorELNS0_4arch9wavefront6targetE1EEEvS12_.numbered_sgpr, 0
	.set _ZN7rocprim17ROCPRIM_400000_NS6detail17trampoline_kernelINS0_13select_configILj256ELj13ELNS0_17block_load_methodE3ELS4_3ELS4_3ELNS0_20block_scan_algorithmE0ELj4294967295EEENS1_25partition_config_selectorILNS1_17partition_subalgoE4EjNS0_10empty_typeEbEEZZNS1_14partition_implILS8_4ELb0ES6_15HIP_vector_typeIjLj2EENS0_17counting_iteratorIjlEEPS9_SG_NS0_5tupleIJPjSI_NS0_16reverse_iteratorISI_EEEEENSH_IJSG_SG_SG_EEES9_SI_JZNS1_25segmented_radix_sort_implINS0_14default_configELb0EPKsPsPKlPlN2at6native12_GLOBAL__N_18offset_tEEE10hipError_tPvRmT1_PNSt15iterator_traitsIS12_E10value_typeET2_T3_PNS13_IS18_E10value_typeET4_jRbjT5_S1E_jjP12ihipStream_tbEUljE_ZNSN_ISO_Lb0ESQ_SR_ST_SU_SY_EESZ_S10_S11_S12_S16_S17_S18_S1B_S1C_jS1D_jS1E_S1E_jjS1G_bEUljE0_EEESZ_S10_S11_S18_S1C_S1E_T6_T7_T9_mT8_S1G_bDpT10_ENKUlT_T0_E_clISt17integral_constantIbLb0EES1U_EEDaS1P_S1Q_EUlS1P_E_NS1_11comp_targetILNS1_3genE9ELNS1_11target_archE1100ELNS1_3gpuE3ELNS1_3repE0EEENS1_30default_config_static_selectorELNS0_4arch9wavefront6targetE1EEEvS12_.num_named_barrier, 0
	.set _ZN7rocprim17ROCPRIM_400000_NS6detail17trampoline_kernelINS0_13select_configILj256ELj13ELNS0_17block_load_methodE3ELS4_3ELS4_3ELNS0_20block_scan_algorithmE0ELj4294967295EEENS1_25partition_config_selectorILNS1_17partition_subalgoE4EjNS0_10empty_typeEbEEZZNS1_14partition_implILS8_4ELb0ES6_15HIP_vector_typeIjLj2EENS0_17counting_iteratorIjlEEPS9_SG_NS0_5tupleIJPjSI_NS0_16reverse_iteratorISI_EEEEENSH_IJSG_SG_SG_EEES9_SI_JZNS1_25segmented_radix_sort_implINS0_14default_configELb0EPKsPsPKlPlN2at6native12_GLOBAL__N_18offset_tEEE10hipError_tPvRmT1_PNSt15iterator_traitsIS12_E10value_typeET2_T3_PNS13_IS18_E10value_typeET4_jRbjT5_S1E_jjP12ihipStream_tbEUljE_ZNSN_ISO_Lb0ESQ_SR_ST_SU_SY_EESZ_S10_S11_S12_S16_S17_S18_S1B_S1C_jS1D_jS1E_S1E_jjS1G_bEUljE0_EEESZ_S10_S11_S18_S1C_S1E_T6_T7_T9_mT8_S1G_bDpT10_ENKUlT_T0_E_clISt17integral_constantIbLb0EES1U_EEDaS1P_S1Q_EUlS1P_E_NS1_11comp_targetILNS1_3genE9ELNS1_11target_archE1100ELNS1_3gpuE3ELNS1_3repE0EEENS1_30default_config_static_selectorELNS0_4arch9wavefront6targetE1EEEvS12_.private_seg_size, 0
	.set _ZN7rocprim17ROCPRIM_400000_NS6detail17trampoline_kernelINS0_13select_configILj256ELj13ELNS0_17block_load_methodE3ELS4_3ELS4_3ELNS0_20block_scan_algorithmE0ELj4294967295EEENS1_25partition_config_selectorILNS1_17partition_subalgoE4EjNS0_10empty_typeEbEEZZNS1_14partition_implILS8_4ELb0ES6_15HIP_vector_typeIjLj2EENS0_17counting_iteratorIjlEEPS9_SG_NS0_5tupleIJPjSI_NS0_16reverse_iteratorISI_EEEEENSH_IJSG_SG_SG_EEES9_SI_JZNS1_25segmented_radix_sort_implINS0_14default_configELb0EPKsPsPKlPlN2at6native12_GLOBAL__N_18offset_tEEE10hipError_tPvRmT1_PNSt15iterator_traitsIS12_E10value_typeET2_T3_PNS13_IS18_E10value_typeET4_jRbjT5_S1E_jjP12ihipStream_tbEUljE_ZNSN_ISO_Lb0ESQ_SR_ST_SU_SY_EESZ_S10_S11_S12_S16_S17_S18_S1B_S1C_jS1D_jS1E_S1E_jjS1G_bEUljE0_EEESZ_S10_S11_S18_S1C_S1E_T6_T7_T9_mT8_S1G_bDpT10_ENKUlT_T0_E_clISt17integral_constantIbLb0EES1U_EEDaS1P_S1Q_EUlS1P_E_NS1_11comp_targetILNS1_3genE9ELNS1_11target_archE1100ELNS1_3gpuE3ELNS1_3repE0EEENS1_30default_config_static_selectorELNS0_4arch9wavefront6targetE1EEEvS12_.uses_vcc, 0
	.set _ZN7rocprim17ROCPRIM_400000_NS6detail17trampoline_kernelINS0_13select_configILj256ELj13ELNS0_17block_load_methodE3ELS4_3ELS4_3ELNS0_20block_scan_algorithmE0ELj4294967295EEENS1_25partition_config_selectorILNS1_17partition_subalgoE4EjNS0_10empty_typeEbEEZZNS1_14partition_implILS8_4ELb0ES6_15HIP_vector_typeIjLj2EENS0_17counting_iteratorIjlEEPS9_SG_NS0_5tupleIJPjSI_NS0_16reverse_iteratorISI_EEEEENSH_IJSG_SG_SG_EEES9_SI_JZNS1_25segmented_radix_sort_implINS0_14default_configELb0EPKsPsPKlPlN2at6native12_GLOBAL__N_18offset_tEEE10hipError_tPvRmT1_PNSt15iterator_traitsIS12_E10value_typeET2_T3_PNS13_IS18_E10value_typeET4_jRbjT5_S1E_jjP12ihipStream_tbEUljE_ZNSN_ISO_Lb0ESQ_SR_ST_SU_SY_EESZ_S10_S11_S12_S16_S17_S18_S1B_S1C_jS1D_jS1E_S1E_jjS1G_bEUljE0_EEESZ_S10_S11_S18_S1C_S1E_T6_T7_T9_mT8_S1G_bDpT10_ENKUlT_T0_E_clISt17integral_constantIbLb0EES1U_EEDaS1P_S1Q_EUlS1P_E_NS1_11comp_targetILNS1_3genE9ELNS1_11target_archE1100ELNS1_3gpuE3ELNS1_3repE0EEENS1_30default_config_static_selectorELNS0_4arch9wavefront6targetE1EEEvS12_.uses_flat_scratch, 0
	.set _ZN7rocprim17ROCPRIM_400000_NS6detail17trampoline_kernelINS0_13select_configILj256ELj13ELNS0_17block_load_methodE3ELS4_3ELS4_3ELNS0_20block_scan_algorithmE0ELj4294967295EEENS1_25partition_config_selectorILNS1_17partition_subalgoE4EjNS0_10empty_typeEbEEZZNS1_14partition_implILS8_4ELb0ES6_15HIP_vector_typeIjLj2EENS0_17counting_iteratorIjlEEPS9_SG_NS0_5tupleIJPjSI_NS0_16reverse_iteratorISI_EEEEENSH_IJSG_SG_SG_EEES9_SI_JZNS1_25segmented_radix_sort_implINS0_14default_configELb0EPKsPsPKlPlN2at6native12_GLOBAL__N_18offset_tEEE10hipError_tPvRmT1_PNSt15iterator_traitsIS12_E10value_typeET2_T3_PNS13_IS18_E10value_typeET4_jRbjT5_S1E_jjP12ihipStream_tbEUljE_ZNSN_ISO_Lb0ESQ_SR_ST_SU_SY_EESZ_S10_S11_S12_S16_S17_S18_S1B_S1C_jS1D_jS1E_S1E_jjS1G_bEUljE0_EEESZ_S10_S11_S18_S1C_S1E_T6_T7_T9_mT8_S1G_bDpT10_ENKUlT_T0_E_clISt17integral_constantIbLb0EES1U_EEDaS1P_S1Q_EUlS1P_E_NS1_11comp_targetILNS1_3genE9ELNS1_11target_archE1100ELNS1_3gpuE3ELNS1_3repE0EEENS1_30default_config_static_selectorELNS0_4arch9wavefront6targetE1EEEvS12_.has_dyn_sized_stack, 0
	.set _ZN7rocprim17ROCPRIM_400000_NS6detail17trampoline_kernelINS0_13select_configILj256ELj13ELNS0_17block_load_methodE3ELS4_3ELS4_3ELNS0_20block_scan_algorithmE0ELj4294967295EEENS1_25partition_config_selectorILNS1_17partition_subalgoE4EjNS0_10empty_typeEbEEZZNS1_14partition_implILS8_4ELb0ES6_15HIP_vector_typeIjLj2EENS0_17counting_iteratorIjlEEPS9_SG_NS0_5tupleIJPjSI_NS0_16reverse_iteratorISI_EEEEENSH_IJSG_SG_SG_EEES9_SI_JZNS1_25segmented_radix_sort_implINS0_14default_configELb0EPKsPsPKlPlN2at6native12_GLOBAL__N_18offset_tEEE10hipError_tPvRmT1_PNSt15iterator_traitsIS12_E10value_typeET2_T3_PNS13_IS18_E10value_typeET4_jRbjT5_S1E_jjP12ihipStream_tbEUljE_ZNSN_ISO_Lb0ESQ_SR_ST_SU_SY_EESZ_S10_S11_S12_S16_S17_S18_S1B_S1C_jS1D_jS1E_S1E_jjS1G_bEUljE0_EEESZ_S10_S11_S18_S1C_S1E_T6_T7_T9_mT8_S1G_bDpT10_ENKUlT_T0_E_clISt17integral_constantIbLb0EES1U_EEDaS1P_S1Q_EUlS1P_E_NS1_11comp_targetILNS1_3genE9ELNS1_11target_archE1100ELNS1_3gpuE3ELNS1_3repE0EEENS1_30default_config_static_selectorELNS0_4arch9wavefront6targetE1EEEvS12_.has_recursion, 0
	.set _ZN7rocprim17ROCPRIM_400000_NS6detail17trampoline_kernelINS0_13select_configILj256ELj13ELNS0_17block_load_methodE3ELS4_3ELS4_3ELNS0_20block_scan_algorithmE0ELj4294967295EEENS1_25partition_config_selectorILNS1_17partition_subalgoE4EjNS0_10empty_typeEbEEZZNS1_14partition_implILS8_4ELb0ES6_15HIP_vector_typeIjLj2EENS0_17counting_iteratorIjlEEPS9_SG_NS0_5tupleIJPjSI_NS0_16reverse_iteratorISI_EEEEENSH_IJSG_SG_SG_EEES9_SI_JZNS1_25segmented_radix_sort_implINS0_14default_configELb0EPKsPsPKlPlN2at6native12_GLOBAL__N_18offset_tEEE10hipError_tPvRmT1_PNSt15iterator_traitsIS12_E10value_typeET2_T3_PNS13_IS18_E10value_typeET4_jRbjT5_S1E_jjP12ihipStream_tbEUljE_ZNSN_ISO_Lb0ESQ_SR_ST_SU_SY_EESZ_S10_S11_S12_S16_S17_S18_S1B_S1C_jS1D_jS1E_S1E_jjS1G_bEUljE0_EEESZ_S10_S11_S18_S1C_S1E_T6_T7_T9_mT8_S1G_bDpT10_ENKUlT_T0_E_clISt17integral_constantIbLb0EES1U_EEDaS1P_S1Q_EUlS1P_E_NS1_11comp_targetILNS1_3genE9ELNS1_11target_archE1100ELNS1_3gpuE3ELNS1_3repE0EEENS1_30default_config_static_selectorELNS0_4arch9wavefront6targetE1EEEvS12_.has_indirect_call, 0
	.section	.AMDGPU.csdata,"",@progbits
; Kernel info:
; codeLenInByte = 0
; TotalNumSgprs: 4
; NumVgprs: 0
; ScratchSize: 0
; MemoryBound: 0
; FloatMode: 240
; IeeeMode: 1
; LDSByteSize: 0 bytes/workgroup (compile time only)
; SGPRBlocks: 0
; VGPRBlocks: 0
; NumSGPRsForWavesPerEU: 4
; NumVGPRsForWavesPerEU: 1
; Occupancy: 10
; WaveLimiterHint : 0
; COMPUTE_PGM_RSRC2:SCRATCH_EN: 0
; COMPUTE_PGM_RSRC2:USER_SGPR: 6
; COMPUTE_PGM_RSRC2:TRAP_HANDLER: 0
; COMPUTE_PGM_RSRC2:TGID_X_EN: 1
; COMPUTE_PGM_RSRC2:TGID_Y_EN: 0
; COMPUTE_PGM_RSRC2:TGID_Z_EN: 0
; COMPUTE_PGM_RSRC2:TIDIG_COMP_CNT: 0
	.section	.text._ZN7rocprim17ROCPRIM_400000_NS6detail17trampoline_kernelINS0_13select_configILj256ELj13ELNS0_17block_load_methodE3ELS4_3ELS4_3ELNS0_20block_scan_algorithmE0ELj4294967295EEENS1_25partition_config_selectorILNS1_17partition_subalgoE4EjNS0_10empty_typeEbEEZZNS1_14partition_implILS8_4ELb0ES6_15HIP_vector_typeIjLj2EENS0_17counting_iteratorIjlEEPS9_SG_NS0_5tupleIJPjSI_NS0_16reverse_iteratorISI_EEEEENSH_IJSG_SG_SG_EEES9_SI_JZNS1_25segmented_radix_sort_implINS0_14default_configELb0EPKsPsPKlPlN2at6native12_GLOBAL__N_18offset_tEEE10hipError_tPvRmT1_PNSt15iterator_traitsIS12_E10value_typeET2_T3_PNS13_IS18_E10value_typeET4_jRbjT5_S1E_jjP12ihipStream_tbEUljE_ZNSN_ISO_Lb0ESQ_SR_ST_SU_SY_EESZ_S10_S11_S12_S16_S17_S18_S1B_S1C_jS1D_jS1E_S1E_jjS1G_bEUljE0_EEESZ_S10_S11_S18_S1C_S1E_T6_T7_T9_mT8_S1G_bDpT10_ENKUlT_T0_E_clISt17integral_constantIbLb0EES1U_EEDaS1P_S1Q_EUlS1P_E_NS1_11comp_targetILNS1_3genE8ELNS1_11target_archE1030ELNS1_3gpuE2ELNS1_3repE0EEENS1_30default_config_static_selectorELNS0_4arch9wavefront6targetE1EEEvS12_,"axG",@progbits,_ZN7rocprim17ROCPRIM_400000_NS6detail17trampoline_kernelINS0_13select_configILj256ELj13ELNS0_17block_load_methodE3ELS4_3ELS4_3ELNS0_20block_scan_algorithmE0ELj4294967295EEENS1_25partition_config_selectorILNS1_17partition_subalgoE4EjNS0_10empty_typeEbEEZZNS1_14partition_implILS8_4ELb0ES6_15HIP_vector_typeIjLj2EENS0_17counting_iteratorIjlEEPS9_SG_NS0_5tupleIJPjSI_NS0_16reverse_iteratorISI_EEEEENSH_IJSG_SG_SG_EEES9_SI_JZNS1_25segmented_radix_sort_implINS0_14default_configELb0EPKsPsPKlPlN2at6native12_GLOBAL__N_18offset_tEEE10hipError_tPvRmT1_PNSt15iterator_traitsIS12_E10value_typeET2_T3_PNS13_IS18_E10value_typeET4_jRbjT5_S1E_jjP12ihipStream_tbEUljE_ZNSN_ISO_Lb0ESQ_SR_ST_SU_SY_EESZ_S10_S11_S12_S16_S17_S18_S1B_S1C_jS1D_jS1E_S1E_jjS1G_bEUljE0_EEESZ_S10_S11_S18_S1C_S1E_T6_T7_T9_mT8_S1G_bDpT10_ENKUlT_T0_E_clISt17integral_constantIbLb0EES1U_EEDaS1P_S1Q_EUlS1P_E_NS1_11comp_targetILNS1_3genE8ELNS1_11target_archE1030ELNS1_3gpuE2ELNS1_3repE0EEENS1_30default_config_static_selectorELNS0_4arch9wavefront6targetE1EEEvS12_,comdat
	.globl	_ZN7rocprim17ROCPRIM_400000_NS6detail17trampoline_kernelINS0_13select_configILj256ELj13ELNS0_17block_load_methodE3ELS4_3ELS4_3ELNS0_20block_scan_algorithmE0ELj4294967295EEENS1_25partition_config_selectorILNS1_17partition_subalgoE4EjNS0_10empty_typeEbEEZZNS1_14partition_implILS8_4ELb0ES6_15HIP_vector_typeIjLj2EENS0_17counting_iteratorIjlEEPS9_SG_NS0_5tupleIJPjSI_NS0_16reverse_iteratorISI_EEEEENSH_IJSG_SG_SG_EEES9_SI_JZNS1_25segmented_radix_sort_implINS0_14default_configELb0EPKsPsPKlPlN2at6native12_GLOBAL__N_18offset_tEEE10hipError_tPvRmT1_PNSt15iterator_traitsIS12_E10value_typeET2_T3_PNS13_IS18_E10value_typeET4_jRbjT5_S1E_jjP12ihipStream_tbEUljE_ZNSN_ISO_Lb0ESQ_SR_ST_SU_SY_EESZ_S10_S11_S12_S16_S17_S18_S1B_S1C_jS1D_jS1E_S1E_jjS1G_bEUljE0_EEESZ_S10_S11_S18_S1C_S1E_T6_T7_T9_mT8_S1G_bDpT10_ENKUlT_T0_E_clISt17integral_constantIbLb0EES1U_EEDaS1P_S1Q_EUlS1P_E_NS1_11comp_targetILNS1_3genE8ELNS1_11target_archE1030ELNS1_3gpuE2ELNS1_3repE0EEENS1_30default_config_static_selectorELNS0_4arch9wavefront6targetE1EEEvS12_ ; -- Begin function _ZN7rocprim17ROCPRIM_400000_NS6detail17trampoline_kernelINS0_13select_configILj256ELj13ELNS0_17block_load_methodE3ELS4_3ELS4_3ELNS0_20block_scan_algorithmE0ELj4294967295EEENS1_25partition_config_selectorILNS1_17partition_subalgoE4EjNS0_10empty_typeEbEEZZNS1_14partition_implILS8_4ELb0ES6_15HIP_vector_typeIjLj2EENS0_17counting_iteratorIjlEEPS9_SG_NS0_5tupleIJPjSI_NS0_16reverse_iteratorISI_EEEEENSH_IJSG_SG_SG_EEES9_SI_JZNS1_25segmented_radix_sort_implINS0_14default_configELb0EPKsPsPKlPlN2at6native12_GLOBAL__N_18offset_tEEE10hipError_tPvRmT1_PNSt15iterator_traitsIS12_E10value_typeET2_T3_PNS13_IS18_E10value_typeET4_jRbjT5_S1E_jjP12ihipStream_tbEUljE_ZNSN_ISO_Lb0ESQ_SR_ST_SU_SY_EESZ_S10_S11_S12_S16_S17_S18_S1B_S1C_jS1D_jS1E_S1E_jjS1G_bEUljE0_EEESZ_S10_S11_S18_S1C_S1E_T6_T7_T9_mT8_S1G_bDpT10_ENKUlT_T0_E_clISt17integral_constantIbLb0EES1U_EEDaS1P_S1Q_EUlS1P_E_NS1_11comp_targetILNS1_3genE8ELNS1_11target_archE1030ELNS1_3gpuE2ELNS1_3repE0EEENS1_30default_config_static_selectorELNS0_4arch9wavefront6targetE1EEEvS12_
	.p2align	8
	.type	_ZN7rocprim17ROCPRIM_400000_NS6detail17trampoline_kernelINS0_13select_configILj256ELj13ELNS0_17block_load_methodE3ELS4_3ELS4_3ELNS0_20block_scan_algorithmE0ELj4294967295EEENS1_25partition_config_selectorILNS1_17partition_subalgoE4EjNS0_10empty_typeEbEEZZNS1_14partition_implILS8_4ELb0ES6_15HIP_vector_typeIjLj2EENS0_17counting_iteratorIjlEEPS9_SG_NS0_5tupleIJPjSI_NS0_16reverse_iteratorISI_EEEEENSH_IJSG_SG_SG_EEES9_SI_JZNS1_25segmented_radix_sort_implINS0_14default_configELb0EPKsPsPKlPlN2at6native12_GLOBAL__N_18offset_tEEE10hipError_tPvRmT1_PNSt15iterator_traitsIS12_E10value_typeET2_T3_PNS13_IS18_E10value_typeET4_jRbjT5_S1E_jjP12ihipStream_tbEUljE_ZNSN_ISO_Lb0ESQ_SR_ST_SU_SY_EESZ_S10_S11_S12_S16_S17_S18_S1B_S1C_jS1D_jS1E_S1E_jjS1G_bEUljE0_EEESZ_S10_S11_S18_S1C_S1E_T6_T7_T9_mT8_S1G_bDpT10_ENKUlT_T0_E_clISt17integral_constantIbLb0EES1U_EEDaS1P_S1Q_EUlS1P_E_NS1_11comp_targetILNS1_3genE8ELNS1_11target_archE1030ELNS1_3gpuE2ELNS1_3repE0EEENS1_30default_config_static_selectorELNS0_4arch9wavefront6targetE1EEEvS12_,@function
_ZN7rocprim17ROCPRIM_400000_NS6detail17trampoline_kernelINS0_13select_configILj256ELj13ELNS0_17block_load_methodE3ELS4_3ELS4_3ELNS0_20block_scan_algorithmE0ELj4294967295EEENS1_25partition_config_selectorILNS1_17partition_subalgoE4EjNS0_10empty_typeEbEEZZNS1_14partition_implILS8_4ELb0ES6_15HIP_vector_typeIjLj2EENS0_17counting_iteratorIjlEEPS9_SG_NS0_5tupleIJPjSI_NS0_16reverse_iteratorISI_EEEEENSH_IJSG_SG_SG_EEES9_SI_JZNS1_25segmented_radix_sort_implINS0_14default_configELb0EPKsPsPKlPlN2at6native12_GLOBAL__N_18offset_tEEE10hipError_tPvRmT1_PNSt15iterator_traitsIS12_E10value_typeET2_T3_PNS13_IS18_E10value_typeET4_jRbjT5_S1E_jjP12ihipStream_tbEUljE_ZNSN_ISO_Lb0ESQ_SR_ST_SU_SY_EESZ_S10_S11_S12_S16_S17_S18_S1B_S1C_jS1D_jS1E_S1E_jjS1G_bEUljE0_EEESZ_S10_S11_S18_S1C_S1E_T6_T7_T9_mT8_S1G_bDpT10_ENKUlT_T0_E_clISt17integral_constantIbLb0EES1U_EEDaS1P_S1Q_EUlS1P_E_NS1_11comp_targetILNS1_3genE8ELNS1_11target_archE1030ELNS1_3gpuE2ELNS1_3repE0EEENS1_30default_config_static_selectorELNS0_4arch9wavefront6targetE1EEEvS12_: ; @_ZN7rocprim17ROCPRIM_400000_NS6detail17trampoline_kernelINS0_13select_configILj256ELj13ELNS0_17block_load_methodE3ELS4_3ELS4_3ELNS0_20block_scan_algorithmE0ELj4294967295EEENS1_25partition_config_selectorILNS1_17partition_subalgoE4EjNS0_10empty_typeEbEEZZNS1_14partition_implILS8_4ELb0ES6_15HIP_vector_typeIjLj2EENS0_17counting_iteratorIjlEEPS9_SG_NS0_5tupleIJPjSI_NS0_16reverse_iteratorISI_EEEEENSH_IJSG_SG_SG_EEES9_SI_JZNS1_25segmented_radix_sort_implINS0_14default_configELb0EPKsPsPKlPlN2at6native12_GLOBAL__N_18offset_tEEE10hipError_tPvRmT1_PNSt15iterator_traitsIS12_E10value_typeET2_T3_PNS13_IS18_E10value_typeET4_jRbjT5_S1E_jjP12ihipStream_tbEUljE_ZNSN_ISO_Lb0ESQ_SR_ST_SU_SY_EESZ_S10_S11_S12_S16_S17_S18_S1B_S1C_jS1D_jS1E_S1E_jjS1G_bEUljE0_EEESZ_S10_S11_S18_S1C_S1E_T6_T7_T9_mT8_S1G_bDpT10_ENKUlT_T0_E_clISt17integral_constantIbLb0EES1U_EEDaS1P_S1Q_EUlS1P_E_NS1_11comp_targetILNS1_3genE8ELNS1_11target_archE1030ELNS1_3gpuE2ELNS1_3repE0EEENS1_30default_config_static_selectorELNS0_4arch9wavefront6targetE1EEEvS12_
; %bb.0:
	.section	.rodata,"a",@progbits
	.p2align	6, 0x0
	.amdhsa_kernel _ZN7rocprim17ROCPRIM_400000_NS6detail17trampoline_kernelINS0_13select_configILj256ELj13ELNS0_17block_load_methodE3ELS4_3ELS4_3ELNS0_20block_scan_algorithmE0ELj4294967295EEENS1_25partition_config_selectorILNS1_17partition_subalgoE4EjNS0_10empty_typeEbEEZZNS1_14partition_implILS8_4ELb0ES6_15HIP_vector_typeIjLj2EENS0_17counting_iteratorIjlEEPS9_SG_NS0_5tupleIJPjSI_NS0_16reverse_iteratorISI_EEEEENSH_IJSG_SG_SG_EEES9_SI_JZNS1_25segmented_radix_sort_implINS0_14default_configELb0EPKsPsPKlPlN2at6native12_GLOBAL__N_18offset_tEEE10hipError_tPvRmT1_PNSt15iterator_traitsIS12_E10value_typeET2_T3_PNS13_IS18_E10value_typeET4_jRbjT5_S1E_jjP12ihipStream_tbEUljE_ZNSN_ISO_Lb0ESQ_SR_ST_SU_SY_EESZ_S10_S11_S12_S16_S17_S18_S1B_S1C_jS1D_jS1E_S1E_jjS1G_bEUljE0_EEESZ_S10_S11_S18_S1C_S1E_T6_T7_T9_mT8_S1G_bDpT10_ENKUlT_T0_E_clISt17integral_constantIbLb0EES1U_EEDaS1P_S1Q_EUlS1P_E_NS1_11comp_targetILNS1_3genE8ELNS1_11target_archE1030ELNS1_3gpuE2ELNS1_3repE0EEENS1_30default_config_static_selectorELNS0_4arch9wavefront6targetE1EEEvS12_
		.amdhsa_group_segment_fixed_size 0
		.amdhsa_private_segment_fixed_size 0
		.amdhsa_kernarg_size 176
		.amdhsa_user_sgpr_count 6
		.amdhsa_user_sgpr_private_segment_buffer 1
		.amdhsa_user_sgpr_dispatch_ptr 0
		.amdhsa_user_sgpr_queue_ptr 0
		.amdhsa_user_sgpr_kernarg_segment_ptr 1
		.amdhsa_user_sgpr_dispatch_id 0
		.amdhsa_user_sgpr_flat_scratch_init 0
		.amdhsa_user_sgpr_private_segment_size 0
		.amdhsa_uses_dynamic_stack 0
		.amdhsa_system_sgpr_private_segment_wavefront_offset 0
		.amdhsa_system_sgpr_workgroup_id_x 1
		.amdhsa_system_sgpr_workgroup_id_y 0
		.amdhsa_system_sgpr_workgroup_id_z 0
		.amdhsa_system_sgpr_workgroup_info 0
		.amdhsa_system_vgpr_workitem_id 0
		.amdhsa_next_free_vgpr 1
		.amdhsa_next_free_sgpr 0
		.amdhsa_reserve_vcc 0
		.amdhsa_reserve_flat_scratch 0
		.amdhsa_float_round_mode_32 0
		.amdhsa_float_round_mode_16_64 0
		.amdhsa_float_denorm_mode_32 3
		.amdhsa_float_denorm_mode_16_64 3
		.amdhsa_dx10_clamp 1
		.amdhsa_ieee_mode 1
		.amdhsa_fp16_overflow 0
		.amdhsa_exception_fp_ieee_invalid_op 0
		.amdhsa_exception_fp_denorm_src 0
		.amdhsa_exception_fp_ieee_div_zero 0
		.amdhsa_exception_fp_ieee_overflow 0
		.amdhsa_exception_fp_ieee_underflow 0
		.amdhsa_exception_fp_ieee_inexact 0
		.amdhsa_exception_int_div_zero 0
	.end_amdhsa_kernel
	.section	.text._ZN7rocprim17ROCPRIM_400000_NS6detail17trampoline_kernelINS0_13select_configILj256ELj13ELNS0_17block_load_methodE3ELS4_3ELS4_3ELNS0_20block_scan_algorithmE0ELj4294967295EEENS1_25partition_config_selectorILNS1_17partition_subalgoE4EjNS0_10empty_typeEbEEZZNS1_14partition_implILS8_4ELb0ES6_15HIP_vector_typeIjLj2EENS0_17counting_iteratorIjlEEPS9_SG_NS0_5tupleIJPjSI_NS0_16reverse_iteratorISI_EEEEENSH_IJSG_SG_SG_EEES9_SI_JZNS1_25segmented_radix_sort_implINS0_14default_configELb0EPKsPsPKlPlN2at6native12_GLOBAL__N_18offset_tEEE10hipError_tPvRmT1_PNSt15iterator_traitsIS12_E10value_typeET2_T3_PNS13_IS18_E10value_typeET4_jRbjT5_S1E_jjP12ihipStream_tbEUljE_ZNSN_ISO_Lb0ESQ_SR_ST_SU_SY_EESZ_S10_S11_S12_S16_S17_S18_S1B_S1C_jS1D_jS1E_S1E_jjS1G_bEUljE0_EEESZ_S10_S11_S18_S1C_S1E_T6_T7_T9_mT8_S1G_bDpT10_ENKUlT_T0_E_clISt17integral_constantIbLb0EES1U_EEDaS1P_S1Q_EUlS1P_E_NS1_11comp_targetILNS1_3genE8ELNS1_11target_archE1030ELNS1_3gpuE2ELNS1_3repE0EEENS1_30default_config_static_selectorELNS0_4arch9wavefront6targetE1EEEvS12_,"axG",@progbits,_ZN7rocprim17ROCPRIM_400000_NS6detail17trampoline_kernelINS0_13select_configILj256ELj13ELNS0_17block_load_methodE3ELS4_3ELS4_3ELNS0_20block_scan_algorithmE0ELj4294967295EEENS1_25partition_config_selectorILNS1_17partition_subalgoE4EjNS0_10empty_typeEbEEZZNS1_14partition_implILS8_4ELb0ES6_15HIP_vector_typeIjLj2EENS0_17counting_iteratorIjlEEPS9_SG_NS0_5tupleIJPjSI_NS0_16reverse_iteratorISI_EEEEENSH_IJSG_SG_SG_EEES9_SI_JZNS1_25segmented_radix_sort_implINS0_14default_configELb0EPKsPsPKlPlN2at6native12_GLOBAL__N_18offset_tEEE10hipError_tPvRmT1_PNSt15iterator_traitsIS12_E10value_typeET2_T3_PNS13_IS18_E10value_typeET4_jRbjT5_S1E_jjP12ihipStream_tbEUljE_ZNSN_ISO_Lb0ESQ_SR_ST_SU_SY_EESZ_S10_S11_S12_S16_S17_S18_S1B_S1C_jS1D_jS1E_S1E_jjS1G_bEUljE0_EEESZ_S10_S11_S18_S1C_S1E_T6_T7_T9_mT8_S1G_bDpT10_ENKUlT_T0_E_clISt17integral_constantIbLb0EES1U_EEDaS1P_S1Q_EUlS1P_E_NS1_11comp_targetILNS1_3genE8ELNS1_11target_archE1030ELNS1_3gpuE2ELNS1_3repE0EEENS1_30default_config_static_selectorELNS0_4arch9wavefront6targetE1EEEvS12_,comdat
.Lfunc_end957:
	.size	_ZN7rocprim17ROCPRIM_400000_NS6detail17trampoline_kernelINS0_13select_configILj256ELj13ELNS0_17block_load_methodE3ELS4_3ELS4_3ELNS0_20block_scan_algorithmE0ELj4294967295EEENS1_25partition_config_selectorILNS1_17partition_subalgoE4EjNS0_10empty_typeEbEEZZNS1_14partition_implILS8_4ELb0ES6_15HIP_vector_typeIjLj2EENS0_17counting_iteratorIjlEEPS9_SG_NS0_5tupleIJPjSI_NS0_16reverse_iteratorISI_EEEEENSH_IJSG_SG_SG_EEES9_SI_JZNS1_25segmented_radix_sort_implINS0_14default_configELb0EPKsPsPKlPlN2at6native12_GLOBAL__N_18offset_tEEE10hipError_tPvRmT1_PNSt15iterator_traitsIS12_E10value_typeET2_T3_PNS13_IS18_E10value_typeET4_jRbjT5_S1E_jjP12ihipStream_tbEUljE_ZNSN_ISO_Lb0ESQ_SR_ST_SU_SY_EESZ_S10_S11_S12_S16_S17_S18_S1B_S1C_jS1D_jS1E_S1E_jjS1G_bEUljE0_EEESZ_S10_S11_S18_S1C_S1E_T6_T7_T9_mT8_S1G_bDpT10_ENKUlT_T0_E_clISt17integral_constantIbLb0EES1U_EEDaS1P_S1Q_EUlS1P_E_NS1_11comp_targetILNS1_3genE8ELNS1_11target_archE1030ELNS1_3gpuE2ELNS1_3repE0EEENS1_30default_config_static_selectorELNS0_4arch9wavefront6targetE1EEEvS12_, .Lfunc_end957-_ZN7rocprim17ROCPRIM_400000_NS6detail17trampoline_kernelINS0_13select_configILj256ELj13ELNS0_17block_load_methodE3ELS4_3ELS4_3ELNS0_20block_scan_algorithmE0ELj4294967295EEENS1_25partition_config_selectorILNS1_17partition_subalgoE4EjNS0_10empty_typeEbEEZZNS1_14partition_implILS8_4ELb0ES6_15HIP_vector_typeIjLj2EENS0_17counting_iteratorIjlEEPS9_SG_NS0_5tupleIJPjSI_NS0_16reverse_iteratorISI_EEEEENSH_IJSG_SG_SG_EEES9_SI_JZNS1_25segmented_radix_sort_implINS0_14default_configELb0EPKsPsPKlPlN2at6native12_GLOBAL__N_18offset_tEEE10hipError_tPvRmT1_PNSt15iterator_traitsIS12_E10value_typeET2_T3_PNS13_IS18_E10value_typeET4_jRbjT5_S1E_jjP12ihipStream_tbEUljE_ZNSN_ISO_Lb0ESQ_SR_ST_SU_SY_EESZ_S10_S11_S12_S16_S17_S18_S1B_S1C_jS1D_jS1E_S1E_jjS1G_bEUljE0_EEESZ_S10_S11_S18_S1C_S1E_T6_T7_T9_mT8_S1G_bDpT10_ENKUlT_T0_E_clISt17integral_constantIbLb0EES1U_EEDaS1P_S1Q_EUlS1P_E_NS1_11comp_targetILNS1_3genE8ELNS1_11target_archE1030ELNS1_3gpuE2ELNS1_3repE0EEENS1_30default_config_static_selectorELNS0_4arch9wavefront6targetE1EEEvS12_
                                        ; -- End function
	.set _ZN7rocprim17ROCPRIM_400000_NS6detail17trampoline_kernelINS0_13select_configILj256ELj13ELNS0_17block_load_methodE3ELS4_3ELS4_3ELNS0_20block_scan_algorithmE0ELj4294967295EEENS1_25partition_config_selectorILNS1_17partition_subalgoE4EjNS0_10empty_typeEbEEZZNS1_14partition_implILS8_4ELb0ES6_15HIP_vector_typeIjLj2EENS0_17counting_iteratorIjlEEPS9_SG_NS0_5tupleIJPjSI_NS0_16reverse_iteratorISI_EEEEENSH_IJSG_SG_SG_EEES9_SI_JZNS1_25segmented_radix_sort_implINS0_14default_configELb0EPKsPsPKlPlN2at6native12_GLOBAL__N_18offset_tEEE10hipError_tPvRmT1_PNSt15iterator_traitsIS12_E10value_typeET2_T3_PNS13_IS18_E10value_typeET4_jRbjT5_S1E_jjP12ihipStream_tbEUljE_ZNSN_ISO_Lb0ESQ_SR_ST_SU_SY_EESZ_S10_S11_S12_S16_S17_S18_S1B_S1C_jS1D_jS1E_S1E_jjS1G_bEUljE0_EEESZ_S10_S11_S18_S1C_S1E_T6_T7_T9_mT8_S1G_bDpT10_ENKUlT_T0_E_clISt17integral_constantIbLb0EES1U_EEDaS1P_S1Q_EUlS1P_E_NS1_11comp_targetILNS1_3genE8ELNS1_11target_archE1030ELNS1_3gpuE2ELNS1_3repE0EEENS1_30default_config_static_selectorELNS0_4arch9wavefront6targetE1EEEvS12_.num_vgpr, 0
	.set _ZN7rocprim17ROCPRIM_400000_NS6detail17trampoline_kernelINS0_13select_configILj256ELj13ELNS0_17block_load_methodE3ELS4_3ELS4_3ELNS0_20block_scan_algorithmE0ELj4294967295EEENS1_25partition_config_selectorILNS1_17partition_subalgoE4EjNS0_10empty_typeEbEEZZNS1_14partition_implILS8_4ELb0ES6_15HIP_vector_typeIjLj2EENS0_17counting_iteratorIjlEEPS9_SG_NS0_5tupleIJPjSI_NS0_16reverse_iteratorISI_EEEEENSH_IJSG_SG_SG_EEES9_SI_JZNS1_25segmented_radix_sort_implINS0_14default_configELb0EPKsPsPKlPlN2at6native12_GLOBAL__N_18offset_tEEE10hipError_tPvRmT1_PNSt15iterator_traitsIS12_E10value_typeET2_T3_PNS13_IS18_E10value_typeET4_jRbjT5_S1E_jjP12ihipStream_tbEUljE_ZNSN_ISO_Lb0ESQ_SR_ST_SU_SY_EESZ_S10_S11_S12_S16_S17_S18_S1B_S1C_jS1D_jS1E_S1E_jjS1G_bEUljE0_EEESZ_S10_S11_S18_S1C_S1E_T6_T7_T9_mT8_S1G_bDpT10_ENKUlT_T0_E_clISt17integral_constantIbLb0EES1U_EEDaS1P_S1Q_EUlS1P_E_NS1_11comp_targetILNS1_3genE8ELNS1_11target_archE1030ELNS1_3gpuE2ELNS1_3repE0EEENS1_30default_config_static_selectorELNS0_4arch9wavefront6targetE1EEEvS12_.num_agpr, 0
	.set _ZN7rocprim17ROCPRIM_400000_NS6detail17trampoline_kernelINS0_13select_configILj256ELj13ELNS0_17block_load_methodE3ELS4_3ELS4_3ELNS0_20block_scan_algorithmE0ELj4294967295EEENS1_25partition_config_selectorILNS1_17partition_subalgoE4EjNS0_10empty_typeEbEEZZNS1_14partition_implILS8_4ELb0ES6_15HIP_vector_typeIjLj2EENS0_17counting_iteratorIjlEEPS9_SG_NS0_5tupleIJPjSI_NS0_16reverse_iteratorISI_EEEEENSH_IJSG_SG_SG_EEES9_SI_JZNS1_25segmented_radix_sort_implINS0_14default_configELb0EPKsPsPKlPlN2at6native12_GLOBAL__N_18offset_tEEE10hipError_tPvRmT1_PNSt15iterator_traitsIS12_E10value_typeET2_T3_PNS13_IS18_E10value_typeET4_jRbjT5_S1E_jjP12ihipStream_tbEUljE_ZNSN_ISO_Lb0ESQ_SR_ST_SU_SY_EESZ_S10_S11_S12_S16_S17_S18_S1B_S1C_jS1D_jS1E_S1E_jjS1G_bEUljE0_EEESZ_S10_S11_S18_S1C_S1E_T6_T7_T9_mT8_S1G_bDpT10_ENKUlT_T0_E_clISt17integral_constantIbLb0EES1U_EEDaS1P_S1Q_EUlS1P_E_NS1_11comp_targetILNS1_3genE8ELNS1_11target_archE1030ELNS1_3gpuE2ELNS1_3repE0EEENS1_30default_config_static_selectorELNS0_4arch9wavefront6targetE1EEEvS12_.numbered_sgpr, 0
	.set _ZN7rocprim17ROCPRIM_400000_NS6detail17trampoline_kernelINS0_13select_configILj256ELj13ELNS0_17block_load_methodE3ELS4_3ELS4_3ELNS0_20block_scan_algorithmE0ELj4294967295EEENS1_25partition_config_selectorILNS1_17partition_subalgoE4EjNS0_10empty_typeEbEEZZNS1_14partition_implILS8_4ELb0ES6_15HIP_vector_typeIjLj2EENS0_17counting_iteratorIjlEEPS9_SG_NS0_5tupleIJPjSI_NS0_16reverse_iteratorISI_EEEEENSH_IJSG_SG_SG_EEES9_SI_JZNS1_25segmented_radix_sort_implINS0_14default_configELb0EPKsPsPKlPlN2at6native12_GLOBAL__N_18offset_tEEE10hipError_tPvRmT1_PNSt15iterator_traitsIS12_E10value_typeET2_T3_PNS13_IS18_E10value_typeET4_jRbjT5_S1E_jjP12ihipStream_tbEUljE_ZNSN_ISO_Lb0ESQ_SR_ST_SU_SY_EESZ_S10_S11_S12_S16_S17_S18_S1B_S1C_jS1D_jS1E_S1E_jjS1G_bEUljE0_EEESZ_S10_S11_S18_S1C_S1E_T6_T7_T9_mT8_S1G_bDpT10_ENKUlT_T0_E_clISt17integral_constantIbLb0EES1U_EEDaS1P_S1Q_EUlS1P_E_NS1_11comp_targetILNS1_3genE8ELNS1_11target_archE1030ELNS1_3gpuE2ELNS1_3repE0EEENS1_30default_config_static_selectorELNS0_4arch9wavefront6targetE1EEEvS12_.num_named_barrier, 0
	.set _ZN7rocprim17ROCPRIM_400000_NS6detail17trampoline_kernelINS0_13select_configILj256ELj13ELNS0_17block_load_methodE3ELS4_3ELS4_3ELNS0_20block_scan_algorithmE0ELj4294967295EEENS1_25partition_config_selectorILNS1_17partition_subalgoE4EjNS0_10empty_typeEbEEZZNS1_14partition_implILS8_4ELb0ES6_15HIP_vector_typeIjLj2EENS0_17counting_iteratorIjlEEPS9_SG_NS0_5tupleIJPjSI_NS0_16reverse_iteratorISI_EEEEENSH_IJSG_SG_SG_EEES9_SI_JZNS1_25segmented_radix_sort_implINS0_14default_configELb0EPKsPsPKlPlN2at6native12_GLOBAL__N_18offset_tEEE10hipError_tPvRmT1_PNSt15iterator_traitsIS12_E10value_typeET2_T3_PNS13_IS18_E10value_typeET4_jRbjT5_S1E_jjP12ihipStream_tbEUljE_ZNSN_ISO_Lb0ESQ_SR_ST_SU_SY_EESZ_S10_S11_S12_S16_S17_S18_S1B_S1C_jS1D_jS1E_S1E_jjS1G_bEUljE0_EEESZ_S10_S11_S18_S1C_S1E_T6_T7_T9_mT8_S1G_bDpT10_ENKUlT_T0_E_clISt17integral_constantIbLb0EES1U_EEDaS1P_S1Q_EUlS1P_E_NS1_11comp_targetILNS1_3genE8ELNS1_11target_archE1030ELNS1_3gpuE2ELNS1_3repE0EEENS1_30default_config_static_selectorELNS0_4arch9wavefront6targetE1EEEvS12_.private_seg_size, 0
	.set _ZN7rocprim17ROCPRIM_400000_NS6detail17trampoline_kernelINS0_13select_configILj256ELj13ELNS0_17block_load_methodE3ELS4_3ELS4_3ELNS0_20block_scan_algorithmE0ELj4294967295EEENS1_25partition_config_selectorILNS1_17partition_subalgoE4EjNS0_10empty_typeEbEEZZNS1_14partition_implILS8_4ELb0ES6_15HIP_vector_typeIjLj2EENS0_17counting_iteratorIjlEEPS9_SG_NS0_5tupleIJPjSI_NS0_16reverse_iteratorISI_EEEEENSH_IJSG_SG_SG_EEES9_SI_JZNS1_25segmented_radix_sort_implINS0_14default_configELb0EPKsPsPKlPlN2at6native12_GLOBAL__N_18offset_tEEE10hipError_tPvRmT1_PNSt15iterator_traitsIS12_E10value_typeET2_T3_PNS13_IS18_E10value_typeET4_jRbjT5_S1E_jjP12ihipStream_tbEUljE_ZNSN_ISO_Lb0ESQ_SR_ST_SU_SY_EESZ_S10_S11_S12_S16_S17_S18_S1B_S1C_jS1D_jS1E_S1E_jjS1G_bEUljE0_EEESZ_S10_S11_S18_S1C_S1E_T6_T7_T9_mT8_S1G_bDpT10_ENKUlT_T0_E_clISt17integral_constantIbLb0EES1U_EEDaS1P_S1Q_EUlS1P_E_NS1_11comp_targetILNS1_3genE8ELNS1_11target_archE1030ELNS1_3gpuE2ELNS1_3repE0EEENS1_30default_config_static_selectorELNS0_4arch9wavefront6targetE1EEEvS12_.uses_vcc, 0
	.set _ZN7rocprim17ROCPRIM_400000_NS6detail17trampoline_kernelINS0_13select_configILj256ELj13ELNS0_17block_load_methodE3ELS4_3ELS4_3ELNS0_20block_scan_algorithmE0ELj4294967295EEENS1_25partition_config_selectorILNS1_17partition_subalgoE4EjNS0_10empty_typeEbEEZZNS1_14partition_implILS8_4ELb0ES6_15HIP_vector_typeIjLj2EENS0_17counting_iteratorIjlEEPS9_SG_NS0_5tupleIJPjSI_NS0_16reverse_iteratorISI_EEEEENSH_IJSG_SG_SG_EEES9_SI_JZNS1_25segmented_radix_sort_implINS0_14default_configELb0EPKsPsPKlPlN2at6native12_GLOBAL__N_18offset_tEEE10hipError_tPvRmT1_PNSt15iterator_traitsIS12_E10value_typeET2_T3_PNS13_IS18_E10value_typeET4_jRbjT5_S1E_jjP12ihipStream_tbEUljE_ZNSN_ISO_Lb0ESQ_SR_ST_SU_SY_EESZ_S10_S11_S12_S16_S17_S18_S1B_S1C_jS1D_jS1E_S1E_jjS1G_bEUljE0_EEESZ_S10_S11_S18_S1C_S1E_T6_T7_T9_mT8_S1G_bDpT10_ENKUlT_T0_E_clISt17integral_constantIbLb0EES1U_EEDaS1P_S1Q_EUlS1P_E_NS1_11comp_targetILNS1_3genE8ELNS1_11target_archE1030ELNS1_3gpuE2ELNS1_3repE0EEENS1_30default_config_static_selectorELNS0_4arch9wavefront6targetE1EEEvS12_.uses_flat_scratch, 0
	.set _ZN7rocprim17ROCPRIM_400000_NS6detail17trampoline_kernelINS0_13select_configILj256ELj13ELNS0_17block_load_methodE3ELS4_3ELS4_3ELNS0_20block_scan_algorithmE0ELj4294967295EEENS1_25partition_config_selectorILNS1_17partition_subalgoE4EjNS0_10empty_typeEbEEZZNS1_14partition_implILS8_4ELb0ES6_15HIP_vector_typeIjLj2EENS0_17counting_iteratorIjlEEPS9_SG_NS0_5tupleIJPjSI_NS0_16reverse_iteratorISI_EEEEENSH_IJSG_SG_SG_EEES9_SI_JZNS1_25segmented_radix_sort_implINS0_14default_configELb0EPKsPsPKlPlN2at6native12_GLOBAL__N_18offset_tEEE10hipError_tPvRmT1_PNSt15iterator_traitsIS12_E10value_typeET2_T3_PNS13_IS18_E10value_typeET4_jRbjT5_S1E_jjP12ihipStream_tbEUljE_ZNSN_ISO_Lb0ESQ_SR_ST_SU_SY_EESZ_S10_S11_S12_S16_S17_S18_S1B_S1C_jS1D_jS1E_S1E_jjS1G_bEUljE0_EEESZ_S10_S11_S18_S1C_S1E_T6_T7_T9_mT8_S1G_bDpT10_ENKUlT_T0_E_clISt17integral_constantIbLb0EES1U_EEDaS1P_S1Q_EUlS1P_E_NS1_11comp_targetILNS1_3genE8ELNS1_11target_archE1030ELNS1_3gpuE2ELNS1_3repE0EEENS1_30default_config_static_selectorELNS0_4arch9wavefront6targetE1EEEvS12_.has_dyn_sized_stack, 0
	.set _ZN7rocprim17ROCPRIM_400000_NS6detail17trampoline_kernelINS0_13select_configILj256ELj13ELNS0_17block_load_methodE3ELS4_3ELS4_3ELNS0_20block_scan_algorithmE0ELj4294967295EEENS1_25partition_config_selectorILNS1_17partition_subalgoE4EjNS0_10empty_typeEbEEZZNS1_14partition_implILS8_4ELb0ES6_15HIP_vector_typeIjLj2EENS0_17counting_iteratorIjlEEPS9_SG_NS0_5tupleIJPjSI_NS0_16reverse_iteratorISI_EEEEENSH_IJSG_SG_SG_EEES9_SI_JZNS1_25segmented_radix_sort_implINS0_14default_configELb0EPKsPsPKlPlN2at6native12_GLOBAL__N_18offset_tEEE10hipError_tPvRmT1_PNSt15iterator_traitsIS12_E10value_typeET2_T3_PNS13_IS18_E10value_typeET4_jRbjT5_S1E_jjP12ihipStream_tbEUljE_ZNSN_ISO_Lb0ESQ_SR_ST_SU_SY_EESZ_S10_S11_S12_S16_S17_S18_S1B_S1C_jS1D_jS1E_S1E_jjS1G_bEUljE0_EEESZ_S10_S11_S18_S1C_S1E_T6_T7_T9_mT8_S1G_bDpT10_ENKUlT_T0_E_clISt17integral_constantIbLb0EES1U_EEDaS1P_S1Q_EUlS1P_E_NS1_11comp_targetILNS1_3genE8ELNS1_11target_archE1030ELNS1_3gpuE2ELNS1_3repE0EEENS1_30default_config_static_selectorELNS0_4arch9wavefront6targetE1EEEvS12_.has_recursion, 0
	.set _ZN7rocprim17ROCPRIM_400000_NS6detail17trampoline_kernelINS0_13select_configILj256ELj13ELNS0_17block_load_methodE3ELS4_3ELS4_3ELNS0_20block_scan_algorithmE0ELj4294967295EEENS1_25partition_config_selectorILNS1_17partition_subalgoE4EjNS0_10empty_typeEbEEZZNS1_14partition_implILS8_4ELb0ES6_15HIP_vector_typeIjLj2EENS0_17counting_iteratorIjlEEPS9_SG_NS0_5tupleIJPjSI_NS0_16reverse_iteratorISI_EEEEENSH_IJSG_SG_SG_EEES9_SI_JZNS1_25segmented_radix_sort_implINS0_14default_configELb0EPKsPsPKlPlN2at6native12_GLOBAL__N_18offset_tEEE10hipError_tPvRmT1_PNSt15iterator_traitsIS12_E10value_typeET2_T3_PNS13_IS18_E10value_typeET4_jRbjT5_S1E_jjP12ihipStream_tbEUljE_ZNSN_ISO_Lb0ESQ_SR_ST_SU_SY_EESZ_S10_S11_S12_S16_S17_S18_S1B_S1C_jS1D_jS1E_S1E_jjS1G_bEUljE0_EEESZ_S10_S11_S18_S1C_S1E_T6_T7_T9_mT8_S1G_bDpT10_ENKUlT_T0_E_clISt17integral_constantIbLb0EES1U_EEDaS1P_S1Q_EUlS1P_E_NS1_11comp_targetILNS1_3genE8ELNS1_11target_archE1030ELNS1_3gpuE2ELNS1_3repE0EEENS1_30default_config_static_selectorELNS0_4arch9wavefront6targetE1EEEvS12_.has_indirect_call, 0
	.section	.AMDGPU.csdata,"",@progbits
; Kernel info:
; codeLenInByte = 0
; TotalNumSgprs: 4
; NumVgprs: 0
; ScratchSize: 0
; MemoryBound: 0
; FloatMode: 240
; IeeeMode: 1
; LDSByteSize: 0 bytes/workgroup (compile time only)
; SGPRBlocks: 0
; VGPRBlocks: 0
; NumSGPRsForWavesPerEU: 4
; NumVGPRsForWavesPerEU: 1
; Occupancy: 10
; WaveLimiterHint : 0
; COMPUTE_PGM_RSRC2:SCRATCH_EN: 0
; COMPUTE_PGM_RSRC2:USER_SGPR: 6
; COMPUTE_PGM_RSRC2:TRAP_HANDLER: 0
; COMPUTE_PGM_RSRC2:TGID_X_EN: 1
; COMPUTE_PGM_RSRC2:TGID_Y_EN: 0
; COMPUTE_PGM_RSRC2:TGID_Z_EN: 0
; COMPUTE_PGM_RSRC2:TIDIG_COMP_CNT: 0
	.section	.text._ZN7rocprim17ROCPRIM_400000_NS6detail17trampoline_kernelINS0_13select_configILj256ELj13ELNS0_17block_load_methodE3ELS4_3ELS4_3ELNS0_20block_scan_algorithmE0ELj4294967295EEENS1_25partition_config_selectorILNS1_17partition_subalgoE4EjNS0_10empty_typeEbEEZZNS1_14partition_implILS8_4ELb0ES6_15HIP_vector_typeIjLj2EENS0_17counting_iteratorIjlEEPS9_SG_NS0_5tupleIJPjSI_NS0_16reverse_iteratorISI_EEEEENSH_IJSG_SG_SG_EEES9_SI_JZNS1_25segmented_radix_sort_implINS0_14default_configELb0EPKsPsPKlPlN2at6native12_GLOBAL__N_18offset_tEEE10hipError_tPvRmT1_PNSt15iterator_traitsIS12_E10value_typeET2_T3_PNS13_IS18_E10value_typeET4_jRbjT5_S1E_jjP12ihipStream_tbEUljE_ZNSN_ISO_Lb0ESQ_SR_ST_SU_SY_EESZ_S10_S11_S12_S16_S17_S18_S1B_S1C_jS1D_jS1E_S1E_jjS1G_bEUljE0_EEESZ_S10_S11_S18_S1C_S1E_T6_T7_T9_mT8_S1G_bDpT10_ENKUlT_T0_E_clISt17integral_constantIbLb1EES1U_EEDaS1P_S1Q_EUlS1P_E_NS1_11comp_targetILNS1_3genE0ELNS1_11target_archE4294967295ELNS1_3gpuE0ELNS1_3repE0EEENS1_30default_config_static_selectorELNS0_4arch9wavefront6targetE1EEEvS12_,"axG",@progbits,_ZN7rocprim17ROCPRIM_400000_NS6detail17trampoline_kernelINS0_13select_configILj256ELj13ELNS0_17block_load_methodE3ELS4_3ELS4_3ELNS0_20block_scan_algorithmE0ELj4294967295EEENS1_25partition_config_selectorILNS1_17partition_subalgoE4EjNS0_10empty_typeEbEEZZNS1_14partition_implILS8_4ELb0ES6_15HIP_vector_typeIjLj2EENS0_17counting_iteratorIjlEEPS9_SG_NS0_5tupleIJPjSI_NS0_16reverse_iteratorISI_EEEEENSH_IJSG_SG_SG_EEES9_SI_JZNS1_25segmented_radix_sort_implINS0_14default_configELb0EPKsPsPKlPlN2at6native12_GLOBAL__N_18offset_tEEE10hipError_tPvRmT1_PNSt15iterator_traitsIS12_E10value_typeET2_T3_PNS13_IS18_E10value_typeET4_jRbjT5_S1E_jjP12ihipStream_tbEUljE_ZNSN_ISO_Lb0ESQ_SR_ST_SU_SY_EESZ_S10_S11_S12_S16_S17_S18_S1B_S1C_jS1D_jS1E_S1E_jjS1G_bEUljE0_EEESZ_S10_S11_S18_S1C_S1E_T6_T7_T9_mT8_S1G_bDpT10_ENKUlT_T0_E_clISt17integral_constantIbLb1EES1U_EEDaS1P_S1Q_EUlS1P_E_NS1_11comp_targetILNS1_3genE0ELNS1_11target_archE4294967295ELNS1_3gpuE0ELNS1_3repE0EEENS1_30default_config_static_selectorELNS0_4arch9wavefront6targetE1EEEvS12_,comdat
	.globl	_ZN7rocprim17ROCPRIM_400000_NS6detail17trampoline_kernelINS0_13select_configILj256ELj13ELNS0_17block_load_methodE3ELS4_3ELS4_3ELNS0_20block_scan_algorithmE0ELj4294967295EEENS1_25partition_config_selectorILNS1_17partition_subalgoE4EjNS0_10empty_typeEbEEZZNS1_14partition_implILS8_4ELb0ES6_15HIP_vector_typeIjLj2EENS0_17counting_iteratorIjlEEPS9_SG_NS0_5tupleIJPjSI_NS0_16reverse_iteratorISI_EEEEENSH_IJSG_SG_SG_EEES9_SI_JZNS1_25segmented_radix_sort_implINS0_14default_configELb0EPKsPsPKlPlN2at6native12_GLOBAL__N_18offset_tEEE10hipError_tPvRmT1_PNSt15iterator_traitsIS12_E10value_typeET2_T3_PNS13_IS18_E10value_typeET4_jRbjT5_S1E_jjP12ihipStream_tbEUljE_ZNSN_ISO_Lb0ESQ_SR_ST_SU_SY_EESZ_S10_S11_S12_S16_S17_S18_S1B_S1C_jS1D_jS1E_S1E_jjS1G_bEUljE0_EEESZ_S10_S11_S18_S1C_S1E_T6_T7_T9_mT8_S1G_bDpT10_ENKUlT_T0_E_clISt17integral_constantIbLb1EES1U_EEDaS1P_S1Q_EUlS1P_E_NS1_11comp_targetILNS1_3genE0ELNS1_11target_archE4294967295ELNS1_3gpuE0ELNS1_3repE0EEENS1_30default_config_static_selectorELNS0_4arch9wavefront6targetE1EEEvS12_ ; -- Begin function _ZN7rocprim17ROCPRIM_400000_NS6detail17trampoline_kernelINS0_13select_configILj256ELj13ELNS0_17block_load_methodE3ELS4_3ELS4_3ELNS0_20block_scan_algorithmE0ELj4294967295EEENS1_25partition_config_selectorILNS1_17partition_subalgoE4EjNS0_10empty_typeEbEEZZNS1_14partition_implILS8_4ELb0ES6_15HIP_vector_typeIjLj2EENS0_17counting_iteratorIjlEEPS9_SG_NS0_5tupleIJPjSI_NS0_16reverse_iteratorISI_EEEEENSH_IJSG_SG_SG_EEES9_SI_JZNS1_25segmented_radix_sort_implINS0_14default_configELb0EPKsPsPKlPlN2at6native12_GLOBAL__N_18offset_tEEE10hipError_tPvRmT1_PNSt15iterator_traitsIS12_E10value_typeET2_T3_PNS13_IS18_E10value_typeET4_jRbjT5_S1E_jjP12ihipStream_tbEUljE_ZNSN_ISO_Lb0ESQ_SR_ST_SU_SY_EESZ_S10_S11_S12_S16_S17_S18_S1B_S1C_jS1D_jS1E_S1E_jjS1G_bEUljE0_EEESZ_S10_S11_S18_S1C_S1E_T6_T7_T9_mT8_S1G_bDpT10_ENKUlT_T0_E_clISt17integral_constantIbLb1EES1U_EEDaS1P_S1Q_EUlS1P_E_NS1_11comp_targetILNS1_3genE0ELNS1_11target_archE4294967295ELNS1_3gpuE0ELNS1_3repE0EEENS1_30default_config_static_selectorELNS0_4arch9wavefront6targetE1EEEvS12_
	.p2align	8
	.type	_ZN7rocprim17ROCPRIM_400000_NS6detail17trampoline_kernelINS0_13select_configILj256ELj13ELNS0_17block_load_methodE3ELS4_3ELS4_3ELNS0_20block_scan_algorithmE0ELj4294967295EEENS1_25partition_config_selectorILNS1_17partition_subalgoE4EjNS0_10empty_typeEbEEZZNS1_14partition_implILS8_4ELb0ES6_15HIP_vector_typeIjLj2EENS0_17counting_iteratorIjlEEPS9_SG_NS0_5tupleIJPjSI_NS0_16reverse_iteratorISI_EEEEENSH_IJSG_SG_SG_EEES9_SI_JZNS1_25segmented_radix_sort_implINS0_14default_configELb0EPKsPsPKlPlN2at6native12_GLOBAL__N_18offset_tEEE10hipError_tPvRmT1_PNSt15iterator_traitsIS12_E10value_typeET2_T3_PNS13_IS18_E10value_typeET4_jRbjT5_S1E_jjP12ihipStream_tbEUljE_ZNSN_ISO_Lb0ESQ_SR_ST_SU_SY_EESZ_S10_S11_S12_S16_S17_S18_S1B_S1C_jS1D_jS1E_S1E_jjS1G_bEUljE0_EEESZ_S10_S11_S18_S1C_S1E_T6_T7_T9_mT8_S1G_bDpT10_ENKUlT_T0_E_clISt17integral_constantIbLb1EES1U_EEDaS1P_S1Q_EUlS1P_E_NS1_11comp_targetILNS1_3genE0ELNS1_11target_archE4294967295ELNS1_3gpuE0ELNS1_3repE0EEENS1_30default_config_static_selectorELNS0_4arch9wavefront6targetE1EEEvS12_,@function
_ZN7rocprim17ROCPRIM_400000_NS6detail17trampoline_kernelINS0_13select_configILj256ELj13ELNS0_17block_load_methodE3ELS4_3ELS4_3ELNS0_20block_scan_algorithmE0ELj4294967295EEENS1_25partition_config_selectorILNS1_17partition_subalgoE4EjNS0_10empty_typeEbEEZZNS1_14partition_implILS8_4ELb0ES6_15HIP_vector_typeIjLj2EENS0_17counting_iteratorIjlEEPS9_SG_NS0_5tupleIJPjSI_NS0_16reverse_iteratorISI_EEEEENSH_IJSG_SG_SG_EEES9_SI_JZNS1_25segmented_radix_sort_implINS0_14default_configELb0EPKsPsPKlPlN2at6native12_GLOBAL__N_18offset_tEEE10hipError_tPvRmT1_PNSt15iterator_traitsIS12_E10value_typeET2_T3_PNS13_IS18_E10value_typeET4_jRbjT5_S1E_jjP12ihipStream_tbEUljE_ZNSN_ISO_Lb0ESQ_SR_ST_SU_SY_EESZ_S10_S11_S12_S16_S17_S18_S1B_S1C_jS1D_jS1E_S1E_jjS1G_bEUljE0_EEESZ_S10_S11_S18_S1C_S1E_T6_T7_T9_mT8_S1G_bDpT10_ENKUlT_T0_E_clISt17integral_constantIbLb1EES1U_EEDaS1P_S1Q_EUlS1P_E_NS1_11comp_targetILNS1_3genE0ELNS1_11target_archE4294967295ELNS1_3gpuE0ELNS1_3repE0EEENS1_30default_config_static_selectorELNS0_4arch9wavefront6targetE1EEEvS12_: ; @_ZN7rocprim17ROCPRIM_400000_NS6detail17trampoline_kernelINS0_13select_configILj256ELj13ELNS0_17block_load_methodE3ELS4_3ELS4_3ELNS0_20block_scan_algorithmE0ELj4294967295EEENS1_25partition_config_selectorILNS1_17partition_subalgoE4EjNS0_10empty_typeEbEEZZNS1_14partition_implILS8_4ELb0ES6_15HIP_vector_typeIjLj2EENS0_17counting_iteratorIjlEEPS9_SG_NS0_5tupleIJPjSI_NS0_16reverse_iteratorISI_EEEEENSH_IJSG_SG_SG_EEES9_SI_JZNS1_25segmented_radix_sort_implINS0_14default_configELb0EPKsPsPKlPlN2at6native12_GLOBAL__N_18offset_tEEE10hipError_tPvRmT1_PNSt15iterator_traitsIS12_E10value_typeET2_T3_PNS13_IS18_E10value_typeET4_jRbjT5_S1E_jjP12ihipStream_tbEUljE_ZNSN_ISO_Lb0ESQ_SR_ST_SU_SY_EESZ_S10_S11_S12_S16_S17_S18_S1B_S1C_jS1D_jS1E_S1E_jjS1G_bEUljE0_EEESZ_S10_S11_S18_S1C_S1E_T6_T7_T9_mT8_S1G_bDpT10_ENKUlT_T0_E_clISt17integral_constantIbLb1EES1U_EEDaS1P_S1Q_EUlS1P_E_NS1_11comp_targetILNS1_3genE0ELNS1_11target_archE4294967295ELNS1_3gpuE0ELNS1_3repE0EEENS1_30default_config_static_selectorELNS0_4arch9wavefront6targetE1EEEvS12_
; %bb.0:
	.section	.rodata,"a",@progbits
	.p2align	6, 0x0
	.amdhsa_kernel _ZN7rocprim17ROCPRIM_400000_NS6detail17trampoline_kernelINS0_13select_configILj256ELj13ELNS0_17block_load_methodE3ELS4_3ELS4_3ELNS0_20block_scan_algorithmE0ELj4294967295EEENS1_25partition_config_selectorILNS1_17partition_subalgoE4EjNS0_10empty_typeEbEEZZNS1_14partition_implILS8_4ELb0ES6_15HIP_vector_typeIjLj2EENS0_17counting_iteratorIjlEEPS9_SG_NS0_5tupleIJPjSI_NS0_16reverse_iteratorISI_EEEEENSH_IJSG_SG_SG_EEES9_SI_JZNS1_25segmented_radix_sort_implINS0_14default_configELb0EPKsPsPKlPlN2at6native12_GLOBAL__N_18offset_tEEE10hipError_tPvRmT1_PNSt15iterator_traitsIS12_E10value_typeET2_T3_PNS13_IS18_E10value_typeET4_jRbjT5_S1E_jjP12ihipStream_tbEUljE_ZNSN_ISO_Lb0ESQ_SR_ST_SU_SY_EESZ_S10_S11_S12_S16_S17_S18_S1B_S1C_jS1D_jS1E_S1E_jjS1G_bEUljE0_EEESZ_S10_S11_S18_S1C_S1E_T6_T7_T9_mT8_S1G_bDpT10_ENKUlT_T0_E_clISt17integral_constantIbLb1EES1U_EEDaS1P_S1Q_EUlS1P_E_NS1_11comp_targetILNS1_3genE0ELNS1_11target_archE4294967295ELNS1_3gpuE0ELNS1_3repE0EEENS1_30default_config_static_selectorELNS0_4arch9wavefront6targetE1EEEvS12_
		.amdhsa_group_segment_fixed_size 0
		.amdhsa_private_segment_fixed_size 0
		.amdhsa_kernarg_size 184
		.amdhsa_user_sgpr_count 6
		.amdhsa_user_sgpr_private_segment_buffer 1
		.amdhsa_user_sgpr_dispatch_ptr 0
		.amdhsa_user_sgpr_queue_ptr 0
		.amdhsa_user_sgpr_kernarg_segment_ptr 1
		.amdhsa_user_sgpr_dispatch_id 0
		.amdhsa_user_sgpr_flat_scratch_init 0
		.amdhsa_user_sgpr_private_segment_size 0
		.amdhsa_uses_dynamic_stack 0
		.amdhsa_system_sgpr_private_segment_wavefront_offset 0
		.amdhsa_system_sgpr_workgroup_id_x 1
		.amdhsa_system_sgpr_workgroup_id_y 0
		.amdhsa_system_sgpr_workgroup_id_z 0
		.amdhsa_system_sgpr_workgroup_info 0
		.amdhsa_system_vgpr_workitem_id 0
		.amdhsa_next_free_vgpr 1
		.amdhsa_next_free_sgpr 0
		.amdhsa_reserve_vcc 0
		.amdhsa_reserve_flat_scratch 0
		.amdhsa_float_round_mode_32 0
		.amdhsa_float_round_mode_16_64 0
		.amdhsa_float_denorm_mode_32 3
		.amdhsa_float_denorm_mode_16_64 3
		.amdhsa_dx10_clamp 1
		.amdhsa_ieee_mode 1
		.amdhsa_fp16_overflow 0
		.amdhsa_exception_fp_ieee_invalid_op 0
		.amdhsa_exception_fp_denorm_src 0
		.amdhsa_exception_fp_ieee_div_zero 0
		.amdhsa_exception_fp_ieee_overflow 0
		.amdhsa_exception_fp_ieee_underflow 0
		.amdhsa_exception_fp_ieee_inexact 0
		.amdhsa_exception_int_div_zero 0
	.end_amdhsa_kernel
	.section	.text._ZN7rocprim17ROCPRIM_400000_NS6detail17trampoline_kernelINS0_13select_configILj256ELj13ELNS0_17block_load_methodE3ELS4_3ELS4_3ELNS0_20block_scan_algorithmE0ELj4294967295EEENS1_25partition_config_selectorILNS1_17partition_subalgoE4EjNS0_10empty_typeEbEEZZNS1_14partition_implILS8_4ELb0ES6_15HIP_vector_typeIjLj2EENS0_17counting_iteratorIjlEEPS9_SG_NS0_5tupleIJPjSI_NS0_16reverse_iteratorISI_EEEEENSH_IJSG_SG_SG_EEES9_SI_JZNS1_25segmented_radix_sort_implINS0_14default_configELb0EPKsPsPKlPlN2at6native12_GLOBAL__N_18offset_tEEE10hipError_tPvRmT1_PNSt15iterator_traitsIS12_E10value_typeET2_T3_PNS13_IS18_E10value_typeET4_jRbjT5_S1E_jjP12ihipStream_tbEUljE_ZNSN_ISO_Lb0ESQ_SR_ST_SU_SY_EESZ_S10_S11_S12_S16_S17_S18_S1B_S1C_jS1D_jS1E_S1E_jjS1G_bEUljE0_EEESZ_S10_S11_S18_S1C_S1E_T6_T7_T9_mT8_S1G_bDpT10_ENKUlT_T0_E_clISt17integral_constantIbLb1EES1U_EEDaS1P_S1Q_EUlS1P_E_NS1_11comp_targetILNS1_3genE0ELNS1_11target_archE4294967295ELNS1_3gpuE0ELNS1_3repE0EEENS1_30default_config_static_selectorELNS0_4arch9wavefront6targetE1EEEvS12_,"axG",@progbits,_ZN7rocprim17ROCPRIM_400000_NS6detail17trampoline_kernelINS0_13select_configILj256ELj13ELNS0_17block_load_methodE3ELS4_3ELS4_3ELNS0_20block_scan_algorithmE0ELj4294967295EEENS1_25partition_config_selectorILNS1_17partition_subalgoE4EjNS0_10empty_typeEbEEZZNS1_14partition_implILS8_4ELb0ES6_15HIP_vector_typeIjLj2EENS0_17counting_iteratorIjlEEPS9_SG_NS0_5tupleIJPjSI_NS0_16reverse_iteratorISI_EEEEENSH_IJSG_SG_SG_EEES9_SI_JZNS1_25segmented_radix_sort_implINS0_14default_configELb0EPKsPsPKlPlN2at6native12_GLOBAL__N_18offset_tEEE10hipError_tPvRmT1_PNSt15iterator_traitsIS12_E10value_typeET2_T3_PNS13_IS18_E10value_typeET4_jRbjT5_S1E_jjP12ihipStream_tbEUljE_ZNSN_ISO_Lb0ESQ_SR_ST_SU_SY_EESZ_S10_S11_S12_S16_S17_S18_S1B_S1C_jS1D_jS1E_S1E_jjS1G_bEUljE0_EEESZ_S10_S11_S18_S1C_S1E_T6_T7_T9_mT8_S1G_bDpT10_ENKUlT_T0_E_clISt17integral_constantIbLb1EES1U_EEDaS1P_S1Q_EUlS1P_E_NS1_11comp_targetILNS1_3genE0ELNS1_11target_archE4294967295ELNS1_3gpuE0ELNS1_3repE0EEENS1_30default_config_static_selectorELNS0_4arch9wavefront6targetE1EEEvS12_,comdat
.Lfunc_end958:
	.size	_ZN7rocprim17ROCPRIM_400000_NS6detail17trampoline_kernelINS0_13select_configILj256ELj13ELNS0_17block_load_methodE3ELS4_3ELS4_3ELNS0_20block_scan_algorithmE0ELj4294967295EEENS1_25partition_config_selectorILNS1_17partition_subalgoE4EjNS0_10empty_typeEbEEZZNS1_14partition_implILS8_4ELb0ES6_15HIP_vector_typeIjLj2EENS0_17counting_iteratorIjlEEPS9_SG_NS0_5tupleIJPjSI_NS0_16reverse_iteratorISI_EEEEENSH_IJSG_SG_SG_EEES9_SI_JZNS1_25segmented_radix_sort_implINS0_14default_configELb0EPKsPsPKlPlN2at6native12_GLOBAL__N_18offset_tEEE10hipError_tPvRmT1_PNSt15iterator_traitsIS12_E10value_typeET2_T3_PNS13_IS18_E10value_typeET4_jRbjT5_S1E_jjP12ihipStream_tbEUljE_ZNSN_ISO_Lb0ESQ_SR_ST_SU_SY_EESZ_S10_S11_S12_S16_S17_S18_S1B_S1C_jS1D_jS1E_S1E_jjS1G_bEUljE0_EEESZ_S10_S11_S18_S1C_S1E_T6_T7_T9_mT8_S1G_bDpT10_ENKUlT_T0_E_clISt17integral_constantIbLb1EES1U_EEDaS1P_S1Q_EUlS1P_E_NS1_11comp_targetILNS1_3genE0ELNS1_11target_archE4294967295ELNS1_3gpuE0ELNS1_3repE0EEENS1_30default_config_static_selectorELNS0_4arch9wavefront6targetE1EEEvS12_, .Lfunc_end958-_ZN7rocprim17ROCPRIM_400000_NS6detail17trampoline_kernelINS0_13select_configILj256ELj13ELNS0_17block_load_methodE3ELS4_3ELS4_3ELNS0_20block_scan_algorithmE0ELj4294967295EEENS1_25partition_config_selectorILNS1_17partition_subalgoE4EjNS0_10empty_typeEbEEZZNS1_14partition_implILS8_4ELb0ES6_15HIP_vector_typeIjLj2EENS0_17counting_iteratorIjlEEPS9_SG_NS0_5tupleIJPjSI_NS0_16reverse_iteratorISI_EEEEENSH_IJSG_SG_SG_EEES9_SI_JZNS1_25segmented_radix_sort_implINS0_14default_configELb0EPKsPsPKlPlN2at6native12_GLOBAL__N_18offset_tEEE10hipError_tPvRmT1_PNSt15iterator_traitsIS12_E10value_typeET2_T3_PNS13_IS18_E10value_typeET4_jRbjT5_S1E_jjP12ihipStream_tbEUljE_ZNSN_ISO_Lb0ESQ_SR_ST_SU_SY_EESZ_S10_S11_S12_S16_S17_S18_S1B_S1C_jS1D_jS1E_S1E_jjS1G_bEUljE0_EEESZ_S10_S11_S18_S1C_S1E_T6_T7_T9_mT8_S1G_bDpT10_ENKUlT_T0_E_clISt17integral_constantIbLb1EES1U_EEDaS1P_S1Q_EUlS1P_E_NS1_11comp_targetILNS1_3genE0ELNS1_11target_archE4294967295ELNS1_3gpuE0ELNS1_3repE0EEENS1_30default_config_static_selectorELNS0_4arch9wavefront6targetE1EEEvS12_
                                        ; -- End function
	.set _ZN7rocprim17ROCPRIM_400000_NS6detail17trampoline_kernelINS0_13select_configILj256ELj13ELNS0_17block_load_methodE3ELS4_3ELS4_3ELNS0_20block_scan_algorithmE0ELj4294967295EEENS1_25partition_config_selectorILNS1_17partition_subalgoE4EjNS0_10empty_typeEbEEZZNS1_14partition_implILS8_4ELb0ES6_15HIP_vector_typeIjLj2EENS0_17counting_iteratorIjlEEPS9_SG_NS0_5tupleIJPjSI_NS0_16reverse_iteratorISI_EEEEENSH_IJSG_SG_SG_EEES9_SI_JZNS1_25segmented_radix_sort_implINS0_14default_configELb0EPKsPsPKlPlN2at6native12_GLOBAL__N_18offset_tEEE10hipError_tPvRmT1_PNSt15iterator_traitsIS12_E10value_typeET2_T3_PNS13_IS18_E10value_typeET4_jRbjT5_S1E_jjP12ihipStream_tbEUljE_ZNSN_ISO_Lb0ESQ_SR_ST_SU_SY_EESZ_S10_S11_S12_S16_S17_S18_S1B_S1C_jS1D_jS1E_S1E_jjS1G_bEUljE0_EEESZ_S10_S11_S18_S1C_S1E_T6_T7_T9_mT8_S1G_bDpT10_ENKUlT_T0_E_clISt17integral_constantIbLb1EES1U_EEDaS1P_S1Q_EUlS1P_E_NS1_11comp_targetILNS1_3genE0ELNS1_11target_archE4294967295ELNS1_3gpuE0ELNS1_3repE0EEENS1_30default_config_static_selectorELNS0_4arch9wavefront6targetE1EEEvS12_.num_vgpr, 0
	.set _ZN7rocprim17ROCPRIM_400000_NS6detail17trampoline_kernelINS0_13select_configILj256ELj13ELNS0_17block_load_methodE3ELS4_3ELS4_3ELNS0_20block_scan_algorithmE0ELj4294967295EEENS1_25partition_config_selectorILNS1_17partition_subalgoE4EjNS0_10empty_typeEbEEZZNS1_14partition_implILS8_4ELb0ES6_15HIP_vector_typeIjLj2EENS0_17counting_iteratorIjlEEPS9_SG_NS0_5tupleIJPjSI_NS0_16reverse_iteratorISI_EEEEENSH_IJSG_SG_SG_EEES9_SI_JZNS1_25segmented_radix_sort_implINS0_14default_configELb0EPKsPsPKlPlN2at6native12_GLOBAL__N_18offset_tEEE10hipError_tPvRmT1_PNSt15iterator_traitsIS12_E10value_typeET2_T3_PNS13_IS18_E10value_typeET4_jRbjT5_S1E_jjP12ihipStream_tbEUljE_ZNSN_ISO_Lb0ESQ_SR_ST_SU_SY_EESZ_S10_S11_S12_S16_S17_S18_S1B_S1C_jS1D_jS1E_S1E_jjS1G_bEUljE0_EEESZ_S10_S11_S18_S1C_S1E_T6_T7_T9_mT8_S1G_bDpT10_ENKUlT_T0_E_clISt17integral_constantIbLb1EES1U_EEDaS1P_S1Q_EUlS1P_E_NS1_11comp_targetILNS1_3genE0ELNS1_11target_archE4294967295ELNS1_3gpuE0ELNS1_3repE0EEENS1_30default_config_static_selectorELNS0_4arch9wavefront6targetE1EEEvS12_.num_agpr, 0
	.set _ZN7rocprim17ROCPRIM_400000_NS6detail17trampoline_kernelINS0_13select_configILj256ELj13ELNS0_17block_load_methodE3ELS4_3ELS4_3ELNS0_20block_scan_algorithmE0ELj4294967295EEENS1_25partition_config_selectorILNS1_17partition_subalgoE4EjNS0_10empty_typeEbEEZZNS1_14partition_implILS8_4ELb0ES6_15HIP_vector_typeIjLj2EENS0_17counting_iteratorIjlEEPS9_SG_NS0_5tupleIJPjSI_NS0_16reverse_iteratorISI_EEEEENSH_IJSG_SG_SG_EEES9_SI_JZNS1_25segmented_radix_sort_implINS0_14default_configELb0EPKsPsPKlPlN2at6native12_GLOBAL__N_18offset_tEEE10hipError_tPvRmT1_PNSt15iterator_traitsIS12_E10value_typeET2_T3_PNS13_IS18_E10value_typeET4_jRbjT5_S1E_jjP12ihipStream_tbEUljE_ZNSN_ISO_Lb0ESQ_SR_ST_SU_SY_EESZ_S10_S11_S12_S16_S17_S18_S1B_S1C_jS1D_jS1E_S1E_jjS1G_bEUljE0_EEESZ_S10_S11_S18_S1C_S1E_T6_T7_T9_mT8_S1G_bDpT10_ENKUlT_T0_E_clISt17integral_constantIbLb1EES1U_EEDaS1P_S1Q_EUlS1P_E_NS1_11comp_targetILNS1_3genE0ELNS1_11target_archE4294967295ELNS1_3gpuE0ELNS1_3repE0EEENS1_30default_config_static_selectorELNS0_4arch9wavefront6targetE1EEEvS12_.numbered_sgpr, 0
	.set _ZN7rocprim17ROCPRIM_400000_NS6detail17trampoline_kernelINS0_13select_configILj256ELj13ELNS0_17block_load_methodE3ELS4_3ELS4_3ELNS0_20block_scan_algorithmE0ELj4294967295EEENS1_25partition_config_selectorILNS1_17partition_subalgoE4EjNS0_10empty_typeEbEEZZNS1_14partition_implILS8_4ELb0ES6_15HIP_vector_typeIjLj2EENS0_17counting_iteratorIjlEEPS9_SG_NS0_5tupleIJPjSI_NS0_16reverse_iteratorISI_EEEEENSH_IJSG_SG_SG_EEES9_SI_JZNS1_25segmented_radix_sort_implINS0_14default_configELb0EPKsPsPKlPlN2at6native12_GLOBAL__N_18offset_tEEE10hipError_tPvRmT1_PNSt15iterator_traitsIS12_E10value_typeET2_T3_PNS13_IS18_E10value_typeET4_jRbjT5_S1E_jjP12ihipStream_tbEUljE_ZNSN_ISO_Lb0ESQ_SR_ST_SU_SY_EESZ_S10_S11_S12_S16_S17_S18_S1B_S1C_jS1D_jS1E_S1E_jjS1G_bEUljE0_EEESZ_S10_S11_S18_S1C_S1E_T6_T7_T9_mT8_S1G_bDpT10_ENKUlT_T0_E_clISt17integral_constantIbLb1EES1U_EEDaS1P_S1Q_EUlS1P_E_NS1_11comp_targetILNS1_3genE0ELNS1_11target_archE4294967295ELNS1_3gpuE0ELNS1_3repE0EEENS1_30default_config_static_selectorELNS0_4arch9wavefront6targetE1EEEvS12_.num_named_barrier, 0
	.set _ZN7rocprim17ROCPRIM_400000_NS6detail17trampoline_kernelINS0_13select_configILj256ELj13ELNS0_17block_load_methodE3ELS4_3ELS4_3ELNS0_20block_scan_algorithmE0ELj4294967295EEENS1_25partition_config_selectorILNS1_17partition_subalgoE4EjNS0_10empty_typeEbEEZZNS1_14partition_implILS8_4ELb0ES6_15HIP_vector_typeIjLj2EENS0_17counting_iteratorIjlEEPS9_SG_NS0_5tupleIJPjSI_NS0_16reverse_iteratorISI_EEEEENSH_IJSG_SG_SG_EEES9_SI_JZNS1_25segmented_radix_sort_implINS0_14default_configELb0EPKsPsPKlPlN2at6native12_GLOBAL__N_18offset_tEEE10hipError_tPvRmT1_PNSt15iterator_traitsIS12_E10value_typeET2_T3_PNS13_IS18_E10value_typeET4_jRbjT5_S1E_jjP12ihipStream_tbEUljE_ZNSN_ISO_Lb0ESQ_SR_ST_SU_SY_EESZ_S10_S11_S12_S16_S17_S18_S1B_S1C_jS1D_jS1E_S1E_jjS1G_bEUljE0_EEESZ_S10_S11_S18_S1C_S1E_T6_T7_T9_mT8_S1G_bDpT10_ENKUlT_T0_E_clISt17integral_constantIbLb1EES1U_EEDaS1P_S1Q_EUlS1P_E_NS1_11comp_targetILNS1_3genE0ELNS1_11target_archE4294967295ELNS1_3gpuE0ELNS1_3repE0EEENS1_30default_config_static_selectorELNS0_4arch9wavefront6targetE1EEEvS12_.private_seg_size, 0
	.set _ZN7rocprim17ROCPRIM_400000_NS6detail17trampoline_kernelINS0_13select_configILj256ELj13ELNS0_17block_load_methodE3ELS4_3ELS4_3ELNS0_20block_scan_algorithmE0ELj4294967295EEENS1_25partition_config_selectorILNS1_17partition_subalgoE4EjNS0_10empty_typeEbEEZZNS1_14partition_implILS8_4ELb0ES6_15HIP_vector_typeIjLj2EENS0_17counting_iteratorIjlEEPS9_SG_NS0_5tupleIJPjSI_NS0_16reverse_iteratorISI_EEEEENSH_IJSG_SG_SG_EEES9_SI_JZNS1_25segmented_radix_sort_implINS0_14default_configELb0EPKsPsPKlPlN2at6native12_GLOBAL__N_18offset_tEEE10hipError_tPvRmT1_PNSt15iterator_traitsIS12_E10value_typeET2_T3_PNS13_IS18_E10value_typeET4_jRbjT5_S1E_jjP12ihipStream_tbEUljE_ZNSN_ISO_Lb0ESQ_SR_ST_SU_SY_EESZ_S10_S11_S12_S16_S17_S18_S1B_S1C_jS1D_jS1E_S1E_jjS1G_bEUljE0_EEESZ_S10_S11_S18_S1C_S1E_T6_T7_T9_mT8_S1G_bDpT10_ENKUlT_T0_E_clISt17integral_constantIbLb1EES1U_EEDaS1P_S1Q_EUlS1P_E_NS1_11comp_targetILNS1_3genE0ELNS1_11target_archE4294967295ELNS1_3gpuE0ELNS1_3repE0EEENS1_30default_config_static_selectorELNS0_4arch9wavefront6targetE1EEEvS12_.uses_vcc, 0
	.set _ZN7rocprim17ROCPRIM_400000_NS6detail17trampoline_kernelINS0_13select_configILj256ELj13ELNS0_17block_load_methodE3ELS4_3ELS4_3ELNS0_20block_scan_algorithmE0ELj4294967295EEENS1_25partition_config_selectorILNS1_17partition_subalgoE4EjNS0_10empty_typeEbEEZZNS1_14partition_implILS8_4ELb0ES6_15HIP_vector_typeIjLj2EENS0_17counting_iteratorIjlEEPS9_SG_NS0_5tupleIJPjSI_NS0_16reverse_iteratorISI_EEEEENSH_IJSG_SG_SG_EEES9_SI_JZNS1_25segmented_radix_sort_implINS0_14default_configELb0EPKsPsPKlPlN2at6native12_GLOBAL__N_18offset_tEEE10hipError_tPvRmT1_PNSt15iterator_traitsIS12_E10value_typeET2_T3_PNS13_IS18_E10value_typeET4_jRbjT5_S1E_jjP12ihipStream_tbEUljE_ZNSN_ISO_Lb0ESQ_SR_ST_SU_SY_EESZ_S10_S11_S12_S16_S17_S18_S1B_S1C_jS1D_jS1E_S1E_jjS1G_bEUljE0_EEESZ_S10_S11_S18_S1C_S1E_T6_T7_T9_mT8_S1G_bDpT10_ENKUlT_T0_E_clISt17integral_constantIbLb1EES1U_EEDaS1P_S1Q_EUlS1P_E_NS1_11comp_targetILNS1_3genE0ELNS1_11target_archE4294967295ELNS1_3gpuE0ELNS1_3repE0EEENS1_30default_config_static_selectorELNS0_4arch9wavefront6targetE1EEEvS12_.uses_flat_scratch, 0
	.set _ZN7rocprim17ROCPRIM_400000_NS6detail17trampoline_kernelINS0_13select_configILj256ELj13ELNS0_17block_load_methodE3ELS4_3ELS4_3ELNS0_20block_scan_algorithmE0ELj4294967295EEENS1_25partition_config_selectorILNS1_17partition_subalgoE4EjNS0_10empty_typeEbEEZZNS1_14partition_implILS8_4ELb0ES6_15HIP_vector_typeIjLj2EENS0_17counting_iteratorIjlEEPS9_SG_NS0_5tupleIJPjSI_NS0_16reverse_iteratorISI_EEEEENSH_IJSG_SG_SG_EEES9_SI_JZNS1_25segmented_radix_sort_implINS0_14default_configELb0EPKsPsPKlPlN2at6native12_GLOBAL__N_18offset_tEEE10hipError_tPvRmT1_PNSt15iterator_traitsIS12_E10value_typeET2_T3_PNS13_IS18_E10value_typeET4_jRbjT5_S1E_jjP12ihipStream_tbEUljE_ZNSN_ISO_Lb0ESQ_SR_ST_SU_SY_EESZ_S10_S11_S12_S16_S17_S18_S1B_S1C_jS1D_jS1E_S1E_jjS1G_bEUljE0_EEESZ_S10_S11_S18_S1C_S1E_T6_T7_T9_mT8_S1G_bDpT10_ENKUlT_T0_E_clISt17integral_constantIbLb1EES1U_EEDaS1P_S1Q_EUlS1P_E_NS1_11comp_targetILNS1_3genE0ELNS1_11target_archE4294967295ELNS1_3gpuE0ELNS1_3repE0EEENS1_30default_config_static_selectorELNS0_4arch9wavefront6targetE1EEEvS12_.has_dyn_sized_stack, 0
	.set _ZN7rocprim17ROCPRIM_400000_NS6detail17trampoline_kernelINS0_13select_configILj256ELj13ELNS0_17block_load_methodE3ELS4_3ELS4_3ELNS0_20block_scan_algorithmE0ELj4294967295EEENS1_25partition_config_selectorILNS1_17partition_subalgoE4EjNS0_10empty_typeEbEEZZNS1_14partition_implILS8_4ELb0ES6_15HIP_vector_typeIjLj2EENS0_17counting_iteratorIjlEEPS9_SG_NS0_5tupleIJPjSI_NS0_16reverse_iteratorISI_EEEEENSH_IJSG_SG_SG_EEES9_SI_JZNS1_25segmented_radix_sort_implINS0_14default_configELb0EPKsPsPKlPlN2at6native12_GLOBAL__N_18offset_tEEE10hipError_tPvRmT1_PNSt15iterator_traitsIS12_E10value_typeET2_T3_PNS13_IS18_E10value_typeET4_jRbjT5_S1E_jjP12ihipStream_tbEUljE_ZNSN_ISO_Lb0ESQ_SR_ST_SU_SY_EESZ_S10_S11_S12_S16_S17_S18_S1B_S1C_jS1D_jS1E_S1E_jjS1G_bEUljE0_EEESZ_S10_S11_S18_S1C_S1E_T6_T7_T9_mT8_S1G_bDpT10_ENKUlT_T0_E_clISt17integral_constantIbLb1EES1U_EEDaS1P_S1Q_EUlS1P_E_NS1_11comp_targetILNS1_3genE0ELNS1_11target_archE4294967295ELNS1_3gpuE0ELNS1_3repE0EEENS1_30default_config_static_selectorELNS0_4arch9wavefront6targetE1EEEvS12_.has_recursion, 0
	.set _ZN7rocprim17ROCPRIM_400000_NS6detail17trampoline_kernelINS0_13select_configILj256ELj13ELNS0_17block_load_methodE3ELS4_3ELS4_3ELNS0_20block_scan_algorithmE0ELj4294967295EEENS1_25partition_config_selectorILNS1_17partition_subalgoE4EjNS0_10empty_typeEbEEZZNS1_14partition_implILS8_4ELb0ES6_15HIP_vector_typeIjLj2EENS0_17counting_iteratorIjlEEPS9_SG_NS0_5tupleIJPjSI_NS0_16reverse_iteratorISI_EEEEENSH_IJSG_SG_SG_EEES9_SI_JZNS1_25segmented_radix_sort_implINS0_14default_configELb0EPKsPsPKlPlN2at6native12_GLOBAL__N_18offset_tEEE10hipError_tPvRmT1_PNSt15iterator_traitsIS12_E10value_typeET2_T3_PNS13_IS18_E10value_typeET4_jRbjT5_S1E_jjP12ihipStream_tbEUljE_ZNSN_ISO_Lb0ESQ_SR_ST_SU_SY_EESZ_S10_S11_S12_S16_S17_S18_S1B_S1C_jS1D_jS1E_S1E_jjS1G_bEUljE0_EEESZ_S10_S11_S18_S1C_S1E_T6_T7_T9_mT8_S1G_bDpT10_ENKUlT_T0_E_clISt17integral_constantIbLb1EES1U_EEDaS1P_S1Q_EUlS1P_E_NS1_11comp_targetILNS1_3genE0ELNS1_11target_archE4294967295ELNS1_3gpuE0ELNS1_3repE0EEENS1_30default_config_static_selectorELNS0_4arch9wavefront6targetE1EEEvS12_.has_indirect_call, 0
	.section	.AMDGPU.csdata,"",@progbits
; Kernel info:
; codeLenInByte = 0
; TotalNumSgprs: 4
; NumVgprs: 0
; ScratchSize: 0
; MemoryBound: 0
; FloatMode: 240
; IeeeMode: 1
; LDSByteSize: 0 bytes/workgroup (compile time only)
; SGPRBlocks: 0
; VGPRBlocks: 0
; NumSGPRsForWavesPerEU: 4
; NumVGPRsForWavesPerEU: 1
; Occupancy: 10
; WaveLimiterHint : 0
; COMPUTE_PGM_RSRC2:SCRATCH_EN: 0
; COMPUTE_PGM_RSRC2:USER_SGPR: 6
; COMPUTE_PGM_RSRC2:TRAP_HANDLER: 0
; COMPUTE_PGM_RSRC2:TGID_X_EN: 1
; COMPUTE_PGM_RSRC2:TGID_Y_EN: 0
; COMPUTE_PGM_RSRC2:TGID_Z_EN: 0
; COMPUTE_PGM_RSRC2:TIDIG_COMP_CNT: 0
	.section	.text._ZN7rocprim17ROCPRIM_400000_NS6detail17trampoline_kernelINS0_13select_configILj256ELj13ELNS0_17block_load_methodE3ELS4_3ELS4_3ELNS0_20block_scan_algorithmE0ELj4294967295EEENS1_25partition_config_selectorILNS1_17partition_subalgoE4EjNS0_10empty_typeEbEEZZNS1_14partition_implILS8_4ELb0ES6_15HIP_vector_typeIjLj2EENS0_17counting_iteratorIjlEEPS9_SG_NS0_5tupleIJPjSI_NS0_16reverse_iteratorISI_EEEEENSH_IJSG_SG_SG_EEES9_SI_JZNS1_25segmented_radix_sort_implINS0_14default_configELb0EPKsPsPKlPlN2at6native12_GLOBAL__N_18offset_tEEE10hipError_tPvRmT1_PNSt15iterator_traitsIS12_E10value_typeET2_T3_PNS13_IS18_E10value_typeET4_jRbjT5_S1E_jjP12ihipStream_tbEUljE_ZNSN_ISO_Lb0ESQ_SR_ST_SU_SY_EESZ_S10_S11_S12_S16_S17_S18_S1B_S1C_jS1D_jS1E_S1E_jjS1G_bEUljE0_EEESZ_S10_S11_S18_S1C_S1E_T6_T7_T9_mT8_S1G_bDpT10_ENKUlT_T0_E_clISt17integral_constantIbLb1EES1U_EEDaS1P_S1Q_EUlS1P_E_NS1_11comp_targetILNS1_3genE5ELNS1_11target_archE942ELNS1_3gpuE9ELNS1_3repE0EEENS1_30default_config_static_selectorELNS0_4arch9wavefront6targetE1EEEvS12_,"axG",@progbits,_ZN7rocprim17ROCPRIM_400000_NS6detail17trampoline_kernelINS0_13select_configILj256ELj13ELNS0_17block_load_methodE3ELS4_3ELS4_3ELNS0_20block_scan_algorithmE0ELj4294967295EEENS1_25partition_config_selectorILNS1_17partition_subalgoE4EjNS0_10empty_typeEbEEZZNS1_14partition_implILS8_4ELb0ES6_15HIP_vector_typeIjLj2EENS0_17counting_iteratorIjlEEPS9_SG_NS0_5tupleIJPjSI_NS0_16reverse_iteratorISI_EEEEENSH_IJSG_SG_SG_EEES9_SI_JZNS1_25segmented_radix_sort_implINS0_14default_configELb0EPKsPsPKlPlN2at6native12_GLOBAL__N_18offset_tEEE10hipError_tPvRmT1_PNSt15iterator_traitsIS12_E10value_typeET2_T3_PNS13_IS18_E10value_typeET4_jRbjT5_S1E_jjP12ihipStream_tbEUljE_ZNSN_ISO_Lb0ESQ_SR_ST_SU_SY_EESZ_S10_S11_S12_S16_S17_S18_S1B_S1C_jS1D_jS1E_S1E_jjS1G_bEUljE0_EEESZ_S10_S11_S18_S1C_S1E_T6_T7_T9_mT8_S1G_bDpT10_ENKUlT_T0_E_clISt17integral_constantIbLb1EES1U_EEDaS1P_S1Q_EUlS1P_E_NS1_11comp_targetILNS1_3genE5ELNS1_11target_archE942ELNS1_3gpuE9ELNS1_3repE0EEENS1_30default_config_static_selectorELNS0_4arch9wavefront6targetE1EEEvS12_,comdat
	.globl	_ZN7rocprim17ROCPRIM_400000_NS6detail17trampoline_kernelINS0_13select_configILj256ELj13ELNS0_17block_load_methodE3ELS4_3ELS4_3ELNS0_20block_scan_algorithmE0ELj4294967295EEENS1_25partition_config_selectorILNS1_17partition_subalgoE4EjNS0_10empty_typeEbEEZZNS1_14partition_implILS8_4ELb0ES6_15HIP_vector_typeIjLj2EENS0_17counting_iteratorIjlEEPS9_SG_NS0_5tupleIJPjSI_NS0_16reverse_iteratorISI_EEEEENSH_IJSG_SG_SG_EEES9_SI_JZNS1_25segmented_radix_sort_implINS0_14default_configELb0EPKsPsPKlPlN2at6native12_GLOBAL__N_18offset_tEEE10hipError_tPvRmT1_PNSt15iterator_traitsIS12_E10value_typeET2_T3_PNS13_IS18_E10value_typeET4_jRbjT5_S1E_jjP12ihipStream_tbEUljE_ZNSN_ISO_Lb0ESQ_SR_ST_SU_SY_EESZ_S10_S11_S12_S16_S17_S18_S1B_S1C_jS1D_jS1E_S1E_jjS1G_bEUljE0_EEESZ_S10_S11_S18_S1C_S1E_T6_T7_T9_mT8_S1G_bDpT10_ENKUlT_T0_E_clISt17integral_constantIbLb1EES1U_EEDaS1P_S1Q_EUlS1P_E_NS1_11comp_targetILNS1_3genE5ELNS1_11target_archE942ELNS1_3gpuE9ELNS1_3repE0EEENS1_30default_config_static_selectorELNS0_4arch9wavefront6targetE1EEEvS12_ ; -- Begin function _ZN7rocprim17ROCPRIM_400000_NS6detail17trampoline_kernelINS0_13select_configILj256ELj13ELNS0_17block_load_methodE3ELS4_3ELS4_3ELNS0_20block_scan_algorithmE0ELj4294967295EEENS1_25partition_config_selectorILNS1_17partition_subalgoE4EjNS0_10empty_typeEbEEZZNS1_14partition_implILS8_4ELb0ES6_15HIP_vector_typeIjLj2EENS0_17counting_iteratorIjlEEPS9_SG_NS0_5tupleIJPjSI_NS0_16reverse_iteratorISI_EEEEENSH_IJSG_SG_SG_EEES9_SI_JZNS1_25segmented_radix_sort_implINS0_14default_configELb0EPKsPsPKlPlN2at6native12_GLOBAL__N_18offset_tEEE10hipError_tPvRmT1_PNSt15iterator_traitsIS12_E10value_typeET2_T3_PNS13_IS18_E10value_typeET4_jRbjT5_S1E_jjP12ihipStream_tbEUljE_ZNSN_ISO_Lb0ESQ_SR_ST_SU_SY_EESZ_S10_S11_S12_S16_S17_S18_S1B_S1C_jS1D_jS1E_S1E_jjS1G_bEUljE0_EEESZ_S10_S11_S18_S1C_S1E_T6_T7_T9_mT8_S1G_bDpT10_ENKUlT_T0_E_clISt17integral_constantIbLb1EES1U_EEDaS1P_S1Q_EUlS1P_E_NS1_11comp_targetILNS1_3genE5ELNS1_11target_archE942ELNS1_3gpuE9ELNS1_3repE0EEENS1_30default_config_static_selectorELNS0_4arch9wavefront6targetE1EEEvS12_
	.p2align	8
	.type	_ZN7rocprim17ROCPRIM_400000_NS6detail17trampoline_kernelINS0_13select_configILj256ELj13ELNS0_17block_load_methodE3ELS4_3ELS4_3ELNS0_20block_scan_algorithmE0ELj4294967295EEENS1_25partition_config_selectorILNS1_17partition_subalgoE4EjNS0_10empty_typeEbEEZZNS1_14partition_implILS8_4ELb0ES6_15HIP_vector_typeIjLj2EENS0_17counting_iteratorIjlEEPS9_SG_NS0_5tupleIJPjSI_NS0_16reverse_iteratorISI_EEEEENSH_IJSG_SG_SG_EEES9_SI_JZNS1_25segmented_radix_sort_implINS0_14default_configELb0EPKsPsPKlPlN2at6native12_GLOBAL__N_18offset_tEEE10hipError_tPvRmT1_PNSt15iterator_traitsIS12_E10value_typeET2_T3_PNS13_IS18_E10value_typeET4_jRbjT5_S1E_jjP12ihipStream_tbEUljE_ZNSN_ISO_Lb0ESQ_SR_ST_SU_SY_EESZ_S10_S11_S12_S16_S17_S18_S1B_S1C_jS1D_jS1E_S1E_jjS1G_bEUljE0_EEESZ_S10_S11_S18_S1C_S1E_T6_T7_T9_mT8_S1G_bDpT10_ENKUlT_T0_E_clISt17integral_constantIbLb1EES1U_EEDaS1P_S1Q_EUlS1P_E_NS1_11comp_targetILNS1_3genE5ELNS1_11target_archE942ELNS1_3gpuE9ELNS1_3repE0EEENS1_30default_config_static_selectorELNS0_4arch9wavefront6targetE1EEEvS12_,@function
_ZN7rocprim17ROCPRIM_400000_NS6detail17trampoline_kernelINS0_13select_configILj256ELj13ELNS0_17block_load_methodE3ELS4_3ELS4_3ELNS0_20block_scan_algorithmE0ELj4294967295EEENS1_25partition_config_selectorILNS1_17partition_subalgoE4EjNS0_10empty_typeEbEEZZNS1_14partition_implILS8_4ELb0ES6_15HIP_vector_typeIjLj2EENS0_17counting_iteratorIjlEEPS9_SG_NS0_5tupleIJPjSI_NS0_16reverse_iteratorISI_EEEEENSH_IJSG_SG_SG_EEES9_SI_JZNS1_25segmented_radix_sort_implINS0_14default_configELb0EPKsPsPKlPlN2at6native12_GLOBAL__N_18offset_tEEE10hipError_tPvRmT1_PNSt15iterator_traitsIS12_E10value_typeET2_T3_PNS13_IS18_E10value_typeET4_jRbjT5_S1E_jjP12ihipStream_tbEUljE_ZNSN_ISO_Lb0ESQ_SR_ST_SU_SY_EESZ_S10_S11_S12_S16_S17_S18_S1B_S1C_jS1D_jS1E_S1E_jjS1G_bEUljE0_EEESZ_S10_S11_S18_S1C_S1E_T6_T7_T9_mT8_S1G_bDpT10_ENKUlT_T0_E_clISt17integral_constantIbLb1EES1U_EEDaS1P_S1Q_EUlS1P_E_NS1_11comp_targetILNS1_3genE5ELNS1_11target_archE942ELNS1_3gpuE9ELNS1_3repE0EEENS1_30default_config_static_selectorELNS0_4arch9wavefront6targetE1EEEvS12_: ; @_ZN7rocprim17ROCPRIM_400000_NS6detail17trampoline_kernelINS0_13select_configILj256ELj13ELNS0_17block_load_methodE3ELS4_3ELS4_3ELNS0_20block_scan_algorithmE0ELj4294967295EEENS1_25partition_config_selectorILNS1_17partition_subalgoE4EjNS0_10empty_typeEbEEZZNS1_14partition_implILS8_4ELb0ES6_15HIP_vector_typeIjLj2EENS0_17counting_iteratorIjlEEPS9_SG_NS0_5tupleIJPjSI_NS0_16reverse_iteratorISI_EEEEENSH_IJSG_SG_SG_EEES9_SI_JZNS1_25segmented_radix_sort_implINS0_14default_configELb0EPKsPsPKlPlN2at6native12_GLOBAL__N_18offset_tEEE10hipError_tPvRmT1_PNSt15iterator_traitsIS12_E10value_typeET2_T3_PNS13_IS18_E10value_typeET4_jRbjT5_S1E_jjP12ihipStream_tbEUljE_ZNSN_ISO_Lb0ESQ_SR_ST_SU_SY_EESZ_S10_S11_S12_S16_S17_S18_S1B_S1C_jS1D_jS1E_S1E_jjS1G_bEUljE0_EEESZ_S10_S11_S18_S1C_S1E_T6_T7_T9_mT8_S1G_bDpT10_ENKUlT_T0_E_clISt17integral_constantIbLb1EES1U_EEDaS1P_S1Q_EUlS1P_E_NS1_11comp_targetILNS1_3genE5ELNS1_11target_archE942ELNS1_3gpuE9ELNS1_3repE0EEENS1_30default_config_static_selectorELNS0_4arch9wavefront6targetE1EEEvS12_
; %bb.0:
	.section	.rodata,"a",@progbits
	.p2align	6, 0x0
	.amdhsa_kernel _ZN7rocprim17ROCPRIM_400000_NS6detail17trampoline_kernelINS0_13select_configILj256ELj13ELNS0_17block_load_methodE3ELS4_3ELS4_3ELNS0_20block_scan_algorithmE0ELj4294967295EEENS1_25partition_config_selectorILNS1_17partition_subalgoE4EjNS0_10empty_typeEbEEZZNS1_14partition_implILS8_4ELb0ES6_15HIP_vector_typeIjLj2EENS0_17counting_iteratorIjlEEPS9_SG_NS0_5tupleIJPjSI_NS0_16reverse_iteratorISI_EEEEENSH_IJSG_SG_SG_EEES9_SI_JZNS1_25segmented_radix_sort_implINS0_14default_configELb0EPKsPsPKlPlN2at6native12_GLOBAL__N_18offset_tEEE10hipError_tPvRmT1_PNSt15iterator_traitsIS12_E10value_typeET2_T3_PNS13_IS18_E10value_typeET4_jRbjT5_S1E_jjP12ihipStream_tbEUljE_ZNSN_ISO_Lb0ESQ_SR_ST_SU_SY_EESZ_S10_S11_S12_S16_S17_S18_S1B_S1C_jS1D_jS1E_S1E_jjS1G_bEUljE0_EEESZ_S10_S11_S18_S1C_S1E_T6_T7_T9_mT8_S1G_bDpT10_ENKUlT_T0_E_clISt17integral_constantIbLb1EES1U_EEDaS1P_S1Q_EUlS1P_E_NS1_11comp_targetILNS1_3genE5ELNS1_11target_archE942ELNS1_3gpuE9ELNS1_3repE0EEENS1_30default_config_static_selectorELNS0_4arch9wavefront6targetE1EEEvS12_
		.amdhsa_group_segment_fixed_size 0
		.amdhsa_private_segment_fixed_size 0
		.amdhsa_kernarg_size 184
		.amdhsa_user_sgpr_count 6
		.amdhsa_user_sgpr_private_segment_buffer 1
		.amdhsa_user_sgpr_dispatch_ptr 0
		.amdhsa_user_sgpr_queue_ptr 0
		.amdhsa_user_sgpr_kernarg_segment_ptr 1
		.amdhsa_user_sgpr_dispatch_id 0
		.amdhsa_user_sgpr_flat_scratch_init 0
		.amdhsa_user_sgpr_private_segment_size 0
		.amdhsa_uses_dynamic_stack 0
		.amdhsa_system_sgpr_private_segment_wavefront_offset 0
		.amdhsa_system_sgpr_workgroup_id_x 1
		.amdhsa_system_sgpr_workgroup_id_y 0
		.amdhsa_system_sgpr_workgroup_id_z 0
		.amdhsa_system_sgpr_workgroup_info 0
		.amdhsa_system_vgpr_workitem_id 0
		.amdhsa_next_free_vgpr 1
		.amdhsa_next_free_sgpr 0
		.amdhsa_reserve_vcc 0
		.amdhsa_reserve_flat_scratch 0
		.amdhsa_float_round_mode_32 0
		.amdhsa_float_round_mode_16_64 0
		.amdhsa_float_denorm_mode_32 3
		.amdhsa_float_denorm_mode_16_64 3
		.amdhsa_dx10_clamp 1
		.amdhsa_ieee_mode 1
		.amdhsa_fp16_overflow 0
		.amdhsa_exception_fp_ieee_invalid_op 0
		.amdhsa_exception_fp_denorm_src 0
		.amdhsa_exception_fp_ieee_div_zero 0
		.amdhsa_exception_fp_ieee_overflow 0
		.amdhsa_exception_fp_ieee_underflow 0
		.amdhsa_exception_fp_ieee_inexact 0
		.amdhsa_exception_int_div_zero 0
	.end_amdhsa_kernel
	.section	.text._ZN7rocprim17ROCPRIM_400000_NS6detail17trampoline_kernelINS0_13select_configILj256ELj13ELNS0_17block_load_methodE3ELS4_3ELS4_3ELNS0_20block_scan_algorithmE0ELj4294967295EEENS1_25partition_config_selectorILNS1_17partition_subalgoE4EjNS0_10empty_typeEbEEZZNS1_14partition_implILS8_4ELb0ES6_15HIP_vector_typeIjLj2EENS0_17counting_iteratorIjlEEPS9_SG_NS0_5tupleIJPjSI_NS0_16reverse_iteratorISI_EEEEENSH_IJSG_SG_SG_EEES9_SI_JZNS1_25segmented_radix_sort_implINS0_14default_configELb0EPKsPsPKlPlN2at6native12_GLOBAL__N_18offset_tEEE10hipError_tPvRmT1_PNSt15iterator_traitsIS12_E10value_typeET2_T3_PNS13_IS18_E10value_typeET4_jRbjT5_S1E_jjP12ihipStream_tbEUljE_ZNSN_ISO_Lb0ESQ_SR_ST_SU_SY_EESZ_S10_S11_S12_S16_S17_S18_S1B_S1C_jS1D_jS1E_S1E_jjS1G_bEUljE0_EEESZ_S10_S11_S18_S1C_S1E_T6_T7_T9_mT8_S1G_bDpT10_ENKUlT_T0_E_clISt17integral_constantIbLb1EES1U_EEDaS1P_S1Q_EUlS1P_E_NS1_11comp_targetILNS1_3genE5ELNS1_11target_archE942ELNS1_3gpuE9ELNS1_3repE0EEENS1_30default_config_static_selectorELNS0_4arch9wavefront6targetE1EEEvS12_,"axG",@progbits,_ZN7rocprim17ROCPRIM_400000_NS6detail17trampoline_kernelINS0_13select_configILj256ELj13ELNS0_17block_load_methodE3ELS4_3ELS4_3ELNS0_20block_scan_algorithmE0ELj4294967295EEENS1_25partition_config_selectorILNS1_17partition_subalgoE4EjNS0_10empty_typeEbEEZZNS1_14partition_implILS8_4ELb0ES6_15HIP_vector_typeIjLj2EENS0_17counting_iteratorIjlEEPS9_SG_NS0_5tupleIJPjSI_NS0_16reverse_iteratorISI_EEEEENSH_IJSG_SG_SG_EEES9_SI_JZNS1_25segmented_radix_sort_implINS0_14default_configELb0EPKsPsPKlPlN2at6native12_GLOBAL__N_18offset_tEEE10hipError_tPvRmT1_PNSt15iterator_traitsIS12_E10value_typeET2_T3_PNS13_IS18_E10value_typeET4_jRbjT5_S1E_jjP12ihipStream_tbEUljE_ZNSN_ISO_Lb0ESQ_SR_ST_SU_SY_EESZ_S10_S11_S12_S16_S17_S18_S1B_S1C_jS1D_jS1E_S1E_jjS1G_bEUljE0_EEESZ_S10_S11_S18_S1C_S1E_T6_T7_T9_mT8_S1G_bDpT10_ENKUlT_T0_E_clISt17integral_constantIbLb1EES1U_EEDaS1P_S1Q_EUlS1P_E_NS1_11comp_targetILNS1_3genE5ELNS1_11target_archE942ELNS1_3gpuE9ELNS1_3repE0EEENS1_30default_config_static_selectorELNS0_4arch9wavefront6targetE1EEEvS12_,comdat
.Lfunc_end959:
	.size	_ZN7rocprim17ROCPRIM_400000_NS6detail17trampoline_kernelINS0_13select_configILj256ELj13ELNS0_17block_load_methodE3ELS4_3ELS4_3ELNS0_20block_scan_algorithmE0ELj4294967295EEENS1_25partition_config_selectorILNS1_17partition_subalgoE4EjNS0_10empty_typeEbEEZZNS1_14partition_implILS8_4ELb0ES6_15HIP_vector_typeIjLj2EENS0_17counting_iteratorIjlEEPS9_SG_NS0_5tupleIJPjSI_NS0_16reverse_iteratorISI_EEEEENSH_IJSG_SG_SG_EEES9_SI_JZNS1_25segmented_radix_sort_implINS0_14default_configELb0EPKsPsPKlPlN2at6native12_GLOBAL__N_18offset_tEEE10hipError_tPvRmT1_PNSt15iterator_traitsIS12_E10value_typeET2_T3_PNS13_IS18_E10value_typeET4_jRbjT5_S1E_jjP12ihipStream_tbEUljE_ZNSN_ISO_Lb0ESQ_SR_ST_SU_SY_EESZ_S10_S11_S12_S16_S17_S18_S1B_S1C_jS1D_jS1E_S1E_jjS1G_bEUljE0_EEESZ_S10_S11_S18_S1C_S1E_T6_T7_T9_mT8_S1G_bDpT10_ENKUlT_T0_E_clISt17integral_constantIbLb1EES1U_EEDaS1P_S1Q_EUlS1P_E_NS1_11comp_targetILNS1_3genE5ELNS1_11target_archE942ELNS1_3gpuE9ELNS1_3repE0EEENS1_30default_config_static_selectorELNS0_4arch9wavefront6targetE1EEEvS12_, .Lfunc_end959-_ZN7rocprim17ROCPRIM_400000_NS6detail17trampoline_kernelINS0_13select_configILj256ELj13ELNS0_17block_load_methodE3ELS4_3ELS4_3ELNS0_20block_scan_algorithmE0ELj4294967295EEENS1_25partition_config_selectorILNS1_17partition_subalgoE4EjNS0_10empty_typeEbEEZZNS1_14partition_implILS8_4ELb0ES6_15HIP_vector_typeIjLj2EENS0_17counting_iteratorIjlEEPS9_SG_NS0_5tupleIJPjSI_NS0_16reverse_iteratorISI_EEEEENSH_IJSG_SG_SG_EEES9_SI_JZNS1_25segmented_radix_sort_implINS0_14default_configELb0EPKsPsPKlPlN2at6native12_GLOBAL__N_18offset_tEEE10hipError_tPvRmT1_PNSt15iterator_traitsIS12_E10value_typeET2_T3_PNS13_IS18_E10value_typeET4_jRbjT5_S1E_jjP12ihipStream_tbEUljE_ZNSN_ISO_Lb0ESQ_SR_ST_SU_SY_EESZ_S10_S11_S12_S16_S17_S18_S1B_S1C_jS1D_jS1E_S1E_jjS1G_bEUljE0_EEESZ_S10_S11_S18_S1C_S1E_T6_T7_T9_mT8_S1G_bDpT10_ENKUlT_T0_E_clISt17integral_constantIbLb1EES1U_EEDaS1P_S1Q_EUlS1P_E_NS1_11comp_targetILNS1_3genE5ELNS1_11target_archE942ELNS1_3gpuE9ELNS1_3repE0EEENS1_30default_config_static_selectorELNS0_4arch9wavefront6targetE1EEEvS12_
                                        ; -- End function
	.set _ZN7rocprim17ROCPRIM_400000_NS6detail17trampoline_kernelINS0_13select_configILj256ELj13ELNS0_17block_load_methodE3ELS4_3ELS4_3ELNS0_20block_scan_algorithmE0ELj4294967295EEENS1_25partition_config_selectorILNS1_17partition_subalgoE4EjNS0_10empty_typeEbEEZZNS1_14partition_implILS8_4ELb0ES6_15HIP_vector_typeIjLj2EENS0_17counting_iteratorIjlEEPS9_SG_NS0_5tupleIJPjSI_NS0_16reverse_iteratorISI_EEEEENSH_IJSG_SG_SG_EEES9_SI_JZNS1_25segmented_radix_sort_implINS0_14default_configELb0EPKsPsPKlPlN2at6native12_GLOBAL__N_18offset_tEEE10hipError_tPvRmT1_PNSt15iterator_traitsIS12_E10value_typeET2_T3_PNS13_IS18_E10value_typeET4_jRbjT5_S1E_jjP12ihipStream_tbEUljE_ZNSN_ISO_Lb0ESQ_SR_ST_SU_SY_EESZ_S10_S11_S12_S16_S17_S18_S1B_S1C_jS1D_jS1E_S1E_jjS1G_bEUljE0_EEESZ_S10_S11_S18_S1C_S1E_T6_T7_T9_mT8_S1G_bDpT10_ENKUlT_T0_E_clISt17integral_constantIbLb1EES1U_EEDaS1P_S1Q_EUlS1P_E_NS1_11comp_targetILNS1_3genE5ELNS1_11target_archE942ELNS1_3gpuE9ELNS1_3repE0EEENS1_30default_config_static_selectorELNS0_4arch9wavefront6targetE1EEEvS12_.num_vgpr, 0
	.set _ZN7rocprim17ROCPRIM_400000_NS6detail17trampoline_kernelINS0_13select_configILj256ELj13ELNS0_17block_load_methodE3ELS4_3ELS4_3ELNS0_20block_scan_algorithmE0ELj4294967295EEENS1_25partition_config_selectorILNS1_17partition_subalgoE4EjNS0_10empty_typeEbEEZZNS1_14partition_implILS8_4ELb0ES6_15HIP_vector_typeIjLj2EENS0_17counting_iteratorIjlEEPS9_SG_NS0_5tupleIJPjSI_NS0_16reverse_iteratorISI_EEEEENSH_IJSG_SG_SG_EEES9_SI_JZNS1_25segmented_radix_sort_implINS0_14default_configELb0EPKsPsPKlPlN2at6native12_GLOBAL__N_18offset_tEEE10hipError_tPvRmT1_PNSt15iterator_traitsIS12_E10value_typeET2_T3_PNS13_IS18_E10value_typeET4_jRbjT5_S1E_jjP12ihipStream_tbEUljE_ZNSN_ISO_Lb0ESQ_SR_ST_SU_SY_EESZ_S10_S11_S12_S16_S17_S18_S1B_S1C_jS1D_jS1E_S1E_jjS1G_bEUljE0_EEESZ_S10_S11_S18_S1C_S1E_T6_T7_T9_mT8_S1G_bDpT10_ENKUlT_T0_E_clISt17integral_constantIbLb1EES1U_EEDaS1P_S1Q_EUlS1P_E_NS1_11comp_targetILNS1_3genE5ELNS1_11target_archE942ELNS1_3gpuE9ELNS1_3repE0EEENS1_30default_config_static_selectorELNS0_4arch9wavefront6targetE1EEEvS12_.num_agpr, 0
	.set _ZN7rocprim17ROCPRIM_400000_NS6detail17trampoline_kernelINS0_13select_configILj256ELj13ELNS0_17block_load_methodE3ELS4_3ELS4_3ELNS0_20block_scan_algorithmE0ELj4294967295EEENS1_25partition_config_selectorILNS1_17partition_subalgoE4EjNS0_10empty_typeEbEEZZNS1_14partition_implILS8_4ELb0ES6_15HIP_vector_typeIjLj2EENS0_17counting_iteratorIjlEEPS9_SG_NS0_5tupleIJPjSI_NS0_16reverse_iteratorISI_EEEEENSH_IJSG_SG_SG_EEES9_SI_JZNS1_25segmented_radix_sort_implINS0_14default_configELb0EPKsPsPKlPlN2at6native12_GLOBAL__N_18offset_tEEE10hipError_tPvRmT1_PNSt15iterator_traitsIS12_E10value_typeET2_T3_PNS13_IS18_E10value_typeET4_jRbjT5_S1E_jjP12ihipStream_tbEUljE_ZNSN_ISO_Lb0ESQ_SR_ST_SU_SY_EESZ_S10_S11_S12_S16_S17_S18_S1B_S1C_jS1D_jS1E_S1E_jjS1G_bEUljE0_EEESZ_S10_S11_S18_S1C_S1E_T6_T7_T9_mT8_S1G_bDpT10_ENKUlT_T0_E_clISt17integral_constantIbLb1EES1U_EEDaS1P_S1Q_EUlS1P_E_NS1_11comp_targetILNS1_3genE5ELNS1_11target_archE942ELNS1_3gpuE9ELNS1_3repE0EEENS1_30default_config_static_selectorELNS0_4arch9wavefront6targetE1EEEvS12_.numbered_sgpr, 0
	.set _ZN7rocprim17ROCPRIM_400000_NS6detail17trampoline_kernelINS0_13select_configILj256ELj13ELNS0_17block_load_methodE3ELS4_3ELS4_3ELNS0_20block_scan_algorithmE0ELj4294967295EEENS1_25partition_config_selectorILNS1_17partition_subalgoE4EjNS0_10empty_typeEbEEZZNS1_14partition_implILS8_4ELb0ES6_15HIP_vector_typeIjLj2EENS0_17counting_iteratorIjlEEPS9_SG_NS0_5tupleIJPjSI_NS0_16reverse_iteratorISI_EEEEENSH_IJSG_SG_SG_EEES9_SI_JZNS1_25segmented_radix_sort_implINS0_14default_configELb0EPKsPsPKlPlN2at6native12_GLOBAL__N_18offset_tEEE10hipError_tPvRmT1_PNSt15iterator_traitsIS12_E10value_typeET2_T3_PNS13_IS18_E10value_typeET4_jRbjT5_S1E_jjP12ihipStream_tbEUljE_ZNSN_ISO_Lb0ESQ_SR_ST_SU_SY_EESZ_S10_S11_S12_S16_S17_S18_S1B_S1C_jS1D_jS1E_S1E_jjS1G_bEUljE0_EEESZ_S10_S11_S18_S1C_S1E_T6_T7_T9_mT8_S1G_bDpT10_ENKUlT_T0_E_clISt17integral_constantIbLb1EES1U_EEDaS1P_S1Q_EUlS1P_E_NS1_11comp_targetILNS1_3genE5ELNS1_11target_archE942ELNS1_3gpuE9ELNS1_3repE0EEENS1_30default_config_static_selectorELNS0_4arch9wavefront6targetE1EEEvS12_.num_named_barrier, 0
	.set _ZN7rocprim17ROCPRIM_400000_NS6detail17trampoline_kernelINS0_13select_configILj256ELj13ELNS0_17block_load_methodE3ELS4_3ELS4_3ELNS0_20block_scan_algorithmE0ELj4294967295EEENS1_25partition_config_selectorILNS1_17partition_subalgoE4EjNS0_10empty_typeEbEEZZNS1_14partition_implILS8_4ELb0ES6_15HIP_vector_typeIjLj2EENS0_17counting_iteratorIjlEEPS9_SG_NS0_5tupleIJPjSI_NS0_16reverse_iteratorISI_EEEEENSH_IJSG_SG_SG_EEES9_SI_JZNS1_25segmented_radix_sort_implINS0_14default_configELb0EPKsPsPKlPlN2at6native12_GLOBAL__N_18offset_tEEE10hipError_tPvRmT1_PNSt15iterator_traitsIS12_E10value_typeET2_T3_PNS13_IS18_E10value_typeET4_jRbjT5_S1E_jjP12ihipStream_tbEUljE_ZNSN_ISO_Lb0ESQ_SR_ST_SU_SY_EESZ_S10_S11_S12_S16_S17_S18_S1B_S1C_jS1D_jS1E_S1E_jjS1G_bEUljE0_EEESZ_S10_S11_S18_S1C_S1E_T6_T7_T9_mT8_S1G_bDpT10_ENKUlT_T0_E_clISt17integral_constantIbLb1EES1U_EEDaS1P_S1Q_EUlS1P_E_NS1_11comp_targetILNS1_3genE5ELNS1_11target_archE942ELNS1_3gpuE9ELNS1_3repE0EEENS1_30default_config_static_selectorELNS0_4arch9wavefront6targetE1EEEvS12_.private_seg_size, 0
	.set _ZN7rocprim17ROCPRIM_400000_NS6detail17trampoline_kernelINS0_13select_configILj256ELj13ELNS0_17block_load_methodE3ELS4_3ELS4_3ELNS0_20block_scan_algorithmE0ELj4294967295EEENS1_25partition_config_selectorILNS1_17partition_subalgoE4EjNS0_10empty_typeEbEEZZNS1_14partition_implILS8_4ELb0ES6_15HIP_vector_typeIjLj2EENS0_17counting_iteratorIjlEEPS9_SG_NS0_5tupleIJPjSI_NS0_16reverse_iteratorISI_EEEEENSH_IJSG_SG_SG_EEES9_SI_JZNS1_25segmented_radix_sort_implINS0_14default_configELb0EPKsPsPKlPlN2at6native12_GLOBAL__N_18offset_tEEE10hipError_tPvRmT1_PNSt15iterator_traitsIS12_E10value_typeET2_T3_PNS13_IS18_E10value_typeET4_jRbjT5_S1E_jjP12ihipStream_tbEUljE_ZNSN_ISO_Lb0ESQ_SR_ST_SU_SY_EESZ_S10_S11_S12_S16_S17_S18_S1B_S1C_jS1D_jS1E_S1E_jjS1G_bEUljE0_EEESZ_S10_S11_S18_S1C_S1E_T6_T7_T9_mT8_S1G_bDpT10_ENKUlT_T0_E_clISt17integral_constantIbLb1EES1U_EEDaS1P_S1Q_EUlS1P_E_NS1_11comp_targetILNS1_3genE5ELNS1_11target_archE942ELNS1_3gpuE9ELNS1_3repE0EEENS1_30default_config_static_selectorELNS0_4arch9wavefront6targetE1EEEvS12_.uses_vcc, 0
	.set _ZN7rocprim17ROCPRIM_400000_NS6detail17trampoline_kernelINS0_13select_configILj256ELj13ELNS0_17block_load_methodE3ELS4_3ELS4_3ELNS0_20block_scan_algorithmE0ELj4294967295EEENS1_25partition_config_selectorILNS1_17partition_subalgoE4EjNS0_10empty_typeEbEEZZNS1_14partition_implILS8_4ELb0ES6_15HIP_vector_typeIjLj2EENS0_17counting_iteratorIjlEEPS9_SG_NS0_5tupleIJPjSI_NS0_16reverse_iteratorISI_EEEEENSH_IJSG_SG_SG_EEES9_SI_JZNS1_25segmented_radix_sort_implINS0_14default_configELb0EPKsPsPKlPlN2at6native12_GLOBAL__N_18offset_tEEE10hipError_tPvRmT1_PNSt15iterator_traitsIS12_E10value_typeET2_T3_PNS13_IS18_E10value_typeET4_jRbjT5_S1E_jjP12ihipStream_tbEUljE_ZNSN_ISO_Lb0ESQ_SR_ST_SU_SY_EESZ_S10_S11_S12_S16_S17_S18_S1B_S1C_jS1D_jS1E_S1E_jjS1G_bEUljE0_EEESZ_S10_S11_S18_S1C_S1E_T6_T7_T9_mT8_S1G_bDpT10_ENKUlT_T0_E_clISt17integral_constantIbLb1EES1U_EEDaS1P_S1Q_EUlS1P_E_NS1_11comp_targetILNS1_3genE5ELNS1_11target_archE942ELNS1_3gpuE9ELNS1_3repE0EEENS1_30default_config_static_selectorELNS0_4arch9wavefront6targetE1EEEvS12_.uses_flat_scratch, 0
	.set _ZN7rocprim17ROCPRIM_400000_NS6detail17trampoline_kernelINS0_13select_configILj256ELj13ELNS0_17block_load_methodE3ELS4_3ELS4_3ELNS0_20block_scan_algorithmE0ELj4294967295EEENS1_25partition_config_selectorILNS1_17partition_subalgoE4EjNS0_10empty_typeEbEEZZNS1_14partition_implILS8_4ELb0ES6_15HIP_vector_typeIjLj2EENS0_17counting_iteratorIjlEEPS9_SG_NS0_5tupleIJPjSI_NS0_16reverse_iteratorISI_EEEEENSH_IJSG_SG_SG_EEES9_SI_JZNS1_25segmented_radix_sort_implINS0_14default_configELb0EPKsPsPKlPlN2at6native12_GLOBAL__N_18offset_tEEE10hipError_tPvRmT1_PNSt15iterator_traitsIS12_E10value_typeET2_T3_PNS13_IS18_E10value_typeET4_jRbjT5_S1E_jjP12ihipStream_tbEUljE_ZNSN_ISO_Lb0ESQ_SR_ST_SU_SY_EESZ_S10_S11_S12_S16_S17_S18_S1B_S1C_jS1D_jS1E_S1E_jjS1G_bEUljE0_EEESZ_S10_S11_S18_S1C_S1E_T6_T7_T9_mT8_S1G_bDpT10_ENKUlT_T0_E_clISt17integral_constantIbLb1EES1U_EEDaS1P_S1Q_EUlS1P_E_NS1_11comp_targetILNS1_3genE5ELNS1_11target_archE942ELNS1_3gpuE9ELNS1_3repE0EEENS1_30default_config_static_selectorELNS0_4arch9wavefront6targetE1EEEvS12_.has_dyn_sized_stack, 0
	.set _ZN7rocprim17ROCPRIM_400000_NS6detail17trampoline_kernelINS0_13select_configILj256ELj13ELNS0_17block_load_methodE3ELS4_3ELS4_3ELNS0_20block_scan_algorithmE0ELj4294967295EEENS1_25partition_config_selectorILNS1_17partition_subalgoE4EjNS0_10empty_typeEbEEZZNS1_14partition_implILS8_4ELb0ES6_15HIP_vector_typeIjLj2EENS0_17counting_iteratorIjlEEPS9_SG_NS0_5tupleIJPjSI_NS0_16reverse_iteratorISI_EEEEENSH_IJSG_SG_SG_EEES9_SI_JZNS1_25segmented_radix_sort_implINS0_14default_configELb0EPKsPsPKlPlN2at6native12_GLOBAL__N_18offset_tEEE10hipError_tPvRmT1_PNSt15iterator_traitsIS12_E10value_typeET2_T3_PNS13_IS18_E10value_typeET4_jRbjT5_S1E_jjP12ihipStream_tbEUljE_ZNSN_ISO_Lb0ESQ_SR_ST_SU_SY_EESZ_S10_S11_S12_S16_S17_S18_S1B_S1C_jS1D_jS1E_S1E_jjS1G_bEUljE0_EEESZ_S10_S11_S18_S1C_S1E_T6_T7_T9_mT8_S1G_bDpT10_ENKUlT_T0_E_clISt17integral_constantIbLb1EES1U_EEDaS1P_S1Q_EUlS1P_E_NS1_11comp_targetILNS1_3genE5ELNS1_11target_archE942ELNS1_3gpuE9ELNS1_3repE0EEENS1_30default_config_static_selectorELNS0_4arch9wavefront6targetE1EEEvS12_.has_recursion, 0
	.set _ZN7rocprim17ROCPRIM_400000_NS6detail17trampoline_kernelINS0_13select_configILj256ELj13ELNS0_17block_load_methodE3ELS4_3ELS4_3ELNS0_20block_scan_algorithmE0ELj4294967295EEENS1_25partition_config_selectorILNS1_17partition_subalgoE4EjNS0_10empty_typeEbEEZZNS1_14partition_implILS8_4ELb0ES6_15HIP_vector_typeIjLj2EENS0_17counting_iteratorIjlEEPS9_SG_NS0_5tupleIJPjSI_NS0_16reverse_iteratorISI_EEEEENSH_IJSG_SG_SG_EEES9_SI_JZNS1_25segmented_radix_sort_implINS0_14default_configELb0EPKsPsPKlPlN2at6native12_GLOBAL__N_18offset_tEEE10hipError_tPvRmT1_PNSt15iterator_traitsIS12_E10value_typeET2_T3_PNS13_IS18_E10value_typeET4_jRbjT5_S1E_jjP12ihipStream_tbEUljE_ZNSN_ISO_Lb0ESQ_SR_ST_SU_SY_EESZ_S10_S11_S12_S16_S17_S18_S1B_S1C_jS1D_jS1E_S1E_jjS1G_bEUljE0_EEESZ_S10_S11_S18_S1C_S1E_T6_T7_T9_mT8_S1G_bDpT10_ENKUlT_T0_E_clISt17integral_constantIbLb1EES1U_EEDaS1P_S1Q_EUlS1P_E_NS1_11comp_targetILNS1_3genE5ELNS1_11target_archE942ELNS1_3gpuE9ELNS1_3repE0EEENS1_30default_config_static_selectorELNS0_4arch9wavefront6targetE1EEEvS12_.has_indirect_call, 0
	.section	.AMDGPU.csdata,"",@progbits
; Kernel info:
; codeLenInByte = 0
; TotalNumSgprs: 4
; NumVgprs: 0
; ScratchSize: 0
; MemoryBound: 0
; FloatMode: 240
; IeeeMode: 1
; LDSByteSize: 0 bytes/workgroup (compile time only)
; SGPRBlocks: 0
; VGPRBlocks: 0
; NumSGPRsForWavesPerEU: 4
; NumVGPRsForWavesPerEU: 1
; Occupancy: 10
; WaveLimiterHint : 0
; COMPUTE_PGM_RSRC2:SCRATCH_EN: 0
; COMPUTE_PGM_RSRC2:USER_SGPR: 6
; COMPUTE_PGM_RSRC2:TRAP_HANDLER: 0
; COMPUTE_PGM_RSRC2:TGID_X_EN: 1
; COMPUTE_PGM_RSRC2:TGID_Y_EN: 0
; COMPUTE_PGM_RSRC2:TGID_Z_EN: 0
; COMPUTE_PGM_RSRC2:TIDIG_COMP_CNT: 0
	.section	.text._ZN7rocprim17ROCPRIM_400000_NS6detail17trampoline_kernelINS0_13select_configILj256ELj13ELNS0_17block_load_methodE3ELS4_3ELS4_3ELNS0_20block_scan_algorithmE0ELj4294967295EEENS1_25partition_config_selectorILNS1_17partition_subalgoE4EjNS0_10empty_typeEbEEZZNS1_14partition_implILS8_4ELb0ES6_15HIP_vector_typeIjLj2EENS0_17counting_iteratorIjlEEPS9_SG_NS0_5tupleIJPjSI_NS0_16reverse_iteratorISI_EEEEENSH_IJSG_SG_SG_EEES9_SI_JZNS1_25segmented_radix_sort_implINS0_14default_configELb0EPKsPsPKlPlN2at6native12_GLOBAL__N_18offset_tEEE10hipError_tPvRmT1_PNSt15iterator_traitsIS12_E10value_typeET2_T3_PNS13_IS18_E10value_typeET4_jRbjT5_S1E_jjP12ihipStream_tbEUljE_ZNSN_ISO_Lb0ESQ_SR_ST_SU_SY_EESZ_S10_S11_S12_S16_S17_S18_S1B_S1C_jS1D_jS1E_S1E_jjS1G_bEUljE0_EEESZ_S10_S11_S18_S1C_S1E_T6_T7_T9_mT8_S1G_bDpT10_ENKUlT_T0_E_clISt17integral_constantIbLb1EES1U_EEDaS1P_S1Q_EUlS1P_E_NS1_11comp_targetILNS1_3genE4ELNS1_11target_archE910ELNS1_3gpuE8ELNS1_3repE0EEENS1_30default_config_static_selectorELNS0_4arch9wavefront6targetE1EEEvS12_,"axG",@progbits,_ZN7rocprim17ROCPRIM_400000_NS6detail17trampoline_kernelINS0_13select_configILj256ELj13ELNS0_17block_load_methodE3ELS4_3ELS4_3ELNS0_20block_scan_algorithmE0ELj4294967295EEENS1_25partition_config_selectorILNS1_17partition_subalgoE4EjNS0_10empty_typeEbEEZZNS1_14partition_implILS8_4ELb0ES6_15HIP_vector_typeIjLj2EENS0_17counting_iteratorIjlEEPS9_SG_NS0_5tupleIJPjSI_NS0_16reverse_iteratorISI_EEEEENSH_IJSG_SG_SG_EEES9_SI_JZNS1_25segmented_radix_sort_implINS0_14default_configELb0EPKsPsPKlPlN2at6native12_GLOBAL__N_18offset_tEEE10hipError_tPvRmT1_PNSt15iterator_traitsIS12_E10value_typeET2_T3_PNS13_IS18_E10value_typeET4_jRbjT5_S1E_jjP12ihipStream_tbEUljE_ZNSN_ISO_Lb0ESQ_SR_ST_SU_SY_EESZ_S10_S11_S12_S16_S17_S18_S1B_S1C_jS1D_jS1E_S1E_jjS1G_bEUljE0_EEESZ_S10_S11_S18_S1C_S1E_T6_T7_T9_mT8_S1G_bDpT10_ENKUlT_T0_E_clISt17integral_constantIbLb1EES1U_EEDaS1P_S1Q_EUlS1P_E_NS1_11comp_targetILNS1_3genE4ELNS1_11target_archE910ELNS1_3gpuE8ELNS1_3repE0EEENS1_30default_config_static_selectorELNS0_4arch9wavefront6targetE1EEEvS12_,comdat
	.globl	_ZN7rocprim17ROCPRIM_400000_NS6detail17trampoline_kernelINS0_13select_configILj256ELj13ELNS0_17block_load_methodE3ELS4_3ELS4_3ELNS0_20block_scan_algorithmE0ELj4294967295EEENS1_25partition_config_selectorILNS1_17partition_subalgoE4EjNS0_10empty_typeEbEEZZNS1_14partition_implILS8_4ELb0ES6_15HIP_vector_typeIjLj2EENS0_17counting_iteratorIjlEEPS9_SG_NS0_5tupleIJPjSI_NS0_16reverse_iteratorISI_EEEEENSH_IJSG_SG_SG_EEES9_SI_JZNS1_25segmented_radix_sort_implINS0_14default_configELb0EPKsPsPKlPlN2at6native12_GLOBAL__N_18offset_tEEE10hipError_tPvRmT1_PNSt15iterator_traitsIS12_E10value_typeET2_T3_PNS13_IS18_E10value_typeET4_jRbjT5_S1E_jjP12ihipStream_tbEUljE_ZNSN_ISO_Lb0ESQ_SR_ST_SU_SY_EESZ_S10_S11_S12_S16_S17_S18_S1B_S1C_jS1D_jS1E_S1E_jjS1G_bEUljE0_EEESZ_S10_S11_S18_S1C_S1E_T6_T7_T9_mT8_S1G_bDpT10_ENKUlT_T0_E_clISt17integral_constantIbLb1EES1U_EEDaS1P_S1Q_EUlS1P_E_NS1_11comp_targetILNS1_3genE4ELNS1_11target_archE910ELNS1_3gpuE8ELNS1_3repE0EEENS1_30default_config_static_selectorELNS0_4arch9wavefront6targetE1EEEvS12_ ; -- Begin function _ZN7rocprim17ROCPRIM_400000_NS6detail17trampoline_kernelINS0_13select_configILj256ELj13ELNS0_17block_load_methodE3ELS4_3ELS4_3ELNS0_20block_scan_algorithmE0ELj4294967295EEENS1_25partition_config_selectorILNS1_17partition_subalgoE4EjNS0_10empty_typeEbEEZZNS1_14partition_implILS8_4ELb0ES6_15HIP_vector_typeIjLj2EENS0_17counting_iteratorIjlEEPS9_SG_NS0_5tupleIJPjSI_NS0_16reverse_iteratorISI_EEEEENSH_IJSG_SG_SG_EEES9_SI_JZNS1_25segmented_radix_sort_implINS0_14default_configELb0EPKsPsPKlPlN2at6native12_GLOBAL__N_18offset_tEEE10hipError_tPvRmT1_PNSt15iterator_traitsIS12_E10value_typeET2_T3_PNS13_IS18_E10value_typeET4_jRbjT5_S1E_jjP12ihipStream_tbEUljE_ZNSN_ISO_Lb0ESQ_SR_ST_SU_SY_EESZ_S10_S11_S12_S16_S17_S18_S1B_S1C_jS1D_jS1E_S1E_jjS1G_bEUljE0_EEESZ_S10_S11_S18_S1C_S1E_T6_T7_T9_mT8_S1G_bDpT10_ENKUlT_T0_E_clISt17integral_constantIbLb1EES1U_EEDaS1P_S1Q_EUlS1P_E_NS1_11comp_targetILNS1_3genE4ELNS1_11target_archE910ELNS1_3gpuE8ELNS1_3repE0EEENS1_30default_config_static_selectorELNS0_4arch9wavefront6targetE1EEEvS12_
	.p2align	8
	.type	_ZN7rocprim17ROCPRIM_400000_NS6detail17trampoline_kernelINS0_13select_configILj256ELj13ELNS0_17block_load_methodE3ELS4_3ELS4_3ELNS0_20block_scan_algorithmE0ELj4294967295EEENS1_25partition_config_selectorILNS1_17partition_subalgoE4EjNS0_10empty_typeEbEEZZNS1_14partition_implILS8_4ELb0ES6_15HIP_vector_typeIjLj2EENS0_17counting_iteratorIjlEEPS9_SG_NS0_5tupleIJPjSI_NS0_16reverse_iteratorISI_EEEEENSH_IJSG_SG_SG_EEES9_SI_JZNS1_25segmented_radix_sort_implINS0_14default_configELb0EPKsPsPKlPlN2at6native12_GLOBAL__N_18offset_tEEE10hipError_tPvRmT1_PNSt15iterator_traitsIS12_E10value_typeET2_T3_PNS13_IS18_E10value_typeET4_jRbjT5_S1E_jjP12ihipStream_tbEUljE_ZNSN_ISO_Lb0ESQ_SR_ST_SU_SY_EESZ_S10_S11_S12_S16_S17_S18_S1B_S1C_jS1D_jS1E_S1E_jjS1G_bEUljE0_EEESZ_S10_S11_S18_S1C_S1E_T6_T7_T9_mT8_S1G_bDpT10_ENKUlT_T0_E_clISt17integral_constantIbLb1EES1U_EEDaS1P_S1Q_EUlS1P_E_NS1_11comp_targetILNS1_3genE4ELNS1_11target_archE910ELNS1_3gpuE8ELNS1_3repE0EEENS1_30default_config_static_selectorELNS0_4arch9wavefront6targetE1EEEvS12_,@function
_ZN7rocprim17ROCPRIM_400000_NS6detail17trampoline_kernelINS0_13select_configILj256ELj13ELNS0_17block_load_methodE3ELS4_3ELS4_3ELNS0_20block_scan_algorithmE0ELj4294967295EEENS1_25partition_config_selectorILNS1_17partition_subalgoE4EjNS0_10empty_typeEbEEZZNS1_14partition_implILS8_4ELb0ES6_15HIP_vector_typeIjLj2EENS0_17counting_iteratorIjlEEPS9_SG_NS0_5tupleIJPjSI_NS0_16reverse_iteratorISI_EEEEENSH_IJSG_SG_SG_EEES9_SI_JZNS1_25segmented_radix_sort_implINS0_14default_configELb0EPKsPsPKlPlN2at6native12_GLOBAL__N_18offset_tEEE10hipError_tPvRmT1_PNSt15iterator_traitsIS12_E10value_typeET2_T3_PNS13_IS18_E10value_typeET4_jRbjT5_S1E_jjP12ihipStream_tbEUljE_ZNSN_ISO_Lb0ESQ_SR_ST_SU_SY_EESZ_S10_S11_S12_S16_S17_S18_S1B_S1C_jS1D_jS1E_S1E_jjS1G_bEUljE0_EEESZ_S10_S11_S18_S1C_S1E_T6_T7_T9_mT8_S1G_bDpT10_ENKUlT_T0_E_clISt17integral_constantIbLb1EES1U_EEDaS1P_S1Q_EUlS1P_E_NS1_11comp_targetILNS1_3genE4ELNS1_11target_archE910ELNS1_3gpuE8ELNS1_3repE0EEENS1_30default_config_static_selectorELNS0_4arch9wavefront6targetE1EEEvS12_: ; @_ZN7rocprim17ROCPRIM_400000_NS6detail17trampoline_kernelINS0_13select_configILj256ELj13ELNS0_17block_load_methodE3ELS4_3ELS4_3ELNS0_20block_scan_algorithmE0ELj4294967295EEENS1_25partition_config_selectorILNS1_17partition_subalgoE4EjNS0_10empty_typeEbEEZZNS1_14partition_implILS8_4ELb0ES6_15HIP_vector_typeIjLj2EENS0_17counting_iteratorIjlEEPS9_SG_NS0_5tupleIJPjSI_NS0_16reverse_iteratorISI_EEEEENSH_IJSG_SG_SG_EEES9_SI_JZNS1_25segmented_radix_sort_implINS0_14default_configELb0EPKsPsPKlPlN2at6native12_GLOBAL__N_18offset_tEEE10hipError_tPvRmT1_PNSt15iterator_traitsIS12_E10value_typeET2_T3_PNS13_IS18_E10value_typeET4_jRbjT5_S1E_jjP12ihipStream_tbEUljE_ZNSN_ISO_Lb0ESQ_SR_ST_SU_SY_EESZ_S10_S11_S12_S16_S17_S18_S1B_S1C_jS1D_jS1E_S1E_jjS1G_bEUljE0_EEESZ_S10_S11_S18_S1C_S1E_T6_T7_T9_mT8_S1G_bDpT10_ENKUlT_T0_E_clISt17integral_constantIbLb1EES1U_EEDaS1P_S1Q_EUlS1P_E_NS1_11comp_targetILNS1_3genE4ELNS1_11target_archE910ELNS1_3gpuE8ELNS1_3repE0EEENS1_30default_config_static_selectorELNS0_4arch9wavefront6targetE1EEEvS12_
; %bb.0:
	.section	.rodata,"a",@progbits
	.p2align	6, 0x0
	.amdhsa_kernel _ZN7rocprim17ROCPRIM_400000_NS6detail17trampoline_kernelINS0_13select_configILj256ELj13ELNS0_17block_load_methodE3ELS4_3ELS4_3ELNS0_20block_scan_algorithmE0ELj4294967295EEENS1_25partition_config_selectorILNS1_17partition_subalgoE4EjNS0_10empty_typeEbEEZZNS1_14partition_implILS8_4ELb0ES6_15HIP_vector_typeIjLj2EENS0_17counting_iteratorIjlEEPS9_SG_NS0_5tupleIJPjSI_NS0_16reverse_iteratorISI_EEEEENSH_IJSG_SG_SG_EEES9_SI_JZNS1_25segmented_radix_sort_implINS0_14default_configELb0EPKsPsPKlPlN2at6native12_GLOBAL__N_18offset_tEEE10hipError_tPvRmT1_PNSt15iterator_traitsIS12_E10value_typeET2_T3_PNS13_IS18_E10value_typeET4_jRbjT5_S1E_jjP12ihipStream_tbEUljE_ZNSN_ISO_Lb0ESQ_SR_ST_SU_SY_EESZ_S10_S11_S12_S16_S17_S18_S1B_S1C_jS1D_jS1E_S1E_jjS1G_bEUljE0_EEESZ_S10_S11_S18_S1C_S1E_T6_T7_T9_mT8_S1G_bDpT10_ENKUlT_T0_E_clISt17integral_constantIbLb1EES1U_EEDaS1P_S1Q_EUlS1P_E_NS1_11comp_targetILNS1_3genE4ELNS1_11target_archE910ELNS1_3gpuE8ELNS1_3repE0EEENS1_30default_config_static_selectorELNS0_4arch9wavefront6targetE1EEEvS12_
		.amdhsa_group_segment_fixed_size 0
		.amdhsa_private_segment_fixed_size 0
		.amdhsa_kernarg_size 184
		.amdhsa_user_sgpr_count 6
		.amdhsa_user_sgpr_private_segment_buffer 1
		.amdhsa_user_sgpr_dispatch_ptr 0
		.amdhsa_user_sgpr_queue_ptr 0
		.amdhsa_user_sgpr_kernarg_segment_ptr 1
		.amdhsa_user_sgpr_dispatch_id 0
		.amdhsa_user_sgpr_flat_scratch_init 0
		.amdhsa_user_sgpr_private_segment_size 0
		.amdhsa_uses_dynamic_stack 0
		.amdhsa_system_sgpr_private_segment_wavefront_offset 0
		.amdhsa_system_sgpr_workgroup_id_x 1
		.amdhsa_system_sgpr_workgroup_id_y 0
		.amdhsa_system_sgpr_workgroup_id_z 0
		.amdhsa_system_sgpr_workgroup_info 0
		.amdhsa_system_vgpr_workitem_id 0
		.amdhsa_next_free_vgpr 1
		.amdhsa_next_free_sgpr 0
		.amdhsa_reserve_vcc 0
		.amdhsa_reserve_flat_scratch 0
		.amdhsa_float_round_mode_32 0
		.amdhsa_float_round_mode_16_64 0
		.amdhsa_float_denorm_mode_32 3
		.amdhsa_float_denorm_mode_16_64 3
		.amdhsa_dx10_clamp 1
		.amdhsa_ieee_mode 1
		.amdhsa_fp16_overflow 0
		.amdhsa_exception_fp_ieee_invalid_op 0
		.amdhsa_exception_fp_denorm_src 0
		.amdhsa_exception_fp_ieee_div_zero 0
		.amdhsa_exception_fp_ieee_overflow 0
		.amdhsa_exception_fp_ieee_underflow 0
		.amdhsa_exception_fp_ieee_inexact 0
		.amdhsa_exception_int_div_zero 0
	.end_amdhsa_kernel
	.section	.text._ZN7rocprim17ROCPRIM_400000_NS6detail17trampoline_kernelINS0_13select_configILj256ELj13ELNS0_17block_load_methodE3ELS4_3ELS4_3ELNS0_20block_scan_algorithmE0ELj4294967295EEENS1_25partition_config_selectorILNS1_17partition_subalgoE4EjNS0_10empty_typeEbEEZZNS1_14partition_implILS8_4ELb0ES6_15HIP_vector_typeIjLj2EENS0_17counting_iteratorIjlEEPS9_SG_NS0_5tupleIJPjSI_NS0_16reverse_iteratorISI_EEEEENSH_IJSG_SG_SG_EEES9_SI_JZNS1_25segmented_radix_sort_implINS0_14default_configELb0EPKsPsPKlPlN2at6native12_GLOBAL__N_18offset_tEEE10hipError_tPvRmT1_PNSt15iterator_traitsIS12_E10value_typeET2_T3_PNS13_IS18_E10value_typeET4_jRbjT5_S1E_jjP12ihipStream_tbEUljE_ZNSN_ISO_Lb0ESQ_SR_ST_SU_SY_EESZ_S10_S11_S12_S16_S17_S18_S1B_S1C_jS1D_jS1E_S1E_jjS1G_bEUljE0_EEESZ_S10_S11_S18_S1C_S1E_T6_T7_T9_mT8_S1G_bDpT10_ENKUlT_T0_E_clISt17integral_constantIbLb1EES1U_EEDaS1P_S1Q_EUlS1P_E_NS1_11comp_targetILNS1_3genE4ELNS1_11target_archE910ELNS1_3gpuE8ELNS1_3repE0EEENS1_30default_config_static_selectorELNS0_4arch9wavefront6targetE1EEEvS12_,"axG",@progbits,_ZN7rocprim17ROCPRIM_400000_NS6detail17trampoline_kernelINS0_13select_configILj256ELj13ELNS0_17block_load_methodE3ELS4_3ELS4_3ELNS0_20block_scan_algorithmE0ELj4294967295EEENS1_25partition_config_selectorILNS1_17partition_subalgoE4EjNS0_10empty_typeEbEEZZNS1_14partition_implILS8_4ELb0ES6_15HIP_vector_typeIjLj2EENS0_17counting_iteratorIjlEEPS9_SG_NS0_5tupleIJPjSI_NS0_16reverse_iteratorISI_EEEEENSH_IJSG_SG_SG_EEES9_SI_JZNS1_25segmented_radix_sort_implINS0_14default_configELb0EPKsPsPKlPlN2at6native12_GLOBAL__N_18offset_tEEE10hipError_tPvRmT1_PNSt15iterator_traitsIS12_E10value_typeET2_T3_PNS13_IS18_E10value_typeET4_jRbjT5_S1E_jjP12ihipStream_tbEUljE_ZNSN_ISO_Lb0ESQ_SR_ST_SU_SY_EESZ_S10_S11_S12_S16_S17_S18_S1B_S1C_jS1D_jS1E_S1E_jjS1G_bEUljE0_EEESZ_S10_S11_S18_S1C_S1E_T6_T7_T9_mT8_S1G_bDpT10_ENKUlT_T0_E_clISt17integral_constantIbLb1EES1U_EEDaS1P_S1Q_EUlS1P_E_NS1_11comp_targetILNS1_3genE4ELNS1_11target_archE910ELNS1_3gpuE8ELNS1_3repE0EEENS1_30default_config_static_selectorELNS0_4arch9wavefront6targetE1EEEvS12_,comdat
.Lfunc_end960:
	.size	_ZN7rocprim17ROCPRIM_400000_NS6detail17trampoline_kernelINS0_13select_configILj256ELj13ELNS0_17block_load_methodE3ELS4_3ELS4_3ELNS0_20block_scan_algorithmE0ELj4294967295EEENS1_25partition_config_selectorILNS1_17partition_subalgoE4EjNS0_10empty_typeEbEEZZNS1_14partition_implILS8_4ELb0ES6_15HIP_vector_typeIjLj2EENS0_17counting_iteratorIjlEEPS9_SG_NS0_5tupleIJPjSI_NS0_16reverse_iteratorISI_EEEEENSH_IJSG_SG_SG_EEES9_SI_JZNS1_25segmented_radix_sort_implINS0_14default_configELb0EPKsPsPKlPlN2at6native12_GLOBAL__N_18offset_tEEE10hipError_tPvRmT1_PNSt15iterator_traitsIS12_E10value_typeET2_T3_PNS13_IS18_E10value_typeET4_jRbjT5_S1E_jjP12ihipStream_tbEUljE_ZNSN_ISO_Lb0ESQ_SR_ST_SU_SY_EESZ_S10_S11_S12_S16_S17_S18_S1B_S1C_jS1D_jS1E_S1E_jjS1G_bEUljE0_EEESZ_S10_S11_S18_S1C_S1E_T6_T7_T9_mT8_S1G_bDpT10_ENKUlT_T0_E_clISt17integral_constantIbLb1EES1U_EEDaS1P_S1Q_EUlS1P_E_NS1_11comp_targetILNS1_3genE4ELNS1_11target_archE910ELNS1_3gpuE8ELNS1_3repE0EEENS1_30default_config_static_selectorELNS0_4arch9wavefront6targetE1EEEvS12_, .Lfunc_end960-_ZN7rocprim17ROCPRIM_400000_NS6detail17trampoline_kernelINS0_13select_configILj256ELj13ELNS0_17block_load_methodE3ELS4_3ELS4_3ELNS0_20block_scan_algorithmE0ELj4294967295EEENS1_25partition_config_selectorILNS1_17partition_subalgoE4EjNS0_10empty_typeEbEEZZNS1_14partition_implILS8_4ELb0ES6_15HIP_vector_typeIjLj2EENS0_17counting_iteratorIjlEEPS9_SG_NS0_5tupleIJPjSI_NS0_16reverse_iteratorISI_EEEEENSH_IJSG_SG_SG_EEES9_SI_JZNS1_25segmented_radix_sort_implINS0_14default_configELb0EPKsPsPKlPlN2at6native12_GLOBAL__N_18offset_tEEE10hipError_tPvRmT1_PNSt15iterator_traitsIS12_E10value_typeET2_T3_PNS13_IS18_E10value_typeET4_jRbjT5_S1E_jjP12ihipStream_tbEUljE_ZNSN_ISO_Lb0ESQ_SR_ST_SU_SY_EESZ_S10_S11_S12_S16_S17_S18_S1B_S1C_jS1D_jS1E_S1E_jjS1G_bEUljE0_EEESZ_S10_S11_S18_S1C_S1E_T6_T7_T9_mT8_S1G_bDpT10_ENKUlT_T0_E_clISt17integral_constantIbLb1EES1U_EEDaS1P_S1Q_EUlS1P_E_NS1_11comp_targetILNS1_3genE4ELNS1_11target_archE910ELNS1_3gpuE8ELNS1_3repE0EEENS1_30default_config_static_selectorELNS0_4arch9wavefront6targetE1EEEvS12_
                                        ; -- End function
	.set _ZN7rocprim17ROCPRIM_400000_NS6detail17trampoline_kernelINS0_13select_configILj256ELj13ELNS0_17block_load_methodE3ELS4_3ELS4_3ELNS0_20block_scan_algorithmE0ELj4294967295EEENS1_25partition_config_selectorILNS1_17partition_subalgoE4EjNS0_10empty_typeEbEEZZNS1_14partition_implILS8_4ELb0ES6_15HIP_vector_typeIjLj2EENS0_17counting_iteratorIjlEEPS9_SG_NS0_5tupleIJPjSI_NS0_16reverse_iteratorISI_EEEEENSH_IJSG_SG_SG_EEES9_SI_JZNS1_25segmented_radix_sort_implINS0_14default_configELb0EPKsPsPKlPlN2at6native12_GLOBAL__N_18offset_tEEE10hipError_tPvRmT1_PNSt15iterator_traitsIS12_E10value_typeET2_T3_PNS13_IS18_E10value_typeET4_jRbjT5_S1E_jjP12ihipStream_tbEUljE_ZNSN_ISO_Lb0ESQ_SR_ST_SU_SY_EESZ_S10_S11_S12_S16_S17_S18_S1B_S1C_jS1D_jS1E_S1E_jjS1G_bEUljE0_EEESZ_S10_S11_S18_S1C_S1E_T6_T7_T9_mT8_S1G_bDpT10_ENKUlT_T0_E_clISt17integral_constantIbLb1EES1U_EEDaS1P_S1Q_EUlS1P_E_NS1_11comp_targetILNS1_3genE4ELNS1_11target_archE910ELNS1_3gpuE8ELNS1_3repE0EEENS1_30default_config_static_selectorELNS0_4arch9wavefront6targetE1EEEvS12_.num_vgpr, 0
	.set _ZN7rocprim17ROCPRIM_400000_NS6detail17trampoline_kernelINS0_13select_configILj256ELj13ELNS0_17block_load_methodE3ELS4_3ELS4_3ELNS0_20block_scan_algorithmE0ELj4294967295EEENS1_25partition_config_selectorILNS1_17partition_subalgoE4EjNS0_10empty_typeEbEEZZNS1_14partition_implILS8_4ELb0ES6_15HIP_vector_typeIjLj2EENS0_17counting_iteratorIjlEEPS9_SG_NS0_5tupleIJPjSI_NS0_16reverse_iteratorISI_EEEEENSH_IJSG_SG_SG_EEES9_SI_JZNS1_25segmented_radix_sort_implINS0_14default_configELb0EPKsPsPKlPlN2at6native12_GLOBAL__N_18offset_tEEE10hipError_tPvRmT1_PNSt15iterator_traitsIS12_E10value_typeET2_T3_PNS13_IS18_E10value_typeET4_jRbjT5_S1E_jjP12ihipStream_tbEUljE_ZNSN_ISO_Lb0ESQ_SR_ST_SU_SY_EESZ_S10_S11_S12_S16_S17_S18_S1B_S1C_jS1D_jS1E_S1E_jjS1G_bEUljE0_EEESZ_S10_S11_S18_S1C_S1E_T6_T7_T9_mT8_S1G_bDpT10_ENKUlT_T0_E_clISt17integral_constantIbLb1EES1U_EEDaS1P_S1Q_EUlS1P_E_NS1_11comp_targetILNS1_3genE4ELNS1_11target_archE910ELNS1_3gpuE8ELNS1_3repE0EEENS1_30default_config_static_selectorELNS0_4arch9wavefront6targetE1EEEvS12_.num_agpr, 0
	.set _ZN7rocprim17ROCPRIM_400000_NS6detail17trampoline_kernelINS0_13select_configILj256ELj13ELNS0_17block_load_methodE3ELS4_3ELS4_3ELNS0_20block_scan_algorithmE0ELj4294967295EEENS1_25partition_config_selectorILNS1_17partition_subalgoE4EjNS0_10empty_typeEbEEZZNS1_14partition_implILS8_4ELb0ES6_15HIP_vector_typeIjLj2EENS0_17counting_iteratorIjlEEPS9_SG_NS0_5tupleIJPjSI_NS0_16reverse_iteratorISI_EEEEENSH_IJSG_SG_SG_EEES9_SI_JZNS1_25segmented_radix_sort_implINS0_14default_configELb0EPKsPsPKlPlN2at6native12_GLOBAL__N_18offset_tEEE10hipError_tPvRmT1_PNSt15iterator_traitsIS12_E10value_typeET2_T3_PNS13_IS18_E10value_typeET4_jRbjT5_S1E_jjP12ihipStream_tbEUljE_ZNSN_ISO_Lb0ESQ_SR_ST_SU_SY_EESZ_S10_S11_S12_S16_S17_S18_S1B_S1C_jS1D_jS1E_S1E_jjS1G_bEUljE0_EEESZ_S10_S11_S18_S1C_S1E_T6_T7_T9_mT8_S1G_bDpT10_ENKUlT_T0_E_clISt17integral_constantIbLb1EES1U_EEDaS1P_S1Q_EUlS1P_E_NS1_11comp_targetILNS1_3genE4ELNS1_11target_archE910ELNS1_3gpuE8ELNS1_3repE0EEENS1_30default_config_static_selectorELNS0_4arch9wavefront6targetE1EEEvS12_.numbered_sgpr, 0
	.set _ZN7rocprim17ROCPRIM_400000_NS6detail17trampoline_kernelINS0_13select_configILj256ELj13ELNS0_17block_load_methodE3ELS4_3ELS4_3ELNS0_20block_scan_algorithmE0ELj4294967295EEENS1_25partition_config_selectorILNS1_17partition_subalgoE4EjNS0_10empty_typeEbEEZZNS1_14partition_implILS8_4ELb0ES6_15HIP_vector_typeIjLj2EENS0_17counting_iteratorIjlEEPS9_SG_NS0_5tupleIJPjSI_NS0_16reverse_iteratorISI_EEEEENSH_IJSG_SG_SG_EEES9_SI_JZNS1_25segmented_radix_sort_implINS0_14default_configELb0EPKsPsPKlPlN2at6native12_GLOBAL__N_18offset_tEEE10hipError_tPvRmT1_PNSt15iterator_traitsIS12_E10value_typeET2_T3_PNS13_IS18_E10value_typeET4_jRbjT5_S1E_jjP12ihipStream_tbEUljE_ZNSN_ISO_Lb0ESQ_SR_ST_SU_SY_EESZ_S10_S11_S12_S16_S17_S18_S1B_S1C_jS1D_jS1E_S1E_jjS1G_bEUljE0_EEESZ_S10_S11_S18_S1C_S1E_T6_T7_T9_mT8_S1G_bDpT10_ENKUlT_T0_E_clISt17integral_constantIbLb1EES1U_EEDaS1P_S1Q_EUlS1P_E_NS1_11comp_targetILNS1_3genE4ELNS1_11target_archE910ELNS1_3gpuE8ELNS1_3repE0EEENS1_30default_config_static_selectorELNS0_4arch9wavefront6targetE1EEEvS12_.num_named_barrier, 0
	.set _ZN7rocprim17ROCPRIM_400000_NS6detail17trampoline_kernelINS0_13select_configILj256ELj13ELNS0_17block_load_methodE3ELS4_3ELS4_3ELNS0_20block_scan_algorithmE0ELj4294967295EEENS1_25partition_config_selectorILNS1_17partition_subalgoE4EjNS0_10empty_typeEbEEZZNS1_14partition_implILS8_4ELb0ES6_15HIP_vector_typeIjLj2EENS0_17counting_iteratorIjlEEPS9_SG_NS0_5tupleIJPjSI_NS0_16reverse_iteratorISI_EEEEENSH_IJSG_SG_SG_EEES9_SI_JZNS1_25segmented_radix_sort_implINS0_14default_configELb0EPKsPsPKlPlN2at6native12_GLOBAL__N_18offset_tEEE10hipError_tPvRmT1_PNSt15iterator_traitsIS12_E10value_typeET2_T3_PNS13_IS18_E10value_typeET4_jRbjT5_S1E_jjP12ihipStream_tbEUljE_ZNSN_ISO_Lb0ESQ_SR_ST_SU_SY_EESZ_S10_S11_S12_S16_S17_S18_S1B_S1C_jS1D_jS1E_S1E_jjS1G_bEUljE0_EEESZ_S10_S11_S18_S1C_S1E_T6_T7_T9_mT8_S1G_bDpT10_ENKUlT_T0_E_clISt17integral_constantIbLb1EES1U_EEDaS1P_S1Q_EUlS1P_E_NS1_11comp_targetILNS1_3genE4ELNS1_11target_archE910ELNS1_3gpuE8ELNS1_3repE0EEENS1_30default_config_static_selectorELNS0_4arch9wavefront6targetE1EEEvS12_.private_seg_size, 0
	.set _ZN7rocprim17ROCPRIM_400000_NS6detail17trampoline_kernelINS0_13select_configILj256ELj13ELNS0_17block_load_methodE3ELS4_3ELS4_3ELNS0_20block_scan_algorithmE0ELj4294967295EEENS1_25partition_config_selectorILNS1_17partition_subalgoE4EjNS0_10empty_typeEbEEZZNS1_14partition_implILS8_4ELb0ES6_15HIP_vector_typeIjLj2EENS0_17counting_iteratorIjlEEPS9_SG_NS0_5tupleIJPjSI_NS0_16reverse_iteratorISI_EEEEENSH_IJSG_SG_SG_EEES9_SI_JZNS1_25segmented_radix_sort_implINS0_14default_configELb0EPKsPsPKlPlN2at6native12_GLOBAL__N_18offset_tEEE10hipError_tPvRmT1_PNSt15iterator_traitsIS12_E10value_typeET2_T3_PNS13_IS18_E10value_typeET4_jRbjT5_S1E_jjP12ihipStream_tbEUljE_ZNSN_ISO_Lb0ESQ_SR_ST_SU_SY_EESZ_S10_S11_S12_S16_S17_S18_S1B_S1C_jS1D_jS1E_S1E_jjS1G_bEUljE0_EEESZ_S10_S11_S18_S1C_S1E_T6_T7_T9_mT8_S1G_bDpT10_ENKUlT_T0_E_clISt17integral_constantIbLb1EES1U_EEDaS1P_S1Q_EUlS1P_E_NS1_11comp_targetILNS1_3genE4ELNS1_11target_archE910ELNS1_3gpuE8ELNS1_3repE0EEENS1_30default_config_static_selectorELNS0_4arch9wavefront6targetE1EEEvS12_.uses_vcc, 0
	.set _ZN7rocprim17ROCPRIM_400000_NS6detail17trampoline_kernelINS0_13select_configILj256ELj13ELNS0_17block_load_methodE3ELS4_3ELS4_3ELNS0_20block_scan_algorithmE0ELj4294967295EEENS1_25partition_config_selectorILNS1_17partition_subalgoE4EjNS0_10empty_typeEbEEZZNS1_14partition_implILS8_4ELb0ES6_15HIP_vector_typeIjLj2EENS0_17counting_iteratorIjlEEPS9_SG_NS0_5tupleIJPjSI_NS0_16reverse_iteratorISI_EEEEENSH_IJSG_SG_SG_EEES9_SI_JZNS1_25segmented_radix_sort_implINS0_14default_configELb0EPKsPsPKlPlN2at6native12_GLOBAL__N_18offset_tEEE10hipError_tPvRmT1_PNSt15iterator_traitsIS12_E10value_typeET2_T3_PNS13_IS18_E10value_typeET4_jRbjT5_S1E_jjP12ihipStream_tbEUljE_ZNSN_ISO_Lb0ESQ_SR_ST_SU_SY_EESZ_S10_S11_S12_S16_S17_S18_S1B_S1C_jS1D_jS1E_S1E_jjS1G_bEUljE0_EEESZ_S10_S11_S18_S1C_S1E_T6_T7_T9_mT8_S1G_bDpT10_ENKUlT_T0_E_clISt17integral_constantIbLb1EES1U_EEDaS1P_S1Q_EUlS1P_E_NS1_11comp_targetILNS1_3genE4ELNS1_11target_archE910ELNS1_3gpuE8ELNS1_3repE0EEENS1_30default_config_static_selectorELNS0_4arch9wavefront6targetE1EEEvS12_.uses_flat_scratch, 0
	.set _ZN7rocprim17ROCPRIM_400000_NS6detail17trampoline_kernelINS0_13select_configILj256ELj13ELNS0_17block_load_methodE3ELS4_3ELS4_3ELNS0_20block_scan_algorithmE0ELj4294967295EEENS1_25partition_config_selectorILNS1_17partition_subalgoE4EjNS0_10empty_typeEbEEZZNS1_14partition_implILS8_4ELb0ES6_15HIP_vector_typeIjLj2EENS0_17counting_iteratorIjlEEPS9_SG_NS0_5tupleIJPjSI_NS0_16reverse_iteratorISI_EEEEENSH_IJSG_SG_SG_EEES9_SI_JZNS1_25segmented_radix_sort_implINS0_14default_configELb0EPKsPsPKlPlN2at6native12_GLOBAL__N_18offset_tEEE10hipError_tPvRmT1_PNSt15iterator_traitsIS12_E10value_typeET2_T3_PNS13_IS18_E10value_typeET4_jRbjT5_S1E_jjP12ihipStream_tbEUljE_ZNSN_ISO_Lb0ESQ_SR_ST_SU_SY_EESZ_S10_S11_S12_S16_S17_S18_S1B_S1C_jS1D_jS1E_S1E_jjS1G_bEUljE0_EEESZ_S10_S11_S18_S1C_S1E_T6_T7_T9_mT8_S1G_bDpT10_ENKUlT_T0_E_clISt17integral_constantIbLb1EES1U_EEDaS1P_S1Q_EUlS1P_E_NS1_11comp_targetILNS1_3genE4ELNS1_11target_archE910ELNS1_3gpuE8ELNS1_3repE0EEENS1_30default_config_static_selectorELNS0_4arch9wavefront6targetE1EEEvS12_.has_dyn_sized_stack, 0
	.set _ZN7rocprim17ROCPRIM_400000_NS6detail17trampoline_kernelINS0_13select_configILj256ELj13ELNS0_17block_load_methodE3ELS4_3ELS4_3ELNS0_20block_scan_algorithmE0ELj4294967295EEENS1_25partition_config_selectorILNS1_17partition_subalgoE4EjNS0_10empty_typeEbEEZZNS1_14partition_implILS8_4ELb0ES6_15HIP_vector_typeIjLj2EENS0_17counting_iteratorIjlEEPS9_SG_NS0_5tupleIJPjSI_NS0_16reverse_iteratorISI_EEEEENSH_IJSG_SG_SG_EEES9_SI_JZNS1_25segmented_radix_sort_implINS0_14default_configELb0EPKsPsPKlPlN2at6native12_GLOBAL__N_18offset_tEEE10hipError_tPvRmT1_PNSt15iterator_traitsIS12_E10value_typeET2_T3_PNS13_IS18_E10value_typeET4_jRbjT5_S1E_jjP12ihipStream_tbEUljE_ZNSN_ISO_Lb0ESQ_SR_ST_SU_SY_EESZ_S10_S11_S12_S16_S17_S18_S1B_S1C_jS1D_jS1E_S1E_jjS1G_bEUljE0_EEESZ_S10_S11_S18_S1C_S1E_T6_T7_T9_mT8_S1G_bDpT10_ENKUlT_T0_E_clISt17integral_constantIbLb1EES1U_EEDaS1P_S1Q_EUlS1P_E_NS1_11comp_targetILNS1_3genE4ELNS1_11target_archE910ELNS1_3gpuE8ELNS1_3repE0EEENS1_30default_config_static_selectorELNS0_4arch9wavefront6targetE1EEEvS12_.has_recursion, 0
	.set _ZN7rocprim17ROCPRIM_400000_NS6detail17trampoline_kernelINS0_13select_configILj256ELj13ELNS0_17block_load_methodE3ELS4_3ELS4_3ELNS0_20block_scan_algorithmE0ELj4294967295EEENS1_25partition_config_selectorILNS1_17partition_subalgoE4EjNS0_10empty_typeEbEEZZNS1_14partition_implILS8_4ELb0ES6_15HIP_vector_typeIjLj2EENS0_17counting_iteratorIjlEEPS9_SG_NS0_5tupleIJPjSI_NS0_16reverse_iteratorISI_EEEEENSH_IJSG_SG_SG_EEES9_SI_JZNS1_25segmented_radix_sort_implINS0_14default_configELb0EPKsPsPKlPlN2at6native12_GLOBAL__N_18offset_tEEE10hipError_tPvRmT1_PNSt15iterator_traitsIS12_E10value_typeET2_T3_PNS13_IS18_E10value_typeET4_jRbjT5_S1E_jjP12ihipStream_tbEUljE_ZNSN_ISO_Lb0ESQ_SR_ST_SU_SY_EESZ_S10_S11_S12_S16_S17_S18_S1B_S1C_jS1D_jS1E_S1E_jjS1G_bEUljE0_EEESZ_S10_S11_S18_S1C_S1E_T6_T7_T9_mT8_S1G_bDpT10_ENKUlT_T0_E_clISt17integral_constantIbLb1EES1U_EEDaS1P_S1Q_EUlS1P_E_NS1_11comp_targetILNS1_3genE4ELNS1_11target_archE910ELNS1_3gpuE8ELNS1_3repE0EEENS1_30default_config_static_selectorELNS0_4arch9wavefront6targetE1EEEvS12_.has_indirect_call, 0
	.section	.AMDGPU.csdata,"",@progbits
; Kernel info:
; codeLenInByte = 0
; TotalNumSgprs: 4
; NumVgprs: 0
; ScratchSize: 0
; MemoryBound: 0
; FloatMode: 240
; IeeeMode: 1
; LDSByteSize: 0 bytes/workgroup (compile time only)
; SGPRBlocks: 0
; VGPRBlocks: 0
; NumSGPRsForWavesPerEU: 4
; NumVGPRsForWavesPerEU: 1
; Occupancy: 10
; WaveLimiterHint : 0
; COMPUTE_PGM_RSRC2:SCRATCH_EN: 0
; COMPUTE_PGM_RSRC2:USER_SGPR: 6
; COMPUTE_PGM_RSRC2:TRAP_HANDLER: 0
; COMPUTE_PGM_RSRC2:TGID_X_EN: 1
; COMPUTE_PGM_RSRC2:TGID_Y_EN: 0
; COMPUTE_PGM_RSRC2:TGID_Z_EN: 0
; COMPUTE_PGM_RSRC2:TIDIG_COMP_CNT: 0
	.section	.text._ZN7rocprim17ROCPRIM_400000_NS6detail17trampoline_kernelINS0_13select_configILj256ELj13ELNS0_17block_load_methodE3ELS4_3ELS4_3ELNS0_20block_scan_algorithmE0ELj4294967295EEENS1_25partition_config_selectorILNS1_17partition_subalgoE4EjNS0_10empty_typeEbEEZZNS1_14partition_implILS8_4ELb0ES6_15HIP_vector_typeIjLj2EENS0_17counting_iteratorIjlEEPS9_SG_NS0_5tupleIJPjSI_NS0_16reverse_iteratorISI_EEEEENSH_IJSG_SG_SG_EEES9_SI_JZNS1_25segmented_radix_sort_implINS0_14default_configELb0EPKsPsPKlPlN2at6native12_GLOBAL__N_18offset_tEEE10hipError_tPvRmT1_PNSt15iterator_traitsIS12_E10value_typeET2_T3_PNS13_IS18_E10value_typeET4_jRbjT5_S1E_jjP12ihipStream_tbEUljE_ZNSN_ISO_Lb0ESQ_SR_ST_SU_SY_EESZ_S10_S11_S12_S16_S17_S18_S1B_S1C_jS1D_jS1E_S1E_jjS1G_bEUljE0_EEESZ_S10_S11_S18_S1C_S1E_T6_T7_T9_mT8_S1G_bDpT10_ENKUlT_T0_E_clISt17integral_constantIbLb1EES1U_EEDaS1P_S1Q_EUlS1P_E_NS1_11comp_targetILNS1_3genE3ELNS1_11target_archE908ELNS1_3gpuE7ELNS1_3repE0EEENS1_30default_config_static_selectorELNS0_4arch9wavefront6targetE1EEEvS12_,"axG",@progbits,_ZN7rocprim17ROCPRIM_400000_NS6detail17trampoline_kernelINS0_13select_configILj256ELj13ELNS0_17block_load_methodE3ELS4_3ELS4_3ELNS0_20block_scan_algorithmE0ELj4294967295EEENS1_25partition_config_selectorILNS1_17partition_subalgoE4EjNS0_10empty_typeEbEEZZNS1_14partition_implILS8_4ELb0ES6_15HIP_vector_typeIjLj2EENS0_17counting_iteratorIjlEEPS9_SG_NS0_5tupleIJPjSI_NS0_16reverse_iteratorISI_EEEEENSH_IJSG_SG_SG_EEES9_SI_JZNS1_25segmented_radix_sort_implINS0_14default_configELb0EPKsPsPKlPlN2at6native12_GLOBAL__N_18offset_tEEE10hipError_tPvRmT1_PNSt15iterator_traitsIS12_E10value_typeET2_T3_PNS13_IS18_E10value_typeET4_jRbjT5_S1E_jjP12ihipStream_tbEUljE_ZNSN_ISO_Lb0ESQ_SR_ST_SU_SY_EESZ_S10_S11_S12_S16_S17_S18_S1B_S1C_jS1D_jS1E_S1E_jjS1G_bEUljE0_EEESZ_S10_S11_S18_S1C_S1E_T6_T7_T9_mT8_S1G_bDpT10_ENKUlT_T0_E_clISt17integral_constantIbLb1EES1U_EEDaS1P_S1Q_EUlS1P_E_NS1_11comp_targetILNS1_3genE3ELNS1_11target_archE908ELNS1_3gpuE7ELNS1_3repE0EEENS1_30default_config_static_selectorELNS0_4arch9wavefront6targetE1EEEvS12_,comdat
	.globl	_ZN7rocprim17ROCPRIM_400000_NS6detail17trampoline_kernelINS0_13select_configILj256ELj13ELNS0_17block_load_methodE3ELS4_3ELS4_3ELNS0_20block_scan_algorithmE0ELj4294967295EEENS1_25partition_config_selectorILNS1_17partition_subalgoE4EjNS0_10empty_typeEbEEZZNS1_14partition_implILS8_4ELb0ES6_15HIP_vector_typeIjLj2EENS0_17counting_iteratorIjlEEPS9_SG_NS0_5tupleIJPjSI_NS0_16reverse_iteratorISI_EEEEENSH_IJSG_SG_SG_EEES9_SI_JZNS1_25segmented_radix_sort_implINS0_14default_configELb0EPKsPsPKlPlN2at6native12_GLOBAL__N_18offset_tEEE10hipError_tPvRmT1_PNSt15iterator_traitsIS12_E10value_typeET2_T3_PNS13_IS18_E10value_typeET4_jRbjT5_S1E_jjP12ihipStream_tbEUljE_ZNSN_ISO_Lb0ESQ_SR_ST_SU_SY_EESZ_S10_S11_S12_S16_S17_S18_S1B_S1C_jS1D_jS1E_S1E_jjS1G_bEUljE0_EEESZ_S10_S11_S18_S1C_S1E_T6_T7_T9_mT8_S1G_bDpT10_ENKUlT_T0_E_clISt17integral_constantIbLb1EES1U_EEDaS1P_S1Q_EUlS1P_E_NS1_11comp_targetILNS1_3genE3ELNS1_11target_archE908ELNS1_3gpuE7ELNS1_3repE0EEENS1_30default_config_static_selectorELNS0_4arch9wavefront6targetE1EEEvS12_ ; -- Begin function _ZN7rocprim17ROCPRIM_400000_NS6detail17trampoline_kernelINS0_13select_configILj256ELj13ELNS0_17block_load_methodE3ELS4_3ELS4_3ELNS0_20block_scan_algorithmE0ELj4294967295EEENS1_25partition_config_selectorILNS1_17partition_subalgoE4EjNS0_10empty_typeEbEEZZNS1_14partition_implILS8_4ELb0ES6_15HIP_vector_typeIjLj2EENS0_17counting_iteratorIjlEEPS9_SG_NS0_5tupleIJPjSI_NS0_16reverse_iteratorISI_EEEEENSH_IJSG_SG_SG_EEES9_SI_JZNS1_25segmented_radix_sort_implINS0_14default_configELb0EPKsPsPKlPlN2at6native12_GLOBAL__N_18offset_tEEE10hipError_tPvRmT1_PNSt15iterator_traitsIS12_E10value_typeET2_T3_PNS13_IS18_E10value_typeET4_jRbjT5_S1E_jjP12ihipStream_tbEUljE_ZNSN_ISO_Lb0ESQ_SR_ST_SU_SY_EESZ_S10_S11_S12_S16_S17_S18_S1B_S1C_jS1D_jS1E_S1E_jjS1G_bEUljE0_EEESZ_S10_S11_S18_S1C_S1E_T6_T7_T9_mT8_S1G_bDpT10_ENKUlT_T0_E_clISt17integral_constantIbLb1EES1U_EEDaS1P_S1Q_EUlS1P_E_NS1_11comp_targetILNS1_3genE3ELNS1_11target_archE908ELNS1_3gpuE7ELNS1_3repE0EEENS1_30default_config_static_selectorELNS0_4arch9wavefront6targetE1EEEvS12_
	.p2align	8
	.type	_ZN7rocprim17ROCPRIM_400000_NS6detail17trampoline_kernelINS0_13select_configILj256ELj13ELNS0_17block_load_methodE3ELS4_3ELS4_3ELNS0_20block_scan_algorithmE0ELj4294967295EEENS1_25partition_config_selectorILNS1_17partition_subalgoE4EjNS0_10empty_typeEbEEZZNS1_14partition_implILS8_4ELb0ES6_15HIP_vector_typeIjLj2EENS0_17counting_iteratorIjlEEPS9_SG_NS0_5tupleIJPjSI_NS0_16reverse_iteratorISI_EEEEENSH_IJSG_SG_SG_EEES9_SI_JZNS1_25segmented_radix_sort_implINS0_14default_configELb0EPKsPsPKlPlN2at6native12_GLOBAL__N_18offset_tEEE10hipError_tPvRmT1_PNSt15iterator_traitsIS12_E10value_typeET2_T3_PNS13_IS18_E10value_typeET4_jRbjT5_S1E_jjP12ihipStream_tbEUljE_ZNSN_ISO_Lb0ESQ_SR_ST_SU_SY_EESZ_S10_S11_S12_S16_S17_S18_S1B_S1C_jS1D_jS1E_S1E_jjS1G_bEUljE0_EEESZ_S10_S11_S18_S1C_S1E_T6_T7_T9_mT8_S1G_bDpT10_ENKUlT_T0_E_clISt17integral_constantIbLb1EES1U_EEDaS1P_S1Q_EUlS1P_E_NS1_11comp_targetILNS1_3genE3ELNS1_11target_archE908ELNS1_3gpuE7ELNS1_3repE0EEENS1_30default_config_static_selectorELNS0_4arch9wavefront6targetE1EEEvS12_,@function
_ZN7rocprim17ROCPRIM_400000_NS6detail17trampoline_kernelINS0_13select_configILj256ELj13ELNS0_17block_load_methodE3ELS4_3ELS4_3ELNS0_20block_scan_algorithmE0ELj4294967295EEENS1_25partition_config_selectorILNS1_17partition_subalgoE4EjNS0_10empty_typeEbEEZZNS1_14partition_implILS8_4ELb0ES6_15HIP_vector_typeIjLj2EENS0_17counting_iteratorIjlEEPS9_SG_NS0_5tupleIJPjSI_NS0_16reverse_iteratorISI_EEEEENSH_IJSG_SG_SG_EEES9_SI_JZNS1_25segmented_radix_sort_implINS0_14default_configELb0EPKsPsPKlPlN2at6native12_GLOBAL__N_18offset_tEEE10hipError_tPvRmT1_PNSt15iterator_traitsIS12_E10value_typeET2_T3_PNS13_IS18_E10value_typeET4_jRbjT5_S1E_jjP12ihipStream_tbEUljE_ZNSN_ISO_Lb0ESQ_SR_ST_SU_SY_EESZ_S10_S11_S12_S16_S17_S18_S1B_S1C_jS1D_jS1E_S1E_jjS1G_bEUljE0_EEESZ_S10_S11_S18_S1C_S1E_T6_T7_T9_mT8_S1G_bDpT10_ENKUlT_T0_E_clISt17integral_constantIbLb1EES1U_EEDaS1P_S1Q_EUlS1P_E_NS1_11comp_targetILNS1_3genE3ELNS1_11target_archE908ELNS1_3gpuE7ELNS1_3repE0EEENS1_30default_config_static_selectorELNS0_4arch9wavefront6targetE1EEEvS12_: ; @_ZN7rocprim17ROCPRIM_400000_NS6detail17trampoline_kernelINS0_13select_configILj256ELj13ELNS0_17block_load_methodE3ELS4_3ELS4_3ELNS0_20block_scan_algorithmE0ELj4294967295EEENS1_25partition_config_selectorILNS1_17partition_subalgoE4EjNS0_10empty_typeEbEEZZNS1_14partition_implILS8_4ELb0ES6_15HIP_vector_typeIjLj2EENS0_17counting_iteratorIjlEEPS9_SG_NS0_5tupleIJPjSI_NS0_16reverse_iteratorISI_EEEEENSH_IJSG_SG_SG_EEES9_SI_JZNS1_25segmented_radix_sort_implINS0_14default_configELb0EPKsPsPKlPlN2at6native12_GLOBAL__N_18offset_tEEE10hipError_tPvRmT1_PNSt15iterator_traitsIS12_E10value_typeET2_T3_PNS13_IS18_E10value_typeET4_jRbjT5_S1E_jjP12ihipStream_tbEUljE_ZNSN_ISO_Lb0ESQ_SR_ST_SU_SY_EESZ_S10_S11_S12_S16_S17_S18_S1B_S1C_jS1D_jS1E_S1E_jjS1G_bEUljE0_EEESZ_S10_S11_S18_S1C_S1E_T6_T7_T9_mT8_S1G_bDpT10_ENKUlT_T0_E_clISt17integral_constantIbLb1EES1U_EEDaS1P_S1Q_EUlS1P_E_NS1_11comp_targetILNS1_3genE3ELNS1_11target_archE908ELNS1_3gpuE7ELNS1_3repE0EEENS1_30default_config_static_selectorELNS0_4arch9wavefront6targetE1EEEvS12_
; %bb.0:
	.section	.rodata,"a",@progbits
	.p2align	6, 0x0
	.amdhsa_kernel _ZN7rocprim17ROCPRIM_400000_NS6detail17trampoline_kernelINS0_13select_configILj256ELj13ELNS0_17block_load_methodE3ELS4_3ELS4_3ELNS0_20block_scan_algorithmE0ELj4294967295EEENS1_25partition_config_selectorILNS1_17partition_subalgoE4EjNS0_10empty_typeEbEEZZNS1_14partition_implILS8_4ELb0ES6_15HIP_vector_typeIjLj2EENS0_17counting_iteratorIjlEEPS9_SG_NS0_5tupleIJPjSI_NS0_16reverse_iteratorISI_EEEEENSH_IJSG_SG_SG_EEES9_SI_JZNS1_25segmented_radix_sort_implINS0_14default_configELb0EPKsPsPKlPlN2at6native12_GLOBAL__N_18offset_tEEE10hipError_tPvRmT1_PNSt15iterator_traitsIS12_E10value_typeET2_T3_PNS13_IS18_E10value_typeET4_jRbjT5_S1E_jjP12ihipStream_tbEUljE_ZNSN_ISO_Lb0ESQ_SR_ST_SU_SY_EESZ_S10_S11_S12_S16_S17_S18_S1B_S1C_jS1D_jS1E_S1E_jjS1G_bEUljE0_EEESZ_S10_S11_S18_S1C_S1E_T6_T7_T9_mT8_S1G_bDpT10_ENKUlT_T0_E_clISt17integral_constantIbLb1EES1U_EEDaS1P_S1Q_EUlS1P_E_NS1_11comp_targetILNS1_3genE3ELNS1_11target_archE908ELNS1_3gpuE7ELNS1_3repE0EEENS1_30default_config_static_selectorELNS0_4arch9wavefront6targetE1EEEvS12_
		.amdhsa_group_segment_fixed_size 0
		.amdhsa_private_segment_fixed_size 0
		.amdhsa_kernarg_size 184
		.amdhsa_user_sgpr_count 6
		.amdhsa_user_sgpr_private_segment_buffer 1
		.amdhsa_user_sgpr_dispatch_ptr 0
		.amdhsa_user_sgpr_queue_ptr 0
		.amdhsa_user_sgpr_kernarg_segment_ptr 1
		.amdhsa_user_sgpr_dispatch_id 0
		.amdhsa_user_sgpr_flat_scratch_init 0
		.amdhsa_user_sgpr_private_segment_size 0
		.amdhsa_uses_dynamic_stack 0
		.amdhsa_system_sgpr_private_segment_wavefront_offset 0
		.amdhsa_system_sgpr_workgroup_id_x 1
		.amdhsa_system_sgpr_workgroup_id_y 0
		.amdhsa_system_sgpr_workgroup_id_z 0
		.amdhsa_system_sgpr_workgroup_info 0
		.amdhsa_system_vgpr_workitem_id 0
		.amdhsa_next_free_vgpr 1
		.amdhsa_next_free_sgpr 0
		.amdhsa_reserve_vcc 0
		.amdhsa_reserve_flat_scratch 0
		.amdhsa_float_round_mode_32 0
		.amdhsa_float_round_mode_16_64 0
		.amdhsa_float_denorm_mode_32 3
		.amdhsa_float_denorm_mode_16_64 3
		.amdhsa_dx10_clamp 1
		.amdhsa_ieee_mode 1
		.amdhsa_fp16_overflow 0
		.amdhsa_exception_fp_ieee_invalid_op 0
		.amdhsa_exception_fp_denorm_src 0
		.amdhsa_exception_fp_ieee_div_zero 0
		.amdhsa_exception_fp_ieee_overflow 0
		.amdhsa_exception_fp_ieee_underflow 0
		.amdhsa_exception_fp_ieee_inexact 0
		.amdhsa_exception_int_div_zero 0
	.end_amdhsa_kernel
	.section	.text._ZN7rocprim17ROCPRIM_400000_NS6detail17trampoline_kernelINS0_13select_configILj256ELj13ELNS0_17block_load_methodE3ELS4_3ELS4_3ELNS0_20block_scan_algorithmE0ELj4294967295EEENS1_25partition_config_selectorILNS1_17partition_subalgoE4EjNS0_10empty_typeEbEEZZNS1_14partition_implILS8_4ELb0ES6_15HIP_vector_typeIjLj2EENS0_17counting_iteratorIjlEEPS9_SG_NS0_5tupleIJPjSI_NS0_16reverse_iteratorISI_EEEEENSH_IJSG_SG_SG_EEES9_SI_JZNS1_25segmented_radix_sort_implINS0_14default_configELb0EPKsPsPKlPlN2at6native12_GLOBAL__N_18offset_tEEE10hipError_tPvRmT1_PNSt15iterator_traitsIS12_E10value_typeET2_T3_PNS13_IS18_E10value_typeET4_jRbjT5_S1E_jjP12ihipStream_tbEUljE_ZNSN_ISO_Lb0ESQ_SR_ST_SU_SY_EESZ_S10_S11_S12_S16_S17_S18_S1B_S1C_jS1D_jS1E_S1E_jjS1G_bEUljE0_EEESZ_S10_S11_S18_S1C_S1E_T6_T7_T9_mT8_S1G_bDpT10_ENKUlT_T0_E_clISt17integral_constantIbLb1EES1U_EEDaS1P_S1Q_EUlS1P_E_NS1_11comp_targetILNS1_3genE3ELNS1_11target_archE908ELNS1_3gpuE7ELNS1_3repE0EEENS1_30default_config_static_selectorELNS0_4arch9wavefront6targetE1EEEvS12_,"axG",@progbits,_ZN7rocprim17ROCPRIM_400000_NS6detail17trampoline_kernelINS0_13select_configILj256ELj13ELNS0_17block_load_methodE3ELS4_3ELS4_3ELNS0_20block_scan_algorithmE0ELj4294967295EEENS1_25partition_config_selectorILNS1_17partition_subalgoE4EjNS0_10empty_typeEbEEZZNS1_14partition_implILS8_4ELb0ES6_15HIP_vector_typeIjLj2EENS0_17counting_iteratorIjlEEPS9_SG_NS0_5tupleIJPjSI_NS0_16reverse_iteratorISI_EEEEENSH_IJSG_SG_SG_EEES9_SI_JZNS1_25segmented_radix_sort_implINS0_14default_configELb0EPKsPsPKlPlN2at6native12_GLOBAL__N_18offset_tEEE10hipError_tPvRmT1_PNSt15iterator_traitsIS12_E10value_typeET2_T3_PNS13_IS18_E10value_typeET4_jRbjT5_S1E_jjP12ihipStream_tbEUljE_ZNSN_ISO_Lb0ESQ_SR_ST_SU_SY_EESZ_S10_S11_S12_S16_S17_S18_S1B_S1C_jS1D_jS1E_S1E_jjS1G_bEUljE0_EEESZ_S10_S11_S18_S1C_S1E_T6_T7_T9_mT8_S1G_bDpT10_ENKUlT_T0_E_clISt17integral_constantIbLb1EES1U_EEDaS1P_S1Q_EUlS1P_E_NS1_11comp_targetILNS1_3genE3ELNS1_11target_archE908ELNS1_3gpuE7ELNS1_3repE0EEENS1_30default_config_static_selectorELNS0_4arch9wavefront6targetE1EEEvS12_,comdat
.Lfunc_end961:
	.size	_ZN7rocprim17ROCPRIM_400000_NS6detail17trampoline_kernelINS0_13select_configILj256ELj13ELNS0_17block_load_methodE3ELS4_3ELS4_3ELNS0_20block_scan_algorithmE0ELj4294967295EEENS1_25partition_config_selectorILNS1_17partition_subalgoE4EjNS0_10empty_typeEbEEZZNS1_14partition_implILS8_4ELb0ES6_15HIP_vector_typeIjLj2EENS0_17counting_iteratorIjlEEPS9_SG_NS0_5tupleIJPjSI_NS0_16reverse_iteratorISI_EEEEENSH_IJSG_SG_SG_EEES9_SI_JZNS1_25segmented_radix_sort_implINS0_14default_configELb0EPKsPsPKlPlN2at6native12_GLOBAL__N_18offset_tEEE10hipError_tPvRmT1_PNSt15iterator_traitsIS12_E10value_typeET2_T3_PNS13_IS18_E10value_typeET4_jRbjT5_S1E_jjP12ihipStream_tbEUljE_ZNSN_ISO_Lb0ESQ_SR_ST_SU_SY_EESZ_S10_S11_S12_S16_S17_S18_S1B_S1C_jS1D_jS1E_S1E_jjS1G_bEUljE0_EEESZ_S10_S11_S18_S1C_S1E_T6_T7_T9_mT8_S1G_bDpT10_ENKUlT_T0_E_clISt17integral_constantIbLb1EES1U_EEDaS1P_S1Q_EUlS1P_E_NS1_11comp_targetILNS1_3genE3ELNS1_11target_archE908ELNS1_3gpuE7ELNS1_3repE0EEENS1_30default_config_static_selectorELNS0_4arch9wavefront6targetE1EEEvS12_, .Lfunc_end961-_ZN7rocprim17ROCPRIM_400000_NS6detail17trampoline_kernelINS0_13select_configILj256ELj13ELNS0_17block_load_methodE3ELS4_3ELS4_3ELNS0_20block_scan_algorithmE0ELj4294967295EEENS1_25partition_config_selectorILNS1_17partition_subalgoE4EjNS0_10empty_typeEbEEZZNS1_14partition_implILS8_4ELb0ES6_15HIP_vector_typeIjLj2EENS0_17counting_iteratorIjlEEPS9_SG_NS0_5tupleIJPjSI_NS0_16reverse_iteratorISI_EEEEENSH_IJSG_SG_SG_EEES9_SI_JZNS1_25segmented_radix_sort_implINS0_14default_configELb0EPKsPsPKlPlN2at6native12_GLOBAL__N_18offset_tEEE10hipError_tPvRmT1_PNSt15iterator_traitsIS12_E10value_typeET2_T3_PNS13_IS18_E10value_typeET4_jRbjT5_S1E_jjP12ihipStream_tbEUljE_ZNSN_ISO_Lb0ESQ_SR_ST_SU_SY_EESZ_S10_S11_S12_S16_S17_S18_S1B_S1C_jS1D_jS1E_S1E_jjS1G_bEUljE0_EEESZ_S10_S11_S18_S1C_S1E_T6_T7_T9_mT8_S1G_bDpT10_ENKUlT_T0_E_clISt17integral_constantIbLb1EES1U_EEDaS1P_S1Q_EUlS1P_E_NS1_11comp_targetILNS1_3genE3ELNS1_11target_archE908ELNS1_3gpuE7ELNS1_3repE0EEENS1_30default_config_static_selectorELNS0_4arch9wavefront6targetE1EEEvS12_
                                        ; -- End function
	.set _ZN7rocprim17ROCPRIM_400000_NS6detail17trampoline_kernelINS0_13select_configILj256ELj13ELNS0_17block_load_methodE3ELS4_3ELS4_3ELNS0_20block_scan_algorithmE0ELj4294967295EEENS1_25partition_config_selectorILNS1_17partition_subalgoE4EjNS0_10empty_typeEbEEZZNS1_14partition_implILS8_4ELb0ES6_15HIP_vector_typeIjLj2EENS0_17counting_iteratorIjlEEPS9_SG_NS0_5tupleIJPjSI_NS0_16reverse_iteratorISI_EEEEENSH_IJSG_SG_SG_EEES9_SI_JZNS1_25segmented_radix_sort_implINS0_14default_configELb0EPKsPsPKlPlN2at6native12_GLOBAL__N_18offset_tEEE10hipError_tPvRmT1_PNSt15iterator_traitsIS12_E10value_typeET2_T3_PNS13_IS18_E10value_typeET4_jRbjT5_S1E_jjP12ihipStream_tbEUljE_ZNSN_ISO_Lb0ESQ_SR_ST_SU_SY_EESZ_S10_S11_S12_S16_S17_S18_S1B_S1C_jS1D_jS1E_S1E_jjS1G_bEUljE0_EEESZ_S10_S11_S18_S1C_S1E_T6_T7_T9_mT8_S1G_bDpT10_ENKUlT_T0_E_clISt17integral_constantIbLb1EES1U_EEDaS1P_S1Q_EUlS1P_E_NS1_11comp_targetILNS1_3genE3ELNS1_11target_archE908ELNS1_3gpuE7ELNS1_3repE0EEENS1_30default_config_static_selectorELNS0_4arch9wavefront6targetE1EEEvS12_.num_vgpr, 0
	.set _ZN7rocprim17ROCPRIM_400000_NS6detail17trampoline_kernelINS0_13select_configILj256ELj13ELNS0_17block_load_methodE3ELS4_3ELS4_3ELNS0_20block_scan_algorithmE0ELj4294967295EEENS1_25partition_config_selectorILNS1_17partition_subalgoE4EjNS0_10empty_typeEbEEZZNS1_14partition_implILS8_4ELb0ES6_15HIP_vector_typeIjLj2EENS0_17counting_iteratorIjlEEPS9_SG_NS0_5tupleIJPjSI_NS0_16reverse_iteratorISI_EEEEENSH_IJSG_SG_SG_EEES9_SI_JZNS1_25segmented_radix_sort_implINS0_14default_configELb0EPKsPsPKlPlN2at6native12_GLOBAL__N_18offset_tEEE10hipError_tPvRmT1_PNSt15iterator_traitsIS12_E10value_typeET2_T3_PNS13_IS18_E10value_typeET4_jRbjT5_S1E_jjP12ihipStream_tbEUljE_ZNSN_ISO_Lb0ESQ_SR_ST_SU_SY_EESZ_S10_S11_S12_S16_S17_S18_S1B_S1C_jS1D_jS1E_S1E_jjS1G_bEUljE0_EEESZ_S10_S11_S18_S1C_S1E_T6_T7_T9_mT8_S1G_bDpT10_ENKUlT_T0_E_clISt17integral_constantIbLb1EES1U_EEDaS1P_S1Q_EUlS1P_E_NS1_11comp_targetILNS1_3genE3ELNS1_11target_archE908ELNS1_3gpuE7ELNS1_3repE0EEENS1_30default_config_static_selectorELNS0_4arch9wavefront6targetE1EEEvS12_.num_agpr, 0
	.set _ZN7rocprim17ROCPRIM_400000_NS6detail17trampoline_kernelINS0_13select_configILj256ELj13ELNS0_17block_load_methodE3ELS4_3ELS4_3ELNS0_20block_scan_algorithmE0ELj4294967295EEENS1_25partition_config_selectorILNS1_17partition_subalgoE4EjNS0_10empty_typeEbEEZZNS1_14partition_implILS8_4ELb0ES6_15HIP_vector_typeIjLj2EENS0_17counting_iteratorIjlEEPS9_SG_NS0_5tupleIJPjSI_NS0_16reverse_iteratorISI_EEEEENSH_IJSG_SG_SG_EEES9_SI_JZNS1_25segmented_radix_sort_implINS0_14default_configELb0EPKsPsPKlPlN2at6native12_GLOBAL__N_18offset_tEEE10hipError_tPvRmT1_PNSt15iterator_traitsIS12_E10value_typeET2_T3_PNS13_IS18_E10value_typeET4_jRbjT5_S1E_jjP12ihipStream_tbEUljE_ZNSN_ISO_Lb0ESQ_SR_ST_SU_SY_EESZ_S10_S11_S12_S16_S17_S18_S1B_S1C_jS1D_jS1E_S1E_jjS1G_bEUljE0_EEESZ_S10_S11_S18_S1C_S1E_T6_T7_T9_mT8_S1G_bDpT10_ENKUlT_T0_E_clISt17integral_constantIbLb1EES1U_EEDaS1P_S1Q_EUlS1P_E_NS1_11comp_targetILNS1_3genE3ELNS1_11target_archE908ELNS1_3gpuE7ELNS1_3repE0EEENS1_30default_config_static_selectorELNS0_4arch9wavefront6targetE1EEEvS12_.numbered_sgpr, 0
	.set _ZN7rocprim17ROCPRIM_400000_NS6detail17trampoline_kernelINS0_13select_configILj256ELj13ELNS0_17block_load_methodE3ELS4_3ELS4_3ELNS0_20block_scan_algorithmE0ELj4294967295EEENS1_25partition_config_selectorILNS1_17partition_subalgoE4EjNS0_10empty_typeEbEEZZNS1_14partition_implILS8_4ELb0ES6_15HIP_vector_typeIjLj2EENS0_17counting_iteratorIjlEEPS9_SG_NS0_5tupleIJPjSI_NS0_16reverse_iteratorISI_EEEEENSH_IJSG_SG_SG_EEES9_SI_JZNS1_25segmented_radix_sort_implINS0_14default_configELb0EPKsPsPKlPlN2at6native12_GLOBAL__N_18offset_tEEE10hipError_tPvRmT1_PNSt15iterator_traitsIS12_E10value_typeET2_T3_PNS13_IS18_E10value_typeET4_jRbjT5_S1E_jjP12ihipStream_tbEUljE_ZNSN_ISO_Lb0ESQ_SR_ST_SU_SY_EESZ_S10_S11_S12_S16_S17_S18_S1B_S1C_jS1D_jS1E_S1E_jjS1G_bEUljE0_EEESZ_S10_S11_S18_S1C_S1E_T6_T7_T9_mT8_S1G_bDpT10_ENKUlT_T0_E_clISt17integral_constantIbLb1EES1U_EEDaS1P_S1Q_EUlS1P_E_NS1_11comp_targetILNS1_3genE3ELNS1_11target_archE908ELNS1_3gpuE7ELNS1_3repE0EEENS1_30default_config_static_selectorELNS0_4arch9wavefront6targetE1EEEvS12_.num_named_barrier, 0
	.set _ZN7rocprim17ROCPRIM_400000_NS6detail17trampoline_kernelINS0_13select_configILj256ELj13ELNS0_17block_load_methodE3ELS4_3ELS4_3ELNS0_20block_scan_algorithmE0ELj4294967295EEENS1_25partition_config_selectorILNS1_17partition_subalgoE4EjNS0_10empty_typeEbEEZZNS1_14partition_implILS8_4ELb0ES6_15HIP_vector_typeIjLj2EENS0_17counting_iteratorIjlEEPS9_SG_NS0_5tupleIJPjSI_NS0_16reverse_iteratorISI_EEEEENSH_IJSG_SG_SG_EEES9_SI_JZNS1_25segmented_radix_sort_implINS0_14default_configELb0EPKsPsPKlPlN2at6native12_GLOBAL__N_18offset_tEEE10hipError_tPvRmT1_PNSt15iterator_traitsIS12_E10value_typeET2_T3_PNS13_IS18_E10value_typeET4_jRbjT5_S1E_jjP12ihipStream_tbEUljE_ZNSN_ISO_Lb0ESQ_SR_ST_SU_SY_EESZ_S10_S11_S12_S16_S17_S18_S1B_S1C_jS1D_jS1E_S1E_jjS1G_bEUljE0_EEESZ_S10_S11_S18_S1C_S1E_T6_T7_T9_mT8_S1G_bDpT10_ENKUlT_T0_E_clISt17integral_constantIbLb1EES1U_EEDaS1P_S1Q_EUlS1P_E_NS1_11comp_targetILNS1_3genE3ELNS1_11target_archE908ELNS1_3gpuE7ELNS1_3repE0EEENS1_30default_config_static_selectorELNS0_4arch9wavefront6targetE1EEEvS12_.private_seg_size, 0
	.set _ZN7rocprim17ROCPRIM_400000_NS6detail17trampoline_kernelINS0_13select_configILj256ELj13ELNS0_17block_load_methodE3ELS4_3ELS4_3ELNS0_20block_scan_algorithmE0ELj4294967295EEENS1_25partition_config_selectorILNS1_17partition_subalgoE4EjNS0_10empty_typeEbEEZZNS1_14partition_implILS8_4ELb0ES6_15HIP_vector_typeIjLj2EENS0_17counting_iteratorIjlEEPS9_SG_NS0_5tupleIJPjSI_NS0_16reverse_iteratorISI_EEEEENSH_IJSG_SG_SG_EEES9_SI_JZNS1_25segmented_radix_sort_implINS0_14default_configELb0EPKsPsPKlPlN2at6native12_GLOBAL__N_18offset_tEEE10hipError_tPvRmT1_PNSt15iterator_traitsIS12_E10value_typeET2_T3_PNS13_IS18_E10value_typeET4_jRbjT5_S1E_jjP12ihipStream_tbEUljE_ZNSN_ISO_Lb0ESQ_SR_ST_SU_SY_EESZ_S10_S11_S12_S16_S17_S18_S1B_S1C_jS1D_jS1E_S1E_jjS1G_bEUljE0_EEESZ_S10_S11_S18_S1C_S1E_T6_T7_T9_mT8_S1G_bDpT10_ENKUlT_T0_E_clISt17integral_constantIbLb1EES1U_EEDaS1P_S1Q_EUlS1P_E_NS1_11comp_targetILNS1_3genE3ELNS1_11target_archE908ELNS1_3gpuE7ELNS1_3repE0EEENS1_30default_config_static_selectorELNS0_4arch9wavefront6targetE1EEEvS12_.uses_vcc, 0
	.set _ZN7rocprim17ROCPRIM_400000_NS6detail17trampoline_kernelINS0_13select_configILj256ELj13ELNS0_17block_load_methodE3ELS4_3ELS4_3ELNS0_20block_scan_algorithmE0ELj4294967295EEENS1_25partition_config_selectorILNS1_17partition_subalgoE4EjNS0_10empty_typeEbEEZZNS1_14partition_implILS8_4ELb0ES6_15HIP_vector_typeIjLj2EENS0_17counting_iteratorIjlEEPS9_SG_NS0_5tupleIJPjSI_NS0_16reverse_iteratorISI_EEEEENSH_IJSG_SG_SG_EEES9_SI_JZNS1_25segmented_radix_sort_implINS0_14default_configELb0EPKsPsPKlPlN2at6native12_GLOBAL__N_18offset_tEEE10hipError_tPvRmT1_PNSt15iterator_traitsIS12_E10value_typeET2_T3_PNS13_IS18_E10value_typeET4_jRbjT5_S1E_jjP12ihipStream_tbEUljE_ZNSN_ISO_Lb0ESQ_SR_ST_SU_SY_EESZ_S10_S11_S12_S16_S17_S18_S1B_S1C_jS1D_jS1E_S1E_jjS1G_bEUljE0_EEESZ_S10_S11_S18_S1C_S1E_T6_T7_T9_mT8_S1G_bDpT10_ENKUlT_T0_E_clISt17integral_constantIbLb1EES1U_EEDaS1P_S1Q_EUlS1P_E_NS1_11comp_targetILNS1_3genE3ELNS1_11target_archE908ELNS1_3gpuE7ELNS1_3repE0EEENS1_30default_config_static_selectorELNS0_4arch9wavefront6targetE1EEEvS12_.uses_flat_scratch, 0
	.set _ZN7rocprim17ROCPRIM_400000_NS6detail17trampoline_kernelINS0_13select_configILj256ELj13ELNS0_17block_load_methodE3ELS4_3ELS4_3ELNS0_20block_scan_algorithmE0ELj4294967295EEENS1_25partition_config_selectorILNS1_17partition_subalgoE4EjNS0_10empty_typeEbEEZZNS1_14partition_implILS8_4ELb0ES6_15HIP_vector_typeIjLj2EENS0_17counting_iteratorIjlEEPS9_SG_NS0_5tupleIJPjSI_NS0_16reverse_iteratorISI_EEEEENSH_IJSG_SG_SG_EEES9_SI_JZNS1_25segmented_radix_sort_implINS0_14default_configELb0EPKsPsPKlPlN2at6native12_GLOBAL__N_18offset_tEEE10hipError_tPvRmT1_PNSt15iterator_traitsIS12_E10value_typeET2_T3_PNS13_IS18_E10value_typeET4_jRbjT5_S1E_jjP12ihipStream_tbEUljE_ZNSN_ISO_Lb0ESQ_SR_ST_SU_SY_EESZ_S10_S11_S12_S16_S17_S18_S1B_S1C_jS1D_jS1E_S1E_jjS1G_bEUljE0_EEESZ_S10_S11_S18_S1C_S1E_T6_T7_T9_mT8_S1G_bDpT10_ENKUlT_T0_E_clISt17integral_constantIbLb1EES1U_EEDaS1P_S1Q_EUlS1P_E_NS1_11comp_targetILNS1_3genE3ELNS1_11target_archE908ELNS1_3gpuE7ELNS1_3repE0EEENS1_30default_config_static_selectorELNS0_4arch9wavefront6targetE1EEEvS12_.has_dyn_sized_stack, 0
	.set _ZN7rocprim17ROCPRIM_400000_NS6detail17trampoline_kernelINS0_13select_configILj256ELj13ELNS0_17block_load_methodE3ELS4_3ELS4_3ELNS0_20block_scan_algorithmE0ELj4294967295EEENS1_25partition_config_selectorILNS1_17partition_subalgoE4EjNS0_10empty_typeEbEEZZNS1_14partition_implILS8_4ELb0ES6_15HIP_vector_typeIjLj2EENS0_17counting_iteratorIjlEEPS9_SG_NS0_5tupleIJPjSI_NS0_16reverse_iteratorISI_EEEEENSH_IJSG_SG_SG_EEES9_SI_JZNS1_25segmented_radix_sort_implINS0_14default_configELb0EPKsPsPKlPlN2at6native12_GLOBAL__N_18offset_tEEE10hipError_tPvRmT1_PNSt15iterator_traitsIS12_E10value_typeET2_T3_PNS13_IS18_E10value_typeET4_jRbjT5_S1E_jjP12ihipStream_tbEUljE_ZNSN_ISO_Lb0ESQ_SR_ST_SU_SY_EESZ_S10_S11_S12_S16_S17_S18_S1B_S1C_jS1D_jS1E_S1E_jjS1G_bEUljE0_EEESZ_S10_S11_S18_S1C_S1E_T6_T7_T9_mT8_S1G_bDpT10_ENKUlT_T0_E_clISt17integral_constantIbLb1EES1U_EEDaS1P_S1Q_EUlS1P_E_NS1_11comp_targetILNS1_3genE3ELNS1_11target_archE908ELNS1_3gpuE7ELNS1_3repE0EEENS1_30default_config_static_selectorELNS0_4arch9wavefront6targetE1EEEvS12_.has_recursion, 0
	.set _ZN7rocprim17ROCPRIM_400000_NS6detail17trampoline_kernelINS0_13select_configILj256ELj13ELNS0_17block_load_methodE3ELS4_3ELS4_3ELNS0_20block_scan_algorithmE0ELj4294967295EEENS1_25partition_config_selectorILNS1_17partition_subalgoE4EjNS0_10empty_typeEbEEZZNS1_14partition_implILS8_4ELb0ES6_15HIP_vector_typeIjLj2EENS0_17counting_iteratorIjlEEPS9_SG_NS0_5tupleIJPjSI_NS0_16reverse_iteratorISI_EEEEENSH_IJSG_SG_SG_EEES9_SI_JZNS1_25segmented_radix_sort_implINS0_14default_configELb0EPKsPsPKlPlN2at6native12_GLOBAL__N_18offset_tEEE10hipError_tPvRmT1_PNSt15iterator_traitsIS12_E10value_typeET2_T3_PNS13_IS18_E10value_typeET4_jRbjT5_S1E_jjP12ihipStream_tbEUljE_ZNSN_ISO_Lb0ESQ_SR_ST_SU_SY_EESZ_S10_S11_S12_S16_S17_S18_S1B_S1C_jS1D_jS1E_S1E_jjS1G_bEUljE0_EEESZ_S10_S11_S18_S1C_S1E_T6_T7_T9_mT8_S1G_bDpT10_ENKUlT_T0_E_clISt17integral_constantIbLb1EES1U_EEDaS1P_S1Q_EUlS1P_E_NS1_11comp_targetILNS1_3genE3ELNS1_11target_archE908ELNS1_3gpuE7ELNS1_3repE0EEENS1_30default_config_static_selectorELNS0_4arch9wavefront6targetE1EEEvS12_.has_indirect_call, 0
	.section	.AMDGPU.csdata,"",@progbits
; Kernel info:
; codeLenInByte = 0
; TotalNumSgprs: 4
; NumVgprs: 0
; ScratchSize: 0
; MemoryBound: 0
; FloatMode: 240
; IeeeMode: 1
; LDSByteSize: 0 bytes/workgroup (compile time only)
; SGPRBlocks: 0
; VGPRBlocks: 0
; NumSGPRsForWavesPerEU: 4
; NumVGPRsForWavesPerEU: 1
; Occupancy: 10
; WaveLimiterHint : 0
; COMPUTE_PGM_RSRC2:SCRATCH_EN: 0
; COMPUTE_PGM_RSRC2:USER_SGPR: 6
; COMPUTE_PGM_RSRC2:TRAP_HANDLER: 0
; COMPUTE_PGM_RSRC2:TGID_X_EN: 1
; COMPUTE_PGM_RSRC2:TGID_Y_EN: 0
; COMPUTE_PGM_RSRC2:TGID_Z_EN: 0
; COMPUTE_PGM_RSRC2:TIDIG_COMP_CNT: 0
	.section	.text._ZN7rocprim17ROCPRIM_400000_NS6detail17trampoline_kernelINS0_13select_configILj256ELj13ELNS0_17block_load_methodE3ELS4_3ELS4_3ELNS0_20block_scan_algorithmE0ELj4294967295EEENS1_25partition_config_selectorILNS1_17partition_subalgoE4EjNS0_10empty_typeEbEEZZNS1_14partition_implILS8_4ELb0ES6_15HIP_vector_typeIjLj2EENS0_17counting_iteratorIjlEEPS9_SG_NS0_5tupleIJPjSI_NS0_16reverse_iteratorISI_EEEEENSH_IJSG_SG_SG_EEES9_SI_JZNS1_25segmented_radix_sort_implINS0_14default_configELb0EPKsPsPKlPlN2at6native12_GLOBAL__N_18offset_tEEE10hipError_tPvRmT1_PNSt15iterator_traitsIS12_E10value_typeET2_T3_PNS13_IS18_E10value_typeET4_jRbjT5_S1E_jjP12ihipStream_tbEUljE_ZNSN_ISO_Lb0ESQ_SR_ST_SU_SY_EESZ_S10_S11_S12_S16_S17_S18_S1B_S1C_jS1D_jS1E_S1E_jjS1G_bEUljE0_EEESZ_S10_S11_S18_S1C_S1E_T6_T7_T9_mT8_S1G_bDpT10_ENKUlT_T0_E_clISt17integral_constantIbLb1EES1U_EEDaS1P_S1Q_EUlS1P_E_NS1_11comp_targetILNS1_3genE2ELNS1_11target_archE906ELNS1_3gpuE6ELNS1_3repE0EEENS1_30default_config_static_selectorELNS0_4arch9wavefront6targetE1EEEvS12_,"axG",@progbits,_ZN7rocprim17ROCPRIM_400000_NS6detail17trampoline_kernelINS0_13select_configILj256ELj13ELNS0_17block_load_methodE3ELS4_3ELS4_3ELNS0_20block_scan_algorithmE0ELj4294967295EEENS1_25partition_config_selectorILNS1_17partition_subalgoE4EjNS0_10empty_typeEbEEZZNS1_14partition_implILS8_4ELb0ES6_15HIP_vector_typeIjLj2EENS0_17counting_iteratorIjlEEPS9_SG_NS0_5tupleIJPjSI_NS0_16reverse_iteratorISI_EEEEENSH_IJSG_SG_SG_EEES9_SI_JZNS1_25segmented_radix_sort_implINS0_14default_configELb0EPKsPsPKlPlN2at6native12_GLOBAL__N_18offset_tEEE10hipError_tPvRmT1_PNSt15iterator_traitsIS12_E10value_typeET2_T3_PNS13_IS18_E10value_typeET4_jRbjT5_S1E_jjP12ihipStream_tbEUljE_ZNSN_ISO_Lb0ESQ_SR_ST_SU_SY_EESZ_S10_S11_S12_S16_S17_S18_S1B_S1C_jS1D_jS1E_S1E_jjS1G_bEUljE0_EEESZ_S10_S11_S18_S1C_S1E_T6_T7_T9_mT8_S1G_bDpT10_ENKUlT_T0_E_clISt17integral_constantIbLb1EES1U_EEDaS1P_S1Q_EUlS1P_E_NS1_11comp_targetILNS1_3genE2ELNS1_11target_archE906ELNS1_3gpuE6ELNS1_3repE0EEENS1_30default_config_static_selectorELNS0_4arch9wavefront6targetE1EEEvS12_,comdat
	.globl	_ZN7rocprim17ROCPRIM_400000_NS6detail17trampoline_kernelINS0_13select_configILj256ELj13ELNS0_17block_load_methodE3ELS4_3ELS4_3ELNS0_20block_scan_algorithmE0ELj4294967295EEENS1_25partition_config_selectorILNS1_17partition_subalgoE4EjNS0_10empty_typeEbEEZZNS1_14partition_implILS8_4ELb0ES6_15HIP_vector_typeIjLj2EENS0_17counting_iteratorIjlEEPS9_SG_NS0_5tupleIJPjSI_NS0_16reverse_iteratorISI_EEEEENSH_IJSG_SG_SG_EEES9_SI_JZNS1_25segmented_radix_sort_implINS0_14default_configELb0EPKsPsPKlPlN2at6native12_GLOBAL__N_18offset_tEEE10hipError_tPvRmT1_PNSt15iterator_traitsIS12_E10value_typeET2_T3_PNS13_IS18_E10value_typeET4_jRbjT5_S1E_jjP12ihipStream_tbEUljE_ZNSN_ISO_Lb0ESQ_SR_ST_SU_SY_EESZ_S10_S11_S12_S16_S17_S18_S1B_S1C_jS1D_jS1E_S1E_jjS1G_bEUljE0_EEESZ_S10_S11_S18_S1C_S1E_T6_T7_T9_mT8_S1G_bDpT10_ENKUlT_T0_E_clISt17integral_constantIbLb1EES1U_EEDaS1P_S1Q_EUlS1P_E_NS1_11comp_targetILNS1_3genE2ELNS1_11target_archE906ELNS1_3gpuE6ELNS1_3repE0EEENS1_30default_config_static_selectorELNS0_4arch9wavefront6targetE1EEEvS12_ ; -- Begin function _ZN7rocprim17ROCPRIM_400000_NS6detail17trampoline_kernelINS0_13select_configILj256ELj13ELNS0_17block_load_methodE3ELS4_3ELS4_3ELNS0_20block_scan_algorithmE0ELj4294967295EEENS1_25partition_config_selectorILNS1_17partition_subalgoE4EjNS0_10empty_typeEbEEZZNS1_14partition_implILS8_4ELb0ES6_15HIP_vector_typeIjLj2EENS0_17counting_iteratorIjlEEPS9_SG_NS0_5tupleIJPjSI_NS0_16reverse_iteratorISI_EEEEENSH_IJSG_SG_SG_EEES9_SI_JZNS1_25segmented_radix_sort_implINS0_14default_configELb0EPKsPsPKlPlN2at6native12_GLOBAL__N_18offset_tEEE10hipError_tPvRmT1_PNSt15iterator_traitsIS12_E10value_typeET2_T3_PNS13_IS18_E10value_typeET4_jRbjT5_S1E_jjP12ihipStream_tbEUljE_ZNSN_ISO_Lb0ESQ_SR_ST_SU_SY_EESZ_S10_S11_S12_S16_S17_S18_S1B_S1C_jS1D_jS1E_S1E_jjS1G_bEUljE0_EEESZ_S10_S11_S18_S1C_S1E_T6_T7_T9_mT8_S1G_bDpT10_ENKUlT_T0_E_clISt17integral_constantIbLb1EES1U_EEDaS1P_S1Q_EUlS1P_E_NS1_11comp_targetILNS1_3genE2ELNS1_11target_archE906ELNS1_3gpuE6ELNS1_3repE0EEENS1_30default_config_static_selectorELNS0_4arch9wavefront6targetE1EEEvS12_
	.p2align	8
	.type	_ZN7rocprim17ROCPRIM_400000_NS6detail17trampoline_kernelINS0_13select_configILj256ELj13ELNS0_17block_load_methodE3ELS4_3ELS4_3ELNS0_20block_scan_algorithmE0ELj4294967295EEENS1_25partition_config_selectorILNS1_17partition_subalgoE4EjNS0_10empty_typeEbEEZZNS1_14partition_implILS8_4ELb0ES6_15HIP_vector_typeIjLj2EENS0_17counting_iteratorIjlEEPS9_SG_NS0_5tupleIJPjSI_NS0_16reverse_iteratorISI_EEEEENSH_IJSG_SG_SG_EEES9_SI_JZNS1_25segmented_radix_sort_implINS0_14default_configELb0EPKsPsPKlPlN2at6native12_GLOBAL__N_18offset_tEEE10hipError_tPvRmT1_PNSt15iterator_traitsIS12_E10value_typeET2_T3_PNS13_IS18_E10value_typeET4_jRbjT5_S1E_jjP12ihipStream_tbEUljE_ZNSN_ISO_Lb0ESQ_SR_ST_SU_SY_EESZ_S10_S11_S12_S16_S17_S18_S1B_S1C_jS1D_jS1E_S1E_jjS1G_bEUljE0_EEESZ_S10_S11_S18_S1C_S1E_T6_T7_T9_mT8_S1G_bDpT10_ENKUlT_T0_E_clISt17integral_constantIbLb1EES1U_EEDaS1P_S1Q_EUlS1P_E_NS1_11comp_targetILNS1_3genE2ELNS1_11target_archE906ELNS1_3gpuE6ELNS1_3repE0EEENS1_30default_config_static_selectorELNS0_4arch9wavefront6targetE1EEEvS12_,@function
_ZN7rocprim17ROCPRIM_400000_NS6detail17trampoline_kernelINS0_13select_configILj256ELj13ELNS0_17block_load_methodE3ELS4_3ELS4_3ELNS0_20block_scan_algorithmE0ELj4294967295EEENS1_25partition_config_selectorILNS1_17partition_subalgoE4EjNS0_10empty_typeEbEEZZNS1_14partition_implILS8_4ELb0ES6_15HIP_vector_typeIjLj2EENS0_17counting_iteratorIjlEEPS9_SG_NS0_5tupleIJPjSI_NS0_16reverse_iteratorISI_EEEEENSH_IJSG_SG_SG_EEES9_SI_JZNS1_25segmented_radix_sort_implINS0_14default_configELb0EPKsPsPKlPlN2at6native12_GLOBAL__N_18offset_tEEE10hipError_tPvRmT1_PNSt15iterator_traitsIS12_E10value_typeET2_T3_PNS13_IS18_E10value_typeET4_jRbjT5_S1E_jjP12ihipStream_tbEUljE_ZNSN_ISO_Lb0ESQ_SR_ST_SU_SY_EESZ_S10_S11_S12_S16_S17_S18_S1B_S1C_jS1D_jS1E_S1E_jjS1G_bEUljE0_EEESZ_S10_S11_S18_S1C_S1E_T6_T7_T9_mT8_S1G_bDpT10_ENKUlT_T0_E_clISt17integral_constantIbLb1EES1U_EEDaS1P_S1Q_EUlS1P_E_NS1_11comp_targetILNS1_3genE2ELNS1_11target_archE906ELNS1_3gpuE6ELNS1_3repE0EEENS1_30default_config_static_selectorELNS0_4arch9wavefront6targetE1EEEvS12_: ; @_ZN7rocprim17ROCPRIM_400000_NS6detail17trampoline_kernelINS0_13select_configILj256ELj13ELNS0_17block_load_methodE3ELS4_3ELS4_3ELNS0_20block_scan_algorithmE0ELj4294967295EEENS1_25partition_config_selectorILNS1_17partition_subalgoE4EjNS0_10empty_typeEbEEZZNS1_14partition_implILS8_4ELb0ES6_15HIP_vector_typeIjLj2EENS0_17counting_iteratorIjlEEPS9_SG_NS0_5tupleIJPjSI_NS0_16reverse_iteratorISI_EEEEENSH_IJSG_SG_SG_EEES9_SI_JZNS1_25segmented_radix_sort_implINS0_14default_configELb0EPKsPsPKlPlN2at6native12_GLOBAL__N_18offset_tEEE10hipError_tPvRmT1_PNSt15iterator_traitsIS12_E10value_typeET2_T3_PNS13_IS18_E10value_typeET4_jRbjT5_S1E_jjP12ihipStream_tbEUljE_ZNSN_ISO_Lb0ESQ_SR_ST_SU_SY_EESZ_S10_S11_S12_S16_S17_S18_S1B_S1C_jS1D_jS1E_S1E_jjS1G_bEUljE0_EEESZ_S10_S11_S18_S1C_S1E_T6_T7_T9_mT8_S1G_bDpT10_ENKUlT_T0_E_clISt17integral_constantIbLb1EES1U_EEDaS1P_S1Q_EUlS1P_E_NS1_11comp_targetILNS1_3genE2ELNS1_11target_archE906ELNS1_3gpuE6ELNS1_3repE0EEENS1_30default_config_static_selectorELNS0_4arch9wavefront6targetE1EEEvS12_
; %bb.0:
	s_endpgm
	.section	.rodata,"a",@progbits
	.p2align	6, 0x0
	.amdhsa_kernel _ZN7rocprim17ROCPRIM_400000_NS6detail17trampoline_kernelINS0_13select_configILj256ELj13ELNS0_17block_load_methodE3ELS4_3ELS4_3ELNS0_20block_scan_algorithmE0ELj4294967295EEENS1_25partition_config_selectorILNS1_17partition_subalgoE4EjNS0_10empty_typeEbEEZZNS1_14partition_implILS8_4ELb0ES6_15HIP_vector_typeIjLj2EENS0_17counting_iteratorIjlEEPS9_SG_NS0_5tupleIJPjSI_NS0_16reverse_iteratorISI_EEEEENSH_IJSG_SG_SG_EEES9_SI_JZNS1_25segmented_radix_sort_implINS0_14default_configELb0EPKsPsPKlPlN2at6native12_GLOBAL__N_18offset_tEEE10hipError_tPvRmT1_PNSt15iterator_traitsIS12_E10value_typeET2_T3_PNS13_IS18_E10value_typeET4_jRbjT5_S1E_jjP12ihipStream_tbEUljE_ZNSN_ISO_Lb0ESQ_SR_ST_SU_SY_EESZ_S10_S11_S12_S16_S17_S18_S1B_S1C_jS1D_jS1E_S1E_jjS1G_bEUljE0_EEESZ_S10_S11_S18_S1C_S1E_T6_T7_T9_mT8_S1G_bDpT10_ENKUlT_T0_E_clISt17integral_constantIbLb1EES1U_EEDaS1P_S1Q_EUlS1P_E_NS1_11comp_targetILNS1_3genE2ELNS1_11target_archE906ELNS1_3gpuE6ELNS1_3repE0EEENS1_30default_config_static_selectorELNS0_4arch9wavefront6targetE1EEEvS12_
		.amdhsa_group_segment_fixed_size 0
		.amdhsa_private_segment_fixed_size 0
		.amdhsa_kernarg_size 184
		.amdhsa_user_sgpr_count 6
		.amdhsa_user_sgpr_private_segment_buffer 1
		.amdhsa_user_sgpr_dispatch_ptr 0
		.amdhsa_user_sgpr_queue_ptr 0
		.amdhsa_user_sgpr_kernarg_segment_ptr 1
		.amdhsa_user_sgpr_dispatch_id 0
		.amdhsa_user_sgpr_flat_scratch_init 0
		.amdhsa_user_sgpr_private_segment_size 0
		.amdhsa_uses_dynamic_stack 0
		.amdhsa_system_sgpr_private_segment_wavefront_offset 0
		.amdhsa_system_sgpr_workgroup_id_x 1
		.amdhsa_system_sgpr_workgroup_id_y 0
		.amdhsa_system_sgpr_workgroup_id_z 0
		.amdhsa_system_sgpr_workgroup_info 0
		.amdhsa_system_vgpr_workitem_id 0
		.amdhsa_next_free_vgpr 1
		.amdhsa_next_free_sgpr 0
		.amdhsa_reserve_vcc 0
		.amdhsa_reserve_flat_scratch 0
		.amdhsa_float_round_mode_32 0
		.amdhsa_float_round_mode_16_64 0
		.amdhsa_float_denorm_mode_32 3
		.amdhsa_float_denorm_mode_16_64 3
		.amdhsa_dx10_clamp 1
		.amdhsa_ieee_mode 1
		.amdhsa_fp16_overflow 0
		.amdhsa_exception_fp_ieee_invalid_op 0
		.amdhsa_exception_fp_denorm_src 0
		.amdhsa_exception_fp_ieee_div_zero 0
		.amdhsa_exception_fp_ieee_overflow 0
		.amdhsa_exception_fp_ieee_underflow 0
		.amdhsa_exception_fp_ieee_inexact 0
		.amdhsa_exception_int_div_zero 0
	.end_amdhsa_kernel
	.section	.text._ZN7rocprim17ROCPRIM_400000_NS6detail17trampoline_kernelINS0_13select_configILj256ELj13ELNS0_17block_load_methodE3ELS4_3ELS4_3ELNS0_20block_scan_algorithmE0ELj4294967295EEENS1_25partition_config_selectorILNS1_17partition_subalgoE4EjNS0_10empty_typeEbEEZZNS1_14partition_implILS8_4ELb0ES6_15HIP_vector_typeIjLj2EENS0_17counting_iteratorIjlEEPS9_SG_NS0_5tupleIJPjSI_NS0_16reverse_iteratorISI_EEEEENSH_IJSG_SG_SG_EEES9_SI_JZNS1_25segmented_radix_sort_implINS0_14default_configELb0EPKsPsPKlPlN2at6native12_GLOBAL__N_18offset_tEEE10hipError_tPvRmT1_PNSt15iterator_traitsIS12_E10value_typeET2_T3_PNS13_IS18_E10value_typeET4_jRbjT5_S1E_jjP12ihipStream_tbEUljE_ZNSN_ISO_Lb0ESQ_SR_ST_SU_SY_EESZ_S10_S11_S12_S16_S17_S18_S1B_S1C_jS1D_jS1E_S1E_jjS1G_bEUljE0_EEESZ_S10_S11_S18_S1C_S1E_T6_T7_T9_mT8_S1G_bDpT10_ENKUlT_T0_E_clISt17integral_constantIbLb1EES1U_EEDaS1P_S1Q_EUlS1P_E_NS1_11comp_targetILNS1_3genE2ELNS1_11target_archE906ELNS1_3gpuE6ELNS1_3repE0EEENS1_30default_config_static_selectorELNS0_4arch9wavefront6targetE1EEEvS12_,"axG",@progbits,_ZN7rocprim17ROCPRIM_400000_NS6detail17trampoline_kernelINS0_13select_configILj256ELj13ELNS0_17block_load_methodE3ELS4_3ELS4_3ELNS0_20block_scan_algorithmE0ELj4294967295EEENS1_25partition_config_selectorILNS1_17partition_subalgoE4EjNS0_10empty_typeEbEEZZNS1_14partition_implILS8_4ELb0ES6_15HIP_vector_typeIjLj2EENS0_17counting_iteratorIjlEEPS9_SG_NS0_5tupleIJPjSI_NS0_16reverse_iteratorISI_EEEEENSH_IJSG_SG_SG_EEES9_SI_JZNS1_25segmented_radix_sort_implINS0_14default_configELb0EPKsPsPKlPlN2at6native12_GLOBAL__N_18offset_tEEE10hipError_tPvRmT1_PNSt15iterator_traitsIS12_E10value_typeET2_T3_PNS13_IS18_E10value_typeET4_jRbjT5_S1E_jjP12ihipStream_tbEUljE_ZNSN_ISO_Lb0ESQ_SR_ST_SU_SY_EESZ_S10_S11_S12_S16_S17_S18_S1B_S1C_jS1D_jS1E_S1E_jjS1G_bEUljE0_EEESZ_S10_S11_S18_S1C_S1E_T6_T7_T9_mT8_S1G_bDpT10_ENKUlT_T0_E_clISt17integral_constantIbLb1EES1U_EEDaS1P_S1Q_EUlS1P_E_NS1_11comp_targetILNS1_3genE2ELNS1_11target_archE906ELNS1_3gpuE6ELNS1_3repE0EEENS1_30default_config_static_selectorELNS0_4arch9wavefront6targetE1EEEvS12_,comdat
.Lfunc_end962:
	.size	_ZN7rocprim17ROCPRIM_400000_NS6detail17trampoline_kernelINS0_13select_configILj256ELj13ELNS0_17block_load_methodE3ELS4_3ELS4_3ELNS0_20block_scan_algorithmE0ELj4294967295EEENS1_25partition_config_selectorILNS1_17partition_subalgoE4EjNS0_10empty_typeEbEEZZNS1_14partition_implILS8_4ELb0ES6_15HIP_vector_typeIjLj2EENS0_17counting_iteratorIjlEEPS9_SG_NS0_5tupleIJPjSI_NS0_16reverse_iteratorISI_EEEEENSH_IJSG_SG_SG_EEES9_SI_JZNS1_25segmented_radix_sort_implINS0_14default_configELb0EPKsPsPKlPlN2at6native12_GLOBAL__N_18offset_tEEE10hipError_tPvRmT1_PNSt15iterator_traitsIS12_E10value_typeET2_T3_PNS13_IS18_E10value_typeET4_jRbjT5_S1E_jjP12ihipStream_tbEUljE_ZNSN_ISO_Lb0ESQ_SR_ST_SU_SY_EESZ_S10_S11_S12_S16_S17_S18_S1B_S1C_jS1D_jS1E_S1E_jjS1G_bEUljE0_EEESZ_S10_S11_S18_S1C_S1E_T6_T7_T9_mT8_S1G_bDpT10_ENKUlT_T0_E_clISt17integral_constantIbLb1EES1U_EEDaS1P_S1Q_EUlS1P_E_NS1_11comp_targetILNS1_3genE2ELNS1_11target_archE906ELNS1_3gpuE6ELNS1_3repE0EEENS1_30default_config_static_selectorELNS0_4arch9wavefront6targetE1EEEvS12_, .Lfunc_end962-_ZN7rocprim17ROCPRIM_400000_NS6detail17trampoline_kernelINS0_13select_configILj256ELj13ELNS0_17block_load_methodE3ELS4_3ELS4_3ELNS0_20block_scan_algorithmE0ELj4294967295EEENS1_25partition_config_selectorILNS1_17partition_subalgoE4EjNS0_10empty_typeEbEEZZNS1_14partition_implILS8_4ELb0ES6_15HIP_vector_typeIjLj2EENS0_17counting_iteratorIjlEEPS9_SG_NS0_5tupleIJPjSI_NS0_16reverse_iteratorISI_EEEEENSH_IJSG_SG_SG_EEES9_SI_JZNS1_25segmented_radix_sort_implINS0_14default_configELb0EPKsPsPKlPlN2at6native12_GLOBAL__N_18offset_tEEE10hipError_tPvRmT1_PNSt15iterator_traitsIS12_E10value_typeET2_T3_PNS13_IS18_E10value_typeET4_jRbjT5_S1E_jjP12ihipStream_tbEUljE_ZNSN_ISO_Lb0ESQ_SR_ST_SU_SY_EESZ_S10_S11_S12_S16_S17_S18_S1B_S1C_jS1D_jS1E_S1E_jjS1G_bEUljE0_EEESZ_S10_S11_S18_S1C_S1E_T6_T7_T9_mT8_S1G_bDpT10_ENKUlT_T0_E_clISt17integral_constantIbLb1EES1U_EEDaS1P_S1Q_EUlS1P_E_NS1_11comp_targetILNS1_3genE2ELNS1_11target_archE906ELNS1_3gpuE6ELNS1_3repE0EEENS1_30default_config_static_selectorELNS0_4arch9wavefront6targetE1EEEvS12_
                                        ; -- End function
	.set _ZN7rocprim17ROCPRIM_400000_NS6detail17trampoline_kernelINS0_13select_configILj256ELj13ELNS0_17block_load_methodE3ELS4_3ELS4_3ELNS0_20block_scan_algorithmE0ELj4294967295EEENS1_25partition_config_selectorILNS1_17partition_subalgoE4EjNS0_10empty_typeEbEEZZNS1_14partition_implILS8_4ELb0ES6_15HIP_vector_typeIjLj2EENS0_17counting_iteratorIjlEEPS9_SG_NS0_5tupleIJPjSI_NS0_16reverse_iteratorISI_EEEEENSH_IJSG_SG_SG_EEES9_SI_JZNS1_25segmented_radix_sort_implINS0_14default_configELb0EPKsPsPKlPlN2at6native12_GLOBAL__N_18offset_tEEE10hipError_tPvRmT1_PNSt15iterator_traitsIS12_E10value_typeET2_T3_PNS13_IS18_E10value_typeET4_jRbjT5_S1E_jjP12ihipStream_tbEUljE_ZNSN_ISO_Lb0ESQ_SR_ST_SU_SY_EESZ_S10_S11_S12_S16_S17_S18_S1B_S1C_jS1D_jS1E_S1E_jjS1G_bEUljE0_EEESZ_S10_S11_S18_S1C_S1E_T6_T7_T9_mT8_S1G_bDpT10_ENKUlT_T0_E_clISt17integral_constantIbLb1EES1U_EEDaS1P_S1Q_EUlS1P_E_NS1_11comp_targetILNS1_3genE2ELNS1_11target_archE906ELNS1_3gpuE6ELNS1_3repE0EEENS1_30default_config_static_selectorELNS0_4arch9wavefront6targetE1EEEvS12_.num_vgpr, 0
	.set _ZN7rocprim17ROCPRIM_400000_NS6detail17trampoline_kernelINS0_13select_configILj256ELj13ELNS0_17block_load_methodE3ELS4_3ELS4_3ELNS0_20block_scan_algorithmE0ELj4294967295EEENS1_25partition_config_selectorILNS1_17partition_subalgoE4EjNS0_10empty_typeEbEEZZNS1_14partition_implILS8_4ELb0ES6_15HIP_vector_typeIjLj2EENS0_17counting_iteratorIjlEEPS9_SG_NS0_5tupleIJPjSI_NS0_16reverse_iteratorISI_EEEEENSH_IJSG_SG_SG_EEES9_SI_JZNS1_25segmented_radix_sort_implINS0_14default_configELb0EPKsPsPKlPlN2at6native12_GLOBAL__N_18offset_tEEE10hipError_tPvRmT1_PNSt15iterator_traitsIS12_E10value_typeET2_T3_PNS13_IS18_E10value_typeET4_jRbjT5_S1E_jjP12ihipStream_tbEUljE_ZNSN_ISO_Lb0ESQ_SR_ST_SU_SY_EESZ_S10_S11_S12_S16_S17_S18_S1B_S1C_jS1D_jS1E_S1E_jjS1G_bEUljE0_EEESZ_S10_S11_S18_S1C_S1E_T6_T7_T9_mT8_S1G_bDpT10_ENKUlT_T0_E_clISt17integral_constantIbLb1EES1U_EEDaS1P_S1Q_EUlS1P_E_NS1_11comp_targetILNS1_3genE2ELNS1_11target_archE906ELNS1_3gpuE6ELNS1_3repE0EEENS1_30default_config_static_selectorELNS0_4arch9wavefront6targetE1EEEvS12_.num_agpr, 0
	.set _ZN7rocprim17ROCPRIM_400000_NS6detail17trampoline_kernelINS0_13select_configILj256ELj13ELNS0_17block_load_methodE3ELS4_3ELS4_3ELNS0_20block_scan_algorithmE0ELj4294967295EEENS1_25partition_config_selectorILNS1_17partition_subalgoE4EjNS0_10empty_typeEbEEZZNS1_14partition_implILS8_4ELb0ES6_15HIP_vector_typeIjLj2EENS0_17counting_iteratorIjlEEPS9_SG_NS0_5tupleIJPjSI_NS0_16reverse_iteratorISI_EEEEENSH_IJSG_SG_SG_EEES9_SI_JZNS1_25segmented_radix_sort_implINS0_14default_configELb0EPKsPsPKlPlN2at6native12_GLOBAL__N_18offset_tEEE10hipError_tPvRmT1_PNSt15iterator_traitsIS12_E10value_typeET2_T3_PNS13_IS18_E10value_typeET4_jRbjT5_S1E_jjP12ihipStream_tbEUljE_ZNSN_ISO_Lb0ESQ_SR_ST_SU_SY_EESZ_S10_S11_S12_S16_S17_S18_S1B_S1C_jS1D_jS1E_S1E_jjS1G_bEUljE0_EEESZ_S10_S11_S18_S1C_S1E_T6_T7_T9_mT8_S1G_bDpT10_ENKUlT_T0_E_clISt17integral_constantIbLb1EES1U_EEDaS1P_S1Q_EUlS1P_E_NS1_11comp_targetILNS1_3genE2ELNS1_11target_archE906ELNS1_3gpuE6ELNS1_3repE0EEENS1_30default_config_static_selectorELNS0_4arch9wavefront6targetE1EEEvS12_.numbered_sgpr, 0
	.set _ZN7rocprim17ROCPRIM_400000_NS6detail17trampoline_kernelINS0_13select_configILj256ELj13ELNS0_17block_load_methodE3ELS4_3ELS4_3ELNS0_20block_scan_algorithmE0ELj4294967295EEENS1_25partition_config_selectorILNS1_17partition_subalgoE4EjNS0_10empty_typeEbEEZZNS1_14partition_implILS8_4ELb0ES6_15HIP_vector_typeIjLj2EENS0_17counting_iteratorIjlEEPS9_SG_NS0_5tupleIJPjSI_NS0_16reverse_iteratorISI_EEEEENSH_IJSG_SG_SG_EEES9_SI_JZNS1_25segmented_radix_sort_implINS0_14default_configELb0EPKsPsPKlPlN2at6native12_GLOBAL__N_18offset_tEEE10hipError_tPvRmT1_PNSt15iterator_traitsIS12_E10value_typeET2_T3_PNS13_IS18_E10value_typeET4_jRbjT5_S1E_jjP12ihipStream_tbEUljE_ZNSN_ISO_Lb0ESQ_SR_ST_SU_SY_EESZ_S10_S11_S12_S16_S17_S18_S1B_S1C_jS1D_jS1E_S1E_jjS1G_bEUljE0_EEESZ_S10_S11_S18_S1C_S1E_T6_T7_T9_mT8_S1G_bDpT10_ENKUlT_T0_E_clISt17integral_constantIbLb1EES1U_EEDaS1P_S1Q_EUlS1P_E_NS1_11comp_targetILNS1_3genE2ELNS1_11target_archE906ELNS1_3gpuE6ELNS1_3repE0EEENS1_30default_config_static_selectorELNS0_4arch9wavefront6targetE1EEEvS12_.num_named_barrier, 0
	.set _ZN7rocprim17ROCPRIM_400000_NS6detail17trampoline_kernelINS0_13select_configILj256ELj13ELNS0_17block_load_methodE3ELS4_3ELS4_3ELNS0_20block_scan_algorithmE0ELj4294967295EEENS1_25partition_config_selectorILNS1_17partition_subalgoE4EjNS0_10empty_typeEbEEZZNS1_14partition_implILS8_4ELb0ES6_15HIP_vector_typeIjLj2EENS0_17counting_iteratorIjlEEPS9_SG_NS0_5tupleIJPjSI_NS0_16reverse_iteratorISI_EEEEENSH_IJSG_SG_SG_EEES9_SI_JZNS1_25segmented_radix_sort_implINS0_14default_configELb0EPKsPsPKlPlN2at6native12_GLOBAL__N_18offset_tEEE10hipError_tPvRmT1_PNSt15iterator_traitsIS12_E10value_typeET2_T3_PNS13_IS18_E10value_typeET4_jRbjT5_S1E_jjP12ihipStream_tbEUljE_ZNSN_ISO_Lb0ESQ_SR_ST_SU_SY_EESZ_S10_S11_S12_S16_S17_S18_S1B_S1C_jS1D_jS1E_S1E_jjS1G_bEUljE0_EEESZ_S10_S11_S18_S1C_S1E_T6_T7_T9_mT8_S1G_bDpT10_ENKUlT_T0_E_clISt17integral_constantIbLb1EES1U_EEDaS1P_S1Q_EUlS1P_E_NS1_11comp_targetILNS1_3genE2ELNS1_11target_archE906ELNS1_3gpuE6ELNS1_3repE0EEENS1_30default_config_static_selectorELNS0_4arch9wavefront6targetE1EEEvS12_.private_seg_size, 0
	.set _ZN7rocprim17ROCPRIM_400000_NS6detail17trampoline_kernelINS0_13select_configILj256ELj13ELNS0_17block_load_methodE3ELS4_3ELS4_3ELNS0_20block_scan_algorithmE0ELj4294967295EEENS1_25partition_config_selectorILNS1_17partition_subalgoE4EjNS0_10empty_typeEbEEZZNS1_14partition_implILS8_4ELb0ES6_15HIP_vector_typeIjLj2EENS0_17counting_iteratorIjlEEPS9_SG_NS0_5tupleIJPjSI_NS0_16reverse_iteratorISI_EEEEENSH_IJSG_SG_SG_EEES9_SI_JZNS1_25segmented_radix_sort_implINS0_14default_configELb0EPKsPsPKlPlN2at6native12_GLOBAL__N_18offset_tEEE10hipError_tPvRmT1_PNSt15iterator_traitsIS12_E10value_typeET2_T3_PNS13_IS18_E10value_typeET4_jRbjT5_S1E_jjP12ihipStream_tbEUljE_ZNSN_ISO_Lb0ESQ_SR_ST_SU_SY_EESZ_S10_S11_S12_S16_S17_S18_S1B_S1C_jS1D_jS1E_S1E_jjS1G_bEUljE0_EEESZ_S10_S11_S18_S1C_S1E_T6_T7_T9_mT8_S1G_bDpT10_ENKUlT_T0_E_clISt17integral_constantIbLb1EES1U_EEDaS1P_S1Q_EUlS1P_E_NS1_11comp_targetILNS1_3genE2ELNS1_11target_archE906ELNS1_3gpuE6ELNS1_3repE0EEENS1_30default_config_static_selectorELNS0_4arch9wavefront6targetE1EEEvS12_.uses_vcc, 0
	.set _ZN7rocprim17ROCPRIM_400000_NS6detail17trampoline_kernelINS0_13select_configILj256ELj13ELNS0_17block_load_methodE3ELS4_3ELS4_3ELNS0_20block_scan_algorithmE0ELj4294967295EEENS1_25partition_config_selectorILNS1_17partition_subalgoE4EjNS0_10empty_typeEbEEZZNS1_14partition_implILS8_4ELb0ES6_15HIP_vector_typeIjLj2EENS0_17counting_iteratorIjlEEPS9_SG_NS0_5tupleIJPjSI_NS0_16reverse_iteratorISI_EEEEENSH_IJSG_SG_SG_EEES9_SI_JZNS1_25segmented_radix_sort_implINS0_14default_configELb0EPKsPsPKlPlN2at6native12_GLOBAL__N_18offset_tEEE10hipError_tPvRmT1_PNSt15iterator_traitsIS12_E10value_typeET2_T3_PNS13_IS18_E10value_typeET4_jRbjT5_S1E_jjP12ihipStream_tbEUljE_ZNSN_ISO_Lb0ESQ_SR_ST_SU_SY_EESZ_S10_S11_S12_S16_S17_S18_S1B_S1C_jS1D_jS1E_S1E_jjS1G_bEUljE0_EEESZ_S10_S11_S18_S1C_S1E_T6_T7_T9_mT8_S1G_bDpT10_ENKUlT_T0_E_clISt17integral_constantIbLb1EES1U_EEDaS1P_S1Q_EUlS1P_E_NS1_11comp_targetILNS1_3genE2ELNS1_11target_archE906ELNS1_3gpuE6ELNS1_3repE0EEENS1_30default_config_static_selectorELNS0_4arch9wavefront6targetE1EEEvS12_.uses_flat_scratch, 0
	.set _ZN7rocprim17ROCPRIM_400000_NS6detail17trampoline_kernelINS0_13select_configILj256ELj13ELNS0_17block_load_methodE3ELS4_3ELS4_3ELNS0_20block_scan_algorithmE0ELj4294967295EEENS1_25partition_config_selectorILNS1_17partition_subalgoE4EjNS0_10empty_typeEbEEZZNS1_14partition_implILS8_4ELb0ES6_15HIP_vector_typeIjLj2EENS0_17counting_iteratorIjlEEPS9_SG_NS0_5tupleIJPjSI_NS0_16reverse_iteratorISI_EEEEENSH_IJSG_SG_SG_EEES9_SI_JZNS1_25segmented_radix_sort_implINS0_14default_configELb0EPKsPsPKlPlN2at6native12_GLOBAL__N_18offset_tEEE10hipError_tPvRmT1_PNSt15iterator_traitsIS12_E10value_typeET2_T3_PNS13_IS18_E10value_typeET4_jRbjT5_S1E_jjP12ihipStream_tbEUljE_ZNSN_ISO_Lb0ESQ_SR_ST_SU_SY_EESZ_S10_S11_S12_S16_S17_S18_S1B_S1C_jS1D_jS1E_S1E_jjS1G_bEUljE0_EEESZ_S10_S11_S18_S1C_S1E_T6_T7_T9_mT8_S1G_bDpT10_ENKUlT_T0_E_clISt17integral_constantIbLb1EES1U_EEDaS1P_S1Q_EUlS1P_E_NS1_11comp_targetILNS1_3genE2ELNS1_11target_archE906ELNS1_3gpuE6ELNS1_3repE0EEENS1_30default_config_static_selectorELNS0_4arch9wavefront6targetE1EEEvS12_.has_dyn_sized_stack, 0
	.set _ZN7rocprim17ROCPRIM_400000_NS6detail17trampoline_kernelINS0_13select_configILj256ELj13ELNS0_17block_load_methodE3ELS4_3ELS4_3ELNS0_20block_scan_algorithmE0ELj4294967295EEENS1_25partition_config_selectorILNS1_17partition_subalgoE4EjNS0_10empty_typeEbEEZZNS1_14partition_implILS8_4ELb0ES6_15HIP_vector_typeIjLj2EENS0_17counting_iteratorIjlEEPS9_SG_NS0_5tupleIJPjSI_NS0_16reverse_iteratorISI_EEEEENSH_IJSG_SG_SG_EEES9_SI_JZNS1_25segmented_radix_sort_implINS0_14default_configELb0EPKsPsPKlPlN2at6native12_GLOBAL__N_18offset_tEEE10hipError_tPvRmT1_PNSt15iterator_traitsIS12_E10value_typeET2_T3_PNS13_IS18_E10value_typeET4_jRbjT5_S1E_jjP12ihipStream_tbEUljE_ZNSN_ISO_Lb0ESQ_SR_ST_SU_SY_EESZ_S10_S11_S12_S16_S17_S18_S1B_S1C_jS1D_jS1E_S1E_jjS1G_bEUljE0_EEESZ_S10_S11_S18_S1C_S1E_T6_T7_T9_mT8_S1G_bDpT10_ENKUlT_T0_E_clISt17integral_constantIbLb1EES1U_EEDaS1P_S1Q_EUlS1P_E_NS1_11comp_targetILNS1_3genE2ELNS1_11target_archE906ELNS1_3gpuE6ELNS1_3repE0EEENS1_30default_config_static_selectorELNS0_4arch9wavefront6targetE1EEEvS12_.has_recursion, 0
	.set _ZN7rocprim17ROCPRIM_400000_NS6detail17trampoline_kernelINS0_13select_configILj256ELj13ELNS0_17block_load_methodE3ELS4_3ELS4_3ELNS0_20block_scan_algorithmE0ELj4294967295EEENS1_25partition_config_selectorILNS1_17partition_subalgoE4EjNS0_10empty_typeEbEEZZNS1_14partition_implILS8_4ELb0ES6_15HIP_vector_typeIjLj2EENS0_17counting_iteratorIjlEEPS9_SG_NS0_5tupleIJPjSI_NS0_16reverse_iteratorISI_EEEEENSH_IJSG_SG_SG_EEES9_SI_JZNS1_25segmented_radix_sort_implINS0_14default_configELb0EPKsPsPKlPlN2at6native12_GLOBAL__N_18offset_tEEE10hipError_tPvRmT1_PNSt15iterator_traitsIS12_E10value_typeET2_T3_PNS13_IS18_E10value_typeET4_jRbjT5_S1E_jjP12ihipStream_tbEUljE_ZNSN_ISO_Lb0ESQ_SR_ST_SU_SY_EESZ_S10_S11_S12_S16_S17_S18_S1B_S1C_jS1D_jS1E_S1E_jjS1G_bEUljE0_EEESZ_S10_S11_S18_S1C_S1E_T6_T7_T9_mT8_S1G_bDpT10_ENKUlT_T0_E_clISt17integral_constantIbLb1EES1U_EEDaS1P_S1Q_EUlS1P_E_NS1_11comp_targetILNS1_3genE2ELNS1_11target_archE906ELNS1_3gpuE6ELNS1_3repE0EEENS1_30default_config_static_selectorELNS0_4arch9wavefront6targetE1EEEvS12_.has_indirect_call, 0
	.section	.AMDGPU.csdata,"",@progbits
; Kernel info:
; codeLenInByte = 4
; TotalNumSgprs: 4
; NumVgprs: 0
; ScratchSize: 0
; MemoryBound: 0
; FloatMode: 240
; IeeeMode: 1
; LDSByteSize: 0 bytes/workgroup (compile time only)
; SGPRBlocks: 0
; VGPRBlocks: 0
; NumSGPRsForWavesPerEU: 4
; NumVGPRsForWavesPerEU: 1
; Occupancy: 10
; WaveLimiterHint : 0
; COMPUTE_PGM_RSRC2:SCRATCH_EN: 0
; COMPUTE_PGM_RSRC2:USER_SGPR: 6
; COMPUTE_PGM_RSRC2:TRAP_HANDLER: 0
; COMPUTE_PGM_RSRC2:TGID_X_EN: 1
; COMPUTE_PGM_RSRC2:TGID_Y_EN: 0
; COMPUTE_PGM_RSRC2:TGID_Z_EN: 0
; COMPUTE_PGM_RSRC2:TIDIG_COMP_CNT: 0
	.section	.text._ZN7rocprim17ROCPRIM_400000_NS6detail17trampoline_kernelINS0_13select_configILj256ELj13ELNS0_17block_load_methodE3ELS4_3ELS4_3ELNS0_20block_scan_algorithmE0ELj4294967295EEENS1_25partition_config_selectorILNS1_17partition_subalgoE4EjNS0_10empty_typeEbEEZZNS1_14partition_implILS8_4ELb0ES6_15HIP_vector_typeIjLj2EENS0_17counting_iteratorIjlEEPS9_SG_NS0_5tupleIJPjSI_NS0_16reverse_iteratorISI_EEEEENSH_IJSG_SG_SG_EEES9_SI_JZNS1_25segmented_radix_sort_implINS0_14default_configELb0EPKsPsPKlPlN2at6native12_GLOBAL__N_18offset_tEEE10hipError_tPvRmT1_PNSt15iterator_traitsIS12_E10value_typeET2_T3_PNS13_IS18_E10value_typeET4_jRbjT5_S1E_jjP12ihipStream_tbEUljE_ZNSN_ISO_Lb0ESQ_SR_ST_SU_SY_EESZ_S10_S11_S12_S16_S17_S18_S1B_S1C_jS1D_jS1E_S1E_jjS1G_bEUljE0_EEESZ_S10_S11_S18_S1C_S1E_T6_T7_T9_mT8_S1G_bDpT10_ENKUlT_T0_E_clISt17integral_constantIbLb1EES1U_EEDaS1P_S1Q_EUlS1P_E_NS1_11comp_targetILNS1_3genE10ELNS1_11target_archE1200ELNS1_3gpuE4ELNS1_3repE0EEENS1_30default_config_static_selectorELNS0_4arch9wavefront6targetE1EEEvS12_,"axG",@progbits,_ZN7rocprim17ROCPRIM_400000_NS6detail17trampoline_kernelINS0_13select_configILj256ELj13ELNS0_17block_load_methodE3ELS4_3ELS4_3ELNS0_20block_scan_algorithmE0ELj4294967295EEENS1_25partition_config_selectorILNS1_17partition_subalgoE4EjNS0_10empty_typeEbEEZZNS1_14partition_implILS8_4ELb0ES6_15HIP_vector_typeIjLj2EENS0_17counting_iteratorIjlEEPS9_SG_NS0_5tupleIJPjSI_NS0_16reverse_iteratorISI_EEEEENSH_IJSG_SG_SG_EEES9_SI_JZNS1_25segmented_radix_sort_implINS0_14default_configELb0EPKsPsPKlPlN2at6native12_GLOBAL__N_18offset_tEEE10hipError_tPvRmT1_PNSt15iterator_traitsIS12_E10value_typeET2_T3_PNS13_IS18_E10value_typeET4_jRbjT5_S1E_jjP12ihipStream_tbEUljE_ZNSN_ISO_Lb0ESQ_SR_ST_SU_SY_EESZ_S10_S11_S12_S16_S17_S18_S1B_S1C_jS1D_jS1E_S1E_jjS1G_bEUljE0_EEESZ_S10_S11_S18_S1C_S1E_T6_T7_T9_mT8_S1G_bDpT10_ENKUlT_T0_E_clISt17integral_constantIbLb1EES1U_EEDaS1P_S1Q_EUlS1P_E_NS1_11comp_targetILNS1_3genE10ELNS1_11target_archE1200ELNS1_3gpuE4ELNS1_3repE0EEENS1_30default_config_static_selectorELNS0_4arch9wavefront6targetE1EEEvS12_,comdat
	.globl	_ZN7rocprim17ROCPRIM_400000_NS6detail17trampoline_kernelINS0_13select_configILj256ELj13ELNS0_17block_load_methodE3ELS4_3ELS4_3ELNS0_20block_scan_algorithmE0ELj4294967295EEENS1_25partition_config_selectorILNS1_17partition_subalgoE4EjNS0_10empty_typeEbEEZZNS1_14partition_implILS8_4ELb0ES6_15HIP_vector_typeIjLj2EENS0_17counting_iteratorIjlEEPS9_SG_NS0_5tupleIJPjSI_NS0_16reverse_iteratorISI_EEEEENSH_IJSG_SG_SG_EEES9_SI_JZNS1_25segmented_radix_sort_implINS0_14default_configELb0EPKsPsPKlPlN2at6native12_GLOBAL__N_18offset_tEEE10hipError_tPvRmT1_PNSt15iterator_traitsIS12_E10value_typeET2_T3_PNS13_IS18_E10value_typeET4_jRbjT5_S1E_jjP12ihipStream_tbEUljE_ZNSN_ISO_Lb0ESQ_SR_ST_SU_SY_EESZ_S10_S11_S12_S16_S17_S18_S1B_S1C_jS1D_jS1E_S1E_jjS1G_bEUljE0_EEESZ_S10_S11_S18_S1C_S1E_T6_T7_T9_mT8_S1G_bDpT10_ENKUlT_T0_E_clISt17integral_constantIbLb1EES1U_EEDaS1P_S1Q_EUlS1P_E_NS1_11comp_targetILNS1_3genE10ELNS1_11target_archE1200ELNS1_3gpuE4ELNS1_3repE0EEENS1_30default_config_static_selectorELNS0_4arch9wavefront6targetE1EEEvS12_ ; -- Begin function _ZN7rocprim17ROCPRIM_400000_NS6detail17trampoline_kernelINS0_13select_configILj256ELj13ELNS0_17block_load_methodE3ELS4_3ELS4_3ELNS0_20block_scan_algorithmE0ELj4294967295EEENS1_25partition_config_selectorILNS1_17partition_subalgoE4EjNS0_10empty_typeEbEEZZNS1_14partition_implILS8_4ELb0ES6_15HIP_vector_typeIjLj2EENS0_17counting_iteratorIjlEEPS9_SG_NS0_5tupleIJPjSI_NS0_16reverse_iteratorISI_EEEEENSH_IJSG_SG_SG_EEES9_SI_JZNS1_25segmented_radix_sort_implINS0_14default_configELb0EPKsPsPKlPlN2at6native12_GLOBAL__N_18offset_tEEE10hipError_tPvRmT1_PNSt15iterator_traitsIS12_E10value_typeET2_T3_PNS13_IS18_E10value_typeET4_jRbjT5_S1E_jjP12ihipStream_tbEUljE_ZNSN_ISO_Lb0ESQ_SR_ST_SU_SY_EESZ_S10_S11_S12_S16_S17_S18_S1B_S1C_jS1D_jS1E_S1E_jjS1G_bEUljE0_EEESZ_S10_S11_S18_S1C_S1E_T6_T7_T9_mT8_S1G_bDpT10_ENKUlT_T0_E_clISt17integral_constantIbLb1EES1U_EEDaS1P_S1Q_EUlS1P_E_NS1_11comp_targetILNS1_3genE10ELNS1_11target_archE1200ELNS1_3gpuE4ELNS1_3repE0EEENS1_30default_config_static_selectorELNS0_4arch9wavefront6targetE1EEEvS12_
	.p2align	8
	.type	_ZN7rocprim17ROCPRIM_400000_NS6detail17trampoline_kernelINS0_13select_configILj256ELj13ELNS0_17block_load_methodE3ELS4_3ELS4_3ELNS0_20block_scan_algorithmE0ELj4294967295EEENS1_25partition_config_selectorILNS1_17partition_subalgoE4EjNS0_10empty_typeEbEEZZNS1_14partition_implILS8_4ELb0ES6_15HIP_vector_typeIjLj2EENS0_17counting_iteratorIjlEEPS9_SG_NS0_5tupleIJPjSI_NS0_16reverse_iteratorISI_EEEEENSH_IJSG_SG_SG_EEES9_SI_JZNS1_25segmented_radix_sort_implINS0_14default_configELb0EPKsPsPKlPlN2at6native12_GLOBAL__N_18offset_tEEE10hipError_tPvRmT1_PNSt15iterator_traitsIS12_E10value_typeET2_T3_PNS13_IS18_E10value_typeET4_jRbjT5_S1E_jjP12ihipStream_tbEUljE_ZNSN_ISO_Lb0ESQ_SR_ST_SU_SY_EESZ_S10_S11_S12_S16_S17_S18_S1B_S1C_jS1D_jS1E_S1E_jjS1G_bEUljE0_EEESZ_S10_S11_S18_S1C_S1E_T6_T7_T9_mT8_S1G_bDpT10_ENKUlT_T0_E_clISt17integral_constantIbLb1EES1U_EEDaS1P_S1Q_EUlS1P_E_NS1_11comp_targetILNS1_3genE10ELNS1_11target_archE1200ELNS1_3gpuE4ELNS1_3repE0EEENS1_30default_config_static_selectorELNS0_4arch9wavefront6targetE1EEEvS12_,@function
_ZN7rocprim17ROCPRIM_400000_NS6detail17trampoline_kernelINS0_13select_configILj256ELj13ELNS0_17block_load_methodE3ELS4_3ELS4_3ELNS0_20block_scan_algorithmE0ELj4294967295EEENS1_25partition_config_selectorILNS1_17partition_subalgoE4EjNS0_10empty_typeEbEEZZNS1_14partition_implILS8_4ELb0ES6_15HIP_vector_typeIjLj2EENS0_17counting_iteratorIjlEEPS9_SG_NS0_5tupleIJPjSI_NS0_16reverse_iteratorISI_EEEEENSH_IJSG_SG_SG_EEES9_SI_JZNS1_25segmented_radix_sort_implINS0_14default_configELb0EPKsPsPKlPlN2at6native12_GLOBAL__N_18offset_tEEE10hipError_tPvRmT1_PNSt15iterator_traitsIS12_E10value_typeET2_T3_PNS13_IS18_E10value_typeET4_jRbjT5_S1E_jjP12ihipStream_tbEUljE_ZNSN_ISO_Lb0ESQ_SR_ST_SU_SY_EESZ_S10_S11_S12_S16_S17_S18_S1B_S1C_jS1D_jS1E_S1E_jjS1G_bEUljE0_EEESZ_S10_S11_S18_S1C_S1E_T6_T7_T9_mT8_S1G_bDpT10_ENKUlT_T0_E_clISt17integral_constantIbLb1EES1U_EEDaS1P_S1Q_EUlS1P_E_NS1_11comp_targetILNS1_3genE10ELNS1_11target_archE1200ELNS1_3gpuE4ELNS1_3repE0EEENS1_30default_config_static_selectorELNS0_4arch9wavefront6targetE1EEEvS12_: ; @_ZN7rocprim17ROCPRIM_400000_NS6detail17trampoline_kernelINS0_13select_configILj256ELj13ELNS0_17block_load_methodE3ELS4_3ELS4_3ELNS0_20block_scan_algorithmE0ELj4294967295EEENS1_25partition_config_selectorILNS1_17partition_subalgoE4EjNS0_10empty_typeEbEEZZNS1_14partition_implILS8_4ELb0ES6_15HIP_vector_typeIjLj2EENS0_17counting_iteratorIjlEEPS9_SG_NS0_5tupleIJPjSI_NS0_16reverse_iteratorISI_EEEEENSH_IJSG_SG_SG_EEES9_SI_JZNS1_25segmented_radix_sort_implINS0_14default_configELb0EPKsPsPKlPlN2at6native12_GLOBAL__N_18offset_tEEE10hipError_tPvRmT1_PNSt15iterator_traitsIS12_E10value_typeET2_T3_PNS13_IS18_E10value_typeET4_jRbjT5_S1E_jjP12ihipStream_tbEUljE_ZNSN_ISO_Lb0ESQ_SR_ST_SU_SY_EESZ_S10_S11_S12_S16_S17_S18_S1B_S1C_jS1D_jS1E_S1E_jjS1G_bEUljE0_EEESZ_S10_S11_S18_S1C_S1E_T6_T7_T9_mT8_S1G_bDpT10_ENKUlT_T0_E_clISt17integral_constantIbLb1EES1U_EEDaS1P_S1Q_EUlS1P_E_NS1_11comp_targetILNS1_3genE10ELNS1_11target_archE1200ELNS1_3gpuE4ELNS1_3repE0EEENS1_30default_config_static_selectorELNS0_4arch9wavefront6targetE1EEEvS12_
; %bb.0:
	.section	.rodata,"a",@progbits
	.p2align	6, 0x0
	.amdhsa_kernel _ZN7rocprim17ROCPRIM_400000_NS6detail17trampoline_kernelINS0_13select_configILj256ELj13ELNS0_17block_load_methodE3ELS4_3ELS4_3ELNS0_20block_scan_algorithmE0ELj4294967295EEENS1_25partition_config_selectorILNS1_17partition_subalgoE4EjNS0_10empty_typeEbEEZZNS1_14partition_implILS8_4ELb0ES6_15HIP_vector_typeIjLj2EENS0_17counting_iteratorIjlEEPS9_SG_NS0_5tupleIJPjSI_NS0_16reverse_iteratorISI_EEEEENSH_IJSG_SG_SG_EEES9_SI_JZNS1_25segmented_radix_sort_implINS0_14default_configELb0EPKsPsPKlPlN2at6native12_GLOBAL__N_18offset_tEEE10hipError_tPvRmT1_PNSt15iterator_traitsIS12_E10value_typeET2_T3_PNS13_IS18_E10value_typeET4_jRbjT5_S1E_jjP12ihipStream_tbEUljE_ZNSN_ISO_Lb0ESQ_SR_ST_SU_SY_EESZ_S10_S11_S12_S16_S17_S18_S1B_S1C_jS1D_jS1E_S1E_jjS1G_bEUljE0_EEESZ_S10_S11_S18_S1C_S1E_T6_T7_T9_mT8_S1G_bDpT10_ENKUlT_T0_E_clISt17integral_constantIbLb1EES1U_EEDaS1P_S1Q_EUlS1P_E_NS1_11comp_targetILNS1_3genE10ELNS1_11target_archE1200ELNS1_3gpuE4ELNS1_3repE0EEENS1_30default_config_static_selectorELNS0_4arch9wavefront6targetE1EEEvS12_
		.amdhsa_group_segment_fixed_size 0
		.amdhsa_private_segment_fixed_size 0
		.amdhsa_kernarg_size 184
		.amdhsa_user_sgpr_count 6
		.amdhsa_user_sgpr_private_segment_buffer 1
		.amdhsa_user_sgpr_dispatch_ptr 0
		.amdhsa_user_sgpr_queue_ptr 0
		.amdhsa_user_sgpr_kernarg_segment_ptr 1
		.amdhsa_user_sgpr_dispatch_id 0
		.amdhsa_user_sgpr_flat_scratch_init 0
		.amdhsa_user_sgpr_private_segment_size 0
		.amdhsa_uses_dynamic_stack 0
		.amdhsa_system_sgpr_private_segment_wavefront_offset 0
		.amdhsa_system_sgpr_workgroup_id_x 1
		.amdhsa_system_sgpr_workgroup_id_y 0
		.amdhsa_system_sgpr_workgroup_id_z 0
		.amdhsa_system_sgpr_workgroup_info 0
		.amdhsa_system_vgpr_workitem_id 0
		.amdhsa_next_free_vgpr 1
		.amdhsa_next_free_sgpr 0
		.amdhsa_reserve_vcc 0
		.amdhsa_reserve_flat_scratch 0
		.amdhsa_float_round_mode_32 0
		.amdhsa_float_round_mode_16_64 0
		.amdhsa_float_denorm_mode_32 3
		.amdhsa_float_denorm_mode_16_64 3
		.amdhsa_dx10_clamp 1
		.amdhsa_ieee_mode 1
		.amdhsa_fp16_overflow 0
		.amdhsa_exception_fp_ieee_invalid_op 0
		.amdhsa_exception_fp_denorm_src 0
		.amdhsa_exception_fp_ieee_div_zero 0
		.amdhsa_exception_fp_ieee_overflow 0
		.amdhsa_exception_fp_ieee_underflow 0
		.amdhsa_exception_fp_ieee_inexact 0
		.amdhsa_exception_int_div_zero 0
	.end_amdhsa_kernel
	.section	.text._ZN7rocprim17ROCPRIM_400000_NS6detail17trampoline_kernelINS0_13select_configILj256ELj13ELNS0_17block_load_methodE3ELS4_3ELS4_3ELNS0_20block_scan_algorithmE0ELj4294967295EEENS1_25partition_config_selectorILNS1_17partition_subalgoE4EjNS0_10empty_typeEbEEZZNS1_14partition_implILS8_4ELb0ES6_15HIP_vector_typeIjLj2EENS0_17counting_iteratorIjlEEPS9_SG_NS0_5tupleIJPjSI_NS0_16reverse_iteratorISI_EEEEENSH_IJSG_SG_SG_EEES9_SI_JZNS1_25segmented_radix_sort_implINS0_14default_configELb0EPKsPsPKlPlN2at6native12_GLOBAL__N_18offset_tEEE10hipError_tPvRmT1_PNSt15iterator_traitsIS12_E10value_typeET2_T3_PNS13_IS18_E10value_typeET4_jRbjT5_S1E_jjP12ihipStream_tbEUljE_ZNSN_ISO_Lb0ESQ_SR_ST_SU_SY_EESZ_S10_S11_S12_S16_S17_S18_S1B_S1C_jS1D_jS1E_S1E_jjS1G_bEUljE0_EEESZ_S10_S11_S18_S1C_S1E_T6_T7_T9_mT8_S1G_bDpT10_ENKUlT_T0_E_clISt17integral_constantIbLb1EES1U_EEDaS1P_S1Q_EUlS1P_E_NS1_11comp_targetILNS1_3genE10ELNS1_11target_archE1200ELNS1_3gpuE4ELNS1_3repE0EEENS1_30default_config_static_selectorELNS0_4arch9wavefront6targetE1EEEvS12_,"axG",@progbits,_ZN7rocprim17ROCPRIM_400000_NS6detail17trampoline_kernelINS0_13select_configILj256ELj13ELNS0_17block_load_methodE3ELS4_3ELS4_3ELNS0_20block_scan_algorithmE0ELj4294967295EEENS1_25partition_config_selectorILNS1_17partition_subalgoE4EjNS0_10empty_typeEbEEZZNS1_14partition_implILS8_4ELb0ES6_15HIP_vector_typeIjLj2EENS0_17counting_iteratorIjlEEPS9_SG_NS0_5tupleIJPjSI_NS0_16reverse_iteratorISI_EEEEENSH_IJSG_SG_SG_EEES9_SI_JZNS1_25segmented_radix_sort_implINS0_14default_configELb0EPKsPsPKlPlN2at6native12_GLOBAL__N_18offset_tEEE10hipError_tPvRmT1_PNSt15iterator_traitsIS12_E10value_typeET2_T3_PNS13_IS18_E10value_typeET4_jRbjT5_S1E_jjP12ihipStream_tbEUljE_ZNSN_ISO_Lb0ESQ_SR_ST_SU_SY_EESZ_S10_S11_S12_S16_S17_S18_S1B_S1C_jS1D_jS1E_S1E_jjS1G_bEUljE0_EEESZ_S10_S11_S18_S1C_S1E_T6_T7_T9_mT8_S1G_bDpT10_ENKUlT_T0_E_clISt17integral_constantIbLb1EES1U_EEDaS1P_S1Q_EUlS1P_E_NS1_11comp_targetILNS1_3genE10ELNS1_11target_archE1200ELNS1_3gpuE4ELNS1_3repE0EEENS1_30default_config_static_selectorELNS0_4arch9wavefront6targetE1EEEvS12_,comdat
.Lfunc_end963:
	.size	_ZN7rocprim17ROCPRIM_400000_NS6detail17trampoline_kernelINS0_13select_configILj256ELj13ELNS0_17block_load_methodE3ELS4_3ELS4_3ELNS0_20block_scan_algorithmE0ELj4294967295EEENS1_25partition_config_selectorILNS1_17partition_subalgoE4EjNS0_10empty_typeEbEEZZNS1_14partition_implILS8_4ELb0ES6_15HIP_vector_typeIjLj2EENS0_17counting_iteratorIjlEEPS9_SG_NS0_5tupleIJPjSI_NS0_16reverse_iteratorISI_EEEEENSH_IJSG_SG_SG_EEES9_SI_JZNS1_25segmented_radix_sort_implINS0_14default_configELb0EPKsPsPKlPlN2at6native12_GLOBAL__N_18offset_tEEE10hipError_tPvRmT1_PNSt15iterator_traitsIS12_E10value_typeET2_T3_PNS13_IS18_E10value_typeET4_jRbjT5_S1E_jjP12ihipStream_tbEUljE_ZNSN_ISO_Lb0ESQ_SR_ST_SU_SY_EESZ_S10_S11_S12_S16_S17_S18_S1B_S1C_jS1D_jS1E_S1E_jjS1G_bEUljE0_EEESZ_S10_S11_S18_S1C_S1E_T6_T7_T9_mT8_S1G_bDpT10_ENKUlT_T0_E_clISt17integral_constantIbLb1EES1U_EEDaS1P_S1Q_EUlS1P_E_NS1_11comp_targetILNS1_3genE10ELNS1_11target_archE1200ELNS1_3gpuE4ELNS1_3repE0EEENS1_30default_config_static_selectorELNS0_4arch9wavefront6targetE1EEEvS12_, .Lfunc_end963-_ZN7rocprim17ROCPRIM_400000_NS6detail17trampoline_kernelINS0_13select_configILj256ELj13ELNS0_17block_load_methodE3ELS4_3ELS4_3ELNS0_20block_scan_algorithmE0ELj4294967295EEENS1_25partition_config_selectorILNS1_17partition_subalgoE4EjNS0_10empty_typeEbEEZZNS1_14partition_implILS8_4ELb0ES6_15HIP_vector_typeIjLj2EENS0_17counting_iteratorIjlEEPS9_SG_NS0_5tupleIJPjSI_NS0_16reverse_iteratorISI_EEEEENSH_IJSG_SG_SG_EEES9_SI_JZNS1_25segmented_radix_sort_implINS0_14default_configELb0EPKsPsPKlPlN2at6native12_GLOBAL__N_18offset_tEEE10hipError_tPvRmT1_PNSt15iterator_traitsIS12_E10value_typeET2_T3_PNS13_IS18_E10value_typeET4_jRbjT5_S1E_jjP12ihipStream_tbEUljE_ZNSN_ISO_Lb0ESQ_SR_ST_SU_SY_EESZ_S10_S11_S12_S16_S17_S18_S1B_S1C_jS1D_jS1E_S1E_jjS1G_bEUljE0_EEESZ_S10_S11_S18_S1C_S1E_T6_T7_T9_mT8_S1G_bDpT10_ENKUlT_T0_E_clISt17integral_constantIbLb1EES1U_EEDaS1P_S1Q_EUlS1P_E_NS1_11comp_targetILNS1_3genE10ELNS1_11target_archE1200ELNS1_3gpuE4ELNS1_3repE0EEENS1_30default_config_static_selectorELNS0_4arch9wavefront6targetE1EEEvS12_
                                        ; -- End function
	.set _ZN7rocprim17ROCPRIM_400000_NS6detail17trampoline_kernelINS0_13select_configILj256ELj13ELNS0_17block_load_methodE3ELS4_3ELS4_3ELNS0_20block_scan_algorithmE0ELj4294967295EEENS1_25partition_config_selectorILNS1_17partition_subalgoE4EjNS0_10empty_typeEbEEZZNS1_14partition_implILS8_4ELb0ES6_15HIP_vector_typeIjLj2EENS0_17counting_iteratorIjlEEPS9_SG_NS0_5tupleIJPjSI_NS0_16reverse_iteratorISI_EEEEENSH_IJSG_SG_SG_EEES9_SI_JZNS1_25segmented_radix_sort_implINS0_14default_configELb0EPKsPsPKlPlN2at6native12_GLOBAL__N_18offset_tEEE10hipError_tPvRmT1_PNSt15iterator_traitsIS12_E10value_typeET2_T3_PNS13_IS18_E10value_typeET4_jRbjT5_S1E_jjP12ihipStream_tbEUljE_ZNSN_ISO_Lb0ESQ_SR_ST_SU_SY_EESZ_S10_S11_S12_S16_S17_S18_S1B_S1C_jS1D_jS1E_S1E_jjS1G_bEUljE0_EEESZ_S10_S11_S18_S1C_S1E_T6_T7_T9_mT8_S1G_bDpT10_ENKUlT_T0_E_clISt17integral_constantIbLb1EES1U_EEDaS1P_S1Q_EUlS1P_E_NS1_11comp_targetILNS1_3genE10ELNS1_11target_archE1200ELNS1_3gpuE4ELNS1_3repE0EEENS1_30default_config_static_selectorELNS0_4arch9wavefront6targetE1EEEvS12_.num_vgpr, 0
	.set _ZN7rocprim17ROCPRIM_400000_NS6detail17trampoline_kernelINS0_13select_configILj256ELj13ELNS0_17block_load_methodE3ELS4_3ELS4_3ELNS0_20block_scan_algorithmE0ELj4294967295EEENS1_25partition_config_selectorILNS1_17partition_subalgoE4EjNS0_10empty_typeEbEEZZNS1_14partition_implILS8_4ELb0ES6_15HIP_vector_typeIjLj2EENS0_17counting_iteratorIjlEEPS9_SG_NS0_5tupleIJPjSI_NS0_16reverse_iteratorISI_EEEEENSH_IJSG_SG_SG_EEES9_SI_JZNS1_25segmented_radix_sort_implINS0_14default_configELb0EPKsPsPKlPlN2at6native12_GLOBAL__N_18offset_tEEE10hipError_tPvRmT1_PNSt15iterator_traitsIS12_E10value_typeET2_T3_PNS13_IS18_E10value_typeET4_jRbjT5_S1E_jjP12ihipStream_tbEUljE_ZNSN_ISO_Lb0ESQ_SR_ST_SU_SY_EESZ_S10_S11_S12_S16_S17_S18_S1B_S1C_jS1D_jS1E_S1E_jjS1G_bEUljE0_EEESZ_S10_S11_S18_S1C_S1E_T6_T7_T9_mT8_S1G_bDpT10_ENKUlT_T0_E_clISt17integral_constantIbLb1EES1U_EEDaS1P_S1Q_EUlS1P_E_NS1_11comp_targetILNS1_3genE10ELNS1_11target_archE1200ELNS1_3gpuE4ELNS1_3repE0EEENS1_30default_config_static_selectorELNS0_4arch9wavefront6targetE1EEEvS12_.num_agpr, 0
	.set _ZN7rocprim17ROCPRIM_400000_NS6detail17trampoline_kernelINS0_13select_configILj256ELj13ELNS0_17block_load_methodE3ELS4_3ELS4_3ELNS0_20block_scan_algorithmE0ELj4294967295EEENS1_25partition_config_selectorILNS1_17partition_subalgoE4EjNS0_10empty_typeEbEEZZNS1_14partition_implILS8_4ELb0ES6_15HIP_vector_typeIjLj2EENS0_17counting_iteratorIjlEEPS9_SG_NS0_5tupleIJPjSI_NS0_16reverse_iteratorISI_EEEEENSH_IJSG_SG_SG_EEES9_SI_JZNS1_25segmented_radix_sort_implINS0_14default_configELb0EPKsPsPKlPlN2at6native12_GLOBAL__N_18offset_tEEE10hipError_tPvRmT1_PNSt15iterator_traitsIS12_E10value_typeET2_T3_PNS13_IS18_E10value_typeET4_jRbjT5_S1E_jjP12ihipStream_tbEUljE_ZNSN_ISO_Lb0ESQ_SR_ST_SU_SY_EESZ_S10_S11_S12_S16_S17_S18_S1B_S1C_jS1D_jS1E_S1E_jjS1G_bEUljE0_EEESZ_S10_S11_S18_S1C_S1E_T6_T7_T9_mT8_S1G_bDpT10_ENKUlT_T0_E_clISt17integral_constantIbLb1EES1U_EEDaS1P_S1Q_EUlS1P_E_NS1_11comp_targetILNS1_3genE10ELNS1_11target_archE1200ELNS1_3gpuE4ELNS1_3repE0EEENS1_30default_config_static_selectorELNS0_4arch9wavefront6targetE1EEEvS12_.numbered_sgpr, 0
	.set _ZN7rocprim17ROCPRIM_400000_NS6detail17trampoline_kernelINS0_13select_configILj256ELj13ELNS0_17block_load_methodE3ELS4_3ELS4_3ELNS0_20block_scan_algorithmE0ELj4294967295EEENS1_25partition_config_selectorILNS1_17partition_subalgoE4EjNS0_10empty_typeEbEEZZNS1_14partition_implILS8_4ELb0ES6_15HIP_vector_typeIjLj2EENS0_17counting_iteratorIjlEEPS9_SG_NS0_5tupleIJPjSI_NS0_16reverse_iteratorISI_EEEEENSH_IJSG_SG_SG_EEES9_SI_JZNS1_25segmented_radix_sort_implINS0_14default_configELb0EPKsPsPKlPlN2at6native12_GLOBAL__N_18offset_tEEE10hipError_tPvRmT1_PNSt15iterator_traitsIS12_E10value_typeET2_T3_PNS13_IS18_E10value_typeET4_jRbjT5_S1E_jjP12ihipStream_tbEUljE_ZNSN_ISO_Lb0ESQ_SR_ST_SU_SY_EESZ_S10_S11_S12_S16_S17_S18_S1B_S1C_jS1D_jS1E_S1E_jjS1G_bEUljE0_EEESZ_S10_S11_S18_S1C_S1E_T6_T7_T9_mT8_S1G_bDpT10_ENKUlT_T0_E_clISt17integral_constantIbLb1EES1U_EEDaS1P_S1Q_EUlS1P_E_NS1_11comp_targetILNS1_3genE10ELNS1_11target_archE1200ELNS1_3gpuE4ELNS1_3repE0EEENS1_30default_config_static_selectorELNS0_4arch9wavefront6targetE1EEEvS12_.num_named_barrier, 0
	.set _ZN7rocprim17ROCPRIM_400000_NS6detail17trampoline_kernelINS0_13select_configILj256ELj13ELNS0_17block_load_methodE3ELS4_3ELS4_3ELNS0_20block_scan_algorithmE0ELj4294967295EEENS1_25partition_config_selectorILNS1_17partition_subalgoE4EjNS0_10empty_typeEbEEZZNS1_14partition_implILS8_4ELb0ES6_15HIP_vector_typeIjLj2EENS0_17counting_iteratorIjlEEPS9_SG_NS0_5tupleIJPjSI_NS0_16reverse_iteratorISI_EEEEENSH_IJSG_SG_SG_EEES9_SI_JZNS1_25segmented_radix_sort_implINS0_14default_configELb0EPKsPsPKlPlN2at6native12_GLOBAL__N_18offset_tEEE10hipError_tPvRmT1_PNSt15iterator_traitsIS12_E10value_typeET2_T3_PNS13_IS18_E10value_typeET4_jRbjT5_S1E_jjP12ihipStream_tbEUljE_ZNSN_ISO_Lb0ESQ_SR_ST_SU_SY_EESZ_S10_S11_S12_S16_S17_S18_S1B_S1C_jS1D_jS1E_S1E_jjS1G_bEUljE0_EEESZ_S10_S11_S18_S1C_S1E_T6_T7_T9_mT8_S1G_bDpT10_ENKUlT_T0_E_clISt17integral_constantIbLb1EES1U_EEDaS1P_S1Q_EUlS1P_E_NS1_11comp_targetILNS1_3genE10ELNS1_11target_archE1200ELNS1_3gpuE4ELNS1_3repE0EEENS1_30default_config_static_selectorELNS0_4arch9wavefront6targetE1EEEvS12_.private_seg_size, 0
	.set _ZN7rocprim17ROCPRIM_400000_NS6detail17trampoline_kernelINS0_13select_configILj256ELj13ELNS0_17block_load_methodE3ELS4_3ELS4_3ELNS0_20block_scan_algorithmE0ELj4294967295EEENS1_25partition_config_selectorILNS1_17partition_subalgoE4EjNS0_10empty_typeEbEEZZNS1_14partition_implILS8_4ELb0ES6_15HIP_vector_typeIjLj2EENS0_17counting_iteratorIjlEEPS9_SG_NS0_5tupleIJPjSI_NS0_16reverse_iteratorISI_EEEEENSH_IJSG_SG_SG_EEES9_SI_JZNS1_25segmented_radix_sort_implINS0_14default_configELb0EPKsPsPKlPlN2at6native12_GLOBAL__N_18offset_tEEE10hipError_tPvRmT1_PNSt15iterator_traitsIS12_E10value_typeET2_T3_PNS13_IS18_E10value_typeET4_jRbjT5_S1E_jjP12ihipStream_tbEUljE_ZNSN_ISO_Lb0ESQ_SR_ST_SU_SY_EESZ_S10_S11_S12_S16_S17_S18_S1B_S1C_jS1D_jS1E_S1E_jjS1G_bEUljE0_EEESZ_S10_S11_S18_S1C_S1E_T6_T7_T9_mT8_S1G_bDpT10_ENKUlT_T0_E_clISt17integral_constantIbLb1EES1U_EEDaS1P_S1Q_EUlS1P_E_NS1_11comp_targetILNS1_3genE10ELNS1_11target_archE1200ELNS1_3gpuE4ELNS1_3repE0EEENS1_30default_config_static_selectorELNS0_4arch9wavefront6targetE1EEEvS12_.uses_vcc, 0
	.set _ZN7rocprim17ROCPRIM_400000_NS6detail17trampoline_kernelINS0_13select_configILj256ELj13ELNS0_17block_load_methodE3ELS4_3ELS4_3ELNS0_20block_scan_algorithmE0ELj4294967295EEENS1_25partition_config_selectorILNS1_17partition_subalgoE4EjNS0_10empty_typeEbEEZZNS1_14partition_implILS8_4ELb0ES6_15HIP_vector_typeIjLj2EENS0_17counting_iteratorIjlEEPS9_SG_NS0_5tupleIJPjSI_NS0_16reverse_iteratorISI_EEEEENSH_IJSG_SG_SG_EEES9_SI_JZNS1_25segmented_radix_sort_implINS0_14default_configELb0EPKsPsPKlPlN2at6native12_GLOBAL__N_18offset_tEEE10hipError_tPvRmT1_PNSt15iterator_traitsIS12_E10value_typeET2_T3_PNS13_IS18_E10value_typeET4_jRbjT5_S1E_jjP12ihipStream_tbEUljE_ZNSN_ISO_Lb0ESQ_SR_ST_SU_SY_EESZ_S10_S11_S12_S16_S17_S18_S1B_S1C_jS1D_jS1E_S1E_jjS1G_bEUljE0_EEESZ_S10_S11_S18_S1C_S1E_T6_T7_T9_mT8_S1G_bDpT10_ENKUlT_T0_E_clISt17integral_constantIbLb1EES1U_EEDaS1P_S1Q_EUlS1P_E_NS1_11comp_targetILNS1_3genE10ELNS1_11target_archE1200ELNS1_3gpuE4ELNS1_3repE0EEENS1_30default_config_static_selectorELNS0_4arch9wavefront6targetE1EEEvS12_.uses_flat_scratch, 0
	.set _ZN7rocprim17ROCPRIM_400000_NS6detail17trampoline_kernelINS0_13select_configILj256ELj13ELNS0_17block_load_methodE3ELS4_3ELS4_3ELNS0_20block_scan_algorithmE0ELj4294967295EEENS1_25partition_config_selectorILNS1_17partition_subalgoE4EjNS0_10empty_typeEbEEZZNS1_14partition_implILS8_4ELb0ES6_15HIP_vector_typeIjLj2EENS0_17counting_iteratorIjlEEPS9_SG_NS0_5tupleIJPjSI_NS0_16reverse_iteratorISI_EEEEENSH_IJSG_SG_SG_EEES9_SI_JZNS1_25segmented_radix_sort_implINS0_14default_configELb0EPKsPsPKlPlN2at6native12_GLOBAL__N_18offset_tEEE10hipError_tPvRmT1_PNSt15iterator_traitsIS12_E10value_typeET2_T3_PNS13_IS18_E10value_typeET4_jRbjT5_S1E_jjP12ihipStream_tbEUljE_ZNSN_ISO_Lb0ESQ_SR_ST_SU_SY_EESZ_S10_S11_S12_S16_S17_S18_S1B_S1C_jS1D_jS1E_S1E_jjS1G_bEUljE0_EEESZ_S10_S11_S18_S1C_S1E_T6_T7_T9_mT8_S1G_bDpT10_ENKUlT_T0_E_clISt17integral_constantIbLb1EES1U_EEDaS1P_S1Q_EUlS1P_E_NS1_11comp_targetILNS1_3genE10ELNS1_11target_archE1200ELNS1_3gpuE4ELNS1_3repE0EEENS1_30default_config_static_selectorELNS0_4arch9wavefront6targetE1EEEvS12_.has_dyn_sized_stack, 0
	.set _ZN7rocprim17ROCPRIM_400000_NS6detail17trampoline_kernelINS0_13select_configILj256ELj13ELNS0_17block_load_methodE3ELS4_3ELS4_3ELNS0_20block_scan_algorithmE0ELj4294967295EEENS1_25partition_config_selectorILNS1_17partition_subalgoE4EjNS0_10empty_typeEbEEZZNS1_14partition_implILS8_4ELb0ES6_15HIP_vector_typeIjLj2EENS0_17counting_iteratorIjlEEPS9_SG_NS0_5tupleIJPjSI_NS0_16reverse_iteratorISI_EEEEENSH_IJSG_SG_SG_EEES9_SI_JZNS1_25segmented_radix_sort_implINS0_14default_configELb0EPKsPsPKlPlN2at6native12_GLOBAL__N_18offset_tEEE10hipError_tPvRmT1_PNSt15iterator_traitsIS12_E10value_typeET2_T3_PNS13_IS18_E10value_typeET4_jRbjT5_S1E_jjP12ihipStream_tbEUljE_ZNSN_ISO_Lb0ESQ_SR_ST_SU_SY_EESZ_S10_S11_S12_S16_S17_S18_S1B_S1C_jS1D_jS1E_S1E_jjS1G_bEUljE0_EEESZ_S10_S11_S18_S1C_S1E_T6_T7_T9_mT8_S1G_bDpT10_ENKUlT_T0_E_clISt17integral_constantIbLb1EES1U_EEDaS1P_S1Q_EUlS1P_E_NS1_11comp_targetILNS1_3genE10ELNS1_11target_archE1200ELNS1_3gpuE4ELNS1_3repE0EEENS1_30default_config_static_selectorELNS0_4arch9wavefront6targetE1EEEvS12_.has_recursion, 0
	.set _ZN7rocprim17ROCPRIM_400000_NS6detail17trampoline_kernelINS0_13select_configILj256ELj13ELNS0_17block_load_methodE3ELS4_3ELS4_3ELNS0_20block_scan_algorithmE0ELj4294967295EEENS1_25partition_config_selectorILNS1_17partition_subalgoE4EjNS0_10empty_typeEbEEZZNS1_14partition_implILS8_4ELb0ES6_15HIP_vector_typeIjLj2EENS0_17counting_iteratorIjlEEPS9_SG_NS0_5tupleIJPjSI_NS0_16reverse_iteratorISI_EEEEENSH_IJSG_SG_SG_EEES9_SI_JZNS1_25segmented_radix_sort_implINS0_14default_configELb0EPKsPsPKlPlN2at6native12_GLOBAL__N_18offset_tEEE10hipError_tPvRmT1_PNSt15iterator_traitsIS12_E10value_typeET2_T3_PNS13_IS18_E10value_typeET4_jRbjT5_S1E_jjP12ihipStream_tbEUljE_ZNSN_ISO_Lb0ESQ_SR_ST_SU_SY_EESZ_S10_S11_S12_S16_S17_S18_S1B_S1C_jS1D_jS1E_S1E_jjS1G_bEUljE0_EEESZ_S10_S11_S18_S1C_S1E_T6_T7_T9_mT8_S1G_bDpT10_ENKUlT_T0_E_clISt17integral_constantIbLb1EES1U_EEDaS1P_S1Q_EUlS1P_E_NS1_11comp_targetILNS1_3genE10ELNS1_11target_archE1200ELNS1_3gpuE4ELNS1_3repE0EEENS1_30default_config_static_selectorELNS0_4arch9wavefront6targetE1EEEvS12_.has_indirect_call, 0
	.section	.AMDGPU.csdata,"",@progbits
; Kernel info:
; codeLenInByte = 0
; TotalNumSgprs: 4
; NumVgprs: 0
; ScratchSize: 0
; MemoryBound: 0
; FloatMode: 240
; IeeeMode: 1
; LDSByteSize: 0 bytes/workgroup (compile time only)
; SGPRBlocks: 0
; VGPRBlocks: 0
; NumSGPRsForWavesPerEU: 4
; NumVGPRsForWavesPerEU: 1
; Occupancy: 10
; WaveLimiterHint : 0
; COMPUTE_PGM_RSRC2:SCRATCH_EN: 0
; COMPUTE_PGM_RSRC2:USER_SGPR: 6
; COMPUTE_PGM_RSRC2:TRAP_HANDLER: 0
; COMPUTE_PGM_RSRC2:TGID_X_EN: 1
; COMPUTE_PGM_RSRC2:TGID_Y_EN: 0
; COMPUTE_PGM_RSRC2:TGID_Z_EN: 0
; COMPUTE_PGM_RSRC2:TIDIG_COMP_CNT: 0
	.section	.text._ZN7rocprim17ROCPRIM_400000_NS6detail17trampoline_kernelINS0_13select_configILj256ELj13ELNS0_17block_load_methodE3ELS4_3ELS4_3ELNS0_20block_scan_algorithmE0ELj4294967295EEENS1_25partition_config_selectorILNS1_17partition_subalgoE4EjNS0_10empty_typeEbEEZZNS1_14partition_implILS8_4ELb0ES6_15HIP_vector_typeIjLj2EENS0_17counting_iteratorIjlEEPS9_SG_NS0_5tupleIJPjSI_NS0_16reverse_iteratorISI_EEEEENSH_IJSG_SG_SG_EEES9_SI_JZNS1_25segmented_radix_sort_implINS0_14default_configELb0EPKsPsPKlPlN2at6native12_GLOBAL__N_18offset_tEEE10hipError_tPvRmT1_PNSt15iterator_traitsIS12_E10value_typeET2_T3_PNS13_IS18_E10value_typeET4_jRbjT5_S1E_jjP12ihipStream_tbEUljE_ZNSN_ISO_Lb0ESQ_SR_ST_SU_SY_EESZ_S10_S11_S12_S16_S17_S18_S1B_S1C_jS1D_jS1E_S1E_jjS1G_bEUljE0_EEESZ_S10_S11_S18_S1C_S1E_T6_T7_T9_mT8_S1G_bDpT10_ENKUlT_T0_E_clISt17integral_constantIbLb1EES1U_EEDaS1P_S1Q_EUlS1P_E_NS1_11comp_targetILNS1_3genE9ELNS1_11target_archE1100ELNS1_3gpuE3ELNS1_3repE0EEENS1_30default_config_static_selectorELNS0_4arch9wavefront6targetE1EEEvS12_,"axG",@progbits,_ZN7rocprim17ROCPRIM_400000_NS6detail17trampoline_kernelINS0_13select_configILj256ELj13ELNS0_17block_load_methodE3ELS4_3ELS4_3ELNS0_20block_scan_algorithmE0ELj4294967295EEENS1_25partition_config_selectorILNS1_17partition_subalgoE4EjNS0_10empty_typeEbEEZZNS1_14partition_implILS8_4ELb0ES6_15HIP_vector_typeIjLj2EENS0_17counting_iteratorIjlEEPS9_SG_NS0_5tupleIJPjSI_NS0_16reverse_iteratorISI_EEEEENSH_IJSG_SG_SG_EEES9_SI_JZNS1_25segmented_radix_sort_implINS0_14default_configELb0EPKsPsPKlPlN2at6native12_GLOBAL__N_18offset_tEEE10hipError_tPvRmT1_PNSt15iterator_traitsIS12_E10value_typeET2_T3_PNS13_IS18_E10value_typeET4_jRbjT5_S1E_jjP12ihipStream_tbEUljE_ZNSN_ISO_Lb0ESQ_SR_ST_SU_SY_EESZ_S10_S11_S12_S16_S17_S18_S1B_S1C_jS1D_jS1E_S1E_jjS1G_bEUljE0_EEESZ_S10_S11_S18_S1C_S1E_T6_T7_T9_mT8_S1G_bDpT10_ENKUlT_T0_E_clISt17integral_constantIbLb1EES1U_EEDaS1P_S1Q_EUlS1P_E_NS1_11comp_targetILNS1_3genE9ELNS1_11target_archE1100ELNS1_3gpuE3ELNS1_3repE0EEENS1_30default_config_static_selectorELNS0_4arch9wavefront6targetE1EEEvS12_,comdat
	.globl	_ZN7rocprim17ROCPRIM_400000_NS6detail17trampoline_kernelINS0_13select_configILj256ELj13ELNS0_17block_load_methodE3ELS4_3ELS4_3ELNS0_20block_scan_algorithmE0ELj4294967295EEENS1_25partition_config_selectorILNS1_17partition_subalgoE4EjNS0_10empty_typeEbEEZZNS1_14partition_implILS8_4ELb0ES6_15HIP_vector_typeIjLj2EENS0_17counting_iteratorIjlEEPS9_SG_NS0_5tupleIJPjSI_NS0_16reverse_iteratorISI_EEEEENSH_IJSG_SG_SG_EEES9_SI_JZNS1_25segmented_radix_sort_implINS0_14default_configELb0EPKsPsPKlPlN2at6native12_GLOBAL__N_18offset_tEEE10hipError_tPvRmT1_PNSt15iterator_traitsIS12_E10value_typeET2_T3_PNS13_IS18_E10value_typeET4_jRbjT5_S1E_jjP12ihipStream_tbEUljE_ZNSN_ISO_Lb0ESQ_SR_ST_SU_SY_EESZ_S10_S11_S12_S16_S17_S18_S1B_S1C_jS1D_jS1E_S1E_jjS1G_bEUljE0_EEESZ_S10_S11_S18_S1C_S1E_T6_T7_T9_mT8_S1G_bDpT10_ENKUlT_T0_E_clISt17integral_constantIbLb1EES1U_EEDaS1P_S1Q_EUlS1P_E_NS1_11comp_targetILNS1_3genE9ELNS1_11target_archE1100ELNS1_3gpuE3ELNS1_3repE0EEENS1_30default_config_static_selectorELNS0_4arch9wavefront6targetE1EEEvS12_ ; -- Begin function _ZN7rocprim17ROCPRIM_400000_NS6detail17trampoline_kernelINS0_13select_configILj256ELj13ELNS0_17block_load_methodE3ELS4_3ELS4_3ELNS0_20block_scan_algorithmE0ELj4294967295EEENS1_25partition_config_selectorILNS1_17partition_subalgoE4EjNS0_10empty_typeEbEEZZNS1_14partition_implILS8_4ELb0ES6_15HIP_vector_typeIjLj2EENS0_17counting_iteratorIjlEEPS9_SG_NS0_5tupleIJPjSI_NS0_16reverse_iteratorISI_EEEEENSH_IJSG_SG_SG_EEES9_SI_JZNS1_25segmented_radix_sort_implINS0_14default_configELb0EPKsPsPKlPlN2at6native12_GLOBAL__N_18offset_tEEE10hipError_tPvRmT1_PNSt15iterator_traitsIS12_E10value_typeET2_T3_PNS13_IS18_E10value_typeET4_jRbjT5_S1E_jjP12ihipStream_tbEUljE_ZNSN_ISO_Lb0ESQ_SR_ST_SU_SY_EESZ_S10_S11_S12_S16_S17_S18_S1B_S1C_jS1D_jS1E_S1E_jjS1G_bEUljE0_EEESZ_S10_S11_S18_S1C_S1E_T6_T7_T9_mT8_S1G_bDpT10_ENKUlT_T0_E_clISt17integral_constantIbLb1EES1U_EEDaS1P_S1Q_EUlS1P_E_NS1_11comp_targetILNS1_3genE9ELNS1_11target_archE1100ELNS1_3gpuE3ELNS1_3repE0EEENS1_30default_config_static_selectorELNS0_4arch9wavefront6targetE1EEEvS12_
	.p2align	8
	.type	_ZN7rocprim17ROCPRIM_400000_NS6detail17trampoline_kernelINS0_13select_configILj256ELj13ELNS0_17block_load_methodE3ELS4_3ELS4_3ELNS0_20block_scan_algorithmE0ELj4294967295EEENS1_25partition_config_selectorILNS1_17partition_subalgoE4EjNS0_10empty_typeEbEEZZNS1_14partition_implILS8_4ELb0ES6_15HIP_vector_typeIjLj2EENS0_17counting_iteratorIjlEEPS9_SG_NS0_5tupleIJPjSI_NS0_16reverse_iteratorISI_EEEEENSH_IJSG_SG_SG_EEES9_SI_JZNS1_25segmented_radix_sort_implINS0_14default_configELb0EPKsPsPKlPlN2at6native12_GLOBAL__N_18offset_tEEE10hipError_tPvRmT1_PNSt15iterator_traitsIS12_E10value_typeET2_T3_PNS13_IS18_E10value_typeET4_jRbjT5_S1E_jjP12ihipStream_tbEUljE_ZNSN_ISO_Lb0ESQ_SR_ST_SU_SY_EESZ_S10_S11_S12_S16_S17_S18_S1B_S1C_jS1D_jS1E_S1E_jjS1G_bEUljE0_EEESZ_S10_S11_S18_S1C_S1E_T6_T7_T9_mT8_S1G_bDpT10_ENKUlT_T0_E_clISt17integral_constantIbLb1EES1U_EEDaS1P_S1Q_EUlS1P_E_NS1_11comp_targetILNS1_3genE9ELNS1_11target_archE1100ELNS1_3gpuE3ELNS1_3repE0EEENS1_30default_config_static_selectorELNS0_4arch9wavefront6targetE1EEEvS12_,@function
_ZN7rocprim17ROCPRIM_400000_NS6detail17trampoline_kernelINS0_13select_configILj256ELj13ELNS0_17block_load_methodE3ELS4_3ELS4_3ELNS0_20block_scan_algorithmE0ELj4294967295EEENS1_25partition_config_selectorILNS1_17partition_subalgoE4EjNS0_10empty_typeEbEEZZNS1_14partition_implILS8_4ELb0ES6_15HIP_vector_typeIjLj2EENS0_17counting_iteratorIjlEEPS9_SG_NS0_5tupleIJPjSI_NS0_16reverse_iteratorISI_EEEEENSH_IJSG_SG_SG_EEES9_SI_JZNS1_25segmented_radix_sort_implINS0_14default_configELb0EPKsPsPKlPlN2at6native12_GLOBAL__N_18offset_tEEE10hipError_tPvRmT1_PNSt15iterator_traitsIS12_E10value_typeET2_T3_PNS13_IS18_E10value_typeET4_jRbjT5_S1E_jjP12ihipStream_tbEUljE_ZNSN_ISO_Lb0ESQ_SR_ST_SU_SY_EESZ_S10_S11_S12_S16_S17_S18_S1B_S1C_jS1D_jS1E_S1E_jjS1G_bEUljE0_EEESZ_S10_S11_S18_S1C_S1E_T6_T7_T9_mT8_S1G_bDpT10_ENKUlT_T0_E_clISt17integral_constantIbLb1EES1U_EEDaS1P_S1Q_EUlS1P_E_NS1_11comp_targetILNS1_3genE9ELNS1_11target_archE1100ELNS1_3gpuE3ELNS1_3repE0EEENS1_30default_config_static_selectorELNS0_4arch9wavefront6targetE1EEEvS12_: ; @_ZN7rocprim17ROCPRIM_400000_NS6detail17trampoline_kernelINS0_13select_configILj256ELj13ELNS0_17block_load_methodE3ELS4_3ELS4_3ELNS0_20block_scan_algorithmE0ELj4294967295EEENS1_25partition_config_selectorILNS1_17partition_subalgoE4EjNS0_10empty_typeEbEEZZNS1_14partition_implILS8_4ELb0ES6_15HIP_vector_typeIjLj2EENS0_17counting_iteratorIjlEEPS9_SG_NS0_5tupleIJPjSI_NS0_16reverse_iteratorISI_EEEEENSH_IJSG_SG_SG_EEES9_SI_JZNS1_25segmented_radix_sort_implINS0_14default_configELb0EPKsPsPKlPlN2at6native12_GLOBAL__N_18offset_tEEE10hipError_tPvRmT1_PNSt15iterator_traitsIS12_E10value_typeET2_T3_PNS13_IS18_E10value_typeET4_jRbjT5_S1E_jjP12ihipStream_tbEUljE_ZNSN_ISO_Lb0ESQ_SR_ST_SU_SY_EESZ_S10_S11_S12_S16_S17_S18_S1B_S1C_jS1D_jS1E_S1E_jjS1G_bEUljE0_EEESZ_S10_S11_S18_S1C_S1E_T6_T7_T9_mT8_S1G_bDpT10_ENKUlT_T0_E_clISt17integral_constantIbLb1EES1U_EEDaS1P_S1Q_EUlS1P_E_NS1_11comp_targetILNS1_3genE9ELNS1_11target_archE1100ELNS1_3gpuE3ELNS1_3repE0EEENS1_30default_config_static_selectorELNS0_4arch9wavefront6targetE1EEEvS12_
; %bb.0:
	.section	.rodata,"a",@progbits
	.p2align	6, 0x0
	.amdhsa_kernel _ZN7rocprim17ROCPRIM_400000_NS6detail17trampoline_kernelINS0_13select_configILj256ELj13ELNS0_17block_load_methodE3ELS4_3ELS4_3ELNS0_20block_scan_algorithmE0ELj4294967295EEENS1_25partition_config_selectorILNS1_17partition_subalgoE4EjNS0_10empty_typeEbEEZZNS1_14partition_implILS8_4ELb0ES6_15HIP_vector_typeIjLj2EENS0_17counting_iteratorIjlEEPS9_SG_NS0_5tupleIJPjSI_NS0_16reverse_iteratorISI_EEEEENSH_IJSG_SG_SG_EEES9_SI_JZNS1_25segmented_radix_sort_implINS0_14default_configELb0EPKsPsPKlPlN2at6native12_GLOBAL__N_18offset_tEEE10hipError_tPvRmT1_PNSt15iterator_traitsIS12_E10value_typeET2_T3_PNS13_IS18_E10value_typeET4_jRbjT5_S1E_jjP12ihipStream_tbEUljE_ZNSN_ISO_Lb0ESQ_SR_ST_SU_SY_EESZ_S10_S11_S12_S16_S17_S18_S1B_S1C_jS1D_jS1E_S1E_jjS1G_bEUljE0_EEESZ_S10_S11_S18_S1C_S1E_T6_T7_T9_mT8_S1G_bDpT10_ENKUlT_T0_E_clISt17integral_constantIbLb1EES1U_EEDaS1P_S1Q_EUlS1P_E_NS1_11comp_targetILNS1_3genE9ELNS1_11target_archE1100ELNS1_3gpuE3ELNS1_3repE0EEENS1_30default_config_static_selectorELNS0_4arch9wavefront6targetE1EEEvS12_
		.amdhsa_group_segment_fixed_size 0
		.amdhsa_private_segment_fixed_size 0
		.amdhsa_kernarg_size 184
		.amdhsa_user_sgpr_count 6
		.amdhsa_user_sgpr_private_segment_buffer 1
		.amdhsa_user_sgpr_dispatch_ptr 0
		.amdhsa_user_sgpr_queue_ptr 0
		.amdhsa_user_sgpr_kernarg_segment_ptr 1
		.amdhsa_user_sgpr_dispatch_id 0
		.amdhsa_user_sgpr_flat_scratch_init 0
		.amdhsa_user_sgpr_private_segment_size 0
		.amdhsa_uses_dynamic_stack 0
		.amdhsa_system_sgpr_private_segment_wavefront_offset 0
		.amdhsa_system_sgpr_workgroup_id_x 1
		.amdhsa_system_sgpr_workgroup_id_y 0
		.amdhsa_system_sgpr_workgroup_id_z 0
		.amdhsa_system_sgpr_workgroup_info 0
		.amdhsa_system_vgpr_workitem_id 0
		.amdhsa_next_free_vgpr 1
		.amdhsa_next_free_sgpr 0
		.amdhsa_reserve_vcc 0
		.amdhsa_reserve_flat_scratch 0
		.amdhsa_float_round_mode_32 0
		.amdhsa_float_round_mode_16_64 0
		.amdhsa_float_denorm_mode_32 3
		.amdhsa_float_denorm_mode_16_64 3
		.amdhsa_dx10_clamp 1
		.amdhsa_ieee_mode 1
		.amdhsa_fp16_overflow 0
		.amdhsa_exception_fp_ieee_invalid_op 0
		.amdhsa_exception_fp_denorm_src 0
		.amdhsa_exception_fp_ieee_div_zero 0
		.amdhsa_exception_fp_ieee_overflow 0
		.amdhsa_exception_fp_ieee_underflow 0
		.amdhsa_exception_fp_ieee_inexact 0
		.amdhsa_exception_int_div_zero 0
	.end_amdhsa_kernel
	.section	.text._ZN7rocprim17ROCPRIM_400000_NS6detail17trampoline_kernelINS0_13select_configILj256ELj13ELNS0_17block_load_methodE3ELS4_3ELS4_3ELNS0_20block_scan_algorithmE0ELj4294967295EEENS1_25partition_config_selectorILNS1_17partition_subalgoE4EjNS0_10empty_typeEbEEZZNS1_14partition_implILS8_4ELb0ES6_15HIP_vector_typeIjLj2EENS0_17counting_iteratorIjlEEPS9_SG_NS0_5tupleIJPjSI_NS0_16reverse_iteratorISI_EEEEENSH_IJSG_SG_SG_EEES9_SI_JZNS1_25segmented_radix_sort_implINS0_14default_configELb0EPKsPsPKlPlN2at6native12_GLOBAL__N_18offset_tEEE10hipError_tPvRmT1_PNSt15iterator_traitsIS12_E10value_typeET2_T3_PNS13_IS18_E10value_typeET4_jRbjT5_S1E_jjP12ihipStream_tbEUljE_ZNSN_ISO_Lb0ESQ_SR_ST_SU_SY_EESZ_S10_S11_S12_S16_S17_S18_S1B_S1C_jS1D_jS1E_S1E_jjS1G_bEUljE0_EEESZ_S10_S11_S18_S1C_S1E_T6_T7_T9_mT8_S1G_bDpT10_ENKUlT_T0_E_clISt17integral_constantIbLb1EES1U_EEDaS1P_S1Q_EUlS1P_E_NS1_11comp_targetILNS1_3genE9ELNS1_11target_archE1100ELNS1_3gpuE3ELNS1_3repE0EEENS1_30default_config_static_selectorELNS0_4arch9wavefront6targetE1EEEvS12_,"axG",@progbits,_ZN7rocprim17ROCPRIM_400000_NS6detail17trampoline_kernelINS0_13select_configILj256ELj13ELNS0_17block_load_methodE3ELS4_3ELS4_3ELNS0_20block_scan_algorithmE0ELj4294967295EEENS1_25partition_config_selectorILNS1_17partition_subalgoE4EjNS0_10empty_typeEbEEZZNS1_14partition_implILS8_4ELb0ES6_15HIP_vector_typeIjLj2EENS0_17counting_iteratorIjlEEPS9_SG_NS0_5tupleIJPjSI_NS0_16reverse_iteratorISI_EEEEENSH_IJSG_SG_SG_EEES9_SI_JZNS1_25segmented_radix_sort_implINS0_14default_configELb0EPKsPsPKlPlN2at6native12_GLOBAL__N_18offset_tEEE10hipError_tPvRmT1_PNSt15iterator_traitsIS12_E10value_typeET2_T3_PNS13_IS18_E10value_typeET4_jRbjT5_S1E_jjP12ihipStream_tbEUljE_ZNSN_ISO_Lb0ESQ_SR_ST_SU_SY_EESZ_S10_S11_S12_S16_S17_S18_S1B_S1C_jS1D_jS1E_S1E_jjS1G_bEUljE0_EEESZ_S10_S11_S18_S1C_S1E_T6_T7_T9_mT8_S1G_bDpT10_ENKUlT_T0_E_clISt17integral_constantIbLb1EES1U_EEDaS1P_S1Q_EUlS1P_E_NS1_11comp_targetILNS1_3genE9ELNS1_11target_archE1100ELNS1_3gpuE3ELNS1_3repE0EEENS1_30default_config_static_selectorELNS0_4arch9wavefront6targetE1EEEvS12_,comdat
.Lfunc_end964:
	.size	_ZN7rocprim17ROCPRIM_400000_NS6detail17trampoline_kernelINS0_13select_configILj256ELj13ELNS0_17block_load_methodE3ELS4_3ELS4_3ELNS0_20block_scan_algorithmE0ELj4294967295EEENS1_25partition_config_selectorILNS1_17partition_subalgoE4EjNS0_10empty_typeEbEEZZNS1_14partition_implILS8_4ELb0ES6_15HIP_vector_typeIjLj2EENS0_17counting_iteratorIjlEEPS9_SG_NS0_5tupleIJPjSI_NS0_16reverse_iteratorISI_EEEEENSH_IJSG_SG_SG_EEES9_SI_JZNS1_25segmented_radix_sort_implINS0_14default_configELb0EPKsPsPKlPlN2at6native12_GLOBAL__N_18offset_tEEE10hipError_tPvRmT1_PNSt15iterator_traitsIS12_E10value_typeET2_T3_PNS13_IS18_E10value_typeET4_jRbjT5_S1E_jjP12ihipStream_tbEUljE_ZNSN_ISO_Lb0ESQ_SR_ST_SU_SY_EESZ_S10_S11_S12_S16_S17_S18_S1B_S1C_jS1D_jS1E_S1E_jjS1G_bEUljE0_EEESZ_S10_S11_S18_S1C_S1E_T6_T7_T9_mT8_S1G_bDpT10_ENKUlT_T0_E_clISt17integral_constantIbLb1EES1U_EEDaS1P_S1Q_EUlS1P_E_NS1_11comp_targetILNS1_3genE9ELNS1_11target_archE1100ELNS1_3gpuE3ELNS1_3repE0EEENS1_30default_config_static_selectorELNS0_4arch9wavefront6targetE1EEEvS12_, .Lfunc_end964-_ZN7rocprim17ROCPRIM_400000_NS6detail17trampoline_kernelINS0_13select_configILj256ELj13ELNS0_17block_load_methodE3ELS4_3ELS4_3ELNS0_20block_scan_algorithmE0ELj4294967295EEENS1_25partition_config_selectorILNS1_17partition_subalgoE4EjNS0_10empty_typeEbEEZZNS1_14partition_implILS8_4ELb0ES6_15HIP_vector_typeIjLj2EENS0_17counting_iteratorIjlEEPS9_SG_NS0_5tupleIJPjSI_NS0_16reverse_iteratorISI_EEEEENSH_IJSG_SG_SG_EEES9_SI_JZNS1_25segmented_radix_sort_implINS0_14default_configELb0EPKsPsPKlPlN2at6native12_GLOBAL__N_18offset_tEEE10hipError_tPvRmT1_PNSt15iterator_traitsIS12_E10value_typeET2_T3_PNS13_IS18_E10value_typeET4_jRbjT5_S1E_jjP12ihipStream_tbEUljE_ZNSN_ISO_Lb0ESQ_SR_ST_SU_SY_EESZ_S10_S11_S12_S16_S17_S18_S1B_S1C_jS1D_jS1E_S1E_jjS1G_bEUljE0_EEESZ_S10_S11_S18_S1C_S1E_T6_T7_T9_mT8_S1G_bDpT10_ENKUlT_T0_E_clISt17integral_constantIbLb1EES1U_EEDaS1P_S1Q_EUlS1P_E_NS1_11comp_targetILNS1_3genE9ELNS1_11target_archE1100ELNS1_3gpuE3ELNS1_3repE0EEENS1_30default_config_static_selectorELNS0_4arch9wavefront6targetE1EEEvS12_
                                        ; -- End function
	.set _ZN7rocprim17ROCPRIM_400000_NS6detail17trampoline_kernelINS0_13select_configILj256ELj13ELNS0_17block_load_methodE3ELS4_3ELS4_3ELNS0_20block_scan_algorithmE0ELj4294967295EEENS1_25partition_config_selectorILNS1_17partition_subalgoE4EjNS0_10empty_typeEbEEZZNS1_14partition_implILS8_4ELb0ES6_15HIP_vector_typeIjLj2EENS0_17counting_iteratorIjlEEPS9_SG_NS0_5tupleIJPjSI_NS0_16reverse_iteratorISI_EEEEENSH_IJSG_SG_SG_EEES9_SI_JZNS1_25segmented_radix_sort_implINS0_14default_configELb0EPKsPsPKlPlN2at6native12_GLOBAL__N_18offset_tEEE10hipError_tPvRmT1_PNSt15iterator_traitsIS12_E10value_typeET2_T3_PNS13_IS18_E10value_typeET4_jRbjT5_S1E_jjP12ihipStream_tbEUljE_ZNSN_ISO_Lb0ESQ_SR_ST_SU_SY_EESZ_S10_S11_S12_S16_S17_S18_S1B_S1C_jS1D_jS1E_S1E_jjS1G_bEUljE0_EEESZ_S10_S11_S18_S1C_S1E_T6_T7_T9_mT8_S1G_bDpT10_ENKUlT_T0_E_clISt17integral_constantIbLb1EES1U_EEDaS1P_S1Q_EUlS1P_E_NS1_11comp_targetILNS1_3genE9ELNS1_11target_archE1100ELNS1_3gpuE3ELNS1_3repE0EEENS1_30default_config_static_selectorELNS0_4arch9wavefront6targetE1EEEvS12_.num_vgpr, 0
	.set _ZN7rocprim17ROCPRIM_400000_NS6detail17trampoline_kernelINS0_13select_configILj256ELj13ELNS0_17block_load_methodE3ELS4_3ELS4_3ELNS0_20block_scan_algorithmE0ELj4294967295EEENS1_25partition_config_selectorILNS1_17partition_subalgoE4EjNS0_10empty_typeEbEEZZNS1_14partition_implILS8_4ELb0ES6_15HIP_vector_typeIjLj2EENS0_17counting_iteratorIjlEEPS9_SG_NS0_5tupleIJPjSI_NS0_16reverse_iteratorISI_EEEEENSH_IJSG_SG_SG_EEES9_SI_JZNS1_25segmented_radix_sort_implINS0_14default_configELb0EPKsPsPKlPlN2at6native12_GLOBAL__N_18offset_tEEE10hipError_tPvRmT1_PNSt15iterator_traitsIS12_E10value_typeET2_T3_PNS13_IS18_E10value_typeET4_jRbjT5_S1E_jjP12ihipStream_tbEUljE_ZNSN_ISO_Lb0ESQ_SR_ST_SU_SY_EESZ_S10_S11_S12_S16_S17_S18_S1B_S1C_jS1D_jS1E_S1E_jjS1G_bEUljE0_EEESZ_S10_S11_S18_S1C_S1E_T6_T7_T9_mT8_S1G_bDpT10_ENKUlT_T0_E_clISt17integral_constantIbLb1EES1U_EEDaS1P_S1Q_EUlS1P_E_NS1_11comp_targetILNS1_3genE9ELNS1_11target_archE1100ELNS1_3gpuE3ELNS1_3repE0EEENS1_30default_config_static_selectorELNS0_4arch9wavefront6targetE1EEEvS12_.num_agpr, 0
	.set _ZN7rocprim17ROCPRIM_400000_NS6detail17trampoline_kernelINS0_13select_configILj256ELj13ELNS0_17block_load_methodE3ELS4_3ELS4_3ELNS0_20block_scan_algorithmE0ELj4294967295EEENS1_25partition_config_selectorILNS1_17partition_subalgoE4EjNS0_10empty_typeEbEEZZNS1_14partition_implILS8_4ELb0ES6_15HIP_vector_typeIjLj2EENS0_17counting_iteratorIjlEEPS9_SG_NS0_5tupleIJPjSI_NS0_16reverse_iteratorISI_EEEEENSH_IJSG_SG_SG_EEES9_SI_JZNS1_25segmented_radix_sort_implINS0_14default_configELb0EPKsPsPKlPlN2at6native12_GLOBAL__N_18offset_tEEE10hipError_tPvRmT1_PNSt15iterator_traitsIS12_E10value_typeET2_T3_PNS13_IS18_E10value_typeET4_jRbjT5_S1E_jjP12ihipStream_tbEUljE_ZNSN_ISO_Lb0ESQ_SR_ST_SU_SY_EESZ_S10_S11_S12_S16_S17_S18_S1B_S1C_jS1D_jS1E_S1E_jjS1G_bEUljE0_EEESZ_S10_S11_S18_S1C_S1E_T6_T7_T9_mT8_S1G_bDpT10_ENKUlT_T0_E_clISt17integral_constantIbLb1EES1U_EEDaS1P_S1Q_EUlS1P_E_NS1_11comp_targetILNS1_3genE9ELNS1_11target_archE1100ELNS1_3gpuE3ELNS1_3repE0EEENS1_30default_config_static_selectorELNS0_4arch9wavefront6targetE1EEEvS12_.numbered_sgpr, 0
	.set _ZN7rocprim17ROCPRIM_400000_NS6detail17trampoline_kernelINS0_13select_configILj256ELj13ELNS0_17block_load_methodE3ELS4_3ELS4_3ELNS0_20block_scan_algorithmE0ELj4294967295EEENS1_25partition_config_selectorILNS1_17partition_subalgoE4EjNS0_10empty_typeEbEEZZNS1_14partition_implILS8_4ELb0ES6_15HIP_vector_typeIjLj2EENS0_17counting_iteratorIjlEEPS9_SG_NS0_5tupleIJPjSI_NS0_16reverse_iteratorISI_EEEEENSH_IJSG_SG_SG_EEES9_SI_JZNS1_25segmented_radix_sort_implINS0_14default_configELb0EPKsPsPKlPlN2at6native12_GLOBAL__N_18offset_tEEE10hipError_tPvRmT1_PNSt15iterator_traitsIS12_E10value_typeET2_T3_PNS13_IS18_E10value_typeET4_jRbjT5_S1E_jjP12ihipStream_tbEUljE_ZNSN_ISO_Lb0ESQ_SR_ST_SU_SY_EESZ_S10_S11_S12_S16_S17_S18_S1B_S1C_jS1D_jS1E_S1E_jjS1G_bEUljE0_EEESZ_S10_S11_S18_S1C_S1E_T6_T7_T9_mT8_S1G_bDpT10_ENKUlT_T0_E_clISt17integral_constantIbLb1EES1U_EEDaS1P_S1Q_EUlS1P_E_NS1_11comp_targetILNS1_3genE9ELNS1_11target_archE1100ELNS1_3gpuE3ELNS1_3repE0EEENS1_30default_config_static_selectorELNS0_4arch9wavefront6targetE1EEEvS12_.num_named_barrier, 0
	.set _ZN7rocprim17ROCPRIM_400000_NS6detail17trampoline_kernelINS0_13select_configILj256ELj13ELNS0_17block_load_methodE3ELS4_3ELS4_3ELNS0_20block_scan_algorithmE0ELj4294967295EEENS1_25partition_config_selectorILNS1_17partition_subalgoE4EjNS0_10empty_typeEbEEZZNS1_14partition_implILS8_4ELb0ES6_15HIP_vector_typeIjLj2EENS0_17counting_iteratorIjlEEPS9_SG_NS0_5tupleIJPjSI_NS0_16reverse_iteratorISI_EEEEENSH_IJSG_SG_SG_EEES9_SI_JZNS1_25segmented_radix_sort_implINS0_14default_configELb0EPKsPsPKlPlN2at6native12_GLOBAL__N_18offset_tEEE10hipError_tPvRmT1_PNSt15iterator_traitsIS12_E10value_typeET2_T3_PNS13_IS18_E10value_typeET4_jRbjT5_S1E_jjP12ihipStream_tbEUljE_ZNSN_ISO_Lb0ESQ_SR_ST_SU_SY_EESZ_S10_S11_S12_S16_S17_S18_S1B_S1C_jS1D_jS1E_S1E_jjS1G_bEUljE0_EEESZ_S10_S11_S18_S1C_S1E_T6_T7_T9_mT8_S1G_bDpT10_ENKUlT_T0_E_clISt17integral_constantIbLb1EES1U_EEDaS1P_S1Q_EUlS1P_E_NS1_11comp_targetILNS1_3genE9ELNS1_11target_archE1100ELNS1_3gpuE3ELNS1_3repE0EEENS1_30default_config_static_selectorELNS0_4arch9wavefront6targetE1EEEvS12_.private_seg_size, 0
	.set _ZN7rocprim17ROCPRIM_400000_NS6detail17trampoline_kernelINS0_13select_configILj256ELj13ELNS0_17block_load_methodE3ELS4_3ELS4_3ELNS0_20block_scan_algorithmE0ELj4294967295EEENS1_25partition_config_selectorILNS1_17partition_subalgoE4EjNS0_10empty_typeEbEEZZNS1_14partition_implILS8_4ELb0ES6_15HIP_vector_typeIjLj2EENS0_17counting_iteratorIjlEEPS9_SG_NS0_5tupleIJPjSI_NS0_16reverse_iteratorISI_EEEEENSH_IJSG_SG_SG_EEES9_SI_JZNS1_25segmented_radix_sort_implINS0_14default_configELb0EPKsPsPKlPlN2at6native12_GLOBAL__N_18offset_tEEE10hipError_tPvRmT1_PNSt15iterator_traitsIS12_E10value_typeET2_T3_PNS13_IS18_E10value_typeET4_jRbjT5_S1E_jjP12ihipStream_tbEUljE_ZNSN_ISO_Lb0ESQ_SR_ST_SU_SY_EESZ_S10_S11_S12_S16_S17_S18_S1B_S1C_jS1D_jS1E_S1E_jjS1G_bEUljE0_EEESZ_S10_S11_S18_S1C_S1E_T6_T7_T9_mT8_S1G_bDpT10_ENKUlT_T0_E_clISt17integral_constantIbLb1EES1U_EEDaS1P_S1Q_EUlS1P_E_NS1_11comp_targetILNS1_3genE9ELNS1_11target_archE1100ELNS1_3gpuE3ELNS1_3repE0EEENS1_30default_config_static_selectorELNS0_4arch9wavefront6targetE1EEEvS12_.uses_vcc, 0
	.set _ZN7rocprim17ROCPRIM_400000_NS6detail17trampoline_kernelINS0_13select_configILj256ELj13ELNS0_17block_load_methodE3ELS4_3ELS4_3ELNS0_20block_scan_algorithmE0ELj4294967295EEENS1_25partition_config_selectorILNS1_17partition_subalgoE4EjNS0_10empty_typeEbEEZZNS1_14partition_implILS8_4ELb0ES6_15HIP_vector_typeIjLj2EENS0_17counting_iteratorIjlEEPS9_SG_NS0_5tupleIJPjSI_NS0_16reverse_iteratorISI_EEEEENSH_IJSG_SG_SG_EEES9_SI_JZNS1_25segmented_radix_sort_implINS0_14default_configELb0EPKsPsPKlPlN2at6native12_GLOBAL__N_18offset_tEEE10hipError_tPvRmT1_PNSt15iterator_traitsIS12_E10value_typeET2_T3_PNS13_IS18_E10value_typeET4_jRbjT5_S1E_jjP12ihipStream_tbEUljE_ZNSN_ISO_Lb0ESQ_SR_ST_SU_SY_EESZ_S10_S11_S12_S16_S17_S18_S1B_S1C_jS1D_jS1E_S1E_jjS1G_bEUljE0_EEESZ_S10_S11_S18_S1C_S1E_T6_T7_T9_mT8_S1G_bDpT10_ENKUlT_T0_E_clISt17integral_constantIbLb1EES1U_EEDaS1P_S1Q_EUlS1P_E_NS1_11comp_targetILNS1_3genE9ELNS1_11target_archE1100ELNS1_3gpuE3ELNS1_3repE0EEENS1_30default_config_static_selectorELNS0_4arch9wavefront6targetE1EEEvS12_.uses_flat_scratch, 0
	.set _ZN7rocprim17ROCPRIM_400000_NS6detail17trampoline_kernelINS0_13select_configILj256ELj13ELNS0_17block_load_methodE3ELS4_3ELS4_3ELNS0_20block_scan_algorithmE0ELj4294967295EEENS1_25partition_config_selectorILNS1_17partition_subalgoE4EjNS0_10empty_typeEbEEZZNS1_14partition_implILS8_4ELb0ES6_15HIP_vector_typeIjLj2EENS0_17counting_iteratorIjlEEPS9_SG_NS0_5tupleIJPjSI_NS0_16reverse_iteratorISI_EEEEENSH_IJSG_SG_SG_EEES9_SI_JZNS1_25segmented_radix_sort_implINS0_14default_configELb0EPKsPsPKlPlN2at6native12_GLOBAL__N_18offset_tEEE10hipError_tPvRmT1_PNSt15iterator_traitsIS12_E10value_typeET2_T3_PNS13_IS18_E10value_typeET4_jRbjT5_S1E_jjP12ihipStream_tbEUljE_ZNSN_ISO_Lb0ESQ_SR_ST_SU_SY_EESZ_S10_S11_S12_S16_S17_S18_S1B_S1C_jS1D_jS1E_S1E_jjS1G_bEUljE0_EEESZ_S10_S11_S18_S1C_S1E_T6_T7_T9_mT8_S1G_bDpT10_ENKUlT_T0_E_clISt17integral_constantIbLb1EES1U_EEDaS1P_S1Q_EUlS1P_E_NS1_11comp_targetILNS1_3genE9ELNS1_11target_archE1100ELNS1_3gpuE3ELNS1_3repE0EEENS1_30default_config_static_selectorELNS0_4arch9wavefront6targetE1EEEvS12_.has_dyn_sized_stack, 0
	.set _ZN7rocprim17ROCPRIM_400000_NS6detail17trampoline_kernelINS0_13select_configILj256ELj13ELNS0_17block_load_methodE3ELS4_3ELS4_3ELNS0_20block_scan_algorithmE0ELj4294967295EEENS1_25partition_config_selectorILNS1_17partition_subalgoE4EjNS0_10empty_typeEbEEZZNS1_14partition_implILS8_4ELb0ES6_15HIP_vector_typeIjLj2EENS0_17counting_iteratorIjlEEPS9_SG_NS0_5tupleIJPjSI_NS0_16reverse_iteratorISI_EEEEENSH_IJSG_SG_SG_EEES9_SI_JZNS1_25segmented_radix_sort_implINS0_14default_configELb0EPKsPsPKlPlN2at6native12_GLOBAL__N_18offset_tEEE10hipError_tPvRmT1_PNSt15iterator_traitsIS12_E10value_typeET2_T3_PNS13_IS18_E10value_typeET4_jRbjT5_S1E_jjP12ihipStream_tbEUljE_ZNSN_ISO_Lb0ESQ_SR_ST_SU_SY_EESZ_S10_S11_S12_S16_S17_S18_S1B_S1C_jS1D_jS1E_S1E_jjS1G_bEUljE0_EEESZ_S10_S11_S18_S1C_S1E_T6_T7_T9_mT8_S1G_bDpT10_ENKUlT_T0_E_clISt17integral_constantIbLb1EES1U_EEDaS1P_S1Q_EUlS1P_E_NS1_11comp_targetILNS1_3genE9ELNS1_11target_archE1100ELNS1_3gpuE3ELNS1_3repE0EEENS1_30default_config_static_selectorELNS0_4arch9wavefront6targetE1EEEvS12_.has_recursion, 0
	.set _ZN7rocprim17ROCPRIM_400000_NS6detail17trampoline_kernelINS0_13select_configILj256ELj13ELNS0_17block_load_methodE3ELS4_3ELS4_3ELNS0_20block_scan_algorithmE0ELj4294967295EEENS1_25partition_config_selectorILNS1_17partition_subalgoE4EjNS0_10empty_typeEbEEZZNS1_14partition_implILS8_4ELb0ES6_15HIP_vector_typeIjLj2EENS0_17counting_iteratorIjlEEPS9_SG_NS0_5tupleIJPjSI_NS0_16reverse_iteratorISI_EEEEENSH_IJSG_SG_SG_EEES9_SI_JZNS1_25segmented_radix_sort_implINS0_14default_configELb0EPKsPsPKlPlN2at6native12_GLOBAL__N_18offset_tEEE10hipError_tPvRmT1_PNSt15iterator_traitsIS12_E10value_typeET2_T3_PNS13_IS18_E10value_typeET4_jRbjT5_S1E_jjP12ihipStream_tbEUljE_ZNSN_ISO_Lb0ESQ_SR_ST_SU_SY_EESZ_S10_S11_S12_S16_S17_S18_S1B_S1C_jS1D_jS1E_S1E_jjS1G_bEUljE0_EEESZ_S10_S11_S18_S1C_S1E_T6_T7_T9_mT8_S1G_bDpT10_ENKUlT_T0_E_clISt17integral_constantIbLb1EES1U_EEDaS1P_S1Q_EUlS1P_E_NS1_11comp_targetILNS1_3genE9ELNS1_11target_archE1100ELNS1_3gpuE3ELNS1_3repE0EEENS1_30default_config_static_selectorELNS0_4arch9wavefront6targetE1EEEvS12_.has_indirect_call, 0
	.section	.AMDGPU.csdata,"",@progbits
; Kernel info:
; codeLenInByte = 0
; TotalNumSgprs: 4
; NumVgprs: 0
; ScratchSize: 0
; MemoryBound: 0
; FloatMode: 240
; IeeeMode: 1
; LDSByteSize: 0 bytes/workgroup (compile time only)
; SGPRBlocks: 0
; VGPRBlocks: 0
; NumSGPRsForWavesPerEU: 4
; NumVGPRsForWavesPerEU: 1
; Occupancy: 10
; WaveLimiterHint : 0
; COMPUTE_PGM_RSRC2:SCRATCH_EN: 0
; COMPUTE_PGM_RSRC2:USER_SGPR: 6
; COMPUTE_PGM_RSRC2:TRAP_HANDLER: 0
; COMPUTE_PGM_RSRC2:TGID_X_EN: 1
; COMPUTE_PGM_RSRC2:TGID_Y_EN: 0
; COMPUTE_PGM_RSRC2:TGID_Z_EN: 0
; COMPUTE_PGM_RSRC2:TIDIG_COMP_CNT: 0
	.section	.text._ZN7rocprim17ROCPRIM_400000_NS6detail17trampoline_kernelINS0_13select_configILj256ELj13ELNS0_17block_load_methodE3ELS4_3ELS4_3ELNS0_20block_scan_algorithmE0ELj4294967295EEENS1_25partition_config_selectorILNS1_17partition_subalgoE4EjNS0_10empty_typeEbEEZZNS1_14partition_implILS8_4ELb0ES6_15HIP_vector_typeIjLj2EENS0_17counting_iteratorIjlEEPS9_SG_NS0_5tupleIJPjSI_NS0_16reverse_iteratorISI_EEEEENSH_IJSG_SG_SG_EEES9_SI_JZNS1_25segmented_radix_sort_implINS0_14default_configELb0EPKsPsPKlPlN2at6native12_GLOBAL__N_18offset_tEEE10hipError_tPvRmT1_PNSt15iterator_traitsIS12_E10value_typeET2_T3_PNS13_IS18_E10value_typeET4_jRbjT5_S1E_jjP12ihipStream_tbEUljE_ZNSN_ISO_Lb0ESQ_SR_ST_SU_SY_EESZ_S10_S11_S12_S16_S17_S18_S1B_S1C_jS1D_jS1E_S1E_jjS1G_bEUljE0_EEESZ_S10_S11_S18_S1C_S1E_T6_T7_T9_mT8_S1G_bDpT10_ENKUlT_T0_E_clISt17integral_constantIbLb1EES1U_EEDaS1P_S1Q_EUlS1P_E_NS1_11comp_targetILNS1_3genE8ELNS1_11target_archE1030ELNS1_3gpuE2ELNS1_3repE0EEENS1_30default_config_static_selectorELNS0_4arch9wavefront6targetE1EEEvS12_,"axG",@progbits,_ZN7rocprim17ROCPRIM_400000_NS6detail17trampoline_kernelINS0_13select_configILj256ELj13ELNS0_17block_load_methodE3ELS4_3ELS4_3ELNS0_20block_scan_algorithmE0ELj4294967295EEENS1_25partition_config_selectorILNS1_17partition_subalgoE4EjNS0_10empty_typeEbEEZZNS1_14partition_implILS8_4ELb0ES6_15HIP_vector_typeIjLj2EENS0_17counting_iteratorIjlEEPS9_SG_NS0_5tupleIJPjSI_NS0_16reverse_iteratorISI_EEEEENSH_IJSG_SG_SG_EEES9_SI_JZNS1_25segmented_radix_sort_implINS0_14default_configELb0EPKsPsPKlPlN2at6native12_GLOBAL__N_18offset_tEEE10hipError_tPvRmT1_PNSt15iterator_traitsIS12_E10value_typeET2_T3_PNS13_IS18_E10value_typeET4_jRbjT5_S1E_jjP12ihipStream_tbEUljE_ZNSN_ISO_Lb0ESQ_SR_ST_SU_SY_EESZ_S10_S11_S12_S16_S17_S18_S1B_S1C_jS1D_jS1E_S1E_jjS1G_bEUljE0_EEESZ_S10_S11_S18_S1C_S1E_T6_T7_T9_mT8_S1G_bDpT10_ENKUlT_T0_E_clISt17integral_constantIbLb1EES1U_EEDaS1P_S1Q_EUlS1P_E_NS1_11comp_targetILNS1_3genE8ELNS1_11target_archE1030ELNS1_3gpuE2ELNS1_3repE0EEENS1_30default_config_static_selectorELNS0_4arch9wavefront6targetE1EEEvS12_,comdat
	.globl	_ZN7rocprim17ROCPRIM_400000_NS6detail17trampoline_kernelINS0_13select_configILj256ELj13ELNS0_17block_load_methodE3ELS4_3ELS4_3ELNS0_20block_scan_algorithmE0ELj4294967295EEENS1_25partition_config_selectorILNS1_17partition_subalgoE4EjNS0_10empty_typeEbEEZZNS1_14partition_implILS8_4ELb0ES6_15HIP_vector_typeIjLj2EENS0_17counting_iteratorIjlEEPS9_SG_NS0_5tupleIJPjSI_NS0_16reverse_iteratorISI_EEEEENSH_IJSG_SG_SG_EEES9_SI_JZNS1_25segmented_radix_sort_implINS0_14default_configELb0EPKsPsPKlPlN2at6native12_GLOBAL__N_18offset_tEEE10hipError_tPvRmT1_PNSt15iterator_traitsIS12_E10value_typeET2_T3_PNS13_IS18_E10value_typeET4_jRbjT5_S1E_jjP12ihipStream_tbEUljE_ZNSN_ISO_Lb0ESQ_SR_ST_SU_SY_EESZ_S10_S11_S12_S16_S17_S18_S1B_S1C_jS1D_jS1E_S1E_jjS1G_bEUljE0_EEESZ_S10_S11_S18_S1C_S1E_T6_T7_T9_mT8_S1G_bDpT10_ENKUlT_T0_E_clISt17integral_constantIbLb1EES1U_EEDaS1P_S1Q_EUlS1P_E_NS1_11comp_targetILNS1_3genE8ELNS1_11target_archE1030ELNS1_3gpuE2ELNS1_3repE0EEENS1_30default_config_static_selectorELNS0_4arch9wavefront6targetE1EEEvS12_ ; -- Begin function _ZN7rocprim17ROCPRIM_400000_NS6detail17trampoline_kernelINS0_13select_configILj256ELj13ELNS0_17block_load_methodE3ELS4_3ELS4_3ELNS0_20block_scan_algorithmE0ELj4294967295EEENS1_25partition_config_selectorILNS1_17partition_subalgoE4EjNS0_10empty_typeEbEEZZNS1_14partition_implILS8_4ELb0ES6_15HIP_vector_typeIjLj2EENS0_17counting_iteratorIjlEEPS9_SG_NS0_5tupleIJPjSI_NS0_16reverse_iteratorISI_EEEEENSH_IJSG_SG_SG_EEES9_SI_JZNS1_25segmented_radix_sort_implINS0_14default_configELb0EPKsPsPKlPlN2at6native12_GLOBAL__N_18offset_tEEE10hipError_tPvRmT1_PNSt15iterator_traitsIS12_E10value_typeET2_T3_PNS13_IS18_E10value_typeET4_jRbjT5_S1E_jjP12ihipStream_tbEUljE_ZNSN_ISO_Lb0ESQ_SR_ST_SU_SY_EESZ_S10_S11_S12_S16_S17_S18_S1B_S1C_jS1D_jS1E_S1E_jjS1G_bEUljE0_EEESZ_S10_S11_S18_S1C_S1E_T6_T7_T9_mT8_S1G_bDpT10_ENKUlT_T0_E_clISt17integral_constantIbLb1EES1U_EEDaS1P_S1Q_EUlS1P_E_NS1_11comp_targetILNS1_3genE8ELNS1_11target_archE1030ELNS1_3gpuE2ELNS1_3repE0EEENS1_30default_config_static_selectorELNS0_4arch9wavefront6targetE1EEEvS12_
	.p2align	8
	.type	_ZN7rocprim17ROCPRIM_400000_NS6detail17trampoline_kernelINS0_13select_configILj256ELj13ELNS0_17block_load_methodE3ELS4_3ELS4_3ELNS0_20block_scan_algorithmE0ELj4294967295EEENS1_25partition_config_selectorILNS1_17partition_subalgoE4EjNS0_10empty_typeEbEEZZNS1_14partition_implILS8_4ELb0ES6_15HIP_vector_typeIjLj2EENS0_17counting_iteratorIjlEEPS9_SG_NS0_5tupleIJPjSI_NS0_16reverse_iteratorISI_EEEEENSH_IJSG_SG_SG_EEES9_SI_JZNS1_25segmented_radix_sort_implINS0_14default_configELb0EPKsPsPKlPlN2at6native12_GLOBAL__N_18offset_tEEE10hipError_tPvRmT1_PNSt15iterator_traitsIS12_E10value_typeET2_T3_PNS13_IS18_E10value_typeET4_jRbjT5_S1E_jjP12ihipStream_tbEUljE_ZNSN_ISO_Lb0ESQ_SR_ST_SU_SY_EESZ_S10_S11_S12_S16_S17_S18_S1B_S1C_jS1D_jS1E_S1E_jjS1G_bEUljE0_EEESZ_S10_S11_S18_S1C_S1E_T6_T7_T9_mT8_S1G_bDpT10_ENKUlT_T0_E_clISt17integral_constantIbLb1EES1U_EEDaS1P_S1Q_EUlS1P_E_NS1_11comp_targetILNS1_3genE8ELNS1_11target_archE1030ELNS1_3gpuE2ELNS1_3repE0EEENS1_30default_config_static_selectorELNS0_4arch9wavefront6targetE1EEEvS12_,@function
_ZN7rocprim17ROCPRIM_400000_NS6detail17trampoline_kernelINS0_13select_configILj256ELj13ELNS0_17block_load_methodE3ELS4_3ELS4_3ELNS0_20block_scan_algorithmE0ELj4294967295EEENS1_25partition_config_selectorILNS1_17partition_subalgoE4EjNS0_10empty_typeEbEEZZNS1_14partition_implILS8_4ELb0ES6_15HIP_vector_typeIjLj2EENS0_17counting_iteratorIjlEEPS9_SG_NS0_5tupleIJPjSI_NS0_16reverse_iteratorISI_EEEEENSH_IJSG_SG_SG_EEES9_SI_JZNS1_25segmented_radix_sort_implINS0_14default_configELb0EPKsPsPKlPlN2at6native12_GLOBAL__N_18offset_tEEE10hipError_tPvRmT1_PNSt15iterator_traitsIS12_E10value_typeET2_T3_PNS13_IS18_E10value_typeET4_jRbjT5_S1E_jjP12ihipStream_tbEUljE_ZNSN_ISO_Lb0ESQ_SR_ST_SU_SY_EESZ_S10_S11_S12_S16_S17_S18_S1B_S1C_jS1D_jS1E_S1E_jjS1G_bEUljE0_EEESZ_S10_S11_S18_S1C_S1E_T6_T7_T9_mT8_S1G_bDpT10_ENKUlT_T0_E_clISt17integral_constantIbLb1EES1U_EEDaS1P_S1Q_EUlS1P_E_NS1_11comp_targetILNS1_3genE8ELNS1_11target_archE1030ELNS1_3gpuE2ELNS1_3repE0EEENS1_30default_config_static_selectorELNS0_4arch9wavefront6targetE1EEEvS12_: ; @_ZN7rocprim17ROCPRIM_400000_NS6detail17trampoline_kernelINS0_13select_configILj256ELj13ELNS0_17block_load_methodE3ELS4_3ELS4_3ELNS0_20block_scan_algorithmE0ELj4294967295EEENS1_25partition_config_selectorILNS1_17partition_subalgoE4EjNS0_10empty_typeEbEEZZNS1_14partition_implILS8_4ELb0ES6_15HIP_vector_typeIjLj2EENS0_17counting_iteratorIjlEEPS9_SG_NS0_5tupleIJPjSI_NS0_16reverse_iteratorISI_EEEEENSH_IJSG_SG_SG_EEES9_SI_JZNS1_25segmented_radix_sort_implINS0_14default_configELb0EPKsPsPKlPlN2at6native12_GLOBAL__N_18offset_tEEE10hipError_tPvRmT1_PNSt15iterator_traitsIS12_E10value_typeET2_T3_PNS13_IS18_E10value_typeET4_jRbjT5_S1E_jjP12ihipStream_tbEUljE_ZNSN_ISO_Lb0ESQ_SR_ST_SU_SY_EESZ_S10_S11_S12_S16_S17_S18_S1B_S1C_jS1D_jS1E_S1E_jjS1G_bEUljE0_EEESZ_S10_S11_S18_S1C_S1E_T6_T7_T9_mT8_S1G_bDpT10_ENKUlT_T0_E_clISt17integral_constantIbLb1EES1U_EEDaS1P_S1Q_EUlS1P_E_NS1_11comp_targetILNS1_3genE8ELNS1_11target_archE1030ELNS1_3gpuE2ELNS1_3repE0EEENS1_30default_config_static_selectorELNS0_4arch9wavefront6targetE1EEEvS12_
; %bb.0:
	.section	.rodata,"a",@progbits
	.p2align	6, 0x0
	.amdhsa_kernel _ZN7rocprim17ROCPRIM_400000_NS6detail17trampoline_kernelINS0_13select_configILj256ELj13ELNS0_17block_load_methodE3ELS4_3ELS4_3ELNS0_20block_scan_algorithmE0ELj4294967295EEENS1_25partition_config_selectorILNS1_17partition_subalgoE4EjNS0_10empty_typeEbEEZZNS1_14partition_implILS8_4ELb0ES6_15HIP_vector_typeIjLj2EENS0_17counting_iteratorIjlEEPS9_SG_NS0_5tupleIJPjSI_NS0_16reverse_iteratorISI_EEEEENSH_IJSG_SG_SG_EEES9_SI_JZNS1_25segmented_radix_sort_implINS0_14default_configELb0EPKsPsPKlPlN2at6native12_GLOBAL__N_18offset_tEEE10hipError_tPvRmT1_PNSt15iterator_traitsIS12_E10value_typeET2_T3_PNS13_IS18_E10value_typeET4_jRbjT5_S1E_jjP12ihipStream_tbEUljE_ZNSN_ISO_Lb0ESQ_SR_ST_SU_SY_EESZ_S10_S11_S12_S16_S17_S18_S1B_S1C_jS1D_jS1E_S1E_jjS1G_bEUljE0_EEESZ_S10_S11_S18_S1C_S1E_T6_T7_T9_mT8_S1G_bDpT10_ENKUlT_T0_E_clISt17integral_constantIbLb1EES1U_EEDaS1P_S1Q_EUlS1P_E_NS1_11comp_targetILNS1_3genE8ELNS1_11target_archE1030ELNS1_3gpuE2ELNS1_3repE0EEENS1_30default_config_static_selectorELNS0_4arch9wavefront6targetE1EEEvS12_
		.amdhsa_group_segment_fixed_size 0
		.amdhsa_private_segment_fixed_size 0
		.amdhsa_kernarg_size 184
		.amdhsa_user_sgpr_count 6
		.amdhsa_user_sgpr_private_segment_buffer 1
		.amdhsa_user_sgpr_dispatch_ptr 0
		.amdhsa_user_sgpr_queue_ptr 0
		.amdhsa_user_sgpr_kernarg_segment_ptr 1
		.amdhsa_user_sgpr_dispatch_id 0
		.amdhsa_user_sgpr_flat_scratch_init 0
		.amdhsa_user_sgpr_private_segment_size 0
		.amdhsa_uses_dynamic_stack 0
		.amdhsa_system_sgpr_private_segment_wavefront_offset 0
		.amdhsa_system_sgpr_workgroup_id_x 1
		.amdhsa_system_sgpr_workgroup_id_y 0
		.amdhsa_system_sgpr_workgroup_id_z 0
		.amdhsa_system_sgpr_workgroup_info 0
		.amdhsa_system_vgpr_workitem_id 0
		.amdhsa_next_free_vgpr 1
		.amdhsa_next_free_sgpr 0
		.amdhsa_reserve_vcc 0
		.amdhsa_reserve_flat_scratch 0
		.amdhsa_float_round_mode_32 0
		.amdhsa_float_round_mode_16_64 0
		.amdhsa_float_denorm_mode_32 3
		.amdhsa_float_denorm_mode_16_64 3
		.amdhsa_dx10_clamp 1
		.amdhsa_ieee_mode 1
		.amdhsa_fp16_overflow 0
		.amdhsa_exception_fp_ieee_invalid_op 0
		.amdhsa_exception_fp_denorm_src 0
		.amdhsa_exception_fp_ieee_div_zero 0
		.amdhsa_exception_fp_ieee_overflow 0
		.amdhsa_exception_fp_ieee_underflow 0
		.amdhsa_exception_fp_ieee_inexact 0
		.amdhsa_exception_int_div_zero 0
	.end_amdhsa_kernel
	.section	.text._ZN7rocprim17ROCPRIM_400000_NS6detail17trampoline_kernelINS0_13select_configILj256ELj13ELNS0_17block_load_methodE3ELS4_3ELS4_3ELNS0_20block_scan_algorithmE0ELj4294967295EEENS1_25partition_config_selectorILNS1_17partition_subalgoE4EjNS0_10empty_typeEbEEZZNS1_14partition_implILS8_4ELb0ES6_15HIP_vector_typeIjLj2EENS0_17counting_iteratorIjlEEPS9_SG_NS0_5tupleIJPjSI_NS0_16reverse_iteratorISI_EEEEENSH_IJSG_SG_SG_EEES9_SI_JZNS1_25segmented_radix_sort_implINS0_14default_configELb0EPKsPsPKlPlN2at6native12_GLOBAL__N_18offset_tEEE10hipError_tPvRmT1_PNSt15iterator_traitsIS12_E10value_typeET2_T3_PNS13_IS18_E10value_typeET4_jRbjT5_S1E_jjP12ihipStream_tbEUljE_ZNSN_ISO_Lb0ESQ_SR_ST_SU_SY_EESZ_S10_S11_S12_S16_S17_S18_S1B_S1C_jS1D_jS1E_S1E_jjS1G_bEUljE0_EEESZ_S10_S11_S18_S1C_S1E_T6_T7_T9_mT8_S1G_bDpT10_ENKUlT_T0_E_clISt17integral_constantIbLb1EES1U_EEDaS1P_S1Q_EUlS1P_E_NS1_11comp_targetILNS1_3genE8ELNS1_11target_archE1030ELNS1_3gpuE2ELNS1_3repE0EEENS1_30default_config_static_selectorELNS0_4arch9wavefront6targetE1EEEvS12_,"axG",@progbits,_ZN7rocprim17ROCPRIM_400000_NS6detail17trampoline_kernelINS0_13select_configILj256ELj13ELNS0_17block_load_methodE3ELS4_3ELS4_3ELNS0_20block_scan_algorithmE0ELj4294967295EEENS1_25partition_config_selectorILNS1_17partition_subalgoE4EjNS0_10empty_typeEbEEZZNS1_14partition_implILS8_4ELb0ES6_15HIP_vector_typeIjLj2EENS0_17counting_iteratorIjlEEPS9_SG_NS0_5tupleIJPjSI_NS0_16reverse_iteratorISI_EEEEENSH_IJSG_SG_SG_EEES9_SI_JZNS1_25segmented_radix_sort_implINS0_14default_configELb0EPKsPsPKlPlN2at6native12_GLOBAL__N_18offset_tEEE10hipError_tPvRmT1_PNSt15iterator_traitsIS12_E10value_typeET2_T3_PNS13_IS18_E10value_typeET4_jRbjT5_S1E_jjP12ihipStream_tbEUljE_ZNSN_ISO_Lb0ESQ_SR_ST_SU_SY_EESZ_S10_S11_S12_S16_S17_S18_S1B_S1C_jS1D_jS1E_S1E_jjS1G_bEUljE0_EEESZ_S10_S11_S18_S1C_S1E_T6_T7_T9_mT8_S1G_bDpT10_ENKUlT_T0_E_clISt17integral_constantIbLb1EES1U_EEDaS1P_S1Q_EUlS1P_E_NS1_11comp_targetILNS1_3genE8ELNS1_11target_archE1030ELNS1_3gpuE2ELNS1_3repE0EEENS1_30default_config_static_selectorELNS0_4arch9wavefront6targetE1EEEvS12_,comdat
.Lfunc_end965:
	.size	_ZN7rocprim17ROCPRIM_400000_NS6detail17trampoline_kernelINS0_13select_configILj256ELj13ELNS0_17block_load_methodE3ELS4_3ELS4_3ELNS0_20block_scan_algorithmE0ELj4294967295EEENS1_25partition_config_selectorILNS1_17partition_subalgoE4EjNS0_10empty_typeEbEEZZNS1_14partition_implILS8_4ELb0ES6_15HIP_vector_typeIjLj2EENS0_17counting_iteratorIjlEEPS9_SG_NS0_5tupleIJPjSI_NS0_16reverse_iteratorISI_EEEEENSH_IJSG_SG_SG_EEES9_SI_JZNS1_25segmented_radix_sort_implINS0_14default_configELb0EPKsPsPKlPlN2at6native12_GLOBAL__N_18offset_tEEE10hipError_tPvRmT1_PNSt15iterator_traitsIS12_E10value_typeET2_T3_PNS13_IS18_E10value_typeET4_jRbjT5_S1E_jjP12ihipStream_tbEUljE_ZNSN_ISO_Lb0ESQ_SR_ST_SU_SY_EESZ_S10_S11_S12_S16_S17_S18_S1B_S1C_jS1D_jS1E_S1E_jjS1G_bEUljE0_EEESZ_S10_S11_S18_S1C_S1E_T6_T7_T9_mT8_S1G_bDpT10_ENKUlT_T0_E_clISt17integral_constantIbLb1EES1U_EEDaS1P_S1Q_EUlS1P_E_NS1_11comp_targetILNS1_3genE8ELNS1_11target_archE1030ELNS1_3gpuE2ELNS1_3repE0EEENS1_30default_config_static_selectorELNS0_4arch9wavefront6targetE1EEEvS12_, .Lfunc_end965-_ZN7rocprim17ROCPRIM_400000_NS6detail17trampoline_kernelINS0_13select_configILj256ELj13ELNS0_17block_load_methodE3ELS4_3ELS4_3ELNS0_20block_scan_algorithmE0ELj4294967295EEENS1_25partition_config_selectorILNS1_17partition_subalgoE4EjNS0_10empty_typeEbEEZZNS1_14partition_implILS8_4ELb0ES6_15HIP_vector_typeIjLj2EENS0_17counting_iteratorIjlEEPS9_SG_NS0_5tupleIJPjSI_NS0_16reverse_iteratorISI_EEEEENSH_IJSG_SG_SG_EEES9_SI_JZNS1_25segmented_radix_sort_implINS0_14default_configELb0EPKsPsPKlPlN2at6native12_GLOBAL__N_18offset_tEEE10hipError_tPvRmT1_PNSt15iterator_traitsIS12_E10value_typeET2_T3_PNS13_IS18_E10value_typeET4_jRbjT5_S1E_jjP12ihipStream_tbEUljE_ZNSN_ISO_Lb0ESQ_SR_ST_SU_SY_EESZ_S10_S11_S12_S16_S17_S18_S1B_S1C_jS1D_jS1E_S1E_jjS1G_bEUljE0_EEESZ_S10_S11_S18_S1C_S1E_T6_T7_T9_mT8_S1G_bDpT10_ENKUlT_T0_E_clISt17integral_constantIbLb1EES1U_EEDaS1P_S1Q_EUlS1P_E_NS1_11comp_targetILNS1_3genE8ELNS1_11target_archE1030ELNS1_3gpuE2ELNS1_3repE0EEENS1_30default_config_static_selectorELNS0_4arch9wavefront6targetE1EEEvS12_
                                        ; -- End function
	.set _ZN7rocprim17ROCPRIM_400000_NS6detail17trampoline_kernelINS0_13select_configILj256ELj13ELNS0_17block_load_methodE3ELS4_3ELS4_3ELNS0_20block_scan_algorithmE0ELj4294967295EEENS1_25partition_config_selectorILNS1_17partition_subalgoE4EjNS0_10empty_typeEbEEZZNS1_14partition_implILS8_4ELb0ES6_15HIP_vector_typeIjLj2EENS0_17counting_iteratorIjlEEPS9_SG_NS0_5tupleIJPjSI_NS0_16reverse_iteratorISI_EEEEENSH_IJSG_SG_SG_EEES9_SI_JZNS1_25segmented_radix_sort_implINS0_14default_configELb0EPKsPsPKlPlN2at6native12_GLOBAL__N_18offset_tEEE10hipError_tPvRmT1_PNSt15iterator_traitsIS12_E10value_typeET2_T3_PNS13_IS18_E10value_typeET4_jRbjT5_S1E_jjP12ihipStream_tbEUljE_ZNSN_ISO_Lb0ESQ_SR_ST_SU_SY_EESZ_S10_S11_S12_S16_S17_S18_S1B_S1C_jS1D_jS1E_S1E_jjS1G_bEUljE0_EEESZ_S10_S11_S18_S1C_S1E_T6_T7_T9_mT8_S1G_bDpT10_ENKUlT_T0_E_clISt17integral_constantIbLb1EES1U_EEDaS1P_S1Q_EUlS1P_E_NS1_11comp_targetILNS1_3genE8ELNS1_11target_archE1030ELNS1_3gpuE2ELNS1_3repE0EEENS1_30default_config_static_selectorELNS0_4arch9wavefront6targetE1EEEvS12_.num_vgpr, 0
	.set _ZN7rocprim17ROCPRIM_400000_NS6detail17trampoline_kernelINS0_13select_configILj256ELj13ELNS0_17block_load_methodE3ELS4_3ELS4_3ELNS0_20block_scan_algorithmE0ELj4294967295EEENS1_25partition_config_selectorILNS1_17partition_subalgoE4EjNS0_10empty_typeEbEEZZNS1_14partition_implILS8_4ELb0ES6_15HIP_vector_typeIjLj2EENS0_17counting_iteratorIjlEEPS9_SG_NS0_5tupleIJPjSI_NS0_16reverse_iteratorISI_EEEEENSH_IJSG_SG_SG_EEES9_SI_JZNS1_25segmented_radix_sort_implINS0_14default_configELb0EPKsPsPKlPlN2at6native12_GLOBAL__N_18offset_tEEE10hipError_tPvRmT1_PNSt15iterator_traitsIS12_E10value_typeET2_T3_PNS13_IS18_E10value_typeET4_jRbjT5_S1E_jjP12ihipStream_tbEUljE_ZNSN_ISO_Lb0ESQ_SR_ST_SU_SY_EESZ_S10_S11_S12_S16_S17_S18_S1B_S1C_jS1D_jS1E_S1E_jjS1G_bEUljE0_EEESZ_S10_S11_S18_S1C_S1E_T6_T7_T9_mT8_S1G_bDpT10_ENKUlT_T0_E_clISt17integral_constantIbLb1EES1U_EEDaS1P_S1Q_EUlS1P_E_NS1_11comp_targetILNS1_3genE8ELNS1_11target_archE1030ELNS1_3gpuE2ELNS1_3repE0EEENS1_30default_config_static_selectorELNS0_4arch9wavefront6targetE1EEEvS12_.num_agpr, 0
	.set _ZN7rocprim17ROCPRIM_400000_NS6detail17trampoline_kernelINS0_13select_configILj256ELj13ELNS0_17block_load_methodE3ELS4_3ELS4_3ELNS0_20block_scan_algorithmE0ELj4294967295EEENS1_25partition_config_selectorILNS1_17partition_subalgoE4EjNS0_10empty_typeEbEEZZNS1_14partition_implILS8_4ELb0ES6_15HIP_vector_typeIjLj2EENS0_17counting_iteratorIjlEEPS9_SG_NS0_5tupleIJPjSI_NS0_16reverse_iteratorISI_EEEEENSH_IJSG_SG_SG_EEES9_SI_JZNS1_25segmented_radix_sort_implINS0_14default_configELb0EPKsPsPKlPlN2at6native12_GLOBAL__N_18offset_tEEE10hipError_tPvRmT1_PNSt15iterator_traitsIS12_E10value_typeET2_T3_PNS13_IS18_E10value_typeET4_jRbjT5_S1E_jjP12ihipStream_tbEUljE_ZNSN_ISO_Lb0ESQ_SR_ST_SU_SY_EESZ_S10_S11_S12_S16_S17_S18_S1B_S1C_jS1D_jS1E_S1E_jjS1G_bEUljE0_EEESZ_S10_S11_S18_S1C_S1E_T6_T7_T9_mT8_S1G_bDpT10_ENKUlT_T0_E_clISt17integral_constantIbLb1EES1U_EEDaS1P_S1Q_EUlS1P_E_NS1_11comp_targetILNS1_3genE8ELNS1_11target_archE1030ELNS1_3gpuE2ELNS1_3repE0EEENS1_30default_config_static_selectorELNS0_4arch9wavefront6targetE1EEEvS12_.numbered_sgpr, 0
	.set _ZN7rocprim17ROCPRIM_400000_NS6detail17trampoline_kernelINS0_13select_configILj256ELj13ELNS0_17block_load_methodE3ELS4_3ELS4_3ELNS0_20block_scan_algorithmE0ELj4294967295EEENS1_25partition_config_selectorILNS1_17partition_subalgoE4EjNS0_10empty_typeEbEEZZNS1_14partition_implILS8_4ELb0ES6_15HIP_vector_typeIjLj2EENS0_17counting_iteratorIjlEEPS9_SG_NS0_5tupleIJPjSI_NS0_16reverse_iteratorISI_EEEEENSH_IJSG_SG_SG_EEES9_SI_JZNS1_25segmented_radix_sort_implINS0_14default_configELb0EPKsPsPKlPlN2at6native12_GLOBAL__N_18offset_tEEE10hipError_tPvRmT1_PNSt15iterator_traitsIS12_E10value_typeET2_T3_PNS13_IS18_E10value_typeET4_jRbjT5_S1E_jjP12ihipStream_tbEUljE_ZNSN_ISO_Lb0ESQ_SR_ST_SU_SY_EESZ_S10_S11_S12_S16_S17_S18_S1B_S1C_jS1D_jS1E_S1E_jjS1G_bEUljE0_EEESZ_S10_S11_S18_S1C_S1E_T6_T7_T9_mT8_S1G_bDpT10_ENKUlT_T0_E_clISt17integral_constantIbLb1EES1U_EEDaS1P_S1Q_EUlS1P_E_NS1_11comp_targetILNS1_3genE8ELNS1_11target_archE1030ELNS1_3gpuE2ELNS1_3repE0EEENS1_30default_config_static_selectorELNS0_4arch9wavefront6targetE1EEEvS12_.num_named_barrier, 0
	.set _ZN7rocprim17ROCPRIM_400000_NS6detail17trampoline_kernelINS0_13select_configILj256ELj13ELNS0_17block_load_methodE3ELS4_3ELS4_3ELNS0_20block_scan_algorithmE0ELj4294967295EEENS1_25partition_config_selectorILNS1_17partition_subalgoE4EjNS0_10empty_typeEbEEZZNS1_14partition_implILS8_4ELb0ES6_15HIP_vector_typeIjLj2EENS0_17counting_iteratorIjlEEPS9_SG_NS0_5tupleIJPjSI_NS0_16reverse_iteratorISI_EEEEENSH_IJSG_SG_SG_EEES9_SI_JZNS1_25segmented_radix_sort_implINS0_14default_configELb0EPKsPsPKlPlN2at6native12_GLOBAL__N_18offset_tEEE10hipError_tPvRmT1_PNSt15iterator_traitsIS12_E10value_typeET2_T3_PNS13_IS18_E10value_typeET4_jRbjT5_S1E_jjP12ihipStream_tbEUljE_ZNSN_ISO_Lb0ESQ_SR_ST_SU_SY_EESZ_S10_S11_S12_S16_S17_S18_S1B_S1C_jS1D_jS1E_S1E_jjS1G_bEUljE0_EEESZ_S10_S11_S18_S1C_S1E_T6_T7_T9_mT8_S1G_bDpT10_ENKUlT_T0_E_clISt17integral_constantIbLb1EES1U_EEDaS1P_S1Q_EUlS1P_E_NS1_11comp_targetILNS1_3genE8ELNS1_11target_archE1030ELNS1_3gpuE2ELNS1_3repE0EEENS1_30default_config_static_selectorELNS0_4arch9wavefront6targetE1EEEvS12_.private_seg_size, 0
	.set _ZN7rocprim17ROCPRIM_400000_NS6detail17trampoline_kernelINS0_13select_configILj256ELj13ELNS0_17block_load_methodE3ELS4_3ELS4_3ELNS0_20block_scan_algorithmE0ELj4294967295EEENS1_25partition_config_selectorILNS1_17partition_subalgoE4EjNS0_10empty_typeEbEEZZNS1_14partition_implILS8_4ELb0ES6_15HIP_vector_typeIjLj2EENS0_17counting_iteratorIjlEEPS9_SG_NS0_5tupleIJPjSI_NS0_16reverse_iteratorISI_EEEEENSH_IJSG_SG_SG_EEES9_SI_JZNS1_25segmented_radix_sort_implINS0_14default_configELb0EPKsPsPKlPlN2at6native12_GLOBAL__N_18offset_tEEE10hipError_tPvRmT1_PNSt15iterator_traitsIS12_E10value_typeET2_T3_PNS13_IS18_E10value_typeET4_jRbjT5_S1E_jjP12ihipStream_tbEUljE_ZNSN_ISO_Lb0ESQ_SR_ST_SU_SY_EESZ_S10_S11_S12_S16_S17_S18_S1B_S1C_jS1D_jS1E_S1E_jjS1G_bEUljE0_EEESZ_S10_S11_S18_S1C_S1E_T6_T7_T9_mT8_S1G_bDpT10_ENKUlT_T0_E_clISt17integral_constantIbLb1EES1U_EEDaS1P_S1Q_EUlS1P_E_NS1_11comp_targetILNS1_3genE8ELNS1_11target_archE1030ELNS1_3gpuE2ELNS1_3repE0EEENS1_30default_config_static_selectorELNS0_4arch9wavefront6targetE1EEEvS12_.uses_vcc, 0
	.set _ZN7rocprim17ROCPRIM_400000_NS6detail17trampoline_kernelINS0_13select_configILj256ELj13ELNS0_17block_load_methodE3ELS4_3ELS4_3ELNS0_20block_scan_algorithmE0ELj4294967295EEENS1_25partition_config_selectorILNS1_17partition_subalgoE4EjNS0_10empty_typeEbEEZZNS1_14partition_implILS8_4ELb0ES6_15HIP_vector_typeIjLj2EENS0_17counting_iteratorIjlEEPS9_SG_NS0_5tupleIJPjSI_NS0_16reverse_iteratorISI_EEEEENSH_IJSG_SG_SG_EEES9_SI_JZNS1_25segmented_radix_sort_implINS0_14default_configELb0EPKsPsPKlPlN2at6native12_GLOBAL__N_18offset_tEEE10hipError_tPvRmT1_PNSt15iterator_traitsIS12_E10value_typeET2_T3_PNS13_IS18_E10value_typeET4_jRbjT5_S1E_jjP12ihipStream_tbEUljE_ZNSN_ISO_Lb0ESQ_SR_ST_SU_SY_EESZ_S10_S11_S12_S16_S17_S18_S1B_S1C_jS1D_jS1E_S1E_jjS1G_bEUljE0_EEESZ_S10_S11_S18_S1C_S1E_T6_T7_T9_mT8_S1G_bDpT10_ENKUlT_T0_E_clISt17integral_constantIbLb1EES1U_EEDaS1P_S1Q_EUlS1P_E_NS1_11comp_targetILNS1_3genE8ELNS1_11target_archE1030ELNS1_3gpuE2ELNS1_3repE0EEENS1_30default_config_static_selectorELNS0_4arch9wavefront6targetE1EEEvS12_.uses_flat_scratch, 0
	.set _ZN7rocprim17ROCPRIM_400000_NS6detail17trampoline_kernelINS0_13select_configILj256ELj13ELNS0_17block_load_methodE3ELS4_3ELS4_3ELNS0_20block_scan_algorithmE0ELj4294967295EEENS1_25partition_config_selectorILNS1_17partition_subalgoE4EjNS0_10empty_typeEbEEZZNS1_14partition_implILS8_4ELb0ES6_15HIP_vector_typeIjLj2EENS0_17counting_iteratorIjlEEPS9_SG_NS0_5tupleIJPjSI_NS0_16reverse_iteratorISI_EEEEENSH_IJSG_SG_SG_EEES9_SI_JZNS1_25segmented_radix_sort_implINS0_14default_configELb0EPKsPsPKlPlN2at6native12_GLOBAL__N_18offset_tEEE10hipError_tPvRmT1_PNSt15iterator_traitsIS12_E10value_typeET2_T3_PNS13_IS18_E10value_typeET4_jRbjT5_S1E_jjP12ihipStream_tbEUljE_ZNSN_ISO_Lb0ESQ_SR_ST_SU_SY_EESZ_S10_S11_S12_S16_S17_S18_S1B_S1C_jS1D_jS1E_S1E_jjS1G_bEUljE0_EEESZ_S10_S11_S18_S1C_S1E_T6_T7_T9_mT8_S1G_bDpT10_ENKUlT_T0_E_clISt17integral_constantIbLb1EES1U_EEDaS1P_S1Q_EUlS1P_E_NS1_11comp_targetILNS1_3genE8ELNS1_11target_archE1030ELNS1_3gpuE2ELNS1_3repE0EEENS1_30default_config_static_selectorELNS0_4arch9wavefront6targetE1EEEvS12_.has_dyn_sized_stack, 0
	.set _ZN7rocprim17ROCPRIM_400000_NS6detail17trampoline_kernelINS0_13select_configILj256ELj13ELNS0_17block_load_methodE3ELS4_3ELS4_3ELNS0_20block_scan_algorithmE0ELj4294967295EEENS1_25partition_config_selectorILNS1_17partition_subalgoE4EjNS0_10empty_typeEbEEZZNS1_14partition_implILS8_4ELb0ES6_15HIP_vector_typeIjLj2EENS0_17counting_iteratorIjlEEPS9_SG_NS0_5tupleIJPjSI_NS0_16reverse_iteratorISI_EEEEENSH_IJSG_SG_SG_EEES9_SI_JZNS1_25segmented_radix_sort_implINS0_14default_configELb0EPKsPsPKlPlN2at6native12_GLOBAL__N_18offset_tEEE10hipError_tPvRmT1_PNSt15iterator_traitsIS12_E10value_typeET2_T3_PNS13_IS18_E10value_typeET4_jRbjT5_S1E_jjP12ihipStream_tbEUljE_ZNSN_ISO_Lb0ESQ_SR_ST_SU_SY_EESZ_S10_S11_S12_S16_S17_S18_S1B_S1C_jS1D_jS1E_S1E_jjS1G_bEUljE0_EEESZ_S10_S11_S18_S1C_S1E_T6_T7_T9_mT8_S1G_bDpT10_ENKUlT_T0_E_clISt17integral_constantIbLb1EES1U_EEDaS1P_S1Q_EUlS1P_E_NS1_11comp_targetILNS1_3genE8ELNS1_11target_archE1030ELNS1_3gpuE2ELNS1_3repE0EEENS1_30default_config_static_selectorELNS0_4arch9wavefront6targetE1EEEvS12_.has_recursion, 0
	.set _ZN7rocprim17ROCPRIM_400000_NS6detail17trampoline_kernelINS0_13select_configILj256ELj13ELNS0_17block_load_methodE3ELS4_3ELS4_3ELNS0_20block_scan_algorithmE0ELj4294967295EEENS1_25partition_config_selectorILNS1_17partition_subalgoE4EjNS0_10empty_typeEbEEZZNS1_14partition_implILS8_4ELb0ES6_15HIP_vector_typeIjLj2EENS0_17counting_iteratorIjlEEPS9_SG_NS0_5tupleIJPjSI_NS0_16reverse_iteratorISI_EEEEENSH_IJSG_SG_SG_EEES9_SI_JZNS1_25segmented_radix_sort_implINS0_14default_configELb0EPKsPsPKlPlN2at6native12_GLOBAL__N_18offset_tEEE10hipError_tPvRmT1_PNSt15iterator_traitsIS12_E10value_typeET2_T3_PNS13_IS18_E10value_typeET4_jRbjT5_S1E_jjP12ihipStream_tbEUljE_ZNSN_ISO_Lb0ESQ_SR_ST_SU_SY_EESZ_S10_S11_S12_S16_S17_S18_S1B_S1C_jS1D_jS1E_S1E_jjS1G_bEUljE0_EEESZ_S10_S11_S18_S1C_S1E_T6_T7_T9_mT8_S1G_bDpT10_ENKUlT_T0_E_clISt17integral_constantIbLb1EES1U_EEDaS1P_S1Q_EUlS1P_E_NS1_11comp_targetILNS1_3genE8ELNS1_11target_archE1030ELNS1_3gpuE2ELNS1_3repE0EEENS1_30default_config_static_selectorELNS0_4arch9wavefront6targetE1EEEvS12_.has_indirect_call, 0
	.section	.AMDGPU.csdata,"",@progbits
; Kernel info:
; codeLenInByte = 0
; TotalNumSgprs: 4
; NumVgprs: 0
; ScratchSize: 0
; MemoryBound: 0
; FloatMode: 240
; IeeeMode: 1
; LDSByteSize: 0 bytes/workgroup (compile time only)
; SGPRBlocks: 0
; VGPRBlocks: 0
; NumSGPRsForWavesPerEU: 4
; NumVGPRsForWavesPerEU: 1
; Occupancy: 10
; WaveLimiterHint : 0
; COMPUTE_PGM_RSRC2:SCRATCH_EN: 0
; COMPUTE_PGM_RSRC2:USER_SGPR: 6
; COMPUTE_PGM_RSRC2:TRAP_HANDLER: 0
; COMPUTE_PGM_RSRC2:TGID_X_EN: 1
; COMPUTE_PGM_RSRC2:TGID_Y_EN: 0
; COMPUTE_PGM_RSRC2:TGID_Z_EN: 0
; COMPUTE_PGM_RSRC2:TIDIG_COMP_CNT: 0
	.section	.text._ZN7rocprim17ROCPRIM_400000_NS6detail17trampoline_kernelINS0_13select_configILj256ELj13ELNS0_17block_load_methodE3ELS4_3ELS4_3ELNS0_20block_scan_algorithmE0ELj4294967295EEENS1_25partition_config_selectorILNS1_17partition_subalgoE4EjNS0_10empty_typeEbEEZZNS1_14partition_implILS8_4ELb0ES6_15HIP_vector_typeIjLj2EENS0_17counting_iteratorIjlEEPS9_SG_NS0_5tupleIJPjSI_NS0_16reverse_iteratorISI_EEEEENSH_IJSG_SG_SG_EEES9_SI_JZNS1_25segmented_radix_sort_implINS0_14default_configELb0EPKsPsPKlPlN2at6native12_GLOBAL__N_18offset_tEEE10hipError_tPvRmT1_PNSt15iterator_traitsIS12_E10value_typeET2_T3_PNS13_IS18_E10value_typeET4_jRbjT5_S1E_jjP12ihipStream_tbEUljE_ZNSN_ISO_Lb0ESQ_SR_ST_SU_SY_EESZ_S10_S11_S12_S16_S17_S18_S1B_S1C_jS1D_jS1E_S1E_jjS1G_bEUljE0_EEESZ_S10_S11_S18_S1C_S1E_T6_T7_T9_mT8_S1G_bDpT10_ENKUlT_T0_E_clISt17integral_constantIbLb1EES1T_IbLb0EEEEDaS1P_S1Q_EUlS1P_E_NS1_11comp_targetILNS1_3genE0ELNS1_11target_archE4294967295ELNS1_3gpuE0ELNS1_3repE0EEENS1_30default_config_static_selectorELNS0_4arch9wavefront6targetE1EEEvS12_,"axG",@progbits,_ZN7rocprim17ROCPRIM_400000_NS6detail17trampoline_kernelINS0_13select_configILj256ELj13ELNS0_17block_load_methodE3ELS4_3ELS4_3ELNS0_20block_scan_algorithmE0ELj4294967295EEENS1_25partition_config_selectorILNS1_17partition_subalgoE4EjNS0_10empty_typeEbEEZZNS1_14partition_implILS8_4ELb0ES6_15HIP_vector_typeIjLj2EENS0_17counting_iteratorIjlEEPS9_SG_NS0_5tupleIJPjSI_NS0_16reverse_iteratorISI_EEEEENSH_IJSG_SG_SG_EEES9_SI_JZNS1_25segmented_radix_sort_implINS0_14default_configELb0EPKsPsPKlPlN2at6native12_GLOBAL__N_18offset_tEEE10hipError_tPvRmT1_PNSt15iterator_traitsIS12_E10value_typeET2_T3_PNS13_IS18_E10value_typeET4_jRbjT5_S1E_jjP12ihipStream_tbEUljE_ZNSN_ISO_Lb0ESQ_SR_ST_SU_SY_EESZ_S10_S11_S12_S16_S17_S18_S1B_S1C_jS1D_jS1E_S1E_jjS1G_bEUljE0_EEESZ_S10_S11_S18_S1C_S1E_T6_T7_T9_mT8_S1G_bDpT10_ENKUlT_T0_E_clISt17integral_constantIbLb1EES1T_IbLb0EEEEDaS1P_S1Q_EUlS1P_E_NS1_11comp_targetILNS1_3genE0ELNS1_11target_archE4294967295ELNS1_3gpuE0ELNS1_3repE0EEENS1_30default_config_static_selectorELNS0_4arch9wavefront6targetE1EEEvS12_,comdat
	.globl	_ZN7rocprim17ROCPRIM_400000_NS6detail17trampoline_kernelINS0_13select_configILj256ELj13ELNS0_17block_load_methodE3ELS4_3ELS4_3ELNS0_20block_scan_algorithmE0ELj4294967295EEENS1_25partition_config_selectorILNS1_17partition_subalgoE4EjNS0_10empty_typeEbEEZZNS1_14partition_implILS8_4ELb0ES6_15HIP_vector_typeIjLj2EENS0_17counting_iteratorIjlEEPS9_SG_NS0_5tupleIJPjSI_NS0_16reverse_iteratorISI_EEEEENSH_IJSG_SG_SG_EEES9_SI_JZNS1_25segmented_radix_sort_implINS0_14default_configELb0EPKsPsPKlPlN2at6native12_GLOBAL__N_18offset_tEEE10hipError_tPvRmT1_PNSt15iterator_traitsIS12_E10value_typeET2_T3_PNS13_IS18_E10value_typeET4_jRbjT5_S1E_jjP12ihipStream_tbEUljE_ZNSN_ISO_Lb0ESQ_SR_ST_SU_SY_EESZ_S10_S11_S12_S16_S17_S18_S1B_S1C_jS1D_jS1E_S1E_jjS1G_bEUljE0_EEESZ_S10_S11_S18_S1C_S1E_T6_T7_T9_mT8_S1G_bDpT10_ENKUlT_T0_E_clISt17integral_constantIbLb1EES1T_IbLb0EEEEDaS1P_S1Q_EUlS1P_E_NS1_11comp_targetILNS1_3genE0ELNS1_11target_archE4294967295ELNS1_3gpuE0ELNS1_3repE0EEENS1_30default_config_static_selectorELNS0_4arch9wavefront6targetE1EEEvS12_ ; -- Begin function _ZN7rocprim17ROCPRIM_400000_NS6detail17trampoline_kernelINS0_13select_configILj256ELj13ELNS0_17block_load_methodE3ELS4_3ELS4_3ELNS0_20block_scan_algorithmE0ELj4294967295EEENS1_25partition_config_selectorILNS1_17partition_subalgoE4EjNS0_10empty_typeEbEEZZNS1_14partition_implILS8_4ELb0ES6_15HIP_vector_typeIjLj2EENS0_17counting_iteratorIjlEEPS9_SG_NS0_5tupleIJPjSI_NS0_16reverse_iteratorISI_EEEEENSH_IJSG_SG_SG_EEES9_SI_JZNS1_25segmented_radix_sort_implINS0_14default_configELb0EPKsPsPKlPlN2at6native12_GLOBAL__N_18offset_tEEE10hipError_tPvRmT1_PNSt15iterator_traitsIS12_E10value_typeET2_T3_PNS13_IS18_E10value_typeET4_jRbjT5_S1E_jjP12ihipStream_tbEUljE_ZNSN_ISO_Lb0ESQ_SR_ST_SU_SY_EESZ_S10_S11_S12_S16_S17_S18_S1B_S1C_jS1D_jS1E_S1E_jjS1G_bEUljE0_EEESZ_S10_S11_S18_S1C_S1E_T6_T7_T9_mT8_S1G_bDpT10_ENKUlT_T0_E_clISt17integral_constantIbLb1EES1T_IbLb0EEEEDaS1P_S1Q_EUlS1P_E_NS1_11comp_targetILNS1_3genE0ELNS1_11target_archE4294967295ELNS1_3gpuE0ELNS1_3repE0EEENS1_30default_config_static_selectorELNS0_4arch9wavefront6targetE1EEEvS12_
	.p2align	8
	.type	_ZN7rocprim17ROCPRIM_400000_NS6detail17trampoline_kernelINS0_13select_configILj256ELj13ELNS0_17block_load_methodE3ELS4_3ELS4_3ELNS0_20block_scan_algorithmE0ELj4294967295EEENS1_25partition_config_selectorILNS1_17partition_subalgoE4EjNS0_10empty_typeEbEEZZNS1_14partition_implILS8_4ELb0ES6_15HIP_vector_typeIjLj2EENS0_17counting_iteratorIjlEEPS9_SG_NS0_5tupleIJPjSI_NS0_16reverse_iteratorISI_EEEEENSH_IJSG_SG_SG_EEES9_SI_JZNS1_25segmented_radix_sort_implINS0_14default_configELb0EPKsPsPKlPlN2at6native12_GLOBAL__N_18offset_tEEE10hipError_tPvRmT1_PNSt15iterator_traitsIS12_E10value_typeET2_T3_PNS13_IS18_E10value_typeET4_jRbjT5_S1E_jjP12ihipStream_tbEUljE_ZNSN_ISO_Lb0ESQ_SR_ST_SU_SY_EESZ_S10_S11_S12_S16_S17_S18_S1B_S1C_jS1D_jS1E_S1E_jjS1G_bEUljE0_EEESZ_S10_S11_S18_S1C_S1E_T6_T7_T9_mT8_S1G_bDpT10_ENKUlT_T0_E_clISt17integral_constantIbLb1EES1T_IbLb0EEEEDaS1P_S1Q_EUlS1P_E_NS1_11comp_targetILNS1_3genE0ELNS1_11target_archE4294967295ELNS1_3gpuE0ELNS1_3repE0EEENS1_30default_config_static_selectorELNS0_4arch9wavefront6targetE1EEEvS12_,@function
_ZN7rocprim17ROCPRIM_400000_NS6detail17trampoline_kernelINS0_13select_configILj256ELj13ELNS0_17block_load_methodE3ELS4_3ELS4_3ELNS0_20block_scan_algorithmE0ELj4294967295EEENS1_25partition_config_selectorILNS1_17partition_subalgoE4EjNS0_10empty_typeEbEEZZNS1_14partition_implILS8_4ELb0ES6_15HIP_vector_typeIjLj2EENS0_17counting_iteratorIjlEEPS9_SG_NS0_5tupleIJPjSI_NS0_16reverse_iteratorISI_EEEEENSH_IJSG_SG_SG_EEES9_SI_JZNS1_25segmented_radix_sort_implINS0_14default_configELb0EPKsPsPKlPlN2at6native12_GLOBAL__N_18offset_tEEE10hipError_tPvRmT1_PNSt15iterator_traitsIS12_E10value_typeET2_T3_PNS13_IS18_E10value_typeET4_jRbjT5_S1E_jjP12ihipStream_tbEUljE_ZNSN_ISO_Lb0ESQ_SR_ST_SU_SY_EESZ_S10_S11_S12_S16_S17_S18_S1B_S1C_jS1D_jS1E_S1E_jjS1G_bEUljE0_EEESZ_S10_S11_S18_S1C_S1E_T6_T7_T9_mT8_S1G_bDpT10_ENKUlT_T0_E_clISt17integral_constantIbLb1EES1T_IbLb0EEEEDaS1P_S1Q_EUlS1P_E_NS1_11comp_targetILNS1_3genE0ELNS1_11target_archE4294967295ELNS1_3gpuE0ELNS1_3repE0EEENS1_30default_config_static_selectorELNS0_4arch9wavefront6targetE1EEEvS12_: ; @_ZN7rocprim17ROCPRIM_400000_NS6detail17trampoline_kernelINS0_13select_configILj256ELj13ELNS0_17block_load_methodE3ELS4_3ELS4_3ELNS0_20block_scan_algorithmE0ELj4294967295EEENS1_25partition_config_selectorILNS1_17partition_subalgoE4EjNS0_10empty_typeEbEEZZNS1_14partition_implILS8_4ELb0ES6_15HIP_vector_typeIjLj2EENS0_17counting_iteratorIjlEEPS9_SG_NS0_5tupleIJPjSI_NS0_16reverse_iteratorISI_EEEEENSH_IJSG_SG_SG_EEES9_SI_JZNS1_25segmented_radix_sort_implINS0_14default_configELb0EPKsPsPKlPlN2at6native12_GLOBAL__N_18offset_tEEE10hipError_tPvRmT1_PNSt15iterator_traitsIS12_E10value_typeET2_T3_PNS13_IS18_E10value_typeET4_jRbjT5_S1E_jjP12ihipStream_tbEUljE_ZNSN_ISO_Lb0ESQ_SR_ST_SU_SY_EESZ_S10_S11_S12_S16_S17_S18_S1B_S1C_jS1D_jS1E_S1E_jjS1G_bEUljE0_EEESZ_S10_S11_S18_S1C_S1E_T6_T7_T9_mT8_S1G_bDpT10_ENKUlT_T0_E_clISt17integral_constantIbLb1EES1T_IbLb0EEEEDaS1P_S1Q_EUlS1P_E_NS1_11comp_targetILNS1_3genE0ELNS1_11target_archE4294967295ELNS1_3gpuE0ELNS1_3repE0EEENS1_30default_config_static_selectorELNS0_4arch9wavefront6targetE1EEEvS12_
; %bb.0:
	.section	.rodata,"a",@progbits
	.p2align	6, 0x0
	.amdhsa_kernel _ZN7rocprim17ROCPRIM_400000_NS6detail17trampoline_kernelINS0_13select_configILj256ELj13ELNS0_17block_load_methodE3ELS4_3ELS4_3ELNS0_20block_scan_algorithmE0ELj4294967295EEENS1_25partition_config_selectorILNS1_17partition_subalgoE4EjNS0_10empty_typeEbEEZZNS1_14partition_implILS8_4ELb0ES6_15HIP_vector_typeIjLj2EENS0_17counting_iteratorIjlEEPS9_SG_NS0_5tupleIJPjSI_NS0_16reverse_iteratorISI_EEEEENSH_IJSG_SG_SG_EEES9_SI_JZNS1_25segmented_radix_sort_implINS0_14default_configELb0EPKsPsPKlPlN2at6native12_GLOBAL__N_18offset_tEEE10hipError_tPvRmT1_PNSt15iterator_traitsIS12_E10value_typeET2_T3_PNS13_IS18_E10value_typeET4_jRbjT5_S1E_jjP12ihipStream_tbEUljE_ZNSN_ISO_Lb0ESQ_SR_ST_SU_SY_EESZ_S10_S11_S12_S16_S17_S18_S1B_S1C_jS1D_jS1E_S1E_jjS1G_bEUljE0_EEESZ_S10_S11_S18_S1C_S1E_T6_T7_T9_mT8_S1G_bDpT10_ENKUlT_T0_E_clISt17integral_constantIbLb1EES1T_IbLb0EEEEDaS1P_S1Q_EUlS1P_E_NS1_11comp_targetILNS1_3genE0ELNS1_11target_archE4294967295ELNS1_3gpuE0ELNS1_3repE0EEENS1_30default_config_static_selectorELNS0_4arch9wavefront6targetE1EEEvS12_
		.amdhsa_group_segment_fixed_size 0
		.amdhsa_private_segment_fixed_size 0
		.amdhsa_kernarg_size 176
		.amdhsa_user_sgpr_count 6
		.amdhsa_user_sgpr_private_segment_buffer 1
		.amdhsa_user_sgpr_dispatch_ptr 0
		.amdhsa_user_sgpr_queue_ptr 0
		.amdhsa_user_sgpr_kernarg_segment_ptr 1
		.amdhsa_user_sgpr_dispatch_id 0
		.amdhsa_user_sgpr_flat_scratch_init 0
		.amdhsa_user_sgpr_private_segment_size 0
		.amdhsa_uses_dynamic_stack 0
		.amdhsa_system_sgpr_private_segment_wavefront_offset 0
		.amdhsa_system_sgpr_workgroup_id_x 1
		.amdhsa_system_sgpr_workgroup_id_y 0
		.amdhsa_system_sgpr_workgroup_id_z 0
		.amdhsa_system_sgpr_workgroup_info 0
		.amdhsa_system_vgpr_workitem_id 0
		.amdhsa_next_free_vgpr 1
		.amdhsa_next_free_sgpr 0
		.amdhsa_reserve_vcc 0
		.amdhsa_reserve_flat_scratch 0
		.amdhsa_float_round_mode_32 0
		.amdhsa_float_round_mode_16_64 0
		.amdhsa_float_denorm_mode_32 3
		.amdhsa_float_denorm_mode_16_64 3
		.amdhsa_dx10_clamp 1
		.amdhsa_ieee_mode 1
		.amdhsa_fp16_overflow 0
		.amdhsa_exception_fp_ieee_invalid_op 0
		.amdhsa_exception_fp_denorm_src 0
		.amdhsa_exception_fp_ieee_div_zero 0
		.amdhsa_exception_fp_ieee_overflow 0
		.amdhsa_exception_fp_ieee_underflow 0
		.amdhsa_exception_fp_ieee_inexact 0
		.amdhsa_exception_int_div_zero 0
	.end_amdhsa_kernel
	.section	.text._ZN7rocprim17ROCPRIM_400000_NS6detail17trampoline_kernelINS0_13select_configILj256ELj13ELNS0_17block_load_methodE3ELS4_3ELS4_3ELNS0_20block_scan_algorithmE0ELj4294967295EEENS1_25partition_config_selectorILNS1_17partition_subalgoE4EjNS0_10empty_typeEbEEZZNS1_14partition_implILS8_4ELb0ES6_15HIP_vector_typeIjLj2EENS0_17counting_iteratorIjlEEPS9_SG_NS0_5tupleIJPjSI_NS0_16reverse_iteratorISI_EEEEENSH_IJSG_SG_SG_EEES9_SI_JZNS1_25segmented_radix_sort_implINS0_14default_configELb0EPKsPsPKlPlN2at6native12_GLOBAL__N_18offset_tEEE10hipError_tPvRmT1_PNSt15iterator_traitsIS12_E10value_typeET2_T3_PNS13_IS18_E10value_typeET4_jRbjT5_S1E_jjP12ihipStream_tbEUljE_ZNSN_ISO_Lb0ESQ_SR_ST_SU_SY_EESZ_S10_S11_S12_S16_S17_S18_S1B_S1C_jS1D_jS1E_S1E_jjS1G_bEUljE0_EEESZ_S10_S11_S18_S1C_S1E_T6_T7_T9_mT8_S1G_bDpT10_ENKUlT_T0_E_clISt17integral_constantIbLb1EES1T_IbLb0EEEEDaS1P_S1Q_EUlS1P_E_NS1_11comp_targetILNS1_3genE0ELNS1_11target_archE4294967295ELNS1_3gpuE0ELNS1_3repE0EEENS1_30default_config_static_selectorELNS0_4arch9wavefront6targetE1EEEvS12_,"axG",@progbits,_ZN7rocprim17ROCPRIM_400000_NS6detail17trampoline_kernelINS0_13select_configILj256ELj13ELNS0_17block_load_methodE3ELS4_3ELS4_3ELNS0_20block_scan_algorithmE0ELj4294967295EEENS1_25partition_config_selectorILNS1_17partition_subalgoE4EjNS0_10empty_typeEbEEZZNS1_14partition_implILS8_4ELb0ES6_15HIP_vector_typeIjLj2EENS0_17counting_iteratorIjlEEPS9_SG_NS0_5tupleIJPjSI_NS0_16reverse_iteratorISI_EEEEENSH_IJSG_SG_SG_EEES9_SI_JZNS1_25segmented_radix_sort_implINS0_14default_configELb0EPKsPsPKlPlN2at6native12_GLOBAL__N_18offset_tEEE10hipError_tPvRmT1_PNSt15iterator_traitsIS12_E10value_typeET2_T3_PNS13_IS18_E10value_typeET4_jRbjT5_S1E_jjP12ihipStream_tbEUljE_ZNSN_ISO_Lb0ESQ_SR_ST_SU_SY_EESZ_S10_S11_S12_S16_S17_S18_S1B_S1C_jS1D_jS1E_S1E_jjS1G_bEUljE0_EEESZ_S10_S11_S18_S1C_S1E_T6_T7_T9_mT8_S1G_bDpT10_ENKUlT_T0_E_clISt17integral_constantIbLb1EES1T_IbLb0EEEEDaS1P_S1Q_EUlS1P_E_NS1_11comp_targetILNS1_3genE0ELNS1_11target_archE4294967295ELNS1_3gpuE0ELNS1_3repE0EEENS1_30default_config_static_selectorELNS0_4arch9wavefront6targetE1EEEvS12_,comdat
.Lfunc_end966:
	.size	_ZN7rocprim17ROCPRIM_400000_NS6detail17trampoline_kernelINS0_13select_configILj256ELj13ELNS0_17block_load_methodE3ELS4_3ELS4_3ELNS0_20block_scan_algorithmE0ELj4294967295EEENS1_25partition_config_selectorILNS1_17partition_subalgoE4EjNS0_10empty_typeEbEEZZNS1_14partition_implILS8_4ELb0ES6_15HIP_vector_typeIjLj2EENS0_17counting_iteratorIjlEEPS9_SG_NS0_5tupleIJPjSI_NS0_16reverse_iteratorISI_EEEEENSH_IJSG_SG_SG_EEES9_SI_JZNS1_25segmented_radix_sort_implINS0_14default_configELb0EPKsPsPKlPlN2at6native12_GLOBAL__N_18offset_tEEE10hipError_tPvRmT1_PNSt15iterator_traitsIS12_E10value_typeET2_T3_PNS13_IS18_E10value_typeET4_jRbjT5_S1E_jjP12ihipStream_tbEUljE_ZNSN_ISO_Lb0ESQ_SR_ST_SU_SY_EESZ_S10_S11_S12_S16_S17_S18_S1B_S1C_jS1D_jS1E_S1E_jjS1G_bEUljE0_EEESZ_S10_S11_S18_S1C_S1E_T6_T7_T9_mT8_S1G_bDpT10_ENKUlT_T0_E_clISt17integral_constantIbLb1EES1T_IbLb0EEEEDaS1P_S1Q_EUlS1P_E_NS1_11comp_targetILNS1_3genE0ELNS1_11target_archE4294967295ELNS1_3gpuE0ELNS1_3repE0EEENS1_30default_config_static_selectorELNS0_4arch9wavefront6targetE1EEEvS12_, .Lfunc_end966-_ZN7rocprim17ROCPRIM_400000_NS6detail17trampoline_kernelINS0_13select_configILj256ELj13ELNS0_17block_load_methodE3ELS4_3ELS4_3ELNS0_20block_scan_algorithmE0ELj4294967295EEENS1_25partition_config_selectorILNS1_17partition_subalgoE4EjNS0_10empty_typeEbEEZZNS1_14partition_implILS8_4ELb0ES6_15HIP_vector_typeIjLj2EENS0_17counting_iteratorIjlEEPS9_SG_NS0_5tupleIJPjSI_NS0_16reverse_iteratorISI_EEEEENSH_IJSG_SG_SG_EEES9_SI_JZNS1_25segmented_radix_sort_implINS0_14default_configELb0EPKsPsPKlPlN2at6native12_GLOBAL__N_18offset_tEEE10hipError_tPvRmT1_PNSt15iterator_traitsIS12_E10value_typeET2_T3_PNS13_IS18_E10value_typeET4_jRbjT5_S1E_jjP12ihipStream_tbEUljE_ZNSN_ISO_Lb0ESQ_SR_ST_SU_SY_EESZ_S10_S11_S12_S16_S17_S18_S1B_S1C_jS1D_jS1E_S1E_jjS1G_bEUljE0_EEESZ_S10_S11_S18_S1C_S1E_T6_T7_T9_mT8_S1G_bDpT10_ENKUlT_T0_E_clISt17integral_constantIbLb1EES1T_IbLb0EEEEDaS1P_S1Q_EUlS1P_E_NS1_11comp_targetILNS1_3genE0ELNS1_11target_archE4294967295ELNS1_3gpuE0ELNS1_3repE0EEENS1_30default_config_static_selectorELNS0_4arch9wavefront6targetE1EEEvS12_
                                        ; -- End function
	.set _ZN7rocprim17ROCPRIM_400000_NS6detail17trampoline_kernelINS0_13select_configILj256ELj13ELNS0_17block_load_methodE3ELS4_3ELS4_3ELNS0_20block_scan_algorithmE0ELj4294967295EEENS1_25partition_config_selectorILNS1_17partition_subalgoE4EjNS0_10empty_typeEbEEZZNS1_14partition_implILS8_4ELb0ES6_15HIP_vector_typeIjLj2EENS0_17counting_iteratorIjlEEPS9_SG_NS0_5tupleIJPjSI_NS0_16reverse_iteratorISI_EEEEENSH_IJSG_SG_SG_EEES9_SI_JZNS1_25segmented_radix_sort_implINS0_14default_configELb0EPKsPsPKlPlN2at6native12_GLOBAL__N_18offset_tEEE10hipError_tPvRmT1_PNSt15iterator_traitsIS12_E10value_typeET2_T3_PNS13_IS18_E10value_typeET4_jRbjT5_S1E_jjP12ihipStream_tbEUljE_ZNSN_ISO_Lb0ESQ_SR_ST_SU_SY_EESZ_S10_S11_S12_S16_S17_S18_S1B_S1C_jS1D_jS1E_S1E_jjS1G_bEUljE0_EEESZ_S10_S11_S18_S1C_S1E_T6_T7_T9_mT8_S1G_bDpT10_ENKUlT_T0_E_clISt17integral_constantIbLb1EES1T_IbLb0EEEEDaS1P_S1Q_EUlS1P_E_NS1_11comp_targetILNS1_3genE0ELNS1_11target_archE4294967295ELNS1_3gpuE0ELNS1_3repE0EEENS1_30default_config_static_selectorELNS0_4arch9wavefront6targetE1EEEvS12_.num_vgpr, 0
	.set _ZN7rocprim17ROCPRIM_400000_NS6detail17trampoline_kernelINS0_13select_configILj256ELj13ELNS0_17block_load_methodE3ELS4_3ELS4_3ELNS0_20block_scan_algorithmE0ELj4294967295EEENS1_25partition_config_selectorILNS1_17partition_subalgoE4EjNS0_10empty_typeEbEEZZNS1_14partition_implILS8_4ELb0ES6_15HIP_vector_typeIjLj2EENS0_17counting_iteratorIjlEEPS9_SG_NS0_5tupleIJPjSI_NS0_16reverse_iteratorISI_EEEEENSH_IJSG_SG_SG_EEES9_SI_JZNS1_25segmented_radix_sort_implINS0_14default_configELb0EPKsPsPKlPlN2at6native12_GLOBAL__N_18offset_tEEE10hipError_tPvRmT1_PNSt15iterator_traitsIS12_E10value_typeET2_T3_PNS13_IS18_E10value_typeET4_jRbjT5_S1E_jjP12ihipStream_tbEUljE_ZNSN_ISO_Lb0ESQ_SR_ST_SU_SY_EESZ_S10_S11_S12_S16_S17_S18_S1B_S1C_jS1D_jS1E_S1E_jjS1G_bEUljE0_EEESZ_S10_S11_S18_S1C_S1E_T6_T7_T9_mT8_S1G_bDpT10_ENKUlT_T0_E_clISt17integral_constantIbLb1EES1T_IbLb0EEEEDaS1P_S1Q_EUlS1P_E_NS1_11comp_targetILNS1_3genE0ELNS1_11target_archE4294967295ELNS1_3gpuE0ELNS1_3repE0EEENS1_30default_config_static_selectorELNS0_4arch9wavefront6targetE1EEEvS12_.num_agpr, 0
	.set _ZN7rocprim17ROCPRIM_400000_NS6detail17trampoline_kernelINS0_13select_configILj256ELj13ELNS0_17block_load_methodE3ELS4_3ELS4_3ELNS0_20block_scan_algorithmE0ELj4294967295EEENS1_25partition_config_selectorILNS1_17partition_subalgoE4EjNS0_10empty_typeEbEEZZNS1_14partition_implILS8_4ELb0ES6_15HIP_vector_typeIjLj2EENS0_17counting_iteratorIjlEEPS9_SG_NS0_5tupleIJPjSI_NS0_16reverse_iteratorISI_EEEEENSH_IJSG_SG_SG_EEES9_SI_JZNS1_25segmented_radix_sort_implINS0_14default_configELb0EPKsPsPKlPlN2at6native12_GLOBAL__N_18offset_tEEE10hipError_tPvRmT1_PNSt15iterator_traitsIS12_E10value_typeET2_T3_PNS13_IS18_E10value_typeET4_jRbjT5_S1E_jjP12ihipStream_tbEUljE_ZNSN_ISO_Lb0ESQ_SR_ST_SU_SY_EESZ_S10_S11_S12_S16_S17_S18_S1B_S1C_jS1D_jS1E_S1E_jjS1G_bEUljE0_EEESZ_S10_S11_S18_S1C_S1E_T6_T7_T9_mT8_S1G_bDpT10_ENKUlT_T0_E_clISt17integral_constantIbLb1EES1T_IbLb0EEEEDaS1P_S1Q_EUlS1P_E_NS1_11comp_targetILNS1_3genE0ELNS1_11target_archE4294967295ELNS1_3gpuE0ELNS1_3repE0EEENS1_30default_config_static_selectorELNS0_4arch9wavefront6targetE1EEEvS12_.numbered_sgpr, 0
	.set _ZN7rocprim17ROCPRIM_400000_NS6detail17trampoline_kernelINS0_13select_configILj256ELj13ELNS0_17block_load_methodE3ELS4_3ELS4_3ELNS0_20block_scan_algorithmE0ELj4294967295EEENS1_25partition_config_selectorILNS1_17partition_subalgoE4EjNS0_10empty_typeEbEEZZNS1_14partition_implILS8_4ELb0ES6_15HIP_vector_typeIjLj2EENS0_17counting_iteratorIjlEEPS9_SG_NS0_5tupleIJPjSI_NS0_16reverse_iteratorISI_EEEEENSH_IJSG_SG_SG_EEES9_SI_JZNS1_25segmented_radix_sort_implINS0_14default_configELb0EPKsPsPKlPlN2at6native12_GLOBAL__N_18offset_tEEE10hipError_tPvRmT1_PNSt15iterator_traitsIS12_E10value_typeET2_T3_PNS13_IS18_E10value_typeET4_jRbjT5_S1E_jjP12ihipStream_tbEUljE_ZNSN_ISO_Lb0ESQ_SR_ST_SU_SY_EESZ_S10_S11_S12_S16_S17_S18_S1B_S1C_jS1D_jS1E_S1E_jjS1G_bEUljE0_EEESZ_S10_S11_S18_S1C_S1E_T6_T7_T9_mT8_S1G_bDpT10_ENKUlT_T0_E_clISt17integral_constantIbLb1EES1T_IbLb0EEEEDaS1P_S1Q_EUlS1P_E_NS1_11comp_targetILNS1_3genE0ELNS1_11target_archE4294967295ELNS1_3gpuE0ELNS1_3repE0EEENS1_30default_config_static_selectorELNS0_4arch9wavefront6targetE1EEEvS12_.num_named_barrier, 0
	.set _ZN7rocprim17ROCPRIM_400000_NS6detail17trampoline_kernelINS0_13select_configILj256ELj13ELNS0_17block_load_methodE3ELS4_3ELS4_3ELNS0_20block_scan_algorithmE0ELj4294967295EEENS1_25partition_config_selectorILNS1_17partition_subalgoE4EjNS0_10empty_typeEbEEZZNS1_14partition_implILS8_4ELb0ES6_15HIP_vector_typeIjLj2EENS0_17counting_iteratorIjlEEPS9_SG_NS0_5tupleIJPjSI_NS0_16reverse_iteratorISI_EEEEENSH_IJSG_SG_SG_EEES9_SI_JZNS1_25segmented_radix_sort_implINS0_14default_configELb0EPKsPsPKlPlN2at6native12_GLOBAL__N_18offset_tEEE10hipError_tPvRmT1_PNSt15iterator_traitsIS12_E10value_typeET2_T3_PNS13_IS18_E10value_typeET4_jRbjT5_S1E_jjP12ihipStream_tbEUljE_ZNSN_ISO_Lb0ESQ_SR_ST_SU_SY_EESZ_S10_S11_S12_S16_S17_S18_S1B_S1C_jS1D_jS1E_S1E_jjS1G_bEUljE0_EEESZ_S10_S11_S18_S1C_S1E_T6_T7_T9_mT8_S1G_bDpT10_ENKUlT_T0_E_clISt17integral_constantIbLb1EES1T_IbLb0EEEEDaS1P_S1Q_EUlS1P_E_NS1_11comp_targetILNS1_3genE0ELNS1_11target_archE4294967295ELNS1_3gpuE0ELNS1_3repE0EEENS1_30default_config_static_selectorELNS0_4arch9wavefront6targetE1EEEvS12_.private_seg_size, 0
	.set _ZN7rocprim17ROCPRIM_400000_NS6detail17trampoline_kernelINS0_13select_configILj256ELj13ELNS0_17block_load_methodE3ELS4_3ELS4_3ELNS0_20block_scan_algorithmE0ELj4294967295EEENS1_25partition_config_selectorILNS1_17partition_subalgoE4EjNS0_10empty_typeEbEEZZNS1_14partition_implILS8_4ELb0ES6_15HIP_vector_typeIjLj2EENS0_17counting_iteratorIjlEEPS9_SG_NS0_5tupleIJPjSI_NS0_16reverse_iteratorISI_EEEEENSH_IJSG_SG_SG_EEES9_SI_JZNS1_25segmented_radix_sort_implINS0_14default_configELb0EPKsPsPKlPlN2at6native12_GLOBAL__N_18offset_tEEE10hipError_tPvRmT1_PNSt15iterator_traitsIS12_E10value_typeET2_T3_PNS13_IS18_E10value_typeET4_jRbjT5_S1E_jjP12ihipStream_tbEUljE_ZNSN_ISO_Lb0ESQ_SR_ST_SU_SY_EESZ_S10_S11_S12_S16_S17_S18_S1B_S1C_jS1D_jS1E_S1E_jjS1G_bEUljE0_EEESZ_S10_S11_S18_S1C_S1E_T6_T7_T9_mT8_S1G_bDpT10_ENKUlT_T0_E_clISt17integral_constantIbLb1EES1T_IbLb0EEEEDaS1P_S1Q_EUlS1P_E_NS1_11comp_targetILNS1_3genE0ELNS1_11target_archE4294967295ELNS1_3gpuE0ELNS1_3repE0EEENS1_30default_config_static_selectorELNS0_4arch9wavefront6targetE1EEEvS12_.uses_vcc, 0
	.set _ZN7rocprim17ROCPRIM_400000_NS6detail17trampoline_kernelINS0_13select_configILj256ELj13ELNS0_17block_load_methodE3ELS4_3ELS4_3ELNS0_20block_scan_algorithmE0ELj4294967295EEENS1_25partition_config_selectorILNS1_17partition_subalgoE4EjNS0_10empty_typeEbEEZZNS1_14partition_implILS8_4ELb0ES6_15HIP_vector_typeIjLj2EENS0_17counting_iteratorIjlEEPS9_SG_NS0_5tupleIJPjSI_NS0_16reverse_iteratorISI_EEEEENSH_IJSG_SG_SG_EEES9_SI_JZNS1_25segmented_radix_sort_implINS0_14default_configELb0EPKsPsPKlPlN2at6native12_GLOBAL__N_18offset_tEEE10hipError_tPvRmT1_PNSt15iterator_traitsIS12_E10value_typeET2_T3_PNS13_IS18_E10value_typeET4_jRbjT5_S1E_jjP12ihipStream_tbEUljE_ZNSN_ISO_Lb0ESQ_SR_ST_SU_SY_EESZ_S10_S11_S12_S16_S17_S18_S1B_S1C_jS1D_jS1E_S1E_jjS1G_bEUljE0_EEESZ_S10_S11_S18_S1C_S1E_T6_T7_T9_mT8_S1G_bDpT10_ENKUlT_T0_E_clISt17integral_constantIbLb1EES1T_IbLb0EEEEDaS1P_S1Q_EUlS1P_E_NS1_11comp_targetILNS1_3genE0ELNS1_11target_archE4294967295ELNS1_3gpuE0ELNS1_3repE0EEENS1_30default_config_static_selectorELNS0_4arch9wavefront6targetE1EEEvS12_.uses_flat_scratch, 0
	.set _ZN7rocprim17ROCPRIM_400000_NS6detail17trampoline_kernelINS0_13select_configILj256ELj13ELNS0_17block_load_methodE3ELS4_3ELS4_3ELNS0_20block_scan_algorithmE0ELj4294967295EEENS1_25partition_config_selectorILNS1_17partition_subalgoE4EjNS0_10empty_typeEbEEZZNS1_14partition_implILS8_4ELb0ES6_15HIP_vector_typeIjLj2EENS0_17counting_iteratorIjlEEPS9_SG_NS0_5tupleIJPjSI_NS0_16reverse_iteratorISI_EEEEENSH_IJSG_SG_SG_EEES9_SI_JZNS1_25segmented_radix_sort_implINS0_14default_configELb0EPKsPsPKlPlN2at6native12_GLOBAL__N_18offset_tEEE10hipError_tPvRmT1_PNSt15iterator_traitsIS12_E10value_typeET2_T3_PNS13_IS18_E10value_typeET4_jRbjT5_S1E_jjP12ihipStream_tbEUljE_ZNSN_ISO_Lb0ESQ_SR_ST_SU_SY_EESZ_S10_S11_S12_S16_S17_S18_S1B_S1C_jS1D_jS1E_S1E_jjS1G_bEUljE0_EEESZ_S10_S11_S18_S1C_S1E_T6_T7_T9_mT8_S1G_bDpT10_ENKUlT_T0_E_clISt17integral_constantIbLb1EES1T_IbLb0EEEEDaS1P_S1Q_EUlS1P_E_NS1_11comp_targetILNS1_3genE0ELNS1_11target_archE4294967295ELNS1_3gpuE0ELNS1_3repE0EEENS1_30default_config_static_selectorELNS0_4arch9wavefront6targetE1EEEvS12_.has_dyn_sized_stack, 0
	.set _ZN7rocprim17ROCPRIM_400000_NS6detail17trampoline_kernelINS0_13select_configILj256ELj13ELNS0_17block_load_methodE3ELS4_3ELS4_3ELNS0_20block_scan_algorithmE0ELj4294967295EEENS1_25partition_config_selectorILNS1_17partition_subalgoE4EjNS0_10empty_typeEbEEZZNS1_14partition_implILS8_4ELb0ES6_15HIP_vector_typeIjLj2EENS0_17counting_iteratorIjlEEPS9_SG_NS0_5tupleIJPjSI_NS0_16reverse_iteratorISI_EEEEENSH_IJSG_SG_SG_EEES9_SI_JZNS1_25segmented_radix_sort_implINS0_14default_configELb0EPKsPsPKlPlN2at6native12_GLOBAL__N_18offset_tEEE10hipError_tPvRmT1_PNSt15iterator_traitsIS12_E10value_typeET2_T3_PNS13_IS18_E10value_typeET4_jRbjT5_S1E_jjP12ihipStream_tbEUljE_ZNSN_ISO_Lb0ESQ_SR_ST_SU_SY_EESZ_S10_S11_S12_S16_S17_S18_S1B_S1C_jS1D_jS1E_S1E_jjS1G_bEUljE0_EEESZ_S10_S11_S18_S1C_S1E_T6_T7_T9_mT8_S1G_bDpT10_ENKUlT_T0_E_clISt17integral_constantIbLb1EES1T_IbLb0EEEEDaS1P_S1Q_EUlS1P_E_NS1_11comp_targetILNS1_3genE0ELNS1_11target_archE4294967295ELNS1_3gpuE0ELNS1_3repE0EEENS1_30default_config_static_selectorELNS0_4arch9wavefront6targetE1EEEvS12_.has_recursion, 0
	.set _ZN7rocprim17ROCPRIM_400000_NS6detail17trampoline_kernelINS0_13select_configILj256ELj13ELNS0_17block_load_methodE3ELS4_3ELS4_3ELNS0_20block_scan_algorithmE0ELj4294967295EEENS1_25partition_config_selectorILNS1_17partition_subalgoE4EjNS0_10empty_typeEbEEZZNS1_14partition_implILS8_4ELb0ES6_15HIP_vector_typeIjLj2EENS0_17counting_iteratorIjlEEPS9_SG_NS0_5tupleIJPjSI_NS0_16reverse_iteratorISI_EEEEENSH_IJSG_SG_SG_EEES9_SI_JZNS1_25segmented_radix_sort_implINS0_14default_configELb0EPKsPsPKlPlN2at6native12_GLOBAL__N_18offset_tEEE10hipError_tPvRmT1_PNSt15iterator_traitsIS12_E10value_typeET2_T3_PNS13_IS18_E10value_typeET4_jRbjT5_S1E_jjP12ihipStream_tbEUljE_ZNSN_ISO_Lb0ESQ_SR_ST_SU_SY_EESZ_S10_S11_S12_S16_S17_S18_S1B_S1C_jS1D_jS1E_S1E_jjS1G_bEUljE0_EEESZ_S10_S11_S18_S1C_S1E_T6_T7_T9_mT8_S1G_bDpT10_ENKUlT_T0_E_clISt17integral_constantIbLb1EES1T_IbLb0EEEEDaS1P_S1Q_EUlS1P_E_NS1_11comp_targetILNS1_3genE0ELNS1_11target_archE4294967295ELNS1_3gpuE0ELNS1_3repE0EEENS1_30default_config_static_selectorELNS0_4arch9wavefront6targetE1EEEvS12_.has_indirect_call, 0
	.section	.AMDGPU.csdata,"",@progbits
; Kernel info:
; codeLenInByte = 0
; TotalNumSgprs: 4
; NumVgprs: 0
; ScratchSize: 0
; MemoryBound: 0
; FloatMode: 240
; IeeeMode: 1
; LDSByteSize: 0 bytes/workgroup (compile time only)
; SGPRBlocks: 0
; VGPRBlocks: 0
; NumSGPRsForWavesPerEU: 4
; NumVGPRsForWavesPerEU: 1
; Occupancy: 10
; WaveLimiterHint : 0
; COMPUTE_PGM_RSRC2:SCRATCH_EN: 0
; COMPUTE_PGM_RSRC2:USER_SGPR: 6
; COMPUTE_PGM_RSRC2:TRAP_HANDLER: 0
; COMPUTE_PGM_RSRC2:TGID_X_EN: 1
; COMPUTE_PGM_RSRC2:TGID_Y_EN: 0
; COMPUTE_PGM_RSRC2:TGID_Z_EN: 0
; COMPUTE_PGM_RSRC2:TIDIG_COMP_CNT: 0
	.section	.text._ZN7rocprim17ROCPRIM_400000_NS6detail17trampoline_kernelINS0_13select_configILj256ELj13ELNS0_17block_load_methodE3ELS4_3ELS4_3ELNS0_20block_scan_algorithmE0ELj4294967295EEENS1_25partition_config_selectorILNS1_17partition_subalgoE4EjNS0_10empty_typeEbEEZZNS1_14partition_implILS8_4ELb0ES6_15HIP_vector_typeIjLj2EENS0_17counting_iteratorIjlEEPS9_SG_NS0_5tupleIJPjSI_NS0_16reverse_iteratorISI_EEEEENSH_IJSG_SG_SG_EEES9_SI_JZNS1_25segmented_radix_sort_implINS0_14default_configELb0EPKsPsPKlPlN2at6native12_GLOBAL__N_18offset_tEEE10hipError_tPvRmT1_PNSt15iterator_traitsIS12_E10value_typeET2_T3_PNS13_IS18_E10value_typeET4_jRbjT5_S1E_jjP12ihipStream_tbEUljE_ZNSN_ISO_Lb0ESQ_SR_ST_SU_SY_EESZ_S10_S11_S12_S16_S17_S18_S1B_S1C_jS1D_jS1E_S1E_jjS1G_bEUljE0_EEESZ_S10_S11_S18_S1C_S1E_T6_T7_T9_mT8_S1G_bDpT10_ENKUlT_T0_E_clISt17integral_constantIbLb1EES1T_IbLb0EEEEDaS1P_S1Q_EUlS1P_E_NS1_11comp_targetILNS1_3genE5ELNS1_11target_archE942ELNS1_3gpuE9ELNS1_3repE0EEENS1_30default_config_static_selectorELNS0_4arch9wavefront6targetE1EEEvS12_,"axG",@progbits,_ZN7rocprim17ROCPRIM_400000_NS6detail17trampoline_kernelINS0_13select_configILj256ELj13ELNS0_17block_load_methodE3ELS4_3ELS4_3ELNS0_20block_scan_algorithmE0ELj4294967295EEENS1_25partition_config_selectorILNS1_17partition_subalgoE4EjNS0_10empty_typeEbEEZZNS1_14partition_implILS8_4ELb0ES6_15HIP_vector_typeIjLj2EENS0_17counting_iteratorIjlEEPS9_SG_NS0_5tupleIJPjSI_NS0_16reverse_iteratorISI_EEEEENSH_IJSG_SG_SG_EEES9_SI_JZNS1_25segmented_radix_sort_implINS0_14default_configELb0EPKsPsPKlPlN2at6native12_GLOBAL__N_18offset_tEEE10hipError_tPvRmT1_PNSt15iterator_traitsIS12_E10value_typeET2_T3_PNS13_IS18_E10value_typeET4_jRbjT5_S1E_jjP12ihipStream_tbEUljE_ZNSN_ISO_Lb0ESQ_SR_ST_SU_SY_EESZ_S10_S11_S12_S16_S17_S18_S1B_S1C_jS1D_jS1E_S1E_jjS1G_bEUljE0_EEESZ_S10_S11_S18_S1C_S1E_T6_T7_T9_mT8_S1G_bDpT10_ENKUlT_T0_E_clISt17integral_constantIbLb1EES1T_IbLb0EEEEDaS1P_S1Q_EUlS1P_E_NS1_11comp_targetILNS1_3genE5ELNS1_11target_archE942ELNS1_3gpuE9ELNS1_3repE0EEENS1_30default_config_static_selectorELNS0_4arch9wavefront6targetE1EEEvS12_,comdat
	.globl	_ZN7rocprim17ROCPRIM_400000_NS6detail17trampoline_kernelINS0_13select_configILj256ELj13ELNS0_17block_load_methodE3ELS4_3ELS4_3ELNS0_20block_scan_algorithmE0ELj4294967295EEENS1_25partition_config_selectorILNS1_17partition_subalgoE4EjNS0_10empty_typeEbEEZZNS1_14partition_implILS8_4ELb0ES6_15HIP_vector_typeIjLj2EENS0_17counting_iteratorIjlEEPS9_SG_NS0_5tupleIJPjSI_NS0_16reverse_iteratorISI_EEEEENSH_IJSG_SG_SG_EEES9_SI_JZNS1_25segmented_radix_sort_implINS0_14default_configELb0EPKsPsPKlPlN2at6native12_GLOBAL__N_18offset_tEEE10hipError_tPvRmT1_PNSt15iterator_traitsIS12_E10value_typeET2_T3_PNS13_IS18_E10value_typeET4_jRbjT5_S1E_jjP12ihipStream_tbEUljE_ZNSN_ISO_Lb0ESQ_SR_ST_SU_SY_EESZ_S10_S11_S12_S16_S17_S18_S1B_S1C_jS1D_jS1E_S1E_jjS1G_bEUljE0_EEESZ_S10_S11_S18_S1C_S1E_T6_T7_T9_mT8_S1G_bDpT10_ENKUlT_T0_E_clISt17integral_constantIbLb1EES1T_IbLb0EEEEDaS1P_S1Q_EUlS1P_E_NS1_11comp_targetILNS1_3genE5ELNS1_11target_archE942ELNS1_3gpuE9ELNS1_3repE0EEENS1_30default_config_static_selectorELNS0_4arch9wavefront6targetE1EEEvS12_ ; -- Begin function _ZN7rocprim17ROCPRIM_400000_NS6detail17trampoline_kernelINS0_13select_configILj256ELj13ELNS0_17block_load_methodE3ELS4_3ELS4_3ELNS0_20block_scan_algorithmE0ELj4294967295EEENS1_25partition_config_selectorILNS1_17partition_subalgoE4EjNS0_10empty_typeEbEEZZNS1_14partition_implILS8_4ELb0ES6_15HIP_vector_typeIjLj2EENS0_17counting_iteratorIjlEEPS9_SG_NS0_5tupleIJPjSI_NS0_16reverse_iteratorISI_EEEEENSH_IJSG_SG_SG_EEES9_SI_JZNS1_25segmented_radix_sort_implINS0_14default_configELb0EPKsPsPKlPlN2at6native12_GLOBAL__N_18offset_tEEE10hipError_tPvRmT1_PNSt15iterator_traitsIS12_E10value_typeET2_T3_PNS13_IS18_E10value_typeET4_jRbjT5_S1E_jjP12ihipStream_tbEUljE_ZNSN_ISO_Lb0ESQ_SR_ST_SU_SY_EESZ_S10_S11_S12_S16_S17_S18_S1B_S1C_jS1D_jS1E_S1E_jjS1G_bEUljE0_EEESZ_S10_S11_S18_S1C_S1E_T6_T7_T9_mT8_S1G_bDpT10_ENKUlT_T0_E_clISt17integral_constantIbLb1EES1T_IbLb0EEEEDaS1P_S1Q_EUlS1P_E_NS1_11comp_targetILNS1_3genE5ELNS1_11target_archE942ELNS1_3gpuE9ELNS1_3repE0EEENS1_30default_config_static_selectorELNS0_4arch9wavefront6targetE1EEEvS12_
	.p2align	8
	.type	_ZN7rocprim17ROCPRIM_400000_NS6detail17trampoline_kernelINS0_13select_configILj256ELj13ELNS0_17block_load_methodE3ELS4_3ELS4_3ELNS0_20block_scan_algorithmE0ELj4294967295EEENS1_25partition_config_selectorILNS1_17partition_subalgoE4EjNS0_10empty_typeEbEEZZNS1_14partition_implILS8_4ELb0ES6_15HIP_vector_typeIjLj2EENS0_17counting_iteratorIjlEEPS9_SG_NS0_5tupleIJPjSI_NS0_16reverse_iteratorISI_EEEEENSH_IJSG_SG_SG_EEES9_SI_JZNS1_25segmented_radix_sort_implINS0_14default_configELb0EPKsPsPKlPlN2at6native12_GLOBAL__N_18offset_tEEE10hipError_tPvRmT1_PNSt15iterator_traitsIS12_E10value_typeET2_T3_PNS13_IS18_E10value_typeET4_jRbjT5_S1E_jjP12ihipStream_tbEUljE_ZNSN_ISO_Lb0ESQ_SR_ST_SU_SY_EESZ_S10_S11_S12_S16_S17_S18_S1B_S1C_jS1D_jS1E_S1E_jjS1G_bEUljE0_EEESZ_S10_S11_S18_S1C_S1E_T6_T7_T9_mT8_S1G_bDpT10_ENKUlT_T0_E_clISt17integral_constantIbLb1EES1T_IbLb0EEEEDaS1P_S1Q_EUlS1P_E_NS1_11comp_targetILNS1_3genE5ELNS1_11target_archE942ELNS1_3gpuE9ELNS1_3repE0EEENS1_30default_config_static_selectorELNS0_4arch9wavefront6targetE1EEEvS12_,@function
_ZN7rocprim17ROCPRIM_400000_NS6detail17trampoline_kernelINS0_13select_configILj256ELj13ELNS0_17block_load_methodE3ELS4_3ELS4_3ELNS0_20block_scan_algorithmE0ELj4294967295EEENS1_25partition_config_selectorILNS1_17partition_subalgoE4EjNS0_10empty_typeEbEEZZNS1_14partition_implILS8_4ELb0ES6_15HIP_vector_typeIjLj2EENS0_17counting_iteratorIjlEEPS9_SG_NS0_5tupleIJPjSI_NS0_16reverse_iteratorISI_EEEEENSH_IJSG_SG_SG_EEES9_SI_JZNS1_25segmented_radix_sort_implINS0_14default_configELb0EPKsPsPKlPlN2at6native12_GLOBAL__N_18offset_tEEE10hipError_tPvRmT1_PNSt15iterator_traitsIS12_E10value_typeET2_T3_PNS13_IS18_E10value_typeET4_jRbjT5_S1E_jjP12ihipStream_tbEUljE_ZNSN_ISO_Lb0ESQ_SR_ST_SU_SY_EESZ_S10_S11_S12_S16_S17_S18_S1B_S1C_jS1D_jS1E_S1E_jjS1G_bEUljE0_EEESZ_S10_S11_S18_S1C_S1E_T6_T7_T9_mT8_S1G_bDpT10_ENKUlT_T0_E_clISt17integral_constantIbLb1EES1T_IbLb0EEEEDaS1P_S1Q_EUlS1P_E_NS1_11comp_targetILNS1_3genE5ELNS1_11target_archE942ELNS1_3gpuE9ELNS1_3repE0EEENS1_30default_config_static_selectorELNS0_4arch9wavefront6targetE1EEEvS12_: ; @_ZN7rocprim17ROCPRIM_400000_NS6detail17trampoline_kernelINS0_13select_configILj256ELj13ELNS0_17block_load_methodE3ELS4_3ELS4_3ELNS0_20block_scan_algorithmE0ELj4294967295EEENS1_25partition_config_selectorILNS1_17partition_subalgoE4EjNS0_10empty_typeEbEEZZNS1_14partition_implILS8_4ELb0ES6_15HIP_vector_typeIjLj2EENS0_17counting_iteratorIjlEEPS9_SG_NS0_5tupleIJPjSI_NS0_16reverse_iteratorISI_EEEEENSH_IJSG_SG_SG_EEES9_SI_JZNS1_25segmented_radix_sort_implINS0_14default_configELb0EPKsPsPKlPlN2at6native12_GLOBAL__N_18offset_tEEE10hipError_tPvRmT1_PNSt15iterator_traitsIS12_E10value_typeET2_T3_PNS13_IS18_E10value_typeET4_jRbjT5_S1E_jjP12ihipStream_tbEUljE_ZNSN_ISO_Lb0ESQ_SR_ST_SU_SY_EESZ_S10_S11_S12_S16_S17_S18_S1B_S1C_jS1D_jS1E_S1E_jjS1G_bEUljE0_EEESZ_S10_S11_S18_S1C_S1E_T6_T7_T9_mT8_S1G_bDpT10_ENKUlT_T0_E_clISt17integral_constantIbLb1EES1T_IbLb0EEEEDaS1P_S1Q_EUlS1P_E_NS1_11comp_targetILNS1_3genE5ELNS1_11target_archE942ELNS1_3gpuE9ELNS1_3repE0EEENS1_30default_config_static_selectorELNS0_4arch9wavefront6targetE1EEEvS12_
; %bb.0:
	.section	.rodata,"a",@progbits
	.p2align	6, 0x0
	.amdhsa_kernel _ZN7rocprim17ROCPRIM_400000_NS6detail17trampoline_kernelINS0_13select_configILj256ELj13ELNS0_17block_load_methodE3ELS4_3ELS4_3ELNS0_20block_scan_algorithmE0ELj4294967295EEENS1_25partition_config_selectorILNS1_17partition_subalgoE4EjNS0_10empty_typeEbEEZZNS1_14partition_implILS8_4ELb0ES6_15HIP_vector_typeIjLj2EENS0_17counting_iteratorIjlEEPS9_SG_NS0_5tupleIJPjSI_NS0_16reverse_iteratorISI_EEEEENSH_IJSG_SG_SG_EEES9_SI_JZNS1_25segmented_radix_sort_implINS0_14default_configELb0EPKsPsPKlPlN2at6native12_GLOBAL__N_18offset_tEEE10hipError_tPvRmT1_PNSt15iterator_traitsIS12_E10value_typeET2_T3_PNS13_IS18_E10value_typeET4_jRbjT5_S1E_jjP12ihipStream_tbEUljE_ZNSN_ISO_Lb0ESQ_SR_ST_SU_SY_EESZ_S10_S11_S12_S16_S17_S18_S1B_S1C_jS1D_jS1E_S1E_jjS1G_bEUljE0_EEESZ_S10_S11_S18_S1C_S1E_T6_T7_T9_mT8_S1G_bDpT10_ENKUlT_T0_E_clISt17integral_constantIbLb1EES1T_IbLb0EEEEDaS1P_S1Q_EUlS1P_E_NS1_11comp_targetILNS1_3genE5ELNS1_11target_archE942ELNS1_3gpuE9ELNS1_3repE0EEENS1_30default_config_static_selectorELNS0_4arch9wavefront6targetE1EEEvS12_
		.amdhsa_group_segment_fixed_size 0
		.amdhsa_private_segment_fixed_size 0
		.amdhsa_kernarg_size 176
		.amdhsa_user_sgpr_count 6
		.amdhsa_user_sgpr_private_segment_buffer 1
		.amdhsa_user_sgpr_dispatch_ptr 0
		.amdhsa_user_sgpr_queue_ptr 0
		.amdhsa_user_sgpr_kernarg_segment_ptr 1
		.amdhsa_user_sgpr_dispatch_id 0
		.amdhsa_user_sgpr_flat_scratch_init 0
		.amdhsa_user_sgpr_private_segment_size 0
		.amdhsa_uses_dynamic_stack 0
		.amdhsa_system_sgpr_private_segment_wavefront_offset 0
		.amdhsa_system_sgpr_workgroup_id_x 1
		.amdhsa_system_sgpr_workgroup_id_y 0
		.amdhsa_system_sgpr_workgroup_id_z 0
		.amdhsa_system_sgpr_workgroup_info 0
		.amdhsa_system_vgpr_workitem_id 0
		.amdhsa_next_free_vgpr 1
		.amdhsa_next_free_sgpr 0
		.amdhsa_reserve_vcc 0
		.amdhsa_reserve_flat_scratch 0
		.amdhsa_float_round_mode_32 0
		.amdhsa_float_round_mode_16_64 0
		.amdhsa_float_denorm_mode_32 3
		.amdhsa_float_denorm_mode_16_64 3
		.amdhsa_dx10_clamp 1
		.amdhsa_ieee_mode 1
		.amdhsa_fp16_overflow 0
		.amdhsa_exception_fp_ieee_invalid_op 0
		.amdhsa_exception_fp_denorm_src 0
		.amdhsa_exception_fp_ieee_div_zero 0
		.amdhsa_exception_fp_ieee_overflow 0
		.amdhsa_exception_fp_ieee_underflow 0
		.amdhsa_exception_fp_ieee_inexact 0
		.amdhsa_exception_int_div_zero 0
	.end_amdhsa_kernel
	.section	.text._ZN7rocprim17ROCPRIM_400000_NS6detail17trampoline_kernelINS0_13select_configILj256ELj13ELNS0_17block_load_methodE3ELS4_3ELS4_3ELNS0_20block_scan_algorithmE0ELj4294967295EEENS1_25partition_config_selectorILNS1_17partition_subalgoE4EjNS0_10empty_typeEbEEZZNS1_14partition_implILS8_4ELb0ES6_15HIP_vector_typeIjLj2EENS0_17counting_iteratorIjlEEPS9_SG_NS0_5tupleIJPjSI_NS0_16reverse_iteratorISI_EEEEENSH_IJSG_SG_SG_EEES9_SI_JZNS1_25segmented_radix_sort_implINS0_14default_configELb0EPKsPsPKlPlN2at6native12_GLOBAL__N_18offset_tEEE10hipError_tPvRmT1_PNSt15iterator_traitsIS12_E10value_typeET2_T3_PNS13_IS18_E10value_typeET4_jRbjT5_S1E_jjP12ihipStream_tbEUljE_ZNSN_ISO_Lb0ESQ_SR_ST_SU_SY_EESZ_S10_S11_S12_S16_S17_S18_S1B_S1C_jS1D_jS1E_S1E_jjS1G_bEUljE0_EEESZ_S10_S11_S18_S1C_S1E_T6_T7_T9_mT8_S1G_bDpT10_ENKUlT_T0_E_clISt17integral_constantIbLb1EES1T_IbLb0EEEEDaS1P_S1Q_EUlS1P_E_NS1_11comp_targetILNS1_3genE5ELNS1_11target_archE942ELNS1_3gpuE9ELNS1_3repE0EEENS1_30default_config_static_selectorELNS0_4arch9wavefront6targetE1EEEvS12_,"axG",@progbits,_ZN7rocprim17ROCPRIM_400000_NS6detail17trampoline_kernelINS0_13select_configILj256ELj13ELNS0_17block_load_methodE3ELS4_3ELS4_3ELNS0_20block_scan_algorithmE0ELj4294967295EEENS1_25partition_config_selectorILNS1_17partition_subalgoE4EjNS0_10empty_typeEbEEZZNS1_14partition_implILS8_4ELb0ES6_15HIP_vector_typeIjLj2EENS0_17counting_iteratorIjlEEPS9_SG_NS0_5tupleIJPjSI_NS0_16reverse_iteratorISI_EEEEENSH_IJSG_SG_SG_EEES9_SI_JZNS1_25segmented_radix_sort_implINS0_14default_configELb0EPKsPsPKlPlN2at6native12_GLOBAL__N_18offset_tEEE10hipError_tPvRmT1_PNSt15iterator_traitsIS12_E10value_typeET2_T3_PNS13_IS18_E10value_typeET4_jRbjT5_S1E_jjP12ihipStream_tbEUljE_ZNSN_ISO_Lb0ESQ_SR_ST_SU_SY_EESZ_S10_S11_S12_S16_S17_S18_S1B_S1C_jS1D_jS1E_S1E_jjS1G_bEUljE0_EEESZ_S10_S11_S18_S1C_S1E_T6_T7_T9_mT8_S1G_bDpT10_ENKUlT_T0_E_clISt17integral_constantIbLb1EES1T_IbLb0EEEEDaS1P_S1Q_EUlS1P_E_NS1_11comp_targetILNS1_3genE5ELNS1_11target_archE942ELNS1_3gpuE9ELNS1_3repE0EEENS1_30default_config_static_selectorELNS0_4arch9wavefront6targetE1EEEvS12_,comdat
.Lfunc_end967:
	.size	_ZN7rocprim17ROCPRIM_400000_NS6detail17trampoline_kernelINS0_13select_configILj256ELj13ELNS0_17block_load_methodE3ELS4_3ELS4_3ELNS0_20block_scan_algorithmE0ELj4294967295EEENS1_25partition_config_selectorILNS1_17partition_subalgoE4EjNS0_10empty_typeEbEEZZNS1_14partition_implILS8_4ELb0ES6_15HIP_vector_typeIjLj2EENS0_17counting_iteratorIjlEEPS9_SG_NS0_5tupleIJPjSI_NS0_16reverse_iteratorISI_EEEEENSH_IJSG_SG_SG_EEES9_SI_JZNS1_25segmented_radix_sort_implINS0_14default_configELb0EPKsPsPKlPlN2at6native12_GLOBAL__N_18offset_tEEE10hipError_tPvRmT1_PNSt15iterator_traitsIS12_E10value_typeET2_T3_PNS13_IS18_E10value_typeET4_jRbjT5_S1E_jjP12ihipStream_tbEUljE_ZNSN_ISO_Lb0ESQ_SR_ST_SU_SY_EESZ_S10_S11_S12_S16_S17_S18_S1B_S1C_jS1D_jS1E_S1E_jjS1G_bEUljE0_EEESZ_S10_S11_S18_S1C_S1E_T6_T7_T9_mT8_S1G_bDpT10_ENKUlT_T0_E_clISt17integral_constantIbLb1EES1T_IbLb0EEEEDaS1P_S1Q_EUlS1P_E_NS1_11comp_targetILNS1_3genE5ELNS1_11target_archE942ELNS1_3gpuE9ELNS1_3repE0EEENS1_30default_config_static_selectorELNS0_4arch9wavefront6targetE1EEEvS12_, .Lfunc_end967-_ZN7rocprim17ROCPRIM_400000_NS6detail17trampoline_kernelINS0_13select_configILj256ELj13ELNS0_17block_load_methodE3ELS4_3ELS4_3ELNS0_20block_scan_algorithmE0ELj4294967295EEENS1_25partition_config_selectorILNS1_17partition_subalgoE4EjNS0_10empty_typeEbEEZZNS1_14partition_implILS8_4ELb0ES6_15HIP_vector_typeIjLj2EENS0_17counting_iteratorIjlEEPS9_SG_NS0_5tupleIJPjSI_NS0_16reverse_iteratorISI_EEEEENSH_IJSG_SG_SG_EEES9_SI_JZNS1_25segmented_radix_sort_implINS0_14default_configELb0EPKsPsPKlPlN2at6native12_GLOBAL__N_18offset_tEEE10hipError_tPvRmT1_PNSt15iterator_traitsIS12_E10value_typeET2_T3_PNS13_IS18_E10value_typeET4_jRbjT5_S1E_jjP12ihipStream_tbEUljE_ZNSN_ISO_Lb0ESQ_SR_ST_SU_SY_EESZ_S10_S11_S12_S16_S17_S18_S1B_S1C_jS1D_jS1E_S1E_jjS1G_bEUljE0_EEESZ_S10_S11_S18_S1C_S1E_T6_T7_T9_mT8_S1G_bDpT10_ENKUlT_T0_E_clISt17integral_constantIbLb1EES1T_IbLb0EEEEDaS1P_S1Q_EUlS1P_E_NS1_11comp_targetILNS1_3genE5ELNS1_11target_archE942ELNS1_3gpuE9ELNS1_3repE0EEENS1_30default_config_static_selectorELNS0_4arch9wavefront6targetE1EEEvS12_
                                        ; -- End function
	.set _ZN7rocprim17ROCPRIM_400000_NS6detail17trampoline_kernelINS0_13select_configILj256ELj13ELNS0_17block_load_methodE3ELS4_3ELS4_3ELNS0_20block_scan_algorithmE0ELj4294967295EEENS1_25partition_config_selectorILNS1_17partition_subalgoE4EjNS0_10empty_typeEbEEZZNS1_14partition_implILS8_4ELb0ES6_15HIP_vector_typeIjLj2EENS0_17counting_iteratorIjlEEPS9_SG_NS0_5tupleIJPjSI_NS0_16reverse_iteratorISI_EEEEENSH_IJSG_SG_SG_EEES9_SI_JZNS1_25segmented_radix_sort_implINS0_14default_configELb0EPKsPsPKlPlN2at6native12_GLOBAL__N_18offset_tEEE10hipError_tPvRmT1_PNSt15iterator_traitsIS12_E10value_typeET2_T3_PNS13_IS18_E10value_typeET4_jRbjT5_S1E_jjP12ihipStream_tbEUljE_ZNSN_ISO_Lb0ESQ_SR_ST_SU_SY_EESZ_S10_S11_S12_S16_S17_S18_S1B_S1C_jS1D_jS1E_S1E_jjS1G_bEUljE0_EEESZ_S10_S11_S18_S1C_S1E_T6_T7_T9_mT8_S1G_bDpT10_ENKUlT_T0_E_clISt17integral_constantIbLb1EES1T_IbLb0EEEEDaS1P_S1Q_EUlS1P_E_NS1_11comp_targetILNS1_3genE5ELNS1_11target_archE942ELNS1_3gpuE9ELNS1_3repE0EEENS1_30default_config_static_selectorELNS0_4arch9wavefront6targetE1EEEvS12_.num_vgpr, 0
	.set _ZN7rocprim17ROCPRIM_400000_NS6detail17trampoline_kernelINS0_13select_configILj256ELj13ELNS0_17block_load_methodE3ELS4_3ELS4_3ELNS0_20block_scan_algorithmE0ELj4294967295EEENS1_25partition_config_selectorILNS1_17partition_subalgoE4EjNS0_10empty_typeEbEEZZNS1_14partition_implILS8_4ELb0ES6_15HIP_vector_typeIjLj2EENS0_17counting_iteratorIjlEEPS9_SG_NS0_5tupleIJPjSI_NS0_16reverse_iteratorISI_EEEEENSH_IJSG_SG_SG_EEES9_SI_JZNS1_25segmented_radix_sort_implINS0_14default_configELb0EPKsPsPKlPlN2at6native12_GLOBAL__N_18offset_tEEE10hipError_tPvRmT1_PNSt15iterator_traitsIS12_E10value_typeET2_T3_PNS13_IS18_E10value_typeET4_jRbjT5_S1E_jjP12ihipStream_tbEUljE_ZNSN_ISO_Lb0ESQ_SR_ST_SU_SY_EESZ_S10_S11_S12_S16_S17_S18_S1B_S1C_jS1D_jS1E_S1E_jjS1G_bEUljE0_EEESZ_S10_S11_S18_S1C_S1E_T6_T7_T9_mT8_S1G_bDpT10_ENKUlT_T0_E_clISt17integral_constantIbLb1EES1T_IbLb0EEEEDaS1P_S1Q_EUlS1P_E_NS1_11comp_targetILNS1_3genE5ELNS1_11target_archE942ELNS1_3gpuE9ELNS1_3repE0EEENS1_30default_config_static_selectorELNS0_4arch9wavefront6targetE1EEEvS12_.num_agpr, 0
	.set _ZN7rocprim17ROCPRIM_400000_NS6detail17trampoline_kernelINS0_13select_configILj256ELj13ELNS0_17block_load_methodE3ELS4_3ELS4_3ELNS0_20block_scan_algorithmE0ELj4294967295EEENS1_25partition_config_selectorILNS1_17partition_subalgoE4EjNS0_10empty_typeEbEEZZNS1_14partition_implILS8_4ELb0ES6_15HIP_vector_typeIjLj2EENS0_17counting_iteratorIjlEEPS9_SG_NS0_5tupleIJPjSI_NS0_16reverse_iteratorISI_EEEEENSH_IJSG_SG_SG_EEES9_SI_JZNS1_25segmented_radix_sort_implINS0_14default_configELb0EPKsPsPKlPlN2at6native12_GLOBAL__N_18offset_tEEE10hipError_tPvRmT1_PNSt15iterator_traitsIS12_E10value_typeET2_T3_PNS13_IS18_E10value_typeET4_jRbjT5_S1E_jjP12ihipStream_tbEUljE_ZNSN_ISO_Lb0ESQ_SR_ST_SU_SY_EESZ_S10_S11_S12_S16_S17_S18_S1B_S1C_jS1D_jS1E_S1E_jjS1G_bEUljE0_EEESZ_S10_S11_S18_S1C_S1E_T6_T7_T9_mT8_S1G_bDpT10_ENKUlT_T0_E_clISt17integral_constantIbLb1EES1T_IbLb0EEEEDaS1P_S1Q_EUlS1P_E_NS1_11comp_targetILNS1_3genE5ELNS1_11target_archE942ELNS1_3gpuE9ELNS1_3repE0EEENS1_30default_config_static_selectorELNS0_4arch9wavefront6targetE1EEEvS12_.numbered_sgpr, 0
	.set _ZN7rocprim17ROCPRIM_400000_NS6detail17trampoline_kernelINS0_13select_configILj256ELj13ELNS0_17block_load_methodE3ELS4_3ELS4_3ELNS0_20block_scan_algorithmE0ELj4294967295EEENS1_25partition_config_selectorILNS1_17partition_subalgoE4EjNS0_10empty_typeEbEEZZNS1_14partition_implILS8_4ELb0ES6_15HIP_vector_typeIjLj2EENS0_17counting_iteratorIjlEEPS9_SG_NS0_5tupleIJPjSI_NS0_16reverse_iteratorISI_EEEEENSH_IJSG_SG_SG_EEES9_SI_JZNS1_25segmented_radix_sort_implINS0_14default_configELb0EPKsPsPKlPlN2at6native12_GLOBAL__N_18offset_tEEE10hipError_tPvRmT1_PNSt15iterator_traitsIS12_E10value_typeET2_T3_PNS13_IS18_E10value_typeET4_jRbjT5_S1E_jjP12ihipStream_tbEUljE_ZNSN_ISO_Lb0ESQ_SR_ST_SU_SY_EESZ_S10_S11_S12_S16_S17_S18_S1B_S1C_jS1D_jS1E_S1E_jjS1G_bEUljE0_EEESZ_S10_S11_S18_S1C_S1E_T6_T7_T9_mT8_S1G_bDpT10_ENKUlT_T0_E_clISt17integral_constantIbLb1EES1T_IbLb0EEEEDaS1P_S1Q_EUlS1P_E_NS1_11comp_targetILNS1_3genE5ELNS1_11target_archE942ELNS1_3gpuE9ELNS1_3repE0EEENS1_30default_config_static_selectorELNS0_4arch9wavefront6targetE1EEEvS12_.num_named_barrier, 0
	.set _ZN7rocprim17ROCPRIM_400000_NS6detail17trampoline_kernelINS0_13select_configILj256ELj13ELNS0_17block_load_methodE3ELS4_3ELS4_3ELNS0_20block_scan_algorithmE0ELj4294967295EEENS1_25partition_config_selectorILNS1_17partition_subalgoE4EjNS0_10empty_typeEbEEZZNS1_14partition_implILS8_4ELb0ES6_15HIP_vector_typeIjLj2EENS0_17counting_iteratorIjlEEPS9_SG_NS0_5tupleIJPjSI_NS0_16reverse_iteratorISI_EEEEENSH_IJSG_SG_SG_EEES9_SI_JZNS1_25segmented_radix_sort_implINS0_14default_configELb0EPKsPsPKlPlN2at6native12_GLOBAL__N_18offset_tEEE10hipError_tPvRmT1_PNSt15iterator_traitsIS12_E10value_typeET2_T3_PNS13_IS18_E10value_typeET4_jRbjT5_S1E_jjP12ihipStream_tbEUljE_ZNSN_ISO_Lb0ESQ_SR_ST_SU_SY_EESZ_S10_S11_S12_S16_S17_S18_S1B_S1C_jS1D_jS1E_S1E_jjS1G_bEUljE0_EEESZ_S10_S11_S18_S1C_S1E_T6_T7_T9_mT8_S1G_bDpT10_ENKUlT_T0_E_clISt17integral_constantIbLb1EES1T_IbLb0EEEEDaS1P_S1Q_EUlS1P_E_NS1_11comp_targetILNS1_3genE5ELNS1_11target_archE942ELNS1_3gpuE9ELNS1_3repE0EEENS1_30default_config_static_selectorELNS0_4arch9wavefront6targetE1EEEvS12_.private_seg_size, 0
	.set _ZN7rocprim17ROCPRIM_400000_NS6detail17trampoline_kernelINS0_13select_configILj256ELj13ELNS0_17block_load_methodE3ELS4_3ELS4_3ELNS0_20block_scan_algorithmE0ELj4294967295EEENS1_25partition_config_selectorILNS1_17partition_subalgoE4EjNS0_10empty_typeEbEEZZNS1_14partition_implILS8_4ELb0ES6_15HIP_vector_typeIjLj2EENS0_17counting_iteratorIjlEEPS9_SG_NS0_5tupleIJPjSI_NS0_16reverse_iteratorISI_EEEEENSH_IJSG_SG_SG_EEES9_SI_JZNS1_25segmented_radix_sort_implINS0_14default_configELb0EPKsPsPKlPlN2at6native12_GLOBAL__N_18offset_tEEE10hipError_tPvRmT1_PNSt15iterator_traitsIS12_E10value_typeET2_T3_PNS13_IS18_E10value_typeET4_jRbjT5_S1E_jjP12ihipStream_tbEUljE_ZNSN_ISO_Lb0ESQ_SR_ST_SU_SY_EESZ_S10_S11_S12_S16_S17_S18_S1B_S1C_jS1D_jS1E_S1E_jjS1G_bEUljE0_EEESZ_S10_S11_S18_S1C_S1E_T6_T7_T9_mT8_S1G_bDpT10_ENKUlT_T0_E_clISt17integral_constantIbLb1EES1T_IbLb0EEEEDaS1P_S1Q_EUlS1P_E_NS1_11comp_targetILNS1_3genE5ELNS1_11target_archE942ELNS1_3gpuE9ELNS1_3repE0EEENS1_30default_config_static_selectorELNS0_4arch9wavefront6targetE1EEEvS12_.uses_vcc, 0
	.set _ZN7rocprim17ROCPRIM_400000_NS6detail17trampoline_kernelINS0_13select_configILj256ELj13ELNS0_17block_load_methodE3ELS4_3ELS4_3ELNS0_20block_scan_algorithmE0ELj4294967295EEENS1_25partition_config_selectorILNS1_17partition_subalgoE4EjNS0_10empty_typeEbEEZZNS1_14partition_implILS8_4ELb0ES6_15HIP_vector_typeIjLj2EENS0_17counting_iteratorIjlEEPS9_SG_NS0_5tupleIJPjSI_NS0_16reverse_iteratorISI_EEEEENSH_IJSG_SG_SG_EEES9_SI_JZNS1_25segmented_radix_sort_implINS0_14default_configELb0EPKsPsPKlPlN2at6native12_GLOBAL__N_18offset_tEEE10hipError_tPvRmT1_PNSt15iterator_traitsIS12_E10value_typeET2_T3_PNS13_IS18_E10value_typeET4_jRbjT5_S1E_jjP12ihipStream_tbEUljE_ZNSN_ISO_Lb0ESQ_SR_ST_SU_SY_EESZ_S10_S11_S12_S16_S17_S18_S1B_S1C_jS1D_jS1E_S1E_jjS1G_bEUljE0_EEESZ_S10_S11_S18_S1C_S1E_T6_T7_T9_mT8_S1G_bDpT10_ENKUlT_T0_E_clISt17integral_constantIbLb1EES1T_IbLb0EEEEDaS1P_S1Q_EUlS1P_E_NS1_11comp_targetILNS1_3genE5ELNS1_11target_archE942ELNS1_3gpuE9ELNS1_3repE0EEENS1_30default_config_static_selectorELNS0_4arch9wavefront6targetE1EEEvS12_.uses_flat_scratch, 0
	.set _ZN7rocprim17ROCPRIM_400000_NS6detail17trampoline_kernelINS0_13select_configILj256ELj13ELNS0_17block_load_methodE3ELS4_3ELS4_3ELNS0_20block_scan_algorithmE0ELj4294967295EEENS1_25partition_config_selectorILNS1_17partition_subalgoE4EjNS0_10empty_typeEbEEZZNS1_14partition_implILS8_4ELb0ES6_15HIP_vector_typeIjLj2EENS0_17counting_iteratorIjlEEPS9_SG_NS0_5tupleIJPjSI_NS0_16reverse_iteratorISI_EEEEENSH_IJSG_SG_SG_EEES9_SI_JZNS1_25segmented_radix_sort_implINS0_14default_configELb0EPKsPsPKlPlN2at6native12_GLOBAL__N_18offset_tEEE10hipError_tPvRmT1_PNSt15iterator_traitsIS12_E10value_typeET2_T3_PNS13_IS18_E10value_typeET4_jRbjT5_S1E_jjP12ihipStream_tbEUljE_ZNSN_ISO_Lb0ESQ_SR_ST_SU_SY_EESZ_S10_S11_S12_S16_S17_S18_S1B_S1C_jS1D_jS1E_S1E_jjS1G_bEUljE0_EEESZ_S10_S11_S18_S1C_S1E_T6_T7_T9_mT8_S1G_bDpT10_ENKUlT_T0_E_clISt17integral_constantIbLb1EES1T_IbLb0EEEEDaS1P_S1Q_EUlS1P_E_NS1_11comp_targetILNS1_3genE5ELNS1_11target_archE942ELNS1_3gpuE9ELNS1_3repE0EEENS1_30default_config_static_selectorELNS0_4arch9wavefront6targetE1EEEvS12_.has_dyn_sized_stack, 0
	.set _ZN7rocprim17ROCPRIM_400000_NS6detail17trampoline_kernelINS0_13select_configILj256ELj13ELNS0_17block_load_methodE3ELS4_3ELS4_3ELNS0_20block_scan_algorithmE0ELj4294967295EEENS1_25partition_config_selectorILNS1_17partition_subalgoE4EjNS0_10empty_typeEbEEZZNS1_14partition_implILS8_4ELb0ES6_15HIP_vector_typeIjLj2EENS0_17counting_iteratorIjlEEPS9_SG_NS0_5tupleIJPjSI_NS0_16reverse_iteratorISI_EEEEENSH_IJSG_SG_SG_EEES9_SI_JZNS1_25segmented_radix_sort_implINS0_14default_configELb0EPKsPsPKlPlN2at6native12_GLOBAL__N_18offset_tEEE10hipError_tPvRmT1_PNSt15iterator_traitsIS12_E10value_typeET2_T3_PNS13_IS18_E10value_typeET4_jRbjT5_S1E_jjP12ihipStream_tbEUljE_ZNSN_ISO_Lb0ESQ_SR_ST_SU_SY_EESZ_S10_S11_S12_S16_S17_S18_S1B_S1C_jS1D_jS1E_S1E_jjS1G_bEUljE0_EEESZ_S10_S11_S18_S1C_S1E_T6_T7_T9_mT8_S1G_bDpT10_ENKUlT_T0_E_clISt17integral_constantIbLb1EES1T_IbLb0EEEEDaS1P_S1Q_EUlS1P_E_NS1_11comp_targetILNS1_3genE5ELNS1_11target_archE942ELNS1_3gpuE9ELNS1_3repE0EEENS1_30default_config_static_selectorELNS0_4arch9wavefront6targetE1EEEvS12_.has_recursion, 0
	.set _ZN7rocprim17ROCPRIM_400000_NS6detail17trampoline_kernelINS0_13select_configILj256ELj13ELNS0_17block_load_methodE3ELS4_3ELS4_3ELNS0_20block_scan_algorithmE0ELj4294967295EEENS1_25partition_config_selectorILNS1_17partition_subalgoE4EjNS0_10empty_typeEbEEZZNS1_14partition_implILS8_4ELb0ES6_15HIP_vector_typeIjLj2EENS0_17counting_iteratorIjlEEPS9_SG_NS0_5tupleIJPjSI_NS0_16reverse_iteratorISI_EEEEENSH_IJSG_SG_SG_EEES9_SI_JZNS1_25segmented_radix_sort_implINS0_14default_configELb0EPKsPsPKlPlN2at6native12_GLOBAL__N_18offset_tEEE10hipError_tPvRmT1_PNSt15iterator_traitsIS12_E10value_typeET2_T3_PNS13_IS18_E10value_typeET4_jRbjT5_S1E_jjP12ihipStream_tbEUljE_ZNSN_ISO_Lb0ESQ_SR_ST_SU_SY_EESZ_S10_S11_S12_S16_S17_S18_S1B_S1C_jS1D_jS1E_S1E_jjS1G_bEUljE0_EEESZ_S10_S11_S18_S1C_S1E_T6_T7_T9_mT8_S1G_bDpT10_ENKUlT_T0_E_clISt17integral_constantIbLb1EES1T_IbLb0EEEEDaS1P_S1Q_EUlS1P_E_NS1_11comp_targetILNS1_3genE5ELNS1_11target_archE942ELNS1_3gpuE9ELNS1_3repE0EEENS1_30default_config_static_selectorELNS0_4arch9wavefront6targetE1EEEvS12_.has_indirect_call, 0
	.section	.AMDGPU.csdata,"",@progbits
; Kernel info:
; codeLenInByte = 0
; TotalNumSgprs: 4
; NumVgprs: 0
; ScratchSize: 0
; MemoryBound: 0
; FloatMode: 240
; IeeeMode: 1
; LDSByteSize: 0 bytes/workgroup (compile time only)
; SGPRBlocks: 0
; VGPRBlocks: 0
; NumSGPRsForWavesPerEU: 4
; NumVGPRsForWavesPerEU: 1
; Occupancy: 10
; WaveLimiterHint : 0
; COMPUTE_PGM_RSRC2:SCRATCH_EN: 0
; COMPUTE_PGM_RSRC2:USER_SGPR: 6
; COMPUTE_PGM_RSRC2:TRAP_HANDLER: 0
; COMPUTE_PGM_RSRC2:TGID_X_EN: 1
; COMPUTE_PGM_RSRC2:TGID_Y_EN: 0
; COMPUTE_PGM_RSRC2:TGID_Z_EN: 0
; COMPUTE_PGM_RSRC2:TIDIG_COMP_CNT: 0
	.section	.text._ZN7rocprim17ROCPRIM_400000_NS6detail17trampoline_kernelINS0_13select_configILj256ELj13ELNS0_17block_load_methodE3ELS4_3ELS4_3ELNS0_20block_scan_algorithmE0ELj4294967295EEENS1_25partition_config_selectorILNS1_17partition_subalgoE4EjNS0_10empty_typeEbEEZZNS1_14partition_implILS8_4ELb0ES6_15HIP_vector_typeIjLj2EENS0_17counting_iteratorIjlEEPS9_SG_NS0_5tupleIJPjSI_NS0_16reverse_iteratorISI_EEEEENSH_IJSG_SG_SG_EEES9_SI_JZNS1_25segmented_radix_sort_implINS0_14default_configELb0EPKsPsPKlPlN2at6native12_GLOBAL__N_18offset_tEEE10hipError_tPvRmT1_PNSt15iterator_traitsIS12_E10value_typeET2_T3_PNS13_IS18_E10value_typeET4_jRbjT5_S1E_jjP12ihipStream_tbEUljE_ZNSN_ISO_Lb0ESQ_SR_ST_SU_SY_EESZ_S10_S11_S12_S16_S17_S18_S1B_S1C_jS1D_jS1E_S1E_jjS1G_bEUljE0_EEESZ_S10_S11_S18_S1C_S1E_T6_T7_T9_mT8_S1G_bDpT10_ENKUlT_T0_E_clISt17integral_constantIbLb1EES1T_IbLb0EEEEDaS1P_S1Q_EUlS1P_E_NS1_11comp_targetILNS1_3genE4ELNS1_11target_archE910ELNS1_3gpuE8ELNS1_3repE0EEENS1_30default_config_static_selectorELNS0_4arch9wavefront6targetE1EEEvS12_,"axG",@progbits,_ZN7rocprim17ROCPRIM_400000_NS6detail17trampoline_kernelINS0_13select_configILj256ELj13ELNS0_17block_load_methodE3ELS4_3ELS4_3ELNS0_20block_scan_algorithmE0ELj4294967295EEENS1_25partition_config_selectorILNS1_17partition_subalgoE4EjNS0_10empty_typeEbEEZZNS1_14partition_implILS8_4ELb0ES6_15HIP_vector_typeIjLj2EENS0_17counting_iteratorIjlEEPS9_SG_NS0_5tupleIJPjSI_NS0_16reverse_iteratorISI_EEEEENSH_IJSG_SG_SG_EEES9_SI_JZNS1_25segmented_radix_sort_implINS0_14default_configELb0EPKsPsPKlPlN2at6native12_GLOBAL__N_18offset_tEEE10hipError_tPvRmT1_PNSt15iterator_traitsIS12_E10value_typeET2_T3_PNS13_IS18_E10value_typeET4_jRbjT5_S1E_jjP12ihipStream_tbEUljE_ZNSN_ISO_Lb0ESQ_SR_ST_SU_SY_EESZ_S10_S11_S12_S16_S17_S18_S1B_S1C_jS1D_jS1E_S1E_jjS1G_bEUljE0_EEESZ_S10_S11_S18_S1C_S1E_T6_T7_T9_mT8_S1G_bDpT10_ENKUlT_T0_E_clISt17integral_constantIbLb1EES1T_IbLb0EEEEDaS1P_S1Q_EUlS1P_E_NS1_11comp_targetILNS1_3genE4ELNS1_11target_archE910ELNS1_3gpuE8ELNS1_3repE0EEENS1_30default_config_static_selectorELNS0_4arch9wavefront6targetE1EEEvS12_,comdat
	.globl	_ZN7rocprim17ROCPRIM_400000_NS6detail17trampoline_kernelINS0_13select_configILj256ELj13ELNS0_17block_load_methodE3ELS4_3ELS4_3ELNS0_20block_scan_algorithmE0ELj4294967295EEENS1_25partition_config_selectorILNS1_17partition_subalgoE4EjNS0_10empty_typeEbEEZZNS1_14partition_implILS8_4ELb0ES6_15HIP_vector_typeIjLj2EENS0_17counting_iteratorIjlEEPS9_SG_NS0_5tupleIJPjSI_NS0_16reverse_iteratorISI_EEEEENSH_IJSG_SG_SG_EEES9_SI_JZNS1_25segmented_radix_sort_implINS0_14default_configELb0EPKsPsPKlPlN2at6native12_GLOBAL__N_18offset_tEEE10hipError_tPvRmT1_PNSt15iterator_traitsIS12_E10value_typeET2_T3_PNS13_IS18_E10value_typeET4_jRbjT5_S1E_jjP12ihipStream_tbEUljE_ZNSN_ISO_Lb0ESQ_SR_ST_SU_SY_EESZ_S10_S11_S12_S16_S17_S18_S1B_S1C_jS1D_jS1E_S1E_jjS1G_bEUljE0_EEESZ_S10_S11_S18_S1C_S1E_T6_T7_T9_mT8_S1G_bDpT10_ENKUlT_T0_E_clISt17integral_constantIbLb1EES1T_IbLb0EEEEDaS1P_S1Q_EUlS1P_E_NS1_11comp_targetILNS1_3genE4ELNS1_11target_archE910ELNS1_3gpuE8ELNS1_3repE0EEENS1_30default_config_static_selectorELNS0_4arch9wavefront6targetE1EEEvS12_ ; -- Begin function _ZN7rocprim17ROCPRIM_400000_NS6detail17trampoline_kernelINS0_13select_configILj256ELj13ELNS0_17block_load_methodE3ELS4_3ELS4_3ELNS0_20block_scan_algorithmE0ELj4294967295EEENS1_25partition_config_selectorILNS1_17partition_subalgoE4EjNS0_10empty_typeEbEEZZNS1_14partition_implILS8_4ELb0ES6_15HIP_vector_typeIjLj2EENS0_17counting_iteratorIjlEEPS9_SG_NS0_5tupleIJPjSI_NS0_16reverse_iteratorISI_EEEEENSH_IJSG_SG_SG_EEES9_SI_JZNS1_25segmented_radix_sort_implINS0_14default_configELb0EPKsPsPKlPlN2at6native12_GLOBAL__N_18offset_tEEE10hipError_tPvRmT1_PNSt15iterator_traitsIS12_E10value_typeET2_T3_PNS13_IS18_E10value_typeET4_jRbjT5_S1E_jjP12ihipStream_tbEUljE_ZNSN_ISO_Lb0ESQ_SR_ST_SU_SY_EESZ_S10_S11_S12_S16_S17_S18_S1B_S1C_jS1D_jS1E_S1E_jjS1G_bEUljE0_EEESZ_S10_S11_S18_S1C_S1E_T6_T7_T9_mT8_S1G_bDpT10_ENKUlT_T0_E_clISt17integral_constantIbLb1EES1T_IbLb0EEEEDaS1P_S1Q_EUlS1P_E_NS1_11comp_targetILNS1_3genE4ELNS1_11target_archE910ELNS1_3gpuE8ELNS1_3repE0EEENS1_30default_config_static_selectorELNS0_4arch9wavefront6targetE1EEEvS12_
	.p2align	8
	.type	_ZN7rocprim17ROCPRIM_400000_NS6detail17trampoline_kernelINS0_13select_configILj256ELj13ELNS0_17block_load_methodE3ELS4_3ELS4_3ELNS0_20block_scan_algorithmE0ELj4294967295EEENS1_25partition_config_selectorILNS1_17partition_subalgoE4EjNS0_10empty_typeEbEEZZNS1_14partition_implILS8_4ELb0ES6_15HIP_vector_typeIjLj2EENS0_17counting_iteratorIjlEEPS9_SG_NS0_5tupleIJPjSI_NS0_16reverse_iteratorISI_EEEEENSH_IJSG_SG_SG_EEES9_SI_JZNS1_25segmented_radix_sort_implINS0_14default_configELb0EPKsPsPKlPlN2at6native12_GLOBAL__N_18offset_tEEE10hipError_tPvRmT1_PNSt15iterator_traitsIS12_E10value_typeET2_T3_PNS13_IS18_E10value_typeET4_jRbjT5_S1E_jjP12ihipStream_tbEUljE_ZNSN_ISO_Lb0ESQ_SR_ST_SU_SY_EESZ_S10_S11_S12_S16_S17_S18_S1B_S1C_jS1D_jS1E_S1E_jjS1G_bEUljE0_EEESZ_S10_S11_S18_S1C_S1E_T6_T7_T9_mT8_S1G_bDpT10_ENKUlT_T0_E_clISt17integral_constantIbLb1EES1T_IbLb0EEEEDaS1P_S1Q_EUlS1P_E_NS1_11comp_targetILNS1_3genE4ELNS1_11target_archE910ELNS1_3gpuE8ELNS1_3repE0EEENS1_30default_config_static_selectorELNS0_4arch9wavefront6targetE1EEEvS12_,@function
_ZN7rocprim17ROCPRIM_400000_NS6detail17trampoline_kernelINS0_13select_configILj256ELj13ELNS0_17block_load_methodE3ELS4_3ELS4_3ELNS0_20block_scan_algorithmE0ELj4294967295EEENS1_25partition_config_selectorILNS1_17partition_subalgoE4EjNS0_10empty_typeEbEEZZNS1_14partition_implILS8_4ELb0ES6_15HIP_vector_typeIjLj2EENS0_17counting_iteratorIjlEEPS9_SG_NS0_5tupleIJPjSI_NS0_16reverse_iteratorISI_EEEEENSH_IJSG_SG_SG_EEES9_SI_JZNS1_25segmented_radix_sort_implINS0_14default_configELb0EPKsPsPKlPlN2at6native12_GLOBAL__N_18offset_tEEE10hipError_tPvRmT1_PNSt15iterator_traitsIS12_E10value_typeET2_T3_PNS13_IS18_E10value_typeET4_jRbjT5_S1E_jjP12ihipStream_tbEUljE_ZNSN_ISO_Lb0ESQ_SR_ST_SU_SY_EESZ_S10_S11_S12_S16_S17_S18_S1B_S1C_jS1D_jS1E_S1E_jjS1G_bEUljE0_EEESZ_S10_S11_S18_S1C_S1E_T6_T7_T9_mT8_S1G_bDpT10_ENKUlT_T0_E_clISt17integral_constantIbLb1EES1T_IbLb0EEEEDaS1P_S1Q_EUlS1P_E_NS1_11comp_targetILNS1_3genE4ELNS1_11target_archE910ELNS1_3gpuE8ELNS1_3repE0EEENS1_30default_config_static_selectorELNS0_4arch9wavefront6targetE1EEEvS12_: ; @_ZN7rocprim17ROCPRIM_400000_NS6detail17trampoline_kernelINS0_13select_configILj256ELj13ELNS0_17block_load_methodE3ELS4_3ELS4_3ELNS0_20block_scan_algorithmE0ELj4294967295EEENS1_25partition_config_selectorILNS1_17partition_subalgoE4EjNS0_10empty_typeEbEEZZNS1_14partition_implILS8_4ELb0ES6_15HIP_vector_typeIjLj2EENS0_17counting_iteratorIjlEEPS9_SG_NS0_5tupleIJPjSI_NS0_16reverse_iteratorISI_EEEEENSH_IJSG_SG_SG_EEES9_SI_JZNS1_25segmented_radix_sort_implINS0_14default_configELb0EPKsPsPKlPlN2at6native12_GLOBAL__N_18offset_tEEE10hipError_tPvRmT1_PNSt15iterator_traitsIS12_E10value_typeET2_T3_PNS13_IS18_E10value_typeET4_jRbjT5_S1E_jjP12ihipStream_tbEUljE_ZNSN_ISO_Lb0ESQ_SR_ST_SU_SY_EESZ_S10_S11_S12_S16_S17_S18_S1B_S1C_jS1D_jS1E_S1E_jjS1G_bEUljE0_EEESZ_S10_S11_S18_S1C_S1E_T6_T7_T9_mT8_S1G_bDpT10_ENKUlT_T0_E_clISt17integral_constantIbLb1EES1T_IbLb0EEEEDaS1P_S1Q_EUlS1P_E_NS1_11comp_targetILNS1_3genE4ELNS1_11target_archE910ELNS1_3gpuE8ELNS1_3repE0EEENS1_30default_config_static_selectorELNS0_4arch9wavefront6targetE1EEEvS12_
; %bb.0:
	.section	.rodata,"a",@progbits
	.p2align	6, 0x0
	.amdhsa_kernel _ZN7rocprim17ROCPRIM_400000_NS6detail17trampoline_kernelINS0_13select_configILj256ELj13ELNS0_17block_load_methodE3ELS4_3ELS4_3ELNS0_20block_scan_algorithmE0ELj4294967295EEENS1_25partition_config_selectorILNS1_17partition_subalgoE4EjNS0_10empty_typeEbEEZZNS1_14partition_implILS8_4ELb0ES6_15HIP_vector_typeIjLj2EENS0_17counting_iteratorIjlEEPS9_SG_NS0_5tupleIJPjSI_NS0_16reverse_iteratorISI_EEEEENSH_IJSG_SG_SG_EEES9_SI_JZNS1_25segmented_radix_sort_implINS0_14default_configELb0EPKsPsPKlPlN2at6native12_GLOBAL__N_18offset_tEEE10hipError_tPvRmT1_PNSt15iterator_traitsIS12_E10value_typeET2_T3_PNS13_IS18_E10value_typeET4_jRbjT5_S1E_jjP12ihipStream_tbEUljE_ZNSN_ISO_Lb0ESQ_SR_ST_SU_SY_EESZ_S10_S11_S12_S16_S17_S18_S1B_S1C_jS1D_jS1E_S1E_jjS1G_bEUljE0_EEESZ_S10_S11_S18_S1C_S1E_T6_T7_T9_mT8_S1G_bDpT10_ENKUlT_T0_E_clISt17integral_constantIbLb1EES1T_IbLb0EEEEDaS1P_S1Q_EUlS1P_E_NS1_11comp_targetILNS1_3genE4ELNS1_11target_archE910ELNS1_3gpuE8ELNS1_3repE0EEENS1_30default_config_static_selectorELNS0_4arch9wavefront6targetE1EEEvS12_
		.amdhsa_group_segment_fixed_size 0
		.amdhsa_private_segment_fixed_size 0
		.amdhsa_kernarg_size 176
		.amdhsa_user_sgpr_count 6
		.amdhsa_user_sgpr_private_segment_buffer 1
		.amdhsa_user_sgpr_dispatch_ptr 0
		.amdhsa_user_sgpr_queue_ptr 0
		.amdhsa_user_sgpr_kernarg_segment_ptr 1
		.amdhsa_user_sgpr_dispatch_id 0
		.amdhsa_user_sgpr_flat_scratch_init 0
		.amdhsa_user_sgpr_private_segment_size 0
		.amdhsa_uses_dynamic_stack 0
		.amdhsa_system_sgpr_private_segment_wavefront_offset 0
		.amdhsa_system_sgpr_workgroup_id_x 1
		.amdhsa_system_sgpr_workgroup_id_y 0
		.amdhsa_system_sgpr_workgroup_id_z 0
		.amdhsa_system_sgpr_workgroup_info 0
		.amdhsa_system_vgpr_workitem_id 0
		.amdhsa_next_free_vgpr 1
		.amdhsa_next_free_sgpr 0
		.amdhsa_reserve_vcc 0
		.amdhsa_reserve_flat_scratch 0
		.amdhsa_float_round_mode_32 0
		.amdhsa_float_round_mode_16_64 0
		.amdhsa_float_denorm_mode_32 3
		.amdhsa_float_denorm_mode_16_64 3
		.amdhsa_dx10_clamp 1
		.amdhsa_ieee_mode 1
		.amdhsa_fp16_overflow 0
		.amdhsa_exception_fp_ieee_invalid_op 0
		.amdhsa_exception_fp_denorm_src 0
		.amdhsa_exception_fp_ieee_div_zero 0
		.amdhsa_exception_fp_ieee_overflow 0
		.amdhsa_exception_fp_ieee_underflow 0
		.amdhsa_exception_fp_ieee_inexact 0
		.amdhsa_exception_int_div_zero 0
	.end_amdhsa_kernel
	.section	.text._ZN7rocprim17ROCPRIM_400000_NS6detail17trampoline_kernelINS0_13select_configILj256ELj13ELNS0_17block_load_methodE3ELS4_3ELS4_3ELNS0_20block_scan_algorithmE0ELj4294967295EEENS1_25partition_config_selectorILNS1_17partition_subalgoE4EjNS0_10empty_typeEbEEZZNS1_14partition_implILS8_4ELb0ES6_15HIP_vector_typeIjLj2EENS0_17counting_iteratorIjlEEPS9_SG_NS0_5tupleIJPjSI_NS0_16reverse_iteratorISI_EEEEENSH_IJSG_SG_SG_EEES9_SI_JZNS1_25segmented_radix_sort_implINS0_14default_configELb0EPKsPsPKlPlN2at6native12_GLOBAL__N_18offset_tEEE10hipError_tPvRmT1_PNSt15iterator_traitsIS12_E10value_typeET2_T3_PNS13_IS18_E10value_typeET4_jRbjT5_S1E_jjP12ihipStream_tbEUljE_ZNSN_ISO_Lb0ESQ_SR_ST_SU_SY_EESZ_S10_S11_S12_S16_S17_S18_S1B_S1C_jS1D_jS1E_S1E_jjS1G_bEUljE0_EEESZ_S10_S11_S18_S1C_S1E_T6_T7_T9_mT8_S1G_bDpT10_ENKUlT_T0_E_clISt17integral_constantIbLb1EES1T_IbLb0EEEEDaS1P_S1Q_EUlS1P_E_NS1_11comp_targetILNS1_3genE4ELNS1_11target_archE910ELNS1_3gpuE8ELNS1_3repE0EEENS1_30default_config_static_selectorELNS0_4arch9wavefront6targetE1EEEvS12_,"axG",@progbits,_ZN7rocprim17ROCPRIM_400000_NS6detail17trampoline_kernelINS0_13select_configILj256ELj13ELNS0_17block_load_methodE3ELS4_3ELS4_3ELNS0_20block_scan_algorithmE0ELj4294967295EEENS1_25partition_config_selectorILNS1_17partition_subalgoE4EjNS0_10empty_typeEbEEZZNS1_14partition_implILS8_4ELb0ES6_15HIP_vector_typeIjLj2EENS0_17counting_iteratorIjlEEPS9_SG_NS0_5tupleIJPjSI_NS0_16reverse_iteratorISI_EEEEENSH_IJSG_SG_SG_EEES9_SI_JZNS1_25segmented_radix_sort_implINS0_14default_configELb0EPKsPsPKlPlN2at6native12_GLOBAL__N_18offset_tEEE10hipError_tPvRmT1_PNSt15iterator_traitsIS12_E10value_typeET2_T3_PNS13_IS18_E10value_typeET4_jRbjT5_S1E_jjP12ihipStream_tbEUljE_ZNSN_ISO_Lb0ESQ_SR_ST_SU_SY_EESZ_S10_S11_S12_S16_S17_S18_S1B_S1C_jS1D_jS1E_S1E_jjS1G_bEUljE0_EEESZ_S10_S11_S18_S1C_S1E_T6_T7_T9_mT8_S1G_bDpT10_ENKUlT_T0_E_clISt17integral_constantIbLb1EES1T_IbLb0EEEEDaS1P_S1Q_EUlS1P_E_NS1_11comp_targetILNS1_3genE4ELNS1_11target_archE910ELNS1_3gpuE8ELNS1_3repE0EEENS1_30default_config_static_selectorELNS0_4arch9wavefront6targetE1EEEvS12_,comdat
.Lfunc_end968:
	.size	_ZN7rocprim17ROCPRIM_400000_NS6detail17trampoline_kernelINS0_13select_configILj256ELj13ELNS0_17block_load_methodE3ELS4_3ELS4_3ELNS0_20block_scan_algorithmE0ELj4294967295EEENS1_25partition_config_selectorILNS1_17partition_subalgoE4EjNS0_10empty_typeEbEEZZNS1_14partition_implILS8_4ELb0ES6_15HIP_vector_typeIjLj2EENS0_17counting_iteratorIjlEEPS9_SG_NS0_5tupleIJPjSI_NS0_16reverse_iteratorISI_EEEEENSH_IJSG_SG_SG_EEES9_SI_JZNS1_25segmented_radix_sort_implINS0_14default_configELb0EPKsPsPKlPlN2at6native12_GLOBAL__N_18offset_tEEE10hipError_tPvRmT1_PNSt15iterator_traitsIS12_E10value_typeET2_T3_PNS13_IS18_E10value_typeET4_jRbjT5_S1E_jjP12ihipStream_tbEUljE_ZNSN_ISO_Lb0ESQ_SR_ST_SU_SY_EESZ_S10_S11_S12_S16_S17_S18_S1B_S1C_jS1D_jS1E_S1E_jjS1G_bEUljE0_EEESZ_S10_S11_S18_S1C_S1E_T6_T7_T9_mT8_S1G_bDpT10_ENKUlT_T0_E_clISt17integral_constantIbLb1EES1T_IbLb0EEEEDaS1P_S1Q_EUlS1P_E_NS1_11comp_targetILNS1_3genE4ELNS1_11target_archE910ELNS1_3gpuE8ELNS1_3repE0EEENS1_30default_config_static_selectorELNS0_4arch9wavefront6targetE1EEEvS12_, .Lfunc_end968-_ZN7rocprim17ROCPRIM_400000_NS6detail17trampoline_kernelINS0_13select_configILj256ELj13ELNS0_17block_load_methodE3ELS4_3ELS4_3ELNS0_20block_scan_algorithmE0ELj4294967295EEENS1_25partition_config_selectorILNS1_17partition_subalgoE4EjNS0_10empty_typeEbEEZZNS1_14partition_implILS8_4ELb0ES6_15HIP_vector_typeIjLj2EENS0_17counting_iteratorIjlEEPS9_SG_NS0_5tupleIJPjSI_NS0_16reverse_iteratorISI_EEEEENSH_IJSG_SG_SG_EEES9_SI_JZNS1_25segmented_radix_sort_implINS0_14default_configELb0EPKsPsPKlPlN2at6native12_GLOBAL__N_18offset_tEEE10hipError_tPvRmT1_PNSt15iterator_traitsIS12_E10value_typeET2_T3_PNS13_IS18_E10value_typeET4_jRbjT5_S1E_jjP12ihipStream_tbEUljE_ZNSN_ISO_Lb0ESQ_SR_ST_SU_SY_EESZ_S10_S11_S12_S16_S17_S18_S1B_S1C_jS1D_jS1E_S1E_jjS1G_bEUljE0_EEESZ_S10_S11_S18_S1C_S1E_T6_T7_T9_mT8_S1G_bDpT10_ENKUlT_T0_E_clISt17integral_constantIbLb1EES1T_IbLb0EEEEDaS1P_S1Q_EUlS1P_E_NS1_11comp_targetILNS1_3genE4ELNS1_11target_archE910ELNS1_3gpuE8ELNS1_3repE0EEENS1_30default_config_static_selectorELNS0_4arch9wavefront6targetE1EEEvS12_
                                        ; -- End function
	.set _ZN7rocprim17ROCPRIM_400000_NS6detail17trampoline_kernelINS0_13select_configILj256ELj13ELNS0_17block_load_methodE3ELS4_3ELS4_3ELNS0_20block_scan_algorithmE0ELj4294967295EEENS1_25partition_config_selectorILNS1_17partition_subalgoE4EjNS0_10empty_typeEbEEZZNS1_14partition_implILS8_4ELb0ES6_15HIP_vector_typeIjLj2EENS0_17counting_iteratorIjlEEPS9_SG_NS0_5tupleIJPjSI_NS0_16reverse_iteratorISI_EEEEENSH_IJSG_SG_SG_EEES9_SI_JZNS1_25segmented_radix_sort_implINS0_14default_configELb0EPKsPsPKlPlN2at6native12_GLOBAL__N_18offset_tEEE10hipError_tPvRmT1_PNSt15iterator_traitsIS12_E10value_typeET2_T3_PNS13_IS18_E10value_typeET4_jRbjT5_S1E_jjP12ihipStream_tbEUljE_ZNSN_ISO_Lb0ESQ_SR_ST_SU_SY_EESZ_S10_S11_S12_S16_S17_S18_S1B_S1C_jS1D_jS1E_S1E_jjS1G_bEUljE0_EEESZ_S10_S11_S18_S1C_S1E_T6_T7_T9_mT8_S1G_bDpT10_ENKUlT_T0_E_clISt17integral_constantIbLb1EES1T_IbLb0EEEEDaS1P_S1Q_EUlS1P_E_NS1_11comp_targetILNS1_3genE4ELNS1_11target_archE910ELNS1_3gpuE8ELNS1_3repE0EEENS1_30default_config_static_selectorELNS0_4arch9wavefront6targetE1EEEvS12_.num_vgpr, 0
	.set _ZN7rocprim17ROCPRIM_400000_NS6detail17trampoline_kernelINS0_13select_configILj256ELj13ELNS0_17block_load_methodE3ELS4_3ELS4_3ELNS0_20block_scan_algorithmE0ELj4294967295EEENS1_25partition_config_selectorILNS1_17partition_subalgoE4EjNS0_10empty_typeEbEEZZNS1_14partition_implILS8_4ELb0ES6_15HIP_vector_typeIjLj2EENS0_17counting_iteratorIjlEEPS9_SG_NS0_5tupleIJPjSI_NS0_16reverse_iteratorISI_EEEEENSH_IJSG_SG_SG_EEES9_SI_JZNS1_25segmented_radix_sort_implINS0_14default_configELb0EPKsPsPKlPlN2at6native12_GLOBAL__N_18offset_tEEE10hipError_tPvRmT1_PNSt15iterator_traitsIS12_E10value_typeET2_T3_PNS13_IS18_E10value_typeET4_jRbjT5_S1E_jjP12ihipStream_tbEUljE_ZNSN_ISO_Lb0ESQ_SR_ST_SU_SY_EESZ_S10_S11_S12_S16_S17_S18_S1B_S1C_jS1D_jS1E_S1E_jjS1G_bEUljE0_EEESZ_S10_S11_S18_S1C_S1E_T6_T7_T9_mT8_S1G_bDpT10_ENKUlT_T0_E_clISt17integral_constantIbLb1EES1T_IbLb0EEEEDaS1P_S1Q_EUlS1P_E_NS1_11comp_targetILNS1_3genE4ELNS1_11target_archE910ELNS1_3gpuE8ELNS1_3repE0EEENS1_30default_config_static_selectorELNS0_4arch9wavefront6targetE1EEEvS12_.num_agpr, 0
	.set _ZN7rocprim17ROCPRIM_400000_NS6detail17trampoline_kernelINS0_13select_configILj256ELj13ELNS0_17block_load_methodE3ELS4_3ELS4_3ELNS0_20block_scan_algorithmE0ELj4294967295EEENS1_25partition_config_selectorILNS1_17partition_subalgoE4EjNS0_10empty_typeEbEEZZNS1_14partition_implILS8_4ELb0ES6_15HIP_vector_typeIjLj2EENS0_17counting_iteratorIjlEEPS9_SG_NS0_5tupleIJPjSI_NS0_16reverse_iteratorISI_EEEEENSH_IJSG_SG_SG_EEES9_SI_JZNS1_25segmented_radix_sort_implINS0_14default_configELb0EPKsPsPKlPlN2at6native12_GLOBAL__N_18offset_tEEE10hipError_tPvRmT1_PNSt15iterator_traitsIS12_E10value_typeET2_T3_PNS13_IS18_E10value_typeET4_jRbjT5_S1E_jjP12ihipStream_tbEUljE_ZNSN_ISO_Lb0ESQ_SR_ST_SU_SY_EESZ_S10_S11_S12_S16_S17_S18_S1B_S1C_jS1D_jS1E_S1E_jjS1G_bEUljE0_EEESZ_S10_S11_S18_S1C_S1E_T6_T7_T9_mT8_S1G_bDpT10_ENKUlT_T0_E_clISt17integral_constantIbLb1EES1T_IbLb0EEEEDaS1P_S1Q_EUlS1P_E_NS1_11comp_targetILNS1_3genE4ELNS1_11target_archE910ELNS1_3gpuE8ELNS1_3repE0EEENS1_30default_config_static_selectorELNS0_4arch9wavefront6targetE1EEEvS12_.numbered_sgpr, 0
	.set _ZN7rocprim17ROCPRIM_400000_NS6detail17trampoline_kernelINS0_13select_configILj256ELj13ELNS0_17block_load_methodE3ELS4_3ELS4_3ELNS0_20block_scan_algorithmE0ELj4294967295EEENS1_25partition_config_selectorILNS1_17partition_subalgoE4EjNS0_10empty_typeEbEEZZNS1_14partition_implILS8_4ELb0ES6_15HIP_vector_typeIjLj2EENS0_17counting_iteratorIjlEEPS9_SG_NS0_5tupleIJPjSI_NS0_16reverse_iteratorISI_EEEEENSH_IJSG_SG_SG_EEES9_SI_JZNS1_25segmented_radix_sort_implINS0_14default_configELb0EPKsPsPKlPlN2at6native12_GLOBAL__N_18offset_tEEE10hipError_tPvRmT1_PNSt15iterator_traitsIS12_E10value_typeET2_T3_PNS13_IS18_E10value_typeET4_jRbjT5_S1E_jjP12ihipStream_tbEUljE_ZNSN_ISO_Lb0ESQ_SR_ST_SU_SY_EESZ_S10_S11_S12_S16_S17_S18_S1B_S1C_jS1D_jS1E_S1E_jjS1G_bEUljE0_EEESZ_S10_S11_S18_S1C_S1E_T6_T7_T9_mT8_S1G_bDpT10_ENKUlT_T0_E_clISt17integral_constantIbLb1EES1T_IbLb0EEEEDaS1P_S1Q_EUlS1P_E_NS1_11comp_targetILNS1_3genE4ELNS1_11target_archE910ELNS1_3gpuE8ELNS1_3repE0EEENS1_30default_config_static_selectorELNS0_4arch9wavefront6targetE1EEEvS12_.num_named_barrier, 0
	.set _ZN7rocprim17ROCPRIM_400000_NS6detail17trampoline_kernelINS0_13select_configILj256ELj13ELNS0_17block_load_methodE3ELS4_3ELS4_3ELNS0_20block_scan_algorithmE0ELj4294967295EEENS1_25partition_config_selectorILNS1_17partition_subalgoE4EjNS0_10empty_typeEbEEZZNS1_14partition_implILS8_4ELb0ES6_15HIP_vector_typeIjLj2EENS0_17counting_iteratorIjlEEPS9_SG_NS0_5tupleIJPjSI_NS0_16reverse_iteratorISI_EEEEENSH_IJSG_SG_SG_EEES9_SI_JZNS1_25segmented_radix_sort_implINS0_14default_configELb0EPKsPsPKlPlN2at6native12_GLOBAL__N_18offset_tEEE10hipError_tPvRmT1_PNSt15iterator_traitsIS12_E10value_typeET2_T3_PNS13_IS18_E10value_typeET4_jRbjT5_S1E_jjP12ihipStream_tbEUljE_ZNSN_ISO_Lb0ESQ_SR_ST_SU_SY_EESZ_S10_S11_S12_S16_S17_S18_S1B_S1C_jS1D_jS1E_S1E_jjS1G_bEUljE0_EEESZ_S10_S11_S18_S1C_S1E_T6_T7_T9_mT8_S1G_bDpT10_ENKUlT_T0_E_clISt17integral_constantIbLb1EES1T_IbLb0EEEEDaS1P_S1Q_EUlS1P_E_NS1_11comp_targetILNS1_3genE4ELNS1_11target_archE910ELNS1_3gpuE8ELNS1_3repE0EEENS1_30default_config_static_selectorELNS0_4arch9wavefront6targetE1EEEvS12_.private_seg_size, 0
	.set _ZN7rocprim17ROCPRIM_400000_NS6detail17trampoline_kernelINS0_13select_configILj256ELj13ELNS0_17block_load_methodE3ELS4_3ELS4_3ELNS0_20block_scan_algorithmE0ELj4294967295EEENS1_25partition_config_selectorILNS1_17partition_subalgoE4EjNS0_10empty_typeEbEEZZNS1_14partition_implILS8_4ELb0ES6_15HIP_vector_typeIjLj2EENS0_17counting_iteratorIjlEEPS9_SG_NS0_5tupleIJPjSI_NS0_16reverse_iteratorISI_EEEEENSH_IJSG_SG_SG_EEES9_SI_JZNS1_25segmented_radix_sort_implINS0_14default_configELb0EPKsPsPKlPlN2at6native12_GLOBAL__N_18offset_tEEE10hipError_tPvRmT1_PNSt15iterator_traitsIS12_E10value_typeET2_T3_PNS13_IS18_E10value_typeET4_jRbjT5_S1E_jjP12ihipStream_tbEUljE_ZNSN_ISO_Lb0ESQ_SR_ST_SU_SY_EESZ_S10_S11_S12_S16_S17_S18_S1B_S1C_jS1D_jS1E_S1E_jjS1G_bEUljE0_EEESZ_S10_S11_S18_S1C_S1E_T6_T7_T9_mT8_S1G_bDpT10_ENKUlT_T0_E_clISt17integral_constantIbLb1EES1T_IbLb0EEEEDaS1P_S1Q_EUlS1P_E_NS1_11comp_targetILNS1_3genE4ELNS1_11target_archE910ELNS1_3gpuE8ELNS1_3repE0EEENS1_30default_config_static_selectorELNS0_4arch9wavefront6targetE1EEEvS12_.uses_vcc, 0
	.set _ZN7rocprim17ROCPRIM_400000_NS6detail17trampoline_kernelINS0_13select_configILj256ELj13ELNS0_17block_load_methodE3ELS4_3ELS4_3ELNS0_20block_scan_algorithmE0ELj4294967295EEENS1_25partition_config_selectorILNS1_17partition_subalgoE4EjNS0_10empty_typeEbEEZZNS1_14partition_implILS8_4ELb0ES6_15HIP_vector_typeIjLj2EENS0_17counting_iteratorIjlEEPS9_SG_NS0_5tupleIJPjSI_NS0_16reverse_iteratorISI_EEEEENSH_IJSG_SG_SG_EEES9_SI_JZNS1_25segmented_radix_sort_implINS0_14default_configELb0EPKsPsPKlPlN2at6native12_GLOBAL__N_18offset_tEEE10hipError_tPvRmT1_PNSt15iterator_traitsIS12_E10value_typeET2_T3_PNS13_IS18_E10value_typeET4_jRbjT5_S1E_jjP12ihipStream_tbEUljE_ZNSN_ISO_Lb0ESQ_SR_ST_SU_SY_EESZ_S10_S11_S12_S16_S17_S18_S1B_S1C_jS1D_jS1E_S1E_jjS1G_bEUljE0_EEESZ_S10_S11_S18_S1C_S1E_T6_T7_T9_mT8_S1G_bDpT10_ENKUlT_T0_E_clISt17integral_constantIbLb1EES1T_IbLb0EEEEDaS1P_S1Q_EUlS1P_E_NS1_11comp_targetILNS1_3genE4ELNS1_11target_archE910ELNS1_3gpuE8ELNS1_3repE0EEENS1_30default_config_static_selectorELNS0_4arch9wavefront6targetE1EEEvS12_.uses_flat_scratch, 0
	.set _ZN7rocprim17ROCPRIM_400000_NS6detail17trampoline_kernelINS0_13select_configILj256ELj13ELNS0_17block_load_methodE3ELS4_3ELS4_3ELNS0_20block_scan_algorithmE0ELj4294967295EEENS1_25partition_config_selectorILNS1_17partition_subalgoE4EjNS0_10empty_typeEbEEZZNS1_14partition_implILS8_4ELb0ES6_15HIP_vector_typeIjLj2EENS0_17counting_iteratorIjlEEPS9_SG_NS0_5tupleIJPjSI_NS0_16reverse_iteratorISI_EEEEENSH_IJSG_SG_SG_EEES9_SI_JZNS1_25segmented_radix_sort_implINS0_14default_configELb0EPKsPsPKlPlN2at6native12_GLOBAL__N_18offset_tEEE10hipError_tPvRmT1_PNSt15iterator_traitsIS12_E10value_typeET2_T3_PNS13_IS18_E10value_typeET4_jRbjT5_S1E_jjP12ihipStream_tbEUljE_ZNSN_ISO_Lb0ESQ_SR_ST_SU_SY_EESZ_S10_S11_S12_S16_S17_S18_S1B_S1C_jS1D_jS1E_S1E_jjS1G_bEUljE0_EEESZ_S10_S11_S18_S1C_S1E_T6_T7_T9_mT8_S1G_bDpT10_ENKUlT_T0_E_clISt17integral_constantIbLb1EES1T_IbLb0EEEEDaS1P_S1Q_EUlS1P_E_NS1_11comp_targetILNS1_3genE4ELNS1_11target_archE910ELNS1_3gpuE8ELNS1_3repE0EEENS1_30default_config_static_selectorELNS0_4arch9wavefront6targetE1EEEvS12_.has_dyn_sized_stack, 0
	.set _ZN7rocprim17ROCPRIM_400000_NS6detail17trampoline_kernelINS0_13select_configILj256ELj13ELNS0_17block_load_methodE3ELS4_3ELS4_3ELNS0_20block_scan_algorithmE0ELj4294967295EEENS1_25partition_config_selectorILNS1_17partition_subalgoE4EjNS0_10empty_typeEbEEZZNS1_14partition_implILS8_4ELb0ES6_15HIP_vector_typeIjLj2EENS0_17counting_iteratorIjlEEPS9_SG_NS0_5tupleIJPjSI_NS0_16reverse_iteratorISI_EEEEENSH_IJSG_SG_SG_EEES9_SI_JZNS1_25segmented_radix_sort_implINS0_14default_configELb0EPKsPsPKlPlN2at6native12_GLOBAL__N_18offset_tEEE10hipError_tPvRmT1_PNSt15iterator_traitsIS12_E10value_typeET2_T3_PNS13_IS18_E10value_typeET4_jRbjT5_S1E_jjP12ihipStream_tbEUljE_ZNSN_ISO_Lb0ESQ_SR_ST_SU_SY_EESZ_S10_S11_S12_S16_S17_S18_S1B_S1C_jS1D_jS1E_S1E_jjS1G_bEUljE0_EEESZ_S10_S11_S18_S1C_S1E_T6_T7_T9_mT8_S1G_bDpT10_ENKUlT_T0_E_clISt17integral_constantIbLb1EES1T_IbLb0EEEEDaS1P_S1Q_EUlS1P_E_NS1_11comp_targetILNS1_3genE4ELNS1_11target_archE910ELNS1_3gpuE8ELNS1_3repE0EEENS1_30default_config_static_selectorELNS0_4arch9wavefront6targetE1EEEvS12_.has_recursion, 0
	.set _ZN7rocprim17ROCPRIM_400000_NS6detail17trampoline_kernelINS0_13select_configILj256ELj13ELNS0_17block_load_methodE3ELS4_3ELS4_3ELNS0_20block_scan_algorithmE0ELj4294967295EEENS1_25partition_config_selectorILNS1_17partition_subalgoE4EjNS0_10empty_typeEbEEZZNS1_14partition_implILS8_4ELb0ES6_15HIP_vector_typeIjLj2EENS0_17counting_iteratorIjlEEPS9_SG_NS0_5tupleIJPjSI_NS0_16reverse_iteratorISI_EEEEENSH_IJSG_SG_SG_EEES9_SI_JZNS1_25segmented_radix_sort_implINS0_14default_configELb0EPKsPsPKlPlN2at6native12_GLOBAL__N_18offset_tEEE10hipError_tPvRmT1_PNSt15iterator_traitsIS12_E10value_typeET2_T3_PNS13_IS18_E10value_typeET4_jRbjT5_S1E_jjP12ihipStream_tbEUljE_ZNSN_ISO_Lb0ESQ_SR_ST_SU_SY_EESZ_S10_S11_S12_S16_S17_S18_S1B_S1C_jS1D_jS1E_S1E_jjS1G_bEUljE0_EEESZ_S10_S11_S18_S1C_S1E_T6_T7_T9_mT8_S1G_bDpT10_ENKUlT_T0_E_clISt17integral_constantIbLb1EES1T_IbLb0EEEEDaS1P_S1Q_EUlS1P_E_NS1_11comp_targetILNS1_3genE4ELNS1_11target_archE910ELNS1_3gpuE8ELNS1_3repE0EEENS1_30default_config_static_selectorELNS0_4arch9wavefront6targetE1EEEvS12_.has_indirect_call, 0
	.section	.AMDGPU.csdata,"",@progbits
; Kernel info:
; codeLenInByte = 0
; TotalNumSgprs: 4
; NumVgprs: 0
; ScratchSize: 0
; MemoryBound: 0
; FloatMode: 240
; IeeeMode: 1
; LDSByteSize: 0 bytes/workgroup (compile time only)
; SGPRBlocks: 0
; VGPRBlocks: 0
; NumSGPRsForWavesPerEU: 4
; NumVGPRsForWavesPerEU: 1
; Occupancy: 10
; WaveLimiterHint : 0
; COMPUTE_PGM_RSRC2:SCRATCH_EN: 0
; COMPUTE_PGM_RSRC2:USER_SGPR: 6
; COMPUTE_PGM_RSRC2:TRAP_HANDLER: 0
; COMPUTE_PGM_RSRC2:TGID_X_EN: 1
; COMPUTE_PGM_RSRC2:TGID_Y_EN: 0
; COMPUTE_PGM_RSRC2:TGID_Z_EN: 0
; COMPUTE_PGM_RSRC2:TIDIG_COMP_CNT: 0
	.section	.text._ZN7rocprim17ROCPRIM_400000_NS6detail17trampoline_kernelINS0_13select_configILj256ELj13ELNS0_17block_load_methodE3ELS4_3ELS4_3ELNS0_20block_scan_algorithmE0ELj4294967295EEENS1_25partition_config_selectorILNS1_17partition_subalgoE4EjNS0_10empty_typeEbEEZZNS1_14partition_implILS8_4ELb0ES6_15HIP_vector_typeIjLj2EENS0_17counting_iteratorIjlEEPS9_SG_NS0_5tupleIJPjSI_NS0_16reverse_iteratorISI_EEEEENSH_IJSG_SG_SG_EEES9_SI_JZNS1_25segmented_radix_sort_implINS0_14default_configELb0EPKsPsPKlPlN2at6native12_GLOBAL__N_18offset_tEEE10hipError_tPvRmT1_PNSt15iterator_traitsIS12_E10value_typeET2_T3_PNS13_IS18_E10value_typeET4_jRbjT5_S1E_jjP12ihipStream_tbEUljE_ZNSN_ISO_Lb0ESQ_SR_ST_SU_SY_EESZ_S10_S11_S12_S16_S17_S18_S1B_S1C_jS1D_jS1E_S1E_jjS1G_bEUljE0_EEESZ_S10_S11_S18_S1C_S1E_T6_T7_T9_mT8_S1G_bDpT10_ENKUlT_T0_E_clISt17integral_constantIbLb1EES1T_IbLb0EEEEDaS1P_S1Q_EUlS1P_E_NS1_11comp_targetILNS1_3genE3ELNS1_11target_archE908ELNS1_3gpuE7ELNS1_3repE0EEENS1_30default_config_static_selectorELNS0_4arch9wavefront6targetE1EEEvS12_,"axG",@progbits,_ZN7rocprim17ROCPRIM_400000_NS6detail17trampoline_kernelINS0_13select_configILj256ELj13ELNS0_17block_load_methodE3ELS4_3ELS4_3ELNS0_20block_scan_algorithmE0ELj4294967295EEENS1_25partition_config_selectorILNS1_17partition_subalgoE4EjNS0_10empty_typeEbEEZZNS1_14partition_implILS8_4ELb0ES6_15HIP_vector_typeIjLj2EENS0_17counting_iteratorIjlEEPS9_SG_NS0_5tupleIJPjSI_NS0_16reverse_iteratorISI_EEEEENSH_IJSG_SG_SG_EEES9_SI_JZNS1_25segmented_radix_sort_implINS0_14default_configELb0EPKsPsPKlPlN2at6native12_GLOBAL__N_18offset_tEEE10hipError_tPvRmT1_PNSt15iterator_traitsIS12_E10value_typeET2_T3_PNS13_IS18_E10value_typeET4_jRbjT5_S1E_jjP12ihipStream_tbEUljE_ZNSN_ISO_Lb0ESQ_SR_ST_SU_SY_EESZ_S10_S11_S12_S16_S17_S18_S1B_S1C_jS1D_jS1E_S1E_jjS1G_bEUljE0_EEESZ_S10_S11_S18_S1C_S1E_T6_T7_T9_mT8_S1G_bDpT10_ENKUlT_T0_E_clISt17integral_constantIbLb1EES1T_IbLb0EEEEDaS1P_S1Q_EUlS1P_E_NS1_11comp_targetILNS1_3genE3ELNS1_11target_archE908ELNS1_3gpuE7ELNS1_3repE0EEENS1_30default_config_static_selectorELNS0_4arch9wavefront6targetE1EEEvS12_,comdat
	.globl	_ZN7rocprim17ROCPRIM_400000_NS6detail17trampoline_kernelINS0_13select_configILj256ELj13ELNS0_17block_load_methodE3ELS4_3ELS4_3ELNS0_20block_scan_algorithmE0ELj4294967295EEENS1_25partition_config_selectorILNS1_17partition_subalgoE4EjNS0_10empty_typeEbEEZZNS1_14partition_implILS8_4ELb0ES6_15HIP_vector_typeIjLj2EENS0_17counting_iteratorIjlEEPS9_SG_NS0_5tupleIJPjSI_NS0_16reverse_iteratorISI_EEEEENSH_IJSG_SG_SG_EEES9_SI_JZNS1_25segmented_radix_sort_implINS0_14default_configELb0EPKsPsPKlPlN2at6native12_GLOBAL__N_18offset_tEEE10hipError_tPvRmT1_PNSt15iterator_traitsIS12_E10value_typeET2_T3_PNS13_IS18_E10value_typeET4_jRbjT5_S1E_jjP12ihipStream_tbEUljE_ZNSN_ISO_Lb0ESQ_SR_ST_SU_SY_EESZ_S10_S11_S12_S16_S17_S18_S1B_S1C_jS1D_jS1E_S1E_jjS1G_bEUljE0_EEESZ_S10_S11_S18_S1C_S1E_T6_T7_T9_mT8_S1G_bDpT10_ENKUlT_T0_E_clISt17integral_constantIbLb1EES1T_IbLb0EEEEDaS1P_S1Q_EUlS1P_E_NS1_11comp_targetILNS1_3genE3ELNS1_11target_archE908ELNS1_3gpuE7ELNS1_3repE0EEENS1_30default_config_static_selectorELNS0_4arch9wavefront6targetE1EEEvS12_ ; -- Begin function _ZN7rocprim17ROCPRIM_400000_NS6detail17trampoline_kernelINS0_13select_configILj256ELj13ELNS0_17block_load_methodE3ELS4_3ELS4_3ELNS0_20block_scan_algorithmE0ELj4294967295EEENS1_25partition_config_selectorILNS1_17partition_subalgoE4EjNS0_10empty_typeEbEEZZNS1_14partition_implILS8_4ELb0ES6_15HIP_vector_typeIjLj2EENS0_17counting_iteratorIjlEEPS9_SG_NS0_5tupleIJPjSI_NS0_16reverse_iteratorISI_EEEEENSH_IJSG_SG_SG_EEES9_SI_JZNS1_25segmented_radix_sort_implINS0_14default_configELb0EPKsPsPKlPlN2at6native12_GLOBAL__N_18offset_tEEE10hipError_tPvRmT1_PNSt15iterator_traitsIS12_E10value_typeET2_T3_PNS13_IS18_E10value_typeET4_jRbjT5_S1E_jjP12ihipStream_tbEUljE_ZNSN_ISO_Lb0ESQ_SR_ST_SU_SY_EESZ_S10_S11_S12_S16_S17_S18_S1B_S1C_jS1D_jS1E_S1E_jjS1G_bEUljE0_EEESZ_S10_S11_S18_S1C_S1E_T6_T7_T9_mT8_S1G_bDpT10_ENKUlT_T0_E_clISt17integral_constantIbLb1EES1T_IbLb0EEEEDaS1P_S1Q_EUlS1P_E_NS1_11comp_targetILNS1_3genE3ELNS1_11target_archE908ELNS1_3gpuE7ELNS1_3repE0EEENS1_30default_config_static_selectorELNS0_4arch9wavefront6targetE1EEEvS12_
	.p2align	8
	.type	_ZN7rocprim17ROCPRIM_400000_NS6detail17trampoline_kernelINS0_13select_configILj256ELj13ELNS0_17block_load_methodE3ELS4_3ELS4_3ELNS0_20block_scan_algorithmE0ELj4294967295EEENS1_25partition_config_selectorILNS1_17partition_subalgoE4EjNS0_10empty_typeEbEEZZNS1_14partition_implILS8_4ELb0ES6_15HIP_vector_typeIjLj2EENS0_17counting_iteratorIjlEEPS9_SG_NS0_5tupleIJPjSI_NS0_16reverse_iteratorISI_EEEEENSH_IJSG_SG_SG_EEES9_SI_JZNS1_25segmented_radix_sort_implINS0_14default_configELb0EPKsPsPKlPlN2at6native12_GLOBAL__N_18offset_tEEE10hipError_tPvRmT1_PNSt15iterator_traitsIS12_E10value_typeET2_T3_PNS13_IS18_E10value_typeET4_jRbjT5_S1E_jjP12ihipStream_tbEUljE_ZNSN_ISO_Lb0ESQ_SR_ST_SU_SY_EESZ_S10_S11_S12_S16_S17_S18_S1B_S1C_jS1D_jS1E_S1E_jjS1G_bEUljE0_EEESZ_S10_S11_S18_S1C_S1E_T6_T7_T9_mT8_S1G_bDpT10_ENKUlT_T0_E_clISt17integral_constantIbLb1EES1T_IbLb0EEEEDaS1P_S1Q_EUlS1P_E_NS1_11comp_targetILNS1_3genE3ELNS1_11target_archE908ELNS1_3gpuE7ELNS1_3repE0EEENS1_30default_config_static_selectorELNS0_4arch9wavefront6targetE1EEEvS12_,@function
_ZN7rocprim17ROCPRIM_400000_NS6detail17trampoline_kernelINS0_13select_configILj256ELj13ELNS0_17block_load_methodE3ELS4_3ELS4_3ELNS0_20block_scan_algorithmE0ELj4294967295EEENS1_25partition_config_selectorILNS1_17partition_subalgoE4EjNS0_10empty_typeEbEEZZNS1_14partition_implILS8_4ELb0ES6_15HIP_vector_typeIjLj2EENS0_17counting_iteratorIjlEEPS9_SG_NS0_5tupleIJPjSI_NS0_16reverse_iteratorISI_EEEEENSH_IJSG_SG_SG_EEES9_SI_JZNS1_25segmented_radix_sort_implINS0_14default_configELb0EPKsPsPKlPlN2at6native12_GLOBAL__N_18offset_tEEE10hipError_tPvRmT1_PNSt15iterator_traitsIS12_E10value_typeET2_T3_PNS13_IS18_E10value_typeET4_jRbjT5_S1E_jjP12ihipStream_tbEUljE_ZNSN_ISO_Lb0ESQ_SR_ST_SU_SY_EESZ_S10_S11_S12_S16_S17_S18_S1B_S1C_jS1D_jS1E_S1E_jjS1G_bEUljE0_EEESZ_S10_S11_S18_S1C_S1E_T6_T7_T9_mT8_S1G_bDpT10_ENKUlT_T0_E_clISt17integral_constantIbLb1EES1T_IbLb0EEEEDaS1P_S1Q_EUlS1P_E_NS1_11comp_targetILNS1_3genE3ELNS1_11target_archE908ELNS1_3gpuE7ELNS1_3repE0EEENS1_30default_config_static_selectorELNS0_4arch9wavefront6targetE1EEEvS12_: ; @_ZN7rocprim17ROCPRIM_400000_NS6detail17trampoline_kernelINS0_13select_configILj256ELj13ELNS0_17block_load_methodE3ELS4_3ELS4_3ELNS0_20block_scan_algorithmE0ELj4294967295EEENS1_25partition_config_selectorILNS1_17partition_subalgoE4EjNS0_10empty_typeEbEEZZNS1_14partition_implILS8_4ELb0ES6_15HIP_vector_typeIjLj2EENS0_17counting_iteratorIjlEEPS9_SG_NS0_5tupleIJPjSI_NS0_16reverse_iteratorISI_EEEEENSH_IJSG_SG_SG_EEES9_SI_JZNS1_25segmented_radix_sort_implINS0_14default_configELb0EPKsPsPKlPlN2at6native12_GLOBAL__N_18offset_tEEE10hipError_tPvRmT1_PNSt15iterator_traitsIS12_E10value_typeET2_T3_PNS13_IS18_E10value_typeET4_jRbjT5_S1E_jjP12ihipStream_tbEUljE_ZNSN_ISO_Lb0ESQ_SR_ST_SU_SY_EESZ_S10_S11_S12_S16_S17_S18_S1B_S1C_jS1D_jS1E_S1E_jjS1G_bEUljE0_EEESZ_S10_S11_S18_S1C_S1E_T6_T7_T9_mT8_S1G_bDpT10_ENKUlT_T0_E_clISt17integral_constantIbLb1EES1T_IbLb0EEEEDaS1P_S1Q_EUlS1P_E_NS1_11comp_targetILNS1_3genE3ELNS1_11target_archE908ELNS1_3gpuE7ELNS1_3repE0EEENS1_30default_config_static_selectorELNS0_4arch9wavefront6targetE1EEEvS12_
; %bb.0:
	.section	.rodata,"a",@progbits
	.p2align	6, 0x0
	.amdhsa_kernel _ZN7rocprim17ROCPRIM_400000_NS6detail17trampoline_kernelINS0_13select_configILj256ELj13ELNS0_17block_load_methodE3ELS4_3ELS4_3ELNS0_20block_scan_algorithmE0ELj4294967295EEENS1_25partition_config_selectorILNS1_17partition_subalgoE4EjNS0_10empty_typeEbEEZZNS1_14partition_implILS8_4ELb0ES6_15HIP_vector_typeIjLj2EENS0_17counting_iteratorIjlEEPS9_SG_NS0_5tupleIJPjSI_NS0_16reverse_iteratorISI_EEEEENSH_IJSG_SG_SG_EEES9_SI_JZNS1_25segmented_radix_sort_implINS0_14default_configELb0EPKsPsPKlPlN2at6native12_GLOBAL__N_18offset_tEEE10hipError_tPvRmT1_PNSt15iterator_traitsIS12_E10value_typeET2_T3_PNS13_IS18_E10value_typeET4_jRbjT5_S1E_jjP12ihipStream_tbEUljE_ZNSN_ISO_Lb0ESQ_SR_ST_SU_SY_EESZ_S10_S11_S12_S16_S17_S18_S1B_S1C_jS1D_jS1E_S1E_jjS1G_bEUljE0_EEESZ_S10_S11_S18_S1C_S1E_T6_T7_T9_mT8_S1G_bDpT10_ENKUlT_T0_E_clISt17integral_constantIbLb1EES1T_IbLb0EEEEDaS1P_S1Q_EUlS1P_E_NS1_11comp_targetILNS1_3genE3ELNS1_11target_archE908ELNS1_3gpuE7ELNS1_3repE0EEENS1_30default_config_static_selectorELNS0_4arch9wavefront6targetE1EEEvS12_
		.amdhsa_group_segment_fixed_size 0
		.amdhsa_private_segment_fixed_size 0
		.amdhsa_kernarg_size 176
		.amdhsa_user_sgpr_count 6
		.amdhsa_user_sgpr_private_segment_buffer 1
		.amdhsa_user_sgpr_dispatch_ptr 0
		.amdhsa_user_sgpr_queue_ptr 0
		.amdhsa_user_sgpr_kernarg_segment_ptr 1
		.amdhsa_user_sgpr_dispatch_id 0
		.amdhsa_user_sgpr_flat_scratch_init 0
		.amdhsa_user_sgpr_private_segment_size 0
		.amdhsa_uses_dynamic_stack 0
		.amdhsa_system_sgpr_private_segment_wavefront_offset 0
		.amdhsa_system_sgpr_workgroup_id_x 1
		.amdhsa_system_sgpr_workgroup_id_y 0
		.amdhsa_system_sgpr_workgroup_id_z 0
		.amdhsa_system_sgpr_workgroup_info 0
		.amdhsa_system_vgpr_workitem_id 0
		.amdhsa_next_free_vgpr 1
		.amdhsa_next_free_sgpr 0
		.amdhsa_reserve_vcc 0
		.amdhsa_reserve_flat_scratch 0
		.amdhsa_float_round_mode_32 0
		.amdhsa_float_round_mode_16_64 0
		.amdhsa_float_denorm_mode_32 3
		.amdhsa_float_denorm_mode_16_64 3
		.amdhsa_dx10_clamp 1
		.amdhsa_ieee_mode 1
		.amdhsa_fp16_overflow 0
		.amdhsa_exception_fp_ieee_invalid_op 0
		.amdhsa_exception_fp_denorm_src 0
		.amdhsa_exception_fp_ieee_div_zero 0
		.amdhsa_exception_fp_ieee_overflow 0
		.amdhsa_exception_fp_ieee_underflow 0
		.amdhsa_exception_fp_ieee_inexact 0
		.amdhsa_exception_int_div_zero 0
	.end_amdhsa_kernel
	.section	.text._ZN7rocprim17ROCPRIM_400000_NS6detail17trampoline_kernelINS0_13select_configILj256ELj13ELNS0_17block_load_methodE3ELS4_3ELS4_3ELNS0_20block_scan_algorithmE0ELj4294967295EEENS1_25partition_config_selectorILNS1_17partition_subalgoE4EjNS0_10empty_typeEbEEZZNS1_14partition_implILS8_4ELb0ES6_15HIP_vector_typeIjLj2EENS0_17counting_iteratorIjlEEPS9_SG_NS0_5tupleIJPjSI_NS0_16reverse_iteratorISI_EEEEENSH_IJSG_SG_SG_EEES9_SI_JZNS1_25segmented_radix_sort_implINS0_14default_configELb0EPKsPsPKlPlN2at6native12_GLOBAL__N_18offset_tEEE10hipError_tPvRmT1_PNSt15iterator_traitsIS12_E10value_typeET2_T3_PNS13_IS18_E10value_typeET4_jRbjT5_S1E_jjP12ihipStream_tbEUljE_ZNSN_ISO_Lb0ESQ_SR_ST_SU_SY_EESZ_S10_S11_S12_S16_S17_S18_S1B_S1C_jS1D_jS1E_S1E_jjS1G_bEUljE0_EEESZ_S10_S11_S18_S1C_S1E_T6_T7_T9_mT8_S1G_bDpT10_ENKUlT_T0_E_clISt17integral_constantIbLb1EES1T_IbLb0EEEEDaS1P_S1Q_EUlS1P_E_NS1_11comp_targetILNS1_3genE3ELNS1_11target_archE908ELNS1_3gpuE7ELNS1_3repE0EEENS1_30default_config_static_selectorELNS0_4arch9wavefront6targetE1EEEvS12_,"axG",@progbits,_ZN7rocprim17ROCPRIM_400000_NS6detail17trampoline_kernelINS0_13select_configILj256ELj13ELNS0_17block_load_methodE3ELS4_3ELS4_3ELNS0_20block_scan_algorithmE0ELj4294967295EEENS1_25partition_config_selectorILNS1_17partition_subalgoE4EjNS0_10empty_typeEbEEZZNS1_14partition_implILS8_4ELb0ES6_15HIP_vector_typeIjLj2EENS0_17counting_iteratorIjlEEPS9_SG_NS0_5tupleIJPjSI_NS0_16reverse_iteratorISI_EEEEENSH_IJSG_SG_SG_EEES9_SI_JZNS1_25segmented_radix_sort_implINS0_14default_configELb0EPKsPsPKlPlN2at6native12_GLOBAL__N_18offset_tEEE10hipError_tPvRmT1_PNSt15iterator_traitsIS12_E10value_typeET2_T3_PNS13_IS18_E10value_typeET4_jRbjT5_S1E_jjP12ihipStream_tbEUljE_ZNSN_ISO_Lb0ESQ_SR_ST_SU_SY_EESZ_S10_S11_S12_S16_S17_S18_S1B_S1C_jS1D_jS1E_S1E_jjS1G_bEUljE0_EEESZ_S10_S11_S18_S1C_S1E_T6_T7_T9_mT8_S1G_bDpT10_ENKUlT_T0_E_clISt17integral_constantIbLb1EES1T_IbLb0EEEEDaS1P_S1Q_EUlS1P_E_NS1_11comp_targetILNS1_3genE3ELNS1_11target_archE908ELNS1_3gpuE7ELNS1_3repE0EEENS1_30default_config_static_selectorELNS0_4arch9wavefront6targetE1EEEvS12_,comdat
.Lfunc_end969:
	.size	_ZN7rocprim17ROCPRIM_400000_NS6detail17trampoline_kernelINS0_13select_configILj256ELj13ELNS0_17block_load_methodE3ELS4_3ELS4_3ELNS0_20block_scan_algorithmE0ELj4294967295EEENS1_25partition_config_selectorILNS1_17partition_subalgoE4EjNS0_10empty_typeEbEEZZNS1_14partition_implILS8_4ELb0ES6_15HIP_vector_typeIjLj2EENS0_17counting_iteratorIjlEEPS9_SG_NS0_5tupleIJPjSI_NS0_16reverse_iteratorISI_EEEEENSH_IJSG_SG_SG_EEES9_SI_JZNS1_25segmented_radix_sort_implINS0_14default_configELb0EPKsPsPKlPlN2at6native12_GLOBAL__N_18offset_tEEE10hipError_tPvRmT1_PNSt15iterator_traitsIS12_E10value_typeET2_T3_PNS13_IS18_E10value_typeET4_jRbjT5_S1E_jjP12ihipStream_tbEUljE_ZNSN_ISO_Lb0ESQ_SR_ST_SU_SY_EESZ_S10_S11_S12_S16_S17_S18_S1B_S1C_jS1D_jS1E_S1E_jjS1G_bEUljE0_EEESZ_S10_S11_S18_S1C_S1E_T6_T7_T9_mT8_S1G_bDpT10_ENKUlT_T0_E_clISt17integral_constantIbLb1EES1T_IbLb0EEEEDaS1P_S1Q_EUlS1P_E_NS1_11comp_targetILNS1_3genE3ELNS1_11target_archE908ELNS1_3gpuE7ELNS1_3repE0EEENS1_30default_config_static_selectorELNS0_4arch9wavefront6targetE1EEEvS12_, .Lfunc_end969-_ZN7rocprim17ROCPRIM_400000_NS6detail17trampoline_kernelINS0_13select_configILj256ELj13ELNS0_17block_load_methodE3ELS4_3ELS4_3ELNS0_20block_scan_algorithmE0ELj4294967295EEENS1_25partition_config_selectorILNS1_17partition_subalgoE4EjNS0_10empty_typeEbEEZZNS1_14partition_implILS8_4ELb0ES6_15HIP_vector_typeIjLj2EENS0_17counting_iteratorIjlEEPS9_SG_NS0_5tupleIJPjSI_NS0_16reverse_iteratorISI_EEEEENSH_IJSG_SG_SG_EEES9_SI_JZNS1_25segmented_radix_sort_implINS0_14default_configELb0EPKsPsPKlPlN2at6native12_GLOBAL__N_18offset_tEEE10hipError_tPvRmT1_PNSt15iterator_traitsIS12_E10value_typeET2_T3_PNS13_IS18_E10value_typeET4_jRbjT5_S1E_jjP12ihipStream_tbEUljE_ZNSN_ISO_Lb0ESQ_SR_ST_SU_SY_EESZ_S10_S11_S12_S16_S17_S18_S1B_S1C_jS1D_jS1E_S1E_jjS1G_bEUljE0_EEESZ_S10_S11_S18_S1C_S1E_T6_T7_T9_mT8_S1G_bDpT10_ENKUlT_T0_E_clISt17integral_constantIbLb1EES1T_IbLb0EEEEDaS1P_S1Q_EUlS1P_E_NS1_11comp_targetILNS1_3genE3ELNS1_11target_archE908ELNS1_3gpuE7ELNS1_3repE0EEENS1_30default_config_static_selectorELNS0_4arch9wavefront6targetE1EEEvS12_
                                        ; -- End function
	.set _ZN7rocprim17ROCPRIM_400000_NS6detail17trampoline_kernelINS0_13select_configILj256ELj13ELNS0_17block_load_methodE3ELS4_3ELS4_3ELNS0_20block_scan_algorithmE0ELj4294967295EEENS1_25partition_config_selectorILNS1_17partition_subalgoE4EjNS0_10empty_typeEbEEZZNS1_14partition_implILS8_4ELb0ES6_15HIP_vector_typeIjLj2EENS0_17counting_iteratorIjlEEPS9_SG_NS0_5tupleIJPjSI_NS0_16reverse_iteratorISI_EEEEENSH_IJSG_SG_SG_EEES9_SI_JZNS1_25segmented_radix_sort_implINS0_14default_configELb0EPKsPsPKlPlN2at6native12_GLOBAL__N_18offset_tEEE10hipError_tPvRmT1_PNSt15iterator_traitsIS12_E10value_typeET2_T3_PNS13_IS18_E10value_typeET4_jRbjT5_S1E_jjP12ihipStream_tbEUljE_ZNSN_ISO_Lb0ESQ_SR_ST_SU_SY_EESZ_S10_S11_S12_S16_S17_S18_S1B_S1C_jS1D_jS1E_S1E_jjS1G_bEUljE0_EEESZ_S10_S11_S18_S1C_S1E_T6_T7_T9_mT8_S1G_bDpT10_ENKUlT_T0_E_clISt17integral_constantIbLb1EES1T_IbLb0EEEEDaS1P_S1Q_EUlS1P_E_NS1_11comp_targetILNS1_3genE3ELNS1_11target_archE908ELNS1_3gpuE7ELNS1_3repE0EEENS1_30default_config_static_selectorELNS0_4arch9wavefront6targetE1EEEvS12_.num_vgpr, 0
	.set _ZN7rocprim17ROCPRIM_400000_NS6detail17trampoline_kernelINS0_13select_configILj256ELj13ELNS0_17block_load_methodE3ELS4_3ELS4_3ELNS0_20block_scan_algorithmE0ELj4294967295EEENS1_25partition_config_selectorILNS1_17partition_subalgoE4EjNS0_10empty_typeEbEEZZNS1_14partition_implILS8_4ELb0ES6_15HIP_vector_typeIjLj2EENS0_17counting_iteratorIjlEEPS9_SG_NS0_5tupleIJPjSI_NS0_16reverse_iteratorISI_EEEEENSH_IJSG_SG_SG_EEES9_SI_JZNS1_25segmented_radix_sort_implINS0_14default_configELb0EPKsPsPKlPlN2at6native12_GLOBAL__N_18offset_tEEE10hipError_tPvRmT1_PNSt15iterator_traitsIS12_E10value_typeET2_T3_PNS13_IS18_E10value_typeET4_jRbjT5_S1E_jjP12ihipStream_tbEUljE_ZNSN_ISO_Lb0ESQ_SR_ST_SU_SY_EESZ_S10_S11_S12_S16_S17_S18_S1B_S1C_jS1D_jS1E_S1E_jjS1G_bEUljE0_EEESZ_S10_S11_S18_S1C_S1E_T6_T7_T9_mT8_S1G_bDpT10_ENKUlT_T0_E_clISt17integral_constantIbLb1EES1T_IbLb0EEEEDaS1P_S1Q_EUlS1P_E_NS1_11comp_targetILNS1_3genE3ELNS1_11target_archE908ELNS1_3gpuE7ELNS1_3repE0EEENS1_30default_config_static_selectorELNS0_4arch9wavefront6targetE1EEEvS12_.num_agpr, 0
	.set _ZN7rocprim17ROCPRIM_400000_NS6detail17trampoline_kernelINS0_13select_configILj256ELj13ELNS0_17block_load_methodE3ELS4_3ELS4_3ELNS0_20block_scan_algorithmE0ELj4294967295EEENS1_25partition_config_selectorILNS1_17partition_subalgoE4EjNS0_10empty_typeEbEEZZNS1_14partition_implILS8_4ELb0ES6_15HIP_vector_typeIjLj2EENS0_17counting_iteratorIjlEEPS9_SG_NS0_5tupleIJPjSI_NS0_16reverse_iteratorISI_EEEEENSH_IJSG_SG_SG_EEES9_SI_JZNS1_25segmented_radix_sort_implINS0_14default_configELb0EPKsPsPKlPlN2at6native12_GLOBAL__N_18offset_tEEE10hipError_tPvRmT1_PNSt15iterator_traitsIS12_E10value_typeET2_T3_PNS13_IS18_E10value_typeET4_jRbjT5_S1E_jjP12ihipStream_tbEUljE_ZNSN_ISO_Lb0ESQ_SR_ST_SU_SY_EESZ_S10_S11_S12_S16_S17_S18_S1B_S1C_jS1D_jS1E_S1E_jjS1G_bEUljE0_EEESZ_S10_S11_S18_S1C_S1E_T6_T7_T9_mT8_S1G_bDpT10_ENKUlT_T0_E_clISt17integral_constantIbLb1EES1T_IbLb0EEEEDaS1P_S1Q_EUlS1P_E_NS1_11comp_targetILNS1_3genE3ELNS1_11target_archE908ELNS1_3gpuE7ELNS1_3repE0EEENS1_30default_config_static_selectorELNS0_4arch9wavefront6targetE1EEEvS12_.numbered_sgpr, 0
	.set _ZN7rocprim17ROCPRIM_400000_NS6detail17trampoline_kernelINS0_13select_configILj256ELj13ELNS0_17block_load_methodE3ELS4_3ELS4_3ELNS0_20block_scan_algorithmE0ELj4294967295EEENS1_25partition_config_selectorILNS1_17partition_subalgoE4EjNS0_10empty_typeEbEEZZNS1_14partition_implILS8_4ELb0ES6_15HIP_vector_typeIjLj2EENS0_17counting_iteratorIjlEEPS9_SG_NS0_5tupleIJPjSI_NS0_16reverse_iteratorISI_EEEEENSH_IJSG_SG_SG_EEES9_SI_JZNS1_25segmented_radix_sort_implINS0_14default_configELb0EPKsPsPKlPlN2at6native12_GLOBAL__N_18offset_tEEE10hipError_tPvRmT1_PNSt15iterator_traitsIS12_E10value_typeET2_T3_PNS13_IS18_E10value_typeET4_jRbjT5_S1E_jjP12ihipStream_tbEUljE_ZNSN_ISO_Lb0ESQ_SR_ST_SU_SY_EESZ_S10_S11_S12_S16_S17_S18_S1B_S1C_jS1D_jS1E_S1E_jjS1G_bEUljE0_EEESZ_S10_S11_S18_S1C_S1E_T6_T7_T9_mT8_S1G_bDpT10_ENKUlT_T0_E_clISt17integral_constantIbLb1EES1T_IbLb0EEEEDaS1P_S1Q_EUlS1P_E_NS1_11comp_targetILNS1_3genE3ELNS1_11target_archE908ELNS1_3gpuE7ELNS1_3repE0EEENS1_30default_config_static_selectorELNS0_4arch9wavefront6targetE1EEEvS12_.num_named_barrier, 0
	.set _ZN7rocprim17ROCPRIM_400000_NS6detail17trampoline_kernelINS0_13select_configILj256ELj13ELNS0_17block_load_methodE3ELS4_3ELS4_3ELNS0_20block_scan_algorithmE0ELj4294967295EEENS1_25partition_config_selectorILNS1_17partition_subalgoE4EjNS0_10empty_typeEbEEZZNS1_14partition_implILS8_4ELb0ES6_15HIP_vector_typeIjLj2EENS0_17counting_iteratorIjlEEPS9_SG_NS0_5tupleIJPjSI_NS0_16reverse_iteratorISI_EEEEENSH_IJSG_SG_SG_EEES9_SI_JZNS1_25segmented_radix_sort_implINS0_14default_configELb0EPKsPsPKlPlN2at6native12_GLOBAL__N_18offset_tEEE10hipError_tPvRmT1_PNSt15iterator_traitsIS12_E10value_typeET2_T3_PNS13_IS18_E10value_typeET4_jRbjT5_S1E_jjP12ihipStream_tbEUljE_ZNSN_ISO_Lb0ESQ_SR_ST_SU_SY_EESZ_S10_S11_S12_S16_S17_S18_S1B_S1C_jS1D_jS1E_S1E_jjS1G_bEUljE0_EEESZ_S10_S11_S18_S1C_S1E_T6_T7_T9_mT8_S1G_bDpT10_ENKUlT_T0_E_clISt17integral_constantIbLb1EES1T_IbLb0EEEEDaS1P_S1Q_EUlS1P_E_NS1_11comp_targetILNS1_3genE3ELNS1_11target_archE908ELNS1_3gpuE7ELNS1_3repE0EEENS1_30default_config_static_selectorELNS0_4arch9wavefront6targetE1EEEvS12_.private_seg_size, 0
	.set _ZN7rocprim17ROCPRIM_400000_NS6detail17trampoline_kernelINS0_13select_configILj256ELj13ELNS0_17block_load_methodE3ELS4_3ELS4_3ELNS0_20block_scan_algorithmE0ELj4294967295EEENS1_25partition_config_selectorILNS1_17partition_subalgoE4EjNS0_10empty_typeEbEEZZNS1_14partition_implILS8_4ELb0ES6_15HIP_vector_typeIjLj2EENS0_17counting_iteratorIjlEEPS9_SG_NS0_5tupleIJPjSI_NS0_16reverse_iteratorISI_EEEEENSH_IJSG_SG_SG_EEES9_SI_JZNS1_25segmented_radix_sort_implINS0_14default_configELb0EPKsPsPKlPlN2at6native12_GLOBAL__N_18offset_tEEE10hipError_tPvRmT1_PNSt15iterator_traitsIS12_E10value_typeET2_T3_PNS13_IS18_E10value_typeET4_jRbjT5_S1E_jjP12ihipStream_tbEUljE_ZNSN_ISO_Lb0ESQ_SR_ST_SU_SY_EESZ_S10_S11_S12_S16_S17_S18_S1B_S1C_jS1D_jS1E_S1E_jjS1G_bEUljE0_EEESZ_S10_S11_S18_S1C_S1E_T6_T7_T9_mT8_S1G_bDpT10_ENKUlT_T0_E_clISt17integral_constantIbLb1EES1T_IbLb0EEEEDaS1P_S1Q_EUlS1P_E_NS1_11comp_targetILNS1_3genE3ELNS1_11target_archE908ELNS1_3gpuE7ELNS1_3repE0EEENS1_30default_config_static_selectorELNS0_4arch9wavefront6targetE1EEEvS12_.uses_vcc, 0
	.set _ZN7rocprim17ROCPRIM_400000_NS6detail17trampoline_kernelINS0_13select_configILj256ELj13ELNS0_17block_load_methodE3ELS4_3ELS4_3ELNS0_20block_scan_algorithmE0ELj4294967295EEENS1_25partition_config_selectorILNS1_17partition_subalgoE4EjNS0_10empty_typeEbEEZZNS1_14partition_implILS8_4ELb0ES6_15HIP_vector_typeIjLj2EENS0_17counting_iteratorIjlEEPS9_SG_NS0_5tupleIJPjSI_NS0_16reverse_iteratorISI_EEEEENSH_IJSG_SG_SG_EEES9_SI_JZNS1_25segmented_radix_sort_implINS0_14default_configELb0EPKsPsPKlPlN2at6native12_GLOBAL__N_18offset_tEEE10hipError_tPvRmT1_PNSt15iterator_traitsIS12_E10value_typeET2_T3_PNS13_IS18_E10value_typeET4_jRbjT5_S1E_jjP12ihipStream_tbEUljE_ZNSN_ISO_Lb0ESQ_SR_ST_SU_SY_EESZ_S10_S11_S12_S16_S17_S18_S1B_S1C_jS1D_jS1E_S1E_jjS1G_bEUljE0_EEESZ_S10_S11_S18_S1C_S1E_T6_T7_T9_mT8_S1G_bDpT10_ENKUlT_T0_E_clISt17integral_constantIbLb1EES1T_IbLb0EEEEDaS1P_S1Q_EUlS1P_E_NS1_11comp_targetILNS1_3genE3ELNS1_11target_archE908ELNS1_3gpuE7ELNS1_3repE0EEENS1_30default_config_static_selectorELNS0_4arch9wavefront6targetE1EEEvS12_.uses_flat_scratch, 0
	.set _ZN7rocprim17ROCPRIM_400000_NS6detail17trampoline_kernelINS0_13select_configILj256ELj13ELNS0_17block_load_methodE3ELS4_3ELS4_3ELNS0_20block_scan_algorithmE0ELj4294967295EEENS1_25partition_config_selectorILNS1_17partition_subalgoE4EjNS0_10empty_typeEbEEZZNS1_14partition_implILS8_4ELb0ES6_15HIP_vector_typeIjLj2EENS0_17counting_iteratorIjlEEPS9_SG_NS0_5tupleIJPjSI_NS0_16reverse_iteratorISI_EEEEENSH_IJSG_SG_SG_EEES9_SI_JZNS1_25segmented_radix_sort_implINS0_14default_configELb0EPKsPsPKlPlN2at6native12_GLOBAL__N_18offset_tEEE10hipError_tPvRmT1_PNSt15iterator_traitsIS12_E10value_typeET2_T3_PNS13_IS18_E10value_typeET4_jRbjT5_S1E_jjP12ihipStream_tbEUljE_ZNSN_ISO_Lb0ESQ_SR_ST_SU_SY_EESZ_S10_S11_S12_S16_S17_S18_S1B_S1C_jS1D_jS1E_S1E_jjS1G_bEUljE0_EEESZ_S10_S11_S18_S1C_S1E_T6_T7_T9_mT8_S1G_bDpT10_ENKUlT_T0_E_clISt17integral_constantIbLb1EES1T_IbLb0EEEEDaS1P_S1Q_EUlS1P_E_NS1_11comp_targetILNS1_3genE3ELNS1_11target_archE908ELNS1_3gpuE7ELNS1_3repE0EEENS1_30default_config_static_selectorELNS0_4arch9wavefront6targetE1EEEvS12_.has_dyn_sized_stack, 0
	.set _ZN7rocprim17ROCPRIM_400000_NS6detail17trampoline_kernelINS0_13select_configILj256ELj13ELNS0_17block_load_methodE3ELS4_3ELS4_3ELNS0_20block_scan_algorithmE0ELj4294967295EEENS1_25partition_config_selectorILNS1_17partition_subalgoE4EjNS0_10empty_typeEbEEZZNS1_14partition_implILS8_4ELb0ES6_15HIP_vector_typeIjLj2EENS0_17counting_iteratorIjlEEPS9_SG_NS0_5tupleIJPjSI_NS0_16reverse_iteratorISI_EEEEENSH_IJSG_SG_SG_EEES9_SI_JZNS1_25segmented_radix_sort_implINS0_14default_configELb0EPKsPsPKlPlN2at6native12_GLOBAL__N_18offset_tEEE10hipError_tPvRmT1_PNSt15iterator_traitsIS12_E10value_typeET2_T3_PNS13_IS18_E10value_typeET4_jRbjT5_S1E_jjP12ihipStream_tbEUljE_ZNSN_ISO_Lb0ESQ_SR_ST_SU_SY_EESZ_S10_S11_S12_S16_S17_S18_S1B_S1C_jS1D_jS1E_S1E_jjS1G_bEUljE0_EEESZ_S10_S11_S18_S1C_S1E_T6_T7_T9_mT8_S1G_bDpT10_ENKUlT_T0_E_clISt17integral_constantIbLb1EES1T_IbLb0EEEEDaS1P_S1Q_EUlS1P_E_NS1_11comp_targetILNS1_3genE3ELNS1_11target_archE908ELNS1_3gpuE7ELNS1_3repE0EEENS1_30default_config_static_selectorELNS0_4arch9wavefront6targetE1EEEvS12_.has_recursion, 0
	.set _ZN7rocprim17ROCPRIM_400000_NS6detail17trampoline_kernelINS0_13select_configILj256ELj13ELNS0_17block_load_methodE3ELS4_3ELS4_3ELNS0_20block_scan_algorithmE0ELj4294967295EEENS1_25partition_config_selectorILNS1_17partition_subalgoE4EjNS0_10empty_typeEbEEZZNS1_14partition_implILS8_4ELb0ES6_15HIP_vector_typeIjLj2EENS0_17counting_iteratorIjlEEPS9_SG_NS0_5tupleIJPjSI_NS0_16reverse_iteratorISI_EEEEENSH_IJSG_SG_SG_EEES9_SI_JZNS1_25segmented_radix_sort_implINS0_14default_configELb0EPKsPsPKlPlN2at6native12_GLOBAL__N_18offset_tEEE10hipError_tPvRmT1_PNSt15iterator_traitsIS12_E10value_typeET2_T3_PNS13_IS18_E10value_typeET4_jRbjT5_S1E_jjP12ihipStream_tbEUljE_ZNSN_ISO_Lb0ESQ_SR_ST_SU_SY_EESZ_S10_S11_S12_S16_S17_S18_S1B_S1C_jS1D_jS1E_S1E_jjS1G_bEUljE0_EEESZ_S10_S11_S18_S1C_S1E_T6_T7_T9_mT8_S1G_bDpT10_ENKUlT_T0_E_clISt17integral_constantIbLb1EES1T_IbLb0EEEEDaS1P_S1Q_EUlS1P_E_NS1_11comp_targetILNS1_3genE3ELNS1_11target_archE908ELNS1_3gpuE7ELNS1_3repE0EEENS1_30default_config_static_selectorELNS0_4arch9wavefront6targetE1EEEvS12_.has_indirect_call, 0
	.section	.AMDGPU.csdata,"",@progbits
; Kernel info:
; codeLenInByte = 0
; TotalNumSgprs: 4
; NumVgprs: 0
; ScratchSize: 0
; MemoryBound: 0
; FloatMode: 240
; IeeeMode: 1
; LDSByteSize: 0 bytes/workgroup (compile time only)
; SGPRBlocks: 0
; VGPRBlocks: 0
; NumSGPRsForWavesPerEU: 4
; NumVGPRsForWavesPerEU: 1
; Occupancy: 10
; WaveLimiterHint : 0
; COMPUTE_PGM_RSRC2:SCRATCH_EN: 0
; COMPUTE_PGM_RSRC2:USER_SGPR: 6
; COMPUTE_PGM_RSRC2:TRAP_HANDLER: 0
; COMPUTE_PGM_RSRC2:TGID_X_EN: 1
; COMPUTE_PGM_RSRC2:TGID_Y_EN: 0
; COMPUTE_PGM_RSRC2:TGID_Z_EN: 0
; COMPUTE_PGM_RSRC2:TIDIG_COMP_CNT: 0
	.section	.text._ZN7rocprim17ROCPRIM_400000_NS6detail17trampoline_kernelINS0_13select_configILj256ELj13ELNS0_17block_load_methodE3ELS4_3ELS4_3ELNS0_20block_scan_algorithmE0ELj4294967295EEENS1_25partition_config_selectorILNS1_17partition_subalgoE4EjNS0_10empty_typeEbEEZZNS1_14partition_implILS8_4ELb0ES6_15HIP_vector_typeIjLj2EENS0_17counting_iteratorIjlEEPS9_SG_NS0_5tupleIJPjSI_NS0_16reverse_iteratorISI_EEEEENSH_IJSG_SG_SG_EEES9_SI_JZNS1_25segmented_radix_sort_implINS0_14default_configELb0EPKsPsPKlPlN2at6native12_GLOBAL__N_18offset_tEEE10hipError_tPvRmT1_PNSt15iterator_traitsIS12_E10value_typeET2_T3_PNS13_IS18_E10value_typeET4_jRbjT5_S1E_jjP12ihipStream_tbEUljE_ZNSN_ISO_Lb0ESQ_SR_ST_SU_SY_EESZ_S10_S11_S12_S16_S17_S18_S1B_S1C_jS1D_jS1E_S1E_jjS1G_bEUljE0_EEESZ_S10_S11_S18_S1C_S1E_T6_T7_T9_mT8_S1G_bDpT10_ENKUlT_T0_E_clISt17integral_constantIbLb1EES1T_IbLb0EEEEDaS1P_S1Q_EUlS1P_E_NS1_11comp_targetILNS1_3genE2ELNS1_11target_archE906ELNS1_3gpuE6ELNS1_3repE0EEENS1_30default_config_static_selectorELNS0_4arch9wavefront6targetE1EEEvS12_,"axG",@progbits,_ZN7rocprim17ROCPRIM_400000_NS6detail17trampoline_kernelINS0_13select_configILj256ELj13ELNS0_17block_load_methodE3ELS4_3ELS4_3ELNS0_20block_scan_algorithmE0ELj4294967295EEENS1_25partition_config_selectorILNS1_17partition_subalgoE4EjNS0_10empty_typeEbEEZZNS1_14partition_implILS8_4ELb0ES6_15HIP_vector_typeIjLj2EENS0_17counting_iteratorIjlEEPS9_SG_NS0_5tupleIJPjSI_NS0_16reverse_iteratorISI_EEEEENSH_IJSG_SG_SG_EEES9_SI_JZNS1_25segmented_radix_sort_implINS0_14default_configELb0EPKsPsPKlPlN2at6native12_GLOBAL__N_18offset_tEEE10hipError_tPvRmT1_PNSt15iterator_traitsIS12_E10value_typeET2_T3_PNS13_IS18_E10value_typeET4_jRbjT5_S1E_jjP12ihipStream_tbEUljE_ZNSN_ISO_Lb0ESQ_SR_ST_SU_SY_EESZ_S10_S11_S12_S16_S17_S18_S1B_S1C_jS1D_jS1E_S1E_jjS1G_bEUljE0_EEESZ_S10_S11_S18_S1C_S1E_T6_T7_T9_mT8_S1G_bDpT10_ENKUlT_T0_E_clISt17integral_constantIbLb1EES1T_IbLb0EEEEDaS1P_S1Q_EUlS1P_E_NS1_11comp_targetILNS1_3genE2ELNS1_11target_archE906ELNS1_3gpuE6ELNS1_3repE0EEENS1_30default_config_static_selectorELNS0_4arch9wavefront6targetE1EEEvS12_,comdat
	.globl	_ZN7rocprim17ROCPRIM_400000_NS6detail17trampoline_kernelINS0_13select_configILj256ELj13ELNS0_17block_load_methodE3ELS4_3ELS4_3ELNS0_20block_scan_algorithmE0ELj4294967295EEENS1_25partition_config_selectorILNS1_17partition_subalgoE4EjNS0_10empty_typeEbEEZZNS1_14partition_implILS8_4ELb0ES6_15HIP_vector_typeIjLj2EENS0_17counting_iteratorIjlEEPS9_SG_NS0_5tupleIJPjSI_NS0_16reverse_iteratorISI_EEEEENSH_IJSG_SG_SG_EEES9_SI_JZNS1_25segmented_radix_sort_implINS0_14default_configELb0EPKsPsPKlPlN2at6native12_GLOBAL__N_18offset_tEEE10hipError_tPvRmT1_PNSt15iterator_traitsIS12_E10value_typeET2_T3_PNS13_IS18_E10value_typeET4_jRbjT5_S1E_jjP12ihipStream_tbEUljE_ZNSN_ISO_Lb0ESQ_SR_ST_SU_SY_EESZ_S10_S11_S12_S16_S17_S18_S1B_S1C_jS1D_jS1E_S1E_jjS1G_bEUljE0_EEESZ_S10_S11_S18_S1C_S1E_T6_T7_T9_mT8_S1G_bDpT10_ENKUlT_T0_E_clISt17integral_constantIbLb1EES1T_IbLb0EEEEDaS1P_S1Q_EUlS1P_E_NS1_11comp_targetILNS1_3genE2ELNS1_11target_archE906ELNS1_3gpuE6ELNS1_3repE0EEENS1_30default_config_static_selectorELNS0_4arch9wavefront6targetE1EEEvS12_ ; -- Begin function _ZN7rocprim17ROCPRIM_400000_NS6detail17trampoline_kernelINS0_13select_configILj256ELj13ELNS0_17block_load_methodE3ELS4_3ELS4_3ELNS0_20block_scan_algorithmE0ELj4294967295EEENS1_25partition_config_selectorILNS1_17partition_subalgoE4EjNS0_10empty_typeEbEEZZNS1_14partition_implILS8_4ELb0ES6_15HIP_vector_typeIjLj2EENS0_17counting_iteratorIjlEEPS9_SG_NS0_5tupleIJPjSI_NS0_16reverse_iteratorISI_EEEEENSH_IJSG_SG_SG_EEES9_SI_JZNS1_25segmented_radix_sort_implINS0_14default_configELb0EPKsPsPKlPlN2at6native12_GLOBAL__N_18offset_tEEE10hipError_tPvRmT1_PNSt15iterator_traitsIS12_E10value_typeET2_T3_PNS13_IS18_E10value_typeET4_jRbjT5_S1E_jjP12ihipStream_tbEUljE_ZNSN_ISO_Lb0ESQ_SR_ST_SU_SY_EESZ_S10_S11_S12_S16_S17_S18_S1B_S1C_jS1D_jS1E_S1E_jjS1G_bEUljE0_EEESZ_S10_S11_S18_S1C_S1E_T6_T7_T9_mT8_S1G_bDpT10_ENKUlT_T0_E_clISt17integral_constantIbLb1EES1T_IbLb0EEEEDaS1P_S1Q_EUlS1P_E_NS1_11comp_targetILNS1_3genE2ELNS1_11target_archE906ELNS1_3gpuE6ELNS1_3repE0EEENS1_30default_config_static_selectorELNS0_4arch9wavefront6targetE1EEEvS12_
	.p2align	8
	.type	_ZN7rocprim17ROCPRIM_400000_NS6detail17trampoline_kernelINS0_13select_configILj256ELj13ELNS0_17block_load_methodE3ELS4_3ELS4_3ELNS0_20block_scan_algorithmE0ELj4294967295EEENS1_25partition_config_selectorILNS1_17partition_subalgoE4EjNS0_10empty_typeEbEEZZNS1_14partition_implILS8_4ELb0ES6_15HIP_vector_typeIjLj2EENS0_17counting_iteratorIjlEEPS9_SG_NS0_5tupleIJPjSI_NS0_16reverse_iteratorISI_EEEEENSH_IJSG_SG_SG_EEES9_SI_JZNS1_25segmented_radix_sort_implINS0_14default_configELb0EPKsPsPKlPlN2at6native12_GLOBAL__N_18offset_tEEE10hipError_tPvRmT1_PNSt15iterator_traitsIS12_E10value_typeET2_T3_PNS13_IS18_E10value_typeET4_jRbjT5_S1E_jjP12ihipStream_tbEUljE_ZNSN_ISO_Lb0ESQ_SR_ST_SU_SY_EESZ_S10_S11_S12_S16_S17_S18_S1B_S1C_jS1D_jS1E_S1E_jjS1G_bEUljE0_EEESZ_S10_S11_S18_S1C_S1E_T6_T7_T9_mT8_S1G_bDpT10_ENKUlT_T0_E_clISt17integral_constantIbLb1EES1T_IbLb0EEEEDaS1P_S1Q_EUlS1P_E_NS1_11comp_targetILNS1_3genE2ELNS1_11target_archE906ELNS1_3gpuE6ELNS1_3repE0EEENS1_30default_config_static_selectorELNS0_4arch9wavefront6targetE1EEEvS12_,@function
_ZN7rocprim17ROCPRIM_400000_NS6detail17trampoline_kernelINS0_13select_configILj256ELj13ELNS0_17block_load_methodE3ELS4_3ELS4_3ELNS0_20block_scan_algorithmE0ELj4294967295EEENS1_25partition_config_selectorILNS1_17partition_subalgoE4EjNS0_10empty_typeEbEEZZNS1_14partition_implILS8_4ELb0ES6_15HIP_vector_typeIjLj2EENS0_17counting_iteratorIjlEEPS9_SG_NS0_5tupleIJPjSI_NS0_16reverse_iteratorISI_EEEEENSH_IJSG_SG_SG_EEES9_SI_JZNS1_25segmented_radix_sort_implINS0_14default_configELb0EPKsPsPKlPlN2at6native12_GLOBAL__N_18offset_tEEE10hipError_tPvRmT1_PNSt15iterator_traitsIS12_E10value_typeET2_T3_PNS13_IS18_E10value_typeET4_jRbjT5_S1E_jjP12ihipStream_tbEUljE_ZNSN_ISO_Lb0ESQ_SR_ST_SU_SY_EESZ_S10_S11_S12_S16_S17_S18_S1B_S1C_jS1D_jS1E_S1E_jjS1G_bEUljE0_EEESZ_S10_S11_S18_S1C_S1E_T6_T7_T9_mT8_S1G_bDpT10_ENKUlT_T0_E_clISt17integral_constantIbLb1EES1T_IbLb0EEEEDaS1P_S1Q_EUlS1P_E_NS1_11comp_targetILNS1_3genE2ELNS1_11target_archE906ELNS1_3gpuE6ELNS1_3repE0EEENS1_30default_config_static_selectorELNS0_4arch9wavefront6targetE1EEEvS12_: ; @_ZN7rocprim17ROCPRIM_400000_NS6detail17trampoline_kernelINS0_13select_configILj256ELj13ELNS0_17block_load_methodE3ELS4_3ELS4_3ELNS0_20block_scan_algorithmE0ELj4294967295EEENS1_25partition_config_selectorILNS1_17partition_subalgoE4EjNS0_10empty_typeEbEEZZNS1_14partition_implILS8_4ELb0ES6_15HIP_vector_typeIjLj2EENS0_17counting_iteratorIjlEEPS9_SG_NS0_5tupleIJPjSI_NS0_16reverse_iteratorISI_EEEEENSH_IJSG_SG_SG_EEES9_SI_JZNS1_25segmented_radix_sort_implINS0_14default_configELb0EPKsPsPKlPlN2at6native12_GLOBAL__N_18offset_tEEE10hipError_tPvRmT1_PNSt15iterator_traitsIS12_E10value_typeET2_T3_PNS13_IS18_E10value_typeET4_jRbjT5_S1E_jjP12ihipStream_tbEUljE_ZNSN_ISO_Lb0ESQ_SR_ST_SU_SY_EESZ_S10_S11_S12_S16_S17_S18_S1B_S1C_jS1D_jS1E_S1E_jjS1G_bEUljE0_EEESZ_S10_S11_S18_S1C_S1E_T6_T7_T9_mT8_S1G_bDpT10_ENKUlT_T0_E_clISt17integral_constantIbLb1EES1T_IbLb0EEEEDaS1P_S1Q_EUlS1P_E_NS1_11comp_targetILNS1_3genE2ELNS1_11target_archE906ELNS1_3gpuE6ELNS1_3repE0EEENS1_30default_config_static_selectorELNS0_4arch9wavefront6targetE1EEEvS12_
; %bb.0:
	s_endpgm
	.section	.rodata,"a",@progbits
	.p2align	6, 0x0
	.amdhsa_kernel _ZN7rocprim17ROCPRIM_400000_NS6detail17trampoline_kernelINS0_13select_configILj256ELj13ELNS0_17block_load_methodE3ELS4_3ELS4_3ELNS0_20block_scan_algorithmE0ELj4294967295EEENS1_25partition_config_selectorILNS1_17partition_subalgoE4EjNS0_10empty_typeEbEEZZNS1_14partition_implILS8_4ELb0ES6_15HIP_vector_typeIjLj2EENS0_17counting_iteratorIjlEEPS9_SG_NS0_5tupleIJPjSI_NS0_16reverse_iteratorISI_EEEEENSH_IJSG_SG_SG_EEES9_SI_JZNS1_25segmented_radix_sort_implINS0_14default_configELb0EPKsPsPKlPlN2at6native12_GLOBAL__N_18offset_tEEE10hipError_tPvRmT1_PNSt15iterator_traitsIS12_E10value_typeET2_T3_PNS13_IS18_E10value_typeET4_jRbjT5_S1E_jjP12ihipStream_tbEUljE_ZNSN_ISO_Lb0ESQ_SR_ST_SU_SY_EESZ_S10_S11_S12_S16_S17_S18_S1B_S1C_jS1D_jS1E_S1E_jjS1G_bEUljE0_EEESZ_S10_S11_S18_S1C_S1E_T6_T7_T9_mT8_S1G_bDpT10_ENKUlT_T0_E_clISt17integral_constantIbLb1EES1T_IbLb0EEEEDaS1P_S1Q_EUlS1P_E_NS1_11comp_targetILNS1_3genE2ELNS1_11target_archE906ELNS1_3gpuE6ELNS1_3repE0EEENS1_30default_config_static_selectorELNS0_4arch9wavefront6targetE1EEEvS12_
		.amdhsa_group_segment_fixed_size 0
		.amdhsa_private_segment_fixed_size 0
		.amdhsa_kernarg_size 176
		.amdhsa_user_sgpr_count 6
		.amdhsa_user_sgpr_private_segment_buffer 1
		.amdhsa_user_sgpr_dispatch_ptr 0
		.amdhsa_user_sgpr_queue_ptr 0
		.amdhsa_user_sgpr_kernarg_segment_ptr 1
		.amdhsa_user_sgpr_dispatch_id 0
		.amdhsa_user_sgpr_flat_scratch_init 0
		.amdhsa_user_sgpr_private_segment_size 0
		.amdhsa_uses_dynamic_stack 0
		.amdhsa_system_sgpr_private_segment_wavefront_offset 0
		.amdhsa_system_sgpr_workgroup_id_x 1
		.amdhsa_system_sgpr_workgroup_id_y 0
		.amdhsa_system_sgpr_workgroup_id_z 0
		.amdhsa_system_sgpr_workgroup_info 0
		.amdhsa_system_vgpr_workitem_id 0
		.amdhsa_next_free_vgpr 1
		.amdhsa_next_free_sgpr 0
		.amdhsa_reserve_vcc 0
		.amdhsa_reserve_flat_scratch 0
		.amdhsa_float_round_mode_32 0
		.amdhsa_float_round_mode_16_64 0
		.amdhsa_float_denorm_mode_32 3
		.amdhsa_float_denorm_mode_16_64 3
		.amdhsa_dx10_clamp 1
		.amdhsa_ieee_mode 1
		.amdhsa_fp16_overflow 0
		.amdhsa_exception_fp_ieee_invalid_op 0
		.amdhsa_exception_fp_denorm_src 0
		.amdhsa_exception_fp_ieee_div_zero 0
		.amdhsa_exception_fp_ieee_overflow 0
		.amdhsa_exception_fp_ieee_underflow 0
		.amdhsa_exception_fp_ieee_inexact 0
		.amdhsa_exception_int_div_zero 0
	.end_amdhsa_kernel
	.section	.text._ZN7rocprim17ROCPRIM_400000_NS6detail17trampoline_kernelINS0_13select_configILj256ELj13ELNS0_17block_load_methodE3ELS4_3ELS4_3ELNS0_20block_scan_algorithmE0ELj4294967295EEENS1_25partition_config_selectorILNS1_17partition_subalgoE4EjNS0_10empty_typeEbEEZZNS1_14partition_implILS8_4ELb0ES6_15HIP_vector_typeIjLj2EENS0_17counting_iteratorIjlEEPS9_SG_NS0_5tupleIJPjSI_NS0_16reverse_iteratorISI_EEEEENSH_IJSG_SG_SG_EEES9_SI_JZNS1_25segmented_radix_sort_implINS0_14default_configELb0EPKsPsPKlPlN2at6native12_GLOBAL__N_18offset_tEEE10hipError_tPvRmT1_PNSt15iterator_traitsIS12_E10value_typeET2_T3_PNS13_IS18_E10value_typeET4_jRbjT5_S1E_jjP12ihipStream_tbEUljE_ZNSN_ISO_Lb0ESQ_SR_ST_SU_SY_EESZ_S10_S11_S12_S16_S17_S18_S1B_S1C_jS1D_jS1E_S1E_jjS1G_bEUljE0_EEESZ_S10_S11_S18_S1C_S1E_T6_T7_T9_mT8_S1G_bDpT10_ENKUlT_T0_E_clISt17integral_constantIbLb1EES1T_IbLb0EEEEDaS1P_S1Q_EUlS1P_E_NS1_11comp_targetILNS1_3genE2ELNS1_11target_archE906ELNS1_3gpuE6ELNS1_3repE0EEENS1_30default_config_static_selectorELNS0_4arch9wavefront6targetE1EEEvS12_,"axG",@progbits,_ZN7rocprim17ROCPRIM_400000_NS6detail17trampoline_kernelINS0_13select_configILj256ELj13ELNS0_17block_load_methodE3ELS4_3ELS4_3ELNS0_20block_scan_algorithmE0ELj4294967295EEENS1_25partition_config_selectorILNS1_17partition_subalgoE4EjNS0_10empty_typeEbEEZZNS1_14partition_implILS8_4ELb0ES6_15HIP_vector_typeIjLj2EENS0_17counting_iteratorIjlEEPS9_SG_NS0_5tupleIJPjSI_NS0_16reverse_iteratorISI_EEEEENSH_IJSG_SG_SG_EEES9_SI_JZNS1_25segmented_radix_sort_implINS0_14default_configELb0EPKsPsPKlPlN2at6native12_GLOBAL__N_18offset_tEEE10hipError_tPvRmT1_PNSt15iterator_traitsIS12_E10value_typeET2_T3_PNS13_IS18_E10value_typeET4_jRbjT5_S1E_jjP12ihipStream_tbEUljE_ZNSN_ISO_Lb0ESQ_SR_ST_SU_SY_EESZ_S10_S11_S12_S16_S17_S18_S1B_S1C_jS1D_jS1E_S1E_jjS1G_bEUljE0_EEESZ_S10_S11_S18_S1C_S1E_T6_T7_T9_mT8_S1G_bDpT10_ENKUlT_T0_E_clISt17integral_constantIbLb1EES1T_IbLb0EEEEDaS1P_S1Q_EUlS1P_E_NS1_11comp_targetILNS1_3genE2ELNS1_11target_archE906ELNS1_3gpuE6ELNS1_3repE0EEENS1_30default_config_static_selectorELNS0_4arch9wavefront6targetE1EEEvS12_,comdat
.Lfunc_end970:
	.size	_ZN7rocprim17ROCPRIM_400000_NS6detail17trampoline_kernelINS0_13select_configILj256ELj13ELNS0_17block_load_methodE3ELS4_3ELS4_3ELNS0_20block_scan_algorithmE0ELj4294967295EEENS1_25partition_config_selectorILNS1_17partition_subalgoE4EjNS0_10empty_typeEbEEZZNS1_14partition_implILS8_4ELb0ES6_15HIP_vector_typeIjLj2EENS0_17counting_iteratorIjlEEPS9_SG_NS0_5tupleIJPjSI_NS0_16reverse_iteratorISI_EEEEENSH_IJSG_SG_SG_EEES9_SI_JZNS1_25segmented_radix_sort_implINS0_14default_configELb0EPKsPsPKlPlN2at6native12_GLOBAL__N_18offset_tEEE10hipError_tPvRmT1_PNSt15iterator_traitsIS12_E10value_typeET2_T3_PNS13_IS18_E10value_typeET4_jRbjT5_S1E_jjP12ihipStream_tbEUljE_ZNSN_ISO_Lb0ESQ_SR_ST_SU_SY_EESZ_S10_S11_S12_S16_S17_S18_S1B_S1C_jS1D_jS1E_S1E_jjS1G_bEUljE0_EEESZ_S10_S11_S18_S1C_S1E_T6_T7_T9_mT8_S1G_bDpT10_ENKUlT_T0_E_clISt17integral_constantIbLb1EES1T_IbLb0EEEEDaS1P_S1Q_EUlS1P_E_NS1_11comp_targetILNS1_3genE2ELNS1_11target_archE906ELNS1_3gpuE6ELNS1_3repE0EEENS1_30default_config_static_selectorELNS0_4arch9wavefront6targetE1EEEvS12_, .Lfunc_end970-_ZN7rocprim17ROCPRIM_400000_NS6detail17trampoline_kernelINS0_13select_configILj256ELj13ELNS0_17block_load_methodE3ELS4_3ELS4_3ELNS0_20block_scan_algorithmE0ELj4294967295EEENS1_25partition_config_selectorILNS1_17partition_subalgoE4EjNS0_10empty_typeEbEEZZNS1_14partition_implILS8_4ELb0ES6_15HIP_vector_typeIjLj2EENS0_17counting_iteratorIjlEEPS9_SG_NS0_5tupleIJPjSI_NS0_16reverse_iteratorISI_EEEEENSH_IJSG_SG_SG_EEES9_SI_JZNS1_25segmented_radix_sort_implINS0_14default_configELb0EPKsPsPKlPlN2at6native12_GLOBAL__N_18offset_tEEE10hipError_tPvRmT1_PNSt15iterator_traitsIS12_E10value_typeET2_T3_PNS13_IS18_E10value_typeET4_jRbjT5_S1E_jjP12ihipStream_tbEUljE_ZNSN_ISO_Lb0ESQ_SR_ST_SU_SY_EESZ_S10_S11_S12_S16_S17_S18_S1B_S1C_jS1D_jS1E_S1E_jjS1G_bEUljE0_EEESZ_S10_S11_S18_S1C_S1E_T6_T7_T9_mT8_S1G_bDpT10_ENKUlT_T0_E_clISt17integral_constantIbLb1EES1T_IbLb0EEEEDaS1P_S1Q_EUlS1P_E_NS1_11comp_targetILNS1_3genE2ELNS1_11target_archE906ELNS1_3gpuE6ELNS1_3repE0EEENS1_30default_config_static_selectorELNS0_4arch9wavefront6targetE1EEEvS12_
                                        ; -- End function
	.set _ZN7rocprim17ROCPRIM_400000_NS6detail17trampoline_kernelINS0_13select_configILj256ELj13ELNS0_17block_load_methodE3ELS4_3ELS4_3ELNS0_20block_scan_algorithmE0ELj4294967295EEENS1_25partition_config_selectorILNS1_17partition_subalgoE4EjNS0_10empty_typeEbEEZZNS1_14partition_implILS8_4ELb0ES6_15HIP_vector_typeIjLj2EENS0_17counting_iteratorIjlEEPS9_SG_NS0_5tupleIJPjSI_NS0_16reverse_iteratorISI_EEEEENSH_IJSG_SG_SG_EEES9_SI_JZNS1_25segmented_radix_sort_implINS0_14default_configELb0EPKsPsPKlPlN2at6native12_GLOBAL__N_18offset_tEEE10hipError_tPvRmT1_PNSt15iterator_traitsIS12_E10value_typeET2_T3_PNS13_IS18_E10value_typeET4_jRbjT5_S1E_jjP12ihipStream_tbEUljE_ZNSN_ISO_Lb0ESQ_SR_ST_SU_SY_EESZ_S10_S11_S12_S16_S17_S18_S1B_S1C_jS1D_jS1E_S1E_jjS1G_bEUljE0_EEESZ_S10_S11_S18_S1C_S1E_T6_T7_T9_mT8_S1G_bDpT10_ENKUlT_T0_E_clISt17integral_constantIbLb1EES1T_IbLb0EEEEDaS1P_S1Q_EUlS1P_E_NS1_11comp_targetILNS1_3genE2ELNS1_11target_archE906ELNS1_3gpuE6ELNS1_3repE0EEENS1_30default_config_static_selectorELNS0_4arch9wavefront6targetE1EEEvS12_.num_vgpr, 0
	.set _ZN7rocprim17ROCPRIM_400000_NS6detail17trampoline_kernelINS0_13select_configILj256ELj13ELNS0_17block_load_methodE3ELS4_3ELS4_3ELNS0_20block_scan_algorithmE0ELj4294967295EEENS1_25partition_config_selectorILNS1_17partition_subalgoE4EjNS0_10empty_typeEbEEZZNS1_14partition_implILS8_4ELb0ES6_15HIP_vector_typeIjLj2EENS0_17counting_iteratorIjlEEPS9_SG_NS0_5tupleIJPjSI_NS0_16reverse_iteratorISI_EEEEENSH_IJSG_SG_SG_EEES9_SI_JZNS1_25segmented_radix_sort_implINS0_14default_configELb0EPKsPsPKlPlN2at6native12_GLOBAL__N_18offset_tEEE10hipError_tPvRmT1_PNSt15iterator_traitsIS12_E10value_typeET2_T3_PNS13_IS18_E10value_typeET4_jRbjT5_S1E_jjP12ihipStream_tbEUljE_ZNSN_ISO_Lb0ESQ_SR_ST_SU_SY_EESZ_S10_S11_S12_S16_S17_S18_S1B_S1C_jS1D_jS1E_S1E_jjS1G_bEUljE0_EEESZ_S10_S11_S18_S1C_S1E_T6_T7_T9_mT8_S1G_bDpT10_ENKUlT_T0_E_clISt17integral_constantIbLb1EES1T_IbLb0EEEEDaS1P_S1Q_EUlS1P_E_NS1_11comp_targetILNS1_3genE2ELNS1_11target_archE906ELNS1_3gpuE6ELNS1_3repE0EEENS1_30default_config_static_selectorELNS0_4arch9wavefront6targetE1EEEvS12_.num_agpr, 0
	.set _ZN7rocprim17ROCPRIM_400000_NS6detail17trampoline_kernelINS0_13select_configILj256ELj13ELNS0_17block_load_methodE3ELS4_3ELS4_3ELNS0_20block_scan_algorithmE0ELj4294967295EEENS1_25partition_config_selectorILNS1_17partition_subalgoE4EjNS0_10empty_typeEbEEZZNS1_14partition_implILS8_4ELb0ES6_15HIP_vector_typeIjLj2EENS0_17counting_iteratorIjlEEPS9_SG_NS0_5tupleIJPjSI_NS0_16reverse_iteratorISI_EEEEENSH_IJSG_SG_SG_EEES9_SI_JZNS1_25segmented_radix_sort_implINS0_14default_configELb0EPKsPsPKlPlN2at6native12_GLOBAL__N_18offset_tEEE10hipError_tPvRmT1_PNSt15iterator_traitsIS12_E10value_typeET2_T3_PNS13_IS18_E10value_typeET4_jRbjT5_S1E_jjP12ihipStream_tbEUljE_ZNSN_ISO_Lb0ESQ_SR_ST_SU_SY_EESZ_S10_S11_S12_S16_S17_S18_S1B_S1C_jS1D_jS1E_S1E_jjS1G_bEUljE0_EEESZ_S10_S11_S18_S1C_S1E_T6_T7_T9_mT8_S1G_bDpT10_ENKUlT_T0_E_clISt17integral_constantIbLb1EES1T_IbLb0EEEEDaS1P_S1Q_EUlS1P_E_NS1_11comp_targetILNS1_3genE2ELNS1_11target_archE906ELNS1_3gpuE6ELNS1_3repE0EEENS1_30default_config_static_selectorELNS0_4arch9wavefront6targetE1EEEvS12_.numbered_sgpr, 0
	.set _ZN7rocprim17ROCPRIM_400000_NS6detail17trampoline_kernelINS0_13select_configILj256ELj13ELNS0_17block_load_methodE3ELS4_3ELS4_3ELNS0_20block_scan_algorithmE0ELj4294967295EEENS1_25partition_config_selectorILNS1_17partition_subalgoE4EjNS0_10empty_typeEbEEZZNS1_14partition_implILS8_4ELb0ES6_15HIP_vector_typeIjLj2EENS0_17counting_iteratorIjlEEPS9_SG_NS0_5tupleIJPjSI_NS0_16reverse_iteratorISI_EEEEENSH_IJSG_SG_SG_EEES9_SI_JZNS1_25segmented_radix_sort_implINS0_14default_configELb0EPKsPsPKlPlN2at6native12_GLOBAL__N_18offset_tEEE10hipError_tPvRmT1_PNSt15iterator_traitsIS12_E10value_typeET2_T3_PNS13_IS18_E10value_typeET4_jRbjT5_S1E_jjP12ihipStream_tbEUljE_ZNSN_ISO_Lb0ESQ_SR_ST_SU_SY_EESZ_S10_S11_S12_S16_S17_S18_S1B_S1C_jS1D_jS1E_S1E_jjS1G_bEUljE0_EEESZ_S10_S11_S18_S1C_S1E_T6_T7_T9_mT8_S1G_bDpT10_ENKUlT_T0_E_clISt17integral_constantIbLb1EES1T_IbLb0EEEEDaS1P_S1Q_EUlS1P_E_NS1_11comp_targetILNS1_3genE2ELNS1_11target_archE906ELNS1_3gpuE6ELNS1_3repE0EEENS1_30default_config_static_selectorELNS0_4arch9wavefront6targetE1EEEvS12_.num_named_barrier, 0
	.set _ZN7rocprim17ROCPRIM_400000_NS6detail17trampoline_kernelINS0_13select_configILj256ELj13ELNS0_17block_load_methodE3ELS4_3ELS4_3ELNS0_20block_scan_algorithmE0ELj4294967295EEENS1_25partition_config_selectorILNS1_17partition_subalgoE4EjNS0_10empty_typeEbEEZZNS1_14partition_implILS8_4ELb0ES6_15HIP_vector_typeIjLj2EENS0_17counting_iteratorIjlEEPS9_SG_NS0_5tupleIJPjSI_NS0_16reverse_iteratorISI_EEEEENSH_IJSG_SG_SG_EEES9_SI_JZNS1_25segmented_radix_sort_implINS0_14default_configELb0EPKsPsPKlPlN2at6native12_GLOBAL__N_18offset_tEEE10hipError_tPvRmT1_PNSt15iterator_traitsIS12_E10value_typeET2_T3_PNS13_IS18_E10value_typeET4_jRbjT5_S1E_jjP12ihipStream_tbEUljE_ZNSN_ISO_Lb0ESQ_SR_ST_SU_SY_EESZ_S10_S11_S12_S16_S17_S18_S1B_S1C_jS1D_jS1E_S1E_jjS1G_bEUljE0_EEESZ_S10_S11_S18_S1C_S1E_T6_T7_T9_mT8_S1G_bDpT10_ENKUlT_T0_E_clISt17integral_constantIbLb1EES1T_IbLb0EEEEDaS1P_S1Q_EUlS1P_E_NS1_11comp_targetILNS1_3genE2ELNS1_11target_archE906ELNS1_3gpuE6ELNS1_3repE0EEENS1_30default_config_static_selectorELNS0_4arch9wavefront6targetE1EEEvS12_.private_seg_size, 0
	.set _ZN7rocprim17ROCPRIM_400000_NS6detail17trampoline_kernelINS0_13select_configILj256ELj13ELNS0_17block_load_methodE3ELS4_3ELS4_3ELNS0_20block_scan_algorithmE0ELj4294967295EEENS1_25partition_config_selectorILNS1_17partition_subalgoE4EjNS0_10empty_typeEbEEZZNS1_14partition_implILS8_4ELb0ES6_15HIP_vector_typeIjLj2EENS0_17counting_iteratorIjlEEPS9_SG_NS0_5tupleIJPjSI_NS0_16reverse_iteratorISI_EEEEENSH_IJSG_SG_SG_EEES9_SI_JZNS1_25segmented_radix_sort_implINS0_14default_configELb0EPKsPsPKlPlN2at6native12_GLOBAL__N_18offset_tEEE10hipError_tPvRmT1_PNSt15iterator_traitsIS12_E10value_typeET2_T3_PNS13_IS18_E10value_typeET4_jRbjT5_S1E_jjP12ihipStream_tbEUljE_ZNSN_ISO_Lb0ESQ_SR_ST_SU_SY_EESZ_S10_S11_S12_S16_S17_S18_S1B_S1C_jS1D_jS1E_S1E_jjS1G_bEUljE0_EEESZ_S10_S11_S18_S1C_S1E_T6_T7_T9_mT8_S1G_bDpT10_ENKUlT_T0_E_clISt17integral_constantIbLb1EES1T_IbLb0EEEEDaS1P_S1Q_EUlS1P_E_NS1_11comp_targetILNS1_3genE2ELNS1_11target_archE906ELNS1_3gpuE6ELNS1_3repE0EEENS1_30default_config_static_selectorELNS0_4arch9wavefront6targetE1EEEvS12_.uses_vcc, 0
	.set _ZN7rocprim17ROCPRIM_400000_NS6detail17trampoline_kernelINS0_13select_configILj256ELj13ELNS0_17block_load_methodE3ELS4_3ELS4_3ELNS0_20block_scan_algorithmE0ELj4294967295EEENS1_25partition_config_selectorILNS1_17partition_subalgoE4EjNS0_10empty_typeEbEEZZNS1_14partition_implILS8_4ELb0ES6_15HIP_vector_typeIjLj2EENS0_17counting_iteratorIjlEEPS9_SG_NS0_5tupleIJPjSI_NS0_16reverse_iteratorISI_EEEEENSH_IJSG_SG_SG_EEES9_SI_JZNS1_25segmented_radix_sort_implINS0_14default_configELb0EPKsPsPKlPlN2at6native12_GLOBAL__N_18offset_tEEE10hipError_tPvRmT1_PNSt15iterator_traitsIS12_E10value_typeET2_T3_PNS13_IS18_E10value_typeET4_jRbjT5_S1E_jjP12ihipStream_tbEUljE_ZNSN_ISO_Lb0ESQ_SR_ST_SU_SY_EESZ_S10_S11_S12_S16_S17_S18_S1B_S1C_jS1D_jS1E_S1E_jjS1G_bEUljE0_EEESZ_S10_S11_S18_S1C_S1E_T6_T7_T9_mT8_S1G_bDpT10_ENKUlT_T0_E_clISt17integral_constantIbLb1EES1T_IbLb0EEEEDaS1P_S1Q_EUlS1P_E_NS1_11comp_targetILNS1_3genE2ELNS1_11target_archE906ELNS1_3gpuE6ELNS1_3repE0EEENS1_30default_config_static_selectorELNS0_4arch9wavefront6targetE1EEEvS12_.uses_flat_scratch, 0
	.set _ZN7rocprim17ROCPRIM_400000_NS6detail17trampoline_kernelINS0_13select_configILj256ELj13ELNS0_17block_load_methodE3ELS4_3ELS4_3ELNS0_20block_scan_algorithmE0ELj4294967295EEENS1_25partition_config_selectorILNS1_17partition_subalgoE4EjNS0_10empty_typeEbEEZZNS1_14partition_implILS8_4ELb0ES6_15HIP_vector_typeIjLj2EENS0_17counting_iteratorIjlEEPS9_SG_NS0_5tupleIJPjSI_NS0_16reverse_iteratorISI_EEEEENSH_IJSG_SG_SG_EEES9_SI_JZNS1_25segmented_radix_sort_implINS0_14default_configELb0EPKsPsPKlPlN2at6native12_GLOBAL__N_18offset_tEEE10hipError_tPvRmT1_PNSt15iterator_traitsIS12_E10value_typeET2_T3_PNS13_IS18_E10value_typeET4_jRbjT5_S1E_jjP12ihipStream_tbEUljE_ZNSN_ISO_Lb0ESQ_SR_ST_SU_SY_EESZ_S10_S11_S12_S16_S17_S18_S1B_S1C_jS1D_jS1E_S1E_jjS1G_bEUljE0_EEESZ_S10_S11_S18_S1C_S1E_T6_T7_T9_mT8_S1G_bDpT10_ENKUlT_T0_E_clISt17integral_constantIbLb1EES1T_IbLb0EEEEDaS1P_S1Q_EUlS1P_E_NS1_11comp_targetILNS1_3genE2ELNS1_11target_archE906ELNS1_3gpuE6ELNS1_3repE0EEENS1_30default_config_static_selectorELNS0_4arch9wavefront6targetE1EEEvS12_.has_dyn_sized_stack, 0
	.set _ZN7rocprim17ROCPRIM_400000_NS6detail17trampoline_kernelINS0_13select_configILj256ELj13ELNS0_17block_load_methodE3ELS4_3ELS4_3ELNS0_20block_scan_algorithmE0ELj4294967295EEENS1_25partition_config_selectorILNS1_17partition_subalgoE4EjNS0_10empty_typeEbEEZZNS1_14partition_implILS8_4ELb0ES6_15HIP_vector_typeIjLj2EENS0_17counting_iteratorIjlEEPS9_SG_NS0_5tupleIJPjSI_NS0_16reverse_iteratorISI_EEEEENSH_IJSG_SG_SG_EEES9_SI_JZNS1_25segmented_radix_sort_implINS0_14default_configELb0EPKsPsPKlPlN2at6native12_GLOBAL__N_18offset_tEEE10hipError_tPvRmT1_PNSt15iterator_traitsIS12_E10value_typeET2_T3_PNS13_IS18_E10value_typeET4_jRbjT5_S1E_jjP12ihipStream_tbEUljE_ZNSN_ISO_Lb0ESQ_SR_ST_SU_SY_EESZ_S10_S11_S12_S16_S17_S18_S1B_S1C_jS1D_jS1E_S1E_jjS1G_bEUljE0_EEESZ_S10_S11_S18_S1C_S1E_T6_T7_T9_mT8_S1G_bDpT10_ENKUlT_T0_E_clISt17integral_constantIbLb1EES1T_IbLb0EEEEDaS1P_S1Q_EUlS1P_E_NS1_11comp_targetILNS1_3genE2ELNS1_11target_archE906ELNS1_3gpuE6ELNS1_3repE0EEENS1_30default_config_static_selectorELNS0_4arch9wavefront6targetE1EEEvS12_.has_recursion, 0
	.set _ZN7rocprim17ROCPRIM_400000_NS6detail17trampoline_kernelINS0_13select_configILj256ELj13ELNS0_17block_load_methodE3ELS4_3ELS4_3ELNS0_20block_scan_algorithmE0ELj4294967295EEENS1_25partition_config_selectorILNS1_17partition_subalgoE4EjNS0_10empty_typeEbEEZZNS1_14partition_implILS8_4ELb0ES6_15HIP_vector_typeIjLj2EENS0_17counting_iteratorIjlEEPS9_SG_NS0_5tupleIJPjSI_NS0_16reverse_iteratorISI_EEEEENSH_IJSG_SG_SG_EEES9_SI_JZNS1_25segmented_radix_sort_implINS0_14default_configELb0EPKsPsPKlPlN2at6native12_GLOBAL__N_18offset_tEEE10hipError_tPvRmT1_PNSt15iterator_traitsIS12_E10value_typeET2_T3_PNS13_IS18_E10value_typeET4_jRbjT5_S1E_jjP12ihipStream_tbEUljE_ZNSN_ISO_Lb0ESQ_SR_ST_SU_SY_EESZ_S10_S11_S12_S16_S17_S18_S1B_S1C_jS1D_jS1E_S1E_jjS1G_bEUljE0_EEESZ_S10_S11_S18_S1C_S1E_T6_T7_T9_mT8_S1G_bDpT10_ENKUlT_T0_E_clISt17integral_constantIbLb1EES1T_IbLb0EEEEDaS1P_S1Q_EUlS1P_E_NS1_11comp_targetILNS1_3genE2ELNS1_11target_archE906ELNS1_3gpuE6ELNS1_3repE0EEENS1_30default_config_static_selectorELNS0_4arch9wavefront6targetE1EEEvS12_.has_indirect_call, 0
	.section	.AMDGPU.csdata,"",@progbits
; Kernel info:
; codeLenInByte = 4
; TotalNumSgprs: 4
; NumVgprs: 0
; ScratchSize: 0
; MemoryBound: 0
; FloatMode: 240
; IeeeMode: 1
; LDSByteSize: 0 bytes/workgroup (compile time only)
; SGPRBlocks: 0
; VGPRBlocks: 0
; NumSGPRsForWavesPerEU: 4
; NumVGPRsForWavesPerEU: 1
; Occupancy: 10
; WaveLimiterHint : 0
; COMPUTE_PGM_RSRC2:SCRATCH_EN: 0
; COMPUTE_PGM_RSRC2:USER_SGPR: 6
; COMPUTE_PGM_RSRC2:TRAP_HANDLER: 0
; COMPUTE_PGM_RSRC2:TGID_X_EN: 1
; COMPUTE_PGM_RSRC2:TGID_Y_EN: 0
; COMPUTE_PGM_RSRC2:TGID_Z_EN: 0
; COMPUTE_PGM_RSRC2:TIDIG_COMP_CNT: 0
	.section	.text._ZN7rocprim17ROCPRIM_400000_NS6detail17trampoline_kernelINS0_13select_configILj256ELj13ELNS0_17block_load_methodE3ELS4_3ELS4_3ELNS0_20block_scan_algorithmE0ELj4294967295EEENS1_25partition_config_selectorILNS1_17partition_subalgoE4EjNS0_10empty_typeEbEEZZNS1_14partition_implILS8_4ELb0ES6_15HIP_vector_typeIjLj2EENS0_17counting_iteratorIjlEEPS9_SG_NS0_5tupleIJPjSI_NS0_16reverse_iteratorISI_EEEEENSH_IJSG_SG_SG_EEES9_SI_JZNS1_25segmented_radix_sort_implINS0_14default_configELb0EPKsPsPKlPlN2at6native12_GLOBAL__N_18offset_tEEE10hipError_tPvRmT1_PNSt15iterator_traitsIS12_E10value_typeET2_T3_PNS13_IS18_E10value_typeET4_jRbjT5_S1E_jjP12ihipStream_tbEUljE_ZNSN_ISO_Lb0ESQ_SR_ST_SU_SY_EESZ_S10_S11_S12_S16_S17_S18_S1B_S1C_jS1D_jS1E_S1E_jjS1G_bEUljE0_EEESZ_S10_S11_S18_S1C_S1E_T6_T7_T9_mT8_S1G_bDpT10_ENKUlT_T0_E_clISt17integral_constantIbLb1EES1T_IbLb0EEEEDaS1P_S1Q_EUlS1P_E_NS1_11comp_targetILNS1_3genE10ELNS1_11target_archE1200ELNS1_3gpuE4ELNS1_3repE0EEENS1_30default_config_static_selectorELNS0_4arch9wavefront6targetE1EEEvS12_,"axG",@progbits,_ZN7rocprim17ROCPRIM_400000_NS6detail17trampoline_kernelINS0_13select_configILj256ELj13ELNS0_17block_load_methodE3ELS4_3ELS4_3ELNS0_20block_scan_algorithmE0ELj4294967295EEENS1_25partition_config_selectorILNS1_17partition_subalgoE4EjNS0_10empty_typeEbEEZZNS1_14partition_implILS8_4ELb0ES6_15HIP_vector_typeIjLj2EENS0_17counting_iteratorIjlEEPS9_SG_NS0_5tupleIJPjSI_NS0_16reverse_iteratorISI_EEEEENSH_IJSG_SG_SG_EEES9_SI_JZNS1_25segmented_radix_sort_implINS0_14default_configELb0EPKsPsPKlPlN2at6native12_GLOBAL__N_18offset_tEEE10hipError_tPvRmT1_PNSt15iterator_traitsIS12_E10value_typeET2_T3_PNS13_IS18_E10value_typeET4_jRbjT5_S1E_jjP12ihipStream_tbEUljE_ZNSN_ISO_Lb0ESQ_SR_ST_SU_SY_EESZ_S10_S11_S12_S16_S17_S18_S1B_S1C_jS1D_jS1E_S1E_jjS1G_bEUljE0_EEESZ_S10_S11_S18_S1C_S1E_T6_T7_T9_mT8_S1G_bDpT10_ENKUlT_T0_E_clISt17integral_constantIbLb1EES1T_IbLb0EEEEDaS1P_S1Q_EUlS1P_E_NS1_11comp_targetILNS1_3genE10ELNS1_11target_archE1200ELNS1_3gpuE4ELNS1_3repE0EEENS1_30default_config_static_selectorELNS0_4arch9wavefront6targetE1EEEvS12_,comdat
	.globl	_ZN7rocprim17ROCPRIM_400000_NS6detail17trampoline_kernelINS0_13select_configILj256ELj13ELNS0_17block_load_methodE3ELS4_3ELS4_3ELNS0_20block_scan_algorithmE0ELj4294967295EEENS1_25partition_config_selectorILNS1_17partition_subalgoE4EjNS0_10empty_typeEbEEZZNS1_14partition_implILS8_4ELb0ES6_15HIP_vector_typeIjLj2EENS0_17counting_iteratorIjlEEPS9_SG_NS0_5tupleIJPjSI_NS0_16reverse_iteratorISI_EEEEENSH_IJSG_SG_SG_EEES9_SI_JZNS1_25segmented_radix_sort_implINS0_14default_configELb0EPKsPsPKlPlN2at6native12_GLOBAL__N_18offset_tEEE10hipError_tPvRmT1_PNSt15iterator_traitsIS12_E10value_typeET2_T3_PNS13_IS18_E10value_typeET4_jRbjT5_S1E_jjP12ihipStream_tbEUljE_ZNSN_ISO_Lb0ESQ_SR_ST_SU_SY_EESZ_S10_S11_S12_S16_S17_S18_S1B_S1C_jS1D_jS1E_S1E_jjS1G_bEUljE0_EEESZ_S10_S11_S18_S1C_S1E_T6_T7_T9_mT8_S1G_bDpT10_ENKUlT_T0_E_clISt17integral_constantIbLb1EES1T_IbLb0EEEEDaS1P_S1Q_EUlS1P_E_NS1_11comp_targetILNS1_3genE10ELNS1_11target_archE1200ELNS1_3gpuE4ELNS1_3repE0EEENS1_30default_config_static_selectorELNS0_4arch9wavefront6targetE1EEEvS12_ ; -- Begin function _ZN7rocprim17ROCPRIM_400000_NS6detail17trampoline_kernelINS0_13select_configILj256ELj13ELNS0_17block_load_methodE3ELS4_3ELS4_3ELNS0_20block_scan_algorithmE0ELj4294967295EEENS1_25partition_config_selectorILNS1_17partition_subalgoE4EjNS0_10empty_typeEbEEZZNS1_14partition_implILS8_4ELb0ES6_15HIP_vector_typeIjLj2EENS0_17counting_iteratorIjlEEPS9_SG_NS0_5tupleIJPjSI_NS0_16reverse_iteratorISI_EEEEENSH_IJSG_SG_SG_EEES9_SI_JZNS1_25segmented_radix_sort_implINS0_14default_configELb0EPKsPsPKlPlN2at6native12_GLOBAL__N_18offset_tEEE10hipError_tPvRmT1_PNSt15iterator_traitsIS12_E10value_typeET2_T3_PNS13_IS18_E10value_typeET4_jRbjT5_S1E_jjP12ihipStream_tbEUljE_ZNSN_ISO_Lb0ESQ_SR_ST_SU_SY_EESZ_S10_S11_S12_S16_S17_S18_S1B_S1C_jS1D_jS1E_S1E_jjS1G_bEUljE0_EEESZ_S10_S11_S18_S1C_S1E_T6_T7_T9_mT8_S1G_bDpT10_ENKUlT_T0_E_clISt17integral_constantIbLb1EES1T_IbLb0EEEEDaS1P_S1Q_EUlS1P_E_NS1_11comp_targetILNS1_3genE10ELNS1_11target_archE1200ELNS1_3gpuE4ELNS1_3repE0EEENS1_30default_config_static_selectorELNS0_4arch9wavefront6targetE1EEEvS12_
	.p2align	8
	.type	_ZN7rocprim17ROCPRIM_400000_NS6detail17trampoline_kernelINS0_13select_configILj256ELj13ELNS0_17block_load_methodE3ELS4_3ELS4_3ELNS0_20block_scan_algorithmE0ELj4294967295EEENS1_25partition_config_selectorILNS1_17partition_subalgoE4EjNS0_10empty_typeEbEEZZNS1_14partition_implILS8_4ELb0ES6_15HIP_vector_typeIjLj2EENS0_17counting_iteratorIjlEEPS9_SG_NS0_5tupleIJPjSI_NS0_16reverse_iteratorISI_EEEEENSH_IJSG_SG_SG_EEES9_SI_JZNS1_25segmented_radix_sort_implINS0_14default_configELb0EPKsPsPKlPlN2at6native12_GLOBAL__N_18offset_tEEE10hipError_tPvRmT1_PNSt15iterator_traitsIS12_E10value_typeET2_T3_PNS13_IS18_E10value_typeET4_jRbjT5_S1E_jjP12ihipStream_tbEUljE_ZNSN_ISO_Lb0ESQ_SR_ST_SU_SY_EESZ_S10_S11_S12_S16_S17_S18_S1B_S1C_jS1D_jS1E_S1E_jjS1G_bEUljE0_EEESZ_S10_S11_S18_S1C_S1E_T6_T7_T9_mT8_S1G_bDpT10_ENKUlT_T0_E_clISt17integral_constantIbLb1EES1T_IbLb0EEEEDaS1P_S1Q_EUlS1P_E_NS1_11comp_targetILNS1_3genE10ELNS1_11target_archE1200ELNS1_3gpuE4ELNS1_3repE0EEENS1_30default_config_static_selectorELNS0_4arch9wavefront6targetE1EEEvS12_,@function
_ZN7rocprim17ROCPRIM_400000_NS6detail17trampoline_kernelINS0_13select_configILj256ELj13ELNS0_17block_load_methodE3ELS4_3ELS4_3ELNS0_20block_scan_algorithmE0ELj4294967295EEENS1_25partition_config_selectorILNS1_17partition_subalgoE4EjNS0_10empty_typeEbEEZZNS1_14partition_implILS8_4ELb0ES6_15HIP_vector_typeIjLj2EENS0_17counting_iteratorIjlEEPS9_SG_NS0_5tupleIJPjSI_NS0_16reverse_iteratorISI_EEEEENSH_IJSG_SG_SG_EEES9_SI_JZNS1_25segmented_radix_sort_implINS0_14default_configELb0EPKsPsPKlPlN2at6native12_GLOBAL__N_18offset_tEEE10hipError_tPvRmT1_PNSt15iterator_traitsIS12_E10value_typeET2_T3_PNS13_IS18_E10value_typeET4_jRbjT5_S1E_jjP12ihipStream_tbEUljE_ZNSN_ISO_Lb0ESQ_SR_ST_SU_SY_EESZ_S10_S11_S12_S16_S17_S18_S1B_S1C_jS1D_jS1E_S1E_jjS1G_bEUljE0_EEESZ_S10_S11_S18_S1C_S1E_T6_T7_T9_mT8_S1G_bDpT10_ENKUlT_T0_E_clISt17integral_constantIbLb1EES1T_IbLb0EEEEDaS1P_S1Q_EUlS1P_E_NS1_11comp_targetILNS1_3genE10ELNS1_11target_archE1200ELNS1_3gpuE4ELNS1_3repE0EEENS1_30default_config_static_selectorELNS0_4arch9wavefront6targetE1EEEvS12_: ; @_ZN7rocprim17ROCPRIM_400000_NS6detail17trampoline_kernelINS0_13select_configILj256ELj13ELNS0_17block_load_methodE3ELS4_3ELS4_3ELNS0_20block_scan_algorithmE0ELj4294967295EEENS1_25partition_config_selectorILNS1_17partition_subalgoE4EjNS0_10empty_typeEbEEZZNS1_14partition_implILS8_4ELb0ES6_15HIP_vector_typeIjLj2EENS0_17counting_iteratorIjlEEPS9_SG_NS0_5tupleIJPjSI_NS0_16reverse_iteratorISI_EEEEENSH_IJSG_SG_SG_EEES9_SI_JZNS1_25segmented_radix_sort_implINS0_14default_configELb0EPKsPsPKlPlN2at6native12_GLOBAL__N_18offset_tEEE10hipError_tPvRmT1_PNSt15iterator_traitsIS12_E10value_typeET2_T3_PNS13_IS18_E10value_typeET4_jRbjT5_S1E_jjP12ihipStream_tbEUljE_ZNSN_ISO_Lb0ESQ_SR_ST_SU_SY_EESZ_S10_S11_S12_S16_S17_S18_S1B_S1C_jS1D_jS1E_S1E_jjS1G_bEUljE0_EEESZ_S10_S11_S18_S1C_S1E_T6_T7_T9_mT8_S1G_bDpT10_ENKUlT_T0_E_clISt17integral_constantIbLb1EES1T_IbLb0EEEEDaS1P_S1Q_EUlS1P_E_NS1_11comp_targetILNS1_3genE10ELNS1_11target_archE1200ELNS1_3gpuE4ELNS1_3repE0EEENS1_30default_config_static_selectorELNS0_4arch9wavefront6targetE1EEEvS12_
; %bb.0:
	.section	.rodata,"a",@progbits
	.p2align	6, 0x0
	.amdhsa_kernel _ZN7rocprim17ROCPRIM_400000_NS6detail17trampoline_kernelINS0_13select_configILj256ELj13ELNS0_17block_load_methodE3ELS4_3ELS4_3ELNS0_20block_scan_algorithmE0ELj4294967295EEENS1_25partition_config_selectorILNS1_17partition_subalgoE4EjNS0_10empty_typeEbEEZZNS1_14partition_implILS8_4ELb0ES6_15HIP_vector_typeIjLj2EENS0_17counting_iteratorIjlEEPS9_SG_NS0_5tupleIJPjSI_NS0_16reverse_iteratorISI_EEEEENSH_IJSG_SG_SG_EEES9_SI_JZNS1_25segmented_radix_sort_implINS0_14default_configELb0EPKsPsPKlPlN2at6native12_GLOBAL__N_18offset_tEEE10hipError_tPvRmT1_PNSt15iterator_traitsIS12_E10value_typeET2_T3_PNS13_IS18_E10value_typeET4_jRbjT5_S1E_jjP12ihipStream_tbEUljE_ZNSN_ISO_Lb0ESQ_SR_ST_SU_SY_EESZ_S10_S11_S12_S16_S17_S18_S1B_S1C_jS1D_jS1E_S1E_jjS1G_bEUljE0_EEESZ_S10_S11_S18_S1C_S1E_T6_T7_T9_mT8_S1G_bDpT10_ENKUlT_T0_E_clISt17integral_constantIbLb1EES1T_IbLb0EEEEDaS1P_S1Q_EUlS1P_E_NS1_11comp_targetILNS1_3genE10ELNS1_11target_archE1200ELNS1_3gpuE4ELNS1_3repE0EEENS1_30default_config_static_selectorELNS0_4arch9wavefront6targetE1EEEvS12_
		.amdhsa_group_segment_fixed_size 0
		.amdhsa_private_segment_fixed_size 0
		.amdhsa_kernarg_size 176
		.amdhsa_user_sgpr_count 6
		.amdhsa_user_sgpr_private_segment_buffer 1
		.amdhsa_user_sgpr_dispatch_ptr 0
		.amdhsa_user_sgpr_queue_ptr 0
		.amdhsa_user_sgpr_kernarg_segment_ptr 1
		.amdhsa_user_sgpr_dispatch_id 0
		.amdhsa_user_sgpr_flat_scratch_init 0
		.amdhsa_user_sgpr_private_segment_size 0
		.amdhsa_uses_dynamic_stack 0
		.amdhsa_system_sgpr_private_segment_wavefront_offset 0
		.amdhsa_system_sgpr_workgroup_id_x 1
		.amdhsa_system_sgpr_workgroup_id_y 0
		.amdhsa_system_sgpr_workgroup_id_z 0
		.amdhsa_system_sgpr_workgroup_info 0
		.amdhsa_system_vgpr_workitem_id 0
		.amdhsa_next_free_vgpr 1
		.amdhsa_next_free_sgpr 0
		.amdhsa_reserve_vcc 0
		.amdhsa_reserve_flat_scratch 0
		.amdhsa_float_round_mode_32 0
		.amdhsa_float_round_mode_16_64 0
		.amdhsa_float_denorm_mode_32 3
		.amdhsa_float_denorm_mode_16_64 3
		.amdhsa_dx10_clamp 1
		.amdhsa_ieee_mode 1
		.amdhsa_fp16_overflow 0
		.amdhsa_exception_fp_ieee_invalid_op 0
		.amdhsa_exception_fp_denorm_src 0
		.amdhsa_exception_fp_ieee_div_zero 0
		.amdhsa_exception_fp_ieee_overflow 0
		.amdhsa_exception_fp_ieee_underflow 0
		.amdhsa_exception_fp_ieee_inexact 0
		.amdhsa_exception_int_div_zero 0
	.end_amdhsa_kernel
	.section	.text._ZN7rocprim17ROCPRIM_400000_NS6detail17trampoline_kernelINS0_13select_configILj256ELj13ELNS0_17block_load_methodE3ELS4_3ELS4_3ELNS0_20block_scan_algorithmE0ELj4294967295EEENS1_25partition_config_selectorILNS1_17partition_subalgoE4EjNS0_10empty_typeEbEEZZNS1_14partition_implILS8_4ELb0ES6_15HIP_vector_typeIjLj2EENS0_17counting_iteratorIjlEEPS9_SG_NS0_5tupleIJPjSI_NS0_16reverse_iteratorISI_EEEEENSH_IJSG_SG_SG_EEES9_SI_JZNS1_25segmented_radix_sort_implINS0_14default_configELb0EPKsPsPKlPlN2at6native12_GLOBAL__N_18offset_tEEE10hipError_tPvRmT1_PNSt15iterator_traitsIS12_E10value_typeET2_T3_PNS13_IS18_E10value_typeET4_jRbjT5_S1E_jjP12ihipStream_tbEUljE_ZNSN_ISO_Lb0ESQ_SR_ST_SU_SY_EESZ_S10_S11_S12_S16_S17_S18_S1B_S1C_jS1D_jS1E_S1E_jjS1G_bEUljE0_EEESZ_S10_S11_S18_S1C_S1E_T6_T7_T9_mT8_S1G_bDpT10_ENKUlT_T0_E_clISt17integral_constantIbLb1EES1T_IbLb0EEEEDaS1P_S1Q_EUlS1P_E_NS1_11comp_targetILNS1_3genE10ELNS1_11target_archE1200ELNS1_3gpuE4ELNS1_3repE0EEENS1_30default_config_static_selectorELNS0_4arch9wavefront6targetE1EEEvS12_,"axG",@progbits,_ZN7rocprim17ROCPRIM_400000_NS6detail17trampoline_kernelINS0_13select_configILj256ELj13ELNS0_17block_load_methodE3ELS4_3ELS4_3ELNS0_20block_scan_algorithmE0ELj4294967295EEENS1_25partition_config_selectorILNS1_17partition_subalgoE4EjNS0_10empty_typeEbEEZZNS1_14partition_implILS8_4ELb0ES6_15HIP_vector_typeIjLj2EENS0_17counting_iteratorIjlEEPS9_SG_NS0_5tupleIJPjSI_NS0_16reverse_iteratorISI_EEEEENSH_IJSG_SG_SG_EEES9_SI_JZNS1_25segmented_radix_sort_implINS0_14default_configELb0EPKsPsPKlPlN2at6native12_GLOBAL__N_18offset_tEEE10hipError_tPvRmT1_PNSt15iterator_traitsIS12_E10value_typeET2_T3_PNS13_IS18_E10value_typeET4_jRbjT5_S1E_jjP12ihipStream_tbEUljE_ZNSN_ISO_Lb0ESQ_SR_ST_SU_SY_EESZ_S10_S11_S12_S16_S17_S18_S1B_S1C_jS1D_jS1E_S1E_jjS1G_bEUljE0_EEESZ_S10_S11_S18_S1C_S1E_T6_T7_T9_mT8_S1G_bDpT10_ENKUlT_T0_E_clISt17integral_constantIbLb1EES1T_IbLb0EEEEDaS1P_S1Q_EUlS1P_E_NS1_11comp_targetILNS1_3genE10ELNS1_11target_archE1200ELNS1_3gpuE4ELNS1_3repE0EEENS1_30default_config_static_selectorELNS0_4arch9wavefront6targetE1EEEvS12_,comdat
.Lfunc_end971:
	.size	_ZN7rocprim17ROCPRIM_400000_NS6detail17trampoline_kernelINS0_13select_configILj256ELj13ELNS0_17block_load_methodE3ELS4_3ELS4_3ELNS0_20block_scan_algorithmE0ELj4294967295EEENS1_25partition_config_selectorILNS1_17partition_subalgoE4EjNS0_10empty_typeEbEEZZNS1_14partition_implILS8_4ELb0ES6_15HIP_vector_typeIjLj2EENS0_17counting_iteratorIjlEEPS9_SG_NS0_5tupleIJPjSI_NS0_16reverse_iteratorISI_EEEEENSH_IJSG_SG_SG_EEES9_SI_JZNS1_25segmented_radix_sort_implINS0_14default_configELb0EPKsPsPKlPlN2at6native12_GLOBAL__N_18offset_tEEE10hipError_tPvRmT1_PNSt15iterator_traitsIS12_E10value_typeET2_T3_PNS13_IS18_E10value_typeET4_jRbjT5_S1E_jjP12ihipStream_tbEUljE_ZNSN_ISO_Lb0ESQ_SR_ST_SU_SY_EESZ_S10_S11_S12_S16_S17_S18_S1B_S1C_jS1D_jS1E_S1E_jjS1G_bEUljE0_EEESZ_S10_S11_S18_S1C_S1E_T6_T7_T9_mT8_S1G_bDpT10_ENKUlT_T0_E_clISt17integral_constantIbLb1EES1T_IbLb0EEEEDaS1P_S1Q_EUlS1P_E_NS1_11comp_targetILNS1_3genE10ELNS1_11target_archE1200ELNS1_3gpuE4ELNS1_3repE0EEENS1_30default_config_static_selectorELNS0_4arch9wavefront6targetE1EEEvS12_, .Lfunc_end971-_ZN7rocprim17ROCPRIM_400000_NS6detail17trampoline_kernelINS0_13select_configILj256ELj13ELNS0_17block_load_methodE3ELS4_3ELS4_3ELNS0_20block_scan_algorithmE0ELj4294967295EEENS1_25partition_config_selectorILNS1_17partition_subalgoE4EjNS0_10empty_typeEbEEZZNS1_14partition_implILS8_4ELb0ES6_15HIP_vector_typeIjLj2EENS0_17counting_iteratorIjlEEPS9_SG_NS0_5tupleIJPjSI_NS0_16reverse_iteratorISI_EEEEENSH_IJSG_SG_SG_EEES9_SI_JZNS1_25segmented_radix_sort_implINS0_14default_configELb0EPKsPsPKlPlN2at6native12_GLOBAL__N_18offset_tEEE10hipError_tPvRmT1_PNSt15iterator_traitsIS12_E10value_typeET2_T3_PNS13_IS18_E10value_typeET4_jRbjT5_S1E_jjP12ihipStream_tbEUljE_ZNSN_ISO_Lb0ESQ_SR_ST_SU_SY_EESZ_S10_S11_S12_S16_S17_S18_S1B_S1C_jS1D_jS1E_S1E_jjS1G_bEUljE0_EEESZ_S10_S11_S18_S1C_S1E_T6_T7_T9_mT8_S1G_bDpT10_ENKUlT_T0_E_clISt17integral_constantIbLb1EES1T_IbLb0EEEEDaS1P_S1Q_EUlS1P_E_NS1_11comp_targetILNS1_3genE10ELNS1_11target_archE1200ELNS1_3gpuE4ELNS1_3repE0EEENS1_30default_config_static_selectorELNS0_4arch9wavefront6targetE1EEEvS12_
                                        ; -- End function
	.set _ZN7rocprim17ROCPRIM_400000_NS6detail17trampoline_kernelINS0_13select_configILj256ELj13ELNS0_17block_load_methodE3ELS4_3ELS4_3ELNS0_20block_scan_algorithmE0ELj4294967295EEENS1_25partition_config_selectorILNS1_17partition_subalgoE4EjNS0_10empty_typeEbEEZZNS1_14partition_implILS8_4ELb0ES6_15HIP_vector_typeIjLj2EENS0_17counting_iteratorIjlEEPS9_SG_NS0_5tupleIJPjSI_NS0_16reverse_iteratorISI_EEEEENSH_IJSG_SG_SG_EEES9_SI_JZNS1_25segmented_radix_sort_implINS0_14default_configELb0EPKsPsPKlPlN2at6native12_GLOBAL__N_18offset_tEEE10hipError_tPvRmT1_PNSt15iterator_traitsIS12_E10value_typeET2_T3_PNS13_IS18_E10value_typeET4_jRbjT5_S1E_jjP12ihipStream_tbEUljE_ZNSN_ISO_Lb0ESQ_SR_ST_SU_SY_EESZ_S10_S11_S12_S16_S17_S18_S1B_S1C_jS1D_jS1E_S1E_jjS1G_bEUljE0_EEESZ_S10_S11_S18_S1C_S1E_T6_T7_T9_mT8_S1G_bDpT10_ENKUlT_T0_E_clISt17integral_constantIbLb1EES1T_IbLb0EEEEDaS1P_S1Q_EUlS1P_E_NS1_11comp_targetILNS1_3genE10ELNS1_11target_archE1200ELNS1_3gpuE4ELNS1_3repE0EEENS1_30default_config_static_selectorELNS0_4arch9wavefront6targetE1EEEvS12_.num_vgpr, 0
	.set _ZN7rocprim17ROCPRIM_400000_NS6detail17trampoline_kernelINS0_13select_configILj256ELj13ELNS0_17block_load_methodE3ELS4_3ELS4_3ELNS0_20block_scan_algorithmE0ELj4294967295EEENS1_25partition_config_selectorILNS1_17partition_subalgoE4EjNS0_10empty_typeEbEEZZNS1_14partition_implILS8_4ELb0ES6_15HIP_vector_typeIjLj2EENS0_17counting_iteratorIjlEEPS9_SG_NS0_5tupleIJPjSI_NS0_16reverse_iteratorISI_EEEEENSH_IJSG_SG_SG_EEES9_SI_JZNS1_25segmented_radix_sort_implINS0_14default_configELb0EPKsPsPKlPlN2at6native12_GLOBAL__N_18offset_tEEE10hipError_tPvRmT1_PNSt15iterator_traitsIS12_E10value_typeET2_T3_PNS13_IS18_E10value_typeET4_jRbjT5_S1E_jjP12ihipStream_tbEUljE_ZNSN_ISO_Lb0ESQ_SR_ST_SU_SY_EESZ_S10_S11_S12_S16_S17_S18_S1B_S1C_jS1D_jS1E_S1E_jjS1G_bEUljE0_EEESZ_S10_S11_S18_S1C_S1E_T6_T7_T9_mT8_S1G_bDpT10_ENKUlT_T0_E_clISt17integral_constantIbLb1EES1T_IbLb0EEEEDaS1P_S1Q_EUlS1P_E_NS1_11comp_targetILNS1_3genE10ELNS1_11target_archE1200ELNS1_3gpuE4ELNS1_3repE0EEENS1_30default_config_static_selectorELNS0_4arch9wavefront6targetE1EEEvS12_.num_agpr, 0
	.set _ZN7rocprim17ROCPRIM_400000_NS6detail17trampoline_kernelINS0_13select_configILj256ELj13ELNS0_17block_load_methodE3ELS4_3ELS4_3ELNS0_20block_scan_algorithmE0ELj4294967295EEENS1_25partition_config_selectorILNS1_17partition_subalgoE4EjNS0_10empty_typeEbEEZZNS1_14partition_implILS8_4ELb0ES6_15HIP_vector_typeIjLj2EENS0_17counting_iteratorIjlEEPS9_SG_NS0_5tupleIJPjSI_NS0_16reverse_iteratorISI_EEEEENSH_IJSG_SG_SG_EEES9_SI_JZNS1_25segmented_radix_sort_implINS0_14default_configELb0EPKsPsPKlPlN2at6native12_GLOBAL__N_18offset_tEEE10hipError_tPvRmT1_PNSt15iterator_traitsIS12_E10value_typeET2_T3_PNS13_IS18_E10value_typeET4_jRbjT5_S1E_jjP12ihipStream_tbEUljE_ZNSN_ISO_Lb0ESQ_SR_ST_SU_SY_EESZ_S10_S11_S12_S16_S17_S18_S1B_S1C_jS1D_jS1E_S1E_jjS1G_bEUljE0_EEESZ_S10_S11_S18_S1C_S1E_T6_T7_T9_mT8_S1G_bDpT10_ENKUlT_T0_E_clISt17integral_constantIbLb1EES1T_IbLb0EEEEDaS1P_S1Q_EUlS1P_E_NS1_11comp_targetILNS1_3genE10ELNS1_11target_archE1200ELNS1_3gpuE4ELNS1_3repE0EEENS1_30default_config_static_selectorELNS0_4arch9wavefront6targetE1EEEvS12_.numbered_sgpr, 0
	.set _ZN7rocprim17ROCPRIM_400000_NS6detail17trampoline_kernelINS0_13select_configILj256ELj13ELNS0_17block_load_methodE3ELS4_3ELS4_3ELNS0_20block_scan_algorithmE0ELj4294967295EEENS1_25partition_config_selectorILNS1_17partition_subalgoE4EjNS0_10empty_typeEbEEZZNS1_14partition_implILS8_4ELb0ES6_15HIP_vector_typeIjLj2EENS0_17counting_iteratorIjlEEPS9_SG_NS0_5tupleIJPjSI_NS0_16reverse_iteratorISI_EEEEENSH_IJSG_SG_SG_EEES9_SI_JZNS1_25segmented_radix_sort_implINS0_14default_configELb0EPKsPsPKlPlN2at6native12_GLOBAL__N_18offset_tEEE10hipError_tPvRmT1_PNSt15iterator_traitsIS12_E10value_typeET2_T3_PNS13_IS18_E10value_typeET4_jRbjT5_S1E_jjP12ihipStream_tbEUljE_ZNSN_ISO_Lb0ESQ_SR_ST_SU_SY_EESZ_S10_S11_S12_S16_S17_S18_S1B_S1C_jS1D_jS1E_S1E_jjS1G_bEUljE0_EEESZ_S10_S11_S18_S1C_S1E_T6_T7_T9_mT8_S1G_bDpT10_ENKUlT_T0_E_clISt17integral_constantIbLb1EES1T_IbLb0EEEEDaS1P_S1Q_EUlS1P_E_NS1_11comp_targetILNS1_3genE10ELNS1_11target_archE1200ELNS1_3gpuE4ELNS1_3repE0EEENS1_30default_config_static_selectorELNS0_4arch9wavefront6targetE1EEEvS12_.num_named_barrier, 0
	.set _ZN7rocprim17ROCPRIM_400000_NS6detail17trampoline_kernelINS0_13select_configILj256ELj13ELNS0_17block_load_methodE3ELS4_3ELS4_3ELNS0_20block_scan_algorithmE0ELj4294967295EEENS1_25partition_config_selectorILNS1_17partition_subalgoE4EjNS0_10empty_typeEbEEZZNS1_14partition_implILS8_4ELb0ES6_15HIP_vector_typeIjLj2EENS0_17counting_iteratorIjlEEPS9_SG_NS0_5tupleIJPjSI_NS0_16reverse_iteratorISI_EEEEENSH_IJSG_SG_SG_EEES9_SI_JZNS1_25segmented_radix_sort_implINS0_14default_configELb0EPKsPsPKlPlN2at6native12_GLOBAL__N_18offset_tEEE10hipError_tPvRmT1_PNSt15iterator_traitsIS12_E10value_typeET2_T3_PNS13_IS18_E10value_typeET4_jRbjT5_S1E_jjP12ihipStream_tbEUljE_ZNSN_ISO_Lb0ESQ_SR_ST_SU_SY_EESZ_S10_S11_S12_S16_S17_S18_S1B_S1C_jS1D_jS1E_S1E_jjS1G_bEUljE0_EEESZ_S10_S11_S18_S1C_S1E_T6_T7_T9_mT8_S1G_bDpT10_ENKUlT_T0_E_clISt17integral_constantIbLb1EES1T_IbLb0EEEEDaS1P_S1Q_EUlS1P_E_NS1_11comp_targetILNS1_3genE10ELNS1_11target_archE1200ELNS1_3gpuE4ELNS1_3repE0EEENS1_30default_config_static_selectorELNS0_4arch9wavefront6targetE1EEEvS12_.private_seg_size, 0
	.set _ZN7rocprim17ROCPRIM_400000_NS6detail17trampoline_kernelINS0_13select_configILj256ELj13ELNS0_17block_load_methodE3ELS4_3ELS4_3ELNS0_20block_scan_algorithmE0ELj4294967295EEENS1_25partition_config_selectorILNS1_17partition_subalgoE4EjNS0_10empty_typeEbEEZZNS1_14partition_implILS8_4ELb0ES6_15HIP_vector_typeIjLj2EENS0_17counting_iteratorIjlEEPS9_SG_NS0_5tupleIJPjSI_NS0_16reverse_iteratorISI_EEEEENSH_IJSG_SG_SG_EEES9_SI_JZNS1_25segmented_radix_sort_implINS0_14default_configELb0EPKsPsPKlPlN2at6native12_GLOBAL__N_18offset_tEEE10hipError_tPvRmT1_PNSt15iterator_traitsIS12_E10value_typeET2_T3_PNS13_IS18_E10value_typeET4_jRbjT5_S1E_jjP12ihipStream_tbEUljE_ZNSN_ISO_Lb0ESQ_SR_ST_SU_SY_EESZ_S10_S11_S12_S16_S17_S18_S1B_S1C_jS1D_jS1E_S1E_jjS1G_bEUljE0_EEESZ_S10_S11_S18_S1C_S1E_T6_T7_T9_mT8_S1G_bDpT10_ENKUlT_T0_E_clISt17integral_constantIbLb1EES1T_IbLb0EEEEDaS1P_S1Q_EUlS1P_E_NS1_11comp_targetILNS1_3genE10ELNS1_11target_archE1200ELNS1_3gpuE4ELNS1_3repE0EEENS1_30default_config_static_selectorELNS0_4arch9wavefront6targetE1EEEvS12_.uses_vcc, 0
	.set _ZN7rocprim17ROCPRIM_400000_NS6detail17trampoline_kernelINS0_13select_configILj256ELj13ELNS0_17block_load_methodE3ELS4_3ELS4_3ELNS0_20block_scan_algorithmE0ELj4294967295EEENS1_25partition_config_selectorILNS1_17partition_subalgoE4EjNS0_10empty_typeEbEEZZNS1_14partition_implILS8_4ELb0ES6_15HIP_vector_typeIjLj2EENS0_17counting_iteratorIjlEEPS9_SG_NS0_5tupleIJPjSI_NS0_16reverse_iteratorISI_EEEEENSH_IJSG_SG_SG_EEES9_SI_JZNS1_25segmented_radix_sort_implINS0_14default_configELb0EPKsPsPKlPlN2at6native12_GLOBAL__N_18offset_tEEE10hipError_tPvRmT1_PNSt15iterator_traitsIS12_E10value_typeET2_T3_PNS13_IS18_E10value_typeET4_jRbjT5_S1E_jjP12ihipStream_tbEUljE_ZNSN_ISO_Lb0ESQ_SR_ST_SU_SY_EESZ_S10_S11_S12_S16_S17_S18_S1B_S1C_jS1D_jS1E_S1E_jjS1G_bEUljE0_EEESZ_S10_S11_S18_S1C_S1E_T6_T7_T9_mT8_S1G_bDpT10_ENKUlT_T0_E_clISt17integral_constantIbLb1EES1T_IbLb0EEEEDaS1P_S1Q_EUlS1P_E_NS1_11comp_targetILNS1_3genE10ELNS1_11target_archE1200ELNS1_3gpuE4ELNS1_3repE0EEENS1_30default_config_static_selectorELNS0_4arch9wavefront6targetE1EEEvS12_.uses_flat_scratch, 0
	.set _ZN7rocprim17ROCPRIM_400000_NS6detail17trampoline_kernelINS0_13select_configILj256ELj13ELNS0_17block_load_methodE3ELS4_3ELS4_3ELNS0_20block_scan_algorithmE0ELj4294967295EEENS1_25partition_config_selectorILNS1_17partition_subalgoE4EjNS0_10empty_typeEbEEZZNS1_14partition_implILS8_4ELb0ES6_15HIP_vector_typeIjLj2EENS0_17counting_iteratorIjlEEPS9_SG_NS0_5tupleIJPjSI_NS0_16reverse_iteratorISI_EEEEENSH_IJSG_SG_SG_EEES9_SI_JZNS1_25segmented_radix_sort_implINS0_14default_configELb0EPKsPsPKlPlN2at6native12_GLOBAL__N_18offset_tEEE10hipError_tPvRmT1_PNSt15iterator_traitsIS12_E10value_typeET2_T3_PNS13_IS18_E10value_typeET4_jRbjT5_S1E_jjP12ihipStream_tbEUljE_ZNSN_ISO_Lb0ESQ_SR_ST_SU_SY_EESZ_S10_S11_S12_S16_S17_S18_S1B_S1C_jS1D_jS1E_S1E_jjS1G_bEUljE0_EEESZ_S10_S11_S18_S1C_S1E_T6_T7_T9_mT8_S1G_bDpT10_ENKUlT_T0_E_clISt17integral_constantIbLb1EES1T_IbLb0EEEEDaS1P_S1Q_EUlS1P_E_NS1_11comp_targetILNS1_3genE10ELNS1_11target_archE1200ELNS1_3gpuE4ELNS1_3repE0EEENS1_30default_config_static_selectorELNS0_4arch9wavefront6targetE1EEEvS12_.has_dyn_sized_stack, 0
	.set _ZN7rocprim17ROCPRIM_400000_NS6detail17trampoline_kernelINS0_13select_configILj256ELj13ELNS0_17block_load_methodE3ELS4_3ELS4_3ELNS0_20block_scan_algorithmE0ELj4294967295EEENS1_25partition_config_selectorILNS1_17partition_subalgoE4EjNS0_10empty_typeEbEEZZNS1_14partition_implILS8_4ELb0ES6_15HIP_vector_typeIjLj2EENS0_17counting_iteratorIjlEEPS9_SG_NS0_5tupleIJPjSI_NS0_16reverse_iteratorISI_EEEEENSH_IJSG_SG_SG_EEES9_SI_JZNS1_25segmented_radix_sort_implINS0_14default_configELb0EPKsPsPKlPlN2at6native12_GLOBAL__N_18offset_tEEE10hipError_tPvRmT1_PNSt15iterator_traitsIS12_E10value_typeET2_T3_PNS13_IS18_E10value_typeET4_jRbjT5_S1E_jjP12ihipStream_tbEUljE_ZNSN_ISO_Lb0ESQ_SR_ST_SU_SY_EESZ_S10_S11_S12_S16_S17_S18_S1B_S1C_jS1D_jS1E_S1E_jjS1G_bEUljE0_EEESZ_S10_S11_S18_S1C_S1E_T6_T7_T9_mT8_S1G_bDpT10_ENKUlT_T0_E_clISt17integral_constantIbLb1EES1T_IbLb0EEEEDaS1P_S1Q_EUlS1P_E_NS1_11comp_targetILNS1_3genE10ELNS1_11target_archE1200ELNS1_3gpuE4ELNS1_3repE0EEENS1_30default_config_static_selectorELNS0_4arch9wavefront6targetE1EEEvS12_.has_recursion, 0
	.set _ZN7rocprim17ROCPRIM_400000_NS6detail17trampoline_kernelINS0_13select_configILj256ELj13ELNS0_17block_load_methodE3ELS4_3ELS4_3ELNS0_20block_scan_algorithmE0ELj4294967295EEENS1_25partition_config_selectorILNS1_17partition_subalgoE4EjNS0_10empty_typeEbEEZZNS1_14partition_implILS8_4ELb0ES6_15HIP_vector_typeIjLj2EENS0_17counting_iteratorIjlEEPS9_SG_NS0_5tupleIJPjSI_NS0_16reverse_iteratorISI_EEEEENSH_IJSG_SG_SG_EEES9_SI_JZNS1_25segmented_radix_sort_implINS0_14default_configELb0EPKsPsPKlPlN2at6native12_GLOBAL__N_18offset_tEEE10hipError_tPvRmT1_PNSt15iterator_traitsIS12_E10value_typeET2_T3_PNS13_IS18_E10value_typeET4_jRbjT5_S1E_jjP12ihipStream_tbEUljE_ZNSN_ISO_Lb0ESQ_SR_ST_SU_SY_EESZ_S10_S11_S12_S16_S17_S18_S1B_S1C_jS1D_jS1E_S1E_jjS1G_bEUljE0_EEESZ_S10_S11_S18_S1C_S1E_T6_T7_T9_mT8_S1G_bDpT10_ENKUlT_T0_E_clISt17integral_constantIbLb1EES1T_IbLb0EEEEDaS1P_S1Q_EUlS1P_E_NS1_11comp_targetILNS1_3genE10ELNS1_11target_archE1200ELNS1_3gpuE4ELNS1_3repE0EEENS1_30default_config_static_selectorELNS0_4arch9wavefront6targetE1EEEvS12_.has_indirect_call, 0
	.section	.AMDGPU.csdata,"",@progbits
; Kernel info:
; codeLenInByte = 0
; TotalNumSgprs: 4
; NumVgprs: 0
; ScratchSize: 0
; MemoryBound: 0
; FloatMode: 240
; IeeeMode: 1
; LDSByteSize: 0 bytes/workgroup (compile time only)
; SGPRBlocks: 0
; VGPRBlocks: 0
; NumSGPRsForWavesPerEU: 4
; NumVGPRsForWavesPerEU: 1
; Occupancy: 10
; WaveLimiterHint : 0
; COMPUTE_PGM_RSRC2:SCRATCH_EN: 0
; COMPUTE_PGM_RSRC2:USER_SGPR: 6
; COMPUTE_PGM_RSRC2:TRAP_HANDLER: 0
; COMPUTE_PGM_RSRC2:TGID_X_EN: 1
; COMPUTE_PGM_RSRC2:TGID_Y_EN: 0
; COMPUTE_PGM_RSRC2:TGID_Z_EN: 0
; COMPUTE_PGM_RSRC2:TIDIG_COMP_CNT: 0
	.section	.text._ZN7rocprim17ROCPRIM_400000_NS6detail17trampoline_kernelINS0_13select_configILj256ELj13ELNS0_17block_load_methodE3ELS4_3ELS4_3ELNS0_20block_scan_algorithmE0ELj4294967295EEENS1_25partition_config_selectorILNS1_17partition_subalgoE4EjNS0_10empty_typeEbEEZZNS1_14partition_implILS8_4ELb0ES6_15HIP_vector_typeIjLj2EENS0_17counting_iteratorIjlEEPS9_SG_NS0_5tupleIJPjSI_NS0_16reverse_iteratorISI_EEEEENSH_IJSG_SG_SG_EEES9_SI_JZNS1_25segmented_radix_sort_implINS0_14default_configELb0EPKsPsPKlPlN2at6native12_GLOBAL__N_18offset_tEEE10hipError_tPvRmT1_PNSt15iterator_traitsIS12_E10value_typeET2_T3_PNS13_IS18_E10value_typeET4_jRbjT5_S1E_jjP12ihipStream_tbEUljE_ZNSN_ISO_Lb0ESQ_SR_ST_SU_SY_EESZ_S10_S11_S12_S16_S17_S18_S1B_S1C_jS1D_jS1E_S1E_jjS1G_bEUljE0_EEESZ_S10_S11_S18_S1C_S1E_T6_T7_T9_mT8_S1G_bDpT10_ENKUlT_T0_E_clISt17integral_constantIbLb1EES1T_IbLb0EEEEDaS1P_S1Q_EUlS1P_E_NS1_11comp_targetILNS1_3genE9ELNS1_11target_archE1100ELNS1_3gpuE3ELNS1_3repE0EEENS1_30default_config_static_selectorELNS0_4arch9wavefront6targetE1EEEvS12_,"axG",@progbits,_ZN7rocprim17ROCPRIM_400000_NS6detail17trampoline_kernelINS0_13select_configILj256ELj13ELNS0_17block_load_methodE3ELS4_3ELS4_3ELNS0_20block_scan_algorithmE0ELj4294967295EEENS1_25partition_config_selectorILNS1_17partition_subalgoE4EjNS0_10empty_typeEbEEZZNS1_14partition_implILS8_4ELb0ES6_15HIP_vector_typeIjLj2EENS0_17counting_iteratorIjlEEPS9_SG_NS0_5tupleIJPjSI_NS0_16reverse_iteratorISI_EEEEENSH_IJSG_SG_SG_EEES9_SI_JZNS1_25segmented_radix_sort_implINS0_14default_configELb0EPKsPsPKlPlN2at6native12_GLOBAL__N_18offset_tEEE10hipError_tPvRmT1_PNSt15iterator_traitsIS12_E10value_typeET2_T3_PNS13_IS18_E10value_typeET4_jRbjT5_S1E_jjP12ihipStream_tbEUljE_ZNSN_ISO_Lb0ESQ_SR_ST_SU_SY_EESZ_S10_S11_S12_S16_S17_S18_S1B_S1C_jS1D_jS1E_S1E_jjS1G_bEUljE0_EEESZ_S10_S11_S18_S1C_S1E_T6_T7_T9_mT8_S1G_bDpT10_ENKUlT_T0_E_clISt17integral_constantIbLb1EES1T_IbLb0EEEEDaS1P_S1Q_EUlS1P_E_NS1_11comp_targetILNS1_3genE9ELNS1_11target_archE1100ELNS1_3gpuE3ELNS1_3repE0EEENS1_30default_config_static_selectorELNS0_4arch9wavefront6targetE1EEEvS12_,comdat
	.globl	_ZN7rocprim17ROCPRIM_400000_NS6detail17trampoline_kernelINS0_13select_configILj256ELj13ELNS0_17block_load_methodE3ELS4_3ELS4_3ELNS0_20block_scan_algorithmE0ELj4294967295EEENS1_25partition_config_selectorILNS1_17partition_subalgoE4EjNS0_10empty_typeEbEEZZNS1_14partition_implILS8_4ELb0ES6_15HIP_vector_typeIjLj2EENS0_17counting_iteratorIjlEEPS9_SG_NS0_5tupleIJPjSI_NS0_16reverse_iteratorISI_EEEEENSH_IJSG_SG_SG_EEES9_SI_JZNS1_25segmented_radix_sort_implINS0_14default_configELb0EPKsPsPKlPlN2at6native12_GLOBAL__N_18offset_tEEE10hipError_tPvRmT1_PNSt15iterator_traitsIS12_E10value_typeET2_T3_PNS13_IS18_E10value_typeET4_jRbjT5_S1E_jjP12ihipStream_tbEUljE_ZNSN_ISO_Lb0ESQ_SR_ST_SU_SY_EESZ_S10_S11_S12_S16_S17_S18_S1B_S1C_jS1D_jS1E_S1E_jjS1G_bEUljE0_EEESZ_S10_S11_S18_S1C_S1E_T6_T7_T9_mT8_S1G_bDpT10_ENKUlT_T0_E_clISt17integral_constantIbLb1EES1T_IbLb0EEEEDaS1P_S1Q_EUlS1P_E_NS1_11comp_targetILNS1_3genE9ELNS1_11target_archE1100ELNS1_3gpuE3ELNS1_3repE0EEENS1_30default_config_static_selectorELNS0_4arch9wavefront6targetE1EEEvS12_ ; -- Begin function _ZN7rocprim17ROCPRIM_400000_NS6detail17trampoline_kernelINS0_13select_configILj256ELj13ELNS0_17block_load_methodE3ELS4_3ELS4_3ELNS0_20block_scan_algorithmE0ELj4294967295EEENS1_25partition_config_selectorILNS1_17partition_subalgoE4EjNS0_10empty_typeEbEEZZNS1_14partition_implILS8_4ELb0ES6_15HIP_vector_typeIjLj2EENS0_17counting_iteratorIjlEEPS9_SG_NS0_5tupleIJPjSI_NS0_16reverse_iteratorISI_EEEEENSH_IJSG_SG_SG_EEES9_SI_JZNS1_25segmented_radix_sort_implINS0_14default_configELb0EPKsPsPKlPlN2at6native12_GLOBAL__N_18offset_tEEE10hipError_tPvRmT1_PNSt15iterator_traitsIS12_E10value_typeET2_T3_PNS13_IS18_E10value_typeET4_jRbjT5_S1E_jjP12ihipStream_tbEUljE_ZNSN_ISO_Lb0ESQ_SR_ST_SU_SY_EESZ_S10_S11_S12_S16_S17_S18_S1B_S1C_jS1D_jS1E_S1E_jjS1G_bEUljE0_EEESZ_S10_S11_S18_S1C_S1E_T6_T7_T9_mT8_S1G_bDpT10_ENKUlT_T0_E_clISt17integral_constantIbLb1EES1T_IbLb0EEEEDaS1P_S1Q_EUlS1P_E_NS1_11comp_targetILNS1_3genE9ELNS1_11target_archE1100ELNS1_3gpuE3ELNS1_3repE0EEENS1_30default_config_static_selectorELNS0_4arch9wavefront6targetE1EEEvS12_
	.p2align	8
	.type	_ZN7rocprim17ROCPRIM_400000_NS6detail17trampoline_kernelINS0_13select_configILj256ELj13ELNS0_17block_load_methodE3ELS4_3ELS4_3ELNS0_20block_scan_algorithmE0ELj4294967295EEENS1_25partition_config_selectorILNS1_17partition_subalgoE4EjNS0_10empty_typeEbEEZZNS1_14partition_implILS8_4ELb0ES6_15HIP_vector_typeIjLj2EENS0_17counting_iteratorIjlEEPS9_SG_NS0_5tupleIJPjSI_NS0_16reverse_iteratorISI_EEEEENSH_IJSG_SG_SG_EEES9_SI_JZNS1_25segmented_radix_sort_implINS0_14default_configELb0EPKsPsPKlPlN2at6native12_GLOBAL__N_18offset_tEEE10hipError_tPvRmT1_PNSt15iterator_traitsIS12_E10value_typeET2_T3_PNS13_IS18_E10value_typeET4_jRbjT5_S1E_jjP12ihipStream_tbEUljE_ZNSN_ISO_Lb0ESQ_SR_ST_SU_SY_EESZ_S10_S11_S12_S16_S17_S18_S1B_S1C_jS1D_jS1E_S1E_jjS1G_bEUljE0_EEESZ_S10_S11_S18_S1C_S1E_T6_T7_T9_mT8_S1G_bDpT10_ENKUlT_T0_E_clISt17integral_constantIbLb1EES1T_IbLb0EEEEDaS1P_S1Q_EUlS1P_E_NS1_11comp_targetILNS1_3genE9ELNS1_11target_archE1100ELNS1_3gpuE3ELNS1_3repE0EEENS1_30default_config_static_selectorELNS0_4arch9wavefront6targetE1EEEvS12_,@function
_ZN7rocprim17ROCPRIM_400000_NS6detail17trampoline_kernelINS0_13select_configILj256ELj13ELNS0_17block_load_methodE3ELS4_3ELS4_3ELNS0_20block_scan_algorithmE0ELj4294967295EEENS1_25partition_config_selectorILNS1_17partition_subalgoE4EjNS0_10empty_typeEbEEZZNS1_14partition_implILS8_4ELb0ES6_15HIP_vector_typeIjLj2EENS0_17counting_iteratorIjlEEPS9_SG_NS0_5tupleIJPjSI_NS0_16reverse_iteratorISI_EEEEENSH_IJSG_SG_SG_EEES9_SI_JZNS1_25segmented_radix_sort_implINS0_14default_configELb0EPKsPsPKlPlN2at6native12_GLOBAL__N_18offset_tEEE10hipError_tPvRmT1_PNSt15iterator_traitsIS12_E10value_typeET2_T3_PNS13_IS18_E10value_typeET4_jRbjT5_S1E_jjP12ihipStream_tbEUljE_ZNSN_ISO_Lb0ESQ_SR_ST_SU_SY_EESZ_S10_S11_S12_S16_S17_S18_S1B_S1C_jS1D_jS1E_S1E_jjS1G_bEUljE0_EEESZ_S10_S11_S18_S1C_S1E_T6_T7_T9_mT8_S1G_bDpT10_ENKUlT_T0_E_clISt17integral_constantIbLb1EES1T_IbLb0EEEEDaS1P_S1Q_EUlS1P_E_NS1_11comp_targetILNS1_3genE9ELNS1_11target_archE1100ELNS1_3gpuE3ELNS1_3repE0EEENS1_30default_config_static_selectorELNS0_4arch9wavefront6targetE1EEEvS12_: ; @_ZN7rocprim17ROCPRIM_400000_NS6detail17trampoline_kernelINS0_13select_configILj256ELj13ELNS0_17block_load_methodE3ELS4_3ELS4_3ELNS0_20block_scan_algorithmE0ELj4294967295EEENS1_25partition_config_selectorILNS1_17partition_subalgoE4EjNS0_10empty_typeEbEEZZNS1_14partition_implILS8_4ELb0ES6_15HIP_vector_typeIjLj2EENS0_17counting_iteratorIjlEEPS9_SG_NS0_5tupleIJPjSI_NS0_16reverse_iteratorISI_EEEEENSH_IJSG_SG_SG_EEES9_SI_JZNS1_25segmented_radix_sort_implINS0_14default_configELb0EPKsPsPKlPlN2at6native12_GLOBAL__N_18offset_tEEE10hipError_tPvRmT1_PNSt15iterator_traitsIS12_E10value_typeET2_T3_PNS13_IS18_E10value_typeET4_jRbjT5_S1E_jjP12ihipStream_tbEUljE_ZNSN_ISO_Lb0ESQ_SR_ST_SU_SY_EESZ_S10_S11_S12_S16_S17_S18_S1B_S1C_jS1D_jS1E_S1E_jjS1G_bEUljE0_EEESZ_S10_S11_S18_S1C_S1E_T6_T7_T9_mT8_S1G_bDpT10_ENKUlT_T0_E_clISt17integral_constantIbLb1EES1T_IbLb0EEEEDaS1P_S1Q_EUlS1P_E_NS1_11comp_targetILNS1_3genE9ELNS1_11target_archE1100ELNS1_3gpuE3ELNS1_3repE0EEENS1_30default_config_static_selectorELNS0_4arch9wavefront6targetE1EEEvS12_
; %bb.0:
	.section	.rodata,"a",@progbits
	.p2align	6, 0x0
	.amdhsa_kernel _ZN7rocprim17ROCPRIM_400000_NS6detail17trampoline_kernelINS0_13select_configILj256ELj13ELNS0_17block_load_methodE3ELS4_3ELS4_3ELNS0_20block_scan_algorithmE0ELj4294967295EEENS1_25partition_config_selectorILNS1_17partition_subalgoE4EjNS0_10empty_typeEbEEZZNS1_14partition_implILS8_4ELb0ES6_15HIP_vector_typeIjLj2EENS0_17counting_iteratorIjlEEPS9_SG_NS0_5tupleIJPjSI_NS0_16reverse_iteratorISI_EEEEENSH_IJSG_SG_SG_EEES9_SI_JZNS1_25segmented_radix_sort_implINS0_14default_configELb0EPKsPsPKlPlN2at6native12_GLOBAL__N_18offset_tEEE10hipError_tPvRmT1_PNSt15iterator_traitsIS12_E10value_typeET2_T3_PNS13_IS18_E10value_typeET4_jRbjT5_S1E_jjP12ihipStream_tbEUljE_ZNSN_ISO_Lb0ESQ_SR_ST_SU_SY_EESZ_S10_S11_S12_S16_S17_S18_S1B_S1C_jS1D_jS1E_S1E_jjS1G_bEUljE0_EEESZ_S10_S11_S18_S1C_S1E_T6_T7_T9_mT8_S1G_bDpT10_ENKUlT_T0_E_clISt17integral_constantIbLb1EES1T_IbLb0EEEEDaS1P_S1Q_EUlS1P_E_NS1_11comp_targetILNS1_3genE9ELNS1_11target_archE1100ELNS1_3gpuE3ELNS1_3repE0EEENS1_30default_config_static_selectorELNS0_4arch9wavefront6targetE1EEEvS12_
		.amdhsa_group_segment_fixed_size 0
		.amdhsa_private_segment_fixed_size 0
		.amdhsa_kernarg_size 176
		.amdhsa_user_sgpr_count 6
		.amdhsa_user_sgpr_private_segment_buffer 1
		.amdhsa_user_sgpr_dispatch_ptr 0
		.amdhsa_user_sgpr_queue_ptr 0
		.amdhsa_user_sgpr_kernarg_segment_ptr 1
		.amdhsa_user_sgpr_dispatch_id 0
		.amdhsa_user_sgpr_flat_scratch_init 0
		.amdhsa_user_sgpr_private_segment_size 0
		.amdhsa_uses_dynamic_stack 0
		.amdhsa_system_sgpr_private_segment_wavefront_offset 0
		.amdhsa_system_sgpr_workgroup_id_x 1
		.amdhsa_system_sgpr_workgroup_id_y 0
		.amdhsa_system_sgpr_workgroup_id_z 0
		.amdhsa_system_sgpr_workgroup_info 0
		.amdhsa_system_vgpr_workitem_id 0
		.amdhsa_next_free_vgpr 1
		.amdhsa_next_free_sgpr 0
		.amdhsa_reserve_vcc 0
		.amdhsa_reserve_flat_scratch 0
		.amdhsa_float_round_mode_32 0
		.amdhsa_float_round_mode_16_64 0
		.amdhsa_float_denorm_mode_32 3
		.amdhsa_float_denorm_mode_16_64 3
		.amdhsa_dx10_clamp 1
		.amdhsa_ieee_mode 1
		.amdhsa_fp16_overflow 0
		.amdhsa_exception_fp_ieee_invalid_op 0
		.amdhsa_exception_fp_denorm_src 0
		.amdhsa_exception_fp_ieee_div_zero 0
		.amdhsa_exception_fp_ieee_overflow 0
		.amdhsa_exception_fp_ieee_underflow 0
		.amdhsa_exception_fp_ieee_inexact 0
		.amdhsa_exception_int_div_zero 0
	.end_amdhsa_kernel
	.section	.text._ZN7rocprim17ROCPRIM_400000_NS6detail17trampoline_kernelINS0_13select_configILj256ELj13ELNS0_17block_load_methodE3ELS4_3ELS4_3ELNS0_20block_scan_algorithmE0ELj4294967295EEENS1_25partition_config_selectorILNS1_17partition_subalgoE4EjNS0_10empty_typeEbEEZZNS1_14partition_implILS8_4ELb0ES6_15HIP_vector_typeIjLj2EENS0_17counting_iteratorIjlEEPS9_SG_NS0_5tupleIJPjSI_NS0_16reverse_iteratorISI_EEEEENSH_IJSG_SG_SG_EEES9_SI_JZNS1_25segmented_radix_sort_implINS0_14default_configELb0EPKsPsPKlPlN2at6native12_GLOBAL__N_18offset_tEEE10hipError_tPvRmT1_PNSt15iterator_traitsIS12_E10value_typeET2_T3_PNS13_IS18_E10value_typeET4_jRbjT5_S1E_jjP12ihipStream_tbEUljE_ZNSN_ISO_Lb0ESQ_SR_ST_SU_SY_EESZ_S10_S11_S12_S16_S17_S18_S1B_S1C_jS1D_jS1E_S1E_jjS1G_bEUljE0_EEESZ_S10_S11_S18_S1C_S1E_T6_T7_T9_mT8_S1G_bDpT10_ENKUlT_T0_E_clISt17integral_constantIbLb1EES1T_IbLb0EEEEDaS1P_S1Q_EUlS1P_E_NS1_11comp_targetILNS1_3genE9ELNS1_11target_archE1100ELNS1_3gpuE3ELNS1_3repE0EEENS1_30default_config_static_selectorELNS0_4arch9wavefront6targetE1EEEvS12_,"axG",@progbits,_ZN7rocprim17ROCPRIM_400000_NS6detail17trampoline_kernelINS0_13select_configILj256ELj13ELNS0_17block_load_methodE3ELS4_3ELS4_3ELNS0_20block_scan_algorithmE0ELj4294967295EEENS1_25partition_config_selectorILNS1_17partition_subalgoE4EjNS0_10empty_typeEbEEZZNS1_14partition_implILS8_4ELb0ES6_15HIP_vector_typeIjLj2EENS0_17counting_iteratorIjlEEPS9_SG_NS0_5tupleIJPjSI_NS0_16reverse_iteratorISI_EEEEENSH_IJSG_SG_SG_EEES9_SI_JZNS1_25segmented_radix_sort_implINS0_14default_configELb0EPKsPsPKlPlN2at6native12_GLOBAL__N_18offset_tEEE10hipError_tPvRmT1_PNSt15iterator_traitsIS12_E10value_typeET2_T3_PNS13_IS18_E10value_typeET4_jRbjT5_S1E_jjP12ihipStream_tbEUljE_ZNSN_ISO_Lb0ESQ_SR_ST_SU_SY_EESZ_S10_S11_S12_S16_S17_S18_S1B_S1C_jS1D_jS1E_S1E_jjS1G_bEUljE0_EEESZ_S10_S11_S18_S1C_S1E_T6_T7_T9_mT8_S1G_bDpT10_ENKUlT_T0_E_clISt17integral_constantIbLb1EES1T_IbLb0EEEEDaS1P_S1Q_EUlS1P_E_NS1_11comp_targetILNS1_3genE9ELNS1_11target_archE1100ELNS1_3gpuE3ELNS1_3repE0EEENS1_30default_config_static_selectorELNS0_4arch9wavefront6targetE1EEEvS12_,comdat
.Lfunc_end972:
	.size	_ZN7rocprim17ROCPRIM_400000_NS6detail17trampoline_kernelINS0_13select_configILj256ELj13ELNS0_17block_load_methodE3ELS4_3ELS4_3ELNS0_20block_scan_algorithmE0ELj4294967295EEENS1_25partition_config_selectorILNS1_17partition_subalgoE4EjNS0_10empty_typeEbEEZZNS1_14partition_implILS8_4ELb0ES6_15HIP_vector_typeIjLj2EENS0_17counting_iteratorIjlEEPS9_SG_NS0_5tupleIJPjSI_NS0_16reverse_iteratorISI_EEEEENSH_IJSG_SG_SG_EEES9_SI_JZNS1_25segmented_radix_sort_implINS0_14default_configELb0EPKsPsPKlPlN2at6native12_GLOBAL__N_18offset_tEEE10hipError_tPvRmT1_PNSt15iterator_traitsIS12_E10value_typeET2_T3_PNS13_IS18_E10value_typeET4_jRbjT5_S1E_jjP12ihipStream_tbEUljE_ZNSN_ISO_Lb0ESQ_SR_ST_SU_SY_EESZ_S10_S11_S12_S16_S17_S18_S1B_S1C_jS1D_jS1E_S1E_jjS1G_bEUljE0_EEESZ_S10_S11_S18_S1C_S1E_T6_T7_T9_mT8_S1G_bDpT10_ENKUlT_T0_E_clISt17integral_constantIbLb1EES1T_IbLb0EEEEDaS1P_S1Q_EUlS1P_E_NS1_11comp_targetILNS1_3genE9ELNS1_11target_archE1100ELNS1_3gpuE3ELNS1_3repE0EEENS1_30default_config_static_selectorELNS0_4arch9wavefront6targetE1EEEvS12_, .Lfunc_end972-_ZN7rocprim17ROCPRIM_400000_NS6detail17trampoline_kernelINS0_13select_configILj256ELj13ELNS0_17block_load_methodE3ELS4_3ELS4_3ELNS0_20block_scan_algorithmE0ELj4294967295EEENS1_25partition_config_selectorILNS1_17partition_subalgoE4EjNS0_10empty_typeEbEEZZNS1_14partition_implILS8_4ELb0ES6_15HIP_vector_typeIjLj2EENS0_17counting_iteratorIjlEEPS9_SG_NS0_5tupleIJPjSI_NS0_16reverse_iteratorISI_EEEEENSH_IJSG_SG_SG_EEES9_SI_JZNS1_25segmented_radix_sort_implINS0_14default_configELb0EPKsPsPKlPlN2at6native12_GLOBAL__N_18offset_tEEE10hipError_tPvRmT1_PNSt15iterator_traitsIS12_E10value_typeET2_T3_PNS13_IS18_E10value_typeET4_jRbjT5_S1E_jjP12ihipStream_tbEUljE_ZNSN_ISO_Lb0ESQ_SR_ST_SU_SY_EESZ_S10_S11_S12_S16_S17_S18_S1B_S1C_jS1D_jS1E_S1E_jjS1G_bEUljE0_EEESZ_S10_S11_S18_S1C_S1E_T6_T7_T9_mT8_S1G_bDpT10_ENKUlT_T0_E_clISt17integral_constantIbLb1EES1T_IbLb0EEEEDaS1P_S1Q_EUlS1P_E_NS1_11comp_targetILNS1_3genE9ELNS1_11target_archE1100ELNS1_3gpuE3ELNS1_3repE0EEENS1_30default_config_static_selectorELNS0_4arch9wavefront6targetE1EEEvS12_
                                        ; -- End function
	.set _ZN7rocprim17ROCPRIM_400000_NS6detail17trampoline_kernelINS0_13select_configILj256ELj13ELNS0_17block_load_methodE3ELS4_3ELS4_3ELNS0_20block_scan_algorithmE0ELj4294967295EEENS1_25partition_config_selectorILNS1_17partition_subalgoE4EjNS0_10empty_typeEbEEZZNS1_14partition_implILS8_4ELb0ES6_15HIP_vector_typeIjLj2EENS0_17counting_iteratorIjlEEPS9_SG_NS0_5tupleIJPjSI_NS0_16reverse_iteratorISI_EEEEENSH_IJSG_SG_SG_EEES9_SI_JZNS1_25segmented_radix_sort_implINS0_14default_configELb0EPKsPsPKlPlN2at6native12_GLOBAL__N_18offset_tEEE10hipError_tPvRmT1_PNSt15iterator_traitsIS12_E10value_typeET2_T3_PNS13_IS18_E10value_typeET4_jRbjT5_S1E_jjP12ihipStream_tbEUljE_ZNSN_ISO_Lb0ESQ_SR_ST_SU_SY_EESZ_S10_S11_S12_S16_S17_S18_S1B_S1C_jS1D_jS1E_S1E_jjS1G_bEUljE0_EEESZ_S10_S11_S18_S1C_S1E_T6_T7_T9_mT8_S1G_bDpT10_ENKUlT_T0_E_clISt17integral_constantIbLb1EES1T_IbLb0EEEEDaS1P_S1Q_EUlS1P_E_NS1_11comp_targetILNS1_3genE9ELNS1_11target_archE1100ELNS1_3gpuE3ELNS1_3repE0EEENS1_30default_config_static_selectorELNS0_4arch9wavefront6targetE1EEEvS12_.num_vgpr, 0
	.set _ZN7rocprim17ROCPRIM_400000_NS6detail17trampoline_kernelINS0_13select_configILj256ELj13ELNS0_17block_load_methodE3ELS4_3ELS4_3ELNS0_20block_scan_algorithmE0ELj4294967295EEENS1_25partition_config_selectorILNS1_17partition_subalgoE4EjNS0_10empty_typeEbEEZZNS1_14partition_implILS8_4ELb0ES6_15HIP_vector_typeIjLj2EENS0_17counting_iteratorIjlEEPS9_SG_NS0_5tupleIJPjSI_NS0_16reverse_iteratorISI_EEEEENSH_IJSG_SG_SG_EEES9_SI_JZNS1_25segmented_radix_sort_implINS0_14default_configELb0EPKsPsPKlPlN2at6native12_GLOBAL__N_18offset_tEEE10hipError_tPvRmT1_PNSt15iterator_traitsIS12_E10value_typeET2_T3_PNS13_IS18_E10value_typeET4_jRbjT5_S1E_jjP12ihipStream_tbEUljE_ZNSN_ISO_Lb0ESQ_SR_ST_SU_SY_EESZ_S10_S11_S12_S16_S17_S18_S1B_S1C_jS1D_jS1E_S1E_jjS1G_bEUljE0_EEESZ_S10_S11_S18_S1C_S1E_T6_T7_T9_mT8_S1G_bDpT10_ENKUlT_T0_E_clISt17integral_constantIbLb1EES1T_IbLb0EEEEDaS1P_S1Q_EUlS1P_E_NS1_11comp_targetILNS1_3genE9ELNS1_11target_archE1100ELNS1_3gpuE3ELNS1_3repE0EEENS1_30default_config_static_selectorELNS0_4arch9wavefront6targetE1EEEvS12_.num_agpr, 0
	.set _ZN7rocprim17ROCPRIM_400000_NS6detail17trampoline_kernelINS0_13select_configILj256ELj13ELNS0_17block_load_methodE3ELS4_3ELS4_3ELNS0_20block_scan_algorithmE0ELj4294967295EEENS1_25partition_config_selectorILNS1_17partition_subalgoE4EjNS0_10empty_typeEbEEZZNS1_14partition_implILS8_4ELb0ES6_15HIP_vector_typeIjLj2EENS0_17counting_iteratorIjlEEPS9_SG_NS0_5tupleIJPjSI_NS0_16reverse_iteratorISI_EEEEENSH_IJSG_SG_SG_EEES9_SI_JZNS1_25segmented_radix_sort_implINS0_14default_configELb0EPKsPsPKlPlN2at6native12_GLOBAL__N_18offset_tEEE10hipError_tPvRmT1_PNSt15iterator_traitsIS12_E10value_typeET2_T3_PNS13_IS18_E10value_typeET4_jRbjT5_S1E_jjP12ihipStream_tbEUljE_ZNSN_ISO_Lb0ESQ_SR_ST_SU_SY_EESZ_S10_S11_S12_S16_S17_S18_S1B_S1C_jS1D_jS1E_S1E_jjS1G_bEUljE0_EEESZ_S10_S11_S18_S1C_S1E_T6_T7_T9_mT8_S1G_bDpT10_ENKUlT_T0_E_clISt17integral_constantIbLb1EES1T_IbLb0EEEEDaS1P_S1Q_EUlS1P_E_NS1_11comp_targetILNS1_3genE9ELNS1_11target_archE1100ELNS1_3gpuE3ELNS1_3repE0EEENS1_30default_config_static_selectorELNS0_4arch9wavefront6targetE1EEEvS12_.numbered_sgpr, 0
	.set _ZN7rocprim17ROCPRIM_400000_NS6detail17trampoline_kernelINS0_13select_configILj256ELj13ELNS0_17block_load_methodE3ELS4_3ELS4_3ELNS0_20block_scan_algorithmE0ELj4294967295EEENS1_25partition_config_selectorILNS1_17partition_subalgoE4EjNS0_10empty_typeEbEEZZNS1_14partition_implILS8_4ELb0ES6_15HIP_vector_typeIjLj2EENS0_17counting_iteratorIjlEEPS9_SG_NS0_5tupleIJPjSI_NS0_16reverse_iteratorISI_EEEEENSH_IJSG_SG_SG_EEES9_SI_JZNS1_25segmented_radix_sort_implINS0_14default_configELb0EPKsPsPKlPlN2at6native12_GLOBAL__N_18offset_tEEE10hipError_tPvRmT1_PNSt15iterator_traitsIS12_E10value_typeET2_T3_PNS13_IS18_E10value_typeET4_jRbjT5_S1E_jjP12ihipStream_tbEUljE_ZNSN_ISO_Lb0ESQ_SR_ST_SU_SY_EESZ_S10_S11_S12_S16_S17_S18_S1B_S1C_jS1D_jS1E_S1E_jjS1G_bEUljE0_EEESZ_S10_S11_S18_S1C_S1E_T6_T7_T9_mT8_S1G_bDpT10_ENKUlT_T0_E_clISt17integral_constantIbLb1EES1T_IbLb0EEEEDaS1P_S1Q_EUlS1P_E_NS1_11comp_targetILNS1_3genE9ELNS1_11target_archE1100ELNS1_3gpuE3ELNS1_3repE0EEENS1_30default_config_static_selectorELNS0_4arch9wavefront6targetE1EEEvS12_.num_named_barrier, 0
	.set _ZN7rocprim17ROCPRIM_400000_NS6detail17trampoline_kernelINS0_13select_configILj256ELj13ELNS0_17block_load_methodE3ELS4_3ELS4_3ELNS0_20block_scan_algorithmE0ELj4294967295EEENS1_25partition_config_selectorILNS1_17partition_subalgoE4EjNS0_10empty_typeEbEEZZNS1_14partition_implILS8_4ELb0ES6_15HIP_vector_typeIjLj2EENS0_17counting_iteratorIjlEEPS9_SG_NS0_5tupleIJPjSI_NS0_16reverse_iteratorISI_EEEEENSH_IJSG_SG_SG_EEES9_SI_JZNS1_25segmented_radix_sort_implINS0_14default_configELb0EPKsPsPKlPlN2at6native12_GLOBAL__N_18offset_tEEE10hipError_tPvRmT1_PNSt15iterator_traitsIS12_E10value_typeET2_T3_PNS13_IS18_E10value_typeET4_jRbjT5_S1E_jjP12ihipStream_tbEUljE_ZNSN_ISO_Lb0ESQ_SR_ST_SU_SY_EESZ_S10_S11_S12_S16_S17_S18_S1B_S1C_jS1D_jS1E_S1E_jjS1G_bEUljE0_EEESZ_S10_S11_S18_S1C_S1E_T6_T7_T9_mT8_S1G_bDpT10_ENKUlT_T0_E_clISt17integral_constantIbLb1EES1T_IbLb0EEEEDaS1P_S1Q_EUlS1P_E_NS1_11comp_targetILNS1_3genE9ELNS1_11target_archE1100ELNS1_3gpuE3ELNS1_3repE0EEENS1_30default_config_static_selectorELNS0_4arch9wavefront6targetE1EEEvS12_.private_seg_size, 0
	.set _ZN7rocprim17ROCPRIM_400000_NS6detail17trampoline_kernelINS0_13select_configILj256ELj13ELNS0_17block_load_methodE3ELS4_3ELS4_3ELNS0_20block_scan_algorithmE0ELj4294967295EEENS1_25partition_config_selectorILNS1_17partition_subalgoE4EjNS0_10empty_typeEbEEZZNS1_14partition_implILS8_4ELb0ES6_15HIP_vector_typeIjLj2EENS0_17counting_iteratorIjlEEPS9_SG_NS0_5tupleIJPjSI_NS0_16reverse_iteratorISI_EEEEENSH_IJSG_SG_SG_EEES9_SI_JZNS1_25segmented_radix_sort_implINS0_14default_configELb0EPKsPsPKlPlN2at6native12_GLOBAL__N_18offset_tEEE10hipError_tPvRmT1_PNSt15iterator_traitsIS12_E10value_typeET2_T3_PNS13_IS18_E10value_typeET4_jRbjT5_S1E_jjP12ihipStream_tbEUljE_ZNSN_ISO_Lb0ESQ_SR_ST_SU_SY_EESZ_S10_S11_S12_S16_S17_S18_S1B_S1C_jS1D_jS1E_S1E_jjS1G_bEUljE0_EEESZ_S10_S11_S18_S1C_S1E_T6_T7_T9_mT8_S1G_bDpT10_ENKUlT_T0_E_clISt17integral_constantIbLb1EES1T_IbLb0EEEEDaS1P_S1Q_EUlS1P_E_NS1_11comp_targetILNS1_3genE9ELNS1_11target_archE1100ELNS1_3gpuE3ELNS1_3repE0EEENS1_30default_config_static_selectorELNS0_4arch9wavefront6targetE1EEEvS12_.uses_vcc, 0
	.set _ZN7rocprim17ROCPRIM_400000_NS6detail17trampoline_kernelINS0_13select_configILj256ELj13ELNS0_17block_load_methodE3ELS4_3ELS4_3ELNS0_20block_scan_algorithmE0ELj4294967295EEENS1_25partition_config_selectorILNS1_17partition_subalgoE4EjNS0_10empty_typeEbEEZZNS1_14partition_implILS8_4ELb0ES6_15HIP_vector_typeIjLj2EENS0_17counting_iteratorIjlEEPS9_SG_NS0_5tupleIJPjSI_NS0_16reverse_iteratorISI_EEEEENSH_IJSG_SG_SG_EEES9_SI_JZNS1_25segmented_radix_sort_implINS0_14default_configELb0EPKsPsPKlPlN2at6native12_GLOBAL__N_18offset_tEEE10hipError_tPvRmT1_PNSt15iterator_traitsIS12_E10value_typeET2_T3_PNS13_IS18_E10value_typeET4_jRbjT5_S1E_jjP12ihipStream_tbEUljE_ZNSN_ISO_Lb0ESQ_SR_ST_SU_SY_EESZ_S10_S11_S12_S16_S17_S18_S1B_S1C_jS1D_jS1E_S1E_jjS1G_bEUljE0_EEESZ_S10_S11_S18_S1C_S1E_T6_T7_T9_mT8_S1G_bDpT10_ENKUlT_T0_E_clISt17integral_constantIbLb1EES1T_IbLb0EEEEDaS1P_S1Q_EUlS1P_E_NS1_11comp_targetILNS1_3genE9ELNS1_11target_archE1100ELNS1_3gpuE3ELNS1_3repE0EEENS1_30default_config_static_selectorELNS0_4arch9wavefront6targetE1EEEvS12_.uses_flat_scratch, 0
	.set _ZN7rocprim17ROCPRIM_400000_NS6detail17trampoline_kernelINS0_13select_configILj256ELj13ELNS0_17block_load_methodE3ELS4_3ELS4_3ELNS0_20block_scan_algorithmE0ELj4294967295EEENS1_25partition_config_selectorILNS1_17partition_subalgoE4EjNS0_10empty_typeEbEEZZNS1_14partition_implILS8_4ELb0ES6_15HIP_vector_typeIjLj2EENS0_17counting_iteratorIjlEEPS9_SG_NS0_5tupleIJPjSI_NS0_16reverse_iteratorISI_EEEEENSH_IJSG_SG_SG_EEES9_SI_JZNS1_25segmented_radix_sort_implINS0_14default_configELb0EPKsPsPKlPlN2at6native12_GLOBAL__N_18offset_tEEE10hipError_tPvRmT1_PNSt15iterator_traitsIS12_E10value_typeET2_T3_PNS13_IS18_E10value_typeET4_jRbjT5_S1E_jjP12ihipStream_tbEUljE_ZNSN_ISO_Lb0ESQ_SR_ST_SU_SY_EESZ_S10_S11_S12_S16_S17_S18_S1B_S1C_jS1D_jS1E_S1E_jjS1G_bEUljE0_EEESZ_S10_S11_S18_S1C_S1E_T6_T7_T9_mT8_S1G_bDpT10_ENKUlT_T0_E_clISt17integral_constantIbLb1EES1T_IbLb0EEEEDaS1P_S1Q_EUlS1P_E_NS1_11comp_targetILNS1_3genE9ELNS1_11target_archE1100ELNS1_3gpuE3ELNS1_3repE0EEENS1_30default_config_static_selectorELNS0_4arch9wavefront6targetE1EEEvS12_.has_dyn_sized_stack, 0
	.set _ZN7rocprim17ROCPRIM_400000_NS6detail17trampoline_kernelINS0_13select_configILj256ELj13ELNS0_17block_load_methodE3ELS4_3ELS4_3ELNS0_20block_scan_algorithmE0ELj4294967295EEENS1_25partition_config_selectorILNS1_17partition_subalgoE4EjNS0_10empty_typeEbEEZZNS1_14partition_implILS8_4ELb0ES6_15HIP_vector_typeIjLj2EENS0_17counting_iteratorIjlEEPS9_SG_NS0_5tupleIJPjSI_NS0_16reverse_iteratorISI_EEEEENSH_IJSG_SG_SG_EEES9_SI_JZNS1_25segmented_radix_sort_implINS0_14default_configELb0EPKsPsPKlPlN2at6native12_GLOBAL__N_18offset_tEEE10hipError_tPvRmT1_PNSt15iterator_traitsIS12_E10value_typeET2_T3_PNS13_IS18_E10value_typeET4_jRbjT5_S1E_jjP12ihipStream_tbEUljE_ZNSN_ISO_Lb0ESQ_SR_ST_SU_SY_EESZ_S10_S11_S12_S16_S17_S18_S1B_S1C_jS1D_jS1E_S1E_jjS1G_bEUljE0_EEESZ_S10_S11_S18_S1C_S1E_T6_T7_T9_mT8_S1G_bDpT10_ENKUlT_T0_E_clISt17integral_constantIbLb1EES1T_IbLb0EEEEDaS1P_S1Q_EUlS1P_E_NS1_11comp_targetILNS1_3genE9ELNS1_11target_archE1100ELNS1_3gpuE3ELNS1_3repE0EEENS1_30default_config_static_selectorELNS0_4arch9wavefront6targetE1EEEvS12_.has_recursion, 0
	.set _ZN7rocprim17ROCPRIM_400000_NS6detail17trampoline_kernelINS0_13select_configILj256ELj13ELNS0_17block_load_methodE3ELS4_3ELS4_3ELNS0_20block_scan_algorithmE0ELj4294967295EEENS1_25partition_config_selectorILNS1_17partition_subalgoE4EjNS0_10empty_typeEbEEZZNS1_14partition_implILS8_4ELb0ES6_15HIP_vector_typeIjLj2EENS0_17counting_iteratorIjlEEPS9_SG_NS0_5tupleIJPjSI_NS0_16reverse_iteratorISI_EEEEENSH_IJSG_SG_SG_EEES9_SI_JZNS1_25segmented_radix_sort_implINS0_14default_configELb0EPKsPsPKlPlN2at6native12_GLOBAL__N_18offset_tEEE10hipError_tPvRmT1_PNSt15iterator_traitsIS12_E10value_typeET2_T3_PNS13_IS18_E10value_typeET4_jRbjT5_S1E_jjP12ihipStream_tbEUljE_ZNSN_ISO_Lb0ESQ_SR_ST_SU_SY_EESZ_S10_S11_S12_S16_S17_S18_S1B_S1C_jS1D_jS1E_S1E_jjS1G_bEUljE0_EEESZ_S10_S11_S18_S1C_S1E_T6_T7_T9_mT8_S1G_bDpT10_ENKUlT_T0_E_clISt17integral_constantIbLb1EES1T_IbLb0EEEEDaS1P_S1Q_EUlS1P_E_NS1_11comp_targetILNS1_3genE9ELNS1_11target_archE1100ELNS1_3gpuE3ELNS1_3repE0EEENS1_30default_config_static_selectorELNS0_4arch9wavefront6targetE1EEEvS12_.has_indirect_call, 0
	.section	.AMDGPU.csdata,"",@progbits
; Kernel info:
; codeLenInByte = 0
; TotalNumSgprs: 4
; NumVgprs: 0
; ScratchSize: 0
; MemoryBound: 0
; FloatMode: 240
; IeeeMode: 1
; LDSByteSize: 0 bytes/workgroup (compile time only)
; SGPRBlocks: 0
; VGPRBlocks: 0
; NumSGPRsForWavesPerEU: 4
; NumVGPRsForWavesPerEU: 1
; Occupancy: 10
; WaveLimiterHint : 0
; COMPUTE_PGM_RSRC2:SCRATCH_EN: 0
; COMPUTE_PGM_RSRC2:USER_SGPR: 6
; COMPUTE_PGM_RSRC2:TRAP_HANDLER: 0
; COMPUTE_PGM_RSRC2:TGID_X_EN: 1
; COMPUTE_PGM_RSRC2:TGID_Y_EN: 0
; COMPUTE_PGM_RSRC2:TGID_Z_EN: 0
; COMPUTE_PGM_RSRC2:TIDIG_COMP_CNT: 0
	.section	.text._ZN7rocprim17ROCPRIM_400000_NS6detail17trampoline_kernelINS0_13select_configILj256ELj13ELNS0_17block_load_methodE3ELS4_3ELS4_3ELNS0_20block_scan_algorithmE0ELj4294967295EEENS1_25partition_config_selectorILNS1_17partition_subalgoE4EjNS0_10empty_typeEbEEZZNS1_14partition_implILS8_4ELb0ES6_15HIP_vector_typeIjLj2EENS0_17counting_iteratorIjlEEPS9_SG_NS0_5tupleIJPjSI_NS0_16reverse_iteratorISI_EEEEENSH_IJSG_SG_SG_EEES9_SI_JZNS1_25segmented_radix_sort_implINS0_14default_configELb0EPKsPsPKlPlN2at6native12_GLOBAL__N_18offset_tEEE10hipError_tPvRmT1_PNSt15iterator_traitsIS12_E10value_typeET2_T3_PNS13_IS18_E10value_typeET4_jRbjT5_S1E_jjP12ihipStream_tbEUljE_ZNSN_ISO_Lb0ESQ_SR_ST_SU_SY_EESZ_S10_S11_S12_S16_S17_S18_S1B_S1C_jS1D_jS1E_S1E_jjS1G_bEUljE0_EEESZ_S10_S11_S18_S1C_S1E_T6_T7_T9_mT8_S1G_bDpT10_ENKUlT_T0_E_clISt17integral_constantIbLb1EES1T_IbLb0EEEEDaS1P_S1Q_EUlS1P_E_NS1_11comp_targetILNS1_3genE8ELNS1_11target_archE1030ELNS1_3gpuE2ELNS1_3repE0EEENS1_30default_config_static_selectorELNS0_4arch9wavefront6targetE1EEEvS12_,"axG",@progbits,_ZN7rocprim17ROCPRIM_400000_NS6detail17trampoline_kernelINS0_13select_configILj256ELj13ELNS0_17block_load_methodE3ELS4_3ELS4_3ELNS0_20block_scan_algorithmE0ELj4294967295EEENS1_25partition_config_selectorILNS1_17partition_subalgoE4EjNS0_10empty_typeEbEEZZNS1_14partition_implILS8_4ELb0ES6_15HIP_vector_typeIjLj2EENS0_17counting_iteratorIjlEEPS9_SG_NS0_5tupleIJPjSI_NS0_16reverse_iteratorISI_EEEEENSH_IJSG_SG_SG_EEES9_SI_JZNS1_25segmented_radix_sort_implINS0_14default_configELb0EPKsPsPKlPlN2at6native12_GLOBAL__N_18offset_tEEE10hipError_tPvRmT1_PNSt15iterator_traitsIS12_E10value_typeET2_T3_PNS13_IS18_E10value_typeET4_jRbjT5_S1E_jjP12ihipStream_tbEUljE_ZNSN_ISO_Lb0ESQ_SR_ST_SU_SY_EESZ_S10_S11_S12_S16_S17_S18_S1B_S1C_jS1D_jS1E_S1E_jjS1G_bEUljE0_EEESZ_S10_S11_S18_S1C_S1E_T6_T7_T9_mT8_S1G_bDpT10_ENKUlT_T0_E_clISt17integral_constantIbLb1EES1T_IbLb0EEEEDaS1P_S1Q_EUlS1P_E_NS1_11comp_targetILNS1_3genE8ELNS1_11target_archE1030ELNS1_3gpuE2ELNS1_3repE0EEENS1_30default_config_static_selectorELNS0_4arch9wavefront6targetE1EEEvS12_,comdat
	.globl	_ZN7rocprim17ROCPRIM_400000_NS6detail17trampoline_kernelINS0_13select_configILj256ELj13ELNS0_17block_load_methodE3ELS4_3ELS4_3ELNS0_20block_scan_algorithmE0ELj4294967295EEENS1_25partition_config_selectorILNS1_17partition_subalgoE4EjNS0_10empty_typeEbEEZZNS1_14partition_implILS8_4ELb0ES6_15HIP_vector_typeIjLj2EENS0_17counting_iteratorIjlEEPS9_SG_NS0_5tupleIJPjSI_NS0_16reverse_iteratorISI_EEEEENSH_IJSG_SG_SG_EEES9_SI_JZNS1_25segmented_radix_sort_implINS0_14default_configELb0EPKsPsPKlPlN2at6native12_GLOBAL__N_18offset_tEEE10hipError_tPvRmT1_PNSt15iterator_traitsIS12_E10value_typeET2_T3_PNS13_IS18_E10value_typeET4_jRbjT5_S1E_jjP12ihipStream_tbEUljE_ZNSN_ISO_Lb0ESQ_SR_ST_SU_SY_EESZ_S10_S11_S12_S16_S17_S18_S1B_S1C_jS1D_jS1E_S1E_jjS1G_bEUljE0_EEESZ_S10_S11_S18_S1C_S1E_T6_T7_T9_mT8_S1G_bDpT10_ENKUlT_T0_E_clISt17integral_constantIbLb1EES1T_IbLb0EEEEDaS1P_S1Q_EUlS1P_E_NS1_11comp_targetILNS1_3genE8ELNS1_11target_archE1030ELNS1_3gpuE2ELNS1_3repE0EEENS1_30default_config_static_selectorELNS0_4arch9wavefront6targetE1EEEvS12_ ; -- Begin function _ZN7rocprim17ROCPRIM_400000_NS6detail17trampoline_kernelINS0_13select_configILj256ELj13ELNS0_17block_load_methodE3ELS4_3ELS4_3ELNS0_20block_scan_algorithmE0ELj4294967295EEENS1_25partition_config_selectorILNS1_17partition_subalgoE4EjNS0_10empty_typeEbEEZZNS1_14partition_implILS8_4ELb0ES6_15HIP_vector_typeIjLj2EENS0_17counting_iteratorIjlEEPS9_SG_NS0_5tupleIJPjSI_NS0_16reverse_iteratorISI_EEEEENSH_IJSG_SG_SG_EEES9_SI_JZNS1_25segmented_radix_sort_implINS0_14default_configELb0EPKsPsPKlPlN2at6native12_GLOBAL__N_18offset_tEEE10hipError_tPvRmT1_PNSt15iterator_traitsIS12_E10value_typeET2_T3_PNS13_IS18_E10value_typeET4_jRbjT5_S1E_jjP12ihipStream_tbEUljE_ZNSN_ISO_Lb0ESQ_SR_ST_SU_SY_EESZ_S10_S11_S12_S16_S17_S18_S1B_S1C_jS1D_jS1E_S1E_jjS1G_bEUljE0_EEESZ_S10_S11_S18_S1C_S1E_T6_T7_T9_mT8_S1G_bDpT10_ENKUlT_T0_E_clISt17integral_constantIbLb1EES1T_IbLb0EEEEDaS1P_S1Q_EUlS1P_E_NS1_11comp_targetILNS1_3genE8ELNS1_11target_archE1030ELNS1_3gpuE2ELNS1_3repE0EEENS1_30default_config_static_selectorELNS0_4arch9wavefront6targetE1EEEvS12_
	.p2align	8
	.type	_ZN7rocprim17ROCPRIM_400000_NS6detail17trampoline_kernelINS0_13select_configILj256ELj13ELNS0_17block_load_methodE3ELS4_3ELS4_3ELNS0_20block_scan_algorithmE0ELj4294967295EEENS1_25partition_config_selectorILNS1_17partition_subalgoE4EjNS0_10empty_typeEbEEZZNS1_14partition_implILS8_4ELb0ES6_15HIP_vector_typeIjLj2EENS0_17counting_iteratorIjlEEPS9_SG_NS0_5tupleIJPjSI_NS0_16reverse_iteratorISI_EEEEENSH_IJSG_SG_SG_EEES9_SI_JZNS1_25segmented_radix_sort_implINS0_14default_configELb0EPKsPsPKlPlN2at6native12_GLOBAL__N_18offset_tEEE10hipError_tPvRmT1_PNSt15iterator_traitsIS12_E10value_typeET2_T3_PNS13_IS18_E10value_typeET4_jRbjT5_S1E_jjP12ihipStream_tbEUljE_ZNSN_ISO_Lb0ESQ_SR_ST_SU_SY_EESZ_S10_S11_S12_S16_S17_S18_S1B_S1C_jS1D_jS1E_S1E_jjS1G_bEUljE0_EEESZ_S10_S11_S18_S1C_S1E_T6_T7_T9_mT8_S1G_bDpT10_ENKUlT_T0_E_clISt17integral_constantIbLb1EES1T_IbLb0EEEEDaS1P_S1Q_EUlS1P_E_NS1_11comp_targetILNS1_3genE8ELNS1_11target_archE1030ELNS1_3gpuE2ELNS1_3repE0EEENS1_30default_config_static_selectorELNS0_4arch9wavefront6targetE1EEEvS12_,@function
_ZN7rocprim17ROCPRIM_400000_NS6detail17trampoline_kernelINS0_13select_configILj256ELj13ELNS0_17block_load_methodE3ELS4_3ELS4_3ELNS0_20block_scan_algorithmE0ELj4294967295EEENS1_25partition_config_selectorILNS1_17partition_subalgoE4EjNS0_10empty_typeEbEEZZNS1_14partition_implILS8_4ELb0ES6_15HIP_vector_typeIjLj2EENS0_17counting_iteratorIjlEEPS9_SG_NS0_5tupleIJPjSI_NS0_16reverse_iteratorISI_EEEEENSH_IJSG_SG_SG_EEES9_SI_JZNS1_25segmented_radix_sort_implINS0_14default_configELb0EPKsPsPKlPlN2at6native12_GLOBAL__N_18offset_tEEE10hipError_tPvRmT1_PNSt15iterator_traitsIS12_E10value_typeET2_T3_PNS13_IS18_E10value_typeET4_jRbjT5_S1E_jjP12ihipStream_tbEUljE_ZNSN_ISO_Lb0ESQ_SR_ST_SU_SY_EESZ_S10_S11_S12_S16_S17_S18_S1B_S1C_jS1D_jS1E_S1E_jjS1G_bEUljE0_EEESZ_S10_S11_S18_S1C_S1E_T6_T7_T9_mT8_S1G_bDpT10_ENKUlT_T0_E_clISt17integral_constantIbLb1EES1T_IbLb0EEEEDaS1P_S1Q_EUlS1P_E_NS1_11comp_targetILNS1_3genE8ELNS1_11target_archE1030ELNS1_3gpuE2ELNS1_3repE0EEENS1_30default_config_static_selectorELNS0_4arch9wavefront6targetE1EEEvS12_: ; @_ZN7rocprim17ROCPRIM_400000_NS6detail17trampoline_kernelINS0_13select_configILj256ELj13ELNS0_17block_load_methodE3ELS4_3ELS4_3ELNS0_20block_scan_algorithmE0ELj4294967295EEENS1_25partition_config_selectorILNS1_17partition_subalgoE4EjNS0_10empty_typeEbEEZZNS1_14partition_implILS8_4ELb0ES6_15HIP_vector_typeIjLj2EENS0_17counting_iteratorIjlEEPS9_SG_NS0_5tupleIJPjSI_NS0_16reverse_iteratorISI_EEEEENSH_IJSG_SG_SG_EEES9_SI_JZNS1_25segmented_radix_sort_implINS0_14default_configELb0EPKsPsPKlPlN2at6native12_GLOBAL__N_18offset_tEEE10hipError_tPvRmT1_PNSt15iterator_traitsIS12_E10value_typeET2_T3_PNS13_IS18_E10value_typeET4_jRbjT5_S1E_jjP12ihipStream_tbEUljE_ZNSN_ISO_Lb0ESQ_SR_ST_SU_SY_EESZ_S10_S11_S12_S16_S17_S18_S1B_S1C_jS1D_jS1E_S1E_jjS1G_bEUljE0_EEESZ_S10_S11_S18_S1C_S1E_T6_T7_T9_mT8_S1G_bDpT10_ENKUlT_T0_E_clISt17integral_constantIbLb1EES1T_IbLb0EEEEDaS1P_S1Q_EUlS1P_E_NS1_11comp_targetILNS1_3genE8ELNS1_11target_archE1030ELNS1_3gpuE2ELNS1_3repE0EEENS1_30default_config_static_selectorELNS0_4arch9wavefront6targetE1EEEvS12_
; %bb.0:
	.section	.rodata,"a",@progbits
	.p2align	6, 0x0
	.amdhsa_kernel _ZN7rocprim17ROCPRIM_400000_NS6detail17trampoline_kernelINS0_13select_configILj256ELj13ELNS0_17block_load_methodE3ELS4_3ELS4_3ELNS0_20block_scan_algorithmE0ELj4294967295EEENS1_25partition_config_selectorILNS1_17partition_subalgoE4EjNS0_10empty_typeEbEEZZNS1_14partition_implILS8_4ELb0ES6_15HIP_vector_typeIjLj2EENS0_17counting_iteratorIjlEEPS9_SG_NS0_5tupleIJPjSI_NS0_16reverse_iteratorISI_EEEEENSH_IJSG_SG_SG_EEES9_SI_JZNS1_25segmented_radix_sort_implINS0_14default_configELb0EPKsPsPKlPlN2at6native12_GLOBAL__N_18offset_tEEE10hipError_tPvRmT1_PNSt15iterator_traitsIS12_E10value_typeET2_T3_PNS13_IS18_E10value_typeET4_jRbjT5_S1E_jjP12ihipStream_tbEUljE_ZNSN_ISO_Lb0ESQ_SR_ST_SU_SY_EESZ_S10_S11_S12_S16_S17_S18_S1B_S1C_jS1D_jS1E_S1E_jjS1G_bEUljE0_EEESZ_S10_S11_S18_S1C_S1E_T6_T7_T9_mT8_S1G_bDpT10_ENKUlT_T0_E_clISt17integral_constantIbLb1EES1T_IbLb0EEEEDaS1P_S1Q_EUlS1P_E_NS1_11comp_targetILNS1_3genE8ELNS1_11target_archE1030ELNS1_3gpuE2ELNS1_3repE0EEENS1_30default_config_static_selectorELNS0_4arch9wavefront6targetE1EEEvS12_
		.amdhsa_group_segment_fixed_size 0
		.amdhsa_private_segment_fixed_size 0
		.amdhsa_kernarg_size 176
		.amdhsa_user_sgpr_count 6
		.amdhsa_user_sgpr_private_segment_buffer 1
		.amdhsa_user_sgpr_dispatch_ptr 0
		.amdhsa_user_sgpr_queue_ptr 0
		.amdhsa_user_sgpr_kernarg_segment_ptr 1
		.amdhsa_user_sgpr_dispatch_id 0
		.amdhsa_user_sgpr_flat_scratch_init 0
		.amdhsa_user_sgpr_private_segment_size 0
		.amdhsa_uses_dynamic_stack 0
		.amdhsa_system_sgpr_private_segment_wavefront_offset 0
		.amdhsa_system_sgpr_workgroup_id_x 1
		.amdhsa_system_sgpr_workgroup_id_y 0
		.amdhsa_system_sgpr_workgroup_id_z 0
		.amdhsa_system_sgpr_workgroup_info 0
		.amdhsa_system_vgpr_workitem_id 0
		.amdhsa_next_free_vgpr 1
		.amdhsa_next_free_sgpr 0
		.amdhsa_reserve_vcc 0
		.amdhsa_reserve_flat_scratch 0
		.amdhsa_float_round_mode_32 0
		.amdhsa_float_round_mode_16_64 0
		.amdhsa_float_denorm_mode_32 3
		.amdhsa_float_denorm_mode_16_64 3
		.amdhsa_dx10_clamp 1
		.amdhsa_ieee_mode 1
		.amdhsa_fp16_overflow 0
		.amdhsa_exception_fp_ieee_invalid_op 0
		.amdhsa_exception_fp_denorm_src 0
		.amdhsa_exception_fp_ieee_div_zero 0
		.amdhsa_exception_fp_ieee_overflow 0
		.amdhsa_exception_fp_ieee_underflow 0
		.amdhsa_exception_fp_ieee_inexact 0
		.amdhsa_exception_int_div_zero 0
	.end_amdhsa_kernel
	.section	.text._ZN7rocprim17ROCPRIM_400000_NS6detail17trampoline_kernelINS0_13select_configILj256ELj13ELNS0_17block_load_methodE3ELS4_3ELS4_3ELNS0_20block_scan_algorithmE0ELj4294967295EEENS1_25partition_config_selectorILNS1_17partition_subalgoE4EjNS0_10empty_typeEbEEZZNS1_14partition_implILS8_4ELb0ES6_15HIP_vector_typeIjLj2EENS0_17counting_iteratorIjlEEPS9_SG_NS0_5tupleIJPjSI_NS0_16reverse_iteratorISI_EEEEENSH_IJSG_SG_SG_EEES9_SI_JZNS1_25segmented_radix_sort_implINS0_14default_configELb0EPKsPsPKlPlN2at6native12_GLOBAL__N_18offset_tEEE10hipError_tPvRmT1_PNSt15iterator_traitsIS12_E10value_typeET2_T3_PNS13_IS18_E10value_typeET4_jRbjT5_S1E_jjP12ihipStream_tbEUljE_ZNSN_ISO_Lb0ESQ_SR_ST_SU_SY_EESZ_S10_S11_S12_S16_S17_S18_S1B_S1C_jS1D_jS1E_S1E_jjS1G_bEUljE0_EEESZ_S10_S11_S18_S1C_S1E_T6_T7_T9_mT8_S1G_bDpT10_ENKUlT_T0_E_clISt17integral_constantIbLb1EES1T_IbLb0EEEEDaS1P_S1Q_EUlS1P_E_NS1_11comp_targetILNS1_3genE8ELNS1_11target_archE1030ELNS1_3gpuE2ELNS1_3repE0EEENS1_30default_config_static_selectorELNS0_4arch9wavefront6targetE1EEEvS12_,"axG",@progbits,_ZN7rocprim17ROCPRIM_400000_NS6detail17trampoline_kernelINS0_13select_configILj256ELj13ELNS0_17block_load_methodE3ELS4_3ELS4_3ELNS0_20block_scan_algorithmE0ELj4294967295EEENS1_25partition_config_selectorILNS1_17partition_subalgoE4EjNS0_10empty_typeEbEEZZNS1_14partition_implILS8_4ELb0ES6_15HIP_vector_typeIjLj2EENS0_17counting_iteratorIjlEEPS9_SG_NS0_5tupleIJPjSI_NS0_16reverse_iteratorISI_EEEEENSH_IJSG_SG_SG_EEES9_SI_JZNS1_25segmented_radix_sort_implINS0_14default_configELb0EPKsPsPKlPlN2at6native12_GLOBAL__N_18offset_tEEE10hipError_tPvRmT1_PNSt15iterator_traitsIS12_E10value_typeET2_T3_PNS13_IS18_E10value_typeET4_jRbjT5_S1E_jjP12ihipStream_tbEUljE_ZNSN_ISO_Lb0ESQ_SR_ST_SU_SY_EESZ_S10_S11_S12_S16_S17_S18_S1B_S1C_jS1D_jS1E_S1E_jjS1G_bEUljE0_EEESZ_S10_S11_S18_S1C_S1E_T6_T7_T9_mT8_S1G_bDpT10_ENKUlT_T0_E_clISt17integral_constantIbLb1EES1T_IbLb0EEEEDaS1P_S1Q_EUlS1P_E_NS1_11comp_targetILNS1_3genE8ELNS1_11target_archE1030ELNS1_3gpuE2ELNS1_3repE0EEENS1_30default_config_static_selectorELNS0_4arch9wavefront6targetE1EEEvS12_,comdat
.Lfunc_end973:
	.size	_ZN7rocprim17ROCPRIM_400000_NS6detail17trampoline_kernelINS0_13select_configILj256ELj13ELNS0_17block_load_methodE3ELS4_3ELS4_3ELNS0_20block_scan_algorithmE0ELj4294967295EEENS1_25partition_config_selectorILNS1_17partition_subalgoE4EjNS0_10empty_typeEbEEZZNS1_14partition_implILS8_4ELb0ES6_15HIP_vector_typeIjLj2EENS0_17counting_iteratorIjlEEPS9_SG_NS0_5tupleIJPjSI_NS0_16reverse_iteratorISI_EEEEENSH_IJSG_SG_SG_EEES9_SI_JZNS1_25segmented_radix_sort_implINS0_14default_configELb0EPKsPsPKlPlN2at6native12_GLOBAL__N_18offset_tEEE10hipError_tPvRmT1_PNSt15iterator_traitsIS12_E10value_typeET2_T3_PNS13_IS18_E10value_typeET4_jRbjT5_S1E_jjP12ihipStream_tbEUljE_ZNSN_ISO_Lb0ESQ_SR_ST_SU_SY_EESZ_S10_S11_S12_S16_S17_S18_S1B_S1C_jS1D_jS1E_S1E_jjS1G_bEUljE0_EEESZ_S10_S11_S18_S1C_S1E_T6_T7_T9_mT8_S1G_bDpT10_ENKUlT_T0_E_clISt17integral_constantIbLb1EES1T_IbLb0EEEEDaS1P_S1Q_EUlS1P_E_NS1_11comp_targetILNS1_3genE8ELNS1_11target_archE1030ELNS1_3gpuE2ELNS1_3repE0EEENS1_30default_config_static_selectorELNS0_4arch9wavefront6targetE1EEEvS12_, .Lfunc_end973-_ZN7rocprim17ROCPRIM_400000_NS6detail17trampoline_kernelINS0_13select_configILj256ELj13ELNS0_17block_load_methodE3ELS4_3ELS4_3ELNS0_20block_scan_algorithmE0ELj4294967295EEENS1_25partition_config_selectorILNS1_17partition_subalgoE4EjNS0_10empty_typeEbEEZZNS1_14partition_implILS8_4ELb0ES6_15HIP_vector_typeIjLj2EENS0_17counting_iteratorIjlEEPS9_SG_NS0_5tupleIJPjSI_NS0_16reverse_iteratorISI_EEEEENSH_IJSG_SG_SG_EEES9_SI_JZNS1_25segmented_radix_sort_implINS0_14default_configELb0EPKsPsPKlPlN2at6native12_GLOBAL__N_18offset_tEEE10hipError_tPvRmT1_PNSt15iterator_traitsIS12_E10value_typeET2_T3_PNS13_IS18_E10value_typeET4_jRbjT5_S1E_jjP12ihipStream_tbEUljE_ZNSN_ISO_Lb0ESQ_SR_ST_SU_SY_EESZ_S10_S11_S12_S16_S17_S18_S1B_S1C_jS1D_jS1E_S1E_jjS1G_bEUljE0_EEESZ_S10_S11_S18_S1C_S1E_T6_T7_T9_mT8_S1G_bDpT10_ENKUlT_T0_E_clISt17integral_constantIbLb1EES1T_IbLb0EEEEDaS1P_S1Q_EUlS1P_E_NS1_11comp_targetILNS1_3genE8ELNS1_11target_archE1030ELNS1_3gpuE2ELNS1_3repE0EEENS1_30default_config_static_selectorELNS0_4arch9wavefront6targetE1EEEvS12_
                                        ; -- End function
	.set _ZN7rocprim17ROCPRIM_400000_NS6detail17trampoline_kernelINS0_13select_configILj256ELj13ELNS0_17block_load_methodE3ELS4_3ELS4_3ELNS0_20block_scan_algorithmE0ELj4294967295EEENS1_25partition_config_selectorILNS1_17partition_subalgoE4EjNS0_10empty_typeEbEEZZNS1_14partition_implILS8_4ELb0ES6_15HIP_vector_typeIjLj2EENS0_17counting_iteratorIjlEEPS9_SG_NS0_5tupleIJPjSI_NS0_16reverse_iteratorISI_EEEEENSH_IJSG_SG_SG_EEES9_SI_JZNS1_25segmented_radix_sort_implINS0_14default_configELb0EPKsPsPKlPlN2at6native12_GLOBAL__N_18offset_tEEE10hipError_tPvRmT1_PNSt15iterator_traitsIS12_E10value_typeET2_T3_PNS13_IS18_E10value_typeET4_jRbjT5_S1E_jjP12ihipStream_tbEUljE_ZNSN_ISO_Lb0ESQ_SR_ST_SU_SY_EESZ_S10_S11_S12_S16_S17_S18_S1B_S1C_jS1D_jS1E_S1E_jjS1G_bEUljE0_EEESZ_S10_S11_S18_S1C_S1E_T6_T7_T9_mT8_S1G_bDpT10_ENKUlT_T0_E_clISt17integral_constantIbLb1EES1T_IbLb0EEEEDaS1P_S1Q_EUlS1P_E_NS1_11comp_targetILNS1_3genE8ELNS1_11target_archE1030ELNS1_3gpuE2ELNS1_3repE0EEENS1_30default_config_static_selectorELNS0_4arch9wavefront6targetE1EEEvS12_.num_vgpr, 0
	.set _ZN7rocprim17ROCPRIM_400000_NS6detail17trampoline_kernelINS0_13select_configILj256ELj13ELNS0_17block_load_methodE3ELS4_3ELS4_3ELNS0_20block_scan_algorithmE0ELj4294967295EEENS1_25partition_config_selectorILNS1_17partition_subalgoE4EjNS0_10empty_typeEbEEZZNS1_14partition_implILS8_4ELb0ES6_15HIP_vector_typeIjLj2EENS0_17counting_iteratorIjlEEPS9_SG_NS0_5tupleIJPjSI_NS0_16reverse_iteratorISI_EEEEENSH_IJSG_SG_SG_EEES9_SI_JZNS1_25segmented_radix_sort_implINS0_14default_configELb0EPKsPsPKlPlN2at6native12_GLOBAL__N_18offset_tEEE10hipError_tPvRmT1_PNSt15iterator_traitsIS12_E10value_typeET2_T3_PNS13_IS18_E10value_typeET4_jRbjT5_S1E_jjP12ihipStream_tbEUljE_ZNSN_ISO_Lb0ESQ_SR_ST_SU_SY_EESZ_S10_S11_S12_S16_S17_S18_S1B_S1C_jS1D_jS1E_S1E_jjS1G_bEUljE0_EEESZ_S10_S11_S18_S1C_S1E_T6_T7_T9_mT8_S1G_bDpT10_ENKUlT_T0_E_clISt17integral_constantIbLb1EES1T_IbLb0EEEEDaS1P_S1Q_EUlS1P_E_NS1_11comp_targetILNS1_3genE8ELNS1_11target_archE1030ELNS1_3gpuE2ELNS1_3repE0EEENS1_30default_config_static_selectorELNS0_4arch9wavefront6targetE1EEEvS12_.num_agpr, 0
	.set _ZN7rocprim17ROCPRIM_400000_NS6detail17trampoline_kernelINS0_13select_configILj256ELj13ELNS0_17block_load_methodE3ELS4_3ELS4_3ELNS0_20block_scan_algorithmE0ELj4294967295EEENS1_25partition_config_selectorILNS1_17partition_subalgoE4EjNS0_10empty_typeEbEEZZNS1_14partition_implILS8_4ELb0ES6_15HIP_vector_typeIjLj2EENS0_17counting_iteratorIjlEEPS9_SG_NS0_5tupleIJPjSI_NS0_16reverse_iteratorISI_EEEEENSH_IJSG_SG_SG_EEES9_SI_JZNS1_25segmented_radix_sort_implINS0_14default_configELb0EPKsPsPKlPlN2at6native12_GLOBAL__N_18offset_tEEE10hipError_tPvRmT1_PNSt15iterator_traitsIS12_E10value_typeET2_T3_PNS13_IS18_E10value_typeET4_jRbjT5_S1E_jjP12ihipStream_tbEUljE_ZNSN_ISO_Lb0ESQ_SR_ST_SU_SY_EESZ_S10_S11_S12_S16_S17_S18_S1B_S1C_jS1D_jS1E_S1E_jjS1G_bEUljE0_EEESZ_S10_S11_S18_S1C_S1E_T6_T7_T9_mT8_S1G_bDpT10_ENKUlT_T0_E_clISt17integral_constantIbLb1EES1T_IbLb0EEEEDaS1P_S1Q_EUlS1P_E_NS1_11comp_targetILNS1_3genE8ELNS1_11target_archE1030ELNS1_3gpuE2ELNS1_3repE0EEENS1_30default_config_static_selectorELNS0_4arch9wavefront6targetE1EEEvS12_.numbered_sgpr, 0
	.set _ZN7rocprim17ROCPRIM_400000_NS6detail17trampoline_kernelINS0_13select_configILj256ELj13ELNS0_17block_load_methodE3ELS4_3ELS4_3ELNS0_20block_scan_algorithmE0ELj4294967295EEENS1_25partition_config_selectorILNS1_17partition_subalgoE4EjNS0_10empty_typeEbEEZZNS1_14partition_implILS8_4ELb0ES6_15HIP_vector_typeIjLj2EENS0_17counting_iteratorIjlEEPS9_SG_NS0_5tupleIJPjSI_NS0_16reverse_iteratorISI_EEEEENSH_IJSG_SG_SG_EEES9_SI_JZNS1_25segmented_radix_sort_implINS0_14default_configELb0EPKsPsPKlPlN2at6native12_GLOBAL__N_18offset_tEEE10hipError_tPvRmT1_PNSt15iterator_traitsIS12_E10value_typeET2_T3_PNS13_IS18_E10value_typeET4_jRbjT5_S1E_jjP12ihipStream_tbEUljE_ZNSN_ISO_Lb0ESQ_SR_ST_SU_SY_EESZ_S10_S11_S12_S16_S17_S18_S1B_S1C_jS1D_jS1E_S1E_jjS1G_bEUljE0_EEESZ_S10_S11_S18_S1C_S1E_T6_T7_T9_mT8_S1G_bDpT10_ENKUlT_T0_E_clISt17integral_constantIbLb1EES1T_IbLb0EEEEDaS1P_S1Q_EUlS1P_E_NS1_11comp_targetILNS1_3genE8ELNS1_11target_archE1030ELNS1_3gpuE2ELNS1_3repE0EEENS1_30default_config_static_selectorELNS0_4arch9wavefront6targetE1EEEvS12_.num_named_barrier, 0
	.set _ZN7rocprim17ROCPRIM_400000_NS6detail17trampoline_kernelINS0_13select_configILj256ELj13ELNS0_17block_load_methodE3ELS4_3ELS4_3ELNS0_20block_scan_algorithmE0ELj4294967295EEENS1_25partition_config_selectorILNS1_17partition_subalgoE4EjNS0_10empty_typeEbEEZZNS1_14partition_implILS8_4ELb0ES6_15HIP_vector_typeIjLj2EENS0_17counting_iteratorIjlEEPS9_SG_NS0_5tupleIJPjSI_NS0_16reverse_iteratorISI_EEEEENSH_IJSG_SG_SG_EEES9_SI_JZNS1_25segmented_radix_sort_implINS0_14default_configELb0EPKsPsPKlPlN2at6native12_GLOBAL__N_18offset_tEEE10hipError_tPvRmT1_PNSt15iterator_traitsIS12_E10value_typeET2_T3_PNS13_IS18_E10value_typeET4_jRbjT5_S1E_jjP12ihipStream_tbEUljE_ZNSN_ISO_Lb0ESQ_SR_ST_SU_SY_EESZ_S10_S11_S12_S16_S17_S18_S1B_S1C_jS1D_jS1E_S1E_jjS1G_bEUljE0_EEESZ_S10_S11_S18_S1C_S1E_T6_T7_T9_mT8_S1G_bDpT10_ENKUlT_T0_E_clISt17integral_constantIbLb1EES1T_IbLb0EEEEDaS1P_S1Q_EUlS1P_E_NS1_11comp_targetILNS1_3genE8ELNS1_11target_archE1030ELNS1_3gpuE2ELNS1_3repE0EEENS1_30default_config_static_selectorELNS0_4arch9wavefront6targetE1EEEvS12_.private_seg_size, 0
	.set _ZN7rocprim17ROCPRIM_400000_NS6detail17trampoline_kernelINS0_13select_configILj256ELj13ELNS0_17block_load_methodE3ELS4_3ELS4_3ELNS0_20block_scan_algorithmE0ELj4294967295EEENS1_25partition_config_selectorILNS1_17partition_subalgoE4EjNS0_10empty_typeEbEEZZNS1_14partition_implILS8_4ELb0ES6_15HIP_vector_typeIjLj2EENS0_17counting_iteratorIjlEEPS9_SG_NS0_5tupleIJPjSI_NS0_16reverse_iteratorISI_EEEEENSH_IJSG_SG_SG_EEES9_SI_JZNS1_25segmented_radix_sort_implINS0_14default_configELb0EPKsPsPKlPlN2at6native12_GLOBAL__N_18offset_tEEE10hipError_tPvRmT1_PNSt15iterator_traitsIS12_E10value_typeET2_T3_PNS13_IS18_E10value_typeET4_jRbjT5_S1E_jjP12ihipStream_tbEUljE_ZNSN_ISO_Lb0ESQ_SR_ST_SU_SY_EESZ_S10_S11_S12_S16_S17_S18_S1B_S1C_jS1D_jS1E_S1E_jjS1G_bEUljE0_EEESZ_S10_S11_S18_S1C_S1E_T6_T7_T9_mT8_S1G_bDpT10_ENKUlT_T0_E_clISt17integral_constantIbLb1EES1T_IbLb0EEEEDaS1P_S1Q_EUlS1P_E_NS1_11comp_targetILNS1_3genE8ELNS1_11target_archE1030ELNS1_3gpuE2ELNS1_3repE0EEENS1_30default_config_static_selectorELNS0_4arch9wavefront6targetE1EEEvS12_.uses_vcc, 0
	.set _ZN7rocprim17ROCPRIM_400000_NS6detail17trampoline_kernelINS0_13select_configILj256ELj13ELNS0_17block_load_methodE3ELS4_3ELS4_3ELNS0_20block_scan_algorithmE0ELj4294967295EEENS1_25partition_config_selectorILNS1_17partition_subalgoE4EjNS0_10empty_typeEbEEZZNS1_14partition_implILS8_4ELb0ES6_15HIP_vector_typeIjLj2EENS0_17counting_iteratorIjlEEPS9_SG_NS0_5tupleIJPjSI_NS0_16reverse_iteratorISI_EEEEENSH_IJSG_SG_SG_EEES9_SI_JZNS1_25segmented_radix_sort_implINS0_14default_configELb0EPKsPsPKlPlN2at6native12_GLOBAL__N_18offset_tEEE10hipError_tPvRmT1_PNSt15iterator_traitsIS12_E10value_typeET2_T3_PNS13_IS18_E10value_typeET4_jRbjT5_S1E_jjP12ihipStream_tbEUljE_ZNSN_ISO_Lb0ESQ_SR_ST_SU_SY_EESZ_S10_S11_S12_S16_S17_S18_S1B_S1C_jS1D_jS1E_S1E_jjS1G_bEUljE0_EEESZ_S10_S11_S18_S1C_S1E_T6_T7_T9_mT8_S1G_bDpT10_ENKUlT_T0_E_clISt17integral_constantIbLb1EES1T_IbLb0EEEEDaS1P_S1Q_EUlS1P_E_NS1_11comp_targetILNS1_3genE8ELNS1_11target_archE1030ELNS1_3gpuE2ELNS1_3repE0EEENS1_30default_config_static_selectorELNS0_4arch9wavefront6targetE1EEEvS12_.uses_flat_scratch, 0
	.set _ZN7rocprim17ROCPRIM_400000_NS6detail17trampoline_kernelINS0_13select_configILj256ELj13ELNS0_17block_load_methodE3ELS4_3ELS4_3ELNS0_20block_scan_algorithmE0ELj4294967295EEENS1_25partition_config_selectorILNS1_17partition_subalgoE4EjNS0_10empty_typeEbEEZZNS1_14partition_implILS8_4ELb0ES6_15HIP_vector_typeIjLj2EENS0_17counting_iteratorIjlEEPS9_SG_NS0_5tupleIJPjSI_NS0_16reverse_iteratorISI_EEEEENSH_IJSG_SG_SG_EEES9_SI_JZNS1_25segmented_radix_sort_implINS0_14default_configELb0EPKsPsPKlPlN2at6native12_GLOBAL__N_18offset_tEEE10hipError_tPvRmT1_PNSt15iterator_traitsIS12_E10value_typeET2_T3_PNS13_IS18_E10value_typeET4_jRbjT5_S1E_jjP12ihipStream_tbEUljE_ZNSN_ISO_Lb0ESQ_SR_ST_SU_SY_EESZ_S10_S11_S12_S16_S17_S18_S1B_S1C_jS1D_jS1E_S1E_jjS1G_bEUljE0_EEESZ_S10_S11_S18_S1C_S1E_T6_T7_T9_mT8_S1G_bDpT10_ENKUlT_T0_E_clISt17integral_constantIbLb1EES1T_IbLb0EEEEDaS1P_S1Q_EUlS1P_E_NS1_11comp_targetILNS1_3genE8ELNS1_11target_archE1030ELNS1_3gpuE2ELNS1_3repE0EEENS1_30default_config_static_selectorELNS0_4arch9wavefront6targetE1EEEvS12_.has_dyn_sized_stack, 0
	.set _ZN7rocprim17ROCPRIM_400000_NS6detail17trampoline_kernelINS0_13select_configILj256ELj13ELNS0_17block_load_methodE3ELS4_3ELS4_3ELNS0_20block_scan_algorithmE0ELj4294967295EEENS1_25partition_config_selectorILNS1_17partition_subalgoE4EjNS0_10empty_typeEbEEZZNS1_14partition_implILS8_4ELb0ES6_15HIP_vector_typeIjLj2EENS0_17counting_iteratorIjlEEPS9_SG_NS0_5tupleIJPjSI_NS0_16reverse_iteratorISI_EEEEENSH_IJSG_SG_SG_EEES9_SI_JZNS1_25segmented_radix_sort_implINS0_14default_configELb0EPKsPsPKlPlN2at6native12_GLOBAL__N_18offset_tEEE10hipError_tPvRmT1_PNSt15iterator_traitsIS12_E10value_typeET2_T3_PNS13_IS18_E10value_typeET4_jRbjT5_S1E_jjP12ihipStream_tbEUljE_ZNSN_ISO_Lb0ESQ_SR_ST_SU_SY_EESZ_S10_S11_S12_S16_S17_S18_S1B_S1C_jS1D_jS1E_S1E_jjS1G_bEUljE0_EEESZ_S10_S11_S18_S1C_S1E_T6_T7_T9_mT8_S1G_bDpT10_ENKUlT_T0_E_clISt17integral_constantIbLb1EES1T_IbLb0EEEEDaS1P_S1Q_EUlS1P_E_NS1_11comp_targetILNS1_3genE8ELNS1_11target_archE1030ELNS1_3gpuE2ELNS1_3repE0EEENS1_30default_config_static_selectorELNS0_4arch9wavefront6targetE1EEEvS12_.has_recursion, 0
	.set _ZN7rocprim17ROCPRIM_400000_NS6detail17trampoline_kernelINS0_13select_configILj256ELj13ELNS0_17block_load_methodE3ELS4_3ELS4_3ELNS0_20block_scan_algorithmE0ELj4294967295EEENS1_25partition_config_selectorILNS1_17partition_subalgoE4EjNS0_10empty_typeEbEEZZNS1_14partition_implILS8_4ELb0ES6_15HIP_vector_typeIjLj2EENS0_17counting_iteratorIjlEEPS9_SG_NS0_5tupleIJPjSI_NS0_16reverse_iteratorISI_EEEEENSH_IJSG_SG_SG_EEES9_SI_JZNS1_25segmented_radix_sort_implINS0_14default_configELb0EPKsPsPKlPlN2at6native12_GLOBAL__N_18offset_tEEE10hipError_tPvRmT1_PNSt15iterator_traitsIS12_E10value_typeET2_T3_PNS13_IS18_E10value_typeET4_jRbjT5_S1E_jjP12ihipStream_tbEUljE_ZNSN_ISO_Lb0ESQ_SR_ST_SU_SY_EESZ_S10_S11_S12_S16_S17_S18_S1B_S1C_jS1D_jS1E_S1E_jjS1G_bEUljE0_EEESZ_S10_S11_S18_S1C_S1E_T6_T7_T9_mT8_S1G_bDpT10_ENKUlT_T0_E_clISt17integral_constantIbLb1EES1T_IbLb0EEEEDaS1P_S1Q_EUlS1P_E_NS1_11comp_targetILNS1_3genE8ELNS1_11target_archE1030ELNS1_3gpuE2ELNS1_3repE0EEENS1_30default_config_static_selectorELNS0_4arch9wavefront6targetE1EEEvS12_.has_indirect_call, 0
	.section	.AMDGPU.csdata,"",@progbits
; Kernel info:
; codeLenInByte = 0
; TotalNumSgprs: 4
; NumVgprs: 0
; ScratchSize: 0
; MemoryBound: 0
; FloatMode: 240
; IeeeMode: 1
; LDSByteSize: 0 bytes/workgroup (compile time only)
; SGPRBlocks: 0
; VGPRBlocks: 0
; NumSGPRsForWavesPerEU: 4
; NumVGPRsForWavesPerEU: 1
; Occupancy: 10
; WaveLimiterHint : 0
; COMPUTE_PGM_RSRC2:SCRATCH_EN: 0
; COMPUTE_PGM_RSRC2:USER_SGPR: 6
; COMPUTE_PGM_RSRC2:TRAP_HANDLER: 0
; COMPUTE_PGM_RSRC2:TGID_X_EN: 1
; COMPUTE_PGM_RSRC2:TGID_Y_EN: 0
; COMPUTE_PGM_RSRC2:TGID_Z_EN: 0
; COMPUTE_PGM_RSRC2:TIDIG_COMP_CNT: 0
	.section	.text._ZN7rocprim17ROCPRIM_400000_NS6detail17trampoline_kernelINS0_13select_configILj256ELj13ELNS0_17block_load_methodE3ELS4_3ELS4_3ELNS0_20block_scan_algorithmE0ELj4294967295EEENS1_25partition_config_selectorILNS1_17partition_subalgoE4EjNS0_10empty_typeEbEEZZNS1_14partition_implILS8_4ELb0ES6_15HIP_vector_typeIjLj2EENS0_17counting_iteratorIjlEEPS9_SG_NS0_5tupleIJPjSI_NS0_16reverse_iteratorISI_EEEEENSH_IJSG_SG_SG_EEES9_SI_JZNS1_25segmented_radix_sort_implINS0_14default_configELb0EPKsPsPKlPlN2at6native12_GLOBAL__N_18offset_tEEE10hipError_tPvRmT1_PNSt15iterator_traitsIS12_E10value_typeET2_T3_PNS13_IS18_E10value_typeET4_jRbjT5_S1E_jjP12ihipStream_tbEUljE_ZNSN_ISO_Lb0ESQ_SR_ST_SU_SY_EESZ_S10_S11_S12_S16_S17_S18_S1B_S1C_jS1D_jS1E_S1E_jjS1G_bEUljE0_EEESZ_S10_S11_S18_S1C_S1E_T6_T7_T9_mT8_S1G_bDpT10_ENKUlT_T0_E_clISt17integral_constantIbLb0EES1T_IbLb1EEEEDaS1P_S1Q_EUlS1P_E_NS1_11comp_targetILNS1_3genE0ELNS1_11target_archE4294967295ELNS1_3gpuE0ELNS1_3repE0EEENS1_30default_config_static_selectorELNS0_4arch9wavefront6targetE1EEEvS12_,"axG",@progbits,_ZN7rocprim17ROCPRIM_400000_NS6detail17trampoline_kernelINS0_13select_configILj256ELj13ELNS0_17block_load_methodE3ELS4_3ELS4_3ELNS0_20block_scan_algorithmE0ELj4294967295EEENS1_25partition_config_selectorILNS1_17partition_subalgoE4EjNS0_10empty_typeEbEEZZNS1_14partition_implILS8_4ELb0ES6_15HIP_vector_typeIjLj2EENS0_17counting_iteratorIjlEEPS9_SG_NS0_5tupleIJPjSI_NS0_16reverse_iteratorISI_EEEEENSH_IJSG_SG_SG_EEES9_SI_JZNS1_25segmented_radix_sort_implINS0_14default_configELb0EPKsPsPKlPlN2at6native12_GLOBAL__N_18offset_tEEE10hipError_tPvRmT1_PNSt15iterator_traitsIS12_E10value_typeET2_T3_PNS13_IS18_E10value_typeET4_jRbjT5_S1E_jjP12ihipStream_tbEUljE_ZNSN_ISO_Lb0ESQ_SR_ST_SU_SY_EESZ_S10_S11_S12_S16_S17_S18_S1B_S1C_jS1D_jS1E_S1E_jjS1G_bEUljE0_EEESZ_S10_S11_S18_S1C_S1E_T6_T7_T9_mT8_S1G_bDpT10_ENKUlT_T0_E_clISt17integral_constantIbLb0EES1T_IbLb1EEEEDaS1P_S1Q_EUlS1P_E_NS1_11comp_targetILNS1_3genE0ELNS1_11target_archE4294967295ELNS1_3gpuE0ELNS1_3repE0EEENS1_30default_config_static_selectorELNS0_4arch9wavefront6targetE1EEEvS12_,comdat
	.globl	_ZN7rocprim17ROCPRIM_400000_NS6detail17trampoline_kernelINS0_13select_configILj256ELj13ELNS0_17block_load_methodE3ELS4_3ELS4_3ELNS0_20block_scan_algorithmE0ELj4294967295EEENS1_25partition_config_selectorILNS1_17partition_subalgoE4EjNS0_10empty_typeEbEEZZNS1_14partition_implILS8_4ELb0ES6_15HIP_vector_typeIjLj2EENS0_17counting_iteratorIjlEEPS9_SG_NS0_5tupleIJPjSI_NS0_16reverse_iteratorISI_EEEEENSH_IJSG_SG_SG_EEES9_SI_JZNS1_25segmented_radix_sort_implINS0_14default_configELb0EPKsPsPKlPlN2at6native12_GLOBAL__N_18offset_tEEE10hipError_tPvRmT1_PNSt15iterator_traitsIS12_E10value_typeET2_T3_PNS13_IS18_E10value_typeET4_jRbjT5_S1E_jjP12ihipStream_tbEUljE_ZNSN_ISO_Lb0ESQ_SR_ST_SU_SY_EESZ_S10_S11_S12_S16_S17_S18_S1B_S1C_jS1D_jS1E_S1E_jjS1G_bEUljE0_EEESZ_S10_S11_S18_S1C_S1E_T6_T7_T9_mT8_S1G_bDpT10_ENKUlT_T0_E_clISt17integral_constantIbLb0EES1T_IbLb1EEEEDaS1P_S1Q_EUlS1P_E_NS1_11comp_targetILNS1_3genE0ELNS1_11target_archE4294967295ELNS1_3gpuE0ELNS1_3repE0EEENS1_30default_config_static_selectorELNS0_4arch9wavefront6targetE1EEEvS12_ ; -- Begin function _ZN7rocprim17ROCPRIM_400000_NS6detail17trampoline_kernelINS0_13select_configILj256ELj13ELNS0_17block_load_methodE3ELS4_3ELS4_3ELNS0_20block_scan_algorithmE0ELj4294967295EEENS1_25partition_config_selectorILNS1_17partition_subalgoE4EjNS0_10empty_typeEbEEZZNS1_14partition_implILS8_4ELb0ES6_15HIP_vector_typeIjLj2EENS0_17counting_iteratorIjlEEPS9_SG_NS0_5tupleIJPjSI_NS0_16reverse_iteratorISI_EEEEENSH_IJSG_SG_SG_EEES9_SI_JZNS1_25segmented_radix_sort_implINS0_14default_configELb0EPKsPsPKlPlN2at6native12_GLOBAL__N_18offset_tEEE10hipError_tPvRmT1_PNSt15iterator_traitsIS12_E10value_typeET2_T3_PNS13_IS18_E10value_typeET4_jRbjT5_S1E_jjP12ihipStream_tbEUljE_ZNSN_ISO_Lb0ESQ_SR_ST_SU_SY_EESZ_S10_S11_S12_S16_S17_S18_S1B_S1C_jS1D_jS1E_S1E_jjS1G_bEUljE0_EEESZ_S10_S11_S18_S1C_S1E_T6_T7_T9_mT8_S1G_bDpT10_ENKUlT_T0_E_clISt17integral_constantIbLb0EES1T_IbLb1EEEEDaS1P_S1Q_EUlS1P_E_NS1_11comp_targetILNS1_3genE0ELNS1_11target_archE4294967295ELNS1_3gpuE0ELNS1_3repE0EEENS1_30default_config_static_selectorELNS0_4arch9wavefront6targetE1EEEvS12_
	.p2align	8
	.type	_ZN7rocprim17ROCPRIM_400000_NS6detail17trampoline_kernelINS0_13select_configILj256ELj13ELNS0_17block_load_methodE3ELS4_3ELS4_3ELNS0_20block_scan_algorithmE0ELj4294967295EEENS1_25partition_config_selectorILNS1_17partition_subalgoE4EjNS0_10empty_typeEbEEZZNS1_14partition_implILS8_4ELb0ES6_15HIP_vector_typeIjLj2EENS0_17counting_iteratorIjlEEPS9_SG_NS0_5tupleIJPjSI_NS0_16reverse_iteratorISI_EEEEENSH_IJSG_SG_SG_EEES9_SI_JZNS1_25segmented_radix_sort_implINS0_14default_configELb0EPKsPsPKlPlN2at6native12_GLOBAL__N_18offset_tEEE10hipError_tPvRmT1_PNSt15iterator_traitsIS12_E10value_typeET2_T3_PNS13_IS18_E10value_typeET4_jRbjT5_S1E_jjP12ihipStream_tbEUljE_ZNSN_ISO_Lb0ESQ_SR_ST_SU_SY_EESZ_S10_S11_S12_S16_S17_S18_S1B_S1C_jS1D_jS1E_S1E_jjS1G_bEUljE0_EEESZ_S10_S11_S18_S1C_S1E_T6_T7_T9_mT8_S1G_bDpT10_ENKUlT_T0_E_clISt17integral_constantIbLb0EES1T_IbLb1EEEEDaS1P_S1Q_EUlS1P_E_NS1_11comp_targetILNS1_3genE0ELNS1_11target_archE4294967295ELNS1_3gpuE0ELNS1_3repE0EEENS1_30default_config_static_selectorELNS0_4arch9wavefront6targetE1EEEvS12_,@function
_ZN7rocprim17ROCPRIM_400000_NS6detail17trampoline_kernelINS0_13select_configILj256ELj13ELNS0_17block_load_methodE3ELS4_3ELS4_3ELNS0_20block_scan_algorithmE0ELj4294967295EEENS1_25partition_config_selectorILNS1_17partition_subalgoE4EjNS0_10empty_typeEbEEZZNS1_14partition_implILS8_4ELb0ES6_15HIP_vector_typeIjLj2EENS0_17counting_iteratorIjlEEPS9_SG_NS0_5tupleIJPjSI_NS0_16reverse_iteratorISI_EEEEENSH_IJSG_SG_SG_EEES9_SI_JZNS1_25segmented_radix_sort_implINS0_14default_configELb0EPKsPsPKlPlN2at6native12_GLOBAL__N_18offset_tEEE10hipError_tPvRmT1_PNSt15iterator_traitsIS12_E10value_typeET2_T3_PNS13_IS18_E10value_typeET4_jRbjT5_S1E_jjP12ihipStream_tbEUljE_ZNSN_ISO_Lb0ESQ_SR_ST_SU_SY_EESZ_S10_S11_S12_S16_S17_S18_S1B_S1C_jS1D_jS1E_S1E_jjS1G_bEUljE0_EEESZ_S10_S11_S18_S1C_S1E_T6_T7_T9_mT8_S1G_bDpT10_ENKUlT_T0_E_clISt17integral_constantIbLb0EES1T_IbLb1EEEEDaS1P_S1Q_EUlS1P_E_NS1_11comp_targetILNS1_3genE0ELNS1_11target_archE4294967295ELNS1_3gpuE0ELNS1_3repE0EEENS1_30default_config_static_selectorELNS0_4arch9wavefront6targetE1EEEvS12_: ; @_ZN7rocprim17ROCPRIM_400000_NS6detail17trampoline_kernelINS0_13select_configILj256ELj13ELNS0_17block_load_methodE3ELS4_3ELS4_3ELNS0_20block_scan_algorithmE0ELj4294967295EEENS1_25partition_config_selectorILNS1_17partition_subalgoE4EjNS0_10empty_typeEbEEZZNS1_14partition_implILS8_4ELb0ES6_15HIP_vector_typeIjLj2EENS0_17counting_iteratorIjlEEPS9_SG_NS0_5tupleIJPjSI_NS0_16reverse_iteratorISI_EEEEENSH_IJSG_SG_SG_EEES9_SI_JZNS1_25segmented_radix_sort_implINS0_14default_configELb0EPKsPsPKlPlN2at6native12_GLOBAL__N_18offset_tEEE10hipError_tPvRmT1_PNSt15iterator_traitsIS12_E10value_typeET2_T3_PNS13_IS18_E10value_typeET4_jRbjT5_S1E_jjP12ihipStream_tbEUljE_ZNSN_ISO_Lb0ESQ_SR_ST_SU_SY_EESZ_S10_S11_S12_S16_S17_S18_S1B_S1C_jS1D_jS1E_S1E_jjS1G_bEUljE0_EEESZ_S10_S11_S18_S1C_S1E_T6_T7_T9_mT8_S1G_bDpT10_ENKUlT_T0_E_clISt17integral_constantIbLb0EES1T_IbLb1EEEEDaS1P_S1Q_EUlS1P_E_NS1_11comp_targetILNS1_3genE0ELNS1_11target_archE4294967295ELNS1_3gpuE0ELNS1_3repE0EEENS1_30default_config_static_selectorELNS0_4arch9wavefront6targetE1EEEvS12_
; %bb.0:
	.section	.rodata,"a",@progbits
	.p2align	6, 0x0
	.amdhsa_kernel _ZN7rocprim17ROCPRIM_400000_NS6detail17trampoline_kernelINS0_13select_configILj256ELj13ELNS0_17block_load_methodE3ELS4_3ELS4_3ELNS0_20block_scan_algorithmE0ELj4294967295EEENS1_25partition_config_selectorILNS1_17partition_subalgoE4EjNS0_10empty_typeEbEEZZNS1_14partition_implILS8_4ELb0ES6_15HIP_vector_typeIjLj2EENS0_17counting_iteratorIjlEEPS9_SG_NS0_5tupleIJPjSI_NS0_16reverse_iteratorISI_EEEEENSH_IJSG_SG_SG_EEES9_SI_JZNS1_25segmented_radix_sort_implINS0_14default_configELb0EPKsPsPKlPlN2at6native12_GLOBAL__N_18offset_tEEE10hipError_tPvRmT1_PNSt15iterator_traitsIS12_E10value_typeET2_T3_PNS13_IS18_E10value_typeET4_jRbjT5_S1E_jjP12ihipStream_tbEUljE_ZNSN_ISO_Lb0ESQ_SR_ST_SU_SY_EESZ_S10_S11_S12_S16_S17_S18_S1B_S1C_jS1D_jS1E_S1E_jjS1G_bEUljE0_EEESZ_S10_S11_S18_S1C_S1E_T6_T7_T9_mT8_S1G_bDpT10_ENKUlT_T0_E_clISt17integral_constantIbLb0EES1T_IbLb1EEEEDaS1P_S1Q_EUlS1P_E_NS1_11comp_targetILNS1_3genE0ELNS1_11target_archE4294967295ELNS1_3gpuE0ELNS1_3repE0EEENS1_30default_config_static_selectorELNS0_4arch9wavefront6targetE1EEEvS12_
		.amdhsa_group_segment_fixed_size 0
		.amdhsa_private_segment_fixed_size 0
		.amdhsa_kernarg_size 184
		.amdhsa_user_sgpr_count 6
		.amdhsa_user_sgpr_private_segment_buffer 1
		.amdhsa_user_sgpr_dispatch_ptr 0
		.amdhsa_user_sgpr_queue_ptr 0
		.amdhsa_user_sgpr_kernarg_segment_ptr 1
		.amdhsa_user_sgpr_dispatch_id 0
		.amdhsa_user_sgpr_flat_scratch_init 0
		.amdhsa_user_sgpr_private_segment_size 0
		.amdhsa_uses_dynamic_stack 0
		.amdhsa_system_sgpr_private_segment_wavefront_offset 0
		.amdhsa_system_sgpr_workgroup_id_x 1
		.amdhsa_system_sgpr_workgroup_id_y 0
		.amdhsa_system_sgpr_workgroup_id_z 0
		.amdhsa_system_sgpr_workgroup_info 0
		.amdhsa_system_vgpr_workitem_id 0
		.amdhsa_next_free_vgpr 1
		.amdhsa_next_free_sgpr 0
		.amdhsa_reserve_vcc 0
		.amdhsa_reserve_flat_scratch 0
		.amdhsa_float_round_mode_32 0
		.amdhsa_float_round_mode_16_64 0
		.amdhsa_float_denorm_mode_32 3
		.amdhsa_float_denorm_mode_16_64 3
		.amdhsa_dx10_clamp 1
		.amdhsa_ieee_mode 1
		.amdhsa_fp16_overflow 0
		.amdhsa_exception_fp_ieee_invalid_op 0
		.amdhsa_exception_fp_denorm_src 0
		.amdhsa_exception_fp_ieee_div_zero 0
		.amdhsa_exception_fp_ieee_overflow 0
		.amdhsa_exception_fp_ieee_underflow 0
		.amdhsa_exception_fp_ieee_inexact 0
		.amdhsa_exception_int_div_zero 0
	.end_amdhsa_kernel
	.section	.text._ZN7rocprim17ROCPRIM_400000_NS6detail17trampoline_kernelINS0_13select_configILj256ELj13ELNS0_17block_load_methodE3ELS4_3ELS4_3ELNS0_20block_scan_algorithmE0ELj4294967295EEENS1_25partition_config_selectorILNS1_17partition_subalgoE4EjNS0_10empty_typeEbEEZZNS1_14partition_implILS8_4ELb0ES6_15HIP_vector_typeIjLj2EENS0_17counting_iteratorIjlEEPS9_SG_NS0_5tupleIJPjSI_NS0_16reverse_iteratorISI_EEEEENSH_IJSG_SG_SG_EEES9_SI_JZNS1_25segmented_radix_sort_implINS0_14default_configELb0EPKsPsPKlPlN2at6native12_GLOBAL__N_18offset_tEEE10hipError_tPvRmT1_PNSt15iterator_traitsIS12_E10value_typeET2_T3_PNS13_IS18_E10value_typeET4_jRbjT5_S1E_jjP12ihipStream_tbEUljE_ZNSN_ISO_Lb0ESQ_SR_ST_SU_SY_EESZ_S10_S11_S12_S16_S17_S18_S1B_S1C_jS1D_jS1E_S1E_jjS1G_bEUljE0_EEESZ_S10_S11_S18_S1C_S1E_T6_T7_T9_mT8_S1G_bDpT10_ENKUlT_T0_E_clISt17integral_constantIbLb0EES1T_IbLb1EEEEDaS1P_S1Q_EUlS1P_E_NS1_11comp_targetILNS1_3genE0ELNS1_11target_archE4294967295ELNS1_3gpuE0ELNS1_3repE0EEENS1_30default_config_static_selectorELNS0_4arch9wavefront6targetE1EEEvS12_,"axG",@progbits,_ZN7rocprim17ROCPRIM_400000_NS6detail17trampoline_kernelINS0_13select_configILj256ELj13ELNS0_17block_load_methodE3ELS4_3ELS4_3ELNS0_20block_scan_algorithmE0ELj4294967295EEENS1_25partition_config_selectorILNS1_17partition_subalgoE4EjNS0_10empty_typeEbEEZZNS1_14partition_implILS8_4ELb0ES6_15HIP_vector_typeIjLj2EENS0_17counting_iteratorIjlEEPS9_SG_NS0_5tupleIJPjSI_NS0_16reverse_iteratorISI_EEEEENSH_IJSG_SG_SG_EEES9_SI_JZNS1_25segmented_radix_sort_implINS0_14default_configELb0EPKsPsPKlPlN2at6native12_GLOBAL__N_18offset_tEEE10hipError_tPvRmT1_PNSt15iterator_traitsIS12_E10value_typeET2_T3_PNS13_IS18_E10value_typeET4_jRbjT5_S1E_jjP12ihipStream_tbEUljE_ZNSN_ISO_Lb0ESQ_SR_ST_SU_SY_EESZ_S10_S11_S12_S16_S17_S18_S1B_S1C_jS1D_jS1E_S1E_jjS1G_bEUljE0_EEESZ_S10_S11_S18_S1C_S1E_T6_T7_T9_mT8_S1G_bDpT10_ENKUlT_T0_E_clISt17integral_constantIbLb0EES1T_IbLb1EEEEDaS1P_S1Q_EUlS1P_E_NS1_11comp_targetILNS1_3genE0ELNS1_11target_archE4294967295ELNS1_3gpuE0ELNS1_3repE0EEENS1_30default_config_static_selectorELNS0_4arch9wavefront6targetE1EEEvS12_,comdat
.Lfunc_end974:
	.size	_ZN7rocprim17ROCPRIM_400000_NS6detail17trampoline_kernelINS0_13select_configILj256ELj13ELNS0_17block_load_methodE3ELS4_3ELS4_3ELNS0_20block_scan_algorithmE0ELj4294967295EEENS1_25partition_config_selectorILNS1_17partition_subalgoE4EjNS0_10empty_typeEbEEZZNS1_14partition_implILS8_4ELb0ES6_15HIP_vector_typeIjLj2EENS0_17counting_iteratorIjlEEPS9_SG_NS0_5tupleIJPjSI_NS0_16reverse_iteratorISI_EEEEENSH_IJSG_SG_SG_EEES9_SI_JZNS1_25segmented_radix_sort_implINS0_14default_configELb0EPKsPsPKlPlN2at6native12_GLOBAL__N_18offset_tEEE10hipError_tPvRmT1_PNSt15iterator_traitsIS12_E10value_typeET2_T3_PNS13_IS18_E10value_typeET4_jRbjT5_S1E_jjP12ihipStream_tbEUljE_ZNSN_ISO_Lb0ESQ_SR_ST_SU_SY_EESZ_S10_S11_S12_S16_S17_S18_S1B_S1C_jS1D_jS1E_S1E_jjS1G_bEUljE0_EEESZ_S10_S11_S18_S1C_S1E_T6_T7_T9_mT8_S1G_bDpT10_ENKUlT_T0_E_clISt17integral_constantIbLb0EES1T_IbLb1EEEEDaS1P_S1Q_EUlS1P_E_NS1_11comp_targetILNS1_3genE0ELNS1_11target_archE4294967295ELNS1_3gpuE0ELNS1_3repE0EEENS1_30default_config_static_selectorELNS0_4arch9wavefront6targetE1EEEvS12_, .Lfunc_end974-_ZN7rocprim17ROCPRIM_400000_NS6detail17trampoline_kernelINS0_13select_configILj256ELj13ELNS0_17block_load_methodE3ELS4_3ELS4_3ELNS0_20block_scan_algorithmE0ELj4294967295EEENS1_25partition_config_selectorILNS1_17partition_subalgoE4EjNS0_10empty_typeEbEEZZNS1_14partition_implILS8_4ELb0ES6_15HIP_vector_typeIjLj2EENS0_17counting_iteratorIjlEEPS9_SG_NS0_5tupleIJPjSI_NS0_16reverse_iteratorISI_EEEEENSH_IJSG_SG_SG_EEES9_SI_JZNS1_25segmented_radix_sort_implINS0_14default_configELb0EPKsPsPKlPlN2at6native12_GLOBAL__N_18offset_tEEE10hipError_tPvRmT1_PNSt15iterator_traitsIS12_E10value_typeET2_T3_PNS13_IS18_E10value_typeET4_jRbjT5_S1E_jjP12ihipStream_tbEUljE_ZNSN_ISO_Lb0ESQ_SR_ST_SU_SY_EESZ_S10_S11_S12_S16_S17_S18_S1B_S1C_jS1D_jS1E_S1E_jjS1G_bEUljE0_EEESZ_S10_S11_S18_S1C_S1E_T6_T7_T9_mT8_S1G_bDpT10_ENKUlT_T0_E_clISt17integral_constantIbLb0EES1T_IbLb1EEEEDaS1P_S1Q_EUlS1P_E_NS1_11comp_targetILNS1_3genE0ELNS1_11target_archE4294967295ELNS1_3gpuE0ELNS1_3repE0EEENS1_30default_config_static_selectorELNS0_4arch9wavefront6targetE1EEEvS12_
                                        ; -- End function
	.set _ZN7rocprim17ROCPRIM_400000_NS6detail17trampoline_kernelINS0_13select_configILj256ELj13ELNS0_17block_load_methodE3ELS4_3ELS4_3ELNS0_20block_scan_algorithmE0ELj4294967295EEENS1_25partition_config_selectorILNS1_17partition_subalgoE4EjNS0_10empty_typeEbEEZZNS1_14partition_implILS8_4ELb0ES6_15HIP_vector_typeIjLj2EENS0_17counting_iteratorIjlEEPS9_SG_NS0_5tupleIJPjSI_NS0_16reverse_iteratorISI_EEEEENSH_IJSG_SG_SG_EEES9_SI_JZNS1_25segmented_radix_sort_implINS0_14default_configELb0EPKsPsPKlPlN2at6native12_GLOBAL__N_18offset_tEEE10hipError_tPvRmT1_PNSt15iterator_traitsIS12_E10value_typeET2_T3_PNS13_IS18_E10value_typeET4_jRbjT5_S1E_jjP12ihipStream_tbEUljE_ZNSN_ISO_Lb0ESQ_SR_ST_SU_SY_EESZ_S10_S11_S12_S16_S17_S18_S1B_S1C_jS1D_jS1E_S1E_jjS1G_bEUljE0_EEESZ_S10_S11_S18_S1C_S1E_T6_T7_T9_mT8_S1G_bDpT10_ENKUlT_T0_E_clISt17integral_constantIbLb0EES1T_IbLb1EEEEDaS1P_S1Q_EUlS1P_E_NS1_11comp_targetILNS1_3genE0ELNS1_11target_archE4294967295ELNS1_3gpuE0ELNS1_3repE0EEENS1_30default_config_static_selectorELNS0_4arch9wavefront6targetE1EEEvS12_.num_vgpr, 0
	.set _ZN7rocprim17ROCPRIM_400000_NS6detail17trampoline_kernelINS0_13select_configILj256ELj13ELNS0_17block_load_methodE3ELS4_3ELS4_3ELNS0_20block_scan_algorithmE0ELj4294967295EEENS1_25partition_config_selectorILNS1_17partition_subalgoE4EjNS0_10empty_typeEbEEZZNS1_14partition_implILS8_4ELb0ES6_15HIP_vector_typeIjLj2EENS0_17counting_iteratorIjlEEPS9_SG_NS0_5tupleIJPjSI_NS0_16reverse_iteratorISI_EEEEENSH_IJSG_SG_SG_EEES9_SI_JZNS1_25segmented_radix_sort_implINS0_14default_configELb0EPKsPsPKlPlN2at6native12_GLOBAL__N_18offset_tEEE10hipError_tPvRmT1_PNSt15iterator_traitsIS12_E10value_typeET2_T3_PNS13_IS18_E10value_typeET4_jRbjT5_S1E_jjP12ihipStream_tbEUljE_ZNSN_ISO_Lb0ESQ_SR_ST_SU_SY_EESZ_S10_S11_S12_S16_S17_S18_S1B_S1C_jS1D_jS1E_S1E_jjS1G_bEUljE0_EEESZ_S10_S11_S18_S1C_S1E_T6_T7_T9_mT8_S1G_bDpT10_ENKUlT_T0_E_clISt17integral_constantIbLb0EES1T_IbLb1EEEEDaS1P_S1Q_EUlS1P_E_NS1_11comp_targetILNS1_3genE0ELNS1_11target_archE4294967295ELNS1_3gpuE0ELNS1_3repE0EEENS1_30default_config_static_selectorELNS0_4arch9wavefront6targetE1EEEvS12_.num_agpr, 0
	.set _ZN7rocprim17ROCPRIM_400000_NS6detail17trampoline_kernelINS0_13select_configILj256ELj13ELNS0_17block_load_methodE3ELS4_3ELS4_3ELNS0_20block_scan_algorithmE0ELj4294967295EEENS1_25partition_config_selectorILNS1_17partition_subalgoE4EjNS0_10empty_typeEbEEZZNS1_14partition_implILS8_4ELb0ES6_15HIP_vector_typeIjLj2EENS0_17counting_iteratorIjlEEPS9_SG_NS0_5tupleIJPjSI_NS0_16reverse_iteratorISI_EEEEENSH_IJSG_SG_SG_EEES9_SI_JZNS1_25segmented_radix_sort_implINS0_14default_configELb0EPKsPsPKlPlN2at6native12_GLOBAL__N_18offset_tEEE10hipError_tPvRmT1_PNSt15iterator_traitsIS12_E10value_typeET2_T3_PNS13_IS18_E10value_typeET4_jRbjT5_S1E_jjP12ihipStream_tbEUljE_ZNSN_ISO_Lb0ESQ_SR_ST_SU_SY_EESZ_S10_S11_S12_S16_S17_S18_S1B_S1C_jS1D_jS1E_S1E_jjS1G_bEUljE0_EEESZ_S10_S11_S18_S1C_S1E_T6_T7_T9_mT8_S1G_bDpT10_ENKUlT_T0_E_clISt17integral_constantIbLb0EES1T_IbLb1EEEEDaS1P_S1Q_EUlS1P_E_NS1_11comp_targetILNS1_3genE0ELNS1_11target_archE4294967295ELNS1_3gpuE0ELNS1_3repE0EEENS1_30default_config_static_selectorELNS0_4arch9wavefront6targetE1EEEvS12_.numbered_sgpr, 0
	.set _ZN7rocprim17ROCPRIM_400000_NS6detail17trampoline_kernelINS0_13select_configILj256ELj13ELNS0_17block_load_methodE3ELS4_3ELS4_3ELNS0_20block_scan_algorithmE0ELj4294967295EEENS1_25partition_config_selectorILNS1_17partition_subalgoE4EjNS0_10empty_typeEbEEZZNS1_14partition_implILS8_4ELb0ES6_15HIP_vector_typeIjLj2EENS0_17counting_iteratorIjlEEPS9_SG_NS0_5tupleIJPjSI_NS0_16reverse_iteratorISI_EEEEENSH_IJSG_SG_SG_EEES9_SI_JZNS1_25segmented_radix_sort_implINS0_14default_configELb0EPKsPsPKlPlN2at6native12_GLOBAL__N_18offset_tEEE10hipError_tPvRmT1_PNSt15iterator_traitsIS12_E10value_typeET2_T3_PNS13_IS18_E10value_typeET4_jRbjT5_S1E_jjP12ihipStream_tbEUljE_ZNSN_ISO_Lb0ESQ_SR_ST_SU_SY_EESZ_S10_S11_S12_S16_S17_S18_S1B_S1C_jS1D_jS1E_S1E_jjS1G_bEUljE0_EEESZ_S10_S11_S18_S1C_S1E_T6_T7_T9_mT8_S1G_bDpT10_ENKUlT_T0_E_clISt17integral_constantIbLb0EES1T_IbLb1EEEEDaS1P_S1Q_EUlS1P_E_NS1_11comp_targetILNS1_3genE0ELNS1_11target_archE4294967295ELNS1_3gpuE0ELNS1_3repE0EEENS1_30default_config_static_selectorELNS0_4arch9wavefront6targetE1EEEvS12_.num_named_barrier, 0
	.set _ZN7rocprim17ROCPRIM_400000_NS6detail17trampoline_kernelINS0_13select_configILj256ELj13ELNS0_17block_load_methodE3ELS4_3ELS4_3ELNS0_20block_scan_algorithmE0ELj4294967295EEENS1_25partition_config_selectorILNS1_17partition_subalgoE4EjNS0_10empty_typeEbEEZZNS1_14partition_implILS8_4ELb0ES6_15HIP_vector_typeIjLj2EENS0_17counting_iteratorIjlEEPS9_SG_NS0_5tupleIJPjSI_NS0_16reverse_iteratorISI_EEEEENSH_IJSG_SG_SG_EEES9_SI_JZNS1_25segmented_radix_sort_implINS0_14default_configELb0EPKsPsPKlPlN2at6native12_GLOBAL__N_18offset_tEEE10hipError_tPvRmT1_PNSt15iterator_traitsIS12_E10value_typeET2_T3_PNS13_IS18_E10value_typeET4_jRbjT5_S1E_jjP12ihipStream_tbEUljE_ZNSN_ISO_Lb0ESQ_SR_ST_SU_SY_EESZ_S10_S11_S12_S16_S17_S18_S1B_S1C_jS1D_jS1E_S1E_jjS1G_bEUljE0_EEESZ_S10_S11_S18_S1C_S1E_T6_T7_T9_mT8_S1G_bDpT10_ENKUlT_T0_E_clISt17integral_constantIbLb0EES1T_IbLb1EEEEDaS1P_S1Q_EUlS1P_E_NS1_11comp_targetILNS1_3genE0ELNS1_11target_archE4294967295ELNS1_3gpuE0ELNS1_3repE0EEENS1_30default_config_static_selectorELNS0_4arch9wavefront6targetE1EEEvS12_.private_seg_size, 0
	.set _ZN7rocprim17ROCPRIM_400000_NS6detail17trampoline_kernelINS0_13select_configILj256ELj13ELNS0_17block_load_methodE3ELS4_3ELS4_3ELNS0_20block_scan_algorithmE0ELj4294967295EEENS1_25partition_config_selectorILNS1_17partition_subalgoE4EjNS0_10empty_typeEbEEZZNS1_14partition_implILS8_4ELb0ES6_15HIP_vector_typeIjLj2EENS0_17counting_iteratorIjlEEPS9_SG_NS0_5tupleIJPjSI_NS0_16reverse_iteratorISI_EEEEENSH_IJSG_SG_SG_EEES9_SI_JZNS1_25segmented_radix_sort_implINS0_14default_configELb0EPKsPsPKlPlN2at6native12_GLOBAL__N_18offset_tEEE10hipError_tPvRmT1_PNSt15iterator_traitsIS12_E10value_typeET2_T3_PNS13_IS18_E10value_typeET4_jRbjT5_S1E_jjP12ihipStream_tbEUljE_ZNSN_ISO_Lb0ESQ_SR_ST_SU_SY_EESZ_S10_S11_S12_S16_S17_S18_S1B_S1C_jS1D_jS1E_S1E_jjS1G_bEUljE0_EEESZ_S10_S11_S18_S1C_S1E_T6_T7_T9_mT8_S1G_bDpT10_ENKUlT_T0_E_clISt17integral_constantIbLb0EES1T_IbLb1EEEEDaS1P_S1Q_EUlS1P_E_NS1_11comp_targetILNS1_3genE0ELNS1_11target_archE4294967295ELNS1_3gpuE0ELNS1_3repE0EEENS1_30default_config_static_selectorELNS0_4arch9wavefront6targetE1EEEvS12_.uses_vcc, 0
	.set _ZN7rocprim17ROCPRIM_400000_NS6detail17trampoline_kernelINS0_13select_configILj256ELj13ELNS0_17block_load_methodE3ELS4_3ELS4_3ELNS0_20block_scan_algorithmE0ELj4294967295EEENS1_25partition_config_selectorILNS1_17partition_subalgoE4EjNS0_10empty_typeEbEEZZNS1_14partition_implILS8_4ELb0ES6_15HIP_vector_typeIjLj2EENS0_17counting_iteratorIjlEEPS9_SG_NS0_5tupleIJPjSI_NS0_16reverse_iteratorISI_EEEEENSH_IJSG_SG_SG_EEES9_SI_JZNS1_25segmented_radix_sort_implINS0_14default_configELb0EPKsPsPKlPlN2at6native12_GLOBAL__N_18offset_tEEE10hipError_tPvRmT1_PNSt15iterator_traitsIS12_E10value_typeET2_T3_PNS13_IS18_E10value_typeET4_jRbjT5_S1E_jjP12ihipStream_tbEUljE_ZNSN_ISO_Lb0ESQ_SR_ST_SU_SY_EESZ_S10_S11_S12_S16_S17_S18_S1B_S1C_jS1D_jS1E_S1E_jjS1G_bEUljE0_EEESZ_S10_S11_S18_S1C_S1E_T6_T7_T9_mT8_S1G_bDpT10_ENKUlT_T0_E_clISt17integral_constantIbLb0EES1T_IbLb1EEEEDaS1P_S1Q_EUlS1P_E_NS1_11comp_targetILNS1_3genE0ELNS1_11target_archE4294967295ELNS1_3gpuE0ELNS1_3repE0EEENS1_30default_config_static_selectorELNS0_4arch9wavefront6targetE1EEEvS12_.uses_flat_scratch, 0
	.set _ZN7rocprim17ROCPRIM_400000_NS6detail17trampoline_kernelINS0_13select_configILj256ELj13ELNS0_17block_load_methodE3ELS4_3ELS4_3ELNS0_20block_scan_algorithmE0ELj4294967295EEENS1_25partition_config_selectorILNS1_17partition_subalgoE4EjNS0_10empty_typeEbEEZZNS1_14partition_implILS8_4ELb0ES6_15HIP_vector_typeIjLj2EENS0_17counting_iteratorIjlEEPS9_SG_NS0_5tupleIJPjSI_NS0_16reverse_iteratorISI_EEEEENSH_IJSG_SG_SG_EEES9_SI_JZNS1_25segmented_radix_sort_implINS0_14default_configELb0EPKsPsPKlPlN2at6native12_GLOBAL__N_18offset_tEEE10hipError_tPvRmT1_PNSt15iterator_traitsIS12_E10value_typeET2_T3_PNS13_IS18_E10value_typeET4_jRbjT5_S1E_jjP12ihipStream_tbEUljE_ZNSN_ISO_Lb0ESQ_SR_ST_SU_SY_EESZ_S10_S11_S12_S16_S17_S18_S1B_S1C_jS1D_jS1E_S1E_jjS1G_bEUljE0_EEESZ_S10_S11_S18_S1C_S1E_T6_T7_T9_mT8_S1G_bDpT10_ENKUlT_T0_E_clISt17integral_constantIbLb0EES1T_IbLb1EEEEDaS1P_S1Q_EUlS1P_E_NS1_11comp_targetILNS1_3genE0ELNS1_11target_archE4294967295ELNS1_3gpuE0ELNS1_3repE0EEENS1_30default_config_static_selectorELNS0_4arch9wavefront6targetE1EEEvS12_.has_dyn_sized_stack, 0
	.set _ZN7rocprim17ROCPRIM_400000_NS6detail17trampoline_kernelINS0_13select_configILj256ELj13ELNS0_17block_load_methodE3ELS4_3ELS4_3ELNS0_20block_scan_algorithmE0ELj4294967295EEENS1_25partition_config_selectorILNS1_17partition_subalgoE4EjNS0_10empty_typeEbEEZZNS1_14partition_implILS8_4ELb0ES6_15HIP_vector_typeIjLj2EENS0_17counting_iteratorIjlEEPS9_SG_NS0_5tupleIJPjSI_NS0_16reverse_iteratorISI_EEEEENSH_IJSG_SG_SG_EEES9_SI_JZNS1_25segmented_radix_sort_implINS0_14default_configELb0EPKsPsPKlPlN2at6native12_GLOBAL__N_18offset_tEEE10hipError_tPvRmT1_PNSt15iterator_traitsIS12_E10value_typeET2_T3_PNS13_IS18_E10value_typeET4_jRbjT5_S1E_jjP12ihipStream_tbEUljE_ZNSN_ISO_Lb0ESQ_SR_ST_SU_SY_EESZ_S10_S11_S12_S16_S17_S18_S1B_S1C_jS1D_jS1E_S1E_jjS1G_bEUljE0_EEESZ_S10_S11_S18_S1C_S1E_T6_T7_T9_mT8_S1G_bDpT10_ENKUlT_T0_E_clISt17integral_constantIbLb0EES1T_IbLb1EEEEDaS1P_S1Q_EUlS1P_E_NS1_11comp_targetILNS1_3genE0ELNS1_11target_archE4294967295ELNS1_3gpuE0ELNS1_3repE0EEENS1_30default_config_static_selectorELNS0_4arch9wavefront6targetE1EEEvS12_.has_recursion, 0
	.set _ZN7rocprim17ROCPRIM_400000_NS6detail17trampoline_kernelINS0_13select_configILj256ELj13ELNS0_17block_load_methodE3ELS4_3ELS4_3ELNS0_20block_scan_algorithmE0ELj4294967295EEENS1_25partition_config_selectorILNS1_17partition_subalgoE4EjNS0_10empty_typeEbEEZZNS1_14partition_implILS8_4ELb0ES6_15HIP_vector_typeIjLj2EENS0_17counting_iteratorIjlEEPS9_SG_NS0_5tupleIJPjSI_NS0_16reverse_iteratorISI_EEEEENSH_IJSG_SG_SG_EEES9_SI_JZNS1_25segmented_radix_sort_implINS0_14default_configELb0EPKsPsPKlPlN2at6native12_GLOBAL__N_18offset_tEEE10hipError_tPvRmT1_PNSt15iterator_traitsIS12_E10value_typeET2_T3_PNS13_IS18_E10value_typeET4_jRbjT5_S1E_jjP12ihipStream_tbEUljE_ZNSN_ISO_Lb0ESQ_SR_ST_SU_SY_EESZ_S10_S11_S12_S16_S17_S18_S1B_S1C_jS1D_jS1E_S1E_jjS1G_bEUljE0_EEESZ_S10_S11_S18_S1C_S1E_T6_T7_T9_mT8_S1G_bDpT10_ENKUlT_T0_E_clISt17integral_constantIbLb0EES1T_IbLb1EEEEDaS1P_S1Q_EUlS1P_E_NS1_11comp_targetILNS1_3genE0ELNS1_11target_archE4294967295ELNS1_3gpuE0ELNS1_3repE0EEENS1_30default_config_static_selectorELNS0_4arch9wavefront6targetE1EEEvS12_.has_indirect_call, 0
	.section	.AMDGPU.csdata,"",@progbits
; Kernel info:
; codeLenInByte = 0
; TotalNumSgprs: 4
; NumVgprs: 0
; ScratchSize: 0
; MemoryBound: 0
; FloatMode: 240
; IeeeMode: 1
; LDSByteSize: 0 bytes/workgroup (compile time only)
; SGPRBlocks: 0
; VGPRBlocks: 0
; NumSGPRsForWavesPerEU: 4
; NumVGPRsForWavesPerEU: 1
; Occupancy: 10
; WaveLimiterHint : 0
; COMPUTE_PGM_RSRC2:SCRATCH_EN: 0
; COMPUTE_PGM_RSRC2:USER_SGPR: 6
; COMPUTE_PGM_RSRC2:TRAP_HANDLER: 0
; COMPUTE_PGM_RSRC2:TGID_X_EN: 1
; COMPUTE_PGM_RSRC2:TGID_Y_EN: 0
; COMPUTE_PGM_RSRC2:TGID_Z_EN: 0
; COMPUTE_PGM_RSRC2:TIDIG_COMP_CNT: 0
	.section	.text._ZN7rocprim17ROCPRIM_400000_NS6detail17trampoline_kernelINS0_13select_configILj256ELj13ELNS0_17block_load_methodE3ELS4_3ELS4_3ELNS0_20block_scan_algorithmE0ELj4294967295EEENS1_25partition_config_selectorILNS1_17partition_subalgoE4EjNS0_10empty_typeEbEEZZNS1_14partition_implILS8_4ELb0ES6_15HIP_vector_typeIjLj2EENS0_17counting_iteratorIjlEEPS9_SG_NS0_5tupleIJPjSI_NS0_16reverse_iteratorISI_EEEEENSH_IJSG_SG_SG_EEES9_SI_JZNS1_25segmented_radix_sort_implINS0_14default_configELb0EPKsPsPKlPlN2at6native12_GLOBAL__N_18offset_tEEE10hipError_tPvRmT1_PNSt15iterator_traitsIS12_E10value_typeET2_T3_PNS13_IS18_E10value_typeET4_jRbjT5_S1E_jjP12ihipStream_tbEUljE_ZNSN_ISO_Lb0ESQ_SR_ST_SU_SY_EESZ_S10_S11_S12_S16_S17_S18_S1B_S1C_jS1D_jS1E_S1E_jjS1G_bEUljE0_EEESZ_S10_S11_S18_S1C_S1E_T6_T7_T9_mT8_S1G_bDpT10_ENKUlT_T0_E_clISt17integral_constantIbLb0EES1T_IbLb1EEEEDaS1P_S1Q_EUlS1P_E_NS1_11comp_targetILNS1_3genE5ELNS1_11target_archE942ELNS1_3gpuE9ELNS1_3repE0EEENS1_30default_config_static_selectorELNS0_4arch9wavefront6targetE1EEEvS12_,"axG",@progbits,_ZN7rocprim17ROCPRIM_400000_NS6detail17trampoline_kernelINS0_13select_configILj256ELj13ELNS0_17block_load_methodE3ELS4_3ELS4_3ELNS0_20block_scan_algorithmE0ELj4294967295EEENS1_25partition_config_selectorILNS1_17partition_subalgoE4EjNS0_10empty_typeEbEEZZNS1_14partition_implILS8_4ELb0ES6_15HIP_vector_typeIjLj2EENS0_17counting_iteratorIjlEEPS9_SG_NS0_5tupleIJPjSI_NS0_16reverse_iteratorISI_EEEEENSH_IJSG_SG_SG_EEES9_SI_JZNS1_25segmented_radix_sort_implINS0_14default_configELb0EPKsPsPKlPlN2at6native12_GLOBAL__N_18offset_tEEE10hipError_tPvRmT1_PNSt15iterator_traitsIS12_E10value_typeET2_T3_PNS13_IS18_E10value_typeET4_jRbjT5_S1E_jjP12ihipStream_tbEUljE_ZNSN_ISO_Lb0ESQ_SR_ST_SU_SY_EESZ_S10_S11_S12_S16_S17_S18_S1B_S1C_jS1D_jS1E_S1E_jjS1G_bEUljE0_EEESZ_S10_S11_S18_S1C_S1E_T6_T7_T9_mT8_S1G_bDpT10_ENKUlT_T0_E_clISt17integral_constantIbLb0EES1T_IbLb1EEEEDaS1P_S1Q_EUlS1P_E_NS1_11comp_targetILNS1_3genE5ELNS1_11target_archE942ELNS1_3gpuE9ELNS1_3repE0EEENS1_30default_config_static_selectorELNS0_4arch9wavefront6targetE1EEEvS12_,comdat
	.globl	_ZN7rocprim17ROCPRIM_400000_NS6detail17trampoline_kernelINS0_13select_configILj256ELj13ELNS0_17block_load_methodE3ELS4_3ELS4_3ELNS0_20block_scan_algorithmE0ELj4294967295EEENS1_25partition_config_selectorILNS1_17partition_subalgoE4EjNS0_10empty_typeEbEEZZNS1_14partition_implILS8_4ELb0ES6_15HIP_vector_typeIjLj2EENS0_17counting_iteratorIjlEEPS9_SG_NS0_5tupleIJPjSI_NS0_16reverse_iteratorISI_EEEEENSH_IJSG_SG_SG_EEES9_SI_JZNS1_25segmented_radix_sort_implINS0_14default_configELb0EPKsPsPKlPlN2at6native12_GLOBAL__N_18offset_tEEE10hipError_tPvRmT1_PNSt15iterator_traitsIS12_E10value_typeET2_T3_PNS13_IS18_E10value_typeET4_jRbjT5_S1E_jjP12ihipStream_tbEUljE_ZNSN_ISO_Lb0ESQ_SR_ST_SU_SY_EESZ_S10_S11_S12_S16_S17_S18_S1B_S1C_jS1D_jS1E_S1E_jjS1G_bEUljE0_EEESZ_S10_S11_S18_S1C_S1E_T6_T7_T9_mT8_S1G_bDpT10_ENKUlT_T0_E_clISt17integral_constantIbLb0EES1T_IbLb1EEEEDaS1P_S1Q_EUlS1P_E_NS1_11comp_targetILNS1_3genE5ELNS1_11target_archE942ELNS1_3gpuE9ELNS1_3repE0EEENS1_30default_config_static_selectorELNS0_4arch9wavefront6targetE1EEEvS12_ ; -- Begin function _ZN7rocprim17ROCPRIM_400000_NS6detail17trampoline_kernelINS0_13select_configILj256ELj13ELNS0_17block_load_methodE3ELS4_3ELS4_3ELNS0_20block_scan_algorithmE0ELj4294967295EEENS1_25partition_config_selectorILNS1_17partition_subalgoE4EjNS0_10empty_typeEbEEZZNS1_14partition_implILS8_4ELb0ES6_15HIP_vector_typeIjLj2EENS0_17counting_iteratorIjlEEPS9_SG_NS0_5tupleIJPjSI_NS0_16reverse_iteratorISI_EEEEENSH_IJSG_SG_SG_EEES9_SI_JZNS1_25segmented_radix_sort_implINS0_14default_configELb0EPKsPsPKlPlN2at6native12_GLOBAL__N_18offset_tEEE10hipError_tPvRmT1_PNSt15iterator_traitsIS12_E10value_typeET2_T3_PNS13_IS18_E10value_typeET4_jRbjT5_S1E_jjP12ihipStream_tbEUljE_ZNSN_ISO_Lb0ESQ_SR_ST_SU_SY_EESZ_S10_S11_S12_S16_S17_S18_S1B_S1C_jS1D_jS1E_S1E_jjS1G_bEUljE0_EEESZ_S10_S11_S18_S1C_S1E_T6_T7_T9_mT8_S1G_bDpT10_ENKUlT_T0_E_clISt17integral_constantIbLb0EES1T_IbLb1EEEEDaS1P_S1Q_EUlS1P_E_NS1_11comp_targetILNS1_3genE5ELNS1_11target_archE942ELNS1_3gpuE9ELNS1_3repE0EEENS1_30default_config_static_selectorELNS0_4arch9wavefront6targetE1EEEvS12_
	.p2align	8
	.type	_ZN7rocprim17ROCPRIM_400000_NS6detail17trampoline_kernelINS0_13select_configILj256ELj13ELNS0_17block_load_methodE3ELS4_3ELS4_3ELNS0_20block_scan_algorithmE0ELj4294967295EEENS1_25partition_config_selectorILNS1_17partition_subalgoE4EjNS0_10empty_typeEbEEZZNS1_14partition_implILS8_4ELb0ES6_15HIP_vector_typeIjLj2EENS0_17counting_iteratorIjlEEPS9_SG_NS0_5tupleIJPjSI_NS0_16reverse_iteratorISI_EEEEENSH_IJSG_SG_SG_EEES9_SI_JZNS1_25segmented_radix_sort_implINS0_14default_configELb0EPKsPsPKlPlN2at6native12_GLOBAL__N_18offset_tEEE10hipError_tPvRmT1_PNSt15iterator_traitsIS12_E10value_typeET2_T3_PNS13_IS18_E10value_typeET4_jRbjT5_S1E_jjP12ihipStream_tbEUljE_ZNSN_ISO_Lb0ESQ_SR_ST_SU_SY_EESZ_S10_S11_S12_S16_S17_S18_S1B_S1C_jS1D_jS1E_S1E_jjS1G_bEUljE0_EEESZ_S10_S11_S18_S1C_S1E_T6_T7_T9_mT8_S1G_bDpT10_ENKUlT_T0_E_clISt17integral_constantIbLb0EES1T_IbLb1EEEEDaS1P_S1Q_EUlS1P_E_NS1_11comp_targetILNS1_3genE5ELNS1_11target_archE942ELNS1_3gpuE9ELNS1_3repE0EEENS1_30default_config_static_selectorELNS0_4arch9wavefront6targetE1EEEvS12_,@function
_ZN7rocprim17ROCPRIM_400000_NS6detail17trampoline_kernelINS0_13select_configILj256ELj13ELNS0_17block_load_methodE3ELS4_3ELS4_3ELNS0_20block_scan_algorithmE0ELj4294967295EEENS1_25partition_config_selectorILNS1_17partition_subalgoE4EjNS0_10empty_typeEbEEZZNS1_14partition_implILS8_4ELb0ES6_15HIP_vector_typeIjLj2EENS0_17counting_iteratorIjlEEPS9_SG_NS0_5tupleIJPjSI_NS0_16reverse_iteratorISI_EEEEENSH_IJSG_SG_SG_EEES9_SI_JZNS1_25segmented_radix_sort_implINS0_14default_configELb0EPKsPsPKlPlN2at6native12_GLOBAL__N_18offset_tEEE10hipError_tPvRmT1_PNSt15iterator_traitsIS12_E10value_typeET2_T3_PNS13_IS18_E10value_typeET4_jRbjT5_S1E_jjP12ihipStream_tbEUljE_ZNSN_ISO_Lb0ESQ_SR_ST_SU_SY_EESZ_S10_S11_S12_S16_S17_S18_S1B_S1C_jS1D_jS1E_S1E_jjS1G_bEUljE0_EEESZ_S10_S11_S18_S1C_S1E_T6_T7_T9_mT8_S1G_bDpT10_ENKUlT_T0_E_clISt17integral_constantIbLb0EES1T_IbLb1EEEEDaS1P_S1Q_EUlS1P_E_NS1_11comp_targetILNS1_3genE5ELNS1_11target_archE942ELNS1_3gpuE9ELNS1_3repE0EEENS1_30default_config_static_selectorELNS0_4arch9wavefront6targetE1EEEvS12_: ; @_ZN7rocprim17ROCPRIM_400000_NS6detail17trampoline_kernelINS0_13select_configILj256ELj13ELNS0_17block_load_methodE3ELS4_3ELS4_3ELNS0_20block_scan_algorithmE0ELj4294967295EEENS1_25partition_config_selectorILNS1_17partition_subalgoE4EjNS0_10empty_typeEbEEZZNS1_14partition_implILS8_4ELb0ES6_15HIP_vector_typeIjLj2EENS0_17counting_iteratorIjlEEPS9_SG_NS0_5tupleIJPjSI_NS0_16reverse_iteratorISI_EEEEENSH_IJSG_SG_SG_EEES9_SI_JZNS1_25segmented_radix_sort_implINS0_14default_configELb0EPKsPsPKlPlN2at6native12_GLOBAL__N_18offset_tEEE10hipError_tPvRmT1_PNSt15iterator_traitsIS12_E10value_typeET2_T3_PNS13_IS18_E10value_typeET4_jRbjT5_S1E_jjP12ihipStream_tbEUljE_ZNSN_ISO_Lb0ESQ_SR_ST_SU_SY_EESZ_S10_S11_S12_S16_S17_S18_S1B_S1C_jS1D_jS1E_S1E_jjS1G_bEUljE0_EEESZ_S10_S11_S18_S1C_S1E_T6_T7_T9_mT8_S1G_bDpT10_ENKUlT_T0_E_clISt17integral_constantIbLb0EES1T_IbLb1EEEEDaS1P_S1Q_EUlS1P_E_NS1_11comp_targetILNS1_3genE5ELNS1_11target_archE942ELNS1_3gpuE9ELNS1_3repE0EEENS1_30default_config_static_selectorELNS0_4arch9wavefront6targetE1EEEvS12_
; %bb.0:
	.section	.rodata,"a",@progbits
	.p2align	6, 0x0
	.amdhsa_kernel _ZN7rocprim17ROCPRIM_400000_NS6detail17trampoline_kernelINS0_13select_configILj256ELj13ELNS0_17block_load_methodE3ELS4_3ELS4_3ELNS0_20block_scan_algorithmE0ELj4294967295EEENS1_25partition_config_selectorILNS1_17partition_subalgoE4EjNS0_10empty_typeEbEEZZNS1_14partition_implILS8_4ELb0ES6_15HIP_vector_typeIjLj2EENS0_17counting_iteratorIjlEEPS9_SG_NS0_5tupleIJPjSI_NS0_16reverse_iteratorISI_EEEEENSH_IJSG_SG_SG_EEES9_SI_JZNS1_25segmented_radix_sort_implINS0_14default_configELb0EPKsPsPKlPlN2at6native12_GLOBAL__N_18offset_tEEE10hipError_tPvRmT1_PNSt15iterator_traitsIS12_E10value_typeET2_T3_PNS13_IS18_E10value_typeET4_jRbjT5_S1E_jjP12ihipStream_tbEUljE_ZNSN_ISO_Lb0ESQ_SR_ST_SU_SY_EESZ_S10_S11_S12_S16_S17_S18_S1B_S1C_jS1D_jS1E_S1E_jjS1G_bEUljE0_EEESZ_S10_S11_S18_S1C_S1E_T6_T7_T9_mT8_S1G_bDpT10_ENKUlT_T0_E_clISt17integral_constantIbLb0EES1T_IbLb1EEEEDaS1P_S1Q_EUlS1P_E_NS1_11comp_targetILNS1_3genE5ELNS1_11target_archE942ELNS1_3gpuE9ELNS1_3repE0EEENS1_30default_config_static_selectorELNS0_4arch9wavefront6targetE1EEEvS12_
		.amdhsa_group_segment_fixed_size 0
		.amdhsa_private_segment_fixed_size 0
		.amdhsa_kernarg_size 184
		.amdhsa_user_sgpr_count 6
		.amdhsa_user_sgpr_private_segment_buffer 1
		.amdhsa_user_sgpr_dispatch_ptr 0
		.amdhsa_user_sgpr_queue_ptr 0
		.amdhsa_user_sgpr_kernarg_segment_ptr 1
		.amdhsa_user_sgpr_dispatch_id 0
		.amdhsa_user_sgpr_flat_scratch_init 0
		.amdhsa_user_sgpr_private_segment_size 0
		.amdhsa_uses_dynamic_stack 0
		.amdhsa_system_sgpr_private_segment_wavefront_offset 0
		.amdhsa_system_sgpr_workgroup_id_x 1
		.amdhsa_system_sgpr_workgroup_id_y 0
		.amdhsa_system_sgpr_workgroup_id_z 0
		.amdhsa_system_sgpr_workgroup_info 0
		.amdhsa_system_vgpr_workitem_id 0
		.amdhsa_next_free_vgpr 1
		.amdhsa_next_free_sgpr 0
		.amdhsa_reserve_vcc 0
		.amdhsa_reserve_flat_scratch 0
		.amdhsa_float_round_mode_32 0
		.amdhsa_float_round_mode_16_64 0
		.amdhsa_float_denorm_mode_32 3
		.amdhsa_float_denorm_mode_16_64 3
		.amdhsa_dx10_clamp 1
		.amdhsa_ieee_mode 1
		.amdhsa_fp16_overflow 0
		.amdhsa_exception_fp_ieee_invalid_op 0
		.amdhsa_exception_fp_denorm_src 0
		.amdhsa_exception_fp_ieee_div_zero 0
		.amdhsa_exception_fp_ieee_overflow 0
		.amdhsa_exception_fp_ieee_underflow 0
		.amdhsa_exception_fp_ieee_inexact 0
		.amdhsa_exception_int_div_zero 0
	.end_amdhsa_kernel
	.section	.text._ZN7rocprim17ROCPRIM_400000_NS6detail17trampoline_kernelINS0_13select_configILj256ELj13ELNS0_17block_load_methodE3ELS4_3ELS4_3ELNS0_20block_scan_algorithmE0ELj4294967295EEENS1_25partition_config_selectorILNS1_17partition_subalgoE4EjNS0_10empty_typeEbEEZZNS1_14partition_implILS8_4ELb0ES6_15HIP_vector_typeIjLj2EENS0_17counting_iteratorIjlEEPS9_SG_NS0_5tupleIJPjSI_NS0_16reverse_iteratorISI_EEEEENSH_IJSG_SG_SG_EEES9_SI_JZNS1_25segmented_radix_sort_implINS0_14default_configELb0EPKsPsPKlPlN2at6native12_GLOBAL__N_18offset_tEEE10hipError_tPvRmT1_PNSt15iterator_traitsIS12_E10value_typeET2_T3_PNS13_IS18_E10value_typeET4_jRbjT5_S1E_jjP12ihipStream_tbEUljE_ZNSN_ISO_Lb0ESQ_SR_ST_SU_SY_EESZ_S10_S11_S12_S16_S17_S18_S1B_S1C_jS1D_jS1E_S1E_jjS1G_bEUljE0_EEESZ_S10_S11_S18_S1C_S1E_T6_T7_T9_mT8_S1G_bDpT10_ENKUlT_T0_E_clISt17integral_constantIbLb0EES1T_IbLb1EEEEDaS1P_S1Q_EUlS1P_E_NS1_11comp_targetILNS1_3genE5ELNS1_11target_archE942ELNS1_3gpuE9ELNS1_3repE0EEENS1_30default_config_static_selectorELNS0_4arch9wavefront6targetE1EEEvS12_,"axG",@progbits,_ZN7rocprim17ROCPRIM_400000_NS6detail17trampoline_kernelINS0_13select_configILj256ELj13ELNS0_17block_load_methodE3ELS4_3ELS4_3ELNS0_20block_scan_algorithmE0ELj4294967295EEENS1_25partition_config_selectorILNS1_17partition_subalgoE4EjNS0_10empty_typeEbEEZZNS1_14partition_implILS8_4ELb0ES6_15HIP_vector_typeIjLj2EENS0_17counting_iteratorIjlEEPS9_SG_NS0_5tupleIJPjSI_NS0_16reverse_iteratorISI_EEEEENSH_IJSG_SG_SG_EEES9_SI_JZNS1_25segmented_radix_sort_implINS0_14default_configELb0EPKsPsPKlPlN2at6native12_GLOBAL__N_18offset_tEEE10hipError_tPvRmT1_PNSt15iterator_traitsIS12_E10value_typeET2_T3_PNS13_IS18_E10value_typeET4_jRbjT5_S1E_jjP12ihipStream_tbEUljE_ZNSN_ISO_Lb0ESQ_SR_ST_SU_SY_EESZ_S10_S11_S12_S16_S17_S18_S1B_S1C_jS1D_jS1E_S1E_jjS1G_bEUljE0_EEESZ_S10_S11_S18_S1C_S1E_T6_T7_T9_mT8_S1G_bDpT10_ENKUlT_T0_E_clISt17integral_constantIbLb0EES1T_IbLb1EEEEDaS1P_S1Q_EUlS1P_E_NS1_11comp_targetILNS1_3genE5ELNS1_11target_archE942ELNS1_3gpuE9ELNS1_3repE0EEENS1_30default_config_static_selectorELNS0_4arch9wavefront6targetE1EEEvS12_,comdat
.Lfunc_end975:
	.size	_ZN7rocprim17ROCPRIM_400000_NS6detail17trampoline_kernelINS0_13select_configILj256ELj13ELNS0_17block_load_methodE3ELS4_3ELS4_3ELNS0_20block_scan_algorithmE0ELj4294967295EEENS1_25partition_config_selectorILNS1_17partition_subalgoE4EjNS0_10empty_typeEbEEZZNS1_14partition_implILS8_4ELb0ES6_15HIP_vector_typeIjLj2EENS0_17counting_iteratorIjlEEPS9_SG_NS0_5tupleIJPjSI_NS0_16reverse_iteratorISI_EEEEENSH_IJSG_SG_SG_EEES9_SI_JZNS1_25segmented_radix_sort_implINS0_14default_configELb0EPKsPsPKlPlN2at6native12_GLOBAL__N_18offset_tEEE10hipError_tPvRmT1_PNSt15iterator_traitsIS12_E10value_typeET2_T3_PNS13_IS18_E10value_typeET4_jRbjT5_S1E_jjP12ihipStream_tbEUljE_ZNSN_ISO_Lb0ESQ_SR_ST_SU_SY_EESZ_S10_S11_S12_S16_S17_S18_S1B_S1C_jS1D_jS1E_S1E_jjS1G_bEUljE0_EEESZ_S10_S11_S18_S1C_S1E_T6_T7_T9_mT8_S1G_bDpT10_ENKUlT_T0_E_clISt17integral_constantIbLb0EES1T_IbLb1EEEEDaS1P_S1Q_EUlS1P_E_NS1_11comp_targetILNS1_3genE5ELNS1_11target_archE942ELNS1_3gpuE9ELNS1_3repE0EEENS1_30default_config_static_selectorELNS0_4arch9wavefront6targetE1EEEvS12_, .Lfunc_end975-_ZN7rocprim17ROCPRIM_400000_NS6detail17trampoline_kernelINS0_13select_configILj256ELj13ELNS0_17block_load_methodE3ELS4_3ELS4_3ELNS0_20block_scan_algorithmE0ELj4294967295EEENS1_25partition_config_selectorILNS1_17partition_subalgoE4EjNS0_10empty_typeEbEEZZNS1_14partition_implILS8_4ELb0ES6_15HIP_vector_typeIjLj2EENS0_17counting_iteratorIjlEEPS9_SG_NS0_5tupleIJPjSI_NS0_16reverse_iteratorISI_EEEEENSH_IJSG_SG_SG_EEES9_SI_JZNS1_25segmented_radix_sort_implINS0_14default_configELb0EPKsPsPKlPlN2at6native12_GLOBAL__N_18offset_tEEE10hipError_tPvRmT1_PNSt15iterator_traitsIS12_E10value_typeET2_T3_PNS13_IS18_E10value_typeET4_jRbjT5_S1E_jjP12ihipStream_tbEUljE_ZNSN_ISO_Lb0ESQ_SR_ST_SU_SY_EESZ_S10_S11_S12_S16_S17_S18_S1B_S1C_jS1D_jS1E_S1E_jjS1G_bEUljE0_EEESZ_S10_S11_S18_S1C_S1E_T6_T7_T9_mT8_S1G_bDpT10_ENKUlT_T0_E_clISt17integral_constantIbLb0EES1T_IbLb1EEEEDaS1P_S1Q_EUlS1P_E_NS1_11comp_targetILNS1_3genE5ELNS1_11target_archE942ELNS1_3gpuE9ELNS1_3repE0EEENS1_30default_config_static_selectorELNS0_4arch9wavefront6targetE1EEEvS12_
                                        ; -- End function
	.set _ZN7rocprim17ROCPRIM_400000_NS6detail17trampoline_kernelINS0_13select_configILj256ELj13ELNS0_17block_load_methodE3ELS4_3ELS4_3ELNS0_20block_scan_algorithmE0ELj4294967295EEENS1_25partition_config_selectorILNS1_17partition_subalgoE4EjNS0_10empty_typeEbEEZZNS1_14partition_implILS8_4ELb0ES6_15HIP_vector_typeIjLj2EENS0_17counting_iteratorIjlEEPS9_SG_NS0_5tupleIJPjSI_NS0_16reverse_iteratorISI_EEEEENSH_IJSG_SG_SG_EEES9_SI_JZNS1_25segmented_radix_sort_implINS0_14default_configELb0EPKsPsPKlPlN2at6native12_GLOBAL__N_18offset_tEEE10hipError_tPvRmT1_PNSt15iterator_traitsIS12_E10value_typeET2_T3_PNS13_IS18_E10value_typeET4_jRbjT5_S1E_jjP12ihipStream_tbEUljE_ZNSN_ISO_Lb0ESQ_SR_ST_SU_SY_EESZ_S10_S11_S12_S16_S17_S18_S1B_S1C_jS1D_jS1E_S1E_jjS1G_bEUljE0_EEESZ_S10_S11_S18_S1C_S1E_T6_T7_T9_mT8_S1G_bDpT10_ENKUlT_T0_E_clISt17integral_constantIbLb0EES1T_IbLb1EEEEDaS1P_S1Q_EUlS1P_E_NS1_11comp_targetILNS1_3genE5ELNS1_11target_archE942ELNS1_3gpuE9ELNS1_3repE0EEENS1_30default_config_static_selectorELNS0_4arch9wavefront6targetE1EEEvS12_.num_vgpr, 0
	.set _ZN7rocprim17ROCPRIM_400000_NS6detail17trampoline_kernelINS0_13select_configILj256ELj13ELNS0_17block_load_methodE3ELS4_3ELS4_3ELNS0_20block_scan_algorithmE0ELj4294967295EEENS1_25partition_config_selectorILNS1_17partition_subalgoE4EjNS0_10empty_typeEbEEZZNS1_14partition_implILS8_4ELb0ES6_15HIP_vector_typeIjLj2EENS0_17counting_iteratorIjlEEPS9_SG_NS0_5tupleIJPjSI_NS0_16reverse_iteratorISI_EEEEENSH_IJSG_SG_SG_EEES9_SI_JZNS1_25segmented_radix_sort_implINS0_14default_configELb0EPKsPsPKlPlN2at6native12_GLOBAL__N_18offset_tEEE10hipError_tPvRmT1_PNSt15iterator_traitsIS12_E10value_typeET2_T3_PNS13_IS18_E10value_typeET4_jRbjT5_S1E_jjP12ihipStream_tbEUljE_ZNSN_ISO_Lb0ESQ_SR_ST_SU_SY_EESZ_S10_S11_S12_S16_S17_S18_S1B_S1C_jS1D_jS1E_S1E_jjS1G_bEUljE0_EEESZ_S10_S11_S18_S1C_S1E_T6_T7_T9_mT8_S1G_bDpT10_ENKUlT_T0_E_clISt17integral_constantIbLb0EES1T_IbLb1EEEEDaS1P_S1Q_EUlS1P_E_NS1_11comp_targetILNS1_3genE5ELNS1_11target_archE942ELNS1_3gpuE9ELNS1_3repE0EEENS1_30default_config_static_selectorELNS0_4arch9wavefront6targetE1EEEvS12_.num_agpr, 0
	.set _ZN7rocprim17ROCPRIM_400000_NS6detail17trampoline_kernelINS0_13select_configILj256ELj13ELNS0_17block_load_methodE3ELS4_3ELS4_3ELNS0_20block_scan_algorithmE0ELj4294967295EEENS1_25partition_config_selectorILNS1_17partition_subalgoE4EjNS0_10empty_typeEbEEZZNS1_14partition_implILS8_4ELb0ES6_15HIP_vector_typeIjLj2EENS0_17counting_iteratorIjlEEPS9_SG_NS0_5tupleIJPjSI_NS0_16reverse_iteratorISI_EEEEENSH_IJSG_SG_SG_EEES9_SI_JZNS1_25segmented_radix_sort_implINS0_14default_configELb0EPKsPsPKlPlN2at6native12_GLOBAL__N_18offset_tEEE10hipError_tPvRmT1_PNSt15iterator_traitsIS12_E10value_typeET2_T3_PNS13_IS18_E10value_typeET4_jRbjT5_S1E_jjP12ihipStream_tbEUljE_ZNSN_ISO_Lb0ESQ_SR_ST_SU_SY_EESZ_S10_S11_S12_S16_S17_S18_S1B_S1C_jS1D_jS1E_S1E_jjS1G_bEUljE0_EEESZ_S10_S11_S18_S1C_S1E_T6_T7_T9_mT8_S1G_bDpT10_ENKUlT_T0_E_clISt17integral_constantIbLb0EES1T_IbLb1EEEEDaS1P_S1Q_EUlS1P_E_NS1_11comp_targetILNS1_3genE5ELNS1_11target_archE942ELNS1_3gpuE9ELNS1_3repE0EEENS1_30default_config_static_selectorELNS0_4arch9wavefront6targetE1EEEvS12_.numbered_sgpr, 0
	.set _ZN7rocprim17ROCPRIM_400000_NS6detail17trampoline_kernelINS0_13select_configILj256ELj13ELNS0_17block_load_methodE3ELS4_3ELS4_3ELNS0_20block_scan_algorithmE0ELj4294967295EEENS1_25partition_config_selectorILNS1_17partition_subalgoE4EjNS0_10empty_typeEbEEZZNS1_14partition_implILS8_4ELb0ES6_15HIP_vector_typeIjLj2EENS0_17counting_iteratorIjlEEPS9_SG_NS0_5tupleIJPjSI_NS0_16reverse_iteratorISI_EEEEENSH_IJSG_SG_SG_EEES9_SI_JZNS1_25segmented_radix_sort_implINS0_14default_configELb0EPKsPsPKlPlN2at6native12_GLOBAL__N_18offset_tEEE10hipError_tPvRmT1_PNSt15iterator_traitsIS12_E10value_typeET2_T3_PNS13_IS18_E10value_typeET4_jRbjT5_S1E_jjP12ihipStream_tbEUljE_ZNSN_ISO_Lb0ESQ_SR_ST_SU_SY_EESZ_S10_S11_S12_S16_S17_S18_S1B_S1C_jS1D_jS1E_S1E_jjS1G_bEUljE0_EEESZ_S10_S11_S18_S1C_S1E_T6_T7_T9_mT8_S1G_bDpT10_ENKUlT_T0_E_clISt17integral_constantIbLb0EES1T_IbLb1EEEEDaS1P_S1Q_EUlS1P_E_NS1_11comp_targetILNS1_3genE5ELNS1_11target_archE942ELNS1_3gpuE9ELNS1_3repE0EEENS1_30default_config_static_selectorELNS0_4arch9wavefront6targetE1EEEvS12_.num_named_barrier, 0
	.set _ZN7rocprim17ROCPRIM_400000_NS6detail17trampoline_kernelINS0_13select_configILj256ELj13ELNS0_17block_load_methodE3ELS4_3ELS4_3ELNS0_20block_scan_algorithmE0ELj4294967295EEENS1_25partition_config_selectorILNS1_17partition_subalgoE4EjNS0_10empty_typeEbEEZZNS1_14partition_implILS8_4ELb0ES6_15HIP_vector_typeIjLj2EENS0_17counting_iteratorIjlEEPS9_SG_NS0_5tupleIJPjSI_NS0_16reverse_iteratorISI_EEEEENSH_IJSG_SG_SG_EEES9_SI_JZNS1_25segmented_radix_sort_implINS0_14default_configELb0EPKsPsPKlPlN2at6native12_GLOBAL__N_18offset_tEEE10hipError_tPvRmT1_PNSt15iterator_traitsIS12_E10value_typeET2_T3_PNS13_IS18_E10value_typeET4_jRbjT5_S1E_jjP12ihipStream_tbEUljE_ZNSN_ISO_Lb0ESQ_SR_ST_SU_SY_EESZ_S10_S11_S12_S16_S17_S18_S1B_S1C_jS1D_jS1E_S1E_jjS1G_bEUljE0_EEESZ_S10_S11_S18_S1C_S1E_T6_T7_T9_mT8_S1G_bDpT10_ENKUlT_T0_E_clISt17integral_constantIbLb0EES1T_IbLb1EEEEDaS1P_S1Q_EUlS1P_E_NS1_11comp_targetILNS1_3genE5ELNS1_11target_archE942ELNS1_3gpuE9ELNS1_3repE0EEENS1_30default_config_static_selectorELNS0_4arch9wavefront6targetE1EEEvS12_.private_seg_size, 0
	.set _ZN7rocprim17ROCPRIM_400000_NS6detail17trampoline_kernelINS0_13select_configILj256ELj13ELNS0_17block_load_methodE3ELS4_3ELS4_3ELNS0_20block_scan_algorithmE0ELj4294967295EEENS1_25partition_config_selectorILNS1_17partition_subalgoE4EjNS0_10empty_typeEbEEZZNS1_14partition_implILS8_4ELb0ES6_15HIP_vector_typeIjLj2EENS0_17counting_iteratorIjlEEPS9_SG_NS0_5tupleIJPjSI_NS0_16reverse_iteratorISI_EEEEENSH_IJSG_SG_SG_EEES9_SI_JZNS1_25segmented_radix_sort_implINS0_14default_configELb0EPKsPsPKlPlN2at6native12_GLOBAL__N_18offset_tEEE10hipError_tPvRmT1_PNSt15iterator_traitsIS12_E10value_typeET2_T3_PNS13_IS18_E10value_typeET4_jRbjT5_S1E_jjP12ihipStream_tbEUljE_ZNSN_ISO_Lb0ESQ_SR_ST_SU_SY_EESZ_S10_S11_S12_S16_S17_S18_S1B_S1C_jS1D_jS1E_S1E_jjS1G_bEUljE0_EEESZ_S10_S11_S18_S1C_S1E_T6_T7_T9_mT8_S1G_bDpT10_ENKUlT_T0_E_clISt17integral_constantIbLb0EES1T_IbLb1EEEEDaS1P_S1Q_EUlS1P_E_NS1_11comp_targetILNS1_3genE5ELNS1_11target_archE942ELNS1_3gpuE9ELNS1_3repE0EEENS1_30default_config_static_selectorELNS0_4arch9wavefront6targetE1EEEvS12_.uses_vcc, 0
	.set _ZN7rocprim17ROCPRIM_400000_NS6detail17trampoline_kernelINS0_13select_configILj256ELj13ELNS0_17block_load_methodE3ELS4_3ELS4_3ELNS0_20block_scan_algorithmE0ELj4294967295EEENS1_25partition_config_selectorILNS1_17partition_subalgoE4EjNS0_10empty_typeEbEEZZNS1_14partition_implILS8_4ELb0ES6_15HIP_vector_typeIjLj2EENS0_17counting_iteratorIjlEEPS9_SG_NS0_5tupleIJPjSI_NS0_16reverse_iteratorISI_EEEEENSH_IJSG_SG_SG_EEES9_SI_JZNS1_25segmented_radix_sort_implINS0_14default_configELb0EPKsPsPKlPlN2at6native12_GLOBAL__N_18offset_tEEE10hipError_tPvRmT1_PNSt15iterator_traitsIS12_E10value_typeET2_T3_PNS13_IS18_E10value_typeET4_jRbjT5_S1E_jjP12ihipStream_tbEUljE_ZNSN_ISO_Lb0ESQ_SR_ST_SU_SY_EESZ_S10_S11_S12_S16_S17_S18_S1B_S1C_jS1D_jS1E_S1E_jjS1G_bEUljE0_EEESZ_S10_S11_S18_S1C_S1E_T6_T7_T9_mT8_S1G_bDpT10_ENKUlT_T0_E_clISt17integral_constantIbLb0EES1T_IbLb1EEEEDaS1P_S1Q_EUlS1P_E_NS1_11comp_targetILNS1_3genE5ELNS1_11target_archE942ELNS1_3gpuE9ELNS1_3repE0EEENS1_30default_config_static_selectorELNS0_4arch9wavefront6targetE1EEEvS12_.uses_flat_scratch, 0
	.set _ZN7rocprim17ROCPRIM_400000_NS6detail17trampoline_kernelINS0_13select_configILj256ELj13ELNS0_17block_load_methodE3ELS4_3ELS4_3ELNS0_20block_scan_algorithmE0ELj4294967295EEENS1_25partition_config_selectorILNS1_17partition_subalgoE4EjNS0_10empty_typeEbEEZZNS1_14partition_implILS8_4ELb0ES6_15HIP_vector_typeIjLj2EENS0_17counting_iteratorIjlEEPS9_SG_NS0_5tupleIJPjSI_NS0_16reverse_iteratorISI_EEEEENSH_IJSG_SG_SG_EEES9_SI_JZNS1_25segmented_radix_sort_implINS0_14default_configELb0EPKsPsPKlPlN2at6native12_GLOBAL__N_18offset_tEEE10hipError_tPvRmT1_PNSt15iterator_traitsIS12_E10value_typeET2_T3_PNS13_IS18_E10value_typeET4_jRbjT5_S1E_jjP12ihipStream_tbEUljE_ZNSN_ISO_Lb0ESQ_SR_ST_SU_SY_EESZ_S10_S11_S12_S16_S17_S18_S1B_S1C_jS1D_jS1E_S1E_jjS1G_bEUljE0_EEESZ_S10_S11_S18_S1C_S1E_T6_T7_T9_mT8_S1G_bDpT10_ENKUlT_T0_E_clISt17integral_constantIbLb0EES1T_IbLb1EEEEDaS1P_S1Q_EUlS1P_E_NS1_11comp_targetILNS1_3genE5ELNS1_11target_archE942ELNS1_3gpuE9ELNS1_3repE0EEENS1_30default_config_static_selectorELNS0_4arch9wavefront6targetE1EEEvS12_.has_dyn_sized_stack, 0
	.set _ZN7rocprim17ROCPRIM_400000_NS6detail17trampoline_kernelINS0_13select_configILj256ELj13ELNS0_17block_load_methodE3ELS4_3ELS4_3ELNS0_20block_scan_algorithmE0ELj4294967295EEENS1_25partition_config_selectorILNS1_17partition_subalgoE4EjNS0_10empty_typeEbEEZZNS1_14partition_implILS8_4ELb0ES6_15HIP_vector_typeIjLj2EENS0_17counting_iteratorIjlEEPS9_SG_NS0_5tupleIJPjSI_NS0_16reverse_iteratorISI_EEEEENSH_IJSG_SG_SG_EEES9_SI_JZNS1_25segmented_radix_sort_implINS0_14default_configELb0EPKsPsPKlPlN2at6native12_GLOBAL__N_18offset_tEEE10hipError_tPvRmT1_PNSt15iterator_traitsIS12_E10value_typeET2_T3_PNS13_IS18_E10value_typeET4_jRbjT5_S1E_jjP12ihipStream_tbEUljE_ZNSN_ISO_Lb0ESQ_SR_ST_SU_SY_EESZ_S10_S11_S12_S16_S17_S18_S1B_S1C_jS1D_jS1E_S1E_jjS1G_bEUljE0_EEESZ_S10_S11_S18_S1C_S1E_T6_T7_T9_mT8_S1G_bDpT10_ENKUlT_T0_E_clISt17integral_constantIbLb0EES1T_IbLb1EEEEDaS1P_S1Q_EUlS1P_E_NS1_11comp_targetILNS1_3genE5ELNS1_11target_archE942ELNS1_3gpuE9ELNS1_3repE0EEENS1_30default_config_static_selectorELNS0_4arch9wavefront6targetE1EEEvS12_.has_recursion, 0
	.set _ZN7rocprim17ROCPRIM_400000_NS6detail17trampoline_kernelINS0_13select_configILj256ELj13ELNS0_17block_load_methodE3ELS4_3ELS4_3ELNS0_20block_scan_algorithmE0ELj4294967295EEENS1_25partition_config_selectorILNS1_17partition_subalgoE4EjNS0_10empty_typeEbEEZZNS1_14partition_implILS8_4ELb0ES6_15HIP_vector_typeIjLj2EENS0_17counting_iteratorIjlEEPS9_SG_NS0_5tupleIJPjSI_NS0_16reverse_iteratorISI_EEEEENSH_IJSG_SG_SG_EEES9_SI_JZNS1_25segmented_radix_sort_implINS0_14default_configELb0EPKsPsPKlPlN2at6native12_GLOBAL__N_18offset_tEEE10hipError_tPvRmT1_PNSt15iterator_traitsIS12_E10value_typeET2_T3_PNS13_IS18_E10value_typeET4_jRbjT5_S1E_jjP12ihipStream_tbEUljE_ZNSN_ISO_Lb0ESQ_SR_ST_SU_SY_EESZ_S10_S11_S12_S16_S17_S18_S1B_S1C_jS1D_jS1E_S1E_jjS1G_bEUljE0_EEESZ_S10_S11_S18_S1C_S1E_T6_T7_T9_mT8_S1G_bDpT10_ENKUlT_T0_E_clISt17integral_constantIbLb0EES1T_IbLb1EEEEDaS1P_S1Q_EUlS1P_E_NS1_11comp_targetILNS1_3genE5ELNS1_11target_archE942ELNS1_3gpuE9ELNS1_3repE0EEENS1_30default_config_static_selectorELNS0_4arch9wavefront6targetE1EEEvS12_.has_indirect_call, 0
	.section	.AMDGPU.csdata,"",@progbits
; Kernel info:
; codeLenInByte = 0
; TotalNumSgprs: 4
; NumVgprs: 0
; ScratchSize: 0
; MemoryBound: 0
; FloatMode: 240
; IeeeMode: 1
; LDSByteSize: 0 bytes/workgroup (compile time only)
; SGPRBlocks: 0
; VGPRBlocks: 0
; NumSGPRsForWavesPerEU: 4
; NumVGPRsForWavesPerEU: 1
; Occupancy: 10
; WaveLimiterHint : 0
; COMPUTE_PGM_RSRC2:SCRATCH_EN: 0
; COMPUTE_PGM_RSRC2:USER_SGPR: 6
; COMPUTE_PGM_RSRC2:TRAP_HANDLER: 0
; COMPUTE_PGM_RSRC2:TGID_X_EN: 1
; COMPUTE_PGM_RSRC2:TGID_Y_EN: 0
; COMPUTE_PGM_RSRC2:TGID_Z_EN: 0
; COMPUTE_PGM_RSRC2:TIDIG_COMP_CNT: 0
	.section	.text._ZN7rocprim17ROCPRIM_400000_NS6detail17trampoline_kernelINS0_13select_configILj256ELj13ELNS0_17block_load_methodE3ELS4_3ELS4_3ELNS0_20block_scan_algorithmE0ELj4294967295EEENS1_25partition_config_selectorILNS1_17partition_subalgoE4EjNS0_10empty_typeEbEEZZNS1_14partition_implILS8_4ELb0ES6_15HIP_vector_typeIjLj2EENS0_17counting_iteratorIjlEEPS9_SG_NS0_5tupleIJPjSI_NS0_16reverse_iteratorISI_EEEEENSH_IJSG_SG_SG_EEES9_SI_JZNS1_25segmented_radix_sort_implINS0_14default_configELb0EPKsPsPKlPlN2at6native12_GLOBAL__N_18offset_tEEE10hipError_tPvRmT1_PNSt15iterator_traitsIS12_E10value_typeET2_T3_PNS13_IS18_E10value_typeET4_jRbjT5_S1E_jjP12ihipStream_tbEUljE_ZNSN_ISO_Lb0ESQ_SR_ST_SU_SY_EESZ_S10_S11_S12_S16_S17_S18_S1B_S1C_jS1D_jS1E_S1E_jjS1G_bEUljE0_EEESZ_S10_S11_S18_S1C_S1E_T6_T7_T9_mT8_S1G_bDpT10_ENKUlT_T0_E_clISt17integral_constantIbLb0EES1T_IbLb1EEEEDaS1P_S1Q_EUlS1P_E_NS1_11comp_targetILNS1_3genE4ELNS1_11target_archE910ELNS1_3gpuE8ELNS1_3repE0EEENS1_30default_config_static_selectorELNS0_4arch9wavefront6targetE1EEEvS12_,"axG",@progbits,_ZN7rocprim17ROCPRIM_400000_NS6detail17trampoline_kernelINS0_13select_configILj256ELj13ELNS0_17block_load_methodE3ELS4_3ELS4_3ELNS0_20block_scan_algorithmE0ELj4294967295EEENS1_25partition_config_selectorILNS1_17partition_subalgoE4EjNS0_10empty_typeEbEEZZNS1_14partition_implILS8_4ELb0ES6_15HIP_vector_typeIjLj2EENS0_17counting_iteratorIjlEEPS9_SG_NS0_5tupleIJPjSI_NS0_16reverse_iteratorISI_EEEEENSH_IJSG_SG_SG_EEES9_SI_JZNS1_25segmented_radix_sort_implINS0_14default_configELb0EPKsPsPKlPlN2at6native12_GLOBAL__N_18offset_tEEE10hipError_tPvRmT1_PNSt15iterator_traitsIS12_E10value_typeET2_T3_PNS13_IS18_E10value_typeET4_jRbjT5_S1E_jjP12ihipStream_tbEUljE_ZNSN_ISO_Lb0ESQ_SR_ST_SU_SY_EESZ_S10_S11_S12_S16_S17_S18_S1B_S1C_jS1D_jS1E_S1E_jjS1G_bEUljE0_EEESZ_S10_S11_S18_S1C_S1E_T6_T7_T9_mT8_S1G_bDpT10_ENKUlT_T0_E_clISt17integral_constantIbLb0EES1T_IbLb1EEEEDaS1P_S1Q_EUlS1P_E_NS1_11comp_targetILNS1_3genE4ELNS1_11target_archE910ELNS1_3gpuE8ELNS1_3repE0EEENS1_30default_config_static_selectorELNS0_4arch9wavefront6targetE1EEEvS12_,comdat
	.globl	_ZN7rocprim17ROCPRIM_400000_NS6detail17trampoline_kernelINS0_13select_configILj256ELj13ELNS0_17block_load_methodE3ELS4_3ELS4_3ELNS0_20block_scan_algorithmE0ELj4294967295EEENS1_25partition_config_selectorILNS1_17partition_subalgoE4EjNS0_10empty_typeEbEEZZNS1_14partition_implILS8_4ELb0ES6_15HIP_vector_typeIjLj2EENS0_17counting_iteratorIjlEEPS9_SG_NS0_5tupleIJPjSI_NS0_16reverse_iteratorISI_EEEEENSH_IJSG_SG_SG_EEES9_SI_JZNS1_25segmented_radix_sort_implINS0_14default_configELb0EPKsPsPKlPlN2at6native12_GLOBAL__N_18offset_tEEE10hipError_tPvRmT1_PNSt15iterator_traitsIS12_E10value_typeET2_T3_PNS13_IS18_E10value_typeET4_jRbjT5_S1E_jjP12ihipStream_tbEUljE_ZNSN_ISO_Lb0ESQ_SR_ST_SU_SY_EESZ_S10_S11_S12_S16_S17_S18_S1B_S1C_jS1D_jS1E_S1E_jjS1G_bEUljE0_EEESZ_S10_S11_S18_S1C_S1E_T6_T7_T9_mT8_S1G_bDpT10_ENKUlT_T0_E_clISt17integral_constantIbLb0EES1T_IbLb1EEEEDaS1P_S1Q_EUlS1P_E_NS1_11comp_targetILNS1_3genE4ELNS1_11target_archE910ELNS1_3gpuE8ELNS1_3repE0EEENS1_30default_config_static_selectorELNS0_4arch9wavefront6targetE1EEEvS12_ ; -- Begin function _ZN7rocprim17ROCPRIM_400000_NS6detail17trampoline_kernelINS0_13select_configILj256ELj13ELNS0_17block_load_methodE3ELS4_3ELS4_3ELNS0_20block_scan_algorithmE0ELj4294967295EEENS1_25partition_config_selectorILNS1_17partition_subalgoE4EjNS0_10empty_typeEbEEZZNS1_14partition_implILS8_4ELb0ES6_15HIP_vector_typeIjLj2EENS0_17counting_iteratorIjlEEPS9_SG_NS0_5tupleIJPjSI_NS0_16reverse_iteratorISI_EEEEENSH_IJSG_SG_SG_EEES9_SI_JZNS1_25segmented_radix_sort_implINS0_14default_configELb0EPKsPsPKlPlN2at6native12_GLOBAL__N_18offset_tEEE10hipError_tPvRmT1_PNSt15iterator_traitsIS12_E10value_typeET2_T3_PNS13_IS18_E10value_typeET4_jRbjT5_S1E_jjP12ihipStream_tbEUljE_ZNSN_ISO_Lb0ESQ_SR_ST_SU_SY_EESZ_S10_S11_S12_S16_S17_S18_S1B_S1C_jS1D_jS1E_S1E_jjS1G_bEUljE0_EEESZ_S10_S11_S18_S1C_S1E_T6_T7_T9_mT8_S1G_bDpT10_ENKUlT_T0_E_clISt17integral_constantIbLb0EES1T_IbLb1EEEEDaS1P_S1Q_EUlS1P_E_NS1_11comp_targetILNS1_3genE4ELNS1_11target_archE910ELNS1_3gpuE8ELNS1_3repE0EEENS1_30default_config_static_selectorELNS0_4arch9wavefront6targetE1EEEvS12_
	.p2align	8
	.type	_ZN7rocprim17ROCPRIM_400000_NS6detail17trampoline_kernelINS0_13select_configILj256ELj13ELNS0_17block_load_methodE3ELS4_3ELS4_3ELNS0_20block_scan_algorithmE0ELj4294967295EEENS1_25partition_config_selectorILNS1_17partition_subalgoE4EjNS0_10empty_typeEbEEZZNS1_14partition_implILS8_4ELb0ES6_15HIP_vector_typeIjLj2EENS0_17counting_iteratorIjlEEPS9_SG_NS0_5tupleIJPjSI_NS0_16reverse_iteratorISI_EEEEENSH_IJSG_SG_SG_EEES9_SI_JZNS1_25segmented_radix_sort_implINS0_14default_configELb0EPKsPsPKlPlN2at6native12_GLOBAL__N_18offset_tEEE10hipError_tPvRmT1_PNSt15iterator_traitsIS12_E10value_typeET2_T3_PNS13_IS18_E10value_typeET4_jRbjT5_S1E_jjP12ihipStream_tbEUljE_ZNSN_ISO_Lb0ESQ_SR_ST_SU_SY_EESZ_S10_S11_S12_S16_S17_S18_S1B_S1C_jS1D_jS1E_S1E_jjS1G_bEUljE0_EEESZ_S10_S11_S18_S1C_S1E_T6_T7_T9_mT8_S1G_bDpT10_ENKUlT_T0_E_clISt17integral_constantIbLb0EES1T_IbLb1EEEEDaS1P_S1Q_EUlS1P_E_NS1_11comp_targetILNS1_3genE4ELNS1_11target_archE910ELNS1_3gpuE8ELNS1_3repE0EEENS1_30default_config_static_selectorELNS0_4arch9wavefront6targetE1EEEvS12_,@function
_ZN7rocprim17ROCPRIM_400000_NS6detail17trampoline_kernelINS0_13select_configILj256ELj13ELNS0_17block_load_methodE3ELS4_3ELS4_3ELNS0_20block_scan_algorithmE0ELj4294967295EEENS1_25partition_config_selectorILNS1_17partition_subalgoE4EjNS0_10empty_typeEbEEZZNS1_14partition_implILS8_4ELb0ES6_15HIP_vector_typeIjLj2EENS0_17counting_iteratorIjlEEPS9_SG_NS0_5tupleIJPjSI_NS0_16reverse_iteratorISI_EEEEENSH_IJSG_SG_SG_EEES9_SI_JZNS1_25segmented_radix_sort_implINS0_14default_configELb0EPKsPsPKlPlN2at6native12_GLOBAL__N_18offset_tEEE10hipError_tPvRmT1_PNSt15iterator_traitsIS12_E10value_typeET2_T3_PNS13_IS18_E10value_typeET4_jRbjT5_S1E_jjP12ihipStream_tbEUljE_ZNSN_ISO_Lb0ESQ_SR_ST_SU_SY_EESZ_S10_S11_S12_S16_S17_S18_S1B_S1C_jS1D_jS1E_S1E_jjS1G_bEUljE0_EEESZ_S10_S11_S18_S1C_S1E_T6_T7_T9_mT8_S1G_bDpT10_ENKUlT_T0_E_clISt17integral_constantIbLb0EES1T_IbLb1EEEEDaS1P_S1Q_EUlS1P_E_NS1_11comp_targetILNS1_3genE4ELNS1_11target_archE910ELNS1_3gpuE8ELNS1_3repE0EEENS1_30default_config_static_selectorELNS0_4arch9wavefront6targetE1EEEvS12_: ; @_ZN7rocprim17ROCPRIM_400000_NS6detail17trampoline_kernelINS0_13select_configILj256ELj13ELNS0_17block_load_methodE3ELS4_3ELS4_3ELNS0_20block_scan_algorithmE0ELj4294967295EEENS1_25partition_config_selectorILNS1_17partition_subalgoE4EjNS0_10empty_typeEbEEZZNS1_14partition_implILS8_4ELb0ES6_15HIP_vector_typeIjLj2EENS0_17counting_iteratorIjlEEPS9_SG_NS0_5tupleIJPjSI_NS0_16reverse_iteratorISI_EEEEENSH_IJSG_SG_SG_EEES9_SI_JZNS1_25segmented_radix_sort_implINS0_14default_configELb0EPKsPsPKlPlN2at6native12_GLOBAL__N_18offset_tEEE10hipError_tPvRmT1_PNSt15iterator_traitsIS12_E10value_typeET2_T3_PNS13_IS18_E10value_typeET4_jRbjT5_S1E_jjP12ihipStream_tbEUljE_ZNSN_ISO_Lb0ESQ_SR_ST_SU_SY_EESZ_S10_S11_S12_S16_S17_S18_S1B_S1C_jS1D_jS1E_S1E_jjS1G_bEUljE0_EEESZ_S10_S11_S18_S1C_S1E_T6_T7_T9_mT8_S1G_bDpT10_ENKUlT_T0_E_clISt17integral_constantIbLb0EES1T_IbLb1EEEEDaS1P_S1Q_EUlS1P_E_NS1_11comp_targetILNS1_3genE4ELNS1_11target_archE910ELNS1_3gpuE8ELNS1_3repE0EEENS1_30default_config_static_selectorELNS0_4arch9wavefront6targetE1EEEvS12_
; %bb.0:
	.section	.rodata,"a",@progbits
	.p2align	6, 0x0
	.amdhsa_kernel _ZN7rocprim17ROCPRIM_400000_NS6detail17trampoline_kernelINS0_13select_configILj256ELj13ELNS0_17block_load_methodE3ELS4_3ELS4_3ELNS0_20block_scan_algorithmE0ELj4294967295EEENS1_25partition_config_selectorILNS1_17partition_subalgoE4EjNS0_10empty_typeEbEEZZNS1_14partition_implILS8_4ELb0ES6_15HIP_vector_typeIjLj2EENS0_17counting_iteratorIjlEEPS9_SG_NS0_5tupleIJPjSI_NS0_16reverse_iteratorISI_EEEEENSH_IJSG_SG_SG_EEES9_SI_JZNS1_25segmented_radix_sort_implINS0_14default_configELb0EPKsPsPKlPlN2at6native12_GLOBAL__N_18offset_tEEE10hipError_tPvRmT1_PNSt15iterator_traitsIS12_E10value_typeET2_T3_PNS13_IS18_E10value_typeET4_jRbjT5_S1E_jjP12ihipStream_tbEUljE_ZNSN_ISO_Lb0ESQ_SR_ST_SU_SY_EESZ_S10_S11_S12_S16_S17_S18_S1B_S1C_jS1D_jS1E_S1E_jjS1G_bEUljE0_EEESZ_S10_S11_S18_S1C_S1E_T6_T7_T9_mT8_S1G_bDpT10_ENKUlT_T0_E_clISt17integral_constantIbLb0EES1T_IbLb1EEEEDaS1P_S1Q_EUlS1P_E_NS1_11comp_targetILNS1_3genE4ELNS1_11target_archE910ELNS1_3gpuE8ELNS1_3repE0EEENS1_30default_config_static_selectorELNS0_4arch9wavefront6targetE1EEEvS12_
		.amdhsa_group_segment_fixed_size 0
		.amdhsa_private_segment_fixed_size 0
		.amdhsa_kernarg_size 184
		.amdhsa_user_sgpr_count 6
		.amdhsa_user_sgpr_private_segment_buffer 1
		.amdhsa_user_sgpr_dispatch_ptr 0
		.amdhsa_user_sgpr_queue_ptr 0
		.amdhsa_user_sgpr_kernarg_segment_ptr 1
		.amdhsa_user_sgpr_dispatch_id 0
		.amdhsa_user_sgpr_flat_scratch_init 0
		.amdhsa_user_sgpr_private_segment_size 0
		.amdhsa_uses_dynamic_stack 0
		.amdhsa_system_sgpr_private_segment_wavefront_offset 0
		.amdhsa_system_sgpr_workgroup_id_x 1
		.amdhsa_system_sgpr_workgroup_id_y 0
		.amdhsa_system_sgpr_workgroup_id_z 0
		.amdhsa_system_sgpr_workgroup_info 0
		.amdhsa_system_vgpr_workitem_id 0
		.amdhsa_next_free_vgpr 1
		.amdhsa_next_free_sgpr 0
		.amdhsa_reserve_vcc 0
		.amdhsa_reserve_flat_scratch 0
		.amdhsa_float_round_mode_32 0
		.amdhsa_float_round_mode_16_64 0
		.amdhsa_float_denorm_mode_32 3
		.amdhsa_float_denorm_mode_16_64 3
		.amdhsa_dx10_clamp 1
		.amdhsa_ieee_mode 1
		.amdhsa_fp16_overflow 0
		.amdhsa_exception_fp_ieee_invalid_op 0
		.amdhsa_exception_fp_denorm_src 0
		.amdhsa_exception_fp_ieee_div_zero 0
		.amdhsa_exception_fp_ieee_overflow 0
		.amdhsa_exception_fp_ieee_underflow 0
		.amdhsa_exception_fp_ieee_inexact 0
		.amdhsa_exception_int_div_zero 0
	.end_amdhsa_kernel
	.section	.text._ZN7rocprim17ROCPRIM_400000_NS6detail17trampoline_kernelINS0_13select_configILj256ELj13ELNS0_17block_load_methodE3ELS4_3ELS4_3ELNS0_20block_scan_algorithmE0ELj4294967295EEENS1_25partition_config_selectorILNS1_17partition_subalgoE4EjNS0_10empty_typeEbEEZZNS1_14partition_implILS8_4ELb0ES6_15HIP_vector_typeIjLj2EENS0_17counting_iteratorIjlEEPS9_SG_NS0_5tupleIJPjSI_NS0_16reverse_iteratorISI_EEEEENSH_IJSG_SG_SG_EEES9_SI_JZNS1_25segmented_radix_sort_implINS0_14default_configELb0EPKsPsPKlPlN2at6native12_GLOBAL__N_18offset_tEEE10hipError_tPvRmT1_PNSt15iterator_traitsIS12_E10value_typeET2_T3_PNS13_IS18_E10value_typeET4_jRbjT5_S1E_jjP12ihipStream_tbEUljE_ZNSN_ISO_Lb0ESQ_SR_ST_SU_SY_EESZ_S10_S11_S12_S16_S17_S18_S1B_S1C_jS1D_jS1E_S1E_jjS1G_bEUljE0_EEESZ_S10_S11_S18_S1C_S1E_T6_T7_T9_mT8_S1G_bDpT10_ENKUlT_T0_E_clISt17integral_constantIbLb0EES1T_IbLb1EEEEDaS1P_S1Q_EUlS1P_E_NS1_11comp_targetILNS1_3genE4ELNS1_11target_archE910ELNS1_3gpuE8ELNS1_3repE0EEENS1_30default_config_static_selectorELNS0_4arch9wavefront6targetE1EEEvS12_,"axG",@progbits,_ZN7rocprim17ROCPRIM_400000_NS6detail17trampoline_kernelINS0_13select_configILj256ELj13ELNS0_17block_load_methodE3ELS4_3ELS4_3ELNS0_20block_scan_algorithmE0ELj4294967295EEENS1_25partition_config_selectorILNS1_17partition_subalgoE4EjNS0_10empty_typeEbEEZZNS1_14partition_implILS8_4ELb0ES6_15HIP_vector_typeIjLj2EENS0_17counting_iteratorIjlEEPS9_SG_NS0_5tupleIJPjSI_NS0_16reverse_iteratorISI_EEEEENSH_IJSG_SG_SG_EEES9_SI_JZNS1_25segmented_radix_sort_implINS0_14default_configELb0EPKsPsPKlPlN2at6native12_GLOBAL__N_18offset_tEEE10hipError_tPvRmT1_PNSt15iterator_traitsIS12_E10value_typeET2_T3_PNS13_IS18_E10value_typeET4_jRbjT5_S1E_jjP12ihipStream_tbEUljE_ZNSN_ISO_Lb0ESQ_SR_ST_SU_SY_EESZ_S10_S11_S12_S16_S17_S18_S1B_S1C_jS1D_jS1E_S1E_jjS1G_bEUljE0_EEESZ_S10_S11_S18_S1C_S1E_T6_T7_T9_mT8_S1G_bDpT10_ENKUlT_T0_E_clISt17integral_constantIbLb0EES1T_IbLb1EEEEDaS1P_S1Q_EUlS1P_E_NS1_11comp_targetILNS1_3genE4ELNS1_11target_archE910ELNS1_3gpuE8ELNS1_3repE0EEENS1_30default_config_static_selectorELNS0_4arch9wavefront6targetE1EEEvS12_,comdat
.Lfunc_end976:
	.size	_ZN7rocprim17ROCPRIM_400000_NS6detail17trampoline_kernelINS0_13select_configILj256ELj13ELNS0_17block_load_methodE3ELS4_3ELS4_3ELNS0_20block_scan_algorithmE0ELj4294967295EEENS1_25partition_config_selectorILNS1_17partition_subalgoE4EjNS0_10empty_typeEbEEZZNS1_14partition_implILS8_4ELb0ES6_15HIP_vector_typeIjLj2EENS0_17counting_iteratorIjlEEPS9_SG_NS0_5tupleIJPjSI_NS0_16reverse_iteratorISI_EEEEENSH_IJSG_SG_SG_EEES9_SI_JZNS1_25segmented_radix_sort_implINS0_14default_configELb0EPKsPsPKlPlN2at6native12_GLOBAL__N_18offset_tEEE10hipError_tPvRmT1_PNSt15iterator_traitsIS12_E10value_typeET2_T3_PNS13_IS18_E10value_typeET4_jRbjT5_S1E_jjP12ihipStream_tbEUljE_ZNSN_ISO_Lb0ESQ_SR_ST_SU_SY_EESZ_S10_S11_S12_S16_S17_S18_S1B_S1C_jS1D_jS1E_S1E_jjS1G_bEUljE0_EEESZ_S10_S11_S18_S1C_S1E_T6_T7_T9_mT8_S1G_bDpT10_ENKUlT_T0_E_clISt17integral_constantIbLb0EES1T_IbLb1EEEEDaS1P_S1Q_EUlS1P_E_NS1_11comp_targetILNS1_3genE4ELNS1_11target_archE910ELNS1_3gpuE8ELNS1_3repE0EEENS1_30default_config_static_selectorELNS0_4arch9wavefront6targetE1EEEvS12_, .Lfunc_end976-_ZN7rocprim17ROCPRIM_400000_NS6detail17trampoline_kernelINS0_13select_configILj256ELj13ELNS0_17block_load_methodE3ELS4_3ELS4_3ELNS0_20block_scan_algorithmE0ELj4294967295EEENS1_25partition_config_selectorILNS1_17partition_subalgoE4EjNS0_10empty_typeEbEEZZNS1_14partition_implILS8_4ELb0ES6_15HIP_vector_typeIjLj2EENS0_17counting_iteratorIjlEEPS9_SG_NS0_5tupleIJPjSI_NS0_16reverse_iteratorISI_EEEEENSH_IJSG_SG_SG_EEES9_SI_JZNS1_25segmented_radix_sort_implINS0_14default_configELb0EPKsPsPKlPlN2at6native12_GLOBAL__N_18offset_tEEE10hipError_tPvRmT1_PNSt15iterator_traitsIS12_E10value_typeET2_T3_PNS13_IS18_E10value_typeET4_jRbjT5_S1E_jjP12ihipStream_tbEUljE_ZNSN_ISO_Lb0ESQ_SR_ST_SU_SY_EESZ_S10_S11_S12_S16_S17_S18_S1B_S1C_jS1D_jS1E_S1E_jjS1G_bEUljE0_EEESZ_S10_S11_S18_S1C_S1E_T6_T7_T9_mT8_S1G_bDpT10_ENKUlT_T0_E_clISt17integral_constantIbLb0EES1T_IbLb1EEEEDaS1P_S1Q_EUlS1P_E_NS1_11comp_targetILNS1_3genE4ELNS1_11target_archE910ELNS1_3gpuE8ELNS1_3repE0EEENS1_30default_config_static_selectorELNS0_4arch9wavefront6targetE1EEEvS12_
                                        ; -- End function
	.set _ZN7rocprim17ROCPRIM_400000_NS6detail17trampoline_kernelINS0_13select_configILj256ELj13ELNS0_17block_load_methodE3ELS4_3ELS4_3ELNS0_20block_scan_algorithmE0ELj4294967295EEENS1_25partition_config_selectorILNS1_17partition_subalgoE4EjNS0_10empty_typeEbEEZZNS1_14partition_implILS8_4ELb0ES6_15HIP_vector_typeIjLj2EENS0_17counting_iteratorIjlEEPS9_SG_NS0_5tupleIJPjSI_NS0_16reverse_iteratorISI_EEEEENSH_IJSG_SG_SG_EEES9_SI_JZNS1_25segmented_radix_sort_implINS0_14default_configELb0EPKsPsPKlPlN2at6native12_GLOBAL__N_18offset_tEEE10hipError_tPvRmT1_PNSt15iterator_traitsIS12_E10value_typeET2_T3_PNS13_IS18_E10value_typeET4_jRbjT5_S1E_jjP12ihipStream_tbEUljE_ZNSN_ISO_Lb0ESQ_SR_ST_SU_SY_EESZ_S10_S11_S12_S16_S17_S18_S1B_S1C_jS1D_jS1E_S1E_jjS1G_bEUljE0_EEESZ_S10_S11_S18_S1C_S1E_T6_T7_T9_mT8_S1G_bDpT10_ENKUlT_T0_E_clISt17integral_constantIbLb0EES1T_IbLb1EEEEDaS1P_S1Q_EUlS1P_E_NS1_11comp_targetILNS1_3genE4ELNS1_11target_archE910ELNS1_3gpuE8ELNS1_3repE0EEENS1_30default_config_static_selectorELNS0_4arch9wavefront6targetE1EEEvS12_.num_vgpr, 0
	.set _ZN7rocprim17ROCPRIM_400000_NS6detail17trampoline_kernelINS0_13select_configILj256ELj13ELNS0_17block_load_methodE3ELS4_3ELS4_3ELNS0_20block_scan_algorithmE0ELj4294967295EEENS1_25partition_config_selectorILNS1_17partition_subalgoE4EjNS0_10empty_typeEbEEZZNS1_14partition_implILS8_4ELb0ES6_15HIP_vector_typeIjLj2EENS0_17counting_iteratorIjlEEPS9_SG_NS0_5tupleIJPjSI_NS0_16reverse_iteratorISI_EEEEENSH_IJSG_SG_SG_EEES9_SI_JZNS1_25segmented_radix_sort_implINS0_14default_configELb0EPKsPsPKlPlN2at6native12_GLOBAL__N_18offset_tEEE10hipError_tPvRmT1_PNSt15iterator_traitsIS12_E10value_typeET2_T3_PNS13_IS18_E10value_typeET4_jRbjT5_S1E_jjP12ihipStream_tbEUljE_ZNSN_ISO_Lb0ESQ_SR_ST_SU_SY_EESZ_S10_S11_S12_S16_S17_S18_S1B_S1C_jS1D_jS1E_S1E_jjS1G_bEUljE0_EEESZ_S10_S11_S18_S1C_S1E_T6_T7_T9_mT8_S1G_bDpT10_ENKUlT_T0_E_clISt17integral_constantIbLb0EES1T_IbLb1EEEEDaS1P_S1Q_EUlS1P_E_NS1_11comp_targetILNS1_3genE4ELNS1_11target_archE910ELNS1_3gpuE8ELNS1_3repE0EEENS1_30default_config_static_selectorELNS0_4arch9wavefront6targetE1EEEvS12_.num_agpr, 0
	.set _ZN7rocprim17ROCPRIM_400000_NS6detail17trampoline_kernelINS0_13select_configILj256ELj13ELNS0_17block_load_methodE3ELS4_3ELS4_3ELNS0_20block_scan_algorithmE0ELj4294967295EEENS1_25partition_config_selectorILNS1_17partition_subalgoE4EjNS0_10empty_typeEbEEZZNS1_14partition_implILS8_4ELb0ES6_15HIP_vector_typeIjLj2EENS0_17counting_iteratorIjlEEPS9_SG_NS0_5tupleIJPjSI_NS0_16reverse_iteratorISI_EEEEENSH_IJSG_SG_SG_EEES9_SI_JZNS1_25segmented_radix_sort_implINS0_14default_configELb0EPKsPsPKlPlN2at6native12_GLOBAL__N_18offset_tEEE10hipError_tPvRmT1_PNSt15iterator_traitsIS12_E10value_typeET2_T3_PNS13_IS18_E10value_typeET4_jRbjT5_S1E_jjP12ihipStream_tbEUljE_ZNSN_ISO_Lb0ESQ_SR_ST_SU_SY_EESZ_S10_S11_S12_S16_S17_S18_S1B_S1C_jS1D_jS1E_S1E_jjS1G_bEUljE0_EEESZ_S10_S11_S18_S1C_S1E_T6_T7_T9_mT8_S1G_bDpT10_ENKUlT_T0_E_clISt17integral_constantIbLb0EES1T_IbLb1EEEEDaS1P_S1Q_EUlS1P_E_NS1_11comp_targetILNS1_3genE4ELNS1_11target_archE910ELNS1_3gpuE8ELNS1_3repE0EEENS1_30default_config_static_selectorELNS0_4arch9wavefront6targetE1EEEvS12_.numbered_sgpr, 0
	.set _ZN7rocprim17ROCPRIM_400000_NS6detail17trampoline_kernelINS0_13select_configILj256ELj13ELNS0_17block_load_methodE3ELS4_3ELS4_3ELNS0_20block_scan_algorithmE0ELj4294967295EEENS1_25partition_config_selectorILNS1_17partition_subalgoE4EjNS0_10empty_typeEbEEZZNS1_14partition_implILS8_4ELb0ES6_15HIP_vector_typeIjLj2EENS0_17counting_iteratorIjlEEPS9_SG_NS0_5tupleIJPjSI_NS0_16reverse_iteratorISI_EEEEENSH_IJSG_SG_SG_EEES9_SI_JZNS1_25segmented_radix_sort_implINS0_14default_configELb0EPKsPsPKlPlN2at6native12_GLOBAL__N_18offset_tEEE10hipError_tPvRmT1_PNSt15iterator_traitsIS12_E10value_typeET2_T3_PNS13_IS18_E10value_typeET4_jRbjT5_S1E_jjP12ihipStream_tbEUljE_ZNSN_ISO_Lb0ESQ_SR_ST_SU_SY_EESZ_S10_S11_S12_S16_S17_S18_S1B_S1C_jS1D_jS1E_S1E_jjS1G_bEUljE0_EEESZ_S10_S11_S18_S1C_S1E_T6_T7_T9_mT8_S1G_bDpT10_ENKUlT_T0_E_clISt17integral_constantIbLb0EES1T_IbLb1EEEEDaS1P_S1Q_EUlS1P_E_NS1_11comp_targetILNS1_3genE4ELNS1_11target_archE910ELNS1_3gpuE8ELNS1_3repE0EEENS1_30default_config_static_selectorELNS0_4arch9wavefront6targetE1EEEvS12_.num_named_barrier, 0
	.set _ZN7rocprim17ROCPRIM_400000_NS6detail17trampoline_kernelINS0_13select_configILj256ELj13ELNS0_17block_load_methodE3ELS4_3ELS4_3ELNS0_20block_scan_algorithmE0ELj4294967295EEENS1_25partition_config_selectorILNS1_17partition_subalgoE4EjNS0_10empty_typeEbEEZZNS1_14partition_implILS8_4ELb0ES6_15HIP_vector_typeIjLj2EENS0_17counting_iteratorIjlEEPS9_SG_NS0_5tupleIJPjSI_NS0_16reverse_iteratorISI_EEEEENSH_IJSG_SG_SG_EEES9_SI_JZNS1_25segmented_radix_sort_implINS0_14default_configELb0EPKsPsPKlPlN2at6native12_GLOBAL__N_18offset_tEEE10hipError_tPvRmT1_PNSt15iterator_traitsIS12_E10value_typeET2_T3_PNS13_IS18_E10value_typeET4_jRbjT5_S1E_jjP12ihipStream_tbEUljE_ZNSN_ISO_Lb0ESQ_SR_ST_SU_SY_EESZ_S10_S11_S12_S16_S17_S18_S1B_S1C_jS1D_jS1E_S1E_jjS1G_bEUljE0_EEESZ_S10_S11_S18_S1C_S1E_T6_T7_T9_mT8_S1G_bDpT10_ENKUlT_T0_E_clISt17integral_constantIbLb0EES1T_IbLb1EEEEDaS1P_S1Q_EUlS1P_E_NS1_11comp_targetILNS1_3genE4ELNS1_11target_archE910ELNS1_3gpuE8ELNS1_3repE0EEENS1_30default_config_static_selectorELNS0_4arch9wavefront6targetE1EEEvS12_.private_seg_size, 0
	.set _ZN7rocprim17ROCPRIM_400000_NS6detail17trampoline_kernelINS0_13select_configILj256ELj13ELNS0_17block_load_methodE3ELS4_3ELS4_3ELNS0_20block_scan_algorithmE0ELj4294967295EEENS1_25partition_config_selectorILNS1_17partition_subalgoE4EjNS0_10empty_typeEbEEZZNS1_14partition_implILS8_4ELb0ES6_15HIP_vector_typeIjLj2EENS0_17counting_iteratorIjlEEPS9_SG_NS0_5tupleIJPjSI_NS0_16reverse_iteratorISI_EEEEENSH_IJSG_SG_SG_EEES9_SI_JZNS1_25segmented_radix_sort_implINS0_14default_configELb0EPKsPsPKlPlN2at6native12_GLOBAL__N_18offset_tEEE10hipError_tPvRmT1_PNSt15iterator_traitsIS12_E10value_typeET2_T3_PNS13_IS18_E10value_typeET4_jRbjT5_S1E_jjP12ihipStream_tbEUljE_ZNSN_ISO_Lb0ESQ_SR_ST_SU_SY_EESZ_S10_S11_S12_S16_S17_S18_S1B_S1C_jS1D_jS1E_S1E_jjS1G_bEUljE0_EEESZ_S10_S11_S18_S1C_S1E_T6_T7_T9_mT8_S1G_bDpT10_ENKUlT_T0_E_clISt17integral_constantIbLb0EES1T_IbLb1EEEEDaS1P_S1Q_EUlS1P_E_NS1_11comp_targetILNS1_3genE4ELNS1_11target_archE910ELNS1_3gpuE8ELNS1_3repE0EEENS1_30default_config_static_selectorELNS0_4arch9wavefront6targetE1EEEvS12_.uses_vcc, 0
	.set _ZN7rocprim17ROCPRIM_400000_NS6detail17trampoline_kernelINS0_13select_configILj256ELj13ELNS0_17block_load_methodE3ELS4_3ELS4_3ELNS0_20block_scan_algorithmE0ELj4294967295EEENS1_25partition_config_selectorILNS1_17partition_subalgoE4EjNS0_10empty_typeEbEEZZNS1_14partition_implILS8_4ELb0ES6_15HIP_vector_typeIjLj2EENS0_17counting_iteratorIjlEEPS9_SG_NS0_5tupleIJPjSI_NS0_16reverse_iteratorISI_EEEEENSH_IJSG_SG_SG_EEES9_SI_JZNS1_25segmented_radix_sort_implINS0_14default_configELb0EPKsPsPKlPlN2at6native12_GLOBAL__N_18offset_tEEE10hipError_tPvRmT1_PNSt15iterator_traitsIS12_E10value_typeET2_T3_PNS13_IS18_E10value_typeET4_jRbjT5_S1E_jjP12ihipStream_tbEUljE_ZNSN_ISO_Lb0ESQ_SR_ST_SU_SY_EESZ_S10_S11_S12_S16_S17_S18_S1B_S1C_jS1D_jS1E_S1E_jjS1G_bEUljE0_EEESZ_S10_S11_S18_S1C_S1E_T6_T7_T9_mT8_S1G_bDpT10_ENKUlT_T0_E_clISt17integral_constantIbLb0EES1T_IbLb1EEEEDaS1P_S1Q_EUlS1P_E_NS1_11comp_targetILNS1_3genE4ELNS1_11target_archE910ELNS1_3gpuE8ELNS1_3repE0EEENS1_30default_config_static_selectorELNS0_4arch9wavefront6targetE1EEEvS12_.uses_flat_scratch, 0
	.set _ZN7rocprim17ROCPRIM_400000_NS6detail17trampoline_kernelINS0_13select_configILj256ELj13ELNS0_17block_load_methodE3ELS4_3ELS4_3ELNS0_20block_scan_algorithmE0ELj4294967295EEENS1_25partition_config_selectorILNS1_17partition_subalgoE4EjNS0_10empty_typeEbEEZZNS1_14partition_implILS8_4ELb0ES6_15HIP_vector_typeIjLj2EENS0_17counting_iteratorIjlEEPS9_SG_NS0_5tupleIJPjSI_NS0_16reverse_iteratorISI_EEEEENSH_IJSG_SG_SG_EEES9_SI_JZNS1_25segmented_radix_sort_implINS0_14default_configELb0EPKsPsPKlPlN2at6native12_GLOBAL__N_18offset_tEEE10hipError_tPvRmT1_PNSt15iterator_traitsIS12_E10value_typeET2_T3_PNS13_IS18_E10value_typeET4_jRbjT5_S1E_jjP12ihipStream_tbEUljE_ZNSN_ISO_Lb0ESQ_SR_ST_SU_SY_EESZ_S10_S11_S12_S16_S17_S18_S1B_S1C_jS1D_jS1E_S1E_jjS1G_bEUljE0_EEESZ_S10_S11_S18_S1C_S1E_T6_T7_T9_mT8_S1G_bDpT10_ENKUlT_T0_E_clISt17integral_constantIbLb0EES1T_IbLb1EEEEDaS1P_S1Q_EUlS1P_E_NS1_11comp_targetILNS1_3genE4ELNS1_11target_archE910ELNS1_3gpuE8ELNS1_3repE0EEENS1_30default_config_static_selectorELNS0_4arch9wavefront6targetE1EEEvS12_.has_dyn_sized_stack, 0
	.set _ZN7rocprim17ROCPRIM_400000_NS6detail17trampoline_kernelINS0_13select_configILj256ELj13ELNS0_17block_load_methodE3ELS4_3ELS4_3ELNS0_20block_scan_algorithmE0ELj4294967295EEENS1_25partition_config_selectorILNS1_17partition_subalgoE4EjNS0_10empty_typeEbEEZZNS1_14partition_implILS8_4ELb0ES6_15HIP_vector_typeIjLj2EENS0_17counting_iteratorIjlEEPS9_SG_NS0_5tupleIJPjSI_NS0_16reverse_iteratorISI_EEEEENSH_IJSG_SG_SG_EEES9_SI_JZNS1_25segmented_radix_sort_implINS0_14default_configELb0EPKsPsPKlPlN2at6native12_GLOBAL__N_18offset_tEEE10hipError_tPvRmT1_PNSt15iterator_traitsIS12_E10value_typeET2_T3_PNS13_IS18_E10value_typeET4_jRbjT5_S1E_jjP12ihipStream_tbEUljE_ZNSN_ISO_Lb0ESQ_SR_ST_SU_SY_EESZ_S10_S11_S12_S16_S17_S18_S1B_S1C_jS1D_jS1E_S1E_jjS1G_bEUljE0_EEESZ_S10_S11_S18_S1C_S1E_T6_T7_T9_mT8_S1G_bDpT10_ENKUlT_T0_E_clISt17integral_constantIbLb0EES1T_IbLb1EEEEDaS1P_S1Q_EUlS1P_E_NS1_11comp_targetILNS1_3genE4ELNS1_11target_archE910ELNS1_3gpuE8ELNS1_3repE0EEENS1_30default_config_static_selectorELNS0_4arch9wavefront6targetE1EEEvS12_.has_recursion, 0
	.set _ZN7rocprim17ROCPRIM_400000_NS6detail17trampoline_kernelINS0_13select_configILj256ELj13ELNS0_17block_load_methodE3ELS4_3ELS4_3ELNS0_20block_scan_algorithmE0ELj4294967295EEENS1_25partition_config_selectorILNS1_17partition_subalgoE4EjNS0_10empty_typeEbEEZZNS1_14partition_implILS8_4ELb0ES6_15HIP_vector_typeIjLj2EENS0_17counting_iteratorIjlEEPS9_SG_NS0_5tupleIJPjSI_NS0_16reverse_iteratorISI_EEEEENSH_IJSG_SG_SG_EEES9_SI_JZNS1_25segmented_radix_sort_implINS0_14default_configELb0EPKsPsPKlPlN2at6native12_GLOBAL__N_18offset_tEEE10hipError_tPvRmT1_PNSt15iterator_traitsIS12_E10value_typeET2_T3_PNS13_IS18_E10value_typeET4_jRbjT5_S1E_jjP12ihipStream_tbEUljE_ZNSN_ISO_Lb0ESQ_SR_ST_SU_SY_EESZ_S10_S11_S12_S16_S17_S18_S1B_S1C_jS1D_jS1E_S1E_jjS1G_bEUljE0_EEESZ_S10_S11_S18_S1C_S1E_T6_T7_T9_mT8_S1G_bDpT10_ENKUlT_T0_E_clISt17integral_constantIbLb0EES1T_IbLb1EEEEDaS1P_S1Q_EUlS1P_E_NS1_11comp_targetILNS1_3genE4ELNS1_11target_archE910ELNS1_3gpuE8ELNS1_3repE0EEENS1_30default_config_static_selectorELNS0_4arch9wavefront6targetE1EEEvS12_.has_indirect_call, 0
	.section	.AMDGPU.csdata,"",@progbits
; Kernel info:
; codeLenInByte = 0
; TotalNumSgprs: 4
; NumVgprs: 0
; ScratchSize: 0
; MemoryBound: 0
; FloatMode: 240
; IeeeMode: 1
; LDSByteSize: 0 bytes/workgroup (compile time only)
; SGPRBlocks: 0
; VGPRBlocks: 0
; NumSGPRsForWavesPerEU: 4
; NumVGPRsForWavesPerEU: 1
; Occupancy: 10
; WaveLimiterHint : 0
; COMPUTE_PGM_RSRC2:SCRATCH_EN: 0
; COMPUTE_PGM_RSRC2:USER_SGPR: 6
; COMPUTE_PGM_RSRC2:TRAP_HANDLER: 0
; COMPUTE_PGM_RSRC2:TGID_X_EN: 1
; COMPUTE_PGM_RSRC2:TGID_Y_EN: 0
; COMPUTE_PGM_RSRC2:TGID_Z_EN: 0
; COMPUTE_PGM_RSRC2:TIDIG_COMP_CNT: 0
	.section	.text._ZN7rocprim17ROCPRIM_400000_NS6detail17trampoline_kernelINS0_13select_configILj256ELj13ELNS0_17block_load_methodE3ELS4_3ELS4_3ELNS0_20block_scan_algorithmE0ELj4294967295EEENS1_25partition_config_selectorILNS1_17partition_subalgoE4EjNS0_10empty_typeEbEEZZNS1_14partition_implILS8_4ELb0ES6_15HIP_vector_typeIjLj2EENS0_17counting_iteratorIjlEEPS9_SG_NS0_5tupleIJPjSI_NS0_16reverse_iteratorISI_EEEEENSH_IJSG_SG_SG_EEES9_SI_JZNS1_25segmented_radix_sort_implINS0_14default_configELb0EPKsPsPKlPlN2at6native12_GLOBAL__N_18offset_tEEE10hipError_tPvRmT1_PNSt15iterator_traitsIS12_E10value_typeET2_T3_PNS13_IS18_E10value_typeET4_jRbjT5_S1E_jjP12ihipStream_tbEUljE_ZNSN_ISO_Lb0ESQ_SR_ST_SU_SY_EESZ_S10_S11_S12_S16_S17_S18_S1B_S1C_jS1D_jS1E_S1E_jjS1G_bEUljE0_EEESZ_S10_S11_S18_S1C_S1E_T6_T7_T9_mT8_S1G_bDpT10_ENKUlT_T0_E_clISt17integral_constantIbLb0EES1T_IbLb1EEEEDaS1P_S1Q_EUlS1P_E_NS1_11comp_targetILNS1_3genE3ELNS1_11target_archE908ELNS1_3gpuE7ELNS1_3repE0EEENS1_30default_config_static_selectorELNS0_4arch9wavefront6targetE1EEEvS12_,"axG",@progbits,_ZN7rocprim17ROCPRIM_400000_NS6detail17trampoline_kernelINS0_13select_configILj256ELj13ELNS0_17block_load_methodE3ELS4_3ELS4_3ELNS0_20block_scan_algorithmE0ELj4294967295EEENS1_25partition_config_selectorILNS1_17partition_subalgoE4EjNS0_10empty_typeEbEEZZNS1_14partition_implILS8_4ELb0ES6_15HIP_vector_typeIjLj2EENS0_17counting_iteratorIjlEEPS9_SG_NS0_5tupleIJPjSI_NS0_16reverse_iteratorISI_EEEEENSH_IJSG_SG_SG_EEES9_SI_JZNS1_25segmented_radix_sort_implINS0_14default_configELb0EPKsPsPKlPlN2at6native12_GLOBAL__N_18offset_tEEE10hipError_tPvRmT1_PNSt15iterator_traitsIS12_E10value_typeET2_T3_PNS13_IS18_E10value_typeET4_jRbjT5_S1E_jjP12ihipStream_tbEUljE_ZNSN_ISO_Lb0ESQ_SR_ST_SU_SY_EESZ_S10_S11_S12_S16_S17_S18_S1B_S1C_jS1D_jS1E_S1E_jjS1G_bEUljE0_EEESZ_S10_S11_S18_S1C_S1E_T6_T7_T9_mT8_S1G_bDpT10_ENKUlT_T0_E_clISt17integral_constantIbLb0EES1T_IbLb1EEEEDaS1P_S1Q_EUlS1P_E_NS1_11comp_targetILNS1_3genE3ELNS1_11target_archE908ELNS1_3gpuE7ELNS1_3repE0EEENS1_30default_config_static_selectorELNS0_4arch9wavefront6targetE1EEEvS12_,comdat
	.globl	_ZN7rocprim17ROCPRIM_400000_NS6detail17trampoline_kernelINS0_13select_configILj256ELj13ELNS0_17block_load_methodE3ELS4_3ELS4_3ELNS0_20block_scan_algorithmE0ELj4294967295EEENS1_25partition_config_selectorILNS1_17partition_subalgoE4EjNS0_10empty_typeEbEEZZNS1_14partition_implILS8_4ELb0ES6_15HIP_vector_typeIjLj2EENS0_17counting_iteratorIjlEEPS9_SG_NS0_5tupleIJPjSI_NS0_16reverse_iteratorISI_EEEEENSH_IJSG_SG_SG_EEES9_SI_JZNS1_25segmented_radix_sort_implINS0_14default_configELb0EPKsPsPKlPlN2at6native12_GLOBAL__N_18offset_tEEE10hipError_tPvRmT1_PNSt15iterator_traitsIS12_E10value_typeET2_T3_PNS13_IS18_E10value_typeET4_jRbjT5_S1E_jjP12ihipStream_tbEUljE_ZNSN_ISO_Lb0ESQ_SR_ST_SU_SY_EESZ_S10_S11_S12_S16_S17_S18_S1B_S1C_jS1D_jS1E_S1E_jjS1G_bEUljE0_EEESZ_S10_S11_S18_S1C_S1E_T6_T7_T9_mT8_S1G_bDpT10_ENKUlT_T0_E_clISt17integral_constantIbLb0EES1T_IbLb1EEEEDaS1P_S1Q_EUlS1P_E_NS1_11comp_targetILNS1_3genE3ELNS1_11target_archE908ELNS1_3gpuE7ELNS1_3repE0EEENS1_30default_config_static_selectorELNS0_4arch9wavefront6targetE1EEEvS12_ ; -- Begin function _ZN7rocprim17ROCPRIM_400000_NS6detail17trampoline_kernelINS0_13select_configILj256ELj13ELNS0_17block_load_methodE3ELS4_3ELS4_3ELNS0_20block_scan_algorithmE0ELj4294967295EEENS1_25partition_config_selectorILNS1_17partition_subalgoE4EjNS0_10empty_typeEbEEZZNS1_14partition_implILS8_4ELb0ES6_15HIP_vector_typeIjLj2EENS0_17counting_iteratorIjlEEPS9_SG_NS0_5tupleIJPjSI_NS0_16reverse_iteratorISI_EEEEENSH_IJSG_SG_SG_EEES9_SI_JZNS1_25segmented_radix_sort_implINS0_14default_configELb0EPKsPsPKlPlN2at6native12_GLOBAL__N_18offset_tEEE10hipError_tPvRmT1_PNSt15iterator_traitsIS12_E10value_typeET2_T3_PNS13_IS18_E10value_typeET4_jRbjT5_S1E_jjP12ihipStream_tbEUljE_ZNSN_ISO_Lb0ESQ_SR_ST_SU_SY_EESZ_S10_S11_S12_S16_S17_S18_S1B_S1C_jS1D_jS1E_S1E_jjS1G_bEUljE0_EEESZ_S10_S11_S18_S1C_S1E_T6_T7_T9_mT8_S1G_bDpT10_ENKUlT_T0_E_clISt17integral_constantIbLb0EES1T_IbLb1EEEEDaS1P_S1Q_EUlS1P_E_NS1_11comp_targetILNS1_3genE3ELNS1_11target_archE908ELNS1_3gpuE7ELNS1_3repE0EEENS1_30default_config_static_selectorELNS0_4arch9wavefront6targetE1EEEvS12_
	.p2align	8
	.type	_ZN7rocprim17ROCPRIM_400000_NS6detail17trampoline_kernelINS0_13select_configILj256ELj13ELNS0_17block_load_methodE3ELS4_3ELS4_3ELNS0_20block_scan_algorithmE0ELj4294967295EEENS1_25partition_config_selectorILNS1_17partition_subalgoE4EjNS0_10empty_typeEbEEZZNS1_14partition_implILS8_4ELb0ES6_15HIP_vector_typeIjLj2EENS0_17counting_iteratorIjlEEPS9_SG_NS0_5tupleIJPjSI_NS0_16reverse_iteratorISI_EEEEENSH_IJSG_SG_SG_EEES9_SI_JZNS1_25segmented_radix_sort_implINS0_14default_configELb0EPKsPsPKlPlN2at6native12_GLOBAL__N_18offset_tEEE10hipError_tPvRmT1_PNSt15iterator_traitsIS12_E10value_typeET2_T3_PNS13_IS18_E10value_typeET4_jRbjT5_S1E_jjP12ihipStream_tbEUljE_ZNSN_ISO_Lb0ESQ_SR_ST_SU_SY_EESZ_S10_S11_S12_S16_S17_S18_S1B_S1C_jS1D_jS1E_S1E_jjS1G_bEUljE0_EEESZ_S10_S11_S18_S1C_S1E_T6_T7_T9_mT8_S1G_bDpT10_ENKUlT_T0_E_clISt17integral_constantIbLb0EES1T_IbLb1EEEEDaS1P_S1Q_EUlS1P_E_NS1_11comp_targetILNS1_3genE3ELNS1_11target_archE908ELNS1_3gpuE7ELNS1_3repE0EEENS1_30default_config_static_selectorELNS0_4arch9wavefront6targetE1EEEvS12_,@function
_ZN7rocprim17ROCPRIM_400000_NS6detail17trampoline_kernelINS0_13select_configILj256ELj13ELNS0_17block_load_methodE3ELS4_3ELS4_3ELNS0_20block_scan_algorithmE0ELj4294967295EEENS1_25partition_config_selectorILNS1_17partition_subalgoE4EjNS0_10empty_typeEbEEZZNS1_14partition_implILS8_4ELb0ES6_15HIP_vector_typeIjLj2EENS0_17counting_iteratorIjlEEPS9_SG_NS0_5tupleIJPjSI_NS0_16reverse_iteratorISI_EEEEENSH_IJSG_SG_SG_EEES9_SI_JZNS1_25segmented_radix_sort_implINS0_14default_configELb0EPKsPsPKlPlN2at6native12_GLOBAL__N_18offset_tEEE10hipError_tPvRmT1_PNSt15iterator_traitsIS12_E10value_typeET2_T3_PNS13_IS18_E10value_typeET4_jRbjT5_S1E_jjP12ihipStream_tbEUljE_ZNSN_ISO_Lb0ESQ_SR_ST_SU_SY_EESZ_S10_S11_S12_S16_S17_S18_S1B_S1C_jS1D_jS1E_S1E_jjS1G_bEUljE0_EEESZ_S10_S11_S18_S1C_S1E_T6_T7_T9_mT8_S1G_bDpT10_ENKUlT_T0_E_clISt17integral_constantIbLb0EES1T_IbLb1EEEEDaS1P_S1Q_EUlS1P_E_NS1_11comp_targetILNS1_3genE3ELNS1_11target_archE908ELNS1_3gpuE7ELNS1_3repE0EEENS1_30default_config_static_selectorELNS0_4arch9wavefront6targetE1EEEvS12_: ; @_ZN7rocprim17ROCPRIM_400000_NS6detail17trampoline_kernelINS0_13select_configILj256ELj13ELNS0_17block_load_methodE3ELS4_3ELS4_3ELNS0_20block_scan_algorithmE0ELj4294967295EEENS1_25partition_config_selectorILNS1_17partition_subalgoE4EjNS0_10empty_typeEbEEZZNS1_14partition_implILS8_4ELb0ES6_15HIP_vector_typeIjLj2EENS0_17counting_iteratorIjlEEPS9_SG_NS0_5tupleIJPjSI_NS0_16reverse_iteratorISI_EEEEENSH_IJSG_SG_SG_EEES9_SI_JZNS1_25segmented_radix_sort_implINS0_14default_configELb0EPKsPsPKlPlN2at6native12_GLOBAL__N_18offset_tEEE10hipError_tPvRmT1_PNSt15iterator_traitsIS12_E10value_typeET2_T3_PNS13_IS18_E10value_typeET4_jRbjT5_S1E_jjP12ihipStream_tbEUljE_ZNSN_ISO_Lb0ESQ_SR_ST_SU_SY_EESZ_S10_S11_S12_S16_S17_S18_S1B_S1C_jS1D_jS1E_S1E_jjS1G_bEUljE0_EEESZ_S10_S11_S18_S1C_S1E_T6_T7_T9_mT8_S1G_bDpT10_ENKUlT_T0_E_clISt17integral_constantIbLb0EES1T_IbLb1EEEEDaS1P_S1Q_EUlS1P_E_NS1_11comp_targetILNS1_3genE3ELNS1_11target_archE908ELNS1_3gpuE7ELNS1_3repE0EEENS1_30default_config_static_selectorELNS0_4arch9wavefront6targetE1EEEvS12_
; %bb.0:
	.section	.rodata,"a",@progbits
	.p2align	6, 0x0
	.amdhsa_kernel _ZN7rocprim17ROCPRIM_400000_NS6detail17trampoline_kernelINS0_13select_configILj256ELj13ELNS0_17block_load_methodE3ELS4_3ELS4_3ELNS0_20block_scan_algorithmE0ELj4294967295EEENS1_25partition_config_selectorILNS1_17partition_subalgoE4EjNS0_10empty_typeEbEEZZNS1_14partition_implILS8_4ELb0ES6_15HIP_vector_typeIjLj2EENS0_17counting_iteratorIjlEEPS9_SG_NS0_5tupleIJPjSI_NS0_16reverse_iteratorISI_EEEEENSH_IJSG_SG_SG_EEES9_SI_JZNS1_25segmented_radix_sort_implINS0_14default_configELb0EPKsPsPKlPlN2at6native12_GLOBAL__N_18offset_tEEE10hipError_tPvRmT1_PNSt15iterator_traitsIS12_E10value_typeET2_T3_PNS13_IS18_E10value_typeET4_jRbjT5_S1E_jjP12ihipStream_tbEUljE_ZNSN_ISO_Lb0ESQ_SR_ST_SU_SY_EESZ_S10_S11_S12_S16_S17_S18_S1B_S1C_jS1D_jS1E_S1E_jjS1G_bEUljE0_EEESZ_S10_S11_S18_S1C_S1E_T6_T7_T9_mT8_S1G_bDpT10_ENKUlT_T0_E_clISt17integral_constantIbLb0EES1T_IbLb1EEEEDaS1P_S1Q_EUlS1P_E_NS1_11comp_targetILNS1_3genE3ELNS1_11target_archE908ELNS1_3gpuE7ELNS1_3repE0EEENS1_30default_config_static_selectorELNS0_4arch9wavefront6targetE1EEEvS12_
		.amdhsa_group_segment_fixed_size 0
		.amdhsa_private_segment_fixed_size 0
		.amdhsa_kernarg_size 184
		.amdhsa_user_sgpr_count 6
		.amdhsa_user_sgpr_private_segment_buffer 1
		.amdhsa_user_sgpr_dispatch_ptr 0
		.amdhsa_user_sgpr_queue_ptr 0
		.amdhsa_user_sgpr_kernarg_segment_ptr 1
		.amdhsa_user_sgpr_dispatch_id 0
		.amdhsa_user_sgpr_flat_scratch_init 0
		.amdhsa_user_sgpr_private_segment_size 0
		.amdhsa_uses_dynamic_stack 0
		.amdhsa_system_sgpr_private_segment_wavefront_offset 0
		.amdhsa_system_sgpr_workgroup_id_x 1
		.amdhsa_system_sgpr_workgroup_id_y 0
		.amdhsa_system_sgpr_workgroup_id_z 0
		.amdhsa_system_sgpr_workgroup_info 0
		.amdhsa_system_vgpr_workitem_id 0
		.amdhsa_next_free_vgpr 1
		.amdhsa_next_free_sgpr 0
		.amdhsa_reserve_vcc 0
		.amdhsa_reserve_flat_scratch 0
		.amdhsa_float_round_mode_32 0
		.amdhsa_float_round_mode_16_64 0
		.amdhsa_float_denorm_mode_32 3
		.amdhsa_float_denorm_mode_16_64 3
		.amdhsa_dx10_clamp 1
		.amdhsa_ieee_mode 1
		.amdhsa_fp16_overflow 0
		.amdhsa_exception_fp_ieee_invalid_op 0
		.amdhsa_exception_fp_denorm_src 0
		.amdhsa_exception_fp_ieee_div_zero 0
		.amdhsa_exception_fp_ieee_overflow 0
		.amdhsa_exception_fp_ieee_underflow 0
		.amdhsa_exception_fp_ieee_inexact 0
		.amdhsa_exception_int_div_zero 0
	.end_amdhsa_kernel
	.section	.text._ZN7rocprim17ROCPRIM_400000_NS6detail17trampoline_kernelINS0_13select_configILj256ELj13ELNS0_17block_load_methodE3ELS4_3ELS4_3ELNS0_20block_scan_algorithmE0ELj4294967295EEENS1_25partition_config_selectorILNS1_17partition_subalgoE4EjNS0_10empty_typeEbEEZZNS1_14partition_implILS8_4ELb0ES6_15HIP_vector_typeIjLj2EENS0_17counting_iteratorIjlEEPS9_SG_NS0_5tupleIJPjSI_NS0_16reverse_iteratorISI_EEEEENSH_IJSG_SG_SG_EEES9_SI_JZNS1_25segmented_radix_sort_implINS0_14default_configELb0EPKsPsPKlPlN2at6native12_GLOBAL__N_18offset_tEEE10hipError_tPvRmT1_PNSt15iterator_traitsIS12_E10value_typeET2_T3_PNS13_IS18_E10value_typeET4_jRbjT5_S1E_jjP12ihipStream_tbEUljE_ZNSN_ISO_Lb0ESQ_SR_ST_SU_SY_EESZ_S10_S11_S12_S16_S17_S18_S1B_S1C_jS1D_jS1E_S1E_jjS1G_bEUljE0_EEESZ_S10_S11_S18_S1C_S1E_T6_T7_T9_mT8_S1G_bDpT10_ENKUlT_T0_E_clISt17integral_constantIbLb0EES1T_IbLb1EEEEDaS1P_S1Q_EUlS1P_E_NS1_11comp_targetILNS1_3genE3ELNS1_11target_archE908ELNS1_3gpuE7ELNS1_3repE0EEENS1_30default_config_static_selectorELNS0_4arch9wavefront6targetE1EEEvS12_,"axG",@progbits,_ZN7rocprim17ROCPRIM_400000_NS6detail17trampoline_kernelINS0_13select_configILj256ELj13ELNS0_17block_load_methodE3ELS4_3ELS4_3ELNS0_20block_scan_algorithmE0ELj4294967295EEENS1_25partition_config_selectorILNS1_17partition_subalgoE4EjNS0_10empty_typeEbEEZZNS1_14partition_implILS8_4ELb0ES6_15HIP_vector_typeIjLj2EENS0_17counting_iteratorIjlEEPS9_SG_NS0_5tupleIJPjSI_NS0_16reverse_iteratorISI_EEEEENSH_IJSG_SG_SG_EEES9_SI_JZNS1_25segmented_radix_sort_implINS0_14default_configELb0EPKsPsPKlPlN2at6native12_GLOBAL__N_18offset_tEEE10hipError_tPvRmT1_PNSt15iterator_traitsIS12_E10value_typeET2_T3_PNS13_IS18_E10value_typeET4_jRbjT5_S1E_jjP12ihipStream_tbEUljE_ZNSN_ISO_Lb0ESQ_SR_ST_SU_SY_EESZ_S10_S11_S12_S16_S17_S18_S1B_S1C_jS1D_jS1E_S1E_jjS1G_bEUljE0_EEESZ_S10_S11_S18_S1C_S1E_T6_T7_T9_mT8_S1G_bDpT10_ENKUlT_T0_E_clISt17integral_constantIbLb0EES1T_IbLb1EEEEDaS1P_S1Q_EUlS1P_E_NS1_11comp_targetILNS1_3genE3ELNS1_11target_archE908ELNS1_3gpuE7ELNS1_3repE0EEENS1_30default_config_static_selectorELNS0_4arch9wavefront6targetE1EEEvS12_,comdat
.Lfunc_end977:
	.size	_ZN7rocprim17ROCPRIM_400000_NS6detail17trampoline_kernelINS0_13select_configILj256ELj13ELNS0_17block_load_methodE3ELS4_3ELS4_3ELNS0_20block_scan_algorithmE0ELj4294967295EEENS1_25partition_config_selectorILNS1_17partition_subalgoE4EjNS0_10empty_typeEbEEZZNS1_14partition_implILS8_4ELb0ES6_15HIP_vector_typeIjLj2EENS0_17counting_iteratorIjlEEPS9_SG_NS0_5tupleIJPjSI_NS0_16reverse_iteratorISI_EEEEENSH_IJSG_SG_SG_EEES9_SI_JZNS1_25segmented_radix_sort_implINS0_14default_configELb0EPKsPsPKlPlN2at6native12_GLOBAL__N_18offset_tEEE10hipError_tPvRmT1_PNSt15iterator_traitsIS12_E10value_typeET2_T3_PNS13_IS18_E10value_typeET4_jRbjT5_S1E_jjP12ihipStream_tbEUljE_ZNSN_ISO_Lb0ESQ_SR_ST_SU_SY_EESZ_S10_S11_S12_S16_S17_S18_S1B_S1C_jS1D_jS1E_S1E_jjS1G_bEUljE0_EEESZ_S10_S11_S18_S1C_S1E_T6_T7_T9_mT8_S1G_bDpT10_ENKUlT_T0_E_clISt17integral_constantIbLb0EES1T_IbLb1EEEEDaS1P_S1Q_EUlS1P_E_NS1_11comp_targetILNS1_3genE3ELNS1_11target_archE908ELNS1_3gpuE7ELNS1_3repE0EEENS1_30default_config_static_selectorELNS0_4arch9wavefront6targetE1EEEvS12_, .Lfunc_end977-_ZN7rocprim17ROCPRIM_400000_NS6detail17trampoline_kernelINS0_13select_configILj256ELj13ELNS0_17block_load_methodE3ELS4_3ELS4_3ELNS0_20block_scan_algorithmE0ELj4294967295EEENS1_25partition_config_selectorILNS1_17partition_subalgoE4EjNS0_10empty_typeEbEEZZNS1_14partition_implILS8_4ELb0ES6_15HIP_vector_typeIjLj2EENS0_17counting_iteratorIjlEEPS9_SG_NS0_5tupleIJPjSI_NS0_16reverse_iteratorISI_EEEEENSH_IJSG_SG_SG_EEES9_SI_JZNS1_25segmented_radix_sort_implINS0_14default_configELb0EPKsPsPKlPlN2at6native12_GLOBAL__N_18offset_tEEE10hipError_tPvRmT1_PNSt15iterator_traitsIS12_E10value_typeET2_T3_PNS13_IS18_E10value_typeET4_jRbjT5_S1E_jjP12ihipStream_tbEUljE_ZNSN_ISO_Lb0ESQ_SR_ST_SU_SY_EESZ_S10_S11_S12_S16_S17_S18_S1B_S1C_jS1D_jS1E_S1E_jjS1G_bEUljE0_EEESZ_S10_S11_S18_S1C_S1E_T6_T7_T9_mT8_S1G_bDpT10_ENKUlT_T0_E_clISt17integral_constantIbLb0EES1T_IbLb1EEEEDaS1P_S1Q_EUlS1P_E_NS1_11comp_targetILNS1_3genE3ELNS1_11target_archE908ELNS1_3gpuE7ELNS1_3repE0EEENS1_30default_config_static_selectorELNS0_4arch9wavefront6targetE1EEEvS12_
                                        ; -- End function
	.set _ZN7rocprim17ROCPRIM_400000_NS6detail17trampoline_kernelINS0_13select_configILj256ELj13ELNS0_17block_load_methodE3ELS4_3ELS4_3ELNS0_20block_scan_algorithmE0ELj4294967295EEENS1_25partition_config_selectorILNS1_17partition_subalgoE4EjNS0_10empty_typeEbEEZZNS1_14partition_implILS8_4ELb0ES6_15HIP_vector_typeIjLj2EENS0_17counting_iteratorIjlEEPS9_SG_NS0_5tupleIJPjSI_NS0_16reverse_iteratorISI_EEEEENSH_IJSG_SG_SG_EEES9_SI_JZNS1_25segmented_radix_sort_implINS0_14default_configELb0EPKsPsPKlPlN2at6native12_GLOBAL__N_18offset_tEEE10hipError_tPvRmT1_PNSt15iterator_traitsIS12_E10value_typeET2_T3_PNS13_IS18_E10value_typeET4_jRbjT5_S1E_jjP12ihipStream_tbEUljE_ZNSN_ISO_Lb0ESQ_SR_ST_SU_SY_EESZ_S10_S11_S12_S16_S17_S18_S1B_S1C_jS1D_jS1E_S1E_jjS1G_bEUljE0_EEESZ_S10_S11_S18_S1C_S1E_T6_T7_T9_mT8_S1G_bDpT10_ENKUlT_T0_E_clISt17integral_constantIbLb0EES1T_IbLb1EEEEDaS1P_S1Q_EUlS1P_E_NS1_11comp_targetILNS1_3genE3ELNS1_11target_archE908ELNS1_3gpuE7ELNS1_3repE0EEENS1_30default_config_static_selectorELNS0_4arch9wavefront6targetE1EEEvS12_.num_vgpr, 0
	.set _ZN7rocprim17ROCPRIM_400000_NS6detail17trampoline_kernelINS0_13select_configILj256ELj13ELNS0_17block_load_methodE3ELS4_3ELS4_3ELNS0_20block_scan_algorithmE0ELj4294967295EEENS1_25partition_config_selectorILNS1_17partition_subalgoE4EjNS0_10empty_typeEbEEZZNS1_14partition_implILS8_4ELb0ES6_15HIP_vector_typeIjLj2EENS0_17counting_iteratorIjlEEPS9_SG_NS0_5tupleIJPjSI_NS0_16reverse_iteratorISI_EEEEENSH_IJSG_SG_SG_EEES9_SI_JZNS1_25segmented_radix_sort_implINS0_14default_configELb0EPKsPsPKlPlN2at6native12_GLOBAL__N_18offset_tEEE10hipError_tPvRmT1_PNSt15iterator_traitsIS12_E10value_typeET2_T3_PNS13_IS18_E10value_typeET4_jRbjT5_S1E_jjP12ihipStream_tbEUljE_ZNSN_ISO_Lb0ESQ_SR_ST_SU_SY_EESZ_S10_S11_S12_S16_S17_S18_S1B_S1C_jS1D_jS1E_S1E_jjS1G_bEUljE0_EEESZ_S10_S11_S18_S1C_S1E_T6_T7_T9_mT8_S1G_bDpT10_ENKUlT_T0_E_clISt17integral_constantIbLb0EES1T_IbLb1EEEEDaS1P_S1Q_EUlS1P_E_NS1_11comp_targetILNS1_3genE3ELNS1_11target_archE908ELNS1_3gpuE7ELNS1_3repE0EEENS1_30default_config_static_selectorELNS0_4arch9wavefront6targetE1EEEvS12_.num_agpr, 0
	.set _ZN7rocprim17ROCPRIM_400000_NS6detail17trampoline_kernelINS0_13select_configILj256ELj13ELNS0_17block_load_methodE3ELS4_3ELS4_3ELNS0_20block_scan_algorithmE0ELj4294967295EEENS1_25partition_config_selectorILNS1_17partition_subalgoE4EjNS0_10empty_typeEbEEZZNS1_14partition_implILS8_4ELb0ES6_15HIP_vector_typeIjLj2EENS0_17counting_iteratorIjlEEPS9_SG_NS0_5tupleIJPjSI_NS0_16reverse_iteratorISI_EEEEENSH_IJSG_SG_SG_EEES9_SI_JZNS1_25segmented_radix_sort_implINS0_14default_configELb0EPKsPsPKlPlN2at6native12_GLOBAL__N_18offset_tEEE10hipError_tPvRmT1_PNSt15iterator_traitsIS12_E10value_typeET2_T3_PNS13_IS18_E10value_typeET4_jRbjT5_S1E_jjP12ihipStream_tbEUljE_ZNSN_ISO_Lb0ESQ_SR_ST_SU_SY_EESZ_S10_S11_S12_S16_S17_S18_S1B_S1C_jS1D_jS1E_S1E_jjS1G_bEUljE0_EEESZ_S10_S11_S18_S1C_S1E_T6_T7_T9_mT8_S1G_bDpT10_ENKUlT_T0_E_clISt17integral_constantIbLb0EES1T_IbLb1EEEEDaS1P_S1Q_EUlS1P_E_NS1_11comp_targetILNS1_3genE3ELNS1_11target_archE908ELNS1_3gpuE7ELNS1_3repE0EEENS1_30default_config_static_selectorELNS0_4arch9wavefront6targetE1EEEvS12_.numbered_sgpr, 0
	.set _ZN7rocprim17ROCPRIM_400000_NS6detail17trampoline_kernelINS0_13select_configILj256ELj13ELNS0_17block_load_methodE3ELS4_3ELS4_3ELNS0_20block_scan_algorithmE0ELj4294967295EEENS1_25partition_config_selectorILNS1_17partition_subalgoE4EjNS0_10empty_typeEbEEZZNS1_14partition_implILS8_4ELb0ES6_15HIP_vector_typeIjLj2EENS0_17counting_iteratorIjlEEPS9_SG_NS0_5tupleIJPjSI_NS0_16reverse_iteratorISI_EEEEENSH_IJSG_SG_SG_EEES9_SI_JZNS1_25segmented_radix_sort_implINS0_14default_configELb0EPKsPsPKlPlN2at6native12_GLOBAL__N_18offset_tEEE10hipError_tPvRmT1_PNSt15iterator_traitsIS12_E10value_typeET2_T3_PNS13_IS18_E10value_typeET4_jRbjT5_S1E_jjP12ihipStream_tbEUljE_ZNSN_ISO_Lb0ESQ_SR_ST_SU_SY_EESZ_S10_S11_S12_S16_S17_S18_S1B_S1C_jS1D_jS1E_S1E_jjS1G_bEUljE0_EEESZ_S10_S11_S18_S1C_S1E_T6_T7_T9_mT8_S1G_bDpT10_ENKUlT_T0_E_clISt17integral_constantIbLb0EES1T_IbLb1EEEEDaS1P_S1Q_EUlS1P_E_NS1_11comp_targetILNS1_3genE3ELNS1_11target_archE908ELNS1_3gpuE7ELNS1_3repE0EEENS1_30default_config_static_selectorELNS0_4arch9wavefront6targetE1EEEvS12_.num_named_barrier, 0
	.set _ZN7rocprim17ROCPRIM_400000_NS6detail17trampoline_kernelINS0_13select_configILj256ELj13ELNS0_17block_load_methodE3ELS4_3ELS4_3ELNS0_20block_scan_algorithmE0ELj4294967295EEENS1_25partition_config_selectorILNS1_17partition_subalgoE4EjNS0_10empty_typeEbEEZZNS1_14partition_implILS8_4ELb0ES6_15HIP_vector_typeIjLj2EENS0_17counting_iteratorIjlEEPS9_SG_NS0_5tupleIJPjSI_NS0_16reverse_iteratorISI_EEEEENSH_IJSG_SG_SG_EEES9_SI_JZNS1_25segmented_radix_sort_implINS0_14default_configELb0EPKsPsPKlPlN2at6native12_GLOBAL__N_18offset_tEEE10hipError_tPvRmT1_PNSt15iterator_traitsIS12_E10value_typeET2_T3_PNS13_IS18_E10value_typeET4_jRbjT5_S1E_jjP12ihipStream_tbEUljE_ZNSN_ISO_Lb0ESQ_SR_ST_SU_SY_EESZ_S10_S11_S12_S16_S17_S18_S1B_S1C_jS1D_jS1E_S1E_jjS1G_bEUljE0_EEESZ_S10_S11_S18_S1C_S1E_T6_T7_T9_mT8_S1G_bDpT10_ENKUlT_T0_E_clISt17integral_constantIbLb0EES1T_IbLb1EEEEDaS1P_S1Q_EUlS1P_E_NS1_11comp_targetILNS1_3genE3ELNS1_11target_archE908ELNS1_3gpuE7ELNS1_3repE0EEENS1_30default_config_static_selectorELNS0_4arch9wavefront6targetE1EEEvS12_.private_seg_size, 0
	.set _ZN7rocprim17ROCPRIM_400000_NS6detail17trampoline_kernelINS0_13select_configILj256ELj13ELNS0_17block_load_methodE3ELS4_3ELS4_3ELNS0_20block_scan_algorithmE0ELj4294967295EEENS1_25partition_config_selectorILNS1_17partition_subalgoE4EjNS0_10empty_typeEbEEZZNS1_14partition_implILS8_4ELb0ES6_15HIP_vector_typeIjLj2EENS0_17counting_iteratorIjlEEPS9_SG_NS0_5tupleIJPjSI_NS0_16reverse_iteratorISI_EEEEENSH_IJSG_SG_SG_EEES9_SI_JZNS1_25segmented_radix_sort_implINS0_14default_configELb0EPKsPsPKlPlN2at6native12_GLOBAL__N_18offset_tEEE10hipError_tPvRmT1_PNSt15iterator_traitsIS12_E10value_typeET2_T3_PNS13_IS18_E10value_typeET4_jRbjT5_S1E_jjP12ihipStream_tbEUljE_ZNSN_ISO_Lb0ESQ_SR_ST_SU_SY_EESZ_S10_S11_S12_S16_S17_S18_S1B_S1C_jS1D_jS1E_S1E_jjS1G_bEUljE0_EEESZ_S10_S11_S18_S1C_S1E_T6_T7_T9_mT8_S1G_bDpT10_ENKUlT_T0_E_clISt17integral_constantIbLb0EES1T_IbLb1EEEEDaS1P_S1Q_EUlS1P_E_NS1_11comp_targetILNS1_3genE3ELNS1_11target_archE908ELNS1_3gpuE7ELNS1_3repE0EEENS1_30default_config_static_selectorELNS0_4arch9wavefront6targetE1EEEvS12_.uses_vcc, 0
	.set _ZN7rocprim17ROCPRIM_400000_NS6detail17trampoline_kernelINS0_13select_configILj256ELj13ELNS0_17block_load_methodE3ELS4_3ELS4_3ELNS0_20block_scan_algorithmE0ELj4294967295EEENS1_25partition_config_selectorILNS1_17partition_subalgoE4EjNS0_10empty_typeEbEEZZNS1_14partition_implILS8_4ELb0ES6_15HIP_vector_typeIjLj2EENS0_17counting_iteratorIjlEEPS9_SG_NS0_5tupleIJPjSI_NS0_16reverse_iteratorISI_EEEEENSH_IJSG_SG_SG_EEES9_SI_JZNS1_25segmented_radix_sort_implINS0_14default_configELb0EPKsPsPKlPlN2at6native12_GLOBAL__N_18offset_tEEE10hipError_tPvRmT1_PNSt15iterator_traitsIS12_E10value_typeET2_T3_PNS13_IS18_E10value_typeET4_jRbjT5_S1E_jjP12ihipStream_tbEUljE_ZNSN_ISO_Lb0ESQ_SR_ST_SU_SY_EESZ_S10_S11_S12_S16_S17_S18_S1B_S1C_jS1D_jS1E_S1E_jjS1G_bEUljE0_EEESZ_S10_S11_S18_S1C_S1E_T6_T7_T9_mT8_S1G_bDpT10_ENKUlT_T0_E_clISt17integral_constantIbLb0EES1T_IbLb1EEEEDaS1P_S1Q_EUlS1P_E_NS1_11comp_targetILNS1_3genE3ELNS1_11target_archE908ELNS1_3gpuE7ELNS1_3repE0EEENS1_30default_config_static_selectorELNS0_4arch9wavefront6targetE1EEEvS12_.uses_flat_scratch, 0
	.set _ZN7rocprim17ROCPRIM_400000_NS6detail17trampoline_kernelINS0_13select_configILj256ELj13ELNS0_17block_load_methodE3ELS4_3ELS4_3ELNS0_20block_scan_algorithmE0ELj4294967295EEENS1_25partition_config_selectorILNS1_17partition_subalgoE4EjNS0_10empty_typeEbEEZZNS1_14partition_implILS8_4ELb0ES6_15HIP_vector_typeIjLj2EENS0_17counting_iteratorIjlEEPS9_SG_NS0_5tupleIJPjSI_NS0_16reverse_iteratorISI_EEEEENSH_IJSG_SG_SG_EEES9_SI_JZNS1_25segmented_radix_sort_implINS0_14default_configELb0EPKsPsPKlPlN2at6native12_GLOBAL__N_18offset_tEEE10hipError_tPvRmT1_PNSt15iterator_traitsIS12_E10value_typeET2_T3_PNS13_IS18_E10value_typeET4_jRbjT5_S1E_jjP12ihipStream_tbEUljE_ZNSN_ISO_Lb0ESQ_SR_ST_SU_SY_EESZ_S10_S11_S12_S16_S17_S18_S1B_S1C_jS1D_jS1E_S1E_jjS1G_bEUljE0_EEESZ_S10_S11_S18_S1C_S1E_T6_T7_T9_mT8_S1G_bDpT10_ENKUlT_T0_E_clISt17integral_constantIbLb0EES1T_IbLb1EEEEDaS1P_S1Q_EUlS1P_E_NS1_11comp_targetILNS1_3genE3ELNS1_11target_archE908ELNS1_3gpuE7ELNS1_3repE0EEENS1_30default_config_static_selectorELNS0_4arch9wavefront6targetE1EEEvS12_.has_dyn_sized_stack, 0
	.set _ZN7rocprim17ROCPRIM_400000_NS6detail17trampoline_kernelINS0_13select_configILj256ELj13ELNS0_17block_load_methodE3ELS4_3ELS4_3ELNS0_20block_scan_algorithmE0ELj4294967295EEENS1_25partition_config_selectorILNS1_17partition_subalgoE4EjNS0_10empty_typeEbEEZZNS1_14partition_implILS8_4ELb0ES6_15HIP_vector_typeIjLj2EENS0_17counting_iteratorIjlEEPS9_SG_NS0_5tupleIJPjSI_NS0_16reverse_iteratorISI_EEEEENSH_IJSG_SG_SG_EEES9_SI_JZNS1_25segmented_radix_sort_implINS0_14default_configELb0EPKsPsPKlPlN2at6native12_GLOBAL__N_18offset_tEEE10hipError_tPvRmT1_PNSt15iterator_traitsIS12_E10value_typeET2_T3_PNS13_IS18_E10value_typeET4_jRbjT5_S1E_jjP12ihipStream_tbEUljE_ZNSN_ISO_Lb0ESQ_SR_ST_SU_SY_EESZ_S10_S11_S12_S16_S17_S18_S1B_S1C_jS1D_jS1E_S1E_jjS1G_bEUljE0_EEESZ_S10_S11_S18_S1C_S1E_T6_T7_T9_mT8_S1G_bDpT10_ENKUlT_T0_E_clISt17integral_constantIbLb0EES1T_IbLb1EEEEDaS1P_S1Q_EUlS1P_E_NS1_11comp_targetILNS1_3genE3ELNS1_11target_archE908ELNS1_3gpuE7ELNS1_3repE0EEENS1_30default_config_static_selectorELNS0_4arch9wavefront6targetE1EEEvS12_.has_recursion, 0
	.set _ZN7rocprim17ROCPRIM_400000_NS6detail17trampoline_kernelINS0_13select_configILj256ELj13ELNS0_17block_load_methodE3ELS4_3ELS4_3ELNS0_20block_scan_algorithmE0ELj4294967295EEENS1_25partition_config_selectorILNS1_17partition_subalgoE4EjNS0_10empty_typeEbEEZZNS1_14partition_implILS8_4ELb0ES6_15HIP_vector_typeIjLj2EENS0_17counting_iteratorIjlEEPS9_SG_NS0_5tupleIJPjSI_NS0_16reverse_iteratorISI_EEEEENSH_IJSG_SG_SG_EEES9_SI_JZNS1_25segmented_radix_sort_implINS0_14default_configELb0EPKsPsPKlPlN2at6native12_GLOBAL__N_18offset_tEEE10hipError_tPvRmT1_PNSt15iterator_traitsIS12_E10value_typeET2_T3_PNS13_IS18_E10value_typeET4_jRbjT5_S1E_jjP12ihipStream_tbEUljE_ZNSN_ISO_Lb0ESQ_SR_ST_SU_SY_EESZ_S10_S11_S12_S16_S17_S18_S1B_S1C_jS1D_jS1E_S1E_jjS1G_bEUljE0_EEESZ_S10_S11_S18_S1C_S1E_T6_T7_T9_mT8_S1G_bDpT10_ENKUlT_T0_E_clISt17integral_constantIbLb0EES1T_IbLb1EEEEDaS1P_S1Q_EUlS1P_E_NS1_11comp_targetILNS1_3genE3ELNS1_11target_archE908ELNS1_3gpuE7ELNS1_3repE0EEENS1_30default_config_static_selectorELNS0_4arch9wavefront6targetE1EEEvS12_.has_indirect_call, 0
	.section	.AMDGPU.csdata,"",@progbits
; Kernel info:
; codeLenInByte = 0
; TotalNumSgprs: 4
; NumVgprs: 0
; ScratchSize: 0
; MemoryBound: 0
; FloatMode: 240
; IeeeMode: 1
; LDSByteSize: 0 bytes/workgroup (compile time only)
; SGPRBlocks: 0
; VGPRBlocks: 0
; NumSGPRsForWavesPerEU: 4
; NumVGPRsForWavesPerEU: 1
; Occupancy: 10
; WaveLimiterHint : 0
; COMPUTE_PGM_RSRC2:SCRATCH_EN: 0
; COMPUTE_PGM_RSRC2:USER_SGPR: 6
; COMPUTE_PGM_RSRC2:TRAP_HANDLER: 0
; COMPUTE_PGM_RSRC2:TGID_X_EN: 1
; COMPUTE_PGM_RSRC2:TGID_Y_EN: 0
; COMPUTE_PGM_RSRC2:TGID_Z_EN: 0
; COMPUTE_PGM_RSRC2:TIDIG_COMP_CNT: 0
	.section	.text._ZN7rocprim17ROCPRIM_400000_NS6detail17trampoline_kernelINS0_13select_configILj256ELj13ELNS0_17block_load_methodE3ELS4_3ELS4_3ELNS0_20block_scan_algorithmE0ELj4294967295EEENS1_25partition_config_selectorILNS1_17partition_subalgoE4EjNS0_10empty_typeEbEEZZNS1_14partition_implILS8_4ELb0ES6_15HIP_vector_typeIjLj2EENS0_17counting_iteratorIjlEEPS9_SG_NS0_5tupleIJPjSI_NS0_16reverse_iteratorISI_EEEEENSH_IJSG_SG_SG_EEES9_SI_JZNS1_25segmented_radix_sort_implINS0_14default_configELb0EPKsPsPKlPlN2at6native12_GLOBAL__N_18offset_tEEE10hipError_tPvRmT1_PNSt15iterator_traitsIS12_E10value_typeET2_T3_PNS13_IS18_E10value_typeET4_jRbjT5_S1E_jjP12ihipStream_tbEUljE_ZNSN_ISO_Lb0ESQ_SR_ST_SU_SY_EESZ_S10_S11_S12_S16_S17_S18_S1B_S1C_jS1D_jS1E_S1E_jjS1G_bEUljE0_EEESZ_S10_S11_S18_S1C_S1E_T6_T7_T9_mT8_S1G_bDpT10_ENKUlT_T0_E_clISt17integral_constantIbLb0EES1T_IbLb1EEEEDaS1P_S1Q_EUlS1P_E_NS1_11comp_targetILNS1_3genE2ELNS1_11target_archE906ELNS1_3gpuE6ELNS1_3repE0EEENS1_30default_config_static_selectorELNS0_4arch9wavefront6targetE1EEEvS12_,"axG",@progbits,_ZN7rocprim17ROCPRIM_400000_NS6detail17trampoline_kernelINS0_13select_configILj256ELj13ELNS0_17block_load_methodE3ELS4_3ELS4_3ELNS0_20block_scan_algorithmE0ELj4294967295EEENS1_25partition_config_selectorILNS1_17partition_subalgoE4EjNS0_10empty_typeEbEEZZNS1_14partition_implILS8_4ELb0ES6_15HIP_vector_typeIjLj2EENS0_17counting_iteratorIjlEEPS9_SG_NS0_5tupleIJPjSI_NS0_16reverse_iteratorISI_EEEEENSH_IJSG_SG_SG_EEES9_SI_JZNS1_25segmented_radix_sort_implINS0_14default_configELb0EPKsPsPKlPlN2at6native12_GLOBAL__N_18offset_tEEE10hipError_tPvRmT1_PNSt15iterator_traitsIS12_E10value_typeET2_T3_PNS13_IS18_E10value_typeET4_jRbjT5_S1E_jjP12ihipStream_tbEUljE_ZNSN_ISO_Lb0ESQ_SR_ST_SU_SY_EESZ_S10_S11_S12_S16_S17_S18_S1B_S1C_jS1D_jS1E_S1E_jjS1G_bEUljE0_EEESZ_S10_S11_S18_S1C_S1E_T6_T7_T9_mT8_S1G_bDpT10_ENKUlT_T0_E_clISt17integral_constantIbLb0EES1T_IbLb1EEEEDaS1P_S1Q_EUlS1P_E_NS1_11comp_targetILNS1_3genE2ELNS1_11target_archE906ELNS1_3gpuE6ELNS1_3repE0EEENS1_30default_config_static_selectorELNS0_4arch9wavefront6targetE1EEEvS12_,comdat
	.globl	_ZN7rocprim17ROCPRIM_400000_NS6detail17trampoline_kernelINS0_13select_configILj256ELj13ELNS0_17block_load_methodE3ELS4_3ELS4_3ELNS0_20block_scan_algorithmE0ELj4294967295EEENS1_25partition_config_selectorILNS1_17partition_subalgoE4EjNS0_10empty_typeEbEEZZNS1_14partition_implILS8_4ELb0ES6_15HIP_vector_typeIjLj2EENS0_17counting_iteratorIjlEEPS9_SG_NS0_5tupleIJPjSI_NS0_16reverse_iteratorISI_EEEEENSH_IJSG_SG_SG_EEES9_SI_JZNS1_25segmented_radix_sort_implINS0_14default_configELb0EPKsPsPKlPlN2at6native12_GLOBAL__N_18offset_tEEE10hipError_tPvRmT1_PNSt15iterator_traitsIS12_E10value_typeET2_T3_PNS13_IS18_E10value_typeET4_jRbjT5_S1E_jjP12ihipStream_tbEUljE_ZNSN_ISO_Lb0ESQ_SR_ST_SU_SY_EESZ_S10_S11_S12_S16_S17_S18_S1B_S1C_jS1D_jS1E_S1E_jjS1G_bEUljE0_EEESZ_S10_S11_S18_S1C_S1E_T6_T7_T9_mT8_S1G_bDpT10_ENKUlT_T0_E_clISt17integral_constantIbLb0EES1T_IbLb1EEEEDaS1P_S1Q_EUlS1P_E_NS1_11comp_targetILNS1_3genE2ELNS1_11target_archE906ELNS1_3gpuE6ELNS1_3repE0EEENS1_30default_config_static_selectorELNS0_4arch9wavefront6targetE1EEEvS12_ ; -- Begin function _ZN7rocprim17ROCPRIM_400000_NS6detail17trampoline_kernelINS0_13select_configILj256ELj13ELNS0_17block_load_methodE3ELS4_3ELS4_3ELNS0_20block_scan_algorithmE0ELj4294967295EEENS1_25partition_config_selectorILNS1_17partition_subalgoE4EjNS0_10empty_typeEbEEZZNS1_14partition_implILS8_4ELb0ES6_15HIP_vector_typeIjLj2EENS0_17counting_iteratorIjlEEPS9_SG_NS0_5tupleIJPjSI_NS0_16reverse_iteratorISI_EEEEENSH_IJSG_SG_SG_EEES9_SI_JZNS1_25segmented_radix_sort_implINS0_14default_configELb0EPKsPsPKlPlN2at6native12_GLOBAL__N_18offset_tEEE10hipError_tPvRmT1_PNSt15iterator_traitsIS12_E10value_typeET2_T3_PNS13_IS18_E10value_typeET4_jRbjT5_S1E_jjP12ihipStream_tbEUljE_ZNSN_ISO_Lb0ESQ_SR_ST_SU_SY_EESZ_S10_S11_S12_S16_S17_S18_S1B_S1C_jS1D_jS1E_S1E_jjS1G_bEUljE0_EEESZ_S10_S11_S18_S1C_S1E_T6_T7_T9_mT8_S1G_bDpT10_ENKUlT_T0_E_clISt17integral_constantIbLb0EES1T_IbLb1EEEEDaS1P_S1Q_EUlS1P_E_NS1_11comp_targetILNS1_3genE2ELNS1_11target_archE906ELNS1_3gpuE6ELNS1_3repE0EEENS1_30default_config_static_selectorELNS0_4arch9wavefront6targetE1EEEvS12_
	.p2align	8
	.type	_ZN7rocprim17ROCPRIM_400000_NS6detail17trampoline_kernelINS0_13select_configILj256ELj13ELNS0_17block_load_methodE3ELS4_3ELS4_3ELNS0_20block_scan_algorithmE0ELj4294967295EEENS1_25partition_config_selectorILNS1_17partition_subalgoE4EjNS0_10empty_typeEbEEZZNS1_14partition_implILS8_4ELb0ES6_15HIP_vector_typeIjLj2EENS0_17counting_iteratorIjlEEPS9_SG_NS0_5tupleIJPjSI_NS0_16reverse_iteratorISI_EEEEENSH_IJSG_SG_SG_EEES9_SI_JZNS1_25segmented_radix_sort_implINS0_14default_configELb0EPKsPsPKlPlN2at6native12_GLOBAL__N_18offset_tEEE10hipError_tPvRmT1_PNSt15iterator_traitsIS12_E10value_typeET2_T3_PNS13_IS18_E10value_typeET4_jRbjT5_S1E_jjP12ihipStream_tbEUljE_ZNSN_ISO_Lb0ESQ_SR_ST_SU_SY_EESZ_S10_S11_S12_S16_S17_S18_S1B_S1C_jS1D_jS1E_S1E_jjS1G_bEUljE0_EEESZ_S10_S11_S18_S1C_S1E_T6_T7_T9_mT8_S1G_bDpT10_ENKUlT_T0_E_clISt17integral_constantIbLb0EES1T_IbLb1EEEEDaS1P_S1Q_EUlS1P_E_NS1_11comp_targetILNS1_3genE2ELNS1_11target_archE906ELNS1_3gpuE6ELNS1_3repE0EEENS1_30default_config_static_selectorELNS0_4arch9wavefront6targetE1EEEvS12_,@function
_ZN7rocprim17ROCPRIM_400000_NS6detail17trampoline_kernelINS0_13select_configILj256ELj13ELNS0_17block_load_methodE3ELS4_3ELS4_3ELNS0_20block_scan_algorithmE0ELj4294967295EEENS1_25partition_config_selectorILNS1_17partition_subalgoE4EjNS0_10empty_typeEbEEZZNS1_14partition_implILS8_4ELb0ES6_15HIP_vector_typeIjLj2EENS0_17counting_iteratorIjlEEPS9_SG_NS0_5tupleIJPjSI_NS0_16reverse_iteratorISI_EEEEENSH_IJSG_SG_SG_EEES9_SI_JZNS1_25segmented_radix_sort_implINS0_14default_configELb0EPKsPsPKlPlN2at6native12_GLOBAL__N_18offset_tEEE10hipError_tPvRmT1_PNSt15iterator_traitsIS12_E10value_typeET2_T3_PNS13_IS18_E10value_typeET4_jRbjT5_S1E_jjP12ihipStream_tbEUljE_ZNSN_ISO_Lb0ESQ_SR_ST_SU_SY_EESZ_S10_S11_S12_S16_S17_S18_S1B_S1C_jS1D_jS1E_S1E_jjS1G_bEUljE0_EEESZ_S10_S11_S18_S1C_S1E_T6_T7_T9_mT8_S1G_bDpT10_ENKUlT_T0_E_clISt17integral_constantIbLb0EES1T_IbLb1EEEEDaS1P_S1Q_EUlS1P_E_NS1_11comp_targetILNS1_3genE2ELNS1_11target_archE906ELNS1_3gpuE6ELNS1_3repE0EEENS1_30default_config_static_selectorELNS0_4arch9wavefront6targetE1EEEvS12_: ; @_ZN7rocprim17ROCPRIM_400000_NS6detail17trampoline_kernelINS0_13select_configILj256ELj13ELNS0_17block_load_methodE3ELS4_3ELS4_3ELNS0_20block_scan_algorithmE0ELj4294967295EEENS1_25partition_config_selectorILNS1_17partition_subalgoE4EjNS0_10empty_typeEbEEZZNS1_14partition_implILS8_4ELb0ES6_15HIP_vector_typeIjLj2EENS0_17counting_iteratorIjlEEPS9_SG_NS0_5tupleIJPjSI_NS0_16reverse_iteratorISI_EEEEENSH_IJSG_SG_SG_EEES9_SI_JZNS1_25segmented_radix_sort_implINS0_14default_configELb0EPKsPsPKlPlN2at6native12_GLOBAL__N_18offset_tEEE10hipError_tPvRmT1_PNSt15iterator_traitsIS12_E10value_typeET2_T3_PNS13_IS18_E10value_typeET4_jRbjT5_S1E_jjP12ihipStream_tbEUljE_ZNSN_ISO_Lb0ESQ_SR_ST_SU_SY_EESZ_S10_S11_S12_S16_S17_S18_S1B_S1C_jS1D_jS1E_S1E_jjS1G_bEUljE0_EEESZ_S10_S11_S18_S1C_S1E_T6_T7_T9_mT8_S1G_bDpT10_ENKUlT_T0_E_clISt17integral_constantIbLb0EES1T_IbLb1EEEEDaS1P_S1Q_EUlS1P_E_NS1_11comp_targetILNS1_3genE2ELNS1_11target_archE906ELNS1_3gpuE6ELNS1_3repE0EEENS1_30default_config_static_selectorELNS0_4arch9wavefront6targetE1EEEvS12_
; %bb.0:
	s_load_dwordx2 s[52:53], s[4:5], 0x10
	s_load_dwordx4 s[48:51], s[4:5], 0x28
	s_load_dwordx2 s[30:31], s[4:5], 0x38
	s_load_dwordx4 s[44:47], s[4:5], 0x58
	s_load_dwordx2 s[6:7], s[4:5], 0x68
	s_load_dwordx2 s[54:55], s[4:5], 0x78
	s_load_dwordx2 s[56:57], s[4:5], 0xb0
	s_load_dwordx8 s[36:43], s[4:5], 0x90
	v_cmp_eq_u32_e64 s[0:1], 0, v0
	s_and_saveexec_b64 s[2:3], s[0:1]
	s_cbranch_execz .LBB978_4
; %bb.1:
	s_mov_b64 s[10:11], exec
	v_mbcnt_lo_u32_b32 v1, s10, 0
	v_mbcnt_hi_u32_b32 v1, s11, v1
	v_cmp_eq_u32_e32 vcc, 0, v1
                                        ; implicit-def: $vgpr2
	s_and_saveexec_b64 s[8:9], vcc
	s_cbranch_execz .LBB978_3
; %bb.2:
	s_load_dwordx2 s[12:13], s[4:5], 0x88
	s_bcnt1_i32_b64 s10, s[10:11]
	v_mov_b32_e32 v2, 0
	v_mov_b32_e32 v3, s10
	s_waitcnt lgkmcnt(0)
	global_atomic_add v2, v2, v3, s[12:13] glc
.LBB978_3:
	s_or_b64 exec, exec, s[8:9]
	s_waitcnt vmcnt(0)
	v_readfirstlane_b32 s8, v2
	v_add_u32_e32 v1, s8, v1
	v_mov_b32_e32 v2, 0
	ds_write_b32 v2, v1
.LBB978_4:
	s_or_b64 exec, exec, s[2:3]
	v_mov_b32_e32 v1, 0
	s_load_dword s2, s[4:5], 0x8
	s_load_dword s8, s[4:5], 0x80
	s_waitcnt lgkmcnt(0)
	s_barrier
	ds_read_b32 v7, v1
	s_waitcnt lgkmcnt(0)
	s_barrier
	global_load_dwordx4 v[1:4], v1, s[46:47]
	s_add_i32 s9, s2, s52
	s_movk_i32 s2, 0xd00
	s_add_i32 s4, s8, -1
	s_mulk_i32 s8, 0xd00
	v_mul_lo_u32 v33, v7, s2
	s_add_u32 s2, s52, s8
	s_addc_u32 s3, s53, 0
	v_mov_b32_e32 v6, s3
	v_mov_b32_e32 v5, s2
	v_readfirstlane_b32 s33, v7
	v_cmp_gt_u64_e32 vcc, s[6:7], v[5:6]
	s_cmp_eq_u32 s33, s4
	v_cmp_ne_u32_e64 s[2:3], s4, v7
	s_cselect_b64 s[34:35], -1, 0
	s_or_b64 s[4:5], vcc, s[2:3]
	v_add_u32_e32 v5, s9, v33
	s_mov_b64 s[2:3], -1
	s_and_b64 vcc, exec, s[4:5]
	v_add_u32_e32 v5, v5, v0
	s_cbranch_vccz .LBB978_6
; %bb.5:
	v_add_u32_e32 v6, 0x100, v5
	v_lshlrev_b32_e32 v18, 2, v0
	v_add_u32_e32 v7, 0x200, v5
	v_add_u32_e32 v8, 0x300, v5
	;; [unrolled: 1-line block ×11, first 2 shown]
	ds_write2st64_b32 v18, v5, v6 offset1:4
	ds_write2st64_b32 v18, v7, v8 offset0:8 offset1:12
	ds_write2st64_b32 v18, v9, v10 offset0:16 offset1:20
	;; [unrolled: 1-line block ×5, first 2 shown]
	ds_write_b32 v18, v17 offset:12288
	s_waitcnt vmcnt(0) lgkmcnt(0)
	s_barrier
	s_mov_b64 s[2:3], 0
.LBB978_6:
	s_andn2_b64 vcc, exec, s[2:3]
	s_add_i32 s8, s8, s52
	s_cbranch_vccnz .LBB978_8
; %bb.7:
	v_add_u32_e32 v6, 0x100, v5
	v_lshlrev_b32_e32 v18, 2, v0
	v_add_u32_e32 v7, 0x200, v5
	v_add_u32_e32 v8, 0x300, v5
	;; [unrolled: 1-line block ×11, first 2 shown]
	ds_write2st64_b32 v18, v5, v6 offset1:4
	ds_write2st64_b32 v18, v7, v8 offset0:8 offset1:12
	ds_write2st64_b32 v18, v9, v10 offset0:16 offset1:20
	ds_write2st64_b32 v18, v11, v12 offset0:24 offset1:28
	ds_write2st64_b32 v18, v13, v14 offset0:32 offset1:36
	ds_write2st64_b32 v18, v15, v16 offset0:40 offset1:44
	ds_write_b32 v18, v17 offset:12288
	s_waitcnt vmcnt(0) lgkmcnt(0)
	s_barrier
.LBB978_8:
	v_mul_u32_u24_e32 v35, 13, v0
	v_lshlrev_b32_e32 v5, 2, v35
	ds_read_b32 v34, v5 offset:48
	ds_read2_b32 v[13:14], v5 offset0:10 offset1:11
	ds_read2_b32 v[15:16], v5 offset0:8 offset1:9
	;; [unrolled: 1-line block ×4, first 2 shown]
	ds_read2_b32 v[23:24], v5 offset1:1
	ds_read2_b32 v[21:22], v5 offset0:2 offset1:3
	v_cndmask_b32_e64 v5, 0, 1, s[4:5]
	s_sub_i32 s86, s6, s8
	v_cmp_ne_u32_e64 s[2:3], 1, v5
	s_andn2_b64 vcc, exec, s[4:5]
	s_waitcnt vmcnt(0) lgkmcnt(0)
	s_barrier
	s_cbranch_vccnz .LBB978_36
; %bb.9:
	v_add_u32_e32 v5, s37, v23
	v_add_u32_e32 v6, s39, v23
	v_mul_lo_u32 v5, v5, s36
	v_mul_lo_u32 v6, v6, s38
	s_mov_b64 s[58:59], 0
	s_mov_b64 s[46:47], 0
	v_sub_u32_e32 v5, v5, v6
	v_cmp_lt_u32_e32 vcc, s40, v5
	v_cmp_ge_u32_e64 s[4:5], s40, v5
	s_and_saveexec_b64 s[6:7], s[4:5]
	s_cbranch_execz .LBB978_11
; %bb.10:
	v_add_u32_e32 v5, s42, v23
	v_add_u32_e32 v6, s56, v23
	v_mul_lo_u32 v5, v5, s41
	v_mul_lo_u32 v6, v6, s43
	v_sub_u32_e32 v5, v5, v6
	v_cmp_lt_u32_e64 s[4:5], s57, v5
	s_and_b64 s[46:47], s[4:5], exec
.LBB978_11:
	s_or_b64 exec, exec, s[6:7]
	v_add_u32_e32 v5, s37, v24
	v_add_u32_e32 v6, s39, v24
	v_mul_lo_u32 v5, v5, s36
	v_mul_lo_u32 v6, v6, s38
	v_sub_u32_e32 v5, v5, v6
	v_cmp_lt_u32_e64 s[4:5], s40, v5
	v_cmp_ge_u32_e64 s[6:7], s40, v5
	s_and_saveexec_b64 s[8:9], s[6:7]
	s_cbranch_execz .LBB978_13
; %bb.12:
	v_add_u32_e32 v5, s42, v24
	v_add_u32_e32 v6, s56, v24
	v_mul_lo_u32 v5, v5, s41
	v_mul_lo_u32 v6, v6, s43
	v_sub_u32_e32 v5, v5, v6
	v_cmp_lt_u32_e64 s[6:7], s57, v5
	s_and_b64 s[58:59], s[6:7], exec
.LBB978_13:
	s_or_b64 exec, exec, s[8:9]
	v_add_u32_e32 v5, s37, v21
	v_add_u32_e32 v6, s39, v21
	v_mul_lo_u32 v5, v5, s36
	v_mul_lo_u32 v6, v6, s38
	s_mov_b64 s[62:63], 0
	s_mov_b64 s[60:61], 0
	v_sub_u32_e32 v5, v5, v6
	v_cmp_lt_u32_e64 s[6:7], s40, v5
	v_cmp_ge_u32_e64 s[8:9], s40, v5
	s_and_saveexec_b64 s[10:11], s[8:9]
	s_cbranch_execz .LBB978_15
; %bb.14:
	v_add_u32_e32 v5, s42, v21
	v_add_u32_e32 v6, s56, v21
	v_mul_lo_u32 v5, v5, s41
	v_mul_lo_u32 v6, v6, s43
	v_sub_u32_e32 v5, v5, v6
	v_cmp_lt_u32_e64 s[8:9], s57, v5
	s_and_b64 s[60:61], s[8:9], exec
.LBB978_15:
	s_or_b64 exec, exec, s[10:11]
	v_add_u32_e32 v5, s37, v22
	v_add_u32_e32 v6, s39, v22
	v_mul_lo_u32 v5, v5, s36
	v_mul_lo_u32 v6, v6, s38
	v_sub_u32_e32 v5, v5, v6
	v_cmp_lt_u32_e64 s[8:9], s40, v5
	v_cmp_ge_u32_e64 s[10:11], s40, v5
	s_and_saveexec_b64 s[12:13], s[10:11]
	s_cbranch_execz .LBB978_17
; %bb.16:
	v_add_u32_e32 v5, s42, v22
	v_add_u32_e32 v6, s56, v22
	v_mul_lo_u32 v5, v5, s41
	v_mul_lo_u32 v6, v6, s43
	v_sub_u32_e32 v5, v5, v6
	v_cmp_lt_u32_e64 s[10:11], s57, v5
	s_and_b64 s[62:63], s[10:11], exec
.LBB978_17:
	s_or_b64 exec, exec, s[12:13]
	v_add_u32_e32 v5, s37, v19
	v_add_u32_e32 v6, s39, v19
	v_mul_lo_u32 v5, v5, s36
	v_mul_lo_u32 v6, v6, s38
	s_mov_b64 s[66:67], 0
	s_mov_b64 s[64:65], 0
	v_sub_u32_e32 v5, v5, v6
	v_cmp_lt_u32_e64 s[10:11], s40, v5
	;; [unrolled: 40-line block ×6, first 2 shown]
	v_cmp_ge_u32_e64 s[28:29], s40, v5
	s_and_saveexec_b64 s[84:85], s[28:29]
	s_cbranch_execz .LBB978_35
; %bb.34:
	v_add_u32_e32 v5, s42, v34
	v_add_u32_e32 v6, s56, v34
	v_mul_lo_u32 v5, v5, s41
	v_mul_lo_u32 v6, v6, s43
	v_sub_u32_e32 v5, v5, v6
	v_cmp_lt_u32_e64 s[28:29], s57, v5
	s_and_b64 s[82:83], s[28:29], exec
.LBB978_35:
	s_or_b64 exec, exec, s[84:85]
	v_cndmask_b32_e64 v6, 0, 1, s[4:5]
	v_cndmask_b32_e64 v5, 0, 1, vcc
	v_cndmask_b32_e64 v8, 0, 1, s[8:9]
	v_lshlrev_b16_e32 v6, 8, v6
	v_cndmask_b32_e64 v7, 0, 1, s[6:7]
	v_or_b32_e32 v5, v5, v6
	v_lshlrev_b16_e32 v6, 8, v8
	v_cndmask_b32_e64 v10, 0, 1, s[12:13]
	v_cndmask_b32_e64 v12, 0, 1, s[16:17]
	v_or_b32_sdwa v6, v7, v6 dst_sel:WORD_1 dst_unused:UNUSED_PAD src0_sel:DWORD src1_sel:DWORD
	v_cndmask_b32_e64 v9, 0, 1, s[10:11]
	v_cndmask_b32_e64 v11, 0, 1, s[14:15]
	v_or_b32_sdwa v36, v5, v6 dst_sel:DWORD dst_unused:UNUSED_PAD src0_sel:WORD_0 src1_sel:DWORD
	v_lshlrev_b16_e32 v5, 8, v10
	v_lshlrev_b16_e32 v6, 8, v12
	v_cndmask_b32_e64 v26, 0, 1, s[20:21]
	v_cndmask_b32_e64 v29, 0, 1, s[24:25]
	v_or_b32_e32 v5, v9, v5
	v_or_b32_sdwa v6, v11, v6 dst_sel:WORD_1 dst_unused:UNUSED_PAD src0_sel:DWORD src1_sel:DWORD
	v_cndmask_b32_e64 v25, 0, 1, s[18:19]
	v_cndmask_b32_e64 v27, 0, 1, s[22:23]
	v_or_b32_sdwa v38, v5, v6 dst_sel:DWORD dst_unused:UNUSED_PAD src0_sel:WORD_0 src1_sel:DWORD
	v_lshlrev_b16_e32 v5, 8, v26
	v_lshlrev_b16_e32 v6, 8, v29
	v_cndmask_b32_e64 v42, 0, 1, s[60:61]
	v_cndmask_b32_e64 v47, 0, 1, s[46:47]
	v_or_b32_e32 v5, v25, v5
	;; [unrolled: 9-line block ×4, first 2 shown]
	v_or_b32_sdwa v6, v39, v6 dst_sel:WORD_1 dst_unused:UNUSED_PAD src0_sel:DWORD src1_sel:DWORD
	v_cndmask_b32_e64 v30, 0, 1, s[74:75]
	v_cndmask_b32_e64 v32, 0, 1, s[70:71]
	v_or_b32_sdwa v37, v5, v6 dst_sel:DWORD dst_unused:UNUSED_PAD src0_sel:WORD_0 src1_sel:DWORD
	v_lshlrev_b16_e32 v5, 8, v31
	v_lshlrev_b16_e32 v6, 8, v28
	v_or_b32_e32 v5, v32, v5
	v_or_b32_sdwa v6, v30, v6 dst_sel:WORD_1 dst_unused:UNUSED_PAD src0_sel:DWORD src1_sel:DWORD
	v_cndmask_b32_e64 v40, 0, 1, s[78:79]
	v_cndmask_b32_e64 v43, 0, 1, s[82:83]
	v_or_b32_sdwa v39, v5, v6 dst_sel:DWORD dst_unused:UNUSED_PAD src0_sel:WORD_0 src1_sel:DWORD
	s_add_i32 s16, s86, 0xd00
	s_and_b64 vcc, exec, s[76:77]
	s_cbranch_vccnz .LBB978_37
	s_branch .LBB978_114
.LBB978_36:
                                        ; implicit-def: $vgpr43
                                        ; implicit-def: $vgpr40
                                        ; implicit-def: $vgpr39
                                        ; implicit-def: $vgpr37
                                        ; implicit-def: $vgpr42
                                        ; implicit-def: $vgpr41
                                        ; implicit-def: $vgpr38
                                        ; implicit-def: $vgpr36
	s_add_i32 s16, s86, 0xd00
	s_cbranch_execz .LBB978_114
.LBB978_37:
	v_cmp_gt_u32_e32 vcc, s16, v35
	v_mov_b32_e32 v6, 0
	v_mov_b32_e32 v5, 0
	s_and_saveexec_b64 s[6:7], vcc
	s_cbranch_execz .LBB978_41
; %bb.38:
	v_add_u32_e32 v5, s37, v23
	v_add_u32_e32 v6, s39, v23
	v_mul_lo_u32 v5, v5, s36
	v_mul_lo_u32 v6, v6, s38
	s_mov_b64 s[10:11], 0
	v_sub_u32_e32 v5, v5, v6
	v_cmp_lt_u32_e32 vcc, s40, v5
	v_cmp_ge_u32_e64 s[4:5], s40, v5
	s_and_saveexec_b64 s[8:9], s[4:5]
	s_cbranch_execz .LBB978_40
; %bb.39:
	v_add_u32_e32 v5, s42, v23
	v_add_u32_e32 v6, s56, v23
	v_mul_lo_u32 v5, v5, s41
	v_mul_lo_u32 v6, v6, s43
	v_sub_u32_e32 v5, v5, v6
	v_cmp_lt_u32_e64 s[4:5], s57, v5
	s_and_b64 s[10:11], s[4:5], exec
.LBB978_40:
	s_or_b64 exec, exec, s[8:9]
	v_cndmask_b32_e64 v6, 0, 1, s[10:11]
	v_cndmask_b32_e64 v5, 0, 1, vcc
.LBB978_41:
	s_or_b64 exec, exec, s[6:7]
	v_lshlrev_b16_e32 v11, 8, v6
	v_add_u32_e32 v6, 1, v35
	v_cmp_le_u32_e32 vcc, s16, v6
	v_lshlrev_b16_e64 v8, 8, 0
                                        ; implicit-def: $vgpr7
                                        ; implicit-def: $vgpr9
                                        ; implicit-def: $vgpr10
                                        ; implicit-def: $vgpr6
                                        ; implicit-def: $vgpr12
	s_and_saveexec_b64 s[4:5], vcc
	s_xor_b64 s[4:5], exec, s[4:5]
; %bb.42:
	v_mov_b32_e32 v6, 8
	v_lshrrev_b32_sdwa v7, v6, v11 dst_sel:BYTE_1 dst_unused:UNUSED_PAD src0_sel:DWORD src1_sel:DWORD
	v_and_b32_e32 v12, 0xff, v5
	v_or_b32_sdwa v5, v11, v7 dst_sel:DWORD dst_unused:UNUSED_PAD src0_sel:BYTE_0 src1_sel:DWORD
	v_mov_b32_e32 v9, 0
	v_lshlrev_b16_e64 v8, 8, 0
	v_lshlrev_b16_e64 v6, 8, 0
	v_and_b32_e32 v10, 0xffff, v5
	v_lshlrev_b16_e64 v7, 8, 0
                                        ; implicit-def: $vgpr5
                                        ; implicit-def: $vgpr11
; %bb.43:
	s_andn2_saveexec_b64 s[6:7], s[4:5]
	s_cbranch_execz .LBB978_47
; %bb.44:
	v_add_u32_e32 v6, s37, v24
	v_add_u32_e32 v7, s39, v24
	v_mul_lo_u32 v6, v6, s36
	v_mul_lo_u32 v7, v7, s38
	s_mov_b64 s[8:9], 0
	v_sub_u32_e32 v6, v6, v7
	v_cmp_lt_u32_e32 vcc, s40, v6
	v_cmp_ge_u32_e64 s[4:5], s40, v6
	s_and_saveexec_b64 s[10:11], s[4:5]
	s_cbranch_execz .LBB978_46
; %bb.45:
	v_add_u32_e32 v6, s42, v24
	v_add_u32_e32 v7, s56, v24
	v_mul_lo_u32 v6, v6, s41
	v_mul_lo_u32 v7, v7, s43
	v_sub_u32_e32 v6, v6, v7
	v_cmp_lt_u32_e64 s[4:5], s57, v6
	s_and_b64 s[8:9], s[4:5], exec
.LBB978_46:
	s_or_b64 exec, exec, s[10:11]
	v_cndmask_b32_e64 v7, 0, 1, vcc
	v_lshlrev_b16_e32 v7, 8, v7
	v_or_b32_sdwa v5, v5, v7 dst_sel:DWORD dst_unused:UNUSED_PAD src0_sel:BYTE_0 src1_sel:DWORD
	v_and_b32_e32 v12, 0xffff, v5
	v_mov_b32_e32 v5, 8
	v_lshrrev_b32_sdwa v5, v5, v11 dst_sel:BYTE_1 dst_unused:UNUSED_PAD src0_sel:DWORD src1_sel:DWORD
	v_or_b32_sdwa v5, v11, v5 dst_sel:DWORD dst_unused:UNUSED_PAD src0_sel:BYTE_0 src1_sel:DWORD
	v_and_b32_e32 v5, 0xffff, v5
	v_cndmask_b32_e64 v7, 0, 1, s[8:9]
	v_mov_b32_e32 v6, 0
	v_mov_b32_e32 v9, 0
	v_lshl_or_b32 v10, v7, 16, v5
	v_lshlrev_b16_e64 v7, 8, 0
.LBB978_47:
	s_or_b64 exec, exec, s[6:7]
	v_add_u32_e32 v5, 2, v35
	v_cmp_le_u32_e32 vcc, s16, v5
	v_lshrrev_b32_e32 v25, 24, v12
                                        ; implicit-def: $vgpr5
                                        ; implicit-def: $vgpr11
	s_and_saveexec_b64 s[4:5], vcc
	s_xor_b64 s[4:5], exec, s[4:5]
	s_cbranch_execz .LBB978_49
; %bb.48:
	s_mov_b32 s6, 0x40c0100
	v_perm_b32 v11, v25, v12, s6
	v_mov_b32_e32 v12, 8
	v_lshrrev_b32_sdwa v12, v12, v11 dst_sel:BYTE_1 dst_unused:UNUSED_PAD src0_sel:DWORD src1_sel:DWORD
	v_or_b32_sdwa v12, v11, v12 dst_sel:DWORD dst_unused:UNUSED_PAD src0_sel:BYTE_0 src1_sel:DWORD
	v_and_b32_e32 v12, 0xffff, v12
	s_mov_b32 s6, 0xff000000
	v_and_or_b32 v11, v11, s6, v12
	s_mov_b32 s6, 0x3060504
	v_and_b32_e32 v5, 0xff0000, v10
	v_perm_b32 v8, v8, v8, s6
	s_mov_b32 s6, 0x3020504
	v_perm_b32 v5, v10, v5, s6
                                        ; implicit-def: $vgpr12
                                        ; implicit-def: $vgpr25
                                        ; implicit-def: $vgpr10
.LBB978_49:
	s_andn2_saveexec_b64 s[6:7], s[4:5]
	s_cbranch_execz .LBB978_53
; %bb.50:
	v_add_u32_e32 v5, s37, v21
	v_add_u32_e32 v11, s39, v21
	v_mul_lo_u32 v5, v5, s36
	v_mul_lo_u32 v11, v11, s38
	s_mov_b64 s[8:9], 0
	v_sub_u32_e32 v5, v5, v11
	v_cmp_lt_u32_e32 vcc, s40, v5
	v_cmp_ge_u32_e64 s[4:5], s40, v5
	s_and_saveexec_b64 s[10:11], s[4:5]
	s_cbranch_execz .LBB978_52
; %bb.51:
	v_add_u32_e32 v5, s42, v21
	v_add_u32_e32 v11, s56, v21
	v_mul_lo_u32 v5, v5, s41
	v_mul_lo_u32 v11, v11, s43
	v_sub_u32_e32 v5, v5, v11
	v_cmp_lt_u32_e64 s[4:5], s57, v5
	s_and_b64 s[8:9], s[4:5], exec
.LBB978_52:
	s_or_b64 exec, exec, s[10:11]
	v_mov_b32_e32 v27, 8
	v_lshrrev_b32_sdwa v11, v27, v12 dst_sel:BYTE_1 dst_unused:UNUSED_PAD src0_sel:DWORD src1_sel:DWORD
	v_cndmask_b32_e64 v5, 0, 1, vcc
	v_or_b32_sdwa v11, v12, v11 dst_sel:DWORD dst_unused:UNUSED_PAD src0_sel:BYTE_0 src1_sel:DWORD
	v_lshlrev_b16_e32 v12, 8, v25
	v_or_b32_sdwa v5, v5, v12 dst_sel:WORD_1 dst_unused:UNUSED_PAD src0_sel:DWORD src1_sel:DWORD
	v_cndmask_b32_e64 v26, 0, 1, s[8:9]
	s_movk_i32 s4, 0xff
	v_or_b32_sdwa v11, v11, v5 dst_sel:DWORD dst_unused:UNUSED_PAD src0_sel:WORD_0 src1_sel:DWORD
	v_lshrrev_b32_sdwa v5, v27, v10 dst_sel:BYTE_1 dst_unused:UNUSED_PAD src0_sel:DWORD src1_sel:DWORD
	v_or_b32_sdwa v5, v10, v5 dst_sel:DWORD dst_unused:UNUSED_PAD src0_sel:BYTE_0 src1_sel:DWORD
	v_lshlrev_b16_e32 v12, 8, v26
	v_and_b32_sdwa v10, v10, s4 dst_sel:DWORD dst_unused:UNUSED_PAD src0_sel:WORD_1 src1_sel:DWORD
	v_or_b32_sdwa v10, v10, v12 dst_sel:WORD_1 dst_unused:UNUSED_PAD src0_sel:DWORD src1_sel:DWORD
	v_or_b32_sdwa v5, v5, v10 dst_sel:DWORD dst_unused:UNUSED_PAD src0_sel:WORD_0 src1_sel:DWORD
.LBB978_53:
	s_or_b64 exec, exec, s[6:7]
	v_add_u32_e32 v10, 3, v35
	v_cmp_le_u32_e32 vcc, s16, v10
	v_lshrrev_b32_e32 v12, 24, v9
                                        ; implicit-def: $vgpr10
                                        ; implicit-def: $vgpr36
	s_and_saveexec_b64 s[4:5], vcc
	s_xor_b64 s[4:5], exec, s[4:5]
	s_cbranch_execz .LBB978_55
; %bb.54:
	v_and_b32_e32 v10, 0xff0000, v11
	s_mov_b32 s6, 0x3020504
	s_movk_i32 s7, 0xff
	v_perm_b32 v36, v11, v10, s6
	v_lshlrev_b16_e32 v10, 8, v12
	v_and_b32_sdwa v11, v9, s7 dst_sel:DWORD dst_unused:UNUSED_PAD src0_sel:WORD_1 src1_sel:DWORD
	s_mov_b32 s6, 0x3060504
	v_or_b32_sdwa v10, v11, v10 dst_sel:WORD_1 dst_unused:UNUSED_PAD src0_sel:DWORD src1_sel:DWORD
	v_mov_b32_e32 v11, 8
	v_perm_b32 v8, v8, v8, s6
	v_lshrrev_b32_sdwa v10, v11, v9 dst_sel:BYTE_1 dst_unused:UNUSED_PRESERVE src0_sel:DWORD src1_sel:DWORD
	v_perm_b32 v7, v7, v7, s6
                                        ; implicit-def: $vgpr11
                                        ; implicit-def: $vgpr12
                                        ; implicit-def: $vgpr9
.LBB978_55:
	s_andn2_saveexec_b64 s[6:7], s[4:5]
	s_cbranch_execz .LBB978_59
; %bb.56:
	v_add_u32_e32 v10, s37, v22
	v_add_u32_e32 v25, s39, v22
	v_mul_lo_u32 v10, v10, s36
	v_mul_lo_u32 v25, v25, s38
	s_mov_b64 s[8:9], 0
	v_sub_u32_e32 v10, v10, v25
	v_cmp_lt_u32_e32 vcc, s40, v10
	v_cmp_ge_u32_e64 s[4:5], s40, v10
	s_and_saveexec_b64 s[10:11], s[4:5]
	s_cbranch_execz .LBB978_58
; %bb.57:
	v_add_u32_e32 v10, s42, v22
	v_add_u32_e32 v25, s56, v22
	v_mul_lo_u32 v10, v10, s41
	v_mul_lo_u32 v25, v25, s43
	v_sub_u32_e32 v10, v10, v25
	v_cmp_lt_u32_e64 s[4:5], s57, v10
	s_and_b64 s[8:9], s[4:5], exec
.LBB978_58:
	s_or_b64 exec, exec, s[10:11]
	v_mov_b32_e32 v26, 8
	v_cndmask_b32_e64 v10, 0, 1, vcc
	s_movk_i32 s4, 0xff
	v_lshrrev_b32_sdwa v27, v26, v11 dst_sel:BYTE_1 dst_unused:UNUSED_PAD src0_sel:DWORD src1_sel:DWORD
	v_or_b32_sdwa v27, v11, v27 dst_sel:DWORD dst_unused:UNUSED_PAD src0_sel:BYTE_0 src1_sel:DWORD
	v_lshlrev_b16_e32 v10, 8, v10
	v_and_b32_sdwa v11, v11, s4 dst_sel:DWORD dst_unused:UNUSED_PAD src0_sel:WORD_1 src1_sel:DWORD
	v_or_b32_sdwa v10, v11, v10 dst_sel:WORD_1 dst_unused:UNUSED_PAD src0_sel:DWORD src1_sel:DWORD
	v_cndmask_b32_e64 v25, 0, 1, s[8:9]
	v_or_b32_sdwa v36, v27, v10 dst_sel:DWORD dst_unused:UNUSED_PAD src0_sel:WORD_0 src1_sel:DWORD
	v_lshlrev_b16_e32 v10, 8, v12
	v_and_b32_sdwa v11, v9, s4 dst_sel:DWORD dst_unused:UNUSED_PAD src0_sel:WORD_1 src1_sel:DWORD
	v_lshrrev_b32_sdwa v9, v26, v9 dst_sel:BYTE_1 dst_unused:UNUSED_PAD src0_sel:DWORD src1_sel:DWORD
	v_or_b32_sdwa v10, v11, v10 dst_sel:WORD_1 dst_unused:UNUSED_PAD src0_sel:DWORD src1_sel:DWORD
	v_or_b32_e32 v9, v25, v9
	v_or_b32_sdwa v10, v9, v10 dst_sel:DWORD dst_unused:UNUSED_PAD src0_sel:WORD_0 src1_sel:DWORD
.LBB978_59:
	s_or_b64 exec, exec, s[6:7]
	v_add_u32_e32 v9, 4, v35
	v_cmp_le_u32_e32 vcc, s16, v9
	v_lshrrev_b32_e32 v25, 24, v8
	v_lshrrev_b32_e32 v12, 24, v10
                                        ; implicit-def: $vgpr11
                                        ; implicit-def: $vgpr9
	s_and_saveexec_b64 s[4:5], vcc
	s_xor_b64 s[4:5], exec, s[4:5]
	s_cbranch_execz .LBB978_61
; %bb.60:
	s_movk_i32 s6, 0xff
	v_lshlrev_b16_e32 v9, 8, v25
	v_and_b32_sdwa v25, v8, s6 dst_sel:DWORD dst_unused:UNUSED_PAD src0_sel:WORD_1 src1_sel:DWORD
	v_mov_b32_e32 v11, 8
	v_or_b32_sdwa v9, v25, v9 dst_sel:WORD_1 dst_unused:UNUSED_PAD src0_sel:DWORD src1_sel:DWORD
	v_lshrrev_b32_sdwa v9, v11, v8 dst_sel:BYTE_1 dst_unused:UNUSED_PRESERVE src0_sel:DWORD src1_sel:DWORD
	v_lshlrev_b16_e32 v8, 8, v12
	v_and_b32_sdwa v11, v10, s6 dst_sel:DWORD dst_unused:UNUSED_PAD src0_sel:WORD_1 src1_sel:DWORD
	v_or_b32_e32 v8, v11, v8
	s_mov_b32 s6, 0x5040c00
	v_perm_b32 v11, v8, v10, s6
	s_mov_b32 s6, 0x3060504
	v_perm_b32 v7, v7, v7, s6
                                        ; implicit-def: $vgpr25
                                        ; implicit-def: $vgpr8
                                        ; implicit-def: $vgpr10
                                        ; implicit-def: $vgpr12
.LBB978_61:
	s_andn2_saveexec_b64 s[6:7], s[4:5]
	s_cbranch_execz .LBB978_65
; %bb.62:
	v_add_u32_e32 v9, s37, v19
	v_add_u32_e32 v11, s39, v19
	v_mul_lo_u32 v9, v9, s36
	v_mul_lo_u32 v11, v11, s38
	s_mov_b64 s[8:9], 0
	v_sub_u32_e32 v9, v9, v11
	v_cmp_lt_u32_e32 vcc, s40, v9
	v_cmp_ge_u32_e64 s[4:5], s40, v9
	s_and_saveexec_b64 s[10:11], s[4:5]
	s_cbranch_execz .LBB978_64
; %bb.63:
	v_add_u32_e32 v9, s42, v19
	v_add_u32_e32 v11, s56, v19
	v_mul_lo_u32 v9, v9, s41
	v_mul_lo_u32 v11, v11, s43
	v_sub_u32_e32 v9, v9, v11
	v_cmp_lt_u32_e64 s[4:5], s57, v9
	s_and_b64 s[8:9], s[4:5], exec
.LBB978_64:
	s_or_b64 exec, exec, s[10:11]
	s_movk_i32 s4, 0xff
	v_lshlrev_b16_e32 v25, 8, v25
	v_and_b32_sdwa v26, v8, s4 dst_sel:DWORD dst_unused:UNUSED_PAD src0_sel:WORD_1 src1_sel:DWORD
	v_or_b32_sdwa v25, v26, v25 dst_sel:WORD_1 dst_unused:UNUSED_PAD src0_sel:DWORD src1_sel:DWORD
	v_mov_b32_e32 v26, 8
	v_cndmask_b32_e64 v9, 0, 1, vcc
	v_lshrrev_b32_sdwa v8, v26, v8 dst_sel:BYTE_1 dst_unused:UNUSED_PAD src0_sel:DWORD src1_sel:DWORD
	v_cndmask_b32_e64 v11, 0, 1, s[8:9]
	v_or_b32_e32 v8, v9, v8
	v_or_b32_sdwa v9, v8, v25 dst_sel:DWORD dst_unused:UNUSED_PAD src0_sel:WORD_0 src1_sel:DWORD
	v_lshlrev_b16_e32 v8, 8, v11
	v_or_b32_sdwa v8, v10, v8 dst_sel:DWORD dst_unused:UNUSED_PAD src0_sel:BYTE_0 src1_sel:DWORD
	v_lshlrev_b16_e32 v11, 8, v12
	v_and_b32_sdwa v10, v10, s4 dst_sel:DWORD dst_unused:UNUSED_PAD src0_sel:WORD_1 src1_sel:DWORD
	v_or_b32_sdwa v10, v10, v11 dst_sel:WORD_1 dst_unused:UNUSED_PAD src0_sel:DWORD src1_sel:DWORD
	v_or_b32_sdwa v11, v8, v10 dst_sel:DWORD dst_unused:UNUSED_PAD src0_sel:WORD_0 src1_sel:DWORD
.LBB978_65:
	s_or_b64 exec, exec, s[6:7]
	v_add_u32_e32 v8, 5, v35
	v_cmp_le_u32_e32 vcc, s16, v8
	v_lshrrev_b32_e32 v12, 24, v11
	v_lshrrev_b32_e32 v25, 24, v9
                                        ; implicit-def: $vgpr8
                                        ; implicit-def: $vgpr10
	s_and_saveexec_b64 s[4:5], vcc
	s_xor_b64 s[4:5], exec, s[4:5]
	s_cbranch_execz .LBB978_67
; %bb.66:
	s_mov_b32 s6, 0x40c0100
	v_perm_b32 v8, v12, v11, s6
	s_movk_i32 s6, 0xff
	v_lshlrev_b16_e32 v10, 8, v25
	v_and_b32_sdwa v11, v9, s6 dst_sel:DWORD dst_unused:UNUSED_PAD src0_sel:WORD_1 src1_sel:DWORD
	v_or_b32_e32 v10, v11, v10
	s_mov_b32 s6, 0x5040c00
	v_perm_b32 v10, v10, v9, s6
	v_mov_b32_e32 v9, 8
	v_lshrrev_b32_sdwa v9, v9, v8 dst_sel:BYTE_1 dst_unused:UNUSED_PAD src0_sel:DWORD src1_sel:DWORD
	v_or_b32_sdwa v9, v8, v9 dst_sel:DWORD dst_unused:UNUSED_PAD src0_sel:BYTE_0 src1_sel:DWORD
	v_and_b32_e32 v9, 0xffff, v9
	s_mov_b32 s6, 0xff000000
	v_and_or_b32 v8, v8, s6, v9
	s_mov_b32 s6, 0x3060504
	v_perm_b32 v7, v7, v7, s6
                                        ; implicit-def: $vgpr9
                                        ; implicit-def: $vgpr25
                                        ; implicit-def: $vgpr11
                                        ; implicit-def: $vgpr12
.LBB978_67:
	s_andn2_saveexec_b64 s[6:7], s[4:5]
	s_cbranch_execz .LBB978_71
; %bb.68:
	v_add_u32_e32 v8, s37, v20
	v_add_u32_e32 v10, s39, v20
	v_mul_lo_u32 v8, v8, s36
	v_mul_lo_u32 v10, v10, s38
	s_mov_b64 s[8:9], 0
	v_sub_u32_e32 v8, v8, v10
	v_cmp_lt_u32_e32 vcc, s40, v8
	v_cmp_ge_u32_e64 s[4:5], s40, v8
	s_and_saveexec_b64 s[10:11], s[4:5]
	s_cbranch_execz .LBB978_70
; %bb.69:
	v_add_u32_e32 v8, s42, v20
	v_add_u32_e32 v10, s56, v20
	v_mul_lo_u32 v8, v8, s41
	v_mul_lo_u32 v10, v10, s43
	v_sub_u32_e32 v8, v8, v10
	v_cmp_lt_u32_e64 s[4:5], s57, v8
	s_and_b64 s[8:9], s[4:5], exec
.LBB978_70:
	s_or_b64 exec, exec, s[10:11]
	v_cndmask_b32_e64 v8, 0, 1, vcc
	v_lshlrev_b16_e32 v8, 8, v8
	s_movk_i32 s4, 0xff
	v_or_b32_sdwa v8, v9, v8 dst_sel:DWORD dst_unused:UNUSED_PAD src0_sel:BYTE_0 src1_sel:DWORD
	v_lshlrev_b16_e32 v10, 8, v25
	v_and_b32_sdwa v9, v9, s4 dst_sel:DWORD dst_unused:UNUSED_PAD src0_sel:WORD_1 src1_sel:DWORD
	v_or_b32_sdwa v9, v9, v10 dst_sel:WORD_1 dst_unused:UNUSED_PAD src0_sel:DWORD src1_sel:DWORD
	v_or_b32_sdwa v10, v8, v9 dst_sel:DWORD dst_unused:UNUSED_PAD src0_sel:WORD_0 src1_sel:DWORD
	v_mov_b32_e32 v8, 8
	v_cndmask_b32_e64 v26, 0, 1, s[8:9]
	v_lshrrev_b32_sdwa v8, v8, v11 dst_sel:BYTE_1 dst_unused:UNUSED_PAD src0_sel:DWORD src1_sel:DWORD
	v_lshlrev_b16_e32 v9, 8, v12
	v_or_b32_sdwa v8, v11, v8 dst_sel:DWORD dst_unused:UNUSED_PAD src0_sel:BYTE_0 src1_sel:DWORD
	v_or_b32_sdwa v9, v26, v9 dst_sel:WORD_1 dst_unused:UNUSED_PAD src0_sel:DWORD src1_sel:DWORD
	v_or_b32_sdwa v8, v8, v9 dst_sel:DWORD dst_unused:UNUSED_PAD src0_sel:WORD_0 src1_sel:DWORD
.LBB978_71:
	s_or_b64 exec, exec, s[6:7]
	v_add_u32_e32 v9, 6, v35
	v_cmp_le_u32_e32 vcc, s16, v9
	v_lshrrev_b32_e32 v11, 24, v10
                                        ; implicit-def: $vgpr37
                                        ; implicit-def: $vgpr9
	s_and_saveexec_b64 s[4:5], vcc
	s_xor_b64 s[4:5], exec, s[4:5]
	s_cbranch_execz .LBB978_73
; %bb.72:
	s_mov_b32 s6, 0x40c0100
	v_perm_b32 v9, v11, v10, s6
	v_mov_b32_e32 v10, 8
	v_lshrrev_b32_sdwa v10, v10, v9 dst_sel:BYTE_1 dst_unused:UNUSED_PAD src0_sel:DWORD src1_sel:DWORD
	v_or_b32_sdwa v10, v9, v10 dst_sel:DWORD dst_unused:UNUSED_PAD src0_sel:BYTE_0 src1_sel:DWORD
	v_and_b32_e32 v10, 0xffff, v10
	s_mov_b32 s6, 0xff000000
	v_and_b32_e32 v12, 0xff0000, v8
	v_and_or_b32 v9, v9, s6, v10
	s_mov_b32 s6, 0x3020504
	v_perm_b32 v37, v8, v12, s6
	s_mov_b32 s6, 0x3060504
	v_perm_b32 v7, v7, v7, s6
                                        ; implicit-def: $vgpr10
                                        ; implicit-def: $vgpr11
                                        ; implicit-def: $vgpr8
.LBB978_73:
	s_andn2_saveexec_b64 s[6:7], s[4:5]
	s_cbranch_execz .LBB978_77
; %bb.74:
	v_add_u32_e32 v9, s37, v17
	v_add_u32_e32 v12, s39, v17
	v_mul_lo_u32 v9, v9, s36
	v_mul_lo_u32 v12, v12, s38
	s_mov_b64 s[8:9], 0
	v_sub_u32_e32 v9, v9, v12
	v_cmp_lt_u32_e32 vcc, s40, v9
	v_cmp_ge_u32_e64 s[4:5], s40, v9
	s_and_saveexec_b64 s[10:11], s[4:5]
	s_cbranch_execz .LBB978_76
; %bb.75:
	v_add_u32_e32 v9, s42, v17
	v_add_u32_e32 v12, s56, v17
	v_mul_lo_u32 v9, v9, s41
	v_mul_lo_u32 v12, v12, s43
	v_sub_u32_e32 v9, v9, v12
	v_cmp_lt_u32_e64 s[4:5], s57, v9
	s_and_b64 s[8:9], s[4:5], exec
.LBB978_76:
	s_or_b64 exec, exec, s[10:11]
	v_mov_b32_e32 v25, 8
	v_cndmask_b32_e64 v9, 0, 1, vcc
	v_lshrrev_b32_sdwa v26, v25, v10 dst_sel:BYTE_1 dst_unused:UNUSED_PAD src0_sel:DWORD src1_sel:DWORD
	v_lshlrev_b16_e32 v11, 8, v11
	v_or_b32_sdwa v10, v10, v26 dst_sel:DWORD dst_unused:UNUSED_PAD src0_sel:BYTE_0 src1_sel:DWORD
	v_or_b32_sdwa v9, v9, v11 dst_sel:WORD_1 dst_unused:UNUSED_PAD src0_sel:DWORD src1_sel:DWORD
	v_cndmask_b32_e64 v12, 0, 1, s[8:9]
	s_movk_i32 s4, 0xff
	v_or_b32_sdwa v9, v10, v9 dst_sel:DWORD dst_unused:UNUSED_PAD src0_sel:WORD_0 src1_sel:DWORD
	v_lshrrev_b32_sdwa v10, v25, v8 dst_sel:BYTE_1 dst_unused:UNUSED_PAD src0_sel:DWORD src1_sel:DWORD
	v_or_b32_sdwa v10, v8, v10 dst_sel:DWORD dst_unused:UNUSED_PAD src0_sel:BYTE_0 src1_sel:DWORD
	v_lshlrev_b16_e32 v11, 8, v12
	v_and_b32_sdwa v8, v8, s4 dst_sel:DWORD dst_unused:UNUSED_PAD src0_sel:WORD_1 src1_sel:DWORD
	v_or_b32_sdwa v8, v8, v11 dst_sel:WORD_1 dst_unused:UNUSED_PAD src0_sel:DWORD src1_sel:DWORD
	v_or_b32_sdwa v37, v10, v8 dst_sel:DWORD dst_unused:UNUSED_PAD src0_sel:WORD_0 src1_sel:DWORD
.LBB978_77:
	s_or_b64 exec, exec, s[6:7]
	v_add_u32_e32 v8, 7, v35
	v_cmp_le_u32_e32 vcc, s16, v8
	v_lshrrev_b32_e32 v10, 24, v7
                                        ; implicit-def: $vgpr8
                                        ; implicit-def: $vgpr38
	s_and_saveexec_b64 s[4:5], vcc
	s_xor_b64 s[4:5], exec, s[4:5]
; %bb.78:
	v_and_b32_e32 v8, 0xff0000, v9
	s_mov_b32 s6, 0x3020504
	v_perm_b32 v38, v9, v8, s6
	s_movk_i32 s6, 0xff
	v_lshlrev_b16_e32 v8, 8, v10
	v_and_b32_sdwa v9, v7, s6 dst_sel:DWORD dst_unused:UNUSED_PAD src0_sel:WORD_1 src1_sel:DWORD
	v_mov_b32_e32 v11, 8
	v_or_b32_sdwa v8, v9, v8 dst_sel:WORD_1 dst_unused:UNUSED_PAD src0_sel:DWORD src1_sel:DWORD
	v_lshrrev_b32_sdwa v8, v11, v7 dst_sel:BYTE_1 dst_unused:UNUSED_PRESERVE src0_sel:DWORD src1_sel:DWORD
                                        ; implicit-def: $vgpr9
                                        ; implicit-def: $vgpr10
                                        ; implicit-def: $vgpr7
; %bb.79:
	s_andn2_saveexec_b64 s[6:7], s[4:5]
	s_cbranch_execz .LBB978_83
; %bb.80:
	v_add_u32_e32 v8, s37, v18
	v_add_u32_e32 v11, s39, v18
	v_mul_lo_u32 v8, v8, s36
	v_mul_lo_u32 v11, v11, s38
	s_mov_b64 s[8:9], 0
	v_sub_u32_e32 v8, v8, v11
	v_cmp_lt_u32_e32 vcc, s40, v8
	v_cmp_ge_u32_e64 s[4:5], s40, v8
	s_and_saveexec_b64 s[10:11], s[4:5]
	s_cbranch_execz .LBB978_82
; %bb.81:
	v_add_u32_e32 v8, s42, v18
	v_add_u32_e32 v11, s56, v18
	v_mul_lo_u32 v8, v8, s41
	v_mul_lo_u32 v11, v11, s43
	v_sub_u32_e32 v8, v8, v11
	v_cmp_lt_u32_e64 s[4:5], s57, v8
	s_and_b64 s[8:9], s[4:5], exec
.LBB978_82:
	s_or_b64 exec, exec, s[10:11]
	v_mov_b32_e32 v12, 8
	v_cndmask_b32_e64 v8, 0, 1, vcc
	s_movk_i32 s4, 0xff
	v_lshrrev_b32_sdwa v25, v12, v9 dst_sel:BYTE_1 dst_unused:UNUSED_PAD src0_sel:DWORD src1_sel:DWORD
	v_or_b32_sdwa v25, v9, v25 dst_sel:DWORD dst_unused:UNUSED_PAD src0_sel:BYTE_0 src1_sel:DWORD
	v_lshlrev_b16_e32 v8, 8, v8
	v_and_b32_sdwa v9, v9, s4 dst_sel:DWORD dst_unused:UNUSED_PAD src0_sel:WORD_1 src1_sel:DWORD
	v_or_b32_sdwa v8, v9, v8 dst_sel:WORD_1 dst_unused:UNUSED_PAD src0_sel:DWORD src1_sel:DWORD
	v_cndmask_b32_e64 v11, 0, 1, s[8:9]
	v_or_b32_sdwa v38, v25, v8 dst_sel:DWORD dst_unused:UNUSED_PAD src0_sel:WORD_0 src1_sel:DWORD
	v_lshlrev_b16_e32 v8, 8, v10
	v_and_b32_sdwa v9, v7, s4 dst_sel:DWORD dst_unused:UNUSED_PAD src0_sel:WORD_1 src1_sel:DWORD
	v_lshrrev_b32_sdwa v7, v12, v7 dst_sel:BYTE_1 dst_unused:UNUSED_PAD src0_sel:DWORD src1_sel:DWORD
	v_or_b32_sdwa v8, v9, v8 dst_sel:WORD_1 dst_unused:UNUSED_PAD src0_sel:DWORD src1_sel:DWORD
	v_or_b32_e32 v7, v11, v7
	v_or_b32_sdwa v8, v7, v8 dst_sel:DWORD dst_unused:UNUSED_PAD src0_sel:WORD_0 src1_sel:DWORD
.LBB978_83:
	s_or_b64 exec, exec, s[6:7]
	v_add_u32_e32 v7, 8, v35
	v_cmp_le_u32_e32 vcc, s16, v7
	v_lshrrev_b32_e32 v10, 24, v8
	v_lshrrev_b32_e32 v11, 24, v6
                                        ; implicit-def: $vgpr9
                                        ; implicit-def: $vgpr7
	s_and_saveexec_b64 s[4:5], vcc
	s_xor_b64 s[4:5], exec, s[4:5]
	s_cbranch_execz .LBB978_85
; %bb.84:
	s_movk_i32 s6, 0xff
	v_lshlrev_b16_e32 v7, 8, v11
	v_and_b32_sdwa v9, v6, s6 dst_sel:DWORD dst_unused:UNUSED_PAD src0_sel:WORD_1 src1_sel:DWORD
	v_or_b32_sdwa v7, v9, v7 dst_sel:WORD_1 dst_unused:UNUSED_PAD src0_sel:DWORD src1_sel:DWORD
	v_mov_b32_e32 v9, 8
	v_lshrrev_b32_sdwa v7, v9, v6 dst_sel:BYTE_1 dst_unused:UNUSED_PRESERVE src0_sel:DWORD src1_sel:DWORD
	v_lshlrev_b16_e32 v6, 8, v10
	v_and_b32_sdwa v9, v8, s6 dst_sel:DWORD dst_unused:UNUSED_PAD src0_sel:WORD_1 src1_sel:DWORD
	s_mov_b32 s7, 0x3060504
	v_or_b32_e32 v6, v9, v6
	s_mov_b32 s6, 0x5040c00
	v_perm_b32 v5, v5, v5, s7
	v_perm_b32 v9, v6, v8, s6
                                        ; implicit-def: $vgpr11
                                        ; implicit-def: $vgpr6
                                        ; implicit-def: $vgpr8
                                        ; implicit-def: $vgpr10
.LBB978_85:
	s_andn2_saveexec_b64 s[6:7], s[4:5]
	s_cbranch_execz .LBB978_89
; %bb.86:
	v_add_u32_e32 v7, s37, v15
	v_add_u32_e32 v9, s39, v15
	v_mul_lo_u32 v7, v7, s36
	v_mul_lo_u32 v9, v9, s38
	s_mov_b64 s[8:9], 0
	v_sub_u32_e32 v7, v7, v9
	v_cmp_lt_u32_e32 vcc, s40, v7
	v_cmp_ge_u32_e64 s[4:5], s40, v7
	s_and_saveexec_b64 s[10:11], s[4:5]
	s_cbranch_execz .LBB978_88
; %bb.87:
	v_add_u32_e32 v7, s42, v15
	v_add_u32_e32 v9, s56, v15
	v_mul_lo_u32 v7, v7, s41
	v_mul_lo_u32 v9, v9, s43
	v_sub_u32_e32 v7, v7, v9
	v_cmp_lt_u32_e64 s[4:5], s57, v7
	s_and_b64 s[8:9], s[4:5], exec
.LBB978_88:
	s_or_b64 exec, exec, s[10:11]
	s_movk_i32 s4, 0xff
	v_lshlrev_b16_e32 v11, 8, v11
	v_and_b32_sdwa v12, v6, s4 dst_sel:DWORD dst_unused:UNUSED_PAD src0_sel:WORD_1 src1_sel:DWORD
	v_or_b32_sdwa v11, v12, v11 dst_sel:WORD_1 dst_unused:UNUSED_PAD src0_sel:DWORD src1_sel:DWORD
	v_mov_b32_e32 v12, 8
	v_cndmask_b32_e64 v7, 0, 1, vcc
	v_lshrrev_b32_sdwa v6, v12, v6 dst_sel:BYTE_1 dst_unused:UNUSED_PAD src0_sel:DWORD src1_sel:DWORD
	v_cndmask_b32_e64 v9, 0, 1, s[8:9]
	v_or_b32_e32 v6, v7, v6
	v_or_b32_sdwa v7, v6, v11 dst_sel:DWORD dst_unused:UNUSED_PAD src0_sel:WORD_0 src1_sel:DWORD
	v_lshlrev_b16_e32 v6, 8, v9
	v_or_b32_sdwa v6, v8, v6 dst_sel:DWORD dst_unused:UNUSED_PAD src0_sel:BYTE_0 src1_sel:DWORD
	v_lshlrev_b16_e32 v9, 8, v10
	v_and_b32_sdwa v8, v8, s4 dst_sel:DWORD dst_unused:UNUSED_PAD src0_sel:WORD_1 src1_sel:DWORD
	v_or_b32_sdwa v8, v8, v9 dst_sel:WORD_1 dst_unused:UNUSED_PAD src0_sel:DWORD src1_sel:DWORD
	v_or_b32_sdwa v9, v6, v8 dst_sel:DWORD dst_unused:UNUSED_PAD src0_sel:WORD_0 src1_sel:DWORD
.LBB978_89:
	s_or_b64 exec, exec, s[6:7]
	v_add_u32_e32 v6, 9, v35
	v_cmp_le_u32_e32 vcc, s16, v6
	v_lshrrev_b32_e32 v10, 24, v9
	v_lshrrev_b32_e32 v11, 24, v7
                                        ; implicit-def: $vgpr6
                                        ; implicit-def: $vgpr8
	s_and_saveexec_b64 s[4:5], vcc
	s_xor_b64 s[4:5], exec, s[4:5]
	s_cbranch_execz .LBB978_91
; %bb.90:
	s_mov_b32 s6, 0x40c0100
	v_perm_b32 v6, v10, v9, s6
	v_mov_b32_e32 v8, 8
	s_movk_i32 s6, 0xff
	v_lshrrev_b32_sdwa v9, v8, v6 dst_sel:BYTE_1 dst_unused:UNUSED_PAD src0_sel:DWORD src1_sel:DWORD
	v_lshlrev_b16_e32 v8, 8, v11
	v_and_b32_sdwa v10, v7, s6 dst_sel:DWORD dst_unused:UNUSED_PAD src0_sel:WORD_1 src1_sel:DWORD
	v_or_b32_e32 v8, v10, v8
	s_mov_b32 s6, 0x5040c00
	v_perm_b32 v8, v8, v7, s6
	s_mov_b32 s6, 0x3060504
	v_or_b32_sdwa v7, v6, v9 dst_sel:DWORD dst_unused:UNUSED_PAD src0_sel:BYTE_0 src1_sel:DWORD
	v_perm_b32 v5, v5, v5, s6
	v_and_b32_e32 v7, 0xffff, v7
	s_mov_b32 s6, 0xff000000
	v_and_or_b32 v6, v6, s6, v7
                                        ; implicit-def: $vgpr7
                                        ; implicit-def: $vgpr11
                                        ; implicit-def: $vgpr9
                                        ; implicit-def: $vgpr10
.LBB978_91:
	s_andn2_saveexec_b64 s[6:7], s[4:5]
	s_cbranch_execz .LBB978_95
; %bb.92:
	v_add_u32_e32 v6, s37, v16
	v_add_u32_e32 v8, s39, v16
	v_mul_lo_u32 v6, v6, s36
	v_mul_lo_u32 v8, v8, s38
	s_mov_b64 s[8:9], 0
	v_sub_u32_e32 v6, v6, v8
	v_cmp_lt_u32_e32 vcc, s40, v6
	v_cmp_ge_u32_e64 s[4:5], s40, v6
	s_and_saveexec_b64 s[10:11], s[4:5]
	s_cbranch_execz .LBB978_94
; %bb.93:
	v_add_u32_e32 v6, s42, v16
	v_add_u32_e32 v8, s56, v16
	v_mul_lo_u32 v6, v6, s41
	v_mul_lo_u32 v8, v8, s43
	v_sub_u32_e32 v6, v6, v8
	v_cmp_lt_u32_e64 s[4:5], s57, v6
	s_and_b64 s[8:9], s[4:5], exec
.LBB978_94:
	s_or_b64 exec, exec, s[10:11]
	v_cndmask_b32_e64 v6, 0, 1, vcc
	v_lshlrev_b16_e32 v6, 8, v6
	s_movk_i32 s4, 0xff
	v_or_b32_sdwa v6, v7, v6 dst_sel:DWORD dst_unused:UNUSED_PAD src0_sel:BYTE_0 src1_sel:DWORD
	v_lshlrev_b16_e32 v8, 8, v11
	v_and_b32_sdwa v7, v7, s4 dst_sel:DWORD dst_unused:UNUSED_PAD src0_sel:WORD_1 src1_sel:DWORD
	v_or_b32_sdwa v7, v7, v8 dst_sel:WORD_1 dst_unused:UNUSED_PAD src0_sel:DWORD src1_sel:DWORD
	v_or_b32_sdwa v8, v6, v7 dst_sel:DWORD dst_unused:UNUSED_PAD src0_sel:WORD_0 src1_sel:DWORD
	v_mov_b32_e32 v6, 8
	v_cndmask_b32_e64 v12, 0, 1, s[8:9]
	v_lshrrev_b32_sdwa v6, v6, v9 dst_sel:BYTE_1 dst_unused:UNUSED_PAD src0_sel:DWORD src1_sel:DWORD
	v_lshlrev_b16_e32 v7, 8, v10
	v_or_b32_sdwa v6, v9, v6 dst_sel:DWORD dst_unused:UNUSED_PAD src0_sel:BYTE_0 src1_sel:DWORD
	v_or_b32_sdwa v7, v12, v7 dst_sel:WORD_1 dst_unused:UNUSED_PAD src0_sel:DWORD src1_sel:DWORD
	v_or_b32_sdwa v6, v6, v7 dst_sel:DWORD dst_unused:UNUSED_PAD src0_sel:WORD_0 src1_sel:DWORD
.LBB978_95:
	s_or_b64 exec, exec, s[6:7]
	v_add_u32_e32 v7, 10, v35
	v_cmp_le_u32_e32 vcc, s16, v7
	v_lshrrev_b32_e32 v9, 24, v8
                                        ; implicit-def: $vgpr39
                                        ; implicit-def: $vgpr7
	s_and_saveexec_b64 s[4:5], vcc
	s_xor_b64 s[4:5], exec, s[4:5]
	s_cbranch_execz .LBB978_97
; %bb.96:
	s_mov_b32 s6, 0x40c0100
	v_perm_b32 v7, v9, v8, s6
	v_mov_b32_e32 v8, 8
	v_lshrrev_b32_sdwa v8, v8, v7 dst_sel:BYTE_1 dst_unused:UNUSED_PAD src0_sel:DWORD src1_sel:DWORD
	v_or_b32_sdwa v8, v7, v8 dst_sel:DWORD dst_unused:UNUSED_PAD src0_sel:BYTE_0 src1_sel:DWORD
	v_and_b32_e32 v8, 0xffff, v8
	s_mov_b32 s6, 0xff000000
	v_and_or_b32 v7, v7, s6, v8
	s_mov_b32 s6, 0x3060504
	v_and_b32_e32 v10, 0xff0000, v6
	v_perm_b32 v5, v5, v5, s6
	s_mov_b32 s6, 0x3020504
	v_perm_b32 v39, v6, v10, s6
                                        ; implicit-def: $vgpr8
                                        ; implicit-def: $vgpr9
                                        ; implicit-def: $vgpr6
.LBB978_97:
	s_andn2_saveexec_b64 s[6:7], s[4:5]
	s_cbranch_execz .LBB978_101
; %bb.98:
	v_add_u32_e32 v7, s37, v13
	v_add_u32_e32 v10, s39, v13
	v_mul_lo_u32 v7, v7, s36
	v_mul_lo_u32 v10, v10, s38
	s_mov_b64 s[8:9], 0
	v_sub_u32_e32 v7, v7, v10
	v_cmp_lt_u32_e32 vcc, s40, v7
	v_cmp_ge_u32_e64 s[4:5], s40, v7
	s_and_saveexec_b64 s[10:11], s[4:5]
	s_cbranch_execz .LBB978_100
; %bb.99:
	v_add_u32_e32 v7, s42, v13
	v_add_u32_e32 v10, s56, v13
	v_mul_lo_u32 v7, v7, s41
	v_mul_lo_u32 v10, v10, s43
	v_sub_u32_e32 v7, v7, v10
	v_cmp_lt_u32_e64 s[4:5], s57, v7
	s_and_b64 s[8:9], s[4:5], exec
.LBB978_100:
	s_or_b64 exec, exec, s[10:11]
	v_mov_b32_e32 v11, 8
	v_cndmask_b32_e64 v7, 0, 1, vcc
	v_lshrrev_b32_sdwa v12, v11, v8 dst_sel:BYTE_1 dst_unused:UNUSED_PAD src0_sel:DWORD src1_sel:DWORD
	v_lshlrev_b16_e32 v9, 8, v9
	v_or_b32_sdwa v8, v8, v12 dst_sel:DWORD dst_unused:UNUSED_PAD src0_sel:BYTE_0 src1_sel:DWORD
	v_or_b32_sdwa v7, v7, v9 dst_sel:WORD_1 dst_unused:UNUSED_PAD src0_sel:DWORD src1_sel:DWORD
	v_cndmask_b32_e64 v10, 0, 1, s[8:9]
	s_movk_i32 s4, 0xff
	v_or_b32_sdwa v7, v8, v7 dst_sel:DWORD dst_unused:UNUSED_PAD src0_sel:WORD_0 src1_sel:DWORD
	v_lshrrev_b32_sdwa v8, v11, v6 dst_sel:BYTE_1 dst_unused:UNUSED_PAD src0_sel:DWORD src1_sel:DWORD
	v_or_b32_sdwa v8, v6, v8 dst_sel:DWORD dst_unused:UNUSED_PAD src0_sel:BYTE_0 src1_sel:DWORD
	v_lshlrev_b16_e32 v9, 8, v10
	v_and_b32_sdwa v6, v6, s4 dst_sel:DWORD dst_unused:UNUSED_PAD src0_sel:WORD_1 src1_sel:DWORD
	v_or_b32_sdwa v6, v6, v9 dst_sel:WORD_1 dst_unused:UNUSED_PAD src0_sel:DWORD src1_sel:DWORD
	v_or_b32_sdwa v39, v8, v6 dst_sel:DWORD dst_unused:UNUSED_PAD src0_sel:WORD_0 src1_sel:DWORD
.LBB978_101:
	s_or_b64 exec, exec, s[6:7]
	v_add_u32_e32 v6, 11, v35
	v_mov_b32_e32 v40, 0
	v_cmp_le_u32_e32 vcc, s16, v6
                                        ; implicit-def: $vgpr41
	s_and_saveexec_b64 s[4:5], vcc
	s_xor_b64 s[4:5], exec, s[4:5]
; %bb.102:
	v_and_b32_e32 v6, 0xff0000, v7
	s_mov_b32 s6, 0x3020504
	v_perm_b32 v41, v7, v6, s6
	s_mov_b32 s6, 0x3060504
	v_perm_b32 v5, v5, v5, s6
                                        ; implicit-def: $vgpr7
; %bb.103:
	s_andn2_saveexec_b64 s[6:7], s[4:5]
	s_cbranch_execz .LBB978_107
; %bb.104:
	v_add_u32_e32 v6, s37, v14
	v_add_u32_e32 v8, s39, v14
	v_mul_lo_u32 v6, v6, s36
	v_mul_lo_u32 v8, v8, s38
	s_mov_b64 s[8:9], 0
	v_sub_u32_e32 v6, v6, v8
	v_cmp_lt_u32_e32 vcc, s40, v6
	v_cmp_ge_u32_e64 s[4:5], s40, v6
	s_and_saveexec_b64 s[10:11], s[4:5]
	s_cbranch_execz .LBB978_106
; %bb.105:
	v_add_u32_e32 v6, s42, v14
	v_add_u32_e32 v8, s56, v14
	v_mul_lo_u32 v6, v6, s41
	v_mul_lo_u32 v8, v8, s43
	v_sub_u32_e32 v6, v6, v8
	v_cmp_lt_u32_e64 s[4:5], s57, v6
	s_and_b64 s[8:9], s[4:5], exec
.LBB978_106:
	s_or_b64 exec, exec, s[10:11]
	v_mov_b32_e32 v8, 8
	v_cndmask_b32_e64 v6, 0, 1, vcc
	s_movk_i32 s4, 0xff
	v_lshrrev_b32_sdwa v8, v8, v7 dst_sel:BYTE_1 dst_unused:UNUSED_PAD src0_sel:DWORD src1_sel:DWORD
	v_or_b32_sdwa v8, v7, v8 dst_sel:DWORD dst_unused:UNUSED_PAD src0_sel:BYTE_0 src1_sel:DWORD
	v_lshlrev_b16_e32 v6, 8, v6
	v_and_b32_sdwa v7, v7, s4 dst_sel:DWORD dst_unused:UNUSED_PAD src0_sel:WORD_1 src1_sel:DWORD
	v_or_b32_sdwa v6, v7, v6 dst_sel:WORD_1 dst_unused:UNUSED_PAD src0_sel:DWORD src1_sel:DWORD
	v_cndmask_b32_e64 v40, 0, 1, s[8:9]
	v_or_b32_sdwa v41, v8, v6 dst_sel:DWORD dst_unused:UNUSED_PAD src0_sel:WORD_0 src1_sel:DWORD
.LBB978_107:
	s_or_b64 exec, exec, s[6:7]
	v_add_u32_e32 v6, 12, v35
	v_cmp_le_u32_e32 vcc, s16, v6
	v_lshrrev_b32_e32 v6, 24, v5
                                        ; implicit-def: $vgpr42
	s_and_saveexec_b64 s[4:5], vcc
	s_xor_b64 s[4:5], exec, s[4:5]
; %bb.108:
	s_movk_i32 s6, 0xff
	v_lshlrev_b16_e32 v6, 8, v6
	v_and_b32_sdwa v8, v5, s6 dst_sel:DWORD dst_unused:UNUSED_PAD src0_sel:WORD_1 src1_sel:DWORD
	v_mov_b32_e32 v7, 8
	v_or_b32_sdwa v42, v8, v6 dst_sel:WORD_1 dst_unused:UNUSED_PAD src0_sel:DWORD src1_sel:DWORD
	v_lshrrev_b32_sdwa v42, v7, v5 dst_sel:BYTE_1 dst_unused:UNUSED_PRESERVE src0_sel:DWORD src1_sel:DWORD
                                        ; implicit-def: $vgpr6
                                        ; implicit-def: $vgpr5
; %bb.109:
	s_or_saveexec_b64 s[6:7], s[4:5]
	v_mov_b32_e32 v43, 0
	s_xor_b64 exec, exec, s[6:7]
	s_cbranch_execz .LBB978_113
; %bb.110:
	v_add_u32_e32 v7, s37, v34
	v_add_u32_e32 v8, s39, v34
	v_mul_lo_u32 v7, v7, s36
	v_mul_lo_u32 v8, v8, s38
	s_mov_b64 s[8:9], 0
	v_sub_u32_e32 v7, v7, v8
	v_cmp_lt_u32_e32 vcc, s40, v7
	v_cmp_ge_u32_e64 s[4:5], s40, v7
	s_and_saveexec_b64 s[10:11], s[4:5]
	s_cbranch_execz .LBB978_112
; %bb.111:
	v_add_u32_e32 v7, s42, v34
	v_add_u32_e32 v8, s56, v34
	v_mul_lo_u32 v7, v7, s41
	v_mul_lo_u32 v8, v8, s43
	v_sub_u32_e32 v7, v7, v8
	v_cmp_lt_u32_e64 s[4:5], s57, v7
	s_and_b64 s[8:9], s[4:5], exec
.LBB978_112:
	s_or_b64 exec, exec, s[10:11]
	s_movk_i32 s4, 0xff
	v_lshlrev_b16_e32 v6, 8, v6
	v_and_b32_sdwa v8, v5, s4 dst_sel:DWORD dst_unused:UNUSED_PAD src0_sel:WORD_1 src1_sel:DWORD
	v_or_b32_sdwa v6, v8, v6 dst_sel:WORD_1 dst_unused:UNUSED_PAD src0_sel:DWORD src1_sel:DWORD
	v_mov_b32_e32 v8, 8
	v_cndmask_b32_e64 v7, 0, 1, vcc
	v_lshrrev_b32_sdwa v5, v8, v5 dst_sel:BYTE_1 dst_unused:UNUSED_PAD src0_sel:DWORD src1_sel:DWORD
	v_or_b32_e32 v5, v7, v5
	v_cndmask_b32_e64 v43, 0, 1, s[8:9]
	v_or_b32_sdwa v42, v5, v6 dst_sel:DWORD dst_unused:UNUSED_PAD src0_sel:WORD_0 src1_sel:DWORD
.LBB978_113:
	s_or_b64 exec, exec, s[6:7]
.LBB978_114:
	v_and_b32_e32 v53, 0xff, v36
	v_bfe_u32 v50, v36, 8, 8
	v_bfe_u32 v55, v36, 16, 8
	v_lshrrev_b32_e32 v48, 24, v36
	v_and_b32_e32 v56, 0xff, v38
	v_add3_u32 v8, v50, v53, v55
	v_bfe_u32 v51, v38, 8, 8
	v_bfe_u32 v58, v38, 16, 8
	v_add3_u32 v8, v8, v48, v56
	v_bfe_u32 v54, v42, 8, 8
	v_bfe_u32 v62, v42, 16, 8
	v_lshrrev_b32_e32 v49, 24, v42
	v_lshrrev_b32_e32 v46, 24, v38
	v_and_b32_e32 v59, 0xff, v41
	v_add3_u32 v8, v8, v51, v58
	v_and_b32_e32 v63, 0xff, v37
	v_bfe_u32 v57, v37, 8, 8
	v_bfe_u32 v52, v41, 8, 8
	;; [unrolled: 1-line block ×3, first 2 shown]
	v_add3_u32 v7, v62, v54, v49
	v_add3_u32 v8, v8, v46, v59
	v_bfe_u32 v64, v37, 16, 8
	v_lshrrev_b32_e32 v47, 24, v37
	v_lshrrev_b32_e32 v44, 24, v41
	v_and_b32_e32 v5, 0xff, v42
	v_add3_u32 v7, v7, v63, v57
	v_add3_u32 v8, v8, v52, v61
	v_and_b32_e32 v65, 0xff, v39
	v_bfe_u32 v60, v39, 8, 8
	v_add3_u32 v7, v7, v64, v47
	v_add3_u32 v73, v8, v44, v5
	v_mbcnt_lo_u32_b32 v5, -1, 0
	v_bfe_u32 v66, v39, 16, 8
	v_lshrrev_b32_e32 v45, 24, v39
	v_add3_u32 v7, v7, v65, v60
	v_mbcnt_hi_u32_b32 v68, -1, v5
	v_and_b32_e32 v67, 0xff, v40
	v_and_b32_e32 v6, 0xff, v43
	v_add3_u32 v7, v7, v66, v45
	v_and_b32_e32 v72, 15, v68
	s_cmp_lg_u32 s33, 0
	v_add3_u32 v74, v7, v67, v6
	v_cmp_eq_u32_e64 s[6:7], 0, v72
	v_cmp_lt_u32_e64 s[4:5], 1, v72
	v_cmp_lt_u32_e64 s[10:11], 3, v72
	v_cmp_lt_u32_e64 s[8:9], 7, v72
	v_and_b32_e32 v71, 16, v68
	v_cmp_lt_u32_e32 vcc, 31, v68
	v_lshrrev_b32_e32 v69, 6, v0
	v_or_b32_e32 v70, 63, v0
	s_cbranch_scc0 .LBB978_136
; %bb.115:
	v_mov_b32_dpp v5, v73 row_shr:1 row_mask:0xf bank_mask:0xf
	v_mov_b32_dpp v6, v74 row_shr:1 row_mask:0xf bank_mask:0xf
	v_add_u32_e32 v5, v5, v73
	v_add_u32_e32 v6, v6, v74
	v_cndmask_b32_e64 v6, v6, v74, s[6:7]
	v_cndmask_b32_e64 v5, v5, v73, s[6:7]
	s_nop 0
	v_mov_b32_dpp v8, v6 row_shr:2 row_mask:0xf bank_mask:0xf
	v_mov_b32_dpp v7, v5 row_shr:2 row_mask:0xf bank_mask:0xf
	v_add_u32_e32 v7, v5, v7
	v_add_u32_e32 v8, v6, v8
	v_cndmask_b32_e64 v6, v6, v8, s[4:5]
	v_cndmask_b32_e64 v5, v5, v7, s[4:5]
	s_nop 0
	;; [unrolled: 7-line block ×3, first 2 shown]
	v_mov_b32_dpp v8, v6 row_shr:8 row_mask:0xf bank_mask:0xf
	v_mov_b32_dpp v7, v5 row_shr:8 row_mask:0xf bank_mask:0xf
	v_add_u32_e32 v7, v5, v7
	v_add_u32_e32 v8, v6, v8
	v_cndmask_b32_e64 v6, v6, v8, s[8:9]
	v_cndmask_b32_e64 v7, v5, v7, s[8:9]
	v_cmp_eq_u32_e64 s[8:9], 0, v71
	v_mov_b32_dpp v8, v6 row_bcast:15 row_mask:0xf bank_mask:0xf
	v_mov_b32_dpp v5, v7 row_bcast:15 row_mask:0xf bank_mask:0xf
	v_add_u32_e32 v9, v7, v5
	v_add_u32_e32 v5, v6, v8
	v_cndmask_b32_e64 v5, v5, v6, s[8:9]
	v_cndmask_b32_e64 v6, v9, v7, s[8:9]
	v_cmp_eq_u32_e64 s[8:9], v0, v70
	v_mov_b32_dpp v7, v5 row_bcast:31 row_mask:0xf bank_mask:0xf
	v_mov_b32_dpp v8, v6 row_bcast:31 row_mask:0xf bank_mask:0xf
	v_add_u32_e32 v7, v5, v7
	v_add_u32_e32 v8, v6, v8
	s_and_saveexec_b64 s[10:11], s[8:9]
; %bb.116:
	v_lshlrev_b32_e32 v11, 3, v69
	v_cndmask_b32_e32 v10, v5, v7, vcc
	v_cndmask_b32_e32 v9, v6, v8, vcc
	ds_write_b64 v11, v[9:10]
; %bb.117:
	s_or_b64 exec, exec, s[10:11]
	v_cmp_gt_u32_e64 s[8:9], 4, v0
	s_waitcnt lgkmcnt(0)
	s_barrier
	s_and_saveexec_b64 s[10:11], s[8:9]
	s_cbranch_execz .LBB978_119
; %bb.118:
	v_lshlrev_b32_e32 v11, 3, v0
	ds_read_b64 v[9:10], v11
	v_and_b32_e32 v12, 3, v68
	v_cmp_eq_u32_e64 s[8:9], 0, v12
	s_waitcnt lgkmcnt(0)
	v_mov_b32_dpp v25, v9 row_shr:1 row_mask:0xf bank_mask:0xf
	v_mov_b32_dpp v26, v10 row_shr:1 row_mask:0xf bank_mask:0xf
	v_add_u32_e32 v25, v25, v9
	v_add_u32_e32 v26, v26, v10
	v_cndmask_b32_e64 v10, v26, v10, s[8:9]
	v_cndmask_b32_e64 v9, v25, v9, s[8:9]
	v_cmp_lt_u32_e64 s[8:9], 1, v12
	v_mov_b32_dpp v26, v10 row_shr:2 row_mask:0xf bank_mask:0xf
	v_mov_b32_dpp v25, v9 row_shr:2 row_mask:0xf bank_mask:0xf
	v_cndmask_b32_e64 v12, 0, v25, s[8:9]
	v_cndmask_b32_e64 v25, 0, v26, s[8:9]
	v_add_u32_e32 v10, v25, v10
	v_add_u32_e32 v9, v12, v9
	ds_write_b64 v11, v[9:10]
.LBB978_119:
	s_or_b64 exec, exec, s[10:11]
	v_cndmask_b32_e32 v5, v5, v7, vcc
	v_cndmask_b32_e32 v6, v6, v8, vcc
	v_cmp_gt_u32_e32 vcc, 64, v0
	v_cmp_lt_u32_e64 s[8:9], 63, v0
	s_waitcnt lgkmcnt(0)
	s_barrier
                                        ; implicit-def: $vgpr25
	s_and_saveexec_b64 s[10:11], s[8:9]
	s_cbranch_execz .LBB978_121
; %bb.120:
	v_lshl_add_u32 v7, v69, 3, -8
	ds_read_b64 v[25:26], v7
	s_waitcnt lgkmcnt(0)
	v_add_u32_e32 v5, v26, v5
	v_add_u32_e32 v6, v25, v6
.LBB978_121:
	s_or_b64 exec, exec, s[10:11]
	v_subrev_co_u32_e64 v7, s[8:9], 1, v68
	v_and_b32_e32 v8, 64, v68
	v_cmp_lt_i32_e64 s[10:11], v7, v8
	v_cndmask_b32_e64 v7, v7, v68, s[10:11]
	v_lshlrev_b32_e32 v7, 2, v7
	ds_bpermute_b32 v75, v7, v6
	ds_bpermute_b32 v76, v7, v5
	s_and_saveexec_b64 s[10:11], vcc
	s_cbranch_execz .LBB978_141
; %bb.122:
	v_mov_b32_e32 v8, 0
	ds_read_b64 v[5:6], v8 offset:24
	s_and_saveexec_b64 s[12:13], s[8:9]
	s_cbranch_execz .LBB978_124
; %bb.123:
	s_add_i32 s14, s33, 64
	s_mov_b32 s15, 0
	s_lshl_b64 s[14:15], s[14:15], 4
	s_add_u32 s14, s54, s14
	s_addc_u32 s15, s55, s15
	v_mov_b32_e32 v9, s14
	v_mov_b32_e32 v7, 1
	;; [unrolled: 1-line block ×3, first 2 shown]
	s_waitcnt lgkmcnt(0)
	;;#ASMSTART
	global_store_dwordx4 v[9:10], v[5:8] off	
s_waitcnt vmcnt(0)
	;;#ASMEND
.LBB978_124:
	s_or_b64 exec, exec, s[12:13]
	v_xad_u32 v27, v68, -1, s33
	v_add_u32_e32 v7, 64, v27
	v_lshlrev_b64 v[9:10], 4, v[7:8]
	v_mov_b32_e32 v7, s55
	v_add_co_u32_e32 v28, vcc, s54, v9
	v_addc_co_u32_e32 v29, vcc, v7, v10, vcc
	;;#ASMSTART
	global_load_dwordx4 v[9:12], v[28:29] off glc	
s_waitcnt vmcnt(0)
	;;#ASMEND
	v_cmp_eq_u16_sdwa s[14:15], v11, v8 src0_sel:BYTE_0 src1_sel:DWORD
	s_and_saveexec_b64 s[12:13], s[14:15]
	s_cbranch_execz .LBB978_128
; %bb.125:
	s_mov_b64 s[14:15], 0
	v_mov_b32_e32 v7, 0
.LBB978_126:                            ; =>This Inner Loop Header: Depth=1
	;;#ASMSTART
	global_load_dwordx4 v[9:12], v[28:29] off glc	
s_waitcnt vmcnt(0)
	;;#ASMEND
	v_cmp_ne_u16_sdwa s[18:19], v11, v7 src0_sel:BYTE_0 src1_sel:DWORD
	s_or_b64 s[14:15], s[18:19], s[14:15]
	s_andn2_b64 exec, exec, s[14:15]
	s_cbranch_execnz .LBB978_126
; %bb.127:
	s_or_b64 exec, exec, s[14:15]
.LBB978_128:
	s_or_b64 exec, exec, s[12:13]
	v_and_b32_e32 v78, 63, v68
	v_cmp_ne_u32_e32 vcc, 63, v78
	v_mov_b32_e32 v77, 2
	v_lshlrev_b64 v[29:30], v68, -1
	v_addc_co_u32_e32 v12, vcc, 0, v68, vcc
	v_cmp_eq_u16_sdwa s[12:13], v11, v77 src0_sel:BYTE_0 src1_sel:DWORD
	v_lshlrev_b32_e32 v79, 2, v12
	v_and_b32_e32 v7, s13, v30
	ds_bpermute_b32 v12, v79, v9
	ds_bpermute_b32 v28, v79, v10
	v_or_b32_e32 v7, 0x80000000, v7
	v_and_b32_e32 v8, s12, v29
	v_ffbl_b32_e32 v7, v7
	v_add_u32_e32 v7, 32, v7
	v_ffbl_b32_e32 v8, v8
	v_min_u32_e32 v7, v8, v7
	s_waitcnt lgkmcnt(1)
	v_add_u32_e32 v8, v12, v9
	s_waitcnt lgkmcnt(0)
	v_add_u32_e32 v12, v28, v10
	v_cmp_lt_u32_e32 vcc, v78, v7
	v_cndmask_b32_e32 v10, v10, v12, vcc
	v_cndmask_b32_e32 v8, v9, v8, vcc
	v_cmp_gt_u32_e32 vcc, 62, v78
	v_cndmask_b32_e64 v9, 0, 2, vcc
	v_add_lshl_u32 v80, v9, v68, 2
	ds_bpermute_b32 v9, v80, v8
	ds_bpermute_b32 v12, v80, v10
	v_add_u32_e32 v81, 2, v78
	v_cmp_gt_u32_e32 vcc, v81, v7
	v_add_u32_e32 v83, 4, v78
	s_waitcnt lgkmcnt(1)
	v_add_u32_e32 v9, v8, v9
	s_waitcnt lgkmcnt(0)
	v_add_u32_e32 v12, v10, v12
	v_cndmask_b32_e32 v10, v12, v10, vcc
	v_cndmask_b32_e32 v8, v9, v8, vcc
	v_cmp_gt_u32_e32 vcc, 60, v78
	v_cndmask_b32_e64 v9, 0, 4, vcc
	v_add_lshl_u32 v82, v9, v68, 2
	ds_bpermute_b32 v9, v82, v8
	ds_bpermute_b32 v12, v82, v10
	v_cmp_gt_u32_e32 vcc, v83, v7
	v_add_u32_e32 v85, 8, v78
	v_add_u32_e32 v87, 16, v78
	s_waitcnt lgkmcnt(1)
	v_add_u32_e32 v9, v8, v9
	s_waitcnt lgkmcnt(0)
	v_add_u32_e32 v12, v10, v12
	v_cndmask_b32_e32 v10, v12, v10, vcc
	v_cndmask_b32_e32 v8, v9, v8, vcc
	v_cmp_gt_u32_e32 vcc, 56, v78
	v_cndmask_b32_e64 v9, 0, 8, vcc
	v_add_lshl_u32 v84, v9, v68, 2
	ds_bpermute_b32 v9, v84, v8
	ds_bpermute_b32 v12, v84, v10
	v_cmp_gt_u32_e32 vcc, v85, v7
	v_add_u32_e32 v89, 32, v78
	v_mov_b32_e32 v28, 0
	s_waitcnt lgkmcnt(1)
	v_add_u32_e32 v9, v8, v9
	s_waitcnt lgkmcnt(0)
	v_add_u32_e32 v12, v10, v12
	v_cndmask_b32_e32 v10, v12, v10, vcc
	v_cndmask_b32_e32 v8, v9, v8, vcc
	v_cmp_gt_u32_e32 vcc, 48, v78
	v_cndmask_b32_e64 v9, 0, 16, vcc
	v_add_lshl_u32 v86, v9, v68, 2
	ds_bpermute_b32 v9, v86, v8
	ds_bpermute_b32 v12, v86, v10
	v_cmp_gt_u32_e32 vcc, v87, v7
	s_waitcnt lgkmcnt(1)
	v_add_u32_e32 v9, v8, v9
	s_waitcnt lgkmcnt(0)
	v_add_u32_e32 v12, v10, v12
	v_cndmask_b32_e32 v8, v9, v8, vcc
	v_mov_b32_e32 v9, 0x80
	v_cndmask_b32_e32 v10, v12, v10, vcc
	v_lshl_or_b32 v88, v68, 2, v9
	ds_bpermute_b32 v9, v88, v8
	ds_bpermute_b32 v12, v88, v10
	v_cmp_le_u32_e32 vcc, v89, v7
	s_waitcnt lgkmcnt(1)
	v_cndmask_b32_e32 v7, 0, v9, vcc
	s_waitcnt lgkmcnt(0)
	v_cndmask_b32_e32 v9, 0, v12, vcc
	v_add_u32_e32 v10, v10, v9
	v_add_u32_e32 v9, v8, v7
	s_branch .LBB978_132
.LBB978_129:                            ;   in Loop: Header=BB978_132 Depth=1
	s_or_b64 exec, exec, s[14:15]
.LBB978_130:                            ;   in Loop: Header=BB978_132 Depth=1
	s_or_b64 exec, exec, s[12:13]
	v_cmp_eq_u16_sdwa s[12:13], v11, v77 src0_sel:BYTE_0 src1_sel:DWORD
	v_and_b32_e32 v12, s13, v30
	ds_bpermute_b32 v32, v79, v9
	ds_bpermute_b32 v90, v79, v10
	v_or_b32_e32 v12, 0x80000000, v12
	v_and_b32_e32 v31, s12, v29
	v_ffbl_b32_e32 v12, v12
	v_add_u32_e32 v12, 32, v12
	v_ffbl_b32_e32 v31, v31
	v_min_u32_e32 v12, v31, v12
	s_waitcnt lgkmcnt(1)
	v_add_u32_e32 v31, v32, v9
	s_waitcnt lgkmcnt(0)
	v_add_u32_e32 v32, v90, v10
	v_cmp_lt_u32_e32 vcc, v78, v12
	v_cndmask_b32_e32 v10, v10, v32, vcc
	v_cndmask_b32_e32 v9, v9, v31, vcc
	ds_bpermute_b32 v31, v80, v9
	ds_bpermute_b32 v32, v80, v10
	v_cmp_gt_u32_e32 vcc, v81, v12
	v_subrev_u32_e32 v27, 64, v27
	s_mov_b64 s[12:13], 0
	s_waitcnt lgkmcnt(1)
	v_add_u32_e32 v31, v9, v31
	s_waitcnt lgkmcnt(0)
	v_add_u32_e32 v32, v10, v32
	v_cndmask_b32_e32 v10, v32, v10, vcc
	v_cndmask_b32_e32 v9, v31, v9, vcc
	ds_bpermute_b32 v31, v82, v9
	ds_bpermute_b32 v32, v82, v10
	v_cmp_gt_u32_e32 vcc, v83, v12
	s_waitcnt lgkmcnt(1)
	v_add_u32_e32 v31, v9, v31
	s_waitcnt lgkmcnt(0)
	v_add_u32_e32 v32, v10, v32
	v_cndmask_b32_e32 v10, v32, v10, vcc
	v_cndmask_b32_e32 v9, v31, v9, vcc
	ds_bpermute_b32 v31, v84, v9
	ds_bpermute_b32 v32, v84, v10
	v_cmp_gt_u32_e32 vcc, v85, v12
	;; [unrolled: 9-line block ×3, first 2 shown]
	s_waitcnt lgkmcnt(1)
	v_add_u32_e32 v31, v9, v31
	s_waitcnt lgkmcnt(0)
	v_add_u32_e32 v32, v10, v32
	v_cndmask_b32_e32 v10, v32, v10, vcc
	v_cndmask_b32_e32 v9, v31, v9, vcc
	ds_bpermute_b32 v31, v88, v9
	ds_bpermute_b32 v32, v88, v10
	v_cmp_le_u32_e32 vcc, v89, v12
	s_waitcnt lgkmcnt(1)
	v_cndmask_b32_e32 v12, 0, v31, vcc
	s_waitcnt lgkmcnt(0)
	v_cndmask_b32_e32 v31, 0, v32, vcc
	v_add3_u32 v10, v31, v8, v10
	v_add3_u32 v9, v12, v7, v9
.LBB978_131:                            ;   in Loop: Header=BB978_132 Depth=1
	s_and_b64 vcc, exec, s[12:13]
	s_cbranch_vccnz .LBB978_137
.LBB978_132:                            ; =>This Loop Header: Depth=1
                                        ;     Child Loop BB978_135 Depth 2
	v_mov_b32_e32 v7, v9
	v_cmp_ne_u16_sdwa s[12:13], v11, v77 src0_sel:BYTE_0 src1_sel:DWORD
	v_mov_b32_e32 v8, v10
	s_cmp_lg_u64 s[12:13], exec
	s_mov_b64 s[12:13], -1
                                        ; implicit-def: $vgpr11
                                        ; implicit-def: $vgpr9_vgpr10
	s_cbranch_scc1 .LBB978_131
; %bb.133:                              ;   in Loop: Header=BB978_132 Depth=1
	v_lshlrev_b64 v[9:10], 4, v[27:28]
	v_mov_b32_e32 v11, s55
	v_add_co_u32_e32 v31, vcc, s54, v9
	v_addc_co_u32_e32 v32, vcc, v11, v10, vcc
	;;#ASMSTART
	global_load_dwordx4 v[9:12], v[31:32] off glc	
s_waitcnt vmcnt(0)
	;;#ASMEND
	v_cmp_eq_u16_sdwa s[14:15], v11, v28 src0_sel:BYTE_0 src1_sel:DWORD
	s_and_saveexec_b64 s[12:13], s[14:15]
	s_cbranch_execz .LBB978_130
; %bb.134:                              ;   in Loop: Header=BB978_132 Depth=1
	s_mov_b64 s[14:15], 0
.LBB978_135:                            ;   Parent Loop BB978_132 Depth=1
                                        ; =>  This Inner Loop Header: Depth=2
	;;#ASMSTART
	global_load_dwordx4 v[9:12], v[31:32] off glc	
s_waitcnt vmcnt(0)
	;;#ASMEND
	v_cmp_ne_u16_sdwa s[18:19], v11, v28 src0_sel:BYTE_0 src1_sel:DWORD
	s_or_b64 s[14:15], s[18:19], s[14:15]
	s_andn2_b64 exec, exec, s[14:15]
	s_cbranch_execnz .LBB978_135
	s_branch .LBB978_129
.LBB978_136:
                                        ; implicit-def: $vgpr12
                                        ; implicit-def: $vgpr7
                                        ; implicit-def: $vgpr25
	s_cbranch_execnz .LBB978_142
	s_branch .LBB978_151
.LBB978_137:
	s_and_saveexec_b64 s[12:13], s[8:9]
	s_cbranch_execnz .LBB978_379
; %bb.138:
	s_or_b64 exec, exec, s[12:13]
	s_and_saveexec_b64 s[12:13], s[8:9]
	s_cbranch_execnz .LBB978_380
.LBB978_139:
	s_or_b64 exec, exec, s[12:13]
	s_and_b64 exec, exec, s[0:1]
.LBB978_140:
	v_mov_b32_e32 v5, 0
	ds_write_b64 v5, v[7:8] offset:24
.LBB978_141:
	s_or_b64 exec, exec, s[10:11]
	v_mov_b32_e32 v5, 0
	s_waitcnt lgkmcnt(0)
	s_barrier
	ds_read_b64 v[9:10], v5 offset:24
	v_cndmask_b32_e64 v6, v75, v25, s[8:9]
	s_waitcnt lgkmcnt(0)
	s_barrier
	v_add_u32_e32 v25, v9, v6
	ds_read_b128 v[5:8], v5 offset:13312
	v_cndmask_b32_e64 v11, v76, v26, s[8:9]
	v_add_u32_e32 v11, v10, v11
	v_cndmask_b32_e64 v12, v11, v10, s[0:1]
	v_cndmask_b32_e64 v25, v25, v9, s[0:1]
	s_branch .LBB978_151
.LBB978_142:
	s_waitcnt lgkmcnt(0)
	v_mov_b32_dpp v5, v73 row_shr:1 row_mask:0xf bank_mask:0xf
	v_mov_b32_dpp v6, v74 row_shr:1 row_mask:0xf bank_mask:0xf
	v_add_u32_e32 v5, v5, v73
	v_add_u32_e32 v6, v6, v74
	v_cndmask_b32_e64 v6, v6, v74, s[6:7]
	v_cndmask_b32_e64 v5, v5, v73, s[6:7]
	v_cmp_lt_u32_e32 vcc, 3, v72
	v_mov_b32_dpp v8, v6 row_shr:2 row_mask:0xf bank_mask:0xf
	v_mov_b32_dpp v7, v5 row_shr:2 row_mask:0xf bank_mask:0xf
	v_add_u32_e32 v7, v5, v7
	v_add_u32_e32 v8, v6, v8
	v_cndmask_b32_e64 v6, v6, v8, s[4:5]
	v_cndmask_b32_e64 v5, v5, v7, s[4:5]
	v_cmp_eq_u32_e64 s[4:5], v0, v70
	v_mov_b32_dpp v8, v6 row_shr:4 row_mask:0xf bank_mask:0xf
	v_mov_b32_dpp v7, v5 row_shr:4 row_mask:0xf bank_mask:0xf
	v_add_u32_e32 v7, v5, v7
	v_add_u32_e32 v8, v6, v8
	v_cndmask_b32_e32 v6, v6, v8, vcc
	v_cndmask_b32_e32 v5, v5, v7, vcc
	v_cmp_lt_u32_e32 vcc, 7, v72
	v_mov_b32_dpp v8, v6 row_shr:8 row_mask:0xf bank_mask:0xf
	v_mov_b32_dpp v7, v5 row_shr:8 row_mask:0xf bank_mask:0xf
	v_add_u32_e32 v7, v5, v7
	v_add_u32_e32 v8, v6, v8
	v_cndmask_b32_e32 v6, v6, v8, vcc
	v_cndmask_b32_e32 v7, v5, v7, vcc
	v_cmp_eq_u32_e32 vcc, 0, v71
	v_mov_b32_dpp v8, v6 row_bcast:15 row_mask:0xf bank_mask:0xf
	v_mov_b32_dpp v5, v7 row_bcast:15 row_mask:0xf bank_mask:0xf
	v_add_u32_e32 v9, v7, v5
	v_add_u32_e32 v5, v6, v8
	v_cndmask_b32_e32 v5, v5, v6, vcc
	v_cndmask_b32_e32 v6, v9, v7, vcc
	v_cmp_lt_u32_e32 vcc, 31, v68
	v_mov_b32_dpp v7, v5 row_bcast:31 row_mask:0xf bank_mask:0xf
	v_mov_b32_dpp v8, v6 row_bcast:31 row_mask:0xf bank_mask:0xf
	v_add_u32_e32 v7, v5, v7
	v_add_u32_e32 v8, v6, v8
	s_and_saveexec_b64 s[6:7], s[4:5]
; %bb.143:
	v_cndmask_b32_e32 v9, v6, v8, vcc
	v_cndmask_b32_e32 v10, v5, v7, vcc
	v_lshlrev_b32_e32 v11, 3, v69
	ds_write_b64 v11, v[9:10]
; %bb.144:
	s_or_b64 exec, exec, s[6:7]
	v_cmp_gt_u32_e64 s[4:5], 4, v0
	s_waitcnt lgkmcnt(0)
	s_barrier
	s_and_saveexec_b64 s[6:7], s[4:5]
	s_cbranch_execz .LBB978_146
; %bb.145:
	v_lshlrev_b32_e32 v11, 3, v0
	ds_read_b64 v[9:10], v11
	v_and_b32_e32 v12, 3, v68
	v_cmp_eq_u32_e64 s[4:5], 0, v12
	s_waitcnt lgkmcnt(0)
	v_mov_b32_dpp v25, v9 row_shr:1 row_mask:0xf bank_mask:0xf
	v_mov_b32_dpp v26, v10 row_shr:1 row_mask:0xf bank_mask:0xf
	v_add_u32_e32 v25, v25, v9
	v_add_u32_e32 v26, v26, v10
	v_cndmask_b32_e64 v10, v26, v10, s[4:5]
	v_cndmask_b32_e64 v9, v25, v9, s[4:5]
	v_cmp_lt_u32_e64 s[4:5], 1, v12
	v_mov_b32_dpp v26, v10 row_shr:2 row_mask:0xf bank_mask:0xf
	v_mov_b32_dpp v25, v9 row_shr:2 row_mask:0xf bank_mask:0xf
	v_cndmask_b32_e64 v12, 0, v25, s[4:5]
	v_cndmask_b32_e64 v25, 0, v26, s[4:5]
	v_add_u32_e32 v10, v25, v10
	v_add_u32_e32 v9, v12, v9
	ds_write_b64 v11, v[9:10]
.LBB978_146:
	s_or_b64 exec, exec, s[6:7]
	v_cmp_lt_u32_e64 s[4:5], 63, v0
	v_mov_b32_e32 v11, 0
	v_mov_b32_e32 v9, 0
	;; [unrolled: 1-line block ×3, first 2 shown]
	s_waitcnt lgkmcnt(0)
	s_barrier
	s_and_saveexec_b64 s[6:7], s[4:5]
; %bb.147:
	v_lshl_add_u32 v9, v69, 3, -8
	ds_read_b64 v[9:10], v9
; %bb.148:
	s_or_b64 exec, exec, s[6:7]
	v_cndmask_b32_e32 v6, v6, v8, vcc
	v_cndmask_b32_e32 v5, v5, v7, vcc
	v_subrev_co_u32_e32 v7, vcc, 1, v68
	v_and_b32_e32 v8, 64, v68
	v_cmp_lt_i32_e64 s[4:5], v7, v8
	v_cndmask_b32_e64 v7, v7, v68, s[4:5]
	s_waitcnt lgkmcnt(0)
	v_add_u32_e32 v5, v10, v5
	v_add_u32_e32 v6, v9, v6
	v_lshlrev_b32_e32 v7, 2, v7
	ds_bpermute_b32 v12, v7, v6
	ds_bpermute_b32 v25, v7, v5
	ds_read_b64 v[5:6], v11 offset:24
	s_and_saveexec_b64 s[4:5], s[0:1]
	s_cbranch_execz .LBB978_150
; %bb.149:
	s_add_u32 s6, s54, 0x400
	s_addc_u32 s7, s55, 0
	v_mov_b32_e32 v27, s7
	v_mov_b32_e32 v7, 2
	v_mov_b32_e32 v8, 0
	v_mov_b32_e32 v26, s6
	s_waitcnt lgkmcnt(0)
	;;#ASMSTART
	global_store_dwordx4 v[26:27], v[5:8] off	
s_waitcnt vmcnt(0)
	;;#ASMEND
.LBB978_150:
	s_or_b64 exec, exec, s[4:5]
	s_waitcnt lgkmcnt(2)
	v_cndmask_b32_e32 v7, v12, v9, vcc
	s_waitcnt lgkmcnt(1)
	v_cndmask_b32_e32 v8, v25, v10, vcc
	v_cndmask_b32_e64 v12, v8, 0, s[0:1]
	v_cndmask_b32_e64 v25, v7, 0, s[0:1]
	v_mov_b32_e32 v8, 0
	v_mov_b32_e32 v7, 0
	s_waitcnt lgkmcnt(0)
	s_barrier
.LBB978_151:
	s_waitcnt lgkmcnt(0)
	v_add_co_u32_e32 v1, vcc, v1, v7
	v_addc_co_u32_e32 v2, vcc, 0, v2, vcc
	v_sub_co_u32_e32 v29, vcc, v3, v5
	v_add_u32_e32 v32, v12, v54
	v_subbrev_co_u32_e32 v30, vcc, 0, v4, vcc
	v_lshlrev_b32_e32 v72, 1, v5
	v_sub_u32_e32 v12, v12, v8
	v_lshrrev_b32_e32 v28, 8, v42
	v_add_u32_e32 v31, v25, v53
	v_add_co_u32_e32 v29, vcc, v29, v8
	v_add_u32_e32 v73, v72, v6
	v_sub_u32_e32 v25, v25, v7
	v_add_u32_e32 v12, v12, v5
	v_addc_co_u32_e32 v30, vcc, 0, v30, vcc
	v_add_u32_e32 v35, v73, v35
	v_and_b32_e32 v28, 1, v28
	v_add_u32_e32 v74, v25, v12
	v_and_b32_e32 v73, 1, v36
	v_sub_u32_e32 v74, v35, v74
	v_cmp_eq_u32_e32 vcc, 1, v28
	v_cndmask_b32_e32 v12, v74, v12, vcc
	v_cmp_eq_u32_e32 vcc, 1, v73
	v_cndmask_b32_e32 v12, v12, v25, vcc
	v_lshlrev_b32_e32 v12, 2, v12
	v_sub_u32_e32 v25, v32, v8
	v_lshrrev_b32_e32 v27, 8, v36
	ds_write_b32 v12, v23
	v_sub_u32_e32 v12, v31, v7
	v_add_u32_e32 v25, v25, v5
	v_add_u32_e32 v50, v31, v50
	v_and_b32_e32 v23, 1, v27
	v_mov_b32_e32 v27, 1
	v_add_u32_e32 v31, v25, v12
	v_and_b32_sdwa v28, v27, v42 dst_sel:DWORD dst_unused:UNUSED_PAD src0_sel:DWORD src1_sel:WORD_1
	v_sub_u32_e32 v31, v35, v31
	v_add_u32_e32 v31, 1, v31
	v_cmp_eq_u32_e32 vcc, 1, v28
	v_cndmask_b32_e32 v25, v31, v25, vcc
	v_cmp_eq_u32_e32 vcc, 1, v23
	v_cndmask_b32_e32 v12, v25, v12, vcc
	v_add_u32_e32 v53, v32, v62
	v_lshlrev_b32_e32 v12, 2, v12
	ds_write_b32 v12, v24
	v_sub_u32_e32 v24, v53, v8
	v_sub_u32_e32 v12, v50, v7
	v_add_u32_e32 v24, v24, v5
	v_add_u32_e32 v28, v24, v12
	v_and_b32_e32 v25, 1, v49
	v_sub_u32_e32 v28, v35, v28
	v_and_b32_sdwa v23, v27, v36 dst_sel:DWORD dst_unused:UNUSED_PAD src0_sel:DWORD src1_sel:WORD_1
	v_add_u32_e32 v28, 2, v28
	v_cmp_eq_u32_e32 vcc, 1, v25
	v_cndmask_b32_e32 v24, v28, v24, vcc
	v_cmp_eq_u32_e32 vcc, 1, v23
	v_add_u32_e32 v54, v50, v55
	v_add_u32_e32 v55, v53, v49
	v_cndmask_b32_e32 v12, v24, v12, vcc
	v_lshlrev_b32_e32 v12, 2, v12
	v_sub_u32_e32 v23, v55, v8
	ds_write_b32 v12, v21
	v_sub_u32_e32 v12, v54, v7
	v_add_u32_e32 v23, v23, v5
	v_add_u32_e32 v25, v12, v23
	v_and_b32_e32 v24, 1, v37
	v_sub_u32_e32 v25, v35, v25
	v_and_b32_e32 v21, 1, v48
	v_add_u32_e32 v25, 3, v25
	v_cmp_eq_u32_e32 vcc, 1, v24
	v_cndmask_b32_e32 v23, v25, v23, vcc
	v_cmp_eq_u32_e32 vcc, 1, v21
	v_cndmask_b32_e32 v12, v23, v12, vcc
	v_add_u32_e32 v62, v55, v63
	v_lshlrev_b32_e32 v12, 2, v12
	v_add_u32_e32 v63, v54, v48
	ds_write_b32 v12, v22
	v_sub_u32_e32 v22, v62, v8
	v_sub_u32_e32 v12, v63, v7
	v_add_u32_e32 v22, v22, v5
	v_lshrrev_b32_e32 v26, 8, v37
	v_add_u32_e32 v24, v12, v22
	v_and_b32_e32 v23, 1, v26
	v_sub_u32_e32 v24, v35, v24
	v_and_b32_e32 v21, 1, v38
	v_add_u32_e32 v24, 4, v24
	v_cmp_eq_u32_e32 vcc, 1, v23
	v_cndmask_b32_e32 v22, v24, v22, vcc
	v_cmp_eq_u32_e32 vcc, 1, v21
	v_cndmask_b32_e32 v12, v22, v12, vcc
	v_add_u32_e32 v57, v62, v57
	v_lshlrev_b32_e32 v12, 2, v12
	v_add_u32_e32 v56, v63, v56
	ds_write_b32 v12, v19
	v_sub_u32_e32 v19, v57, v8
	v_sub_u32_e32 v12, v56, v7
	v_add_u32_e32 v19, v19, v5
	v_add_u32_e32 v22, v12, v19
	v_lshrrev_b32_e32 v11, 8, v38
	v_and_b32_sdwa v21, v27, v37 dst_sel:DWORD dst_unused:UNUSED_PAD src0_sel:DWORD src1_sel:WORD_1
	v_sub_u32_e32 v22, v35, v22
	v_and_b32_e32 v11, 1, v11
	v_add_u32_e32 v22, 5, v22
	v_cmp_eq_u32_e32 vcc, 1, v21
	v_cndmask_b32_e32 v19, v22, v19, vcc
	v_cmp_eq_u32_e32 vcc, 1, v11
	v_add_u32_e32 v64, v57, v64
	v_cndmask_b32_e32 v11, v19, v12, vcc
	v_add_u32_e32 v51, v56, v51
	v_lshlrev_b32_e32 v11, 2, v11
	v_sub_u32_e32 v19, v64, v8
	ds_write_b32 v11, v20
	v_sub_u32_e32 v11, v51, v7
	v_add_u32_e32 v19, v19, v5
	v_add_u32_e32 v21, v11, v19
	v_and_b32_e32 v20, 1, v47
	v_sub_u32_e32 v21, v35, v21
	v_and_b32_sdwa v12, v27, v38 dst_sel:DWORD dst_unused:UNUSED_PAD src0_sel:DWORD src1_sel:WORD_1
	v_add_u32_e32 v21, 6, v21
	v_cmp_eq_u32_e32 vcc, 1, v20
	v_cndmask_b32_e32 v19, v21, v19, vcc
	v_cmp_eq_u32_e32 vcc, 1, v12
	v_cndmask_b32_e32 v11, v19, v11, vcc
	v_add_u32_e32 v68, v64, v47
	v_lshlrev_b32_e32 v11, 2, v11
	v_add_u32_e32 v58, v51, v58
	ds_write_b32 v11, v17
	v_sub_u32_e32 v17, v68, v8
	v_sub_u32_e32 v11, v58, v7
	v_add_u32_e32 v17, v17, v5
	v_add_u32_e32 v20, v11, v17
	v_and_b32_e32 v19, 1, v39
	v_sub_u32_e32 v20, v35, v20
	v_and_b32_e32 v12, 1, v46
	v_add_u32_e32 v20, 7, v20
	v_cmp_eq_u32_e32 vcc, 1, v19
	v_cndmask_b32_e32 v17, v20, v17, vcc
	v_cmp_eq_u32_e32 vcc, 1, v12
	v_add_u32_e32 v65, v68, v65
	v_cndmask_b32_e32 v11, v17, v11, vcc
	v_add_u32_e32 v69, v58, v46
	v_lshlrev_b32_e32 v11, 2, v11
	v_sub_u32_e32 v17, v65, v8
	ds_write_b32 v11, v18
	v_sub_u32_e32 v11, v69, v7
	v_add_u32_e32 v17, v17, v5
	v_lshrrev_b32_e32 v10, 8, v39
	v_add_u32_e32 v18, v11, v17
	v_and_b32_e32 v10, 1, v10
	v_sub_u32_e32 v18, v35, v18
	v_and_b32_e32 v12, 1, v41
	v_add_u32_e32 v18, 8, v18
	v_cmp_eq_u32_e32 vcc, 1, v10
	v_cndmask_b32_e32 v10, v18, v17, vcc
	v_cmp_eq_u32_e32 vcc, 1, v12
	v_add_u32_e32 v60, v65, v60
	v_cndmask_b32_e32 v10, v10, v11, vcc
	v_add_u32_e32 v59, v69, v59
	v_lshlrev_b32_e32 v10, 2, v10
	v_sub_u32_e32 v11, v60, v8
	ds_write_b32 v10, v15
	v_sub_u32_e32 v10, v59, v7
	v_add_u32_e32 v11, v11, v5
	v_add_u32_e32 v15, v10, v11
	v_lshrrev_b32_e32 v9, 8, v41
	v_and_b32_sdwa v12, v27, v39 dst_sel:DWORD dst_unused:UNUSED_PAD src0_sel:DWORD src1_sel:WORD_1
	v_sub_u32_e32 v15, v35, v15
	v_and_b32_e32 v9, 1, v9
	v_add_u32_e32 v15, 9, v15
	v_cmp_eq_u32_e32 vcc, 1, v12
	v_cndmask_b32_e32 v11, v15, v11, vcc
	v_cmp_eq_u32_e32 vcc, 1, v9
	v_add_u32_e32 v66, v60, v66
	v_cndmask_b32_e32 v9, v11, v10, vcc
	v_add_u32_e32 v52, v59, v52
	v_lshlrev_b32_e32 v9, 2, v9
	v_sub_u32_e32 v11, v66, v8
	ds_write_b32 v9, v16
	v_sub_u32_e32 v9, v52, v7
	v_add_u32_e32 v11, v11, v5
	v_add_u32_e32 v15, v9, v11
	v_and_b32_e32 v12, 1, v45
	v_sub_u32_e32 v15, v35, v15
	v_and_b32_sdwa v10, v27, v41 dst_sel:DWORD dst_unused:UNUSED_PAD src0_sel:DWORD src1_sel:WORD_1
	v_add_u32_e32 v15, 10, v15
	v_cmp_eq_u32_e32 vcc, 1, v12
	v_cndmask_b32_e32 v11, v15, v11, vcc
	v_cmp_eq_u32_e32 vcc, 1, v10
	v_add_u32_e32 v70, v66, v45
	v_cndmask_b32_e32 v9, v11, v9, vcc
	v_add_u32_e32 v61, v52, v61
	v_lshlrev_b32_e32 v9, 2, v9
	v_sub_u32_e32 v11, v70, v8
	ds_write_b32 v9, v13
	v_sub_u32_e32 v9, v61, v7
	v_add_u32_e32 v11, v11, v5
	v_add_u32_e32 v13, v9, v11
	v_and_b32_e32 v12, 1, v40
	v_sub_u32_e32 v13, v35, v13
	v_add_u32_e32 v67, v70, v67
	v_and_b32_e32 v10, 1, v44
	v_add_u32_e32 v13, 11, v13
	v_cmp_eq_u32_e32 vcc, 1, v12
	v_add_u32_e32 v71, v61, v44
	v_cndmask_b32_e32 v11, v13, v11, vcc
	v_cmp_eq_u32_e32 vcc, 1, v10
	v_sub_u32_e32 v10, v67, v8
	v_sub_u32_e32 v7, v71, v7
	v_add_u32_e32 v10, v10, v5
	v_cndmask_b32_e32 v9, v11, v9, vcc
	v_add_u32_e32 v12, v7, v10
	v_lshlrev_b32_e32 v9, 2, v9
	v_and_b32_e32 v11, 1, v43
	v_sub_u32_e32 v12, v35, v12
	ds_write_b32 v9, v14
	v_and_b32_e32 v9, 1, v42
	v_add_u32_e32 v12, 12, v12
	v_cmp_eq_u32_e32 vcc, 1, v11
	v_cndmask_b32_e32 v10, v12, v10, vcc
	v_cmp_eq_u32_e32 vcc, 1, v9
	v_cndmask_b32_e32 v7, v10, v7, vcc
	v_lshlrev_b32_e32 v7, 2, v7
	ds_write_b32 v7, v34
	v_mov_b32_e32 v7, s53
	v_add_co_u32_e32 v9, vcc, s52, v33
	v_addc_co_u32_e32 v10, vcc, 0, v7, vcc
	v_add_co_u32_e32 v7, vcc, v6, v72
	v_addc_co_u32_e64 v11, s[4:5], 0, 0, vcc
	v_add_co_u32_e32 v7, vcc, v7, v29
	v_addc_co_u32_e32 v11, vcc, v11, v30, vcc
	v_add_co_u32_e32 v7, vcc, v7, v1
	v_addc_co_u32_e32 v11, vcc, v11, v2, vcc
	v_sub_co_u32_e32 v7, vcc, v9, v7
	v_subb_co_u32_e32 v13, vcc, v10, v11, vcc
	v_lshlrev_b64 v[9:10], 2, v[29:30]
	v_mov_b32_e32 v11, s51
	v_add_co_u32_e32 v9, vcc, s50, v9
	v_addc_co_u32_e32 v10, vcc, v11, v10, vcc
	v_lshlrev_b64 v[11:12], 2, v[1:2]
	v_mov_b32_e32 v15, s49
	v_add_co_u32_e32 v11, vcc, s48, v11
	v_addc_co_u32_e32 v12, vcc, v15, v12, vcc
	v_add_u32_e32 v14, v5, v6
	s_and_b64 vcc, exec, s[2:3]
	s_mov_b64 s[2:3], -1
	s_waitcnt lgkmcnt(0)
	s_barrier
	s_cbranch_vccz .LBB978_155
; %bb.152:
	s_and_b64 vcc, exec, s[2:3]
	s_cbranch_vccnz .LBB978_260
.LBB978_153:
	s_and_b64 s[0:1], s[0:1], s[34:35]
	s_and_saveexec_b64 s[2:3], s[0:1]
	s_cbranch_execnz .LBB978_378
.LBB978_154:
	s_endpgm
.LBB978_155:
	v_cmp_ge_u32_e32 vcc, v0, v5
	s_and_saveexec_b64 s[2:3], vcc
	s_xor_b64 s[2:3], exec, s[2:3]
	s_cbranch_execz .LBB978_161
; %bb.156:
	v_cmp_ge_u32_e32 vcc, v0, v14
	s_and_saveexec_b64 s[4:5], vcc
	s_xor_b64 s[4:5], exec, s[4:5]
	s_cbranch_execz .LBB978_158
; %bb.157:
	v_add_co_u32_e32 v15, vcc, v7, v0
	v_lshlrev_b32_e32 v17, 2, v0
	v_addc_co_u32_e32 v16, vcc, 0, v13, vcc
	ds_read_b32 v17, v17
	v_lshlrev_b64 v[15:16], 2, v[15:16]
	v_mov_b32_e32 v18, s31
	v_sub_co_u32_e32 v15, vcc, s30, v15
	v_subb_co_u32_e32 v16, vcc, v18, v16, vcc
	s_waitcnt lgkmcnt(0)
	global_store_dword v[15:16], v17, off offset:-4
.LBB978_158:
	s_andn2_saveexec_b64 s[4:5], s[4:5]
	s_cbranch_execz .LBB978_160
; %bb.159:
	v_lshlrev_b32_e32 v15, 2, v0
	ds_read_b32 v16, v15
	v_readfirstlane_b32 s6, v9
	v_readfirstlane_b32 s7, v10
	s_waitcnt lgkmcnt(0)
	s_nop 3
	global_store_dword v15, v16, s[6:7]
.LBB978_160:
	s_or_b64 exec, exec, s[4:5]
.LBB978_161:
	s_andn2_saveexec_b64 s[2:3], s[2:3]
	s_cbranch_execz .LBB978_163
; %bb.162:
	v_lshlrev_b32_e32 v15, 2, v0
	ds_read_b32 v16, v15
	v_readfirstlane_b32 s4, v11
	v_readfirstlane_b32 s5, v12
	s_waitcnt lgkmcnt(0)
	s_nop 3
	global_store_dword v15, v16, s[4:5]
.LBB978_163:
	s_or_b64 exec, exec, s[2:3]
	v_or_b32_e32 v15, 0x100, v0
	v_cmp_ge_u32_e32 vcc, v15, v5
	s_and_saveexec_b64 s[2:3], vcc
	s_xor_b64 s[2:3], exec, s[2:3]
	s_cbranch_execz .LBB978_169
; %bb.164:
	v_cmp_ge_u32_e32 vcc, v15, v14
	s_and_saveexec_b64 s[4:5], vcc
	s_xor_b64 s[4:5], exec, s[4:5]
	s_cbranch_execz .LBB978_166
; %bb.165:
	v_lshlrev_b32_e32 v15, 2, v0
	ds_read_b32 v17, v15 offset:1024
	v_add_co_u32_e32 v15, vcc, v7, v0
	v_addc_co_u32_e32 v16, vcc, 0, v13, vcc
	v_lshlrev_b64 v[15:16], 2, v[15:16]
	v_mov_b32_e32 v18, s31
	v_sub_co_u32_e32 v15, vcc, s30, v15
	v_subb_co_u32_e32 v16, vcc, v18, v16, vcc
	s_waitcnt lgkmcnt(0)
	global_store_dword v[15:16], v17, off offset:-1028
.LBB978_166:
	s_andn2_saveexec_b64 s[4:5], s[4:5]
	s_cbranch_execz .LBB978_168
; %bb.167:
	v_lshlrev_b32_e32 v15, 2, v0
	ds_read_b32 v16, v15 offset:1024
	v_readfirstlane_b32 s6, v9
	v_readfirstlane_b32 s7, v10
	s_waitcnt lgkmcnt(0)
	s_nop 3
	global_store_dword v15, v16, s[6:7] offset:1024
.LBB978_168:
	s_or_b64 exec, exec, s[4:5]
.LBB978_169:
	s_andn2_saveexec_b64 s[2:3], s[2:3]
	s_cbranch_execz .LBB978_171
; %bb.170:
	v_lshlrev_b32_e32 v15, 2, v0
	ds_read_b32 v16, v15 offset:1024
	v_readfirstlane_b32 s4, v11
	v_readfirstlane_b32 s5, v12
	s_waitcnt lgkmcnt(0)
	s_nop 3
	global_store_dword v15, v16, s[4:5] offset:1024
.LBB978_171:
	s_or_b64 exec, exec, s[2:3]
	v_or_b32_e32 v15, 0x200, v0
	v_cmp_ge_u32_e32 vcc, v15, v5
	s_and_saveexec_b64 s[2:3], vcc
	s_xor_b64 s[2:3], exec, s[2:3]
	s_cbranch_execz .LBB978_177
; %bb.172:
	v_cmp_ge_u32_e32 vcc, v15, v14
	s_and_saveexec_b64 s[4:5], vcc
	s_xor_b64 s[4:5], exec, s[4:5]
	s_cbranch_execz .LBB978_174
; %bb.173:
	v_lshlrev_b32_e32 v15, 2, v0
	ds_read_b32 v17, v15 offset:2048
	v_add_co_u32_e32 v15, vcc, v7, v0
	v_addc_co_u32_e32 v16, vcc, 0, v13, vcc
	v_lshlrev_b64 v[15:16], 2, v[15:16]
	v_mov_b32_e32 v18, s31
	v_sub_co_u32_e32 v15, vcc, s30, v15
	v_subb_co_u32_e32 v16, vcc, v18, v16, vcc
	s_waitcnt lgkmcnt(0)
	global_store_dword v[15:16], v17, off offset:-2052
.LBB978_174:
	s_andn2_saveexec_b64 s[4:5], s[4:5]
	s_cbranch_execz .LBB978_176
; %bb.175:
	v_lshlrev_b32_e32 v15, 2, v0
	ds_read_b32 v16, v15 offset:2048
	v_readfirstlane_b32 s6, v9
	v_readfirstlane_b32 s7, v10
	s_waitcnt lgkmcnt(0)
	s_nop 3
	global_store_dword v15, v16, s[6:7] offset:2048
.LBB978_176:
	s_or_b64 exec, exec, s[4:5]
.LBB978_177:
	s_andn2_saveexec_b64 s[2:3], s[2:3]
	s_cbranch_execz .LBB978_179
; %bb.178:
	v_lshlrev_b32_e32 v15, 2, v0
	ds_read_b32 v16, v15 offset:2048
	v_readfirstlane_b32 s4, v11
	v_readfirstlane_b32 s5, v12
	s_waitcnt lgkmcnt(0)
	s_nop 3
	global_store_dword v15, v16, s[4:5] offset:2048
.LBB978_179:
	;; [unrolled: 47-line block ×3, first 2 shown]
	s_or_b64 exec, exec, s[2:3]
	v_or_b32_e32 v15, 0x400, v0
	v_cmp_ge_u32_e32 vcc, v15, v5
	s_and_saveexec_b64 s[2:3], vcc
	s_xor_b64 s[2:3], exec, s[2:3]
	s_cbranch_execz .LBB978_193
; %bb.188:
	v_cmp_ge_u32_e32 vcc, v15, v14
	s_and_saveexec_b64 s[4:5], vcc
	s_xor_b64 s[4:5], exec, s[4:5]
	s_cbranch_execz .LBB978_190
; %bb.189:
	v_lshlrev_b32_e32 v15, 2, v0
	ds_read_b32 v17, v15 offset:4096
	v_add_co_u32_e32 v15, vcc, v7, v0
	v_addc_co_u32_e32 v16, vcc, 0, v13, vcc
	v_lshlrev_b64 v[15:16], 2, v[15:16]
	v_mov_b32_e32 v18, s31
	v_sub_co_u32_e32 v15, vcc, s30, v15
	v_subb_co_u32_e32 v16, vcc, v18, v16, vcc
	v_add_co_u32_e32 v15, vcc, 0xfffff000, v15
	v_addc_co_u32_e32 v16, vcc, -1, v16, vcc
	s_waitcnt lgkmcnt(0)
	global_store_dword v[15:16], v17, off offset:-4
                                        ; implicit-def: $vgpr15
.LBB978_190:
	s_andn2_saveexec_b64 s[4:5], s[4:5]
	s_cbranch_execz .LBB978_192
; %bb.191:
	v_lshlrev_b32_e32 v16, 2, v0
	ds_read_b32 v16, v16 offset:4096
	v_lshlrev_b32_e32 v15, 2, v15
	v_readfirstlane_b32 s6, v9
	v_readfirstlane_b32 s7, v10
	s_waitcnt lgkmcnt(0)
	s_nop 3
	global_store_dword v15, v16, s[6:7]
.LBB978_192:
	s_or_b64 exec, exec, s[4:5]
                                        ; implicit-def: $vgpr15
.LBB978_193:
	s_andn2_saveexec_b64 s[2:3], s[2:3]
	s_cbranch_execz .LBB978_195
; %bb.194:
	v_lshlrev_b32_e32 v16, 2, v0
	ds_read_b32 v16, v16 offset:4096
	v_lshlrev_b32_e32 v15, 2, v15
	v_readfirstlane_b32 s4, v11
	v_readfirstlane_b32 s5, v12
	s_waitcnt lgkmcnt(0)
	s_nop 3
	global_store_dword v15, v16, s[4:5]
.LBB978_195:
	s_or_b64 exec, exec, s[2:3]
	v_or_b32_e32 v15, 0x500, v0
	v_cmp_ge_u32_e32 vcc, v15, v5
	s_and_saveexec_b64 s[2:3], vcc
	s_xor_b64 s[2:3], exec, s[2:3]
	s_cbranch_execz .LBB978_201
; %bb.196:
	v_cmp_ge_u32_e32 vcc, v15, v14
	s_and_saveexec_b64 s[4:5], vcc
	s_xor_b64 s[4:5], exec, s[4:5]
	s_cbranch_execz .LBB978_198
; %bb.197:
	v_add_co_u32_e32 v15, vcc, v7, v15
	v_lshlrev_b32_e32 v17, 2, v0
	v_addc_co_u32_e32 v16, vcc, 0, v13, vcc
	ds_read_b32 v17, v17 offset:5120
	v_lshlrev_b64 v[15:16], 2, v[15:16]
	v_mov_b32_e32 v18, s31
	v_sub_co_u32_e32 v15, vcc, s30, v15
	v_subb_co_u32_e32 v16, vcc, v18, v16, vcc
	s_waitcnt lgkmcnt(0)
	global_store_dword v[15:16], v17, off offset:-4
                                        ; implicit-def: $vgpr15
.LBB978_198:
	s_andn2_saveexec_b64 s[4:5], s[4:5]
	s_cbranch_execz .LBB978_200
; %bb.199:
	v_lshlrev_b32_e32 v16, 2, v0
	ds_read_b32 v16, v16 offset:5120
	v_lshlrev_b32_e32 v15, 2, v15
	v_readfirstlane_b32 s6, v9
	v_readfirstlane_b32 s7, v10
	s_waitcnt lgkmcnt(0)
	s_nop 3
	global_store_dword v15, v16, s[6:7]
.LBB978_200:
	s_or_b64 exec, exec, s[4:5]
                                        ; implicit-def: $vgpr15
.LBB978_201:
	s_andn2_saveexec_b64 s[2:3], s[2:3]
	s_cbranch_execz .LBB978_203
; %bb.202:
	v_lshlrev_b32_e32 v16, 2, v0
	ds_read_b32 v16, v16 offset:5120
	v_lshlrev_b32_e32 v15, 2, v15
	v_readfirstlane_b32 s4, v11
	v_readfirstlane_b32 s5, v12
	s_waitcnt lgkmcnt(0)
	s_nop 3
	global_store_dword v15, v16, s[4:5]
.LBB978_203:
	s_or_b64 exec, exec, s[2:3]
	v_or_b32_e32 v15, 0x600, v0
	v_cmp_ge_u32_e32 vcc, v15, v5
	s_and_saveexec_b64 s[2:3], vcc
	s_xor_b64 s[2:3], exec, s[2:3]
	s_cbranch_execz .LBB978_209
; %bb.204:
	v_cmp_ge_u32_e32 vcc, v15, v14
	s_and_saveexec_b64 s[4:5], vcc
	s_xor_b64 s[4:5], exec, s[4:5]
	s_cbranch_execz .LBB978_206
; %bb.205:
	v_add_co_u32_e32 v15, vcc, v7, v15
	v_lshlrev_b32_e32 v17, 2, v0
	v_addc_co_u32_e32 v16, vcc, 0, v13, vcc
	ds_read_b32 v17, v17 offset:6144
	v_lshlrev_b64 v[15:16], 2, v[15:16]
	v_mov_b32_e32 v18, s31
	v_sub_co_u32_e32 v15, vcc, s30, v15
	v_subb_co_u32_e32 v16, vcc, v18, v16, vcc
	s_waitcnt lgkmcnt(0)
	global_store_dword v[15:16], v17, off offset:-4
                                        ; implicit-def: $vgpr15
.LBB978_206:
	s_andn2_saveexec_b64 s[4:5], s[4:5]
	s_cbranch_execz .LBB978_208
; %bb.207:
	v_lshlrev_b32_e32 v16, 2, v0
	ds_read_b32 v16, v16 offset:6144
	v_lshlrev_b32_e32 v15, 2, v15
	v_readfirstlane_b32 s6, v9
	v_readfirstlane_b32 s7, v10
	s_waitcnt lgkmcnt(0)
	s_nop 3
	global_store_dword v15, v16, s[6:7]
.LBB978_208:
	s_or_b64 exec, exec, s[4:5]
                                        ; implicit-def: $vgpr15
.LBB978_209:
	;; [unrolled: 51-line block ×8, first 2 shown]
	s_andn2_saveexec_b64 s[2:3], s[2:3]
	s_cbranch_execz .LBB978_259
; %bb.258:
	v_lshlrev_b32_e32 v16, 2, v0
	ds_read_b32 v16, v16 offset:12288
	v_lshlrev_b32_e32 v15, 2, v15
	v_readfirstlane_b32 s4, v11
	v_readfirstlane_b32 s5, v12
	s_waitcnt lgkmcnt(0)
	s_nop 3
	global_store_dword v15, v16, s[4:5]
.LBB978_259:
	s_or_b64 exec, exec, s[2:3]
	s_branch .LBB978_153
.LBB978_260:
	v_cmp_gt_u32_e32 vcc, s16, v0
	s_and_saveexec_b64 s[2:3], vcc
	s_cbranch_execz .LBB978_269
; %bb.261:
	v_cmp_ge_u32_e32 vcc, v0, v5
	s_and_saveexec_b64 s[4:5], vcc
	s_xor_b64 s[4:5], exec, s[4:5]
	s_cbranch_execz .LBB978_267
; %bb.262:
	v_cmp_ge_u32_e32 vcc, v0, v14
	s_and_saveexec_b64 s[6:7], vcc
	s_xor_b64 s[6:7], exec, s[6:7]
	s_cbranch_execz .LBB978_264
; %bb.263:
	v_add_co_u32_e32 v15, vcc, v7, v0
	v_lshlrev_b32_e32 v17, 2, v0
	v_addc_co_u32_e32 v16, vcc, 0, v13, vcc
	ds_read_b32 v17, v17
	v_lshlrev_b64 v[15:16], 2, v[15:16]
	v_mov_b32_e32 v18, s31
	v_sub_co_u32_e32 v15, vcc, s30, v15
	v_subb_co_u32_e32 v16, vcc, v18, v16, vcc
	s_waitcnt lgkmcnt(0)
	global_store_dword v[15:16], v17, off offset:-4
.LBB978_264:
	s_andn2_saveexec_b64 s[6:7], s[6:7]
	s_cbranch_execz .LBB978_266
; %bb.265:
	v_lshlrev_b32_e32 v15, 2, v0
	ds_read_b32 v16, v15
	v_readfirstlane_b32 s8, v9
	v_readfirstlane_b32 s9, v10
	s_waitcnt lgkmcnt(0)
	s_nop 3
	global_store_dword v15, v16, s[8:9]
.LBB978_266:
	s_or_b64 exec, exec, s[6:7]
.LBB978_267:
	s_andn2_saveexec_b64 s[4:5], s[4:5]
	s_cbranch_execz .LBB978_269
; %bb.268:
	v_lshlrev_b32_e32 v15, 2, v0
	ds_read_b32 v16, v15
	v_readfirstlane_b32 s4, v11
	v_readfirstlane_b32 s5, v12
	s_waitcnt lgkmcnt(0)
	s_nop 3
	global_store_dword v15, v16, s[4:5]
.LBB978_269:
	s_or_b64 exec, exec, s[2:3]
	v_or_b32_e32 v15, 0x100, v0
	v_cmp_gt_u32_e32 vcc, s16, v15
	s_and_saveexec_b64 s[2:3], vcc
	s_cbranch_execz .LBB978_278
; %bb.270:
	v_cmp_ge_u32_e32 vcc, v15, v5
	s_and_saveexec_b64 s[4:5], vcc
	s_xor_b64 s[4:5], exec, s[4:5]
	s_cbranch_execz .LBB978_276
; %bb.271:
	v_cmp_ge_u32_e32 vcc, v15, v14
	s_and_saveexec_b64 s[6:7], vcc
	s_xor_b64 s[6:7], exec, s[6:7]
	s_cbranch_execz .LBB978_273
; %bb.272:
	v_lshlrev_b32_e32 v15, 2, v0
	ds_read_b32 v17, v15 offset:1024
	v_add_co_u32_e32 v15, vcc, v7, v0
	v_addc_co_u32_e32 v16, vcc, 0, v13, vcc
	v_lshlrev_b64 v[15:16], 2, v[15:16]
	v_mov_b32_e32 v18, s31
	v_sub_co_u32_e32 v15, vcc, s30, v15
	v_subb_co_u32_e32 v16, vcc, v18, v16, vcc
	s_waitcnt lgkmcnt(0)
	global_store_dword v[15:16], v17, off offset:-1028
.LBB978_273:
	s_andn2_saveexec_b64 s[6:7], s[6:7]
	s_cbranch_execz .LBB978_275
; %bb.274:
	v_lshlrev_b32_e32 v15, 2, v0
	ds_read_b32 v16, v15 offset:1024
	v_readfirstlane_b32 s8, v9
	v_readfirstlane_b32 s9, v10
	s_waitcnt lgkmcnt(0)
	s_nop 3
	global_store_dword v15, v16, s[8:9] offset:1024
.LBB978_275:
	s_or_b64 exec, exec, s[6:7]
.LBB978_276:
	s_andn2_saveexec_b64 s[4:5], s[4:5]
	s_cbranch_execz .LBB978_278
; %bb.277:
	v_lshlrev_b32_e32 v15, 2, v0
	ds_read_b32 v16, v15 offset:1024
	v_readfirstlane_b32 s4, v11
	v_readfirstlane_b32 s5, v12
	s_waitcnt lgkmcnt(0)
	s_nop 3
	global_store_dword v15, v16, s[4:5] offset:1024
.LBB978_278:
	s_or_b64 exec, exec, s[2:3]
	v_or_b32_e32 v15, 0x200, v0
	v_cmp_gt_u32_e32 vcc, s16, v15
	s_and_saveexec_b64 s[2:3], vcc
	s_cbranch_execz .LBB978_287
; %bb.279:
	v_cmp_ge_u32_e32 vcc, v15, v5
	s_and_saveexec_b64 s[4:5], vcc
	s_xor_b64 s[4:5], exec, s[4:5]
	s_cbranch_execz .LBB978_285
; %bb.280:
	v_cmp_ge_u32_e32 vcc, v15, v14
	s_and_saveexec_b64 s[6:7], vcc
	s_xor_b64 s[6:7], exec, s[6:7]
	s_cbranch_execz .LBB978_282
; %bb.281:
	v_lshlrev_b32_e32 v15, 2, v0
	ds_read_b32 v17, v15 offset:2048
	v_add_co_u32_e32 v15, vcc, v7, v0
	v_addc_co_u32_e32 v16, vcc, 0, v13, vcc
	v_lshlrev_b64 v[15:16], 2, v[15:16]
	v_mov_b32_e32 v18, s31
	v_sub_co_u32_e32 v15, vcc, s30, v15
	v_subb_co_u32_e32 v16, vcc, v18, v16, vcc
	s_waitcnt lgkmcnt(0)
	global_store_dword v[15:16], v17, off offset:-2052
.LBB978_282:
	s_andn2_saveexec_b64 s[6:7], s[6:7]
	s_cbranch_execz .LBB978_284
; %bb.283:
	v_lshlrev_b32_e32 v15, 2, v0
	ds_read_b32 v16, v15 offset:2048
	v_readfirstlane_b32 s8, v9
	v_readfirstlane_b32 s9, v10
	s_waitcnt lgkmcnt(0)
	s_nop 3
	global_store_dword v15, v16, s[8:9] offset:2048
.LBB978_284:
	s_or_b64 exec, exec, s[6:7]
.LBB978_285:
	s_andn2_saveexec_b64 s[4:5], s[4:5]
	s_cbranch_execz .LBB978_287
; %bb.286:
	v_lshlrev_b32_e32 v15, 2, v0
	ds_read_b32 v16, v15 offset:2048
	v_readfirstlane_b32 s4, v11
	v_readfirstlane_b32 s5, v12
	s_waitcnt lgkmcnt(0)
	s_nop 3
	global_store_dword v15, v16, s[4:5] offset:2048
.LBB978_287:
	;; [unrolled: 51-line block ×3, first 2 shown]
	s_or_b64 exec, exec, s[2:3]
	v_or_b32_e32 v15, 0x400, v0
	v_cmp_gt_u32_e32 vcc, s16, v15
	s_and_saveexec_b64 s[2:3], vcc
	s_cbranch_execz .LBB978_305
; %bb.297:
	v_cmp_ge_u32_e32 vcc, v15, v5
	s_and_saveexec_b64 s[4:5], vcc
	s_xor_b64 s[4:5], exec, s[4:5]
	s_cbranch_execz .LBB978_303
; %bb.298:
	v_cmp_ge_u32_e32 vcc, v15, v14
	s_and_saveexec_b64 s[6:7], vcc
	s_xor_b64 s[6:7], exec, s[6:7]
	s_cbranch_execz .LBB978_300
; %bb.299:
	v_lshlrev_b32_e32 v15, 2, v0
	ds_read_b32 v17, v15 offset:4096
	v_add_co_u32_e32 v15, vcc, v7, v0
	v_addc_co_u32_e32 v16, vcc, 0, v13, vcc
	v_lshlrev_b64 v[15:16], 2, v[15:16]
	v_mov_b32_e32 v18, s31
	v_sub_co_u32_e32 v15, vcc, s30, v15
	v_subb_co_u32_e32 v16, vcc, v18, v16, vcc
	v_add_co_u32_e32 v15, vcc, 0xfffff000, v15
	v_addc_co_u32_e32 v16, vcc, -1, v16, vcc
	s_waitcnt lgkmcnt(0)
	global_store_dword v[15:16], v17, off offset:-4
                                        ; implicit-def: $vgpr15
.LBB978_300:
	s_andn2_saveexec_b64 s[6:7], s[6:7]
	s_cbranch_execz .LBB978_302
; %bb.301:
	v_lshlrev_b32_e32 v16, 2, v0
	ds_read_b32 v16, v16 offset:4096
	v_lshlrev_b32_e32 v15, 2, v15
	v_readfirstlane_b32 s8, v9
	v_readfirstlane_b32 s9, v10
	s_waitcnt lgkmcnt(0)
	s_nop 3
	global_store_dword v15, v16, s[8:9]
.LBB978_302:
	s_or_b64 exec, exec, s[6:7]
                                        ; implicit-def: $vgpr15
.LBB978_303:
	s_andn2_saveexec_b64 s[4:5], s[4:5]
	s_cbranch_execz .LBB978_305
; %bb.304:
	v_lshlrev_b32_e32 v16, 2, v0
	ds_read_b32 v16, v16 offset:4096
	v_lshlrev_b32_e32 v15, 2, v15
	v_readfirstlane_b32 s4, v11
	v_readfirstlane_b32 s5, v12
	s_waitcnt lgkmcnt(0)
	s_nop 3
	global_store_dword v15, v16, s[4:5]
.LBB978_305:
	s_or_b64 exec, exec, s[2:3]
	v_or_b32_e32 v15, 0x500, v0
	v_cmp_gt_u32_e32 vcc, s16, v15
	s_and_saveexec_b64 s[2:3], vcc
	s_cbranch_execz .LBB978_314
; %bb.306:
	v_cmp_ge_u32_e32 vcc, v15, v5
	s_and_saveexec_b64 s[4:5], vcc
	s_xor_b64 s[4:5], exec, s[4:5]
	s_cbranch_execz .LBB978_312
; %bb.307:
	v_cmp_ge_u32_e32 vcc, v15, v14
	s_and_saveexec_b64 s[6:7], vcc
	s_xor_b64 s[6:7], exec, s[6:7]
	s_cbranch_execz .LBB978_309
; %bb.308:
	v_add_co_u32_e32 v15, vcc, v7, v15
	v_lshlrev_b32_e32 v17, 2, v0
	v_addc_co_u32_e32 v16, vcc, 0, v13, vcc
	ds_read_b32 v17, v17 offset:5120
	v_lshlrev_b64 v[15:16], 2, v[15:16]
	v_mov_b32_e32 v18, s31
	v_sub_co_u32_e32 v15, vcc, s30, v15
	v_subb_co_u32_e32 v16, vcc, v18, v16, vcc
	s_waitcnt lgkmcnt(0)
	global_store_dword v[15:16], v17, off offset:-4
                                        ; implicit-def: $vgpr15
.LBB978_309:
	s_andn2_saveexec_b64 s[6:7], s[6:7]
	s_cbranch_execz .LBB978_311
; %bb.310:
	v_lshlrev_b32_e32 v16, 2, v0
	ds_read_b32 v16, v16 offset:5120
	v_lshlrev_b32_e32 v15, 2, v15
	v_readfirstlane_b32 s8, v9
	v_readfirstlane_b32 s9, v10
	s_waitcnt lgkmcnt(0)
	s_nop 3
	global_store_dword v15, v16, s[8:9]
.LBB978_311:
	s_or_b64 exec, exec, s[6:7]
                                        ; implicit-def: $vgpr15
.LBB978_312:
	s_andn2_saveexec_b64 s[4:5], s[4:5]
	s_cbranch_execz .LBB978_314
; %bb.313:
	v_lshlrev_b32_e32 v16, 2, v0
	ds_read_b32 v16, v16 offset:5120
	v_lshlrev_b32_e32 v15, 2, v15
	v_readfirstlane_b32 s4, v11
	v_readfirstlane_b32 s5, v12
	s_waitcnt lgkmcnt(0)
	s_nop 3
	global_store_dword v15, v16, s[4:5]
.LBB978_314:
	s_or_b64 exec, exec, s[2:3]
	v_or_b32_e32 v15, 0x600, v0
	v_cmp_gt_u32_e32 vcc, s16, v15
	s_and_saveexec_b64 s[2:3], vcc
	s_cbranch_execz .LBB978_323
; %bb.315:
	v_cmp_ge_u32_e32 vcc, v15, v5
	s_and_saveexec_b64 s[4:5], vcc
	s_xor_b64 s[4:5], exec, s[4:5]
	s_cbranch_execz .LBB978_321
; %bb.316:
	v_cmp_ge_u32_e32 vcc, v15, v14
	s_and_saveexec_b64 s[6:7], vcc
	s_xor_b64 s[6:7], exec, s[6:7]
	s_cbranch_execz .LBB978_318
; %bb.317:
	v_add_co_u32_e32 v15, vcc, v7, v15
	v_lshlrev_b32_e32 v17, 2, v0
	v_addc_co_u32_e32 v16, vcc, 0, v13, vcc
	ds_read_b32 v17, v17 offset:6144
	v_lshlrev_b64 v[15:16], 2, v[15:16]
	v_mov_b32_e32 v18, s31
	v_sub_co_u32_e32 v15, vcc, s30, v15
	v_subb_co_u32_e32 v16, vcc, v18, v16, vcc
	s_waitcnt lgkmcnt(0)
	global_store_dword v[15:16], v17, off offset:-4
                                        ; implicit-def: $vgpr15
.LBB978_318:
	s_andn2_saveexec_b64 s[6:7], s[6:7]
	s_cbranch_execz .LBB978_320
; %bb.319:
	v_lshlrev_b32_e32 v16, 2, v0
	ds_read_b32 v16, v16 offset:6144
	v_lshlrev_b32_e32 v15, 2, v15
	v_readfirstlane_b32 s8, v9
	v_readfirstlane_b32 s9, v10
	s_waitcnt lgkmcnt(0)
	s_nop 3
	global_store_dword v15, v16, s[8:9]
.LBB978_320:
	s_or_b64 exec, exec, s[6:7]
                                        ; implicit-def: $vgpr15
.LBB978_321:
	s_andn2_saveexec_b64 s[4:5], s[4:5]
	s_cbranch_execz .LBB978_323
; %bb.322:
	v_lshlrev_b32_e32 v16, 2, v0
	ds_read_b32 v16, v16 offset:6144
	v_lshlrev_b32_e32 v15, 2, v15
	v_readfirstlane_b32 s4, v11
	v_readfirstlane_b32 s5, v12
	s_waitcnt lgkmcnt(0)
	s_nop 3
	global_store_dword v15, v16, s[4:5]
.LBB978_323:
	s_or_b64 exec, exec, s[2:3]
	v_or_b32_e32 v15, 0x700, v0
	v_cmp_gt_u32_e32 vcc, s16, v15
	s_and_saveexec_b64 s[2:3], vcc
	s_cbranch_execz .LBB978_332
; %bb.324:
	v_cmp_ge_u32_e32 vcc, v15, v5
	s_and_saveexec_b64 s[4:5], vcc
	s_xor_b64 s[4:5], exec, s[4:5]
	s_cbranch_execz .LBB978_330
; %bb.325:
	v_cmp_ge_u32_e32 vcc, v15, v14
	s_and_saveexec_b64 s[6:7], vcc
	s_xor_b64 s[6:7], exec, s[6:7]
	s_cbranch_execz .LBB978_327
; %bb.326:
	v_add_co_u32_e32 v15, vcc, v7, v15
	v_lshlrev_b32_e32 v17, 2, v0
	v_addc_co_u32_e32 v16, vcc, 0, v13, vcc
	ds_read_b32 v17, v17 offset:7168
	v_lshlrev_b64 v[15:16], 2, v[15:16]
	v_mov_b32_e32 v18, s31
	v_sub_co_u32_e32 v15, vcc, s30, v15
	v_subb_co_u32_e32 v16, vcc, v18, v16, vcc
	s_waitcnt lgkmcnt(0)
	global_store_dword v[15:16], v17, off offset:-4
                                        ; implicit-def: $vgpr15
.LBB978_327:
	s_andn2_saveexec_b64 s[6:7], s[6:7]
	s_cbranch_execz .LBB978_329
; %bb.328:
	v_lshlrev_b32_e32 v16, 2, v0
	ds_read_b32 v16, v16 offset:7168
	v_lshlrev_b32_e32 v15, 2, v15
	v_readfirstlane_b32 s8, v9
	v_readfirstlane_b32 s9, v10
	s_waitcnt lgkmcnt(0)
	s_nop 3
	global_store_dword v15, v16, s[8:9]
.LBB978_329:
	s_or_b64 exec, exec, s[6:7]
                                        ; implicit-def: $vgpr15
.LBB978_330:
	s_andn2_saveexec_b64 s[4:5], s[4:5]
	s_cbranch_execz .LBB978_332
; %bb.331:
	v_lshlrev_b32_e32 v16, 2, v0
	ds_read_b32 v16, v16 offset:7168
	v_lshlrev_b32_e32 v15, 2, v15
	v_readfirstlane_b32 s4, v11
	v_readfirstlane_b32 s5, v12
	s_waitcnt lgkmcnt(0)
	s_nop 3
	global_store_dword v15, v16, s[4:5]
.LBB978_332:
	s_or_b64 exec, exec, s[2:3]
	v_or_b32_e32 v15, 0x800, v0
	v_cmp_gt_u32_e32 vcc, s16, v15
	s_and_saveexec_b64 s[2:3], vcc
	s_cbranch_execz .LBB978_341
; %bb.333:
	v_cmp_ge_u32_e32 vcc, v15, v5
	s_and_saveexec_b64 s[4:5], vcc
	s_xor_b64 s[4:5], exec, s[4:5]
	s_cbranch_execz .LBB978_339
; %bb.334:
	v_cmp_ge_u32_e32 vcc, v15, v14
	s_and_saveexec_b64 s[6:7], vcc
	s_xor_b64 s[6:7], exec, s[6:7]
	s_cbranch_execz .LBB978_336
; %bb.335:
	v_add_co_u32_e32 v15, vcc, v7, v15
	v_lshlrev_b32_e32 v17, 2, v0
	v_addc_co_u32_e32 v16, vcc, 0, v13, vcc
	ds_read_b32 v17, v17 offset:8192
	v_lshlrev_b64 v[15:16], 2, v[15:16]
	v_mov_b32_e32 v18, s31
	v_sub_co_u32_e32 v15, vcc, s30, v15
	v_subb_co_u32_e32 v16, vcc, v18, v16, vcc
	s_waitcnt lgkmcnt(0)
	global_store_dword v[15:16], v17, off offset:-4
                                        ; implicit-def: $vgpr15
.LBB978_336:
	s_andn2_saveexec_b64 s[6:7], s[6:7]
	s_cbranch_execz .LBB978_338
; %bb.337:
	v_lshlrev_b32_e32 v16, 2, v0
	ds_read_b32 v16, v16 offset:8192
	v_lshlrev_b32_e32 v15, 2, v15
	v_readfirstlane_b32 s8, v9
	v_readfirstlane_b32 s9, v10
	s_waitcnt lgkmcnt(0)
	s_nop 3
	global_store_dword v15, v16, s[8:9]
.LBB978_338:
	s_or_b64 exec, exec, s[6:7]
                                        ; implicit-def: $vgpr15
.LBB978_339:
	s_andn2_saveexec_b64 s[4:5], s[4:5]
	s_cbranch_execz .LBB978_341
; %bb.340:
	v_lshlrev_b32_e32 v16, 2, v0
	ds_read_b32 v16, v16 offset:8192
	v_lshlrev_b32_e32 v15, 2, v15
	v_readfirstlane_b32 s4, v11
	v_readfirstlane_b32 s5, v12
	s_waitcnt lgkmcnt(0)
	s_nop 3
	global_store_dword v15, v16, s[4:5]
.LBB978_341:
	s_or_b64 exec, exec, s[2:3]
	v_or_b32_e32 v15, 0x900, v0
	v_cmp_gt_u32_e32 vcc, s16, v15
	s_and_saveexec_b64 s[2:3], vcc
	s_cbranch_execz .LBB978_350
; %bb.342:
	v_cmp_ge_u32_e32 vcc, v15, v5
	s_and_saveexec_b64 s[4:5], vcc
	s_xor_b64 s[4:5], exec, s[4:5]
	s_cbranch_execz .LBB978_348
; %bb.343:
	v_cmp_ge_u32_e32 vcc, v15, v14
	s_and_saveexec_b64 s[6:7], vcc
	s_xor_b64 s[6:7], exec, s[6:7]
	s_cbranch_execz .LBB978_345
; %bb.344:
	v_add_co_u32_e32 v15, vcc, v7, v15
	v_lshlrev_b32_e32 v17, 2, v0
	v_addc_co_u32_e32 v16, vcc, 0, v13, vcc
	ds_read_b32 v17, v17 offset:9216
	v_lshlrev_b64 v[15:16], 2, v[15:16]
	v_mov_b32_e32 v18, s31
	v_sub_co_u32_e32 v15, vcc, s30, v15
	v_subb_co_u32_e32 v16, vcc, v18, v16, vcc
	s_waitcnt lgkmcnt(0)
	global_store_dword v[15:16], v17, off offset:-4
                                        ; implicit-def: $vgpr15
.LBB978_345:
	s_andn2_saveexec_b64 s[6:7], s[6:7]
	s_cbranch_execz .LBB978_347
; %bb.346:
	v_lshlrev_b32_e32 v16, 2, v0
	ds_read_b32 v16, v16 offset:9216
	v_lshlrev_b32_e32 v15, 2, v15
	v_readfirstlane_b32 s8, v9
	v_readfirstlane_b32 s9, v10
	s_waitcnt lgkmcnt(0)
	s_nop 3
	global_store_dword v15, v16, s[8:9]
.LBB978_347:
	s_or_b64 exec, exec, s[6:7]
                                        ; implicit-def: $vgpr15
.LBB978_348:
	s_andn2_saveexec_b64 s[4:5], s[4:5]
	s_cbranch_execz .LBB978_350
; %bb.349:
	v_lshlrev_b32_e32 v16, 2, v0
	ds_read_b32 v16, v16 offset:9216
	v_lshlrev_b32_e32 v15, 2, v15
	v_readfirstlane_b32 s4, v11
	v_readfirstlane_b32 s5, v12
	s_waitcnt lgkmcnt(0)
	s_nop 3
	global_store_dword v15, v16, s[4:5]
.LBB978_350:
	s_or_b64 exec, exec, s[2:3]
	v_or_b32_e32 v15, 0xa00, v0
	v_cmp_gt_u32_e32 vcc, s16, v15
	s_and_saveexec_b64 s[2:3], vcc
	s_cbranch_execz .LBB978_359
; %bb.351:
	v_cmp_ge_u32_e32 vcc, v15, v5
	s_and_saveexec_b64 s[4:5], vcc
	s_xor_b64 s[4:5], exec, s[4:5]
	s_cbranch_execz .LBB978_357
; %bb.352:
	v_cmp_ge_u32_e32 vcc, v15, v14
	s_and_saveexec_b64 s[6:7], vcc
	s_xor_b64 s[6:7], exec, s[6:7]
	s_cbranch_execz .LBB978_354
; %bb.353:
	v_add_co_u32_e32 v15, vcc, v7, v15
	v_lshlrev_b32_e32 v17, 2, v0
	v_addc_co_u32_e32 v16, vcc, 0, v13, vcc
	ds_read_b32 v17, v17 offset:10240
	v_lshlrev_b64 v[15:16], 2, v[15:16]
	v_mov_b32_e32 v18, s31
	v_sub_co_u32_e32 v15, vcc, s30, v15
	v_subb_co_u32_e32 v16, vcc, v18, v16, vcc
	s_waitcnt lgkmcnt(0)
	global_store_dword v[15:16], v17, off offset:-4
                                        ; implicit-def: $vgpr15
.LBB978_354:
	s_andn2_saveexec_b64 s[6:7], s[6:7]
	s_cbranch_execz .LBB978_356
; %bb.355:
	v_lshlrev_b32_e32 v16, 2, v0
	ds_read_b32 v16, v16 offset:10240
	v_lshlrev_b32_e32 v15, 2, v15
	v_readfirstlane_b32 s8, v9
	v_readfirstlane_b32 s9, v10
	s_waitcnt lgkmcnt(0)
	s_nop 3
	global_store_dword v15, v16, s[8:9]
.LBB978_356:
	s_or_b64 exec, exec, s[6:7]
                                        ; implicit-def: $vgpr15
.LBB978_357:
	s_andn2_saveexec_b64 s[4:5], s[4:5]
	s_cbranch_execz .LBB978_359
; %bb.358:
	v_lshlrev_b32_e32 v16, 2, v0
	ds_read_b32 v16, v16 offset:10240
	v_lshlrev_b32_e32 v15, 2, v15
	v_readfirstlane_b32 s4, v11
	v_readfirstlane_b32 s5, v12
	s_waitcnt lgkmcnt(0)
	s_nop 3
	global_store_dword v15, v16, s[4:5]
.LBB978_359:
	s_or_b64 exec, exec, s[2:3]
	v_or_b32_e32 v15, 0xb00, v0
	v_cmp_gt_u32_e32 vcc, s16, v15
	s_and_saveexec_b64 s[2:3], vcc
	s_cbranch_execz .LBB978_368
; %bb.360:
	v_cmp_ge_u32_e32 vcc, v15, v5
	s_and_saveexec_b64 s[4:5], vcc
	s_xor_b64 s[4:5], exec, s[4:5]
	s_cbranch_execz .LBB978_366
; %bb.361:
	v_cmp_ge_u32_e32 vcc, v15, v14
	s_and_saveexec_b64 s[6:7], vcc
	s_xor_b64 s[6:7], exec, s[6:7]
	s_cbranch_execz .LBB978_363
; %bb.362:
	v_add_co_u32_e32 v15, vcc, v7, v15
	v_lshlrev_b32_e32 v17, 2, v0
	v_addc_co_u32_e32 v16, vcc, 0, v13, vcc
	ds_read_b32 v17, v17 offset:11264
	v_lshlrev_b64 v[15:16], 2, v[15:16]
	v_mov_b32_e32 v18, s31
	v_sub_co_u32_e32 v15, vcc, s30, v15
	v_subb_co_u32_e32 v16, vcc, v18, v16, vcc
	s_waitcnt lgkmcnt(0)
	global_store_dword v[15:16], v17, off offset:-4
                                        ; implicit-def: $vgpr15
.LBB978_363:
	s_andn2_saveexec_b64 s[6:7], s[6:7]
	s_cbranch_execz .LBB978_365
; %bb.364:
	v_lshlrev_b32_e32 v16, 2, v0
	ds_read_b32 v16, v16 offset:11264
	v_lshlrev_b32_e32 v15, 2, v15
	v_readfirstlane_b32 s8, v9
	v_readfirstlane_b32 s9, v10
	s_waitcnt lgkmcnt(0)
	s_nop 3
	global_store_dword v15, v16, s[8:9]
.LBB978_365:
	s_or_b64 exec, exec, s[6:7]
                                        ; implicit-def: $vgpr15
.LBB978_366:
	s_andn2_saveexec_b64 s[4:5], s[4:5]
	s_cbranch_execz .LBB978_368
; %bb.367:
	v_lshlrev_b32_e32 v16, 2, v0
	ds_read_b32 v16, v16 offset:11264
	v_lshlrev_b32_e32 v15, 2, v15
	v_readfirstlane_b32 s4, v11
	v_readfirstlane_b32 s5, v12
	s_waitcnt lgkmcnt(0)
	s_nop 3
	global_store_dword v15, v16, s[4:5]
.LBB978_368:
	s_or_b64 exec, exec, s[2:3]
	v_or_b32_e32 v15, 0xc00, v0
	v_cmp_gt_u32_e32 vcc, s16, v15
	s_and_saveexec_b64 s[2:3], vcc
	s_cbranch_execz .LBB978_377
; %bb.369:
	v_cmp_ge_u32_e32 vcc, v15, v5
	s_and_saveexec_b64 s[4:5], vcc
	s_xor_b64 s[4:5], exec, s[4:5]
	s_cbranch_execz .LBB978_375
; %bb.370:
	v_cmp_ge_u32_e32 vcc, v15, v14
	s_and_saveexec_b64 s[6:7], vcc
	s_xor_b64 s[6:7], exec, s[6:7]
	s_cbranch_execz .LBB978_372
; %bb.371:
	v_add_co_u32_e32 v9, vcc, v7, v15
	v_lshlrev_b32_e32 v0, 2, v0
	v_addc_co_u32_e32 v10, vcc, 0, v13, vcc
	ds_read_b32 v0, v0 offset:12288
	v_lshlrev_b64 v[9:10], 2, v[9:10]
	v_mov_b32_e32 v7, s31
	v_sub_co_u32_e32 v9, vcc, s30, v9
	v_subb_co_u32_e32 v10, vcc, v7, v10, vcc
	s_waitcnt lgkmcnt(0)
	global_store_dword v[9:10], v0, off offset:-4
                                        ; implicit-def: $vgpr0
                                        ; implicit-def: $vgpr15
                                        ; implicit-def: $vgpr9_vgpr10
.LBB978_372:
	s_andn2_saveexec_b64 s[6:7], s[6:7]
	s_cbranch_execz .LBB978_374
; %bb.373:
	v_lshlrev_b32_e32 v0, 2, v0
	ds_read_b32 v0, v0 offset:12288
	v_lshlrev_b32_e32 v7, 2, v15
	v_readfirstlane_b32 s8, v9
	v_readfirstlane_b32 s9, v10
	s_waitcnt lgkmcnt(0)
	s_nop 3
	global_store_dword v7, v0, s[8:9]
.LBB978_374:
	s_or_b64 exec, exec, s[6:7]
                                        ; implicit-def: $vgpr0
                                        ; implicit-def: $vgpr15
                                        ; implicit-def: $vgpr11_vgpr12
.LBB978_375:
	s_andn2_saveexec_b64 s[4:5], s[4:5]
	s_cbranch_execz .LBB978_377
; %bb.376:
	v_lshlrev_b32_e32 v0, 2, v0
	ds_read_b32 v0, v0 offset:12288
	v_lshlrev_b32_e32 v7, 2, v15
	v_readfirstlane_b32 s4, v11
	v_readfirstlane_b32 s5, v12
	s_waitcnt lgkmcnt(0)
	s_nop 3
	global_store_dword v7, v0, s[4:5]
.LBB978_377:
	s_or_b64 exec, exec, s[2:3]
	s_and_b64 s[0:1], s[0:1], s[34:35]
	s_and_saveexec_b64 s[2:3], s[0:1]
	s_cbranch_execz .LBB978_154
.LBB978_378:
	v_add_co_u32_e32 v3, vcc, v3, v6
	v_addc_co_u32_e32 v4, vcc, 0, v4, vcc
	v_add_co_u32_e32 v3, vcc, v3, v8
	v_addc_co_u32_e32 v4, vcc, 0, v4, vcc
	v_add_co_u32_e32 v1, vcc, v1, v5
	v_mov_b32_e32 v0, 0
	v_addc_co_u32_e32 v2, vcc, 0, v2, vcc
	global_store_dwordx4 v0, v[1:4], s[44:45]
	s_endpgm
.LBB978_379:
	s_add_i32 s14, s33, 64
	s_mov_b32 s15, 0
	s_lshl_b64 s[14:15], s[14:15], 4
	s_add_u32 s14, s54, s14
	s_addc_u32 s15, s55, s15
	v_mov_b32_e32 v28, s15
	v_add_u32_e32 v10, v8, v6
	v_add_u32_e32 v9, v7, v5
	v_mov_b32_e32 v11, 2
	v_mov_b32_e32 v12, 0
	;; [unrolled: 1-line block ×3, first 2 shown]
	;;#ASMSTART
	global_store_dwordx4 v[27:28], v[9:12] off	
s_waitcnt vmcnt(0)
	;;#ASMEND
	s_or_b64 exec, exec, s[12:13]
	s_and_saveexec_b64 s[12:13], s[8:9]
	s_cbranch_execz .LBB978_139
.LBB978_380:
	v_mov_b32_e32 v9, 0
	ds_write_b128 v9, v[5:8] offset:13312
	s_or_b64 exec, exec, s[12:13]
	s_and_b64 exec, exec, s[0:1]
	s_cbranch_execnz .LBB978_140
	s_branch .LBB978_141
	.section	.rodata,"a",@progbits
	.p2align	6, 0x0
	.amdhsa_kernel _ZN7rocprim17ROCPRIM_400000_NS6detail17trampoline_kernelINS0_13select_configILj256ELj13ELNS0_17block_load_methodE3ELS4_3ELS4_3ELNS0_20block_scan_algorithmE0ELj4294967295EEENS1_25partition_config_selectorILNS1_17partition_subalgoE4EjNS0_10empty_typeEbEEZZNS1_14partition_implILS8_4ELb0ES6_15HIP_vector_typeIjLj2EENS0_17counting_iteratorIjlEEPS9_SG_NS0_5tupleIJPjSI_NS0_16reverse_iteratorISI_EEEEENSH_IJSG_SG_SG_EEES9_SI_JZNS1_25segmented_radix_sort_implINS0_14default_configELb0EPKsPsPKlPlN2at6native12_GLOBAL__N_18offset_tEEE10hipError_tPvRmT1_PNSt15iterator_traitsIS12_E10value_typeET2_T3_PNS13_IS18_E10value_typeET4_jRbjT5_S1E_jjP12ihipStream_tbEUljE_ZNSN_ISO_Lb0ESQ_SR_ST_SU_SY_EESZ_S10_S11_S12_S16_S17_S18_S1B_S1C_jS1D_jS1E_S1E_jjS1G_bEUljE0_EEESZ_S10_S11_S18_S1C_S1E_T6_T7_T9_mT8_S1G_bDpT10_ENKUlT_T0_E_clISt17integral_constantIbLb0EES1T_IbLb1EEEEDaS1P_S1Q_EUlS1P_E_NS1_11comp_targetILNS1_3genE2ELNS1_11target_archE906ELNS1_3gpuE6ELNS1_3repE0EEENS1_30default_config_static_selectorELNS0_4arch9wavefront6targetE1EEEvS12_
		.amdhsa_group_segment_fixed_size 13328
		.amdhsa_private_segment_fixed_size 0
		.amdhsa_kernarg_size 184
		.amdhsa_user_sgpr_count 6
		.amdhsa_user_sgpr_private_segment_buffer 1
		.amdhsa_user_sgpr_dispatch_ptr 0
		.amdhsa_user_sgpr_queue_ptr 0
		.amdhsa_user_sgpr_kernarg_segment_ptr 1
		.amdhsa_user_sgpr_dispatch_id 0
		.amdhsa_user_sgpr_flat_scratch_init 0
		.amdhsa_user_sgpr_private_segment_size 0
		.amdhsa_uses_dynamic_stack 0
		.amdhsa_system_sgpr_private_segment_wavefront_offset 0
		.amdhsa_system_sgpr_workgroup_id_x 1
		.amdhsa_system_sgpr_workgroup_id_y 0
		.amdhsa_system_sgpr_workgroup_id_z 0
		.amdhsa_system_sgpr_workgroup_info 0
		.amdhsa_system_vgpr_workitem_id 0
		.amdhsa_next_free_vgpr 91
		.amdhsa_next_free_sgpr 98
		.amdhsa_reserve_vcc 1
		.amdhsa_reserve_flat_scratch 0
		.amdhsa_float_round_mode_32 0
		.amdhsa_float_round_mode_16_64 0
		.amdhsa_float_denorm_mode_32 3
		.amdhsa_float_denorm_mode_16_64 3
		.amdhsa_dx10_clamp 1
		.amdhsa_ieee_mode 1
		.amdhsa_fp16_overflow 0
		.amdhsa_exception_fp_ieee_invalid_op 0
		.amdhsa_exception_fp_denorm_src 0
		.amdhsa_exception_fp_ieee_div_zero 0
		.amdhsa_exception_fp_ieee_overflow 0
		.amdhsa_exception_fp_ieee_underflow 0
		.amdhsa_exception_fp_ieee_inexact 0
		.amdhsa_exception_int_div_zero 0
	.end_amdhsa_kernel
	.section	.text._ZN7rocprim17ROCPRIM_400000_NS6detail17trampoline_kernelINS0_13select_configILj256ELj13ELNS0_17block_load_methodE3ELS4_3ELS4_3ELNS0_20block_scan_algorithmE0ELj4294967295EEENS1_25partition_config_selectorILNS1_17partition_subalgoE4EjNS0_10empty_typeEbEEZZNS1_14partition_implILS8_4ELb0ES6_15HIP_vector_typeIjLj2EENS0_17counting_iteratorIjlEEPS9_SG_NS0_5tupleIJPjSI_NS0_16reverse_iteratorISI_EEEEENSH_IJSG_SG_SG_EEES9_SI_JZNS1_25segmented_radix_sort_implINS0_14default_configELb0EPKsPsPKlPlN2at6native12_GLOBAL__N_18offset_tEEE10hipError_tPvRmT1_PNSt15iterator_traitsIS12_E10value_typeET2_T3_PNS13_IS18_E10value_typeET4_jRbjT5_S1E_jjP12ihipStream_tbEUljE_ZNSN_ISO_Lb0ESQ_SR_ST_SU_SY_EESZ_S10_S11_S12_S16_S17_S18_S1B_S1C_jS1D_jS1E_S1E_jjS1G_bEUljE0_EEESZ_S10_S11_S18_S1C_S1E_T6_T7_T9_mT8_S1G_bDpT10_ENKUlT_T0_E_clISt17integral_constantIbLb0EES1T_IbLb1EEEEDaS1P_S1Q_EUlS1P_E_NS1_11comp_targetILNS1_3genE2ELNS1_11target_archE906ELNS1_3gpuE6ELNS1_3repE0EEENS1_30default_config_static_selectorELNS0_4arch9wavefront6targetE1EEEvS12_,"axG",@progbits,_ZN7rocprim17ROCPRIM_400000_NS6detail17trampoline_kernelINS0_13select_configILj256ELj13ELNS0_17block_load_methodE3ELS4_3ELS4_3ELNS0_20block_scan_algorithmE0ELj4294967295EEENS1_25partition_config_selectorILNS1_17partition_subalgoE4EjNS0_10empty_typeEbEEZZNS1_14partition_implILS8_4ELb0ES6_15HIP_vector_typeIjLj2EENS0_17counting_iteratorIjlEEPS9_SG_NS0_5tupleIJPjSI_NS0_16reverse_iteratorISI_EEEEENSH_IJSG_SG_SG_EEES9_SI_JZNS1_25segmented_radix_sort_implINS0_14default_configELb0EPKsPsPKlPlN2at6native12_GLOBAL__N_18offset_tEEE10hipError_tPvRmT1_PNSt15iterator_traitsIS12_E10value_typeET2_T3_PNS13_IS18_E10value_typeET4_jRbjT5_S1E_jjP12ihipStream_tbEUljE_ZNSN_ISO_Lb0ESQ_SR_ST_SU_SY_EESZ_S10_S11_S12_S16_S17_S18_S1B_S1C_jS1D_jS1E_S1E_jjS1G_bEUljE0_EEESZ_S10_S11_S18_S1C_S1E_T6_T7_T9_mT8_S1G_bDpT10_ENKUlT_T0_E_clISt17integral_constantIbLb0EES1T_IbLb1EEEEDaS1P_S1Q_EUlS1P_E_NS1_11comp_targetILNS1_3genE2ELNS1_11target_archE906ELNS1_3gpuE6ELNS1_3repE0EEENS1_30default_config_static_selectorELNS0_4arch9wavefront6targetE1EEEvS12_,comdat
.Lfunc_end978:
	.size	_ZN7rocprim17ROCPRIM_400000_NS6detail17trampoline_kernelINS0_13select_configILj256ELj13ELNS0_17block_load_methodE3ELS4_3ELS4_3ELNS0_20block_scan_algorithmE0ELj4294967295EEENS1_25partition_config_selectorILNS1_17partition_subalgoE4EjNS0_10empty_typeEbEEZZNS1_14partition_implILS8_4ELb0ES6_15HIP_vector_typeIjLj2EENS0_17counting_iteratorIjlEEPS9_SG_NS0_5tupleIJPjSI_NS0_16reverse_iteratorISI_EEEEENSH_IJSG_SG_SG_EEES9_SI_JZNS1_25segmented_radix_sort_implINS0_14default_configELb0EPKsPsPKlPlN2at6native12_GLOBAL__N_18offset_tEEE10hipError_tPvRmT1_PNSt15iterator_traitsIS12_E10value_typeET2_T3_PNS13_IS18_E10value_typeET4_jRbjT5_S1E_jjP12ihipStream_tbEUljE_ZNSN_ISO_Lb0ESQ_SR_ST_SU_SY_EESZ_S10_S11_S12_S16_S17_S18_S1B_S1C_jS1D_jS1E_S1E_jjS1G_bEUljE0_EEESZ_S10_S11_S18_S1C_S1E_T6_T7_T9_mT8_S1G_bDpT10_ENKUlT_T0_E_clISt17integral_constantIbLb0EES1T_IbLb1EEEEDaS1P_S1Q_EUlS1P_E_NS1_11comp_targetILNS1_3genE2ELNS1_11target_archE906ELNS1_3gpuE6ELNS1_3repE0EEENS1_30default_config_static_selectorELNS0_4arch9wavefront6targetE1EEEvS12_, .Lfunc_end978-_ZN7rocprim17ROCPRIM_400000_NS6detail17trampoline_kernelINS0_13select_configILj256ELj13ELNS0_17block_load_methodE3ELS4_3ELS4_3ELNS0_20block_scan_algorithmE0ELj4294967295EEENS1_25partition_config_selectorILNS1_17partition_subalgoE4EjNS0_10empty_typeEbEEZZNS1_14partition_implILS8_4ELb0ES6_15HIP_vector_typeIjLj2EENS0_17counting_iteratorIjlEEPS9_SG_NS0_5tupleIJPjSI_NS0_16reverse_iteratorISI_EEEEENSH_IJSG_SG_SG_EEES9_SI_JZNS1_25segmented_radix_sort_implINS0_14default_configELb0EPKsPsPKlPlN2at6native12_GLOBAL__N_18offset_tEEE10hipError_tPvRmT1_PNSt15iterator_traitsIS12_E10value_typeET2_T3_PNS13_IS18_E10value_typeET4_jRbjT5_S1E_jjP12ihipStream_tbEUljE_ZNSN_ISO_Lb0ESQ_SR_ST_SU_SY_EESZ_S10_S11_S12_S16_S17_S18_S1B_S1C_jS1D_jS1E_S1E_jjS1G_bEUljE0_EEESZ_S10_S11_S18_S1C_S1E_T6_T7_T9_mT8_S1G_bDpT10_ENKUlT_T0_E_clISt17integral_constantIbLb0EES1T_IbLb1EEEEDaS1P_S1Q_EUlS1P_E_NS1_11comp_targetILNS1_3genE2ELNS1_11target_archE906ELNS1_3gpuE6ELNS1_3repE0EEENS1_30default_config_static_selectorELNS0_4arch9wavefront6targetE1EEEvS12_
                                        ; -- End function
	.set _ZN7rocprim17ROCPRIM_400000_NS6detail17trampoline_kernelINS0_13select_configILj256ELj13ELNS0_17block_load_methodE3ELS4_3ELS4_3ELNS0_20block_scan_algorithmE0ELj4294967295EEENS1_25partition_config_selectorILNS1_17partition_subalgoE4EjNS0_10empty_typeEbEEZZNS1_14partition_implILS8_4ELb0ES6_15HIP_vector_typeIjLj2EENS0_17counting_iteratorIjlEEPS9_SG_NS0_5tupleIJPjSI_NS0_16reverse_iteratorISI_EEEEENSH_IJSG_SG_SG_EEES9_SI_JZNS1_25segmented_radix_sort_implINS0_14default_configELb0EPKsPsPKlPlN2at6native12_GLOBAL__N_18offset_tEEE10hipError_tPvRmT1_PNSt15iterator_traitsIS12_E10value_typeET2_T3_PNS13_IS18_E10value_typeET4_jRbjT5_S1E_jjP12ihipStream_tbEUljE_ZNSN_ISO_Lb0ESQ_SR_ST_SU_SY_EESZ_S10_S11_S12_S16_S17_S18_S1B_S1C_jS1D_jS1E_S1E_jjS1G_bEUljE0_EEESZ_S10_S11_S18_S1C_S1E_T6_T7_T9_mT8_S1G_bDpT10_ENKUlT_T0_E_clISt17integral_constantIbLb0EES1T_IbLb1EEEEDaS1P_S1Q_EUlS1P_E_NS1_11comp_targetILNS1_3genE2ELNS1_11target_archE906ELNS1_3gpuE6ELNS1_3repE0EEENS1_30default_config_static_selectorELNS0_4arch9wavefront6targetE1EEEvS12_.num_vgpr, 91
	.set _ZN7rocprim17ROCPRIM_400000_NS6detail17trampoline_kernelINS0_13select_configILj256ELj13ELNS0_17block_load_methodE3ELS4_3ELS4_3ELNS0_20block_scan_algorithmE0ELj4294967295EEENS1_25partition_config_selectorILNS1_17partition_subalgoE4EjNS0_10empty_typeEbEEZZNS1_14partition_implILS8_4ELb0ES6_15HIP_vector_typeIjLj2EENS0_17counting_iteratorIjlEEPS9_SG_NS0_5tupleIJPjSI_NS0_16reverse_iteratorISI_EEEEENSH_IJSG_SG_SG_EEES9_SI_JZNS1_25segmented_radix_sort_implINS0_14default_configELb0EPKsPsPKlPlN2at6native12_GLOBAL__N_18offset_tEEE10hipError_tPvRmT1_PNSt15iterator_traitsIS12_E10value_typeET2_T3_PNS13_IS18_E10value_typeET4_jRbjT5_S1E_jjP12ihipStream_tbEUljE_ZNSN_ISO_Lb0ESQ_SR_ST_SU_SY_EESZ_S10_S11_S12_S16_S17_S18_S1B_S1C_jS1D_jS1E_S1E_jjS1G_bEUljE0_EEESZ_S10_S11_S18_S1C_S1E_T6_T7_T9_mT8_S1G_bDpT10_ENKUlT_T0_E_clISt17integral_constantIbLb0EES1T_IbLb1EEEEDaS1P_S1Q_EUlS1P_E_NS1_11comp_targetILNS1_3genE2ELNS1_11target_archE906ELNS1_3gpuE6ELNS1_3repE0EEENS1_30default_config_static_selectorELNS0_4arch9wavefront6targetE1EEEvS12_.num_agpr, 0
	.set _ZN7rocprim17ROCPRIM_400000_NS6detail17trampoline_kernelINS0_13select_configILj256ELj13ELNS0_17block_load_methodE3ELS4_3ELS4_3ELNS0_20block_scan_algorithmE0ELj4294967295EEENS1_25partition_config_selectorILNS1_17partition_subalgoE4EjNS0_10empty_typeEbEEZZNS1_14partition_implILS8_4ELb0ES6_15HIP_vector_typeIjLj2EENS0_17counting_iteratorIjlEEPS9_SG_NS0_5tupleIJPjSI_NS0_16reverse_iteratorISI_EEEEENSH_IJSG_SG_SG_EEES9_SI_JZNS1_25segmented_radix_sort_implINS0_14default_configELb0EPKsPsPKlPlN2at6native12_GLOBAL__N_18offset_tEEE10hipError_tPvRmT1_PNSt15iterator_traitsIS12_E10value_typeET2_T3_PNS13_IS18_E10value_typeET4_jRbjT5_S1E_jjP12ihipStream_tbEUljE_ZNSN_ISO_Lb0ESQ_SR_ST_SU_SY_EESZ_S10_S11_S12_S16_S17_S18_S1B_S1C_jS1D_jS1E_S1E_jjS1G_bEUljE0_EEESZ_S10_S11_S18_S1C_S1E_T6_T7_T9_mT8_S1G_bDpT10_ENKUlT_T0_E_clISt17integral_constantIbLb0EES1T_IbLb1EEEEDaS1P_S1Q_EUlS1P_E_NS1_11comp_targetILNS1_3genE2ELNS1_11target_archE906ELNS1_3gpuE6ELNS1_3repE0EEENS1_30default_config_static_selectorELNS0_4arch9wavefront6targetE1EEEvS12_.numbered_sgpr, 87
	.set _ZN7rocprim17ROCPRIM_400000_NS6detail17trampoline_kernelINS0_13select_configILj256ELj13ELNS0_17block_load_methodE3ELS4_3ELS4_3ELNS0_20block_scan_algorithmE0ELj4294967295EEENS1_25partition_config_selectorILNS1_17partition_subalgoE4EjNS0_10empty_typeEbEEZZNS1_14partition_implILS8_4ELb0ES6_15HIP_vector_typeIjLj2EENS0_17counting_iteratorIjlEEPS9_SG_NS0_5tupleIJPjSI_NS0_16reverse_iteratorISI_EEEEENSH_IJSG_SG_SG_EEES9_SI_JZNS1_25segmented_radix_sort_implINS0_14default_configELb0EPKsPsPKlPlN2at6native12_GLOBAL__N_18offset_tEEE10hipError_tPvRmT1_PNSt15iterator_traitsIS12_E10value_typeET2_T3_PNS13_IS18_E10value_typeET4_jRbjT5_S1E_jjP12ihipStream_tbEUljE_ZNSN_ISO_Lb0ESQ_SR_ST_SU_SY_EESZ_S10_S11_S12_S16_S17_S18_S1B_S1C_jS1D_jS1E_S1E_jjS1G_bEUljE0_EEESZ_S10_S11_S18_S1C_S1E_T6_T7_T9_mT8_S1G_bDpT10_ENKUlT_T0_E_clISt17integral_constantIbLb0EES1T_IbLb1EEEEDaS1P_S1Q_EUlS1P_E_NS1_11comp_targetILNS1_3genE2ELNS1_11target_archE906ELNS1_3gpuE6ELNS1_3repE0EEENS1_30default_config_static_selectorELNS0_4arch9wavefront6targetE1EEEvS12_.num_named_barrier, 0
	.set _ZN7rocprim17ROCPRIM_400000_NS6detail17trampoline_kernelINS0_13select_configILj256ELj13ELNS0_17block_load_methodE3ELS4_3ELS4_3ELNS0_20block_scan_algorithmE0ELj4294967295EEENS1_25partition_config_selectorILNS1_17partition_subalgoE4EjNS0_10empty_typeEbEEZZNS1_14partition_implILS8_4ELb0ES6_15HIP_vector_typeIjLj2EENS0_17counting_iteratorIjlEEPS9_SG_NS0_5tupleIJPjSI_NS0_16reverse_iteratorISI_EEEEENSH_IJSG_SG_SG_EEES9_SI_JZNS1_25segmented_radix_sort_implINS0_14default_configELb0EPKsPsPKlPlN2at6native12_GLOBAL__N_18offset_tEEE10hipError_tPvRmT1_PNSt15iterator_traitsIS12_E10value_typeET2_T3_PNS13_IS18_E10value_typeET4_jRbjT5_S1E_jjP12ihipStream_tbEUljE_ZNSN_ISO_Lb0ESQ_SR_ST_SU_SY_EESZ_S10_S11_S12_S16_S17_S18_S1B_S1C_jS1D_jS1E_S1E_jjS1G_bEUljE0_EEESZ_S10_S11_S18_S1C_S1E_T6_T7_T9_mT8_S1G_bDpT10_ENKUlT_T0_E_clISt17integral_constantIbLb0EES1T_IbLb1EEEEDaS1P_S1Q_EUlS1P_E_NS1_11comp_targetILNS1_3genE2ELNS1_11target_archE906ELNS1_3gpuE6ELNS1_3repE0EEENS1_30default_config_static_selectorELNS0_4arch9wavefront6targetE1EEEvS12_.private_seg_size, 0
	.set _ZN7rocprim17ROCPRIM_400000_NS6detail17trampoline_kernelINS0_13select_configILj256ELj13ELNS0_17block_load_methodE3ELS4_3ELS4_3ELNS0_20block_scan_algorithmE0ELj4294967295EEENS1_25partition_config_selectorILNS1_17partition_subalgoE4EjNS0_10empty_typeEbEEZZNS1_14partition_implILS8_4ELb0ES6_15HIP_vector_typeIjLj2EENS0_17counting_iteratorIjlEEPS9_SG_NS0_5tupleIJPjSI_NS0_16reverse_iteratorISI_EEEEENSH_IJSG_SG_SG_EEES9_SI_JZNS1_25segmented_radix_sort_implINS0_14default_configELb0EPKsPsPKlPlN2at6native12_GLOBAL__N_18offset_tEEE10hipError_tPvRmT1_PNSt15iterator_traitsIS12_E10value_typeET2_T3_PNS13_IS18_E10value_typeET4_jRbjT5_S1E_jjP12ihipStream_tbEUljE_ZNSN_ISO_Lb0ESQ_SR_ST_SU_SY_EESZ_S10_S11_S12_S16_S17_S18_S1B_S1C_jS1D_jS1E_S1E_jjS1G_bEUljE0_EEESZ_S10_S11_S18_S1C_S1E_T6_T7_T9_mT8_S1G_bDpT10_ENKUlT_T0_E_clISt17integral_constantIbLb0EES1T_IbLb1EEEEDaS1P_S1Q_EUlS1P_E_NS1_11comp_targetILNS1_3genE2ELNS1_11target_archE906ELNS1_3gpuE6ELNS1_3repE0EEENS1_30default_config_static_selectorELNS0_4arch9wavefront6targetE1EEEvS12_.uses_vcc, 1
	.set _ZN7rocprim17ROCPRIM_400000_NS6detail17trampoline_kernelINS0_13select_configILj256ELj13ELNS0_17block_load_methodE3ELS4_3ELS4_3ELNS0_20block_scan_algorithmE0ELj4294967295EEENS1_25partition_config_selectorILNS1_17partition_subalgoE4EjNS0_10empty_typeEbEEZZNS1_14partition_implILS8_4ELb0ES6_15HIP_vector_typeIjLj2EENS0_17counting_iteratorIjlEEPS9_SG_NS0_5tupleIJPjSI_NS0_16reverse_iteratorISI_EEEEENSH_IJSG_SG_SG_EEES9_SI_JZNS1_25segmented_radix_sort_implINS0_14default_configELb0EPKsPsPKlPlN2at6native12_GLOBAL__N_18offset_tEEE10hipError_tPvRmT1_PNSt15iterator_traitsIS12_E10value_typeET2_T3_PNS13_IS18_E10value_typeET4_jRbjT5_S1E_jjP12ihipStream_tbEUljE_ZNSN_ISO_Lb0ESQ_SR_ST_SU_SY_EESZ_S10_S11_S12_S16_S17_S18_S1B_S1C_jS1D_jS1E_S1E_jjS1G_bEUljE0_EEESZ_S10_S11_S18_S1C_S1E_T6_T7_T9_mT8_S1G_bDpT10_ENKUlT_T0_E_clISt17integral_constantIbLb0EES1T_IbLb1EEEEDaS1P_S1Q_EUlS1P_E_NS1_11comp_targetILNS1_3genE2ELNS1_11target_archE906ELNS1_3gpuE6ELNS1_3repE0EEENS1_30default_config_static_selectorELNS0_4arch9wavefront6targetE1EEEvS12_.uses_flat_scratch, 0
	.set _ZN7rocprim17ROCPRIM_400000_NS6detail17trampoline_kernelINS0_13select_configILj256ELj13ELNS0_17block_load_methodE3ELS4_3ELS4_3ELNS0_20block_scan_algorithmE0ELj4294967295EEENS1_25partition_config_selectorILNS1_17partition_subalgoE4EjNS0_10empty_typeEbEEZZNS1_14partition_implILS8_4ELb0ES6_15HIP_vector_typeIjLj2EENS0_17counting_iteratorIjlEEPS9_SG_NS0_5tupleIJPjSI_NS0_16reverse_iteratorISI_EEEEENSH_IJSG_SG_SG_EEES9_SI_JZNS1_25segmented_radix_sort_implINS0_14default_configELb0EPKsPsPKlPlN2at6native12_GLOBAL__N_18offset_tEEE10hipError_tPvRmT1_PNSt15iterator_traitsIS12_E10value_typeET2_T3_PNS13_IS18_E10value_typeET4_jRbjT5_S1E_jjP12ihipStream_tbEUljE_ZNSN_ISO_Lb0ESQ_SR_ST_SU_SY_EESZ_S10_S11_S12_S16_S17_S18_S1B_S1C_jS1D_jS1E_S1E_jjS1G_bEUljE0_EEESZ_S10_S11_S18_S1C_S1E_T6_T7_T9_mT8_S1G_bDpT10_ENKUlT_T0_E_clISt17integral_constantIbLb0EES1T_IbLb1EEEEDaS1P_S1Q_EUlS1P_E_NS1_11comp_targetILNS1_3genE2ELNS1_11target_archE906ELNS1_3gpuE6ELNS1_3repE0EEENS1_30default_config_static_selectorELNS0_4arch9wavefront6targetE1EEEvS12_.has_dyn_sized_stack, 0
	.set _ZN7rocprim17ROCPRIM_400000_NS6detail17trampoline_kernelINS0_13select_configILj256ELj13ELNS0_17block_load_methodE3ELS4_3ELS4_3ELNS0_20block_scan_algorithmE0ELj4294967295EEENS1_25partition_config_selectorILNS1_17partition_subalgoE4EjNS0_10empty_typeEbEEZZNS1_14partition_implILS8_4ELb0ES6_15HIP_vector_typeIjLj2EENS0_17counting_iteratorIjlEEPS9_SG_NS0_5tupleIJPjSI_NS0_16reverse_iteratorISI_EEEEENSH_IJSG_SG_SG_EEES9_SI_JZNS1_25segmented_radix_sort_implINS0_14default_configELb0EPKsPsPKlPlN2at6native12_GLOBAL__N_18offset_tEEE10hipError_tPvRmT1_PNSt15iterator_traitsIS12_E10value_typeET2_T3_PNS13_IS18_E10value_typeET4_jRbjT5_S1E_jjP12ihipStream_tbEUljE_ZNSN_ISO_Lb0ESQ_SR_ST_SU_SY_EESZ_S10_S11_S12_S16_S17_S18_S1B_S1C_jS1D_jS1E_S1E_jjS1G_bEUljE0_EEESZ_S10_S11_S18_S1C_S1E_T6_T7_T9_mT8_S1G_bDpT10_ENKUlT_T0_E_clISt17integral_constantIbLb0EES1T_IbLb1EEEEDaS1P_S1Q_EUlS1P_E_NS1_11comp_targetILNS1_3genE2ELNS1_11target_archE906ELNS1_3gpuE6ELNS1_3repE0EEENS1_30default_config_static_selectorELNS0_4arch9wavefront6targetE1EEEvS12_.has_recursion, 0
	.set _ZN7rocprim17ROCPRIM_400000_NS6detail17trampoline_kernelINS0_13select_configILj256ELj13ELNS0_17block_load_methodE3ELS4_3ELS4_3ELNS0_20block_scan_algorithmE0ELj4294967295EEENS1_25partition_config_selectorILNS1_17partition_subalgoE4EjNS0_10empty_typeEbEEZZNS1_14partition_implILS8_4ELb0ES6_15HIP_vector_typeIjLj2EENS0_17counting_iteratorIjlEEPS9_SG_NS0_5tupleIJPjSI_NS0_16reverse_iteratorISI_EEEEENSH_IJSG_SG_SG_EEES9_SI_JZNS1_25segmented_radix_sort_implINS0_14default_configELb0EPKsPsPKlPlN2at6native12_GLOBAL__N_18offset_tEEE10hipError_tPvRmT1_PNSt15iterator_traitsIS12_E10value_typeET2_T3_PNS13_IS18_E10value_typeET4_jRbjT5_S1E_jjP12ihipStream_tbEUljE_ZNSN_ISO_Lb0ESQ_SR_ST_SU_SY_EESZ_S10_S11_S12_S16_S17_S18_S1B_S1C_jS1D_jS1E_S1E_jjS1G_bEUljE0_EEESZ_S10_S11_S18_S1C_S1E_T6_T7_T9_mT8_S1G_bDpT10_ENKUlT_T0_E_clISt17integral_constantIbLb0EES1T_IbLb1EEEEDaS1P_S1Q_EUlS1P_E_NS1_11comp_targetILNS1_3genE2ELNS1_11target_archE906ELNS1_3gpuE6ELNS1_3repE0EEENS1_30default_config_static_selectorELNS0_4arch9wavefront6targetE1EEEvS12_.has_indirect_call, 0
	.section	.AMDGPU.csdata,"",@progbits
; Kernel info:
; codeLenInByte = 15580
; TotalNumSgprs: 91
; NumVgprs: 91
; ScratchSize: 0
; MemoryBound: 0
; FloatMode: 240
; IeeeMode: 1
; LDSByteSize: 13328 bytes/workgroup (compile time only)
; SGPRBlocks: 12
; VGPRBlocks: 22
; NumSGPRsForWavesPerEU: 102
; NumVGPRsForWavesPerEU: 91
; Occupancy: 2
; WaveLimiterHint : 1
; COMPUTE_PGM_RSRC2:SCRATCH_EN: 0
; COMPUTE_PGM_RSRC2:USER_SGPR: 6
; COMPUTE_PGM_RSRC2:TRAP_HANDLER: 0
; COMPUTE_PGM_RSRC2:TGID_X_EN: 1
; COMPUTE_PGM_RSRC2:TGID_Y_EN: 0
; COMPUTE_PGM_RSRC2:TGID_Z_EN: 0
; COMPUTE_PGM_RSRC2:TIDIG_COMP_CNT: 0
	.section	.text._ZN7rocprim17ROCPRIM_400000_NS6detail17trampoline_kernelINS0_13select_configILj256ELj13ELNS0_17block_load_methodE3ELS4_3ELS4_3ELNS0_20block_scan_algorithmE0ELj4294967295EEENS1_25partition_config_selectorILNS1_17partition_subalgoE4EjNS0_10empty_typeEbEEZZNS1_14partition_implILS8_4ELb0ES6_15HIP_vector_typeIjLj2EENS0_17counting_iteratorIjlEEPS9_SG_NS0_5tupleIJPjSI_NS0_16reverse_iteratorISI_EEEEENSH_IJSG_SG_SG_EEES9_SI_JZNS1_25segmented_radix_sort_implINS0_14default_configELb0EPKsPsPKlPlN2at6native12_GLOBAL__N_18offset_tEEE10hipError_tPvRmT1_PNSt15iterator_traitsIS12_E10value_typeET2_T3_PNS13_IS18_E10value_typeET4_jRbjT5_S1E_jjP12ihipStream_tbEUljE_ZNSN_ISO_Lb0ESQ_SR_ST_SU_SY_EESZ_S10_S11_S12_S16_S17_S18_S1B_S1C_jS1D_jS1E_S1E_jjS1G_bEUljE0_EEESZ_S10_S11_S18_S1C_S1E_T6_T7_T9_mT8_S1G_bDpT10_ENKUlT_T0_E_clISt17integral_constantIbLb0EES1T_IbLb1EEEEDaS1P_S1Q_EUlS1P_E_NS1_11comp_targetILNS1_3genE10ELNS1_11target_archE1200ELNS1_3gpuE4ELNS1_3repE0EEENS1_30default_config_static_selectorELNS0_4arch9wavefront6targetE1EEEvS12_,"axG",@progbits,_ZN7rocprim17ROCPRIM_400000_NS6detail17trampoline_kernelINS0_13select_configILj256ELj13ELNS0_17block_load_methodE3ELS4_3ELS4_3ELNS0_20block_scan_algorithmE0ELj4294967295EEENS1_25partition_config_selectorILNS1_17partition_subalgoE4EjNS0_10empty_typeEbEEZZNS1_14partition_implILS8_4ELb0ES6_15HIP_vector_typeIjLj2EENS0_17counting_iteratorIjlEEPS9_SG_NS0_5tupleIJPjSI_NS0_16reverse_iteratorISI_EEEEENSH_IJSG_SG_SG_EEES9_SI_JZNS1_25segmented_radix_sort_implINS0_14default_configELb0EPKsPsPKlPlN2at6native12_GLOBAL__N_18offset_tEEE10hipError_tPvRmT1_PNSt15iterator_traitsIS12_E10value_typeET2_T3_PNS13_IS18_E10value_typeET4_jRbjT5_S1E_jjP12ihipStream_tbEUljE_ZNSN_ISO_Lb0ESQ_SR_ST_SU_SY_EESZ_S10_S11_S12_S16_S17_S18_S1B_S1C_jS1D_jS1E_S1E_jjS1G_bEUljE0_EEESZ_S10_S11_S18_S1C_S1E_T6_T7_T9_mT8_S1G_bDpT10_ENKUlT_T0_E_clISt17integral_constantIbLb0EES1T_IbLb1EEEEDaS1P_S1Q_EUlS1P_E_NS1_11comp_targetILNS1_3genE10ELNS1_11target_archE1200ELNS1_3gpuE4ELNS1_3repE0EEENS1_30default_config_static_selectorELNS0_4arch9wavefront6targetE1EEEvS12_,comdat
	.globl	_ZN7rocprim17ROCPRIM_400000_NS6detail17trampoline_kernelINS0_13select_configILj256ELj13ELNS0_17block_load_methodE3ELS4_3ELS4_3ELNS0_20block_scan_algorithmE0ELj4294967295EEENS1_25partition_config_selectorILNS1_17partition_subalgoE4EjNS0_10empty_typeEbEEZZNS1_14partition_implILS8_4ELb0ES6_15HIP_vector_typeIjLj2EENS0_17counting_iteratorIjlEEPS9_SG_NS0_5tupleIJPjSI_NS0_16reverse_iteratorISI_EEEEENSH_IJSG_SG_SG_EEES9_SI_JZNS1_25segmented_radix_sort_implINS0_14default_configELb0EPKsPsPKlPlN2at6native12_GLOBAL__N_18offset_tEEE10hipError_tPvRmT1_PNSt15iterator_traitsIS12_E10value_typeET2_T3_PNS13_IS18_E10value_typeET4_jRbjT5_S1E_jjP12ihipStream_tbEUljE_ZNSN_ISO_Lb0ESQ_SR_ST_SU_SY_EESZ_S10_S11_S12_S16_S17_S18_S1B_S1C_jS1D_jS1E_S1E_jjS1G_bEUljE0_EEESZ_S10_S11_S18_S1C_S1E_T6_T7_T9_mT8_S1G_bDpT10_ENKUlT_T0_E_clISt17integral_constantIbLb0EES1T_IbLb1EEEEDaS1P_S1Q_EUlS1P_E_NS1_11comp_targetILNS1_3genE10ELNS1_11target_archE1200ELNS1_3gpuE4ELNS1_3repE0EEENS1_30default_config_static_selectorELNS0_4arch9wavefront6targetE1EEEvS12_ ; -- Begin function _ZN7rocprim17ROCPRIM_400000_NS6detail17trampoline_kernelINS0_13select_configILj256ELj13ELNS0_17block_load_methodE3ELS4_3ELS4_3ELNS0_20block_scan_algorithmE0ELj4294967295EEENS1_25partition_config_selectorILNS1_17partition_subalgoE4EjNS0_10empty_typeEbEEZZNS1_14partition_implILS8_4ELb0ES6_15HIP_vector_typeIjLj2EENS0_17counting_iteratorIjlEEPS9_SG_NS0_5tupleIJPjSI_NS0_16reverse_iteratorISI_EEEEENSH_IJSG_SG_SG_EEES9_SI_JZNS1_25segmented_radix_sort_implINS0_14default_configELb0EPKsPsPKlPlN2at6native12_GLOBAL__N_18offset_tEEE10hipError_tPvRmT1_PNSt15iterator_traitsIS12_E10value_typeET2_T3_PNS13_IS18_E10value_typeET4_jRbjT5_S1E_jjP12ihipStream_tbEUljE_ZNSN_ISO_Lb0ESQ_SR_ST_SU_SY_EESZ_S10_S11_S12_S16_S17_S18_S1B_S1C_jS1D_jS1E_S1E_jjS1G_bEUljE0_EEESZ_S10_S11_S18_S1C_S1E_T6_T7_T9_mT8_S1G_bDpT10_ENKUlT_T0_E_clISt17integral_constantIbLb0EES1T_IbLb1EEEEDaS1P_S1Q_EUlS1P_E_NS1_11comp_targetILNS1_3genE10ELNS1_11target_archE1200ELNS1_3gpuE4ELNS1_3repE0EEENS1_30default_config_static_selectorELNS0_4arch9wavefront6targetE1EEEvS12_
	.p2align	8
	.type	_ZN7rocprim17ROCPRIM_400000_NS6detail17trampoline_kernelINS0_13select_configILj256ELj13ELNS0_17block_load_methodE3ELS4_3ELS4_3ELNS0_20block_scan_algorithmE0ELj4294967295EEENS1_25partition_config_selectorILNS1_17partition_subalgoE4EjNS0_10empty_typeEbEEZZNS1_14partition_implILS8_4ELb0ES6_15HIP_vector_typeIjLj2EENS0_17counting_iteratorIjlEEPS9_SG_NS0_5tupleIJPjSI_NS0_16reverse_iteratorISI_EEEEENSH_IJSG_SG_SG_EEES9_SI_JZNS1_25segmented_radix_sort_implINS0_14default_configELb0EPKsPsPKlPlN2at6native12_GLOBAL__N_18offset_tEEE10hipError_tPvRmT1_PNSt15iterator_traitsIS12_E10value_typeET2_T3_PNS13_IS18_E10value_typeET4_jRbjT5_S1E_jjP12ihipStream_tbEUljE_ZNSN_ISO_Lb0ESQ_SR_ST_SU_SY_EESZ_S10_S11_S12_S16_S17_S18_S1B_S1C_jS1D_jS1E_S1E_jjS1G_bEUljE0_EEESZ_S10_S11_S18_S1C_S1E_T6_T7_T9_mT8_S1G_bDpT10_ENKUlT_T0_E_clISt17integral_constantIbLb0EES1T_IbLb1EEEEDaS1P_S1Q_EUlS1P_E_NS1_11comp_targetILNS1_3genE10ELNS1_11target_archE1200ELNS1_3gpuE4ELNS1_3repE0EEENS1_30default_config_static_selectorELNS0_4arch9wavefront6targetE1EEEvS12_,@function
_ZN7rocprim17ROCPRIM_400000_NS6detail17trampoline_kernelINS0_13select_configILj256ELj13ELNS0_17block_load_methodE3ELS4_3ELS4_3ELNS0_20block_scan_algorithmE0ELj4294967295EEENS1_25partition_config_selectorILNS1_17partition_subalgoE4EjNS0_10empty_typeEbEEZZNS1_14partition_implILS8_4ELb0ES6_15HIP_vector_typeIjLj2EENS0_17counting_iteratorIjlEEPS9_SG_NS0_5tupleIJPjSI_NS0_16reverse_iteratorISI_EEEEENSH_IJSG_SG_SG_EEES9_SI_JZNS1_25segmented_radix_sort_implINS0_14default_configELb0EPKsPsPKlPlN2at6native12_GLOBAL__N_18offset_tEEE10hipError_tPvRmT1_PNSt15iterator_traitsIS12_E10value_typeET2_T3_PNS13_IS18_E10value_typeET4_jRbjT5_S1E_jjP12ihipStream_tbEUljE_ZNSN_ISO_Lb0ESQ_SR_ST_SU_SY_EESZ_S10_S11_S12_S16_S17_S18_S1B_S1C_jS1D_jS1E_S1E_jjS1G_bEUljE0_EEESZ_S10_S11_S18_S1C_S1E_T6_T7_T9_mT8_S1G_bDpT10_ENKUlT_T0_E_clISt17integral_constantIbLb0EES1T_IbLb1EEEEDaS1P_S1Q_EUlS1P_E_NS1_11comp_targetILNS1_3genE10ELNS1_11target_archE1200ELNS1_3gpuE4ELNS1_3repE0EEENS1_30default_config_static_selectorELNS0_4arch9wavefront6targetE1EEEvS12_: ; @_ZN7rocprim17ROCPRIM_400000_NS6detail17trampoline_kernelINS0_13select_configILj256ELj13ELNS0_17block_load_methodE3ELS4_3ELS4_3ELNS0_20block_scan_algorithmE0ELj4294967295EEENS1_25partition_config_selectorILNS1_17partition_subalgoE4EjNS0_10empty_typeEbEEZZNS1_14partition_implILS8_4ELb0ES6_15HIP_vector_typeIjLj2EENS0_17counting_iteratorIjlEEPS9_SG_NS0_5tupleIJPjSI_NS0_16reverse_iteratorISI_EEEEENSH_IJSG_SG_SG_EEES9_SI_JZNS1_25segmented_radix_sort_implINS0_14default_configELb0EPKsPsPKlPlN2at6native12_GLOBAL__N_18offset_tEEE10hipError_tPvRmT1_PNSt15iterator_traitsIS12_E10value_typeET2_T3_PNS13_IS18_E10value_typeET4_jRbjT5_S1E_jjP12ihipStream_tbEUljE_ZNSN_ISO_Lb0ESQ_SR_ST_SU_SY_EESZ_S10_S11_S12_S16_S17_S18_S1B_S1C_jS1D_jS1E_S1E_jjS1G_bEUljE0_EEESZ_S10_S11_S18_S1C_S1E_T6_T7_T9_mT8_S1G_bDpT10_ENKUlT_T0_E_clISt17integral_constantIbLb0EES1T_IbLb1EEEEDaS1P_S1Q_EUlS1P_E_NS1_11comp_targetILNS1_3genE10ELNS1_11target_archE1200ELNS1_3gpuE4ELNS1_3repE0EEENS1_30default_config_static_selectorELNS0_4arch9wavefront6targetE1EEEvS12_
; %bb.0:
	.section	.rodata,"a",@progbits
	.p2align	6, 0x0
	.amdhsa_kernel _ZN7rocprim17ROCPRIM_400000_NS6detail17trampoline_kernelINS0_13select_configILj256ELj13ELNS0_17block_load_methodE3ELS4_3ELS4_3ELNS0_20block_scan_algorithmE0ELj4294967295EEENS1_25partition_config_selectorILNS1_17partition_subalgoE4EjNS0_10empty_typeEbEEZZNS1_14partition_implILS8_4ELb0ES6_15HIP_vector_typeIjLj2EENS0_17counting_iteratorIjlEEPS9_SG_NS0_5tupleIJPjSI_NS0_16reverse_iteratorISI_EEEEENSH_IJSG_SG_SG_EEES9_SI_JZNS1_25segmented_radix_sort_implINS0_14default_configELb0EPKsPsPKlPlN2at6native12_GLOBAL__N_18offset_tEEE10hipError_tPvRmT1_PNSt15iterator_traitsIS12_E10value_typeET2_T3_PNS13_IS18_E10value_typeET4_jRbjT5_S1E_jjP12ihipStream_tbEUljE_ZNSN_ISO_Lb0ESQ_SR_ST_SU_SY_EESZ_S10_S11_S12_S16_S17_S18_S1B_S1C_jS1D_jS1E_S1E_jjS1G_bEUljE0_EEESZ_S10_S11_S18_S1C_S1E_T6_T7_T9_mT8_S1G_bDpT10_ENKUlT_T0_E_clISt17integral_constantIbLb0EES1T_IbLb1EEEEDaS1P_S1Q_EUlS1P_E_NS1_11comp_targetILNS1_3genE10ELNS1_11target_archE1200ELNS1_3gpuE4ELNS1_3repE0EEENS1_30default_config_static_selectorELNS0_4arch9wavefront6targetE1EEEvS12_
		.amdhsa_group_segment_fixed_size 0
		.amdhsa_private_segment_fixed_size 0
		.amdhsa_kernarg_size 184
		.amdhsa_user_sgpr_count 6
		.amdhsa_user_sgpr_private_segment_buffer 1
		.amdhsa_user_sgpr_dispatch_ptr 0
		.amdhsa_user_sgpr_queue_ptr 0
		.amdhsa_user_sgpr_kernarg_segment_ptr 1
		.amdhsa_user_sgpr_dispatch_id 0
		.amdhsa_user_sgpr_flat_scratch_init 0
		.amdhsa_user_sgpr_private_segment_size 0
		.amdhsa_uses_dynamic_stack 0
		.amdhsa_system_sgpr_private_segment_wavefront_offset 0
		.amdhsa_system_sgpr_workgroup_id_x 1
		.amdhsa_system_sgpr_workgroup_id_y 0
		.amdhsa_system_sgpr_workgroup_id_z 0
		.amdhsa_system_sgpr_workgroup_info 0
		.amdhsa_system_vgpr_workitem_id 0
		.amdhsa_next_free_vgpr 1
		.amdhsa_next_free_sgpr 0
		.amdhsa_reserve_vcc 0
		.amdhsa_reserve_flat_scratch 0
		.amdhsa_float_round_mode_32 0
		.amdhsa_float_round_mode_16_64 0
		.amdhsa_float_denorm_mode_32 3
		.amdhsa_float_denorm_mode_16_64 3
		.amdhsa_dx10_clamp 1
		.amdhsa_ieee_mode 1
		.amdhsa_fp16_overflow 0
		.amdhsa_exception_fp_ieee_invalid_op 0
		.amdhsa_exception_fp_denorm_src 0
		.amdhsa_exception_fp_ieee_div_zero 0
		.amdhsa_exception_fp_ieee_overflow 0
		.amdhsa_exception_fp_ieee_underflow 0
		.amdhsa_exception_fp_ieee_inexact 0
		.amdhsa_exception_int_div_zero 0
	.end_amdhsa_kernel
	.section	.text._ZN7rocprim17ROCPRIM_400000_NS6detail17trampoline_kernelINS0_13select_configILj256ELj13ELNS0_17block_load_methodE3ELS4_3ELS4_3ELNS0_20block_scan_algorithmE0ELj4294967295EEENS1_25partition_config_selectorILNS1_17partition_subalgoE4EjNS0_10empty_typeEbEEZZNS1_14partition_implILS8_4ELb0ES6_15HIP_vector_typeIjLj2EENS0_17counting_iteratorIjlEEPS9_SG_NS0_5tupleIJPjSI_NS0_16reverse_iteratorISI_EEEEENSH_IJSG_SG_SG_EEES9_SI_JZNS1_25segmented_radix_sort_implINS0_14default_configELb0EPKsPsPKlPlN2at6native12_GLOBAL__N_18offset_tEEE10hipError_tPvRmT1_PNSt15iterator_traitsIS12_E10value_typeET2_T3_PNS13_IS18_E10value_typeET4_jRbjT5_S1E_jjP12ihipStream_tbEUljE_ZNSN_ISO_Lb0ESQ_SR_ST_SU_SY_EESZ_S10_S11_S12_S16_S17_S18_S1B_S1C_jS1D_jS1E_S1E_jjS1G_bEUljE0_EEESZ_S10_S11_S18_S1C_S1E_T6_T7_T9_mT8_S1G_bDpT10_ENKUlT_T0_E_clISt17integral_constantIbLb0EES1T_IbLb1EEEEDaS1P_S1Q_EUlS1P_E_NS1_11comp_targetILNS1_3genE10ELNS1_11target_archE1200ELNS1_3gpuE4ELNS1_3repE0EEENS1_30default_config_static_selectorELNS0_4arch9wavefront6targetE1EEEvS12_,"axG",@progbits,_ZN7rocprim17ROCPRIM_400000_NS6detail17trampoline_kernelINS0_13select_configILj256ELj13ELNS0_17block_load_methodE3ELS4_3ELS4_3ELNS0_20block_scan_algorithmE0ELj4294967295EEENS1_25partition_config_selectorILNS1_17partition_subalgoE4EjNS0_10empty_typeEbEEZZNS1_14partition_implILS8_4ELb0ES6_15HIP_vector_typeIjLj2EENS0_17counting_iteratorIjlEEPS9_SG_NS0_5tupleIJPjSI_NS0_16reverse_iteratorISI_EEEEENSH_IJSG_SG_SG_EEES9_SI_JZNS1_25segmented_radix_sort_implINS0_14default_configELb0EPKsPsPKlPlN2at6native12_GLOBAL__N_18offset_tEEE10hipError_tPvRmT1_PNSt15iterator_traitsIS12_E10value_typeET2_T3_PNS13_IS18_E10value_typeET4_jRbjT5_S1E_jjP12ihipStream_tbEUljE_ZNSN_ISO_Lb0ESQ_SR_ST_SU_SY_EESZ_S10_S11_S12_S16_S17_S18_S1B_S1C_jS1D_jS1E_S1E_jjS1G_bEUljE0_EEESZ_S10_S11_S18_S1C_S1E_T6_T7_T9_mT8_S1G_bDpT10_ENKUlT_T0_E_clISt17integral_constantIbLb0EES1T_IbLb1EEEEDaS1P_S1Q_EUlS1P_E_NS1_11comp_targetILNS1_3genE10ELNS1_11target_archE1200ELNS1_3gpuE4ELNS1_3repE0EEENS1_30default_config_static_selectorELNS0_4arch9wavefront6targetE1EEEvS12_,comdat
.Lfunc_end979:
	.size	_ZN7rocprim17ROCPRIM_400000_NS6detail17trampoline_kernelINS0_13select_configILj256ELj13ELNS0_17block_load_methodE3ELS4_3ELS4_3ELNS0_20block_scan_algorithmE0ELj4294967295EEENS1_25partition_config_selectorILNS1_17partition_subalgoE4EjNS0_10empty_typeEbEEZZNS1_14partition_implILS8_4ELb0ES6_15HIP_vector_typeIjLj2EENS0_17counting_iteratorIjlEEPS9_SG_NS0_5tupleIJPjSI_NS0_16reverse_iteratorISI_EEEEENSH_IJSG_SG_SG_EEES9_SI_JZNS1_25segmented_radix_sort_implINS0_14default_configELb0EPKsPsPKlPlN2at6native12_GLOBAL__N_18offset_tEEE10hipError_tPvRmT1_PNSt15iterator_traitsIS12_E10value_typeET2_T3_PNS13_IS18_E10value_typeET4_jRbjT5_S1E_jjP12ihipStream_tbEUljE_ZNSN_ISO_Lb0ESQ_SR_ST_SU_SY_EESZ_S10_S11_S12_S16_S17_S18_S1B_S1C_jS1D_jS1E_S1E_jjS1G_bEUljE0_EEESZ_S10_S11_S18_S1C_S1E_T6_T7_T9_mT8_S1G_bDpT10_ENKUlT_T0_E_clISt17integral_constantIbLb0EES1T_IbLb1EEEEDaS1P_S1Q_EUlS1P_E_NS1_11comp_targetILNS1_3genE10ELNS1_11target_archE1200ELNS1_3gpuE4ELNS1_3repE0EEENS1_30default_config_static_selectorELNS0_4arch9wavefront6targetE1EEEvS12_, .Lfunc_end979-_ZN7rocprim17ROCPRIM_400000_NS6detail17trampoline_kernelINS0_13select_configILj256ELj13ELNS0_17block_load_methodE3ELS4_3ELS4_3ELNS0_20block_scan_algorithmE0ELj4294967295EEENS1_25partition_config_selectorILNS1_17partition_subalgoE4EjNS0_10empty_typeEbEEZZNS1_14partition_implILS8_4ELb0ES6_15HIP_vector_typeIjLj2EENS0_17counting_iteratorIjlEEPS9_SG_NS0_5tupleIJPjSI_NS0_16reverse_iteratorISI_EEEEENSH_IJSG_SG_SG_EEES9_SI_JZNS1_25segmented_radix_sort_implINS0_14default_configELb0EPKsPsPKlPlN2at6native12_GLOBAL__N_18offset_tEEE10hipError_tPvRmT1_PNSt15iterator_traitsIS12_E10value_typeET2_T3_PNS13_IS18_E10value_typeET4_jRbjT5_S1E_jjP12ihipStream_tbEUljE_ZNSN_ISO_Lb0ESQ_SR_ST_SU_SY_EESZ_S10_S11_S12_S16_S17_S18_S1B_S1C_jS1D_jS1E_S1E_jjS1G_bEUljE0_EEESZ_S10_S11_S18_S1C_S1E_T6_T7_T9_mT8_S1G_bDpT10_ENKUlT_T0_E_clISt17integral_constantIbLb0EES1T_IbLb1EEEEDaS1P_S1Q_EUlS1P_E_NS1_11comp_targetILNS1_3genE10ELNS1_11target_archE1200ELNS1_3gpuE4ELNS1_3repE0EEENS1_30default_config_static_selectorELNS0_4arch9wavefront6targetE1EEEvS12_
                                        ; -- End function
	.set _ZN7rocprim17ROCPRIM_400000_NS6detail17trampoline_kernelINS0_13select_configILj256ELj13ELNS0_17block_load_methodE3ELS4_3ELS4_3ELNS0_20block_scan_algorithmE0ELj4294967295EEENS1_25partition_config_selectorILNS1_17partition_subalgoE4EjNS0_10empty_typeEbEEZZNS1_14partition_implILS8_4ELb0ES6_15HIP_vector_typeIjLj2EENS0_17counting_iteratorIjlEEPS9_SG_NS0_5tupleIJPjSI_NS0_16reverse_iteratorISI_EEEEENSH_IJSG_SG_SG_EEES9_SI_JZNS1_25segmented_radix_sort_implINS0_14default_configELb0EPKsPsPKlPlN2at6native12_GLOBAL__N_18offset_tEEE10hipError_tPvRmT1_PNSt15iterator_traitsIS12_E10value_typeET2_T3_PNS13_IS18_E10value_typeET4_jRbjT5_S1E_jjP12ihipStream_tbEUljE_ZNSN_ISO_Lb0ESQ_SR_ST_SU_SY_EESZ_S10_S11_S12_S16_S17_S18_S1B_S1C_jS1D_jS1E_S1E_jjS1G_bEUljE0_EEESZ_S10_S11_S18_S1C_S1E_T6_T7_T9_mT8_S1G_bDpT10_ENKUlT_T0_E_clISt17integral_constantIbLb0EES1T_IbLb1EEEEDaS1P_S1Q_EUlS1P_E_NS1_11comp_targetILNS1_3genE10ELNS1_11target_archE1200ELNS1_3gpuE4ELNS1_3repE0EEENS1_30default_config_static_selectorELNS0_4arch9wavefront6targetE1EEEvS12_.num_vgpr, 0
	.set _ZN7rocprim17ROCPRIM_400000_NS6detail17trampoline_kernelINS0_13select_configILj256ELj13ELNS0_17block_load_methodE3ELS4_3ELS4_3ELNS0_20block_scan_algorithmE0ELj4294967295EEENS1_25partition_config_selectorILNS1_17partition_subalgoE4EjNS0_10empty_typeEbEEZZNS1_14partition_implILS8_4ELb0ES6_15HIP_vector_typeIjLj2EENS0_17counting_iteratorIjlEEPS9_SG_NS0_5tupleIJPjSI_NS0_16reverse_iteratorISI_EEEEENSH_IJSG_SG_SG_EEES9_SI_JZNS1_25segmented_radix_sort_implINS0_14default_configELb0EPKsPsPKlPlN2at6native12_GLOBAL__N_18offset_tEEE10hipError_tPvRmT1_PNSt15iterator_traitsIS12_E10value_typeET2_T3_PNS13_IS18_E10value_typeET4_jRbjT5_S1E_jjP12ihipStream_tbEUljE_ZNSN_ISO_Lb0ESQ_SR_ST_SU_SY_EESZ_S10_S11_S12_S16_S17_S18_S1B_S1C_jS1D_jS1E_S1E_jjS1G_bEUljE0_EEESZ_S10_S11_S18_S1C_S1E_T6_T7_T9_mT8_S1G_bDpT10_ENKUlT_T0_E_clISt17integral_constantIbLb0EES1T_IbLb1EEEEDaS1P_S1Q_EUlS1P_E_NS1_11comp_targetILNS1_3genE10ELNS1_11target_archE1200ELNS1_3gpuE4ELNS1_3repE0EEENS1_30default_config_static_selectorELNS0_4arch9wavefront6targetE1EEEvS12_.num_agpr, 0
	.set _ZN7rocprim17ROCPRIM_400000_NS6detail17trampoline_kernelINS0_13select_configILj256ELj13ELNS0_17block_load_methodE3ELS4_3ELS4_3ELNS0_20block_scan_algorithmE0ELj4294967295EEENS1_25partition_config_selectorILNS1_17partition_subalgoE4EjNS0_10empty_typeEbEEZZNS1_14partition_implILS8_4ELb0ES6_15HIP_vector_typeIjLj2EENS0_17counting_iteratorIjlEEPS9_SG_NS0_5tupleIJPjSI_NS0_16reverse_iteratorISI_EEEEENSH_IJSG_SG_SG_EEES9_SI_JZNS1_25segmented_radix_sort_implINS0_14default_configELb0EPKsPsPKlPlN2at6native12_GLOBAL__N_18offset_tEEE10hipError_tPvRmT1_PNSt15iterator_traitsIS12_E10value_typeET2_T3_PNS13_IS18_E10value_typeET4_jRbjT5_S1E_jjP12ihipStream_tbEUljE_ZNSN_ISO_Lb0ESQ_SR_ST_SU_SY_EESZ_S10_S11_S12_S16_S17_S18_S1B_S1C_jS1D_jS1E_S1E_jjS1G_bEUljE0_EEESZ_S10_S11_S18_S1C_S1E_T6_T7_T9_mT8_S1G_bDpT10_ENKUlT_T0_E_clISt17integral_constantIbLb0EES1T_IbLb1EEEEDaS1P_S1Q_EUlS1P_E_NS1_11comp_targetILNS1_3genE10ELNS1_11target_archE1200ELNS1_3gpuE4ELNS1_3repE0EEENS1_30default_config_static_selectorELNS0_4arch9wavefront6targetE1EEEvS12_.numbered_sgpr, 0
	.set _ZN7rocprim17ROCPRIM_400000_NS6detail17trampoline_kernelINS0_13select_configILj256ELj13ELNS0_17block_load_methodE3ELS4_3ELS4_3ELNS0_20block_scan_algorithmE0ELj4294967295EEENS1_25partition_config_selectorILNS1_17partition_subalgoE4EjNS0_10empty_typeEbEEZZNS1_14partition_implILS8_4ELb0ES6_15HIP_vector_typeIjLj2EENS0_17counting_iteratorIjlEEPS9_SG_NS0_5tupleIJPjSI_NS0_16reverse_iteratorISI_EEEEENSH_IJSG_SG_SG_EEES9_SI_JZNS1_25segmented_radix_sort_implINS0_14default_configELb0EPKsPsPKlPlN2at6native12_GLOBAL__N_18offset_tEEE10hipError_tPvRmT1_PNSt15iterator_traitsIS12_E10value_typeET2_T3_PNS13_IS18_E10value_typeET4_jRbjT5_S1E_jjP12ihipStream_tbEUljE_ZNSN_ISO_Lb0ESQ_SR_ST_SU_SY_EESZ_S10_S11_S12_S16_S17_S18_S1B_S1C_jS1D_jS1E_S1E_jjS1G_bEUljE0_EEESZ_S10_S11_S18_S1C_S1E_T6_T7_T9_mT8_S1G_bDpT10_ENKUlT_T0_E_clISt17integral_constantIbLb0EES1T_IbLb1EEEEDaS1P_S1Q_EUlS1P_E_NS1_11comp_targetILNS1_3genE10ELNS1_11target_archE1200ELNS1_3gpuE4ELNS1_3repE0EEENS1_30default_config_static_selectorELNS0_4arch9wavefront6targetE1EEEvS12_.num_named_barrier, 0
	.set _ZN7rocprim17ROCPRIM_400000_NS6detail17trampoline_kernelINS0_13select_configILj256ELj13ELNS0_17block_load_methodE3ELS4_3ELS4_3ELNS0_20block_scan_algorithmE0ELj4294967295EEENS1_25partition_config_selectorILNS1_17partition_subalgoE4EjNS0_10empty_typeEbEEZZNS1_14partition_implILS8_4ELb0ES6_15HIP_vector_typeIjLj2EENS0_17counting_iteratorIjlEEPS9_SG_NS0_5tupleIJPjSI_NS0_16reverse_iteratorISI_EEEEENSH_IJSG_SG_SG_EEES9_SI_JZNS1_25segmented_radix_sort_implINS0_14default_configELb0EPKsPsPKlPlN2at6native12_GLOBAL__N_18offset_tEEE10hipError_tPvRmT1_PNSt15iterator_traitsIS12_E10value_typeET2_T3_PNS13_IS18_E10value_typeET4_jRbjT5_S1E_jjP12ihipStream_tbEUljE_ZNSN_ISO_Lb0ESQ_SR_ST_SU_SY_EESZ_S10_S11_S12_S16_S17_S18_S1B_S1C_jS1D_jS1E_S1E_jjS1G_bEUljE0_EEESZ_S10_S11_S18_S1C_S1E_T6_T7_T9_mT8_S1G_bDpT10_ENKUlT_T0_E_clISt17integral_constantIbLb0EES1T_IbLb1EEEEDaS1P_S1Q_EUlS1P_E_NS1_11comp_targetILNS1_3genE10ELNS1_11target_archE1200ELNS1_3gpuE4ELNS1_3repE0EEENS1_30default_config_static_selectorELNS0_4arch9wavefront6targetE1EEEvS12_.private_seg_size, 0
	.set _ZN7rocprim17ROCPRIM_400000_NS6detail17trampoline_kernelINS0_13select_configILj256ELj13ELNS0_17block_load_methodE3ELS4_3ELS4_3ELNS0_20block_scan_algorithmE0ELj4294967295EEENS1_25partition_config_selectorILNS1_17partition_subalgoE4EjNS0_10empty_typeEbEEZZNS1_14partition_implILS8_4ELb0ES6_15HIP_vector_typeIjLj2EENS0_17counting_iteratorIjlEEPS9_SG_NS0_5tupleIJPjSI_NS0_16reverse_iteratorISI_EEEEENSH_IJSG_SG_SG_EEES9_SI_JZNS1_25segmented_radix_sort_implINS0_14default_configELb0EPKsPsPKlPlN2at6native12_GLOBAL__N_18offset_tEEE10hipError_tPvRmT1_PNSt15iterator_traitsIS12_E10value_typeET2_T3_PNS13_IS18_E10value_typeET4_jRbjT5_S1E_jjP12ihipStream_tbEUljE_ZNSN_ISO_Lb0ESQ_SR_ST_SU_SY_EESZ_S10_S11_S12_S16_S17_S18_S1B_S1C_jS1D_jS1E_S1E_jjS1G_bEUljE0_EEESZ_S10_S11_S18_S1C_S1E_T6_T7_T9_mT8_S1G_bDpT10_ENKUlT_T0_E_clISt17integral_constantIbLb0EES1T_IbLb1EEEEDaS1P_S1Q_EUlS1P_E_NS1_11comp_targetILNS1_3genE10ELNS1_11target_archE1200ELNS1_3gpuE4ELNS1_3repE0EEENS1_30default_config_static_selectorELNS0_4arch9wavefront6targetE1EEEvS12_.uses_vcc, 0
	.set _ZN7rocprim17ROCPRIM_400000_NS6detail17trampoline_kernelINS0_13select_configILj256ELj13ELNS0_17block_load_methodE3ELS4_3ELS4_3ELNS0_20block_scan_algorithmE0ELj4294967295EEENS1_25partition_config_selectorILNS1_17partition_subalgoE4EjNS0_10empty_typeEbEEZZNS1_14partition_implILS8_4ELb0ES6_15HIP_vector_typeIjLj2EENS0_17counting_iteratorIjlEEPS9_SG_NS0_5tupleIJPjSI_NS0_16reverse_iteratorISI_EEEEENSH_IJSG_SG_SG_EEES9_SI_JZNS1_25segmented_radix_sort_implINS0_14default_configELb0EPKsPsPKlPlN2at6native12_GLOBAL__N_18offset_tEEE10hipError_tPvRmT1_PNSt15iterator_traitsIS12_E10value_typeET2_T3_PNS13_IS18_E10value_typeET4_jRbjT5_S1E_jjP12ihipStream_tbEUljE_ZNSN_ISO_Lb0ESQ_SR_ST_SU_SY_EESZ_S10_S11_S12_S16_S17_S18_S1B_S1C_jS1D_jS1E_S1E_jjS1G_bEUljE0_EEESZ_S10_S11_S18_S1C_S1E_T6_T7_T9_mT8_S1G_bDpT10_ENKUlT_T0_E_clISt17integral_constantIbLb0EES1T_IbLb1EEEEDaS1P_S1Q_EUlS1P_E_NS1_11comp_targetILNS1_3genE10ELNS1_11target_archE1200ELNS1_3gpuE4ELNS1_3repE0EEENS1_30default_config_static_selectorELNS0_4arch9wavefront6targetE1EEEvS12_.uses_flat_scratch, 0
	.set _ZN7rocprim17ROCPRIM_400000_NS6detail17trampoline_kernelINS0_13select_configILj256ELj13ELNS0_17block_load_methodE3ELS4_3ELS4_3ELNS0_20block_scan_algorithmE0ELj4294967295EEENS1_25partition_config_selectorILNS1_17partition_subalgoE4EjNS0_10empty_typeEbEEZZNS1_14partition_implILS8_4ELb0ES6_15HIP_vector_typeIjLj2EENS0_17counting_iteratorIjlEEPS9_SG_NS0_5tupleIJPjSI_NS0_16reverse_iteratorISI_EEEEENSH_IJSG_SG_SG_EEES9_SI_JZNS1_25segmented_radix_sort_implINS0_14default_configELb0EPKsPsPKlPlN2at6native12_GLOBAL__N_18offset_tEEE10hipError_tPvRmT1_PNSt15iterator_traitsIS12_E10value_typeET2_T3_PNS13_IS18_E10value_typeET4_jRbjT5_S1E_jjP12ihipStream_tbEUljE_ZNSN_ISO_Lb0ESQ_SR_ST_SU_SY_EESZ_S10_S11_S12_S16_S17_S18_S1B_S1C_jS1D_jS1E_S1E_jjS1G_bEUljE0_EEESZ_S10_S11_S18_S1C_S1E_T6_T7_T9_mT8_S1G_bDpT10_ENKUlT_T0_E_clISt17integral_constantIbLb0EES1T_IbLb1EEEEDaS1P_S1Q_EUlS1P_E_NS1_11comp_targetILNS1_3genE10ELNS1_11target_archE1200ELNS1_3gpuE4ELNS1_3repE0EEENS1_30default_config_static_selectorELNS0_4arch9wavefront6targetE1EEEvS12_.has_dyn_sized_stack, 0
	.set _ZN7rocprim17ROCPRIM_400000_NS6detail17trampoline_kernelINS0_13select_configILj256ELj13ELNS0_17block_load_methodE3ELS4_3ELS4_3ELNS0_20block_scan_algorithmE0ELj4294967295EEENS1_25partition_config_selectorILNS1_17partition_subalgoE4EjNS0_10empty_typeEbEEZZNS1_14partition_implILS8_4ELb0ES6_15HIP_vector_typeIjLj2EENS0_17counting_iteratorIjlEEPS9_SG_NS0_5tupleIJPjSI_NS0_16reverse_iteratorISI_EEEEENSH_IJSG_SG_SG_EEES9_SI_JZNS1_25segmented_radix_sort_implINS0_14default_configELb0EPKsPsPKlPlN2at6native12_GLOBAL__N_18offset_tEEE10hipError_tPvRmT1_PNSt15iterator_traitsIS12_E10value_typeET2_T3_PNS13_IS18_E10value_typeET4_jRbjT5_S1E_jjP12ihipStream_tbEUljE_ZNSN_ISO_Lb0ESQ_SR_ST_SU_SY_EESZ_S10_S11_S12_S16_S17_S18_S1B_S1C_jS1D_jS1E_S1E_jjS1G_bEUljE0_EEESZ_S10_S11_S18_S1C_S1E_T6_T7_T9_mT8_S1G_bDpT10_ENKUlT_T0_E_clISt17integral_constantIbLb0EES1T_IbLb1EEEEDaS1P_S1Q_EUlS1P_E_NS1_11comp_targetILNS1_3genE10ELNS1_11target_archE1200ELNS1_3gpuE4ELNS1_3repE0EEENS1_30default_config_static_selectorELNS0_4arch9wavefront6targetE1EEEvS12_.has_recursion, 0
	.set _ZN7rocprim17ROCPRIM_400000_NS6detail17trampoline_kernelINS0_13select_configILj256ELj13ELNS0_17block_load_methodE3ELS4_3ELS4_3ELNS0_20block_scan_algorithmE0ELj4294967295EEENS1_25partition_config_selectorILNS1_17partition_subalgoE4EjNS0_10empty_typeEbEEZZNS1_14partition_implILS8_4ELb0ES6_15HIP_vector_typeIjLj2EENS0_17counting_iteratorIjlEEPS9_SG_NS0_5tupleIJPjSI_NS0_16reverse_iteratorISI_EEEEENSH_IJSG_SG_SG_EEES9_SI_JZNS1_25segmented_radix_sort_implINS0_14default_configELb0EPKsPsPKlPlN2at6native12_GLOBAL__N_18offset_tEEE10hipError_tPvRmT1_PNSt15iterator_traitsIS12_E10value_typeET2_T3_PNS13_IS18_E10value_typeET4_jRbjT5_S1E_jjP12ihipStream_tbEUljE_ZNSN_ISO_Lb0ESQ_SR_ST_SU_SY_EESZ_S10_S11_S12_S16_S17_S18_S1B_S1C_jS1D_jS1E_S1E_jjS1G_bEUljE0_EEESZ_S10_S11_S18_S1C_S1E_T6_T7_T9_mT8_S1G_bDpT10_ENKUlT_T0_E_clISt17integral_constantIbLb0EES1T_IbLb1EEEEDaS1P_S1Q_EUlS1P_E_NS1_11comp_targetILNS1_3genE10ELNS1_11target_archE1200ELNS1_3gpuE4ELNS1_3repE0EEENS1_30default_config_static_selectorELNS0_4arch9wavefront6targetE1EEEvS12_.has_indirect_call, 0
	.section	.AMDGPU.csdata,"",@progbits
; Kernel info:
; codeLenInByte = 0
; TotalNumSgprs: 4
; NumVgprs: 0
; ScratchSize: 0
; MemoryBound: 0
; FloatMode: 240
; IeeeMode: 1
; LDSByteSize: 0 bytes/workgroup (compile time only)
; SGPRBlocks: 0
; VGPRBlocks: 0
; NumSGPRsForWavesPerEU: 4
; NumVGPRsForWavesPerEU: 1
; Occupancy: 10
; WaveLimiterHint : 0
; COMPUTE_PGM_RSRC2:SCRATCH_EN: 0
; COMPUTE_PGM_RSRC2:USER_SGPR: 6
; COMPUTE_PGM_RSRC2:TRAP_HANDLER: 0
; COMPUTE_PGM_RSRC2:TGID_X_EN: 1
; COMPUTE_PGM_RSRC2:TGID_Y_EN: 0
; COMPUTE_PGM_RSRC2:TGID_Z_EN: 0
; COMPUTE_PGM_RSRC2:TIDIG_COMP_CNT: 0
	.section	.text._ZN7rocprim17ROCPRIM_400000_NS6detail17trampoline_kernelINS0_13select_configILj256ELj13ELNS0_17block_load_methodE3ELS4_3ELS4_3ELNS0_20block_scan_algorithmE0ELj4294967295EEENS1_25partition_config_selectorILNS1_17partition_subalgoE4EjNS0_10empty_typeEbEEZZNS1_14partition_implILS8_4ELb0ES6_15HIP_vector_typeIjLj2EENS0_17counting_iteratorIjlEEPS9_SG_NS0_5tupleIJPjSI_NS0_16reverse_iteratorISI_EEEEENSH_IJSG_SG_SG_EEES9_SI_JZNS1_25segmented_radix_sort_implINS0_14default_configELb0EPKsPsPKlPlN2at6native12_GLOBAL__N_18offset_tEEE10hipError_tPvRmT1_PNSt15iterator_traitsIS12_E10value_typeET2_T3_PNS13_IS18_E10value_typeET4_jRbjT5_S1E_jjP12ihipStream_tbEUljE_ZNSN_ISO_Lb0ESQ_SR_ST_SU_SY_EESZ_S10_S11_S12_S16_S17_S18_S1B_S1C_jS1D_jS1E_S1E_jjS1G_bEUljE0_EEESZ_S10_S11_S18_S1C_S1E_T6_T7_T9_mT8_S1G_bDpT10_ENKUlT_T0_E_clISt17integral_constantIbLb0EES1T_IbLb1EEEEDaS1P_S1Q_EUlS1P_E_NS1_11comp_targetILNS1_3genE9ELNS1_11target_archE1100ELNS1_3gpuE3ELNS1_3repE0EEENS1_30default_config_static_selectorELNS0_4arch9wavefront6targetE1EEEvS12_,"axG",@progbits,_ZN7rocprim17ROCPRIM_400000_NS6detail17trampoline_kernelINS0_13select_configILj256ELj13ELNS0_17block_load_methodE3ELS4_3ELS4_3ELNS0_20block_scan_algorithmE0ELj4294967295EEENS1_25partition_config_selectorILNS1_17partition_subalgoE4EjNS0_10empty_typeEbEEZZNS1_14partition_implILS8_4ELb0ES6_15HIP_vector_typeIjLj2EENS0_17counting_iteratorIjlEEPS9_SG_NS0_5tupleIJPjSI_NS0_16reverse_iteratorISI_EEEEENSH_IJSG_SG_SG_EEES9_SI_JZNS1_25segmented_radix_sort_implINS0_14default_configELb0EPKsPsPKlPlN2at6native12_GLOBAL__N_18offset_tEEE10hipError_tPvRmT1_PNSt15iterator_traitsIS12_E10value_typeET2_T3_PNS13_IS18_E10value_typeET4_jRbjT5_S1E_jjP12ihipStream_tbEUljE_ZNSN_ISO_Lb0ESQ_SR_ST_SU_SY_EESZ_S10_S11_S12_S16_S17_S18_S1B_S1C_jS1D_jS1E_S1E_jjS1G_bEUljE0_EEESZ_S10_S11_S18_S1C_S1E_T6_T7_T9_mT8_S1G_bDpT10_ENKUlT_T0_E_clISt17integral_constantIbLb0EES1T_IbLb1EEEEDaS1P_S1Q_EUlS1P_E_NS1_11comp_targetILNS1_3genE9ELNS1_11target_archE1100ELNS1_3gpuE3ELNS1_3repE0EEENS1_30default_config_static_selectorELNS0_4arch9wavefront6targetE1EEEvS12_,comdat
	.globl	_ZN7rocprim17ROCPRIM_400000_NS6detail17trampoline_kernelINS0_13select_configILj256ELj13ELNS0_17block_load_methodE3ELS4_3ELS4_3ELNS0_20block_scan_algorithmE0ELj4294967295EEENS1_25partition_config_selectorILNS1_17partition_subalgoE4EjNS0_10empty_typeEbEEZZNS1_14partition_implILS8_4ELb0ES6_15HIP_vector_typeIjLj2EENS0_17counting_iteratorIjlEEPS9_SG_NS0_5tupleIJPjSI_NS0_16reverse_iteratorISI_EEEEENSH_IJSG_SG_SG_EEES9_SI_JZNS1_25segmented_radix_sort_implINS0_14default_configELb0EPKsPsPKlPlN2at6native12_GLOBAL__N_18offset_tEEE10hipError_tPvRmT1_PNSt15iterator_traitsIS12_E10value_typeET2_T3_PNS13_IS18_E10value_typeET4_jRbjT5_S1E_jjP12ihipStream_tbEUljE_ZNSN_ISO_Lb0ESQ_SR_ST_SU_SY_EESZ_S10_S11_S12_S16_S17_S18_S1B_S1C_jS1D_jS1E_S1E_jjS1G_bEUljE0_EEESZ_S10_S11_S18_S1C_S1E_T6_T7_T9_mT8_S1G_bDpT10_ENKUlT_T0_E_clISt17integral_constantIbLb0EES1T_IbLb1EEEEDaS1P_S1Q_EUlS1P_E_NS1_11comp_targetILNS1_3genE9ELNS1_11target_archE1100ELNS1_3gpuE3ELNS1_3repE0EEENS1_30default_config_static_selectorELNS0_4arch9wavefront6targetE1EEEvS12_ ; -- Begin function _ZN7rocprim17ROCPRIM_400000_NS6detail17trampoline_kernelINS0_13select_configILj256ELj13ELNS0_17block_load_methodE3ELS4_3ELS4_3ELNS0_20block_scan_algorithmE0ELj4294967295EEENS1_25partition_config_selectorILNS1_17partition_subalgoE4EjNS0_10empty_typeEbEEZZNS1_14partition_implILS8_4ELb0ES6_15HIP_vector_typeIjLj2EENS0_17counting_iteratorIjlEEPS9_SG_NS0_5tupleIJPjSI_NS0_16reverse_iteratorISI_EEEEENSH_IJSG_SG_SG_EEES9_SI_JZNS1_25segmented_radix_sort_implINS0_14default_configELb0EPKsPsPKlPlN2at6native12_GLOBAL__N_18offset_tEEE10hipError_tPvRmT1_PNSt15iterator_traitsIS12_E10value_typeET2_T3_PNS13_IS18_E10value_typeET4_jRbjT5_S1E_jjP12ihipStream_tbEUljE_ZNSN_ISO_Lb0ESQ_SR_ST_SU_SY_EESZ_S10_S11_S12_S16_S17_S18_S1B_S1C_jS1D_jS1E_S1E_jjS1G_bEUljE0_EEESZ_S10_S11_S18_S1C_S1E_T6_T7_T9_mT8_S1G_bDpT10_ENKUlT_T0_E_clISt17integral_constantIbLb0EES1T_IbLb1EEEEDaS1P_S1Q_EUlS1P_E_NS1_11comp_targetILNS1_3genE9ELNS1_11target_archE1100ELNS1_3gpuE3ELNS1_3repE0EEENS1_30default_config_static_selectorELNS0_4arch9wavefront6targetE1EEEvS12_
	.p2align	8
	.type	_ZN7rocprim17ROCPRIM_400000_NS6detail17trampoline_kernelINS0_13select_configILj256ELj13ELNS0_17block_load_methodE3ELS4_3ELS4_3ELNS0_20block_scan_algorithmE0ELj4294967295EEENS1_25partition_config_selectorILNS1_17partition_subalgoE4EjNS0_10empty_typeEbEEZZNS1_14partition_implILS8_4ELb0ES6_15HIP_vector_typeIjLj2EENS0_17counting_iteratorIjlEEPS9_SG_NS0_5tupleIJPjSI_NS0_16reverse_iteratorISI_EEEEENSH_IJSG_SG_SG_EEES9_SI_JZNS1_25segmented_radix_sort_implINS0_14default_configELb0EPKsPsPKlPlN2at6native12_GLOBAL__N_18offset_tEEE10hipError_tPvRmT1_PNSt15iterator_traitsIS12_E10value_typeET2_T3_PNS13_IS18_E10value_typeET4_jRbjT5_S1E_jjP12ihipStream_tbEUljE_ZNSN_ISO_Lb0ESQ_SR_ST_SU_SY_EESZ_S10_S11_S12_S16_S17_S18_S1B_S1C_jS1D_jS1E_S1E_jjS1G_bEUljE0_EEESZ_S10_S11_S18_S1C_S1E_T6_T7_T9_mT8_S1G_bDpT10_ENKUlT_T0_E_clISt17integral_constantIbLb0EES1T_IbLb1EEEEDaS1P_S1Q_EUlS1P_E_NS1_11comp_targetILNS1_3genE9ELNS1_11target_archE1100ELNS1_3gpuE3ELNS1_3repE0EEENS1_30default_config_static_selectorELNS0_4arch9wavefront6targetE1EEEvS12_,@function
_ZN7rocprim17ROCPRIM_400000_NS6detail17trampoline_kernelINS0_13select_configILj256ELj13ELNS0_17block_load_methodE3ELS4_3ELS4_3ELNS0_20block_scan_algorithmE0ELj4294967295EEENS1_25partition_config_selectorILNS1_17partition_subalgoE4EjNS0_10empty_typeEbEEZZNS1_14partition_implILS8_4ELb0ES6_15HIP_vector_typeIjLj2EENS0_17counting_iteratorIjlEEPS9_SG_NS0_5tupleIJPjSI_NS0_16reverse_iteratorISI_EEEEENSH_IJSG_SG_SG_EEES9_SI_JZNS1_25segmented_radix_sort_implINS0_14default_configELb0EPKsPsPKlPlN2at6native12_GLOBAL__N_18offset_tEEE10hipError_tPvRmT1_PNSt15iterator_traitsIS12_E10value_typeET2_T3_PNS13_IS18_E10value_typeET4_jRbjT5_S1E_jjP12ihipStream_tbEUljE_ZNSN_ISO_Lb0ESQ_SR_ST_SU_SY_EESZ_S10_S11_S12_S16_S17_S18_S1B_S1C_jS1D_jS1E_S1E_jjS1G_bEUljE0_EEESZ_S10_S11_S18_S1C_S1E_T6_T7_T9_mT8_S1G_bDpT10_ENKUlT_T0_E_clISt17integral_constantIbLb0EES1T_IbLb1EEEEDaS1P_S1Q_EUlS1P_E_NS1_11comp_targetILNS1_3genE9ELNS1_11target_archE1100ELNS1_3gpuE3ELNS1_3repE0EEENS1_30default_config_static_selectorELNS0_4arch9wavefront6targetE1EEEvS12_: ; @_ZN7rocprim17ROCPRIM_400000_NS6detail17trampoline_kernelINS0_13select_configILj256ELj13ELNS0_17block_load_methodE3ELS4_3ELS4_3ELNS0_20block_scan_algorithmE0ELj4294967295EEENS1_25partition_config_selectorILNS1_17partition_subalgoE4EjNS0_10empty_typeEbEEZZNS1_14partition_implILS8_4ELb0ES6_15HIP_vector_typeIjLj2EENS0_17counting_iteratorIjlEEPS9_SG_NS0_5tupleIJPjSI_NS0_16reverse_iteratorISI_EEEEENSH_IJSG_SG_SG_EEES9_SI_JZNS1_25segmented_radix_sort_implINS0_14default_configELb0EPKsPsPKlPlN2at6native12_GLOBAL__N_18offset_tEEE10hipError_tPvRmT1_PNSt15iterator_traitsIS12_E10value_typeET2_T3_PNS13_IS18_E10value_typeET4_jRbjT5_S1E_jjP12ihipStream_tbEUljE_ZNSN_ISO_Lb0ESQ_SR_ST_SU_SY_EESZ_S10_S11_S12_S16_S17_S18_S1B_S1C_jS1D_jS1E_S1E_jjS1G_bEUljE0_EEESZ_S10_S11_S18_S1C_S1E_T6_T7_T9_mT8_S1G_bDpT10_ENKUlT_T0_E_clISt17integral_constantIbLb0EES1T_IbLb1EEEEDaS1P_S1Q_EUlS1P_E_NS1_11comp_targetILNS1_3genE9ELNS1_11target_archE1100ELNS1_3gpuE3ELNS1_3repE0EEENS1_30default_config_static_selectorELNS0_4arch9wavefront6targetE1EEEvS12_
; %bb.0:
	.section	.rodata,"a",@progbits
	.p2align	6, 0x0
	.amdhsa_kernel _ZN7rocprim17ROCPRIM_400000_NS6detail17trampoline_kernelINS0_13select_configILj256ELj13ELNS0_17block_load_methodE3ELS4_3ELS4_3ELNS0_20block_scan_algorithmE0ELj4294967295EEENS1_25partition_config_selectorILNS1_17partition_subalgoE4EjNS0_10empty_typeEbEEZZNS1_14partition_implILS8_4ELb0ES6_15HIP_vector_typeIjLj2EENS0_17counting_iteratorIjlEEPS9_SG_NS0_5tupleIJPjSI_NS0_16reverse_iteratorISI_EEEEENSH_IJSG_SG_SG_EEES9_SI_JZNS1_25segmented_radix_sort_implINS0_14default_configELb0EPKsPsPKlPlN2at6native12_GLOBAL__N_18offset_tEEE10hipError_tPvRmT1_PNSt15iterator_traitsIS12_E10value_typeET2_T3_PNS13_IS18_E10value_typeET4_jRbjT5_S1E_jjP12ihipStream_tbEUljE_ZNSN_ISO_Lb0ESQ_SR_ST_SU_SY_EESZ_S10_S11_S12_S16_S17_S18_S1B_S1C_jS1D_jS1E_S1E_jjS1G_bEUljE0_EEESZ_S10_S11_S18_S1C_S1E_T6_T7_T9_mT8_S1G_bDpT10_ENKUlT_T0_E_clISt17integral_constantIbLb0EES1T_IbLb1EEEEDaS1P_S1Q_EUlS1P_E_NS1_11comp_targetILNS1_3genE9ELNS1_11target_archE1100ELNS1_3gpuE3ELNS1_3repE0EEENS1_30default_config_static_selectorELNS0_4arch9wavefront6targetE1EEEvS12_
		.amdhsa_group_segment_fixed_size 0
		.amdhsa_private_segment_fixed_size 0
		.amdhsa_kernarg_size 184
		.amdhsa_user_sgpr_count 6
		.amdhsa_user_sgpr_private_segment_buffer 1
		.amdhsa_user_sgpr_dispatch_ptr 0
		.amdhsa_user_sgpr_queue_ptr 0
		.amdhsa_user_sgpr_kernarg_segment_ptr 1
		.amdhsa_user_sgpr_dispatch_id 0
		.amdhsa_user_sgpr_flat_scratch_init 0
		.amdhsa_user_sgpr_private_segment_size 0
		.amdhsa_uses_dynamic_stack 0
		.amdhsa_system_sgpr_private_segment_wavefront_offset 0
		.amdhsa_system_sgpr_workgroup_id_x 1
		.amdhsa_system_sgpr_workgroup_id_y 0
		.amdhsa_system_sgpr_workgroup_id_z 0
		.amdhsa_system_sgpr_workgroup_info 0
		.amdhsa_system_vgpr_workitem_id 0
		.amdhsa_next_free_vgpr 1
		.amdhsa_next_free_sgpr 0
		.amdhsa_reserve_vcc 0
		.amdhsa_reserve_flat_scratch 0
		.amdhsa_float_round_mode_32 0
		.amdhsa_float_round_mode_16_64 0
		.amdhsa_float_denorm_mode_32 3
		.amdhsa_float_denorm_mode_16_64 3
		.amdhsa_dx10_clamp 1
		.amdhsa_ieee_mode 1
		.amdhsa_fp16_overflow 0
		.amdhsa_exception_fp_ieee_invalid_op 0
		.amdhsa_exception_fp_denorm_src 0
		.amdhsa_exception_fp_ieee_div_zero 0
		.amdhsa_exception_fp_ieee_overflow 0
		.amdhsa_exception_fp_ieee_underflow 0
		.amdhsa_exception_fp_ieee_inexact 0
		.amdhsa_exception_int_div_zero 0
	.end_amdhsa_kernel
	.section	.text._ZN7rocprim17ROCPRIM_400000_NS6detail17trampoline_kernelINS0_13select_configILj256ELj13ELNS0_17block_load_methodE3ELS4_3ELS4_3ELNS0_20block_scan_algorithmE0ELj4294967295EEENS1_25partition_config_selectorILNS1_17partition_subalgoE4EjNS0_10empty_typeEbEEZZNS1_14partition_implILS8_4ELb0ES6_15HIP_vector_typeIjLj2EENS0_17counting_iteratorIjlEEPS9_SG_NS0_5tupleIJPjSI_NS0_16reverse_iteratorISI_EEEEENSH_IJSG_SG_SG_EEES9_SI_JZNS1_25segmented_radix_sort_implINS0_14default_configELb0EPKsPsPKlPlN2at6native12_GLOBAL__N_18offset_tEEE10hipError_tPvRmT1_PNSt15iterator_traitsIS12_E10value_typeET2_T3_PNS13_IS18_E10value_typeET4_jRbjT5_S1E_jjP12ihipStream_tbEUljE_ZNSN_ISO_Lb0ESQ_SR_ST_SU_SY_EESZ_S10_S11_S12_S16_S17_S18_S1B_S1C_jS1D_jS1E_S1E_jjS1G_bEUljE0_EEESZ_S10_S11_S18_S1C_S1E_T6_T7_T9_mT8_S1G_bDpT10_ENKUlT_T0_E_clISt17integral_constantIbLb0EES1T_IbLb1EEEEDaS1P_S1Q_EUlS1P_E_NS1_11comp_targetILNS1_3genE9ELNS1_11target_archE1100ELNS1_3gpuE3ELNS1_3repE0EEENS1_30default_config_static_selectorELNS0_4arch9wavefront6targetE1EEEvS12_,"axG",@progbits,_ZN7rocprim17ROCPRIM_400000_NS6detail17trampoline_kernelINS0_13select_configILj256ELj13ELNS0_17block_load_methodE3ELS4_3ELS4_3ELNS0_20block_scan_algorithmE0ELj4294967295EEENS1_25partition_config_selectorILNS1_17partition_subalgoE4EjNS0_10empty_typeEbEEZZNS1_14partition_implILS8_4ELb0ES6_15HIP_vector_typeIjLj2EENS0_17counting_iteratorIjlEEPS9_SG_NS0_5tupleIJPjSI_NS0_16reverse_iteratorISI_EEEEENSH_IJSG_SG_SG_EEES9_SI_JZNS1_25segmented_radix_sort_implINS0_14default_configELb0EPKsPsPKlPlN2at6native12_GLOBAL__N_18offset_tEEE10hipError_tPvRmT1_PNSt15iterator_traitsIS12_E10value_typeET2_T3_PNS13_IS18_E10value_typeET4_jRbjT5_S1E_jjP12ihipStream_tbEUljE_ZNSN_ISO_Lb0ESQ_SR_ST_SU_SY_EESZ_S10_S11_S12_S16_S17_S18_S1B_S1C_jS1D_jS1E_S1E_jjS1G_bEUljE0_EEESZ_S10_S11_S18_S1C_S1E_T6_T7_T9_mT8_S1G_bDpT10_ENKUlT_T0_E_clISt17integral_constantIbLb0EES1T_IbLb1EEEEDaS1P_S1Q_EUlS1P_E_NS1_11comp_targetILNS1_3genE9ELNS1_11target_archE1100ELNS1_3gpuE3ELNS1_3repE0EEENS1_30default_config_static_selectorELNS0_4arch9wavefront6targetE1EEEvS12_,comdat
.Lfunc_end980:
	.size	_ZN7rocprim17ROCPRIM_400000_NS6detail17trampoline_kernelINS0_13select_configILj256ELj13ELNS0_17block_load_methodE3ELS4_3ELS4_3ELNS0_20block_scan_algorithmE0ELj4294967295EEENS1_25partition_config_selectorILNS1_17partition_subalgoE4EjNS0_10empty_typeEbEEZZNS1_14partition_implILS8_4ELb0ES6_15HIP_vector_typeIjLj2EENS0_17counting_iteratorIjlEEPS9_SG_NS0_5tupleIJPjSI_NS0_16reverse_iteratorISI_EEEEENSH_IJSG_SG_SG_EEES9_SI_JZNS1_25segmented_radix_sort_implINS0_14default_configELb0EPKsPsPKlPlN2at6native12_GLOBAL__N_18offset_tEEE10hipError_tPvRmT1_PNSt15iterator_traitsIS12_E10value_typeET2_T3_PNS13_IS18_E10value_typeET4_jRbjT5_S1E_jjP12ihipStream_tbEUljE_ZNSN_ISO_Lb0ESQ_SR_ST_SU_SY_EESZ_S10_S11_S12_S16_S17_S18_S1B_S1C_jS1D_jS1E_S1E_jjS1G_bEUljE0_EEESZ_S10_S11_S18_S1C_S1E_T6_T7_T9_mT8_S1G_bDpT10_ENKUlT_T0_E_clISt17integral_constantIbLb0EES1T_IbLb1EEEEDaS1P_S1Q_EUlS1P_E_NS1_11comp_targetILNS1_3genE9ELNS1_11target_archE1100ELNS1_3gpuE3ELNS1_3repE0EEENS1_30default_config_static_selectorELNS0_4arch9wavefront6targetE1EEEvS12_, .Lfunc_end980-_ZN7rocprim17ROCPRIM_400000_NS6detail17trampoline_kernelINS0_13select_configILj256ELj13ELNS0_17block_load_methodE3ELS4_3ELS4_3ELNS0_20block_scan_algorithmE0ELj4294967295EEENS1_25partition_config_selectorILNS1_17partition_subalgoE4EjNS0_10empty_typeEbEEZZNS1_14partition_implILS8_4ELb0ES6_15HIP_vector_typeIjLj2EENS0_17counting_iteratorIjlEEPS9_SG_NS0_5tupleIJPjSI_NS0_16reverse_iteratorISI_EEEEENSH_IJSG_SG_SG_EEES9_SI_JZNS1_25segmented_radix_sort_implINS0_14default_configELb0EPKsPsPKlPlN2at6native12_GLOBAL__N_18offset_tEEE10hipError_tPvRmT1_PNSt15iterator_traitsIS12_E10value_typeET2_T3_PNS13_IS18_E10value_typeET4_jRbjT5_S1E_jjP12ihipStream_tbEUljE_ZNSN_ISO_Lb0ESQ_SR_ST_SU_SY_EESZ_S10_S11_S12_S16_S17_S18_S1B_S1C_jS1D_jS1E_S1E_jjS1G_bEUljE0_EEESZ_S10_S11_S18_S1C_S1E_T6_T7_T9_mT8_S1G_bDpT10_ENKUlT_T0_E_clISt17integral_constantIbLb0EES1T_IbLb1EEEEDaS1P_S1Q_EUlS1P_E_NS1_11comp_targetILNS1_3genE9ELNS1_11target_archE1100ELNS1_3gpuE3ELNS1_3repE0EEENS1_30default_config_static_selectorELNS0_4arch9wavefront6targetE1EEEvS12_
                                        ; -- End function
	.set _ZN7rocprim17ROCPRIM_400000_NS6detail17trampoline_kernelINS0_13select_configILj256ELj13ELNS0_17block_load_methodE3ELS4_3ELS4_3ELNS0_20block_scan_algorithmE0ELj4294967295EEENS1_25partition_config_selectorILNS1_17partition_subalgoE4EjNS0_10empty_typeEbEEZZNS1_14partition_implILS8_4ELb0ES6_15HIP_vector_typeIjLj2EENS0_17counting_iteratorIjlEEPS9_SG_NS0_5tupleIJPjSI_NS0_16reverse_iteratorISI_EEEEENSH_IJSG_SG_SG_EEES9_SI_JZNS1_25segmented_radix_sort_implINS0_14default_configELb0EPKsPsPKlPlN2at6native12_GLOBAL__N_18offset_tEEE10hipError_tPvRmT1_PNSt15iterator_traitsIS12_E10value_typeET2_T3_PNS13_IS18_E10value_typeET4_jRbjT5_S1E_jjP12ihipStream_tbEUljE_ZNSN_ISO_Lb0ESQ_SR_ST_SU_SY_EESZ_S10_S11_S12_S16_S17_S18_S1B_S1C_jS1D_jS1E_S1E_jjS1G_bEUljE0_EEESZ_S10_S11_S18_S1C_S1E_T6_T7_T9_mT8_S1G_bDpT10_ENKUlT_T0_E_clISt17integral_constantIbLb0EES1T_IbLb1EEEEDaS1P_S1Q_EUlS1P_E_NS1_11comp_targetILNS1_3genE9ELNS1_11target_archE1100ELNS1_3gpuE3ELNS1_3repE0EEENS1_30default_config_static_selectorELNS0_4arch9wavefront6targetE1EEEvS12_.num_vgpr, 0
	.set _ZN7rocprim17ROCPRIM_400000_NS6detail17trampoline_kernelINS0_13select_configILj256ELj13ELNS0_17block_load_methodE3ELS4_3ELS4_3ELNS0_20block_scan_algorithmE0ELj4294967295EEENS1_25partition_config_selectorILNS1_17partition_subalgoE4EjNS0_10empty_typeEbEEZZNS1_14partition_implILS8_4ELb0ES6_15HIP_vector_typeIjLj2EENS0_17counting_iteratorIjlEEPS9_SG_NS0_5tupleIJPjSI_NS0_16reverse_iteratorISI_EEEEENSH_IJSG_SG_SG_EEES9_SI_JZNS1_25segmented_radix_sort_implINS0_14default_configELb0EPKsPsPKlPlN2at6native12_GLOBAL__N_18offset_tEEE10hipError_tPvRmT1_PNSt15iterator_traitsIS12_E10value_typeET2_T3_PNS13_IS18_E10value_typeET4_jRbjT5_S1E_jjP12ihipStream_tbEUljE_ZNSN_ISO_Lb0ESQ_SR_ST_SU_SY_EESZ_S10_S11_S12_S16_S17_S18_S1B_S1C_jS1D_jS1E_S1E_jjS1G_bEUljE0_EEESZ_S10_S11_S18_S1C_S1E_T6_T7_T9_mT8_S1G_bDpT10_ENKUlT_T0_E_clISt17integral_constantIbLb0EES1T_IbLb1EEEEDaS1P_S1Q_EUlS1P_E_NS1_11comp_targetILNS1_3genE9ELNS1_11target_archE1100ELNS1_3gpuE3ELNS1_3repE0EEENS1_30default_config_static_selectorELNS0_4arch9wavefront6targetE1EEEvS12_.num_agpr, 0
	.set _ZN7rocprim17ROCPRIM_400000_NS6detail17trampoline_kernelINS0_13select_configILj256ELj13ELNS0_17block_load_methodE3ELS4_3ELS4_3ELNS0_20block_scan_algorithmE0ELj4294967295EEENS1_25partition_config_selectorILNS1_17partition_subalgoE4EjNS0_10empty_typeEbEEZZNS1_14partition_implILS8_4ELb0ES6_15HIP_vector_typeIjLj2EENS0_17counting_iteratorIjlEEPS9_SG_NS0_5tupleIJPjSI_NS0_16reverse_iteratorISI_EEEEENSH_IJSG_SG_SG_EEES9_SI_JZNS1_25segmented_radix_sort_implINS0_14default_configELb0EPKsPsPKlPlN2at6native12_GLOBAL__N_18offset_tEEE10hipError_tPvRmT1_PNSt15iterator_traitsIS12_E10value_typeET2_T3_PNS13_IS18_E10value_typeET4_jRbjT5_S1E_jjP12ihipStream_tbEUljE_ZNSN_ISO_Lb0ESQ_SR_ST_SU_SY_EESZ_S10_S11_S12_S16_S17_S18_S1B_S1C_jS1D_jS1E_S1E_jjS1G_bEUljE0_EEESZ_S10_S11_S18_S1C_S1E_T6_T7_T9_mT8_S1G_bDpT10_ENKUlT_T0_E_clISt17integral_constantIbLb0EES1T_IbLb1EEEEDaS1P_S1Q_EUlS1P_E_NS1_11comp_targetILNS1_3genE9ELNS1_11target_archE1100ELNS1_3gpuE3ELNS1_3repE0EEENS1_30default_config_static_selectorELNS0_4arch9wavefront6targetE1EEEvS12_.numbered_sgpr, 0
	.set _ZN7rocprim17ROCPRIM_400000_NS6detail17trampoline_kernelINS0_13select_configILj256ELj13ELNS0_17block_load_methodE3ELS4_3ELS4_3ELNS0_20block_scan_algorithmE0ELj4294967295EEENS1_25partition_config_selectorILNS1_17partition_subalgoE4EjNS0_10empty_typeEbEEZZNS1_14partition_implILS8_4ELb0ES6_15HIP_vector_typeIjLj2EENS0_17counting_iteratorIjlEEPS9_SG_NS0_5tupleIJPjSI_NS0_16reverse_iteratorISI_EEEEENSH_IJSG_SG_SG_EEES9_SI_JZNS1_25segmented_radix_sort_implINS0_14default_configELb0EPKsPsPKlPlN2at6native12_GLOBAL__N_18offset_tEEE10hipError_tPvRmT1_PNSt15iterator_traitsIS12_E10value_typeET2_T3_PNS13_IS18_E10value_typeET4_jRbjT5_S1E_jjP12ihipStream_tbEUljE_ZNSN_ISO_Lb0ESQ_SR_ST_SU_SY_EESZ_S10_S11_S12_S16_S17_S18_S1B_S1C_jS1D_jS1E_S1E_jjS1G_bEUljE0_EEESZ_S10_S11_S18_S1C_S1E_T6_T7_T9_mT8_S1G_bDpT10_ENKUlT_T0_E_clISt17integral_constantIbLb0EES1T_IbLb1EEEEDaS1P_S1Q_EUlS1P_E_NS1_11comp_targetILNS1_3genE9ELNS1_11target_archE1100ELNS1_3gpuE3ELNS1_3repE0EEENS1_30default_config_static_selectorELNS0_4arch9wavefront6targetE1EEEvS12_.num_named_barrier, 0
	.set _ZN7rocprim17ROCPRIM_400000_NS6detail17trampoline_kernelINS0_13select_configILj256ELj13ELNS0_17block_load_methodE3ELS4_3ELS4_3ELNS0_20block_scan_algorithmE0ELj4294967295EEENS1_25partition_config_selectorILNS1_17partition_subalgoE4EjNS0_10empty_typeEbEEZZNS1_14partition_implILS8_4ELb0ES6_15HIP_vector_typeIjLj2EENS0_17counting_iteratorIjlEEPS9_SG_NS0_5tupleIJPjSI_NS0_16reverse_iteratorISI_EEEEENSH_IJSG_SG_SG_EEES9_SI_JZNS1_25segmented_radix_sort_implINS0_14default_configELb0EPKsPsPKlPlN2at6native12_GLOBAL__N_18offset_tEEE10hipError_tPvRmT1_PNSt15iterator_traitsIS12_E10value_typeET2_T3_PNS13_IS18_E10value_typeET4_jRbjT5_S1E_jjP12ihipStream_tbEUljE_ZNSN_ISO_Lb0ESQ_SR_ST_SU_SY_EESZ_S10_S11_S12_S16_S17_S18_S1B_S1C_jS1D_jS1E_S1E_jjS1G_bEUljE0_EEESZ_S10_S11_S18_S1C_S1E_T6_T7_T9_mT8_S1G_bDpT10_ENKUlT_T0_E_clISt17integral_constantIbLb0EES1T_IbLb1EEEEDaS1P_S1Q_EUlS1P_E_NS1_11comp_targetILNS1_3genE9ELNS1_11target_archE1100ELNS1_3gpuE3ELNS1_3repE0EEENS1_30default_config_static_selectorELNS0_4arch9wavefront6targetE1EEEvS12_.private_seg_size, 0
	.set _ZN7rocprim17ROCPRIM_400000_NS6detail17trampoline_kernelINS0_13select_configILj256ELj13ELNS0_17block_load_methodE3ELS4_3ELS4_3ELNS0_20block_scan_algorithmE0ELj4294967295EEENS1_25partition_config_selectorILNS1_17partition_subalgoE4EjNS0_10empty_typeEbEEZZNS1_14partition_implILS8_4ELb0ES6_15HIP_vector_typeIjLj2EENS0_17counting_iteratorIjlEEPS9_SG_NS0_5tupleIJPjSI_NS0_16reverse_iteratorISI_EEEEENSH_IJSG_SG_SG_EEES9_SI_JZNS1_25segmented_radix_sort_implINS0_14default_configELb0EPKsPsPKlPlN2at6native12_GLOBAL__N_18offset_tEEE10hipError_tPvRmT1_PNSt15iterator_traitsIS12_E10value_typeET2_T3_PNS13_IS18_E10value_typeET4_jRbjT5_S1E_jjP12ihipStream_tbEUljE_ZNSN_ISO_Lb0ESQ_SR_ST_SU_SY_EESZ_S10_S11_S12_S16_S17_S18_S1B_S1C_jS1D_jS1E_S1E_jjS1G_bEUljE0_EEESZ_S10_S11_S18_S1C_S1E_T6_T7_T9_mT8_S1G_bDpT10_ENKUlT_T0_E_clISt17integral_constantIbLb0EES1T_IbLb1EEEEDaS1P_S1Q_EUlS1P_E_NS1_11comp_targetILNS1_3genE9ELNS1_11target_archE1100ELNS1_3gpuE3ELNS1_3repE0EEENS1_30default_config_static_selectorELNS0_4arch9wavefront6targetE1EEEvS12_.uses_vcc, 0
	.set _ZN7rocprim17ROCPRIM_400000_NS6detail17trampoline_kernelINS0_13select_configILj256ELj13ELNS0_17block_load_methodE3ELS4_3ELS4_3ELNS0_20block_scan_algorithmE0ELj4294967295EEENS1_25partition_config_selectorILNS1_17partition_subalgoE4EjNS0_10empty_typeEbEEZZNS1_14partition_implILS8_4ELb0ES6_15HIP_vector_typeIjLj2EENS0_17counting_iteratorIjlEEPS9_SG_NS0_5tupleIJPjSI_NS0_16reverse_iteratorISI_EEEEENSH_IJSG_SG_SG_EEES9_SI_JZNS1_25segmented_radix_sort_implINS0_14default_configELb0EPKsPsPKlPlN2at6native12_GLOBAL__N_18offset_tEEE10hipError_tPvRmT1_PNSt15iterator_traitsIS12_E10value_typeET2_T3_PNS13_IS18_E10value_typeET4_jRbjT5_S1E_jjP12ihipStream_tbEUljE_ZNSN_ISO_Lb0ESQ_SR_ST_SU_SY_EESZ_S10_S11_S12_S16_S17_S18_S1B_S1C_jS1D_jS1E_S1E_jjS1G_bEUljE0_EEESZ_S10_S11_S18_S1C_S1E_T6_T7_T9_mT8_S1G_bDpT10_ENKUlT_T0_E_clISt17integral_constantIbLb0EES1T_IbLb1EEEEDaS1P_S1Q_EUlS1P_E_NS1_11comp_targetILNS1_3genE9ELNS1_11target_archE1100ELNS1_3gpuE3ELNS1_3repE0EEENS1_30default_config_static_selectorELNS0_4arch9wavefront6targetE1EEEvS12_.uses_flat_scratch, 0
	.set _ZN7rocprim17ROCPRIM_400000_NS6detail17trampoline_kernelINS0_13select_configILj256ELj13ELNS0_17block_load_methodE3ELS4_3ELS4_3ELNS0_20block_scan_algorithmE0ELj4294967295EEENS1_25partition_config_selectorILNS1_17partition_subalgoE4EjNS0_10empty_typeEbEEZZNS1_14partition_implILS8_4ELb0ES6_15HIP_vector_typeIjLj2EENS0_17counting_iteratorIjlEEPS9_SG_NS0_5tupleIJPjSI_NS0_16reverse_iteratorISI_EEEEENSH_IJSG_SG_SG_EEES9_SI_JZNS1_25segmented_radix_sort_implINS0_14default_configELb0EPKsPsPKlPlN2at6native12_GLOBAL__N_18offset_tEEE10hipError_tPvRmT1_PNSt15iterator_traitsIS12_E10value_typeET2_T3_PNS13_IS18_E10value_typeET4_jRbjT5_S1E_jjP12ihipStream_tbEUljE_ZNSN_ISO_Lb0ESQ_SR_ST_SU_SY_EESZ_S10_S11_S12_S16_S17_S18_S1B_S1C_jS1D_jS1E_S1E_jjS1G_bEUljE0_EEESZ_S10_S11_S18_S1C_S1E_T6_T7_T9_mT8_S1G_bDpT10_ENKUlT_T0_E_clISt17integral_constantIbLb0EES1T_IbLb1EEEEDaS1P_S1Q_EUlS1P_E_NS1_11comp_targetILNS1_3genE9ELNS1_11target_archE1100ELNS1_3gpuE3ELNS1_3repE0EEENS1_30default_config_static_selectorELNS0_4arch9wavefront6targetE1EEEvS12_.has_dyn_sized_stack, 0
	.set _ZN7rocprim17ROCPRIM_400000_NS6detail17trampoline_kernelINS0_13select_configILj256ELj13ELNS0_17block_load_methodE3ELS4_3ELS4_3ELNS0_20block_scan_algorithmE0ELj4294967295EEENS1_25partition_config_selectorILNS1_17partition_subalgoE4EjNS0_10empty_typeEbEEZZNS1_14partition_implILS8_4ELb0ES6_15HIP_vector_typeIjLj2EENS0_17counting_iteratorIjlEEPS9_SG_NS0_5tupleIJPjSI_NS0_16reverse_iteratorISI_EEEEENSH_IJSG_SG_SG_EEES9_SI_JZNS1_25segmented_radix_sort_implINS0_14default_configELb0EPKsPsPKlPlN2at6native12_GLOBAL__N_18offset_tEEE10hipError_tPvRmT1_PNSt15iterator_traitsIS12_E10value_typeET2_T3_PNS13_IS18_E10value_typeET4_jRbjT5_S1E_jjP12ihipStream_tbEUljE_ZNSN_ISO_Lb0ESQ_SR_ST_SU_SY_EESZ_S10_S11_S12_S16_S17_S18_S1B_S1C_jS1D_jS1E_S1E_jjS1G_bEUljE0_EEESZ_S10_S11_S18_S1C_S1E_T6_T7_T9_mT8_S1G_bDpT10_ENKUlT_T0_E_clISt17integral_constantIbLb0EES1T_IbLb1EEEEDaS1P_S1Q_EUlS1P_E_NS1_11comp_targetILNS1_3genE9ELNS1_11target_archE1100ELNS1_3gpuE3ELNS1_3repE0EEENS1_30default_config_static_selectorELNS0_4arch9wavefront6targetE1EEEvS12_.has_recursion, 0
	.set _ZN7rocprim17ROCPRIM_400000_NS6detail17trampoline_kernelINS0_13select_configILj256ELj13ELNS0_17block_load_methodE3ELS4_3ELS4_3ELNS0_20block_scan_algorithmE0ELj4294967295EEENS1_25partition_config_selectorILNS1_17partition_subalgoE4EjNS0_10empty_typeEbEEZZNS1_14partition_implILS8_4ELb0ES6_15HIP_vector_typeIjLj2EENS0_17counting_iteratorIjlEEPS9_SG_NS0_5tupleIJPjSI_NS0_16reverse_iteratorISI_EEEEENSH_IJSG_SG_SG_EEES9_SI_JZNS1_25segmented_radix_sort_implINS0_14default_configELb0EPKsPsPKlPlN2at6native12_GLOBAL__N_18offset_tEEE10hipError_tPvRmT1_PNSt15iterator_traitsIS12_E10value_typeET2_T3_PNS13_IS18_E10value_typeET4_jRbjT5_S1E_jjP12ihipStream_tbEUljE_ZNSN_ISO_Lb0ESQ_SR_ST_SU_SY_EESZ_S10_S11_S12_S16_S17_S18_S1B_S1C_jS1D_jS1E_S1E_jjS1G_bEUljE0_EEESZ_S10_S11_S18_S1C_S1E_T6_T7_T9_mT8_S1G_bDpT10_ENKUlT_T0_E_clISt17integral_constantIbLb0EES1T_IbLb1EEEEDaS1P_S1Q_EUlS1P_E_NS1_11comp_targetILNS1_3genE9ELNS1_11target_archE1100ELNS1_3gpuE3ELNS1_3repE0EEENS1_30default_config_static_selectorELNS0_4arch9wavefront6targetE1EEEvS12_.has_indirect_call, 0
	.section	.AMDGPU.csdata,"",@progbits
; Kernel info:
; codeLenInByte = 0
; TotalNumSgprs: 4
; NumVgprs: 0
; ScratchSize: 0
; MemoryBound: 0
; FloatMode: 240
; IeeeMode: 1
; LDSByteSize: 0 bytes/workgroup (compile time only)
; SGPRBlocks: 0
; VGPRBlocks: 0
; NumSGPRsForWavesPerEU: 4
; NumVGPRsForWavesPerEU: 1
; Occupancy: 10
; WaveLimiterHint : 0
; COMPUTE_PGM_RSRC2:SCRATCH_EN: 0
; COMPUTE_PGM_RSRC2:USER_SGPR: 6
; COMPUTE_PGM_RSRC2:TRAP_HANDLER: 0
; COMPUTE_PGM_RSRC2:TGID_X_EN: 1
; COMPUTE_PGM_RSRC2:TGID_Y_EN: 0
; COMPUTE_PGM_RSRC2:TGID_Z_EN: 0
; COMPUTE_PGM_RSRC2:TIDIG_COMP_CNT: 0
	.section	.text._ZN7rocprim17ROCPRIM_400000_NS6detail17trampoline_kernelINS0_13select_configILj256ELj13ELNS0_17block_load_methodE3ELS4_3ELS4_3ELNS0_20block_scan_algorithmE0ELj4294967295EEENS1_25partition_config_selectorILNS1_17partition_subalgoE4EjNS0_10empty_typeEbEEZZNS1_14partition_implILS8_4ELb0ES6_15HIP_vector_typeIjLj2EENS0_17counting_iteratorIjlEEPS9_SG_NS0_5tupleIJPjSI_NS0_16reverse_iteratorISI_EEEEENSH_IJSG_SG_SG_EEES9_SI_JZNS1_25segmented_radix_sort_implINS0_14default_configELb0EPKsPsPKlPlN2at6native12_GLOBAL__N_18offset_tEEE10hipError_tPvRmT1_PNSt15iterator_traitsIS12_E10value_typeET2_T3_PNS13_IS18_E10value_typeET4_jRbjT5_S1E_jjP12ihipStream_tbEUljE_ZNSN_ISO_Lb0ESQ_SR_ST_SU_SY_EESZ_S10_S11_S12_S16_S17_S18_S1B_S1C_jS1D_jS1E_S1E_jjS1G_bEUljE0_EEESZ_S10_S11_S18_S1C_S1E_T6_T7_T9_mT8_S1G_bDpT10_ENKUlT_T0_E_clISt17integral_constantIbLb0EES1T_IbLb1EEEEDaS1P_S1Q_EUlS1P_E_NS1_11comp_targetILNS1_3genE8ELNS1_11target_archE1030ELNS1_3gpuE2ELNS1_3repE0EEENS1_30default_config_static_selectorELNS0_4arch9wavefront6targetE1EEEvS12_,"axG",@progbits,_ZN7rocprim17ROCPRIM_400000_NS6detail17trampoline_kernelINS0_13select_configILj256ELj13ELNS0_17block_load_methodE3ELS4_3ELS4_3ELNS0_20block_scan_algorithmE0ELj4294967295EEENS1_25partition_config_selectorILNS1_17partition_subalgoE4EjNS0_10empty_typeEbEEZZNS1_14partition_implILS8_4ELb0ES6_15HIP_vector_typeIjLj2EENS0_17counting_iteratorIjlEEPS9_SG_NS0_5tupleIJPjSI_NS0_16reverse_iteratorISI_EEEEENSH_IJSG_SG_SG_EEES9_SI_JZNS1_25segmented_radix_sort_implINS0_14default_configELb0EPKsPsPKlPlN2at6native12_GLOBAL__N_18offset_tEEE10hipError_tPvRmT1_PNSt15iterator_traitsIS12_E10value_typeET2_T3_PNS13_IS18_E10value_typeET4_jRbjT5_S1E_jjP12ihipStream_tbEUljE_ZNSN_ISO_Lb0ESQ_SR_ST_SU_SY_EESZ_S10_S11_S12_S16_S17_S18_S1B_S1C_jS1D_jS1E_S1E_jjS1G_bEUljE0_EEESZ_S10_S11_S18_S1C_S1E_T6_T7_T9_mT8_S1G_bDpT10_ENKUlT_T0_E_clISt17integral_constantIbLb0EES1T_IbLb1EEEEDaS1P_S1Q_EUlS1P_E_NS1_11comp_targetILNS1_3genE8ELNS1_11target_archE1030ELNS1_3gpuE2ELNS1_3repE0EEENS1_30default_config_static_selectorELNS0_4arch9wavefront6targetE1EEEvS12_,comdat
	.globl	_ZN7rocprim17ROCPRIM_400000_NS6detail17trampoline_kernelINS0_13select_configILj256ELj13ELNS0_17block_load_methodE3ELS4_3ELS4_3ELNS0_20block_scan_algorithmE0ELj4294967295EEENS1_25partition_config_selectorILNS1_17partition_subalgoE4EjNS0_10empty_typeEbEEZZNS1_14partition_implILS8_4ELb0ES6_15HIP_vector_typeIjLj2EENS0_17counting_iteratorIjlEEPS9_SG_NS0_5tupleIJPjSI_NS0_16reverse_iteratorISI_EEEEENSH_IJSG_SG_SG_EEES9_SI_JZNS1_25segmented_radix_sort_implINS0_14default_configELb0EPKsPsPKlPlN2at6native12_GLOBAL__N_18offset_tEEE10hipError_tPvRmT1_PNSt15iterator_traitsIS12_E10value_typeET2_T3_PNS13_IS18_E10value_typeET4_jRbjT5_S1E_jjP12ihipStream_tbEUljE_ZNSN_ISO_Lb0ESQ_SR_ST_SU_SY_EESZ_S10_S11_S12_S16_S17_S18_S1B_S1C_jS1D_jS1E_S1E_jjS1G_bEUljE0_EEESZ_S10_S11_S18_S1C_S1E_T6_T7_T9_mT8_S1G_bDpT10_ENKUlT_T0_E_clISt17integral_constantIbLb0EES1T_IbLb1EEEEDaS1P_S1Q_EUlS1P_E_NS1_11comp_targetILNS1_3genE8ELNS1_11target_archE1030ELNS1_3gpuE2ELNS1_3repE0EEENS1_30default_config_static_selectorELNS0_4arch9wavefront6targetE1EEEvS12_ ; -- Begin function _ZN7rocprim17ROCPRIM_400000_NS6detail17trampoline_kernelINS0_13select_configILj256ELj13ELNS0_17block_load_methodE3ELS4_3ELS4_3ELNS0_20block_scan_algorithmE0ELj4294967295EEENS1_25partition_config_selectorILNS1_17partition_subalgoE4EjNS0_10empty_typeEbEEZZNS1_14partition_implILS8_4ELb0ES6_15HIP_vector_typeIjLj2EENS0_17counting_iteratorIjlEEPS9_SG_NS0_5tupleIJPjSI_NS0_16reverse_iteratorISI_EEEEENSH_IJSG_SG_SG_EEES9_SI_JZNS1_25segmented_radix_sort_implINS0_14default_configELb0EPKsPsPKlPlN2at6native12_GLOBAL__N_18offset_tEEE10hipError_tPvRmT1_PNSt15iterator_traitsIS12_E10value_typeET2_T3_PNS13_IS18_E10value_typeET4_jRbjT5_S1E_jjP12ihipStream_tbEUljE_ZNSN_ISO_Lb0ESQ_SR_ST_SU_SY_EESZ_S10_S11_S12_S16_S17_S18_S1B_S1C_jS1D_jS1E_S1E_jjS1G_bEUljE0_EEESZ_S10_S11_S18_S1C_S1E_T6_T7_T9_mT8_S1G_bDpT10_ENKUlT_T0_E_clISt17integral_constantIbLb0EES1T_IbLb1EEEEDaS1P_S1Q_EUlS1P_E_NS1_11comp_targetILNS1_3genE8ELNS1_11target_archE1030ELNS1_3gpuE2ELNS1_3repE0EEENS1_30default_config_static_selectorELNS0_4arch9wavefront6targetE1EEEvS12_
	.p2align	8
	.type	_ZN7rocprim17ROCPRIM_400000_NS6detail17trampoline_kernelINS0_13select_configILj256ELj13ELNS0_17block_load_methodE3ELS4_3ELS4_3ELNS0_20block_scan_algorithmE0ELj4294967295EEENS1_25partition_config_selectorILNS1_17partition_subalgoE4EjNS0_10empty_typeEbEEZZNS1_14partition_implILS8_4ELb0ES6_15HIP_vector_typeIjLj2EENS0_17counting_iteratorIjlEEPS9_SG_NS0_5tupleIJPjSI_NS0_16reverse_iteratorISI_EEEEENSH_IJSG_SG_SG_EEES9_SI_JZNS1_25segmented_radix_sort_implINS0_14default_configELb0EPKsPsPKlPlN2at6native12_GLOBAL__N_18offset_tEEE10hipError_tPvRmT1_PNSt15iterator_traitsIS12_E10value_typeET2_T3_PNS13_IS18_E10value_typeET4_jRbjT5_S1E_jjP12ihipStream_tbEUljE_ZNSN_ISO_Lb0ESQ_SR_ST_SU_SY_EESZ_S10_S11_S12_S16_S17_S18_S1B_S1C_jS1D_jS1E_S1E_jjS1G_bEUljE0_EEESZ_S10_S11_S18_S1C_S1E_T6_T7_T9_mT8_S1G_bDpT10_ENKUlT_T0_E_clISt17integral_constantIbLb0EES1T_IbLb1EEEEDaS1P_S1Q_EUlS1P_E_NS1_11comp_targetILNS1_3genE8ELNS1_11target_archE1030ELNS1_3gpuE2ELNS1_3repE0EEENS1_30default_config_static_selectorELNS0_4arch9wavefront6targetE1EEEvS12_,@function
_ZN7rocprim17ROCPRIM_400000_NS6detail17trampoline_kernelINS0_13select_configILj256ELj13ELNS0_17block_load_methodE3ELS4_3ELS4_3ELNS0_20block_scan_algorithmE0ELj4294967295EEENS1_25partition_config_selectorILNS1_17partition_subalgoE4EjNS0_10empty_typeEbEEZZNS1_14partition_implILS8_4ELb0ES6_15HIP_vector_typeIjLj2EENS0_17counting_iteratorIjlEEPS9_SG_NS0_5tupleIJPjSI_NS0_16reverse_iteratorISI_EEEEENSH_IJSG_SG_SG_EEES9_SI_JZNS1_25segmented_radix_sort_implINS0_14default_configELb0EPKsPsPKlPlN2at6native12_GLOBAL__N_18offset_tEEE10hipError_tPvRmT1_PNSt15iterator_traitsIS12_E10value_typeET2_T3_PNS13_IS18_E10value_typeET4_jRbjT5_S1E_jjP12ihipStream_tbEUljE_ZNSN_ISO_Lb0ESQ_SR_ST_SU_SY_EESZ_S10_S11_S12_S16_S17_S18_S1B_S1C_jS1D_jS1E_S1E_jjS1G_bEUljE0_EEESZ_S10_S11_S18_S1C_S1E_T6_T7_T9_mT8_S1G_bDpT10_ENKUlT_T0_E_clISt17integral_constantIbLb0EES1T_IbLb1EEEEDaS1P_S1Q_EUlS1P_E_NS1_11comp_targetILNS1_3genE8ELNS1_11target_archE1030ELNS1_3gpuE2ELNS1_3repE0EEENS1_30default_config_static_selectorELNS0_4arch9wavefront6targetE1EEEvS12_: ; @_ZN7rocprim17ROCPRIM_400000_NS6detail17trampoline_kernelINS0_13select_configILj256ELj13ELNS0_17block_load_methodE3ELS4_3ELS4_3ELNS0_20block_scan_algorithmE0ELj4294967295EEENS1_25partition_config_selectorILNS1_17partition_subalgoE4EjNS0_10empty_typeEbEEZZNS1_14partition_implILS8_4ELb0ES6_15HIP_vector_typeIjLj2EENS0_17counting_iteratorIjlEEPS9_SG_NS0_5tupleIJPjSI_NS0_16reverse_iteratorISI_EEEEENSH_IJSG_SG_SG_EEES9_SI_JZNS1_25segmented_radix_sort_implINS0_14default_configELb0EPKsPsPKlPlN2at6native12_GLOBAL__N_18offset_tEEE10hipError_tPvRmT1_PNSt15iterator_traitsIS12_E10value_typeET2_T3_PNS13_IS18_E10value_typeET4_jRbjT5_S1E_jjP12ihipStream_tbEUljE_ZNSN_ISO_Lb0ESQ_SR_ST_SU_SY_EESZ_S10_S11_S12_S16_S17_S18_S1B_S1C_jS1D_jS1E_S1E_jjS1G_bEUljE0_EEESZ_S10_S11_S18_S1C_S1E_T6_T7_T9_mT8_S1G_bDpT10_ENKUlT_T0_E_clISt17integral_constantIbLb0EES1T_IbLb1EEEEDaS1P_S1Q_EUlS1P_E_NS1_11comp_targetILNS1_3genE8ELNS1_11target_archE1030ELNS1_3gpuE2ELNS1_3repE0EEENS1_30default_config_static_selectorELNS0_4arch9wavefront6targetE1EEEvS12_
; %bb.0:
	.section	.rodata,"a",@progbits
	.p2align	6, 0x0
	.amdhsa_kernel _ZN7rocprim17ROCPRIM_400000_NS6detail17trampoline_kernelINS0_13select_configILj256ELj13ELNS0_17block_load_methodE3ELS4_3ELS4_3ELNS0_20block_scan_algorithmE0ELj4294967295EEENS1_25partition_config_selectorILNS1_17partition_subalgoE4EjNS0_10empty_typeEbEEZZNS1_14partition_implILS8_4ELb0ES6_15HIP_vector_typeIjLj2EENS0_17counting_iteratorIjlEEPS9_SG_NS0_5tupleIJPjSI_NS0_16reverse_iteratorISI_EEEEENSH_IJSG_SG_SG_EEES9_SI_JZNS1_25segmented_radix_sort_implINS0_14default_configELb0EPKsPsPKlPlN2at6native12_GLOBAL__N_18offset_tEEE10hipError_tPvRmT1_PNSt15iterator_traitsIS12_E10value_typeET2_T3_PNS13_IS18_E10value_typeET4_jRbjT5_S1E_jjP12ihipStream_tbEUljE_ZNSN_ISO_Lb0ESQ_SR_ST_SU_SY_EESZ_S10_S11_S12_S16_S17_S18_S1B_S1C_jS1D_jS1E_S1E_jjS1G_bEUljE0_EEESZ_S10_S11_S18_S1C_S1E_T6_T7_T9_mT8_S1G_bDpT10_ENKUlT_T0_E_clISt17integral_constantIbLb0EES1T_IbLb1EEEEDaS1P_S1Q_EUlS1P_E_NS1_11comp_targetILNS1_3genE8ELNS1_11target_archE1030ELNS1_3gpuE2ELNS1_3repE0EEENS1_30default_config_static_selectorELNS0_4arch9wavefront6targetE1EEEvS12_
		.amdhsa_group_segment_fixed_size 0
		.amdhsa_private_segment_fixed_size 0
		.amdhsa_kernarg_size 184
		.amdhsa_user_sgpr_count 6
		.amdhsa_user_sgpr_private_segment_buffer 1
		.amdhsa_user_sgpr_dispatch_ptr 0
		.amdhsa_user_sgpr_queue_ptr 0
		.amdhsa_user_sgpr_kernarg_segment_ptr 1
		.amdhsa_user_sgpr_dispatch_id 0
		.amdhsa_user_sgpr_flat_scratch_init 0
		.amdhsa_user_sgpr_private_segment_size 0
		.amdhsa_uses_dynamic_stack 0
		.amdhsa_system_sgpr_private_segment_wavefront_offset 0
		.amdhsa_system_sgpr_workgroup_id_x 1
		.amdhsa_system_sgpr_workgroup_id_y 0
		.amdhsa_system_sgpr_workgroup_id_z 0
		.amdhsa_system_sgpr_workgroup_info 0
		.amdhsa_system_vgpr_workitem_id 0
		.amdhsa_next_free_vgpr 1
		.amdhsa_next_free_sgpr 0
		.amdhsa_reserve_vcc 0
		.amdhsa_reserve_flat_scratch 0
		.amdhsa_float_round_mode_32 0
		.amdhsa_float_round_mode_16_64 0
		.amdhsa_float_denorm_mode_32 3
		.amdhsa_float_denorm_mode_16_64 3
		.amdhsa_dx10_clamp 1
		.amdhsa_ieee_mode 1
		.amdhsa_fp16_overflow 0
		.amdhsa_exception_fp_ieee_invalid_op 0
		.amdhsa_exception_fp_denorm_src 0
		.amdhsa_exception_fp_ieee_div_zero 0
		.amdhsa_exception_fp_ieee_overflow 0
		.amdhsa_exception_fp_ieee_underflow 0
		.amdhsa_exception_fp_ieee_inexact 0
		.amdhsa_exception_int_div_zero 0
	.end_amdhsa_kernel
	.section	.text._ZN7rocprim17ROCPRIM_400000_NS6detail17trampoline_kernelINS0_13select_configILj256ELj13ELNS0_17block_load_methodE3ELS4_3ELS4_3ELNS0_20block_scan_algorithmE0ELj4294967295EEENS1_25partition_config_selectorILNS1_17partition_subalgoE4EjNS0_10empty_typeEbEEZZNS1_14partition_implILS8_4ELb0ES6_15HIP_vector_typeIjLj2EENS0_17counting_iteratorIjlEEPS9_SG_NS0_5tupleIJPjSI_NS0_16reverse_iteratorISI_EEEEENSH_IJSG_SG_SG_EEES9_SI_JZNS1_25segmented_radix_sort_implINS0_14default_configELb0EPKsPsPKlPlN2at6native12_GLOBAL__N_18offset_tEEE10hipError_tPvRmT1_PNSt15iterator_traitsIS12_E10value_typeET2_T3_PNS13_IS18_E10value_typeET4_jRbjT5_S1E_jjP12ihipStream_tbEUljE_ZNSN_ISO_Lb0ESQ_SR_ST_SU_SY_EESZ_S10_S11_S12_S16_S17_S18_S1B_S1C_jS1D_jS1E_S1E_jjS1G_bEUljE0_EEESZ_S10_S11_S18_S1C_S1E_T6_T7_T9_mT8_S1G_bDpT10_ENKUlT_T0_E_clISt17integral_constantIbLb0EES1T_IbLb1EEEEDaS1P_S1Q_EUlS1P_E_NS1_11comp_targetILNS1_3genE8ELNS1_11target_archE1030ELNS1_3gpuE2ELNS1_3repE0EEENS1_30default_config_static_selectorELNS0_4arch9wavefront6targetE1EEEvS12_,"axG",@progbits,_ZN7rocprim17ROCPRIM_400000_NS6detail17trampoline_kernelINS0_13select_configILj256ELj13ELNS0_17block_load_methodE3ELS4_3ELS4_3ELNS0_20block_scan_algorithmE0ELj4294967295EEENS1_25partition_config_selectorILNS1_17partition_subalgoE4EjNS0_10empty_typeEbEEZZNS1_14partition_implILS8_4ELb0ES6_15HIP_vector_typeIjLj2EENS0_17counting_iteratorIjlEEPS9_SG_NS0_5tupleIJPjSI_NS0_16reverse_iteratorISI_EEEEENSH_IJSG_SG_SG_EEES9_SI_JZNS1_25segmented_radix_sort_implINS0_14default_configELb0EPKsPsPKlPlN2at6native12_GLOBAL__N_18offset_tEEE10hipError_tPvRmT1_PNSt15iterator_traitsIS12_E10value_typeET2_T3_PNS13_IS18_E10value_typeET4_jRbjT5_S1E_jjP12ihipStream_tbEUljE_ZNSN_ISO_Lb0ESQ_SR_ST_SU_SY_EESZ_S10_S11_S12_S16_S17_S18_S1B_S1C_jS1D_jS1E_S1E_jjS1G_bEUljE0_EEESZ_S10_S11_S18_S1C_S1E_T6_T7_T9_mT8_S1G_bDpT10_ENKUlT_T0_E_clISt17integral_constantIbLb0EES1T_IbLb1EEEEDaS1P_S1Q_EUlS1P_E_NS1_11comp_targetILNS1_3genE8ELNS1_11target_archE1030ELNS1_3gpuE2ELNS1_3repE0EEENS1_30default_config_static_selectorELNS0_4arch9wavefront6targetE1EEEvS12_,comdat
.Lfunc_end981:
	.size	_ZN7rocprim17ROCPRIM_400000_NS6detail17trampoline_kernelINS0_13select_configILj256ELj13ELNS0_17block_load_methodE3ELS4_3ELS4_3ELNS0_20block_scan_algorithmE0ELj4294967295EEENS1_25partition_config_selectorILNS1_17partition_subalgoE4EjNS0_10empty_typeEbEEZZNS1_14partition_implILS8_4ELb0ES6_15HIP_vector_typeIjLj2EENS0_17counting_iteratorIjlEEPS9_SG_NS0_5tupleIJPjSI_NS0_16reverse_iteratorISI_EEEEENSH_IJSG_SG_SG_EEES9_SI_JZNS1_25segmented_radix_sort_implINS0_14default_configELb0EPKsPsPKlPlN2at6native12_GLOBAL__N_18offset_tEEE10hipError_tPvRmT1_PNSt15iterator_traitsIS12_E10value_typeET2_T3_PNS13_IS18_E10value_typeET4_jRbjT5_S1E_jjP12ihipStream_tbEUljE_ZNSN_ISO_Lb0ESQ_SR_ST_SU_SY_EESZ_S10_S11_S12_S16_S17_S18_S1B_S1C_jS1D_jS1E_S1E_jjS1G_bEUljE0_EEESZ_S10_S11_S18_S1C_S1E_T6_T7_T9_mT8_S1G_bDpT10_ENKUlT_T0_E_clISt17integral_constantIbLb0EES1T_IbLb1EEEEDaS1P_S1Q_EUlS1P_E_NS1_11comp_targetILNS1_3genE8ELNS1_11target_archE1030ELNS1_3gpuE2ELNS1_3repE0EEENS1_30default_config_static_selectorELNS0_4arch9wavefront6targetE1EEEvS12_, .Lfunc_end981-_ZN7rocprim17ROCPRIM_400000_NS6detail17trampoline_kernelINS0_13select_configILj256ELj13ELNS0_17block_load_methodE3ELS4_3ELS4_3ELNS0_20block_scan_algorithmE0ELj4294967295EEENS1_25partition_config_selectorILNS1_17partition_subalgoE4EjNS0_10empty_typeEbEEZZNS1_14partition_implILS8_4ELb0ES6_15HIP_vector_typeIjLj2EENS0_17counting_iteratorIjlEEPS9_SG_NS0_5tupleIJPjSI_NS0_16reverse_iteratorISI_EEEEENSH_IJSG_SG_SG_EEES9_SI_JZNS1_25segmented_radix_sort_implINS0_14default_configELb0EPKsPsPKlPlN2at6native12_GLOBAL__N_18offset_tEEE10hipError_tPvRmT1_PNSt15iterator_traitsIS12_E10value_typeET2_T3_PNS13_IS18_E10value_typeET4_jRbjT5_S1E_jjP12ihipStream_tbEUljE_ZNSN_ISO_Lb0ESQ_SR_ST_SU_SY_EESZ_S10_S11_S12_S16_S17_S18_S1B_S1C_jS1D_jS1E_S1E_jjS1G_bEUljE0_EEESZ_S10_S11_S18_S1C_S1E_T6_T7_T9_mT8_S1G_bDpT10_ENKUlT_T0_E_clISt17integral_constantIbLb0EES1T_IbLb1EEEEDaS1P_S1Q_EUlS1P_E_NS1_11comp_targetILNS1_3genE8ELNS1_11target_archE1030ELNS1_3gpuE2ELNS1_3repE0EEENS1_30default_config_static_selectorELNS0_4arch9wavefront6targetE1EEEvS12_
                                        ; -- End function
	.set _ZN7rocprim17ROCPRIM_400000_NS6detail17trampoline_kernelINS0_13select_configILj256ELj13ELNS0_17block_load_methodE3ELS4_3ELS4_3ELNS0_20block_scan_algorithmE0ELj4294967295EEENS1_25partition_config_selectorILNS1_17partition_subalgoE4EjNS0_10empty_typeEbEEZZNS1_14partition_implILS8_4ELb0ES6_15HIP_vector_typeIjLj2EENS0_17counting_iteratorIjlEEPS9_SG_NS0_5tupleIJPjSI_NS0_16reverse_iteratorISI_EEEEENSH_IJSG_SG_SG_EEES9_SI_JZNS1_25segmented_radix_sort_implINS0_14default_configELb0EPKsPsPKlPlN2at6native12_GLOBAL__N_18offset_tEEE10hipError_tPvRmT1_PNSt15iterator_traitsIS12_E10value_typeET2_T3_PNS13_IS18_E10value_typeET4_jRbjT5_S1E_jjP12ihipStream_tbEUljE_ZNSN_ISO_Lb0ESQ_SR_ST_SU_SY_EESZ_S10_S11_S12_S16_S17_S18_S1B_S1C_jS1D_jS1E_S1E_jjS1G_bEUljE0_EEESZ_S10_S11_S18_S1C_S1E_T6_T7_T9_mT8_S1G_bDpT10_ENKUlT_T0_E_clISt17integral_constantIbLb0EES1T_IbLb1EEEEDaS1P_S1Q_EUlS1P_E_NS1_11comp_targetILNS1_3genE8ELNS1_11target_archE1030ELNS1_3gpuE2ELNS1_3repE0EEENS1_30default_config_static_selectorELNS0_4arch9wavefront6targetE1EEEvS12_.num_vgpr, 0
	.set _ZN7rocprim17ROCPRIM_400000_NS6detail17trampoline_kernelINS0_13select_configILj256ELj13ELNS0_17block_load_methodE3ELS4_3ELS4_3ELNS0_20block_scan_algorithmE0ELj4294967295EEENS1_25partition_config_selectorILNS1_17partition_subalgoE4EjNS0_10empty_typeEbEEZZNS1_14partition_implILS8_4ELb0ES6_15HIP_vector_typeIjLj2EENS0_17counting_iteratorIjlEEPS9_SG_NS0_5tupleIJPjSI_NS0_16reverse_iteratorISI_EEEEENSH_IJSG_SG_SG_EEES9_SI_JZNS1_25segmented_radix_sort_implINS0_14default_configELb0EPKsPsPKlPlN2at6native12_GLOBAL__N_18offset_tEEE10hipError_tPvRmT1_PNSt15iterator_traitsIS12_E10value_typeET2_T3_PNS13_IS18_E10value_typeET4_jRbjT5_S1E_jjP12ihipStream_tbEUljE_ZNSN_ISO_Lb0ESQ_SR_ST_SU_SY_EESZ_S10_S11_S12_S16_S17_S18_S1B_S1C_jS1D_jS1E_S1E_jjS1G_bEUljE0_EEESZ_S10_S11_S18_S1C_S1E_T6_T7_T9_mT8_S1G_bDpT10_ENKUlT_T0_E_clISt17integral_constantIbLb0EES1T_IbLb1EEEEDaS1P_S1Q_EUlS1P_E_NS1_11comp_targetILNS1_3genE8ELNS1_11target_archE1030ELNS1_3gpuE2ELNS1_3repE0EEENS1_30default_config_static_selectorELNS0_4arch9wavefront6targetE1EEEvS12_.num_agpr, 0
	.set _ZN7rocprim17ROCPRIM_400000_NS6detail17trampoline_kernelINS0_13select_configILj256ELj13ELNS0_17block_load_methodE3ELS4_3ELS4_3ELNS0_20block_scan_algorithmE0ELj4294967295EEENS1_25partition_config_selectorILNS1_17partition_subalgoE4EjNS0_10empty_typeEbEEZZNS1_14partition_implILS8_4ELb0ES6_15HIP_vector_typeIjLj2EENS0_17counting_iteratorIjlEEPS9_SG_NS0_5tupleIJPjSI_NS0_16reverse_iteratorISI_EEEEENSH_IJSG_SG_SG_EEES9_SI_JZNS1_25segmented_radix_sort_implINS0_14default_configELb0EPKsPsPKlPlN2at6native12_GLOBAL__N_18offset_tEEE10hipError_tPvRmT1_PNSt15iterator_traitsIS12_E10value_typeET2_T3_PNS13_IS18_E10value_typeET4_jRbjT5_S1E_jjP12ihipStream_tbEUljE_ZNSN_ISO_Lb0ESQ_SR_ST_SU_SY_EESZ_S10_S11_S12_S16_S17_S18_S1B_S1C_jS1D_jS1E_S1E_jjS1G_bEUljE0_EEESZ_S10_S11_S18_S1C_S1E_T6_T7_T9_mT8_S1G_bDpT10_ENKUlT_T0_E_clISt17integral_constantIbLb0EES1T_IbLb1EEEEDaS1P_S1Q_EUlS1P_E_NS1_11comp_targetILNS1_3genE8ELNS1_11target_archE1030ELNS1_3gpuE2ELNS1_3repE0EEENS1_30default_config_static_selectorELNS0_4arch9wavefront6targetE1EEEvS12_.numbered_sgpr, 0
	.set _ZN7rocprim17ROCPRIM_400000_NS6detail17trampoline_kernelINS0_13select_configILj256ELj13ELNS0_17block_load_methodE3ELS4_3ELS4_3ELNS0_20block_scan_algorithmE0ELj4294967295EEENS1_25partition_config_selectorILNS1_17partition_subalgoE4EjNS0_10empty_typeEbEEZZNS1_14partition_implILS8_4ELb0ES6_15HIP_vector_typeIjLj2EENS0_17counting_iteratorIjlEEPS9_SG_NS0_5tupleIJPjSI_NS0_16reverse_iteratorISI_EEEEENSH_IJSG_SG_SG_EEES9_SI_JZNS1_25segmented_radix_sort_implINS0_14default_configELb0EPKsPsPKlPlN2at6native12_GLOBAL__N_18offset_tEEE10hipError_tPvRmT1_PNSt15iterator_traitsIS12_E10value_typeET2_T3_PNS13_IS18_E10value_typeET4_jRbjT5_S1E_jjP12ihipStream_tbEUljE_ZNSN_ISO_Lb0ESQ_SR_ST_SU_SY_EESZ_S10_S11_S12_S16_S17_S18_S1B_S1C_jS1D_jS1E_S1E_jjS1G_bEUljE0_EEESZ_S10_S11_S18_S1C_S1E_T6_T7_T9_mT8_S1G_bDpT10_ENKUlT_T0_E_clISt17integral_constantIbLb0EES1T_IbLb1EEEEDaS1P_S1Q_EUlS1P_E_NS1_11comp_targetILNS1_3genE8ELNS1_11target_archE1030ELNS1_3gpuE2ELNS1_3repE0EEENS1_30default_config_static_selectorELNS0_4arch9wavefront6targetE1EEEvS12_.num_named_barrier, 0
	.set _ZN7rocprim17ROCPRIM_400000_NS6detail17trampoline_kernelINS0_13select_configILj256ELj13ELNS0_17block_load_methodE3ELS4_3ELS4_3ELNS0_20block_scan_algorithmE0ELj4294967295EEENS1_25partition_config_selectorILNS1_17partition_subalgoE4EjNS0_10empty_typeEbEEZZNS1_14partition_implILS8_4ELb0ES6_15HIP_vector_typeIjLj2EENS0_17counting_iteratorIjlEEPS9_SG_NS0_5tupleIJPjSI_NS0_16reverse_iteratorISI_EEEEENSH_IJSG_SG_SG_EEES9_SI_JZNS1_25segmented_radix_sort_implINS0_14default_configELb0EPKsPsPKlPlN2at6native12_GLOBAL__N_18offset_tEEE10hipError_tPvRmT1_PNSt15iterator_traitsIS12_E10value_typeET2_T3_PNS13_IS18_E10value_typeET4_jRbjT5_S1E_jjP12ihipStream_tbEUljE_ZNSN_ISO_Lb0ESQ_SR_ST_SU_SY_EESZ_S10_S11_S12_S16_S17_S18_S1B_S1C_jS1D_jS1E_S1E_jjS1G_bEUljE0_EEESZ_S10_S11_S18_S1C_S1E_T6_T7_T9_mT8_S1G_bDpT10_ENKUlT_T0_E_clISt17integral_constantIbLb0EES1T_IbLb1EEEEDaS1P_S1Q_EUlS1P_E_NS1_11comp_targetILNS1_3genE8ELNS1_11target_archE1030ELNS1_3gpuE2ELNS1_3repE0EEENS1_30default_config_static_selectorELNS0_4arch9wavefront6targetE1EEEvS12_.private_seg_size, 0
	.set _ZN7rocprim17ROCPRIM_400000_NS6detail17trampoline_kernelINS0_13select_configILj256ELj13ELNS0_17block_load_methodE3ELS4_3ELS4_3ELNS0_20block_scan_algorithmE0ELj4294967295EEENS1_25partition_config_selectorILNS1_17partition_subalgoE4EjNS0_10empty_typeEbEEZZNS1_14partition_implILS8_4ELb0ES6_15HIP_vector_typeIjLj2EENS0_17counting_iteratorIjlEEPS9_SG_NS0_5tupleIJPjSI_NS0_16reverse_iteratorISI_EEEEENSH_IJSG_SG_SG_EEES9_SI_JZNS1_25segmented_radix_sort_implINS0_14default_configELb0EPKsPsPKlPlN2at6native12_GLOBAL__N_18offset_tEEE10hipError_tPvRmT1_PNSt15iterator_traitsIS12_E10value_typeET2_T3_PNS13_IS18_E10value_typeET4_jRbjT5_S1E_jjP12ihipStream_tbEUljE_ZNSN_ISO_Lb0ESQ_SR_ST_SU_SY_EESZ_S10_S11_S12_S16_S17_S18_S1B_S1C_jS1D_jS1E_S1E_jjS1G_bEUljE0_EEESZ_S10_S11_S18_S1C_S1E_T6_T7_T9_mT8_S1G_bDpT10_ENKUlT_T0_E_clISt17integral_constantIbLb0EES1T_IbLb1EEEEDaS1P_S1Q_EUlS1P_E_NS1_11comp_targetILNS1_3genE8ELNS1_11target_archE1030ELNS1_3gpuE2ELNS1_3repE0EEENS1_30default_config_static_selectorELNS0_4arch9wavefront6targetE1EEEvS12_.uses_vcc, 0
	.set _ZN7rocprim17ROCPRIM_400000_NS6detail17trampoline_kernelINS0_13select_configILj256ELj13ELNS0_17block_load_methodE3ELS4_3ELS4_3ELNS0_20block_scan_algorithmE0ELj4294967295EEENS1_25partition_config_selectorILNS1_17partition_subalgoE4EjNS0_10empty_typeEbEEZZNS1_14partition_implILS8_4ELb0ES6_15HIP_vector_typeIjLj2EENS0_17counting_iteratorIjlEEPS9_SG_NS0_5tupleIJPjSI_NS0_16reverse_iteratorISI_EEEEENSH_IJSG_SG_SG_EEES9_SI_JZNS1_25segmented_radix_sort_implINS0_14default_configELb0EPKsPsPKlPlN2at6native12_GLOBAL__N_18offset_tEEE10hipError_tPvRmT1_PNSt15iterator_traitsIS12_E10value_typeET2_T3_PNS13_IS18_E10value_typeET4_jRbjT5_S1E_jjP12ihipStream_tbEUljE_ZNSN_ISO_Lb0ESQ_SR_ST_SU_SY_EESZ_S10_S11_S12_S16_S17_S18_S1B_S1C_jS1D_jS1E_S1E_jjS1G_bEUljE0_EEESZ_S10_S11_S18_S1C_S1E_T6_T7_T9_mT8_S1G_bDpT10_ENKUlT_T0_E_clISt17integral_constantIbLb0EES1T_IbLb1EEEEDaS1P_S1Q_EUlS1P_E_NS1_11comp_targetILNS1_3genE8ELNS1_11target_archE1030ELNS1_3gpuE2ELNS1_3repE0EEENS1_30default_config_static_selectorELNS0_4arch9wavefront6targetE1EEEvS12_.uses_flat_scratch, 0
	.set _ZN7rocprim17ROCPRIM_400000_NS6detail17trampoline_kernelINS0_13select_configILj256ELj13ELNS0_17block_load_methodE3ELS4_3ELS4_3ELNS0_20block_scan_algorithmE0ELj4294967295EEENS1_25partition_config_selectorILNS1_17partition_subalgoE4EjNS0_10empty_typeEbEEZZNS1_14partition_implILS8_4ELb0ES6_15HIP_vector_typeIjLj2EENS0_17counting_iteratorIjlEEPS9_SG_NS0_5tupleIJPjSI_NS0_16reverse_iteratorISI_EEEEENSH_IJSG_SG_SG_EEES9_SI_JZNS1_25segmented_radix_sort_implINS0_14default_configELb0EPKsPsPKlPlN2at6native12_GLOBAL__N_18offset_tEEE10hipError_tPvRmT1_PNSt15iterator_traitsIS12_E10value_typeET2_T3_PNS13_IS18_E10value_typeET4_jRbjT5_S1E_jjP12ihipStream_tbEUljE_ZNSN_ISO_Lb0ESQ_SR_ST_SU_SY_EESZ_S10_S11_S12_S16_S17_S18_S1B_S1C_jS1D_jS1E_S1E_jjS1G_bEUljE0_EEESZ_S10_S11_S18_S1C_S1E_T6_T7_T9_mT8_S1G_bDpT10_ENKUlT_T0_E_clISt17integral_constantIbLb0EES1T_IbLb1EEEEDaS1P_S1Q_EUlS1P_E_NS1_11comp_targetILNS1_3genE8ELNS1_11target_archE1030ELNS1_3gpuE2ELNS1_3repE0EEENS1_30default_config_static_selectorELNS0_4arch9wavefront6targetE1EEEvS12_.has_dyn_sized_stack, 0
	.set _ZN7rocprim17ROCPRIM_400000_NS6detail17trampoline_kernelINS0_13select_configILj256ELj13ELNS0_17block_load_methodE3ELS4_3ELS4_3ELNS0_20block_scan_algorithmE0ELj4294967295EEENS1_25partition_config_selectorILNS1_17partition_subalgoE4EjNS0_10empty_typeEbEEZZNS1_14partition_implILS8_4ELb0ES6_15HIP_vector_typeIjLj2EENS0_17counting_iteratorIjlEEPS9_SG_NS0_5tupleIJPjSI_NS0_16reverse_iteratorISI_EEEEENSH_IJSG_SG_SG_EEES9_SI_JZNS1_25segmented_radix_sort_implINS0_14default_configELb0EPKsPsPKlPlN2at6native12_GLOBAL__N_18offset_tEEE10hipError_tPvRmT1_PNSt15iterator_traitsIS12_E10value_typeET2_T3_PNS13_IS18_E10value_typeET4_jRbjT5_S1E_jjP12ihipStream_tbEUljE_ZNSN_ISO_Lb0ESQ_SR_ST_SU_SY_EESZ_S10_S11_S12_S16_S17_S18_S1B_S1C_jS1D_jS1E_S1E_jjS1G_bEUljE0_EEESZ_S10_S11_S18_S1C_S1E_T6_T7_T9_mT8_S1G_bDpT10_ENKUlT_T0_E_clISt17integral_constantIbLb0EES1T_IbLb1EEEEDaS1P_S1Q_EUlS1P_E_NS1_11comp_targetILNS1_3genE8ELNS1_11target_archE1030ELNS1_3gpuE2ELNS1_3repE0EEENS1_30default_config_static_selectorELNS0_4arch9wavefront6targetE1EEEvS12_.has_recursion, 0
	.set _ZN7rocprim17ROCPRIM_400000_NS6detail17trampoline_kernelINS0_13select_configILj256ELj13ELNS0_17block_load_methodE3ELS4_3ELS4_3ELNS0_20block_scan_algorithmE0ELj4294967295EEENS1_25partition_config_selectorILNS1_17partition_subalgoE4EjNS0_10empty_typeEbEEZZNS1_14partition_implILS8_4ELb0ES6_15HIP_vector_typeIjLj2EENS0_17counting_iteratorIjlEEPS9_SG_NS0_5tupleIJPjSI_NS0_16reverse_iteratorISI_EEEEENSH_IJSG_SG_SG_EEES9_SI_JZNS1_25segmented_radix_sort_implINS0_14default_configELb0EPKsPsPKlPlN2at6native12_GLOBAL__N_18offset_tEEE10hipError_tPvRmT1_PNSt15iterator_traitsIS12_E10value_typeET2_T3_PNS13_IS18_E10value_typeET4_jRbjT5_S1E_jjP12ihipStream_tbEUljE_ZNSN_ISO_Lb0ESQ_SR_ST_SU_SY_EESZ_S10_S11_S12_S16_S17_S18_S1B_S1C_jS1D_jS1E_S1E_jjS1G_bEUljE0_EEESZ_S10_S11_S18_S1C_S1E_T6_T7_T9_mT8_S1G_bDpT10_ENKUlT_T0_E_clISt17integral_constantIbLb0EES1T_IbLb1EEEEDaS1P_S1Q_EUlS1P_E_NS1_11comp_targetILNS1_3genE8ELNS1_11target_archE1030ELNS1_3gpuE2ELNS1_3repE0EEENS1_30default_config_static_selectorELNS0_4arch9wavefront6targetE1EEEvS12_.has_indirect_call, 0
	.section	.AMDGPU.csdata,"",@progbits
; Kernel info:
; codeLenInByte = 0
; TotalNumSgprs: 4
; NumVgprs: 0
; ScratchSize: 0
; MemoryBound: 0
; FloatMode: 240
; IeeeMode: 1
; LDSByteSize: 0 bytes/workgroup (compile time only)
; SGPRBlocks: 0
; VGPRBlocks: 0
; NumSGPRsForWavesPerEU: 4
; NumVGPRsForWavesPerEU: 1
; Occupancy: 10
; WaveLimiterHint : 0
; COMPUTE_PGM_RSRC2:SCRATCH_EN: 0
; COMPUTE_PGM_RSRC2:USER_SGPR: 6
; COMPUTE_PGM_RSRC2:TRAP_HANDLER: 0
; COMPUTE_PGM_RSRC2:TGID_X_EN: 1
; COMPUTE_PGM_RSRC2:TGID_Y_EN: 0
; COMPUTE_PGM_RSRC2:TGID_Z_EN: 0
; COMPUTE_PGM_RSRC2:TIDIG_COMP_CNT: 0
	.section	.text._ZN7rocprim17ROCPRIM_400000_NS6detail17trampoline_kernelINS0_13select_configILj256ELj13ELNS0_17block_load_methodE3ELS4_3ELS4_3ELNS0_20block_scan_algorithmE0ELj4294967295EEENS1_25partition_config_selectorILNS1_17partition_subalgoE3EjNS0_10empty_typeEbEEZZNS1_14partition_implILS8_3ELb0ES6_jNS0_17counting_iteratorIjlEEPS9_SE_NS0_5tupleIJPjSE_EEENSF_IJSE_SE_EEES9_SG_JZNS1_25segmented_radix_sort_implINS0_14default_configELb0EPKsPsPKlPlN2at6native12_GLOBAL__N_18offset_tEEE10hipError_tPvRmT1_PNSt15iterator_traitsISY_E10value_typeET2_T3_PNSZ_IS14_E10value_typeET4_jRbjT5_S1A_jjP12ihipStream_tbEUljE_EEESV_SW_SX_S14_S18_S1A_T6_T7_T9_mT8_S1C_bDpT10_ENKUlT_T0_E_clISt17integral_constantIbLb0EES1P_EEDaS1K_S1L_EUlS1K_E_NS1_11comp_targetILNS1_3genE0ELNS1_11target_archE4294967295ELNS1_3gpuE0ELNS1_3repE0EEENS1_30default_config_static_selectorELNS0_4arch9wavefront6targetE1EEEvSY_,"axG",@progbits,_ZN7rocprim17ROCPRIM_400000_NS6detail17trampoline_kernelINS0_13select_configILj256ELj13ELNS0_17block_load_methodE3ELS4_3ELS4_3ELNS0_20block_scan_algorithmE0ELj4294967295EEENS1_25partition_config_selectorILNS1_17partition_subalgoE3EjNS0_10empty_typeEbEEZZNS1_14partition_implILS8_3ELb0ES6_jNS0_17counting_iteratorIjlEEPS9_SE_NS0_5tupleIJPjSE_EEENSF_IJSE_SE_EEES9_SG_JZNS1_25segmented_radix_sort_implINS0_14default_configELb0EPKsPsPKlPlN2at6native12_GLOBAL__N_18offset_tEEE10hipError_tPvRmT1_PNSt15iterator_traitsISY_E10value_typeET2_T3_PNSZ_IS14_E10value_typeET4_jRbjT5_S1A_jjP12ihipStream_tbEUljE_EEESV_SW_SX_S14_S18_S1A_T6_T7_T9_mT8_S1C_bDpT10_ENKUlT_T0_E_clISt17integral_constantIbLb0EES1P_EEDaS1K_S1L_EUlS1K_E_NS1_11comp_targetILNS1_3genE0ELNS1_11target_archE4294967295ELNS1_3gpuE0ELNS1_3repE0EEENS1_30default_config_static_selectorELNS0_4arch9wavefront6targetE1EEEvSY_,comdat
	.globl	_ZN7rocprim17ROCPRIM_400000_NS6detail17trampoline_kernelINS0_13select_configILj256ELj13ELNS0_17block_load_methodE3ELS4_3ELS4_3ELNS0_20block_scan_algorithmE0ELj4294967295EEENS1_25partition_config_selectorILNS1_17partition_subalgoE3EjNS0_10empty_typeEbEEZZNS1_14partition_implILS8_3ELb0ES6_jNS0_17counting_iteratorIjlEEPS9_SE_NS0_5tupleIJPjSE_EEENSF_IJSE_SE_EEES9_SG_JZNS1_25segmented_radix_sort_implINS0_14default_configELb0EPKsPsPKlPlN2at6native12_GLOBAL__N_18offset_tEEE10hipError_tPvRmT1_PNSt15iterator_traitsISY_E10value_typeET2_T3_PNSZ_IS14_E10value_typeET4_jRbjT5_S1A_jjP12ihipStream_tbEUljE_EEESV_SW_SX_S14_S18_S1A_T6_T7_T9_mT8_S1C_bDpT10_ENKUlT_T0_E_clISt17integral_constantIbLb0EES1P_EEDaS1K_S1L_EUlS1K_E_NS1_11comp_targetILNS1_3genE0ELNS1_11target_archE4294967295ELNS1_3gpuE0ELNS1_3repE0EEENS1_30default_config_static_selectorELNS0_4arch9wavefront6targetE1EEEvSY_ ; -- Begin function _ZN7rocprim17ROCPRIM_400000_NS6detail17trampoline_kernelINS0_13select_configILj256ELj13ELNS0_17block_load_methodE3ELS4_3ELS4_3ELNS0_20block_scan_algorithmE0ELj4294967295EEENS1_25partition_config_selectorILNS1_17partition_subalgoE3EjNS0_10empty_typeEbEEZZNS1_14partition_implILS8_3ELb0ES6_jNS0_17counting_iteratorIjlEEPS9_SE_NS0_5tupleIJPjSE_EEENSF_IJSE_SE_EEES9_SG_JZNS1_25segmented_radix_sort_implINS0_14default_configELb0EPKsPsPKlPlN2at6native12_GLOBAL__N_18offset_tEEE10hipError_tPvRmT1_PNSt15iterator_traitsISY_E10value_typeET2_T3_PNSZ_IS14_E10value_typeET4_jRbjT5_S1A_jjP12ihipStream_tbEUljE_EEESV_SW_SX_S14_S18_S1A_T6_T7_T9_mT8_S1C_bDpT10_ENKUlT_T0_E_clISt17integral_constantIbLb0EES1P_EEDaS1K_S1L_EUlS1K_E_NS1_11comp_targetILNS1_3genE0ELNS1_11target_archE4294967295ELNS1_3gpuE0ELNS1_3repE0EEENS1_30default_config_static_selectorELNS0_4arch9wavefront6targetE1EEEvSY_
	.p2align	8
	.type	_ZN7rocprim17ROCPRIM_400000_NS6detail17trampoline_kernelINS0_13select_configILj256ELj13ELNS0_17block_load_methodE3ELS4_3ELS4_3ELNS0_20block_scan_algorithmE0ELj4294967295EEENS1_25partition_config_selectorILNS1_17partition_subalgoE3EjNS0_10empty_typeEbEEZZNS1_14partition_implILS8_3ELb0ES6_jNS0_17counting_iteratorIjlEEPS9_SE_NS0_5tupleIJPjSE_EEENSF_IJSE_SE_EEES9_SG_JZNS1_25segmented_radix_sort_implINS0_14default_configELb0EPKsPsPKlPlN2at6native12_GLOBAL__N_18offset_tEEE10hipError_tPvRmT1_PNSt15iterator_traitsISY_E10value_typeET2_T3_PNSZ_IS14_E10value_typeET4_jRbjT5_S1A_jjP12ihipStream_tbEUljE_EEESV_SW_SX_S14_S18_S1A_T6_T7_T9_mT8_S1C_bDpT10_ENKUlT_T0_E_clISt17integral_constantIbLb0EES1P_EEDaS1K_S1L_EUlS1K_E_NS1_11comp_targetILNS1_3genE0ELNS1_11target_archE4294967295ELNS1_3gpuE0ELNS1_3repE0EEENS1_30default_config_static_selectorELNS0_4arch9wavefront6targetE1EEEvSY_,@function
_ZN7rocprim17ROCPRIM_400000_NS6detail17trampoline_kernelINS0_13select_configILj256ELj13ELNS0_17block_load_methodE3ELS4_3ELS4_3ELNS0_20block_scan_algorithmE0ELj4294967295EEENS1_25partition_config_selectorILNS1_17partition_subalgoE3EjNS0_10empty_typeEbEEZZNS1_14partition_implILS8_3ELb0ES6_jNS0_17counting_iteratorIjlEEPS9_SE_NS0_5tupleIJPjSE_EEENSF_IJSE_SE_EEES9_SG_JZNS1_25segmented_radix_sort_implINS0_14default_configELb0EPKsPsPKlPlN2at6native12_GLOBAL__N_18offset_tEEE10hipError_tPvRmT1_PNSt15iterator_traitsISY_E10value_typeET2_T3_PNSZ_IS14_E10value_typeET4_jRbjT5_S1A_jjP12ihipStream_tbEUljE_EEESV_SW_SX_S14_S18_S1A_T6_T7_T9_mT8_S1C_bDpT10_ENKUlT_T0_E_clISt17integral_constantIbLb0EES1P_EEDaS1K_S1L_EUlS1K_E_NS1_11comp_targetILNS1_3genE0ELNS1_11target_archE4294967295ELNS1_3gpuE0ELNS1_3repE0EEENS1_30default_config_static_selectorELNS0_4arch9wavefront6targetE1EEEvSY_: ; @_ZN7rocprim17ROCPRIM_400000_NS6detail17trampoline_kernelINS0_13select_configILj256ELj13ELNS0_17block_load_methodE3ELS4_3ELS4_3ELNS0_20block_scan_algorithmE0ELj4294967295EEENS1_25partition_config_selectorILNS1_17partition_subalgoE3EjNS0_10empty_typeEbEEZZNS1_14partition_implILS8_3ELb0ES6_jNS0_17counting_iteratorIjlEEPS9_SE_NS0_5tupleIJPjSE_EEENSF_IJSE_SE_EEES9_SG_JZNS1_25segmented_radix_sort_implINS0_14default_configELb0EPKsPsPKlPlN2at6native12_GLOBAL__N_18offset_tEEE10hipError_tPvRmT1_PNSt15iterator_traitsISY_E10value_typeET2_T3_PNSZ_IS14_E10value_typeET4_jRbjT5_S1A_jjP12ihipStream_tbEUljE_EEESV_SW_SX_S14_S18_S1A_T6_T7_T9_mT8_S1C_bDpT10_ENKUlT_T0_E_clISt17integral_constantIbLb0EES1P_EEDaS1K_S1L_EUlS1K_E_NS1_11comp_targetILNS1_3genE0ELNS1_11target_archE4294967295ELNS1_3gpuE0ELNS1_3repE0EEENS1_30default_config_static_selectorELNS0_4arch9wavefront6targetE1EEEvSY_
; %bb.0:
	.section	.rodata,"a",@progbits
	.p2align	6, 0x0
	.amdhsa_kernel _ZN7rocprim17ROCPRIM_400000_NS6detail17trampoline_kernelINS0_13select_configILj256ELj13ELNS0_17block_load_methodE3ELS4_3ELS4_3ELNS0_20block_scan_algorithmE0ELj4294967295EEENS1_25partition_config_selectorILNS1_17partition_subalgoE3EjNS0_10empty_typeEbEEZZNS1_14partition_implILS8_3ELb0ES6_jNS0_17counting_iteratorIjlEEPS9_SE_NS0_5tupleIJPjSE_EEENSF_IJSE_SE_EEES9_SG_JZNS1_25segmented_radix_sort_implINS0_14default_configELb0EPKsPsPKlPlN2at6native12_GLOBAL__N_18offset_tEEE10hipError_tPvRmT1_PNSt15iterator_traitsISY_E10value_typeET2_T3_PNSZ_IS14_E10value_typeET4_jRbjT5_S1A_jjP12ihipStream_tbEUljE_EEESV_SW_SX_S14_S18_S1A_T6_T7_T9_mT8_S1C_bDpT10_ENKUlT_T0_E_clISt17integral_constantIbLb0EES1P_EEDaS1K_S1L_EUlS1K_E_NS1_11comp_targetILNS1_3genE0ELNS1_11target_archE4294967295ELNS1_3gpuE0ELNS1_3repE0EEENS1_30default_config_static_selectorELNS0_4arch9wavefront6targetE1EEEvSY_
		.amdhsa_group_segment_fixed_size 0
		.amdhsa_private_segment_fixed_size 0
		.amdhsa_kernarg_size 144
		.amdhsa_user_sgpr_count 6
		.amdhsa_user_sgpr_private_segment_buffer 1
		.amdhsa_user_sgpr_dispatch_ptr 0
		.amdhsa_user_sgpr_queue_ptr 0
		.amdhsa_user_sgpr_kernarg_segment_ptr 1
		.amdhsa_user_sgpr_dispatch_id 0
		.amdhsa_user_sgpr_flat_scratch_init 0
		.amdhsa_user_sgpr_private_segment_size 0
		.amdhsa_uses_dynamic_stack 0
		.amdhsa_system_sgpr_private_segment_wavefront_offset 0
		.amdhsa_system_sgpr_workgroup_id_x 1
		.amdhsa_system_sgpr_workgroup_id_y 0
		.amdhsa_system_sgpr_workgroup_id_z 0
		.amdhsa_system_sgpr_workgroup_info 0
		.amdhsa_system_vgpr_workitem_id 0
		.amdhsa_next_free_vgpr 1
		.amdhsa_next_free_sgpr 0
		.amdhsa_reserve_vcc 0
		.amdhsa_reserve_flat_scratch 0
		.amdhsa_float_round_mode_32 0
		.amdhsa_float_round_mode_16_64 0
		.amdhsa_float_denorm_mode_32 3
		.amdhsa_float_denorm_mode_16_64 3
		.amdhsa_dx10_clamp 1
		.amdhsa_ieee_mode 1
		.amdhsa_fp16_overflow 0
		.amdhsa_exception_fp_ieee_invalid_op 0
		.amdhsa_exception_fp_denorm_src 0
		.amdhsa_exception_fp_ieee_div_zero 0
		.amdhsa_exception_fp_ieee_overflow 0
		.amdhsa_exception_fp_ieee_underflow 0
		.amdhsa_exception_fp_ieee_inexact 0
		.amdhsa_exception_int_div_zero 0
	.end_amdhsa_kernel
	.section	.text._ZN7rocprim17ROCPRIM_400000_NS6detail17trampoline_kernelINS0_13select_configILj256ELj13ELNS0_17block_load_methodE3ELS4_3ELS4_3ELNS0_20block_scan_algorithmE0ELj4294967295EEENS1_25partition_config_selectorILNS1_17partition_subalgoE3EjNS0_10empty_typeEbEEZZNS1_14partition_implILS8_3ELb0ES6_jNS0_17counting_iteratorIjlEEPS9_SE_NS0_5tupleIJPjSE_EEENSF_IJSE_SE_EEES9_SG_JZNS1_25segmented_radix_sort_implINS0_14default_configELb0EPKsPsPKlPlN2at6native12_GLOBAL__N_18offset_tEEE10hipError_tPvRmT1_PNSt15iterator_traitsISY_E10value_typeET2_T3_PNSZ_IS14_E10value_typeET4_jRbjT5_S1A_jjP12ihipStream_tbEUljE_EEESV_SW_SX_S14_S18_S1A_T6_T7_T9_mT8_S1C_bDpT10_ENKUlT_T0_E_clISt17integral_constantIbLb0EES1P_EEDaS1K_S1L_EUlS1K_E_NS1_11comp_targetILNS1_3genE0ELNS1_11target_archE4294967295ELNS1_3gpuE0ELNS1_3repE0EEENS1_30default_config_static_selectorELNS0_4arch9wavefront6targetE1EEEvSY_,"axG",@progbits,_ZN7rocprim17ROCPRIM_400000_NS6detail17trampoline_kernelINS0_13select_configILj256ELj13ELNS0_17block_load_methodE3ELS4_3ELS4_3ELNS0_20block_scan_algorithmE0ELj4294967295EEENS1_25partition_config_selectorILNS1_17partition_subalgoE3EjNS0_10empty_typeEbEEZZNS1_14partition_implILS8_3ELb0ES6_jNS0_17counting_iteratorIjlEEPS9_SE_NS0_5tupleIJPjSE_EEENSF_IJSE_SE_EEES9_SG_JZNS1_25segmented_radix_sort_implINS0_14default_configELb0EPKsPsPKlPlN2at6native12_GLOBAL__N_18offset_tEEE10hipError_tPvRmT1_PNSt15iterator_traitsISY_E10value_typeET2_T3_PNSZ_IS14_E10value_typeET4_jRbjT5_S1A_jjP12ihipStream_tbEUljE_EEESV_SW_SX_S14_S18_S1A_T6_T7_T9_mT8_S1C_bDpT10_ENKUlT_T0_E_clISt17integral_constantIbLb0EES1P_EEDaS1K_S1L_EUlS1K_E_NS1_11comp_targetILNS1_3genE0ELNS1_11target_archE4294967295ELNS1_3gpuE0ELNS1_3repE0EEENS1_30default_config_static_selectorELNS0_4arch9wavefront6targetE1EEEvSY_,comdat
.Lfunc_end982:
	.size	_ZN7rocprim17ROCPRIM_400000_NS6detail17trampoline_kernelINS0_13select_configILj256ELj13ELNS0_17block_load_methodE3ELS4_3ELS4_3ELNS0_20block_scan_algorithmE0ELj4294967295EEENS1_25partition_config_selectorILNS1_17partition_subalgoE3EjNS0_10empty_typeEbEEZZNS1_14partition_implILS8_3ELb0ES6_jNS0_17counting_iteratorIjlEEPS9_SE_NS0_5tupleIJPjSE_EEENSF_IJSE_SE_EEES9_SG_JZNS1_25segmented_radix_sort_implINS0_14default_configELb0EPKsPsPKlPlN2at6native12_GLOBAL__N_18offset_tEEE10hipError_tPvRmT1_PNSt15iterator_traitsISY_E10value_typeET2_T3_PNSZ_IS14_E10value_typeET4_jRbjT5_S1A_jjP12ihipStream_tbEUljE_EEESV_SW_SX_S14_S18_S1A_T6_T7_T9_mT8_S1C_bDpT10_ENKUlT_T0_E_clISt17integral_constantIbLb0EES1P_EEDaS1K_S1L_EUlS1K_E_NS1_11comp_targetILNS1_3genE0ELNS1_11target_archE4294967295ELNS1_3gpuE0ELNS1_3repE0EEENS1_30default_config_static_selectorELNS0_4arch9wavefront6targetE1EEEvSY_, .Lfunc_end982-_ZN7rocprim17ROCPRIM_400000_NS6detail17trampoline_kernelINS0_13select_configILj256ELj13ELNS0_17block_load_methodE3ELS4_3ELS4_3ELNS0_20block_scan_algorithmE0ELj4294967295EEENS1_25partition_config_selectorILNS1_17partition_subalgoE3EjNS0_10empty_typeEbEEZZNS1_14partition_implILS8_3ELb0ES6_jNS0_17counting_iteratorIjlEEPS9_SE_NS0_5tupleIJPjSE_EEENSF_IJSE_SE_EEES9_SG_JZNS1_25segmented_radix_sort_implINS0_14default_configELb0EPKsPsPKlPlN2at6native12_GLOBAL__N_18offset_tEEE10hipError_tPvRmT1_PNSt15iterator_traitsISY_E10value_typeET2_T3_PNSZ_IS14_E10value_typeET4_jRbjT5_S1A_jjP12ihipStream_tbEUljE_EEESV_SW_SX_S14_S18_S1A_T6_T7_T9_mT8_S1C_bDpT10_ENKUlT_T0_E_clISt17integral_constantIbLb0EES1P_EEDaS1K_S1L_EUlS1K_E_NS1_11comp_targetILNS1_3genE0ELNS1_11target_archE4294967295ELNS1_3gpuE0ELNS1_3repE0EEENS1_30default_config_static_selectorELNS0_4arch9wavefront6targetE1EEEvSY_
                                        ; -- End function
	.set _ZN7rocprim17ROCPRIM_400000_NS6detail17trampoline_kernelINS0_13select_configILj256ELj13ELNS0_17block_load_methodE3ELS4_3ELS4_3ELNS0_20block_scan_algorithmE0ELj4294967295EEENS1_25partition_config_selectorILNS1_17partition_subalgoE3EjNS0_10empty_typeEbEEZZNS1_14partition_implILS8_3ELb0ES6_jNS0_17counting_iteratorIjlEEPS9_SE_NS0_5tupleIJPjSE_EEENSF_IJSE_SE_EEES9_SG_JZNS1_25segmented_radix_sort_implINS0_14default_configELb0EPKsPsPKlPlN2at6native12_GLOBAL__N_18offset_tEEE10hipError_tPvRmT1_PNSt15iterator_traitsISY_E10value_typeET2_T3_PNSZ_IS14_E10value_typeET4_jRbjT5_S1A_jjP12ihipStream_tbEUljE_EEESV_SW_SX_S14_S18_S1A_T6_T7_T9_mT8_S1C_bDpT10_ENKUlT_T0_E_clISt17integral_constantIbLb0EES1P_EEDaS1K_S1L_EUlS1K_E_NS1_11comp_targetILNS1_3genE0ELNS1_11target_archE4294967295ELNS1_3gpuE0ELNS1_3repE0EEENS1_30default_config_static_selectorELNS0_4arch9wavefront6targetE1EEEvSY_.num_vgpr, 0
	.set _ZN7rocprim17ROCPRIM_400000_NS6detail17trampoline_kernelINS0_13select_configILj256ELj13ELNS0_17block_load_methodE3ELS4_3ELS4_3ELNS0_20block_scan_algorithmE0ELj4294967295EEENS1_25partition_config_selectorILNS1_17partition_subalgoE3EjNS0_10empty_typeEbEEZZNS1_14partition_implILS8_3ELb0ES6_jNS0_17counting_iteratorIjlEEPS9_SE_NS0_5tupleIJPjSE_EEENSF_IJSE_SE_EEES9_SG_JZNS1_25segmented_radix_sort_implINS0_14default_configELb0EPKsPsPKlPlN2at6native12_GLOBAL__N_18offset_tEEE10hipError_tPvRmT1_PNSt15iterator_traitsISY_E10value_typeET2_T3_PNSZ_IS14_E10value_typeET4_jRbjT5_S1A_jjP12ihipStream_tbEUljE_EEESV_SW_SX_S14_S18_S1A_T6_T7_T9_mT8_S1C_bDpT10_ENKUlT_T0_E_clISt17integral_constantIbLb0EES1P_EEDaS1K_S1L_EUlS1K_E_NS1_11comp_targetILNS1_3genE0ELNS1_11target_archE4294967295ELNS1_3gpuE0ELNS1_3repE0EEENS1_30default_config_static_selectorELNS0_4arch9wavefront6targetE1EEEvSY_.num_agpr, 0
	.set _ZN7rocprim17ROCPRIM_400000_NS6detail17trampoline_kernelINS0_13select_configILj256ELj13ELNS0_17block_load_methodE3ELS4_3ELS4_3ELNS0_20block_scan_algorithmE0ELj4294967295EEENS1_25partition_config_selectorILNS1_17partition_subalgoE3EjNS0_10empty_typeEbEEZZNS1_14partition_implILS8_3ELb0ES6_jNS0_17counting_iteratorIjlEEPS9_SE_NS0_5tupleIJPjSE_EEENSF_IJSE_SE_EEES9_SG_JZNS1_25segmented_radix_sort_implINS0_14default_configELb0EPKsPsPKlPlN2at6native12_GLOBAL__N_18offset_tEEE10hipError_tPvRmT1_PNSt15iterator_traitsISY_E10value_typeET2_T3_PNSZ_IS14_E10value_typeET4_jRbjT5_S1A_jjP12ihipStream_tbEUljE_EEESV_SW_SX_S14_S18_S1A_T6_T7_T9_mT8_S1C_bDpT10_ENKUlT_T0_E_clISt17integral_constantIbLb0EES1P_EEDaS1K_S1L_EUlS1K_E_NS1_11comp_targetILNS1_3genE0ELNS1_11target_archE4294967295ELNS1_3gpuE0ELNS1_3repE0EEENS1_30default_config_static_selectorELNS0_4arch9wavefront6targetE1EEEvSY_.numbered_sgpr, 0
	.set _ZN7rocprim17ROCPRIM_400000_NS6detail17trampoline_kernelINS0_13select_configILj256ELj13ELNS0_17block_load_methodE3ELS4_3ELS4_3ELNS0_20block_scan_algorithmE0ELj4294967295EEENS1_25partition_config_selectorILNS1_17partition_subalgoE3EjNS0_10empty_typeEbEEZZNS1_14partition_implILS8_3ELb0ES6_jNS0_17counting_iteratorIjlEEPS9_SE_NS0_5tupleIJPjSE_EEENSF_IJSE_SE_EEES9_SG_JZNS1_25segmented_radix_sort_implINS0_14default_configELb0EPKsPsPKlPlN2at6native12_GLOBAL__N_18offset_tEEE10hipError_tPvRmT1_PNSt15iterator_traitsISY_E10value_typeET2_T3_PNSZ_IS14_E10value_typeET4_jRbjT5_S1A_jjP12ihipStream_tbEUljE_EEESV_SW_SX_S14_S18_S1A_T6_T7_T9_mT8_S1C_bDpT10_ENKUlT_T0_E_clISt17integral_constantIbLb0EES1P_EEDaS1K_S1L_EUlS1K_E_NS1_11comp_targetILNS1_3genE0ELNS1_11target_archE4294967295ELNS1_3gpuE0ELNS1_3repE0EEENS1_30default_config_static_selectorELNS0_4arch9wavefront6targetE1EEEvSY_.num_named_barrier, 0
	.set _ZN7rocprim17ROCPRIM_400000_NS6detail17trampoline_kernelINS0_13select_configILj256ELj13ELNS0_17block_load_methodE3ELS4_3ELS4_3ELNS0_20block_scan_algorithmE0ELj4294967295EEENS1_25partition_config_selectorILNS1_17partition_subalgoE3EjNS0_10empty_typeEbEEZZNS1_14partition_implILS8_3ELb0ES6_jNS0_17counting_iteratorIjlEEPS9_SE_NS0_5tupleIJPjSE_EEENSF_IJSE_SE_EEES9_SG_JZNS1_25segmented_radix_sort_implINS0_14default_configELb0EPKsPsPKlPlN2at6native12_GLOBAL__N_18offset_tEEE10hipError_tPvRmT1_PNSt15iterator_traitsISY_E10value_typeET2_T3_PNSZ_IS14_E10value_typeET4_jRbjT5_S1A_jjP12ihipStream_tbEUljE_EEESV_SW_SX_S14_S18_S1A_T6_T7_T9_mT8_S1C_bDpT10_ENKUlT_T0_E_clISt17integral_constantIbLb0EES1P_EEDaS1K_S1L_EUlS1K_E_NS1_11comp_targetILNS1_3genE0ELNS1_11target_archE4294967295ELNS1_3gpuE0ELNS1_3repE0EEENS1_30default_config_static_selectorELNS0_4arch9wavefront6targetE1EEEvSY_.private_seg_size, 0
	.set _ZN7rocprim17ROCPRIM_400000_NS6detail17trampoline_kernelINS0_13select_configILj256ELj13ELNS0_17block_load_methodE3ELS4_3ELS4_3ELNS0_20block_scan_algorithmE0ELj4294967295EEENS1_25partition_config_selectorILNS1_17partition_subalgoE3EjNS0_10empty_typeEbEEZZNS1_14partition_implILS8_3ELb0ES6_jNS0_17counting_iteratorIjlEEPS9_SE_NS0_5tupleIJPjSE_EEENSF_IJSE_SE_EEES9_SG_JZNS1_25segmented_radix_sort_implINS0_14default_configELb0EPKsPsPKlPlN2at6native12_GLOBAL__N_18offset_tEEE10hipError_tPvRmT1_PNSt15iterator_traitsISY_E10value_typeET2_T3_PNSZ_IS14_E10value_typeET4_jRbjT5_S1A_jjP12ihipStream_tbEUljE_EEESV_SW_SX_S14_S18_S1A_T6_T7_T9_mT8_S1C_bDpT10_ENKUlT_T0_E_clISt17integral_constantIbLb0EES1P_EEDaS1K_S1L_EUlS1K_E_NS1_11comp_targetILNS1_3genE0ELNS1_11target_archE4294967295ELNS1_3gpuE0ELNS1_3repE0EEENS1_30default_config_static_selectorELNS0_4arch9wavefront6targetE1EEEvSY_.uses_vcc, 0
	.set _ZN7rocprim17ROCPRIM_400000_NS6detail17trampoline_kernelINS0_13select_configILj256ELj13ELNS0_17block_load_methodE3ELS4_3ELS4_3ELNS0_20block_scan_algorithmE0ELj4294967295EEENS1_25partition_config_selectorILNS1_17partition_subalgoE3EjNS0_10empty_typeEbEEZZNS1_14partition_implILS8_3ELb0ES6_jNS0_17counting_iteratorIjlEEPS9_SE_NS0_5tupleIJPjSE_EEENSF_IJSE_SE_EEES9_SG_JZNS1_25segmented_radix_sort_implINS0_14default_configELb0EPKsPsPKlPlN2at6native12_GLOBAL__N_18offset_tEEE10hipError_tPvRmT1_PNSt15iterator_traitsISY_E10value_typeET2_T3_PNSZ_IS14_E10value_typeET4_jRbjT5_S1A_jjP12ihipStream_tbEUljE_EEESV_SW_SX_S14_S18_S1A_T6_T7_T9_mT8_S1C_bDpT10_ENKUlT_T0_E_clISt17integral_constantIbLb0EES1P_EEDaS1K_S1L_EUlS1K_E_NS1_11comp_targetILNS1_3genE0ELNS1_11target_archE4294967295ELNS1_3gpuE0ELNS1_3repE0EEENS1_30default_config_static_selectorELNS0_4arch9wavefront6targetE1EEEvSY_.uses_flat_scratch, 0
	.set _ZN7rocprim17ROCPRIM_400000_NS6detail17trampoline_kernelINS0_13select_configILj256ELj13ELNS0_17block_load_methodE3ELS4_3ELS4_3ELNS0_20block_scan_algorithmE0ELj4294967295EEENS1_25partition_config_selectorILNS1_17partition_subalgoE3EjNS0_10empty_typeEbEEZZNS1_14partition_implILS8_3ELb0ES6_jNS0_17counting_iteratorIjlEEPS9_SE_NS0_5tupleIJPjSE_EEENSF_IJSE_SE_EEES9_SG_JZNS1_25segmented_radix_sort_implINS0_14default_configELb0EPKsPsPKlPlN2at6native12_GLOBAL__N_18offset_tEEE10hipError_tPvRmT1_PNSt15iterator_traitsISY_E10value_typeET2_T3_PNSZ_IS14_E10value_typeET4_jRbjT5_S1A_jjP12ihipStream_tbEUljE_EEESV_SW_SX_S14_S18_S1A_T6_T7_T9_mT8_S1C_bDpT10_ENKUlT_T0_E_clISt17integral_constantIbLb0EES1P_EEDaS1K_S1L_EUlS1K_E_NS1_11comp_targetILNS1_3genE0ELNS1_11target_archE4294967295ELNS1_3gpuE0ELNS1_3repE0EEENS1_30default_config_static_selectorELNS0_4arch9wavefront6targetE1EEEvSY_.has_dyn_sized_stack, 0
	.set _ZN7rocprim17ROCPRIM_400000_NS6detail17trampoline_kernelINS0_13select_configILj256ELj13ELNS0_17block_load_methodE3ELS4_3ELS4_3ELNS0_20block_scan_algorithmE0ELj4294967295EEENS1_25partition_config_selectorILNS1_17partition_subalgoE3EjNS0_10empty_typeEbEEZZNS1_14partition_implILS8_3ELb0ES6_jNS0_17counting_iteratorIjlEEPS9_SE_NS0_5tupleIJPjSE_EEENSF_IJSE_SE_EEES9_SG_JZNS1_25segmented_radix_sort_implINS0_14default_configELb0EPKsPsPKlPlN2at6native12_GLOBAL__N_18offset_tEEE10hipError_tPvRmT1_PNSt15iterator_traitsISY_E10value_typeET2_T3_PNSZ_IS14_E10value_typeET4_jRbjT5_S1A_jjP12ihipStream_tbEUljE_EEESV_SW_SX_S14_S18_S1A_T6_T7_T9_mT8_S1C_bDpT10_ENKUlT_T0_E_clISt17integral_constantIbLb0EES1P_EEDaS1K_S1L_EUlS1K_E_NS1_11comp_targetILNS1_3genE0ELNS1_11target_archE4294967295ELNS1_3gpuE0ELNS1_3repE0EEENS1_30default_config_static_selectorELNS0_4arch9wavefront6targetE1EEEvSY_.has_recursion, 0
	.set _ZN7rocprim17ROCPRIM_400000_NS6detail17trampoline_kernelINS0_13select_configILj256ELj13ELNS0_17block_load_methodE3ELS4_3ELS4_3ELNS0_20block_scan_algorithmE0ELj4294967295EEENS1_25partition_config_selectorILNS1_17partition_subalgoE3EjNS0_10empty_typeEbEEZZNS1_14partition_implILS8_3ELb0ES6_jNS0_17counting_iteratorIjlEEPS9_SE_NS0_5tupleIJPjSE_EEENSF_IJSE_SE_EEES9_SG_JZNS1_25segmented_radix_sort_implINS0_14default_configELb0EPKsPsPKlPlN2at6native12_GLOBAL__N_18offset_tEEE10hipError_tPvRmT1_PNSt15iterator_traitsISY_E10value_typeET2_T3_PNSZ_IS14_E10value_typeET4_jRbjT5_S1A_jjP12ihipStream_tbEUljE_EEESV_SW_SX_S14_S18_S1A_T6_T7_T9_mT8_S1C_bDpT10_ENKUlT_T0_E_clISt17integral_constantIbLb0EES1P_EEDaS1K_S1L_EUlS1K_E_NS1_11comp_targetILNS1_3genE0ELNS1_11target_archE4294967295ELNS1_3gpuE0ELNS1_3repE0EEENS1_30default_config_static_selectorELNS0_4arch9wavefront6targetE1EEEvSY_.has_indirect_call, 0
	.section	.AMDGPU.csdata,"",@progbits
; Kernel info:
; codeLenInByte = 0
; TotalNumSgprs: 4
; NumVgprs: 0
; ScratchSize: 0
; MemoryBound: 0
; FloatMode: 240
; IeeeMode: 1
; LDSByteSize: 0 bytes/workgroup (compile time only)
; SGPRBlocks: 0
; VGPRBlocks: 0
; NumSGPRsForWavesPerEU: 4
; NumVGPRsForWavesPerEU: 1
; Occupancy: 10
; WaveLimiterHint : 0
; COMPUTE_PGM_RSRC2:SCRATCH_EN: 0
; COMPUTE_PGM_RSRC2:USER_SGPR: 6
; COMPUTE_PGM_RSRC2:TRAP_HANDLER: 0
; COMPUTE_PGM_RSRC2:TGID_X_EN: 1
; COMPUTE_PGM_RSRC2:TGID_Y_EN: 0
; COMPUTE_PGM_RSRC2:TGID_Z_EN: 0
; COMPUTE_PGM_RSRC2:TIDIG_COMP_CNT: 0
	.section	.text._ZN7rocprim17ROCPRIM_400000_NS6detail17trampoline_kernelINS0_13select_configILj256ELj13ELNS0_17block_load_methodE3ELS4_3ELS4_3ELNS0_20block_scan_algorithmE0ELj4294967295EEENS1_25partition_config_selectorILNS1_17partition_subalgoE3EjNS0_10empty_typeEbEEZZNS1_14partition_implILS8_3ELb0ES6_jNS0_17counting_iteratorIjlEEPS9_SE_NS0_5tupleIJPjSE_EEENSF_IJSE_SE_EEES9_SG_JZNS1_25segmented_radix_sort_implINS0_14default_configELb0EPKsPsPKlPlN2at6native12_GLOBAL__N_18offset_tEEE10hipError_tPvRmT1_PNSt15iterator_traitsISY_E10value_typeET2_T3_PNSZ_IS14_E10value_typeET4_jRbjT5_S1A_jjP12ihipStream_tbEUljE_EEESV_SW_SX_S14_S18_S1A_T6_T7_T9_mT8_S1C_bDpT10_ENKUlT_T0_E_clISt17integral_constantIbLb0EES1P_EEDaS1K_S1L_EUlS1K_E_NS1_11comp_targetILNS1_3genE5ELNS1_11target_archE942ELNS1_3gpuE9ELNS1_3repE0EEENS1_30default_config_static_selectorELNS0_4arch9wavefront6targetE1EEEvSY_,"axG",@progbits,_ZN7rocprim17ROCPRIM_400000_NS6detail17trampoline_kernelINS0_13select_configILj256ELj13ELNS0_17block_load_methodE3ELS4_3ELS4_3ELNS0_20block_scan_algorithmE0ELj4294967295EEENS1_25partition_config_selectorILNS1_17partition_subalgoE3EjNS0_10empty_typeEbEEZZNS1_14partition_implILS8_3ELb0ES6_jNS0_17counting_iteratorIjlEEPS9_SE_NS0_5tupleIJPjSE_EEENSF_IJSE_SE_EEES9_SG_JZNS1_25segmented_radix_sort_implINS0_14default_configELb0EPKsPsPKlPlN2at6native12_GLOBAL__N_18offset_tEEE10hipError_tPvRmT1_PNSt15iterator_traitsISY_E10value_typeET2_T3_PNSZ_IS14_E10value_typeET4_jRbjT5_S1A_jjP12ihipStream_tbEUljE_EEESV_SW_SX_S14_S18_S1A_T6_T7_T9_mT8_S1C_bDpT10_ENKUlT_T0_E_clISt17integral_constantIbLb0EES1P_EEDaS1K_S1L_EUlS1K_E_NS1_11comp_targetILNS1_3genE5ELNS1_11target_archE942ELNS1_3gpuE9ELNS1_3repE0EEENS1_30default_config_static_selectorELNS0_4arch9wavefront6targetE1EEEvSY_,comdat
	.globl	_ZN7rocprim17ROCPRIM_400000_NS6detail17trampoline_kernelINS0_13select_configILj256ELj13ELNS0_17block_load_methodE3ELS4_3ELS4_3ELNS0_20block_scan_algorithmE0ELj4294967295EEENS1_25partition_config_selectorILNS1_17partition_subalgoE3EjNS0_10empty_typeEbEEZZNS1_14partition_implILS8_3ELb0ES6_jNS0_17counting_iteratorIjlEEPS9_SE_NS0_5tupleIJPjSE_EEENSF_IJSE_SE_EEES9_SG_JZNS1_25segmented_radix_sort_implINS0_14default_configELb0EPKsPsPKlPlN2at6native12_GLOBAL__N_18offset_tEEE10hipError_tPvRmT1_PNSt15iterator_traitsISY_E10value_typeET2_T3_PNSZ_IS14_E10value_typeET4_jRbjT5_S1A_jjP12ihipStream_tbEUljE_EEESV_SW_SX_S14_S18_S1A_T6_T7_T9_mT8_S1C_bDpT10_ENKUlT_T0_E_clISt17integral_constantIbLb0EES1P_EEDaS1K_S1L_EUlS1K_E_NS1_11comp_targetILNS1_3genE5ELNS1_11target_archE942ELNS1_3gpuE9ELNS1_3repE0EEENS1_30default_config_static_selectorELNS0_4arch9wavefront6targetE1EEEvSY_ ; -- Begin function _ZN7rocprim17ROCPRIM_400000_NS6detail17trampoline_kernelINS0_13select_configILj256ELj13ELNS0_17block_load_methodE3ELS4_3ELS4_3ELNS0_20block_scan_algorithmE0ELj4294967295EEENS1_25partition_config_selectorILNS1_17partition_subalgoE3EjNS0_10empty_typeEbEEZZNS1_14partition_implILS8_3ELb0ES6_jNS0_17counting_iteratorIjlEEPS9_SE_NS0_5tupleIJPjSE_EEENSF_IJSE_SE_EEES9_SG_JZNS1_25segmented_radix_sort_implINS0_14default_configELb0EPKsPsPKlPlN2at6native12_GLOBAL__N_18offset_tEEE10hipError_tPvRmT1_PNSt15iterator_traitsISY_E10value_typeET2_T3_PNSZ_IS14_E10value_typeET4_jRbjT5_S1A_jjP12ihipStream_tbEUljE_EEESV_SW_SX_S14_S18_S1A_T6_T7_T9_mT8_S1C_bDpT10_ENKUlT_T0_E_clISt17integral_constantIbLb0EES1P_EEDaS1K_S1L_EUlS1K_E_NS1_11comp_targetILNS1_3genE5ELNS1_11target_archE942ELNS1_3gpuE9ELNS1_3repE0EEENS1_30default_config_static_selectorELNS0_4arch9wavefront6targetE1EEEvSY_
	.p2align	8
	.type	_ZN7rocprim17ROCPRIM_400000_NS6detail17trampoline_kernelINS0_13select_configILj256ELj13ELNS0_17block_load_methodE3ELS4_3ELS4_3ELNS0_20block_scan_algorithmE0ELj4294967295EEENS1_25partition_config_selectorILNS1_17partition_subalgoE3EjNS0_10empty_typeEbEEZZNS1_14partition_implILS8_3ELb0ES6_jNS0_17counting_iteratorIjlEEPS9_SE_NS0_5tupleIJPjSE_EEENSF_IJSE_SE_EEES9_SG_JZNS1_25segmented_radix_sort_implINS0_14default_configELb0EPKsPsPKlPlN2at6native12_GLOBAL__N_18offset_tEEE10hipError_tPvRmT1_PNSt15iterator_traitsISY_E10value_typeET2_T3_PNSZ_IS14_E10value_typeET4_jRbjT5_S1A_jjP12ihipStream_tbEUljE_EEESV_SW_SX_S14_S18_S1A_T6_T7_T9_mT8_S1C_bDpT10_ENKUlT_T0_E_clISt17integral_constantIbLb0EES1P_EEDaS1K_S1L_EUlS1K_E_NS1_11comp_targetILNS1_3genE5ELNS1_11target_archE942ELNS1_3gpuE9ELNS1_3repE0EEENS1_30default_config_static_selectorELNS0_4arch9wavefront6targetE1EEEvSY_,@function
_ZN7rocprim17ROCPRIM_400000_NS6detail17trampoline_kernelINS0_13select_configILj256ELj13ELNS0_17block_load_methodE3ELS4_3ELS4_3ELNS0_20block_scan_algorithmE0ELj4294967295EEENS1_25partition_config_selectorILNS1_17partition_subalgoE3EjNS0_10empty_typeEbEEZZNS1_14partition_implILS8_3ELb0ES6_jNS0_17counting_iteratorIjlEEPS9_SE_NS0_5tupleIJPjSE_EEENSF_IJSE_SE_EEES9_SG_JZNS1_25segmented_radix_sort_implINS0_14default_configELb0EPKsPsPKlPlN2at6native12_GLOBAL__N_18offset_tEEE10hipError_tPvRmT1_PNSt15iterator_traitsISY_E10value_typeET2_T3_PNSZ_IS14_E10value_typeET4_jRbjT5_S1A_jjP12ihipStream_tbEUljE_EEESV_SW_SX_S14_S18_S1A_T6_T7_T9_mT8_S1C_bDpT10_ENKUlT_T0_E_clISt17integral_constantIbLb0EES1P_EEDaS1K_S1L_EUlS1K_E_NS1_11comp_targetILNS1_3genE5ELNS1_11target_archE942ELNS1_3gpuE9ELNS1_3repE0EEENS1_30default_config_static_selectorELNS0_4arch9wavefront6targetE1EEEvSY_: ; @_ZN7rocprim17ROCPRIM_400000_NS6detail17trampoline_kernelINS0_13select_configILj256ELj13ELNS0_17block_load_methodE3ELS4_3ELS4_3ELNS0_20block_scan_algorithmE0ELj4294967295EEENS1_25partition_config_selectorILNS1_17partition_subalgoE3EjNS0_10empty_typeEbEEZZNS1_14partition_implILS8_3ELb0ES6_jNS0_17counting_iteratorIjlEEPS9_SE_NS0_5tupleIJPjSE_EEENSF_IJSE_SE_EEES9_SG_JZNS1_25segmented_radix_sort_implINS0_14default_configELb0EPKsPsPKlPlN2at6native12_GLOBAL__N_18offset_tEEE10hipError_tPvRmT1_PNSt15iterator_traitsISY_E10value_typeET2_T3_PNSZ_IS14_E10value_typeET4_jRbjT5_S1A_jjP12ihipStream_tbEUljE_EEESV_SW_SX_S14_S18_S1A_T6_T7_T9_mT8_S1C_bDpT10_ENKUlT_T0_E_clISt17integral_constantIbLb0EES1P_EEDaS1K_S1L_EUlS1K_E_NS1_11comp_targetILNS1_3genE5ELNS1_11target_archE942ELNS1_3gpuE9ELNS1_3repE0EEENS1_30default_config_static_selectorELNS0_4arch9wavefront6targetE1EEEvSY_
; %bb.0:
	.section	.rodata,"a",@progbits
	.p2align	6, 0x0
	.amdhsa_kernel _ZN7rocprim17ROCPRIM_400000_NS6detail17trampoline_kernelINS0_13select_configILj256ELj13ELNS0_17block_load_methodE3ELS4_3ELS4_3ELNS0_20block_scan_algorithmE0ELj4294967295EEENS1_25partition_config_selectorILNS1_17partition_subalgoE3EjNS0_10empty_typeEbEEZZNS1_14partition_implILS8_3ELb0ES6_jNS0_17counting_iteratorIjlEEPS9_SE_NS0_5tupleIJPjSE_EEENSF_IJSE_SE_EEES9_SG_JZNS1_25segmented_radix_sort_implINS0_14default_configELb0EPKsPsPKlPlN2at6native12_GLOBAL__N_18offset_tEEE10hipError_tPvRmT1_PNSt15iterator_traitsISY_E10value_typeET2_T3_PNSZ_IS14_E10value_typeET4_jRbjT5_S1A_jjP12ihipStream_tbEUljE_EEESV_SW_SX_S14_S18_S1A_T6_T7_T9_mT8_S1C_bDpT10_ENKUlT_T0_E_clISt17integral_constantIbLb0EES1P_EEDaS1K_S1L_EUlS1K_E_NS1_11comp_targetILNS1_3genE5ELNS1_11target_archE942ELNS1_3gpuE9ELNS1_3repE0EEENS1_30default_config_static_selectorELNS0_4arch9wavefront6targetE1EEEvSY_
		.amdhsa_group_segment_fixed_size 0
		.amdhsa_private_segment_fixed_size 0
		.amdhsa_kernarg_size 144
		.amdhsa_user_sgpr_count 6
		.amdhsa_user_sgpr_private_segment_buffer 1
		.amdhsa_user_sgpr_dispatch_ptr 0
		.amdhsa_user_sgpr_queue_ptr 0
		.amdhsa_user_sgpr_kernarg_segment_ptr 1
		.amdhsa_user_sgpr_dispatch_id 0
		.amdhsa_user_sgpr_flat_scratch_init 0
		.amdhsa_user_sgpr_private_segment_size 0
		.amdhsa_uses_dynamic_stack 0
		.amdhsa_system_sgpr_private_segment_wavefront_offset 0
		.amdhsa_system_sgpr_workgroup_id_x 1
		.amdhsa_system_sgpr_workgroup_id_y 0
		.amdhsa_system_sgpr_workgroup_id_z 0
		.amdhsa_system_sgpr_workgroup_info 0
		.amdhsa_system_vgpr_workitem_id 0
		.amdhsa_next_free_vgpr 1
		.amdhsa_next_free_sgpr 0
		.amdhsa_reserve_vcc 0
		.amdhsa_reserve_flat_scratch 0
		.amdhsa_float_round_mode_32 0
		.amdhsa_float_round_mode_16_64 0
		.amdhsa_float_denorm_mode_32 3
		.amdhsa_float_denorm_mode_16_64 3
		.amdhsa_dx10_clamp 1
		.amdhsa_ieee_mode 1
		.amdhsa_fp16_overflow 0
		.amdhsa_exception_fp_ieee_invalid_op 0
		.amdhsa_exception_fp_denorm_src 0
		.amdhsa_exception_fp_ieee_div_zero 0
		.amdhsa_exception_fp_ieee_overflow 0
		.amdhsa_exception_fp_ieee_underflow 0
		.amdhsa_exception_fp_ieee_inexact 0
		.amdhsa_exception_int_div_zero 0
	.end_amdhsa_kernel
	.section	.text._ZN7rocprim17ROCPRIM_400000_NS6detail17trampoline_kernelINS0_13select_configILj256ELj13ELNS0_17block_load_methodE3ELS4_3ELS4_3ELNS0_20block_scan_algorithmE0ELj4294967295EEENS1_25partition_config_selectorILNS1_17partition_subalgoE3EjNS0_10empty_typeEbEEZZNS1_14partition_implILS8_3ELb0ES6_jNS0_17counting_iteratorIjlEEPS9_SE_NS0_5tupleIJPjSE_EEENSF_IJSE_SE_EEES9_SG_JZNS1_25segmented_radix_sort_implINS0_14default_configELb0EPKsPsPKlPlN2at6native12_GLOBAL__N_18offset_tEEE10hipError_tPvRmT1_PNSt15iterator_traitsISY_E10value_typeET2_T3_PNSZ_IS14_E10value_typeET4_jRbjT5_S1A_jjP12ihipStream_tbEUljE_EEESV_SW_SX_S14_S18_S1A_T6_T7_T9_mT8_S1C_bDpT10_ENKUlT_T0_E_clISt17integral_constantIbLb0EES1P_EEDaS1K_S1L_EUlS1K_E_NS1_11comp_targetILNS1_3genE5ELNS1_11target_archE942ELNS1_3gpuE9ELNS1_3repE0EEENS1_30default_config_static_selectorELNS0_4arch9wavefront6targetE1EEEvSY_,"axG",@progbits,_ZN7rocprim17ROCPRIM_400000_NS6detail17trampoline_kernelINS0_13select_configILj256ELj13ELNS0_17block_load_methodE3ELS4_3ELS4_3ELNS0_20block_scan_algorithmE0ELj4294967295EEENS1_25partition_config_selectorILNS1_17partition_subalgoE3EjNS0_10empty_typeEbEEZZNS1_14partition_implILS8_3ELb0ES6_jNS0_17counting_iteratorIjlEEPS9_SE_NS0_5tupleIJPjSE_EEENSF_IJSE_SE_EEES9_SG_JZNS1_25segmented_radix_sort_implINS0_14default_configELb0EPKsPsPKlPlN2at6native12_GLOBAL__N_18offset_tEEE10hipError_tPvRmT1_PNSt15iterator_traitsISY_E10value_typeET2_T3_PNSZ_IS14_E10value_typeET4_jRbjT5_S1A_jjP12ihipStream_tbEUljE_EEESV_SW_SX_S14_S18_S1A_T6_T7_T9_mT8_S1C_bDpT10_ENKUlT_T0_E_clISt17integral_constantIbLb0EES1P_EEDaS1K_S1L_EUlS1K_E_NS1_11comp_targetILNS1_3genE5ELNS1_11target_archE942ELNS1_3gpuE9ELNS1_3repE0EEENS1_30default_config_static_selectorELNS0_4arch9wavefront6targetE1EEEvSY_,comdat
.Lfunc_end983:
	.size	_ZN7rocprim17ROCPRIM_400000_NS6detail17trampoline_kernelINS0_13select_configILj256ELj13ELNS0_17block_load_methodE3ELS4_3ELS4_3ELNS0_20block_scan_algorithmE0ELj4294967295EEENS1_25partition_config_selectorILNS1_17partition_subalgoE3EjNS0_10empty_typeEbEEZZNS1_14partition_implILS8_3ELb0ES6_jNS0_17counting_iteratorIjlEEPS9_SE_NS0_5tupleIJPjSE_EEENSF_IJSE_SE_EEES9_SG_JZNS1_25segmented_radix_sort_implINS0_14default_configELb0EPKsPsPKlPlN2at6native12_GLOBAL__N_18offset_tEEE10hipError_tPvRmT1_PNSt15iterator_traitsISY_E10value_typeET2_T3_PNSZ_IS14_E10value_typeET4_jRbjT5_S1A_jjP12ihipStream_tbEUljE_EEESV_SW_SX_S14_S18_S1A_T6_T7_T9_mT8_S1C_bDpT10_ENKUlT_T0_E_clISt17integral_constantIbLb0EES1P_EEDaS1K_S1L_EUlS1K_E_NS1_11comp_targetILNS1_3genE5ELNS1_11target_archE942ELNS1_3gpuE9ELNS1_3repE0EEENS1_30default_config_static_selectorELNS0_4arch9wavefront6targetE1EEEvSY_, .Lfunc_end983-_ZN7rocprim17ROCPRIM_400000_NS6detail17trampoline_kernelINS0_13select_configILj256ELj13ELNS0_17block_load_methodE3ELS4_3ELS4_3ELNS0_20block_scan_algorithmE0ELj4294967295EEENS1_25partition_config_selectorILNS1_17partition_subalgoE3EjNS0_10empty_typeEbEEZZNS1_14partition_implILS8_3ELb0ES6_jNS0_17counting_iteratorIjlEEPS9_SE_NS0_5tupleIJPjSE_EEENSF_IJSE_SE_EEES9_SG_JZNS1_25segmented_radix_sort_implINS0_14default_configELb0EPKsPsPKlPlN2at6native12_GLOBAL__N_18offset_tEEE10hipError_tPvRmT1_PNSt15iterator_traitsISY_E10value_typeET2_T3_PNSZ_IS14_E10value_typeET4_jRbjT5_S1A_jjP12ihipStream_tbEUljE_EEESV_SW_SX_S14_S18_S1A_T6_T7_T9_mT8_S1C_bDpT10_ENKUlT_T0_E_clISt17integral_constantIbLb0EES1P_EEDaS1K_S1L_EUlS1K_E_NS1_11comp_targetILNS1_3genE5ELNS1_11target_archE942ELNS1_3gpuE9ELNS1_3repE0EEENS1_30default_config_static_selectorELNS0_4arch9wavefront6targetE1EEEvSY_
                                        ; -- End function
	.set _ZN7rocprim17ROCPRIM_400000_NS6detail17trampoline_kernelINS0_13select_configILj256ELj13ELNS0_17block_load_methodE3ELS4_3ELS4_3ELNS0_20block_scan_algorithmE0ELj4294967295EEENS1_25partition_config_selectorILNS1_17partition_subalgoE3EjNS0_10empty_typeEbEEZZNS1_14partition_implILS8_3ELb0ES6_jNS0_17counting_iteratorIjlEEPS9_SE_NS0_5tupleIJPjSE_EEENSF_IJSE_SE_EEES9_SG_JZNS1_25segmented_radix_sort_implINS0_14default_configELb0EPKsPsPKlPlN2at6native12_GLOBAL__N_18offset_tEEE10hipError_tPvRmT1_PNSt15iterator_traitsISY_E10value_typeET2_T3_PNSZ_IS14_E10value_typeET4_jRbjT5_S1A_jjP12ihipStream_tbEUljE_EEESV_SW_SX_S14_S18_S1A_T6_T7_T9_mT8_S1C_bDpT10_ENKUlT_T0_E_clISt17integral_constantIbLb0EES1P_EEDaS1K_S1L_EUlS1K_E_NS1_11comp_targetILNS1_3genE5ELNS1_11target_archE942ELNS1_3gpuE9ELNS1_3repE0EEENS1_30default_config_static_selectorELNS0_4arch9wavefront6targetE1EEEvSY_.num_vgpr, 0
	.set _ZN7rocprim17ROCPRIM_400000_NS6detail17trampoline_kernelINS0_13select_configILj256ELj13ELNS0_17block_load_methodE3ELS4_3ELS4_3ELNS0_20block_scan_algorithmE0ELj4294967295EEENS1_25partition_config_selectorILNS1_17partition_subalgoE3EjNS0_10empty_typeEbEEZZNS1_14partition_implILS8_3ELb0ES6_jNS0_17counting_iteratorIjlEEPS9_SE_NS0_5tupleIJPjSE_EEENSF_IJSE_SE_EEES9_SG_JZNS1_25segmented_radix_sort_implINS0_14default_configELb0EPKsPsPKlPlN2at6native12_GLOBAL__N_18offset_tEEE10hipError_tPvRmT1_PNSt15iterator_traitsISY_E10value_typeET2_T3_PNSZ_IS14_E10value_typeET4_jRbjT5_S1A_jjP12ihipStream_tbEUljE_EEESV_SW_SX_S14_S18_S1A_T6_T7_T9_mT8_S1C_bDpT10_ENKUlT_T0_E_clISt17integral_constantIbLb0EES1P_EEDaS1K_S1L_EUlS1K_E_NS1_11comp_targetILNS1_3genE5ELNS1_11target_archE942ELNS1_3gpuE9ELNS1_3repE0EEENS1_30default_config_static_selectorELNS0_4arch9wavefront6targetE1EEEvSY_.num_agpr, 0
	.set _ZN7rocprim17ROCPRIM_400000_NS6detail17trampoline_kernelINS0_13select_configILj256ELj13ELNS0_17block_load_methodE3ELS4_3ELS4_3ELNS0_20block_scan_algorithmE0ELj4294967295EEENS1_25partition_config_selectorILNS1_17partition_subalgoE3EjNS0_10empty_typeEbEEZZNS1_14partition_implILS8_3ELb0ES6_jNS0_17counting_iteratorIjlEEPS9_SE_NS0_5tupleIJPjSE_EEENSF_IJSE_SE_EEES9_SG_JZNS1_25segmented_radix_sort_implINS0_14default_configELb0EPKsPsPKlPlN2at6native12_GLOBAL__N_18offset_tEEE10hipError_tPvRmT1_PNSt15iterator_traitsISY_E10value_typeET2_T3_PNSZ_IS14_E10value_typeET4_jRbjT5_S1A_jjP12ihipStream_tbEUljE_EEESV_SW_SX_S14_S18_S1A_T6_T7_T9_mT8_S1C_bDpT10_ENKUlT_T0_E_clISt17integral_constantIbLb0EES1P_EEDaS1K_S1L_EUlS1K_E_NS1_11comp_targetILNS1_3genE5ELNS1_11target_archE942ELNS1_3gpuE9ELNS1_3repE0EEENS1_30default_config_static_selectorELNS0_4arch9wavefront6targetE1EEEvSY_.numbered_sgpr, 0
	.set _ZN7rocprim17ROCPRIM_400000_NS6detail17trampoline_kernelINS0_13select_configILj256ELj13ELNS0_17block_load_methodE3ELS4_3ELS4_3ELNS0_20block_scan_algorithmE0ELj4294967295EEENS1_25partition_config_selectorILNS1_17partition_subalgoE3EjNS0_10empty_typeEbEEZZNS1_14partition_implILS8_3ELb0ES6_jNS0_17counting_iteratorIjlEEPS9_SE_NS0_5tupleIJPjSE_EEENSF_IJSE_SE_EEES9_SG_JZNS1_25segmented_radix_sort_implINS0_14default_configELb0EPKsPsPKlPlN2at6native12_GLOBAL__N_18offset_tEEE10hipError_tPvRmT1_PNSt15iterator_traitsISY_E10value_typeET2_T3_PNSZ_IS14_E10value_typeET4_jRbjT5_S1A_jjP12ihipStream_tbEUljE_EEESV_SW_SX_S14_S18_S1A_T6_T7_T9_mT8_S1C_bDpT10_ENKUlT_T0_E_clISt17integral_constantIbLb0EES1P_EEDaS1K_S1L_EUlS1K_E_NS1_11comp_targetILNS1_3genE5ELNS1_11target_archE942ELNS1_3gpuE9ELNS1_3repE0EEENS1_30default_config_static_selectorELNS0_4arch9wavefront6targetE1EEEvSY_.num_named_barrier, 0
	.set _ZN7rocprim17ROCPRIM_400000_NS6detail17trampoline_kernelINS0_13select_configILj256ELj13ELNS0_17block_load_methodE3ELS4_3ELS4_3ELNS0_20block_scan_algorithmE0ELj4294967295EEENS1_25partition_config_selectorILNS1_17partition_subalgoE3EjNS0_10empty_typeEbEEZZNS1_14partition_implILS8_3ELb0ES6_jNS0_17counting_iteratorIjlEEPS9_SE_NS0_5tupleIJPjSE_EEENSF_IJSE_SE_EEES9_SG_JZNS1_25segmented_radix_sort_implINS0_14default_configELb0EPKsPsPKlPlN2at6native12_GLOBAL__N_18offset_tEEE10hipError_tPvRmT1_PNSt15iterator_traitsISY_E10value_typeET2_T3_PNSZ_IS14_E10value_typeET4_jRbjT5_S1A_jjP12ihipStream_tbEUljE_EEESV_SW_SX_S14_S18_S1A_T6_T7_T9_mT8_S1C_bDpT10_ENKUlT_T0_E_clISt17integral_constantIbLb0EES1P_EEDaS1K_S1L_EUlS1K_E_NS1_11comp_targetILNS1_3genE5ELNS1_11target_archE942ELNS1_3gpuE9ELNS1_3repE0EEENS1_30default_config_static_selectorELNS0_4arch9wavefront6targetE1EEEvSY_.private_seg_size, 0
	.set _ZN7rocprim17ROCPRIM_400000_NS6detail17trampoline_kernelINS0_13select_configILj256ELj13ELNS0_17block_load_methodE3ELS4_3ELS4_3ELNS0_20block_scan_algorithmE0ELj4294967295EEENS1_25partition_config_selectorILNS1_17partition_subalgoE3EjNS0_10empty_typeEbEEZZNS1_14partition_implILS8_3ELb0ES6_jNS0_17counting_iteratorIjlEEPS9_SE_NS0_5tupleIJPjSE_EEENSF_IJSE_SE_EEES9_SG_JZNS1_25segmented_radix_sort_implINS0_14default_configELb0EPKsPsPKlPlN2at6native12_GLOBAL__N_18offset_tEEE10hipError_tPvRmT1_PNSt15iterator_traitsISY_E10value_typeET2_T3_PNSZ_IS14_E10value_typeET4_jRbjT5_S1A_jjP12ihipStream_tbEUljE_EEESV_SW_SX_S14_S18_S1A_T6_T7_T9_mT8_S1C_bDpT10_ENKUlT_T0_E_clISt17integral_constantIbLb0EES1P_EEDaS1K_S1L_EUlS1K_E_NS1_11comp_targetILNS1_3genE5ELNS1_11target_archE942ELNS1_3gpuE9ELNS1_3repE0EEENS1_30default_config_static_selectorELNS0_4arch9wavefront6targetE1EEEvSY_.uses_vcc, 0
	.set _ZN7rocprim17ROCPRIM_400000_NS6detail17trampoline_kernelINS0_13select_configILj256ELj13ELNS0_17block_load_methodE3ELS4_3ELS4_3ELNS0_20block_scan_algorithmE0ELj4294967295EEENS1_25partition_config_selectorILNS1_17partition_subalgoE3EjNS0_10empty_typeEbEEZZNS1_14partition_implILS8_3ELb0ES6_jNS0_17counting_iteratorIjlEEPS9_SE_NS0_5tupleIJPjSE_EEENSF_IJSE_SE_EEES9_SG_JZNS1_25segmented_radix_sort_implINS0_14default_configELb0EPKsPsPKlPlN2at6native12_GLOBAL__N_18offset_tEEE10hipError_tPvRmT1_PNSt15iterator_traitsISY_E10value_typeET2_T3_PNSZ_IS14_E10value_typeET4_jRbjT5_S1A_jjP12ihipStream_tbEUljE_EEESV_SW_SX_S14_S18_S1A_T6_T7_T9_mT8_S1C_bDpT10_ENKUlT_T0_E_clISt17integral_constantIbLb0EES1P_EEDaS1K_S1L_EUlS1K_E_NS1_11comp_targetILNS1_3genE5ELNS1_11target_archE942ELNS1_3gpuE9ELNS1_3repE0EEENS1_30default_config_static_selectorELNS0_4arch9wavefront6targetE1EEEvSY_.uses_flat_scratch, 0
	.set _ZN7rocprim17ROCPRIM_400000_NS6detail17trampoline_kernelINS0_13select_configILj256ELj13ELNS0_17block_load_methodE3ELS4_3ELS4_3ELNS0_20block_scan_algorithmE0ELj4294967295EEENS1_25partition_config_selectorILNS1_17partition_subalgoE3EjNS0_10empty_typeEbEEZZNS1_14partition_implILS8_3ELb0ES6_jNS0_17counting_iteratorIjlEEPS9_SE_NS0_5tupleIJPjSE_EEENSF_IJSE_SE_EEES9_SG_JZNS1_25segmented_radix_sort_implINS0_14default_configELb0EPKsPsPKlPlN2at6native12_GLOBAL__N_18offset_tEEE10hipError_tPvRmT1_PNSt15iterator_traitsISY_E10value_typeET2_T3_PNSZ_IS14_E10value_typeET4_jRbjT5_S1A_jjP12ihipStream_tbEUljE_EEESV_SW_SX_S14_S18_S1A_T6_T7_T9_mT8_S1C_bDpT10_ENKUlT_T0_E_clISt17integral_constantIbLb0EES1P_EEDaS1K_S1L_EUlS1K_E_NS1_11comp_targetILNS1_3genE5ELNS1_11target_archE942ELNS1_3gpuE9ELNS1_3repE0EEENS1_30default_config_static_selectorELNS0_4arch9wavefront6targetE1EEEvSY_.has_dyn_sized_stack, 0
	.set _ZN7rocprim17ROCPRIM_400000_NS6detail17trampoline_kernelINS0_13select_configILj256ELj13ELNS0_17block_load_methodE3ELS4_3ELS4_3ELNS0_20block_scan_algorithmE0ELj4294967295EEENS1_25partition_config_selectorILNS1_17partition_subalgoE3EjNS0_10empty_typeEbEEZZNS1_14partition_implILS8_3ELb0ES6_jNS0_17counting_iteratorIjlEEPS9_SE_NS0_5tupleIJPjSE_EEENSF_IJSE_SE_EEES9_SG_JZNS1_25segmented_radix_sort_implINS0_14default_configELb0EPKsPsPKlPlN2at6native12_GLOBAL__N_18offset_tEEE10hipError_tPvRmT1_PNSt15iterator_traitsISY_E10value_typeET2_T3_PNSZ_IS14_E10value_typeET4_jRbjT5_S1A_jjP12ihipStream_tbEUljE_EEESV_SW_SX_S14_S18_S1A_T6_T7_T9_mT8_S1C_bDpT10_ENKUlT_T0_E_clISt17integral_constantIbLb0EES1P_EEDaS1K_S1L_EUlS1K_E_NS1_11comp_targetILNS1_3genE5ELNS1_11target_archE942ELNS1_3gpuE9ELNS1_3repE0EEENS1_30default_config_static_selectorELNS0_4arch9wavefront6targetE1EEEvSY_.has_recursion, 0
	.set _ZN7rocprim17ROCPRIM_400000_NS6detail17trampoline_kernelINS0_13select_configILj256ELj13ELNS0_17block_load_methodE3ELS4_3ELS4_3ELNS0_20block_scan_algorithmE0ELj4294967295EEENS1_25partition_config_selectorILNS1_17partition_subalgoE3EjNS0_10empty_typeEbEEZZNS1_14partition_implILS8_3ELb0ES6_jNS0_17counting_iteratorIjlEEPS9_SE_NS0_5tupleIJPjSE_EEENSF_IJSE_SE_EEES9_SG_JZNS1_25segmented_radix_sort_implINS0_14default_configELb0EPKsPsPKlPlN2at6native12_GLOBAL__N_18offset_tEEE10hipError_tPvRmT1_PNSt15iterator_traitsISY_E10value_typeET2_T3_PNSZ_IS14_E10value_typeET4_jRbjT5_S1A_jjP12ihipStream_tbEUljE_EEESV_SW_SX_S14_S18_S1A_T6_T7_T9_mT8_S1C_bDpT10_ENKUlT_T0_E_clISt17integral_constantIbLb0EES1P_EEDaS1K_S1L_EUlS1K_E_NS1_11comp_targetILNS1_3genE5ELNS1_11target_archE942ELNS1_3gpuE9ELNS1_3repE0EEENS1_30default_config_static_selectorELNS0_4arch9wavefront6targetE1EEEvSY_.has_indirect_call, 0
	.section	.AMDGPU.csdata,"",@progbits
; Kernel info:
; codeLenInByte = 0
; TotalNumSgprs: 4
; NumVgprs: 0
; ScratchSize: 0
; MemoryBound: 0
; FloatMode: 240
; IeeeMode: 1
; LDSByteSize: 0 bytes/workgroup (compile time only)
; SGPRBlocks: 0
; VGPRBlocks: 0
; NumSGPRsForWavesPerEU: 4
; NumVGPRsForWavesPerEU: 1
; Occupancy: 10
; WaveLimiterHint : 0
; COMPUTE_PGM_RSRC2:SCRATCH_EN: 0
; COMPUTE_PGM_RSRC2:USER_SGPR: 6
; COMPUTE_PGM_RSRC2:TRAP_HANDLER: 0
; COMPUTE_PGM_RSRC2:TGID_X_EN: 1
; COMPUTE_PGM_RSRC2:TGID_Y_EN: 0
; COMPUTE_PGM_RSRC2:TGID_Z_EN: 0
; COMPUTE_PGM_RSRC2:TIDIG_COMP_CNT: 0
	.section	.text._ZN7rocprim17ROCPRIM_400000_NS6detail17trampoline_kernelINS0_13select_configILj256ELj13ELNS0_17block_load_methodE3ELS4_3ELS4_3ELNS0_20block_scan_algorithmE0ELj4294967295EEENS1_25partition_config_selectorILNS1_17partition_subalgoE3EjNS0_10empty_typeEbEEZZNS1_14partition_implILS8_3ELb0ES6_jNS0_17counting_iteratorIjlEEPS9_SE_NS0_5tupleIJPjSE_EEENSF_IJSE_SE_EEES9_SG_JZNS1_25segmented_radix_sort_implINS0_14default_configELb0EPKsPsPKlPlN2at6native12_GLOBAL__N_18offset_tEEE10hipError_tPvRmT1_PNSt15iterator_traitsISY_E10value_typeET2_T3_PNSZ_IS14_E10value_typeET4_jRbjT5_S1A_jjP12ihipStream_tbEUljE_EEESV_SW_SX_S14_S18_S1A_T6_T7_T9_mT8_S1C_bDpT10_ENKUlT_T0_E_clISt17integral_constantIbLb0EES1P_EEDaS1K_S1L_EUlS1K_E_NS1_11comp_targetILNS1_3genE4ELNS1_11target_archE910ELNS1_3gpuE8ELNS1_3repE0EEENS1_30default_config_static_selectorELNS0_4arch9wavefront6targetE1EEEvSY_,"axG",@progbits,_ZN7rocprim17ROCPRIM_400000_NS6detail17trampoline_kernelINS0_13select_configILj256ELj13ELNS0_17block_load_methodE3ELS4_3ELS4_3ELNS0_20block_scan_algorithmE0ELj4294967295EEENS1_25partition_config_selectorILNS1_17partition_subalgoE3EjNS0_10empty_typeEbEEZZNS1_14partition_implILS8_3ELb0ES6_jNS0_17counting_iteratorIjlEEPS9_SE_NS0_5tupleIJPjSE_EEENSF_IJSE_SE_EEES9_SG_JZNS1_25segmented_radix_sort_implINS0_14default_configELb0EPKsPsPKlPlN2at6native12_GLOBAL__N_18offset_tEEE10hipError_tPvRmT1_PNSt15iterator_traitsISY_E10value_typeET2_T3_PNSZ_IS14_E10value_typeET4_jRbjT5_S1A_jjP12ihipStream_tbEUljE_EEESV_SW_SX_S14_S18_S1A_T6_T7_T9_mT8_S1C_bDpT10_ENKUlT_T0_E_clISt17integral_constantIbLb0EES1P_EEDaS1K_S1L_EUlS1K_E_NS1_11comp_targetILNS1_3genE4ELNS1_11target_archE910ELNS1_3gpuE8ELNS1_3repE0EEENS1_30default_config_static_selectorELNS0_4arch9wavefront6targetE1EEEvSY_,comdat
	.globl	_ZN7rocprim17ROCPRIM_400000_NS6detail17trampoline_kernelINS0_13select_configILj256ELj13ELNS0_17block_load_methodE3ELS4_3ELS4_3ELNS0_20block_scan_algorithmE0ELj4294967295EEENS1_25partition_config_selectorILNS1_17partition_subalgoE3EjNS0_10empty_typeEbEEZZNS1_14partition_implILS8_3ELb0ES6_jNS0_17counting_iteratorIjlEEPS9_SE_NS0_5tupleIJPjSE_EEENSF_IJSE_SE_EEES9_SG_JZNS1_25segmented_radix_sort_implINS0_14default_configELb0EPKsPsPKlPlN2at6native12_GLOBAL__N_18offset_tEEE10hipError_tPvRmT1_PNSt15iterator_traitsISY_E10value_typeET2_T3_PNSZ_IS14_E10value_typeET4_jRbjT5_S1A_jjP12ihipStream_tbEUljE_EEESV_SW_SX_S14_S18_S1A_T6_T7_T9_mT8_S1C_bDpT10_ENKUlT_T0_E_clISt17integral_constantIbLb0EES1P_EEDaS1K_S1L_EUlS1K_E_NS1_11comp_targetILNS1_3genE4ELNS1_11target_archE910ELNS1_3gpuE8ELNS1_3repE0EEENS1_30default_config_static_selectorELNS0_4arch9wavefront6targetE1EEEvSY_ ; -- Begin function _ZN7rocprim17ROCPRIM_400000_NS6detail17trampoline_kernelINS0_13select_configILj256ELj13ELNS0_17block_load_methodE3ELS4_3ELS4_3ELNS0_20block_scan_algorithmE0ELj4294967295EEENS1_25partition_config_selectorILNS1_17partition_subalgoE3EjNS0_10empty_typeEbEEZZNS1_14partition_implILS8_3ELb0ES6_jNS0_17counting_iteratorIjlEEPS9_SE_NS0_5tupleIJPjSE_EEENSF_IJSE_SE_EEES9_SG_JZNS1_25segmented_radix_sort_implINS0_14default_configELb0EPKsPsPKlPlN2at6native12_GLOBAL__N_18offset_tEEE10hipError_tPvRmT1_PNSt15iterator_traitsISY_E10value_typeET2_T3_PNSZ_IS14_E10value_typeET4_jRbjT5_S1A_jjP12ihipStream_tbEUljE_EEESV_SW_SX_S14_S18_S1A_T6_T7_T9_mT8_S1C_bDpT10_ENKUlT_T0_E_clISt17integral_constantIbLb0EES1P_EEDaS1K_S1L_EUlS1K_E_NS1_11comp_targetILNS1_3genE4ELNS1_11target_archE910ELNS1_3gpuE8ELNS1_3repE0EEENS1_30default_config_static_selectorELNS0_4arch9wavefront6targetE1EEEvSY_
	.p2align	8
	.type	_ZN7rocprim17ROCPRIM_400000_NS6detail17trampoline_kernelINS0_13select_configILj256ELj13ELNS0_17block_load_methodE3ELS4_3ELS4_3ELNS0_20block_scan_algorithmE0ELj4294967295EEENS1_25partition_config_selectorILNS1_17partition_subalgoE3EjNS0_10empty_typeEbEEZZNS1_14partition_implILS8_3ELb0ES6_jNS0_17counting_iteratorIjlEEPS9_SE_NS0_5tupleIJPjSE_EEENSF_IJSE_SE_EEES9_SG_JZNS1_25segmented_radix_sort_implINS0_14default_configELb0EPKsPsPKlPlN2at6native12_GLOBAL__N_18offset_tEEE10hipError_tPvRmT1_PNSt15iterator_traitsISY_E10value_typeET2_T3_PNSZ_IS14_E10value_typeET4_jRbjT5_S1A_jjP12ihipStream_tbEUljE_EEESV_SW_SX_S14_S18_S1A_T6_T7_T9_mT8_S1C_bDpT10_ENKUlT_T0_E_clISt17integral_constantIbLb0EES1P_EEDaS1K_S1L_EUlS1K_E_NS1_11comp_targetILNS1_3genE4ELNS1_11target_archE910ELNS1_3gpuE8ELNS1_3repE0EEENS1_30default_config_static_selectorELNS0_4arch9wavefront6targetE1EEEvSY_,@function
_ZN7rocprim17ROCPRIM_400000_NS6detail17trampoline_kernelINS0_13select_configILj256ELj13ELNS0_17block_load_methodE3ELS4_3ELS4_3ELNS0_20block_scan_algorithmE0ELj4294967295EEENS1_25partition_config_selectorILNS1_17partition_subalgoE3EjNS0_10empty_typeEbEEZZNS1_14partition_implILS8_3ELb0ES6_jNS0_17counting_iteratorIjlEEPS9_SE_NS0_5tupleIJPjSE_EEENSF_IJSE_SE_EEES9_SG_JZNS1_25segmented_radix_sort_implINS0_14default_configELb0EPKsPsPKlPlN2at6native12_GLOBAL__N_18offset_tEEE10hipError_tPvRmT1_PNSt15iterator_traitsISY_E10value_typeET2_T3_PNSZ_IS14_E10value_typeET4_jRbjT5_S1A_jjP12ihipStream_tbEUljE_EEESV_SW_SX_S14_S18_S1A_T6_T7_T9_mT8_S1C_bDpT10_ENKUlT_T0_E_clISt17integral_constantIbLb0EES1P_EEDaS1K_S1L_EUlS1K_E_NS1_11comp_targetILNS1_3genE4ELNS1_11target_archE910ELNS1_3gpuE8ELNS1_3repE0EEENS1_30default_config_static_selectorELNS0_4arch9wavefront6targetE1EEEvSY_: ; @_ZN7rocprim17ROCPRIM_400000_NS6detail17trampoline_kernelINS0_13select_configILj256ELj13ELNS0_17block_load_methodE3ELS4_3ELS4_3ELNS0_20block_scan_algorithmE0ELj4294967295EEENS1_25partition_config_selectorILNS1_17partition_subalgoE3EjNS0_10empty_typeEbEEZZNS1_14partition_implILS8_3ELb0ES6_jNS0_17counting_iteratorIjlEEPS9_SE_NS0_5tupleIJPjSE_EEENSF_IJSE_SE_EEES9_SG_JZNS1_25segmented_radix_sort_implINS0_14default_configELb0EPKsPsPKlPlN2at6native12_GLOBAL__N_18offset_tEEE10hipError_tPvRmT1_PNSt15iterator_traitsISY_E10value_typeET2_T3_PNSZ_IS14_E10value_typeET4_jRbjT5_S1A_jjP12ihipStream_tbEUljE_EEESV_SW_SX_S14_S18_S1A_T6_T7_T9_mT8_S1C_bDpT10_ENKUlT_T0_E_clISt17integral_constantIbLb0EES1P_EEDaS1K_S1L_EUlS1K_E_NS1_11comp_targetILNS1_3genE4ELNS1_11target_archE910ELNS1_3gpuE8ELNS1_3repE0EEENS1_30default_config_static_selectorELNS0_4arch9wavefront6targetE1EEEvSY_
; %bb.0:
	.section	.rodata,"a",@progbits
	.p2align	6, 0x0
	.amdhsa_kernel _ZN7rocprim17ROCPRIM_400000_NS6detail17trampoline_kernelINS0_13select_configILj256ELj13ELNS0_17block_load_methodE3ELS4_3ELS4_3ELNS0_20block_scan_algorithmE0ELj4294967295EEENS1_25partition_config_selectorILNS1_17partition_subalgoE3EjNS0_10empty_typeEbEEZZNS1_14partition_implILS8_3ELb0ES6_jNS0_17counting_iteratorIjlEEPS9_SE_NS0_5tupleIJPjSE_EEENSF_IJSE_SE_EEES9_SG_JZNS1_25segmented_radix_sort_implINS0_14default_configELb0EPKsPsPKlPlN2at6native12_GLOBAL__N_18offset_tEEE10hipError_tPvRmT1_PNSt15iterator_traitsISY_E10value_typeET2_T3_PNSZ_IS14_E10value_typeET4_jRbjT5_S1A_jjP12ihipStream_tbEUljE_EEESV_SW_SX_S14_S18_S1A_T6_T7_T9_mT8_S1C_bDpT10_ENKUlT_T0_E_clISt17integral_constantIbLb0EES1P_EEDaS1K_S1L_EUlS1K_E_NS1_11comp_targetILNS1_3genE4ELNS1_11target_archE910ELNS1_3gpuE8ELNS1_3repE0EEENS1_30default_config_static_selectorELNS0_4arch9wavefront6targetE1EEEvSY_
		.amdhsa_group_segment_fixed_size 0
		.amdhsa_private_segment_fixed_size 0
		.amdhsa_kernarg_size 144
		.amdhsa_user_sgpr_count 6
		.amdhsa_user_sgpr_private_segment_buffer 1
		.amdhsa_user_sgpr_dispatch_ptr 0
		.amdhsa_user_sgpr_queue_ptr 0
		.amdhsa_user_sgpr_kernarg_segment_ptr 1
		.amdhsa_user_sgpr_dispatch_id 0
		.amdhsa_user_sgpr_flat_scratch_init 0
		.amdhsa_user_sgpr_private_segment_size 0
		.amdhsa_uses_dynamic_stack 0
		.amdhsa_system_sgpr_private_segment_wavefront_offset 0
		.amdhsa_system_sgpr_workgroup_id_x 1
		.amdhsa_system_sgpr_workgroup_id_y 0
		.amdhsa_system_sgpr_workgroup_id_z 0
		.amdhsa_system_sgpr_workgroup_info 0
		.amdhsa_system_vgpr_workitem_id 0
		.amdhsa_next_free_vgpr 1
		.amdhsa_next_free_sgpr 0
		.amdhsa_reserve_vcc 0
		.amdhsa_reserve_flat_scratch 0
		.amdhsa_float_round_mode_32 0
		.amdhsa_float_round_mode_16_64 0
		.amdhsa_float_denorm_mode_32 3
		.amdhsa_float_denorm_mode_16_64 3
		.amdhsa_dx10_clamp 1
		.amdhsa_ieee_mode 1
		.amdhsa_fp16_overflow 0
		.amdhsa_exception_fp_ieee_invalid_op 0
		.amdhsa_exception_fp_denorm_src 0
		.amdhsa_exception_fp_ieee_div_zero 0
		.amdhsa_exception_fp_ieee_overflow 0
		.amdhsa_exception_fp_ieee_underflow 0
		.amdhsa_exception_fp_ieee_inexact 0
		.amdhsa_exception_int_div_zero 0
	.end_amdhsa_kernel
	.section	.text._ZN7rocprim17ROCPRIM_400000_NS6detail17trampoline_kernelINS0_13select_configILj256ELj13ELNS0_17block_load_methodE3ELS4_3ELS4_3ELNS0_20block_scan_algorithmE0ELj4294967295EEENS1_25partition_config_selectorILNS1_17partition_subalgoE3EjNS0_10empty_typeEbEEZZNS1_14partition_implILS8_3ELb0ES6_jNS0_17counting_iteratorIjlEEPS9_SE_NS0_5tupleIJPjSE_EEENSF_IJSE_SE_EEES9_SG_JZNS1_25segmented_radix_sort_implINS0_14default_configELb0EPKsPsPKlPlN2at6native12_GLOBAL__N_18offset_tEEE10hipError_tPvRmT1_PNSt15iterator_traitsISY_E10value_typeET2_T3_PNSZ_IS14_E10value_typeET4_jRbjT5_S1A_jjP12ihipStream_tbEUljE_EEESV_SW_SX_S14_S18_S1A_T6_T7_T9_mT8_S1C_bDpT10_ENKUlT_T0_E_clISt17integral_constantIbLb0EES1P_EEDaS1K_S1L_EUlS1K_E_NS1_11comp_targetILNS1_3genE4ELNS1_11target_archE910ELNS1_3gpuE8ELNS1_3repE0EEENS1_30default_config_static_selectorELNS0_4arch9wavefront6targetE1EEEvSY_,"axG",@progbits,_ZN7rocprim17ROCPRIM_400000_NS6detail17trampoline_kernelINS0_13select_configILj256ELj13ELNS0_17block_load_methodE3ELS4_3ELS4_3ELNS0_20block_scan_algorithmE0ELj4294967295EEENS1_25partition_config_selectorILNS1_17partition_subalgoE3EjNS0_10empty_typeEbEEZZNS1_14partition_implILS8_3ELb0ES6_jNS0_17counting_iteratorIjlEEPS9_SE_NS0_5tupleIJPjSE_EEENSF_IJSE_SE_EEES9_SG_JZNS1_25segmented_radix_sort_implINS0_14default_configELb0EPKsPsPKlPlN2at6native12_GLOBAL__N_18offset_tEEE10hipError_tPvRmT1_PNSt15iterator_traitsISY_E10value_typeET2_T3_PNSZ_IS14_E10value_typeET4_jRbjT5_S1A_jjP12ihipStream_tbEUljE_EEESV_SW_SX_S14_S18_S1A_T6_T7_T9_mT8_S1C_bDpT10_ENKUlT_T0_E_clISt17integral_constantIbLb0EES1P_EEDaS1K_S1L_EUlS1K_E_NS1_11comp_targetILNS1_3genE4ELNS1_11target_archE910ELNS1_3gpuE8ELNS1_3repE0EEENS1_30default_config_static_selectorELNS0_4arch9wavefront6targetE1EEEvSY_,comdat
.Lfunc_end984:
	.size	_ZN7rocprim17ROCPRIM_400000_NS6detail17trampoline_kernelINS0_13select_configILj256ELj13ELNS0_17block_load_methodE3ELS4_3ELS4_3ELNS0_20block_scan_algorithmE0ELj4294967295EEENS1_25partition_config_selectorILNS1_17partition_subalgoE3EjNS0_10empty_typeEbEEZZNS1_14partition_implILS8_3ELb0ES6_jNS0_17counting_iteratorIjlEEPS9_SE_NS0_5tupleIJPjSE_EEENSF_IJSE_SE_EEES9_SG_JZNS1_25segmented_radix_sort_implINS0_14default_configELb0EPKsPsPKlPlN2at6native12_GLOBAL__N_18offset_tEEE10hipError_tPvRmT1_PNSt15iterator_traitsISY_E10value_typeET2_T3_PNSZ_IS14_E10value_typeET4_jRbjT5_S1A_jjP12ihipStream_tbEUljE_EEESV_SW_SX_S14_S18_S1A_T6_T7_T9_mT8_S1C_bDpT10_ENKUlT_T0_E_clISt17integral_constantIbLb0EES1P_EEDaS1K_S1L_EUlS1K_E_NS1_11comp_targetILNS1_3genE4ELNS1_11target_archE910ELNS1_3gpuE8ELNS1_3repE0EEENS1_30default_config_static_selectorELNS0_4arch9wavefront6targetE1EEEvSY_, .Lfunc_end984-_ZN7rocprim17ROCPRIM_400000_NS6detail17trampoline_kernelINS0_13select_configILj256ELj13ELNS0_17block_load_methodE3ELS4_3ELS4_3ELNS0_20block_scan_algorithmE0ELj4294967295EEENS1_25partition_config_selectorILNS1_17partition_subalgoE3EjNS0_10empty_typeEbEEZZNS1_14partition_implILS8_3ELb0ES6_jNS0_17counting_iteratorIjlEEPS9_SE_NS0_5tupleIJPjSE_EEENSF_IJSE_SE_EEES9_SG_JZNS1_25segmented_radix_sort_implINS0_14default_configELb0EPKsPsPKlPlN2at6native12_GLOBAL__N_18offset_tEEE10hipError_tPvRmT1_PNSt15iterator_traitsISY_E10value_typeET2_T3_PNSZ_IS14_E10value_typeET4_jRbjT5_S1A_jjP12ihipStream_tbEUljE_EEESV_SW_SX_S14_S18_S1A_T6_T7_T9_mT8_S1C_bDpT10_ENKUlT_T0_E_clISt17integral_constantIbLb0EES1P_EEDaS1K_S1L_EUlS1K_E_NS1_11comp_targetILNS1_3genE4ELNS1_11target_archE910ELNS1_3gpuE8ELNS1_3repE0EEENS1_30default_config_static_selectorELNS0_4arch9wavefront6targetE1EEEvSY_
                                        ; -- End function
	.set _ZN7rocprim17ROCPRIM_400000_NS6detail17trampoline_kernelINS0_13select_configILj256ELj13ELNS0_17block_load_methodE3ELS4_3ELS4_3ELNS0_20block_scan_algorithmE0ELj4294967295EEENS1_25partition_config_selectorILNS1_17partition_subalgoE3EjNS0_10empty_typeEbEEZZNS1_14partition_implILS8_3ELb0ES6_jNS0_17counting_iteratorIjlEEPS9_SE_NS0_5tupleIJPjSE_EEENSF_IJSE_SE_EEES9_SG_JZNS1_25segmented_radix_sort_implINS0_14default_configELb0EPKsPsPKlPlN2at6native12_GLOBAL__N_18offset_tEEE10hipError_tPvRmT1_PNSt15iterator_traitsISY_E10value_typeET2_T3_PNSZ_IS14_E10value_typeET4_jRbjT5_S1A_jjP12ihipStream_tbEUljE_EEESV_SW_SX_S14_S18_S1A_T6_T7_T9_mT8_S1C_bDpT10_ENKUlT_T0_E_clISt17integral_constantIbLb0EES1P_EEDaS1K_S1L_EUlS1K_E_NS1_11comp_targetILNS1_3genE4ELNS1_11target_archE910ELNS1_3gpuE8ELNS1_3repE0EEENS1_30default_config_static_selectorELNS0_4arch9wavefront6targetE1EEEvSY_.num_vgpr, 0
	.set _ZN7rocprim17ROCPRIM_400000_NS6detail17trampoline_kernelINS0_13select_configILj256ELj13ELNS0_17block_load_methodE3ELS4_3ELS4_3ELNS0_20block_scan_algorithmE0ELj4294967295EEENS1_25partition_config_selectorILNS1_17partition_subalgoE3EjNS0_10empty_typeEbEEZZNS1_14partition_implILS8_3ELb0ES6_jNS0_17counting_iteratorIjlEEPS9_SE_NS0_5tupleIJPjSE_EEENSF_IJSE_SE_EEES9_SG_JZNS1_25segmented_radix_sort_implINS0_14default_configELb0EPKsPsPKlPlN2at6native12_GLOBAL__N_18offset_tEEE10hipError_tPvRmT1_PNSt15iterator_traitsISY_E10value_typeET2_T3_PNSZ_IS14_E10value_typeET4_jRbjT5_S1A_jjP12ihipStream_tbEUljE_EEESV_SW_SX_S14_S18_S1A_T6_T7_T9_mT8_S1C_bDpT10_ENKUlT_T0_E_clISt17integral_constantIbLb0EES1P_EEDaS1K_S1L_EUlS1K_E_NS1_11comp_targetILNS1_3genE4ELNS1_11target_archE910ELNS1_3gpuE8ELNS1_3repE0EEENS1_30default_config_static_selectorELNS0_4arch9wavefront6targetE1EEEvSY_.num_agpr, 0
	.set _ZN7rocprim17ROCPRIM_400000_NS6detail17trampoline_kernelINS0_13select_configILj256ELj13ELNS0_17block_load_methodE3ELS4_3ELS4_3ELNS0_20block_scan_algorithmE0ELj4294967295EEENS1_25partition_config_selectorILNS1_17partition_subalgoE3EjNS0_10empty_typeEbEEZZNS1_14partition_implILS8_3ELb0ES6_jNS0_17counting_iteratorIjlEEPS9_SE_NS0_5tupleIJPjSE_EEENSF_IJSE_SE_EEES9_SG_JZNS1_25segmented_radix_sort_implINS0_14default_configELb0EPKsPsPKlPlN2at6native12_GLOBAL__N_18offset_tEEE10hipError_tPvRmT1_PNSt15iterator_traitsISY_E10value_typeET2_T3_PNSZ_IS14_E10value_typeET4_jRbjT5_S1A_jjP12ihipStream_tbEUljE_EEESV_SW_SX_S14_S18_S1A_T6_T7_T9_mT8_S1C_bDpT10_ENKUlT_T0_E_clISt17integral_constantIbLb0EES1P_EEDaS1K_S1L_EUlS1K_E_NS1_11comp_targetILNS1_3genE4ELNS1_11target_archE910ELNS1_3gpuE8ELNS1_3repE0EEENS1_30default_config_static_selectorELNS0_4arch9wavefront6targetE1EEEvSY_.numbered_sgpr, 0
	.set _ZN7rocprim17ROCPRIM_400000_NS6detail17trampoline_kernelINS0_13select_configILj256ELj13ELNS0_17block_load_methodE3ELS4_3ELS4_3ELNS0_20block_scan_algorithmE0ELj4294967295EEENS1_25partition_config_selectorILNS1_17partition_subalgoE3EjNS0_10empty_typeEbEEZZNS1_14partition_implILS8_3ELb0ES6_jNS0_17counting_iteratorIjlEEPS9_SE_NS0_5tupleIJPjSE_EEENSF_IJSE_SE_EEES9_SG_JZNS1_25segmented_radix_sort_implINS0_14default_configELb0EPKsPsPKlPlN2at6native12_GLOBAL__N_18offset_tEEE10hipError_tPvRmT1_PNSt15iterator_traitsISY_E10value_typeET2_T3_PNSZ_IS14_E10value_typeET4_jRbjT5_S1A_jjP12ihipStream_tbEUljE_EEESV_SW_SX_S14_S18_S1A_T6_T7_T9_mT8_S1C_bDpT10_ENKUlT_T0_E_clISt17integral_constantIbLb0EES1P_EEDaS1K_S1L_EUlS1K_E_NS1_11comp_targetILNS1_3genE4ELNS1_11target_archE910ELNS1_3gpuE8ELNS1_3repE0EEENS1_30default_config_static_selectorELNS0_4arch9wavefront6targetE1EEEvSY_.num_named_barrier, 0
	.set _ZN7rocprim17ROCPRIM_400000_NS6detail17trampoline_kernelINS0_13select_configILj256ELj13ELNS0_17block_load_methodE3ELS4_3ELS4_3ELNS0_20block_scan_algorithmE0ELj4294967295EEENS1_25partition_config_selectorILNS1_17partition_subalgoE3EjNS0_10empty_typeEbEEZZNS1_14partition_implILS8_3ELb0ES6_jNS0_17counting_iteratorIjlEEPS9_SE_NS0_5tupleIJPjSE_EEENSF_IJSE_SE_EEES9_SG_JZNS1_25segmented_radix_sort_implINS0_14default_configELb0EPKsPsPKlPlN2at6native12_GLOBAL__N_18offset_tEEE10hipError_tPvRmT1_PNSt15iterator_traitsISY_E10value_typeET2_T3_PNSZ_IS14_E10value_typeET4_jRbjT5_S1A_jjP12ihipStream_tbEUljE_EEESV_SW_SX_S14_S18_S1A_T6_T7_T9_mT8_S1C_bDpT10_ENKUlT_T0_E_clISt17integral_constantIbLb0EES1P_EEDaS1K_S1L_EUlS1K_E_NS1_11comp_targetILNS1_3genE4ELNS1_11target_archE910ELNS1_3gpuE8ELNS1_3repE0EEENS1_30default_config_static_selectorELNS0_4arch9wavefront6targetE1EEEvSY_.private_seg_size, 0
	.set _ZN7rocprim17ROCPRIM_400000_NS6detail17trampoline_kernelINS0_13select_configILj256ELj13ELNS0_17block_load_methodE3ELS4_3ELS4_3ELNS0_20block_scan_algorithmE0ELj4294967295EEENS1_25partition_config_selectorILNS1_17partition_subalgoE3EjNS0_10empty_typeEbEEZZNS1_14partition_implILS8_3ELb0ES6_jNS0_17counting_iteratorIjlEEPS9_SE_NS0_5tupleIJPjSE_EEENSF_IJSE_SE_EEES9_SG_JZNS1_25segmented_radix_sort_implINS0_14default_configELb0EPKsPsPKlPlN2at6native12_GLOBAL__N_18offset_tEEE10hipError_tPvRmT1_PNSt15iterator_traitsISY_E10value_typeET2_T3_PNSZ_IS14_E10value_typeET4_jRbjT5_S1A_jjP12ihipStream_tbEUljE_EEESV_SW_SX_S14_S18_S1A_T6_T7_T9_mT8_S1C_bDpT10_ENKUlT_T0_E_clISt17integral_constantIbLb0EES1P_EEDaS1K_S1L_EUlS1K_E_NS1_11comp_targetILNS1_3genE4ELNS1_11target_archE910ELNS1_3gpuE8ELNS1_3repE0EEENS1_30default_config_static_selectorELNS0_4arch9wavefront6targetE1EEEvSY_.uses_vcc, 0
	.set _ZN7rocprim17ROCPRIM_400000_NS6detail17trampoline_kernelINS0_13select_configILj256ELj13ELNS0_17block_load_methodE3ELS4_3ELS4_3ELNS0_20block_scan_algorithmE0ELj4294967295EEENS1_25partition_config_selectorILNS1_17partition_subalgoE3EjNS0_10empty_typeEbEEZZNS1_14partition_implILS8_3ELb0ES6_jNS0_17counting_iteratorIjlEEPS9_SE_NS0_5tupleIJPjSE_EEENSF_IJSE_SE_EEES9_SG_JZNS1_25segmented_radix_sort_implINS0_14default_configELb0EPKsPsPKlPlN2at6native12_GLOBAL__N_18offset_tEEE10hipError_tPvRmT1_PNSt15iterator_traitsISY_E10value_typeET2_T3_PNSZ_IS14_E10value_typeET4_jRbjT5_S1A_jjP12ihipStream_tbEUljE_EEESV_SW_SX_S14_S18_S1A_T6_T7_T9_mT8_S1C_bDpT10_ENKUlT_T0_E_clISt17integral_constantIbLb0EES1P_EEDaS1K_S1L_EUlS1K_E_NS1_11comp_targetILNS1_3genE4ELNS1_11target_archE910ELNS1_3gpuE8ELNS1_3repE0EEENS1_30default_config_static_selectorELNS0_4arch9wavefront6targetE1EEEvSY_.uses_flat_scratch, 0
	.set _ZN7rocprim17ROCPRIM_400000_NS6detail17trampoline_kernelINS0_13select_configILj256ELj13ELNS0_17block_load_methodE3ELS4_3ELS4_3ELNS0_20block_scan_algorithmE0ELj4294967295EEENS1_25partition_config_selectorILNS1_17partition_subalgoE3EjNS0_10empty_typeEbEEZZNS1_14partition_implILS8_3ELb0ES6_jNS0_17counting_iteratorIjlEEPS9_SE_NS0_5tupleIJPjSE_EEENSF_IJSE_SE_EEES9_SG_JZNS1_25segmented_radix_sort_implINS0_14default_configELb0EPKsPsPKlPlN2at6native12_GLOBAL__N_18offset_tEEE10hipError_tPvRmT1_PNSt15iterator_traitsISY_E10value_typeET2_T3_PNSZ_IS14_E10value_typeET4_jRbjT5_S1A_jjP12ihipStream_tbEUljE_EEESV_SW_SX_S14_S18_S1A_T6_T7_T9_mT8_S1C_bDpT10_ENKUlT_T0_E_clISt17integral_constantIbLb0EES1P_EEDaS1K_S1L_EUlS1K_E_NS1_11comp_targetILNS1_3genE4ELNS1_11target_archE910ELNS1_3gpuE8ELNS1_3repE0EEENS1_30default_config_static_selectorELNS0_4arch9wavefront6targetE1EEEvSY_.has_dyn_sized_stack, 0
	.set _ZN7rocprim17ROCPRIM_400000_NS6detail17trampoline_kernelINS0_13select_configILj256ELj13ELNS0_17block_load_methodE3ELS4_3ELS4_3ELNS0_20block_scan_algorithmE0ELj4294967295EEENS1_25partition_config_selectorILNS1_17partition_subalgoE3EjNS0_10empty_typeEbEEZZNS1_14partition_implILS8_3ELb0ES6_jNS0_17counting_iteratorIjlEEPS9_SE_NS0_5tupleIJPjSE_EEENSF_IJSE_SE_EEES9_SG_JZNS1_25segmented_radix_sort_implINS0_14default_configELb0EPKsPsPKlPlN2at6native12_GLOBAL__N_18offset_tEEE10hipError_tPvRmT1_PNSt15iterator_traitsISY_E10value_typeET2_T3_PNSZ_IS14_E10value_typeET4_jRbjT5_S1A_jjP12ihipStream_tbEUljE_EEESV_SW_SX_S14_S18_S1A_T6_T7_T9_mT8_S1C_bDpT10_ENKUlT_T0_E_clISt17integral_constantIbLb0EES1P_EEDaS1K_S1L_EUlS1K_E_NS1_11comp_targetILNS1_3genE4ELNS1_11target_archE910ELNS1_3gpuE8ELNS1_3repE0EEENS1_30default_config_static_selectorELNS0_4arch9wavefront6targetE1EEEvSY_.has_recursion, 0
	.set _ZN7rocprim17ROCPRIM_400000_NS6detail17trampoline_kernelINS0_13select_configILj256ELj13ELNS0_17block_load_methodE3ELS4_3ELS4_3ELNS0_20block_scan_algorithmE0ELj4294967295EEENS1_25partition_config_selectorILNS1_17partition_subalgoE3EjNS0_10empty_typeEbEEZZNS1_14partition_implILS8_3ELb0ES6_jNS0_17counting_iteratorIjlEEPS9_SE_NS0_5tupleIJPjSE_EEENSF_IJSE_SE_EEES9_SG_JZNS1_25segmented_radix_sort_implINS0_14default_configELb0EPKsPsPKlPlN2at6native12_GLOBAL__N_18offset_tEEE10hipError_tPvRmT1_PNSt15iterator_traitsISY_E10value_typeET2_T3_PNSZ_IS14_E10value_typeET4_jRbjT5_S1A_jjP12ihipStream_tbEUljE_EEESV_SW_SX_S14_S18_S1A_T6_T7_T9_mT8_S1C_bDpT10_ENKUlT_T0_E_clISt17integral_constantIbLb0EES1P_EEDaS1K_S1L_EUlS1K_E_NS1_11comp_targetILNS1_3genE4ELNS1_11target_archE910ELNS1_3gpuE8ELNS1_3repE0EEENS1_30default_config_static_selectorELNS0_4arch9wavefront6targetE1EEEvSY_.has_indirect_call, 0
	.section	.AMDGPU.csdata,"",@progbits
; Kernel info:
; codeLenInByte = 0
; TotalNumSgprs: 4
; NumVgprs: 0
; ScratchSize: 0
; MemoryBound: 0
; FloatMode: 240
; IeeeMode: 1
; LDSByteSize: 0 bytes/workgroup (compile time only)
; SGPRBlocks: 0
; VGPRBlocks: 0
; NumSGPRsForWavesPerEU: 4
; NumVGPRsForWavesPerEU: 1
; Occupancy: 10
; WaveLimiterHint : 0
; COMPUTE_PGM_RSRC2:SCRATCH_EN: 0
; COMPUTE_PGM_RSRC2:USER_SGPR: 6
; COMPUTE_PGM_RSRC2:TRAP_HANDLER: 0
; COMPUTE_PGM_RSRC2:TGID_X_EN: 1
; COMPUTE_PGM_RSRC2:TGID_Y_EN: 0
; COMPUTE_PGM_RSRC2:TGID_Z_EN: 0
; COMPUTE_PGM_RSRC2:TIDIG_COMP_CNT: 0
	.section	.text._ZN7rocprim17ROCPRIM_400000_NS6detail17trampoline_kernelINS0_13select_configILj256ELj13ELNS0_17block_load_methodE3ELS4_3ELS4_3ELNS0_20block_scan_algorithmE0ELj4294967295EEENS1_25partition_config_selectorILNS1_17partition_subalgoE3EjNS0_10empty_typeEbEEZZNS1_14partition_implILS8_3ELb0ES6_jNS0_17counting_iteratorIjlEEPS9_SE_NS0_5tupleIJPjSE_EEENSF_IJSE_SE_EEES9_SG_JZNS1_25segmented_radix_sort_implINS0_14default_configELb0EPKsPsPKlPlN2at6native12_GLOBAL__N_18offset_tEEE10hipError_tPvRmT1_PNSt15iterator_traitsISY_E10value_typeET2_T3_PNSZ_IS14_E10value_typeET4_jRbjT5_S1A_jjP12ihipStream_tbEUljE_EEESV_SW_SX_S14_S18_S1A_T6_T7_T9_mT8_S1C_bDpT10_ENKUlT_T0_E_clISt17integral_constantIbLb0EES1P_EEDaS1K_S1L_EUlS1K_E_NS1_11comp_targetILNS1_3genE3ELNS1_11target_archE908ELNS1_3gpuE7ELNS1_3repE0EEENS1_30default_config_static_selectorELNS0_4arch9wavefront6targetE1EEEvSY_,"axG",@progbits,_ZN7rocprim17ROCPRIM_400000_NS6detail17trampoline_kernelINS0_13select_configILj256ELj13ELNS0_17block_load_methodE3ELS4_3ELS4_3ELNS0_20block_scan_algorithmE0ELj4294967295EEENS1_25partition_config_selectorILNS1_17partition_subalgoE3EjNS0_10empty_typeEbEEZZNS1_14partition_implILS8_3ELb0ES6_jNS0_17counting_iteratorIjlEEPS9_SE_NS0_5tupleIJPjSE_EEENSF_IJSE_SE_EEES9_SG_JZNS1_25segmented_radix_sort_implINS0_14default_configELb0EPKsPsPKlPlN2at6native12_GLOBAL__N_18offset_tEEE10hipError_tPvRmT1_PNSt15iterator_traitsISY_E10value_typeET2_T3_PNSZ_IS14_E10value_typeET4_jRbjT5_S1A_jjP12ihipStream_tbEUljE_EEESV_SW_SX_S14_S18_S1A_T6_T7_T9_mT8_S1C_bDpT10_ENKUlT_T0_E_clISt17integral_constantIbLb0EES1P_EEDaS1K_S1L_EUlS1K_E_NS1_11comp_targetILNS1_3genE3ELNS1_11target_archE908ELNS1_3gpuE7ELNS1_3repE0EEENS1_30default_config_static_selectorELNS0_4arch9wavefront6targetE1EEEvSY_,comdat
	.globl	_ZN7rocprim17ROCPRIM_400000_NS6detail17trampoline_kernelINS0_13select_configILj256ELj13ELNS0_17block_load_methodE3ELS4_3ELS4_3ELNS0_20block_scan_algorithmE0ELj4294967295EEENS1_25partition_config_selectorILNS1_17partition_subalgoE3EjNS0_10empty_typeEbEEZZNS1_14partition_implILS8_3ELb0ES6_jNS0_17counting_iteratorIjlEEPS9_SE_NS0_5tupleIJPjSE_EEENSF_IJSE_SE_EEES9_SG_JZNS1_25segmented_radix_sort_implINS0_14default_configELb0EPKsPsPKlPlN2at6native12_GLOBAL__N_18offset_tEEE10hipError_tPvRmT1_PNSt15iterator_traitsISY_E10value_typeET2_T3_PNSZ_IS14_E10value_typeET4_jRbjT5_S1A_jjP12ihipStream_tbEUljE_EEESV_SW_SX_S14_S18_S1A_T6_T7_T9_mT8_S1C_bDpT10_ENKUlT_T0_E_clISt17integral_constantIbLb0EES1P_EEDaS1K_S1L_EUlS1K_E_NS1_11comp_targetILNS1_3genE3ELNS1_11target_archE908ELNS1_3gpuE7ELNS1_3repE0EEENS1_30default_config_static_selectorELNS0_4arch9wavefront6targetE1EEEvSY_ ; -- Begin function _ZN7rocprim17ROCPRIM_400000_NS6detail17trampoline_kernelINS0_13select_configILj256ELj13ELNS0_17block_load_methodE3ELS4_3ELS4_3ELNS0_20block_scan_algorithmE0ELj4294967295EEENS1_25partition_config_selectorILNS1_17partition_subalgoE3EjNS0_10empty_typeEbEEZZNS1_14partition_implILS8_3ELb0ES6_jNS0_17counting_iteratorIjlEEPS9_SE_NS0_5tupleIJPjSE_EEENSF_IJSE_SE_EEES9_SG_JZNS1_25segmented_radix_sort_implINS0_14default_configELb0EPKsPsPKlPlN2at6native12_GLOBAL__N_18offset_tEEE10hipError_tPvRmT1_PNSt15iterator_traitsISY_E10value_typeET2_T3_PNSZ_IS14_E10value_typeET4_jRbjT5_S1A_jjP12ihipStream_tbEUljE_EEESV_SW_SX_S14_S18_S1A_T6_T7_T9_mT8_S1C_bDpT10_ENKUlT_T0_E_clISt17integral_constantIbLb0EES1P_EEDaS1K_S1L_EUlS1K_E_NS1_11comp_targetILNS1_3genE3ELNS1_11target_archE908ELNS1_3gpuE7ELNS1_3repE0EEENS1_30default_config_static_selectorELNS0_4arch9wavefront6targetE1EEEvSY_
	.p2align	8
	.type	_ZN7rocprim17ROCPRIM_400000_NS6detail17trampoline_kernelINS0_13select_configILj256ELj13ELNS0_17block_load_methodE3ELS4_3ELS4_3ELNS0_20block_scan_algorithmE0ELj4294967295EEENS1_25partition_config_selectorILNS1_17partition_subalgoE3EjNS0_10empty_typeEbEEZZNS1_14partition_implILS8_3ELb0ES6_jNS0_17counting_iteratorIjlEEPS9_SE_NS0_5tupleIJPjSE_EEENSF_IJSE_SE_EEES9_SG_JZNS1_25segmented_radix_sort_implINS0_14default_configELb0EPKsPsPKlPlN2at6native12_GLOBAL__N_18offset_tEEE10hipError_tPvRmT1_PNSt15iterator_traitsISY_E10value_typeET2_T3_PNSZ_IS14_E10value_typeET4_jRbjT5_S1A_jjP12ihipStream_tbEUljE_EEESV_SW_SX_S14_S18_S1A_T6_T7_T9_mT8_S1C_bDpT10_ENKUlT_T0_E_clISt17integral_constantIbLb0EES1P_EEDaS1K_S1L_EUlS1K_E_NS1_11comp_targetILNS1_3genE3ELNS1_11target_archE908ELNS1_3gpuE7ELNS1_3repE0EEENS1_30default_config_static_selectorELNS0_4arch9wavefront6targetE1EEEvSY_,@function
_ZN7rocprim17ROCPRIM_400000_NS6detail17trampoline_kernelINS0_13select_configILj256ELj13ELNS0_17block_load_methodE3ELS4_3ELS4_3ELNS0_20block_scan_algorithmE0ELj4294967295EEENS1_25partition_config_selectorILNS1_17partition_subalgoE3EjNS0_10empty_typeEbEEZZNS1_14partition_implILS8_3ELb0ES6_jNS0_17counting_iteratorIjlEEPS9_SE_NS0_5tupleIJPjSE_EEENSF_IJSE_SE_EEES9_SG_JZNS1_25segmented_radix_sort_implINS0_14default_configELb0EPKsPsPKlPlN2at6native12_GLOBAL__N_18offset_tEEE10hipError_tPvRmT1_PNSt15iterator_traitsISY_E10value_typeET2_T3_PNSZ_IS14_E10value_typeET4_jRbjT5_S1A_jjP12ihipStream_tbEUljE_EEESV_SW_SX_S14_S18_S1A_T6_T7_T9_mT8_S1C_bDpT10_ENKUlT_T0_E_clISt17integral_constantIbLb0EES1P_EEDaS1K_S1L_EUlS1K_E_NS1_11comp_targetILNS1_3genE3ELNS1_11target_archE908ELNS1_3gpuE7ELNS1_3repE0EEENS1_30default_config_static_selectorELNS0_4arch9wavefront6targetE1EEEvSY_: ; @_ZN7rocprim17ROCPRIM_400000_NS6detail17trampoline_kernelINS0_13select_configILj256ELj13ELNS0_17block_load_methodE3ELS4_3ELS4_3ELNS0_20block_scan_algorithmE0ELj4294967295EEENS1_25partition_config_selectorILNS1_17partition_subalgoE3EjNS0_10empty_typeEbEEZZNS1_14partition_implILS8_3ELb0ES6_jNS0_17counting_iteratorIjlEEPS9_SE_NS0_5tupleIJPjSE_EEENSF_IJSE_SE_EEES9_SG_JZNS1_25segmented_radix_sort_implINS0_14default_configELb0EPKsPsPKlPlN2at6native12_GLOBAL__N_18offset_tEEE10hipError_tPvRmT1_PNSt15iterator_traitsISY_E10value_typeET2_T3_PNSZ_IS14_E10value_typeET4_jRbjT5_S1A_jjP12ihipStream_tbEUljE_EEESV_SW_SX_S14_S18_S1A_T6_T7_T9_mT8_S1C_bDpT10_ENKUlT_T0_E_clISt17integral_constantIbLb0EES1P_EEDaS1K_S1L_EUlS1K_E_NS1_11comp_targetILNS1_3genE3ELNS1_11target_archE908ELNS1_3gpuE7ELNS1_3repE0EEENS1_30default_config_static_selectorELNS0_4arch9wavefront6targetE1EEEvSY_
; %bb.0:
	.section	.rodata,"a",@progbits
	.p2align	6, 0x0
	.amdhsa_kernel _ZN7rocprim17ROCPRIM_400000_NS6detail17trampoline_kernelINS0_13select_configILj256ELj13ELNS0_17block_load_methodE3ELS4_3ELS4_3ELNS0_20block_scan_algorithmE0ELj4294967295EEENS1_25partition_config_selectorILNS1_17partition_subalgoE3EjNS0_10empty_typeEbEEZZNS1_14partition_implILS8_3ELb0ES6_jNS0_17counting_iteratorIjlEEPS9_SE_NS0_5tupleIJPjSE_EEENSF_IJSE_SE_EEES9_SG_JZNS1_25segmented_radix_sort_implINS0_14default_configELb0EPKsPsPKlPlN2at6native12_GLOBAL__N_18offset_tEEE10hipError_tPvRmT1_PNSt15iterator_traitsISY_E10value_typeET2_T3_PNSZ_IS14_E10value_typeET4_jRbjT5_S1A_jjP12ihipStream_tbEUljE_EEESV_SW_SX_S14_S18_S1A_T6_T7_T9_mT8_S1C_bDpT10_ENKUlT_T0_E_clISt17integral_constantIbLb0EES1P_EEDaS1K_S1L_EUlS1K_E_NS1_11comp_targetILNS1_3genE3ELNS1_11target_archE908ELNS1_3gpuE7ELNS1_3repE0EEENS1_30default_config_static_selectorELNS0_4arch9wavefront6targetE1EEEvSY_
		.amdhsa_group_segment_fixed_size 0
		.amdhsa_private_segment_fixed_size 0
		.amdhsa_kernarg_size 144
		.amdhsa_user_sgpr_count 6
		.amdhsa_user_sgpr_private_segment_buffer 1
		.amdhsa_user_sgpr_dispatch_ptr 0
		.amdhsa_user_sgpr_queue_ptr 0
		.amdhsa_user_sgpr_kernarg_segment_ptr 1
		.amdhsa_user_sgpr_dispatch_id 0
		.amdhsa_user_sgpr_flat_scratch_init 0
		.amdhsa_user_sgpr_private_segment_size 0
		.amdhsa_uses_dynamic_stack 0
		.amdhsa_system_sgpr_private_segment_wavefront_offset 0
		.amdhsa_system_sgpr_workgroup_id_x 1
		.amdhsa_system_sgpr_workgroup_id_y 0
		.amdhsa_system_sgpr_workgroup_id_z 0
		.amdhsa_system_sgpr_workgroup_info 0
		.amdhsa_system_vgpr_workitem_id 0
		.amdhsa_next_free_vgpr 1
		.amdhsa_next_free_sgpr 0
		.amdhsa_reserve_vcc 0
		.amdhsa_reserve_flat_scratch 0
		.amdhsa_float_round_mode_32 0
		.amdhsa_float_round_mode_16_64 0
		.amdhsa_float_denorm_mode_32 3
		.amdhsa_float_denorm_mode_16_64 3
		.amdhsa_dx10_clamp 1
		.amdhsa_ieee_mode 1
		.amdhsa_fp16_overflow 0
		.amdhsa_exception_fp_ieee_invalid_op 0
		.amdhsa_exception_fp_denorm_src 0
		.amdhsa_exception_fp_ieee_div_zero 0
		.amdhsa_exception_fp_ieee_overflow 0
		.amdhsa_exception_fp_ieee_underflow 0
		.amdhsa_exception_fp_ieee_inexact 0
		.amdhsa_exception_int_div_zero 0
	.end_amdhsa_kernel
	.section	.text._ZN7rocprim17ROCPRIM_400000_NS6detail17trampoline_kernelINS0_13select_configILj256ELj13ELNS0_17block_load_methodE3ELS4_3ELS4_3ELNS0_20block_scan_algorithmE0ELj4294967295EEENS1_25partition_config_selectorILNS1_17partition_subalgoE3EjNS0_10empty_typeEbEEZZNS1_14partition_implILS8_3ELb0ES6_jNS0_17counting_iteratorIjlEEPS9_SE_NS0_5tupleIJPjSE_EEENSF_IJSE_SE_EEES9_SG_JZNS1_25segmented_radix_sort_implINS0_14default_configELb0EPKsPsPKlPlN2at6native12_GLOBAL__N_18offset_tEEE10hipError_tPvRmT1_PNSt15iterator_traitsISY_E10value_typeET2_T3_PNSZ_IS14_E10value_typeET4_jRbjT5_S1A_jjP12ihipStream_tbEUljE_EEESV_SW_SX_S14_S18_S1A_T6_T7_T9_mT8_S1C_bDpT10_ENKUlT_T0_E_clISt17integral_constantIbLb0EES1P_EEDaS1K_S1L_EUlS1K_E_NS1_11comp_targetILNS1_3genE3ELNS1_11target_archE908ELNS1_3gpuE7ELNS1_3repE0EEENS1_30default_config_static_selectorELNS0_4arch9wavefront6targetE1EEEvSY_,"axG",@progbits,_ZN7rocprim17ROCPRIM_400000_NS6detail17trampoline_kernelINS0_13select_configILj256ELj13ELNS0_17block_load_methodE3ELS4_3ELS4_3ELNS0_20block_scan_algorithmE0ELj4294967295EEENS1_25partition_config_selectorILNS1_17partition_subalgoE3EjNS0_10empty_typeEbEEZZNS1_14partition_implILS8_3ELb0ES6_jNS0_17counting_iteratorIjlEEPS9_SE_NS0_5tupleIJPjSE_EEENSF_IJSE_SE_EEES9_SG_JZNS1_25segmented_radix_sort_implINS0_14default_configELb0EPKsPsPKlPlN2at6native12_GLOBAL__N_18offset_tEEE10hipError_tPvRmT1_PNSt15iterator_traitsISY_E10value_typeET2_T3_PNSZ_IS14_E10value_typeET4_jRbjT5_S1A_jjP12ihipStream_tbEUljE_EEESV_SW_SX_S14_S18_S1A_T6_T7_T9_mT8_S1C_bDpT10_ENKUlT_T0_E_clISt17integral_constantIbLb0EES1P_EEDaS1K_S1L_EUlS1K_E_NS1_11comp_targetILNS1_3genE3ELNS1_11target_archE908ELNS1_3gpuE7ELNS1_3repE0EEENS1_30default_config_static_selectorELNS0_4arch9wavefront6targetE1EEEvSY_,comdat
.Lfunc_end985:
	.size	_ZN7rocprim17ROCPRIM_400000_NS6detail17trampoline_kernelINS0_13select_configILj256ELj13ELNS0_17block_load_methodE3ELS4_3ELS4_3ELNS0_20block_scan_algorithmE0ELj4294967295EEENS1_25partition_config_selectorILNS1_17partition_subalgoE3EjNS0_10empty_typeEbEEZZNS1_14partition_implILS8_3ELb0ES6_jNS0_17counting_iteratorIjlEEPS9_SE_NS0_5tupleIJPjSE_EEENSF_IJSE_SE_EEES9_SG_JZNS1_25segmented_radix_sort_implINS0_14default_configELb0EPKsPsPKlPlN2at6native12_GLOBAL__N_18offset_tEEE10hipError_tPvRmT1_PNSt15iterator_traitsISY_E10value_typeET2_T3_PNSZ_IS14_E10value_typeET4_jRbjT5_S1A_jjP12ihipStream_tbEUljE_EEESV_SW_SX_S14_S18_S1A_T6_T7_T9_mT8_S1C_bDpT10_ENKUlT_T0_E_clISt17integral_constantIbLb0EES1P_EEDaS1K_S1L_EUlS1K_E_NS1_11comp_targetILNS1_3genE3ELNS1_11target_archE908ELNS1_3gpuE7ELNS1_3repE0EEENS1_30default_config_static_selectorELNS0_4arch9wavefront6targetE1EEEvSY_, .Lfunc_end985-_ZN7rocprim17ROCPRIM_400000_NS6detail17trampoline_kernelINS0_13select_configILj256ELj13ELNS0_17block_load_methodE3ELS4_3ELS4_3ELNS0_20block_scan_algorithmE0ELj4294967295EEENS1_25partition_config_selectorILNS1_17partition_subalgoE3EjNS0_10empty_typeEbEEZZNS1_14partition_implILS8_3ELb0ES6_jNS0_17counting_iteratorIjlEEPS9_SE_NS0_5tupleIJPjSE_EEENSF_IJSE_SE_EEES9_SG_JZNS1_25segmented_radix_sort_implINS0_14default_configELb0EPKsPsPKlPlN2at6native12_GLOBAL__N_18offset_tEEE10hipError_tPvRmT1_PNSt15iterator_traitsISY_E10value_typeET2_T3_PNSZ_IS14_E10value_typeET4_jRbjT5_S1A_jjP12ihipStream_tbEUljE_EEESV_SW_SX_S14_S18_S1A_T6_T7_T9_mT8_S1C_bDpT10_ENKUlT_T0_E_clISt17integral_constantIbLb0EES1P_EEDaS1K_S1L_EUlS1K_E_NS1_11comp_targetILNS1_3genE3ELNS1_11target_archE908ELNS1_3gpuE7ELNS1_3repE0EEENS1_30default_config_static_selectorELNS0_4arch9wavefront6targetE1EEEvSY_
                                        ; -- End function
	.set _ZN7rocprim17ROCPRIM_400000_NS6detail17trampoline_kernelINS0_13select_configILj256ELj13ELNS0_17block_load_methodE3ELS4_3ELS4_3ELNS0_20block_scan_algorithmE0ELj4294967295EEENS1_25partition_config_selectorILNS1_17partition_subalgoE3EjNS0_10empty_typeEbEEZZNS1_14partition_implILS8_3ELb0ES6_jNS0_17counting_iteratorIjlEEPS9_SE_NS0_5tupleIJPjSE_EEENSF_IJSE_SE_EEES9_SG_JZNS1_25segmented_radix_sort_implINS0_14default_configELb0EPKsPsPKlPlN2at6native12_GLOBAL__N_18offset_tEEE10hipError_tPvRmT1_PNSt15iterator_traitsISY_E10value_typeET2_T3_PNSZ_IS14_E10value_typeET4_jRbjT5_S1A_jjP12ihipStream_tbEUljE_EEESV_SW_SX_S14_S18_S1A_T6_T7_T9_mT8_S1C_bDpT10_ENKUlT_T0_E_clISt17integral_constantIbLb0EES1P_EEDaS1K_S1L_EUlS1K_E_NS1_11comp_targetILNS1_3genE3ELNS1_11target_archE908ELNS1_3gpuE7ELNS1_3repE0EEENS1_30default_config_static_selectorELNS0_4arch9wavefront6targetE1EEEvSY_.num_vgpr, 0
	.set _ZN7rocprim17ROCPRIM_400000_NS6detail17trampoline_kernelINS0_13select_configILj256ELj13ELNS0_17block_load_methodE3ELS4_3ELS4_3ELNS0_20block_scan_algorithmE0ELj4294967295EEENS1_25partition_config_selectorILNS1_17partition_subalgoE3EjNS0_10empty_typeEbEEZZNS1_14partition_implILS8_3ELb0ES6_jNS0_17counting_iteratorIjlEEPS9_SE_NS0_5tupleIJPjSE_EEENSF_IJSE_SE_EEES9_SG_JZNS1_25segmented_radix_sort_implINS0_14default_configELb0EPKsPsPKlPlN2at6native12_GLOBAL__N_18offset_tEEE10hipError_tPvRmT1_PNSt15iterator_traitsISY_E10value_typeET2_T3_PNSZ_IS14_E10value_typeET4_jRbjT5_S1A_jjP12ihipStream_tbEUljE_EEESV_SW_SX_S14_S18_S1A_T6_T7_T9_mT8_S1C_bDpT10_ENKUlT_T0_E_clISt17integral_constantIbLb0EES1P_EEDaS1K_S1L_EUlS1K_E_NS1_11comp_targetILNS1_3genE3ELNS1_11target_archE908ELNS1_3gpuE7ELNS1_3repE0EEENS1_30default_config_static_selectorELNS0_4arch9wavefront6targetE1EEEvSY_.num_agpr, 0
	.set _ZN7rocprim17ROCPRIM_400000_NS6detail17trampoline_kernelINS0_13select_configILj256ELj13ELNS0_17block_load_methodE3ELS4_3ELS4_3ELNS0_20block_scan_algorithmE0ELj4294967295EEENS1_25partition_config_selectorILNS1_17partition_subalgoE3EjNS0_10empty_typeEbEEZZNS1_14partition_implILS8_3ELb0ES6_jNS0_17counting_iteratorIjlEEPS9_SE_NS0_5tupleIJPjSE_EEENSF_IJSE_SE_EEES9_SG_JZNS1_25segmented_radix_sort_implINS0_14default_configELb0EPKsPsPKlPlN2at6native12_GLOBAL__N_18offset_tEEE10hipError_tPvRmT1_PNSt15iterator_traitsISY_E10value_typeET2_T3_PNSZ_IS14_E10value_typeET4_jRbjT5_S1A_jjP12ihipStream_tbEUljE_EEESV_SW_SX_S14_S18_S1A_T6_T7_T9_mT8_S1C_bDpT10_ENKUlT_T0_E_clISt17integral_constantIbLb0EES1P_EEDaS1K_S1L_EUlS1K_E_NS1_11comp_targetILNS1_3genE3ELNS1_11target_archE908ELNS1_3gpuE7ELNS1_3repE0EEENS1_30default_config_static_selectorELNS0_4arch9wavefront6targetE1EEEvSY_.numbered_sgpr, 0
	.set _ZN7rocprim17ROCPRIM_400000_NS6detail17trampoline_kernelINS0_13select_configILj256ELj13ELNS0_17block_load_methodE3ELS4_3ELS4_3ELNS0_20block_scan_algorithmE0ELj4294967295EEENS1_25partition_config_selectorILNS1_17partition_subalgoE3EjNS0_10empty_typeEbEEZZNS1_14partition_implILS8_3ELb0ES6_jNS0_17counting_iteratorIjlEEPS9_SE_NS0_5tupleIJPjSE_EEENSF_IJSE_SE_EEES9_SG_JZNS1_25segmented_radix_sort_implINS0_14default_configELb0EPKsPsPKlPlN2at6native12_GLOBAL__N_18offset_tEEE10hipError_tPvRmT1_PNSt15iterator_traitsISY_E10value_typeET2_T3_PNSZ_IS14_E10value_typeET4_jRbjT5_S1A_jjP12ihipStream_tbEUljE_EEESV_SW_SX_S14_S18_S1A_T6_T7_T9_mT8_S1C_bDpT10_ENKUlT_T0_E_clISt17integral_constantIbLb0EES1P_EEDaS1K_S1L_EUlS1K_E_NS1_11comp_targetILNS1_3genE3ELNS1_11target_archE908ELNS1_3gpuE7ELNS1_3repE0EEENS1_30default_config_static_selectorELNS0_4arch9wavefront6targetE1EEEvSY_.num_named_barrier, 0
	.set _ZN7rocprim17ROCPRIM_400000_NS6detail17trampoline_kernelINS0_13select_configILj256ELj13ELNS0_17block_load_methodE3ELS4_3ELS4_3ELNS0_20block_scan_algorithmE0ELj4294967295EEENS1_25partition_config_selectorILNS1_17partition_subalgoE3EjNS0_10empty_typeEbEEZZNS1_14partition_implILS8_3ELb0ES6_jNS0_17counting_iteratorIjlEEPS9_SE_NS0_5tupleIJPjSE_EEENSF_IJSE_SE_EEES9_SG_JZNS1_25segmented_radix_sort_implINS0_14default_configELb0EPKsPsPKlPlN2at6native12_GLOBAL__N_18offset_tEEE10hipError_tPvRmT1_PNSt15iterator_traitsISY_E10value_typeET2_T3_PNSZ_IS14_E10value_typeET4_jRbjT5_S1A_jjP12ihipStream_tbEUljE_EEESV_SW_SX_S14_S18_S1A_T6_T7_T9_mT8_S1C_bDpT10_ENKUlT_T0_E_clISt17integral_constantIbLb0EES1P_EEDaS1K_S1L_EUlS1K_E_NS1_11comp_targetILNS1_3genE3ELNS1_11target_archE908ELNS1_3gpuE7ELNS1_3repE0EEENS1_30default_config_static_selectorELNS0_4arch9wavefront6targetE1EEEvSY_.private_seg_size, 0
	.set _ZN7rocprim17ROCPRIM_400000_NS6detail17trampoline_kernelINS0_13select_configILj256ELj13ELNS0_17block_load_methodE3ELS4_3ELS4_3ELNS0_20block_scan_algorithmE0ELj4294967295EEENS1_25partition_config_selectorILNS1_17partition_subalgoE3EjNS0_10empty_typeEbEEZZNS1_14partition_implILS8_3ELb0ES6_jNS0_17counting_iteratorIjlEEPS9_SE_NS0_5tupleIJPjSE_EEENSF_IJSE_SE_EEES9_SG_JZNS1_25segmented_radix_sort_implINS0_14default_configELb0EPKsPsPKlPlN2at6native12_GLOBAL__N_18offset_tEEE10hipError_tPvRmT1_PNSt15iterator_traitsISY_E10value_typeET2_T3_PNSZ_IS14_E10value_typeET4_jRbjT5_S1A_jjP12ihipStream_tbEUljE_EEESV_SW_SX_S14_S18_S1A_T6_T7_T9_mT8_S1C_bDpT10_ENKUlT_T0_E_clISt17integral_constantIbLb0EES1P_EEDaS1K_S1L_EUlS1K_E_NS1_11comp_targetILNS1_3genE3ELNS1_11target_archE908ELNS1_3gpuE7ELNS1_3repE0EEENS1_30default_config_static_selectorELNS0_4arch9wavefront6targetE1EEEvSY_.uses_vcc, 0
	.set _ZN7rocprim17ROCPRIM_400000_NS6detail17trampoline_kernelINS0_13select_configILj256ELj13ELNS0_17block_load_methodE3ELS4_3ELS4_3ELNS0_20block_scan_algorithmE0ELj4294967295EEENS1_25partition_config_selectorILNS1_17partition_subalgoE3EjNS0_10empty_typeEbEEZZNS1_14partition_implILS8_3ELb0ES6_jNS0_17counting_iteratorIjlEEPS9_SE_NS0_5tupleIJPjSE_EEENSF_IJSE_SE_EEES9_SG_JZNS1_25segmented_radix_sort_implINS0_14default_configELb0EPKsPsPKlPlN2at6native12_GLOBAL__N_18offset_tEEE10hipError_tPvRmT1_PNSt15iterator_traitsISY_E10value_typeET2_T3_PNSZ_IS14_E10value_typeET4_jRbjT5_S1A_jjP12ihipStream_tbEUljE_EEESV_SW_SX_S14_S18_S1A_T6_T7_T9_mT8_S1C_bDpT10_ENKUlT_T0_E_clISt17integral_constantIbLb0EES1P_EEDaS1K_S1L_EUlS1K_E_NS1_11comp_targetILNS1_3genE3ELNS1_11target_archE908ELNS1_3gpuE7ELNS1_3repE0EEENS1_30default_config_static_selectorELNS0_4arch9wavefront6targetE1EEEvSY_.uses_flat_scratch, 0
	.set _ZN7rocprim17ROCPRIM_400000_NS6detail17trampoline_kernelINS0_13select_configILj256ELj13ELNS0_17block_load_methodE3ELS4_3ELS4_3ELNS0_20block_scan_algorithmE0ELj4294967295EEENS1_25partition_config_selectorILNS1_17partition_subalgoE3EjNS0_10empty_typeEbEEZZNS1_14partition_implILS8_3ELb0ES6_jNS0_17counting_iteratorIjlEEPS9_SE_NS0_5tupleIJPjSE_EEENSF_IJSE_SE_EEES9_SG_JZNS1_25segmented_radix_sort_implINS0_14default_configELb0EPKsPsPKlPlN2at6native12_GLOBAL__N_18offset_tEEE10hipError_tPvRmT1_PNSt15iterator_traitsISY_E10value_typeET2_T3_PNSZ_IS14_E10value_typeET4_jRbjT5_S1A_jjP12ihipStream_tbEUljE_EEESV_SW_SX_S14_S18_S1A_T6_T7_T9_mT8_S1C_bDpT10_ENKUlT_T0_E_clISt17integral_constantIbLb0EES1P_EEDaS1K_S1L_EUlS1K_E_NS1_11comp_targetILNS1_3genE3ELNS1_11target_archE908ELNS1_3gpuE7ELNS1_3repE0EEENS1_30default_config_static_selectorELNS0_4arch9wavefront6targetE1EEEvSY_.has_dyn_sized_stack, 0
	.set _ZN7rocprim17ROCPRIM_400000_NS6detail17trampoline_kernelINS0_13select_configILj256ELj13ELNS0_17block_load_methodE3ELS4_3ELS4_3ELNS0_20block_scan_algorithmE0ELj4294967295EEENS1_25partition_config_selectorILNS1_17partition_subalgoE3EjNS0_10empty_typeEbEEZZNS1_14partition_implILS8_3ELb0ES6_jNS0_17counting_iteratorIjlEEPS9_SE_NS0_5tupleIJPjSE_EEENSF_IJSE_SE_EEES9_SG_JZNS1_25segmented_radix_sort_implINS0_14default_configELb0EPKsPsPKlPlN2at6native12_GLOBAL__N_18offset_tEEE10hipError_tPvRmT1_PNSt15iterator_traitsISY_E10value_typeET2_T3_PNSZ_IS14_E10value_typeET4_jRbjT5_S1A_jjP12ihipStream_tbEUljE_EEESV_SW_SX_S14_S18_S1A_T6_T7_T9_mT8_S1C_bDpT10_ENKUlT_T0_E_clISt17integral_constantIbLb0EES1P_EEDaS1K_S1L_EUlS1K_E_NS1_11comp_targetILNS1_3genE3ELNS1_11target_archE908ELNS1_3gpuE7ELNS1_3repE0EEENS1_30default_config_static_selectorELNS0_4arch9wavefront6targetE1EEEvSY_.has_recursion, 0
	.set _ZN7rocprim17ROCPRIM_400000_NS6detail17trampoline_kernelINS0_13select_configILj256ELj13ELNS0_17block_load_methodE3ELS4_3ELS4_3ELNS0_20block_scan_algorithmE0ELj4294967295EEENS1_25partition_config_selectorILNS1_17partition_subalgoE3EjNS0_10empty_typeEbEEZZNS1_14partition_implILS8_3ELb0ES6_jNS0_17counting_iteratorIjlEEPS9_SE_NS0_5tupleIJPjSE_EEENSF_IJSE_SE_EEES9_SG_JZNS1_25segmented_radix_sort_implINS0_14default_configELb0EPKsPsPKlPlN2at6native12_GLOBAL__N_18offset_tEEE10hipError_tPvRmT1_PNSt15iterator_traitsISY_E10value_typeET2_T3_PNSZ_IS14_E10value_typeET4_jRbjT5_S1A_jjP12ihipStream_tbEUljE_EEESV_SW_SX_S14_S18_S1A_T6_T7_T9_mT8_S1C_bDpT10_ENKUlT_T0_E_clISt17integral_constantIbLb0EES1P_EEDaS1K_S1L_EUlS1K_E_NS1_11comp_targetILNS1_3genE3ELNS1_11target_archE908ELNS1_3gpuE7ELNS1_3repE0EEENS1_30default_config_static_selectorELNS0_4arch9wavefront6targetE1EEEvSY_.has_indirect_call, 0
	.section	.AMDGPU.csdata,"",@progbits
; Kernel info:
; codeLenInByte = 0
; TotalNumSgprs: 4
; NumVgprs: 0
; ScratchSize: 0
; MemoryBound: 0
; FloatMode: 240
; IeeeMode: 1
; LDSByteSize: 0 bytes/workgroup (compile time only)
; SGPRBlocks: 0
; VGPRBlocks: 0
; NumSGPRsForWavesPerEU: 4
; NumVGPRsForWavesPerEU: 1
; Occupancy: 10
; WaveLimiterHint : 0
; COMPUTE_PGM_RSRC2:SCRATCH_EN: 0
; COMPUTE_PGM_RSRC2:USER_SGPR: 6
; COMPUTE_PGM_RSRC2:TRAP_HANDLER: 0
; COMPUTE_PGM_RSRC2:TGID_X_EN: 1
; COMPUTE_PGM_RSRC2:TGID_Y_EN: 0
; COMPUTE_PGM_RSRC2:TGID_Z_EN: 0
; COMPUTE_PGM_RSRC2:TIDIG_COMP_CNT: 0
	.section	.text._ZN7rocprim17ROCPRIM_400000_NS6detail17trampoline_kernelINS0_13select_configILj256ELj13ELNS0_17block_load_methodE3ELS4_3ELS4_3ELNS0_20block_scan_algorithmE0ELj4294967295EEENS1_25partition_config_selectorILNS1_17partition_subalgoE3EjNS0_10empty_typeEbEEZZNS1_14partition_implILS8_3ELb0ES6_jNS0_17counting_iteratorIjlEEPS9_SE_NS0_5tupleIJPjSE_EEENSF_IJSE_SE_EEES9_SG_JZNS1_25segmented_radix_sort_implINS0_14default_configELb0EPKsPsPKlPlN2at6native12_GLOBAL__N_18offset_tEEE10hipError_tPvRmT1_PNSt15iterator_traitsISY_E10value_typeET2_T3_PNSZ_IS14_E10value_typeET4_jRbjT5_S1A_jjP12ihipStream_tbEUljE_EEESV_SW_SX_S14_S18_S1A_T6_T7_T9_mT8_S1C_bDpT10_ENKUlT_T0_E_clISt17integral_constantIbLb0EES1P_EEDaS1K_S1L_EUlS1K_E_NS1_11comp_targetILNS1_3genE2ELNS1_11target_archE906ELNS1_3gpuE6ELNS1_3repE0EEENS1_30default_config_static_selectorELNS0_4arch9wavefront6targetE1EEEvSY_,"axG",@progbits,_ZN7rocprim17ROCPRIM_400000_NS6detail17trampoline_kernelINS0_13select_configILj256ELj13ELNS0_17block_load_methodE3ELS4_3ELS4_3ELNS0_20block_scan_algorithmE0ELj4294967295EEENS1_25partition_config_selectorILNS1_17partition_subalgoE3EjNS0_10empty_typeEbEEZZNS1_14partition_implILS8_3ELb0ES6_jNS0_17counting_iteratorIjlEEPS9_SE_NS0_5tupleIJPjSE_EEENSF_IJSE_SE_EEES9_SG_JZNS1_25segmented_radix_sort_implINS0_14default_configELb0EPKsPsPKlPlN2at6native12_GLOBAL__N_18offset_tEEE10hipError_tPvRmT1_PNSt15iterator_traitsISY_E10value_typeET2_T3_PNSZ_IS14_E10value_typeET4_jRbjT5_S1A_jjP12ihipStream_tbEUljE_EEESV_SW_SX_S14_S18_S1A_T6_T7_T9_mT8_S1C_bDpT10_ENKUlT_T0_E_clISt17integral_constantIbLb0EES1P_EEDaS1K_S1L_EUlS1K_E_NS1_11comp_targetILNS1_3genE2ELNS1_11target_archE906ELNS1_3gpuE6ELNS1_3repE0EEENS1_30default_config_static_selectorELNS0_4arch9wavefront6targetE1EEEvSY_,comdat
	.globl	_ZN7rocprim17ROCPRIM_400000_NS6detail17trampoline_kernelINS0_13select_configILj256ELj13ELNS0_17block_load_methodE3ELS4_3ELS4_3ELNS0_20block_scan_algorithmE0ELj4294967295EEENS1_25partition_config_selectorILNS1_17partition_subalgoE3EjNS0_10empty_typeEbEEZZNS1_14partition_implILS8_3ELb0ES6_jNS0_17counting_iteratorIjlEEPS9_SE_NS0_5tupleIJPjSE_EEENSF_IJSE_SE_EEES9_SG_JZNS1_25segmented_radix_sort_implINS0_14default_configELb0EPKsPsPKlPlN2at6native12_GLOBAL__N_18offset_tEEE10hipError_tPvRmT1_PNSt15iterator_traitsISY_E10value_typeET2_T3_PNSZ_IS14_E10value_typeET4_jRbjT5_S1A_jjP12ihipStream_tbEUljE_EEESV_SW_SX_S14_S18_S1A_T6_T7_T9_mT8_S1C_bDpT10_ENKUlT_T0_E_clISt17integral_constantIbLb0EES1P_EEDaS1K_S1L_EUlS1K_E_NS1_11comp_targetILNS1_3genE2ELNS1_11target_archE906ELNS1_3gpuE6ELNS1_3repE0EEENS1_30default_config_static_selectorELNS0_4arch9wavefront6targetE1EEEvSY_ ; -- Begin function _ZN7rocprim17ROCPRIM_400000_NS6detail17trampoline_kernelINS0_13select_configILj256ELj13ELNS0_17block_load_methodE3ELS4_3ELS4_3ELNS0_20block_scan_algorithmE0ELj4294967295EEENS1_25partition_config_selectorILNS1_17partition_subalgoE3EjNS0_10empty_typeEbEEZZNS1_14partition_implILS8_3ELb0ES6_jNS0_17counting_iteratorIjlEEPS9_SE_NS0_5tupleIJPjSE_EEENSF_IJSE_SE_EEES9_SG_JZNS1_25segmented_radix_sort_implINS0_14default_configELb0EPKsPsPKlPlN2at6native12_GLOBAL__N_18offset_tEEE10hipError_tPvRmT1_PNSt15iterator_traitsISY_E10value_typeET2_T3_PNSZ_IS14_E10value_typeET4_jRbjT5_S1A_jjP12ihipStream_tbEUljE_EEESV_SW_SX_S14_S18_S1A_T6_T7_T9_mT8_S1C_bDpT10_ENKUlT_T0_E_clISt17integral_constantIbLb0EES1P_EEDaS1K_S1L_EUlS1K_E_NS1_11comp_targetILNS1_3genE2ELNS1_11target_archE906ELNS1_3gpuE6ELNS1_3repE0EEENS1_30default_config_static_selectorELNS0_4arch9wavefront6targetE1EEEvSY_
	.p2align	8
	.type	_ZN7rocprim17ROCPRIM_400000_NS6detail17trampoline_kernelINS0_13select_configILj256ELj13ELNS0_17block_load_methodE3ELS4_3ELS4_3ELNS0_20block_scan_algorithmE0ELj4294967295EEENS1_25partition_config_selectorILNS1_17partition_subalgoE3EjNS0_10empty_typeEbEEZZNS1_14partition_implILS8_3ELb0ES6_jNS0_17counting_iteratorIjlEEPS9_SE_NS0_5tupleIJPjSE_EEENSF_IJSE_SE_EEES9_SG_JZNS1_25segmented_radix_sort_implINS0_14default_configELb0EPKsPsPKlPlN2at6native12_GLOBAL__N_18offset_tEEE10hipError_tPvRmT1_PNSt15iterator_traitsISY_E10value_typeET2_T3_PNSZ_IS14_E10value_typeET4_jRbjT5_S1A_jjP12ihipStream_tbEUljE_EEESV_SW_SX_S14_S18_S1A_T6_T7_T9_mT8_S1C_bDpT10_ENKUlT_T0_E_clISt17integral_constantIbLb0EES1P_EEDaS1K_S1L_EUlS1K_E_NS1_11comp_targetILNS1_3genE2ELNS1_11target_archE906ELNS1_3gpuE6ELNS1_3repE0EEENS1_30default_config_static_selectorELNS0_4arch9wavefront6targetE1EEEvSY_,@function
_ZN7rocprim17ROCPRIM_400000_NS6detail17trampoline_kernelINS0_13select_configILj256ELj13ELNS0_17block_load_methodE3ELS4_3ELS4_3ELNS0_20block_scan_algorithmE0ELj4294967295EEENS1_25partition_config_selectorILNS1_17partition_subalgoE3EjNS0_10empty_typeEbEEZZNS1_14partition_implILS8_3ELb0ES6_jNS0_17counting_iteratorIjlEEPS9_SE_NS0_5tupleIJPjSE_EEENSF_IJSE_SE_EEES9_SG_JZNS1_25segmented_radix_sort_implINS0_14default_configELb0EPKsPsPKlPlN2at6native12_GLOBAL__N_18offset_tEEE10hipError_tPvRmT1_PNSt15iterator_traitsISY_E10value_typeET2_T3_PNSZ_IS14_E10value_typeET4_jRbjT5_S1A_jjP12ihipStream_tbEUljE_EEESV_SW_SX_S14_S18_S1A_T6_T7_T9_mT8_S1C_bDpT10_ENKUlT_T0_E_clISt17integral_constantIbLb0EES1P_EEDaS1K_S1L_EUlS1K_E_NS1_11comp_targetILNS1_3genE2ELNS1_11target_archE906ELNS1_3gpuE6ELNS1_3repE0EEENS1_30default_config_static_selectorELNS0_4arch9wavefront6targetE1EEEvSY_: ; @_ZN7rocprim17ROCPRIM_400000_NS6detail17trampoline_kernelINS0_13select_configILj256ELj13ELNS0_17block_load_methodE3ELS4_3ELS4_3ELNS0_20block_scan_algorithmE0ELj4294967295EEENS1_25partition_config_selectorILNS1_17partition_subalgoE3EjNS0_10empty_typeEbEEZZNS1_14partition_implILS8_3ELb0ES6_jNS0_17counting_iteratorIjlEEPS9_SE_NS0_5tupleIJPjSE_EEENSF_IJSE_SE_EEES9_SG_JZNS1_25segmented_radix_sort_implINS0_14default_configELb0EPKsPsPKlPlN2at6native12_GLOBAL__N_18offset_tEEE10hipError_tPvRmT1_PNSt15iterator_traitsISY_E10value_typeET2_T3_PNSZ_IS14_E10value_typeET4_jRbjT5_S1A_jjP12ihipStream_tbEUljE_EEESV_SW_SX_S14_S18_S1A_T6_T7_T9_mT8_S1C_bDpT10_ENKUlT_T0_E_clISt17integral_constantIbLb0EES1P_EEDaS1K_S1L_EUlS1K_E_NS1_11comp_targetILNS1_3genE2ELNS1_11target_archE906ELNS1_3gpuE6ELNS1_3repE0EEENS1_30default_config_static_selectorELNS0_4arch9wavefront6targetE1EEEvSY_
; %bb.0:
	s_load_dwordx2 s[28:29], s[4:5], 0x58
	s_load_dwordx4 s[24:27], s[4:5], 0x48
	s_load_dword s12, s[4:5], 0x8
	s_load_dwordx2 s[30:31], s[4:5], 0x10
	s_load_dword s0, s[4:5], 0x70
	s_load_dword s7, s[4:5], 0x88
	s_load_dwordx4 s[8:11], s[4:5], 0x78
	s_waitcnt lgkmcnt(0)
	s_load_dwordx2 s[34:35], s[26:27], 0x0
	s_mul_i32 s44, s6, 0xd00
	s_add_i32 s2, s0, -1
	s_mulk_i32 s0, 0xd00
	s_add_i32 s1, s0, s30
	s_sub_i32 s33, s28, s1
	s_addk_i32 s33, 0xd00
	s_add_u32 s0, s30, s0
	s_addc_u32 s1, s31, 0
	v_mov_b32_e32 v2, s1
	v_mov_b32_e32 v1, s0
	s_cmp_eq_u32 s6, s2
	v_cmp_gt_u64_e32 vcc, s[28:29], v[1:2]
	s_cselect_b64 s[22:23], -1, 0
	s_cmp_lg_u32 s6, s2
	s_cselect_b64 s[0:1], -1, 0
	s_add_i32 s12, s12, s44
	s_or_b64 s[2:3], s[0:1], vcc
	s_add_i32 s12, s12, s30
	s_mov_b64 s[0:1], -1
	s_and_b64 vcc, exec, s[2:3]
	v_add_u32_e32 v1, s12, v0
	v_lshlrev_b32_e32 v23, 2, v0
	s_cbranch_vccz .LBB986_2
; %bb.1:
	v_add_u32_e32 v2, 0x100, v1
	v_add_u32_e32 v3, 0x200, v1
	v_add_u32_e32 v4, 0x300, v1
	v_add_u32_e32 v5, 0x400, v1
	v_add_u32_e32 v6, 0x500, v1
	v_add_u32_e32 v7, 0x600, v1
	v_add_u32_e32 v8, 0x700, v1
	v_add_u32_e32 v9, 0x800, v1
	v_add_u32_e32 v10, 0x900, v1
	v_add_u32_e32 v11, 0xa00, v1
	v_add_u32_e32 v12, 0xb00, v1
	v_add_u32_e32 v13, 0xc00, v1
	ds_write2st64_b32 v23, v1, v2 offset1:4
	ds_write2st64_b32 v23, v3, v4 offset0:8 offset1:12
	ds_write2st64_b32 v23, v5, v6 offset0:16 offset1:20
	;; [unrolled: 1-line block ×5, first 2 shown]
	ds_write_b32 v23, v13 offset:12288
	s_waitcnt lgkmcnt(0)
	s_barrier
	s_mov_b64 s[0:1], 0
.LBB986_2:
	s_andn2_b64 vcc, exec, s[0:1]
	v_cmp_gt_u32_e64 s[0:1], s33, v0
	s_cbranch_vccnz .LBB986_4
; %bb.3:
	v_or_b32_e32 v2, 0x100, v0
	v_add_u32_e32 v3, s12, v2
	v_cmp_gt_u32_e32 vcc, s33, v2
	v_cndmask_b32_e32 v2, 0, v3, vcc
	v_or_b32_e32 v3, 0x200, v0
	v_add_u32_e32 v4, s12, v3
	v_cmp_gt_u32_e32 vcc, s33, v3
	v_cndmask_b32_e32 v3, 0, v4, vcc
	;; [unrolled: 4-line block ×11, first 2 shown]
	v_or_b32_e32 v13, 0xc00, v0
	v_cndmask_b32_e64 v1, 0, v1, s[0:1]
	v_add_u32_e32 v14, s12, v13
	v_cmp_gt_u32_e32 vcc, s33, v13
	v_cndmask_b32_e32 v13, 0, v14, vcc
	ds_write2st64_b32 v23, v1, v2 offset1:4
	ds_write2st64_b32 v23, v3, v4 offset0:8 offset1:12
	ds_write2st64_b32 v23, v5, v6 offset0:16 offset1:20
	;; [unrolled: 1-line block ×5, first 2 shown]
	ds_write_b32 v23, v13 offset:12288
	s_waitcnt lgkmcnt(0)
	s_barrier
.LBB986_4:
	v_mul_u32_u24_e32 v25, 13, v0
	v_lshlrev_b32_e32 v1, 2, v25
	s_waitcnt lgkmcnt(0)
	ds_read2_b32 v[13:14], v1 offset1:1
	ds_read2_b32 v[11:12], v1 offset0:2 offset1:3
	ds_read2_b32 v[9:10], v1 offset0:4 offset1:5
	;; [unrolled: 1-line block ×5, first 2 shown]
	ds_read_b32 v24, v1 offset:48
	v_cndmask_b32_e64 v1, 0, 1, s[2:3]
	v_cmp_ne_u32_e64 s[0:1], 1, v1
	s_andn2_b64 vcc, exec, s[2:3]
	s_waitcnt lgkmcnt(0)
	s_barrier
	s_cbranch_vccnz .LBB986_6
; %bb.5:
	v_add_u32_e32 v1, s9, v13
	v_add_u32_e32 v2, s11, v13
	v_mul_lo_u32 v1, v1, s8
	v_mul_lo_u32 v2, v2, s10
	v_add_u32_e32 v15, s9, v11
	v_add_u32_e32 v16, s11, v11
	v_mul_lo_u32 v15, v15, s8
	v_sub_u32_e32 v1, v1, v2
	v_cmp_lt_u32_e32 vcc, s7, v1
	v_add_u32_e32 v1, s9, v14
	v_add_u32_e32 v2, s11, v14
	v_mul_lo_u32 v1, v1, s8
	v_mul_lo_u32 v2, v2, s10
	;; [unrolled: 1-line block ×3, first 2 shown]
	v_cndmask_b32_e64 v26, 0, 1, vcc
	v_sub_u32_e32 v1, v1, v2
	v_cmp_lt_u32_e32 vcc, s7, v1
	v_sub_u32_e32 v1, v15, v16
	v_cndmask_b32_e64 v27, 0, 1, vcc
	v_cmp_lt_u32_e32 vcc, s7, v1
	v_add_u32_e32 v1, s9, v12
	v_add_u32_e32 v2, s11, v12
	v_mul_lo_u32 v1, v1, s8
	v_mul_lo_u32 v2, v2, s10
	v_add_u32_e32 v15, s9, v9
	v_add_u32_e32 v16, s11, v9
	v_mul_lo_u32 v15, v15, s8
	v_mul_lo_u32 v16, v16, s10
	v_sub_u32_e32 v1, v1, v2
	v_cndmask_b32_e64 v28, 0, 1, vcc
	v_cmp_lt_u32_e32 vcc, s7, v1
	v_sub_u32_e32 v1, v15, v16
	v_cndmask_b32_e64 v29, 0, 1, vcc
	v_cmp_lt_u32_e32 vcc, s7, v1
	v_add_u32_e32 v1, s9, v10
	v_add_u32_e32 v2, s11, v10
	v_mul_lo_u32 v1, v1, s8
	v_mul_lo_u32 v2, v2, s10
	v_add_u32_e32 v15, s9, v7
	v_add_u32_e32 v16, s11, v7
	v_mul_lo_u32 v15, v15, s8
	v_mul_lo_u32 v16, v16, s10
	v_sub_u32_e32 v1, v1, v2
	v_cndmask_b32_e64 v30, 0, 1, vcc
	;; [unrolled: 14-line block ×5, first 2 shown]
	v_cmp_lt_u32_e32 vcc, s7, v1
	v_sub_u32_e32 v1, v15, v16
	v_cndmask_b32_e64 v37, 0, 1, vcc
	v_cmp_lt_u32_e64 s[38:39], s7, v1
	s_load_dwordx2 s[26:27], s[4:5], 0x28
	s_load_dwordx2 s[36:37], s[4:5], 0x68
	s_cbranch_execz .LBB986_7
	s_branch .LBB986_34
.LBB986_6:
                                        ; implicit-def: $sgpr38_sgpr39
                                        ; implicit-def: $vgpr37
                                        ; implicit-def: $vgpr36
                                        ; implicit-def: $vgpr35
                                        ; implicit-def: $vgpr34
                                        ; implicit-def: $vgpr33
                                        ; implicit-def: $vgpr32
                                        ; implicit-def: $vgpr31
                                        ; implicit-def: $vgpr30
                                        ; implicit-def: $vgpr26
                                        ; implicit-def: $vgpr27
                                        ; implicit-def: $vgpr28
                                        ; implicit-def: $vgpr29
	s_load_dwordx2 s[26:27], s[4:5], 0x28
	s_load_dwordx2 s[36:37], s[4:5], 0x68
.LBB986_7:
	v_cmp_gt_u32_e32 vcc, s33, v25
	v_mov_b32_e32 v27, 0
	v_mov_b32_e32 v26, 0
	s_and_saveexec_b64 s[2:3], vcc
	s_cbranch_execz .LBB986_9
; %bb.8:
	v_add_u32_e32 v1, s9, v13
	v_add_u32_e32 v2, s11, v13
	v_mul_lo_u32 v1, v1, s8
	v_mul_lo_u32 v2, v2, s10
	v_sub_u32_e32 v1, v1, v2
	v_cmp_lt_u32_e32 vcc, s7, v1
	v_cndmask_b32_e64 v26, 0, 1, vcc
.LBB986_9:
	s_or_b64 exec, exec, s[2:3]
	v_add_u32_e32 v1, 1, v25
	v_cmp_gt_u32_e32 vcc, s33, v1
	s_and_saveexec_b64 s[2:3], vcc
	s_cbranch_execz .LBB986_11
; %bb.10:
	v_add_u32_e32 v1, s9, v14
	v_add_u32_e32 v2, s11, v14
	v_mul_lo_u32 v1, v1, s8
	v_mul_lo_u32 v2, v2, s10
	v_sub_u32_e32 v1, v1, v2
	v_cmp_lt_u32_e32 vcc, s7, v1
	v_cndmask_b32_e64 v27, 0, 1, vcc
.LBB986_11:
	s_or_b64 exec, exec, s[2:3]
	v_add_u32_e32 v1, 2, v25
	v_cmp_gt_u32_e32 vcc, s33, v1
	v_mov_b32_e32 v29, 0
	v_mov_b32_e32 v28, 0
	s_and_saveexec_b64 s[2:3], vcc
	s_cbranch_execz .LBB986_13
; %bb.12:
	v_add_u32_e32 v1, s9, v11
	v_add_u32_e32 v2, s11, v11
	v_mul_lo_u32 v1, v1, s8
	v_mul_lo_u32 v2, v2, s10
	v_sub_u32_e32 v1, v1, v2
	v_cmp_lt_u32_e32 vcc, s7, v1
	v_cndmask_b32_e64 v28, 0, 1, vcc
.LBB986_13:
	s_or_b64 exec, exec, s[2:3]
	v_add_u32_e32 v1, 3, v25
	v_cmp_gt_u32_e32 vcc, s33, v1
	s_and_saveexec_b64 s[2:3], vcc
	s_cbranch_execz .LBB986_15
; %bb.14:
	v_add_u32_e32 v1, s9, v12
	v_add_u32_e32 v2, s11, v12
	v_mul_lo_u32 v1, v1, s8
	v_mul_lo_u32 v2, v2, s10
	v_sub_u32_e32 v1, v1, v2
	v_cmp_lt_u32_e32 vcc, s7, v1
	v_cndmask_b32_e64 v29, 0, 1, vcc
.LBB986_15:
	s_or_b64 exec, exec, s[2:3]
	v_add_u32_e32 v1, 4, v25
	;; [unrolled: 30-line block ×6, first 2 shown]
	v_cmp_gt_u32_e32 vcc, s33, v1
	s_mov_b64 s[38:39], 0
	s_and_saveexec_b64 s[2:3], vcc
	s_cbranch_execz .LBB986_33
; %bb.32:
	v_add_u32_e32 v1, s9, v24
	v_add_u32_e32 v2, s11, v24
	v_mul_lo_u32 v1, v1, s8
	v_mul_lo_u32 v2, v2, s10
	v_sub_u32_e32 v1, v1, v2
	v_cmp_lt_u32_e32 vcc, s7, v1
	s_and_b64 s[38:39], vcc, exec
.LBB986_33:
	s_or_b64 exec, exec, s[2:3]
.LBB986_34:
	v_and_b32_e32 v40, 0xff, v27
	v_and_b32_e32 v41, 0xff, v28
	;; [unrolled: 1-line block ×5, first 2 shown]
	v_add3_u32 v2, v41, v42, v40
	v_and_b32_e32 v44, 0xff, v31
	v_and_b32_e32 v45, 0xff, v32
	v_add3_u32 v2, v2, v39, v43
	v_and_b32_e32 v46, 0xff, v33
	v_and_b32_e32 v47, 0xff, v34
	;; [unrolled: 3-line block ×3, first 2 shown]
	v_add3_u32 v2, v2, v46, v47
	v_and_b32_e32 v38, 0xff, v37
	v_cndmask_b32_e64 v1, 0, 1, s[38:39]
	v_add3_u32 v2, v2, v48, v49
	v_add3_u32 v52, v2, v38, v1
	v_mbcnt_lo_u32_b32 v1, -1, 0
	v_mbcnt_hi_u32_b32 v50, -1, v1
	v_and_b32_e32 v1, 15, v50
	v_cmp_eq_u32_e64 s[14:15], 0, v1
	v_cmp_lt_u32_e64 s[12:13], 1, v1
	v_cmp_lt_u32_e64 s[10:11], 3, v1
	;; [unrolled: 1-line block ×3, first 2 shown]
	v_and_b32_e32 v1, 16, v50
	v_cmp_eq_u32_e64 s[18:19], 0, v1
	v_or_b32_e32 v1, 63, v0
	s_cmp_lg_u32 s6, 0
	v_cmp_lt_u32_e64 s[2:3], 31, v50
	v_lshrrev_b32_e32 v51, 6, v0
	v_cmp_eq_u32_e64 s[4:5], v0, v1
	s_cbranch_scc0 .LBB986_56
; %bb.35:
	v_mov_b32_dpp v1, v52 row_shr:1 row_mask:0xf bank_mask:0xf
	v_cndmask_b32_e64 v1, v1, 0, s[14:15]
	v_add_u32_e32 v1, v1, v52
	s_nop 1
	v_mov_b32_dpp v2, v1 row_shr:2 row_mask:0xf bank_mask:0xf
	v_cndmask_b32_e64 v2, 0, v2, s[12:13]
	v_add_u32_e32 v1, v1, v2
	s_nop 1
	;; [unrolled: 4-line block ×4, first 2 shown]
	v_mov_b32_dpp v2, v1 row_bcast:15 row_mask:0xf bank_mask:0xf
	v_cndmask_b32_e64 v2, v2, 0, s[18:19]
	v_add_u32_e32 v1, v1, v2
	s_nop 1
	v_mov_b32_dpp v2, v1 row_bcast:31 row_mask:0xf bank_mask:0xf
	v_cndmask_b32_e64 v2, 0, v2, s[2:3]
	v_add_u32_e32 v1, v1, v2
	s_and_saveexec_b64 s[16:17], s[4:5]
; %bb.36:
	v_lshlrev_b32_e32 v2, 2, v51
	ds_write_b32 v2, v1
; %bb.37:
	s_or_b64 exec, exec, s[16:17]
	v_cmp_gt_u32_e32 vcc, 4, v0
	s_waitcnt lgkmcnt(0)
	s_barrier
	s_and_saveexec_b64 s[16:17], vcc
	s_cbranch_execz .LBB986_39
; %bb.38:
	ds_read_b32 v2, v23
	v_and_b32_e32 v15, 3, v50
	v_cmp_ne_u32_e32 vcc, 0, v15
	s_waitcnt lgkmcnt(0)
	v_mov_b32_dpp v16, v2 row_shr:1 row_mask:0xf bank_mask:0xf
	v_cndmask_b32_e32 v16, 0, v16, vcc
	v_add_u32_e32 v2, v16, v2
	v_cmp_lt_u32_e32 vcc, 1, v15
	s_nop 0
	v_mov_b32_dpp v16, v2 row_shr:2 row_mask:0xf bank_mask:0xf
	v_cndmask_b32_e32 v15, 0, v16, vcc
	v_add_u32_e32 v2, v2, v15
	ds_write_b32 v23, v2
.LBB986_39:
	s_or_b64 exec, exec, s[16:17]
	v_cmp_gt_u32_e32 vcc, 64, v0
	v_cmp_lt_u32_e64 s[16:17], 63, v0
	s_waitcnt lgkmcnt(0)
	s_barrier
                                        ; implicit-def: $vgpr53
	s_and_saveexec_b64 s[20:21], s[16:17]
	s_cbranch_execz .LBB986_41
; %bb.40:
	v_lshl_add_u32 v2, v51, 2, -4
	ds_read_b32 v53, v2
	s_waitcnt lgkmcnt(0)
	v_add_u32_e32 v1, v53, v1
.LBB986_41:
	s_or_b64 exec, exec, s[20:21]
	v_subrev_co_u32_e64 v2, s[16:17], 1, v50
	v_and_b32_e32 v15, 64, v50
	v_cmp_lt_i32_e64 s[20:21], v2, v15
	v_cndmask_b32_e64 v2, v2, v50, s[20:21]
	v_lshlrev_b32_e32 v2, 2, v2
	ds_bpermute_b32 v54, v2, v1
	s_and_saveexec_b64 s[20:21], vcc
	s_cbranch_execz .LBB986_61
; %bb.42:
	v_mov_b32_e32 v19, 0
	ds_read_b32 v1, v19 offset:12
	s_and_saveexec_b64 s[40:41], s[16:17]
	s_cbranch_execz .LBB986_44
; %bb.43:
	s_add_i32 s42, s6, 64
	s_mov_b32 s43, 0
	s_lshl_b64 s[42:43], s[42:43], 3
	s_add_u32 s42, s36, s42
	v_mov_b32_e32 v2, 1
	s_addc_u32 s43, s37, s43
	s_waitcnt lgkmcnt(0)
	global_store_dwordx2 v19, v[1:2], s[42:43]
.LBB986_44:
	s_or_b64 exec, exec, s[40:41]
	v_xad_u32 v15, v50, -1, s6
	v_add_u32_e32 v18, 64, v15
	v_lshlrev_b64 v[16:17], 3, v[18:19]
	v_mov_b32_e32 v2, s37
	v_add_co_u32_e32 v20, vcc, s36, v16
	v_addc_co_u32_e32 v21, vcc, v2, v17, vcc
	global_load_dwordx2 v[17:18], v[20:21], off glc
	s_waitcnt vmcnt(0)
	v_cmp_eq_u16_sdwa s[42:43], v18, v19 src0_sel:BYTE_0 src1_sel:DWORD
	s_and_saveexec_b64 s[40:41], s[42:43]
	s_cbranch_execz .LBB986_48
; %bb.45:
	s_mov_b64 s[42:43], 0
	v_mov_b32_e32 v2, 0
.LBB986_46:                             ; =>This Inner Loop Header: Depth=1
	global_load_dwordx2 v[17:18], v[20:21], off glc
	s_waitcnt vmcnt(0)
	v_cmp_ne_u16_sdwa s[46:47], v18, v2 src0_sel:BYTE_0 src1_sel:DWORD
	s_or_b64 s[42:43], s[46:47], s[42:43]
	s_andn2_b64 exec, exec, s[42:43]
	s_cbranch_execnz .LBB986_46
; %bb.47:
	s_or_b64 exec, exec, s[42:43]
.LBB986_48:
	s_or_b64 exec, exec, s[40:41]
	v_and_b32_e32 v56, 63, v50
	v_mov_b32_e32 v55, 2
	v_lshlrev_b64 v[19:20], v50, -1
	v_cmp_ne_u32_e32 vcc, 63, v56
	v_cmp_eq_u16_sdwa s[40:41], v18, v55 src0_sel:BYTE_0 src1_sel:DWORD
	v_addc_co_u32_e32 v21, vcc, 0, v50, vcc
	v_and_b32_e32 v2, s41, v20
	v_lshlrev_b32_e32 v57, 2, v21
	v_or_b32_e32 v2, 0x80000000, v2
	ds_bpermute_b32 v21, v57, v17
	v_and_b32_e32 v16, s40, v19
	v_ffbl_b32_e32 v2, v2
	v_add_u32_e32 v2, 32, v2
	v_ffbl_b32_e32 v16, v16
	v_min_u32_e32 v2, v16, v2
	v_cmp_lt_u32_e32 vcc, v56, v2
	s_waitcnt lgkmcnt(0)
	v_cndmask_b32_e32 v16, 0, v21, vcc
	v_cmp_gt_u32_e32 vcc, 62, v56
	v_add_u32_e32 v16, v16, v17
	v_cndmask_b32_e64 v17, 0, 2, vcc
	v_add_lshl_u32 v58, v17, v50, 2
	ds_bpermute_b32 v17, v58, v16
	v_add_u32_e32 v59, 2, v56
	v_cmp_le_u32_e32 vcc, v59, v2
	v_add_u32_e32 v61, 4, v56
	v_add_u32_e32 v63, 8, v56
	s_waitcnt lgkmcnt(0)
	v_cndmask_b32_e32 v17, 0, v17, vcc
	v_cmp_gt_u32_e32 vcc, 60, v56
	v_add_u32_e32 v16, v16, v17
	v_cndmask_b32_e64 v17, 0, 4, vcc
	v_add_lshl_u32 v60, v17, v50, 2
	ds_bpermute_b32 v17, v60, v16
	v_cmp_le_u32_e32 vcc, v61, v2
	v_add_u32_e32 v65, 16, v56
	v_add_u32_e32 v67, 32, v56
	s_waitcnt lgkmcnt(0)
	v_cndmask_b32_e32 v17, 0, v17, vcc
	v_cmp_gt_u32_e32 vcc, 56, v56
	v_add_u32_e32 v16, v16, v17
	v_cndmask_b32_e64 v17, 0, 8, vcc
	v_add_lshl_u32 v62, v17, v50, 2
	ds_bpermute_b32 v17, v62, v16
	v_cmp_le_u32_e32 vcc, v63, v2
	s_waitcnt lgkmcnt(0)
	v_cndmask_b32_e32 v17, 0, v17, vcc
	v_cmp_gt_u32_e32 vcc, 48, v56
	v_add_u32_e32 v16, v16, v17
	v_cndmask_b32_e64 v17, 0, 16, vcc
	v_add_lshl_u32 v64, v17, v50, 2
	ds_bpermute_b32 v17, v64, v16
	v_cmp_le_u32_e32 vcc, v65, v2
	s_waitcnt lgkmcnt(0)
	v_cndmask_b32_e32 v17, 0, v17, vcc
	v_add_u32_e32 v16, v16, v17
	v_mov_b32_e32 v17, 0x80
	v_lshl_or_b32 v66, v50, 2, v17
	ds_bpermute_b32 v17, v66, v16
	v_cmp_le_u32_e32 vcc, v67, v2
	s_waitcnt lgkmcnt(0)
	v_cndmask_b32_e32 v2, 0, v17, vcc
	v_add_u32_e32 v17, v16, v2
	v_mov_b32_e32 v16, 0
	s_branch .LBB986_52
.LBB986_49:                             ;   in Loop: Header=BB986_52 Depth=1
	s_or_b64 exec, exec, s[42:43]
.LBB986_50:                             ;   in Loop: Header=BB986_52 Depth=1
	s_or_b64 exec, exec, s[40:41]
	v_cmp_eq_u16_sdwa s[40:41], v18, v55 src0_sel:BYTE_0 src1_sel:DWORD
	v_and_b32_e32 v21, s41, v20
	v_or_b32_e32 v21, 0x80000000, v21
	ds_bpermute_b32 v68, v57, v17
	v_and_b32_e32 v22, s40, v19
	v_ffbl_b32_e32 v21, v21
	v_add_u32_e32 v21, 32, v21
	v_ffbl_b32_e32 v22, v22
	v_min_u32_e32 v21, v22, v21
	v_cmp_lt_u32_e32 vcc, v56, v21
	s_waitcnt lgkmcnt(0)
	v_cndmask_b32_e32 v22, 0, v68, vcc
	v_add_u32_e32 v17, v22, v17
	ds_bpermute_b32 v22, v58, v17
	v_cmp_le_u32_e32 vcc, v59, v21
	v_subrev_u32_e32 v15, 64, v15
	s_mov_b64 s[40:41], 0
	s_waitcnt lgkmcnt(0)
	v_cndmask_b32_e32 v22, 0, v22, vcc
	v_add_u32_e32 v17, v17, v22
	ds_bpermute_b32 v22, v60, v17
	v_cmp_le_u32_e32 vcc, v61, v21
	s_waitcnt lgkmcnt(0)
	v_cndmask_b32_e32 v22, 0, v22, vcc
	v_add_u32_e32 v17, v17, v22
	ds_bpermute_b32 v22, v62, v17
	v_cmp_le_u32_e32 vcc, v63, v21
	;; [unrolled: 5-line block ×4, first 2 shown]
	s_waitcnt lgkmcnt(0)
	v_cndmask_b32_e32 v21, 0, v22, vcc
	v_add3_u32 v17, v21, v2, v17
.LBB986_51:                             ;   in Loop: Header=BB986_52 Depth=1
	s_and_b64 vcc, exec, s[40:41]
	s_cbranch_vccnz .LBB986_57
.LBB986_52:                             ; =>This Loop Header: Depth=1
                                        ;     Child Loop BB986_55 Depth 2
	v_cmp_ne_u16_sdwa s[40:41], v18, v55 src0_sel:BYTE_0 src1_sel:DWORD
	v_mov_b32_e32 v2, v17
	s_cmp_lg_u64 s[40:41], exec
	s_mov_b64 s[40:41], -1
                                        ; implicit-def: $vgpr17
                                        ; implicit-def: $vgpr18
	s_cbranch_scc1 .LBB986_51
; %bb.53:                               ;   in Loop: Header=BB986_52 Depth=1
	v_lshlrev_b64 v[17:18], 3, v[15:16]
	v_mov_b32_e32 v22, s37
	v_add_co_u32_e32 v21, vcc, s36, v17
	v_addc_co_u32_e32 v22, vcc, v22, v18, vcc
	global_load_dwordx2 v[17:18], v[21:22], off glc
	s_waitcnt vmcnt(0)
	v_cmp_eq_u16_sdwa s[42:43], v18, v16 src0_sel:BYTE_0 src1_sel:DWORD
	s_and_saveexec_b64 s[40:41], s[42:43]
	s_cbranch_execz .LBB986_50
; %bb.54:                               ;   in Loop: Header=BB986_52 Depth=1
	s_mov_b64 s[42:43], 0
.LBB986_55:                             ;   Parent Loop BB986_52 Depth=1
                                        ; =>  This Inner Loop Header: Depth=2
	global_load_dwordx2 v[17:18], v[21:22], off glc
	s_waitcnt vmcnt(0)
	v_cmp_ne_u16_sdwa s[46:47], v18, v16 src0_sel:BYTE_0 src1_sel:DWORD
	s_or_b64 s[42:43], s[46:47], s[42:43]
	s_andn2_b64 exec, exec, s[42:43]
	s_cbranch_execnz .LBB986_55
	s_branch .LBB986_49
.LBB986_56:
                                        ; implicit-def: $vgpr2
                                        ; implicit-def: $vgpr15
	s_cbranch_execnz .LBB986_62
	s_branch .LBB986_71
.LBB986_57:
	s_and_saveexec_b64 s[40:41], s[16:17]
	s_cbranch_execz .LBB986_59
; %bb.58:
	s_add_i32 s6, s6, 64
	s_mov_b32 s7, 0
	s_lshl_b64 s[6:7], s[6:7], 3
	s_add_u32 s6, s36, s6
	v_add_u32_e32 v15, v2, v1
	v_mov_b32_e32 v16, 2
	s_addc_u32 s7, s37, s7
	v_mov_b32_e32 v17, 0
	global_store_dwordx2 v17, v[15:16], s[6:7]
	ds_write_b64 v17, v[1:2] offset:13312
.LBB986_59:
	s_or_b64 exec, exec, s[40:41]
	v_cmp_eq_u32_e32 vcc, 0, v0
	s_and_b64 exec, exec, vcc
; %bb.60:
	v_mov_b32_e32 v1, 0
	ds_write_b32 v1, v2 offset:12
.LBB986_61:
	s_or_b64 exec, exec, s[20:21]
	v_mov_b32_e32 v1, 0
	s_waitcnt vmcnt(0) lgkmcnt(0)
	s_barrier
	ds_read_b32 v16, v1 offset:12
	s_waitcnt lgkmcnt(0)
	s_barrier
	ds_read_b64 v[1:2], v1 offset:13312
	v_cndmask_b32_e64 v15, v54, v53, s[16:17]
	v_cmp_ne_u32_e32 vcc, 0, v0
	v_cndmask_b32_e32 v15, 0, v15, vcc
	v_add_u32_e32 v15, v16, v15
	s_branch .LBB986_71
.LBB986_62:
	s_waitcnt lgkmcnt(0)
	v_mov_b32_dpp v1, v52 row_shr:1 row_mask:0xf bank_mask:0xf
	v_cndmask_b32_e64 v1, v1, 0, s[14:15]
	v_add_u32_e32 v1, v1, v52
	s_nop 1
	v_mov_b32_dpp v2, v1 row_shr:2 row_mask:0xf bank_mask:0xf
	v_cndmask_b32_e64 v2, 0, v2, s[12:13]
	v_add_u32_e32 v1, v1, v2
	s_nop 1
	;; [unrolled: 4-line block ×4, first 2 shown]
	v_mov_b32_dpp v2, v1 row_bcast:15 row_mask:0xf bank_mask:0xf
	v_cndmask_b32_e64 v2, v2, 0, s[18:19]
	v_add_u32_e32 v1, v1, v2
	s_nop 1
	v_mov_b32_dpp v2, v1 row_bcast:31 row_mask:0xf bank_mask:0xf
	v_cndmask_b32_e64 v2, 0, v2, s[2:3]
	v_add_u32_e32 v1, v1, v2
	s_and_saveexec_b64 s[2:3], s[4:5]
; %bb.63:
	v_lshlrev_b32_e32 v2, 2, v51
	ds_write_b32 v2, v1
; %bb.64:
	s_or_b64 exec, exec, s[2:3]
	v_cmp_gt_u32_e32 vcc, 4, v0
	s_waitcnt lgkmcnt(0)
	s_barrier
	s_and_saveexec_b64 s[2:3], vcc
	s_cbranch_execz .LBB986_66
; %bb.65:
	ds_read_b32 v2, v23
	v_and_b32_e32 v15, 3, v50
	v_cmp_ne_u32_e32 vcc, 0, v15
	s_waitcnt lgkmcnt(0)
	v_mov_b32_dpp v16, v2 row_shr:1 row_mask:0xf bank_mask:0xf
	v_cndmask_b32_e32 v16, 0, v16, vcc
	v_add_u32_e32 v2, v16, v2
	v_cmp_lt_u32_e32 vcc, 1, v15
	s_nop 0
	v_mov_b32_dpp v16, v2 row_shr:2 row_mask:0xf bank_mask:0xf
	v_cndmask_b32_e32 v15, 0, v16, vcc
	v_add_u32_e32 v2, v2, v15
	ds_write_b32 v23, v2
.LBB986_66:
	s_or_b64 exec, exec, s[2:3]
	v_cmp_lt_u32_e32 vcc, 63, v0
	v_mov_b32_e32 v2, 0
	v_mov_b32_e32 v15, 0
	s_waitcnt lgkmcnt(0)
	s_barrier
	s_and_saveexec_b64 s[2:3], vcc
; %bb.67:
	v_lshl_add_u32 v15, v51, 2, -4
	ds_read_b32 v15, v15
; %bb.68:
	s_or_b64 exec, exec, s[2:3]
	v_subrev_co_u32_e32 v16, vcc, 1, v50
	v_and_b32_e32 v17, 64, v50
	v_cmp_lt_i32_e64 s[2:3], v16, v17
	v_cndmask_b32_e64 v16, v16, v50, s[2:3]
	s_waitcnt lgkmcnt(0)
	v_add_u32_e32 v1, v15, v1
	v_lshlrev_b32_e32 v16, 2, v16
	ds_bpermute_b32 v16, v16, v1
	ds_read_b32 v1, v2 offset:12
	v_cmp_eq_u32_e64 s[2:3], 0, v0
	s_and_saveexec_b64 s[4:5], s[2:3]
	s_cbranch_execz .LBB986_70
; %bb.69:
	v_mov_b32_e32 v17, 0
	v_mov_b32_e32 v2, 2
	s_waitcnt lgkmcnt(0)
	global_store_dwordx2 v17, v[1:2], s[36:37] offset:512
.LBB986_70:
	s_or_b64 exec, exec, s[4:5]
	s_waitcnt lgkmcnt(1)
	v_cndmask_b32_e32 v2, v16, v15, vcc
	v_cndmask_b32_e64 v15, v2, 0, s[2:3]
	s_waitcnt vmcnt(0) lgkmcnt(0)
	s_barrier
	v_mov_b32_e32 v2, 0
.LBB986_71:
	v_add_u32_e32 v16, v15, v39
	v_add_u32_e32 v17, v16, v40
	;; [unrolled: 1-line block ×4, first 2 shown]
	s_waitcnt lgkmcnt(0)
	v_add_u32_e32 v25, v1, v25
	v_sub_u32_e32 v15, v15, v2
	v_and_b32_e32 v26, 1, v26
	v_add_u32_e32 v20, v19, v43
	v_sub_u32_e32 v43, v25, v15
	v_cmp_eq_u32_e32 vcc, 1, v26
	v_cndmask_b32_e32 v15, v43, v15, vcc
	v_lshlrev_b32_e32 v15, 2, v15
	ds_write_b32 v15, v13
	v_sub_u32_e32 v13, v16, v2
	v_sub_u32_e32 v15, v25, v13
	v_and_b32_e32 v16, 1, v27
	v_add_u32_e32 v15, 1, v15
	v_cmp_eq_u32_e32 vcc, 1, v16
	v_cndmask_b32_e32 v13, v15, v13, vcc
	v_lshlrev_b32_e32 v13, 2, v13
	ds_write_b32 v13, v14
	v_sub_u32_e32 v13, v17, v2
	v_sub_u32_e32 v14, v25, v13
	v_and_b32_e32 v15, 1, v28
	v_add_u32_e32 v14, 2, v14
	;; [unrolled: 8-line block ×5, first 2 shown]
	v_cmp_eq_u32_e32 vcc, 1, v12
	v_cndmask_b32_e32 v9, v11, v9, vcc
	v_add_u32_e32 v21, v20, v44
	v_lshlrev_b32_e32 v9, 2, v9
	ds_write_b32 v9, v10
	v_sub_u32_e32 v9, v21, v2
	v_sub_u32_e32 v10, v25, v9
	v_and_b32_e32 v11, 1, v32
	v_add_u32_e32 v10, 6, v10
	v_cmp_eq_u32_e32 vcc, 1, v11
	v_cndmask_b32_e32 v9, v10, v9, vcc
	v_add_u32_e32 v22, v21, v45
	v_lshlrev_b32_e32 v9, 2, v9
	ds_write_b32 v9, v7
	v_sub_u32_e32 v7, v22, v2
	v_sub_u32_e32 v9, v25, v7
	v_and_b32_e32 v10, 1, v33
	v_add_u32_e32 v9, 7, v9
	;; [unrolled: 9-line block ×6, first 2 shown]
	v_cmp_eq_u32_e32 vcc, 1, v6
	v_cndmask_b32_e32 v3, v5, v3, vcc
	v_lshlrev_b32_e32 v3, 2, v3
	ds_write_b32 v3, v4
	v_sub_u32_e32 v3, v38, v2
	v_add_u32_e32 v3, v42, v3
	v_sub_u32_e32 v4, v25, v3
	v_add_u32_e32 v4, 12, v4
	v_cndmask_b32_e64 v3, v4, v3, s[38:39]
	v_lshlrev_b32_e32 v3, 2, v3
	ds_write_b32 v3, v24
	s_waitcnt lgkmcnt(0)
	s_barrier
	ds_read2st64_b32 v[13:14], v23 offset1:4
	ds_read2st64_b32 v[11:12], v23 offset0:8 offset1:12
	ds_read2st64_b32 v[9:10], v23 offset0:16 offset1:20
	;; [unrolled: 1-line block ×5, first 2 shown]
	ds_read_b32 v19, v23 offset:12288
	v_mov_b32_e32 v15, s35
	s_and_b64 vcc, exec, s[0:1]
	v_add_co_u32_e64 v17, s[0:1], s34, v2
	v_or_b32_e32 v33, 0x100, v0
	v_or_b32_e32 v31, 0x200, v0
	;; [unrolled: 1-line block ×12, first 2 shown]
	v_addc_co_u32_e64 v18, s[0:1], 0, v15, s[0:1]
	s_cbranch_vccnz .LBB986_125
; %bb.72:
	v_mov_b32_e32 v2, s31
	v_subrev_co_u32_e32 v15, vcc, s30, v17
	s_sub_u32 s0, s28, s44
	v_subb_co_u32_e32 v16, vcc, v18, v2, vcc
	s_subb_u32 s1, s29, 0
	v_mov_b32_e32 v2, s1
	v_add_co_u32_e32 v23, vcc, s0, v1
	v_addc_co_u32_e32 v32, vcc, 0, v2, vcc
	v_add_co_u32_e32 v2, vcc, v23, v15
	v_addc_co_u32_e32 v23, vcc, v32, v16, vcc
	v_cmp_ge_u32_e32 vcc, v0, v1
                                        ; implicit-def: $vgpr15_vgpr16
	s_and_saveexec_b64 s[0:1], vcc
	s_xor_b64 s[0:1], exec, s[0:1]
; %bb.73:
	v_not_b32_e32 v15, v0
	v_ashrrev_i32_e32 v16, 31, v15
	v_add_co_u32_e32 v15, vcc, v2, v15
	v_addc_co_u32_e32 v16, vcc, v23, v16, vcc
; %bb.74:
	s_andn2_saveexec_b64 s[0:1], s[0:1]
; %bb.75:
	v_add_co_u32_e32 v15, vcc, v17, v0
	v_addc_co_u32_e32 v16, vcc, 0, v18, vcc
; %bb.76:
	s_or_b64 exec, exec, s[0:1]
	v_lshlrev_b64 v[15:16], 2, v[15:16]
	v_mov_b32_e32 v32, s27
	v_add_co_u32_e32 v15, vcc, s26, v15
	v_addc_co_u32_e32 v16, vcc, v32, v16, vcc
	v_cmp_ge_u32_e32 vcc, v33, v1
	s_waitcnt lgkmcnt(6)
	global_store_dword v[15:16], v13, off
                                        ; implicit-def: $vgpr15_vgpr16
	s_and_saveexec_b64 s[0:1], vcc
	s_xor_b64 s[0:1], exec, s[0:1]
; %bb.77:
	v_xor_b32_e32 v15, 0xfffffeff, v0
	v_ashrrev_i32_e32 v16, 31, v15
	v_add_co_u32_e32 v15, vcc, v2, v15
	v_addc_co_u32_e32 v16, vcc, v23, v16, vcc
; %bb.78:
	s_andn2_saveexec_b64 s[0:1], s[0:1]
; %bb.79:
	v_add_co_u32_e32 v15, vcc, v17, v33
	v_addc_co_u32_e32 v16, vcc, 0, v18, vcc
; %bb.80:
	s_or_b64 exec, exec, s[0:1]
	v_lshlrev_b64 v[15:16], 2, v[15:16]
	v_mov_b32_e32 v32, s27
	v_add_co_u32_e32 v15, vcc, s26, v15
	v_addc_co_u32_e32 v16, vcc, v32, v16, vcc
	v_cmp_ge_u32_e32 vcc, v31, v1
	global_store_dword v[15:16], v14, off
                                        ; implicit-def: $vgpr15_vgpr16
	s_and_saveexec_b64 s[0:1], vcc
	s_xor_b64 s[0:1], exec, s[0:1]
; %bb.81:
	v_xor_b32_e32 v15, 0xfffffdff, v0
	v_ashrrev_i32_e32 v16, 31, v15
	v_add_co_u32_e32 v15, vcc, v2, v15
	v_addc_co_u32_e32 v16, vcc, v23, v16, vcc
; %bb.82:
	s_andn2_saveexec_b64 s[0:1], s[0:1]
; %bb.83:
	v_add_co_u32_e32 v15, vcc, v17, v31
	v_addc_co_u32_e32 v16, vcc, 0, v18, vcc
; %bb.84:
	s_or_b64 exec, exec, s[0:1]
	v_lshlrev_b64 v[15:16], 2, v[15:16]
	v_mov_b32_e32 v32, s27
	v_add_co_u32_e32 v15, vcc, s26, v15
	v_addc_co_u32_e32 v16, vcc, v32, v16, vcc
	v_cmp_ge_u32_e32 vcc, v30, v1
	s_waitcnt lgkmcnt(5)
	global_store_dword v[15:16], v11, off
                                        ; implicit-def: $vgpr15_vgpr16
	s_and_saveexec_b64 s[0:1], vcc
	s_xor_b64 s[0:1], exec, s[0:1]
; %bb.85:
	v_xor_b32_e32 v15, 0xfffffcff, v0
	v_ashrrev_i32_e32 v16, 31, v15
	v_add_co_u32_e32 v15, vcc, v2, v15
	v_addc_co_u32_e32 v16, vcc, v23, v16, vcc
; %bb.86:
	s_andn2_saveexec_b64 s[0:1], s[0:1]
; %bb.87:
	v_add_co_u32_e32 v15, vcc, v17, v30
	v_addc_co_u32_e32 v16, vcc, 0, v18, vcc
; %bb.88:
	s_or_b64 exec, exec, s[0:1]
	v_lshlrev_b64 v[15:16], 2, v[15:16]
	v_mov_b32_e32 v32, s27
	v_add_co_u32_e32 v15, vcc, s26, v15
	v_addc_co_u32_e32 v16, vcc, v32, v16, vcc
	v_cmp_ge_u32_e32 vcc, v29, v1
	global_store_dword v[15:16], v12, off
                                        ; implicit-def: $vgpr15_vgpr16
	s_and_saveexec_b64 s[0:1], vcc
	s_xor_b64 s[0:1], exec, s[0:1]
; %bb.89:
	v_xor_b32_e32 v15, 0xfffffbff, v0
	;; [unrolled: 43-line block ×6, first 2 shown]
	v_ashrrev_i32_e32 v16, 31, v15
	v_add_co_u32_e32 v15, vcc, v2, v15
	v_addc_co_u32_e32 v16, vcc, v23, v16, vcc
; %bb.122:
	s_andn2_saveexec_b64 s[0:1], s[0:1]
; %bb.123:
	v_add_co_u32_e32 v15, vcc, v17, v20
	v_addc_co_u32_e32 v16, vcc, 0, v18, vcc
; %bb.124:
	s_or_b64 exec, exec, s[0:1]
	s_mov_b64 s[0:1], -1
	s_branch .LBB986_205
.LBB986_125:
	s_mov_b64 s[0:1], 0
                                        ; implicit-def: $vgpr15_vgpr16
	s_cbranch_execz .LBB986_205
; %bb.126:
	s_add_u32 s2, s30, s44
	s_addc_u32 s3, s31, 0
	s_sub_u32 s2, s28, s2
	s_subb_u32 s3, s29, s3
	v_mov_b32_e32 v2, s3
	v_add_co_u32_e32 v15, vcc, s2, v1
	v_addc_co_u32_e32 v2, vcc, 0, v2, vcc
	v_add_co_u32_e32 v23, vcc, v15, v17
	v_addc_co_u32_e32 v32, vcc, v2, v18, vcc
	v_cmp_gt_u32_e32 vcc, s33, v0
	s_and_saveexec_b64 s[2:3], vcc
	s_cbranch_execz .LBB986_162
; %bb.127:
	v_cmp_ge_u32_e32 vcc, v0, v1
                                        ; implicit-def: $vgpr15_vgpr16
	s_and_saveexec_b64 s[4:5], vcc
	s_xor_b64 s[4:5], exec, s[4:5]
; %bb.128:
	v_not_b32_e32 v2, v0
	v_ashrrev_i32_e32 v16, 31, v2
	v_add_co_u32_e32 v15, vcc, v23, v2
	v_addc_co_u32_e32 v16, vcc, v32, v16, vcc
; %bb.129:
	s_andn2_saveexec_b64 s[4:5], s[4:5]
; %bb.130:
	v_add_co_u32_e32 v15, vcc, v17, v0
	v_addc_co_u32_e32 v16, vcc, 0, v18, vcc
; %bb.131:
	s_or_b64 exec, exec, s[4:5]
	v_lshlrev_b64 v[15:16], 2, v[15:16]
	v_mov_b32_e32 v2, s27
	v_add_co_u32_e32 v15, vcc, s26, v15
	v_addc_co_u32_e32 v16, vcc, v2, v16, vcc
	s_waitcnt lgkmcnt(6)
	global_store_dword v[15:16], v13, off
	s_or_b64 exec, exec, s[2:3]
	v_cmp_gt_u32_e32 vcc, s33, v33
	s_and_saveexec_b64 s[2:3], vcc
	s_cbranch_execnz .LBB986_163
.LBB986_132:
	s_or_b64 exec, exec, s[2:3]
	v_cmp_gt_u32_e32 vcc, s33, v31
	s_and_saveexec_b64 s[2:3], vcc
	s_cbranch_execz .LBB986_168
.LBB986_133:
	v_cmp_ge_u32_e32 vcc, v31, v1
                                        ; implicit-def: $vgpr13_vgpr14
	s_and_saveexec_b64 s[4:5], vcc
	s_xor_b64 s[4:5], exec, s[4:5]
	s_cbranch_execz .LBB986_135
; %bb.134:
	v_xor_b32_e32 v2, 0xfffffdff, v0
	s_waitcnt lgkmcnt(6)
	v_ashrrev_i32_e32 v14, 31, v2
	v_add_co_u32_e32 v13, vcc, v23, v2
	v_addc_co_u32_e32 v14, vcc, v32, v14, vcc
                                        ; implicit-def: $vgpr31
.LBB986_135:
	s_andn2_saveexec_b64 s[4:5], s[4:5]
	s_cbranch_execz .LBB986_137
; %bb.136:
	s_waitcnt lgkmcnt(6)
	v_add_co_u32_e32 v13, vcc, v17, v31
	v_addc_co_u32_e32 v14, vcc, 0, v18, vcc
.LBB986_137:
	s_or_b64 exec, exec, s[4:5]
	s_waitcnt lgkmcnt(6)
	v_lshlrev_b64 v[13:14], 2, v[13:14]
	v_mov_b32_e32 v2, s27
	v_add_co_u32_e32 v13, vcc, s26, v13
	v_addc_co_u32_e32 v14, vcc, v2, v14, vcc
	s_waitcnt lgkmcnt(5)
	global_store_dword v[13:14], v11, off
	s_or_b64 exec, exec, s[2:3]
	v_cmp_gt_u32_e32 vcc, s33, v30
	s_and_saveexec_b64 s[2:3], vcc
	s_cbranch_execnz .LBB986_169
.LBB986_138:
	s_or_b64 exec, exec, s[2:3]
	v_cmp_gt_u32_e32 vcc, s33, v29
	s_and_saveexec_b64 s[2:3], vcc
	s_cbranch_execz .LBB986_174
.LBB986_139:
	v_cmp_ge_u32_e32 vcc, v29, v1
                                        ; implicit-def: $vgpr11_vgpr12
	s_and_saveexec_b64 s[4:5], vcc
	s_xor_b64 s[4:5], exec, s[4:5]
	s_cbranch_execz .LBB986_141
; %bb.140:
	v_xor_b32_e32 v2, 0xfffffbff, v0
	s_waitcnt lgkmcnt(5)
	v_ashrrev_i32_e32 v12, 31, v2
	v_add_co_u32_e32 v11, vcc, v23, v2
	v_addc_co_u32_e32 v12, vcc, v32, v12, vcc
                                        ; implicit-def: $vgpr29
.LBB986_141:
	s_andn2_saveexec_b64 s[4:5], s[4:5]
	s_cbranch_execz .LBB986_143
; %bb.142:
	s_waitcnt lgkmcnt(5)
	v_add_co_u32_e32 v11, vcc, v17, v29
	v_addc_co_u32_e32 v12, vcc, 0, v18, vcc
.LBB986_143:
	s_or_b64 exec, exec, s[4:5]
	s_waitcnt lgkmcnt(5)
	v_lshlrev_b64 v[11:12], 2, v[11:12]
	v_mov_b32_e32 v2, s27
	v_add_co_u32_e32 v11, vcc, s26, v11
	v_addc_co_u32_e32 v12, vcc, v2, v12, vcc
	s_waitcnt lgkmcnt(4)
	global_store_dword v[11:12], v9, off
	s_or_b64 exec, exec, s[2:3]
	v_cmp_gt_u32_e32 vcc, s33, v28
	s_and_saveexec_b64 s[2:3], vcc
	s_cbranch_execnz .LBB986_175
.LBB986_144:
	s_or_b64 exec, exec, s[2:3]
	v_cmp_gt_u32_e32 vcc, s33, v27
	s_and_saveexec_b64 s[2:3], vcc
	s_cbranch_execz .LBB986_180
.LBB986_145:
	v_cmp_ge_u32_e32 vcc, v27, v1
                                        ; implicit-def: $vgpr9_vgpr10
	s_and_saveexec_b64 s[4:5], vcc
	s_xor_b64 s[4:5], exec, s[4:5]
	s_cbranch_execz .LBB986_147
; %bb.146:
	v_xor_b32_e32 v2, 0xfffff9ff, v0
	s_waitcnt lgkmcnt(4)
	v_ashrrev_i32_e32 v10, 31, v2
	v_add_co_u32_e32 v9, vcc, v23, v2
	v_addc_co_u32_e32 v10, vcc, v32, v10, vcc
                                        ; implicit-def: $vgpr27
.LBB986_147:
	s_andn2_saveexec_b64 s[4:5], s[4:5]
	s_cbranch_execz .LBB986_149
; %bb.148:
	s_waitcnt lgkmcnt(4)
	v_add_co_u32_e32 v9, vcc, v17, v27
	v_addc_co_u32_e32 v10, vcc, 0, v18, vcc
.LBB986_149:
	s_or_b64 exec, exec, s[4:5]
	s_waitcnt lgkmcnt(4)
	v_lshlrev_b64 v[9:10], 2, v[9:10]
	v_mov_b32_e32 v2, s27
	v_add_co_u32_e32 v9, vcc, s26, v9
	v_addc_co_u32_e32 v10, vcc, v2, v10, vcc
	s_waitcnt lgkmcnt(3)
	global_store_dword v[9:10], v7, off
	s_or_b64 exec, exec, s[2:3]
	v_cmp_gt_u32_e32 vcc, s33, v26
	s_and_saveexec_b64 s[2:3], vcc
	s_cbranch_execnz .LBB986_181
.LBB986_150:
	s_or_b64 exec, exec, s[2:3]
	v_cmp_gt_u32_e32 vcc, s33, v25
	s_and_saveexec_b64 s[2:3], vcc
	s_cbranch_execz .LBB986_186
.LBB986_151:
	v_cmp_ge_u32_e32 vcc, v25, v1
                                        ; implicit-def: $vgpr7_vgpr8
	s_and_saveexec_b64 s[4:5], vcc
	s_xor_b64 s[4:5], exec, s[4:5]
	s_cbranch_execz .LBB986_153
; %bb.152:
	v_xor_b32_e32 v2, 0xfffff7ff, v0
	s_waitcnt lgkmcnt(3)
	v_ashrrev_i32_e32 v8, 31, v2
	v_add_co_u32_e32 v7, vcc, v23, v2
	v_addc_co_u32_e32 v8, vcc, v32, v8, vcc
                                        ; implicit-def: $vgpr25
.LBB986_153:
	s_andn2_saveexec_b64 s[4:5], s[4:5]
	s_cbranch_execz .LBB986_155
; %bb.154:
	s_waitcnt lgkmcnt(3)
	v_add_co_u32_e32 v7, vcc, v17, v25
	v_addc_co_u32_e32 v8, vcc, 0, v18, vcc
.LBB986_155:
	s_or_b64 exec, exec, s[4:5]
	s_waitcnt lgkmcnt(3)
	v_lshlrev_b64 v[7:8], 2, v[7:8]
	v_mov_b32_e32 v2, s27
	v_add_co_u32_e32 v7, vcc, s26, v7
	v_addc_co_u32_e32 v8, vcc, v2, v8, vcc
	s_waitcnt lgkmcnt(2)
	global_store_dword v[7:8], v5, off
	s_or_b64 exec, exec, s[2:3]
	v_cmp_gt_u32_e32 vcc, s33, v24
	s_and_saveexec_b64 s[2:3], vcc
	s_cbranch_execnz .LBB986_187
.LBB986_156:
	s_or_b64 exec, exec, s[2:3]
	v_cmp_gt_u32_e32 vcc, s33, v22
	s_and_saveexec_b64 s[2:3], vcc
	s_cbranch_execz .LBB986_192
.LBB986_157:
	v_cmp_ge_u32_e32 vcc, v22, v1
                                        ; implicit-def: $vgpr5_vgpr6
	s_and_saveexec_b64 s[4:5], vcc
	s_xor_b64 s[4:5], exec, s[4:5]
	s_cbranch_execz .LBB986_159
; %bb.158:
	v_xor_b32_e32 v2, 0xfffff5ff, v0
	s_waitcnt lgkmcnt(2)
	v_ashrrev_i32_e32 v6, 31, v2
	v_add_co_u32_e32 v5, vcc, v23, v2
	v_addc_co_u32_e32 v6, vcc, v32, v6, vcc
                                        ; implicit-def: $vgpr22
.LBB986_159:
	s_andn2_saveexec_b64 s[4:5], s[4:5]
	s_cbranch_execz .LBB986_161
; %bb.160:
	s_waitcnt lgkmcnt(2)
	v_add_co_u32_e32 v5, vcc, v17, v22
	v_addc_co_u32_e32 v6, vcc, 0, v18, vcc
.LBB986_161:
	s_or_b64 exec, exec, s[4:5]
	s_waitcnt lgkmcnt(2)
	v_lshlrev_b64 v[5:6], 2, v[5:6]
	v_mov_b32_e32 v2, s27
	v_add_co_u32_e32 v5, vcc, s26, v5
	v_addc_co_u32_e32 v6, vcc, v2, v6, vcc
	s_waitcnt lgkmcnt(1)
	global_store_dword v[5:6], v3, off
	s_or_b64 exec, exec, s[2:3]
	v_cmp_gt_u32_e32 vcc, s33, v21
	s_and_saveexec_b64 s[2:3], vcc
	s_cbranch_execz .LBB986_198
	s_branch .LBB986_193
.LBB986_162:
	s_or_b64 exec, exec, s[2:3]
	v_cmp_gt_u32_e32 vcc, s33, v33
	s_and_saveexec_b64 s[2:3], vcc
	s_cbranch_execz .LBB986_132
.LBB986_163:
	v_cmp_ge_u32_e32 vcc, v33, v1
                                        ; implicit-def: $vgpr15_vgpr16
	s_and_saveexec_b64 s[4:5], vcc
	s_xor_b64 s[4:5], exec, s[4:5]
	s_cbranch_execz .LBB986_165
; %bb.164:
	v_xor_b32_e32 v2, 0xfffffeff, v0
	s_waitcnt lgkmcnt(6)
	v_ashrrev_i32_e32 v13, 31, v2
	v_add_co_u32_e32 v15, vcc, v23, v2
	v_addc_co_u32_e32 v16, vcc, v32, v13, vcc
                                        ; implicit-def: $vgpr33
.LBB986_165:
	s_andn2_saveexec_b64 s[4:5], s[4:5]
; %bb.166:
	v_add_co_u32_e32 v15, vcc, v17, v33
	v_addc_co_u32_e32 v16, vcc, 0, v18, vcc
; %bb.167:
	s_or_b64 exec, exec, s[4:5]
	v_lshlrev_b64 v[15:16], 2, v[15:16]
	v_mov_b32_e32 v2, s27
	v_add_co_u32_e32 v15, vcc, s26, v15
	v_addc_co_u32_e32 v16, vcc, v2, v16, vcc
	s_waitcnt lgkmcnt(6)
	global_store_dword v[15:16], v14, off
	s_or_b64 exec, exec, s[2:3]
	v_cmp_gt_u32_e32 vcc, s33, v31
	s_and_saveexec_b64 s[2:3], vcc
	s_cbranch_execnz .LBB986_133
.LBB986_168:
	s_or_b64 exec, exec, s[2:3]
	v_cmp_gt_u32_e32 vcc, s33, v30
	s_and_saveexec_b64 s[2:3], vcc
	s_cbranch_execz .LBB986_138
.LBB986_169:
	v_cmp_ge_u32_e32 vcc, v30, v1
                                        ; implicit-def: $vgpr13_vgpr14
	s_and_saveexec_b64 s[4:5], vcc
	s_xor_b64 s[4:5], exec, s[4:5]
	s_cbranch_execz .LBB986_171
; %bb.170:
	v_xor_b32_e32 v2, 0xfffffcff, v0
	s_waitcnt lgkmcnt(5)
	v_ashrrev_i32_e32 v11, 31, v2
	v_add_co_u32_e32 v13, vcc, v23, v2
	v_addc_co_u32_e32 v14, vcc, v32, v11, vcc
                                        ; implicit-def: $vgpr30
.LBB986_171:
	s_andn2_saveexec_b64 s[4:5], s[4:5]
	s_cbranch_execz .LBB986_173
; %bb.172:
	s_waitcnt lgkmcnt(6)
	v_add_co_u32_e32 v13, vcc, v17, v30
	v_addc_co_u32_e32 v14, vcc, 0, v18, vcc
.LBB986_173:
	s_or_b64 exec, exec, s[4:5]
	s_waitcnt lgkmcnt(6)
	v_lshlrev_b64 v[13:14], 2, v[13:14]
	v_mov_b32_e32 v2, s27
	v_add_co_u32_e32 v13, vcc, s26, v13
	v_addc_co_u32_e32 v14, vcc, v2, v14, vcc
	s_waitcnt lgkmcnt(5)
	global_store_dword v[13:14], v12, off
	s_or_b64 exec, exec, s[2:3]
	v_cmp_gt_u32_e32 vcc, s33, v29
	s_and_saveexec_b64 s[2:3], vcc
	s_cbranch_execnz .LBB986_139
.LBB986_174:
	s_or_b64 exec, exec, s[2:3]
	v_cmp_gt_u32_e32 vcc, s33, v28
	s_and_saveexec_b64 s[2:3], vcc
	s_cbranch_execz .LBB986_144
.LBB986_175:
	v_cmp_ge_u32_e32 vcc, v28, v1
                                        ; implicit-def: $vgpr11_vgpr12
	s_and_saveexec_b64 s[4:5], vcc
	s_xor_b64 s[4:5], exec, s[4:5]
	s_cbranch_execz .LBB986_177
; %bb.176:
	v_xor_b32_e32 v2, 0xfffffaff, v0
	s_waitcnt lgkmcnt(4)
	v_ashrrev_i32_e32 v9, 31, v2
	v_add_co_u32_e32 v11, vcc, v23, v2
	v_addc_co_u32_e32 v12, vcc, v32, v9, vcc
                                        ; implicit-def: $vgpr28
.LBB986_177:
	s_andn2_saveexec_b64 s[4:5], s[4:5]
	s_cbranch_execz .LBB986_179
; %bb.178:
	s_waitcnt lgkmcnt(5)
	v_add_co_u32_e32 v11, vcc, v17, v28
	v_addc_co_u32_e32 v12, vcc, 0, v18, vcc
.LBB986_179:
	s_or_b64 exec, exec, s[4:5]
	s_waitcnt lgkmcnt(5)
	v_lshlrev_b64 v[11:12], 2, v[11:12]
	v_mov_b32_e32 v2, s27
	v_add_co_u32_e32 v11, vcc, s26, v11
	v_addc_co_u32_e32 v12, vcc, v2, v12, vcc
	s_waitcnt lgkmcnt(4)
	global_store_dword v[11:12], v10, off
	s_or_b64 exec, exec, s[2:3]
	v_cmp_gt_u32_e32 vcc, s33, v27
	s_and_saveexec_b64 s[2:3], vcc
	s_cbranch_execnz .LBB986_145
.LBB986_180:
	s_or_b64 exec, exec, s[2:3]
	v_cmp_gt_u32_e32 vcc, s33, v26
	s_and_saveexec_b64 s[2:3], vcc
	s_cbranch_execz .LBB986_150
.LBB986_181:
	v_cmp_ge_u32_e32 vcc, v26, v1
                                        ; implicit-def: $vgpr9_vgpr10
	s_and_saveexec_b64 s[4:5], vcc
	s_xor_b64 s[4:5], exec, s[4:5]
	s_cbranch_execz .LBB986_183
; %bb.182:
	v_xor_b32_e32 v2, 0xfffff8ff, v0
	s_waitcnt lgkmcnt(3)
	v_ashrrev_i32_e32 v7, 31, v2
	v_add_co_u32_e32 v9, vcc, v23, v2
	v_addc_co_u32_e32 v10, vcc, v32, v7, vcc
                                        ; implicit-def: $vgpr26
.LBB986_183:
	s_andn2_saveexec_b64 s[4:5], s[4:5]
	s_cbranch_execz .LBB986_185
; %bb.184:
	s_waitcnt lgkmcnt(4)
	v_add_co_u32_e32 v9, vcc, v17, v26
	v_addc_co_u32_e32 v10, vcc, 0, v18, vcc
.LBB986_185:
	s_or_b64 exec, exec, s[4:5]
	s_waitcnt lgkmcnt(4)
	v_lshlrev_b64 v[9:10], 2, v[9:10]
	v_mov_b32_e32 v2, s27
	v_add_co_u32_e32 v9, vcc, s26, v9
	v_addc_co_u32_e32 v10, vcc, v2, v10, vcc
	s_waitcnt lgkmcnt(3)
	global_store_dword v[9:10], v8, off
	s_or_b64 exec, exec, s[2:3]
	v_cmp_gt_u32_e32 vcc, s33, v25
	s_and_saveexec_b64 s[2:3], vcc
	s_cbranch_execnz .LBB986_151
.LBB986_186:
	s_or_b64 exec, exec, s[2:3]
	v_cmp_gt_u32_e32 vcc, s33, v24
	s_and_saveexec_b64 s[2:3], vcc
	s_cbranch_execz .LBB986_156
.LBB986_187:
	v_cmp_ge_u32_e32 vcc, v24, v1
                                        ; implicit-def: $vgpr7_vgpr8
	s_and_saveexec_b64 s[4:5], vcc
	s_xor_b64 s[4:5], exec, s[4:5]
	s_cbranch_execz .LBB986_189
; %bb.188:
	v_xor_b32_e32 v2, 0xfffff6ff, v0
	s_waitcnt lgkmcnt(2)
	v_ashrrev_i32_e32 v5, 31, v2
	v_add_co_u32_e32 v7, vcc, v23, v2
	v_addc_co_u32_e32 v8, vcc, v32, v5, vcc
                                        ; implicit-def: $vgpr24
.LBB986_189:
	s_andn2_saveexec_b64 s[4:5], s[4:5]
	s_cbranch_execz .LBB986_191
; %bb.190:
	s_waitcnt lgkmcnt(3)
	v_add_co_u32_e32 v7, vcc, v17, v24
	v_addc_co_u32_e32 v8, vcc, 0, v18, vcc
.LBB986_191:
	s_or_b64 exec, exec, s[4:5]
	s_waitcnt lgkmcnt(3)
	v_lshlrev_b64 v[7:8], 2, v[7:8]
	v_mov_b32_e32 v2, s27
	v_add_co_u32_e32 v7, vcc, s26, v7
	v_addc_co_u32_e32 v8, vcc, v2, v8, vcc
	s_waitcnt lgkmcnt(2)
	global_store_dword v[7:8], v6, off
	s_or_b64 exec, exec, s[2:3]
	v_cmp_gt_u32_e32 vcc, s33, v22
	s_and_saveexec_b64 s[2:3], vcc
	s_cbranch_execnz .LBB986_157
.LBB986_192:
	s_or_b64 exec, exec, s[2:3]
	v_cmp_gt_u32_e32 vcc, s33, v21
	s_and_saveexec_b64 s[2:3], vcc
	s_cbranch_execz .LBB986_198
.LBB986_193:
	v_cmp_ge_u32_e32 vcc, v21, v1
                                        ; implicit-def: $vgpr2_vgpr3
	s_and_saveexec_b64 s[4:5], vcc
	s_xor_b64 s[4:5], exec, s[4:5]
	s_cbranch_execz .LBB986_195
; %bb.194:
	v_xor_b32_e32 v2, 0xfffff4ff, v0
	s_waitcnt lgkmcnt(1)
	v_ashrrev_i32_e32 v3, 31, v2
	v_add_co_u32_e32 v2, vcc, v23, v2
	v_addc_co_u32_e32 v3, vcc, v32, v3, vcc
                                        ; implicit-def: $vgpr21
.LBB986_195:
	s_andn2_saveexec_b64 s[4:5], s[4:5]
	s_cbranch_execz .LBB986_197
; %bb.196:
	v_add_co_u32_e32 v2, vcc, v17, v21
	s_waitcnt lgkmcnt(1)
	v_addc_co_u32_e32 v3, vcc, 0, v18, vcc
.LBB986_197:
	s_or_b64 exec, exec, s[4:5]
	s_waitcnt lgkmcnt(1)
	v_lshlrev_b64 v[2:3], 2, v[2:3]
	v_mov_b32_e32 v5, s27
	v_add_co_u32_e32 v2, vcc, s26, v2
	v_addc_co_u32_e32 v3, vcc, v5, v3, vcc
	global_store_dword v[2:3], v4, off
.LBB986_198:
	s_or_b64 exec, exec, s[2:3]
	v_cmp_gt_u32_e32 vcc, s33, v20
                                        ; implicit-def: $vgpr15_vgpr16
	s_and_saveexec_b64 s[2:3], vcc
	s_cbranch_execz .LBB986_204
; %bb.199:
	v_cmp_ge_u32_e32 vcc, v20, v1
                                        ; implicit-def: $vgpr15_vgpr16
	s_and_saveexec_b64 s[4:5], vcc
	s_xor_b64 s[4:5], exec, s[4:5]
	s_cbranch_execz .LBB986_201
; %bb.200:
	v_xor_b32_e32 v2, 0xfffff3ff, v0
	s_waitcnt lgkmcnt(1)
	v_ashrrev_i32_e32 v3, 31, v2
	v_add_co_u32_e32 v15, vcc, v23, v2
	v_addc_co_u32_e32 v16, vcc, v32, v3, vcc
                                        ; implicit-def: $vgpr20
.LBB986_201:
	s_andn2_saveexec_b64 s[4:5], s[4:5]
; %bb.202:
	v_add_co_u32_e32 v15, vcc, v17, v20
	v_addc_co_u32_e32 v16, vcc, 0, v18, vcc
; %bb.203:
	s_or_b64 exec, exec, s[4:5]
	s_or_b64 s[0:1], s[0:1], exec
.LBB986_204:
	s_or_b64 exec, exec, s[2:3]
.LBB986_205:
	s_and_saveexec_b64 s[2:3], s[0:1]
	s_cbranch_execz .LBB986_207
; %bb.206:
	s_waitcnt lgkmcnt(1)
	v_lshlrev_b64 v[2:3], 2, v[15:16]
	v_mov_b32_e32 v4, s27
	v_add_co_u32_e32 v2, vcc, s26, v2
	v_addc_co_u32_e32 v3, vcc, v4, v3, vcc
	s_waitcnt lgkmcnt(0)
	global_store_dword v[2:3], v19, off
.LBB986_207:
	s_or_b64 exec, exec, s[2:3]
	v_cmp_eq_u32_e32 vcc, 0, v0
	s_and_b64 s[0:1], vcc, s[22:23]
	s_and_saveexec_b64 s[2:3], s[0:1]
	s_cbranch_execz .LBB986_209
; %bb.208:
	v_add_co_u32_e32 v0, vcc, v17, v1
	v_mov_b32_e32 v2, 0
	v_addc_co_u32_e32 v1, vcc, 0, v18, vcc
	global_store_dwordx2 v2, v[0:1], s[24:25]
.LBB986_209:
	s_endpgm
	.section	.rodata,"a",@progbits
	.p2align	6, 0x0
	.amdhsa_kernel _ZN7rocprim17ROCPRIM_400000_NS6detail17trampoline_kernelINS0_13select_configILj256ELj13ELNS0_17block_load_methodE3ELS4_3ELS4_3ELNS0_20block_scan_algorithmE0ELj4294967295EEENS1_25partition_config_selectorILNS1_17partition_subalgoE3EjNS0_10empty_typeEbEEZZNS1_14partition_implILS8_3ELb0ES6_jNS0_17counting_iteratorIjlEEPS9_SE_NS0_5tupleIJPjSE_EEENSF_IJSE_SE_EEES9_SG_JZNS1_25segmented_radix_sort_implINS0_14default_configELb0EPKsPsPKlPlN2at6native12_GLOBAL__N_18offset_tEEE10hipError_tPvRmT1_PNSt15iterator_traitsISY_E10value_typeET2_T3_PNSZ_IS14_E10value_typeET4_jRbjT5_S1A_jjP12ihipStream_tbEUljE_EEESV_SW_SX_S14_S18_S1A_T6_T7_T9_mT8_S1C_bDpT10_ENKUlT_T0_E_clISt17integral_constantIbLb0EES1P_EEDaS1K_S1L_EUlS1K_E_NS1_11comp_targetILNS1_3genE2ELNS1_11target_archE906ELNS1_3gpuE6ELNS1_3repE0EEENS1_30default_config_static_selectorELNS0_4arch9wavefront6targetE1EEEvSY_
		.amdhsa_group_segment_fixed_size 13320
		.amdhsa_private_segment_fixed_size 0
		.amdhsa_kernarg_size 144
		.amdhsa_user_sgpr_count 6
		.amdhsa_user_sgpr_private_segment_buffer 1
		.amdhsa_user_sgpr_dispatch_ptr 0
		.amdhsa_user_sgpr_queue_ptr 0
		.amdhsa_user_sgpr_kernarg_segment_ptr 1
		.amdhsa_user_sgpr_dispatch_id 0
		.amdhsa_user_sgpr_flat_scratch_init 0
		.amdhsa_user_sgpr_private_segment_size 0
		.amdhsa_uses_dynamic_stack 0
		.amdhsa_system_sgpr_private_segment_wavefront_offset 0
		.amdhsa_system_sgpr_workgroup_id_x 1
		.amdhsa_system_sgpr_workgroup_id_y 0
		.amdhsa_system_sgpr_workgroup_id_z 0
		.amdhsa_system_sgpr_workgroup_info 0
		.amdhsa_system_vgpr_workitem_id 0
		.amdhsa_next_free_vgpr 69
		.amdhsa_next_free_sgpr 98
		.amdhsa_reserve_vcc 1
		.amdhsa_reserve_flat_scratch 0
		.amdhsa_float_round_mode_32 0
		.amdhsa_float_round_mode_16_64 0
		.amdhsa_float_denorm_mode_32 3
		.amdhsa_float_denorm_mode_16_64 3
		.amdhsa_dx10_clamp 1
		.amdhsa_ieee_mode 1
		.amdhsa_fp16_overflow 0
		.amdhsa_exception_fp_ieee_invalid_op 0
		.amdhsa_exception_fp_denorm_src 0
		.amdhsa_exception_fp_ieee_div_zero 0
		.amdhsa_exception_fp_ieee_overflow 0
		.amdhsa_exception_fp_ieee_underflow 0
		.amdhsa_exception_fp_ieee_inexact 0
		.amdhsa_exception_int_div_zero 0
	.end_amdhsa_kernel
	.section	.text._ZN7rocprim17ROCPRIM_400000_NS6detail17trampoline_kernelINS0_13select_configILj256ELj13ELNS0_17block_load_methodE3ELS4_3ELS4_3ELNS0_20block_scan_algorithmE0ELj4294967295EEENS1_25partition_config_selectorILNS1_17partition_subalgoE3EjNS0_10empty_typeEbEEZZNS1_14partition_implILS8_3ELb0ES6_jNS0_17counting_iteratorIjlEEPS9_SE_NS0_5tupleIJPjSE_EEENSF_IJSE_SE_EEES9_SG_JZNS1_25segmented_radix_sort_implINS0_14default_configELb0EPKsPsPKlPlN2at6native12_GLOBAL__N_18offset_tEEE10hipError_tPvRmT1_PNSt15iterator_traitsISY_E10value_typeET2_T3_PNSZ_IS14_E10value_typeET4_jRbjT5_S1A_jjP12ihipStream_tbEUljE_EEESV_SW_SX_S14_S18_S1A_T6_T7_T9_mT8_S1C_bDpT10_ENKUlT_T0_E_clISt17integral_constantIbLb0EES1P_EEDaS1K_S1L_EUlS1K_E_NS1_11comp_targetILNS1_3genE2ELNS1_11target_archE906ELNS1_3gpuE6ELNS1_3repE0EEENS1_30default_config_static_selectorELNS0_4arch9wavefront6targetE1EEEvSY_,"axG",@progbits,_ZN7rocprim17ROCPRIM_400000_NS6detail17trampoline_kernelINS0_13select_configILj256ELj13ELNS0_17block_load_methodE3ELS4_3ELS4_3ELNS0_20block_scan_algorithmE0ELj4294967295EEENS1_25partition_config_selectorILNS1_17partition_subalgoE3EjNS0_10empty_typeEbEEZZNS1_14partition_implILS8_3ELb0ES6_jNS0_17counting_iteratorIjlEEPS9_SE_NS0_5tupleIJPjSE_EEENSF_IJSE_SE_EEES9_SG_JZNS1_25segmented_radix_sort_implINS0_14default_configELb0EPKsPsPKlPlN2at6native12_GLOBAL__N_18offset_tEEE10hipError_tPvRmT1_PNSt15iterator_traitsISY_E10value_typeET2_T3_PNSZ_IS14_E10value_typeET4_jRbjT5_S1A_jjP12ihipStream_tbEUljE_EEESV_SW_SX_S14_S18_S1A_T6_T7_T9_mT8_S1C_bDpT10_ENKUlT_T0_E_clISt17integral_constantIbLb0EES1P_EEDaS1K_S1L_EUlS1K_E_NS1_11comp_targetILNS1_3genE2ELNS1_11target_archE906ELNS1_3gpuE6ELNS1_3repE0EEENS1_30default_config_static_selectorELNS0_4arch9wavefront6targetE1EEEvSY_,comdat
.Lfunc_end986:
	.size	_ZN7rocprim17ROCPRIM_400000_NS6detail17trampoline_kernelINS0_13select_configILj256ELj13ELNS0_17block_load_methodE3ELS4_3ELS4_3ELNS0_20block_scan_algorithmE0ELj4294967295EEENS1_25partition_config_selectorILNS1_17partition_subalgoE3EjNS0_10empty_typeEbEEZZNS1_14partition_implILS8_3ELb0ES6_jNS0_17counting_iteratorIjlEEPS9_SE_NS0_5tupleIJPjSE_EEENSF_IJSE_SE_EEES9_SG_JZNS1_25segmented_radix_sort_implINS0_14default_configELb0EPKsPsPKlPlN2at6native12_GLOBAL__N_18offset_tEEE10hipError_tPvRmT1_PNSt15iterator_traitsISY_E10value_typeET2_T3_PNSZ_IS14_E10value_typeET4_jRbjT5_S1A_jjP12ihipStream_tbEUljE_EEESV_SW_SX_S14_S18_S1A_T6_T7_T9_mT8_S1C_bDpT10_ENKUlT_T0_E_clISt17integral_constantIbLb0EES1P_EEDaS1K_S1L_EUlS1K_E_NS1_11comp_targetILNS1_3genE2ELNS1_11target_archE906ELNS1_3gpuE6ELNS1_3repE0EEENS1_30default_config_static_selectorELNS0_4arch9wavefront6targetE1EEEvSY_, .Lfunc_end986-_ZN7rocprim17ROCPRIM_400000_NS6detail17trampoline_kernelINS0_13select_configILj256ELj13ELNS0_17block_load_methodE3ELS4_3ELS4_3ELNS0_20block_scan_algorithmE0ELj4294967295EEENS1_25partition_config_selectorILNS1_17partition_subalgoE3EjNS0_10empty_typeEbEEZZNS1_14partition_implILS8_3ELb0ES6_jNS0_17counting_iteratorIjlEEPS9_SE_NS0_5tupleIJPjSE_EEENSF_IJSE_SE_EEES9_SG_JZNS1_25segmented_radix_sort_implINS0_14default_configELb0EPKsPsPKlPlN2at6native12_GLOBAL__N_18offset_tEEE10hipError_tPvRmT1_PNSt15iterator_traitsISY_E10value_typeET2_T3_PNSZ_IS14_E10value_typeET4_jRbjT5_S1A_jjP12ihipStream_tbEUljE_EEESV_SW_SX_S14_S18_S1A_T6_T7_T9_mT8_S1C_bDpT10_ENKUlT_T0_E_clISt17integral_constantIbLb0EES1P_EEDaS1K_S1L_EUlS1K_E_NS1_11comp_targetILNS1_3genE2ELNS1_11target_archE906ELNS1_3gpuE6ELNS1_3repE0EEENS1_30default_config_static_selectorELNS0_4arch9wavefront6targetE1EEEvSY_
                                        ; -- End function
	.set _ZN7rocprim17ROCPRIM_400000_NS6detail17trampoline_kernelINS0_13select_configILj256ELj13ELNS0_17block_load_methodE3ELS4_3ELS4_3ELNS0_20block_scan_algorithmE0ELj4294967295EEENS1_25partition_config_selectorILNS1_17partition_subalgoE3EjNS0_10empty_typeEbEEZZNS1_14partition_implILS8_3ELb0ES6_jNS0_17counting_iteratorIjlEEPS9_SE_NS0_5tupleIJPjSE_EEENSF_IJSE_SE_EEES9_SG_JZNS1_25segmented_radix_sort_implINS0_14default_configELb0EPKsPsPKlPlN2at6native12_GLOBAL__N_18offset_tEEE10hipError_tPvRmT1_PNSt15iterator_traitsISY_E10value_typeET2_T3_PNSZ_IS14_E10value_typeET4_jRbjT5_S1A_jjP12ihipStream_tbEUljE_EEESV_SW_SX_S14_S18_S1A_T6_T7_T9_mT8_S1C_bDpT10_ENKUlT_T0_E_clISt17integral_constantIbLb0EES1P_EEDaS1K_S1L_EUlS1K_E_NS1_11comp_targetILNS1_3genE2ELNS1_11target_archE906ELNS1_3gpuE6ELNS1_3repE0EEENS1_30default_config_static_selectorELNS0_4arch9wavefront6targetE1EEEvSY_.num_vgpr, 69
	.set _ZN7rocprim17ROCPRIM_400000_NS6detail17trampoline_kernelINS0_13select_configILj256ELj13ELNS0_17block_load_methodE3ELS4_3ELS4_3ELNS0_20block_scan_algorithmE0ELj4294967295EEENS1_25partition_config_selectorILNS1_17partition_subalgoE3EjNS0_10empty_typeEbEEZZNS1_14partition_implILS8_3ELb0ES6_jNS0_17counting_iteratorIjlEEPS9_SE_NS0_5tupleIJPjSE_EEENSF_IJSE_SE_EEES9_SG_JZNS1_25segmented_radix_sort_implINS0_14default_configELb0EPKsPsPKlPlN2at6native12_GLOBAL__N_18offset_tEEE10hipError_tPvRmT1_PNSt15iterator_traitsISY_E10value_typeET2_T3_PNSZ_IS14_E10value_typeET4_jRbjT5_S1A_jjP12ihipStream_tbEUljE_EEESV_SW_SX_S14_S18_S1A_T6_T7_T9_mT8_S1C_bDpT10_ENKUlT_T0_E_clISt17integral_constantIbLb0EES1P_EEDaS1K_S1L_EUlS1K_E_NS1_11comp_targetILNS1_3genE2ELNS1_11target_archE906ELNS1_3gpuE6ELNS1_3repE0EEENS1_30default_config_static_selectorELNS0_4arch9wavefront6targetE1EEEvSY_.num_agpr, 0
	.set _ZN7rocprim17ROCPRIM_400000_NS6detail17trampoline_kernelINS0_13select_configILj256ELj13ELNS0_17block_load_methodE3ELS4_3ELS4_3ELNS0_20block_scan_algorithmE0ELj4294967295EEENS1_25partition_config_selectorILNS1_17partition_subalgoE3EjNS0_10empty_typeEbEEZZNS1_14partition_implILS8_3ELb0ES6_jNS0_17counting_iteratorIjlEEPS9_SE_NS0_5tupleIJPjSE_EEENSF_IJSE_SE_EEES9_SG_JZNS1_25segmented_radix_sort_implINS0_14default_configELb0EPKsPsPKlPlN2at6native12_GLOBAL__N_18offset_tEEE10hipError_tPvRmT1_PNSt15iterator_traitsISY_E10value_typeET2_T3_PNSZ_IS14_E10value_typeET4_jRbjT5_S1A_jjP12ihipStream_tbEUljE_EEESV_SW_SX_S14_S18_S1A_T6_T7_T9_mT8_S1C_bDpT10_ENKUlT_T0_E_clISt17integral_constantIbLb0EES1P_EEDaS1K_S1L_EUlS1K_E_NS1_11comp_targetILNS1_3genE2ELNS1_11target_archE906ELNS1_3gpuE6ELNS1_3repE0EEENS1_30default_config_static_selectorELNS0_4arch9wavefront6targetE1EEEvSY_.numbered_sgpr, 48
	.set _ZN7rocprim17ROCPRIM_400000_NS6detail17trampoline_kernelINS0_13select_configILj256ELj13ELNS0_17block_load_methodE3ELS4_3ELS4_3ELNS0_20block_scan_algorithmE0ELj4294967295EEENS1_25partition_config_selectorILNS1_17partition_subalgoE3EjNS0_10empty_typeEbEEZZNS1_14partition_implILS8_3ELb0ES6_jNS0_17counting_iteratorIjlEEPS9_SE_NS0_5tupleIJPjSE_EEENSF_IJSE_SE_EEES9_SG_JZNS1_25segmented_radix_sort_implINS0_14default_configELb0EPKsPsPKlPlN2at6native12_GLOBAL__N_18offset_tEEE10hipError_tPvRmT1_PNSt15iterator_traitsISY_E10value_typeET2_T3_PNSZ_IS14_E10value_typeET4_jRbjT5_S1A_jjP12ihipStream_tbEUljE_EEESV_SW_SX_S14_S18_S1A_T6_T7_T9_mT8_S1C_bDpT10_ENKUlT_T0_E_clISt17integral_constantIbLb0EES1P_EEDaS1K_S1L_EUlS1K_E_NS1_11comp_targetILNS1_3genE2ELNS1_11target_archE906ELNS1_3gpuE6ELNS1_3repE0EEENS1_30default_config_static_selectorELNS0_4arch9wavefront6targetE1EEEvSY_.num_named_barrier, 0
	.set _ZN7rocprim17ROCPRIM_400000_NS6detail17trampoline_kernelINS0_13select_configILj256ELj13ELNS0_17block_load_methodE3ELS4_3ELS4_3ELNS0_20block_scan_algorithmE0ELj4294967295EEENS1_25partition_config_selectorILNS1_17partition_subalgoE3EjNS0_10empty_typeEbEEZZNS1_14partition_implILS8_3ELb0ES6_jNS0_17counting_iteratorIjlEEPS9_SE_NS0_5tupleIJPjSE_EEENSF_IJSE_SE_EEES9_SG_JZNS1_25segmented_radix_sort_implINS0_14default_configELb0EPKsPsPKlPlN2at6native12_GLOBAL__N_18offset_tEEE10hipError_tPvRmT1_PNSt15iterator_traitsISY_E10value_typeET2_T3_PNSZ_IS14_E10value_typeET4_jRbjT5_S1A_jjP12ihipStream_tbEUljE_EEESV_SW_SX_S14_S18_S1A_T6_T7_T9_mT8_S1C_bDpT10_ENKUlT_T0_E_clISt17integral_constantIbLb0EES1P_EEDaS1K_S1L_EUlS1K_E_NS1_11comp_targetILNS1_3genE2ELNS1_11target_archE906ELNS1_3gpuE6ELNS1_3repE0EEENS1_30default_config_static_selectorELNS0_4arch9wavefront6targetE1EEEvSY_.private_seg_size, 0
	.set _ZN7rocprim17ROCPRIM_400000_NS6detail17trampoline_kernelINS0_13select_configILj256ELj13ELNS0_17block_load_methodE3ELS4_3ELS4_3ELNS0_20block_scan_algorithmE0ELj4294967295EEENS1_25partition_config_selectorILNS1_17partition_subalgoE3EjNS0_10empty_typeEbEEZZNS1_14partition_implILS8_3ELb0ES6_jNS0_17counting_iteratorIjlEEPS9_SE_NS0_5tupleIJPjSE_EEENSF_IJSE_SE_EEES9_SG_JZNS1_25segmented_radix_sort_implINS0_14default_configELb0EPKsPsPKlPlN2at6native12_GLOBAL__N_18offset_tEEE10hipError_tPvRmT1_PNSt15iterator_traitsISY_E10value_typeET2_T3_PNSZ_IS14_E10value_typeET4_jRbjT5_S1A_jjP12ihipStream_tbEUljE_EEESV_SW_SX_S14_S18_S1A_T6_T7_T9_mT8_S1C_bDpT10_ENKUlT_T0_E_clISt17integral_constantIbLb0EES1P_EEDaS1K_S1L_EUlS1K_E_NS1_11comp_targetILNS1_3genE2ELNS1_11target_archE906ELNS1_3gpuE6ELNS1_3repE0EEENS1_30default_config_static_selectorELNS0_4arch9wavefront6targetE1EEEvSY_.uses_vcc, 1
	.set _ZN7rocprim17ROCPRIM_400000_NS6detail17trampoline_kernelINS0_13select_configILj256ELj13ELNS0_17block_load_methodE3ELS4_3ELS4_3ELNS0_20block_scan_algorithmE0ELj4294967295EEENS1_25partition_config_selectorILNS1_17partition_subalgoE3EjNS0_10empty_typeEbEEZZNS1_14partition_implILS8_3ELb0ES6_jNS0_17counting_iteratorIjlEEPS9_SE_NS0_5tupleIJPjSE_EEENSF_IJSE_SE_EEES9_SG_JZNS1_25segmented_radix_sort_implINS0_14default_configELb0EPKsPsPKlPlN2at6native12_GLOBAL__N_18offset_tEEE10hipError_tPvRmT1_PNSt15iterator_traitsISY_E10value_typeET2_T3_PNSZ_IS14_E10value_typeET4_jRbjT5_S1A_jjP12ihipStream_tbEUljE_EEESV_SW_SX_S14_S18_S1A_T6_T7_T9_mT8_S1C_bDpT10_ENKUlT_T0_E_clISt17integral_constantIbLb0EES1P_EEDaS1K_S1L_EUlS1K_E_NS1_11comp_targetILNS1_3genE2ELNS1_11target_archE906ELNS1_3gpuE6ELNS1_3repE0EEENS1_30default_config_static_selectorELNS0_4arch9wavefront6targetE1EEEvSY_.uses_flat_scratch, 0
	.set _ZN7rocprim17ROCPRIM_400000_NS6detail17trampoline_kernelINS0_13select_configILj256ELj13ELNS0_17block_load_methodE3ELS4_3ELS4_3ELNS0_20block_scan_algorithmE0ELj4294967295EEENS1_25partition_config_selectorILNS1_17partition_subalgoE3EjNS0_10empty_typeEbEEZZNS1_14partition_implILS8_3ELb0ES6_jNS0_17counting_iteratorIjlEEPS9_SE_NS0_5tupleIJPjSE_EEENSF_IJSE_SE_EEES9_SG_JZNS1_25segmented_radix_sort_implINS0_14default_configELb0EPKsPsPKlPlN2at6native12_GLOBAL__N_18offset_tEEE10hipError_tPvRmT1_PNSt15iterator_traitsISY_E10value_typeET2_T3_PNSZ_IS14_E10value_typeET4_jRbjT5_S1A_jjP12ihipStream_tbEUljE_EEESV_SW_SX_S14_S18_S1A_T6_T7_T9_mT8_S1C_bDpT10_ENKUlT_T0_E_clISt17integral_constantIbLb0EES1P_EEDaS1K_S1L_EUlS1K_E_NS1_11comp_targetILNS1_3genE2ELNS1_11target_archE906ELNS1_3gpuE6ELNS1_3repE0EEENS1_30default_config_static_selectorELNS0_4arch9wavefront6targetE1EEEvSY_.has_dyn_sized_stack, 0
	.set _ZN7rocprim17ROCPRIM_400000_NS6detail17trampoline_kernelINS0_13select_configILj256ELj13ELNS0_17block_load_methodE3ELS4_3ELS4_3ELNS0_20block_scan_algorithmE0ELj4294967295EEENS1_25partition_config_selectorILNS1_17partition_subalgoE3EjNS0_10empty_typeEbEEZZNS1_14partition_implILS8_3ELb0ES6_jNS0_17counting_iteratorIjlEEPS9_SE_NS0_5tupleIJPjSE_EEENSF_IJSE_SE_EEES9_SG_JZNS1_25segmented_radix_sort_implINS0_14default_configELb0EPKsPsPKlPlN2at6native12_GLOBAL__N_18offset_tEEE10hipError_tPvRmT1_PNSt15iterator_traitsISY_E10value_typeET2_T3_PNSZ_IS14_E10value_typeET4_jRbjT5_S1A_jjP12ihipStream_tbEUljE_EEESV_SW_SX_S14_S18_S1A_T6_T7_T9_mT8_S1C_bDpT10_ENKUlT_T0_E_clISt17integral_constantIbLb0EES1P_EEDaS1K_S1L_EUlS1K_E_NS1_11comp_targetILNS1_3genE2ELNS1_11target_archE906ELNS1_3gpuE6ELNS1_3repE0EEENS1_30default_config_static_selectorELNS0_4arch9wavefront6targetE1EEEvSY_.has_recursion, 0
	.set _ZN7rocprim17ROCPRIM_400000_NS6detail17trampoline_kernelINS0_13select_configILj256ELj13ELNS0_17block_load_methodE3ELS4_3ELS4_3ELNS0_20block_scan_algorithmE0ELj4294967295EEENS1_25partition_config_selectorILNS1_17partition_subalgoE3EjNS0_10empty_typeEbEEZZNS1_14partition_implILS8_3ELb0ES6_jNS0_17counting_iteratorIjlEEPS9_SE_NS0_5tupleIJPjSE_EEENSF_IJSE_SE_EEES9_SG_JZNS1_25segmented_radix_sort_implINS0_14default_configELb0EPKsPsPKlPlN2at6native12_GLOBAL__N_18offset_tEEE10hipError_tPvRmT1_PNSt15iterator_traitsISY_E10value_typeET2_T3_PNSZ_IS14_E10value_typeET4_jRbjT5_S1A_jjP12ihipStream_tbEUljE_EEESV_SW_SX_S14_S18_S1A_T6_T7_T9_mT8_S1C_bDpT10_ENKUlT_T0_E_clISt17integral_constantIbLb0EES1P_EEDaS1K_S1L_EUlS1K_E_NS1_11comp_targetILNS1_3genE2ELNS1_11target_archE906ELNS1_3gpuE6ELNS1_3repE0EEENS1_30default_config_static_selectorELNS0_4arch9wavefront6targetE1EEEvSY_.has_indirect_call, 0
	.section	.AMDGPU.csdata,"",@progbits
; Kernel info:
; codeLenInByte = 7612
; TotalNumSgprs: 52
; NumVgprs: 69
; ScratchSize: 0
; MemoryBound: 0
; FloatMode: 240
; IeeeMode: 1
; LDSByteSize: 13320 bytes/workgroup (compile time only)
; SGPRBlocks: 12
; VGPRBlocks: 17
; NumSGPRsForWavesPerEU: 102
; NumVGPRsForWavesPerEU: 69
; Occupancy: 3
; WaveLimiterHint : 0
; COMPUTE_PGM_RSRC2:SCRATCH_EN: 0
; COMPUTE_PGM_RSRC2:USER_SGPR: 6
; COMPUTE_PGM_RSRC2:TRAP_HANDLER: 0
; COMPUTE_PGM_RSRC2:TGID_X_EN: 1
; COMPUTE_PGM_RSRC2:TGID_Y_EN: 0
; COMPUTE_PGM_RSRC2:TGID_Z_EN: 0
; COMPUTE_PGM_RSRC2:TIDIG_COMP_CNT: 0
	.section	.text._ZN7rocprim17ROCPRIM_400000_NS6detail17trampoline_kernelINS0_13select_configILj256ELj13ELNS0_17block_load_methodE3ELS4_3ELS4_3ELNS0_20block_scan_algorithmE0ELj4294967295EEENS1_25partition_config_selectorILNS1_17partition_subalgoE3EjNS0_10empty_typeEbEEZZNS1_14partition_implILS8_3ELb0ES6_jNS0_17counting_iteratorIjlEEPS9_SE_NS0_5tupleIJPjSE_EEENSF_IJSE_SE_EEES9_SG_JZNS1_25segmented_radix_sort_implINS0_14default_configELb0EPKsPsPKlPlN2at6native12_GLOBAL__N_18offset_tEEE10hipError_tPvRmT1_PNSt15iterator_traitsISY_E10value_typeET2_T3_PNSZ_IS14_E10value_typeET4_jRbjT5_S1A_jjP12ihipStream_tbEUljE_EEESV_SW_SX_S14_S18_S1A_T6_T7_T9_mT8_S1C_bDpT10_ENKUlT_T0_E_clISt17integral_constantIbLb0EES1P_EEDaS1K_S1L_EUlS1K_E_NS1_11comp_targetILNS1_3genE10ELNS1_11target_archE1200ELNS1_3gpuE4ELNS1_3repE0EEENS1_30default_config_static_selectorELNS0_4arch9wavefront6targetE1EEEvSY_,"axG",@progbits,_ZN7rocprim17ROCPRIM_400000_NS6detail17trampoline_kernelINS0_13select_configILj256ELj13ELNS0_17block_load_methodE3ELS4_3ELS4_3ELNS0_20block_scan_algorithmE0ELj4294967295EEENS1_25partition_config_selectorILNS1_17partition_subalgoE3EjNS0_10empty_typeEbEEZZNS1_14partition_implILS8_3ELb0ES6_jNS0_17counting_iteratorIjlEEPS9_SE_NS0_5tupleIJPjSE_EEENSF_IJSE_SE_EEES9_SG_JZNS1_25segmented_radix_sort_implINS0_14default_configELb0EPKsPsPKlPlN2at6native12_GLOBAL__N_18offset_tEEE10hipError_tPvRmT1_PNSt15iterator_traitsISY_E10value_typeET2_T3_PNSZ_IS14_E10value_typeET4_jRbjT5_S1A_jjP12ihipStream_tbEUljE_EEESV_SW_SX_S14_S18_S1A_T6_T7_T9_mT8_S1C_bDpT10_ENKUlT_T0_E_clISt17integral_constantIbLb0EES1P_EEDaS1K_S1L_EUlS1K_E_NS1_11comp_targetILNS1_3genE10ELNS1_11target_archE1200ELNS1_3gpuE4ELNS1_3repE0EEENS1_30default_config_static_selectorELNS0_4arch9wavefront6targetE1EEEvSY_,comdat
	.globl	_ZN7rocprim17ROCPRIM_400000_NS6detail17trampoline_kernelINS0_13select_configILj256ELj13ELNS0_17block_load_methodE3ELS4_3ELS4_3ELNS0_20block_scan_algorithmE0ELj4294967295EEENS1_25partition_config_selectorILNS1_17partition_subalgoE3EjNS0_10empty_typeEbEEZZNS1_14partition_implILS8_3ELb0ES6_jNS0_17counting_iteratorIjlEEPS9_SE_NS0_5tupleIJPjSE_EEENSF_IJSE_SE_EEES9_SG_JZNS1_25segmented_radix_sort_implINS0_14default_configELb0EPKsPsPKlPlN2at6native12_GLOBAL__N_18offset_tEEE10hipError_tPvRmT1_PNSt15iterator_traitsISY_E10value_typeET2_T3_PNSZ_IS14_E10value_typeET4_jRbjT5_S1A_jjP12ihipStream_tbEUljE_EEESV_SW_SX_S14_S18_S1A_T6_T7_T9_mT8_S1C_bDpT10_ENKUlT_T0_E_clISt17integral_constantIbLb0EES1P_EEDaS1K_S1L_EUlS1K_E_NS1_11comp_targetILNS1_3genE10ELNS1_11target_archE1200ELNS1_3gpuE4ELNS1_3repE0EEENS1_30default_config_static_selectorELNS0_4arch9wavefront6targetE1EEEvSY_ ; -- Begin function _ZN7rocprim17ROCPRIM_400000_NS6detail17trampoline_kernelINS0_13select_configILj256ELj13ELNS0_17block_load_methodE3ELS4_3ELS4_3ELNS0_20block_scan_algorithmE0ELj4294967295EEENS1_25partition_config_selectorILNS1_17partition_subalgoE3EjNS0_10empty_typeEbEEZZNS1_14partition_implILS8_3ELb0ES6_jNS0_17counting_iteratorIjlEEPS9_SE_NS0_5tupleIJPjSE_EEENSF_IJSE_SE_EEES9_SG_JZNS1_25segmented_radix_sort_implINS0_14default_configELb0EPKsPsPKlPlN2at6native12_GLOBAL__N_18offset_tEEE10hipError_tPvRmT1_PNSt15iterator_traitsISY_E10value_typeET2_T3_PNSZ_IS14_E10value_typeET4_jRbjT5_S1A_jjP12ihipStream_tbEUljE_EEESV_SW_SX_S14_S18_S1A_T6_T7_T9_mT8_S1C_bDpT10_ENKUlT_T0_E_clISt17integral_constantIbLb0EES1P_EEDaS1K_S1L_EUlS1K_E_NS1_11comp_targetILNS1_3genE10ELNS1_11target_archE1200ELNS1_3gpuE4ELNS1_3repE0EEENS1_30default_config_static_selectorELNS0_4arch9wavefront6targetE1EEEvSY_
	.p2align	8
	.type	_ZN7rocprim17ROCPRIM_400000_NS6detail17trampoline_kernelINS0_13select_configILj256ELj13ELNS0_17block_load_methodE3ELS4_3ELS4_3ELNS0_20block_scan_algorithmE0ELj4294967295EEENS1_25partition_config_selectorILNS1_17partition_subalgoE3EjNS0_10empty_typeEbEEZZNS1_14partition_implILS8_3ELb0ES6_jNS0_17counting_iteratorIjlEEPS9_SE_NS0_5tupleIJPjSE_EEENSF_IJSE_SE_EEES9_SG_JZNS1_25segmented_radix_sort_implINS0_14default_configELb0EPKsPsPKlPlN2at6native12_GLOBAL__N_18offset_tEEE10hipError_tPvRmT1_PNSt15iterator_traitsISY_E10value_typeET2_T3_PNSZ_IS14_E10value_typeET4_jRbjT5_S1A_jjP12ihipStream_tbEUljE_EEESV_SW_SX_S14_S18_S1A_T6_T7_T9_mT8_S1C_bDpT10_ENKUlT_T0_E_clISt17integral_constantIbLb0EES1P_EEDaS1K_S1L_EUlS1K_E_NS1_11comp_targetILNS1_3genE10ELNS1_11target_archE1200ELNS1_3gpuE4ELNS1_3repE0EEENS1_30default_config_static_selectorELNS0_4arch9wavefront6targetE1EEEvSY_,@function
_ZN7rocprim17ROCPRIM_400000_NS6detail17trampoline_kernelINS0_13select_configILj256ELj13ELNS0_17block_load_methodE3ELS4_3ELS4_3ELNS0_20block_scan_algorithmE0ELj4294967295EEENS1_25partition_config_selectorILNS1_17partition_subalgoE3EjNS0_10empty_typeEbEEZZNS1_14partition_implILS8_3ELb0ES6_jNS0_17counting_iteratorIjlEEPS9_SE_NS0_5tupleIJPjSE_EEENSF_IJSE_SE_EEES9_SG_JZNS1_25segmented_radix_sort_implINS0_14default_configELb0EPKsPsPKlPlN2at6native12_GLOBAL__N_18offset_tEEE10hipError_tPvRmT1_PNSt15iterator_traitsISY_E10value_typeET2_T3_PNSZ_IS14_E10value_typeET4_jRbjT5_S1A_jjP12ihipStream_tbEUljE_EEESV_SW_SX_S14_S18_S1A_T6_T7_T9_mT8_S1C_bDpT10_ENKUlT_T0_E_clISt17integral_constantIbLb0EES1P_EEDaS1K_S1L_EUlS1K_E_NS1_11comp_targetILNS1_3genE10ELNS1_11target_archE1200ELNS1_3gpuE4ELNS1_3repE0EEENS1_30default_config_static_selectorELNS0_4arch9wavefront6targetE1EEEvSY_: ; @_ZN7rocprim17ROCPRIM_400000_NS6detail17trampoline_kernelINS0_13select_configILj256ELj13ELNS0_17block_load_methodE3ELS4_3ELS4_3ELNS0_20block_scan_algorithmE0ELj4294967295EEENS1_25partition_config_selectorILNS1_17partition_subalgoE3EjNS0_10empty_typeEbEEZZNS1_14partition_implILS8_3ELb0ES6_jNS0_17counting_iteratorIjlEEPS9_SE_NS0_5tupleIJPjSE_EEENSF_IJSE_SE_EEES9_SG_JZNS1_25segmented_radix_sort_implINS0_14default_configELb0EPKsPsPKlPlN2at6native12_GLOBAL__N_18offset_tEEE10hipError_tPvRmT1_PNSt15iterator_traitsISY_E10value_typeET2_T3_PNSZ_IS14_E10value_typeET4_jRbjT5_S1A_jjP12ihipStream_tbEUljE_EEESV_SW_SX_S14_S18_S1A_T6_T7_T9_mT8_S1C_bDpT10_ENKUlT_T0_E_clISt17integral_constantIbLb0EES1P_EEDaS1K_S1L_EUlS1K_E_NS1_11comp_targetILNS1_3genE10ELNS1_11target_archE1200ELNS1_3gpuE4ELNS1_3repE0EEENS1_30default_config_static_selectorELNS0_4arch9wavefront6targetE1EEEvSY_
; %bb.0:
	.section	.rodata,"a",@progbits
	.p2align	6, 0x0
	.amdhsa_kernel _ZN7rocprim17ROCPRIM_400000_NS6detail17trampoline_kernelINS0_13select_configILj256ELj13ELNS0_17block_load_methodE3ELS4_3ELS4_3ELNS0_20block_scan_algorithmE0ELj4294967295EEENS1_25partition_config_selectorILNS1_17partition_subalgoE3EjNS0_10empty_typeEbEEZZNS1_14partition_implILS8_3ELb0ES6_jNS0_17counting_iteratorIjlEEPS9_SE_NS0_5tupleIJPjSE_EEENSF_IJSE_SE_EEES9_SG_JZNS1_25segmented_radix_sort_implINS0_14default_configELb0EPKsPsPKlPlN2at6native12_GLOBAL__N_18offset_tEEE10hipError_tPvRmT1_PNSt15iterator_traitsISY_E10value_typeET2_T3_PNSZ_IS14_E10value_typeET4_jRbjT5_S1A_jjP12ihipStream_tbEUljE_EEESV_SW_SX_S14_S18_S1A_T6_T7_T9_mT8_S1C_bDpT10_ENKUlT_T0_E_clISt17integral_constantIbLb0EES1P_EEDaS1K_S1L_EUlS1K_E_NS1_11comp_targetILNS1_3genE10ELNS1_11target_archE1200ELNS1_3gpuE4ELNS1_3repE0EEENS1_30default_config_static_selectorELNS0_4arch9wavefront6targetE1EEEvSY_
		.amdhsa_group_segment_fixed_size 0
		.amdhsa_private_segment_fixed_size 0
		.amdhsa_kernarg_size 144
		.amdhsa_user_sgpr_count 6
		.amdhsa_user_sgpr_private_segment_buffer 1
		.amdhsa_user_sgpr_dispatch_ptr 0
		.amdhsa_user_sgpr_queue_ptr 0
		.amdhsa_user_sgpr_kernarg_segment_ptr 1
		.amdhsa_user_sgpr_dispatch_id 0
		.amdhsa_user_sgpr_flat_scratch_init 0
		.amdhsa_user_sgpr_private_segment_size 0
		.amdhsa_uses_dynamic_stack 0
		.amdhsa_system_sgpr_private_segment_wavefront_offset 0
		.amdhsa_system_sgpr_workgroup_id_x 1
		.amdhsa_system_sgpr_workgroup_id_y 0
		.amdhsa_system_sgpr_workgroup_id_z 0
		.amdhsa_system_sgpr_workgroup_info 0
		.amdhsa_system_vgpr_workitem_id 0
		.amdhsa_next_free_vgpr 1
		.amdhsa_next_free_sgpr 0
		.amdhsa_reserve_vcc 0
		.amdhsa_reserve_flat_scratch 0
		.amdhsa_float_round_mode_32 0
		.amdhsa_float_round_mode_16_64 0
		.amdhsa_float_denorm_mode_32 3
		.amdhsa_float_denorm_mode_16_64 3
		.amdhsa_dx10_clamp 1
		.amdhsa_ieee_mode 1
		.amdhsa_fp16_overflow 0
		.amdhsa_exception_fp_ieee_invalid_op 0
		.amdhsa_exception_fp_denorm_src 0
		.amdhsa_exception_fp_ieee_div_zero 0
		.amdhsa_exception_fp_ieee_overflow 0
		.amdhsa_exception_fp_ieee_underflow 0
		.amdhsa_exception_fp_ieee_inexact 0
		.amdhsa_exception_int_div_zero 0
	.end_amdhsa_kernel
	.section	.text._ZN7rocprim17ROCPRIM_400000_NS6detail17trampoline_kernelINS0_13select_configILj256ELj13ELNS0_17block_load_methodE3ELS4_3ELS4_3ELNS0_20block_scan_algorithmE0ELj4294967295EEENS1_25partition_config_selectorILNS1_17partition_subalgoE3EjNS0_10empty_typeEbEEZZNS1_14partition_implILS8_3ELb0ES6_jNS0_17counting_iteratorIjlEEPS9_SE_NS0_5tupleIJPjSE_EEENSF_IJSE_SE_EEES9_SG_JZNS1_25segmented_radix_sort_implINS0_14default_configELb0EPKsPsPKlPlN2at6native12_GLOBAL__N_18offset_tEEE10hipError_tPvRmT1_PNSt15iterator_traitsISY_E10value_typeET2_T3_PNSZ_IS14_E10value_typeET4_jRbjT5_S1A_jjP12ihipStream_tbEUljE_EEESV_SW_SX_S14_S18_S1A_T6_T7_T9_mT8_S1C_bDpT10_ENKUlT_T0_E_clISt17integral_constantIbLb0EES1P_EEDaS1K_S1L_EUlS1K_E_NS1_11comp_targetILNS1_3genE10ELNS1_11target_archE1200ELNS1_3gpuE4ELNS1_3repE0EEENS1_30default_config_static_selectorELNS0_4arch9wavefront6targetE1EEEvSY_,"axG",@progbits,_ZN7rocprim17ROCPRIM_400000_NS6detail17trampoline_kernelINS0_13select_configILj256ELj13ELNS0_17block_load_methodE3ELS4_3ELS4_3ELNS0_20block_scan_algorithmE0ELj4294967295EEENS1_25partition_config_selectorILNS1_17partition_subalgoE3EjNS0_10empty_typeEbEEZZNS1_14partition_implILS8_3ELb0ES6_jNS0_17counting_iteratorIjlEEPS9_SE_NS0_5tupleIJPjSE_EEENSF_IJSE_SE_EEES9_SG_JZNS1_25segmented_radix_sort_implINS0_14default_configELb0EPKsPsPKlPlN2at6native12_GLOBAL__N_18offset_tEEE10hipError_tPvRmT1_PNSt15iterator_traitsISY_E10value_typeET2_T3_PNSZ_IS14_E10value_typeET4_jRbjT5_S1A_jjP12ihipStream_tbEUljE_EEESV_SW_SX_S14_S18_S1A_T6_T7_T9_mT8_S1C_bDpT10_ENKUlT_T0_E_clISt17integral_constantIbLb0EES1P_EEDaS1K_S1L_EUlS1K_E_NS1_11comp_targetILNS1_3genE10ELNS1_11target_archE1200ELNS1_3gpuE4ELNS1_3repE0EEENS1_30default_config_static_selectorELNS0_4arch9wavefront6targetE1EEEvSY_,comdat
.Lfunc_end987:
	.size	_ZN7rocprim17ROCPRIM_400000_NS6detail17trampoline_kernelINS0_13select_configILj256ELj13ELNS0_17block_load_methodE3ELS4_3ELS4_3ELNS0_20block_scan_algorithmE0ELj4294967295EEENS1_25partition_config_selectorILNS1_17partition_subalgoE3EjNS0_10empty_typeEbEEZZNS1_14partition_implILS8_3ELb0ES6_jNS0_17counting_iteratorIjlEEPS9_SE_NS0_5tupleIJPjSE_EEENSF_IJSE_SE_EEES9_SG_JZNS1_25segmented_radix_sort_implINS0_14default_configELb0EPKsPsPKlPlN2at6native12_GLOBAL__N_18offset_tEEE10hipError_tPvRmT1_PNSt15iterator_traitsISY_E10value_typeET2_T3_PNSZ_IS14_E10value_typeET4_jRbjT5_S1A_jjP12ihipStream_tbEUljE_EEESV_SW_SX_S14_S18_S1A_T6_T7_T9_mT8_S1C_bDpT10_ENKUlT_T0_E_clISt17integral_constantIbLb0EES1P_EEDaS1K_S1L_EUlS1K_E_NS1_11comp_targetILNS1_3genE10ELNS1_11target_archE1200ELNS1_3gpuE4ELNS1_3repE0EEENS1_30default_config_static_selectorELNS0_4arch9wavefront6targetE1EEEvSY_, .Lfunc_end987-_ZN7rocprim17ROCPRIM_400000_NS6detail17trampoline_kernelINS0_13select_configILj256ELj13ELNS0_17block_load_methodE3ELS4_3ELS4_3ELNS0_20block_scan_algorithmE0ELj4294967295EEENS1_25partition_config_selectorILNS1_17partition_subalgoE3EjNS0_10empty_typeEbEEZZNS1_14partition_implILS8_3ELb0ES6_jNS0_17counting_iteratorIjlEEPS9_SE_NS0_5tupleIJPjSE_EEENSF_IJSE_SE_EEES9_SG_JZNS1_25segmented_radix_sort_implINS0_14default_configELb0EPKsPsPKlPlN2at6native12_GLOBAL__N_18offset_tEEE10hipError_tPvRmT1_PNSt15iterator_traitsISY_E10value_typeET2_T3_PNSZ_IS14_E10value_typeET4_jRbjT5_S1A_jjP12ihipStream_tbEUljE_EEESV_SW_SX_S14_S18_S1A_T6_T7_T9_mT8_S1C_bDpT10_ENKUlT_T0_E_clISt17integral_constantIbLb0EES1P_EEDaS1K_S1L_EUlS1K_E_NS1_11comp_targetILNS1_3genE10ELNS1_11target_archE1200ELNS1_3gpuE4ELNS1_3repE0EEENS1_30default_config_static_selectorELNS0_4arch9wavefront6targetE1EEEvSY_
                                        ; -- End function
	.set _ZN7rocprim17ROCPRIM_400000_NS6detail17trampoline_kernelINS0_13select_configILj256ELj13ELNS0_17block_load_methodE3ELS4_3ELS4_3ELNS0_20block_scan_algorithmE0ELj4294967295EEENS1_25partition_config_selectorILNS1_17partition_subalgoE3EjNS0_10empty_typeEbEEZZNS1_14partition_implILS8_3ELb0ES6_jNS0_17counting_iteratorIjlEEPS9_SE_NS0_5tupleIJPjSE_EEENSF_IJSE_SE_EEES9_SG_JZNS1_25segmented_radix_sort_implINS0_14default_configELb0EPKsPsPKlPlN2at6native12_GLOBAL__N_18offset_tEEE10hipError_tPvRmT1_PNSt15iterator_traitsISY_E10value_typeET2_T3_PNSZ_IS14_E10value_typeET4_jRbjT5_S1A_jjP12ihipStream_tbEUljE_EEESV_SW_SX_S14_S18_S1A_T6_T7_T9_mT8_S1C_bDpT10_ENKUlT_T0_E_clISt17integral_constantIbLb0EES1P_EEDaS1K_S1L_EUlS1K_E_NS1_11comp_targetILNS1_3genE10ELNS1_11target_archE1200ELNS1_3gpuE4ELNS1_3repE0EEENS1_30default_config_static_selectorELNS0_4arch9wavefront6targetE1EEEvSY_.num_vgpr, 0
	.set _ZN7rocprim17ROCPRIM_400000_NS6detail17trampoline_kernelINS0_13select_configILj256ELj13ELNS0_17block_load_methodE3ELS4_3ELS4_3ELNS0_20block_scan_algorithmE0ELj4294967295EEENS1_25partition_config_selectorILNS1_17partition_subalgoE3EjNS0_10empty_typeEbEEZZNS1_14partition_implILS8_3ELb0ES6_jNS0_17counting_iteratorIjlEEPS9_SE_NS0_5tupleIJPjSE_EEENSF_IJSE_SE_EEES9_SG_JZNS1_25segmented_radix_sort_implINS0_14default_configELb0EPKsPsPKlPlN2at6native12_GLOBAL__N_18offset_tEEE10hipError_tPvRmT1_PNSt15iterator_traitsISY_E10value_typeET2_T3_PNSZ_IS14_E10value_typeET4_jRbjT5_S1A_jjP12ihipStream_tbEUljE_EEESV_SW_SX_S14_S18_S1A_T6_T7_T9_mT8_S1C_bDpT10_ENKUlT_T0_E_clISt17integral_constantIbLb0EES1P_EEDaS1K_S1L_EUlS1K_E_NS1_11comp_targetILNS1_3genE10ELNS1_11target_archE1200ELNS1_3gpuE4ELNS1_3repE0EEENS1_30default_config_static_selectorELNS0_4arch9wavefront6targetE1EEEvSY_.num_agpr, 0
	.set _ZN7rocprim17ROCPRIM_400000_NS6detail17trampoline_kernelINS0_13select_configILj256ELj13ELNS0_17block_load_methodE3ELS4_3ELS4_3ELNS0_20block_scan_algorithmE0ELj4294967295EEENS1_25partition_config_selectorILNS1_17partition_subalgoE3EjNS0_10empty_typeEbEEZZNS1_14partition_implILS8_3ELb0ES6_jNS0_17counting_iteratorIjlEEPS9_SE_NS0_5tupleIJPjSE_EEENSF_IJSE_SE_EEES9_SG_JZNS1_25segmented_radix_sort_implINS0_14default_configELb0EPKsPsPKlPlN2at6native12_GLOBAL__N_18offset_tEEE10hipError_tPvRmT1_PNSt15iterator_traitsISY_E10value_typeET2_T3_PNSZ_IS14_E10value_typeET4_jRbjT5_S1A_jjP12ihipStream_tbEUljE_EEESV_SW_SX_S14_S18_S1A_T6_T7_T9_mT8_S1C_bDpT10_ENKUlT_T0_E_clISt17integral_constantIbLb0EES1P_EEDaS1K_S1L_EUlS1K_E_NS1_11comp_targetILNS1_3genE10ELNS1_11target_archE1200ELNS1_3gpuE4ELNS1_3repE0EEENS1_30default_config_static_selectorELNS0_4arch9wavefront6targetE1EEEvSY_.numbered_sgpr, 0
	.set _ZN7rocprim17ROCPRIM_400000_NS6detail17trampoline_kernelINS0_13select_configILj256ELj13ELNS0_17block_load_methodE3ELS4_3ELS4_3ELNS0_20block_scan_algorithmE0ELj4294967295EEENS1_25partition_config_selectorILNS1_17partition_subalgoE3EjNS0_10empty_typeEbEEZZNS1_14partition_implILS8_3ELb0ES6_jNS0_17counting_iteratorIjlEEPS9_SE_NS0_5tupleIJPjSE_EEENSF_IJSE_SE_EEES9_SG_JZNS1_25segmented_radix_sort_implINS0_14default_configELb0EPKsPsPKlPlN2at6native12_GLOBAL__N_18offset_tEEE10hipError_tPvRmT1_PNSt15iterator_traitsISY_E10value_typeET2_T3_PNSZ_IS14_E10value_typeET4_jRbjT5_S1A_jjP12ihipStream_tbEUljE_EEESV_SW_SX_S14_S18_S1A_T6_T7_T9_mT8_S1C_bDpT10_ENKUlT_T0_E_clISt17integral_constantIbLb0EES1P_EEDaS1K_S1L_EUlS1K_E_NS1_11comp_targetILNS1_3genE10ELNS1_11target_archE1200ELNS1_3gpuE4ELNS1_3repE0EEENS1_30default_config_static_selectorELNS0_4arch9wavefront6targetE1EEEvSY_.num_named_barrier, 0
	.set _ZN7rocprim17ROCPRIM_400000_NS6detail17trampoline_kernelINS0_13select_configILj256ELj13ELNS0_17block_load_methodE3ELS4_3ELS4_3ELNS0_20block_scan_algorithmE0ELj4294967295EEENS1_25partition_config_selectorILNS1_17partition_subalgoE3EjNS0_10empty_typeEbEEZZNS1_14partition_implILS8_3ELb0ES6_jNS0_17counting_iteratorIjlEEPS9_SE_NS0_5tupleIJPjSE_EEENSF_IJSE_SE_EEES9_SG_JZNS1_25segmented_radix_sort_implINS0_14default_configELb0EPKsPsPKlPlN2at6native12_GLOBAL__N_18offset_tEEE10hipError_tPvRmT1_PNSt15iterator_traitsISY_E10value_typeET2_T3_PNSZ_IS14_E10value_typeET4_jRbjT5_S1A_jjP12ihipStream_tbEUljE_EEESV_SW_SX_S14_S18_S1A_T6_T7_T9_mT8_S1C_bDpT10_ENKUlT_T0_E_clISt17integral_constantIbLb0EES1P_EEDaS1K_S1L_EUlS1K_E_NS1_11comp_targetILNS1_3genE10ELNS1_11target_archE1200ELNS1_3gpuE4ELNS1_3repE0EEENS1_30default_config_static_selectorELNS0_4arch9wavefront6targetE1EEEvSY_.private_seg_size, 0
	.set _ZN7rocprim17ROCPRIM_400000_NS6detail17trampoline_kernelINS0_13select_configILj256ELj13ELNS0_17block_load_methodE3ELS4_3ELS4_3ELNS0_20block_scan_algorithmE0ELj4294967295EEENS1_25partition_config_selectorILNS1_17partition_subalgoE3EjNS0_10empty_typeEbEEZZNS1_14partition_implILS8_3ELb0ES6_jNS0_17counting_iteratorIjlEEPS9_SE_NS0_5tupleIJPjSE_EEENSF_IJSE_SE_EEES9_SG_JZNS1_25segmented_radix_sort_implINS0_14default_configELb0EPKsPsPKlPlN2at6native12_GLOBAL__N_18offset_tEEE10hipError_tPvRmT1_PNSt15iterator_traitsISY_E10value_typeET2_T3_PNSZ_IS14_E10value_typeET4_jRbjT5_S1A_jjP12ihipStream_tbEUljE_EEESV_SW_SX_S14_S18_S1A_T6_T7_T9_mT8_S1C_bDpT10_ENKUlT_T0_E_clISt17integral_constantIbLb0EES1P_EEDaS1K_S1L_EUlS1K_E_NS1_11comp_targetILNS1_3genE10ELNS1_11target_archE1200ELNS1_3gpuE4ELNS1_3repE0EEENS1_30default_config_static_selectorELNS0_4arch9wavefront6targetE1EEEvSY_.uses_vcc, 0
	.set _ZN7rocprim17ROCPRIM_400000_NS6detail17trampoline_kernelINS0_13select_configILj256ELj13ELNS0_17block_load_methodE3ELS4_3ELS4_3ELNS0_20block_scan_algorithmE0ELj4294967295EEENS1_25partition_config_selectorILNS1_17partition_subalgoE3EjNS0_10empty_typeEbEEZZNS1_14partition_implILS8_3ELb0ES6_jNS0_17counting_iteratorIjlEEPS9_SE_NS0_5tupleIJPjSE_EEENSF_IJSE_SE_EEES9_SG_JZNS1_25segmented_radix_sort_implINS0_14default_configELb0EPKsPsPKlPlN2at6native12_GLOBAL__N_18offset_tEEE10hipError_tPvRmT1_PNSt15iterator_traitsISY_E10value_typeET2_T3_PNSZ_IS14_E10value_typeET4_jRbjT5_S1A_jjP12ihipStream_tbEUljE_EEESV_SW_SX_S14_S18_S1A_T6_T7_T9_mT8_S1C_bDpT10_ENKUlT_T0_E_clISt17integral_constantIbLb0EES1P_EEDaS1K_S1L_EUlS1K_E_NS1_11comp_targetILNS1_3genE10ELNS1_11target_archE1200ELNS1_3gpuE4ELNS1_3repE0EEENS1_30default_config_static_selectorELNS0_4arch9wavefront6targetE1EEEvSY_.uses_flat_scratch, 0
	.set _ZN7rocprim17ROCPRIM_400000_NS6detail17trampoline_kernelINS0_13select_configILj256ELj13ELNS0_17block_load_methodE3ELS4_3ELS4_3ELNS0_20block_scan_algorithmE0ELj4294967295EEENS1_25partition_config_selectorILNS1_17partition_subalgoE3EjNS0_10empty_typeEbEEZZNS1_14partition_implILS8_3ELb0ES6_jNS0_17counting_iteratorIjlEEPS9_SE_NS0_5tupleIJPjSE_EEENSF_IJSE_SE_EEES9_SG_JZNS1_25segmented_radix_sort_implINS0_14default_configELb0EPKsPsPKlPlN2at6native12_GLOBAL__N_18offset_tEEE10hipError_tPvRmT1_PNSt15iterator_traitsISY_E10value_typeET2_T3_PNSZ_IS14_E10value_typeET4_jRbjT5_S1A_jjP12ihipStream_tbEUljE_EEESV_SW_SX_S14_S18_S1A_T6_T7_T9_mT8_S1C_bDpT10_ENKUlT_T0_E_clISt17integral_constantIbLb0EES1P_EEDaS1K_S1L_EUlS1K_E_NS1_11comp_targetILNS1_3genE10ELNS1_11target_archE1200ELNS1_3gpuE4ELNS1_3repE0EEENS1_30default_config_static_selectorELNS0_4arch9wavefront6targetE1EEEvSY_.has_dyn_sized_stack, 0
	.set _ZN7rocprim17ROCPRIM_400000_NS6detail17trampoline_kernelINS0_13select_configILj256ELj13ELNS0_17block_load_methodE3ELS4_3ELS4_3ELNS0_20block_scan_algorithmE0ELj4294967295EEENS1_25partition_config_selectorILNS1_17partition_subalgoE3EjNS0_10empty_typeEbEEZZNS1_14partition_implILS8_3ELb0ES6_jNS0_17counting_iteratorIjlEEPS9_SE_NS0_5tupleIJPjSE_EEENSF_IJSE_SE_EEES9_SG_JZNS1_25segmented_radix_sort_implINS0_14default_configELb0EPKsPsPKlPlN2at6native12_GLOBAL__N_18offset_tEEE10hipError_tPvRmT1_PNSt15iterator_traitsISY_E10value_typeET2_T3_PNSZ_IS14_E10value_typeET4_jRbjT5_S1A_jjP12ihipStream_tbEUljE_EEESV_SW_SX_S14_S18_S1A_T6_T7_T9_mT8_S1C_bDpT10_ENKUlT_T0_E_clISt17integral_constantIbLb0EES1P_EEDaS1K_S1L_EUlS1K_E_NS1_11comp_targetILNS1_3genE10ELNS1_11target_archE1200ELNS1_3gpuE4ELNS1_3repE0EEENS1_30default_config_static_selectorELNS0_4arch9wavefront6targetE1EEEvSY_.has_recursion, 0
	.set _ZN7rocprim17ROCPRIM_400000_NS6detail17trampoline_kernelINS0_13select_configILj256ELj13ELNS0_17block_load_methodE3ELS4_3ELS4_3ELNS0_20block_scan_algorithmE0ELj4294967295EEENS1_25partition_config_selectorILNS1_17partition_subalgoE3EjNS0_10empty_typeEbEEZZNS1_14partition_implILS8_3ELb0ES6_jNS0_17counting_iteratorIjlEEPS9_SE_NS0_5tupleIJPjSE_EEENSF_IJSE_SE_EEES9_SG_JZNS1_25segmented_radix_sort_implINS0_14default_configELb0EPKsPsPKlPlN2at6native12_GLOBAL__N_18offset_tEEE10hipError_tPvRmT1_PNSt15iterator_traitsISY_E10value_typeET2_T3_PNSZ_IS14_E10value_typeET4_jRbjT5_S1A_jjP12ihipStream_tbEUljE_EEESV_SW_SX_S14_S18_S1A_T6_T7_T9_mT8_S1C_bDpT10_ENKUlT_T0_E_clISt17integral_constantIbLb0EES1P_EEDaS1K_S1L_EUlS1K_E_NS1_11comp_targetILNS1_3genE10ELNS1_11target_archE1200ELNS1_3gpuE4ELNS1_3repE0EEENS1_30default_config_static_selectorELNS0_4arch9wavefront6targetE1EEEvSY_.has_indirect_call, 0
	.section	.AMDGPU.csdata,"",@progbits
; Kernel info:
; codeLenInByte = 0
; TotalNumSgprs: 4
; NumVgprs: 0
; ScratchSize: 0
; MemoryBound: 0
; FloatMode: 240
; IeeeMode: 1
; LDSByteSize: 0 bytes/workgroup (compile time only)
; SGPRBlocks: 0
; VGPRBlocks: 0
; NumSGPRsForWavesPerEU: 4
; NumVGPRsForWavesPerEU: 1
; Occupancy: 10
; WaveLimiterHint : 0
; COMPUTE_PGM_RSRC2:SCRATCH_EN: 0
; COMPUTE_PGM_RSRC2:USER_SGPR: 6
; COMPUTE_PGM_RSRC2:TRAP_HANDLER: 0
; COMPUTE_PGM_RSRC2:TGID_X_EN: 1
; COMPUTE_PGM_RSRC2:TGID_Y_EN: 0
; COMPUTE_PGM_RSRC2:TGID_Z_EN: 0
; COMPUTE_PGM_RSRC2:TIDIG_COMP_CNT: 0
	.section	.text._ZN7rocprim17ROCPRIM_400000_NS6detail17trampoline_kernelINS0_13select_configILj256ELj13ELNS0_17block_load_methodE3ELS4_3ELS4_3ELNS0_20block_scan_algorithmE0ELj4294967295EEENS1_25partition_config_selectorILNS1_17partition_subalgoE3EjNS0_10empty_typeEbEEZZNS1_14partition_implILS8_3ELb0ES6_jNS0_17counting_iteratorIjlEEPS9_SE_NS0_5tupleIJPjSE_EEENSF_IJSE_SE_EEES9_SG_JZNS1_25segmented_radix_sort_implINS0_14default_configELb0EPKsPsPKlPlN2at6native12_GLOBAL__N_18offset_tEEE10hipError_tPvRmT1_PNSt15iterator_traitsISY_E10value_typeET2_T3_PNSZ_IS14_E10value_typeET4_jRbjT5_S1A_jjP12ihipStream_tbEUljE_EEESV_SW_SX_S14_S18_S1A_T6_T7_T9_mT8_S1C_bDpT10_ENKUlT_T0_E_clISt17integral_constantIbLb0EES1P_EEDaS1K_S1L_EUlS1K_E_NS1_11comp_targetILNS1_3genE9ELNS1_11target_archE1100ELNS1_3gpuE3ELNS1_3repE0EEENS1_30default_config_static_selectorELNS0_4arch9wavefront6targetE1EEEvSY_,"axG",@progbits,_ZN7rocprim17ROCPRIM_400000_NS6detail17trampoline_kernelINS0_13select_configILj256ELj13ELNS0_17block_load_methodE3ELS4_3ELS4_3ELNS0_20block_scan_algorithmE0ELj4294967295EEENS1_25partition_config_selectorILNS1_17partition_subalgoE3EjNS0_10empty_typeEbEEZZNS1_14partition_implILS8_3ELb0ES6_jNS0_17counting_iteratorIjlEEPS9_SE_NS0_5tupleIJPjSE_EEENSF_IJSE_SE_EEES9_SG_JZNS1_25segmented_radix_sort_implINS0_14default_configELb0EPKsPsPKlPlN2at6native12_GLOBAL__N_18offset_tEEE10hipError_tPvRmT1_PNSt15iterator_traitsISY_E10value_typeET2_T3_PNSZ_IS14_E10value_typeET4_jRbjT5_S1A_jjP12ihipStream_tbEUljE_EEESV_SW_SX_S14_S18_S1A_T6_T7_T9_mT8_S1C_bDpT10_ENKUlT_T0_E_clISt17integral_constantIbLb0EES1P_EEDaS1K_S1L_EUlS1K_E_NS1_11comp_targetILNS1_3genE9ELNS1_11target_archE1100ELNS1_3gpuE3ELNS1_3repE0EEENS1_30default_config_static_selectorELNS0_4arch9wavefront6targetE1EEEvSY_,comdat
	.globl	_ZN7rocprim17ROCPRIM_400000_NS6detail17trampoline_kernelINS0_13select_configILj256ELj13ELNS0_17block_load_methodE3ELS4_3ELS4_3ELNS0_20block_scan_algorithmE0ELj4294967295EEENS1_25partition_config_selectorILNS1_17partition_subalgoE3EjNS0_10empty_typeEbEEZZNS1_14partition_implILS8_3ELb0ES6_jNS0_17counting_iteratorIjlEEPS9_SE_NS0_5tupleIJPjSE_EEENSF_IJSE_SE_EEES9_SG_JZNS1_25segmented_radix_sort_implINS0_14default_configELb0EPKsPsPKlPlN2at6native12_GLOBAL__N_18offset_tEEE10hipError_tPvRmT1_PNSt15iterator_traitsISY_E10value_typeET2_T3_PNSZ_IS14_E10value_typeET4_jRbjT5_S1A_jjP12ihipStream_tbEUljE_EEESV_SW_SX_S14_S18_S1A_T6_T7_T9_mT8_S1C_bDpT10_ENKUlT_T0_E_clISt17integral_constantIbLb0EES1P_EEDaS1K_S1L_EUlS1K_E_NS1_11comp_targetILNS1_3genE9ELNS1_11target_archE1100ELNS1_3gpuE3ELNS1_3repE0EEENS1_30default_config_static_selectorELNS0_4arch9wavefront6targetE1EEEvSY_ ; -- Begin function _ZN7rocprim17ROCPRIM_400000_NS6detail17trampoline_kernelINS0_13select_configILj256ELj13ELNS0_17block_load_methodE3ELS4_3ELS4_3ELNS0_20block_scan_algorithmE0ELj4294967295EEENS1_25partition_config_selectorILNS1_17partition_subalgoE3EjNS0_10empty_typeEbEEZZNS1_14partition_implILS8_3ELb0ES6_jNS0_17counting_iteratorIjlEEPS9_SE_NS0_5tupleIJPjSE_EEENSF_IJSE_SE_EEES9_SG_JZNS1_25segmented_radix_sort_implINS0_14default_configELb0EPKsPsPKlPlN2at6native12_GLOBAL__N_18offset_tEEE10hipError_tPvRmT1_PNSt15iterator_traitsISY_E10value_typeET2_T3_PNSZ_IS14_E10value_typeET4_jRbjT5_S1A_jjP12ihipStream_tbEUljE_EEESV_SW_SX_S14_S18_S1A_T6_T7_T9_mT8_S1C_bDpT10_ENKUlT_T0_E_clISt17integral_constantIbLb0EES1P_EEDaS1K_S1L_EUlS1K_E_NS1_11comp_targetILNS1_3genE9ELNS1_11target_archE1100ELNS1_3gpuE3ELNS1_3repE0EEENS1_30default_config_static_selectorELNS0_4arch9wavefront6targetE1EEEvSY_
	.p2align	8
	.type	_ZN7rocprim17ROCPRIM_400000_NS6detail17trampoline_kernelINS0_13select_configILj256ELj13ELNS0_17block_load_methodE3ELS4_3ELS4_3ELNS0_20block_scan_algorithmE0ELj4294967295EEENS1_25partition_config_selectorILNS1_17partition_subalgoE3EjNS0_10empty_typeEbEEZZNS1_14partition_implILS8_3ELb0ES6_jNS0_17counting_iteratorIjlEEPS9_SE_NS0_5tupleIJPjSE_EEENSF_IJSE_SE_EEES9_SG_JZNS1_25segmented_radix_sort_implINS0_14default_configELb0EPKsPsPKlPlN2at6native12_GLOBAL__N_18offset_tEEE10hipError_tPvRmT1_PNSt15iterator_traitsISY_E10value_typeET2_T3_PNSZ_IS14_E10value_typeET4_jRbjT5_S1A_jjP12ihipStream_tbEUljE_EEESV_SW_SX_S14_S18_S1A_T6_T7_T9_mT8_S1C_bDpT10_ENKUlT_T0_E_clISt17integral_constantIbLb0EES1P_EEDaS1K_S1L_EUlS1K_E_NS1_11comp_targetILNS1_3genE9ELNS1_11target_archE1100ELNS1_3gpuE3ELNS1_3repE0EEENS1_30default_config_static_selectorELNS0_4arch9wavefront6targetE1EEEvSY_,@function
_ZN7rocprim17ROCPRIM_400000_NS6detail17trampoline_kernelINS0_13select_configILj256ELj13ELNS0_17block_load_methodE3ELS4_3ELS4_3ELNS0_20block_scan_algorithmE0ELj4294967295EEENS1_25partition_config_selectorILNS1_17partition_subalgoE3EjNS0_10empty_typeEbEEZZNS1_14partition_implILS8_3ELb0ES6_jNS0_17counting_iteratorIjlEEPS9_SE_NS0_5tupleIJPjSE_EEENSF_IJSE_SE_EEES9_SG_JZNS1_25segmented_radix_sort_implINS0_14default_configELb0EPKsPsPKlPlN2at6native12_GLOBAL__N_18offset_tEEE10hipError_tPvRmT1_PNSt15iterator_traitsISY_E10value_typeET2_T3_PNSZ_IS14_E10value_typeET4_jRbjT5_S1A_jjP12ihipStream_tbEUljE_EEESV_SW_SX_S14_S18_S1A_T6_T7_T9_mT8_S1C_bDpT10_ENKUlT_T0_E_clISt17integral_constantIbLb0EES1P_EEDaS1K_S1L_EUlS1K_E_NS1_11comp_targetILNS1_3genE9ELNS1_11target_archE1100ELNS1_3gpuE3ELNS1_3repE0EEENS1_30default_config_static_selectorELNS0_4arch9wavefront6targetE1EEEvSY_: ; @_ZN7rocprim17ROCPRIM_400000_NS6detail17trampoline_kernelINS0_13select_configILj256ELj13ELNS0_17block_load_methodE3ELS4_3ELS4_3ELNS0_20block_scan_algorithmE0ELj4294967295EEENS1_25partition_config_selectorILNS1_17partition_subalgoE3EjNS0_10empty_typeEbEEZZNS1_14partition_implILS8_3ELb0ES6_jNS0_17counting_iteratorIjlEEPS9_SE_NS0_5tupleIJPjSE_EEENSF_IJSE_SE_EEES9_SG_JZNS1_25segmented_radix_sort_implINS0_14default_configELb0EPKsPsPKlPlN2at6native12_GLOBAL__N_18offset_tEEE10hipError_tPvRmT1_PNSt15iterator_traitsISY_E10value_typeET2_T3_PNSZ_IS14_E10value_typeET4_jRbjT5_S1A_jjP12ihipStream_tbEUljE_EEESV_SW_SX_S14_S18_S1A_T6_T7_T9_mT8_S1C_bDpT10_ENKUlT_T0_E_clISt17integral_constantIbLb0EES1P_EEDaS1K_S1L_EUlS1K_E_NS1_11comp_targetILNS1_3genE9ELNS1_11target_archE1100ELNS1_3gpuE3ELNS1_3repE0EEENS1_30default_config_static_selectorELNS0_4arch9wavefront6targetE1EEEvSY_
; %bb.0:
	.section	.rodata,"a",@progbits
	.p2align	6, 0x0
	.amdhsa_kernel _ZN7rocprim17ROCPRIM_400000_NS6detail17trampoline_kernelINS0_13select_configILj256ELj13ELNS0_17block_load_methodE3ELS4_3ELS4_3ELNS0_20block_scan_algorithmE0ELj4294967295EEENS1_25partition_config_selectorILNS1_17partition_subalgoE3EjNS0_10empty_typeEbEEZZNS1_14partition_implILS8_3ELb0ES6_jNS0_17counting_iteratorIjlEEPS9_SE_NS0_5tupleIJPjSE_EEENSF_IJSE_SE_EEES9_SG_JZNS1_25segmented_radix_sort_implINS0_14default_configELb0EPKsPsPKlPlN2at6native12_GLOBAL__N_18offset_tEEE10hipError_tPvRmT1_PNSt15iterator_traitsISY_E10value_typeET2_T3_PNSZ_IS14_E10value_typeET4_jRbjT5_S1A_jjP12ihipStream_tbEUljE_EEESV_SW_SX_S14_S18_S1A_T6_T7_T9_mT8_S1C_bDpT10_ENKUlT_T0_E_clISt17integral_constantIbLb0EES1P_EEDaS1K_S1L_EUlS1K_E_NS1_11comp_targetILNS1_3genE9ELNS1_11target_archE1100ELNS1_3gpuE3ELNS1_3repE0EEENS1_30default_config_static_selectorELNS0_4arch9wavefront6targetE1EEEvSY_
		.amdhsa_group_segment_fixed_size 0
		.amdhsa_private_segment_fixed_size 0
		.amdhsa_kernarg_size 144
		.amdhsa_user_sgpr_count 6
		.amdhsa_user_sgpr_private_segment_buffer 1
		.amdhsa_user_sgpr_dispatch_ptr 0
		.amdhsa_user_sgpr_queue_ptr 0
		.amdhsa_user_sgpr_kernarg_segment_ptr 1
		.amdhsa_user_sgpr_dispatch_id 0
		.amdhsa_user_sgpr_flat_scratch_init 0
		.amdhsa_user_sgpr_private_segment_size 0
		.amdhsa_uses_dynamic_stack 0
		.amdhsa_system_sgpr_private_segment_wavefront_offset 0
		.amdhsa_system_sgpr_workgroup_id_x 1
		.amdhsa_system_sgpr_workgroup_id_y 0
		.amdhsa_system_sgpr_workgroup_id_z 0
		.amdhsa_system_sgpr_workgroup_info 0
		.amdhsa_system_vgpr_workitem_id 0
		.amdhsa_next_free_vgpr 1
		.amdhsa_next_free_sgpr 0
		.amdhsa_reserve_vcc 0
		.amdhsa_reserve_flat_scratch 0
		.amdhsa_float_round_mode_32 0
		.amdhsa_float_round_mode_16_64 0
		.amdhsa_float_denorm_mode_32 3
		.amdhsa_float_denorm_mode_16_64 3
		.amdhsa_dx10_clamp 1
		.amdhsa_ieee_mode 1
		.amdhsa_fp16_overflow 0
		.amdhsa_exception_fp_ieee_invalid_op 0
		.amdhsa_exception_fp_denorm_src 0
		.amdhsa_exception_fp_ieee_div_zero 0
		.amdhsa_exception_fp_ieee_overflow 0
		.amdhsa_exception_fp_ieee_underflow 0
		.amdhsa_exception_fp_ieee_inexact 0
		.amdhsa_exception_int_div_zero 0
	.end_amdhsa_kernel
	.section	.text._ZN7rocprim17ROCPRIM_400000_NS6detail17trampoline_kernelINS0_13select_configILj256ELj13ELNS0_17block_load_methodE3ELS4_3ELS4_3ELNS0_20block_scan_algorithmE0ELj4294967295EEENS1_25partition_config_selectorILNS1_17partition_subalgoE3EjNS0_10empty_typeEbEEZZNS1_14partition_implILS8_3ELb0ES6_jNS0_17counting_iteratorIjlEEPS9_SE_NS0_5tupleIJPjSE_EEENSF_IJSE_SE_EEES9_SG_JZNS1_25segmented_radix_sort_implINS0_14default_configELb0EPKsPsPKlPlN2at6native12_GLOBAL__N_18offset_tEEE10hipError_tPvRmT1_PNSt15iterator_traitsISY_E10value_typeET2_T3_PNSZ_IS14_E10value_typeET4_jRbjT5_S1A_jjP12ihipStream_tbEUljE_EEESV_SW_SX_S14_S18_S1A_T6_T7_T9_mT8_S1C_bDpT10_ENKUlT_T0_E_clISt17integral_constantIbLb0EES1P_EEDaS1K_S1L_EUlS1K_E_NS1_11comp_targetILNS1_3genE9ELNS1_11target_archE1100ELNS1_3gpuE3ELNS1_3repE0EEENS1_30default_config_static_selectorELNS0_4arch9wavefront6targetE1EEEvSY_,"axG",@progbits,_ZN7rocprim17ROCPRIM_400000_NS6detail17trampoline_kernelINS0_13select_configILj256ELj13ELNS0_17block_load_methodE3ELS4_3ELS4_3ELNS0_20block_scan_algorithmE0ELj4294967295EEENS1_25partition_config_selectorILNS1_17partition_subalgoE3EjNS0_10empty_typeEbEEZZNS1_14partition_implILS8_3ELb0ES6_jNS0_17counting_iteratorIjlEEPS9_SE_NS0_5tupleIJPjSE_EEENSF_IJSE_SE_EEES9_SG_JZNS1_25segmented_radix_sort_implINS0_14default_configELb0EPKsPsPKlPlN2at6native12_GLOBAL__N_18offset_tEEE10hipError_tPvRmT1_PNSt15iterator_traitsISY_E10value_typeET2_T3_PNSZ_IS14_E10value_typeET4_jRbjT5_S1A_jjP12ihipStream_tbEUljE_EEESV_SW_SX_S14_S18_S1A_T6_T7_T9_mT8_S1C_bDpT10_ENKUlT_T0_E_clISt17integral_constantIbLb0EES1P_EEDaS1K_S1L_EUlS1K_E_NS1_11comp_targetILNS1_3genE9ELNS1_11target_archE1100ELNS1_3gpuE3ELNS1_3repE0EEENS1_30default_config_static_selectorELNS0_4arch9wavefront6targetE1EEEvSY_,comdat
.Lfunc_end988:
	.size	_ZN7rocprim17ROCPRIM_400000_NS6detail17trampoline_kernelINS0_13select_configILj256ELj13ELNS0_17block_load_methodE3ELS4_3ELS4_3ELNS0_20block_scan_algorithmE0ELj4294967295EEENS1_25partition_config_selectorILNS1_17partition_subalgoE3EjNS0_10empty_typeEbEEZZNS1_14partition_implILS8_3ELb0ES6_jNS0_17counting_iteratorIjlEEPS9_SE_NS0_5tupleIJPjSE_EEENSF_IJSE_SE_EEES9_SG_JZNS1_25segmented_radix_sort_implINS0_14default_configELb0EPKsPsPKlPlN2at6native12_GLOBAL__N_18offset_tEEE10hipError_tPvRmT1_PNSt15iterator_traitsISY_E10value_typeET2_T3_PNSZ_IS14_E10value_typeET4_jRbjT5_S1A_jjP12ihipStream_tbEUljE_EEESV_SW_SX_S14_S18_S1A_T6_T7_T9_mT8_S1C_bDpT10_ENKUlT_T0_E_clISt17integral_constantIbLb0EES1P_EEDaS1K_S1L_EUlS1K_E_NS1_11comp_targetILNS1_3genE9ELNS1_11target_archE1100ELNS1_3gpuE3ELNS1_3repE0EEENS1_30default_config_static_selectorELNS0_4arch9wavefront6targetE1EEEvSY_, .Lfunc_end988-_ZN7rocprim17ROCPRIM_400000_NS6detail17trampoline_kernelINS0_13select_configILj256ELj13ELNS0_17block_load_methodE3ELS4_3ELS4_3ELNS0_20block_scan_algorithmE0ELj4294967295EEENS1_25partition_config_selectorILNS1_17partition_subalgoE3EjNS0_10empty_typeEbEEZZNS1_14partition_implILS8_3ELb0ES6_jNS0_17counting_iteratorIjlEEPS9_SE_NS0_5tupleIJPjSE_EEENSF_IJSE_SE_EEES9_SG_JZNS1_25segmented_radix_sort_implINS0_14default_configELb0EPKsPsPKlPlN2at6native12_GLOBAL__N_18offset_tEEE10hipError_tPvRmT1_PNSt15iterator_traitsISY_E10value_typeET2_T3_PNSZ_IS14_E10value_typeET4_jRbjT5_S1A_jjP12ihipStream_tbEUljE_EEESV_SW_SX_S14_S18_S1A_T6_T7_T9_mT8_S1C_bDpT10_ENKUlT_T0_E_clISt17integral_constantIbLb0EES1P_EEDaS1K_S1L_EUlS1K_E_NS1_11comp_targetILNS1_3genE9ELNS1_11target_archE1100ELNS1_3gpuE3ELNS1_3repE0EEENS1_30default_config_static_selectorELNS0_4arch9wavefront6targetE1EEEvSY_
                                        ; -- End function
	.set _ZN7rocprim17ROCPRIM_400000_NS6detail17trampoline_kernelINS0_13select_configILj256ELj13ELNS0_17block_load_methodE3ELS4_3ELS4_3ELNS0_20block_scan_algorithmE0ELj4294967295EEENS1_25partition_config_selectorILNS1_17partition_subalgoE3EjNS0_10empty_typeEbEEZZNS1_14partition_implILS8_3ELb0ES6_jNS0_17counting_iteratorIjlEEPS9_SE_NS0_5tupleIJPjSE_EEENSF_IJSE_SE_EEES9_SG_JZNS1_25segmented_radix_sort_implINS0_14default_configELb0EPKsPsPKlPlN2at6native12_GLOBAL__N_18offset_tEEE10hipError_tPvRmT1_PNSt15iterator_traitsISY_E10value_typeET2_T3_PNSZ_IS14_E10value_typeET4_jRbjT5_S1A_jjP12ihipStream_tbEUljE_EEESV_SW_SX_S14_S18_S1A_T6_T7_T9_mT8_S1C_bDpT10_ENKUlT_T0_E_clISt17integral_constantIbLb0EES1P_EEDaS1K_S1L_EUlS1K_E_NS1_11comp_targetILNS1_3genE9ELNS1_11target_archE1100ELNS1_3gpuE3ELNS1_3repE0EEENS1_30default_config_static_selectorELNS0_4arch9wavefront6targetE1EEEvSY_.num_vgpr, 0
	.set _ZN7rocprim17ROCPRIM_400000_NS6detail17trampoline_kernelINS0_13select_configILj256ELj13ELNS0_17block_load_methodE3ELS4_3ELS4_3ELNS0_20block_scan_algorithmE0ELj4294967295EEENS1_25partition_config_selectorILNS1_17partition_subalgoE3EjNS0_10empty_typeEbEEZZNS1_14partition_implILS8_3ELb0ES6_jNS0_17counting_iteratorIjlEEPS9_SE_NS0_5tupleIJPjSE_EEENSF_IJSE_SE_EEES9_SG_JZNS1_25segmented_radix_sort_implINS0_14default_configELb0EPKsPsPKlPlN2at6native12_GLOBAL__N_18offset_tEEE10hipError_tPvRmT1_PNSt15iterator_traitsISY_E10value_typeET2_T3_PNSZ_IS14_E10value_typeET4_jRbjT5_S1A_jjP12ihipStream_tbEUljE_EEESV_SW_SX_S14_S18_S1A_T6_T7_T9_mT8_S1C_bDpT10_ENKUlT_T0_E_clISt17integral_constantIbLb0EES1P_EEDaS1K_S1L_EUlS1K_E_NS1_11comp_targetILNS1_3genE9ELNS1_11target_archE1100ELNS1_3gpuE3ELNS1_3repE0EEENS1_30default_config_static_selectorELNS0_4arch9wavefront6targetE1EEEvSY_.num_agpr, 0
	.set _ZN7rocprim17ROCPRIM_400000_NS6detail17trampoline_kernelINS0_13select_configILj256ELj13ELNS0_17block_load_methodE3ELS4_3ELS4_3ELNS0_20block_scan_algorithmE0ELj4294967295EEENS1_25partition_config_selectorILNS1_17partition_subalgoE3EjNS0_10empty_typeEbEEZZNS1_14partition_implILS8_3ELb0ES6_jNS0_17counting_iteratorIjlEEPS9_SE_NS0_5tupleIJPjSE_EEENSF_IJSE_SE_EEES9_SG_JZNS1_25segmented_radix_sort_implINS0_14default_configELb0EPKsPsPKlPlN2at6native12_GLOBAL__N_18offset_tEEE10hipError_tPvRmT1_PNSt15iterator_traitsISY_E10value_typeET2_T3_PNSZ_IS14_E10value_typeET4_jRbjT5_S1A_jjP12ihipStream_tbEUljE_EEESV_SW_SX_S14_S18_S1A_T6_T7_T9_mT8_S1C_bDpT10_ENKUlT_T0_E_clISt17integral_constantIbLb0EES1P_EEDaS1K_S1L_EUlS1K_E_NS1_11comp_targetILNS1_3genE9ELNS1_11target_archE1100ELNS1_3gpuE3ELNS1_3repE0EEENS1_30default_config_static_selectorELNS0_4arch9wavefront6targetE1EEEvSY_.numbered_sgpr, 0
	.set _ZN7rocprim17ROCPRIM_400000_NS6detail17trampoline_kernelINS0_13select_configILj256ELj13ELNS0_17block_load_methodE3ELS4_3ELS4_3ELNS0_20block_scan_algorithmE0ELj4294967295EEENS1_25partition_config_selectorILNS1_17partition_subalgoE3EjNS0_10empty_typeEbEEZZNS1_14partition_implILS8_3ELb0ES6_jNS0_17counting_iteratorIjlEEPS9_SE_NS0_5tupleIJPjSE_EEENSF_IJSE_SE_EEES9_SG_JZNS1_25segmented_radix_sort_implINS0_14default_configELb0EPKsPsPKlPlN2at6native12_GLOBAL__N_18offset_tEEE10hipError_tPvRmT1_PNSt15iterator_traitsISY_E10value_typeET2_T3_PNSZ_IS14_E10value_typeET4_jRbjT5_S1A_jjP12ihipStream_tbEUljE_EEESV_SW_SX_S14_S18_S1A_T6_T7_T9_mT8_S1C_bDpT10_ENKUlT_T0_E_clISt17integral_constantIbLb0EES1P_EEDaS1K_S1L_EUlS1K_E_NS1_11comp_targetILNS1_3genE9ELNS1_11target_archE1100ELNS1_3gpuE3ELNS1_3repE0EEENS1_30default_config_static_selectorELNS0_4arch9wavefront6targetE1EEEvSY_.num_named_barrier, 0
	.set _ZN7rocprim17ROCPRIM_400000_NS6detail17trampoline_kernelINS0_13select_configILj256ELj13ELNS0_17block_load_methodE3ELS4_3ELS4_3ELNS0_20block_scan_algorithmE0ELj4294967295EEENS1_25partition_config_selectorILNS1_17partition_subalgoE3EjNS0_10empty_typeEbEEZZNS1_14partition_implILS8_3ELb0ES6_jNS0_17counting_iteratorIjlEEPS9_SE_NS0_5tupleIJPjSE_EEENSF_IJSE_SE_EEES9_SG_JZNS1_25segmented_radix_sort_implINS0_14default_configELb0EPKsPsPKlPlN2at6native12_GLOBAL__N_18offset_tEEE10hipError_tPvRmT1_PNSt15iterator_traitsISY_E10value_typeET2_T3_PNSZ_IS14_E10value_typeET4_jRbjT5_S1A_jjP12ihipStream_tbEUljE_EEESV_SW_SX_S14_S18_S1A_T6_T7_T9_mT8_S1C_bDpT10_ENKUlT_T0_E_clISt17integral_constantIbLb0EES1P_EEDaS1K_S1L_EUlS1K_E_NS1_11comp_targetILNS1_3genE9ELNS1_11target_archE1100ELNS1_3gpuE3ELNS1_3repE0EEENS1_30default_config_static_selectorELNS0_4arch9wavefront6targetE1EEEvSY_.private_seg_size, 0
	.set _ZN7rocprim17ROCPRIM_400000_NS6detail17trampoline_kernelINS0_13select_configILj256ELj13ELNS0_17block_load_methodE3ELS4_3ELS4_3ELNS0_20block_scan_algorithmE0ELj4294967295EEENS1_25partition_config_selectorILNS1_17partition_subalgoE3EjNS0_10empty_typeEbEEZZNS1_14partition_implILS8_3ELb0ES6_jNS0_17counting_iteratorIjlEEPS9_SE_NS0_5tupleIJPjSE_EEENSF_IJSE_SE_EEES9_SG_JZNS1_25segmented_radix_sort_implINS0_14default_configELb0EPKsPsPKlPlN2at6native12_GLOBAL__N_18offset_tEEE10hipError_tPvRmT1_PNSt15iterator_traitsISY_E10value_typeET2_T3_PNSZ_IS14_E10value_typeET4_jRbjT5_S1A_jjP12ihipStream_tbEUljE_EEESV_SW_SX_S14_S18_S1A_T6_T7_T9_mT8_S1C_bDpT10_ENKUlT_T0_E_clISt17integral_constantIbLb0EES1P_EEDaS1K_S1L_EUlS1K_E_NS1_11comp_targetILNS1_3genE9ELNS1_11target_archE1100ELNS1_3gpuE3ELNS1_3repE0EEENS1_30default_config_static_selectorELNS0_4arch9wavefront6targetE1EEEvSY_.uses_vcc, 0
	.set _ZN7rocprim17ROCPRIM_400000_NS6detail17trampoline_kernelINS0_13select_configILj256ELj13ELNS0_17block_load_methodE3ELS4_3ELS4_3ELNS0_20block_scan_algorithmE0ELj4294967295EEENS1_25partition_config_selectorILNS1_17partition_subalgoE3EjNS0_10empty_typeEbEEZZNS1_14partition_implILS8_3ELb0ES6_jNS0_17counting_iteratorIjlEEPS9_SE_NS0_5tupleIJPjSE_EEENSF_IJSE_SE_EEES9_SG_JZNS1_25segmented_radix_sort_implINS0_14default_configELb0EPKsPsPKlPlN2at6native12_GLOBAL__N_18offset_tEEE10hipError_tPvRmT1_PNSt15iterator_traitsISY_E10value_typeET2_T3_PNSZ_IS14_E10value_typeET4_jRbjT5_S1A_jjP12ihipStream_tbEUljE_EEESV_SW_SX_S14_S18_S1A_T6_T7_T9_mT8_S1C_bDpT10_ENKUlT_T0_E_clISt17integral_constantIbLb0EES1P_EEDaS1K_S1L_EUlS1K_E_NS1_11comp_targetILNS1_3genE9ELNS1_11target_archE1100ELNS1_3gpuE3ELNS1_3repE0EEENS1_30default_config_static_selectorELNS0_4arch9wavefront6targetE1EEEvSY_.uses_flat_scratch, 0
	.set _ZN7rocprim17ROCPRIM_400000_NS6detail17trampoline_kernelINS0_13select_configILj256ELj13ELNS0_17block_load_methodE3ELS4_3ELS4_3ELNS0_20block_scan_algorithmE0ELj4294967295EEENS1_25partition_config_selectorILNS1_17partition_subalgoE3EjNS0_10empty_typeEbEEZZNS1_14partition_implILS8_3ELb0ES6_jNS0_17counting_iteratorIjlEEPS9_SE_NS0_5tupleIJPjSE_EEENSF_IJSE_SE_EEES9_SG_JZNS1_25segmented_radix_sort_implINS0_14default_configELb0EPKsPsPKlPlN2at6native12_GLOBAL__N_18offset_tEEE10hipError_tPvRmT1_PNSt15iterator_traitsISY_E10value_typeET2_T3_PNSZ_IS14_E10value_typeET4_jRbjT5_S1A_jjP12ihipStream_tbEUljE_EEESV_SW_SX_S14_S18_S1A_T6_T7_T9_mT8_S1C_bDpT10_ENKUlT_T0_E_clISt17integral_constantIbLb0EES1P_EEDaS1K_S1L_EUlS1K_E_NS1_11comp_targetILNS1_3genE9ELNS1_11target_archE1100ELNS1_3gpuE3ELNS1_3repE0EEENS1_30default_config_static_selectorELNS0_4arch9wavefront6targetE1EEEvSY_.has_dyn_sized_stack, 0
	.set _ZN7rocprim17ROCPRIM_400000_NS6detail17trampoline_kernelINS0_13select_configILj256ELj13ELNS0_17block_load_methodE3ELS4_3ELS4_3ELNS0_20block_scan_algorithmE0ELj4294967295EEENS1_25partition_config_selectorILNS1_17partition_subalgoE3EjNS0_10empty_typeEbEEZZNS1_14partition_implILS8_3ELb0ES6_jNS0_17counting_iteratorIjlEEPS9_SE_NS0_5tupleIJPjSE_EEENSF_IJSE_SE_EEES9_SG_JZNS1_25segmented_radix_sort_implINS0_14default_configELb0EPKsPsPKlPlN2at6native12_GLOBAL__N_18offset_tEEE10hipError_tPvRmT1_PNSt15iterator_traitsISY_E10value_typeET2_T3_PNSZ_IS14_E10value_typeET4_jRbjT5_S1A_jjP12ihipStream_tbEUljE_EEESV_SW_SX_S14_S18_S1A_T6_T7_T9_mT8_S1C_bDpT10_ENKUlT_T0_E_clISt17integral_constantIbLb0EES1P_EEDaS1K_S1L_EUlS1K_E_NS1_11comp_targetILNS1_3genE9ELNS1_11target_archE1100ELNS1_3gpuE3ELNS1_3repE0EEENS1_30default_config_static_selectorELNS0_4arch9wavefront6targetE1EEEvSY_.has_recursion, 0
	.set _ZN7rocprim17ROCPRIM_400000_NS6detail17trampoline_kernelINS0_13select_configILj256ELj13ELNS0_17block_load_methodE3ELS4_3ELS4_3ELNS0_20block_scan_algorithmE0ELj4294967295EEENS1_25partition_config_selectorILNS1_17partition_subalgoE3EjNS0_10empty_typeEbEEZZNS1_14partition_implILS8_3ELb0ES6_jNS0_17counting_iteratorIjlEEPS9_SE_NS0_5tupleIJPjSE_EEENSF_IJSE_SE_EEES9_SG_JZNS1_25segmented_radix_sort_implINS0_14default_configELb0EPKsPsPKlPlN2at6native12_GLOBAL__N_18offset_tEEE10hipError_tPvRmT1_PNSt15iterator_traitsISY_E10value_typeET2_T3_PNSZ_IS14_E10value_typeET4_jRbjT5_S1A_jjP12ihipStream_tbEUljE_EEESV_SW_SX_S14_S18_S1A_T6_T7_T9_mT8_S1C_bDpT10_ENKUlT_T0_E_clISt17integral_constantIbLb0EES1P_EEDaS1K_S1L_EUlS1K_E_NS1_11comp_targetILNS1_3genE9ELNS1_11target_archE1100ELNS1_3gpuE3ELNS1_3repE0EEENS1_30default_config_static_selectorELNS0_4arch9wavefront6targetE1EEEvSY_.has_indirect_call, 0
	.section	.AMDGPU.csdata,"",@progbits
; Kernel info:
; codeLenInByte = 0
; TotalNumSgprs: 4
; NumVgprs: 0
; ScratchSize: 0
; MemoryBound: 0
; FloatMode: 240
; IeeeMode: 1
; LDSByteSize: 0 bytes/workgroup (compile time only)
; SGPRBlocks: 0
; VGPRBlocks: 0
; NumSGPRsForWavesPerEU: 4
; NumVGPRsForWavesPerEU: 1
; Occupancy: 10
; WaveLimiterHint : 0
; COMPUTE_PGM_RSRC2:SCRATCH_EN: 0
; COMPUTE_PGM_RSRC2:USER_SGPR: 6
; COMPUTE_PGM_RSRC2:TRAP_HANDLER: 0
; COMPUTE_PGM_RSRC2:TGID_X_EN: 1
; COMPUTE_PGM_RSRC2:TGID_Y_EN: 0
; COMPUTE_PGM_RSRC2:TGID_Z_EN: 0
; COMPUTE_PGM_RSRC2:TIDIG_COMP_CNT: 0
	.section	.text._ZN7rocprim17ROCPRIM_400000_NS6detail17trampoline_kernelINS0_13select_configILj256ELj13ELNS0_17block_load_methodE3ELS4_3ELS4_3ELNS0_20block_scan_algorithmE0ELj4294967295EEENS1_25partition_config_selectorILNS1_17partition_subalgoE3EjNS0_10empty_typeEbEEZZNS1_14partition_implILS8_3ELb0ES6_jNS0_17counting_iteratorIjlEEPS9_SE_NS0_5tupleIJPjSE_EEENSF_IJSE_SE_EEES9_SG_JZNS1_25segmented_radix_sort_implINS0_14default_configELb0EPKsPsPKlPlN2at6native12_GLOBAL__N_18offset_tEEE10hipError_tPvRmT1_PNSt15iterator_traitsISY_E10value_typeET2_T3_PNSZ_IS14_E10value_typeET4_jRbjT5_S1A_jjP12ihipStream_tbEUljE_EEESV_SW_SX_S14_S18_S1A_T6_T7_T9_mT8_S1C_bDpT10_ENKUlT_T0_E_clISt17integral_constantIbLb0EES1P_EEDaS1K_S1L_EUlS1K_E_NS1_11comp_targetILNS1_3genE8ELNS1_11target_archE1030ELNS1_3gpuE2ELNS1_3repE0EEENS1_30default_config_static_selectorELNS0_4arch9wavefront6targetE1EEEvSY_,"axG",@progbits,_ZN7rocprim17ROCPRIM_400000_NS6detail17trampoline_kernelINS0_13select_configILj256ELj13ELNS0_17block_load_methodE3ELS4_3ELS4_3ELNS0_20block_scan_algorithmE0ELj4294967295EEENS1_25partition_config_selectorILNS1_17partition_subalgoE3EjNS0_10empty_typeEbEEZZNS1_14partition_implILS8_3ELb0ES6_jNS0_17counting_iteratorIjlEEPS9_SE_NS0_5tupleIJPjSE_EEENSF_IJSE_SE_EEES9_SG_JZNS1_25segmented_radix_sort_implINS0_14default_configELb0EPKsPsPKlPlN2at6native12_GLOBAL__N_18offset_tEEE10hipError_tPvRmT1_PNSt15iterator_traitsISY_E10value_typeET2_T3_PNSZ_IS14_E10value_typeET4_jRbjT5_S1A_jjP12ihipStream_tbEUljE_EEESV_SW_SX_S14_S18_S1A_T6_T7_T9_mT8_S1C_bDpT10_ENKUlT_T0_E_clISt17integral_constantIbLb0EES1P_EEDaS1K_S1L_EUlS1K_E_NS1_11comp_targetILNS1_3genE8ELNS1_11target_archE1030ELNS1_3gpuE2ELNS1_3repE0EEENS1_30default_config_static_selectorELNS0_4arch9wavefront6targetE1EEEvSY_,comdat
	.globl	_ZN7rocprim17ROCPRIM_400000_NS6detail17trampoline_kernelINS0_13select_configILj256ELj13ELNS0_17block_load_methodE3ELS4_3ELS4_3ELNS0_20block_scan_algorithmE0ELj4294967295EEENS1_25partition_config_selectorILNS1_17partition_subalgoE3EjNS0_10empty_typeEbEEZZNS1_14partition_implILS8_3ELb0ES6_jNS0_17counting_iteratorIjlEEPS9_SE_NS0_5tupleIJPjSE_EEENSF_IJSE_SE_EEES9_SG_JZNS1_25segmented_radix_sort_implINS0_14default_configELb0EPKsPsPKlPlN2at6native12_GLOBAL__N_18offset_tEEE10hipError_tPvRmT1_PNSt15iterator_traitsISY_E10value_typeET2_T3_PNSZ_IS14_E10value_typeET4_jRbjT5_S1A_jjP12ihipStream_tbEUljE_EEESV_SW_SX_S14_S18_S1A_T6_T7_T9_mT8_S1C_bDpT10_ENKUlT_T0_E_clISt17integral_constantIbLb0EES1P_EEDaS1K_S1L_EUlS1K_E_NS1_11comp_targetILNS1_3genE8ELNS1_11target_archE1030ELNS1_3gpuE2ELNS1_3repE0EEENS1_30default_config_static_selectorELNS0_4arch9wavefront6targetE1EEEvSY_ ; -- Begin function _ZN7rocprim17ROCPRIM_400000_NS6detail17trampoline_kernelINS0_13select_configILj256ELj13ELNS0_17block_load_methodE3ELS4_3ELS4_3ELNS0_20block_scan_algorithmE0ELj4294967295EEENS1_25partition_config_selectorILNS1_17partition_subalgoE3EjNS0_10empty_typeEbEEZZNS1_14partition_implILS8_3ELb0ES6_jNS0_17counting_iteratorIjlEEPS9_SE_NS0_5tupleIJPjSE_EEENSF_IJSE_SE_EEES9_SG_JZNS1_25segmented_radix_sort_implINS0_14default_configELb0EPKsPsPKlPlN2at6native12_GLOBAL__N_18offset_tEEE10hipError_tPvRmT1_PNSt15iterator_traitsISY_E10value_typeET2_T3_PNSZ_IS14_E10value_typeET4_jRbjT5_S1A_jjP12ihipStream_tbEUljE_EEESV_SW_SX_S14_S18_S1A_T6_T7_T9_mT8_S1C_bDpT10_ENKUlT_T0_E_clISt17integral_constantIbLb0EES1P_EEDaS1K_S1L_EUlS1K_E_NS1_11comp_targetILNS1_3genE8ELNS1_11target_archE1030ELNS1_3gpuE2ELNS1_3repE0EEENS1_30default_config_static_selectorELNS0_4arch9wavefront6targetE1EEEvSY_
	.p2align	8
	.type	_ZN7rocprim17ROCPRIM_400000_NS6detail17trampoline_kernelINS0_13select_configILj256ELj13ELNS0_17block_load_methodE3ELS4_3ELS4_3ELNS0_20block_scan_algorithmE0ELj4294967295EEENS1_25partition_config_selectorILNS1_17partition_subalgoE3EjNS0_10empty_typeEbEEZZNS1_14partition_implILS8_3ELb0ES6_jNS0_17counting_iteratorIjlEEPS9_SE_NS0_5tupleIJPjSE_EEENSF_IJSE_SE_EEES9_SG_JZNS1_25segmented_radix_sort_implINS0_14default_configELb0EPKsPsPKlPlN2at6native12_GLOBAL__N_18offset_tEEE10hipError_tPvRmT1_PNSt15iterator_traitsISY_E10value_typeET2_T3_PNSZ_IS14_E10value_typeET4_jRbjT5_S1A_jjP12ihipStream_tbEUljE_EEESV_SW_SX_S14_S18_S1A_T6_T7_T9_mT8_S1C_bDpT10_ENKUlT_T0_E_clISt17integral_constantIbLb0EES1P_EEDaS1K_S1L_EUlS1K_E_NS1_11comp_targetILNS1_3genE8ELNS1_11target_archE1030ELNS1_3gpuE2ELNS1_3repE0EEENS1_30default_config_static_selectorELNS0_4arch9wavefront6targetE1EEEvSY_,@function
_ZN7rocprim17ROCPRIM_400000_NS6detail17trampoline_kernelINS0_13select_configILj256ELj13ELNS0_17block_load_methodE3ELS4_3ELS4_3ELNS0_20block_scan_algorithmE0ELj4294967295EEENS1_25partition_config_selectorILNS1_17partition_subalgoE3EjNS0_10empty_typeEbEEZZNS1_14partition_implILS8_3ELb0ES6_jNS0_17counting_iteratorIjlEEPS9_SE_NS0_5tupleIJPjSE_EEENSF_IJSE_SE_EEES9_SG_JZNS1_25segmented_radix_sort_implINS0_14default_configELb0EPKsPsPKlPlN2at6native12_GLOBAL__N_18offset_tEEE10hipError_tPvRmT1_PNSt15iterator_traitsISY_E10value_typeET2_T3_PNSZ_IS14_E10value_typeET4_jRbjT5_S1A_jjP12ihipStream_tbEUljE_EEESV_SW_SX_S14_S18_S1A_T6_T7_T9_mT8_S1C_bDpT10_ENKUlT_T0_E_clISt17integral_constantIbLb0EES1P_EEDaS1K_S1L_EUlS1K_E_NS1_11comp_targetILNS1_3genE8ELNS1_11target_archE1030ELNS1_3gpuE2ELNS1_3repE0EEENS1_30default_config_static_selectorELNS0_4arch9wavefront6targetE1EEEvSY_: ; @_ZN7rocprim17ROCPRIM_400000_NS6detail17trampoline_kernelINS0_13select_configILj256ELj13ELNS0_17block_load_methodE3ELS4_3ELS4_3ELNS0_20block_scan_algorithmE0ELj4294967295EEENS1_25partition_config_selectorILNS1_17partition_subalgoE3EjNS0_10empty_typeEbEEZZNS1_14partition_implILS8_3ELb0ES6_jNS0_17counting_iteratorIjlEEPS9_SE_NS0_5tupleIJPjSE_EEENSF_IJSE_SE_EEES9_SG_JZNS1_25segmented_radix_sort_implINS0_14default_configELb0EPKsPsPKlPlN2at6native12_GLOBAL__N_18offset_tEEE10hipError_tPvRmT1_PNSt15iterator_traitsISY_E10value_typeET2_T3_PNSZ_IS14_E10value_typeET4_jRbjT5_S1A_jjP12ihipStream_tbEUljE_EEESV_SW_SX_S14_S18_S1A_T6_T7_T9_mT8_S1C_bDpT10_ENKUlT_T0_E_clISt17integral_constantIbLb0EES1P_EEDaS1K_S1L_EUlS1K_E_NS1_11comp_targetILNS1_3genE8ELNS1_11target_archE1030ELNS1_3gpuE2ELNS1_3repE0EEENS1_30default_config_static_selectorELNS0_4arch9wavefront6targetE1EEEvSY_
; %bb.0:
	.section	.rodata,"a",@progbits
	.p2align	6, 0x0
	.amdhsa_kernel _ZN7rocprim17ROCPRIM_400000_NS6detail17trampoline_kernelINS0_13select_configILj256ELj13ELNS0_17block_load_methodE3ELS4_3ELS4_3ELNS0_20block_scan_algorithmE0ELj4294967295EEENS1_25partition_config_selectorILNS1_17partition_subalgoE3EjNS0_10empty_typeEbEEZZNS1_14partition_implILS8_3ELb0ES6_jNS0_17counting_iteratorIjlEEPS9_SE_NS0_5tupleIJPjSE_EEENSF_IJSE_SE_EEES9_SG_JZNS1_25segmented_radix_sort_implINS0_14default_configELb0EPKsPsPKlPlN2at6native12_GLOBAL__N_18offset_tEEE10hipError_tPvRmT1_PNSt15iterator_traitsISY_E10value_typeET2_T3_PNSZ_IS14_E10value_typeET4_jRbjT5_S1A_jjP12ihipStream_tbEUljE_EEESV_SW_SX_S14_S18_S1A_T6_T7_T9_mT8_S1C_bDpT10_ENKUlT_T0_E_clISt17integral_constantIbLb0EES1P_EEDaS1K_S1L_EUlS1K_E_NS1_11comp_targetILNS1_3genE8ELNS1_11target_archE1030ELNS1_3gpuE2ELNS1_3repE0EEENS1_30default_config_static_selectorELNS0_4arch9wavefront6targetE1EEEvSY_
		.amdhsa_group_segment_fixed_size 0
		.amdhsa_private_segment_fixed_size 0
		.amdhsa_kernarg_size 144
		.amdhsa_user_sgpr_count 6
		.amdhsa_user_sgpr_private_segment_buffer 1
		.amdhsa_user_sgpr_dispatch_ptr 0
		.amdhsa_user_sgpr_queue_ptr 0
		.amdhsa_user_sgpr_kernarg_segment_ptr 1
		.amdhsa_user_sgpr_dispatch_id 0
		.amdhsa_user_sgpr_flat_scratch_init 0
		.amdhsa_user_sgpr_private_segment_size 0
		.amdhsa_uses_dynamic_stack 0
		.amdhsa_system_sgpr_private_segment_wavefront_offset 0
		.amdhsa_system_sgpr_workgroup_id_x 1
		.amdhsa_system_sgpr_workgroup_id_y 0
		.amdhsa_system_sgpr_workgroup_id_z 0
		.amdhsa_system_sgpr_workgroup_info 0
		.amdhsa_system_vgpr_workitem_id 0
		.amdhsa_next_free_vgpr 1
		.amdhsa_next_free_sgpr 0
		.amdhsa_reserve_vcc 0
		.amdhsa_reserve_flat_scratch 0
		.amdhsa_float_round_mode_32 0
		.amdhsa_float_round_mode_16_64 0
		.amdhsa_float_denorm_mode_32 3
		.amdhsa_float_denorm_mode_16_64 3
		.amdhsa_dx10_clamp 1
		.amdhsa_ieee_mode 1
		.amdhsa_fp16_overflow 0
		.amdhsa_exception_fp_ieee_invalid_op 0
		.amdhsa_exception_fp_denorm_src 0
		.amdhsa_exception_fp_ieee_div_zero 0
		.amdhsa_exception_fp_ieee_overflow 0
		.amdhsa_exception_fp_ieee_underflow 0
		.amdhsa_exception_fp_ieee_inexact 0
		.amdhsa_exception_int_div_zero 0
	.end_amdhsa_kernel
	.section	.text._ZN7rocprim17ROCPRIM_400000_NS6detail17trampoline_kernelINS0_13select_configILj256ELj13ELNS0_17block_load_methodE3ELS4_3ELS4_3ELNS0_20block_scan_algorithmE0ELj4294967295EEENS1_25partition_config_selectorILNS1_17partition_subalgoE3EjNS0_10empty_typeEbEEZZNS1_14partition_implILS8_3ELb0ES6_jNS0_17counting_iteratorIjlEEPS9_SE_NS0_5tupleIJPjSE_EEENSF_IJSE_SE_EEES9_SG_JZNS1_25segmented_radix_sort_implINS0_14default_configELb0EPKsPsPKlPlN2at6native12_GLOBAL__N_18offset_tEEE10hipError_tPvRmT1_PNSt15iterator_traitsISY_E10value_typeET2_T3_PNSZ_IS14_E10value_typeET4_jRbjT5_S1A_jjP12ihipStream_tbEUljE_EEESV_SW_SX_S14_S18_S1A_T6_T7_T9_mT8_S1C_bDpT10_ENKUlT_T0_E_clISt17integral_constantIbLb0EES1P_EEDaS1K_S1L_EUlS1K_E_NS1_11comp_targetILNS1_3genE8ELNS1_11target_archE1030ELNS1_3gpuE2ELNS1_3repE0EEENS1_30default_config_static_selectorELNS0_4arch9wavefront6targetE1EEEvSY_,"axG",@progbits,_ZN7rocprim17ROCPRIM_400000_NS6detail17trampoline_kernelINS0_13select_configILj256ELj13ELNS0_17block_load_methodE3ELS4_3ELS4_3ELNS0_20block_scan_algorithmE0ELj4294967295EEENS1_25partition_config_selectorILNS1_17partition_subalgoE3EjNS0_10empty_typeEbEEZZNS1_14partition_implILS8_3ELb0ES6_jNS0_17counting_iteratorIjlEEPS9_SE_NS0_5tupleIJPjSE_EEENSF_IJSE_SE_EEES9_SG_JZNS1_25segmented_radix_sort_implINS0_14default_configELb0EPKsPsPKlPlN2at6native12_GLOBAL__N_18offset_tEEE10hipError_tPvRmT1_PNSt15iterator_traitsISY_E10value_typeET2_T3_PNSZ_IS14_E10value_typeET4_jRbjT5_S1A_jjP12ihipStream_tbEUljE_EEESV_SW_SX_S14_S18_S1A_T6_T7_T9_mT8_S1C_bDpT10_ENKUlT_T0_E_clISt17integral_constantIbLb0EES1P_EEDaS1K_S1L_EUlS1K_E_NS1_11comp_targetILNS1_3genE8ELNS1_11target_archE1030ELNS1_3gpuE2ELNS1_3repE0EEENS1_30default_config_static_selectorELNS0_4arch9wavefront6targetE1EEEvSY_,comdat
.Lfunc_end989:
	.size	_ZN7rocprim17ROCPRIM_400000_NS6detail17trampoline_kernelINS0_13select_configILj256ELj13ELNS0_17block_load_methodE3ELS4_3ELS4_3ELNS0_20block_scan_algorithmE0ELj4294967295EEENS1_25partition_config_selectorILNS1_17partition_subalgoE3EjNS0_10empty_typeEbEEZZNS1_14partition_implILS8_3ELb0ES6_jNS0_17counting_iteratorIjlEEPS9_SE_NS0_5tupleIJPjSE_EEENSF_IJSE_SE_EEES9_SG_JZNS1_25segmented_radix_sort_implINS0_14default_configELb0EPKsPsPKlPlN2at6native12_GLOBAL__N_18offset_tEEE10hipError_tPvRmT1_PNSt15iterator_traitsISY_E10value_typeET2_T3_PNSZ_IS14_E10value_typeET4_jRbjT5_S1A_jjP12ihipStream_tbEUljE_EEESV_SW_SX_S14_S18_S1A_T6_T7_T9_mT8_S1C_bDpT10_ENKUlT_T0_E_clISt17integral_constantIbLb0EES1P_EEDaS1K_S1L_EUlS1K_E_NS1_11comp_targetILNS1_3genE8ELNS1_11target_archE1030ELNS1_3gpuE2ELNS1_3repE0EEENS1_30default_config_static_selectorELNS0_4arch9wavefront6targetE1EEEvSY_, .Lfunc_end989-_ZN7rocprim17ROCPRIM_400000_NS6detail17trampoline_kernelINS0_13select_configILj256ELj13ELNS0_17block_load_methodE3ELS4_3ELS4_3ELNS0_20block_scan_algorithmE0ELj4294967295EEENS1_25partition_config_selectorILNS1_17partition_subalgoE3EjNS0_10empty_typeEbEEZZNS1_14partition_implILS8_3ELb0ES6_jNS0_17counting_iteratorIjlEEPS9_SE_NS0_5tupleIJPjSE_EEENSF_IJSE_SE_EEES9_SG_JZNS1_25segmented_radix_sort_implINS0_14default_configELb0EPKsPsPKlPlN2at6native12_GLOBAL__N_18offset_tEEE10hipError_tPvRmT1_PNSt15iterator_traitsISY_E10value_typeET2_T3_PNSZ_IS14_E10value_typeET4_jRbjT5_S1A_jjP12ihipStream_tbEUljE_EEESV_SW_SX_S14_S18_S1A_T6_T7_T9_mT8_S1C_bDpT10_ENKUlT_T0_E_clISt17integral_constantIbLb0EES1P_EEDaS1K_S1L_EUlS1K_E_NS1_11comp_targetILNS1_3genE8ELNS1_11target_archE1030ELNS1_3gpuE2ELNS1_3repE0EEENS1_30default_config_static_selectorELNS0_4arch9wavefront6targetE1EEEvSY_
                                        ; -- End function
	.set _ZN7rocprim17ROCPRIM_400000_NS6detail17trampoline_kernelINS0_13select_configILj256ELj13ELNS0_17block_load_methodE3ELS4_3ELS4_3ELNS0_20block_scan_algorithmE0ELj4294967295EEENS1_25partition_config_selectorILNS1_17partition_subalgoE3EjNS0_10empty_typeEbEEZZNS1_14partition_implILS8_3ELb0ES6_jNS0_17counting_iteratorIjlEEPS9_SE_NS0_5tupleIJPjSE_EEENSF_IJSE_SE_EEES9_SG_JZNS1_25segmented_radix_sort_implINS0_14default_configELb0EPKsPsPKlPlN2at6native12_GLOBAL__N_18offset_tEEE10hipError_tPvRmT1_PNSt15iterator_traitsISY_E10value_typeET2_T3_PNSZ_IS14_E10value_typeET4_jRbjT5_S1A_jjP12ihipStream_tbEUljE_EEESV_SW_SX_S14_S18_S1A_T6_T7_T9_mT8_S1C_bDpT10_ENKUlT_T0_E_clISt17integral_constantIbLb0EES1P_EEDaS1K_S1L_EUlS1K_E_NS1_11comp_targetILNS1_3genE8ELNS1_11target_archE1030ELNS1_3gpuE2ELNS1_3repE0EEENS1_30default_config_static_selectorELNS0_4arch9wavefront6targetE1EEEvSY_.num_vgpr, 0
	.set _ZN7rocprim17ROCPRIM_400000_NS6detail17trampoline_kernelINS0_13select_configILj256ELj13ELNS0_17block_load_methodE3ELS4_3ELS4_3ELNS0_20block_scan_algorithmE0ELj4294967295EEENS1_25partition_config_selectorILNS1_17partition_subalgoE3EjNS0_10empty_typeEbEEZZNS1_14partition_implILS8_3ELb0ES6_jNS0_17counting_iteratorIjlEEPS9_SE_NS0_5tupleIJPjSE_EEENSF_IJSE_SE_EEES9_SG_JZNS1_25segmented_radix_sort_implINS0_14default_configELb0EPKsPsPKlPlN2at6native12_GLOBAL__N_18offset_tEEE10hipError_tPvRmT1_PNSt15iterator_traitsISY_E10value_typeET2_T3_PNSZ_IS14_E10value_typeET4_jRbjT5_S1A_jjP12ihipStream_tbEUljE_EEESV_SW_SX_S14_S18_S1A_T6_T7_T9_mT8_S1C_bDpT10_ENKUlT_T0_E_clISt17integral_constantIbLb0EES1P_EEDaS1K_S1L_EUlS1K_E_NS1_11comp_targetILNS1_3genE8ELNS1_11target_archE1030ELNS1_3gpuE2ELNS1_3repE0EEENS1_30default_config_static_selectorELNS0_4arch9wavefront6targetE1EEEvSY_.num_agpr, 0
	.set _ZN7rocprim17ROCPRIM_400000_NS6detail17trampoline_kernelINS0_13select_configILj256ELj13ELNS0_17block_load_methodE3ELS4_3ELS4_3ELNS0_20block_scan_algorithmE0ELj4294967295EEENS1_25partition_config_selectorILNS1_17partition_subalgoE3EjNS0_10empty_typeEbEEZZNS1_14partition_implILS8_3ELb0ES6_jNS0_17counting_iteratorIjlEEPS9_SE_NS0_5tupleIJPjSE_EEENSF_IJSE_SE_EEES9_SG_JZNS1_25segmented_radix_sort_implINS0_14default_configELb0EPKsPsPKlPlN2at6native12_GLOBAL__N_18offset_tEEE10hipError_tPvRmT1_PNSt15iterator_traitsISY_E10value_typeET2_T3_PNSZ_IS14_E10value_typeET4_jRbjT5_S1A_jjP12ihipStream_tbEUljE_EEESV_SW_SX_S14_S18_S1A_T6_T7_T9_mT8_S1C_bDpT10_ENKUlT_T0_E_clISt17integral_constantIbLb0EES1P_EEDaS1K_S1L_EUlS1K_E_NS1_11comp_targetILNS1_3genE8ELNS1_11target_archE1030ELNS1_3gpuE2ELNS1_3repE0EEENS1_30default_config_static_selectorELNS0_4arch9wavefront6targetE1EEEvSY_.numbered_sgpr, 0
	.set _ZN7rocprim17ROCPRIM_400000_NS6detail17trampoline_kernelINS0_13select_configILj256ELj13ELNS0_17block_load_methodE3ELS4_3ELS4_3ELNS0_20block_scan_algorithmE0ELj4294967295EEENS1_25partition_config_selectorILNS1_17partition_subalgoE3EjNS0_10empty_typeEbEEZZNS1_14partition_implILS8_3ELb0ES6_jNS0_17counting_iteratorIjlEEPS9_SE_NS0_5tupleIJPjSE_EEENSF_IJSE_SE_EEES9_SG_JZNS1_25segmented_radix_sort_implINS0_14default_configELb0EPKsPsPKlPlN2at6native12_GLOBAL__N_18offset_tEEE10hipError_tPvRmT1_PNSt15iterator_traitsISY_E10value_typeET2_T3_PNSZ_IS14_E10value_typeET4_jRbjT5_S1A_jjP12ihipStream_tbEUljE_EEESV_SW_SX_S14_S18_S1A_T6_T7_T9_mT8_S1C_bDpT10_ENKUlT_T0_E_clISt17integral_constantIbLb0EES1P_EEDaS1K_S1L_EUlS1K_E_NS1_11comp_targetILNS1_3genE8ELNS1_11target_archE1030ELNS1_3gpuE2ELNS1_3repE0EEENS1_30default_config_static_selectorELNS0_4arch9wavefront6targetE1EEEvSY_.num_named_barrier, 0
	.set _ZN7rocprim17ROCPRIM_400000_NS6detail17trampoline_kernelINS0_13select_configILj256ELj13ELNS0_17block_load_methodE3ELS4_3ELS4_3ELNS0_20block_scan_algorithmE0ELj4294967295EEENS1_25partition_config_selectorILNS1_17partition_subalgoE3EjNS0_10empty_typeEbEEZZNS1_14partition_implILS8_3ELb0ES6_jNS0_17counting_iteratorIjlEEPS9_SE_NS0_5tupleIJPjSE_EEENSF_IJSE_SE_EEES9_SG_JZNS1_25segmented_radix_sort_implINS0_14default_configELb0EPKsPsPKlPlN2at6native12_GLOBAL__N_18offset_tEEE10hipError_tPvRmT1_PNSt15iterator_traitsISY_E10value_typeET2_T3_PNSZ_IS14_E10value_typeET4_jRbjT5_S1A_jjP12ihipStream_tbEUljE_EEESV_SW_SX_S14_S18_S1A_T6_T7_T9_mT8_S1C_bDpT10_ENKUlT_T0_E_clISt17integral_constantIbLb0EES1P_EEDaS1K_S1L_EUlS1K_E_NS1_11comp_targetILNS1_3genE8ELNS1_11target_archE1030ELNS1_3gpuE2ELNS1_3repE0EEENS1_30default_config_static_selectorELNS0_4arch9wavefront6targetE1EEEvSY_.private_seg_size, 0
	.set _ZN7rocprim17ROCPRIM_400000_NS6detail17trampoline_kernelINS0_13select_configILj256ELj13ELNS0_17block_load_methodE3ELS4_3ELS4_3ELNS0_20block_scan_algorithmE0ELj4294967295EEENS1_25partition_config_selectorILNS1_17partition_subalgoE3EjNS0_10empty_typeEbEEZZNS1_14partition_implILS8_3ELb0ES6_jNS0_17counting_iteratorIjlEEPS9_SE_NS0_5tupleIJPjSE_EEENSF_IJSE_SE_EEES9_SG_JZNS1_25segmented_radix_sort_implINS0_14default_configELb0EPKsPsPKlPlN2at6native12_GLOBAL__N_18offset_tEEE10hipError_tPvRmT1_PNSt15iterator_traitsISY_E10value_typeET2_T3_PNSZ_IS14_E10value_typeET4_jRbjT5_S1A_jjP12ihipStream_tbEUljE_EEESV_SW_SX_S14_S18_S1A_T6_T7_T9_mT8_S1C_bDpT10_ENKUlT_T0_E_clISt17integral_constantIbLb0EES1P_EEDaS1K_S1L_EUlS1K_E_NS1_11comp_targetILNS1_3genE8ELNS1_11target_archE1030ELNS1_3gpuE2ELNS1_3repE0EEENS1_30default_config_static_selectorELNS0_4arch9wavefront6targetE1EEEvSY_.uses_vcc, 0
	.set _ZN7rocprim17ROCPRIM_400000_NS6detail17trampoline_kernelINS0_13select_configILj256ELj13ELNS0_17block_load_methodE3ELS4_3ELS4_3ELNS0_20block_scan_algorithmE0ELj4294967295EEENS1_25partition_config_selectorILNS1_17partition_subalgoE3EjNS0_10empty_typeEbEEZZNS1_14partition_implILS8_3ELb0ES6_jNS0_17counting_iteratorIjlEEPS9_SE_NS0_5tupleIJPjSE_EEENSF_IJSE_SE_EEES9_SG_JZNS1_25segmented_radix_sort_implINS0_14default_configELb0EPKsPsPKlPlN2at6native12_GLOBAL__N_18offset_tEEE10hipError_tPvRmT1_PNSt15iterator_traitsISY_E10value_typeET2_T3_PNSZ_IS14_E10value_typeET4_jRbjT5_S1A_jjP12ihipStream_tbEUljE_EEESV_SW_SX_S14_S18_S1A_T6_T7_T9_mT8_S1C_bDpT10_ENKUlT_T0_E_clISt17integral_constantIbLb0EES1P_EEDaS1K_S1L_EUlS1K_E_NS1_11comp_targetILNS1_3genE8ELNS1_11target_archE1030ELNS1_3gpuE2ELNS1_3repE0EEENS1_30default_config_static_selectorELNS0_4arch9wavefront6targetE1EEEvSY_.uses_flat_scratch, 0
	.set _ZN7rocprim17ROCPRIM_400000_NS6detail17trampoline_kernelINS0_13select_configILj256ELj13ELNS0_17block_load_methodE3ELS4_3ELS4_3ELNS0_20block_scan_algorithmE0ELj4294967295EEENS1_25partition_config_selectorILNS1_17partition_subalgoE3EjNS0_10empty_typeEbEEZZNS1_14partition_implILS8_3ELb0ES6_jNS0_17counting_iteratorIjlEEPS9_SE_NS0_5tupleIJPjSE_EEENSF_IJSE_SE_EEES9_SG_JZNS1_25segmented_radix_sort_implINS0_14default_configELb0EPKsPsPKlPlN2at6native12_GLOBAL__N_18offset_tEEE10hipError_tPvRmT1_PNSt15iterator_traitsISY_E10value_typeET2_T3_PNSZ_IS14_E10value_typeET4_jRbjT5_S1A_jjP12ihipStream_tbEUljE_EEESV_SW_SX_S14_S18_S1A_T6_T7_T9_mT8_S1C_bDpT10_ENKUlT_T0_E_clISt17integral_constantIbLb0EES1P_EEDaS1K_S1L_EUlS1K_E_NS1_11comp_targetILNS1_3genE8ELNS1_11target_archE1030ELNS1_3gpuE2ELNS1_3repE0EEENS1_30default_config_static_selectorELNS0_4arch9wavefront6targetE1EEEvSY_.has_dyn_sized_stack, 0
	.set _ZN7rocprim17ROCPRIM_400000_NS6detail17trampoline_kernelINS0_13select_configILj256ELj13ELNS0_17block_load_methodE3ELS4_3ELS4_3ELNS0_20block_scan_algorithmE0ELj4294967295EEENS1_25partition_config_selectorILNS1_17partition_subalgoE3EjNS0_10empty_typeEbEEZZNS1_14partition_implILS8_3ELb0ES6_jNS0_17counting_iteratorIjlEEPS9_SE_NS0_5tupleIJPjSE_EEENSF_IJSE_SE_EEES9_SG_JZNS1_25segmented_radix_sort_implINS0_14default_configELb0EPKsPsPKlPlN2at6native12_GLOBAL__N_18offset_tEEE10hipError_tPvRmT1_PNSt15iterator_traitsISY_E10value_typeET2_T3_PNSZ_IS14_E10value_typeET4_jRbjT5_S1A_jjP12ihipStream_tbEUljE_EEESV_SW_SX_S14_S18_S1A_T6_T7_T9_mT8_S1C_bDpT10_ENKUlT_T0_E_clISt17integral_constantIbLb0EES1P_EEDaS1K_S1L_EUlS1K_E_NS1_11comp_targetILNS1_3genE8ELNS1_11target_archE1030ELNS1_3gpuE2ELNS1_3repE0EEENS1_30default_config_static_selectorELNS0_4arch9wavefront6targetE1EEEvSY_.has_recursion, 0
	.set _ZN7rocprim17ROCPRIM_400000_NS6detail17trampoline_kernelINS0_13select_configILj256ELj13ELNS0_17block_load_methodE3ELS4_3ELS4_3ELNS0_20block_scan_algorithmE0ELj4294967295EEENS1_25partition_config_selectorILNS1_17partition_subalgoE3EjNS0_10empty_typeEbEEZZNS1_14partition_implILS8_3ELb0ES6_jNS0_17counting_iteratorIjlEEPS9_SE_NS0_5tupleIJPjSE_EEENSF_IJSE_SE_EEES9_SG_JZNS1_25segmented_radix_sort_implINS0_14default_configELb0EPKsPsPKlPlN2at6native12_GLOBAL__N_18offset_tEEE10hipError_tPvRmT1_PNSt15iterator_traitsISY_E10value_typeET2_T3_PNSZ_IS14_E10value_typeET4_jRbjT5_S1A_jjP12ihipStream_tbEUljE_EEESV_SW_SX_S14_S18_S1A_T6_T7_T9_mT8_S1C_bDpT10_ENKUlT_T0_E_clISt17integral_constantIbLb0EES1P_EEDaS1K_S1L_EUlS1K_E_NS1_11comp_targetILNS1_3genE8ELNS1_11target_archE1030ELNS1_3gpuE2ELNS1_3repE0EEENS1_30default_config_static_selectorELNS0_4arch9wavefront6targetE1EEEvSY_.has_indirect_call, 0
	.section	.AMDGPU.csdata,"",@progbits
; Kernel info:
; codeLenInByte = 0
; TotalNumSgprs: 4
; NumVgprs: 0
; ScratchSize: 0
; MemoryBound: 0
; FloatMode: 240
; IeeeMode: 1
; LDSByteSize: 0 bytes/workgroup (compile time only)
; SGPRBlocks: 0
; VGPRBlocks: 0
; NumSGPRsForWavesPerEU: 4
; NumVGPRsForWavesPerEU: 1
; Occupancy: 10
; WaveLimiterHint : 0
; COMPUTE_PGM_RSRC2:SCRATCH_EN: 0
; COMPUTE_PGM_RSRC2:USER_SGPR: 6
; COMPUTE_PGM_RSRC2:TRAP_HANDLER: 0
; COMPUTE_PGM_RSRC2:TGID_X_EN: 1
; COMPUTE_PGM_RSRC2:TGID_Y_EN: 0
; COMPUTE_PGM_RSRC2:TGID_Z_EN: 0
; COMPUTE_PGM_RSRC2:TIDIG_COMP_CNT: 0
	.section	.text._ZN7rocprim17ROCPRIM_400000_NS6detail17trampoline_kernelINS0_13select_configILj256ELj13ELNS0_17block_load_methodE3ELS4_3ELS4_3ELNS0_20block_scan_algorithmE0ELj4294967295EEENS1_25partition_config_selectorILNS1_17partition_subalgoE3EjNS0_10empty_typeEbEEZZNS1_14partition_implILS8_3ELb0ES6_jNS0_17counting_iteratorIjlEEPS9_SE_NS0_5tupleIJPjSE_EEENSF_IJSE_SE_EEES9_SG_JZNS1_25segmented_radix_sort_implINS0_14default_configELb0EPKsPsPKlPlN2at6native12_GLOBAL__N_18offset_tEEE10hipError_tPvRmT1_PNSt15iterator_traitsISY_E10value_typeET2_T3_PNSZ_IS14_E10value_typeET4_jRbjT5_S1A_jjP12ihipStream_tbEUljE_EEESV_SW_SX_S14_S18_S1A_T6_T7_T9_mT8_S1C_bDpT10_ENKUlT_T0_E_clISt17integral_constantIbLb1EES1P_EEDaS1K_S1L_EUlS1K_E_NS1_11comp_targetILNS1_3genE0ELNS1_11target_archE4294967295ELNS1_3gpuE0ELNS1_3repE0EEENS1_30default_config_static_selectorELNS0_4arch9wavefront6targetE1EEEvSY_,"axG",@progbits,_ZN7rocprim17ROCPRIM_400000_NS6detail17trampoline_kernelINS0_13select_configILj256ELj13ELNS0_17block_load_methodE3ELS4_3ELS4_3ELNS0_20block_scan_algorithmE0ELj4294967295EEENS1_25partition_config_selectorILNS1_17partition_subalgoE3EjNS0_10empty_typeEbEEZZNS1_14partition_implILS8_3ELb0ES6_jNS0_17counting_iteratorIjlEEPS9_SE_NS0_5tupleIJPjSE_EEENSF_IJSE_SE_EEES9_SG_JZNS1_25segmented_radix_sort_implINS0_14default_configELb0EPKsPsPKlPlN2at6native12_GLOBAL__N_18offset_tEEE10hipError_tPvRmT1_PNSt15iterator_traitsISY_E10value_typeET2_T3_PNSZ_IS14_E10value_typeET4_jRbjT5_S1A_jjP12ihipStream_tbEUljE_EEESV_SW_SX_S14_S18_S1A_T6_T7_T9_mT8_S1C_bDpT10_ENKUlT_T0_E_clISt17integral_constantIbLb1EES1P_EEDaS1K_S1L_EUlS1K_E_NS1_11comp_targetILNS1_3genE0ELNS1_11target_archE4294967295ELNS1_3gpuE0ELNS1_3repE0EEENS1_30default_config_static_selectorELNS0_4arch9wavefront6targetE1EEEvSY_,comdat
	.globl	_ZN7rocprim17ROCPRIM_400000_NS6detail17trampoline_kernelINS0_13select_configILj256ELj13ELNS0_17block_load_methodE3ELS4_3ELS4_3ELNS0_20block_scan_algorithmE0ELj4294967295EEENS1_25partition_config_selectorILNS1_17partition_subalgoE3EjNS0_10empty_typeEbEEZZNS1_14partition_implILS8_3ELb0ES6_jNS0_17counting_iteratorIjlEEPS9_SE_NS0_5tupleIJPjSE_EEENSF_IJSE_SE_EEES9_SG_JZNS1_25segmented_radix_sort_implINS0_14default_configELb0EPKsPsPKlPlN2at6native12_GLOBAL__N_18offset_tEEE10hipError_tPvRmT1_PNSt15iterator_traitsISY_E10value_typeET2_T3_PNSZ_IS14_E10value_typeET4_jRbjT5_S1A_jjP12ihipStream_tbEUljE_EEESV_SW_SX_S14_S18_S1A_T6_T7_T9_mT8_S1C_bDpT10_ENKUlT_T0_E_clISt17integral_constantIbLb1EES1P_EEDaS1K_S1L_EUlS1K_E_NS1_11comp_targetILNS1_3genE0ELNS1_11target_archE4294967295ELNS1_3gpuE0ELNS1_3repE0EEENS1_30default_config_static_selectorELNS0_4arch9wavefront6targetE1EEEvSY_ ; -- Begin function _ZN7rocprim17ROCPRIM_400000_NS6detail17trampoline_kernelINS0_13select_configILj256ELj13ELNS0_17block_load_methodE3ELS4_3ELS4_3ELNS0_20block_scan_algorithmE0ELj4294967295EEENS1_25partition_config_selectorILNS1_17partition_subalgoE3EjNS0_10empty_typeEbEEZZNS1_14partition_implILS8_3ELb0ES6_jNS0_17counting_iteratorIjlEEPS9_SE_NS0_5tupleIJPjSE_EEENSF_IJSE_SE_EEES9_SG_JZNS1_25segmented_radix_sort_implINS0_14default_configELb0EPKsPsPKlPlN2at6native12_GLOBAL__N_18offset_tEEE10hipError_tPvRmT1_PNSt15iterator_traitsISY_E10value_typeET2_T3_PNSZ_IS14_E10value_typeET4_jRbjT5_S1A_jjP12ihipStream_tbEUljE_EEESV_SW_SX_S14_S18_S1A_T6_T7_T9_mT8_S1C_bDpT10_ENKUlT_T0_E_clISt17integral_constantIbLb1EES1P_EEDaS1K_S1L_EUlS1K_E_NS1_11comp_targetILNS1_3genE0ELNS1_11target_archE4294967295ELNS1_3gpuE0ELNS1_3repE0EEENS1_30default_config_static_selectorELNS0_4arch9wavefront6targetE1EEEvSY_
	.p2align	8
	.type	_ZN7rocprim17ROCPRIM_400000_NS6detail17trampoline_kernelINS0_13select_configILj256ELj13ELNS0_17block_load_methodE3ELS4_3ELS4_3ELNS0_20block_scan_algorithmE0ELj4294967295EEENS1_25partition_config_selectorILNS1_17partition_subalgoE3EjNS0_10empty_typeEbEEZZNS1_14partition_implILS8_3ELb0ES6_jNS0_17counting_iteratorIjlEEPS9_SE_NS0_5tupleIJPjSE_EEENSF_IJSE_SE_EEES9_SG_JZNS1_25segmented_radix_sort_implINS0_14default_configELb0EPKsPsPKlPlN2at6native12_GLOBAL__N_18offset_tEEE10hipError_tPvRmT1_PNSt15iterator_traitsISY_E10value_typeET2_T3_PNSZ_IS14_E10value_typeET4_jRbjT5_S1A_jjP12ihipStream_tbEUljE_EEESV_SW_SX_S14_S18_S1A_T6_T7_T9_mT8_S1C_bDpT10_ENKUlT_T0_E_clISt17integral_constantIbLb1EES1P_EEDaS1K_S1L_EUlS1K_E_NS1_11comp_targetILNS1_3genE0ELNS1_11target_archE4294967295ELNS1_3gpuE0ELNS1_3repE0EEENS1_30default_config_static_selectorELNS0_4arch9wavefront6targetE1EEEvSY_,@function
_ZN7rocprim17ROCPRIM_400000_NS6detail17trampoline_kernelINS0_13select_configILj256ELj13ELNS0_17block_load_methodE3ELS4_3ELS4_3ELNS0_20block_scan_algorithmE0ELj4294967295EEENS1_25partition_config_selectorILNS1_17partition_subalgoE3EjNS0_10empty_typeEbEEZZNS1_14partition_implILS8_3ELb0ES6_jNS0_17counting_iteratorIjlEEPS9_SE_NS0_5tupleIJPjSE_EEENSF_IJSE_SE_EEES9_SG_JZNS1_25segmented_radix_sort_implINS0_14default_configELb0EPKsPsPKlPlN2at6native12_GLOBAL__N_18offset_tEEE10hipError_tPvRmT1_PNSt15iterator_traitsISY_E10value_typeET2_T3_PNSZ_IS14_E10value_typeET4_jRbjT5_S1A_jjP12ihipStream_tbEUljE_EEESV_SW_SX_S14_S18_S1A_T6_T7_T9_mT8_S1C_bDpT10_ENKUlT_T0_E_clISt17integral_constantIbLb1EES1P_EEDaS1K_S1L_EUlS1K_E_NS1_11comp_targetILNS1_3genE0ELNS1_11target_archE4294967295ELNS1_3gpuE0ELNS1_3repE0EEENS1_30default_config_static_selectorELNS0_4arch9wavefront6targetE1EEEvSY_: ; @_ZN7rocprim17ROCPRIM_400000_NS6detail17trampoline_kernelINS0_13select_configILj256ELj13ELNS0_17block_load_methodE3ELS4_3ELS4_3ELNS0_20block_scan_algorithmE0ELj4294967295EEENS1_25partition_config_selectorILNS1_17partition_subalgoE3EjNS0_10empty_typeEbEEZZNS1_14partition_implILS8_3ELb0ES6_jNS0_17counting_iteratorIjlEEPS9_SE_NS0_5tupleIJPjSE_EEENSF_IJSE_SE_EEES9_SG_JZNS1_25segmented_radix_sort_implINS0_14default_configELb0EPKsPsPKlPlN2at6native12_GLOBAL__N_18offset_tEEE10hipError_tPvRmT1_PNSt15iterator_traitsISY_E10value_typeET2_T3_PNSZ_IS14_E10value_typeET4_jRbjT5_S1A_jjP12ihipStream_tbEUljE_EEESV_SW_SX_S14_S18_S1A_T6_T7_T9_mT8_S1C_bDpT10_ENKUlT_T0_E_clISt17integral_constantIbLb1EES1P_EEDaS1K_S1L_EUlS1K_E_NS1_11comp_targetILNS1_3genE0ELNS1_11target_archE4294967295ELNS1_3gpuE0ELNS1_3repE0EEENS1_30default_config_static_selectorELNS0_4arch9wavefront6targetE1EEEvSY_
; %bb.0:
	.section	.rodata,"a",@progbits
	.p2align	6, 0x0
	.amdhsa_kernel _ZN7rocprim17ROCPRIM_400000_NS6detail17trampoline_kernelINS0_13select_configILj256ELj13ELNS0_17block_load_methodE3ELS4_3ELS4_3ELNS0_20block_scan_algorithmE0ELj4294967295EEENS1_25partition_config_selectorILNS1_17partition_subalgoE3EjNS0_10empty_typeEbEEZZNS1_14partition_implILS8_3ELb0ES6_jNS0_17counting_iteratorIjlEEPS9_SE_NS0_5tupleIJPjSE_EEENSF_IJSE_SE_EEES9_SG_JZNS1_25segmented_radix_sort_implINS0_14default_configELb0EPKsPsPKlPlN2at6native12_GLOBAL__N_18offset_tEEE10hipError_tPvRmT1_PNSt15iterator_traitsISY_E10value_typeET2_T3_PNSZ_IS14_E10value_typeET4_jRbjT5_S1A_jjP12ihipStream_tbEUljE_EEESV_SW_SX_S14_S18_S1A_T6_T7_T9_mT8_S1C_bDpT10_ENKUlT_T0_E_clISt17integral_constantIbLb1EES1P_EEDaS1K_S1L_EUlS1K_E_NS1_11comp_targetILNS1_3genE0ELNS1_11target_archE4294967295ELNS1_3gpuE0ELNS1_3repE0EEENS1_30default_config_static_selectorELNS0_4arch9wavefront6targetE1EEEvSY_
		.amdhsa_group_segment_fixed_size 0
		.amdhsa_private_segment_fixed_size 0
		.amdhsa_kernarg_size 152
		.amdhsa_user_sgpr_count 6
		.amdhsa_user_sgpr_private_segment_buffer 1
		.amdhsa_user_sgpr_dispatch_ptr 0
		.amdhsa_user_sgpr_queue_ptr 0
		.amdhsa_user_sgpr_kernarg_segment_ptr 1
		.amdhsa_user_sgpr_dispatch_id 0
		.amdhsa_user_sgpr_flat_scratch_init 0
		.amdhsa_user_sgpr_private_segment_size 0
		.amdhsa_uses_dynamic_stack 0
		.amdhsa_system_sgpr_private_segment_wavefront_offset 0
		.amdhsa_system_sgpr_workgroup_id_x 1
		.amdhsa_system_sgpr_workgroup_id_y 0
		.amdhsa_system_sgpr_workgroup_id_z 0
		.amdhsa_system_sgpr_workgroup_info 0
		.amdhsa_system_vgpr_workitem_id 0
		.amdhsa_next_free_vgpr 1
		.amdhsa_next_free_sgpr 0
		.amdhsa_reserve_vcc 0
		.amdhsa_reserve_flat_scratch 0
		.amdhsa_float_round_mode_32 0
		.amdhsa_float_round_mode_16_64 0
		.amdhsa_float_denorm_mode_32 3
		.amdhsa_float_denorm_mode_16_64 3
		.amdhsa_dx10_clamp 1
		.amdhsa_ieee_mode 1
		.amdhsa_fp16_overflow 0
		.amdhsa_exception_fp_ieee_invalid_op 0
		.amdhsa_exception_fp_denorm_src 0
		.amdhsa_exception_fp_ieee_div_zero 0
		.amdhsa_exception_fp_ieee_overflow 0
		.amdhsa_exception_fp_ieee_underflow 0
		.amdhsa_exception_fp_ieee_inexact 0
		.amdhsa_exception_int_div_zero 0
	.end_amdhsa_kernel
	.section	.text._ZN7rocprim17ROCPRIM_400000_NS6detail17trampoline_kernelINS0_13select_configILj256ELj13ELNS0_17block_load_methodE3ELS4_3ELS4_3ELNS0_20block_scan_algorithmE0ELj4294967295EEENS1_25partition_config_selectorILNS1_17partition_subalgoE3EjNS0_10empty_typeEbEEZZNS1_14partition_implILS8_3ELb0ES6_jNS0_17counting_iteratorIjlEEPS9_SE_NS0_5tupleIJPjSE_EEENSF_IJSE_SE_EEES9_SG_JZNS1_25segmented_radix_sort_implINS0_14default_configELb0EPKsPsPKlPlN2at6native12_GLOBAL__N_18offset_tEEE10hipError_tPvRmT1_PNSt15iterator_traitsISY_E10value_typeET2_T3_PNSZ_IS14_E10value_typeET4_jRbjT5_S1A_jjP12ihipStream_tbEUljE_EEESV_SW_SX_S14_S18_S1A_T6_T7_T9_mT8_S1C_bDpT10_ENKUlT_T0_E_clISt17integral_constantIbLb1EES1P_EEDaS1K_S1L_EUlS1K_E_NS1_11comp_targetILNS1_3genE0ELNS1_11target_archE4294967295ELNS1_3gpuE0ELNS1_3repE0EEENS1_30default_config_static_selectorELNS0_4arch9wavefront6targetE1EEEvSY_,"axG",@progbits,_ZN7rocprim17ROCPRIM_400000_NS6detail17trampoline_kernelINS0_13select_configILj256ELj13ELNS0_17block_load_methodE3ELS4_3ELS4_3ELNS0_20block_scan_algorithmE0ELj4294967295EEENS1_25partition_config_selectorILNS1_17partition_subalgoE3EjNS0_10empty_typeEbEEZZNS1_14partition_implILS8_3ELb0ES6_jNS0_17counting_iteratorIjlEEPS9_SE_NS0_5tupleIJPjSE_EEENSF_IJSE_SE_EEES9_SG_JZNS1_25segmented_radix_sort_implINS0_14default_configELb0EPKsPsPKlPlN2at6native12_GLOBAL__N_18offset_tEEE10hipError_tPvRmT1_PNSt15iterator_traitsISY_E10value_typeET2_T3_PNSZ_IS14_E10value_typeET4_jRbjT5_S1A_jjP12ihipStream_tbEUljE_EEESV_SW_SX_S14_S18_S1A_T6_T7_T9_mT8_S1C_bDpT10_ENKUlT_T0_E_clISt17integral_constantIbLb1EES1P_EEDaS1K_S1L_EUlS1K_E_NS1_11comp_targetILNS1_3genE0ELNS1_11target_archE4294967295ELNS1_3gpuE0ELNS1_3repE0EEENS1_30default_config_static_selectorELNS0_4arch9wavefront6targetE1EEEvSY_,comdat
.Lfunc_end990:
	.size	_ZN7rocprim17ROCPRIM_400000_NS6detail17trampoline_kernelINS0_13select_configILj256ELj13ELNS0_17block_load_methodE3ELS4_3ELS4_3ELNS0_20block_scan_algorithmE0ELj4294967295EEENS1_25partition_config_selectorILNS1_17partition_subalgoE3EjNS0_10empty_typeEbEEZZNS1_14partition_implILS8_3ELb0ES6_jNS0_17counting_iteratorIjlEEPS9_SE_NS0_5tupleIJPjSE_EEENSF_IJSE_SE_EEES9_SG_JZNS1_25segmented_radix_sort_implINS0_14default_configELb0EPKsPsPKlPlN2at6native12_GLOBAL__N_18offset_tEEE10hipError_tPvRmT1_PNSt15iterator_traitsISY_E10value_typeET2_T3_PNSZ_IS14_E10value_typeET4_jRbjT5_S1A_jjP12ihipStream_tbEUljE_EEESV_SW_SX_S14_S18_S1A_T6_T7_T9_mT8_S1C_bDpT10_ENKUlT_T0_E_clISt17integral_constantIbLb1EES1P_EEDaS1K_S1L_EUlS1K_E_NS1_11comp_targetILNS1_3genE0ELNS1_11target_archE4294967295ELNS1_3gpuE0ELNS1_3repE0EEENS1_30default_config_static_selectorELNS0_4arch9wavefront6targetE1EEEvSY_, .Lfunc_end990-_ZN7rocprim17ROCPRIM_400000_NS6detail17trampoline_kernelINS0_13select_configILj256ELj13ELNS0_17block_load_methodE3ELS4_3ELS4_3ELNS0_20block_scan_algorithmE0ELj4294967295EEENS1_25partition_config_selectorILNS1_17partition_subalgoE3EjNS0_10empty_typeEbEEZZNS1_14partition_implILS8_3ELb0ES6_jNS0_17counting_iteratorIjlEEPS9_SE_NS0_5tupleIJPjSE_EEENSF_IJSE_SE_EEES9_SG_JZNS1_25segmented_radix_sort_implINS0_14default_configELb0EPKsPsPKlPlN2at6native12_GLOBAL__N_18offset_tEEE10hipError_tPvRmT1_PNSt15iterator_traitsISY_E10value_typeET2_T3_PNSZ_IS14_E10value_typeET4_jRbjT5_S1A_jjP12ihipStream_tbEUljE_EEESV_SW_SX_S14_S18_S1A_T6_T7_T9_mT8_S1C_bDpT10_ENKUlT_T0_E_clISt17integral_constantIbLb1EES1P_EEDaS1K_S1L_EUlS1K_E_NS1_11comp_targetILNS1_3genE0ELNS1_11target_archE4294967295ELNS1_3gpuE0ELNS1_3repE0EEENS1_30default_config_static_selectorELNS0_4arch9wavefront6targetE1EEEvSY_
                                        ; -- End function
	.set _ZN7rocprim17ROCPRIM_400000_NS6detail17trampoline_kernelINS0_13select_configILj256ELj13ELNS0_17block_load_methodE3ELS4_3ELS4_3ELNS0_20block_scan_algorithmE0ELj4294967295EEENS1_25partition_config_selectorILNS1_17partition_subalgoE3EjNS0_10empty_typeEbEEZZNS1_14partition_implILS8_3ELb0ES6_jNS0_17counting_iteratorIjlEEPS9_SE_NS0_5tupleIJPjSE_EEENSF_IJSE_SE_EEES9_SG_JZNS1_25segmented_radix_sort_implINS0_14default_configELb0EPKsPsPKlPlN2at6native12_GLOBAL__N_18offset_tEEE10hipError_tPvRmT1_PNSt15iterator_traitsISY_E10value_typeET2_T3_PNSZ_IS14_E10value_typeET4_jRbjT5_S1A_jjP12ihipStream_tbEUljE_EEESV_SW_SX_S14_S18_S1A_T6_T7_T9_mT8_S1C_bDpT10_ENKUlT_T0_E_clISt17integral_constantIbLb1EES1P_EEDaS1K_S1L_EUlS1K_E_NS1_11comp_targetILNS1_3genE0ELNS1_11target_archE4294967295ELNS1_3gpuE0ELNS1_3repE0EEENS1_30default_config_static_selectorELNS0_4arch9wavefront6targetE1EEEvSY_.num_vgpr, 0
	.set _ZN7rocprim17ROCPRIM_400000_NS6detail17trampoline_kernelINS0_13select_configILj256ELj13ELNS0_17block_load_methodE3ELS4_3ELS4_3ELNS0_20block_scan_algorithmE0ELj4294967295EEENS1_25partition_config_selectorILNS1_17partition_subalgoE3EjNS0_10empty_typeEbEEZZNS1_14partition_implILS8_3ELb0ES6_jNS0_17counting_iteratorIjlEEPS9_SE_NS0_5tupleIJPjSE_EEENSF_IJSE_SE_EEES9_SG_JZNS1_25segmented_radix_sort_implINS0_14default_configELb0EPKsPsPKlPlN2at6native12_GLOBAL__N_18offset_tEEE10hipError_tPvRmT1_PNSt15iterator_traitsISY_E10value_typeET2_T3_PNSZ_IS14_E10value_typeET4_jRbjT5_S1A_jjP12ihipStream_tbEUljE_EEESV_SW_SX_S14_S18_S1A_T6_T7_T9_mT8_S1C_bDpT10_ENKUlT_T0_E_clISt17integral_constantIbLb1EES1P_EEDaS1K_S1L_EUlS1K_E_NS1_11comp_targetILNS1_3genE0ELNS1_11target_archE4294967295ELNS1_3gpuE0ELNS1_3repE0EEENS1_30default_config_static_selectorELNS0_4arch9wavefront6targetE1EEEvSY_.num_agpr, 0
	.set _ZN7rocprim17ROCPRIM_400000_NS6detail17trampoline_kernelINS0_13select_configILj256ELj13ELNS0_17block_load_methodE3ELS4_3ELS4_3ELNS0_20block_scan_algorithmE0ELj4294967295EEENS1_25partition_config_selectorILNS1_17partition_subalgoE3EjNS0_10empty_typeEbEEZZNS1_14partition_implILS8_3ELb0ES6_jNS0_17counting_iteratorIjlEEPS9_SE_NS0_5tupleIJPjSE_EEENSF_IJSE_SE_EEES9_SG_JZNS1_25segmented_radix_sort_implINS0_14default_configELb0EPKsPsPKlPlN2at6native12_GLOBAL__N_18offset_tEEE10hipError_tPvRmT1_PNSt15iterator_traitsISY_E10value_typeET2_T3_PNSZ_IS14_E10value_typeET4_jRbjT5_S1A_jjP12ihipStream_tbEUljE_EEESV_SW_SX_S14_S18_S1A_T6_T7_T9_mT8_S1C_bDpT10_ENKUlT_T0_E_clISt17integral_constantIbLb1EES1P_EEDaS1K_S1L_EUlS1K_E_NS1_11comp_targetILNS1_3genE0ELNS1_11target_archE4294967295ELNS1_3gpuE0ELNS1_3repE0EEENS1_30default_config_static_selectorELNS0_4arch9wavefront6targetE1EEEvSY_.numbered_sgpr, 0
	.set _ZN7rocprim17ROCPRIM_400000_NS6detail17trampoline_kernelINS0_13select_configILj256ELj13ELNS0_17block_load_methodE3ELS4_3ELS4_3ELNS0_20block_scan_algorithmE0ELj4294967295EEENS1_25partition_config_selectorILNS1_17partition_subalgoE3EjNS0_10empty_typeEbEEZZNS1_14partition_implILS8_3ELb0ES6_jNS0_17counting_iteratorIjlEEPS9_SE_NS0_5tupleIJPjSE_EEENSF_IJSE_SE_EEES9_SG_JZNS1_25segmented_radix_sort_implINS0_14default_configELb0EPKsPsPKlPlN2at6native12_GLOBAL__N_18offset_tEEE10hipError_tPvRmT1_PNSt15iterator_traitsISY_E10value_typeET2_T3_PNSZ_IS14_E10value_typeET4_jRbjT5_S1A_jjP12ihipStream_tbEUljE_EEESV_SW_SX_S14_S18_S1A_T6_T7_T9_mT8_S1C_bDpT10_ENKUlT_T0_E_clISt17integral_constantIbLb1EES1P_EEDaS1K_S1L_EUlS1K_E_NS1_11comp_targetILNS1_3genE0ELNS1_11target_archE4294967295ELNS1_3gpuE0ELNS1_3repE0EEENS1_30default_config_static_selectorELNS0_4arch9wavefront6targetE1EEEvSY_.num_named_barrier, 0
	.set _ZN7rocprim17ROCPRIM_400000_NS6detail17trampoline_kernelINS0_13select_configILj256ELj13ELNS0_17block_load_methodE3ELS4_3ELS4_3ELNS0_20block_scan_algorithmE0ELj4294967295EEENS1_25partition_config_selectorILNS1_17partition_subalgoE3EjNS0_10empty_typeEbEEZZNS1_14partition_implILS8_3ELb0ES6_jNS0_17counting_iteratorIjlEEPS9_SE_NS0_5tupleIJPjSE_EEENSF_IJSE_SE_EEES9_SG_JZNS1_25segmented_radix_sort_implINS0_14default_configELb0EPKsPsPKlPlN2at6native12_GLOBAL__N_18offset_tEEE10hipError_tPvRmT1_PNSt15iterator_traitsISY_E10value_typeET2_T3_PNSZ_IS14_E10value_typeET4_jRbjT5_S1A_jjP12ihipStream_tbEUljE_EEESV_SW_SX_S14_S18_S1A_T6_T7_T9_mT8_S1C_bDpT10_ENKUlT_T0_E_clISt17integral_constantIbLb1EES1P_EEDaS1K_S1L_EUlS1K_E_NS1_11comp_targetILNS1_3genE0ELNS1_11target_archE4294967295ELNS1_3gpuE0ELNS1_3repE0EEENS1_30default_config_static_selectorELNS0_4arch9wavefront6targetE1EEEvSY_.private_seg_size, 0
	.set _ZN7rocprim17ROCPRIM_400000_NS6detail17trampoline_kernelINS0_13select_configILj256ELj13ELNS0_17block_load_methodE3ELS4_3ELS4_3ELNS0_20block_scan_algorithmE0ELj4294967295EEENS1_25partition_config_selectorILNS1_17partition_subalgoE3EjNS0_10empty_typeEbEEZZNS1_14partition_implILS8_3ELb0ES6_jNS0_17counting_iteratorIjlEEPS9_SE_NS0_5tupleIJPjSE_EEENSF_IJSE_SE_EEES9_SG_JZNS1_25segmented_radix_sort_implINS0_14default_configELb0EPKsPsPKlPlN2at6native12_GLOBAL__N_18offset_tEEE10hipError_tPvRmT1_PNSt15iterator_traitsISY_E10value_typeET2_T3_PNSZ_IS14_E10value_typeET4_jRbjT5_S1A_jjP12ihipStream_tbEUljE_EEESV_SW_SX_S14_S18_S1A_T6_T7_T9_mT8_S1C_bDpT10_ENKUlT_T0_E_clISt17integral_constantIbLb1EES1P_EEDaS1K_S1L_EUlS1K_E_NS1_11comp_targetILNS1_3genE0ELNS1_11target_archE4294967295ELNS1_3gpuE0ELNS1_3repE0EEENS1_30default_config_static_selectorELNS0_4arch9wavefront6targetE1EEEvSY_.uses_vcc, 0
	.set _ZN7rocprim17ROCPRIM_400000_NS6detail17trampoline_kernelINS0_13select_configILj256ELj13ELNS0_17block_load_methodE3ELS4_3ELS4_3ELNS0_20block_scan_algorithmE0ELj4294967295EEENS1_25partition_config_selectorILNS1_17partition_subalgoE3EjNS0_10empty_typeEbEEZZNS1_14partition_implILS8_3ELb0ES6_jNS0_17counting_iteratorIjlEEPS9_SE_NS0_5tupleIJPjSE_EEENSF_IJSE_SE_EEES9_SG_JZNS1_25segmented_radix_sort_implINS0_14default_configELb0EPKsPsPKlPlN2at6native12_GLOBAL__N_18offset_tEEE10hipError_tPvRmT1_PNSt15iterator_traitsISY_E10value_typeET2_T3_PNSZ_IS14_E10value_typeET4_jRbjT5_S1A_jjP12ihipStream_tbEUljE_EEESV_SW_SX_S14_S18_S1A_T6_T7_T9_mT8_S1C_bDpT10_ENKUlT_T0_E_clISt17integral_constantIbLb1EES1P_EEDaS1K_S1L_EUlS1K_E_NS1_11comp_targetILNS1_3genE0ELNS1_11target_archE4294967295ELNS1_3gpuE0ELNS1_3repE0EEENS1_30default_config_static_selectorELNS0_4arch9wavefront6targetE1EEEvSY_.uses_flat_scratch, 0
	.set _ZN7rocprim17ROCPRIM_400000_NS6detail17trampoline_kernelINS0_13select_configILj256ELj13ELNS0_17block_load_methodE3ELS4_3ELS4_3ELNS0_20block_scan_algorithmE0ELj4294967295EEENS1_25partition_config_selectorILNS1_17partition_subalgoE3EjNS0_10empty_typeEbEEZZNS1_14partition_implILS8_3ELb0ES6_jNS0_17counting_iteratorIjlEEPS9_SE_NS0_5tupleIJPjSE_EEENSF_IJSE_SE_EEES9_SG_JZNS1_25segmented_radix_sort_implINS0_14default_configELb0EPKsPsPKlPlN2at6native12_GLOBAL__N_18offset_tEEE10hipError_tPvRmT1_PNSt15iterator_traitsISY_E10value_typeET2_T3_PNSZ_IS14_E10value_typeET4_jRbjT5_S1A_jjP12ihipStream_tbEUljE_EEESV_SW_SX_S14_S18_S1A_T6_T7_T9_mT8_S1C_bDpT10_ENKUlT_T0_E_clISt17integral_constantIbLb1EES1P_EEDaS1K_S1L_EUlS1K_E_NS1_11comp_targetILNS1_3genE0ELNS1_11target_archE4294967295ELNS1_3gpuE0ELNS1_3repE0EEENS1_30default_config_static_selectorELNS0_4arch9wavefront6targetE1EEEvSY_.has_dyn_sized_stack, 0
	.set _ZN7rocprim17ROCPRIM_400000_NS6detail17trampoline_kernelINS0_13select_configILj256ELj13ELNS0_17block_load_methodE3ELS4_3ELS4_3ELNS0_20block_scan_algorithmE0ELj4294967295EEENS1_25partition_config_selectorILNS1_17partition_subalgoE3EjNS0_10empty_typeEbEEZZNS1_14partition_implILS8_3ELb0ES6_jNS0_17counting_iteratorIjlEEPS9_SE_NS0_5tupleIJPjSE_EEENSF_IJSE_SE_EEES9_SG_JZNS1_25segmented_radix_sort_implINS0_14default_configELb0EPKsPsPKlPlN2at6native12_GLOBAL__N_18offset_tEEE10hipError_tPvRmT1_PNSt15iterator_traitsISY_E10value_typeET2_T3_PNSZ_IS14_E10value_typeET4_jRbjT5_S1A_jjP12ihipStream_tbEUljE_EEESV_SW_SX_S14_S18_S1A_T6_T7_T9_mT8_S1C_bDpT10_ENKUlT_T0_E_clISt17integral_constantIbLb1EES1P_EEDaS1K_S1L_EUlS1K_E_NS1_11comp_targetILNS1_3genE0ELNS1_11target_archE4294967295ELNS1_3gpuE0ELNS1_3repE0EEENS1_30default_config_static_selectorELNS0_4arch9wavefront6targetE1EEEvSY_.has_recursion, 0
	.set _ZN7rocprim17ROCPRIM_400000_NS6detail17trampoline_kernelINS0_13select_configILj256ELj13ELNS0_17block_load_methodE3ELS4_3ELS4_3ELNS0_20block_scan_algorithmE0ELj4294967295EEENS1_25partition_config_selectorILNS1_17partition_subalgoE3EjNS0_10empty_typeEbEEZZNS1_14partition_implILS8_3ELb0ES6_jNS0_17counting_iteratorIjlEEPS9_SE_NS0_5tupleIJPjSE_EEENSF_IJSE_SE_EEES9_SG_JZNS1_25segmented_radix_sort_implINS0_14default_configELb0EPKsPsPKlPlN2at6native12_GLOBAL__N_18offset_tEEE10hipError_tPvRmT1_PNSt15iterator_traitsISY_E10value_typeET2_T3_PNSZ_IS14_E10value_typeET4_jRbjT5_S1A_jjP12ihipStream_tbEUljE_EEESV_SW_SX_S14_S18_S1A_T6_T7_T9_mT8_S1C_bDpT10_ENKUlT_T0_E_clISt17integral_constantIbLb1EES1P_EEDaS1K_S1L_EUlS1K_E_NS1_11comp_targetILNS1_3genE0ELNS1_11target_archE4294967295ELNS1_3gpuE0ELNS1_3repE0EEENS1_30default_config_static_selectorELNS0_4arch9wavefront6targetE1EEEvSY_.has_indirect_call, 0
	.section	.AMDGPU.csdata,"",@progbits
; Kernel info:
; codeLenInByte = 0
; TotalNumSgprs: 4
; NumVgprs: 0
; ScratchSize: 0
; MemoryBound: 0
; FloatMode: 240
; IeeeMode: 1
; LDSByteSize: 0 bytes/workgroup (compile time only)
; SGPRBlocks: 0
; VGPRBlocks: 0
; NumSGPRsForWavesPerEU: 4
; NumVGPRsForWavesPerEU: 1
; Occupancy: 10
; WaveLimiterHint : 0
; COMPUTE_PGM_RSRC2:SCRATCH_EN: 0
; COMPUTE_PGM_RSRC2:USER_SGPR: 6
; COMPUTE_PGM_RSRC2:TRAP_HANDLER: 0
; COMPUTE_PGM_RSRC2:TGID_X_EN: 1
; COMPUTE_PGM_RSRC2:TGID_Y_EN: 0
; COMPUTE_PGM_RSRC2:TGID_Z_EN: 0
; COMPUTE_PGM_RSRC2:TIDIG_COMP_CNT: 0
	.section	.text._ZN7rocprim17ROCPRIM_400000_NS6detail17trampoline_kernelINS0_13select_configILj256ELj13ELNS0_17block_load_methodE3ELS4_3ELS4_3ELNS0_20block_scan_algorithmE0ELj4294967295EEENS1_25partition_config_selectorILNS1_17partition_subalgoE3EjNS0_10empty_typeEbEEZZNS1_14partition_implILS8_3ELb0ES6_jNS0_17counting_iteratorIjlEEPS9_SE_NS0_5tupleIJPjSE_EEENSF_IJSE_SE_EEES9_SG_JZNS1_25segmented_radix_sort_implINS0_14default_configELb0EPKsPsPKlPlN2at6native12_GLOBAL__N_18offset_tEEE10hipError_tPvRmT1_PNSt15iterator_traitsISY_E10value_typeET2_T3_PNSZ_IS14_E10value_typeET4_jRbjT5_S1A_jjP12ihipStream_tbEUljE_EEESV_SW_SX_S14_S18_S1A_T6_T7_T9_mT8_S1C_bDpT10_ENKUlT_T0_E_clISt17integral_constantIbLb1EES1P_EEDaS1K_S1L_EUlS1K_E_NS1_11comp_targetILNS1_3genE5ELNS1_11target_archE942ELNS1_3gpuE9ELNS1_3repE0EEENS1_30default_config_static_selectorELNS0_4arch9wavefront6targetE1EEEvSY_,"axG",@progbits,_ZN7rocprim17ROCPRIM_400000_NS6detail17trampoline_kernelINS0_13select_configILj256ELj13ELNS0_17block_load_methodE3ELS4_3ELS4_3ELNS0_20block_scan_algorithmE0ELj4294967295EEENS1_25partition_config_selectorILNS1_17partition_subalgoE3EjNS0_10empty_typeEbEEZZNS1_14partition_implILS8_3ELb0ES6_jNS0_17counting_iteratorIjlEEPS9_SE_NS0_5tupleIJPjSE_EEENSF_IJSE_SE_EEES9_SG_JZNS1_25segmented_radix_sort_implINS0_14default_configELb0EPKsPsPKlPlN2at6native12_GLOBAL__N_18offset_tEEE10hipError_tPvRmT1_PNSt15iterator_traitsISY_E10value_typeET2_T3_PNSZ_IS14_E10value_typeET4_jRbjT5_S1A_jjP12ihipStream_tbEUljE_EEESV_SW_SX_S14_S18_S1A_T6_T7_T9_mT8_S1C_bDpT10_ENKUlT_T0_E_clISt17integral_constantIbLb1EES1P_EEDaS1K_S1L_EUlS1K_E_NS1_11comp_targetILNS1_3genE5ELNS1_11target_archE942ELNS1_3gpuE9ELNS1_3repE0EEENS1_30default_config_static_selectorELNS0_4arch9wavefront6targetE1EEEvSY_,comdat
	.globl	_ZN7rocprim17ROCPRIM_400000_NS6detail17trampoline_kernelINS0_13select_configILj256ELj13ELNS0_17block_load_methodE3ELS4_3ELS4_3ELNS0_20block_scan_algorithmE0ELj4294967295EEENS1_25partition_config_selectorILNS1_17partition_subalgoE3EjNS0_10empty_typeEbEEZZNS1_14partition_implILS8_3ELb0ES6_jNS0_17counting_iteratorIjlEEPS9_SE_NS0_5tupleIJPjSE_EEENSF_IJSE_SE_EEES9_SG_JZNS1_25segmented_radix_sort_implINS0_14default_configELb0EPKsPsPKlPlN2at6native12_GLOBAL__N_18offset_tEEE10hipError_tPvRmT1_PNSt15iterator_traitsISY_E10value_typeET2_T3_PNSZ_IS14_E10value_typeET4_jRbjT5_S1A_jjP12ihipStream_tbEUljE_EEESV_SW_SX_S14_S18_S1A_T6_T7_T9_mT8_S1C_bDpT10_ENKUlT_T0_E_clISt17integral_constantIbLb1EES1P_EEDaS1K_S1L_EUlS1K_E_NS1_11comp_targetILNS1_3genE5ELNS1_11target_archE942ELNS1_3gpuE9ELNS1_3repE0EEENS1_30default_config_static_selectorELNS0_4arch9wavefront6targetE1EEEvSY_ ; -- Begin function _ZN7rocprim17ROCPRIM_400000_NS6detail17trampoline_kernelINS0_13select_configILj256ELj13ELNS0_17block_load_methodE3ELS4_3ELS4_3ELNS0_20block_scan_algorithmE0ELj4294967295EEENS1_25partition_config_selectorILNS1_17partition_subalgoE3EjNS0_10empty_typeEbEEZZNS1_14partition_implILS8_3ELb0ES6_jNS0_17counting_iteratorIjlEEPS9_SE_NS0_5tupleIJPjSE_EEENSF_IJSE_SE_EEES9_SG_JZNS1_25segmented_radix_sort_implINS0_14default_configELb0EPKsPsPKlPlN2at6native12_GLOBAL__N_18offset_tEEE10hipError_tPvRmT1_PNSt15iterator_traitsISY_E10value_typeET2_T3_PNSZ_IS14_E10value_typeET4_jRbjT5_S1A_jjP12ihipStream_tbEUljE_EEESV_SW_SX_S14_S18_S1A_T6_T7_T9_mT8_S1C_bDpT10_ENKUlT_T0_E_clISt17integral_constantIbLb1EES1P_EEDaS1K_S1L_EUlS1K_E_NS1_11comp_targetILNS1_3genE5ELNS1_11target_archE942ELNS1_3gpuE9ELNS1_3repE0EEENS1_30default_config_static_selectorELNS0_4arch9wavefront6targetE1EEEvSY_
	.p2align	8
	.type	_ZN7rocprim17ROCPRIM_400000_NS6detail17trampoline_kernelINS0_13select_configILj256ELj13ELNS0_17block_load_methodE3ELS4_3ELS4_3ELNS0_20block_scan_algorithmE0ELj4294967295EEENS1_25partition_config_selectorILNS1_17partition_subalgoE3EjNS0_10empty_typeEbEEZZNS1_14partition_implILS8_3ELb0ES6_jNS0_17counting_iteratorIjlEEPS9_SE_NS0_5tupleIJPjSE_EEENSF_IJSE_SE_EEES9_SG_JZNS1_25segmented_radix_sort_implINS0_14default_configELb0EPKsPsPKlPlN2at6native12_GLOBAL__N_18offset_tEEE10hipError_tPvRmT1_PNSt15iterator_traitsISY_E10value_typeET2_T3_PNSZ_IS14_E10value_typeET4_jRbjT5_S1A_jjP12ihipStream_tbEUljE_EEESV_SW_SX_S14_S18_S1A_T6_T7_T9_mT8_S1C_bDpT10_ENKUlT_T0_E_clISt17integral_constantIbLb1EES1P_EEDaS1K_S1L_EUlS1K_E_NS1_11comp_targetILNS1_3genE5ELNS1_11target_archE942ELNS1_3gpuE9ELNS1_3repE0EEENS1_30default_config_static_selectorELNS0_4arch9wavefront6targetE1EEEvSY_,@function
_ZN7rocprim17ROCPRIM_400000_NS6detail17trampoline_kernelINS0_13select_configILj256ELj13ELNS0_17block_load_methodE3ELS4_3ELS4_3ELNS0_20block_scan_algorithmE0ELj4294967295EEENS1_25partition_config_selectorILNS1_17partition_subalgoE3EjNS0_10empty_typeEbEEZZNS1_14partition_implILS8_3ELb0ES6_jNS0_17counting_iteratorIjlEEPS9_SE_NS0_5tupleIJPjSE_EEENSF_IJSE_SE_EEES9_SG_JZNS1_25segmented_radix_sort_implINS0_14default_configELb0EPKsPsPKlPlN2at6native12_GLOBAL__N_18offset_tEEE10hipError_tPvRmT1_PNSt15iterator_traitsISY_E10value_typeET2_T3_PNSZ_IS14_E10value_typeET4_jRbjT5_S1A_jjP12ihipStream_tbEUljE_EEESV_SW_SX_S14_S18_S1A_T6_T7_T9_mT8_S1C_bDpT10_ENKUlT_T0_E_clISt17integral_constantIbLb1EES1P_EEDaS1K_S1L_EUlS1K_E_NS1_11comp_targetILNS1_3genE5ELNS1_11target_archE942ELNS1_3gpuE9ELNS1_3repE0EEENS1_30default_config_static_selectorELNS0_4arch9wavefront6targetE1EEEvSY_: ; @_ZN7rocprim17ROCPRIM_400000_NS6detail17trampoline_kernelINS0_13select_configILj256ELj13ELNS0_17block_load_methodE3ELS4_3ELS4_3ELNS0_20block_scan_algorithmE0ELj4294967295EEENS1_25partition_config_selectorILNS1_17partition_subalgoE3EjNS0_10empty_typeEbEEZZNS1_14partition_implILS8_3ELb0ES6_jNS0_17counting_iteratorIjlEEPS9_SE_NS0_5tupleIJPjSE_EEENSF_IJSE_SE_EEES9_SG_JZNS1_25segmented_radix_sort_implINS0_14default_configELb0EPKsPsPKlPlN2at6native12_GLOBAL__N_18offset_tEEE10hipError_tPvRmT1_PNSt15iterator_traitsISY_E10value_typeET2_T3_PNSZ_IS14_E10value_typeET4_jRbjT5_S1A_jjP12ihipStream_tbEUljE_EEESV_SW_SX_S14_S18_S1A_T6_T7_T9_mT8_S1C_bDpT10_ENKUlT_T0_E_clISt17integral_constantIbLb1EES1P_EEDaS1K_S1L_EUlS1K_E_NS1_11comp_targetILNS1_3genE5ELNS1_11target_archE942ELNS1_3gpuE9ELNS1_3repE0EEENS1_30default_config_static_selectorELNS0_4arch9wavefront6targetE1EEEvSY_
; %bb.0:
	.section	.rodata,"a",@progbits
	.p2align	6, 0x0
	.amdhsa_kernel _ZN7rocprim17ROCPRIM_400000_NS6detail17trampoline_kernelINS0_13select_configILj256ELj13ELNS0_17block_load_methodE3ELS4_3ELS4_3ELNS0_20block_scan_algorithmE0ELj4294967295EEENS1_25partition_config_selectorILNS1_17partition_subalgoE3EjNS0_10empty_typeEbEEZZNS1_14partition_implILS8_3ELb0ES6_jNS0_17counting_iteratorIjlEEPS9_SE_NS0_5tupleIJPjSE_EEENSF_IJSE_SE_EEES9_SG_JZNS1_25segmented_radix_sort_implINS0_14default_configELb0EPKsPsPKlPlN2at6native12_GLOBAL__N_18offset_tEEE10hipError_tPvRmT1_PNSt15iterator_traitsISY_E10value_typeET2_T3_PNSZ_IS14_E10value_typeET4_jRbjT5_S1A_jjP12ihipStream_tbEUljE_EEESV_SW_SX_S14_S18_S1A_T6_T7_T9_mT8_S1C_bDpT10_ENKUlT_T0_E_clISt17integral_constantIbLb1EES1P_EEDaS1K_S1L_EUlS1K_E_NS1_11comp_targetILNS1_3genE5ELNS1_11target_archE942ELNS1_3gpuE9ELNS1_3repE0EEENS1_30default_config_static_selectorELNS0_4arch9wavefront6targetE1EEEvSY_
		.amdhsa_group_segment_fixed_size 0
		.amdhsa_private_segment_fixed_size 0
		.amdhsa_kernarg_size 152
		.amdhsa_user_sgpr_count 6
		.amdhsa_user_sgpr_private_segment_buffer 1
		.amdhsa_user_sgpr_dispatch_ptr 0
		.amdhsa_user_sgpr_queue_ptr 0
		.amdhsa_user_sgpr_kernarg_segment_ptr 1
		.amdhsa_user_sgpr_dispatch_id 0
		.amdhsa_user_sgpr_flat_scratch_init 0
		.amdhsa_user_sgpr_private_segment_size 0
		.amdhsa_uses_dynamic_stack 0
		.amdhsa_system_sgpr_private_segment_wavefront_offset 0
		.amdhsa_system_sgpr_workgroup_id_x 1
		.amdhsa_system_sgpr_workgroup_id_y 0
		.amdhsa_system_sgpr_workgroup_id_z 0
		.amdhsa_system_sgpr_workgroup_info 0
		.amdhsa_system_vgpr_workitem_id 0
		.amdhsa_next_free_vgpr 1
		.amdhsa_next_free_sgpr 0
		.amdhsa_reserve_vcc 0
		.amdhsa_reserve_flat_scratch 0
		.amdhsa_float_round_mode_32 0
		.amdhsa_float_round_mode_16_64 0
		.amdhsa_float_denorm_mode_32 3
		.amdhsa_float_denorm_mode_16_64 3
		.amdhsa_dx10_clamp 1
		.amdhsa_ieee_mode 1
		.amdhsa_fp16_overflow 0
		.amdhsa_exception_fp_ieee_invalid_op 0
		.amdhsa_exception_fp_denorm_src 0
		.amdhsa_exception_fp_ieee_div_zero 0
		.amdhsa_exception_fp_ieee_overflow 0
		.amdhsa_exception_fp_ieee_underflow 0
		.amdhsa_exception_fp_ieee_inexact 0
		.amdhsa_exception_int_div_zero 0
	.end_amdhsa_kernel
	.section	.text._ZN7rocprim17ROCPRIM_400000_NS6detail17trampoline_kernelINS0_13select_configILj256ELj13ELNS0_17block_load_methodE3ELS4_3ELS4_3ELNS0_20block_scan_algorithmE0ELj4294967295EEENS1_25partition_config_selectorILNS1_17partition_subalgoE3EjNS0_10empty_typeEbEEZZNS1_14partition_implILS8_3ELb0ES6_jNS0_17counting_iteratorIjlEEPS9_SE_NS0_5tupleIJPjSE_EEENSF_IJSE_SE_EEES9_SG_JZNS1_25segmented_radix_sort_implINS0_14default_configELb0EPKsPsPKlPlN2at6native12_GLOBAL__N_18offset_tEEE10hipError_tPvRmT1_PNSt15iterator_traitsISY_E10value_typeET2_T3_PNSZ_IS14_E10value_typeET4_jRbjT5_S1A_jjP12ihipStream_tbEUljE_EEESV_SW_SX_S14_S18_S1A_T6_T7_T9_mT8_S1C_bDpT10_ENKUlT_T0_E_clISt17integral_constantIbLb1EES1P_EEDaS1K_S1L_EUlS1K_E_NS1_11comp_targetILNS1_3genE5ELNS1_11target_archE942ELNS1_3gpuE9ELNS1_3repE0EEENS1_30default_config_static_selectorELNS0_4arch9wavefront6targetE1EEEvSY_,"axG",@progbits,_ZN7rocprim17ROCPRIM_400000_NS6detail17trampoline_kernelINS0_13select_configILj256ELj13ELNS0_17block_load_methodE3ELS4_3ELS4_3ELNS0_20block_scan_algorithmE0ELj4294967295EEENS1_25partition_config_selectorILNS1_17partition_subalgoE3EjNS0_10empty_typeEbEEZZNS1_14partition_implILS8_3ELb0ES6_jNS0_17counting_iteratorIjlEEPS9_SE_NS0_5tupleIJPjSE_EEENSF_IJSE_SE_EEES9_SG_JZNS1_25segmented_radix_sort_implINS0_14default_configELb0EPKsPsPKlPlN2at6native12_GLOBAL__N_18offset_tEEE10hipError_tPvRmT1_PNSt15iterator_traitsISY_E10value_typeET2_T3_PNSZ_IS14_E10value_typeET4_jRbjT5_S1A_jjP12ihipStream_tbEUljE_EEESV_SW_SX_S14_S18_S1A_T6_T7_T9_mT8_S1C_bDpT10_ENKUlT_T0_E_clISt17integral_constantIbLb1EES1P_EEDaS1K_S1L_EUlS1K_E_NS1_11comp_targetILNS1_3genE5ELNS1_11target_archE942ELNS1_3gpuE9ELNS1_3repE0EEENS1_30default_config_static_selectorELNS0_4arch9wavefront6targetE1EEEvSY_,comdat
.Lfunc_end991:
	.size	_ZN7rocprim17ROCPRIM_400000_NS6detail17trampoline_kernelINS0_13select_configILj256ELj13ELNS0_17block_load_methodE3ELS4_3ELS4_3ELNS0_20block_scan_algorithmE0ELj4294967295EEENS1_25partition_config_selectorILNS1_17partition_subalgoE3EjNS0_10empty_typeEbEEZZNS1_14partition_implILS8_3ELb0ES6_jNS0_17counting_iteratorIjlEEPS9_SE_NS0_5tupleIJPjSE_EEENSF_IJSE_SE_EEES9_SG_JZNS1_25segmented_radix_sort_implINS0_14default_configELb0EPKsPsPKlPlN2at6native12_GLOBAL__N_18offset_tEEE10hipError_tPvRmT1_PNSt15iterator_traitsISY_E10value_typeET2_T3_PNSZ_IS14_E10value_typeET4_jRbjT5_S1A_jjP12ihipStream_tbEUljE_EEESV_SW_SX_S14_S18_S1A_T6_T7_T9_mT8_S1C_bDpT10_ENKUlT_T0_E_clISt17integral_constantIbLb1EES1P_EEDaS1K_S1L_EUlS1K_E_NS1_11comp_targetILNS1_3genE5ELNS1_11target_archE942ELNS1_3gpuE9ELNS1_3repE0EEENS1_30default_config_static_selectorELNS0_4arch9wavefront6targetE1EEEvSY_, .Lfunc_end991-_ZN7rocprim17ROCPRIM_400000_NS6detail17trampoline_kernelINS0_13select_configILj256ELj13ELNS0_17block_load_methodE3ELS4_3ELS4_3ELNS0_20block_scan_algorithmE0ELj4294967295EEENS1_25partition_config_selectorILNS1_17partition_subalgoE3EjNS0_10empty_typeEbEEZZNS1_14partition_implILS8_3ELb0ES6_jNS0_17counting_iteratorIjlEEPS9_SE_NS0_5tupleIJPjSE_EEENSF_IJSE_SE_EEES9_SG_JZNS1_25segmented_radix_sort_implINS0_14default_configELb0EPKsPsPKlPlN2at6native12_GLOBAL__N_18offset_tEEE10hipError_tPvRmT1_PNSt15iterator_traitsISY_E10value_typeET2_T3_PNSZ_IS14_E10value_typeET4_jRbjT5_S1A_jjP12ihipStream_tbEUljE_EEESV_SW_SX_S14_S18_S1A_T6_T7_T9_mT8_S1C_bDpT10_ENKUlT_T0_E_clISt17integral_constantIbLb1EES1P_EEDaS1K_S1L_EUlS1K_E_NS1_11comp_targetILNS1_3genE5ELNS1_11target_archE942ELNS1_3gpuE9ELNS1_3repE0EEENS1_30default_config_static_selectorELNS0_4arch9wavefront6targetE1EEEvSY_
                                        ; -- End function
	.set _ZN7rocprim17ROCPRIM_400000_NS6detail17trampoline_kernelINS0_13select_configILj256ELj13ELNS0_17block_load_methodE3ELS4_3ELS4_3ELNS0_20block_scan_algorithmE0ELj4294967295EEENS1_25partition_config_selectorILNS1_17partition_subalgoE3EjNS0_10empty_typeEbEEZZNS1_14partition_implILS8_3ELb0ES6_jNS0_17counting_iteratorIjlEEPS9_SE_NS0_5tupleIJPjSE_EEENSF_IJSE_SE_EEES9_SG_JZNS1_25segmented_radix_sort_implINS0_14default_configELb0EPKsPsPKlPlN2at6native12_GLOBAL__N_18offset_tEEE10hipError_tPvRmT1_PNSt15iterator_traitsISY_E10value_typeET2_T3_PNSZ_IS14_E10value_typeET4_jRbjT5_S1A_jjP12ihipStream_tbEUljE_EEESV_SW_SX_S14_S18_S1A_T6_T7_T9_mT8_S1C_bDpT10_ENKUlT_T0_E_clISt17integral_constantIbLb1EES1P_EEDaS1K_S1L_EUlS1K_E_NS1_11comp_targetILNS1_3genE5ELNS1_11target_archE942ELNS1_3gpuE9ELNS1_3repE0EEENS1_30default_config_static_selectorELNS0_4arch9wavefront6targetE1EEEvSY_.num_vgpr, 0
	.set _ZN7rocprim17ROCPRIM_400000_NS6detail17trampoline_kernelINS0_13select_configILj256ELj13ELNS0_17block_load_methodE3ELS4_3ELS4_3ELNS0_20block_scan_algorithmE0ELj4294967295EEENS1_25partition_config_selectorILNS1_17partition_subalgoE3EjNS0_10empty_typeEbEEZZNS1_14partition_implILS8_3ELb0ES6_jNS0_17counting_iteratorIjlEEPS9_SE_NS0_5tupleIJPjSE_EEENSF_IJSE_SE_EEES9_SG_JZNS1_25segmented_radix_sort_implINS0_14default_configELb0EPKsPsPKlPlN2at6native12_GLOBAL__N_18offset_tEEE10hipError_tPvRmT1_PNSt15iterator_traitsISY_E10value_typeET2_T3_PNSZ_IS14_E10value_typeET4_jRbjT5_S1A_jjP12ihipStream_tbEUljE_EEESV_SW_SX_S14_S18_S1A_T6_T7_T9_mT8_S1C_bDpT10_ENKUlT_T0_E_clISt17integral_constantIbLb1EES1P_EEDaS1K_S1L_EUlS1K_E_NS1_11comp_targetILNS1_3genE5ELNS1_11target_archE942ELNS1_3gpuE9ELNS1_3repE0EEENS1_30default_config_static_selectorELNS0_4arch9wavefront6targetE1EEEvSY_.num_agpr, 0
	.set _ZN7rocprim17ROCPRIM_400000_NS6detail17trampoline_kernelINS0_13select_configILj256ELj13ELNS0_17block_load_methodE3ELS4_3ELS4_3ELNS0_20block_scan_algorithmE0ELj4294967295EEENS1_25partition_config_selectorILNS1_17partition_subalgoE3EjNS0_10empty_typeEbEEZZNS1_14partition_implILS8_3ELb0ES6_jNS0_17counting_iteratorIjlEEPS9_SE_NS0_5tupleIJPjSE_EEENSF_IJSE_SE_EEES9_SG_JZNS1_25segmented_radix_sort_implINS0_14default_configELb0EPKsPsPKlPlN2at6native12_GLOBAL__N_18offset_tEEE10hipError_tPvRmT1_PNSt15iterator_traitsISY_E10value_typeET2_T3_PNSZ_IS14_E10value_typeET4_jRbjT5_S1A_jjP12ihipStream_tbEUljE_EEESV_SW_SX_S14_S18_S1A_T6_T7_T9_mT8_S1C_bDpT10_ENKUlT_T0_E_clISt17integral_constantIbLb1EES1P_EEDaS1K_S1L_EUlS1K_E_NS1_11comp_targetILNS1_3genE5ELNS1_11target_archE942ELNS1_3gpuE9ELNS1_3repE0EEENS1_30default_config_static_selectorELNS0_4arch9wavefront6targetE1EEEvSY_.numbered_sgpr, 0
	.set _ZN7rocprim17ROCPRIM_400000_NS6detail17trampoline_kernelINS0_13select_configILj256ELj13ELNS0_17block_load_methodE3ELS4_3ELS4_3ELNS0_20block_scan_algorithmE0ELj4294967295EEENS1_25partition_config_selectorILNS1_17partition_subalgoE3EjNS0_10empty_typeEbEEZZNS1_14partition_implILS8_3ELb0ES6_jNS0_17counting_iteratorIjlEEPS9_SE_NS0_5tupleIJPjSE_EEENSF_IJSE_SE_EEES9_SG_JZNS1_25segmented_radix_sort_implINS0_14default_configELb0EPKsPsPKlPlN2at6native12_GLOBAL__N_18offset_tEEE10hipError_tPvRmT1_PNSt15iterator_traitsISY_E10value_typeET2_T3_PNSZ_IS14_E10value_typeET4_jRbjT5_S1A_jjP12ihipStream_tbEUljE_EEESV_SW_SX_S14_S18_S1A_T6_T7_T9_mT8_S1C_bDpT10_ENKUlT_T0_E_clISt17integral_constantIbLb1EES1P_EEDaS1K_S1L_EUlS1K_E_NS1_11comp_targetILNS1_3genE5ELNS1_11target_archE942ELNS1_3gpuE9ELNS1_3repE0EEENS1_30default_config_static_selectorELNS0_4arch9wavefront6targetE1EEEvSY_.num_named_barrier, 0
	.set _ZN7rocprim17ROCPRIM_400000_NS6detail17trampoline_kernelINS0_13select_configILj256ELj13ELNS0_17block_load_methodE3ELS4_3ELS4_3ELNS0_20block_scan_algorithmE0ELj4294967295EEENS1_25partition_config_selectorILNS1_17partition_subalgoE3EjNS0_10empty_typeEbEEZZNS1_14partition_implILS8_3ELb0ES6_jNS0_17counting_iteratorIjlEEPS9_SE_NS0_5tupleIJPjSE_EEENSF_IJSE_SE_EEES9_SG_JZNS1_25segmented_radix_sort_implINS0_14default_configELb0EPKsPsPKlPlN2at6native12_GLOBAL__N_18offset_tEEE10hipError_tPvRmT1_PNSt15iterator_traitsISY_E10value_typeET2_T3_PNSZ_IS14_E10value_typeET4_jRbjT5_S1A_jjP12ihipStream_tbEUljE_EEESV_SW_SX_S14_S18_S1A_T6_T7_T9_mT8_S1C_bDpT10_ENKUlT_T0_E_clISt17integral_constantIbLb1EES1P_EEDaS1K_S1L_EUlS1K_E_NS1_11comp_targetILNS1_3genE5ELNS1_11target_archE942ELNS1_3gpuE9ELNS1_3repE0EEENS1_30default_config_static_selectorELNS0_4arch9wavefront6targetE1EEEvSY_.private_seg_size, 0
	.set _ZN7rocprim17ROCPRIM_400000_NS6detail17trampoline_kernelINS0_13select_configILj256ELj13ELNS0_17block_load_methodE3ELS4_3ELS4_3ELNS0_20block_scan_algorithmE0ELj4294967295EEENS1_25partition_config_selectorILNS1_17partition_subalgoE3EjNS0_10empty_typeEbEEZZNS1_14partition_implILS8_3ELb0ES6_jNS0_17counting_iteratorIjlEEPS9_SE_NS0_5tupleIJPjSE_EEENSF_IJSE_SE_EEES9_SG_JZNS1_25segmented_radix_sort_implINS0_14default_configELb0EPKsPsPKlPlN2at6native12_GLOBAL__N_18offset_tEEE10hipError_tPvRmT1_PNSt15iterator_traitsISY_E10value_typeET2_T3_PNSZ_IS14_E10value_typeET4_jRbjT5_S1A_jjP12ihipStream_tbEUljE_EEESV_SW_SX_S14_S18_S1A_T6_T7_T9_mT8_S1C_bDpT10_ENKUlT_T0_E_clISt17integral_constantIbLb1EES1P_EEDaS1K_S1L_EUlS1K_E_NS1_11comp_targetILNS1_3genE5ELNS1_11target_archE942ELNS1_3gpuE9ELNS1_3repE0EEENS1_30default_config_static_selectorELNS0_4arch9wavefront6targetE1EEEvSY_.uses_vcc, 0
	.set _ZN7rocprim17ROCPRIM_400000_NS6detail17trampoline_kernelINS0_13select_configILj256ELj13ELNS0_17block_load_methodE3ELS4_3ELS4_3ELNS0_20block_scan_algorithmE0ELj4294967295EEENS1_25partition_config_selectorILNS1_17partition_subalgoE3EjNS0_10empty_typeEbEEZZNS1_14partition_implILS8_3ELb0ES6_jNS0_17counting_iteratorIjlEEPS9_SE_NS0_5tupleIJPjSE_EEENSF_IJSE_SE_EEES9_SG_JZNS1_25segmented_radix_sort_implINS0_14default_configELb0EPKsPsPKlPlN2at6native12_GLOBAL__N_18offset_tEEE10hipError_tPvRmT1_PNSt15iterator_traitsISY_E10value_typeET2_T3_PNSZ_IS14_E10value_typeET4_jRbjT5_S1A_jjP12ihipStream_tbEUljE_EEESV_SW_SX_S14_S18_S1A_T6_T7_T9_mT8_S1C_bDpT10_ENKUlT_T0_E_clISt17integral_constantIbLb1EES1P_EEDaS1K_S1L_EUlS1K_E_NS1_11comp_targetILNS1_3genE5ELNS1_11target_archE942ELNS1_3gpuE9ELNS1_3repE0EEENS1_30default_config_static_selectorELNS0_4arch9wavefront6targetE1EEEvSY_.uses_flat_scratch, 0
	.set _ZN7rocprim17ROCPRIM_400000_NS6detail17trampoline_kernelINS0_13select_configILj256ELj13ELNS0_17block_load_methodE3ELS4_3ELS4_3ELNS0_20block_scan_algorithmE0ELj4294967295EEENS1_25partition_config_selectorILNS1_17partition_subalgoE3EjNS0_10empty_typeEbEEZZNS1_14partition_implILS8_3ELb0ES6_jNS0_17counting_iteratorIjlEEPS9_SE_NS0_5tupleIJPjSE_EEENSF_IJSE_SE_EEES9_SG_JZNS1_25segmented_radix_sort_implINS0_14default_configELb0EPKsPsPKlPlN2at6native12_GLOBAL__N_18offset_tEEE10hipError_tPvRmT1_PNSt15iterator_traitsISY_E10value_typeET2_T3_PNSZ_IS14_E10value_typeET4_jRbjT5_S1A_jjP12ihipStream_tbEUljE_EEESV_SW_SX_S14_S18_S1A_T6_T7_T9_mT8_S1C_bDpT10_ENKUlT_T0_E_clISt17integral_constantIbLb1EES1P_EEDaS1K_S1L_EUlS1K_E_NS1_11comp_targetILNS1_3genE5ELNS1_11target_archE942ELNS1_3gpuE9ELNS1_3repE0EEENS1_30default_config_static_selectorELNS0_4arch9wavefront6targetE1EEEvSY_.has_dyn_sized_stack, 0
	.set _ZN7rocprim17ROCPRIM_400000_NS6detail17trampoline_kernelINS0_13select_configILj256ELj13ELNS0_17block_load_methodE3ELS4_3ELS4_3ELNS0_20block_scan_algorithmE0ELj4294967295EEENS1_25partition_config_selectorILNS1_17partition_subalgoE3EjNS0_10empty_typeEbEEZZNS1_14partition_implILS8_3ELb0ES6_jNS0_17counting_iteratorIjlEEPS9_SE_NS0_5tupleIJPjSE_EEENSF_IJSE_SE_EEES9_SG_JZNS1_25segmented_radix_sort_implINS0_14default_configELb0EPKsPsPKlPlN2at6native12_GLOBAL__N_18offset_tEEE10hipError_tPvRmT1_PNSt15iterator_traitsISY_E10value_typeET2_T3_PNSZ_IS14_E10value_typeET4_jRbjT5_S1A_jjP12ihipStream_tbEUljE_EEESV_SW_SX_S14_S18_S1A_T6_T7_T9_mT8_S1C_bDpT10_ENKUlT_T0_E_clISt17integral_constantIbLb1EES1P_EEDaS1K_S1L_EUlS1K_E_NS1_11comp_targetILNS1_3genE5ELNS1_11target_archE942ELNS1_3gpuE9ELNS1_3repE0EEENS1_30default_config_static_selectorELNS0_4arch9wavefront6targetE1EEEvSY_.has_recursion, 0
	.set _ZN7rocprim17ROCPRIM_400000_NS6detail17trampoline_kernelINS0_13select_configILj256ELj13ELNS0_17block_load_methodE3ELS4_3ELS4_3ELNS0_20block_scan_algorithmE0ELj4294967295EEENS1_25partition_config_selectorILNS1_17partition_subalgoE3EjNS0_10empty_typeEbEEZZNS1_14partition_implILS8_3ELb0ES6_jNS0_17counting_iteratorIjlEEPS9_SE_NS0_5tupleIJPjSE_EEENSF_IJSE_SE_EEES9_SG_JZNS1_25segmented_radix_sort_implINS0_14default_configELb0EPKsPsPKlPlN2at6native12_GLOBAL__N_18offset_tEEE10hipError_tPvRmT1_PNSt15iterator_traitsISY_E10value_typeET2_T3_PNSZ_IS14_E10value_typeET4_jRbjT5_S1A_jjP12ihipStream_tbEUljE_EEESV_SW_SX_S14_S18_S1A_T6_T7_T9_mT8_S1C_bDpT10_ENKUlT_T0_E_clISt17integral_constantIbLb1EES1P_EEDaS1K_S1L_EUlS1K_E_NS1_11comp_targetILNS1_3genE5ELNS1_11target_archE942ELNS1_3gpuE9ELNS1_3repE0EEENS1_30default_config_static_selectorELNS0_4arch9wavefront6targetE1EEEvSY_.has_indirect_call, 0
	.section	.AMDGPU.csdata,"",@progbits
; Kernel info:
; codeLenInByte = 0
; TotalNumSgprs: 4
; NumVgprs: 0
; ScratchSize: 0
; MemoryBound: 0
; FloatMode: 240
; IeeeMode: 1
; LDSByteSize: 0 bytes/workgroup (compile time only)
; SGPRBlocks: 0
; VGPRBlocks: 0
; NumSGPRsForWavesPerEU: 4
; NumVGPRsForWavesPerEU: 1
; Occupancy: 10
; WaveLimiterHint : 0
; COMPUTE_PGM_RSRC2:SCRATCH_EN: 0
; COMPUTE_PGM_RSRC2:USER_SGPR: 6
; COMPUTE_PGM_RSRC2:TRAP_HANDLER: 0
; COMPUTE_PGM_RSRC2:TGID_X_EN: 1
; COMPUTE_PGM_RSRC2:TGID_Y_EN: 0
; COMPUTE_PGM_RSRC2:TGID_Z_EN: 0
; COMPUTE_PGM_RSRC2:TIDIG_COMP_CNT: 0
	.section	.text._ZN7rocprim17ROCPRIM_400000_NS6detail17trampoline_kernelINS0_13select_configILj256ELj13ELNS0_17block_load_methodE3ELS4_3ELS4_3ELNS0_20block_scan_algorithmE0ELj4294967295EEENS1_25partition_config_selectorILNS1_17partition_subalgoE3EjNS0_10empty_typeEbEEZZNS1_14partition_implILS8_3ELb0ES6_jNS0_17counting_iteratorIjlEEPS9_SE_NS0_5tupleIJPjSE_EEENSF_IJSE_SE_EEES9_SG_JZNS1_25segmented_radix_sort_implINS0_14default_configELb0EPKsPsPKlPlN2at6native12_GLOBAL__N_18offset_tEEE10hipError_tPvRmT1_PNSt15iterator_traitsISY_E10value_typeET2_T3_PNSZ_IS14_E10value_typeET4_jRbjT5_S1A_jjP12ihipStream_tbEUljE_EEESV_SW_SX_S14_S18_S1A_T6_T7_T9_mT8_S1C_bDpT10_ENKUlT_T0_E_clISt17integral_constantIbLb1EES1P_EEDaS1K_S1L_EUlS1K_E_NS1_11comp_targetILNS1_3genE4ELNS1_11target_archE910ELNS1_3gpuE8ELNS1_3repE0EEENS1_30default_config_static_selectorELNS0_4arch9wavefront6targetE1EEEvSY_,"axG",@progbits,_ZN7rocprim17ROCPRIM_400000_NS6detail17trampoline_kernelINS0_13select_configILj256ELj13ELNS0_17block_load_methodE3ELS4_3ELS4_3ELNS0_20block_scan_algorithmE0ELj4294967295EEENS1_25partition_config_selectorILNS1_17partition_subalgoE3EjNS0_10empty_typeEbEEZZNS1_14partition_implILS8_3ELb0ES6_jNS0_17counting_iteratorIjlEEPS9_SE_NS0_5tupleIJPjSE_EEENSF_IJSE_SE_EEES9_SG_JZNS1_25segmented_radix_sort_implINS0_14default_configELb0EPKsPsPKlPlN2at6native12_GLOBAL__N_18offset_tEEE10hipError_tPvRmT1_PNSt15iterator_traitsISY_E10value_typeET2_T3_PNSZ_IS14_E10value_typeET4_jRbjT5_S1A_jjP12ihipStream_tbEUljE_EEESV_SW_SX_S14_S18_S1A_T6_T7_T9_mT8_S1C_bDpT10_ENKUlT_T0_E_clISt17integral_constantIbLb1EES1P_EEDaS1K_S1L_EUlS1K_E_NS1_11comp_targetILNS1_3genE4ELNS1_11target_archE910ELNS1_3gpuE8ELNS1_3repE0EEENS1_30default_config_static_selectorELNS0_4arch9wavefront6targetE1EEEvSY_,comdat
	.globl	_ZN7rocprim17ROCPRIM_400000_NS6detail17trampoline_kernelINS0_13select_configILj256ELj13ELNS0_17block_load_methodE3ELS4_3ELS4_3ELNS0_20block_scan_algorithmE0ELj4294967295EEENS1_25partition_config_selectorILNS1_17partition_subalgoE3EjNS0_10empty_typeEbEEZZNS1_14partition_implILS8_3ELb0ES6_jNS0_17counting_iteratorIjlEEPS9_SE_NS0_5tupleIJPjSE_EEENSF_IJSE_SE_EEES9_SG_JZNS1_25segmented_radix_sort_implINS0_14default_configELb0EPKsPsPKlPlN2at6native12_GLOBAL__N_18offset_tEEE10hipError_tPvRmT1_PNSt15iterator_traitsISY_E10value_typeET2_T3_PNSZ_IS14_E10value_typeET4_jRbjT5_S1A_jjP12ihipStream_tbEUljE_EEESV_SW_SX_S14_S18_S1A_T6_T7_T9_mT8_S1C_bDpT10_ENKUlT_T0_E_clISt17integral_constantIbLb1EES1P_EEDaS1K_S1L_EUlS1K_E_NS1_11comp_targetILNS1_3genE4ELNS1_11target_archE910ELNS1_3gpuE8ELNS1_3repE0EEENS1_30default_config_static_selectorELNS0_4arch9wavefront6targetE1EEEvSY_ ; -- Begin function _ZN7rocprim17ROCPRIM_400000_NS6detail17trampoline_kernelINS0_13select_configILj256ELj13ELNS0_17block_load_methodE3ELS4_3ELS4_3ELNS0_20block_scan_algorithmE0ELj4294967295EEENS1_25partition_config_selectorILNS1_17partition_subalgoE3EjNS0_10empty_typeEbEEZZNS1_14partition_implILS8_3ELb0ES6_jNS0_17counting_iteratorIjlEEPS9_SE_NS0_5tupleIJPjSE_EEENSF_IJSE_SE_EEES9_SG_JZNS1_25segmented_radix_sort_implINS0_14default_configELb0EPKsPsPKlPlN2at6native12_GLOBAL__N_18offset_tEEE10hipError_tPvRmT1_PNSt15iterator_traitsISY_E10value_typeET2_T3_PNSZ_IS14_E10value_typeET4_jRbjT5_S1A_jjP12ihipStream_tbEUljE_EEESV_SW_SX_S14_S18_S1A_T6_T7_T9_mT8_S1C_bDpT10_ENKUlT_T0_E_clISt17integral_constantIbLb1EES1P_EEDaS1K_S1L_EUlS1K_E_NS1_11comp_targetILNS1_3genE4ELNS1_11target_archE910ELNS1_3gpuE8ELNS1_3repE0EEENS1_30default_config_static_selectorELNS0_4arch9wavefront6targetE1EEEvSY_
	.p2align	8
	.type	_ZN7rocprim17ROCPRIM_400000_NS6detail17trampoline_kernelINS0_13select_configILj256ELj13ELNS0_17block_load_methodE3ELS4_3ELS4_3ELNS0_20block_scan_algorithmE0ELj4294967295EEENS1_25partition_config_selectorILNS1_17partition_subalgoE3EjNS0_10empty_typeEbEEZZNS1_14partition_implILS8_3ELb0ES6_jNS0_17counting_iteratorIjlEEPS9_SE_NS0_5tupleIJPjSE_EEENSF_IJSE_SE_EEES9_SG_JZNS1_25segmented_radix_sort_implINS0_14default_configELb0EPKsPsPKlPlN2at6native12_GLOBAL__N_18offset_tEEE10hipError_tPvRmT1_PNSt15iterator_traitsISY_E10value_typeET2_T3_PNSZ_IS14_E10value_typeET4_jRbjT5_S1A_jjP12ihipStream_tbEUljE_EEESV_SW_SX_S14_S18_S1A_T6_T7_T9_mT8_S1C_bDpT10_ENKUlT_T0_E_clISt17integral_constantIbLb1EES1P_EEDaS1K_S1L_EUlS1K_E_NS1_11comp_targetILNS1_3genE4ELNS1_11target_archE910ELNS1_3gpuE8ELNS1_3repE0EEENS1_30default_config_static_selectorELNS0_4arch9wavefront6targetE1EEEvSY_,@function
_ZN7rocprim17ROCPRIM_400000_NS6detail17trampoline_kernelINS0_13select_configILj256ELj13ELNS0_17block_load_methodE3ELS4_3ELS4_3ELNS0_20block_scan_algorithmE0ELj4294967295EEENS1_25partition_config_selectorILNS1_17partition_subalgoE3EjNS0_10empty_typeEbEEZZNS1_14partition_implILS8_3ELb0ES6_jNS0_17counting_iteratorIjlEEPS9_SE_NS0_5tupleIJPjSE_EEENSF_IJSE_SE_EEES9_SG_JZNS1_25segmented_radix_sort_implINS0_14default_configELb0EPKsPsPKlPlN2at6native12_GLOBAL__N_18offset_tEEE10hipError_tPvRmT1_PNSt15iterator_traitsISY_E10value_typeET2_T3_PNSZ_IS14_E10value_typeET4_jRbjT5_S1A_jjP12ihipStream_tbEUljE_EEESV_SW_SX_S14_S18_S1A_T6_T7_T9_mT8_S1C_bDpT10_ENKUlT_T0_E_clISt17integral_constantIbLb1EES1P_EEDaS1K_S1L_EUlS1K_E_NS1_11comp_targetILNS1_3genE4ELNS1_11target_archE910ELNS1_3gpuE8ELNS1_3repE0EEENS1_30default_config_static_selectorELNS0_4arch9wavefront6targetE1EEEvSY_: ; @_ZN7rocprim17ROCPRIM_400000_NS6detail17trampoline_kernelINS0_13select_configILj256ELj13ELNS0_17block_load_methodE3ELS4_3ELS4_3ELNS0_20block_scan_algorithmE0ELj4294967295EEENS1_25partition_config_selectorILNS1_17partition_subalgoE3EjNS0_10empty_typeEbEEZZNS1_14partition_implILS8_3ELb0ES6_jNS0_17counting_iteratorIjlEEPS9_SE_NS0_5tupleIJPjSE_EEENSF_IJSE_SE_EEES9_SG_JZNS1_25segmented_radix_sort_implINS0_14default_configELb0EPKsPsPKlPlN2at6native12_GLOBAL__N_18offset_tEEE10hipError_tPvRmT1_PNSt15iterator_traitsISY_E10value_typeET2_T3_PNSZ_IS14_E10value_typeET4_jRbjT5_S1A_jjP12ihipStream_tbEUljE_EEESV_SW_SX_S14_S18_S1A_T6_T7_T9_mT8_S1C_bDpT10_ENKUlT_T0_E_clISt17integral_constantIbLb1EES1P_EEDaS1K_S1L_EUlS1K_E_NS1_11comp_targetILNS1_3genE4ELNS1_11target_archE910ELNS1_3gpuE8ELNS1_3repE0EEENS1_30default_config_static_selectorELNS0_4arch9wavefront6targetE1EEEvSY_
; %bb.0:
	.section	.rodata,"a",@progbits
	.p2align	6, 0x0
	.amdhsa_kernel _ZN7rocprim17ROCPRIM_400000_NS6detail17trampoline_kernelINS0_13select_configILj256ELj13ELNS0_17block_load_methodE3ELS4_3ELS4_3ELNS0_20block_scan_algorithmE0ELj4294967295EEENS1_25partition_config_selectorILNS1_17partition_subalgoE3EjNS0_10empty_typeEbEEZZNS1_14partition_implILS8_3ELb0ES6_jNS0_17counting_iteratorIjlEEPS9_SE_NS0_5tupleIJPjSE_EEENSF_IJSE_SE_EEES9_SG_JZNS1_25segmented_radix_sort_implINS0_14default_configELb0EPKsPsPKlPlN2at6native12_GLOBAL__N_18offset_tEEE10hipError_tPvRmT1_PNSt15iterator_traitsISY_E10value_typeET2_T3_PNSZ_IS14_E10value_typeET4_jRbjT5_S1A_jjP12ihipStream_tbEUljE_EEESV_SW_SX_S14_S18_S1A_T6_T7_T9_mT8_S1C_bDpT10_ENKUlT_T0_E_clISt17integral_constantIbLb1EES1P_EEDaS1K_S1L_EUlS1K_E_NS1_11comp_targetILNS1_3genE4ELNS1_11target_archE910ELNS1_3gpuE8ELNS1_3repE0EEENS1_30default_config_static_selectorELNS0_4arch9wavefront6targetE1EEEvSY_
		.amdhsa_group_segment_fixed_size 0
		.amdhsa_private_segment_fixed_size 0
		.amdhsa_kernarg_size 152
		.amdhsa_user_sgpr_count 6
		.amdhsa_user_sgpr_private_segment_buffer 1
		.amdhsa_user_sgpr_dispatch_ptr 0
		.amdhsa_user_sgpr_queue_ptr 0
		.amdhsa_user_sgpr_kernarg_segment_ptr 1
		.amdhsa_user_sgpr_dispatch_id 0
		.amdhsa_user_sgpr_flat_scratch_init 0
		.amdhsa_user_sgpr_private_segment_size 0
		.amdhsa_uses_dynamic_stack 0
		.amdhsa_system_sgpr_private_segment_wavefront_offset 0
		.amdhsa_system_sgpr_workgroup_id_x 1
		.amdhsa_system_sgpr_workgroup_id_y 0
		.amdhsa_system_sgpr_workgroup_id_z 0
		.amdhsa_system_sgpr_workgroup_info 0
		.amdhsa_system_vgpr_workitem_id 0
		.amdhsa_next_free_vgpr 1
		.amdhsa_next_free_sgpr 0
		.amdhsa_reserve_vcc 0
		.amdhsa_reserve_flat_scratch 0
		.amdhsa_float_round_mode_32 0
		.amdhsa_float_round_mode_16_64 0
		.amdhsa_float_denorm_mode_32 3
		.amdhsa_float_denorm_mode_16_64 3
		.amdhsa_dx10_clamp 1
		.amdhsa_ieee_mode 1
		.amdhsa_fp16_overflow 0
		.amdhsa_exception_fp_ieee_invalid_op 0
		.amdhsa_exception_fp_denorm_src 0
		.amdhsa_exception_fp_ieee_div_zero 0
		.amdhsa_exception_fp_ieee_overflow 0
		.amdhsa_exception_fp_ieee_underflow 0
		.amdhsa_exception_fp_ieee_inexact 0
		.amdhsa_exception_int_div_zero 0
	.end_amdhsa_kernel
	.section	.text._ZN7rocprim17ROCPRIM_400000_NS6detail17trampoline_kernelINS0_13select_configILj256ELj13ELNS0_17block_load_methodE3ELS4_3ELS4_3ELNS0_20block_scan_algorithmE0ELj4294967295EEENS1_25partition_config_selectorILNS1_17partition_subalgoE3EjNS0_10empty_typeEbEEZZNS1_14partition_implILS8_3ELb0ES6_jNS0_17counting_iteratorIjlEEPS9_SE_NS0_5tupleIJPjSE_EEENSF_IJSE_SE_EEES9_SG_JZNS1_25segmented_radix_sort_implINS0_14default_configELb0EPKsPsPKlPlN2at6native12_GLOBAL__N_18offset_tEEE10hipError_tPvRmT1_PNSt15iterator_traitsISY_E10value_typeET2_T3_PNSZ_IS14_E10value_typeET4_jRbjT5_S1A_jjP12ihipStream_tbEUljE_EEESV_SW_SX_S14_S18_S1A_T6_T7_T9_mT8_S1C_bDpT10_ENKUlT_T0_E_clISt17integral_constantIbLb1EES1P_EEDaS1K_S1L_EUlS1K_E_NS1_11comp_targetILNS1_3genE4ELNS1_11target_archE910ELNS1_3gpuE8ELNS1_3repE0EEENS1_30default_config_static_selectorELNS0_4arch9wavefront6targetE1EEEvSY_,"axG",@progbits,_ZN7rocprim17ROCPRIM_400000_NS6detail17trampoline_kernelINS0_13select_configILj256ELj13ELNS0_17block_load_methodE3ELS4_3ELS4_3ELNS0_20block_scan_algorithmE0ELj4294967295EEENS1_25partition_config_selectorILNS1_17partition_subalgoE3EjNS0_10empty_typeEbEEZZNS1_14partition_implILS8_3ELb0ES6_jNS0_17counting_iteratorIjlEEPS9_SE_NS0_5tupleIJPjSE_EEENSF_IJSE_SE_EEES9_SG_JZNS1_25segmented_radix_sort_implINS0_14default_configELb0EPKsPsPKlPlN2at6native12_GLOBAL__N_18offset_tEEE10hipError_tPvRmT1_PNSt15iterator_traitsISY_E10value_typeET2_T3_PNSZ_IS14_E10value_typeET4_jRbjT5_S1A_jjP12ihipStream_tbEUljE_EEESV_SW_SX_S14_S18_S1A_T6_T7_T9_mT8_S1C_bDpT10_ENKUlT_T0_E_clISt17integral_constantIbLb1EES1P_EEDaS1K_S1L_EUlS1K_E_NS1_11comp_targetILNS1_3genE4ELNS1_11target_archE910ELNS1_3gpuE8ELNS1_3repE0EEENS1_30default_config_static_selectorELNS0_4arch9wavefront6targetE1EEEvSY_,comdat
.Lfunc_end992:
	.size	_ZN7rocprim17ROCPRIM_400000_NS6detail17trampoline_kernelINS0_13select_configILj256ELj13ELNS0_17block_load_methodE3ELS4_3ELS4_3ELNS0_20block_scan_algorithmE0ELj4294967295EEENS1_25partition_config_selectorILNS1_17partition_subalgoE3EjNS0_10empty_typeEbEEZZNS1_14partition_implILS8_3ELb0ES6_jNS0_17counting_iteratorIjlEEPS9_SE_NS0_5tupleIJPjSE_EEENSF_IJSE_SE_EEES9_SG_JZNS1_25segmented_radix_sort_implINS0_14default_configELb0EPKsPsPKlPlN2at6native12_GLOBAL__N_18offset_tEEE10hipError_tPvRmT1_PNSt15iterator_traitsISY_E10value_typeET2_T3_PNSZ_IS14_E10value_typeET4_jRbjT5_S1A_jjP12ihipStream_tbEUljE_EEESV_SW_SX_S14_S18_S1A_T6_T7_T9_mT8_S1C_bDpT10_ENKUlT_T0_E_clISt17integral_constantIbLb1EES1P_EEDaS1K_S1L_EUlS1K_E_NS1_11comp_targetILNS1_3genE4ELNS1_11target_archE910ELNS1_3gpuE8ELNS1_3repE0EEENS1_30default_config_static_selectorELNS0_4arch9wavefront6targetE1EEEvSY_, .Lfunc_end992-_ZN7rocprim17ROCPRIM_400000_NS6detail17trampoline_kernelINS0_13select_configILj256ELj13ELNS0_17block_load_methodE3ELS4_3ELS4_3ELNS0_20block_scan_algorithmE0ELj4294967295EEENS1_25partition_config_selectorILNS1_17partition_subalgoE3EjNS0_10empty_typeEbEEZZNS1_14partition_implILS8_3ELb0ES6_jNS0_17counting_iteratorIjlEEPS9_SE_NS0_5tupleIJPjSE_EEENSF_IJSE_SE_EEES9_SG_JZNS1_25segmented_radix_sort_implINS0_14default_configELb0EPKsPsPKlPlN2at6native12_GLOBAL__N_18offset_tEEE10hipError_tPvRmT1_PNSt15iterator_traitsISY_E10value_typeET2_T3_PNSZ_IS14_E10value_typeET4_jRbjT5_S1A_jjP12ihipStream_tbEUljE_EEESV_SW_SX_S14_S18_S1A_T6_T7_T9_mT8_S1C_bDpT10_ENKUlT_T0_E_clISt17integral_constantIbLb1EES1P_EEDaS1K_S1L_EUlS1K_E_NS1_11comp_targetILNS1_3genE4ELNS1_11target_archE910ELNS1_3gpuE8ELNS1_3repE0EEENS1_30default_config_static_selectorELNS0_4arch9wavefront6targetE1EEEvSY_
                                        ; -- End function
	.set _ZN7rocprim17ROCPRIM_400000_NS6detail17trampoline_kernelINS0_13select_configILj256ELj13ELNS0_17block_load_methodE3ELS4_3ELS4_3ELNS0_20block_scan_algorithmE0ELj4294967295EEENS1_25partition_config_selectorILNS1_17partition_subalgoE3EjNS0_10empty_typeEbEEZZNS1_14partition_implILS8_3ELb0ES6_jNS0_17counting_iteratorIjlEEPS9_SE_NS0_5tupleIJPjSE_EEENSF_IJSE_SE_EEES9_SG_JZNS1_25segmented_radix_sort_implINS0_14default_configELb0EPKsPsPKlPlN2at6native12_GLOBAL__N_18offset_tEEE10hipError_tPvRmT1_PNSt15iterator_traitsISY_E10value_typeET2_T3_PNSZ_IS14_E10value_typeET4_jRbjT5_S1A_jjP12ihipStream_tbEUljE_EEESV_SW_SX_S14_S18_S1A_T6_T7_T9_mT8_S1C_bDpT10_ENKUlT_T0_E_clISt17integral_constantIbLb1EES1P_EEDaS1K_S1L_EUlS1K_E_NS1_11comp_targetILNS1_3genE4ELNS1_11target_archE910ELNS1_3gpuE8ELNS1_3repE0EEENS1_30default_config_static_selectorELNS0_4arch9wavefront6targetE1EEEvSY_.num_vgpr, 0
	.set _ZN7rocprim17ROCPRIM_400000_NS6detail17trampoline_kernelINS0_13select_configILj256ELj13ELNS0_17block_load_methodE3ELS4_3ELS4_3ELNS0_20block_scan_algorithmE0ELj4294967295EEENS1_25partition_config_selectorILNS1_17partition_subalgoE3EjNS0_10empty_typeEbEEZZNS1_14partition_implILS8_3ELb0ES6_jNS0_17counting_iteratorIjlEEPS9_SE_NS0_5tupleIJPjSE_EEENSF_IJSE_SE_EEES9_SG_JZNS1_25segmented_radix_sort_implINS0_14default_configELb0EPKsPsPKlPlN2at6native12_GLOBAL__N_18offset_tEEE10hipError_tPvRmT1_PNSt15iterator_traitsISY_E10value_typeET2_T3_PNSZ_IS14_E10value_typeET4_jRbjT5_S1A_jjP12ihipStream_tbEUljE_EEESV_SW_SX_S14_S18_S1A_T6_T7_T9_mT8_S1C_bDpT10_ENKUlT_T0_E_clISt17integral_constantIbLb1EES1P_EEDaS1K_S1L_EUlS1K_E_NS1_11comp_targetILNS1_3genE4ELNS1_11target_archE910ELNS1_3gpuE8ELNS1_3repE0EEENS1_30default_config_static_selectorELNS0_4arch9wavefront6targetE1EEEvSY_.num_agpr, 0
	.set _ZN7rocprim17ROCPRIM_400000_NS6detail17trampoline_kernelINS0_13select_configILj256ELj13ELNS0_17block_load_methodE3ELS4_3ELS4_3ELNS0_20block_scan_algorithmE0ELj4294967295EEENS1_25partition_config_selectorILNS1_17partition_subalgoE3EjNS0_10empty_typeEbEEZZNS1_14partition_implILS8_3ELb0ES6_jNS0_17counting_iteratorIjlEEPS9_SE_NS0_5tupleIJPjSE_EEENSF_IJSE_SE_EEES9_SG_JZNS1_25segmented_radix_sort_implINS0_14default_configELb0EPKsPsPKlPlN2at6native12_GLOBAL__N_18offset_tEEE10hipError_tPvRmT1_PNSt15iterator_traitsISY_E10value_typeET2_T3_PNSZ_IS14_E10value_typeET4_jRbjT5_S1A_jjP12ihipStream_tbEUljE_EEESV_SW_SX_S14_S18_S1A_T6_T7_T9_mT8_S1C_bDpT10_ENKUlT_T0_E_clISt17integral_constantIbLb1EES1P_EEDaS1K_S1L_EUlS1K_E_NS1_11comp_targetILNS1_3genE4ELNS1_11target_archE910ELNS1_3gpuE8ELNS1_3repE0EEENS1_30default_config_static_selectorELNS0_4arch9wavefront6targetE1EEEvSY_.numbered_sgpr, 0
	.set _ZN7rocprim17ROCPRIM_400000_NS6detail17trampoline_kernelINS0_13select_configILj256ELj13ELNS0_17block_load_methodE3ELS4_3ELS4_3ELNS0_20block_scan_algorithmE0ELj4294967295EEENS1_25partition_config_selectorILNS1_17partition_subalgoE3EjNS0_10empty_typeEbEEZZNS1_14partition_implILS8_3ELb0ES6_jNS0_17counting_iteratorIjlEEPS9_SE_NS0_5tupleIJPjSE_EEENSF_IJSE_SE_EEES9_SG_JZNS1_25segmented_radix_sort_implINS0_14default_configELb0EPKsPsPKlPlN2at6native12_GLOBAL__N_18offset_tEEE10hipError_tPvRmT1_PNSt15iterator_traitsISY_E10value_typeET2_T3_PNSZ_IS14_E10value_typeET4_jRbjT5_S1A_jjP12ihipStream_tbEUljE_EEESV_SW_SX_S14_S18_S1A_T6_T7_T9_mT8_S1C_bDpT10_ENKUlT_T0_E_clISt17integral_constantIbLb1EES1P_EEDaS1K_S1L_EUlS1K_E_NS1_11comp_targetILNS1_3genE4ELNS1_11target_archE910ELNS1_3gpuE8ELNS1_3repE0EEENS1_30default_config_static_selectorELNS0_4arch9wavefront6targetE1EEEvSY_.num_named_barrier, 0
	.set _ZN7rocprim17ROCPRIM_400000_NS6detail17trampoline_kernelINS0_13select_configILj256ELj13ELNS0_17block_load_methodE3ELS4_3ELS4_3ELNS0_20block_scan_algorithmE0ELj4294967295EEENS1_25partition_config_selectorILNS1_17partition_subalgoE3EjNS0_10empty_typeEbEEZZNS1_14partition_implILS8_3ELb0ES6_jNS0_17counting_iteratorIjlEEPS9_SE_NS0_5tupleIJPjSE_EEENSF_IJSE_SE_EEES9_SG_JZNS1_25segmented_radix_sort_implINS0_14default_configELb0EPKsPsPKlPlN2at6native12_GLOBAL__N_18offset_tEEE10hipError_tPvRmT1_PNSt15iterator_traitsISY_E10value_typeET2_T3_PNSZ_IS14_E10value_typeET4_jRbjT5_S1A_jjP12ihipStream_tbEUljE_EEESV_SW_SX_S14_S18_S1A_T6_T7_T9_mT8_S1C_bDpT10_ENKUlT_T0_E_clISt17integral_constantIbLb1EES1P_EEDaS1K_S1L_EUlS1K_E_NS1_11comp_targetILNS1_3genE4ELNS1_11target_archE910ELNS1_3gpuE8ELNS1_3repE0EEENS1_30default_config_static_selectorELNS0_4arch9wavefront6targetE1EEEvSY_.private_seg_size, 0
	.set _ZN7rocprim17ROCPRIM_400000_NS6detail17trampoline_kernelINS0_13select_configILj256ELj13ELNS0_17block_load_methodE3ELS4_3ELS4_3ELNS0_20block_scan_algorithmE0ELj4294967295EEENS1_25partition_config_selectorILNS1_17partition_subalgoE3EjNS0_10empty_typeEbEEZZNS1_14partition_implILS8_3ELb0ES6_jNS0_17counting_iteratorIjlEEPS9_SE_NS0_5tupleIJPjSE_EEENSF_IJSE_SE_EEES9_SG_JZNS1_25segmented_radix_sort_implINS0_14default_configELb0EPKsPsPKlPlN2at6native12_GLOBAL__N_18offset_tEEE10hipError_tPvRmT1_PNSt15iterator_traitsISY_E10value_typeET2_T3_PNSZ_IS14_E10value_typeET4_jRbjT5_S1A_jjP12ihipStream_tbEUljE_EEESV_SW_SX_S14_S18_S1A_T6_T7_T9_mT8_S1C_bDpT10_ENKUlT_T0_E_clISt17integral_constantIbLb1EES1P_EEDaS1K_S1L_EUlS1K_E_NS1_11comp_targetILNS1_3genE4ELNS1_11target_archE910ELNS1_3gpuE8ELNS1_3repE0EEENS1_30default_config_static_selectorELNS0_4arch9wavefront6targetE1EEEvSY_.uses_vcc, 0
	.set _ZN7rocprim17ROCPRIM_400000_NS6detail17trampoline_kernelINS0_13select_configILj256ELj13ELNS0_17block_load_methodE3ELS4_3ELS4_3ELNS0_20block_scan_algorithmE0ELj4294967295EEENS1_25partition_config_selectorILNS1_17partition_subalgoE3EjNS0_10empty_typeEbEEZZNS1_14partition_implILS8_3ELb0ES6_jNS0_17counting_iteratorIjlEEPS9_SE_NS0_5tupleIJPjSE_EEENSF_IJSE_SE_EEES9_SG_JZNS1_25segmented_radix_sort_implINS0_14default_configELb0EPKsPsPKlPlN2at6native12_GLOBAL__N_18offset_tEEE10hipError_tPvRmT1_PNSt15iterator_traitsISY_E10value_typeET2_T3_PNSZ_IS14_E10value_typeET4_jRbjT5_S1A_jjP12ihipStream_tbEUljE_EEESV_SW_SX_S14_S18_S1A_T6_T7_T9_mT8_S1C_bDpT10_ENKUlT_T0_E_clISt17integral_constantIbLb1EES1P_EEDaS1K_S1L_EUlS1K_E_NS1_11comp_targetILNS1_3genE4ELNS1_11target_archE910ELNS1_3gpuE8ELNS1_3repE0EEENS1_30default_config_static_selectorELNS0_4arch9wavefront6targetE1EEEvSY_.uses_flat_scratch, 0
	.set _ZN7rocprim17ROCPRIM_400000_NS6detail17trampoline_kernelINS0_13select_configILj256ELj13ELNS0_17block_load_methodE3ELS4_3ELS4_3ELNS0_20block_scan_algorithmE0ELj4294967295EEENS1_25partition_config_selectorILNS1_17partition_subalgoE3EjNS0_10empty_typeEbEEZZNS1_14partition_implILS8_3ELb0ES6_jNS0_17counting_iteratorIjlEEPS9_SE_NS0_5tupleIJPjSE_EEENSF_IJSE_SE_EEES9_SG_JZNS1_25segmented_radix_sort_implINS0_14default_configELb0EPKsPsPKlPlN2at6native12_GLOBAL__N_18offset_tEEE10hipError_tPvRmT1_PNSt15iterator_traitsISY_E10value_typeET2_T3_PNSZ_IS14_E10value_typeET4_jRbjT5_S1A_jjP12ihipStream_tbEUljE_EEESV_SW_SX_S14_S18_S1A_T6_T7_T9_mT8_S1C_bDpT10_ENKUlT_T0_E_clISt17integral_constantIbLb1EES1P_EEDaS1K_S1L_EUlS1K_E_NS1_11comp_targetILNS1_3genE4ELNS1_11target_archE910ELNS1_3gpuE8ELNS1_3repE0EEENS1_30default_config_static_selectorELNS0_4arch9wavefront6targetE1EEEvSY_.has_dyn_sized_stack, 0
	.set _ZN7rocprim17ROCPRIM_400000_NS6detail17trampoline_kernelINS0_13select_configILj256ELj13ELNS0_17block_load_methodE3ELS4_3ELS4_3ELNS0_20block_scan_algorithmE0ELj4294967295EEENS1_25partition_config_selectorILNS1_17partition_subalgoE3EjNS0_10empty_typeEbEEZZNS1_14partition_implILS8_3ELb0ES6_jNS0_17counting_iteratorIjlEEPS9_SE_NS0_5tupleIJPjSE_EEENSF_IJSE_SE_EEES9_SG_JZNS1_25segmented_radix_sort_implINS0_14default_configELb0EPKsPsPKlPlN2at6native12_GLOBAL__N_18offset_tEEE10hipError_tPvRmT1_PNSt15iterator_traitsISY_E10value_typeET2_T3_PNSZ_IS14_E10value_typeET4_jRbjT5_S1A_jjP12ihipStream_tbEUljE_EEESV_SW_SX_S14_S18_S1A_T6_T7_T9_mT8_S1C_bDpT10_ENKUlT_T0_E_clISt17integral_constantIbLb1EES1P_EEDaS1K_S1L_EUlS1K_E_NS1_11comp_targetILNS1_3genE4ELNS1_11target_archE910ELNS1_3gpuE8ELNS1_3repE0EEENS1_30default_config_static_selectorELNS0_4arch9wavefront6targetE1EEEvSY_.has_recursion, 0
	.set _ZN7rocprim17ROCPRIM_400000_NS6detail17trampoline_kernelINS0_13select_configILj256ELj13ELNS0_17block_load_methodE3ELS4_3ELS4_3ELNS0_20block_scan_algorithmE0ELj4294967295EEENS1_25partition_config_selectorILNS1_17partition_subalgoE3EjNS0_10empty_typeEbEEZZNS1_14partition_implILS8_3ELb0ES6_jNS0_17counting_iteratorIjlEEPS9_SE_NS0_5tupleIJPjSE_EEENSF_IJSE_SE_EEES9_SG_JZNS1_25segmented_radix_sort_implINS0_14default_configELb0EPKsPsPKlPlN2at6native12_GLOBAL__N_18offset_tEEE10hipError_tPvRmT1_PNSt15iterator_traitsISY_E10value_typeET2_T3_PNSZ_IS14_E10value_typeET4_jRbjT5_S1A_jjP12ihipStream_tbEUljE_EEESV_SW_SX_S14_S18_S1A_T6_T7_T9_mT8_S1C_bDpT10_ENKUlT_T0_E_clISt17integral_constantIbLb1EES1P_EEDaS1K_S1L_EUlS1K_E_NS1_11comp_targetILNS1_3genE4ELNS1_11target_archE910ELNS1_3gpuE8ELNS1_3repE0EEENS1_30default_config_static_selectorELNS0_4arch9wavefront6targetE1EEEvSY_.has_indirect_call, 0
	.section	.AMDGPU.csdata,"",@progbits
; Kernel info:
; codeLenInByte = 0
; TotalNumSgprs: 4
; NumVgprs: 0
; ScratchSize: 0
; MemoryBound: 0
; FloatMode: 240
; IeeeMode: 1
; LDSByteSize: 0 bytes/workgroup (compile time only)
; SGPRBlocks: 0
; VGPRBlocks: 0
; NumSGPRsForWavesPerEU: 4
; NumVGPRsForWavesPerEU: 1
; Occupancy: 10
; WaveLimiterHint : 0
; COMPUTE_PGM_RSRC2:SCRATCH_EN: 0
; COMPUTE_PGM_RSRC2:USER_SGPR: 6
; COMPUTE_PGM_RSRC2:TRAP_HANDLER: 0
; COMPUTE_PGM_RSRC2:TGID_X_EN: 1
; COMPUTE_PGM_RSRC2:TGID_Y_EN: 0
; COMPUTE_PGM_RSRC2:TGID_Z_EN: 0
; COMPUTE_PGM_RSRC2:TIDIG_COMP_CNT: 0
	.section	.text._ZN7rocprim17ROCPRIM_400000_NS6detail17trampoline_kernelINS0_13select_configILj256ELj13ELNS0_17block_load_methodE3ELS4_3ELS4_3ELNS0_20block_scan_algorithmE0ELj4294967295EEENS1_25partition_config_selectorILNS1_17partition_subalgoE3EjNS0_10empty_typeEbEEZZNS1_14partition_implILS8_3ELb0ES6_jNS0_17counting_iteratorIjlEEPS9_SE_NS0_5tupleIJPjSE_EEENSF_IJSE_SE_EEES9_SG_JZNS1_25segmented_radix_sort_implINS0_14default_configELb0EPKsPsPKlPlN2at6native12_GLOBAL__N_18offset_tEEE10hipError_tPvRmT1_PNSt15iterator_traitsISY_E10value_typeET2_T3_PNSZ_IS14_E10value_typeET4_jRbjT5_S1A_jjP12ihipStream_tbEUljE_EEESV_SW_SX_S14_S18_S1A_T6_T7_T9_mT8_S1C_bDpT10_ENKUlT_T0_E_clISt17integral_constantIbLb1EES1P_EEDaS1K_S1L_EUlS1K_E_NS1_11comp_targetILNS1_3genE3ELNS1_11target_archE908ELNS1_3gpuE7ELNS1_3repE0EEENS1_30default_config_static_selectorELNS0_4arch9wavefront6targetE1EEEvSY_,"axG",@progbits,_ZN7rocprim17ROCPRIM_400000_NS6detail17trampoline_kernelINS0_13select_configILj256ELj13ELNS0_17block_load_methodE3ELS4_3ELS4_3ELNS0_20block_scan_algorithmE0ELj4294967295EEENS1_25partition_config_selectorILNS1_17partition_subalgoE3EjNS0_10empty_typeEbEEZZNS1_14partition_implILS8_3ELb0ES6_jNS0_17counting_iteratorIjlEEPS9_SE_NS0_5tupleIJPjSE_EEENSF_IJSE_SE_EEES9_SG_JZNS1_25segmented_radix_sort_implINS0_14default_configELb0EPKsPsPKlPlN2at6native12_GLOBAL__N_18offset_tEEE10hipError_tPvRmT1_PNSt15iterator_traitsISY_E10value_typeET2_T3_PNSZ_IS14_E10value_typeET4_jRbjT5_S1A_jjP12ihipStream_tbEUljE_EEESV_SW_SX_S14_S18_S1A_T6_T7_T9_mT8_S1C_bDpT10_ENKUlT_T0_E_clISt17integral_constantIbLb1EES1P_EEDaS1K_S1L_EUlS1K_E_NS1_11comp_targetILNS1_3genE3ELNS1_11target_archE908ELNS1_3gpuE7ELNS1_3repE0EEENS1_30default_config_static_selectorELNS0_4arch9wavefront6targetE1EEEvSY_,comdat
	.globl	_ZN7rocprim17ROCPRIM_400000_NS6detail17trampoline_kernelINS0_13select_configILj256ELj13ELNS0_17block_load_methodE3ELS4_3ELS4_3ELNS0_20block_scan_algorithmE0ELj4294967295EEENS1_25partition_config_selectorILNS1_17partition_subalgoE3EjNS0_10empty_typeEbEEZZNS1_14partition_implILS8_3ELb0ES6_jNS0_17counting_iteratorIjlEEPS9_SE_NS0_5tupleIJPjSE_EEENSF_IJSE_SE_EEES9_SG_JZNS1_25segmented_radix_sort_implINS0_14default_configELb0EPKsPsPKlPlN2at6native12_GLOBAL__N_18offset_tEEE10hipError_tPvRmT1_PNSt15iterator_traitsISY_E10value_typeET2_T3_PNSZ_IS14_E10value_typeET4_jRbjT5_S1A_jjP12ihipStream_tbEUljE_EEESV_SW_SX_S14_S18_S1A_T6_T7_T9_mT8_S1C_bDpT10_ENKUlT_T0_E_clISt17integral_constantIbLb1EES1P_EEDaS1K_S1L_EUlS1K_E_NS1_11comp_targetILNS1_3genE3ELNS1_11target_archE908ELNS1_3gpuE7ELNS1_3repE0EEENS1_30default_config_static_selectorELNS0_4arch9wavefront6targetE1EEEvSY_ ; -- Begin function _ZN7rocprim17ROCPRIM_400000_NS6detail17trampoline_kernelINS0_13select_configILj256ELj13ELNS0_17block_load_methodE3ELS4_3ELS4_3ELNS0_20block_scan_algorithmE0ELj4294967295EEENS1_25partition_config_selectorILNS1_17partition_subalgoE3EjNS0_10empty_typeEbEEZZNS1_14partition_implILS8_3ELb0ES6_jNS0_17counting_iteratorIjlEEPS9_SE_NS0_5tupleIJPjSE_EEENSF_IJSE_SE_EEES9_SG_JZNS1_25segmented_radix_sort_implINS0_14default_configELb0EPKsPsPKlPlN2at6native12_GLOBAL__N_18offset_tEEE10hipError_tPvRmT1_PNSt15iterator_traitsISY_E10value_typeET2_T3_PNSZ_IS14_E10value_typeET4_jRbjT5_S1A_jjP12ihipStream_tbEUljE_EEESV_SW_SX_S14_S18_S1A_T6_T7_T9_mT8_S1C_bDpT10_ENKUlT_T0_E_clISt17integral_constantIbLb1EES1P_EEDaS1K_S1L_EUlS1K_E_NS1_11comp_targetILNS1_3genE3ELNS1_11target_archE908ELNS1_3gpuE7ELNS1_3repE0EEENS1_30default_config_static_selectorELNS0_4arch9wavefront6targetE1EEEvSY_
	.p2align	8
	.type	_ZN7rocprim17ROCPRIM_400000_NS6detail17trampoline_kernelINS0_13select_configILj256ELj13ELNS0_17block_load_methodE3ELS4_3ELS4_3ELNS0_20block_scan_algorithmE0ELj4294967295EEENS1_25partition_config_selectorILNS1_17partition_subalgoE3EjNS0_10empty_typeEbEEZZNS1_14partition_implILS8_3ELb0ES6_jNS0_17counting_iteratorIjlEEPS9_SE_NS0_5tupleIJPjSE_EEENSF_IJSE_SE_EEES9_SG_JZNS1_25segmented_radix_sort_implINS0_14default_configELb0EPKsPsPKlPlN2at6native12_GLOBAL__N_18offset_tEEE10hipError_tPvRmT1_PNSt15iterator_traitsISY_E10value_typeET2_T3_PNSZ_IS14_E10value_typeET4_jRbjT5_S1A_jjP12ihipStream_tbEUljE_EEESV_SW_SX_S14_S18_S1A_T6_T7_T9_mT8_S1C_bDpT10_ENKUlT_T0_E_clISt17integral_constantIbLb1EES1P_EEDaS1K_S1L_EUlS1K_E_NS1_11comp_targetILNS1_3genE3ELNS1_11target_archE908ELNS1_3gpuE7ELNS1_3repE0EEENS1_30default_config_static_selectorELNS0_4arch9wavefront6targetE1EEEvSY_,@function
_ZN7rocprim17ROCPRIM_400000_NS6detail17trampoline_kernelINS0_13select_configILj256ELj13ELNS0_17block_load_methodE3ELS4_3ELS4_3ELNS0_20block_scan_algorithmE0ELj4294967295EEENS1_25partition_config_selectorILNS1_17partition_subalgoE3EjNS0_10empty_typeEbEEZZNS1_14partition_implILS8_3ELb0ES6_jNS0_17counting_iteratorIjlEEPS9_SE_NS0_5tupleIJPjSE_EEENSF_IJSE_SE_EEES9_SG_JZNS1_25segmented_radix_sort_implINS0_14default_configELb0EPKsPsPKlPlN2at6native12_GLOBAL__N_18offset_tEEE10hipError_tPvRmT1_PNSt15iterator_traitsISY_E10value_typeET2_T3_PNSZ_IS14_E10value_typeET4_jRbjT5_S1A_jjP12ihipStream_tbEUljE_EEESV_SW_SX_S14_S18_S1A_T6_T7_T9_mT8_S1C_bDpT10_ENKUlT_T0_E_clISt17integral_constantIbLb1EES1P_EEDaS1K_S1L_EUlS1K_E_NS1_11comp_targetILNS1_3genE3ELNS1_11target_archE908ELNS1_3gpuE7ELNS1_3repE0EEENS1_30default_config_static_selectorELNS0_4arch9wavefront6targetE1EEEvSY_: ; @_ZN7rocprim17ROCPRIM_400000_NS6detail17trampoline_kernelINS0_13select_configILj256ELj13ELNS0_17block_load_methodE3ELS4_3ELS4_3ELNS0_20block_scan_algorithmE0ELj4294967295EEENS1_25partition_config_selectorILNS1_17partition_subalgoE3EjNS0_10empty_typeEbEEZZNS1_14partition_implILS8_3ELb0ES6_jNS0_17counting_iteratorIjlEEPS9_SE_NS0_5tupleIJPjSE_EEENSF_IJSE_SE_EEES9_SG_JZNS1_25segmented_radix_sort_implINS0_14default_configELb0EPKsPsPKlPlN2at6native12_GLOBAL__N_18offset_tEEE10hipError_tPvRmT1_PNSt15iterator_traitsISY_E10value_typeET2_T3_PNSZ_IS14_E10value_typeET4_jRbjT5_S1A_jjP12ihipStream_tbEUljE_EEESV_SW_SX_S14_S18_S1A_T6_T7_T9_mT8_S1C_bDpT10_ENKUlT_T0_E_clISt17integral_constantIbLb1EES1P_EEDaS1K_S1L_EUlS1K_E_NS1_11comp_targetILNS1_3genE3ELNS1_11target_archE908ELNS1_3gpuE7ELNS1_3repE0EEENS1_30default_config_static_selectorELNS0_4arch9wavefront6targetE1EEEvSY_
; %bb.0:
	.section	.rodata,"a",@progbits
	.p2align	6, 0x0
	.amdhsa_kernel _ZN7rocprim17ROCPRIM_400000_NS6detail17trampoline_kernelINS0_13select_configILj256ELj13ELNS0_17block_load_methodE3ELS4_3ELS4_3ELNS0_20block_scan_algorithmE0ELj4294967295EEENS1_25partition_config_selectorILNS1_17partition_subalgoE3EjNS0_10empty_typeEbEEZZNS1_14partition_implILS8_3ELb0ES6_jNS0_17counting_iteratorIjlEEPS9_SE_NS0_5tupleIJPjSE_EEENSF_IJSE_SE_EEES9_SG_JZNS1_25segmented_radix_sort_implINS0_14default_configELb0EPKsPsPKlPlN2at6native12_GLOBAL__N_18offset_tEEE10hipError_tPvRmT1_PNSt15iterator_traitsISY_E10value_typeET2_T3_PNSZ_IS14_E10value_typeET4_jRbjT5_S1A_jjP12ihipStream_tbEUljE_EEESV_SW_SX_S14_S18_S1A_T6_T7_T9_mT8_S1C_bDpT10_ENKUlT_T0_E_clISt17integral_constantIbLb1EES1P_EEDaS1K_S1L_EUlS1K_E_NS1_11comp_targetILNS1_3genE3ELNS1_11target_archE908ELNS1_3gpuE7ELNS1_3repE0EEENS1_30default_config_static_selectorELNS0_4arch9wavefront6targetE1EEEvSY_
		.amdhsa_group_segment_fixed_size 0
		.amdhsa_private_segment_fixed_size 0
		.amdhsa_kernarg_size 152
		.amdhsa_user_sgpr_count 6
		.amdhsa_user_sgpr_private_segment_buffer 1
		.amdhsa_user_sgpr_dispatch_ptr 0
		.amdhsa_user_sgpr_queue_ptr 0
		.amdhsa_user_sgpr_kernarg_segment_ptr 1
		.amdhsa_user_sgpr_dispatch_id 0
		.amdhsa_user_sgpr_flat_scratch_init 0
		.amdhsa_user_sgpr_private_segment_size 0
		.amdhsa_uses_dynamic_stack 0
		.amdhsa_system_sgpr_private_segment_wavefront_offset 0
		.amdhsa_system_sgpr_workgroup_id_x 1
		.amdhsa_system_sgpr_workgroup_id_y 0
		.amdhsa_system_sgpr_workgroup_id_z 0
		.amdhsa_system_sgpr_workgroup_info 0
		.amdhsa_system_vgpr_workitem_id 0
		.amdhsa_next_free_vgpr 1
		.amdhsa_next_free_sgpr 0
		.amdhsa_reserve_vcc 0
		.amdhsa_reserve_flat_scratch 0
		.amdhsa_float_round_mode_32 0
		.amdhsa_float_round_mode_16_64 0
		.amdhsa_float_denorm_mode_32 3
		.amdhsa_float_denorm_mode_16_64 3
		.amdhsa_dx10_clamp 1
		.amdhsa_ieee_mode 1
		.amdhsa_fp16_overflow 0
		.amdhsa_exception_fp_ieee_invalid_op 0
		.amdhsa_exception_fp_denorm_src 0
		.amdhsa_exception_fp_ieee_div_zero 0
		.amdhsa_exception_fp_ieee_overflow 0
		.amdhsa_exception_fp_ieee_underflow 0
		.amdhsa_exception_fp_ieee_inexact 0
		.amdhsa_exception_int_div_zero 0
	.end_amdhsa_kernel
	.section	.text._ZN7rocprim17ROCPRIM_400000_NS6detail17trampoline_kernelINS0_13select_configILj256ELj13ELNS0_17block_load_methodE3ELS4_3ELS4_3ELNS0_20block_scan_algorithmE0ELj4294967295EEENS1_25partition_config_selectorILNS1_17partition_subalgoE3EjNS0_10empty_typeEbEEZZNS1_14partition_implILS8_3ELb0ES6_jNS0_17counting_iteratorIjlEEPS9_SE_NS0_5tupleIJPjSE_EEENSF_IJSE_SE_EEES9_SG_JZNS1_25segmented_radix_sort_implINS0_14default_configELb0EPKsPsPKlPlN2at6native12_GLOBAL__N_18offset_tEEE10hipError_tPvRmT1_PNSt15iterator_traitsISY_E10value_typeET2_T3_PNSZ_IS14_E10value_typeET4_jRbjT5_S1A_jjP12ihipStream_tbEUljE_EEESV_SW_SX_S14_S18_S1A_T6_T7_T9_mT8_S1C_bDpT10_ENKUlT_T0_E_clISt17integral_constantIbLb1EES1P_EEDaS1K_S1L_EUlS1K_E_NS1_11comp_targetILNS1_3genE3ELNS1_11target_archE908ELNS1_3gpuE7ELNS1_3repE0EEENS1_30default_config_static_selectorELNS0_4arch9wavefront6targetE1EEEvSY_,"axG",@progbits,_ZN7rocprim17ROCPRIM_400000_NS6detail17trampoline_kernelINS0_13select_configILj256ELj13ELNS0_17block_load_methodE3ELS4_3ELS4_3ELNS0_20block_scan_algorithmE0ELj4294967295EEENS1_25partition_config_selectorILNS1_17partition_subalgoE3EjNS0_10empty_typeEbEEZZNS1_14partition_implILS8_3ELb0ES6_jNS0_17counting_iteratorIjlEEPS9_SE_NS0_5tupleIJPjSE_EEENSF_IJSE_SE_EEES9_SG_JZNS1_25segmented_radix_sort_implINS0_14default_configELb0EPKsPsPKlPlN2at6native12_GLOBAL__N_18offset_tEEE10hipError_tPvRmT1_PNSt15iterator_traitsISY_E10value_typeET2_T3_PNSZ_IS14_E10value_typeET4_jRbjT5_S1A_jjP12ihipStream_tbEUljE_EEESV_SW_SX_S14_S18_S1A_T6_T7_T9_mT8_S1C_bDpT10_ENKUlT_T0_E_clISt17integral_constantIbLb1EES1P_EEDaS1K_S1L_EUlS1K_E_NS1_11comp_targetILNS1_3genE3ELNS1_11target_archE908ELNS1_3gpuE7ELNS1_3repE0EEENS1_30default_config_static_selectorELNS0_4arch9wavefront6targetE1EEEvSY_,comdat
.Lfunc_end993:
	.size	_ZN7rocprim17ROCPRIM_400000_NS6detail17trampoline_kernelINS0_13select_configILj256ELj13ELNS0_17block_load_methodE3ELS4_3ELS4_3ELNS0_20block_scan_algorithmE0ELj4294967295EEENS1_25partition_config_selectorILNS1_17partition_subalgoE3EjNS0_10empty_typeEbEEZZNS1_14partition_implILS8_3ELb0ES6_jNS0_17counting_iteratorIjlEEPS9_SE_NS0_5tupleIJPjSE_EEENSF_IJSE_SE_EEES9_SG_JZNS1_25segmented_radix_sort_implINS0_14default_configELb0EPKsPsPKlPlN2at6native12_GLOBAL__N_18offset_tEEE10hipError_tPvRmT1_PNSt15iterator_traitsISY_E10value_typeET2_T3_PNSZ_IS14_E10value_typeET4_jRbjT5_S1A_jjP12ihipStream_tbEUljE_EEESV_SW_SX_S14_S18_S1A_T6_T7_T9_mT8_S1C_bDpT10_ENKUlT_T0_E_clISt17integral_constantIbLb1EES1P_EEDaS1K_S1L_EUlS1K_E_NS1_11comp_targetILNS1_3genE3ELNS1_11target_archE908ELNS1_3gpuE7ELNS1_3repE0EEENS1_30default_config_static_selectorELNS0_4arch9wavefront6targetE1EEEvSY_, .Lfunc_end993-_ZN7rocprim17ROCPRIM_400000_NS6detail17trampoline_kernelINS0_13select_configILj256ELj13ELNS0_17block_load_methodE3ELS4_3ELS4_3ELNS0_20block_scan_algorithmE0ELj4294967295EEENS1_25partition_config_selectorILNS1_17partition_subalgoE3EjNS0_10empty_typeEbEEZZNS1_14partition_implILS8_3ELb0ES6_jNS0_17counting_iteratorIjlEEPS9_SE_NS0_5tupleIJPjSE_EEENSF_IJSE_SE_EEES9_SG_JZNS1_25segmented_radix_sort_implINS0_14default_configELb0EPKsPsPKlPlN2at6native12_GLOBAL__N_18offset_tEEE10hipError_tPvRmT1_PNSt15iterator_traitsISY_E10value_typeET2_T3_PNSZ_IS14_E10value_typeET4_jRbjT5_S1A_jjP12ihipStream_tbEUljE_EEESV_SW_SX_S14_S18_S1A_T6_T7_T9_mT8_S1C_bDpT10_ENKUlT_T0_E_clISt17integral_constantIbLb1EES1P_EEDaS1K_S1L_EUlS1K_E_NS1_11comp_targetILNS1_3genE3ELNS1_11target_archE908ELNS1_3gpuE7ELNS1_3repE0EEENS1_30default_config_static_selectorELNS0_4arch9wavefront6targetE1EEEvSY_
                                        ; -- End function
	.set _ZN7rocprim17ROCPRIM_400000_NS6detail17trampoline_kernelINS0_13select_configILj256ELj13ELNS0_17block_load_methodE3ELS4_3ELS4_3ELNS0_20block_scan_algorithmE0ELj4294967295EEENS1_25partition_config_selectorILNS1_17partition_subalgoE3EjNS0_10empty_typeEbEEZZNS1_14partition_implILS8_3ELb0ES6_jNS0_17counting_iteratorIjlEEPS9_SE_NS0_5tupleIJPjSE_EEENSF_IJSE_SE_EEES9_SG_JZNS1_25segmented_radix_sort_implINS0_14default_configELb0EPKsPsPKlPlN2at6native12_GLOBAL__N_18offset_tEEE10hipError_tPvRmT1_PNSt15iterator_traitsISY_E10value_typeET2_T3_PNSZ_IS14_E10value_typeET4_jRbjT5_S1A_jjP12ihipStream_tbEUljE_EEESV_SW_SX_S14_S18_S1A_T6_T7_T9_mT8_S1C_bDpT10_ENKUlT_T0_E_clISt17integral_constantIbLb1EES1P_EEDaS1K_S1L_EUlS1K_E_NS1_11comp_targetILNS1_3genE3ELNS1_11target_archE908ELNS1_3gpuE7ELNS1_3repE0EEENS1_30default_config_static_selectorELNS0_4arch9wavefront6targetE1EEEvSY_.num_vgpr, 0
	.set _ZN7rocprim17ROCPRIM_400000_NS6detail17trampoline_kernelINS0_13select_configILj256ELj13ELNS0_17block_load_methodE3ELS4_3ELS4_3ELNS0_20block_scan_algorithmE0ELj4294967295EEENS1_25partition_config_selectorILNS1_17partition_subalgoE3EjNS0_10empty_typeEbEEZZNS1_14partition_implILS8_3ELb0ES6_jNS0_17counting_iteratorIjlEEPS9_SE_NS0_5tupleIJPjSE_EEENSF_IJSE_SE_EEES9_SG_JZNS1_25segmented_radix_sort_implINS0_14default_configELb0EPKsPsPKlPlN2at6native12_GLOBAL__N_18offset_tEEE10hipError_tPvRmT1_PNSt15iterator_traitsISY_E10value_typeET2_T3_PNSZ_IS14_E10value_typeET4_jRbjT5_S1A_jjP12ihipStream_tbEUljE_EEESV_SW_SX_S14_S18_S1A_T6_T7_T9_mT8_S1C_bDpT10_ENKUlT_T0_E_clISt17integral_constantIbLb1EES1P_EEDaS1K_S1L_EUlS1K_E_NS1_11comp_targetILNS1_3genE3ELNS1_11target_archE908ELNS1_3gpuE7ELNS1_3repE0EEENS1_30default_config_static_selectorELNS0_4arch9wavefront6targetE1EEEvSY_.num_agpr, 0
	.set _ZN7rocprim17ROCPRIM_400000_NS6detail17trampoline_kernelINS0_13select_configILj256ELj13ELNS0_17block_load_methodE3ELS4_3ELS4_3ELNS0_20block_scan_algorithmE0ELj4294967295EEENS1_25partition_config_selectorILNS1_17partition_subalgoE3EjNS0_10empty_typeEbEEZZNS1_14partition_implILS8_3ELb0ES6_jNS0_17counting_iteratorIjlEEPS9_SE_NS0_5tupleIJPjSE_EEENSF_IJSE_SE_EEES9_SG_JZNS1_25segmented_radix_sort_implINS0_14default_configELb0EPKsPsPKlPlN2at6native12_GLOBAL__N_18offset_tEEE10hipError_tPvRmT1_PNSt15iterator_traitsISY_E10value_typeET2_T3_PNSZ_IS14_E10value_typeET4_jRbjT5_S1A_jjP12ihipStream_tbEUljE_EEESV_SW_SX_S14_S18_S1A_T6_T7_T9_mT8_S1C_bDpT10_ENKUlT_T0_E_clISt17integral_constantIbLb1EES1P_EEDaS1K_S1L_EUlS1K_E_NS1_11comp_targetILNS1_3genE3ELNS1_11target_archE908ELNS1_3gpuE7ELNS1_3repE0EEENS1_30default_config_static_selectorELNS0_4arch9wavefront6targetE1EEEvSY_.numbered_sgpr, 0
	.set _ZN7rocprim17ROCPRIM_400000_NS6detail17trampoline_kernelINS0_13select_configILj256ELj13ELNS0_17block_load_methodE3ELS4_3ELS4_3ELNS0_20block_scan_algorithmE0ELj4294967295EEENS1_25partition_config_selectorILNS1_17partition_subalgoE3EjNS0_10empty_typeEbEEZZNS1_14partition_implILS8_3ELb0ES6_jNS0_17counting_iteratorIjlEEPS9_SE_NS0_5tupleIJPjSE_EEENSF_IJSE_SE_EEES9_SG_JZNS1_25segmented_radix_sort_implINS0_14default_configELb0EPKsPsPKlPlN2at6native12_GLOBAL__N_18offset_tEEE10hipError_tPvRmT1_PNSt15iterator_traitsISY_E10value_typeET2_T3_PNSZ_IS14_E10value_typeET4_jRbjT5_S1A_jjP12ihipStream_tbEUljE_EEESV_SW_SX_S14_S18_S1A_T6_T7_T9_mT8_S1C_bDpT10_ENKUlT_T0_E_clISt17integral_constantIbLb1EES1P_EEDaS1K_S1L_EUlS1K_E_NS1_11comp_targetILNS1_3genE3ELNS1_11target_archE908ELNS1_3gpuE7ELNS1_3repE0EEENS1_30default_config_static_selectorELNS0_4arch9wavefront6targetE1EEEvSY_.num_named_barrier, 0
	.set _ZN7rocprim17ROCPRIM_400000_NS6detail17trampoline_kernelINS0_13select_configILj256ELj13ELNS0_17block_load_methodE3ELS4_3ELS4_3ELNS0_20block_scan_algorithmE0ELj4294967295EEENS1_25partition_config_selectorILNS1_17partition_subalgoE3EjNS0_10empty_typeEbEEZZNS1_14partition_implILS8_3ELb0ES6_jNS0_17counting_iteratorIjlEEPS9_SE_NS0_5tupleIJPjSE_EEENSF_IJSE_SE_EEES9_SG_JZNS1_25segmented_radix_sort_implINS0_14default_configELb0EPKsPsPKlPlN2at6native12_GLOBAL__N_18offset_tEEE10hipError_tPvRmT1_PNSt15iterator_traitsISY_E10value_typeET2_T3_PNSZ_IS14_E10value_typeET4_jRbjT5_S1A_jjP12ihipStream_tbEUljE_EEESV_SW_SX_S14_S18_S1A_T6_T7_T9_mT8_S1C_bDpT10_ENKUlT_T0_E_clISt17integral_constantIbLb1EES1P_EEDaS1K_S1L_EUlS1K_E_NS1_11comp_targetILNS1_3genE3ELNS1_11target_archE908ELNS1_3gpuE7ELNS1_3repE0EEENS1_30default_config_static_selectorELNS0_4arch9wavefront6targetE1EEEvSY_.private_seg_size, 0
	.set _ZN7rocprim17ROCPRIM_400000_NS6detail17trampoline_kernelINS0_13select_configILj256ELj13ELNS0_17block_load_methodE3ELS4_3ELS4_3ELNS0_20block_scan_algorithmE0ELj4294967295EEENS1_25partition_config_selectorILNS1_17partition_subalgoE3EjNS0_10empty_typeEbEEZZNS1_14partition_implILS8_3ELb0ES6_jNS0_17counting_iteratorIjlEEPS9_SE_NS0_5tupleIJPjSE_EEENSF_IJSE_SE_EEES9_SG_JZNS1_25segmented_radix_sort_implINS0_14default_configELb0EPKsPsPKlPlN2at6native12_GLOBAL__N_18offset_tEEE10hipError_tPvRmT1_PNSt15iterator_traitsISY_E10value_typeET2_T3_PNSZ_IS14_E10value_typeET4_jRbjT5_S1A_jjP12ihipStream_tbEUljE_EEESV_SW_SX_S14_S18_S1A_T6_T7_T9_mT8_S1C_bDpT10_ENKUlT_T0_E_clISt17integral_constantIbLb1EES1P_EEDaS1K_S1L_EUlS1K_E_NS1_11comp_targetILNS1_3genE3ELNS1_11target_archE908ELNS1_3gpuE7ELNS1_3repE0EEENS1_30default_config_static_selectorELNS0_4arch9wavefront6targetE1EEEvSY_.uses_vcc, 0
	.set _ZN7rocprim17ROCPRIM_400000_NS6detail17trampoline_kernelINS0_13select_configILj256ELj13ELNS0_17block_load_methodE3ELS4_3ELS4_3ELNS0_20block_scan_algorithmE0ELj4294967295EEENS1_25partition_config_selectorILNS1_17partition_subalgoE3EjNS0_10empty_typeEbEEZZNS1_14partition_implILS8_3ELb0ES6_jNS0_17counting_iteratorIjlEEPS9_SE_NS0_5tupleIJPjSE_EEENSF_IJSE_SE_EEES9_SG_JZNS1_25segmented_radix_sort_implINS0_14default_configELb0EPKsPsPKlPlN2at6native12_GLOBAL__N_18offset_tEEE10hipError_tPvRmT1_PNSt15iterator_traitsISY_E10value_typeET2_T3_PNSZ_IS14_E10value_typeET4_jRbjT5_S1A_jjP12ihipStream_tbEUljE_EEESV_SW_SX_S14_S18_S1A_T6_T7_T9_mT8_S1C_bDpT10_ENKUlT_T0_E_clISt17integral_constantIbLb1EES1P_EEDaS1K_S1L_EUlS1K_E_NS1_11comp_targetILNS1_3genE3ELNS1_11target_archE908ELNS1_3gpuE7ELNS1_3repE0EEENS1_30default_config_static_selectorELNS0_4arch9wavefront6targetE1EEEvSY_.uses_flat_scratch, 0
	.set _ZN7rocprim17ROCPRIM_400000_NS6detail17trampoline_kernelINS0_13select_configILj256ELj13ELNS0_17block_load_methodE3ELS4_3ELS4_3ELNS0_20block_scan_algorithmE0ELj4294967295EEENS1_25partition_config_selectorILNS1_17partition_subalgoE3EjNS0_10empty_typeEbEEZZNS1_14partition_implILS8_3ELb0ES6_jNS0_17counting_iteratorIjlEEPS9_SE_NS0_5tupleIJPjSE_EEENSF_IJSE_SE_EEES9_SG_JZNS1_25segmented_radix_sort_implINS0_14default_configELb0EPKsPsPKlPlN2at6native12_GLOBAL__N_18offset_tEEE10hipError_tPvRmT1_PNSt15iterator_traitsISY_E10value_typeET2_T3_PNSZ_IS14_E10value_typeET4_jRbjT5_S1A_jjP12ihipStream_tbEUljE_EEESV_SW_SX_S14_S18_S1A_T6_T7_T9_mT8_S1C_bDpT10_ENKUlT_T0_E_clISt17integral_constantIbLb1EES1P_EEDaS1K_S1L_EUlS1K_E_NS1_11comp_targetILNS1_3genE3ELNS1_11target_archE908ELNS1_3gpuE7ELNS1_3repE0EEENS1_30default_config_static_selectorELNS0_4arch9wavefront6targetE1EEEvSY_.has_dyn_sized_stack, 0
	.set _ZN7rocprim17ROCPRIM_400000_NS6detail17trampoline_kernelINS0_13select_configILj256ELj13ELNS0_17block_load_methodE3ELS4_3ELS4_3ELNS0_20block_scan_algorithmE0ELj4294967295EEENS1_25partition_config_selectorILNS1_17partition_subalgoE3EjNS0_10empty_typeEbEEZZNS1_14partition_implILS8_3ELb0ES6_jNS0_17counting_iteratorIjlEEPS9_SE_NS0_5tupleIJPjSE_EEENSF_IJSE_SE_EEES9_SG_JZNS1_25segmented_radix_sort_implINS0_14default_configELb0EPKsPsPKlPlN2at6native12_GLOBAL__N_18offset_tEEE10hipError_tPvRmT1_PNSt15iterator_traitsISY_E10value_typeET2_T3_PNSZ_IS14_E10value_typeET4_jRbjT5_S1A_jjP12ihipStream_tbEUljE_EEESV_SW_SX_S14_S18_S1A_T6_T7_T9_mT8_S1C_bDpT10_ENKUlT_T0_E_clISt17integral_constantIbLb1EES1P_EEDaS1K_S1L_EUlS1K_E_NS1_11comp_targetILNS1_3genE3ELNS1_11target_archE908ELNS1_3gpuE7ELNS1_3repE0EEENS1_30default_config_static_selectorELNS0_4arch9wavefront6targetE1EEEvSY_.has_recursion, 0
	.set _ZN7rocprim17ROCPRIM_400000_NS6detail17trampoline_kernelINS0_13select_configILj256ELj13ELNS0_17block_load_methodE3ELS4_3ELS4_3ELNS0_20block_scan_algorithmE0ELj4294967295EEENS1_25partition_config_selectorILNS1_17partition_subalgoE3EjNS0_10empty_typeEbEEZZNS1_14partition_implILS8_3ELb0ES6_jNS0_17counting_iteratorIjlEEPS9_SE_NS0_5tupleIJPjSE_EEENSF_IJSE_SE_EEES9_SG_JZNS1_25segmented_radix_sort_implINS0_14default_configELb0EPKsPsPKlPlN2at6native12_GLOBAL__N_18offset_tEEE10hipError_tPvRmT1_PNSt15iterator_traitsISY_E10value_typeET2_T3_PNSZ_IS14_E10value_typeET4_jRbjT5_S1A_jjP12ihipStream_tbEUljE_EEESV_SW_SX_S14_S18_S1A_T6_T7_T9_mT8_S1C_bDpT10_ENKUlT_T0_E_clISt17integral_constantIbLb1EES1P_EEDaS1K_S1L_EUlS1K_E_NS1_11comp_targetILNS1_3genE3ELNS1_11target_archE908ELNS1_3gpuE7ELNS1_3repE0EEENS1_30default_config_static_selectorELNS0_4arch9wavefront6targetE1EEEvSY_.has_indirect_call, 0
	.section	.AMDGPU.csdata,"",@progbits
; Kernel info:
; codeLenInByte = 0
; TotalNumSgprs: 4
; NumVgprs: 0
; ScratchSize: 0
; MemoryBound: 0
; FloatMode: 240
; IeeeMode: 1
; LDSByteSize: 0 bytes/workgroup (compile time only)
; SGPRBlocks: 0
; VGPRBlocks: 0
; NumSGPRsForWavesPerEU: 4
; NumVGPRsForWavesPerEU: 1
; Occupancy: 10
; WaveLimiterHint : 0
; COMPUTE_PGM_RSRC2:SCRATCH_EN: 0
; COMPUTE_PGM_RSRC2:USER_SGPR: 6
; COMPUTE_PGM_RSRC2:TRAP_HANDLER: 0
; COMPUTE_PGM_RSRC2:TGID_X_EN: 1
; COMPUTE_PGM_RSRC2:TGID_Y_EN: 0
; COMPUTE_PGM_RSRC2:TGID_Z_EN: 0
; COMPUTE_PGM_RSRC2:TIDIG_COMP_CNT: 0
	.section	.text._ZN7rocprim17ROCPRIM_400000_NS6detail17trampoline_kernelINS0_13select_configILj256ELj13ELNS0_17block_load_methodE3ELS4_3ELS4_3ELNS0_20block_scan_algorithmE0ELj4294967295EEENS1_25partition_config_selectorILNS1_17partition_subalgoE3EjNS0_10empty_typeEbEEZZNS1_14partition_implILS8_3ELb0ES6_jNS0_17counting_iteratorIjlEEPS9_SE_NS0_5tupleIJPjSE_EEENSF_IJSE_SE_EEES9_SG_JZNS1_25segmented_radix_sort_implINS0_14default_configELb0EPKsPsPKlPlN2at6native12_GLOBAL__N_18offset_tEEE10hipError_tPvRmT1_PNSt15iterator_traitsISY_E10value_typeET2_T3_PNSZ_IS14_E10value_typeET4_jRbjT5_S1A_jjP12ihipStream_tbEUljE_EEESV_SW_SX_S14_S18_S1A_T6_T7_T9_mT8_S1C_bDpT10_ENKUlT_T0_E_clISt17integral_constantIbLb1EES1P_EEDaS1K_S1L_EUlS1K_E_NS1_11comp_targetILNS1_3genE2ELNS1_11target_archE906ELNS1_3gpuE6ELNS1_3repE0EEENS1_30default_config_static_selectorELNS0_4arch9wavefront6targetE1EEEvSY_,"axG",@progbits,_ZN7rocprim17ROCPRIM_400000_NS6detail17trampoline_kernelINS0_13select_configILj256ELj13ELNS0_17block_load_methodE3ELS4_3ELS4_3ELNS0_20block_scan_algorithmE0ELj4294967295EEENS1_25partition_config_selectorILNS1_17partition_subalgoE3EjNS0_10empty_typeEbEEZZNS1_14partition_implILS8_3ELb0ES6_jNS0_17counting_iteratorIjlEEPS9_SE_NS0_5tupleIJPjSE_EEENSF_IJSE_SE_EEES9_SG_JZNS1_25segmented_radix_sort_implINS0_14default_configELb0EPKsPsPKlPlN2at6native12_GLOBAL__N_18offset_tEEE10hipError_tPvRmT1_PNSt15iterator_traitsISY_E10value_typeET2_T3_PNSZ_IS14_E10value_typeET4_jRbjT5_S1A_jjP12ihipStream_tbEUljE_EEESV_SW_SX_S14_S18_S1A_T6_T7_T9_mT8_S1C_bDpT10_ENKUlT_T0_E_clISt17integral_constantIbLb1EES1P_EEDaS1K_S1L_EUlS1K_E_NS1_11comp_targetILNS1_3genE2ELNS1_11target_archE906ELNS1_3gpuE6ELNS1_3repE0EEENS1_30default_config_static_selectorELNS0_4arch9wavefront6targetE1EEEvSY_,comdat
	.globl	_ZN7rocprim17ROCPRIM_400000_NS6detail17trampoline_kernelINS0_13select_configILj256ELj13ELNS0_17block_load_methodE3ELS4_3ELS4_3ELNS0_20block_scan_algorithmE0ELj4294967295EEENS1_25partition_config_selectorILNS1_17partition_subalgoE3EjNS0_10empty_typeEbEEZZNS1_14partition_implILS8_3ELb0ES6_jNS0_17counting_iteratorIjlEEPS9_SE_NS0_5tupleIJPjSE_EEENSF_IJSE_SE_EEES9_SG_JZNS1_25segmented_radix_sort_implINS0_14default_configELb0EPKsPsPKlPlN2at6native12_GLOBAL__N_18offset_tEEE10hipError_tPvRmT1_PNSt15iterator_traitsISY_E10value_typeET2_T3_PNSZ_IS14_E10value_typeET4_jRbjT5_S1A_jjP12ihipStream_tbEUljE_EEESV_SW_SX_S14_S18_S1A_T6_T7_T9_mT8_S1C_bDpT10_ENKUlT_T0_E_clISt17integral_constantIbLb1EES1P_EEDaS1K_S1L_EUlS1K_E_NS1_11comp_targetILNS1_3genE2ELNS1_11target_archE906ELNS1_3gpuE6ELNS1_3repE0EEENS1_30default_config_static_selectorELNS0_4arch9wavefront6targetE1EEEvSY_ ; -- Begin function _ZN7rocprim17ROCPRIM_400000_NS6detail17trampoline_kernelINS0_13select_configILj256ELj13ELNS0_17block_load_methodE3ELS4_3ELS4_3ELNS0_20block_scan_algorithmE0ELj4294967295EEENS1_25partition_config_selectorILNS1_17partition_subalgoE3EjNS0_10empty_typeEbEEZZNS1_14partition_implILS8_3ELb0ES6_jNS0_17counting_iteratorIjlEEPS9_SE_NS0_5tupleIJPjSE_EEENSF_IJSE_SE_EEES9_SG_JZNS1_25segmented_radix_sort_implINS0_14default_configELb0EPKsPsPKlPlN2at6native12_GLOBAL__N_18offset_tEEE10hipError_tPvRmT1_PNSt15iterator_traitsISY_E10value_typeET2_T3_PNSZ_IS14_E10value_typeET4_jRbjT5_S1A_jjP12ihipStream_tbEUljE_EEESV_SW_SX_S14_S18_S1A_T6_T7_T9_mT8_S1C_bDpT10_ENKUlT_T0_E_clISt17integral_constantIbLb1EES1P_EEDaS1K_S1L_EUlS1K_E_NS1_11comp_targetILNS1_3genE2ELNS1_11target_archE906ELNS1_3gpuE6ELNS1_3repE0EEENS1_30default_config_static_selectorELNS0_4arch9wavefront6targetE1EEEvSY_
	.p2align	8
	.type	_ZN7rocprim17ROCPRIM_400000_NS6detail17trampoline_kernelINS0_13select_configILj256ELj13ELNS0_17block_load_methodE3ELS4_3ELS4_3ELNS0_20block_scan_algorithmE0ELj4294967295EEENS1_25partition_config_selectorILNS1_17partition_subalgoE3EjNS0_10empty_typeEbEEZZNS1_14partition_implILS8_3ELb0ES6_jNS0_17counting_iteratorIjlEEPS9_SE_NS0_5tupleIJPjSE_EEENSF_IJSE_SE_EEES9_SG_JZNS1_25segmented_radix_sort_implINS0_14default_configELb0EPKsPsPKlPlN2at6native12_GLOBAL__N_18offset_tEEE10hipError_tPvRmT1_PNSt15iterator_traitsISY_E10value_typeET2_T3_PNSZ_IS14_E10value_typeET4_jRbjT5_S1A_jjP12ihipStream_tbEUljE_EEESV_SW_SX_S14_S18_S1A_T6_T7_T9_mT8_S1C_bDpT10_ENKUlT_T0_E_clISt17integral_constantIbLb1EES1P_EEDaS1K_S1L_EUlS1K_E_NS1_11comp_targetILNS1_3genE2ELNS1_11target_archE906ELNS1_3gpuE6ELNS1_3repE0EEENS1_30default_config_static_selectorELNS0_4arch9wavefront6targetE1EEEvSY_,@function
_ZN7rocprim17ROCPRIM_400000_NS6detail17trampoline_kernelINS0_13select_configILj256ELj13ELNS0_17block_load_methodE3ELS4_3ELS4_3ELNS0_20block_scan_algorithmE0ELj4294967295EEENS1_25partition_config_selectorILNS1_17partition_subalgoE3EjNS0_10empty_typeEbEEZZNS1_14partition_implILS8_3ELb0ES6_jNS0_17counting_iteratorIjlEEPS9_SE_NS0_5tupleIJPjSE_EEENSF_IJSE_SE_EEES9_SG_JZNS1_25segmented_radix_sort_implINS0_14default_configELb0EPKsPsPKlPlN2at6native12_GLOBAL__N_18offset_tEEE10hipError_tPvRmT1_PNSt15iterator_traitsISY_E10value_typeET2_T3_PNSZ_IS14_E10value_typeET4_jRbjT5_S1A_jjP12ihipStream_tbEUljE_EEESV_SW_SX_S14_S18_S1A_T6_T7_T9_mT8_S1C_bDpT10_ENKUlT_T0_E_clISt17integral_constantIbLb1EES1P_EEDaS1K_S1L_EUlS1K_E_NS1_11comp_targetILNS1_3genE2ELNS1_11target_archE906ELNS1_3gpuE6ELNS1_3repE0EEENS1_30default_config_static_selectorELNS0_4arch9wavefront6targetE1EEEvSY_: ; @_ZN7rocprim17ROCPRIM_400000_NS6detail17trampoline_kernelINS0_13select_configILj256ELj13ELNS0_17block_load_methodE3ELS4_3ELS4_3ELNS0_20block_scan_algorithmE0ELj4294967295EEENS1_25partition_config_selectorILNS1_17partition_subalgoE3EjNS0_10empty_typeEbEEZZNS1_14partition_implILS8_3ELb0ES6_jNS0_17counting_iteratorIjlEEPS9_SE_NS0_5tupleIJPjSE_EEENSF_IJSE_SE_EEES9_SG_JZNS1_25segmented_radix_sort_implINS0_14default_configELb0EPKsPsPKlPlN2at6native12_GLOBAL__N_18offset_tEEE10hipError_tPvRmT1_PNSt15iterator_traitsISY_E10value_typeET2_T3_PNSZ_IS14_E10value_typeET4_jRbjT5_S1A_jjP12ihipStream_tbEUljE_EEESV_SW_SX_S14_S18_S1A_T6_T7_T9_mT8_S1C_bDpT10_ENKUlT_T0_E_clISt17integral_constantIbLb1EES1P_EEDaS1K_S1L_EUlS1K_E_NS1_11comp_targetILNS1_3genE2ELNS1_11target_archE906ELNS1_3gpuE6ELNS1_3repE0EEENS1_30default_config_static_selectorELNS0_4arch9wavefront6targetE1EEEvSY_
; %bb.0:
	s_endpgm
	.section	.rodata,"a",@progbits
	.p2align	6, 0x0
	.amdhsa_kernel _ZN7rocprim17ROCPRIM_400000_NS6detail17trampoline_kernelINS0_13select_configILj256ELj13ELNS0_17block_load_methodE3ELS4_3ELS4_3ELNS0_20block_scan_algorithmE0ELj4294967295EEENS1_25partition_config_selectorILNS1_17partition_subalgoE3EjNS0_10empty_typeEbEEZZNS1_14partition_implILS8_3ELb0ES6_jNS0_17counting_iteratorIjlEEPS9_SE_NS0_5tupleIJPjSE_EEENSF_IJSE_SE_EEES9_SG_JZNS1_25segmented_radix_sort_implINS0_14default_configELb0EPKsPsPKlPlN2at6native12_GLOBAL__N_18offset_tEEE10hipError_tPvRmT1_PNSt15iterator_traitsISY_E10value_typeET2_T3_PNSZ_IS14_E10value_typeET4_jRbjT5_S1A_jjP12ihipStream_tbEUljE_EEESV_SW_SX_S14_S18_S1A_T6_T7_T9_mT8_S1C_bDpT10_ENKUlT_T0_E_clISt17integral_constantIbLb1EES1P_EEDaS1K_S1L_EUlS1K_E_NS1_11comp_targetILNS1_3genE2ELNS1_11target_archE906ELNS1_3gpuE6ELNS1_3repE0EEENS1_30default_config_static_selectorELNS0_4arch9wavefront6targetE1EEEvSY_
		.amdhsa_group_segment_fixed_size 0
		.amdhsa_private_segment_fixed_size 0
		.amdhsa_kernarg_size 152
		.amdhsa_user_sgpr_count 6
		.amdhsa_user_sgpr_private_segment_buffer 1
		.amdhsa_user_sgpr_dispatch_ptr 0
		.amdhsa_user_sgpr_queue_ptr 0
		.amdhsa_user_sgpr_kernarg_segment_ptr 1
		.amdhsa_user_sgpr_dispatch_id 0
		.amdhsa_user_sgpr_flat_scratch_init 0
		.amdhsa_user_sgpr_private_segment_size 0
		.amdhsa_uses_dynamic_stack 0
		.amdhsa_system_sgpr_private_segment_wavefront_offset 0
		.amdhsa_system_sgpr_workgroup_id_x 1
		.amdhsa_system_sgpr_workgroup_id_y 0
		.amdhsa_system_sgpr_workgroup_id_z 0
		.amdhsa_system_sgpr_workgroup_info 0
		.amdhsa_system_vgpr_workitem_id 0
		.amdhsa_next_free_vgpr 1
		.amdhsa_next_free_sgpr 0
		.amdhsa_reserve_vcc 0
		.amdhsa_reserve_flat_scratch 0
		.amdhsa_float_round_mode_32 0
		.amdhsa_float_round_mode_16_64 0
		.amdhsa_float_denorm_mode_32 3
		.amdhsa_float_denorm_mode_16_64 3
		.amdhsa_dx10_clamp 1
		.amdhsa_ieee_mode 1
		.amdhsa_fp16_overflow 0
		.amdhsa_exception_fp_ieee_invalid_op 0
		.amdhsa_exception_fp_denorm_src 0
		.amdhsa_exception_fp_ieee_div_zero 0
		.amdhsa_exception_fp_ieee_overflow 0
		.amdhsa_exception_fp_ieee_underflow 0
		.amdhsa_exception_fp_ieee_inexact 0
		.amdhsa_exception_int_div_zero 0
	.end_amdhsa_kernel
	.section	.text._ZN7rocprim17ROCPRIM_400000_NS6detail17trampoline_kernelINS0_13select_configILj256ELj13ELNS0_17block_load_methodE3ELS4_3ELS4_3ELNS0_20block_scan_algorithmE0ELj4294967295EEENS1_25partition_config_selectorILNS1_17partition_subalgoE3EjNS0_10empty_typeEbEEZZNS1_14partition_implILS8_3ELb0ES6_jNS0_17counting_iteratorIjlEEPS9_SE_NS0_5tupleIJPjSE_EEENSF_IJSE_SE_EEES9_SG_JZNS1_25segmented_radix_sort_implINS0_14default_configELb0EPKsPsPKlPlN2at6native12_GLOBAL__N_18offset_tEEE10hipError_tPvRmT1_PNSt15iterator_traitsISY_E10value_typeET2_T3_PNSZ_IS14_E10value_typeET4_jRbjT5_S1A_jjP12ihipStream_tbEUljE_EEESV_SW_SX_S14_S18_S1A_T6_T7_T9_mT8_S1C_bDpT10_ENKUlT_T0_E_clISt17integral_constantIbLb1EES1P_EEDaS1K_S1L_EUlS1K_E_NS1_11comp_targetILNS1_3genE2ELNS1_11target_archE906ELNS1_3gpuE6ELNS1_3repE0EEENS1_30default_config_static_selectorELNS0_4arch9wavefront6targetE1EEEvSY_,"axG",@progbits,_ZN7rocprim17ROCPRIM_400000_NS6detail17trampoline_kernelINS0_13select_configILj256ELj13ELNS0_17block_load_methodE3ELS4_3ELS4_3ELNS0_20block_scan_algorithmE0ELj4294967295EEENS1_25partition_config_selectorILNS1_17partition_subalgoE3EjNS0_10empty_typeEbEEZZNS1_14partition_implILS8_3ELb0ES6_jNS0_17counting_iteratorIjlEEPS9_SE_NS0_5tupleIJPjSE_EEENSF_IJSE_SE_EEES9_SG_JZNS1_25segmented_radix_sort_implINS0_14default_configELb0EPKsPsPKlPlN2at6native12_GLOBAL__N_18offset_tEEE10hipError_tPvRmT1_PNSt15iterator_traitsISY_E10value_typeET2_T3_PNSZ_IS14_E10value_typeET4_jRbjT5_S1A_jjP12ihipStream_tbEUljE_EEESV_SW_SX_S14_S18_S1A_T6_T7_T9_mT8_S1C_bDpT10_ENKUlT_T0_E_clISt17integral_constantIbLb1EES1P_EEDaS1K_S1L_EUlS1K_E_NS1_11comp_targetILNS1_3genE2ELNS1_11target_archE906ELNS1_3gpuE6ELNS1_3repE0EEENS1_30default_config_static_selectorELNS0_4arch9wavefront6targetE1EEEvSY_,comdat
.Lfunc_end994:
	.size	_ZN7rocprim17ROCPRIM_400000_NS6detail17trampoline_kernelINS0_13select_configILj256ELj13ELNS0_17block_load_methodE3ELS4_3ELS4_3ELNS0_20block_scan_algorithmE0ELj4294967295EEENS1_25partition_config_selectorILNS1_17partition_subalgoE3EjNS0_10empty_typeEbEEZZNS1_14partition_implILS8_3ELb0ES6_jNS0_17counting_iteratorIjlEEPS9_SE_NS0_5tupleIJPjSE_EEENSF_IJSE_SE_EEES9_SG_JZNS1_25segmented_radix_sort_implINS0_14default_configELb0EPKsPsPKlPlN2at6native12_GLOBAL__N_18offset_tEEE10hipError_tPvRmT1_PNSt15iterator_traitsISY_E10value_typeET2_T3_PNSZ_IS14_E10value_typeET4_jRbjT5_S1A_jjP12ihipStream_tbEUljE_EEESV_SW_SX_S14_S18_S1A_T6_T7_T9_mT8_S1C_bDpT10_ENKUlT_T0_E_clISt17integral_constantIbLb1EES1P_EEDaS1K_S1L_EUlS1K_E_NS1_11comp_targetILNS1_3genE2ELNS1_11target_archE906ELNS1_3gpuE6ELNS1_3repE0EEENS1_30default_config_static_selectorELNS0_4arch9wavefront6targetE1EEEvSY_, .Lfunc_end994-_ZN7rocprim17ROCPRIM_400000_NS6detail17trampoline_kernelINS0_13select_configILj256ELj13ELNS0_17block_load_methodE3ELS4_3ELS4_3ELNS0_20block_scan_algorithmE0ELj4294967295EEENS1_25partition_config_selectorILNS1_17partition_subalgoE3EjNS0_10empty_typeEbEEZZNS1_14partition_implILS8_3ELb0ES6_jNS0_17counting_iteratorIjlEEPS9_SE_NS0_5tupleIJPjSE_EEENSF_IJSE_SE_EEES9_SG_JZNS1_25segmented_radix_sort_implINS0_14default_configELb0EPKsPsPKlPlN2at6native12_GLOBAL__N_18offset_tEEE10hipError_tPvRmT1_PNSt15iterator_traitsISY_E10value_typeET2_T3_PNSZ_IS14_E10value_typeET4_jRbjT5_S1A_jjP12ihipStream_tbEUljE_EEESV_SW_SX_S14_S18_S1A_T6_T7_T9_mT8_S1C_bDpT10_ENKUlT_T0_E_clISt17integral_constantIbLb1EES1P_EEDaS1K_S1L_EUlS1K_E_NS1_11comp_targetILNS1_3genE2ELNS1_11target_archE906ELNS1_3gpuE6ELNS1_3repE0EEENS1_30default_config_static_selectorELNS0_4arch9wavefront6targetE1EEEvSY_
                                        ; -- End function
	.set _ZN7rocprim17ROCPRIM_400000_NS6detail17trampoline_kernelINS0_13select_configILj256ELj13ELNS0_17block_load_methodE3ELS4_3ELS4_3ELNS0_20block_scan_algorithmE0ELj4294967295EEENS1_25partition_config_selectorILNS1_17partition_subalgoE3EjNS0_10empty_typeEbEEZZNS1_14partition_implILS8_3ELb0ES6_jNS0_17counting_iteratorIjlEEPS9_SE_NS0_5tupleIJPjSE_EEENSF_IJSE_SE_EEES9_SG_JZNS1_25segmented_radix_sort_implINS0_14default_configELb0EPKsPsPKlPlN2at6native12_GLOBAL__N_18offset_tEEE10hipError_tPvRmT1_PNSt15iterator_traitsISY_E10value_typeET2_T3_PNSZ_IS14_E10value_typeET4_jRbjT5_S1A_jjP12ihipStream_tbEUljE_EEESV_SW_SX_S14_S18_S1A_T6_T7_T9_mT8_S1C_bDpT10_ENKUlT_T0_E_clISt17integral_constantIbLb1EES1P_EEDaS1K_S1L_EUlS1K_E_NS1_11comp_targetILNS1_3genE2ELNS1_11target_archE906ELNS1_3gpuE6ELNS1_3repE0EEENS1_30default_config_static_selectorELNS0_4arch9wavefront6targetE1EEEvSY_.num_vgpr, 0
	.set _ZN7rocprim17ROCPRIM_400000_NS6detail17trampoline_kernelINS0_13select_configILj256ELj13ELNS0_17block_load_methodE3ELS4_3ELS4_3ELNS0_20block_scan_algorithmE0ELj4294967295EEENS1_25partition_config_selectorILNS1_17partition_subalgoE3EjNS0_10empty_typeEbEEZZNS1_14partition_implILS8_3ELb0ES6_jNS0_17counting_iteratorIjlEEPS9_SE_NS0_5tupleIJPjSE_EEENSF_IJSE_SE_EEES9_SG_JZNS1_25segmented_radix_sort_implINS0_14default_configELb0EPKsPsPKlPlN2at6native12_GLOBAL__N_18offset_tEEE10hipError_tPvRmT1_PNSt15iterator_traitsISY_E10value_typeET2_T3_PNSZ_IS14_E10value_typeET4_jRbjT5_S1A_jjP12ihipStream_tbEUljE_EEESV_SW_SX_S14_S18_S1A_T6_T7_T9_mT8_S1C_bDpT10_ENKUlT_T0_E_clISt17integral_constantIbLb1EES1P_EEDaS1K_S1L_EUlS1K_E_NS1_11comp_targetILNS1_3genE2ELNS1_11target_archE906ELNS1_3gpuE6ELNS1_3repE0EEENS1_30default_config_static_selectorELNS0_4arch9wavefront6targetE1EEEvSY_.num_agpr, 0
	.set _ZN7rocprim17ROCPRIM_400000_NS6detail17trampoline_kernelINS0_13select_configILj256ELj13ELNS0_17block_load_methodE3ELS4_3ELS4_3ELNS0_20block_scan_algorithmE0ELj4294967295EEENS1_25partition_config_selectorILNS1_17partition_subalgoE3EjNS0_10empty_typeEbEEZZNS1_14partition_implILS8_3ELb0ES6_jNS0_17counting_iteratorIjlEEPS9_SE_NS0_5tupleIJPjSE_EEENSF_IJSE_SE_EEES9_SG_JZNS1_25segmented_radix_sort_implINS0_14default_configELb0EPKsPsPKlPlN2at6native12_GLOBAL__N_18offset_tEEE10hipError_tPvRmT1_PNSt15iterator_traitsISY_E10value_typeET2_T3_PNSZ_IS14_E10value_typeET4_jRbjT5_S1A_jjP12ihipStream_tbEUljE_EEESV_SW_SX_S14_S18_S1A_T6_T7_T9_mT8_S1C_bDpT10_ENKUlT_T0_E_clISt17integral_constantIbLb1EES1P_EEDaS1K_S1L_EUlS1K_E_NS1_11comp_targetILNS1_3genE2ELNS1_11target_archE906ELNS1_3gpuE6ELNS1_3repE0EEENS1_30default_config_static_selectorELNS0_4arch9wavefront6targetE1EEEvSY_.numbered_sgpr, 0
	.set _ZN7rocprim17ROCPRIM_400000_NS6detail17trampoline_kernelINS0_13select_configILj256ELj13ELNS0_17block_load_methodE3ELS4_3ELS4_3ELNS0_20block_scan_algorithmE0ELj4294967295EEENS1_25partition_config_selectorILNS1_17partition_subalgoE3EjNS0_10empty_typeEbEEZZNS1_14partition_implILS8_3ELb0ES6_jNS0_17counting_iteratorIjlEEPS9_SE_NS0_5tupleIJPjSE_EEENSF_IJSE_SE_EEES9_SG_JZNS1_25segmented_radix_sort_implINS0_14default_configELb0EPKsPsPKlPlN2at6native12_GLOBAL__N_18offset_tEEE10hipError_tPvRmT1_PNSt15iterator_traitsISY_E10value_typeET2_T3_PNSZ_IS14_E10value_typeET4_jRbjT5_S1A_jjP12ihipStream_tbEUljE_EEESV_SW_SX_S14_S18_S1A_T6_T7_T9_mT8_S1C_bDpT10_ENKUlT_T0_E_clISt17integral_constantIbLb1EES1P_EEDaS1K_S1L_EUlS1K_E_NS1_11comp_targetILNS1_3genE2ELNS1_11target_archE906ELNS1_3gpuE6ELNS1_3repE0EEENS1_30default_config_static_selectorELNS0_4arch9wavefront6targetE1EEEvSY_.num_named_barrier, 0
	.set _ZN7rocprim17ROCPRIM_400000_NS6detail17trampoline_kernelINS0_13select_configILj256ELj13ELNS0_17block_load_methodE3ELS4_3ELS4_3ELNS0_20block_scan_algorithmE0ELj4294967295EEENS1_25partition_config_selectorILNS1_17partition_subalgoE3EjNS0_10empty_typeEbEEZZNS1_14partition_implILS8_3ELb0ES6_jNS0_17counting_iteratorIjlEEPS9_SE_NS0_5tupleIJPjSE_EEENSF_IJSE_SE_EEES9_SG_JZNS1_25segmented_radix_sort_implINS0_14default_configELb0EPKsPsPKlPlN2at6native12_GLOBAL__N_18offset_tEEE10hipError_tPvRmT1_PNSt15iterator_traitsISY_E10value_typeET2_T3_PNSZ_IS14_E10value_typeET4_jRbjT5_S1A_jjP12ihipStream_tbEUljE_EEESV_SW_SX_S14_S18_S1A_T6_T7_T9_mT8_S1C_bDpT10_ENKUlT_T0_E_clISt17integral_constantIbLb1EES1P_EEDaS1K_S1L_EUlS1K_E_NS1_11comp_targetILNS1_3genE2ELNS1_11target_archE906ELNS1_3gpuE6ELNS1_3repE0EEENS1_30default_config_static_selectorELNS0_4arch9wavefront6targetE1EEEvSY_.private_seg_size, 0
	.set _ZN7rocprim17ROCPRIM_400000_NS6detail17trampoline_kernelINS0_13select_configILj256ELj13ELNS0_17block_load_methodE3ELS4_3ELS4_3ELNS0_20block_scan_algorithmE0ELj4294967295EEENS1_25partition_config_selectorILNS1_17partition_subalgoE3EjNS0_10empty_typeEbEEZZNS1_14partition_implILS8_3ELb0ES6_jNS0_17counting_iteratorIjlEEPS9_SE_NS0_5tupleIJPjSE_EEENSF_IJSE_SE_EEES9_SG_JZNS1_25segmented_radix_sort_implINS0_14default_configELb0EPKsPsPKlPlN2at6native12_GLOBAL__N_18offset_tEEE10hipError_tPvRmT1_PNSt15iterator_traitsISY_E10value_typeET2_T3_PNSZ_IS14_E10value_typeET4_jRbjT5_S1A_jjP12ihipStream_tbEUljE_EEESV_SW_SX_S14_S18_S1A_T6_T7_T9_mT8_S1C_bDpT10_ENKUlT_T0_E_clISt17integral_constantIbLb1EES1P_EEDaS1K_S1L_EUlS1K_E_NS1_11comp_targetILNS1_3genE2ELNS1_11target_archE906ELNS1_3gpuE6ELNS1_3repE0EEENS1_30default_config_static_selectorELNS0_4arch9wavefront6targetE1EEEvSY_.uses_vcc, 0
	.set _ZN7rocprim17ROCPRIM_400000_NS6detail17trampoline_kernelINS0_13select_configILj256ELj13ELNS0_17block_load_methodE3ELS4_3ELS4_3ELNS0_20block_scan_algorithmE0ELj4294967295EEENS1_25partition_config_selectorILNS1_17partition_subalgoE3EjNS0_10empty_typeEbEEZZNS1_14partition_implILS8_3ELb0ES6_jNS0_17counting_iteratorIjlEEPS9_SE_NS0_5tupleIJPjSE_EEENSF_IJSE_SE_EEES9_SG_JZNS1_25segmented_radix_sort_implINS0_14default_configELb0EPKsPsPKlPlN2at6native12_GLOBAL__N_18offset_tEEE10hipError_tPvRmT1_PNSt15iterator_traitsISY_E10value_typeET2_T3_PNSZ_IS14_E10value_typeET4_jRbjT5_S1A_jjP12ihipStream_tbEUljE_EEESV_SW_SX_S14_S18_S1A_T6_T7_T9_mT8_S1C_bDpT10_ENKUlT_T0_E_clISt17integral_constantIbLb1EES1P_EEDaS1K_S1L_EUlS1K_E_NS1_11comp_targetILNS1_3genE2ELNS1_11target_archE906ELNS1_3gpuE6ELNS1_3repE0EEENS1_30default_config_static_selectorELNS0_4arch9wavefront6targetE1EEEvSY_.uses_flat_scratch, 0
	.set _ZN7rocprim17ROCPRIM_400000_NS6detail17trampoline_kernelINS0_13select_configILj256ELj13ELNS0_17block_load_methodE3ELS4_3ELS4_3ELNS0_20block_scan_algorithmE0ELj4294967295EEENS1_25partition_config_selectorILNS1_17partition_subalgoE3EjNS0_10empty_typeEbEEZZNS1_14partition_implILS8_3ELb0ES6_jNS0_17counting_iteratorIjlEEPS9_SE_NS0_5tupleIJPjSE_EEENSF_IJSE_SE_EEES9_SG_JZNS1_25segmented_radix_sort_implINS0_14default_configELb0EPKsPsPKlPlN2at6native12_GLOBAL__N_18offset_tEEE10hipError_tPvRmT1_PNSt15iterator_traitsISY_E10value_typeET2_T3_PNSZ_IS14_E10value_typeET4_jRbjT5_S1A_jjP12ihipStream_tbEUljE_EEESV_SW_SX_S14_S18_S1A_T6_T7_T9_mT8_S1C_bDpT10_ENKUlT_T0_E_clISt17integral_constantIbLb1EES1P_EEDaS1K_S1L_EUlS1K_E_NS1_11comp_targetILNS1_3genE2ELNS1_11target_archE906ELNS1_3gpuE6ELNS1_3repE0EEENS1_30default_config_static_selectorELNS0_4arch9wavefront6targetE1EEEvSY_.has_dyn_sized_stack, 0
	.set _ZN7rocprim17ROCPRIM_400000_NS6detail17trampoline_kernelINS0_13select_configILj256ELj13ELNS0_17block_load_methodE3ELS4_3ELS4_3ELNS0_20block_scan_algorithmE0ELj4294967295EEENS1_25partition_config_selectorILNS1_17partition_subalgoE3EjNS0_10empty_typeEbEEZZNS1_14partition_implILS8_3ELb0ES6_jNS0_17counting_iteratorIjlEEPS9_SE_NS0_5tupleIJPjSE_EEENSF_IJSE_SE_EEES9_SG_JZNS1_25segmented_radix_sort_implINS0_14default_configELb0EPKsPsPKlPlN2at6native12_GLOBAL__N_18offset_tEEE10hipError_tPvRmT1_PNSt15iterator_traitsISY_E10value_typeET2_T3_PNSZ_IS14_E10value_typeET4_jRbjT5_S1A_jjP12ihipStream_tbEUljE_EEESV_SW_SX_S14_S18_S1A_T6_T7_T9_mT8_S1C_bDpT10_ENKUlT_T0_E_clISt17integral_constantIbLb1EES1P_EEDaS1K_S1L_EUlS1K_E_NS1_11comp_targetILNS1_3genE2ELNS1_11target_archE906ELNS1_3gpuE6ELNS1_3repE0EEENS1_30default_config_static_selectorELNS0_4arch9wavefront6targetE1EEEvSY_.has_recursion, 0
	.set _ZN7rocprim17ROCPRIM_400000_NS6detail17trampoline_kernelINS0_13select_configILj256ELj13ELNS0_17block_load_methodE3ELS4_3ELS4_3ELNS0_20block_scan_algorithmE0ELj4294967295EEENS1_25partition_config_selectorILNS1_17partition_subalgoE3EjNS0_10empty_typeEbEEZZNS1_14partition_implILS8_3ELb0ES6_jNS0_17counting_iteratorIjlEEPS9_SE_NS0_5tupleIJPjSE_EEENSF_IJSE_SE_EEES9_SG_JZNS1_25segmented_radix_sort_implINS0_14default_configELb0EPKsPsPKlPlN2at6native12_GLOBAL__N_18offset_tEEE10hipError_tPvRmT1_PNSt15iterator_traitsISY_E10value_typeET2_T3_PNSZ_IS14_E10value_typeET4_jRbjT5_S1A_jjP12ihipStream_tbEUljE_EEESV_SW_SX_S14_S18_S1A_T6_T7_T9_mT8_S1C_bDpT10_ENKUlT_T0_E_clISt17integral_constantIbLb1EES1P_EEDaS1K_S1L_EUlS1K_E_NS1_11comp_targetILNS1_3genE2ELNS1_11target_archE906ELNS1_3gpuE6ELNS1_3repE0EEENS1_30default_config_static_selectorELNS0_4arch9wavefront6targetE1EEEvSY_.has_indirect_call, 0
	.section	.AMDGPU.csdata,"",@progbits
; Kernel info:
; codeLenInByte = 4
; TotalNumSgprs: 4
; NumVgprs: 0
; ScratchSize: 0
; MemoryBound: 0
; FloatMode: 240
; IeeeMode: 1
; LDSByteSize: 0 bytes/workgroup (compile time only)
; SGPRBlocks: 0
; VGPRBlocks: 0
; NumSGPRsForWavesPerEU: 4
; NumVGPRsForWavesPerEU: 1
; Occupancy: 10
; WaveLimiterHint : 0
; COMPUTE_PGM_RSRC2:SCRATCH_EN: 0
; COMPUTE_PGM_RSRC2:USER_SGPR: 6
; COMPUTE_PGM_RSRC2:TRAP_HANDLER: 0
; COMPUTE_PGM_RSRC2:TGID_X_EN: 1
; COMPUTE_PGM_RSRC2:TGID_Y_EN: 0
; COMPUTE_PGM_RSRC2:TGID_Z_EN: 0
; COMPUTE_PGM_RSRC2:TIDIG_COMP_CNT: 0
	.section	.text._ZN7rocprim17ROCPRIM_400000_NS6detail17trampoline_kernelINS0_13select_configILj256ELj13ELNS0_17block_load_methodE3ELS4_3ELS4_3ELNS0_20block_scan_algorithmE0ELj4294967295EEENS1_25partition_config_selectorILNS1_17partition_subalgoE3EjNS0_10empty_typeEbEEZZNS1_14partition_implILS8_3ELb0ES6_jNS0_17counting_iteratorIjlEEPS9_SE_NS0_5tupleIJPjSE_EEENSF_IJSE_SE_EEES9_SG_JZNS1_25segmented_radix_sort_implINS0_14default_configELb0EPKsPsPKlPlN2at6native12_GLOBAL__N_18offset_tEEE10hipError_tPvRmT1_PNSt15iterator_traitsISY_E10value_typeET2_T3_PNSZ_IS14_E10value_typeET4_jRbjT5_S1A_jjP12ihipStream_tbEUljE_EEESV_SW_SX_S14_S18_S1A_T6_T7_T9_mT8_S1C_bDpT10_ENKUlT_T0_E_clISt17integral_constantIbLb1EES1P_EEDaS1K_S1L_EUlS1K_E_NS1_11comp_targetILNS1_3genE10ELNS1_11target_archE1200ELNS1_3gpuE4ELNS1_3repE0EEENS1_30default_config_static_selectorELNS0_4arch9wavefront6targetE1EEEvSY_,"axG",@progbits,_ZN7rocprim17ROCPRIM_400000_NS6detail17trampoline_kernelINS0_13select_configILj256ELj13ELNS0_17block_load_methodE3ELS4_3ELS4_3ELNS0_20block_scan_algorithmE0ELj4294967295EEENS1_25partition_config_selectorILNS1_17partition_subalgoE3EjNS0_10empty_typeEbEEZZNS1_14partition_implILS8_3ELb0ES6_jNS0_17counting_iteratorIjlEEPS9_SE_NS0_5tupleIJPjSE_EEENSF_IJSE_SE_EEES9_SG_JZNS1_25segmented_radix_sort_implINS0_14default_configELb0EPKsPsPKlPlN2at6native12_GLOBAL__N_18offset_tEEE10hipError_tPvRmT1_PNSt15iterator_traitsISY_E10value_typeET2_T3_PNSZ_IS14_E10value_typeET4_jRbjT5_S1A_jjP12ihipStream_tbEUljE_EEESV_SW_SX_S14_S18_S1A_T6_T7_T9_mT8_S1C_bDpT10_ENKUlT_T0_E_clISt17integral_constantIbLb1EES1P_EEDaS1K_S1L_EUlS1K_E_NS1_11comp_targetILNS1_3genE10ELNS1_11target_archE1200ELNS1_3gpuE4ELNS1_3repE0EEENS1_30default_config_static_selectorELNS0_4arch9wavefront6targetE1EEEvSY_,comdat
	.globl	_ZN7rocprim17ROCPRIM_400000_NS6detail17trampoline_kernelINS0_13select_configILj256ELj13ELNS0_17block_load_methodE3ELS4_3ELS4_3ELNS0_20block_scan_algorithmE0ELj4294967295EEENS1_25partition_config_selectorILNS1_17partition_subalgoE3EjNS0_10empty_typeEbEEZZNS1_14partition_implILS8_3ELb0ES6_jNS0_17counting_iteratorIjlEEPS9_SE_NS0_5tupleIJPjSE_EEENSF_IJSE_SE_EEES9_SG_JZNS1_25segmented_radix_sort_implINS0_14default_configELb0EPKsPsPKlPlN2at6native12_GLOBAL__N_18offset_tEEE10hipError_tPvRmT1_PNSt15iterator_traitsISY_E10value_typeET2_T3_PNSZ_IS14_E10value_typeET4_jRbjT5_S1A_jjP12ihipStream_tbEUljE_EEESV_SW_SX_S14_S18_S1A_T6_T7_T9_mT8_S1C_bDpT10_ENKUlT_T0_E_clISt17integral_constantIbLb1EES1P_EEDaS1K_S1L_EUlS1K_E_NS1_11comp_targetILNS1_3genE10ELNS1_11target_archE1200ELNS1_3gpuE4ELNS1_3repE0EEENS1_30default_config_static_selectorELNS0_4arch9wavefront6targetE1EEEvSY_ ; -- Begin function _ZN7rocprim17ROCPRIM_400000_NS6detail17trampoline_kernelINS0_13select_configILj256ELj13ELNS0_17block_load_methodE3ELS4_3ELS4_3ELNS0_20block_scan_algorithmE0ELj4294967295EEENS1_25partition_config_selectorILNS1_17partition_subalgoE3EjNS0_10empty_typeEbEEZZNS1_14partition_implILS8_3ELb0ES6_jNS0_17counting_iteratorIjlEEPS9_SE_NS0_5tupleIJPjSE_EEENSF_IJSE_SE_EEES9_SG_JZNS1_25segmented_radix_sort_implINS0_14default_configELb0EPKsPsPKlPlN2at6native12_GLOBAL__N_18offset_tEEE10hipError_tPvRmT1_PNSt15iterator_traitsISY_E10value_typeET2_T3_PNSZ_IS14_E10value_typeET4_jRbjT5_S1A_jjP12ihipStream_tbEUljE_EEESV_SW_SX_S14_S18_S1A_T6_T7_T9_mT8_S1C_bDpT10_ENKUlT_T0_E_clISt17integral_constantIbLb1EES1P_EEDaS1K_S1L_EUlS1K_E_NS1_11comp_targetILNS1_3genE10ELNS1_11target_archE1200ELNS1_3gpuE4ELNS1_3repE0EEENS1_30default_config_static_selectorELNS0_4arch9wavefront6targetE1EEEvSY_
	.p2align	8
	.type	_ZN7rocprim17ROCPRIM_400000_NS6detail17trampoline_kernelINS0_13select_configILj256ELj13ELNS0_17block_load_methodE3ELS4_3ELS4_3ELNS0_20block_scan_algorithmE0ELj4294967295EEENS1_25partition_config_selectorILNS1_17partition_subalgoE3EjNS0_10empty_typeEbEEZZNS1_14partition_implILS8_3ELb0ES6_jNS0_17counting_iteratorIjlEEPS9_SE_NS0_5tupleIJPjSE_EEENSF_IJSE_SE_EEES9_SG_JZNS1_25segmented_radix_sort_implINS0_14default_configELb0EPKsPsPKlPlN2at6native12_GLOBAL__N_18offset_tEEE10hipError_tPvRmT1_PNSt15iterator_traitsISY_E10value_typeET2_T3_PNSZ_IS14_E10value_typeET4_jRbjT5_S1A_jjP12ihipStream_tbEUljE_EEESV_SW_SX_S14_S18_S1A_T6_T7_T9_mT8_S1C_bDpT10_ENKUlT_T0_E_clISt17integral_constantIbLb1EES1P_EEDaS1K_S1L_EUlS1K_E_NS1_11comp_targetILNS1_3genE10ELNS1_11target_archE1200ELNS1_3gpuE4ELNS1_3repE0EEENS1_30default_config_static_selectorELNS0_4arch9wavefront6targetE1EEEvSY_,@function
_ZN7rocprim17ROCPRIM_400000_NS6detail17trampoline_kernelINS0_13select_configILj256ELj13ELNS0_17block_load_methodE3ELS4_3ELS4_3ELNS0_20block_scan_algorithmE0ELj4294967295EEENS1_25partition_config_selectorILNS1_17partition_subalgoE3EjNS0_10empty_typeEbEEZZNS1_14partition_implILS8_3ELb0ES6_jNS0_17counting_iteratorIjlEEPS9_SE_NS0_5tupleIJPjSE_EEENSF_IJSE_SE_EEES9_SG_JZNS1_25segmented_radix_sort_implINS0_14default_configELb0EPKsPsPKlPlN2at6native12_GLOBAL__N_18offset_tEEE10hipError_tPvRmT1_PNSt15iterator_traitsISY_E10value_typeET2_T3_PNSZ_IS14_E10value_typeET4_jRbjT5_S1A_jjP12ihipStream_tbEUljE_EEESV_SW_SX_S14_S18_S1A_T6_T7_T9_mT8_S1C_bDpT10_ENKUlT_T0_E_clISt17integral_constantIbLb1EES1P_EEDaS1K_S1L_EUlS1K_E_NS1_11comp_targetILNS1_3genE10ELNS1_11target_archE1200ELNS1_3gpuE4ELNS1_3repE0EEENS1_30default_config_static_selectorELNS0_4arch9wavefront6targetE1EEEvSY_: ; @_ZN7rocprim17ROCPRIM_400000_NS6detail17trampoline_kernelINS0_13select_configILj256ELj13ELNS0_17block_load_methodE3ELS4_3ELS4_3ELNS0_20block_scan_algorithmE0ELj4294967295EEENS1_25partition_config_selectorILNS1_17partition_subalgoE3EjNS0_10empty_typeEbEEZZNS1_14partition_implILS8_3ELb0ES6_jNS0_17counting_iteratorIjlEEPS9_SE_NS0_5tupleIJPjSE_EEENSF_IJSE_SE_EEES9_SG_JZNS1_25segmented_radix_sort_implINS0_14default_configELb0EPKsPsPKlPlN2at6native12_GLOBAL__N_18offset_tEEE10hipError_tPvRmT1_PNSt15iterator_traitsISY_E10value_typeET2_T3_PNSZ_IS14_E10value_typeET4_jRbjT5_S1A_jjP12ihipStream_tbEUljE_EEESV_SW_SX_S14_S18_S1A_T6_T7_T9_mT8_S1C_bDpT10_ENKUlT_T0_E_clISt17integral_constantIbLb1EES1P_EEDaS1K_S1L_EUlS1K_E_NS1_11comp_targetILNS1_3genE10ELNS1_11target_archE1200ELNS1_3gpuE4ELNS1_3repE0EEENS1_30default_config_static_selectorELNS0_4arch9wavefront6targetE1EEEvSY_
; %bb.0:
	.section	.rodata,"a",@progbits
	.p2align	6, 0x0
	.amdhsa_kernel _ZN7rocprim17ROCPRIM_400000_NS6detail17trampoline_kernelINS0_13select_configILj256ELj13ELNS0_17block_load_methodE3ELS4_3ELS4_3ELNS0_20block_scan_algorithmE0ELj4294967295EEENS1_25partition_config_selectorILNS1_17partition_subalgoE3EjNS0_10empty_typeEbEEZZNS1_14partition_implILS8_3ELb0ES6_jNS0_17counting_iteratorIjlEEPS9_SE_NS0_5tupleIJPjSE_EEENSF_IJSE_SE_EEES9_SG_JZNS1_25segmented_radix_sort_implINS0_14default_configELb0EPKsPsPKlPlN2at6native12_GLOBAL__N_18offset_tEEE10hipError_tPvRmT1_PNSt15iterator_traitsISY_E10value_typeET2_T3_PNSZ_IS14_E10value_typeET4_jRbjT5_S1A_jjP12ihipStream_tbEUljE_EEESV_SW_SX_S14_S18_S1A_T6_T7_T9_mT8_S1C_bDpT10_ENKUlT_T0_E_clISt17integral_constantIbLb1EES1P_EEDaS1K_S1L_EUlS1K_E_NS1_11comp_targetILNS1_3genE10ELNS1_11target_archE1200ELNS1_3gpuE4ELNS1_3repE0EEENS1_30default_config_static_selectorELNS0_4arch9wavefront6targetE1EEEvSY_
		.amdhsa_group_segment_fixed_size 0
		.amdhsa_private_segment_fixed_size 0
		.amdhsa_kernarg_size 152
		.amdhsa_user_sgpr_count 6
		.amdhsa_user_sgpr_private_segment_buffer 1
		.amdhsa_user_sgpr_dispatch_ptr 0
		.amdhsa_user_sgpr_queue_ptr 0
		.amdhsa_user_sgpr_kernarg_segment_ptr 1
		.amdhsa_user_sgpr_dispatch_id 0
		.amdhsa_user_sgpr_flat_scratch_init 0
		.amdhsa_user_sgpr_private_segment_size 0
		.amdhsa_uses_dynamic_stack 0
		.amdhsa_system_sgpr_private_segment_wavefront_offset 0
		.amdhsa_system_sgpr_workgroup_id_x 1
		.amdhsa_system_sgpr_workgroup_id_y 0
		.amdhsa_system_sgpr_workgroup_id_z 0
		.amdhsa_system_sgpr_workgroup_info 0
		.amdhsa_system_vgpr_workitem_id 0
		.amdhsa_next_free_vgpr 1
		.amdhsa_next_free_sgpr 0
		.amdhsa_reserve_vcc 0
		.amdhsa_reserve_flat_scratch 0
		.amdhsa_float_round_mode_32 0
		.amdhsa_float_round_mode_16_64 0
		.amdhsa_float_denorm_mode_32 3
		.amdhsa_float_denorm_mode_16_64 3
		.amdhsa_dx10_clamp 1
		.amdhsa_ieee_mode 1
		.amdhsa_fp16_overflow 0
		.amdhsa_exception_fp_ieee_invalid_op 0
		.amdhsa_exception_fp_denorm_src 0
		.amdhsa_exception_fp_ieee_div_zero 0
		.amdhsa_exception_fp_ieee_overflow 0
		.amdhsa_exception_fp_ieee_underflow 0
		.amdhsa_exception_fp_ieee_inexact 0
		.amdhsa_exception_int_div_zero 0
	.end_amdhsa_kernel
	.section	.text._ZN7rocprim17ROCPRIM_400000_NS6detail17trampoline_kernelINS0_13select_configILj256ELj13ELNS0_17block_load_methodE3ELS4_3ELS4_3ELNS0_20block_scan_algorithmE0ELj4294967295EEENS1_25partition_config_selectorILNS1_17partition_subalgoE3EjNS0_10empty_typeEbEEZZNS1_14partition_implILS8_3ELb0ES6_jNS0_17counting_iteratorIjlEEPS9_SE_NS0_5tupleIJPjSE_EEENSF_IJSE_SE_EEES9_SG_JZNS1_25segmented_radix_sort_implINS0_14default_configELb0EPKsPsPKlPlN2at6native12_GLOBAL__N_18offset_tEEE10hipError_tPvRmT1_PNSt15iterator_traitsISY_E10value_typeET2_T3_PNSZ_IS14_E10value_typeET4_jRbjT5_S1A_jjP12ihipStream_tbEUljE_EEESV_SW_SX_S14_S18_S1A_T6_T7_T9_mT8_S1C_bDpT10_ENKUlT_T0_E_clISt17integral_constantIbLb1EES1P_EEDaS1K_S1L_EUlS1K_E_NS1_11comp_targetILNS1_3genE10ELNS1_11target_archE1200ELNS1_3gpuE4ELNS1_3repE0EEENS1_30default_config_static_selectorELNS0_4arch9wavefront6targetE1EEEvSY_,"axG",@progbits,_ZN7rocprim17ROCPRIM_400000_NS6detail17trampoline_kernelINS0_13select_configILj256ELj13ELNS0_17block_load_methodE3ELS4_3ELS4_3ELNS0_20block_scan_algorithmE0ELj4294967295EEENS1_25partition_config_selectorILNS1_17partition_subalgoE3EjNS0_10empty_typeEbEEZZNS1_14partition_implILS8_3ELb0ES6_jNS0_17counting_iteratorIjlEEPS9_SE_NS0_5tupleIJPjSE_EEENSF_IJSE_SE_EEES9_SG_JZNS1_25segmented_radix_sort_implINS0_14default_configELb0EPKsPsPKlPlN2at6native12_GLOBAL__N_18offset_tEEE10hipError_tPvRmT1_PNSt15iterator_traitsISY_E10value_typeET2_T3_PNSZ_IS14_E10value_typeET4_jRbjT5_S1A_jjP12ihipStream_tbEUljE_EEESV_SW_SX_S14_S18_S1A_T6_T7_T9_mT8_S1C_bDpT10_ENKUlT_T0_E_clISt17integral_constantIbLb1EES1P_EEDaS1K_S1L_EUlS1K_E_NS1_11comp_targetILNS1_3genE10ELNS1_11target_archE1200ELNS1_3gpuE4ELNS1_3repE0EEENS1_30default_config_static_selectorELNS0_4arch9wavefront6targetE1EEEvSY_,comdat
.Lfunc_end995:
	.size	_ZN7rocprim17ROCPRIM_400000_NS6detail17trampoline_kernelINS0_13select_configILj256ELj13ELNS0_17block_load_methodE3ELS4_3ELS4_3ELNS0_20block_scan_algorithmE0ELj4294967295EEENS1_25partition_config_selectorILNS1_17partition_subalgoE3EjNS0_10empty_typeEbEEZZNS1_14partition_implILS8_3ELb0ES6_jNS0_17counting_iteratorIjlEEPS9_SE_NS0_5tupleIJPjSE_EEENSF_IJSE_SE_EEES9_SG_JZNS1_25segmented_radix_sort_implINS0_14default_configELb0EPKsPsPKlPlN2at6native12_GLOBAL__N_18offset_tEEE10hipError_tPvRmT1_PNSt15iterator_traitsISY_E10value_typeET2_T3_PNSZ_IS14_E10value_typeET4_jRbjT5_S1A_jjP12ihipStream_tbEUljE_EEESV_SW_SX_S14_S18_S1A_T6_T7_T9_mT8_S1C_bDpT10_ENKUlT_T0_E_clISt17integral_constantIbLb1EES1P_EEDaS1K_S1L_EUlS1K_E_NS1_11comp_targetILNS1_3genE10ELNS1_11target_archE1200ELNS1_3gpuE4ELNS1_3repE0EEENS1_30default_config_static_selectorELNS0_4arch9wavefront6targetE1EEEvSY_, .Lfunc_end995-_ZN7rocprim17ROCPRIM_400000_NS6detail17trampoline_kernelINS0_13select_configILj256ELj13ELNS0_17block_load_methodE3ELS4_3ELS4_3ELNS0_20block_scan_algorithmE0ELj4294967295EEENS1_25partition_config_selectorILNS1_17partition_subalgoE3EjNS0_10empty_typeEbEEZZNS1_14partition_implILS8_3ELb0ES6_jNS0_17counting_iteratorIjlEEPS9_SE_NS0_5tupleIJPjSE_EEENSF_IJSE_SE_EEES9_SG_JZNS1_25segmented_radix_sort_implINS0_14default_configELb0EPKsPsPKlPlN2at6native12_GLOBAL__N_18offset_tEEE10hipError_tPvRmT1_PNSt15iterator_traitsISY_E10value_typeET2_T3_PNSZ_IS14_E10value_typeET4_jRbjT5_S1A_jjP12ihipStream_tbEUljE_EEESV_SW_SX_S14_S18_S1A_T6_T7_T9_mT8_S1C_bDpT10_ENKUlT_T0_E_clISt17integral_constantIbLb1EES1P_EEDaS1K_S1L_EUlS1K_E_NS1_11comp_targetILNS1_3genE10ELNS1_11target_archE1200ELNS1_3gpuE4ELNS1_3repE0EEENS1_30default_config_static_selectorELNS0_4arch9wavefront6targetE1EEEvSY_
                                        ; -- End function
	.set _ZN7rocprim17ROCPRIM_400000_NS6detail17trampoline_kernelINS0_13select_configILj256ELj13ELNS0_17block_load_methodE3ELS4_3ELS4_3ELNS0_20block_scan_algorithmE0ELj4294967295EEENS1_25partition_config_selectorILNS1_17partition_subalgoE3EjNS0_10empty_typeEbEEZZNS1_14partition_implILS8_3ELb0ES6_jNS0_17counting_iteratorIjlEEPS9_SE_NS0_5tupleIJPjSE_EEENSF_IJSE_SE_EEES9_SG_JZNS1_25segmented_radix_sort_implINS0_14default_configELb0EPKsPsPKlPlN2at6native12_GLOBAL__N_18offset_tEEE10hipError_tPvRmT1_PNSt15iterator_traitsISY_E10value_typeET2_T3_PNSZ_IS14_E10value_typeET4_jRbjT5_S1A_jjP12ihipStream_tbEUljE_EEESV_SW_SX_S14_S18_S1A_T6_T7_T9_mT8_S1C_bDpT10_ENKUlT_T0_E_clISt17integral_constantIbLb1EES1P_EEDaS1K_S1L_EUlS1K_E_NS1_11comp_targetILNS1_3genE10ELNS1_11target_archE1200ELNS1_3gpuE4ELNS1_3repE0EEENS1_30default_config_static_selectorELNS0_4arch9wavefront6targetE1EEEvSY_.num_vgpr, 0
	.set _ZN7rocprim17ROCPRIM_400000_NS6detail17trampoline_kernelINS0_13select_configILj256ELj13ELNS0_17block_load_methodE3ELS4_3ELS4_3ELNS0_20block_scan_algorithmE0ELj4294967295EEENS1_25partition_config_selectorILNS1_17partition_subalgoE3EjNS0_10empty_typeEbEEZZNS1_14partition_implILS8_3ELb0ES6_jNS0_17counting_iteratorIjlEEPS9_SE_NS0_5tupleIJPjSE_EEENSF_IJSE_SE_EEES9_SG_JZNS1_25segmented_radix_sort_implINS0_14default_configELb0EPKsPsPKlPlN2at6native12_GLOBAL__N_18offset_tEEE10hipError_tPvRmT1_PNSt15iterator_traitsISY_E10value_typeET2_T3_PNSZ_IS14_E10value_typeET4_jRbjT5_S1A_jjP12ihipStream_tbEUljE_EEESV_SW_SX_S14_S18_S1A_T6_T7_T9_mT8_S1C_bDpT10_ENKUlT_T0_E_clISt17integral_constantIbLb1EES1P_EEDaS1K_S1L_EUlS1K_E_NS1_11comp_targetILNS1_3genE10ELNS1_11target_archE1200ELNS1_3gpuE4ELNS1_3repE0EEENS1_30default_config_static_selectorELNS0_4arch9wavefront6targetE1EEEvSY_.num_agpr, 0
	.set _ZN7rocprim17ROCPRIM_400000_NS6detail17trampoline_kernelINS0_13select_configILj256ELj13ELNS0_17block_load_methodE3ELS4_3ELS4_3ELNS0_20block_scan_algorithmE0ELj4294967295EEENS1_25partition_config_selectorILNS1_17partition_subalgoE3EjNS0_10empty_typeEbEEZZNS1_14partition_implILS8_3ELb0ES6_jNS0_17counting_iteratorIjlEEPS9_SE_NS0_5tupleIJPjSE_EEENSF_IJSE_SE_EEES9_SG_JZNS1_25segmented_radix_sort_implINS0_14default_configELb0EPKsPsPKlPlN2at6native12_GLOBAL__N_18offset_tEEE10hipError_tPvRmT1_PNSt15iterator_traitsISY_E10value_typeET2_T3_PNSZ_IS14_E10value_typeET4_jRbjT5_S1A_jjP12ihipStream_tbEUljE_EEESV_SW_SX_S14_S18_S1A_T6_T7_T9_mT8_S1C_bDpT10_ENKUlT_T0_E_clISt17integral_constantIbLb1EES1P_EEDaS1K_S1L_EUlS1K_E_NS1_11comp_targetILNS1_3genE10ELNS1_11target_archE1200ELNS1_3gpuE4ELNS1_3repE0EEENS1_30default_config_static_selectorELNS0_4arch9wavefront6targetE1EEEvSY_.numbered_sgpr, 0
	.set _ZN7rocprim17ROCPRIM_400000_NS6detail17trampoline_kernelINS0_13select_configILj256ELj13ELNS0_17block_load_methodE3ELS4_3ELS4_3ELNS0_20block_scan_algorithmE0ELj4294967295EEENS1_25partition_config_selectorILNS1_17partition_subalgoE3EjNS0_10empty_typeEbEEZZNS1_14partition_implILS8_3ELb0ES6_jNS0_17counting_iteratorIjlEEPS9_SE_NS0_5tupleIJPjSE_EEENSF_IJSE_SE_EEES9_SG_JZNS1_25segmented_radix_sort_implINS0_14default_configELb0EPKsPsPKlPlN2at6native12_GLOBAL__N_18offset_tEEE10hipError_tPvRmT1_PNSt15iterator_traitsISY_E10value_typeET2_T3_PNSZ_IS14_E10value_typeET4_jRbjT5_S1A_jjP12ihipStream_tbEUljE_EEESV_SW_SX_S14_S18_S1A_T6_T7_T9_mT8_S1C_bDpT10_ENKUlT_T0_E_clISt17integral_constantIbLb1EES1P_EEDaS1K_S1L_EUlS1K_E_NS1_11comp_targetILNS1_3genE10ELNS1_11target_archE1200ELNS1_3gpuE4ELNS1_3repE0EEENS1_30default_config_static_selectorELNS0_4arch9wavefront6targetE1EEEvSY_.num_named_barrier, 0
	.set _ZN7rocprim17ROCPRIM_400000_NS6detail17trampoline_kernelINS0_13select_configILj256ELj13ELNS0_17block_load_methodE3ELS4_3ELS4_3ELNS0_20block_scan_algorithmE0ELj4294967295EEENS1_25partition_config_selectorILNS1_17partition_subalgoE3EjNS0_10empty_typeEbEEZZNS1_14partition_implILS8_3ELb0ES6_jNS0_17counting_iteratorIjlEEPS9_SE_NS0_5tupleIJPjSE_EEENSF_IJSE_SE_EEES9_SG_JZNS1_25segmented_radix_sort_implINS0_14default_configELb0EPKsPsPKlPlN2at6native12_GLOBAL__N_18offset_tEEE10hipError_tPvRmT1_PNSt15iterator_traitsISY_E10value_typeET2_T3_PNSZ_IS14_E10value_typeET4_jRbjT5_S1A_jjP12ihipStream_tbEUljE_EEESV_SW_SX_S14_S18_S1A_T6_T7_T9_mT8_S1C_bDpT10_ENKUlT_T0_E_clISt17integral_constantIbLb1EES1P_EEDaS1K_S1L_EUlS1K_E_NS1_11comp_targetILNS1_3genE10ELNS1_11target_archE1200ELNS1_3gpuE4ELNS1_3repE0EEENS1_30default_config_static_selectorELNS0_4arch9wavefront6targetE1EEEvSY_.private_seg_size, 0
	.set _ZN7rocprim17ROCPRIM_400000_NS6detail17trampoline_kernelINS0_13select_configILj256ELj13ELNS0_17block_load_methodE3ELS4_3ELS4_3ELNS0_20block_scan_algorithmE0ELj4294967295EEENS1_25partition_config_selectorILNS1_17partition_subalgoE3EjNS0_10empty_typeEbEEZZNS1_14partition_implILS8_3ELb0ES6_jNS0_17counting_iteratorIjlEEPS9_SE_NS0_5tupleIJPjSE_EEENSF_IJSE_SE_EEES9_SG_JZNS1_25segmented_radix_sort_implINS0_14default_configELb0EPKsPsPKlPlN2at6native12_GLOBAL__N_18offset_tEEE10hipError_tPvRmT1_PNSt15iterator_traitsISY_E10value_typeET2_T3_PNSZ_IS14_E10value_typeET4_jRbjT5_S1A_jjP12ihipStream_tbEUljE_EEESV_SW_SX_S14_S18_S1A_T6_T7_T9_mT8_S1C_bDpT10_ENKUlT_T0_E_clISt17integral_constantIbLb1EES1P_EEDaS1K_S1L_EUlS1K_E_NS1_11comp_targetILNS1_3genE10ELNS1_11target_archE1200ELNS1_3gpuE4ELNS1_3repE0EEENS1_30default_config_static_selectorELNS0_4arch9wavefront6targetE1EEEvSY_.uses_vcc, 0
	.set _ZN7rocprim17ROCPRIM_400000_NS6detail17trampoline_kernelINS0_13select_configILj256ELj13ELNS0_17block_load_methodE3ELS4_3ELS4_3ELNS0_20block_scan_algorithmE0ELj4294967295EEENS1_25partition_config_selectorILNS1_17partition_subalgoE3EjNS0_10empty_typeEbEEZZNS1_14partition_implILS8_3ELb0ES6_jNS0_17counting_iteratorIjlEEPS9_SE_NS0_5tupleIJPjSE_EEENSF_IJSE_SE_EEES9_SG_JZNS1_25segmented_radix_sort_implINS0_14default_configELb0EPKsPsPKlPlN2at6native12_GLOBAL__N_18offset_tEEE10hipError_tPvRmT1_PNSt15iterator_traitsISY_E10value_typeET2_T3_PNSZ_IS14_E10value_typeET4_jRbjT5_S1A_jjP12ihipStream_tbEUljE_EEESV_SW_SX_S14_S18_S1A_T6_T7_T9_mT8_S1C_bDpT10_ENKUlT_T0_E_clISt17integral_constantIbLb1EES1P_EEDaS1K_S1L_EUlS1K_E_NS1_11comp_targetILNS1_3genE10ELNS1_11target_archE1200ELNS1_3gpuE4ELNS1_3repE0EEENS1_30default_config_static_selectorELNS0_4arch9wavefront6targetE1EEEvSY_.uses_flat_scratch, 0
	.set _ZN7rocprim17ROCPRIM_400000_NS6detail17trampoline_kernelINS0_13select_configILj256ELj13ELNS0_17block_load_methodE3ELS4_3ELS4_3ELNS0_20block_scan_algorithmE0ELj4294967295EEENS1_25partition_config_selectorILNS1_17partition_subalgoE3EjNS0_10empty_typeEbEEZZNS1_14partition_implILS8_3ELb0ES6_jNS0_17counting_iteratorIjlEEPS9_SE_NS0_5tupleIJPjSE_EEENSF_IJSE_SE_EEES9_SG_JZNS1_25segmented_radix_sort_implINS0_14default_configELb0EPKsPsPKlPlN2at6native12_GLOBAL__N_18offset_tEEE10hipError_tPvRmT1_PNSt15iterator_traitsISY_E10value_typeET2_T3_PNSZ_IS14_E10value_typeET4_jRbjT5_S1A_jjP12ihipStream_tbEUljE_EEESV_SW_SX_S14_S18_S1A_T6_T7_T9_mT8_S1C_bDpT10_ENKUlT_T0_E_clISt17integral_constantIbLb1EES1P_EEDaS1K_S1L_EUlS1K_E_NS1_11comp_targetILNS1_3genE10ELNS1_11target_archE1200ELNS1_3gpuE4ELNS1_3repE0EEENS1_30default_config_static_selectorELNS0_4arch9wavefront6targetE1EEEvSY_.has_dyn_sized_stack, 0
	.set _ZN7rocprim17ROCPRIM_400000_NS6detail17trampoline_kernelINS0_13select_configILj256ELj13ELNS0_17block_load_methodE3ELS4_3ELS4_3ELNS0_20block_scan_algorithmE0ELj4294967295EEENS1_25partition_config_selectorILNS1_17partition_subalgoE3EjNS0_10empty_typeEbEEZZNS1_14partition_implILS8_3ELb0ES6_jNS0_17counting_iteratorIjlEEPS9_SE_NS0_5tupleIJPjSE_EEENSF_IJSE_SE_EEES9_SG_JZNS1_25segmented_radix_sort_implINS0_14default_configELb0EPKsPsPKlPlN2at6native12_GLOBAL__N_18offset_tEEE10hipError_tPvRmT1_PNSt15iterator_traitsISY_E10value_typeET2_T3_PNSZ_IS14_E10value_typeET4_jRbjT5_S1A_jjP12ihipStream_tbEUljE_EEESV_SW_SX_S14_S18_S1A_T6_T7_T9_mT8_S1C_bDpT10_ENKUlT_T0_E_clISt17integral_constantIbLb1EES1P_EEDaS1K_S1L_EUlS1K_E_NS1_11comp_targetILNS1_3genE10ELNS1_11target_archE1200ELNS1_3gpuE4ELNS1_3repE0EEENS1_30default_config_static_selectorELNS0_4arch9wavefront6targetE1EEEvSY_.has_recursion, 0
	.set _ZN7rocprim17ROCPRIM_400000_NS6detail17trampoline_kernelINS0_13select_configILj256ELj13ELNS0_17block_load_methodE3ELS4_3ELS4_3ELNS0_20block_scan_algorithmE0ELj4294967295EEENS1_25partition_config_selectorILNS1_17partition_subalgoE3EjNS0_10empty_typeEbEEZZNS1_14partition_implILS8_3ELb0ES6_jNS0_17counting_iteratorIjlEEPS9_SE_NS0_5tupleIJPjSE_EEENSF_IJSE_SE_EEES9_SG_JZNS1_25segmented_radix_sort_implINS0_14default_configELb0EPKsPsPKlPlN2at6native12_GLOBAL__N_18offset_tEEE10hipError_tPvRmT1_PNSt15iterator_traitsISY_E10value_typeET2_T3_PNSZ_IS14_E10value_typeET4_jRbjT5_S1A_jjP12ihipStream_tbEUljE_EEESV_SW_SX_S14_S18_S1A_T6_T7_T9_mT8_S1C_bDpT10_ENKUlT_T0_E_clISt17integral_constantIbLb1EES1P_EEDaS1K_S1L_EUlS1K_E_NS1_11comp_targetILNS1_3genE10ELNS1_11target_archE1200ELNS1_3gpuE4ELNS1_3repE0EEENS1_30default_config_static_selectorELNS0_4arch9wavefront6targetE1EEEvSY_.has_indirect_call, 0
	.section	.AMDGPU.csdata,"",@progbits
; Kernel info:
; codeLenInByte = 0
; TotalNumSgprs: 4
; NumVgprs: 0
; ScratchSize: 0
; MemoryBound: 0
; FloatMode: 240
; IeeeMode: 1
; LDSByteSize: 0 bytes/workgroup (compile time only)
; SGPRBlocks: 0
; VGPRBlocks: 0
; NumSGPRsForWavesPerEU: 4
; NumVGPRsForWavesPerEU: 1
; Occupancy: 10
; WaveLimiterHint : 0
; COMPUTE_PGM_RSRC2:SCRATCH_EN: 0
; COMPUTE_PGM_RSRC2:USER_SGPR: 6
; COMPUTE_PGM_RSRC2:TRAP_HANDLER: 0
; COMPUTE_PGM_RSRC2:TGID_X_EN: 1
; COMPUTE_PGM_RSRC2:TGID_Y_EN: 0
; COMPUTE_PGM_RSRC2:TGID_Z_EN: 0
; COMPUTE_PGM_RSRC2:TIDIG_COMP_CNT: 0
	.section	.text._ZN7rocprim17ROCPRIM_400000_NS6detail17trampoline_kernelINS0_13select_configILj256ELj13ELNS0_17block_load_methodE3ELS4_3ELS4_3ELNS0_20block_scan_algorithmE0ELj4294967295EEENS1_25partition_config_selectorILNS1_17partition_subalgoE3EjNS0_10empty_typeEbEEZZNS1_14partition_implILS8_3ELb0ES6_jNS0_17counting_iteratorIjlEEPS9_SE_NS0_5tupleIJPjSE_EEENSF_IJSE_SE_EEES9_SG_JZNS1_25segmented_radix_sort_implINS0_14default_configELb0EPKsPsPKlPlN2at6native12_GLOBAL__N_18offset_tEEE10hipError_tPvRmT1_PNSt15iterator_traitsISY_E10value_typeET2_T3_PNSZ_IS14_E10value_typeET4_jRbjT5_S1A_jjP12ihipStream_tbEUljE_EEESV_SW_SX_S14_S18_S1A_T6_T7_T9_mT8_S1C_bDpT10_ENKUlT_T0_E_clISt17integral_constantIbLb1EES1P_EEDaS1K_S1L_EUlS1K_E_NS1_11comp_targetILNS1_3genE9ELNS1_11target_archE1100ELNS1_3gpuE3ELNS1_3repE0EEENS1_30default_config_static_selectorELNS0_4arch9wavefront6targetE1EEEvSY_,"axG",@progbits,_ZN7rocprim17ROCPRIM_400000_NS6detail17trampoline_kernelINS0_13select_configILj256ELj13ELNS0_17block_load_methodE3ELS4_3ELS4_3ELNS0_20block_scan_algorithmE0ELj4294967295EEENS1_25partition_config_selectorILNS1_17partition_subalgoE3EjNS0_10empty_typeEbEEZZNS1_14partition_implILS8_3ELb0ES6_jNS0_17counting_iteratorIjlEEPS9_SE_NS0_5tupleIJPjSE_EEENSF_IJSE_SE_EEES9_SG_JZNS1_25segmented_radix_sort_implINS0_14default_configELb0EPKsPsPKlPlN2at6native12_GLOBAL__N_18offset_tEEE10hipError_tPvRmT1_PNSt15iterator_traitsISY_E10value_typeET2_T3_PNSZ_IS14_E10value_typeET4_jRbjT5_S1A_jjP12ihipStream_tbEUljE_EEESV_SW_SX_S14_S18_S1A_T6_T7_T9_mT8_S1C_bDpT10_ENKUlT_T0_E_clISt17integral_constantIbLb1EES1P_EEDaS1K_S1L_EUlS1K_E_NS1_11comp_targetILNS1_3genE9ELNS1_11target_archE1100ELNS1_3gpuE3ELNS1_3repE0EEENS1_30default_config_static_selectorELNS0_4arch9wavefront6targetE1EEEvSY_,comdat
	.globl	_ZN7rocprim17ROCPRIM_400000_NS6detail17trampoline_kernelINS0_13select_configILj256ELj13ELNS0_17block_load_methodE3ELS4_3ELS4_3ELNS0_20block_scan_algorithmE0ELj4294967295EEENS1_25partition_config_selectorILNS1_17partition_subalgoE3EjNS0_10empty_typeEbEEZZNS1_14partition_implILS8_3ELb0ES6_jNS0_17counting_iteratorIjlEEPS9_SE_NS0_5tupleIJPjSE_EEENSF_IJSE_SE_EEES9_SG_JZNS1_25segmented_radix_sort_implINS0_14default_configELb0EPKsPsPKlPlN2at6native12_GLOBAL__N_18offset_tEEE10hipError_tPvRmT1_PNSt15iterator_traitsISY_E10value_typeET2_T3_PNSZ_IS14_E10value_typeET4_jRbjT5_S1A_jjP12ihipStream_tbEUljE_EEESV_SW_SX_S14_S18_S1A_T6_T7_T9_mT8_S1C_bDpT10_ENKUlT_T0_E_clISt17integral_constantIbLb1EES1P_EEDaS1K_S1L_EUlS1K_E_NS1_11comp_targetILNS1_3genE9ELNS1_11target_archE1100ELNS1_3gpuE3ELNS1_3repE0EEENS1_30default_config_static_selectorELNS0_4arch9wavefront6targetE1EEEvSY_ ; -- Begin function _ZN7rocprim17ROCPRIM_400000_NS6detail17trampoline_kernelINS0_13select_configILj256ELj13ELNS0_17block_load_methodE3ELS4_3ELS4_3ELNS0_20block_scan_algorithmE0ELj4294967295EEENS1_25partition_config_selectorILNS1_17partition_subalgoE3EjNS0_10empty_typeEbEEZZNS1_14partition_implILS8_3ELb0ES6_jNS0_17counting_iteratorIjlEEPS9_SE_NS0_5tupleIJPjSE_EEENSF_IJSE_SE_EEES9_SG_JZNS1_25segmented_radix_sort_implINS0_14default_configELb0EPKsPsPKlPlN2at6native12_GLOBAL__N_18offset_tEEE10hipError_tPvRmT1_PNSt15iterator_traitsISY_E10value_typeET2_T3_PNSZ_IS14_E10value_typeET4_jRbjT5_S1A_jjP12ihipStream_tbEUljE_EEESV_SW_SX_S14_S18_S1A_T6_T7_T9_mT8_S1C_bDpT10_ENKUlT_T0_E_clISt17integral_constantIbLb1EES1P_EEDaS1K_S1L_EUlS1K_E_NS1_11comp_targetILNS1_3genE9ELNS1_11target_archE1100ELNS1_3gpuE3ELNS1_3repE0EEENS1_30default_config_static_selectorELNS0_4arch9wavefront6targetE1EEEvSY_
	.p2align	8
	.type	_ZN7rocprim17ROCPRIM_400000_NS6detail17trampoline_kernelINS0_13select_configILj256ELj13ELNS0_17block_load_methodE3ELS4_3ELS4_3ELNS0_20block_scan_algorithmE0ELj4294967295EEENS1_25partition_config_selectorILNS1_17partition_subalgoE3EjNS0_10empty_typeEbEEZZNS1_14partition_implILS8_3ELb0ES6_jNS0_17counting_iteratorIjlEEPS9_SE_NS0_5tupleIJPjSE_EEENSF_IJSE_SE_EEES9_SG_JZNS1_25segmented_radix_sort_implINS0_14default_configELb0EPKsPsPKlPlN2at6native12_GLOBAL__N_18offset_tEEE10hipError_tPvRmT1_PNSt15iterator_traitsISY_E10value_typeET2_T3_PNSZ_IS14_E10value_typeET4_jRbjT5_S1A_jjP12ihipStream_tbEUljE_EEESV_SW_SX_S14_S18_S1A_T6_T7_T9_mT8_S1C_bDpT10_ENKUlT_T0_E_clISt17integral_constantIbLb1EES1P_EEDaS1K_S1L_EUlS1K_E_NS1_11comp_targetILNS1_3genE9ELNS1_11target_archE1100ELNS1_3gpuE3ELNS1_3repE0EEENS1_30default_config_static_selectorELNS0_4arch9wavefront6targetE1EEEvSY_,@function
_ZN7rocprim17ROCPRIM_400000_NS6detail17trampoline_kernelINS0_13select_configILj256ELj13ELNS0_17block_load_methodE3ELS4_3ELS4_3ELNS0_20block_scan_algorithmE0ELj4294967295EEENS1_25partition_config_selectorILNS1_17partition_subalgoE3EjNS0_10empty_typeEbEEZZNS1_14partition_implILS8_3ELb0ES6_jNS0_17counting_iteratorIjlEEPS9_SE_NS0_5tupleIJPjSE_EEENSF_IJSE_SE_EEES9_SG_JZNS1_25segmented_radix_sort_implINS0_14default_configELb0EPKsPsPKlPlN2at6native12_GLOBAL__N_18offset_tEEE10hipError_tPvRmT1_PNSt15iterator_traitsISY_E10value_typeET2_T3_PNSZ_IS14_E10value_typeET4_jRbjT5_S1A_jjP12ihipStream_tbEUljE_EEESV_SW_SX_S14_S18_S1A_T6_T7_T9_mT8_S1C_bDpT10_ENKUlT_T0_E_clISt17integral_constantIbLb1EES1P_EEDaS1K_S1L_EUlS1K_E_NS1_11comp_targetILNS1_3genE9ELNS1_11target_archE1100ELNS1_3gpuE3ELNS1_3repE0EEENS1_30default_config_static_selectorELNS0_4arch9wavefront6targetE1EEEvSY_: ; @_ZN7rocprim17ROCPRIM_400000_NS6detail17trampoline_kernelINS0_13select_configILj256ELj13ELNS0_17block_load_methodE3ELS4_3ELS4_3ELNS0_20block_scan_algorithmE0ELj4294967295EEENS1_25partition_config_selectorILNS1_17partition_subalgoE3EjNS0_10empty_typeEbEEZZNS1_14partition_implILS8_3ELb0ES6_jNS0_17counting_iteratorIjlEEPS9_SE_NS0_5tupleIJPjSE_EEENSF_IJSE_SE_EEES9_SG_JZNS1_25segmented_radix_sort_implINS0_14default_configELb0EPKsPsPKlPlN2at6native12_GLOBAL__N_18offset_tEEE10hipError_tPvRmT1_PNSt15iterator_traitsISY_E10value_typeET2_T3_PNSZ_IS14_E10value_typeET4_jRbjT5_S1A_jjP12ihipStream_tbEUljE_EEESV_SW_SX_S14_S18_S1A_T6_T7_T9_mT8_S1C_bDpT10_ENKUlT_T0_E_clISt17integral_constantIbLb1EES1P_EEDaS1K_S1L_EUlS1K_E_NS1_11comp_targetILNS1_3genE9ELNS1_11target_archE1100ELNS1_3gpuE3ELNS1_3repE0EEENS1_30default_config_static_selectorELNS0_4arch9wavefront6targetE1EEEvSY_
; %bb.0:
	.section	.rodata,"a",@progbits
	.p2align	6, 0x0
	.amdhsa_kernel _ZN7rocprim17ROCPRIM_400000_NS6detail17trampoline_kernelINS0_13select_configILj256ELj13ELNS0_17block_load_methodE3ELS4_3ELS4_3ELNS0_20block_scan_algorithmE0ELj4294967295EEENS1_25partition_config_selectorILNS1_17partition_subalgoE3EjNS0_10empty_typeEbEEZZNS1_14partition_implILS8_3ELb0ES6_jNS0_17counting_iteratorIjlEEPS9_SE_NS0_5tupleIJPjSE_EEENSF_IJSE_SE_EEES9_SG_JZNS1_25segmented_radix_sort_implINS0_14default_configELb0EPKsPsPKlPlN2at6native12_GLOBAL__N_18offset_tEEE10hipError_tPvRmT1_PNSt15iterator_traitsISY_E10value_typeET2_T3_PNSZ_IS14_E10value_typeET4_jRbjT5_S1A_jjP12ihipStream_tbEUljE_EEESV_SW_SX_S14_S18_S1A_T6_T7_T9_mT8_S1C_bDpT10_ENKUlT_T0_E_clISt17integral_constantIbLb1EES1P_EEDaS1K_S1L_EUlS1K_E_NS1_11comp_targetILNS1_3genE9ELNS1_11target_archE1100ELNS1_3gpuE3ELNS1_3repE0EEENS1_30default_config_static_selectorELNS0_4arch9wavefront6targetE1EEEvSY_
		.amdhsa_group_segment_fixed_size 0
		.amdhsa_private_segment_fixed_size 0
		.amdhsa_kernarg_size 152
		.amdhsa_user_sgpr_count 6
		.amdhsa_user_sgpr_private_segment_buffer 1
		.amdhsa_user_sgpr_dispatch_ptr 0
		.amdhsa_user_sgpr_queue_ptr 0
		.amdhsa_user_sgpr_kernarg_segment_ptr 1
		.amdhsa_user_sgpr_dispatch_id 0
		.amdhsa_user_sgpr_flat_scratch_init 0
		.amdhsa_user_sgpr_private_segment_size 0
		.amdhsa_uses_dynamic_stack 0
		.amdhsa_system_sgpr_private_segment_wavefront_offset 0
		.amdhsa_system_sgpr_workgroup_id_x 1
		.amdhsa_system_sgpr_workgroup_id_y 0
		.amdhsa_system_sgpr_workgroup_id_z 0
		.amdhsa_system_sgpr_workgroup_info 0
		.amdhsa_system_vgpr_workitem_id 0
		.amdhsa_next_free_vgpr 1
		.amdhsa_next_free_sgpr 0
		.amdhsa_reserve_vcc 0
		.amdhsa_reserve_flat_scratch 0
		.amdhsa_float_round_mode_32 0
		.amdhsa_float_round_mode_16_64 0
		.amdhsa_float_denorm_mode_32 3
		.amdhsa_float_denorm_mode_16_64 3
		.amdhsa_dx10_clamp 1
		.amdhsa_ieee_mode 1
		.amdhsa_fp16_overflow 0
		.amdhsa_exception_fp_ieee_invalid_op 0
		.amdhsa_exception_fp_denorm_src 0
		.amdhsa_exception_fp_ieee_div_zero 0
		.amdhsa_exception_fp_ieee_overflow 0
		.amdhsa_exception_fp_ieee_underflow 0
		.amdhsa_exception_fp_ieee_inexact 0
		.amdhsa_exception_int_div_zero 0
	.end_amdhsa_kernel
	.section	.text._ZN7rocprim17ROCPRIM_400000_NS6detail17trampoline_kernelINS0_13select_configILj256ELj13ELNS0_17block_load_methodE3ELS4_3ELS4_3ELNS0_20block_scan_algorithmE0ELj4294967295EEENS1_25partition_config_selectorILNS1_17partition_subalgoE3EjNS0_10empty_typeEbEEZZNS1_14partition_implILS8_3ELb0ES6_jNS0_17counting_iteratorIjlEEPS9_SE_NS0_5tupleIJPjSE_EEENSF_IJSE_SE_EEES9_SG_JZNS1_25segmented_radix_sort_implINS0_14default_configELb0EPKsPsPKlPlN2at6native12_GLOBAL__N_18offset_tEEE10hipError_tPvRmT1_PNSt15iterator_traitsISY_E10value_typeET2_T3_PNSZ_IS14_E10value_typeET4_jRbjT5_S1A_jjP12ihipStream_tbEUljE_EEESV_SW_SX_S14_S18_S1A_T6_T7_T9_mT8_S1C_bDpT10_ENKUlT_T0_E_clISt17integral_constantIbLb1EES1P_EEDaS1K_S1L_EUlS1K_E_NS1_11comp_targetILNS1_3genE9ELNS1_11target_archE1100ELNS1_3gpuE3ELNS1_3repE0EEENS1_30default_config_static_selectorELNS0_4arch9wavefront6targetE1EEEvSY_,"axG",@progbits,_ZN7rocprim17ROCPRIM_400000_NS6detail17trampoline_kernelINS0_13select_configILj256ELj13ELNS0_17block_load_methodE3ELS4_3ELS4_3ELNS0_20block_scan_algorithmE0ELj4294967295EEENS1_25partition_config_selectorILNS1_17partition_subalgoE3EjNS0_10empty_typeEbEEZZNS1_14partition_implILS8_3ELb0ES6_jNS0_17counting_iteratorIjlEEPS9_SE_NS0_5tupleIJPjSE_EEENSF_IJSE_SE_EEES9_SG_JZNS1_25segmented_radix_sort_implINS0_14default_configELb0EPKsPsPKlPlN2at6native12_GLOBAL__N_18offset_tEEE10hipError_tPvRmT1_PNSt15iterator_traitsISY_E10value_typeET2_T3_PNSZ_IS14_E10value_typeET4_jRbjT5_S1A_jjP12ihipStream_tbEUljE_EEESV_SW_SX_S14_S18_S1A_T6_T7_T9_mT8_S1C_bDpT10_ENKUlT_T0_E_clISt17integral_constantIbLb1EES1P_EEDaS1K_S1L_EUlS1K_E_NS1_11comp_targetILNS1_3genE9ELNS1_11target_archE1100ELNS1_3gpuE3ELNS1_3repE0EEENS1_30default_config_static_selectorELNS0_4arch9wavefront6targetE1EEEvSY_,comdat
.Lfunc_end996:
	.size	_ZN7rocprim17ROCPRIM_400000_NS6detail17trampoline_kernelINS0_13select_configILj256ELj13ELNS0_17block_load_methodE3ELS4_3ELS4_3ELNS0_20block_scan_algorithmE0ELj4294967295EEENS1_25partition_config_selectorILNS1_17partition_subalgoE3EjNS0_10empty_typeEbEEZZNS1_14partition_implILS8_3ELb0ES6_jNS0_17counting_iteratorIjlEEPS9_SE_NS0_5tupleIJPjSE_EEENSF_IJSE_SE_EEES9_SG_JZNS1_25segmented_radix_sort_implINS0_14default_configELb0EPKsPsPKlPlN2at6native12_GLOBAL__N_18offset_tEEE10hipError_tPvRmT1_PNSt15iterator_traitsISY_E10value_typeET2_T3_PNSZ_IS14_E10value_typeET4_jRbjT5_S1A_jjP12ihipStream_tbEUljE_EEESV_SW_SX_S14_S18_S1A_T6_T7_T9_mT8_S1C_bDpT10_ENKUlT_T0_E_clISt17integral_constantIbLb1EES1P_EEDaS1K_S1L_EUlS1K_E_NS1_11comp_targetILNS1_3genE9ELNS1_11target_archE1100ELNS1_3gpuE3ELNS1_3repE0EEENS1_30default_config_static_selectorELNS0_4arch9wavefront6targetE1EEEvSY_, .Lfunc_end996-_ZN7rocprim17ROCPRIM_400000_NS6detail17trampoline_kernelINS0_13select_configILj256ELj13ELNS0_17block_load_methodE3ELS4_3ELS4_3ELNS0_20block_scan_algorithmE0ELj4294967295EEENS1_25partition_config_selectorILNS1_17partition_subalgoE3EjNS0_10empty_typeEbEEZZNS1_14partition_implILS8_3ELb0ES6_jNS0_17counting_iteratorIjlEEPS9_SE_NS0_5tupleIJPjSE_EEENSF_IJSE_SE_EEES9_SG_JZNS1_25segmented_radix_sort_implINS0_14default_configELb0EPKsPsPKlPlN2at6native12_GLOBAL__N_18offset_tEEE10hipError_tPvRmT1_PNSt15iterator_traitsISY_E10value_typeET2_T3_PNSZ_IS14_E10value_typeET4_jRbjT5_S1A_jjP12ihipStream_tbEUljE_EEESV_SW_SX_S14_S18_S1A_T6_T7_T9_mT8_S1C_bDpT10_ENKUlT_T0_E_clISt17integral_constantIbLb1EES1P_EEDaS1K_S1L_EUlS1K_E_NS1_11comp_targetILNS1_3genE9ELNS1_11target_archE1100ELNS1_3gpuE3ELNS1_3repE0EEENS1_30default_config_static_selectorELNS0_4arch9wavefront6targetE1EEEvSY_
                                        ; -- End function
	.set _ZN7rocprim17ROCPRIM_400000_NS6detail17trampoline_kernelINS0_13select_configILj256ELj13ELNS0_17block_load_methodE3ELS4_3ELS4_3ELNS0_20block_scan_algorithmE0ELj4294967295EEENS1_25partition_config_selectorILNS1_17partition_subalgoE3EjNS0_10empty_typeEbEEZZNS1_14partition_implILS8_3ELb0ES6_jNS0_17counting_iteratorIjlEEPS9_SE_NS0_5tupleIJPjSE_EEENSF_IJSE_SE_EEES9_SG_JZNS1_25segmented_radix_sort_implINS0_14default_configELb0EPKsPsPKlPlN2at6native12_GLOBAL__N_18offset_tEEE10hipError_tPvRmT1_PNSt15iterator_traitsISY_E10value_typeET2_T3_PNSZ_IS14_E10value_typeET4_jRbjT5_S1A_jjP12ihipStream_tbEUljE_EEESV_SW_SX_S14_S18_S1A_T6_T7_T9_mT8_S1C_bDpT10_ENKUlT_T0_E_clISt17integral_constantIbLb1EES1P_EEDaS1K_S1L_EUlS1K_E_NS1_11comp_targetILNS1_3genE9ELNS1_11target_archE1100ELNS1_3gpuE3ELNS1_3repE0EEENS1_30default_config_static_selectorELNS0_4arch9wavefront6targetE1EEEvSY_.num_vgpr, 0
	.set _ZN7rocprim17ROCPRIM_400000_NS6detail17trampoline_kernelINS0_13select_configILj256ELj13ELNS0_17block_load_methodE3ELS4_3ELS4_3ELNS0_20block_scan_algorithmE0ELj4294967295EEENS1_25partition_config_selectorILNS1_17partition_subalgoE3EjNS0_10empty_typeEbEEZZNS1_14partition_implILS8_3ELb0ES6_jNS0_17counting_iteratorIjlEEPS9_SE_NS0_5tupleIJPjSE_EEENSF_IJSE_SE_EEES9_SG_JZNS1_25segmented_radix_sort_implINS0_14default_configELb0EPKsPsPKlPlN2at6native12_GLOBAL__N_18offset_tEEE10hipError_tPvRmT1_PNSt15iterator_traitsISY_E10value_typeET2_T3_PNSZ_IS14_E10value_typeET4_jRbjT5_S1A_jjP12ihipStream_tbEUljE_EEESV_SW_SX_S14_S18_S1A_T6_T7_T9_mT8_S1C_bDpT10_ENKUlT_T0_E_clISt17integral_constantIbLb1EES1P_EEDaS1K_S1L_EUlS1K_E_NS1_11comp_targetILNS1_3genE9ELNS1_11target_archE1100ELNS1_3gpuE3ELNS1_3repE0EEENS1_30default_config_static_selectorELNS0_4arch9wavefront6targetE1EEEvSY_.num_agpr, 0
	.set _ZN7rocprim17ROCPRIM_400000_NS6detail17trampoline_kernelINS0_13select_configILj256ELj13ELNS0_17block_load_methodE3ELS4_3ELS4_3ELNS0_20block_scan_algorithmE0ELj4294967295EEENS1_25partition_config_selectorILNS1_17partition_subalgoE3EjNS0_10empty_typeEbEEZZNS1_14partition_implILS8_3ELb0ES6_jNS0_17counting_iteratorIjlEEPS9_SE_NS0_5tupleIJPjSE_EEENSF_IJSE_SE_EEES9_SG_JZNS1_25segmented_radix_sort_implINS0_14default_configELb0EPKsPsPKlPlN2at6native12_GLOBAL__N_18offset_tEEE10hipError_tPvRmT1_PNSt15iterator_traitsISY_E10value_typeET2_T3_PNSZ_IS14_E10value_typeET4_jRbjT5_S1A_jjP12ihipStream_tbEUljE_EEESV_SW_SX_S14_S18_S1A_T6_T7_T9_mT8_S1C_bDpT10_ENKUlT_T0_E_clISt17integral_constantIbLb1EES1P_EEDaS1K_S1L_EUlS1K_E_NS1_11comp_targetILNS1_3genE9ELNS1_11target_archE1100ELNS1_3gpuE3ELNS1_3repE0EEENS1_30default_config_static_selectorELNS0_4arch9wavefront6targetE1EEEvSY_.numbered_sgpr, 0
	.set _ZN7rocprim17ROCPRIM_400000_NS6detail17trampoline_kernelINS0_13select_configILj256ELj13ELNS0_17block_load_methodE3ELS4_3ELS4_3ELNS0_20block_scan_algorithmE0ELj4294967295EEENS1_25partition_config_selectorILNS1_17partition_subalgoE3EjNS0_10empty_typeEbEEZZNS1_14partition_implILS8_3ELb0ES6_jNS0_17counting_iteratorIjlEEPS9_SE_NS0_5tupleIJPjSE_EEENSF_IJSE_SE_EEES9_SG_JZNS1_25segmented_radix_sort_implINS0_14default_configELb0EPKsPsPKlPlN2at6native12_GLOBAL__N_18offset_tEEE10hipError_tPvRmT1_PNSt15iterator_traitsISY_E10value_typeET2_T3_PNSZ_IS14_E10value_typeET4_jRbjT5_S1A_jjP12ihipStream_tbEUljE_EEESV_SW_SX_S14_S18_S1A_T6_T7_T9_mT8_S1C_bDpT10_ENKUlT_T0_E_clISt17integral_constantIbLb1EES1P_EEDaS1K_S1L_EUlS1K_E_NS1_11comp_targetILNS1_3genE9ELNS1_11target_archE1100ELNS1_3gpuE3ELNS1_3repE0EEENS1_30default_config_static_selectorELNS0_4arch9wavefront6targetE1EEEvSY_.num_named_barrier, 0
	.set _ZN7rocprim17ROCPRIM_400000_NS6detail17trampoline_kernelINS0_13select_configILj256ELj13ELNS0_17block_load_methodE3ELS4_3ELS4_3ELNS0_20block_scan_algorithmE0ELj4294967295EEENS1_25partition_config_selectorILNS1_17partition_subalgoE3EjNS0_10empty_typeEbEEZZNS1_14partition_implILS8_3ELb0ES6_jNS0_17counting_iteratorIjlEEPS9_SE_NS0_5tupleIJPjSE_EEENSF_IJSE_SE_EEES9_SG_JZNS1_25segmented_radix_sort_implINS0_14default_configELb0EPKsPsPKlPlN2at6native12_GLOBAL__N_18offset_tEEE10hipError_tPvRmT1_PNSt15iterator_traitsISY_E10value_typeET2_T3_PNSZ_IS14_E10value_typeET4_jRbjT5_S1A_jjP12ihipStream_tbEUljE_EEESV_SW_SX_S14_S18_S1A_T6_T7_T9_mT8_S1C_bDpT10_ENKUlT_T0_E_clISt17integral_constantIbLb1EES1P_EEDaS1K_S1L_EUlS1K_E_NS1_11comp_targetILNS1_3genE9ELNS1_11target_archE1100ELNS1_3gpuE3ELNS1_3repE0EEENS1_30default_config_static_selectorELNS0_4arch9wavefront6targetE1EEEvSY_.private_seg_size, 0
	.set _ZN7rocprim17ROCPRIM_400000_NS6detail17trampoline_kernelINS0_13select_configILj256ELj13ELNS0_17block_load_methodE3ELS4_3ELS4_3ELNS0_20block_scan_algorithmE0ELj4294967295EEENS1_25partition_config_selectorILNS1_17partition_subalgoE3EjNS0_10empty_typeEbEEZZNS1_14partition_implILS8_3ELb0ES6_jNS0_17counting_iteratorIjlEEPS9_SE_NS0_5tupleIJPjSE_EEENSF_IJSE_SE_EEES9_SG_JZNS1_25segmented_radix_sort_implINS0_14default_configELb0EPKsPsPKlPlN2at6native12_GLOBAL__N_18offset_tEEE10hipError_tPvRmT1_PNSt15iterator_traitsISY_E10value_typeET2_T3_PNSZ_IS14_E10value_typeET4_jRbjT5_S1A_jjP12ihipStream_tbEUljE_EEESV_SW_SX_S14_S18_S1A_T6_T7_T9_mT8_S1C_bDpT10_ENKUlT_T0_E_clISt17integral_constantIbLb1EES1P_EEDaS1K_S1L_EUlS1K_E_NS1_11comp_targetILNS1_3genE9ELNS1_11target_archE1100ELNS1_3gpuE3ELNS1_3repE0EEENS1_30default_config_static_selectorELNS0_4arch9wavefront6targetE1EEEvSY_.uses_vcc, 0
	.set _ZN7rocprim17ROCPRIM_400000_NS6detail17trampoline_kernelINS0_13select_configILj256ELj13ELNS0_17block_load_methodE3ELS4_3ELS4_3ELNS0_20block_scan_algorithmE0ELj4294967295EEENS1_25partition_config_selectorILNS1_17partition_subalgoE3EjNS0_10empty_typeEbEEZZNS1_14partition_implILS8_3ELb0ES6_jNS0_17counting_iteratorIjlEEPS9_SE_NS0_5tupleIJPjSE_EEENSF_IJSE_SE_EEES9_SG_JZNS1_25segmented_radix_sort_implINS0_14default_configELb0EPKsPsPKlPlN2at6native12_GLOBAL__N_18offset_tEEE10hipError_tPvRmT1_PNSt15iterator_traitsISY_E10value_typeET2_T3_PNSZ_IS14_E10value_typeET4_jRbjT5_S1A_jjP12ihipStream_tbEUljE_EEESV_SW_SX_S14_S18_S1A_T6_T7_T9_mT8_S1C_bDpT10_ENKUlT_T0_E_clISt17integral_constantIbLb1EES1P_EEDaS1K_S1L_EUlS1K_E_NS1_11comp_targetILNS1_3genE9ELNS1_11target_archE1100ELNS1_3gpuE3ELNS1_3repE0EEENS1_30default_config_static_selectorELNS0_4arch9wavefront6targetE1EEEvSY_.uses_flat_scratch, 0
	.set _ZN7rocprim17ROCPRIM_400000_NS6detail17trampoline_kernelINS0_13select_configILj256ELj13ELNS0_17block_load_methodE3ELS4_3ELS4_3ELNS0_20block_scan_algorithmE0ELj4294967295EEENS1_25partition_config_selectorILNS1_17partition_subalgoE3EjNS0_10empty_typeEbEEZZNS1_14partition_implILS8_3ELb0ES6_jNS0_17counting_iteratorIjlEEPS9_SE_NS0_5tupleIJPjSE_EEENSF_IJSE_SE_EEES9_SG_JZNS1_25segmented_radix_sort_implINS0_14default_configELb0EPKsPsPKlPlN2at6native12_GLOBAL__N_18offset_tEEE10hipError_tPvRmT1_PNSt15iterator_traitsISY_E10value_typeET2_T3_PNSZ_IS14_E10value_typeET4_jRbjT5_S1A_jjP12ihipStream_tbEUljE_EEESV_SW_SX_S14_S18_S1A_T6_T7_T9_mT8_S1C_bDpT10_ENKUlT_T0_E_clISt17integral_constantIbLb1EES1P_EEDaS1K_S1L_EUlS1K_E_NS1_11comp_targetILNS1_3genE9ELNS1_11target_archE1100ELNS1_3gpuE3ELNS1_3repE0EEENS1_30default_config_static_selectorELNS0_4arch9wavefront6targetE1EEEvSY_.has_dyn_sized_stack, 0
	.set _ZN7rocprim17ROCPRIM_400000_NS6detail17trampoline_kernelINS0_13select_configILj256ELj13ELNS0_17block_load_methodE3ELS4_3ELS4_3ELNS0_20block_scan_algorithmE0ELj4294967295EEENS1_25partition_config_selectorILNS1_17partition_subalgoE3EjNS0_10empty_typeEbEEZZNS1_14partition_implILS8_3ELb0ES6_jNS0_17counting_iteratorIjlEEPS9_SE_NS0_5tupleIJPjSE_EEENSF_IJSE_SE_EEES9_SG_JZNS1_25segmented_radix_sort_implINS0_14default_configELb0EPKsPsPKlPlN2at6native12_GLOBAL__N_18offset_tEEE10hipError_tPvRmT1_PNSt15iterator_traitsISY_E10value_typeET2_T3_PNSZ_IS14_E10value_typeET4_jRbjT5_S1A_jjP12ihipStream_tbEUljE_EEESV_SW_SX_S14_S18_S1A_T6_T7_T9_mT8_S1C_bDpT10_ENKUlT_T0_E_clISt17integral_constantIbLb1EES1P_EEDaS1K_S1L_EUlS1K_E_NS1_11comp_targetILNS1_3genE9ELNS1_11target_archE1100ELNS1_3gpuE3ELNS1_3repE0EEENS1_30default_config_static_selectorELNS0_4arch9wavefront6targetE1EEEvSY_.has_recursion, 0
	.set _ZN7rocprim17ROCPRIM_400000_NS6detail17trampoline_kernelINS0_13select_configILj256ELj13ELNS0_17block_load_methodE3ELS4_3ELS4_3ELNS0_20block_scan_algorithmE0ELj4294967295EEENS1_25partition_config_selectorILNS1_17partition_subalgoE3EjNS0_10empty_typeEbEEZZNS1_14partition_implILS8_3ELb0ES6_jNS0_17counting_iteratorIjlEEPS9_SE_NS0_5tupleIJPjSE_EEENSF_IJSE_SE_EEES9_SG_JZNS1_25segmented_radix_sort_implINS0_14default_configELb0EPKsPsPKlPlN2at6native12_GLOBAL__N_18offset_tEEE10hipError_tPvRmT1_PNSt15iterator_traitsISY_E10value_typeET2_T3_PNSZ_IS14_E10value_typeET4_jRbjT5_S1A_jjP12ihipStream_tbEUljE_EEESV_SW_SX_S14_S18_S1A_T6_T7_T9_mT8_S1C_bDpT10_ENKUlT_T0_E_clISt17integral_constantIbLb1EES1P_EEDaS1K_S1L_EUlS1K_E_NS1_11comp_targetILNS1_3genE9ELNS1_11target_archE1100ELNS1_3gpuE3ELNS1_3repE0EEENS1_30default_config_static_selectorELNS0_4arch9wavefront6targetE1EEEvSY_.has_indirect_call, 0
	.section	.AMDGPU.csdata,"",@progbits
; Kernel info:
; codeLenInByte = 0
; TotalNumSgprs: 4
; NumVgprs: 0
; ScratchSize: 0
; MemoryBound: 0
; FloatMode: 240
; IeeeMode: 1
; LDSByteSize: 0 bytes/workgroup (compile time only)
; SGPRBlocks: 0
; VGPRBlocks: 0
; NumSGPRsForWavesPerEU: 4
; NumVGPRsForWavesPerEU: 1
; Occupancy: 10
; WaveLimiterHint : 0
; COMPUTE_PGM_RSRC2:SCRATCH_EN: 0
; COMPUTE_PGM_RSRC2:USER_SGPR: 6
; COMPUTE_PGM_RSRC2:TRAP_HANDLER: 0
; COMPUTE_PGM_RSRC2:TGID_X_EN: 1
; COMPUTE_PGM_RSRC2:TGID_Y_EN: 0
; COMPUTE_PGM_RSRC2:TGID_Z_EN: 0
; COMPUTE_PGM_RSRC2:TIDIG_COMP_CNT: 0
	.section	.text._ZN7rocprim17ROCPRIM_400000_NS6detail17trampoline_kernelINS0_13select_configILj256ELj13ELNS0_17block_load_methodE3ELS4_3ELS4_3ELNS0_20block_scan_algorithmE0ELj4294967295EEENS1_25partition_config_selectorILNS1_17partition_subalgoE3EjNS0_10empty_typeEbEEZZNS1_14partition_implILS8_3ELb0ES6_jNS0_17counting_iteratorIjlEEPS9_SE_NS0_5tupleIJPjSE_EEENSF_IJSE_SE_EEES9_SG_JZNS1_25segmented_radix_sort_implINS0_14default_configELb0EPKsPsPKlPlN2at6native12_GLOBAL__N_18offset_tEEE10hipError_tPvRmT1_PNSt15iterator_traitsISY_E10value_typeET2_T3_PNSZ_IS14_E10value_typeET4_jRbjT5_S1A_jjP12ihipStream_tbEUljE_EEESV_SW_SX_S14_S18_S1A_T6_T7_T9_mT8_S1C_bDpT10_ENKUlT_T0_E_clISt17integral_constantIbLb1EES1P_EEDaS1K_S1L_EUlS1K_E_NS1_11comp_targetILNS1_3genE8ELNS1_11target_archE1030ELNS1_3gpuE2ELNS1_3repE0EEENS1_30default_config_static_selectorELNS0_4arch9wavefront6targetE1EEEvSY_,"axG",@progbits,_ZN7rocprim17ROCPRIM_400000_NS6detail17trampoline_kernelINS0_13select_configILj256ELj13ELNS0_17block_load_methodE3ELS4_3ELS4_3ELNS0_20block_scan_algorithmE0ELj4294967295EEENS1_25partition_config_selectorILNS1_17partition_subalgoE3EjNS0_10empty_typeEbEEZZNS1_14partition_implILS8_3ELb0ES6_jNS0_17counting_iteratorIjlEEPS9_SE_NS0_5tupleIJPjSE_EEENSF_IJSE_SE_EEES9_SG_JZNS1_25segmented_radix_sort_implINS0_14default_configELb0EPKsPsPKlPlN2at6native12_GLOBAL__N_18offset_tEEE10hipError_tPvRmT1_PNSt15iterator_traitsISY_E10value_typeET2_T3_PNSZ_IS14_E10value_typeET4_jRbjT5_S1A_jjP12ihipStream_tbEUljE_EEESV_SW_SX_S14_S18_S1A_T6_T7_T9_mT8_S1C_bDpT10_ENKUlT_T0_E_clISt17integral_constantIbLb1EES1P_EEDaS1K_S1L_EUlS1K_E_NS1_11comp_targetILNS1_3genE8ELNS1_11target_archE1030ELNS1_3gpuE2ELNS1_3repE0EEENS1_30default_config_static_selectorELNS0_4arch9wavefront6targetE1EEEvSY_,comdat
	.globl	_ZN7rocprim17ROCPRIM_400000_NS6detail17trampoline_kernelINS0_13select_configILj256ELj13ELNS0_17block_load_methodE3ELS4_3ELS4_3ELNS0_20block_scan_algorithmE0ELj4294967295EEENS1_25partition_config_selectorILNS1_17partition_subalgoE3EjNS0_10empty_typeEbEEZZNS1_14partition_implILS8_3ELb0ES6_jNS0_17counting_iteratorIjlEEPS9_SE_NS0_5tupleIJPjSE_EEENSF_IJSE_SE_EEES9_SG_JZNS1_25segmented_radix_sort_implINS0_14default_configELb0EPKsPsPKlPlN2at6native12_GLOBAL__N_18offset_tEEE10hipError_tPvRmT1_PNSt15iterator_traitsISY_E10value_typeET2_T3_PNSZ_IS14_E10value_typeET4_jRbjT5_S1A_jjP12ihipStream_tbEUljE_EEESV_SW_SX_S14_S18_S1A_T6_T7_T9_mT8_S1C_bDpT10_ENKUlT_T0_E_clISt17integral_constantIbLb1EES1P_EEDaS1K_S1L_EUlS1K_E_NS1_11comp_targetILNS1_3genE8ELNS1_11target_archE1030ELNS1_3gpuE2ELNS1_3repE0EEENS1_30default_config_static_selectorELNS0_4arch9wavefront6targetE1EEEvSY_ ; -- Begin function _ZN7rocprim17ROCPRIM_400000_NS6detail17trampoline_kernelINS0_13select_configILj256ELj13ELNS0_17block_load_methodE3ELS4_3ELS4_3ELNS0_20block_scan_algorithmE0ELj4294967295EEENS1_25partition_config_selectorILNS1_17partition_subalgoE3EjNS0_10empty_typeEbEEZZNS1_14partition_implILS8_3ELb0ES6_jNS0_17counting_iteratorIjlEEPS9_SE_NS0_5tupleIJPjSE_EEENSF_IJSE_SE_EEES9_SG_JZNS1_25segmented_radix_sort_implINS0_14default_configELb0EPKsPsPKlPlN2at6native12_GLOBAL__N_18offset_tEEE10hipError_tPvRmT1_PNSt15iterator_traitsISY_E10value_typeET2_T3_PNSZ_IS14_E10value_typeET4_jRbjT5_S1A_jjP12ihipStream_tbEUljE_EEESV_SW_SX_S14_S18_S1A_T6_T7_T9_mT8_S1C_bDpT10_ENKUlT_T0_E_clISt17integral_constantIbLb1EES1P_EEDaS1K_S1L_EUlS1K_E_NS1_11comp_targetILNS1_3genE8ELNS1_11target_archE1030ELNS1_3gpuE2ELNS1_3repE0EEENS1_30default_config_static_selectorELNS0_4arch9wavefront6targetE1EEEvSY_
	.p2align	8
	.type	_ZN7rocprim17ROCPRIM_400000_NS6detail17trampoline_kernelINS0_13select_configILj256ELj13ELNS0_17block_load_methodE3ELS4_3ELS4_3ELNS0_20block_scan_algorithmE0ELj4294967295EEENS1_25partition_config_selectorILNS1_17partition_subalgoE3EjNS0_10empty_typeEbEEZZNS1_14partition_implILS8_3ELb0ES6_jNS0_17counting_iteratorIjlEEPS9_SE_NS0_5tupleIJPjSE_EEENSF_IJSE_SE_EEES9_SG_JZNS1_25segmented_radix_sort_implINS0_14default_configELb0EPKsPsPKlPlN2at6native12_GLOBAL__N_18offset_tEEE10hipError_tPvRmT1_PNSt15iterator_traitsISY_E10value_typeET2_T3_PNSZ_IS14_E10value_typeET4_jRbjT5_S1A_jjP12ihipStream_tbEUljE_EEESV_SW_SX_S14_S18_S1A_T6_T7_T9_mT8_S1C_bDpT10_ENKUlT_T0_E_clISt17integral_constantIbLb1EES1P_EEDaS1K_S1L_EUlS1K_E_NS1_11comp_targetILNS1_3genE8ELNS1_11target_archE1030ELNS1_3gpuE2ELNS1_3repE0EEENS1_30default_config_static_selectorELNS0_4arch9wavefront6targetE1EEEvSY_,@function
_ZN7rocprim17ROCPRIM_400000_NS6detail17trampoline_kernelINS0_13select_configILj256ELj13ELNS0_17block_load_methodE3ELS4_3ELS4_3ELNS0_20block_scan_algorithmE0ELj4294967295EEENS1_25partition_config_selectorILNS1_17partition_subalgoE3EjNS0_10empty_typeEbEEZZNS1_14partition_implILS8_3ELb0ES6_jNS0_17counting_iteratorIjlEEPS9_SE_NS0_5tupleIJPjSE_EEENSF_IJSE_SE_EEES9_SG_JZNS1_25segmented_radix_sort_implINS0_14default_configELb0EPKsPsPKlPlN2at6native12_GLOBAL__N_18offset_tEEE10hipError_tPvRmT1_PNSt15iterator_traitsISY_E10value_typeET2_T3_PNSZ_IS14_E10value_typeET4_jRbjT5_S1A_jjP12ihipStream_tbEUljE_EEESV_SW_SX_S14_S18_S1A_T6_T7_T9_mT8_S1C_bDpT10_ENKUlT_T0_E_clISt17integral_constantIbLb1EES1P_EEDaS1K_S1L_EUlS1K_E_NS1_11comp_targetILNS1_3genE8ELNS1_11target_archE1030ELNS1_3gpuE2ELNS1_3repE0EEENS1_30default_config_static_selectorELNS0_4arch9wavefront6targetE1EEEvSY_: ; @_ZN7rocprim17ROCPRIM_400000_NS6detail17trampoline_kernelINS0_13select_configILj256ELj13ELNS0_17block_load_methodE3ELS4_3ELS4_3ELNS0_20block_scan_algorithmE0ELj4294967295EEENS1_25partition_config_selectorILNS1_17partition_subalgoE3EjNS0_10empty_typeEbEEZZNS1_14partition_implILS8_3ELb0ES6_jNS0_17counting_iteratorIjlEEPS9_SE_NS0_5tupleIJPjSE_EEENSF_IJSE_SE_EEES9_SG_JZNS1_25segmented_radix_sort_implINS0_14default_configELb0EPKsPsPKlPlN2at6native12_GLOBAL__N_18offset_tEEE10hipError_tPvRmT1_PNSt15iterator_traitsISY_E10value_typeET2_T3_PNSZ_IS14_E10value_typeET4_jRbjT5_S1A_jjP12ihipStream_tbEUljE_EEESV_SW_SX_S14_S18_S1A_T6_T7_T9_mT8_S1C_bDpT10_ENKUlT_T0_E_clISt17integral_constantIbLb1EES1P_EEDaS1K_S1L_EUlS1K_E_NS1_11comp_targetILNS1_3genE8ELNS1_11target_archE1030ELNS1_3gpuE2ELNS1_3repE0EEENS1_30default_config_static_selectorELNS0_4arch9wavefront6targetE1EEEvSY_
; %bb.0:
	.section	.rodata,"a",@progbits
	.p2align	6, 0x0
	.amdhsa_kernel _ZN7rocprim17ROCPRIM_400000_NS6detail17trampoline_kernelINS0_13select_configILj256ELj13ELNS0_17block_load_methodE3ELS4_3ELS4_3ELNS0_20block_scan_algorithmE0ELj4294967295EEENS1_25partition_config_selectorILNS1_17partition_subalgoE3EjNS0_10empty_typeEbEEZZNS1_14partition_implILS8_3ELb0ES6_jNS0_17counting_iteratorIjlEEPS9_SE_NS0_5tupleIJPjSE_EEENSF_IJSE_SE_EEES9_SG_JZNS1_25segmented_radix_sort_implINS0_14default_configELb0EPKsPsPKlPlN2at6native12_GLOBAL__N_18offset_tEEE10hipError_tPvRmT1_PNSt15iterator_traitsISY_E10value_typeET2_T3_PNSZ_IS14_E10value_typeET4_jRbjT5_S1A_jjP12ihipStream_tbEUljE_EEESV_SW_SX_S14_S18_S1A_T6_T7_T9_mT8_S1C_bDpT10_ENKUlT_T0_E_clISt17integral_constantIbLb1EES1P_EEDaS1K_S1L_EUlS1K_E_NS1_11comp_targetILNS1_3genE8ELNS1_11target_archE1030ELNS1_3gpuE2ELNS1_3repE0EEENS1_30default_config_static_selectorELNS0_4arch9wavefront6targetE1EEEvSY_
		.amdhsa_group_segment_fixed_size 0
		.amdhsa_private_segment_fixed_size 0
		.amdhsa_kernarg_size 152
		.amdhsa_user_sgpr_count 6
		.amdhsa_user_sgpr_private_segment_buffer 1
		.amdhsa_user_sgpr_dispatch_ptr 0
		.amdhsa_user_sgpr_queue_ptr 0
		.amdhsa_user_sgpr_kernarg_segment_ptr 1
		.amdhsa_user_sgpr_dispatch_id 0
		.amdhsa_user_sgpr_flat_scratch_init 0
		.amdhsa_user_sgpr_private_segment_size 0
		.amdhsa_uses_dynamic_stack 0
		.amdhsa_system_sgpr_private_segment_wavefront_offset 0
		.amdhsa_system_sgpr_workgroup_id_x 1
		.amdhsa_system_sgpr_workgroup_id_y 0
		.amdhsa_system_sgpr_workgroup_id_z 0
		.amdhsa_system_sgpr_workgroup_info 0
		.amdhsa_system_vgpr_workitem_id 0
		.amdhsa_next_free_vgpr 1
		.amdhsa_next_free_sgpr 0
		.amdhsa_reserve_vcc 0
		.amdhsa_reserve_flat_scratch 0
		.amdhsa_float_round_mode_32 0
		.amdhsa_float_round_mode_16_64 0
		.amdhsa_float_denorm_mode_32 3
		.amdhsa_float_denorm_mode_16_64 3
		.amdhsa_dx10_clamp 1
		.amdhsa_ieee_mode 1
		.amdhsa_fp16_overflow 0
		.amdhsa_exception_fp_ieee_invalid_op 0
		.amdhsa_exception_fp_denorm_src 0
		.amdhsa_exception_fp_ieee_div_zero 0
		.amdhsa_exception_fp_ieee_overflow 0
		.amdhsa_exception_fp_ieee_underflow 0
		.amdhsa_exception_fp_ieee_inexact 0
		.amdhsa_exception_int_div_zero 0
	.end_amdhsa_kernel
	.section	.text._ZN7rocprim17ROCPRIM_400000_NS6detail17trampoline_kernelINS0_13select_configILj256ELj13ELNS0_17block_load_methodE3ELS4_3ELS4_3ELNS0_20block_scan_algorithmE0ELj4294967295EEENS1_25partition_config_selectorILNS1_17partition_subalgoE3EjNS0_10empty_typeEbEEZZNS1_14partition_implILS8_3ELb0ES6_jNS0_17counting_iteratorIjlEEPS9_SE_NS0_5tupleIJPjSE_EEENSF_IJSE_SE_EEES9_SG_JZNS1_25segmented_radix_sort_implINS0_14default_configELb0EPKsPsPKlPlN2at6native12_GLOBAL__N_18offset_tEEE10hipError_tPvRmT1_PNSt15iterator_traitsISY_E10value_typeET2_T3_PNSZ_IS14_E10value_typeET4_jRbjT5_S1A_jjP12ihipStream_tbEUljE_EEESV_SW_SX_S14_S18_S1A_T6_T7_T9_mT8_S1C_bDpT10_ENKUlT_T0_E_clISt17integral_constantIbLb1EES1P_EEDaS1K_S1L_EUlS1K_E_NS1_11comp_targetILNS1_3genE8ELNS1_11target_archE1030ELNS1_3gpuE2ELNS1_3repE0EEENS1_30default_config_static_selectorELNS0_4arch9wavefront6targetE1EEEvSY_,"axG",@progbits,_ZN7rocprim17ROCPRIM_400000_NS6detail17trampoline_kernelINS0_13select_configILj256ELj13ELNS0_17block_load_methodE3ELS4_3ELS4_3ELNS0_20block_scan_algorithmE0ELj4294967295EEENS1_25partition_config_selectorILNS1_17partition_subalgoE3EjNS0_10empty_typeEbEEZZNS1_14partition_implILS8_3ELb0ES6_jNS0_17counting_iteratorIjlEEPS9_SE_NS0_5tupleIJPjSE_EEENSF_IJSE_SE_EEES9_SG_JZNS1_25segmented_radix_sort_implINS0_14default_configELb0EPKsPsPKlPlN2at6native12_GLOBAL__N_18offset_tEEE10hipError_tPvRmT1_PNSt15iterator_traitsISY_E10value_typeET2_T3_PNSZ_IS14_E10value_typeET4_jRbjT5_S1A_jjP12ihipStream_tbEUljE_EEESV_SW_SX_S14_S18_S1A_T6_T7_T9_mT8_S1C_bDpT10_ENKUlT_T0_E_clISt17integral_constantIbLb1EES1P_EEDaS1K_S1L_EUlS1K_E_NS1_11comp_targetILNS1_3genE8ELNS1_11target_archE1030ELNS1_3gpuE2ELNS1_3repE0EEENS1_30default_config_static_selectorELNS0_4arch9wavefront6targetE1EEEvSY_,comdat
.Lfunc_end997:
	.size	_ZN7rocprim17ROCPRIM_400000_NS6detail17trampoline_kernelINS0_13select_configILj256ELj13ELNS0_17block_load_methodE3ELS4_3ELS4_3ELNS0_20block_scan_algorithmE0ELj4294967295EEENS1_25partition_config_selectorILNS1_17partition_subalgoE3EjNS0_10empty_typeEbEEZZNS1_14partition_implILS8_3ELb0ES6_jNS0_17counting_iteratorIjlEEPS9_SE_NS0_5tupleIJPjSE_EEENSF_IJSE_SE_EEES9_SG_JZNS1_25segmented_radix_sort_implINS0_14default_configELb0EPKsPsPKlPlN2at6native12_GLOBAL__N_18offset_tEEE10hipError_tPvRmT1_PNSt15iterator_traitsISY_E10value_typeET2_T3_PNSZ_IS14_E10value_typeET4_jRbjT5_S1A_jjP12ihipStream_tbEUljE_EEESV_SW_SX_S14_S18_S1A_T6_T7_T9_mT8_S1C_bDpT10_ENKUlT_T0_E_clISt17integral_constantIbLb1EES1P_EEDaS1K_S1L_EUlS1K_E_NS1_11comp_targetILNS1_3genE8ELNS1_11target_archE1030ELNS1_3gpuE2ELNS1_3repE0EEENS1_30default_config_static_selectorELNS0_4arch9wavefront6targetE1EEEvSY_, .Lfunc_end997-_ZN7rocprim17ROCPRIM_400000_NS6detail17trampoline_kernelINS0_13select_configILj256ELj13ELNS0_17block_load_methodE3ELS4_3ELS4_3ELNS0_20block_scan_algorithmE0ELj4294967295EEENS1_25partition_config_selectorILNS1_17partition_subalgoE3EjNS0_10empty_typeEbEEZZNS1_14partition_implILS8_3ELb0ES6_jNS0_17counting_iteratorIjlEEPS9_SE_NS0_5tupleIJPjSE_EEENSF_IJSE_SE_EEES9_SG_JZNS1_25segmented_radix_sort_implINS0_14default_configELb0EPKsPsPKlPlN2at6native12_GLOBAL__N_18offset_tEEE10hipError_tPvRmT1_PNSt15iterator_traitsISY_E10value_typeET2_T3_PNSZ_IS14_E10value_typeET4_jRbjT5_S1A_jjP12ihipStream_tbEUljE_EEESV_SW_SX_S14_S18_S1A_T6_T7_T9_mT8_S1C_bDpT10_ENKUlT_T0_E_clISt17integral_constantIbLb1EES1P_EEDaS1K_S1L_EUlS1K_E_NS1_11comp_targetILNS1_3genE8ELNS1_11target_archE1030ELNS1_3gpuE2ELNS1_3repE0EEENS1_30default_config_static_selectorELNS0_4arch9wavefront6targetE1EEEvSY_
                                        ; -- End function
	.set _ZN7rocprim17ROCPRIM_400000_NS6detail17trampoline_kernelINS0_13select_configILj256ELj13ELNS0_17block_load_methodE3ELS4_3ELS4_3ELNS0_20block_scan_algorithmE0ELj4294967295EEENS1_25partition_config_selectorILNS1_17partition_subalgoE3EjNS0_10empty_typeEbEEZZNS1_14partition_implILS8_3ELb0ES6_jNS0_17counting_iteratorIjlEEPS9_SE_NS0_5tupleIJPjSE_EEENSF_IJSE_SE_EEES9_SG_JZNS1_25segmented_radix_sort_implINS0_14default_configELb0EPKsPsPKlPlN2at6native12_GLOBAL__N_18offset_tEEE10hipError_tPvRmT1_PNSt15iterator_traitsISY_E10value_typeET2_T3_PNSZ_IS14_E10value_typeET4_jRbjT5_S1A_jjP12ihipStream_tbEUljE_EEESV_SW_SX_S14_S18_S1A_T6_T7_T9_mT8_S1C_bDpT10_ENKUlT_T0_E_clISt17integral_constantIbLb1EES1P_EEDaS1K_S1L_EUlS1K_E_NS1_11comp_targetILNS1_3genE8ELNS1_11target_archE1030ELNS1_3gpuE2ELNS1_3repE0EEENS1_30default_config_static_selectorELNS0_4arch9wavefront6targetE1EEEvSY_.num_vgpr, 0
	.set _ZN7rocprim17ROCPRIM_400000_NS6detail17trampoline_kernelINS0_13select_configILj256ELj13ELNS0_17block_load_methodE3ELS4_3ELS4_3ELNS0_20block_scan_algorithmE0ELj4294967295EEENS1_25partition_config_selectorILNS1_17partition_subalgoE3EjNS0_10empty_typeEbEEZZNS1_14partition_implILS8_3ELb0ES6_jNS0_17counting_iteratorIjlEEPS9_SE_NS0_5tupleIJPjSE_EEENSF_IJSE_SE_EEES9_SG_JZNS1_25segmented_radix_sort_implINS0_14default_configELb0EPKsPsPKlPlN2at6native12_GLOBAL__N_18offset_tEEE10hipError_tPvRmT1_PNSt15iterator_traitsISY_E10value_typeET2_T3_PNSZ_IS14_E10value_typeET4_jRbjT5_S1A_jjP12ihipStream_tbEUljE_EEESV_SW_SX_S14_S18_S1A_T6_T7_T9_mT8_S1C_bDpT10_ENKUlT_T0_E_clISt17integral_constantIbLb1EES1P_EEDaS1K_S1L_EUlS1K_E_NS1_11comp_targetILNS1_3genE8ELNS1_11target_archE1030ELNS1_3gpuE2ELNS1_3repE0EEENS1_30default_config_static_selectorELNS0_4arch9wavefront6targetE1EEEvSY_.num_agpr, 0
	.set _ZN7rocprim17ROCPRIM_400000_NS6detail17trampoline_kernelINS0_13select_configILj256ELj13ELNS0_17block_load_methodE3ELS4_3ELS4_3ELNS0_20block_scan_algorithmE0ELj4294967295EEENS1_25partition_config_selectorILNS1_17partition_subalgoE3EjNS0_10empty_typeEbEEZZNS1_14partition_implILS8_3ELb0ES6_jNS0_17counting_iteratorIjlEEPS9_SE_NS0_5tupleIJPjSE_EEENSF_IJSE_SE_EEES9_SG_JZNS1_25segmented_radix_sort_implINS0_14default_configELb0EPKsPsPKlPlN2at6native12_GLOBAL__N_18offset_tEEE10hipError_tPvRmT1_PNSt15iterator_traitsISY_E10value_typeET2_T3_PNSZ_IS14_E10value_typeET4_jRbjT5_S1A_jjP12ihipStream_tbEUljE_EEESV_SW_SX_S14_S18_S1A_T6_T7_T9_mT8_S1C_bDpT10_ENKUlT_T0_E_clISt17integral_constantIbLb1EES1P_EEDaS1K_S1L_EUlS1K_E_NS1_11comp_targetILNS1_3genE8ELNS1_11target_archE1030ELNS1_3gpuE2ELNS1_3repE0EEENS1_30default_config_static_selectorELNS0_4arch9wavefront6targetE1EEEvSY_.numbered_sgpr, 0
	.set _ZN7rocprim17ROCPRIM_400000_NS6detail17trampoline_kernelINS0_13select_configILj256ELj13ELNS0_17block_load_methodE3ELS4_3ELS4_3ELNS0_20block_scan_algorithmE0ELj4294967295EEENS1_25partition_config_selectorILNS1_17partition_subalgoE3EjNS0_10empty_typeEbEEZZNS1_14partition_implILS8_3ELb0ES6_jNS0_17counting_iteratorIjlEEPS9_SE_NS0_5tupleIJPjSE_EEENSF_IJSE_SE_EEES9_SG_JZNS1_25segmented_radix_sort_implINS0_14default_configELb0EPKsPsPKlPlN2at6native12_GLOBAL__N_18offset_tEEE10hipError_tPvRmT1_PNSt15iterator_traitsISY_E10value_typeET2_T3_PNSZ_IS14_E10value_typeET4_jRbjT5_S1A_jjP12ihipStream_tbEUljE_EEESV_SW_SX_S14_S18_S1A_T6_T7_T9_mT8_S1C_bDpT10_ENKUlT_T0_E_clISt17integral_constantIbLb1EES1P_EEDaS1K_S1L_EUlS1K_E_NS1_11comp_targetILNS1_3genE8ELNS1_11target_archE1030ELNS1_3gpuE2ELNS1_3repE0EEENS1_30default_config_static_selectorELNS0_4arch9wavefront6targetE1EEEvSY_.num_named_barrier, 0
	.set _ZN7rocprim17ROCPRIM_400000_NS6detail17trampoline_kernelINS0_13select_configILj256ELj13ELNS0_17block_load_methodE3ELS4_3ELS4_3ELNS0_20block_scan_algorithmE0ELj4294967295EEENS1_25partition_config_selectorILNS1_17partition_subalgoE3EjNS0_10empty_typeEbEEZZNS1_14partition_implILS8_3ELb0ES6_jNS0_17counting_iteratorIjlEEPS9_SE_NS0_5tupleIJPjSE_EEENSF_IJSE_SE_EEES9_SG_JZNS1_25segmented_radix_sort_implINS0_14default_configELb0EPKsPsPKlPlN2at6native12_GLOBAL__N_18offset_tEEE10hipError_tPvRmT1_PNSt15iterator_traitsISY_E10value_typeET2_T3_PNSZ_IS14_E10value_typeET4_jRbjT5_S1A_jjP12ihipStream_tbEUljE_EEESV_SW_SX_S14_S18_S1A_T6_T7_T9_mT8_S1C_bDpT10_ENKUlT_T0_E_clISt17integral_constantIbLb1EES1P_EEDaS1K_S1L_EUlS1K_E_NS1_11comp_targetILNS1_3genE8ELNS1_11target_archE1030ELNS1_3gpuE2ELNS1_3repE0EEENS1_30default_config_static_selectorELNS0_4arch9wavefront6targetE1EEEvSY_.private_seg_size, 0
	.set _ZN7rocprim17ROCPRIM_400000_NS6detail17trampoline_kernelINS0_13select_configILj256ELj13ELNS0_17block_load_methodE3ELS4_3ELS4_3ELNS0_20block_scan_algorithmE0ELj4294967295EEENS1_25partition_config_selectorILNS1_17partition_subalgoE3EjNS0_10empty_typeEbEEZZNS1_14partition_implILS8_3ELb0ES6_jNS0_17counting_iteratorIjlEEPS9_SE_NS0_5tupleIJPjSE_EEENSF_IJSE_SE_EEES9_SG_JZNS1_25segmented_radix_sort_implINS0_14default_configELb0EPKsPsPKlPlN2at6native12_GLOBAL__N_18offset_tEEE10hipError_tPvRmT1_PNSt15iterator_traitsISY_E10value_typeET2_T3_PNSZ_IS14_E10value_typeET4_jRbjT5_S1A_jjP12ihipStream_tbEUljE_EEESV_SW_SX_S14_S18_S1A_T6_T7_T9_mT8_S1C_bDpT10_ENKUlT_T0_E_clISt17integral_constantIbLb1EES1P_EEDaS1K_S1L_EUlS1K_E_NS1_11comp_targetILNS1_3genE8ELNS1_11target_archE1030ELNS1_3gpuE2ELNS1_3repE0EEENS1_30default_config_static_selectorELNS0_4arch9wavefront6targetE1EEEvSY_.uses_vcc, 0
	.set _ZN7rocprim17ROCPRIM_400000_NS6detail17trampoline_kernelINS0_13select_configILj256ELj13ELNS0_17block_load_methodE3ELS4_3ELS4_3ELNS0_20block_scan_algorithmE0ELj4294967295EEENS1_25partition_config_selectorILNS1_17partition_subalgoE3EjNS0_10empty_typeEbEEZZNS1_14partition_implILS8_3ELb0ES6_jNS0_17counting_iteratorIjlEEPS9_SE_NS0_5tupleIJPjSE_EEENSF_IJSE_SE_EEES9_SG_JZNS1_25segmented_radix_sort_implINS0_14default_configELb0EPKsPsPKlPlN2at6native12_GLOBAL__N_18offset_tEEE10hipError_tPvRmT1_PNSt15iterator_traitsISY_E10value_typeET2_T3_PNSZ_IS14_E10value_typeET4_jRbjT5_S1A_jjP12ihipStream_tbEUljE_EEESV_SW_SX_S14_S18_S1A_T6_T7_T9_mT8_S1C_bDpT10_ENKUlT_T0_E_clISt17integral_constantIbLb1EES1P_EEDaS1K_S1L_EUlS1K_E_NS1_11comp_targetILNS1_3genE8ELNS1_11target_archE1030ELNS1_3gpuE2ELNS1_3repE0EEENS1_30default_config_static_selectorELNS0_4arch9wavefront6targetE1EEEvSY_.uses_flat_scratch, 0
	.set _ZN7rocprim17ROCPRIM_400000_NS6detail17trampoline_kernelINS0_13select_configILj256ELj13ELNS0_17block_load_methodE3ELS4_3ELS4_3ELNS0_20block_scan_algorithmE0ELj4294967295EEENS1_25partition_config_selectorILNS1_17partition_subalgoE3EjNS0_10empty_typeEbEEZZNS1_14partition_implILS8_3ELb0ES6_jNS0_17counting_iteratorIjlEEPS9_SE_NS0_5tupleIJPjSE_EEENSF_IJSE_SE_EEES9_SG_JZNS1_25segmented_radix_sort_implINS0_14default_configELb0EPKsPsPKlPlN2at6native12_GLOBAL__N_18offset_tEEE10hipError_tPvRmT1_PNSt15iterator_traitsISY_E10value_typeET2_T3_PNSZ_IS14_E10value_typeET4_jRbjT5_S1A_jjP12ihipStream_tbEUljE_EEESV_SW_SX_S14_S18_S1A_T6_T7_T9_mT8_S1C_bDpT10_ENKUlT_T0_E_clISt17integral_constantIbLb1EES1P_EEDaS1K_S1L_EUlS1K_E_NS1_11comp_targetILNS1_3genE8ELNS1_11target_archE1030ELNS1_3gpuE2ELNS1_3repE0EEENS1_30default_config_static_selectorELNS0_4arch9wavefront6targetE1EEEvSY_.has_dyn_sized_stack, 0
	.set _ZN7rocprim17ROCPRIM_400000_NS6detail17trampoline_kernelINS0_13select_configILj256ELj13ELNS0_17block_load_methodE3ELS4_3ELS4_3ELNS0_20block_scan_algorithmE0ELj4294967295EEENS1_25partition_config_selectorILNS1_17partition_subalgoE3EjNS0_10empty_typeEbEEZZNS1_14partition_implILS8_3ELb0ES6_jNS0_17counting_iteratorIjlEEPS9_SE_NS0_5tupleIJPjSE_EEENSF_IJSE_SE_EEES9_SG_JZNS1_25segmented_radix_sort_implINS0_14default_configELb0EPKsPsPKlPlN2at6native12_GLOBAL__N_18offset_tEEE10hipError_tPvRmT1_PNSt15iterator_traitsISY_E10value_typeET2_T3_PNSZ_IS14_E10value_typeET4_jRbjT5_S1A_jjP12ihipStream_tbEUljE_EEESV_SW_SX_S14_S18_S1A_T6_T7_T9_mT8_S1C_bDpT10_ENKUlT_T0_E_clISt17integral_constantIbLb1EES1P_EEDaS1K_S1L_EUlS1K_E_NS1_11comp_targetILNS1_3genE8ELNS1_11target_archE1030ELNS1_3gpuE2ELNS1_3repE0EEENS1_30default_config_static_selectorELNS0_4arch9wavefront6targetE1EEEvSY_.has_recursion, 0
	.set _ZN7rocprim17ROCPRIM_400000_NS6detail17trampoline_kernelINS0_13select_configILj256ELj13ELNS0_17block_load_methodE3ELS4_3ELS4_3ELNS0_20block_scan_algorithmE0ELj4294967295EEENS1_25partition_config_selectorILNS1_17partition_subalgoE3EjNS0_10empty_typeEbEEZZNS1_14partition_implILS8_3ELb0ES6_jNS0_17counting_iteratorIjlEEPS9_SE_NS0_5tupleIJPjSE_EEENSF_IJSE_SE_EEES9_SG_JZNS1_25segmented_radix_sort_implINS0_14default_configELb0EPKsPsPKlPlN2at6native12_GLOBAL__N_18offset_tEEE10hipError_tPvRmT1_PNSt15iterator_traitsISY_E10value_typeET2_T3_PNSZ_IS14_E10value_typeET4_jRbjT5_S1A_jjP12ihipStream_tbEUljE_EEESV_SW_SX_S14_S18_S1A_T6_T7_T9_mT8_S1C_bDpT10_ENKUlT_T0_E_clISt17integral_constantIbLb1EES1P_EEDaS1K_S1L_EUlS1K_E_NS1_11comp_targetILNS1_3genE8ELNS1_11target_archE1030ELNS1_3gpuE2ELNS1_3repE0EEENS1_30default_config_static_selectorELNS0_4arch9wavefront6targetE1EEEvSY_.has_indirect_call, 0
	.section	.AMDGPU.csdata,"",@progbits
; Kernel info:
; codeLenInByte = 0
; TotalNumSgprs: 4
; NumVgprs: 0
; ScratchSize: 0
; MemoryBound: 0
; FloatMode: 240
; IeeeMode: 1
; LDSByteSize: 0 bytes/workgroup (compile time only)
; SGPRBlocks: 0
; VGPRBlocks: 0
; NumSGPRsForWavesPerEU: 4
; NumVGPRsForWavesPerEU: 1
; Occupancy: 10
; WaveLimiterHint : 0
; COMPUTE_PGM_RSRC2:SCRATCH_EN: 0
; COMPUTE_PGM_RSRC2:USER_SGPR: 6
; COMPUTE_PGM_RSRC2:TRAP_HANDLER: 0
; COMPUTE_PGM_RSRC2:TGID_X_EN: 1
; COMPUTE_PGM_RSRC2:TGID_Y_EN: 0
; COMPUTE_PGM_RSRC2:TGID_Z_EN: 0
; COMPUTE_PGM_RSRC2:TIDIG_COMP_CNT: 0
	.section	.text._ZN7rocprim17ROCPRIM_400000_NS6detail17trampoline_kernelINS0_13select_configILj256ELj13ELNS0_17block_load_methodE3ELS4_3ELS4_3ELNS0_20block_scan_algorithmE0ELj4294967295EEENS1_25partition_config_selectorILNS1_17partition_subalgoE3EjNS0_10empty_typeEbEEZZNS1_14partition_implILS8_3ELb0ES6_jNS0_17counting_iteratorIjlEEPS9_SE_NS0_5tupleIJPjSE_EEENSF_IJSE_SE_EEES9_SG_JZNS1_25segmented_radix_sort_implINS0_14default_configELb0EPKsPsPKlPlN2at6native12_GLOBAL__N_18offset_tEEE10hipError_tPvRmT1_PNSt15iterator_traitsISY_E10value_typeET2_T3_PNSZ_IS14_E10value_typeET4_jRbjT5_S1A_jjP12ihipStream_tbEUljE_EEESV_SW_SX_S14_S18_S1A_T6_T7_T9_mT8_S1C_bDpT10_ENKUlT_T0_E_clISt17integral_constantIbLb1EES1O_IbLb0EEEEDaS1K_S1L_EUlS1K_E_NS1_11comp_targetILNS1_3genE0ELNS1_11target_archE4294967295ELNS1_3gpuE0ELNS1_3repE0EEENS1_30default_config_static_selectorELNS0_4arch9wavefront6targetE1EEEvSY_,"axG",@progbits,_ZN7rocprim17ROCPRIM_400000_NS6detail17trampoline_kernelINS0_13select_configILj256ELj13ELNS0_17block_load_methodE3ELS4_3ELS4_3ELNS0_20block_scan_algorithmE0ELj4294967295EEENS1_25partition_config_selectorILNS1_17partition_subalgoE3EjNS0_10empty_typeEbEEZZNS1_14partition_implILS8_3ELb0ES6_jNS0_17counting_iteratorIjlEEPS9_SE_NS0_5tupleIJPjSE_EEENSF_IJSE_SE_EEES9_SG_JZNS1_25segmented_radix_sort_implINS0_14default_configELb0EPKsPsPKlPlN2at6native12_GLOBAL__N_18offset_tEEE10hipError_tPvRmT1_PNSt15iterator_traitsISY_E10value_typeET2_T3_PNSZ_IS14_E10value_typeET4_jRbjT5_S1A_jjP12ihipStream_tbEUljE_EEESV_SW_SX_S14_S18_S1A_T6_T7_T9_mT8_S1C_bDpT10_ENKUlT_T0_E_clISt17integral_constantIbLb1EES1O_IbLb0EEEEDaS1K_S1L_EUlS1K_E_NS1_11comp_targetILNS1_3genE0ELNS1_11target_archE4294967295ELNS1_3gpuE0ELNS1_3repE0EEENS1_30default_config_static_selectorELNS0_4arch9wavefront6targetE1EEEvSY_,comdat
	.globl	_ZN7rocprim17ROCPRIM_400000_NS6detail17trampoline_kernelINS0_13select_configILj256ELj13ELNS0_17block_load_methodE3ELS4_3ELS4_3ELNS0_20block_scan_algorithmE0ELj4294967295EEENS1_25partition_config_selectorILNS1_17partition_subalgoE3EjNS0_10empty_typeEbEEZZNS1_14partition_implILS8_3ELb0ES6_jNS0_17counting_iteratorIjlEEPS9_SE_NS0_5tupleIJPjSE_EEENSF_IJSE_SE_EEES9_SG_JZNS1_25segmented_radix_sort_implINS0_14default_configELb0EPKsPsPKlPlN2at6native12_GLOBAL__N_18offset_tEEE10hipError_tPvRmT1_PNSt15iterator_traitsISY_E10value_typeET2_T3_PNSZ_IS14_E10value_typeET4_jRbjT5_S1A_jjP12ihipStream_tbEUljE_EEESV_SW_SX_S14_S18_S1A_T6_T7_T9_mT8_S1C_bDpT10_ENKUlT_T0_E_clISt17integral_constantIbLb1EES1O_IbLb0EEEEDaS1K_S1L_EUlS1K_E_NS1_11comp_targetILNS1_3genE0ELNS1_11target_archE4294967295ELNS1_3gpuE0ELNS1_3repE0EEENS1_30default_config_static_selectorELNS0_4arch9wavefront6targetE1EEEvSY_ ; -- Begin function _ZN7rocprim17ROCPRIM_400000_NS6detail17trampoline_kernelINS0_13select_configILj256ELj13ELNS0_17block_load_methodE3ELS4_3ELS4_3ELNS0_20block_scan_algorithmE0ELj4294967295EEENS1_25partition_config_selectorILNS1_17partition_subalgoE3EjNS0_10empty_typeEbEEZZNS1_14partition_implILS8_3ELb0ES6_jNS0_17counting_iteratorIjlEEPS9_SE_NS0_5tupleIJPjSE_EEENSF_IJSE_SE_EEES9_SG_JZNS1_25segmented_radix_sort_implINS0_14default_configELb0EPKsPsPKlPlN2at6native12_GLOBAL__N_18offset_tEEE10hipError_tPvRmT1_PNSt15iterator_traitsISY_E10value_typeET2_T3_PNSZ_IS14_E10value_typeET4_jRbjT5_S1A_jjP12ihipStream_tbEUljE_EEESV_SW_SX_S14_S18_S1A_T6_T7_T9_mT8_S1C_bDpT10_ENKUlT_T0_E_clISt17integral_constantIbLb1EES1O_IbLb0EEEEDaS1K_S1L_EUlS1K_E_NS1_11comp_targetILNS1_3genE0ELNS1_11target_archE4294967295ELNS1_3gpuE0ELNS1_3repE0EEENS1_30default_config_static_selectorELNS0_4arch9wavefront6targetE1EEEvSY_
	.p2align	8
	.type	_ZN7rocprim17ROCPRIM_400000_NS6detail17trampoline_kernelINS0_13select_configILj256ELj13ELNS0_17block_load_methodE3ELS4_3ELS4_3ELNS0_20block_scan_algorithmE0ELj4294967295EEENS1_25partition_config_selectorILNS1_17partition_subalgoE3EjNS0_10empty_typeEbEEZZNS1_14partition_implILS8_3ELb0ES6_jNS0_17counting_iteratorIjlEEPS9_SE_NS0_5tupleIJPjSE_EEENSF_IJSE_SE_EEES9_SG_JZNS1_25segmented_radix_sort_implINS0_14default_configELb0EPKsPsPKlPlN2at6native12_GLOBAL__N_18offset_tEEE10hipError_tPvRmT1_PNSt15iterator_traitsISY_E10value_typeET2_T3_PNSZ_IS14_E10value_typeET4_jRbjT5_S1A_jjP12ihipStream_tbEUljE_EEESV_SW_SX_S14_S18_S1A_T6_T7_T9_mT8_S1C_bDpT10_ENKUlT_T0_E_clISt17integral_constantIbLb1EES1O_IbLb0EEEEDaS1K_S1L_EUlS1K_E_NS1_11comp_targetILNS1_3genE0ELNS1_11target_archE4294967295ELNS1_3gpuE0ELNS1_3repE0EEENS1_30default_config_static_selectorELNS0_4arch9wavefront6targetE1EEEvSY_,@function
_ZN7rocprim17ROCPRIM_400000_NS6detail17trampoline_kernelINS0_13select_configILj256ELj13ELNS0_17block_load_methodE3ELS4_3ELS4_3ELNS0_20block_scan_algorithmE0ELj4294967295EEENS1_25partition_config_selectorILNS1_17partition_subalgoE3EjNS0_10empty_typeEbEEZZNS1_14partition_implILS8_3ELb0ES6_jNS0_17counting_iteratorIjlEEPS9_SE_NS0_5tupleIJPjSE_EEENSF_IJSE_SE_EEES9_SG_JZNS1_25segmented_radix_sort_implINS0_14default_configELb0EPKsPsPKlPlN2at6native12_GLOBAL__N_18offset_tEEE10hipError_tPvRmT1_PNSt15iterator_traitsISY_E10value_typeET2_T3_PNSZ_IS14_E10value_typeET4_jRbjT5_S1A_jjP12ihipStream_tbEUljE_EEESV_SW_SX_S14_S18_S1A_T6_T7_T9_mT8_S1C_bDpT10_ENKUlT_T0_E_clISt17integral_constantIbLb1EES1O_IbLb0EEEEDaS1K_S1L_EUlS1K_E_NS1_11comp_targetILNS1_3genE0ELNS1_11target_archE4294967295ELNS1_3gpuE0ELNS1_3repE0EEENS1_30default_config_static_selectorELNS0_4arch9wavefront6targetE1EEEvSY_: ; @_ZN7rocprim17ROCPRIM_400000_NS6detail17trampoline_kernelINS0_13select_configILj256ELj13ELNS0_17block_load_methodE3ELS4_3ELS4_3ELNS0_20block_scan_algorithmE0ELj4294967295EEENS1_25partition_config_selectorILNS1_17partition_subalgoE3EjNS0_10empty_typeEbEEZZNS1_14partition_implILS8_3ELb0ES6_jNS0_17counting_iteratorIjlEEPS9_SE_NS0_5tupleIJPjSE_EEENSF_IJSE_SE_EEES9_SG_JZNS1_25segmented_radix_sort_implINS0_14default_configELb0EPKsPsPKlPlN2at6native12_GLOBAL__N_18offset_tEEE10hipError_tPvRmT1_PNSt15iterator_traitsISY_E10value_typeET2_T3_PNSZ_IS14_E10value_typeET4_jRbjT5_S1A_jjP12ihipStream_tbEUljE_EEESV_SW_SX_S14_S18_S1A_T6_T7_T9_mT8_S1C_bDpT10_ENKUlT_T0_E_clISt17integral_constantIbLb1EES1O_IbLb0EEEEDaS1K_S1L_EUlS1K_E_NS1_11comp_targetILNS1_3genE0ELNS1_11target_archE4294967295ELNS1_3gpuE0ELNS1_3repE0EEENS1_30default_config_static_selectorELNS0_4arch9wavefront6targetE1EEEvSY_
; %bb.0:
	.section	.rodata,"a",@progbits
	.p2align	6, 0x0
	.amdhsa_kernel _ZN7rocprim17ROCPRIM_400000_NS6detail17trampoline_kernelINS0_13select_configILj256ELj13ELNS0_17block_load_methodE3ELS4_3ELS4_3ELNS0_20block_scan_algorithmE0ELj4294967295EEENS1_25partition_config_selectorILNS1_17partition_subalgoE3EjNS0_10empty_typeEbEEZZNS1_14partition_implILS8_3ELb0ES6_jNS0_17counting_iteratorIjlEEPS9_SE_NS0_5tupleIJPjSE_EEENSF_IJSE_SE_EEES9_SG_JZNS1_25segmented_radix_sort_implINS0_14default_configELb0EPKsPsPKlPlN2at6native12_GLOBAL__N_18offset_tEEE10hipError_tPvRmT1_PNSt15iterator_traitsISY_E10value_typeET2_T3_PNSZ_IS14_E10value_typeET4_jRbjT5_S1A_jjP12ihipStream_tbEUljE_EEESV_SW_SX_S14_S18_S1A_T6_T7_T9_mT8_S1C_bDpT10_ENKUlT_T0_E_clISt17integral_constantIbLb1EES1O_IbLb0EEEEDaS1K_S1L_EUlS1K_E_NS1_11comp_targetILNS1_3genE0ELNS1_11target_archE4294967295ELNS1_3gpuE0ELNS1_3repE0EEENS1_30default_config_static_selectorELNS0_4arch9wavefront6targetE1EEEvSY_
		.amdhsa_group_segment_fixed_size 0
		.amdhsa_private_segment_fixed_size 0
		.amdhsa_kernarg_size 144
		.amdhsa_user_sgpr_count 6
		.amdhsa_user_sgpr_private_segment_buffer 1
		.amdhsa_user_sgpr_dispatch_ptr 0
		.amdhsa_user_sgpr_queue_ptr 0
		.amdhsa_user_sgpr_kernarg_segment_ptr 1
		.amdhsa_user_sgpr_dispatch_id 0
		.amdhsa_user_sgpr_flat_scratch_init 0
		.amdhsa_user_sgpr_private_segment_size 0
		.amdhsa_uses_dynamic_stack 0
		.amdhsa_system_sgpr_private_segment_wavefront_offset 0
		.amdhsa_system_sgpr_workgroup_id_x 1
		.amdhsa_system_sgpr_workgroup_id_y 0
		.amdhsa_system_sgpr_workgroup_id_z 0
		.amdhsa_system_sgpr_workgroup_info 0
		.amdhsa_system_vgpr_workitem_id 0
		.amdhsa_next_free_vgpr 1
		.amdhsa_next_free_sgpr 0
		.amdhsa_reserve_vcc 0
		.amdhsa_reserve_flat_scratch 0
		.amdhsa_float_round_mode_32 0
		.amdhsa_float_round_mode_16_64 0
		.amdhsa_float_denorm_mode_32 3
		.amdhsa_float_denorm_mode_16_64 3
		.amdhsa_dx10_clamp 1
		.amdhsa_ieee_mode 1
		.amdhsa_fp16_overflow 0
		.amdhsa_exception_fp_ieee_invalid_op 0
		.amdhsa_exception_fp_denorm_src 0
		.amdhsa_exception_fp_ieee_div_zero 0
		.amdhsa_exception_fp_ieee_overflow 0
		.amdhsa_exception_fp_ieee_underflow 0
		.amdhsa_exception_fp_ieee_inexact 0
		.amdhsa_exception_int_div_zero 0
	.end_amdhsa_kernel
	.section	.text._ZN7rocprim17ROCPRIM_400000_NS6detail17trampoline_kernelINS0_13select_configILj256ELj13ELNS0_17block_load_methodE3ELS4_3ELS4_3ELNS0_20block_scan_algorithmE0ELj4294967295EEENS1_25partition_config_selectorILNS1_17partition_subalgoE3EjNS0_10empty_typeEbEEZZNS1_14partition_implILS8_3ELb0ES6_jNS0_17counting_iteratorIjlEEPS9_SE_NS0_5tupleIJPjSE_EEENSF_IJSE_SE_EEES9_SG_JZNS1_25segmented_radix_sort_implINS0_14default_configELb0EPKsPsPKlPlN2at6native12_GLOBAL__N_18offset_tEEE10hipError_tPvRmT1_PNSt15iterator_traitsISY_E10value_typeET2_T3_PNSZ_IS14_E10value_typeET4_jRbjT5_S1A_jjP12ihipStream_tbEUljE_EEESV_SW_SX_S14_S18_S1A_T6_T7_T9_mT8_S1C_bDpT10_ENKUlT_T0_E_clISt17integral_constantIbLb1EES1O_IbLb0EEEEDaS1K_S1L_EUlS1K_E_NS1_11comp_targetILNS1_3genE0ELNS1_11target_archE4294967295ELNS1_3gpuE0ELNS1_3repE0EEENS1_30default_config_static_selectorELNS0_4arch9wavefront6targetE1EEEvSY_,"axG",@progbits,_ZN7rocprim17ROCPRIM_400000_NS6detail17trampoline_kernelINS0_13select_configILj256ELj13ELNS0_17block_load_methodE3ELS4_3ELS4_3ELNS0_20block_scan_algorithmE0ELj4294967295EEENS1_25partition_config_selectorILNS1_17partition_subalgoE3EjNS0_10empty_typeEbEEZZNS1_14partition_implILS8_3ELb0ES6_jNS0_17counting_iteratorIjlEEPS9_SE_NS0_5tupleIJPjSE_EEENSF_IJSE_SE_EEES9_SG_JZNS1_25segmented_radix_sort_implINS0_14default_configELb0EPKsPsPKlPlN2at6native12_GLOBAL__N_18offset_tEEE10hipError_tPvRmT1_PNSt15iterator_traitsISY_E10value_typeET2_T3_PNSZ_IS14_E10value_typeET4_jRbjT5_S1A_jjP12ihipStream_tbEUljE_EEESV_SW_SX_S14_S18_S1A_T6_T7_T9_mT8_S1C_bDpT10_ENKUlT_T0_E_clISt17integral_constantIbLb1EES1O_IbLb0EEEEDaS1K_S1L_EUlS1K_E_NS1_11comp_targetILNS1_3genE0ELNS1_11target_archE4294967295ELNS1_3gpuE0ELNS1_3repE0EEENS1_30default_config_static_selectorELNS0_4arch9wavefront6targetE1EEEvSY_,comdat
.Lfunc_end998:
	.size	_ZN7rocprim17ROCPRIM_400000_NS6detail17trampoline_kernelINS0_13select_configILj256ELj13ELNS0_17block_load_methodE3ELS4_3ELS4_3ELNS0_20block_scan_algorithmE0ELj4294967295EEENS1_25partition_config_selectorILNS1_17partition_subalgoE3EjNS0_10empty_typeEbEEZZNS1_14partition_implILS8_3ELb0ES6_jNS0_17counting_iteratorIjlEEPS9_SE_NS0_5tupleIJPjSE_EEENSF_IJSE_SE_EEES9_SG_JZNS1_25segmented_radix_sort_implINS0_14default_configELb0EPKsPsPKlPlN2at6native12_GLOBAL__N_18offset_tEEE10hipError_tPvRmT1_PNSt15iterator_traitsISY_E10value_typeET2_T3_PNSZ_IS14_E10value_typeET4_jRbjT5_S1A_jjP12ihipStream_tbEUljE_EEESV_SW_SX_S14_S18_S1A_T6_T7_T9_mT8_S1C_bDpT10_ENKUlT_T0_E_clISt17integral_constantIbLb1EES1O_IbLb0EEEEDaS1K_S1L_EUlS1K_E_NS1_11comp_targetILNS1_3genE0ELNS1_11target_archE4294967295ELNS1_3gpuE0ELNS1_3repE0EEENS1_30default_config_static_selectorELNS0_4arch9wavefront6targetE1EEEvSY_, .Lfunc_end998-_ZN7rocprim17ROCPRIM_400000_NS6detail17trampoline_kernelINS0_13select_configILj256ELj13ELNS0_17block_load_methodE3ELS4_3ELS4_3ELNS0_20block_scan_algorithmE0ELj4294967295EEENS1_25partition_config_selectorILNS1_17partition_subalgoE3EjNS0_10empty_typeEbEEZZNS1_14partition_implILS8_3ELb0ES6_jNS0_17counting_iteratorIjlEEPS9_SE_NS0_5tupleIJPjSE_EEENSF_IJSE_SE_EEES9_SG_JZNS1_25segmented_radix_sort_implINS0_14default_configELb0EPKsPsPKlPlN2at6native12_GLOBAL__N_18offset_tEEE10hipError_tPvRmT1_PNSt15iterator_traitsISY_E10value_typeET2_T3_PNSZ_IS14_E10value_typeET4_jRbjT5_S1A_jjP12ihipStream_tbEUljE_EEESV_SW_SX_S14_S18_S1A_T6_T7_T9_mT8_S1C_bDpT10_ENKUlT_T0_E_clISt17integral_constantIbLb1EES1O_IbLb0EEEEDaS1K_S1L_EUlS1K_E_NS1_11comp_targetILNS1_3genE0ELNS1_11target_archE4294967295ELNS1_3gpuE0ELNS1_3repE0EEENS1_30default_config_static_selectorELNS0_4arch9wavefront6targetE1EEEvSY_
                                        ; -- End function
	.set _ZN7rocprim17ROCPRIM_400000_NS6detail17trampoline_kernelINS0_13select_configILj256ELj13ELNS0_17block_load_methodE3ELS4_3ELS4_3ELNS0_20block_scan_algorithmE0ELj4294967295EEENS1_25partition_config_selectorILNS1_17partition_subalgoE3EjNS0_10empty_typeEbEEZZNS1_14partition_implILS8_3ELb0ES6_jNS0_17counting_iteratorIjlEEPS9_SE_NS0_5tupleIJPjSE_EEENSF_IJSE_SE_EEES9_SG_JZNS1_25segmented_radix_sort_implINS0_14default_configELb0EPKsPsPKlPlN2at6native12_GLOBAL__N_18offset_tEEE10hipError_tPvRmT1_PNSt15iterator_traitsISY_E10value_typeET2_T3_PNSZ_IS14_E10value_typeET4_jRbjT5_S1A_jjP12ihipStream_tbEUljE_EEESV_SW_SX_S14_S18_S1A_T6_T7_T9_mT8_S1C_bDpT10_ENKUlT_T0_E_clISt17integral_constantIbLb1EES1O_IbLb0EEEEDaS1K_S1L_EUlS1K_E_NS1_11comp_targetILNS1_3genE0ELNS1_11target_archE4294967295ELNS1_3gpuE0ELNS1_3repE0EEENS1_30default_config_static_selectorELNS0_4arch9wavefront6targetE1EEEvSY_.num_vgpr, 0
	.set _ZN7rocprim17ROCPRIM_400000_NS6detail17trampoline_kernelINS0_13select_configILj256ELj13ELNS0_17block_load_methodE3ELS4_3ELS4_3ELNS0_20block_scan_algorithmE0ELj4294967295EEENS1_25partition_config_selectorILNS1_17partition_subalgoE3EjNS0_10empty_typeEbEEZZNS1_14partition_implILS8_3ELb0ES6_jNS0_17counting_iteratorIjlEEPS9_SE_NS0_5tupleIJPjSE_EEENSF_IJSE_SE_EEES9_SG_JZNS1_25segmented_radix_sort_implINS0_14default_configELb0EPKsPsPKlPlN2at6native12_GLOBAL__N_18offset_tEEE10hipError_tPvRmT1_PNSt15iterator_traitsISY_E10value_typeET2_T3_PNSZ_IS14_E10value_typeET4_jRbjT5_S1A_jjP12ihipStream_tbEUljE_EEESV_SW_SX_S14_S18_S1A_T6_T7_T9_mT8_S1C_bDpT10_ENKUlT_T0_E_clISt17integral_constantIbLb1EES1O_IbLb0EEEEDaS1K_S1L_EUlS1K_E_NS1_11comp_targetILNS1_3genE0ELNS1_11target_archE4294967295ELNS1_3gpuE0ELNS1_3repE0EEENS1_30default_config_static_selectorELNS0_4arch9wavefront6targetE1EEEvSY_.num_agpr, 0
	.set _ZN7rocprim17ROCPRIM_400000_NS6detail17trampoline_kernelINS0_13select_configILj256ELj13ELNS0_17block_load_methodE3ELS4_3ELS4_3ELNS0_20block_scan_algorithmE0ELj4294967295EEENS1_25partition_config_selectorILNS1_17partition_subalgoE3EjNS0_10empty_typeEbEEZZNS1_14partition_implILS8_3ELb0ES6_jNS0_17counting_iteratorIjlEEPS9_SE_NS0_5tupleIJPjSE_EEENSF_IJSE_SE_EEES9_SG_JZNS1_25segmented_radix_sort_implINS0_14default_configELb0EPKsPsPKlPlN2at6native12_GLOBAL__N_18offset_tEEE10hipError_tPvRmT1_PNSt15iterator_traitsISY_E10value_typeET2_T3_PNSZ_IS14_E10value_typeET4_jRbjT5_S1A_jjP12ihipStream_tbEUljE_EEESV_SW_SX_S14_S18_S1A_T6_T7_T9_mT8_S1C_bDpT10_ENKUlT_T0_E_clISt17integral_constantIbLb1EES1O_IbLb0EEEEDaS1K_S1L_EUlS1K_E_NS1_11comp_targetILNS1_3genE0ELNS1_11target_archE4294967295ELNS1_3gpuE0ELNS1_3repE0EEENS1_30default_config_static_selectorELNS0_4arch9wavefront6targetE1EEEvSY_.numbered_sgpr, 0
	.set _ZN7rocprim17ROCPRIM_400000_NS6detail17trampoline_kernelINS0_13select_configILj256ELj13ELNS0_17block_load_methodE3ELS4_3ELS4_3ELNS0_20block_scan_algorithmE0ELj4294967295EEENS1_25partition_config_selectorILNS1_17partition_subalgoE3EjNS0_10empty_typeEbEEZZNS1_14partition_implILS8_3ELb0ES6_jNS0_17counting_iteratorIjlEEPS9_SE_NS0_5tupleIJPjSE_EEENSF_IJSE_SE_EEES9_SG_JZNS1_25segmented_radix_sort_implINS0_14default_configELb0EPKsPsPKlPlN2at6native12_GLOBAL__N_18offset_tEEE10hipError_tPvRmT1_PNSt15iterator_traitsISY_E10value_typeET2_T3_PNSZ_IS14_E10value_typeET4_jRbjT5_S1A_jjP12ihipStream_tbEUljE_EEESV_SW_SX_S14_S18_S1A_T6_T7_T9_mT8_S1C_bDpT10_ENKUlT_T0_E_clISt17integral_constantIbLb1EES1O_IbLb0EEEEDaS1K_S1L_EUlS1K_E_NS1_11comp_targetILNS1_3genE0ELNS1_11target_archE4294967295ELNS1_3gpuE0ELNS1_3repE0EEENS1_30default_config_static_selectorELNS0_4arch9wavefront6targetE1EEEvSY_.num_named_barrier, 0
	.set _ZN7rocprim17ROCPRIM_400000_NS6detail17trampoline_kernelINS0_13select_configILj256ELj13ELNS0_17block_load_methodE3ELS4_3ELS4_3ELNS0_20block_scan_algorithmE0ELj4294967295EEENS1_25partition_config_selectorILNS1_17partition_subalgoE3EjNS0_10empty_typeEbEEZZNS1_14partition_implILS8_3ELb0ES6_jNS0_17counting_iteratorIjlEEPS9_SE_NS0_5tupleIJPjSE_EEENSF_IJSE_SE_EEES9_SG_JZNS1_25segmented_radix_sort_implINS0_14default_configELb0EPKsPsPKlPlN2at6native12_GLOBAL__N_18offset_tEEE10hipError_tPvRmT1_PNSt15iterator_traitsISY_E10value_typeET2_T3_PNSZ_IS14_E10value_typeET4_jRbjT5_S1A_jjP12ihipStream_tbEUljE_EEESV_SW_SX_S14_S18_S1A_T6_T7_T9_mT8_S1C_bDpT10_ENKUlT_T0_E_clISt17integral_constantIbLb1EES1O_IbLb0EEEEDaS1K_S1L_EUlS1K_E_NS1_11comp_targetILNS1_3genE0ELNS1_11target_archE4294967295ELNS1_3gpuE0ELNS1_3repE0EEENS1_30default_config_static_selectorELNS0_4arch9wavefront6targetE1EEEvSY_.private_seg_size, 0
	.set _ZN7rocprim17ROCPRIM_400000_NS6detail17trampoline_kernelINS0_13select_configILj256ELj13ELNS0_17block_load_methodE3ELS4_3ELS4_3ELNS0_20block_scan_algorithmE0ELj4294967295EEENS1_25partition_config_selectorILNS1_17partition_subalgoE3EjNS0_10empty_typeEbEEZZNS1_14partition_implILS8_3ELb0ES6_jNS0_17counting_iteratorIjlEEPS9_SE_NS0_5tupleIJPjSE_EEENSF_IJSE_SE_EEES9_SG_JZNS1_25segmented_radix_sort_implINS0_14default_configELb0EPKsPsPKlPlN2at6native12_GLOBAL__N_18offset_tEEE10hipError_tPvRmT1_PNSt15iterator_traitsISY_E10value_typeET2_T3_PNSZ_IS14_E10value_typeET4_jRbjT5_S1A_jjP12ihipStream_tbEUljE_EEESV_SW_SX_S14_S18_S1A_T6_T7_T9_mT8_S1C_bDpT10_ENKUlT_T0_E_clISt17integral_constantIbLb1EES1O_IbLb0EEEEDaS1K_S1L_EUlS1K_E_NS1_11comp_targetILNS1_3genE0ELNS1_11target_archE4294967295ELNS1_3gpuE0ELNS1_3repE0EEENS1_30default_config_static_selectorELNS0_4arch9wavefront6targetE1EEEvSY_.uses_vcc, 0
	.set _ZN7rocprim17ROCPRIM_400000_NS6detail17trampoline_kernelINS0_13select_configILj256ELj13ELNS0_17block_load_methodE3ELS4_3ELS4_3ELNS0_20block_scan_algorithmE0ELj4294967295EEENS1_25partition_config_selectorILNS1_17partition_subalgoE3EjNS0_10empty_typeEbEEZZNS1_14partition_implILS8_3ELb0ES6_jNS0_17counting_iteratorIjlEEPS9_SE_NS0_5tupleIJPjSE_EEENSF_IJSE_SE_EEES9_SG_JZNS1_25segmented_radix_sort_implINS0_14default_configELb0EPKsPsPKlPlN2at6native12_GLOBAL__N_18offset_tEEE10hipError_tPvRmT1_PNSt15iterator_traitsISY_E10value_typeET2_T3_PNSZ_IS14_E10value_typeET4_jRbjT5_S1A_jjP12ihipStream_tbEUljE_EEESV_SW_SX_S14_S18_S1A_T6_T7_T9_mT8_S1C_bDpT10_ENKUlT_T0_E_clISt17integral_constantIbLb1EES1O_IbLb0EEEEDaS1K_S1L_EUlS1K_E_NS1_11comp_targetILNS1_3genE0ELNS1_11target_archE4294967295ELNS1_3gpuE0ELNS1_3repE0EEENS1_30default_config_static_selectorELNS0_4arch9wavefront6targetE1EEEvSY_.uses_flat_scratch, 0
	.set _ZN7rocprim17ROCPRIM_400000_NS6detail17trampoline_kernelINS0_13select_configILj256ELj13ELNS0_17block_load_methodE3ELS4_3ELS4_3ELNS0_20block_scan_algorithmE0ELj4294967295EEENS1_25partition_config_selectorILNS1_17partition_subalgoE3EjNS0_10empty_typeEbEEZZNS1_14partition_implILS8_3ELb0ES6_jNS0_17counting_iteratorIjlEEPS9_SE_NS0_5tupleIJPjSE_EEENSF_IJSE_SE_EEES9_SG_JZNS1_25segmented_radix_sort_implINS0_14default_configELb0EPKsPsPKlPlN2at6native12_GLOBAL__N_18offset_tEEE10hipError_tPvRmT1_PNSt15iterator_traitsISY_E10value_typeET2_T3_PNSZ_IS14_E10value_typeET4_jRbjT5_S1A_jjP12ihipStream_tbEUljE_EEESV_SW_SX_S14_S18_S1A_T6_T7_T9_mT8_S1C_bDpT10_ENKUlT_T0_E_clISt17integral_constantIbLb1EES1O_IbLb0EEEEDaS1K_S1L_EUlS1K_E_NS1_11comp_targetILNS1_3genE0ELNS1_11target_archE4294967295ELNS1_3gpuE0ELNS1_3repE0EEENS1_30default_config_static_selectorELNS0_4arch9wavefront6targetE1EEEvSY_.has_dyn_sized_stack, 0
	.set _ZN7rocprim17ROCPRIM_400000_NS6detail17trampoline_kernelINS0_13select_configILj256ELj13ELNS0_17block_load_methodE3ELS4_3ELS4_3ELNS0_20block_scan_algorithmE0ELj4294967295EEENS1_25partition_config_selectorILNS1_17partition_subalgoE3EjNS0_10empty_typeEbEEZZNS1_14partition_implILS8_3ELb0ES6_jNS0_17counting_iteratorIjlEEPS9_SE_NS0_5tupleIJPjSE_EEENSF_IJSE_SE_EEES9_SG_JZNS1_25segmented_radix_sort_implINS0_14default_configELb0EPKsPsPKlPlN2at6native12_GLOBAL__N_18offset_tEEE10hipError_tPvRmT1_PNSt15iterator_traitsISY_E10value_typeET2_T3_PNSZ_IS14_E10value_typeET4_jRbjT5_S1A_jjP12ihipStream_tbEUljE_EEESV_SW_SX_S14_S18_S1A_T6_T7_T9_mT8_S1C_bDpT10_ENKUlT_T0_E_clISt17integral_constantIbLb1EES1O_IbLb0EEEEDaS1K_S1L_EUlS1K_E_NS1_11comp_targetILNS1_3genE0ELNS1_11target_archE4294967295ELNS1_3gpuE0ELNS1_3repE0EEENS1_30default_config_static_selectorELNS0_4arch9wavefront6targetE1EEEvSY_.has_recursion, 0
	.set _ZN7rocprim17ROCPRIM_400000_NS6detail17trampoline_kernelINS0_13select_configILj256ELj13ELNS0_17block_load_methodE3ELS4_3ELS4_3ELNS0_20block_scan_algorithmE0ELj4294967295EEENS1_25partition_config_selectorILNS1_17partition_subalgoE3EjNS0_10empty_typeEbEEZZNS1_14partition_implILS8_3ELb0ES6_jNS0_17counting_iteratorIjlEEPS9_SE_NS0_5tupleIJPjSE_EEENSF_IJSE_SE_EEES9_SG_JZNS1_25segmented_radix_sort_implINS0_14default_configELb0EPKsPsPKlPlN2at6native12_GLOBAL__N_18offset_tEEE10hipError_tPvRmT1_PNSt15iterator_traitsISY_E10value_typeET2_T3_PNSZ_IS14_E10value_typeET4_jRbjT5_S1A_jjP12ihipStream_tbEUljE_EEESV_SW_SX_S14_S18_S1A_T6_T7_T9_mT8_S1C_bDpT10_ENKUlT_T0_E_clISt17integral_constantIbLb1EES1O_IbLb0EEEEDaS1K_S1L_EUlS1K_E_NS1_11comp_targetILNS1_3genE0ELNS1_11target_archE4294967295ELNS1_3gpuE0ELNS1_3repE0EEENS1_30default_config_static_selectorELNS0_4arch9wavefront6targetE1EEEvSY_.has_indirect_call, 0
	.section	.AMDGPU.csdata,"",@progbits
; Kernel info:
; codeLenInByte = 0
; TotalNumSgprs: 4
; NumVgprs: 0
; ScratchSize: 0
; MemoryBound: 0
; FloatMode: 240
; IeeeMode: 1
; LDSByteSize: 0 bytes/workgroup (compile time only)
; SGPRBlocks: 0
; VGPRBlocks: 0
; NumSGPRsForWavesPerEU: 4
; NumVGPRsForWavesPerEU: 1
; Occupancy: 10
; WaveLimiterHint : 0
; COMPUTE_PGM_RSRC2:SCRATCH_EN: 0
; COMPUTE_PGM_RSRC2:USER_SGPR: 6
; COMPUTE_PGM_RSRC2:TRAP_HANDLER: 0
; COMPUTE_PGM_RSRC2:TGID_X_EN: 1
; COMPUTE_PGM_RSRC2:TGID_Y_EN: 0
; COMPUTE_PGM_RSRC2:TGID_Z_EN: 0
; COMPUTE_PGM_RSRC2:TIDIG_COMP_CNT: 0
	.section	.text._ZN7rocprim17ROCPRIM_400000_NS6detail17trampoline_kernelINS0_13select_configILj256ELj13ELNS0_17block_load_methodE3ELS4_3ELS4_3ELNS0_20block_scan_algorithmE0ELj4294967295EEENS1_25partition_config_selectorILNS1_17partition_subalgoE3EjNS0_10empty_typeEbEEZZNS1_14partition_implILS8_3ELb0ES6_jNS0_17counting_iteratorIjlEEPS9_SE_NS0_5tupleIJPjSE_EEENSF_IJSE_SE_EEES9_SG_JZNS1_25segmented_radix_sort_implINS0_14default_configELb0EPKsPsPKlPlN2at6native12_GLOBAL__N_18offset_tEEE10hipError_tPvRmT1_PNSt15iterator_traitsISY_E10value_typeET2_T3_PNSZ_IS14_E10value_typeET4_jRbjT5_S1A_jjP12ihipStream_tbEUljE_EEESV_SW_SX_S14_S18_S1A_T6_T7_T9_mT8_S1C_bDpT10_ENKUlT_T0_E_clISt17integral_constantIbLb1EES1O_IbLb0EEEEDaS1K_S1L_EUlS1K_E_NS1_11comp_targetILNS1_3genE5ELNS1_11target_archE942ELNS1_3gpuE9ELNS1_3repE0EEENS1_30default_config_static_selectorELNS0_4arch9wavefront6targetE1EEEvSY_,"axG",@progbits,_ZN7rocprim17ROCPRIM_400000_NS6detail17trampoline_kernelINS0_13select_configILj256ELj13ELNS0_17block_load_methodE3ELS4_3ELS4_3ELNS0_20block_scan_algorithmE0ELj4294967295EEENS1_25partition_config_selectorILNS1_17partition_subalgoE3EjNS0_10empty_typeEbEEZZNS1_14partition_implILS8_3ELb0ES6_jNS0_17counting_iteratorIjlEEPS9_SE_NS0_5tupleIJPjSE_EEENSF_IJSE_SE_EEES9_SG_JZNS1_25segmented_radix_sort_implINS0_14default_configELb0EPKsPsPKlPlN2at6native12_GLOBAL__N_18offset_tEEE10hipError_tPvRmT1_PNSt15iterator_traitsISY_E10value_typeET2_T3_PNSZ_IS14_E10value_typeET4_jRbjT5_S1A_jjP12ihipStream_tbEUljE_EEESV_SW_SX_S14_S18_S1A_T6_T7_T9_mT8_S1C_bDpT10_ENKUlT_T0_E_clISt17integral_constantIbLb1EES1O_IbLb0EEEEDaS1K_S1L_EUlS1K_E_NS1_11comp_targetILNS1_3genE5ELNS1_11target_archE942ELNS1_3gpuE9ELNS1_3repE0EEENS1_30default_config_static_selectorELNS0_4arch9wavefront6targetE1EEEvSY_,comdat
	.globl	_ZN7rocprim17ROCPRIM_400000_NS6detail17trampoline_kernelINS0_13select_configILj256ELj13ELNS0_17block_load_methodE3ELS4_3ELS4_3ELNS0_20block_scan_algorithmE0ELj4294967295EEENS1_25partition_config_selectorILNS1_17partition_subalgoE3EjNS0_10empty_typeEbEEZZNS1_14partition_implILS8_3ELb0ES6_jNS0_17counting_iteratorIjlEEPS9_SE_NS0_5tupleIJPjSE_EEENSF_IJSE_SE_EEES9_SG_JZNS1_25segmented_radix_sort_implINS0_14default_configELb0EPKsPsPKlPlN2at6native12_GLOBAL__N_18offset_tEEE10hipError_tPvRmT1_PNSt15iterator_traitsISY_E10value_typeET2_T3_PNSZ_IS14_E10value_typeET4_jRbjT5_S1A_jjP12ihipStream_tbEUljE_EEESV_SW_SX_S14_S18_S1A_T6_T7_T9_mT8_S1C_bDpT10_ENKUlT_T0_E_clISt17integral_constantIbLb1EES1O_IbLb0EEEEDaS1K_S1L_EUlS1K_E_NS1_11comp_targetILNS1_3genE5ELNS1_11target_archE942ELNS1_3gpuE9ELNS1_3repE0EEENS1_30default_config_static_selectorELNS0_4arch9wavefront6targetE1EEEvSY_ ; -- Begin function _ZN7rocprim17ROCPRIM_400000_NS6detail17trampoline_kernelINS0_13select_configILj256ELj13ELNS0_17block_load_methodE3ELS4_3ELS4_3ELNS0_20block_scan_algorithmE0ELj4294967295EEENS1_25partition_config_selectorILNS1_17partition_subalgoE3EjNS0_10empty_typeEbEEZZNS1_14partition_implILS8_3ELb0ES6_jNS0_17counting_iteratorIjlEEPS9_SE_NS0_5tupleIJPjSE_EEENSF_IJSE_SE_EEES9_SG_JZNS1_25segmented_radix_sort_implINS0_14default_configELb0EPKsPsPKlPlN2at6native12_GLOBAL__N_18offset_tEEE10hipError_tPvRmT1_PNSt15iterator_traitsISY_E10value_typeET2_T3_PNSZ_IS14_E10value_typeET4_jRbjT5_S1A_jjP12ihipStream_tbEUljE_EEESV_SW_SX_S14_S18_S1A_T6_T7_T9_mT8_S1C_bDpT10_ENKUlT_T0_E_clISt17integral_constantIbLb1EES1O_IbLb0EEEEDaS1K_S1L_EUlS1K_E_NS1_11comp_targetILNS1_3genE5ELNS1_11target_archE942ELNS1_3gpuE9ELNS1_3repE0EEENS1_30default_config_static_selectorELNS0_4arch9wavefront6targetE1EEEvSY_
	.p2align	8
	.type	_ZN7rocprim17ROCPRIM_400000_NS6detail17trampoline_kernelINS0_13select_configILj256ELj13ELNS0_17block_load_methodE3ELS4_3ELS4_3ELNS0_20block_scan_algorithmE0ELj4294967295EEENS1_25partition_config_selectorILNS1_17partition_subalgoE3EjNS0_10empty_typeEbEEZZNS1_14partition_implILS8_3ELb0ES6_jNS0_17counting_iteratorIjlEEPS9_SE_NS0_5tupleIJPjSE_EEENSF_IJSE_SE_EEES9_SG_JZNS1_25segmented_radix_sort_implINS0_14default_configELb0EPKsPsPKlPlN2at6native12_GLOBAL__N_18offset_tEEE10hipError_tPvRmT1_PNSt15iterator_traitsISY_E10value_typeET2_T3_PNSZ_IS14_E10value_typeET4_jRbjT5_S1A_jjP12ihipStream_tbEUljE_EEESV_SW_SX_S14_S18_S1A_T6_T7_T9_mT8_S1C_bDpT10_ENKUlT_T0_E_clISt17integral_constantIbLb1EES1O_IbLb0EEEEDaS1K_S1L_EUlS1K_E_NS1_11comp_targetILNS1_3genE5ELNS1_11target_archE942ELNS1_3gpuE9ELNS1_3repE0EEENS1_30default_config_static_selectorELNS0_4arch9wavefront6targetE1EEEvSY_,@function
_ZN7rocprim17ROCPRIM_400000_NS6detail17trampoline_kernelINS0_13select_configILj256ELj13ELNS0_17block_load_methodE3ELS4_3ELS4_3ELNS0_20block_scan_algorithmE0ELj4294967295EEENS1_25partition_config_selectorILNS1_17partition_subalgoE3EjNS0_10empty_typeEbEEZZNS1_14partition_implILS8_3ELb0ES6_jNS0_17counting_iteratorIjlEEPS9_SE_NS0_5tupleIJPjSE_EEENSF_IJSE_SE_EEES9_SG_JZNS1_25segmented_radix_sort_implINS0_14default_configELb0EPKsPsPKlPlN2at6native12_GLOBAL__N_18offset_tEEE10hipError_tPvRmT1_PNSt15iterator_traitsISY_E10value_typeET2_T3_PNSZ_IS14_E10value_typeET4_jRbjT5_S1A_jjP12ihipStream_tbEUljE_EEESV_SW_SX_S14_S18_S1A_T6_T7_T9_mT8_S1C_bDpT10_ENKUlT_T0_E_clISt17integral_constantIbLb1EES1O_IbLb0EEEEDaS1K_S1L_EUlS1K_E_NS1_11comp_targetILNS1_3genE5ELNS1_11target_archE942ELNS1_3gpuE9ELNS1_3repE0EEENS1_30default_config_static_selectorELNS0_4arch9wavefront6targetE1EEEvSY_: ; @_ZN7rocprim17ROCPRIM_400000_NS6detail17trampoline_kernelINS0_13select_configILj256ELj13ELNS0_17block_load_methodE3ELS4_3ELS4_3ELNS0_20block_scan_algorithmE0ELj4294967295EEENS1_25partition_config_selectorILNS1_17partition_subalgoE3EjNS0_10empty_typeEbEEZZNS1_14partition_implILS8_3ELb0ES6_jNS0_17counting_iteratorIjlEEPS9_SE_NS0_5tupleIJPjSE_EEENSF_IJSE_SE_EEES9_SG_JZNS1_25segmented_radix_sort_implINS0_14default_configELb0EPKsPsPKlPlN2at6native12_GLOBAL__N_18offset_tEEE10hipError_tPvRmT1_PNSt15iterator_traitsISY_E10value_typeET2_T3_PNSZ_IS14_E10value_typeET4_jRbjT5_S1A_jjP12ihipStream_tbEUljE_EEESV_SW_SX_S14_S18_S1A_T6_T7_T9_mT8_S1C_bDpT10_ENKUlT_T0_E_clISt17integral_constantIbLb1EES1O_IbLb0EEEEDaS1K_S1L_EUlS1K_E_NS1_11comp_targetILNS1_3genE5ELNS1_11target_archE942ELNS1_3gpuE9ELNS1_3repE0EEENS1_30default_config_static_selectorELNS0_4arch9wavefront6targetE1EEEvSY_
; %bb.0:
	.section	.rodata,"a",@progbits
	.p2align	6, 0x0
	.amdhsa_kernel _ZN7rocprim17ROCPRIM_400000_NS6detail17trampoline_kernelINS0_13select_configILj256ELj13ELNS0_17block_load_methodE3ELS4_3ELS4_3ELNS0_20block_scan_algorithmE0ELj4294967295EEENS1_25partition_config_selectorILNS1_17partition_subalgoE3EjNS0_10empty_typeEbEEZZNS1_14partition_implILS8_3ELb0ES6_jNS0_17counting_iteratorIjlEEPS9_SE_NS0_5tupleIJPjSE_EEENSF_IJSE_SE_EEES9_SG_JZNS1_25segmented_radix_sort_implINS0_14default_configELb0EPKsPsPKlPlN2at6native12_GLOBAL__N_18offset_tEEE10hipError_tPvRmT1_PNSt15iterator_traitsISY_E10value_typeET2_T3_PNSZ_IS14_E10value_typeET4_jRbjT5_S1A_jjP12ihipStream_tbEUljE_EEESV_SW_SX_S14_S18_S1A_T6_T7_T9_mT8_S1C_bDpT10_ENKUlT_T0_E_clISt17integral_constantIbLb1EES1O_IbLb0EEEEDaS1K_S1L_EUlS1K_E_NS1_11comp_targetILNS1_3genE5ELNS1_11target_archE942ELNS1_3gpuE9ELNS1_3repE0EEENS1_30default_config_static_selectorELNS0_4arch9wavefront6targetE1EEEvSY_
		.amdhsa_group_segment_fixed_size 0
		.amdhsa_private_segment_fixed_size 0
		.amdhsa_kernarg_size 144
		.amdhsa_user_sgpr_count 6
		.amdhsa_user_sgpr_private_segment_buffer 1
		.amdhsa_user_sgpr_dispatch_ptr 0
		.amdhsa_user_sgpr_queue_ptr 0
		.amdhsa_user_sgpr_kernarg_segment_ptr 1
		.amdhsa_user_sgpr_dispatch_id 0
		.amdhsa_user_sgpr_flat_scratch_init 0
		.amdhsa_user_sgpr_private_segment_size 0
		.amdhsa_uses_dynamic_stack 0
		.amdhsa_system_sgpr_private_segment_wavefront_offset 0
		.amdhsa_system_sgpr_workgroup_id_x 1
		.amdhsa_system_sgpr_workgroup_id_y 0
		.amdhsa_system_sgpr_workgroup_id_z 0
		.amdhsa_system_sgpr_workgroup_info 0
		.amdhsa_system_vgpr_workitem_id 0
		.amdhsa_next_free_vgpr 1
		.amdhsa_next_free_sgpr 0
		.amdhsa_reserve_vcc 0
		.amdhsa_reserve_flat_scratch 0
		.amdhsa_float_round_mode_32 0
		.amdhsa_float_round_mode_16_64 0
		.amdhsa_float_denorm_mode_32 3
		.amdhsa_float_denorm_mode_16_64 3
		.amdhsa_dx10_clamp 1
		.amdhsa_ieee_mode 1
		.amdhsa_fp16_overflow 0
		.amdhsa_exception_fp_ieee_invalid_op 0
		.amdhsa_exception_fp_denorm_src 0
		.amdhsa_exception_fp_ieee_div_zero 0
		.amdhsa_exception_fp_ieee_overflow 0
		.amdhsa_exception_fp_ieee_underflow 0
		.amdhsa_exception_fp_ieee_inexact 0
		.amdhsa_exception_int_div_zero 0
	.end_amdhsa_kernel
	.section	.text._ZN7rocprim17ROCPRIM_400000_NS6detail17trampoline_kernelINS0_13select_configILj256ELj13ELNS0_17block_load_methodE3ELS4_3ELS4_3ELNS0_20block_scan_algorithmE0ELj4294967295EEENS1_25partition_config_selectorILNS1_17partition_subalgoE3EjNS0_10empty_typeEbEEZZNS1_14partition_implILS8_3ELb0ES6_jNS0_17counting_iteratorIjlEEPS9_SE_NS0_5tupleIJPjSE_EEENSF_IJSE_SE_EEES9_SG_JZNS1_25segmented_radix_sort_implINS0_14default_configELb0EPKsPsPKlPlN2at6native12_GLOBAL__N_18offset_tEEE10hipError_tPvRmT1_PNSt15iterator_traitsISY_E10value_typeET2_T3_PNSZ_IS14_E10value_typeET4_jRbjT5_S1A_jjP12ihipStream_tbEUljE_EEESV_SW_SX_S14_S18_S1A_T6_T7_T9_mT8_S1C_bDpT10_ENKUlT_T0_E_clISt17integral_constantIbLb1EES1O_IbLb0EEEEDaS1K_S1L_EUlS1K_E_NS1_11comp_targetILNS1_3genE5ELNS1_11target_archE942ELNS1_3gpuE9ELNS1_3repE0EEENS1_30default_config_static_selectorELNS0_4arch9wavefront6targetE1EEEvSY_,"axG",@progbits,_ZN7rocprim17ROCPRIM_400000_NS6detail17trampoline_kernelINS0_13select_configILj256ELj13ELNS0_17block_load_methodE3ELS4_3ELS4_3ELNS0_20block_scan_algorithmE0ELj4294967295EEENS1_25partition_config_selectorILNS1_17partition_subalgoE3EjNS0_10empty_typeEbEEZZNS1_14partition_implILS8_3ELb0ES6_jNS0_17counting_iteratorIjlEEPS9_SE_NS0_5tupleIJPjSE_EEENSF_IJSE_SE_EEES9_SG_JZNS1_25segmented_radix_sort_implINS0_14default_configELb0EPKsPsPKlPlN2at6native12_GLOBAL__N_18offset_tEEE10hipError_tPvRmT1_PNSt15iterator_traitsISY_E10value_typeET2_T3_PNSZ_IS14_E10value_typeET4_jRbjT5_S1A_jjP12ihipStream_tbEUljE_EEESV_SW_SX_S14_S18_S1A_T6_T7_T9_mT8_S1C_bDpT10_ENKUlT_T0_E_clISt17integral_constantIbLb1EES1O_IbLb0EEEEDaS1K_S1L_EUlS1K_E_NS1_11comp_targetILNS1_3genE5ELNS1_11target_archE942ELNS1_3gpuE9ELNS1_3repE0EEENS1_30default_config_static_selectorELNS0_4arch9wavefront6targetE1EEEvSY_,comdat
.Lfunc_end999:
	.size	_ZN7rocprim17ROCPRIM_400000_NS6detail17trampoline_kernelINS0_13select_configILj256ELj13ELNS0_17block_load_methodE3ELS4_3ELS4_3ELNS0_20block_scan_algorithmE0ELj4294967295EEENS1_25partition_config_selectorILNS1_17partition_subalgoE3EjNS0_10empty_typeEbEEZZNS1_14partition_implILS8_3ELb0ES6_jNS0_17counting_iteratorIjlEEPS9_SE_NS0_5tupleIJPjSE_EEENSF_IJSE_SE_EEES9_SG_JZNS1_25segmented_radix_sort_implINS0_14default_configELb0EPKsPsPKlPlN2at6native12_GLOBAL__N_18offset_tEEE10hipError_tPvRmT1_PNSt15iterator_traitsISY_E10value_typeET2_T3_PNSZ_IS14_E10value_typeET4_jRbjT5_S1A_jjP12ihipStream_tbEUljE_EEESV_SW_SX_S14_S18_S1A_T6_T7_T9_mT8_S1C_bDpT10_ENKUlT_T0_E_clISt17integral_constantIbLb1EES1O_IbLb0EEEEDaS1K_S1L_EUlS1K_E_NS1_11comp_targetILNS1_3genE5ELNS1_11target_archE942ELNS1_3gpuE9ELNS1_3repE0EEENS1_30default_config_static_selectorELNS0_4arch9wavefront6targetE1EEEvSY_, .Lfunc_end999-_ZN7rocprim17ROCPRIM_400000_NS6detail17trampoline_kernelINS0_13select_configILj256ELj13ELNS0_17block_load_methodE3ELS4_3ELS4_3ELNS0_20block_scan_algorithmE0ELj4294967295EEENS1_25partition_config_selectorILNS1_17partition_subalgoE3EjNS0_10empty_typeEbEEZZNS1_14partition_implILS8_3ELb0ES6_jNS0_17counting_iteratorIjlEEPS9_SE_NS0_5tupleIJPjSE_EEENSF_IJSE_SE_EEES9_SG_JZNS1_25segmented_radix_sort_implINS0_14default_configELb0EPKsPsPKlPlN2at6native12_GLOBAL__N_18offset_tEEE10hipError_tPvRmT1_PNSt15iterator_traitsISY_E10value_typeET2_T3_PNSZ_IS14_E10value_typeET4_jRbjT5_S1A_jjP12ihipStream_tbEUljE_EEESV_SW_SX_S14_S18_S1A_T6_T7_T9_mT8_S1C_bDpT10_ENKUlT_T0_E_clISt17integral_constantIbLb1EES1O_IbLb0EEEEDaS1K_S1L_EUlS1K_E_NS1_11comp_targetILNS1_3genE5ELNS1_11target_archE942ELNS1_3gpuE9ELNS1_3repE0EEENS1_30default_config_static_selectorELNS0_4arch9wavefront6targetE1EEEvSY_
                                        ; -- End function
	.set _ZN7rocprim17ROCPRIM_400000_NS6detail17trampoline_kernelINS0_13select_configILj256ELj13ELNS0_17block_load_methodE3ELS4_3ELS4_3ELNS0_20block_scan_algorithmE0ELj4294967295EEENS1_25partition_config_selectorILNS1_17partition_subalgoE3EjNS0_10empty_typeEbEEZZNS1_14partition_implILS8_3ELb0ES6_jNS0_17counting_iteratorIjlEEPS9_SE_NS0_5tupleIJPjSE_EEENSF_IJSE_SE_EEES9_SG_JZNS1_25segmented_radix_sort_implINS0_14default_configELb0EPKsPsPKlPlN2at6native12_GLOBAL__N_18offset_tEEE10hipError_tPvRmT1_PNSt15iterator_traitsISY_E10value_typeET2_T3_PNSZ_IS14_E10value_typeET4_jRbjT5_S1A_jjP12ihipStream_tbEUljE_EEESV_SW_SX_S14_S18_S1A_T6_T7_T9_mT8_S1C_bDpT10_ENKUlT_T0_E_clISt17integral_constantIbLb1EES1O_IbLb0EEEEDaS1K_S1L_EUlS1K_E_NS1_11comp_targetILNS1_3genE5ELNS1_11target_archE942ELNS1_3gpuE9ELNS1_3repE0EEENS1_30default_config_static_selectorELNS0_4arch9wavefront6targetE1EEEvSY_.num_vgpr, 0
	.set _ZN7rocprim17ROCPRIM_400000_NS6detail17trampoline_kernelINS0_13select_configILj256ELj13ELNS0_17block_load_methodE3ELS4_3ELS4_3ELNS0_20block_scan_algorithmE0ELj4294967295EEENS1_25partition_config_selectorILNS1_17partition_subalgoE3EjNS0_10empty_typeEbEEZZNS1_14partition_implILS8_3ELb0ES6_jNS0_17counting_iteratorIjlEEPS9_SE_NS0_5tupleIJPjSE_EEENSF_IJSE_SE_EEES9_SG_JZNS1_25segmented_radix_sort_implINS0_14default_configELb0EPKsPsPKlPlN2at6native12_GLOBAL__N_18offset_tEEE10hipError_tPvRmT1_PNSt15iterator_traitsISY_E10value_typeET2_T3_PNSZ_IS14_E10value_typeET4_jRbjT5_S1A_jjP12ihipStream_tbEUljE_EEESV_SW_SX_S14_S18_S1A_T6_T7_T9_mT8_S1C_bDpT10_ENKUlT_T0_E_clISt17integral_constantIbLb1EES1O_IbLb0EEEEDaS1K_S1L_EUlS1K_E_NS1_11comp_targetILNS1_3genE5ELNS1_11target_archE942ELNS1_3gpuE9ELNS1_3repE0EEENS1_30default_config_static_selectorELNS0_4arch9wavefront6targetE1EEEvSY_.num_agpr, 0
	.set _ZN7rocprim17ROCPRIM_400000_NS6detail17trampoline_kernelINS0_13select_configILj256ELj13ELNS0_17block_load_methodE3ELS4_3ELS4_3ELNS0_20block_scan_algorithmE0ELj4294967295EEENS1_25partition_config_selectorILNS1_17partition_subalgoE3EjNS0_10empty_typeEbEEZZNS1_14partition_implILS8_3ELb0ES6_jNS0_17counting_iteratorIjlEEPS9_SE_NS0_5tupleIJPjSE_EEENSF_IJSE_SE_EEES9_SG_JZNS1_25segmented_radix_sort_implINS0_14default_configELb0EPKsPsPKlPlN2at6native12_GLOBAL__N_18offset_tEEE10hipError_tPvRmT1_PNSt15iterator_traitsISY_E10value_typeET2_T3_PNSZ_IS14_E10value_typeET4_jRbjT5_S1A_jjP12ihipStream_tbEUljE_EEESV_SW_SX_S14_S18_S1A_T6_T7_T9_mT8_S1C_bDpT10_ENKUlT_T0_E_clISt17integral_constantIbLb1EES1O_IbLb0EEEEDaS1K_S1L_EUlS1K_E_NS1_11comp_targetILNS1_3genE5ELNS1_11target_archE942ELNS1_3gpuE9ELNS1_3repE0EEENS1_30default_config_static_selectorELNS0_4arch9wavefront6targetE1EEEvSY_.numbered_sgpr, 0
	.set _ZN7rocprim17ROCPRIM_400000_NS6detail17trampoline_kernelINS0_13select_configILj256ELj13ELNS0_17block_load_methodE3ELS4_3ELS4_3ELNS0_20block_scan_algorithmE0ELj4294967295EEENS1_25partition_config_selectorILNS1_17partition_subalgoE3EjNS0_10empty_typeEbEEZZNS1_14partition_implILS8_3ELb0ES6_jNS0_17counting_iteratorIjlEEPS9_SE_NS0_5tupleIJPjSE_EEENSF_IJSE_SE_EEES9_SG_JZNS1_25segmented_radix_sort_implINS0_14default_configELb0EPKsPsPKlPlN2at6native12_GLOBAL__N_18offset_tEEE10hipError_tPvRmT1_PNSt15iterator_traitsISY_E10value_typeET2_T3_PNSZ_IS14_E10value_typeET4_jRbjT5_S1A_jjP12ihipStream_tbEUljE_EEESV_SW_SX_S14_S18_S1A_T6_T7_T9_mT8_S1C_bDpT10_ENKUlT_T0_E_clISt17integral_constantIbLb1EES1O_IbLb0EEEEDaS1K_S1L_EUlS1K_E_NS1_11comp_targetILNS1_3genE5ELNS1_11target_archE942ELNS1_3gpuE9ELNS1_3repE0EEENS1_30default_config_static_selectorELNS0_4arch9wavefront6targetE1EEEvSY_.num_named_barrier, 0
	.set _ZN7rocprim17ROCPRIM_400000_NS6detail17trampoline_kernelINS0_13select_configILj256ELj13ELNS0_17block_load_methodE3ELS4_3ELS4_3ELNS0_20block_scan_algorithmE0ELj4294967295EEENS1_25partition_config_selectorILNS1_17partition_subalgoE3EjNS0_10empty_typeEbEEZZNS1_14partition_implILS8_3ELb0ES6_jNS0_17counting_iteratorIjlEEPS9_SE_NS0_5tupleIJPjSE_EEENSF_IJSE_SE_EEES9_SG_JZNS1_25segmented_radix_sort_implINS0_14default_configELb0EPKsPsPKlPlN2at6native12_GLOBAL__N_18offset_tEEE10hipError_tPvRmT1_PNSt15iterator_traitsISY_E10value_typeET2_T3_PNSZ_IS14_E10value_typeET4_jRbjT5_S1A_jjP12ihipStream_tbEUljE_EEESV_SW_SX_S14_S18_S1A_T6_T7_T9_mT8_S1C_bDpT10_ENKUlT_T0_E_clISt17integral_constantIbLb1EES1O_IbLb0EEEEDaS1K_S1L_EUlS1K_E_NS1_11comp_targetILNS1_3genE5ELNS1_11target_archE942ELNS1_3gpuE9ELNS1_3repE0EEENS1_30default_config_static_selectorELNS0_4arch9wavefront6targetE1EEEvSY_.private_seg_size, 0
	.set _ZN7rocprim17ROCPRIM_400000_NS6detail17trampoline_kernelINS0_13select_configILj256ELj13ELNS0_17block_load_methodE3ELS4_3ELS4_3ELNS0_20block_scan_algorithmE0ELj4294967295EEENS1_25partition_config_selectorILNS1_17partition_subalgoE3EjNS0_10empty_typeEbEEZZNS1_14partition_implILS8_3ELb0ES6_jNS0_17counting_iteratorIjlEEPS9_SE_NS0_5tupleIJPjSE_EEENSF_IJSE_SE_EEES9_SG_JZNS1_25segmented_radix_sort_implINS0_14default_configELb0EPKsPsPKlPlN2at6native12_GLOBAL__N_18offset_tEEE10hipError_tPvRmT1_PNSt15iterator_traitsISY_E10value_typeET2_T3_PNSZ_IS14_E10value_typeET4_jRbjT5_S1A_jjP12ihipStream_tbEUljE_EEESV_SW_SX_S14_S18_S1A_T6_T7_T9_mT8_S1C_bDpT10_ENKUlT_T0_E_clISt17integral_constantIbLb1EES1O_IbLb0EEEEDaS1K_S1L_EUlS1K_E_NS1_11comp_targetILNS1_3genE5ELNS1_11target_archE942ELNS1_3gpuE9ELNS1_3repE0EEENS1_30default_config_static_selectorELNS0_4arch9wavefront6targetE1EEEvSY_.uses_vcc, 0
	.set _ZN7rocprim17ROCPRIM_400000_NS6detail17trampoline_kernelINS0_13select_configILj256ELj13ELNS0_17block_load_methodE3ELS4_3ELS4_3ELNS0_20block_scan_algorithmE0ELj4294967295EEENS1_25partition_config_selectorILNS1_17partition_subalgoE3EjNS0_10empty_typeEbEEZZNS1_14partition_implILS8_3ELb0ES6_jNS0_17counting_iteratorIjlEEPS9_SE_NS0_5tupleIJPjSE_EEENSF_IJSE_SE_EEES9_SG_JZNS1_25segmented_radix_sort_implINS0_14default_configELb0EPKsPsPKlPlN2at6native12_GLOBAL__N_18offset_tEEE10hipError_tPvRmT1_PNSt15iterator_traitsISY_E10value_typeET2_T3_PNSZ_IS14_E10value_typeET4_jRbjT5_S1A_jjP12ihipStream_tbEUljE_EEESV_SW_SX_S14_S18_S1A_T6_T7_T9_mT8_S1C_bDpT10_ENKUlT_T0_E_clISt17integral_constantIbLb1EES1O_IbLb0EEEEDaS1K_S1L_EUlS1K_E_NS1_11comp_targetILNS1_3genE5ELNS1_11target_archE942ELNS1_3gpuE9ELNS1_3repE0EEENS1_30default_config_static_selectorELNS0_4arch9wavefront6targetE1EEEvSY_.uses_flat_scratch, 0
	.set _ZN7rocprim17ROCPRIM_400000_NS6detail17trampoline_kernelINS0_13select_configILj256ELj13ELNS0_17block_load_methodE3ELS4_3ELS4_3ELNS0_20block_scan_algorithmE0ELj4294967295EEENS1_25partition_config_selectorILNS1_17partition_subalgoE3EjNS0_10empty_typeEbEEZZNS1_14partition_implILS8_3ELb0ES6_jNS0_17counting_iteratorIjlEEPS9_SE_NS0_5tupleIJPjSE_EEENSF_IJSE_SE_EEES9_SG_JZNS1_25segmented_radix_sort_implINS0_14default_configELb0EPKsPsPKlPlN2at6native12_GLOBAL__N_18offset_tEEE10hipError_tPvRmT1_PNSt15iterator_traitsISY_E10value_typeET2_T3_PNSZ_IS14_E10value_typeET4_jRbjT5_S1A_jjP12ihipStream_tbEUljE_EEESV_SW_SX_S14_S18_S1A_T6_T7_T9_mT8_S1C_bDpT10_ENKUlT_T0_E_clISt17integral_constantIbLb1EES1O_IbLb0EEEEDaS1K_S1L_EUlS1K_E_NS1_11comp_targetILNS1_3genE5ELNS1_11target_archE942ELNS1_3gpuE9ELNS1_3repE0EEENS1_30default_config_static_selectorELNS0_4arch9wavefront6targetE1EEEvSY_.has_dyn_sized_stack, 0
	.set _ZN7rocprim17ROCPRIM_400000_NS6detail17trampoline_kernelINS0_13select_configILj256ELj13ELNS0_17block_load_methodE3ELS4_3ELS4_3ELNS0_20block_scan_algorithmE0ELj4294967295EEENS1_25partition_config_selectorILNS1_17partition_subalgoE3EjNS0_10empty_typeEbEEZZNS1_14partition_implILS8_3ELb0ES6_jNS0_17counting_iteratorIjlEEPS9_SE_NS0_5tupleIJPjSE_EEENSF_IJSE_SE_EEES9_SG_JZNS1_25segmented_radix_sort_implINS0_14default_configELb0EPKsPsPKlPlN2at6native12_GLOBAL__N_18offset_tEEE10hipError_tPvRmT1_PNSt15iterator_traitsISY_E10value_typeET2_T3_PNSZ_IS14_E10value_typeET4_jRbjT5_S1A_jjP12ihipStream_tbEUljE_EEESV_SW_SX_S14_S18_S1A_T6_T7_T9_mT8_S1C_bDpT10_ENKUlT_T0_E_clISt17integral_constantIbLb1EES1O_IbLb0EEEEDaS1K_S1L_EUlS1K_E_NS1_11comp_targetILNS1_3genE5ELNS1_11target_archE942ELNS1_3gpuE9ELNS1_3repE0EEENS1_30default_config_static_selectorELNS0_4arch9wavefront6targetE1EEEvSY_.has_recursion, 0
	.set _ZN7rocprim17ROCPRIM_400000_NS6detail17trampoline_kernelINS0_13select_configILj256ELj13ELNS0_17block_load_methodE3ELS4_3ELS4_3ELNS0_20block_scan_algorithmE0ELj4294967295EEENS1_25partition_config_selectorILNS1_17partition_subalgoE3EjNS0_10empty_typeEbEEZZNS1_14partition_implILS8_3ELb0ES6_jNS0_17counting_iteratorIjlEEPS9_SE_NS0_5tupleIJPjSE_EEENSF_IJSE_SE_EEES9_SG_JZNS1_25segmented_radix_sort_implINS0_14default_configELb0EPKsPsPKlPlN2at6native12_GLOBAL__N_18offset_tEEE10hipError_tPvRmT1_PNSt15iterator_traitsISY_E10value_typeET2_T3_PNSZ_IS14_E10value_typeET4_jRbjT5_S1A_jjP12ihipStream_tbEUljE_EEESV_SW_SX_S14_S18_S1A_T6_T7_T9_mT8_S1C_bDpT10_ENKUlT_T0_E_clISt17integral_constantIbLb1EES1O_IbLb0EEEEDaS1K_S1L_EUlS1K_E_NS1_11comp_targetILNS1_3genE5ELNS1_11target_archE942ELNS1_3gpuE9ELNS1_3repE0EEENS1_30default_config_static_selectorELNS0_4arch9wavefront6targetE1EEEvSY_.has_indirect_call, 0
	.section	.AMDGPU.csdata,"",@progbits
; Kernel info:
; codeLenInByte = 0
; TotalNumSgprs: 4
; NumVgprs: 0
; ScratchSize: 0
; MemoryBound: 0
; FloatMode: 240
; IeeeMode: 1
; LDSByteSize: 0 bytes/workgroup (compile time only)
; SGPRBlocks: 0
; VGPRBlocks: 0
; NumSGPRsForWavesPerEU: 4
; NumVGPRsForWavesPerEU: 1
; Occupancy: 10
; WaveLimiterHint : 0
; COMPUTE_PGM_RSRC2:SCRATCH_EN: 0
; COMPUTE_PGM_RSRC2:USER_SGPR: 6
; COMPUTE_PGM_RSRC2:TRAP_HANDLER: 0
; COMPUTE_PGM_RSRC2:TGID_X_EN: 1
; COMPUTE_PGM_RSRC2:TGID_Y_EN: 0
; COMPUTE_PGM_RSRC2:TGID_Z_EN: 0
; COMPUTE_PGM_RSRC2:TIDIG_COMP_CNT: 0
	.section	.text._ZN7rocprim17ROCPRIM_400000_NS6detail17trampoline_kernelINS0_13select_configILj256ELj13ELNS0_17block_load_methodE3ELS4_3ELS4_3ELNS0_20block_scan_algorithmE0ELj4294967295EEENS1_25partition_config_selectorILNS1_17partition_subalgoE3EjNS0_10empty_typeEbEEZZNS1_14partition_implILS8_3ELb0ES6_jNS0_17counting_iteratorIjlEEPS9_SE_NS0_5tupleIJPjSE_EEENSF_IJSE_SE_EEES9_SG_JZNS1_25segmented_radix_sort_implINS0_14default_configELb0EPKsPsPKlPlN2at6native12_GLOBAL__N_18offset_tEEE10hipError_tPvRmT1_PNSt15iterator_traitsISY_E10value_typeET2_T3_PNSZ_IS14_E10value_typeET4_jRbjT5_S1A_jjP12ihipStream_tbEUljE_EEESV_SW_SX_S14_S18_S1A_T6_T7_T9_mT8_S1C_bDpT10_ENKUlT_T0_E_clISt17integral_constantIbLb1EES1O_IbLb0EEEEDaS1K_S1L_EUlS1K_E_NS1_11comp_targetILNS1_3genE4ELNS1_11target_archE910ELNS1_3gpuE8ELNS1_3repE0EEENS1_30default_config_static_selectorELNS0_4arch9wavefront6targetE1EEEvSY_,"axG",@progbits,_ZN7rocprim17ROCPRIM_400000_NS6detail17trampoline_kernelINS0_13select_configILj256ELj13ELNS0_17block_load_methodE3ELS4_3ELS4_3ELNS0_20block_scan_algorithmE0ELj4294967295EEENS1_25partition_config_selectorILNS1_17partition_subalgoE3EjNS0_10empty_typeEbEEZZNS1_14partition_implILS8_3ELb0ES6_jNS0_17counting_iteratorIjlEEPS9_SE_NS0_5tupleIJPjSE_EEENSF_IJSE_SE_EEES9_SG_JZNS1_25segmented_radix_sort_implINS0_14default_configELb0EPKsPsPKlPlN2at6native12_GLOBAL__N_18offset_tEEE10hipError_tPvRmT1_PNSt15iterator_traitsISY_E10value_typeET2_T3_PNSZ_IS14_E10value_typeET4_jRbjT5_S1A_jjP12ihipStream_tbEUljE_EEESV_SW_SX_S14_S18_S1A_T6_T7_T9_mT8_S1C_bDpT10_ENKUlT_T0_E_clISt17integral_constantIbLb1EES1O_IbLb0EEEEDaS1K_S1L_EUlS1K_E_NS1_11comp_targetILNS1_3genE4ELNS1_11target_archE910ELNS1_3gpuE8ELNS1_3repE0EEENS1_30default_config_static_selectorELNS0_4arch9wavefront6targetE1EEEvSY_,comdat
	.globl	_ZN7rocprim17ROCPRIM_400000_NS6detail17trampoline_kernelINS0_13select_configILj256ELj13ELNS0_17block_load_methodE3ELS4_3ELS4_3ELNS0_20block_scan_algorithmE0ELj4294967295EEENS1_25partition_config_selectorILNS1_17partition_subalgoE3EjNS0_10empty_typeEbEEZZNS1_14partition_implILS8_3ELb0ES6_jNS0_17counting_iteratorIjlEEPS9_SE_NS0_5tupleIJPjSE_EEENSF_IJSE_SE_EEES9_SG_JZNS1_25segmented_radix_sort_implINS0_14default_configELb0EPKsPsPKlPlN2at6native12_GLOBAL__N_18offset_tEEE10hipError_tPvRmT1_PNSt15iterator_traitsISY_E10value_typeET2_T3_PNSZ_IS14_E10value_typeET4_jRbjT5_S1A_jjP12ihipStream_tbEUljE_EEESV_SW_SX_S14_S18_S1A_T6_T7_T9_mT8_S1C_bDpT10_ENKUlT_T0_E_clISt17integral_constantIbLb1EES1O_IbLb0EEEEDaS1K_S1L_EUlS1K_E_NS1_11comp_targetILNS1_3genE4ELNS1_11target_archE910ELNS1_3gpuE8ELNS1_3repE0EEENS1_30default_config_static_selectorELNS0_4arch9wavefront6targetE1EEEvSY_ ; -- Begin function _ZN7rocprim17ROCPRIM_400000_NS6detail17trampoline_kernelINS0_13select_configILj256ELj13ELNS0_17block_load_methodE3ELS4_3ELS4_3ELNS0_20block_scan_algorithmE0ELj4294967295EEENS1_25partition_config_selectorILNS1_17partition_subalgoE3EjNS0_10empty_typeEbEEZZNS1_14partition_implILS8_3ELb0ES6_jNS0_17counting_iteratorIjlEEPS9_SE_NS0_5tupleIJPjSE_EEENSF_IJSE_SE_EEES9_SG_JZNS1_25segmented_radix_sort_implINS0_14default_configELb0EPKsPsPKlPlN2at6native12_GLOBAL__N_18offset_tEEE10hipError_tPvRmT1_PNSt15iterator_traitsISY_E10value_typeET2_T3_PNSZ_IS14_E10value_typeET4_jRbjT5_S1A_jjP12ihipStream_tbEUljE_EEESV_SW_SX_S14_S18_S1A_T6_T7_T9_mT8_S1C_bDpT10_ENKUlT_T0_E_clISt17integral_constantIbLb1EES1O_IbLb0EEEEDaS1K_S1L_EUlS1K_E_NS1_11comp_targetILNS1_3genE4ELNS1_11target_archE910ELNS1_3gpuE8ELNS1_3repE0EEENS1_30default_config_static_selectorELNS0_4arch9wavefront6targetE1EEEvSY_
	.p2align	8
	.type	_ZN7rocprim17ROCPRIM_400000_NS6detail17trampoline_kernelINS0_13select_configILj256ELj13ELNS0_17block_load_methodE3ELS4_3ELS4_3ELNS0_20block_scan_algorithmE0ELj4294967295EEENS1_25partition_config_selectorILNS1_17partition_subalgoE3EjNS0_10empty_typeEbEEZZNS1_14partition_implILS8_3ELb0ES6_jNS0_17counting_iteratorIjlEEPS9_SE_NS0_5tupleIJPjSE_EEENSF_IJSE_SE_EEES9_SG_JZNS1_25segmented_radix_sort_implINS0_14default_configELb0EPKsPsPKlPlN2at6native12_GLOBAL__N_18offset_tEEE10hipError_tPvRmT1_PNSt15iterator_traitsISY_E10value_typeET2_T3_PNSZ_IS14_E10value_typeET4_jRbjT5_S1A_jjP12ihipStream_tbEUljE_EEESV_SW_SX_S14_S18_S1A_T6_T7_T9_mT8_S1C_bDpT10_ENKUlT_T0_E_clISt17integral_constantIbLb1EES1O_IbLb0EEEEDaS1K_S1L_EUlS1K_E_NS1_11comp_targetILNS1_3genE4ELNS1_11target_archE910ELNS1_3gpuE8ELNS1_3repE0EEENS1_30default_config_static_selectorELNS0_4arch9wavefront6targetE1EEEvSY_,@function
_ZN7rocprim17ROCPRIM_400000_NS6detail17trampoline_kernelINS0_13select_configILj256ELj13ELNS0_17block_load_methodE3ELS4_3ELS4_3ELNS0_20block_scan_algorithmE0ELj4294967295EEENS1_25partition_config_selectorILNS1_17partition_subalgoE3EjNS0_10empty_typeEbEEZZNS1_14partition_implILS8_3ELb0ES6_jNS0_17counting_iteratorIjlEEPS9_SE_NS0_5tupleIJPjSE_EEENSF_IJSE_SE_EEES9_SG_JZNS1_25segmented_radix_sort_implINS0_14default_configELb0EPKsPsPKlPlN2at6native12_GLOBAL__N_18offset_tEEE10hipError_tPvRmT1_PNSt15iterator_traitsISY_E10value_typeET2_T3_PNSZ_IS14_E10value_typeET4_jRbjT5_S1A_jjP12ihipStream_tbEUljE_EEESV_SW_SX_S14_S18_S1A_T6_T7_T9_mT8_S1C_bDpT10_ENKUlT_T0_E_clISt17integral_constantIbLb1EES1O_IbLb0EEEEDaS1K_S1L_EUlS1K_E_NS1_11comp_targetILNS1_3genE4ELNS1_11target_archE910ELNS1_3gpuE8ELNS1_3repE0EEENS1_30default_config_static_selectorELNS0_4arch9wavefront6targetE1EEEvSY_: ; @_ZN7rocprim17ROCPRIM_400000_NS6detail17trampoline_kernelINS0_13select_configILj256ELj13ELNS0_17block_load_methodE3ELS4_3ELS4_3ELNS0_20block_scan_algorithmE0ELj4294967295EEENS1_25partition_config_selectorILNS1_17partition_subalgoE3EjNS0_10empty_typeEbEEZZNS1_14partition_implILS8_3ELb0ES6_jNS0_17counting_iteratorIjlEEPS9_SE_NS0_5tupleIJPjSE_EEENSF_IJSE_SE_EEES9_SG_JZNS1_25segmented_radix_sort_implINS0_14default_configELb0EPKsPsPKlPlN2at6native12_GLOBAL__N_18offset_tEEE10hipError_tPvRmT1_PNSt15iterator_traitsISY_E10value_typeET2_T3_PNSZ_IS14_E10value_typeET4_jRbjT5_S1A_jjP12ihipStream_tbEUljE_EEESV_SW_SX_S14_S18_S1A_T6_T7_T9_mT8_S1C_bDpT10_ENKUlT_T0_E_clISt17integral_constantIbLb1EES1O_IbLb0EEEEDaS1K_S1L_EUlS1K_E_NS1_11comp_targetILNS1_3genE4ELNS1_11target_archE910ELNS1_3gpuE8ELNS1_3repE0EEENS1_30default_config_static_selectorELNS0_4arch9wavefront6targetE1EEEvSY_
; %bb.0:
	.section	.rodata,"a",@progbits
	.p2align	6, 0x0
	.amdhsa_kernel _ZN7rocprim17ROCPRIM_400000_NS6detail17trampoline_kernelINS0_13select_configILj256ELj13ELNS0_17block_load_methodE3ELS4_3ELS4_3ELNS0_20block_scan_algorithmE0ELj4294967295EEENS1_25partition_config_selectorILNS1_17partition_subalgoE3EjNS0_10empty_typeEbEEZZNS1_14partition_implILS8_3ELb0ES6_jNS0_17counting_iteratorIjlEEPS9_SE_NS0_5tupleIJPjSE_EEENSF_IJSE_SE_EEES9_SG_JZNS1_25segmented_radix_sort_implINS0_14default_configELb0EPKsPsPKlPlN2at6native12_GLOBAL__N_18offset_tEEE10hipError_tPvRmT1_PNSt15iterator_traitsISY_E10value_typeET2_T3_PNSZ_IS14_E10value_typeET4_jRbjT5_S1A_jjP12ihipStream_tbEUljE_EEESV_SW_SX_S14_S18_S1A_T6_T7_T9_mT8_S1C_bDpT10_ENKUlT_T0_E_clISt17integral_constantIbLb1EES1O_IbLb0EEEEDaS1K_S1L_EUlS1K_E_NS1_11comp_targetILNS1_3genE4ELNS1_11target_archE910ELNS1_3gpuE8ELNS1_3repE0EEENS1_30default_config_static_selectorELNS0_4arch9wavefront6targetE1EEEvSY_
		.amdhsa_group_segment_fixed_size 0
		.amdhsa_private_segment_fixed_size 0
		.amdhsa_kernarg_size 144
		.amdhsa_user_sgpr_count 6
		.amdhsa_user_sgpr_private_segment_buffer 1
		.amdhsa_user_sgpr_dispatch_ptr 0
		.amdhsa_user_sgpr_queue_ptr 0
		.amdhsa_user_sgpr_kernarg_segment_ptr 1
		.amdhsa_user_sgpr_dispatch_id 0
		.amdhsa_user_sgpr_flat_scratch_init 0
		.amdhsa_user_sgpr_private_segment_size 0
		.amdhsa_uses_dynamic_stack 0
		.amdhsa_system_sgpr_private_segment_wavefront_offset 0
		.amdhsa_system_sgpr_workgroup_id_x 1
		.amdhsa_system_sgpr_workgroup_id_y 0
		.amdhsa_system_sgpr_workgroup_id_z 0
		.amdhsa_system_sgpr_workgroup_info 0
		.amdhsa_system_vgpr_workitem_id 0
		.amdhsa_next_free_vgpr 1
		.amdhsa_next_free_sgpr 0
		.amdhsa_reserve_vcc 0
		.amdhsa_reserve_flat_scratch 0
		.amdhsa_float_round_mode_32 0
		.amdhsa_float_round_mode_16_64 0
		.amdhsa_float_denorm_mode_32 3
		.amdhsa_float_denorm_mode_16_64 3
		.amdhsa_dx10_clamp 1
		.amdhsa_ieee_mode 1
		.amdhsa_fp16_overflow 0
		.amdhsa_exception_fp_ieee_invalid_op 0
		.amdhsa_exception_fp_denorm_src 0
		.amdhsa_exception_fp_ieee_div_zero 0
		.amdhsa_exception_fp_ieee_overflow 0
		.amdhsa_exception_fp_ieee_underflow 0
		.amdhsa_exception_fp_ieee_inexact 0
		.amdhsa_exception_int_div_zero 0
	.end_amdhsa_kernel
	.section	.text._ZN7rocprim17ROCPRIM_400000_NS6detail17trampoline_kernelINS0_13select_configILj256ELj13ELNS0_17block_load_methodE3ELS4_3ELS4_3ELNS0_20block_scan_algorithmE0ELj4294967295EEENS1_25partition_config_selectorILNS1_17partition_subalgoE3EjNS0_10empty_typeEbEEZZNS1_14partition_implILS8_3ELb0ES6_jNS0_17counting_iteratorIjlEEPS9_SE_NS0_5tupleIJPjSE_EEENSF_IJSE_SE_EEES9_SG_JZNS1_25segmented_radix_sort_implINS0_14default_configELb0EPKsPsPKlPlN2at6native12_GLOBAL__N_18offset_tEEE10hipError_tPvRmT1_PNSt15iterator_traitsISY_E10value_typeET2_T3_PNSZ_IS14_E10value_typeET4_jRbjT5_S1A_jjP12ihipStream_tbEUljE_EEESV_SW_SX_S14_S18_S1A_T6_T7_T9_mT8_S1C_bDpT10_ENKUlT_T0_E_clISt17integral_constantIbLb1EES1O_IbLb0EEEEDaS1K_S1L_EUlS1K_E_NS1_11comp_targetILNS1_3genE4ELNS1_11target_archE910ELNS1_3gpuE8ELNS1_3repE0EEENS1_30default_config_static_selectorELNS0_4arch9wavefront6targetE1EEEvSY_,"axG",@progbits,_ZN7rocprim17ROCPRIM_400000_NS6detail17trampoline_kernelINS0_13select_configILj256ELj13ELNS0_17block_load_methodE3ELS4_3ELS4_3ELNS0_20block_scan_algorithmE0ELj4294967295EEENS1_25partition_config_selectorILNS1_17partition_subalgoE3EjNS0_10empty_typeEbEEZZNS1_14partition_implILS8_3ELb0ES6_jNS0_17counting_iteratorIjlEEPS9_SE_NS0_5tupleIJPjSE_EEENSF_IJSE_SE_EEES9_SG_JZNS1_25segmented_radix_sort_implINS0_14default_configELb0EPKsPsPKlPlN2at6native12_GLOBAL__N_18offset_tEEE10hipError_tPvRmT1_PNSt15iterator_traitsISY_E10value_typeET2_T3_PNSZ_IS14_E10value_typeET4_jRbjT5_S1A_jjP12ihipStream_tbEUljE_EEESV_SW_SX_S14_S18_S1A_T6_T7_T9_mT8_S1C_bDpT10_ENKUlT_T0_E_clISt17integral_constantIbLb1EES1O_IbLb0EEEEDaS1K_S1L_EUlS1K_E_NS1_11comp_targetILNS1_3genE4ELNS1_11target_archE910ELNS1_3gpuE8ELNS1_3repE0EEENS1_30default_config_static_selectorELNS0_4arch9wavefront6targetE1EEEvSY_,comdat
.Lfunc_end1000:
	.size	_ZN7rocprim17ROCPRIM_400000_NS6detail17trampoline_kernelINS0_13select_configILj256ELj13ELNS0_17block_load_methodE3ELS4_3ELS4_3ELNS0_20block_scan_algorithmE0ELj4294967295EEENS1_25partition_config_selectorILNS1_17partition_subalgoE3EjNS0_10empty_typeEbEEZZNS1_14partition_implILS8_3ELb0ES6_jNS0_17counting_iteratorIjlEEPS9_SE_NS0_5tupleIJPjSE_EEENSF_IJSE_SE_EEES9_SG_JZNS1_25segmented_radix_sort_implINS0_14default_configELb0EPKsPsPKlPlN2at6native12_GLOBAL__N_18offset_tEEE10hipError_tPvRmT1_PNSt15iterator_traitsISY_E10value_typeET2_T3_PNSZ_IS14_E10value_typeET4_jRbjT5_S1A_jjP12ihipStream_tbEUljE_EEESV_SW_SX_S14_S18_S1A_T6_T7_T9_mT8_S1C_bDpT10_ENKUlT_T0_E_clISt17integral_constantIbLb1EES1O_IbLb0EEEEDaS1K_S1L_EUlS1K_E_NS1_11comp_targetILNS1_3genE4ELNS1_11target_archE910ELNS1_3gpuE8ELNS1_3repE0EEENS1_30default_config_static_selectorELNS0_4arch9wavefront6targetE1EEEvSY_, .Lfunc_end1000-_ZN7rocprim17ROCPRIM_400000_NS6detail17trampoline_kernelINS0_13select_configILj256ELj13ELNS0_17block_load_methodE3ELS4_3ELS4_3ELNS0_20block_scan_algorithmE0ELj4294967295EEENS1_25partition_config_selectorILNS1_17partition_subalgoE3EjNS0_10empty_typeEbEEZZNS1_14partition_implILS8_3ELb0ES6_jNS0_17counting_iteratorIjlEEPS9_SE_NS0_5tupleIJPjSE_EEENSF_IJSE_SE_EEES9_SG_JZNS1_25segmented_radix_sort_implINS0_14default_configELb0EPKsPsPKlPlN2at6native12_GLOBAL__N_18offset_tEEE10hipError_tPvRmT1_PNSt15iterator_traitsISY_E10value_typeET2_T3_PNSZ_IS14_E10value_typeET4_jRbjT5_S1A_jjP12ihipStream_tbEUljE_EEESV_SW_SX_S14_S18_S1A_T6_T7_T9_mT8_S1C_bDpT10_ENKUlT_T0_E_clISt17integral_constantIbLb1EES1O_IbLb0EEEEDaS1K_S1L_EUlS1K_E_NS1_11comp_targetILNS1_3genE4ELNS1_11target_archE910ELNS1_3gpuE8ELNS1_3repE0EEENS1_30default_config_static_selectorELNS0_4arch9wavefront6targetE1EEEvSY_
                                        ; -- End function
	.set _ZN7rocprim17ROCPRIM_400000_NS6detail17trampoline_kernelINS0_13select_configILj256ELj13ELNS0_17block_load_methodE3ELS4_3ELS4_3ELNS0_20block_scan_algorithmE0ELj4294967295EEENS1_25partition_config_selectorILNS1_17partition_subalgoE3EjNS0_10empty_typeEbEEZZNS1_14partition_implILS8_3ELb0ES6_jNS0_17counting_iteratorIjlEEPS9_SE_NS0_5tupleIJPjSE_EEENSF_IJSE_SE_EEES9_SG_JZNS1_25segmented_radix_sort_implINS0_14default_configELb0EPKsPsPKlPlN2at6native12_GLOBAL__N_18offset_tEEE10hipError_tPvRmT1_PNSt15iterator_traitsISY_E10value_typeET2_T3_PNSZ_IS14_E10value_typeET4_jRbjT5_S1A_jjP12ihipStream_tbEUljE_EEESV_SW_SX_S14_S18_S1A_T6_T7_T9_mT8_S1C_bDpT10_ENKUlT_T0_E_clISt17integral_constantIbLb1EES1O_IbLb0EEEEDaS1K_S1L_EUlS1K_E_NS1_11comp_targetILNS1_3genE4ELNS1_11target_archE910ELNS1_3gpuE8ELNS1_3repE0EEENS1_30default_config_static_selectorELNS0_4arch9wavefront6targetE1EEEvSY_.num_vgpr, 0
	.set _ZN7rocprim17ROCPRIM_400000_NS6detail17trampoline_kernelINS0_13select_configILj256ELj13ELNS0_17block_load_methodE3ELS4_3ELS4_3ELNS0_20block_scan_algorithmE0ELj4294967295EEENS1_25partition_config_selectorILNS1_17partition_subalgoE3EjNS0_10empty_typeEbEEZZNS1_14partition_implILS8_3ELb0ES6_jNS0_17counting_iteratorIjlEEPS9_SE_NS0_5tupleIJPjSE_EEENSF_IJSE_SE_EEES9_SG_JZNS1_25segmented_radix_sort_implINS0_14default_configELb0EPKsPsPKlPlN2at6native12_GLOBAL__N_18offset_tEEE10hipError_tPvRmT1_PNSt15iterator_traitsISY_E10value_typeET2_T3_PNSZ_IS14_E10value_typeET4_jRbjT5_S1A_jjP12ihipStream_tbEUljE_EEESV_SW_SX_S14_S18_S1A_T6_T7_T9_mT8_S1C_bDpT10_ENKUlT_T0_E_clISt17integral_constantIbLb1EES1O_IbLb0EEEEDaS1K_S1L_EUlS1K_E_NS1_11comp_targetILNS1_3genE4ELNS1_11target_archE910ELNS1_3gpuE8ELNS1_3repE0EEENS1_30default_config_static_selectorELNS0_4arch9wavefront6targetE1EEEvSY_.num_agpr, 0
	.set _ZN7rocprim17ROCPRIM_400000_NS6detail17trampoline_kernelINS0_13select_configILj256ELj13ELNS0_17block_load_methodE3ELS4_3ELS4_3ELNS0_20block_scan_algorithmE0ELj4294967295EEENS1_25partition_config_selectorILNS1_17partition_subalgoE3EjNS0_10empty_typeEbEEZZNS1_14partition_implILS8_3ELb0ES6_jNS0_17counting_iteratorIjlEEPS9_SE_NS0_5tupleIJPjSE_EEENSF_IJSE_SE_EEES9_SG_JZNS1_25segmented_radix_sort_implINS0_14default_configELb0EPKsPsPKlPlN2at6native12_GLOBAL__N_18offset_tEEE10hipError_tPvRmT1_PNSt15iterator_traitsISY_E10value_typeET2_T3_PNSZ_IS14_E10value_typeET4_jRbjT5_S1A_jjP12ihipStream_tbEUljE_EEESV_SW_SX_S14_S18_S1A_T6_T7_T9_mT8_S1C_bDpT10_ENKUlT_T0_E_clISt17integral_constantIbLb1EES1O_IbLb0EEEEDaS1K_S1L_EUlS1K_E_NS1_11comp_targetILNS1_3genE4ELNS1_11target_archE910ELNS1_3gpuE8ELNS1_3repE0EEENS1_30default_config_static_selectorELNS0_4arch9wavefront6targetE1EEEvSY_.numbered_sgpr, 0
	.set _ZN7rocprim17ROCPRIM_400000_NS6detail17trampoline_kernelINS0_13select_configILj256ELj13ELNS0_17block_load_methodE3ELS4_3ELS4_3ELNS0_20block_scan_algorithmE0ELj4294967295EEENS1_25partition_config_selectorILNS1_17partition_subalgoE3EjNS0_10empty_typeEbEEZZNS1_14partition_implILS8_3ELb0ES6_jNS0_17counting_iteratorIjlEEPS9_SE_NS0_5tupleIJPjSE_EEENSF_IJSE_SE_EEES9_SG_JZNS1_25segmented_radix_sort_implINS0_14default_configELb0EPKsPsPKlPlN2at6native12_GLOBAL__N_18offset_tEEE10hipError_tPvRmT1_PNSt15iterator_traitsISY_E10value_typeET2_T3_PNSZ_IS14_E10value_typeET4_jRbjT5_S1A_jjP12ihipStream_tbEUljE_EEESV_SW_SX_S14_S18_S1A_T6_T7_T9_mT8_S1C_bDpT10_ENKUlT_T0_E_clISt17integral_constantIbLb1EES1O_IbLb0EEEEDaS1K_S1L_EUlS1K_E_NS1_11comp_targetILNS1_3genE4ELNS1_11target_archE910ELNS1_3gpuE8ELNS1_3repE0EEENS1_30default_config_static_selectorELNS0_4arch9wavefront6targetE1EEEvSY_.num_named_barrier, 0
	.set _ZN7rocprim17ROCPRIM_400000_NS6detail17trampoline_kernelINS0_13select_configILj256ELj13ELNS0_17block_load_methodE3ELS4_3ELS4_3ELNS0_20block_scan_algorithmE0ELj4294967295EEENS1_25partition_config_selectorILNS1_17partition_subalgoE3EjNS0_10empty_typeEbEEZZNS1_14partition_implILS8_3ELb0ES6_jNS0_17counting_iteratorIjlEEPS9_SE_NS0_5tupleIJPjSE_EEENSF_IJSE_SE_EEES9_SG_JZNS1_25segmented_radix_sort_implINS0_14default_configELb0EPKsPsPKlPlN2at6native12_GLOBAL__N_18offset_tEEE10hipError_tPvRmT1_PNSt15iterator_traitsISY_E10value_typeET2_T3_PNSZ_IS14_E10value_typeET4_jRbjT5_S1A_jjP12ihipStream_tbEUljE_EEESV_SW_SX_S14_S18_S1A_T6_T7_T9_mT8_S1C_bDpT10_ENKUlT_T0_E_clISt17integral_constantIbLb1EES1O_IbLb0EEEEDaS1K_S1L_EUlS1K_E_NS1_11comp_targetILNS1_3genE4ELNS1_11target_archE910ELNS1_3gpuE8ELNS1_3repE0EEENS1_30default_config_static_selectorELNS0_4arch9wavefront6targetE1EEEvSY_.private_seg_size, 0
	.set _ZN7rocprim17ROCPRIM_400000_NS6detail17trampoline_kernelINS0_13select_configILj256ELj13ELNS0_17block_load_methodE3ELS4_3ELS4_3ELNS0_20block_scan_algorithmE0ELj4294967295EEENS1_25partition_config_selectorILNS1_17partition_subalgoE3EjNS0_10empty_typeEbEEZZNS1_14partition_implILS8_3ELb0ES6_jNS0_17counting_iteratorIjlEEPS9_SE_NS0_5tupleIJPjSE_EEENSF_IJSE_SE_EEES9_SG_JZNS1_25segmented_radix_sort_implINS0_14default_configELb0EPKsPsPKlPlN2at6native12_GLOBAL__N_18offset_tEEE10hipError_tPvRmT1_PNSt15iterator_traitsISY_E10value_typeET2_T3_PNSZ_IS14_E10value_typeET4_jRbjT5_S1A_jjP12ihipStream_tbEUljE_EEESV_SW_SX_S14_S18_S1A_T6_T7_T9_mT8_S1C_bDpT10_ENKUlT_T0_E_clISt17integral_constantIbLb1EES1O_IbLb0EEEEDaS1K_S1L_EUlS1K_E_NS1_11comp_targetILNS1_3genE4ELNS1_11target_archE910ELNS1_3gpuE8ELNS1_3repE0EEENS1_30default_config_static_selectorELNS0_4arch9wavefront6targetE1EEEvSY_.uses_vcc, 0
	.set _ZN7rocprim17ROCPRIM_400000_NS6detail17trampoline_kernelINS0_13select_configILj256ELj13ELNS0_17block_load_methodE3ELS4_3ELS4_3ELNS0_20block_scan_algorithmE0ELj4294967295EEENS1_25partition_config_selectorILNS1_17partition_subalgoE3EjNS0_10empty_typeEbEEZZNS1_14partition_implILS8_3ELb0ES6_jNS0_17counting_iteratorIjlEEPS9_SE_NS0_5tupleIJPjSE_EEENSF_IJSE_SE_EEES9_SG_JZNS1_25segmented_radix_sort_implINS0_14default_configELb0EPKsPsPKlPlN2at6native12_GLOBAL__N_18offset_tEEE10hipError_tPvRmT1_PNSt15iterator_traitsISY_E10value_typeET2_T3_PNSZ_IS14_E10value_typeET4_jRbjT5_S1A_jjP12ihipStream_tbEUljE_EEESV_SW_SX_S14_S18_S1A_T6_T7_T9_mT8_S1C_bDpT10_ENKUlT_T0_E_clISt17integral_constantIbLb1EES1O_IbLb0EEEEDaS1K_S1L_EUlS1K_E_NS1_11comp_targetILNS1_3genE4ELNS1_11target_archE910ELNS1_3gpuE8ELNS1_3repE0EEENS1_30default_config_static_selectorELNS0_4arch9wavefront6targetE1EEEvSY_.uses_flat_scratch, 0
	.set _ZN7rocprim17ROCPRIM_400000_NS6detail17trampoline_kernelINS0_13select_configILj256ELj13ELNS0_17block_load_methodE3ELS4_3ELS4_3ELNS0_20block_scan_algorithmE0ELj4294967295EEENS1_25partition_config_selectorILNS1_17partition_subalgoE3EjNS0_10empty_typeEbEEZZNS1_14partition_implILS8_3ELb0ES6_jNS0_17counting_iteratorIjlEEPS9_SE_NS0_5tupleIJPjSE_EEENSF_IJSE_SE_EEES9_SG_JZNS1_25segmented_radix_sort_implINS0_14default_configELb0EPKsPsPKlPlN2at6native12_GLOBAL__N_18offset_tEEE10hipError_tPvRmT1_PNSt15iterator_traitsISY_E10value_typeET2_T3_PNSZ_IS14_E10value_typeET4_jRbjT5_S1A_jjP12ihipStream_tbEUljE_EEESV_SW_SX_S14_S18_S1A_T6_T7_T9_mT8_S1C_bDpT10_ENKUlT_T0_E_clISt17integral_constantIbLb1EES1O_IbLb0EEEEDaS1K_S1L_EUlS1K_E_NS1_11comp_targetILNS1_3genE4ELNS1_11target_archE910ELNS1_3gpuE8ELNS1_3repE0EEENS1_30default_config_static_selectorELNS0_4arch9wavefront6targetE1EEEvSY_.has_dyn_sized_stack, 0
	.set _ZN7rocprim17ROCPRIM_400000_NS6detail17trampoline_kernelINS0_13select_configILj256ELj13ELNS0_17block_load_methodE3ELS4_3ELS4_3ELNS0_20block_scan_algorithmE0ELj4294967295EEENS1_25partition_config_selectorILNS1_17partition_subalgoE3EjNS0_10empty_typeEbEEZZNS1_14partition_implILS8_3ELb0ES6_jNS0_17counting_iteratorIjlEEPS9_SE_NS0_5tupleIJPjSE_EEENSF_IJSE_SE_EEES9_SG_JZNS1_25segmented_radix_sort_implINS0_14default_configELb0EPKsPsPKlPlN2at6native12_GLOBAL__N_18offset_tEEE10hipError_tPvRmT1_PNSt15iterator_traitsISY_E10value_typeET2_T3_PNSZ_IS14_E10value_typeET4_jRbjT5_S1A_jjP12ihipStream_tbEUljE_EEESV_SW_SX_S14_S18_S1A_T6_T7_T9_mT8_S1C_bDpT10_ENKUlT_T0_E_clISt17integral_constantIbLb1EES1O_IbLb0EEEEDaS1K_S1L_EUlS1K_E_NS1_11comp_targetILNS1_3genE4ELNS1_11target_archE910ELNS1_3gpuE8ELNS1_3repE0EEENS1_30default_config_static_selectorELNS0_4arch9wavefront6targetE1EEEvSY_.has_recursion, 0
	.set _ZN7rocprim17ROCPRIM_400000_NS6detail17trampoline_kernelINS0_13select_configILj256ELj13ELNS0_17block_load_methodE3ELS4_3ELS4_3ELNS0_20block_scan_algorithmE0ELj4294967295EEENS1_25partition_config_selectorILNS1_17partition_subalgoE3EjNS0_10empty_typeEbEEZZNS1_14partition_implILS8_3ELb0ES6_jNS0_17counting_iteratorIjlEEPS9_SE_NS0_5tupleIJPjSE_EEENSF_IJSE_SE_EEES9_SG_JZNS1_25segmented_radix_sort_implINS0_14default_configELb0EPKsPsPKlPlN2at6native12_GLOBAL__N_18offset_tEEE10hipError_tPvRmT1_PNSt15iterator_traitsISY_E10value_typeET2_T3_PNSZ_IS14_E10value_typeET4_jRbjT5_S1A_jjP12ihipStream_tbEUljE_EEESV_SW_SX_S14_S18_S1A_T6_T7_T9_mT8_S1C_bDpT10_ENKUlT_T0_E_clISt17integral_constantIbLb1EES1O_IbLb0EEEEDaS1K_S1L_EUlS1K_E_NS1_11comp_targetILNS1_3genE4ELNS1_11target_archE910ELNS1_3gpuE8ELNS1_3repE0EEENS1_30default_config_static_selectorELNS0_4arch9wavefront6targetE1EEEvSY_.has_indirect_call, 0
	.section	.AMDGPU.csdata,"",@progbits
; Kernel info:
; codeLenInByte = 0
; TotalNumSgprs: 4
; NumVgprs: 0
; ScratchSize: 0
; MemoryBound: 0
; FloatMode: 240
; IeeeMode: 1
; LDSByteSize: 0 bytes/workgroup (compile time only)
; SGPRBlocks: 0
; VGPRBlocks: 0
; NumSGPRsForWavesPerEU: 4
; NumVGPRsForWavesPerEU: 1
; Occupancy: 10
; WaveLimiterHint : 0
; COMPUTE_PGM_RSRC2:SCRATCH_EN: 0
; COMPUTE_PGM_RSRC2:USER_SGPR: 6
; COMPUTE_PGM_RSRC2:TRAP_HANDLER: 0
; COMPUTE_PGM_RSRC2:TGID_X_EN: 1
; COMPUTE_PGM_RSRC2:TGID_Y_EN: 0
; COMPUTE_PGM_RSRC2:TGID_Z_EN: 0
; COMPUTE_PGM_RSRC2:TIDIG_COMP_CNT: 0
	.section	.text._ZN7rocprim17ROCPRIM_400000_NS6detail17trampoline_kernelINS0_13select_configILj256ELj13ELNS0_17block_load_methodE3ELS4_3ELS4_3ELNS0_20block_scan_algorithmE0ELj4294967295EEENS1_25partition_config_selectorILNS1_17partition_subalgoE3EjNS0_10empty_typeEbEEZZNS1_14partition_implILS8_3ELb0ES6_jNS0_17counting_iteratorIjlEEPS9_SE_NS0_5tupleIJPjSE_EEENSF_IJSE_SE_EEES9_SG_JZNS1_25segmented_radix_sort_implINS0_14default_configELb0EPKsPsPKlPlN2at6native12_GLOBAL__N_18offset_tEEE10hipError_tPvRmT1_PNSt15iterator_traitsISY_E10value_typeET2_T3_PNSZ_IS14_E10value_typeET4_jRbjT5_S1A_jjP12ihipStream_tbEUljE_EEESV_SW_SX_S14_S18_S1A_T6_T7_T9_mT8_S1C_bDpT10_ENKUlT_T0_E_clISt17integral_constantIbLb1EES1O_IbLb0EEEEDaS1K_S1L_EUlS1K_E_NS1_11comp_targetILNS1_3genE3ELNS1_11target_archE908ELNS1_3gpuE7ELNS1_3repE0EEENS1_30default_config_static_selectorELNS0_4arch9wavefront6targetE1EEEvSY_,"axG",@progbits,_ZN7rocprim17ROCPRIM_400000_NS6detail17trampoline_kernelINS0_13select_configILj256ELj13ELNS0_17block_load_methodE3ELS4_3ELS4_3ELNS0_20block_scan_algorithmE0ELj4294967295EEENS1_25partition_config_selectorILNS1_17partition_subalgoE3EjNS0_10empty_typeEbEEZZNS1_14partition_implILS8_3ELb0ES6_jNS0_17counting_iteratorIjlEEPS9_SE_NS0_5tupleIJPjSE_EEENSF_IJSE_SE_EEES9_SG_JZNS1_25segmented_radix_sort_implINS0_14default_configELb0EPKsPsPKlPlN2at6native12_GLOBAL__N_18offset_tEEE10hipError_tPvRmT1_PNSt15iterator_traitsISY_E10value_typeET2_T3_PNSZ_IS14_E10value_typeET4_jRbjT5_S1A_jjP12ihipStream_tbEUljE_EEESV_SW_SX_S14_S18_S1A_T6_T7_T9_mT8_S1C_bDpT10_ENKUlT_T0_E_clISt17integral_constantIbLb1EES1O_IbLb0EEEEDaS1K_S1L_EUlS1K_E_NS1_11comp_targetILNS1_3genE3ELNS1_11target_archE908ELNS1_3gpuE7ELNS1_3repE0EEENS1_30default_config_static_selectorELNS0_4arch9wavefront6targetE1EEEvSY_,comdat
	.globl	_ZN7rocprim17ROCPRIM_400000_NS6detail17trampoline_kernelINS0_13select_configILj256ELj13ELNS0_17block_load_methodE3ELS4_3ELS4_3ELNS0_20block_scan_algorithmE0ELj4294967295EEENS1_25partition_config_selectorILNS1_17partition_subalgoE3EjNS0_10empty_typeEbEEZZNS1_14partition_implILS8_3ELb0ES6_jNS0_17counting_iteratorIjlEEPS9_SE_NS0_5tupleIJPjSE_EEENSF_IJSE_SE_EEES9_SG_JZNS1_25segmented_radix_sort_implINS0_14default_configELb0EPKsPsPKlPlN2at6native12_GLOBAL__N_18offset_tEEE10hipError_tPvRmT1_PNSt15iterator_traitsISY_E10value_typeET2_T3_PNSZ_IS14_E10value_typeET4_jRbjT5_S1A_jjP12ihipStream_tbEUljE_EEESV_SW_SX_S14_S18_S1A_T6_T7_T9_mT8_S1C_bDpT10_ENKUlT_T0_E_clISt17integral_constantIbLb1EES1O_IbLb0EEEEDaS1K_S1L_EUlS1K_E_NS1_11comp_targetILNS1_3genE3ELNS1_11target_archE908ELNS1_3gpuE7ELNS1_3repE0EEENS1_30default_config_static_selectorELNS0_4arch9wavefront6targetE1EEEvSY_ ; -- Begin function _ZN7rocprim17ROCPRIM_400000_NS6detail17trampoline_kernelINS0_13select_configILj256ELj13ELNS0_17block_load_methodE3ELS4_3ELS4_3ELNS0_20block_scan_algorithmE0ELj4294967295EEENS1_25partition_config_selectorILNS1_17partition_subalgoE3EjNS0_10empty_typeEbEEZZNS1_14partition_implILS8_3ELb0ES6_jNS0_17counting_iteratorIjlEEPS9_SE_NS0_5tupleIJPjSE_EEENSF_IJSE_SE_EEES9_SG_JZNS1_25segmented_radix_sort_implINS0_14default_configELb0EPKsPsPKlPlN2at6native12_GLOBAL__N_18offset_tEEE10hipError_tPvRmT1_PNSt15iterator_traitsISY_E10value_typeET2_T3_PNSZ_IS14_E10value_typeET4_jRbjT5_S1A_jjP12ihipStream_tbEUljE_EEESV_SW_SX_S14_S18_S1A_T6_T7_T9_mT8_S1C_bDpT10_ENKUlT_T0_E_clISt17integral_constantIbLb1EES1O_IbLb0EEEEDaS1K_S1L_EUlS1K_E_NS1_11comp_targetILNS1_3genE3ELNS1_11target_archE908ELNS1_3gpuE7ELNS1_3repE0EEENS1_30default_config_static_selectorELNS0_4arch9wavefront6targetE1EEEvSY_
	.p2align	8
	.type	_ZN7rocprim17ROCPRIM_400000_NS6detail17trampoline_kernelINS0_13select_configILj256ELj13ELNS0_17block_load_methodE3ELS4_3ELS4_3ELNS0_20block_scan_algorithmE0ELj4294967295EEENS1_25partition_config_selectorILNS1_17partition_subalgoE3EjNS0_10empty_typeEbEEZZNS1_14partition_implILS8_3ELb0ES6_jNS0_17counting_iteratorIjlEEPS9_SE_NS0_5tupleIJPjSE_EEENSF_IJSE_SE_EEES9_SG_JZNS1_25segmented_radix_sort_implINS0_14default_configELb0EPKsPsPKlPlN2at6native12_GLOBAL__N_18offset_tEEE10hipError_tPvRmT1_PNSt15iterator_traitsISY_E10value_typeET2_T3_PNSZ_IS14_E10value_typeET4_jRbjT5_S1A_jjP12ihipStream_tbEUljE_EEESV_SW_SX_S14_S18_S1A_T6_T7_T9_mT8_S1C_bDpT10_ENKUlT_T0_E_clISt17integral_constantIbLb1EES1O_IbLb0EEEEDaS1K_S1L_EUlS1K_E_NS1_11comp_targetILNS1_3genE3ELNS1_11target_archE908ELNS1_3gpuE7ELNS1_3repE0EEENS1_30default_config_static_selectorELNS0_4arch9wavefront6targetE1EEEvSY_,@function
_ZN7rocprim17ROCPRIM_400000_NS6detail17trampoline_kernelINS0_13select_configILj256ELj13ELNS0_17block_load_methodE3ELS4_3ELS4_3ELNS0_20block_scan_algorithmE0ELj4294967295EEENS1_25partition_config_selectorILNS1_17partition_subalgoE3EjNS0_10empty_typeEbEEZZNS1_14partition_implILS8_3ELb0ES6_jNS0_17counting_iteratorIjlEEPS9_SE_NS0_5tupleIJPjSE_EEENSF_IJSE_SE_EEES9_SG_JZNS1_25segmented_radix_sort_implINS0_14default_configELb0EPKsPsPKlPlN2at6native12_GLOBAL__N_18offset_tEEE10hipError_tPvRmT1_PNSt15iterator_traitsISY_E10value_typeET2_T3_PNSZ_IS14_E10value_typeET4_jRbjT5_S1A_jjP12ihipStream_tbEUljE_EEESV_SW_SX_S14_S18_S1A_T6_T7_T9_mT8_S1C_bDpT10_ENKUlT_T0_E_clISt17integral_constantIbLb1EES1O_IbLb0EEEEDaS1K_S1L_EUlS1K_E_NS1_11comp_targetILNS1_3genE3ELNS1_11target_archE908ELNS1_3gpuE7ELNS1_3repE0EEENS1_30default_config_static_selectorELNS0_4arch9wavefront6targetE1EEEvSY_: ; @_ZN7rocprim17ROCPRIM_400000_NS6detail17trampoline_kernelINS0_13select_configILj256ELj13ELNS0_17block_load_methodE3ELS4_3ELS4_3ELNS0_20block_scan_algorithmE0ELj4294967295EEENS1_25partition_config_selectorILNS1_17partition_subalgoE3EjNS0_10empty_typeEbEEZZNS1_14partition_implILS8_3ELb0ES6_jNS0_17counting_iteratorIjlEEPS9_SE_NS0_5tupleIJPjSE_EEENSF_IJSE_SE_EEES9_SG_JZNS1_25segmented_radix_sort_implINS0_14default_configELb0EPKsPsPKlPlN2at6native12_GLOBAL__N_18offset_tEEE10hipError_tPvRmT1_PNSt15iterator_traitsISY_E10value_typeET2_T3_PNSZ_IS14_E10value_typeET4_jRbjT5_S1A_jjP12ihipStream_tbEUljE_EEESV_SW_SX_S14_S18_S1A_T6_T7_T9_mT8_S1C_bDpT10_ENKUlT_T0_E_clISt17integral_constantIbLb1EES1O_IbLb0EEEEDaS1K_S1L_EUlS1K_E_NS1_11comp_targetILNS1_3genE3ELNS1_11target_archE908ELNS1_3gpuE7ELNS1_3repE0EEENS1_30default_config_static_selectorELNS0_4arch9wavefront6targetE1EEEvSY_
; %bb.0:
	.section	.rodata,"a",@progbits
	.p2align	6, 0x0
	.amdhsa_kernel _ZN7rocprim17ROCPRIM_400000_NS6detail17trampoline_kernelINS0_13select_configILj256ELj13ELNS0_17block_load_methodE3ELS4_3ELS4_3ELNS0_20block_scan_algorithmE0ELj4294967295EEENS1_25partition_config_selectorILNS1_17partition_subalgoE3EjNS0_10empty_typeEbEEZZNS1_14partition_implILS8_3ELb0ES6_jNS0_17counting_iteratorIjlEEPS9_SE_NS0_5tupleIJPjSE_EEENSF_IJSE_SE_EEES9_SG_JZNS1_25segmented_radix_sort_implINS0_14default_configELb0EPKsPsPKlPlN2at6native12_GLOBAL__N_18offset_tEEE10hipError_tPvRmT1_PNSt15iterator_traitsISY_E10value_typeET2_T3_PNSZ_IS14_E10value_typeET4_jRbjT5_S1A_jjP12ihipStream_tbEUljE_EEESV_SW_SX_S14_S18_S1A_T6_T7_T9_mT8_S1C_bDpT10_ENKUlT_T0_E_clISt17integral_constantIbLb1EES1O_IbLb0EEEEDaS1K_S1L_EUlS1K_E_NS1_11comp_targetILNS1_3genE3ELNS1_11target_archE908ELNS1_3gpuE7ELNS1_3repE0EEENS1_30default_config_static_selectorELNS0_4arch9wavefront6targetE1EEEvSY_
		.amdhsa_group_segment_fixed_size 0
		.amdhsa_private_segment_fixed_size 0
		.amdhsa_kernarg_size 144
		.amdhsa_user_sgpr_count 6
		.amdhsa_user_sgpr_private_segment_buffer 1
		.amdhsa_user_sgpr_dispatch_ptr 0
		.amdhsa_user_sgpr_queue_ptr 0
		.amdhsa_user_sgpr_kernarg_segment_ptr 1
		.amdhsa_user_sgpr_dispatch_id 0
		.amdhsa_user_sgpr_flat_scratch_init 0
		.amdhsa_user_sgpr_private_segment_size 0
		.amdhsa_uses_dynamic_stack 0
		.amdhsa_system_sgpr_private_segment_wavefront_offset 0
		.amdhsa_system_sgpr_workgroup_id_x 1
		.amdhsa_system_sgpr_workgroup_id_y 0
		.amdhsa_system_sgpr_workgroup_id_z 0
		.amdhsa_system_sgpr_workgroup_info 0
		.amdhsa_system_vgpr_workitem_id 0
		.amdhsa_next_free_vgpr 1
		.amdhsa_next_free_sgpr 0
		.amdhsa_reserve_vcc 0
		.amdhsa_reserve_flat_scratch 0
		.amdhsa_float_round_mode_32 0
		.amdhsa_float_round_mode_16_64 0
		.amdhsa_float_denorm_mode_32 3
		.amdhsa_float_denorm_mode_16_64 3
		.amdhsa_dx10_clamp 1
		.amdhsa_ieee_mode 1
		.amdhsa_fp16_overflow 0
		.amdhsa_exception_fp_ieee_invalid_op 0
		.amdhsa_exception_fp_denorm_src 0
		.amdhsa_exception_fp_ieee_div_zero 0
		.amdhsa_exception_fp_ieee_overflow 0
		.amdhsa_exception_fp_ieee_underflow 0
		.amdhsa_exception_fp_ieee_inexact 0
		.amdhsa_exception_int_div_zero 0
	.end_amdhsa_kernel
	.section	.text._ZN7rocprim17ROCPRIM_400000_NS6detail17trampoline_kernelINS0_13select_configILj256ELj13ELNS0_17block_load_methodE3ELS4_3ELS4_3ELNS0_20block_scan_algorithmE0ELj4294967295EEENS1_25partition_config_selectorILNS1_17partition_subalgoE3EjNS0_10empty_typeEbEEZZNS1_14partition_implILS8_3ELb0ES6_jNS0_17counting_iteratorIjlEEPS9_SE_NS0_5tupleIJPjSE_EEENSF_IJSE_SE_EEES9_SG_JZNS1_25segmented_radix_sort_implINS0_14default_configELb0EPKsPsPKlPlN2at6native12_GLOBAL__N_18offset_tEEE10hipError_tPvRmT1_PNSt15iterator_traitsISY_E10value_typeET2_T3_PNSZ_IS14_E10value_typeET4_jRbjT5_S1A_jjP12ihipStream_tbEUljE_EEESV_SW_SX_S14_S18_S1A_T6_T7_T9_mT8_S1C_bDpT10_ENKUlT_T0_E_clISt17integral_constantIbLb1EES1O_IbLb0EEEEDaS1K_S1L_EUlS1K_E_NS1_11comp_targetILNS1_3genE3ELNS1_11target_archE908ELNS1_3gpuE7ELNS1_3repE0EEENS1_30default_config_static_selectorELNS0_4arch9wavefront6targetE1EEEvSY_,"axG",@progbits,_ZN7rocprim17ROCPRIM_400000_NS6detail17trampoline_kernelINS0_13select_configILj256ELj13ELNS0_17block_load_methodE3ELS4_3ELS4_3ELNS0_20block_scan_algorithmE0ELj4294967295EEENS1_25partition_config_selectorILNS1_17partition_subalgoE3EjNS0_10empty_typeEbEEZZNS1_14partition_implILS8_3ELb0ES6_jNS0_17counting_iteratorIjlEEPS9_SE_NS0_5tupleIJPjSE_EEENSF_IJSE_SE_EEES9_SG_JZNS1_25segmented_radix_sort_implINS0_14default_configELb0EPKsPsPKlPlN2at6native12_GLOBAL__N_18offset_tEEE10hipError_tPvRmT1_PNSt15iterator_traitsISY_E10value_typeET2_T3_PNSZ_IS14_E10value_typeET4_jRbjT5_S1A_jjP12ihipStream_tbEUljE_EEESV_SW_SX_S14_S18_S1A_T6_T7_T9_mT8_S1C_bDpT10_ENKUlT_T0_E_clISt17integral_constantIbLb1EES1O_IbLb0EEEEDaS1K_S1L_EUlS1K_E_NS1_11comp_targetILNS1_3genE3ELNS1_11target_archE908ELNS1_3gpuE7ELNS1_3repE0EEENS1_30default_config_static_selectorELNS0_4arch9wavefront6targetE1EEEvSY_,comdat
.Lfunc_end1001:
	.size	_ZN7rocprim17ROCPRIM_400000_NS6detail17trampoline_kernelINS0_13select_configILj256ELj13ELNS0_17block_load_methodE3ELS4_3ELS4_3ELNS0_20block_scan_algorithmE0ELj4294967295EEENS1_25partition_config_selectorILNS1_17partition_subalgoE3EjNS0_10empty_typeEbEEZZNS1_14partition_implILS8_3ELb0ES6_jNS0_17counting_iteratorIjlEEPS9_SE_NS0_5tupleIJPjSE_EEENSF_IJSE_SE_EEES9_SG_JZNS1_25segmented_radix_sort_implINS0_14default_configELb0EPKsPsPKlPlN2at6native12_GLOBAL__N_18offset_tEEE10hipError_tPvRmT1_PNSt15iterator_traitsISY_E10value_typeET2_T3_PNSZ_IS14_E10value_typeET4_jRbjT5_S1A_jjP12ihipStream_tbEUljE_EEESV_SW_SX_S14_S18_S1A_T6_T7_T9_mT8_S1C_bDpT10_ENKUlT_T0_E_clISt17integral_constantIbLb1EES1O_IbLb0EEEEDaS1K_S1L_EUlS1K_E_NS1_11comp_targetILNS1_3genE3ELNS1_11target_archE908ELNS1_3gpuE7ELNS1_3repE0EEENS1_30default_config_static_selectorELNS0_4arch9wavefront6targetE1EEEvSY_, .Lfunc_end1001-_ZN7rocprim17ROCPRIM_400000_NS6detail17trampoline_kernelINS0_13select_configILj256ELj13ELNS0_17block_load_methodE3ELS4_3ELS4_3ELNS0_20block_scan_algorithmE0ELj4294967295EEENS1_25partition_config_selectorILNS1_17partition_subalgoE3EjNS0_10empty_typeEbEEZZNS1_14partition_implILS8_3ELb0ES6_jNS0_17counting_iteratorIjlEEPS9_SE_NS0_5tupleIJPjSE_EEENSF_IJSE_SE_EEES9_SG_JZNS1_25segmented_radix_sort_implINS0_14default_configELb0EPKsPsPKlPlN2at6native12_GLOBAL__N_18offset_tEEE10hipError_tPvRmT1_PNSt15iterator_traitsISY_E10value_typeET2_T3_PNSZ_IS14_E10value_typeET4_jRbjT5_S1A_jjP12ihipStream_tbEUljE_EEESV_SW_SX_S14_S18_S1A_T6_T7_T9_mT8_S1C_bDpT10_ENKUlT_T0_E_clISt17integral_constantIbLb1EES1O_IbLb0EEEEDaS1K_S1L_EUlS1K_E_NS1_11comp_targetILNS1_3genE3ELNS1_11target_archE908ELNS1_3gpuE7ELNS1_3repE0EEENS1_30default_config_static_selectorELNS0_4arch9wavefront6targetE1EEEvSY_
                                        ; -- End function
	.set _ZN7rocprim17ROCPRIM_400000_NS6detail17trampoline_kernelINS0_13select_configILj256ELj13ELNS0_17block_load_methodE3ELS4_3ELS4_3ELNS0_20block_scan_algorithmE0ELj4294967295EEENS1_25partition_config_selectorILNS1_17partition_subalgoE3EjNS0_10empty_typeEbEEZZNS1_14partition_implILS8_3ELb0ES6_jNS0_17counting_iteratorIjlEEPS9_SE_NS0_5tupleIJPjSE_EEENSF_IJSE_SE_EEES9_SG_JZNS1_25segmented_radix_sort_implINS0_14default_configELb0EPKsPsPKlPlN2at6native12_GLOBAL__N_18offset_tEEE10hipError_tPvRmT1_PNSt15iterator_traitsISY_E10value_typeET2_T3_PNSZ_IS14_E10value_typeET4_jRbjT5_S1A_jjP12ihipStream_tbEUljE_EEESV_SW_SX_S14_S18_S1A_T6_T7_T9_mT8_S1C_bDpT10_ENKUlT_T0_E_clISt17integral_constantIbLb1EES1O_IbLb0EEEEDaS1K_S1L_EUlS1K_E_NS1_11comp_targetILNS1_3genE3ELNS1_11target_archE908ELNS1_3gpuE7ELNS1_3repE0EEENS1_30default_config_static_selectorELNS0_4arch9wavefront6targetE1EEEvSY_.num_vgpr, 0
	.set _ZN7rocprim17ROCPRIM_400000_NS6detail17trampoline_kernelINS0_13select_configILj256ELj13ELNS0_17block_load_methodE3ELS4_3ELS4_3ELNS0_20block_scan_algorithmE0ELj4294967295EEENS1_25partition_config_selectorILNS1_17partition_subalgoE3EjNS0_10empty_typeEbEEZZNS1_14partition_implILS8_3ELb0ES6_jNS0_17counting_iteratorIjlEEPS9_SE_NS0_5tupleIJPjSE_EEENSF_IJSE_SE_EEES9_SG_JZNS1_25segmented_radix_sort_implINS0_14default_configELb0EPKsPsPKlPlN2at6native12_GLOBAL__N_18offset_tEEE10hipError_tPvRmT1_PNSt15iterator_traitsISY_E10value_typeET2_T3_PNSZ_IS14_E10value_typeET4_jRbjT5_S1A_jjP12ihipStream_tbEUljE_EEESV_SW_SX_S14_S18_S1A_T6_T7_T9_mT8_S1C_bDpT10_ENKUlT_T0_E_clISt17integral_constantIbLb1EES1O_IbLb0EEEEDaS1K_S1L_EUlS1K_E_NS1_11comp_targetILNS1_3genE3ELNS1_11target_archE908ELNS1_3gpuE7ELNS1_3repE0EEENS1_30default_config_static_selectorELNS0_4arch9wavefront6targetE1EEEvSY_.num_agpr, 0
	.set _ZN7rocprim17ROCPRIM_400000_NS6detail17trampoline_kernelINS0_13select_configILj256ELj13ELNS0_17block_load_methodE3ELS4_3ELS4_3ELNS0_20block_scan_algorithmE0ELj4294967295EEENS1_25partition_config_selectorILNS1_17partition_subalgoE3EjNS0_10empty_typeEbEEZZNS1_14partition_implILS8_3ELb0ES6_jNS0_17counting_iteratorIjlEEPS9_SE_NS0_5tupleIJPjSE_EEENSF_IJSE_SE_EEES9_SG_JZNS1_25segmented_radix_sort_implINS0_14default_configELb0EPKsPsPKlPlN2at6native12_GLOBAL__N_18offset_tEEE10hipError_tPvRmT1_PNSt15iterator_traitsISY_E10value_typeET2_T3_PNSZ_IS14_E10value_typeET4_jRbjT5_S1A_jjP12ihipStream_tbEUljE_EEESV_SW_SX_S14_S18_S1A_T6_T7_T9_mT8_S1C_bDpT10_ENKUlT_T0_E_clISt17integral_constantIbLb1EES1O_IbLb0EEEEDaS1K_S1L_EUlS1K_E_NS1_11comp_targetILNS1_3genE3ELNS1_11target_archE908ELNS1_3gpuE7ELNS1_3repE0EEENS1_30default_config_static_selectorELNS0_4arch9wavefront6targetE1EEEvSY_.numbered_sgpr, 0
	.set _ZN7rocprim17ROCPRIM_400000_NS6detail17trampoline_kernelINS0_13select_configILj256ELj13ELNS0_17block_load_methodE3ELS4_3ELS4_3ELNS0_20block_scan_algorithmE0ELj4294967295EEENS1_25partition_config_selectorILNS1_17partition_subalgoE3EjNS0_10empty_typeEbEEZZNS1_14partition_implILS8_3ELb0ES6_jNS0_17counting_iteratorIjlEEPS9_SE_NS0_5tupleIJPjSE_EEENSF_IJSE_SE_EEES9_SG_JZNS1_25segmented_radix_sort_implINS0_14default_configELb0EPKsPsPKlPlN2at6native12_GLOBAL__N_18offset_tEEE10hipError_tPvRmT1_PNSt15iterator_traitsISY_E10value_typeET2_T3_PNSZ_IS14_E10value_typeET4_jRbjT5_S1A_jjP12ihipStream_tbEUljE_EEESV_SW_SX_S14_S18_S1A_T6_T7_T9_mT8_S1C_bDpT10_ENKUlT_T0_E_clISt17integral_constantIbLb1EES1O_IbLb0EEEEDaS1K_S1L_EUlS1K_E_NS1_11comp_targetILNS1_3genE3ELNS1_11target_archE908ELNS1_3gpuE7ELNS1_3repE0EEENS1_30default_config_static_selectorELNS0_4arch9wavefront6targetE1EEEvSY_.num_named_barrier, 0
	.set _ZN7rocprim17ROCPRIM_400000_NS6detail17trampoline_kernelINS0_13select_configILj256ELj13ELNS0_17block_load_methodE3ELS4_3ELS4_3ELNS0_20block_scan_algorithmE0ELj4294967295EEENS1_25partition_config_selectorILNS1_17partition_subalgoE3EjNS0_10empty_typeEbEEZZNS1_14partition_implILS8_3ELb0ES6_jNS0_17counting_iteratorIjlEEPS9_SE_NS0_5tupleIJPjSE_EEENSF_IJSE_SE_EEES9_SG_JZNS1_25segmented_radix_sort_implINS0_14default_configELb0EPKsPsPKlPlN2at6native12_GLOBAL__N_18offset_tEEE10hipError_tPvRmT1_PNSt15iterator_traitsISY_E10value_typeET2_T3_PNSZ_IS14_E10value_typeET4_jRbjT5_S1A_jjP12ihipStream_tbEUljE_EEESV_SW_SX_S14_S18_S1A_T6_T7_T9_mT8_S1C_bDpT10_ENKUlT_T0_E_clISt17integral_constantIbLb1EES1O_IbLb0EEEEDaS1K_S1L_EUlS1K_E_NS1_11comp_targetILNS1_3genE3ELNS1_11target_archE908ELNS1_3gpuE7ELNS1_3repE0EEENS1_30default_config_static_selectorELNS0_4arch9wavefront6targetE1EEEvSY_.private_seg_size, 0
	.set _ZN7rocprim17ROCPRIM_400000_NS6detail17trampoline_kernelINS0_13select_configILj256ELj13ELNS0_17block_load_methodE3ELS4_3ELS4_3ELNS0_20block_scan_algorithmE0ELj4294967295EEENS1_25partition_config_selectorILNS1_17partition_subalgoE3EjNS0_10empty_typeEbEEZZNS1_14partition_implILS8_3ELb0ES6_jNS0_17counting_iteratorIjlEEPS9_SE_NS0_5tupleIJPjSE_EEENSF_IJSE_SE_EEES9_SG_JZNS1_25segmented_radix_sort_implINS0_14default_configELb0EPKsPsPKlPlN2at6native12_GLOBAL__N_18offset_tEEE10hipError_tPvRmT1_PNSt15iterator_traitsISY_E10value_typeET2_T3_PNSZ_IS14_E10value_typeET4_jRbjT5_S1A_jjP12ihipStream_tbEUljE_EEESV_SW_SX_S14_S18_S1A_T6_T7_T9_mT8_S1C_bDpT10_ENKUlT_T0_E_clISt17integral_constantIbLb1EES1O_IbLb0EEEEDaS1K_S1L_EUlS1K_E_NS1_11comp_targetILNS1_3genE3ELNS1_11target_archE908ELNS1_3gpuE7ELNS1_3repE0EEENS1_30default_config_static_selectorELNS0_4arch9wavefront6targetE1EEEvSY_.uses_vcc, 0
	.set _ZN7rocprim17ROCPRIM_400000_NS6detail17trampoline_kernelINS0_13select_configILj256ELj13ELNS0_17block_load_methodE3ELS4_3ELS4_3ELNS0_20block_scan_algorithmE0ELj4294967295EEENS1_25partition_config_selectorILNS1_17partition_subalgoE3EjNS0_10empty_typeEbEEZZNS1_14partition_implILS8_3ELb0ES6_jNS0_17counting_iteratorIjlEEPS9_SE_NS0_5tupleIJPjSE_EEENSF_IJSE_SE_EEES9_SG_JZNS1_25segmented_radix_sort_implINS0_14default_configELb0EPKsPsPKlPlN2at6native12_GLOBAL__N_18offset_tEEE10hipError_tPvRmT1_PNSt15iterator_traitsISY_E10value_typeET2_T3_PNSZ_IS14_E10value_typeET4_jRbjT5_S1A_jjP12ihipStream_tbEUljE_EEESV_SW_SX_S14_S18_S1A_T6_T7_T9_mT8_S1C_bDpT10_ENKUlT_T0_E_clISt17integral_constantIbLb1EES1O_IbLb0EEEEDaS1K_S1L_EUlS1K_E_NS1_11comp_targetILNS1_3genE3ELNS1_11target_archE908ELNS1_3gpuE7ELNS1_3repE0EEENS1_30default_config_static_selectorELNS0_4arch9wavefront6targetE1EEEvSY_.uses_flat_scratch, 0
	.set _ZN7rocprim17ROCPRIM_400000_NS6detail17trampoline_kernelINS0_13select_configILj256ELj13ELNS0_17block_load_methodE3ELS4_3ELS4_3ELNS0_20block_scan_algorithmE0ELj4294967295EEENS1_25partition_config_selectorILNS1_17partition_subalgoE3EjNS0_10empty_typeEbEEZZNS1_14partition_implILS8_3ELb0ES6_jNS0_17counting_iteratorIjlEEPS9_SE_NS0_5tupleIJPjSE_EEENSF_IJSE_SE_EEES9_SG_JZNS1_25segmented_radix_sort_implINS0_14default_configELb0EPKsPsPKlPlN2at6native12_GLOBAL__N_18offset_tEEE10hipError_tPvRmT1_PNSt15iterator_traitsISY_E10value_typeET2_T3_PNSZ_IS14_E10value_typeET4_jRbjT5_S1A_jjP12ihipStream_tbEUljE_EEESV_SW_SX_S14_S18_S1A_T6_T7_T9_mT8_S1C_bDpT10_ENKUlT_T0_E_clISt17integral_constantIbLb1EES1O_IbLb0EEEEDaS1K_S1L_EUlS1K_E_NS1_11comp_targetILNS1_3genE3ELNS1_11target_archE908ELNS1_3gpuE7ELNS1_3repE0EEENS1_30default_config_static_selectorELNS0_4arch9wavefront6targetE1EEEvSY_.has_dyn_sized_stack, 0
	.set _ZN7rocprim17ROCPRIM_400000_NS6detail17trampoline_kernelINS0_13select_configILj256ELj13ELNS0_17block_load_methodE3ELS4_3ELS4_3ELNS0_20block_scan_algorithmE0ELj4294967295EEENS1_25partition_config_selectorILNS1_17partition_subalgoE3EjNS0_10empty_typeEbEEZZNS1_14partition_implILS8_3ELb0ES6_jNS0_17counting_iteratorIjlEEPS9_SE_NS0_5tupleIJPjSE_EEENSF_IJSE_SE_EEES9_SG_JZNS1_25segmented_radix_sort_implINS0_14default_configELb0EPKsPsPKlPlN2at6native12_GLOBAL__N_18offset_tEEE10hipError_tPvRmT1_PNSt15iterator_traitsISY_E10value_typeET2_T3_PNSZ_IS14_E10value_typeET4_jRbjT5_S1A_jjP12ihipStream_tbEUljE_EEESV_SW_SX_S14_S18_S1A_T6_T7_T9_mT8_S1C_bDpT10_ENKUlT_T0_E_clISt17integral_constantIbLb1EES1O_IbLb0EEEEDaS1K_S1L_EUlS1K_E_NS1_11comp_targetILNS1_3genE3ELNS1_11target_archE908ELNS1_3gpuE7ELNS1_3repE0EEENS1_30default_config_static_selectorELNS0_4arch9wavefront6targetE1EEEvSY_.has_recursion, 0
	.set _ZN7rocprim17ROCPRIM_400000_NS6detail17trampoline_kernelINS0_13select_configILj256ELj13ELNS0_17block_load_methodE3ELS4_3ELS4_3ELNS0_20block_scan_algorithmE0ELj4294967295EEENS1_25partition_config_selectorILNS1_17partition_subalgoE3EjNS0_10empty_typeEbEEZZNS1_14partition_implILS8_3ELb0ES6_jNS0_17counting_iteratorIjlEEPS9_SE_NS0_5tupleIJPjSE_EEENSF_IJSE_SE_EEES9_SG_JZNS1_25segmented_radix_sort_implINS0_14default_configELb0EPKsPsPKlPlN2at6native12_GLOBAL__N_18offset_tEEE10hipError_tPvRmT1_PNSt15iterator_traitsISY_E10value_typeET2_T3_PNSZ_IS14_E10value_typeET4_jRbjT5_S1A_jjP12ihipStream_tbEUljE_EEESV_SW_SX_S14_S18_S1A_T6_T7_T9_mT8_S1C_bDpT10_ENKUlT_T0_E_clISt17integral_constantIbLb1EES1O_IbLb0EEEEDaS1K_S1L_EUlS1K_E_NS1_11comp_targetILNS1_3genE3ELNS1_11target_archE908ELNS1_3gpuE7ELNS1_3repE0EEENS1_30default_config_static_selectorELNS0_4arch9wavefront6targetE1EEEvSY_.has_indirect_call, 0
	.section	.AMDGPU.csdata,"",@progbits
; Kernel info:
; codeLenInByte = 0
; TotalNumSgprs: 4
; NumVgprs: 0
; ScratchSize: 0
; MemoryBound: 0
; FloatMode: 240
; IeeeMode: 1
; LDSByteSize: 0 bytes/workgroup (compile time only)
; SGPRBlocks: 0
; VGPRBlocks: 0
; NumSGPRsForWavesPerEU: 4
; NumVGPRsForWavesPerEU: 1
; Occupancy: 10
; WaveLimiterHint : 0
; COMPUTE_PGM_RSRC2:SCRATCH_EN: 0
; COMPUTE_PGM_RSRC2:USER_SGPR: 6
; COMPUTE_PGM_RSRC2:TRAP_HANDLER: 0
; COMPUTE_PGM_RSRC2:TGID_X_EN: 1
; COMPUTE_PGM_RSRC2:TGID_Y_EN: 0
; COMPUTE_PGM_RSRC2:TGID_Z_EN: 0
; COMPUTE_PGM_RSRC2:TIDIG_COMP_CNT: 0
	.section	.text._ZN7rocprim17ROCPRIM_400000_NS6detail17trampoline_kernelINS0_13select_configILj256ELj13ELNS0_17block_load_methodE3ELS4_3ELS4_3ELNS0_20block_scan_algorithmE0ELj4294967295EEENS1_25partition_config_selectorILNS1_17partition_subalgoE3EjNS0_10empty_typeEbEEZZNS1_14partition_implILS8_3ELb0ES6_jNS0_17counting_iteratorIjlEEPS9_SE_NS0_5tupleIJPjSE_EEENSF_IJSE_SE_EEES9_SG_JZNS1_25segmented_radix_sort_implINS0_14default_configELb0EPKsPsPKlPlN2at6native12_GLOBAL__N_18offset_tEEE10hipError_tPvRmT1_PNSt15iterator_traitsISY_E10value_typeET2_T3_PNSZ_IS14_E10value_typeET4_jRbjT5_S1A_jjP12ihipStream_tbEUljE_EEESV_SW_SX_S14_S18_S1A_T6_T7_T9_mT8_S1C_bDpT10_ENKUlT_T0_E_clISt17integral_constantIbLb1EES1O_IbLb0EEEEDaS1K_S1L_EUlS1K_E_NS1_11comp_targetILNS1_3genE2ELNS1_11target_archE906ELNS1_3gpuE6ELNS1_3repE0EEENS1_30default_config_static_selectorELNS0_4arch9wavefront6targetE1EEEvSY_,"axG",@progbits,_ZN7rocprim17ROCPRIM_400000_NS6detail17trampoline_kernelINS0_13select_configILj256ELj13ELNS0_17block_load_methodE3ELS4_3ELS4_3ELNS0_20block_scan_algorithmE0ELj4294967295EEENS1_25partition_config_selectorILNS1_17partition_subalgoE3EjNS0_10empty_typeEbEEZZNS1_14partition_implILS8_3ELb0ES6_jNS0_17counting_iteratorIjlEEPS9_SE_NS0_5tupleIJPjSE_EEENSF_IJSE_SE_EEES9_SG_JZNS1_25segmented_radix_sort_implINS0_14default_configELb0EPKsPsPKlPlN2at6native12_GLOBAL__N_18offset_tEEE10hipError_tPvRmT1_PNSt15iterator_traitsISY_E10value_typeET2_T3_PNSZ_IS14_E10value_typeET4_jRbjT5_S1A_jjP12ihipStream_tbEUljE_EEESV_SW_SX_S14_S18_S1A_T6_T7_T9_mT8_S1C_bDpT10_ENKUlT_T0_E_clISt17integral_constantIbLb1EES1O_IbLb0EEEEDaS1K_S1L_EUlS1K_E_NS1_11comp_targetILNS1_3genE2ELNS1_11target_archE906ELNS1_3gpuE6ELNS1_3repE0EEENS1_30default_config_static_selectorELNS0_4arch9wavefront6targetE1EEEvSY_,comdat
	.globl	_ZN7rocprim17ROCPRIM_400000_NS6detail17trampoline_kernelINS0_13select_configILj256ELj13ELNS0_17block_load_methodE3ELS4_3ELS4_3ELNS0_20block_scan_algorithmE0ELj4294967295EEENS1_25partition_config_selectorILNS1_17partition_subalgoE3EjNS0_10empty_typeEbEEZZNS1_14partition_implILS8_3ELb0ES6_jNS0_17counting_iteratorIjlEEPS9_SE_NS0_5tupleIJPjSE_EEENSF_IJSE_SE_EEES9_SG_JZNS1_25segmented_radix_sort_implINS0_14default_configELb0EPKsPsPKlPlN2at6native12_GLOBAL__N_18offset_tEEE10hipError_tPvRmT1_PNSt15iterator_traitsISY_E10value_typeET2_T3_PNSZ_IS14_E10value_typeET4_jRbjT5_S1A_jjP12ihipStream_tbEUljE_EEESV_SW_SX_S14_S18_S1A_T6_T7_T9_mT8_S1C_bDpT10_ENKUlT_T0_E_clISt17integral_constantIbLb1EES1O_IbLb0EEEEDaS1K_S1L_EUlS1K_E_NS1_11comp_targetILNS1_3genE2ELNS1_11target_archE906ELNS1_3gpuE6ELNS1_3repE0EEENS1_30default_config_static_selectorELNS0_4arch9wavefront6targetE1EEEvSY_ ; -- Begin function _ZN7rocprim17ROCPRIM_400000_NS6detail17trampoline_kernelINS0_13select_configILj256ELj13ELNS0_17block_load_methodE3ELS4_3ELS4_3ELNS0_20block_scan_algorithmE0ELj4294967295EEENS1_25partition_config_selectorILNS1_17partition_subalgoE3EjNS0_10empty_typeEbEEZZNS1_14partition_implILS8_3ELb0ES6_jNS0_17counting_iteratorIjlEEPS9_SE_NS0_5tupleIJPjSE_EEENSF_IJSE_SE_EEES9_SG_JZNS1_25segmented_radix_sort_implINS0_14default_configELb0EPKsPsPKlPlN2at6native12_GLOBAL__N_18offset_tEEE10hipError_tPvRmT1_PNSt15iterator_traitsISY_E10value_typeET2_T3_PNSZ_IS14_E10value_typeET4_jRbjT5_S1A_jjP12ihipStream_tbEUljE_EEESV_SW_SX_S14_S18_S1A_T6_T7_T9_mT8_S1C_bDpT10_ENKUlT_T0_E_clISt17integral_constantIbLb1EES1O_IbLb0EEEEDaS1K_S1L_EUlS1K_E_NS1_11comp_targetILNS1_3genE2ELNS1_11target_archE906ELNS1_3gpuE6ELNS1_3repE0EEENS1_30default_config_static_selectorELNS0_4arch9wavefront6targetE1EEEvSY_
	.p2align	8
	.type	_ZN7rocprim17ROCPRIM_400000_NS6detail17trampoline_kernelINS0_13select_configILj256ELj13ELNS0_17block_load_methodE3ELS4_3ELS4_3ELNS0_20block_scan_algorithmE0ELj4294967295EEENS1_25partition_config_selectorILNS1_17partition_subalgoE3EjNS0_10empty_typeEbEEZZNS1_14partition_implILS8_3ELb0ES6_jNS0_17counting_iteratorIjlEEPS9_SE_NS0_5tupleIJPjSE_EEENSF_IJSE_SE_EEES9_SG_JZNS1_25segmented_radix_sort_implINS0_14default_configELb0EPKsPsPKlPlN2at6native12_GLOBAL__N_18offset_tEEE10hipError_tPvRmT1_PNSt15iterator_traitsISY_E10value_typeET2_T3_PNSZ_IS14_E10value_typeET4_jRbjT5_S1A_jjP12ihipStream_tbEUljE_EEESV_SW_SX_S14_S18_S1A_T6_T7_T9_mT8_S1C_bDpT10_ENKUlT_T0_E_clISt17integral_constantIbLb1EES1O_IbLb0EEEEDaS1K_S1L_EUlS1K_E_NS1_11comp_targetILNS1_3genE2ELNS1_11target_archE906ELNS1_3gpuE6ELNS1_3repE0EEENS1_30default_config_static_selectorELNS0_4arch9wavefront6targetE1EEEvSY_,@function
_ZN7rocprim17ROCPRIM_400000_NS6detail17trampoline_kernelINS0_13select_configILj256ELj13ELNS0_17block_load_methodE3ELS4_3ELS4_3ELNS0_20block_scan_algorithmE0ELj4294967295EEENS1_25partition_config_selectorILNS1_17partition_subalgoE3EjNS0_10empty_typeEbEEZZNS1_14partition_implILS8_3ELb0ES6_jNS0_17counting_iteratorIjlEEPS9_SE_NS0_5tupleIJPjSE_EEENSF_IJSE_SE_EEES9_SG_JZNS1_25segmented_radix_sort_implINS0_14default_configELb0EPKsPsPKlPlN2at6native12_GLOBAL__N_18offset_tEEE10hipError_tPvRmT1_PNSt15iterator_traitsISY_E10value_typeET2_T3_PNSZ_IS14_E10value_typeET4_jRbjT5_S1A_jjP12ihipStream_tbEUljE_EEESV_SW_SX_S14_S18_S1A_T6_T7_T9_mT8_S1C_bDpT10_ENKUlT_T0_E_clISt17integral_constantIbLb1EES1O_IbLb0EEEEDaS1K_S1L_EUlS1K_E_NS1_11comp_targetILNS1_3genE2ELNS1_11target_archE906ELNS1_3gpuE6ELNS1_3repE0EEENS1_30default_config_static_selectorELNS0_4arch9wavefront6targetE1EEEvSY_: ; @_ZN7rocprim17ROCPRIM_400000_NS6detail17trampoline_kernelINS0_13select_configILj256ELj13ELNS0_17block_load_methodE3ELS4_3ELS4_3ELNS0_20block_scan_algorithmE0ELj4294967295EEENS1_25partition_config_selectorILNS1_17partition_subalgoE3EjNS0_10empty_typeEbEEZZNS1_14partition_implILS8_3ELb0ES6_jNS0_17counting_iteratorIjlEEPS9_SE_NS0_5tupleIJPjSE_EEENSF_IJSE_SE_EEES9_SG_JZNS1_25segmented_radix_sort_implINS0_14default_configELb0EPKsPsPKlPlN2at6native12_GLOBAL__N_18offset_tEEE10hipError_tPvRmT1_PNSt15iterator_traitsISY_E10value_typeET2_T3_PNSZ_IS14_E10value_typeET4_jRbjT5_S1A_jjP12ihipStream_tbEUljE_EEESV_SW_SX_S14_S18_S1A_T6_T7_T9_mT8_S1C_bDpT10_ENKUlT_T0_E_clISt17integral_constantIbLb1EES1O_IbLb0EEEEDaS1K_S1L_EUlS1K_E_NS1_11comp_targetILNS1_3genE2ELNS1_11target_archE906ELNS1_3gpuE6ELNS1_3repE0EEENS1_30default_config_static_selectorELNS0_4arch9wavefront6targetE1EEEvSY_
; %bb.0:
	s_endpgm
	.section	.rodata,"a",@progbits
	.p2align	6, 0x0
	.amdhsa_kernel _ZN7rocprim17ROCPRIM_400000_NS6detail17trampoline_kernelINS0_13select_configILj256ELj13ELNS0_17block_load_methodE3ELS4_3ELS4_3ELNS0_20block_scan_algorithmE0ELj4294967295EEENS1_25partition_config_selectorILNS1_17partition_subalgoE3EjNS0_10empty_typeEbEEZZNS1_14partition_implILS8_3ELb0ES6_jNS0_17counting_iteratorIjlEEPS9_SE_NS0_5tupleIJPjSE_EEENSF_IJSE_SE_EEES9_SG_JZNS1_25segmented_radix_sort_implINS0_14default_configELb0EPKsPsPKlPlN2at6native12_GLOBAL__N_18offset_tEEE10hipError_tPvRmT1_PNSt15iterator_traitsISY_E10value_typeET2_T3_PNSZ_IS14_E10value_typeET4_jRbjT5_S1A_jjP12ihipStream_tbEUljE_EEESV_SW_SX_S14_S18_S1A_T6_T7_T9_mT8_S1C_bDpT10_ENKUlT_T0_E_clISt17integral_constantIbLb1EES1O_IbLb0EEEEDaS1K_S1L_EUlS1K_E_NS1_11comp_targetILNS1_3genE2ELNS1_11target_archE906ELNS1_3gpuE6ELNS1_3repE0EEENS1_30default_config_static_selectorELNS0_4arch9wavefront6targetE1EEEvSY_
		.amdhsa_group_segment_fixed_size 0
		.amdhsa_private_segment_fixed_size 0
		.amdhsa_kernarg_size 144
		.amdhsa_user_sgpr_count 6
		.amdhsa_user_sgpr_private_segment_buffer 1
		.amdhsa_user_sgpr_dispatch_ptr 0
		.amdhsa_user_sgpr_queue_ptr 0
		.amdhsa_user_sgpr_kernarg_segment_ptr 1
		.amdhsa_user_sgpr_dispatch_id 0
		.amdhsa_user_sgpr_flat_scratch_init 0
		.amdhsa_user_sgpr_private_segment_size 0
		.amdhsa_uses_dynamic_stack 0
		.amdhsa_system_sgpr_private_segment_wavefront_offset 0
		.amdhsa_system_sgpr_workgroup_id_x 1
		.amdhsa_system_sgpr_workgroup_id_y 0
		.amdhsa_system_sgpr_workgroup_id_z 0
		.amdhsa_system_sgpr_workgroup_info 0
		.amdhsa_system_vgpr_workitem_id 0
		.amdhsa_next_free_vgpr 1
		.amdhsa_next_free_sgpr 0
		.amdhsa_reserve_vcc 0
		.amdhsa_reserve_flat_scratch 0
		.amdhsa_float_round_mode_32 0
		.amdhsa_float_round_mode_16_64 0
		.amdhsa_float_denorm_mode_32 3
		.amdhsa_float_denorm_mode_16_64 3
		.amdhsa_dx10_clamp 1
		.amdhsa_ieee_mode 1
		.amdhsa_fp16_overflow 0
		.amdhsa_exception_fp_ieee_invalid_op 0
		.amdhsa_exception_fp_denorm_src 0
		.amdhsa_exception_fp_ieee_div_zero 0
		.amdhsa_exception_fp_ieee_overflow 0
		.amdhsa_exception_fp_ieee_underflow 0
		.amdhsa_exception_fp_ieee_inexact 0
		.amdhsa_exception_int_div_zero 0
	.end_amdhsa_kernel
	.section	.text._ZN7rocprim17ROCPRIM_400000_NS6detail17trampoline_kernelINS0_13select_configILj256ELj13ELNS0_17block_load_methodE3ELS4_3ELS4_3ELNS0_20block_scan_algorithmE0ELj4294967295EEENS1_25partition_config_selectorILNS1_17partition_subalgoE3EjNS0_10empty_typeEbEEZZNS1_14partition_implILS8_3ELb0ES6_jNS0_17counting_iteratorIjlEEPS9_SE_NS0_5tupleIJPjSE_EEENSF_IJSE_SE_EEES9_SG_JZNS1_25segmented_radix_sort_implINS0_14default_configELb0EPKsPsPKlPlN2at6native12_GLOBAL__N_18offset_tEEE10hipError_tPvRmT1_PNSt15iterator_traitsISY_E10value_typeET2_T3_PNSZ_IS14_E10value_typeET4_jRbjT5_S1A_jjP12ihipStream_tbEUljE_EEESV_SW_SX_S14_S18_S1A_T6_T7_T9_mT8_S1C_bDpT10_ENKUlT_T0_E_clISt17integral_constantIbLb1EES1O_IbLb0EEEEDaS1K_S1L_EUlS1K_E_NS1_11comp_targetILNS1_3genE2ELNS1_11target_archE906ELNS1_3gpuE6ELNS1_3repE0EEENS1_30default_config_static_selectorELNS0_4arch9wavefront6targetE1EEEvSY_,"axG",@progbits,_ZN7rocprim17ROCPRIM_400000_NS6detail17trampoline_kernelINS0_13select_configILj256ELj13ELNS0_17block_load_methodE3ELS4_3ELS4_3ELNS0_20block_scan_algorithmE0ELj4294967295EEENS1_25partition_config_selectorILNS1_17partition_subalgoE3EjNS0_10empty_typeEbEEZZNS1_14partition_implILS8_3ELb0ES6_jNS0_17counting_iteratorIjlEEPS9_SE_NS0_5tupleIJPjSE_EEENSF_IJSE_SE_EEES9_SG_JZNS1_25segmented_radix_sort_implINS0_14default_configELb0EPKsPsPKlPlN2at6native12_GLOBAL__N_18offset_tEEE10hipError_tPvRmT1_PNSt15iterator_traitsISY_E10value_typeET2_T3_PNSZ_IS14_E10value_typeET4_jRbjT5_S1A_jjP12ihipStream_tbEUljE_EEESV_SW_SX_S14_S18_S1A_T6_T7_T9_mT8_S1C_bDpT10_ENKUlT_T0_E_clISt17integral_constantIbLb1EES1O_IbLb0EEEEDaS1K_S1L_EUlS1K_E_NS1_11comp_targetILNS1_3genE2ELNS1_11target_archE906ELNS1_3gpuE6ELNS1_3repE0EEENS1_30default_config_static_selectorELNS0_4arch9wavefront6targetE1EEEvSY_,comdat
.Lfunc_end1002:
	.size	_ZN7rocprim17ROCPRIM_400000_NS6detail17trampoline_kernelINS0_13select_configILj256ELj13ELNS0_17block_load_methodE3ELS4_3ELS4_3ELNS0_20block_scan_algorithmE0ELj4294967295EEENS1_25partition_config_selectorILNS1_17partition_subalgoE3EjNS0_10empty_typeEbEEZZNS1_14partition_implILS8_3ELb0ES6_jNS0_17counting_iteratorIjlEEPS9_SE_NS0_5tupleIJPjSE_EEENSF_IJSE_SE_EEES9_SG_JZNS1_25segmented_radix_sort_implINS0_14default_configELb0EPKsPsPKlPlN2at6native12_GLOBAL__N_18offset_tEEE10hipError_tPvRmT1_PNSt15iterator_traitsISY_E10value_typeET2_T3_PNSZ_IS14_E10value_typeET4_jRbjT5_S1A_jjP12ihipStream_tbEUljE_EEESV_SW_SX_S14_S18_S1A_T6_T7_T9_mT8_S1C_bDpT10_ENKUlT_T0_E_clISt17integral_constantIbLb1EES1O_IbLb0EEEEDaS1K_S1L_EUlS1K_E_NS1_11comp_targetILNS1_3genE2ELNS1_11target_archE906ELNS1_3gpuE6ELNS1_3repE0EEENS1_30default_config_static_selectorELNS0_4arch9wavefront6targetE1EEEvSY_, .Lfunc_end1002-_ZN7rocprim17ROCPRIM_400000_NS6detail17trampoline_kernelINS0_13select_configILj256ELj13ELNS0_17block_load_methodE3ELS4_3ELS4_3ELNS0_20block_scan_algorithmE0ELj4294967295EEENS1_25partition_config_selectorILNS1_17partition_subalgoE3EjNS0_10empty_typeEbEEZZNS1_14partition_implILS8_3ELb0ES6_jNS0_17counting_iteratorIjlEEPS9_SE_NS0_5tupleIJPjSE_EEENSF_IJSE_SE_EEES9_SG_JZNS1_25segmented_radix_sort_implINS0_14default_configELb0EPKsPsPKlPlN2at6native12_GLOBAL__N_18offset_tEEE10hipError_tPvRmT1_PNSt15iterator_traitsISY_E10value_typeET2_T3_PNSZ_IS14_E10value_typeET4_jRbjT5_S1A_jjP12ihipStream_tbEUljE_EEESV_SW_SX_S14_S18_S1A_T6_T7_T9_mT8_S1C_bDpT10_ENKUlT_T0_E_clISt17integral_constantIbLb1EES1O_IbLb0EEEEDaS1K_S1L_EUlS1K_E_NS1_11comp_targetILNS1_3genE2ELNS1_11target_archE906ELNS1_3gpuE6ELNS1_3repE0EEENS1_30default_config_static_selectorELNS0_4arch9wavefront6targetE1EEEvSY_
                                        ; -- End function
	.set _ZN7rocprim17ROCPRIM_400000_NS6detail17trampoline_kernelINS0_13select_configILj256ELj13ELNS0_17block_load_methodE3ELS4_3ELS4_3ELNS0_20block_scan_algorithmE0ELj4294967295EEENS1_25partition_config_selectorILNS1_17partition_subalgoE3EjNS0_10empty_typeEbEEZZNS1_14partition_implILS8_3ELb0ES6_jNS0_17counting_iteratorIjlEEPS9_SE_NS0_5tupleIJPjSE_EEENSF_IJSE_SE_EEES9_SG_JZNS1_25segmented_radix_sort_implINS0_14default_configELb0EPKsPsPKlPlN2at6native12_GLOBAL__N_18offset_tEEE10hipError_tPvRmT1_PNSt15iterator_traitsISY_E10value_typeET2_T3_PNSZ_IS14_E10value_typeET4_jRbjT5_S1A_jjP12ihipStream_tbEUljE_EEESV_SW_SX_S14_S18_S1A_T6_T7_T9_mT8_S1C_bDpT10_ENKUlT_T0_E_clISt17integral_constantIbLb1EES1O_IbLb0EEEEDaS1K_S1L_EUlS1K_E_NS1_11comp_targetILNS1_3genE2ELNS1_11target_archE906ELNS1_3gpuE6ELNS1_3repE0EEENS1_30default_config_static_selectorELNS0_4arch9wavefront6targetE1EEEvSY_.num_vgpr, 0
	.set _ZN7rocprim17ROCPRIM_400000_NS6detail17trampoline_kernelINS0_13select_configILj256ELj13ELNS0_17block_load_methodE3ELS4_3ELS4_3ELNS0_20block_scan_algorithmE0ELj4294967295EEENS1_25partition_config_selectorILNS1_17partition_subalgoE3EjNS0_10empty_typeEbEEZZNS1_14partition_implILS8_3ELb0ES6_jNS0_17counting_iteratorIjlEEPS9_SE_NS0_5tupleIJPjSE_EEENSF_IJSE_SE_EEES9_SG_JZNS1_25segmented_radix_sort_implINS0_14default_configELb0EPKsPsPKlPlN2at6native12_GLOBAL__N_18offset_tEEE10hipError_tPvRmT1_PNSt15iterator_traitsISY_E10value_typeET2_T3_PNSZ_IS14_E10value_typeET4_jRbjT5_S1A_jjP12ihipStream_tbEUljE_EEESV_SW_SX_S14_S18_S1A_T6_T7_T9_mT8_S1C_bDpT10_ENKUlT_T0_E_clISt17integral_constantIbLb1EES1O_IbLb0EEEEDaS1K_S1L_EUlS1K_E_NS1_11comp_targetILNS1_3genE2ELNS1_11target_archE906ELNS1_3gpuE6ELNS1_3repE0EEENS1_30default_config_static_selectorELNS0_4arch9wavefront6targetE1EEEvSY_.num_agpr, 0
	.set _ZN7rocprim17ROCPRIM_400000_NS6detail17trampoline_kernelINS0_13select_configILj256ELj13ELNS0_17block_load_methodE3ELS4_3ELS4_3ELNS0_20block_scan_algorithmE0ELj4294967295EEENS1_25partition_config_selectorILNS1_17partition_subalgoE3EjNS0_10empty_typeEbEEZZNS1_14partition_implILS8_3ELb0ES6_jNS0_17counting_iteratorIjlEEPS9_SE_NS0_5tupleIJPjSE_EEENSF_IJSE_SE_EEES9_SG_JZNS1_25segmented_radix_sort_implINS0_14default_configELb0EPKsPsPKlPlN2at6native12_GLOBAL__N_18offset_tEEE10hipError_tPvRmT1_PNSt15iterator_traitsISY_E10value_typeET2_T3_PNSZ_IS14_E10value_typeET4_jRbjT5_S1A_jjP12ihipStream_tbEUljE_EEESV_SW_SX_S14_S18_S1A_T6_T7_T9_mT8_S1C_bDpT10_ENKUlT_T0_E_clISt17integral_constantIbLb1EES1O_IbLb0EEEEDaS1K_S1L_EUlS1K_E_NS1_11comp_targetILNS1_3genE2ELNS1_11target_archE906ELNS1_3gpuE6ELNS1_3repE0EEENS1_30default_config_static_selectorELNS0_4arch9wavefront6targetE1EEEvSY_.numbered_sgpr, 0
	.set _ZN7rocprim17ROCPRIM_400000_NS6detail17trampoline_kernelINS0_13select_configILj256ELj13ELNS0_17block_load_methodE3ELS4_3ELS4_3ELNS0_20block_scan_algorithmE0ELj4294967295EEENS1_25partition_config_selectorILNS1_17partition_subalgoE3EjNS0_10empty_typeEbEEZZNS1_14partition_implILS8_3ELb0ES6_jNS0_17counting_iteratorIjlEEPS9_SE_NS0_5tupleIJPjSE_EEENSF_IJSE_SE_EEES9_SG_JZNS1_25segmented_radix_sort_implINS0_14default_configELb0EPKsPsPKlPlN2at6native12_GLOBAL__N_18offset_tEEE10hipError_tPvRmT1_PNSt15iterator_traitsISY_E10value_typeET2_T3_PNSZ_IS14_E10value_typeET4_jRbjT5_S1A_jjP12ihipStream_tbEUljE_EEESV_SW_SX_S14_S18_S1A_T6_T7_T9_mT8_S1C_bDpT10_ENKUlT_T0_E_clISt17integral_constantIbLb1EES1O_IbLb0EEEEDaS1K_S1L_EUlS1K_E_NS1_11comp_targetILNS1_3genE2ELNS1_11target_archE906ELNS1_3gpuE6ELNS1_3repE0EEENS1_30default_config_static_selectorELNS0_4arch9wavefront6targetE1EEEvSY_.num_named_barrier, 0
	.set _ZN7rocprim17ROCPRIM_400000_NS6detail17trampoline_kernelINS0_13select_configILj256ELj13ELNS0_17block_load_methodE3ELS4_3ELS4_3ELNS0_20block_scan_algorithmE0ELj4294967295EEENS1_25partition_config_selectorILNS1_17partition_subalgoE3EjNS0_10empty_typeEbEEZZNS1_14partition_implILS8_3ELb0ES6_jNS0_17counting_iteratorIjlEEPS9_SE_NS0_5tupleIJPjSE_EEENSF_IJSE_SE_EEES9_SG_JZNS1_25segmented_radix_sort_implINS0_14default_configELb0EPKsPsPKlPlN2at6native12_GLOBAL__N_18offset_tEEE10hipError_tPvRmT1_PNSt15iterator_traitsISY_E10value_typeET2_T3_PNSZ_IS14_E10value_typeET4_jRbjT5_S1A_jjP12ihipStream_tbEUljE_EEESV_SW_SX_S14_S18_S1A_T6_T7_T9_mT8_S1C_bDpT10_ENKUlT_T0_E_clISt17integral_constantIbLb1EES1O_IbLb0EEEEDaS1K_S1L_EUlS1K_E_NS1_11comp_targetILNS1_3genE2ELNS1_11target_archE906ELNS1_3gpuE6ELNS1_3repE0EEENS1_30default_config_static_selectorELNS0_4arch9wavefront6targetE1EEEvSY_.private_seg_size, 0
	.set _ZN7rocprim17ROCPRIM_400000_NS6detail17trampoline_kernelINS0_13select_configILj256ELj13ELNS0_17block_load_methodE3ELS4_3ELS4_3ELNS0_20block_scan_algorithmE0ELj4294967295EEENS1_25partition_config_selectorILNS1_17partition_subalgoE3EjNS0_10empty_typeEbEEZZNS1_14partition_implILS8_3ELb0ES6_jNS0_17counting_iteratorIjlEEPS9_SE_NS0_5tupleIJPjSE_EEENSF_IJSE_SE_EEES9_SG_JZNS1_25segmented_radix_sort_implINS0_14default_configELb0EPKsPsPKlPlN2at6native12_GLOBAL__N_18offset_tEEE10hipError_tPvRmT1_PNSt15iterator_traitsISY_E10value_typeET2_T3_PNSZ_IS14_E10value_typeET4_jRbjT5_S1A_jjP12ihipStream_tbEUljE_EEESV_SW_SX_S14_S18_S1A_T6_T7_T9_mT8_S1C_bDpT10_ENKUlT_T0_E_clISt17integral_constantIbLb1EES1O_IbLb0EEEEDaS1K_S1L_EUlS1K_E_NS1_11comp_targetILNS1_3genE2ELNS1_11target_archE906ELNS1_3gpuE6ELNS1_3repE0EEENS1_30default_config_static_selectorELNS0_4arch9wavefront6targetE1EEEvSY_.uses_vcc, 0
	.set _ZN7rocprim17ROCPRIM_400000_NS6detail17trampoline_kernelINS0_13select_configILj256ELj13ELNS0_17block_load_methodE3ELS4_3ELS4_3ELNS0_20block_scan_algorithmE0ELj4294967295EEENS1_25partition_config_selectorILNS1_17partition_subalgoE3EjNS0_10empty_typeEbEEZZNS1_14partition_implILS8_3ELb0ES6_jNS0_17counting_iteratorIjlEEPS9_SE_NS0_5tupleIJPjSE_EEENSF_IJSE_SE_EEES9_SG_JZNS1_25segmented_radix_sort_implINS0_14default_configELb0EPKsPsPKlPlN2at6native12_GLOBAL__N_18offset_tEEE10hipError_tPvRmT1_PNSt15iterator_traitsISY_E10value_typeET2_T3_PNSZ_IS14_E10value_typeET4_jRbjT5_S1A_jjP12ihipStream_tbEUljE_EEESV_SW_SX_S14_S18_S1A_T6_T7_T9_mT8_S1C_bDpT10_ENKUlT_T0_E_clISt17integral_constantIbLb1EES1O_IbLb0EEEEDaS1K_S1L_EUlS1K_E_NS1_11comp_targetILNS1_3genE2ELNS1_11target_archE906ELNS1_3gpuE6ELNS1_3repE0EEENS1_30default_config_static_selectorELNS0_4arch9wavefront6targetE1EEEvSY_.uses_flat_scratch, 0
	.set _ZN7rocprim17ROCPRIM_400000_NS6detail17trampoline_kernelINS0_13select_configILj256ELj13ELNS0_17block_load_methodE3ELS4_3ELS4_3ELNS0_20block_scan_algorithmE0ELj4294967295EEENS1_25partition_config_selectorILNS1_17partition_subalgoE3EjNS0_10empty_typeEbEEZZNS1_14partition_implILS8_3ELb0ES6_jNS0_17counting_iteratorIjlEEPS9_SE_NS0_5tupleIJPjSE_EEENSF_IJSE_SE_EEES9_SG_JZNS1_25segmented_radix_sort_implINS0_14default_configELb0EPKsPsPKlPlN2at6native12_GLOBAL__N_18offset_tEEE10hipError_tPvRmT1_PNSt15iterator_traitsISY_E10value_typeET2_T3_PNSZ_IS14_E10value_typeET4_jRbjT5_S1A_jjP12ihipStream_tbEUljE_EEESV_SW_SX_S14_S18_S1A_T6_T7_T9_mT8_S1C_bDpT10_ENKUlT_T0_E_clISt17integral_constantIbLb1EES1O_IbLb0EEEEDaS1K_S1L_EUlS1K_E_NS1_11comp_targetILNS1_3genE2ELNS1_11target_archE906ELNS1_3gpuE6ELNS1_3repE0EEENS1_30default_config_static_selectorELNS0_4arch9wavefront6targetE1EEEvSY_.has_dyn_sized_stack, 0
	.set _ZN7rocprim17ROCPRIM_400000_NS6detail17trampoline_kernelINS0_13select_configILj256ELj13ELNS0_17block_load_methodE3ELS4_3ELS4_3ELNS0_20block_scan_algorithmE0ELj4294967295EEENS1_25partition_config_selectorILNS1_17partition_subalgoE3EjNS0_10empty_typeEbEEZZNS1_14partition_implILS8_3ELb0ES6_jNS0_17counting_iteratorIjlEEPS9_SE_NS0_5tupleIJPjSE_EEENSF_IJSE_SE_EEES9_SG_JZNS1_25segmented_radix_sort_implINS0_14default_configELb0EPKsPsPKlPlN2at6native12_GLOBAL__N_18offset_tEEE10hipError_tPvRmT1_PNSt15iterator_traitsISY_E10value_typeET2_T3_PNSZ_IS14_E10value_typeET4_jRbjT5_S1A_jjP12ihipStream_tbEUljE_EEESV_SW_SX_S14_S18_S1A_T6_T7_T9_mT8_S1C_bDpT10_ENKUlT_T0_E_clISt17integral_constantIbLb1EES1O_IbLb0EEEEDaS1K_S1L_EUlS1K_E_NS1_11comp_targetILNS1_3genE2ELNS1_11target_archE906ELNS1_3gpuE6ELNS1_3repE0EEENS1_30default_config_static_selectorELNS0_4arch9wavefront6targetE1EEEvSY_.has_recursion, 0
	.set _ZN7rocprim17ROCPRIM_400000_NS6detail17trampoline_kernelINS0_13select_configILj256ELj13ELNS0_17block_load_methodE3ELS4_3ELS4_3ELNS0_20block_scan_algorithmE0ELj4294967295EEENS1_25partition_config_selectorILNS1_17partition_subalgoE3EjNS0_10empty_typeEbEEZZNS1_14partition_implILS8_3ELb0ES6_jNS0_17counting_iteratorIjlEEPS9_SE_NS0_5tupleIJPjSE_EEENSF_IJSE_SE_EEES9_SG_JZNS1_25segmented_radix_sort_implINS0_14default_configELb0EPKsPsPKlPlN2at6native12_GLOBAL__N_18offset_tEEE10hipError_tPvRmT1_PNSt15iterator_traitsISY_E10value_typeET2_T3_PNSZ_IS14_E10value_typeET4_jRbjT5_S1A_jjP12ihipStream_tbEUljE_EEESV_SW_SX_S14_S18_S1A_T6_T7_T9_mT8_S1C_bDpT10_ENKUlT_T0_E_clISt17integral_constantIbLb1EES1O_IbLb0EEEEDaS1K_S1L_EUlS1K_E_NS1_11comp_targetILNS1_3genE2ELNS1_11target_archE906ELNS1_3gpuE6ELNS1_3repE0EEENS1_30default_config_static_selectorELNS0_4arch9wavefront6targetE1EEEvSY_.has_indirect_call, 0
	.section	.AMDGPU.csdata,"",@progbits
; Kernel info:
; codeLenInByte = 4
; TotalNumSgprs: 4
; NumVgprs: 0
; ScratchSize: 0
; MemoryBound: 0
; FloatMode: 240
; IeeeMode: 1
; LDSByteSize: 0 bytes/workgroup (compile time only)
; SGPRBlocks: 0
; VGPRBlocks: 0
; NumSGPRsForWavesPerEU: 4
; NumVGPRsForWavesPerEU: 1
; Occupancy: 10
; WaveLimiterHint : 0
; COMPUTE_PGM_RSRC2:SCRATCH_EN: 0
; COMPUTE_PGM_RSRC2:USER_SGPR: 6
; COMPUTE_PGM_RSRC2:TRAP_HANDLER: 0
; COMPUTE_PGM_RSRC2:TGID_X_EN: 1
; COMPUTE_PGM_RSRC2:TGID_Y_EN: 0
; COMPUTE_PGM_RSRC2:TGID_Z_EN: 0
; COMPUTE_PGM_RSRC2:TIDIG_COMP_CNT: 0
	.section	.text._ZN7rocprim17ROCPRIM_400000_NS6detail17trampoline_kernelINS0_13select_configILj256ELj13ELNS0_17block_load_methodE3ELS4_3ELS4_3ELNS0_20block_scan_algorithmE0ELj4294967295EEENS1_25partition_config_selectorILNS1_17partition_subalgoE3EjNS0_10empty_typeEbEEZZNS1_14partition_implILS8_3ELb0ES6_jNS0_17counting_iteratorIjlEEPS9_SE_NS0_5tupleIJPjSE_EEENSF_IJSE_SE_EEES9_SG_JZNS1_25segmented_radix_sort_implINS0_14default_configELb0EPKsPsPKlPlN2at6native12_GLOBAL__N_18offset_tEEE10hipError_tPvRmT1_PNSt15iterator_traitsISY_E10value_typeET2_T3_PNSZ_IS14_E10value_typeET4_jRbjT5_S1A_jjP12ihipStream_tbEUljE_EEESV_SW_SX_S14_S18_S1A_T6_T7_T9_mT8_S1C_bDpT10_ENKUlT_T0_E_clISt17integral_constantIbLb1EES1O_IbLb0EEEEDaS1K_S1L_EUlS1K_E_NS1_11comp_targetILNS1_3genE10ELNS1_11target_archE1200ELNS1_3gpuE4ELNS1_3repE0EEENS1_30default_config_static_selectorELNS0_4arch9wavefront6targetE1EEEvSY_,"axG",@progbits,_ZN7rocprim17ROCPRIM_400000_NS6detail17trampoline_kernelINS0_13select_configILj256ELj13ELNS0_17block_load_methodE3ELS4_3ELS4_3ELNS0_20block_scan_algorithmE0ELj4294967295EEENS1_25partition_config_selectorILNS1_17partition_subalgoE3EjNS0_10empty_typeEbEEZZNS1_14partition_implILS8_3ELb0ES6_jNS0_17counting_iteratorIjlEEPS9_SE_NS0_5tupleIJPjSE_EEENSF_IJSE_SE_EEES9_SG_JZNS1_25segmented_radix_sort_implINS0_14default_configELb0EPKsPsPKlPlN2at6native12_GLOBAL__N_18offset_tEEE10hipError_tPvRmT1_PNSt15iterator_traitsISY_E10value_typeET2_T3_PNSZ_IS14_E10value_typeET4_jRbjT5_S1A_jjP12ihipStream_tbEUljE_EEESV_SW_SX_S14_S18_S1A_T6_T7_T9_mT8_S1C_bDpT10_ENKUlT_T0_E_clISt17integral_constantIbLb1EES1O_IbLb0EEEEDaS1K_S1L_EUlS1K_E_NS1_11comp_targetILNS1_3genE10ELNS1_11target_archE1200ELNS1_3gpuE4ELNS1_3repE0EEENS1_30default_config_static_selectorELNS0_4arch9wavefront6targetE1EEEvSY_,comdat
	.globl	_ZN7rocprim17ROCPRIM_400000_NS6detail17trampoline_kernelINS0_13select_configILj256ELj13ELNS0_17block_load_methodE3ELS4_3ELS4_3ELNS0_20block_scan_algorithmE0ELj4294967295EEENS1_25partition_config_selectorILNS1_17partition_subalgoE3EjNS0_10empty_typeEbEEZZNS1_14partition_implILS8_3ELb0ES6_jNS0_17counting_iteratorIjlEEPS9_SE_NS0_5tupleIJPjSE_EEENSF_IJSE_SE_EEES9_SG_JZNS1_25segmented_radix_sort_implINS0_14default_configELb0EPKsPsPKlPlN2at6native12_GLOBAL__N_18offset_tEEE10hipError_tPvRmT1_PNSt15iterator_traitsISY_E10value_typeET2_T3_PNSZ_IS14_E10value_typeET4_jRbjT5_S1A_jjP12ihipStream_tbEUljE_EEESV_SW_SX_S14_S18_S1A_T6_T7_T9_mT8_S1C_bDpT10_ENKUlT_T0_E_clISt17integral_constantIbLb1EES1O_IbLb0EEEEDaS1K_S1L_EUlS1K_E_NS1_11comp_targetILNS1_3genE10ELNS1_11target_archE1200ELNS1_3gpuE4ELNS1_3repE0EEENS1_30default_config_static_selectorELNS0_4arch9wavefront6targetE1EEEvSY_ ; -- Begin function _ZN7rocprim17ROCPRIM_400000_NS6detail17trampoline_kernelINS0_13select_configILj256ELj13ELNS0_17block_load_methodE3ELS4_3ELS4_3ELNS0_20block_scan_algorithmE0ELj4294967295EEENS1_25partition_config_selectorILNS1_17partition_subalgoE3EjNS0_10empty_typeEbEEZZNS1_14partition_implILS8_3ELb0ES6_jNS0_17counting_iteratorIjlEEPS9_SE_NS0_5tupleIJPjSE_EEENSF_IJSE_SE_EEES9_SG_JZNS1_25segmented_radix_sort_implINS0_14default_configELb0EPKsPsPKlPlN2at6native12_GLOBAL__N_18offset_tEEE10hipError_tPvRmT1_PNSt15iterator_traitsISY_E10value_typeET2_T3_PNSZ_IS14_E10value_typeET4_jRbjT5_S1A_jjP12ihipStream_tbEUljE_EEESV_SW_SX_S14_S18_S1A_T6_T7_T9_mT8_S1C_bDpT10_ENKUlT_T0_E_clISt17integral_constantIbLb1EES1O_IbLb0EEEEDaS1K_S1L_EUlS1K_E_NS1_11comp_targetILNS1_3genE10ELNS1_11target_archE1200ELNS1_3gpuE4ELNS1_3repE0EEENS1_30default_config_static_selectorELNS0_4arch9wavefront6targetE1EEEvSY_
	.p2align	8
	.type	_ZN7rocprim17ROCPRIM_400000_NS6detail17trampoline_kernelINS0_13select_configILj256ELj13ELNS0_17block_load_methodE3ELS4_3ELS4_3ELNS0_20block_scan_algorithmE0ELj4294967295EEENS1_25partition_config_selectorILNS1_17partition_subalgoE3EjNS0_10empty_typeEbEEZZNS1_14partition_implILS8_3ELb0ES6_jNS0_17counting_iteratorIjlEEPS9_SE_NS0_5tupleIJPjSE_EEENSF_IJSE_SE_EEES9_SG_JZNS1_25segmented_radix_sort_implINS0_14default_configELb0EPKsPsPKlPlN2at6native12_GLOBAL__N_18offset_tEEE10hipError_tPvRmT1_PNSt15iterator_traitsISY_E10value_typeET2_T3_PNSZ_IS14_E10value_typeET4_jRbjT5_S1A_jjP12ihipStream_tbEUljE_EEESV_SW_SX_S14_S18_S1A_T6_T7_T9_mT8_S1C_bDpT10_ENKUlT_T0_E_clISt17integral_constantIbLb1EES1O_IbLb0EEEEDaS1K_S1L_EUlS1K_E_NS1_11comp_targetILNS1_3genE10ELNS1_11target_archE1200ELNS1_3gpuE4ELNS1_3repE0EEENS1_30default_config_static_selectorELNS0_4arch9wavefront6targetE1EEEvSY_,@function
_ZN7rocprim17ROCPRIM_400000_NS6detail17trampoline_kernelINS0_13select_configILj256ELj13ELNS0_17block_load_methodE3ELS4_3ELS4_3ELNS0_20block_scan_algorithmE0ELj4294967295EEENS1_25partition_config_selectorILNS1_17partition_subalgoE3EjNS0_10empty_typeEbEEZZNS1_14partition_implILS8_3ELb0ES6_jNS0_17counting_iteratorIjlEEPS9_SE_NS0_5tupleIJPjSE_EEENSF_IJSE_SE_EEES9_SG_JZNS1_25segmented_radix_sort_implINS0_14default_configELb0EPKsPsPKlPlN2at6native12_GLOBAL__N_18offset_tEEE10hipError_tPvRmT1_PNSt15iterator_traitsISY_E10value_typeET2_T3_PNSZ_IS14_E10value_typeET4_jRbjT5_S1A_jjP12ihipStream_tbEUljE_EEESV_SW_SX_S14_S18_S1A_T6_T7_T9_mT8_S1C_bDpT10_ENKUlT_T0_E_clISt17integral_constantIbLb1EES1O_IbLb0EEEEDaS1K_S1L_EUlS1K_E_NS1_11comp_targetILNS1_3genE10ELNS1_11target_archE1200ELNS1_3gpuE4ELNS1_3repE0EEENS1_30default_config_static_selectorELNS0_4arch9wavefront6targetE1EEEvSY_: ; @_ZN7rocprim17ROCPRIM_400000_NS6detail17trampoline_kernelINS0_13select_configILj256ELj13ELNS0_17block_load_methodE3ELS4_3ELS4_3ELNS0_20block_scan_algorithmE0ELj4294967295EEENS1_25partition_config_selectorILNS1_17partition_subalgoE3EjNS0_10empty_typeEbEEZZNS1_14partition_implILS8_3ELb0ES6_jNS0_17counting_iteratorIjlEEPS9_SE_NS0_5tupleIJPjSE_EEENSF_IJSE_SE_EEES9_SG_JZNS1_25segmented_radix_sort_implINS0_14default_configELb0EPKsPsPKlPlN2at6native12_GLOBAL__N_18offset_tEEE10hipError_tPvRmT1_PNSt15iterator_traitsISY_E10value_typeET2_T3_PNSZ_IS14_E10value_typeET4_jRbjT5_S1A_jjP12ihipStream_tbEUljE_EEESV_SW_SX_S14_S18_S1A_T6_T7_T9_mT8_S1C_bDpT10_ENKUlT_T0_E_clISt17integral_constantIbLb1EES1O_IbLb0EEEEDaS1K_S1L_EUlS1K_E_NS1_11comp_targetILNS1_3genE10ELNS1_11target_archE1200ELNS1_3gpuE4ELNS1_3repE0EEENS1_30default_config_static_selectorELNS0_4arch9wavefront6targetE1EEEvSY_
; %bb.0:
	.section	.rodata,"a",@progbits
	.p2align	6, 0x0
	.amdhsa_kernel _ZN7rocprim17ROCPRIM_400000_NS6detail17trampoline_kernelINS0_13select_configILj256ELj13ELNS0_17block_load_methodE3ELS4_3ELS4_3ELNS0_20block_scan_algorithmE0ELj4294967295EEENS1_25partition_config_selectorILNS1_17partition_subalgoE3EjNS0_10empty_typeEbEEZZNS1_14partition_implILS8_3ELb0ES6_jNS0_17counting_iteratorIjlEEPS9_SE_NS0_5tupleIJPjSE_EEENSF_IJSE_SE_EEES9_SG_JZNS1_25segmented_radix_sort_implINS0_14default_configELb0EPKsPsPKlPlN2at6native12_GLOBAL__N_18offset_tEEE10hipError_tPvRmT1_PNSt15iterator_traitsISY_E10value_typeET2_T3_PNSZ_IS14_E10value_typeET4_jRbjT5_S1A_jjP12ihipStream_tbEUljE_EEESV_SW_SX_S14_S18_S1A_T6_T7_T9_mT8_S1C_bDpT10_ENKUlT_T0_E_clISt17integral_constantIbLb1EES1O_IbLb0EEEEDaS1K_S1L_EUlS1K_E_NS1_11comp_targetILNS1_3genE10ELNS1_11target_archE1200ELNS1_3gpuE4ELNS1_3repE0EEENS1_30default_config_static_selectorELNS0_4arch9wavefront6targetE1EEEvSY_
		.amdhsa_group_segment_fixed_size 0
		.amdhsa_private_segment_fixed_size 0
		.amdhsa_kernarg_size 144
		.amdhsa_user_sgpr_count 6
		.amdhsa_user_sgpr_private_segment_buffer 1
		.amdhsa_user_sgpr_dispatch_ptr 0
		.amdhsa_user_sgpr_queue_ptr 0
		.amdhsa_user_sgpr_kernarg_segment_ptr 1
		.amdhsa_user_sgpr_dispatch_id 0
		.amdhsa_user_sgpr_flat_scratch_init 0
		.amdhsa_user_sgpr_private_segment_size 0
		.amdhsa_uses_dynamic_stack 0
		.amdhsa_system_sgpr_private_segment_wavefront_offset 0
		.amdhsa_system_sgpr_workgroup_id_x 1
		.amdhsa_system_sgpr_workgroup_id_y 0
		.amdhsa_system_sgpr_workgroup_id_z 0
		.amdhsa_system_sgpr_workgroup_info 0
		.amdhsa_system_vgpr_workitem_id 0
		.amdhsa_next_free_vgpr 1
		.amdhsa_next_free_sgpr 0
		.amdhsa_reserve_vcc 0
		.amdhsa_reserve_flat_scratch 0
		.amdhsa_float_round_mode_32 0
		.amdhsa_float_round_mode_16_64 0
		.amdhsa_float_denorm_mode_32 3
		.amdhsa_float_denorm_mode_16_64 3
		.amdhsa_dx10_clamp 1
		.amdhsa_ieee_mode 1
		.amdhsa_fp16_overflow 0
		.amdhsa_exception_fp_ieee_invalid_op 0
		.amdhsa_exception_fp_denorm_src 0
		.amdhsa_exception_fp_ieee_div_zero 0
		.amdhsa_exception_fp_ieee_overflow 0
		.amdhsa_exception_fp_ieee_underflow 0
		.amdhsa_exception_fp_ieee_inexact 0
		.amdhsa_exception_int_div_zero 0
	.end_amdhsa_kernel
	.section	.text._ZN7rocprim17ROCPRIM_400000_NS6detail17trampoline_kernelINS0_13select_configILj256ELj13ELNS0_17block_load_methodE3ELS4_3ELS4_3ELNS0_20block_scan_algorithmE0ELj4294967295EEENS1_25partition_config_selectorILNS1_17partition_subalgoE3EjNS0_10empty_typeEbEEZZNS1_14partition_implILS8_3ELb0ES6_jNS0_17counting_iteratorIjlEEPS9_SE_NS0_5tupleIJPjSE_EEENSF_IJSE_SE_EEES9_SG_JZNS1_25segmented_radix_sort_implINS0_14default_configELb0EPKsPsPKlPlN2at6native12_GLOBAL__N_18offset_tEEE10hipError_tPvRmT1_PNSt15iterator_traitsISY_E10value_typeET2_T3_PNSZ_IS14_E10value_typeET4_jRbjT5_S1A_jjP12ihipStream_tbEUljE_EEESV_SW_SX_S14_S18_S1A_T6_T7_T9_mT8_S1C_bDpT10_ENKUlT_T0_E_clISt17integral_constantIbLb1EES1O_IbLb0EEEEDaS1K_S1L_EUlS1K_E_NS1_11comp_targetILNS1_3genE10ELNS1_11target_archE1200ELNS1_3gpuE4ELNS1_3repE0EEENS1_30default_config_static_selectorELNS0_4arch9wavefront6targetE1EEEvSY_,"axG",@progbits,_ZN7rocprim17ROCPRIM_400000_NS6detail17trampoline_kernelINS0_13select_configILj256ELj13ELNS0_17block_load_methodE3ELS4_3ELS4_3ELNS0_20block_scan_algorithmE0ELj4294967295EEENS1_25partition_config_selectorILNS1_17partition_subalgoE3EjNS0_10empty_typeEbEEZZNS1_14partition_implILS8_3ELb0ES6_jNS0_17counting_iteratorIjlEEPS9_SE_NS0_5tupleIJPjSE_EEENSF_IJSE_SE_EEES9_SG_JZNS1_25segmented_radix_sort_implINS0_14default_configELb0EPKsPsPKlPlN2at6native12_GLOBAL__N_18offset_tEEE10hipError_tPvRmT1_PNSt15iterator_traitsISY_E10value_typeET2_T3_PNSZ_IS14_E10value_typeET4_jRbjT5_S1A_jjP12ihipStream_tbEUljE_EEESV_SW_SX_S14_S18_S1A_T6_T7_T9_mT8_S1C_bDpT10_ENKUlT_T0_E_clISt17integral_constantIbLb1EES1O_IbLb0EEEEDaS1K_S1L_EUlS1K_E_NS1_11comp_targetILNS1_3genE10ELNS1_11target_archE1200ELNS1_3gpuE4ELNS1_3repE0EEENS1_30default_config_static_selectorELNS0_4arch9wavefront6targetE1EEEvSY_,comdat
.Lfunc_end1003:
	.size	_ZN7rocprim17ROCPRIM_400000_NS6detail17trampoline_kernelINS0_13select_configILj256ELj13ELNS0_17block_load_methodE3ELS4_3ELS4_3ELNS0_20block_scan_algorithmE0ELj4294967295EEENS1_25partition_config_selectorILNS1_17partition_subalgoE3EjNS0_10empty_typeEbEEZZNS1_14partition_implILS8_3ELb0ES6_jNS0_17counting_iteratorIjlEEPS9_SE_NS0_5tupleIJPjSE_EEENSF_IJSE_SE_EEES9_SG_JZNS1_25segmented_radix_sort_implINS0_14default_configELb0EPKsPsPKlPlN2at6native12_GLOBAL__N_18offset_tEEE10hipError_tPvRmT1_PNSt15iterator_traitsISY_E10value_typeET2_T3_PNSZ_IS14_E10value_typeET4_jRbjT5_S1A_jjP12ihipStream_tbEUljE_EEESV_SW_SX_S14_S18_S1A_T6_T7_T9_mT8_S1C_bDpT10_ENKUlT_T0_E_clISt17integral_constantIbLb1EES1O_IbLb0EEEEDaS1K_S1L_EUlS1K_E_NS1_11comp_targetILNS1_3genE10ELNS1_11target_archE1200ELNS1_3gpuE4ELNS1_3repE0EEENS1_30default_config_static_selectorELNS0_4arch9wavefront6targetE1EEEvSY_, .Lfunc_end1003-_ZN7rocprim17ROCPRIM_400000_NS6detail17trampoline_kernelINS0_13select_configILj256ELj13ELNS0_17block_load_methodE3ELS4_3ELS4_3ELNS0_20block_scan_algorithmE0ELj4294967295EEENS1_25partition_config_selectorILNS1_17partition_subalgoE3EjNS0_10empty_typeEbEEZZNS1_14partition_implILS8_3ELb0ES6_jNS0_17counting_iteratorIjlEEPS9_SE_NS0_5tupleIJPjSE_EEENSF_IJSE_SE_EEES9_SG_JZNS1_25segmented_radix_sort_implINS0_14default_configELb0EPKsPsPKlPlN2at6native12_GLOBAL__N_18offset_tEEE10hipError_tPvRmT1_PNSt15iterator_traitsISY_E10value_typeET2_T3_PNSZ_IS14_E10value_typeET4_jRbjT5_S1A_jjP12ihipStream_tbEUljE_EEESV_SW_SX_S14_S18_S1A_T6_T7_T9_mT8_S1C_bDpT10_ENKUlT_T0_E_clISt17integral_constantIbLb1EES1O_IbLb0EEEEDaS1K_S1L_EUlS1K_E_NS1_11comp_targetILNS1_3genE10ELNS1_11target_archE1200ELNS1_3gpuE4ELNS1_3repE0EEENS1_30default_config_static_selectorELNS0_4arch9wavefront6targetE1EEEvSY_
                                        ; -- End function
	.set _ZN7rocprim17ROCPRIM_400000_NS6detail17trampoline_kernelINS0_13select_configILj256ELj13ELNS0_17block_load_methodE3ELS4_3ELS4_3ELNS0_20block_scan_algorithmE0ELj4294967295EEENS1_25partition_config_selectorILNS1_17partition_subalgoE3EjNS0_10empty_typeEbEEZZNS1_14partition_implILS8_3ELb0ES6_jNS0_17counting_iteratorIjlEEPS9_SE_NS0_5tupleIJPjSE_EEENSF_IJSE_SE_EEES9_SG_JZNS1_25segmented_radix_sort_implINS0_14default_configELb0EPKsPsPKlPlN2at6native12_GLOBAL__N_18offset_tEEE10hipError_tPvRmT1_PNSt15iterator_traitsISY_E10value_typeET2_T3_PNSZ_IS14_E10value_typeET4_jRbjT5_S1A_jjP12ihipStream_tbEUljE_EEESV_SW_SX_S14_S18_S1A_T6_T7_T9_mT8_S1C_bDpT10_ENKUlT_T0_E_clISt17integral_constantIbLb1EES1O_IbLb0EEEEDaS1K_S1L_EUlS1K_E_NS1_11comp_targetILNS1_3genE10ELNS1_11target_archE1200ELNS1_3gpuE4ELNS1_3repE0EEENS1_30default_config_static_selectorELNS0_4arch9wavefront6targetE1EEEvSY_.num_vgpr, 0
	.set _ZN7rocprim17ROCPRIM_400000_NS6detail17trampoline_kernelINS0_13select_configILj256ELj13ELNS0_17block_load_methodE3ELS4_3ELS4_3ELNS0_20block_scan_algorithmE0ELj4294967295EEENS1_25partition_config_selectorILNS1_17partition_subalgoE3EjNS0_10empty_typeEbEEZZNS1_14partition_implILS8_3ELb0ES6_jNS0_17counting_iteratorIjlEEPS9_SE_NS0_5tupleIJPjSE_EEENSF_IJSE_SE_EEES9_SG_JZNS1_25segmented_radix_sort_implINS0_14default_configELb0EPKsPsPKlPlN2at6native12_GLOBAL__N_18offset_tEEE10hipError_tPvRmT1_PNSt15iterator_traitsISY_E10value_typeET2_T3_PNSZ_IS14_E10value_typeET4_jRbjT5_S1A_jjP12ihipStream_tbEUljE_EEESV_SW_SX_S14_S18_S1A_T6_T7_T9_mT8_S1C_bDpT10_ENKUlT_T0_E_clISt17integral_constantIbLb1EES1O_IbLb0EEEEDaS1K_S1L_EUlS1K_E_NS1_11comp_targetILNS1_3genE10ELNS1_11target_archE1200ELNS1_3gpuE4ELNS1_3repE0EEENS1_30default_config_static_selectorELNS0_4arch9wavefront6targetE1EEEvSY_.num_agpr, 0
	.set _ZN7rocprim17ROCPRIM_400000_NS6detail17trampoline_kernelINS0_13select_configILj256ELj13ELNS0_17block_load_methodE3ELS4_3ELS4_3ELNS0_20block_scan_algorithmE0ELj4294967295EEENS1_25partition_config_selectorILNS1_17partition_subalgoE3EjNS0_10empty_typeEbEEZZNS1_14partition_implILS8_3ELb0ES6_jNS0_17counting_iteratorIjlEEPS9_SE_NS0_5tupleIJPjSE_EEENSF_IJSE_SE_EEES9_SG_JZNS1_25segmented_radix_sort_implINS0_14default_configELb0EPKsPsPKlPlN2at6native12_GLOBAL__N_18offset_tEEE10hipError_tPvRmT1_PNSt15iterator_traitsISY_E10value_typeET2_T3_PNSZ_IS14_E10value_typeET4_jRbjT5_S1A_jjP12ihipStream_tbEUljE_EEESV_SW_SX_S14_S18_S1A_T6_T7_T9_mT8_S1C_bDpT10_ENKUlT_T0_E_clISt17integral_constantIbLb1EES1O_IbLb0EEEEDaS1K_S1L_EUlS1K_E_NS1_11comp_targetILNS1_3genE10ELNS1_11target_archE1200ELNS1_3gpuE4ELNS1_3repE0EEENS1_30default_config_static_selectorELNS0_4arch9wavefront6targetE1EEEvSY_.numbered_sgpr, 0
	.set _ZN7rocprim17ROCPRIM_400000_NS6detail17trampoline_kernelINS0_13select_configILj256ELj13ELNS0_17block_load_methodE3ELS4_3ELS4_3ELNS0_20block_scan_algorithmE0ELj4294967295EEENS1_25partition_config_selectorILNS1_17partition_subalgoE3EjNS0_10empty_typeEbEEZZNS1_14partition_implILS8_3ELb0ES6_jNS0_17counting_iteratorIjlEEPS9_SE_NS0_5tupleIJPjSE_EEENSF_IJSE_SE_EEES9_SG_JZNS1_25segmented_radix_sort_implINS0_14default_configELb0EPKsPsPKlPlN2at6native12_GLOBAL__N_18offset_tEEE10hipError_tPvRmT1_PNSt15iterator_traitsISY_E10value_typeET2_T3_PNSZ_IS14_E10value_typeET4_jRbjT5_S1A_jjP12ihipStream_tbEUljE_EEESV_SW_SX_S14_S18_S1A_T6_T7_T9_mT8_S1C_bDpT10_ENKUlT_T0_E_clISt17integral_constantIbLb1EES1O_IbLb0EEEEDaS1K_S1L_EUlS1K_E_NS1_11comp_targetILNS1_3genE10ELNS1_11target_archE1200ELNS1_3gpuE4ELNS1_3repE0EEENS1_30default_config_static_selectorELNS0_4arch9wavefront6targetE1EEEvSY_.num_named_barrier, 0
	.set _ZN7rocprim17ROCPRIM_400000_NS6detail17trampoline_kernelINS0_13select_configILj256ELj13ELNS0_17block_load_methodE3ELS4_3ELS4_3ELNS0_20block_scan_algorithmE0ELj4294967295EEENS1_25partition_config_selectorILNS1_17partition_subalgoE3EjNS0_10empty_typeEbEEZZNS1_14partition_implILS8_3ELb0ES6_jNS0_17counting_iteratorIjlEEPS9_SE_NS0_5tupleIJPjSE_EEENSF_IJSE_SE_EEES9_SG_JZNS1_25segmented_radix_sort_implINS0_14default_configELb0EPKsPsPKlPlN2at6native12_GLOBAL__N_18offset_tEEE10hipError_tPvRmT1_PNSt15iterator_traitsISY_E10value_typeET2_T3_PNSZ_IS14_E10value_typeET4_jRbjT5_S1A_jjP12ihipStream_tbEUljE_EEESV_SW_SX_S14_S18_S1A_T6_T7_T9_mT8_S1C_bDpT10_ENKUlT_T0_E_clISt17integral_constantIbLb1EES1O_IbLb0EEEEDaS1K_S1L_EUlS1K_E_NS1_11comp_targetILNS1_3genE10ELNS1_11target_archE1200ELNS1_3gpuE4ELNS1_3repE0EEENS1_30default_config_static_selectorELNS0_4arch9wavefront6targetE1EEEvSY_.private_seg_size, 0
	.set _ZN7rocprim17ROCPRIM_400000_NS6detail17trampoline_kernelINS0_13select_configILj256ELj13ELNS0_17block_load_methodE3ELS4_3ELS4_3ELNS0_20block_scan_algorithmE0ELj4294967295EEENS1_25partition_config_selectorILNS1_17partition_subalgoE3EjNS0_10empty_typeEbEEZZNS1_14partition_implILS8_3ELb0ES6_jNS0_17counting_iteratorIjlEEPS9_SE_NS0_5tupleIJPjSE_EEENSF_IJSE_SE_EEES9_SG_JZNS1_25segmented_radix_sort_implINS0_14default_configELb0EPKsPsPKlPlN2at6native12_GLOBAL__N_18offset_tEEE10hipError_tPvRmT1_PNSt15iterator_traitsISY_E10value_typeET2_T3_PNSZ_IS14_E10value_typeET4_jRbjT5_S1A_jjP12ihipStream_tbEUljE_EEESV_SW_SX_S14_S18_S1A_T6_T7_T9_mT8_S1C_bDpT10_ENKUlT_T0_E_clISt17integral_constantIbLb1EES1O_IbLb0EEEEDaS1K_S1L_EUlS1K_E_NS1_11comp_targetILNS1_3genE10ELNS1_11target_archE1200ELNS1_3gpuE4ELNS1_3repE0EEENS1_30default_config_static_selectorELNS0_4arch9wavefront6targetE1EEEvSY_.uses_vcc, 0
	.set _ZN7rocprim17ROCPRIM_400000_NS6detail17trampoline_kernelINS0_13select_configILj256ELj13ELNS0_17block_load_methodE3ELS4_3ELS4_3ELNS0_20block_scan_algorithmE0ELj4294967295EEENS1_25partition_config_selectorILNS1_17partition_subalgoE3EjNS0_10empty_typeEbEEZZNS1_14partition_implILS8_3ELb0ES6_jNS0_17counting_iteratorIjlEEPS9_SE_NS0_5tupleIJPjSE_EEENSF_IJSE_SE_EEES9_SG_JZNS1_25segmented_radix_sort_implINS0_14default_configELb0EPKsPsPKlPlN2at6native12_GLOBAL__N_18offset_tEEE10hipError_tPvRmT1_PNSt15iterator_traitsISY_E10value_typeET2_T3_PNSZ_IS14_E10value_typeET4_jRbjT5_S1A_jjP12ihipStream_tbEUljE_EEESV_SW_SX_S14_S18_S1A_T6_T7_T9_mT8_S1C_bDpT10_ENKUlT_T0_E_clISt17integral_constantIbLb1EES1O_IbLb0EEEEDaS1K_S1L_EUlS1K_E_NS1_11comp_targetILNS1_3genE10ELNS1_11target_archE1200ELNS1_3gpuE4ELNS1_3repE0EEENS1_30default_config_static_selectorELNS0_4arch9wavefront6targetE1EEEvSY_.uses_flat_scratch, 0
	.set _ZN7rocprim17ROCPRIM_400000_NS6detail17trampoline_kernelINS0_13select_configILj256ELj13ELNS0_17block_load_methodE3ELS4_3ELS4_3ELNS0_20block_scan_algorithmE0ELj4294967295EEENS1_25partition_config_selectorILNS1_17partition_subalgoE3EjNS0_10empty_typeEbEEZZNS1_14partition_implILS8_3ELb0ES6_jNS0_17counting_iteratorIjlEEPS9_SE_NS0_5tupleIJPjSE_EEENSF_IJSE_SE_EEES9_SG_JZNS1_25segmented_radix_sort_implINS0_14default_configELb0EPKsPsPKlPlN2at6native12_GLOBAL__N_18offset_tEEE10hipError_tPvRmT1_PNSt15iterator_traitsISY_E10value_typeET2_T3_PNSZ_IS14_E10value_typeET4_jRbjT5_S1A_jjP12ihipStream_tbEUljE_EEESV_SW_SX_S14_S18_S1A_T6_T7_T9_mT8_S1C_bDpT10_ENKUlT_T0_E_clISt17integral_constantIbLb1EES1O_IbLb0EEEEDaS1K_S1L_EUlS1K_E_NS1_11comp_targetILNS1_3genE10ELNS1_11target_archE1200ELNS1_3gpuE4ELNS1_3repE0EEENS1_30default_config_static_selectorELNS0_4arch9wavefront6targetE1EEEvSY_.has_dyn_sized_stack, 0
	.set _ZN7rocprim17ROCPRIM_400000_NS6detail17trampoline_kernelINS0_13select_configILj256ELj13ELNS0_17block_load_methodE3ELS4_3ELS4_3ELNS0_20block_scan_algorithmE0ELj4294967295EEENS1_25partition_config_selectorILNS1_17partition_subalgoE3EjNS0_10empty_typeEbEEZZNS1_14partition_implILS8_3ELb0ES6_jNS0_17counting_iteratorIjlEEPS9_SE_NS0_5tupleIJPjSE_EEENSF_IJSE_SE_EEES9_SG_JZNS1_25segmented_radix_sort_implINS0_14default_configELb0EPKsPsPKlPlN2at6native12_GLOBAL__N_18offset_tEEE10hipError_tPvRmT1_PNSt15iterator_traitsISY_E10value_typeET2_T3_PNSZ_IS14_E10value_typeET4_jRbjT5_S1A_jjP12ihipStream_tbEUljE_EEESV_SW_SX_S14_S18_S1A_T6_T7_T9_mT8_S1C_bDpT10_ENKUlT_T0_E_clISt17integral_constantIbLb1EES1O_IbLb0EEEEDaS1K_S1L_EUlS1K_E_NS1_11comp_targetILNS1_3genE10ELNS1_11target_archE1200ELNS1_3gpuE4ELNS1_3repE0EEENS1_30default_config_static_selectorELNS0_4arch9wavefront6targetE1EEEvSY_.has_recursion, 0
	.set _ZN7rocprim17ROCPRIM_400000_NS6detail17trampoline_kernelINS0_13select_configILj256ELj13ELNS0_17block_load_methodE3ELS4_3ELS4_3ELNS0_20block_scan_algorithmE0ELj4294967295EEENS1_25partition_config_selectorILNS1_17partition_subalgoE3EjNS0_10empty_typeEbEEZZNS1_14partition_implILS8_3ELb0ES6_jNS0_17counting_iteratorIjlEEPS9_SE_NS0_5tupleIJPjSE_EEENSF_IJSE_SE_EEES9_SG_JZNS1_25segmented_radix_sort_implINS0_14default_configELb0EPKsPsPKlPlN2at6native12_GLOBAL__N_18offset_tEEE10hipError_tPvRmT1_PNSt15iterator_traitsISY_E10value_typeET2_T3_PNSZ_IS14_E10value_typeET4_jRbjT5_S1A_jjP12ihipStream_tbEUljE_EEESV_SW_SX_S14_S18_S1A_T6_T7_T9_mT8_S1C_bDpT10_ENKUlT_T0_E_clISt17integral_constantIbLb1EES1O_IbLb0EEEEDaS1K_S1L_EUlS1K_E_NS1_11comp_targetILNS1_3genE10ELNS1_11target_archE1200ELNS1_3gpuE4ELNS1_3repE0EEENS1_30default_config_static_selectorELNS0_4arch9wavefront6targetE1EEEvSY_.has_indirect_call, 0
	.section	.AMDGPU.csdata,"",@progbits
; Kernel info:
; codeLenInByte = 0
; TotalNumSgprs: 4
; NumVgprs: 0
; ScratchSize: 0
; MemoryBound: 0
; FloatMode: 240
; IeeeMode: 1
; LDSByteSize: 0 bytes/workgroup (compile time only)
; SGPRBlocks: 0
; VGPRBlocks: 0
; NumSGPRsForWavesPerEU: 4
; NumVGPRsForWavesPerEU: 1
; Occupancy: 10
; WaveLimiterHint : 0
; COMPUTE_PGM_RSRC2:SCRATCH_EN: 0
; COMPUTE_PGM_RSRC2:USER_SGPR: 6
; COMPUTE_PGM_RSRC2:TRAP_HANDLER: 0
; COMPUTE_PGM_RSRC2:TGID_X_EN: 1
; COMPUTE_PGM_RSRC2:TGID_Y_EN: 0
; COMPUTE_PGM_RSRC2:TGID_Z_EN: 0
; COMPUTE_PGM_RSRC2:TIDIG_COMP_CNT: 0
	.section	.text._ZN7rocprim17ROCPRIM_400000_NS6detail17trampoline_kernelINS0_13select_configILj256ELj13ELNS0_17block_load_methodE3ELS4_3ELS4_3ELNS0_20block_scan_algorithmE0ELj4294967295EEENS1_25partition_config_selectorILNS1_17partition_subalgoE3EjNS0_10empty_typeEbEEZZNS1_14partition_implILS8_3ELb0ES6_jNS0_17counting_iteratorIjlEEPS9_SE_NS0_5tupleIJPjSE_EEENSF_IJSE_SE_EEES9_SG_JZNS1_25segmented_radix_sort_implINS0_14default_configELb0EPKsPsPKlPlN2at6native12_GLOBAL__N_18offset_tEEE10hipError_tPvRmT1_PNSt15iterator_traitsISY_E10value_typeET2_T3_PNSZ_IS14_E10value_typeET4_jRbjT5_S1A_jjP12ihipStream_tbEUljE_EEESV_SW_SX_S14_S18_S1A_T6_T7_T9_mT8_S1C_bDpT10_ENKUlT_T0_E_clISt17integral_constantIbLb1EES1O_IbLb0EEEEDaS1K_S1L_EUlS1K_E_NS1_11comp_targetILNS1_3genE9ELNS1_11target_archE1100ELNS1_3gpuE3ELNS1_3repE0EEENS1_30default_config_static_selectorELNS0_4arch9wavefront6targetE1EEEvSY_,"axG",@progbits,_ZN7rocprim17ROCPRIM_400000_NS6detail17trampoline_kernelINS0_13select_configILj256ELj13ELNS0_17block_load_methodE3ELS4_3ELS4_3ELNS0_20block_scan_algorithmE0ELj4294967295EEENS1_25partition_config_selectorILNS1_17partition_subalgoE3EjNS0_10empty_typeEbEEZZNS1_14partition_implILS8_3ELb0ES6_jNS0_17counting_iteratorIjlEEPS9_SE_NS0_5tupleIJPjSE_EEENSF_IJSE_SE_EEES9_SG_JZNS1_25segmented_radix_sort_implINS0_14default_configELb0EPKsPsPKlPlN2at6native12_GLOBAL__N_18offset_tEEE10hipError_tPvRmT1_PNSt15iterator_traitsISY_E10value_typeET2_T3_PNSZ_IS14_E10value_typeET4_jRbjT5_S1A_jjP12ihipStream_tbEUljE_EEESV_SW_SX_S14_S18_S1A_T6_T7_T9_mT8_S1C_bDpT10_ENKUlT_T0_E_clISt17integral_constantIbLb1EES1O_IbLb0EEEEDaS1K_S1L_EUlS1K_E_NS1_11comp_targetILNS1_3genE9ELNS1_11target_archE1100ELNS1_3gpuE3ELNS1_3repE0EEENS1_30default_config_static_selectorELNS0_4arch9wavefront6targetE1EEEvSY_,comdat
	.globl	_ZN7rocprim17ROCPRIM_400000_NS6detail17trampoline_kernelINS0_13select_configILj256ELj13ELNS0_17block_load_methodE3ELS4_3ELS4_3ELNS0_20block_scan_algorithmE0ELj4294967295EEENS1_25partition_config_selectorILNS1_17partition_subalgoE3EjNS0_10empty_typeEbEEZZNS1_14partition_implILS8_3ELb0ES6_jNS0_17counting_iteratorIjlEEPS9_SE_NS0_5tupleIJPjSE_EEENSF_IJSE_SE_EEES9_SG_JZNS1_25segmented_radix_sort_implINS0_14default_configELb0EPKsPsPKlPlN2at6native12_GLOBAL__N_18offset_tEEE10hipError_tPvRmT1_PNSt15iterator_traitsISY_E10value_typeET2_T3_PNSZ_IS14_E10value_typeET4_jRbjT5_S1A_jjP12ihipStream_tbEUljE_EEESV_SW_SX_S14_S18_S1A_T6_T7_T9_mT8_S1C_bDpT10_ENKUlT_T0_E_clISt17integral_constantIbLb1EES1O_IbLb0EEEEDaS1K_S1L_EUlS1K_E_NS1_11comp_targetILNS1_3genE9ELNS1_11target_archE1100ELNS1_3gpuE3ELNS1_3repE0EEENS1_30default_config_static_selectorELNS0_4arch9wavefront6targetE1EEEvSY_ ; -- Begin function _ZN7rocprim17ROCPRIM_400000_NS6detail17trampoline_kernelINS0_13select_configILj256ELj13ELNS0_17block_load_methodE3ELS4_3ELS4_3ELNS0_20block_scan_algorithmE0ELj4294967295EEENS1_25partition_config_selectorILNS1_17partition_subalgoE3EjNS0_10empty_typeEbEEZZNS1_14partition_implILS8_3ELb0ES6_jNS0_17counting_iteratorIjlEEPS9_SE_NS0_5tupleIJPjSE_EEENSF_IJSE_SE_EEES9_SG_JZNS1_25segmented_radix_sort_implINS0_14default_configELb0EPKsPsPKlPlN2at6native12_GLOBAL__N_18offset_tEEE10hipError_tPvRmT1_PNSt15iterator_traitsISY_E10value_typeET2_T3_PNSZ_IS14_E10value_typeET4_jRbjT5_S1A_jjP12ihipStream_tbEUljE_EEESV_SW_SX_S14_S18_S1A_T6_T7_T9_mT8_S1C_bDpT10_ENKUlT_T0_E_clISt17integral_constantIbLb1EES1O_IbLb0EEEEDaS1K_S1L_EUlS1K_E_NS1_11comp_targetILNS1_3genE9ELNS1_11target_archE1100ELNS1_3gpuE3ELNS1_3repE0EEENS1_30default_config_static_selectorELNS0_4arch9wavefront6targetE1EEEvSY_
	.p2align	8
	.type	_ZN7rocprim17ROCPRIM_400000_NS6detail17trampoline_kernelINS0_13select_configILj256ELj13ELNS0_17block_load_methodE3ELS4_3ELS4_3ELNS0_20block_scan_algorithmE0ELj4294967295EEENS1_25partition_config_selectorILNS1_17partition_subalgoE3EjNS0_10empty_typeEbEEZZNS1_14partition_implILS8_3ELb0ES6_jNS0_17counting_iteratorIjlEEPS9_SE_NS0_5tupleIJPjSE_EEENSF_IJSE_SE_EEES9_SG_JZNS1_25segmented_radix_sort_implINS0_14default_configELb0EPKsPsPKlPlN2at6native12_GLOBAL__N_18offset_tEEE10hipError_tPvRmT1_PNSt15iterator_traitsISY_E10value_typeET2_T3_PNSZ_IS14_E10value_typeET4_jRbjT5_S1A_jjP12ihipStream_tbEUljE_EEESV_SW_SX_S14_S18_S1A_T6_T7_T9_mT8_S1C_bDpT10_ENKUlT_T0_E_clISt17integral_constantIbLb1EES1O_IbLb0EEEEDaS1K_S1L_EUlS1K_E_NS1_11comp_targetILNS1_3genE9ELNS1_11target_archE1100ELNS1_3gpuE3ELNS1_3repE0EEENS1_30default_config_static_selectorELNS0_4arch9wavefront6targetE1EEEvSY_,@function
_ZN7rocprim17ROCPRIM_400000_NS6detail17trampoline_kernelINS0_13select_configILj256ELj13ELNS0_17block_load_methodE3ELS4_3ELS4_3ELNS0_20block_scan_algorithmE0ELj4294967295EEENS1_25partition_config_selectorILNS1_17partition_subalgoE3EjNS0_10empty_typeEbEEZZNS1_14partition_implILS8_3ELb0ES6_jNS0_17counting_iteratorIjlEEPS9_SE_NS0_5tupleIJPjSE_EEENSF_IJSE_SE_EEES9_SG_JZNS1_25segmented_radix_sort_implINS0_14default_configELb0EPKsPsPKlPlN2at6native12_GLOBAL__N_18offset_tEEE10hipError_tPvRmT1_PNSt15iterator_traitsISY_E10value_typeET2_T3_PNSZ_IS14_E10value_typeET4_jRbjT5_S1A_jjP12ihipStream_tbEUljE_EEESV_SW_SX_S14_S18_S1A_T6_T7_T9_mT8_S1C_bDpT10_ENKUlT_T0_E_clISt17integral_constantIbLb1EES1O_IbLb0EEEEDaS1K_S1L_EUlS1K_E_NS1_11comp_targetILNS1_3genE9ELNS1_11target_archE1100ELNS1_3gpuE3ELNS1_3repE0EEENS1_30default_config_static_selectorELNS0_4arch9wavefront6targetE1EEEvSY_: ; @_ZN7rocprim17ROCPRIM_400000_NS6detail17trampoline_kernelINS0_13select_configILj256ELj13ELNS0_17block_load_methodE3ELS4_3ELS4_3ELNS0_20block_scan_algorithmE0ELj4294967295EEENS1_25partition_config_selectorILNS1_17partition_subalgoE3EjNS0_10empty_typeEbEEZZNS1_14partition_implILS8_3ELb0ES6_jNS0_17counting_iteratorIjlEEPS9_SE_NS0_5tupleIJPjSE_EEENSF_IJSE_SE_EEES9_SG_JZNS1_25segmented_radix_sort_implINS0_14default_configELb0EPKsPsPKlPlN2at6native12_GLOBAL__N_18offset_tEEE10hipError_tPvRmT1_PNSt15iterator_traitsISY_E10value_typeET2_T3_PNSZ_IS14_E10value_typeET4_jRbjT5_S1A_jjP12ihipStream_tbEUljE_EEESV_SW_SX_S14_S18_S1A_T6_T7_T9_mT8_S1C_bDpT10_ENKUlT_T0_E_clISt17integral_constantIbLb1EES1O_IbLb0EEEEDaS1K_S1L_EUlS1K_E_NS1_11comp_targetILNS1_3genE9ELNS1_11target_archE1100ELNS1_3gpuE3ELNS1_3repE0EEENS1_30default_config_static_selectorELNS0_4arch9wavefront6targetE1EEEvSY_
; %bb.0:
	.section	.rodata,"a",@progbits
	.p2align	6, 0x0
	.amdhsa_kernel _ZN7rocprim17ROCPRIM_400000_NS6detail17trampoline_kernelINS0_13select_configILj256ELj13ELNS0_17block_load_methodE3ELS4_3ELS4_3ELNS0_20block_scan_algorithmE0ELj4294967295EEENS1_25partition_config_selectorILNS1_17partition_subalgoE3EjNS0_10empty_typeEbEEZZNS1_14partition_implILS8_3ELb0ES6_jNS0_17counting_iteratorIjlEEPS9_SE_NS0_5tupleIJPjSE_EEENSF_IJSE_SE_EEES9_SG_JZNS1_25segmented_radix_sort_implINS0_14default_configELb0EPKsPsPKlPlN2at6native12_GLOBAL__N_18offset_tEEE10hipError_tPvRmT1_PNSt15iterator_traitsISY_E10value_typeET2_T3_PNSZ_IS14_E10value_typeET4_jRbjT5_S1A_jjP12ihipStream_tbEUljE_EEESV_SW_SX_S14_S18_S1A_T6_T7_T9_mT8_S1C_bDpT10_ENKUlT_T0_E_clISt17integral_constantIbLb1EES1O_IbLb0EEEEDaS1K_S1L_EUlS1K_E_NS1_11comp_targetILNS1_3genE9ELNS1_11target_archE1100ELNS1_3gpuE3ELNS1_3repE0EEENS1_30default_config_static_selectorELNS0_4arch9wavefront6targetE1EEEvSY_
		.amdhsa_group_segment_fixed_size 0
		.amdhsa_private_segment_fixed_size 0
		.amdhsa_kernarg_size 144
		.amdhsa_user_sgpr_count 6
		.amdhsa_user_sgpr_private_segment_buffer 1
		.amdhsa_user_sgpr_dispatch_ptr 0
		.amdhsa_user_sgpr_queue_ptr 0
		.amdhsa_user_sgpr_kernarg_segment_ptr 1
		.amdhsa_user_sgpr_dispatch_id 0
		.amdhsa_user_sgpr_flat_scratch_init 0
		.amdhsa_user_sgpr_private_segment_size 0
		.amdhsa_uses_dynamic_stack 0
		.amdhsa_system_sgpr_private_segment_wavefront_offset 0
		.amdhsa_system_sgpr_workgroup_id_x 1
		.amdhsa_system_sgpr_workgroup_id_y 0
		.amdhsa_system_sgpr_workgroup_id_z 0
		.amdhsa_system_sgpr_workgroup_info 0
		.amdhsa_system_vgpr_workitem_id 0
		.amdhsa_next_free_vgpr 1
		.amdhsa_next_free_sgpr 0
		.amdhsa_reserve_vcc 0
		.amdhsa_reserve_flat_scratch 0
		.amdhsa_float_round_mode_32 0
		.amdhsa_float_round_mode_16_64 0
		.amdhsa_float_denorm_mode_32 3
		.amdhsa_float_denorm_mode_16_64 3
		.amdhsa_dx10_clamp 1
		.amdhsa_ieee_mode 1
		.amdhsa_fp16_overflow 0
		.amdhsa_exception_fp_ieee_invalid_op 0
		.amdhsa_exception_fp_denorm_src 0
		.amdhsa_exception_fp_ieee_div_zero 0
		.amdhsa_exception_fp_ieee_overflow 0
		.amdhsa_exception_fp_ieee_underflow 0
		.amdhsa_exception_fp_ieee_inexact 0
		.amdhsa_exception_int_div_zero 0
	.end_amdhsa_kernel
	.section	.text._ZN7rocprim17ROCPRIM_400000_NS6detail17trampoline_kernelINS0_13select_configILj256ELj13ELNS0_17block_load_methodE3ELS4_3ELS4_3ELNS0_20block_scan_algorithmE0ELj4294967295EEENS1_25partition_config_selectorILNS1_17partition_subalgoE3EjNS0_10empty_typeEbEEZZNS1_14partition_implILS8_3ELb0ES6_jNS0_17counting_iteratorIjlEEPS9_SE_NS0_5tupleIJPjSE_EEENSF_IJSE_SE_EEES9_SG_JZNS1_25segmented_radix_sort_implINS0_14default_configELb0EPKsPsPKlPlN2at6native12_GLOBAL__N_18offset_tEEE10hipError_tPvRmT1_PNSt15iterator_traitsISY_E10value_typeET2_T3_PNSZ_IS14_E10value_typeET4_jRbjT5_S1A_jjP12ihipStream_tbEUljE_EEESV_SW_SX_S14_S18_S1A_T6_T7_T9_mT8_S1C_bDpT10_ENKUlT_T0_E_clISt17integral_constantIbLb1EES1O_IbLb0EEEEDaS1K_S1L_EUlS1K_E_NS1_11comp_targetILNS1_3genE9ELNS1_11target_archE1100ELNS1_3gpuE3ELNS1_3repE0EEENS1_30default_config_static_selectorELNS0_4arch9wavefront6targetE1EEEvSY_,"axG",@progbits,_ZN7rocprim17ROCPRIM_400000_NS6detail17trampoline_kernelINS0_13select_configILj256ELj13ELNS0_17block_load_methodE3ELS4_3ELS4_3ELNS0_20block_scan_algorithmE0ELj4294967295EEENS1_25partition_config_selectorILNS1_17partition_subalgoE3EjNS0_10empty_typeEbEEZZNS1_14partition_implILS8_3ELb0ES6_jNS0_17counting_iteratorIjlEEPS9_SE_NS0_5tupleIJPjSE_EEENSF_IJSE_SE_EEES9_SG_JZNS1_25segmented_radix_sort_implINS0_14default_configELb0EPKsPsPKlPlN2at6native12_GLOBAL__N_18offset_tEEE10hipError_tPvRmT1_PNSt15iterator_traitsISY_E10value_typeET2_T3_PNSZ_IS14_E10value_typeET4_jRbjT5_S1A_jjP12ihipStream_tbEUljE_EEESV_SW_SX_S14_S18_S1A_T6_T7_T9_mT8_S1C_bDpT10_ENKUlT_T0_E_clISt17integral_constantIbLb1EES1O_IbLb0EEEEDaS1K_S1L_EUlS1K_E_NS1_11comp_targetILNS1_3genE9ELNS1_11target_archE1100ELNS1_3gpuE3ELNS1_3repE0EEENS1_30default_config_static_selectorELNS0_4arch9wavefront6targetE1EEEvSY_,comdat
.Lfunc_end1004:
	.size	_ZN7rocprim17ROCPRIM_400000_NS6detail17trampoline_kernelINS0_13select_configILj256ELj13ELNS0_17block_load_methodE3ELS4_3ELS4_3ELNS0_20block_scan_algorithmE0ELj4294967295EEENS1_25partition_config_selectorILNS1_17partition_subalgoE3EjNS0_10empty_typeEbEEZZNS1_14partition_implILS8_3ELb0ES6_jNS0_17counting_iteratorIjlEEPS9_SE_NS0_5tupleIJPjSE_EEENSF_IJSE_SE_EEES9_SG_JZNS1_25segmented_radix_sort_implINS0_14default_configELb0EPKsPsPKlPlN2at6native12_GLOBAL__N_18offset_tEEE10hipError_tPvRmT1_PNSt15iterator_traitsISY_E10value_typeET2_T3_PNSZ_IS14_E10value_typeET4_jRbjT5_S1A_jjP12ihipStream_tbEUljE_EEESV_SW_SX_S14_S18_S1A_T6_T7_T9_mT8_S1C_bDpT10_ENKUlT_T0_E_clISt17integral_constantIbLb1EES1O_IbLb0EEEEDaS1K_S1L_EUlS1K_E_NS1_11comp_targetILNS1_3genE9ELNS1_11target_archE1100ELNS1_3gpuE3ELNS1_3repE0EEENS1_30default_config_static_selectorELNS0_4arch9wavefront6targetE1EEEvSY_, .Lfunc_end1004-_ZN7rocprim17ROCPRIM_400000_NS6detail17trampoline_kernelINS0_13select_configILj256ELj13ELNS0_17block_load_methodE3ELS4_3ELS4_3ELNS0_20block_scan_algorithmE0ELj4294967295EEENS1_25partition_config_selectorILNS1_17partition_subalgoE3EjNS0_10empty_typeEbEEZZNS1_14partition_implILS8_3ELb0ES6_jNS0_17counting_iteratorIjlEEPS9_SE_NS0_5tupleIJPjSE_EEENSF_IJSE_SE_EEES9_SG_JZNS1_25segmented_radix_sort_implINS0_14default_configELb0EPKsPsPKlPlN2at6native12_GLOBAL__N_18offset_tEEE10hipError_tPvRmT1_PNSt15iterator_traitsISY_E10value_typeET2_T3_PNSZ_IS14_E10value_typeET4_jRbjT5_S1A_jjP12ihipStream_tbEUljE_EEESV_SW_SX_S14_S18_S1A_T6_T7_T9_mT8_S1C_bDpT10_ENKUlT_T0_E_clISt17integral_constantIbLb1EES1O_IbLb0EEEEDaS1K_S1L_EUlS1K_E_NS1_11comp_targetILNS1_3genE9ELNS1_11target_archE1100ELNS1_3gpuE3ELNS1_3repE0EEENS1_30default_config_static_selectorELNS0_4arch9wavefront6targetE1EEEvSY_
                                        ; -- End function
	.set _ZN7rocprim17ROCPRIM_400000_NS6detail17trampoline_kernelINS0_13select_configILj256ELj13ELNS0_17block_load_methodE3ELS4_3ELS4_3ELNS0_20block_scan_algorithmE0ELj4294967295EEENS1_25partition_config_selectorILNS1_17partition_subalgoE3EjNS0_10empty_typeEbEEZZNS1_14partition_implILS8_3ELb0ES6_jNS0_17counting_iteratorIjlEEPS9_SE_NS0_5tupleIJPjSE_EEENSF_IJSE_SE_EEES9_SG_JZNS1_25segmented_radix_sort_implINS0_14default_configELb0EPKsPsPKlPlN2at6native12_GLOBAL__N_18offset_tEEE10hipError_tPvRmT1_PNSt15iterator_traitsISY_E10value_typeET2_T3_PNSZ_IS14_E10value_typeET4_jRbjT5_S1A_jjP12ihipStream_tbEUljE_EEESV_SW_SX_S14_S18_S1A_T6_T7_T9_mT8_S1C_bDpT10_ENKUlT_T0_E_clISt17integral_constantIbLb1EES1O_IbLb0EEEEDaS1K_S1L_EUlS1K_E_NS1_11comp_targetILNS1_3genE9ELNS1_11target_archE1100ELNS1_3gpuE3ELNS1_3repE0EEENS1_30default_config_static_selectorELNS0_4arch9wavefront6targetE1EEEvSY_.num_vgpr, 0
	.set _ZN7rocprim17ROCPRIM_400000_NS6detail17trampoline_kernelINS0_13select_configILj256ELj13ELNS0_17block_load_methodE3ELS4_3ELS4_3ELNS0_20block_scan_algorithmE0ELj4294967295EEENS1_25partition_config_selectorILNS1_17partition_subalgoE3EjNS0_10empty_typeEbEEZZNS1_14partition_implILS8_3ELb0ES6_jNS0_17counting_iteratorIjlEEPS9_SE_NS0_5tupleIJPjSE_EEENSF_IJSE_SE_EEES9_SG_JZNS1_25segmented_radix_sort_implINS0_14default_configELb0EPKsPsPKlPlN2at6native12_GLOBAL__N_18offset_tEEE10hipError_tPvRmT1_PNSt15iterator_traitsISY_E10value_typeET2_T3_PNSZ_IS14_E10value_typeET4_jRbjT5_S1A_jjP12ihipStream_tbEUljE_EEESV_SW_SX_S14_S18_S1A_T6_T7_T9_mT8_S1C_bDpT10_ENKUlT_T0_E_clISt17integral_constantIbLb1EES1O_IbLb0EEEEDaS1K_S1L_EUlS1K_E_NS1_11comp_targetILNS1_3genE9ELNS1_11target_archE1100ELNS1_3gpuE3ELNS1_3repE0EEENS1_30default_config_static_selectorELNS0_4arch9wavefront6targetE1EEEvSY_.num_agpr, 0
	.set _ZN7rocprim17ROCPRIM_400000_NS6detail17trampoline_kernelINS0_13select_configILj256ELj13ELNS0_17block_load_methodE3ELS4_3ELS4_3ELNS0_20block_scan_algorithmE0ELj4294967295EEENS1_25partition_config_selectorILNS1_17partition_subalgoE3EjNS0_10empty_typeEbEEZZNS1_14partition_implILS8_3ELb0ES6_jNS0_17counting_iteratorIjlEEPS9_SE_NS0_5tupleIJPjSE_EEENSF_IJSE_SE_EEES9_SG_JZNS1_25segmented_radix_sort_implINS0_14default_configELb0EPKsPsPKlPlN2at6native12_GLOBAL__N_18offset_tEEE10hipError_tPvRmT1_PNSt15iterator_traitsISY_E10value_typeET2_T3_PNSZ_IS14_E10value_typeET4_jRbjT5_S1A_jjP12ihipStream_tbEUljE_EEESV_SW_SX_S14_S18_S1A_T6_T7_T9_mT8_S1C_bDpT10_ENKUlT_T0_E_clISt17integral_constantIbLb1EES1O_IbLb0EEEEDaS1K_S1L_EUlS1K_E_NS1_11comp_targetILNS1_3genE9ELNS1_11target_archE1100ELNS1_3gpuE3ELNS1_3repE0EEENS1_30default_config_static_selectorELNS0_4arch9wavefront6targetE1EEEvSY_.numbered_sgpr, 0
	.set _ZN7rocprim17ROCPRIM_400000_NS6detail17trampoline_kernelINS0_13select_configILj256ELj13ELNS0_17block_load_methodE3ELS4_3ELS4_3ELNS0_20block_scan_algorithmE0ELj4294967295EEENS1_25partition_config_selectorILNS1_17partition_subalgoE3EjNS0_10empty_typeEbEEZZNS1_14partition_implILS8_3ELb0ES6_jNS0_17counting_iteratorIjlEEPS9_SE_NS0_5tupleIJPjSE_EEENSF_IJSE_SE_EEES9_SG_JZNS1_25segmented_radix_sort_implINS0_14default_configELb0EPKsPsPKlPlN2at6native12_GLOBAL__N_18offset_tEEE10hipError_tPvRmT1_PNSt15iterator_traitsISY_E10value_typeET2_T3_PNSZ_IS14_E10value_typeET4_jRbjT5_S1A_jjP12ihipStream_tbEUljE_EEESV_SW_SX_S14_S18_S1A_T6_T7_T9_mT8_S1C_bDpT10_ENKUlT_T0_E_clISt17integral_constantIbLb1EES1O_IbLb0EEEEDaS1K_S1L_EUlS1K_E_NS1_11comp_targetILNS1_3genE9ELNS1_11target_archE1100ELNS1_3gpuE3ELNS1_3repE0EEENS1_30default_config_static_selectorELNS0_4arch9wavefront6targetE1EEEvSY_.num_named_barrier, 0
	.set _ZN7rocprim17ROCPRIM_400000_NS6detail17trampoline_kernelINS0_13select_configILj256ELj13ELNS0_17block_load_methodE3ELS4_3ELS4_3ELNS0_20block_scan_algorithmE0ELj4294967295EEENS1_25partition_config_selectorILNS1_17partition_subalgoE3EjNS0_10empty_typeEbEEZZNS1_14partition_implILS8_3ELb0ES6_jNS0_17counting_iteratorIjlEEPS9_SE_NS0_5tupleIJPjSE_EEENSF_IJSE_SE_EEES9_SG_JZNS1_25segmented_radix_sort_implINS0_14default_configELb0EPKsPsPKlPlN2at6native12_GLOBAL__N_18offset_tEEE10hipError_tPvRmT1_PNSt15iterator_traitsISY_E10value_typeET2_T3_PNSZ_IS14_E10value_typeET4_jRbjT5_S1A_jjP12ihipStream_tbEUljE_EEESV_SW_SX_S14_S18_S1A_T6_T7_T9_mT8_S1C_bDpT10_ENKUlT_T0_E_clISt17integral_constantIbLb1EES1O_IbLb0EEEEDaS1K_S1L_EUlS1K_E_NS1_11comp_targetILNS1_3genE9ELNS1_11target_archE1100ELNS1_3gpuE3ELNS1_3repE0EEENS1_30default_config_static_selectorELNS0_4arch9wavefront6targetE1EEEvSY_.private_seg_size, 0
	.set _ZN7rocprim17ROCPRIM_400000_NS6detail17trampoline_kernelINS0_13select_configILj256ELj13ELNS0_17block_load_methodE3ELS4_3ELS4_3ELNS0_20block_scan_algorithmE0ELj4294967295EEENS1_25partition_config_selectorILNS1_17partition_subalgoE3EjNS0_10empty_typeEbEEZZNS1_14partition_implILS8_3ELb0ES6_jNS0_17counting_iteratorIjlEEPS9_SE_NS0_5tupleIJPjSE_EEENSF_IJSE_SE_EEES9_SG_JZNS1_25segmented_radix_sort_implINS0_14default_configELb0EPKsPsPKlPlN2at6native12_GLOBAL__N_18offset_tEEE10hipError_tPvRmT1_PNSt15iterator_traitsISY_E10value_typeET2_T3_PNSZ_IS14_E10value_typeET4_jRbjT5_S1A_jjP12ihipStream_tbEUljE_EEESV_SW_SX_S14_S18_S1A_T6_T7_T9_mT8_S1C_bDpT10_ENKUlT_T0_E_clISt17integral_constantIbLb1EES1O_IbLb0EEEEDaS1K_S1L_EUlS1K_E_NS1_11comp_targetILNS1_3genE9ELNS1_11target_archE1100ELNS1_3gpuE3ELNS1_3repE0EEENS1_30default_config_static_selectorELNS0_4arch9wavefront6targetE1EEEvSY_.uses_vcc, 0
	.set _ZN7rocprim17ROCPRIM_400000_NS6detail17trampoline_kernelINS0_13select_configILj256ELj13ELNS0_17block_load_methodE3ELS4_3ELS4_3ELNS0_20block_scan_algorithmE0ELj4294967295EEENS1_25partition_config_selectorILNS1_17partition_subalgoE3EjNS0_10empty_typeEbEEZZNS1_14partition_implILS8_3ELb0ES6_jNS0_17counting_iteratorIjlEEPS9_SE_NS0_5tupleIJPjSE_EEENSF_IJSE_SE_EEES9_SG_JZNS1_25segmented_radix_sort_implINS0_14default_configELb0EPKsPsPKlPlN2at6native12_GLOBAL__N_18offset_tEEE10hipError_tPvRmT1_PNSt15iterator_traitsISY_E10value_typeET2_T3_PNSZ_IS14_E10value_typeET4_jRbjT5_S1A_jjP12ihipStream_tbEUljE_EEESV_SW_SX_S14_S18_S1A_T6_T7_T9_mT8_S1C_bDpT10_ENKUlT_T0_E_clISt17integral_constantIbLb1EES1O_IbLb0EEEEDaS1K_S1L_EUlS1K_E_NS1_11comp_targetILNS1_3genE9ELNS1_11target_archE1100ELNS1_3gpuE3ELNS1_3repE0EEENS1_30default_config_static_selectorELNS0_4arch9wavefront6targetE1EEEvSY_.uses_flat_scratch, 0
	.set _ZN7rocprim17ROCPRIM_400000_NS6detail17trampoline_kernelINS0_13select_configILj256ELj13ELNS0_17block_load_methodE3ELS4_3ELS4_3ELNS0_20block_scan_algorithmE0ELj4294967295EEENS1_25partition_config_selectorILNS1_17partition_subalgoE3EjNS0_10empty_typeEbEEZZNS1_14partition_implILS8_3ELb0ES6_jNS0_17counting_iteratorIjlEEPS9_SE_NS0_5tupleIJPjSE_EEENSF_IJSE_SE_EEES9_SG_JZNS1_25segmented_radix_sort_implINS0_14default_configELb0EPKsPsPKlPlN2at6native12_GLOBAL__N_18offset_tEEE10hipError_tPvRmT1_PNSt15iterator_traitsISY_E10value_typeET2_T3_PNSZ_IS14_E10value_typeET4_jRbjT5_S1A_jjP12ihipStream_tbEUljE_EEESV_SW_SX_S14_S18_S1A_T6_T7_T9_mT8_S1C_bDpT10_ENKUlT_T0_E_clISt17integral_constantIbLb1EES1O_IbLb0EEEEDaS1K_S1L_EUlS1K_E_NS1_11comp_targetILNS1_3genE9ELNS1_11target_archE1100ELNS1_3gpuE3ELNS1_3repE0EEENS1_30default_config_static_selectorELNS0_4arch9wavefront6targetE1EEEvSY_.has_dyn_sized_stack, 0
	.set _ZN7rocprim17ROCPRIM_400000_NS6detail17trampoline_kernelINS0_13select_configILj256ELj13ELNS0_17block_load_methodE3ELS4_3ELS4_3ELNS0_20block_scan_algorithmE0ELj4294967295EEENS1_25partition_config_selectorILNS1_17partition_subalgoE3EjNS0_10empty_typeEbEEZZNS1_14partition_implILS8_3ELb0ES6_jNS0_17counting_iteratorIjlEEPS9_SE_NS0_5tupleIJPjSE_EEENSF_IJSE_SE_EEES9_SG_JZNS1_25segmented_radix_sort_implINS0_14default_configELb0EPKsPsPKlPlN2at6native12_GLOBAL__N_18offset_tEEE10hipError_tPvRmT1_PNSt15iterator_traitsISY_E10value_typeET2_T3_PNSZ_IS14_E10value_typeET4_jRbjT5_S1A_jjP12ihipStream_tbEUljE_EEESV_SW_SX_S14_S18_S1A_T6_T7_T9_mT8_S1C_bDpT10_ENKUlT_T0_E_clISt17integral_constantIbLb1EES1O_IbLb0EEEEDaS1K_S1L_EUlS1K_E_NS1_11comp_targetILNS1_3genE9ELNS1_11target_archE1100ELNS1_3gpuE3ELNS1_3repE0EEENS1_30default_config_static_selectorELNS0_4arch9wavefront6targetE1EEEvSY_.has_recursion, 0
	.set _ZN7rocprim17ROCPRIM_400000_NS6detail17trampoline_kernelINS0_13select_configILj256ELj13ELNS0_17block_load_methodE3ELS4_3ELS4_3ELNS0_20block_scan_algorithmE0ELj4294967295EEENS1_25partition_config_selectorILNS1_17partition_subalgoE3EjNS0_10empty_typeEbEEZZNS1_14partition_implILS8_3ELb0ES6_jNS0_17counting_iteratorIjlEEPS9_SE_NS0_5tupleIJPjSE_EEENSF_IJSE_SE_EEES9_SG_JZNS1_25segmented_radix_sort_implINS0_14default_configELb0EPKsPsPKlPlN2at6native12_GLOBAL__N_18offset_tEEE10hipError_tPvRmT1_PNSt15iterator_traitsISY_E10value_typeET2_T3_PNSZ_IS14_E10value_typeET4_jRbjT5_S1A_jjP12ihipStream_tbEUljE_EEESV_SW_SX_S14_S18_S1A_T6_T7_T9_mT8_S1C_bDpT10_ENKUlT_T0_E_clISt17integral_constantIbLb1EES1O_IbLb0EEEEDaS1K_S1L_EUlS1K_E_NS1_11comp_targetILNS1_3genE9ELNS1_11target_archE1100ELNS1_3gpuE3ELNS1_3repE0EEENS1_30default_config_static_selectorELNS0_4arch9wavefront6targetE1EEEvSY_.has_indirect_call, 0
	.section	.AMDGPU.csdata,"",@progbits
; Kernel info:
; codeLenInByte = 0
; TotalNumSgprs: 4
; NumVgprs: 0
; ScratchSize: 0
; MemoryBound: 0
; FloatMode: 240
; IeeeMode: 1
; LDSByteSize: 0 bytes/workgroup (compile time only)
; SGPRBlocks: 0
; VGPRBlocks: 0
; NumSGPRsForWavesPerEU: 4
; NumVGPRsForWavesPerEU: 1
; Occupancy: 10
; WaveLimiterHint : 0
; COMPUTE_PGM_RSRC2:SCRATCH_EN: 0
; COMPUTE_PGM_RSRC2:USER_SGPR: 6
; COMPUTE_PGM_RSRC2:TRAP_HANDLER: 0
; COMPUTE_PGM_RSRC2:TGID_X_EN: 1
; COMPUTE_PGM_RSRC2:TGID_Y_EN: 0
; COMPUTE_PGM_RSRC2:TGID_Z_EN: 0
; COMPUTE_PGM_RSRC2:TIDIG_COMP_CNT: 0
	.section	.text._ZN7rocprim17ROCPRIM_400000_NS6detail17trampoline_kernelINS0_13select_configILj256ELj13ELNS0_17block_load_methodE3ELS4_3ELS4_3ELNS0_20block_scan_algorithmE0ELj4294967295EEENS1_25partition_config_selectorILNS1_17partition_subalgoE3EjNS0_10empty_typeEbEEZZNS1_14partition_implILS8_3ELb0ES6_jNS0_17counting_iteratorIjlEEPS9_SE_NS0_5tupleIJPjSE_EEENSF_IJSE_SE_EEES9_SG_JZNS1_25segmented_radix_sort_implINS0_14default_configELb0EPKsPsPKlPlN2at6native12_GLOBAL__N_18offset_tEEE10hipError_tPvRmT1_PNSt15iterator_traitsISY_E10value_typeET2_T3_PNSZ_IS14_E10value_typeET4_jRbjT5_S1A_jjP12ihipStream_tbEUljE_EEESV_SW_SX_S14_S18_S1A_T6_T7_T9_mT8_S1C_bDpT10_ENKUlT_T0_E_clISt17integral_constantIbLb1EES1O_IbLb0EEEEDaS1K_S1L_EUlS1K_E_NS1_11comp_targetILNS1_3genE8ELNS1_11target_archE1030ELNS1_3gpuE2ELNS1_3repE0EEENS1_30default_config_static_selectorELNS0_4arch9wavefront6targetE1EEEvSY_,"axG",@progbits,_ZN7rocprim17ROCPRIM_400000_NS6detail17trampoline_kernelINS0_13select_configILj256ELj13ELNS0_17block_load_methodE3ELS4_3ELS4_3ELNS0_20block_scan_algorithmE0ELj4294967295EEENS1_25partition_config_selectorILNS1_17partition_subalgoE3EjNS0_10empty_typeEbEEZZNS1_14partition_implILS8_3ELb0ES6_jNS0_17counting_iteratorIjlEEPS9_SE_NS0_5tupleIJPjSE_EEENSF_IJSE_SE_EEES9_SG_JZNS1_25segmented_radix_sort_implINS0_14default_configELb0EPKsPsPKlPlN2at6native12_GLOBAL__N_18offset_tEEE10hipError_tPvRmT1_PNSt15iterator_traitsISY_E10value_typeET2_T3_PNSZ_IS14_E10value_typeET4_jRbjT5_S1A_jjP12ihipStream_tbEUljE_EEESV_SW_SX_S14_S18_S1A_T6_T7_T9_mT8_S1C_bDpT10_ENKUlT_T0_E_clISt17integral_constantIbLb1EES1O_IbLb0EEEEDaS1K_S1L_EUlS1K_E_NS1_11comp_targetILNS1_3genE8ELNS1_11target_archE1030ELNS1_3gpuE2ELNS1_3repE0EEENS1_30default_config_static_selectorELNS0_4arch9wavefront6targetE1EEEvSY_,comdat
	.globl	_ZN7rocprim17ROCPRIM_400000_NS6detail17trampoline_kernelINS0_13select_configILj256ELj13ELNS0_17block_load_methodE3ELS4_3ELS4_3ELNS0_20block_scan_algorithmE0ELj4294967295EEENS1_25partition_config_selectorILNS1_17partition_subalgoE3EjNS0_10empty_typeEbEEZZNS1_14partition_implILS8_3ELb0ES6_jNS0_17counting_iteratorIjlEEPS9_SE_NS0_5tupleIJPjSE_EEENSF_IJSE_SE_EEES9_SG_JZNS1_25segmented_radix_sort_implINS0_14default_configELb0EPKsPsPKlPlN2at6native12_GLOBAL__N_18offset_tEEE10hipError_tPvRmT1_PNSt15iterator_traitsISY_E10value_typeET2_T3_PNSZ_IS14_E10value_typeET4_jRbjT5_S1A_jjP12ihipStream_tbEUljE_EEESV_SW_SX_S14_S18_S1A_T6_T7_T9_mT8_S1C_bDpT10_ENKUlT_T0_E_clISt17integral_constantIbLb1EES1O_IbLb0EEEEDaS1K_S1L_EUlS1K_E_NS1_11comp_targetILNS1_3genE8ELNS1_11target_archE1030ELNS1_3gpuE2ELNS1_3repE0EEENS1_30default_config_static_selectorELNS0_4arch9wavefront6targetE1EEEvSY_ ; -- Begin function _ZN7rocprim17ROCPRIM_400000_NS6detail17trampoline_kernelINS0_13select_configILj256ELj13ELNS0_17block_load_methodE3ELS4_3ELS4_3ELNS0_20block_scan_algorithmE0ELj4294967295EEENS1_25partition_config_selectorILNS1_17partition_subalgoE3EjNS0_10empty_typeEbEEZZNS1_14partition_implILS8_3ELb0ES6_jNS0_17counting_iteratorIjlEEPS9_SE_NS0_5tupleIJPjSE_EEENSF_IJSE_SE_EEES9_SG_JZNS1_25segmented_radix_sort_implINS0_14default_configELb0EPKsPsPKlPlN2at6native12_GLOBAL__N_18offset_tEEE10hipError_tPvRmT1_PNSt15iterator_traitsISY_E10value_typeET2_T3_PNSZ_IS14_E10value_typeET4_jRbjT5_S1A_jjP12ihipStream_tbEUljE_EEESV_SW_SX_S14_S18_S1A_T6_T7_T9_mT8_S1C_bDpT10_ENKUlT_T0_E_clISt17integral_constantIbLb1EES1O_IbLb0EEEEDaS1K_S1L_EUlS1K_E_NS1_11comp_targetILNS1_3genE8ELNS1_11target_archE1030ELNS1_3gpuE2ELNS1_3repE0EEENS1_30default_config_static_selectorELNS0_4arch9wavefront6targetE1EEEvSY_
	.p2align	8
	.type	_ZN7rocprim17ROCPRIM_400000_NS6detail17trampoline_kernelINS0_13select_configILj256ELj13ELNS0_17block_load_methodE3ELS4_3ELS4_3ELNS0_20block_scan_algorithmE0ELj4294967295EEENS1_25partition_config_selectorILNS1_17partition_subalgoE3EjNS0_10empty_typeEbEEZZNS1_14partition_implILS8_3ELb0ES6_jNS0_17counting_iteratorIjlEEPS9_SE_NS0_5tupleIJPjSE_EEENSF_IJSE_SE_EEES9_SG_JZNS1_25segmented_radix_sort_implINS0_14default_configELb0EPKsPsPKlPlN2at6native12_GLOBAL__N_18offset_tEEE10hipError_tPvRmT1_PNSt15iterator_traitsISY_E10value_typeET2_T3_PNSZ_IS14_E10value_typeET4_jRbjT5_S1A_jjP12ihipStream_tbEUljE_EEESV_SW_SX_S14_S18_S1A_T6_T7_T9_mT8_S1C_bDpT10_ENKUlT_T0_E_clISt17integral_constantIbLb1EES1O_IbLb0EEEEDaS1K_S1L_EUlS1K_E_NS1_11comp_targetILNS1_3genE8ELNS1_11target_archE1030ELNS1_3gpuE2ELNS1_3repE0EEENS1_30default_config_static_selectorELNS0_4arch9wavefront6targetE1EEEvSY_,@function
_ZN7rocprim17ROCPRIM_400000_NS6detail17trampoline_kernelINS0_13select_configILj256ELj13ELNS0_17block_load_methodE3ELS4_3ELS4_3ELNS0_20block_scan_algorithmE0ELj4294967295EEENS1_25partition_config_selectorILNS1_17partition_subalgoE3EjNS0_10empty_typeEbEEZZNS1_14partition_implILS8_3ELb0ES6_jNS0_17counting_iteratorIjlEEPS9_SE_NS0_5tupleIJPjSE_EEENSF_IJSE_SE_EEES9_SG_JZNS1_25segmented_radix_sort_implINS0_14default_configELb0EPKsPsPKlPlN2at6native12_GLOBAL__N_18offset_tEEE10hipError_tPvRmT1_PNSt15iterator_traitsISY_E10value_typeET2_T3_PNSZ_IS14_E10value_typeET4_jRbjT5_S1A_jjP12ihipStream_tbEUljE_EEESV_SW_SX_S14_S18_S1A_T6_T7_T9_mT8_S1C_bDpT10_ENKUlT_T0_E_clISt17integral_constantIbLb1EES1O_IbLb0EEEEDaS1K_S1L_EUlS1K_E_NS1_11comp_targetILNS1_3genE8ELNS1_11target_archE1030ELNS1_3gpuE2ELNS1_3repE0EEENS1_30default_config_static_selectorELNS0_4arch9wavefront6targetE1EEEvSY_: ; @_ZN7rocprim17ROCPRIM_400000_NS6detail17trampoline_kernelINS0_13select_configILj256ELj13ELNS0_17block_load_methodE3ELS4_3ELS4_3ELNS0_20block_scan_algorithmE0ELj4294967295EEENS1_25partition_config_selectorILNS1_17partition_subalgoE3EjNS0_10empty_typeEbEEZZNS1_14partition_implILS8_3ELb0ES6_jNS0_17counting_iteratorIjlEEPS9_SE_NS0_5tupleIJPjSE_EEENSF_IJSE_SE_EEES9_SG_JZNS1_25segmented_radix_sort_implINS0_14default_configELb0EPKsPsPKlPlN2at6native12_GLOBAL__N_18offset_tEEE10hipError_tPvRmT1_PNSt15iterator_traitsISY_E10value_typeET2_T3_PNSZ_IS14_E10value_typeET4_jRbjT5_S1A_jjP12ihipStream_tbEUljE_EEESV_SW_SX_S14_S18_S1A_T6_T7_T9_mT8_S1C_bDpT10_ENKUlT_T0_E_clISt17integral_constantIbLb1EES1O_IbLb0EEEEDaS1K_S1L_EUlS1K_E_NS1_11comp_targetILNS1_3genE8ELNS1_11target_archE1030ELNS1_3gpuE2ELNS1_3repE0EEENS1_30default_config_static_selectorELNS0_4arch9wavefront6targetE1EEEvSY_
; %bb.0:
	.section	.rodata,"a",@progbits
	.p2align	6, 0x0
	.amdhsa_kernel _ZN7rocprim17ROCPRIM_400000_NS6detail17trampoline_kernelINS0_13select_configILj256ELj13ELNS0_17block_load_methodE3ELS4_3ELS4_3ELNS0_20block_scan_algorithmE0ELj4294967295EEENS1_25partition_config_selectorILNS1_17partition_subalgoE3EjNS0_10empty_typeEbEEZZNS1_14partition_implILS8_3ELb0ES6_jNS0_17counting_iteratorIjlEEPS9_SE_NS0_5tupleIJPjSE_EEENSF_IJSE_SE_EEES9_SG_JZNS1_25segmented_radix_sort_implINS0_14default_configELb0EPKsPsPKlPlN2at6native12_GLOBAL__N_18offset_tEEE10hipError_tPvRmT1_PNSt15iterator_traitsISY_E10value_typeET2_T3_PNSZ_IS14_E10value_typeET4_jRbjT5_S1A_jjP12ihipStream_tbEUljE_EEESV_SW_SX_S14_S18_S1A_T6_T7_T9_mT8_S1C_bDpT10_ENKUlT_T0_E_clISt17integral_constantIbLb1EES1O_IbLb0EEEEDaS1K_S1L_EUlS1K_E_NS1_11comp_targetILNS1_3genE8ELNS1_11target_archE1030ELNS1_3gpuE2ELNS1_3repE0EEENS1_30default_config_static_selectorELNS0_4arch9wavefront6targetE1EEEvSY_
		.amdhsa_group_segment_fixed_size 0
		.amdhsa_private_segment_fixed_size 0
		.amdhsa_kernarg_size 144
		.amdhsa_user_sgpr_count 6
		.amdhsa_user_sgpr_private_segment_buffer 1
		.amdhsa_user_sgpr_dispatch_ptr 0
		.amdhsa_user_sgpr_queue_ptr 0
		.amdhsa_user_sgpr_kernarg_segment_ptr 1
		.amdhsa_user_sgpr_dispatch_id 0
		.amdhsa_user_sgpr_flat_scratch_init 0
		.amdhsa_user_sgpr_private_segment_size 0
		.amdhsa_uses_dynamic_stack 0
		.amdhsa_system_sgpr_private_segment_wavefront_offset 0
		.amdhsa_system_sgpr_workgroup_id_x 1
		.amdhsa_system_sgpr_workgroup_id_y 0
		.amdhsa_system_sgpr_workgroup_id_z 0
		.amdhsa_system_sgpr_workgroup_info 0
		.amdhsa_system_vgpr_workitem_id 0
		.amdhsa_next_free_vgpr 1
		.amdhsa_next_free_sgpr 0
		.amdhsa_reserve_vcc 0
		.amdhsa_reserve_flat_scratch 0
		.amdhsa_float_round_mode_32 0
		.amdhsa_float_round_mode_16_64 0
		.amdhsa_float_denorm_mode_32 3
		.amdhsa_float_denorm_mode_16_64 3
		.amdhsa_dx10_clamp 1
		.amdhsa_ieee_mode 1
		.amdhsa_fp16_overflow 0
		.amdhsa_exception_fp_ieee_invalid_op 0
		.amdhsa_exception_fp_denorm_src 0
		.amdhsa_exception_fp_ieee_div_zero 0
		.amdhsa_exception_fp_ieee_overflow 0
		.amdhsa_exception_fp_ieee_underflow 0
		.amdhsa_exception_fp_ieee_inexact 0
		.amdhsa_exception_int_div_zero 0
	.end_amdhsa_kernel
	.section	.text._ZN7rocprim17ROCPRIM_400000_NS6detail17trampoline_kernelINS0_13select_configILj256ELj13ELNS0_17block_load_methodE3ELS4_3ELS4_3ELNS0_20block_scan_algorithmE0ELj4294967295EEENS1_25partition_config_selectorILNS1_17partition_subalgoE3EjNS0_10empty_typeEbEEZZNS1_14partition_implILS8_3ELb0ES6_jNS0_17counting_iteratorIjlEEPS9_SE_NS0_5tupleIJPjSE_EEENSF_IJSE_SE_EEES9_SG_JZNS1_25segmented_radix_sort_implINS0_14default_configELb0EPKsPsPKlPlN2at6native12_GLOBAL__N_18offset_tEEE10hipError_tPvRmT1_PNSt15iterator_traitsISY_E10value_typeET2_T3_PNSZ_IS14_E10value_typeET4_jRbjT5_S1A_jjP12ihipStream_tbEUljE_EEESV_SW_SX_S14_S18_S1A_T6_T7_T9_mT8_S1C_bDpT10_ENKUlT_T0_E_clISt17integral_constantIbLb1EES1O_IbLb0EEEEDaS1K_S1L_EUlS1K_E_NS1_11comp_targetILNS1_3genE8ELNS1_11target_archE1030ELNS1_3gpuE2ELNS1_3repE0EEENS1_30default_config_static_selectorELNS0_4arch9wavefront6targetE1EEEvSY_,"axG",@progbits,_ZN7rocprim17ROCPRIM_400000_NS6detail17trampoline_kernelINS0_13select_configILj256ELj13ELNS0_17block_load_methodE3ELS4_3ELS4_3ELNS0_20block_scan_algorithmE0ELj4294967295EEENS1_25partition_config_selectorILNS1_17partition_subalgoE3EjNS0_10empty_typeEbEEZZNS1_14partition_implILS8_3ELb0ES6_jNS0_17counting_iteratorIjlEEPS9_SE_NS0_5tupleIJPjSE_EEENSF_IJSE_SE_EEES9_SG_JZNS1_25segmented_radix_sort_implINS0_14default_configELb0EPKsPsPKlPlN2at6native12_GLOBAL__N_18offset_tEEE10hipError_tPvRmT1_PNSt15iterator_traitsISY_E10value_typeET2_T3_PNSZ_IS14_E10value_typeET4_jRbjT5_S1A_jjP12ihipStream_tbEUljE_EEESV_SW_SX_S14_S18_S1A_T6_T7_T9_mT8_S1C_bDpT10_ENKUlT_T0_E_clISt17integral_constantIbLb1EES1O_IbLb0EEEEDaS1K_S1L_EUlS1K_E_NS1_11comp_targetILNS1_3genE8ELNS1_11target_archE1030ELNS1_3gpuE2ELNS1_3repE0EEENS1_30default_config_static_selectorELNS0_4arch9wavefront6targetE1EEEvSY_,comdat
.Lfunc_end1005:
	.size	_ZN7rocprim17ROCPRIM_400000_NS6detail17trampoline_kernelINS0_13select_configILj256ELj13ELNS0_17block_load_methodE3ELS4_3ELS4_3ELNS0_20block_scan_algorithmE0ELj4294967295EEENS1_25partition_config_selectorILNS1_17partition_subalgoE3EjNS0_10empty_typeEbEEZZNS1_14partition_implILS8_3ELb0ES6_jNS0_17counting_iteratorIjlEEPS9_SE_NS0_5tupleIJPjSE_EEENSF_IJSE_SE_EEES9_SG_JZNS1_25segmented_radix_sort_implINS0_14default_configELb0EPKsPsPKlPlN2at6native12_GLOBAL__N_18offset_tEEE10hipError_tPvRmT1_PNSt15iterator_traitsISY_E10value_typeET2_T3_PNSZ_IS14_E10value_typeET4_jRbjT5_S1A_jjP12ihipStream_tbEUljE_EEESV_SW_SX_S14_S18_S1A_T6_T7_T9_mT8_S1C_bDpT10_ENKUlT_T0_E_clISt17integral_constantIbLb1EES1O_IbLb0EEEEDaS1K_S1L_EUlS1K_E_NS1_11comp_targetILNS1_3genE8ELNS1_11target_archE1030ELNS1_3gpuE2ELNS1_3repE0EEENS1_30default_config_static_selectorELNS0_4arch9wavefront6targetE1EEEvSY_, .Lfunc_end1005-_ZN7rocprim17ROCPRIM_400000_NS6detail17trampoline_kernelINS0_13select_configILj256ELj13ELNS0_17block_load_methodE3ELS4_3ELS4_3ELNS0_20block_scan_algorithmE0ELj4294967295EEENS1_25partition_config_selectorILNS1_17partition_subalgoE3EjNS0_10empty_typeEbEEZZNS1_14partition_implILS8_3ELb0ES6_jNS0_17counting_iteratorIjlEEPS9_SE_NS0_5tupleIJPjSE_EEENSF_IJSE_SE_EEES9_SG_JZNS1_25segmented_radix_sort_implINS0_14default_configELb0EPKsPsPKlPlN2at6native12_GLOBAL__N_18offset_tEEE10hipError_tPvRmT1_PNSt15iterator_traitsISY_E10value_typeET2_T3_PNSZ_IS14_E10value_typeET4_jRbjT5_S1A_jjP12ihipStream_tbEUljE_EEESV_SW_SX_S14_S18_S1A_T6_T7_T9_mT8_S1C_bDpT10_ENKUlT_T0_E_clISt17integral_constantIbLb1EES1O_IbLb0EEEEDaS1K_S1L_EUlS1K_E_NS1_11comp_targetILNS1_3genE8ELNS1_11target_archE1030ELNS1_3gpuE2ELNS1_3repE0EEENS1_30default_config_static_selectorELNS0_4arch9wavefront6targetE1EEEvSY_
                                        ; -- End function
	.set _ZN7rocprim17ROCPRIM_400000_NS6detail17trampoline_kernelINS0_13select_configILj256ELj13ELNS0_17block_load_methodE3ELS4_3ELS4_3ELNS0_20block_scan_algorithmE0ELj4294967295EEENS1_25partition_config_selectorILNS1_17partition_subalgoE3EjNS0_10empty_typeEbEEZZNS1_14partition_implILS8_3ELb0ES6_jNS0_17counting_iteratorIjlEEPS9_SE_NS0_5tupleIJPjSE_EEENSF_IJSE_SE_EEES9_SG_JZNS1_25segmented_radix_sort_implINS0_14default_configELb0EPKsPsPKlPlN2at6native12_GLOBAL__N_18offset_tEEE10hipError_tPvRmT1_PNSt15iterator_traitsISY_E10value_typeET2_T3_PNSZ_IS14_E10value_typeET4_jRbjT5_S1A_jjP12ihipStream_tbEUljE_EEESV_SW_SX_S14_S18_S1A_T6_T7_T9_mT8_S1C_bDpT10_ENKUlT_T0_E_clISt17integral_constantIbLb1EES1O_IbLb0EEEEDaS1K_S1L_EUlS1K_E_NS1_11comp_targetILNS1_3genE8ELNS1_11target_archE1030ELNS1_3gpuE2ELNS1_3repE0EEENS1_30default_config_static_selectorELNS0_4arch9wavefront6targetE1EEEvSY_.num_vgpr, 0
	.set _ZN7rocprim17ROCPRIM_400000_NS6detail17trampoline_kernelINS0_13select_configILj256ELj13ELNS0_17block_load_methodE3ELS4_3ELS4_3ELNS0_20block_scan_algorithmE0ELj4294967295EEENS1_25partition_config_selectorILNS1_17partition_subalgoE3EjNS0_10empty_typeEbEEZZNS1_14partition_implILS8_3ELb0ES6_jNS0_17counting_iteratorIjlEEPS9_SE_NS0_5tupleIJPjSE_EEENSF_IJSE_SE_EEES9_SG_JZNS1_25segmented_radix_sort_implINS0_14default_configELb0EPKsPsPKlPlN2at6native12_GLOBAL__N_18offset_tEEE10hipError_tPvRmT1_PNSt15iterator_traitsISY_E10value_typeET2_T3_PNSZ_IS14_E10value_typeET4_jRbjT5_S1A_jjP12ihipStream_tbEUljE_EEESV_SW_SX_S14_S18_S1A_T6_T7_T9_mT8_S1C_bDpT10_ENKUlT_T0_E_clISt17integral_constantIbLb1EES1O_IbLb0EEEEDaS1K_S1L_EUlS1K_E_NS1_11comp_targetILNS1_3genE8ELNS1_11target_archE1030ELNS1_3gpuE2ELNS1_3repE0EEENS1_30default_config_static_selectorELNS0_4arch9wavefront6targetE1EEEvSY_.num_agpr, 0
	.set _ZN7rocprim17ROCPRIM_400000_NS6detail17trampoline_kernelINS0_13select_configILj256ELj13ELNS0_17block_load_methodE3ELS4_3ELS4_3ELNS0_20block_scan_algorithmE0ELj4294967295EEENS1_25partition_config_selectorILNS1_17partition_subalgoE3EjNS0_10empty_typeEbEEZZNS1_14partition_implILS8_3ELb0ES6_jNS0_17counting_iteratorIjlEEPS9_SE_NS0_5tupleIJPjSE_EEENSF_IJSE_SE_EEES9_SG_JZNS1_25segmented_radix_sort_implINS0_14default_configELb0EPKsPsPKlPlN2at6native12_GLOBAL__N_18offset_tEEE10hipError_tPvRmT1_PNSt15iterator_traitsISY_E10value_typeET2_T3_PNSZ_IS14_E10value_typeET4_jRbjT5_S1A_jjP12ihipStream_tbEUljE_EEESV_SW_SX_S14_S18_S1A_T6_T7_T9_mT8_S1C_bDpT10_ENKUlT_T0_E_clISt17integral_constantIbLb1EES1O_IbLb0EEEEDaS1K_S1L_EUlS1K_E_NS1_11comp_targetILNS1_3genE8ELNS1_11target_archE1030ELNS1_3gpuE2ELNS1_3repE0EEENS1_30default_config_static_selectorELNS0_4arch9wavefront6targetE1EEEvSY_.numbered_sgpr, 0
	.set _ZN7rocprim17ROCPRIM_400000_NS6detail17trampoline_kernelINS0_13select_configILj256ELj13ELNS0_17block_load_methodE3ELS4_3ELS4_3ELNS0_20block_scan_algorithmE0ELj4294967295EEENS1_25partition_config_selectorILNS1_17partition_subalgoE3EjNS0_10empty_typeEbEEZZNS1_14partition_implILS8_3ELb0ES6_jNS0_17counting_iteratorIjlEEPS9_SE_NS0_5tupleIJPjSE_EEENSF_IJSE_SE_EEES9_SG_JZNS1_25segmented_radix_sort_implINS0_14default_configELb0EPKsPsPKlPlN2at6native12_GLOBAL__N_18offset_tEEE10hipError_tPvRmT1_PNSt15iterator_traitsISY_E10value_typeET2_T3_PNSZ_IS14_E10value_typeET4_jRbjT5_S1A_jjP12ihipStream_tbEUljE_EEESV_SW_SX_S14_S18_S1A_T6_T7_T9_mT8_S1C_bDpT10_ENKUlT_T0_E_clISt17integral_constantIbLb1EES1O_IbLb0EEEEDaS1K_S1L_EUlS1K_E_NS1_11comp_targetILNS1_3genE8ELNS1_11target_archE1030ELNS1_3gpuE2ELNS1_3repE0EEENS1_30default_config_static_selectorELNS0_4arch9wavefront6targetE1EEEvSY_.num_named_barrier, 0
	.set _ZN7rocprim17ROCPRIM_400000_NS6detail17trampoline_kernelINS0_13select_configILj256ELj13ELNS0_17block_load_methodE3ELS4_3ELS4_3ELNS0_20block_scan_algorithmE0ELj4294967295EEENS1_25partition_config_selectorILNS1_17partition_subalgoE3EjNS0_10empty_typeEbEEZZNS1_14partition_implILS8_3ELb0ES6_jNS0_17counting_iteratorIjlEEPS9_SE_NS0_5tupleIJPjSE_EEENSF_IJSE_SE_EEES9_SG_JZNS1_25segmented_radix_sort_implINS0_14default_configELb0EPKsPsPKlPlN2at6native12_GLOBAL__N_18offset_tEEE10hipError_tPvRmT1_PNSt15iterator_traitsISY_E10value_typeET2_T3_PNSZ_IS14_E10value_typeET4_jRbjT5_S1A_jjP12ihipStream_tbEUljE_EEESV_SW_SX_S14_S18_S1A_T6_T7_T9_mT8_S1C_bDpT10_ENKUlT_T0_E_clISt17integral_constantIbLb1EES1O_IbLb0EEEEDaS1K_S1L_EUlS1K_E_NS1_11comp_targetILNS1_3genE8ELNS1_11target_archE1030ELNS1_3gpuE2ELNS1_3repE0EEENS1_30default_config_static_selectorELNS0_4arch9wavefront6targetE1EEEvSY_.private_seg_size, 0
	.set _ZN7rocprim17ROCPRIM_400000_NS6detail17trampoline_kernelINS0_13select_configILj256ELj13ELNS0_17block_load_methodE3ELS4_3ELS4_3ELNS0_20block_scan_algorithmE0ELj4294967295EEENS1_25partition_config_selectorILNS1_17partition_subalgoE3EjNS0_10empty_typeEbEEZZNS1_14partition_implILS8_3ELb0ES6_jNS0_17counting_iteratorIjlEEPS9_SE_NS0_5tupleIJPjSE_EEENSF_IJSE_SE_EEES9_SG_JZNS1_25segmented_radix_sort_implINS0_14default_configELb0EPKsPsPKlPlN2at6native12_GLOBAL__N_18offset_tEEE10hipError_tPvRmT1_PNSt15iterator_traitsISY_E10value_typeET2_T3_PNSZ_IS14_E10value_typeET4_jRbjT5_S1A_jjP12ihipStream_tbEUljE_EEESV_SW_SX_S14_S18_S1A_T6_T7_T9_mT8_S1C_bDpT10_ENKUlT_T0_E_clISt17integral_constantIbLb1EES1O_IbLb0EEEEDaS1K_S1L_EUlS1K_E_NS1_11comp_targetILNS1_3genE8ELNS1_11target_archE1030ELNS1_3gpuE2ELNS1_3repE0EEENS1_30default_config_static_selectorELNS0_4arch9wavefront6targetE1EEEvSY_.uses_vcc, 0
	.set _ZN7rocprim17ROCPRIM_400000_NS6detail17trampoline_kernelINS0_13select_configILj256ELj13ELNS0_17block_load_methodE3ELS4_3ELS4_3ELNS0_20block_scan_algorithmE0ELj4294967295EEENS1_25partition_config_selectorILNS1_17partition_subalgoE3EjNS0_10empty_typeEbEEZZNS1_14partition_implILS8_3ELb0ES6_jNS0_17counting_iteratorIjlEEPS9_SE_NS0_5tupleIJPjSE_EEENSF_IJSE_SE_EEES9_SG_JZNS1_25segmented_radix_sort_implINS0_14default_configELb0EPKsPsPKlPlN2at6native12_GLOBAL__N_18offset_tEEE10hipError_tPvRmT1_PNSt15iterator_traitsISY_E10value_typeET2_T3_PNSZ_IS14_E10value_typeET4_jRbjT5_S1A_jjP12ihipStream_tbEUljE_EEESV_SW_SX_S14_S18_S1A_T6_T7_T9_mT8_S1C_bDpT10_ENKUlT_T0_E_clISt17integral_constantIbLb1EES1O_IbLb0EEEEDaS1K_S1L_EUlS1K_E_NS1_11comp_targetILNS1_3genE8ELNS1_11target_archE1030ELNS1_3gpuE2ELNS1_3repE0EEENS1_30default_config_static_selectorELNS0_4arch9wavefront6targetE1EEEvSY_.uses_flat_scratch, 0
	.set _ZN7rocprim17ROCPRIM_400000_NS6detail17trampoline_kernelINS0_13select_configILj256ELj13ELNS0_17block_load_methodE3ELS4_3ELS4_3ELNS0_20block_scan_algorithmE0ELj4294967295EEENS1_25partition_config_selectorILNS1_17partition_subalgoE3EjNS0_10empty_typeEbEEZZNS1_14partition_implILS8_3ELb0ES6_jNS0_17counting_iteratorIjlEEPS9_SE_NS0_5tupleIJPjSE_EEENSF_IJSE_SE_EEES9_SG_JZNS1_25segmented_radix_sort_implINS0_14default_configELb0EPKsPsPKlPlN2at6native12_GLOBAL__N_18offset_tEEE10hipError_tPvRmT1_PNSt15iterator_traitsISY_E10value_typeET2_T3_PNSZ_IS14_E10value_typeET4_jRbjT5_S1A_jjP12ihipStream_tbEUljE_EEESV_SW_SX_S14_S18_S1A_T6_T7_T9_mT8_S1C_bDpT10_ENKUlT_T0_E_clISt17integral_constantIbLb1EES1O_IbLb0EEEEDaS1K_S1L_EUlS1K_E_NS1_11comp_targetILNS1_3genE8ELNS1_11target_archE1030ELNS1_3gpuE2ELNS1_3repE0EEENS1_30default_config_static_selectorELNS0_4arch9wavefront6targetE1EEEvSY_.has_dyn_sized_stack, 0
	.set _ZN7rocprim17ROCPRIM_400000_NS6detail17trampoline_kernelINS0_13select_configILj256ELj13ELNS0_17block_load_methodE3ELS4_3ELS4_3ELNS0_20block_scan_algorithmE0ELj4294967295EEENS1_25partition_config_selectorILNS1_17partition_subalgoE3EjNS0_10empty_typeEbEEZZNS1_14partition_implILS8_3ELb0ES6_jNS0_17counting_iteratorIjlEEPS9_SE_NS0_5tupleIJPjSE_EEENSF_IJSE_SE_EEES9_SG_JZNS1_25segmented_radix_sort_implINS0_14default_configELb0EPKsPsPKlPlN2at6native12_GLOBAL__N_18offset_tEEE10hipError_tPvRmT1_PNSt15iterator_traitsISY_E10value_typeET2_T3_PNSZ_IS14_E10value_typeET4_jRbjT5_S1A_jjP12ihipStream_tbEUljE_EEESV_SW_SX_S14_S18_S1A_T6_T7_T9_mT8_S1C_bDpT10_ENKUlT_T0_E_clISt17integral_constantIbLb1EES1O_IbLb0EEEEDaS1K_S1L_EUlS1K_E_NS1_11comp_targetILNS1_3genE8ELNS1_11target_archE1030ELNS1_3gpuE2ELNS1_3repE0EEENS1_30default_config_static_selectorELNS0_4arch9wavefront6targetE1EEEvSY_.has_recursion, 0
	.set _ZN7rocprim17ROCPRIM_400000_NS6detail17trampoline_kernelINS0_13select_configILj256ELj13ELNS0_17block_load_methodE3ELS4_3ELS4_3ELNS0_20block_scan_algorithmE0ELj4294967295EEENS1_25partition_config_selectorILNS1_17partition_subalgoE3EjNS0_10empty_typeEbEEZZNS1_14partition_implILS8_3ELb0ES6_jNS0_17counting_iteratorIjlEEPS9_SE_NS0_5tupleIJPjSE_EEENSF_IJSE_SE_EEES9_SG_JZNS1_25segmented_radix_sort_implINS0_14default_configELb0EPKsPsPKlPlN2at6native12_GLOBAL__N_18offset_tEEE10hipError_tPvRmT1_PNSt15iterator_traitsISY_E10value_typeET2_T3_PNSZ_IS14_E10value_typeET4_jRbjT5_S1A_jjP12ihipStream_tbEUljE_EEESV_SW_SX_S14_S18_S1A_T6_T7_T9_mT8_S1C_bDpT10_ENKUlT_T0_E_clISt17integral_constantIbLb1EES1O_IbLb0EEEEDaS1K_S1L_EUlS1K_E_NS1_11comp_targetILNS1_3genE8ELNS1_11target_archE1030ELNS1_3gpuE2ELNS1_3repE0EEENS1_30default_config_static_selectorELNS0_4arch9wavefront6targetE1EEEvSY_.has_indirect_call, 0
	.section	.AMDGPU.csdata,"",@progbits
; Kernel info:
; codeLenInByte = 0
; TotalNumSgprs: 4
; NumVgprs: 0
; ScratchSize: 0
; MemoryBound: 0
; FloatMode: 240
; IeeeMode: 1
; LDSByteSize: 0 bytes/workgroup (compile time only)
; SGPRBlocks: 0
; VGPRBlocks: 0
; NumSGPRsForWavesPerEU: 4
; NumVGPRsForWavesPerEU: 1
; Occupancy: 10
; WaveLimiterHint : 0
; COMPUTE_PGM_RSRC2:SCRATCH_EN: 0
; COMPUTE_PGM_RSRC2:USER_SGPR: 6
; COMPUTE_PGM_RSRC2:TRAP_HANDLER: 0
; COMPUTE_PGM_RSRC2:TGID_X_EN: 1
; COMPUTE_PGM_RSRC2:TGID_Y_EN: 0
; COMPUTE_PGM_RSRC2:TGID_Z_EN: 0
; COMPUTE_PGM_RSRC2:TIDIG_COMP_CNT: 0
	.section	.text._ZN7rocprim17ROCPRIM_400000_NS6detail17trampoline_kernelINS0_13select_configILj256ELj13ELNS0_17block_load_methodE3ELS4_3ELS4_3ELNS0_20block_scan_algorithmE0ELj4294967295EEENS1_25partition_config_selectorILNS1_17partition_subalgoE3EjNS0_10empty_typeEbEEZZNS1_14partition_implILS8_3ELb0ES6_jNS0_17counting_iteratorIjlEEPS9_SE_NS0_5tupleIJPjSE_EEENSF_IJSE_SE_EEES9_SG_JZNS1_25segmented_radix_sort_implINS0_14default_configELb0EPKsPsPKlPlN2at6native12_GLOBAL__N_18offset_tEEE10hipError_tPvRmT1_PNSt15iterator_traitsISY_E10value_typeET2_T3_PNSZ_IS14_E10value_typeET4_jRbjT5_S1A_jjP12ihipStream_tbEUljE_EEESV_SW_SX_S14_S18_S1A_T6_T7_T9_mT8_S1C_bDpT10_ENKUlT_T0_E_clISt17integral_constantIbLb0EES1O_IbLb1EEEEDaS1K_S1L_EUlS1K_E_NS1_11comp_targetILNS1_3genE0ELNS1_11target_archE4294967295ELNS1_3gpuE0ELNS1_3repE0EEENS1_30default_config_static_selectorELNS0_4arch9wavefront6targetE1EEEvSY_,"axG",@progbits,_ZN7rocprim17ROCPRIM_400000_NS6detail17trampoline_kernelINS0_13select_configILj256ELj13ELNS0_17block_load_methodE3ELS4_3ELS4_3ELNS0_20block_scan_algorithmE0ELj4294967295EEENS1_25partition_config_selectorILNS1_17partition_subalgoE3EjNS0_10empty_typeEbEEZZNS1_14partition_implILS8_3ELb0ES6_jNS0_17counting_iteratorIjlEEPS9_SE_NS0_5tupleIJPjSE_EEENSF_IJSE_SE_EEES9_SG_JZNS1_25segmented_radix_sort_implINS0_14default_configELb0EPKsPsPKlPlN2at6native12_GLOBAL__N_18offset_tEEE10hipError_tPvRmT1_PNSt15iterator_traitsISY_E10value_typeET2_T3_PNSZ_IS14_E10value_typeET4_jRbjT5_S1A_jjP12ihipStream_tbEUljE_EEESV_SW_SX_S14_S18_S1A_T6_T7_T9_mT8_S1C_bDpT10_ENKUlT_T0_E_clISt17integral_constantIbLb0EES1O_IbLb1EEEEDaS1K_S1L_EUlS1K_E_NS1_11comp_targetILNS1_3genE0ELNS1_11target_archE4294967295ELNS1_3gpuE0ELNS1_3repE0EEENS1_30default_config_static_selectorELNS0_4arch9wavefront6targetE1EEEvSY_,comdat
	.globl	_ZN7rocprim17ROCPRIM_400000_NS6detail17trampoline_kernelINS0_13select_configILj256ELj13ELNS0_17block_load_methodE3ELS4_3ELS4_3ELNS0_20block_scan_algorithmE0ELj4294967295EEENS1_25partition_config_selectorILNS1_17partition_subalgoE3EjNS0_10empty_typeEbEEZZNS1_14partition_implILS8_3ELb0ES6_jNS0_17counting_iteratorIjlEEPS9_SE_NS0_5tupleIJPjSE_EEENSF_IJSE_SE_EEES9_SG_JZNS1_25segmented_radix_sort_implINS0_14default_configELb0EPKsPsPKlPlN2at6native12_GLOBAL__N_18offset_tEEE10hipError_tPvRmT1_PNSt15iterator_traitsISY_E10value_typeET2_T3_PNSZ_IS14_E10value_typeET4_jRbjT5_S1A_jjP12ihipStream_tbEUljE_EEESV_SW_SX_S14_S18_S1A_T6_T7_T9_mT8_S1C_bDpT10_ENKUlT_T0_E_clISt17integral_constantIbLb0EES1O_IbLb1EEEEDaS1K_S1L_EUlS1K_E_NS1_11comp_targetILNS1_3genE0ELNS1_11target_archE4294967295ELNS1_3gpuE0ELNS1_3repE0EEENS1_30default_config_static_selectorELNS0_4arch9wavefront6targetE1EEEvSY_ ; -- Begin function _ZN7rocprim17ROCPRIM_400000_NS6detail17trampoline_kernelINS0_13select_configILj256ELj13ELNS0_17block_load_methodE3ELS4_3ELS4_3ELNS0_20block_scan_algorithmE0ELj4294967295EEENS1_25partition_config_selectorILNS1_17partition_subalgoE3EjNS0_10empty_typeEbEEZZNS1_14partition_implILS8_3ELb0ES6_jNS0_17counting_iteratorIjlEEPS9_SE_NS0_5tupleIJPjSE_EEENSF_IJSE_SE_EEES9_SG_JZNS1_25segmented_radix_sort_implINS0_14default_configELb0EPKsPsPKlPlN2at6native12_GLOBAL__N_18offset_tEEE10hipError_tPvRmT1_PNSt15iterator_traitsISY_E10value_typeET2_T3_PNSZ_IS14_E10value_typeET4_jRbjT5_S1A_jjP12ihipStream_tbEUljE_EEESV_SW_SX_S14_S18_S1A_T6_T7_T9_mT8_S1C_bDpT10_ENKUlT_T0_E_clISt17integral_constantIbLb0EES1O_IbLb1EEEEDaS1K_S1L_EUlS1K_E_NS1_11comp_targetILNS1_3genE0ELNS1_11target_archE4294967295ELNS1_3gpuE0ELNS1_3repE0EEENS1_30default_config_static_selectorELNS0_4arch9wavefront6targetE1EEEvSY_
	.p2align	8
	.type	_ZN7rocprim17ROCPRIM_400000_NS6detail17trampoline_kernelINS0_13select_configILj256ELj13ELNS0_17block_load_methodE3ELS4_3ELS4_3ELNS0_20block_scan_algorithmE0ELj4294967295EEENS1_25partition_config_selectorILNS1_17partition_subalgoE3EjNS0_10empty_typeEbEEZZNS1_14partition_implILS8_3ELb0ES6_jNS0_17counting_iteratorIjlEEPS9_SE_NS0_5tupleIJPjSE_EEENSF_IJSE_SE_EEES9_SG_JZNS1_25segmented_radix_sort_implINS0_14default_configELb0EPKsPsPKlPlN2at6native12_GLOBAL__N_18offset_tEEE10hipError_tPvRmT1_PNSt15iterator_traitsISY_E10value_typeET2_T3_PNSZ_IS14_E10value_typeET4_jRbjT5_S1A_jjP12ihipStream_tbEUljE_EEESV_SW_SX_S14_S18_S1A_T6_T7_T9_mT8_S1C_bDpT10_ENKUlT_T0_E_clISt17integral_constantIbLb0EES1O_IbLb1EEEEDaS1K_S1L_EUlS1K_E_NS1_11comp_targetILNS1_3genE0ELNS1_11target_archE4294967295ELNS1_3gpuE0ELNS1_3repE0EEENS1_30default_config_static_selectorELNS0_4arch9wavefront6targetE1EEEvSY_,@function
_ZN7rocprim17ROCPRIM_400000_NS6detail17trampoline_kernelINS0_13select_configILj256ELj13ELNS0_17block_load_methodE3ELS4_3ELS4_3ELNS0_20block_scan_algorithmE0ELj4294967295EEENS1_25partition_config_selectorILNS1_17partition_subalgoE3EjNS0_10empty_typeEbEEZZNS1_14partition_implILS8_3ELb0ES6_jNS0_17counting_iteratorIjlEEPS9_SE_NS0_5tupleIJPjSE_EEENSF_IJSE_SE_EEES9_SG_JZNS1_25segmented_radix_sort_implINS0_14default_configELb0EPKsPsPKlPlN2at6native12_GLOBAL__N_18offset_tEEE10hipError_tPvRmT1_PNSt15iterator_traitsISY_E10value_typeET2_T3_PNSZ_IS14_E10value_typeET4_jRbjT5_S1A_jjP12ihipStream_tbEUljE_EEESV_SW_SX_S14_S18_S1A_T6_T7_T9_mT8_S1C_bDpT10_ENKUlT_T0_E_clISt17integral_constantIbLb0EES1O_IbLb1EEEEDaS1K_S1L_EUlS1K_E_NS1_11comp_targetILNS1_3genE0ELNS1_11target_archE4294967295ELNS1_3gpuE0ELNS1_3repE0EEENS1_30default_config_static_selectorELNS0_4arch9wavefront6targetE1EEEvSY_: ; @_ZN7rocprim17ROCPRIM_400000_NS6detail17trampoline_kernelINS0_13select_configILj256ELj13ELNS0_17block_load_methodE3ELS4_3ELS4_3ELNS0_20block_scan_algorithmE0ELj4294967295EEENS1_25partition_config_selectorILNS1_17partition_subalgoE3EjNS0_10empty_typeEbEEZZNS1_14partition_implILS8_3ELb0ES6_jNS0_17counting_iteratorIjlEEPS9_SE_NS0_5tupleIJPjSE_EEENSF_IJSE_SE_EEES9_SG_JZNS1_25segmented_radix_sort_implINS0_14default_configELb0EPKsPsPKlPlN2at6native12_GLOBAL__N_18offset_tEEE10hipError_tPvRmT1_PNSt15iterator_traitsISY_E10value_typeET2_T3_PNSZ_IS14_E10value_typeET4_jRbjT5_S1A_jjP12ihipStream_tbEUljE_EEESV_SW_SX_S14_S18_S1A_T6_T7_T9_mT8_S1C_bDpT10_ENKUlT_T0_E_clISt17integral_constantIbLb0EES1O_IbLb1EEEEDaS1K_S1L_EUlS1K_E_NS1_11comp_targetILNS1_3genE0ELNS1_11target_archE4294967295ELNS1_3gpuE0ELNS1_3repE0EEENS1_30default_config_static_selectorELNS0_4arch9wavefront6targetE1EEEvSY_
; %bb.0:
	.section	.rodata,"a",@progbits
	.p2align	6, 0x0
	.amdhsa_kernel _ZN7rocprim17ROCPRIM_400000_NS6detail17trampoline_kernelINS0_13select_configILj256ELj13ELNS0_17block_load_methodE3ELS4_3ELS4_3ELNS0_20block_scan_algorithmE0ELj4294967295EEENS1_25partition_config_selectorILNS1_17partition_subalgoE3EjNS0_10empty_typeEbEEZZNS1_14partition_implILS8_3ELb0ES6_jNS0_17counting_iteratorIjlEEPS9_SE_NS0_5tupleIJPjSE_EEENSF_IJSE_SE_EEES9_SG_JZNS1_25segmented_radix_sort_implINS0_14default_configELb0EPKsPsPKlPlN2at6native12_GLOBAL__N_18offset_tEEE10hipError_tPvRmT1_PNSt15iterator_traitsISY_E10value_typeET2_T3_PNSZ_IS14_E10value_typeET4_jRbjT5_S1A_jjP12ihipStream_tbEUljE_EEESV_SW_SX_S14_S18_S1A_T6_T7_T9_mT8_S1C_bDpT10_ENKUlT_T0_E_clISt17integral_constantIbLb0EES1O_IbLb1EEEEDaS1K_S1L_EUlS1K_E_NS1_11comp_targetILNS1_3genE0ELNS1_11target_archE4294967295ELNS1_3gpuE0ELNS1_3repE0EEENS1_30default_config_static_selectorELNS0_4arch9wavefront6targetE1EEEvSY_
		.amdhsa_group_segment_fixed_size 0
		.amdhsa_private_segment_fixed_size 0
		.amdhsa_kernarg_size 152
		.amdhsa_user_sgpr_count 6
		.amdhsa_user_sgpr_private_segment_buffer 1
		.amdhsa_user_sgpr_dispatch_ptr 0
		.amdhsa_user_sgpr_queue_ptr 0
		.amdhsa_user_sgpr_kernarg_segment_ptr 1
		.amdhsa_user_sgpr_dispatch_id 0
		.amdhsa_user_sgpr_flat_scratch_init 0
		.amdhsa_user_sgpr_private_segment_size 0
		.amdhsa_uses_dynamic_stack 0
		.amdhsa_system_sgpr_private_segment_wavefront_offset 0
		.amdhsa_system_sgpr_workgroup_id_x 1
		.amdhsa_system_sgpr_workgroup_id_y 0
		.amdhsa_system_sgpr_workgroup_id_z 0
		.amdhsa_system_sgpr_workgroup_info 0
		.amdhsa_system_vgpr_workitem_id 0
		.amdhsa_next_free_vgpr 1
		.amdhsa_next_free_sgpr 0
		.amdhsa_reserve_vcc 0
		.amdhsa_reserve_flat_scratch 0
		.amdhsa_float_round_mode_32 0
		.amdhsa_float_round_mode_16_64 0
		.amdhsa_float_denorm_mode_32 3
		.amdhsa_float_denorm_mode_16_64 3
		.amdhsa_dx10_clamp 1
		.amdhsa_ieee_mode 1
		.amdhsa_fp16_overflow 0
		.amdhsa_exception_fp_ieee_invalid_op 0
		.amdhsa_exception_fp_denorm_src 0
		.amdhsa_exception_fp_ieee_div_zero 0
		.amdhsa_exception_fp_ieee_overflow 0
		.amdhsa_exception_fp_ieee_underflow 0
		.amdhsa_exception_fp_ieee_inexact 0
		.amdhsa_exception_int_div_zero 0
	.end_amdhsa_kernel
	.section	.text._ZN7rocprim17ROCPRIM_400000_NS6detail17trampoline_kernelINS0_13select_configILj256ELj13ELNS0_17block_load_methodE3ELS4_3ELS4_3ELNS0_20block_scan_algorithmE0ELj4294967295EEENS1_25partition_config_selectorILNS1_17partition_subalgoE3EjNS0_10empty_typeEbEEZZNS1_14partition_implILS8_3ELb0ES6_jNS0_17counting_iteratorIjlEEPS9_SE_NS0_5tupleIJPjSE_EEENSF_IJSE_SE_EEES9_SG_JZNS1_25segmented_radix_sort_implINS0_14default_configELb0EPKsPsPKlPlN2at6native12_GLOBAL__N_18offset_tEEE10hipError_tPvRmT1_PNSt15iterator_traitsISY_E10value_typeET2_T3_PNSZ_IS14_E10value_typeET4_jRbjT5_S1A_jjP12ihipStream_tbEUljE_EEESV_SW_SX_S14_S18_S1A_T6_T7_T9_mT8_S1C_bDpT10_ENKUlT_T0_E_clISt17integral_constantIbLb0EES1O_IbLb1EEEEDaS1K_S1L_EUlS1K_E_NS1_11comp_targetILNS1_3genE0ELNS1_11target_archE4294967295ELNS1_3gpuE0ELNS1_3repE0EEENS1_30default_config_static_selectorELNS0_4arch9wavefront6targetE1EEEvSY_,"axG",@progbits,_ZN7rocprim17ROCPRIM_400000_NS6detail17trampoline_kernelINS0_13select_configILj256ELj13ELNS0_17block_load_methodE3ELS4_3ELS4_3ELNS0_20block_scan_algorithmE0ELj4294967295EEENS1_25partition_config_selectorILNS1_17partition_subalgoE3EjNS0_10empty_typeEbEEZZNS1_14partition_implILS8_3ELb0ES6_jNS0_17counting_iteratorIjlEEPS9_SE_NS0_5tupleIJPjSE_EEENSF_IJSE_SE_EEES9_SG_JZNS1_25segmented_radix_sort_implINS0_14default_configELb0EPKsPsPKlPlN2at6native12_GLOBAL__N_18offset_tEEE10hipError_tPvRmT1_PNSt15iterator_traitsISY_E10value_typeET2_T3_PNSZ_IS14_E10value_typeET4_jRbjT5_S1A_jjP12ihipStream_tbEUljE_EEESV_SW_SX_S14_S18_S1A_T6_T7_T9_mT8_S1C_bDpT10_ENKUlT_T0_E_clISt17integral_constantIbLb0EES1O_IbLb1EEEEDaS1K_S1L_EUlS1K_E_NS1_11comp_targetILNS1_3genE0ELNS1_11target_archE4294967295ELNS1_3gpuE0ELNS1_3repE0EEENS1_30default_config_static_selectorELNS0_4arch9wavefront6targetE1EEEvSY_,comdat
.Lfunc_end1006:
	.size	_ZN7rocprim17ROCPRIM_400000_NS6detail17trampoline_kernelINS0_13select_configILj256ELj13ELNS0_17block_load_methodE3ELS4_3ELS4_3ELNS0_20block_scan_algorithmE0ELj4294967295EEENS1_25partition_config_selectorILNS1_17partition_subalgoE3EjNS0_10empty_typeEbEEZZNS1_14partition_implILS8_3ELb0ES6_jNS0_17counting_iteratorIjlEEPS9_SE_NS0_5tupleIJPjSE_EEENSF_IJSE_SE_EEES9_SG_JZNS1_25segmented_radix_sort_implINS0_14default_configELb0EPKsPsPKlPlN2at6native12_GLOBAL__N_18offset_tEEE10hipError_tPvRmT1_PNSt15iterator_traitsISY_E10value_typeET2_T3_PNSZ_IS14_E10value_typeET4_jRbjT5_S1A_jjP12ihipStream_tbEUljE_EEESV_SW_SX_S14_S18_S1A_T6_T7_T9_mT8_S1C_bDpT10_ENKUlT_T0_E_clISt17integral_constantIbLb0EES1O_IbLb1EEEEDaS1K_S1L_EUlS1K_E_NS1_11comp_targetILNS1_3genE0ELNS1_11target_archE4294967295ELNS1_3gpuE0ELNS1_3repE0EEENS1_30default_config_static_selectorELNS0_4arch9wavefront6targetE1EEEvSY_, .Lfunc_end1006-_ZN7rocprim17ROCPRIM_400000_NS6detail17trampoline_kernelINS0_13select_configILj256ELj13ELNS0_17block_load_methodE3ELS4_3ELS4_3ELNS0_20block_scan_algorithmE0ELj4294967295EEENS1_25partition_config_selectorILNS1_17partition_subalgoE3EjNS0_10empty_typeEbEEZZNS1_14partition_implILS8_3ELb0ES6_jNS0_17counting_iteratorIjlEEPS9_SE_NS0_5tupleIJPjSE_EEENSF_IJSE_SE_EEES9_SG_JZNS1_25segmented_radix_sort_implINS0_14default_configELb0EPKsPsPKlPlN2at6native12_GLOBAL__N_18offset_tEEE10hipError_tPvRmT1_PNSt15iterator_traitsISY_E10value_typeET2_T3_PNSZ_IS14_E10value_typeET4_jRbjT5_S1A_jjP12ihipStream_tbEUljE_EEESV_SW_SX_S14_S18_S1A_T6_T7_T9_mT8_S1C_bDpT10_ENKUlT_T0_E_clISt17integral_constantIbLb0EES1O_IbLb1EEEEDaS1K_S1L_EUlS1K_E_NS1_11comp_targetILNS1_3genE0ELNS1_11target_archE4294967295ELNS1_3gpuE0ELNS1_3repE0EEENS1_30default_config_static_selectorELNS0_4arch9wavefront6targetE1EEEvSY_
                                        ; -- End function
	.set _ZN7rocprim17ROCPRIM_400000_NS6detail17trampoline_kernelINS0_13select_configILj256ELj13ELNS0_17block_load_methodE3ELS4_3ELS4_3ELNS0_20block_scan_algorithmE0ELj4294967295EEENS1_25partition_config_selectorILNS1_17partition_subalgoE3EjNS0_10empty_typeEbEEZZNS1_14partition_implILS8_3ELb0ES6_jNS0_17counting_iteratorIjlEEPS9_SE_NS0_5tupleIJPjSE_EEENSF_IJSE_SE_EEES9_SG_JZNS1_25segmented_radix_sort_implINS0_14default_configELb0EPKsPsPKlPlN2at6native12_GLOBAL__N_18offset_tEEE10hipError_tPvRmT1_PNSt15iterator_traitsISY_E10value_typeET2_T3_PNSZ_IS14_E10value_typeET4_jRbjT5_S1A_jjP12ihipStream_tbEUljE_EEESV_SW_SX_S14_S18_S1A_T6_T7_T9_mT8_S1C_bDpT10_ENKUlT_T0_E_clISt17integral_constantIbLb0EES1O_IbLb1EEEEDaS1K_S1L_EUlS1K_E_NS1_11comp_targetILNS1_3genE0ELNS1_11target_archE4294967295ELNS1_3gpuE0ELNS1_3repE0EEENS1_30default_config_static_selectorELNS0_4arch9wavefront6targetE1EEEvSY_.num_vgpr, 0
	.set _ZN7rocprim17ROCPRIM_400000_NS6detail17trampoline_kernelINS0_13select_configILj256ELj13ELNS0_17block_load_methodE3ELS4_3ELS4_3ELNS0_20block_scan_algorithmE0ELj4294967295EEENS1_25partition_config_selectorILNS1_17partition_subalgoE3EjNS0_10empty_typeEbEEZZNS1_14partition_implILS8_3ELb0ES6_jNS0_17counting_iteratorIjlEEPS9_SE_NS0_5tupleIJPjSE_EEENSF_IJSE_SE_EEES9_SG_JZNS1_25segmented_radix_sort_implINS0_14default_configELb0EPKsPsPKlPlN2at6native12_GLOBAL__N_18offset_tEEE10hipError_tPvRmT1_PNSt15iterator_traitsISY_E10value_typeET2_T3_PNSZ_IS14_E10value_typeET4_jRbjT5_S1A_jjP12ihipStream_tbEUljE_EEESV_SW_SX_S14_S18_S1A_T6_T7_T9_mT8_S1C_bDpT10_ENKUlT_T0_E_clISt17integral_constantIbLb0EES1O_IbLb1EEEEDaS1K_S1L_EUlS1K_E_NS1_11comp_targetILNS1_3genE0ELNS1_11target_archE4294967295ELNS1_3gpuE0ELNS1_3repE0EEENS1_30default_config_static_selectorELNS0_4arch9wavefront6targetE1EEEvSY_.num_agpr, 0
	.set _ZN7rocprim17ROCPRIM_400000_NS6detail17trampoline_kernelINS0_13select_configILj256ELj13ELNS0_17block_load_methodE3ELS4_3ELS4_3ELNS0_20block_scan_algorithmE0ELj4294967295EEENS1_25partition_config_selectorILNS1_17partition_subalgoE3EjNS0_10empty_typeEbEEZZNS1_14partition_implILS8_3ELb0ES6_jNS0_17counting_iteratorIjlEEPS9_SE_NS0_5tupleIJPjSE_EEENSF_IJSE_SE_EEES9_SG_JZNS1_25segmented_radix_sort_implINS0_14default_configELb0EPKsPsPKlPlN2at6native12_GLOBAL__N_18offset_tEEE10hipError_tPvRmT1_PNSt15iterator_traitsISY_E10value_typeET2_T3_PNSZ_IS14_E10value_typeET4_jRbjT5_S1A_jjP12ihipStream_tbEUljE_EEESV_SW_SX_S14_S18_S1A_T6_T7_T9_mT8_S1C_bDpT10_ENKUlT_T0_E_clISt17integral_constantIbLb0EES1O_IbLb1EEEEDaS1K_S1L_EUlS1K_E_NS1_11comp_targetILNS1_3genE0ELNS1_11target_archE4294967295ELNS1_3gpuE0ELNS1_3repE0EEENS1_30default_config_static_selectorELNS0_4arch9wavefront6targetE1EEEvSY_.numbered_sgpr, 0
	.set _ZN7rocprim17ROCPRIM_400000_NS6detail17trampoline_kernelINS0_13select_configILj256ELj13ELNS0_17block_load_methodE3ELS4_3ELS4_3ELNS0_20block_scan_algorithmE0ELj4294967295EEENS1_25partition_config_selectorILNS1_17partition_subalgoE3EjNS0_10empty_typeEbEEZZNS1_14partition_implILS8_3ELb0ES6_jNS0_17counting_iteratorIjlEEPS9_SE_NS0_5tupleIJPjSE_EEENSF_IJSE_SE_EEES9_SG_JZNS1_25segmented_radix_sort_implINS0_14default_configELb0EPKsPsPKlPlN2at6native12_GLOBAL__N_18offset_tEEE10hipError_tPvRmT1_PNSt15iterator_traitsISY_E10value_typeET2_T3_PNSZ_IS14_E10value_typeET4_jRbjT5_S1A_jjP12ihipStream_tbEUljE_EEESV_SW_SX_S14_S18_S1A_T6_T7_T9_mT8_S1C_bDpT10_ENKUlT_T0_E_clISt17integral_constantIbLb0EES1O_IbLb1EEEEDaS1K_S1L_EUlS1K_E_NS1_11comp_targetILNS1_3genE0ELNS1_11target_archE4294967295ELNS1_3gpuE0ELNS1_3repE0EEENS1_30default_config_static_selectorELNS0_4arch9wavefront6targetE1EEEvSY_.num_named_barrier, 0
	.set _ZN7rocprim17ROCPRIM_400000_NS6detail17trampoline_kernelINS0_13select_configILj256ELj13ELNS0_17block_load_methodE3ELS4_3ELS4_3ELNS0_20block_scan_algorithmE0ELj4294967295EEENS1_25partition_config_selectorILNS1_17partition_subalgoE3EjNS0_10empty_typeEbEEZZNS1_14partition_implILS8_3ELb0ES6_jNS0_17counting_iteratorIjlEEPS9_SE_NS0_5tupleIJPjSE_EEENSF_IJSE_SE_EEES9_SG_JZNS1_25segmented_radix_sort_implINS0_14default_configELb0EPKsPsPKlPlN2at6native12_GLOBAL__N_18offset_tEEE10hipError_tPvRmT1_PNSt15iterator_traitsISY_E10value_typeET2_T3_PNSZ_IS14_E10value_typeET4_jRbjT5_S1A_jjP12ihipStream_tbEUljE_EEESV_SW_SX_S14_S18_S1A_T6_T7_T9_mT8_S1C_bDpT10_ENKUlT_T0_E_clISt17integral_constantIbLb0EES1O_IbLb1EEEEDaS1K_S1L_EUlS1K_E_NS1_11comp_targetILNS1_3genE0ELNS1_11target_archE4294967295ELNS1_3gpuE0ELNS1_3repE0EEENS1_30default_config_static_selectorELNS0_4arch9wavefront6targetE1EEEvSY_.private_seg_size, 0
	.set _ZN7rocprim17ROCPRIM_400000_NS6detail17trampoline_kernelINS0_13select_configILj256ELj13ELNS0_17block_load_methodE3ELS4_3ELS4_3ELNS0_20block_scan_algorithmE0ELj4294967295EEENS1_25partition_config_selectorILNS1_17partition_subalgoE3EjNS0_10empty_typeEbEEZZNS1_14partition_implILS8_3ELb0ES6_jNS0_17counting_iteratorIjlEEPS9_SE_NS0_5tupleIJPjSE_EEENSF_IJSE_SE_EEES9_SG_JZNS1_25segmented_radix_sort_implINS0_14default_configELb0EPKsPsPKlPlN2at6native12_GLOBAL__N_18offset_tEEE10hipError_tPvRmT1_PNSt15iterator_traitsISY_E10value_typeET2_T3_PNSZ_IS14_E10value_typeET4_jRbjT5_S1A_jjP12ihipStream_tbEUljE_EEESV_SW_SX_S14_S18_S1A_T6_T7_T9_mT8_S1C_bDpT10_ENKUlT_T0_E_clISt17integral_constantIbLb0EES1O_IbLb1EEEEDaS1K_S1L_EUlS1K_E_NS1_11comp_targetILNS1_3genE0ELNS1_11target_archE4294967295ELNS1_3gpuE0ELNS1_3repE0EEENS1_30default_config_static_selectorELNS0_4arch9wavefront6targetE1EEEvSY_.uses_vcc, 0
	.set _ZN7rocprim17ROCPRIM_400000_NS6detail17trampoline_kernelINS0_13select_configILj256ELj13ELNS0_17block_load_methodE3ELS4_3ELS4_3ELNS0_20block_scan_algorithmE0ELj4294967295EEENS1_25partition_config_selectorILNS1_17partition_subalgoE3EjNS0_10empty_typeEbEEZZNS1_14partition_implILS8_3ELb0ES6_jNS0_17counting_iteratorIjlEEPS9_SE_NS0_5tupleIJPjSE_EEENSF_IJSE_SE_EEES9_SG_JZNS1_25segmented_radix_sort_implINS0_14default_configELb0EPKsPsPKlPlN2at6native12_GLOBAL__N_18offset_tEEE10hipError_tPvRmT1_PNSt15iterator_traitsISY_E10value_typeET2_T3_PNSZ_IS14_E10value_typeET4_jRbjT5_S1A_jjP12ihipStream_tbEUljE_EEESV_SW_SX_S14_S18_S1A_T6_T7_T9_mT8_S1C_bDpT10_ENKUlT_T0_E_clISt17integral_constantIbLb0EES1O_IbLb1EEEEDaS1K_S1L_EUlS1K_E_NS1_11comp_targetILNS1_3genE0ELNS1_11target_archE4294967295ELNS1_3gpuE0ELNS1_3repE0EEENS1_30default_config_static_selectorELNS0_4arch9wavefront6targetE1EEEvSY_.uses_flat_scratch, 0
	.set _ZN7rocprim17ROCPRIM_400000_NS6detail17trampoline_kernelINS0_13select_configILj256ELj13ELNS0_17block_load_methodE3ELS4_3ELS4_3ELNS0_20block_scan_algorithmE0ELj4294967295EEENS1_25partition_config_selectorILNS1_17partition_subalgoE3EjNS0_10empty_typeEbEEZZNS1_14partition_implILS8_3ELb0ES6_jNS0_17counting_iteratorIjlEEPS9_SE_NS0_5tupleIJPjSE_EEENSF_IJSE_SE_EEES9_SG_JZNS1_25segmented_radix_sort_implINS0_14default_configELb0EPKsPsPKlPlN2at6native12_GLOBAL__N_18offset_tEEE10hipError_tPvRmT1_PNSt15iterator_traitsISY_E10value_typeET2_T3_PNSZ_IS14_E10value_typeET4_jRbjT5_S1A_jjP12ihipStream_tbEUljE_EEESV_SW_SX_S14_S18_S1A_T6_T7_T9_mT8_S1C_bDpT10_ENKUlT_T0_E_clISt17integral_constantIbLb0EES1O_IbLb1EEEEDaS1K_S1L_EUlS1K_E_NS1_11comp_targetILNS1_3genE0ELNS1_11target_archE4294967295ELNS1_3gpuE0ELNS1_3repE0EEENS1_30default_config_static_selectorELNS0_4arch9wavefront6targetE1EEEvSY_.has_dyn_sized_stack, 0
	.set _ZN7rocprim17ROCPRIM_400000_NS6detail17trampoline_kernelINS0_13select_configILj256ELj13ELNS0_17block_load_methodE3ELS4_3ELS4_3ELNS0_20block_scan_algorithmE0ELj4294967295EEENS1_25partition_config_selectorILNS1_17partition_subalgoE3EjNS0_10empty_typeEbEEZZNS1_14partition_implILS8_3ELb0ES6_jNS0_17counting_iteratorIjlEEPS9_SE_NS0_5tupleIJPjSE_EEENSF_IJSE_SE_EEES9_SG_JZNS1_25segmented_radix_sort_implINS0_14default_configELb0EPKsPsPKlPlN2at6native12_GLOBAL__N_18offset_tEEE10hipError_tPvRmT1_PNSt15iterator_traitsISY_E10value_typeET2_T3_PNSZ_IS14_E10value_typeET4_jRbjT5_S1A_jjP12ihipStream_tbEUljE_EEESV_SW_SX_S14_S18_S1A_T6_T7_T9_mT8_S1C_bDpT10_ENKUlT_T0_E_clISt17integral_constantIbLb0EES1O_IbLb1EEEEDaS1K_S1L_EUlS1K_E_NS1_11comp_targetILNS1_3genE0ELNS1_11target_archE4294967295ELNS1_3gpuE0ELNS1_3repE0EEENS1_30default_config_static_selectorELNS0_4arch9wavefront6targetE1EEEvSY_.has_recursion, 0
	.set _ZN7rocprim17ROCPRIM_400000_NS6detail17trampoline_kernelINS0_13select_configILj256ELj13ELNS0_17block_load_methodE3ELS4_3ELS4_3ELNS0_20block_scan_algorithmE0ELj4294967295EEENS1_25partition_config_selectorILNS1_17partition_subalgoE3EjNS0_10empty_typeEbEEZZNS1_14partition_implILS8_3ELb0ES6_jNS0_17counting_iteratorIjlEEPS9_SE_NS0_5tupleIJPjSE_EEENSF_IJSE_SE_EEES9_SG_JZNS1_25segmented_radix_sort_implINS0_14default_configELb0EPKsPsPKlPlN2at6native12_GLOBAL__N_18offset_tEEE10hipError_tPvRmT1_PNSt15iterator_traitsISY_E10value_typeET2_T3_PNSZ_IS14_E10value_typeET4_jRbjT5_S1A_jjP12ihipStream_tbEUljE_EEESV_SW_SX_S14_S18_S1A_T6_T7_T9_mT8_S1C_bDpT10_ENKUlT_T0_E_clISt17integral_constantIbLb0EES1O_IbLb1EEEEDaS1K_S1L_EUlS1K_E_NS1_11comp_targetILNS1_3genE0ELNS1_11target_archE4294967295ELNS1_3gpuE0ELNS1_3repE0EEENS1_30default_config_static_selectorELNS0_4arch9wavefront6targetE1EEEvSY_.has_indirect_call, 0
	.section	.AMDGPU.csdata,"",@progbits
; Kernel info:
; codeLenInByte = 0
; TotalNumSgprs: 4
; NumVgprs: 0
; ScratchSize: 0
; MemoryBound: 0
; FloatMode: 240
; IeeeMode: 1
; LDSByteSize: 0 bytes/workgroup (compile time only)
; SGPRBlocks: 0
; VGPRBlocks: 0
; NumSGPRsForWavesPerEU: 4
; NumVGPRsForWavesPerEU: 1
; Occupancy: 10
; WaveLimiterHint : 0
; COMPUTE_PGM_RSRC2:SCRATCH_EN: 0
; COMPUTE_PGM_RSRC2:USER_SGPR: 6
; COMPUTE_PGM_RSRC2:TRAP_HANDLER: 0
; COMPUTE_PGM_RSRC2:TGID_X_EN: 1
; COMPUTE_PGM_RSRC2:TGID_Y_EN: 0
; COMPUTE_PGM_RSRC2:TGID_Z_EN: 0
; COMPUTE_PGM_RSRC2:TIDIG_COMP_CNT: 0
	.section	.text._ZN7rocprim17ROCPRIM_400000_NS6detail17trampoline_kernelINS0_13select_configILj256ELj13ELNS0_17block_load_methodE3ELS4_3ELS4_3ELNS0_20block_scan_algorithmE0ELj4294967295EEENS1_25partition_config_selectorILNS1_17partition_subalgoE3EjNS0_10empty_typeEbEEZZNS1_14partition_implILS8_3ELb0ES6_jNS0_17counting_iteratorIjlEEPS9_SE_NS0_5tupleIJPjSE_EEENSF_IJSE_SE_EEES9_SG_JZNS1_25segmented_radix_sort_implINS0_14default_configELb0EPKsPsPKlPlN2at6native12_GLOBAL__N_18offset_tEEE10hipError_tPvRmT1_PNSt15iterator_traitsISY_E10value_typeET2_T3_PNSZ_IS14_E10value_typeET4_jRbjT5_S1A_jjP12ihipStream_tbEUljE_EEESV_SW_SX_S14_S18_S1A_T6_T7_T9_mT8_S1C_bDpT10_ENKUlT_T0_E_clISt17integral_constantIbLb0EES1O_IbLb1EEEEDaS1K_S1L_EUlS1K_E_NS1_11comp_targetILNS1_3genE5ELNS1_11target_archE942ELNS1_3gpuE9ELNS1_3repE0EEENS1_30default_config_static_selectorELNS0_4arch9wavefront6targetE1EEEvSY_,"axG",@progbits,_ZN7rocprim17ROCPRIM_400000_NS6detail17trampoline_kernelINS0_13select_configILj256ELj13ELNS0_17block_load_methodE3ELS4_3ELS4_3ELNS0_20block_scan_algorithmE0ELj4294967295EEENS1_25partition_config_selectorILNS1_17partition_subalgoE3EjNS0_10empty_typeEbEEZZNS1_14partition_implILS8_3ELb0ES6_jNS0_17counting_iteratorIjlEEPS9_SE_NS0_5tupleIJPjSE_EEENSF_IJSE_SE_EEES9_SG_JZNS1_25segmented_radix_sort_implINS0_14default_configELb0EPKsPsPKlPlN2at6native12_GLOBAL__N_18offset_tEEE10hipError_tPvRmT1_PNSt15iterator_traitsISY_E10value_typeET2_T3_PNSZ_IS14_E10value_typeET4_jRbjT5_S1A_jjP12ihipStream_tbEUljE_EEESV_SW_SX_S14_S18_S1A_T6_T7_T9_mT8_S1C_bDpT10_ENKUlT_T0_E_clISt17integral_constantIbLb0EES1O_IbLb1EEEEDaS1K_S1L_EUlS1K_E_NS1_11comp_targetILNS1_3genE5ELNS1_11target_archE942ELNS1_3gpuE9ELNS1_3repE0EEENS1_30default_config_static_selectorELNS0_4arch9wavefront6targetE1EEEvSY_,comdat
	.globl	_ZN7rocprim17ROCPRIM_400000_NS6detail17trampoline_kernelINS0_13select_configILj256ELj13ELNS0_17block_load_methodE3ELS4_3ELS4_3ELNS0_20block_scan_algorithmE0ELj4294967295EEENS1_25partition_config_selectorILNS1_17partition_subalgoE3EjNS0_10empty_typeEbEEZZNS1_14partition_implILS8_3ELb0ES6_jNS0_17counting_iteratorIjlEEPS9_SE_NS0_5tupleIJPjSE_EEENSF_IJSE_SE_EEES9_SG_JZNS1_25segmented_radix_sort_implINS0_14default_configELb0EPKsPsPKlPlN2at6native12_GLOBAL__N_18offset_tEEE10hipError_tPvRmT1_PNSt15iterator_traitsISY_E10value_typeET2_T3_PNSZ_IS14_E10value_typeET4_jRbjT5_S1A_jjP12ihipStream_tbEUljE_EEESV_SW_SX_S14_S18_S1A_T6_T7_T9_mT8_S1C_bDpT10_ENKUlT_T0_E_clISt17integral_constantIbLb0EES1O_IbLb1EEEEDaS1K_S1L_EUlS1K_E_NS1_11comp_targetILNS1_3genE5ELNS1_11target_archE942ELNS1_3gpuE9ELNS1_3repE0EEENS1_30default_config_static_selectorELNS0_4arch9wavefront6targetE1EEEvSY_ ; -- Begin function _ZN7rocprim17ROCPRIM_400000_NS6detail17trampoline_kernelINS0_13select_configILj256ELj13ELNS0_17block_load_methodE3ELS4_3ELS4_3ELNS0_20block_scan_algorithmE0ELj4294967295EEENS1_25partition_config_selectorILNS1_17partition_subalgoE3EjNS0_10empty_typeEbEEZZNS1_14partition_implILS8_3ELb0ES6_jNS0_17counting_iteratorIjlEEPS9_SE_NS0_5tupleIJPjSE_EEENSF_IJSE_SE_EEES9_SG_JZNS1_25segmented_radix_sort_implINS0_14default_configELb0EPKsPsPKlPlN2at6native12_GLOBAL__N_18offset_tEEE10hipError_tPvRmT1_PNSt15iterator_traitsISY_E10value_typeET2_T3_PNSZ_IS14_E10value_typeET4_jRbjT5_S1A_jjP12ihipStream_tbEUljE_EEESV_SW_SX_S14_S18_S1A_T6_T7_T9_mT8_S1C_bDpT10_ENKUlT_T0_E_clISt17integral_constantIbLb0EES1O_IbLb1EEEEDaS1K_S1L_EUlS1K_E_NS1_11comp_targetILNS1_3genE5ELNS1_11target_archE942ELNS1_3gpuE9ELNS1_3repE0EEENS1_30default_config_static_selectorELNS0_4arch9wavefront6targetE1EEEvSY_
	.p2align	8
	.type	_ZN7rocprim17ROCPRIM_400000_NS6detail17trampoline_kernelINS0_13select_configILj256ELj13ELNS0_17block_load_methodE3ELS4_3ELS4_3ELNS0_20block_scan_algorithmE0ELj4294967295EEENS1_25partition_config_selectorILNS1_17partition_subalgoE3EjNS0_10empty_typeEbEEZZNS1_14partition_implILS8_3ELb0ES6_jNS0_17counting_iteratorIjlEEPS9_SE_NS0_5tupleIJPjSE_EEENSF_IJSE_SE_EEES9_SG_JZNS1_25segmented_radix_sort_implINS0_14default_configELb0EPKsPsPKlPlN2at6native12_GLOBAL__N_18offset_tEEE10hipError_tPvRmT1_PNSt15iterator_traitsISY_E10value_typeET2_T3_PNSZ_IS14_E10value_typeET4_jRbjT5_S1A_jjP12ihipStream_tbEUljE_EEESV_SW_SX_S14_S18_S1A_T6_T7_T9_mT8_S1C_bDpT10_ENKUlT_T0_E_clISt17integral_constantIbLb0EES1O_IbLb1EEEEDaS1K_S1L_EUlS1K_E_NS1_11comp_targetILNS1_3genE5ELNS1_11target_archE942ELNS1_3gpuE9ELNS1_3repE0EEENS1_30default_config_static_selectorELNS0_4arch9wavefront6targetE1EEEvSY_,@function
_ZN7rocprim17ROCPRIM_400000_NS6detail17trampoline_kernelINS0_13select_configILj256ELj13ELNS0_17block_load_methodE3ELS4_3ELS4_3ELNS0_20block_scan_algorithmE0ELj4294967295EEENS1_25partition_config_selectorILNS1_17partition_subalgoE3EjNS0_10empty_typeEbEEZZNS1_14partition_implILS8_3ELb0ES6_jNS0_17counting_iteratorIjlEEPS9_SE_NS0_5tupleIJPjSE_EEENSF_IJSE_SE_EEES9_SG_JZNS1_25segmented_radix_sort_implINS0_14default_configELb0EPKsPsPKlPlN2at6native12_GLOBAL__N_18offset_tEEE10hipError_tPvRmT1_PNSt15iterator_traitsISY_E10value_typeET2_T3_PNSZ_IS14_E10value_typeET4_jRbjT5_S1A_jjP12ihipStream_tbEUljE_EEESV_SW_SX_S14_S18_S1A_T6_T7_T9_mT8_S1C_bDpT10_ENKUlT_T0_E_clISt17integral_constantIbLb0EES1O_IbLb1EEEEDaS1K_S1L_EUlS1K_E_NS1_11comp_targetILNS1_3genE5ELNS1_11target_archE942ELNS1_3gpuE9ELNS1_3repE0EEENS1_30default_config_static_selectorELNS0_4arch9wavefront6targetE1EEEvSY_: ; @_ZN7rocprim17ROCPRIM_400000_NS6detail17trampoline_kernelINS0_13select_configILj256ELj13ELNS0_17block_load_methodE3ELS4_3ELS4_3ELNS0_20block_scan_algorithmE0ELj4294967295EEENS1_25partition_config_selectorILNS1_17partition_subalgoE3EjNS0_10empty_typeEbEEZZNS1_14partition_implILS8_3ELb0ES6_jNS0_17counting_iteratorIjlEEPS9_SE_NS0_5tupleIJPjSE_EEENSF_IJSE_SE_EEES9_SG_JZNS1_25segmented_radix_sort_implINS0_14default_configELb0EPKsPsPKlPlN2at6native12_GLOBAL__N_18offset_tEEE10hipError_tPvRmT1_PNSt15iterator_traitsISY_E10value_typeET2_T3_PNSZ_IS14_E10value_typeET4_jRbjT5_S1A_jjP12ihipStream_tbEUljE_EEESV_SW_SX_S14_S18_S1A_T6_T7_T9_mT8_S1C_bDpT10_ENKUlT_T0_E_clISt17integral_constantIbLb0EES1O_IbLb1EEEEDaS1K_S1L_EUlS1K_E_NS1_11comp_targetILNS1_3genE5ELNS1_11target_archE942ELNS1_3gpuE9ELNS1_3repE0EEENS1_30default_config_static_selectorELNS0_4arch9wavefront6targetE1EEEvSY_
; %bb.0:
	.section	.rodata,"a",@progbits
	.p2align	6, 0x0
	.amdhsa_kernel _ZN7rocprim17ROCPRIM_400000_NS6detail17trampoline_kernelINS0_13select_configILj256ELj13ELNS0_17block_load_methodE3ELS4_3ELS4_3ELNS0_20block_scan_algorithmE0ELj4294967295EEENS1_25partition_config_selectorILNS1_17partition_subalgoE3EjNS0_10empty_typeEbEEZZNS1_14partition_implILS8_3ELb0ES6_jNS0_17counting_iteratorIjlEEPS9_SE_NS0_5tupleIJPjSE_EEENSF_IJSE_SE_EEES9_SG_JZNS1_25segmented_radix_sort_implINS0_14default_configELb0EPKsPsPKlPlN2at6native12_GLOBAL__N_18offset_tEEE10hipError_tPvRmT1_PNSt15iterator_traitsISY_E10value_typeET2_T3_PNSZ_IS14_E10value_typeET4_jRbjT5_S1A_jjP12ihipStream_tbEUljE_EEESV_SW_SX_S14_S18_S1A_T6_T7_T9_mT8_S1C_bDpT10_ENKUlT_T0_E_clISt17integral_constantIbLb0EES1O_IbLb1EEEEDaS1K_S1L_EUlS1K_E_NS1_11comp_targetILNS1_3genE5ELNS1_11target_archE942ELNS1_3gpuE9ELNS1_3repE0EEENS1_30default_config_static_selectorELNS0_4arch9wavefront6targetE1EEEvSY_
		.amdhsa_group_segment_fixed_size 0
		.amdhsa_private_segment_fixed_size 0
		.amdhsa_kernarg_size 152
		.amdhsa_user_sgpr_count 6
		.amdhsa_user_sgpr_private_segment_buffer 1
		.amdhsa_user_sgpr_dispatch_ptr 0
		.amdhsa_user_sgpr_queue_ptr 0
		.amdhsa_user_sgpr_kernarg_segment_ptr 1
		.amdhsa_user_sgpr_dispatch_id 0
		.amdhsa_user_sgpr_flat_scratch_init 0
		.amdhsa_user_sgpr_private_segment_size 0
		.amdhsa_uses_dynamic_stack 0
		.amdhsa_system_sgpr_private_segment_wavefront_offset 0
		.amdhsa_system_sgpr_workgroup_id_x 1
		.amdhsa_system_sgpr_workgroup_id_y 0
		.amdhsa_system_sgpr_workgroup_id_z 0
		.amdhsa_system_sgpr_workgroup_info 0
		.amdhsa_system_vgpr_workitem_id 0
		.amdhsa_next_free_vgpr 1
		.amdhsa_next_free_sgpr 0
		.amdhsa_reserve_vcc 0
		.amdhsa_reserve_flat_scratch 0
		.amdhsa_float_round_mode_32 0
		.amdhsa_float_round_mode_16_64 0
		.amdhsa_float_denorm_mode_32 3
		.amdhsa_float_denorm_mode_16_64 3
		.amdhsa_dx10_clamp 1
		.amdhsa_ieee_mode 1
		.amdhsa_fp16_overflow 0
		.amdhsa_exception_fp_ieee_invalid_op 0
		.amdhsa_exception_fp_denorm_src 0
		.amdhsa_exception_fp_ieee_div_zero 0
		.amdhsa_exception_fp_ieee_overflow 0
		.amdhsa_exception_fp_ieee_underflow 0
		.amdhsa_exception_fp_ieee_inexact 0
		.amdhsa_exception_int_div_zero 0
	.end_amdhsa_kernel
	.section	.text._ZN7rocprim17ROCPRIM_400000_NS6detail17trampoline_kernelINS0_13select_configILj256ELj13ELNS0_17block_load_methodE3ELS4_3ELS4_3ELNS0_20block_scan_algorithmE0ELj4294967295EEENS1_25partition_config_selectorILNS1_17partition_subalgoE3EjNS0_10empty_typeEbEEZZNS1_14partition_implILS8_3ELb0ES6_jNS0_17counting_iteratorIjlEEPS9_SE_NS0_5tupleIJPjSE_EEENSF_IJSE_SE_EEES9_SG_JZNS1_25segmented_radix_sort_implINS0_14default_configELb0EPKsPsPKlPlN2at6native12_GLOBAL__N_18offset_tEEE10hipError_tPvRmT1_PNSt15iterator_traitsISY_E10value_typeET2_T3_PNSZ_IS14_E10value_typeET4_jRbjT5_S1A_jjP12ihipStream_tbEUljE_EEESV_SW_SX_S14_S18_S1A_T6_T7_T9_mT8_S1C_bDpT10_ENKUlT_T0_E_clISt17integral_constantIbLb0EES1O_IbLb1EEEEDaS1K_S1L_EUlS1K_E_NS1_11comp_targetILNS1_3genE5ELNS1_11target_archE942ELNS1_3gpuE9ELNS1_3repE0EEENS1_30default_config_static_selectorELNS0_4arch9wavefront6targetE1EEEvSY_,"axG",@progbits,_ZN7rocprim17ROCPRIM_400000_NS6detail17trampoline_kernelINS0_13select_configILj256ELj13ELNS0_17block_load_methodE3ELS4_3ELS4_3ELNS0_20block_scan_algorithmE0ELj4294967295EEENS1_25partition_config_selectorILNS1_17partition_subalgoE3EjNS0_10empty_typeEbEEZZNS1_14partition_implILS8_3ELb0ES6_jNS0_17counting_iteratorIjlEEPS9_SE_NS0_5tupleIJPjSE_EEENSF_IJSE_SE_EEES9_SG_JZNS1_25segmented_radix_sort_implINS0_14default_configELb0EPKsPsPKlPlN2at6native12_GLOBAL__N_18offset_tEEE10hipError_tPvRmT1_PNSt15iterator_traitsISY_E10value_typeET2_T3_PNSZ_IS14_E10value_typeET4_jRbjT5_S1A_jjP12ihipStream_tbEUljE_EEESV_SW_SX_S14_S18_S1A_T6_T7_T9_mT8_S1C_bDpT10_ENKUlT_T0_E_clISt17integral_constantIbLb0EES1O_IbLb1EEEEDaS1K_S1L_EUlS1K_E_NS1_11comp_targetILNS1_3genE5ELNS1_11target_archE942ELNS1_3gpuE9ELNS1_3repE0EEENS1_30default_config_static_selectorELNS0_4arch9wavefront6targetE1EEEvSY_,comdat
.Lfunc_end1007:
	.size	_ZN7rocprim17ROCPRIM_400000_NS6detail17trampoline_kernelINS0_13select_configILj256ELj13ELNS0_17block_load_methodE3ELS4_3ELS4_3ELNS0_20block_scan_algorithmE0ELj4294967295EEENS1_25partition_config_selectorILNS1_17partition_subalgoE3EjNS0_10empty_typeEbEEZZNS1_14partition_implILS8_3ELb0ES6_jNS0_17counting_iteratorIjlEEPS9_SE_NS0_5tupleIJPjSE_EEENSF_IJSE_SE_EEES9_SG_JZNS1_25segmented_radix_sort_implINS0_14default_configELb0EPKsPsPKlPlN2at6native12_GLOBAL__N_18offset_tEEE10hipError_tPvRmT1_PNSt15iterator_traitsISY_E10value_typeET2_T3_PNSZ_IS14_E10value_typeET4_jRbjT5_S1A_jjP12ihipStream_tbEUljE_EEESV_SW_SX_S14_S18_S1A_T6_T7_T9_mT8_S1C_bDpT10_ENKUlT_T0_E_clISt17integral_constantIbLb0EES1O_IbLb1EEEEDaS1K_S1L_EUlS1K_E_NS1_11comp_targetILNS1_3genE5ELNS1_11target_archE942ELNS1_3gpuE9ELNS1_3repE0EEENS1_30default_config_static_selectorELNS0_4arch9wavefront6targetE1EEEvSY_, .Lfunc_end1007-_ZN7rocprim17ROCPRIM_400000_NS6detail17trampoline_kernelINS0_13select_configILj256ELj13ELNS0_17block_load_methodE3ELS4_3ELS4_3ELNS0_20block_scan_algorithmE0ELj4294967295EEENS1_25partition_config_selectorILNS1_17partition_subalgoE3EjNS0_10empty_typeEbEEZZNS1_14partition_implILS8_3ELb0ES6_jNS0_17counting_iteratorIjlEEPS9_SE_NS0_5tupleIJPjSE_EEENSF_IJSE_SE_EEES9_SG_JZNS1_25segmented_radix_sort_implINS0_14default_configELb0EPKsPsPKlPlN2at6native12_GLOBAL__N_18offset_tEEE10hipError_tPvRmT1_PNSt15iterator_traitsISY_E10value_typeET2_T3_PNSZ_IS14_E10value_typeET4_jRbjT5_S1A_jjP12ihipStream_tbEUljE_EEESV_SW_SX_S14_S18_S1A_T6_T7_T9_mT8_S1C_bDpT10_ENKUlT_T0_E_clISt17integral_constantIbLb0EES1O_IbLb1EEEEDaS1K_S1L_EUlS1K_E_NS1_11comp_targetILNS1_3genE5ELNS1_11target_archE942ELNS1_3gpuE9ELNS1_3repE0EEENS1_30default_config_static_selectorELNS0_4arch9wavefront6targetE1EEEvSY_
                                        ; -- End function
	.set _ZN7rocprim17ROCPRIM_400000_NS6detail17trampoline_kernelINS0_13select_configILj256ELj13ELNS0_17block_load_methodE3ELS4_3ELS4_3ELNS0_20block_scan_algorithmE0ELj4294967295EEENS1_25partition_config_selectorILNS1_17partition_subalgoE3EjNS0_10empty_typeEbEEZZNS1_14partition_implILS8_3ELb0ES6_jNS0_17counting_iteratorIjlEEPS9_SE_NS0_5tupleIJPjSE_EEENSF_IJSE_SE_EEES9_SG_JZNS1_25segmented_radix_sort_implINS0_14default_configELb0EPKsPsPKlPlN2at6native12_GLOBAL__N_18offset_tEEE10hipError_tPvRmT1_PNSt15iterator_traitsISY_E10value_typeET2_T3_PNSZ_IS14_E10value_typeET4_jRbjT5_S1A_jjP12ihipStream_tbEUljE_EEESV_SW_SX_S14_S18_S1A_T6_T7_T9_mT8_S1C_bDpT10_ENKUlT_T0_E_clISt17integral_constantIbLb0EES1O_IbLb1EEEEDaS1K_S1L_EUlS1K_E_NS1_11comp_targetILNS1_3genE5ELNS1_11target_archE942ELNS1_3gpuE9ELNS1_3repE0EEENS1_30default_config_static_selectorELNS0_4arch9wavefront6targetE1EEEvSY_.num_vgpr, 0
	.set _ZN7rocprim17ROCPRIM_400000_NS6detail17trampoline_kernelINS0_13select_configILj256ELj13ELNS0_17block_load_methodE3ELS4_3ELS4_3ELNS0_20block_scan_algorithmE0ELj4294967295EEENS1_25partition_config_selectorILNS1_17partition_subalgoE3EjNS0_10empty_typeEbEEZZNS1_14partition_implILS8_3ELb0ES6_jNS0_17counting_iteratorIjlEEPS9_SE_NS0_5tupleIJPjSE_EEENSF_IJSE_SE_EEES9_SG_JZNS1_25segmented_radix_sort_implINS0_14default_configELb0EPKsPsPKlPlN2at6native12_GLOBAL__N_18offset_tEEE10hipError_tPvRmT1_PNSt15iterator_traitsISY_E10value_typeET2_T3_PNSZ_IS14_E10value_typeET4_jRbjT5_S1A_jjP12ihipStream_tbEUljE_EEESV_SW_SX_S14_S18_S1A_T6_T7_T9_mT8_S1C_bDpT10_ENKUlT_T0_E_clISt17integral_constantIbLb0EES1O_IbLb1EEEEDaS1K_S1L_EUlS1K_E_NS1_11comp_targetILNS1_3genE5ELNS1_11target_archE942ELNS1_3gpuE9ELNS1_3repE0EEENS1_30default_config_static_selectorELNS0_4arch9wavefront6targetE1EEEvSY_.num_agpr, 0
	.set _ZN7rocprim17ROCPRIM_400000_NS6detail17trampoline_kernelINS0_13select_configILj256ELj13ELNS0_17block_load_methodE3ELS4_3ELS4_3ELNS0_20block_scan_algorithmE0ELj4294967295EEENS1_25partition_config_selectorILNS1_17partition_subalgoE3EjNS0_10empty_typeEbEEZZNS1_14partition_implILS8_3ELb0ES6_jNS0_17counting_iteratorIjlEEPS9_SE_NS0_5tupleIJPjSE_EEENSF_IJSE_SE_EEES9_SG_JZNS1_25segmented_radix_sort_implINS0_14default_configELb0EPKsPsPKlPlN2at6native12_GLOBAL__N_18offset_tEEE10hipError_tPvRmT1_PNSt15iterator_traitsISY_E10value_typeET2_T3_PNSZ_IS14_E10value_typeET4_jRbjT5_S1A_jjP12ihipStream_tbEUljE_EEESV_SW_SX_S14_S18_S1A_T6_T7_T9_mT8_S1C_bDpT10_ENKUlT_T0_E_clISt17integral_constantIbLb0EES1O_IbLb1EEEEDaS1K_S1L_EUlS1K_E_NS1_11comp_targetILNS1_3genE5ELNS1_11target_archE942ELNS1_3gpuE9ELNS1_3repE0EEENS1_30default_config_static_selectorELNS0_4arch9wavefront6targetE1EEEvSY_.numbered_sgpr, 0
	.set _ZN7rocprim17ROCPRIM_400000_NS6detail17trampoline_kernelINS0_13select_configILj256ELj13ELNS0_17block_load_methodE3ELS4_3ELS4_3ELNS0_20block_scan_algorithmE0ELj4294967295EEENS1_25partition_config_selectorILNS1_17partition_subalgoE3EjNS0_10empty_typeEbEEZZNS1_14partition_implILS8_3ELb0ES6_jNS0_17counting_iteratorIjlEEPS9_SE_NS0_5tupleIJPjSE_EEENSF_IJSE_SE_EEES9_SG_JZNS1_25segmented_radix_sort_implINS0_14default_configELb0EPKsPsPKlPlN2at6native12_GLOBAL__N_18offset_tEEE10hipError_tPvRmT1_PNSt15iterator_traitsISY_E10value_typeET2_T3_PNSZ_IS14_E10value_typeET4_jRbjT5_S1A_jjP12ihipStream_tbEUljE_EEESV_SW_SX_S14_S18_S1A_T6_T7_T9_mT8_S1C_bDpT10_ENKUlT_T0_E_clISt17integral_constantIbLb0EES1O_IbLb1EEEEDaS1K_S1L_EUlS1K_E_NS1_11comp_targetILNS1_3genE5ELNS1_11target_archE942ELNS1_3gpuE9ELNS1_3repE0EEENS1_30default_config_static_selectorELNS0_4arch9wavefront6targetE1EEEvSY_.num_named_barrier, 0
	.set _ZN7rocprim17ROCPRIM_400000_NS6detail17trampoline_kernelINS0_13select_configILj256ELj13ELNS0_17block_load_methodE3ELS4_3ELS4_3ELNS0_20block_scan_algorithmE0ELj4294967295EEENS1_25partition_config_selectorILNS1_17partition_subalgoE3EjNS0_10empty_typeEbEEZZNS1_14partition_implILS8_3ELb0ES6_jNS0_17counting_iteratorIjlEEPS9_SE_NS0_5tupleIJPjSE_EEENSF_IJSE_SE_EEES9_SG_JZNS1_25segmented_radix_sort_implINS0_14default_configELb0EPKsPsPKlPlN2at6native12_GLOBAL__N_18offset_tEEE10hipError_tPvRmT1_PNSt15iterator_traitsISY_E10value_typeET2_T3_PNSZ_IS14_E10value_typeET4_jRbjT5_S1A_jjP12ihipStream_tbEUljE_EEESV_SW_SX_S14_S18_S1A_T6_T7_T9_mT8_S1C_bDpT10_ENKUlT_T0_E_clISt17integral_constantIbLb0EES1O_IbLb1EEEEDaS1K_S1L_EUlS1K_E_NS1_11comp_targetILNS1_3genE5ELNS1_11target_archE942ELNS1_3gpuE9ELNS1_3repE0EEENS1_30default_config_static_selectorELNS0_4arch9wavefront6targetE1EEEvSY_.private_seg_size, 0
	.set _ZN7rocprim17ROCPRIM_400000_NS6detail17trampoline_kernelINS0_13select_configILj256ELj13ELNS0_17block_load_methodE3ELS4_3ELS4_3ELNS0_20block_scan_algorithmE0ELj4294967295EEENS1_25partition_config_selectorILNS1_17partition_subalgoE3EjNS0_10empty_typeEbEEZZNS1_14partition_implILS8_3ELb0ES6_jNS0_17counting_iteratorIjlEEPS9_SE_NS0_5tupleIJPjSE_EEENSF_IJSE_SE_EEES9_SG_JZNS1_25segmented_radix_sort_implINS0_14default_configELb0EPKsPsPKlPlN2at6native12_GLOBAL__N_18offset_tEEE10hipError_tPvRmT1_PNSt15iterator_traitsISY_E10value_typeET2_T3_PNSZ_IS14_E10value_typeET4_jRbjT5_S1A_jjP12ihipStream_tbEUljE_EEESV_SW_SX_S14_S18_S1A_T6_T7_T9_mT8_S1C_bDpT10_ENKUlT_T0_E_clISt17integral_constantIbLb0EES1O_IbLb1EEEEDaS1K_S1L_EUlS1K_E_NS1_11comp_targetILNS1_3genE5ELNS1_11target_archE942ELNS1_3gpuE9ELNS1_3repE0EEENS1_30default_config_static_selectorELNS0_4arch9wavefront6targetE1EEEvSY_.uses_vcc, 0
	.set _ZN7rocprim17ROCPRIM_400000_NS6detail17trampoline_kernelINS0_13select_configILj256ELj13ELNS0_17block_load_methodE3ELS4_3ELS4_3ELNS0_20block_scan_algorithmE0ELj4294967295EEENS1_25partition_config_selectorILNS1_17partition_subalgoE3EjNS0_10empty_typeEbEEZZNS1_14partition_implILS8_3ELb0ES6_jNS0_17counting_iteratorIjlEEPS9_SE_NS0_5tupleIJPjSE_EEENSF_IJSE_SE_EEES9_SG_JZNS1_25segmented_radix_sort_implINS0_14default_configELb0EPKsPsPKlPlN2at6native12_GLOBAL__N_18offset_tEEE10hipError_tPvRmT1_PNSt15iterator_traitsISY_E10value_typeET2_T3_PNSZ_IS14_E10value_typeET4_jRbjT5_S1A_jjP12ihipStream_tbEUljE_EEESV_SW_SX_S14_S18_S1A_T6_T7_T9_mT8_S1C_bDpT10_ENKUlT_T0_E_clISt17integral_constantIbLb0EES1O_IbLb1EEEEDaS1K_S1L_EUlS1K_E_NS1_11comp_targetILNS1_3genE5ELNS1_11target_archE942ELNS1_3gpuE9ELNS1_3repE0EEENS1_30default_config_static_selectorELNS0_4arch9wavefront6targetE1EEEvSY_.uses_flat_scratch, 0
	.set _ZN7rocprim17ROCPRIM_400000_NS6detail17trampoline_kernelINS0_13select_configILj256ELj13ELNS0_17block_load_methodE3ELS4_3ELS4_3ELNS0_20block_scan_algorithmE0ELj4294967295EEENS1_25partition_config_selectorILNS1_17partition_subalgoE3EjNS0_10empty_typeEbEEZZNS1_14partition_implILS8_3ELb0ES6_jNS0_17counting_iteratorIjlEEPS9_SE_NS0_5tupleIJPjSE_EEENSF_IJSE_SE_EEES9_SG_JZNS1_25segmented_radix_sort_implINS0_14default_configELb0EPKsPsPKlPlN2at6native12_GLOBAL__N_18offset_tEEE10hipError_tPvRmT1_PNSt15iterator_traitsISY_E10value_typeET2_T3_PNSZ_IS14_E10value_typeET4_jRbjT5_S1A_jjP12ihipStream_tbEUljE_EEESV_SW_SX_S14_S18_S1A_T6_T7_T9_mT8_S1C_bDpT10_ENKUlT_T0_E_clISt17integral_constantIbLb0EES1O_IbLb1EEEEDaS1K_S1L_EUlS1K_E_NS1_11comp_targetILNS1_3genE5ELNS1_11target_archE942ELNS1_3gpuE9ELNS1_3repE0EEENS1_30default_config_static_selectorELNS0_4arch9wavefront6targetE1EEEvSY_.has_dyn_sized_stack, 0
	.set _ZN7rocprim17ROCPRIM_400000_NS6detail17trampoline_kernelINS0_13select_configILj256ELj13ELNS0_17block_load_methodE3ELS4_3ELS4_3ELNS0_20block_scan_algorithmE0ELj4294967295EEENS1_25partition_config_selectorILNS1_17partition_subalgoE3EjNS0_10empty_typeEbEEZZNS1_14partition_implILS8_3ELb0ES6_jNS0_17counting_iteratorIjlEEPS9_SE_NS0_5tupleIJPjSE_EEENSF_IJSE_SE_EEES9_SG_JZNS1_25segmented_radix_sort_implINS0_14default_configELb0EPKsPsPKlPlN2at6native12_GLOBAL__N_18offset_tEEE10hipError_tPvRmT1_PNSt15iterator_traitsISY_E10value_typeET2_T3_PNSZ_IS14_E10value_typeET4_jRbjT5_S1A_jjP12ihipStream_tbEUljE_EEESV_SW_SX_S14_S18_S1A_T6_T7_T9_mT8_S1C_bDpT10_ENKUlT_T0_E_clISt17integral_constantIbLb0EES1O_IbLb1EEEEDaS1K_S1L_EUlS1K_E_NS1_11comp_targetILNS1_3genE5ELNS1_11target_archE942ELNS1_3gpuE9ELNS1_3repE0EEENS1_30default_config_static_selectorELNS0_4arch9wavefront6targetE1EEEvSY_.has_recursion, 0
	.set _ZN7rocprim17ROCPRIM_400000_NS6detail17trampoline_kernelINS0_13select_configILj256ELj13ELNS0_17block_load_methodE3ELS4_3ELS4_3ELNS0_20block_scan_algorithmE0ELj4294967295EEENS1_25partition_config_selectorILNS1_17partition_subalgoE3EjNS0_10empty_typeEbEEZZNS1_14partition_implILS8_3ELb0ES6_jNS0_17counting_iteratorIjlEEPS9_SE_NS0_5tupleIJPjSE_EEENSF_IJSE_SE_EEES9_SG_JZNS1_25segmented_radix_sort_implINS0_14default_configELb0EPKsPsPKlPlN2at6native12_GLOBAL__N_18offset_tEEE10hipError_tPvRmT1_PNSt15iterator_traitsISY_E10value_typeET2_T3_PNSZ_IS14_E10value_typeET4_jRbjT5_S1A_jjP12ihipStream_tbEUljE_EEESV_SW_SX_S14_S18_S1A_T6_T7_T9_mT8_S1C_bDpT10_ENKUlT_T0_E_clISt17integral_constantIbLb0EES1O_IbLb1EEEEDaS1K_S1L_EUlS1K_E_NS1_11comp_targetILNS1_3genE5ELNS1_11target_archE942ELNS1_3gpuE9ELNS1_3repE0EEENS1_30default_config_static_selectorELNS0_4arch9wavefront6targetE1EEEvSY_.has_indirect_call, 0
	.section	.AMDGPU.csdata,"",@progbits
; Kernel info:
; codeLenInByte = 0
; TotalNumSgprs: 4
; NumVgprs: 0
; ScratchSize: 0
; MemoryBound: 0
; FloatMode: 240
; IeeeMode: 1
; LDSByteSize: 0 bytes/workgroup (compile time only)
; SGPRBlocks: 0
; VGPRBlocks: 0
; NumSGPRsForWavesPerEU: 4
; NumVGPRsForWavesPerEU: 1
; Occupancy: 10
; WaveLimiterHint : 0
; COMPUTE_PGM_RSRC2:SCRATCH_EN: 0
; COMPUTE_PGM_RSRC2:USER_SGPR: 6
; COMPUTE_PGM_RSRC2:TRAP_HANDLER: 0
; COMPUTE_PGM_RSRC2:TGID_X_EN: 1
; COMPUTE_PGM_RSRC2:TGID_Y_EN: 0
; COMPUTE_PGM_RSRC2:TGID_Z_EN: 0
; COMPUTE_PGM_RSRC2:TIDIG_COMP_CNT: 0
	.section	.text._ZN7rocprim17ROCPRIM_400000_NS6detail17trampoline_kernelINS0_13select_configILj256ELj13ELNS0_17block_load_methodE3ELS4_3ELS4_3ELNS0_20block_scan_algorithmE0ELj4294967295EEENS1_25partition_config_selectorILNS1_17partition_subalgoE3EjNS0_10empty_typeEbEEZZNS1_14partition_implILS8_3ELb0ES6_jNS0_17counting_iteratorIjlEEPS9_SE_NS0_5tupleIJPjSE_EEENSF_IJSE_SE_EEES9_SG_JZNS1_25segmented_radix_sort_implINS0_14default_configELb0EPKsPsPKlPlN2at6native12_GLOBAL__N_18offset_tEEE10hipError_tPvRmT1_PNSt15iterator_traitsISY_E10value_typeET2_T3_PNSZ_IS14_E10value_typeET4_jRbjT5_S1A_jjP12ihipStream_tbEUljE_EEESV_SW_SX_S14_S18_S1A_T6_T7_T9_mT8_S1C_bDpT10_ENKUlT_T0_E_clISt17integral_constantIbLb0EES1O_IbLb1EEEEDaS1K_S1L_EUlS1K_E_NS1_11comp_targetILNS1_3genE4ELNS1_11target_archE910ELNS1_3gpuE8ELNS1_3repE0EEENS1_30default_config_static_selectorELNS0_4arch9wavefront6targetE1EEEvSY_,"axG",@progbits,_ZN7rocprim17ROCPRIM_400000_NS6detail17trampoline_kernelINS0_13select_configILj256ELj13ELNS0_17block_load_methodE3ELS4_3ELS4_3ELNS0_20block_scan_algorithmE0ELj4294967295EEENS1_25partition_config_selectorILNS1_17partition_subalgoE3EjNS0_10empty_typeEbEEZZNS1_14partition_implILS8_3ELb0ES6_jNS0_17counting_iteratorIjlEEPS9_SE_NS0_5tupleIJPjSE_EEENSF_IJSE_SE_EEES9_SG_JZNS1_25segmented_radix_sort_implINS0_14default_configELb0EPKsPsPKlPlN2at6native12_GLOBAL__N_18offset_tEEE10hipError_tPvRmT1_PNSt15iterator_traitsISY_E10value_typeET2_T3_PNSZ_IS14_E10value_typeET4_jRbjT5_S1A_jjP12ihipStream_tbEUljE_EEESV_SW_SX_S14_S18_S1A_T6_T7_T9_mT8_S1C_bDpT10_ENKUlT_T0_E_clISt17integral_constantIbLb0EES1O_IbLb1EEEEDaS1K_S1L_EUlS1K_E_NS1_11comp_targetILNS1_3genE4ELNS1_11target_archE910ELNS1_3gpuE8ELNS1_3repE0EEENS1_30default_config_static_selectorELNS0_4arch9wavefront6targetE1EEEvSY_,comdat
	.globl	_ZN7rocprim17ROCPRIM_400000_NS6detail17trampoline_kernelINS0_13select_configILj256ELj13ELNS0_17block_load_methodE3ELS4_3ELS4_3ELNS0_20block_scan_algorithmE0ELj4294967295EEENS1_25partition_config_selectorILNS1_17partition_subalgoE3EjNS0_10empty_typeEbEEZZNS1_14partition_implILS8_3ELb0ES6_jNS0_17counting_iteratorIjlEEPS9_SE_NS0_5tupleIJPjSE_EEENSF_IJSE_SE_EEES9_SG_JZNS1_25segmented_radix_sort_implINS0_14default_configELb0EPKsPsPKlPlN2at6native12_GLOBAL__N_18offset_tEEE10hipError_tPvRmT1_PNSt15iterator_traitsISY_E10value_typeET2_T3_PNSZ_IS14_E10value_typeET4_jRbjT5_S1A_jjP12ihipStream_tbEUljE_EEESV_SW_SX_S14_S18_S1A_T6_T7_T9_mT8_S1C_bDpT10_ENKUlT_T0_E_clISt17integral_constantIbLb0EES1O_IbLb1EEEEDaS1K_S1L_EUlS1K_E_NS1_11comp_targetILNS1_3genE4ELNS1_11target_archE910ELNS1_3gpuE8ELNS1_3repE0EEENS1_30default_config_static_selectorELNS0_4arch9wavefront6targetE1EEEvSY_ ; -- Begin function _ZN7rocprim17ROCPRIM_400000_NS6detail17trampoline_kernelINS0_13select_configILj256ELj13ELNS0_17block_load_methodE3ELS4_3ELS4_3ELNS0_20block_scan_algorithmE0ELj4294967295EEENS1_25partition_config_selectorILNS1_17partition_subalgoE3EjNS0_10empty_typeEbEEZZNS1_14partition_implILS8_3ELb0ES6_jNS0_17counting_iteratorIjlEEPS9_SE_NS0_5tupleIJPjSE_EEENSF_IJSE_SE_EEES9_SG_JZNS1_25segmented_radix_sort_implINS0_14default_configELb0EPKsPsPKlPlN2at6native12_GLOBAL__N_18offset_tEEE10hipError_tPvRmT1_PNSt15iterator_traitsISY_E10value_typeET2_T3_PNSZ_IS14_E10value_typeET4_jRbjT5_S1A_jjP12ihipStream_tbEUljE_EEESV_SW_SX_S14_S18_S1A_T6_T7_T9_mT8_S1C_bDpT10_ENKUlT_T0_E_clISt17integral_constantIbLb0EES1O_IbLb1EEEEDaS1K_S1L_EUlS1K_E_NS1_11comp_targetILNS1_3genE4ELNS1_11target_archE910ELNS1_3gpuE8ELNS1_3repE0EEENS1_30default_config_static_selectorELNS0_4arch9wavefront6targetE1EEEvSY_
	.p2align	8
	.type	_ZN7rocprim17ROCPRIM_400000_NS6detail17trampoline_kernelINS0_13select_configILj256ELj13ELNS0_17block_load_methodE3ELS4_3ELS4_3ELNS0_20block_scan_algorithmE0ELj4294967295EEENS1_25partition_config_selectorILNS1_17partition_subalgoE3EjNS0_10empty_typeEbEEZZNS1_14partition_implILS8_3ELb0ES6_jNS0_17counting_iteratorIjlEEPS9_SE_NS0_5tupleIJPjSE_EEENSF_IJSE_SE_EEES9_SG_JZNS1_25segmented_radix_sort_implINS0_14default_configELb0EPKsPsPKlPlN2at6native12_GLOBAL__N_18offset_tEEE10hipError_tPvRmT1_PNSt15iterator_traitsISY_E10value_typeET2_T3_PNSZ_IS14_E10value_typeET4_jRbjT5_S1A_jjP12ihipStream_tbEUljE_EEESV_SW_SX_S14_S18_S1A_T6_T7_T9_mT8_S1C_bDpT10_ENKUlT_T0_E_clISt17integral_constantIbLb0EES1O_IbLb1EEEEDaS1K_S1L_EUlS1K_E_NS1_11comp_targetILNS1_3genE4ELNS1_11target_archE910ELNS1_3gpuE8ELNS1_3repE0EEENS1_30default_config_static_selectorELNS0_4arch9wavefront6targetE1EEEvSY_,@function
_ZN7rocprim17ROCPRIM_400000_NS6detail17trampoline_kernelINS0_13select_configILj256ELj13ELNS0_17block_load_methodE3ELS4_3ELS4_3ELNS0_20block_scan_algorithmE0ELj4294967295EEENS1_25partition_config_selectorILNS1_17partition_subalgoE3EjNS0_10empty_typeEbEEZZNS1_14partition_implILS8_3ELb0ES6_jNS0_17counting_iteratorIjlEEPS9_SE_NS0_5tupleIJPjSE_EEENSF_IJSE_SE_EEES9_SG_JZNS1_25segmented_radix_sort_implINS0_14default_configELb0EPKsPsPKlPlN2at6native12_GLOBAL__N_18offset_tEEE10hipError_tPvRmT1_PNSt15iterator_traitsISY_E10value_typeET2_T3_PNSZ_IS14_E10value_typeET4_jRbjT5_S1A_jjP12ihipStream_tbEUljE_EEESV_SW_SX_S14_S18_S1A_T6_T7_T9_mT8_S1C_bDpT10_ENKUlT_T0_E_clISt17integral_constantIbLb0EES1O_IbLb1EEEEDaS1K_S1L_EUlS1K_E_NS1_11comp_targetILNS1_3genE4ELNS1_11target_archE910ELNS1_3gpuE8ELNS1_3repE0EEENS1_30default_config_static_selectorELNS0_4arch9wavefront6targetE1EEEvSY_: ; @_ZN7rocprim17ROCPRIM_400000_NS6detail17trampoline_kernelINS0_13select_configILj256ELj13ELNS0_17block_load_methodE3ELS4_3ELS4_3ELNS0_20block_scan_algorithmE0ELj4294967295EEENS1_25partition_config_selectorILNS1_17partition_subalgoE3EjNS0_10empty_typeEbEEZZNS1_14partition_implILS8_3ELb0ES6_jNS0_17counting_iteratorIjlEEPS9_SE_NS0_5tupleIJPjSE_EEENSF_IJSE_SE_EEES9_SG_JZNS1_25segmented_radix_sort_implINS0_14default_configELb0EPKsPsPKlPlN2at6native12_GLOBAL__N_18offset_tEEE10hipError_tPvRmT1_PNSt15iterator_traitsISY_E10value_typeET2_T3_PNSZ_IS14_E10value_typeET4_jRbjT5_S1A_jjP12ihipStream_tbEUljE_EEESV_SW_SX_S14_S18_S1A_T6_T7_T9_mT8_S1C_bDpT10_ENKUlT_T0_E_clISt17integral_constantIbLb0EES1O_IbLb1EEEEDaS1K_S1L_EUlS1K_E_NS1_11comp_targetILNS1_3genE4ELNS1_11target_archE910ELNS1_3gpuE8ELNS1_3repE0EEENS1_30default_config_static_selectorELNS0_4arch9wavefront6targetE1EEEvSY_
; %bb.0:
	.section	.rodata,"a",@progbits
	.p2align	6, 0x0
	.amdhsa_kernel _ZN7rocprim17ROCPRIM_400000_NS6detail17trampoline_kernelINS0_13select_configILj256ELj13ELNS0_17block_load_methodE3ELS4_3ELS4_3ELNS0_20block_scan_algorithmE0ELj4294967295EEENS1_25partition_config_selectorILNS1_17partition_subalgoE3EjNS0_10empty_typeEbEEZZNS1_14partition_implILS8_3ELb0ES6_jNS0_17counting_iteratorIjlEEPS9_SE_NS0_5tupleIJPjSE_EEENSF_IJSE_SE_EEES9_SG_JZNS1_25segmented_radix_sort_implINS0_14default_configELb0EPKsPsPKlPlN2at6native12_GLOBAL__N_18offset_tEEE10hipError_tPvRmT1_PNSt15iterator_traitsISY_E10value_typeET2_T3_PNSZ_IS14_E10value_typeET4_jRbjT5_S1A_jjP12ihipStream_tbEUljE_EEESV_SW_SX_S14_S18_S1A_T6_T7_T9_mT8_S1C_bDpT10_ENKUlT_T0_E_clISt17integral_constantIbLb0EES1O_IbLb1EEEEDaS1K_S1L_EUlS1K_E_NS1_11comp_targetILNS1_3genE4ELNS1_11target_archE910ELNS1_3gpuE8ELNS1_3repE0EEENS1_30default_config_static_selectorELNS0_4arch9wavefront6targetE1EEEvSY_
		.amdhsa_group_segment_fixed_size 0
		.amdhsa_private_segment_fixed_size 0
		.amdhsa_kernarg_size 152
		.amdhsa_user_sgpr_count 6
		.amdhsa_user_sgpr_private_segment_buffer 1
		.amdhsa_user_sgpr_dispatch_ptr 0
		.amdhsa_user_sgpr_queue_ptr 0
		.amdhsa_user_sgpr_kernarg_segment_ptr 1
		.amdhsa_user_sgpr_dispatch_id 0
		.amdhsa_user_sgpr_flat_scratch_init 0
		.amdhsa_user_sgpr_private_segment_size 0
		.amdhsa_uses_dynamic_stack 0
		.amdhsa_system_sgpr_private_segment_wavefront_offset 0
		.amdhsa_system_sgpr_workgroup_id_x 1
		.amdhsa_system_sgpr_workgroup_id_y 0
		.amdhsa_system_sgpr_workgroup_id_z 0
		.amdhsa_system_sgpr_workgroup_info 0
		.amdhsa_system_vgpr_workitem_id 0
		.amdhsa_next_free_vgpr 1
		.amdhsa_next_free_sgpr 0
		.amdhsa_reserve_vcc 0
		.amdhsa_reserve_flat_scratch 0
		.amdhsa_float_round_mode_32 0
		.amdhsa_float_round_mode_16_64 0
		.amdhsa_float_denorm_mode_32 3
		.amdhsa_float_denorm_mode_16_64 3
		.amdhsa_dx10_clamp 1
		.amdhsa_ieee_mode 1
		.amdhsa_fp16_overflow 0
		.amdhsa_exception_fp_ieee_invalid_op 0
		.amdhsa_exception_fp_denorm_src 0
		.amdhsa_exception_fp_ieee_div_zero 0
		.amdhsa_exception_fp_ieee_overflow 0
		.amdhsa_exception_fp_ieee_underflow 0
		.amdhsa_exception_fp_ieee_inexact 0
		.amdhsa_exception_int_div_zero 0
	.end_amdhsa_kernel
	.section	.text._ZN7rocprim17ROCPRIM_400000_NS6detail17trampoline_kernelINS0_13select_configILj256ELj13ELNS0_17block_load_methodE3ELS4_3ELS4_3ELNS0_20block_scan_algorithmE0ELj4294967295EEENS1_25partition_config_selectorILNS1_17partition_subalgoE3EjNS0_10empty_typeEbEEZZNS1_14partition_implILS8_3ELb0ES6_jNS0_17counting_iteratorIjlEEPS9_SE_NS0_5tupleIJPjSE_EEENSF_IJSE_SE_EEES9_SG_JZNS1_25segmented_radix_sort_implINS0_14default_configELb0EPKsPsPKlPlN2at6native12_GLOBAL__N_18offset_tEEE10hipError_tPvRmT1_PNSt15iterator_traitsISY_E10value_typeET2_T3_PNSZ_IS14_E10value_typeET4_jRbjT5_S1A_jjP12ihipStream_tbEUljE_EEESV_SW_SX_S14_S18_S1A_T6_T7_T9_mT8_S1C_bDpT10_ENKUlT_T0_E_clISt17integral_constantIbLb0EES1O_IbLb1EEEEDaS1K_S1L_EUlS1K_E_NS1_11comp_targetILNS1_3genE4ELNS1_11target_archE910ELNS1_3gpuE8ELNS1_3repE0EEENS1_30default_config_static_selectorELNS0_4arch9wavefront6targetE1EEEvSY_,"axG",@progbits,_ZN7rocprim17ROCPRIM_400000_NS6detail17trampoline_kernelINS0_13select_configILj256ELj13ELNS0_17block_load_methodE3ELS4_3ELS4_3ELNS0_20block_scan_algorithmE0ELj4294967295EEENS1_25partition_config_selectorILNS1_17partition_subalgoE3EjNS0_10empty_typeEbEEZZNS1_14partition_implILS8_3ELb0ES6_jNS0_17counting_iteratorIjlEEPS9_SE_NS0_5tupleIJPjSE_EEENSF_IJSE_SE_EEES9_SG_JZNS1_25segmented_radix_sort_implINS0_14default_configELb0EPKsPsPKlPlN2at6native12_GLOBAL__N_18offset_tEEE10hipError_tPvRmT1_PNSt15iterator_traitsISY_E10value_typeET2_T3_PNSZ_IS14_E10value_typeET4_jRbjT5_S1A_jjP12ihipStream_tbEUljE_EEESV_SW_SX_S14_S18_S1A_T6_T7_T9_mT8_S1C_bDpT10_ENKUlT_T0_E_clISt17integral_constantIbLb0EES1O_IbLb1EEEEDaS1K_S1L_EUlS1K_E_NS1_11comp_targetILNS1_3genE4ELNS1_11target_archE910ELNS1_3gpuE8ELNS1_3repE0EEENS1_30default_config_static_selectorELNS0_4arch9wavefront6targetE1EEEvSY_,comdat
.Lfunc_end1008:
	.size	_ZN7rocprim17ROCPRIM_400000_NS6detail17trampoline_kernelINS0_13select_configILj256ELj13ELNS0_17block_load_methodE3ELS4_3ELS4_3ELNS0_20block_scan_algorithmE0ELj4294967295EEENS1_25partition_config_selectorILNS1_17partition_subalgoE3EjNS0_10empty_typeEbEEZZNS1_14partition_implILS8_3ELb0ES6_jNS0_17counting_iteratorIjlEEPS9_SE_NS0_5tupleIJPjSE_EEENSF_IJSE_SE_EEES9_SG_JZNS1_25segmented_radix_sort_implINS0_14default_configELb0EPKsPsPKlPlN2at6native12_GLOBAL__N_18offset_tEEE10hipError_tPvRmT1_PNSt15iterator_traitsISY_E10value_typeET2_T3_PNSZ_IS14_E10value_typeET4_jRbjT5_S1A_jjP12ihipStream_tbEUljE_EEESV_SW_SX_S14_S18_S1A_T6_T7_T9_mT8_S1C_bDpT10_ENKUlT_T0_E_clISt17integral_constantIbLb0EES1O_IbLb1EEEEDaS1K_S1L_EUlS1K_E_NS1_11comp_targetILNS1_3genE4ELNS1_11target_archE910ELNS1_3gpuE8ELNS1_3repE0EEENS1_30default_config_static_selectorELNS0_4arch9wavefront6targetE1EEEvSY_, .Lfunc_end1008-_ZN7rocprim17ROCPRIM_400000_NS6detail17trampoline_kernelINS0_13select_configILj256ELj13ELNS0_17block_load_methodE3ELS4_3ELS4_3ELNS0_20block_scan_algorithmE0ELj4294967295EEENS1_25partition_config_selectorILNS1_17partition_subalgoE3EjNS0_10empty_typeEbEEZZNS1_14partition_implILS8_3ELb0ES6_jNS0_17counting_iteratorIjlEEPS9_SE_NS0_5tupleIJPjSE_EEENSF_IJSE_SE_EEES9_SG_JZNS1_25segmented_radix_sort_implINS0_14default_configELb0EPKsPsPKlPlN2at6native12_GLOBAL__N_18offset_tEEE10hipError_tPvRmT1_PNSt15iterator_traitsISY_E10value_typeET2_T3_PNSZ_IS14_E10value_typeET4_jRbjT5_S1A_jjP12ihipStream_tbEUljE_EEESV_SW_SX_S14_S18_S1A_T6_T7_T9_mT8_S1C_bDpT10_ENKUlT_T0_E_clISt17integral_constantIbLb0EES1O_IbLb1EEEEDaS1K_S1L_EUlS1K_E_NS1_11comp_targetILNS1_3genE4ELNS1_11target_archE910ELNS1_3gpuE8ELNS1_3repE0EEENS1_30default_config_static_selectorELNS0_4arch9wavefront6targetE1EEEvSY_
                                        ; -- End function
	.set _ZN7rocprim17ROCPRIM_400000_NS6detail17trampoline_kernelINS0_13select_configILj256ELj13ELNS0_17block_load_methodE3ELS4_3ELS4_3ELNS0_20block_scan_algorithmE0ELj4294967295EEENS1_25partition_config_selectorILNS1_17partition_subalgoE3EjNS0_10empty_typeEbEEZZNS1_14partition_implILS8_3ELb0ES6_jNS0_17counting_iteratorIjlEEPS9_SE_NS0_5tupleIJPjSE_EEENSF_IJSE_SE_EEES9_SG_JZNS1_25segmented_radix_sort_implINS0_14default_configELb0EPKsPsPKlPlN2at6native12_GLOBAL__N_18offset_tEEE10hipError_tPvRmT1_PNSt15iterator_traitsISY_E10value_typeET2_T3_PNSZ_IS14_E10value_typeET4_jRbjT5_S1A_jjP12ihipStream_tbEUljE_EEESV_SW_SX_S14_S18_S1A_T6_T7_T9_mT8_S1C_bDpT10_ENKUlT_T0_E_clISt17integral_constantIbLb0EES1O_IbLb1EEEEDaS1K_S1L_EUlS1K_E_NS1_11comp_targetILNS1_3genE4ELNS1_11target_archE910ELNS1_3gpuE8ELNS1_3repE0EEENS1_30default_config_static_selectorELNS0_4arch9wavefront6targetE1EEEvSY_.num_vgpr, 0
	.set _ZN7rocprim17ROCPRIM_400000_NS6detail17trampoline_kernelINS0_13select_configILj256ELj13ELNS0_17block_load_methodE3ELS4_3ELS4_3ELNS0_20block_scan_algorithmE0ELj4294967295EEENS1_25partition_config_selectorILNS1_17partition_subalgoE3EjNS0_10empty_typeEbEEZZNS1_14partition_implILS8_3ELb0ES6_jNS0_17counting_iteratorIjlEEPS9_SE_NS0_5tupleIJPjSE_EEENSF_IJSE_SE_EEES9_SG_JZNS1_25segmented_radix_sort_implINS0_14default_configELb0EPKsPsPKlPlN2at6native12_GLOBAL__N_18offset_tEEE10hipError_tPvRmT1_PNSt15iterator_traitsISY_E10value_typeET2_T3_PNSZ_IS14_E10value_typeET4_jRbjT5_S1A_jjP12ihipStream_tbEUljE_EEESV_SW_SX_S14_S18_S1A_T6_T7_T9_mT8_S1C_bDpT10_ENKUlT_T0_E_clISt17integral_constantIbLb0EES1O_IbLb1EEEEDaS1K_S1L_EUlS1K_E_NS1_11comp_targetILNS1_3genE4ELNS1_11target_archE910ELNS1_3gpuE8ELNS1_3repE0EEENS1_30default_config_static_selectorELNS0_4arch9wavefront6targetE1EEEvSY_.num_agpr, 0
	.set _ZN7rocprim17ROCPRIM_400000_NS6detail17trampoline_kernelINS0_13select_configILj256ELj13ELNS0_17block_load_methodE3ELS4_3ELS4_3ELNS0_20block_scan_algorithmE0ELj4294967295EEENS1_25partition_config_selectorILNS1_17partition_subalgoE3EjNS0_10empty_typeEbEEZZNS1_14partition_implILS8_3ELb0ES6_jNS0_17counting_iteratorIjlEEPS9_SE_NS0_5tupleIJPjSE_EEENSF_IJSE_SE_EEES9_SG_JZNS1_25segmented_radix_sort_implINS0_14default_configELb0EPKsPsPKlPlN2at6native12_GLOBAL__N_18offset_tEEE10hipError_tPvRmT1_PNSt15iterator_traitsISY_E10value_typeET2_T3_PNSZ_IS14_E10value_typeET4_jRbjT5_S1A_jjP12ihipStream_tbEUljE_EEESV_SW_SX_S14_S18_S1A_T6_T7_T9_mT8_S1C_bDpT10_ENKUlT_T0_E_clISt17integral_constantIbLb0EES1O_IbLb1EEEEDaS1K_S1L_EUlS1K_E_NS1_11comp_targetILNS1_3genE4ELNS1_11target_archE910ELNS1_3gpuE8ELNS1_3repE0EEENS1_30default_config_static_selectorELNS0_4arch9wavefront6targetE1EEEvSY_.numbered_sgpr, 0
	.set _ZN7rocprim17ROCPRIM_400000_NS6detail17trampoline_kernelINS0_13select_configILj256ELj13ELNS0_17block_load_methodE3ELS4_3ELS4_3ELNS0_20block_scan_algorithmE0ELj4294967295EEENS1_25partition_config_selectorILNS1_17partition_subalgoE3EjNS0_10empty_typeEbEEZZNS1_14partition_implILS8_3ELb0ES6_jNS0_17counting_iteratorIjlEEPS9_SE_NS0_5tupleIJPjSE_EEENSF_IJSE_SE_EEES9_SG_JZNS1_25segmented_radix_sort_implINS0_14default_configELb0EPKsPsPKlPlN2at6native12_GLOBAL__N_18offset_tEEE10hipError_tPvRmT1_PNSt15iterator_traitsISY_E10value_typeET2_T3_PNSZ_IS14_E10value_typeET4_jRbjT5_S1A_jjP12ihipStream_tbEUljE_EEESV_SW_SX_S14_S18_S1A_T6_T7_T9_mT8_S1C_bDpT10_ENKUlT_T0_E_clISt17integral_constantIbLb0EES1O_IbLb1EEEEDaS1K_S1L_EUlS1K_E_NS1_11comp_targetILNS1_3genE4ELNS1_11target_archE910ELNS1_3gpuE8ELNS1_3repE0EEENS1_30default_config_static_selectorELNS0_4arch9wavefront6targetE1EEEvSY_.num_named_barrier, 0
	.set _ZN7rocprim17ROCPRIM_400000_NS6detail17trampoline_kernelINS0_13select_configILj256ELj13ELNS0_17block_load_methodE3ELS4_3ELS4_3ELNS0_20block_scan_algorithmE0ELj4294967295EEENS1_25partition_config_selectorILNS1_17partition_subalgoE3EjNS0_10empty_typeEbEEZZNS1_14partition_implILS8_3ELb0ES6_jNS0_17counting_iteratorIjlEEPS9_SE_NS0_5tupleIJPjSE_EEENSF_IJSE_SE_EEES9_SG_JZNS1_25segmented_radix_sort_implINS0_14default_configELb0EPKsPsPKlPlN2at6native12_GLOBAL__N_18offset_tEEE10hipError_tPvRmT1_PNSt15iterator_traitsISY_E10value_typeET2_T3_PNSZ_IS14_E10value_typeET4_jRbjT5_S1A_jjP12ihipStream_tbEUljE_EEESV_SW_SX_S14_S18_S1A_T6_T7_T9_mT8_S1C_bDpT10_ENKUlT_T0_E_clISt17integral_constantIbLb0EES1O_IbLb1EEEEDaS1K_S1L_EUlS1K_E_NS1_11comp_targetILNS1_3genE4ELNS1_11target_archE910ELNS1_3gpuE8ELNS1_3repE0EEENS1_30default_config_static_selectorELNS0_4arch9wavefront6targetE1EEEvSY_.private_seg_size, 0
	.set _ZN7rocprim17ROCPRIM_400000_NS6detail17trampoline_kernelINS0_13select_configILj256ELj13ELNS0_17block_load_methodE3ELS4_3ELS4_3ELNS0_20block_scan_algorithmE0ELj4294967295EEENS1_25partition_config_selectorILNS1_17partition_subalgoE3EjNS0_10empty_typeEbEEZZNS1_14partition_implILS8_3ELb0ES6_jNS0_17counting_iteratorIjlEEPS9_SE_NS0_5tupleIJPjSE_EEENSF_IJSE_SE_EEES9_SG_JZNS1_25segmented_radix_sort_implINS0_14default_configELb0EPKsPsPKlPlN2at6native12_GLOBAL__N_18offset_tEEE10hipError_tPvRmT1_PNSt15iterator_traitsISY_E10value_typeET2_T3_PNSZ_IS14_E10value_typeET4_jRbjT5_S1A_jjP12ihipStream_tbEUljE_EEESV_SW_SX_S14_S18_S1A_T6_T7_T9_mT8_S1C_bDpT10_ENKUlT_T0_E_clISt17integral_constantIbLb0EES1O_IbLb1EEEEDaS1K_S1L_EUlS1K_E_NS1_11comp_targetILNS1_3genE4ELNS1_11target_archE910ELNS1_3gpuE8ELNS1_3repE0EEENS1_30default_config_static_selectorELNS0_4arch9wavefront6targetE1EEEvSY_.uses_vcc, 0
	.set _ZN7rocprim17ROCPRIM_400000_NS6detail17trampoline_kernelINS0_13select_configILj256ELj13ELNS0_17block_load_methodE3ELS4_3ELS4_3ELNS0_20block_scan_algorithmE0ELj4294967295EEENS1_25partition_config_selectorILNS1_17partition_subalgoE3EjNS0_10empty_typeEbEEZZNS1_14partition_implILS8_3ELb0ES6_jNS0_17counting_iteratorIjlEEPS9_SE_NS0_5tupleIJPjSE_EEENSF_IJSE_SE_EEES9_SG_JZNS1_25segmented_radix_sort_implINS0_14default_configELb0EPKsPsPKlPlN2at6native12_GLOBAL__N_18offset_tEEE10hipError_tPvRmT1_PNSt15iterator_traitsISY_E10value_typeET2_T3_PNSZ_IS14_E10value_typeET4_jRbjT5_S1A_jjP12ihipStream_tbEUljE_EEESV_SW_SX_S14_S18_S1A_T6_T7_T9_mT8_S1C_bDpT10_ENKUlT_T0_E_clISt17integral_constantIbLb0EES1O_IbLb1EEEEDaS1K_S1L_EUlS1K_E_NS1_11comp_targetILNS1_3genE4ELNS1_11target_archE910ELNS1_3gpuE8ELNS1_3repE0EEENS1_30default_config_static_selectorELNS0_4arch9wavefront6targetE1EEEvSY_.uses_flat_scratch, 0
	.set _ZN7rocprim17ROCPRIM_400000_NS6detail17trampoline_kernelINS0_13select_configILj256ELj13ELNS0_17block_load_methodE3ELS4_3ELS4_3ELNS0_20block_scan_algorithmE0ELj4294967295EEENS1_25partition_config_selectorILNS1_17partition_subalgoE3EjNS0_10empty_typeEbEEZZNS1_14partition_implILS8_3ELb0ES6_jNS0_17counting_iteratorIjlEEPS9_SE_NS0_5tupleIJPjSE_EEENSF_IJSE_SE_EEES9_SG_JZNS1_25segmented_radix_sort_implINS0_14default_configELb0EPKsPsPKlPlN2at6native12_GLOBAL__N_18offset_tEEE10hipError_tPvRmT1_PNSt15iterator_traitsISY_E10value_typeET2_T3_PNSZ_IS14_E10value_typeET4_jRbjT5_S1A_jjP12ihipStream_tbEUljE_EEESV_SW_SX_S14_S18_S1A_T6_T7_T9_mT8_S1C_bDpT10_ENKUlT_T0_E_clISt17integral_constantIbLb0EES1O_IbLb1EEEEDaS1K_S1L_EUlS1K_E_NS1_11comp_targetILNS1_3genE4ELNS1_11target_archE910ELNS1_3gpuE8ELNS1_3repE0EEENS1_30default_config_static_selectorELNS0_4arch9wavefront6targetE1EEEvSY_.has_dyn_sized_stack, 0
	.set _ZN7rocprim17ROCPRIM_400000_NS6detail17trampoline_kernelINS0_13select_configILj256ELj13ELNS0_17block_load_methodE3ELS4_3ELS4_3ELNS0_20block_scan_algorithmE0ELj4294967295EEENS1_25partition_config_selectorILNS1_17partition_subalgoE3EjNS0_10empty_typeEbEEZZNS1_14partition_implILS8_3ELb0ES6_jNS0_17counting_iteratorIjlEEPS9_SE_NS0_5tupleIJPjSE_EEENSF_IJSE_SE_EEES9_SG_JZNS1_25segmented_radix_sort_implINS0_14default_configELb0EPKsPsPKlPlN2at6native12_GLOBAL__N_18offset_tEEE10hipError_tPvRmT1_PNSt15iterator_traitsISY_E10value_typeET2_T3_PNSZ_IS14_E10value_typeET4_jRbjT5_S1A_jjP12ihipStream_tbEUljE_EEESV_SW_SX_S14_S18_S1A_T6_T7_T9_mT8_S1C_bDpT10_ENKUlT_T0_E_clISt17integral_constantIbLb0EES1O_IbLb1EEEEDaS1K_S1L_EUlS1K_E_NS1_11comp_targetILNS1_3genE4ELNS1_11target_archE910ELNS1_3gpuE8ELNS1_3repE0EEENS1_30default_config_static_selectorELNS0_4arch9wavefront6targetE1EEEvSY_.has_recursion, 0
	.set _ZN7rocprim17ROCPRIM_400000_NS6detail17trampoline_kernelINS0_13select_configILj256ELj13ELNS0_17block_load_methodE3ELS4_3ELS4_3ELNS0_20block_scan_algorithmE0ELj4294967295EEENS1_25partition_config_selectorILNS1_17partition_subalgoE3EjNS0_10empty_typeEbEEZZNS1_14partition_implILS8_3ELb0ES6_jNS0_17counting_iteratorIjlEEPS9_SE_NS0_5tupleIJPjSE_EEENSF_IJSE_SE_EEES9_SG_JZNS1_25segmented_radix_sort_implINS0_14default_configELb0EPKsPsPKlPlN2at6native12_GLOBAL__N_18offset_tEEE10hipError_tPvRmT1_PNSt15iterator_traitsISY_E10value_typeET2_T3_PNSZ_IS14_E10value_typeET4_jRbjT5_S1A_jjP12ihipStream_tbEUljE_EEESV_SW_SX_S14_S18_S1A_T6_T7_T9_mT8_S1C_bDpT10_ENKUlT_T0_E_clISt17integral_constantIbLb0EES1O_IbLb1EEEEDaS1K_S1L_EUlS1K_E_NS1_11comp_targetILNS1_3genE4ELNS1_11target_archE910ELNS1_3gpuE8ELNS1_3repE0EEENS1_30default_config_static_selectorELNS0_4arch9wavefront6targetE1EEEvSY_.has_indirect_call, 0
	.section	.AMDGPU.csdata,"",@progbits
; Kernel info:
; codeLenInByte = 0
; TotalNumSgprs: 4
; NumVgprs: 0
; ScratchSize: 0
; MemoryBound: 0
; FloatMode: 240
; IeeeMode: 1
; LDSByteSize: 0 bytes/workgroup (compile time only)
; SGPRBlocks: 0
; VGPRBlocks: 0
; NumSGPRsForWavesPerEU: 4
; NumVGPRsForWavesPerEU: 1
; Occupancy: 10
; WaveLimiterHint : 0
; COMPUTE_PGM_RSRC2:SCRATCH_EN: 0
; COMPUTE_PGM_RSRC2:USER_SGPR: 6
; COMPUTE_PGM_RSRC2:TRAP_HANDLER: 0
; COMPUTE_PGM_RSRC2:TGID_X_EN: 1
; COMPUTE_PGM_RSRC2:TGID_Y_EN: 0
; COMPUTE_PGM_RSRC2:TGID_Z_EN: 0
; COMPUTE_PGM_RSRC2:TIDIG_COMP_CNT: 0
	.section	.text._ZN7rocprim17ROCPRIM_400000_NS6detail17trampoline_kernelINS0_13select_configILj256ELj13ELNS0_17block_load_methodE3ELS4_3ELS4_3ELNS0_20block_scan_algorithmE0ELj4294967295EEENS1_25partition_config_selectorILNS1_17partition_subalgoE3EjNS0_10empty_typeEbEEZZNS1_14partition_implILS8_3ELb0ES6_jNS0_17counting_iteratorIjlEEPS9_SE_NS0_5tupleIJPjSE_EEENSF_IJSE_SE_EEES9_SG_JZNS1_25segmented_radix_sort_implINS0_14default_configELb0EPKsPsPKlPlN2at6native12_GLOBAL__N_18offset_tEEE10hipError_tPvRmT1_PNSt15iterator_traitsISY_E10value_typeET2_T3_PNSZ_IS14_E10value_typeET4_jRbjT5_S1A_jjP12ihipStream_tbEUljE_EEESV_SW_SX_S14_S18_S1A_T6_T7_T9_mT8_S1C_bDpT10_ENKUlT_T0_E_clISt17integral_constantIbLb0EES1O_IbLb1EEEEDaS1K_S1L_EUlS1K_E_NS1_11comp_targetILNS1_3genE3ELNS1_11target_archE908ELNS1_3gpuE7ELNS1_3repE0EEENS1_30default_config_static_selectorELNS0_4arch9wavefront6targetE1EEEvSY_,"axG",@progbits,_ZN7rocprim17ROCPRIM_400000_NS6detail17trampoline_kernelINS0_13select_configILj256ELj13ELNS0_17block_load_methodE3ELS4_3ELS4_3ELNS0_20block_scan_algorithmE0ELj4294967295EEENS1_25partition_config_selectorILNS1_17partition_subalgoE3EjNS0_10empty_typeEbEEZZNS1_14partition_implILS8_3ELb0ES6_jNS0_17counting_iteratorIjlEEPS9_SE_NS0_5tupleIJPjSE_EEENSF_IJSE_SE_EEES9_SG_JZNS1_25segmented_radix_sort_implINS0_14default_configELb0EPKsPsPKlPlN2at6native12_GLOBAL__N_18offset_tEEE10hipError_tPvRmT1_PNSt15iterator_traitsISY_E10value_typeET2_T3_PNSZ_IS14_E10value_typeET4_jRbjT5_S1A_jjP12ihipStream_tbEUljE_EEESV_SW_SX_S14_S18_S1A_T6_T7_T9_mT8_S1C_bDpT10_ENKUlT_T0_E_clISt17integral_constantIbLb0EES1O_IbLb1EEEEDaS1K_S1L_EUlS1K_E_NS1_11comp_targetILNS1_3genE3ELNS1_11target_archE908ELNS1_3gpuE7ELNS1_3repE0EEENS1_30default_config_static_selectorELNS0_4arch9wavefront6targetE1EEEvSY_,comdat
	.globl	_ZN7rocprim17ROCPRIM_400000_NS6detail17trampoline_kernelINS0_13select_configILj256ELj13ELNS0_17block_load_methodE3ELS4_3ELS4_3ELNS0_20block_scan_algorithmE0ELj4294967295EEENS1_25partition_config_selectorILNS1_17partition_subalgoE3EjNS0_10empty_typeEbEEZZNS1_14partition_implILS8_3ELb0ES6_jNS0_17counting_iteratorIjlEEPS9_SE_NS0_5tupleIJPjSE_EEENSF_IJSE_SE_EEES9_SG_JZNS1_25segmented_radix_sort_implINS0_14default_configELb0EPKsPsPKlPlN2at6native12_GLOBAL__N_18offset_tEEE10hipError_tPvRmT1_PNSt15iterator_traitsISY_E10value_typeET2_T3_PNSZ_IS14_E10value_typeET4_jRbjT5_S1A_jjP12ihipStream_tbEUljE_EEESV_SW_SX_S14_S18_S1A_T6_T7_T9_mT8_S1C_bDpT10_ENKUlT_T0_E_clISt17integral_constantIbLb0EES1O_IbLb1EEEEDaS1K_S1L_EUlS1K_E_NS1_11comp_targetILNS1_3genE3ELNS1_11target_archE908ELNS1_3gpuE7ELNS1_3repE0EEENS1_30default_config_static_selectorELNS0_4arch9wavefront6targetE1EEEvSY_ ; -- Begin function _ZN7rocprim17ROCPRIM_400000_NS6detail17trampoline_kernelINS0_13select_configILj256ELj13ELNS0_17block_load_methodE3ELS4_3ELS4_3ELNS0_20block_scan_algorithmE0ELj4294967295EEENS1_25partition_config_selectorILNS1_17partition_subalgoE3EjNS0_10empty_typeEbEEZZNS1_14partition_implILS8_3ELb0ES6_jNS0_17counting_iteratorIjlEEPS9_SE_NS0_5tupleIJPjSE_EEENSF_IJSE_SE_EEES9_SG_JZNS1_25segmented_radix_sort_implINS0_14default_configELb0EPKsPsPKlPlN2at6native12_GLOBAL__N_18offset_tEEE10hipError_tPvRmT1_PNSt15iterator_traitsISY_E10value_typeET2_T3_PNSZ_IS14_E10value_typeET4_jRbjT5_S1A_jjP12ihipStream_tbEUljE_EEESV_SW_SX_S14_S18_S1A_T6_T7_T9_mT8_S1C_bDpT10_ENKUlT_T0_E_clISt17integral_constantIbLb0EES1O_IbLb1EEEEDaS1K_S1L_EUlS1K_E_NS1_11comp_targetILNS1_3genE3ELNS1_11target_archE908ELNS1_3gpuE7ELNS1_3repE0EEENS1_30default_config_static_selectorELNS0_4arch9wavefront6targetE1EEEvSY_
	.p2align	8
	.type	_ZN7rocprim17ROCPRIM_400000_NS6detail17trampoline_kernelINS0_13select_configILj256ELj13ELNS0_17block_load_methodE3ELS4_3ELS4_3ELNS0_20block_scan_algorithmE0ELj4294967295EEENS1_25partition_config_selectorILNS1_17partition_subalgoE3EjNS0_10empty_typeEbEEZZNS1_14partition_implILS8_3ELb0ES6_jNS0_17counting_iteratorIjlEEPS9_SE_NS0_5tupleIJPjSE_EEENSF_IJSE_SE_EEES9_SG_JZNS1_25segmented_radix_sort_implINS0_14default_configELb0EPKsPsPKlPlN2at6native12_GLOBAL__N_18offset_tEEE10hipError_tPvRmT1_PNSt15iterator_traitsISY_E10value_typeET2_T3_PNSZ_IS14_E10value_typeET4_jRbjT5_S1A_jjP12ihipStream_tbEUljE_EEESV_SW_SX_S14_S18_S1A_T6_T7_T9_mT8_S1C_bDpT10_ENKUlT_T0_E_clISt17integral_constantIbLb0EES1O_IbLb1EEEEDaS1K_S1L_EUlS1K_E_NS1_11comp_targetILNS1_3genE3ELNS1_11target_archE908ELNS1_3gpuE7ELNS1_3repE0EEENS1_30default_config_static_selectorELNS0_4arch9wavefront6targetE1EEEvSY_,@function
_ZN7rocprim17ROCPRIM_400000_NS6detail17trampoline_kernelINS0_13select_configILj256ELj13ELNS0_17block_load_methodE3ELS4_3ELS4_3ELNS0_20block_scan_algorithmE0ELj4294967295EEENS1_25partition_config_selectorILNS1_17partition_subalgoE3EjNS0_10empty_typeEbEEZZNS1_14partition_implILS8_3ELb0ES6_jNS0_17counting_iteratorIjlEEPS9_SE_NS0_5tupleIJPjSE_EEENSF_IJSE_SE_EEES9_SG_JZNS1_25segmented_radix_sort_implINS0_14default_configELb0EPKsPsPKlPlN2at6native12_GLOBAL__N_18offset_tEEE10hipError_tPvRmT1_PNSt15iterator_traitsISY_E10value_typeET2_T3_PNSZ_IS14_E10value_typeET4_jRbjT5_S1A_jjP12ihipStream_tbEUljE_EEESV_SW_SX_S14_S18_S1A_T6_T7_T9_mT8_S1C_bDpT10_ENKUlT_T0_E_clISt17integral_constantIbLb0EES1O_IbLb1EEEEDaS1K_S1L_EUlS1K_E_NS1_11comp_targetILNS1_3genE3ELNS1_11target_archE908ELNS1_3gpuE7ELNS1_3repE0EEENS1_30default_config_static_selectorELNS0_4arch9wavefront6targetE1EEEvSY_: ; @_ZN7rocprim17ROCPRIM_400000_NS6detail17trampoline_kernelINS0_13select_configILj256ELj13ELNS0_17block_load_methodE3ELS4_3ELS4_3ELNS0_20block_scan_algorithmE0ELj4294967295EEENS1_25partition_config_selectorILNS1_17partition_subalgoE3EjNS0_10empty_typeEbEEZZNS1_14partition_implILS8_3ELb0ES6_jNS0_17counting_iteratorIjlEEPS9_SE_NS0_5tupleIJPjSE_EEENSF_IJSE_SE_EEES9_SG_JZNS1_25segmented_radix_sort_implINS0_14default_configELb0EPKsPsPKlPlN2at6native12_GLOBAL__N_18offset_tEEE10hipError_tPvRmT1_PNSt15iterator_traitsISY_E10value_typeET2_T3_PNSZ_IS14_E10value_typeET4_jRbjT5_S1A_jjP12ihipStream_tbEUljE_EEESV_SW_SX_S14_S18_S1A_T6_T7_T9_mT8_S1C_bDpT10_ENKUlT_T0_E_clISt17integral_constantIbLb0EES1O_IbLb1EEEEDaS1K_S1L_EUlS1K_E_NS1_11comp_targetILNS1_3genE3ELNS1_11target_archE908ELNS1_3gpuE7ELNS1_3repE0EEENS1_30default_config_static_selectorELNS0_4arch9wavefront6targetE1EEEvSY_
; %bb.0:
	.section	.rodata,"a",@progbits
	.p2align	6, 0x0
	.amdhsa_kernel _ZN7rocprim17ROCPRIM_400000_NS6detail17trampoline_kernelINS0_13select_configILj256ELj13ELNS0_17block_load_methodE3ELS4_3ELS4_3ELNS0_20block_scan_algorithmE0ELj4294967295EEENS1_25partition_config_selectorILNS1_17partition_subalgoE3EjNS0_10empty_typeEbEEZZNS1_14partition_implILS8_3ELb0ES6_jNS0_17counting_iteratorIjlEEPS9_SE_NS0_5tupleIJPjSE_EEENSF_IJSE_SE_EEES9_SG_JZNS1_25segmented_radix_sort_implINS0_14default_configELb0EPKsPsPKlPlN2at6native12_GLOBAL__N_18offset_tEEE10hipError_tPvRmT1_PNSt15iterator_traitsISY_E10value_typeET2_T3_PNSZ_IS14_E10value_typeET4_jRbjT5_S1A_jjP12ihipStream_tbEUljE_EEESV_SW_SX_S14_S18_S1A_T6_T7_T9_mT8_S1C_bDpT10_ENKUlT_T0_E_clISt17integral_constantIbLb0EES1O_IbLb1EEEEDaS1K_S1L_EUlS1K_E_NS1_11comp_targetILNS1_3genE3ELNS1_11target_archE908ELNS1_3gpuE7ELNS1_3repE0EEENS1_30default_config_static_selectorELNS0_4arch9wavefront6targetE1EEEvSY_
		.amdhsa_group_segment_fixed_size 0
		.amdhsa_private_segment_fixed_size 0
		.amdhsa_kernarg_size 152
		.amdhsa_user_sgpr_count 6
		.amdhsa_user_sgpr_private_segment_buffer 1
		.amdhsa_user_sgpr_dispatch_ptr 0
		.amdhsa_user_sgpr_queue_ptr 0
		.amdhsa_user_sgpr_kernarg_segment_ptr 1
		.amdhsa_user_sgpr_dispatch_id 0
		.amdhsa_user_sgpr_flat_scratch_init 0
		.amdhsa_user_sgpr_private_segment_size 0
		.amdhsa_uses_dynamic_stack 0
		.amdhsa_system_sgpr_private_segment_wavefront_offset 0
		.amdhsa_system_sgpr_workgroup_id_x 1
		.amdhsa_system_sgpr_workgroup_id_y 0
		.amdhsa_system_sgpr_workgroup_id_z 0
		.amdhsa_system_sgpr_workgroup_info 0
		.amdhsa_system_vgpr_workitem_id 0
		.amdhsa_next_free_vgpr 1
		.amdhsa_next_free_sgpr 0
		.amdhsa_reserve_vcc 0
		.amdhsa_reserve_flat_scratch 0
		.amdhsa_float_round_mode_32 0
		.amdhsa_float_round_mode_16_64 0
		.amdhsa_float_denorm_mode_32 3
		.amdhsa_float_denorm_mode_16_64 3
		.amdhsa_dx10_clamp 1
		.amdhsa_ieee_mode 1
		.amdhsa_fp16_overflow 0
		.amdhsa_exception_fp_ieee_invalid_op 0
		.amdhsa_exception_fp_denorm_src 0
		.amdhsa_exception_fp_ieee_div_zero 0
		.amdhsa_exception_fp_ieee_overflow 0
		.amdhsa_exception_fp_ieee_underflow 0
		.amdhsa_exception_fp_ieee_inexact 0
		.amdhsa_exception_int_div_zero 0
	.end_amdhsa_kernel
	.section	.text._ZN7rocprim17ROCPRIM_400000_NS6detail17trampoline_kernelINS0_13select_configILj256ELj13ELNS0_17block_load_methodE3ELS4_3ELS4_3ELNS0_20block_scan_algorithmE0ELj4294967295EEENS1_25partition_config_selectorILNS1_17partition_subalgoE3EjNS0_10empty_typeEbEEZZNS1_14partition_implILS8_3ELb0ES6_jNS0_17counting_iteratorIjlEEPS9_SE_NS0_5tupleIJPjSE_EEENSF_IJSE_SE_EEES9_SG_JZNS1_25segmented_radix_sort_implINS0_14default_configELb0EPKsPsPKlPlN2at6native12_GLOBAL__N_18offset_tEEE10hipError_tPvRmT1_PNSt15iterator_traitsISY_E10value_typeET2_T3_PNSZ_IS14_E10value_typeET4_jRbjT5_S1A_jjP12ihipStream_tbEUljE_EEESV_SW_SX_S14_S18_S1A_T6_T7_T9_mT8_S1C_bDpT10_ENKUlT_T0_E_clISt17integral_constantIbLb0EES1O_IbLb1EEEEDaS1K_S1L_EUlS1K_E_NS1_11comp_targetILNS1_3genE3ELNS1_11target_archE908ELNS1_3gpuE7ELNS1_3repE0EEENS1_30default_config_static_selectorELNS0_4arch9wavefront6targetE1EEEvSY_,"axG",@progbits,_ZN7rocprim17ROCPRIM_400000_NS6detail17trampoline_kernelINS0_13select_configILj256ELj13ELNS0_17block_load_methodE3ELS4_3ELS4_3ELNS0_20block_scan_algorithmE0ELj4294967295EEENS1_25partition_config_selectorILNS1_17partition_subalgoE3EjNS0_10empty_typeEbEEZZNS1_14partition_implILS8_3ELb0ES6_jNS0_17counting_iteratorIjlEEPS9_SE_NS0_5tupleIJPjSE_EEENSF_IJSE_SE_EEES9_SG_JZNS1_25segmented_radix_sort_implINS0_14default_configELb0EPKsPsPKlPlN2at6native12_GLOBAL__N_18offset_tEEE10hipError_tPvRmT1_PNSt15iterator_traitsISY_E10value_typeET2_T3_PNSZ_IS14_E10value_typeET4_jRbjT5_S1A_jjP12ihipStream_tbEUljE_EEESV_SW_SX_S14_S18_S1A_T6_T7_T9_mT8_S1C_bDpT10_ENKUlT_T0_E_clISt17integral_constantIbLb0EES1O_IbLb1EEEEDaS1K_S1L_EUlS1K_E_NS1_11comp_targetILNS1_3genE3ELNS1_11target_archE908ELNS1_3gpuE7ELNS1_3repE0EEENS1_30default_config_static_selectorELNS0_4arch9wavefront6targetE1EEEvSY_,comdat
.Lfunc_end1009:
	.size	_ZN7rocprim17ROCPRIM_400000_NS6detail17trampoline_kernelINS0_13select_configILj256ELj13ELNS0_17block_load_methodE3ELS4_3ELS4_3ELNS0_20block_scan_algorithmE0ELj4294967295EEENS1_25partition_config_selectorILNS1_17partition_subalgoE3EjNS0_10empty_typeEbEEZZNS1_14partition_implILS8_3ELb0ES6_jNS0_17counting_iteratorIjlEEPS9_SE_NS0_5tupleIJPjSE_EEENSF_IJSE_SE_EEES9_SG_JZNS1_25segmented_radix_sort_implINS0_14default_configELb0EPKsPsPKlPlN2at6native12_GLOBAL__N_18offset_tEEE10hipError_tPvRmT1_PNSt15iterator_traitsISY_E10value_typeET2_T3_PNSZ_IS14_E10value_typeET4_jRbjT5_S1A_jjP12ihipStream_tbEUljE_EEESV_SW_SX_S14_S18_S1A_T6_T7_T9_mT8_S1C_bDpT10_ENKUlT_T0_E_clISt17integral_constantIbLb0EES1O_IbLb1EEEEDaS1K_S1L_EUlS1K_E_NS1_11comp_targetILNS1_3genE3ELNS1_11target_archE908ELNS1_3gpuE7ELNS1_3repE0EEENS1_30default_config_static_selectorELNS0_4arch9wavefront6targetE1EEEvSY_, .Lfunc_end1009-_ZN7rocprim17ROCPRIM_400000_NS6detail17trampoline_kernelINS0_13select_configILj256ELj13ELNS0_17block_load_methodE3ELS4_3ELS4_3ELNS0_20block_scan_algorithmE0ELj4294967295EEENS1_25partition_config_selectorILNS1_17partition_subalgoE3EjNS0_10empty_typeEbEEZZNS1_14partition_implILS8_3ELb0ES6_jNS0_17counting_iteratorIjlEEPS9_SE_NS0_5tupleIJPjSE_EEENSF_IJSE_SE_EEES9_SG_JZNS1_25segmented_radix_sort_implINS0_14default_configELb0EPKsPsPKlPlN2at6native12_GLOBAL__N_18offset_tEEE10hipError_tPvRmT1_PNSt15iterator_traitsISY_E10value_typeET2_T3_PNSZ_IS14_E10value_typeET4_jRbjT5_S1A_jjP12ihipStream_tbEUljE_EEESV_SW_SX_S14_S18_S1A_T6_T7_T9_mT8_S1C_bDpT10_ENKUlT_T0_E_clISt17integral_constantIbLb0EES1O_IbLb1EEEEDaS1K_S1L_EUlS1K_E_NS1_11comp_targetILNS1_3genE3ELNS1_11target_archE908ELNS1_3gpuE7ELNS1_3repE0EEENS1_30default_config_static_selectorELNS0_4arch9wavefront6targetE1EEEvSY_
                                        ; -- End function
	.set _ZN7rocprim17ROCPRIM_400000_NS6detail17trampoline_kernelINS0_13select_configILj256ELj13ELNS0_17block_load_methodE3ELS4_3ELS4_3ELNS0_20block_scan_algorithmE0ELj4294967295EEENS1_25partition_config_selectorILNS1_17partition_subalgoE3EjNS0_10empty_typeEbEEZZNS1_14partition_implILS8_3ELb0ES6_jNS0_17counting_iteratorIjlEEPS9_SE_NS0_5tupleIJPjSE_EEENSF_IJSE_SE_EEES9_SG_JZNS1_25segmented_radix_sort_implINS0_14default_configELb0EPKsPsPKlPlN2at6native12_GLOBAL__N_18offset_tEEE10hipError_tPvRmT1_PNSt15iterator_traitsISY_E10value_typeET2_T3_PNSZ_IS14_E10value_typeET4_jRbjT5_S1A_jjP12ihipStream_tbEUljE_EEESV_SW_SX_S14_S18_S1A_T6_T7_T9_mT8_S1C_bDpT10_ENKUlT_T0_E_clISt17integral_constantIbLb0EES1O_IbLb1EEEEDaS1K_S1L_EUlS1K_E_NS1_11comp_targetILNS1_3genE3ELNS1_11target_archE908ELNS1_3gpuE7ELNS1_3repE0EEENS1_30default_config_static_selectorELNS0_4arch9wavefront6targetE1EEEvSY_.num_vgpr, 0
	.set _ZN7rocprim17ROCPRIM_400000_NS6detail17trampoline_kernelINS0_13select_configILj256ELj13ELNS0_17block_load_methodE3ELS4_3ELS4_3ELNS0_20block_scan_algorithmE0ELj4294967295EEENS1_25partition_config_selectorILNS1_17partition_subalgoE3EjNS0_10empty_typeEbEEZZNS1_14partition_implILS8_3ELb0ES6_jNS0_17counting_iteratorIjlEEPS9_SE_NS0_5tupleIJPjSE_EEENSF_IJSE_SE_EEES9_SG_JZNS1_25segmented_radix_sort_implINS0_14default_configELb0EPKsPsPKlPlN2at6native12_GLOBAL__N_18offset_tEEE10hipError_tPvRmT1_PNSt15iterator_traitsISY_E10value_typeET2_T3_PNSZ_IS14_E10value_typeET4_jRbjT5_S1A_jjP12ihipStream_tbEUljE_EEESV_SW_SX_S14_S18_S1A_T6_T7_T9_mT8_S1C_bDpT10_ENKUlT_T0_E_clISt17integral_constantIbLb0EES1O_IbLb1EEEEDaS1K_S1L_EUlS1K_E_NS1_11comp_targetILNS1_3genE3ELNS1_11target_archE908ELNS1_3gpuE7ELNS1_3repE0EEENS1_30default_config_static_selectorELNS0_4arch9wavefront6targetE1EEEvSY_.num_agpr, 0
	.set _ZN7rocprim17ROCPRIM_400000_NS6detail17trampoline_kernelINS0_13select_configILj256ELj13ELNS0_17block_load_methodE3ELS4_3ELS4_3ELNS0_20block_scan_algorithmE0ELj4294967295EEENS1_25partition_config_selectorILNS1_17partition_subalgoE3EjNS0_10empty_typeEbEEZZNS1_14partition_implILS8_3ELb0ES6_jNS0_17counting_iteratorIjlEEPS9_SE_NS0_5tupleIJPjSE_EEENSF_IJSE_SE_EEES9_SG_JZNS1_25segmented_radix_sort_implINS0_14default_configELb0EPKsPsPKlPlN2at6native12_GLOBAL__N_18offset_tEEE10hipError_tPvRmT1_PNSt15iterator_traitsISY_E10value_typeET2_T3_PNSZ_IS14_E10value_typeET4_jRbjT5_S1A_jjP12ihipStream_tbEUljE_EEESV_SW_SX_S14_S18_S1A_T6_T7_T9_mT8_S1C_bDpT10_ENKUlT_T0_E_clISt17integral_constantIbLb0EES1O_IbLb1EEEEDaS1K_S1L_EUlS1K_E_NS1_11comp_targetILNS1_3genE3ELNS1_11target_archE908ELNS1_3gpuE7ELNS1_3repE0EEENS1_30default_config_static_selectorELNS0_4arch9wavefront6targetE1EEEvSY_.numbered_sgpr, 0
	.set _ZN7rocprim17ROCPRIM_400000_NS6detail17trampoline_kernelINS0_13select_configILj256ELj13ELNS0_17block_load_methodE3ELS4_3ELS4_3ELNS0_20block_scan_algorithmE0ELj4294967295EEENS1_25partition_config_selectorILNS1_17partition_subalgoE3EjNS0_10empty_typeEbEEZZNS1_14partition_implILS8_3ELb0ES6_jNS0_17counting_iteratorIjlEEPS9_SE_NS0_5tupleIJPjSE_EEENSF_IJSE_SE_EEES9_SG_JZNS1_25segmented_radix_sort_implINS0_14default_configELb0EPKsPsPKlPlN2at6native12_GLOBAL__N_18offset_tEEE10hipError_tPvRmT1_PNSt15iterator_traitsISY_E10value_typeET2_T3_PNSZ_IS14_E10value_typeET4_jRbjT5_S1A_jjP12ihipStream_tbEUljE_EEESV_SW_SX_S14_S18_S1A_T6_T7_T9_mT8_S1C_bDpT10_ENKUlT_T0_E_clISt17integral_constantIbLb0EES1O_IbLb1EEEEDaS1K_S1L_EUlS1K_E_NS1_11comp_targetILNS1_3genE3ELNS1_11target_archE908ELNS1_3gpuE7ELNS1_3repE0EEENS1_30default_config_static_selectorELNS0_4arch9wavefront6targetE1EEEvSY_.num_named_barrier, 0
	.set _ZN7rocprim17ROCPRIM_400000_NS6detail17trampoline_kernelINS0_13select_configILj256ELj13ELNS0_17block_load_methodE3ELS4_3ELS4_3ELNS0_20block_scan_algorithmE0ELj4294967295EEENS1_25partition_config_selectorILNS1_17partition_subalgoE3EjNS0_10empty_typeEbEEZZNS1_14partition_implILS8_3ELb0ES6_jNS0_17counting_iteratorIjlEEPS9_SE_NS0_5tupleIJPjSE_EEENSF_IJSE_SE_EEES9_SG_JZNS1_25segmented_radix_sort_implINS0_14default_configELb0EPKsPsPKlPlN2at6native12_GLOBAL__N_18offset_tEEE10hipError_tPvRmT1_PNSt15iterator_traitsISY_E10value_typeET2_T3_PNSZ_IS14_E10value_typeET4_jRbjT5_S1A_jjP12ihipStream_tbEUljE_EEESV_SW_SX_S14_S18_S1A_T6_T7_T9_mT8_S1C_bDpT10_ENKUlT_T0_E_clISt17integral_constantIbLb0EES1O_IbLb1EEEEDaS1K_S1L_EUlS1K_E_NS1_11comp_targetILNS1_3genE3ELNS1_11target_archE908ELNS1_3gpuE7ELNS1_3repE0EEENS1_30default_config_static_selectorELNS0_4arch9wavefront6targetE1EEEvSY_.private_seg_size, 0
	.set _ZN7rocprim17ROCPRIM_400000_NS6detail17trampoline_kernelINS0_13select_configILj256ELj13ELNS0_17block_load_methodE3ELS4_3ELS4_3ELNS0_20block_scan_algorithmE0ELj4294967295EEENS1_25partition_config_selectorILNS1_17partition_subalgoE3EjNS0_10empty_typeEbEEZZNS1_14partition_implILS8_3ELb0ES6_jNS0_17counting_iteratorIjlEEPS9_SE_NS0_5tupleIJPjSE_EEENSF_IJSE_SE_EEES9_SG_JZNS1_25segmented_radix_sort_implINS0_14default_configELb0EPKsPsPKlPlN2at6native12_GLOBAL__N_18offset_tEEE10hipError_tPvRmT1_PNSt15iterator_traitsISY_E10value_typeET2_T3_PNSZ_IS14_E10value_typeET4_jRbjT5_S1A_jjP12ihipStream_tbEUljE_EEESV_SW_SX_S14_S18_S1A_T6_T7_T9_mT8_S1C_bDpT10_ENKUlT_T0_E_clISt17integral_constantIbLb0EES1O_IbLb1EEEEDaS1K_S1L_EUlS1K_E_NS1_11comp_targetILNS1_3genE3ELNS1_11target_archE908ELNS1_3gpuE7ELNS1_3repE0EEENS1_30default_config_static_selectorELNS0_4arch9wavefront6targetE1EEEvSY_.uses_vcc, 0
	.set _ZN7rocprim17ROCPRIM_400000_NS6detail17trampoline_kernelINS0_13select_configILj256ELj13ELNS0_17block_load_methodE3ELS4_3ELS4_3ELNS0_20block_scan_algorithmE0ELj4294967295EEENS1_25partition_config_selectorILNS1_17partition_subalgoE3EjNS0_10empty_typeEbEEZZNS1_14partition_implILS8_3ELb0ES6_jNS0_17counting_iteratorIjlEEPS9_SE_NS0_5tupleIJPjSE_EEENSF_IJSE_SE_EEES9_SG_JZNS1_25segmented_radix_sort_implINS0_14default_configELb0EPKsPsPKlPlN2at6native12_GLOBAL__N_18offset_tEEE10hipError_tPvRmT1_PNSt15iterator_traitsISY_E10value_typeET2_T3_PNSZ_IS14_E10value_typeET4_jRbjT5_S1A_jjP12ihipStream_tbEUljE_EEESV_SW_SX_S14_S18_S1A_T6_T7_T9_mT8_S1C_bDpT10_ENKUlT_T0_E_clISt17integral_constantIbLb0EES1O_IbLb1EEEEDaS1K_S1L_EUlS1K_E_NS1_11comp_targetILNS1_3genE3ELNS1_11target_archE908ELNS1_3gpuE7ELNS1_3repE0EEENS1_30default_config_static_selectorELNS0_4arch9wavefront6targetE1EEEvSY_.uses_flat_scratch, 0
	.set _ZN7rocprim17ROCPRIM_400000_NS6detail17trampoline_kernelINS0_13select_configILj256ELj13ELNS0_17block_load_methodE3ELS4_3ELS4_3ELNS0_20block_scan_algorithmE0ELj4294967295EEENS1_25partition_config_selectorILNS1_17partition_subalgoE3EjNS0_10empty_typeEbEEZZNS1_14partition_implILS8_3ELb0ES6_jNS0_17counting_iteratorIjlEEPS9_SE_NS0_5tupleIJPjSE_EEENSF_IJSE_SE_EEES9_SG_JZNS1_25segmented_radix_sort_implINS0_14default_configELb0EPKsPsPKlPlN2at6native12_GLOBAL__N_18offset_tEEE10hipError_tPvRmT1_PNSt15iterator_traitsISY_E10value_typeET2_T3_PNSZ_IS14_E10value_typeET4_jRbjT5_S1A_jjP12ihipStream_tbEUljE_EEESV_SW_SX_S14_S18_S1A_T6_T7_T9_mT8_S1C_bDpT10_ENKUlT_T0_E_clISt17integral_constantIbLb0EES1O_IbLb1EEEEDaS1K_S1L_EUlS1K_E_NS1_11comp_targetILNS1_3genE3ELNS1_11target_archE908ELNS1_3gpuE7ELNS1_3repE0EEENS1_30default_config_static_selectorELNS0_4arch9wavefront6targetE1EEEvSY_.has_dyn_sized_stack, 0
	.set _ZN7rocprim17ROCPRIM_400000_NS6detail17trampoline_kernelINS0_13select_configILj256ELj13ELNS0_17block_load_methodE3ELS4_3ELS4_3ELNS0_20block_scan_algorithmE0ELj4294967295EEENS1_25partition_config_selectorILNS1_17partition_subalgoE3EjNS0_10empty_typeEbEEZZNS1_14partition_implILS8_3ELb0ES6_jNS0_17counting_iteratorIjlEEPS9_SE_NS0_5tupleIJPjSE_EEENSF_IJSE_SE_EEES9_SG_JZNS1_25segmented_radix_sort_implINS0_14default_configELb0EPKsPsPKlPlN2at6native12_GLOBAL__N_18offset_tEEE10hipError_tPvRmT1_PNSt15iterator_traitsISY_E10value_typeET2_T3_PNSZ_IS14_E10value_typeET4_jRbjT5_S1A_jjP12ihipStream_tbEUljE_EEESV_SW_SX_S14_S18_S1A_T6_T7_T9_mT8_S1C_bDpT10_ENKUlT_T0_E_clISt17integral_constantIbLb0EES1O_IbLb1EEEEDaS1K_S1L_EUlS1K_E_NS1_11comp_targetILNS1_3genE3ELNS1_11target_archE908ELNS1_3gpuE7ELNS1_3repE0EEENS1_30default_config_static_selectorELNS0_4arch9wavefront6targetE1EEEvSY_.has_recursion, 0
	.set _ZN7rocprim17ROCPRIM_400000_NS6detail17trampoline_kernelINS0_13select_configILj256ELj13ELNS0_17block_load_methodE3ELS4_3ELS4_3ELNS0_20block_scan_algorithmE0ELj4294967295EEENS1_25partition_config_selectorILNS1_17partition_subalgoE3EjNS0_10empty_typeEbEEZZNS1_14partition_implILS8_3ELb0ES6_jNS0_17counting_iteratorIjlEEPS9_SE_NS0_5tupleIJPjSE_EEENSF_IJSE_SE_EEES9_SG_JZNS1_25segmented_radix_sort_implINS0_14default_configELb0EPKsPsPKlPlN2at6native12_GLOBAL__N_18offset_tEEE10hipError_tPvRmT1_PNSt15iterator_traitsISY_E10value_typeET2_T3_PNSZ_IS14_E10value_typeET4_jRbjT5_S1A_jjP12ihipStream_tbEUljE_EEESV_SW_SX_S14_S18_S1A_T6_T7_T9_mT8_S1C_bDpT10_ENKUlT_T0_E_clISt17integral_constantIbLb0EES1O_IbLb1EEEEDaS1K_S1L_EUlS1K_E_NS1_11comp_targetILNS1_3genE3ELNS1_11target_archE908ELNS1_3gpuE7ELNS1_3repE0EEENS1_30default_config_static_selectorELNS0_4arch9wavefront6targetE1EEEvSY_.has_indirect_call, 0
	.section	.AMDGPU.csdata,"",@progbits
; Kernel info:
; codeLenInByte = 0
; TotalNumSgprs: 4
; NumVgprs: 0
; ScratchSize: 0
; MemoryBound: 0
; FloatMode: 240
; IeeeMode: 1
; LDSByteSize: 0 bytes/workgroup (compile time only)
; SGPRBlocks: 0
; VGPRBlocks: 0
; NumSGPRsForWavesPerEU: 4
; NumVGPRsForWavesPerEU: 1
; Occupancy: 10
; WaveLimiterHint : 0
; COMPUTE_PGM_RSRC2:SCRATCH_EN: 0
; COMPUTE_PGM_RSRC2:USER_SGPR: 6
; COMPUTE_PGM_RSRC2:TRAP_HANDLER: 0
; COMPUTE_PGM_RSRC2:TGID_X_EN: 1
; COMPUTE_PGM_RSRC2:TGID_Y_EN: 0
; COMPUTE_PGM_RSRC2:TGID_Z_EN: 0
; COMPUTE_PGM_RSRC2:TIDIG_COMP_CNT: 0
	.section	.text._ZN7rocprim17ROCPRIM_400000_NS6detail17trampoline_kernelINS0_13select_configILj256ELj13ELNS0_17block_load_methodE3ELS4_3ELS4_3ELNS0_20block_scan_algorithmE0ELj4294967295EEENS1_25partition_config_selectorILNS1_17partition_subalgoE3EjNS0_10empty_typeEbEEZZNS1_14partition_implILS8_3ELb0ES6_jNS0_17counting_iteratorIjlEEPS9_SE_NS0_5tupleIJPjSE_EEENSF_IJSE_SE_EEES9_SG_JZNS1_25segmented_radix_sort_implINS0_14default_configELb0EPKsPsPKlPlN2at6native12_GLOBAL__N_18offset_tEEE10hipError_tPvRmT1_PNSt15iterator_traitsISY_E10value_typeET2_T3_PNSZ_IS14_E10value_typeET4_jRbjT5_S1A_jjP12ihipStream_tbEUljE_EEESV_SW_SX_S14_S18_S1A_T6_T7_T9_mT8_S1C_bDpT10_ENKUlT_T0_E_clISt17integral_constantIbLb0EES1O_IbLb1EEEEDaS1K_S1L_EUlS1K_E_NS1_11comp_targetILNS1_3genE2ELNS1_11target_archE906ELNS1_3gpuE6ELNS1_3repE0EEENS1_30default_config_static_selectorELNS0_4arch9wavefront6targetE1EEEvSY_,"axG",@progbits,_ZN7rocprim17ROCPRIM_400000_NS6detail17trampoline_kernelINS0_13select_configILj256ELj13ELNS0_17block_load_methodE3ELS4_3ELS4_3ELNS0_20block_scan_algorithmE0ELj4294967295EEENS1_25partition_config_selectorILNS1_17partition_subalgoE3EjNS0_10empty_typeEbEEZZNS1_14partition_implILS8_3ELb0ES6_jNS0_17counting_iteratorIjlEEPS9_SE_NS0_5tupleIJPjSE_EEENSF_IJSE_SE_EEES9_SG_JZNS1_25segmented_radix_sort_implINS0_14default_configELb0EPKsPsPKlPlN2at6native12_GLOBAL__N_18offset_tEEE10hipError_tPvRmT1_PNSt15iterator_traitsISY_E10value_typeET2_T3_PNSZ_IS14_E10value_typeET4_jRbjT5_S1A_jjP12ihipStream_tbEUljE_EEESV_SW_SX_S14_S18_S1A_T6_T7_T9_mT8_S1C_bDpT10_ENKUlT_T0_E_clISt17integral_constantIbLb0EES1O_IbLb1EEEEDaS1K_S1L_EUlS1K_E_NS1_11comp_targetILNS1_3genE2ELNS1_11target_archE906ELNS1_3gpuE6ELNS1_3repE0EEENS1_30default_config_static_selectorELNS0_4arch9wavefront6targetE1EEEvSY_,comdat
	.globl	_ZN7rocprim17ROCPRIM_400000_NS6detail17trampoline_kernelINS0_13select_configILj256ELj13ELNS0_17block_load_methodE3ELS4_3ELS4_3ELNS0_20block_scan_algorithmE0ELj4294967295EEENS1_25partition_config_selectorILNS1_17partition_subalgoE3EjNS0_10empty_typeEbEEZZNS1_14partition_implILS8_3ELb0ES6_jNS0_17counting_iteratorIjlEEPS9_SE_NS0_5tupleIJPjSE_EEENSF_IJSE_SE_EEES9_SG_JZNS1_25segmented_radix_sort_implINS0_14default_configELb0EPKsPsPKlPlN2at6native12_GLOBAL__N_18offset_tEEE10hipError_tPvRmT1_PNSt15iterator_traitsISY_E10value_typeET2_T3_PNSZ_IS14_E10value_typeET4_jRbjT5_S1A_jjP12ihipStream_tbEUljE_EEESV_SW_SX_S14_S18_S1A_T6_T7_T9_mT8_S1C_bDpT10_ENKUlT_T0_E_clISt17integral_constantIbLb0EES1O_IbLb1EEEEDaS1K_S1L_EUlS1K_E_NS1_11comp_targetILNS1_3genE2ELNS1_11target_archE906ELNS1_3gpuE6ELNS1_3repE0EEENS1_30default_config_static_selectorELNS0_4arch9wavefront6targetE1EEEvSY_ ; -- Begin function _ZN7rocprim17ROCPRIM_400000_NS6detail17trampoline_kernelINS0_13select_configILj256ELj13ELNS0_17block_load_methodE3ELS4_3ELS4_3ELNS0_20block_scan_algorithmE0ELj4294967295EEENS1_25partition_config_selectorILNS1_17partition_subalgoE3EjNS0_10empty_typeEbEEZZNS1_14partition_implILS8_3ELb0ES6_jNS0_17counting_iteratorIjlEEPS9_SE_NS0_5tupleIJPjSE_EEENSF_IJSE_SE_EEES9_SG_JZNS1_25segmented_radix_sort_implINS0_14default_configELb0EPKsPsPKlPlN2at6native12_GLOBAL__N_18offset_tEEE10hipError_tPvRmT1_PNSt15iterator_traitsISY_E10value_typeET2_T3_PNSZ_IS14_E10value_typeET4_jRbjT5_S1A_jjP12ihipStream_tbEUljE_EEESV_SW_SX_S14_S18_S1A_T6_T7_T9_mT8_S1C_bDpT10_ENKUlT_T0_E_clISt17integral_constantIbLb0EES1O_IbLb1EEEEDaS1K_S1L_EUlS1K_E_NS1_11comp_targetILNS1_3genE2ELNS1_11target_archE906ELNS1_3gpuE6ELNS1_3repE0EEENS1_30default_config_static_selectorELNS0_4arch9wavefront6targetE1EEEvSY_
	.p2align	8
	.type	_ZN7rocprim17ROCPRIM_400000_NS6detail17trampoline_kernelINS0_13select_configILj256ELj13ELNS0_17block_load_methodE3ELS4_3ELS4_3ELNS0_20block_scan_algorithmE0ELj4294967295EEENS1_25partition_config_selectorILNS1_17partition_subalgoE3EjNS0_10empty_typeEbEEZZNS1_14partition_implILS8_3ELb0ES6_jNS0_17counting_iteratorIjlEEPS9_SE_NS0_5tupleIJPjSE_EEENSF_IJSE_SE_EEES9_SG_JZNS1_25segmented_radix_sort_implINS0_14default_configELb0EPKsPsPKlPlN2at6native12_GLOBAL__N_18offset_tEEE10hipError_tPvRmT1_PNSt15iterator_traitsISY_E10value_typeET2_T3_PNSZ_IS14_E10value_typeET4_jRbjT5_S1A_jjP12ihipStream_tbEUljE_EEESV_SW_SX_S14_S18_S1A_T6_T7_T9_mT8_S1C_bDpT10_ENKUlT_T0_E_clISt17integral_constantIbLb0EES1O_IbLb1EEEEDaS1K_S1L_EUlS1K_E_NS1_11comp_targetILNS1_3genE2ELNS1_11target_archE906ELNS1_3gpuE6ELNS1_3repE0EEENS1_30default_config_static_selectorELNS0_4arch9wavefront6targetE1EEEvSY_,@function
_ZN7rocprim17ROCPRIM_400000_NS6detail17trampoline_kernelINS0_13select_configILj256ELj13ELNS0_17block_load_methodE3ELS4_3ELS4_3ELNS0_20block_scan_algorithmE0ELj4294967295EEENS1_25partition_config_selectorILNS1_17partition_subalgoE3EjNS0_10empty_typeEbEEZZNS1_14partition_implILS8_3ELb0ES6_jNS0_17counting_iteratorIjlEEPS9_SE_NS0_5tupleIJPjSE_EEENSF_IJSE_SE_EEES9_SG_JZNS1_25segmented_radix_sort_implINS0_14default_configELb0EPKsPsPKlPlN2at6native12_GLOBAL__N_18offset_tEEE10hipError_tPvRmT1_PNSt15iterator_traitsISY_E10value_typeET2_T3_PNSZ_IS14_E10value_typeET4_jRbjT5_S1A_jjP12ihipStream_tbEUljE_EEESV_SW_SX_S14_S18_S1A_T6_T7_T9_mT8_S1C_bDpT10_ENKUlT_T0_E_clISt17integral_constantIbLb0EES1O_IbLb1EEEEDaS1K_S1L_EUlS1K_E_NS1_11comp_targetILNS1_3genE2ELNS1_11target_archE906ELNS1_3gpuE6ELNS1_3repE0EEENS1_30default_config_static_selectorELNS0_4arch9wavefront6targetE1EEEvSY_: ; @_ZN7rocprim17ROCPRIM_400000_NS6detail17trampoline_kernelINS0_13select_configILj256ELj13ELNS0_17block_load_methodE3ELS4_3ELS4_3ELNS0_20block_scan_algorithmE0ELj4294967295EEENS1_25partition_config_selectorILNS1_17partition_subalgoE3EjNS0_10empty_typeEbEEZZNS1_14partition_implILS8_3ELb0ES6_jNS0_17counting_iteratorIjlEEPS9_SE_NS0_5tupleIJPjSE_EEENSF_IJSE_SE_EEES9_SG_JZNS1_25segmented_radix_sort_implINS0_14default_configELb0EPKsPsPKlPlN2at6native12_GLOBAL__N_18offset_tEEE10hipError_tPvRmT1_PNSt15iterator_traitsISY_E10value_typeET2_T3_PNSZ_IS14_E10value_typeET4_jRbjT5_S1A_jjP12ihipStream_tbEUljE_EEESV_SW_SX_S14_S18_S1A_T6_T7_T9_mT8_S1C_bDpT10_ENKUlT_T0_E_clISt17integral_constantIbLb0EES1O_IbLb1EEEEDaS1K_S1L_EUlS1K_E_NS1_11comp_targetILNS1_3genE2ELNS1_11target_archE906ELNS1_3gpuE6ELNS1_3repE0EEENS1_30default_config_static_selectorELNS0_4arch9wavefront6targetE1EEEvSY_
; %bb.0:
	s_load_dwordx2 s[28:29], s[4:5], 0x10
	s_load_dwordx2 s[22:23], s[4:5], 0x28
	;; [unrolled: 1-line block ×3, first 2 shown]
	s_load_dwordx4 s[24:27], s[4:5], 0x48
	s_load_dword s14, s[4:5], 0x90
	s_load_dwordx2 s[34:35], s[4:5], 0x68
	s_load_dwordx4 s[8:11], s[4:5], 0x80
	v_cmp_eq_u32_e64 s[0:1], 0, v0
	s_and_saveexec_b64 s[2:3], s[0:1]
	s_cbranch_execz .LBB1010_4
; %bb.1:
	s_mov_b64 s[12:13], exec
	v_mbcnt_lo_u32_b32 v1, s12, 0
	v_mbcnt_hi_u32_b32 v1, s13, v1
	v_cmp_eq_u32_e32 vcc, 0, v1
                                        ; implicit-def: $vgpr2
	s_and_saveexec_b64 s[6:7], vcc
	s_cbranch_execz .LBB1010_3
; %bb.2:
	s_load_dwordx2 s[16:17], s[4:5], 0x78
	s_bcnt1_i32_b64 s12, s[12:13]
	v_mov_b32_e32 v2, 0
	v_mov_b32_e32 v3, s12
	s_waitcnt lgkmcnt(0)
	global_atomic_add v2, v2, v3, s[16:17] glc
.LBB1010_3:
	s_or_b64 exec, exec, s[6:7]
	s_waitcnt vmcnt(0)
	v_readfirstlane_b32 s6, v2
	v_add_u32_e32 v1, s6, v1
	v_mov_b32_e32 v2, 0
	ds_write_b32 v2, v1
.LBB1010_4:
	s_or_b64 exec, exec, s[2:3]
	v_mov_b32_e32 v1, 0
	s_load_dword s6, s[4:5], 0x8
	s_load_dword s2, s[4:5], 0x70
	s_waitcnt lgkmcnt(0)
	s_barrier
	ds_read_b32 v5, v1
	s_waitcnt lgkmcnt(0)
	s_barrier
	global_load_dwordx2 v[3:4], v1, s[26:27]
	s_add_i32 s4, s2, -1
	s_mulk_i32 s2, 0xd00
	s_add_i32 s3, s2, s28
	s_sub_i32 s33, s30, s3
	s_add_i32 s6, s6, s28
	s_addk_i32 s33, 0xd00
	s_add_u32 s2, s28, s2
	s_addc_u32 s3, s29, 0
	v_mov_b32_e32 v1, s2
	v_mov_b32_e32 v2, s3
	v_readfirstlane_b32 s43, v5
	v_cmp_gt_u64_e32 vcc, s[30:31], v[1:2]
	s_cmp_eq_u32 s43, s4
	v_cmp_ne_u32_e64 s[2:3], s4, v5
	s_cselect_b64 s[26:27], -1, 0
	s_or_b64 s[4:5], vcc, s[2:3]
	s_mul_i32 s42, s43, 0xd00
	s_mov_b64 s[2:3], -1
	s_and_b64 vcc, exec, s[4:5]
	v_lshlrev_b32_e32 v25, 2, v0
	s_cbranch_vccz .LBB1010_6
; %bb.5:
	s_add_i32 s2, s42, s6
	v_add_u32_e32 v1, s2, v0
	v_add_u32_e32 v2, 0x100, v1
	;; [unrolled: 1-line block ×13, first 2 shown]
	ds_write2st64_b32 v25, v1, v2 offset1:4
	ds_write2st64_b32 v25, v5, v6 offset0:8 offset1:12
	ds_write2st64_b32 v25, v7, v8 offset0:16 offset1:20
	;; [unrolled: 1-line block ×5, first 2 shown]
	ds_write_b32 v25, v15 offset:12288
	s_waitcnt vmcnt(0) lgkmcnt(0)
	s_barrier
	s_mov_b64 s[2:3], 0
.LBB1010_6:
	s_andn2_b64 vcc, exec, s[2:3]
	v_cmp_gt_u32_e64 s[2:3], s33, v0
	s_cbranch_vccnz .LBB1010_8
; %bb.7:
	s_add_i32 s6, s42, s6
	v_or_b32_e32 v2, 0x100, v0
	v_add_u32_e32 v5, s6, v2
	v_cmp_gt_u32_e32 vcc, s33, v2
	v_cndmask_b32_e32 v2, 0, v5, vcc
	v_or_b32_e32 v5, 0x200, v0
	v_add_u32_e32 v6, s6, v5
	v_cmp_gt_u32_e32 vcc, s33, v5
	v_cndmask_b32_e32 v5, 0, v6, vcc
	;; [unrolled: 4-line block ×10, first 2 shown]
	v_or_b32_e32 v14, 0xb00, v0
	v_add_u32_e32 v15, s6, v14
	v_cmp_gt_u32_e32 vcc, s33, v14
	v_add_u32_e32 v1, s6, v0
	v_cndmask_b32_e32 v14, 0, v15, vcc
	v_or_b32_e32 v15, 0xc00, v0
	v_cndmask_b32_e64 v1, 0, v1, s[2:3]
	v_add_u32_e32 v16, s6, v15
	v_cmp_gt_u32_e32 vcc, s33, v15
	v_cndmask_b32_e32 v15, 0, v16, vcc
	ds_write2st64_b32 v25, v1, v2 offset1:4
	ds_write2st64_b32 v25, v5, v6 offset0:8 offset1:12
	ds_write2st64_b32 v25, v7, v8 offset0:16 offset1:20
	;; [unrolled: 1-line block ×5, first 2 shown]
	ds_write_b32 v25, v15 offset:12288
	s_waitcnt vmcnt(0) lgkmcnt(0)
	s_barrier
.LBB1010_8:
	v_mul_u32_u24_e32 v27, 13, v0
	v_lshlrev_b32_e32 v1, 2, v27
	ds_read2_b32 v[15:16], v1 offset1:1
	ds_read2_b32 v[13:14], v1 offset0:2 offset1:3
	ds_read2_b32 v[11:12], v1 offset0:4 offset1:5
	;; [unrolled: 1-line block ×5, first 2 shown]
	ds_read_b32 v26, v1 offset:48
	v_cndmask_b32_e64 v1, 0, 1, s[4:5]
	v_cmp_ne_u32_e64 s[2:3], 1, v1
	s_andn2_b64 vcc, exec, s[4:5]
	s_waitcnt vmcnt(0) lgkmcnt(0)
	s_barrier
	s_cbranch_vccnz .LBB1010_10
; %bb.9:
	v_add_u32_e32 v1, s9, v15
	v_add_u32_e32 v2, s11, v15
	v_mul_lo_u32 v1, v1, s8
	v_mul_lo_u32 v2, v2, s10
	v_add_u32_e32 v17, s9, v13
	v_add_u32_e32 v18, s11, v13
	v_mul_lo_u32 v17, v17, s8
	v_sub_u32_e32 v1, v1, v2
	v_cmp_lt_u32_e32 vcc, s14, v1
	v_add_u32_e32 v1, s9, v16
	v_add_u32_e32 v2, s11, v16
	v_mul_lo_u32 v1, v1, s8
	v_mul_lo_u32 v2, v2, s10
	;; [unrolled: 1-line block ×3, first 2 shown]
	v_cndmask_b32_e64 v28, 0, 1, vcc
	v_sub_u32_e32 v1, v1, v2
	v_cmp_lt_u32_e32 vcc, s14, v1
	v_sub_u32_e32 v1, v17, v18
	v_cndmask_b32_e64 v29, 0, 1, vcc
	v_cmp_lt_u32_e32 vcc, s14, v1
	v_add_u32_e32 v1, s9, v14
	v_add_u32_e32 v2, s11, v14
	v_mul_lo_u32 v1, v1, s8
	v_mul_lo_u32 v2, v2, s10
	v_add_u32_e32 v17, s9, v11
	v_add_u32_e32 v18, s11, v11
	v_mul_lo_u32 v17, v17, s8
	v_mul_lo_u32 v18, v18, s10
	v_sub_u32_e32 v1, v1, v2
	v_cndmask_b32_e64 v30, 0, 1, vcc
	v_cmp_lt_u32_e32 vcc, s14, v1
	v_sub_u32_e32 v1, v17, v18
	v_cndmask_b32_e64 v31, 0, 1, vcc
	v_cmp_lt_u32_e32 vcc, s14, v1
	v_add_u32_e32 v1, s9, v12
	v_add_u32_e32 v2, s11, v12
	v_mul_lo_u32 v1, v1, s8
	v_mul_lo_u32 v2, v2, s10
	v_add_u32_e32 v17, s9, v9
	v_add_u32_e32 v18, s11, v9
	v_mul_lo_u32 v17, v17, s8
	v_mul_lo_u32 v18, v18, s10
	v_sub_u32_e32 v1, v1, v2
	v_cndmask_b32_e64 v32, 0, 1, vcc
	v_cmp_lt_u32_e32 vcc, s14, v1
	v_sub_u32_e32 v1, v17, v18
	v_cndmask_b32_e64 v33, 0, 1, vcc
	v_cmp_lt_u32_e32 vcc, s14, v1
	v_add_u32_e32 v1, s9, v10
	v_add_u32_e32 v2, s11, v10
	v_mul_lo_u32 v1, v1, s8
	v_mul_lo_u32 v2, v2, s10
	v_add_u32_e32 v17, s9, v7
	v_add_u32_e32 v18, s11, v7
	v_mul_lo_u32 v17, v17, s8
	v_mul_lo_u32 v18, v18, s10
	v_sub_u32_e32 v1, v1, v2
	v_cndmask_b32_e64 v34, 0, 1, vcc
	v_cmp_lt_u32_e32 vcc, s14, v1
	v_sub_u32_e32 v1, v17, v18
	v_cndmask_b32_e64 v35, 0, 1, vcc
	v_cmp_lt_u32_e32 vcc, s14, v1
	v_add_u32_e32 v1, s9, v8
	v_add_u32_e32 v2, s11, v8
	v_mul_lo_u32 v1, v1, s8
	v_mul_lo_u32 v2, v2, s10
	v_add_u32_e32 v17, s9, v5
	v_add_u32_e32 v18, s11, v5
	v_mul_lo_u32 v17, v17, s8
	v_mul_lo_u32 v18, v18, s10
	v_sub_u32_e32 v1, v1, v2
	v_cndmask_b32_e64 v36, 0, 1, vcc
	v_cmp_lt_u32_e32 vcc, s14, v1
	v_sub_u32_e32 v1, v17, v18
	v_cndmask_b32_e64 v37, 0, 1, vcc
	v_cmp_lt_u32_e32 vcc, s14, v1
	v_add_u32_e32 v1, s9, v6
	v_add_u32_e32 v2, s11, v6
	v_mul_lo_u32 v1, v1, s8
	v_mul_lo_u32 v2, v2, s10
	v_add_u32_e32 v17, s9, v26
	v_add_u32_e32 v18, s11, v26
	v_mul_lo_u32 v17, v17, s8
	v_mul_lo_u32 v18, v18, s10
	v_sub_u32_e32 v1, v1, v2
	v_cndmask_b32_e64 v38, 0, 1, vcc
	v_cmp_lt_u32_e32 vcc, s14, v1
	v_sub_u32_e32 v1, v17, v18
	v_cndmask_b32_e64 v39, 0, 1, vcc
	v_cmp_lt_u32_e64 s[36:37], s14, v1
	s_cbranch_execz .LBB1010_11
	s_branch .LBB1010_38
.LBB1010_10:
                                        ; implicit-def: $sgpr36_sgpr37
                                        ; implicit-def: $vgpr39
                                        ; implicit-def: $vgpr38
                                        ; implicit-def: $vgpr37
                                        ; implicit-def: $vgpr36
                                        ; implicit-def: $vgpr35
                                        ; implicit-def: $vgpr34
                                        ; implicit-def: $vgpr33
                                        ; implicit-def: $vgpr32
                                        ; implicit-def: $vgpr28
                                        ; implicit-def: $vgpr29
                                        ; implicit-def: $vgpr30
                                        ; implicit-def: $vgpr31
.LBB1010_11:
	v_cmp_gt_u32_e32 vcc, s33, v27
	v_mov_b32_e32 v29, 0
	v_mov_b32_e32 v28, 0
	s_and_saveexec_b64 s[4:5], vcc
	s_cbranch_execz .LBB1010_13
; %bb.12:
	v_add_u32_e32 v1, s9, v15
	v_add_u32_e32 v2, s11, v15
	v_mul_lo_u32 v1, v1, s8
	v_mul_lo_u32 v2, v2, s10
	v_sub_u32_e32 v1, v1, v2
	v_cmp_lt_u32_e32 vcc, s14, v1
	v_cndmask_b32_e64 v28, 0, 1, vcc
.LBB1010_13:
	s_or_b64 exec, exec, s[4:5]
	v_add_u32_e32 v1, 1, v27
	v_cmp_gt_u32_e32 vcc, s33, v1
	s_and_saveexec_b64 s[4:5], vcc
	s_cbranch_execz .LBB1010_15
; %bb.14:
	v_add_u32_e32 v1, s9, v16
	v_add_u32_e32 v2, s11, v16
	v_mul_lo_u32 v1, v1, s8
	v_mul_lo_u32 v2, v2, s10
	v_sub_u32_e32 v1, v1, v2
	v_cmp_lt_u32_e32 vcc, s14, v1
	v_cndmask_b32_e64 v29, 0, 1, vcc
.LBB1010_15:
	s_or_b64 exec, exec, s[4:5]
	v_add_u32_e32 v1, 2, v27
	v_cmp_gt_u32_e32 vcc, s33, v1
	v_mov_b32_e32 v31, 0
	v_mov_b32_e32 v30, 0
	s_and_saveexec_b64 s[4:5], vcc
	s_cbranch_execz .LBB1010_17
; %bb.16:
	v_add_u32_e32 v1, s9, v13
	v_add_u32_e32 v2, s11, v13
	v_mul_lo_u32 v1, v1, s8
	v_mul_lo_u32 v2, v2, s10
	v_sub_u32_e32 v1, v1, v2
	v_cmp_lt_u32_e32 vcc, s14, v1
	v_cndmask_b32_e64 v30, 0, 1, vcc
.LBB1010_17:
	s_or_b64 exec, exec, s[4:5]
	v_add_u32_e32 v1, 3, v27
	v_cmp_gt_u32_e32 vcc, s33, v1
	s_and_saveexec_b64 s[4:5], vcc
	s_cbranch_execz .LBB1010_19
; %bb.18:
	v_add_u32_e32 v1, s9, v14
	v_add_u32_e32 v2, s11, v14
	v_mul_lo_u32 v1, v1, s8
	v_mul_lo_u32 v2, v2, s10
	v_sub_u32_e32 v1, v1, v2
	v_cmp_lt_u32_e32 vcc, s14, v1
	v_cndmask_b32_e64 v31, 0, 1, vcc
.LBB1010_19:
	s_or_b64 exec, exec, s[4:5]
	v_add_u32_e32 v1, 4, v27
	;; [unrolled: 30-line block ×6, first 2 shown]
	v_cmp_gt_u32_e32 vcc, s33, v1
	s_mov_b64 s[36:37], 0
	s_and_saveexec_b64 s[4:5], vcc
	s_cbranch_execz .LBB1010_37
; %bb.36:
	v_add_u32_e32 v1, s9, v26
	v_add_u32_e32 v2, s11, v26
	v_mul_lo_u32 v1, v1, s8
	v_mul_lo_u32 v2, v2, s10
	v_sub_u32_e32 v1, v1, v2
	v_cmp_lt_u32_e32 vcc, s14, v1
	s_and_b64 s[36:37], vcc, exec
.LBB1010_37:
	s_or_b64 exec, exec, s[4:5]
.LBB1010_38:
	v_and_b32_e32 v42, 0xff, v29
	v_and_b32_e32 v43, 0xff, v30
	;; [unrolled: 1-line block ×5, first 2 shown]
	v_add3_u32 v2, v43, v44, v42
	v_and_b32_e32 v46, 0xff, v33
	v_and_b32_e32 v47, 0xff, v34
	v_add3_u32 v2, v2, v41, v45
	v_and_b32_e32 v48, 0xff, v35
	v_and_b32_e32 v49, 0xff, v36
	;; [unrolled: 3-line block ×3, first 2 shown]
	v_add3_u32 v2, v2, v48, v49
	v_and_b32_e32 v40, 0xff, v39
	v_cndmask_b32_e64 v1, 0, 1, s[36:37]
	v_add3_u32 v2, v2, v50, v51
	v_add3_u32 v54, v2, v40, v1
	v_mbcnt_lo_u32_b32 v1, -1, 0
	v_mbcnt_hi_u32_b32 v52, -1, v1
	v_and_b32_e32 v1, 15, v52
	v_cmp_eq_u32_e64 s[16:17], 0, v1
	v_cmp_lt_u32_e64 s[14:15], 1, v1
	v_cmp_lt_u32_e64 s[12:13], 3, v1
	v_cmp_lt_u32_e64 s[10:11], 7, v1
	v_and_b32_e32 v1, 16, v52
	v_cmp_eq_u32_e64 s[8:9], 0, v1
	v_or_b32_e32 v1, 63, v0
	s_cmp_lg_u32 s43, 0
	v_cmp_lt_u32_e64 s[4:5], 31, v52
	v_lshrrev_b32_e32 v53, 6, v0
	v_cmp_eq_u32_e64 s[6:7], v0, v1
	s_cbranch_scc0 .LBB1010_60
; %bb.39:
	v_mov_b32_dpp v1, v54 row_shr:1 row_mask:0xf bank_mask:0xf
	v_cndmask_b32_e64 v1, v1, 0, s[16:17]
	v_add_u32_e32 v1, v1, v54
	s_nop 1
	v_mov_b32_dpp v2, v1 row_shr:2 row_mask:0xf bank_mask:0xf
	v_cndmask_b32_e64 v2, 0, v2, s[14:15]
	v_add_u32_e32 v1, v1, v2
	s_nop 1
	;; [unrolled: 4-line block ×4, first 2 shown]
	v_mov_b32_dpp v2, v1 row_bcast:15 row_mask:0xf bank_mask:0xf
	v_cndmask_b32_e64 v2, v2, 0, s[8:9]
	v_add_u32_e32 v1, v1, v2
	s_nop 1
	v_mov_b32_dpp v2, v1 row_bcast:31 row_mask:0xf bank_mask:0xf
	v_cndmask_b32_e64 v2, 0, v2, s[4:5]
	v_add_u32_e32 v1, v1, v2
	s_and_saveexec_b64 s[18:19], s[6:7]
; %bb.40:
	v_lshlrev_b32_e32 v2, 2, v53
	ds_write_b32 v2, v1
; %bb.41:
	s_or_b64 exec, exec, s[18:19]
	v_cmp_gt_u32_e32 vcc, 4, v0
	s_waitcnt lgkmcnt(0)
	s_barrier
	s_and_saveexec_b64 s[18:19], vcc
	s_cbranch_execz .LBB1010_43
; %bb.42:
	ds_read_b32 v2, v25
	v_and_b32_e32 v17, 3, v52
	v_cmp_ne_u32_e32 vcc, 0, v17
	s_waitcnt lgkmcnt(0)
	v_mov_b32_dpp v18, v2 row_shr:1 row_mask:0xf bank_mask:0xf
	v_cndmask_b32_e32 v18, 0, v18, vcc
	v_add_u32_e32 v2, v18, v2
	v_cmp_lt_u32_e32 vcc, 1, v17
	s_nop 0
	v_mov_b32_dpp v18, v2 row_shr:2 row_mask:0xf bank_mask:0xf
	v_cndmask_b32_e32 v17, 0, v18, vcc
	v_add_u32_e32 v2, v2, v17
	ds_write_b32 v25, v2
.LBB1010_43:
	s_or_b64 exec, exec, s[18:19]
	v_cmp_gt_u32_e32 vcc, 64, v0
	v_cmp_lt_u32_e64 s[18:19], 63, v0
	s_waitcnt lgkmcnt(0)
	s_barrier
                                        ; implicit-def: $vgpr55
	s_and_saveexec_b64 s[20:21], s[18:19]
	s_cbranch_execz .LBB1010_45
; %bb.44:
	v_lshl_add_u32 v2, v53, 2, -4
	ds_read_b32 v55, v2
	s_waitcnt lgkmcnt(0)
	v_add_u32_e32 v1, v55, v1
.LBB1010_45:
	s_or_b64 exec, exec, s[20:21]
	v_subrev_co_u32_e64 v2, s[18:19], 1, v52
	v_and_b32_e32 v17, 64, v52
	v_cmp_lt_i32_e64 s[20:21], v2, v17
	v_cndmask_b32_e64 v2, v2, v52, s[20:21]
	v_lshlrev_b32_e32 v2, 2, v2
	ds_bpermute_b32 v56, v2, v1
	s_and_saveexec_b64 s[20:21], vcc
	s_cbranch_execz .LBB1010_65
; %bb.46:
	v_mov_b32_e32 v21, 0
	ds_read_b32 v1, v21 offset:12
	s_and_saveexec_b64 s[38:39], s[18:19]
	s_cbranch_execz .LBB1010_48
; %bb.47:
	s_add_i32 s40, s43, 64
	s_mov_b32 s41, 0
	s_lshl_b64 s[40:41], s[40:41], 3
	s_add_u32 s40, s34, s40
	v_mov_b32_e32 v2, 1
	s_addc_u32 s41, s35, s41
	s_waitcnt lgkmcnt(0)
	global_store_dwordx2 v21, v[1:2], s[40:41]
.LBB1010_48:
	s_or_b64 exec, exec, s[38:39]
	v_xad_u32 v17, v52, -1, s43
	v_add_u32_e32 v20, 64, v17
	v_lshlrev_b64 v[18:19], 3, v[20:21]
	v_mov_b32_e32 v2, s35
	v_add_co_u32_e32 v22, vcc, s34, v18
	v_addc_co_u32_e32 v23, vcc, v2, v19, vcc
	global_load_dwordx2 v[19:20], v[22:23], off glc
	s_waitcnt vmcnt(0)
	v_cmp_eq_u16_sdwa s[40:41], v20, v21 src0_sel:BYTE_0 src1_sel:DWORD
	s_and_saveexec_b64 s[38:39], s[40:41]
	s_cbranch_execz .LBB1010_52
; %bb.49:
	s_mov_b64 s[40:41], 0
	v_mov_b32_e32 v2, 0
.LBB1010_50:                            ; =>This Inner Loop Header: Depth=1
	global_load_dwordx2 v[19:20], v[22:23], off glc
	s_waitcnt vmcnt(0)
	v_cmp_ne_u16_sdwa s[44:45], v20, v2 src0_sel:BYTE_0 src1_sel:DWORD
	s_or_b64 s[40:41], s[44:45], s[40:41]
	s_andn2_b64 exec, exec, s[40:41]
	s_cbranch_execnz .LBB1010_50
; %bb.51:
	s_or_b64 exec, exec, s[40:41]
.LBB1010_52:
	s_or_b64 exec, exec, s[38:39]
	v_and_b32_e32 v58, 63, v52
	v_mov_b32_e32 v57, 2
	v_lshlrev_b64 v[21:22], v52, -1
	v_cmp_ne_u32_e32 vcc, 63, v58
	v_cmp_eq_u16_sdwa s[38:39], v20, v57 src0_sel:BYTE_0 src1_sel:DWORD
	v_addc_co_u32_e32 v23, vcc, 0, v52, vcc
	v_and_b32_e32 v2, s39, v22
	v_lshlrev_b32_e32 v59, 2, v23
	v_or_b32_e32 v2, 0x80000000, v2
	ds_bpermute_b32 v23, v59, v19
	v_and_b32_e32 v18, s38, v21
	v_ffbl_b32_e32 v2, v2
	v_add_u32_e32 v2, 32, v2
	v_ffbl_b32_e32 v18, v18
	v_min_u32_e32 v2, v18, v2
	v_cmp_lt_u32_e32 vcc, v58, v2
	s_waitcnt lgkmcnt(0)
	v_cndmask_b32_e32 v18, 0, v23, vcc
	v_cmp_gt_u32_e32 vcc, 62, v58
	v_add_u32_e32 v18, v18, v19
	v_cndmask_b32_e64 v19, 0, 2, vcc
	v_add_lshl_u32 v60, v19, v52, 2
	ds_bpermute_b32 v19, v60, v18
	v_add_u32_e32 v61, 2, v58
	v_cmp_le_u32_e32 vcc, v61, v2
	v_add_u32_e32 v63, 4, v58
	v_add_u32_e32 v65, 8, v58
	s_waitcnt lgkmcnt(0)
	v_cndmask_b32_e32 v19, 0, v19, vcc
	v_cmp_gt_u32_e32 vcc, 60, v58
	v_add_u32_e32 v18, v18, v19
	v_cndmask_b32_e64 v19, 0, 4, vcc
	v_add_lshl_u32 v62, v19, v52, 2
	ds_bpermute_b32 v19, v62, v18
	v_cmp_le_u32_e32 vcc, v63, v2
	v_add_u32_e32 v67, 16, v58
	v_add_u32_e32 v69, 32, v58
	s_waitcnt lgkmcnt(0)
	v_cndmask_b32_e32 v19, 0, v19, vcc
	v_cmp_gt_u32_e32 vcc, 56, v58
	v_add_u32_e32 v18, v18, v19
	v_cndmask_b32_e64 v19, 0, 8, vcc
	v_add_lshl_u32 v64, v19, v52, 2
	ds_bpermute_b32 v19, v64, v18
	v_cmp_le_u32_e32 vcc, v65, v2
	s_waitcnt lgkmcnt(0)
	v_cndmask_b32_e32 v19, 0, v19, vcc
	v_cmp_gt_u32_e32 vcc, 48, v58
	v_add_u32_e32 v18, v18, v19
	v_cndmask_b32_e64 v19, 0, 16, vcc
	v_add_lshl_u32 v66, v19, v52, 2
	ds_bpermute_b32 v19, v66, v18
	v_cmp_le_u32_e32 vcc, v67, v2
	s_waitcnt lgkmcnt(0)
	v_cndmask_b32_e32 v19, 0, v19, vcc
	v_add_u32_e32 v18, v18, v19
	v_mov_b32_e32 v19, 0x80
	v_lshl_or_b32 v68, v52, 2, v19
	ds_bpermute_b32 v19, v68, v18
	v_cmp_le_u32_e32 vcc, v69, v2
	s_waitcnt lgkmcnt(0)
	v_cndmask_b32_e32 v2, 0, v19, vcc
	v_add_u32_e32 v19, v18, v2
	v_mov_b32_e32 v18, 0
	s_branch .LBB1010_56
.LBB1010_53:                            ;   in Loop: Header=BB1010_56 Depth=1
	s_or_b64 exec, exec, s[40:41]
.LBB1010_54:                            ;   in Loop: Header=BB1010_56 Depth=1
	s_or_b64 exec, exec, s[38:39]
	v_cmp_eq_u16_sdwa s[38:39], v20, v57 src0_sel:BYTE_0 src1_sel:DWORD
	v_and_b32_e32 v23, s39, v22
	v_or_b32_e32 v23, 0x80000000, v23
	ds_bpermute_b32 v70, v59, v19
	v_and_b32_e32 v24, s38, v21
	v_ffbl_b32_e32 v23, v23
	v_add_u32_e32 v23, 32, v23
	v_ffbl_b32_e32 v24, v24
	v_min_u32_e32 v23, v24, v23
	v_cmp_lt_u32_e32 vcc, v58, v23
	s_waitcnt lgkmcnt(0)
	v_cndmask_b32_e32 v24, 0, v70, vcc
	v_add_u32_e32 v19, v24, v19
	ds_bpermute_b32 v24, v60, v19
	v_cmp_le_u32_e32 vcc, v61, v23
	v_subrev_u32_e32 v17, 64, v17
	s_mov_b64 s[38:39], 0
	s_waitcnt lgkmcnt(0)
	v_cndmask_b32_e32 v24, 0, v24, vcc
	v_add_u32_e32 v19, v19, v24
	ds_bpermute_b32 v24, v62, v19
	v_cmp_le_u32_e32 vcc, v63, v23
	s_waitcnt lgkmcnt(0)
	v_cndmask_b32_e32 v24, 0, v24, vcc
	v_add_u32_e32 v19, v19, v24
	ds_bpermute_b32 v24, v64, v19
	v_cmp_le_u32_e32 vcc, v65, v23
	;; [unrolled: 5-line block ×4, first 2 shown]
	s_waitcnt lgkmcnt(0)
	v_cndmask_b32_e32 v23, 0, v24, vcc
	v_add3_u32 v19, v23, v2, v19
.LBB1010_55:                            ;   in Loop: Header=BB1010_56 Depth=1
	s_and_b64 vcc, exec, s[38:39]
	s_cbranch_vccnz .LBB1010_61
.LBB1010_56:                            ; =>This Loop Header: Depth=1
                                        ;     Child Loop BB1010_59 Depth 2
	v_cmp_ne_u16_sdwa s[38:39], v20, v57 src0_sel:BYTE_0 src1_sel:DWORD
	v_mov_b32_e32 v2, v19
	s_cmp_lg_u64 s[38:39], exec
	s_mov_b64 s[38:39], -1
                                        ; implicit-def: $vgpr19
                                        ; implicit-def: $vgpr20
	s_cbranch_scc1 .LBB1010_55
; %bb.57:                               ;   in Loop: Header=BB1010_56 Depth=1
	v_lshlrev_b64 v[19:20], 3, v[17:18]
	v_mov_b32_e32 v24, s35
	v_add_co_u32_e32 v23, vcc, s34, v19
	v_addc_co_u32_e32 v24, vcc, v24, v20, vcc
	global_load_dwordx2 v[19:20], v[23:24], off glc
	s_waitcnt vmcnt(0)
	v_cmp_eq_u16_sdwa s[40:41], v20, v18 src0_sel:BYTE_0 src1_sel:DWORD
	s_and_saveexec_b64 s[38:39], s[40:41]
	s_cbranch_execz .LBB1010_54
; %bb.58:                               ;   in Loop: Header=BB1010_56 Depth=1
	s_mov_b64 s[40:41], 0
.LBB1010_59:                            ;   Parent Loop BB1010_56 Depth=1
                                        ; =>  This Inner Loop Header: Depth=2
	global_load_dwordx2 v[19:20], v[23:24], off glc
	s_waitcnt vmcnt(0)
	v_cmp_ne_u16_sdwa s[44:45], v20, v18 src0_sel:BYTE_0 src1_sel:DWORD
	s_or_b64 s[40:41], s[44:45], s[40:41]
	s_andn2_b64 exec, exec, s[40:41]
	s_cbranch_execnz .LBB1010_59
	s_branch .LBB1010_53
.LBB1010_60:
                                        ; implicit-def: $vgpr2
                                        ; implicit-def: $vgpr17
	s_cbranch_execnz .LBB1010_66
	s_branch .LBB1010_75
.LBB1010_61:
	s_and_saveexec_b64 s[38:39], s[18:19]
	s_cbranch_execz .LBB1010_63
; %bb.62:
	s_add_i32 s40, s43, 64
	s_mov_b32 s41, 0
	s_lshl_b64 s[40:41], s[40:41], 3
	s_add_u32 s40, s34, s40
	v_add_u32_e32 v17, v2, v1
	v_mov_b32_e32 v18, 2
	s_addc_u32 s41, s35, s41
	v_mov_b32_e32 v19, 0
	global_store_dwordx2 v19, v[17:18], s[40:41]
	ds_write_b64 v19, v[1:2] offset:13312
.LBB1010_63:
	s_or_b64 exec, exec, s[38:39]
	s_and_b64 exec, exec, s[0:1]
; %bb.64:
	v_mov_b32_e32 v1, 0
	ds_write_b32 v1, v2 offset:12
.LBB1010_65:
	s_or_b64 exec, exec, s[20:21]
	v_mov_b32_e32 v1, 0
	s_waitcnt vmcnt(0) lgkmcnt(0)
	s_barrier
	ds_read_b32 v17, v1 offset:12
	s_waitcnt lgkmcnt(0)
	s_barrier
	ds_read_b64 v[1:2], v1 offset:13312
	v_cndmask_b32_e64 v18, v56, v55, s[18:19]
	v_cndmask_b32_e64 v18, v18, 0, s[0:1]
	v_add_u32_e32 v17, v17, v18
	s_branch .LBB1010_75
.LBB1010_66:
	s_waitcnt lgkmcnt(0)
	v_mov_b32_dpp v1, v54 row_shr:1 row_mask:0xf bank_mask:0xf
	v_cndmask_b32_e64 v1, v1, 0, s[16:17]
	v_add_u32_e32 v1, v1, v54
	s_nop 1
	v_mov_b32_dpp v2, v1 row_shr:2 row_mask:0xf bank_mask:0xf
	v_cndmask_b32_e64 v2, 0, v2, s[14:15]
	v_add_u32_e32 v1, v1, v2
	s_nop 1
	;; [unrolled: 4-line block ×4, first 2 shown]
	v_mov_b32_dpp v2, v1 row_bcast:15 row_mask:0xf bank_mask:0xf
	v_cndmask_b32_e64 v2, v2, 0, s[8:9]
	v_add_u32_e32 v1, v1, v2
	s_nop 1
	v_mov_b32_dpp v2, v1 row_bcast:31 row_mask:0xf bank_mask:0xf
	v_cndmask_b32_e64 v2, 0, v2, s[4:5]
	v_add_u32_e32 v1, v1, v2
	s_and_saveexec_b64 s[4:5], s[6:7]
; %bb.67:
	v_lshlrev_b32_e32 v2, 2, v53
	ds_write_b32 v2, v1
; %bb.68:
	s_or_b64 exec, exec, s[4:5]
	v_cmp_gt_u32_e32 vcc, 4, v0
	s_waitcnt lgkmcnt(0)
	s_barrier
	s_and_saveexec_b64 s[4:5], vcc
	s_cbranch_execz .LBB1010_70
; %bb.69:
	ds_read_b32 v2, v25
	v_and_b32_e32 v17, 3, v52
	v_cmp_ne_u32_e32 vcc, 0, v17
	s_waitcnt lgkmcnt(0)
	v_mov_b32_dpp v18, v2 row_shr:1 row_mask:0xf bank_mask:0xf
	v_cndmask_b32_e32 v18, 0, v18, vcc
	v_add_u32_e32 v2, v18, v2
	v_cmp_lt_u32_e32 vcc, 1, v17
	s_nop 0
	v_mov_b32_dpp v18, v2 row_shr:2 row_mask:0xf bank_mask:0xf
	v_cndmask_b32_e32 v17, 0, v18, vcc
	v_add_u32_e32 v2, v2, v17
	ds_write_b32 v25, v2
.LBB1010_70:
	s_or_b64 exec, exec, s[4:5]
	v_cmp_lt_u32_e32 vcc, 63, v0
	v_mov_b32_e32 v2, 0
	v_mov_b32_e32 v17, 0
	s_waitcnt lgkmcnt(0)
	s_barrier
	s_and_saveexec_b64 s[4:5], vcc
; %bb.71:
	v_lshl_add_u32 v17, v53, 2, -4
	ds_read_b32 v17, v17
; %bb.72:
	s_or_b64 exec, exec, s[4:5]
	v_subrev_co_u32_e32 v18, vcc, 1, v52
	v_and_b32_e32 v19, 64, v52
	v_cmp_lt_i32_e64 s[4:5], v18, v19
	v_cndmask_b32_e64 v18, v18, v52, s[4:5]
	s_waitcnt lgkmcnt(0)
	v_add_u32_e32 v1, v17, v1
	v_lshlrev_b32_e32 v18, 2, v18
	ds_bpermute_b32 v18, v18, v1
	ds_read_b32 v1, v2 offset:12
	s_and_saveexec_b64 s[4:5], s[0:1]
	s_cbranch_execz .LBB1010_74
; %bb.73:
	v_mov_b32_e32 v19, 0
	v_mov_b32_e32 v2, 2
	s_waitcnt lgkmcnt(0)
	global_store_dwordx2 v19, v[1:2], s[34:35] offset:512
.LBB1010_74:
	s_or_b64 exec, exec, s[4:5]
	s_waitcnt lgkmcnt(1)
	v_cndmask_b32_e32 v2, v18, v17, vcc
	v_cndmask_b32_e64 v17, v2, 0, s[0:1]
	s_waitcnt vmcnt(0) lgkmcnt(0)
	s_barrier
	v_mov_b32_e32 v2, 0
.LBB1010_75:
	v_add_u32_e32 v18, v17, v41
	v_add_u32_e32 v19, v18, v42
	;; [unrolled: 1-line block ×4, first 2 shown]
	s_waitcnt lgkmcnt(0)
	v_add_u32_e32 v27, v1, v27
	v_sub_u32_e32 v17, v17, v2
	v_and_b32_e32 v28, 1, v28
	v_add_u32_e32 v22, v21, v45
	v_sub_u32_e32 v45, v27, v17
	v_cmp_eq_u32_e32 vcc, 1, v28
	v_cndmask_b32_e32 v17, v45, v17, vcc
	v_lshlrev_b32_e32 v17, 2, v17
	ds_write_b32 v17, v15
	v_sub_u32_e32 v15, v18, v2
	v_sub_u32_e32 v17, v27, v15
	v_and_b32_e32 v18, 1, v29
	v_add_u32_e32 v17, 1, v17
	v_cmp_eq_u32_e32 vcc, 1, v18
	v_cndmask_b32_e32 v15, v17, v15, vcc
	v_lshlrev_b32_e32 v15, 2, v15
	ds_write_b32 v15, v16
	v_sub_u32_e32 v15, v19, v2
	v_sub_u32_e32 v16, v27, v15
	v_and_b32_e32 v17, 1, v30
	v_add_u32_e32 v16, 2, v16
	;; [unrolled: 8-line block ×5, first 2 shown]
	v_cmp_eq_u32_e32 vcc, 1, v14
	v_cndmask_b32_e32 v11, v13, v11, vcc
	v_add_u32_e32 v23, v22, v46
	v_lshlrev_b32_e32 v11, 2, v11
	ds_write_b32 v11, v12
	v_sub_u32_e32 v11, v23, v2
	v_sub_u32_e32 v12, v27, v11
	v_and_b32_e32 v13, 1, v34
	v_add_u32_e32 v12, 6, v12
	v_cmp_eq_u32_e32 vcc, 1, v13
	v_cndmask_b32_e32 v11, v12, v11, vcc
	v_add_u32_e32 v24, v23, v47
	v_lshlrev_b32_e32 v11, 2, v11
	ds_write_b32 v11, v9
	v_sub_u32_e32 v9, v24, v2
	v_sub_u32_e32 v11, v27, v9
	v_and_b32_e32 v12, 1, v35
	v_add_u32_e32 v11, 7, v11
	;; [unrolled: 9-line block ×6, first 2 shown]
	v_cmp_eq_u32_e32 vcc, 1, v8
	v_cndmask_b32_e32 v5, v7, v5, vcc
	v_lshlrev_b32_e32 v5, 2, v5
	ds_write_b32 v5, v6
	v_sub_u32_e32 v5, v40, v2
	v_add_u32_e32 v5, v44, v5
	v_sub_u32_e32 v6, v27, v5
	v_add_u32_e32 v6, 12, v6
	v_cndmask_b32_e64 v5, v6, v5, s[36:37]
	v_lshlrev_b32_e32 v5, 2, v5
	ds_write_b32 v5, v26
	s_waitcnt lgkmcnt(0)
	s_barrier
	ds_read2st64_b32 v[15:16], v25 offset1:4
	ds_read2st64_b32 v[13:14], v25 offset0:8 offset1:12
	ds_read2st64_b32 v[11:12], v25 offset0:16 offset1:20
	;; [unrolled: 1-line block ×5, first 2 shown]
	ds_read_b32 v18, v25 offset:12288
	s_and_b64 vcc, exec, s[2:3]
	v_add_co_u32_e64 v17, s[2:3], v3, v2
	v_or_b32_e32 v32, 0x100, v0
	v_or_b32_e32 v30, 0x200, v0
	;; [unrolled: 1-line block ×12, first 2 shown]
	v_addc_co_u32_e64 v4, s[2:3], 0, v4, s[2:3]
	s_cbranch_vccnz .LBB1010_132
; %bb.76:
	v_mov_b32_e32 v2, s29
	v_subrev_co_u32_e32 v3, vcc, s28, v17
	s_sub_u32 s2, s30, s42
	v_subb_co_u32_e32 v2, vcc, v4, v2, vcc
	s_subb_u32 s3, s31, 0
	v_mov_b32_e32 v25, s3
	v_add_co_u32_e32 v31, vcc, s2, v1
	v_addc_co_u32_e32 v33, vcc, 0, v25, vcc
	v_add_co_u32_e32 v25, vcc, v31, v3
	v_addc_co_u32_e32 v31, vcc, v33, v2, vcc
	v_cmp_ge_u32_e32 vcc, v0, v1
                                        ; implicit-def: $vgpr2_vgpr3
	s_and_saveexec_b64 s[2:3], vcc
	s_xor_b64 s[2:3], exec, s[2:3]
; %bb.77:
	v_not_b32_e32 v2, v0
	v_ashrrev_i32_e32 v3, 31, v2
	v_add_co_u32_e32 v2, vcc, v25, v2
	v_addc_co_u32_e32 v3, vcc, v31, v3, vcc
; %bb.78:
	s_andn2_saveexec_b64 s[2:3], s[2:3]
; %bb.79:
	v_add_co_u32_e32 v2, vcc, v17, v0
	v_addc_co_u32_e32 v3, vcc, 0, v4, vcc
; %bb.80:
	s_or_b64 exec, exec, s[2:3]
	v_lshlrev_b64 v[2:3], 2, v[2:3]
	v_mov_b32_e32 v33, s23
	v_add_co_u32_e32 v2, vcc, s22, v2
	v_addc_co_u32_e32 v3, vcc, v33, v3, vcc
	v_cmp_ge_u32_e32 vcc, v32, v1
	s_waitcnt lgkmcnt(6)
	global_store_dword v[2:3], v15, off
                                        ; implicit-def: $vgpr2_vgpr3
	s_and_saveexec_b64 s[2:3], vcc
	s_xor_b64 s[2:3], exec, s[2:3]
; %bb.81:
	v_xor_b32_e32 v2, 0xfffffeff, v0
	v_ashrrev_i32_e32 v3, 31, v2
	v_add_co_u32_e32 v2, vcc, v25, v2
	v_addc_co_u32_e32 v3, vcc, v31, v3, vcc
; %bb.82:
	s_andn2_saveexec_b64 s[2:3], s[2:3]
; %bb.83:
	v_add_co_u32_e32 v2, vcc, v17, v32
	v_addc_co_u32_e32 v3, vcc, 0, v4, vcc
; %bb.84:
	s_or_b64 exec, exec, s[2:3]
	v_lshlrev_b64 v[2:3], 2, v[2:3]
	v_mov_b32_e32 v33, s23
	v_add_co_u32_e32 v2, vcc, s22, v2
	v_addc_co_u32_e32 v3, vcc, v33, v3, vcc
	v_cmp_ge_u32_e32 vcc, v30, v1
	global_store_dword v[2:3], v16, off
                                        ; implicit-def: $vgpr2_vgpr3
	s_and_saveexec_b64 s[2:3], vcc
	s_xor_b64 s[2:3], exec, s[2:3]
; %bb.85:
	v_xor_b32_e32 v2, 0xfffffdff, v0
	v_ashrrev_i32_e32 v3, 31, v2
	v_add_co_u32_e32 v2, vcc, v25, v2
	v_addc_co_u32_e32 v3, vcc, v31, v3, vcc
; %bb.86:
	s_andn2_saveexec_b64 s[2:3], s[2:3]
; %bb.87:
	v_add_co_u32_e32 v2, vcc, v17, v30
	v_addc_co_u32_e32 v3, vcc, 0, v4, vcc
; %bb.88:
	s_or_b64 exec, exec, s[2:3]
	v_lshlrev_b64 v[2:3], 2, v[2:3]
	v_mov_b32_e32 v33, s23
	v_add_co_u32_e32 v2, vcc, s22, v2
	v_addc_co_u32_e32 v3, vcc, v33, v3, vcc
	v_cmp_ge_u32_e32 vcc, v29, v1
	s_waitcnt lgkmcnt(5)
	global_store_dword v[2:3], v13, off
                                        ; implicit-def: $vgpr2_vgpr3
	s_and_saveexec_b64 s[2:3], vcc
	s_xor_b64 s[2:3], exec, s[2:3]
; %bb.89:
	v_xor_b32_e32 v2, 0xfffffcff, v0
	v_ashrrev_i32_e32 v3, 31, v2
	v_add_co_u32_e32 v2, vcc, v25, v2
	v_addc_co_u32_e32 v3, vcc, v31, v3, vcc
; %bb.90:
	s_andn2_saveexec_b64 s[2:3], s[2:3]
; %bb.91:
	v_add_co_u32_e32 v2, vcc, v17, v29
	v_addc_co_u32_e32 v3, vcc, 0, v4, vcc
; %bb.92:
	s_or_b64 exec, exec, s[2:3]
	v_lshlrev_b64 v[2:3], 2, v[2:3]
	v_mov_b32_e32 v33, s23
	v_add_co_u32_e32 v2, vcc, s22, v2
	v_addc_co_u32_e32 v3, vcc, v33, v3, vcc
	v_cmp_ge_u32_e32 vcc, v28, v1
	global_store_dword v[2:3], v14, off
                                        ; implicit-def: $vgpr2_vgpr3
	s_and_saveexec_b64 s[2:3], vcc
	s_xor_b64 s[2:3], exec, s[2:3]
; %bb.93:
	v_xor_b32_e32 v2, 0xfffffbff, v0
	;; [unrolled: 43-line block ×6, first 2 shown]
	v_ashrrev_i32_e32 v3, 31, v2
	v_add_co_u32_e32 v2, vcc, v25, v2
	v_addc_co_u32_e32 v3, vcc, v31, v3, vcc
; %bb.126:
	s_andn2_saveexec_b64 s[2:3], s[2:3]
; %bb.127:
	v_add_co_u32_e32 v2, vcc, v17, v19
	v_addc_co_u32_e32 v3, vcc, 0, v4, vcc
; %bb.128:
	s_or_b64 exec, exec, s[2:3]
	s_mov_b64 s[2:3], -1
.LBB1010_129:
	s_and_saveexec_b64 s[4:5], s[2:3]
	s_cbranch_execz .LBB1010_212
.LBB1010_130:
	v_lshlrev_b64 v[2:3], 2, v[2:3]
	v_mov_b32_e32 v0, s23
	v_add_co_u32_e32 v2, vcc, s22, v2
	v_addc_co_u32_e32 v3, vcc, v0, v3, vcc
	s_waitcnt lgkmcnt(0)
	global_store_dword v[2:3], v18, off
	s_or_b64 exec, exec, s[4:5]
	s_and_b64 s[0:1], s[0:1], s[26:27]
	s_and_saveexec_b64 s[2:3], s[0:1]
	s_cbranch_execnz .LBB1010_213
.LBB1010_131:
	s_endpgm
.LBB1010_132:
	s_mov_b64 s[2:3], 0
                                        ; implicit-def: $vgpr2_vgpr3
	s_cbranch_execz .LBB1010_129
; %bb.133:
	s_add_u32 s4, s28, s42
	s_addc_u32 s5, s29, 0
	s_sub_u32 s4, s30, s4
	s_subb_u32 s5, s31, s5
	v_mov_b32_e32 v2, s5
	v_add_co_u32_e32 v3, vcc, s4, v1
	v_addc_co_u32_e32 v2, vcc, 0, v2, vcc
	v_add_co_u32_e32 v25, vcc, v3, v17
	v_addc_co_u32_e32 v31, vcc, v2, v4, vcc
	v_cmp_gt_u32_e32 vcc, s33, v0
	s_and_saveexec_b64 s[4:5], vcc
	s_cbranch_execz .LBB1010_169
; %bb.134:
	v_cmp_ge_u32_e32 vcc, v0, v1
                                        ; implicit-def: $vgpr2_vgpr3
	s_and_saveexec_b64 s[6:7], vcc
	s_xor_b64 s[6:7], exec, s[6:7]
; %bb.135:
	v_not_b32_e32 v2, v0
	v_ashrrev_i32_e32 v3, 31, v2
	v_add_co_u32_e32 v2, vcc, v25, v2
	v_addc_co_u32_e32 v3, vcc, v31, v3, vcc
; %bb.136:
	s_andn2_saveexec_b64 s[6:7], s[6:7]
; %bb.137:
	v_add_co_u32_e32 v2, vcc, v17, v0
	v_addc_co_u32_e32 v3, vcc, 0, v4, vcc
; %bb.138:
	s_or_b64 exec, exec, s[6:7]
	v_lshlrev_b64 v[2:3], 2, v[2:3]
	v_mov_b32_e32 v33, s23
	v_add_co_u32_e32 v2, vcc, s22, v2
	v_addc_co_u32_e32 v3, vcc, v33, v3, vcc
	s_waitcnt lgkmcnt(6)
	global_store_dword v[2:3], v15, off
	s_or_b64 exec, exec, s[4:5]
	v_cmp_gt_u32_e32 vcc, s33, v32
	s_and_saveexec_b64 s[4:5], vcc
	s_cbranch_execnz .LBB1010_170
.LBB1010_139:
	s_or_b64 exec, exec, s[4:5]
	v_cmp_gt_u32_e32 vcc, s33, v30
	s_and_saveexec_b64 s[4:5], vcc
	s_cbranch_execz .LBB1010_175
.LBB1010_140:
	v_cmp_ge_u32_e32 vcc, v30, v1
                                        ; implicit-def: $vgpr2_vgpr3
	s_and_saveexec_b64 s[6:7], vcc
	s_xor_b64 s[6:7], exec, s[6:7]
; %bb.141:
	v_xor_b32_e32 v2, 0xfffffdff, v0
	v_ashrrev_i32_e32 v3, 31, v2
	v_add_co_u32_e32 v2, vcc, v25, v2
	v_addc_co_u32_e32 v3, vcc, v31, v3, vcc
                                        ; implicit-def: $vgpr30
; %bb.142:
	s_andn2_saveexec_b64 s[6:7], s[6:7]
; %bb.143:
	v_add_co_u32_e32 v2, vcc, v17, v30
	v_addc_co_u32_e32 v3, vcc, 0, v4, vcc
; %bb.144:
	s_or_b64 exec, exec, s[6:7]
	v_lshlrev_b64 v[2:3], 2, v[2:3]
	s_waitcnt lgkmcnt(6)
	v_mov_b32_e32 v15, s23
	v_add_co_u32_e32 v2, vcc, s22, v2
	v_addc_co_u32_e32 v3, vcc, v15, v3, vcc
	s_waitcnt lgkmcnt(5)
	global_store_dword v[2:3], v13, off
	s_or_b64 exec, exec, s[4:5]
	v_cmp_gt_u32_e32 vcc, s33, v29
	s_and_saveexec_b64 s[4:5], vcc
	s_cbranch_execnz .LBB1010_176
.LBB1010_145:
	s_or_b64 exec, exec, s[4:5]
	v_cmp_gt_u32_e32 vcc, s33, v28
	s_and_saveexec_b64 s[4:5], vcc
	s_cbranch_execz .LBB1010_181
.LBB1010_146:
	v_cmp_ge_u32_e32 vcc, v28, v1
                                        ; implicit-def: $vgpr2_vgpr3
	s_and_saveexec_b64 s[6:7], vcc
	s_xor_b64 s[6:7], exec, s[6:7]
; %bb.147:
	v_xor_b32_e32 v2, 0xfffffbff, v0
	v_ashrrev_i32_e32 v3, 31, v2
	v_add_co_u32_e32 v2, vcc, v25, v2
	v_addc_co_u32_e32 v3, vcc, v31, v3, vcc
                                        ; implicit-def: $vgpr28
; %bb.148:
	s_andn2_saveexec_b64 s[6:7], s[6:7]
; %bb.149:
	v_add_co_u32_e32 v2, vcc, v17, v28
	v_addc_co_u32_e32 v3, vcc, 0, v4, vcc
; %bb.150:
	s_or_b64 exec, exec, s[6:7]
	v_lshlrev_b64 v[2:3], 2, v[2:3]
	s_waitcnt lgkmcnt(5)
	v_mov_b32_e32 v13, s23
	v_add_co_u32_e32 v2, vcc, s22, v2
	v_addc_co_u32_e32 v3, vcc, v13, v3, vcc
	s_waitcnt lgkmcnt(4)
	global_store_dword v[2:3], v11, off
	s_or_b64 exec, exec, s[4:5]
	v_cmp_gt_u32_e32 vcc, s33, v27
	s_and_saveexec_b64 s[4:5], vcc
	s_cbranch_execnz .LBB1010_182
.LBB1010_151:
	s_or_b64 exec, exec, s[4:5]
	v_cmp_gt_u32_e32 vcc, s33, v26
	s_and_saveexec_b64 s[4:5], vcc
	s_cbranch_execz .LBB1010_187
.LBB1010_152:
	v_cmp_ge_u32_e32 vcc, v26, v1
                                        ; implicit-def: $vgpr2_vgpr3
	s_and_saveexec_b64 s[6:7], vcc
	s_xor_b64 s[6:7], exec, s[6:7]
; %bb.153:
	v_xor_b32_e32 v2, 0xfffff9ff, v0
	v_ashrrev_i32_e32 v3, 31, v2
	v_add_co_u32_e32 v2, vcc, v25, v2
	v_addc_co_u32_e32 v3, vcc, v31, v3, vcc
                                        ; implicit-def: $vgpr26
; %bb.154:
	s_andn2_saveexec_b64 s[6:7], s[6:7]
; %bb.155:
	v_add_co_u32_e32 v2, vcc, v17, v26
	v_addc_co_u32_e32 v3, vcc, 0, v4, vcc
; %bb.156:
	s_or_b64 exec, exec, s[6:7]
	v_lshlrev_b64 v[2:3], 2, v[2:3]
	s_waitcnt lgkmcnt(4)
	v_mov_b32_e32 v11, s23
	v_add_co_u32_e32 v2, vcc, s22, v2
	v_addc_co_u32_e32 v3, vcc, v11, v3, vcc
	s_waitcnt lgkmcnt(3)
	global_store_dword v[2:3], v9, off
	s_or_b64 exec, exec, s[4:5]
	v_cmp_gt_u32_e32 vcc, s33, v24
	s_and_saveexec_b64 s[4:5], vcc
	s_cbranch_execnz .LBB1010_188
.LBB1010_157:
	s_or_b64 exec, exec, s[4:5]
	v_cmp_gt_u32_e32 vcc, s33, v23
	s_and_saveexec_b64 s[4:5], vcc
	s_cbranch_execz .LBB1010_193
.LBB1010_158:
	v_cmp_ge_u32_e32 vcc, v23, v1
                                        ; implicit-def: $vgpr2_vgpr3
	s_and_saveexec_b64 s[6:7], vcc
	s_xor_b64 s[6:7], exec, s[6:7]
; %bb.159:
	v_xor_b32_e32 v2, 0xfffff7ff, v0
	v_ashrrev_i32_e32 v3, 31, v2
	v_add_co_u32_e32 v2, vcc, v25, v2
	v_addc_co_u32_e32 v3, vcc, v31, v3, vcc
                                        ; implicit-def: $vgpr23
; %bb.160:
	s_andn2_saveexec_b64 s[6:7], s[6:7]
; %bb.161:
	v_add_co_u32_e32 v2, vcc, v17, v23
	v_addc_co_u32_e32 v3, vcc, 0, v4, vcc
; %bb.162:
	s_or_b64 exec, exec, s[6:7]
	v_lshlrev_b64 v[2:3], 2, v[2:3]
	s_waitcnt lgkmcnt(3)
	v_mov_b32_e32 v9, s23
	v_add_co_u32_e32 v2, vcc, s22, v2
	v_addc_co_u32_e32 v3, vcc, v9, v3, vcc
	s_waitcnt lgkmcnt(2)
	global_store_dword v[2:3], v7, off
	s_or_b64 exec, exec, s[4:5]
	v_cmp_gt_u32_e32 vcc, s33, v22
	s_and_saveexec_b64 s[4:5], vcc
	s_cbranch_execnz .LBB1010_194
.LBB1010_163:
	s_or_b64 exec, exec, s[4:5]
	v_cmp_gt_u32_e32 vcc, s33, v21
	s_and_saveexec_b64 s[4:5], vcc
	s_cbranch_execz .LBB1010_199
.LBB1010_164:
	v_cmp_ge_u32_e32 vcc, v21, v1
                                        ; implicit-def: $vgpr2_vgpr3
	s_and_saveexec_b64 s[6:7], vcc
	s_xor_b64 s[6:7], exec, s[6:7]
; %bb.165:
	v_xor_b32_e32 v2, 0xfffff5ff, v0
	v_ashrrev_i32_e32 v3, 31, v2
	v_add_co_u32_e32 v2, vcc, v25, v2
	v_addc_co_u32_e32 v3, vcc, v31, v3, vcc
                                        ; implicit-def: $vgpr21
; %bb.166:
	s_andn2_saveexec_b64 s[6:7], s[6:7]
; %bb.167:
	v_add_co_u32_e32 v2, vcc, v17, v21
	v_addc_co_u32_e32 v3, vcc, 0, v4, vcc
; %bb.168:
	s_or_b64 exec, exec, s[6:7]
	v_lshlrev_b64 v[2:3], 2, v[2:3]
	s_waitcnt lgkmcnt(2)
	v_mov_b32_e32 v7, s23
	v_add_co_u32_e32 v2, vcc, s22, v2
	v_addc_co_u32_e32 v3, vcc, v7, v3, vcc
	s_waitcnt lgkmcnt(1)
	global_store_dword v[2:3], v5, off
	s_or_b64 exec, exec, s[4:5]
	v_cmp_gt_u32_e32 vcc, s33, v20
	s_and_saveexec_b64 s[4:5], vcc
	s_cbranch_execz .LBB1010_205
	s_branch .LBB1010_200
.LBB1010_169:
	s_or_b64 exec, exec, s[4:5]
	v_cmp_gt_u32_e32 vcc, s33, v32
	s_and_saveexec_b64 s[4:5], vcc
	s_cbranch_execz .LBB1010_139
.LBB1010_170:
	v_cmp_ge_u32_e32 vcc, v32, v1
                                        ; implicit-def: $vgpr2_vgpr3
	s_and_saveexec_b64 s[6:7], vcc
	s_xor_b64 s[6:7], exec, s[6:7]
; %bb.171:
	v_xor_b32_e32 v2, 0xfffffeff, v0
	v_ashrrev_i32_e32 v3, 31, v2
	v_add_co_u32_e32 v2, vcc, v25, v2
	v_addc_co_u32_e32 v3, vcc, v31, v3, vcc
                                        ; implicit-def: $vgpr32
; %bb.172:
	s_andn2_saveexec_b64 s[6:7], s[6:7]
; %bb.173:
	v_add_co_u32_e32 v2, vcc, v17, v32
	v_addc_co_u32_e32 v3, vcc, 0, v4, vcc
; %bb.174:
	s_or_b64 exec, exec, s[6:7]
	v_lshlrev_b64 v[2:3], 2, v[2:3]
	s_waitcnt lgkmcnt(6)
	v_mov_b32_e32 v15, s23
	v_add_co_u32_e32 v2, vcc, s22, v2
	v_addc_co_u32_e32 v3, vcc, v15, v3, vcc
	global_store_dword v[2:3], v16, off
	s_or_b64 exec, exec, s[4:5]
	v_cmp_gt_u32_e32 vcc, s33, v30
	s_and_saveexec_b64 s[4:5], vcc
	s_cbranch_execnz .LBB1010_140
.LBB1010_175:
	s_or_b64 exec, exec, s[4:5]
	v_cmp_gt_u32_e32 vcc, s33, v29
	s_and_saveexec_b64 s[4:5], vcc
	s_cbranch_execz .LBB1010_145
.LBB1010_176:
	v_cmp_ge_u32_e32 vcc, v29, v1
                                        ; implicit-def: $vgpr2_vgpr3
	s_and_saveexec_b64 s[6:7], vcc
	s_xor_b64 s[6:7], exec, s[6:7]
; %bb.177:
	v_xor_b32_e32 v2, 0xfffffcff, v0
	v_ashrrev_i32_e32 v3, 31, v2
	v_add_co_u32_e32 v2, vcc, v25, v2
	v_addc_co_u32_e32 v3, vcc, v31, v3, vcc
                                        ; implicit-def: $vgpr29
; %bb.178:
	s_andn2_saveexec_b64 s[6:7], s[6:7]
; %bb.179:
	v_add_co_u32_e32 v2, vcc, v17, v29
	v_addc_co_u32_e32 v3, vcc, 0, v4, vcc
; %bb.180:
	s_or_b64 exec, exec, s[6:7]
	v_lshlrev_b64 v[2:3], 2, v[2:3]
	s_waitcnt lgkmcnt(5)
	v_mov_b32_e32 v13, s23
	v_add_co_u32_e32 v2, vcc, s22, v2
	v_addc_co_u32_e32 v3, vcc, v13, v3, vcc
	global_store_dword v[2:3], v14, off
	s_or_b64 exec, exec, s[4:5]
	v_cmp_gt_u32_e32 vcc, s33, v28
	s_and_saveexec_b64 s[4:5], vcc
	s_cbranch_execnz .LBB1010_146
.LBB1010_181:
	s_or_b64 exec, exec, s[4:5]
	v_cmp_gt_u32_e32 vcc, s33, v27
	s_and_saveexec_b64 s[4:5], vcc
	s_cbranch_execz .LBB1010_151
.LBB1010_182:
	v_cmp_ge_u32_e32 vcc, v27, v1
                                        ; implicit-def: $vgpr2_vgpr3
	s_and_saveexec_b64 s[6:7], vcc
	s_xor_b64 s[6:7], exec, s[6:7]
; %bb.183:
	v_xor_b32_e32 v2, 0xfffffaff, v0
	v_ashrrev_i32_e32 v3, 31, v2
	v_add_co_u32_e32 v2, vcc, v25, v2
	v_addc_co_u32_e32 v3, vcc, v31, v3, vcc
                                        ; implicit-def: $vgpr27
; %bb.184:
	s_andn2_saveexec_b64 s[6:7], s[6:7]
; %bb.185:
	v_add_co_u32_e32 v2, vcc, v17, v27
	v_addc_co_u32_e32 v3, vcc, 0, v4, vcc
; %bb.186:
	s_or_b64 exec, exec, s[6:7]
	v_lshlrev_b64 v[2:3], 2, v[2:3]
	s_waitcnt lgkmcnt(4)
	v_mov_b32_e32 v11, s23
	v_add_co_u32_e32 v2, vcc, s22, v2
	v_addc_co_u32_e32 v3, vcc, v11, v3, vcc
	global_store_dword v[2:3], v12, off
	s_or_b64 exec, exec, s[4:5]
	v_cmp_gt_u32_e32 vcc, s33, v26
	s_and_saveexec_b64 s[4:5], vcc
	s_cbranch_execnz .LBB1010_152
.LBB1010_187:
	s_or_b64 exec, exec, s[4:5]
	v_cmp_gt_u32_e32 vcc, s33, v24
	s_and_saveexec_b64 s[4:5], vcc
	s_cbranch_execz .LBB1010_157
.LBB1010_188:
	v_cmp_ge_u32_e32 vcc, v24, v1
                                        ; implicit-def: $vgpr2_vgpr3
	s_and_saveexec_b64 s[6:7], vcc
	s_xor_b64 s[6:7], exec, s[6:7]
; %bb.189:
	v_xor_b32_e32 v2, 0xfffff8ff, v0
	v_ashrrev_i32_e32 v3, 31, v2
	v_add_co_u32_e32 v2, vcc, v25, v2
	v_addc_co_u32_e32 v3, vcc, v31, v3, vcc
                                        ; implicit-def: $vgpr24
; %bb.190:
	s_andn2_saveexec_b64 s[6:7], s[6:7]
; %bb.191:
	v_add_co_u32_e32 v2, vcc, v17, v24
	v_addc_co_u32_e32 v3, vcc, 0, v4, vcc
; %bb.192:
	s_or_b64 exec, exec, s[6:7]
	v_lshlrev_b64 v[2:3], 2, v[2:3]
	s_waitcnt lgkmcnt(3)
	v_mov_b32_e32 v9, s23
	v_add_co_u32_e32 v2, vcc, s22, v2
	v_addc_co_u32_e32 v3, vcc, v9, v3, vcc
	global_store_dword v[2:3], v10, off
	s_or_b64 exec, exec, s[4:5]
	v_cmp_gt_u32_e32 vcc, s33, v23
	s_and_saveexec_b64 s[4:5], vcc
	s_cbranch_execnz .LBB1010_158
.LBB1010_193:
	s_or_b64 exec, exec, s[4:5]
	v_cmp_gt_u32_e32 vcc, s33, v22
	s_and_saveexec_b64 s[4:5], vcc
	s_cbranch_execz .LBB1010_163
.LBB1010_194:
	v_cmp_ge_u32_e32 vcc, v22, v1
                                        ; implicit-def: $vgpr2_vgpr3
	s_and_saveexec_b64 s[6:7], vcc
	s_xor_b64 s[6:7], exec, s[6:7]
; %bb.195:
	v_xor_b32_e32 v2, 0xfffff6ff, v0
	v_ashrrev_i32_e32 v3, 31, v2
	v_add_co_u32_e32 v2, vcc, v25, v2
	v_addc_co_u32_e32 v3, vcc, v31, v3, vcc
                                        ; implicit-def: $vgpr22
; %bb.196:
	s_andn2_saveexec_b64 s[6:7], s[6:7]
; %bb.197:
	v_add_co_u32_e32 v2, vcc, v17, v22
	v_addc_co_u32_e32 v3, vcc, 0, v4, vcc
; %bb.198:
	s_or_b64 exec, exec, s[6:7]
	v_lshlrev_b64 v[2:3], 2, v[2:3]
	s_waitcnt lgkmcnt(2)
	v_mov_b32_e32 v7, s23
	v_add_co_u32_e32 v2, vcc, s22, v2
	v_addc_co_u32_e32 v3, vcc, v7, v3, vcc
	global_store_dword v[2:3], v8, off
	s_or_b64 exec, exec, s[4:5]
	v_cmp_gt_u32_e32 vcc, s33, v21
	s_and_saveexec_b64 s[4:5], vcc
	s_cbranch_execnz .LBB1010_164
.LBB1010_199:
	s_or_b64 exec, exec, s[4:5]
	v_cmp_gt_u32_e32 vcc, s33, v20
	s_and_saveexec_b64 s[4:5], vcc
	s_cbranch_execz .LBB1010_205
.LBB1010_200:
	v_cmp_ge_u32_e32 vcc, v20, v1
                                        ; implicit-def: $vgpr2_vgpr3
	s_and_saveexec_b64 s[6:7], vcc
	s_xor_b64 s[6:7], exec, s[6:7]
; %bb.201:
	v_xor_b32_e32 v2, 0xfffff4ff, v0
	v_ashrrev_i32_e32 v3, 31, v2
	v_add_co_u32_e32 v2, vcc, v25, v2
	v_addc_co_u32_e32 v3, vcc, v31, v3, vcc
                                        ; implicit-def: $vgpr20
; %bb.202:
	s_andn2_saveexec_b64 s[6:7], s[6:7]
; %bb.203:
	v_add_co_u32_e32 v2, vcc, v17, v20
	v_addc_co_u32_e32 v3, vcc, 0, v4, vcc
; %bb.204:
	s_or_b64 exec, exec, s[6:7]
	v_lshlrev_b64 v[2:3], 2, v[2:3]
	s_waitcnt lgkmcnt(1)
	v_mov_b32_e32 v5, s23
	v_add_co_u32_e32 v2, vcc, s22, v2
	v_addc_co_u32_e32 v3, vcc, v5, v3, vcc
	global_store_dword v[2:3], v6, off
.LBB1010_205:
	s_or_b64 exec, exec, s[4:5]
	v_cmp_gt_u32_e32 vcc, s33, v19
                                        ; implicit-def: $vgpr2_vgpr3
	s_and_saveexec_b64 s[4:5], vcc
	s_cbranch_execz .LBB1010_211
; %bb.206:
	v_cmp_ge_u32_e32 vcc, v19, v1
                                        ; implicit-def: $vgpr2_vgpr3
	s_and_saveexec_b64 s[6:7], vcc
	s_xor_b64 s[6:7], exec, s[6:7]
; %bb.207:
	v_xor_b32_e32 v0, 0xfffff3ff, v0
	v_ashrrev_i32_e32 v3, 31, v0
	v_add_co_u32_e32 v2, vcc, v25, v0
	v_addc_co_u32_e32 v3, vcc, v31, v3, vcc
                                        ; implicit-def: $vgpr19
; %bb.208:
	s_andn2_saveexec_b64 s[6:7], s[6:7]
; %bb.209:
	v_add_co_u32_e32 v2, vcc, v17, v19
	v_addc_co_u32_e32 v3, vcc, 0, v4, vcc
; %bb.210:
	s_or_b64 exec, exec, s[6:7]
	s_or_b64 s[2:3], s[2:3], exec
.LBB1010_211:
	s_or_b64 exec, exec, s[4:5]
	s_and_saveexec_b64 s[4:5], s[2:3]
	s_cbranch_execnz .LBB1010_130
.LBB1010_212:
	s_or_b64 exec, exec, s[4:5]
	s_and_b64 s[0:1], s[0:1], s[26:27]
	s_and_saveexec_b64 s[2:3], s[0:1]
	s_cbranch_execz .LBB1010_131
.LBB1010_213:
	v_add_co_u32_e32 v0, vcc, v17, v1
	v_mov_b32_e32 v2, 0
	v_addc_co_u32_e32 v1, vcc, 0, v4, vcc
	global_store_dwordx2 v2, v[0:1], s[24:25]
	s_endpgm
	.section	.rodata,"a",@progbits
	.p2align	6, 0x0
	.amdhsa_kernel _ZN7rocprim17ROCPRIM_400000_NS6detail17trampoline_kernelINS0_13select_configILj256ELj13ELNS0_17block_load_methodE3ELS4_3ELS4_3ELNS0_20block_scan_algorithmE0ELj4294967295EEENS1_25partition_config_selectorILNS1_17partition_subalgoE3EjNS0_10empty_typeEbEEZZNS1_14partition_implILS8_3ELb0ES6_jNS0_17counting_iteratorIjlEEPS9_SE_NS0_5tupleIJPjSE_EEENSF_IJSE_SE_EEES9_SG_JZNS1_25segmented_radix_sort_implINS0_14default_configELb0EPKsPsPKlPlN2at6native12_GLOBAL__N_18offset_tEEE10hipError_tPvRmT1_PNSt15iterator_traitsISY_E10value_typeET2_T3_PNSZ_IS14_E10value_typeET4_jRbjT5_S1A_jjP12ihipStream_tbEUljE_EEESV_SW_SX_S14_S18_S1A_T6_T7_T9_mT8_S1C_bDpT10_ENKUlT_T0_E_clISt17integral_constantIbLb0EES1O_IbLb1EEEEDaS1K_S1L_EUlS1K_E_NS1_11comp_targetILNS1_3genE2ELNS1_11target_archE906ELNS1_3gpuE6ELNS1_3repE0EEENS1_30default_config_static_selectorELNS0_4arch9wavefront6targetE1EEEvSY_
		.amdhsa_group_segment_fixed_size 13320
		.amdhsa_private_segment_fixed_size 0
		.amdhsa_kernarg_size 152
		.amdhsa_user_sgpr_count 6
		.amdhsa_user_sgpr_private_segment_buffer 1
		.amdhsa_user_sgpr_dispatch_ptr 0
		.amdhsa_user_sgpr_queue_ptr 0
		.amdhsa_user_sgpr_kernarg_segment_ptr 1
		.amdhsa_user_sgpr_dispatch_id 0
		.amdhsa_user_sgpr_flat_scratch_init 0
		.amdhsa_user_sgpr_private_segment_size 0
		.amdhsa_uses_dynamic_stack 0
		.amdhsa_system_sgpr_private_segment_wavefront_offset 0
		.amdhsa_system_sgpr_workgroup_id_x 1
		.amdhsa_system_sgpr_workgroup_id_y 0
		.amdhsa_system_sgpr_workgroup_id_z 0
		.amdhsa_system_sgpr_workgroup_info 0
		.amdhsa_system_vgpr_workitem_id 0
		.amdhsa_next_free_vgpr 71
		.amdhsa_next_free_sgpr 98
		.amdhsa_reserve_vcc 1
		.amdhsa_reserve_flat_scratch 0
		.amdhsa_float_round_mode_32 0
		.amdhsa_float_round_mode_16_64 0
		.amdhsa_float_denorm_mode_32 3
		.amdhsa_float_denorm_mode_16_64 3
		.amdhsa_dx10_clamp 1
		.amdhsa_ieee_mode 1
		.amdhsa_fp16_overflow 0
		.amdhsa_exception_fp_ieee_invalid_op 0
		.amdhsa_exception_fp_denorm_src 0
		.amdhsa_exception_fp_ieee_div_zero 0
		.amdhsa_exception_fp_ieee_overflow 0
		.amdhsa_exception_fp_ieee_underflow 0
		.amdhsa_exception_fp_ieee_inexact 0
		.amdhsa_exception_int_div_zero 0
	.end_amdhsa_kernel
	.section	.text._ZN7rocprim17ROCPRIM_400000_NS6detail17trampoline_kernelINS0_13select_configILj256ELj13ELNS0_17block_load_methodE3ELS4_3ELS4_3ELNS0_20block_scan_algorithmE0ELj4294967295EEENS1_25partition_config_selectorILNS1_17partition_subalgoE3EjNS0_10empty_typeEbEEZZNS1_14partition_implILS8_3ELb0ES6_jNS0_17counting_iteratorIjlEEPS9_SE_NS0_5tupleIJPjSE_EEENSF_IJSE_SE_EEES9_SG_JZNS1_25segmented_radix_sort_implINS0_14default_configELb0EPKsPsPKlPlN2at6native12_GLOBAL__N_18offset_tEEE10hipError_tPvRmT1_PNSt15iterator_traitsISY_E10value_typeET2_T3_PNSZ_IS14_E10value_typeET4_jRbjT5_S1A_jjP12ihipStream_tbEUljE_EEESV_SW_SX_S14_S18_S1A_T6_T7_T9_mT8_S1C_bDpT10_ENKUlT_T0_E_clISt17integral_constantIbLb0EES1O_IbLb1EEEEDaS1K_S1L_EUlS1K_E_NS1_11comp_targetILNS1_3genE2ELNS1_11target_archE906ELNS1_3gpuE6ELNS1_3repE0EEENS1_30default_config_static_selectorELNS0_4arch9wavefront6targetE1EEEvSY_,"axG",@progbits,_ZN7rocprim17ROCPRIM_400000_NS6detail17trampoline_kernelINS0_13select_configILj256ELj13ELNS0_17block_load_methodE3ELS4_3ELS4_3ELNS0_20block_scan_algorithmE0ELj4294967295EEENS1_25partition_config_selectorILNS1_17partition_subalgoE3EjNS0_10empty_typeEbEEZZNS1_14partition_implILS8_3ELb0ES6_jNS0_17counting_iteratorIjlEEPS9_SE_NS0_5tupleIJPjSE_EEENSF_IJSE_SE_EEES9_SG_JZNS1_25segmented_radix_sort_implINS0_14default_configELb0EPKsPsPKlPlN2at6native12_GLOBAL__N_18offset_tEEE10hipError_tPvRmT1_PNSt15iterator_traitsISY_E10value_typeET2_T3_PNSZ_IS14_E10value_typeET4_jRbjT5_S1A_jjP12ihipStream_tbEUljE_EEESV_SW_SX_S14_S18_S1A_T6_T7_T9_mT8_S1C_bDpT10_ENKUlT_T0_E_clISt17integral_constantIbLb0EES1O_IbLb1EEEEDaS1K_S1L_EUlS1K_E_NS1_11comp_targetILNS1_3genE2ELNS1_11target_archE906ELNS1_3gpuE6ELNS1_3repE0EEENS1_30default_config_static_selectorELNS0_4arch9wavefront6targetE1EEEvSY_,comdat
.Lfunc_end1010:
	.size	_ZN7rocprim17ROCPRIM_400000_NS6detail17trampoline_kernelINS0_13select_configILj256ELj13ELNS0_17block_load_methodE3ELS4_3ELS4_3ELNS0_20block_scan_algorithmE0ELj4294967295EEENS1_25partition_config_selectorILNS1_17partition_subalgoE3EjNS0_10empty_typeEbEEZZNS1_14partition_implILS8_3ELb0ES6_jNS0_17counting_iteratorIjlEEPS9_SE_NS0_5tupleIJPjSE_EEENSF_IJSE_SE_EEES9_SG_JZNS1_25segmented_radix_sort_implINS0_14default_configELb0EPKsPsPKlPlN2at6native12_GLOBAL__N_18offset_tEEE10hipError_tPvRmT1_PNSt15iterator_traitsISY_E10value_typeET2_T3_PNSZ_IS14_E10value_typeET4_jRbjT5_S1A_jjP12ihipStream_tbEUljE_EEESV_SW_SX_S14_S18_S1A_T6_T7_T9_mT8_S1C_bDpT10_ENKUlT_T0_E_clISt17integral_constantIbLb0EES1O_IbLb1EEEEDaS1K_S1L_EUlS1K_E_NS1_11comp_targetILNS1_3genE2ELNS1_11target_archE906ELNS1_3gpuE6ELNS1_3repE0EEENS1_30default_config_static_selectorELNS0_4arch9wavefront6targetE1EEEvSY_, .Lfunc_end1010-_ZN7rocprim17ROCPRIM_400000_NS6detail17trampoline_kernelINS0_13select_configILj256ELj13ELNS0_17block_load_methodE3ELS4_3ELS4_3ELNS0_20block_scan_algorithmE0ELj4294967295EEENS1_25partition_config_selectorILNS1_17partition_subalgoE3EjNS0_10empty_typeEbEEZZNS1_14partition_implILS8_3ELb0ES6_jNS0_17counting_iteratorIjlEEPS9_SE_NS0_5tupleIJPjSE_EEENSF_IJSE_SE_EEES9_SG_JZNS1_25segmented_radix_sort_implINS0_14default_configELb0EPKsPsPKlPlN2at6native12_GLOBAL__N_18offset_tEEE10hipError_tPvRmT1_PNSt15iterator_traitsISY_E10value_typeET2_T3_PNSZ_IS14_E10value_typeET4_jRbjT5_S1A_jjP12ihipStream_tbEUljE_EEESV_SW_SX_S14_S18_S1A_T6_T7_T9_mT8_S1C_bDpT10_ENKUlT_T0_E_clISt17integral_constantIbLb0EES1O_IbLb1EEEEDaS1K_S1L_EUlS1K_E_NS1_11comp_targetILNS1_3genE2ELNS1_11target_archE906ELNS1_3gpuE6ELNS1_3repE0EEENS1_30default_config_static_selectorELNS0_4arch9wavefront6targetE1EEEvSY_
                                        ; -- End function
	.set _ZN7rocprim17ROCPRIM_400000_NS6detail17trampoline_kernelINS0_13select_configILj256ELj13ELNS0_17block_load_methodE3ELS4_3ELS4_3ELNS0_20block_scan_algorithmE0ELj4294967295EEENS1_25partition_config_selectorILNS1_17partition_subalgoE3EjNS0_10empty_typeEbEEZZNS1_14partition_implILS8_3ELb0ES6_jNS0_17counting_iteratorIjlEEPS9_SE_NS0_5tupleIJPjSE_EEENSF_IJSE_SE_EEES9_SG_JZNS1_25segmented_radix_sort_implINS0_14default_configELb0EPKsPsPKlPlN2at6native12_GLOBAL__N_18offset_tEEE10hipError_tPvRmT1_PNSt15iterator_traitsISY_E10value_typeET2_T3_PNSZ_IS14_E10value_typeET4_jRbjT5_S1A_jjP12ihipStream_tbEUljE_EEESV_SW_SX_S14_S18_S1A_T6_T7_T9_mT8_S1C_bDpT10_ENKUlT_T0_E_clISt17integral_constantIbLb0EES1O_IbLb1EEEEDaS1K_S1L_EUlS1K_E_NS1_11comp_targetILNS1_3genE2ELNS1_11target_archE906ELNS1_3gpuE6ELNS1_3repE0EEENS1_30default_config_static_selectorELNS0_4arch9wavefront6targetE1EEEvSY_.num_vgpr, 71
	.set _ZN7rocprim17ROCPRIM_400000_NS6detail17trampoline_kernelINS0_13select_configILj256ELj13ELNS0_17block_load_methodE3ELS4_3ELS4_3ELNS0_20block_scan_algorithmE0ELj4294967295EEENS1_25partition_config_selectorILNS1_17partition_subalgoE3EjNS0_10empty_typeEbEEZZNS1_14partition_implILS8_3ELb0ES6_jNS0_17counting_iteratorIjlEEPS9_SE_NS0_5tupleIJPjSE_EEENSF_IJSE_SE_EEES9_SG_JZNS1_25segmented_radix_sort_implINS0_14default_configELb0EPKsPsPKlPlN2at6native12_GLOBAL__N_18offset_tEEE10hipError_tPvRmT1_PNSt15iterator_traitsISY_E10value_typeET2_T3_PNSZ_IS14_E10value_typeET4_jRbjT5_S1A_jjP12ihipStream_tbEUljE_EEESV_SW_SX_S14_S18_S1A_T6_T7_T9_mT8_S1C_bDpT10_ENKUlT_T0_E_clISt17integral_constantIbLb0EES1O_IbLb1EEEEDaS1K_S1L_EUlS1K_E_NS1_11comp_targetILNS1_3genE2ELNS1_11target_archE906ELNS1_3gpuE6ELNS1_3repE0EEENS1_30default_config_static_selectorELNS0_4arch9wavefront6targetE1EEEvSY_.num_agpr, 0
	.set _ZN7rocprim17ROCPRIM_400000_NS6detail17trampoline_kernelINS0_13select_configILj256ELj13ELNS0_17block_load_methodE3ELS4_3ELS4_3ELNS0_20block_scan_algorithmE0ELj4294967295EEENS1_25partition_config_selectorILNS1_17partition_subalgoE3EjNS0_10empty_typeEbEEZZNS1_14partition_implILS8_3ELb0ES6_jNS0_17counting_iteratorIjlEEPS9_SE_NS0_5tupleIJPjSE_EEENSF_IJSE_SE_EEES9_SG_JZNS1_25segmented_radix_sort_implINS0_14default_configELb0EPKsPsPKlPlN2at6native12_GLOBAL__N_18offset_tEEE10hipError_tPvRmT1_PNSt15iterator_traitsISY_E10value_typeET2_T3_PNSZ_IS14_E10value_typeET4_jRbjT5_S1A_jjP12ihipStream_tbEUljE_EEESV_SW_SX_S14_S18_S1A_T6_T7_T9_mT8_S1C_bDpT10_ENKUlT_T0_E_clISt17integral_constantIbLb0EES1O_IbLb1EEEEDaS1K_S1L_EUlS1K_E_NS1_11comp_targetILNS1_3genE2ELNS1_11target_archE906ELNS1_3gpuE6ELNS1_3repE0EEENS1_30default_config_static_selectorELNS0_4arch9wavefront6targetE1EEEvSY_.numbered_sgpr, 46
	.set _ZN7rocprim17ROCPRIM_400000_NS6detail17trampoline_kernelINS0_13select_configILj256ELj13ELNS0_17block_load_methodE3ELS4_3ELS4_3ELNS0_20block_scan_algorithmE0ELj4294967295EEENS1_25partition_config_selectorILNS1_17partition_subalgoE3EjNS0_10empty_typeEbEEZZNS1_14partition_implILS8_3ELb0ES6_jNS0_17counting_iteratorIjlEEPS9_SE_NS0_5tupleIJPjSE_EEENSF_IJSE_SE_EEES9_SG_JZNS1_25segmented_radix_sort_implINS0_14default_configELb0EPKsPsPKlPlN2at6native12_GLOBAL__N_18offset_tEEE10hipError_tPvRmT1_PNSt15iterator_traitsISY_E10value_typeET2_T3_PNSZ_IS14_E10value_typeET4_jRbjT5_S1A_jjP12ihipStream_tbEUljE_EEESV_SW_SX_S14_S18_S1A_T6_T7_T9_mT8_S1C_bDpT10_ENKUlT_T0_E_clISt17integral_constantIbLb0EES1O_IbLb1EEEEDaS1K_S1L_EUlS1K_E_NS1_11comp_targetILNS1_3genE2ELNS1_11target_archE906ELNS1_3gpuE6ELNS1_3repE0EEENS1_30default_config_static_selectorELNS0_4arch9wavefront6targetE1EEEvSY_.num_named_barrier, 0
	.set _ZN7rocprim17ROCPRIM_400000_NS6detail17trampoline_kernelINS0_13select_configILj256ELj13ELNS0_17block_load_methodE3ELS4_3ELS4_3ELNS0_20block_scan_algorithmE0ELj4294967295EEENS1_25partition_config_selectorILNS1_17partition_subalgoE3EjNS0_10empty_typeEbEEZZNS1_14partition_implILS8_3ELb0ES6_jNS0_17counting_iteratorIjlEEPS9_SE_NS0_5tupleIJPjSE_EEENSF_IJSE_SE_EEES9_SG_JZNS1_25segmented_radix_sort_implINS0_14default_configELb0EPKsPsPKlPlN2at6native12_GLOBAL__N_18offset_tEEE10hipError_tPvRmT1_PNSt15iterator_traitsISY_E10value_typeET2_T3_PNSZ_IS14_E10value_typeET4_jRbjT5_S1A_jjP12ihipStream_tbEUljE_EEESV_SW_SX_S14_S18_S1A_T6_T7_T9_mT8_S1C_bDpT10_ENKUlT_T0_E_clISt17integral_constantIbLb0EES1O_IbLb1EEEEDaS1K_S1L_EUlS1K_E_NS1_11comp_targetILNS1_3genE2ELNS1_11target_archE906ELNS1_3gpuE6ELNS1_3repE0EEENS1_30default_config_static_selectorELNS0_4arch9wavefront6targetE1EEEvSY_.private_seg_size, 0
	.set _ZN7rocprim17ROCPRIM_400000_NS6detail17trampoline_kernelINS0_13select_configILj256ELj13ELNS0_17block_load_methodE3ELS4_3ELS4_3ELNS0_20block_scan_algorithmE0ELj4294967295EEENS1_25partition_config_selectorILNS1_17partition_subalgoE3EjNS0_10empty_typeEbEEZZNS1_14partition_implILS8_3ELb0ES6_jNS0_17counting_iteratorIjlEEPS9_SE_NS0_5tupleIJPjSE_EEENSF_IJSE_SE_EEES9_SG_JZNS1_25segmented_radix_sort_implINS0_14default_configELb0EPKsPsPKlPlN2at6native12_GLOBAL__N_18offset_tEEE10hipError_tPvRmT1_PNSt15iterator_traitsISY_E10value_typeET2_T3_PNSZ_IS14_E10value_typeET4_jRbjT5_S1A_jjP12ihipStream_tbEUljE_EEESV_SW_SX_S14_S18_S1A_T6_T7_T9_mT8_S1C_bDpT10_ENKUlT_T0_E_clISt17integral_constantIbLb0EES1O_IbLb1EEEEDaS1K_S1L_EUlS1K_E_NS1_11comp_targetILNS1_3genE2ELNS1_11target_archE906ELNS1_3gpuE6ELNS1_3repE0EEENS1_30default_config_static_selectorELNS0_4arch9wavefront6targetE1EEEvSY_.uses_vcc, 1
	.set _ZN7rocprim17ROCPRIM_400000_NS6detail17trampoline_kernelINS0_13select_configILj256ELj13ELNS0_17block_load_methodE3ELS4_3ELS4_3ELNS0_20block_scan_algorithmE0ELj4294967295EEENS1_25partition_config_selectorILNS1_17partition_subalgoE3EjNS0_10empty_typeEbEEZZNS1_14partition_implILS8_3ELb0ES6_jNS0_17counting_iteratorIjlEEPS9_SE_NS0_5tupleIJPjSE_EEENSF_IJSE_SE_EEES9_SG_JZNS1_25segmented_radix_sort_implINS0_14default_configELb0EPKsPsPKlPlN2at6native12_GLOBAL__N_18offset_tEEE10hipError_tPvRmT1_PNSt15iterator_traitsISY_E10value_typeET2_T3_PNSZ_IS14_E10value_typeET4_jRbjT5_S1A_jjP12ihipStream_tbEUljE_EEESV_SW_SX_S14_S18_S1A_T6_T7_T9_mT8_S1C_bDpT10_ENKUlT_T0_E_clISt17integral_constantIbLb0EES1O_IbLb1EEEEDaS1K_S1L_EUlS1K_E_NS1_11comp_targetILNS1_3genE2ELNS1_11target_archE906ELNS1_3gpuE6ELNS1_3repE0EEENS1_30default_config_static_selectorELNS0_4arch9wavefront6targetE1EEEvSY_.uses_flat_scratch, 0
	.set _ZN7rocprim17ROCPRIM_400000_NS6detail17trampoline_kernelINS0_13select_configILj256ELj13ELNS0_17block_load_methodE3ELS4_3ELS4_3ELNS0_20block_scan_algorithmE0ELj4294967295EEENS1_25partition_config_selectorILNS1_17partition_subalgoE3EjNS0_10empty_typeEbEEZZNS1_14partition_implILS8_3ELb0ES6_jNS0_17counting_iteratorIjlEEPS9_SE_NS0_5tupleIJPjSE_EEENSF_IJSE_SE_EEES9_SG_JZNS1_25segmented_radix_sort_implINS0_14default_configELb0EPKsPsPKlPlN2at6native12_GLOBAL__N_18offset_tEEE10hipError_tPvRmT1_PNSt15iterator_traitsISY_E10value_typeET2_T3_PNSZ_IS14_E10value_typeET4_jRbjT5_S1A_jjP12ihipStream_tbEUljE_EEESV_SW_SX_S14_S18_S1A_T6_T7_T9_mT8_S1C_bDpT10_ENKUlT_T0_E_clISt17integral_constantIbLb0EES1O_IbLb1EEEEDaS1K_S1L_EUlS1K_E_NS1_11comp_targetILNS1_3genE2ELNS1_11target_archE906ELNS1_3gpuE6ELNS1_3repE0EEENS1_30default_config_static_selectorELNS0_4arch9wavefront6targetE1EEEvSY_.has_dyn_sized_stack, 0
	.set _ZN7rocprim17ROCPRIM_400000_NS6detail17trampoline_kernelINS0_13select_configILj256ELj13ELNS0_17block_load_methodE3ELS4_3ELS4_3ELNS0_20block_scan_algorithmE0ELj4294967295EEENS1_25partition_config_selectorILNS1_17partition_subalgoE3EjNS0_10empty_typeEbEEZZNS1_14partition_implILS8_3ELb0ES6_jNS0_17counting_iteratorIjlEEPS9_SE_NS0_5tupleIJPjSE_EEENSF_IJSE_SE_EEES9_SG_JZNS1_25segmented_radix_sort_implINS0_14default_configELb0EPKsPsPKlPlN2at6native12_GLOBAL__N_18offset_tEEE10hipError_tPvRmT1_PNSt15iterator_traitsISY_E10value_typeET2_T3_PNSZ_IS14_E10value_typeET4_jRbjT5_S1A_jjP12ihipStream_tbEUljE_EEESV_SW_SX_S14_S18_S1A_T6_T7_T9_mT8_S1C_bDpT10_ENKUlT_T0_E_clISt17integral_constantIbLb0EES1O_IbLb1EEEEDaS1K_S1L_EUlS1K_E_NS1_11comp_targetILNS1_3genE2ELNS1_11target_archE906ELNS1_3gpuE6ELNS1_3repE0EEENS1_30default_config_static_selectorELNS0_4arch9wavefront6targetE1EEEvSY_.has_recursion, 0
	.set _ZN7rocprim17ROCPRIM_400000_NS6detail17trampoline_kernelINS0_13select_configILj256ELj13ELNS0_17block_load_methodE3ELS4_3ELS4_3ELNS0_20block_scan_algorithmE0ELj4294967295EEENS1_25partition_config_selectorILNS1_17partition_subalgoE3EjNS0_10empty_typeEbEEZZNS1_14partition_implILS8_3ELb0ES6_jNS0_17counting_iteratorIjlEEPS9_SE_NS0_5tupleIJPjSE_EEENSF_IJSE_SE_EEES9_SG_JZNS1_25segmented_radix_sort_implINS0_14default_configELb0EPKsPsPKlPlN2at6native12_GLOBAL__N_18offset_tEEE10hipError_tPvRmT1_PNSt15iterator_traitsISY_E10value_typeET2_T3_PNSZ_IS14_E10value_typeET4_jRbjT5_S1A_jjP12ihipStream_tbEUljE_EEESV_SW_SX_S14_S18_S1A_T6_T7_T9_mT8_S1C_bDpT10_ENKUlT_T0_E_clISt17integral_constantIbLb0EES1O_IbLb1EEEEDaS1K_S1L_EUlS1K_E_NS1_11comp_targetILNS1_3genE2ELNS1_11target_archE906ELNS1_3gpuE6ELNS1_3repE0EEENS1_30default_config_static_selectorELNS0_4arch9wavefront6targetE1EEEvSY_.has_indirect_call, 0
	.section	.AMDGPU.csdata,"",@progbits
; Kernel info:
; codeLenInByte = 7548
; TotalNumSgprs: 50
; NumVgprs: 71
; ScratchSize: 0
; MemoryBound: 0
; FloatMode: 240
; IeeeMode: 1
; LDSByteSize: 13320 bytes/workgroup (compile time only)
; SGPRBlocks: 12
; VGPRBlocks: 17
; NumSGPRsForWavesPerEU: 102
; NumVGPRsForWavesPerEU: 71
; Occupancy: 3
; WaveLimiterHint : 0
; COMPUTE_PGM_RSRC2:SCRATCH_EN: 0
; COMPUTE_PGM_RSRC2:USER_SGPR: 6
; COMPUTE_PGM_RSRC2:TRAP_HANDLER: 0
; COMPUTE_PGM_RSRC2:TGID_X_EN: 1
; COMPUTE_PGM_RSRC2:TGID_Y_EN: 0
; COMPUTE_PGM_RSRC2:TGID_Z_EN: 0
; COMPUTE_PGM_RSRC2:TIDIG_COMP_CNT: 0
	.section	.text._ZN7rocprim17ROCPRIM_400000_NS6detail17trampoline_kernelINS0_13select_configILj256ELj13ELNS0_17block_load_methodE3ELS4_3ELS4_3ELNS0_20block_scan_algorithmE0ELj4294967295EEENS1_25partition_config_selectorILNS1_17partition_subalgoE3EjNS0_10empty_typeEbEEZZNS1_14partition_implILS8_3ELb0ES6_jNS0_17counting_iteratorIjlEEPS9_SE_NS0_5tupleIJPjSE_EEENSF_IJSE_SE_EEES9_SG_JZNS1_25segmented_radix_sort_implINS0_14default_configELb0EPKsPsPKlPlN2at6native12_GLOBAL__N_18offset_tEEE10hipError_tPvRmT1_PNSt15iterator_traitsISY_E10value_typeET2_T3_PNSZ_IS14_E10value_typeET4_jRbjT5_S1A_jjP12ihipStream_tbEUljE_EEESV_SW_SX_S14_S18_S1A_T6_T7_T9_mT8_S1C_bDpT10_ENKUlT_T0_E_clISt17integral_constantIbLb0EES1O_IbLb1EEEEDaS1K_S1L_EUlS1K_E_NS1_11comp_targetILNS1_3genE10ELNS1_11target_archE1200ELNS1_3gpuE4ELNS1_3repE0EEENS1_30default_config_static_selectorELNS0_4arch9wavefront6targetE1EEEvSY_,"axG",@progbits,_ZN7rocprim17ROCPRIM_400000_NS6detail17trampoline_kernelINS0_13select_configILj256ELj13ELNS0_17block_load_methodE3ELS4_3ELS4_3ELNS0_20block_scan_algorithmE0ELj4294967295EEENS1_25partition_config_selectorILNS1_17partition_subalgoE3EjNS0_10empty_typeEbEEZZNS1_14partition_implILS8_3ELb0ES6_jNS0_17counting_iteratorIjlEEPS9_SE_NS0_5tupleIJPjSE_EEENSF_IJSE_SE_EEES9_SG_JZNS1_25segmented_radix_sort_implINS0_14default_configELb0EPKsPsPKlPlN2at6native12_GLOBAL__N_18offset_tEEE10hipError_tPvRmT1_PNSt15iterator_traitsISY_E10value_typeET2_T3_PNSZ_IS14_E10value_typeET4_jRbjT5_S1A_jjP12ihipStream_tbEUljE_EEESV_SW_SX_S14_S18_S1A_T6_T7_T9_mT8_S1C_bDpT10_ENKUlT_T0_E_clISt17integral_constantIbLb0EES1O_IbLb1EEEEDaS1K_S1L_EUlS1K_E_NS1_11comp_targetILNS1_3genE10ELNS1_11target_archE1200ELNS1_3gpuE4ELNS1_3repE0EEENS1_30default_config_static_selectorELNS0_4arch9wavefront6targetE1EEEvSY_,comdat
	.globl	_ZN7rocprim17ROCPRIM_400000_NS6detail17trampoline_kernelINS0_13select_configILj256ELj13ELNS0_17block_load_methodE3ELS4_3ELS4_3ELNS0_20block_scan_algorithmE0ELj4294967295EEENS1_25partition_config_selectorILNS1_17partition_subalgoE3EjNS0_10empty_typeEbEEZZNS1_14partition_implILS8_3ELb0ES6_jNS0_17counting_iteratorIjlEEPS9_SE_NS0_5tupleIJPjSE_EEENSF_IJSE_SE_EEES9_SG_JZNS1_25segmented_radix_sort_implINS0_14default_configELb0EPKsPsPKlPlN2at6native12_GLOBAL__N_18offset_tEEE10hipError_tPvRmT1_PNSt15iterator_traitsISY_E10value_typeET2_T3_PNSZ_IS14_E10value_typeET4_jRbjT5_S1A_jjP12ihipStream_tbEUljE_EEESV_SW_SX_S14_S18_S1A_T6_T7_T9_mT8_S1C_bDpT10_ENKUlT_T0_E_clISt17integral_constantIbLb0EES1O_IbLb1EEEEDaS1K_S1L_EUlS1K_E_NS1_11comp_targetILNS1_3genE10ELNS1_11target_archE1200ELNS1_3gpuE4ELNS1_3repE0EEENS1_30default_config_static_selectorELNS0_4arch9wavefront6targetE1EEEvSY_ ; -- Begin function _ZN7rocprim17ROCPRIM_400000_NS6detail17trampoline_kernelINS0_13select_configILj256ELj13ELNS0_17block_load_methodE3ELS4_3ELS4_3ELNS0_20block_scan_algorithmE0ELj4294967295EEENS1_25partition_config_selectorILNS1_17partition_subalgoE3EjNS0_10empty_typeEbEEZZNS1_14partition_implILS8_3ELb0ES6_jNS0_17counting_iteratorIjlEEPS9_SE_NS0_5tupleIJPjSE_EEENSF_IJSE_SE_EEES9_SG_JZNS1_25segmented_radix_sort_implINS0_14default_configELb0EPKsPsPKlPlN2at6native12_GLOBAL__N_18offset_tEEE10hipError_tPvRmT1_PNSt15iterator_traitsISY_E10value_typeET2_T3_PNSZ_IS14_E10value_typeET4_jRbjT5_S1A_jjP12ihipStream_tbEUljE_EEESV_SW_SX_S14_S18_S1A_T6_T7_T9_mT8_S1C_bDpT10_ENKUlT_T0_E_clISt17integral_constantIbLb0EES1O_IbLb1EEEEDaS1K_S1L_EUlS1K_E_NS1_11comp_targetILNS1_3genE10ELNS1_11target_archE1200ELNS1_3gpuE4ELNS1_3repE0EEENS1_30default_config_static_selectorELNS0_4arch9wavefront6targetE1EEEvSY_
	.p2align	8
	.type	_ZN7rocprim17ROCPRIM_400000_NS6detail17trampoline_kernelINS0_13select_configILj256ELj13ELNS0_17block_load_methodE3ELS4_3ELS4_3ELNS0_20block_scan_algorithmE0ELj4294967295EEENS1_25partition_config_selectorILNS1_17partition_subalgoE3EjNS0_10empty_typeEbEEZZNS1_14partition_implILS8_3ELb0ES6_jNS0_17counting_iteratorIjlEEPS9_SE_NS0_5tupleIJPjSE_EEENSF_IJSE_SE_EEES9_SG_JZNS1_25segmented_radix_sort_implINS0_14default_configELb0EPKsPsPKlPlN2at6native12_GLOBAL__N_18offset_tEEE10hipError_tPvRmT1_PNSt15iterator_traitsISY_E10value_typeET2_T3_PNSZ_IS14_E10value_typeET4_jRbjT5_S1A_jjP12ihipStream_tbEUljE_EEESV_SW_SX_S14_S18_S1A_T6_T7_T9_mT8_S1C_bDpT10_ENKUlT_T0_E_clISt17integral_constantIbLb0EES1O_IbLb1EEEEDaS1K_S1L_EUlS1K_E_NS1_11comp_targetILNS1_3genE10ELNS1_11target_archE1200ELNS1_3gpuE4ELNS1_3repE0EEENS1_30default_config_static_selectorELNS0_4arch9wavefront6targetE1EEEvSY_,@function
_ZN7rocprim17ROCPRIM_400000_NS6detail17trampoline_kernelINS0_13select_configILj256ELj13ELNS0_17block_load_methodE3ELS4_3ELS4_3ELNS0_20block_scan_algorithmE0ELj4294967295EEENS1_25partition_config_selectorILNS1_17partition_subalgoE3EjNS0_10empty_typeEbEEZZNS1_14partition_implILS8_3ELb0ES6_jNS0_17counting_iteratorIjlEEPS9_SE_NS0_5tupleIJPjSE_EEENSF_IJSE_SE_EEES9_SG_JZNS1_25segmented_radix_sort_implINS0_14default_configELb0EPKsPsPKlPlN2at6native12_GLOBAL__N_18offset_tEEE10hipError_tPvRmT1_PNSt15iterator_traitsISY_E10value_typeET2_T3_PNSZ_IS14_E10value_typeET4_jRbjT5_S1A_jjP12ihipStream_tbEUljE_EEESV_SW_SX_S14_S18_S1A_T6_T7_T9_mT8_S1C_bDpT10_ENKUlT_T0_E_clISt17integral_constantIbLb0EES1O_IbLb1EEEEDaS1K_S1L_EUlS1K_E_NS1_11comp_targetILNS1_3genE10ELNS1_11target_archE1200ELNS1_3gpuE4ELNS1_3repE0EEENS1_30default_config_static_selectorELNS0_4arch9wavefront6targetE1EEEvSY_: ; @_ZN7rocprim17ROCPRIM_400000_NS6detail17trampoline_kernelINS0_13select_configILj256ELj13ELNS0_17block_load_methodE3ELS4_3ELS4_3ELNS0_20block_scan_algorithmE0ELj4294967295EEENS1_25partition_config_selectorILNS1_17partition_subalgoE3EjNS0_10empty_typeEbEEZZNS1_14partition_implILS8_3ELb0ES6_jNS0_17counting_iteratorIjlEEPS9_SE_NS0_5tupleIJPjSE_EEENSF_IJSE_SE_EEES9_SG_JZNS1_25segmented_radix_sort_implINS0_14default_configELb0EPKsPsPKlPlN2at6native12_GLOBAL__N_18offset_tEEE10hipError_tPvRmT1_PNSt15iterator_traitsISY_E10value_typeET2_T3_PNSZ_IS14_E10value_typeET4_jRbjT5_S1A_jjP12ihipStream_tbEUljE_EEESV_SW_SX_S14_S18_S1A_T6_T7_T9_mT8_S1C_bDpT10_ENKUlT_T0_E_clISt17integral_constantIbLb0EES1O_IbLb1EEEEDaS1K_S1L_EUlS1K_E_NS1_11comp_targetILNS1_3genE10ELNS1_11target_archE1200ELNS1_3gpuE4ELNS1_3repE0EEENS1_30default_config_static_selectorELNS0_4arch9wavefront6targetE1EEEvSY_
; %bb.0:
	.section	.rodata,"a",@progbits
	.p2align	6, 0x0
	.amdhsa_kernel _ZN7rocprim17ROCPRIM_400000_NS6detail17trampoline_kernelINS0_13select_configILj256ELj13ELNS0_17block_load_methodE3ELS4_3ELS4_3ELNS0_20block_scan_algorithmE0ELj4294967295EEENS1_25partition_config_selectorILNS1_17partition_subalgoE3EjNS0_10empty_typeEbEEZZNS1_14partition_implILS8_3ELb0ES6_jNS0_17counting_iteratorIjlEEPS9_SE_NS0_5tupleIJPjSE_EEENSF_IJSE_SE_EEES9_SG_JZNS1_25segmented_radix_sort_implINS0_14default_configELb0EPKsPsPKlPlN2at6native12_GLOBAL__N_18offset_tEEE10hipError_tPvRmT1_PNSt15iterator_traitsISY_E10value_typeET2_T3_PNSZ_IS14_E10value_typeET4_jRbjT5_S1A_jjP12ihipStream_tbEUljE_EEESV_SW_SX_S14_S18_S1A_T6_T7_T9_mT8_S1C_bDpT10_ENKUlT_T0_E_clISt17integral_constantIbLb0EES1O_IbLb1EEEEDaS1K_S1L_EUlS1K_E_NS1_11comp_targetILNS1_3genE10ELNS1_11target_archE1200ELNS1_3gpuE4ELNS1_3repE0EEENS1_30default_config_static_selectorELNS0_4arch9wavefront6targetE1EEEvSY_
		.amdhsa_group_segment_fixed_size 0
		.amdhsa_private_segment_fixed_size 0
		.amdhsa_kernarg_size 152
		.amdhsa_user_sgpr_count 6
		.amdhsa_user_sgpr_private_segment_buffer 1
		.amdhsa_user_sgpr_dispatch_ptr 0
		.amdhsa_user_sgpr_queue_ptr 0
		.amdhsa_user_sgpr_kernarg_segment_ptr 1
		.amdhsa_user_sgpr_dispatch_id 0
		.amdhsa_user_sgpr_flat_scratch_init 0
		.amdhsa_user_sgpr_private_segment_size 0
		.amdhsa_uses_dynamic_stack 0
		.amdhsa_system_sgpr_private_segment_wavefront_offset 0
		.amdhsa_system_sgpr_workgroup_id_x 1
		.amdhsa_system_sgpr_workgroup_id_y 0
		.amdhsa_system_sgpr_workgroup_id_z 0
		.amdhsa_system_sgpr_workgroup_info 0
		.amdhsa_system_vgpr_workitem_id 0
		.amdhsa_next_free_vgpr 1
		.amdhsa_next_free_sgpr 0
		.amdhsa_reserve_vcc 0
		.amdhsa_reserve_flat_scratch 0
		.amdhsa_float_round_mode_32 0
		.amdhsa_float_round_mode_16_64 0
		.amdhsa_float_denorm_mode_32 3
		.amdhsa_float_denorm_mode_16_64 3
		.amdhsa_dx10_clamp 1
		.amdhsa_ieee_mode 1
		.amdhsa_fp16_overflow 0
		.amdhsa_exception_fp_ieee_invalid_op 0
		.amdhsa_exception_fp_denorm_src 0
		.amdhsa_exception_fp_ieee_div_zero 0
		.amdhsa_exception_fp_ieee_overflow 0
		.amdhsa_exception_fp_ieee_underflow 0
		.amdhsa_exception_fp_ieee_inexact 0
		.amdhsa_exception_int_div_zero 0
	.end_amdhsa_kernel
	.section	.text._ZN7rocprim17ROCPRIM_400000_NS6detail17trampoline_kernelINS0_13select_configILj256ELj13ELNS0_17block_load_methodE3ELS4_3ELS4_3ELNS0_20block_scan_algorithmE0ELj4294967295EEENS1_25partition_config_selectorILNS1_17partition_subalgoE3EjNS0_10empty_typeEbEEZZNS1_14partition_implILS8_3ELb0ES6_jNS0_17counting_iteratorIjlEEPS9_SE_NS0_5tupleIJPjSE_EEENSF_IJSE_SE_EEES9_SG_JZNS1_25segmented_radix_sort_implINS0_14default_configELb0EPKsPsPKlPlN2at6native12_GLOBAL__N_18offset_tEEE10hipError_tPvRmT1_PNSt15iterator_traitsISY_E10value_typeET2_T3_PNSZ_IS14_E10value_typeET4_jRbjT5_S1A_jjP12ihipStream_tbEUljE_EEESV_SW_SX_S14_S18_S1A_T6_T7_T9_mT8_S1C_bDpT10_ENKUlT_T0_E_clISt17integral_constantIbLb0EES1O_IbLb1EEEEDaS1K_S1L_EUlS1K_E_NS1_11comp_targetILNS1_3genE10ELNS1_11target_archE1200ELNS1_3gpuE4ELNS1_3repE0EEENS1_30default_config_static_selectorELNS0_4arch9wavefront6targetE1EEEvSY_,"axG",@progbits,_ZN7rocprim17ROCPRIM_400000_NS6detail17trampoline_kernelINS0_13select_configILj256ELj13ELNS0_17block_load_methodE3ELS4_3ELS4_3ELNS0_20block_scan_algorithmE0ELj4294967295EEENS1_25partition_config_selectorILNS1_17partition_subalgoE3EjNS0_10empty_typeEbEEZZNS1_14partition_implILS8_3ELb0ES6_jNS0_17counting_iteratorIjlEEPS9_SE_NS0_5tupleIJPjSE_EEENSF_IJSE_SE_EEES9_SG_JZNS1_25segmented_radix_sort_implINS0_14default_configELb0EPKsPsPKlPlN2at6native12_GLOBAL__N_18offset_tEEE10hipError_tPvRmT1_PNSt15iterator_traitsISY_E10value_typeET2_T3_PNSZ_IS14_E10value_typeET4_jRbjT5_S1A_jjP12ihipStream_tbEUljE_EEESV_SW_SX_S14_S18_S1A_T6_T7_T9_mT8_S1C_bDpT10_ENKUlT_T0_E_clISt17integral_constantIbLb0EES1O_IbLb1EEEEDaS1K_S1L_EUlS1K_E_NS1_11comp_targetILNS1_3genE10ELNS1_11target_archE1200ELNS1_3gpuE4ELNS1_3repE0EEENS1_30default_config_static_selectorELNS0_4arch9wavefront6targetE1EEEvSY_,comdat
.Lfunc_end1011:
	.size	_ZN7rocprim17ROCPRIM_400000_NS6detail17trampoline_kernelINS0_13select_configILj256ELj13ELNS0_17block_load_methodE3ELS4_3ELS4_3ELNS0_20block_scan_algorithmE0ELj4294967295EEENS1_25partition_config_selectorILNS1_17partition_subalgoE3EjNS0_10empty_typeEbEEZZNS1_14partition_implILS8_3ELb0ES6_jNS0_17counting_iteratorIjlEEPS9_SE_NS0_5tupleIJPjSE_EEENSF_IJSE_SE_EEES9_SG_JZNS1_25segmented_radix_sort_implINS0_14default_configELb0EPKsPsPKlPlN2at6native12_GLOBAL__N_18offset_tEEE10hipError_tPvRmT1_PNSt15iterator_traitsISY_E10value_typeET2_T3_PNSZ_IS14_E10value_typeET4_jRbjT5_S1A_jjP12ihipStream_tbEUljE_EEESV_SW_SX_S14_S18_S1A_T6_T7_T9_mT8_S1C_bDpT10_ENKUlT_T0_E_clISt17integral_constantIbLb0EES1O_IbLb1EEEEDaS1K_S1L_EUlS1K_E_NS1_11comp_targetILNS1_3genE10ELNS1_11target_archE1200ELNS1_3gpuE4ELNS1_3repE0EEENS1_30default_config_static_selectorELNS0_4arch9wavefront6targetE1EEEvSY_, .Lfunc_end1011-_ZN7rocprim17ROCPRIM_400000_NS6detail17trampoline_kernelINS0_13select_configILj256ELj13ELNS0_17block_load_methodE3ELS4_3ELS4_3ELNS0_20block_scan_algorithmE0ELj4294967295EEENS1_25partition_config_selectorILNS1_17partition_subalgoE3EjNS0_10empty_typeEbEEZZNS1_14partition_implILS8_3ELb0ES6_jNS0_17counting_iteratorIjlEEPS9_SE_NS0_5tupleIJPjSE_EEENSF_IJSE_SE_EEES9_SG_JZNS1_25segmented_radix_sort_implINS0_14default_configELb0EPKsPsPKlPlN2at6native12_GLOBAL__N_18offset_tEEE10hipError_tPvRmT1_PNSt15iterator_traitsISY_E10value_typeET2_T3_PNSZ_IS14_E10value_typeET4_jRbjT5_S1A_jjP12ihipStream_tbEUljE_EEESV_SW_SX_S14_S18_S1A_T6_T7_T9_mT8_S1C_bDpT10_ENKUlT_T0_E_clISt17integral_constantIbLb0EES1O_IbLb1EEEEDaS1K_S1L_EUlS1K_E_NS1_11comp_targetILNS1_3genE10ELNS1_11target_archE1200ELNS1_3gpuE4ELNS1_3repE0EEENS1_30default_config_static_selectorELNS0_4arch9wavefront6targetE1EEEvSY_
                                        ; -- End function
	.set _ZN7rocprim17ROCPRIM_400000_NS6detail17trampoline_kernelINS0_13select_configILj256ELj13ELNS0_17block_load_methodE3ELS4_3ELS4_3ELNS0_20block_scan_algorithmE0ELj4294967295EEENS1_25partition_config_selectorILNS1_17partition_subalgoE3EjNS0_10empty_typeEbEEZZNS1_14partition_implILS8_3ELb0ES6_jNS0_17counting_iteratorIjlEEPS9_SE_NS0_5tupleIJPjSE_EEENSF_IJSE_SE_EEES9_SG_JZNS1_25segmented_radix_sort_implINS0_14default_configELb0EPKsPsPKlPlN2at6native12_GLOBAL__N_18offset_tEEE10hipError_tPvRmT1_PNSt15iterator_traitsISY_E10value_typeET2_T3_PNSZ_IS14_E10value_typeET4_jRbjT5_S1A_jjP12ihipStream_tbEUljE_EEESV_SW_SX_S14_S18_S1A_T6_T7_T9_mT8_S1C_bDpT10_ENKUlT_T0_E_clISt17integral_constantIbLb0EES1O_IbLb1EEEEDaS1K_S1L_EUlS1K_E_NS1_11comp_targetILNS1_3genE10ELNS1_11target_archE1200ELNS1_3gpuE4ELNS1_3repE0EEENS1_30default_config_static_selectorELNS0_4arch9wavefront6targetE1EEEvSY_.num_vgpr, 0
	.set _ZN7rocprim17ROCPRIM_400000_NS6detail17trampoline_kernelINS0_13select_configILj256ELj13ELNS0_17block_load_methodE3ELS4_3ELS4_3ELNS0_20block_scan_algorithmE0ELj4294967295EEENS1_25partition_config_selectorILNS1_17partition_subalgoE3EjNS0_10empty_typeEbEEZZNS1_14partition_implILS8_3ELb0ES6_jNS0_17counting_iteratorIjlEEPS9_SE_NS0_5tupleIJPjSE_EEENSF_IJSE_SE_EEES9_SG_JZNS1_25segmented_radix_sort_implINS0_14default_configELb0EPKsPsPKlPlN2at6native12_GLOBAL__N_18offset_tEEE10hipError_tPvRmT1_PNSt15iterator_traitsISY_E10value_typeET2_T3_PNSZ_IS14_E10value_typeET4_jRbjT5_S1A_jjP12ihipStream_tbEUljE_EEESV_SW_SX_S14_S18_S1A_T6_T7_T9_mT8_S1C_bDpT10_ENKUlT_T0_E_clISt17integral_constantIbLb0EES1O_IbLb1EEEEDaS1K_S1L_EUlS1K_E_NS1_11comp_targetILNS1_3genE10ELNS1_11target_archE1200ELNS1_3gpuE4ELNS1_3repE0EEENS1_30default_config_static_selectorELNS0_4arch9wavefront6targetE1EEEvSY_.num_agpr, 0
	.set _ZN7rocprim17ROCPRIM_400000_NS6detail17trampoline_kernelINS0_13select_configILj256ELj13ELNS0_17block_load_methodE3ELS4_3ELS4_3ELNS0_20block_scan_algorithmE0ELj4294967295EEENS1_25partition_config_selectorILNS1_17partition_subalgoE3EjNS0_10empty_typeEbEEZZNS1_14partition_implILS8_3ELb0ES6_jNS0_17counting_iteratorIjlEEPS9_SE_NS0_5tupleIJPjSE_EEENSF_IJSE_SE_EEES9_SG_JZNS1_25segmented_radix_sort_implINS0_14default_configELb0EPKsPsPKlPlN2at6native12_GLOBAL__N_18offset_tEEE10hipError_tPvRmT1_PNSt15iterator_traitsISY_E10value_typeET2_T3_PNSZ_IS14_E10value_typeET4_jRbjT5_S1A_jjP12ihipStream_tbEUljE_EEESV_SW_SX_S14_S18_S1A_T6_T7_T9_mT8_S1C_bDpT10_ENKUlT_T0_E_clISt17integral_constantIbLb0EES1O_IbLb1EEEEDaS1K_S1L_EUlS1K_E_NS1_11comp_targetILNS1_3genE10ELNS1_11target_archE1200ELNS1_3gpuE4ELNS1_3repE0EEENS1_30default_config_static_selectorELNS0_4arch9wavefront6targetE1EEEvSY_.numbered_sgpr, 0
	.set _ZN7rocprim17ROCPRIM_400000_NS6detail17trampoline_kernelINS0_13select_configILj256ELj13ELNS0_17block_load_methodE3ELS4_3ELS4_3ELNS0_20block_scan_algorithmE0ELj4294967295EEENS1_25partition_config_selectorILNS1_17partition_subalgoE3EjNS0_10empty_typeEbEEZZNS1_14partition_implILS8_3ELb0ES6_jNS0_17counting_iteratorIjlEEPS9_SE_NS0_5tupleIJPjSE_EEENSF_IJSE_SE_EEES9_SG_JZNS1_25segmented_radix_sort_implINS0_14default_configELb0EPKsPsPKlPlN2at6native12_GLOBAL__N_18offset_tEEE10hipError_tPvRmT1_PNSt15iterator_traitsISY_E10value_typeET2_T3_PNSZ_IS14_E10value_typeET4_jRbjT5_S1A_jjP12ihipStream_tbEUljE_EEESV_SW_SX_S14_S18_S1A_T6_T7_T9_mT8_S1C_bDpT10_ENKUlT_T0_E_clISt17integral_constantIbLb0EES1O_IbLb1EEEEDaS1K_S1L_EUlS1K_E_NS1_11comp_targetILNS1_3genE10ELNS1_11target_archE1200ELNS1_3gpuE4ELNS1_3repE0EEENS1_30default_config_static_selectorELNS0_4arch9wavefront6targetE1EEEvSY_.num_named_barrier, 0
	.set _ZN7rocprim17ROCPRIM_400000_NS6detail17trampoline_kernelINS0_13select_configILj256ELj13ELNS0_17block_load_methodE3ELS4_3ELS4_3ELNS0_20block_scan_algorithmE0ELj4294967295EEENS1_25partition_config_selectorILNS1_17partition_subalgoE3EjNS0_10empty_typeEbEEZZNS1_14partition_implILS8_3ELb0ES6_jNS0_17counting_iteratorIjlEEPS9_SE_NS0_5tupleIJPjSE_EEENSF_IJSE_SE_EEES9_SG_JZNS1_25segmented_radix_sort_implINS0_14default_configELb0EPKsPsPKlPlN2at6native12_GLOBAL__N_18offset_tEEE10hipError_tPvRmT1_PNSt15iterator_traitsISY_E10value_typeET2_T3_PNSZ_IS14_E10value_typeET4_jRbjT5_S1A_jjP12ihipStream_tbEUljE_EEESV_SW_SX_S14_S18_S1A_T6_T7_T9_mT8_S1C_bDpT10_ENKUlT_T0_E_clISt17integral_constantIbLb0EES1O_IbLb1EEEEDaS1K_S1L_EUlS1K_E_NS1_11comp_targetILNS1_3genE10ELNS1_11target_archE1200ELNS1_3gpuE4ELNS1_3repE0EEENS1_30default_config_static_selectorELNS0_4arch9wavefront6targetE1EEEvSY_.private_seg_size, 0
	.set _ZN7rocprim17ROCPRIM_400000_NS6detail17trampoline_kernelINS0_13select_configILj256ELj13ELNS0_17block_load_methodE3ELS4_3ELS4_3ELNS0_20block_scan_algorithmE0ELj4294967295EEENS1_25partition_config_selectorILNS1_17partition_subalgoE3EjNS0_10empty_typeEbEEZZNS1_14partition_implILS8_3ELb0ES6_jNS0_17counting_iteratorIjlEEPS9_SE_NS0_5tupleIJPjSE_EEENSF_IJSE_SE_EEES9_SG_JZNS1_25segmented_radix_sort_implINS0_14default_configELb0EPKsPsPKlPlN2at6native12_GLOBAL__N_18offset_tEEE10hipError_tPvRmT1_PNSt15iterator_traitsISY_E10value_typeET2_T3_PNSZ_IS14_E10value_typeET4_jRbjT5_S1A_jjP12ihipStream_tbEUljE_EEESV_SW_SX_S14_S18_S1A_T6_T7_T9_mT8_S1C_bDpT10_ENKUlT_T0_E_clISt17integral_constantIbLb0EES1O_IbLb1EEEEDaS1K_S1L_EUlS1K_E_NS1_11comp_targetILNS1_3genE10ELNS1_11target_archE1200ELNS1_3gpuE4ELNS1_3repE0EEENS1_30default_config_static_selectorELNS0_4arch9wavefront6targetE1EEEvSY_.uses_vcc, 0
	.set _ZN7rocprim17ROCPRIM_400000_NS6detail17trampoline_kernelINS0_13select_configILj256ELj13ELNS0_17block_load_methodE3ELS4_3ELS4_3ELNS0_20block_scan_algorithmE0ELj4294967295EEENS1_25partition_config_selectorILNS1_17partition_subalgoE3EjNS0_10empty_typeEbEEZZNS1_14partition_implILS8_3ELb0ES6_jNS0_17counting_iteratorIjlEEPS9_SE_NS0_5tupleIJPjSE_EEENSF_IJSE_SE_EEES9_SG_JZNS1_25segmented_radix_sort_implINS0_14default_configELb0EPKsPsPKlPlN2at6native12_GLOBAL__N_18offset_tEEE10hipError_tPvRmT1_PNSt15iterator_traitsISY_E10value_typeET2_T3_PNSZ_IS14_E10value_typeET4_jRbjT5_S1A_jjP12ihipStream_tbEUljE_EEESV_SW_SX_S14_S18_S1A_T6_T7_T9_mT8_S1C_bDpT10_ENKUlT_T0_E_clISt17integral_constantIbLb0EES1O_IbLb1EEEEDaS1K_S1L_EUlS1K_E_NS1_11comp_targetILNS1_3genE10ELNS1_11target_archE1200ELNS1_3gpuE4ELNS1_3repE0EEENS1_30default_config_static_selectorELNS0_4arch9wavefront6targetE1EEEvSY_.uses_flat_scratch, 0
	.set _ZN7rocprim17ROCPRIM_400000_NS6detail17trampoline_kernelINS0_13select_configILj256ELj13ELNS0_17block_load_methodE3ELS4_3ELS4_3ELNS0_20block_scan_algorithmE0ELj4294967295EEENS1_25partition_config_selectorILNS1_17partition_subalgoE3EjNS0_10empty_typeEbEEZZNS1_14partition_implILS8_3ELb0ES6_jNS0_17counting_iteratorIjlEEPS9_SE_NS0_5tupleIJPjSE_EEENSF_IJSE_SE_EEES9_SG_JZNS1_25segmented_radix_sort_implINS0_14default_configELb0EPKsPsPKlPlN2at6native12_GLOBAL__N_18offset_tEEE10hipError_tPvRmT1_PNSt15iterator_traitsISY_E10value_typeET2_T3_PNSZ_IS14_E10value_typeET4_jRbjT5_S1A_jjP12ihipStream_tbEUljE_EEESV_SW_SX_S14_S18_S1A_T6_T7_T9_mT8_S1C_bDpT10_ENKUlT_T0_E_clISt17integral_constantIbLb0EES1O_IbLb1EEEEDaS1K_S1L_EUlS1K_E_NS1_11comp_targetILNS1_3genE10ELNS1_11target_archE1200ELNS1_3gpuE4ELNS1_3repE0EEENS1_30default_config_static_selectorELNS0_4arch9wavefront6targetE1EEEvSY_.has_dyn_sized_stack, 0
	.set _ZN7rocprim17ROCPRIM_400000_NS6detail17trampoline_kernelINS0_13select_configILj256ELj13ELNS0_17block_load_methodE3ELS4_3ELS4_3ELNS0_20block_scan_algorithmE0ELj4294967295EEENS1_25partition_config_selectorILNS1_17partition_subalgoE3EjNS0_10empty_typeEbEEZZNS1_14partition_implILS8_3ELb0ES6_jNS0_17counting_iteratorIjlEEPS9_SE_NS0_5tupleIJPjSE_EEENSF_IJSE_SE_EEES9_SG_JZNS1_25segmented_radix_sort_implINS0_14default_configELb0EPKsPsPKlPlN2at6native12_GLOBAL__N_18offset_tEEE10hipError_tPvRmT1_PNSt15iterator_traitsISY_E10value_typeET2_T3_PNSZ_IS14_E10value_typeET4_jRbjT5_S1A_jjP12ihipStream_tbEUljE_EEESV_SW_SX_S14_S18_S1A_T6_T7_T9_mT8_S1C_bDpT10_ENKUlT_T0_E_clISt17integral_constantIbLb0EES1O_IbLb1EEEEDaS1K_S1L_EUlS1K_E_NS1_11comp_targetILNS1_3genE10ELNS1_11target_archE1200ELNS1_3gpuE4ELNS1_3repE0EEENS1_30default_config_static_selectorELNS0_4arch9wavefront6targetE1EEEvSY_.has_recursion, 0
	.set _ZN7rocprim17ROCPRIM_400000_NS6detail17trampoline_kernelINS0_13select_configILj256ELj13ELNS0_17block_load_methodE3ELS4_3ELS4_3ELNS0_20block_scan_algorithmE0ELj4294967295EEENS1_25partition_config_selectorILNS1_17partition_subalgoE3EjNS0_10empty_typeEbEEZZNS1_14partition_implILS8_3ELb0ES6_jNS0_17counting_iteratorIjlEEPS9_SE_NS0_5tupleIJPjSE_EEENSF_IJSE_SE_EEES9_SG_JZNS1_25segmented_radix_sort_implINS0_14default_configELb0EPKsPsPKlPlN2at6native12_GLOBAL__N_18offset_tEEE10hipError_tPvRmT1_PNSt15iterator_traitsISY_E10value_typeET2_T3_PNSZ_IS14_E10value_typeET4_jRbjT5_S1A_jjP12ihipStream_tbEUljE_EEESV_SW_SX_S14_S18_S1A_T6_T7_T9_mT8_S1C_bDpT10_ENKUlT_T0_E_clISt17integral_constantIbLb0EES1O_IbLb1EEEEDaS1K_S1L_EUlS1K_E_NS1_11comp_targetILNS1_3genE10ELNS1_11target_archE1200ELNS1_3gpuE4ELNS1_3repE0EEENS1_30default_config_static_selectorELNS0_4arch9wavefront6targetE1EEEvSY_.has_indirect_call, 0
	.section	.AMDGPU.csdata,"",@progbits
; Kernel info:
; codeLenInByte = 0
; TotalNumSgprs: 4
; NumVgprs: 0
; ScratchSize: 0
; MemoryBound: 0
; FloatMode: 240
; IeeeMode: 1
; LDSByteSize: 0 bytes/workgroup (compile time only)
; SGPRBlocks: 0
; VGPRBlocks: 0
; NumSGPRsForWavesPerEU: 4
; NumVGPRsForWavesPerEU: 1
; Occupancy: 10
; WaveLimiterHint : 0
; COMPUTE_PGM_RSRC2:SCRATCH_EN: 0
; COMPUTE_PGM_RSRC2:USER_SGPR: 6
; COMPUTE_PGM_RSRC2:TRAP_HANDLER: 0
; COMPUTE_PGM_RSRC2:TGID_X_EN: 1
; COMPUTE_PGM_RSRC2:TGID_Y_EN: 0
; COMPUTE_PGM_RSRC2:TGID_Z_EN: 0
; COMPUTE_PGM_RSRC2:TIDIG_COMP_CNT: 0
	.section	.text._ZN7rocprim17ROCPRIM_400000_NS6detail17trampoline_kernelINS0_13select_configILj256ELj13ELNS0_17block_load_methodE3ELS4_3ELS4_3ELNS0_20block_scan_algorithmE0ELj4294967295EEENS1_25partition_config_selectorILNS1_17partition_subalgoE3EjNS0_10empty_typeEbEEZZNS1_14partition_implILS8_3ELb0ES6_jNS0_17counting_iteratorIjlEEPS9_SE_NS0_5tupleIJPjSE_EEENSF_IJSE_SE_EEES9_SG_JZNS1_25segmented_radix_sort_implINS0_14default_configELb0EPKsPsPKlPlN2at6native12_GLOBAL__N_18offset_tEEE10hipError_tPvRmT1_PNSt15iterator_traitsISY_E10value_typeET2_T3_PNSZ_IS14_E10value_typeET4_jRbjT5_S1A_jjP12ihipStream_tbEUljE_EEESV_SW_SX_S14_S18_S1A_T6_T7_T9_mT8_S1C_bDpT10_ENKUlT_T0_E_clISt17integral_constantIbLb0EES1O_IbLb1EEEEDaS1K_S1L_EUlS1K_E_NS1_11comp_targetILNS1_3genE9ELNS1_11target_archE1100ELNS1_3gpuE3ELNS1_3repE0EEENS1_30default_config_static_selectorELNS0_4arch9wavefront6targetE1EEEvSY_,"axG",@progbits,_ZN7rocprim17ROCPRIM_400000_NS6detail17trampoline_kernelINS0_13select_configILj256ELj13ELNS0_17block_load_methodE3ELS4_3ELS4_3ELNS0_20block_scan_algorithmE0ELj4294967295EEENS1_25partition_config_selectorILNS1_17partition_subalgoE3EjNS0_10empty_typeEbEEZZNS1_14partition_implILS8_3ELb0ES6_jNS0_17counting_iteratorIjlEEPS9_SE_NS0_5tupleIJPjSE_EEENSF_IJSE_SE_EEES9_SG_JZNS1_25segmented_radix_sort_implINS0_14default_configELb0EPKsPsPKlPlN2at6native12_GLOBAL__N_18offset_tEEE10hipError_tPvRmT1_PNSt15iterator_traitsISY_E10value_typeET2_T3_PNSZ_IS14_E10value_typeET4_jRbjT5_S1A_jjP12ihipStream_tbEUljE_EEESV_SW_SX_S14_S18_S1A_T6_T7_T9_mT8_S1C_bDpT10_ENKUlT_T0_E_clISt17integral_constantIbLb0EES1O_IbLb1EEEEDaS1K_S1L_EUlS1K_E_NS1_11comp_targetILNS1_3genE9ELNS1_11target_archE1100ELNS1_3gpuE3ELNS1_3repE0EEENS1_30default_config_static_selectorELNS0_4arch9wavefront6targetE1EEEvSY_,comdat
	.globl	_ZN7rocprim17ROCPRIM_400000_NS6detail17trampoline_kernelINS0_13select_configILj256ELj13ELNS0_17block_load_methodE3ELS4_3ELS4_3ELNS0_20block_scan_algorithmE0ELj4294967295EEENS1_25partition_config_selectorILNS1_17partition_subalgoE3EjNS0_10empty_typeEbEEZZNS1_14partition_implILS8_3ELb0ES6_jNS0_17counting_iteratorIjlEEPS9_SE_NS0_5tupleIJPjSE_EEENSF_IJSE_SE_EEES9_SG_JZNS1_25segmented_radix_sort_implINS0_14default_configELb0EPKsPsPKlPlN2at6native12_GLOBAL__N_18offset_tEEE10hipError_tPvRmT1_PNSt15iterator_traitsISY_E10value_typeET2_T3_PNSZ_IS14_E10value_typeET4_jRbjT5_S1A_jjP12ihipStream_tbEUljE_EEESV_SW_SX_S14_S18_S1A_T6_T7_T9_mT8_S1C_bDpT10_ENKUlT_T0_E_clISt17integral_constantIbLb0EES1O_IbLb1EEEEDaS1K_S1L_EUlS1K_E_NS1_11comp_targetILNS1_3genE9ELNS1_11target_archE1100ELNS1_3gpuE3ELNS1_3repE0EEENS1_30default_config_static_selectorELNS0_4arch9wavefront6targetE1EEEvSY_ ; -- Begin function _ZN7rocprim17ROCPRIM_400000_NS6detail17trampoline_kernelINS0_13select_configILj256ELj13ELNS0_17block_load_methodE3ELS4_3ELS4_3ELNS0_20block_scan_algorithmE0ELj4294967295EEENS1_25partition_config_selectorILNS1_17partition_subalgoE3EjNS0_10empty_typeEbEEZZNS1_14partition_implILS8_3ELb0ES6_jNS0_17counting_iteratorIjlEEPS9_SE_NS0_5tupleIJPjSE_EEENSF_IJSE_SE_EEES9_SG_JZNS1_25segmented_radix_sort_implINS0_14default_configELb0EPKsPsPKlPlN2at6native12_GLOBAL__N_18offset_tEEE10hipError_tPvRmT1_PNSt15iterator_traitsISY_E10value_typeET2_T3_PNSZ_IS14_E10value_typeET4_jRbjT5_S1A_jjP12ihipStream_tbEUljE_EEESV_SW_SX_S14_S18_S1A_T6_T7_T9_mT8_S1C_bDpT10_ENKUlT_T0_E_clISt17integral_constantIbLb0EES1O_IbLb1EEEEDaS1K_S1L_EUlS1K_E_NS1_11comp_targetILNS1_3genE9ELNS1_11target_archE1100ELNS1_3gpuE3ELNS1_3repE0EEENS1_30default_config_static_selectorELNS0_4arch9wavefront6targetE1EEEvSY_
	.p2align	8
	.type	_ZN7rocprim17ROCPRIM_400000_NS6detail17trampoline_kernelINS0_13select_configILj256ELj13ELNS0_17block_load_methodE3ELS4_3ELS4_3ELNS0_20block_scan_algorithmE0ELj4294967295EEENS1_25partition_config_selectorILNS1_17partition_subalgoE3EjNS0_10empty_typeEbEEZZNS1_14partition_implILS8_3ELb0ES6_jNS0_17counting_iteratorIjlEEPS9_SE_NS0_5tupleIJPjSE_EEENSF_IJSE_SE_EEES9_SG_JZNS1_25segmented_radix_sort_implINS0_14default_configELb0EPKsPsPKlPlN2at6native12_GLOBAL__N_18offset_tEEE10hipError_tPvRmT1_PNSt15iterator_traitsISY_E10value_typeET2_T3_PNSZ_IS14_E10value_typeET4_jRbjT5_S1A_jjP12ihipStream_tbEUljE_EEESV_SW_SX_S14_S18_S1A_T6_T7_T9_mT8_S1C_bDpT10_ENKUlT_T0_E_clISt17integral_constantIbLb0EES1O_IbLb1EEEEDaS1K_S1L_EUlS1K_E_NS1_11comp_targetILNS1_3genE9ELNS1_11target_archE1100ELNS1_3gpuE3ELNS1_3repE0EEENS1_30default_config_static_selectorELNS0_4arch9wavefront6targetE1EEEvSY_,@function
_ZN7rocprim17ROCPRIM_400000_NS6detail17trampoline_kernelINS0_13select_configILj256ELj13ELNS0_17block_load_methodE3ELS4_3ELS4_3ELNS0_20block_scan_algorithmE0ELj4294967295EEENS1_25partition_config_selectorILNS1_17partition_subalgoE3EjNS0_10empty_typeEbEEZZNS1_14partition_implILS8_3ELb0ES6_jNS0_17counting_iteratorIjlEEPS9_SE_NS0_5tupleIJPjSE_EEENSF_IJSE_SE_EEES9_SG_JZNS1_25segmented_radix_sort_implINS0_14default_configELb0EPKsPsPKlPlN2at6native12_GLOBAL__N_18offset_tEEE10hipError_tPvRmT1_PNSt15iterator_traitsISY_E10value_typeET2_T3_PNSZ_IS14_E10value_typeET4_jRbjT5_S1A_jjP12ihipStream_tbEUljE_EEESV_SW_SX_S14_S18_S1A_T6_T7_T9_mT8_S1C_bDpT10_ENKUlT_T0_E_clISt17integral_constantIbLb0EES1O_IbLb1EEEEDaS1K_S1L_EUlS1K_E_NS1_11comp_targetILNS1_3genE9ELNS1_11target_archE1100ELNS1_3gpuE3ELNS1_3repE0EEENS1_30default_config_static_selectorELNS0_4arch9wavefront6targetE1EEEvSY_: ; @_ZN7rocprim17ROCPRIM_400000_NS6detail17trampoline_kernelINS0_13select_configILj256ELj13ELNS0_17block_load_methodE3ELS4_3ELS4_3ELNS0_20block_scan_algorithmE0ELj4294967295EEENS1_25partition_config_selectorILNS1_17partition_subalgoE3EjNS0_10empty_typeEbEEZZNS1_14partition_implILS8_3ELb0ES6_jNS0_17counting_iteratorIjlEEPS9_SE_NS0_5tupleIJPjSE_EEENSF_IJSE_SE_EEES9_SG_JZNS1_25segmented_radix_sort_implINS0_14default_configELb0EPKsPsPKlPlN2at6native12_GLOBAL__N_18offset_tEEE10hipError_tPvRmT1_PNSt15iterator_traitsISY_E10value_typeET2_T3_PNSZ_IS14_E10value_typeET4_jRbjT5_S1A_jjP12ihipStream_tbEUljE_EEESV_SW_SX_S14_S18_S1A_T6_T7_T9_mT8_S1C_bDpT10_ENKUlT_T0_E_clISt17integral_constantIbLb0EES1O_IbLb1EEEEDaS1K_S1L_EUlS1K_E_NS1_11comp_targetILNS1_3genE9ELNS1_11target_archE1100ELNS1_3gpuE3ELNS1_3repE0EEENS1_30default_config_static_selectorELNS0_4arch9wavefront6targetE1EEEvSY_
; %bb.0:
	.section	.rodata,"a",@progbits
	.p2align	6, 0x0
	.amdhsa_kernel _ZN7rocprim17ROCPRIM_400000_NS6detail17trampoline_kernelINS0_13select_configILj256ELj13ELNS0_17block_load_methodE3ELS4_3ELS4_3ELNS0_20block_scan_algorithmE0ELj4294967295EEENS1_25partition_config_selectorILNS1_17partition_subalgoE3EjNS0_10empty_typeEbEEZZNS1_14partition_implILS8_3ELb0ES6_jNS0_17counting_iteratorIjlEEPS9_SE_NS0_5tupleIJPjSE_EEENSF_IJSE_SE_EEES9_SG_JZNS1_25segmented_radix_sort_implINS0_14default_configELb0EPKsPsPKlPlN2at6native12_GLOBAL__N_18offset_tEEE10hipError_tPvRmT1_PNSt15iterator_traitsISY_E10value_typeET2_T3_PNSZ_IS14_E10value_typeET4_jRbjT5_S1A_jjP12ihipStream_tbEUljE_EEESV_SW_SX_S14_S18_S1A_T6_T7_T9_mT8_S1C_bDpT10_ENKUlT_T0_E_clISt17integral_constantIbLb0EES1O_IbLb1EEEEDaS1K_S1L_EUlS1K_E_NS1_11comp_targetILNS1_3genE9ELNS1_11target_archE1100ELNS1_3gpuE3ELNS1_3repE0EEENS1_30default_config_static_selectorELNS0_4arch9wavefront6targetE1EEEvSY_
		.amdhsa_group_segment_fixed_size 0
		.amdhsa_private_segment_fixed_size 0
		.amdhsa_kernarg_size 152
		.amdhsa_user_sgpr_count 6
		.amdhsa_user_sgpr_private_segment_buffer 1
		.amdhsa_user_sgpr_dispatch_ptr 0
		.amdhsa_user_sgpr_queue_ptr 0
		.amdhsa_user_sgpr_kernarg_segment_ptr 1
		.amdhsa_user_sgpr_dispatch_id 0
		.amdhsa_user_sgpr_flat_scratch_init 0
		.amdhsa_user_sgpr_private_segment_size 0
		.amdhsa_uses_dynamic_stack 0
		.amdhsa_system_sgpr_private_segment_wavefront_offset 0
		.amdhsa_system_sgpr_workgroup_id_x 1
		.amdhsa_system_sgpr_workgroup_id_y 0
		.amdhsa_system_sgpr_workgroup_id_z 0
		.amdhsa_system_sgpr_workgroup_info 0
		.amdhsa_system_vgpr_workitem_id 0
		.amdhsa_next_free_vgpr 1
		.amdhsa_next_free_sgpr 0
		.amdhsa_reserve_vcc 0
		.amdhsa_reserve_flat_scratch 0
		.amdhsa_float_round_mode_32 0
		.amdhsa_float_round_mode_16_64 0
		.amdhsa_float_denorm_mode_32 3
		.amdhsa_float_denorm_mode_16_64 3
		.amdhsa_dx10_clamp 1
		.amdhsa_ieee_mode 1
		.amdhsa_fp16_overflow 0
		.amdhsa_exception_fp_ieee_invalid_op 0
		.amdhsa_exception_fp_denorm_src 0
		.amdhsa_exception_fp_ieee_div_zero 0
		.amdhsa_exception_fp_ieee_overflow 0
		.amdhsa_exception_fp_ieee_underflow 0
		.amdhsa_exception_fp_ieee_inexact 0
		.amdhsa_exception_int_div_zero 0
	.end_amdhsa_kernel
	.section	.text._ZN7rocprim17ROCPRIM_400000_NS6detail17trampoline_kernelINS0_13select_configILj256ELj13ELNS0_17block_load_methodE3ELS4_3ELS4_3ELNS0_20block_scan_algorithmE0ELj4294967295EEENS1_25partition_config_selectorILNS1_17partition_subalgoE3EjNS0_10empty_typeEbEEZZNS1_14partition_implILS8_3ELb0ES6_jNS0_17counting_iteratorIjlEEPS9_SE_NS0_5tupleIJPjSE_EEENSF_IJSE_SE_EEES9_SG_JZNS1_25segmented_radix_sort_implINS0_14default_configELb0EPKsPsPKlPlN2at6native12_GLOBAL__N_18offset_tEEE10hipError_tPvRmT1_PNSt15iterator_traitsISY_E10value_typeET2_T3_PNSZ_IS14_E10value_typeET4_jRbjT5_S1A_jjP12ihipStream_tbEUljE_EEESV_SW_SX_S14_S18_S1A_T6_T7_T9_mT8_S1C_bDpT10_ENKUlT_T0_E_clISt17integral_constantIbLb0EES1O_IbLb1EEEEDaS1K_S1L_EUlS1K_E_NS1_11comp_targetILNS1_3genE9ELNS1_11target_archE1100ELNS1_3gpuE3ELNS1_3repE0EEENS1_30default_config_static_selectorELNS0_4arch9wavefront6targetE1EEEvSY_,"axG",@progbits,_ZN7rocprim17ROCPRIM_400000_NS6detail17trampoline_kernelINS0_13select_configILj256ELj13ELNS0_17block_load_methodE3ELS4_3ELS4_3ELNS0_20block_scan_algorithmE0ELj4294967295EEENS1_25partition_config_selectorILNS1_17partition_subalgoE3EjNS0_10empty_typeEbEEZZNS1_14partition_implILS8_3ELb0ES6_jNS0_17counting_iteratorIjlEEPS9_SE_NS0_5tupleIJPjSE_EEENSF_IJSE_SE_EEES9_SG_JZNS1_25segmented_radix_sort_implINS0_14default_configELb0EPKsPsPKlPlN2at6native12_GLOBAL__N_18offset_tEEE10hipError_tPvRmT1_PNSt15iterator_traitsISY_E10value_typeET2_T3_PNSZ_IS14_E10value_typeET4_jRbjT5_S1A_jjP12ihipStream_tbEUljE_EEESV_SW_SX_S14_S18_S1A_T6_T7_T9_mT8_S1C_bDpT10_ENKUlT_T0_E_clISt17integral_constantIbLb0EES1O_IbLb1EEEEDaS1K_S1L_EUlS1K_E_NS1_11comp_targetILNS1_3genE9ELNS1_11target_archE1100ELNS1_3gpuE3ELNS1_3repE0EEENS1_30default_config_static_selectorELNS0_4arch9wavefront6targetE1EEEvSY_,comdat
.Lfunc_end1012:
	.size	_ZN7rocprim17ROCPRIM_400000_NS6detail17trampoline_kernelINS0_13select_configILj256ELj13ELNS0_17block_load_methodE3ELS4_3ELS4_3ELNS0_20block_scan_algorithmE0ELj4294967295EEENS1_25partition_config_selectorILNS1_17partition_subalgoE3EjNS0_10empty_typeEbEEZZNS1_14partition_implILS8_3ELb0ES6_jNS0_17counting_iteratorIjlEEPS9_SE_NS0_5tupleIJPjSE_EEENSF_IJSE_SE_EEES9_SG_JZNS1_25segmented_radix_sort_implINS0_14default_configELb0EPKsPsPKlPlN2at6native12_GLOBAL__N_18offset_tEEE10hipError_tPvRmT1_PNSt15iterator_traitsISY_E10value_typeET2_T3_PNSZ_IS14_E10value_typeET4_jRbjT5_S1A_jjP12ihipStream_tbEUljE_EEESV_SW_SX_S14_S18_S1A_T6_T7_T9_mT8_S1C_bDpT10_ENKUlT_T0_E_clISt17integral_constantIbLb0EES1O_IbLb1EEEEDaS1K_S1L_EUlS1K_E_NS1_11comp_targetILNS1_3genE9ELNS1_11target_archE1100ELNS1_3gpuE3ELNS1_3repE0EEENS1_30default_config_static_selectorELNS0_4arch9wavefront6targetE1EEEvSY_, .Lfunc_end1012-_ZN7rocprim17ROCPRIM_400000_NS6detail17trampoline_kernelINS0_13select_configILj256ELj13ELNS0_17block_load_methodE3ELS4_3ELS4_3ELNS0_20block_scan_algorithmE0ELj4294967295EEENS1_25partition_config_selectorILNS1_17partition_subalgoE3EjNS0_10empty_typeEbEEZZNS1_14partition_implILS8_3ELb0ES6_jNS0_17counting_iteratorIjlEEPS9_SE_NS0_5tupleIJPjSE_EEENSF_IJSE_SE_EEES9_SG_JZNS1_25segmented_radix_sort_implINS0_14default_configELb0EPKsPsPKlPlN2at6native12_GLOBAL__N_18offset_tEEE10hipError_tPvRmT1_PNSt15iterator_traitsISY_E10value_typeET2_T3_PNSZ_IS14_E10value_typeET4_jRbjT5_S1A_jjP12ihipStream_tbEUljE_EEESV_SW_SX_S14_S18_S1A_T6_T7_T9_mT8_S1C_bDpT10_ENKUlT_T0_E_clISt17integral_constantIbLb0EES1O_IbLb1EEEEDaS1K_S1L_EUlS1K_E_NS1_11comp_targetILNS1_3genE9ELNS1_11target_archE1100ELNS1_3gpuE3ELNS1_3repE0EEENS1_30default_config_static_selectorELNS0_4arch9wavefront6targetE1EEEvSY_
                                        ; -- End function
	.set _ZN7rocprim17ROCPRIM_400000_NS6detail17trampoline_kernelINS0_13select_configILj256ELj13ELNS0_17block_load_methodE3ELS4_3ELS4_3ELNS0_20block_scan_algorithmE0ELj4294967295EEENS1_25partition_config_selectorILNS1_17partition_subalgoE3EjNS0_10empty_typeEbEEZZNS1_14partition_implILS8_3ELb0ES6_jNS0_17counting_iteratorIjlEEPS9_SE_NS0_5tupleIJPjSE_EEENSF_IJSE_SE_EEES9_SG_JZNS1_25segmented_radix_sort_implINS0_14default_configELb0EPKsPsPKlPlN2at6native12_GLOBAL__N_18offset_tEEE10hipError_tPvRmT1_PNSt15iterator_traitsISY_E10value_typeET2_T3_PNSZ_IS14_E10value_typeET4_jRbjT5_S1A_jjP12ihipStream_tbEUljE_EEESV_SW_SX_S14_S18_S1A_T6_T7_T9_mT8_S1C_bDpT10_ENKUlT_T0_E_clISt17integral_constantIbLb0EES1O_IbLb1EEEEDaS1K_S1L_EUlS1K_E_NS1_11comp_targetILNS1_3genE9ELNS1_11target_archE1100ELNS1_3gpuE3ELNS1_3repE0EEENS1_30default_config_static_selectorELNS0_4arch9wavefront6targetE1EEEvSY_.num_vgpr, 0
	.set _ZN7rocprim17ROCPRIM_400000_NS6detail17trampoline_kernelINS0_13select_configILj256ELj13ELNS0_17block_load_methodE3ELS4_3ELS4_3ELNS0_20block_scan_algorithmE0ELj4294967295EEENS1_25partition_config_selectorILNS1_17partition_subalgoE3EjNS0_10empty_typeEbEEZZNS1_14partition_implILS8_3ELb0ES6_jNS0_17counting_iteratorIjlEEPS9_SE_NS0_5tupleIJPjSE_EEENSF_IJSE_SE_EEES9_SG_JZNS1_25segmented_radix_sort_implINS0_14default_configELb0EPKsPsPKlPlN2at6native12_GLOBAL__N_18offset_tEEE10hipError_tPvRmT1_PNSt15iterator_traitsISY_E10value_typeET2_T3_PNSZ_IS14_E10value_typeET4_jRbjT5_S1A_jjP12ihipStream_tbEUljE_EEESV_SW_SX_S14_S18_S1A_T6_T7_T9_mT8_S1C_bDpT10_ENKUlT_T0_E_clISt17integral_constantIbLb0EES1O_IbLb1EEEEDaS1K_S1L_EUlS1K_E_NS1_11comp_targetILNS1_3genE9ELNS1_11target_archE1100ELNS1_3gpuE3ELNS1_3repE0EEENS1_30default_config_static_selectorELNS0_4arch9wavefront6targetE1EEEvSY_.num_agpr, 0
	.set _ZN7rocprim17ROCPRIM_400000_NS6detail17trampoline_kernelINS0_13select_configILj256ELj13ELNS0_17block_load_methodE3ELS4_3ELS4_3ELNS0_20block_scan_algorithmE0ELj4294967295EEENS1_25partition_config_selectorILNS1_17partition_subalgoE3EjNS0_10empty_typeEbEEZZNS1_14partition_implILS8_3ELb0ES6_jNS0_17counting_iteratorIjlEEPS9_SE_NS0_5tupleIJPjSE_EEENSF_IJSE_SE_EEES9_SG_JZNS1_25segmented_radix_sort_implINS0_14default_configELb0EPKsPsPKlPlN2at6native12_GLOBAL__N_18offset_tEEE10hipError_tPvRmT1_PNSt15iterator_traitsISY_E10value_typeET2_T3_PNSZ_IS14_E10value_typeET4_jRbjT5_S1A_jjP12ihipStream_tbEUljE_EEESV_SW_SX_S14_S18_S1A_T6_T7_T9_mT8_S1C_bDpT10_ENKUlT_T0_E_clISt17integral_constantIbLb0EES1O_IbLb1EEEEDaS1K_S1L_EUlS1K_E_NS1_11comp_targetILNS1_3genE9ELNS1_11target_archE1100ELNS1_3gpuE3ELNS1_3repE0EEENS1_30default_config_static_selectorELNS0_4arch9wavefront6targetE1EEEvSY_.numbered_sgpr, 0
	.set _ZN7rocprim17ROCPRIM_400000_NS6detail17trampoline_kernelINS0_13select_configILj256ELj13ELNS0_17block_load_methodE3ELS4_3ELS4_3ELNS0_20block_scan_algorithmE0ELj4294967295EEENS1_25partition_config_selectorILNS1_17partition_subalgoE3EjNS0_10empty_typeEbEEZZNS1_14partition_implILS8_3ELb0ES6_jNS0_17counting_iteratorIjlEEPS9_SE_NS0_5tupleIJPjSE_EEENSF_IJSE_SE_EEES9_SG_JZNS1_25segmented_radix_sort_implINS0_14default_configELb0EPKsPsPKlPlN2at6native12_GLOBAL__N_18offset_tEEE10hipError_tPvRmT1_PNSt15iterator_traitsISY_E10value_typeET2_T3_PNSZ_IS14_E10value_typeET4_jRbjT5_S1A_jjP12ihipStream_tbEUljE_EEESV_SW_SX_S14_S18_S1A_T6_T7_T9_mT8_S1C_bDpT10_ENKUlT_T0_E_clISt17integral_constantIbLb0EES1O_IbLb1EEEEDaS1K_S1L_EUlS1K_E_NS1_11comp_targetILNS1_3genE9ELNS1_11target_archE1100ELNS1_3gpuE3ELNS1_3repE0EEENS1_30default_config_static_selectorELNS0_4arch9wavefront6targetE1EEEvSY_.num_named_barrier, 0
	.set _ZN7rocprim17ROCPRIM_400000_NS6detail17trampoline_kernelINS0_13select_configILj256ELj13ELNS0_17block_load_methodE3ELS4_3ELS4_3ELNS0_20block_scan_algorithmE0ELj4294967295EEENS1_25partition_config_selectorILNS1_17partition_subalgoE3EjNS0_10empty_typeEbEEZZNS1_14partition_implILS8_3ELb0ES6_jNS0_17counting_iteratorIjlEEPS9_SE_NS0_5tupleIJPjSE_EEENSF_IJSE_SE_EEES9_SG_JZNS1_25segmented_radix_sort_implINS0_14default_configELb0EPKsPsPKlPlN2at6native12_GLOBAL__N_18offset_tEEE10hipError_tPvRmT1_PNSt15iterator_traitsISY_E10value_typeET2_T3_PNSZ_IS14_E10value_typeET4_jRbjT5_S1A_jjP12ihipStream_tbEUljE_EEESV_SW_SX_S14_S18_S1A_T6_T7_T9_mT8_S1C_bDpT10_ENKUlT_T0_E_clISt17integral_constantIbLb0EES1O_IbLb1EEEEDaS1K_S1L_EUlS1K_E_NS1_11comp_targetILNS1_3genE9ELNS1_11target_archE1100ELNS1_3gpuE3ELNS1_3repE0EEENS1_30default_config_static_selectorELNS0_4arch9wavefront6targetE1EEEvSY_.private_seg_size, 0
	.set _ZN7rocprim17ROCPRIM_400000_NS6detail17trampoline_kernelINS0_13select_configILj256ELj13ELNS0_17block_load_methodE3ELS4_3ELS4_3ELNS0_20block_scan_algorithmE0ELj4294967295EEENS1_25partition_config_selectorILNS1_17partition_subalgoE3EjNS0_10empty_typeEbEEZZNS1_14partition_implILS8_3ELb0ES6_jNS0_17counting_iteratorIjlEEPS9_SE_NS0_5tupleIJPjSE_EEENSF_IJSE_SE_EEES9_SG_JZNS1_25segmented_radix_sort_implINS0_14default_configELb0EPKsPsPKlPlN2at6native12_GLOBAL__N_18offset_tEEE10hipError_tPvRmT1_PNSt15iterator_traitsISY_E10value_typeET2_T3_PNSZ_IS14_E10value_typeET4_jRbjT5_S1A_jjP12ihipStream_tbEUljE_EEESV_SW_SX_S14_S18_S1A_T6_T7_T9_mT8_S1C_bDpT10_ENKUlT_T0_E_clISt17integral_constantIbLb0EES1O_IbLb1EEEEDaS1K_S1L_EUlS1K_E_NS1_11comp_targetILNS1_3genE9ELNS1_11target_archE1100ELNS1_3gpuE3ELNS1_3repE0EEENS1_30default_config_static_selectorELNS0_4arch9wavefront6targetE1EEEvSY_.uses_vcc, 0
	.set _ZN7rocprim17ROCPRIM_400000_NS6detail17trampoline_kernelINS0_13select_configILj256ELj13ELNS0_17block_load_methodE3ELS4_3ELS4_3ELNS0_20block_scan_algorithmE0ELj4294967295EEENS1_25partition_config_selectorILNS1_17partition_subalgoE3EjNS0_10empty_typeEbEEZZNS1_14partition_implILS8_3ELb0ES6_jNS0_17counting_iteratorIjlEEPS9_SE_NS0_5tupleIJPjSE_EEENSF_IJSE_SE_EEES9_SG_JZNS1_25segmented_radix_sort_implINS0_14default_configELb0EPKsPsPKlPlN2at6native12_GLOBAL__N_18offset_tEEE10hipError_tPvRmT1_PNSt15iterator_traitsISY_E10value_typeET2_T3_PNSZ_IS14_E10value_typeET4_jRbjT5_S1A_jjP12ihipStream_tbEUljE_EEESV_SW_SX_S14_S18_S1A_T6_T7_T9_mT8_S1C_bDpT10_ENKUlT_T0_E_clISt17integral_constantIbLb0EES1O_IbLb1EEEEDaS1K_S1L_EUlS1K_E_NS1_11comp_targetILNS1_3genE9ELNS1_11target_archE1100ELNS1_3gpuE3ELNS1_3repE0EEENS1_30default_config_static_selectorELNS0_4arch9wavefront6targetE1EEEvSY_.uses_flat_scratch, 0
	.set _ZN7rocprim17ROCPRIM_400000_NS6detail17trampoline_kernelINS0_13select_configILj256ELj13ELNS0_17block_load_methodE3ELS4_3ELS4_3ELNS0_20block_scan_algorithmE0ELj4294967295EEENS1_25partition_config_selectorILNS1_17partition_subalgoE3EjNS0_10empty_typeEbEEZZNS1_14partition_implILS8_3ELb0ES6_jNS0_17counting_iteratorIjlEEPS9_SE_NS0_5tupleIJPjSE_EEENSF_IJSE_SE_EEES9_SG_JZNS1_25segmented_radix_sort_implINS0_14default_configELb0EPKsPsPKlPlN2at6native12_GLOBAL__N_18offset_tEEE10hipError_tPvRmT1_PNSt15iterator_traitsISY_E10value_typeET2_T3_PNSZ_IS14_E10value_typeET4_jRbjT5_S1A_jjP12ihipStream_tbEUljE_EEESV_SW_SX_S14_S18_S1A_T6_T7_T9_mT8_S1C_bDpT10_ENKUlT_T0_E_clISt17integral_constantIbLb0EES1O_IbLb1EEEEDaS1K_S1L_EUlS1K_E_NS1_11comp_targetILNS1_3genE9ELNS1_11target_archE1100ELNS1_3gpuE3ELNS1_3repE0EEENS1_30default_config_static_selectorELNS0_4arch9wavefront6targetE1EEEvSY_.has_dyn_sized_stack, 0
	.set _ZN7rocprim17ROCPRIM_400000_NS6detail17trampoline_kernelINS0_13select_configILj256ELj13ELNS0_17block_load_methodE3ELS4_3ELS4_3ELNS0_20block_scan_algorithmE0ELj4294967295EEENS1_25partition_config_selectorILNS1_17partition_subalgoE3EjNS0_10empty_typeEbEEZZNS1_14partition_implILS8_3ELb0ES6_jNS0_17counting_iteratorIjlEEPS9_SE_NS0_5tupleIJPjSE_EEENSF_IJSE_SE_EEES9_SG_JZNS1_25segmented_radix_sort_implINS0_14default_configELb0EPKsPsPKlPlN2at6native12_GLOBAL__N_18offset_tEEE10hipError_tPvRmT1_PNSt15iterator_traitsISY_E10value_typeET2_T3_PNSZ_IS14_E10value_typeET4_jRbjT5_S1A_jjP12ihipStream_tbEUljE_EEESV_SW_SX_S14_S18_S1A_T6_T7_T9_mT8_S1C_bDpT10_ENKUlT_T0_E_clISt17integral_constantIbLb0EES1O_IbLb1EEEEDaS1K_S1L_EUlS1K_E_NS1_11comp_targetILNS1_3genE9ELNS1_11target_archE1100ELNS1_3gpuE3ELNS1_3repE0EEENS1_30default_config_static_selectorELNS0_4arch9wavefront6targetE1EEEvSY_.has_recursion, 0
	.set _ZN7rocprim17ROCPRIM_400000_NS6detail17trampoline_kernelINS0_13select_configILj256ELj13ELNS0_17block_load_methodE3ELS4_3ELS4_3ELNS0_20block_scan_algorithmE0ELj4294967295EEENS1_25partition_config_selectorILNS1_17partition_subalgoE3EjNS0_10empty_typeEbEEZZNS1_14partition_implILS8_3ELb0ES6_jNS0_17counting_iteratorIjlEEPS9_SE_NS0_5tupleIJPjSE_EEENSF_IJSE_SE_EEES9_SG_JZNS1_25segmented_radix_sort_implINS0_14default_configELb0EPKsPsPKlPlN2at6native12_GLOBAL__N_18offset_tEEE10hipError_tPvRmT1_PNSt15iterator_traitsISY_E10value_typeET2_T3_PNSZ_IS14_E10value_typeET4_jRbjT5_S1A_jjP12ihipStream_tbEUljE_EEESV_SW_SX_S14_S18_S1A_T6_T7_T9_mT8_S1C_bDpT10_ENKUlT_T0_E_clISt17integral_constantIbLb0EES1O_IbLb1EEEEDaS1K_S1L_EUlS1K_E_NS1_11comp_targetILNS1_3genE9ELNS1_11target_archE1100ELNS1_3gpuE3ELNS1_3repE0EEENS1_30default_config_static_selectorELNS0_4arch9wavefront6targetE1EEEvSY_.has_indirect_call, 0
	.section	.AMDGPU.csdata,"",@progbits
; Kernel info:
; codeLenInByte = 0
; TotalNumSgprs: 4
; NumVgprs: 0
; ScratchSize: 0
; MemoryBound: 0
; FloatMode: 240
; IeeeMode: 1
; LDSByteSize: 0 bytes/workgroup (compile time only)
; SGPRBlocks: 0
; VGPRBlocks: 0
; NumSGPRsForWavesPerEU: 4
; NumVGPRsForWavesPerEU: 1
; Occupancy: 10
; WaveLimiterHint : 0
; COMPUTE_PGM_RSRC2:SCRATCH_EN: 0
; COMPUTE_PGM_RSRC2:USER_SGPR: 6
; COMPUTE_PGM_RSRC2:TRAP_HANDLER: 0
; COMPUTE_PGM_RSRC2:TGID_X_EN: 1
; COMPUTE_PGM_RSRC2:TGID_Y_EN: 0
; COMPUTE_PGM_RSRC2:TGID_Z_EN: 0
; COMPUTE_PGM_RSRC2:TIDIG_COMP_CNT: 0
	.section	.text._ZN7rocprim17ROCPRIM_400000_NS6detail17trampoline_kernelINS0_13select_configILj256ELj13ELNS0_17block_load_methodE3ELS4_3ELS4_3ELNS0_20block_scan_algorithmE0ELj4294967295EEENS1_25partition_config_selectorILNS1_17partition_subalgoE3EjNS0_10empty_typeEbEEZZNS1_14partition_implILS8_3ELb0ES6_jNS0_17counting_iteratorIjlEEPS9_SE_NS0_5tupleIJPjSE_EEENSF_IJSE_SE_EEES9_SG_JZNS1_25segmented_radix_sort_implINS0_14default_configELb0EPKsPsPKlPlN2at6native12_GLOBAL__N_18offset_tEEE10hipError_tPvRmT1_PNSt15iterator_traitsISY_E10value_typeET2_T3_PNSZ_IS14_E10value_typeET4_jRbjT5_S1A_jjP12ihipStream_tbEUljE_EEESV_SW_SX_S14_S18_S1A_T6_T7_T9_mT8_S1C_bDpT10_ENKUlT_T0_E_clISt17integral_constantIbLb0EES1O_IbLb1EEEEDaS1K_S1L_EUlS1K_E_NS1_11comp_targetILNS1_3genE8ELNS1_11target_archE1030ELNS1_3gpuE2ELNS1_3repE0EEENS1_30default_config_static_selectorELNS0_4arch9wavefront6targetE1EEEvSY_,"axG",@progbits,_ZN7rocprim17ROCPRIM_400000_NS6detail17trampoline_kernelINS0_13select_configILj256ELj13ELNS0_17block_load_methodE3ELS4_3ELS4_3ELNS0_20block_scan_algorithmE0ELj4294967295EEENS1_25partition_config_selectorILNS1_17partition_subalgoE3EjNS0_10empty_typeEbEEZZNS1_14partition_implILS8_3ELb0ES6_jNS0_17counting_iteratorIjlEEPS9_SE_NS0_5tupleIJPjSE_EEENSF_IJSE_SE_EEES9_SG_JZNS1_25segmented_radix_sort_implINS0_14default_configELb0EPKsPsPKlPlN2at6native12_GLOBAL__N_18offset_tEEE10hipError_tPvRmT1_PNSt15iterator_traitsISY_E10value_typeET2_T3_PNSZ_IS14_E10value_typeET4_jRbjT5_S1A_jjP12ihipStream_tbEUljE_EEESV_SW_SX_S14_S18_S1A_T6_T7_T9_mT8_S1C_bDpT10_ENKUlT_T0_E_clISt17integral_constantIbLb0EES1O_IbLb1EEEEDaS1K_S1L_EUlS1K_E_NS1_11comp_targetILNS1_3genE8ELNS1_11target_archE1030ELNS1_3gpuE2ELNS1_3repE0EEENS1_30default_config_static_selectorELNS0_4arch9wavefront6targetE1EEEvSY_,comdat
	.globl	_ZN7rocprim17ROCPRIM_400000_NS6detail17trampoline_kernelINS0_13select_configILj256ELj13ELNS0_17block_load_methodE3ELS4_3ELS4_3ELNS0_20block_scan_algorithmE0ELj4294967295EEENS1_25partition_config_selectorILNS1_17partition_subalgoE3EjNS0_10empty_typeEbEEZZNS1_14partition_implILS8_3ELb0ES6_jNS0_17counting_iteratorIjlEEPS9_SE_NS0_5tupleIJPjSE_EEENSF_IJSE_SE_EEES9_SG_JZNS1_25segmented_radix_sort_implINS0_14default_configELb0EPKsPsPKlPlN2at6native12_GLOBAL__N_18offset_tEEE10hipError_tPvRmT1_PNSt15iterator_traitsISY_E10value_typeET2_T3_PNSZ_IS14_E10value_typeET4_jRbjT5_S1A_jjP12ihipStream_tbEUljE_EEESV_SW_SX_S14_S18_S1A_T6_T7_T9_mT8_S1C_bDpT10_ENKUlT_T0_E_clISt17integral_constantIbLb0EES1O_IbLb1EEEEDaS1K_S1L_EUlS1K_E_NS1_11comp_targetILNS1_3genE8ELNS1_11target_archE1030ELNS1_3gpuE2ELNS1_3repE0EEENS1_30default_config_static_selectorELNS0_4arch9wavefront6targetE1EEEvSY_ ; -- Begin function _ZN7rocprim17ROCPRIM_400000_NS6detail17trampoline_kernelINS0_13select_configILj256ELj13ELNS0_17block_load_methodE3ELS4_3ELS4_3ELNS0_20block_scan_algorithmE0ELj4294967295EEENS1_25partition_config_selectorILNS1_17partition_subalgoE3EjNS0_10empty_typeEbEEZZNS1_14partition_implILS8_3ELb0ES6_jNS0_17counting_iteratorIjlEEPS9_SE_NS0_5tupleIJPjSE_EEENSF_IJSE_SE_EEES9_SG_JZNS1_25segmented_radix_sort_implINS0_14default_configELb0EPKsPsPKlPlN2at6native12_GLOBAL__N_18offset_tEEE10hipError_tPvRmT1_PNSt15iterator_traitsISY_E10value_typeET2_T3_PNSZ_IS14_E10value_typeET4_jRbjT5_S1A_jjP12ihipStream_tbEUljE_EEESV_SW_SX_S14_S18_S1A_T6_T7_T9_mT8_S1C_bDpT10_ENKUlT_T0_E_clISt17integral_constantIbLb0EES1O_IbLb1EEEEDaS1K_S1L_EUlS1K_E_NS1_11comp_targetILNS1_3genE8ELNS1_11target_archE1030ELNS1_3gpuE2ELNS1_3repE0EEENS1_30default_config_static_selectorELNS0_4arch9wavefront6targetE1EEEvSY_
	.p2align	8
	.type	_ZN7rocprim17ROCPRIM_400000_NS6detail17trampoline_kernelINS0_13select_configILj256ELj13ELNS0_17block_load_methodE3ELS4_3ELS4_3ELNS0_20block_scan_algorithmE0ELj4294967295EEENS1_25partition_config_selectorILNS1_17partition_subalgoE3EjNS0_10empty_typeEbEEZZNS1_14partition_implILS8_3ELb0ES6_jNS0_17counting_iteratorIjlEEPS9_SE_NS0_5tupleIJPjSE_EEENSF_IJSE_SE_EEES9_SG_JZNS1_25segmented_radix_sort_implINS0_14default_configELb0EPKsPsPKlPlN2at6native12_GLOBAL__N_18offset_tEEE10hipError_tPvRmT1_PNSt15iterator_traitsISY_E10value_typeET2_T3_PNSZ_IS14_E10value_typeET4_jRbjT5_S1A_jjP12ihipStream_tbEUljE_EEESV_SW_SX_S14_S18_S1A_T6_T7_T9_mT8_S1C_bDpT10_ENKUlT_T0_E_clISt17integral_constantIbLb0EES1O_IbLb1EEEEDaS1K_S1L_EUlS1K_E_NS1_11comp_targetILNS1_3genE8ELNS1_11target_archE1030ELNS1_3gpuE2ELNS1_3repE0EEENS1_30default_config_static_selectorELNS0_4arch9wavefront6targetE1EEEvSY_,@function
_ZN7rocprim17ROCPRIM_400000_NS6detail17trampoline_kernelINS0_13select_configILj256ELj13ELNS0_17block_load_methodE3ELS4_3ELS4_3ELNS0_20block_scan_algorithmE0ELj4294967295EEENS1_25partition_config_selectorILNS1_17partition_subalgoE3EjNS0_10empty_typeEbEEZZNS1_14partition_implILS8_3ELb0ES6_jNS0_17counting_iteratorIjlEEPS9_SE_NS0_5tupleIJPjSE_EEENSF_IJSE_SE_EEES9_SG_JZNS1_25segmented_radix_sort_implINS0_14default_configELb0EPKsPsPKlPlN2at6native12_GLOBAL__N_18offset_tEEE10hipError_tPvRmT1_PNSt15iterator_traitsISY_E10value_typeET2_T3_PNSZ_IS14_E10value_typeET4_jRbjT5_S1A_jjP12ihipStream_tbEUljE_EEESV_SW_SX_S14_S18_S1A_T6_T7_T9_mT8_S1C_bDpT10_ENKUlT_T0_E_clISt17integral_constantIbLb0EES1O_IbLb1EEEEDaS1K_S1L_EUlS1K_E_NS1_11comp_targetILNS1_3genE8ELNS1_11target_archE1030ELNS1_3gpuE2ELNS1_3repE0EEENS1_30default_config_static_selectorELNS0_4arch9wavefront6targetE1EEEvSY_: ; @_ZN7rocprim17ROCPRIM_400000_NS6detail17trampoline_kernelINS0_13select_configILj256ELj13ELNS0_17block_load_methodE3ELS4_3ELS4_3ELNS0_20block_scan_algorithmE0ELj4294967295EEENS1_25partition_config_selectorILNS1_17partition_subalgoE3EjNS0_10empty_typeEbEEZZNS1_14partition_implILS8_3ELb0ES6_jNS0_17counting_iteratorIjlEEPS9_SE_NS0_5tupleIJPjSE_EEENSF_IJSE_SE_EEES9_SG_JZNS1_25segmented_radix_sort_implINS0_14default_configELb0EPKsPsPKlPlN2at6native12_GLOBAL__N_18offset_tEEE10hipError_tPvRmT1_PNSt15iterator_traitsISY_E10value_typeET2_T3_PNSZ_IS14_E10value_typeET4_jRbjT5_S1A_jjP12ihipStream_tbEUljE_EEESV_SW_SX_S14_S18_S1A_T6_T7_T9_mT8_S1C_bDpT10_ENKUlT_T0_E_clISt17integral_constantIbLb0EES1O_IbLb1EEEEDaS1K_S1L_EUlS1K_E_NS1_11comp_targetILNS1_3genE8ELNS1_11target_archE1030ELNS1_3gpuE2ELNS1_3repE0EEENS1_30default_config_static_selectorELNS0_4arch9wavefront6targetE1EEEvSY_
; %bb.0:
	.section	.rodata,"a",@progbits
	.p2align	6, 0x0
	.amdhsa_kernel _ZN7rocprim17ROCPRIM_400000_NS6detail17trampoline_kernelINS0_13select_configILj256ELj13ELNS0_17block_load_methodE3ELS4_3ELS4_3ELNS0_20block_scan_algorithmE0ELj4294967295EEENS1_25partition_config_selectorILNS1_17partition_subalgoE3EjNS0_10empty_typeEbEEZZNS1_14partition_implILS8_3ELb0ES6_jNS0_17counting_iteratorIjlEEPS9_SE_NS0_5tupleIJPjSE_EEENSF_IJSE_SE_EEES9_SG_JZNS1_25segmented_radix_sort_implINS0_14default_configELb0EPKsPsPKlPlN2at6native12_GLOBAL__N_18offset_tEEE10hipError_tPvRmT1_PNSt15iterator_traitsISY_E10value_typeET2_T3_PNSZ_IS14_E10value_typeET4_jRbjT5_S1A_jjP12ihipStream_tbEUljE_EEESV_SW_SX_S14_S18_S1A_T6_T7_T9_mT8_S1C_bDpT10_ENKUlT_T0_E_clISt17integral_constantIbLb0EES1O_IbLb1EEEEDaS1K_S1L_EUlS1K_E_NS1_11comp_targetILNS1_3genE8ELNS1_11target_archE1030ELNS1_3gpuE2ELNS1_3repE0EEENS1_30default_config_static_selectorELNS0_4arch9wavefront6targetE1EEEvSY_
		.amdhsa_group_segment_fixed_size 0
		.amdhsa_private_segment_fixed_size 0
		.amdhsa_kernarg_size 152
		.amdhsa_user_sgpr_count 6
		.amdhsa_user_sgpr_private_segment_buffer 1
		.amdhsa_user_sgpr_dispatch_ptr 0
		.amdhsa_user_sgpr_queue_ptr 0
		.amdhsa_user_sgpr_kernarg_segment_ptr 1
		.amdhsa_user_sgpr_dispatch_id 0
		.amdhsa_user_sgpr_flat_scratch_init 0
		.amdhsa_user_sgpr_private_segment_size 0
		.amdhsa_uses_dynamic_stack 0
		.amdhsa_system_sgpr_private_segment_wavefront_offset 0
		.amdhsa_system_sgpr_workgroup_id_x 1
		.amdhsa_system_sgpr_workgroup_id_y 0
		.amdhsa_system_sgpr_workgroup_id_z 0
		.amdhsa_system_sgpr_workgroup_info 0
		.amdhsa_system_vgpr_workitem_id 0
		.amdhsa_next_free_vgpr 1
		.amdhsa_next_free_sgpr 0
		.amdhsa_reserve_vcc 0
		.amdhsa_reserve_flat_scratch 0
		.amdhsa_float_round_mode_32 0
		.amdhsa_float_round_mode_16_64 0
		.amdhsa_float_denorm_mode_32 3
		.amdhsa_float_denorm_mode_16_64 3
		.amdhsa_dx10_clamp 1
		.amdhsa_ieee_mode 1
		.amdhsa_fp16_overflow 0
		.amdhsa_exception_fp_ieee_invalid_op 0
		.amdhsa_exception_fp_denorm_src 0
		.amdhsa_exception_fp_ieee_div_zero 0
		.amdhsa_exception_fp_ieee_overflow 0
		.amdhsa_exception_fp_ieee_underflow 0
		.amdhsa_exception_fp_ieee_inexact 0
		.amdhsa_exception_int_div_zero 0
	.end_amdhsa_kernel
	.section	.text._ZN7rocprim17ROCPRIM_400000_NS6detail17trampoline_kernelINS0_13select_configILj256ELj13ELNS0_17block_load_methodE3ELS4_3ELS4_3ELNS0_20block_scan_algorithmE0ELj4294967295EEENS1_25partition_config_selectorILNS1_17partition_subalgoE3EjNS0_10empty_typeEbEEZZNS1_14partition_implILS8_3ELb0ES6_jNS0_17counting_iteratorIjlEEPS9_SE_NS0_5tupleIJPjSE_EEENSF_IJSE_SE_EEES9_SG_JZNS1_25segmented_radix_sort_implINS0_14default_configELb0EPKsPsPKlPlN2at6native12_GLOBAL__N_18offset_tEEE10hipError_tPvRmT1_PNSt15iterator_traitsISY_E10value_typeET2_T3_PNSZ_IS14_E10value_typeET4_jRbjT5_S1A_jjP12ihipStream_tbEUljE_EEESV_SW_SX_S14_S18_S1A_T6_T7_T9_mT8_S1C_bDpT10_ENKUlT_T0_E_clISt17integral_constantIbLb0EES1O_IbLb1EEEEDaS1K_S1L_EUlS1K_E_NS1_11comp_targetILNS1_3genE8ELNS1_11target_archE1030ELNS1_3gpuE2ELNS1_3repE0EEENS1_30default_config_static_selectorELNS0_4arch9wavefront6targetE1EEEvSY_,"axG",@progbits,_ZN7rocprim17ROCPRIM_400000_NS6detail17trampoline_kernelINS0_13select_configILj256ELj13ELNS0_17block_load_methodE3ELS4_3ELS4_3ELNS0_20block_scan_algorithmE0ELj4294967295EEENS1_25partition_config_selectorILNS1_17partition_subalgoE3EjNS0_10empty_typeEbEEZZNS1_14partition_implILS8_3ELb0ES6_jNS0_17counting_iteratorIjlEEPS9_SE_NS0_5tupleIJPjSE_EEENSF_IJSE_SE_EEES9_SG_JZNS1_25segmented_radix_sort_implINS0_14default_configELb0EPKsPsPKlPlN2at6native12_GLOBAL__N_18offset_tEEE10hipError_tPvRmT1_PNSt15iterator_traitsISY_E10value_typeET2_T3_PNSZ_IS14_E10value_typeET4_jRbjT5_S1A_jjP12ihipStream_tbEUljE_EEESV_SW_SX_S14_S18_S1A_T6_T7_T9_mT8_S1C_bDpT10_ENKUlT_T0_E_clISt17integral_constantIbLb0EES1O_IbLb1EEEEDaS1K_S1L_EUlS1K_E_NS1_11comp_targetILNS1_3genE8ELNS1_11target_archE1030ELNS1_3gpuE2ELNS1_3repE0EEENS1_30default_config_static_selectorELNS0_4arch9wavefront6targetE1EEEvSY_,comdat
.Lfunc_end1013:
	.size	_ZN7rocprim17ROCPRIM_400000_NS6detail17trampoline_kernelINS0_13select_configILj256ELj13ELNS0_17block_load_methodE3ELS4_3ELS4_3ELNS0_20block_scan_algorithmE0ELj4294967295EEENS1_25partition_config_selectorILNS1_17partition_subalgoE3EjNS0_10empty_typeEbEEZZNS1_14partition_implILS8_3ELb0ES6_jNS0_17counting_iteratorIjlEEPS9_SE_NS0_5tupleIJPjSE_EEENSF_IJSE_SE_EEES9_SG_JZNS1_25segmented_radix_sort_implINS0_14default_configELb0EPKsPsPKlPlN2at6native12_GLOBAL__N_18offset_tEEE10hipError_tPvRmT1_PNSt15iterator_traitsISY_E10value_typeET2_T3_PNSZ_IS14_E10value_typeET4_jRbjT5_S1A_jjP12ihipStream_tbEUljE_EEESV_SW_SX_S14_S18_S1A_T6_T7_T9_mT8_S1C_bDpT10_ENKUlT_T0_E_clISt17integral_constantIbLb0EES1O_IbLb1EEEEDaS1K_S1L_EUlS1K_E_NS1_11comp_targetILNS1_3genE8ELNS1_11target_archE1030ELNS1_3gpuE2ELNS1_3repE0EEENS1_30default_config_static_selectorELNS0_4arch9wavefront6targetE1EEEvSY_, .Lfunc_end1013-_ZN7rocprim17ROCPRIM_400000_NS6detail17trampoline_kernelINS0_13select_configILj256ELj13ELNS0_17block_load_methodE3ELS4_3ELS4_3ELNS0_20block_scan_algorithmE0ELj4294967295EEENS1_25partition_config_selectorILNS1_17partition_subalgoE3EjNS0_10empty_typeEbEEZZNS1_14partition_implILS8_3ELb0ES6_jNS0_17counting_iteratorIjlEEPS9_SE_NS0_5tupleIJPjSE_EEENSF_IJSE_SE_EEES9_SG_JZNS1_25segmented_radix_sort_implINS0_14default_configELb0EPKsPsPKlPlN2at6native12_GLOBAL__N_18offset_tEEE10hipError_tPvRmT1_PNSt15iterator_traitsISY_E10value_typeET2_T3_PNSZ_IS14_E10value_typeET4_jRbjT5_S1A_jjP12ihipStream_tbEUljE_EEESV_SW_SX_S14_S18_S1A_T6_T7_T9_mT8_S1C_bDpT10_ENKUlT_T0_E_clISt17integral_constantIbLb0EES1O_IbLb1EEEEDaS1K_S1L_EUlS1K_E_NS1_11comp_targetILNS1_3genE8ELNS1_11target_archE1030ELNS1_3gpuE2ELNS1_3repE0EEENS1_30default_config_static_selectorELNS0_4arch9wavefront6targetE1EEEvSY_
                                        ; -- End function
	.set _ZN7rocprim17ROCPRIM_400000_NS6detail17trampoline_kernelINS0_13select_configILj256ELj13ELNS0_17block_load_methodE3ELS4_3ELS4_3ELNS0_20block_scan_algorithmE0ELj4294967295EEENS1_25partition_config_selectorILNS1_17partition_subalgoE3EjNS0_10empty_typeEbEEZZNS1_14partition_implILS8_3ELb0ES6_jNS0_17counting_iteratorIjlEEPS9_SE_NS0_5tupleIJPjSE_EEENSF_IJSE_SE_EEES9_SG_JZNS1_25segmented_radix_sort_implINS0_14default_configELb0EPKsPsPKlPlN2at6native12_GLOBAL__N_18offset_tEEE10hipError_tPvRmT1_PNSt15iterator_traitsISY_E10value_typeET2_T3_PNSZ_IS14_E10value_typeET4_jRbjT5_S1A_jjP12ihipStream_tbEUljE_EEESV_SW_SX_S14_S18_S1A_T6_T7_T9_mT8_S1C_bDpT10_ENKUlT_T0_E_clISt17integral_constantIbLb0EES1O_IbLb1EEEEDaS1K_S1L_EUlS1K_E_NS1_11comp_targetILNS1_3genE8ELNS1_11target_archE1030ELNS1_3gpuE2ELNS1_3repE0EEENS1_30default_config_static_selectorELNS0_4arch9wavefront6targetE1EEEvSY_.num_vgpr, 0
	.set _ZN7rocprim17ROCPRIM_400000_NS6detail17trampoline_kernelINS0_13select_configILj256ELj13ELNS0_17block_load_methodE3ELS4_3ELS4_3ELNS0_20block_scan_algorithmE0ELj4294967295EEENS1_25partition_config_selectorILNS1_17partition_subalgoE3EjNS0_10empty_typeEbEEZZNS1_14partition_implILS8_3ELb0ES6_jNS0_17counting_iteratorIjlEEPS9_SE_NS0_5tupleIJPjSE_EEENSF_IJSE_SE_EEES9_SG_JZNS1_25segmented_radix_sort_implINS0_14default_configELb0EPKsPsPKlPlN2at6native12_GLOBAL__N_18offset_tEEE10hipError_tPvRmT1_PNSt15iterator_traitsISY_E10value_typeET2_T3_PNSZ_IS14_E10value_typeET4_jRbjT5_S1A_jjP12ihipStream_tbEUljE_EEESV_SW_SX_S14_S18_S1A_T6_T7_T9_mT8_S1C_bDpT10_ENKUlT_T0_E_clISt17integral_constantIbLb0EES1O_IbLb1EEEEDaS1K_S1L_EUlS1K_E_NS1_11comp_targetILNS1_3genE8ELNS1_11target_archE1030ELNS1_3gpuE2ELNS1_3repE0EEENS1_30default_config_static_selectorELNS0_4arch9wavefront6targetE1EEEvSY_.num_agpr, 0
	.set _ZN7rocprim17ROCPRIM_400000_NS6detail17trampoline_kernelINS0_13select_configILj256ELj13ELNS0_17block_load_methodE3ELS4_3ELS4_3ELNS0_20block_scan_algorithmE0ELj4294967295EEENS1_25partition_config_selectorILNS1_17partition_subalgoE3EjNS0_10empty_typeEbEEZZNS1_14partition_implILS8_3ELb0ES6_jNS0_17counting_iteratorIjlEEPS9_SE_NS0_5tupleIJPjSE_EEENSF_IJSE_SE_EEES9_SG_JZNS1_25segmented_radix_sort_implINS0_14default_configELb0EPKsPsPKlPlN2at6native12_GLOBAL__N_18offset_tEEE10hipError_tPvRmT1_PNSt15iterator_traitsISY_E10value_typeET2_T3_PNSZ_IS14_E10value_typeET4_jRbjT5_S1A_jjP12ihipStream_tbEUljE_EEESV_SW_SX_S14_S18_S1A_T6_T7_T9_mT8_S1C_bDpT10_ENKUlT_T0_E_clISt17integral_constantIbLb0EES1O_IbLb1EEEEDaS1K_S1L_EUlS1K_E_NS1_11comp_targetILNS1_3genE8ELNS1_11target_archE1030ELNS1_3gpuE2ELNS1_3repE0EEENS1_30default_config_static_selectorELNS0_4arch9wavefront6targetE1EEEvSY_.numbered_sgpr, 0
	.set _ZN7rocprim17ROCPRIM_400000_NS6detail17trampoline_kernelINS0_13select_configILj256ELj13ELNS0_17block_load_methodE3ELS4_3ELS4_3ELNS0_20block_scan_algorithmE0ELj4294967295EEENS1_25partition_config_selectorILNS1_17partition_subalgoE3EjNS0_10empty_typeEbEEZZNS1_14partition_implILS8_3ELb0ES6_jNS0_17counting_iteratorIjlEEPS9_SE_NS0_5tupleIJPjSE_EEENSF_IJSE_SE_EEES9_SG_JZNS1_25segmented_radix_sort_implINS0_14default_configELb0EPKsPsPKlPlN2at6native12_GLOBAL__N_18offset_tEEE10hipError_tPvRmT1_PNSt15iterator_traitsISY_E10value_typeET2_T3_PNSZ_IS14_E10value_typeET4_jRbjT5_S1A_jjP12ihipStream_tbEUljE_EEESV_SW_SX_S14_S18_S1A_T6_T7_T9_mT8_S1C_bDpT10_ENKUlT_T0_E_clISt17integral_constantIbLb0EES1O_IbLb1EEEEDaS1K_S1L_EUlS1K_E_NS1_11comp_targetILNS1_3genE8ELNS1_11target_archE1030ELNS1_3gpuE2ELNS1_3repE0EEENS1_30default_config_static_selectorELNS0_4arch9wavefront6targetE1EEEvSY_.num_named_barrier, 0
	.set _ZN7rocprim17ROCPRIM_400000_NS6detail17trampoline_kernelINS0_13select_configILj256ELj13ELNS0_17block_load_methodE3ELS4_3ELS4_3ELNS0_20block_scan_algorithmE0ELj4294967295EEENS1_25partition_config_selectorILNS1_17partition_subalgoE3EjNS0_10empty_typeEbEEZZNS1_14partition_implILS8_3ELb0ES6_jNS0_17counting_iteratorIjlEEPS9_SE_NS0_5tupleIJPjSE_EEENSF_IJSE_SE_EEES9_SG_JZNS1_25segmented_radix_sort_implINS0_14default_configELb0EPKsPsPKlPlN2at6native12_GLOBAL__N_18offset_tEEE10hipError_tPvRmT1_PNSt15iterator_traitsISY_E10value_typeET2_T3_PNSZ_IS14_E10value_typeET4_jRbjT5_S1A_jjP12ihipStream_tbEUljE_EEESV_SW_SX_S14_S18_S1A_T6_T7_T9_mT8_S1C_bDpT10_ENKUlT_T0_E_clISt17integral_constantIbLb0EES1O_IbLb1EEEEDaS1K_S1L_EUlS1K_E_NS1_11comp_targetILNS1_3genE8ELNS1_11target_archE1030ELNS1_3gpuE2ELNS1_3repE0EEENS1_30default_config_static_selectorELNS0_4arch9wavefront6targetE1EEEvSY_.private_seg_size, 0
	.set _ZN7rocprim17ROCPRIM_400000_NS6detail17trampoline_kernelINS0_13select_configILj256ELj13ELNS0_17block_load_methodE3ELS4_3ELS4_3ELNS0_20block_scan_algorithmE0ELj4294967295EEENS1_25partition_config_selectorILNS1_17partition_subalgoE3EjNS0_10empty_typeEbEEZZNS1_14partition_implILS8_3ELb0ES6_jNS0_17counting_iteratorIjlEEPS9_SE_NS0_5tupleIJPjSE_EEENSF_IJSE_SE_EEES9_SG_JZNS1_25segmented_radix_sort_implINS0_14default_configELb0EPKsPsPKlPlN2at6native12_GLOBAL__N_18offset_tEEE10hipError_tPvRmT1_PNSt15iterator_traitsISY_E10value_typeET2_T3_PNSZ_IS14_E10value_typeET4_jRbjT5_S1A_jjP12ihipStream_tbEUljE_EEESV_SW_SX_S14_S18_S1A_T6_T7_T9_mT8_S1C_bDpT10_ENKUlT_T0_E_clISt17integral_constantIbLb0EES1O_IbLb1EEEEDaS1K_S1L_EUlS1K_E_NS1_11comp_targetILNS1_3genE8ELNS1_11target_archE1030ELNS1_3gpuE2ELNS1_3repE0EEENS1_30default_config_static_selectorELNS0_4arch9wavefront6targetE1EEEvSY_.uses_vcc, 0
	.set _ZN7rocprim17ROCPRIM_400000_NS6detail17trampoline_kernelINS0_13select_configILj256ELj13ELNS0_17block_load_methodE3ELS4_3ELS4_3ELNS0_20block_scan_algorithmE0ELj4294967295EEENS1_25partition_config_selectorILNS1_17partition_subalgoE3EjNS0_10empty_typeEbEEZZNS1_14partition_implILS8_3ELb0ES6_jNS0_17counting_iteratorIjlEEPS9_SE_NS0_5tupleIJPjSE_EEENSF_IJSE_SE_EEES9_SG_JZNS1_25segmented_radix_sort_implINS0_14default_configELb0EPKsPsPKlPlN2at6native12_GLOBAL__N_18offset_tEEE10hipError_tPvRmT1_PNSt15iterator_traitsISY_E10value_typeET2_T3_PNSZ_IS14_E10value_typeET4_jRbjT5_S1A_jjP12ihipStream_tbEUljE_EEESV_SW_SX_S14_S18_S1A_T6_T7_T9_mT8_S1C_bDpT10_ENKUlT_T0_E_clISt17integral_constantIbLb0EES1O_IbLb1EEEEDaS1K_S1L_EUlS1K_E_NS1_11comp_targetILNS1_3genE8ELNS1_11target_archE1030ELNS1_3gpuE2ELNS1_3repE0EEENS1_30default_config_static_selectorELNS0_4arch9wavefront6targetE1EEEvSY_.uses_flat_scratch, 0
	.set _ZN7rocprim17ROCPRIM_400000_NS6detail17trampoline_kernelINS0_13select_configILj256ELj13ELNS0_17block_load_methodE3ELS4_3ELS4_3ELNS0_20block_scan_algorithmE0ELj4294967295EEENS1_25partition_config_selectorILNS1_17partition_subalgoE3EjNS0_10empty_typeEbEEZZNS1_14partition_implILS8_3ELb0ES6_jNS0_17counting_iteratorIjlEEPS9_SE_NS0_5tupleIJPjSE_EEENSF_IJSE_SE_EEES9_SG_JZNS1_25segmented_radix_sort_implINS0_14default_configELb0EPKsPsPKlPlN2at6native12_GLOBAL__N_18offset_tEEE10hipError_tPvRmT1_PNSt15iterator_traitsISY_E10value_typeET2_T3_PNSZ_IS14_E10value_typeET4_jRbjT5_S1A_jjP12ihipStream_tbEUljE_EEESV_SW_SX_S14_S18_S1A_T6_T7_T9_mT8_S1C_bDpT10_ENKUlT_T0_E_clISt17integral_constantIbLb0EES1O_IbLb1EEEEDaS1K_S1L_EUlS1K_E_NS1_11comp_targetILNS1_3genE8ELNS1_11target_archE1030ELNS1_3gpuE2ELNS1_3repE0EEENS1_30default_config_static_selectorELNS0_4arch9wavefront6targetE1EEEvSY_.has_dyn_sized_stack, 0
	.set _ZN7rocprim17ROCPRIM_400000_NS6detail17trampoline_kernelINS0_13select_configILj256ELj13ELNS0_17block_load_methodE3ELS4_3ELS4_3ELNS0_20block_scan_algorithmE0ELj4294967295EEENS1_25partition_config_selectorILNS1_17partition_subalgoE3EjNS0_10empty_typeEbEEZZNS1_14partition_implILS8_3ELb0ES6_jNS0_17counting_iteratorIjlEEPS9_SE_NS0_5tupleIJPjSE_EEENSF_IJSE_SE_EEES9_SG_JZNS1_25segmented_radix_sort_implINS0_14default_configELb0EPKsPsPKlPlN2at6native12_GLOBAL__N_18offset_tEEE10hipError_tPvRmT1_PNSt15iterator_traitsISY_E10value_typeET2_T3_PNSZ_IS14_E10value_typeET4_jRbjT5_S1A_jjP12ihipStream_tbEUljE_EEESV_SW_SX_S14_S18_S1A_T6_T7_T9_mT8_S1C_bDpT10_ENKUlT_T0_E_clISt17integral_constantIbLb0EES1O_IbLb1EEEEDaS1K_S1L_EUlS1K_E_NS1_11comp_targetILNS1_3genE8ELNS1_11target_archE1030ELNS1_3gpuE2ELNS1_3repE0EEENS1_30default_config_static_selectorELNS0_4arch9wavefront6targetE1EEEvSY_.has_recursion, 0
	.set _ZN7rocprim17ROCPRIM_400000_NS6detail17trampoline_kernelINS0_13select_configILj256ELj13ELNS0_17block_load_methodE3ELS4_3ELS4_3ELNS0_20block_scan_algorithmE0ELj4294967295EEENS1_25partition_config_selectorILNS1_17partition_subalgoE3EjNS0_10empty_typeEbEEZZNS1_14partition_implILS8_3ELb0ES6_jNS0_17counting_iteratorIjlEEPS9_SE_NS0_5tupleIJPjSE_EEENSF_IJSE_SE_EEES9_SG_JZNS1_25segmented_radix_sort_implINS0_14default_configELb0EPKsPsPKlPlN2at6native12_GLOBAL__N_18offset_tEEE10hipError_tPvRmT1_PNSt15iterator_traitsISY_E10value_typeET2_T3_PNSZ_IS14_E10value_typeET4_jRbjT5_S1A_jjP12ihipStream_tbEUljE_EEESV_SW_SX_S14_S18_S1A_T6_T7_T9_mT8_S1C_bDpT10_ENKUlT_T0_E_clISt17integral_constantIbLb0EES1O_IbLb1EEEEDaS1K_S1L_EUlS1K_E_NS1_11comp_targetILNS1_3genE8ELNS1_11target_archE1030ELNS1_3gpuE2ELNS1_3repE0EEENS1_30default_config_static_selectorELNS0_4arch9wavefront6targetE1EEEvSY_.has_indirect_call, 0
	.section	.AMDGPU.csdata,"",@progbits
; Kernel info:
; codeLenInByte = 0
; TotalNumSgprs: 4
; NumVgprs: 0
; ScratchSize: 0
; MemoryBound: 0
; FloatMode: 240
; IeeeMode: 1
; LDSByteSize: 0 bytes/workgroup (compile time only)
; SGPRBlocks: 0
; VGPRBlocks: 0
; NumSGPRsForWavesPerEU: 4
; NumVGPRsForWavesPerEU: 1
; Occupancy: 10
; WaveLimiterHint : 0
; COMPUTE_PGM_RSRC2:SCRATCH_EN: 0
; COMPUTE_PGM_RSRC2:USER_SGPR: 6
; COMPUTE_PGM_RSRC2:TRAP_HANDLER: 0
; COMPUTE_PGM_RSRC2:TGID_X_EN: 1
; COMPUTE_PGM_RSRC2:TGID_Y_EN: 0
; COMPUTE_PGM_RSRC2:TGID_Z_EN: 0
; COMPUTE_PGM_RSRC2:TIDIG_COMP_CNT: 0
	.section	.text._ZN7rocprim17ROCPRIM_400000_NS6detail17trampoline_kernelINS0_14default_configENS1_36segmented_radix_sort_config_selectorIslEEZNS1_25segmented_radix_sort_implIS3_Lb0EPKsPsPKlPlN2at6native12_GLOBAL__N_18offset_tEEE10hipError_tPvRmT1_PNSt15iterator_traitsISK_E10value_typeET2_T3_PNSL_ISQ_E10value_typeET4_jRbjT5_SW_jjP12ihipStream_tbEUlT_E_NS1_11comp_targetILNS1_3genE0ELNS1_11target_archE4294967295ELNS1_3gpuE0ELNS1_3repE0EEENS1_30default_config_static_selectorELNS0_4arch9wavefront6targetE1EEEvSK_,"axG",@progbits,_ZN7rocprim17ROCPRIM_400000_NS6detail17trampoline_kernelINS0_14default_configENS1_36segmented_radix_sort_config_selectorIslEEZNS1_25segmented_radix_sort_implIS3_Lb0EPKsPsPKlPlN2at6native12_GLOBAL__N_18offset_tEEE10hipError_tPvRmT1_PNSt15iterator_traitsISK_E10value_typeET2_T3_PNSL_ISQ_E10value_typeET4_jRbjT5_SW_jjP12ihipStream_tbEUlT_E_NS1_11comp_targetILNS1_3genE0ELNS1_11target_archE4294967295ELNS1_3gpuE0ELNS1_3repE0EEENS1_30default_config_static_selectorELNS0_4arch9wavefront6targetE1EEEvSK_,comdat
	.globl	_ZN7rocprim17ROCPRIM_400000_NS6detail17trampoline_kernelINS0_14default_configENS1_36segmented_radix_sort_config_selectorIslEEZNS1_25segmented_radix_sort_implIS3_Lb0EPKsPsPKlPlN2at6native12_GLOBAL__N_18offset_tEEE10hipError_tPvRmT1_PNSt15iterator_traitsISK_E10value_typeET2_T3_PNSL_ISQ_E10value_typeET4_jRbjT5_SW_jjP12ihipStream_tbEUlT_E_NS1_11comp_targetILNS1_3genE0ELNS1_11target_archE4294967295ELNS1_3gpuE0ELNS1_3repE0EEENS1_30default_config_static_selectorELNS0_4arch9wavefront6targetE1EEEvSK_ ; -- Begin function _ZN7rocprim17ROCPRIM_400000_NS6detail17trampoline_kernelINS0_14default_configENS1_36segmented_radix_sort_config_selectorIslEEZNS1_25segmented_radix_sort_implIS3_Lb0EPKsPsPKlPlN2at6native12_GLOBAL__N_18offset_tEEE10hipError_tPvRmT1_PNSt15iterator_traitsISK_E10value_typeET2_T3_PNSL_ISQ_E10value_typeET4_jRbjT5_SW_jjP12ihipStream_tbEUlT_E_NS1_11comp_targetILNS1_3genE0ELNS1_11target_archE4294967295ELNS1_3gpuE0ELNS1_3repE0EEENS1_30default_config_static_selectorELNS0_4arch9wavefront6targetE1EEEvSK_
	.p2align	8
	.type	_ZN7rocprim17ROCPRIM_400000_NS6detail17trampoline_kernelINS0_14default_configENS1_36segmented_radix_sort_config_selectorIslEEZNS1_25segmented_radix_sort_implIS3_Lb0EPKsPsPKlPlN2at6native12_GLOBAL__N_18offset_tEEE10hipError_tPvRmT1_PNSt15iterator_traitsISK_E10value_typeET2_T3_PNSL_ISQ_E10value_typeET4_jRbjT5_SW_jjP12ihipStream_tbEUlT_E_NS1_11comp_targetILNS1_3genE0ELNS1_11target_archE4294967295ELNS1_3gpuE0ELNS1_3repE0EEENS1_30default_config_static_selectorELNS0_4arch9wavefront6targetE1EEEvSK_,@function
_ZN7rocprim17ROCPRIM_400000_NS6detail17trampoline_kernelINS0_14default_configENS1_36segmented_radix_sort_config_selectorIslEEZNS1_25segmented_radix_sort_implIS3_Lb0EPKsPsPKlPlN2at6native12_GLOBAL__N_18offset_tEEE10hipError_tPvRmT1_PNSt15iterator_traitsISK_E10value_typeET2_T3_PNSL_ISQ_E10value_typeET4_jRbjT5_SW_jjP12ihipStream_tbEUlT_E_NS1_11comp_targetILNS1_3genE0ELNS1_11target_archE4294967295ELNS1_3gpuE0ELNS1_3repE0EEENS1_30default_config_static_selectorELNS0_4arch9wavefront6targetE1EEEvSK_: ; @_ZN7rocprim17ROCPRIM_400000_NS6detail17trampoline_kernelINS0_14default_configENS1_36segmented_radix_sort_config_selectorIslEEZNS1_25segmented_radix_sort_implIS3_Lb0EPKsPsPKlPlN2at6native12_GLOBAL__N_18offset_tEEE10hipError_tPvRmT1_PNSt15iterator_traitsISK_E10value_typeET2_T3_PNSL_ISQ_E10value_typeET4_jRbjT5_SW_jjP12ihipStream_tbEUlT_E_NS1_11comp_targetILNS1_3genE0ELNS1_11target_archE4294967295ELNS1_3gpuE0ELNS1_3repE0EEENS1_30default_config_static_selectorELNS0_4arch9wavefront6targetE1EEEvSK_
; %bb.0:
	.section	.rodata,"a",@progbits
	.p2align	6, 0x0
	.amdhsa_kernel _ZN7rocprim17ROCPRIM_400000_NS6detail17trampoline_kernelINS0_14default_configENS1_36segmented_radix_sort_config_selectorIslEEZNS1_25segmented_radix_sort_implIS3_Lb0EPKsPsPKlPlN2at6native12_GLOBAL__N_18offset_tEEE10hipError_tPvRmT1_PNSt15iterator_traitsISK_E10value_typeET2_T3_PNSL_ISQ_E10value_typeET4_jRbjT5_SW_jjP12ihipStream_tbEUlT_E_NS1_11comp_targetILNS1_3genE0ELNS1_11target_archE4294967295ELNS1_3gpuE0ELNS1_3repE0EEENS1_30default_config_static_selectorELNS0_4arch9wavefront6targetE1EEEvSK_
		.amdhsa_group_segment_fixed_size 0
		.amdhsa_private_segment_fixed_size 0
		.amdhsa_kernarg_size 96
		.amdhsa_user_sgpr_count 6
		.amdhsa_user_sgpr_private_segment_buffer 1
		.amdhsa_user_sgpr_dispatch_ptr 0
		.amdhsa_user_sgpr_queue_ptr 0
		.amdhsa_user_sgpr_kernarg_segment_ptr 1
		.amdhsa_user_sgpr_dispatch_id 0
		.amdhsa_user_sgpr_flat_scratch_init 0
		.amdhsa_user_sgpr_private_segment_size 0
		.amdhsa_uses_dynamic_stack 0
		.amdhsa_system_sgpr_private_segment_wavefront_offset 0
		.amdhsa_system_sgpr_workgroup_id_x 1
		.amdhsa_system_sgpr_workgroup_id_y 0
		.amdhsa_system_sgpr_workgroup_id_z 0
		.amdhsa_system_sgpr_workgroup_info 0
		.amdhsa_system_vgpr_workitem_id 0
		.amdhsa_next_free_vgpr 1
		.amdhsa_next_free_sgpr 0
		.amdhsa_reserve_vcc 0
		.amdhsa_reserve_flat_scratch 0
		.amdhsa_float_round_mode_32 0
		.amdhsa_float_round_mode_16_64 0
		.amdhsa_float_denorm_mode_32 3
		.amdhsa_float_denorm_mode_16_64 3
		.amdhsa_dx10_clamp 1
		.amdhsa_ieee_mode 1
		.amdhsa_fp16_overflow 0
		.amdhsa_exception_fp_ieee_invalid_op 0
		.amdhsa_exception_fp_denorm_src 0
		.amdhsa_exception_fp_ieee_div_zero 0
		.amdhsa_exception_fp_ieee_overflow 0
		.amdhsa_exception_fp_ieee_underflow 0
		.amdhsa_exception_fp_ieee_inexact 0
		.amdhsa_exception_int_div_zero 0
	.end_amdhsa_kernel
	.section	.text._ZN7rocprim17ROCPRIM_400000_NS6detail17trampoline_kernelINS0_14default_configENS1_36segmented_radix_sort_config_selectorIslEEZNS1_25segmented_radix_sort_implIS3_Lb0EPKsPsPKlPlN2at6native12_GLOBAL__N_18offset_tEEE10hipError_tPvRmT1_PNSt15iterator_traitsISK_E10value_typeET2_T3_PNSL_ISQ_E10value_typeET4_jRbjT5_SW_jjP12ihipStream_tbEUlT_E_NS1_11comp_targetILNS1_3genE0ELNS1_11target_archE4294967295ELNS1_3gpuE0ELNS1_3repE0EEENS1_30default_config_static_selectorELNS0_4arch9wavefront6targetE1EEEvSK_,"axG",@progbits,_ZN7rocprim17ROCPRIM_400000_NS6detail17trampoline_kernelINS0_14default_configENS1_36segmented_radix_sort_config_selectorIslEEZNS1_25segmented_radix_sort_implIS3_Lb0EPKsPsPKlPlN2at6native12_GLOBAL__N_18offset_tEEE10hipError_tPvRmT1_PNSt15iterator_traitsISK_E10value_typeET2_T3_PNSL_ISQ_E10value_typeET4_jRbjT5_SW_jjP12ihipStream_tbEUlT_E_NS1_11comp_targetILNS1_3genE0ELNS1_11target_archE4294967295ELNS1_3gpuE0ELNS1_3repE0EEENS1_30default_config_static_selectorELNS0_4arch9wavefront6targetE1EEEvSK_,comdat
.Lfunc_end1014:
	.size	_ZN7rocprim17ROCPRIM_400000_NS6detail17trampoline_kernelINS0_14default_configENS1_36segmented_radix_sort_config_selectorIslEEZNS1_25segmented_radix_sort_implIS3_Lb0EPKsPsPKlPlN2at6native12_GLOBAL__N_18offset_tEEE10hipError_tPvRmT1_PNSt15iterator_traitsISK_E10value_typeET2_T3_PNSL_ISQ_E10value_typeET4_jRbjT5_SW_jjP12ihipStream_tbEUlT_E_NS1_11comp_targetILNS1_3genE0ELNS1_11target_archE4294967295ELNS1_3gpuE0ELNS1_3repE0EEENS1_30default_config_static_selectorELNS0_4arch9wavefront6targetE1EEEvSK_, .Lfunc_end1014-_ZN7rocprim17ROCPRIM_400000_NS6detail17trampoline_kernelINS0_14default_configENS1_36segmented_radix_sort_config_selectorIslEEZNS1_25segmented_radix_sort_implIS3_Lb0EPKsPsPKlPlN2at6native12_GLOBAL__N_18offset_tEEE10hipError_tPvRmT1_PNSt15iterator_traitsISK_E10value_typeET2_T3_PNSL_ISQ_E10value_typeET4_jRbjT5_SW_jjP12ihipStream_tbEUlT_E_NS1_11comp_targetILNS1_3genE0ELNS1_11target_archE4294967295ELNS1_3gpuE0ELNS1_3repE0EEENS1_30default_config_static_selectorELNS0_4arch9wavefront6targetE1EEEvSK_
                                        ; -- End function
	.set _ZN7rocprim17ROCPRIM_400000_NS6detail17trampoline_kernelINS0_14default_configENS1_36segmented_radix_sort_config_selectorIslEEZNS1_25segmented_radix_sort_implIS3_Lb0EPKsPsPKlPlN2at6native12_GLOBAL__N_18offset_tEEE10hipError_tPvRmT1_PNSt15iterator_traitsISK_E10value_typeET2_T3_PNSL_ISQ_E10value_typeET4_jRbjT5_SW_jjP12ihipStream_tbEUlT_E_NS1_11comp_targetILNS1_3genE0ELNS1_11target_archE4294967295ELNS1_3gpuE0ELNS1_3repE0EEENS1_30default_config_static_selectorELNS0_4arch9wavefront6targetE1EEEvSK_.num_vgpr, 0
	.set _ZN7rocprim17ROCPRIM_400000_NS6detail17trampoline_kernelINS0_14default_configENS1_36segmented_radix_sort_config_selectorIslEEZNS1_25segmented_radix_sort_implIS3_Lb0EPKsPsPKlPlN2at6native12_GLOBAL__N_18offset_tEEE10hipError_tPvRmT1_PNSt15iterator_traitsISK_E10value_typeET2_T3_PNSL_ISQ_E10value_typeET4_jRbjT5_SW_jjP12ihipStream_tbEUlT_E_NS1_11comp_targetILNS1_3genE0ELNS1_11target_archE4294967295ELNS1_3gpuE0ELNS1_3repE0EEENS1_30default_config_static_selectorELNS0_4arch9wavefront6targetE1EEEvSK_.num_agpr, 0
	.set _ZN7rocprim17ROCPRIM_400000_NS6detail17trampoline_kernelINS0_14default_configENS1_36segmented_radix_sort_config_selectorIslEEZNS1_25segmented_radix_sort_implIS3_Lb0EPKsPsPKlPlN2at6native12_GLOBAL__N_18offset_tEEE10hipError_tPvRmT1_PNSt15iterator_traitsISK_E10value_typeET2_T3_PNSL_ISQ_E10value_typeET4_jRbjT5_SW_jjP12ihipStream_tbEUlT_E_NS1_11comp_targetILNS1_3genE0ELNS1_11target_archE4294967295ELNS1_3gpuE0ELNS1_3repE0EEENS1_30default_config_static_selectorELNS0_4arch9wavefront6targetE1EEEvSK_.numbered_sgpr, 0
	.set _ZN7rocprim17ROCPRIM_400000_NS6detail17trampoline_kernelINS0_14default_configENS1_36segmented_radix_sort_config_selectorIslEEZNS1_25segmented_radix_sort_implIS3_Lb0EPKsPsPKlPlN2at6native12_GLOBAL__N_18offset_tEEE10hipError_tPvRmT1_PNSt15iterator_traitsISK_E10value_typeET2_T3_PNSL_ISQ_E10value_typeET4_jRbjT5_SW_jjP12ihipStream_tbEUlT_E_NS1_11comp_targetILNS1_3genE0ELNS1_11target_archE4294967295ELNS1_3gpuE0ELNS1_3repE0EEENS1_30default_config_static_selectorELNS0_4arch9wavefront6targetE1EEEvSK_.num_named_barrier, 0
	.set _ZN7rocprim17ROCPRIM_400000_NS6detail17trampoline_kernelINS0_14default_configENS1_36segmented_radix_sort_config_selectorIslEEZNS1_25segmented_radix_sort_implIS3_Lb0EPKsPsPKlPlN2at6native12_GLOBAL__N_18offset_tEEE10hipError_tPvRmT1_PNSt15iterator_traitsISK_E10value_typeET2_T3_PNSL_ISQ_E10value_typeET4_jRbjT5_SW_jjP12ihipStream_tbEUlT_E_NS1_11comp_targetILNS1_3genE0ELNS1_11target_archE4294967295ELNS1_3gpuE0ELNS1_3repE0EEENS1_30default_config_static_selectorELNS0_4arch9wavefront6targetE1EEEvSK_.private_seg_size, 0
	.set _ZN7rocprim17ROCPRIM_400000_NS6detail17trampoline_kernelINS0_14default_configENS1_36segmented_radix_sort_config_selectorIslEEZNS1_25segmented_radix_sort_implIS3_Lb0EPKsPsPKlPlN2at6native12_GLOBAL__N_18offset_tEEE10hipError_tPvRmT1_PNSt15iterator_traitsISK_E10value_typeET2_T3_PNSL_ISQ_E10value_typeET4_jRbjT5_SW_jjP12ihipStream_tbEUlT_E_NS1_11comp_targetILNS1_3genE0ELNS1_11target_archE4294967295ELNS1_3gpuE0ELNS1_3repE0EEENS1_30default_config_static_selectorELNS0_4arch9wavefront6targetE1EEEvSK_.uses_vcc, 0
	.set _ZN7rocprim17ROCPRIM_400000_NS6detail17trampoline_kernelINS0_14default_configENS1_36segmented_radix_sort_config_selectorIslEEZNS1_25segmented_radix_sort_implIS3_Lb0EPKsPsPKlPlN2at6native12_GLOBAL__N_18offset_tEEE10hipError_tPvRmT1_PNSt15iterator_traitsISK_E10value_typeET2_T3_PNSL_ISQ_E10value_typeET4_jRbjT5_SW_jjP12ihipStream_tbEUlT_E_NS1_11comp_targetILNS1_3genE0ELNS1_11target_archE4294967295ELNS1_3gpuE0ELNS1_3repE0EEENS1_30default_config_static_selectorELNS0_4arch9wavefront6targetE1EEEvSK_.uses_flat_scratch, 0
	.set _ZN7rocprim17ROCPRIM_400000_NS6detail17trampoline_kernelINS0_14default_configENS1_36segmented_radix_sort_config_selectorIslEEZNS1_25segmented_radix_sort_implIS3_Lb0EPKsPsPKlPlN2at6native12_GLOBAL__N_18offset_tEEE10hipError_tPvRmT1_PNSt15iterator_traitsISK_E10value_typeET2_T3_PNSL_ISQ_E10value_typeET4_jRbjT5_SW_jjP12ihipStream_tbEUlT_E_NS1_11comp_targetILNS1_3genE0ELNS1_11target_archE4294967295ELNS1_3gpuE0ELNS1_3repE0EEENS1_30default_config_static_selectorELNS0_4arch9wavefront6targetE1EEEvSK_.has_dyn_sized_stack, 0
	.set _ZN7rocprim17ROCPRIM_400000_NS6detail17trampoline_kernelINS0_14default_configENS1_36segmented_radix_sort_config_selectorIslEEZNS1_25segmented_radix_sort_implIS3_Lb0EPKsPsPKlPlN2at6native12_GLOBAL__N_18offset_tEEE10hipError_tPvRmT1_PNSt15iterator_traitsISK_E10value_typeET2_T3_PNSL_ISQ_E10value_typeET4_jRbjT5_SW_jjP12ihipStream_tbEUlT_E_NS1_11comp_targetILNS1_3genE0ELNS1_11target_archE4294967295ELNS1_3gpuE0ELNS1_3repE0EEENS1_30default_config_static_selectorELNS0_4arch9wavefront6targetE1EEEvSK_.has_recursion, 0
	.set _ZN7rocprim17ROCPRIM_400000_NS6detail17trampoline_kernelINS0_14default_configENS1_36segmented_radix_sort_config_selectorIslEEZNS1_25segmented_radix_sort_implIS3_Lb0EPKsPsPKlPlN2at6native12_GLOBAL__N_18offset_tEEE10hipError_tPvRmT1_PNSt15iterator_traitsISK_E10value_typeET2_T3_PNSL_ISQ_E10value_typeET4_jRbjT5_SW_jjP12ihipStream_tbEUlT_E_NS1_11comp_targetILNS1_3genE0ELNS1_11target_archE4294967295ELNS1_3gpuE0ELNS1_3repE0EEENS1_30default_config_static_selectorELNS0_4arch9wavefront6targetE1EEEvSK_.has_indirect_call, 0
	.section	.AMDGPU.csdata,"",@progbits
; Kernel info:
; codeLenInByte = 0
; TotalNumSgprs: 4
; NumVgprs: 0
; ScratchSize: 0
; MemoryBound: 0
; FloatMode: 240
; IeeeMode: 1
; LDSByteSize: 0 bytes/workgroup (compile time only)
; SGPRBlocks: 0
; VGPRBlocks: 0
; NumSGPRsForWavesPerEU: 4
; NumVGPRsForWavesPerEU: 1
; Occupancy: 10
; WaveLimiterHint : 0
; COMPUTE_PGM_RSRC2:SCRATCH_EN: 0
; COMPUTE_PGM_RSRC2:USER_SGPR: 6
; COMPUTE_PGM_RSRC2:TRAP_HANDLER: 0
; COMPUTE_PGM_RSRC2:TGID_X_EN: 1
; COMPUTE_PGM_RSRC2:TGID_Y_EN: 0
; COMPUTE_PGM_RSRC2:TGID_Z_EN: 0
; COMPUTE_PGM_RSRC2:TIDIG_COMP_CNT: 0
	.section	.text._ZN7rocprim17ROCPRIM_400000_NS6detail17trampoline_kernelINS0_14default_configENS1_36segmented_radix_sort_config_selectorIslEEZNS1_25segmented_radix_sort_implIS3_Lb0EPKsPsPKlPlN2at6native12_GLOBAL__N_18offset_tEEE10hipError_tPvRmT1_PNSt15iterator_traitsISK_E10value_typeET2_T3_PNSL_ISQ_E10value_typeET4_jRbjT5_SW_jjP12ihipStream_tbEUlT_E_NS1_11comp_targetILNS1_3genE5ELNS1_11target_archE942ELNS1_3gpuE9ELNS1_3repE0EEENS1_30default_config_static_selectorELNS0_4arch9wavefront6targetE1EEEvSK_,"axG",@progbits,_ZN7rocprim17ROCPRIM_400000_NS6detail17trampoline_kernelINS0_14default_configENS1_36segmented_radix_sort_config_selectorIslEEZNS1_25segmented_radix_sort_implIS3_Lb0EPKsPsPKlPlN2at6native12_GLOBAL__N_18offset_tEEE10hipError_tPvRmT1_PNSt15iterator_traitsISK_E10value_typeET2_T3_PNSL_ISQ_E10value_typeET4_jRbjT5_SW_jjP12ihipStream_tbEUlT_E_NS1_11comp_targetILNS1_3genE5ELNS1_11target_archE942ELNS1_3gpuE9ELNS1_3repE0EEENS1_30default_config_static_selectorELNS0_4arch9wavefront6targetE1EEEvSK_,comdat
	.globl	_ZN7rocprim17ROCPRIM_400000_NS6detail17trampoline_kernelINS0_14default_configENS1_36segmented_radix_sort_config_selectorIslEEZNS1_25segmented_radix_sort_implIS3_Lb0EPKsPsPKlPlN2at6native12_GLOBAL__N_18offset_tEEE10hipError_tPvRmT1_PNSt15iterator_traitsISK_E10value_typeET2_T3_PNSL_ISQ_E10value_typeET4_jRbjT5_SW_jjP12ihipStream_tbEUlT_E_NS1_11comp_targetILNS1_3genE5ELNS1_11target_archE942ELNS1_3gpuE9ELNS1_3repE0EEENS1_30default_config_static_selectorELNS0_4arch9wavefront6targetE1EEEvSK_ ; -- Begin function _ZN7rocprim17ROCPRIM_400000_NS6detail17trampoline_kernelINS0_14default_configENS1_36segmented_radix_sort_config_selectorIslEEZNS1_25segmented_radix_sort_implIS3_Lb0EPKsPsPKlPlN2at6native12_GLOBAL__N_18offset_tEEE10hipError_tPvRmT1_PNSt15iterator_traitsISK_E10value_typeET2_T3_PNSL_ISQ_E10value_typeET4_jRbjT5_SW_jjP12ihipStream_tbEUlT_E_NS1_11comp_targetILNS1_3genE5ELNS1_11target_archE942ELNS1_3gpuE9ELNS1_3repE0EEENS1_30default_config_static_selectorELNS0_4arch9wavefront6targetE1EEEvSK_
	.p2align	8
	.type	_ZN7rocprim17ROCPRIM_400000_NS6detail17trampoline_kernelINS0_14default_configENS1_36segmented_radix_sort_config_selectorIslEEZNS1_25segmented_radix_sort_implIS3_Lb0EPKsPsPKlPlN2at6native12_GLOBAL__N_18offset_tEEE10hipError_tPvRmT1_PNSt15iterator_traitsISK_E10value_typeET2_T3_PNSL_ISQ_E10value_typeET4_jRbjT5_SW_jjP12ihipStream_tbEUlT_E_NS1_11comp_targetILNS1_3genE5ELNS1_11target_archE942ELNS1_3gpuE9ELNS1_3repE0EEENS1_30default_config_static_selectorELNS0_4arch9wavefront6targetE1EEEvSK_,@function
_ZN7rocprim17ROCPRIM_400000_NS6detail17trampoline_kernelINS0_14default_configENS1_36segmented_radix_sort_config_selectorIslEEZNS1_25segmented_radix_sort_implIS3_Lb0EPKsPsPKlPlN2at6native12_GLOBAL__N_18offset_tEEE10hipError_tPvRmT1_PNSt15iterator_traitsISK_E10value_typeET2_T3_PNSL_ISQ_E10value_typeET4_jRbjT5_SW_jjP12ihipStream_tbEUlT_E_NS1_11comp_targetILNS1_3genE5ELNS1_11target_archE942ELNS1_3gpuE9ELNS1_3repE0EEENS1_30default_config_static_selectorELNS0_4arch9wavefront6targetE1EEEvSK_: ; @_ZN7rocprim17ROCPRIM_400000_NS6detail17trampoline_kernelINS0_14default_configENS1_36segmented_radix_sort_config_selectorIslEEZNS1_25segmented_radix_sort_implIS3_Lb0EPKsPsPKlPlN2at6native12_GLOBAL__N_18offset_tEEE10hipError_tPvRmT1_PNSt15iterator_traitsISK_E10value_typeET2_T3_PNSL_ISQ_E10value_typeET4_jRbjT5_SW_jjP12ihipStream_tbEUlT_E_NS1_11comp_targetILNS1_3genE5ELNS1_11target_archE942ELNS1_3gpuE9ELNS1_3repE0EEENS1_30default_config_static_selectorELNS0_4arch9wavefront6targetE1EEEvSK_
; %bb.0:
	.section	.rodata,"a",@progbits
	.p2align	6, 0x0
	.amdhsa_kernel _ZN7rocprim17ROCPRIM_400000_NS6detail17trampoline_kernelINS0_14default_configENS1_36segmented_radix_sort_config_selectorIslEEZNS1_25segmented_radix_sort_implIS3_Lb0EPKsPsPKlPlN2at6native12_GLOBAL__N_18offset_tEEE10hipError_tPvRmT1_PNSt15iterator_traitsISK_E10value_typeET2_T3_PNSL_ISQ_E10value_typeET4_jRbjT5_SW_jjP12ihipStream_tbEUlT_E_NS1_11comp_targetILNS1_3genE5ELNS1_11target_archE942ELNS1_3gpuE9ELNS1_3repE0EEENS1_30default_config_static_selectorELNS0_4arch9wavefront6targetE1EEEvSK_
		.amdhsa_group_segment_fixed_size 0
		.amdhsa_private_segment_fixed_size 0
		.amdhsa_kernarg_size 96
		.amdhsa_user_sgpr_count 6
		.amdhsa_user_sgpr_private_segment_buffer 1
		.amdhsa_user_sgpr_dispatch_ptr 0
		.amdhsa_user_sgpr_queue_ptr 0
		.amdhsa_user_sgpr_kernarg_segment_ptr 1
		.amdhsa_user_sgpr_dispatch_id 0
		.amdhsa_user_sgpr_flat_scratch_init 0
		.amdhsa_user_sgpr_private_segment_size 0
		.amdhsa_uses_dynamic_stack 0
		.amdhsa_system_sgpr_private_segment_wavefront_offset 0
		.amdhsa_system_sgpr_workgroup_id_x 1
		.amdhsa_system_sgpr_workgroup_id_y 0
		.amdhsa_system_sgpr_workgroup_id_z 0
		.amdhsa_system_sgpr_workgroup_info 0
		.amdhsa_system_vgpr_workitem_id 0
		.amdhsa_next_free_vgpr 1
		.amdhsa_next_free_sgpr 0
		.amdhsa_reserve_vcc 0
		.amdhsa_reserve_flat_scratch 0
		.amdhsa_float_round_mode_32 0
		.amdhsa_float_round_mode_16_64 0
		.amdhsa_float_denorm_mode_32 3
		.amdhsa_float_denorm_mode_16_64 3
		.amdhsa_dx10_clamp 1
		.amdhsa_ieee_mode 1
		.amdhsa_fp16_overflow 0
		.amdhsa_exception_fp_ieee_invalid_op 0
		.amdhsa_exception_fp_denorm_src 0
		.amdhsa_exception_fp_ieee_div_zero 0
		.amdhsa_exception_fp_ieee_overflow 0
		.amdhsa_exception_fp_ieee_underflow 0
		.amdhsa_exception_fp_ieee_inexact 0
		.amdhsa_exception_int_div_zero 0
	.end_amdhsa_kernel
	.section	.text._ZN7rocprim17ROCPRIM_400000_NS6detail17trampoline_kernelINS0_14default_configENS1_36segmented_radix_sort_config_selectorIslEEZNS1_25segmented_radix_sort_implIS3_Lb0EPKsPsPKlPlN2at6native12_GLOBAL__N_18offset_tEEE10hipError_tPvRmT1_PNSt15iterator_traitsISK_E10value_typeET2_T3_PNSL_ISQ_E10value_typeET4_jRbjT5_SW_jjP12ihipStream_tbEUlT_E_NS1_11comp_targetILNS1_3genE5ELNS1_11target_archE942ELNS1_3gpuE9ELNS1_3repE0EEENS1_30default_config_static_selectorELNS0_4arch9wavefront6targetE1EEEvSK_,"axG",@progbits,_ZN7rocprim17ROCPRIM_400000_NS6detail17trampoline_kernelINS0_14default_configENS1_36segmented_radix_sort_config_selectorIslEEZNS1_25segmented_radix_sort_implIS3_Lb0EPKsPsPKlPlN2at6native12_GLOBAL__N_18offset_tEEE10hipError_tPvRmT1_PNSt15iterator_traitsISK_E10value_typeET2_T3_PNSL_ISQ_E10value_typeET4_jRbjT5_SW_jjP12ihipStream_tbEUlT_E_NS1_11comp_targetILNS1_3genE5ELNS1_11target_archE942ELNS1_3gpuE9ELNS1_3repE0EEENS1_30default_config_static_selectorELNS0_4arch9wavefront6targetE1EEEvSK_,comdat
.Lfunc_end1015:
	.size	_ZN7rocprim17ROCPRIM_400000_NS6detail17trampoline_kernelINS0_14default_configENS1_36segmented_radix_sort_config_selectorIslEEZNS1_25segmented_radix_sort_implIS3_Lb0EPKsPsPKlPlN2at6native12_GLOBAL__N_18offset_tEEE10hipError_tPvRmT1_PNSt15iterator_traitsISK_E10value_typeET2_T3_PNSL_ISQ_E10value_typeET4_jRbjT5_SW_jjP12ihipStream_tbEUlT_E_NS1_11comp_targetILNS1_3genE5ELNS1_11target_archE942ELNS1_3gpuE9ELNS1_3repE0EEENS1_30default_config_static_selectorELNS0_4arch9wavefront6targetE1EEEvSK_, .Lfunc_end1015-_ZN7rocprim17ROCPRIM_400000_NS6detail17trampoline_kernelINS0_14default_configENS1_36segmented_radix_sort_config_selectorIslEEZNS1_25segmented_radix_sort_implIS3_Lb0EPKsPsPKlPlN2at6native12_GLOBAL__N_18offset_tEEE10hipError_tPvRmT1_PNSt15iterator_traitsISK_E10value_typeET2_T3_PNSL_ISQ_E10value_typeET4_jRbjT5_SW_jjP12ihipStream_tbEUlT_E_NS1_11comp_targetILNS1_3genE5ELNS1_11target_archE942ELNS1_3gpuE9ELNS1_3repE0EEENS1_30default_config_static_selectorELNS0_4arch9wavefront6targetE1EEEvSK_
                                        ; -- End function
	.set _ZN7rocprim17ROCPRIM_400000_NS6detail17trampoline_kernelINS0_14default_configENS1_36segmented_radix_sort_config_selectorIslEEZNS1_25segmented_radix_sort_implIS3_Lb0EPKsPsPKlPlN2at6native12_GLOBAL__N_18offset_tEEE10hipError_tPvRmT1_PNSt15iterator_traitsISK_E10value_typeET2_T3_PNSL_ISQ_E10value_typeET4_jRbjT5_SW_jjP12ihipStream_tbEUlT_E_NS1_11comp_targetILNS1_3genE5ELNS1_11target_archE942ELNS1_3gpuE9ELNS1_3repE0EEENS1_30default_config_static_selectorELNS0_4arch9wavefront6targetE1EEEvSK_.num_vgpr, 0
	.set _ZN7rocprim17ROCPRIM_400000_NS6detail17trampoline_kernelINS0_14default_configENS1_36segmented_radix_sort_config_selectorIslEEZNS1_25segmented_radix_sort_implIS3_Lb0EPKsPsPKlPlN2at6native12_GLOBAL__N_18offset_tEEE10hipError_tPvRmT1_PNSt15iterator_traitsISK_E10value_typeET2_T3_PNSL_ISQ_E10value_typeET4_jRbjT5_SW_jjP12ihipStream_tbEUlT_E_NS1_11comp_targetILNS1_3genE5ELNS1_11target_archE942ELNS1_3gpuE9ELNS1_3repE0EEENS1_30default_config_static_selectorELNS0_4arch9wavefront6targetE1EEEvSK_.num_agpr, 0
	.set _ZN7rocprim17ROCPRIM_400000_NS6detail17trampoline_kernelINS0_14default_configENS1_36segmented_radix_sort_config_selectorIslEEZNS1_25segmented_radix_sort_implIS3_Lb0EPKsPsPKlPlN2at6native12_GLOBAL__N_18offset_tEEE10hipError_tPvRmT1_PNSt15iterator_traitsISK_E10value_typeET2_T3_PNSL_ISQ_E10value_typeET4_jRbjT5_SW_jjP12ihipStream_tbEUlT_E_NS1_11comp_targetILNS1_3genE5ELNS1_11target_archE942ELNS1_3gpuE9ELNS1_3repE0EEENS1_30default_config_static_selectorELNS0_4arch9wavefront6targetE1EEEvSK_.numbered_sgpr, 0
	.set _ZN7rocprim17ROCPRIM_400000_NS6detail17trampoline_kernelINS0_14default_configENS1_36segmented_radix_sort_config_selectorIslEEZNS1_25segmented_radix_sort_implIS3_Lb0EPKsPsPKlPlN2at6native12_GLOBAL__N_18offset_tEEE10hipError_tPvRmT1_PNSt15iterator_traitsISK_E10value_typeET2_T3_PNSL_ISQ_E10value_typeET4_jRbjT5_SW_jjP12ihipStream_tbEUlT_E_NS1_11comp_targetILNS1_3genE5ELNS1_11target_archE942ELNS1_3gpuE9ELNS1_3repE0EEENS1_30default_config_static_selectorELNS0_4arch9wavefront6targetE1EEEvSK_.num_named_barrier, 0
	.set _ZN7rocprim17ROCPRIM_400000_NS6detail17trampoline_kernelINS0_14default_configENS1_36segmented_radix_sort_config_selectorIslEEZNS1_25segmented_radix_sort_implIS3_Lb0EPKsPsPKlPlN2at6native12_GLOBAL__N_18offset_tEEE10hipError_tPvRmT1_PNSt15iterator_traitsISK_E10value_typeET2_T3_PNSL_ISQ_E10value_typeET4_jRbjT5_SW_jjP12ihipStream_tbEUlT_E_NS1_11comp_targetILNS1_3genE5ELNS1_11target_archE942ELNS1_3gpuE9ELNS1_3repE0EEENS1_30default_config_static_selectorELNS0_4arch9wavefront6targetE1EEEvSK_.private_seg_size, 0
	.set _ZN7rocprim17ROCPRIM_400000_NS6detail17trampoline_kernelINS0_14default_configENS1_36segmented_radix_sort_config_selectorIslEEZNS1_25segmented_radix_sort_implIS3_Lb0EPKsPsPKlPlN2at6native12_GLOBAL__N_18offset_tEEE10hipError_tPvRmT1_PNSt15iterator_traitsISK_E10value_typeET2_T3_PNSL_ISQ_E10value_typeET4_jRbjT5_SW_jjP12ihipStream_tbEUlT_E_NS1_11comp_targetILNS1_3genE5ELNS1_11target_archE942ELNS1_3gpuE9ELNS1_3repE0EEENS1_30default_config_static_selectorELNS0_4arch9wavefront6targetE1EEEvSK_.uses_vcc, 0
	.set _ZN7rocprim17ROCPRIM_400000_NS6detail17trampoline_kernelINS0_14default_configENS1_36segmented_radix_sort_config_selectorIslEEZNS1_25segmented_radix_sort_implIS3_Lb0EPKsPsPKlPlN2at6native12_GLOBAL__N_18offset_tEEE10hipError_tPvRmT1_PNSt15iterator_traitsISK_E10value_typeET2_T3_PNSL_ISQ_E10value_typeET4_jRbjT5_SW_jjP12ihipStream_tbEUlT_E_NS1_11comp_targetILNS1_3genE5ELNS1_11target_archE942ELNS1_3gpuE9ELNS1_3repE0EEENS1_30default_config_static_selectorELNS0_4arch9wavefront6targetE1EEEvSK_.uses_flat_scratch, 0
	.set _ZN7rocprim17ROCPRIM_400000_NS6detail17trampoline_kernelINS0_14default_configENS1_36segmented_radix_sort_config_selectorIslEEZNS1_25segmented_radix_sort_implIS3_Lb0EPKsPsPKlPlN2at6native12_GLOBAL__N_18offset_tEEE10hipError_tPvRmT1_PNSt15iterator_traitsISK_E10value_typeET2_T3_PNSL_ISQ_E10value_typeET4_jRbjT5_SW_jjP12ihipStream_tbEUlT_E_NS1_11comp_targetILNS1_3genE5ELNS1_11target_archE942ELNS1_3gpuE9ELNS1_3repE0EEENS1_30default_config_static_selectorELNS0_4arch9wavefront6targetE1EEEvSK_.has_dyn_sized_stack, 0
	.set _ZN7rocprim17ROCPRIM_400000_NS6detail17trampoline_kernelINS0_14default_configENS1_36segmented_radix_sort_config_selectorIslEEZNS1_25segmented_radix_sort_implIS3_Lb0EPKsPsPKlPlN2at6native12_GLOBAL__N_18offset_tEEE10hipError_tPvRmT1_PNSt15iterator_traitsISK_E10value_typeET2_T3_PNSL_ISQ_E10value_typeET4_jRbjT5_SW_jjP12ihipStream_tbEUlT_E_NS1_11comp_targetILNS1_3genE5ELNS1_11target_archE942ELNS1_3gpuE9ELNS1_3repE0EEENS1_30default_config_static_selectorELNS0_4arch9wavefront6targetE1EEEvSK_.has_recursion, 0
	.set _ZN7rocprim17ROCPRIM_400000_NS6detail17trampoline_kernelINS0_14default_configENS1_36segmented_radix_sort_config_selectorIslEEZNS1_25segmented_radix_sort_implIS3_Lb0EPKsPsPKlPlN2at6native12_GLOBAL__N_18offset_tEEE10hipError_tPvRmT1_PNSt15iterator_traitsISK_E10value_typeET2_T3_PNSL_ISQ_E10value_typeET4_jRbjT5_SW_jjP12ihipStream_tbEUlT_E_NS1_11comp_targetILNS1_3genE5ELNS1_11target_archE942ELNS1_3gpuE9ELNS1_3repE0EEENS1_30default_config_static_selectorELNS0_4arch9wavefront6targetE1EEEvSK_.has_indirect_call, 0
	.section	.AMDGPU.csdata,"",@progbits
; Kernel info:
; codeLenInByte = 0
; TotalNumSgprs: 4
; NumVgprs: 0
; ScratchSize: 0
; MemoryBound: 0
; FloatMode: 240
; IeeeMode: 1
; LDSByteSize: 0 bytes/workgroup (compile time only)
; SGPRBlocks: 0
; VGPRBlocks: 0
; NumSGPRsForWavesPerEU: 4
; NumVGPRsForWavesPerEU: 1
; Occupancy: 10
; WaveLimiterHint : 0
; COMPUTE_PGM_RSRC2:SCRATCH_EN: 0
; COMPUTE_PGM_RSRC2:USER_SGPR: 6
; COMPUTE_PGM_RSRC2:TRAP_HANDLER: 0
; COMPUTE_PGM_RSRC2:TGID_X_EN: 1
; COMPUTE_PGM_RSRC2:TGID_Y_EN: 0
; COMPUTE_PGM_RSRC2:TGID_Z_EN: 0
; COMPUTE_PGM_RSRC2:TIDIG_COMP_CNT: 0
	.section	.text._ZN7rocprim17ROCPRIM_400000_NS6detail17trampoline_kernelINS0_14default_configENS1_36segmented_radix_sort_config_selectorIslEEZNS1_25segmented_radix_sort_implIS3_Lb0EPKsPsPKlPlN2at6native12_GLOBAL__N_18offset_tEEE10hipError_tPvRmT1_PNSt15iterator_traitsISK_E10value_typeET2_T3_PNSL_ISQ_E10value_typeET4_jRbjT5_SW_jjP12ihipStream_tbEUlT_E_NS1_11comp_targetILNS1_3genE4ELNS1_11target_archE910ELNS1_3gpuE8ELNS1_3repE0EEENS1_30default_config_static_selectorELNS0_4arch9wavefront6targetE1EEEvSK_,"axG",@progbits,_ZN7rocprim17ROCPRIM_400000_NS6detail17trampoline_kernelINS0_14default_configENS1_36segmented_radix_sort_config_selectorIslEEZNS1_25segmented_radix_sort_implIS3_Lb0EPKsPsPKlPlN2at6native12_GLOBAL__N_18offset_tEEE10hipError_tPvRmT1_PNSt15iterator_traitsISK_E10value_typeET2_T3_PNSL_ISQ_E10value_typeET4_jRbjT5_SW_jjP12ihipStream_tbEUlT_E_NS1_11comp_targetILNS1_3genE4ELNS1_11target_archE910ELNS1_3gpuE8ELNS1_3repE0EEENS1_30default_config_static_selectorELNS0_4arch9wavefront6targetE1EEEvSK_,comdat
	.globl	_ZN7rocprim17ROCPRIM_400000_NS6detail17trampoline_kernelINS0_14default_configENS1_36segmented_radix_sort_config_selectorIslEEZNS1_25segmented_radix_sort_implIS3_Lb0EPKsPsPKlPlN2at6native12_GLOBAL__N_18offset_tEEE10hipError_tPvRmT1_PNSt15iterator_traitsISK_E10value_typeET2_T3_PNSL_ISQ_E10value_typeET4_jRbjT5_SW_jjP12ihipStream_tbEUlT_E_NS1_11comp_targetILNS1_3genE4ELNS1_11target_archE910ELNS1_3gpuE8ELNS1_3repE0EEENS1_30default_config_static_selectorELNS0_4arch9wavefront6targetE1EEEvSK_ ; -- Begin function _ZN7rocprim17ROCPRIM_400000_NS6detail17trampoline_kernelINS0_14default_configENS1_36segmented_radix_sort_config_selectorIslEEZNS1_25segmented_radix_sort_implIS3_Lb0EPKsPsPKlPlN2at6native12_GLOBAL__N_18offset_tEEE10hipError_tPvRmT1_PNSt15iterator_traitsISK_E10value_typeET2_T3_PNSL_ISQ_E10value_typeET4_jRbjT5_SW_jjP12ihipStream_tbEUlT_E_NS1_11comp_targetILNS1_3genE4ELNS1_11target_archE910ELNS1_3gpuE8ELNS1_3repE0EEENS1_30default_config_static_selectorELNS0_4arch9wavefront6targetE1EEEvSK_
	.p2align	8
	.type	_ZN7rocprim17ROCPRIM_400000_NS6detail17trampoline_kernelINS0_14default_configENS1_36segmented_radix_sort_config_selectorIslEEZNS1_25segmented_radix_sort_implIS3_Lb0EPKsPsPKlPlN2at6native12_GLOBAL__N_18offset_tEEE10hipError_tPvRmT1_PNSt15iterator_traitsISK_E10value_typeET2_T3_PNSL_ISQ_E10value_typeET4_jRbjT5_SW_jjP12ihipStream_tbEUlT_E_NS1_11comp_targetILNS1_3genE4ELNS1_11target_archE910ELNS1_3gpuE8ELNS1_3repE0EEENS1_30default_config_static_selectorELNS0_4arch9wavefront6targetE1EEEvSK_,@function
_ZN7rocprim17ROCPRIM_400000_NS6detail17trampoline_kernelINS0_14default_configENS1_36segmented_radix_sort_config_selectorIslEEZNS1_25segmented_radix_sort_implIS3_Lb0EPKsPsPKlPlN2at6native12_GLOBAL__N_18offset_tEEE10hipError_tPvRmT1_PNSt15iterator_traitsISK_E10value_typeET2_T3_PNSL_ISQ_E10value_typeET4_jRbjT5_SW_jjP12ihipStream_tbEUlT_E_NS1_11comp_targetILNS1_3genE4ELNS1_11target_archE910ELNS1_3gpuE8ELNS1_3repE0EEENS1_30default_config_static_selectorELNS0_4arch9wavefront6targetE1EEEvSK_: ; @_ZN7rocprim17ROCPRIM_400000_NS6detail17trampoline_kernelINS0_14default_configENS1_36segmented_radix_sort_config_selectorIslEEZNS1_25segmented_radix_sort_implIS3_Lb0EPKsPsPKlPlN2at6native12_GLOBAL__N_18offset_tEEE10hipError_tPvRmT1_PNSt15iterator_traitsISK_E10value_typeET2_T3_PNSL_ISQ_E10value_typeET4_jRbjT5_SW_jjP12ihipStream_tbEUlT_E_NS1_11comp_targetILNS1_3genE4ELNS1_11target_archE910ELNS1_3gpuE8ELNS1_3repE0EEENS1_30default_config_static_selectorELNS0_4arch9wavefront6targetE1EEEvSK_
; %bb.0:
	.section	.rodata,"a",@progbits
	.p2align	6, 0x0
	.amdhsa_kernel _ZN7rocprim17ROCPRIM_400000_NS6detail17trampoline_kernelINS0_14default_configENS1_36segmented_radix_sort_config_selectorIslEEZNS1_25segmented_radix_sort_implIS3_Lb0EPKsPsPKlPlN2at6native12_GLOBAL__N_18offset_tEEE10hipError_tPvRmT1_PNSt15iterator_traitsISK_E10value_typeET2_T3_PNSL_ISQ_E10value_typeET4_jRbjT5_SW_jjP12ihipStream_tbEUlT_E_NS1_11comp_targetILNS1_3genE4ELNS1_11target_archE910ELNS1_3gpuE8ELNS1_3repE0EEENS1_30default_config_static_selectorELNS0_4arch9wavefront6targetE1EEEvSK_
		.amdhsa_group_segment_fixed_size 0
		.amdhsa_private_segment_fixed_size 0
		.amdhsa_kernarg_size 96
		.amdhsa_user_sgpr_count 6
		.amdhsa_user_sgpr_private_segment_buffer 1
		.amdhsa_user_sgpr_dispatch_ptr 0
		.amdhsa_user_sgpr_queue_ptr 0
		.amdhsa_user_sgpr_kernarg_segment_ptr 1
		.amdhsa_user_sgpr_dispatch_id 0
		.amdhsa_user_sgpr_flat_scratch_init 0
		.amdhsa_user_sgpr_private_segment_size 0
		.amdhsa_uses_dynamic_stack 0
		.amdhsa_system_sgpr_private_segment_wavefront_offset 0
		.amdhsa_system_sgpr_workgroup_id_x 1
		.amdhsa_system_sgpr_workgroup_id_y 0
		.amdhsa_system_sgpr_workgroup_id_z 0
		.amdhsa_system_sgpr_workgroup_info 0
		.amdhsa_system_vgpr_workitem_id 0
		.amdhsa_next_free_vgpr 1
		.amdhsa_next_free_sgpr 0
		.amdhsa_reserve_vcc 0
		.amdhsa_reserve_flat_scratch 0
		.amdhsa_float_round_mode_32 0
		.amdhsa_float_round_mode_16_64 0
		.amdhsa_float_denorm_mode_32 3
		.amdhsa_float_denorm_mode_16_64 3
		.amdhsa_dx10_clamp 1
		.amdhsa_ieee_mode 1
		.amdhsa_fp16_overflow 0
		.amdhsa_exception_fp_ieee_invalid_op 0
		.amdhsa_exception_fp_denorm_src 0
		.amdhsa_exception_fp_ieee_div_zero 0
		.amdhsa_exception_fp_ieee_overflow 0
		.amdhsa_exception_fp_ieee_underflow 0
		.amdhsa_exception_fp_ieee_inexact 0
		.amdhsa_exception_int_div_zero 0
	.end_amdhsa_kernel
	.section	.text._ZN7rocprim17ROCPRIM_400000_NS6detail17trampoline_kernelINS0_14default_configENS1_36segmented_radix_sort_config_selectorIslEEZNS1_25segmented_radix_sort_implIS3_Lb0EPKsPsPKlPlN2at6native12_GLOBAL__N_18offset_tEEE10hipError_tPvRmT1_PNSt15iterator_traitsISK_E10value_typeET2_T3_PNSL_ISQ_E10value_typeET4_jRbjT5_SW_jjP12ihipStream_tbEUlT_E_NS1_11comp_targetILNS1_3genE4ELNS1_11target_archE910ELNS1_3gpuE8ELNS1_3repE0EEENS1_30default_config_static_selectorELNS0_4arch9wavefront6targetE1EEEvSK_,"axG",@progbits,_ZN7rocprim17ROCPRIM_400000_NS6detail17trampoline_kernelINS0_14default_configENS1_36segmented_radix_sort_config_selectorIslEEZNS1_25segmented_radix_sort_implIS3_Lb0EPKsPsPKlPlN2at6native12_GLOBAL__N_18offset_tEEE10hipError_tPvRmT1_PNSt15iterator_traitsISK_E10value_typeET2_T3_PNSL_ISQ_E10value_typeET4_jRbjT5_SW_jjP12ihipStream_tbEUlT_E_NS1_11comp_targetILNS1_3genE4ELNS1_11target_archE910ELNS1_3gpuE8ELNS1_3repE0EEENS1_30default_config_static_selectorELNS0_4arch9wavefront6targetE1EEEvSK_,comdat
.Lfunc_end1016:
	.size	_ZN7rocprim17ROCPRIM_400000_NS6detail17trampoline_kernelINS0_14default_configENS1_36segmented_radix_sort_config_selectorIslEEZNS1_25segmented_radix_sort_implIS3_Lb0EPKsPsPKlPlN2at6native12_GLOBAL__N_18offset_tEEE10hipError_tPvRmT1_PNSt15iterator_traitsISK_E10value_typeET2_T3_PNSL_ISQ_E10value_typeET4_jRbjT5_SW_jjP12ihipStream_tbEUlT_E_NS1_11comp_targetILNS1_3genE4ELNS1_11target_archE910ELNS1_3gpuE8ELNS1_3repE0EEENS1_30default_config_static_selectorELNS0_4arch9wavefront6targetE1EEEvSK_, .Lfunc_end1016-_ZN7rocprim17ROCPRIM_400000_NS6detail17trampoline_kernelINS0_14default_configENS1_36segmented_radix_sort_config_selectorIslEEZNS1_25segmented_radix_sort_implIS3_Lb0EPKsPsPKlPlN2at6native12_GLOBAL__N_18offset_tEEE10hipError_tPvRmT1_PNSt15iterator_traitsISK_E10value_typeET2_T3_PNSL_ISQ_E10value_typeET4_jRbjT5_SW_jjP12ihipStream_tbEUlT_E_NS1_11comp_targetILNS1_3genE4ELNS1_11target_archE910ELNS1_3gpuE8ELNS1_3repE0EEENS1_30default_config_static_selectorELNS0_4arch9wavefront6targetE1EEEvSK_
                                        ; -- End function
	.set _ZN7rocprim17ROCPRIM_400000_NS6detail17trampoline_kernelINS0_14default_configENS1_36segmented_radix_sort_config_selectorIslEEZNS1_25segmented_radix_sort_implIS3_Lb0EPKsPsPKlPlN2at6native12_GLOBAL__N_18offset_tEEE10hipError_tPvRmT1_PNSt15iterator_traitsISK_E10value_typeET2_T3_PNSL_ISQ_E10value_typeET4_jRbjT5_SW_jjP12ihipStream_tbEUlT_E_NS1_11comp_targetILNS1_3genE4ELNS1_11target_archE910ELNS1_3gpuE8ELNS1_3repE0EEENS1_30default_config_static_selectorELNS0_4arch9wavefront6targetE1EEEvSK_.num_vgpr, 0
	.set _ZN7rocprim17ROCPRIM_400000_NS6detail17trampoline_kernelINS0_14default_configENS1_36segmented_radix_sort_config_selectorIslEEZNS1_25segmented_radix_sort_implIS3_Lb0EPKsPsPKlPlN2at6native12_GLOBAL__N_18offset_tEEE10hipError_tPvRmT1_PNSt15iterator_traitsISK_E10value_typeET2_T3_PNSL_ISQ_E10value_typeET4_jRbjT5_SW_jjP12ihipStream_tbEUlT_E_NS1_11comp_targetILNS1_3genE4ELNS1_11target_archE910ELNS1_3gpuE8ELNS1_3repE0EEENS1_30default_config_static_selectorELNS0_4arch9wavefront6targetE1EEEvSK_.num_agpr, 0
	.set _ZN7rocprim17ROCPRIM_400000_NS6detail17trampoline_kernelINS0_14default_configENS1_36segmented_radix_sort_config_selectorIslEEZNS1_25segmented_radix_sort_implIS3_Lb0EPKsPsPKlPlN2at6native12_GLOBAL__N_18offset_tEEE10hipError_tPvRmT1_PNSt15iterator_traitsISK_E10value_typeET2_T3_PNSL_ISQ_E10value_typeET4_jRbjT5_SW_jjP12ihipStream_tbEUlT_E_NS1_11comp_targetILNS1_3genE4ELNS1_11target_archE910ELNS1_3gpuE8ELNS1_3repE0EEENS1_30default_config_static_selectorELNS0_4arch9wavefront6targetE1EEEvSK_.numbered_sgpr, 0
	.set _ZN7rocprim17ROCPRIM_400000_NS6detail17trampoline_kernelINS0_14default_configENS1_36segmented_radix_sort_config_selectorIslEEZNS1_25segmented_radix_sort_implIS3_Lb0EPKsPsPKlPlN2at6native12_GLOBAL__N_18offset_tEEE10hipError_tPvRmT1_PNSt15iterator_traitsISK_E10value_typeET2_T3_PNSL_ISQ_E10value_typeET4_jRbjT5_SW_jjP12ihipStream_tbEUlT_E_NS1_11comp_targetILNS1_3genE4ELNS1_11target_archE910ELNS1_3gpuE8ELNS1_3repE0EEENS1_30default_config_static_selectorELNS0_4arch9wavefront6targetE1EEEvSK_.num_named_barrier, 0
	.set _ZN7rocprim17ROCPRIM_400000_NS6detail17trampoline_kernelINS0_14default_configENS1_36segmented_radix_sort_config_selectorIslEEZNS1_25segmented_radix_sort_implIS3_Lb0EPKsPsPKlPlN2at6native12_GLOBAL__N_18offset_tEEE10hipError_tPvRmT1_PNSt15iterator_traitsISK_E10value_typeET2_T3_PNSL_ISQ_E10value_typeET4_jRbjT5_SW_jjP12ihipStream_tbEUlT_E_NS1_11comp_targetILNS1_3genE4ELNS1_11target_archE910ELNS1_3gpuE8ELNS1_3repE0EEENS1_30default_config_static_selectorELNS0_4arch9wavefront6targetE1EEEvSK_.private_seg_size, 0
	.set _ZN7rocprim17ROCPRIM_400000_NS6detail17trampoline_kernelINS0_14default_configENS1_36segmented_radix_sort_config_selectorIslEEZNS1_25segmented_radix_sort_implIS3_Lb0EPKsPsPKlPlN2at6native12_GLOBAL__N_18offset_tEEE10hipError_tPvRmT1_PNSt15iterator_traitsISK_E10value_typeET2_T3_PNSL_ISQ_E10value_typeET4_jRbjT5_SW_jjP12ihipStream_tbEUlT_E_NS1_11comp_targetILNS1_3genE4ELNS1_11target_archE910ELNS1_3gpuE8ELNS1_3repE0EEENS1_30default_config_static_selectorELNS0_4arch9wavefront6targetE1EEEvSK_.uses_vcc, 0
	.set _ZN7rocprim17ROCPRIM_400000_NS6detail17trampoline_kernelINS0_14default_configENS1_36segmented_radix_sort_config_selectorIslEEZNS1_25segmented_radix_sort_implIS3_Lb0EPKsPsPKlPlN2at6native12_GLOBAL__N_18offset_tEEE10hipError_tPvRmT1_PNSt15iterator_traitsISK_E10value_typeET2_T3_PNSL_ISQ_E10value_typeET4_jRbjT5_SW_jjP12ihipStream_tbEUlT_E_NS1_11comp_targetILNS1_3genE4ELNS1_11target_archE910ELNS1_3gpuE8ELNS1_3repE0EEENS1_30default_config_static_selectorELNS0_4arch9wavefront6targetE1EEEvSK_.uses_flat_scratch, 0
	.set _ZN7rocprim17ROCPRIM_400000_NS6detail17trampoline_kernelINS0_14default_configENS1_36segmented_radix_sort_config_selectorIslEEZNS1_25segmented_radix_sort_implIS3_Lb0EPKsPsPKlPlN2at6native12_GLOBAL__N_18offset_tEEE10hipError_tPvRmT1_PNSt15iterator_traitsISK_E10value_typeET2_T3_PNSL_ISQ_E10value_typeET4_jRbjT5_SW_jjP12ihipStream_tbEUlT_E_NS1_11comp_targetILNS1_3genE4ELNS1_11target_archE910ELNS1_3gpuE8ELNS1_3repE0EEENS1_30default_config_static_selectorELNS0_4arch9wavefront6targetE1EEEvSK_.has_dyn_sized_stack, 0
	.set _ZN7rocprim17ROCPRIM_400000_NS6detail17trampoline_kernelINS0_14default_configENS1_36segmented_radix_sort_config_selectorIslEEZNS1_25segmented_radix_sort_implIS3_Lb0EPKsPsPKlPlN2at6native12_GLOBAL__N_18offset_tEEE10hipError_tPvRmT1_PNSt15iterator_traitsISK_E10value_typeET2_T3_PNSL_ISQ_E10value_typeET4_jRbjT5_SW_jjP12ihipStream_tbEUlT_E_NS1_11comp_targetILNS1_3genE4ELNS1_11target_archE910ELNS1_3gpuE8ELNS1_3repE0EEENS1_30default_config_static_selectorELNS0_4arch9wavefront6targetE1EEEvSK_.has_recursion, 0
	.set _ZN7rocprim17ROCPRIM_400000_NS6detail17trampoline_kernelINS0_14default_configENS1_36segmented_radix_sort_config_selectorIslEEZNS1_25segmented_radix_sort_implIS3_Lb0EPKsPsPKlPlN2at6native12_GLOBAL__N_18offset_tEEE10hipError_tPvRmT1_PNSt15iterator_traitsISK_E10value_typeET2_T3_PNSL_ISQ_E10value_typeET4_jRbjT5_SW_jjP12ihipStream_tbEUlT_E_NS1_11comp_targetILNS1_3genE4ELNS1_11target_archE910ELNS1_3gpuE8ELNS1_3repE0EEENS1_30default_config_static_selectorELNS0_4arch9wavefront6targetE1EEEvSK_.has_indirect_call, 0
	.section	.AMDGPU.csdata,"",@progbits
; Kernel info:
; codeLenInByte = 0
; TotalNumSgprs: 4
; NumVgprs: 0
; ScratchSize: 0
; MemoryBound: 0
; FloatMode: 240
; IeeeMode: 1
; LDSByteSize: 0 bytes/workgroup (compile time only)
; SGPRBlocks: 0
; VGPRBlocks: 0
; NumSGPRsForWavesPerEU: 4
; NumVGPRsForWavesPerEU: 1
; Occupancy: 10
; WaveLimiterHint : 0
; COMPUTE_PGM_RSRC2:SCRATCH_EN: 0
; COMPUTE_PGM_RSRC2:USER_SGPR: 6
; COMPUTE_PGM_RSRC2:TRAP_HANDLER: 0
; COMPUTE_PGM_RSRC2:TGID_X_EN: 1
; COMPUTE_PGM_RSRC2:TGID_Y_EN: 0
; COMPUTE_PGM_RSRC2:TGID_Z_EN: 0
; COMPUTE_PGM_RSRC2:TIDIG_COMP_CNT: 0
	.section	.text._ZN7rocprim17ROCPRIM_400000_NS6detail17trampoline_kernelINS0_14default_configENS1_36segmented_radix_sort_config_selectorIslEEZNS1_25segmented_radix_sort_implIS3_Lb0EPKsPsPKlPlN2at6native12_GLOBAL__N_18offset_tEEE10hipError_tPvRmT1_PNSt15iterator_traitsISK_E10value_typeET2_T3_PNSL_ISQ_E10value_typeET4_jRbjT5_SW_jjP12ihipStream_tbEUlT_E_NS1_11comp_targetILNS1_3genE3ELNS1_11target_archE908ELNS1_3gpuE7ELNS1_3repE0EEENS1_30default_config_static_selectorELNS0_4arch9wavefront6targetE1EEEvSK_,"axG",@progbits,_ZN7rocprim17ROCPRIM_400000_NS6detail17trampoline_kernelINS0_14default_configENS1_36segmented_radix_sort_config_selectorIslEEZNS1_25segmented_radix_sort_implIS3_Lb0EPKsPsPKlPlN2at6native12_GLOBAL__N_18offset_tEEE10hipError_tPvRmT1_PNSt15iterator_traitsISK_E10value_typeET2_T3_PNSL_ISQ_E10value_typeET4_jRbjT5_SW_jjP12ihipStream_tbEUlT_E_NS1_11comp_targetILNS1_3genE3ELNS1_11target_archE908ELNS1_3gpuE7ELNS1_3repE0EEENS1_30default_config_static_selectorELNS0_4arch9wavefront6targetE1EEEvSK_,comdat
	.globl	_ZN7rocprim17ROCPRIM_400000_NS6detail17trampoline_kernelINS0_14default_configENS1_36segmented_radix_sort_config_selectorIslEEZNS1_25segmented_radix_sort_implIS3_Lb0EPKsPsPKlPlN2at6native12_GLOBAL__N_18offset_tEEE10hipError_tPvRmT1_PNSt15iterator_traitsISK_E10value_typeET2_T3_PNSL_ISQ_E10value_typeET4_jRbjT5_SW_jjP12ihipStream_tbEUlT_E_NS1_11comp_targetILNS1_3genE3ELNS1_11target_archE908ELNS1_3gpuE7ELNS1_3repE0EEENS1_30default_config_static_selectorELNS0_4arch9wavefront6targetE1EEEvSK_ ; -- Begin function _ZN7rocprim17ROCPRIM_400000_NS6detail17trampoline_kernelINS0_14default_configENS1_36segmented_radix_sort_config_selectorIslEEZNS1_25segmented_radix_sort_implIS3_Lb0EPKsPsPKlPlN2at6native12_GLOBAL__N_18offset_tEEE10hipError_tPvRmT1_PNSt15iterator_traitsISK_E10value_typeET2_T3_PNSL_ISQ_E10value_typeET4_jRbjT5_SW_jjP12ihipStream_tbEUlT_E_NS1_11comp_targetILNS1_3genE3ELNS1_11target_archE908ELNS1_3gpuE7ELNS1_3repE0EEENS1_30default_config_static_selectorELNS0_4arch9wavefront6targetE1EEEvSK_
	.p2align	8
	.type	_ZN7rocprim17ROCPRIM_400000_NS6detail17trampoline_kernelINS0_14default_configENS1_36segmented_radix_sort_config_selectorIslEEZNS1_25segmented_radix_sort_implIS3_Lb0EPKsPsPKlPlN2at6native12_GLOBAL__N_18offset_tEEE10hipError_tPvRmT1_PNSt15iterator_traitsISK_E10value_typeET2_T3_PNSL_ISQ_E10value_typeET4_jRbjT5_SW_jjP12ihipStream_tbEUlT_E_NS1_11comp_targetILNS1_3genE3ELNS1_11target_archE908ELNS1_3gpuE7ELNS1_3repE0EEENS1_30default_config_static_selectorELNS0_4arch9wavefront6targetE1EEEvSK_,@function
_ZN7rocprim17ROCPRIM_400000_NS6detail17trampoline_kernelINS0_14default_configENS1_36segmented_radix_sort_config_selectorIslEEZNS1_25segmented_radix_sort_implIS3_Lb0EPKsPsPKlPlN2at6native12_GLOBAL__N_18offset_tEEE10hipError_tPvRmT1_PNSt15iterator_traitsISK_E10value_typeET2_T3_PNSL_ISQ_E10value_typeET4_jRbjT5_SW_jjP12ihipStream_tbEUlT_E_NS1_11comp_targetILNS1_3genE3ELNS1_11target_archE908ELNS1_3gpuE7ELNS1_3repE0EEENS1_30default_config_static_selectorELNS0_4arch9wavefront6targetE1EEEvSK_: ; @_ZN7rocprim17ROCPRIM_400000_NS6detail17trampoline_kernelINS0_14default_configENS1_36segmented_radix_sort_config_selectorIslEEZNS1_25segmented_radix_sort_implIS3_Lb0EPKsPsPKlPlN2at6native12_GLOBAL__N_18offset_tEEE10hipError_tPvRmT1_PNSt15iterator_traitsISK_E10value_typeET2_T3_PNSL_ISQ_E10value_typeET4_jRbjT5_SW_jjP12ihipStream_tbEUlT_E_NS1_11comp_targetILNS1_3genE3ELNS1_11target_archE908ELNS1_3gpuE7ELNS1_3repE0EEENS1_30default_config_static_selectorELNS0_4arch9wavefront6targetE1EEEvSK_
; %bb.0:
	.section	.rodata,"a",@progbits
	.p2align	6, 0x0
	.amdhsa_kernel _ZN7rocprim17ROCPRIM_400000_NS6detail17trampoline_kernelINS0_14default_configENS1_36segmented_radix_sort_config_selectorIslEEZNS1_25segmented_radix_sort_implIS3_Lb0EPKsPsPKlPlN2at6native12_GLOBAL__N_18offset_tEEE10hipError_tPvRmT1_PNSt15iterator_traitsISK_E10value_typeET2_T3_PNSL_ISQ_E10value_typeET4_jRbjT5_SW_jjP12ihipStream_tbEUlT_E_NS1_11comp_targetILNS1_3genE3ELNS1_11target_archE908ELNS1_3gpuE7ELNS1_3repE0EEENS1_30default_config_static_selectorELNS0_4arch9wavefront6targetE1EEEvSK_
		.amdhsa_group_segment_fixed_size 0
		.amdhsa_private_segment_fixed_size 0
		.amdhsa_kernarg_size 96
		.amdhsa_user_sgpr_count 6
		.amdhsa_user_sgpr_private_segment_buffer 1
		.amdhsa_user_sgpr_dispatch_ptr 0
		.amdhsa_user_sgpr_queue_ptr 0
		.amdhsa_user_sgpr_kernarg_segment_ptr 1
		.amdhsa_user_sgpr_dispatch_id 0
		.amdhsa_user_sgpr_flat_scratch_init 0
		.amdhsa_user_sgpr_private_segment_size 0
		.amdhsa_uses_dynamic_stack 0
		.amdhsa_system_sgpr_private_segment_wavefront_offset 0
		.amdhsa_system_sgpr_workgroup_id_x 1
		.amdhsa_system_sgpr_workgroup_id_y 0
		.amdhsa_system_sgpr_workgroup_id_z 0
		.amdhsa_system_sgpr_workgroup_info 0
		.amdhsa_system_vgpr_workitem_id 0
		.amdhsa_next_free_vgpr 1
		.amdhsa_next_free_sgpr 0
		.amdhsa_reserve_vcc 0
		.amdhsa_reserve_flat_scratch 0
		.amdhsa_float_round_mode_32 0
		.amdhsa_float_round_mode_16_64 0
		.amdhsa_float_denorm_mode_32 3
		.amdhsa_float_denorm_mode_16_64 3
		.amdhsa_dx10_clamp 1
		.amdhsa_ieee_mode 1
		.amdhsa_fp16_overflow 0
		.amdhsa_exception_fp_ieee_invalid_op 0
		.amdhsa_exception_fp_denorm_src 0
		.amdhsa_exception_fp_ieee_div_zero 0
		.amdhsa_exception_fp_ieee_overflow 0
		.amdhsa_exception_fp_ieee_underflow 0
		.amdhsa_exception_fp_ieee_inexact 0
		.amdhsa_exception_int_div_zero 0
	.end_amdhsa_kernel
	.section	.text._ZN7rocprim17ROCPRIM_400000_NS6detail17trampoline_kernelINS0_14default_configENS1_36segmented_radix_sort_config_selectorIslEEZNS1_25segmented_radix_sort_implIS3_Lb0EPKsPsPKlPlN2at6native12_GLOBAL__N_18offset_tEEE10hipError_tPvRmT1_PNSt15iterator_traitsISK_E10value_typeET2_T3_PNSL_ISQ_E10value_typeET4_jRbjT5_SW_jjP12ihipStream_tbEUlT_E_NS1_11comp_targetILNS1_3genE3ELNS1_11target_archE908ELNS1_3gpuE7ELNS1_3repE0EEENS1_30default_config_static_selectorELNS0_4arch9wavefront6targetE1EEEvSK_,"axG",@progbits,_ZN7rocprim17ROCPRIM_400000_NS6detail17trampoline_kernelINS0_14default_configENS1_36segmented_radix_sort_config_selectorIslEEZNS1_25segmented_radix_sort_implIS3_Lb0EPKsPsPKlPlN2at6native12_GLOBAL__N_18offset_tEEE10hipError_tPvRmT1_PNSt15iterator_traitsISK_E10value_typeET2_T3_PNSL_ISQ_E10value_typeET4_jRbjT5_SW_jjP12ihipStream_tbEUlT_E_NS1_11comp_targetILNS1_3genE3ELNS1_11target_archE908ELNS1_3gpuE7ELNS1_3repE0EEENS1_30default_config_static_selectorELNS0_4arch9wavefront6targetE1EEEvSK_,comdat
.Lfunc_end1017:
	.size	_ZN7rocprim17ROCPRIM_400000_NS6detail17trampoline_kernelINS0_14default_configENS1_36segmented_radix_sort_config_selectorIslEEZNS1_25segmented_radix_sort_implIS3_Lb0EPKsPsPKlPlN2at6native12_GLOBAL__N_18offset_tEEE10hipError_tPvRmT1_PNSt15iterator_traitsISK_E10value_typeET2_T3_PNSL_ISQ_E10value_typeET4_jRbjT5_SW_jjP12ihipStream_tbEUlT_E_NS1_11comp_targetILNS1_3genE3ELNS1_11target_archE908ELNS1_3gpuE7ELNS1_3repE0EEENS1_30default_config_static_selectorELNS0_4arch9wavefront6targetE1EEEvSK_, .Lfunc_end1017-_ZN7rocprim17ROCPRIM_400000_NS6detail17trampoline_kernelINS0_14default_configENS1_36segmented_radix_sort_config_selectorIslEEZNS1_25segmented_radix_sort_implIS3_Lb0EPKsPsPKlPlN2at6native12_GLOBAL__N_18offset_tEEE10hipError_tPvRmT1_PNSt15iterator_traitsISK_E10value_typeET2_T3_PNSL_ISQ_E10value_typeET4_jRbjT5_SW_jjP12ihipStream_tbEUlT_E_NS1_11comp_targetILNS1_3genE3ELNS1_11target_archE908ELNS1_3gpuE7ELNS1_3repE0EEENS1_30default_config_static_selectorELNS0_4arch9wavefront6targetE1EEEvSK_
                                        ; -- End function
	.set _ZN7rocprim17ROCPRIM_400000_NS6detail17trampoline_kernelINS0_14default_configENS1_36segmented_radix_sort_config_selectorIslEEZNS1_25segmented_radix_sort_implIS3_Lb0EPKsPsPKlPlN2at6native12_GLOBAL__N_18offset_tEEE10hipError_tPvRmT1_PNSt15iterator_traitsISK_E10value_typeET2_T3_PNSL_ISQ_E10value_typeET4_jRbjT5_SW_jjP12ihipStream_tbEUlT_E_NS1_11comp_targetILNS1_3genE3ELNS1_11target_archE908ELNS1_3gpuE7ELNS1_3repE0EEENS1_30default_config_static_selectorELNS0_4arch9wavefront6targetE1EEEvSK_.num_vgpr, 0
	.set _ZN7rocprim17ROCPRIM_400000_NS6detail17trampoline_kernelINS0_14default_configENS1_36segmented_radix_sort_config_selectorIslEEZNS1_25segmented_radix_sort_implIS3_Lb0EPKsPsPKlPlN2at6native12_GLOBAL__N_18offset_tEEE10hipError_tPvRmT1_PNSt15iterator_traitsISK_E10value_typeET2_T3_PNSL_ISQ_E10value_typeET4_jRbjT5_SW_jjP12ihipStream_tbEUlT_E_NS1_11comp_targetILNS1_3genE3ELNS1_11target_archE908ELNS1_3gpuE7ELNS1_3repE0EEENS1_30default_config_static_selectorELNS0_4arch9wavefront6targetE1EEEvSK_.num_agpr, 0
	.set _ZN7rocprim17ROCPRIM_400000_NS6detail17trampoline_kernelINS0_14default_configENS1_36segmented_radix_sort_config_selectorIslEEZNS1_25segmented_radix_sort_implIS3_Lb0EPKsPsPKlPlN2at6native12_GLOBAL__N_18offset_tEEE10hipError_tPvRmT1_PNSt15iterator_traitsISK_E10value_typeET2_T3_PNSL_ISQ_E10value_typeET4_jRbjT5_SW_jjP12ihipStream_tbEUlT_E_NS1_11comp_targetILNS1_3genE3ELNS1_11target_archE908ELNS1_3gpuE7ELNS1_3repE0EEENS1_30default_config_static_selectorELNS0_4arch9wavefront6targetE1EEEvSK_.numbered_sgpr, 0
	.set _ZN7rocprim17ROCPRIM_400000_NS6detail17trampoline_kernelINS0_14default_configENS1_36segmented_radix_sort_config_selectorIslEEZNS1_25segmented_radix_sort_implIS3_Lb0EPKsPsPKlPlN2at6native12_GLOBAL__N_18offset_tEEE10hipError_tPvRmT1_PNSt15iterator_traitsISK_E10value_typeET2_T3_PNSL_ISQ_E10value_typeET4_jRbjT5_SW_jjP12ihipStream_tbEUlT_E_NS1_11comp_targetILNS1_3genE3ELNS1_11target_archE908ELNS1_3gpuE7ELNS1_3repE0EEENS1_30default_config_static_selectorELNS0_4arch9wavefront6targetE1EEEvSK_.num_named_barrier, 0
	.set _ZN7rocprim17ROCPRIM_400000_NS6detail17trampoline_kernelINS0_14default_configENS1_36segmented_radix_sort_config_selectorIslEEZNS1_25segmented_radix_sort_implIS3_Lb0EPKsPsPKlPlN2at6native12_GLOBAL__N_18offset_tEEE10hipError_tPvRmT1_PNSt15iterator_traitsISK_E10value_typeET2_T3_PNSL_ISQ_E10value_typeET4_jRbjT5_SW_jjP12ihipStream_tbEUlT_E_NS1_11comp_targetILNS1_3genE3ELNS1_11target_archE908ELNS1_3gpuE7ELNS1_3repE0EEENS1_30default_config_static_selectorELNS0_4arch9wavefront6targetE1EEEvSK_.private_seg_size, 0
	.set _ZN7rocprim17ROCPRIM_400000_NS6detail17trampoline_kernelINS0_14default_configENS1_36segmented_radix_sort_config_selectorIslEEZNS1_25segmented_radix_sort_implIS3_Lb0EPKsPsPKlPlN2at6native12_GLOBAL__N_18offset_tEEE10hipError_tPvRmT1_PNSt15iterator_traitsISK_E10value_typeET2_T3_PNSL_ISQ_E10value_typeET4_jRbjT5_SW_jjP12ihipStream_tbEUlT_E_NS1_11comp_targetILNS1_3genE3ELNS1_11target_archE908ELNS1_3gpuE7ELNS1_3repE0EEENS1_30default_config_static_selectorELNS0_4arch9wavefront6targetE1EEEvSK_.uses_vcc, 0
	.set _ZN7rocprim17ROCPRIM_400000_NS6detail17trampoline_kernelINS0_14default_configENS1_36segmented_radix_sort_config_selectorIslEEZNS1_25segmented_radix_sort_implIS3_Lb0EPKsPsPKlPlN2at6native12_GLOBAL__N_18offset_tEEE10hipError_tPvRmT1_PNSt15iterator_traitsISK_E10value_typeET2_T3_PNSL_ISQ_E10value_typeET4_jRbjT5_SW_jjP12ihipStream_tbEUlT_E_NS1_11comp_targetILNS1_3genE3ELNS1_11target_archE908ELNS1_3gpuE7ELNS1_3repE0EEENS1_30default_config_static_selectorELNS0_4arch9wavefront6targetE1EEEvSK_.uses_flat_scratch, 0
	.set _ZN7rocprim17ROCPRIM_400000_NS6detail17trampoline_kernelINS0_14default_configENS1_36segmented_radix_sort_config_selectorIslEEZNS1_25segmented_radix_sort_implIS3_Lb0EPKsPsPKlPlN2at6native12_GLOBAL__N_18offset_tEEE10hipError_tPvRmT1_PNSt15iterator_traitsISK_E10value_typeET2_T3_PNSL_ISQ_E10value_typeET4_jRbjT5_SW_jjP12ihipStream_tbEUlT_E_NS1_11comp_targetILNS1_3genE3ELNS1_11target_archE908ELNS1_3gpuE7ELNS1_3repE0EEENS1_30default_config_static_selectorELNS0_4arch9wavefront6targetE1EEEvSK_.has_dyn_sized_stack, 0
	.set _ZN7rocprim17ROCPRIM_400000_NS6detail17trampoline_kernelINS0_14default_configENS1_36segmented_radix_sort_config_selectorIslEEZNS1_25segmented_radix_sort_implIS3_Lb0EPKsPsPKlPlN2at6native12_GLOBAL__N_18offset_tEEE10hipError_tPvRmT1_PNSt15iterator_traitsISK_E10value_typeET2_T3_PNSL_ISQ_E10value_typeET4_jRbjT5_SW_jjP12ihipStream_tbEUlT_E_NS1_11comp_targetILNS1_3genE3ELNS1_11target_archE908ELNS1_3gpuE7ELNS1_3repE0EEENS1_30default_config_static_selectorELNS0_4arch9wavefront6targetE1EEEvSK_.has_recursion, 0
	.set _ZN7rocprim17ROCPRIM_400000_NS6detail17trampoline_kernelINS0_14default_configENS1_36segmented_radix_sort_config_selectorIslEEZNS1_25segmented_radix_sort_implIS3_Lb0EPKsPsPKlPlN2at6native12_GLOBAL__N_18offset_tEEE10hipError_tPvRmT1_PNSt15iterator_traitsISK_E10value_typeET2_T3_PNSL_ISQ_E10value_typeET4_jRbjT5_SW_jjP12ihipStream_tbEUlT_E_NS1_11comp_targetILNS1_3genE3ELNS1_11target_archE908ELNS1_3gpuE7ELNS1_3repE0EEENS1_30default_config_static_selectorELNS0_4arch9wavefront6targetE1EEEvSK_.has_indirect_call, 0
	.section	.AMDGPU.csdata,"",@progbits
; Kernel info:
; codeLenInByte = 0
; TotalNumSgprs: 4
; NumVgprs: 0
; ScratchSize: 0
; MemoryBound: 0
; FloatMode: 240
; IeeeMode: 1
; LDSByteSize: 0 bytes/workgroup (compile time only)
; SGPRBlocks: 0
; VGPRBlocks: 0
; NumSGPRsForWavesPerEU: 4
; NumVGPRsForWavesPerEU: 1
; Occupancy: 10
; WaveLimiterHint : 0
; COMPUTE_PGM_RSRC2:SCRATCH_EN: 0
; COMPUTE_PGM_RSRC2:USER_SGPR: 6
; COMPUTE_PGM_RSRC2:TRAP_HANDLER: 0
; COMPUTE_PGM_RSRC2:TGID_X_EN: 1
; COMPUTE_PGM_RSRC2:TGID_Y_EN: 0
; COMPUTE_PGM_RSRC2:TGID_Z_EN: 0
; COMPUTE_PGM_RSRC2:TIDIG_COMP_CNT: 0
	.text
	.p2align	2                               ; -- Begin function _ZN7rocprim17ROCPRIM_400000_NS6detail40segmented_radix_sort_single_block_helperIslLj256ELj4ELb0EE4sortIPKsPsPKlPlEEbT_T0_T1_T2_jjjjRNS3_12storage_typeE
	.type	_ZN7rocprim17ROCPRIM_400000_NS6detail40segmented_radix_sort_single_block_helperIslLj256ELj4ELb0EE4sortIPKsPsPKlPlEEbT_T0_T1_T2_jjjjRNS3_12storage_typeE,@function
_ZN7rocprim17ROCPRIM_400000_NS6detail40segmented_radix_sort_single_block_helperIslLj256ELj4ELb0EE4sortIPKsPsPKlPlEEbT_T0_T1_T2_jjjjRNS3_12storage_typeE: ; @_ZN7rocprim17ROCPRIM_400000_NS6detail40segmented_radix_sort_single_block_helperIslLj256ELj4ELb0EE4sortIPKsPsPKlPlEEbT_T0_T1_T2_jjjjRNS3_12storage_typeE
; %bb.0:
	s_waitcnt vmcnt(0) expcnt(0) lgkmcnt(0)
	v_sub_u32_e32 v39, v9, v8
	s_movk_i32 s4, 0x401
	v_cmp_gt_u32_e32 vcc, s4, v39
	s_and_saveexec_b64 s[46:47], vcc
	s_cbranch_execz .LBB1018_106
; %bb.1:
	s_movk_i32 s4, 0x200
	v_cmp_lt_u32_e32 vcc, s4, v39
	v_bfe_u32 v15, v31, 10, 10
	v_bfe_u32 v19, v31, 20, 10
	v_mbcnt_lo_u32_b32 v18, -1, 0
	s_and_saveexec_b64 s[4:5], vcc
	s_xor_b64 s[56:57], exec, s[4:5]
	s_cbranch_execz .LBB1018_47
; %bb.2:
	s_load_dwordx2 s[4:5], s[8:9], 0x0
	v_mov_b32_e32 v9, 0
	v_lshlrev_b64 v[16:17], 1, v[8:9]
	v_and_b32_e32 v14, 0x3ff, v31
	v_add_co_u32_e32 v26, vcc, v0, v16
	s_waitcnt lgkmcnt(0)
	s_cmp_lt_u32 s13, s5
	s_cselect_b32 s5, 14, 20
	s_add_u32 s6, s8, s5
	s_addc_u32 s7, s9, 0
	s_cmp_lt_u32 s12, s4
	s_cselect_b32 s4, 12, 18
	s_add_u32 s4, s8, s4
	global_load_ushort v21, v9, s[6:7]
	s_addc_u32 s5, s9, 0
	global_load_ushort v22, v9, s[4:5]
	v_addc_co_u32_e32 v27, vcc, v1, v17, vcc
	v_mbcnt_hi_u32_b32 v24, -1, v18
	v_and_b32_e32 v25, 63, v24
	v_mov_b32_e32 v23, v9
	v_lshlrev_b32_e32 v18, 1, v25
	v_mov_b32_e32 v20, 0x7fff7fff
	s_waitcnt vmcnt(1)
	v_mad_u32_u24 v0, v19, v21, v15
	s_waitcnt vmcnt(0)
	v_mad_u64_u32 v[0:1], s[4:5], v0, v22, v[14:15]
	v_add_co_u32_e32 v15, vcc, v26, v18
	v_lshlrev_b32_e32 v1, 2, v0
	v_and_b32_e32 v22, 0xffffff00, v1
	v_lshlrev_b64 v[18:19], 1, v[22:23]
	v_addc_co_u32_e32 v21, vcc, 0, v27, vcc
	v_or_b32_e32 v1, v22, v25
	v_add_co_u32_e64 v18, s[4:5], v15, v18
	v_cmp_lt_u32_e32 vcc, v1, v39
	v_addc_co_u32_e64 v19, s[4:5], v21, v19, s[4:5]
	v_mov_b32_e32 v21, v20
	s_and_saveexec_b64 s[4:5], vcc
	s_cbranch_execz .LBB1018_4
; %bb.3:
	flat_load_ushort v15, v[18:19]
	s_movk_i32 s6, 0x7fff
	v_mov_b32_e32 v21, 0x5040100
	v_mov_b32_e32 v27, v20
	s_waitcnt vmcnt(0) lgkmcnt(0)
	v_perm_b32 v26, s6, v15, v21
	v_mov_b32_e32 v20, v26
	v_mov_b32_e32 v21, v27
.LBB1018_4:
	s_or_b64 exec, exec, s[4:5]
	v_or_b32_e32 v15, 64, v1
	v_cmp_lt_u32_e64 s[4:5], v15, v39
	s_and_saveexec_b64 s[6:7], s[4:5]
	s_cbranch_execz .LBB1018_6
; %bb.5:
	flat_load_ushort v15, v[18:19] offset:128
	s_mov_b32 s10, 0x5040100
	s_waitcnt vmcnt(0) lgkmcnt(0)
	v_perm_b32 v20, v15, v20, s10
.LBB1018_6:
	s_or_b64 exec, exec, s[6:7]
	v_or_b32_e32 v15, 0x80, v1
	v_cmp_lt_u32_e64 s[6:7], v15, v39
	s_and_saveexec_b64 s[10:11], s[6:7]
	s_cbranch_execz .LBB1018_8
; %bb.7:
	flat_load_ushort v15, v[18:19] offset:256
	s_mov_b32 s14, 0xffff
	s_waitcnt vmcnt(0) lgkmcnt(0)
	v_bfi_b32 v21, s14, v15, v21
.LBB1018_8:
	s_or_b64 exec, exec, s[10:11]
	v_or_b32_e32 v1, 0xc0, v1
	v_cmp_lt_u32_e64 s[10:11], v1, v39
	s_and_saveexec_b64 s[14:15], s[10:11]
	s_cbranch_execz .LBB1018_10
; %bb.9:
	flat_load_ushort v1, v[18:19] offset:384
	s_mov_b32 s16, 0x5040100
	s_waitcnt vmcnt(0) lgkmcnt(0)
	v_perm_b32 v21, v1, v21, s16
.LBB1018_10:
	s_or_b64 exec, exec, s[14:15]
	v_lshlrev_b64 v[18:19], 3, v[8:9]
                                        ; implicit-def: $vgpr26_vgpr27
	v_add_co_u32_e64 v1, s[14:15], v4, v18
	v_addc_co_u32_e64 v4, s[14:15], v5, v19, s[14:15]
	v_lshlrev_b32_e32 v5, 3, v25
	v_add_co_u32_e64 v1, s[14:15], v1, v5
	v_addc_co_u32_e64 v8, s[14:15], 0, v4, s[14:15]
	v_lshlrev_b64 v[4:5], 3, v[22:23]
	v_add_co_u32_e64 v4, s[14:15], v1, v4
	v_addc_co_u32_e64 v5, s[14:15], v8, v5, s[14:15]
	s_and_saveexec_b64 s[14:15], vcc
	s_cbranch_execnz .LBB1018_71
; %bb.11:
	s_or_b64 exec, exec, s[14:15]
                                        ; implicit-def: $vgpr28_vgpr29
	s_and_saveexec_b64 s[14:15], s[4:5]
	s_cbranch_execnz .LBB1018_72
.LBB1018_12:
	s_or_b64 exec, exec, s[14:15]
                                        ; implicit-def: $vgpr33_vgpr34
	s_and_saveexec_b64 s[4:5], s[6:7]
	s_cbranch_execnz .LBB1018_73
.LBB1018_13:
	s_or_b64 exec, exec, s[4:5]
                                        ; implicit-def: $vgpr35_vgpr36
	s_and_saveexec_b64 s[4:5], s[10:11]
	s_cbranch_execz .LBB1018_15
.LBB1018_14:
	flat_load_dwordx2 v[35:36], v[4:5] offset:1536
.LBB1018_15:
	s_or_b64 exec, exec, s[4:5]
	s_movk_i32 s4, 0x8000
	v_lshl_add_u32 v5, v14, 4, v12
	v_xor_b32_sdwa v8, v21, s4 dst_sel:DWORD dst_unused:UNUSED_PAD src0_sel:WORD_1 src1_sel:DWORD
	v_xor_b32_e32 v9, 0xffff8000, v20
	v_xor_b32_sdwa v20, v20, s4 dst_sel:DWORD dst_unused:UNUSED_PAD src0_sel:WORD_1 src1_sel:DWORD
	s_getpc_b64 s[4:5]
	s_add_u32 s4, s4, _ZN7rocprim17ROCPRIM_400000_NS16block_radix_sortIsLj256ELj4ElLj1ELj1ELj8ELNS0_26block_radix_rank_algorithmE2ELNS0_18block_padding_hintE2ELNS0_4arch9wavefront6targetE1EE19radix_bits_per_passE@rel32@lo+4
	s_addc_u32 s5, s5, _ZN7rocprim17ROCPRIM_400000_NS16block_radix_sortIsLj256ELj4ElLj1ELj1ELj8ELNS0_26block_radix_rank_algorithmE2ELNS0_18block_padding_hintE2ELNS0_4arch9wavefront6targetE1EE19radix_bits_per_passE@rel32@hi+12
	v_add_u32_e32 v1, 16, v5
	v_add_u32_e32 v15, 20, v5
	v_add_u32_e32 v54, 24, v5
	v_add_u32_e32 v55, 28, v5
	v_and_b32_e32 v5, 15, v24
	s_load_dword s62, s[4:5], 0x0
	v_cmp_eq_u32_e32 vcc, 0, v5
	v_cmp_lt_u32_e64 s[4:5], 1, v5
	v_cmp_lt_u32_e64 s[6:7], 3, v5
	;; [unrolled: 1-line block ×3, first 2 shown]
	v_and_b32_e32 v5, 16, v24
	v_cmp_eq_u32_e64 s[40:41], 0, v5
	v_and_b32_e32 v5, 0x3c0, v14
	v_min_u32_e32 v5, 0xc0, v5
	v_or_b32_e32 v5, 63, v5
	v_cmp_eq_u32_e64 s[16:17], v14, v5
	v_subrev_co_u32_e64 v5, s[22:23], 1, v24
	v_and_b32_e32 v22, 64, v24
	v_xor_b32_e32 v4, 0xffff8000, v21
	v_lshlrev_b32_e32 v21, 2, v14
	v_cmp_lt_i32_e64 s[24:25], v5, v22
	s_movk_i32 s42, 0xf00
	v_cndmask_b32_e64 v5, v5, v24, s[24:25]
	v_add_u32_e32 v67, v12, v21
	v_and_or_b32 v21, v21, s42, v25
	v_lshlrev_b32_e32 v65, 2, v5
	v_lshrrev_b32_e32 v5, 4, v14
	v_lshl_add_u32 v68, v21, 1, v12
	v_mul_u32_u24_e32 v21, 6, v21
	v_and_b32_e32 v5, 60, v5
	v_and_b32_e32 v22, 3, v24
	v_add_u32_e32 v69, v68, v21
	s_mov_b32 s63, 0x5040100
	v_lshrrev_b32_e32 v64, 6, v0
	v_cmp_lt_u32_e64 s[14:15], 31, v24
	v_cmp_gt_u32_e64 s[18:19], 4, v14
	v_cmp_lt_u32_e64 s[20:21], 63, v14
	v_cmp_eq_u32_e64 s[24:25], 0, v14
	v_add_u32_e32 v66, v12, v5
	v_mov_b32_e32 v5, 0
	v_cmp_eq_u32_e64 s[26:27], 0, v22
	v_cmp_lt_u32_e64 s[28:29], 1, v22
	v_add_u32_e32 v70, 0x600, v69
	v_perm_b32 v81, v20, v9, s63
	v_perm_b32 v31, v8, v4, s63
	v_sub_u32_e32 v71, v11, v10
	s_mov_b64 s[58:59], 0
	s_waitcnt vmcnt(0) lgkmcnt(0)
	s_barrier
	s_branch .LBB1018_17
.LBB1018_16:                            ;   in Loop: Header=BB1018_17 Depth=1
	s_or_b64 exec, exec, s[44:45]
	s_and_b64 s[42:43], exec, s[60:61]
	s_or_b64 s[58:59], s[42:43], s[58:59]
	s_andn2_b64 exec, exec, s[58:59]
	s_cbranch_execz .LBB1018_33
.LBB1018_17:                            ; =>This Inner Loop Header: Depth=1
	v_min_u32_e32 v4, s62, v71
	v_lshlrev_b32_e64 v4, v4, -1
	v_mov_b32_e32 v22, v28
	v_not_b32_e32 v32, v4
	v_lshrrev_b32_sdwa v4, v10, v81 dst_sel:DWORD dst_unused:UNUSED_PAD src0_sel:DWORD src1_sel:WORD_0
	v_mov_b32_e32 v23, v29
	v_and_b32_e32 v28, v4, v32
	v_lshlrev_b32_e32 v4, 2, v28
	v_add_lshl_u32 v4, v4, v64, 2
	v_mov_b32_e32 v24, v26
	v_add_co_u32_e64 v4, s[42:43], v12, v4
	v_mov_b32_e32 v25, v27
	v_add_co_u32_e64 v4, s[42:43], 16, v4
	v_and_b32_e32 v26, 1, v28
	v_add_co_u32_e64 v27, s[42:43], -1, v26
	v_addc_co_u32_e64 v29, s[42:43], 0, -1, s[42:43]
	v_cmp_ne_u32_e64 s[42:43], 0, v26
	v_xor_b32_e32 v26, s43, v29
	v_xor_b32_e32 v27, s42, v27
	v_and_b32_e32 v29, exec_hi, v26
	v_and_b32_e32 v30, exec_lo, v27
	v_lshlrev_b32_e32 v27, 30, v28
	v_mov_b32_e32 v26, v5
	v_cmp_gt_i64_e64 s[42:43], 0, v[26:27]
	v_not_b32_e32 v26, v27
	v_ashrrev_i32_e32 v26, 31, v26
	v_xor_b32_e32 v27, s43, v26
	v_xor_b32_e32 v26, s42, v26
	v_and_b32_e32 v29, v29, v27
	v_and_b32_e32 v30, v30, v26
	v_lshlrev_b32_e32 v27, 29, v28
	v_mov_b32_e32 v26, v5
	v_cmp_gt_i64_e64 s[42:43], 0, v[26:27]
	v_not_b32_e32 v26, v27
	v_ashrrev_i32_e32 v26, 31, v26
	v_xor_b32_e32 v27, s43, v26
	v_xor_b32_e32 v26, s42, v26
	v_and_b32_e32 v29, v29, v27
	v_and_b32_e32 v30, v30, v26
	;; [unrolled: 9-line block ×7, first 2 shown]
	v_mbcnt_lo_u32_b32 v28, v26, 0
	v_mbcnt_hi_u32_b32 v28, v27, v28
	v_cmp_ne_u64_e64 s[42:43], 0, v[26:27]
	v_mov_b32_e32 v20, v33
	v_mov_b32_e32 v8, v35
	v_cmp_eq_u32_e64 s[44:45], 0, v28
	v_mov_b32_e32 v80, v31
	v_mov_b32_e32 v21, v34
	v_mov_b32_e32 v9, v36
	s_and_b64 s[44:45], s[42:43], s[44:45]
	ds_write_b32 v1, v5
	ds_write_b32 v15, v5
	;; [unrolled: 1-line block ×4, first 2 shown]
	s_waitcnt lgkmcnt(0)
	s_barrier
	; wave barrier
	s_and_saveexec_b64 s[42:43], s[44:45]
; %bb.18:                               ;   in Loop: Header=BB1018_17 Depth=1
	v_bcnt_u32_b32 v26, v26, 0
	v_bcnt_u32_b32 v26, v27, v26
	ds_write_b32 v4, v26
; %bb.19:                               ;   in Loop: Header=BB1018_17 Depth=1
	s_or_b64 exec, exec, s[42:43]
	v_lshrrev_b32_e32 v82, 16, v81
	v_lshrrev_b32_e32 v26, v10, v82
	v_and_b32_e32 v31, v26, v32
	v_lshl_add_u32 v26, v31, 2, v64
	v_lshl_add_u32 v26, v26, 2, v12
	; wave barrier
	v_add_u32_e32 v30, 16, v26
	ds_read_b32 v29, v26 offset:16
	v_and_b32_e32 v26, 1, v31
	v_add_co_u32_e64 v27, s[42:43], -1, v26
	v_addc_co_u32_e64 v33, s[42:43], 0, -1, s[42:43]
	v_cmp_ne_u32_e64 s[42:43], 0, v26
	v_xor_b32_e32 v26, s43, v33
	v_xor_b32_e32 v27, s42, v27
	v_and_b32_e32 v33, exec_hi, v26
	v_and_b32_e32 v34, exec_lo, v27
	v_lshlrev_b32_e32 v27, 30, v31
	v_mov_b32_e32 v26, v5
	v_cmp_gt_i64_e64 s[42:43], 0, v[26:27]
	v_not_b32_e32 v26, v27
	v_ashrrev_i32_e32 v26, 31, v26
	v_xor_b32_e32 v27, s43, v26
	v_xor_b32_e32 v26, s42, v26
	v_and_b32_e32 v33, v33, v27
	v_and_b32_e32 v34, v34, v26
	v_lshlrev_b32_e32 v27, 29, v31
	v_mov_b32_e32 v26, v5
	v_cmp_gt_i64_e64 s[42:43], 0, v[26:27]
	v_not_b32_e32 v26, v27
	v_ashrrev_i32_e32 v26, 31, v26
	v_xor_b32_e32 v27, s43, v26
	v_xor_b32_e32 v26, s42, v26
	v_and_b32_e32 v33, v33, v27
	v_and_b32_e32 v34, v34, v26
	;; [unrolled: 9-line block ×7, first 2 shown]
	v_mbcnt_lo_u32_b32 v31, v26, 0
	v_mbcnt_hi_u32_b32 v31, v27, v31
	v_cmp_ne_u64_e64 s[42:43], 0, v[26:27]
	v_cmp_eq_u32_e64 s[44:45], 0, v31
	s_and_b64 s[44:45], s[42:43], s[44:45]
	; wave barrier
	s_and_saveexec_b64 s[42:43], s[44:45]
	s_cbranch_execz .LBB1018_21
; %bb.20:                               ;   in Loop: Header=BB1018_17 Depth=1
	v_bcnt_u32_b32 v26, v26, 0
	v_bcnt_u32_b32 v26, v27, v26
	s_waitcnt lgkmcnt(0)
	v_add_u32_e32 v26, v29, v26
	ds_write_b32 v30, v26
.LBB1018_21:                            ;   in Loop: Header=BB1018_17 Depth=1
	s_or_b64 exec, exec, s[42:43]
	v_lshrrev_b32_sdwa v26, v10, v80 dst_sel:DWORD dst_unused:UNUSED_PAD src0_sel:DWORD src1_sel:WORD_0
	v_and_b32_e32 v35, v26, v32
	v_lshl_add_u32 v26, v35, 2, v64
	v_lshl_add_u32 v26, v26, 2, v12
	; wave barrier
	v_add_u32_e32 v34, 16, v26
	ds_read_b32 v33, v26 offset:16
	v_and_b32_e32 v26, 1, v35
	v_add_co_u32_e64 v27, s[42:43], -1, v26
	v_addc_co_u32_e64 v36, s[42:43], 0, -1, s[42:43]
	v_cmp_ne_u32_e64 s[42:43], 0, v26
	v_xor_b32_e32 v26, s43, v36
	v_xor_b32_e32 v27, s42, v27
	v_and_b32_e32 v36, exec_hi, v26
	v_and_b32_e32 v37, exec_lo, v27
	v_lshlrev_b32_e32 v27, 30, v35
	v_mov_b32_e32 v26, v5
	v_cmp_gt_i64_e64 s[42:43], 0, v[26:27]
	v_not_b32_e32 v26, v27
	v_ashrrev_i32_e32 v26, 31, v26
	v_xor_b32_e32 v27, s43, v26
	v_xor_b32_e32 v26, s42, v26
	v_and_b32_e32 v36, v36, v27
	v_and_b32_e32 v37, v37, v26
	v_lshlrev_b32_e32 v27, 29, v35
	v_mov_b32_e32 v26, v5
	v_cmp_gt_i64_e64 s[42:43], 0, v[26:27]
	v_not_b32_e32 v26, v27
	v_ashrrev_i32_e32 v26, 31, v26
	v_xor_b32_e32 v27, s43, v26
	v_xor_b32_e32 v26, s42, v26
	v_and_b32_e32 v36, v36, v27
	v_and_b32_e32 v37, v37, v26
	;; [unrolled: 9-line block ×7, first 2 shown]
	v_mbcnt_lo_u32_b32 v35, v26, 0
	v_mbcnt_hi_u32_b32 v35, v27, v35
	v_cmp_ne_u64_e64 s[42:43], 0, v[26:27]
	v_cmp_eq_u32_e64 s[44:45], 0, v35
	s_and_b64 s[44:45], s[42:43], s[44:45]
	; wave barrier
	s_and_saveexec_b64 s[42:43], s[44:45]
	s_cbranch_execz .LBB1018_23
; %bb.22:                               ;   in Loop: Header=BB1018_17 Depth=1
	v_bcnt_u32_b32 v26, v26, 0
	v_bcnt_u32_b32 v26, v27, v26
	s_waitcnt lgkmcnt(0)
	v_add_u32_e32 v26, v33, v26
	ds_write_b32 v34, v26
.LBB1018_23:                            ;   in Loop: Header=BB1018_17 Depth=1
	s_or_b64 exec, exec, s[42:43]
	v_lshrrev_b32_e32 v83, 16, v80
	v_lshrrev_b32_e32 v26, v10, v83
	v_and_b32_e32 v37, v26, v32
	v_lshl_add_u32 v26, v37, 2, v64
	v_lshl_add_u32 v26, v26, 2, v12
	; wave barrier
	v_add_u32_e32 v32, 16, v26
	ds_read_b32 v36, v26 offset:16
	v_and_b32_e32 v26, 1, v37
	v_add_co_u32_e64 v27, s[42:43], -1, v26
	v_addc_co_u32_e64 v38, s[42:43], 0, -1, s[42:43]
	v_cmp_ne_u32_e64 s[42:43], 0, v26
	v_xor_b32_e32 v26, s43, v38
	v_xor_b32_e32 v27, s42, v27
	v_and_b32_e32 v38, exec_hi, v26
	v_and_b32_e32 v48, exec_lo, v27
	v_lshlrev_b32_e32 v27, 30, v37
	v_mov_b32_e32 v26, v5
	v_cmp_gt_i64_e64 s[42:43], 0, v[26:27]
	v_not_b32_e32 v26, v27
	v_ashrrev_i32_e32 v26, 31, v26
	v_xor_b32_e32 v27, s43, v26
	v_xor_b32_e32 v26, s42, v26
	v_and_b32_e32 v38, v38, v27
	v_and_b32_e32 v48, v48, v26
	v_lshlrev_b32_e32 v27, 29, v37
	v_mov_b32_e32 v26, v5
	v_cmp_gt_i64_e64 s[42:43], 0, v[26:27]
	v_not_b32_e32 v26, v27
	v_ashrrev_i32_e32 v26, 31, v26
	v_xor_b32_e32 v27, s43, v26
	v_xor_b32_e32 v26, s42, v26
	v_and_b32_e32 v38, v38, v27
	v_and_b32_e32 v48, v48, v26
	;; [unrolled: 9-line block ×7, first 2 shown]
	v_mbcnt_lo_u32_b32 v37, v26, 0
	v_mbcnt_hi_u32_b32 v37, v27, v37
	v_cmp_ne_u64_e64 s[42:43], 0, v[26:27]
	v_cmp_eq_u32_e64 s[44:45], 0, v37
	s_and_b64 s[44:45], s[42:43], s[44:45]
	; wave barrier
	s_and_saveexec_b64 s[42:43], s[44:45]
	s_cbranch_execz .LBB1018_25
; %bb.24:                               ;   in Loop: Header=BB1018_17 Depth=1
	v_bcnt_u32_b32 v26, v26, 0
	v_bcnt_u32_b32 v26, v27, v26
	s_waitcnt lgkmcnt(0)
	v_add_u32_e32 v26, v36, v26
	ds_write_b32 v32, v26
.LBB1018_25:                            ;   in Loop: Header=BB1018_17 Depth=1
	s_or_b64 exec, exec, s[42:43]
	; wave barrier
	s_waitcnt lgkmcnt(0)
	s_barrier
	ds_read_b32 v38, v1
	ds_read_b32 v27, v15
	;; [unrolled: 1-line block ×4, first 2 shown]
	s_waitcnt lgkmcnt(2)
	v_add_u32_e32 v49, v27, v38
	s_waitcnt lgkmcnt(0)
	v_add3_u32 v48, v49, v26, v48
	s_nop 1
	v_mov_b32_dpp v49, v48 row_shr:1 row_mask:0xf bank_mask:0xf
	v_cndmask_b32_e64 v49, v49, 0, vcc
	v_add_u32_e32 v48, v49, v48
	s_nop 1
	v_mov_b32_dpp v49, v48 row_shr:2 row_mask:0xf bank_mask:0xf
	v_cndmask_b32_e64 v49, 0, v49, s[4:5]
	v_add_u32_e32 v48, v48, v49
	s_nop 1
	v_mov_b32_dpp v49, v48 row_shr:4 row_mask:0xf bank_mask:0xf
	v_cndmask_b32_e64 v49, 0, v49, s[6:7]
	;; [unrolled: 4-line block ×3, first 2 shown]
	v_add_u32_e32 v48, v48, v49
	s_nop 1
	v_mov_b32_dpp v49, v48 row_bcast:15 row_mask:0xf bank_mask:0xf
	v_cndmask_b32_e64 v49, v49, 0, s[40:41]
	v_add_u32_e32 v48, v48, v49
	s_nop 1
	v_mov_b32_dpp v49, v48 row_bcast:31 row_mask:0xf bank_mask:0xf
	v_cndmask_b32_e64 v49, 0, v49, s[14:15]
	v_add_u32_e32 v48, v48, v49
	s_and_saveexec_b64 s[42:43], s[16:17]
; %bb.26:                               ;   in Loop: Header=BB1018_17 Depth=1
	ds_write_b32 v66, v48
; %bb.27:                               ;   in Loop: Header=BB1018_17 Depth=1
	s_or_b64 exec, exec, s[42:43]
	s_waitcnt lgkmcnt(0)
	s_barrier
	s_and_saveexec_b64 s[42:43], s[18:19]
	s_cbranch_execz .LBB1018_29
; %bb.28:                               ;   in Loop: Header=BB1018_17 Depth=1
	ds_read_b32 v49, v67
	s_waitcnt lgkmcnt(0)
	s_nop 0
	v_mov_b32_dpp v50, v49 row_shr:1 row_mask:0xf bank_mask:0xf
	v_cndmask_b32_e64 v50, v50, 0, s[26:27]
	v_add_u32_e32 v49, v50, v49
	s_nop 1
	v_mov_b32_dpp v50, v49 row_shr:2 row_mask:0xf bank_mask:0xf
	v_cndmask_b32_e64 v50, 0, v50, s[28:29]
	v_add_u32_e32 v49, v49, v50
	ds_write_b32 v67, v49
.LBB1018_29:                            ;   in Loop: Header=BB1018_17 Depth=1
	s_or_b64 exec, exec, s[42:43]
	v_mov_b32_e32 v49, 0
	s_waitcnt lgkmcnt(0)
	s_barrier
	s_and_saveexec_b64 s[42:43], s[20:21]
; %bb.30:                               ;   in Loop: Header=BB1018_17 Depth=1
	v_add_u32_e32 v49, -4, v66
	ds_read_b32 v49, v49
; %bb.31:                               ;   in Loop: Header=BB1018_17 Depth=1
	s_or_b64 exec, exec, s[42:43]
	s_waitcnt lgkmcnt(0)
	v_add_u32_e32 v48, v49, v48
	ds_bpermute_b32 v48, v65, v48
	v_add_u32_e32 v10, 8, v10
	v_mov_b32_e32 v84, v81
	v_cmp_lt_u32_e64 s[42:43], v10, v11
	s_mov_b64 s[60:61], -1
	s_waitcnt lgkmcnt(0)
	v_cndmask_b32_e64 v48, v48, v49, s[22:23]
	v_cndmask_b32_e64 v48, v48, 0, s[24:25]
	v_add_u32_e32 v38, v48, v38
	v_add_u32_e32 v27, v38, v27
	ds_write_b32 v1, v48
	ds_write_b32 v15, v38
	v_add_u32_e32 v26, v27, v26
	ds_write_b32 v54, v27
	ds_write_b32 v55, v26
	s_waitcnt lgkmcnt(0)
	s_barrier
	ds_read_b32 v4, v4
	ds_read_b32 v27, v30
	;; [unrolled: 1-line block ×4, first 2 shown]
	s_waitcnt lgkmcnt(0)
	v_add_u32_e32 v26, v4, v28
	v_add3_u32 v4, v31, v29, v27
	v_mov_b32_e32 v27, v5
	v_lshlrev_b64 v[27:28], 1, v[26:27]
	v_add3_u32 v32, v35, v33, v30
	v_add_co_u32_e64 v50, s[44:45], v12, v27
	v_addc_co_u32_e64 v51, s[44:45], v13, v28, s[44:45]
	v_lshlrev_b64 v[27:28], 1, v[4:5]
	v_add3_u32 v30, v37, v36, v34
	v_add_co_u32_e64 v37, s[44:45], v12, v27
	v_mov_b32_e32 v33, v5
	v_addc_co_u32_e64 v38, s[44:45], v13, v28, s[44:45]
	v_lshlrev_b64 v[27:28], 1, v[32:33]
	v_mov_b32_e32 v31, v5
	v_add_co_u32_e64 v48, s[44:45], v12, v27
	v_addc_co_u32_e64 v49, s[44:45], v13, v28, s[44:45]
	v_lshlrev_b64 v[27:28], 1, v[30:31]
	v_mad_u64_u32 v[51:52], s[44:45], v26, 6, v[50:51]
	v_add_co_u32_e64 v52, s[44:45], v12, v27
	v_addc_co_u32_e64 v53, s[44:45], v13, v28, s[44:45]
                                        ; implicit-def: $vgpr31
                                        ; implicit-def: $vgpr26_vgpr27
                                        ; implicit-def: $vgpr28_vgpr29
                                        ; implicit-def: $vgpr33_vgpr34
                                        ; implicit-def: $vgpr35_vgpr36
	s_and_saveexec_b64 s[44:45], s[42:43]
	s_cbranch_execz .LBB1018_16
; %bb.32:                               ;   in Loop: Header=BB1018_17 Depth=1
	v_add_u32_e32 v26, 0x80, v68
	s_barrier
	ds_write_b16 v50, v81
	ds_write_b16 v37, v82
	;; [unrolled: 1-line block ×4, first 2 shown]
	s_waitcnt lgkmcnt(0)
	s_barrier
	ds_read_u16 v81, v26
	v_add_u32_e32 v26, 0x100, v68
	ds_read_u16 v85, v26
	v_add_u32_e32 v26, 0x180, v68
	ds_read_u16 v86, v26
	v_mad_u64_u32 v[26:27], s[42:43], v4, 6, v[37:38]
	v_mad_u64_u32 v[27:28], s[42:43], v32, 6, v[48:49]
	;; [unrolled: 1-line block ×3, first 2 shown]
	ds_read_u16 v31, v68
	s_waitcnt lgkmcnt(0)
	s_barrier
	ds_write_b64 v51, v[24:25]
	ds_write_b64 v26, v[22:23]
	;; [unrolled: 1-line block ×4, first 2 shown]
	v_add_u32_e32 v28, 0x200, v69
	v_add_u32_e32 v33, 0x400, v69
	s_waitcnt lgkmcnt(0)
	s_barrier
	ds_read_b64 v[26:27], v69
	ds_read_b64 v[28:29], v28
	;; [unrolled: 1-line block ×4, first 2 shown]
	v_perm_b32 v81, v81, v31, s63
	v_perm_b32 v31, v86, v85, s63
	v_add_u32_e32 v71, -8, v71
	s_xor_b64 s[60:61], exec, -1
	s_waitcnt lgkmcnt(0)
	s_barrier
	s_branch .LBB1018_16
.LBB1018_33:
	s_or_b64 exec, exec, s[58:59]
	v_mad_u64_u32 v[10:11], s[4:5], v4, 6, v[37:38]
	v_lshl_add_u32 v1, v14, 1, v12
	v_mad_u64_u32 v[11:12], s[4:5], v32, 6, v[48:49]
	v_mul_u32_u24_e32 v4, 6, v14
	s_barrier
	ds_write_b16 v50, v84
	ds_write_b16 v37, v82
	;; [unrolled: 1-line block ×4, first 2 shown]
	s_waitcnt lgkmcnt(0)
	s_barrier
	ds_read_u16 v28, v1
	ds_read_u16 v27, v1 offset:512
	ds_read_u16 v26, v1 offset:1024
	;; [unrolled: 1-line block ×3, first 2 shown]
	v_mad_u64_u32 v[12:13], s[4:5], v30, 6, v[52:53]
	v_add_u32_e32 v1, v1, v4
	s_waitcnt lgkmcnt(0)
	s_barrier
	ds_write_b64 v51, v[24:25]
	ds_write_b64 v10, v[22:23]
	;; [unrolled: 1-line block ×4, first 2 shown]
	s_waitcnt lgkmcnt(0)
	s_barrier
	ds_read2st64_b64 v[12:15], v1 offset1:4
	ds_read2st64_b64 v[8:11], v1 offset0:8 offset1:12
	v_add_co_u32_e32 v4, vcc, v2, v16
	v_mov_b32_e32 v1, 0
	v_addc_co_u32_e32 v16, vcc, v3, v17, vcc
	v_lshlrev_b64 v[2:3], 1, v[0:1]
	s_waitcnt lgkmcnt(0)
	v_add_co_u32_e32 v2, vcc, v4, v2
	v_addc_co_u32_e32 v3, vcc, v16, v3, vcc
	v_cmp_lt_u32_e32 vcc, v0, v39
	s_barrier
	s_and_saveexec_b64 s[4:5], vcc
	s_cbranch_execz .LBB1018_35
; %bb.34:
	v_xor_b32_e32 v4, 0xffff8000, v28
	flat_store_short v[2:3], v4
.LBB1018_35:
	s_or_b64 exec, exec, s[4:5]
	v_add_u32_e32 v4, 0x100, v0
	v_cmp_lt_u32_e64 s[4:5], v4, v39
	s_and_saveexec_b64 s[6:7], s[4:5]
	s_cbranch_execz .LBB1018_37
; %bb.36:
	v_xor_b32_e32 v4, 0xffff8000, v27
	flat_store_short v[2:3], v4 offset:512
.LBB1018_37:
	s_or_b64 exec, exec, s[6:7]
	v_add_u32_e32 v4, 0x200, v0
	v_cmp_lt_u32_e64 s[10:11], v4, v39
	s_and_saveexec_b64 s[6:7], s[10:11]
	s_cbranch_execz .LBB1018_39
; %bb.38:
	v_xor_b32_e32 v4, 0xffff8000, v26
	flat_store_short v[2:3], v4 offset:1024
.LBB1018_39:
	;; [unrolled: 9-line block ×3, first 2 shown]
	s_or_b64 exec, exec, s[14:15]
	v_add_co_u32_e64 v2, s[14:15], v6, v18
	v_lshlrev_b64 v[0:1], 3, v[0:1]
	v_addc_co_u32_e64 v3, s[14:15], v7, v19, s[14:15]
	v_add_co_u32_e64 v0, s[14:15], v2, v0
	v_addc_co_u32_e64 v1, s[14:15], v3, v1, s[14:15]
	s_and_saveexec_b64 s[14:15], vcc
	s_cbranch_execnz .LBB1018_74
; %bb.42:
	s_or_b64 exec, exec, s[14:15]
	s_and_saveexec_b64 s[14:15], s[4:5]
	s_cbranch_execnz .LBB1018_75
.LBB1018_43:
	s_or_b64 exec, exec, s[14:15]
	s_and_saveexec_b64 s[4:5], s[10:11]
	s_cbranch_execnz .LBB1018_76
.LBB1018_44:
	s_or_b64 exec, exec, s[4:5]
	s_and_saveexec_b64 s[4:5], s[6:7]
	s_cbranch_execz .LBB1018_46
.LBB1018_45:
	v_add_co_u32_e32 v0, vcc, 0x1000, v0
	v_addc_co_u32_e32 v1, vcc, 0, v1, vcc
	flat_store_dwordx2 v[0:1], v[10:11] offset:2048
.LBB1018_46:
	s_or_b64 exec, exec, s[4:5]
                                        ; implicit-def: $vgpr39
                                        ; implicit-def: $vgpr0
                                        ; implicit-def: $vgpr1
                                        ; implicit-def: $vgpr2
                                        ; implicit-def: $vgpr3
                                        ; implicit-def: $vgpr4
                                        ; implicit-def: $vgpr5
                                        ; implicit-def: $vgpr6
                                        ; implicit-def: $vgpr7
                                        ; implicit-def: $vgpr8
                                        ; implicit-def: $vgpr10
                                        ; implicit-def: $vgpr11
                                        ; implicit-def: $vgpr12
                                        ; implicit-def: $vgpr13
                                        ; implicit-def: $vgpr31
                                        ; implicit-def: $vgpr15
                                        ; implicit-def: $vgpr19
                                        ; implicit-def: $vgpr18
.LBB1018_47:
	s_andn2_saveexec_b64 s[4:5], s[56:57]
	s_cbranch_execz .LBB1018_106
; %bb.48:
	s_load_dwordx2 s[4:5], s[8:9], 0x0
	v_mov_b32_e32 v9, 0
	v_and_b32_e32 v17, 0x3ff, v31
	s_waitcnt lgkmcnt(0)
	s_cmp_lt_u32 s13, s5
	s_cselect_b32 s5, 14, 20
	s_add_u32 s6, s8, s5
	s_addc_u32 s7, s9, 0
	s_cmp_lt_u32 s12, s4
	s_cselect_b32 s4, 12, 18
	s_add_u32 s4, s8, s4
	global_load_ushort v14, v9, s[6:7]
	s_addc_u32 s5, s9, 0
	global_load_ushort v16, v9, s[4:5]
	s_waitcnt vmcnt(0)
	v_mad_u32_u24 v14, v19, v14, v15
	v_mad_u64_u32 v[14:15], s[4:5], v14, v16, v[17:18]
	s_movk_i32 s4, 0x100
	v_lshlrev_b64 v[15:16], 1, v[8:9]
	v_cmp_lt_u32_e32 vcc, s4, v39
	s_and_saveexec_b64 s[4:5], vcc
	s_xor_b64 s[42:43], exec, s[4:5]
	s_cbranch_execz .LBB1018_86
; %bb.49:
	v_mbcnt_hi_u32_b32 v25, -1, v18
	v_add_co_u32_e32 v0, vcc, v0, v15
	v_and_b32_e32 v24, 63, v25
	v_addc_co_u32_e32 v1, vcc, v1, v16, vcc
	v_lshlrev_b32_e32 v18, 1, v14
	v_lshlrev_b32_e32 v19, 1, v24
	v_and_b32_e32 v18, 0xffffff80, v18
	v_add_co_u32_e32 v20, vcc, v0, v19
	v_mov_b32_e32 v19, v9
	v_addc_co_u32_e32 v21, vcc, 0, v1, vcc
	v_lshlrev_b64 v[0:1], 1, v[18:19]
	v_mov_b32_e32 v26, 0x7fff7fff
	v_add_co_u32_e32 v0, vcc, v20, v0
	v_addc_co_u32_e32 v1, vcc, v21, v1, vcc
	v_or_b32_e32 v20, v24, v18
	v_cmp_lt_u32_e32 vcc, v20, v39
	s_and_saveexec_b64 s[4:5], vcc
	s_cbranch_execz .LBB1018_51
; %bb.50:
	flat_load_ushort v21, v[0:1]
	s_movk_i32 s6, 0x7fff
	v_mov_b32_e32 v22, 0x5040100
	s_waitcnt vmcnt(0) lgkmcnt(0)
	v_perm_b32 v26, s6, v21, v22
.LBB1018_51:
	s_or_b64 exec, exec, s[4:5]
	v_or_b32_e32 v20, 64, v20
	v_cmp_lt_u32_e64 s[4:5], v20, v39
	s_and_saveexec_b64 s[6:7], s[4:5]
	s_cbranch_execz .LBB1018_53
; %bb.52:
	flat_load_ushort v0, v[0:1] offset:128
	s_mov_b32 s8, 0x5040100
	s_waitcnt vmcnt(0) lgkmcnt(0)
	v_perm_b32 v26, v0, v26, s8
.LBB1018_53:
	s_or_b64 exec, exec, s[6:7]
	v_lshlrev_b64 v[0:1], 3, v[8:9]
	v_lshlrev_b32_e32 v8, 3, v24
	v_add_co_u32_e64 v4, s[6:7], v4, v0
	v_addc_co_u32_e64 v5, s[6:7], v5, v1, s[6:7]
	v_add_co_u32_e64 v8, s[6:7], v4, v8
	v_addc_co_u32_e64 v9, s[6:7], 0, v5, s[6:7]
	v_lshlrev_b64 v[4:5], 3, v[18:19]
	v_mov_b32_e32 v22, 0
	v_mov_b32_e32 v20, 0
	v_add_co_u32_e64 v4, s[6:7], v8, v4
	v_mov_b32_e32 v23, 0
	v_mov_b32_e32 v21, 0
	v_addc_co_u32_e64 v5, s[6:7], v9, v5, s[6:7]
	s_and_saveexec_b64 s[6:7], vcc
	s_cbranch_execz .LBB1018_55
; %bb.54:
	flat_load_dwordx2 v[20:21], v[4:5]
.LBB1018_55:
	s_or_b64 exec, exec, s[6:7]
	s_and_saveexec_b64 s[6:7], s[4:5]
	s_cbranch_execz .LBB1018_57
; %bb.56:
	flat_load_dwordx2 v[22:23], v[4:5] offset:512
.LBB1018_57:
	s_or_b64 exec, exec, s[6:7]
	v_lshl_add_u32 v4, v17, 4, v12
	s_getpc_b64 s[4:5]
	s_add_u32 s4, s4, _ZN7rocprim17ROCPRIM_400000_NS16block_radix_sortIsLj256ELj2ElLj1ELj1ELj8ELNS0_26block_radix_rank_algorithmE2ELNS0_18block_padding_hintE2ELNS0_4arch9wavefront6targetE1EE19radix_bits_per_passE@rel32@lo+4
	s_addc_u32 s5, s5, _ZN7rocprim17ROCPRIM_400000_NS16block_radix_sortIsLj256ELj2ElLj1ELj1ELj8ELNS0_26block_radix_rank_algorithmE2ELNS0_18block_padding_hintE2ELNS0_4arch9wavefront6targetE1EE19radix_bits_per_passE@rel32@hi+12
	v_add_u32_e32 v30, 16, v4
	v_add_u32_e32 v31, 20, v4
	;; [unrolled: 1-line block ×4, first 2 shown]
	v_and_b32_e32 v4, 15, v25
	s_load_dword s58, s[4:5], 0x0
	v_cmp_eq_u32_e32 vcc, 0, v4
	v_cmp_lt_u32_e64 s[4:5], 1, v4
	v_cmp_lt_u32_e64 s[6:7], 3, v4
	;; [unrolled: 1-line block ×3, first 2 shown]
	v_and_b32_e32 v4, 16, v25
	v_cmp_eq_u32_e64 s[10:11], 0, v4
	v_and_b32_e32 v4, 0x3c0, v17
	v_min_u32_e32 v4, 0xc0, v4
	v_or_b32_e32 v4, 63, v4
	v_cmp_eq_u32_e64 s[14:15], v17, v4
	v_subrev_co_u32_e64 v4, s[20:21], 1, v25
	v_and_b32_e32 v5, 64, v25
	v_cmp_lt_i32_e64 s[22:23], v4, v5
	v_and_b32_e32 v5, 3, v25
	v_cndmask_b32_e64 v4, v4, v25, s[22:23]
	v_cmp_eq_u32_e64 s[24:25], 0, v5
	v_cmp_lt_u32_e64 s[26:27], 1, v5
	v_lshlrev_b32_e32 v5, 1, v17
	s_movk_i32 s28, 0x780
	v_lshlrev_b32_e32 v36, 2, v4
	v_lshrrev_b32_e32 v4, 4, v17
	v_and_or_b32 v5, v5, s28, v24
	v_and_b32_e32 v4, 60, v4
	v_lshl_add_u32 v49, v5, 1, v12
	v_mul_u32_u24_e32 v5, 6, v5
	v_add_u32_e32 v37, v12, v4
	v_add_u32_e32 v51, v49, v5
	v_xor_b32_e32 v34, 0x80008000, v26
	v_lshrrev_b32_e32 v35, 6, v14
	v_cmp_lt_u32_e64 s[12:13], 31, v25
	v_cmp_gt_u32_e64 s[16:17], 4, v17
	v_cmp_lt_u32_e64 s[18:19], 63, v17
	v_cmp_eq_u32_e64 s[22:23], 0, v17
	v_mov_b32_e32 v4, 0
	v_lshl_add_u32 v38, v17, 2, v12
	v_add_u32_e32 v48, -4, v37
	v_add_u32_e32 v50, 0x80, v49
	v_add_u32_e32 v52, 0x200, v51
	v_sub_u32_e32 v53, v11, v10
	s_mov_b64 s[44:45], 0
	s_mov_b32 s59, 0x5040100
	s_waitcnt vmcnt(0) lgkmcnt(0)
	s_barrier
	s_branch .LBB1018_59
.LBB1018_58:                            ;   in Loop: Header=BB1018_59 Depth=1
	s_or_b64 exec, exec, s[40:41]
	s_and_b64 s[28:29], exec, s[56:57]
	s_or_b64 s[44:45], s[28:29], s[44:45]
	s_andn2_b64 exec, exec, s[44:45]
	s_cbranch_execz .LBB1018_77
.LBB1018_59:                            ; =>This Inner Loop Header: Depth=1
	v_min_u32_e32 v5, s58, v53
	v_lshlrev_b32_e64 v5, v5, -1
	v_mov_b32_e32 v18, v20
	v_not_b32_e32 v24, v5
	v_lshrrev_b32_sdwa v5, v10, v34 dst_sel:DWORD dst_unused:UNUSED_PAD src0_sel:DWORD src1_sel:WORD_0
	v_mov_b32_e32 v19, v21
	v_and_b32_e32 v20, v5, v24
	v_lshlrev_b32_e32 v5, 2, v20
	v_add_lshl_u32 v5, v5, v35, 2
	v_mov_b32_e32 v8, v22
	v_add_co_u32_e64 v5, s[28:29], v12, v5
	v_mov_b32_e32 v9, v23
	v_add_co_u32_e64 v22, s[28:29], 16, v5
	v_and_b32_e32 v5, 1, v20
	v_add_co_u32_e64 v21, s[28:29], -1, v5
	v_addc_co_u32_e64 v23, s[28:29], 0, -1, s[28:29]
	v_cmp_ne_u32_e64 s[28:29], 0, v5
	v_xor_b32_e32 v5, s29, v23
	v_and_b32_e32 v23, exec_hi, v5
	v_lshlrev_b32_e32 v5, 30, v20
	v_xor_b32_e32 v21, s28, v21
	v_cmp_gt_i64_e64 s[28:29], 0, v[4:5]
	v_not_b32_e32 v5, v5
	v_ashrrev_i32_e32 v5, 31, v5
	v_and_b32_e32 v21, exec_lo, v21
	v_xor_b32_e32 v25, s29, v5
	v_xor_b32_e32 v5, s28, v5
	v_and_b32_e32 v21, v21, v5
	v_lshlrev_b32_e32 v5, 29, v20
	v_cmp_gt_i64_e64 s[28:29], 0, v[4:5]
	v_not_b32_e32 v5, v5
	v_ashrrev_i32_e32 v5, 31, v5
	v_and_b32_e32 v23, v23, v25
	v_xor_b32_e32 v25, s29, v5
	v_xor_b32_e32 v5, s28, v5
	v_and_b32_e32 v21, v21, v5
	v_lshlrev_b32_e32 v5, 28, v20
	v_cmp_gt_i64_e64 s[28:29], 0, v[4:5]
	v_not_b32_e32 v5, v5
	v_ashrrev_i32_e32 v5, 31, v5
	v_and_b32_e32 v23, v23, v25
	v_xor_b32_e32 v25, s29, v5
	v_xor_b32_e32 v5, s28, v5
	v_and_b32_e32 v21, v21, v5
	v_lshlrev_b32_e32 v5, 27, v20
	v_cmp_gt_i64_e64 s[28:29], 0, v[4:5]
	v_not_b32_e32 v5, v5
	v_ashrrev_i32_e32 v5, 31, v5
	v_and_b32_e32 v23, v23, v25
	v_xor_b32_e32 v25, s29, v5
	v_xor_b32_e32 v5, s28, v5
	v_and_b32_e32 v21, v21, v5
	v_lshlrev_b32_e32 v5, 26, v20
	v_cmp_gt_i64_e64 s[28:29], 0, v[4:5]
	v_not_b32_e32 v5, v5
	v_ashrrev_i32_e32 v5, 31, v5
	v_and_b32_e32 v23, v23, v25
	v_xor_b32_e32 v25, s29, v5
	v_xor_b32_e32 v5, s28, v5
	v_and_b32_e32 v21, v21, v5
	v_lshlrev_b32_e32 v5, 25, v20
	v_cmp_gt_i64_e64 s[28:29], 0, v[4:5]
	v_not_b32_e32 v5, v5
	v_ashrrev_i32_e32 v5, 31, v5
	v_and_b32_e32 v23, v23, v25
	v_xor_b32_e32 v25, s29, v5
	v_xor_b32_e32 v5, s28, v5
	v_and_b32_e32 v23, v23, v25
	v_and_b32_e32 v25, v21, v5
	v_lshlrev_b32_e32 v5, 24, v20
	v_cmp_gt_i64_e64 s[28:29], 0, v[4:5]
	v_not_b32_e32 v5, v5
	v_ashrrev_i32_e32 v5, 31, v5
	v_xor_b32_e32 v20, s29, v5
	v_xor_b32_e32 v5, s28, v5
	v_and_b32_e32 v21, v23, v20
	v_and_b32_e32 v20, v25, v5
	v_mbcnt_lo_u32_b32 v5, v20, 0
	v_mbcnt_hi_u32_b32 v23, v21, v5
	v_cmp_ne_u64_e64 s[28:29], 0, v[20:21]
	v_cmp_eq_u32_e64 s[40:41], 0, v23
	s_and_b64 s[40:41], s[28:29], s[40:41]
	ds_write_b32 v30, v4
	ds_write_b32 v31, v4
	ds_write_b32 v32, v4
	ds_write_b32 v33, v4
	s_waitcnt lgkmcnt(0)
	s_barrier
	; wave barrier
	s_and_saveexec_b64 s[28:29], s[40:41]
; %bb.60:                               ;   in Loop: Header=BB1018_59 Depth=1
	v_bcnt_u32_b32 v5, v20, 0
	v_bcnt_u32_b32 v5, v21, v5
	ds_write_b32 v22, v5
; %bb.61:                               ;   in Loop: Header=BB1018_59 Depth=1
	s_or_b64 exec, exec, s[28:29]
	v_lshrrev_b32_e32 v54, 16, v34
	v_lshrrev_b32_e32 v5, v10, v54
	v_and_b32_e32 v20, v5, v24
	v_lshl_add_u32 v5, v20, 2, v35
	v_lshl_add_u32 v5, v5, 2, v12
	; wave barrier
	v_add_u32_e32 v25, 16, v5
	ds_read_b32 v24, v5 offset:16
	v_and_b32_e32 v5, 1, v20
	v_add_co_u32_e64 v21, s[28:29], -1, v5
	v_addc_co_u32_e64 v26, s[28:29], 0, -1, s[28:29]
	v_cmp_ne_u32_e64 s[28:29], 0, v5
	v_xor_b32_e32 v5, s29, v26
	v_and_b32_e32 v26, exec_hi, v5
	v_lshlrev_b32_e32 v5, 30, v20
	v_xor_b32_e32 v21, s28, v21
	v_cmp_gt_i64_e64 s[28:29], 0, v[4:5]
	v_not_b32_e32 v5, v5
	v_ashrrev_i32_e32 v5, 31, v5
	v_and_b32_e32 v21, exec_lo, v21
	v_xor_b32_e32 v27, s29, v5
	v_xor_b32_e32 v5, s28, v5
	v_and_b32_e32 v21, v21, v5
	v_lshlrev_b32_e32 v5, 29, v20
	v_cmp_gt_i64_e64 s[28:29], 0, v[4:5]
	v_not_b32_e32 v5, v5
	v_ashrrev_i32_e32 v5, 31, v5
	v_and_b32_e32 v26, v26, v27
	v_xor_b32_e32 v27, s29, v5
	v_xor_b32_e32 v5, s28, v5
	v_and_b32_e32 v21, v21, v5
	v_lshlrev_b32_e32 v5, 28, v20
	v_cmp_gt_i64_e64 s[28:29], 0, v[4:5]
	v_not_b32_e32 v5, v5
	v_ashrrev_i32_e32 v5, 31, v5
	v_and_b32_e32 v26, v26, v27
	;; [unrolled: 8-line block ×5, first 2 shown]
	v_xor_b32_e32 v27, s29, v5
	v_xor_b32_e32 v5, s28, v5
	v_and_b32_e32 v26, v26, v27
	v_and_b32_e32 v27, v21, v5
	v_lshlrev_b32_e32 v5, 24, v20
	v_cmp_gt_i64_e64 s[28:29], 0, v[4:5]
	v_not_b32_e32 v5, v5
	v_ashrrev_i32_e32 v5, 31, v5
	v_xor_b32_e32 v20, s29, v5
	v_xor_b32_e32 v5, s28, v5
	v_and_b32_e32 v21, v26, v20
	v_and_b32_e32 v20, v27, v5
	v_mbcnt_lo_u32_b32 v5, v20, 0
	v_mbcnt_hi_u32_b32 v5, v21, v5
	v_cmp_ne_u64_e64 s[28:29], 0, v[20:21]
	v_cmp_eq_u32_e64 s[40:41], 0, v5
	s_and_b64 s[40:41], s[28:29], s[40:41]
	; wave barrier
	s_and_saveexec_b64 s[28:29], s[40:41]
	s_cbranch_execz .LBB1018_63
; %bb.62:                               ;   in Loop: Header=BB1018_59 Depth=1
	v_bcnt_u32_b32 v20, v20, 0
	v_bcnt_u32_b32 v20, v21, v20
	s_waitcnt lgkmcnt(0)
	v_add_u32_e32 v20, v24, v20
	ds_write_b32 v25, v20
.LBB1018_63:                            ;   in Loop: Header=BB1018_59 Depth=1
	s_or_b64 exec, exec, s[28:29]
	; wave barrier
	s_waitcnt lgkmcnt(0)
	s_barrier
	ds_read_b32 v26, v30
	ds_read_b32 v21, v31
	;; [unrolled: 1-line block ×4, first 2 shown]
	s_waitcnt lgkmcnt(2)
	v_add_u32_e32 v28, v21, v26
	s_waitcnt lgkmcnt(0)
	v_add3_u32 v27, v28, v20, v27
	s_nop 1
	v_mov_b32_dpp v28, v27 row_shr:1 row_mask:0xf bank_mask:0xf
	v_cndmask_b32_e64 v28, v28, 0, vcc
	v_add_u32_e32 v27, v28, v27
	s_nop 1
	v_mov_b32_dpp v28, v27 row_shr:2 row_mask:0xf bank_mask:0xf
	v_cndmask_b32_e64 v28, 0, v28, s[4:5]
	v_add_u32_e32 v27, v27, v28
	s_nop 1
	v_mov_b32_dpp v28, v27 row_shr:4 row_mask:0xf bank_mask:0xf
	v_cndmask_b32_e64 v28, 0, v28, s[6:7]
	;; [unrolled: 4-line block ×3, first 2 shown]
	v_add_u32_e32 v27, v27, v28
	s_nop 1
	v_mov_b32_dpp v28, v27 row_bcast:15 row_mask:0xf bank_mask:0xf
	v_cndmask_b32_e64 v28, v28, 0, s[10:11]
	v_add_u32_e32 v27, v27, v28
	s_nop 1
	v_mov_b32_dpp v28, v27 row_bcast:31 row_mask:0xf bank_mask:0xf
	v_cndmask_b32_e64 v28, 0, v28, s[12:13]
	v_add_u32_e32 v27, v27, v28
	s_and_saveexec_b64 s[28:29], s[14:15]
; %bb.64:                               ;   in Loop: Header=BB1018_59 Depth=1
	ds_write_b32 v37, v27
; %bb.65:                               ;   in Loop: Header=BB1018_59 Depth=1
	s_or_b64 exec, exec, s[28:29]
	s_waitcnt lgkmcnt(0)
	s_barrier
	s_and_saveexec_b64 s[28:29], s[16:17]
	s_cbranch_execz .LBB1018_67
; %bb.66:                               ;   in Loop: Header=BB1018_59 Depth=1
	ds_read_b32 v28, v38
	s_waitcnt lgkmcnt(0)
	s_nop 0
	v_mov_b32_dpp v29, v28 row_shr:1 row_mask:0xf bank_mask:0xf
	v_cndmask_b32_e64 v29, v29, 0, s[24:25]
	v_add_u32_e32 v28, v29, v28
	s_nop 1
	v_mov_b32_dpp v29, v28 row_shr:2 row_mask:0xf bank_mask:0xf
	v_cndmask_b32_e64 v29, 0, v29, s[26:27]
	v_add_u32_e32 v28, v28, v29
	ds_write_b32 v38, v28
.LBB1018_67:                            ;   in Loop: Header=BB1018_59 Depth=1
	s_or_b64 exec, exec, s[28:29]
	v_mov_b32_e32 v28, 0
	s_waitcnt lgkmcnt(0)
	s_barrier
	s_and_saveexec_b64 s[28:29], s[18:19]
; %bb.68:                               ;   in Loop: Header=BB1018_59 Depth=1
	ds_read_b32 v28, v48
; %bb.69:                               ;   in Loop: Header=BB1018_59 Depth=1
	s_or_b64 exec, exec, s[28:29]
	s_waitcnt lgkmcnt(0)
	v_add_u32_e32 v27, v28, v27
	ds_bpermute_b32 v27, v36, v27
	v_add_u32_e32 v10, 8, v10
	v_mov_b32_e32 v55, v34
	s_mov_b64 s[56:57], -1
	s_waitcnt lgkmcnt(0)
	v_cndmask_b32_e64 v27, v27, v28, s[20:21]
	v_cndmask_b32_e64 v27, v27, 0, s[22:23]
	v_add_u32_e32 v26, v27, v26
	v_add_u32_e32 v21, v26, v21
	;; [unrolled: 1-line block ×3, first 2 shown]
	ds_write_b32 v30, v27
	ds_write_b32 v31, v26
	;; [unrolled: 1-line block ×4, first 2 shown]
	s_waitcnt lgkmcnt(0)
	s_barrier
	ds_read_b32 v20, v22
	ds_read_b32 v21, v25
	s_waitcnt lgkmcnt(0)
	v_add_u32_e32 v20, v20, v23
	v_add3_u32 v22, v5, v24, v21
	v_mov_b32_e32 v21, v4
	v_lshlrev_b64 v[24:25], 1, v[20:21]
	v_mov_b32_e32 v23, v4
	v_add_co_u32_e64 v24, s[28:29], v12, v24
	v_lshlrev_b64 v[26:27], 1, v[22:23]
	v_addc_co_u32_e64 v25, s[28:29], v13, v25, s[28:29]
	v_add_co_u32_e64 v28, s[28:29], v12, v26
	v_addc_co_u32_e64 v29, s[28:29], v13, v27, s[28:29]
	v_mad_u64_u32 v[25:26], s[28:29], v20, 6, v[24:25]
	v_mad_u64_u32 v[26:27], s[28:29], v22, 6, v[28:29]
	v_cmp_lt_u32_e64 s[28:29], v10, v11
                                        ; implicit-def: $vgpr22_vgpr23
                                        ; implicit-def: $vgpr20_vgpr21
	s_and_saveexec_b64 s[40:41], s[28:29]
	s_cbranch_execz .LBB1018_58
; %bb.70:                               ;   in Loop: Header=BB1018_59 Depth=1
	s_barrier
	ds_write_b16 v24, v34
	ds_write_b16 v28, v54
	s_waitcnt lgkmcnt(0)
	s_barrier
	ds_read_u16 v5, v49
	ds_read_u16 v20, v50
	s_waitcnt lgkmcnt(0)
	s_barrier
	ds_write_b64 v25, v[18:19]
	ds_write_b64 v26, v[8:9]
	v_perm_b32 v34, v20, v5, s59
	s_waitcnt lgkmcnt(0)
	s_barrier
	ds_read_b64 v[20:21], v51
	ds_read_b64 v[22:23], v52
	v_add_u32_e32 v53, -8, v53
	s_xor_b64 s[56:57], exec, -1
	s_waitcnt lgkmcnt(0)
	s_barrier
	s_branch .LBB1018_58
.LBB1018_71:
	flat_load_dwordx2 v[26:27], v[4:5]
	s_or_b64 exec, exec, s[14:15]
                                        ; implicit-def: $vgpr28_vgpr29
	s_and_saveexec_b64 s[14:15], s[4:5]
	s_cbranch_execz .LBB1018_12
.LBB1018_72:
	flat_load_dwordx2 v[28:29], v[4:5] offset:512
	s_or_b64 exec, exec, s[14:15]
                                        ; implicit-def: $vgpr33_vgpr34
	s_and_saveexec_b64 s[4:5], s[6:7]
	s_cbranch_execz .LBB1018_13
.LBB1018_73:
	flat_load_dwordx2 v[33:34], v[4:5] offset:1024
	s_or_b64 exec, exec, s[4:5]
                                        ; implicit-def: $vgpr35_vgpr36
	s_and_saveexec_b64 s[4:5], s[10:11]
	s_cbranch_execnz .LBB1018_14
	s_branch .LBB1018_15
.LBB1018_74:
	flat_store_dwordx2 v[0:1], v[12:13]
	s_or_b64 exec, exec, s[14:15]
	s_and_saveexec_b64 s[14:15], s[4:5]
	s_cbranch_execz .LBB1018_43
.LBB1018_75:
	flat_store_dwordx2 v[0:1], v[14:15] offset:2048
	s_or_b64 exec, exec, s[14:15]
	s_and_saveexec_b64 s[4:5], s[10:11]
	s_cbranch_execz .LBB1018_44
.LBB1018_76:
	v_add_co_u32_e32 v2, vcc, 0x1000, v0
	v_addc_co_u32_e32 v3, vcc, 0, v1, vcc
	flat_store_dwordx2 v[2:3], v[8:9]
	s_or_b64 exec, exec, s[4:5]
	s_and_saveexec_b64 s[4:5], s[6:7]
	s_cbranch_execnz .LBB1018_45
	s_branch .LBB1018_46
.LBB1018_77:
	s_or_b64 exec, exec, s[44:45]
	v_lshl_add_u32 v10, v17, 1, v12
	s_barrier
	ds_write_b16 v24, v55
	ds_write_b16 v28, v54
	s_waitcnt lgkmcnt(0)
	s_barrier
	ds_read_u16 v5, v10
	ds_read_u16 v4, v10 offset:512
	s_waitcnt lgkmcnt(0)
	s_barrier
	ds_write_b64 v25, v[18:19]
	ds_write_b64 v26, v[8:9]
	v_mul_u32_u24_e32 v8, 6, v17
	v_add_u32_e32 v8, v10, v8
	v_add_co_u32_e32 v12, vcc, v2, v15
	v_mov_b32_e32 v15, 0
	s_waitcnt lgkmcnt(0)
	s_barrier
	ds_read2st64_b64 v[8:11], v8 offset1:4
	v_addc_co_u32_e32 v13, vcc, v3, v16, vcc
	v_lshlrev_b64 v[2:3], 1, v[14:15]
	s_waitcnt lgkmcnt(0)
	v_add_co_u32_e32 v2, vcc, v12, v2
	v_addc_co_u32_e32 v3, vcc, v13, v3, vcc
	v_cmp_lt_u32_e32 vcc, v14, v39
	s_barrier
	s_and_saveexec_b64 s[4:5], vcc
	s_cbranch_execz .LBB1018_79
; %bb.78:
	v_xor_b32_e32 v5, 0xffff8000, v5
	flat_store_short v[2:3], v5
.LBB1018_79:
	s_or_b64 exec, exec, s[4:5]
	v_add_u32_e32 v5, 0x100, v14
	v_cmp_lt_u32_e64 s[4:5], v5, v39
	s_and_saveexec_b64 s[6:7], s[4:5]
	s_cbranch_execz .LBB1018_81
; %bb.80:
	v_xor_b32_e32 v4, 0xffff8000, v4
	flat_store_short v[2:3], v4 offset:512
.LBB1018_81:
	s_or_b64 exec, exec, s[6:7]
	v_add_co_u32_e64 v2, s[6:7], v6, v0
	v_addc_co_u32_e64 v3, s[6:7], v7, v1, s[6:7]
	v_lshlrev_b64 v[0:1], 3, v[14:15]
	v_add_co_u32_e64 v0, s[6:7], v2, v0
	v_addc_co_u32_e64 v1, s[6:7], v3, v1, s[6:7]
	s_and_saveexec_b64 s[6:7], vcc
	s_cbranch_execz .LBB1018_83
; %bb.82:
	flat_store_dwordx2 v[0:1], v[8:9]
.LBB1018_83:
	s_or_b64 exec, exec, s[6:7]
	s_and_saveexec_b64 s[6:7], s[4:5]
	s_cbranch_execz .LBB1018_85
; %bb.84:
	flat_store_dwordx2 v[0:1], v[10:11] offset:2048
.LBB1018_85:
	s_or_b64 exec, exec, s[6:7]
                                        ; implicit-def: $vgpr14_vgpr15
                                        ; implicit-def: $vgpr17
                                        ; implicit-def: $vgpr8_vgpr9
                                        ; implicit-def: $vgpr39
                                        ; implicit-def: $vgpr0
                                        ; implicit-def: $vgpr1
                                        ; implicit-def: $vgpr2
                                        ; implicit-def: $vgpr3
                                        ; implicit-def: $vgpr4
                                        ; implicit-def: $vgpr5
                                        ; implicit-def: $vgpr6
                                        ; implicit-def: $vgpr7
                                        ; implicit-def: $vgpr10
                                        ; implicit-def: $vgpr11
                                        ; implicit-def: $vgpr12
                                        ; implicit-def: $vgpr13
                                        ; implicit-def: $vgpr18
                                        ; implicit-def: $vgpr15_vgpr16
.LBB1018_86:
	s_andn2_saveexec_b64 s[4:5], s[42:43]
	s_cbranch_execz .LBB1018_106
; %bb.87:
	v_mbcnt_hi_u32_b32 v30, -1, v18
	v_bfi_b32 v18, 63, v30, v14
	v_and_b32_e32 v31, 63, v30
	v_and_b32_e32 v20, 0xffffffc0, v14
	v_cmp_lt_u32_e32 vcc, v18, v39
	v_mov_b32_e32 v35, -1
	s_and_saveexec_b64 s[6:7], vcc
	s_cbranch_execz .LBB1018_89
; %bb.88:
	v_add_co_u32_e64 v0, s[4:5], v0, v15
	v_addc_co_u32_e64 v1, s[4:5], v1, v16, s[4:5]
	v_lshlrev_b32_e32 v18, 1, v31
	v_mov_b32_e32 v21, 0
	v_add_co_u32_e64 v18, s[4:5], v0, v18
	v_addc_co_u32_e64 v19, s[4:5], 0, v1, s[4:5]
	v_lshlrev_b64 v[0:1], 1, v[20:21]
	v_add_co_u32_e64 v0, s[4:5], v18, v0
	v_addc_co_u32_e64 v1, s[4:5], v19, v1, s[4:5]
	flat_load_ushort v0, v[0:1]
	s_waitcnt vmcnt(0) lgkmcnt(0)
	v_xor_b32_e32 v35, 0xffff8000, v0
.LBB1018_89:
	s_or_b64 exec, exec, s[6:7]
	v_lshlrev_b64 v[0:1], 3, v[8:9]
                                        ; implicit-def: $vgpr18_vgpr19
	s_and_saveexec_b64 s[4:5], vcc
	s_cbranch_execz .LBB1018_91
; %bb.90:
	v_add_co_u32_e32 v4, vcc, v4, v0
	v_addc_co_u32_e32 v5, vcc, v5, v1, vcc
	v_lshlrev_b32_e32 v8, 3, v31
	v_mov_b32_e32 v21, 0
	v_add_co_u32_e32 v8, vcc, v4, v8
	v_addc_co_u32_e32 v9, vcc, 0, v5, vcc
	v_lshlrev_b64 v[4:5], 3, v[20:21]
	v_add_co_u32_e32 v4, vcc, v8, v4
	v_addc_co_u32_e32 v5, vcc, v9, v5, vcc
	flat_load_dwordx2 v[18:19], v[4:5]
.LBB1018_91:
	s_or_b64 exec, exec, s[4:5]
	v_lshl_add_u32 v8, v17, 4, v12
	s_getpc_b64 s[4:5]
	s_add_u32 s4, s4, _ZN7rocprim17ROCPRIM_400000_NS16block_radix_sortIsLj256ELj1ElLj1ELj1ELj8ELNS0_26block_radix_rank_algorithmE2ELNS0_18block_padding_hintE2ELNS0_4arch9wavefront6targetE1EE19radix_bits_per_passE@rel32@lo+4
	s_addc_u32 s5, s5, _ZN7rocprim17ROCPRIM_400000_NS16block_radix_sortIsLj256ELj1ElLj1ELj1ELj8ELNS0_26block_radix_rank_algorithmE2ELNS0_18block_padding_hintE2ELNS0_4arch9wavefront6targetE1EE19radix_bits_per_passE@rel32@hi+12
	v_add_u32_e32 v22, 16, v8
	v_add_u32_e32 v23, 20, v8
	;; [unrolled: 1-line block ×4, first 2 shown]
	v_and_b32_e32 v8, 15, v30
	s_load_dword s56, s[4:5], 0x0
	v_cmp_eq_u32_e32 vcc, 0, v8
	v_cmp_lt_u32_e64 s[4:5], 1, v8
	v_cmp_lt_u32_e64 s[6:7], 3, v8
	;; [unrolled: 1-line block ×3, first 2 shown]
	v_and_b32_e32 v8, 16, v30
	v_cmp_eq_u32_e64 s[10:11], 0, v8
	v_and_b32_e32 v8, 0x3c0, v17
	v_min_u32_e32 v9, 0xc0, v8
	v_or_b32_e32 v9, 63, v9
	v_cmp_eq_u32_e64 s[14:15], v17, v9
	v_subrev_co_u32_e64 v9, s[20:21], 1, v30
	v_and_b32_e32 v20, 64, v30
	v_cmp_lt_i32_e64 s[22:23], v9, v20
	v_lshlrev_b32_e32 v4, 2, v17
	v_cndmask_b32_e64 v9, v9, v30, s[22:23]
	v_lshlrev_b32_e32 v28, 2, v9
	v_lshrrev_b32_e32 v9, 4, v17
	v_add_co_u32_e64 v27, s[24:25], v12, v4
	v_and_b32_e32 v4, 3, v30
	v_and_b32_e32 v9, 60, v9
	v_cmp_eq_u32_e64 s[24:25], 0, v4
	v_cmp_lt_u32_e64 s[26:27], 1, v4
	v_or_b32_e32 v4, v31, v8
	v_add_u32_e32 v29, v12, v9
	v_lshl_add_u32 v31, v4, 1, v12
	v_mul_u32_u24_e32 v4, 6, v4
	v_mov_b32_e32 v5, 0
	v_lshrrev_b32_e32 v26, 6, v14
	v_cmp_lt_u32_e64 s[12:13], 31, v30
	v_cmp_gt_u32_e64 s[16:17], 4, v17
	v_cmp_lt_u32_e64 s[18:19], 63, v17
	v_cmp_eq_u32_e64 s[22:23], 0, v17
	v_add_u32_e32 v30, -4, v29
	v_add_u32_e32 v32, v31, v4
	v_sub_u32_e32 v33, v11, v10
	s_mov_b64 s[42:43], 0
	s_waitcnt vmcnt(0) lgkmcnt(0)
	s_barrier
	s_branch .LBB1018_93
.LBB1018_92:                            ;   in Loop: Header=BB1018_93 Depth=1
	s_or_b64 exec, exec, s[40:41]
	s_and_b64 s[28:29], exec, s[44:45]
	s_or_b64 s[42:43], s[28:29], s[42:43]
	s_andn2_b64 exec, exec, s[42:43]
	s_cbranch_execz .LBB1018_103
.LBB1018_93:                            ; =>This Inner Loop Header: Depth=1
	v_mov_b32_e32 v8, v18
	v_mov_b32_e32 v34, v35
	;; [unrolled: 1-line block ×3, first 2 shown]
	v_min_u32_e32 v4, s56, v33
	v_lshrrev_b32_sdwa v18, v10, v34 dst_sel:DWORD dst_unused:UNUSED_PAD src0_sel:DWORD src1_sel:WORD_0
	v_bfe_u32 v20, v18, 0, v4
	v_lshlrev_b32_e32 v4, 2, v20
	v_add_lshl_u32 v4, v4, v26, 2
	v_add_co_u32_e64 v4, s[28:29], v12, v4
	v_add_co_u32_e64 v4, s[28:29], 16, v4
	v_and_b32_e32 v18, 1, v20
	v_add_co_u32_e64 v19, s[28:29], -1, v18
	v_addc_co_u32_e64 v21, s[28:29], 0, -1, s[28:29]
	v_cmp_ne_u32_e64 s[28:29], 0, v18
	v_xor_b32_e32 v18, s29, v21
	v_xor_b32_e32 v19, s28, v19
	v_and_b32_e32 v21, exec_hi, v18
	v_and_b32_e32 v35, exec_lo, v19
	v_lshlrev_b32_e32 v19, 30, v20
	v_mov_b32_e32 v18, v5
	v_cmp_gt_i64_e64 s[28:29], 0, v[18:19]
	v_not_b32_e32 v18, v19
	v_ashrrev_i32_e32 v18, 31, v18
	v_xor_b32_e32 v19, s29, v18
	v_xor_b32_e32 v18, s28, v18
	v_and_b32_e32 v21, v21, v19
	v_and_b32_e32 v35, v35, v18
	v_lshlrev_b32_e32 v19, 29, v20
	v_mov_b32_e32 v18, v5
	v_cmp_gt_i64_e64 s[28:29], 0, v[18:19]
	v_not_b32_e32 v18, v19
	v_ashrrev_i32_e32 v18, 31, v18
	v_xor_b32_e32 v19, s29, v18
	v_xor_b32_e32 v18, s28, v18
	v_and_b32_e32 v21, v21, v19
	v_and_b32_e32 v35, v35, v18
	;; [unrolled: 9-line block ×7, first 2 shown]
	v_mbcnt_lo_u32_b32 v20, v18, 0
	v_mbcnt_hi_u32_b32 v20, v19, v20
	v_cmp_ne_u64_e64 s[28:29], 0, v[18:19]
	v_cmp_eq_u32_e64 s[40:41], 0, v20
	s_and_b64 s[40:41], s[28:29], s[40:41]
	ds_write_b32 v22, v5
	ds_write_b32 v23, v5
	;; [unrolled: 1-line block ×4, first 2 shown]
	s_waitcnt lgkmcnt(0)
	s_barrier
	; wave barrier
	s_and_saveexec_b64 s[28:29], s[40:41]
; %bb.94:                               ;   in Loop: Header=BB1018_93 Depth=1
	v_bcnt_u32_b32 v18, v18, 0
	v_bcnt_u32_b32 v18, v19, v18
	ds_write_b32 v4, v18
; %bb.95:                               ;   in Loop: Header=BB1018_93 Depth=1
	s_or_b64 exec, exec, s[28:29]
	; wave barrier
	s_waitcnt lgkmcnt(0)
	s_barrier
	ds_read_b32 v21, v22
	ds_read_b32 v19, v23
	;; [unrolled: 1-line block ×4, first 2 shown]
	s_waitcnt lgkmcnt(2)
	v_add_u32_e32 v36, v19, v21
	s_waitcnt lgkmcnt(0)
	v_add3_u32 v35, v36, v18, v35
	s_nop 1
	v_mov_b32_dpp v36, v35 row_shr:1 row_mask:0xf bank_mask:0xf
	v_cndmask_b32_e64 v36, v36, 0, vcc
	v_add_u32_e32 v35, v36, v35
	s_nop 1
	v_mov_b32_dpp v36, v35 row_shr:2 row_mask:0xf bank_mask:0xf
	v_cndmask_b32_e64 v36, 0, v36, s[4:5]
	v_add_u32_e32 v35, v35, v36
	s_nop 1
	v_mov_b32_dpp v36, v35 row_shr:4 row_mask:0xf bank_mask:0xf
	v_cndmask_b32_e64 v36, 0, v36, s[6:7]
	;; [unrolled: 4-line block ×3, first 2 shown]
	v_add_u32_e32 v35, v35, v36
	s_nop 1
	v_mov_b32_dpp v36, v35 row_bcast:15 row_mask:0xf bank_mask:0xf
	v_cndmask_b32_e64 v36, v36, 0, s[10:11]
	v_add_u32_e32 v35, v35, v36
	s_nop 1
	v_mov_b32_dpp v36, v35 row_bcast:31 row_mask:0xf bank_mask:0xf
	v_cndmask_b32_e64 v36, 0, v36, s[12:13]
	v_add_u32_e32 v35, v35, v36
	s_and_saveexec_b64 s[28:29], s[14:15]
; %bb.96:                               ;   in Loop: Header=BB1018_93 Depth=1
	ds_write_b32 v29, v35
; %bb.97:                               ;   in Loop: Header=BB1018_93 Depth=1
	s_or_b64 exec, exec, s[28:29]
	s_waitcnt lgkmcnt(0)
	s_barrier
	s_and_saveexec_b64 s[28:29], s[16:17]
	s_cbranch_execz .LBB1018_99
; %bb.98:                               ;   in Loop: Header=BB1018_93 Depth=1
	ds_read_b32 v36, v27
	s_waitcnt lgkmcnt(0)
	s_nop 0
	v_mov_b32_dpp v37, v36 row_shr:1 row_mask:0xf bank_mask:0xf
	v_cndmask_b32_e64 v37, v37, 0, s[24:25]
	v_add_u32_e32 v36, v37, v36
	s_nop 1
	v_mov_b32_dpp v37, v36 row_shr:2 row_mask:0xf bank_mask:0xf
	v_cndmask_b32_e64 v37, 0, v37, s[26:27]
	v_add_u32_e32 v36, v36, v37
	ds_write_b32 v27, v36
.LBB1018_99:                            ;   in Loop: Header=BB1018_93 Depth=1
	s_or_b64 exec, exec, s[28:29]
	v_mov_b32_e32 v36, 0
	s_waitcnt lgkmcnt(0)
	s_barrier
	s_and_saveexec_b64 s[28:29], s[18:19]
; %bb.100:                              ;   in Loop: Header=BB1018_93 Depth=1
	ds_read_b32 v36, v30
; %bb.101:                              ;   in Loop: Header=BB1018_93 Depth=1
	s_or_b64 exec, exec, s[28:29]
	s_waitcnt lgkmcnt(0)
	v_add_u32_e32 v35, v36, v35
	ds_bpermute_b32 v35, v28, v35
	v_add_u32_e32 v10, 8, v10
	v_cmp_lt_u32_e64 s[28:29], v10, v11
	s_mov_b64 s[44:45], -1
	s_waitcnt lgkmcnt(0)
	v_cndmask_b32_e64 v35, v35, v36, s[20:21]
	v_cndmask_b32_e64 v35, v35, 0, s[22:23]
	v_add_u32_e32 v21, v35, v21
	v_add_u32_e32 v19, v21, v19
	ds_write_b32 v22, v35
	ds_write_b32 v23, v21
	v_add_u32_e32 v18, v19, v18
	ds_write_b32 v24, v19
	ds_write_b32 v25, v18
	s_waitcnt lgkmcnt(0)
	s_barrier
	ds_read_b32 v4, v4
	s_waitcnt lgkmcnt(0)
                                        ; implicit-def: $vgpr35
	v_add_u32_e32 v4, v4, v20
	v_lshlrev_b64 v[18:19], 1, v[4:5]
	v_add_co_u32_e64 v20, s[40:41], v12, v18
	v_addc_co_u32_e64 v21, s[40:41], v13, v19, s[40:41]
                                        ; implicit-def: $vgpr18_vgpr19
	s_and_saveexec_b64 s[40:41], s[28:29]
	s_cbranch_execz .LBB1018_92
; %bb.102:                              ;   in Loop: Header=BB1018_93 Depth=1
	v_mad_u64_u32 v[18:19], s[28:29], v4, 6, v[20:21]
	s_barrier
	ds_write_b16 v20, v34
	s_waitcnt lgkmcnt(0)
	s_barrier
	ds_read_u16 v35, v31
	s_waitcnt lgkmcnt(0)
	s_barrier
	ds_write_b64 v18, v[8:9]
	s_waitcnt lgkmcnt(0)
	s_barrier
	ds_read_b64 v[18:19], v32
	v_add_u32_e32 v33, -8, v33
	s_xor_b64 s[44:45], exec, -1
	s_waitcnt lgkmcnt(0)
	s_barrier
	s_branch .LBB1018_92
.LBB1018_103:
	s_or_b64 exec, exec, s[42:43]
	v_lshlrev_b32_e32 v5, 1, v17
	v_sub_u32_e32 v11, v27, v5
	v_mad_u64_u32 v[4:5], s[4:5], v4, 6, v[20:21]
	s_barrier
	ds_write_b16 v20, v34
	s_waitcnt lgkmcnt(0)
	s_barrier
	ds_read_u16 v10, v11
	s_waitcnt lgkmcnt(0)
	s_barrier
	ds_write_b64 v4, v[8:9]
	v_mul_u32_u24_e32 v4, 6, v17
	v_add_u32_e32 v4, v11, v4
	s_waitcnt lgkmcnt(0)
	s_barrier
	ds_read_b64 v[4:5], v4
	v_cmp_lt_u32_e32 vcc, v14, v39
	s_waitcnt lgkmcnt(0)
	s_barrier
	s_and_saveexec_b64 s[4:5], vcc
	s_cbranch_execz .LBB1018_105
; %bb.104:
	v_add_co_u32_e32 v8, vcc, v2, v15
	v_mov_b32_e32 v15, 0
	v_addc_co_u32_e32 v9, vcc, v3, v16, vcc
	v_lshlrev_b64 v[2:3], 1, v[14:15]
	v_add_co_u32_e32 v2, vcc, v8, v2
	v_addc_co_u32_e32 v3, vcc, v9, v3, vcc
	v_add_co_u32_e32 v6, vcc, v6, v0
	v_addc_co_u32_e32 v7, vcc, v7, v1, vcc
	v_lshlrev_b64 v[0:1], 3, v[14:15]
	v_xor_b32_e32 v8, 0xffff8000, v10
	v_add_co_u32_e32 v0, vcc, v6, v0
	v_addc_co_u32_e32 v1, vcc, v7, v1, vcc
	flat_store_short v[2:3], v8
	flat_store_dwordx2 v[0:1], v[4:5]
.LBB1018_105:
	s_or_b64 exec, exec, s[4:5]
.LBB1018_106:
	s_or_b64 exec, exec, s[46:47]
	s_waitcnt vmcnt(0) lgkmcnt(0)
	s_setpc_b64 s[30:31]
.Lfunc_end1018:
	.size	_ZN7rocprim17ROCPRIM_400000_NS6detail40segmented_radix_sort_single_block_helperIslLj256ELj4ELb0EE4sortIPKsPsPKlPlEEbT_T0_T1_T2_jjjjRNS3_12storage_typeE, .Lfunc_end1018-_ZN7rocprim17ROCPRIM_400000_NS6detail40segmented_radix_sort_single_block_helperIslLj256ELj4ELb0EE4sortIPKsPsPKlPlEEbT_T0_T1_T2_jjjjRNS3_12storage_typeE
                                        ; -- End function
	.set .L_ZN7rocprim17ROCPRIM_400000_NS6detail40segmented_radix_sort_single_block_helperIslLj256ELj4ELb0EE4sortIPKsPsPKlPlEEbT_T0_T1_T2_jjjjRNS3_12storage_typeE.num_vgpr, 87
	.set .L_ZN7rocprim17ROCPRIM_400000_NS6detail40segmented_radix_sort_single_block_helperIslLj256ELj4ELb0EE4sortIPKsPsPKlPlEEbT_T0_T1_T2_jjjjRNS3_12storage_typeE.num_agpr, 0
	.set .L_ZN7rocprim17ROCPRIM_400000_NS6detail40segmented_radix_sort_single_block_helperIslLj256ELj4ELb0EE4sortIPKsPsPKlPlEEbT_T0_T1_T2_jjjjRNS3_12storage_typeE.numbered_sgpr, 64
	.set .L_ZN7rocprim17ROCPRIM_400000_NS6detail40segmented_radix_sort_single_block_helperIslLj256ELj4ELb0EE4sortIPKsPsPKlPlEEbT_T0_T1_T2_jjjjRNS3_12storage_typeE.num_named_barrier, 0
	.set .L_ZN7rocprim17ROCPRIM_400000_NS6detail40segmented_radix_sort_single_block_helperIslLj256ELj4ELb0EE4sortIPKsPsPKlPlEEbT_T0_T1_T2_jjjjRNS3_12storage_typeE.private_seg_size, 0
	.set .L_ZN7rocprim17ROCPRIM_400000_NS6detail40segmented_radix_sort_single_block_helperIslLj256ELj4ELb0EE4sortIPKsPsPKlPlEEbT_T0_T1_T2_jjjjRNS3_12storage_typeE.uses_vcc, 1
	.set .L_ZN7rocprim17ROCPRIM_400000_NS6detail40segmented_radix_sort_single_block_helperIslLj256ELj4ELb0EE4sortIPKsPsPKlPlEEbT_T0_T1_T2_jjjjRNS3_12storage_typeE.uses_flat_scratch, 0
	.set .L_ZN7rocprim17ROCPRIM_400000_NS6detail40segmented_radix_sort_single_block_helperIslLj256ELj4ELb0EE4sortIPKsPsPKlPlEEbT_T0_T1_T2_jjjjRNS3_12storage_typeE.has_dyn_sized_stack, 0
	.set .L_ZN7rocprim17ROCPRIM_400000_NS6detail40segmented_radix_sort_single_block_helperIslLj256ELj4ELb0EE4sortIPKsPsPKlPlEEbT_T0_T1_T2_jjjjRNS3_12storage_typeE.has_recursion, 0
	.set .L_ZN7rocprim17ROCPRIM_400000_NS6detail40segmented_radix_sort_single_block_helperIslLj256ELj4ELb0EE4sortIPKsPsPKlPlEEbT_T0_T1_T2_jjjjRNS3_12storage_typeE.has_indirect_call, 0
	.section	.AMDGPU.csdata,"",@progbits
; Function info:
; codeLenInByte = 8776
; TotalNumSgprs: 68
; NumVgprs: 87
; ScratchSize: 0
; MemoryBound: 1
	.section	.text._ZN7rocprim17ROCPRIM_400000_NS6detail17trampoline_kernelINS0_14default_configENS1_36segmented_radix_sort_config_selectorIslEEZNS1_25segmented_radix_sort_implIS3_Lb0EPKsPsPKlPlN2at6native12_GLOBAL__N_18offset_tEEE10hipError_tPvRmT1_PNSt15iterator_traitsISK_E10value_typeET2_T3_PNSL_ISQ_E10value_typeET4_jRbjT5_SW_jjP12ihipStream_tbEUlT_E_NS1_11comp_targetILNS1_3genE2ELNS1_11target_archE906ELNS1_3gpuE6ELNS1_3repE0EEENS1_30default_config_static_selectorELNS0_4arch9wavefront6targetE1EEEvSK_,"axG",@progbits,_ZN7rocprim17ROCPRIM_400000_NS6detail17trampoline_kernelINS0_14default_configENS1_36segmented_radix_sort_config_selectorIslEEZNS1_25segmented_radix_sort_implIS3_Lb0EPKsPsPKlPlN2at6native12_GLOBAL__N_18offset_tEEE10hipError_tPvRmT1_PNSt15iterator_traitsISK_E10value_typeET2_T3_PNSL_ISQ_E10value_typeET4_jRbjT5_SW_jjP12ihipStream_tbEUlT_E_NS1_11comp_targetILNS1_3genE2ELNS1_11target_archE906ELNS1_3gpuE6ELNS1_3repE0EEENS1_30default_config_static_selectorELNS0_4arch9wavefront6targetE1EEEvSK_,comdat
	.globl	_ZN7rocprim17ROCPRIM_400000_NS6detail17trampoline_kernelINS0_14default_configENS1_36segmented_radix_sort_config_selectorIslEEZNS1_25segmented_radix_sort_implIS3_Lb0EPKsPsPKlPlN2at6native12_GLOBAL__N_18offset_tEEE10hipError_tPvRmT1_PNSt15iterator_traitsISK_E10value_typeET2_T3_PNSL_ISQ_E10value_typeET4_jRbjT5_SW_jjP12ihipStream_tbEUlT_E_NS1_11comp_targetILNS1_3genE2ELNS1_11target_archE906ELNS1_3gpuE6ELNS1_3repE0EEENS1_30default_config_static_selectorELNS0_4arch9wavefront6targetE1EEEvSK_ ; -- Begin function _ZN7rocprim17ROCPRIM_400000_NS6detail17trampoline_kernelINS0_14default_configENS1_36segmented_radix_sort_config_selectorIslEEZNS1_25segmented_radix_sort_implIS3_Lb0EPKsPsPKlPlN2at6native12_GLOBAL__N_18offset_tEEE10hipError_tPvRmT1_PNSt15iterator_traitsISK_E10value_typeET2_T3_PNSL_ISQ_E10value_typeET4_jRbjT5_SW_jjP12ihipStream_tbEUlT_E_NS1_11comp_targetILNS1_3genE2ELNS1_11target_archE906ELNS1_3gpuE6ELNS1_3repE0EEENS1_30default_config_static_selectorELNS0_4arch9wavefront6targetE1EEEvSK_
	.p2align	8
	.type	_ZN7rocprim17ROCPRIM_400000_NS6detail17trampoline_kernelINS0_14default_configENS1_36segmented_radix_sort_config_selectorIslEEZNS1_25segmented_radix_sort_implIS3_Lb0EPKsPsPKlPlN2at6native12_GLOBAL__N_18offset_tEEE10hipError_tPvRmT1_PNSt15iterator_traitsISK_E10value_typeET2_T3_PNSL_ISQ_E10value_typeET4_jRbjT5_SW_jjP12ihipStream_tbEUlT_E_NS1_11comp_targetILNS1_3genE2ELNS1_11target_archE906ELNS1_3gpuE6ELNS1_3repE0EEENS1_30default_config_static_selectorELNS0_4arch9wavefront6targetE1EEEvSK_,@function
_ZN7rocprim17ROCPRIM_400000_NS6detail17trampoline_kernelINS0_14default_configENS1_36segmented_radix_sort_config_selectorIslEEZNS1_25segmented_radix_sort_implIS3_Lb0EPKsPsPKlPlN2at6native12_GLOBAL__N_18offset_tEEE10hipError_tPvRmT1_PNSt15iterator_traitsISK_E10value_typeET2_T3_PNSL_ISQ_E10value_typeET4_jRbjT5_SW_jjP12ihipStream_tbEUlT_E_NS1_11comp_targetILNS1_3genE2ELNS1_11target_archE906ELNS1_3gpuE6ELNS1_3repE0EEENS1_30default_config_static_selectorELNS0_4arch9wavefront6targetE1EEEvSK_: ; @_ZN7rocprim17ROCPRIM_400000_NS6detail17trampoline_kernelINS0_14default_configENS1_36segmented_radix_sort_config_selectorIslEEZNS1_25segmented_radix_sort_implIS3_Lb0EPKsPsPKlPlN2at6native12_GLOBAL__N_18offset_tEEE10hipError_tPvRmT1_PNSt15iterator_traitsISK_E10value_typeET2_T3_PNSL_ISQ_E10value_typeET4_jRbjT5_SW_jjP12ihipStream_tbEUlT_E_NS1_11comp_targetILNS1_3genE2ELNS1_11target_archE906ELNS1_3gpuE6ELNS1_3repE0EEENS1_30default_config_static_selectorELNS0_4arch9wavefront6targetE1EEEvSK_
; %bb.0:
	s_add_u32 s0, s0, s8
	s_mov_b64 s[34:35], s[4:5]
	s_load_dwordx2 s[4:5], s[4:5], 0x38
	s_nop 0
	s_load_dwordx4 s[8:11], s[34:35], 0x40
	s_mov_b32 s33, s7
	s_mov_b32 s7, 0
	s_addc_u32 s1, s1, 0
	s_lshl_b64 s[12:13], s[6:7], 2
	s_waitcnt lgkmcnt(0)
	s_add_u32 s4, s4, s12
	s_addc_u32 s5, s5, s13
	s_load_dword s4, s[4:5], 0x0
	s_mov_b32 s32, 0
	s_waitcnt lgkmcnt(0)
	s_add_i32 s74, s4, s9
	s_add_i32 s75, s4, s11
	s_mul_i32 s74, s74, s8
	s_mul_i32 s75, s75, s10
	s_cmp_le_u32 s75, s74
	s_cbranch_scc1 .LBB1019_414
; %bb.1:
	s_load_dword s4, s[34:35], 0x30
	s_load_dwordx4 s[64:67], s[34:35], 0x20
	s_load_dwordx4 s[68:71], s[34:35], 0x50
	s_load_dwordx8 s[48:55], s[34:35], 0x0
	s_waitcnt lgkmcnt(0)
	s_bitcmp1_b32 s4, 0
	s_cselect_b64 s[72:73], -1, 0
	s_sub_i32 s71, s75, s74
	s_cmpk_lt_u32 s71, 0x401
	s_mov_b64 s[4:5], -1
	s_cbranch_scc0 .LBB1019_7
; %bb.2:
	s_and_b32 s4, s68, 1
	v_cndmask_b32_e64 v3, 0, 1, s[72:73]
	v_cmp_ne_u32_e32 vcc, s4, v3
	s_mov_b64 s[4:5], -1
	v_lshlrev_b32_e32 v41, 20, v2
	v_lshlrev_b32_e32 v42, 10, v1
	s_cbranch_vccnz .LBB1019_4
; %bb.3:
	s_add_u32 s8, s34, 0x60
	s_mov_b64 s[4:5], src_shared_base
	s_addc_u32 s9, s35, 0
	s_getpc_b64 s[10:11]
	s_add_u32 s10, s10, _ZN7rocprim17ROCPRIM_400000_NS6detail40segmented_radix_sort_single_block_helperIslLj256ELj4ELb0EE4sortIPKsPsPKlPlEEbT_T0_T1_T2_jjjjRNS3_12storage_typeE@rel32@lo+4
	s_addc_u32 s11, s11, _ZN7rocprim17ROCPRIM_400000_NS6detail40segmented_radix_sort_single_block_helperIslLj256ELj4ELb0EE4sortIPKsPsPKlPlEEbT_T0_T1_T2_jjjjRNS3_12storage_typeE@rel32@hi+12
	v_or3_b32 v31, v0, v42, v41
	s_mov_b32 s12, s6
	s_mov_b32 s13, s33
	v_mov_b32_e32 v40, v0
	v_mov_b32_e32 v0, s48
	;; [unrolled: 1-line block ×17, first 2 shown]
	s_mov_b32 s36, s6
	s_swappc_b64 s[30:31], s[10:11]
	v_mov_b32_e32 v1, v43
	v_mov_b32_e32 v2, v44
	;; [unrolled: 1-line block ×3, first 2 shown]
	s_mov_b32 s6, s36
	s_mov_b64 s[4:5], 0
.LBB1019_4:
	s_andn2_b64 vcc, exec, s[4:5]
	s_cbranch_vccnz .LBB1019_6
; %bb.5:
	s_add_u32 s8, s34, 0x60
	s_mov_b64 s[4:5], src_shared_base
	s_addc_u32 s9, s35, 0
	s_getpc_b64 s[10:11]
	s_add_u32 s10, s10, _ZN7rocprim17ROCPRIM_400000_NS6detail40segmented_radix_sort_single_block_helperIslLj256ELj4ELb0EE4sortIPKsPsPKlPlEEbT_T0_T1_T2_jjjjRNS3_12storage_typeE@rel32@lo+4
	s_addc_u32 s11, s11, _ZN7rocprim17ROCPRIM_400000_NS6detail40segmented_radix_sort_single_block_helperIslLj256ELj4ELb0EE4sortIPKsPsPKlPlEEbT_T0_T1_T2_jjjjRNS3_12storage_typeE@rel32@hi+12
	v_or3_b32 v31, v0, v42, v41
	s_mov_b32 s12, s6
	s_mov_b32 s13, s33
	v_mov_b32_e32 v40, v0
	v_mov_b32_e32 v0, s48
	;; [unrolled: 1-line block ×17, first 2 shown]
	s_mov_b32 s36, s6
	s_swappc_b64 s[30:31], s[10:11]
	v_mov_b32_e32 v1, v41
	v_mov_b32_e32 v2, v42
	;; [unrolled: 1-line block ×3, first 2 shown]
	s_mov_b32 s6, s36
.LBB1019_6:
	s_mov_b64 s[4:5], 0
.LBB1019_7:
	s_andn2_b64 vcc, exec, s[4:5]
	s_cbranch_vccnz .LBB1019_414
; %bb.8:
	s_cmp_ge_u32 s69, s70
	s_cbranch_scc1 .LBB1019_414
; %bb.9:
	v_and_b32_e32 v3, 3, v0
	v_lshlrev_b32_e32 v19, 2, v0
	v_lshlrev_b32_e32 v4, 1, v0
	;; [unrolled: 1-line block ×3, first 2 shown]
	v_or_b32_e32 v3, 63, v0
	v_mov_b32_e32 v5, s53
	v_add_co_u32_e32 v21, vcc, s52, v4
	v_mad_u32_u24 v24, v0, 12, v19
	v_cmp_eq_u32_e64 s[8:9], v0, v3
	v_lshrrev_b32_e32 v3, 4, v0
	v_addc_co_u32_e32 v22, vcc, 0, v5, vcc
	v_and_b32_e32 v25, 12, v3
	v_and_b32_e32 v3, 0x300, v19
	v_add_u32_e32 v26, v24, v19
	v_lshlrev_b32_e32 v5, 4, v0
	v_sub_u32_e32 v27, v26, v5
	v_lshlrev_b32_e32 v5, 3, v3
	v_mov_b32_e32 v6, s67
	v_add_co_u32_e32 v28, vcc, s66, v5
	v_addc_co_u32_e32 v29, vcc, 0, v6, vcc
	v_lshlrev_b32_e32 v6, 1, v3
	v_mov_b32_e32 v7, s53
	v_add_co_u32_e32 v30, vcc, s52, v6
	v_addc_co_u32_e32 v31, vcc, 0, v7, vcc
	v_mov_b32_e32 v7, s51
	v_add_co_u32_e32 v33, vcc, s50, v4
	v_addc_co_u32_e32 v34, vcc, 0, v7, vcc
	;; [unrolled: 3-line block ×5, first 2 shown]
	v_sub_u32_e32 v32, v27, v4
	v_mov_b32_e32 v4, s55
	v_add_co_u32_e32 v41, vcc, s54, v5
	v_addc_co_u32_e32 v42, vcc, 0, v4, vcc
	v_mov_b32_e32 v4, s49
	v_add_co_u32_e32 v43, vcc, s48, v6
	v_addc_co_u32_e32 v44, vcc, 0, v4, vcc
	v_mbcnt_lo_u32_b32 v4, -1, 0
	v_mbcnt_hi_u32_b32 v45, -1, v4
	v_and_b32_e32 v4, 63, v45
	s_movk_i32 s4, 0x100
	s_add_u32 s46, s34, 0x60
	s_movk_i32 s7, 0xff
	v_or_b32_e32 v47, v4, v3
	v_or_b32_e32 v20, 0x100, v0
	v_cmp_gt_u32_e64 s[4:5], s4, v0
	v_cmp_gt_u32_e64 s[10:11], 4, v0
	v_cmp_lt_u32_e64 s[12:13], 63, v0
	s_addc_u32 s47, s35, 0
	s_mov_b32 s57, 0
	v_cmp_eq_u32_e64 s[14:15], 0, v0
	v_cmp_ne_u32_e64 s[16:17], s7, v0
	s_mov_b32 s7, 0x5040100
	s_mov_b32 s58, 0xffff
	s_movk_i32 s59, 0x8000
	s_movk_i32 s60, 0x7fff
	v_lshlrev_b32_e32 v46, 3, v4
	v_lshlrev_b32_e32 v48, 1, v4
	s_mov_b32 s61, s69
	v_or_b32_e32 v49, 0x200, v0
	v_or_b32_e32 v50, 0x300, v0
	;; [unrolled: 1-line block ×4, first 2 shown]
	v_add_u32_e32 v53, 0x23fc, v25
	v_mul_u32_u24_e32 v54, 6, v0
	v_mov_b32_e32 v55, 1
	v_add_u32_e32 v56, 0x410, v26
	v_add_u32_e32 v57, 0x418, v26
	v_lshlrev_b32_e32 v58, 1, v0
	v_and_b32_e32 v59, 15, v45
	v_bfe_i32 v60, v45, 4, 1
	v_and_b32_e32 v61, 16, v45
	v_and_b32_e32 v62, 3, v45
	;; [unrolled: 1-line block ×3, first 2 shown]
	v_or_b32_e32 v64, 64, v47
	v_or_b32_e32 v65, 0x80, v47
	;; [unrolled: 1-line block ×3, first 2 shown]
	v_mov_b32_e32 v67, 0x5040100
	v_mov_b32_e32 v3, 0
	;; [unrolled: 1-line block ×3, first 2 shown]
	s_branch .LBB1019_12
.LBB1019_10:                            ;   in Loop: Header=BB1019_12 Depth=1
	s_waitcnt lgkmcnt(0)
	s_barrier
.LBB1019_11:                            ;   in Loop: Header=BB1019_12 Depth=1
	s_add_i32 s61, s61, 8
	s_cmp_ge_u32 s61, s70
	s_cbranch_scc1 .LBB1019_414
.LBB1019_12:                            ; =>This Loop Header: Depth=1
                                        ;     Child Loop BB1019_16 Depth 2
                                        ;     Child Loop BB1019_48 Depth 2
	;; [unrolled: 1-line block ×8, first 2 shown]
	s_sub_i32 s18, s70, s61
	s_min_u32 s18, s18, 8
	s_lshl_b32 s18, -1, s18
	s_xor_b64 s[72:73], s[72:73], -1
	s_not_b32 s62, s18
	s_cmp_lg_u32 s61, s69
	s_mov_b64 s[18:19], -1
	ds_write2st64_b32 v19, v3, v3 offset1:4
	ds_write2st64_b32 v19, v3, v3 offset0:8 offset1:12
	s_waitcnt lgkmcnt(0)
	s_cbranch_scc0 .LBB1019_214
; %bb.13:                               ;   in Loop: Header=BB1019_12 Depth=1
	s_and_b64 vcc, exec, s[72:73]
	s_cbranch_vccz .LBB1019_113
; %bb.14:                               ;   in Loop: Header=BB1019_12 Depth=1
	v_mov_b32_e32 v4, v3
	v_mov_b32_e32 v7, v4
	s_mov_b32 s22, s71
	s_mov_b32 s56, s74
	v_mov_b32_e32 v6, v3
	s_barrier
	s_branch .LBB1019_16
.LBB1019_15:                            ;   in Loop: Header=BB1019_16 Depth=2
	s_or_b64 exec, exec, s[18:19]
	s_addk_i32 s22, 0xfc00
	s_cmp_ge_u32 s23, s75
	s_mov_b32 s56, s23
	s_cbranch_scc1 .LBB1019_36
.LBB1019_16:                            ;   Parent Loop BB1019_12 Depth=1
                                        ; =>  This Inner Loop Header: Depth=2
	s_add_i32 s23, s56, 0x400
	s_cmp_gt_u32 s23, s75
	s_mov_b64 s[18:19], -1
                                        ; implicit-def: $vgpr8_vgpr9
	s_cbranch_scc1 .LBB1019_18
; %bb.17:                               ;   in Loop: Header=BB1019_16 Depth=2
	s_lshl_b64 s[18:19], s[56:57], 1
	v_mov_b32_e32 v4, s19
	v_add_co_u32_e32 v8, vcc, s18, v21
	v_addc_co_u32_e32 v9, vcc, v22, v4, vcc
	global_load_ushort v4, v[8:9], off
	global_load_ushort v10, v[8:9], off offset:1024
	global_load_ushort v11, v[8:9], off offset:1536
	;; [unrolled: 1-line block ×3, first 2 shown]
	s_mov_b64 s[18:19], 0
	s_waitcnt vmcnt(1)
	v_perm_b32 v9, v11, v10, s7
	s_waitcnt vmcnt(0)
	v_perm_b32 v8, v12, v4, s7
.LBB1019_18:                            ;   in Loop: Header=BB1019_16 Depth=2
	s_andn2_b64 vcc, exec, s[18:19]
	s_movk_i32 s20, 0x400
	s_cbranch_vccnz .LBB1019_25
; %bb.19:                               ;   in Loop: Header=BB1019_16 Depth=2
	s_lshl_b64 s[18:19], s[56:57], 1
	s_add_u32 s18, s52, s18
	s_addc_u32 s19, s53, s19
	v_cmp_gt_u32_e32 vcc, s22, v0
	s_and_saveexec_b64 s[20:21], vcc
	s_cbranch_execnz .LBB1019_33
; %bb.20:                               ;   in Loop: Header=BB1019_16 Depth=2
	s_or_b64 exec, exec, s[20:21]
	v_cmp_gt_u32_e32 vcc, s22, v20
	s_and_saveexec_b64 s[20:21], vcc
	s_cbranch_execnz .LBB1019_34
.LBB1019_21:                            ;   in Loop: Header=BB1019_16 Depth=2
	s_or_b64 exec, exec, s[20:21]
	v_cmp_gt_u32_e32 vcc, s22, v49
	s_and_saveexec_b64 s[20:21], vcc
	s_cbranch_execnz .LBB1019_35
.LBB1019_22:                            ;   in Loop: Header=BB1019_16 Depth=2
	s_or_b64 exec, exec, s[20:21]
	v_cmp_gt_u32_e32 vcc, s22, v50
	s_and_saveexec_b64 s[20:21], vcc
	s_cbranch_execz .LBB1019_24
.LBB1019_23:                            ;   in Loop: Header=BB1019_16 Depth=2
	global_load_ushort v4, v58, s[18:19] offset:1536
	s_waitcnt vmcnt(0)
	v_perm_b32 v7, v4, v7, s7
.LBB1019_24:                            ;   in Loop: Header=BB1019_16 Depth=2
	s_or_b64 exec, exec, s[20:21]
	v_mov_b32_e32 v9, v7
	s_mov_b32 s20, s22
	v_mov_b32_e32 v8, v6
.LBB1019_25:                            ;   in Loop: Header=BB1019_16 Depth=2
	v_mov_b32_e32 v6, v8
	v_mov_b32_e32 v7, v9
	v_cmp_gt_u32_e32 vcc, s20, v0
	s_and_saveexec_b64 s[18:19], vcc
	s_cbranch_execnz .LBB1019_29
; %bb.26:                               ;   in Loop: Header=BB1019_16 Depth=2
	s_or_b64 exec, exec, s[18:19]
	v_cmp_gt_u32_e32 vcc, s20, v20
	s_and_saveexec_b64 s[18:19], vcc
	s_cbranch_execnz .LBB1019_30
.LBB1019_27:                            ;   in Loop: Header=BB1019_16 Depth=2
	s_or_b64 exec, exec, s[18:19]
	v_cmp_gt_u32_e32 vcc, s20, v49
	s_and_saveexec_b64 s[18:19], vcc
	s_cbranch_execnz .LBB1019_31
.LBB1019_28:                            ;   in Loop: Header=BB1019_16 Depth=2
	s_or_b64 exec, exec, s[18:19]
	v_cmp_gt_u32_e32 vcc, s20, v50
	s_and_saveexec_b64 s[18:19], vcc
	s_cbranch_execz .LBB1019_15
	s_branch .LBB1019_32
.LBB1019_29:                            ;   in Loop: Header=BB1019_16 Depth=2
	v_xor_b32_e32 v4, 0xffff8000, v6
	v_lshrrev_b32_sdwa v4, s61, v4 dst_sel:DWORD dst_unused:UNUSED_PAD src0_sel:DWORD src1_sel:WORD_0
	v_and_b32_e32 v4, s62, v4
	v_lshl_or_b32 v4, v4, 4, v23
	ds_add_u32 v4, v55
	s_or_b64 exec, exec, s[18:19]
	v_cmp_gt_u32_e32 vcc, s20, v20
	s_and_saveexec_b64 s[18:19], vcc
	s_cbranch_execz .LBB1019_27
.LBB1019_30:                            ;   in Loop: Header=BB1019_16 Depth=2
	v_xor_b32_sdwa v4, v6, s59 dst_sel:DWORD dst_unused:UNUSED_PAD src0_sel:WORD_1 src1_sel:DWORD
	v_lshrrev_b32_sdwa v4, s61, v4 dst_sel:DWORD dst_unused:UNUSED_PAD src0_sel:DWORD src1_sel:WORD_0
	v_and_b32_e32 v4, s62, v4
	v_lshl_or_b32 v4, v4, 4, v23
	ds_add_u32 v4, v55
	s_or_b64 exec, exec, s[18:19]
	v_cmp_gt_u32_e32 vcc, s20, v49
	s_and_saveexec_b64 s[18:19], vcc
	s_cbranch_execz .LBB1019_28
.LBB1019_31:                            ;   in Loop: Header=BB1019_16 Depth=2
	v_xor_b32_e32 v4, 0xffff8000, v7
	v_lshrrev_b32_sdwa v4, s61, v4 dst_sel:DWORD dst_unused:UNUSED_PAD src0_sel:DWORD src1_sel:WORD_0
	v_and_b32_e32 v4, s62, v4
	v_lshl_or_b32 v4, v4, 4, v23
	ds_add_u32 v4, v55
	s_or_b64 exec, exec, s[18:19]
	v_cmp_gt_u32_e32 vcc, s20, v50
	s_and_saveexec_b64 s[18:19], vcc
	s_cbranch_execz .LBB1019_15
.LBB1019_32:                            ;   in Loop: Header=BB1019_16 Depth=2
	v_xor_b32_sdwa v4, v7, s59 dst_sel:DWORD dst_unused:UNUSED_PAD src0_sel:WORD_1 src1_sel:DWORD
	v_lshrrev_b32_sdwa v4, s61, v4 dst_sel:DWORD dst_unused:UNUSED_PAD src0_sel:DWORD src1_sel:WORD_0
	v_and_b32_e32 v4, s62, v4
	v_lshl_or_b32 v4, v4, 4, v23
	ds_add_u32 v4, v55
	s_branch .LBB1019_15
.LBB1019_33:                            ;   in Loop: Header=BB1019_16 Depth=2
	global_load_ushort v4, v58, s[18:19]
	s_waitcnt vmcnt(0)
	v_bfi_b32 v6, s58, v4, v6
	s_or_b64 exec, exec, s[20:21]
	v_cmp_gt_u32_e32 vcc, s22, v20
	s_and_saveexec_b64 s[20:21], vcc
	s_cbranch_execz .LBB1019_21
.LBB1019_34:                            ;   in Loop: Header=BB1019_16 Depth=2
	global_load_ushort v4, v58, s[18:19] offset:512
	s_waitcnt vmcnt(0)
	v_perm_b32 v6, v4, v6, s7
	s_or_b64 exec, exec, s[20:21]
	v_cmp_gt_u32_e32 vcc, s22, v49
	s_and_saveexec_b64 s[20:21], vcc
	s_cbranch_execz .LBB1019_22
.LBB1019_35:                            ;   in Loop: Header=BB1019_16 Depth=2
	global_load_ushort v4, v58, s[18:19] offset:1024
	s_waitcnt vmcnt(0)
	v_bfi_b32 v7, s58, v4, v7
	s_or_b64 exec, exec, s[20:21]
	v_cmp_gt_u32_e32 vcc, s22, v50
	s_and_saveexec_b64 s[20:21], vcc
	s_cbranch_execnz .LBB1019_23
	s_branch .LBB1019_24
.LBB1019_36:                            ;   in Loop: Header=BB1019_12 Depth=1
	v_mov_b32_e32 v4, 0
	s_waitcnt lgkmcnt(0)
	s_barrier
	s_and_saveexec_b64 s[18:19], s[4:5]
	s_cbranch_execz .LBB1019_38
; %bb.37:                               ;   in Loop: Header=BB1019_12 Depth=1
	ds_read2_b64 v[6:9], v24 offset1:1
	s_waitcnt lgkmcnt(0)
	v_add_u32_e32 v4, v7, v6
	v_add3_u32 v4, v4, v8, v9
.LBB1019_38:                            ;   in Loop: Header=BB1019_12 Depth=1
	s_or_b64 exec, exec, s[18:19]
	s_nop 0
	v_mov_b32_dpp v6, v4 row_shr:1 row_mask:0xf bank_mask:0xf
	v_cmp_eq_u32_e64 s[18:19], 0, v59
	v_cndmask_b32_e64 v6, v6, 0, s[18:19]
	v_add_u32_e32 v4, v6, v4
	v_cmp_lt_u32_e64 s[20:21], 1, v59
	v_cmp_lt_u32_e64 s[22:23], 3, v59
	v_mov_b32_dpp v6, v4 row_shr:2 row_mask:0xf bank_mask:0xf
	v_cndmask_b32_e64 v6, 0, v6, s[20:21]
	v_add_u32_e32 v4, v4, v6
	v_cmp_lt_u32_e64 s[24:25], 7, v59
	v_cmp_lt_u32_e64 s[28:29], 31, v45
	v_mov_b32_dpp v6, v4 row_shr:4 row_mask:0xf bank_mask:0xf
	v_cndmask_b32_e64 v6, 0, v6, s[22:23]
	v_add_u32_e32 v4, v4, v6
	v_cmp_eq_u32_e64 s[26:27], 0, v61
	s_nop 0
	v_mov_b32_dpp v6, v4 row_shr:8 row_mask:0xf bank_mask:0xf
	v_cndmask_b32_e64 v6, 0, v6, s[24:25]
	v_add_u32_e32 v4, v4, v6
	s_nop 1
	v_mov_b32_dpp v6, v4 row_bcast:15 row_mask:0xf bank_mask:0xf
	v_and_b32_e32 v6, v60, v6
	v_add_u32_e32 v4, v4, v6
	s_nop 1
	v_mov_b32_dpp v6, v4 row_bcast:31 row_mask:0xf bank_mask:0xf
	v_cndmask_b32_e64 v6, 0, v6, s[28:29]
	v_add_u32_e32 v4, v4, v6
	s_and_saveexec_b64 s[30:31], s[8:9]
; %bb.39:                               ;   in Loop: Header=BB1019_12 Depth=1
	ds_write_b32 v51, v4
; %bb.40:                               ;   in Loop: Header=BB1019_12 Depth=1
	s_or_b64 exec, exec, s[30:31]
	s_waitcnt lgkmcnt(0)
	s_barrier
	s_and_saveexec_b64 s[30:31], s[10:11]
	s_cbranch_execz .LBB1019_42
; %bb.41:                               ;   in Loop: Header=BB1019_12 Depth=1
	ds_read_b32 v6, v52
	v_cmp_ne_u32_e32 vcc, 0, v62
	s_waitcnt lgkmcnt(0)
	v_mov_b32_dpp v7, v6 row_shr:1 row_mask:0xf bank_mask:0xf
	v_cndmask_b32_e32 v7, 0, v7, vcc
	v_add_u32_e32 v6, v7, v6
	v_cmp_lt_u32_e32 vcc, 1, v62
	s_nop 0
	v_mov_b32_dpp v7, v6 row_shr:2 row_mask:0xf bank_mask:0xf
	v_cndmask_b32_e32 v7, 0, v7, vcc
	v_add_u32_e32 v6, v6, v7
	ds_write_b32 v52, v6
.LBB1019_42:                            ;   in Loop: Header=BB1019_12 Depth=1
	s_or_b64 exec, exec, s[30:31]
	v_mov_b32_e32 v6, 0
	s_waitcnt lgkmcnt(0)
	s_barrier
	s_and_saveexec_b64 s[30:31], s[12:13]
; %bb.43:                               ;   in Loop: Header=BB1019_12 Depth=1
	ds_read_b32 v6, v53
; %bb.44:                               ;   in Loop: Header=BB1019_12 Depth=1
	s_or_b64 exec, exec, s[30:31]
	v_subrev_co_u32_e64 v7, s[30:31], 1, v45
	v_cmp_lt_i32_e32 vcc, v7, v63
	v_cndmask_b32_e32 v7, v7, v45, vcc
	s_waitcnt lgkmcnt(0)
	v_add_u32_e32 v4, v6, v4
	v_lshlrev_b32_e32 v68, 2, v7
	ds_bpermute_b32 v4, v68, v4
	s_waitcnt lgkmcnt(0)
	s_barrier
	s_and_saveexec_b64 s[34:35], s[4:5]
; %bb.45:                               ;   in Loop: Header=BB1019_12 Depth=1
	v_cndmask_b32_e64 v4, v4, v6, s[30:31]
	v_add_u32_e32 v4, s74, v4
	ds_write_b32 v19, v4
; %bb.46:                               ;   in Loop: Header=BB1019_12 Depth=1
	s_or_b64 exec, exec, s[34:35]
	s_load_dword s34, s[46:47], 0x4
	s_load_dword s38, s[46:47], 0xc
	v_add_co_u32_e32 v69, vcc, v28, v46
	v_addc_co_u32_e32 v70, vcc, 0, v29, vcc
	s_waitcnt lgkmcnt(0)
	s_cmp_lt_u32 s33, s34
	s_cselect_b32 s34, 14, 20
	s_add_u32 s34, s46, s34
	s_addc_u32 s35, s47, 0
	global_load_ushort v4, v3, s[34:35]
	s_and_b32 s38, s38, 0xffff
	v_add_co_u32_e32 v71, vcc, v30, v48
	v_cmp_eq_u32_e64 s[34:35], 0, v62
	v_cmp_lt_u32_e64 s[36:37], 1, v62
	v_addc_co_u32_e32 v72, vcc, 0, v31, vcc
	s_mov_b32 s63, s71
	s_mov_b32 s56, s74
                                        ; implicit-def: $vgpr9_vgpr10
                                        ; implicit-def: $vgpr11_vgpr12
                                        ; implicit-def: $vgpr13_vgpr14
                                        ; implicit-def: $vgpr73
                                        ; implicit-def: $vgpr74
                                        ; implicit-def: $vgpr76
                                        ; implicit-def: $vgpr77
	s_waitcnt vmcnt(0)
	v_mad_u32_u24 v4, v2, v4, v1
	v_mad_u64_u32 v[6:7], s[38:39], v4, s38, v[0:1]
                                        ; implicit-def: $vgpr7_vgpr8
	v_lshrrev_b32_e32 v4, 4, v6
	v_and_b32_e32 v75, 0xffffffc, v4
	s_branch .LBB1019_48
.LBB1019_47:                            ;   in Loop: Header=BB1019_48 Depth=2
	s_or_b64 exec, exec, s[38:39]
	s_addk_i32 s63, 0xfc00
	s_cmp_lt_u32 s68, s75
	s_mov_b32 s56, s68
	s_cbranch_scc0 .LBB1019_112
.LBB1019_48:                            ;   Parent Loop BB1019_12 Depth=1
                                        ; =>  This Inner Loop Header: Depth=2
	s_add_i32 s68, s56, 0x400
	s_cmp_gt_u32 s68, s75
	s_cbranch_scc1 .LBB1019_50
; %bb.49:                               ;   in Loop: Header=BB1019_48 Depth=2
	s_lshl_b64 s[38:39], s[56:57], 1
	v_mov_b32_e32 v4, s39
	v_add_co_u32_e32 v15, vcc, s38, v71
	v_addc_co_u32_e32 v16, vcc, v72, v4, vcc
	global_load_ushort v4, v[15:16], off
	global_load_ushort v6, v[15:16], off offset:128
	s_nop 0
	global_load_ushort v16, v[15:16], off offset:256
	s_mov_b64 s[38:39], -1
	s_waitcnt vmcnt(1)
	v_perm_b32 v15, v6, v4, s7
	s_movk_i32 s42, 0x400
	s_cbranch_execz .LBB1019_51
	s_branch .LBB1019_56
.LBB1019_50:                            ;   in Loop: Header=BB1019_48 Depth=2
	s_mov_b64 s[38:39], 0
                                        ; implicit-def: $vgpr15_vgpr16
	s_movk_i32 s42, 0x400
.LBB1019_51:                            ;   in Loop: Header=BB1019_48 Depth=2
	s_lshl_b64 s[38:39], s[56:57], 1
	v_mov_b32_e32 v4, s39
	v_add_co_u32_e32 v17, vcc, s38, v71
	v_mov_b32_e32 v6, v5
	v_addc_co_u32_e32 v18, vcc, v72, v4, vcc
	s_waitcnt vmcnt(0)
	v_mov_b32_e32 v16, v6
	v_cmp_gt_u32_e32 vcc, s63, v47
	v_mov_b32_e32 v15, v5
	s_and_saveexec_b64 s[38:39], vcc
	s_cbranch_execnz .LBB1019_110
; %bb.52:                               ;   in Loop: Header=BB1019_48 Depth=2
	s_or_b64 exec, exec, s[38:39]
	v_cmp_gt_u32_e32 vcc, s63, v64
	s_and_saveexec_b64 s[38:39], vcc
	s_cbranch_execnz .LBB1019_111
.LBB1019_53:                            ;   in Loop: Header=BB1019_48 Depth=2
	s_or_b64 exec, exec, s[38:39]
	v_cmp_gt_u32_e32 vcc, s63, v65
	s_and_saveexec_b64 s[38:39], vcc
	s_cbranch_execz .LBB1019_55
.LBB1019_54:                            ;   in Loop: Header=BB1019_48 Depth=2
	global_load_ushort v4, v[17:18], off offset:256
	s_waitcnt vmcnt(0)
	v_bfi_b32 v16, s58, v4, v16
.LBB1019_55:                            ;   in Loop: Header=BB1019_48 Depth=2
	s_or_b64 exec, exec, s[38:39]
	s_sub_i32 s42, s75, s56
	v_cmp_gt_u32_e64 s[38:39], s63, v66
.LBB1019_56:                            ;   in Loop: Header=BB1019_48 Depth=2
	v_mov_b32_e32 v78, s63
	s_and_saveexec_b64 s[40:41], s[38:39]
	s_cbranch_execz .LBB1019_58
; %bb.57:                               ;   in Loop: Header=BB1019_48 Depth=2
	s_lshl_b64 s[38:39], s[56:57], 1
	v_mov_b32_e32 v4, s39
	v_add_co_u32_e32 v17, vcc, s38, v71
	v_addc_co_u32_e32 v18, vcc, v72, v4, vcc
	global_load_ushort v4, v[17:18], off offset:384
	v_mov_b32_e32 v78, s42
	s_waitcnt vmcnt(0)
	v_perm_b32 v16, v4, v16, s7
.LBB1019_58:                            ;   in Loop: Header=BB1019_48 Depth=2
	s_or_b64 exec, exec, s[40:41]
	v_xor_b32_e32 v6, 0xffff8000, v15
	v_lshrrev_b32_sdwa v4, s61, v6 dst_sel:DWORD dst_unused:UNUSED_PAD src0_sel:DWORD src1_sel:WORD_0
	v_and_b32_e32 v17, s62, v4
	v_and_b32_e32 v4, 1, v17
	v_add_co_u32_e32 v18, vcc, -1, v4
	v_addc_co_u32_e64 v79, s[38:39], 0, -1, vcc
	v_cmp_ne_u32_e32 vcc, 0, v4
	v_xor_b32_e32 v4, vcc_hi, v79
	v_and_b32_e32 v79, exec_hi, v4
	v_lshlrev_b32_e32 v4, 30, v17
	v_xor_b32_e32 v18, vcc_lo, v18
	v_cmp_gt_i64_e32 vcc, 0, v[3:4]
	v_not_b32_e32 v4, v4
	v_ashrrev_i32_e32 v4, 31, v4
	v_and_b32_e32 v18, exec_lo, v18
	v_xor_b32_e32 v81, vcc_hi, v4
	v_xor_b32_e32 v4, vcc_lo, v4
	v_and_b32_e32 v18, v18, v4
	v_lshlrev_b32_e32 v4, 29, v17
	v_cmp_gt_i64_e32 vcc, 0, v[3:4]
	v_not_b32_e32 v4, v4
	v_ashrrev_i32_e32 v4, 31, v4
	v_and_b32_e32 v79, v79, v81
	v_xor_b32_e32 v81, vcc_hi, v4
	v_xor_b32_e32 v4, vcc_lo, v4
	v_and_b32_e32 v18, v18, v4
	v_lshlrev_b32_e32 v4, 28, v17
	v_cmp_gt_i64_e32 vcc, 0, v[3:4]
	v_not_b32_e32 v4, v4
	v_ashrrev_i32_e32 v4, 31, v4
	v_and_b32_e32 v79, v79, v81
	;; [unrolled: 8-line block ×5, first 2 shown]
	v_xor_b32_e32 v81, vcc_hi, v4
	v_xor_b32_e32 v4, vcc_lo, v4
	v_and_b32_e32 v79, v79, v81
	v_and_b32_e32 v81, v18, v4
	v_lshlrev_b32_e32 v4, 24, v17
	v_cmp_gt_i64_e32 vcc, 0, v[3:4]
	v_not_b32_e32 v4, v4
	v_ashrrev_i32_e32 v4, 31, v4
	v_mul_u32_u24_e32 v80, 20, v17
	v_xor_b32_e32 v17, vcc_hi, v4
	v_xor_b32_e32 v4, vcc_lo, v4
	v_and_b32_e32 v18, v79, v17
	v_and_b32_e32 v17, v81, v4
	v_mbcnt_lo_u32_b32 v4, v17, 0
	v_mbcnt_hi_u32_b32 v79, v18, v4
	v_cmp_ne_u64_e32 vcc, 0, v[17:18]
	v_cmp_eq_u32_e64 s[38:39], 0, v79
	s_and_b64 s[40:41], vcc, s[38:39]
	v_add_u32_e32 v82, v75, v80
	ds_write2_b32 v56, v3, v3 offset1:1
	ds_write2_b32 v57, v3, v3 offset1:1
	ds_write_b32 v26, v3 offset:1056
	s_waitcnt vmcnt(0) lgkmcnt(0)
	s_barrier
	; wave barrier
	s_and_saveexec_b64 s[38:39], s[40:41]
; %bb.59:                               ;   in Loop: Header=BB1019_48 Depth=2
	v_bcnt_u32_b32 v4, v17, 0
	v_bcnt_u32_b32 v4, v18, v4
	ds_write_b32 v82, v4 offset:1040
; %bb.60:                               ;   in Loop: Header=BB1019_48 Depth=2
	s_or_b64 exec, exec, s[38:39]
	v_xor_b32_sdwa v80, v15, s59 dst_sel:DWORD dst_unused:UNUSED_PAD src0_sel:WORD_1 src1_sel:DWORD
	v_lshrrev_b32_sdwa v4, s61, v80 dst_sel:DWORD dst_unused:UNUSED_PAD src0_sel:DWORD src1_sel:WORD_0
	v_and_b32_e32 v15, s62, v4
	v_mad_u32_u24 v4, v15, 20, v75
	; wave barrier
	ds_read_b32 v81, v4 offset:1040
	v_and_b32_e32 v4, 1, v15
	v_add_co_u32_e32 v17, vcc, -1, v4
	v_addc_co_u32_e64 v18, s[38:39], 0, -1, vcc
	v_cmp_ne_u32_e32 vcc, 0, v4
	v_xor_b32_e32 v4, vcc_hi, v18
	v_and_b32_e32 v18, exec_hi, v4
	v_lshlrev_b32_e32 v4, 30, v15
	v_xor_b32_e32 v17, vcc_lo, v17
	v_cmp_gt_i64_e32 vcc, 0, v[3:4]
	v_not_b32_e32 v4, v4
	v_ashrrev_i32_e32 v4, 31, v4
	v_and_b32_e32 v17, exec_lo, v17
	v_xor_b32_e32 v83, vcc_hi, v4
	v_xor_b32_e32 v4, vcc_lo, v4
	v_and_b32_e32 v17, v17, v4
	v_lshlrev_b32_e32 v4, 29, v15
	v_cmp_gt_i64_e32 vcc, 0, v[3:4]
	v_not_b32_e32 v4, v4
	v_ashrrev_i32_e32 v4, 31, v4
	v_and_b32_e32 v18, v18, v83
	v_xor_b32_e32 v83, vcc_hi, v4
	v_xor_b32_e32 v4, vcc_lo, v4
	v_and_b32_e32 v17, v17, v4
	v_lshlrev_b32_e32 v4, 28, v15
	v_cmp_gt_i64_e32 vcc, 0, v[3:4]
	v_not_b32_e32 v4, v4
	v_ashrrev_i32_e32 v4, 31, v4
	v_and_b32_e32 v18, v18, v83
	;; [unrolled: 8-line block ×5, first 2 shown]
	v_xor_b32_e32 v83, vcc_hi, v4
	v_xor_b32_e32 v4, vcc_lo, v4
	v_and_b32_e32 v17, v17, v4
	v_lshlrev_b32_e32 v4, 24, v15
	v_cmp_gt_i64_e32 vcc, 0, v[3:4]
	v_not_b32_e32 v4, v4
	v_ashrrev_i32_e32 v4, 31, v4
	v_mul_u32_u24_e32 v84, 20, v15
	v_xor_b32_e32 v15, vcc_hi, v4
	v_xor_b32_e32 v4, vcc_lo, v4
	v_and_b32_e32 v18, v18, v83
	v_and_b32_e32 v17, v17, v4
	;; [unrolled: 1-line block ×3, first 2 shown]
	v_mbcnt_lo_u32_b32 v4, v17, 0
	v_mbcnt_hi_u32_b32 v83, v18, v4
	v_cmp_ne_u64_e32 vcc, 0, v[17:18]
	v_cmp_eq_u32_e64 s[38:39], 0, v83
	s_and_b64 s[40:41], vcc, s[38:39]
	v_add_u32_e32 v86, v75, v84
	; wave barrier
	s_and_saveexec_b64 s[38:39], s[40:41]
	s_cbranch_execz .LBB1019_62
; %bb.61:                               ;   in Loop: Header=BB1019_48 Depth=2
	v_bcnt_u32_b32 v4, v17, 0
	v_bcnt_u32_b32 v4, v18, v4
	s_waitcnt lgkmcnt(0)
	v_add_u32_e32 v4, v81, v4
	ds_write_b32 v86, v4 offset:1040
.LBB1019_62:                            ;   in Loop: Header=BB1019_48 Depth=2
	s_or_b64 exec, exec, s[38:39]
	v_xor_b32_e32 v84, 0xffff8000, v16
	v_lshrrev_b32_sdwa v4, s61, v84 dst_sel:DWORD dst_unused:UNUSED_PAD src0_sel:DWORD src1_sel:WORD_0
	v_and_b32_e32 v15, s62, v4
	v_mad_u32_u24 v4, v15, 20, v75
	; wave barrier
	ds_read_b32 v85, v4 offset:1040
	v_and_b32_e32 v4, 1, v15
	v_add_co_u32_e32 v17, vcc, -1, v4
	v_addc_co_u32_e64 v18, s[38:39], 0, -1, vcc
	v_cmp_ne_u32_e32 vcc, 0, v4
	v_xor_b32_e32 v4, vcc_hi, v18
	v_and_b32_e32 v18, exec_hi, v4
	v_lshlrev_b32_e32 v4, 30, v15
	v_xor_b32_e32 v17, vcc_lo, v17
	v_cmp_gt_i64_e32 vcc, 0, v[3:4]
	v_not_b32_e32 v4, v4
	v_ashrrev_i32_e32 v4, 31, v4
	v_and_b32_e32 v17, exec_lo, v17
	v_xor_b32_e32 v87, vcc_hi, v4
	v_xor_b32_e32 v4, vcc_lo, v4
	v_and_b32_e32 v17, v17, v4
	v_lshlrev_b32_e32 v4, 29, v15
	v_cmp_gt_i64_e32 vcc, 0, v[3:4]
	v_not_b32_e32 v4, v4
	v_ashrrev_i32_e32 v4, 31, v4
	v_and_b32_e32 v18, v18, v87
	v_xor_b32_e32 v87, vcc_hi, v4
	v_xor_b32_e32 v4, vcc_lo, v4
	v_and_b32_e32 v17, v17, v4
	v_lshlrev_b32_e32 v4, 28, v15
	v_cmp_gt_i64_e32 vcc, 0, v[3:4]
	v_not_b32_e32 v4, v4
	v_ashrrev_i32_e32 v4, 31, v4
	v_and_b32_e32 v18, v18, v87
	;; [unrolled: 8-line block ×5, first 2 shown]
	v_xor_b32_e32 v87, vcc_hi, v4
	v_xor_b32_e32 v4, vcc_lo, v4
	v_and_b32_e32 v17, v17, v4
	v_lshlrev_b32_e32 v4, 24, v15
	v_cmp_gt_i64_e32 vcc, 0, v[3:4]
	v_not_b32_e32 v4, v4
	v_ashrrev_i32_e32 v4, 31, v4
	v_mul_u32_u24_e32 v88, 20, v15
	v_xor_b32_e32 v15, vcc_hi, v4
	v_xor_b32_e32 v4, vcc_lo, v4
	v_and_b32_e32 v18, v18, v87
	v_and_b32_e32 v17, v17, v4
	;; [unrolled: 1-line block ×3, first 2 shown]
	v_mbcnt_lo_u32_b32 v4, v17, 0
	v_mbcnt_hi_u32_b32 v87, v18, v4
	v_cmp_ne_u64_e32 vcc, 0, v[17:18]
	v_cmp_eq_u32_e64 s[38:39], 0, v87
	s_and_b64 s[40:41], vcc, s[38:39]
	v_add_u32_e32 v90, v75, v88
	; wave barrier
	s_and_saveexec_b64 s[38:39], s[40:41]
	s_cbranch_execz .LBB1019_64
; %bb.63:                               ;   in Loop: Header=BB1019_48 Depth=2
	v_bcnt_u32_b32 v4, v17, 0
	v_bcnt_u32_b32 v4, v18, v4
	s_waitcnt lgkmcnt(0)
	v_add_u32_e32 v4, v85, v4
	ds_write_b32 v90, v4 offset:1040
.LBB1019_64:                            ;   in Loop: Header=BB1019_48 Depth=2
	s_or_b64 exec, exec, s[38:39]
	v_xor_b32_sdwa v88, v16, s59 dst_sel:DWORD dst_unused:UNUSED_PAD src0_sel:WORD_1 src1_sel:DWORD
	v_lshrrev_b32_sdwa v4, s61, v88 dst_sel:DWORD dst_unused:UNUSED_PAD src0_sel:DWORD src1_sel:WORD_0
	v_and_b32_e32 v15, s62, v4
	v_mad_u32_u24 v4, v15, 20, v75
	; wave barrier
	ds_read_b32 v89, v4 offset:1040
	v_and_b32_e32 v4, 1, v15
	v_add_co_u32_e32 v16, vcc, -1, v4
	v_addc_co_u32_e64 v18, s[38:39], 0, -1, vcc
	v_cmp_ne_u32_e32 vcc, 0, v4
	v_xor_b32_e32 v4, vcc_hi, v18
	v_and_b32_e32 v18, exec_hi, v4
	v_lshlrev_b32_e32 v4, 30, v15
	v_xor_b32_e32 v16, vcc_lo, v16
	v_cmp_gt_i64_e32 vcc, 0, v[3:4]
	v_not_b32_e32 v4, v4
	v_ashrrev_i32_e32 v4, 31, v4
	v_and_b32_e32 v16, exec_lo, v16
	v_xor_b32_e32 v91, vcc_hi, v4
	v_xor_b32_e32 v4, vcc_lo, v4
	v_and_b32_e32 v16, v16, v4
	v_lshlrev_b32_e32 v4, 29, v15
	v_cmp_gt_i64_e32 vcc, 0, v[3:4]
	v_not_b32_e32 v4, v4
	v_ashrrev_i32_e32 v4, 31, v4
	v_and_b32_e32 v18, v18, v91
	v_xor_b32_e32 v91, vcc_hi, v4
	v_xor_b32_e32 v4, vcc_lo, v4
	v_and_b32_e32 v16, v16, v4
	v_lshlrev_b32_e32 v4, 28, v15
	v_cmp_gt_i64_e32 vcc, 0, v[3:4]
	v_not_b32_e32 v4, v4
	v_ashrrev_i32_e32 v4, 31, v4
	v_and_b32_e32 v18, v18, v91
	;; [unrolled: 8-line block ×5, first 2 shown]
	v_xor_b32_e32 v91, vcc_hi, v4
	v_xor_b32_e32 v4, vcc_lo, v4
	v_and_b32_e32 v18, v18, v91
	v_and_b32_e32 v91, v16, v4
	v_lshlrev_b32_e32 v4, 24, v15
	v_cmp_gt_i64_e32 vcc, 0, v[3:4]
	v_not_b32_e32 v4, v4
	v_ashrrev_i32_e32 v4, 31, v4
	v_mul_u32_u24_e32 v17, 20, v15
	v_xor_b32_e32 v15, vcc_hi, v4
	v_xor_b32_e32 v4, vcc_lo, v4
	v_and_b32_e32 v16, v18, v15
	v_and_b32_e32 v15, v91, v4
	v_mbcnt_lo_u32_b32 v4, v15, 0
	v_mbcnt_hi_u32_b32 v4, v16, v4
	v_cmp_ne_u64_e32 vcc, 0, v[15:16]
	v_cmp_eq_u32_e64 s[38:39], 0, v4
	s_and_b64 s[40:41], vcc, s[38:39]
	v_add_u32_e32 v91, v75, v17
	; wave barrier
	s_and_saveexec_b64 s[38:39], s[40:41]
	s_cbranch_execz .LBB1019_66
; %bb.65:                               ;   in Loop: Header=BB1019_48 Depth=2
	v_bcnt_u32_b32 v15, v15, 0
	v_bcnt_u32_b32 v15, v16, v15
	s_waitcnt lgkmcnt(0)
	v_add_u32_e32 v15, v89, v15
	ds_write_b32 v91, v15 offset:1040
.LBB1019_66:                            ;   in Loop: Header=BB1019_48 Depth=2
	s_or_b64 exec, exec, s[38:39]
	; wave barrier
	s_waitcnt lgkmcnt(0)
	s_barrier
	ds_read2_b32 v[17:18], v56 offset1:1
	ds_read2_b32 v[15:16], v57 offset1:1
	ds_read_b32 v92, v26 offset:1056
	s_waitcnt lgkmcnt(1)
	v_add3_u32 v93, v18, v17, v15
	s_waitcnt lgkmcnt(0)
	v_add3_u32 v92, v93, v16, v92
	s_nop 1
	v_mov_b32_dpp v93, v92 row_shr:1 row_mask:0xf bank_mask:0xf
	v_cndmask_b32_e64 v93, v93, 0, s[18:19]
	v_add_u32_e32 v92, v93, v92
	s_nop 1
	v_mov_b32_dpp v93, v92 row_shr:2 row_mask:0xf bank_mask:0xf
	v_cndmask_b32_e64 v93, 0, v93, s[20:21]
	v_add_u32_e32 v92, v92, v93
	;; [unrolled: 4-line block ×4, first 2 shown]
	s_nop 1
	v_mov_b32_dpp v93, v92 row_bcast:15 row_mask:0xf bank_mask:0xf
	v_cndmask_b32_e64 v93, v93, 0, s[26:27]
	v_add_u32_e32 v92, v92, v93
	s_nop 1
	v_mov_b32_dpp v93, v92 row_bcast:31 row_mask:0xf bank_mask:0xf
	v_cndmask_b32_e64 v93, 0, v93, s[28:29]
	v_add_u32_e32 v92, v92, v93
	s_and_saveexec_b64 s[38:39], s[8:9]
; %bb.67:                               ;   in Loop: Header=BB1019_48 Depth=2
	ds_write_b32 v25, v92 offset:1024
; %bb.68:                               ;   in Loop: Header=BB1019_48 Depth=2
	s_or_b64 exec, exec, s[38:39]
	s_waitcnt lgkmcnt(0)
	s_barrier
	s_and_saveexec_b64 s[38:39], s[10:11]
	s_cbranch_execz .LBB1019_70
; %bb.69:                               ;   in Loop: Header=BB1019_48 Depth=2
	ds_read_b32 v93, v27 offset:1024
	s_waitcnt lgkmcnt(0)
	s_nop 0
	v_mov_b32_dpp v94, v93 row_shr:1 row_mask:0xf bank_mask:0xf
	v_cndmask_b32_e64 v94, v94, 0, s[34:35]
	v_add_u32_e32 v93, v94, v93
	s_nop 1
	v_mov_b32_dpp v94, v93 row_shr:2 row_mask:0xf bank_mask:0xf
	v_cndmask_b32_e64 v94, 0, v94, s[36:37]
	v_add_u32_e32 v93, v93, v94
	ds_write_b32 v27, v93 offset:1024
.LBB1019_70:                            ;   in Loop: Header=BB1019_48 Depth=2
	s_or_b64 exec, exec, s[38:39]
	v_mov_b32_e32 v93, 0
	s_waitcnt lgkmcnt(0)
	s_barrier
	s_and_saveexec_b64 s[38:39], s[12:13]
; %bb.71:                               ;   in Loop: Header=BB1019_48 Depth=2
	ds_read_b32 v93, v25 offset:1020
; %bb.72:                               ;   in Loop: Header=BB1019_48 Depth=2
	s_or_b64 exec, exec, s[38:39]
	s_waitcnt lgkmcnt(0)
	v_add_u32_e32 v92, v93, v92
	ds_bpermute_b32 v92, v68, v92
	s_waitcnt lgkmcnt(0)
	v_cndmask_b32_e64 v92, v92, v93, s[30:31]
	v_cndmask_b32_e64 v92, v92, 0, s[14:15]
	v_add_u32_e32 v17, v92, v17
	v_add_u32_e32 v18, v17, v18
	;; [unrolled: 1-line block ×4, first 2 shown]
	ds_write2_b32 v56, v92, v17 offset1:1
	ds_write2_b32 v57, v18, v15 offset1:1
	ds_write_b32 v26, v16 offset:1056
	s_waitcnt lgkmcnt(0)
	s_barrier
	ds_read_b32 v15, v82 offset:1040
	ds_read_b32 v16, v86 offset:1040
	;; [unrolled: 1-line block ×5, first 2 shown]
	v_mov_b32_e32 v82, 0x400
	s_and_saveexec_b64 s[38:39], s[16:17]
; %bb.73:                               ;   in Loop: Header=BB1019_48 Depth=2
	ds_read_b32 v82, v26 offset:1060
; %bb.74:                               ;   in Loop: Header=BB1019_48 Depth=2
	s_or_b64 exec, exec, s[38:39]
	s_waitcnt lgkmcnt(0)
	s_barrier
	s_and_saveexec_b64 s[38:39], s[4:5]
	s_cbranch_execz .LBB1019_76
; %bb.75:                               ;   in Loop: Header=BB1019_48 Depth=2
	ds_read_b32 v90, v19
	s_waitcnt lgkmcnt(0)
	v_sub_u32_e32 v86, v90, v86
	ds_write_b32 v19, v86
.LBB1019_76:                            ;   in Loop: Header=BB1019_48 Depth=2
	s_or_b64 exec, exec, s[38:39]
	v_add_u32_e32 v86, v15, v79
	v_add3_u32 v83, v83, v81, v16
	v_add3_u32 v81, v87, v85, v17
	v_add3_u32 v79, v4, v89, v18
	v_lshlrev_b32_e32 v16, 1, v86
	ds_write_b16 v16, v6 offset:1024
	v_lshlrev_b32_e32 v15, 1, v83
	v_lshlrev_b32_e32 v6, 1, v81
	;; [unrolled: 1-line block ×3, first 2 shown]
	v_cmp_lt_u32_e32 vcc, v0, v78
	ds_write_b16 v15, v80 offset:1024
	ds_write_b16 v6, v84 offset:1024
	;; [unrolled: 1-line block ×3, first 2 shown]
	s_waitcnt lgkmcnt(0)
	s_barrier
	s_and_saveexec_b64 s[40:41], vcc
	s_cbranch_execnz .LBB1019_97
; %bb.77:                               ;   in Loop: Header=BB1019_48 Depth=2
	s_or_b64 exec, exec, s[40:41]
	v_cmp_lt_u32_e64 s[38:39], v20, v78
	s_and_saveexec_b64 s[42:43], s[38:39]
	s_cbranch_execnz .LBB1019_98
.LBB1019_78:                            ;   in Loop: Header=BB1019_48 Depth=2
	s_or_b64 exec, exec, s[42:43]
	v_cmp_lt_u32_e64 s[40:41], v49, v78
	s_and_saveexec_b64 s[44:45], s[40:41]
	s_cbranch_execnz .LBB1019_99
.LBB1019_79:                            ;   in Loop: Header=BB1019_48 Depth=2
	s_or_b64 exec, exec, s[44:45]
	v_cmp_lt_u32_e64 s[42:43], v50, v78
	s_and_saveexec_b64 s[54:55], s[42:43]
	s_cbranch_execz .LBB1019_81
.LBB1019_80:                            ;   in Loop: Header=BB1019_48 Depth=2
	ds_read_u16 v17, v32 offset:2560
	v_mov_b32_e32 v84, s51
	s_waitcnt lgkmcnt(0)
	v_lshrrev_b32_sdwa v18, s61, v17 dst_sel:DWORD dst_unused:UNUSED_PAD src0_sel:DWORD src1_sel:WORD_0
	v_and_b32_e32 v18, s62, v18
	v_lshlrev_b32_e32 v18, 2, v18
	ds_read_b32 v80, v18
	v_mov_b32_e32 v18, v3
	v_xor_b32_e32 v85, 0xffff8000, v17
	s_waitcnt lgkmcnt(0)
	v_add_u32_e32 v17, v80, v50
	v_lshlrev_b64 v[17:18], 1, v[17:18]
	v_add_co_u32_e64 v17, s[44:45], s50, v17
	v_addc_co_u32_e64 v18, s[44:45], v84, v18, s[44:45]
	global_store_short v[17:18], v85, off
.LBB1019_81:                            ;   in Loop: Header=BB1019_48 Depth=2
	s_or_b64 exec, exec, s[54:55]
	s_lshl_b64 s[44:45], s[56:57], 3
	v_mov_b32_e32 v18, s45
	v_add_co_u32_e64 v17, s[44:45], s44, v69
	v_addc_co_u32_e64 v18, s[44:45], v70, v18, s[44:45]
	v_cmp_lt_u32_e64 s[44:45], v47, v78
	s_and_saveexec_b64 s[54:55], s[44:45]
	s_xor_b64 s[44:45], exec, s[54:55]
	s_cbranch_execnz .LBB1019_100
; %bb.82:                               ;   in Loop: Header=BB1019_48 Depth=2
	s_or_b64 exec, exec, s[44:45]
	v_cmp_lt_u32_e64 s[44:45], v64, v78
	s_and_saveexec_b64 s[54:55], s[44:45]
	s_cbranch_execnz .LBB1019_101
.LBB1019_83:                            ;   in Loop: Header=BB1019_48 Depth=2
	s_or_b64 exec, exec, s[54:55]
	v_cmp_lt_u32_e64 s[44:45], v65, v78
	s_and_saveexec_b64 s[54:55], s[44:45]
	s_cbranch_execnz .LBB1019_102
.LBB1019_84:                            ;   in Loop: Header=BB1019_48 Depth=2
	s_or_b64 exec, exec, s[54:55]
	v_cmp_lt_u32_e64 s[44:45], v66, v78
	s_and_saveexec_b64 s[54:55], s[44:45]
	s_cbranch_execnz .LBB1019_103
.LBB1019_85:                            ;   in Loop: Header=BB1019_48 Depth=2
	s_or_b64 exec, exec, s[54:55]
	s_and_saveexec_b64 s[44:45], vcc
	s_cbranch_execnz .LBB1019_104
.LBB1019_86:                            ;   in Loop: Header=BB1019_48 Depth=2
	s_or_b64 exec, exec, s[44:45]
	s_and_saveexec_b64 s[44:45], s[38:39]
	s_cbranch_execnz .LBB1019_105
.LBB1019_87:                            ;   in Loop: Header=BB1019_48 Depth=2
	s_or_b64 exec, exec, s[44:45]
	s_and_saveexec_b64 s[44:45], s[40:41]
	s_cbranch_execnz .LBB1019_106
.LBB1019_88:                            ;   in Loop: Header=BB1019_48 Depth=2
	s_or_b64 exec, exec, s[44:45]
	s_and_saveexec_b64 s[44:45], s[42:43]
	s_cbranch_execz .LBB1019_90
.LBB1019_89:                            ;   in Loop: Header=BB1019_48 Depth=2
	ds_read_u16 v17, v32 offset:2560
	s_waitcnt lgkmcnt(0)
	v_lshrrev_b32_e32 v17, s61, v17
	v_and_b32_e32 v73, s62, v17
.LBB1019_90:                            ;   in Loop: Header=BB1019_48 Depth=2
	s_or_b64 exec, exec, s[44:45]
	v_mad_u64_u32 v[16:17], s[44:45], v86, 6, v[16:17]
	s_waitcnt vmcnt(0)
	v_mad_u64_u32 v[80:81], s[44:45], v81, 6, v[6:7]
	v_mad_u64_u32 v[17:18], s[44:45], v83, 6, v[15:16]
	;; [unrolled: 1-line block ×3, first 2 shown]
	s_barrier
	ds_write_b64 v16, v[13:14] offset:1024
	ds_write_b64 v17, v[11:12] offset:1024
	;; [unrolled: 1-line block ×4, first 2 shown]
	s_waitcnt lgkmcnt(0)
	s_barrier
	s_and_saveexec_b64 s[44:45], vcc
	s_cbranch_execnz .LBB1019_107
; %bb.91:                               ;   in Loop: Header=BB1019_48 Depth=2
	s_or_b64 exec, exec, s[44:45]
	s_and_saveexec_b64 s[44:45], s[38:39]
	s_cbranch_execnz .LBB1019_108
.LBB1019_92:                            ;   in Loop: Header=BB1019_48 Depth=2
	s_or_b64 exec, exec, s[44:45]
	s_and_saveexec_b64 s[38:39], s[40:41]
	s_cbranch_execnz .LBB1019_109
.LBB1019_93:                            ;   in Loop: Header=BB1019_48 Depth=2
	s_or_b64 exec, exec, s[38:39]
	s_and_saveexec_b64 s[38:39], s[42:43]
	s_cbranch_execz .LBB1019_95
.LBB1019_94:                            ;   in Loop: Header=BB1019_48 Depth=2
	v_lshlrev_b32_e32 v4, 2, v73
	ds_read_b32 v4, v4
	v_add_u32_e32 v6, v32, v54
	ds_read_b64 v[15:16], v6 offset:7168
	v_mov_b32_e32 v18, v3
	v_mov_b32_e32 v6, s65
	s_waitcnt lgkmcnt(1)
	v_add_u32_e32 v17, v4, v50
	v_lshlrev_b64 v[17:18], 3, v[17:18]
	v_add_co_u32_e32 v17, vcc, s64, v17
	v_addc_co_u32_e32 v18, vcc, v6, v18, vcc
	s_waitcnt lgkmcnt(0)
	global_store_dwordx2 v[17:18], v[15:16], off
.LBB1019_95:                            ;   in Loop: Header=BB1019_48 Depth=2
	s_or_b64 exec, exec, s[38:39]
	s_waitcnt vmcnt(0)
	s_barrier
	s_and_saveexec_b64 s[38:39], s[4:5]
	s_cbranch_execz .LBB1019_47
; %bb.96:                               ;   in Loop: Header=BB1019_48 Depth=2
	ds_read_b32 v4, v19
	s_waitcnt lgkmcnt(0)
	v_add_u32_e32 v4, v4, v82
	ds_write_b32 v19, v4
	s_branch .LBB1019_47
.LBB1019_97:                            ;   in Loop: Header=BB1019_48 Depth=2
	ds_read_u16 v17, v32 offset:1024
	v_mov_b32_e32 v84, s51
	s_waitcnt lgkmcnt(0)
	v_lshrrev_b32_sdwa v18, s61, v17 dst_sel:DWORD dst_unused:UNUSED_PAD src0_sel:DWORD src1_sel:WORD_0
	v_and_b32_e32 v18, s62, v18
	v_lshlrev_b32_e32 v18, 2, v18
	ds_read_b32 v80, v18
	v_mov_b32_e32 v18, v3
	v_xor_b32_e32 v85, 0xffff8000, v17
	s_waitcnt lgkmcnt(0)
	v_add_u32_e32 v17, v80, v0
	v_lshlrev_b64 v[17:18], 1, v[17:18]
	v_add_co_u32_e64 v17, s[38:39], s50, v17
	v_addc_co_u32_e64 v18, s[38:39], v84, v18, s[38:39]
	global_store_short v[17:18], v85, off
	s_or_b64 exec, exec, s[40:41]
	v_cmp_lt_u32_e64 s[38:39], v20, v78
	s_and_saveexec_b64 s[42:43], s[38:39]
	s_cbranch_execz .LBB1019_78
.LBB1019_98:                            ;   in Loop: Header=BB1019_48 Depth=2
	ds_read_u16 v17, v32 offset:1536
	v_mov_b32_e32 v84, s51
	s_waitcnt lgkmcnt(0)
	v_lshrrev_b32_sdwa v18, s61, v17 dst_sel:DWORD dst_unused:UNUSED_PAD src0_sel:DWORD src1_sel:WORD_0
	v_and_b32_e32 v18, s62, v18
	v_lshlrev_b32_e32 v18, 2, v18
	ds_read_b32 v80, v18
	v_mov_b32_e32 v18, v3
	v_xor_b32_e32 v85, 0xffff8000, v17
	s_waitcnt lgkmcnt(0)
	v_add_u32_e32 v17, v80, v20
	v_lshlrev_b64 v[17:18], 1, v[17:18]
	v_add_co_u32_e64 v17, s[40:41], s50, v17
	v_addc_co_u32_e64 v18, s[40:41], v84, v18, s[40:41]
	global_store_short v[17:18], v85, off
	s_or_b64 exec, exec, s[42:43]
	v_cmp_lt_u32_e64 s[40:41], v49, v78
	s_and_saveexec_b64 s[44:45], s[40:41]
	s_cbranch_execz .LBB1019_79
.LBB1019_99:                            ;   in Loop: Header=BB1019_48 Depth=2
	ds_read_u16 v17, v32 offset:2048
	v_mov_b32_e32 v84, s51
	s_waitcnt lgkmcnt(0)
	v_lshrrev_b32_sdwa v18, s61, v17 dst_sel:DWORD dst_unused:UNUSED_PAD src0_sel:DWORD src1_sel:WORD_0
	v_and_b32_e32 v18, s62, v18
	v_lshlrev_b32_e32 v18, 2, v18
	ds_read_b32 v80, v18
	v_mov_b32_e32 v18, v3
	v_xor_b32_e32 v85, 0xffff8000, v17
	s_waitcnt lgkmcnt(0)
	v_add_u32_e32 v17, v80, v49
	v_lshlrev_b64 v[17:18], 1, v[17:18]
	v_add_co_u32_e64 v17, s[42:43], s50, v17
	v_addc_co_u32_e64 v18, s[42:43], v84, v18, s[42:43]
	global_store_short v[17:18], v85, off
	s_or_b64 exec, exec, s[44:45]
	v_cmp_lt_u32_e64 s[42:43], v50, v78
	s_and_saveexec_b64 s[54:55], s[42:43]
	s_cbranch_execnz .LBB1019_80
	s_branch .LBB1019_81
.LBB1019_100:                           ;   in Loop: Header=BB1019_48 Depth=2
	global_load_dwordx2 v[13:14], v[17:18], off
	s_or_b64 exec, exec, s[44:45]
	v_cmp_lt_u32_e64 s[44:45], v64, v78
	s_and_saveexec_b64 s[54:55], s[44:45]
	s_cbranch_execz .LBB1019_83
.LBB1019_101:                           ;   in Loop: Header=BB1019_48 Depth=2
	global_load_dwordx2 v[11:12], v[17:18], off offset:512
	s_or_b64 exec, exec, s[54:55]
	v_cmp_lt_u32_e64 s[44:45], v65, v78
	s_and_saveexec_b64 s[54:55], s[44:45]
	s_cbranch_execz .LBB1019_84
.LBB1019_102:                           ;   in Loop: Header=BB1019_48 Depth=2
	global_load_dwordx2 v[9:10], v[17:18], off offset:1024
	s_or_b64 exec, exec, s[54:55]
	v_cmp_lt_u32_e64 s[44:45], v66, v78
	s_and_saveexec_b64 s[54:55], s[44:45]
	s_cbranch_execz .LBB1019_85
.LBB1019_103:                           ;   in Loop: Header=BB1019_48 Depth=2
	global_load_dwordx2 v[7:8], v[17:18], off offset:1536
	s_or_b64 exec, exec, s[54:55]
	s_and_saveexec_b64 s[44:45], vcc
	s_cbranch_execz .LBB1019_86
.LBB1019_104:                           ;   in Loop: Header=BB1019_48 Depth=2
	ds_read_u16 v17, v32 offset:1024
	s_waitcnt lgkmcnt(0)
	v_lshrrev_b32_e32 v17, s61, v17
	v_and_b32_e32 v77, s62, v17
	s_or_b64 exec, exec, s[44:45]
	s_and_saveexec_b64 s[44:45], s[38:39]
	s_cbranch_execz .LBB1019_87
.LBB1019_105:                           ;   in Loop: Header=BB1019_48 Depth=2
	ds_read_u16 v17, v32 offset:1536
	s_waitcnt lgkmcnt(0)
	v_lshrrev_b32_e32 v17, s61, v17
	v_and_b32_e32 v76, s62, v17
	s_or_b64 exec, exec, s[44:45]
	s_and_saveexec_b64 s[44:45], s[40:41]
	s_cbranch_execz .LBB1019_88
.LBB1019_106:                           ;   in Loop: Header=BB1019_48 Depth=2
	ds_read_u16 v17, v32 offset:2048
	s_waitcnt lgkmcnt(0)
	v_lshrrev_b32_e32 v17, s61, v17
	v_and_b32_e32 v74, s62, v17
	s_or_b64 exec, exec, s[44:45]
	s_and_saveexec_b64 s[44:45], s[42:43]
	s_cbranch_execnz .LBB1019_89
	s_branch .LBB1019_90
.LBB1019_107:                           ;   in Loop: Header=BB1019_48 Depth=2
	v_lshlrev_b32_e32 v4, 2, v77
	ds_read_b32 v4, v4
	v_add_u32_e32 v6, v32, v54
	ds_read_b64 v[15:16], v6 offset:1024
	v_mov_b32_e32 v18, v3
	v_mov_b32_e32 v6, s65
	s_waitcnt lgkmcnt(1)
	v_add_u32_e32 v17, v4, v0
	v_lshlrev_b64 v[17:18], 3, v[17:18]
	v_add_co_u32_e32 v17, vcc, s64, v17
	v_addc_co_u32_e32 v18, vcc, v6, v18, vcc
	s_waitcnt lgkmcnt(0)
	global_store_dwordx2 v[17:18], v[15:16], off
	s_or_b64 exec, exec, s[44:45]
	s_and_saveexec_b64 s[44:45], s[38:39]
	s_cbranch_execz .LBB1019_92
.LBB1019_108:                           ;   in Loop: Header=BB1019_48 Depth=2
	v_lshlrev_b32_e32 v4, 2, v76
	ds_read_b32 v4, v4
	v_add_u32_e32 v6, v32, v54
	ds_read_b64 v[15:16], v6 offset:3072
	v_mov_b32_e32 v18, v3
	v_mov_b32_e32 v6, s65
	s_waitcnt lgkmcnt(1)
	v_add_u32_e32 v17, v4, v20
	v_lshlrev_b64 v[17:18], 3, v[17:18]
	v_add_co_u32_e32 v17, vcc, s64, v17
	v_addc_co_u32_e32 v18, vcc, v6, v18, vcc
	s_waitcnt lgkmcnt(0)
	global_store_dwordx2 v[17:18], v[15:16], off
	s_or_b64 exec, exec, s[44:45]
	s_and_saveexec_b64 s[38:39], s[40:41]
	s_cbranch_execz .LBB1019_93
.LBB1019_109:                           ;   in Loop: Header=BB1019_48 Depth=2
	v_lshlrev_b32_e32 v4, 2, v74
	ds_read_b32 v4, v4
	v_add_u32_e32 v6, v32, v54
	ds_read_b64 v[15:16], v6 offset:5120
	v_mov_b32_e32 v18, v3
	v_mov_b32_e32 v6, s65
	s_waitcnt lgkmcnt(1)
	v_add_u32_e32 v17, v4, v49
	v_lshlrev_b64 v[17:18], 3, v[17:18]
	v_add_co_u32_e32 v17, vcc, s64, v17
	v_addc_co_u32_e32 v18, vcc, v6, v18, vcc
	s_waitcnt lgkmcnt(0)
	global_store_dwordx2 v[17:18], v[15:16], off
	s_or_b64 exec, exec, s[38:39]
	s_and_saveexec_b64 s[38:39], s[42:43]
	s_cbranch_execnz .LBB1019_94
	s_branch .LBB1019_95
.LBB1019_110:                           ;   in Loop: Header=BB1019_48 Depth=2
	global_load_ushort v4, v[17:18], off
	v_mov_b32_e32 v16, v5
	s_waitcnt vmcnt(0)
	v_perm_b32 v15, s60, v4, v67
	s_or_b64 exec, exec, s[38:39]
	v_cmp_gt_u32_e32 vcc, s63, v64
	s_and_saveexec_b64 s[38:39], vcc
	s_cbranch_execz .LBB1019_53
.LBB1019_111:                           ;   in Loop: Header=BB1019_48 Depth=2
	global_load_ushort v4, v[17:18], off offset:128
	s_waitcnt vmcnt(0)
	v_perm_b32 v15, v4, v15, s7
	s_or_b64 exec, exec, s[38:39]
	v_cmp_gt_u32_e32 vcc, s63, v65
	s_and_saveexec_b64 s[38:39], vcc
	s_cbranch_execnz .LBB1019_54
	s_branch .LBB1019_55
.LBB1019_112:                           ;   in Loop: Header=BB1019_12 Depth=1
	s_waitcnt lgkmcnt(0)
	s_barrier
	s_mov_b64 s[18:19], 0
.LBB1019_113:                           ;   in Loop: Header=BB1019_12 Depth=1
	s_and_b64 vcc, exec, s[18:19]
	s_cbranch_vccz .LBB1019_213
; %bb.114:                              ;   in Loop: Header=BB1019_12 Depth=1
	v_mov_b32_e32 v4, v3
	v_mov_b32_e32 v7, v4
	s_mov_b32 s22, s71
	s_mov_b32 s56, s74
	v_mov_b32_e32 v6, v3
	s_barrier
	s_branch .LBB1019_116
.LBB1019_115:                           ;   in Loop: Header=BB1019_116 Depth=2
	s_or_b64 exec, exec, s[18:19]
	s_addk_i32 s22, 0xfc00
	s_cmp_ge_u32 s23, s75
	s_mov_b32 s56, s23
	s_cbranch_scc1 .LBB1019_136
.LBB1019_116:                           ;   Parent Loop BB1019_12 Depth=1
                                        ; =>  This Inner Loop Header: Depth=2
	s_add_i32 s23, s56, 0x400
	s_cmp_gt_u32 s23, s75
	s_mov_b64 s[18:19], -1
                                        ; implicit-def: $vgpr8_vgpr9
	s_cbranch_scc1 .LBB1019_118
; %bb.117:                              ;   in Loop: Header=BB1019_116 Depth=2
	s_lshl_b64 s[18:19], s[56:57], 1
	v_mov_b32_e32 v4, s19
	v_add_co_u32_e32 v8, vcc, s18, v33
	v_addc_co_u32_e32 v9, vcc, v34, v4, vcc
	global_load_ushort v4, v[8:9], off
	global_load_ushort v10, v[8:9], off offset:1024
	global_load_ushort v11, v[8:9], off offset:1536
	;; [unrolled: 1-line block ×3, first 2 shown]
	s_mov_b64 s[18:19], 0
	s_waitcnt vmcnt(1)
	v_perm_b32 v9, v11, v10, s7
	s_waitcnt vmcnt(0)
	v_perm_b32 v8, v12, v4, s7
.LBB1019_118:                           ;   in Loop: Header=BB1019_116 Depth=2
	s_andn2_b64 vcc, exec, s[18:19]
	s_movk_i32 s20, 0x400
	s_cbranch_vccnz .LBB1019_125
; %bb.119:                              ;   in Loop: Header=BB1019_116 Depth=2
	s_lshl_b64 s[18:19], s[56:57], 1
	s_add_u32 s18, s50, s18
	s_addc_u32 s19, s51, s19
	v_cmp_gt_u32_e32 vcc, s22, v0
	s_and_saveexec_b64 s[20:21], vcc
	s_cbranch_execnz .LBB1019_133
; %bb.120:                              ;   in Loop: Header=BB1019_116 Depth=2
	s_or_b64 exec, exec, s[20:21]
	v_cmp_gt_u32_e32 vcc, s22, v20
	s_and_saveexec_b64 s[20:21], vcc
	s_cbranch_execnz .LBB1019_134
.LBB1019_121:                           ;   in Loop: Header=BB1019_116 Depth=2
	s_or_b64 exec, exec, s[20:21]
	v_cmp_gt_u32_e32 vcc, s22, v49
	s_and_saveexec_b64 s[20:21], vcc
	s_cbranch_execnz .LBB1019_135
.LBB1019_122:                           ;   in Loop: Header=BB1019_116 Depth=2
	s_or_b64 exec, exec, s[20:21]
	v_cmp_gt_u32_e32 vcc, s22, v50
	s_and_saveexec_b64 s[20:21], vcc
	s_cbranch_execz .LBB1019_124
.LBB1019_123:                           ;   in Loop: Header=BB1019_116 Depth=2
	global_load_ushort v4, v58, s[18:19] offset:1536
	s_waitcnt vmcnt(0)
	v_perm_b32 v7, v4, v7, s7
.LBB1019_124:                           ;   in Loop: Header=BB1019_116 Depth=2
	s_or_b64 exec, exec, s[20:21]
	v_mov_b32_e32 v9, v7
	s_mov_b32 s20, s22
	v_mov_b32_e32 v8, v6
.LBB1019_125:                           ;   in Loop: Header=BB1019_116 Depth=2
	v_mov_b32_e32 v6, v8
	v_mov_b32_e32 v7, v9
	v_cmp_gt_u32_e32 vcc, s20, v0
	s_and_saveexec_b64 s[18:19], vcc
	s_cbranch_execnz .LBB1019_129
; %bb.126:                              ;   in Loop: Header=BB1019_116 Depth=2
	s_or_b64 exec, exec, s[18:19]
	v_cmp_gt_u32_e32 vcc, s20, v20
	s_and_saveexec_b64 s[18:19], vcc
	s_cbranch_execnz .LBB1019_130
.LBB1019_127:                           ;   in Loop: Header=BB1019_116 Depth=2
	s_or_b64 exec, exec, s[18:19]
	v_cmp_gt_u32_e32 vcc, s20, v49
	s_and_saveexec_b64 s[18:19], vcc
	s_cbranch_execnz .LBB1019_131
.LBB1019_128:                           ;   in Loop: Header=BB1019_116 Depth=2
	s_or_b64 exec, exec, s[18:19]
	v_cmp_gt_u32_e32 vcc, s20, v50
	s_and_saveexec_b64 s[18:19], vcc
	s_cbranch_execz .LBB1019_115
	s_branch .LBB1019_132
.LBB1019_129:                           ;   in Loop: Header=BB1019_116 Depth=2
	v_xor_b32_e32 v4, 0xffff8000, v6
	v_lshrrev_b32_sdwa v4, s61, v4 dst_sel:DWORD dst_unused:UNUSED_PAD src0_sel:DWORD src1_sel:WORD_0
	v_and_b32_e32 v4, s62, v4
	v_lshl_or_b32 v4, v4, 4, v23
	ds_add_u32 v4, v55
	s_or_b64 exec, exec, s[18:19]
	v_cmp_gt_u32_e32 vcc, s20, v20
	s_and_saveexec_b64 s[18:19], vcc
	s_cbranch_execz .LBB1019_127
.LBB1019_130:                           ;   in Loop: Header=BB1019_116 Depth=2
	v_xor_b32_sdwa v4, v6, s59 dst_sel:DWORD dst_unused:UNUSED_PAD src0_sel:WORD_1 src1_sel:DWORD
	v_lshrrev_b32_sdwa v4, s61, v4 dst_sel:DWORD dst_unused:UNUSED_PAD src0_sel:DWORD src1_sel:WORD_0
	v_and_b32_e32 v4, s62, v4
	v_lshl_or_b32 v4, v4, 4, v23
	ds_add_u32 v4, v55
	s_or_b64 exec, exec, s[18:19]
	v_cmp_gt_u32_e32 vcc, s20, v49
	s_and_saveexec_b64 s[18:19], vcc
	s_cbranch_execz .LBB1019_128
.LBB1019_131:                           ;   in Loop: Header=BB1019_116 Depth=2
	v_xor_b32_e32 v4, 0xffff8000, v7
	v_lshrrev_b32_sdwa v4, s61, v4 dst_sel:DWORD dst_unused:UNUSED_PAD src0_sel:DWORD src1_sel:WORD_0
	v_and_b32_e32 v4, s62, v4
	v_lshl_or_b32 v4, v4, 4, v23
	ds_add_u32 v4, v55
	s_or_b64 exec, exec, s[18:19]
	v_cmp_gt_u32_e32 vcc, s20, v50
	s_and_saveexec_b64 s[18:19], vcc
	s_cbranch_execz .LBB1019_115
.LBB1019_132:                           ;   in Loop: Header=BB1019_116 Depth=2
	v_xor_b32_sdwa v4, v7, s59 dst_sel:DWORD dst_unused:UNUSED_PAD src0_sel:WORD_1 src1_sel:DWORD
	v_lshrrev_b32_sdwa v4, s61, v4 dst_sel:DWORD dst_unused:UNUSED_PAD src0_sel:DWORD src1_sel:WORD_0
	v_and_b32_e32 v4, s62, v4
	v_lshl_or_b32 v4, v4, 4, v23
	ds_add_u32 v4, v55
	s_branch .LBB1019_115
.LBB1019_133:                           ;   in Loop: Header=BB1019_116 Depth=2
	global_load_ushort v4, v58, s[18:19]
	s_waitcnt vmcnt(0)
	v_bfi_b32 v6, s58, v4, v6
	s_or_b64 exec, exec, s[20:21]
	v_cmp_gt_u32_e32 vcc, s22, v20
	s_and_saveexec_b64 s[20:21], vcc
	s_cbranch_execz .LBB1019_121
.LBB1019_134:                           ;   in Loop: Header=BB1019_116 Depth=2
	global_load_ushort v4, v58, s[18:19] offset:512
	s_waitcnt vmcnt(0)
	v_perm_b32 v6, v4, v6, s7
	s_or_b64 exec, exec, s[20:21]
	v_cmp_gt_u32_e32 vcc, s22, v49
	s_and_saveexec_b64 s[20:21], vcc
	s_cbranch_execz .LBB1019_122
.LBB1019_135:                           ;   in Loop: Header=BB1019_116 Depth=2
	global_load_ushort v4, v58, s[18:19] offset:1024
	s_waitcnt vmcnt(0)
	v_bfi_b32 v7, s58, v4, v7
	s_or_b64 exec, exec, s[20:21]
	v_cmp_gt_u32_e32 vcc, s22, v50
	s_and_saveexec_b64 s[20:21], vcc
	s_cbranch_execnz .LBB1019_123
	s_branch .LBB1019_124
.LBB1019_136:                           ;   in Loop: Header=BB1019_12 Depth=1
	v_mov_b32_e32 v4, 0
	s_waitcnt lgkmcnt(0)
	s_barrier
	s_and_saveexec_b64 s[18:19], s[4:5]
	s_cbranch_execz .LBB1019_138
; %bb.137:                              ;   in Loop: Header=BB1019_12 Depth=1
	ds_read2_b64 v[6:9], v24 offset1:1
	s_waitcnt lgkmcnt(0)
	v_add_u32_e32 v4, v7, v6
	v_add3_u32 v4, v4, v8, v9
.LBB1019_138:                           ;   in Loop: Header=BB1019_12 Depth=1
	s_or_b64 exec, exec, s[18:19]
	s_nop 0
	v_mov_b32_dpp v6, v4 row_shr:1 row_mask:0xf bank_mask:0xf
	v_cmp_eq_u32_e64 s[18:19], 0, v59
	v_cndmask_b32_e64 v6, v6, 0, s[18:19]
	v_add_u32_e32 v4, v6, v4
	v_cmp_lt_u32_e64 s[20:21], 1, v59
	v_cmp_lt_u32_e64 s[22:23], 3, v59
	v_mov_b32_dpp v6, v4 row_shr:2 row_mask:0xf bank_mask:0xf
	v_cndmask_b32_e64 v6, 0, v6, s[20:21]
	v_add_u32_e32 v4, v4, v6
	v_cmp_lt_u32_e64 s[24:25], 7, v59
	v_cmp_lt_u32_e64 s[28:29], 31, v45
	v_mov_b32_dpp v6, v4 row_shr:4 row_mask:0xf bank_mask:0xf
	v_cndmask_b32_e64 v6, 0, v6, s[22:23]
	v_add_u32_e32 v4, v4, v6
	v_cmp_eq_u32_e64 s[26:27], 0, v61
	s_nop 0
	v_mov_b32_dpp v6, v4 row_shr:8 row_mask:0xf bank_mask:0xf
	v_cndmask_b32_e64 v6, 0, v6, s[24:25]
	v_add_u32_e32 v4, v4, v6
	s_nop 1
	v_mov_b32_dpp v6, v4 row_bcast:15 row_mask:0xf bank_mask:0xf
	v_and_b32_e32 v6, v60, v6
	v_add_u32_e32 v4, v4, v6
	s_nop 1
	v_mov_b32_dpp v6, v4 row_bcast:31 row_mask:0xf bank_mask:0xf
	v_cndmask_b32_e64 v6, 0, v6, s[28:29]
	v_add_u32_e32 v4, v4, v6
	s_and_saveexec_b64 s[30:31], s[8:9]
; %bb.139:                              ;   in Loop: Header=BB1019_12 Depth=1
	ds_write_b32 v51, v4
; %bb.140:                              ;   in Loop: Header=BB1019_12 Depth=1
	s_or_b64 exec, exec, s[30:31]
	s_waitcnt lgkmcnt(0)
	s_barrier
	s_and_saveexec_b64 s[30:31], s[10:11]
	s_cbranch_execz .LBB1019_142
; %bb.141:                              ;   in Loop: Header=BB1019_12 Depth=1
	ds_read_b32 v6, v52
	v_cmp_ne_u32_e32 vcc, 0, v62
	s_waitcnt lgkmcnt(0)
	v_mov_b32_dpp v7, v6 row_shr:1 row_mask:0xf bank_mask:0xf
	v_cndmask_b32_e32 v7, 0, v7, vcc
	v_add_u32_e32 v6, v7, v6
	v_cmp_lt_u32_e32 vcc, 1, v62
	s_nop 0
	v_mov_b32_dpp v7, v6 row_shr:2 row_mask:0xf bank_mask:0xf
	v_cndmask_b32_e32 v7, 0, v7, vcc
	v_add_u32_e32 v6, v6, v7
	ds_write_b32 v52, v6
.LBB1019_142:                           ;   in Loop: Header=BB1019_12 Depth=1
	s_or_b64 exec, exec, s[30:31]
	v_mov_b32_e32 v6, 0
	s_waitcnt lgkmcnt(0)
	s_barrier
	s_and_saveexec_b64 s[30:31], s[12:13]
; %bb.143:                              ;   in Loop: Header=BB1019_12 Depth=1
	ds_read_b32 v6, v53
; %bb.144:                              ;   in Loop: Header=BB1019_12 Depth=1
	s_or_b64 exec, exec, s[30:31]
	v_subrev_co_u32_e64 v7, s[30:31], 1, v45
	v_cmp_lt_i32_e32 vcc, v7, v63
	v_cndmask_b32_e32 v7, v7, v45, vcc
	s_waitcnt lgkmcnt(0)
	v_add_u32_e32 v4, v6, v4
	v_lshlrev_b32_e32 v68, 2, v7
	ds_bpermute_b32 v4, v68, v4
	s_waitcnt lgkmcnt(0)
	s_barrier
	s_and_saveexec_b64 s[34:35], s[4:5]
; %bb.145:                              ;   in Loop: Header=BB1019_12 Depth=1
	v_cndmask_b32_e64 v4, v4, v6, s[30:31]
	v_add_u32_e32 v4, s74, v4
	ds_write_b32 v19, v4
; %bb.146:                              ;   in Loop: Header=BB1019_12 Depth=1
	s_or_b64 exec, exec, s[34:35]
	s_load_dwordx2 s[34:35], s[46:47], 0x0
	v_add_co_u32_e32 v69, vcc, v35, v46
	v_addc_co_u32_e32 v70, vcc, 0, v36, vcc
	s_waitcnt lgkmcnt(0)
	s_cmp_lt_u32 s33, s35
	s_cselect_b32 s35, 14, 20
	s_add_u32 s36, s46, s35
	s_addc_u32 s37, s47, 0
	s_cmp_lt_u32 s6, s34
	s_cselect_b32 s34, 12, 18
	s_add_u32 s34, s46, s34
	global_load_ushort v4, v3, s[36:37]
	s_addc_u32 s35, s47, 0
	global_load_ushort v6, v3, s[34:35]
	v_add_co_u32_e32 v71, vcc, v37, v48
	v_cmp_eq_u32_e64 s[34:35], 0, v62
	v_cmp_lt_u32_e64 s[36:37], 1, v62
	v_addc_co_u32_e32 v72, vcc, 0, v38, vcc
	s_mov_b32 s63, s71
	s_mov_b32 s56, s74
                                        ; implicit-def: $vgpr9_vgpr10
                                        ; implicit-def: $vgpr11_vgpr12
                                        ; implicit-def: $vgpr13_vgpr14
                                        ; implicit-def: $vgpr73
                                        ; implicit-def: $vgpr74
                                        ; implicit-def: $vgpr76
                                        ; implicit-def: $vgpr77
	s_waitcnt vmcnt(1)
	v_mad_u32_u24 v4, v2, v4, v1
	s_waitcnt vmcnt(0)
	v_mad_u64_u32 v[6:7], s[38:39], v4, v6, v[0:1]
                                        ; implicit-def: $vgpr7_vgpr8
	v_lshrrev_b32_e32 v4, 4, v6
	v_and_b32_e32 v75, 0xffffffc, v4
	s_branch .LBB1019_148
.LBB1019_147:                           ;   in Loop: Header=BB1019_148 Depth=2
	s_or_b64 exec, exec, s[38:39]
	s_addk_i32 s63, 0xfc00
	s_cmp_lt_u32 s68, s75
	s_mov_b32 s56, s68
	s_cbranch_scc0 .LBB1019_212
.LBB1019_148:                           ;   Parent Loop BB1019_12 Depth=1
                                        ; =>  This Inner Loop Header: Depth=2
	s_add_i32 s68, s56, 0x400
	s_cmp_gt_u32 s68, s75
	s_cbranch_scc1 .LBB1019_150
; %bb.149:                              ;   in Loop: Header=BB1019_148 Depth=2
	s_lshl_b64 s[38:39], s[56:57], 1
	v_mov_b32_e32 v4, s39
	v_add_co_u32_e32 v15, vcc, s38, v71
	v_addc_co_u32_e32 v16, vcc, v72, v4, vcc
	global_load_ushort v4, v[15:16], off
	global_load_ushort v6, v[15:16], off offset:128
	s_nop 0
	global_load_ushort v16, v[15:16], off offset:256
	s_mov_b64 s[38:39], -1
	s_waitcnt vmcnt(1)
	v_perm_b32 v15, v6, v4, s7
	s_movk_i32 s42, 0x400
	s_cbranch_execz .LBB1019_151
	s_branch .LBB1019_156
.LBB1019_150:                           ;   in Loop: Header=BB1019_148 Depth=2
	s_mov_b64 s[38:39], 0
                                        ; implicit-def: $vgpr15_vgpr16
	s_movk_i32 s42, 0x400
.LBB1019_151:                           ;   in Loop: Header=BB1019_148 Depth=2
	s_lshl_b64 s[38:39], s[56:57], 1
	v_mov_b32_e32 v4, s39
	v_add_co_u32_e32 v17, vcc, s38, v71
	v_mov_b32_e32 v6, v5
	v_addc_co_u32_e32 v18, vcc, v72, v4, vcc
	s_waitcnt vmcnt(0)
	v_mov_b32_e32 v16, v6
	v_cmp_gt_u32_e32 vcc, s63, v47
	v_mov_b32_e32 v15, v5
	s_and_saveexec_b64 s[38:39], vcc
	s_cbranch_execnz .LBB1019_210
; %bb.152:                              ;   in Loop: Header=BB1019_148 Depth=2
	s_or_b64 exec, exec, s[38:39]
	v_cmp_gt_u32_e32 vcc, s63, v64
	s_and_saveexec_b64 s[38:39], vcc
	s_cbranch_execnz .LBB1019_211
.LBB1019_153:                           ;   in Loop: Header=BB1019_148 Depth=2
	s_or_b64 exec, exec, s[38:39]
	v_cmp_gt_u32_e32 vcc, s63, v65
	s_and_saveexec_b64 s[38:39], vcc
	s_cbranch_execz .LBB1019_155
.LBB1019_154:                           ;   in Loop: Header=BB1019_148 Depth=2
	global_load_ushort v4, v[17:18], off offset:256
	s_waitcnt vmcnt(0)
	v_bfi_b32 v16, s58, v4, v16
.LBB1019_155:                           ;   in Loop: Header=BB1019_148 Depth=2
	s_or_b64 exec, exec, s[38:39]
	s_sub_i32 s42, s75, s56
	v_cmp_gt_u32_e64 s[38:39], s63, v66
.LBB1019_156:                           ;   in Loop: Header=BB1019_148 Depth=2
	v_mov_b32_e32 v78, s63
	s_and_saveexec_b64 s[40:41], s[38:39]
	s_cbranch_execz .LBB1019_158
; %bb.157:                              ;   in Loop: Header=BB1019_148 Depth=2
	s_lshl_b64 s[38:39], s[56:57], 1
	v_mov_b32_e32 v4, s39
	v_add_co_u32_e32 v17, vcc, s38, v71
	v_addc_co_u32_e32 v18, vcc, v72, v4, vcc
	global_load_ushort v4, v[17:18], off offset:384
	v_mov_b32_e32 v78, s42
	s_waitcnt vmcnt(0)
	v_perm_b32 v16, v4, v16, s7
.LBB1019_158:                           ;   in Loop: Header=BB1019_148 Depth=2
	s_or_b64 exec, exec, s[40:41]
	v_xor_b32_e32 v6, 0xffff8000, v15
	v_lshrrev_b32_sdwa v4, s61, v6 dst_sel:DWORD dst_unused:UNUSED_PAD src0_sel:DWORD src1_sel:WORD_0
	v_and_b32_e32 v17, s62, v4
	v_and_b32_e32 v4, 1, v17
	v_add_co_u32_e32 v18, vcc, -1, v4
	v_addc_co_u32_e64 v79, s[38:39], 0, -1, vcc
	v_cmp_ne_u32_e32 vcc, 0, v4
	v_xor_b32_e32 v4, vcc_hi, v79
	v_and_b32_e32 v79, exec_hi, v4
	v_lshlrev_b32_e32 v4, 30, v17
	v_xor_b32_e32 v18, vcc_lo, v18
	v_cmp_gt_i64_e32 vcc, 0, v[3:4]
	v_not_b32_e32 v4, v4
	v_ashrrev_i32_e32 v4, 31, v4
	v_and_b32_e32 v18, exec_lo, v18
	v_xor_b32_e32 v81, vcc_hi, v4
	v_xor_b32_e32 v4, vcc_lo, v4
	v_and_b32_e32 v18, v18, v4
	v_lshlrev_b32_e32 v4, 29, v17
	v_cmp_gt_i64_e32 vcc, 0, v[3:4]
	v_not_b32_e32 v4, v4
	v_ashrrev_i32_e32 v4, 31, v4
	v_and_b32_e32 v79, v79, v81
	v_xor_b32_e32 v81, vcc_hi, v4
	v_xor_b32_e32 v4, vcc_lo, v4
	v_and_b32_e32 v18, v18, v4
	v_lshlrev_b32_e32 v4, 28, v17
	v_cmp_gt_i64_e32 vcc, 0, v[3:4]
	v_not_b32_e32 v4, v4
	v_ashrrev_i32_e32 v4, 31, v4
	v_and_b32_e32 v79, v79, v81
	;; [unrolled: 8-line block ×5, first 2 shown]
	v_xor_b32_e32 v81, vcc_hi, v4
	v_xor_b32_e32 v4, vcc_lo, v4
	v_and_b32_e32 v79, v79, v81
	v_and_b32_e32 v81, v18, v4
	v_lshlrev_b32_e32 v4, 24, v17
	v_cmp_gt_i64_e32 vcc, 0, v[3:4]
	v_not_b32_e32 v4, v4
	v_ashrrev_i32_e32 v4, 31, v4
	v_mul_u32_u24_e32 v80, 20, v17
	v_xor_b32_e32 v17, vcc_hi, v4
	v_xor_b32_e32 v4, vcc_lo, v4
	v_and_b32_e32 v18, v79, v17
	v_and_b32_e32 v17, v81, v4
	v_mbcnt_lo_u32_b32 v4, v17, 0
	v_mbcnt_hi_u32_b32 v79, v18, v4
	v_cmp_ne_u64_e32 vcc, 0, v[17:18]
	v_cmp_eq_u32_e64 s[38:39], 0, v79
	s_and_b64 s[40:41], vcc, s[38:39]
	v_add_u32_e32 v82, v75, v80
	ds_write2_b32 v56, v3, v3 offset1:1
	ds_write2_b32 v57, v3, v3 offset1:1
	ds_write_b32 v26, v3 offset:1056
	s_waitcnt vmcnt(0) lgkmcnt(0)
	s_barrier
	; wave barrier
	s_and_saveexec_b64 s[38:39], s[40:41]
; %bb.159:                              ;   in Loop: Header=BB1019_148 Depth=2
	v_bcnt_u32_b32 v4, v17, 0
	v_bcnt_u32_b32 v4, v18, v4
	ds_write_b32 v82, v4 offset:1040
; %bb.160:                              ;   in Loop: Header=BB1019_148 Depth=2
	s_or_b64 exec, exec, s[38:39]
	v_xor_b32_sdwa v80, v15, s59 dst_sel:DWORD dst_unused:UNUSED_PAD src0_sel:WORD_1 src1_sel:DWORD
	v_lshrrev_b32_sdwa v4, s61, v80 dst_sel:DWORD dst_unused:UNUSED_PAD src0_sel:DWORD src1_sel:WORD_0
	v_and_b32_e32 v15, s62, v4
	v_mad_u32_u24 v4, v15, 20, v75
	; wave barrier
	ds_read_b32 v81, v4 offset:1040
	v_and_b32_e32 v4, 1, v15
	v_add_co_u32_e32 v17, vcc, -1, v4
	v_addc_co_u32_e64 v18, s[38:39], 0, -1, vcc
	v_cmp_ne_u32_e32 vcc, 0, v4
	v_xor_b32_e32 v4, vcc_hi, v18
	v_and_b32_e32 v18, exec_hi, v4
	v_lshlrev_b32_e32 v4, 30, v15
	v_xor_b32_e32 v17, vcc_lo, v17
	v_cmp_gt_i64_e32 vcc, 0, v[3:4]
	v_not_b32_e32 v4, v4
	v_ashrrev_i32_e32 v4, 31, v4
	v_and_b32_e32 v17, exec_lo, v17
	v_xor_b32_e32 v83, vcc_hi, v4
	v_xor_b32_e32 v4, vcc_lo, v4
	v_and_b32_e32 v17, v17, v4
	v_lshlrev_b32_e32 v4, 29, v15
	v_cmp_gt_i64_e32 vcc, 0, v[3:4]
	v_not_b32_e32 v4, v4
	v_ashrrev_i32_e32 v4, 31, v4
	v_and_b32_e32 v18, v18, v83
	v_xor_b32_e32 v83, vcc_hi, v4
	v_xor_b32_e32 v4, vcc_lo, v4
	v_and_b32_e32 v17, v17, v4
	v_lshlrev_b32_e32 v4, 28, v15
	v_cmp_gt_i64_e32 vcc, 0, v[3:4]
	v_not_b32_e32 v4, v4
	v_ashrrev_i32_e32 v4, 31, v4
	v_and_b32_e32 v18, v18, v83
	;; [unrolled: 8-line block ×5, first 2 shown]
	v_xor_b32_e32 v83, vcc_hi, v4
	v_xor_b32_e32 v4, vcc_lo, v4
	v_and_b32_e32 v17, v17, v4
	v_lshlrev_b32_e32 v4, 24, v15
	v_cmp_gt_i64_e32 vcc, 0, v[3:4]
	v_not_b32_e32 v4, v4
	v_ashrrev_i32_e32 v4, 31, v4
	v_mul_u32_u24_e32 v84, 20, v15
	v_xor_b32_e32 v15, vcc_hi, v4
	v_xor_b32_e32 v4, vcc_lo, v4
	v_and_b32_e32 v18, v18, v83
	v_and_b32_e32 v17, v17, v4
	;; [unrolled: 1-line block ×3, first 2 shown]
	v_mbcnt_lo_u32_b32 v4, v17, 0
	v_mbcnt_hi_u32_b32 v83, v18, v4
	v_cmp_ne_u64_e32 vcc, 0, v[17:18]
	v_cmp_eq_u32_e64 s[38:39], 0, v83
	s_and_b64 s[40:41], vcc, s[38:39]
	v_add_u32_e32 v86, v75, v84
	; wave barrier
	s_and_saveexec_b64 s[38:39], s[40:41]
	s_cbranch_execz .LBB1019_162
; %bb.161:                              ;   in Loop: Header=BB1019_148 Depth=2
	v_bcnt_u32_b32 v4, v17, 0
	v_bcnt_u32_b32 v4, v18, v4
	s_waitcnt lgkmcnt(0)
	v_add_u32_e32 v4, v81, v4
	ds_write_b32 v86, v4 offset:1040
.LBB1019_162:                           ;   in Loop: Header=BB1019_148 Depth=2
	s_or_b64 exec, exec, s[38:39]
	v_xor_b32_e32 v84, 0xffff8000, v16
	v_lshrrev_b32_sdwa v4, s61, v84 dst_sel:DWORD dst_unused:UNUSED_PAD src0_sel:DWORD src1_sel:WORD_0
	v_and_b32_e32 v15, s62, v4
	v_mad_u32_u24 v4, v15, 20, v75
	; wave barrier
	ds_read_b32 v85, v4 offset:1040
	v_and_b32_e32 v4, 1, v15
	v_add_co_u32_e32 v17, vcc, -1, v4
	v_addc_co_u32_e64 v18, s[38:39], 0, -1, vcc
	v_cmp_ne_u32_e32 vcc, 0, v4
	v_xor_b32_e32 v4, vcc_hi, v18
	v_and_b32_e32 v18, exec_hi, v4
	v_lshlrev_b32_e32 v4, 30, v15
	v_xor_b32_e32 v17, vcc_lo, v17
	v_cmp_gt_i64_e32 vcc, 0, v[3:4]
	v_not_b32_e32 v4, v4
	v_ashrrev_i32_e32 v4, 31, v4
	v_and_b32_e32 v17, exec_lo, v17
	v_xor_b32_e32 v87, vcc_hi, v4
	v_xor_b32_e32 v4, vcc_lo, v4
	v_and_b32_e32 v17, v17, v4
	v_lshlrev_b32_e32 v4, 29, v15
	v_cmp_gt_i64_e32 vcc, 0, v[3:4]
	v_not_b32_e32 v4, v4
	v_ashrrev_i32_e32 v4, 31, v4
	v_and_b32_e32 v18, v18, v87
	v_xor_b32_e32 v87, vcc_hi, v4
	v_xor_b32_e32 v4, vcc_lo, v4
	v_and_b32_e32 v17, v17, v4
	v_lshlrev_b32_e32 v4, 28, v15
	v_cmp_gt_i64_e32 vcc, 0, v[3:4]
	v_not_b32_e32 v4, v4
	v_ashrrev_i32_e32 v4, 31, v4
	v_and_b32_e32 v18, v18, v87
	v_xor_b32_e32 v87, vcc_hi, v4
	v_xor_b32_e32 v4, vcc_lo, v4
	v_and_b32_e32 v17, v17, v4
	v_lshlrev_b32_e32 v4, 27, v15
	v_cmp_gt_i64_e32 vcc, 0, v[3:4]
	v_not_b32_e32 v4, v4
	v_ashrrev_i32_e32 v4, 31, v4
	v_and_b32_e32 v18, v18, v87
	v_xor_b32_e32 v87, vcc_hi, v4
	v_xor_b32_e32 v4, vcc_lo, v4
	v_and_b32_e32 v17, v17, v4
	v_lshlrev_b32_e32 v4, 26, v15
	v_cmp_gt_i64_e32 vcc, 0, v[3:4]
	v_not_b32_e32 v4, v4
	v_ashrrev_i32_e32 v4, 31, v4
	v_and_b32_e32 v18, v18, v87
	v_xor_b32_e32 v87, vcc_hi, v4
	v_xor_b32_e32 v4, vcc_lo, v4
	v_and_b32_e32 v17, v17, v4
	v_lshlrev_b32_e32 v4, 25, v15
	v_cmp_gt_i64_e32 vcc, 0, v[3:4]
	v_not_b32_e32 v4, v4
	v_ashrrev_i32_e32 v4, 31, v4
	v_and_b32_e32 v18, v18, v87
	v_xor_b32_e32 v87, vcc_hi, v4
	v_xor_b32_e32 v4, vcc_lo, v4
	v_and_b32_e32 v17, v17, v4
	v_lshlrev_b32_e32 v4, 24, v15
	v_cmp_gt_i64_e32 vcc, 0, v[3:4]
	v_not_b32_e32 v4, v4
	v_ashrrev_i32_e32 v4, 31, v4
	v_mul_u32_u24_e32 v88, 20, v15
	v_xor_b32_e32 v15, vcc_hi, v4
	v_xor_b32_e32 v4, vcc_lo, v4
	v_and_b32_e32 v18, v18, v87
	v_and_b32_e32 v17, v17, v4
	;; [unrolled: 1-line block ×3, first 2 shown]
	v_mbcnt_lo_u32_b32 v4, v17, 0
	v_mbcnt_hi_u32_b32 v87, v18, v4
	v_cmp_ne_u64_e32 vcc, 0, v[17:18]
	v_cmp_eq_u32_e64 s[38:39], 0, v87
	s_and_b64 s[40:41], vcc, s[38:39]
	v_add_u32_e32 v90, v75, v88
	; wave barrier
	s_and_saveexec_b64 s[38:39], s[40:41]
	s_cbranch_execz .LBB1019_164
; %bb.163:                              ;   in Loop: Header=BB1019_148 Depth=2
	v_bcnt_u32_b32 v4, v17, 0
	v_bcnt_u32_b32 v4, v18, v4
	s_waitcnt lgkmcnt(0)
	v_add_u32_e32 v4, v85, v4
	ds_write_b32 v90, v4 offset:1040
.LBB1019_164:                           ;   in Loop: Header=BB1019_148 Depth=2
	s_or_b64 exec, exec, s[38:39]
	v_xor_b32_sdwa v88, v16, s59 dst_sel:DWORD dst_unused:UNUSED_PAD src0_sel:WORD_1 src1_sel:DWORD
	v_lshrrev_b32_sdwa v4, s61, v88 dst_sel:DWORD dst_unused:UNUSED_PAD src0_sel:DWORD src1_sel:WORD_0
	v_and_b32_e32 v15, s62, v4
	v_mad_u32_u24 v4, v15, 20, v75
	; wave barrier
	ds_read_b32 v89, v4 offset:1040
	v_and_b32_e32 v4, 1, v15
	v_add_co_u32_e32 v16, vcc, -1, v4
	v_addc_co_u32_e64 v18, s[38:39], 0, -1, vcc
	v_cmp_ne_u32_e32 vcc, 0, v4
	v_xor_b32_e32 v4, vcc_hi, v18
	v_and_b32_e32 v18, exec_hi, v4
	v_lshlrev_b32_e32 v4, 30, v15
	v_xor_b32_e32 v16, vcc_lo, v16
	v_cmp_gt_i64_e32 vcc, 0, v[3:4]
	v_not_b32_e32 v4, v4
	v_ashrrev_i32_e32 v4, 31, v4
	v_and_b32_e32 v16, exec_lo, v16
	v_xor_b32_e32 v91, vcc_hi, v4
	v_xor_b32_e32 v4, vcc_lo, v4
	v_and_b32_e32 v16, v16, v4
	v_lshlrev_b32_e32 v4, 29, v15
	v_cmp_gt_i64_e32 vcc, 0, v[3:4]
	v_not_b32_e32 v4, v4
	v_ashrrev_i32_e32 v4, 31, v4
	v_and_b32_e32 v18, v18, v91
	v_xor_b32_e32 v91, vcc_hi, v4
	v_xor_b32_e32 v4, vcc_lo, v4
	v_and_b32_e32 v16, v16, v4
	v_lshlrev_b32_e32 v4, 28, v15
	v_cmp_gt_i64_e32 vcc, 0, v[3:4]
	v_not_b32_e32 v4, v4
	v_ashrrev_i32_e32 v4, 31, v4
	v_and_b32_e32 v18, v18, v91
	;; [unrolled: 8-line block ×5, first 2 shown]
	v_xor_b32_e32 v91, vcc_hi, v4
	v_xor_b32_e32 v4, vcc_lo, v4
	v_and_b32_e32 v18, v18, v91
	v_and_b32_e32 v91, v16, v4
	v_lshlrev_b32_e32 v4, 24, v15
	v_cmp_gt_i64_e32 vcc, 0, v[3:4]
	v_not_b32_e32 v4, v4
	v_ashrrev_i32_e32 v4, 31, v4
	v_mul_u32_u24_e32 v17, 20, v15
	v_xor_b32_e32 v15, vcc_hi, v4
	v_xor_b32_e32 v4, vcc_lo, v4
	v_and_b32_e32 v16, v18, v15
	v_and_b32_e32 v15, v91, v4
	v_mbcnt_lo_u32_b32 v4, v15, 0
	v_mbcnt_hi_u32_b32 v4, v16, v4
	v_cmp_ne_u64_e32 vcc, 0, v[15:16]
	v_cmp_eq_u32_e64 s[38:39], 0, v4
	s_and_b64 s[40:41], vcc, s[38:39]
	v_add_u32_e32 v91, v75, v17
	; wave barrier
	s_and_saveexec_b64 s[38:39], s[40:41]
	s_cbranch_execz .LBB1019_166
; %bb.165:                              ;   in Loop: Header=BB1019_148 Depth=2
	v_bcnt_u32_b32 v15, v15, 0
	v_bcnt_u32_b32 v15, v16, v15
	s_waitcnt lgkmcnt(0)
	v_add_u32_e32 v15, v89, v15
	ds_write_b32 v91, v15 offset:1040
.LBB1019_166:                           ;   in Loop: Header=BB1019_148 Depth=2
	s_or_b64 exec, exec, s[38:39]
	; wave barrier
	s_waitcnt lgkmcnt(0)
	s_barrier
	ds_read2_b32 v[17:18], v56 offset1:1
	ds_read2_b32 v[15:16], v57 offset1:1
	ds_read_b32 v92, v26 offset:1056
	s_waitcnt lgkmcnt(1)
	v_add3_u32 v93, v18, v17, v15
	s_waitcnt lgkmcnt(0)
	v_add3_u32 v92, v93, v16, v92
	s_nop 1
	v_mov_b32_dpp v93, v92 row_shr:1 row_mask:0xf bank_mask:0xf
	v_cndmask_b32_e64 v93, v93, 0, s[18:19]
	v_add_u32_e32 v92, v93, v92
	s_nop 1
	v_mov_b32_dpp v93, v92 row_shr:2 row_mask:0xf bank_mask:0xf
	v_cndmask_b32_e64 v93, 0, v93, s[20:21]
	v_add_u32_e32 v92, v92, v93
	;; [unrolled: 4-line block ×4, first 2 shown]
	s_nop 1
	v_mov_b32_dpp v93, v92 row_bcast:15 row_mask:0xf bank_mask:0xf
	v_cndmask_b32_e64 v93, v93, 0, s[26:27]
	v_add_u32_e32 v92, v92, v93
	s_nop 1
	v_mov_b32_dpp v93, v92 row_bcast:31 row_mask:0xf bank_mask:0xf
	v_cndmask_b32_e64 v93, 0, v93, s[28:29]
	v_add_u32_e32 v92, v92, v93
	s_and_saveexec_b64 s[38:39], s[8:9]
; %bb.167:                              ;   in Loop: Header=BB1019_148 Depth=2
	ds_write_b32 v25, v92 offset:1024
; %bb.168:                              ;   in Loop: Header=BB1019_148 Depth=2
	s_or_b64 exec, exec, s[38:39]
	s_waitcnt lgkmcnt(0)
	s_barrier
	s_and_saveexec_b64 s[38:39], s[10:11]
	s_cbranch_execz .LBB1019_170
; %bb.169:                              ;   in Loop: Header=BB1019_148 Depth=2
	ds_read_b32 v93, v27 offset:1024
	s_waitcnt lgkmcnt(0)
	s_nop 0
	v_mov_b32_dpp v94, v93 row_shr:1 row_mask:0xf bank_mask:0xf
	v_cndmask_b32_e64 v94, v94, 0, s[34:35]
	v_add_u32_e32 v93, v94, v93
	s_nop 1
	v_mov_b32_dpp v94, v93 row_shr:2 row_mask:0xf bank_mask:0xf
	v_cndmask_b32_e64 v94, 0, v94, s[36:37]
	v_add_u32_e32 v93, v93, v94
	ds_write_b32 v27, v93 offset:1024
.LBB1019_170:                           ;   in Loop: Header=BB1019_148 Depth=2
	s_or_b64 exec, exec, s[38:39]
	v_mov_b32_e32 v93, 0
	s_waitcnt lgkmcnt(0)
	s_barrier
	s_and_saveexec_b64 s[38:39], s[12:13]
; %bb.171:                              ;   in Loop: Header=BB1019_148 Depth=2
	ds_read_b32 v93, v25 offset:1020
; %bb.172:                              ;   in Loop: Header=BB1019_148 Depth=2
	s_or_b64 exec, exec, s[38:39]
	s_waitcnt lgkmcnt(0)
	v_add_u32_e32 v92, v93, v92
	ds_bpermute_b32 v92, v68, v92
	s_waitcnt lgkmcnt(0)
	v_cndmask_b32_e64 v92, v92, v93, s[30:31]
	v_cndmask_b32_e64 v92, v92, 0, s[14:15]
	v_add_u32_e32 v17, v92, v17
	v_add_u32_e32 v18, v17, v18
	;; [unrolled: 1-line block ×4, first 2 shown]
	ds_write2_b32 v56, v92, v17 offset1:1
	ds_write2_b32 v57, v18, v15 offset1:1
	ds_write_b32 v26, v16 offset:1056
	s_waitcnt lgkmcnt(0)
	s_barrier
	ds_read_b32 v15, v82 offset:1040
	ds_read_b32 v16, v86 offset:1040
	;; [unrolled: 1-line block ×5, first 2 shown]
	v_mov_b32_e32 v82, 0x400
	s_and_saveexec_b64 s[38:39], s[16:17]
; %bb.173:                              ;   in Loop: Header=BB1019_148 Depth=2
	ds_read_b32 v82, v26 offset:1060
; %bb.174:                              ;   in Loop: Header=BB1019_148 Depth=2
	s_or_b64 exec, exec, s[38:39]
	s_waitcnt lgkmcnt(0)
	s_barrier
	s_and_saveexec_b64 s[38:39], s[4:5]
	s_cbranch_execz .LBB1019_176
; %bb.175:                              ;   in Loop: Header=BB1019_148 Depth=2
	ds_read_b32 v90, v19
	s_waitcnt lgkmcnt(0)
	v_sub_u32_e32 v86, v90, v86
	ds_write_b32 v19, v86
.LBB1019_176:                           ;   in Loop: Header=BB1019_148 Depth=2
	s_or_b64 exec, exec, s[38:39]
	v_add_u32_e32 v86, v15, v79
	v_add3_u32 v83, v83, v81, v16
	v_add3_u32 v81, v87, v85, v17
	;; [unrolled: 1-line block ×3, first 2 shown]
	v_lshlrev_b32_e32 v16, 1, v86
	ds_write_b16 v16, v6 offset:1024
	v_lshlrev_b32_e32 v15, 1, v83
	v_lshlrev_b32_e32 v6, 1, v81
	;; [unrolled: 1-line block ×3, first 2 shown]
	v_cmp_lt_u32_e32 vcc, v0, v78
	ds_write_b16 v15, v80 offset:1024
	ds_write_b16 v6, v84 offset:1024
	;; [unrolled: 1-line block ×3, first 2 shown]
	s_waitcnt lgkmcnt(0)
	s_barrier
	s_and_saveexec_b64 s[40:41], vcc
	s_cbranch_execnz .LBB1019_197
; %bb.177:                              ;   in Loop: Header=BB1019_148 Depth=2
	s_or_b64 exec, exec, s[40:41]
	v_cmp_lt_u32_e64 s[38:39], v20, v78
	s_and_saveexec_b64 s[42:43], s[38:39]
	s_cbranch_execnz .LBB1019_198
.LBB1019_178:                           ;   in Loop: Header=BB1019_148 Depth=2
	s_or_b64 exec, exec, s[42:43]
	v_cmp_lt_u32_e64 s[40:41], v49, v78
	s_and_saveexec_b64 s[44:45], s[40:41]
	s_cbranch_execnz .LBB1019_199
.LBB1019_179:                           ;   in Loop: Header=BB1019_148 Depth=2
	s_or_b64 exec, exec, s[44:45]
	v_cmp_lt_u32_e64 s[42:43], v50, v78
	s_and_saveexec_b64 s[54:55], s[42:43]
	s_cbranch_execz .LBB1019_181
.LBB1019_180:                           ;   in Loop: Header=BB1019_148 Depth=2
	ds_read_u16 v17, v32 offset:2560
	v_mov_b32_e32 v84, s53
	s_waitcnt lgkmcnt(0)
	v_lshrrev_b32_sdwa v18, s61, v17 dst_sel:DWORD dst_unused:UNUSED_PAD src0_sel:DWORD src1_sel:WORD_0
	v_and_b32_e32 v18, s62, v18
	v_lshlrev_b32_e32 v18, 2, v18
	ds_read_b32 v80, v18
	v_mov_b32_e32 v18, v3
	v_xor_b32_e32 v85, 0xffff8000, v17
	s_waitcnt lgkmcnt(0)
	v_add_u32_e32 v17, v80, v50
	v_lshlrev_b64 v[17:18], 1, v[17:18]
	v_add_co_u32_e64 v17, s[44:45], s52, v17
	v_addc_co_u32_e64 v18, s[44:45], v84, v18, s[44:45]
	global_store_short v[17:18], v85, off
.LBB1019_181:                           ;   in Loop: Header=BB1019_148 Depth=2
	s_or_b64 exec, exec, s[54:55]
	s_lshl_b64 s[44:45], s[56:57], 3
	v_mov_b32_e32 v18, s45
	v_add_co_u32_e64 v17, s[44:45], s44, v69
	v_addc_co_u32_e64 v18, s[44:45], v70, v18, s[44:45]
	v_cmp_lt_u32_e64 s[44:45], v47, v78
	s_and_saveexec_b64 s[54:55], s[44:45]
	s_xor_b64 s[44:45], exec, s[54:55]
	s_cbranch_execnz .LBB1019_200
; %bb.182:                              ;   in Loop: Header=BB1019_148 Depth=2
	s_or_b64 exec, exec, s[44:45]
	v_cmp_lt_u32_e64 s[44:45], v64, v78
	s_and_saveexec_b64 s[54:55], s[44:45]
	s_cbranch_execnz .LBB1019_201
.LBB1019_183:                           ;   in Loop: Header=BB1019_148 Depth=2
	s_or_b64 exec, exec, s[54:55]
	v_cmp_lt_u32_e64 s[44:45], v65, v78
	s_and_saveexec_b64 s[54:55], s[44:45]
	s_cbranch_execnz .LBB1019_202
.LBB1019_184:                           ;   in Loop: Header=BB1019_148 Depth=2
	s_or_b64 exec, exec, s[54:55]
	v_cmp_lt_u32_e64 s[44:45], v66, v78
	s_and_saveexec_b64 s[54:55], s[44:45]
	s_cbranch_execnz .LBB1019_203
.LBB1019_185:                           ;   in Loop: Header=BB1019_148 Depth=2
	s_or_b64 exec, exec, s[54:55]
	s_and_saveexec_b64 s[44:45], vcc
	s_cbranch_execnz .LBB1019_204
.LBB1019_186:                           ;   in Loop: Header=BB1019_148 Depth=2
	s_or_b64 exec, exec, s[44:45]
	s_and_saveexec_b64 s[44:45], s[38:39]
	s_cbranch_execnz .LBB1019_205
.LBB1019_187:                           ;   in Loop: Header=BB1019_148 Depth=2
	s_or_b64 exec, exec, s[44:45]
	s_and_saveexec_b64 s[44:45], s[40:41]
	s_cbranch_execnz .LBB1019_206
.LBB1019_188:                           ;   in Loop: Header=BB1019_148 Depth=2
	s_or_b64 exec, exec, s[44:45]
	s_and_saveexec_b64 s[44:45], s[42:43]
	s_cbranch_execz .LBB1019_190
.LBB1019_189:                           ;   in Loop: Header=BB1019_148 Depth=2
	ds_read_u16 v17, v32 offset:2560
	s_waitcnt lgkmcnt(0)
	v_lshrrev_b32_e32 v17, s61, v17
	v_and_b32_e32 v73, s62, v17
.LBB1019_190:                           ;   in Loop: Header=BB1019_148 Depth=2
	s_or_b64 exec, exec, s[44:45]
	v_mad_u64_u32 v[16:17], s[44:45], v86, 6, v[16:17]
	s_waitcnt vmcnt(0)
	v_mad_u64_u32 v[80:81], s[44:45], v81, 6, v[6:7]
	v_mad_u64_u32 v[17:18], s[44:45], v83, 6, v[15:16]
	;; [unrolled: 1-line block ×3, first 2 shown]
	s_barrier
	ds_write_b64 v16, v[13:14] offset:1024
	ds_write_b64 v17, v[11:12] offset:1024
	;; [unrolled: 1-line block ×4, first 2 shown]
	s_waitcnt lgkmcnt(0)
	s_barrier
	s_and_saveexec_b64 s[44:45], vcc
	s_cbranch_execnz .LBB1019_207
; %bb.191:                              ;   in Loop: Header=BB1019_148 Depth=2
	s_or_b64 exec, exec, s[44:45]
	s_and_saveexec_b64 s[44:45], s[38:39]
	s_cbranch_execnz .LBB1019_208
.LBB1019_192:                           ;   in Loop: Header=BB1019_148 Depth=2
	s_or_b64 exec, exec, s[44:45]
	s_and_saveexec_b64 s[38:39], s[40:41]
	s_cbranch_execnz .LBB1019_209
.LBB1019_193:                           ;   in Loop: Header=BB1019_148 Depth=2
	s_or_b64 exec, exec, s[38:39]
	s_and_saveexec_b64 s[38:39], s[42:43]
	s_cbranch_execz .LBB1019_195
.LBB1019_194:                           ;   in Loop: Header=BB1019_148 Depth=2
	v_lshlrev_b32_e32 v4, 2, v73
	ds_read_b32 v4, v4
	v_add_u32_e32 v6, v32, v54
	ds_read_b64 v[15:16], v6 offset:7168
	v_mov_b32_e32 v18, v3
	v_mov_b32_e32 v6, s67
	s_waitcnt lgkmcnt(1)
	v_add_u32_e32 v17, v4, v50
	v_lshlrev_b64 v[17:18], 3, v[17:18]
	v_add_co_u32_e32 v17, vcc, s66, v17
	v_addc_co_u32_e32 v18, vcc, v6, v18, vcc
	s_waitcnt lgkmcnt(0)
	global_store_dwordx2 v[17:18], v[15:16], off
.LBB1019_195:                           ;   in Loop: Header=BB1019_148 Depth=2
	s_or_b64 exec, exec, s[38:39]
	s_waitcnt vmcnt(0)
	s_barrier
	s_and_saveexec_b64 s[38:39], s[4:5]
	s_cbranch_execz .LBB1019_147
; %bb.196:                              ;   in Loop: Header=BB1019_148 Depth=2
	ds_read_b32 v4, v19
	s_waitcnt lgkmcnt(0)
	v_add_u32_e32 v4, v4, v82
	ds_write_b32 v19, v4
	s_branch .LBB1019_147
.LBB1019_197:                           ;   in Loop: Header=BB1019_148 Depth=2
	ds_read_u16 v17, v32 offset:1024
	v_mov_b32_e32 v84, s53
	s_waitcnt lgkmcnt(0)
	v_lshrrev_b32_sdwa v18, s61, v17 dst_sel:DWORD dst_unused:UNUSED_PAD src0_sel:DWORD src1_sel:WORD_0
	v_and_b32_e32 v18, s62, v18
	v_lshlrev_b32_e32 v18, 2, v18
	ds_read_b32 v80, v18
	v_mov_b32_e32 v18, v3
	v_xor_b32_e32 v85, 0xffff8000, v17
	s_waitcnt lgkmcnt(0)
	v_add_u32_e32 v17, v80, v0
	v_lshlrev_b64 v[17:18], 1, v[17:18]
	v_add_co_u32_e64 v17, s[38:39], s52, v17
	v_addc_co_u32_e64 v18, s[38:39], v84, v18, s[38:39]
	global_store_short v[17:18], v85, off
	s_or_b64 exec, exec, s[40:41]
	v_cmp_lt_u32_e64 s[38:39], v20, v78
	s_and_saveexec_b64 s[42:43], s[38:39]
	s_cbranch_execz .LBB1019_178
.LBB1019_198:                           ;   in Loop: Header=BB1019_148 Depth=2
	ds_read_u16 v17, v32 offset:1536
	v_mov_b32_e32 v84, s53
	s_waitcnt lgkmcnt(0)
	v_lshrrev_b32_sdwa v18, s61, v17 dst_sel:DWORD dst_unused:UNUSED_PAD src0_sel:DWORD src1_sel:WORD_0
	v_and_b32_e32 v18, s62, v18
	v_lshlrev_b32_e32 v18, 2, v18
	ds_read_b32 v80, v18
	v_mov_b32_e32 v18, v3
	v_xor_b32_e32 v85, 0xffff8000, v17
	s_waitcnt lgkmcnt(0)
	v_add_u32_e32 v17, v80, v20
	v_lshlrev_b64 v[17:18], 1, v[17:18]
	v_add_co_u32_e64 v17, s[40:41], s52, v17
	v_addc_co_u32_e64 v18, s[40:41], v84, v18, s[40:41]
	global_store_short v[17:18], v85, off
	s_or_b64 exec, exec, s[42:43]
	v_cmp_lt_u32_e64 s[40:41], v49, v78
	s_and_saveexec_b64 s[44:45], s[40:41]
	s_cbranch_execz .LBB1019_179
.LBB1019_199:                           ;   in Loop: Header=BB1019_148 Depth=2
	ds_read_u16 v17, v32 offset:2048
	v_mov_b32_e32 v84, s53
	s_waitcnt lgkmcnt(0)
	v_lshrrev_b32_sdwa v18, s61, v17 dst_sel:DWORD dst_unused:UNUSED_PAD src0_sel:DWORD src1_sel:WORD_0
	v_and_b32_e32 v18, s62, v18
	v_lshlrev_b32_e32 v18, 2, v18
	ds_read_b32 v80, v18
	v_mov_b32_e32 v18, v3
	v_xor_b32_e32 v85, 0xffff8000, v17
	s_waitcnt lgkmcnt(0)
	v_add_u32_e32 v17, v80, v49
	v_lshlrev_b64 v[17:18], 1, v[17:18]
	v_add_co_u32_e64 v17, s[42:43], s52, v17
	v_addc_co_u32_e64 v18, s[42:43], v84, v18, s[42:43]
	global_store_short v[17:18], v85, off
	s_or_b64 exec, exec, s[44:45]
	v_cmp_lt_u32_e64 s[42:43], v50, v78
	s_and_saveexec_b64 s[54:55], s[42:43]
	s_cbranch_execnz .LBB1019_180
	s_branch .LBB1019_181
.LBB1019_200:                           ;   in Loop: Header=BB1019_148 Depth=2
	global_load_dwordx2 v[13:14], v[17:18], off
	s_or_b64 exec, exec, s[44:45]
	v_cmp_lt_u32_e64 s[44:45], v64, v78
	s_and_saveexec_b64 s[54:55], s[44:45]
	s_cbranch_execz .LBB1019_183
.LBB1019_201:                           ;   in Loop: Header=BB1019_148 Depth=2
	global_load_dwordx2 v[11:12], v[17:18], off offset:512
	s_or_b64 exec, exec, s[54:55]
	v_cmp_lt_u32_e64 s[44:45], v65, v78
	s_and_saveexec_b64 s[54:55], s[44:45]
	s_cbranch_execz .LBB1019_184
.LBB1019_202:                           ;   in Loop: Header=BB1019_148 Depth=2
	global_load_dwordx2 v[9:10], v[17:18], off offset:1024
	s_or_b64 exec, exec, s[54:55]
	v_cmp_lt_u32_e64 s[44:45], v66, v78
	s_and_saveexec_b64 s[54:55], s[44:45]
	s_cbranch_execz .LBB1019_185
.LBB1019_203:                           ;   in Loop: Header=BB1019_148 Depth=2
	global_load_dwordx2 v[7:8], v[17:18], off offset:1536
	s_or_b64 exec, exec, s[54:55]
	s_and_saveexec_b64 s[44:45], vcc
	s_cbranch_execz .LBB1019_186
.LBB1019_204:                           ;   in Loop: Header=BB1019_148 Depth=2
	ds_read_u16 v17, v32 offset:1024
	s_waitcnt lgkmcnt(0)
	v_lshrrev_b32_e32 v17, s61, v17
	v_and_b32_e32 v77, s62, v17
	s_or_b64 exec, exec, s[44:45]
	s_and_saveexec_b64 s[44:45], s[38:39]
	s_cbranch_execz .LBB1019_187
.LBB1019_205:                           ;   in Loop: Header=BB1019_148 Depth=2
	ds_read_u16 v17, v32 offset:1536
	s_waitcnt lgkmcnt(0)
	v_lshrrev_b32_e32 v17, s61, v17
	v_and_b32_e32 v76, s62, v17
	s_or_b64 exec, exec, s[44:45]
	s_and_saveexec_b64 s[44:45], s[40:41]
	s_cbranch_execz .LBB1019_188
.LBB1019_206:                           ;   in Loop: Header=BB1019_148 Depth=2
	ds_read_u16 v17, v32 offset:2048
	s_waitcnt lgkmcnt(0)
	v_lshrrev_b32_e32 v17, s61, v17
	v_and_b32_e32 v74, s62, v17
	s_or_b64 exec, exec, s[44:45]
	s_and_saveexec_b64 s[44:45], s[42:43]
	s_cbranch_execnz .LBB1019_189
	s_branch .LBB1019_190
.LBB1019_207:                           ;   in Loop: Header=BB1019_148 Depth=2
	v_lshlrev_b32_e32 v4, 2, v77
	ds_read_b32 v4, v4
	v_add_u32_e32 v6, v32, v54
	ds_read_b64 v[15:16], v6 offset:1024
	v_mov_b32_e32 v18, v3
	v_mov_b32_e32 v6, s67
	s_waitcnt lgkmcnt(1)
	v_add_u32_e32 v17, v4, v0
	v_lshlrev_b64 v[17:18], 3, v[17:18]
	v_add_co_u32_e32 v17, vcc, s66, v17
	v_addc_co_u32_e32 v18, vcc, v6, v18, vcc
	s_waitcnt lgkmcnt(0)
	global_store_dwordx2 v[17:18], v[15:16], off
	s_or_b64 exec, exec, s[44:45]
	s_and_saveexec_b64 s[44:45], s[38:39]
	s_cbranch_execz .LBB1019_192
.LBB1019_208:                           ;   in Loop: Header=BB1019_148 Depth=2
	v_lshlrev_b32_e32 v4, 2, v76
	ds_read_b32 v4, v4
	v_add_u32_e32 v6, v32, v54
	ds_read_b64 v[15:16], v6 offset:3072
	v_mov_b32_e32 v18, v3
	v_mov_b32_e32 v6, s67
	s_waitcnt lgkmcnt(1)
	v_add_u32_e32 v17, v4, v20
	v_lshlrev_b64 v[17:18], 3, v[17:18]
	v_add_co_u32_e32 v17, vcc, s66, v17
	v_addc_co_u32_e32 v18, vcc, v6, v18, vcc
	s_waitcnt lgkmcnt(0)
	global_store_dwordx2 v[17:18], v[15:16], off
	s_or_b64 exec, exec, s[44:45]
	s_and_saveexec_b64 s[38:39], s[40:41]
	s_cbranch_execz .LBB1019_193
.LBB1019_209:                           ;   in Loop: Header=BB1019_148 Depth=2
	v_lshlrev_b32_e32 v4, 2, v74
	ds_read_b32 v4, v4
	v_add_u32_e32 v6, v32, v54
	ds_read_b64 v[15:16], v6 offset:5120
	v_mov_b32_e32 v18, v3
	v_mov_b32_e32 v6, s67
	s_waitcnt lgkmcnt(1)
	v_add_u32_e32 v17, v4, v49
	v_lshlrev_b64 v[17:18], 3, v[17:18]
	v_add_co_u32_e32 v17, vcc, s66, v17
	v_addc_co_u32_e32 v18, vcc, v6, v18, vcc
	s_waitcnt lgkmcnt(0)
	global_store_dwordx2 v[17:18], v[15:16], off
	s_or_b64 exec, exec, s[38:39]
	s_and_saveexec_b64 s[38:39], s[42:43]
	s_cbranch_execnz .LBB1019_194
	s_branch .LBB1019_195
.LBB1019_210:                           ;   in Loop: Header=BB1019_148 Depth=2
	global_load_ushort v4, v[17:18], off
	v_mov_b32_e32 v16, v5
	s_waitcnt vmcnt(0)
	v_perm_b32 v15, s60, v4, v67
	s_or_b64 exec, exec, s[38:39]
	v_cmp_gt_u32_e32 vcc, s63, v64
	s_and_saveexec_b64 s[38:39], vcc
	s_cbranch_execz .LBB1019_153
.LBB1019_211:                           ;   in Loop: Header=BB1019_148 Depth=2
	global_load_ushort v4, v[17:18], off offset:128
	s_waitcnt vmcnt(0)
	v_perm_b32 v15, v4, v15, s7
	s_or_b64 exec, exec, s[38:39]
	v_cmp_gt_u32_e32 vcc, s63, v65
	s_and_saveexec_b64 s[38:39], vcc
	s_cbranch_execnz .LBB1019_154
	s_branch .LBB1019_155
.LBB1019_212:                           ;   in Loop: Header=BB1019_12 Depth=1
	s_waitcnt lgkmcnt(0)
	s_barrier
.LBB1019_213:                           ;   in Loop: Header=BB1019_12 Depth=1
	s_mov_b64 s[18:19], 0
.LBB1019_214:                           ;   in Loop: Header=BB1019_12 Depth=1
	s_andn2_b64 vcc, exec, s[18:19]
	s_cbranch_vccnz .LBB1019_11
; %bb.215:                              ;   in Loop: Header=BB1019_12 Depth=1
	s_mov_b64 s[18:19], -1
	s_and_b64 vcc, exec, s[72:73]
	s_cbranch_vccz .LBB1019_315
; %bb.216:                              ;   in Loop: Header=BB1019_12 Depth=1
	v_mov_b32_e32 v4, v3
	v_mov_b32_e32 v7, v4
	s_mov_b32 s22, s71
	s_mov_b32 s56, s74
	v_mov_b32_e32 v6, v3
	s_barrier
	s_branch .LBB1019_218
.LBB1019_217:                           ;   in Loop: Header=BB1019_218 Depth=2
	s_or_b64 exec, exec, s[18:19]
	s_addk_i32 s22, 0xfc00
	s_cmp_ge_u32 s23, s75
	s_mov_b32 s56, s23
	s_cbranch_scc1 .LBB1019_238
.LBB1019_218:                           ;   Parent Loop BB1019_12 Depth=1
                                        ; =>  This Inner Loop Header: Depth=2
	s_add_i32 s23, s56, 0x400
	s_cmp_gt_u32 s23, s75
	s_mov_b64 s[18:19], -1
                                        ; implicit-def: $vgpr8_vgpr9
	s_cbranch_scc1 .LBB1019_220
; %bb.219:                              ;   in Loop: Header=BB1019_218 Depth=2
	s_lshl_b64 s[18:19], s[56:57], 1
	v_mov_b32_e32 v4, s19
	v_add_co_u32_e32 v8, vcc, s18, v39
	v_addc_co_u32_e32 v9, vcc, v40, v4, vcc
	global_load_ushort v4, v[8:9], off
	global_load_ushort v10, v[8:9], off offset:1024
	global_load_ushort v11, v[8:9], off offset:1536
	global_load_ushort v12, v[8:9], off offset:512
	s_mov_b64 s[18:19], 0
	s_waitcnt vmcnt(1)
	v_perm_b32 v9, v11, v10, s7
	s_waitcnt vmcnt(0)
	v_perm_b32 v8, v12, v4, s7
.LBB1019_220:                           ;   in Loop: Header=BB1019_218 Depth=2
	s_andn2_b64 vcc, exec, s[18:19]
	s_movk_i32 s20, 0x400
	s_cbranch_vccnz .LBB1019_227
; %bb.221:                              ;   in Loop: Header=BB1019_218 Depth=2
	s_lshl_b64 s[18:19], s[56:57], 1
	s_add_u32 s18, s48, s18
	s_addc_u32 s19, s49, s19
	v_cmp_gt_u32_e32 vcc, s22, v0
	s_and_saveexec_b64 s[20:21], vcc
	s_cbranch_execnz .LBB1019_235
; %bb.222:                              ;   in Loop: Header=BB1019_218 Depth=2
	s_or_b64 exec, exec, s[20:21]
	v_cmp_gt_u32_e32 vcc, s22, v20
	s_and_saveexec_b64 s[20:21], vcc
	s_cbranch_execnz .LBB1019_236
.LBB1019_223:                           ;   in Loop: Header=BB1019_218 Depth=2
	s_or_b64 exec, exec, s[20:21]
	v_cmp_gt_u32_e32 vcc, s22, v49
	s_and_saveexec_b64 s[20:21], vcc
	s_cbranch_execnz .LBB1019_237
.LBB1019_224:                           ;   in Loop: Header=BB1019_218 Depth=2
	s_or_b64 exec, exec, s[20:21]
	v_cmp_gt_u32_e32 vcc, s22, v50
	s_and_saveexec_b64 s[20:21], vcc
	s_cbranch_execz .LBB1019_226
.LBB1019_225:                           ;   in Loop: Header=BB1019_218 Depth=2
	global_load_ushort v4, v58, s[18:19] offset:1536
	s_waitcnt vmcnt(0)
	v_perm_b32 v7, v4, v7, s7
.LBB1019_226:                           ;   in Loop: Header=BB1019_218 Depth=2
	s_or_b64 exec, exec, s[20:21]
	v_mov_b32_e32 v9, v7
	s_mov_b32 s20, s22
	v_mov_b32_e32 v8, v6
.LBB1019_227:                           ;   in Loop: Header=BB1019_218 Depth=2
	v_mov_b32_e32 v6, v8
	v_mov_b32_e32 v7, v9
	v_cmp_gt_u32_e32 vcc, s20, v0
	s_and_saveexec_b64 s[18:19], vcc
	s_cbranch_execnz .LBB1019_231
; %bb.228:                              ;   in Loop: Header=BB1019_218 Depth=2
	s_or_b64 exec, exec, s[18:19]
	v_cmp_gt_u32_e32 vcc, s20, v20
	s_and_saveexec_b64 s[18:19], vcc
	s_cbranch_execnz .LBB1019_232
.LBB1019_229:                           ;   in Loop: Header=BB1019_218 Depth=2
	s_or_b64 exec, exec, s[18:19]
	v_cmp_gt_u32_e32 vcc, s20, v49
	s_and_saveexec_b64 s[18:19], vcc
	s_cbranch_execnz .LBB1019_233
.LBB1019_230:                           ;   in Loop: Header=BB1019_218 Depth=2
	s_or_b64 exec, exec, s[18:19]
	v_cmp_gt_u32_e32 vcc, s20, v50
	s_and_saveexec_b64 s[18:19], vcc
	s_cbranch_execz .LBB1019_217
	s_branch .LBB1019_234
.LBB1019_231:                           ;   in Loop: Header=BB1019_218 Depth=2
	v_xor_b32_e32 v4, 0xffff8000, v6
	v_lshrrev_b32_sdwa v4, s69, v4 dst_sel:DWORD dst_unused:UNUSED_PAD src0_sel:DWORD src1_sel:WORD_0
	v_and_b32_e32 v4, s62, v4
	v_lshl_or_b32 v4, v4, 4, v23
	ds_add_u32 v4, v55
	s_or_b64 exec, exec, s[18:19]
	v_cmp_gt_u32_e32 vcc, s20, v20
	s_and_saveexec_b64 s[18:19], vcc
	s_cbranch_execz .LBB1019_229
.LBB1019_232:                           ;   in Loop: Header=BB1019_218 Depth=2
	v_xor_b32_sdwa v4, v6, s59 dst_sel:DWORD dst_unused:UNUSED_PAD src0_sel:WORD_1 src1_sel:DWORD
	v_lshrrev_b32_sdwa v4, s69, v4 dst_sel:DWORD dst_unused:UNUSED_PAD src0_sel:DWORD src1_sel:WORD_0
	v_and_b32_e32 v4, s62, v4
	v_lshl_or_b32 v4, v4, 4, v23
	ds_add_u32 v4, v55
	s_or_b64 exec, exec, s[18:19]
	v_cmp_gt_u32_e32 vcc, s20, v49
	s_and_saveexec_b64 s[18:19], vcc
	s_cbranch_execz .LBB1019_230
.LBB1019_233:                           ;   in Loop: Header=BB1019_218 Depth=2
	v_xor_b32_e32 v4, 0xffff8000, v7
	v_lshrrev_b32_sdwa v4, s69, v4 dst_sel:DWORD dst_unused:UNUSED_PAD src0_sel:DWORD src1_sel:WORD_0
	v_and_b32_e32 v4, s62, v4
	v_lshl_or_b32 v4, v4, 4, v23
	ds_add_u32 v4, v55
	s_or_b64 exec, exec, s[18:19]
	v_cmp_gt_u32_e32 vcc, s20, v50
	s_and_saveexec_b64 s[18:19], vcc
	s_cbranch_execz .LBB1019_217
.LBB1019_234:                           ;   in Loop: Header=BB1019_218 Depth=2
	v_xor_b32_sdwa v4, v7, s59 dst_sel:DWORD dst_unused:UNUSED_PAD src0_sel:WORD_1 src1_sel:DWORD
	v_lshrrev_b32_sdwa v4, s69, v4 dst_sel:DWORD dst_unused:UNUSED_PAD src0_sel:DWORD src1_sel:WORD_0
	v_and_b32_e32 v4, s62, v4
	v_lshl_or_b32 v4, v4, 4, v23
	ds_add_u32 v4, v55
	s_branch .LBB1019_217
.LBB1019_235:                           ;   in Loop: Header=BB1019_218 Depth=2
	global_load_ushort v4, v58, s[18:19]
	s_waitcnt vmcnt(0)
	v_bfi_b32 v6, s58, v4, v6
	s_or_b64 exec, exec, s[20:21]
	v_cmp_gt_u32_e32 vcc, s22, v20
	s_and_saveexec_b64 s[20:21], vcc
	s_cbranch_execz .LBB1019_223
.LBB1019_236:                           ;   in Loop: Header=BB1019_218 Depth=2
	global_load_ushort v4, v58, s[18:19] offset:512
	s_waitcnt vmcnt(0)
	v_perm_b32 v6, v4, v6, s7
	s_or_b64 exec, exec, s[20:21]
	v_cmp_gt_u32_e32 vcc, s22, v49
	s_and_saveexec_b64 s[20:21], vcc
	s_cbranch_execz .LBB1019_224
.LBB1019_237:                           ;   in Loop: Header=BB1019_218 Depth=2
	global_load_ushort v4, v58, s[18:19] offset:1024
	s_waitcnt vmcnt(0)
	v_bfi_b32 v7, s58, v4, v7
	s_or_b64 exec, exec, s[20:21]
	v_cmp_gt_u32_e32 vcc, s22, v50
	s_and_saveexec_b64 s[20:21], vcc
	s_cbranch_execnz .LBB1019_225
	s_branch .LBB1019_226
.LBB1019_238:                           ;   in Loop: Header=BB1019_12 Depth=1
	v_mov_b32_e32 v4, 0
	s_waitcnt lgkmcnt(0)
	s_barrier
	s_and_saveexec_b64 s[18:19], s[4:5]
	s_cbranch_execz .LBB1019_240
; %bb.239:                              ;   in Loop: Header=BB1019_12 Depth=1
	ds_read2_b64 v[6:9], v24 offset1:1
	s_waitcnt lgkmcnt(0)
	v_add_u32_e32 v4, v7, v6
	v_add3_u32 v4, v4, v8, v9
.LBB1019_240:                           ;   in Loop: Header=BB1019_12 Depth=1
	s_or_b64 exec, exec, s[18:19]
	s_nop 0
	v_mov_b32_dpp v6, v4 row_shr:1 row_mask:0xf bank_mask:0xf
	v_cmp_eq_u32_e64 s[18:19], 0, v59
	v_cndmask_b32_e64 v6, v6, 0, s[18:19]
	v_add_u32_e32 v4, v6, v4
	v_cmp_lt_u32_e64 s[20:21], 1, v59
	v_cmp_lt_u32_e64 s[22:23], 3, v59
	v_mov_b32_dpp v6, v4 row_shr:2 row_mask:0xf bank_mask:0xf
	v_cndmask_b32_e64 v6, 0, v6, s[20:21]
	v_add_u32_e32 v4, v4, v6
	v_cmp_lt_u32_e64 s[24:25], 7, v59
	v_cmp_lt_u32_e64 s[28:29], 31, v45
	v_mov_b32_dpp v6, v4 row_shr:4 row_mask:0xf bank_mask:0xf
	v_cndmask_b32_e64 v6, 0, v6, s[22:23]
	v_add_u32_e32 v4, v4, v6
	v_cmp_eq_u32_e64 s[26:27], 0, v61
	s_nop 0
	v_mov_b32_dpp v6, v4 row_shr:8 row_mask:0xf bank_mask:0xf
	v_cndmask_b32_e64 v6, 0, v6, s[24:25]
	v_add_u32_e32 v4, v4, v6
	s_nop 1
	v_mov_b32_dpp v6, v4 row_bcast:15 row_mask:0xf bank_mask:0xf
	v_and_b32_e32 v6, v60, v6
	v_add_u32_e32 v4, v4, v6
	s_nop 1
	v_mov_b32_dpp v6, v4 row_bcast:31 row_mask:0xf bank_mask:0xf
	v_cndmask_b32_e64 v6, 0, v6, s[28:29]
	v_add_u32_e32 v4, v4, v6
	s_and_saveexec_b64 s[30:31], s[8:9]
; %bb.241:                              ;   in Loop: Header=BB1019_12 Depth=1
	ds_write_b32 v51, v4
; %bb.242:                              ;   in Loop: Header=BB1019_12 Depth=1
	s_or_b64 exec, exec, s[30:31]
	s_waitcnt lgkmcnt(0)
	s_barrier
	s_and_saveexec_b64 s[30:31], s[10:11]
	s_cbranch_execz .LBB1019_244
; %bb.243:                              ;   in Loop: Header=BB1019_12 Depth=1
	ds_read_b32 v6, v52
	v_cmp_ne_u32_e32 vcc, 0, v62
	s_waitcnt lgkmcnt(0)
	v_mov_b32_dpp v7, v6 row_shr:1 row_mask:0xf bank_mask:0xf
	v_cndmask_b32_e32 v7, 0, v7, vcc
	v_add_u32_e32 v6, v7, v6
	v_cmp_lt_u32_e32 vcc, 1, v62
	s_nop 0
	v_mov_b32_dpp v7, v6 row_shr:2 row_mask:0xf bank_mask:0xf
	v_cndmask_b32_e32 v7, 0, v7, vcc
	v_add_u32_e32 v6, v6, v7
	ds_write_b32 v52, v6
.LBB1019_244:                           ;   in Loop: Header=BB1019_12 Depth=1
	s_or_b64 exec, exec, s[30:31]
	v_mov_b32_e32 v6, 0
	s_waitcnt lgkmcnt(0)
	s_barrier
	s_and_saveexec_b64 s[30:31], s[12:13]
; %bb.245:                              ;   in Loop: Header=BB1019_12 Depth=1
	ds_read_b32 v6, v53
; %bb.246:                              ;   in Loop: Header=BB1019_12 Depth=1
	s_or_b64 exec, exec, s[30:31]
	v_subrev_co_u32_e64 v7, s[30:31], 1, v45
	v_cmp_lt_i32_e32 vcc, v7, v63
	v_cndmask_b32_e32 v7, v7, v45, vcc
	s_waitcnt lgkmcnt(0)
	v_add_u32_e32 v4, v6, v4
	v_lshlrev_b32_e32 v68, 2, v7
	ds_bpermute_b32 v4, v68, v4
	s_waitcnt lgkmcnt(0)
	s_barrier
	s_and_saveexec_b64 s[34:35], s[4:5]
; %bb.247:                              ;   in Loop: Header=BB1019_12 Depth=1
	v_cndmask_b32_e64 v4, v4, v6, s[30:31]
	v_add_u32_e32 v4, s74, v4
	ds_write_b32 v19, v4
; %bb.248:                              ;   in Loop: Header=BB1019_12 Depth=1
	s_or_b64 exec, exec, s[34:35]
	s_load_dwordx2 s[34:35], s[46:47], 0x0
	v_add_co_u32_e32 v69, vcc, v41, v46
	v_addc_co_u32_e32 v70, vcc, 0, v42, vcc
	s_waitcnt lgkmcnt(0)
	s_cmp_lt_u32 s33, s35
	s_cselect_b32 s35, 14, 20
	s_add_u32 s36, s46, s35
	s_addc_u32 s37, s47, 0
	s_cmp_lt_u32 s6, s34
	s_cselect_b32 s34, 12, 18
	s_add_u32 s34, s46, s34
	global_load_ushort v4, v3, s[36:37]
	s_addc_u32 s35, s47, 0
	global_load_ushort v6, v3, s[34:35]
	v_add_co_u32_e32 v71, vcc, v43, v48
	v_cmp_eq_u32_e64 s[34:35], 0, v62
	v_cmp_lt_u32_e64 s[36:37], 1, v62
	v_addc_co_u32_e32 v72, vcc, 0, v44, vcc
	s_mov_b32 s63, s71
	s_mov_b32 s56, s74
                                        ; implicit-def: $vgpr9_vgpr10
                                        ; implicit-def: $vgpr11_vgpr12
                                        ; implicit-def: $vgpr13_vgpr14
                                        ; implicit-def: $vgpr73
                                        ; implicit-def: $vgpr74
                                        ; implicit-def: $vgpr76
                                        ; implicit-def: $vgpr77
	s_waitcnt vmcnt(1)
	v_mad_u32_u24 v4, v2, v4, v1
	s_waitcnt vmcnt(0)
	v_mad_u64_u32 v[6:7], s[38:39], v4, v6, v[0:1]
                                        ; implicit-def: $vgpr7_vgpr8
	v_lshrrev_b32_e32 v4, 4, v6
	v_and_b32_e32 v75, 0xffffffc, v4
	s_branch .LBB1019_250
.LBB1019_249:                           ;   in Loop: Header=BB1019_250 Depth=2
	s_or_b64 exec, exec, s[38:39]
	s_addk_i32 s63, 0xfc00
	s_cmp_lt_u32 s68, s75
	s_mov_b32 s56, s68
	s_cbranch_scc0 .LBB1019_314
.LBB1019_250:                           ;   Parent Loop BB1019_12 Depth=1
                                        ; =>  This Inner Loop Header: Depth=2
	s_add_i32 s68, s56, 0x400
	s_cmp_gt_u32 s68, s75
	s_cbranch_scc1 .LBB1019_252
; %bb.251:                              ;   in Loop: Header=BB1019_250 Depth=2
	s_lshl_b64 s[38:39], s[56:57], 1
	v_mov_b32_e32 v4, s39
	v_add_co_u32_e32 v15, vcc, s38, v71
	v_addc_co_u32_e32 v16, vcc, v72, v4, vcc
	global_load_ushort v4, v[15:16], off
	global_load_ushort v6, v[15:16], off offset:128
	s_nop 0
	global_load_ushort v16, v[15:16], off offset:256
	s_mov_b64 s[38:39], -1
	s_waitcnt vmcnt(1)
	v_perm_b32 v15, v6, v4, s7
	s_movk_i32 s42, 0x400
	s_cbranch_execz .LBB1019_253
	s_branch .LBB1019_258
.LBB1019_252:                           ;   in Loop: Header=BB1019_250 Depth=2
	s_mov_b64 s[38:39], 0
                                        ; implicit-def: $vgpr15_vgpr16
	s_movk_i32 s42, 0x400
.LBB1019_253:                           ;   in Loop: Header=BB1019_250 Depth=2
	s_lshl_b64 s[38:39], s[56:57], 1
	v_mov_b32_e32 v4, s39
	v_add_co_u32_e32 v17, vcc, s38, v71
	v_mov_b32_e32 v6, v5
	v_addc_co_u32_e32 v18, vcc, v72, v4, vcc
	s_waitcnt vmcnt(0)
	v_mov_b32_e32 v16, v6
	v_cmp_gt_u32_e32 vcc, s63, v47
	v_mov_b32_e32 v15, v5
	s_and_saveexec_b64 s[38:39], vcc
	s_cbranch_execnz .LBB1019_312
; %bb.254:                              ;   in Loop: Header=BB1019_250 Depth=2
	s_or_b64 exec, exec, s[38:39]
	v_cmp_gt_u32_e32 vcc, s63, v64
	s_and_saveexec_b64 s[38:39], vcc
	s_cbranch_execnz .LBB1019_313
.LBB1019_255:                           ;   in Loop: Header=BB1019_250 Depth=2
	s_or_b64 exec, exec, s[38:39]
	v_cmp_gt_u32_e32 vcc, s63, v65
	s_and_saveexec_b64 s[38:39], vcc
	s_cbranch_execz .LBB1019_257
.LBB1019_256:                           ;   in Loop: Header=BB1019_250 Depth=2
	global_load_ushort v4, v[17:18], off offset:256
	s_waitcnt vmcnt(0)
	v_bfi_b32 v16, s58, v4, v16
.LBB1019_257:                           ;   in Loop: Header=BB1019_250 Depth=2
	s_or_b64 exec, exec, s[38:39]
	s_sub_i32 s42, s75, s56
	v_cmp_gt_u32_e64 s[38:39], s63, v66
.LBB1019_258:                           ;   in Loop: Header=BB1019_250 Depth=2
	v_mov_b32_e32 v78, s63
	s_and_saveexec_b64 s[40:41], s[38:39]
	s_cbranch_execz .LBB1019_260
; %bb.259:                              ;   in Loop: Header=BB1019_250 Depth=2
	s_lshl_b64 s[38:39], s[56:57], 1
	v_mov_b32_e32 v4, s39
	v_add_co_u32_e32 v17, vcc, s38, v71
	v_addc_co_u32_e32 v18, vcc, v72, v4, vcc
	global_load_ushort v4, v[17:18], off offset:384
	v_mov_b32_e32 v78, s42
	s_waitcnt vmcnt(0)
	v_perm_b32 v16, v4, v16, s7
.LBB1019_260:                           ;   in Loop: Header=BB1019_250 Depth=2
	s_or_b64 exec, exec, s[40:41]
	v_xor_b32_e32 v6, 0xffff8000, v15
	v_lshrrev_b32_sdwa v4, s69, v6 dst_sel:DWORD dst_unused:UNUSED_PAD src0_sel:DWORD src1_sel:WORD_0
	v_and_b32_e32 v17, s62, v4
	v_and_b32_e32 v4, 1, v17
	v_add_co_u32_e32 v18, vcc, -1, v4
	v_addc_co_u32_e64 v79, s[38:39], 0, -1, vcc
	v_cmp_ne_u32_e32 vcc, 0, v4
	v_xor_b32_e32 v4, vcc_hi, v79
	v_and_b32_e32 v79, exec_hi, v4
	v_lshlrev_b32_e32 v4, 30, v17
	v_xor_b32_e32 v18, vcc_lo, v18
	v_cmp_gt_i64_e32 vcc, 0, v[3:4]
	v_not_b32_e32 v4, v4
	v_ashrrev_i32_e32 v4, 31, v4
	v_and_b32_e32 v18, exec_lo, v18
	v_xor_b32_e32 v81, vcc_hi, v4
	v_xor_b32_e32 v4, vcc_lo, v4
	v_and_b32_e32 v18, v18, v4
	v_lshlrev_b32_e32 v4, 29, v17
	v_cmp_gt_i64_e32 vcc, 0, v[3:4]
	v_not_b32_e32 v4, v4
	v_ashrrev_i32_e32 v4, 31, v4
	v_and_b32_e32 v79, v79, v81
	v_xor_b32_e32 v81, vcc_hi, v4
	v_xor_b32_e32 v4, vcc_lo, v4
	v_and_b32_e32 v18, v18, v4
	v_lshlrev_b32_e32 v4, 28, v17
	v_cmp_gt_i64_e32 vcc, 0, v[3:4]
	v_not_b32_e32 v4, v4
	v_ashrrev_i32_e32 v4, 31, v4
	v_and_b32_e32 v79, v79, v81
	;; [unrolled: 8-line block ×5, first 2 shown]
	v_xor_b32_e32 v81, vcc_hi, v4
	v_xor_b32_e32 v4, vcc_lo, v4
	v_and_b32_e32 v79, v79, v81
	v_and_b32_e32 v81, v18, v4
	v_lshlrev_b32_e32 v4, 24, v17
	v_cmp_gt_i64_e32 vcc, 0, v[3:4]
	v_not_b32_e32 v4, v4
	v_ashrrev_i32_e32 v4, 31, v4
	v_mul_u32_u24_e32 v80, 20, v17
	v_xor_b32_e32 v17, vcc_hi, v4
	v_xor_b32_e32 v4, vcc_lo, v4
	v_and_b32_e32 v18, v79, v17
	v_and_b32_e32 v17, v81, v4
	v_mbcnt_lo_u32_b32 v4, v17, 0
	v_mbcnt_hi_u32_b32 v79, v18, v4
	v_cmp_ne_u64_e32 vcc, 0, v[17:18]
	v_cmp_eq_u32_e64 s[38:39], 0, v79
	s_and_b64 s[40:41], vcc, s[38:39]
	v_add_u32_e32 v82, v75, v80
	ds_write2_b32 v56, v3, v3 offset1:1
	ds_write2_b32 v57, v3, v3 offset1:1
	ds_write_b32 v26, v3 offset:1056
	s_waitcnt vmcnt(0) lgkmcnt(0)
	s_barrier
	; wave barrier
	s_and_saveexec_b64 s[38:39], s[40:41]
; %bb.261:                              ;   in Loop: Header=BB1019_250 Depth=2
	v_bcnt_u32_b32 v4, v17, 0
	v_bcnt_u32_b32 v4, v18, v4
	ds_write_b32 v82, v4 offset:1040
; %bb.262:                              ;   in Loop: Header=BB1019_250 Depth=2
	s_or_b64 exec, exec, s[38:39]
	v_xor_b32_sdwa v80, v15, s59 dst_sel:DWORD dst_unused:UNUSED_PAD src0_sel:WORD_1 src1_sel:DWORD
	v_lshrrev_b32_sdwa v4, s69, v80 dst_sel:DWORD dst_unused:UNUSED_PAD src0_sel:DWORD src1_sel:WORD_0
	v_and_b32_e32 v15, s62, v4
	v_mad_u32_u24 v4, v15, 20, v75
	; wave barrier
	ds_read_b32 v81, v4 offset:1040
	v_and_b32_e32 v4, 1, v15
	v_add_co_u32_e32 v17, vcc, -1, v4
	v_addc_co_u32_e64 v18, s[38:39], 0, -1, vcc
	v_cmp_ne_u32_e32 vcc, 0, v4
	v_xor_b32_e32 v4, vcc_hi, v18
	v_and_b32_e32 v18, exec_hi, v4
	v_lshlrev_b32_e32 v4, 30, v15
	v_xor_b32_e32 v17, vcc_lo, v17
	v_cmp_gt_i64_e32 vcc, 0, v[3:4]
	v_not_b32_e32 v4, v4
	v_ashrrev_i32_e32 v4, 31, v4
	v_and_b32_e32 v17, exec_lo, v17
	v_xor_b32_e32 v83, vcc_hi, v4
	v_xor_b32_e32 v4, vcc_lo, v4
	v_and_b32_e32 v17, v17, v4
	v_lshlrev_b32_e32 v4, 29, v15
	v_cmp_gt_i64_e32 vcc, 0, v[3:4]
	v_not_b32_e32 v4, v4
	v_ashrrev_i32_e32 v4, 31, v4
	v_and_b32_e32 v18, v18, v83
	v_xor_b32_e32 v83, vcc_hi, v4
	v_xor_b32_e32 v4, vcc_lo, v4
	v_and_b32_e32 v17, v17, v4
	v_lshlrev_b32_e32 v4, 28, v15
	v_cmp_gt_i64_e32 vcc, 0, v[3:4]
	v_not_b32_e32 v4, v4
	v_ashrrev_i32_e32 v4, 31, v4
	v_and_b32_e32 v18, v18, v83
	;; [unrolled: 8-line block ×5, first 2 shown]
	v_xor_b32_e32 v83, vcc_hi, v4
	v_xor_b32_e32 v4, vcc_lo, v4
	v_and_b32_e32 v17, v17, v4
	v_lshlrev_b32_e32 v4, 24, v15
	v_cmp_gt_i64_e32 vcc, 0, v[3:4]
	v_not_b32_e32 v4, v4
	v_ashrrev_i32_e32 v4, 31, v4
	v_mul_u32_u24_e32 v84, 20, v15
	v_xor_b32_e32 v15, vcc_hi, v4
	v_xor_b32_e32 v4, vcc_lo, v4
	v_and_b32_e32 v18, v18, v83
	v_and_b32_e32 v17, v17, v4
	;; [unrolled: 1-line block ×3, first 2 shown]
	v_mbcnt_lo_u32_b32 v4, v17, 0
	v_mbcnt_hi_u32_b32 v83, v18, v4
	v_cmp_ne_u64_e32 vcc, 0, v[17:18]
	v_cmp_eq_u32_e64 s[38:39], 0, v83
	s_and_b64 s[40:41], vcc, s[38:39]
	v_add_u32_e32 v86, v75, v84
	; wave barrier
	s_and_saveexec_b64 s[38:39], s[40:41]
	s_cbranch_execz .LBB1019_264
; %bb.263:                              ;   in Loop: Header=BB1019_250 Depth=2
	v_bcnt_u32_b32 v4, v17, 0
	v_bcnt_u32_b32 v4, v18, v4
	s_waitcnt lgkmcnt(0)
	v_add_u32_e32 v4, v81, v4
	ds_write_b32 v86, v4 offset:1040
.LBB1019_264:                           ;   in Loop: Header=BB1019_250 Depth=2
	s_or_b64 exec, exec, s[38:39]
	v_xor_b32_e32 v84, 0xffff8000, v16
	v_lshrrev_b32_sdwa v4, s69, v84 dst_sel:DWORD dst_unused:UNUSED_PAD src0_sel:DWORD src1_sel:WORD_0
	v_and_b32_e32 v15, s62, v4
	v_mad_u32_u24 v4, v15, 20, v75
	; wave barrier
	ds_read_b32 v85, v4 offset:1040
	v_and_b32_e32 v4, 1, v15
	v_add_co_u32_e32 v17, vcc, -1, v4
	v_addc_co_u32_e64 v18, s[38:39], 0, -1, vcc
	v_cmp_ne_u32_e32 vcc, 0, v4
	v_xor_b32_e32 v4, vcc_hi, v18
	v_and_b32_e32 v18, exec_hi, v4
	v_lshlrev_b32_e32 v4, 30, v15
	v_xor_b32_e32 v17, vcc_lo, v17
	v_cmp_gt_i64_e32 vcc, 0, v[3:4]
	v_not_b32_e32 v4, v4
	v_ashrrev_i32_e32 v4, 31, v4
	v_and_b32_e32 v17, exec_lo, v17
	v_xor_b32_e32 v87, vcc_hi, v4
	v_xor_b32_e32 v4, vcc_lo, v4
	v_and_b32_e32 v17, v17, v4
	v_lshlrev_b32_e32 v4, 29, v15
	v_cmp_gt_i64_e32 vcc, 0, v[3:4]
	v_not_b32_e32 v4, v4
	v_ashrrev_i32_e32 v4, 31, v4
	v_and_b32_e32 v18, v18, v87
	v_xor_b32_e32 v87, vcc_hi, v4
	v_xor_b32_e32 v4, vcc_lo, v4
	v_and_b32_e32 v17, v17, v4
	v_lshlrev_b32_e32 v4, 28, v15
	v_cmp_gt_i64_e32 vcc, 0, v[3:4]
	v_not_b32_e32 v4, v4
	v_ashrrev_i32_e32 v4, 31, v4
	v_and_b32_e32 v18, v18, v87
	;; [unrolled: 8-line block ×5, first 2 shown]
	v_xor_b32_e32 v87, vcc_hi, v4
	v_xor_b32_e32 v4, vcc_lo, v4
	v_and_b32_e32 v17, v17, v4
	v_lshlrev_b32_e32 v4, 24, v15
	v_cmp_gt_i64_e32 vcc, 0, v[3:4]
	v_not_b32_e32 v4, v4
	v_ashrrev_i32_e32 v4, 31, v4
	v_mul_u32_u24_e32 v88, 20, v15
	v_xor_b32_e32 v15, vcc_hi, v4
	v_xor_b32_e32 v4, vcc_lo, v4
	v_and_b32_e32 v18, v18, v87
	v_and_b32_e32 v17, v17, v4
	;; [unrolled: 1-line block ×3, first 2 shown]
	v_mbcnt_lo_u32_b32 v4, v17, 0
	v_mbcnt_hi_u32_b32 v87, v18, v4
	v_cmp_ne_u64_e32 vcc, 0, v[17:18]
	v_cmp_eq_u32_e64 s[38:39], 0, v87
	s_and_b64 s[40:41], vcc, s[38:39]
	v_add_u32_e32 v90, v75, v88
	; wave barrier
	s_and_saveexec_b64 s[38:39], s[40:41]
	s_cbranch_execz .LBB1019_266
; %bb.265:                              ;   in Loop: Header=BB1019_250 Depth=2
	v_bcnt_u32_b32 v4, v17, 0
	v_bcnt_u32_b32 v4, v18, v4
	s_waitcnt lgkmcnt(0)
	v_add_u32_e32 v4, v85, v4
	ds_write_b32 v90, v4 offset:1040
.LBB1019_266:                           ;   in Loop: Header=BB1019_250 Depth=2
	s_or_b64 exec, exec, s[38:39]
	v_xor_b32_sdwa v88, v16, s59 dst_sel:DWORD dst_unused:UNUSED_PAD src0_sel:WORD_1 src1_sel:DWORD
	v_lshrrev_b32_sdwa v4, s69, v88 dst_sel:DWORD dst_unused:UNUSED_PAD src0_sel:DWORD src1_sel:WORD_0
	v_and_b32_e32 v15, s62, v4
	v_mad_u32_u24 v4, v15, 20, v75
	; wave barrier
	ds_read_b32 v89, v4 offset:1040
	v_and_b32_e32 v4, 1, v15
	v_add_co_u32_e32 v16, vcc, -1, v4
	v_addc_co_u32_e64 v18, s[38:39], 0, -1, vcc
	v_cmp_ne_u32_e32 vcc, 0, v4
	v_xor_b32_e32 v4, vcc_hi, v18
	v_and_b32_e32 v18, exec_hi, v4
	v_lshlrev_b32_e32 v4, 30, v15
	v_xor_b32_e32 v16, vcc_lo, v16
	v_cmp_gt_i64_e32 vcc, 0, v[3:4]
	v_not_b32_e32 v4, v4
	v_ashrrev_i32_e32 v4, 31, v4
	v_and_b32_e32 v16, exec_lo, v16
	v_xor_b32_e32 v91, vcc_hi, v4
	v_xor_b32_e32 v4, vcc_lo, v4
	v_and_b32_e32 v16, v16, v4
	v_lshlrev_b32_e32 v4, 29, v15
	v_cmp_gt_i64_e32 vcc, 0, v[3:4]
	v_not_b32_e32 v4, v4
	v_ashrrev_i32_e32 v4, 31, v4
	v_and_b32_e32 v18, v18, v91
	v_xor_b32_e32 v91, vcc_hi, v4
	v_xor_b32_e32 v4, vcc_lo, v4
	v_and_b32_e32 v16, v16, v4
	v_lshlrev_b32_e32 v4, 28, v15
	v_cmp_gt_i64_e32 vcc, 0, v[3:4]
	v_not_b32_e32 v4, v4
	v_ashrrev_i32_e32 v4, 31, v4
	v_and_b32_e32 v18, v18, v91
	v_xor_b32_e32 v91, vcc_hi, v4
	v_xor_b32_e32 v4, vcc_lo, v4
	v_and_b32_e32 v16, v16, v4
	v_lshlrev_b32_e32 v4, 27, v15
	v_cmp_gt_i64_e32 vcc, 0, v[3:4]
	v_not_b32_e32 v4, v4
	v_ashrrev_i32_e32 v4, 31, v4
	v_and_b32_e32 v18, v18, v91
	v_xor_b32_e32 v91, vcc_hi, v4
	v_xor_b32_e32 v4, vcc_lo, v4
	v_and_b32_e32 v16, v16, v4
	v_lshlrev_b32_e32 v4, 26, v15
	v_cmp_gt_i64_e32 vcc, 0, v[3:4]
	v_not_b32_e32 v4, v4
	v_ashrrev_i32_e32 v4, 31, v4
	v_and_b32_e32 v18, v18, v91
	v_xor_b32_e32 v91, vcc_hi, v4
	v_xor_b32_e32 v4, vcc_lo, v4
	v_and_b32_e32 v16, v16, v4
	v_lshlrev_b32_e32 v4, 25, v15
	v_cmp_gt_i64_e32 vcc, 0, v[3:4]
	v_not_b32_e32 v4, v4
	v_ashrrev_i32_e32 v4, 31, v4
	v_and_b32_e32 v18, v18, v91
	v_xor_b32_e32 v91, vcc_hi, v4
	v_xor_b32_e32 v4, vcc_lo, v4
	v_and_b32_e32 v18, v18, v91
	v_and_b32_e32 v91, v16, v4
	v_lshlrev_b32_e32 v4, 24, v15
	v_cmp_gt_i64_e32 vcc, 0, v[3:4]
	v_not_b32_e32 v4, v4
	v_ashrrev_i32_e32 v4, 31, v4
	v_mul_u32_u24_e32 v17, 20, v15
	v_xor_b32_e32 v15, vcc_hi, v4
	v_xor_b32_e32 v4, vcc_lo, v4
	v_and_b32_e32 v16, v18, v15
	v_and_b32_e32 v15, v91, v4
	v_mbcnt_lo_u32_b32 v4, v15, 0
	v_mbcnt_hi_u32_b32 v4, v16, v4
	v_cmp_ne_u64_e32 vcc, 0, v[15:16]
	v_cmp_eq_u32_e64 s[38:39], 0, v4
	s_and_b64 s[40:41], vcc, s[38:39]
	v_add_u32_e32 v91, v75, v17
	; wave barrier
	s_and_saveexec_b64 s[38:39], s[40:41]
	s_cbranch_execz .LBB1019_268
; %bb.267:                              ;   in Loop: Header=BB1019_250 Depth=2
	v_bcnt_u32_b32 v15, v15, 0
	v_bcnt_u32_b32 v15, v16, v15
	s_waitcnt lgkmcnt(0)
	v_add_u32_e32 v15, v89, v15
	ds_write_b32 v91, v15 offset:1040
.LBB1019_268:                           ;   in Loop: Header=BB1019_250 Depth=2
	s_or_b64 exec, exec, s[38:39]
	; wave barrier
	s_waitcnt lgkmcnt(0)
	s_barrier
	ds_read2_b32 v[17:18], v56 offset1:1
	ds_read2_b32 v[15:16], v57 offset1:1
	ds_read_b32 v92, v26 offset:1056
	s_waitcnt lgkmcnt(1)
	v_add3_u32 v93, v18, v17, v15
	s_waitcnt lgkmcnt(0)
	v_add3_u32 v92, v93, v16, v92
	s_nop 1
	v_mov_b32_dpp v93, v92 row_shr:1 row_mask:0xf bank_mask:0xf
	v_cndmask_b32_e64 v93, v93, 0, s[18:19]
	v_add_u32_e32 v92, v93, v92
	s_nop 1
	v_mov_b32_dpp v93, v92 row_shr:2 row_mask:0xf bank_mask:0xf
	v_cndmask_b32_e64 v93, 0, v93, s[20:21]
	v_add_u32_e32 v92, v92, v93
	;; [unrolled: 4-line block ×4, first 2 shown]
	s_nop 1
	v_mov_b32_dpp v93, v92 row_bcast:15 row_mask:0xf bank_mask:0xf
	v_cndmask_b32_e64 v93, v93, 0, s[26:27]
	v_add_u32_e32 v92, v92, v93
	s_nop 1
	v_mov_b32_dpp v93, v92 row_bcast:31 row_mask:0xf bank_mask:0xf
	v_cndmask_b32_e64 v93, 0, v93, s[28:29]
	v_add_u32_e32 v92, v92, v93
	s_and_saveexec_b64 s[38:39], s[8:9]
; %bb.269:                              ;   in Loop: Header=BB1019_250 Depth=2
	ds_write_b32 v25, v92 offset:1024
; %bb.270:                              ;   in Loop: Header=BB1019_250 Depth=2
	s_or_b64 exec, exec, s[38:39]
	s_waitcnt lgkmcnt(0)
	s_barrier
	s_and_saveexec_b64 s[38:39], s[10:11]
	s_cbranch_execz .LBB1019_272
; %bb.271:                              ;   in Loop: Header=BB1019_250 Depth=2
	ds_read_b32 v93, v27 offset:1024
	s_waitcnt lgkmcnt(0)
	s_nop 0
	v_mov_b32_dpp v94, v93 row_shr:1 row_mask:0xf bank_mask:0xf
	v_cndmask_b32_e64 v94, v94, 0, s[34:35]
	v_add_u32_e32 v93, v94, v93
	s_nop 1
	v_mov_b32_dpp v94, v93 row_shr:2 row_mask:0xf bank_mask:0xf
	v_cndmask_b32_e64 v94, 0, v94, s[36:37]
	v_add_u32_e32 v93, v93, v94
	ds_write_b32 v27, v93 offset:1024
.LBB1019_272:                           ;   in Loop: Header=BB1019_250 Depth=2
	s_or_b64 exec, exec, s[38:39]
	v_mov_b32_e32 v93, 0
	s_waitcnt lgkmcnt(0)
	s_barrier
	s_and_saveexec_b64 s[38:39], s[12:13]
; %bb.273:                              ;   in Loop: Header=BB1019_250 Depth=2
	ds_read_b32 v93, v25 offset:1020
; %bb.274:                              ;   in Loop: Header=BB1019_250 Depth=2
	s_or_b64 exec, exec, s[38:39]
	s_waitcnt lgkmcnt(0)
	v_add_u32_e32 v92, v93, v92
	ds_bpermute_b32 v92, v68, v92
	s_waitcnt lgkmcnt(0)
	v_cndmask_b32_e64 v92, v92, v93, s[30:31]
	v_cndmask_b32_e64 v92, v92, 0, s[14:15]
	v_add_u32_e32 v17, v92, v17
	v_add_u32_e32 v18, v17, v18
	;; [unrolled: 1-line block ×4, first 2 shown]
	ds_write2_b32 v56, v92, v17 offset1:1
	ds_write2_b32 v57, v18, v15 offset1:1
	ds_write_b32 v26, v16 offset:1056
	s_waitcnt lgkmcnt(0)
	s_barrier
	ds_read_b32 v15, v82 offset:1040
	ds_read_b32 v16, v86 offset:1040
	;; [unrolled: 1-line block ×5, first 2 shown]
	v_mov_b32_e32 v82, 0x400
	s_and_saveexec_b64 s[38:39], s[16:17]
; %bb.275:                              ;   in Loop: Header=BB1019_250 Depth=2
	ds_read_b32 v82, v26 offset:1060
; %bb.276:                              ;   in Loop: Header=BB1019_250 Depth=2
	s_or_b64 exec, exec, s[38:39]
	s_waitcnt lgkmcnt(0)
	s_barrier
	s_and_saveexec_b64 s[38:39], s[4:5]
	s_cbranch_execz .LBB1019_278
; %bb.277:                              ;   in Loop: Header=BB1019_250 Depth=2
	ds_read_b32 v90, v19
	s_waitcnt lgkmcnt(0)
	v_sub_u32_e32 v86, v90, v86
	ds_write_b32 v19, v86
.LBB1019_278:                           ;   in Loop: Header=BB1019_250 Depth=2
	s_or_b64 exec, exec, s[38:39]
	v_add_u32_e32 v86, v15, v79
	v_add3_u32 v83, v83, v81, v16
	v_add3_u32 v81, v87, v85, v17
	;; [unrolled: 1-line block ×3, first 2 shown]
	v_lshlrev_b32_e32 v16, 1, v86
	ds_write_b16 v16, v6 offset:1024
	v_lshlrev_b32_e32 v15, 1, v83
	v_lshlrev_b32_e32 v6, 1, v81
	;; [unrolled: 1-line block ×3, first 2 shown]
	v_cmp_lt_u32_e32 vcc, v0, v78
	ds_write_b16 v15, v80 offset:1024
	ds_write_b16 v6, v84 offset:1024
	ds_write_b16 v4, v88 offset:1024
	s_waitcnt lgkmcnt(0)
	s_barrier
	s_and_saveexec_b64 s[40:41], vcc
	s_cbranch_execnz .LBB1019_299
; %bb.279:                              ;   in Loop: Header=BB1019_250 Depth=2
	s_or_b64 exec, exec, s[40:41]
	v_cmp_lt_u32_e64 s[38:39], v20, v78
	s_and_saveexec_b64 s[42:43], s[38:39]
	s_cbranch_execnz .LBB1019_300
.LBB1019_280:                           ;   in Loop: Header=BB1019_250 Depth=2
	s_or_b64 exec, exec, s[42:43]
	v_cmp_lt_u32_e64 s[40:41], v49, v78
	s_and_saveexec_b64 s[44:45], s[40:41]
	s_cbranch_execnz .LBB1019_301
.LBB1019_281:                           ;   in Loop: Header=BB1019_250 Depth=2
	s_or_b64 exec, exec, s[44:45]
	v_cmp_lt_u32_e64 s[42:43], v50, v78
	s_and_saveexec_b64 s[54:55], s[42:43]
	s_cbranch_execz .LBB1019_283
.LBB1019_282:                           ;   in Loop: Header=BB1019_250 Depth=2
	ds_read_u16 v17, v32 offset:2560
	v_mov_b32_e32 v84, s51
	s_waitcnt lgkmcnt(0)
	v_lshrrev_b32_sdwa v18, s69, v17 dst_sel:DWORD dst_unused:UNUSED_PAD src0_sel:DWORD src1_sel:WORD_0
	v_and_b32_e32 v18, s62, v18
	v_lshlrev_b32_e32 v18, 2, v18
	ds_read_b32 v80, v18
	v_mov_b32_e32 v18, v3
	v_xor_b32_e32 v85, 0xffff8000, v17
	s_waitcnt lgkmcnt(0)
	v_add_u32_e32 v17, v80, v50
	v_lshlrev_b64 v[17:18], 1, v[17:18]
	v_add_co_u32_e64 v17, s[44:45], s50, v17
	v_addc_co_u32_e64 v18, s[44:45], v84, v18, s[44:45]
	global_store_short v[17:18], v85, off
.LBB1019_283:                           ;   in Loop: Header=BB1019_250 Depth=2
	s_or_b64 exec, exec, s[54:55]
	s_lshl_b64 s[44:45], s[56:57], 3
	v_mov_b32_e32 v18, s45
	v_add_co_u32_e64 v17, s[44:45], s44, v69
	v_addc_co_u32_e64 v18, s[44:45], v70, v18, s[44:45]
	v_cmp_lt_u32_e64 s[44:45], v47, v78
	s_and_saveexec_b64 s[54:55], s[44:45]
	s_xor_b64 s[44:45], exec, s[54:55]
	s_cbranch_execnz .LBB1019_302
; %bb.284:                              ;   in Loop: Header=BB1019_250 Depth=2
	s_or_b64 exec, exec, s[44:45]
	v_cmp_lt_u32_e64 s[44:45], v64, v78
	s_and_saveexec_b64 s[54:55], s[44:45]
	s_cbranch_execnz .LBB1019_303
.LBB1019_285:                           ;   in Loop: Header=BB1019_250 Depth=2
	s_or_b64 exec, exec, s[54:55]
	v_cmp_lt_u32_e64 s[44:45], v65, v78
	s_and_saveexec_b64 s[54:55], s[44:45]
	s_cbranch_execnz .LBB1019_304
.LBB1019_286:                           ;   in Loop: Header=BB1019_250 Depth=2
	s_or_b64 exec, exec, s[54:55]
	v_cmp_lt_u32_e64 s[44:45], v66, v78
	s_and_saveexec_b64 s[54:55], s[44:45]
	s_cbranch_execnz .LBB1019_305
.LBB1019_287:                           ;   in Loop: Header=BB1019_250 Depth=2
	s_or_b64 exec, exec, s[54:55]
	s_and_saveexec_b64 s[44:45], vcc
	s_cbranch_execnz .LBB1019_306
.LBB1019_288:                           ;   in Loop: Header=BB1019_250 Depth=2
	s_or_b64 exec, exec, s[44:45]
	s_and_saveexec_b64 s[44:45], s[38:39]
	s_cbranch_execnz .LBB1019_307
.LBB1019_289:                           ;   in Loop: Header=BB1019_250 Depth=2
	s_or_b64 exec, exec, s[44:45]
	s_and_saveexec_b64 s[44:45], s[40:41]
	s_cbranch_execnz .LBB1019_308
.LBB1019_290:                           ;   in Loop: Header=BB1019_250 Depth=2
	s_or_b64 exec, exec, s[44:45]
	s_and_saveexec_b64 s[44:45], s[42:43]
	s_cbranch_execz .LBB1019_292
.LBB1019_291:                           ;   in Loop: Header=BB1019_250 Depth=2
	ds_read_u16 v17, v32 offset:2560
	s_waitcnt lgkmcnt(0)
	v_lshrrev_b32_e32 v17, s69, v17
	v_and_b32_e32 v73, s62, v17
.LBB1019_292:                           ;   in Loop: Header=BB1019_250 Depth=2
	s_or_b64 exec, exec, s[44:45]
	v_mad_u64_u32 v[16:17], s[44:45], v86, 6, v[16:17]
	s_waitcnt vmcnt(0)
	v_mad_u64_u32 v[80:81], s[44:45], v81, 6, v[6:7]
	v_mad_u64_u32 v[17:18], s[44:45], v83, 6, v[15:16]
	;; [unrolled: 1-line block ×3, first 2 shown]
	s_barrier
	ds_write_b64 v16, v[13:14] offset:1024
	ds_write_b64 v17, v[11:12] offset:1024
	;; [unrolled: 1-line block ×4, first 2 shown]
	s_waitcnt lgkmcnt(0)
	s_barrier
	s_and_saveexec_b64 s[44:45], vcc
	s_cbranch_execnz .LBB1019_309
; %bb.293:                              ;   in Loop: Header=BB1019_250 Depth=2
	s_or_b64 exec, exec, s[44:45]
	s_and_saveexec_b64 s[44:45], s[38:39]
	s_cbranch_execnz .LBB1019_310
.LBB1019_294:                           ;   in Loop: Header=BB1019_250 Depth=2
	s_or_b64 exec, exec, s[44:45]
	s_and_saveexec_b64 s[38:39], s[40:41]
	s_cbranch_execnz .LBB1019_311
.LBB1019_295:                           ;   in Loop: Header=BB1019_250 Depth=2
	s_or_b64 exec, exec, s[38:39]
	s_and_saveexec_b64 s[38:39], s[42:43]
	s_cbranch_execz .LBB1019_297
.LBB1019_296:                           ;   in Loop: Header=BB1019_250 Depth=2
	v_lshlrev_b32_e32 v4, 2, v73
	ds_read_b32 v4, v4
	v_add_u32_e32 v6, v32, v54
	ds_read_b64 v[15:16], v6 offset:7168
	v_mov_b32_e32 v18, v3
	v_mov_b32_e32 v6, s65
	s_waitcnt lgkmcnt(1)
	v_add_u32_e32 v17, v4, v50
	v_lshlrev_b64 v[17:18], 3, v[17:18]
	v_add_co_u32_e32 v17, vcc, s64, v17
	v_addc_co_u32_e32 v18, vcc, v6, v18, vcc
	s_waitcnt lgkmcnt(0)
	global_store_dwordx2 v[17:18], v[15:16], off
.LBB1019_297:                           ;   in Loop: Header=BB1019_250 Depth=2
	s_or_b64 exec, exec, s[38:39]
	s_waitcnt vmcnt(0)
	s_barrier
	s_and_saveexec_b64 s[38:39], s[4:5]
	s_cbranch_execz .LBB1019_249
; %bb.298:                              ;   in Loop: Header=BB1019_250 Depth=2
	ds_read_b32 v4, v19
	s_waitcnt lgkmcnt(0)
	v_add_u32_e32 v4, v4, v82
	ds_write_b32 v19, v4
	s_branch .LBB1019_249
.LBB1019_299:                           ;   in Loop: Header=BB1019_250 Depth=2
	ds_read_u16 v17, v32 offset:1024
	v_mov_b32_e32 v84, s51
	s_waitcnt lgkmcnt(0)
	v_lshrrev_b32_sdwa v18, s69, v17 dst_sel:DWORD dst_unused:UNUSED_PAD src0_sel:DWORD src1_sel:WORD_0
	v_and_b32_e32 v18, s62, v18
	v_lshlrev_b32_e32 v18, 2, v18
	ds_read_b32 v80, v18
	v_mov_b32_e32 v18, v3
	v_xor_b32_e32 v85, 0xffff8000, v17
	s_waitcnt lgkmcnt(0)
	v_add_u32_e32 v17, v80, v0
	v_lshlrev_b64 v[17:18], 1, v[17:18]
	v_add_co_u32_e64 v17, s[38:39], s50, v17
	v_addc_co_u32_e64 v18, s[38:39], v84, v18, s[38:39]
	global_store_short v[17:18], v85, off
	s_or_b64 exec, exec, s[40:41]
	v_cmp_lt_u32_e64 s[38:39], v20, v78
	s_and_saveexec_b64 s[42:43], s[38:39]
	s_cbranch_execz .LBB1019_280
.LBB1019_300:                           ;   in Loop: Header=BB1019_250 Depth=2
	ds_read_u16 v17, v32 offset:1536
	v_mov_b32_e32 v84, s51
	s_waitcnt lgkmcnt(0)
	v_lshrrev_b32_sdwa v18, s69, v17 dst_sel:DWORD dst_unused:UNUSED_PAD src0_sel:DWORD src1_sel:WORD_0
	v_and_b32_e32 v18, s62, v18
	v_lshlrev_b32_e32 v18, 2, v18
	ds_read_b32 v80, v18
	v_mov_b32_e32 v18, v3
	v_xor_b32_e32 v85, 0xffff8000, v17
	s_waitcnt lgkmcnt(0)
	v_add_u32_e32 v17, v80, v20
	v_lshlrev_b64 v[17:18], 1, v[17:18]
	v_add_co_u32_e64 v17, s[40:41], s50, v17
	v_addc_co_u32_e64 v18, s[40:41], v84, v18, s[40:41]
	global_store_short v[17:18], v85, off
	s_or_b64 exec, exec, s[42:43]
	v_cmp_lt_u32_e64 s[40:41], v49, v78
	s_and_saveexec_b64 s[44:45], s[40:41]
	s_cbranch_execz .LBB1019_281
.LBB1019_301:                           ;   in Loop: Header=BB1019_250 Depth=2
	ds_read_u16 v17, v32 offset:2048
	v_mov_b32_e32 v84, s51
	s_waitcnt lgkmcnt(0)
	v_lshrrev_b32_sdwa v18, s69, v17 dst_sel:DWORD dst_unused:UNUSED_PAD src0_sel:DWORD src1_sel:WORD_0
	v_and_b32_e32 v18, s62, v18
	v_lshlrev_b32_e32 v18, 2, v18
	ds_read_b32 v80, v18
	v_mov_b32_e32 v18, v3
	v_xor_b32_e32 v85, 0xffff8000, v17
	s_waitcnt lgkmcnt(0)
	v_add_u32_e32 v17, v80, v49
	v_lshlrev_b64 v[17:18], 1, v[17:18]
	v_add_co_u32_e64 v17, s[42:43], s50, v17
	v_addc_co_u32_e64 v18, s[42:43], v84, v18, s[42:43]
	global_store_short v[17:18], v85, off
	s_or_b64 exec, exec, s[44:45]
	v_cmp_lt_u32_e64 s[42:43], v50, v78
	s_and_saveexec_b64 s[54:55], s[42:43]
	s_cbranch_execnz .LBB1019_282
	s_branch .LBB1019_283
.LBB1019_302:                           ;   in Loop: Header=BB1019_250 Depth=2
	global_load_dwordx2 v[13:14], v[17:18], off
	s_or_b64 exec, exec, s[44:45]
	v_cmp_lt_u32_e64 s[44:45], v64, v78
	s_and_saveexec_b64 s[54:55], s[44:45]
	s_cbranch_execz .LBB1019_285
.LBB1019_303:                           ;   in Loop: Header=BB1019_250 Depth=2
	global_load_dwordx2 v[11:12], v[17:18], off offset:512
	s_or_b64 exec, exec, s[54:55]
	v_cmp_lt_u32_e64 s[44:45], v65, v78
	s_and_saveexec_b64 s[54:55], s[44:45]
	s_cbranch_execz .LBB1019_286
.LBB1019_304:                           ;   in Loop: Header=BB1019_250 Depth=2
	global_load_dwordx2 v[9:10], v[17:18], off offset:1024
	s_or_b64 exec, exec, s[54:55]
	v_cmp_lt_u32_e64 s[44:45], v66, v78
	s_and_saveexec_b64 s[54:55], s[44:45]
	s_cbranch_execz .LBB1019_287
.LBB1019_305:                           ;   in Loop: Header=BB1019_250 Depth=2
	global_load_dwordx2 v[7:8], v[17:18], off offset:1536
	s_or_b64 exec, exec, s[54:55]
	s_and_saveexec_b64 s[44:45], vcc
	s_cbranch_execz .LBB1019_288
.LBB1019_306:                           ;   in Loop: Header=BB1019_250 Depth=2
	ds_read_u16 v17, v32 offset:1024
	s_waitcnt lgkmcnt(0)
	v_lshrrev_b32_e32 v17, s69, v17
	v_and_b32_e32 v77, s62, v17
	s_or_b64 exec, exec, s[44:45]
	s_and_saveexec_b64 s[44:45], s[38:39]
	s_cbranch_execz .LBB1019_289
.LBB1019_307:                           ;   in Loop: Header=BB1019_250 Depth=2
	ds_read_u16 v17, v32 offset:1536
	s_waitcnt lgkmcnt(0)
	v_lshrrev_b32_e32 v17, s69, v17
	v_and_b32_e32 v76, s62, v17
	s_or_b64 exec, exec, s[44:45]
	s_and_saveexec_b64 s[44:45], s[40:41]
	s_cbranch_execz .LBB1019_290
.LBB1019_308:                           ;   in Loop: Header=BB1019_250 Depth=2
	ds_read_u16 v17, v32 offset:2048
	s_waitcnt lgkmcnt(0)
	v_lshrrev_b32_e32 v17, s69, v17
	v_and_b32_e32 v74, s62, v17
	s_or_b64 exec, exec, s[44:45]
	s_and_saveexec_b64 s[44:45], s[42:43]
	s_cbranch_execnz .LBB1019_291
	s_branch .LBB1019_292
.LBB1019_309:                           ;   in Loop: Header=BB1019_250 Depth=2
	v_lshlrev_b32_e32 v4, 2, v77
	ds_read_b32 v4, v4
	v_add_u32_e32 v6, v32, v54
	ds_read_b64 v[15:16], v6 offset:1024
	v_mov_b32_e32 v18, v3
	v_mov_b32_e32 v6, s65
	s_waitcnt lgkmcnt(1)
	v_add_u32_e32 v17, v4, v0
	v_lshlrev_b64 v[17:18], 3, v[17:18]
	v_add_co_u32_e32 v17, vcc, s64, v17
	v_addc_co_u32_e32 v18, vcc, v6, v18, vcc
	s_waitcnt lgkmcnt(0)
	global_store_dwordx2 v[17:18], v[15:16], off
	s_or_b64 exec, exec, s[44:45]
	s_and_saveexec_b64 s[44:45], s[38:39]
	s_cbranch_execz .LBB1019_294
.LBB1019_310:                           ;   in Loop: Header=BB1019_250 Depth=2
	v_lshlrev_b32_e32 v4, 2, v76
	ds_read_b32 v4, v4
	v_add_u32_e32 v6, v32, v54
	ds_read_b64 v[15:16], v6 offset:3072
	v_mov_b32_e32 v18, v3
	v_mov_b32_e32 v6, s65
	s_waitcnt lgkmcnt(1)
	v_add_u32_e32 v17, v4, v20
	v_lshlrev_b64 v[17:18], 3, v[17:18]
	v_add_co_u32_e32 v17, vcc, s64, v17
	v_addc_co_u32_e32 v18, vcc, v6, v18, vcc
	s_waitcnt lgkmcnt(0)
	global_store_dwordx2 v[17:18], v[15:16], off
	s_or_b64 exec, exec, s[44:45]
	s_and_saveexec_b64 s[38:39], s[40:41]
	s_cbranch_execz .LBB1019_295
.LBB1019_311:                           ;   in Loop: Header=BB1019_250 Depth=2
	v_lshlrev_b32_e32 v4, 2, v74
	ds_read_b32 v4, v4
	v_add_u32_e32 v6, v32, v54
	ds_read_b64 v[15:16], v6 offset:5120
	v_mov_b32_e32 v18, v3
	v_mov_b32_e32 v6, s65
	s_waitcnt lgkmcnt(1)
	v_add_u32_e32 v17, v4, v49
	v_lshlrev_b64 v[17:18], 3, v[17:18]
	v_add_co_u32_e32 v17, vcc, s64, v17
	v_addc_co_u32_e32 v18, vcc, v6, v18, vcc
	s_waitcnt lgkmcnt(0)
	global_store_dwordx2 v[17:18], v[15:16], off
	s_or_b64 exec, exec, s[38:39]
	s_and_saveexec_b64 s[38:39], s[42:43]
	s_cbranch_execnz .LBB1019_296
	s_branch .LBB1019_297
.LBB1019_312:                           ;   in Loop: Header=BB1019_250 Depth=2
	global_load_ushort v4, v[17:18], off
	v_mov_b32_e32 v16, v5
	s_waitcnt vmcnt(0)
	v_perm_b32 v15, s60, v4, v67
	s_or_b64 exec, exec, s[38:39]
	v_cmp_gt_u32_e32 vcc, s63, v64
	s_and_saveexec_b64 s[38:39], vcc
	s_cbranch_execz .LBB1019_255
.LBB1019_313:                           ;   in Loop: Header=BB1019_250 Depth=2
	global_load_ushort v4, v[17:18], off offset:128
	s_waitcnt vmcnt(0)
	v_perm_b32 v15, v4, v15, s7
	s_or_b64 exec, exec, s[38:39]
	v_cmp_gt_u32_e32 vcc, s63, v65
	s_and_saveexec_b64 s[38:39], vcc
	s_cbranch_execnz .LBB1019_256
	s_branch .LBB1019_257
.LBB1019_314:                           ;   in Loop: Header=BB1019_12 Depth=1
	s_waitcnt lgkmcnt(0)
	s_barrier
	s_mov_b64 s[18:19], 0
.LBB1019_315:                           ;   in Loop: Header=BB1019_12 Depth=1
	s_and_b64 vcc, exec, s[18:19]
	s_cbranch_vccz .LBB1019_11
; %bb.316:                              ;   in Loop: Header=BB1019_12 Depth=1
	v_mov_b32_e32 v4, v3
	v_mov_b32_e32 v7, v4
	s_mov_b32 s22, s71
	s_mov_b32 s56, s74
	v_mov_b32_e32 v6, v3
	s_barrier
	s_branch .LBB1019_318
.LBB1019_317:                           ;   in Loop: Header=BB1019_318 Depth=2
	s_or_b64 exec, exec, s[18:19]
	s_addk_i32 s22, 0xfc00
	s_cmp_ge_u32 s23, s75
	s_mov_b32 s56, s23
	s_cbranch_scc1 .LBB1019_338
.LBB1019_318:                           ;   Parent Loop BB1019_12 Depth=1
                                        ; =>  This Inner Loop Header: Depth=2
	s_add_i32 s23, s56, 0x400
	s_cmp_gt_u32 s23, s75
	s_mov_b64 s[18:19], -1
                                        ; implicit-def: $vgpr8_vgpr9
	s_cbranch_scc1 .LBB1019_320
; %bb.319:                              ;   in Loop: Header=BB1019_318 Depth=2
	s_lshl_b64 s[18:19], s[56:57], 1
	v_mov_b32_e32 v4, s19
	v_add_co_u32_e32 v8, vcc, s18, v39
	v_addc_co_u32_e32 v9, vcc, v40, v4, vcc
	global_load_ushort v4, v[8:9], off
	global_load_ushort v10, v[8:9], off offset:1024
	global_load_ushort v11, v[8:9], off offset:1536
	;; [unrolled: 1-line block ×3, first 2 shown]
	s_mov_b64 s[18:19], 0
	s_waitcnt vmcnt(1)
	v_perm_b32 v9, v11, v10, s7
	s_waitcnt vmcnt(0)
	v_perm_b32 v8, v12, v4, s7
.LBB1019_320:                           ;   in Loop: Header=BB1019_318 Depth=2
	s_andn2_b64 vcc, exec, s[18:19]
	s_movk_i32 s20, 0x400
	s_cbranch_vccnz .LBB1019_327
; %bb.321:                              ;   in Loop: Header=BB1019_318 Depth=2
	s_lshl_b64 s[18:19], s[56:57], 1
	s_add_u32 s18, s48, s18
	s_addc_u32 s19, s49, s19
	v_cmp_gt_u32_e32 vcc, s22, v0
	s_and_saveexec_b64 s[20:21], vcc
	s_cbranch_execnz .LBB1019_335
; %bb.322:                              ;   in Loop: Header=BB1019_318 Depth=2
	s_or_b64 exec, exec, s[20:21]
	v_cmp_gt_u32_e32 vcc, s22, v20
	s_and_saveexec_b64 s[20:21], vcc
	s_cbranch_execnz .LBB1019_336
.LBB1019_323:                           ;   in Loop: Header=BB1019_318 Depth=2
	s_or_b64 exec, exec, s[20:21]
	v_cmp_gt_u32_e32 vcc, s22, v49
	s_and_saveexec_b64 s[20:21], vcc
	s_cbranch_execnz .LBB1019_337
.LBB1019_324:                           ;   in Loop: Header=BB1019_318 Depth=2
	s_or_b64 exec, exec, s[20:21]
	v_cmp_gt_u32_e32 vcc, s22, v50
	s_and_saveexec_b64 s[20:21], vcc
	s_cbranch_execz .LBB1019_326
.LBB1019_325:                           ;   in Loop: Header=BB1019_318 Depth=2
	global_load_ushort v4, v58, s[18:19] offset:1536
	s_waitcnt vmcnt(0)
	v_perm_b32 v7, v4, v7, s7
.LBB1019_326:                           ;   in Loop: Header=BB1019_318 Depth=2
	s_or_b64 exec, exec, s[20:21]
	v_mov_b32_e32 v9, v7
	s_mov_b32 s20, s22
	v_mov_b32_e32 v8, v6
.LBB1019_327:                           ;   in Loop: Header=BB1019_318 Depth=2
	v_mov_b32_e32 v6, v8
	v_mov_b32_e32 v7, v9
	v_cmp_gt_u32_e32 vcc, s20, v0
	s_and_saveexec_b64 s[18:19], vcc
	s_cbranch_execnz .LBB1019_331
; %bb.328:                              ;   in Loop: Header=BB1019_318 Depth=2
	s_or_b64 exec, exec, s[18:19]
	v_cmp_gt_u32_e32 vcc, s20, v20
	s_and_saveexec_b64 s[18:19], vcc
	s_cbranch_execnz .LBB1019_332
.LBB1019_329:                           ;   in Loop: Header=BB1019_318 Depth=2
	s_or_b64 exec, exec, s[18:19]
	v_cmp_gt_u32_e32 vcc, s20, v49
	s_and_saveexec_b64 s[18:19], vcc
	s_cbranch_execnz .LBB1019_333
.LBB1019_330:                           ;   in Loop: Header=BB1019_318 Depth=2
	s_or_b64 exec, exec, s[18:19]
	v_cmp_gt_u32_e32 vcc, s20, v50
	s_and_saveexec_b64 s[18:19], vcc
	s_cbranch_execz .LBB1019_317
	s_branch .LBB1019_334
.LBB1019_331:                           ;   in Loop: Header=BB1019_318 Depth=2
	v_xor_b32_e32 v4, 0xffff8000, v6
	v_lshrrev_b32_sdwa v4, s69, v4 dst_sel:DWORD dst_unused:UNUSED_PAD src0_sel:DWORD src1_sel:WORD_0
	v_and_b32_e32 v4, s62, v4
	v_lshl_or_b32 v4, v4, 4, v23
	ds_add_u32 v4, v55
	s_or_b64 exec, exec, s[18:19]
	v_cmp_gt_u32_e32 vcc, s20, v20
	s_and_saveexec_b64 s[18:19], vcc
	s_cbranch_execz .LBB1019_329
.LBB1019_332:                           ;   in Loop: Header=BB1019_318 Depth=2
	v_xor_b32_sdwa v4, v6, s59 dst_sel:DWORD dst_unused:UNUSED_PAD src0_sel:WORD_1 src1_sel:DWORD
	v_lshrrev_b32_sdwa v4, s69, v4 dst_sel:DWORD dst_unused:UNUSED_PAD src0_sel:DWORD src1_sel:WORD_0
	v_and_b32_e32 v4, s62, v4
	v_lshl_or_b32 v4, v4, 4, v23
	ds_add_u32 v4, v55
	s_or_b64 exec, exec, s[18:19]
	v_cmp_gt_u32_e32 vcc, s20, v49
	s_and_saveexec_b64 s[18:19], vcc
	s_cbranch_execz .LBB1019_330
.LBB1019_333:                           ;   in Loop: Header=BB1019_318 Depth=2
	v_xor_b32_e32 v4, 0xffff8000, v7
	v_lshrrev_b32_sdwa v4, s69, v4 dst_sel:DWORD dst_unused:UNUSED_PAD src0_sel:DWORD src1_sel:WORD_0
	v_and_b32_e32 v4, s62, v4
	v_lshl_or_b32 v4, v4, 4, v23
	ds_add_u32 v4, v55
	s_or_b64 exec, exec, s[18:19]
	v_cmp_gt_u32_e32 vcc, s20, v50
	s_and_saveexec_b64 s[18:19], vcc
	s_cbranch_execz .LBB1019_317
.LBB1019_334:                           ;   in Loop: Header=BB1019_318 Depth=2
	v_xor_b32_sdwa v4, v7, s59 dst_sel:DWORD dst_unused:UNUSED_PAD src0_sel:WORD_1 src1_sel:DWORD
	v_lshrrev_b32_sdwa v4, s69, v4 dst_sel:DWORD dst_unused:UNUSED_PAD src0_sel:DWORD src1_sel:WORD_0
	v_and_b32_e32 v4, s62, v4
	v_lshl_or_b32 v4, v4, 4, v23
	ds_add_u32 v4, v55
	s_branch .LBB1019_317
.LBB1019_335:                           ;   in Loop: Header=BB1019_318 Depth=2
	global_load_ushort v4, v58, s[18:19]
	s_waitcnt vmcnt(0)
	v_bfi_b32 v6, s58, v4, v6
	s_or_b64 exec, exec, s[20:21]
	v_cmp_gt_u32_e32 vcc, s22, v20
	s_and_saveexec_b64 s[20:21], vcc
	s_cbranch_execz .LBB1019_323
.LBB1019_336:                           ;   in Loop: Header=BB1019_318 Depth=2
	global_load_ushort v4, v58, s[18:19] offset:512
	s_waitcnt vmcnt(0)
	v_perm_b32 v6, v4, v6, s7
	s_or_b64 exec, exec, s[20:21]
	v_cmp_gt_u32_e32 vcc, s22, v49
	s_and_saveexec_b64 s[20:21], vcc
	s_cbranch_execz .LBB1019_324
.LBB1019_337:                           ;   in Loop: Header=BB1019_318 Depth=2
	global_load_ushort v4, v58, s[18:19] offset:1024
	s_waitcnt vmcnt(0)
	v_bfi_b32 v7, s58, v4, v7
	s_or_b64 exec, exec, s[20:21]
	v_cmp_gt_u32_e32 vcc, s22, v50
	s_and_saveexec_b64 s[20:21], vcc
	s_cbranch_execnz .LBB1019_325
	s_branch .LBB1019_326
.LBB1019_338:                           ;   in Loop: Header=BB1019_12 Depth=1
	v_mov_b32_e32 v4, 0
	s_waitcnt lgkmcnt(0)
	s_barrier
	s_and_saveexec_b64 s[18:19], s[4:5]
	s_cbranch_execz .LBB1019_340
; %bb.339:                              ;   in Loop: Header=BB1019_12 Depth=1
	ds_read2_b64 v[6:9], v24 offset1:1
	s_waitcnt lgkmcnt(0)
	v_add_u32_e32 v4, v7, v6
	v_add3_u32 v4, v4, v8, v9
.LBB1019_340:                           ;   in Loop: Header=BB1019_12 Depth=1
	s_or_b64 exec, exec, s[18:19]
	s_nop 0
	v_mov_b32_dpp v6, v4 row_shr:1 row_mask:0xf bank_mask:0xf
	v_cmp_eq_u32_e64 s[18:19], 0, v59
	v_cndmask_b32_e64 v6, v6, 0, s[18:19]
	v_add_u32_e32 v4, v6, v4
	v_cmp_lt_u32_e64 s[20:21], 1, v59
	v_cmp_lt_u32_e64 s[22:23], 3, v59
	v_mov_b32_dpp v6, v4 row_shr:2 row_mask:0xf bank_mask:0xf
	v_cndmask_b32_e64 v6, 0, v6, s[20:21]
	v_add_u32_e32 v4, v4, v6
	v_cmp_lt_u32_e64 s[24:25], 7, v59
	v_cmp_lt_u32_e64 s[28:29], 31, v45
	v_mov_b32_dpp v6, v4 row_shr:4 row_mask:0xf bank_mask:0xf
	v_cndmask_b32_e64 v6, 0, v6, s[22:23]
	v_add_u32_e32 v4, v4, v6
	v_cmp_eq_u32_e64 s[26:27], 0, v61
	s_nop 0
	v_mov_b32_dpp v6, v4 row_shr:8 row_mask:0xf bank_mask:0xf
	v_cndmask_b32_e64 v6, 0, v6, s[24:25]
	v_add_u32_e32 v4, v4, v6
	s_nop 1
	v_mov_b32_dpp v6, v4 row_bcast:15 row_mask:0xf bank_mask:0xf
	v_and_b32_e32 v6, v60, v6
	v_add_u32_e32 v4, v4, v6
	s_nop 1
	v_mov_b32_dpp v6, v4 row_bcast:31 row_mask:0xf bank_mask:0xf
	v_cndmask_b32_e64 v6, 0, v6, s[28:29]
	v_add_u32_e32 v4, v4, v6
	s_and_saveexec_b64 s[30:31], s[8:9]
; %bb.341:                              ;   in Loop: Header=BB1019_12 Depth=1
	ds_write_b32 v51, v4
; %bb.342:                              ;   in Loop: Header=BB1019_12 Depth=1
	s_or_b64 exec, exec, s[30:31]
	s_waitcnt lgkmcnt(0)
	s_barrier
	s_and_saveexec_b64 s[30:31], s[10:11]
	s_cbranch_execz .LBB1019_344
; %bb.343:                              ;   in Loop: Header=BB1019_12 Depth=1
	ds_read_b32 v6, v52
	v_cmp_ne_u32_e32 vcc, 0, v62
	s_waitcnt lgkmcnt(0)
	v_mov_b32_dpp v7, v6 row_shr:1 row_mask:0xf bank_mask:0xf
	v_cndmask_b32_e32 v7, 0, v7, vcc
	v_add_u32_e32 v6, v7, v6
	v_cmp_lt_u32_e32 vcc, 1, v62
	s_nop 0
	v_mov_b32_dpp v7, v6 row_shr:2 row_mask:0xf bank_mask:0xf
	v_cndmask_b32_e32 v7, 0, v7, vcc
	v_add_u32_e32 v6, v6, v7
	ds_write_b32 v52, v6
.LBB1019_344:                           ;   in Loop: Header=BB1019_12 Depth=1
	s_or_b64 exec, exec, s[30:31]
	v_mov_b32_e32 v6, 0
	s_waitcnt lgkmcnt(0)
	s_barrier
	s_and_saveexec_b64 s[30:31], s[12:13]
; %bb.345:                              ;   in Loop: Header=BB1019_12 Depth=1
	ds_read_b32 v6, v53
; %bb.346:                              ;   in Loop: Header=BB1019_12 Depth=1
	s_or_b64 exec, exec, s[30:31]
	v_subrev_co_u32_e64 v7, s[30:31], 1, v45
	v_cmp_lt_i32_e32 vcc, v7, v63
	v_cndmask_b32_e32 v7, v7, v45, vcc
	s_waitcnt lgkmcnt(0)
	v_add_u32_e32 v4, v6, v4
	v_lshlrev_b32_e32 v68, 2, v7
	ds_bpermute_b32 v4, v68, v4
	s_waitcnt lgkmcnt(0)
	s_barrier
	s_and_saveexec_b64 s[34:35], s[4:5]
; %bb.347:                              ;   in Loop: Header=BB1019_12 Depth=1
	v_cndmask_b32_e64 v4, v4, v6, s[30:31]
	v_add_u32_e32 v4, s74, v4
	ds_write_b32 v19, v4
; %bb.348:                              ;   in Loop: Header=BB1019_12 Depth=1
	s_or_b64 exec, exec, s[34:35]
	s_load_dwordx2 s[34:35], s[46:47], 0x0
	v_add_co_u32_e32 v69, vcc, v41, v46
	v_addc_co_u32_e32 v70, vcc, 0, v42, vcc
	s_waitcnt lgkmcnt(0)
	s_cmp_lt_u32 s33, s35
	s_cselect_b32 s35, 14, 20
	s_add_u32 s36, s46, s35
	s_addc_u32 s37, s47, 0
	s_cmp_lt_u32 s6, s34
	s_cselect_b32 s34, 12, 18
	s_add_u32 s34, s46, s34
	global_load_ushort v4, v3, s[36:37]
	s_addc_u32 s35, s47, 0
	global_load_ushort v6, v3, s[34:35]
	v_add_co_u32_e32 v71, vcc, v43, v48
	v_cmp_eq_u32_e64 s[34:35], 0, v62
	v_cmp_lt_u32_e64 s[36:37], 1, v62
	v_addc_co_u32_e32 v72, vcc, 0, v44, vcc
	s_mov_b32 s63, s71
	s_mov_b32 s56, s74
                                        ; implicit-def: $vgpr9_vgpr10
                                        ; implicit-def: $vgpr11_vgpr12
                                        ; implicit-def: $vgpr13_vgpr14
                                        ; implicit-def: $vgpr73
                                        ; implicit-def: $vgpr74
                                        ; implicit-def: $vgpr76
                                        ; implicit-def: $vgpr77
	s_waitcnt vmcnt(1)
	v_mad_u32_u24 v4, v2, v4, v1
	s_waitcnt vmcnt(0)
	v_mad_u64_u32 v[6:7], s[38:39], v4, v6, v[0:1]
                                        ; implicit-def: $vgpr7_vgpr8
	v_lshrrev_b32_e32 v4, 4, v6
	v_and_b32_e32 v75, 0xffffffc, v4
	s_branch .LBB1019_350
.LBB1019_349:                           ;   in Loop: Header=BB1019_350 Depth=2
	s_or_b64 exec, exec, s[38:39]
	s_addk_i32 s63, 0xfc00
	s_cmp_lt_u32 s68, s75
	s_mov_b32 s56, s68
	s_cbranch_scc0 .LBB1019_10
.LBB1019_350:                           ;   Parent Loop BB1019_12 Depth=1
                                        ; =>  This Inner Loop Header: Depth=2
	s_add_i32 s68, s56, 0x400
	s_cmp_gt_u32 s68, s75
	s_cbranch_scc1 .LBB1019_352
; %bb.351:                              ;   in Loop: Header=BB1019_350 Depth=2
	s_lshl_b64 s[38:39], s[56:57], 1
	v_mov_b32_e32 v4, s39
	v_add_co_u32_e32 v15, vcc, s38, v71
	v_addc_co_u32_e32 v16, vcc, v72, v4, vcc
	global_load_ushort v4, v[15:16], off
	global_load_ushort v6, v[15:16], off offset:128
	s_nop 0
	global_load_ushort v16, v[15:16], off offset:256
	s_mov_b64 s[38:39], -1
	s_waitcnt vmcnt(1)
	v_perm_b32 v15, v6, v4, s7
	s_movk_i32 s42, 0x400
	s_cbranch_execz .LBB1019_353
	s_branch .LBB1019_358
.LBB1019_352:                           ;   in Loop: Header=BB1019_350 Depth=2
	s_mov_b64 s[38:39], 0
                                        ; implicit-def: $vgpr15_vgpr16
	s_movk_i32 s42, 0x400
.LBB1019_353:                           ;   in Loop: Header=BB1019_350 Depth=2
	s_lshl_b64 s[38:39], s[56:57], 1
	v_mov_b32_e32 v4, s39
	v_add_co_u32_e32 v17, vcc, s38, v71
	v_mov_b32_e32 v6, v5
	v_addc_co_u32_e32 v18, vcc, v72, v4, vcc
	s_waitcnt vmcnt(0)
	v_mov_b32_e32 v16, v6
	v_cmp_gt_u32_e32 vcc, s63, v47
	v_mov_b32_e32 v15, v5
	s_and_saveexec_b64 s[38:39], vcc
	s_cbranch_execnz .LBB1019_412
; %bb.354:                              ;   in Loop: Header=BB1019_350 Depth=2
	s_or_b64 exec, exec, s[38:39]
	v_cmp_gt_u32_e32 vcc, s63, v64
	s_and_saveexec_b64 s[38:39], vcc
	s_cbranch_execnz .LBB1019_413
.LBB1019_355:                           ;   in Loop: Header=BB1019_350 Depth=2
	s_or_b64 exec, exec, s[38:39]
	v_cmp_gt_u32_e32 vcc, s63, v65
	s_and_saveexec_b64 s[38:39], vcc
	s_cbranch_execz .LBB1019_357
.LBB1019_356:                           ;   in Loop: Header=BB1019_350 Depth=2
	global_load_ushort v4, v[17:18], off offset:256
	s_waitcnt vmcnt(0)
	v_bfi_b32 v16, s58, v4, v16
.LBB1019_357:                           ;   in Loop: Header=BB1019_350 Depth=2
	s_or_b64 exec, exec, s[38:39]
	s_sub_i32 s42, s75, s56
	v_cmp_gt_u32_e64 s[38:39], s63, v66
.LBB1019_358:                           ;   in Loop: Header=BB1019_350 Depth=2
	v_mov_b32_e32 v78, s63
	s_and_saveexec_b64 s[40:41], s[38:39]
	s_cbranch_execz .LBB1019_360
; %bb.359:                              ;   in Loop: Header=BB1019_350 Depth=2
	s_lshl_b64 s[38:39], s[56:57], 1
	v_mov_b32_e32 v4, s39
	v_add_co_u32_e32 v17, vcc, s38, v71
	v_addc_co_u32_e32 v18, vcc, v72, v4, vcc
	global_load_ushort v4, v[17:18], off offset:384
	v_mov_b32_e32 v78, s42
	s_waitcnt vmcnt(0)
	v_perm_b32 v16, v4, v16, s7
.LBB1019_360:                           ;   in Loop: Header=BB1019_350 Depth=2
	s_or_b64 exec, exec, s[40:41]
	v_xor_b32_e32 v6, 0xffff8000, v15
	v_lshrrev_b32_sdwa v4, s69, v6 dst_sel:DWORD dst_unused:UNUSED_PAD src0_sel:DWORD src1_sel:WORD_0
	v_and_b32_e32 v17, s62, v4
	v_and_b32_e32 v4, 1, v17
	v_add_co_u32_e32 v18, vcc, -1, v4
	v_addc_co_u32_e64 v79, s[38:39], 0, -1, vcc
	v_cmp_ne_u32_e32 vcc, 0, v4
	v_xor_b32_e32 v4, vcc_hi, v79
	v_and_b32_e32 v79, exec_hi, v4
	v_lshlrev_b32_e32 v4, 30, v17
	v_xor_b32_e32 v18, vcc_lo, v18
	v_cmp_gt_i64_e32 vcc, 0, v[3:4]
	v_not_b32_e32 v4, v4
	v_ashrrev_i32_e32 v4, 31, v4
	v_and_b32_e32 v18, exec_lo, v18
	v_xor_b32_e32 v81, vcc_hi, v4
	v_xor_b32_e32 v4, vcc_lo, v4
	v_and_b32_e32 v18, v18, v4
	v_lshlrev_b32_e32 v4, 29, v17
	v_cmp_gt_i64_e32 vcc, 0, v[3:4]
	v_not_b32_e32 v4, v4
	v_ashrrev_i32_e32 v4, 31, v4
	v_and_b32_e32 v79, v79, v81
	v_xor_b32_e32 v81, vcc_hi, v4
	v_xor_b32_e32 v4, vcc_lo, v4
	v_and_b32_e32 v18, v18, v4
	v_lshlrev_b32_e32 v4, 28, v17
	v_cmp_gt_i64_e32 vcc, 0, v[3:4]
	v_not_b32_e32 v4, v4
	v_ashrrev_i32_e32 v4, 31, v4
	v_and_b32_e32 v79, v79, v81
	;; [unrolled: 8-line block ×5, first 2 shown]
	v_xor_b32_e32 v81, vcc_hi, v4
	v_xor_b32_e32 v4, vcc_lo, v4
	v_and_b32_e32 v79, v79, v81
	v_and_b32_e32 v81, v18, v4
	v_lshlrev_b32_e32 v4, 24, v17
	v_cmp_gt_i64_e32 vcc, 0, v[3:4]
	v_not_b32_e32 v4, v4
	v_ashrrev_i32_e32 v4, 31, v4
	v_mul_u32_u24_e32 v80, 20, v17
	v_xor_b32_e32 v17, vcc_hi, v4
	v_xor_b32_e32 v4, vcc_lo, v4
	v_and_b32_e32 v18, v79, v17
	v_and_b32_e32 v17, v81, v4
	v_mbcnt_lo_u32_b32 v4, v17, 0
	v_mbcnt_hi_u32_b32 v79, v18, v4
	v_cmp_ne_u64_e32 vcc, 0, v[17:18]
	v_cmp_eq_u32_e64 s[38:39], 0, v79
	s_and_b64 s[40:41], vcc, s[38:39]
	v_add_u32_e32 v82, v75, v80
	ds_write2_b32 v56, v3, v3 offset1:1
	ds_write2_b32 v57, v3, v3 offset1:1
	ds_write_b32 v26, v3 offset:1056
	s_waitcnt vmcnt(0) lgkmcnt(0)
	s_barrier
	; wave barrier
	s_and_saveexec_b64 s[38:39], s[40:41]
; %bb.361:                              ;   in Loop: Header=BB1019_350 Depth=2
	v_bcnt_u32_b32 v4, v17, 0
	v_bcnt_u32_b32 v4, v18, v4
	ds_write_b32 v82, v4 offset:1040
; %bb.362:                              ;   in Loop: Header=BB1019_350 Depth=2
	s_or_b64 exec, exec, s[38:39]
	v_xor_b32_sdwa v80, v15, s59 dst_sel:DWORD dst_unused:UNUSED_PAD src0_sel:WORD_1 src1_sel:DWORD
	v_lshrrev_b32_sdwa v4, s69, v80 dst_sel:DWORD dst_unused:UNUSED_PAD src0_sel:DWORD src1_sel:WORD_0
	v_and_b32_e32 v15, s62, v4
	v_mad_u32_u24 v4, v15, 20, v75
	; wave barrier
	ds_read_b32 v81, v4 offset:1040
	v_and_b32_e32 v4, 1, v15
	v_add_co_u32_e32 v17, vcc, -1, v4
	v_addc_co_u32_e64 v18, s[38:39], 0, -1, vcc
	v_cmp_ne_u32_e32 vcc, 0, v4
	v_xor_b32_e32 v4, vcc_hi, v18
	v_and_b32_e32 v18, exec_hi, v4
	v_lshlrev_b32_e32 v4, 30, v15
	v_xor_b32_e32 v17, vcc_lo, v17
	v_cmp_gt_i64_e32 vcc, 0, v[3:4]
	v_not_b32_e32 v4, v4
	v_ashrrev_i32_e32 v4, 31, v4
	v_and_b32_e32 v17, exec_lo, v17
	v_xor_b32_e32 v83, vcc_hi, v4
	v_xor_b32_e32 v4, vcc_lo, v4
	v_and_b32_e32 v17, v17, v4
	v_lshlrev_b32_e32 v4, 29, v15
	v_cmp_gt_i64_e32 vcc, 0, v[3:4]
	v_not_b32_e32 v4, v4
	v_ashrrev_i32_e32 v4, 31, v4
	v_and_b32_e32 v18, v18, v83
	v_xor_b32_e32 v83, vcc_hi, v4
	v_xor_b32_e32 v4, vcc_lo, v4
	v_and_b32_e32 v17, v17, v4
	v_lshlrev_b32_e32 v4, 28, v15
	v_cmp_gt_i64_e32 vcc, 0, v[3:4]
	v_not_b32_e32 v4, v4
	v_ashrrev_i32_e32 v4, 31, v4
	v_and_b32_e32 v18, v18, v83
	;; [unrolled: 8-line block ×5, first 2 shown]
	v_xor_b32_e32 v83, vcc_hi, v4
	v_xor_b32_e32 v4, vcc_lo, v4
	v_and_b32_e32 v17, v17, v4
	v_lshlrev_b32_e32 v4, 24, v15
	v_cmp_gt_i64_e32 vcc, 0, v[3:4]
	v_not_b32_e32 v4, v4
	v_ashrrev_i32_e32 v4, 31, v4
	v_mul_u32_u24_e32 v84, 20, v15
	v_xor_b32_e32 v15, vcc_hi, v4
	v_xor_b32_e32 v4, vcc_lo, v4
	v_and_b32_e32 v18, v18, v83
	v_and_b32_e32 v17, v17, v4
	;; [unrolled: 1-line block ×3, first 2 shown]
	v_mbcnt_lo_u32_b32 v4, v17, 0
	v_mbcnt_hi_u32_b32 v83, v18, v4
	v_cmp_ne_u64_e32 vcc, 0, v[17:18]
	v_cmp_eq_u32_e64 s[38:39], 0, v83
	s_and_b64 s[40:41], vcc, s[38:39]
	v_add_u32_e32 v86, v75, v84
	; wave barrier
	s_and_saveexec_b64 s[38:39], s[40:41]
	s_cbranch_execz .LBB1019_364
; %bb.363:                              ;   in Loop: Header=BB1019_350 Depth=2
	v_bcnt_u32_b32 v4, v17, 0
	v_bcnt_u32_b32 v4, v18, v4
	s_waitcnt lgkmcnt(0)
	v_add_u32_e32 v4, v81, v4
	ds_write_b32 v86, v4 offset:1040
.LBB1019_364:                           ;   in Loop: Header=BB1019_350 Depth=2
	s_or_b64 exec, exec, s[38:39]
	v_xor_b32_e32 v84, 0xffff8000, v16
	v_lshrrev_b32_sdwa v4, s69, v84 dst_sel:DWORD dst_unused:UNUSED_PAD src0_sel:DWORD src1_sel:WORD_0
	v_and_b32_e32 v15, s62, v4
	v_mad_u32_u24 v4, v15, 20, v75
	; wave barrier
	ds_read_b32 v85, v4 offset:1040
	v_and_b32_e32 v4, 1, v15
	v_add_co_u32_e32 v17, vcc, -1, v4
	v_addc_co_u32_e64 v18, s[38:39], 0, -1, vcc
	v_cmp_ne_u32_e32 vcc, 0, v4
	v_xor_b32_e32 v4, vcc_hi, v18
	v_and_b32_e32 v18, exec_hi, v4
	v_lshlrev_b32_e32 v4, 30, v15
	v_xor_b32_e32 v17, vcc_lo, v17
	v_cmp_gt_i64_e32 vcc, 0, v[3:4]
	v_not_b32_e32 v4, v4
	v_ashrrev_i32_e32 v4, 31, v4
	v_and_b32_e32 v17, exec_lo, v17
	v_xor_b32_e32 v87, vcc_hi, v4
	v_xor_b32_e32 v4, vcc_lo, v4
	v_and_b32_e32 v17, v17, v4
	v_lshlrev_b32_e32 v4, 29, v15
	v_cmp_gt_i64_e32 vcc, 0, v[3:4]
	v_not_b32_e32 v4, v4
	v_ashrrev_i32_e32 v4, 31, v4
	v_and_b32_e32 v18, v18, v87
	v_xor_b32_e32 v87, vcc_hi, v4
	v_xor_b32_e32 v4, vcc_lo, v4
	v_and_b32_e32 v17, v17, v4
	v_lshlrev_b32_e32 v4, 28, v15
	v_cmp_gt_i64_e32 vcc, 0, v[3:4]
	v_not_b32_e32 v4, v4
	v_ashrrev_i32_e32 v4, 31, v4
	v_and_b32_e32 v18, v18, v87
	;; [unrolled: 8-line block ×5, first 2 shown]
	v_xor_b32_e32 v87, vcc_hi, v4
	v_xor_b32_e32 v4, vcc_lo, v4
	v_and_b32_e32 v17, v17, v4
	v_lshlrev_b32_e32 v4, 24, v15
	v_cmp_gt_i64_e32 vcc, 0, v[3:4]
	v_not_b32_e32 v4, v4
	v_ashrrev_i32_e32 v4, 31, v4
	v_mul_u32_u24_e32 v88, 20, v15
	v_xor_b32_e32 v15, vcc_hi, v4
	v_xor_b32_e32 v4, vcc_lo, v4
	v_and_b32_e32 v18, v18, v87
	v_and_b32_e32 v17, v17, v4
	;; [unrolled: 1-line block ×3, first 2 shown]
	v_mbcnt_lo_u32_b32 v4, v17, 0
	v_mbcnt_hi_u32_b32 v87, v18, v4
	v_cmp_ne_u64_e32 vcc, 0, v[17:18]
	v_cmp_eq_u32_e64 s[38:39], 0, v87
	s_and_b64 s[40:41], vcc, s[38:39]
	v_add_u32_e32 v90, v75, v88
	; wave barrier
	s_and_saveexec_b64 s[38:39], s[40:41]
	s_cbranch_execz .LBB1019_366
; %bb.365:                              ;   in Loop: Header=BB1019_350 Depth=2
	v_bcnt_u32_b32 v4, v17, 0
	v_bcnt_u32_b32 v4, v18, v4
	s_waitcnt lgkmcnt(0)
	v_add_u32_e32 v4, v85, v4
	ds_write_b32 v90, v4 offset:1040
.LBB1019_366:                           ;   in Loop: Header=BB1019_350 Depth=2
	s_or_b64 exec, exec, s[38:39]
	v_xor_b32_sdwa v88, v16, s59 dst_sel:DWORD dst_unused:UNUSED_PAD src0_sel:WORD_1 src1_sel:DWORD
	v_lshrrev_b32_sdwa v4, s69, v88 dst_sel:DWORD dst_unused:UNUSED_PAD src0_sel:DWORD src1_sel:WORD_0
	v_and_b32_e32 v15, s62, v4
	v_mad_u32_u24 v4, v15, 20, v75
	; wave barrier
	ds_read_b32 v89, v4 offset:1040
	v_and_b32_e32 v4, 1, v15
	v_add_co_u32_e32 v16, vcc, -1, v4
	v_addc_co_u32_e64 v18, s[38:39], 0, -1, vcc
	v_cmp_ne_u32_e32 vcc, 0, v4
	v_xor_b32_e32 v4, vcc_hi, v18
	v_and_b32_e32 v18, exec_hi, v4
	v_lshlrev_b32_e32 v4, 30, v15
	v_xor_b32_e32 v16, vcc_lo, v16
	v_cmp_gt_i64_e32 vcc, 0, v[3:4]
	v_not_b32_e32 v4, v4
	v_ashrrev_i32_e32 v4, 31, v4
	v_and_b32_e32 v16, exec_lo, v16
	v_xor_b32_e32 v91, vcc_hi, v4
	v_xor_b32_e32 v4, vcc_lo, v4
	v_and_b32_e32 v16, v16, v4
	v_lshlrev_b32_e32 v4, 29, v15
	v_cmp_gt_i64_e32 vcc, 0, v[3:4]
	v_not_b32_e32 v4, v4
	v_ashrrev_i32_e32 v4, 31, v4
	v_and_b32_e32 v18, v18, v91
	v_xor_b32_e32 v91, vcc_hi, v4
	v_xor_b32_e32 v4, vcc_lo, v4
	v_and_b32_e32 v16, v16, v4
	v_lshlrev_b32_e32 v4, 28, v15
	v_cmp_gt_i64_e32 vcc, 0, v[3:4]
	v_not_b32_e32 v4, v4
	v_ashrrev_i32_e32 v4, 31, v4
	v_and_b32_e32 v18, v18, v91
	v_xor_b32_e32 v91, vcc_hi, v4
	v_xor_b32_e32 v4, vcc_lo, v4
	v_and_b32_e32 v16, v16, v4
	v_lshlrev_b32_e32 v4, 27, v15
	v_cmp_gt_i64_e32 vcc, 0, v[3:4]
	v_not_b32_e32 v4, v4
	v_ashrrev_i32_e32 v4, 31, v4
	v_and_b32_e32 v18, v18, v91
	v_xor_b32_e32 v91, vcc_hi, v4
	v_xor_b32_e32 v4, vcc_lo, v4
	v_and_b32_e32 v16, v16, v4
	v_lshlrev_b32_e32 v4, 26, v15
	v_cmp_gt_i64_e32 vcc, 0, v[3:4]
	v_not_b32_e32 v4, v4
	v_ashrrev_i32_e32 v4, 31, v4
	v_and_b32_e32 v18, v18, v91
	v_xor_b32_e32 v91, vcc_hi, v4
	v_xor_b32_e32 v4, vcc_lo, v4
	v_and_b32_e32 v16, v16, v4
	v_lshlrev_b32_e32 v4, 25, v15
	v_cmp_gt_i64_e32 vcc, 0, v[3:4]
	v_not_b32_e32 v4, v4
	v_ashrrev_i32_e32 v4, 31, v4
	v_and_b32_e32 v18, v18, v91
	v_xor_b32_e32 v91, vcc_hi, v4
	v_xor_b32_e32 v4, vcc_lo, v4
	v_and_b32_e32 v18, v18, v91
	v_and_b32_e32 v91, v16, v4
	v_lshlrev_b32_e32 v4, 24, v15
	v_cmp_gt_i64_e32 vcc, 0, v[3:4]
	v_not_b32_e32 v4, v4
	v_ashrrev_i32_e32 v4, 31, v4
	v_mul_u32_u24_e32 v17, 20, v15
	v_xor_b32_e32 v15, vcc_hi, v4
	v_xor_b32_e32 v4, vcc_lo, v4
	v_and_b32_e32 v16, v18, v15
	v_and_b32_e32 v15, v91, v4
	v_mbcnt_lo_u32_b32 v4, v15, 0
	v_mbcnt_hi_u32_b32 v4, v16, v4
	v_cmp_ne_u64_e32 vcc, 0, v[15:16]
	v_cmp_eq_u32_e64 s[38:39], 0, v4
	s_and_b64 s[40:41], vcc, s[38:39]
	v_add_u32_e32 v91, v75, v17
	; wave barrier
	s_and_saveexec_b64 s[38:39], s[40:41]
	s_cbranch_execz .LBB1019_368
; %bb.367:                              ;   in Loop: Header=BB1019_350 Depth=2
	v_bcnt_u32_b32 v15, v15, 0
	v_bcnt_u32_b32 v15, v16, v15
	s_waitcnt lgkmcnt(0)
	v_add_u32_e32 v15, v89, v15
	ds_write_b32 v91, v15 offset:1040
.LBB1019_368:                           ;   in Loop: Header=BB1019_350 Depth=2
	s_or_b64 exec, exec, s[38:39]
	; wave barrier
	s_waitcnt lgkmcnt(0)
	s_barrier
	ds_read2_b32 v[17:18], v56 offset1:1
	ds_read2_b32 v[15:16], v57 offset1:1
	ds_read_b32 v92, v26 offset:1056
	s_waitcnt lgkmcnt(1)
	v_add3_u32 v93, v18, v17, v15
	s_waitcnt lgkmcnt(0)
	v_add3_u32 v92, v93, v16, v92
	s_nop 1
	v_mov_b32_dpp v93, v92 row_shr:1 row_mask:0xf bank_mask:0xf
	v_cndmask_b32_e64 v93, v93, 0, s[18:19]
	v_add_u32_e32 v92, v93, v92
	s_nop 1
	v_mov_b32_dpp v93, v92 row_shr:2 row_mask:0xf bank_mask:0xf
	v_cndmask_b32_e64 v93, 0, v93, s[20:21]
	v_add_u32_e32 v92, v92, v93
	;; [unrolled: 4-line block ×4, first 2 shown]
	s_nop 1
	v_mov_b32_dpp v93, v92 row_bcast:15 row_mask:0xf bank_mask:0xf
	v_cndmask_b32_e64 v93, v93, 0, s[26:27]
	v_add_u32_e32 v92, v92, v93
	s_nop 1
	v_mov_b32_dpp v93, v92 row_bcast:31 row_mask:0xf bank_mask:0xf
	v_cndmask_b32_e64 v93, 0, v93, s[28:29]
	v_add_u32_e32 v92, v92, v93
	s_and_saveexec_b64 s[38:39], s[8:9]
; %bb.369:                              ;   in Loop: Header=BB1019_350 Depth=2
	ds_write_b32 v25, v92 offset:1024
; %bb.370:                              ;   in Loop: Header=BB1019_350 Depth=2
	s_or_b64 exec, exec, s[38:39]
	s_waitcnt lgkmcnt(0)
	s_barrier
	s_and_saveexec_b64 s[38:39], s[10:11]
	s_cbranch_execz .LBB1019_372
; %bb.371:                              ;   in Loop: Header=BB1019_350 Depth=2
	ds_read_b32 v93, v27 offset:1024
	s_waitcnt lgkmcnt(0)
	s_nop 0
	v_mov_b32_dpp v94, v93 row_shr:1 row_mask:0xf bank_mask:0xf
	v_cndmask_b32_e64 v94, v94, 0, s[34:35]
	v_add_u32_e32 v93, v94, v93
	s_nop 1
	v_mov_b32_dpp v94, v93 row_shr:2 row_mask:0xf bank_mask:0xf
	v_cndmask_b32_e64 v94, 0, v94, s[36:37]
	v_add_u32_e32 v93, v93, v94
	ds_write_b32 v27, v93 offset:1024
.LBB1019_372:                           ;   in Loop: Header=BB1019_350 Depth=2
	s_or_b64 exec, exec, s[38:39]
	v_mov_b32_e32 v93, 0
	s_waitcnt lgkmcnt(0)
	s_barrier
	s_and_saveexec_b64 s[38:39], s[12:13]
; %bb.373:                              ;   in Loop: Header=BB1019_350 Depth=2
	ds_read_b32 v93, v25 offset:1020
; %bb.374:                              ;   in Loop: Header=BB1019_350 Depth=2
	s_or_b64 exec, exec, s[38:39]
	s_waitcnt lgkmcnt(0)
	v_add_u32_e32 v92, v93, v92
	ds_bpermute_b32 v92, v68, v92
	s_waitcnt lgkmcnt(0)
	v_cndmask_b32_e64 v92, v92, v93, s[30:31]
	v_cndmask_b32_e64 v92, v92, 0, s[14:15]
	v_add_u32_e32 v17, v92, v17
	v_add_u32_e32 v18, v17, v18
	;; [unrolled: 1-line block ×4, first 2 shown]
	ds_write2_b32 v56, v92, v17 offset1:1
	ds_write2_b32 v57, v18, v15 offset1:1
	ds_write_b32 v26, v16 offset:1056
	s_waitcnt lgkmcnt(0)
	s_barrier
	ds_read_b32 v15, v82 offset:1040
	ds_read_b32 v16, v86 offset:1040
	;; [unrolled: 1-line block ×5, first 2 shown]
	v_mov_b32_e32 v82, 0x400
	s_and_saveexec_b64 s[38:39], s[16:17]
; %bb.375:                              ;   in Loop: Header=BB1019_350 Depth=2
	ds_read_b32 v82, v26 offset:1060
; %bb.376:                              ;   in Loop: Header=BB1019_350 Depth=2
	s_or_b64 exec, exec, s[38:39]
	s_waitcnt lgkmcnt(0)
	s_barrier
	s_and_saveexec_b64 s[38:39], s[4:5]
	s_cbranch_execz .LBB1019_378
; %bb.377:                              ;   in Loop: Header=BB1019_350 Depth=2
	ds_read_b32 v90, v19
	s_waitcnt lgkmcnt(0)
	v_sub_u32_e32 v86, v90, v86
	ds_write_b32 v19, v86
.LBB1019_378:                           ;   in Loop: Header=BB1019_350 Depth=2
	s_or_b64 exec, exec, s[38:39]
	v_add_u32_e32 v86, v15, v79
	v_add3_u32 v83, v83, v81, v16
	v_add3_u32 v81, v87, v85, v17
	;; [unrolled: 1-line block ×3, first 2 shown]
	v_lshlrev_b32_e32 v16, 1, v86
	ds_write_b16 v16, v6 offset:1024
	v_lshlrev_b32_e32 v15, 1, v83
	v_lshlrev_b32_e32 v6, 1, v81
	;; [unrolled: 1-line block ×3, first 2 shown]
	v_cmp_lt_u32_e32 vcc, v0, v78
	ds_write_b16 v15, v80 offset:1024
	ds_write_b16 v6, v84 offset:1024
	;; [unrolled: 1-line block ×3, first 2 shown]
	s_waitcnt lgkmcnt(0)
	s_barrier
	s_and_saveexec_b64 s[40:41], vcc
	s_cbranch_execnz .LBB1019_399
; %bb.379:                              ;   in Loop: Header=BB1019_350 Depth=2
	s_or_b64 exec, exec, s[40:41]
	v_cmp_lt_u32_e64 s[38:39], v20, v78
	s_and_saveexec_b64 s[42:43], s[38:39]
	s_cbranch_execnz .LBB1019_400
.LBB1019_380:                           ;   in Loop: Header=BB1019_350 Depth=2
	s_or_b64 exec, exec, s[42:43]
	v_cmp_lt_u32_e64 s[40:41], v49, v78
	s_and_saveexec_b64 s[44:45], s[40:41]
	s_cbranch_execnz .LBB1019_401
.LBB1019_381:                           ;   in Loop: Header=BB1019_350 Depth=2
	s_or_b64 exec, exec, s[44:45]
	v_cmp_lt_u32_e64 s[42:43], v50, v78
	s_and_saveexec_b64 s[54:55], s[42:43]
	s_cbranch_execz .LBB1019_383
.LBB1019_382:                           ;   in Loop: Header=BB1019_350 Depth=2
	ds_read_u16 v17, v32 offset:2560
	v_mov_b32_e32 v84, s53
	s_waitcnt lgkmcnt(0)
	v_lshrrev_b32_sdwa v18, s69, v17 dst_sel:DWORD dst_unused:UNUSED_PAD src0_sel:DWORD src1_sel:WORD_0
	v_and_b32_e32 v18, s62, v18
	v_lshlrev_b32_e32 v18, 2, v18
	ds_read_b32 v80, v18
	v_mov_b32_e32 v18, v3
	v_xor_b32_e32 v85, 0xffff8000, v17
	s_waitcnt lgkmcnt(0)
	v_add_u32_e32 v17, v80, v50
	v_lshlrev_b64 v[17:18], 1, v[17:18]
	v_add_co_u32_e64 v17, s[44:45], s52, v17
	v_addc_co_u32_e64 v18, s[44:45], v84, v18, s[44:45]
	global_store_short v[17:18], v85, off
.LBB1019_383:                           ;   in Loop: Header=BB1019_350 Depth=2
	s_or_b64 exec, exec, s[54:55]
	s_lshl_b64 s[44:45], s[56:57], 3
	v_mov_b32_e32 v18, s45
	v_add_co_u32_e64 v17, s[44:45], s44, v69
	v_addc_co_u32_e64 v18, s[44:45], v70, v18, s[44:45]
	v_cmp_lt_u32_e64 s[44:45], v47, v78
	s_and_saveexec_b64 s[54:55], s[44:45]
	s_xor_b64 s[44:45], exec, s[54:55]
	s_cbranch_execnz .LBB1019_402
; %bb.384:                              ;   in Loop: Header=BB1019_350 Depth=2
	s_or_b64 exec, exec, s[44:45]
	v_cmp_lt_u32_e64 s[44:45], v64, v78
	s_and_saveexec_b64 s[54:55], s[44:45]
	s_cbranch_execnz .LBB1019_403
.LBB1019_385:                           ;   in Loop: Header=BB1019_350 Depth=2
	s_or_b64 exec, exec, s[54:55]
	v_cmp_lt_u32_e64 s[44:45], v65, v78
	s_and_saveexec_b64 s[54:55], s[44:45]
	s_cbranch_execnz .LBB1019_404
.LBB1019_386:                           ;   in Loop: Header=BB1019_350 Depth=2
	s_or_b64 exec, exec, s[54:55]
	v_cmp_lt_u32_e64 s[44:45], v66, v78
	s_and_saveexec_b64 s[54:55], s[44:45]
	s_cbranch_execnz .LBB1019_405
.LBB1019_387:                           ;   in Loop: Header=BB1019_350 Depth=2
	s_or_b64 exec, exec, s[54:55]
	s_and_saveexec_b64 s[44:45], vcc
	s_cbranch_execnz .LBB1019_406
.LBB1019_388:                           ;   in Loop: Header=BB1019_350 Depth=2
	s_or_b64 exec, exec, s[44:45]
	s_and_saveexec_b64 s[44:45], s[38:39]
	s_cbranch_execnz .LBB1019_407
.LBB1019_389:                           ;   in Loop: Header=BB1019_350 Depth=2
	s_or_b64 exec, exec, s[44:45]
	s_and_saveexec_b64 s[44:45], s[40:41]
	s_cbranch_execnz .LBB1019_408
.LBB1019_390:                           ;   in Loop: Header=BB1019_350 Depth=2
	s_or_b64 exec, exec, s[44:45]
	s_and_saveexec_b64 s[44:45], s[42:43]
	s_cbranch_execz .LBB1019_392
.LBB1019_391:                           ;   in Loop: Header=BB1019_350 Depth=2
	ds_read_u16 v17, v32 offset:2560
	s_waitcnt lgkmcnt(0)
	v_lshrrev_b32_e32 v17, s69, v17
	v_and_b32_e32 v73, s62, v17
.LBB1019_392:                           ;   in Loop: Header=BB1019_350 Depth=2
	s_or_b64 exec, exec, s[44:45]
	v_mad_u64_u32 v[16:17], s[44:45], v86, 6, v[16:17]
	s_waitcnt vmcnt(0)
	v_mad_u64_u32 v[80:81], s[44:45], v81, 6, v[6:7]
	v_mad_u64_u32 v[17:18], s[44:45], v83, 6, v[15:16]
	v_mad_u64_u32 v[78:79], s[44:45], v79, 6, v[4:5]
	v_add_u32_e32 v4, v32, v54
	s_barrier
	ds_write_b64 v16, v[13:14] offset:1024
	ds_write_b64 v17, v[11:12] offset:1024
	ds_write_b64 v80, v[9:10] offset:1024
	ds_write_b64 v78, v[7:8] offset:1024
	s_waitcnt lgkmcnt(0)
	s_barrier
	s_and_saveexec_b64 s[44:45], vcc
	s_cbranch_execnz .LBB1019_409
; %bb.393:                              ;   in Loop: Header=BB1019_350 Depth=2
	s_or_b64 exec, exec, s[44:45]
	s_and_saveexec_b64 s[44:45], s[38:39]
	s_cbranch_execnz .LBB1019_410
.LBB1019_394:                           ;   in Loop: Header=BB1019_350 Depth=2
	s_or_b64 exec, exec, s[44:45]
	s_and_saveexec_b64 s[38:39], s[40:41]
	s_cbranch_execnz .LBB1019_411
.LBB1019_395:                           ;   in Loop: Header=BB1019_350 Depth=2
	s_or_b64 exec, exec, s[38:39]
	s_and_saveexec_b64 s[38:39], s[42:43]
	s_cbranch_execz .LBB1019_397
.LBB1019_396:                           ;   in Loop: Header=BB1019_350 Depth=2
	v_lshlrev_b32_e32 v6, 2, v73
	ds_read_b32 v6, v6
	ds_read_b64 v[15:16], v4 offset:7168
	v_mov_b32_e32 v18, v3
	v_mov_b32_e32 v4, s67
	s_waitcnt lgkmcnt(1)
	v_add_u32_e32 v17, v6, v50
	v_lshlrev_b64 v[17:18], 3, v[17:18]
	v_add_co_u32_e32 v17, vcc, s66, v17
	v_addc_co_u32_e32 v18, vcc, v4, v18, vcc
	s_waitcnt lgkmcnt(0)
	global_store_dwordx2 v[17:18], v[15:16], off
.LBB1019_397:                           ;   in Loop: Header=BB1019_350 Depth=2
	s_or_b64 exec, exec, s[38:39]
	s_waitcnt vmcnt(0)
	s_barrier
	s_and_saveexec_b64 s[38:39], s[4:5]
	s_cbranch_execz .LBB1019_349
; %bb.398:                              ;   in Loop: Header=BB1019_350 Depth=2
	ds_read_b32 v4, v19
	s_waitcnt lgkmcnt(0)
	v_add_u32_e32 v4, v4, v82
	ds_write_b32 v19, v4
	s_branch .LBB1019_349
.LBB1019_399:                           ;   in Loop: Header=BB1019_350 Depth=2
	ds_read_u16 v17, v32 offset:1024
	v_mov_b32_e32 v84, s53
	s_waitcnt lgkmcnt(0)
	v_lshrrev_b32_sdwa v18, s69, v17 dst_sel:DWORD dst_unused:UNUSED_PAD src0_sel:DWORD src1_sel:WORD_0
	v_and_b32_e32 v18, s62, v18
	v_lshlrev_b32_e32 v18, 2, v18
	ds_read_b32 v80, v18
	v_mov_b32_e32 v18, v3
	v_xor_b32_e32 v85, 0xffff8000, v17
	s_waitcnt lgkmcnt(0)
	v_add_u32_e32 v17, v80, v0
	v_lshlrev_b64 v[17:18], 1, v[17:18]
	v_add_co_u32_e64 v17, s[38:39], s52, v17
	v_addc_co_u32_e64 v18, s[38:39], v84, v18, s[38:39]
	global_store_short v[17:18], v85, off
	s_or_b64 exec, exec, s[40:41]
	v_cmp_lt_u32_e64 s[38:39], v20, v78
	s_and_saveexec_b64 s[42:43], s[38:39]
	s_cbranch_execz .LBB1019_380
.LBB1019_400:                           ;   in Loop: Header=BB1019_350 Depth=2
	ds_read_u16 v17, v32 offset:1536
	v_mov_b32_e32 v84, s53
	s_waitcnt lgkmcnt(0)
	v_lshrrev_b32_sdwa v18, s69, v17 dst_sel:DWORD dst_unused:UNUSED_PAD src0_sel:DWORD src1_sel:WORD_0
	v_and_b32_e32 v18, s62, v18
	v_lshlrev_b32_e32 v18, 2, v18
	ds_read_b32 v80, v18
	v_mov_b32_e32 v18, v3
	v_xor_b32_e32 v85, 0xffff8000, v17
	s_waitcnt lgkmcnt(0)
	v_add_u32_e32 v17, v80, v20
	v_lshlrev_b64 v[17:18], 1, v[17:18]
	v_add_co_u32_e64 v17, s[40:41], s52, v17
	v_addc_co_u32_e64 v18, s[40:41], v84, v18, s[40:41]
	global_store_short v[17:18], v85, off
	s_or_b64 exec, exec, s[42:43]
	v_cmp_lt_u32_e64 s[40:41], v49, v78
	s_and_saveexec_b64 s[44:45], s[40:41]
	s_cbranch_execz .LBB1019_381
.LBB1019_401:                           ;   in Loop: Header=BB1019_350 Depth=2
	ds_read_u16 v17, v32 offset:2048
	v_mov_b32_e32 v84, s53
	s_waitcnt lgkmcnt(0)
	v_lshrrev_b32_sdwa v18, s69, v17 dst_sel:DWORD dst_unused:UNUSED_PAD src0_sel:DWORD src1_sel:WORD_0
	v_and_b32_e32 v18, s62, v18
	v_lshlrev_b32_e32 v18, 2, v18
	ds_read_b32 v80, v18
	v_mov_b32_e32 v18, v3
	v_xor_b32_e32 v85, 0xffff8000, v17
	s_waitcnt lgkmcnt(0)
	v_add_u32_e32 v17, v80, v49
	v_lshlrev_b64 v[17:18], 1, v[17:18]
	v_add_co_u32_e64 v17, s[42:43], s52, v17
	v_addc_co_u32_e64 v18, s[42:43], v84, v18, s[42:43]
	global_store_short v[17:18], v85, off
	s_or_b64 exec, exec, s[44:45]
	v_cmp_lt_u32_e64 s[42:43], v50, v78
	s_and_saveexec_b64 s[54:55], s[42:43]
	s_cbranch_execnz .LBB1019_382
	s_branch .LBB1019_383
.LBB1019_402:                           ;   in Loop: Header=BB1019_350 Depth=2
	global_load_dwordx2 v[13:14], v[17:18], off
	s_or_b64 exec, exec, s[44:45]
	v_cmp_lt_u32_e64 s[44:45], v64, v78
	s_and_saveexec_b64 s[54:55], s[44:45]
	s_cbranch_execz .LBB1019_385
.LBB1019_403:                           ;   in Loop: Header=BB1019_350 Depth=2
	global_load_dwordx2 v[11:12], v[17:18], off offset:512
	s_or_b64 exec, exec, s[54:55]
	v_cmp_lt_u32_e64 s[44:45], v65, v78
	s_and_saveexec_b64 s[54:55], s[44:45]
	s_cbranch_execz .LBB1019_386
.LBB1019_404:                           ;   in Loop: Header=BB1019_350 Depth=2
	global_load_dwordx2 v[9:10], v[17:18], off offset:1024
	s_or_b64 exec, exec, s[54:55]
	v_cmp_lt_u32_e64 s[44:45], v66, v78
	s_and_saveexec_b64 s[54:55], s[44:45]
	s_cbranch_execz .LBB1019_387
.LBB1019_405:                           ;   in Loop: Header=BB1019_350 Depth=2
	global_load_dwordx2 v[7:8], v[17:18], off offset:1536
	s_or_b64 exec, exec, s[54:55]
	s_and_saveexec_b64 s[44:45], vcc
	s_cbranch_execz .LBB1019_388
.LBB1019_406:                           ;   in Loop: Header=BB1019_350 Depth=2
	ds_read_u16 v17, v32 offset:1024
	s_waitcnt lgkmcnt(0)
	v_lshrrev_b32_e32 v17, s69, v17
	v_and_b32_e32 v77, s62, v17
	s_or_b64 exec, exec, s[44:45]
	s_and_saveexec_b64 s[44:45], s[38:39]
	s_cbranch_execz .LBB1019_389
.LBB1019_407:                           ;   in Loop: Header=BB1019_350 Depth=2
	ds_read_u16 v17, v32 offset:1536
	s_waitcnt lgkmcnt(0)
	v_lshrrev_b32_e32 v17, s69, v17
	v_and_b32_e32 v76, s62, v17
	s_or_b64 exec, exec, s[44:45]
	s_and_saveexec_b64 s[44:45], s[40:41]
	s_cbranch_execz .LBB1019_390
.LBB1019_408:                           ;   in Loop: Header=BB1019_350 Depth=2
	ds_read_u16 v17, v32 offset:2048
	s_waitcnt lgkmcnt(0)
	v_lshrrev_b32_e32 v17, s69, v17
	v_and_b32_e32 v74, s62, v17
	s_or_b64 exec, exec, s[44:45]
	s_and_saveexec_b64 s[44:45], s[42:43]
	s_cbranch_execnz .LBB1019_391
	s_branch .LBB1019_392
.LBB1019_409:                           ;   in Loop: Header=BB1019_350 Depth=2
	v_lshlrev_b32_e32 v6, 2, v77
	ds_read_b32 v6, v6
	ds_read_b64 v[15:16], v4 offset:1024
	v_mov_b32_e32 v18, v3
	v_mov_b32_e32 v78, s67
	s_waitcnt lgkmcnt(1)
	v_add_u32_e32 v17, v6, v0
	v_lshlrev_b64 v[17:18], 3, v[17:18]
	v_add_co_u32_e32 v17, vcc, s66, v17
	v_addc_co_u32_e32 v18, vcc, v78, v18, vcc
	s_waitcnt lgkmcnt(0)
	global_store_dwordx2 v[17:18], v[15:16], off
	s_or_b64 exec, exec, s[44:45]
	s_and_saveexec_b64 s[44:45], s[38:39]
	s_cbranch_execz .LBB1019_394
.LBB1019_410:                           ;   in Loop: Header=BB1019_350 Depth=2
	v_lshlrev_b32_e32 v6, 2, v76
	ds_read_b32 v6, v6
	ds_read_b64 v[15:16], v4 offset:3072
	v_mov_b32_e32 v18, v3
	v_mov_b32_e32 v78, s67
	s_waitcnt lgkmcnt(1)
	v_add_u32_e32 v17, v6, v20
	v_lshlrev_b64 v[17:18], 3, v[17:18]
	v_add_co_u32_e32 v17, vcc, s66, v17
	v_addc_co_u32_e32 v18, vcc, v78, v18, vcc
	s_waitcnt lgkmcnt(0)
	global_store_dwordx2 v[17:18], v[15:16], off
	s_or_b64 exec, exec, s[44:45]
	s_and_saveexec_b64 s[38:39], s[40:41]
	s_cbranch_execz .LBB1019_395
.LBB1019_411:                           ;   in Loop: Header=BB1019_350 Depth=2
	v_lshlrev_b32_e32 v6, 2, v74
	ds_read_b32 v6, v6
	ds_read_b64 v[15:16], v4 offset:5120
	v_mov_b32_e32 v18, v3
	v_mov_b32_e32 v78, s67
	s_waitcnt lgkmcnt(1)
	v_add_u32_e32 v17, v6, v49
	v_lshlrev_b64 v[17:18], 3, v[17:18]
	v_add_co_u32_e32 v17, vcc, s66, v17
	v_addc_co_u32_e32 v18, vcc, v78, v18, vcc
	s_waitcnt lgkmcnt(0)
	global_store_dwordx2 v[17:18], v[15:16], off
	s_or_b64 exec, exec, s[38:39]
	s_and_saveexec_b64 s[38:39], s[42:43]
	s_cbranch_execnz .LBB1019_396
	s_branch .LBB1019_397
.LBB1019_412:                           ;   in Loop: Header=BB1019_350 Depth=2
	global_load_ushort v4, v[17:18], off
	v_mov_b32_e32 v16, v5
	s_waitcnt vmcnt(0)
	v_perm_b32 v15, s60, v4, v67
	s_or_b64 exec, exec, s[38:39]
	v_cmp_gt_u32_e32 vcc, s63, v64
	s_and_saveexec_b64 s[38:39], vcc
	s_cbranch_execz .LBB1019_355
.LBB1019_413:                           ;   in Loop: Header=BB1019_350 Depth=2
	global_load_ushort v4, v[17:18], off offset:128
	s_waitcnt vmcnt(0)
	v_perm_b32 v15, v4, v15, s7
	s_or_b64 exec, exec, s[38:39]
	v_cmp_gt_u32_e32 vcc, s63, v65
	s_and_saveexec_b64 s[38:39], vcc
	s_cbranch_execnz .LBB1019_356
	s_branch .LBB1019_357
.LBB1019_414:
	s_endpgm
	.section	.rodata,"a",@progbits
	.p2align	6, 0x0
	.amdhsa_kernel _ZN7rocprim17ROCPRIM_400000_NS6detail17trampoline_kernelINS0_14default_configENS1_36segmented_radix_sort_config_selectorIslEEZNS1_25segmented_radix_sort_implIS3_Lb0EPKsPsPKlPlN2at6native12_GLOBAL__N_18offset_tEEE10hipError_tPvRmT1_PNSt15iterator_traitsISK_E10value_typeET2_T3_PNSL_ISQ_E10value_typeET4_jRbjT5_SW_jjP12ihipStream_tbEUlT_E_NS1_11comp_targetILNS1_3genE2ELNS1_11target_archE906ELNS1_3gpuE6ELNS1_3repE0EEENS1_30default_config_static_selectorELNS0_4arch9wavefront6targetE1EEEvSK_
		.amdhsa_group_segment_fixed_size 9232
		.amdhsa_private_segment_fixed_size 0
		.amdhsa_kernarg_size 352
		.amdhsa_user_sgpr_count 6
		.amdhsa_user_sgpr_private_segment_buffer 1
		.amdhsa_user_sgpr_dispatch_ptr 0
		.amdhsa_user_sgpr_queue_ptr 0
		.amdhsa_user_sgpr_kernarg_segment_ptr 1
		.amdhsa_user_sgpr_dispatch_id 0
		.amdhsa_user_sgpr_flat_scratch_init 0
		.amdhsa_user_sgpr_private_segment_size 0
		.amdhsa_uses_dynamic_stack 0
		.amdhsa_system_sgpr_private_segment_wavefront_offset 0
		.amdhsa_system_sgpr_workgroup_id_x 1
		.amdhsa_system_sgpr_workgroup_id_y 1
		.amdhsa_system_sgpr_workgroup_id_z 0
		.amdhsa_system_sgpr_workgroup_info 0
		.amdhsa_system_vgpr_workitem_id 2
		.amdhsa_next_free_vgpr 95
		.amdhsa_next_free_sgpr 77
		.amdhsa_reserve_vcc 1
		.amdhsa_reserve_flat_scratch 0
		.amdhsa_float_round_mode_32 0
		.amdhsa_float_round_mode_16_64 0
		.amdhsa_float_denorm_mode_32 3
		.amdhsa_float_denorm_mode_16_64 3
		.amdhsa_dx10_clamp 1
		.amdhsa_ieee_mode 1
		.amdhsa_fp16_overflow 0
		.amdhsa_exception_fp_ieee_invalid_op 0
		.amdhsa_exception_fp_denorm_src 0
		.amdhsa_exception_fp_ieee_div_zero 0
		.amdhsa_exception_fp_ieee_overflow 0
		.amdhsa_exception_fp_ieee_underflow 0
		.amdhsa_exception_fp_ieee_inexact 0
		.amdhsa_exception_int_div_zero 0
	.end_amdhsa_kernel
	.section	.text._ZN7rocprim17ROCPRIM_400000_NS6detail17trampoline_kernelINS0_14default_configENS1_36segmented_radix_sort_config_selectorIslEEZNS1_25segmented_radix_sort_implIS3_Lb0EPKsPsPKlPlN2at6native12_GLOBAL__N_18offset_tEEE10hipError_tPvRmT1_PNSt15iterator_traitsISK_E10value_typeET2_T3_PNSL_ISQ_E10value_typeET4_jRbjT5_SW_jjP12ihipStream_tbEUlT_E_NS1_11comp_targetILNS1_3genE2ELNS1_11target_archE906ELNS1_3gpuE6ELNS1_3repE0EEENS1_30default_config_static_selectorELNS0_4arch9wavefront6targetE1EEEvSK_,"axG",@progbits,_ZN7rocprim17ROCPRIM_400000_NS6detail17trampoline_kernelINS0_14default_configENS1_36segmented_radix_sort_config_selectorIslEEZNS1_25segmented_radix_sort_implIS3_Lb0EPKsPsPKlPlN2at6native12_GLOBAL__N_18offset_tEEE10hipError_tPvRmT1_PNSt15iterator_traitsISK_E10value_typeET2_T3_PNSL_ISQ_E10value_typeET4_jRbjT5_SW_jjP12ihipStream_tbEUlT_E_NS1_11comp_targetILNS1_3genE2ELNS1_11target_archE906ELNS1_3gpuE6ELNS1_3repE0EEENS1_30default_config_static_selectorELNS0_4arch9wavefront6targetE1EEEvSK_,comdat
.Lfunc_end1019:
	.size	_ZN7rocprim17ROCPRIM_400000_NS6detail17trampoline_kernelINS0_14default_configENS1_36segmented_radix_sort_config_selectorIslEEZNS1_25segmented_radix_sort_implIS3_Lb0EPKsPsPKlPlN2at6native12_GLOBAL__N_18offset_tEEE10hipError_tPvRmT1_PNSt15iterator_traitsISK_E10value_typeET2_T3_PNSL_ISQ_E10value_typeET4_jRbjT5_SW_jjP12ihipStream_tbEUlT_E_NS1_11comp_targetILNS1_3genE2ELNS1_11target_archE906ELNS1_3gpuE6ELNS1_3repE0EEENS1_30default_config_static_selectorELNS0_4arch9wavefront6targetE1EEEvSK_, .Lfunc_end1019-_ZN7rocprim17ROCPRIM_400000_NS6detail17trampoline_kernelINS0_14default_configENS1_36segmented_radix_sort_config_selectorIslEEZNS1_25segmented_radix_sort_implIS3_Lb0EPKsPsPKlPlN2at6native12_GLOBAL__N_18offset_tEEE10hipError_tPvRmT1_PNSt15iterator_traitsISK_E10value_typeET2_T3_PNSL_ISQ_E10value_typeET4_jRbjT5_SW_jjP12ihipStream_tbEUlT_E_NS1_11comp_targetILNS1_3genE2ELNS1_11target_archE906ELNS1_3gpuE6ELNS1_3repE0EEENS1_30default_config_static_selectorELNS0_4arch9wavefront6targetE1EEEvSK_
                                        ; -- End function
	.set _ZN7rocprim17ROCPRIM_400000_NS6detail17trampoline_kernelINS0_14default_configENS1_36segmented_radix_sort_config_selectorIslEEZNS1_25segmented_radix_sort_implIS3_Lb0EPKsPsPKlPlN2at6native12_GLOBAL__N_18offset_tEEE10hipError_tPvRmT1_PNSt15iterator_traitsISK_E10value_typeET2_T3_PNSL_ISQ_E10value_typeET4_jRbjT5_SW_jjP12ihipStream_tbEUlT_E_NS1_11comp_targetILNS1_3genE2ELNS1_11target_archE906ELNS1_3gpuE6ELNS1_3repE0EEENS1_30default_config_static_selectorELNS0_4arch9wavefront6targetE1EEEvSK_.num_vgpr, max(95, .L_ZN7rocprim17ROCPRIM_400000_NS6detail40segmented_radix_sort_single_block_helperIslLj256ELj4ELb0EE4sortIPKsPsPKlPlEEbT_T0_T1_T2_jjjjRNS3_12storage_typeE.num_vgpr)
	.set _ZN7rocprim17ROCPRIM_400000_NS6detail17trampoline_kernelINS0_14default_configENS1_36segmented_radix_sort_config_selectorIslEEZNS1_25segmented_radix_sort_implIS3_Lb0EPKsPsPKlPlN2at6native12_GLOBAL__N_18offset_tEEE10hipError_tPvRmT1_PNSt15iterator_traitsISK_E10value_typeET2_T3_PNSL_ISQ_E10value_typeET4_jRbjT5_SW_jjP12ihipStream_tbEUlT_E_NS1_11comp_targetILNS1_3genE2ELNS1_11target_archE906ELNS1_3gpuE6ELNS1_3repE0EEENS1_30default_config_static_selectorELNS0_4arch9wavefront6targetE1EEEvSK_.num_agpr, max(0, .L_ZN7rocprim17ROCPRIM_400000_NS6detail40segmented_radix_sort_single_block_helperIslLj256ELj4ELb0EE4sortIPKsPsPKlPlEEbT_T0_T1_T2_jjjjRNS3_12storage_typeE.num_agpr)
	.set _ZN7rocprim17ROCPRIM_400000_NS6detail17trampoline_kernelINS0_14default_configENS1_36segmented_radix_sort_config_selectorIslEEZNS1_25segmented_radix_sort_implIS3_Lb0EPKsPsPKlPlN2at6native12_GLOBAL__N_18offset_tEEE10hipError_tPvRmT1_PNSt15iterator_traitsISK_E10value_typeET2_T3_PNSL_ISQ_E10value_typeET4_jRbjT5_SW_jjP12ihipStream_tbEUlT_E_NS1_11comp_targetILNS1_3genE2ELNS1_11target_archE906ELNS1_3gpuE6ELNS1_3repE0EEENS1_30default_config_static_selectorELNS0_4arch9wavefront6targetE1EEEvSK_.numbered_sgpr, max(76, .L_ZN7rocprim17ROCPRIM_400000_NS6detail40segmented_radix_sort_single_block_helperIslLj256ELj4ELb0EE4sortIPKsPsPKlPlEEbT_T0_T1_T2_jjjjRNS3_12storage_typeE.numbered_sgpr)
	.set _ZN7rocprim17ROCPRIM_400000_NS6detail17trampoline_kernelINS0_14default_configENS1_36segmented_radix_sort_config_selectorIslEEZNS1_25segmented_radix_sort_implIS3_Lb0EPKsPsPKlPlN2at6native12_GLOBAL__N_18offset_tEEE10hipError_tPvRmT1_PNSt15iterator_traitsISK_E10value_typeET2_T3_PNSL_ISQ_E10value_typeET4_jRbjT5_SW_jjP12ihipStream_tbEUlT_E_NS1_11comp_targetILNS1_3genE2ELNS1_11target_archE906ELNS1_3gpuE6ELNS1_3repE0EEENS1_30default_config_static_selectorELNS0_4arch9wavefront6targetE1EEEvSK_.num_named_barrier, max(0, .L_ZN7rocprim17ROCPRIM_400000_NS6detail40segmented_radix_sort_single_block_helperIslLj256ELj4ELb0EE4sortIPKsPsPKlPlEEbT_T0_T1_T2_jjjjRNS3_12storage_typeE.num_named_barrier)
	.set _ZN7rocprim17ROCPRIM_400000_NS6detail17trampoline_kernelINS0_14default_configENS1_36segmented_radix_sort_config_selectorIslEEZNS1_25segmented_radix_sort_implIS3_Lb0EPKsPsPKlPlN2at6native12_GLOBAL__N_18offset_tEEE10hipError_tPvRmT1_PNSt15iterator_traitsISK_E10value_typeET2_T3_PNSL_ISQ_E10value_typeET4_jRbjT5_SW_jjP12ihipStream_tbEUlT_E_NS1_11comp_targetILNS1_3genE2ELNS1_11target_archE906ELNS1_3gpuE6ELNS1_3repE0EEENS1_30default_config_static_selectorELNS0_4arch9wavefront6targetE1EEEvSK_.private_seg_size, 0+max(.L_ZN7rocprim17ROCPRIM_400000_NS6detail40segmented_radix_sort_single_block_helperIslLj256ELj4ELb0EE4sortIPKsPsPKlPlEEbT_T0_T1_T2_jjjjRNS3_12storage_typeE.private_seg_size)
	.set _ZN7rocprim17ROCPRIM_400000_NS6detail17trampoline_kernelINS0_14default_configENS1_36segmented_radix_sort_config_selectorIslEEZNS1_25segmented_radix_sort_implIS3_Lb0EPKsPsPKlPlN2at6native12_GLOBAL__N_18offset_tEEE10hipError_tPvRmT1_PNSt15iterator_traitsISK_E10value_typeET2_T3_PNSL_ISQ_E10value_typeET4_jRbjT5_SW_jjP12ihipStream_tbEUlT_E_NS1_11comp_targetILNS1_3genE2ELNS1_11target_archE906ELNS1_3gpuE6ELNS1_3repE0EEENS1_30default_config_static_selectorELNS0_4arch9wavefront6targetE1EEEvSK_.uses_vcc, or(1, .L_ZN7rocprim17ROCPRIM_400000_NS6detail40segmented_radix_sort_single_block_helperIslLj256ELj4ELb0EE4sortIPKsPsPKlPlEEbT_T0_T1_T2_jjjjRNS3_12storage_typeE.uses_vcc)
	.set _ZN7rocprim17ROCPRIM_400000_NS6detail17trampoline_kernelINS0_14default_configENS1_36segmented_radix_sort_config_selectorIslEEZNS1_25segmented_radix_sort_implIS3_Lb0EPKsPsPKlPlN2at6native12_GLOBAL__N_18offset_tEEE10hipError_tPvRmT1_PNSt15iterator_traitsISK_E10value_typeET2_T3_PNSL_ISQ_E10value_typeET4_jRbjT5_SW_jjP12ihipStream_tbEUlT_E_NS1_11comp_targetILNS1_3genE2ELNS1_11target_archE906ELNS1_3gpuE6ELNS1_3repE0EEENS1_30default_config_static_selectorELNS0_4arch9wavefront6targetE1EEEvSK_.uses_flat_scratch, or(0, .L_ZN7rocprim17ROCPRIM_400000_NS6detail40segmented_radix_sort_single_block_helperIslLj256ELj4ELb0EE4sortIPKsPsPKlPlEEbT_T0_T1_T2_jjjjRNS3_12storage_typeE.uses_flat_scratch)
	.set _ZN7rocprim17ROCPRIM_400000_NS6detail17trampoline_kernelINS0_14default_configENS1_36segmented_radix_sort_config_selectorIslEEZNS1_25segmented_radix_sort_implIS3_Lb0EPKsPsPKlPlN2at6native12_GLOBAL__N_18offset_tEEE10hipError_tPvRmT1_PNSt15iterator_traitsISK_E10value_typeET2_T3_PNSL_ISQ_E10value_typeET4_jRbjT5_SW_jjP12ihipStream_tbEUlT_E_NS1_11comp_targetILNS1_3genE2ELNS1_11target_archE906ELNS1_3gpuE6ELNS1_3repE0EEENS1_30default_config_static_selectorELNS0_4arch9wavefront6targetE1EEEvSK_.has_dyn_sized_stack, or(0, .L_ZN7rocprim17ROCPRIM_400000_NS6detail40segmented_radix_sort_single_block_helperIslLj256ELj4ELb0EE4sortIPKsPsPKlPlEEbT_T0_T1_T2_jjjjRNS3_12storage_typeE.has_dyn_sized_stack)
	.set _ZN7rocprim17ROCPRIM_400000_NS6detail17trampoline_kernelINS0_14default_configENS1_36segmented_radix_sort_config_selectorIslEEZNS1_25segmented_radix_sort_implIS3_Lb0EPKsPsPKlPlN2at6native12_GLOBAL__N_18offset_tEEE10hipError_tPvRmT1_PNSt15iterator_traitsISK_E10value_typeET2_T3_PNSL_ISQ_E10value_typeET4_jRbjT5_SW_jjP12ihipStream_tbEUlT_E_NS1_11comp_targetILNS1_3genE2ELNS1_11target_archE906ELNS1_3gpuE6ELNS1_3repE0EEENS1_30default_config_static_selectorELNS0_4arch9wavefront6targetE1EEEvSK_.has_recursion, or(0, .L_ZN7rocprim17ROCPRIM_400000_NS6detail40segmented_radix_sort_single_block_helperIslLj256ELj4ELb0EE4sortIPKsPsPKlPlEEbT_T0_T1_T2_jjjjRNS3_12storage_typeE.has_recursion)
	.set _ZN7rocprim17ROCPRIM_400000_NS6detail17trampoline_kernelINS0_14default_configENS1_36segmented_radix_sort_config_selectorIslEEZNS1_25segmented_radix_sort_implIS3_Lb0EPKsPsPKlPlN2at6native12_GLOBAL__N_18offset_tEEE10hipError_tPvRmT1_PNSt15iterator_traitsISK_E10value_typeET2_T3_PNSL_ISQ_E10value_typeET4_jRbjT5_SW_jjP12ihipStream_tbEUlT_E_NS1_11comp_targetILNS1_3genE2ELNS1_11target_archE906ELNS1_3gpuE6ELNS1_3repE0EEENS1_30default_config_static_selectorELNS0_4arch9wavefront6targetE1EEEvSK_.has_indirect_call, or(0, .L_ZN7rocprim17ROCPRIM_400000_NS6detail40segmented_radix_sort_single_block_helperIslLj256ELj4ELb0EE4sortIPKsPsPKlPlEEbT_T0_T1_T2_jjjjRNS3_12storage_typeE.has_indirect_call)
	.section	.AMDGPU.csdata,"",@progbits
; Kernel info:
; codeLenInByte = 21412
; TotalNumSgprs: 80
; NumVgprs: 95
; ScratchSize: 0
; MemoryBound: 0
; FloatMode: 240
; IeeeMode: 1
; LDSByteSize: 9232 bytes/workgroup (compile time only)
; SGPRBlocks: 10
; VGPRBlocks: 23
; NumSGPRsForWavesPerEU: 81
; NumVGPRsForWavesPerEU: 95
; Occupancy: 2
; WaveLimiterHint : 1
; COMPUTE_PGM_RSRC2:SCRATCH_EN: 0
; COMPUTE_PGM_RSRC2:USER_SGPR: 6
; COMPUTE_PGM_RSRC2:TRAP_HANDLER: 0
; COMPUTE_PGM_RSRC2:TGID_X_EN: 1
; COMPUTE_PGM_RSRC2:TGID_Y_EN: 1
; COMPUTE_PGM_RSRC2:TGID_Z_EN: 0
; COMPUTE_PGM_RSRC2:TIDIG_COMP_CNT: 2
	.section	.text._ZN7rocprim17ROCPRIM_400000_NS6detail17trampoline_kernelINS0_14default_configENS1_36segmented_radix_sort_config_selectorIslEEZNS1_25segmented_radix_sort_implIS3_Lb0EPKsPsPKlPlN2at6native12_GLOBAL__N_18offset_tEEE10hipError_tPvRmT1_PNSt15iterator_traitsISK_E10value_typeET2_T3_PNSL_ISQ_E10value_typeET4_jRbjT5_SW_jjP12ihipStream_tbEUlT_E_NS1_11comp_targetILNS1_3genE10ELNS1_11target_archE1201ELNS1_3gpuE5ELNS1_3repE0EEENS1_30default_config_static_selectorELNS0_4arch9wavefront6targetE1EEEvSK_,"axG",@progbits,_ZN7rocprim17ROCPRIM_400000_NS6detail17trampoline_kernelINS0_14default_configENS1_36segmented_radix_sort_config_selectorIslEEZNS1_25segmented_radix_sort_implIS3_Lb0EPKsPsPKlPlN2at6native12_GLOBAL__N_18offset_tEEE10hipError_tPvRmT1_PNSt15iterator_traitsISK_E10value_typeET2_T3_PNSL_ISQ_E10value_typeET4_jRbjT5_SW_jjP12ihipStream_tbEUlT_E_NS1_11comp_targetILNS1_3genE10ELNS1_11target_archE1201ELNS1_3gpuE5ELNS1_3repE0EEENS1_30default_config_static_selectorELNS0_4arch9wavefront6targetE1EEEvSK_,comdat
	.globl	_ZN7rocprim17ROCPRIM_400000_NS6detail17trampoline_kernelINS0_14default_configENS1_36segmented_radix_sort_config_selectorIslEEZNS1_25segmented_radix_sort_implIS3_Lb0EPKsPsPKlPlN2at6native12_GLOBAL__N_18offset_tEEE10hipError_tPvRmT1_PNSt15iterator_traitsISK_E10value_typeET2_T3_PNSL_ISQ_E10value_typeET4_jRbjT5_SW_jjP12ihipStream_tbEUlT_E_NS1_11comp_targetILNS1_3genE10ELNS1_11target_archE1201ELNS1_3gpuE5ELNS1_3repE0EEENS1_30default_config_static_selectorELNS0_4arch9wavefront6targetE1EEEvSK_ ; -- Begin function _ZN7rocprim17ROCPRIM_400000_NS6detail17trampoline_kernelINS0_14default_configENS1_36segmented_radix_sort_config_selectorIslEEZNS1_25segmented_radix_sort_implIS3_Lb0EPKsPsPKlPlN2at6native12_GLOBAL__N_18offset_tEEE10hipError_tPvRmT1_PNSt15iterator_traitsISK_E10value_typeET2_T3_PNSL_ISQ_E10value_typeET4_jRbjT5_SW_jjP12ihipStream_tbEUlT_E_NS1_11comp_targetILNS1_3genE10ELNS1_11target_archE1201ELNS1_3gpuE5ELNS1_3repE0EEENS1_30default_config_static_selectorELNS0_4arch9wavefront6targetE1EEEvSK_
	.p2align	8
	.type	_ZN7rocprim17ROCPRIM_400000_NS6detail17trampoline_kernelINS0_14default_configENS1_36segmented_radix_sort_config_selectorIslEEZNS1_25segmented_radix_sort_implIS3_Lb0EPKsPsPKlPlN2at6native12_GLOBAL__N_18offset_tEEE10hipError_tPvRmT1_PNSt15iterator_traitsISK_E10value_typeET2_T3_PNSL_ISQ_E10value_typeET4_jRbjT5_SW_jjP12ihipStream_tbEUlT_E_NS1_11comp_targetILNS1_3genE10ELNS1_11target_archE1201ELNS1_3gpuE5ELNS1_3repE0EEENS1_30default_config_static_selectorELNS0_4arch9wavefront6targetE1EEEvSK_,@function
_ZN7rocprim17ROCPRIM_400000_NS6detail17trampoline_kernelINS0_14default_configENS1_36segmented_radix_sort_config_selectorIslEEZNS1_25segmented_radix_sort_implIS3_Lb0EPKsPsPKlPlN2at6native12_GLOBAL__N_18offset_tEEE10hipError_tPvRmT1_PNSt15iterator_traitsISK_E10value_typeET2_T3_PNSL_ISQ_E10value_typeET4_jRbjT5_SW_jjP12ihipStream_tbEUlT_E_NS1_11comp_targetILNS1_3genE10ELNS1_11target_archE1201ELNS1_3gpuE5ELNS1_3repE0EEENS1_30default_config_static_selectorELNS0_4arch9wavefront6targetE1EEEvSK_: ; @_ZN7rocprim17ROCPRIM_400000_NS6detail17trampoline_kernelINS0_14default_configENS1_36segmented_radix_sort_config_selectorIslEEZNS1_25segmented_radix_sort_implIS3_Lb0EPKsPsPKlPlN2at6native12_GLOBAL__N_18offset_tEEE10hipError_tPvRmT1_PNSt15iterator_traitsISK_E10value_typeET2_T3_PNSL_ISQ_E10value_typeET4_jRbjT5_SW_jjP12ihipStream_tbEUlT_E_NS1_11comp_targetILNS1_3genE10ELNS1_11target_archE1201ELNS1_3gpuE5ELNS1_3repE0EEENS1_30default_config_static_selectorELNS0_4arch9wavefront6targetE1EEEvSK_
; %bb.0:
	.section	.rodata,"a",@progbits
	.p2align	6, 0x0
	.amdhsa_kernel _ZN7rocprim17ROCPRIM_400000_NS6detail17trampoline_kernelINS0_14default_configENS1_36segmented_radix_sort_config_selectorIslEEZNS1_25segmented_radix_sort_implIS3_Lb0EPKsPsPKlPlN2at6native12_GLOBAL__N_18offset_tEEE10hipError_tPvRmT1_PNSt15iterator_traitsISK_E10value_typeET2_T3_PNSL_ISQ_E10value_typeET4_jRbjT5_SW_jjP12ihipStream_tbEUlT_E_NS1_11comp_targetILNS1_3genE10ELNS1_11target_archE1201ELNS1_3gpuE5ELNS1_3repE0EEENS1_30default_config_static_selectorELNS0_4arch9wavefront6targetE1EEEvSK_
		.amdhsa_group_segment_fixed_size 0
		.amdhsa_private_segment_fixed_size 0
		.amdhsa_kernarg_size 96
		.amdhsa_user_sgpr_count 6
		.amdhsa_user_sgpr_private_segment_buffer 1
		.amdhsa_user_sgpr_dispatch_ptr 0
		.amdhsa_user_sgpr_queue_ptr 0
		.amdhsa_user_sgpr_kernarg_segment_ptr 1
		.amdhsa_user_sgpr_dispatch_id 0
		.amdhsa_user_sgpr_flat_scratch_init 0
		.amdhsa_user_sgpr_private_segment_size 0
		.amdhsa_uses_dynamic_stack 0
		.amdhsa_system_sgpr_private_segment_wavefront_offset 0
		.amdhsa_system_sgpr_workgroup_id_x 1
		.amdhsa_system_sgpr_workgroup_id_y 0
		.amdhsa_system_sgpr_workgroup_id_z 0
		.amdhsa_system_sgpr_workgroup_info 0
		.amdhsa_system_vgpr_workitem_id 0
		.amdhsa_next_free_vgpr 1
		.amdhsa_next_free_sgpr 0
		.amdhsa_reserve_vcc 0
		.amdhsa_reserve_flat_scratch 0
		.amdhsa_float_round_mode_32 0
		.amdhsa_float_round_mode_16_64 0
		.amdhsa_float_denorm_mode_32 3
		.amdhsa_float_denorm_mode_16_64 3
		.amdhsa_dx10_clamp 1
		.amdhsa_ieee_mode 1
		.amdhsa_fp16_overflow 0
		.amdhsa_exception_fp_ieee_invalid_op 0
		.amdhsa_exception_fp_denorm_src 0
		.amdhsa_exception_fp_ieee_div_zero 0
		.amdhsa_exception_fp_ieee_overflow 0
		.amdhsa_exception_fp_ieee_underflow 0
		.amdhsa_exception_fp_ieee_inexact 0
		.amdhsa_exception_int_div_zero 0
	.end_amdhsa_kernel
	.section	.text._ZN7rocprim17ROCPRIM_400000_NS6detail17trampoline_kernelINS0_14default_configENS1_36segmented_radix_sort_config_selectorIslEEZNS1_25segmented_radix_sort_implIS3_Lb0EPKsPsPKlPlN2at6native12_GLOBAL__N_18offset_tEEE10hipError_tPvRmT1_PNSt15iterator_traitsISK_E10value_typeET2_T3_PNSL_ISQ_E10value_typeET4_jRbjT5_SW_jjP12ihipStream_tbEUlT_E_NS1_11comp_targetILNS1_3genE10ELNS1_11target_archE1201ELNS1_3gpuE5ELNS1_3repE0EEENS1_30default_config_static_selectorELNS0_4arch9wavefront6targetE1EEEvSK_,"axG",@progbits,_ZN7rocprim17ROCPRIM_400000_NS6detail17trampoline_kernelINS0_14default_configENS1_36segmented_radix_sort_config_selectorIslEEZNS1_25segmented_radix_sort_implIS3_Lb0EPKsPsPKlPlN2at6native12_GLOBAL__N_18offset_tEEE10hipError_tPvRmT1_PNSt15iterator_traitsISK_E10value_typeET2_T3_PNSL_ISQ_E10value_typeET4_jRbjT5_SW_jjP12ihipStream_tbEUlT_E_NS1_11comp_targetILNS1_3genE10ELNS1_11target_archE1201ELNS1_3gpuE5ELNS1_3repE0EEENS1_30default_config_static_selectorELNS0_4arch9wavefront6targetE1EEEvSK_,comdat
.Lfunc_end1020:
	.size	_ZN7rocprim17ROCPRIM_400000_NS6detail17trampoline_kernelINS0_14default_configENS1_36segmented_radix_sort_config_selectorIslEEZNS1_25segmented_radix_sort_implIS3_Lb0EPKsPsPKlPlN2at6native12_GLOBAL__N_18offset_tEEE10hipError_tPvRmT1_PNSt15iterator_traitsISK_E10value_typeET2_T3_PNSL_ISQ_E10value_typeET4_jRbjT5_SW_jjP12ihipStream_tbEUlT_E_NS1_11comp_targetILNS1_3genE10ELNS1_11target_archE1201ELNS1_3gpuE5ELNS1_3repE0EEENS1_30default_config_static_selectorELNS0_4arch9wavefront6targetE1EEEvSK_, .Lfunc_end1020-_ZN7rocprim17ROCPRIM_400000_NS6detail17trampoline_kernelINS0_14default_configENS1_36segmented_radix_sort_config_selectorIslEEZNS1_25segmented_radix_sort_implIS3_Lb0EPKsPsPKlPlN2at6native12_GLOBAL__N_18offset_tEEE10hipError_tPvRmT1_PNSt15iterator_traitsISK_E10value_typeET2_T3_PNSL_ISQ_E10value_typeET4_jRbjT5_SW_jjP12ihipStream_tbEUlT_E_NS1_11comp_targetILNS1_3genE10ELNS1_11target_archE1201ELNS1_3gpuE5ELNS1_3repE0EEENS1_30default_config_static_selectorELNS0_4arch9wavefront6targetE1EEEvSK_
                                        ; -- End function
	.set _ZN7rocprim17ROCPRIM_400000_NS6detail17trampoline_kernelINS0_14default_configENS1_36segmented_radix_sort_config_selectorIslEEZNS1_25segmented_radix_sort_implIS3_Lb0EPKsPsPKlPlN2at6native12_GLOBAL__N_18offset_tEEE10hipError_tPvRmT1_PNSt15iterator_traitsISK_E10value_typeET2_T3_PNSL_ISQ_E10value_typeET4_jRbjT5_SW_jjP12ihipStream_tbEUlT_E_NS1_11comp_targetILNS1_3genE10ELNS1_11target_archE1201ELNS1_3gpuE5ELNS1_3repE0EEENS1_30default_config_static_selectorELNS0_4arch9wavefront6targetE1EEEvSK_.num_vgpr, 0
	.set _ZN7rocprim17ROCPRIM_400000_NS6detail17trampoline_kernelINS0_14default_configENS1_36segmented_radix_sort_config_selectorIslEEZNS1_25segmented_radix_sort_implIS3_Lb0EPKsPsPKlPlN2at6native12_GLOBAL__N_18offset_tEEE10hipError_tPvRmT1_PNSt15iterator_traitsISK_E10value_typeET2_T3_PNSL_ISQ_E10value_typeET4_jRbjT5_SW_jjP12ihipStream_tbEUlT_E_NS1_11comp_targetILNS1_3genE10ELNS1_11target_archE1201ELNS1_3gpuE5ELNS1_3repE0EEENS1_30default_config_static_selectorELNS0_4arch9wavefront6targetE1EEEvSK_.num_agpr, 0
	.set _ZN7rocprim17ROCPRIM_400000_NS6detail17trampoline_kernelINS0_14default_configENS1_36segmented_radix_sort_config_selectorIslEEZNS1_25segmented_radix_sort_implIS3_Lb0EPKsPsPKlPlN2at6native12_GLOBAL__N_18offset_tEEE10hipError_tPvRmT1_PNSt15iterator_traitsISK_E10value_typeET2_T3_PNSL_ISQ_E10value_typeET4_jRbjT5_SW_jjP12ihipStream_tbEUlT_E_NS1_11comp_targetILNS1_3genE10ELNS1_11target_archE1201ELNS1_3gpuE5ELNS1_3repE0EEENS1_30default_config_static_selectorELNS0_4arch9wavefront6targetE1EEEvSK_.numbered_sgpr, 0
	.set _ZN7rocprim17ROCPRIM_400000_NS6detail17trampoline_kernelINS0_14default_configENS1_36segmented_radix_sort_config_selectorIslEEZNS1_25segmented_radix_sort_implIS3_Lb0EPKsPsPKlPlN2at6native12_GLOBAL__N_18offset_tEEE10hipError_tPvRmT1_PNSt15iterator_traitsISK_E10value_typeET2_T3_PNSL_ISQ_E10value_typeET4_jRbjT5_SW_jjP12ihipStream_tbEUlT_E_NS1_11comp_targetILNS1_3genE10ELNS1_11target_archE1201ELNS1_3gpuE5ELNS1_3repE0EEENS1_30default_config_static_selectorELNS0_4arch9wavefront6targetE1EEEvSK_.num_named_barrier, 0
	.set _ZN7rocprim17ROCPRIM_400000_NS6detail17trampoline_kernelINS0_14default_configENS1_36segmented_radix_sort_config_selectorIslEEZNS1_25segmented_radix_sort_implIS3_Lb0EPKsPsPKlPlN2at6native12_GLOBAL__N_18offset_tEEE10hipError_tPvRmT1_PNSt15iterator_traitsISK_E10value_typeET2_T3_PNSL_ISQ_E10value_typeET4_jRbjT5_SW_jjP12ihipStream_tbEUlT_E_NS1_11comp_targetILNS1_3genE10ELNS1_11target_archE1201ELNS1_3gpuE5ELNS1_3repE0EEENS1_30default_config_static_selectorELNS0_4arch9wavefront6targetE1EEEvSK_.private_seg_size, 0
	.set _ZN7rocprim17ROCPRIM_400000_NS6detail17trampoline_kernelINS0_14default_configENS1_36segmented_radix_sort_config_selectorIslEEZNS1_25segmented_radix_sort_implIS3_Lb0EPKsPsPKlPlN2at6native12_GLOBAL__N_18offset_tEEE10hipError_tPvRmT1_PNSt15iterator_traitsISK_E10value_typeET2_T3_PNSL_ISQ_E10value_typeET4_jRbjT5_SW_jjP12ihipStream_tbEUlT_E_NS1_11comp_targetILNS1_3genE10ELNS1_11target_archE1201ELNS1_3gpuE5ELNS1_3repE0EEENS1_30default_config_static_selectorELNS0_4arch9wavefront6targetE1EEEvSK_.uses_vcc, 0
	.set _ZN7rocprim17ROCPRIM_400000_NS6detail17trampoline_kernelINS0_14default_configENS1_36segmented_radix_sort_config_selectorIslEEZNS1_25segmented_radix_sort_implIS3_Lb0EPKsPsPKlPlN2at6native12_GLOBAL__N_18offset_tEEE10hipError_tPvRmT1_PNSt15iterator_traitsISK_E10value_typeET2_T3_PNSL_ISQ_E10value_typeET4_jRbjT5_SW_jjP12ihipStream_tbEUlT_E_NS1_11comp_targetILNS1_3genE10ELNS1_11target_archE1201ELNS1_3gpuE5ELNS1_3repE0EEENS1_30default_config_static_selectorELNS0_4arch9wavefront6targetE1EEEvSK_.uses_flat_scratch, 0
	.set _ZN7rocprim17ROCPRIM_400000_NS6detail17trampoline_kernelINS0_14default_configENS1_36segmented_radix_sort_config_selectorIslEEZNS1_25segmented_radix_sort_implIS3_Lb0EPKsPsPKlPlN2at6native12_GLOBAL__N_18offset_tEEE10hipError_tPvRmT1_PNSt15iterator_traitsISK_E10value_typeET2_T3_PNSL_ISQ_E10value_typeET4_jRbjT5_SW_jjP12ihipStream_tbEUlT_E_NS1_11comp_targetILNS1_3genE10ELNS1_11target_archE1201ELNS1_3gpuE5ELNS1_3repE0EEENS1_30default_config_static_selectorELNS0_4arch9wavefront6targetE1EEEvSK_.has_dyn_sized_stack, 0
	.set _ZN7rocprim17ROCPRIM_400000_NS6detail17trampoline_kernelINS0_14default_configENS1_36segmented_radix_sort_config_selectorIslEEZNS1_25segmented_radix_sort_implIS3_Lb0EPKsPsPKlPlN2at6native12_GLOBAL__N_18offset_tEEE10hipError_tPvRmT1_PNSt15iterator_traitsISK_E10value_typeET2_T3_PNSL_ISQ_E10value_typeET4_jRbjT5_SW_jjP12ihipStream_tbEUlT_E_NS1_11comp_targetILNS1_3genE10ELNS1_11target_archE1201ELNS1_3gpuE5ELNS1_3repE0EEENS1_30default_config_static_selectorELNS0_4arch9wavefront6targetE1EEEvSK_.has_recursion, 0
	.set _ZN7rocprim17ROCPRIM_400000_NS6detail17trampoline_kernelINS0_14default_configENS1_36segmented_radix_sort_config_selectorIslEEZNS1_25segmented_radix_sort_implIS3_Lb0EPKsPsPKlPlN2at6native12_GLOBAL__N_18offset_tEEE10hipError_tPvRmT1_PNSt15iterator_traitsISK_E10value_typeET2_T3_PNSL_ISQ_E10value_typeET4_jRbjT5_SW_jjP12ihipStream_tbEUlT_E_NS1_11comp_targetILNS1_3genE10ELNS1_11target_archE1201ELNS1_3gpuE5ELNS1_3repE0EEENS1_30default_config_static_selectorELNS0_4arch9wavefront6targetE1EEEvSK_.has_indirect_call, 0
	.section	.AMDGPU.csdata,"",@progbits
; Kernel info:
; codeLenInByte = 0
; TotalNumSgprs: 4
; NumVgprs: 0
; ScratchSize: 0
; MemoryBound: 0
; FloatMode: 240
; IeeeMode: 1
; LDSByteSize: 0 bytes/workgroup (compile time only)
; SGPRBlocks: 0
; VGPRBlocks: 0
; NumSGPRsForWavesPerEU: 4
; NumVGPRsForWavesPerEU: 1
; Occupancy: 10
; WaveLimiterHint : 0
; COMPUTE_PGM_RSRC2:SCRATCH_EN: 0
; COMPUTE_PGM_RSRC2:USER_SGPR: 6
; COMPUTE_PGM_RSRC2:TRAP_HANDLER: 0
; COMPUTE_PGM_RSRC2:TGID_X_EN: 1
; COMPUTE_PGM_RSRC2:TGID_Y_EN: 0
; COMPUTE_PGM_RSRC2:TGID_Z_EN: 0
; COMPUTE_PGM_RSRC2:TIDIG_COMP_CNT: 0
	.section	.text._ZN7rocprim17ROCPRIM_400000_NS6detail17trampoline_kernelINS0_14default_configENS1_36segmented_radix_sort_config_selectorIslEEZNS1_25segmented_radix_sort_implIS3_Lb0EPKsPsPKlPlN2at6native12_GLOBAL__N_18offset_tEEE10hipError_tPvRmT1_PNSt15iterator_traitsISK_E10value_typeET2_T3_PNSL_ISQ_E10value_typeET4_jRbjT5_SW_jjP12ihipStream_tbEUlT_E_NS1_11comp_targetILNS1_3genE10ELNS1_11target_archE1200ELNS1_3gpuE4ELNS1_3repE0EEENS1_30default_config_static_selectorELNS0_4arch9wavefront6targetE1EEEvSK_,"axG",@progbits,_ZN7rocprim17ROCPRIM_400000_NS6detail17trampoline_kernelINS0_14default_configENS1_36segmented_radix_sort_config_selectorIslEEZNS1_25segmented_radix_sort_implIS3_Lb0EPKsPsPKlPlN2at6native12_GLOBAL__N_18offset_tEEE10hipError_tPvRmT1_PNSt15iterator_traitsISK_E10value_typeET2_T3_PNSL_ISQ_E10value_typeET4_jRbjT5_SW_jjP12ihipStream_tbEUlT_E_NS1_11comp_targetILNS1_3genE10ELNS1_11target_archE1200ELNS1_3gpuE4ELNS1_3repE0EEENS1_30default_config_static_selectorELNS0_4arch9wavefront6targetE1EEEvSK_,comdat
	.globl	_ZN7rocprim17ROCPRIM_400000_NS6detail17trampoline_kernelINS0_14default_configENS1_36segmented_radix_sort_config_selectorIslEEZNS1_25segmented_radix_sort_implIS3_Lb0EPKsPsPKlPlN2at6native12_GLOBAL__N_18offset_tEEE10hipError_tPvRmT1_PNSt15iterator_traitsISK_E10value_typeET2_T3_PNSL_ISQ_E10value_typeET4_jRbjT5_SW_jjP12ihipStream_tbEUlT_E_NS1_11comp_targetILNS1_3genE10ELNS1_11target_archE1200ELNS1_3gpuE4ELNS1_3repE0EEENS1_30default_config_static_selectorELNS0_4arch9wavefront6targetE1EEEvSK_ ; -- Begin function _ZN7rocprim17ROCPRIM_400000_NS6detail17trampoline_kernelINS0_14default_configENS1_36segmented_radix_sort_config_selectorIslEEZNS1_25segmented_radix_sort_implIS3_Lb0EPKsPsPKlPlN2at6native12_GLOBAL__N_18offset_tEEE10hipError_tPvRmT1_PNSt15iterator_traitsISK_E10value_typeET2_T3_PNSL_ISQ_E10value_typeET4_jRbjT5_SW_jjP12ihipStream_tbEUlT_E_NS1_11comp_targetILNS1_3genE10ELNS1_11target_archE1200ELNS1_3gpuE4ELNS1_3repE0EEENS1_30default_config_static_selectorELNS0_4arch9wavefront6targetE1EEEvSK_
	.p2align	8
	.type	_ZN7rocprim17ROCPRIM_400000_NS6detail17trampoline_kernelINS0_14default_configENS1_36segmented_radix_sort_config_selectorIslEEZNS1_25segmented_radix_sort_implIS3_Lb0EPKsPsPKlPlN2at6native12_GLOBAL__N_18offset_tEEE10hipError_tPvRmT1_PNSt15iterator_traitsISK_E10value_typeET2_T3_PNSL_ISQ_E10value_typeET4_jRbjT5_SW_jjP12ihipStream_tbEUlT_E_NS1_11comp_targetILNS1_3genE10ELNS1_11target_archE1200ELNS1_3gpuE4ELNS1_3repE0EEENS1_30default_config_static_selectorELNS0_4arch9wavefront6targetE1EEEvSK_,@function
_ZN7rocprim17ROCPRIM_400000_NS6detail17trampoline_kernelINS0_14default_configENS1_36segmented_radix_sort_config_selectorIslEEZNS1_25segmented_radix_sort_implIS3_Lb0EPKsPsPKlPlN2at6native12_GLOBAL__N_18offset_tEEE10hipError_tPvRmT1_PNSt15iterator_traitsISK_E10value_typeET2_T3_PNSL_ISQ_E10value_typeET4_jRbjT5_SW_jjP12ihipStream_tbEUlT_E_NS1_11comp_targetILNS1_3genE10ELNS1_11target_archE1200ELNS1_3gpuE4ELNS1_3repE0EEENS1_30default_config_static_selectorELNS0_4arch9wavefront6targetE1EEEvSK_: ; @_ZN7rocprim17ROCPRIM_400000_NS6detail17trampoline_kernelINS0_14default_configENS1_36segmented_radix_sort_config_selectorIslEEZNS1_25segmented_radix_sort_implIS3_Lb0EPKsPsPKlPlN2at6native12_GLOBAL__N_18offset_tEEE10hipError_tPvRmT1_PNSt15iterator_traitsISK_E10value_typeET2_T3_PNSL_ISQ_E10value_typeET4_jRbjT5_SW_jjP12ihipStream_tbEUlT_E_NS1_11comp_targetILNS1_3genE10ELNS1_11target_archE1200ELNS1_3gpuE4ELNS1_3repE0EEENS1_30default_config_static_selectorELNS0_4arch9wavefront6targetE1EEEvSK_
; %bb.0:
	.section	.rodata,"a",@progbits
	.p2align	6, 0x0
	.amdhsa_kernel _ZN7rocprim17ROCPRIM_400000_NS6detail17trampoline_kernelINS0_14default_configENS1_36segmented_radix_sort_config_selectorIslEEZNS1_25segmented_radix_sort_implIS3_Lb0EPKsPsPKlPlN2at6native12_GLOBAL__N_18offset_tEEE10hipError_tPvRmT1_PNSt15iterator_traitsISK_E10value_typeET2_T3_PNSL_ISQ_E10value_typeET4_jRbjT5_SW_jjP12ihipStream_tbEUlT_E_NS1_11comp_targetILNS1_3genE10ELNS1_11target_archE1200ELNS1_3gpuE4ELNS1_3repE0EEENS1_30default_config_static_selectorELNS0_4arch9wavefront6targetE1EEEvSK_
		.amdhsa_group_segment_fixed_size 0
		.amdhsa_private_segment_fixed_size 0
		.amdhsa_kernarg_size 96
		.amdhsa_user_sgpr_count 6
		.amdhsa_user_sgpr_private_segment_buffer 1
		.amdhsa_user_sgpr_dispatch_ptr 0
		.amdhsa_user_sgpr_queue_ptr 0
		.amdhsa_user_sgpr_kernarg_segment_ptr 1
		.amdhsa_user_sgpr_dispatch_id 0
		.amdhsa_user_sgpr_flat_scratch_init 0
		.amdhsa_user_sgpr_private_segment_size 0
		.amdhsa_uses_dynamic_stack 0
		.amdhsa_system_sgpr_private_segment_wavefront_offset 0
		.amdhsa_system_sgpr_workgroup_id_x 1
		.amdhsa_system_sgpr_workgroup_id_y 0
		.amdhsa_system_sgpr_workgroup_id_z 0
		.amdhsa_system_sgpr_workgroup_info 0
		.amdhsa_system_vgpr_workitem_id 0
		.amdhsa_next_free_vgpr 1
		.amdhsa_next_free_sgpr 0
		.amdhsa_reserve_vcc 0
		.amdhsa_reserve_flat_scratch 0
		.amdhsa_float_round_mode_32 0
		.amdhsa_float_round_mode_16_64 0
		.amdhsa_float_denorm_mode_32 3
		.amdhsa_float_denorm_mode_16_64 3
		.amdhsa_dx10_clamp 1
		.amdhsa_ieee_mode 1
		.amdhsa_fp16_overflow 0
		.amdhsa_exception_fp_ieee_invalid_op 0
		.amdhsa_exception_fp_denorm_src 0
		.amdhsa_exception_fp_ieee_div_zero 0
		.amdhsa_exception_fp_ieee_overflow 0
		.amdhsa_exception_fp_ieee_underflow 0
		.amdhsa_exception_fp_ieee_inexact 0
		.amdhsa_exception_int_div_zero 0
	.end_amdhsa_kernel
	.section	.text._ZN7rocprim17ROCPRIM_400000_NS6detail17trampoline_kernelINS0_14default_configENS1_36segmented_radix_sort_config_selectorIslEEZNS1_25segmented_radix_sort_implIS3_Lb0EPKsPsPKlPlN2at6native12_GLOBAL__N_18offset_tEEE10hipError_tPvRmT1_PNSt15iterator_traitsISK_E10value_typeET2_T3_PNSL_ISQ_E10value_typeET4_jRbjT5_SW_jjP12ihipStream_tbEUlT_E_NS1_11comp_targetILNS1_3genE10ELNS1_11target_archE1200ELNS1_3gpuE4ELNS1_3repE0EEENS1_30default_config_static_selectorELNS0_4arch9wavefront6targetE1EEEvSK_,"axG",@progbits,_ZN7rocprim17ROCPRIM_400000_NS6detail17trampoline_kernelINS0_14default_configENS1_36segmented_radix_sort_config_selectorIslEEZNS1_25segmented_radix_sort_implIS3_Lb0EPKsPsPKlPlN2at6native12_GLOBAL__N_18offset_tEEE10hipError_tPvRmT1_PNSt15iterator_traitsISK_E10value_typeET2_T3_PNSL_ISQ_E10value_typeET4_jRbjT5_SW_jjP12ihipStream_tbEUlT_E_NS1_11comp_targetILNS1_3genE10ELNS1_11target_archE1200ELNS1_3gpuE4ELNS1_3repE0EEENS1_30default_config_static_selectorELNS0_4arch9wavefront6targetE1EEEvSK_,comdat
.Lfunc_end1021:
	.size	_ZN7rocprim17ROCPRIM_400000_NS6detail17trampoline_kernelINS0_14default_configENS1_36segmented_radix_sort_config_selectorIslEEZNS1_25segmented_radix_sort_implIS3_Lb0EPKsPsPKlPlN2at6native12_GLOBAL__N_18offset_tEEE10hipError_tPvRmT1_PNSt15iterator_traitsISK_E10value_typeET2_T3_PNSL_ISQ_E10value_typeET4_jRbjT5_SW_jjP12ihipStream_tbEUlT_E_NS1_11comp_targetILNS1_3genE10ELNS1_11target_archE1200ELNS1_3gpuE4ELNS1_3repE0EEENS1_30default_config_static_selectorELNS0_4arch9wavefront6targetE1EEEvSK_, .Lfunc_end1021-_ZN7rocprim17ROCPRIM_400000_NS6detail17trampoline_kernelINS0_14default_configENS1_36segmented_radix_sort_config_selectorIslEEZNS1_25segmented_radix_sort_implIS3_Lb0EPKsPsPKlPlN2at6native12_GLOBAL__N_18offset_tEEE10hipError_tPvRmT1_PNSt15iterator_traitsISK_E10value_typeET2_T3_PNSL_ISQ_E10value_typeET4_jRbjT5_SW_jjP12ihipStream_tbEUlT_E_NS1_11comp_targetILNS1_3genE10ELNS1_11target_archE1200ELNS1_3gpuE4ELNS1_3repE0EEENS1_30default_config_static_selectorELNS0_4arch9wavefront6targetE1EEEvSK_
                                        ; -- End function
	.set _ZN7rocprim17ROCPRIM_400000_NS6detail17trampoline_kernelINS0_14default_configENS1_36segmented_radix_sort_config_selectorIslEEZNS1_25segmented_radix_sort_implIS3_Lb0EPKsPsPKlPlN2at6native12_GLOBAL__N_18offset_tEEE10hipError_tPvRmT1_PNSt15iterator_traitsISK_E10value_typeET2_T3_PNSL_ISQ_E10value_typeET4_jRbjT5_SW_jjP12ihipStream_tbEUlT_E_NS1_11comp_targetILNS1_3genE10ELNS1_11target_archE1200ELNS1_3gpuE4ELNS1_3repE0EEENS1_30default_config_static_selectorELNS0_4arch9wavefront6targetE1EEEvSK_.num_vgpr, 0
	.set _ZN7rocprim17ROCPRIM_400000_NS6detail17trampoline_kernelINS0_14default_configENS1_36segmented_radix_sort_config_selectorIslEEZNS1_25segmented_radix_sort_implIS3_Lb0EPKsPsPKlPlN2at6native12_GLOBAL__N_18offset_tEEE10hipError_tPvRmT1_PNSt15iterator_traitsISK_E10value_typeET2_T3_PNSL_ISQ_E10value_typeET4_jRbjT5_SW_jjP12ihipStream_tbEUlT_E_NS1_11comp_targetILNS1_3genE10ELNS1_11target_archE1200ELNS1_3gpuE4ELNS1_3repE0EEENS1_30default_config_static_selectorELNS0_4arch9wavefront6targetE1EEEvSK_.num_agpr, 0
	.set _ZN7rocprim17ROCPRIM_400000_NS6detail17trampoline_kernelINS0_14default_configENS1_36segmented_radix_sort_config_selectorIslEEZNS1_25segmented_radix_sort_implIS3_Lb0EPKsPsPKlPlN2at6native12_GLOBAL__N_18offset_tEEE10hipError_tPvRmT1_PNSt15iterator_traitsISK_E10value_typeET2_T3_PNSL_ISQ_E10value_typeET4_jRbjT5_SW_jjP12ihipStream_tbEUlT_E_NS1_11comp_targetILNS1_3genE10ELNS1_11target_archE1200ELNS1_3gpuE4ELNS1_3repE0EEENS1_30default_config_static_selectorELNS0_4arch9wavefront6targetE1EEEvSK_.numbered_sgpr, 0
	.set _ZN7rocprim17ROCPRIM_400000_NS6detail17trampoline_kernelINS0_14default_configENS1_36segmented_radix_sort_config_selectorIslEEZNS1_25segmented_radix_sort_implIS3_Lb0EPKsPsPKlPlN2at6native12_GLOBAL__N_18offset_tEEE10hipError_tPvRmT1_PNSt15iterator_traitsISK_E10value_typeET2_T3_PNSL_ISQ_E10value_typeET4_jRbjT5_SW_jjP12ihipStream_tbEUlT_E_NS1_11comp_targetILNS1_3genE10ELNS1_11target_archE1200ELNS1_3gpuE4ELNS1_3repE0EEENS1_30default_config_static_selectorELNS0_4arch9wavefront6targetE1EEEvSK_.num_named_barrier, 0
	.set _ZN7rocprim17ROCPRIM_400000_NS6detail17trampoline_kernelINS0_14default_configENS1_36segmented_radix_sort_config_selectorIslEEZNS1_25segmented_radix_sort_implIS3_Lb0EPKsPsPKlPlN2at6native12_GLOBAL__N_18offset_tEEE10hipError_tPvRmT1_PNSt15iterator_traitsISK_E10value_typeET2_T3_PNSL_ISQ_E10value_typeET4_jRbjT5_SW_jjP12ihipStream_tbEUlT_E_NS1_11comp_targetILNS1_3genE10ELNS1_11target_archE1200ELNS1_3gpuE4ELNS1_3repE0EEENS1_30default_config_static_selectorELNS0_4arch9wavefront6targetE1EEEvSK_.private_seg_size, 0
	.set _ZN7rocprim17ROCPRIM_400000_NS6detail17trampoline_kernelINS0_14default_configENS1_36segmented_radix_sort_config_selectorIslEEZNS1_25segmented_radix_sort_implIS3_Lb0EPKsPsPKlPlN2at6native12_GLOBAL__N_18offset_tEEE10hipError_tPvRmT1_PNSt15iterator_traitsISK_E10value_typeET2_T3_PNSL_ISQ_E10value_typeET4_jRbjT5_SW_jjP12ihipStream_tbEUlT_E_NS1_11comp_targetILNS1_3genE10ELNS1_11target_archE1200ELNS1_3gpuE4ELNS1_3repE0EEENS1_30default_config_static_selectorELNS0_4arch9wavefront6targetE1EEEvSK_.uses_vcc, 0
	.set _ZN7rocprim17ROCPRIM_400000_NS6detail17trampoline_kernelINS0_14default_configENS1_36segmented_radix_sort_config_selectorIslEEZNS1_25segmented_radix_sort_implIS3_Lb0EPKsPsPKlPlN2at6native12_GLOBAL__N_18offset_tEEE10hipError_tPvRmT1_PNSt15iterator_traitsISK_E10value_typeET2_T3_PNSL_ISQ_E10value_typeET4_jRbjT5_SW_jjP12ihipStream_tbEUlT_E_NS1_11comp_targetILNS1_3genE10ELNS1_11target_archE1200ELNS1_3gpuE4ELNS1_3repE0EEENS1_30default_config_static_selectorELNS0_4arch9wavefront6targetE1EEEvSK_.uses_flat_scratch, 0
	.set _ZN7rocprim17ROCPRIM_400000_NS6detail17trampoline_kernelINS0_14default_configENS1_36segmented_radix_sort_config_selectorIslEEZNS1_25segmented_radix_sort_implIS3_Lb0EPKsPsPKlPlN2at6native12_GLOBAL__N_18offset_tEEE10hipError_tPvRmT1_PNSt15iterator_traitsISK_E10value_typeET2_T3_PNSL_ISQ_E10value_typeET4_jRbjT5_SW_jjP12ihipStream_tbEUlT_E_NS1_11comp_targetILNS1_3genE10ELNS1_11target_archE1200ELNS1_3gpuE4ELNS1_3repE0EEENS1_30default_config_static_selectorELNS0_4arch9wavefront6targetE1EEEvSK_.has_dyn_sized_stack, 0
	.set _ZN7rocprim17ROCPRIM_400000_NS6detail17trampoline_kernelINS0_14default_configENS1_36segmented_radix_sort_config_selectorIslEEZNS1_25segmented_radix_sort_implIS3_Lb0EPKsPsPKlPlN2at6native12_GLOBAL__N_18offset_tEEE10hipError_tPvRmT1_PNSt15iterator_traitsISK_E10value_typeET2_T3_PNSL_ISQ_E10value_typeET4_jRbjT5_SW_jjP12ihipStream_tbEUlT_E_NS1_11comp_targetILNS1_3genE10ELNS1_11target_archE1200ELNS1_3gpuE4ELNS1_3repE0EEENS1_30default_config_static_selectorELNS0_4arch9wavefront6targetE1EEEvSK_.has_recursion, 0
	.set _ZN7rocprim17ROCPRIM_400000_NS6detail17trampoline_kernelINS0_14default_configENS1_36segmented_radix_sort_config_selectorIslEEZNS1_25segmented_radix_sort_implIS3_Lb0EPKsPsPKlPlN2at6native12_GLOBAL__N_18offset_tEEE10hipError_tPvRmT1_PNSt15iterator_traitsISK_E10value_typeET2_T3_PNSL_ISQ_E10value_typeET4_jRbjT5_SW_jjP12ihipStream_tbEUlT_E_NS1_11comp_targetILNS1_3genE10ELNS1_11target_archE1200ELNS1_3gpuE4ELNS1_3repE0EEENS1_30default_config_static_selectorELNS0_4arch9wavefront6targetE1EEEvSK_.has_indirect_call, 0
	.section	.AMDGPU.csdata,"",@progbits
; Kernel info:
; codeLenInByte = 0
; TotalNumSgprs: 4
; NumVgprs: 0
; ScratchSize: 0
; MemoryBound: 0
; FloatMode: 240
; IeeeMode: 1
; LDSByteSize: 0 bytes/workgroup (compile time only)
; SGPRBlocks: 0
; VGPRBlocks: 0
; NumSGPRsForWavesPerEU: 4
; NumVGPRsForWavesPerEU: 1
; Occupancy: 10
; WaveLimiterHint : 0
; COMPUTE_PGM_RSRC2:SCRATCH_EN: 0
; COMPUTE_PGM_RSRC2:USER_SGPR: 6
; COMPUTE_PGM_RSRC2:TRAP_HANDLER: 0
; COMPUTE_PGM_RSRC2:TGID_X_EN: 1
; COMPUTE_PGM_RSRC2:TGID_Y_EN: 0
; COMPUTE_PGM_RSRC2:TGID_Z_EN: 0
; COMPUTE_PGM_RSRC2:TIDIG_COMP_CNT: 0
	.section	.text._ZN7rocprim17ROCPRIM_400000_NS6detail17trampoline_kernelINS0_14default_configENS1_36segmented_radix_sort_config_selectorIslEEZNS1_25segmented_radix_sort_implIS3_Lb0EPKsPsPKlPlN2at6native12_GLOBAL__N_18offset_tEEE10hipError_tPvRmT1_PNSt15iterator_traitsISK_E10value_typeET2_T3_PNSL_ISQ_E10value_typeET4_jRbjT5_SW_jjP12ihipStream_tbEUlT_E_NS1_11comp_targetILNS1_3genE9ELNS1_11target_archE1100ELNS1_3gpuE3ELNS1_3repE0EEENS1_30default_config_static_selectorELNS0_4arch9wavefront6targetE1EEEvSK_,"axG",@progbits,_ZN7rocprim17ROCPRIM_400000_NS6detail17trampoline_kernelINS0_14default_configENS1_36segmented_radix_sort_config_selectorIslEEZNS1_25segmented_radix_sort_implIS3_Lb0EPKsPsPKlPlN2at6native12_GLOBAL__N_18offset_tEEE10hipError_tPvRmT1_PNSt15iterator_traitsISK_E10value_typeET2_T3_PNSL_ISQ_E10value_typeET4_jRbjT5_SW_jjP12ihipStream_tbEUlT_E_NS1_11comp_targetILNS1_3genE9ELNS1_11target_archE1100ELNS1_3gpuE3ELNS1_3repE0EEENS1_30default_config_static_selectorELNS0_4arch9wavefront6targetE1EEEvSK_,comdat
	.globl	_ZN7rocprim17ROCPRIM_400000_NS6detail17trampoline_kernelINS0_14default_configENS1_36segmented_radix_sort_config_selectorIslEEZNS1_25segmented_radix_sort_implIS3_Lb0EPKsPsPKlPlN2at6native12_GLOBAL__N_18offset_tEEE10hipError_tPvRmT1_PNSt15iterator_traitsISK_E10value_typeET2_T3_PNSL_ISQ_E10value_typeET4_jRbjT5_SW_jjP12ihipStream_tbEUlT_E_NS1_11comp_targetILNS1_3genE9ELNS1_11target_archE1100ELNS1_3gpuE3ELNS1_3repE0EEENS1_30default_config_static_selectorELNS0_4arch9wavefront6targetE1EEEvSK_ ; -- Begin function _ZN7rocprim17ROCPRIM_400000_NS6detail17trampoline_kernelINS0_14default_configENS1_36segmented_radix_sort_config_selectorIslEEZNS1_25segmented_radix_sort_implIS3_Lb0EPKsPsPKlPlN2at6native12_GLOBAL__N_18offset_tEEE10hipError_tPvRmT1_PNSt15iterator_traitsISK_E10value_typeET2_T3_PNSL_ISQ_E10value_typeET4_jRbjT5_SW_jjP12ihipStream_tbEUlT_E_NS1_11comp_targetILNS1_3genE9ELNS1_11target_archE1100ELNS1_3gpuE3ELNS1_3repE0EEENS1_30default_config_static_selectorELNS0_4arch9wavefront6targetE1EEEvSK_
	.p2align	8
	.type	_ZN7rocprim17ROCPRIM_400000_NS6detail17trampoline_kernelINS0_14default_configENS1_36segmented_radix_sort_config_selectorIslEEZNS1_25segmented_radix_sort_implIS3_Lb0EPKsPsPKlPlN2at6native12_GLOBAL__N_18offset_tEEE10hipError_tPvRmT1_PNSt15iterator_traitsISK_E10value_typeET2_T3_PNSL_ISQ_E10value_typeET4_jRbjT5_SW_jjP12ihipStream_tbEUlT_E_NS1_11comp_targetILNS1_3genE9ELNS1_11target_archE1100ELNS1_3gpuE3ELNS1_3repE0EEENS1_30default_config_static_selectorELNS0_4arch9wavefront6targetE1EEEvSK_,@function
_ZN7rocprim17ROCPRIM_400000_NS6detail17trampoline_kernelINS0_14default_configENS1_36segmented_radix_sort_config_selectorIslEEZNS1_25segmented_radix_sort_implIS3_Lb0EPKsPsPKlPlN2at6native12_GLOBAL__N_18offset_tEEE10hipError_tPvRmT1_PNSt15iterator_traitsISK_E10value_typeET2_T3_PNSL_ISQ_E10value_typeET4_jRbjT5_SW_jjP12ihipStream_tbEUlT_E_NS1_11comp_targetILNS1_3genE9ELNS1_11target_archE1100ELNS1_3gpuE3ELNS1_3repE0EEENS1_30default_config_static_selectorELNS0_4arch9wavefront6targetE1EEEvSK_: ; @_ZN7rocprim17ROCPRIM_400000_NS6detail17trampoline_kernelINS0_14default_configENS1_36segmented_radix_sort_config_selectorIslEEZNS1_25segmented_radix_sort_implIS3_Lb0EPKsPsPKlPlN2at6native12_GLOBAL__N_18offset_tEEE10hipError_tPvRmT1_PNSt15iterator_traitsISK_E10value_typeET2_T3_PNSL_ISQ_E10value_typeET4_jRbjT5_SW_jjP12ihipStream_tbEUlT_E_NS1_11comp_targetILNS1_3genE9ELNS1_11target_archE1100ELNS1_3gpuE3ELNS1_3repE0EEENS1_30default_config_static_selectorELNS0_4arch9wavefront6targetE1EEEvSK_
; %bb.0:
	.section	.rodata,"a",@progbits
	.p2align	6, 0x0
	.amdhsa_kernel _ZN7rocprim17ROCPRIM_400000_NS6detail17trampoline_kernelINS0_14default_configENS1_36segmented_radix_sort_config_selectorIslEEZNS1_25segmented_radix_sort_implIS3_Lb0EPKsPsPKlPlN2at6native12_GLOBAL__N_18offset_tEEE10hipError_tPvRmT1_PNSt15iterator_traitsISK_E10value_typeET2_T3_PNSL_ISQ_E10value_typeET4_jRbjT5_SW_jjP12ihipStream_tbEUlT_E_NS1_11comp_targetILNS1_3genE9ELNS1_11target_archE1100ELNS1_3gpuE3ELNS1_3repE0EEENS1_30default_config_static_selectorELNS0_4arch9wavefront6targetE1EEEvSK_
		.amdhsa_group_segment_fixed_size 0
		.amdhsa_private_segment_fixed_size 0
		.amdhsa_kernarg_size 96
		.amdhsa_user_sgpr_count 6
		.amdhsa_user_sgpr_private_segment_buffer 1
		.amdhsa_user_sgpr_dispatch_ptr 0
		.amdhsa_user_sgpr_queue_ptr 0
		.amdhsa_user_sgpr_kernarg_segment_ptr 1
		.amdhsa_user_sgpr_dispatch_id 0
		.amdhsa_user_sgpr_flat_scratch_init 0
		.amdhsa_user_sgpr_private_segment_size 0
		.amdhsa_uses_dynamic_stack 0
		.amdhsa_system_sgpr_private_segment_wavefront_offset 0
		.amdhsa_system_sgpr_workgroup_id_x 1
		.amdhsa_system_sgpr_workgroup_id_y 0
		.amdhsa_system_sgpr_workgroup_id_z 0
		.amdhsa_system_sgpr_workgroup_info 0
		.amdhsa_system_vgpr_workitem_id 0
		.amdhsa_next_free_vgpr 1
		.amdhsa_next_free_sgpr 0
		.amdhsa_reserve_vcc 0
		.amdhsa_reserve_flat_scratch 0
		.amdhsa_float_round_mode_32 0
		.amdhsa_float_round_mode_16_64 0
		.amdhsa_float_denorm_mode_32 3
		.amdhsa_float_denorm_mode_16_64 3
		.amdhsa_dx10_clamp 1
		.amdhsa_ieee_mode 1
		.amdhsa_fp16_overflow 0
		.amdhsa_exception_fp_ieee_invalid_op 0
		.amdhsa_exception_fp_denorm_src 0
		.amdhsa_exception_fp_ieee_div_zero 0
		.amdhsa_exception_fp_ieee_overflow 0
		.amdhsa_exception_fp_ieee_underflow 0
		.amdhsa_exception_fp_ieee_inexact 0
		.amdhsa_exception_int_div_zero 0
	.end_amdhsa_kernel
	.section	.text._ZN7rocprim17ROCPRIM_400000_NS6detail17trampoline_kernelINS0_14default_configENS1_36segmented_radix_sort_config_selectorIslEEZNS1_25segmented_radix_sort_implIS3_Lb0EPKsPsPKlPlN2at6native12_GLOBAL__N_18offset_tEEE10hipError_tPvRmT1_PNSt15iterator_traitsISK_E10value_typeET2_T3_PNSL_ISQ_E10value_typeET4_jRbjT5_SW_jjP12ihipStream_tbEUlT_E_NS1_11comp_targetILNS1_3genE9ELNS1_11target_archE1100ELNS1_3gpuE3ELNS1_3repE0EEENS1_30default_config_static_selectorELNS0_4arch9wavefront6targetE1EEEvSK_,"axG",@progbits,_ZN7rocprim17ROCPRIM_400000_NS6detail17trampoline_kernelINS0_14default_configENS1_36segmented_radix_sort_config_selectorIslEEZNS1_25segmented_radix_sort_implIS3_Lb0EPKsPsPKlPlN2at6native12_GLOBAL__N_18offset_tEEE10hipError_tPvRmT1_PNSt15iterator_traitsISK_E10value_typeET2_T3_PNSL_ISQ_E10value_typeET4_jRbjT5_SW_jjP12ihipStream_tbEUlT_E_NS1_11comp_targetILNS1_3genE9ELNS1_11target_archE1100ELNS1_3gpuE3ELNS1_3repE0EEENS1_30default_config_static_selectorELNS0_4arch9wavefront6targetE1EEEvSK_,comdat
.Lfunc_end1022:
	.size	_ZN7rocprim17ROCPRIM_400000_NS6detail17trampoline_kernelINS0_14default_configENS1_36segmented_radix_sort_config_selectorIslEEZNS1_25segmented_radix_sort_implIS3_Lb0EPKsPsPKlPlN2at6native12_GLOBAL__N_18offset_tEEE10hipError_tPvRmT1_PNSt15iterator_traitsISK_E10value_typeET2_T3_PNSL_ISQ_E10value_typeET4_jRbjT5_SW_jjP12ihipStream_tbEUlT_E_NS1_11comp_targetILNS1_3genE9ELNS1_11target_archE1100ELNS1_3gpuE3ELNS1_3repE0EEENS1_30default_config_static_selectorELNS0_4arch9wavefront6targetE1EEEvSK_, .Lfunc_end1022-_ZN7rocprim17ROCPRIM_400000_NS6detail17trampoline_kernelINS0_14default_configENS1_36segmented_radix_sort_config_selectorIslEEZNS1_25segmented_radix_sort_implIS3_Lb0EPKsPsPKlPlN2at6native12_GLOBAL__N_18offset_tEEE10hipError_tPvRmT1_PNSt15iterator_traitsISK_E10value_typeET2_T3_PNSL_ISQ_E10value_typeET4_jRbjT5_SW_jjP12ihipStream_tbEUlT_E_NS1_11comp_targetILNS1_3genE9ELNS1_11target_archE1100ELNS1_3gpuE3ELNS1_3repE0EEENS1_30default_config_static_selectorELNS0_4arch9wavefront6targetE1EEEvSK_
                                        ; -- End function
	.set _ZN7rocprim17ROCPRIM_400000_NS6detail17trampoline_kernelINS0_14default_configENS1_36segmented_radix_sort_config_selectorIslEEZNS1_25segmented_radix_sort_implIS3_Lb0EPKsPsPKlPlN2at6native12_GLOBAL__N_18offset_tEEE10hipError_tPvRmT1_PNSt15iterator_traitsISK_E10value_typeET2_T3_PNSL_ISQ_E10value_typeET4_jRbjT5_SW_jjP12ihipStream_tbEUlT_E_NS1_11comp_targetILNS1_3genE9ELNS1_11target_archE1100ELNS1_3gpuE3ELNS1_3repE0EEENS1_30default_config_static_selectorELNS0_4arch9wavefront6targetE1EEEvSK_.num_vgpr, 0
	.set _ZN7rocprim17ROCPRIM_400000_NS6detail17trampoline_kernelINS0_14default_configENS1_36segmented_radix_sort_config_selectorIslEEZNS1_25segmented_radix_sort_implIS3_Lb0EPKsPsPKlPlN2at6native12_GLOBAL__N_18offset_tEEE10hipError_tPvRmT1_PNSt15iterator_traitsISK_E10value_typeET2_T3_PNSL_ISQ_E10value_typeET4_jRbjT5_SW_jjP12ihipStream_tbEUlT_E_NS1_11comp_targetILNS1_3genE9ELNS1_11target_archE1100ELNS1_3gpuE3ELNS1_3repE0EEENS1_30default_config_static_selectorELNS0_4arch9wavefront6targetE1EEEvSK_.num_agpr, 0
	.set _ZN7rocprim17ROCPRIM_400000_NS6detail17trampoline_kernelINS0_14default_configENS1_36segmented_radix_sort_config_selectorIslEEZNS1_25segmented_radix_sort_implIS3_Lb0EPKsPsPKlPlN2at6native12_GLOBAL__N_18offset_tEEE10hipError_tPvRmT1_PNSt15iterator_traitsISK_E10value_typeET2_T3_PNSL_ISQ_E10value_typeET4_jRbjT5_SW_jjP12ihipStream_tbEUlT_E_NS1_11comp_targetILNS1_3genE9ELNS1_11target_archE1100ELNS1_3gpuE3ELNS1_3repE0EEENS1_30default_config_static_selectorELNS0_4arch9wavefront6targetE1EEEvSK_.numbered_sgpr, 0
	.set _ZN7rocprim17ROCPRIM_400000_NS6detail17trampoline_kernelINS0_14default_configENS1_36segmented_radix_sort_config_selectorIslEEZNS1_25segmented_radix_sort_implIS3_Lb0EPKsPsPKlPlN2at6native12_GLOBAL__N_18offset_tEEE10hipError_tPvRmT1_PNSt15iterator_traitsISK_E10value_typeET2_T3_PNSL_ISQ_E10value_typeET4_jRbjT5_SW_jjP12ihipStream_tbEUlT_E_NS1_11comp_targetILNS1_3genE9ELNS1_11target_archE1100ELNS1_3gpuE3ELNS1_3repE0EEENS1_30default_config_static_selectorELNS0_4arch9wavefront6targetE1EEEvSK_.num_named_barrier, 0
	.set _ZN7rocprim17ROCPRIM_400000_NS6detail17trampoline_kernelINS0_14default_configENS1_36segmented_radix_sort_config_selectorIslEEZNS1_25segmented_radix_sort_implIS3_Lb0EPKsPsPKlPlN2at6native12_GLOBAL__N_18offset_tEEE10hipError_tPvRmT1_PNSt15iterator_traitsISK_E10value_typeET2_T3_PNSL_ISQ_E10value_typeET4_jRbjT5_SW_jjP12ihipStream_tbEUlT_E_NS1_11comp_targetILNS1_3genE9ELNS1_11target_archE1100ELNS1_3gpuE3ELNS1_3repE0EEENS1_30default_config_static_selectorELNS0_4arch9wavefront6targetE1EEEvSK_.private_seg_size, 0
	.set _ZN7rocprim17ROCPRIM_400000_NS6detail17trampoline_kernelINS0_14default_configENS1_36segmented_radix_sort_config_selectorIslEEZNS1_25segmented_radix_sort_implIS3_Lb0EPKsPsPKlPlN2at6native12_GLOBAL__N_18offset_tEEE10hipError_tPvRmT1_PNSt15iterator_traitsISK_E10value_typeET2_T3_PNSL_ISQ_E10value_typeET4_jRbjT5_SW_jjP12ihipStream_tbEUlT_E_NS1_11comp_targetILNS1_3genE9ELNS1_11target_archE1100ELNS1_3gpuE3ELNS1_3repE0EEENS1_30default_config_static_selectorELNS0_4arch9wavefront6targetE1EEEvSK_.uses_vcc, 0
	.set _ZN7rocprim17ROCPRIM_400000_NS6detail17trampoline_kernelINS0_14default_configENS1_36segmented_radix_sort_config_selectorIslEEZNS1_25segmented_radix_sort_implIS3_Lb0EPKsPsPKlPlN2at6native12_GLOBAL__N_18offset_tEEE10hipError_tPvRmT1_PNSt15iterator_traitsISK_E10value_typeET2_T3_PNSL_ISQ_E10value_typeET4_jRbjT5_SW_jjP12ihipStream_tbEUlT_E_NS1_11comp_targetILNS1_3genE9ELNS1_11target_archE1100ELNS1_3gpuE3ELNS1_3repE0EEENS1_30default_config_static_selectorELNS0_4arch9wavefront6targetE1EEEvSK_.uses_flat_scratch, 0
	.set _ZN7rocprim17ROCPRIM_400000_NS6detail17trampoline_kernelINS0_14default_configENS1_36segmented_radix_sort_config_selectorIslEEZNS1_25segmented_radix_sort_implIS3_Lb0EPKsPsPKlPlN2at6native12_GLOBAL__N_18offset_tEEE10hipError_tPvRmT1_PNSt15iterator_traitsISK_E10value_typeET2_T3_PNSL_ISQ_E10value_typeET4_jRbjT5_SW_jjP12ihipStream_tbEUlT_E_NS1_11comp_targetILNS1_3genE9ELNS1_11target_archE1100ELNS1_3gpuE3ELNS1_3repE0EEENS1_30default_config_static_selectorELNS0_4arch9wavefront6targetE1EEEvSK_.has_dyn_sized_stack, 0
	.set _ZN7rocprim17ROCPRIM_400000_NS6detail17trampoline_kernelINS0_14default_configENS1_36segmented_radix_sort_config_selectorIslEEZNS1_25segmented_radix_sort_implIS3_Lb0EPKsPsPKlPlN2at6native12_GLOBAL__N_18offset_tEEE10hipError_tPvRmT1_PNSt15iterator_traitsISK_E10value_typeET2_T3_PNSL_ISQ_E10value_typeET4_jRbjT5_SW_jjP12ihipStream_tbEUlT_E_NS1_11comp_targetILNS1_3genE9ELNS1_11target_archE1100ELNS1_3gpuE3ELNS1_3repE0EEENS1_30default_config_static_selectorELNS0_4arch9wavefront6targetE1EEEvSK_.has_recursion, 0
	.set _ZN7rocprim17ROCPRIM_400000_NS6detail17trampoline_kernelINS0_14default_configENS1_36segmented_radix_sort_config_selectorIslEEZNS1_25segmented_radix_sort_implIS3_Lb0EPKsPsPKlPlN2at6native12_GLOBAL__N_18offset_tEEE10hipError_tPvRmT1_PNSt15iterator_traitsISK_E10value_typeET2_T3_PNSL_ISQ_E10value_typeET4_jRbjT5_SW_jjP12ihipStream_tbEUlT_E_NS1_11comp_targetILNS1_3genE9ELNS1_11target_archE1100ELNS1_3gpuE3ELNS1_3repE0EEENS1_30default_config_static_selectorELNS0_4arch9wavefront6targetE1EEEvSK_.has_indirect_call, 0
	.section	.AMDGPU.csdata,"",@progbits
; Kernel info:
; codeLenInByte = 0
; TotalNumSgprs: 4
; NumVgprs: 0
; ScratchSize: 0
; MemoryBound: 0
; FloatMode: 240
; IeeeMode: 1
; LDSByteSize: 0 bytes/workgroup (compile time only)
; SGPRBlocks: 0
; VGPRBlocks: 0
; NumSGPRsForWavesPerEU: 4
; NumVGPRsForWavesPerEU: 1
; Occupancy: 10
; WaveLimiterHint : 0
; COMPUTE_PGM_RSRC2:SCRATCH_EN: 0
; COMPUTE_PGM_RSRC2:USER_SGPR: 6
; COMPUTE_PGM_RSRC2:TRAP_HANDLER: 0
; COMPUTE_PGM_RSRC2:TGID_X_EN: 1
; COMPUTE_PGM_RSRC2:TGID_Y_EN: 0
; COMPUTE_PGM_RSRC2:TGID_Z_EN: 0
; COMPUTE_PGM_RSRC2:TIDIG_COMP_CNT: 0
	.section	.text._ZN7rocprim17ROCPRIM_400000_NS6detail17trampoline_kernelINS0_14default_configENS1_36segmented_radix_sort_config_selectorIslEEZNS1_25segmented_radix_sort_implIS3_Lb0EPKsPsPKlPlN2at6native12_GLOBAL__N_18offset_tEEE10hipError_tPvRmT1_PNSt15iterator_traitsISK_E10value_typeET2_T3_PNSL_ISQ_E10value_typeET4_jRbjT5_SW_jjP12ihipStream_tbEUlT_E_NS1_11comp_targetILNS1_3genE8ELNS1_11target_archE1030ELNS1_3gpuE2ELNS1_3repE0EEENS1_30default_config_static_selectorELNS0_4arch9wavefront6targetE1EEEvSK_,"axG",@progbits,_ZN7rocprim17ROCPRIM_400000_NS6detail17trampoline_kernelINS0_14default_configENS1_36segmented_radix_sort_config_selectorIslEEZNS1_25segmented_radix_sort_implIS3_Lb0EPKsPsPKlPlN2at6native12_GLOBAL__N_18offset_tEEE10hipError_tPvRmT1_PNSt15iterator_traitsISK_E10value_typeET2_T3_PNSL_ISQ_E10value_typeET4_jRbjT5_SW_jjP12ihipStream_tbEUlT_E_NS1_11comp_targetILNS1_3genE8ELNS1_11target_archE1030ELNS1_3gpuE2ELNS1_3repE0EEENS1_30default_config_static_selectorELNS0_4arch9wavefront6targetE1EEEvSK_,comdat
	.globl	_ZN7rocprim17ROCPRIM_400000_NS6detail17trampoline_kernelINS0_14default_configENS1_36segmented_radix_sort_config_selectorIslEEZNS1_25segmented_radix_sort_implIS3_Lb0EPKsPsPKlPlN2at6native12_GLOBAL__N_18offset_tEEE10hipError_tPvRmT1_PNSt15iterator_traitsISK_E10value_typeET2_T3_PNSL_ISQ_E10value_typeET4_jRbjT5_SW_jjP12ihipStream_tbEUlT_E_NS1_11comp_targetILNS1_3genE8ELNS1_11target_archE1030ELNS1_3gpuE2ELNS1_3repE0EEENS1_30default_config_static_selectorELNS0_4arch9wavefront6targetE1EEEvSK_ ; -- Begin function _ZN7rocprim17ROCPRIM_400000_NS6detail17trampoline_kernelINS0_14default_configENS1_36segmented_radix_sort_config_selectorIslEEZNS1_25segmented_radix_sort_implIS3_Lb0EPKsPsPKlPlN2at6native12_GLOBAL__N_18offset_tEEE10hipError_tPvRmT1_PNSt15iterator_traitsISK_E10value_typeET2_T3_PNSL_ISQ_E10value_typeET4_jRbjT5_SW_jjP12ihipStream_tbEUlT_E_NS1_11comp_targetILNS1_3genE8ELNS1_11target_archE1030ELNS1_3gpuE2ELNS1_3repE0EEENS1_30default_config_static_selectorELNS0_4arch9wavefront6targetE1EEEvSK_
	.p2align	8
	.type	_ZN7rocprim17ROCPRIM_400000_NS6detail17trampoline_kernelINS0_14default_configENS1_36segmented_radix_sort_config_selectorIslEEZNS1_25segmented_radix_sort_implIS3_Lb0EPKsPsPKlPlN2at6native12_GLOBAL__N_18offset_tEEE10hipError_tPvRmT1_PNSt15iterator_traitsISK_E10value_typeET2_T3_PNSL_ISQ_E10value_typeET4_jRbjT5_SW_jjP12ihipStream_tbEUlT_E_NS1_11comp_targetILNS1_3genE8ELNS1_11target_archE1030ELNS1_3gpuE2ELNS1_3repE0EEENS1_30default_config_static_selectorELNS0_4arch9wavefront6targetE1EEEvSK_,@function
_ZN7rocprim17ROCPRIM_400000_NS6detail17trampoline_kernelINS0_14default_configENS1_36segmented_radix_sort_config_selectorIslEEZNS1_25segmented_radix_sort_implIS3_Lb0EPKsPsPKlPlN2at6native12_GLOBAL__N_18offset_tEEE10hipError_tPvRmT1_PNSt15iterator_traitsISK_E10value_typeET2_T3_PNSL_ISQ_E10value_typeET4_jRbjT5_SW_jjP12ihipStream_tbEUlT_E_NS1_11comp_targetILNS1_3genE8ELNS1_11target_archE1030ELNS1_3gpuE2ELNS1_3repE0EEENS1_30default_config_static_selectorELNS0_4arch9wavefront6targetE1EEEvSK_: ; @_ZN7rocprim17ROCPRIM_400000_NS6detail17trampoline_kernelINS0_14default_configENS1_36segmented_radix_sort_config_selectorIslEEZNS1_25segmented_radix_sort_implIS3_Lb0EPKsPsPKlPlN2at6native12_GLOBAL__N_18offset_tEEE10hipError_tPvRmT1_PNSt15iterator_traitsISK_E10value_typeET2_T3_PNSL_ISQ_E10value_typeET4_jRbjT5_SW_jjP12ihipStream_tbEUlT_E_NS1_11comp_targetILNS1_3genE8ELNS1_11target_archE1030ELNS1_3gpuE2ELNS1_3repE0EEENS1_30default_config_static_selectorELNS0_4arch9wavefront6targetE1EEEvSK_
; %bb.0:
	.section	.rodata,"a",@progbits
	.p2align	6, 0x0
	.amdhsa_kernel _ZN7rocprim17ROCPRIM_400000_NS6detail17trampoline_kernelINS0_14default_configENS1_36segmented_radix_sort_config_selectorIslEEZNS1_25segmented_radix_sort_implIS3_Lb0EPKsPsPKlPlN2at6native12_GLOBAL__N_18offset_tEEE10hipError_tPvRmT1_PNSt15iterator_traitsISK_E10value_typeET2_T3_PNSL_ISQ_E10value_typeET4_jRbjT5_SW_jjP12ihipStream_tbEUlT_E_NS1_11comp_targetILNS1_3genE8ELNS1_11target_archE1030ELNS1_3gpuE2ELNS1_3repE0EEENS1_30default_config_static_selectorELNS0_4arch9wavefront6targetE1EEEvSK_
		.amdhsa_group_segment_fixed_size 0
		.amdhsa_private_segment_fixed_size 0
		.amdhsa_kernarg_size 96
		.amdhsa_user_sgpr_count 6
		.amdhsa_user_sgpr_private_segment_buffer 1
		.amdhsa_user_sgpr_dispatch_ptr 0
		.amdhsa_user_sgpr_queue_ptr 0
		.amdhsa_user_sgpr_kernarg_segment_ptr 1
		.amdhsa_user_sgpr_dispatch_id 0
		.amdhsa_user_sgpr_flat_scratch_init 0
		.amdhsa_user_sgpr_private_segment_size 0
		.amdhsa_uses_dynamic_stack 0
		.amdhsa_system_sgpr_private_segment_wavefront_offset 0
		.amdhsa_system_sgpr_workgroup_id_x 1
		.amdhsa_system_sgpr_workgroup_id_y 0
		.amdhsa_system_sgpr_workgroup_id_z 0
		.amdhsa_system_sgpr_workgroup_info 0
		.amdhsa_system_vgpr_workitem_id 0
		.amdhsa_next_free_vgpr 1
		.amdhsa_next_free_sgpr 0
		.amdhsa_reserve_vcc 0
		.amdhsa_reserve_flat_scratch 0
		.amdhsa_float_round_mode_32 0
		.amdhsa_float_round_mode_16_64 0
		.amdhsa_float_denorm_mode_32 3
		.amdhsa_float_denorm_mode_16_64 3
		.amdhsa_dx10_clamp 1
		.amdhsa_ieee_mode 1
		.amdhsa_fp16_overflow 0
		.amdhsa_exception_fp_ieee_invalid_op 0
		.amdhsa_exception_fp_denorm_src 0
		.amdhsa_exception_fp_ieee_div_zero 0
		.amdhsa_exception_fp_ieee_overflow 0
		.amdhsa_exception_fp_ieee_underflow 0
		.amdhsa_exception_fp_ieee_inexact 0
		.amdhsa_exception_int_div_zero 0
	.end_amdhsa_kernel
	.section	.text._ZN7rocprim17ROCPRIM_400000_NS6detail17trampoline_kernelINS0_14default_configENS1_36segmented_radix_sort_config_selectorIslEEZNS1_25segmented_radix_sort_implIS3_Lb0EPKsPsPKlPlN2at6native12_GLOBAL__N_18offset_tEEE10hipError_tPvRmT1_PNSt15iterator_traitsISK_E10value_typeET2_T3_PNSL_ISQ_E10value_typeET4_jRbjT5_SW_jjP12ihipStream_tbEUlT_E_NS1_11comp_targetILNS1_3genE8ELNS1_11target_archE1030ELNS1_3gpuE2ELNS1_3repE0EEENS1_30default_config_static_selectorELNS0_4arch9wavefront6targetE1EEEvSK_,"axG",@progbits,_ZN7rocprim17ROCPRIM_400000_NS6detail17trampoline_kernelINS0_14default_configENS1_36segmented_radix_sort_config_selectorIslEEZNS1_25segmented_radix_sort_implIS3_Lb0EPKsPsPKlPlN2at6native12_GLOBAL__N_18offset_tEEE10hipError_tPvRmT1_PNSt15iterator_traitsISK_E10value_typeET2_T3_PNSL_ISQ_E10value_typeET4_jRbjT5_SW_jjP12ihipStream_tbEUlT_E_NS1_11comp_targetILNS1_3genE8ELNS1_11target_archE1030ELNS1_3gpuE2ELNS1_3repE0EEENS1_30default_config_static_selectorELNS0_4arch9wavefront6targetE1EEEvSK_,comdat
.Lfunc_end1023:
	.size	_ZN7rocprim17ROCPRIM_400000_NS6detail17trampoline_kernelINS0_14default_configENS1_36segmented_radix_sort_config_selectorIslEEZNS1_25segmented_radix_sort_implIS3_Lb0EPKsPsPKlPlN2at6native12_GLOBAL__N_18offset_tEEE10hipError_tPvRmT1_PNSt15iterator_traitsISK_E10value_typeET2_T3_PNSL_ISQ_E10value_typeET4_jRbjT5_SW_jjP12ihipStream_tbEUlT_E_NS1_11comp_targetILNS1_3genE8ELNS1_11target_archE1030ELNS1_3gpuE2ELNS1_3repE0EEENS1_30default_config_static_selectorELNS0_4arch9wavefront6targetE1EEEvSK_, .Lfunc_end1023-_ZN7rocprim17ROCPRIM_400000_NS6detail17trampoline_kernelINS0_14default_configENS1_36segmented_radix_sort_config_selectorIslEEZNS1_25segmented_radix_sort_implIS3_Lb0EPKsPsPKlPlN2at6native12_GLOBAL__N_18offset_tEEE10hipError_tPvRmT1_PNSt15iterator_traitsISK_E10value_typeET2_T3_PNSL_ISQ_E10value_typeET4_jRbjT5_SW_jjP12ihipStream_tbEUlT_E_NS1_11comp_targetILNS1_3genE8ELNS1_11target_archE1030ELNS1_3gpuE2ELNS1_3repE0EEENS1_30default_config_static_selectorELNS0_4arch9wavefront6targetE1EEEvSK_
                                        ; -- End function
	.set _ZN7rocprim17ROCPRIM_400000_NS6detail17trampoline_kernelINS0_14default_configENS1_36segmented_radix_sort_config_selectorIslEEZNS1_25segmented_radix_sort_implIS3_Lb0EPKsPsPKlPlN2at6native12_GLOBAL__N_18offset_tEEE10hipError_tPvRmT1_PNSt15iterator_traitsISK_E10value_typeET2_T3_PNSL_ISQ_E10value_typeET4_jRbjT5_SW_jjP12ihipStream_tbEUlT_E_NS1_11comp_targetILNS1_3genE8ELNS1_11target_archE1030ELNS1_3gpuE2ELNS1_3repE0EEENS1_30default_config_static_selectorELNS0_4arch9wavefront6targetE1EEEvSK_.num_vgpr, 0
	.set _ZN7rocprim17ROCPRIM_400000_NS6detail17trampoline_kernelINS0_14default_configENS1_36segmented_radix_sort_config_selectorIslEEZNS1_25segmented_radix_sort_implIS3_Lb0EPKsPsPKlPlN2at6native12_GLOBAL__N_18offset_tEEE10hipError_tPvRmT1_PNSt15iterator_traitsISK_E10value_typeET2_T3_PNSL_ISQ_E10value_typeET4_jRbjT5_SW_jjP12ihipStream_tbEUlT_E_NS1_11comp_targetILNS1_3genE8ELNS1_11target_archE1030ELNS1_3gpuE2ELNS1_3repE0EEENS1_30default_config_static_selectorELNS0_4arch9wavefront6targetE1EEEvSK_.num_agpr, 0
	.set _ZN7rocprim17ROCPRIM_400000_NS6detail17trampoline_kernelINS0_14default_configENS1_36segmented_radix_sort_config_selectorIslEEZNS1_25segmented_radix_sort_implIS3_Lb0EPKsPsPKlPlN2at6native12_GLOBAL__N_18offset_tEEE10hipError_tPvRmT1_PNSt15iterator_traitsISK_E10value_typeET2_T3_PNSL_ISQ_E10value_typeET4_jRbjT5_SW_jjP12ihipStream_tbEUlT_E_NS1_11comp_targetILNS1_3genE8ELNS1_11target_archE1030ELNS1_3gpuE2ELNS1_3repE0EEENS1_30default_config_static_selectorELNS0_4arch9wavefront6targetE1EEEvSK_.numbered_sgpr, 0
	.set _ZN7rocprim17ROCPRIM_400000_NS6detail17trampoline_kernelINS0_14default_configENS1_36segmented_radix_sort_config_selectorIslEEZNS1_25segmented_radix_sort_implIS3_Lb0EPKsPsPKlPlN2at6native12_GLOBAL__N_18offset_tEEE10hipError_tPvRmT1_PNSt15iterator_traitsISK_E10value_typeET2_T3_PNSL_ISQ_E10value_typeET4_jRbjT5_SW_jjP12ihipStream_tbEUlT_E_NS1_11comp_targetILNS1_3genE8ELNS1_11target_archE1030ELNS1_3gpuE2ELNS1_3repE0EEENS1_30default_config_static_selectorELNS0_4arch9wavefront6targetE1EEEvSK_.num_named_barrier, 0
	.set _ZN7rocprim17ROCPRIM_400000_NS6detail17trampoline_kernelINS0_14default_configENS1_36segmented_radix_sort_config_selectorIslEEZNS1_25segmented_radix_sort_implIS3_Lb0EPKsPsPKlPlN2at6native12_GLOBAL__N_18offset_tEEE10hipError_tPvRmT1_PNSt15iterator_traitsISK_E10value_typeET2_T3_PNSL_ISQ_E10value_typeET4_jRbjT5_SW_jjP12ihipStream_tbEUlT_E_NS1_11comp_targetILNS1_3genE8ELNS1_11target_archE1030ELNS1_3gpuE2ELNS1_3repE0EEENS1_30default_config_static_selectorELNS0_4arch9wavefront6targetE1EEEvSK_.private_seg_size, 0
	.set _ZN7rocprim17ROCPRIM_400000_NS6detail17trampoline_kernelINS0_14default_configENS1_36segmented_radix_sort_config_selectorIslEEZNS1_25segmented_radix_sort_implIS3_Lb0EPKsPsPKlPlN2at6native12_GLOBAL__N_18offset_tEEE10hipError_tPvRmT1_PNSt15iterator_traitsISK_E10value_typeET2_T3_PNSL_ISQ_E10value_typeET4_jRbjT5_SW_jjP12ihipStream_tbEUlT_E_NS1_11comp_targetILNS1_3genE8ELNS1_11target_archE1030ELNS1_3gpuE2ELNS1_3repE0EEENS1_30default_config_static_selectorELNS0_4arch9wavefront6targetE1EEEvSK_.uses_vcc, 0
	.set _ZN7rocprim17ROCPRIM_400000_NS6detail17trampoline_kernelINS0_14default_configENS1_36segmented_radix_sort_config_selectorIslEEZNS1_25segmented_radix_sort_implIS3_Lb0EPKsPsPKlPlN2at6native12_GLOBAL__N_18offset_tEEE10hipError_tPvRmT1_PNSt15iterator_traitsISK_E10value_typeET2_T3_PNSL_ISQ_E10value_typeET4_jRbjT5_SW_jjP12ihipStream_tbEUlT_E_NS1_11comp_targetILNS1_3genE8ELNS1_11target_archE1030ELNS1_3gpuE2ELNS1_3repE0EEENS1_30default_config_static_selectorELNS0_4arch9wavefront6targetE1EEEvSK_.uses_flat_scratch, 0
	.set _ZN7rocprim17ROCPRIM_400000_NS6detail17trampoline_kernelINS0_14default_configENS1_36segmented_radix_sort_config_selectorIslEEZNS1_25segmented_radix_sort_implIS3_Lb0EPKsPsPKlPlN2at6native12_GLOBAL__N_18offset_tEEE10hipError_tPvRmT1_PNSt15iterator_traitsISK_E10value_typeET2_T3_PNSL_ISQ_E10value_typeET4_jRbjT5_SW_jjP12ihipStream_tbEUlT_E_NS1_11comp_targetILNS1_3genE8ELNS1_11target_archE1030ELNS1_3gpuE2ELNS1_3repE0EEENS1_30default_config_static_selectorELNS0_4arch9wavefront6targetE1EEEvSK_.has_dyn_sized_stack, 0
	.set _ZN7rocprim17ROCPRIM_400000_NS6detail17trampoline_kernelINS0_14default_configENS1_36segmented_radix_sort_config_selectorIslEEZNS1_25segmented_radix_sort_implIS3_Lb0EPKsPsPKlPlN2at6native12_GLOBAL__N_18offset_tEEE10hipError_tPvRmT1_PNSt15iterator_traitsISK_E10value_typeET2_T3_PNSL_ISQ_E10value_typeET4_jRbjT5_SW_jjP12ihipStream_tbEUlT_E_NS1_11comp_targetILNS1_3genE8ELNS1_11target_archE1030ELNS1_3gpuE2ELNS1_3repE0EEENS1_30default_config_static_selectorELNS0_4arch9wavefront6targetE1EEEvSK_.has_recursion, 0
	.set _ZN7rocprim17ROCPRIM_400000_NS6detail17trampoline_kernelINS0_14default_configENS1_36segmented_radix_sort_config_selectorIslEEZNS1_25segmented_radix_sort_implIS3_Lb0EPKsPsPKlPlN2at6native12_GLOBAL__N_18offset_tEEE10hipError_tPvRmT1_PNSt15iterator_traitsISK_E10value_typeET2_T3_PNSL_ISQ_E10value_typeET4_jRbjT5_SW_jjP12ihipStream_tbEUlT_E_NS1_11comp_targetILNS1_3genE8ELNS1_11target_archE1030ELNS1_3gpuE2ELNS1_3repE0EEENS1_30default_config_static_selectorELNS0_4arch9wavefront6targetE1EEEvSK_.has_indirect_call, 0
	.section	.AMDGPU.csdata,"",@progbits
; Kernel info:
; codeLenInByte = 0
; TotalNumSgprs: 4
; NumVgprs: 0
; ScratchSize: 0
; MemoryBound: 0
; FloatMode: 240
; IeeeMode: 1
; LDSByteSize: 0 bytes/workgroup (compile time only)
; SGPRBlocks: 0
; VGPRBlocks: 0
; NumSGPRsForWavesPerEU: 4
; NumVGPRsForWavesPerEU: 1
; Occupancy: 10
; WaveLimiterHint : 0
; COMPUTE_PGM_RSRC2:SCRATCH_EN: 0
; COMPUTE_PGM_RSRC2:USER_SGPR: 6
; COMPUTE_PGM_RSRC2:TRAP_HANDLER: 0
; COMPUTE_PGM_RSRC2:TGID_X_EN: 1
; COMPUTE_PGM_RSRC2:TGID_Y_EN: 0
; COMPUTE_PGM_RSRC2:TGID_Z_EN: 0
; COMPUTE_PGM_RSRC2:TIDIG_COMP_CNT: 0
	.section	.text._ZN7rocprim17ROCPRIM_400000_NS6detail17trampoline_kernelINS0_14default_configENS1_36segmented_radix_sort_config_selectorIslEEZNS1_25segmented_radix_sort_implIS3_Lb0EPKsPsPKlPlN2at6native12_GLOBAL__N_18offset_tEEE10hipError_tPvRmT1_PNSt15iterator_traitsISK_E10value_typeET2_T3_PNSL_ISQ_E10value_typeET4_jRbjT5_SW_jjP12ihipStream_tbEUlT_E0_NS1_11comp_targetILNS1_3genE0ELNS1_11target_archE4294967295ELNS1_3gpuE0ELNS1_3repE0EEENS1_60segmented_radix_sort_warp_sort_medium_config_static_selectorELNS0_4arch9wavefront6targetE1EEEvSK_,"axG",@progbits,_ZN7rocprim17ROCPRIM_400000_NS6detail17trampoline_kernelINS0_14default_configENS1_36segmented_radix_sort_config_selectorIslEEZNS1_25segmented_radix_sort_implIS3_Lb0EPKsPsPKlPlN2at6native12_GLOBAL__N_18offset_tEEE10hipError_tPvRmT1_PNSt15iterator_traitsISK_E10value_typeET2_T3_PNSL_ISQ_E10value_typeET4_jRbjT5_SW_jjP12ihipStream_tbEUlT_E0_NS1_11comp_targetILNS1_3genE0ELNS1_11target_archE4294967295ELNS1_3gpuE0ELNS1_3repE0EEENS1_60segmented_radix_sort_warp_sort_medium_config_static_selectorELNS0_4arch9wavefront6targetE1EEEvSK_,comdat
	.globl	_ZN7rocprim17ROCPRIM_400000_NS6detail17trampoline_kernelINS0_14default_configENS1_36segmented_radix_sort_config_selectorIslEEZNS1_25segmented_radix_sort_implIS3_Lb0EPKsPsPKlPlN2at6native12_GLOBAL__N_18offset_tEEE10hipError_tPvRmT1_PNSt15iterator_traitsISK_E10value_typeET2_T3_PNSL_ISQ_E10value_typeET4_jRbjT5_SW_jjP12ihipStream_tbEUlT_E0_NS1_11comp_targetILNS1_3genE0ELNS1_11target_archE4294967295ELNS1_3gpuE0ELNS1_3repE0EEENS1_60segmented_radix_sort_warp_sort_medium_config_static_selectorELNS0_4arch9wavefront6targetE1EEEvSK_ ; -- Begin function _ZN7rocprim17ROCPRIM_400000_NS6detail17trampoline_kernelINS0_14default_configENS1_36segmented_radix_sort_config_selectorIslEEZNS1_25segmented_radix_sort_implIS3_Lb0EPKsPsPKlPlN2at6native12_GLOBAL__N_18offset_tEEE10hipError_tPvRmT1_PNSt15iterator_traitsISK_E10value_typeET2_T3_PNSL_ISQ_E10value_typeET4_jRbjT5_SW_jjP12ihipStream_tbEUlT_E0_NS1_11comp_targetILNS1_3genE0ELNS1_11target_archE4294967295ELNS1_3gpuE0ELNS1_3repE0EEENS1_60segmented_radix_sort_warp_sort_medium_config_static_selectorELNS0_4arch9wavefront6targetE1EEEvSK_
	.p2align	8
	.type	_ZN7rocprim17ROCPRIM_400000_NS6detail17trampoline_kernelINS0_14default_configENS1_36segmented_radix_sort_config_selectorIslEEZNS1_25segmented_radix_sort_implIS3_Lb0EPKsPsPKlPlN2at6native12_GLOBAL__N_18offset_tEEE10hipError_tPvRmT1_PNSt15iterator_traitsISK_E10value_typeET2_T3_PNSL_ISQ_E10value_typeET4_jRbjT5_SW_jjP12ihipStream_tbEUlT_E0_NS1_11comp_targetILNS1_3genE0ELNS1_11target_archE4294967295ELNS1_3gpuE0ELNS1_3repE0EEENS1_60segmented_radix_sort_warp_sort_medium_config_static_selectorELNS0_4arch9wavefront6targetE1EEEvSK_,@function
_ZN7rocprim17ROCPRIM_400000_NS6detail17trampoline_kernelINS0_14default_configENS1_36segmented_radix_sort_config_selectorIslEEZNS1_25segmented_radix_sort_implIS3_Lb0EPKsPsPKlPlN2at6native12_GLOBAL__N_18offset_tEEE10hipError_tPvRmT1_PNSt15iterator_traitsISK_E10value_typeET2_T3_PNSL_ISQ_E10value_typeET4_jRbjT5_SW_jjP12ihipStream_tbEUlT_E0_NS1_11comp_targetILNS1_3genE0ELNS1_11target_archE4294967295ELNS1_3gpuE0ELNS1_3repE0EEENS1_60segmented_radix_sort_warp_sort_medium_config_static_selectorELNS0_4arch9wavefront6targetE1EEEvSK_: ; @_ZN7rocprim17ROCPRIM_400000_NS6detail17trampoline_kernelINS0_14default_configENS1_36segmented_radix_sort_config_selectorIslEEZNS1_25segmented_radix_sort_implIS3_Lb0EPKsPsPKlPlN2at6native12_GLOBAL__N_18offset_tEEE10hipError_tPvRmT1_PNSt15iterator_traitsISK_E10value_typeET2_T3_PNSL_ISQ_E10value_typeET4_jRbjT5_SW_jjP12ihipStream_tbEUlT_E0_NS1_11comp_targetILNS1_3genE0ELNS1_11target_archE4294967295ELNS1_3gpuE0ELNS1_3repE0EEENS1_60segmented_radix_sort_warp_sort_medium_config_static_selectorELNS0_4arch9wavefront6targetE1EEEvSK_
; %bb.0:
	.section	.rodata,"a",@progbits
	.p2align	6, 0x0
	.amdhsa_kernel _ZN7rocprim17ROCPRIM_400000_NS6detail17trampoline_kernelINS0_14default_configENS1_36segmented_radix_sort_config_selectorIslEEZNS1_25segmented_radix_sort_implIS3_Lb0EPKsPsPKlPlN2at6native12_GLOBAL__N_18offset_tEEE10hipError_tPvRmT1_PNSt15iterator_traitsISK_E10value_typeET2_T3_PNSL_ISQ_E10value_typeET4_jRbjT5_SW_jjP12ihipStream_tbEUlT_E0_NS1_11comp_targetILNS1_3genE0ELNS1_11target_archE4294967295ELNS1_3gpuE0ELNS1_3repE0EEENS1_60segmented_radix_sort_warp_sort_medium_config_static_selectorELNS0_4arch9wavefront6targetE1EEEvSK_
		.amdhsa_group_segment_fixed_size 0
		.amdhsa_private_segment_fixed_size 0
		.amdhsa_kernarg_size 88
		.amdhsa_user_sgpr_count 6
		.amdhsa_user_sgpr_private_segment_buffer 1
		.amdhsa_user_sgpr_dispatch_ptr 0
		.amdhsa_user_sgpr_queue_ptr 0
		.amdhsa_user_sgpr_kernarg_segment_ptr 1
		.amdhsa_user_sgpr_dispatch_id 0
		.amdhsa_user_sgpr_flat_scratch_init 0
		.amdhsa_user_sgpr_private_segment_size 0
		.amdhsa_uses_dynamic_stack 0
		.amdhsa_system_sgpr_private_segment_wavefront_offset 0
		.amdhsa_system_sgpr_workgroup_id_x 1
		.amdhsa_system_sgpr_workgroup_id_y 0
		.amdhsa_system_sgpr_workgroup_id_z 0
		.amdhsa_system_sgpr_workgroup_info 0
		.amdhsa_system_vgpr_workitem_id 0
		.amdhsa_next_free_vgpr 1
		.amdhsa_next_free_sgpr 0
		.amdhsa_reserve_vcc 0
		.amdhsa_reserve_flat_scratch 0
		.amdhsa_float_round_mode_32 0
		.amdhsa_float_round_mode_16_64 0
		.amdhsa_float_denorm_mode_32 3
		.amdhsa_float_denorm_mode_16_64 3
		.amdhsa_dx10_clamp 1
		.amdhsa_ieee_mode 1
		.amdhsa_fp16_overflow 0
		.amdhsa_exception_fp_ieee_invalid_op 0
		.amdhsa_exception_fp_denorm_src 0
		.amdhsa_exception_fp_ieee_div_zero 0
		.amdhsa_exception_fp_ieee_overflow 0
		.amdhsa_exception_fp_ieee_underflow 0
		.amdhsa_exception_fp_ieee_inexact 0
		.amdhsa_exception_int_div_zero 0
	.end_amdhsa_kernel
	.section	.text._ZN7rocprim17ROCPRIM_400000_NS6detail17trampoline_kernelINS0_14default_configENS1_36segmented_radix_sort_config_selectorIslEEZNS1_25segmented_radix_sort_implIS3_Lb0EPKsPsPKlPlN2at6native12_GLOBAL__N_18offset_tEEE10hipError_tPvRmT1_PNSt15iterator_traitsISK_E10value_typeET2_T3_PNSL_ISQ_E10value_typeET4_jRbjT5_SW_jjP12ihipStream_tbEUlT_E0_NS1_11comp_targetILNS1_3genE0ELNS1_11target_archE4294967295ELNS1_3gpuE0ELNS1_3repE0EEENS1_60segmented_radix_sort_warp_sort_medium_config_static_selectorELNS0_4arch9wavefront6targetE1EEEvSK_,"axG",@progbits,_ZN7rocprim17ROCPRIM_400000_NS6detail17trampoline_kernelINS0_14default_configENS1_36segmented_radix_sort_config_selectorIslEEZNS1_25segmented_radix_sort_implIS3_Lb0EPKsPsPKlPlN2at6native12_GLOBAL__N_18offset_tEEE10hipError_tPvRmT1_PNSt15iterator_traitsISK_E10value_typeET2_T3_PNSL_ISQ_E10value_typeET4_jRbjT5_SW_jjP12ihipStream_tbEUlT_E0_NS1_11comp_targetILNS1_3genE0ELNS1_11target_archE4294967295ELNS1_3gpuE0ELNS1_3repE0EEENS1_60segmented_radix_sort_warp_sort_medium_config_static_selectorELNS0_4arch9wavefront6targetE1EEEvSK_,comdat
.Lfunc_end1024:
	.size	_ZN7rocprim17ROCPRIM_400000_NS6detail17trampoline_kernelINS0_14default_configENS1_36segmented_radix_sort_config_selectorIslEEZNS1_25segmented_radix_sort_implIS3_Lb0EPKsPsPKlPlN2at6native12_GLOBAL__N_18offset_tEEE10hipError_tPvRmT1_PNSt15iterator_traitsISK_E10value_typeET2_T3_PNSL_ISQ_E10value_typeET4_jRbjT5_SW_jjP12ihipStream_tbEUlT_E0_NS1_11comp_targetILNS1_3genE0ELNS1_11target_archE4294967295ELNS1_3gpuE0ELNS1_3repE0EEENS1_60segmented_radix_sort_warp_sort_medium_config_static_selectorELNS0_4arch9wavefront6targetE1EEEvSK_, .Lfunc_end1024-_ZN7rocprim17ROCPRIM_400000_NS6detail17trampoline_kernelINS0_14default_configENS1_36segmented_radix_sort_config_selectorIslEEZNS1_25segmented_radix_sort_implIS3_Lb0EPKsPsPKlPlN2at6native12_GLOBAL__N_18offset_tEEE10hipError_tPvRmT1_PNSt15iterator_traitsISK_E10value_typeET2_T3_PNSL_ISQ_E10value_typeET4_jRbjT5_SW_jjP12ihipStream_tbEUlT_E0_NS1_11comp_targetILNS1_3genE0ELNS1_11target_archE4294967295ELNS1_3gpuE0ELNS1_3repE0EEENS1_60segmented_radix_sort_warp_sort_medium_config_static_selectorELNS0_4arch9wavefront6targetE1EEEvSK_
                                        ; -- End function
	.set _ZN7rocprim17ROCPRIM_400000_NS6detail17trampoline_kernelINS0_14default_configENS1_36segmented_radix_sort_config_selectorIslEEZNS1_25segmented_radix_sort_implIS3_Lb0EPKsPsPKlPlN2at6native12_GLOBAL__N_18offset_tEEE10hipError_tPvRmT1_PNSt15iterator_traitsISK_E10value_typeET2_T3_PNSL_ISQ_E10value_typeET4_jRbjT5_SW_jjP12ihipStream_tbEUlT_E0_NS1_11comp_targetILNS1_3genE0ELNS1_11target_archE4294967295ELNS1_3gpuE0ELNS1_3repE0EEENS1_60segmented_radix_sort_warp_sort_medium_config_static_selectorELNS0_4arch9wavefront6targetE1EEEvSK_.num_vgpr, 0
	.set _ZN7rocprim17ROCPRIM_400000_NS6detail17trampoline_kernelINS0_14default_configENS1_36segmented_radix_sort_config_selectorIslEEZNS1_25segmented_radix_sort_implIS3_Lb0EPKsPsPKlPlN2at6native12_GLOBAL__N_18offset_tEEE10hipError_tPvRmT1_PNSt15iterator_traitsISK_E10value_typeET2_T3_PNSL_ISQ_E10value_typeET4_jRbjT5_SW_jjP12ihipStream_tbEUlT_E0_NS1_11comp_targetILNS1_3genE0ELNS1_11target_archE4294967295ELNS1_3gpuE0ELNS1_3repE0EEENS1_60segmented_radix_sort_warp_sort_medium_config_static_selectorELNS0_4arch9wavefront6targetE1EEEvSK_.num_agpr, 0
	.set _ZN7rocprim17ROCPRIM_400000_NS6detail17trampoline_kernelINS0_14default_configENS1_36segmented_radix_sort_config_selectorIslEEZNS1_25segmented_radix_sort_implIS3_Lb0EPKsPsPKlPlN2at6native12_GLOBAL__N_18offset_tEEE10hipError_tPvRmT1_PNSt15iterator_traitsISK_E10value_typeET2_T3_PNSL_ISQ_E10value_typeET4_jRbjT5_SW_jjP12ihipStream_tbEUlT_E0_NS1_11comp_targetILNS1_3genE0ELNS1_11target_archE4294967295ELNS1_3gpuE0ELNS1_3repE0EEENS1_60segmented_radix_sort_warp_sort_medium_config_static_selectorELNS0_4arch9wavefront6targetE1EEEvSK_.numbered_sgpr, 0
	.set _ZN7rocprim17ROCPRIM_400000_NS6detail17trampoline_kernelINS0_14default_configENS1_36segmented_radix_sort_config_selectorIslEEZNS1_25segmented_radix_sort_implIS3_Lb0EPKsPsPKlPlN2at6native12_GLOBAL__N_18offset_tEEE10hipError_tPvRmT1_PNSt15iterator_traitsISK_E10value_typeET2_T3_PNSL_ISQ_E10value_typeET4_jRbjT5_SW_jjP12ihipStream_tbEUlT_E0_NS1_11comp_targetILNS1_3genE0ELNS1_11target_archE4294967295ELNS1_3gpuE0ELNS1_3repE0EEENS1_60segmented_radix_sort_warp_sort_medium_config_static_selectorELNS0_4arch9wavefront6targetE1EEEvSK_.num_named_barrier, 0
	.set _ZN7rocprim17ROCPRIM_400000_NS6detail17trampoline_kernelINS0_14default_configENS1_36segmented_radix_sort_config_selectorIslEEZNS1_25segmented_radix_sort_implIS3_Lb0EPKsPsPKlPlN2at6native12_GLOBAL__N_18offset_tEEE10hipError_tPvRmT1_PNSt15iterator_traitsISK_E10value_typeET2_T3_PNSL_ISQ_E10value_typeET4_jRbjT5_SW_jjP12ihipStream_tbEUlT_E0_NS1_11comp_targetILNS1_3genE0ELNS1_11target_archE4294967295ELNS1_3gpuE0ELNS1_3repE0EEENS1_60segmented_radix_sort_warp_sort_medium_config_static_selectorELNS0_4arch9wavefront6targetE1EEEvSK_.private_seg_size, 0
	.set _ZN7rocprim17ROCPRIM_400000_NS6detail17trampoline_kernelINS0_14default_configENS1_36segmented_radix_sort_config_selectorIslEEZNS1_25segmented_radix_sort_implIS3_Lb0EPKsPsPKlPlN2at6native12_GLOBAL__N_18offset_tEEE10hipError_tPvRmT1_PNSt15iterator_traitsISK_E10value_typeET2_T3_PNSL_ISQ_E10value_typeET4_jRbjT5_SW_jjP12ihipStream_tbEUlT_E0_NS1_11comp_targetILNS1_3genE0ELNS1_11target_archE4294967295ELNS1_3gpuE0ELNS1_3repE0EEENS1_60segmented_radix_sort_warp_sort_medium_config_static_selectorELNS0_4arch9wavefront6targetE1EEEvSK_.uses_vcc, 0
	.set _ZN7rocprim17ROCPRIM_400000_NS6detail17trampoline_kernelINS0_14default_configENS1_36segmented_radix_sort_config_selectorIslEEZNS1_25segmented_radix_sort_implIS3_Lb0EPKsPsPKlPlN2at6native12_GLOBAL__N_18offset_tEEE10hipError_tPvRmT1_PNSt15iterator_traitsISK_E10value_typeET2_T3_PNSL_ISQ_E10value_typeET4_jRbjT5_SW_jjP12ihipStream_tbEUlT_E0_NS1_11comp_targetILNS1_3genE0ELNS1_11target_archE4294967295ELNS1_3gpuE0ELNS1_3repE0EEENS1_60segmented_radix_sort_warp_sort_medium_config_static_selectorELNS0_4arch9wavefront6targetE1EEEvSK_.uses_flat_scratch, 0
	.set _ZN7rocprim17ROCPRIM_400000_NS6detail17trampoline_kernelINS0_14default_configENS1_36segmented_radix_sort_config_selectorIslEEZNS1_25segmented_radix_sort_implIS3_Lb0EPKsPsPKlPlN2at6native12_GLOBAL__N_18offset_tEEE10hipError_tPvRmT1_PNSt15iterator_traitsISK_E10value_typeET2_T3_PNSL_ISQ_E10value_typeET4_jRbjT5_SW_jjP12ihipStream_tbEUlT_E0_NS1_11comp_targetILNS1_3genE0ELNS1_11target_archE4294967295ELNS1_3gpuE0ELNS1_3repE0EEENS1_60segmented_radix_sort_warp_sort_medium_config_static_selectorELNS0_4arch9wavefront6targetE1EEEvSK_.has_dyn_sized_stack, 0
	.set _ZN7rocprim17ROCPRIM_400000_NS6detail17trampoline_kernelINS0_14default_configENS1_36segmented_radix_sort_config_selectorIslEEZNS1_25segmented_radix_sort_implIS3_Lb0EPKsPsPKlPlN2at6native12_GLOBAL__N_18offset_tEEE10hipError_tPvRmT1_PNSt15iterator_traitsISK_E10value_typeET2_T3_PNSL_ISQ_E10value_typeET4_jRbjT5_SW_jjP12ihipStream_tbEUlT_E0_NS1_11comp_targetILNS1_3genE0ELNS1_11target_archE4294967295ELNS1_3gpuE0ELNS1_3repE0EEENS1_60segmented_radix_sort_warp_sort_medium_config_static_selectorELNS0_4arch9wavefront6targetE1EEEvSK_.has_recursion, 0
	.set _ZN7rocprim17ROCPRIM_400000_NS6detail17trampoline_kernelINS0_14default_configENS1_36segmented_radix_sort_config_selectorIslEEZNS1_25segmented_radix_sort_implIS3_Lb0EPKsPsPKlPlN2at6native12_GLOBAL__N_18offset_tEEE10hipError_tPvRmT1_PNSt15iterator_traitsISK_E10value_typeET2_T3_PNSL_ISQ_E10value_typeET4_jRbjT5_SW_jjP12ihipStream_tbEUlT_E0_NS1_11comp_targetILNS1_3genE0ELNS1_11target_archE4294967295ELNS1_3gpuE0ELNS1_3repE0EEENS1_60segmented_radix_sort_warp_sort_medium_config_static_selectorELNS0_4arch9wavefront6targetE1EEEvSK_.has_indirect_call, 0
	.section	.AMDGPU.csdata,"",@progbits
; Kernel info:
; codeLenInByte = 0
; TotalNumSgprs: 4
; NumVgprs: 0
; ScratchSize: 0
; MemoryBound: 0
; FloatMode: 240
; IeeeMode: 1
; LDSByteSize: 0 bytes/workgroup (compile time only)
; SGPRBlocks: 0
; VGPRBlocks: 0
; NumSGPRsForWavesPerEU: 4
; NumVGPRsForWavesPerEU: 1
; Occupancy: 10
; WaveLimiterHint : 0
; COMPUTE_PGM_RSRC2:SCRATCH_EN: 0
; COMPUTE_PGM_RSRC2:USER_SGPR: 6
; COMPUTE_PGM_RSRC2:TRAP_HANDLER: 0
; COMPUTE_PGM_RSRC2:TGID_X_EN: 1
; COMPUTE_PGM_RSRC2:TGID_Y_EN: 0
; COMPUTE_PGM_RSRC2:TGID_Z_EN: 0
; COMPUTE_PGM_RSRC2:TIDIG_COMP_CNT: 0
	.section	.text._ZN7rocprim17ROCPRIM_400000_NS6detail17trampoline_kernelINS0_14default_configENS1_36segmented_radix_sort_config_selectorIslEEZNS1_25segmented_radix_sort_implIS3_Lb0EPKsPsPKlPlN2at6native12_GLOBAL__N_18offset_tEEE10hipError_tPvRmT1_PNSt15iterator_traitsISK_E10value_typeET2_T3_PNSL_ISQ_E10value_typeET4_jRbjT5_SW_jjP12ihipStream_tbEUlT_E0_NS1_11comp_targetILNS1_3genE5ELNS1_11target_archE942ELNS1_3gpuE9ELNS1_3repE0EEENS1_60segmented_radix_sort_warp_sort_medium_config_static_selectorELNS0_4arch9wavefront6targetE1EEEvSK_,"axG",@progbits,_ZN7rocprim17ROCPRIM_400000_NS6detail17trampoline_kernelINS0_14default_configENS1_36segmented_radix_sort_config_selectorIslEEZNS1_25segmented_radix_sort_implIS3_Lb0EPKsPsPKlPlN2at6native12_GLOBAL__N_18offset_tEEE10hipError_tPvRmT1_PNSt15iterator_traitsISK_E10value_typeET2_T3_PNSL_ISQ_E10value_typeET4_jRbjT5_SW_jjP12ihipStream_tbEUlT_E0_NS1_11comp_targetILNS1_3genE5ELNS1_11target_archE942ELNS1_3gpuE9ELNS1_3repE0EEENS1_60segmented_radix_sort_warp_sort_medium_config_static_selectorELNS0_4arch9wavefront6targetE1EEEvSK_,comdat
	.globl	_ZN7rocprim17ROCPRIM_400000_NS6detail17trampoline_kernelINS0_14default_configENS1_36segmented_radix_sort_config_selectorIslEEZNS1_25segmented_radix_sort_implIS3_Lb0EPKsPsPKlPlN2at6native12_GLOBAL__N_18offset_tEEE10hipError_tPvRmT1_PNSt15iterator_traitsISK_E10value_typeET2_T3_PNSL_ISQ_E10value_typeET4_jRbjT5_SW_jjP12ihipStream_tbEUlT_E0_NS1_11comp_targetILNS1_3genE5ELNS1_11target_archE942ELNS1_3gpuE9ELNS1_3repE0EEENS1_60segmented_radix_sort_warp_sort_medium_config_static_selectorELNS0_4arch9wavefront6targetE1EEEvSK_ ; -- Begin function _ZN7rocprim17ROCPRIM_400000_NS6detail17trampoline_kernelINS0_14default_configENS1_36segmented_radix_sort_config_selectorIslEEZNS1_25segmented_radix_sort_implIS3_Lb0EPKsPsPKlPlN2at6native12_GLOBAL__N_18offset_tEEE10hipError_tPvRmT1_PNSt15iterator_traitsISK_E10value_typeET2_T3_PNSL_ISQ_E10value_typeET4_jRbjT5_SW_jjP12ihipStream_tbEUlT_E0_NS1_11comp_targetILNS1_3genE5ELNS1_11target_archE942ELNS1_3gpuE9ELNS1_3repE0EEENS1_60segmented_radix_sort_warp_sort_medium_config_static_selectorELNS0_4arch9wavefront6targetE1EEEvSK_
	.p2align	8
	.type	_ZN7rocprim17ROCPRIM_400000_NS6detail17trampoline_kernelINS0_14default_configENS1_36segmented_radix_sort_config_selectorIslEEZNS1_25segmented_radix_sort_implIS3_Lb0EPKsPsPKlPlN2at6native12_GLOBAL__N_18offset_tEEE10hipError_tPvRmT1_PNSt15iterator_traitsISK_E10value_typeET2_T3_PNSL_ISQ_E10value_typeET4_jRbjT5_SW_jjP12ihipStream_tbEUlT_E0_NS1_11comp_targetILNS1_3genE5ELNS1_11target_archE942ELNS1_3gpuE9ELNS1_3repE0EEENS1_60segmented_radix_sort_warp_sort_medium_config_static_selectorELNS0_4arch9wavefront6targetE1EEEvSK_,@function
_ZN7rocprim17ROCPRIM_400000_NS6detail17trampoline_kernelINS0_14default_configENS1_36segmented_radix_sort_config_selectorIslEEZNS1_25segmented_radix_sort_implIS3_Lb0EPKsPsPKlPlN2at6native12_GLOBAL__N_18offset_tEEE10hipError_tPvRmT1_PNSt15iterator_traitsISK_E10value_typeET2_T3_PNSL_ISQ_E10value_typeET4_jRbjT5_SW_jjP12ihipStream_tbEUlT_E0_NS1_11comp_targetILNS1_3genE5ELNS1_11target_archE942ELNS1_3gpuE9ELNS1_3repE0EEENS1_60segmented_radix_sort_warp_sort_medium_config_static_selectorELNS0_4arch9wavefront6targetE1EEEvSK_: ; @_ZN7rocprim17ROCPRIM_400000_NS6detail17trampoline_kernelINS0_14default_configENS1_36segmented_radix_sort_config_selectorIslEEZNS1_25segmented_radix_sort_implIS3_Lb0EPKsPsPKlPlN2at6native12_GLOBAL__N_18offset_tEEE10hipError_tPvRmT1_PNSt15iterator_traitsISK_E10value_typeET2_T3_PNSL_ISQ_E10value_typeET4_jRbjT5_SW_jjP12ihipStream_tbEUlT_E0_NS1_11comp_targetILNS1_3genE5ELNS1_11target_archE942ELNS1_3gpuE9ELNS1_3repE0EEENS1_60segmented_radix_sort_warp_sort_medium_config_static_selectorELNS0_4arch9wavefront6targetE1EEEvSK_
; %bb.0:
	.section	.rodata,"a",@progbits
	.p2align	6, 0x0
	.amdhsa_kernel _ZN7rocprim17ROCPRIM_400000_NS6detail17trampoline_kernelINS0_14default_configENS1_36segmented_radix_sort_config_selectorIslEEZNS1_25segmented_radix_sort_implIS3_Lb0EPKsPsPKlPlN2at6native12_GLOBAL__N_18offset_tEEE10hipError_tPvRmT1_PNSt15iterator_traitsISK_E10value_typeET2_T3_PNSL_ISQ_E10value_typeET4_jRbjT5_SW_jjP12ihipStream_tbEUlT_E0_NS1_11comp_targetILNS1_3genE5ELNS1_11target_archE942ELNS1_3gpuE9ELNS1_3repE0EEENS1_60segmented_radix_sort_warp_sort_medium_config_static_selectorELNS0_4arch9wavefront6targetE1EEEvSK_
		.amdhsa_group_segment_fixed_size 0
		.amdhsa_private_segment_fixed_size 0
		.amdhsa_kernarg_size 88
		.amdhsa_user_sgpr_count 6
		.amdhsa_user_sgpr_private_segment_buffer 1
		.amdhsa_user_sgpr_dispatch_ptr 0
		.amdhsa_user_sgpr_queue_ptr 0
		.amdhsa_user_sgpr_kernarg_segment_ptr 1
		.amdhsa_user_sgpr_dispatch_id 0
		.amdhsa_user_sgpr_flat_scratch_init 0
		.amdhsa_user_sgpr_private_segment_size 0
		.amdhsa_uses_dynamic_stack 0
		.amdhsa_system_sgpr_private_segment_wavefront_offset 0
		.amdhsa_system_sgpr_workgroup_id_x 1
		.amdhsa_system_sgpr_workgroup_id_y 0
		.amdhsa_system_sgpr_workgroup_id_z 0
		.amdhsa_system_sgpr_workgroup_info 0
		.amdhsa_system_vgpr_workitem_id 0
		.amdhsa_next_free_vgpr 1
		.amdhsa_next_free_sgpr 0
		.amdhsa_reserve_vcc 0
		.amdhsa_reserve_flat_scratch 0
		.amdhsa_float_round_mode_32 0
		.amdhsa_float_round_mode_16_64 0
		.amdhsa_float_denorm_mode_32 3
		.amdhsa_float_denorm_mode_16_64 3
		.amdhsa_dx10_clamp 1
		.amdhsa_ieee_mode 1
		.amdhsa_fp16_overflow 0
		.amdhsa_exception_fp_ieee_invalid_op 0
		.amdhsa_exception_fp_denorm_src 0
		.amdhsa_exception_fp_ieee_div_zero 0
		.amdhsa_exception_fp_ieee_overflow 0
		.amdhsa_exception_fp_ieee_underflow 0
		.amdhsa_exception_fp_ieee_inexact 0
		.amdhsa_exception_int_div_zero 0
	.end_amdhsa_kernel
	.section	.text._ZN7rocprim17ROCPRIM_400000_NS6detail17trampoline_kernelINS0_14default_configENS1_36segmented_radix_sort_config_selectorIslEEZNS1_25segmented_radix_sort_implIS3_Lb0EPKsPsPKlPlN2at6native12_GLOBAL__N_18offset_tEEE10hipError_tPvRmT1_PNSt15iterator_traitsISK_E10value_typeET2_T3_PNSL_ISQ_E10value_typeET4_jRbjT5_SW_jjP12ihipStream_tbEUlT_E0_NS1_11comp_targetILNS1_3genE5ELNS1_11target_archE942ELNS1_3gpuE9ELNS1_3repE0EEENS1_60segmented_radix_sort_warp_sort_medium_config_static_selectorELNS0_4arch9wavefront6targetE1EEEvSK_,"axG",@progbits,_ZN7rocprim17ROCPRIM_400000_NS6detail17trampoline_kernelINS0_14default_configENS1_36segmented_radix_sort_config_selectorIslEEZNS1_25segmented_radix_sort_implIS3_Lb0EPKsPsPKlPlN2at6native12_GLOBAL__N_18offset_tEEE10hipError_tPvRmT1_PNSt15iterator_traitsISK_E10value_typeET2_T3_PNSL_ISQ_E10value_typeET4_jRbjT5_SW_jjP12ihipStream_tbEUlT_E0_NS1_11comp_targetILNS1_3genE5ELNS1_11target_archE942ELNS1_3gpuE9ELNS1_3repE0EEENS1_60segmented_radix_sort_warp_sort_medium_config_static_selectorELNS0_4arch9wavefront6targetE1EEEvSK_,comdat
.Lfunc_end1025:
	.size	_ZN7rocprim17ROCPRIM_400000_NS6detail17trampoline_kernelINS0_14default_configENS1_36segmented_radix_sort_config_selectorIslEEZNS1_25segmented_radix_sort_implIS3_Lb0EPKsPsPKlPlN2at6native12_GLOBAL__N_18offset_tEEE10hipError_tPvRmT1_PNSt15iterator_traitsISK_E10value_typeET2_T3_PNSL_ISQ_E10value_typeET4_jRbjT5_SW_jjP12ihipStream_tbEUlT_E0_NS1_11comp_targetILNS1_3genE5ELNS1_11target_archE942ELNS1_3gpuE9ELNS1_3repE0EEENS1_60segmented_radix_sort_warp_sort_medium_config_static_selectorELNS0_4arch9wavefront6targetE1EEEvSK_, .Lfunc_end1025-_ZN7rocprim17ROCPRIM_400000_NS6detail17trampoline_kernelINS0_14default_configENS1_36segmented_radix_sort_config_selectorIslEEZNS1_25segmented_radix_sort_implIS3_Lb0EPKsPsPKlPlN2at6native12_GLOBAL__N_18offset_tEEE10hipError_tPvRmT1_PNSt15iterator_traitsISK_E10value_typeET2_T3_PNSL_ISQ_E10value_typeET4_jRbjT5_SW_jjP12ihipStream_tbEUlT_E0_NS1_11comp_targetILNS1_3genE5ELNS1_11target_archE942ELNS1_3gpuE9ELNS1_3repE0EEENS1_60segmented_radix_sort_warp_sort_medium_config_static_selectorELNS0_4arch9wavefront6targetE1EEEvSK_
                                        ; -- End function
	.set _ZN7rocprim17ROCPRIM_400000_NS6detail17trampoline_kernelINS0_14default_configENS1_36segmented_radix_sort_config_selectorIslEEZNS1_25segmented_radix_sort_implIS3_Lb0EPKsPsPKlPlN2at6native12_GLOBAL__N_18offset_tEEE10hipError_tPvRmT1_PNSt15iterator_traitsISK_E10value_typeET2_T3_PNSL_ISQ_E10value_typeET4_jRbjT5_SW_jjP12ihipStream_tbEUlT_E0_NS1_11comp_targetILNS1_3genE5ELNS1_11target_archE942ELNS1_3gpuE9ELNS1_3repE0EEENS1_60segmented_radix_sort_warp_sort_medium_config_static_selectorELNS0_4arch9wavefront6targetE1EEEvSK_.num_vgpr, 0
	.set _ZN7rocprim17ROCPRIM_400000_NS6detail17trampoline_kernelINS0_14default_configENS1_36segmented_radix_sort_config_selectorIslEEZNS1_25segmented_radix_sort_implIS3_Lb0EPKsPsPKlPlN2at6native12_GLOBAL__N_18offset_tEEE10hipError_tPvRmT1_PNSt15iterator_traitsISK_E10value_typeET2_T3_PNSL_ISQ_E10value_typeET4_jRbjT5_SW_jjP12ihipStream_tbEUlT_E0_NS1_11comp_targetILNS1_3genE5ELNS1_11target_archE942ELNS1_3gpuE9ELNS1_3repE0EEENS1_60segmented_radix_sort_warp_sort_medium_config_static_selectorELNS0_4arch9wavefront6targetE1EEEvSK_.num_agpr, 0
	.set _ZN7rocprim17ROCPRIM_400000_NS6detail17trampoline_kernelINS0_14default_configENS1_36segmented_radix_sort_config_selectorIslEEZNS1_25segmented_radix_sort_implIS3_Lb0EPKsPsPKlPlN2at6native12_GLOBAL__N_18offset_tEEE10hipError_tPvRmT1_PNSt15iterator_traitsISK_E10value_typeET2_T3_PNSL_ISQ_E10value_typeET4_jRbjT5_SW_jjP12ihipStream_tbEUlT_E0_NS1_11comp_targetILNS1_3genE5ELNS1_11target_archE942ELNS1_3gpuE9ELNS1_3repE0EEENS1_60segmented_radix_sort_warp_sort_medium_config_static_selectorELNS0_4arch9wavefront6targetE1EEEvSK_.numbered_sgpr, 0
	.set _ZN7rocprim17ROCPRIM_400000_NS6detail17trampoline_kernelINS0_14default_configENS1_36segmented_radix_sort_config_selectorIslEEZNS1_25segmented_radix_sort_implIS3_Lb0EPKsPsPKlPlN2at6native12_GLOBAL__N_18offset_tEEE10hipError_tPvRmT1_PNSt15iterator_traitsISK_E10value_typeET2_T3_PNSL_ISQ_E10value_typeET4_jRbjT5_SW_jjP12ihipStream_tbEUlT_E0_NS1_11comp_targetILNS1_3genE5ELNS1_11target_archE942ELNS1_3gpuE9ELNS1_3repE0EEENS1_60segmented_radix_sort_warp_sort_medium_config_static_selectorELNS0_4arch9wavefront6targetE1EEEvSK_.num_named_barrier, 0
	.set _ZN7rocprim17ROCPRIM_400000_NS6detail17trampoline_kernelINS0_14default_configENS1_36segmented_radix_sort_config_selectorIslEEZNS1_25segmented_radix_sort_implIS3_Lb0EPKsPsPKlPlN2at6native12_GLOBAL__N_18offset_tEEE10hipError_tPvRmT1_PNSt15iterator_traitsISK_E10value_typeET2_T3_PNSL_ISQ_E10value_typeET4_jRbjT5_SW_jjP12ihipStream_tbEUlT_E0_NS1_11comp_targetILNS1_3genE5ELNS1_11target_archE942ELNS1_3gpuE9ELNS1_3repE0EEENS1_60segmented_radix_sort_warp_sort_medium_config_static_selectorELNS0_4arch9wavefront6targetE1EEEvSK_.private_seg_size, 0
	.set _ZN7rocprim17ROCPRIM_400000_NS6detail17trampoline_kernelINS0_14default_configENS1_36segmented_radix_sort_config_selectorIslEEZNS1_25segmented_radix_sort_implIS3_Lb0EPKsPsPKlPlN2at6native12_GLOBAL__N_18offset_tEEE10hipError_tPvRmT1_PNSt15iterator_traitsISK_E10value_typeET2_T3_PNSL_ISQ_E10value_typeET4_jRbjT5_SW_jjP12ihipStream_tbEUlT_E0_NS1_11comp_targetILNS1_3genE5ELNS1_11target_archE942ELNS1_3gpuE9ELNS1_3repE0EEENS1_60segmented_radix_sort_warp_sort_medium_config_static_selectorELNS0_4arch9wavefront6targetE1EEEvSK_.uses_vcc, 0
	.set _ZN7rocprim17ROCPRIM_400000_NS6detail17trampoline_kernelINS0_14default_configENS1_36segmented_radix_sort_config_selectorIslEEZNS1_25segmented_radix_sort_implIS3_Lb0EPKsPsPKlPlN2at6native12_GLOBAL__N_18offset_tEEE10hipError_tPvRmT1_PNSt15iterator_traitsISK_E10value_typeET2_T3_PNSL_ISQ_E10value_typeET4_jRbjT5_SW_jjP12ihipStream_tbEUlT_E0_NS1_11comp_targetILNS1_3genE5ELNS1_11target_archE942ELNS1_3gpuE9ELNS1_3repE0EEENS1_60segmented_radix_sort_warp_sort_medium_config_static_selectorELNS0_4arch9wavefront6targetE1EEEvSK_.uses_flat_scratch, 0
	.set _ZN7rocprim17ROCPRIM_400000_NS6detail17trampoline_kernelINS0_14default_configENS1_36segmented_radix_sort_config_selectorIslEEZNS1_25segmented_radix_sort_implIS3_Lb0EPKsPsPKlPlN2at6native12_GLOBAL__N_18offset_tEEE10hipError_tPvRmT1_PNSt15iterator_traitsISK_E10value_typeET2_T3_PNSL_ISQ_E10value_typeET4_jRbjT5_SW_jjP12ihipStream_tbEUlT_E0_NS1_11comp_targetILNS1_3genE5ELNS1_11target_archE942ELNS1_3gpuE9ELNS1_3repE0EEENS1_60segmented_radix_sort_warp_sort_medium_config_static_selectorELNS0_4arch9wavefront6targetE1EEEvSK_.has_dyn_sized_stack, 0
	.set _ZN7rocprim17ROCPRIM_400000_NS6detail17trampoline_kernelINS0_14default_configENS1_36segmented_radix_sort_config_selectorIslEEZNS1_25segmented_radix_sort_implIS3_Lb0EPKsPsPKlPlN2at6native12_GLOBAL__N_18offset_tEEE10hipError_tPvRmT1_PNSt15iterator_traitsISK_E10value_typeET2_T3_PNSL_ISQ_E10value_typeET4_jRbjT5_SW_jjP12ihipStream_tbEUlT_E0_NS1_11comp_targetILNS1_3genE5ELNS1_11target_archE942ELNS1_3gpuE9ELNS1_3repE0EEENS1_60segmented_radix_sort_warp_sort_medium_config_static_selectorELNS0_4arch9wavefront6targetE1EEEvSK_.has_recursion, 0
	.set _ZN7rocprim17ROCPRIM_400000_NS6detail17trampoline_kernelINS0_14default_configENS1_36segmented_radix_sort_config_selectorIslEEZNS1_25segmented_radix_sort_implIS3_Lb0EPKsPsPKlPlN2at6native12_GLOBAL__N_18offset_tEEE10hipError_tPvRmT1_PNSt15iterator_traitsISK_E10value_typeET2_T3_PNSL_ISQ_E10value_typeET4_jRbjT5_SW_jjP12ihipStream_tbEUlT_E0_NS1_11comp_targetILNS1_3genE5ELNS1_11target_archE942ELNS1_3gpuE9ELNS1_3repE0EEENS1_60segmented_radix_sort_warp_sort_medium_config_static_selectorELNS0_4arch9wavefront6targetE1EEEvSK_.has_indirect_call, 0
	.section	.AMDGPU.csdata,"",@progbits
; Kernel info:
; codeLenInByte = 0
; TotalNumSgprs: 4
; NumVgprs: 0
; ScratchSize: 0
; MemoryBound: 0
; FloatMode: 240
; IeeeMode: 1
; LDSByteSize: 0 bytes/workgroup (compile time only)
; SGPRBlocks: 0
; VGPRBlocks: 0
; NumSGPRsForWavesPerEU: 4
; NumVGPRsForWavesPerEU: 1
; Occupancy: 10
; WaveLimiterHint : 0
; COMPUTE_PGM_RSRC2:SCRATCH_EN: 0
; COMPUTE_PGM_RSRC2:USER_SGPR: 6
; COMPUTE_PGM_RSRC2:TRAP_HANDLER: 0
; COMPUTE_PGM_RSRC2:TGID_X_EN: 1
; COMPUTE_PGM_RSRC2:TGID_Y_EN: 0
; COMPUTE_PGM_RSRC2:TGID_Z_EN: 0
; COMPUTE_PGM_RSRC2:TIDIG_COMP_CNT: 0
	.section	.text._ZN7rocprim17ROCPRIM_400000_NS6detail17trampoline_kernelINS0_14default_configENS1_36segmented_radix_sort_config_selectorIslEEZNS1_25segmented_radix_sort_implIS3_Lb0EPKsPsPKlPlN2at6native12_GLOBAL__N_18offset_tEEE10hipError_tPvRmT1_PNSt15iterator_traitsISK_E10value_typeET2_T3_PNSL_ISQ_E10value_typeET4_jRbjT5_SW_jjP12ihipStream_tbEUlT_E0_NS1_11comp_targetILNS1_3genE4ELNS1_11target_archE910ELNS1_3gpuE8ELNS1_3repE0EEENS1_60segmented_radix_sort_warp_sort_medium_config_static_selectorELNS0_4arch9wavefront6targetE1EEEvSK_,"axG",@progbits,_ZN7rocprim17ROCPRIM_400000_NS6detail17trampoline_kernelINS0_14default_configENS1_36segmented_radix_sort_config_selectorIslEEZNS1_25segmented_radix_sort_implIS3_Lb0EPKsPsPKlPlN2at6native12_GLOBAL__N_18offset_tEEE10hipError_tPvRmT1_PNSt15iterator_traitsISK_E10value_typeET2_T3_PNSL_ISQ_E10value_typeET4_jRbjT5_SW_jjP12ihipStream_tbEUlT_E0_NS1_11comp_targetILNS1_3genE4ELNS1_11target_archE910ELNS1_3gpuE8ELNS1_3repE0EEENS1_60segmented_radix_sort_warp_sort_medium_config_static_selectorELNS0_4arch9wavefront6targetE1EEEvSK_,comdat
	.globl	_ZN7rocprim17ROCPRIM_400000_NS6detail17trampoline_kernelINS0_14default_configENS1_36segmented_radix_sort_config_selectorIslEEZNS1_25segmented_radix_sort_implIS3_Lb0EPKsPsPKlPlN2at6native12_GLOBAL__N_18offset_tEEE10hipError_tPvRmT1_PNSt15iterator_traitsISK_E10value_typeET2_T3_PNSL_ISQ_E10value_typeET4_jRbjT5_SW_jjP12ihipStream_tbEUlT_E0_NS1_11comp_targetILNS1_3genE4ELNS1_11target_archE910ELNS1_3gpuE8ELNS1_3repE0EEENS1_60segmented_radix_sort_warp_sort_medium_config_static_selectorELNS0_4arch9wavefront6targetE1EEEvSK_ ; -- Begin function _ZN7rocprim17ROCPRIM_400000_NS6detail17trampoline_kernelINS0_14default_configENS1_36segmented_radix_sort_config_selectorIslEEZNS1_25segmented_radix_sort_implIS3_Lb0EPKsPsPKlPlN2at6native12_GLOBAL__N_18offset_tEEE10hipError_tPvRmT1_PNSt15iterator_traitsISK_E10value_typeET2_T3_PNSL_ISQ_E10value_typeET4_jRbjT5_SW_jjP12ihipStream_tbEUlT_E0_NS1_11comp_targetILNS1_3genE4ELNS1_11target_archE910ELNS1_3gpuE8ELNS1_3repE0EEENS1_60segmented_radix_sort_warp_sort_medium_config_static_selectorELNS0_4arch9wavefront6targetE1EEEvSK_
	.p2align	8
	.type	_ZN7rocprim17ROCPRIM_400000_NS6detail17trampoline_kernelINS0_14default_configENS1_36segmented_radix_sort_config_selectorIslEEZNS1_25segmented_radix_sort_implIS3_Lb0EPKsPsPKlPlN2at6native12_GLOBAL__N_18offset_tEEE10hipError_tPvRmT1_PNSt15iterator_traitsISK_E10value_typeET2_T3_PNSL_ISQ_E10value_typeET4_jRbjT5_SW_jjP12ihipStream_tbEUlT_E0_NS1_11comp_targetILNS1_3genE4ELNS1_11target_archE910ELNS1_3gpuE8ELNS1_3repE0EEENS1_60segmented_radix_sort_warp_sort_medium_config_static_selectorELNS0_4arch9wavefront6targetE1EEEvSK_,@function
_ZN7rocprim17ROCPRIM_400000_NS6detail17trampoline_kernelINS0_14default_configENS1_36segmented_radix_sort_config_selectorIslEEZNS1_25segmented_radix_sort_implIS3_Lb0EPKsPsPKlPlN2at6native12_GLOBAL__N_18offset_tEEE10hipError_tPvRmT1_PNSt15iterator_traitsISK_E10value_typeET2_T3_PNSL_ISQ_E10value_typeET4_jRbjT5_SW_jjP12ihipStream_tbEUlT_E0_NS1_11comp_targetILNS1_3genE4ELNS1_11target_archE910ELNS1_3gpuE8ELNS1_3repE0EEENS1_60segmented_radix_sort_warp_sort_medium_config_static_selectorELNS0_4arch9wavefront6targetE1EEEvSK_: ; @_ZN7rocprim17ROCPRIM_400000_NS6detail17trampoline_kernelINS0_14default_configENS1_36segmented_radix_sort_config_selectorIslEEZNS1_25segmented_radix_sort_implIS3_Lb0EPKsPsPKlPlN2at6native12_GLOBAL__N_18offset_tEEE10hipError_tPvRmT1_PNSt15iterator_traitsISK_E10value_typeET2_T3_PNSL_ISQ_E10value_typeET4_jRbjT5_SW_jjP12ihipStream_tbEUlT_E0_NS1_11comp_targetILNS1_3genE4ELNS1_11target_archE910ELNS1_3gpuE8ELNS1_3repE0EEENS1_60segmented_radix_sort_warp_sort_medium_config_static_selectorELNS0_4arch9wavefront6targetE1EEEvSK_
; %bb.0:
	.section	.rodata,"a",@progbits
	.p2align	6, 0x0
	.amdhsa_kernel _ZN7rocprim17ROCPRIM_400000_NS6detail17trampoline_kernelINS0_14default_configENS1_36segmented_radix_sort_config_selectorIslEEZNS1_25segmented_radix_sort_implIS3_Lb0EPKsPsPKlPlN2at6native12_GLOBAL__N_18offset_tEEE10hipError_tPvRmT1_PNSt15iterator_traitsISK_E10value_typeET2_T3_PNSL_ISQ_E10value_typeET4_jRbjT5_SW_jjP12ihipStream_tbEUlT_E0_NS1_11comp_targetILNS1_3genE4ELNS1_11target_archE910ELNS1_3gpuE8ELNS1_3repE0EEENS1_60segmented_radix_sort_warp_sort_medium_config_static_selectorELNS0_4arch9wavefront6targetE1EEEvSK_
		.amdhsa_group_segment_fixed_size 0
		.amdhsa_private_segment_fixed_size 0
		.amdhsa_kernarg_size 88
		.amdhsa_user_sgpr_count 6
		.amdhsa_user_sgpr_private_segment_buffer 1
		.amdhsa_user_sgpr_dispatch_ptr 0
		.amdhsa_user_sgpr_queue_ptr 0
		.amdhsa_user_sgpr_kernarg_segment_ptr 1
		.amdhsa_user_sgpr_dispatch_id 0
		.amdhsa_user_sgpr_flat_scratch_init 0
		.amdhsa_user_sgpr_private_segment_size 0
		.amdhsa_uses_dynamic_stack 0
		.amdhsa_system_sgpr_private_segment_wavefront_offset 0
		.amdhsa_system_sgpr_workgroup_id_x 1
		.amdhsa_system_sgpr_workgroup_id_y 0
		.amdhsa_system_sgpr_workgroup_id_z 0
		.amdhsa_system_sgpr_workgroup_info 0
		.amdhsa_system_vgpr_workitem_id 0
		.amdhsa_next_free_vgpr 1
		.amdhsa_next_free_sgpr 0
		.amdhsa_reserve_vcc 0
		.amdhsa_reserve_flat_scratch 0
		.amdhsa_float_round_mode_32 0
		.amdhsa_float_round_mode_16_64 0
		.amdhsa_float_denorm_mode_32 3
		.amdhsa_float_denorm_mode_16_64 3
		.amdhsa_dx10_clamp 1
		.amdhsa_ieee_mode 1
		.amdhsa_fp16_overflow 0
		.amdhsa_exception_fp_ieee_invalid_op 0
		.amdhsa_exception_fp_denorm_src 0
		.amdhsa_exception_fp_ieee_div_zero 0
		.amdhsa_exception_fp_ieee_overflow 0
		.amdhsa_exception_fp_ieee_underflow 0
		.amdhsa_exception_fp_ieee_inexact 0
		.amdhsa_exception_int_div_zero 0
	.end_amdhsa_kernel
	.section	.text._ZN7rocprim17ROCPRIM_400000_NS6detail17trampoline_kernelINS0_14default_configENS1_36segmented_radix_sort_config_selectorIslEEZNS1_25segmented_radix_sort_implIS3_Lb0EPKsPsPKlPlN2at6native12_GLOBAL__N_18offset_tEEE10hipError_tPvRmT1_PNSt15iterator_traitsISK_E10value_typeET2_T3_PNSL_ISQ_E10value_typeET4_jRbjT5_SW_jjP12ihipStream_tbEUlT_E0_NS1_11comp_targetILNS1_3genE4ELNS1_11target_archE910ELNS1_3gpuE8ELNS1_3repE0EEENS1_60segmented_radix_sort_warp_sort_medium_config_static_selectorELNS0_4arch9wavefront6targetE1EEEvSK_,"axG",@progbits,_ZN7rocprim17ROCPRIM_400000_NS6detail17trampoline_kernelINS0_14default_configENS1_36segmented_radix_sort_config_selectorIslEEZNS1_25segmented_radix_sort_implIS3_Lb0EPKsPsPKlPlN2at6native12_GLOBAL__N_18offset_tEEE10hipError_tPvRmT1_PNSt15iterator_traitsISK_E10value_typeET2_T3_PNSL_ISQ_E10value_typeET4_jRbjT5_SW_jjP12ihipStream_tbEUlT_E0_NS1_11comp_targetILNS1_3genE4ELNS1_11target_archE910ELNS1_3gpuE8ELNS1_3repE0EEENS1_60segmented_radix_sort_warp_sort_medium_config_static_selectorELNS0_4arch9wavefront6targetE1EEEvSK_,comdat
.Lfunc_end1026:
	.size	_ZN7rocprim17ROCPRIM_400000_NS6detail17trampoline_kernelINS0_14default_configENS1_36segmented_radix_sort_config_selectorIslEEZNS1_25segmented_radix_sort_implIS3_Lb0EPKsPsPKlPlN2at6native12_GLOBAL__N_18offset_tEEE10hipError_tPvRmT1_PNSt15iterator_traitsISK_E10value_typeET2_T3_PNSL_ISQ_E10value_typeET4_jRbjT5_SW_jjP12ihipStream_tbEUlT_E0_NS1_11comp_targetILNS1_3genE4ELNS1_11target_archE910ELNS1_3gpuE8ELNS1_3repE0EEENS1_60segmented_radix_sort_warp_sort_medium_config_static_selectorELNS0_4arch9wavefront6targetE1EEEvSK_, .Lfunc_end1026-_ZN7rocprim17ROCPRIM_400000_NS6detail17trampoline_kernelINS0_14default_configENS1_36segmented_radix_sort_config_selectorIslEEZNS1_25segmented_radix_sort_implIS3_Lb0EPKsPsPKlPlN2at6native12_GLOBAL__N_18offset_tEEE10hipError_tPvRmT1_PNSt15iterator_traitsISK_E10value_typeET2_T3_PNSL_ISQ_E10value_typeET4_jRbjT5_SW_jjP12ihipStream_tbEUlT_E0_NS1_11comp_targetILNS1_3genE4ELNS1_11target_archE910ELNS1_3gpuE8ELNS1_3repE0EEENS1_60segmented_radix_sort_warp_sort_medium_config_static_selectorELNS0_4arch9wavefront6targetE1EEEvSK_
                                        ; -- End function
	.set _ZN7rocprim17ROCPRIM_400000_NS6detail17trampoline_kernelINS0_14default_configENS1_36segmented_radix_sort_config_selectorIslEEZNS1_25segmented_radix_sort_implIS3_Lb0EPKsPsPKlPlN2at6native12_GLOBAL__N_18offset_tEEE10hipError_tPvRmT1_PNSt15iterator_traitsISK_E10value_typeET2_T3_PNSL_ISQ_E10value_typeET4_jRbjT5_SW_jjP12ihipStream_tbEUlT_E0_NS1_11comp_targetILNS1_3genE4ELNS1_11target_archE910ELNS1_3gpuE8ELNS1_3repE0EEENS1_60segmented_radix_sort_warp_sort_medium_config_static_selectorELNS0_4arch9wavefront6targetE1EEEvSK_.num_vgpr, 0
	.set _ZN7rocprim17ROCPRIM_400000_NS6detail17trampoline_kernelINS0_14default_configENS1_36segmented_radix_sort_config_selectorIslEEZNS1_25segmented_radix_sort_implIS3_Lb0EPKsPsPKlPlN2at6native12_GLOBAL__N_18offset_tEEE10hipError_tPvRmT1_PNSt15iterator_traitsISK_E10value_typeET2_T3_PNSL_ISQ_E10value_typeET4_jRbjT5_SW_jjP12ihipStream_tbEUlT_E0_NS1_11comp_targetILNS1_3genE4ELNS1_11target_archE910ELNS1_3gpuE8ELNS1_3repE0EEENS1_60segmented_radix_sort_warp_sort_medium_config_static_selectorELNS0_4arch9wavefront6targetE1EEEvSK_.num_agpr, 0
	.set _ZN7rocprim17ROCPRIM_400000_NS6detail17trampoline_kernelINS0_14default_configENS1_36segmented_radix_sort_config_selectorIslEEZNS1_25segmented_radix_sort_implIS3_Lb0EPKsPsPKlPlN2at6native12_GLOBAL__N_18offset_tEEE10hipError_tPvRmT1_PNSt15iterator_traitsISK_E10value_typeET2_T3_PNSL_ISQ_E10value_typeET4_jRbjT5_SW_jjP12ihipStream_tbEUlT_E0_NS1_11comp_targetILNS1_3genE4ELNS1_11target_archE910ELNS1_3gpuE8ELNS1_3repE0EEENS1_60segmented_radix_sort_warp_sort_medium_config_static_selectorELNS0_4arch9wavefront6targetE1EEEvSK_.numbered_sgpr, 0
	.set _ZN7rocprim17ROCPRIM_400000_NS6detail17trampoline_kernelINS0_14default_configENS1_36segmented_radix_sort_config_selectorIslEEZNS1_25segmented_radix_sort_implIS3_Lb0EPKsPsPKlPlN2at6native12_GLOBAL__N_18offset_tEEE10hipError_tPvRmT1_PNSt15iterator_traitsISK_E10value_typeET2_T3_PNSL_ISQ_E10value_typeET4_jRbjT5_SW_jjP12ihipStream_tbEUlT_E0_NS1_11comp_targetILNS1_3genE4ELNS1_11target_archE910ELNS1_3gpuE8ELNS1_3repE0EEENS1_60segmented_radix_sort_warp_sort_medium_config_static_selectorELNS0_4arch9wavefront6targetE1EEEvSK_.num_named_barrier, 0
	.set _ZN7rocprim17ROCPRIM_400000_NS6detail17trampoline_kernelINS0_14default_configENS1_36segmented_radix_sort_config_selectorIslEEZNS1_25segmented_radix_sort_implIS3_Lb0EPKsPsPKlPlN2at6native12_GLOBAL__N_18offset_tEEE10hipError_tPvRmT1_PNSt15iterator_traitsISK_E10value_typeET2_T3_PNSL_ISQ_E10value_typeET4_jRbjT5_SW_jjP12ihipStream_tbEUlT_E0_NS1_11comp_targetILNS1_3genE4ELNS1_11target_archE910ELNS1_3gpuE8ELNS1_3repE0EEENS1_60segmented_radix_sort_warp_sort_medium_config_static_selectorELNS0_4arch9wavefront6targetE1EEEvSK_.private_seg_size, 0
	.set _ZN7rocprim17ROCPRIM_400000_NS6detail17trampoline_kernelINS0_14default_configENS1_36segmented_radix_sort_config_selectorIslEEZNS1_25segmented_radix_sort_implIS3_Lb0EPKsPsPKlPlN2at6native12_GLOBAL__N_18offset_tEEE10hipError_tPvRmT1_PNSt15iterator_traitsISK_E10value_typeET2_T3_PNSL_ISQ_E10value_typeET4_jRbjT5_SW_jjP12ihipStream_tbEUlT_E0_NS1_11comp_targetILNS1_3genE4ELNS1_11target_archE910ELNS1_3gpuE8ELNS1_3repE0EEENS1_60segmented_radix_sort_warp_sort_medium_config_static_selectorELNS0_4arch9wavefront6targetE1EEEvSK_.uses_vcc, 0
	.set _ZN7rocprim17ROCPRIM_400000_NS6detail17trampoline_kernelINS0_14default_configENS1_36segmented_radix_sort_config_selectorIslEEZNS1_25segmented_radix_sort_implIS3_Lb0EPKsPsPKlPlN2at6native12_GLOBAL__N_18offset_tEEE10hipError_tPvRmT1_PNSt15iterator_traitsISK_E10value_typeET2_T3_PNSL_ISQ_E10value_typeET4_jRbjT5_SW_jjP12ihipStream_tbEUlT_E0_NS1_11comp_targetILNS1_3genE4ELNS1_11target_archE910ELNS1_3gpuE8ELNS1_3repE0EEENS1_60segmented_radix_sort_warp_sort_medium_config_static_selectorELNS0_4arch9wavefront6targetE1EEEvSK_.uses_flat_scratch, 0
	.set _ZN7rocprim17ROCPRIM_400000_NS6detail17trampoline_kernelINS0_14default_configENS1_36segmented_radix_sort_config_selectorIslEEZNS1_25segmented_radix_sort_implIS3_Lb0EPKsPsPKlPlN2at6native12_GLOBAL__N_18offset_tEEE10hipError_tPvRmT1_PNSt15iterator_traitsISK_E10value_typeET2_T3_PNSL_ISQ_E10value_typeET4_jRbjT5_SW_jjP12ihipStream_tbEUlT_E0_NS1_11comp_targetILNS1_3genE4ELNS1_11target_archE910ELNS1_3gpuE8ELNS1_3repE0EEENS1_60segmented_radix_sort_warp_sort_medium_config_static_selectorELNS0_4arch9wavefront6targetE1EEEvSK_.has_dyn_sized_stack, 0
	.set _ZN7rocprim17ROCPRIM_400000_NS6detail17trampoline_kernelINS0_14default_configENS1_36segmented_radix_sort_config_selectorIslEEZNS1_25segmented_radix_sort_implIS3_Lb0EPKsPsPKlPlN2at6native12_GLOBAL__N_18offset_tEEE10hipError_tPvRmT1_PNSt15iterator_traitsISK_E10value_typeET2_T3_PNSL_ISQ_E10value_typeET4_jRbjT5_SW_jjP12ihipStream_tbEUlT_E0_NS1_11comp_targetILNS1_3genE4ELNS1_11target_archE910ELNS1_3gpuE8ELNS1_3repE0EEENS1_60segmented_radix_sort_warp_sort_medium_config_static_selectorELNS0_4arch9wavefront6targetE1EEEvSK_.has_recursion, 0
	.set _ZN7rocprim17ROCPRIM_400000_NS6detail17trampoline_kernelINS0_14default_configENS1_36segmented_radix_sort_config_selectorIslEEZNS1_25segmented_radix_sort_implIS3_Lb0EPKsPsPKlPlN2at6native12_GLOBAL__N_18offset_tEEE10hipError_tPvRmT1_PNSt15iterator_traitsISK_E10value_typeET2_T3_PNSL_ISQ_E10value_typeET4_jRbjT5_SW_jjP12ihipStream_tbEUlT_E0_NS1_11comp_targetILNS1_3genE4ELNS1_11target_archE910ELNS1_3gpuE8ELNS1_3repE0EEENS1_60segmented_radix_sort_warp_sort_medium_config_static_selectorELNS0_4arch9wavefront6targetE1EEEvSK_.has_indirect_call, 0
	.section	.AMDGPU.csdata,"",@progbits
; Kernel info:
; codeLenInByte = 0
; TotalNumSgprs: 4
; NumVgprs: 0
; ScratchSize: 0
; MemoryBound: 0
; FloatMode: 240
; IeeeMode: 1
; LDSByteSize: 0 bytes/workgroup (compile time only)
; SGPRBlocks: 0
; VGPRBlocks: 0
; NumSGPRsForWavesPerEU: 4
; NumVGPRsForWavesPerEU: 1
; Occupancy: 10
; WaveLimiterHint : 0
; COMPUTE_PGM_RSRC2:SCRATCH_EN: 0
; COMPUTE_PGM_RSRC2:USER_SGPR: 6
; COMPUTE_PGM_RSRC2:TRAP_HANDLER: 0
; COMPUTE_PGM_RSRC2:TGID_X_EN: 1
; COMPUTE_PGM_RSRC2:TGID_Y_EN: 0
; COMPUTE_PGM_RSRC2:TGID_Z_EN: 0
; COMPUTE_PGM_RSRC2:TIDIG_COMP_CNT: 0
	.section	.text._ZN7rocprim17ROCPRIM_400000_NS6detail17trampoline_kernelINS0_14default_configENS1_36segmented_radix_sort_config_selectorIslEEZNS1_25segmented_radix_sort_implIS3_Lb0EPKsPsPKlPlN2at6native12_GLOBAL__N_18offset_tEEE10hipError_tPvRmT1_PNSt15iterator_traitsISK_E10value_typeET2_T3_PNSL_ISQ_E10value_typeET4_jRbjT5_SW_jjP12ihipStream_tbEUlT_E0_NS1_11comp_targetILNS1_3genE3ELNS1_11target_archE908ELNS1_3gpuE7ELNS1_3repE0EEENS1_60segmented_radix_sort_warp_sort_medium_config_static_selectorELNS0_4arch9wavefront6targetE1EEEvSK_,"axG",@progbits,_ZN7rocprim17ROCPRIM_400000_NS6detail17trampoline_kernelINS0_14default_configENS1_36segmented_radix_sort_config_selectorIslEEZNS1_25segmented_radix_sort_implIS3_Lb0EPKsPsPKlPlN2at6native12_GLOBAL__N_18offset_tEEE10hipError_tPvRmT1_PNSt15iterator_traitsISK_E10value_typeET2_T3_PNSL_ISQ_E10value_typeET4_jRbjT5_SW_jjP12ihipStream_tbEUlT_E0_NS1_11comp_targetILNS1_3genE3ELNS1_11target_archE908ELNS1_3gpuE7ELNS1_3repE0EEENS1_60segmented_radix_sort_warp_sort_medium_config_static_selectorELNS0_4arch9wavefront6targetE1EEEvSK_,comdat
	.globl	_ZN7rocprim17ROCPRIM_400000_NS6detail17trampoline_kernelINS0_14default_configENS1_36segmented_radix_sort_config_selectorIslEEZNS1_25segmented_radix_sort_implIS3_Lb0EPKsPsPKlPlN2at6native12_GLOBAL__N_18offset_tEEE10hipError_tPvRmT1_PNSt15iterator_traitsISK_E10value_typeET2_T3_PNSL_ISQ_E10value_typeET4_jRbjT5_SW_jjP12ihipStream_tbEUlT_E0_NS1_11comp_targetILNS1_3genE3ELNS1_11target_archE908ELNS1_3gpuE7ELNS1_3repE0EEENS1_60segmented_radix_sort_warp_sort_medium_config_static_selectorELNS0_4arch9wavefront6targetE1EEEvSK_ ; -- Begin function _ZN7rocprim17ROCPRIM_400000_NS6detail17trampoline_kernelINS0_14default_configENS1_36segmented_radix_sort_config_selectorIslEEZNS1_25segmented_radix_sort_implIS3_Lb0EPKsPsPKlPlN2at6native12_GLOBAL__N_18offset_tEEE10hipError_tPvRmT1_PNSt15iterator_traitsISK_E10value_typeET2_T3_PNSL_ISQ_E10value_typeET4_jRbjT5_SW_jjP12ihipStream_tbEUlT_E0_NS1_11comp_targetILNS1_3genE3ELNS1_11target_archE908ELNS1_3gpuE7ELNS1_3repE0EEENS1_60segmented_radix_sort_warp_sort_medium_config_static_selectorELNS0_4arch9wavefront6targetE1EEEvSK_
	.p2align	8
	.type	_ZN7rocprim17ROCPRIM_400000_NS6detail17trampoline_kernelINS0_14default_configENS1_36segmented_radix_sort_config_selectorIslEEZNS1_25segmented_radix_sort_implIS3_Lb0EPKsPsPKlPlN2at6native12_GLOBAL__N_18offset_tEEE10hipError_tPvRmT1_PNSt15iterator_traitsISK_E10value_typeET2_T3_PNSL_ISQ_E10value_typeET4_jRbjT5_SW_jjP12ihipStream_tbEUlT_E0_NS1_11comp_targetILNS1_3genE3ELNS1_11target_archE908ELNS1_3gpuE7ELNS1_3repE0EEENS1_60segmented_radix_sort_warp_sort_medium_config_static_selectorELNS0_4arch9wavefront6targetE1EEEvSK_,@function
_ZN7rocprim17ROCPRIM_400000_NS6detail17trampoline_kernelINS0_14default_configENS1_36segmented_radix_sort_config_selectorIslEEZNS1_25segmented_radix_sort_implIS3_Lb0EPKsPsPKlPlN2at6native12_GLOBAL__N_18offset_tEEE10hipError_tPvRmT1_PNSt15iterator_traitsISK_E10value_typeET2_T3_PNSL_ISQ_E10value_typeET4_jRbjT5_SW_jjP12ihipStream_tbEUlT_E0_NS1_11comp_targetILNS1_3genE3ELNS1_11target_archE908ELNS1_3gpuE7ELNS1_3repE0EEENS1_60segmented_radix_sort_warp_sort_medium_config_static_selectorELNS0_4arch9wavefront6targetE1EEEvSK_: ; @_ZN7rocprim17ROCPRIM_400000_NS6detail17trampoline_kernelINS0_14default_configENS1_36segmented_radix_sort_config_selectorIslEEZNS1_25segmented_radix_sort_implIS3_Lb0EPKsPsPKlPlN2at6native12_GLOBAL__N_18offset_tEEE10hipError_tPvRmT1_PNSt15iterator_traitsISK_E10value_typeET2_T3_PNSL_ISQ_E10value_typeET4_jRbjT5_SW_jjP12ihipStream_tbEUlT_E0_NS1_11comp_targetILNS1_3genE3ELNS1_11target_archE908ELNS1_3gpuE7ELNS1_3repE0EEENS1_60segmented_radix_sort_warp_sort_medium_config_static_selectorELNS0_4arch9wavefront6targetE1EEEvSK_
; %bb.0:
	.section	.rodata,"a",@progbits
	.p2align	6, 0x0
	.amdhsa_kernel _ZN7rocprim17ROCPRIM_400000_NS6detail17trampoline_kernelINS0_14default_configENS1_36segmented_radix_sort_config_selectorIslEEZNS1_25segmented_radix_sort_implIS3_Lb0EPKsPsPKlPlN2at6native12_GLOBAL__N_18offset_tEEE10hipError_tPvRmT1_PNSt15iterator_traitsISK_E10value_typeET2_T3_PNSL_ISQ_E10value_typeET4_jRbjT5_SW_jjP12ihipStream_tbEUlT_E0_NS1_11comp_targetILNS1_3genE3ELNS1_11target_archE908ELNS1_3gpuE7ELNS1_3repE0EEENS1_60segmented_radix_sort_warp_sort_medium_config_static_selectorELNS0_4arch9wavefront6targetE1EEEvSK_
		.amdhsa_group_segment_fixed_size 0
		.amdhsa_private_segment_fixed_size 0
		.amdhsa_kernarg_size 88
		.amdhsa_user_sgpr_count 6
		.amdhsa_user_sgpr_private_segment_buffer 1
		.amdhsa_user_sgpr_dispatch_ptr 0
		.amdhsa_user_sgpr_queue_ptr 0
		.amdhsa_user_sgpr_kernarg_segment_ptr 1
		.amdhsa_user_sgpr_dispatch_id 0
		.amdhsa_user_sgpr_flat_scratch_init 0
		.amdhsa_user_sgpr_private_segment_size 0
		.amdhsa_uses_dynamic_stack 0
		.amdhsa_system_sgpr_private_segment_wavefront_offset 0
		.amdhsa_system_sgpr_workgroup_id_x 1
		.amdhsa_system_sgpr_workgroup_id_y 0
		.amdhsa_system_sgpr_workgroup_id_z 0
		.amdhsa_system_sgpr_workgroup_info 0
		.amdhsa_system_vgpr_workitem_id 0
		.amdhsa_next_free_vgpr 1
		.amdhsa_next_free_sgpr 0
		.amdhsa_reserve_vcc 0
		.amdhsa_reserve_flat_scratch 0
		.amdhsa_float_round_mode_32 0
		.amdhsa_float_round_mode_16_64 0
		.amdhsa_float_denorm_mode_32 3
		.amdhsa_float_denorm_mode_16_64 3
		.amdhsa_dx10_clamp 1
		.amdhsa_ieee_mode 1
		.amdhsa_fp16_overflow 0
		.amdhsa_exception_fp_ieee_invalid_op 0
		.amdhsa_exception_fp_denorm_src 0
		.amdhsa_exception_fp_ieee_div_zero 0
		.amdhsa_exception_fp_ieee_overflow 0
		.amdhsa_exception_fp_ieee_underflow 0
		.amdhsa_exception_fp_ieee_inexact 0
		.amdhsa_exception_int_div_zero 0
	.end_amdhsa_kernel
	.section	.text._ZN7rocprim17ROCPRIM_400000_NS6detail17trampoline_kernelINS0_14default_configENS1_36segmented_radix_sort_config_selectorIslEEZNS1_25segmented_radix_sort_implIS3_Lb0EPKsPsPKlPlN2at6native12_GLOBAL__N_18offset_tEEE10hipError_tPvRmT1_PNSt15iterator_traitsISK_E10value_typeET2_T3_PNSL_ISQ_E10value_typeET4_jRbjT5_SW_jjP12ihipStream_tbEUlT_E0_NS1_11comp_targetILNS1_3genE3ELNS1_11target_archE908ELNS1_3gpuE7ELNS1_3repE0EEENS1_60segmented_radix_sort_warp_sort_medium_config_static_selectorELNS0_4arch9wavefront6targetE1EEEvSK_,"axG",@progbits,_ZN7rocprim17ROCPRIM_400000_NS6detail17trampoline_kernelINS0_14default_configENS1_36segmented_radix_sort_config_selectorIslEEZNS1_25segmented_radix_sort_implIS3_Lb0EPKsPsPKlPlN2at6native12_GLOBAL__N_18offset_tEEE10hipError_tPvRmT1_PNSt15iterator_traitsISK_E10value_typeET2_T3_PNSL_ISQ_E10value_typeET4_jRbjT5_SW_jjP12ihipStream_tbEUlT_E0_NS1_11comp_targetILNS1_3genE3ELNS1_11target_archE908ELNS1_3gpuE7ELNS1_3repE0EEENS1_60segmented_radix_sort_warp_sort_medium_config_static_selectorELNS0_4arch9wavefront6targetE1EEEvSK_,comdat
.Lfunc_end1027:
	.size	_ZN7rocprim17ROCPRIM_400000_NS6detail17trampoline_kernelINS0_14default_configENS1_36segmented_radix_sort_config_selectorIslEEZNS1_25segmented_radix_sort_implIS3_Lb0EPKsPsPKlPlN2at6native12_GLOBAL__N_18offset_tEEE10hipError_tPvRmT1_PNSt15iterator_traitsISK_E10value_typeET2_T3_PNSL_ISQ_E10value_typeET4_jRbjT5_SW_jjP12ihipStream_tbEUlT_E0_NS1_11comp_targetILNS1_3genE3ELNS1_11target_archE908ELNS1_3gpuE7ELNS1_3repE0EEENS1_60segmented_radix_sort_warp_sort_medium_config_static_selectorELNS0_4arch9wavefront6targetE1EEEvSK_, .Lfunc_end1027-_ZN7rocprim17ROCPRIM_400000_NS6detail17trampoline_kernelINS0_14default_configENS1_36segmented_radix_sort_config_selectorIslEEZNS1_25segmented_radix_sort_implIS3_Lb0EPKsPsPKlPlN2at6native12_GLOBAL__N_18offset_tEEE10hipError_tPvRmT1_PNSt15iterator_traitsISK_E10value_typeET2_T3_PNSL_ISQ_E10value_typeET4_jRbjT5_SW_jjP12ihipStream_tbEUlT_E0_NS1_11comp_targetILNS1_3genE3ELNS1_11target_archE908ELNS1_3gpuE7ELNS1_3repE0EEENS1_60segmented_radix_sort_warp_sort_medium_config_static_selectorELNS0_4arch9wavefront6targetE1EEEvSK_
                                        ; -- End function
	.set _ZN7rocprim17ROCPRIM_400000_NS6detail17trampoline_kernelINS0_14default_configENS1_36segmented_radix_sort_config_selectorIslEEZNS1_25segmented_radix_sort_implIS3_Lb0EPKsPsPKlPlN2at6native12_GLOBAL__N_18offset_tEEE10hipError_tPvRmT1_PNSt15iterator_traitsISK_E10value_typeET2_T3_PNSL_ISQ_E10value_typeET4_jRbjT5_SW_jjP12ihipStream_tbEUlT_E0_NS1_11comp_targetILNS1_3genE3ELNS1_11target_archE908ELNS1_3gpuE7ELNS1_3repE0EEENS1_60segmented_radix_sort_warp_sort_medium_config_static_selectorELNS0_4arch9wavefront6targetE1EEEvSK_.num_vgpr, 0
	.set _ZN7rocprim17ROCPRIM_400000_NS6detail17trampoline_kernelINS0_14default_configENS1_36segmented_radix_sort_config_selectorIslEEZNS1_25segmented_radix_sort_implIS3_Lb0EPKsPsPKlPlN2at6native12_GLOBAL__N_18offset_tEEE10hipError_tPvRmT1_PNSt15iterator_traitsISK_E10value_typeET2_T3_PNSL_ISQ_E10value_typeET4_jRbjT5_SW_jjP12ihipStream_tbEUlT_E0_NS1_11comp_targetILNS1_3genE3ELNS1_11target_archE908ELNS1_3gpuE7ELNS1_3repE0EEENS1_60segmented_radix_sort_warp_sort_medium_config_static_selectorELNS0_4arch9wavefront6targetE1EEEvSK_.num_agpr, 0
	.set _ZN7rocprim17ROCPRIM_400000_NS6detail17trampoline_kernelINS0_14default_configENS1_36segmented_radix_sort_config_selectorIslEEZNS1_25segmented_radix_sort_implIS3_Lb0EPKsPsPKlPlN2at6native12_GLOBAL__N_18offset_tEEE10hipError_tPvRmT1_PNSt15iterator_traitsISK_E10value_typeET2_T3_PNSL_ISQ_E10value_typeET4_jRbjT5_SW_jjP12ihipStream_tbEUlT_E0_NS1_11comp_targetILNS1_3genE3ELNS1_11target_archE908ELNS1_3gpuE7ELNS1_3repE0EEENS1_60segmented_radix_sort_warp_sort_medium_config_static_selectorELNS0_4arch9wavefront6targetE1EEEvSK_.numbered_sgpr, 0
	.set _ZN7rocprim17ROCPRIM_400000_NS6detail17trampoline_kernelINS0_14default_configENS1_36segmented_radix_sort_config_selectorIslEEZNS1_25segmented_radix_sort_implIS3_Lb0EPKsPsPKlPlN2at6native12_GLOBAL__N_18offset_tEEE10hipError_tPvRmT1_PNSt15iterator_traitsISK_E10value_typeET2_T3_PNSL_ISQ_E10value_typeET4_jRbjT5_SW_jjP12ihipStream_tbEUlT_E0_NS1_11comp_targetILNS1_3genE3ELNS1_11target_archE908ELNS1_3gpuE7ELNS1_3repE0EEENS1_60segmented_radix_sort_warp_sort_medium_config_static_selectorELNS0_4arch9wavefront6targetE1EEEvSK_.num_named_barrier, 0
	.set _ZN7rocprim17ROCPRIM_400000_NS6detail17trampoline_kernelINS0_14default_configENS1_36segmented_radix_sort_config_selectorIslEEZNS1_25segmented_radix_sort_implIS3_Lb0EPKsPsPKlPlN2at6native12_GLOBAL__N_18offset_tEEE10hipError_tPvRmT1_PNSt15iterator_traitsISK_E10value_typeET2_T3_PNSL_ISQ_E10value_typeET4_jRbjT5_SW_jjP12ihipStream_tbEUlT_E0_NS1_11comp_targetILNS1_3genE3ELNS1_11target_archE908ELNS1_3gpuE7ELNS1_3repE0EEENS1_60segmented_radix_sort_warp_sort_medium_config_static_selectorELNS0_4arch9wavefront6targetE1EEEvSK_.private_seg_size, 0
	.set _ZN7rocprim17ROCPRIM_400000_NS6detail17trampoline_kernelINS0_14default_configENS1_36segmented_radix_sort_config_selectorIslEEZNS1_25segmented_radix_sort_implIS3_Lb0EPKsPsPKlPlN2at6native12_GLOBAL__N_18offset_tEEE10hipError_tPvRmT1_PNSt15iterator_traitsISK_E10value_typeET2_T3_PNSL_ISQ_E10value_typeET4_jRbjT5_SW_jjP12ihipStream_tbEUlT_E0_NS1_11comp_targetILNS1_3genE3ELNS1_11target_archE908ELNS1_3gpuE7ELNS1_3repE0EEENS1_60segmented_radix_sort_warp_sort_medium_config_static_selectorELNS0_4arch9wavefront6targetE1EEEvSK_.uses_vcc, 0
	.set _ZN7rocprim17ROCPRIM_400000_NS6detail17trampoline_kernelINS0_14default_configENS1_36segmented_radix_sort_config_selectorIslEEZNS1_25segmented_radix_sort_implIS3_Lb0EPKsPsPKlPlN2at6native12_GLOBAL__N_18offset_tEEE10hipError_tPvRmT1_PNSt15iterator_traitsISK_E10value_typeET2_T3_PNSL_ISQ_E10value_typeET4_jRbjT5_SW_jjP12ihipStream_tbEUlT_E0_NS1_11comp_targetILNS1_3genE3ELNS1_11target_archE908ELNS1_3gpuE7ELNS1_3repE0EEENS1_60segmented_radix_sort_warp_sort_medium_config_static_selectorELNS0_4arch9wavefront6targetE1EEEvSK_.uses_flat_scratch, 0
	.set _ZN7rocprim17ROCPRIM_400000_NS6detail17trampoline_kernelINS0_14default_configENS1_36segmented_radix_sort_config_selectorIslEEZNS1_25segmented_radix_sort_implIS3_Lb0EPKsPsPKlPlN2at6native12_GLOBAL__N_18offset_tEEE10hipError_tPvRmT1_PNSt15iterator_traitsISK_E10value_typeET2_T3_PNSL_ISQ_E10value_typeET4_jRbjT5_SW_jjP12ihipStream_tbEUlT_E0_NS1_11comp_targetILNS1_3genE3ELNS1_11target_archE908ELNS1_3gpuE7ELNS1_3repE0EEENS1_60segmented_radix_sort_warp_sort_medium_config_static_selectorELNS0_4arch9wavefront6targetE1EEEvSK_.has_dyn_sized_stack, 0
	.set _ZN7rocprim17ROCPRIM_400000_NS6detail17trampoline_kernelINS0_14default_configENS1_36segmented_radix_sort_config_selectorIslEEZNS1_25segmented_radix_sort_implIS3_Lb0EPKsPsPKlPlN2at6native12_GLOBAL__N_18offset_tEEE10hipError_tPvRmT1_PNSt15iterator_traitsISK_E10value_typeET2_T3_PNSL_ISQ_E10value_typeET4_jRbjT5_SW_jjP12ihipStream_tbEUlT_E0_NS1_11comp_targetILNS1_3genE3ELNS1_11target_archE908ELNS1_3gpuE7ELNS1_3repE0EEENS1_60segmented_radix_sort_warp_sort_medium_config_static_selectorELNS0_4arch9wavefront6targetE1EEEvSK_.has_recursion, 0
	.set _ZN7rocprim17ROCPRIM_400000_NS6detail17trampoline_kernelINS0_14default_configENS1_36segmented_radix_sort_config_selectorIslEEZNS1_25segmented_radix_sort_implIS3_Lb0EPKsPsPKlPlN2at6native12_GLOBAL__N_18offset_tEEE10hipError_tPvRmT1_PNSt15iterator_traitsISK_E10value_typeET2_T3_PNSL_ISQ_E10value_typeET4_jRbjT5_SW_jjP12ihipStream_tbEUlT_E0_NS1_11comp_targetILNS1_3genE3ELNS1_11target_archE908ELNS1_3gpuE7ELNS1_3repE0EEENS1_60segmented_radix_sort_warp_sort_medium_config_static_selectorELNS0_4arch9wavefront6targetE1EEEvSK_.has_indirect_call, 0
	.section	.AMDGPU.csdata,"",@progbits
; Kernel info:
; codeLenInByte = 0
; TotalNumSgprs: 4
; NumVgprs: 0
; ScratchSize: 0
; MemoryBound: 0
; FloatMode: 240
; IeeeMode: 1
; LDSByteSize: 0 bytes/workgroup (compile time only)
; SGPRBlocks: 0
; VGPRBlocks: 0
; NumSGPRsForWavesPerEU: 4
; NumVGPRsForWavesPerEU: 1
; Occupancy: 10
; WaveLimiterHint : 0
; COMPUTE_PGM_RSRC2:SCRATCH_EN: 0
; COMPUTE_PGM_RSRC2:USER_SGPR: 6
; COMPUTE_PGM_RSRC2:TRAP_HANDLER: 0
; COMPUTE_PGM_RSRC2:TGID_X_EN: 1
; COMPUTE_PGM_RSRC2:TGID_Y_EN: 0
; COMPUTE_PGM_RSRC2:TGID_Z_EN: 0
; COMPUTE_PGM_RSRC2:TIDIG_COMP_CNT: 0
	.text
	.p2align	2                               ; -- Begin function _ZN7rocprim17ROCPRIM_400000_NS6detail26segmented_warp_sort_helperINS1_20WarpSortHelperConfigILj16ELj8ELj256EEEslLi256ELb0EvE4sortIPKsPsPKlPlEEvT_T0_T1_T2_jjjjRNS5_12storage_typeE
	.type	_ZN7rocprim17ROCPRIM_400000_NS6detail26segmented_warp_sort_helperINS1_20WarpSortHelperConfigILj16ELj8ELj256EEEslLi256ELb0EvE4sortIPKsPsPKlPlEEvT_T0_T1_T2_jjjjRNS5_12storage_typeE,@function
_ZN7rocprim17ROCPRIM_400000_NS6detail26segmented_warp_sort_helperINS1_20WarpSortHelperConfigILj16ELj8ELj256EEEslLi256ELb0EvE4sortIPKsPsPKlPlEEvT_T0_T1_T2_jjjjRNS5_12storage_typeE: ; @_ZN7rocprim17ROCPRIM_400000_NS6detail26segmented_warp_sort_helperINS1_20WarpSortHelperConfigILj16ELj8ELj256EEEslLi256ELb0EvE4sortIPKsPsPKlPlEEvT_T0_T1_T2_jjjjRNS5_12storage_typeE
; %bb.0:
	s_waitcnt vmcnt(0) expcnt(0) lgkmcnt(0)
	v_sub_u32_e32 v14, v9, v8
	v_mov_b32_e32 v9, 0
	v_mbcnt_lo_u32_b32 v15, -1, 0
	v_lshlrev_b64 v[12:13], 1, v[8:9]
	v_mbcnt_hi_u32_b32 v15, -1, v15
	v_lshlrev_b32_e32 v33, 3, v15
	v_add_co_u32_e32 v0, vcc, v0, v12
	v_and_b32_e32 v34, 0x78, v33
	v_addc_co_u32_e32 v1, vcc, v1, v13, vcc
	v_lshlrev_b32_e32 v30, 1, v34
	v_add_co_u32_e32 v0, vcc, v0, v30
	v_addc_co_u32_e32 v1, vcc, 0, v1, vcc
	v_cmp_lt_u32_e32 vcc, v34, v14
	v_mov_b32_e32 v38, 0x7fff
	v_mov_b32_e32 v35, 0x7fff
	s_and_saveexec_b64 s[4:5], vcc
	s_cbranch_execz .LBB1028_2
; %bb.1:
	flat_load_ushort v35, v[0:1]
.LBB1028_2:
	s_or_b64 exec, exec, s[4:5]
	v_or_b32_e32 v15, 1, v34
	v_cmp_lt_u32_e64 s[4:5], v15, v14
	s_and_saveexec_b64 s[6:7], s[4:5]
	s_cbranch_execz .LBB1028_4
; %bb.3:
	flat_load_ushort v38, v[0:1] offset:2
.LBB1028_4:
	s_or_b64 exec, exec, s[6:7]
	v_or_b32_e32 v15, 2, v34
	v_cmp_lt_u32_e64 s[6:7], v15, v14
	v_mov_b32_e32 v49, 0x7fff
	v_mov_b32_e32 v39, 0x7fff
	s_and_saveexec_b64 s[10:11], s[6:7]
	s_cbranch_execz .LBB1028_6
; %bb.5:
	flat_load_ushort v39, v[0:1] offset:4
.LBB1028_6:
	s_or_b64 exec, exec, s[10:11]
	v_or_b32_e32 v15, 3, v34
	v_cmp_lt_u32_e64 s[18:19], v15, v14
	s_and_saveexec_b64 s[10:11], s[18:19]
	s_cbranch_execz .LBB1028_8
; %bb.7:
	flat_load_ushort v49, v[0:1] offset:6
.LBB1028_8:
	s_or_b64 exec, exec, s[10:11]
	v_or_b32_e32 v15, 4, v34
	v_cmp_lt_u32_e64 s[10:11], v15, v14
	v_mov_b32_e32 v37, 0x7fff
	v_mov_b32_e32 v48, 0x7fff
	s_and_saveexec_b64 s[14:15], s[10:11]
	s_cbranch_execz .LBB1028_10
; %bb.9:
	flat_load_ushort v48, v[0:1] offset:8
.LBB1028_10:
	;; [unrolled: 18-line block ×3, first 2 shown]
	s_or_b64 exec, exec, s[16:17]
	v_or_b32_e32 v15, 7, v34
	v_cmp_lt_u32_e64 s[16:17], v15, v14
	s_and_saveexec_b64 s[20:21], s[16:17]
	s_cbranch_execz .LBB1028_16
; %bb.15:
	flat_load_ushort v36, v[0:1] offset:14
.LBB1028_16:
	s_or_b64 exec, exec, s[20:21]
	v_lshlrev_b64 v[0:1], 3, v[8:9]
	v_lshlrev_b32_e32 v32, 3, v34
	v_add_co_u32_e64 v4, s[20:21], v4, v0
	v_addc_co_u32_e64 v5, s[20:21], v5, v1, s[20:21]
	v_add_co_u32_e64 v26, s[20:21], v4, v32
	v_addc_co_u32_e64 v27, s[20:21], 0, v5, s[20:21]
	; wave barrier
                                        ; implicit-def: $vgpr4_vgpr5
	s_and_saveexec_b64 s[20:21], vcc
	s_cbranch_execnz .LBB1028_243
; %bb.17:
	s_or_b64 exec, exec, s[20:21]
	s_and_saveexec_b64 s[20:21], s[4:5]
                                        ; implicit-def: $vgpr8_vgpr9
	s_cbranch_execnz .LBB1028_244
.LBB1028_18:
	s_or_b64 exec, exec, s[20:21]
                                        ; implicit-def: $vgpr14_vgpr15
	s_and_saveexec_b64 s[20:21], s[6:7]
	s_cbranch_execnz .LBB1028_245
.LBB1028_19:
	s_or_b64 exec, exec, s[20:21]
	s_and_saveexec_b64 s[20:21], s[18:19]
                                        ; implicit-def: $vgpr16_vgpr17
	s_cbranch_execnz .LBB1028_246
.LBB1028_20:
	s_or_b64 exec, exec, s[20:21]
                                        ; implicit-def: $vgpr20_vgpr21
	s_and_saveexec_b64 s[20:21], s[10:11]
	s_cbranch_execnz .LBB1028_247
.LBB1028_21:
	s_or_b64 exec, exec, s[20:21]
	s_and_saveexec_b64 s[20:21], s[26:27]
                                        ; implicit-def: $vgpr22_vgpr23
	s_cbranch_execnz .LBB1028_248
.LBB1028_22:
	s_or_b64 exec, exec, s[20:21]
                                        ; implicit-def: $vgpr18_vgpr19
	s_and_saveexec_b64 s[20:21], s[14:15]
	s_cbranch_execnz .LBB1028_249
.LBB1028_23:
	s_or_b64 exec, exec, s[20:21]
	s_and_saveexec_b64 s[20:21], s[16:17]
                                        ; implicit-def: $vgpr24_vgpr25
	s_cbranch_execz .LBB1028_25
.LBB1028_24:
	flat_load_dwordx2 v[24:25], v[26:27] offset:56
.LBB1028_25:
	s_or_b64 exec, exec, s[20:21]
	v_cmp_ne_u32_e64 s[20:21], 0, v10
	v_cmp_ne_u32_e64 s[22:23], 16, v11
	s_or_b64 s[20:21], s[20:21], s[22:23]
	v_bfe_u32 v26, v31, 10, 10
	v_bfe_u32 v27, v31, 20, 10
	; wave barrier
	s_and_saveexec_b64 s[22:23], s[20:21]
	s_xor_b64 s[58:59], exec, s[22:23]
	s_cbranch_execz .LBB1028_125
; %bb.26:
	s_load_dwordx2 s[20:21], s[8:9], 0x0
	v_mov_b32_e32 v28, 0
	v_lshlrev_b32_e64 v11, v11, -1
	v_lshlrev_b32_e64 v10, v10, -1
	s_waitcnt lgkmcnt(0)
	s_cmp_lt_u32 s13, s21
	s_cselect_b32 s21, 14, 20
	s_add_u32 s22, s8, s21
	s_addc_u32 s23, s9, 0
	s_cmp_lt_u32 s12, s20
	s_cselect_b32 s20, 12, 18
	s_add_u32 s20, s8, s20
	s_addc_u32 s21, s9, 0
	global_load_ushort v29, v28, s[22:23]
	global_load_ushort v51, v28, s[20:21]
	s_movk_i32 s20, 0x800
	s_waitcnt vmcnt(0)
	v_mad_u32_u24 v26, v27, v29, v26
	v_mul_lo_u32 v26, v26, v51
	v_and_b32_e32 v27, 0x3ff, v31
	v_xor_b32_e32 v31, v11, v10
	v_add_lshl_u32 v51, v26, v27, 3
	v_cmp_gt_u32_e64 s[20:21], s20, v51
	s_and_saveexec_b64 s[22:23], s[20:21]
	s_cbranch_execz .LBB1028_84
; %bb.27:
	v_and_b32_e32 v10, v38, v31
	v_and_b32_e32 v11, v35, v31
	v_mov_b32_e32 v27, v9
	v_cmp_gt_i16_e64 s[20:21], v11, v10
	v_mov_b32_e32 v52, v38
	v_mov_b32_e32 v26, v8
	s_and_saveexec_b64 s[24:25], s[20:21]
; %bb.28:
	v_mov_b32_e32 v27, v5
	v_mov_b32_e32 v26, v4
	v_mov_b32_e32 v4, v8
	v_mov_b32_e32 v52, v35
	v_mov_b32_e32 v35, v38
	v_mov_b32_e32 v5, v9
; %bb.29:
	s_or_b64 exec, exec, s[24:25]
	v_and_b32_e32 v8, v49, v31
	v_and_b32_e32 v9, v39, v31
	v_mov_b32_e32 v29, v17
	v_cmp_gt_i16_e64 s[20:21], v9, v8
	v_mov_b32_e32 v54, v49
	v_mov_b32_e32 v28, v16
	s_and_saveexec_b64 s[24:25], s[20:21]
; %bb.30:
	v_mov_b32_e32 v29, v15
	v_mov_b32_e32 v28, v14
	v_mov_b32_e32 v14, v16
	v_mov_b32_e32 v54, v39
	v_mov_b32_e32 v39, v49
	v_mov_b32_e32 v15, v17
; %bb.31:
	s_or_b64 exec, exec, s[24:25]
	;; [unrolled: 16-line block ×3, first 2 shown]
	v_and_b32_e32 v8, v36, v31
	v_and_b32_e32 v9, v50, v31
	v_cmp_gt_i16_e64 s[20:21], v9, v8
	v_mov_b32_e32 v8, v24
	v_mov_b32_e32 v9, v25
	;; [unrolled: 1-line block ×3, first 2 shown]
	s_and_saveexec_b64 s[24:25], s[20:21]
; %bb.34:
	v_mov_b32_e32 v8, v18
	v_mov_b32_e32 v9, v19
	;; [unrolled: 1-line block ×6, first 2 shown]
; %bb.35:
	s_or_b64 exec, exec, s[24:25]
	v_and_b32_e32 v16, v39, v31
	v_and_b32_e32 v17, v52, v31
	v_mov_b32_e32 v23, v15
	v_cmp_gt_i16_e64 s[20:21], v17, v16
	v_mov_b32_e32 v38, v39
	v_mov_b32_e32 v22, v14
	s_and_saveexec_b64 s[24:25], s[20:21]
	s_xor_b64 s[20:21], exec, s[24:25]
; %bb.36:
	v_mov_b32_e32 v22, v26
	v_mov_b32_e32 v23, v27
	;; [unrolled: 1-line block ×6, first 2 shown]
; %bb.37:
	s_or_b64 exec, exec, s[20:21]
	v_and_b32_e32 v14, v53, v31
	v_and_b32_e32 v15, v54, v31
	v_mov_b32_e32 v25, v21
	v_cmp_gt_i16_e64 s[20:21], v15, v14
	v_mov_b32_e32 v16, v54
	v_mov_b32_e32 v24, v20
	s_and_saveexec_b64 s[24:25], s[20:21]
; %bb.38:
	v_mov_b32_e32 v24, v28
	v_mov_b32_e32 v25, v29
	;; [unrolled: 1-line block ×6, first 2 shown]
; %bb.39:
	s_or_b64 exec, exec, s[24:25]
	v_and_b32_e32 v14, v48, v31
	v_and_b32_e32 v15, v37, v31
	v_cmp_gt_i16_e64 s[20:21], v15, v14
	v_mov_b32_e32 v14, v18
	v_mov_b32_e32 v15, v19
	;; [unrolled: 1-line block ×3, first 2 shown]
	s_and_saveexec_b64 s[24:25], s[20:21]
; %bb.40:
	v_mov_b32_e32 v15, v11
	v_mov_b32_e32 v14, v10
	;; [unrolled: 1-line block ×6, first 2 shown]
; %bb.41:
	s_or_b64 exec, exec, s[24:25]
	v_and_b32_e32 v17, v52, v31
	v_and_b32_e32 v18, v35, v31
	v_mov_b32_e32 v20, v26
	v_cmp_gt_i16_e64 s[20:21], v18, v17
	v_mov_b32_e32 v37, v52
	v_mov_b32_e32 v21, v27
	s_and_saveexec_b64 s[24:25], s[20:21]
; %bb.42:
	v_mov_b32_e32 v21, v5
	v_mov_b32_e32 v20, v4
	;; [unrolled: 1-line block ×6, first 2 shown]
; %bb.43:
	s_or_b64 exec, exec, s[24:25]
	v_and_b32_e32 v17, v16, v31
	v_and_b32_e32 v18, v38, v31
	v_mov_b32_e32 v26, v28
	v_cmp_gt_i16_e64 s[20:21], v18, v17
	v_mov_b32_e32 v54, v16
	v_mov_b32_e32 v27, v29
	s_and_saveexec_b64 s[24:25], s[20:21]
; %bb.44:
	v_mov_b32_e32 v27, v23
	v_mov_b32_e32 v26, v22
	;; [unrolled: 1-line block ×6, first 2 shown]
; %bb.45:
	s_or_b64 exec, exec, s[24:25]
	v_and_b32_e32 v16, v49, v31
	v_and_b32_e32 v17, v53, v31
	v_cmp_gt_i16_e64 s[20:21], v17, v16
	v_mov_b32_e32 v17, v11
	v_mov_b32_e32 v16, v10
	;; [unrolled: 1-line block ×3, first 2 shown]
	s_and_saveexec_b64 s[24:25], s[20:21]
; %bb.46:
	v_mov_b32_e32 v16, v24
	v_mov_b32_e32 v17, v25
	;; [unrolled: 1-line block ×6, first 2 shown]
; %bb.47:
	s_or_b64 exec, exec, s[24:25]
	v_and_b32_e32 v10, v36, v31
	v_and_b32_e32 v11, v48, v31
	v_cmp_gt_i16_e64 s[20:21], v11, v10
	v_mov_b32_e32 v11, v9
	v_mov_b32_e32 v10, v8
	;; [unrolled: 1-line block ×3, first 2 shown]
	s_and_saveexec_b64 s[24:25], s[20:21]
; %bb.48:
	v_mov_b32_e32 v10, v14
	v_mov_b32_e32 v11, v15
	;; [unrolled: 1-line block ×6, first 2 shown]
; %bb.49:
	s_or_b64 exec, exec, s[24:25]
	v_and_b32_e32 v8, v38, v31
	v_and_b32_e32 v9, v37, v31
	v_mov_b32_e32 v29, v23
	v_cmp_gt_i16_e64 s[20:21], v9, v8
	v_mov_b32_e32 v39, v38
	v_mov_b32_e32 v28, v22
	s_and_saveexec_b64 s[24:25], s[20:21]
; %bb.50:
	v_mov_b32_e32 v29, v21
	v_mov_b32_e32 v28, v20
	;; [unrolled: 1-line block ×6, first 2 shown]
; %bb.51:
	s_or_b64 exec, exec, s[24:25]
	v_and_b32_e32 v8, v52, v31
	v_and_b32_e32 v9, v54, v31
	v_mov_b32_e32 v18, v24
	v_cmp_gt_i16_e64 s[20:21], v9, v8
	v_mov_b32_e32 v53, v54
	v_mov_b32_e32 v19, v25
	s_and_saveexec_b64 s[24:25], s[20:21]
; %bb.52:
	v_mov_b32_e32 v18, v26
	v_mov_b32_e32 v19, v27
	;; [unrolled: 1-line block ×6, first 2 shown]
; %bb.53:
	s_or_b64 exec, exec, s[24:25]
	v_and_b32_e32 v8, v50, v31
	v_and_b32_e32 v9, v49, v31
	v_cmp_gt_i16_e64 s[20:21], v9, v8
	v_mov_b32_e32 v8, v14
	v_mov_b32_e32 v9, v15
	;; [unrolled: 1-line block ×3, first 2 shown]
	s_and_saveexec_b64 s[24:25], s[20:21]
; %bb.54:
	v_mov_b32_e32 v8, v16
	v_mov_b32_e32 v9, v17
	v_mov_b32_e32 v17, v15
	v_mov_b32_e32 v16, v14
	v_mov_b32_e32 v38, v50
	v_mov_b32_e32 v50, v49
; %bb.55:
	s_or_b64 exec, exec, s[24:25]
	v_and_b32_e32 v14, v37, v31
	v_and_b32_e32 v15, v35, v31
	v_mov_b32_e32 v23, v21
	v_cmp_gt_i16_e64 s[20:21], v15, v14
	v_mov_b32_e32 v48, v37
	v_mov_b32_e32 v22, v20
	s_and_saveexec_b64 s[24:25], s[20:21]
; %bb.56:
	v_mov_b32_e32 v23, v5
	v_mov_b32_e32 v22, v4
	v_mov_b32_e32 v4, v20
	v_mov_b32_e32 v48, v35
	v_mov_b32_e32 v35, v37
	v_mov_b32_e32 v5, v21
; %bb.57:
	s_or_b64 exec, exec, s[24:25]
	v_and_b32_e32 v14, v53, v31
	v_and_b32_e32 v15, v39, v31
	v_mov_b32_e32 v24, v26
	v_cmp_gt_i16_e64 s[20:21], v15, v14
	v_mov_b32_e32 v37, v53
	v_mov_b32_e32 v25, v27
	;; [unrolled: 16-line block ×3, first 2 shown]
	s_and_saveexec_b64 s[24:25], s[20:21]
; %bb.60:
	v_mov_b32_e32 v21, v19
	v_mov_b32_e32 v20, v18
	;; [unrolled: 1-line block ×6, first 2 shown]
; %bb.61:
	s_or_b64 exec, exec, s[24:25]
	v_and_b32_e32 v14, v36, v31
	v_and_b32_e32 v15, v50, v31
	v_cmp_gt_i16_e64 s[20:21], v15, v14
	v_mov_b32_e32 v15, v11
	v_mov_b32_e32 v14, v10
	;; [unrolled: 1-line block ×3, first 2 shown]
	s_and_saveexec_b64 s[24:25], s[20:21]
; %bb.62:
	v_mov_b32_e32 v15, v9
	v_mov_b32_e32 v14, v8
	;; [unrolled: 1-line block ×6, first 2 shown]
; %bb.63:
	s_or_b64 exec, exec, s[24:25]
	v_and_b32_e32 v10, v39, v31
	v_and_b32_e32 v11, v48, v31
	v_mov_b32_e32 v26, v28
	v_cmp_gt_i16_e64 s[20:21], v11, v10
	v_mov_b32_e32 v49, v39
	v_mov_b32_e32 v27, v29
	s_and_saveexec_b64 s[24:25], s[20:21]
; %bb.64:
	v_mov_b32_e32 v27, v23
	v_mov_b32_e32 v26, v22
	;; [unrolled: 1-line block ×6, first 2 shown]
; %bb.65:
	s_or_b64 exec, exec, s[24:25]
	v_and_b32_e32 v10, v53, v31
	v_and_b32_e32 v11, v37, v31
	v_cmp_gt_i16_e64 s[20:21], v11, v10
	v_mov_b32_e32 v10, v18
	v_mov_b32_e32 v28, v37
	v_mov_b32_e32 v11, v19
	s_and_saveexec_b64 s[24:25], s[20:21]
; %bb.66:
	v_mov_b32_e32 v10, v24
	v_mov_b32_e32 v11, v25
	;; [unrolled: 1-line block ×6, first 2 shown]
; %bb.67:
	s_or_b64 exec, exec, s[24:25]
	v_and_b32_e32 v16, v52, v31
	v_and_b32_e32 v17, v38, v31
	v_mov_b32_e32 v19, v9
	v_cmp_gt_i16_e64 s[20:21], v17, v16
	v_mov_b32_e32 v18, v8
	v_mov_b32_e32 v37, v38
	s_and_saveexec_b64 s[24:25], s[20:21]
; %bb.68:
	v_mov_b32_e32 v18, v20
	v_mov_b32_e32 v19, v21
	;; [unrolled: 1-line block ×6, first 2 shown]
; %bb.69:
	s_or_b64 exec, exec, s[24:25]
	v_and_b32_e32 v8, v48, v31
	v_and_b32_e32 v9, v35, v31
	v_cmp_gt_i16_e64 s[20:21], v9, v8
	v_mov_b32_e32 v8, v22
	v_mov_b32_e32 v38, v48
	;; [unrolled: 1-line block ×3, first 2 shown]
	s_and_saveexec_b64 s[24:25], s[20:21]
; %bb.70:
	v_mov_b32_e32 v9, v5
	v_mov_b32_e32 v8, v4
	v_mov_b32_e32 v4, v22
	v_mov_b32_e32 v38, v35
	v_mov_b32_e32 v35, v48
	v_mov_b32_e32 v5, v23
; %bb.71:
	s_or_b64 exec, exec, s[24:25]
	v_and_b32_e32 v16, v28, v31
	v_and_b32_e32 v17, v49, v31
	v_cmp_gt_i16_e64 s[20:21], v17, v16
	v_mov_b32_e32 v16, v24
	v_mov_b32_e32 v22, v28
	;; [unrolled: 1-line block ×3, first 2 shown]
	s_and_saveexec_b64 s[24:25], s[20:21]
; %bb.72:
	v_mov_b32_e32 v16, v26
	v_mov_b32_e32 v17, v27
	;; [unrolled: 1-line block ×6, first 2 shown]
; %bb.73:
	s_or_b64 exec, exec, s[24:25]
	v_and_b32_e32 v23, v37, v31
	v_and_b32_e32 v24, v53, v31
	v_mov_b32_e32 v29, v21
	v_cmp_gt_i16_e64 s[20:21], v24, v23
	v_mov_b32_e32 v28, v20
	v_mov_b32_e32 v48, v53
	s_and_saveexec_b64 s[24:25], s[20:21]
; %bb.74:
	v_mov_b32_e32 v29, v11
	v_mov_b32_e32 v28, v10
	;; [unrolled: 1-line block ×6, first 2 shown]
; %bb.75:
	s_or_b64 exec, exec, s[24:25]
	v_and_b32_e32 v20, v36, v31
	v_and_b32_e32 v21, v52, v31
	v_mov_b32_e32 v25, v15
	v_cmp_gt_i16_e64 s[20:21], v21, v20
	v_mov_b32_e32 v24, v14
	v_mov_b32_e32 v53, v52
	s_and_saveexec_b64 s[24:25], s[20:21]
; %bb.76:
	v_mov_b32_e32 v25, v19
	v_mov_b32_e32 v24, v18
	;; [unrolled: 1-line block ×6, first 2 shown]
; %bb.77:
	s_or_b64 exec, exec, s[24:25]
	v_and_b32_e32 v14, v49, v31
	v_and_b32_e32 v15, v38, v31
	v_cmp_gt_i16_e64 s[20:21], v15, v14
	v_mov_b32_e32 v14, v26
	v_mov_b32_e32 v39, v49
	;; [unrolled: 1-line block ×3, first 2 shown]
	s_and_saveexec_b64 s[24:25], s[20:21]
; %bb.78:
	v_mov_b32_e32 v15, v9
	v_mov_b32_e32 v14, v8
	;; [unrolled: 1-line block ×6, first 2 shown]
; %bb.79:
	s_or_b64 exec, exec, s[24:25]
	v_and_b32_e32 v20, v48, v31
	v_and_b32_e32 v21, v22, v31
	v_cmp_gt_i16_e64 s[20:21], v21, v20
	v_mov_b32_e32 v21, v11
	v_mov_b32_e32 v49, v22
	;; [unrolled: 1-line block ×3, first 2 shown]
	s_and_saveexec_b64 s[24:25], s[20:21]
; %bb.80:
	v_mov_b32_e32 v21, v17
	v_mov_b32_e32 v20, v16
	;; [unrolled: 1-line block ×6, first 2 shown]
; %bb.81:
	s_or_b64 exec, exec, s[24:25]
	v_and_b32_e32 v10, v53, v31
	v_and_b32_e32 v11, v37, v31
	v_mov_b32_e32 v22, v28
	v_cmp_gt_i16_e64 s[20:21], v11, v10
	v_mov_b32_e32 v50, v53
	v_mov_b32_e32 v23, v29
	s_and_saveexec_b64 s[24:25], s[20:21]
; %bb.82:
	v_mov_b32_e32 v23, v19
	v_mov_b32_e32 v22, v18
	;; [unrolled: 1-line block ×6, first 2 shown]
; %bb.83:
	s_or_b64 exec, exec, s[24:25]
.LBB1028_84:
	s_or_b64 exec, exec, s[22:23]
	v_and_b32_e32 v27, 0xfffffe00, v51
	v_lshlrev_b32_e32 v26, 1, v27
	v_mad_u64_u32 v[10:11], s[20:21], v27, 6, v[26:27]
	s_movk_i32 s20, 0x800
	v_sub_u32_e64 v11, s20, v27 clamp
	v_lshl_add_u32 v28, v33, 3, v10
	v_add_u32_e32 v29, 0x1000, v28
	ds_write2_b64 v29, v[4:5], v[8:9] offset1:1
	v_add_u32_e32 v29, 0x1010, v28
	ds_write2_b64 v29, v[14:15], v[16:17] offset1:1
	v_add_u32_e32 v29, 0x1020, v28
	s_mov_b32 s20, 0x5040100
	v_lshl_add_u32 v27, v33, 1, v26
	ds_write2_b64 v29, v[20:21], v[22:23] offset1:1
	v_add_u32_e32 v29, 0x1030, v28
	v_perm_b32 v52, v36, v50, s20
	v_perm_b32 v51, v37, v48, s20
	v_perm_b32 v54, v49, v39, s20
	v_perm_b32 v53, v38, v35, s20
	ds_write2_b64 v27, v[53:54], v[51:52] offset1:1
	ds_write2_b64 v29, v[18:19], v[24:25] offset1:1
	v_or_b32_e32 v29, 8, v33
	v_min_u32_e32 v29, v11, v29
	v_add_u32_e32 v51, 8, v29
	v_and_b32_e32 v54, 0x3f0, v33
	v_min_u32_e32 v51, v11, v51
	v_and_b32_e32 v52, 8, v33
	v_min_u32_e32 v55, v11, v52
	v_sub_u32_e32 v64, v29, v54
	v_sub_u32_e32 v53, v51, v29
	v_sub_u32_e64 v53, v55, v53 clamp
	v_min_u32_e32 v64, v55, v64
	v_lshl_add_u32 v52, v54, 1, v26
	v_cmp_lt_u32_e64 s[20:21], v53, v64
	; wave barrier
	s_and_saveexec_b64 s[22:23], s[20:21]
	s_cbranch_execz .LBB1028_88
; %bb.85:
	v_lshlrev_b32_e32 v65, 1, v29
	v_lshlrev_b32_e32 v66, 1, v55
	v_add3_u32 v65, v26, v65, v66
	s_mov_b64 s[24:25], 0
.LBB1028_86:                            ; =>This Inner Loop Header: Depth=1
	v_add_u32_e32 v66, v64, v53
	v_lshrrev_b32_e32 v67, 1, v66
	v_and_b32_e32 v66, -2, v66
	v_not_b32_e32 v68, v67
	v_add_u32_e32 v66, v52, v66
	v_lshl_add_u32 v68, v68, 1, v65
	ds_read_u16 v66, v66
	ds_read_u16 v68, v68
	v_add_u32_e32 v69, 1, v67
	s_waitcnt lgkmcnt(1)
	v_and_b32_e32 v66, v66, v31
	s_waitcnt lgkmcnt(0)
	v_and_b32_e32 v68, v68, v31
	v_cmp_gt_i16_e64 s[20:21], v66, v68
	v_cndmask_b32_e64 v64, v64, v67, s[20:21]
	v_cndmask_b32_e64 v53, v69, v53, s[20:21]
	v_cmp_ge_u32_e64 s[20:21], v53, v64
	s_or_b64 s[24:25], s[20:21], s[24:25]
	s_andn2_b64 exec, exec, s[24:25]
	s_cbranch_execnz .LBB1028_86
; %bb.87:
	s_or_b64 exec, exec, s[24:25]
.LBB1028_88:
	s_or_b64 exec, exec, s[22:23]
	v_add_u32_e32 v55, v29, v55
	v_add_u32_e32 v54, v53, v54
	v_sub_u32_e32 v55, v55, v53
	v_cmp_le_u32_e64 s[20:21], v54, v29
	v_cmp_le_u32_e64 s[22:23], v55, v51
	s_or_b64 s[20:21], s[20:21], s[22:23]
	s_and_saveexec_b64 s[60:61], s[20:21]
	s_cbranch_execz .LBB1028_94
; %bb.89:
	v_cmp_lt_u32_e64 s[20:21], v54, v29
                                        ; implicit-def: $vgpr24
	s_and_saveexec_b64 s[22:23], s[20:21]
; %bb.90:
	v_lshl_add_u32 v4, v53, 1, v52
	ds_read_u16 v24, v4
; %bb.91:
	s_or_b64 exec, exec, s[22:23]
	v_cmp_ge_u32_e64 s[22:23], v55, v51
	v_cmp_lt_u32_e64 s[24:25], v55, v51
                                        ; implicit-def: $vgpr25
	s_and_saveexec_b64 s[28:29], s[24:25]
; %bb.92:
	v_lshl_add_u32 v4, v55, 1, v26
	ds_read_u16 v25, v4
; %bb.93:
	s_or_b64 exec, exec, s[28:29]
	s_waitcnt lgkmcnt(0)
	v_and_b32_e32 v4, v25, v31
	v_and_b32_e32 v5, v24, v31
	v_cmp_le_i16_e64 s[24:25], v5, v4
	s_and_b64 s[20:21], s[20:21], s[24:25]
	s_or_b64 s[20:21], s[22:23], s[20:21]
	v_cndmask_b32_e64 v4, v55, v54, s[20:21]
	v_cndmask_b32_e64 v5, v51, v29, s[20:21]
	v_add_u32_e32 v8, 1, v4
	v_add_u32_e32 v5, -1, v5
	v_min_u32_e32 v5, v8, v5
	v_lshl_add_u32 v5, v5, 1, v26
	ds_read_u16 v5, v5
	v_lshl_add_u32 v4, v4, 3, v10
	s_waitcnt lgkmcnt(0)
	v_cndmask_b32_e64 v36, v5, v25, s[20:21]
	v_cndmask_b32_e64 v37, v24, v5, s[20:21]
	;; [unrolled: 1-line block ×4, first 2 shown]
	v_and_b32_e32 v9, v36, v31
	v_and_b32_e32 v14, v37, v31
	v_cmp_lt_u32_e64 s[24:25], v8, v29
	v_cmp_le_i16_e64 s[28:29], v14, v9
	v_cmp_ge_u32_e64 s[22:23], v5, v51
	s_and_b64 s[24:25], s[24:25], s[28:29]
	s_or_b64 s[22:23], s[22:23], s[24:25]
	v_cndmask_b32_e64 v9, v5, v8, s[22:23]
	v_cndmask_b32_e64 v14, v51, v29, s[22:23]
	v_add_u32_e32 v15, 1, v9
	v_add_u32_e32 v14, -1, v14
	v_min_u32_e32 v14, v15, v14
	v_lshl_add_u32 v14, v14, 1, v26
	ds_read_u16 v14, v14
	v_cndmask_b32_e64 v5, v15, v5, s[22:23]
	v_cndmask_b32_e64 v8, v8, v15, s[22:23]
	v_cmp_lt_u32_e64 s[28:29], v8, v29
	v_cmp_ge_u32_e64 s[24:25], v5, v51
	s_waitcnt lgkmcnt(0)
	v_cndmask_b32_e64 v39, v14, v36, s[22:23]
	v_cndmask_b32_e64 v48, v37, v14, s[22:23]
	v_and_b32_e32 v14, v39, v31
	v_and_b32_e32 v15, v48, v31
	v_cmp_le_i16_e64 s[40:41], v15, v14
	s_and_b64 s[28:29], s[28:29], s[40:41]
	s_or_b64 s[24:25], s[24:25], s[28:29]
	v_cndmask_b32_e64 v14, v5, v8, s[24:25]
	v_cndmask_b32_e64 v15, v51, v29, s[24:25]
	v_add_u32_e32 v16, 1, v14
	v_add_u32_e32 v15, -1, v15
	v_min_u32_e32 v15, v16, v15
	v_lshl_add_u32 v15, v15, 1, v26
	ds_read_u16 v15, v15
	v_lshl_add_u32 v14, v14, 3, v10
	s_waitcnt lgkmcnt(0)
	v_cndmask_b32_e64 v49, v15, v39, s[24:25]
	v_cndmask_b32_e64 v50, v48, v15, s[24:25]
	;; [unrolled: 1-line block ×4, first 2 shown]
	v_and_b32_e32 v5, v49, v31
	v_and_b32_e32 v8, v50, v31
	v_cmp_lt_u32_e64 s[40:41], v16, v29
	v_cmp_le_i16_e64 s[42:43], v8, v5
	v_cmp_ge_u32_e64 s[28:29], v15, v51
	s_and_b64 s[40:41], s[40:41], s[42:43]
	s_or_b64 s[28:29], s[28:29], s[40:41]
	v_cndmask_b32_e64 v17, v15, v16, s[28:29]
	v_cndmask_b32_e64 v5, v51, v29, s[28:29]
	v_add_u32_e32 v18, 1, v17
	v_add_u32_e32 v5, -1, v5
	v_min_u32_e32 v5, v18, v5
	v_lshl_add_u32 v5, v5, 1, v26
	ds_read_u16 v19, v5
	v_lshl_add_u32 v8, v9, 3, v10
	ds_read_b64 v[4:5], v4 offset:4096
	ds_read_b64 v[8:9], v8 offset:4096
	v_cndmask_b32_e64 v39, v39, v48, s[24:25]
	s_waitcnt lgkmcnt(2)
	v_cndmask_b32_e64 v52, v19, v49, s[28:29]
	v_cndmask_b32_e64 v53, v50, v19, s[28:29]
	;; [unrolled: 1-line block ×4, first 2 shown]
	v_and_b32_e32 v15, v52, v31
	v_and_b32_e32 v16, v53, v31
	v_cmp_lt_u32_e64 s[42:43], v18, v29
	v_cmp_le_i16_e64 s[44:45], v16, v15
	v_cmp_ge_u32_e64 s[40:41], v19, v51
	s_and_b64 s[42:43], s[42:43], s[44:45]
	s_or_b64 s[40:41], s[40:41], s[42:43]
	v_cndmask_b32_e64 v20, v19, v18, s[40:41]
	v_cndmask_b32_e64 v15, v51, v29, s[40:41]
	v_add_u32_e32 v21, 1, v20
	v_add_u32_e32 v15, -1, v15
	v_min_u32_e32 v15, v21, v15
	v_lshl_add_u32 v15, v15, 1, v26
	ds_read_u16 v22, v15
	v_cndmask_b32_e64 v19, v21, v19, s[40:41]
	v_cndmask_b32_e64 v18, v18, v21, s[40:41]
	v_cmp_lt_u32_e64 s[44:45], v18, v29
	v_cmp_ge_u32_e64 s[42:43], v19, v51
	s_waitcnt lgkmcnt(0)
	v_cndmask_b32_e64 v54, v22, v52, s[40:41]
	v_cndmask_b32_e64 v55, v53, v22, s[40:41]
	v_and_b32_e32 v21, v54, v31
	v_and_b32_e32 v22, v55, v31
	v_cmp_le_i16_e64 s[46:47], v22, v21
	s_and_b64 s[44:45], s[44:45], s[46:47]
	s_or_b64 s[42:43], s[42:43], s[44:45]
	v_cndmask_b32_e64 v22, v19, v18, s[42:43]
	v_cndmask_b32_e64 v21, v51, v29, s[42:43]
	v_add_u32_e32 v35, 1, v22
	v_add_u32_e32 v21, -1, v21
	v_min_u32_e32 v21, v35, v21
	v_lshl_add_u32 v21, v21, 1, v26
	ds_read_u16 v38, v21
	v_cndmask_b32_e64 v66, v35, v19, s[42:43]
	v_cndmask_b32_e64 v67, v18, v35, s[42:43]
	v_cmp_lt_u32_e64 s[46:47], v67, v29
	v_cmp_ge_u32_e64 s[44:45], v66, v51
	s_waitcnt lgkmcnt(0)
	v_cndmask_b32_e64 v64, v38, v54, s[42:43]
	v_cndmask_b32_e64 v65, v55, v38, s[42:43]
	v_and_b32_e32 v18, v64, v31
	v_and_b32_e32 v19, v65, v31
	v_cmp_le_i16_e64 s[56:57], v19, v18
	s_and_b64 s[46:47], s[46:47], s[56:57]
	s_or_b64 s[44:45], s[44:45], s[46:47]
	v_cndmask_b32_e64 v18, v66, v67, s[44:45]
	v_cndmask_b32_e64 v19, v51, v29, s[44:45]
	v_lshl_add_u32 v35, v18, 3, v10
	v_add_u32_e32 v68, 1, v18
	v_add_u32_e32 v18, -1, v19
	v_lshl_add_u32 v16, v17, 3, v10
	v_lshl_add_u32 v20, v20, 3, v10
	;; [unrolled: 1-line block ×3, first 2 shown]
	v_min_u32_e32 v18, v68, v18
	ds_read_b64 v[14:15], v14 offset:4096
	ds_read_b64 v[16:17], v16 offset:4096
	;; [unrolled: 1-line block ×4, first 2 shown]
	v_lshl_add_u32 v38, v18, 1, v26
	ds_read_b64 v[18:19], v35 offset:4096
	ds_read_u16 v69, v38
	v_cndmask_b32_e64 v35, v25, v24, s[20:21]
	v_cndmask_b32_e64 v38, v36, v37, s[22:23]
	;; [unrolled: 1-line block ×3, first 2 shown]
	v_cmp_lt_u32_e64 s[22:23], v25, v29
	s_waitcnt lgkmcnt(0)
	v_cndmask_b32_e64 v36, v69, v64, s[44:45]
	v_cndmask_b32_e64 v69, v65, v69, s[44:45]
	v_and_b32_e32 v29, v36, v31
	v_and_b32_e32 v37, v69, v31
	v_cndmask_b32_e64 v24, v68, v66, s[44:45]
	v_cmp_le_i16_e64 s[24:25], v37, v29
	v_cmp_ge_u32_e64 s[20:21], v24, v51
	s_and_b64 s[22:23], s[22:23], s[24:25]
	s_or_b64 s[20:21], s[20:21], s[22:23]
	v_cndmask_b32_e64 v24, v24, v25, s[20:21]
	v_lshl_add_u32 v24, v24, 3, v10
	ds_read_b64 v[24:25], v24 offset:4096
	v_cndmask_b32_e64 v49, v49, v50, s[28:29]
	v_cndmask_b32_e64 v48, v52, v53, s[40:41]
	;; [unrolled: 1-line block ×5, first 2 shown]
.LBB1028_94:
	s_or_b64 exec, exec, s[60:61]
	v_add_u32_e32 v29, 0x1000, v28
	; wave barrier
	ds_write2_b64 v29, v[4:5], v[8:9] offset1:1
	v_add_u32_e32 v29, 0x1010, v28
	s_mov_b32 s20, 0x5040100
	ds_write2_b64 v29, v[14:15], v[16:17] offset1:1
	v_add_u32_e32 v29, 0x1020, v28
	v_perm_b32 v52, v36, v50, s20
	v_perm_b32 v51, v37, v48, s20
	;; [unrolled: 1-line block ×4, first 2 shown]
	ds_write2_b64 v29, v[20:21], v[22:23] offset1:1
	v_add_u32_e32 v29, 0x1030, v28
	ds_write2_b64 v27, v[53:54], v[51:52] offset1:1
	s_waitcnt lgkmcnt(4)
	ds_write2_b64 v29, v[18:19], v[24:25] offset1:1
	v_and_b32_e32 v54, 0x3e0, v33
	v_or_b32_e32 v29, 16, v54
	v_min_u32_e32 v29, v11, v29
	v_add_u32_e32 v51, 16, v29
	v_min_u32_e32 v51, v11, v51
	v_and_b32_e32 v52, 24, v33
	v_min_u32_e32 v55, v11, v52
	v_sub_u32_e32 v64, v29, v54
	v_sub_u32_e32 v53, v51, v29
	v_sub_u32_e64 v53, v55, v53 clamp
	v_min_u32_e32 v64, v55, v64
	v_lshl_add_u32 v52, v54, 1, v26
	v_cmp_lt_u32_e64 s[20:21], v53, v64
	; wave barrier
	s_and_saveexec_b64 s[22:23], s[20:21]
	s_cbranch_execz .LBB1028_98
; %bb.95:
	v_lshlrev_b32_e32 v65, 1, v29
	v_lshlrev_b32_e32 v66, 1, v55
	v_add3_u32 v65, v26, v65, v66
	s_mov_b64 s[24:25], 0
.LBB1028_96:                            ; =>This Inner Loop Header: Depth=1
	v_add_u32_e32 v66, v64, v53
	v_lshrrev_b32_e32 v67, 1, v66
	v_and_b32_e32 v66, -2, v66
	v_not_b32_e32 v68, v67
	v_add_u32_e32 v66, v52, v66
	v_lshl_add_u32 v68, v68, 1, v65
	ds_read_u16 v66, v66
	ds_read_u16 v68, v68
	v_add_u32_e32 v69, 1, v67
	s_waitcnt lgkmcnt(1)
	v_and_b32_e32 v66, v66, v31
	s_waitcnt lgkmcnt(0)
	v_and_b32_e32 v68, v68, v31
	v_cmp_gt_i16_e64 s[20:21], v66, v68
	v_cndmask_b32_e64 v64, v64, v67, s[20:21]
	v_cndmask_b32_e64 v53, v69, v53, s[20:21]
	v_cmp_ge_u32_e64 s[20:21], v53, v64
	s_or_b64 s[24:25], s[20:21], s[24:25]
	s_andn2_b64 exec, exec, s[24:25]
	s_cbranch_execnz .LBB1028_96
; %bb.97:
	s_or_b64 exec, exec, s[24:25]
.LBB1028_98:
	s_or_b64 exec, exec, s[22:23]
	v_add_u32_e32 v55, v29, v55
	v_add_u32_e32 v54, v53, v54
	v_sub_u32_e32 v55, v55, v53
	v_cmp_le_u32_e64 s[20:21], v54, v29
	v_cmp_le_u32_e64 s[22:23], v55, v51
	s_or_b64 s[20:21], s[20:21], s[22:23]
	s_and_saveexec_b64 s[60:61], s[20:21]
	s_cbranch_execz .LBB1028_104
; %bb.99:
	v_cmp_lt_u32_e64 s[20:21], v54, v29
                                        ; implicit-def: $vgpr24
	s_and_saveexec_b64 s[22:23], s[20:21]
; %bb.100:
	v_lshl_add_u32 v4, v53, 1, v52
	ds_read_u16 v24, v4
; %bb.101:
	s_or_b64 exec, exec, s[22:23]
	v_cmp_ge_u32_e64 s[22:23], v55, v51
	v_cmp_lt_u32_e64 s[24:25], v55, v51
                                        ; implicit-def: $vgpr25
	s_and_saveexec_b64 s[28:29], s[24:25]
; %bb.102:
	v_lshl_add_u32 v4, v55, 1, v26
	ds_read_u16 v25, v4
; %bb.103:
	s_or_b64 exec, exec, s[28:29]
	s_waitcnt lgkmcnt(0)
	v_and_b32_e32 v4, v25, v31
	v_and_b32_e32 v5, v24, v31
	v_cmp_le_i16_e64 s[24:25], v5, v4
	s_and_b64 s[20:21], s[20:21], s[24:25]
	s_or_b64 s[20:21], s[22:23], s[20:21]
	v_cndmask_b32_e64 v4, v55, v54, s[20:21]
	v_cndmask_b32_e64 v5, v51, v29, s[20:21]
	v_add_u32_e32 v8, 1, v4
	v_add_u32_e32 v5, -1, v5
	v_min_u32_e32 v5, v8, v5
	v_lshl_add_u32 v5, v5, 1, v26
	ds_read_u16 v5, v5
	v_lshl_add_u32 v4, v4, 3, v10
	s_waitcnt lgkmcnt(0)
	v_cndmask_b32_e64 v36, v5, v25, s[20:21]
	v_cndmask_b32_e64 v37, v24, v5, s[20:21]
	;; [unrolled: 1-line block ×4, first 2 shown]
	v_and_b32_e32 v9, v36, v31
	v_and_b32_e32 v14, v37, v31
	v_cmp_lt_u32_e64 s[24:25], v8, v29
	v_cmp_le_i16_e64 s[28:29], v14, v9
	v_cmp_ge_u32_e64 s[22:23], v5, v51
	s_and_b64 s[24:25], s[24:25], s[28:29]
	s_or_b64 s[22:23], s[22:23], s[24:25]
	v_cndmask_b32_e64 v9, v5, v8, s[22:23]
	v_cndmask_b32_e64 v14, v51, v29, s[22:23]
	v_add_u32_e32 v15, 1, v9
	v_add_u32_e32 v14, -1, v14
	v_min_u32_e32 v14, v15, v14
	v_lshl_add_u32 v14, v14, 1, v26
	ds_read_u16 v14, v14
	v_cndmask_b32_e64 v5, v15, v5, s[22:23]
	v_cndmask_b32_e64 v8, v8, v15, s[22:23]
	v_cmp_lt_u32_e64 s[28:29], v8, v29
	v_cmp_ge_u32_e64 s[24:25], v5, v51
	s_waitcnt lgkmcnt(0)
	v_cndmask_b32_e64 v39, v14, v36, s[22:23]
	v_cndmask_b32_e64 v48, v37, v14, s[22:23]
	v_and_b32_e32 v14, v39, v31
	v_and_b32_e32 v15, v48, v31
	v_cmp_le_i16_e64 s[40:41], v15, v14
	s_and_b64 s[28:29], s[28:29], s[40:41]
	s_or_b64 s[24:25], s[24:25], s[28:29]
	v_cndmask_b32_e64 v14, v5, v8, s[24:25]
	v_cndmask_b32_e64 v15, v51, v29, s[24:25]
	v_add_u32_e32 v16, 1, v14
	v_add_u32_e32 v15, -1, v15
	v_min_u32_e32 v15, v16, v15
	v_lshl_add_u32 v15, v15, 1, v26
	ds_read_u16 v15, v15
	v_lshl_add_u32 v14, v14, 3, v10
	s_waitcnt lgkmcnt(0)
	v_cndmask_b32_e64 v49, v15, v39, s[24:25]
	v_cndmask_b32_e64 v50, v48, v15, s[24:25]
	;; [unrolled: 1-line block ×4, first 2 shown]
	v_and_b32_e32 v5, v49, v31
	v_and_b32_e32 v8, v50, v31
	v_cmp_lt_u32_e64 s[40:41], v16, v29
	v_cmp_le_i16_e64 s[42:43], v8, v5
	v_cmp_ge_u32_e64 s[28:29], v15, v51
	s_and_b64 s[40:41], s[40:41], s[42:43]
	s_or_b64 s[28:29], s[28:29], s[40:41]
	v_cndmask_b32_e64 v17, v15, v16, s[28:29]
	v_cndmask_b32_e64 v5, v51, v29, s[28:29]
	v_add_u32_e32 v18, 1, v17
	v_add_u32_e32 v5, -1, v5
	v_min_u32_e32 v5, v18, v5
	v_lshl_add_u32 v5, v5, 1, v26
	ds_read_u16 v19, v5
	v_lshl_add_u32 v8, v9, 3, v10
	ds_read_b64 v[4:5], v4 offset:4096
	ds_read_b64 v[8:9], v8 offset:4096
	v_cndmask_b32_e64 v39, v39, v48, s[24:25]
	s_waitcnt lgkmcnt(2)
	v_cndmask_b32_e64 v52, v19, v49, s[28:29]
	v_cndmask_b32_e64 v53, v50, v19, s[28:29]
	;; [unrolled: 1-line block ×4, first 2 shown]
	v_and_b32_e32 v15, v52, v31
	v_and_b32_e32 v16, v53, v31
	v_cmp_lt_u32_e64 s[42:43], v18, v29
	v_cmp_le_i16_e64 s[44:45], v16, v15
	v_cmp_ge_u32_e64 s[40:41], v19, v51
	s_and_b64 s[42:43], s[42:43], s[44:45]
	s_or_b64 s[40:41], s[40:41], s[42:43]
	v_cndmask_b32_e64 v20, v19, v18, s[40:41]
	v_cndmask_b32_e64 v15, v51, v29, s[40:41]
	v_add_u32_e32 v21, 1, v20
	v_add_u32_e32 v15, -1, v15
	v_min_u32_e32 v15, v21, v15
	v_lshl_add_u32 v15, v15, 1, v26
	ds_read_u16 v22, v15
	v_cndmask_b32_e64 v19, v21, v19, s[40:41]
	v_cndmask_b32_e64 v18, v18, v21, s[40:41]
	v_cmp_lt_u32_e64 s[44:45], v18, v29
	v_cmp_ge_u32_e64 s[42:43], v19, v51
	s_waitcnt lgkmcnt(0)
	v_cndmask_b32_e64 v54, v22, v52, s[40:41]
	v_cndmask_b32_e64 v55, v53, v22, s[40:41]
	v_and_b32_e32 v21, v54, v31
	v_and_b32_e32 v22, v55, v31
	v_cmp_le_i16_e64 s[46:47], v22, v21
	s_and_b64 s[44:45], s[44:45], s[46:47]
	s_or_b64 s[42:43], s[42:43], s[44:45]
	v_cndmask_b32_e64 v22, v19, v18, s[42:43]
	v_cndmask_b32_e64 v21, v51, v29, s[42:43]
	v_add_u32_e32 v35, 1, v22
	v_add_u32_e32 v21, -1, v21
	v_min_u32_e32 v21, v35, v21
	v_lshl_add_u32 v21, v21, 1, v26
	ds_read_u16 v38, v21
	v_cndmask_b32_e64 v66, v35, v19, s[42:43]
	v_cndmask_b32_e64 v67, v18, v35, s[42:43]
	v_cmp_lt_u32_e64 s[46:47], v67, v29
	v_cmp_ge_u32_e64 s[44:45], v66, v51
	s_waitcnt lgkmcnt(0)
	v_cndmask_b32_e64 v64, v38, v54, s[42:43]
	v_cndmask_b32_e64 v65, v55, v38, s[42:43]
	v_and_b32_e32 v18, v64, v31
	v_and_b32_e32 v19, v65, v31
	v_cmp_le_i16_e64 s[56:57], v19, v18
	s_and_b64 s[46:47], s[46:47], s[56:57]
	s_or_b64 s[44:45], s[44:45], s[46:47]
	v_cndmask_b32_e64 v18, v66, v67, s[44:45]
	v_cndmask_b32_e64 v19, v51, v29, s[44:45]
	v_lshl_add_u32 v35, v18, 3, v10
	v_add_u32_e32 v68, 1, v18
	v_add_u32_e32 v18, -1, v19
	v_lshl_add_u32 v16, v17, 3, v10
	v_lshl_add_u32 v20, v20, 3, v10
	;; [unrolled: 1-line block ×3, first 2 shown]
	v_min_u32_e32 v18, v68, v18
	ds_read_b64 v[14:15], v14 offset:4096
	ds_read_b64 v[16:17], v16 offset:4096
	;; [unrolled: 1-line block ×4, first 2 shown]
	v_lshl_add_u32 v38, v18, 1, v26
	ds_read_b64 v[18:19], v35 offset:4096
	ds_read_u16 v69, v38
	v_cndmask_b32_e64 v35, v25, v24, s[20:21]
	v_cndmask_b32_e64 v38, v36, v37, s[22:23]
	;; [unrolled: 1-line block ×3, first 2 shown]
	v_cmp_lt_u32_e64 s[22:23], v25, v29
	s_waitcnt lgkmcnt(0)
	v_cndmask_b32_e64 v36, v69, v64, s[44:45]
	v_cndmask_b32_e64 v69, v65, v69, s[44:45]
	v_and_b32_e32 v29, v36, v31
	v_and_b32_e32 v37, v69, v31
	v_cndmask_b32_e64 v24, v68, v66, s[44:45]
	v_cmp_le_i16_e64 s[24:25], v37, v29
	v_cmp_ge_u32_e64 s[20:21], v24, v51
	s_and_b64 s[22:23], s[22:23], s[24:25]
	s_or_b64 s[20:21], s[20:21], s[22:23]
	v_cndmask_b32_e64 v24, v24, v25, s[20:21]
	v_lshl_add_u32 v24, v24, 3, v10
	ds_read_b64 v[24:25], v24 offset:4096
	v_cndmask_b32_e64 v49, v49, v50, s[28:29]
	v_cndmask_b32_e64 v48, v52, v53, s[40:41]
	;; [unrolled: 1-line block ×5, first 2 shown]
.LBB1028_104:
	s_or_b64 exec, exec, s[60:61]
	v_add_u32_e32 v29, 0x1000, v28
	; wave barrier
	ds_write2_b64 v29, v[4:5], v[8:9] offset1:1
	v_add_u32_e32 v29, 0x1010, v28
	s_mov_b32 s20, 0x5040100
	ds_write2_b64 v29, v[14:15], v[16:17] offset1:1
	v_add_u32_e32 v29, 0x1020, v28
	v_perm_b32 v52, v36, v50, s20
	v_perm_b32 v51, v37, v48, s20
	v_perm_b32 v54, v49, v39, s20
	v_perm_b32 v53, v38, v35, s20
	ds_write2_b64 v29, v[20:21], v[22:23] offset1:1
	v_add_u32_e32 v29, 0x1030, v28
	ds_write2_b64 v27, v[53:54], v[51:52] offset1:1
	s_waitcnt lgkmcnt(4)
	ds_write2_b64 v29, v[18:19], v[24:25] offset1:1
	v_and_b32_e32 v54, 0x3c0, v33
	v_or_b32_e32 v29, 32, v54
	v_min_u32_e32 v29, v11, v29
	v_add_u32_e32 v51, 32, v29
	v_min_u32_e32 v51, v11, v51
	v_and_b32_e32 v52, 56, v33
	v_min_u32_e32 v55, v11, v52
	v_sub_u32_e32 v64, v29, v54
	v_sub_u32_e32 v53, v51, v29
	v_sub_u32_e64 v53, v55, v53 clamp
	v_min_u32_e32 v64, v55, v64
	v_lshl_add_u32 v52, v54, 1, v26
	v_cmp_lt_u32_e64 s[20:21], v53, v64
	; wave barrier
	s_and_saveexec_b64 s[22:23], s[20:21]
	s_cbranch_execz .LBB1028_108
; %bb.105:
	v_lshlrev_b32_e32 v65, 1, v29
	v_lshlrev_b32_e32 v66, 1, v55
	v_add3_u32 v65, v26, v65, v66
	s_mov_b64 s[24:25], 0
.LBB1028_106:                           ; =>This Inner Loop Header: Depth=1
	v_add_u32_e32 v66, v64, v53
	v_lshrrev_b32_e32 v67, 1, v66
	v_and_b32_e32 v66, -2, v66
	v_not_b32_e32 v68, v67
	v_add_u32_e32 v66, v52, v66
	v_lshl_add_u32 v68, v68, 1, v65
	ds_read_u16 v66, v66
	ds_read_u16 v68, v68
	v_add_u32_e32 v69, 1, v67
	s_waitcnt lgkmcnt(1)
	v_and_b32_e32 v66, v66, v31
	s_waitcnt lgkmcnt(0)
	v_and_b32_e32 v68, v68, v31
	v_cmp_gt_i16_e64 s[20:21], v66, v68
	v_cndmask_b32_e64 v64, v64, v67, s[20:21]
	v_cndmask_b32_e64 v53, v69, v53, s[20:21]
	v_cmp_ge_u32_e64 s[20:21], v53, v64
	s_or_b64 s[24:25], s[20:21], s[24:25]
	s_andn2_b64 exec, exec, s[24:25]
	s_cbranch_execnz .LBB1028_106
; %bb.107:
	s_or_b64 exec, exec, s[24:25]
.LBB1028_108:
	s_or_b64 exec, exec, s[22:23]
	v_add_u32_e32 v55, v29, v55
	v_add_u32_e32 v54, v53, v54
	v_sub_u32_e32 v55, v55, v53
	v_cmp_le_u32_e64 s[20:21], v54, v29
	v_cmp_le_u32_e64 s[22:23], v55, v51
	s_or_b64 s[20:21], s[20:21], s[22:23]
	s_and_saveexec_b64 s[60:61], s[20:21]
	s_cbranch_execz .LBB1028_114
; %bb.109:
	v_cmp_lt_u32_e64 s[20:21], v54, v29
                                        ; implicit-def: $vgpr24
	s_and_saveexec_b64 s[22:23], s[20:21]
; %bb.110:
	v_lshl_add_u32 v4, v53, 1, v52
	ds_read_u16 v24, v4
; %bb.111:
	s_or_b64 exec, exec, s[22:23]
	v_cmp_ge_u32_e64 s[22:23], v55, v51
	v_cmp_lt_u32_e64 s[24:25], v55, v51
                                        ; implicit-def: $vgpr25
	s_and_saveexec_b64 s[28:29], s[24:25]
; %bb.112:
	v_lshl_add_u32 v4, v55, 1, v26
	ds_read_u16 v25, v4
; %bb.113:
	s_or_b64 exec, exec, s[28:29]
	s_waitcnt lgkmcnt(0)
	v_and_b32_e32 v4, v25, v31
	v_and_b32_e32 v5, v24, v31
	v_cmp_le_i16_e64 s[24:25], v5, v4
	s_and_b64 s[20:21], s[20:21], s[24:25]
	s_or_b64 s[20:21], s[22:23], s[20:21]
	v_cndmask_b32_e64 v4, v55, v54, s[20:21]
	v_cndmask_b32_e64 v5, v51, v29, s[20:21]
	v_add_u32_e32 v8, 1, v4
	v_add_u32_e32 v5, -1, v5
	v_min_u32_e32 v5, v8, v5
	v_lshl_add_u32 v5, v5, 1, v26
	ds_read_u16 v5, v5
	v_lshl_add_u32 v4, v4, 3, v10
	s_waitcnt lgkmcnt(0)
	v_cndmask_b32_e64 v36, v5, v25, s[20:21]
	v_cndmask_b32_e64 v37, v24, v5, s[20:21]
	;; [unrolled: 1-line block ×4, first 2 shown]
	v_and_b32_e32 v9, v36, v31
	v_and_b32_e32 v14, v37, v31
	v_cmp_lt_u32_e64 s[24:25], v8, v29
	v_cmp_le_i16_e64 s[28:29], v14, v9
	v_cmp_ge_u32_e64 s[22:23], v5, v51
	s_and_b64 s[24:25], s[24:25], s[28:29]
	s_or_b64 s[22:23], s[22:23], s[24:25]
	v_cndmask_b32_e64 v9, v5, v8, s[22:23]
	v_cndmask_b32_e64 v14, v51, v29, s[22:23]
	v_add_u32_e32 v15, 1, v9
	v_add_u32_e32 v14, -1, v14
	v_min_u32_e32 v14, v15, v14
	v_lshl_add_u32 v14, v14, 1, v26
	ds_read_u16 v14, v14
	v_cndmask_b32_e64 v5, v15, v5, s[22:23]
	v_cndmask_b32_e64 v8, v8, v15, s[22:23]
	v_cmp_lt_u32_e64 s[28:29], v8, v29
	v_cmp_ge_u32_e64 s[24:25], v5, v51
	s_waitcnt lgkmcnt(0)
	v_cndmask_b32_e64 v39, v14, v36, s[22:23]
	v_cndmask_b32_e64 v48, v37, v14, s[22:23]
	v_and_b32_e32 v14, v39, v31
	v_and_b32_e32 v15, v48, v31
	v_cmp_le_i16_e64 s[40:41], v15, v14
	s_and_b64 s[28:29], s[28:29], s[40:41]
	s_or_b64 s[24:25], s[24:25], s[28:29]
	v_cndmask_b32_e64 v14, v5, v8, s[24:25]
	v_cndmask_b32_e64 v15, v51, v29, s[24:25]
	v_add_u32_e32 v16, 1, v14
	v_add_u32_e32 v15, -1, v15
	v_min_u32_e32 v15, v16, v15
	v_lshl_add_u32 v15, v15, 1, v26
	ds_read_u16 v15, v15
	v_lshl_add_u32 v14, v14, 3, v10
	s_waitcnt lgkmcnt(0)
	v_cndmask_b32_e64 v49, v15, v39, s[24:25]
	v_cndmask_b32_e64 v50, v48, v15, s[24:25]
	;; [unrolled: 1-line block ×4, first 2 shown]
	v_and_b32_e32 v5, v49, v31
	v_and_b32_e32 v8, v50, v31
	v_cmp_lt_u32_e64 s[40:41], v16, v29
	v_cmp_le_i16_e64 s[42:43], v8, v5
	v_cmp_ge_u32_e64 s[28:29], v15, v51
	s_and_b64 s[40:41], s[40:41], s[42:43]
	s_or_b64 s[28:29], s[28:29], s[40:41]
	v_cndmask_b32_e64 v17, v15, v16, s[28:29]
	v_cndmask_b32_e64 v5, v51, v29, s[28:29]
	v_add_u32_e32 v18, 1, v17
	v_add_u32_e32 v5, -1, v5
	v_min_u32_e32 v5, v18, v5
	v_lshl_add_u32 v5, v5, 1, v26
	ds_read_u16 v19, v5
	v_lshl_add_u32 v8, v9, 3, v10
	ds_read_b64 v[4:5], v4 offset:4096
	ds_read_b64 v[8:9], v8 offset:4096
	v_cndmask_b32_e64 v39, v39, v48, s[24:25]
	s_waitcnt lgkmcnt(2)
	v_cndmask_b32_e64 v52, v19, v49, s[28:29]
	v_cndmask_b32_e64 v53, v50, v19, s[28:29]
	;; [unrolled: 1-line block ×4, first 2 shown]
	v_and_b32_e32 v15, v52, v31
	v_and_b32_e32 v16, v53, v31
	v_cmp_lt_u32_e64 s[42:43], v18, v29
	v_cmp_le_i16_e64 s[44:45], v16, v15
	v_cmp_ge_u32_e64 s[40:41], v19, v51
	s_and_b64 s[42:43], s[42:43], s[44:45]
	s_or_b64 s[40:41], s[40:41], s[42:43]
	v_cndmask_b32_e64 v20, v19, v18, s[40:41]
	v_cndmask_b32_e64 v15, v51, v29, s[40:41]
	v_add_u32_e32 v21, 1, v20
	v_add_u32_e32 v15, -1, v15
	v_min_u32_e32 v15, v21, v15
	v_lshl_add_u32 v15, v15, 1, v26
	ds_read_u16 v22, v15
	v_cndmask_b32_e64 v19, v21, v19, s[40:41]
	v_cndmask_b32_e64 v18, v18, v21, s[40:41]
	v_cmp_lt_u32_e64 s[44:45], v18, v29
	v_cmp_ge_u32_e64 s[42:43], v19, v51
	s_waitcnt lgkmcnt(0)
	v_cndmask_b32_e64 v54, v22, v52, s[40:41]
	v_cndmask_b32_e64 v55, v53, v22, s[40:41]
	v_and_b32_e32 v21, v54, v31
	v_and_b32_e32 v22, v55, v31
	v_cmp_le_i16_e64 s[46:47], v22, v21
	s_and_b64 s[44:45], s[44:45], s[46:47]
	s_or_b64 s[42:43], s[42:43], s[44:45]
	v_cndmask_b32_e64 v22, v19, v18, s[42:43]
	v_cndmask_b32_e64 v21, v51, v29, s[42:43]
	v_add_u32_e32 v35, 1, v22
	v_add_u32_e32 v21, -1, v21
	v_min_u32_e32 v21, v35, v21
	v_lshl_add_u32 v21, v21, 1, v26
	ds_read_u16 v38, v21
	v_cndmask_b32_e64 v66, v35, v19, s[42:43]
	v_cndmask_b32_e64 v67, v18, v35, s[42:43]
	v_cmp_lt_u32_e64 s[46:47], v67, v29
	v_cmp_ge_u32_e64 s[44:45], v66, v51
	s_waitcnt lgkmcnt(0)
	v_cndmask_b32_e64 v64, v38, v54, s[42:43]
	v_cndmask_b32_e64 v65, v55, v38, s[42:43]
	v_and_b32_e32 v18, v64, v31
	v_and_b32_e32 v19, v65, v31
	v_cmp_le_i16_e64 s[56:57], v19, v18
	s_and_b64 s[46:47], s[46:47], s[56:57]
	s_or_b64 s[44:45], s[44:45], s[46:47]
	v_cndmask_b32_e64 v18, v66, v67, s[44:45]
	v_cndmask_b32_e64 v19, v51, v29, s[44:45]
	v_lshl_add_u32 v35, v18, 3, v10
	v_add_u32_e32 v68, 1, v18
	v_add_u32_e32 v18, -1, v19
	v_lshl_add_u32 v16, v17, 3, v10
	v_lshl_add_u32 v20, v20, 3, v10
	;; [unrolled: 1-line block ×3, first 2 shown]
	v_min_u32_e32 v18, v68, v18
	ds_read_b64 v[14:15], v14 offset:4096
	ds_read_b64 v[16:17], v16 offset:4096
	;; [unrolled: 1-line block ×4, first 2 shown]
	v_lshl_add_u32 v38, v18, 1, v26
	ds_read_b64 v[18:19], v35 offset:4096
	ds_read_u16 v69, v38
	v_cndmask_b32_e64 v35, v25, v24, s[20:21]
	v_cndmask_b32_e64 v38, v36, v37, s[22:23]
	;; [unrolled: 1-line block ×3, first 2 shown]
	v_cmp_lt_u32_e64 s[22:23], v25, v29
	s_waitcnt lgkmcnt(0)
	v_cndmask_b32_e64 v36, v69, v64, s[44:45]
	v_cndmask_b32_e64 v69, v65, v69, s[44:45]
	v_and_b32_e32 v29, v36, v31
	v_and_b32_e32 v37, v69, v31
	v_cndmask_b32_e64 v24, v68, v66, s[44:45]
	v_cmp_le_i16_e64 s[24:25], v37, v29
	v_cmp_ge_u32_e64 s[20:21], v24, v51
	s_and_b64 s[22:23], s[22:23], s[24:25]
	s_or_b64 s[20:21], s[20:21], s[22:23]
	v_cndmask_b32_e64 v24, v24, v25, s[20:21]
	v_lshl_add_u32 v24, v24, 3, v10
	ds_read_b64 v[24:25], v24 offset:4096
	v_cndmask_b32_e64 v49, v49, v50, s[28:29]
	v_cndmask_b32_e64 v48, v52, v53, s[40:41]
	;; [unrolled: 1-line block ×5, first 2 shown]
.LBB1028_114:
	s_or_b64 exec, exec, s[60:61]
	v_add_u32_e32 v29, 0x1000, v28
	; wave barrier
	ds_write2_b64 v29, v[4:5], v[8:9] offset1:1
	v_add_u32_e32 v29, 0x1010, v28
	ds_write2_b64 v29, v[14:15], v[16:17] offset1:1
	v_add_u32_e32 v29, 0x1020, v28
	s_mov_b32 s20, 0x5040100
	ds_write2_b64 v29, v[20:21], v[22:23] offset1:1
	v_add_u32_e32 v53, 0x1030, v28
	v_perm_b32 v29, v36, v50, s20
	v_perm_b32 v28, v37, v48, s20
	v_perm_b32 v52, v49, v39, s20
	v_perm_b32 v51, v38, v35, s20
	ds_write2_b64 v27, v[51:52], v[28:29] offset1:1
	s_waitcnt lgkmcnt(4)
	ds_write2_b64 v53, v[18:19], v[24:25] offset1:1
	v_and_b32_e32 v51, 0x380, v33
	v_or_b32_e32 v27, 64, v51
	v_min_u32_e32 v27, v11, v27
	v_add_u32_e32 v28, 64, v27
	v_min_u32_e32 v28, v11, v28
	v_min_u32_e32 v11, v11, v34
	v_sub_u32_e32 v34, v27, v51
	v_sub_u32_e32 v33, v28, v27
	v_sub_u32_e64 v33, v11, v33 clamp
	v_min_u32_e32 v34, v11, v34
	v_lshl_add_u32 v29, v51, 1, v26
	v_cmp_lt_u32_e64 s[20:21], v33, v34
	; wave barrier
	s_and_saveexec_b64 s[22:23], s[20:21]
	s_cbranch_execz .LBB1028_118
; %bb.115:
	v_lshlrev_b32_e32 v52, 1, v27
	v_lshlrev_b32_e32 v53, 1, v11
	v_add3_u32 v52, v26, v52, v53
	s_mov_b64 s[24:25], 0
.LBB1028_116:                           ; =>This Inner Loop Header: Depth=1
	v_add_u32_e32 v53, v34, v33
	v_lshrrev_b32_e32 v54, 1, v53
	v_and_b32_e32 v53, -2, v53
	v_not_b32_e32 v55, v54
	v_add_u32_e32 v53, v29, v53
	v_lshl_add_u32 v55, v55, 1, v52
	ds_read_u16 v53, v53
	ds_read_u16 v55, v55
	v_add_u32_e32 v64, 1, v54
	s_waitcnt lgkmcnt(1)
	v_and_b32_e32 v53, v53, v31
	s_waitcnt lgkmcnt(0)
	v_and_b32_e32 v55, v55, v31
	v_cmp_gt_i16_e64 s[20:21], v53, v55
	v_cndmask_b32_e64 v34, v34, v54, s[20:21]
	v_cndmask_b32_e64 v33, v64, v33, s[20:21]
	v_cmp_ge_u32_e64 s[20:21], v33, v34
	s_or_b64 s[24:25], s[20:21], s[24:25]
	s_andn2_b64 exec, exec, s[24:25]
	s_cbranch_execnz .LBB1028_116
; %bb.117:
	s_or_b64 exec, exec, s[24:25]
.LBB1028_118:
	s_or_b64 exec, exec, s[22:23]
	v_add_u32_e32 v11, v27, v11
	v_add_u32_e32 v34, v33, v51
	v_sub_u32_e32 v51, v11, v33
	v_cmp_le_u32_e64 s[20:21], v34, v27
	v_cmp_le_u32_e64 s[22:23], v51, v28
	s_or_b64 s[20:21], s[20:21], s[22:23]
	s_and_saveexec_b64 s[60:61], s[20:21]
	s_cbranch_execz .LBB1028_124
; %bb.119:
	v_cmp_lt_u32_e64 s[20:21], v34, v27
                                        ; implicit-def: $vgpr11
	s_and_saveexec_b64 s[22:23], s[20:21]
; %bb.120:
	v_lshl_add_u32 v4, v33, 1, v29
	ds_read_u16 v11, v4
; %bb.121:
	s_or_b64 exec, exec, s[22:23]
	v_cmp_ge_u32_e64 s[22:23], v51, v28
	v_cmp_lt_u32_e64 s[24:25], v51, v28
                                        ; implicit-def: $vgpr24
	s_and_saveexec_b64 s[28:29], s[24:25]
; %bb.122:
	v_lshl_add_u32 v4, v51, 1, v26
	ds_read_u16 v24, v4
; %bb.123:
	s_or_b64 exec, exec, s[28:29]
	s_waitcnt lgkmcnt(0)
	v_and_b32_e32 v4, v24, v31
	v_and_b32_e32 v5, v11, v31
	v_cmp_le_i16_e64 s[24:25], v5, v4
	s_and_b64 s[20:21], s[20:21], s[24:25]
	s_or_b64 s[20:21], s[22:23], s[20:21]
	v_cndmask_b32_e64 v4, v51, v34, s[20:21]
	v_cndmask_b32_e64 v5, v28, v27, s[20:21]
	v_add_u32_e32 v8, 1, v4
	v_add_u32_e32 v5, -1, v5
	v_min_u32_e32 v5, v8, v5
	v_lshl_add_u32 v5, v5, 1, v26
	ds_read_u16 v5, v5
	v_lshl_add_u32 v4, v4, 3, v10
	s_waitcnt lgkmcnt(0)
	v_cndmask_b32_e64 v25, v5, v24, s[20:21]
	v_cndmask_b32_e64 v29, v11, v5, s[20:21]
	;; [unrolled: 1-line block ×4, first 2 shown]
	v_and_b32_e32 v9, v25, v31
	v_and_b32_e32 v14, v29, v31
	v_cmp_lt_u32_e64 s[24:25], v8, v27
	v_cmp_le_i16_e64 s[28:29], v14, v9
	v_cmp_ge_u32_e64 s[22:23], v5, v28
	s_and_b64 s[24:25], s[24:25], s[28:29]
	s_or_b64 s[22:23], s[22:23], s[24:25]
	v_cndmask_b32_e64 v9, v5, v8, s[22:23]
	v_cndmask_b32_e64 v14, v28, v27, s[22:23]
	v_add_u32_e32 v15, 1, v9
	v_add_u32_e32 v14, -1, v14
	v_min_u32_e32 v14, v15, v14
	v_lshl_add_u32 v14, v14, 1, v26
	ds_read_u16 v14, v14
	v_cndmask_b32_e64 v5, v15, v5, s[22:23]
	v_cndmask_b32_e64 v8, v8, v15, s[22:23]
	v_cmp_lt_u32_e64 s[28:29], v8, v27
	v_cmp_ge_u32_e64 s[24:25], v5, v28
	s_waitcnt lgkmcnt(0)
	v_cndmask_b32_e64 v33, v14, v25, s[22:23]
	v_cndmask_b32_e64 v34, v29, v14, s[22:23]
	v_and_b32_e32 v14, v33, v31
	v_and_b32_e32 v15, v34, v31
	v_cmp_le_i16_e64 s[40:41], v15, v14
	s_and_b64 s[28:29], s[28:29], s[40:41]
	s_or_b64 s[24:25], s[24:25], s[28:29]
	v_cndmask_b32_e64 v14, v5, v8, s[24:25]
	v_cndmask_b32_e64 v15, v28, v27, s[24:25]
	v_add_u32_e32 v16, 1, v14
	v_add_u32_e32 v15, -1, v15
	v_min_u32_e32 v15, v16, v15
	v_lshl_add_u32 v15, v15, 1, v26
	ds_read_u16 v15, v15
	v_lshl_add_u32 v14, v14, 3, v10
	v_cndmask_b32_e64 v39, v33, v34, s[24:25]
	s_waitcnt lgkmcnt(0)
	v_cndmask_b32_e64 v36, v15, v33, s[24:25]
	v_cndmask_b32_e64 v37, v34, v15, s[24:25]
	v_cndmask_b32_e64 v15, v16, v5, s[24:25]
	v_cndmask_b32_e64 v16, v8, v16, s[24:25]
	v_and_b32_e32 v5, v36, v31
	v_and_b32_e32 v8, v37, v31
	v_cmp_lt_u32_e64 s[40:41], v16, v27
	v_cmp_le_i16_e64 s[42:43], v8, v5
	v_cmp_ge_u32_e64 s[28:29], v15, v28
	s_and_b64 s[40:41], s[40:41], s[42:43]
	s_or_b64 s[28:29], s[28:29], s[40:41]
	v_cndmask_b32_e64 v17, v15, v16, s[28:29]
	v_cndmask_b32_e64 v5, v28, v27, s[28:29]
	v_add_u32_e32 v18, 1, v17
	v_add_u32_e32 v5, -1, v5
	v_min_u32_e32 v5, v18, v5
	v_lshl_add_u32 v5, v5, 1, v26
	ds_read_u16 v19, v5
	v_lshl_add_u32 v8, v9, 3, v10
	ds_read_b64 v[4:5], v4 offset:4096
	ds_read_b64 v[8:9], v8 offset:4096
	v_cndmask_b32_e64 v49, v36, v37, s[28:29]
	s_waitcnt lgkmcnt(2)
	v_cndmask_b32_e64 v48, v19, v36, s[28:29]
	v_cndmask_b32_e64 v50, v37, v19, s[28:29]
	v_cndmask_b32_e64 v19, v18, v15, s[28:29]
	v_cndmask_b32_e64 v18, v16, v18, s[28:29]
	v_and_b32_e32 v15, v48, v31
	v_and_b32_e32 v16, v50, v31
	v_cmp_lt_u32_e64 s[42:43], v18, v27
	v_cmp_le_i16_e64 s[44:45], v16, v15
	v_cmp_ge_u32_e64 s[40:41], v19, v28
	s_and_b64 s[42:43], s[42:43], s[44:45]
	s_or_b64 s[40:41], s[40:41], s[42:43]
	v_cndmask_b32_e64 v20, v19, v18, s[40:41]
	v_cndmask_b32_e64 v15, v28, v27, s[40:41]
	v_add_u32_e32 v21, 1, v20
	v_add_u32_e32 v15, -1, v15
	v_min_u32_e32 v15, v21, v15
	v_lshl_add_u32 v15, v15, 1, v26
	ds_read_u16 v22, v15
	v_cndmask_b32_e64 v19, v21, v19, s[40:41]
	v_cndmask_b32_e64 v18, v18, v21, s[40:41]
	v_cmp_lt_u32_e64 s[44:45], v18, v27
	v_cmp_ge_u32_e64 s[42:43], v19, v28
	s_waitcnt lgkmcnt(0)
	v_cndmask_b32_e64 v51, v22, v48, s[40:41]
	v_cndmask_b32_e64 v52, v50, v22, s[40:41]
	v_and_b32_e32 v21, v51, v31
	v_and_b32_e32 v22, v52, v31
	v_cmp_le_i16_e64 s[46:47], v22, v21
	s_and_b64 s[44:45], s[44:45], s[46:47]
	s_or_b64 s[42:43], s[42:43], s[44:45]
	v_cndmask_b32_e64 v22, v19, v18, s[42:43]
	v_cndmask_b32_e64 v21, v28, v27, s[42:43]
	v_add_u32_e32 v35, 1, v22
	v_add_u32_e32 v21, -1, v21
	v_min_u32_e32 v21, v35, v21
	v_lshl_add_u32 v21, v21, 1, v26
	ds_read_u16 v38, v21
	v_cndmask_b32_e64 v55, v35, v19, s[42:43]
	v_cndmask_b32_e64 v64, v18, v35, s[42:43]
	v_cmp_lt_u32_e64 s[46:47], v64, v27
	v_cmp_ge_u32_e64 s[44:45], v55, v28
	s_waitcnt lgkmcnt(0)
	v_cndmask_b32_e64 v53, v38, v51, s[42:43]
	v_cndmask_b32_e64 v54, v52, v38, s[42:43]
	v_and_b32_e32 v18, v53, v31
	v_and_b32_e32 v19, v54, v31
	v_cmp_le_i16_e64 s[56:57], v19, v18
	s_and_b64 s[46:47], s[46:47], s[56:57]
	s_or_b64 s[44:45], s[44:45], s[46:47]
	v_cndmask_b32_e64 v18, v55, v64, s[44:45]
	v_cndmask_b32_e64 v19, v28, v27, s[44:45]
	v_lshl_add_u32 v35, v18, 3, v10
	v_add_u32_e32 v65, 1, v18
	v_add_u32_e32 v18, -1, v19
	v_min_u32_e32 v18, v65, v18
	v_lshl_add_u32 v16, v17, 3, v10
	v_lshl_add_u32 v20, v20, 3, v10
	;; [unrolled: 1-line block ×4, first 2 shown]
	ds_read_b64 v[14:15], v14 offset:4096
	ds_read_b64 v[16:17], v16 offset:4096
	;; [unrolled: 1-line block ×5, first 2 shown]
	ds_read_u16 v26, v26
	v_cndmask_b32_e64 v35, v24, v11, s[20:21]
	v_cndmask_b32_e64 v38, v25, v29, s[22:23]
	;; [unrolled: 1-line block ×4, first 2 shown]
	s_waitcnt lgkmcnt(0)
	v_cndmask_b32_e64 v11, v26, v53, s[44:45]
	v_cndmask_b32_e64 v26, v54, v26, s[44:45]
	v_cmp_ge_u32_e64 s[20:21], v24, v28
	v_cmp_lt_u32_e64 s[22:23], v25, v27
	v_and_b32_e32 v27, v11, v31
	v_and_b32_e32 v28, v26, v31
	v_cmp_le_i16_e64 s[24:25], v28, v27
	s_and_b64 s[22:23], s[22:23], s[24:25]
	s_or_b64 s[20:21], s[20:21], s[22:23]
	v_cndmask_b32_e64 v24, v24, v25, s[20:21]
	v_lshl_add_u32 v10, v24, 3, v10
	ds_read_b64 v[24:25], v10 offset:4096
	v_cndmask_b32_e64 v48, v48, v50, s[40:41]
	v_cndmask_b32_e64 v37, v51, v52, s[42:43]
	;; [unrolled: 1-line block ×4, first 2 shown]
.LBB1028_124:
	s_or_b64 exec, exec, s[60:61]
	; wave barrier
	s_waitcnt lgkmcnt(0)
	s_barrier
                                        ; implicit-def: $vgpr33
                                        ; implicit-def: $vgpr34
                                        ; implicit-def: $vgpr31
                                        ; implicit-def: $vgpr26
                                        ; implicit-def: $vgpr27
.LBB1028_125:
	s_andn2_saveexec_b64 s[46:47], s[58:59]
	s_cbranch_execz .LBB1028_225
; %bb.126:
	s_load_dwordx2 s[20:21], s[8:9], 0x0
	v_mov_b32_e32 v10, 0
	s_waitcnt lgkmcnt(0)
	s_cmp_lt_u32 s13, s21
	s_cselect_b32 s13, 14, 20
	s_add_u32 s22, s8, s13
	s_addc_u32 s23, s9, 0
	s_cmp_lt_u32 s12, s20
	s_cselect_b32 s12, 12, 18
	s_add_u32 s8, s8, s12
	s_addc_u32 s9, s9, 0
	global_load_ushort v11, v10, s[22:23]
	global_load_ushort v28, v10, s[8:9]
	s_movk_i32 s8, 0x800
	s_waitcnt vmcnt(0)
	v_mad_u32_u24 v10, v27, v11, v26
	v_mul_lo_u32 v10, v10, v28
	v_and_b32_e32 v11, 0x3ff, v31
	v_add_lshl_u32 v31, v10, v11, 3
	v_cmp_gt_u32_e64 s[8:9], s8, v31
	s_and_saveexec_b64 s[12:13], s[8:9]
	s_cbranch_execz .LBB1028_184
; %bb.127:
	v_mov_b32_e32 v27, v9
	v_cmp_gt_i16_e64 s[8:9], v35, v38
	v_mov_b32_e32 v51, v38
	v_mov_b32_e32 v26, v8
	s_and_saveexec_b64 s[20:21], s[8:9]
; %bb.128:
	v_mov_b32_e32 v27, v5
	v_mov_b32_e32 v26, v4
	v_mov_b32_e32 v4, v8
	v_mov_b32_e32 v51, v35
	v_mov_b32_e32 v35, v38
	v_mov_b32_e32 v5, v9
; %bb.129:
	s_or_b64 exec, exec, s[20:21]
	v_mov_b32_e32 v29, v17
	v_cmp_gt_i16_e64 s[8:9], v39, v49
	v_mov_b32_e32 v53, v49
	v_mov_b32_e32 v28, v16
	s_and_saveexec_b64 s[20:21], s[8:9]
; %bb.130:
	v_mov_b32_e32 v29, v15
	v_mov_b32_e32 v28, v14
	v_mov_b32_e32 v14, v16
	v_mov_b32_e32 v53, v39
	v_mov_b32_e32 v39, v49
	v_mov_b32_e32 v15, v17
; %bb.131:
	s_or_b64 exec, exec, s[20:21]
	;; [unrolled: 14-line block ×4, first 2 shown]
	v_mov_b32_e32 v23, v15
	v_cmp_gt_i16_e64 s[8:9], v51, v39
	v_mov_b32_e32 v38, v39
	v_mov_b32_e32 v22, v14
	s_and_saveexec_b64 s[20:21], s[8:9]
	s_xor_b64 s[8:9], exec, s[20:21]
; %bb.136:
	v_mov_b32_e32 v22, v26
	v_mov_b32_e32 v23, v27
	v_mov_b32_e32 v27, v15
	v_mov_b32_e32 v38, v51
	v_mov_b32_e32 v51, v39
	v_mov_b32_e32 v26, v14
; %bb.137:
	s_or_b64 exec, exec, s[8:9]
	v_mov_b32_e32 v25, v21
	v_cmp_gt_i16_e64 s[8:9], v53, v52
	v_mov_b32_e32 v16, v53
	v_mov_b32_e32 v24, v20
	s_and_saveexec_b64 s[20:21], s[8:9]
; %bb.138:
	v_mov_b32_e32 v24, v28
	v_mov_b32_e32 v25, v29
	v_mov_b32_e32 v29, v21
	v_mov_b32_e32 v16, v52
	v_mov_b32_e32 v28, v20
	v_mov_b32_e32 v52, v53
; %bb.139:
	s_or_b64 exec, exec, s[20:21]
	v_mov_b32_e32 v14, v18
	v_cmp_gt_i16_e64 s[8:9], v37, v48
	v_mov_b32_e32 v15, v19
	v_mov_b32_e32 v49, v37
	s_and_saveexec_b64 s[20:21], s[8:9]
	;; [unrolled: 14-line block ×23, first 2 shown]
; %bb.182:
	v_mov_b32_e32 v23, v19
	v_mov_b32_e32 v22, v18
	;; [unrolled: 1-line block ×6, first 2 shown]
; %bb.183:
	s_or_b64 exec, exec, s[20:21]
.LBB1028_184:
	s_or_b64 exec, exec, s[12:13]
	v_and_b32_e32 v27, 0xfffffe00, v31
	v_lshlrev_b32_e32 v26, 1, v27
	v_mad_u64_u32 v[10:11], s[8:9], v27, 6, v[26:27]
	s_movk_i32 s8, 0x800
	v_sub_u32_e64 v11, s8, v27 clamp
	v_lshl_add_u32 v28, v33, 3, v10
	v_add_u32_e32 v29, 0x1000, v28
	ds_write2_b64 v29, v[4:5], v[8:9] offset1:1
	v_add_u32_e32 v29, 0x1010, v28
	ds_write2_b64 v29, v[14:15], v[16:17] offset1:1
	v_add_u32_e32 v29, 0x1020, v28
	s_mov_b32 s8, 0x5040100
	v_lshl_add_u32 v27, v33, 1, v26
	ds_write2_b64 v29, v[20:21], v[22:23] offset1:1
	v_add_u32_e32 v29, 0x1030, v28
	v_perm_b32 v52, v36, v50, s8
	v_perm_b32 v51, v37, v48, s8
	;; [unrolled: 1-line block ×4, first 2 shown]
	ds_write2_b64 v27, v[53:54], v[51:52] offset1:1
	ds_write2_b64 v29, v[18:19], v[24:25] offset1:1
	v_or_b32_e32 v29, 8, v33
	v_min_u32_e32 v29, v11, v29
	v_add_u32_e32 v31, 8, v29
	v_and_b32_e32 v53, 0x3f0, v33
	v_min_u32_e32 v31, v11, v31
	v_and_b32_e32 v51, 8, v33
	v_min_u32_e32 v54, v11, v51
	v_sub_u32_e32 v51, v31, v29
	v_sub_u32_e32 v52, v29, v53
	v_sub_u32_e64 v51, v54, v51 clamp
	v_min_u32_e32 v55, v54, v52
	v_cmp_lt_u32_e64 s[8:9], v51, v55
	v_lshl_add_u32 v52, v53, 1, v26
	; wave barrier
	s_and_saveexec_b64 s[12:13], s[8:9]
	s_cbranch_execz .LBB1028_188
; %bb.185:
	v_lshlrev_b32_e32 v64, 1, v29
	v_lshlrev_b32_e32 v65, 1, v54
	v_add3_u32 v64, v26, v64, v65
	s_mov_b64 s[20:21], 0
.LBB1028_186:                           ; =>This Inner Loop Header: Depth=1
	v_add_u32_e32 v65, v55, v51
	v_lshrrev_b32_e32 v66, 1, v65
	v_and_b32_e32 v65, -2, v65
	v_not_b32_e32 v67, v66
	v_add_u32_e32 v65, v52, v65
	v_lshl_add_u32 v67, v67, 1, v64
	ds_read_u16 v65, v65
	ds_read_u16 v67, v67
	v_add_u32_e32 v68, 1, v66
	s_waitcnt lgkmcnt(0)
	v_cmp_gt_i16_e64 s[8:9], v65, v67
	v_cndmask_b32_e64 v55, v55, v66, s[8:9]
	v_cndmask_b32_e64 v51, v68, v51, s[8:9]
	v_cmp_ge_u32_e64 s[8:9], v51, v55
	s_or_b64 s[20:21], s[8:9], s[20:21]
	s_andn2_b64 exec, exec, s[20:21]
	s_cbranch_execnz .LBB1028_186
; %bb.187:
	s_or_b64 exec, exec, s[20:21]
.LBB1028_188:
	s_or_b64 exec, exec, s[12:13]
	v_add_u32_e32 v54, v29, v54
	v_add_u32_e32 v53, v51, v53
	v_sub_u32_e32 v54, v54, v51
	v_cmp_le_u32_e64 s[8:9], v53, v29
	v_cmp_le_u32_e64 s[12:13], v54, v31
	s_or_b64 s[8:9], s[8:9], s[12:13]
	s_and_saveexec_b64 s[56:57], s[8:9]
	s_cbranch_execz .LBB1028_194
; %bb.189:
	v_cmp_lt_u32_e64 s[8:9], v53, v29
                                        ; implicit-def: $vgpr24
	s_and_saveexec_b64 s[12:13], s[8:9]
; %bb.190:
	v_lshl_add_u32 v4, v51, 1, v52
	ds_read_u16 v24, v4
; %bb.191:
	s_or_b64 exec, exec, s[12:13]
	v_cmp_ge_u32_e64 s[20:21], v54, v31
	v_cmp_lt_u32_e64 s[12:13], v54, v31
                                        ; implicit-def: $vgpr25
	s_and_saveexec_b64 s[22:23], s[12:13]
; %bb.192:
	v_lshl_add_u32 v4, v54, 1, v26
	ds_read_u16 v25, v4
; %bb.193:
	s_or_b64 exec, exec, s[22:23]
	s_waitcnt lgkmcnt(0)
	v_cmp_le_i16_e64 s[12:13], v24, v25
	s_and_b64 s[8:9], s[8:9], s[12:13]
	s_or_b64 s[8:9], s[20:21], s[8:9]
	v_cndmask_b32_e64 v4, v54, v53, s[8:9]
	v_cndmask_b32_e64 v5, v31, v29, s[8:9]
	v_add_u32_e32 v8, 1, v4
	v_add_u32_e32 v5, -1, v5
	v_min_u32_e32 v5, v8, v5
	v_lshl_add_u32 v5, v5, 1, v26
	ds_read_u16 v5, v5
	v_cndmask_b32_e64 v9, v8, v54, s[8:9]
	v_cmp_ge_u32_e64 s[12:13], v9, v31
	v_lshl_add_u32 v4, v4, 3, v10
	s_waitcnt lgkmcnt(0)
	v_cndmask_b32_e64 v36, v5, v25, s[8:9]
	v_cndmask_b32_e64 v37, v24, v5, s[8:9]
	;; [unrolled: 1-line block ×3, first 2 shown]
	v_cmp_lt_u32_e64 s[20:21], v5, v29
	v_cmp_le_i16_e64 s[22:23], v37, v36
	s_and_b64 s[20:21], s[20:21], s[22:23]
	s_or_b64 s[20:21], s[12:13], s[20:21]
	v_cndmask_b32_e64 v8, v9, v5, s[20:21]
	v_cndmask_b32_e64 v14, v31, v29, s[20:21]
	v_add_u32_e32 v15, 1, v8
	v_add_u32_e32 v14, -1, v14
	v_min_u32_e32 v14, v15, v14
	v_lshl_add_u32 v14, v14, 1, v26
	ds_read_u16 v14, v14
	v_cndmask_b32_e64 v5, v5, v15, s[20:21]
	v_cndmask_b32_e64 v9, v15, v9, s[20:21]
	v_cmp_lt_u32_e64 s[22:23], v5, v29
	v_cmp_ge_u32_e64 s[12:13], v9, v31
	s_waitcnt lgkmcnt(0)
	v_cndmask_b32_e64 v39, v14, v36, s[20:21]
	v_cndmask_b32_e64 v48, v37, v14, s[20:21]
	v_cmp_le_i16_e64 s[24:25], v48, v39
	s_and_b64 s[22:23], s[22:23], s[24:25]
	s_or_b64 s[22:23], s[12:13], s[22:23]
	v_cndmask_b32_e64 v14, v9, v5, s[22:23]
	v_cndmask_b32_e64 v15, v31, v29, s[22:23]
	v_add_u32_e32 v16, 1, v14
	v_add_u32_e32 v15, -1, v15
	v_min_u32_e32 v15, v16, v15
	v_lshl_add_u32 v15, v15, 1, v26
	ds_read_u16 v15, v15
	v_lshl_add_u32 v8, v8, 3, v10
	v_lshl_add_u32 v14, v14, 3, v10
	s_waitcnt lgkmcnt(0)
	v_cndmask_b32_e64 v49, v15, v39, s[22:23]
	v_cndmask_b32_e64 v50, v48, v15, s[22:23]
	;; [unrolled: 1-line block ×4, first 2 shown]
	v_cmp_lt_u32_e64 s[24:25], v16, v29
	v_cmp_le_i16_e64 s[28:29], v50, v49
	v_cmp_ge_u32_e64 s[12:13], v15, v31
	s_and_b64 s[24:25], s[24:25], s[28:29]
	s_or_b64 s[12:13], s[12:13], s[24:25]
	v_cndmask_b32_e64 v17, v15, v16, s[12:13]
	v_cndmask_b32_e64 v5, v31, v29, s[12:13]
	v_add_u32_e32 v18, 1, v17
	v_add_u32_e32 v5, -1, v5
	v_min_u32_e32 v5, v18, v5
	v_lshl_add_u32 v5, v5, 1, v26
	ds_read_u16 v19, v5
	ds_read_b64 v[4:5], v4 offset:4096
	ds_read_b64 v[8:9], v8 offset:4096
	v_cndmask_b32_e64 v39, v39, v48, s[22:23]
	s_waitcnt lgkmcnt(2)
	v_cndmask_b32_e64 v51, v19, v49, s[12:13]
	v_cndmask_b32_e64 v52, v50, v19, s[12:13]
	;; [unrolled: 1-line block ×4, first 2 shown]
	v_cmp_lt_u32_e64 s[28:29], v18, v29
	v_cmp_le_i16_e64 s[40:41], v52, v51
	v_cmp_ge_u32_e64 s[24:25], v19, v31
	s_and_b64 s[28:29], s[28:29], s[40:41]
	s_or_b64 s[24:25], s[24:25], s[28:29]
	v_cndmask_b32_e64 v20, v19, v18, s[24:25]
	v_cndmask_b32_e64 v15, v31, v29, s[24:25]
	v_add_u32_e32 v21, 1, v20
	v_add_u32_e32 v15, -1, v15
	v_min_u32_e32 v15, v21, v15
	v_lshl_add_u32 v15, v15, 1, v26
	ds_read_u16 v22, v15
	v_cndmask_b32_e64 v18, v18, v21, s[24:25]
	v_cndmask_b32_e64 v19, v21, v19, s[24:25]
	v_cmp_lt_u32_e64 s[40:41], v18, v29
	v_cmp_ge_u32_e64 s[28:29], v19, v31
	s_waitcnt lgkmcnt(0)
	v_cndmask_b32_e64 v53, v22, v51, s[24:25]
	v_cndmask_b32_e64 v54, v52, v22, s[24:25]
	v_cmp_le_i16_e64 s[42:43], v54, v53
	s_and_b64 s[40:41], s[40:41], s[42:43]
	s_or_b64 s[28:29], s[28:29], s[40:41]
	v_cndmask_b32_e64 v22, v19, v18, s[28:29]
	v_cndmask_b32_e64 v21, v31, v29, s[28:29]
	v_add_u32_e32 v35, 1, v22
	v_add_u32_e32 v21, -1, v21
	v_min_u32_e32 v21, v35, v21
	v_lshl_add_u32 v21, v21, 1, v26
	ds_read_u16 v38, v21
	v_cndmask_b32_e64 v66, v18, v35, s[28:29]
	v_cndmask_b32_e64 v65, v35, v19, s[28:29]
	v_cmp_lt_u32_e64 s[42:43], v66, v29
	v_cmp_ge_u32_e64 s[40:41], v65, v31
	s_waitcnt lgkmcnt(0)
	v_cndmask_b32_e64 v55, v38, v53, s[28:29]
	v_cndmask_b32_e64 v64, v54, v38, s[28:29]
	v_cmp_le_i16_e64 s[44:45], v64, v55
	s_and_b64 s[42:43], s[42:43], s[44:45]
	s_or_b64 s[40:41], s[40:41], s[42:43]
	v_cndmask_b32_e64 v18, v65, v66, s[40:41]
	v_cndmask_b32_e64 v19, v31, v29, s[40:41]
	v_lshl_add_u32 v35, v18, 3, v10
	v_add_u32_e32 v67, 1, v18
	v_add_u32_e32 v18, -1, v19
	v_lshl_add_u32 v16, v17, 3, v10
	v_lshl_add_u32 v20, v20, 3, v10
	;; [unrolled: 1-line block ×3, first 2 shown]
	v_min_u32_e32 v18, v67, v18
	ds_read_b64 v[14:15], v14 offset:4096
	ds_read_b64 v[16:17], v16 offset:4096
	;; [unrolled: 1-line block ×4, first 2 shown]
	v_lshl_add_u32 v38, v18, 1, v26
	ds_read_b64 v[18:19], v35 offset:4096
	ds_read_u16 v68, v38
	v_cndmask_b32_e64 v35, v25, v24, s[8:9]
	v_cndmask_b32_e64 v38, v36, v37, s[20:21]
	;; [unrolled: 1-line block ×4, first 2 shown]
	s_waitcnt lgkmcnt(0)
	v_cndmask_b32_e64 v36, v68, v55, s[40:41]
	v_cndmask_b32_e64 v68, v64, v68, s[40:41]
	;; [unrolled: 1-line block ×3, first 2 shown]
	v_cmp_lt_u32_e64 s[12:13], v25, v29
	v_cmp_le_i16_e64 s[20:21], v68, v36
	v_cmp_ge_u32_e64 s[8:9], v24, v31
	s_and_b64 s[12:13], s[12:13], s[20:21]
	s_or_b64 s[8:9], s[8:9], s[12:13]
	v_cndmask_b32_e64 v24, v24, v25, s[8:9]
	v_lshl_add_u32 v24, v24, 3, v10
	ds_read_b64 v[24:25], v24 offset:4096
	v_cndmask_b32_e64 v48, v51, v52, s[24:25]
	v_cndmask_b32_e64 v37, v53, v54, s[28:29]
	v_cndmask_b32_e64 v50, v55, v64, s[40:41]
	v_cndmask_b32_e64 v36, v36, v68, s[8:9]
.LBB1028_194:
	s_or_b64 exec, exec, s[56:57]
	v_add_u32_e32 v29, 0x1000, v28
	; wave barrier
	ds_write2_b64 v29, v[4:5], v[8:9] offset1:1
	v_add_u32_e32 v29, 0x1010, v28
	s_mov_b32 s8, 0x5040100
	ds_write2_b64 v29, v[14:15], v[16:17] offset1:1
	v_add_u32_e32 v29, 0x1020, v28
	v_perm_b32 v52, v36, v50, s8
	v_perm_b32 v51, v37, v48, s8
	;; [unrolled: 1-line block ×4, first 2 shown]
	ds_write2_b64 v29, v[20:21], v[22:23] offset1:1
	v_add_u32_e32 v29, 0x1030, v28
	ds_write2_b64 v27, v[53:54], v[51:52] offset1:1
	s_waitcnt lgkmcnt(4)
	ds_write2_b64 v29, v[18:19], v[24:25] offset1:1
	v_and_b32_e32 v53, 0x3e0, v33
	v_or_b32_e32 v29, 16, v53
	v_min_u32_e32 v29, v11, v29
	v_add_u32_e32 v31, 16, v29
	v_min_u32_e32 v31, v11, v31
	v_and_b32_e32 v51, 24, v33
	v_min_u32_e32 v54, v11, v51
	v_sub_u32_e32 v55, v29, v53
	v_sub_u32_e32 v52, v31, v29
	v_sub_u32_e64 v52, v54, v52 clamp
	v_min_u32_e32 v55, v54, v55
	v_lshl_add_u32 v51, v53, 1, v26
	v_cmp_lt_u32_e64 s[8:9], v52, v55
	; wave barrier
	s_and_saveexec_b64 s[12:13], s[8:9]
	s_cbranch_execz .LBB1028_198
; %bb.195:
	v_lshlrev_b32_e32 v64, 1, v29
	v_lshlrev_b32_e32 v65, 1, v54
	v_add3_u32 v64, v26, v64, v65
	s_mov_b64 s[20:21], 0
.LBB1028_196:                           ; =>This Inner Loop Header: Depth=1
	v_add_u32_e32 v65, v55, v52
	v_lshrrev_b32_e32 v66, 1, v65
	v_and_b32_e32 v65, -2, v65
	v_not_b32_e32 v67, v66
	v_add_u32_e32 v65, v51, v65
	v_lshl_add_u32 v67, v67, 1, v64
	ds_read_u16 v65, v65
	ds_read_u16 v67, v67
	v_add_u32_e32 v68, 1, v66
	s_waitcnt lgkmcnt(0)
	v_cmp_gt_i16_e64 s[8:9], v65, v67
	v_cndmask_b32_e64 v55, v55, v66, s[8:9]
	v_cndmask_b32_e64 v52, v68, v52, s[8:9]
	v_cmp_ge_u32_e64 s[8:9], v52, v55
	s_or_b64 s[20:21], s[8:9], s[20:21]
	s_andn2_b64 exec, exec, s[20:21]
	s_cbranch_execnz .LBB1028_196
; %bb.197:
	s_or_b64 exec, exec, s[20:21]
.LBB1028_198:
	s_or_b64 exec, exec, s[12:13]
	v_add_u32_e32 v54, v29, v54
	v_add_u32_e32 v53, v52, v53
	v_sub_u32_e32 v54, v54, v52
	v_cmp_le_u32_e64 s[8:9], v53, v29
	v_cmp_le_u32_e64 s[12:13], v54, v31
	s_or_b64 s[8:9], s[8:9], s[12:13]
	s_and_saveexec_b64 s[56:57], s[8:9]
	s_cbranch_execz .LBB1028_204
; %bb.199:
	v_cmp_lt_u32_e64 s[8:9], v53, v29
                                        ; implicit-def: $vgpr24
	s_and_saveexec_b64 s[12:13], s[8:9]
; %bb.200:
	v_lshl_add_u32 v4, v52, 1, v51
	ds_read_u16 v24, v4
; %bb.201:
	s_or_b64 exec, exec, s[12:13]
	v_cmp_ge_u32_e64 s[20:21], v54, v31
	v_cmp_lt_u32_e64 s[12:13], v54, v31
                                        ; implicit-def: $vgpr25
	s_and_saveexec_b64 s[22:23], s[12:13]
; %bb.202:
	v_lshl_add_u32 v4, v54, 1, v26
	ds_read_u16 v25, v4
; %bb.203:
	s_or_b64 exec, exec, s[22:23]
	s_waitcnt lgkmcnt(0)
	v_cmp_le_i16_e64 s[12:13], v24, v25
	s_and_b64 s[8:9], s[8:9], s[12:13]
	s_or_b64 s[8:9], s[20:21], s[8:9]
	v_cndmask_b32_e64 v4, v54, v53, s[8:9]
	v_cndmask_b32_e64 v5, v31, v29, s[8:9]
	v_add_u32_e32 v8, 1, v4
	v_add_u32_e32 v5, -1, v5
	v_min_u32_e32 v5, v8, v5
	v_lshl_add_u32 v5, v5, 1, v26
	ds_read_u16 v5, v5
	v_cndmask_b32_e64 v9, v8, v54, s[8:9]
	v_cmp_ge_u32_e64 s[12:13], v9, v31
	v_lshl_add_u32 v4, v4, 3, v10
	s_waitcnt lgkmcnt(0)
	v_cndmask_b32_e64 v36, v5, v25, s[8:9]
	v_cndmask_b32_e64 v37, v24, v5, s[8:9]
	;; [unrolled: 1-line block ×3, first 2 shown]
	v_cmp_lt_u32_e64 s[20:21], v5, v29
	v_cmp_le_i16_e64 s[22:23], v37, v36
	s_and_b64 s[20:21], s[20:21], s[22:23]
	s_or_b64 s[20:21], s[12:13], s[20:21]
	v_cndmask_b32_e64 v8, v9, v5, s[20:21]
	v_cndmask_b32_e64 v14, v31, v29, s[20:21]
	v_add_u32_e32 v15, 1, v8
	v_add_u32_e32 v14, -1, v14
	v_min_u32_e32 v14, v15, v14
	v_lshl_add_u32 v14, v14, 1, v26
	ds_read_u16 v14, v14
	v_cndmask_b32_e64 v5, v5, v15, s[20:21]
	v_cndmask_b32_e64 v9, v15, v9, s[20:21]
	v_cmp_lt_u32_e64 s[22:23], v5, v29
	v_cmp_ge_u32_e64 s[12:13], v9, v31
	s_waitcnt lgkmcnt(0)
	v_cndmask_b32_e64 v39, v14, v36, s[20:21]
	v_cndmask_b32_e64 v48, v37, v14, s[20:21]
	v_cmp_le_i16_e64 s[24:25], v48, v39
	s_and_b64 s[22:23], s[22:23], s[24:25]
	s_or_b64 s[22:23], s[12:13], s[22:23]
	v_cndmask_b32_e64 v14, v9, v5, s[22:23]
	v_cndmask_b32_e64 v15, v31, v29, s[22:23]
	v_add_u32_e32 v16, 1, v14
	v_add_u32_e32 v15, -1, v15
	v_min_u32_e32 v15, v16, v15
	v_lshl_add_u32 v15, v15, 1, v26
	ds_read_u16 v15, v15
	v_lshl_add_u32 v8, v8, 3, v10
	v_lshl_add_u32 v14, v14, 3, v10
	s_waitcnt lgkmcnt(0)
	v_cndmask_b32_e64 v49, v15, v39, s[22:23]
	v_cndmask_b32_e64 v50, v48, v15, s[22:23]
	;; [unrolled: 1-line block ×4, first 2 shown]
	v_cmp_lt_u32_e64 s[24:25], v16, v29
	v_cmp_le_i16_e64 s[28:29], v50, v49
	v_cmp_ge_u32_e64 s[12:13], v15, v31
	s_and_b64 s[24:25], s[24:25], s[28:29]
	s_or_b64 s[12:13], s[12:13], s[24:25]
	v_cndmask_b32_e64 v17, v15, v16, s[12:13]
	v_cndmask_b32_e64 v5, v31, v29, s[12:13]
	v_add_u32_e32 v18, 1, v17
	v_add_u32_e32 v5, -1, v5
	v_min_u32_e32 v5, v18, v5
	v_lshl_add_u32 v5, v5, 1, v26
	ds_read_u16 v19, v5
	ds_read_b64 v[4:5], v4 offset:4096
	ds_read_b64 v[8:9], v8 offset:4096
	v_cndmask_b32_e64 v39, v39, v48, s[22:23]
	s_waitcnt lgkmcnt(2)
	v_cndmask_b32_e64 v51, v19, v49, s[12:13]
	v_cndmask_b32_e64 v52, v50, v19, s[12:13]
	;; [unrolled: 1-line block ×4, first 2 shown]
	v_cmp_lt_u32_e64 s[28:29], v18, v29
	v_cmp_le_i16_e64 s[40:41], v52, v51
	v_cmp_ge_u32_e64 s[24:25], v19, v31
	s_and_b64 s[28:29], s[28:29], s[40:41]
	s_or_b64 s[24:25], s[24:25], s[28:29]
	v_cndmask_b32_e64 v20, v19, v18, s[24:25]
	v_cndmask_b32_e64 v15, v31, v29, s[24:25]
	v_add_u32_e32 v21, 1, v20
	v_add_u32_e32 v15, -1, v15
	v_min_u32_e32 v15, v21, v15
	v_lshl_add_u32 v15, v15, 1, v26
	ds_read_u16 v22, v15
	v_cndmask_b32_e64 v18, v18, v21, s[24:25]
	v_cndmask_b32_e64 v19, v21, v19, s[24:25]
	v_cmp_lt_u32_e64 s[40:41], v18, v29
	v_cmp_ge_u32_e64 s[28:29], v19, v31
	s_waitcnt lgkmcnt(0)
	v_cndmask_b32_e64 v53, v22, v51, s[24:25]
	v_cndmask_b32_e64 v54, v52, v22, s[24:25]
	v_cmp_le_i16_e64 s[42:43], v54, v53
	s_and_b64 s[40:41], s[40:41], s[42:43]
	s_or_b64 s[28:29], s[28:29], s[40:41]
	v_cndmask_b32_e64 v22, v19, v18, s[28:29]
	v_cndmask_b32_e64 v21, v31, v29, s[28:29]
	v_add_u32_e32 v35, 1, v22
	v_add_u32_e32 v21, -1, v21
	v_min_u32_e32 v21, v35, v21
	v_lshl_add_u32 v21, v21, 1, v26
	ds_read_u16 v38, v21
	v_cndmask_b32_e64 v66, v18, v35, s[28:29]
	v_cndmask_b32_e64 v65, v35, v19, s[28:29]
	v_cmp_lt_u32_e64 s[42:43], v66, v29
	v_cmp_ge_u32_e64 s[40:41], v65, v31
	s_waitcnt lgkmcnt(0)
	v_cndmask_b32_e64 v55, v38, v53, s[28:29]
	v_cndmask_b32_e64 v64, v54, v38, s[28:29]
	v_cmp_le_i16_e64 s[44:45], v64, v55
	s_and_b64 s[42:43], s[42:43], s[44:45]
	s_or_b64 s[40:41], s[40:41], s[42:43]
	v_cndmask_b32_e64 v18, v65, v66, s[40:41]
	v_cndmask_b32_e64 v19, v31, v29, s[40:41]
	v_lshl_add_u32 v35, v18, 3, v10
	v_add_u32_e32 v67, 1, v18
	v_add_u32_e32 v18, -1, v19
	v_lshl_add_u32 v16, v17, 3, v10
	v_lshl_add_u32 v20, v20, 3, v10
	;; [unrolled: 1-line block ×3, first 2 shown]
	v_min_u32_e32 v18, v67, v18
	ds_read_b64 v[14:15], v14 offset:4096
	ds_read_b64 v[16:17], v16 offset:4096
	;; [unrolled: 1-line block ×4, first 2 shown]
	v_lshl_add_u32 v38, v18, 1, v26
	ds_read_b64 v[18:19], v35 offset:4096
	ds_read_u16 v68, v38
	v_cndmask_b32_e64 v35, v25, v24, s[8:9]
	v_cndmask_b32_e64 v38, v36, v37, s[20:21]
	;; [unrolled: 1-line block ×4, first 2 shown]
	s_waitcnt lgkmcnt(0)
	v_cndmask_b32_e64 v36, v68, v55, s[40:41]
	v_cndmask_b32_e64 v68, v64, v68, s[40:41]
	v_cndmask_b32_e64 v24, v67, v65, s[40:41]
	v_cmp_lt_u32_e64 s[12:13], v25, v29
	v_cmp_le_i16_e64 s[20:21], v68, v36
	v_cmp_ge_u32_e64 s[8:9], v24, v31
	s_and_b64 s[12:13], s[12:13], s[20:21]
	s_or_b64 s[8:9], s[8:9], s[12:13]
	v_cndmask_b32_e64 v24, v24, v25, s[8:9]
	v_lshl_add_u32 v24, v24, 3, v10
	ds_read_b64 v[24:25], v24 offset:4096
	v_cndmask_b32_e64 v48, v51, v52, s[24:25]
	v_cndmask_b32_e64 v37, v53, v54, s[28:29]
	;; [unrolled: 1-line block ×4, first 2 shown]
.LBB1028_204:
	s_or_b64 exec, exec, s[56:57]
	v_add_u32_e32 v29, 0x1000, v28
	; wave barrier
	ds_write2_b64 v29, v[4:5], v[8:9] offset1:1
	v_add_u32_e32 v29, 0x1010, v28
	s_mov_b32 s8, 0x5040100
	ds_write2_b64 v29, v[14:15], v[16:17] offset1:1
	v_add_u32_e32 v29, 0x1020, v28
	v_perm_b32 v52, v36, v50, s8
	v_perm_b32 v51, v37, v48, s8
	;; [unrolled: 1-line block ×4, first 2 shown]
	ds_write2_b64 v29, v[20:21], v[22:23] offset1:1
	v_add_u32_e32 v29, 0x1030, v28
	ds_write2_b64 v27, v[53:54], v[51:52] offset1:1
	s_waitcnt lgkmcnt(4)
	ds_write2_b64 v29, v[18:19], v[24:25] offset1:1
	v_and_b32_e32 v53, 0x3c0, v33
	v_or_b32_e32 v29, 32, v53
	v_min_u32_e32 v29, v11, v29
	v_add_u32_e32 v31, 32, v29
	v_min_u32_e32 v31, v11, v31
	v_and_b32_e32 v51, 56, v33
	v_min_u32_e32 v54, v11, v51
	v_sub_u32_e32 v55, v29, v53
	v_sub_u32_e32 v52, v31, v29
	v_sub_u32_e64 v52, v54, v52 clamp
	v_min_u32_e32 v55, v54, v55
	v_lshl_add_u32 v51, v53, 1, v26
	v_cmp_lt_u32_e64 s[8:9], v52, v55
	; wave barrier
	s_and_saveexec_b64 s[12:13], s[8:9]
	s_cbranch_execz .LBB1028_208
; %bb.205:
	v_lshlrev_b32_e32 v64, 1, v29
	v_lshlrev_b32_e32 v65, 1, v54
	v_add3_u32 v64, v26, v64, v65
	s_mov_b64 s[20:21], 0
.LBB1028_206:                           ; =>This Inner Loop Header: Depth=1
	v_add_u32_e32 v65, v55, v52
	v_lshrrev_b32_e32 v66, 1, v65
	v_and_b32_e32 v65, -2, v65
	v_not_b32_e32 v67, v66
	v_add_u32_e32 v65, v51, v65
	v_lshl_add_u32 v67, v67, 1, v64
	ds_read_u16 v65, v65
	ds_read_u16 v67, v67
	v_add_u32_e32 v68, 1, v66
	s_waitcnt lgkmcnt(0)
	v_cmp_gt_i16_e64 s[8:9], v65, v67
	v_cndmask_b32_e64 v55, v55, v66, s[8:9]
	v_cndmask_b32_e64 v52, v68, v52, s[8:9]
	v_cmp_ge_u32_e64 s[8:9], v52, v55
	s_or_b64 s[20:21], s[8:9], s[20:21]
	s_andn2_b64 exec, exec, s[20:21]
	s_cbranch_execnz .LBB1028_206
; %bb.207:
	s_or_b64 exec, exec, s[20:21]
.LBB1028_208:
	s_or_b64 exec, exec, s[12:13]
	v_add_u32_e32 v54, v29, v54
	v_add_u32_e32 v53, v52, v53
	v_sub_u32_e32 v54, v54, v52
	v_cmp_le_u32_e64 s[8:9], v53, v29
	v_cmp_le_u32_e64 s[12:13], v54, v31
	s_or_b64 s[8:9], s[8:9], s[12:13]
	s_and_saveexec_b64 s[56:57], s[8:9]
	s_cbranch_execz .LBB1028_214
; %bb.209:
	v_cmp_lt_u32_e64 s[8:9], v53, v29
                                        ; implicit-def: $vgpr24
	s_and_saveexec_b64 s[12:13], s[8:9]
; %bb.210:
	v_lshl_add_u32 v4, v52, 1, v51
	ds_read_u16 v24, v4
; %bb.211:
	s_or_b64 exec, exec, s[12:13]
	v_cmp_ge_u32_e64 s[20:21], v54, v31
	v_cmp_lt_u32_e64 s[12:13], v54, v31
                                        ; implicit-def: $vgpr25
	s_and_saveexec_b64 s[22:23], s[12:13]
; %bb.212:
	v_lshl_add_u32 v4, v54, 1, v26
	ds_read_u16 v25, v4
; %bb.213:
	s_or_b64 exec, exec, s[22:23]
	s_waitcnt lgkmcnt(0)
	v_cmp_le_i16_e64 s[12:13], v24, v25
	s_and_b64 s[8:9], s[8:9], s[12:13]
	s_or_b64 s[8:9], s[20:21], s[8:9]
	v_cndmask_b32_e64 v4, v54, v53, s[8:9]
	v_cndmask_b32_e64 v5, v31, v29, s[8:9]
	v_add_u32_e32 v8, 1, v4
	v_add_u32_e32 v5, -1, v5
	v_min_u32_e32 v5, v8, v5
	v_lshl_add_u32 v5, v5, 1, v26
	ds_read_u16 v5, v5
	v_cndmask_b32_e64 v9, v8, v54, s[8:9]
	v_cmp_ge_u32_e64 s[12:13], v9, v31
	v_lshl_add_u32 v4, v4, 3, v10
	s_waitcnt lgkmcnt(0)
	v_cndmask_b32_e64 v36, v5, v25, s[8:9]
	v_cndmask_b32_e64 v37, v24, v5, s[8:9]
	;; [unrolled: 1-line block ×3, first 2 shown]
	v_cmp_lt_u32_e64 s[20:21], v5, v29
	v_cmp_le_i16_e64 s[22:23], v37, v36
	s_and_b64 s[20:21], s[20:21], s[22:23]
	s_or_b64 s[20:21], s[12:13], s[20:21]
	v_cndmask_b32_e64 v8, v9, v5, s[20:21]
	v_cndmask_b32_e64 v14, v31, v29, s[20:21]
	v_add_u32_e32 v15, 1, v8
	v_add_u32_e32 v14, -1, v14
	v_min_u32_e32 v14, v15, v14
	v_lshl_add_u32 v14, v14, 1, v26
	ds_read_u16 v14, v14
	v_cndmask_b32_e64 v5, v5, v15, s[20:21]
	v_cndmask_b32_e64 v9, v15, v9, s[20:21]
	v_cmp_lt_u32_e64 s[22:23], v5, v29
	v_cmp_ge_u32_e64 s[12:13], v9, v31
	s_waitcnt lgkmcnt(0)
	v_cndmask_b32_e64 v39, v14, v36, s[20:21]
	v_cndmask_b32_e64 v48, v37, v14, s[20:21]
	v_cmp_le_i16_e64 s[24:25], v48, v39
	s_and_b64 s[22:23], s[22:23], s[24:25]
	s_or_b64 s[22:23], s[12:13], s[22:23]
	v_cndmask_b32_e64 v14, v9, v5, s[22:23]
	v_cndmask_b32_e64 v15, v31, v29, s[22:23]
	v_add_u32_e32 v16, 1, v14
	v_add_u32_e32 v15, -1, v15
	v_min_u32_e32 v15, v16, v15
	v_lshl_add_u32 v15, v15, 1, v26
	ds_read_u16 v15, v15
	v_lshl_add_u32 v8, v8, 3, v10
	v_lshl_add_u32 v14, v14, 3, v10
	s_waitcnt lgkmcnt(0)
	v_cndmask_b32_e64 v49, v15, v39, s[22:23]
	v_cndmask_b32_e64 v50, v48, v15, s[22:23]
	;; [unrolled: 1-line block ×4, first 2 shown]
	v_cmp_lt_u32_e64 s[24:25], v16, v29
	v_cmp_le_i16_e64 s[28:29], v50, v49
	v_cmp_ge_u32_e64 s[12:13], v15, v31
	s_and_b64 s[24:25], s[24:25], s[28:29]
	s_or_b64 s[12:13], s[12:13], s[24:25]
	v_cndmask_b32_e64 v17, v15, v16, s[12:13]
	v_cndmask_b32_e64 v5, v31, v29, s[12:13]
	v_add_u32_e32 v18, 1, v17
	v_add_u32_e32 v5, -1, v5
	v_min_u32_e32 v5, v18, v5
	v_lshl_add_u32 v5, v5, 1, v26
	ds_read_u16 v19, v5
	ds_read_b64 v[4:5], v4 offset:4096
	ds_read_b64 v[8:9], v8 offset:4096
	v_cndmask_b32_e64 v39, v39, v48, s[22:23]
	s_waitcnt lgkmcnt(2)
	v_cndmask_b32_e64 v51, v19, v49, s[12:13]
	v_cndmask_b32_e64 v52, v50, v19, s[12:13]
	;; [unrolled: 1-line block ×4, first 2 shown]
	v_cmp_lt_u32_e64 s[28:29], v18, v29
	v_cmp_le_i16_e64 s[40:41], v52, v51
	v_cmp_ge_u32_e64 s[24:25], v19, v31
	s_and_b64 s[28:29], s[28:29], s[40:41]
	s_or_b64 s[24:25], s[24:25], s[28:29]
	v_cndmask_b32_e64 v20, v19, v18, s[24:25]
	v_cndmask_b32_e64 v15, v31, v29, s[24:25]
	v_add_u32_e32 v21, 1, v20
	v_add_u32_e32 v15, -1, v15
	v_min_u32_e32 v15, v21, v15
	v_lshl_add_u32 v15, v15, 1, v26
	ds_read_u16 v22, v15
	v_cndmask_b32_e64 v18, v18, v21, s[24:25]
	v_cndmask_b32_e64 v19, v21, v19, s[24:25]
	v_cmp_lt_u32_e64 s[40:41], v18, v29
	v_cmp_ge_u32_e64 s[28:29], v19, v31
	s_waitcnt lgkmcnt(0)
	v_cndmask_b32_e64 v53, v22, v51, s[24:25]
	v_cndmask_b32_e64 v54, v52, v22, s[24:25]
	v_cmp_le_i16_e64 s[42:43], v54, v53
	s_and_b64 s[40:41], s[40:41], s[42:43]
	s_or_b64 s[28:29], s[28:29], s[40:41]
	v_cndmask_b32_e64 v22, v19, v18, s[28:29]
	v_cndmask_b32_e64 v21, v31, v29, s[28:29]
	v_add_u32_e32 v35, 1, v22
	v_add_u32_e32 v21, -1, v21
	v_min_u32_e32 v21, v35, v21
	v_lshl_add_u32 v21, v21, 1, v26
	ds_read_u16 v38, v21
	v_cndmask_b32_e64 v66, v18, v35, s[28:29]
	v_cndmask_b32_e64 v65, v35, v19, s[28:29]
	v_cmp_lt_u32_e64 s[42:43], v66, v29
	v_cmp_ge_u32_e64 s[40:41], v65, v31
	s_waitcnt lgkmcnt(0)
	v_cndmask_b32_e64 v55, v38, v53, s[28:29]
	v_cndmask_b32_e64 v64, v54, v38, s[28:29]
	v_cmp_le_i16_e64 s[44:45], v64, v55
	s_and_b64 s[42:43], s[42:43], s[44:45]
	s_or_b64 s[40:41], s[40:41], s[42:43]
	v_cndmask_b32_e64 v18, v65, v66, s[40:41]
	v_cndmask_b32_e64 v19, v31, v29, s[40:41]
	v_lshl_add_u32 v35, v18, 3, v10
	v_add_u32_e32 v67, 1, v18
	v_add_u32_e32 v18, -1, v19
	v_lshl_add_u32 v16, v17, 3, v10
	v_lshl_add_u32 v20, v20, 3, v10
	v_lshl_add_u32 v22, v22, 3, v10
	v_min_u32_e32 v18, v67, v18
	ds_read_b64 v[14:15], v14 offset:4096
	ds_read_b64 v[16:17], v16 offset:4096
	;; [unrolled: 1-line block ×4, first 2 shown]
	v_lshl_add_u32 v38, v18, 1, v26
	ds_read_b64 v[18:19], v35 offset:4096
	ds_read_u16 v68, v38
	v_cndmask_b32_e64 v35, v25, v24, s[8:9]
	v_cndmask_b32_e64 v38, v36, v37, s[20:21]
	;; [unrolled: 1-line block ×4, first 2 shown]
	s_waitcnt lgkmcnt(0)
	v_cndmask_b32_e64 v36, v68, v55, s[40:41]
	v_cndmask_b32_e64 v68, v64, v68, s[40:41]
	;; [unrolled: 1-line block ×3, first 2 shown]
	v_cmp_lt_u32_e64 s[12:13], v25, v29
	v_cmp_le_i16_e64 s[20:21], v68, v36
	v_cmp_ge_u32_e64 s[8:9], v24, v31
	s_and_b64 s[12:13], s[12:13], s[20:21]
	s_or_b64 s[8:9], s[8:9], s[12:13]
	v_cndmask_b32_e64 v24, v24, v25, s[8:9]
	v_lshl_add_u32 v24, v24, 3, v10
	ds_read_b64 v[24:25], v24 offset:4096
	v_cndmask_b32_e64 v48, v51, v52, s[24:25]
	v_cndmask_b32_e64 v37, v53, v54, s[28:29]
	;; [unrolled: 1-line block ×4, first 2 shown]
.LBB1028_214:
	s_or_b64 exec, exec, s[56:57]
	v_add_u32_e32 v29, 0x1000, v28
	; wave barrier
	ds_write2_b64 v29, v[4:5], v[8:9] offset1:1
	v_add_u32_e32 v29, 0x1010, v28
	ds_write2_b64 v29, v[14:15], v[16:17] offset1:1
	v_add_u32_e32 v29, 0x1020, v28
	s_mov_b32 s8, 0x5040100
	ds_write2_b64 v29, v[20:21], v[22:23] offset1:1
	v_add_u32_e32 v31, 0x1030, v28
	v_perm_b32 v29, v36, v50, s8
	v_perm_b32 v28, v37, v48, s8
	;; [unrolled: 1-line block ×4, first 2 shown]
	v_and_b32_e32 v33, 0x380, v33
	ds_write2_b64 v27, v[51:52], v[28:29] offset1:1
	s_waitcnt lgkmcnt(4)
	ds_write2_b64 v31, v[18:19], v[24:25] offset1:1
	v_or_b32_e32 v27, 64, v33
	v_min_u32_e32 v27, v11, v27
	v_add_u32_e32 v28, 64, v27
	v_min_u32_e32 v28, v11, v28
	v_min_u32_e32 v11, v11, v34
	v_sub_u32_e32 v34, v27, v33
	v_sub_u32_e32 v31, v28, v27
	v_sub_u32_e64 v31, v11, v31 clamp
	v_min_u32_e32 v34, v11, v34
	v_lshl_add_u32 v29, v33, 1, v26
	v_cmp_lt_u32_e64 s[8:9], v31, v34
	; wave barrier
	s_and_saveexec_b64 s[12:13], s[8:9]
	s_cbranch_execz .LBB1028_218
; %bb.215:
	v_lshlrev_b32_e32 v51, 1, v27
	v_lshlrev_b32_e32 v52, 1, v11
	v_add3_u32 v51, v26, v51, v52
	s_mov_b64 s[20:21], 0
.LBB1028_216:                           ; =>This Inner Loop Header: Depth=1
	v_add_u32_e32 v52, v34, v31
	v_lshrrev_b32_e32 v53, 1, v52
	v_and_b32_e32 v52, -2, v52
	v_not_b32_e32 v54, v53
	v_add_u32_e32 v52, v29, v52
	v_lshl_add_u32 v54, v54, 1, v51
	ds_read_u16 v52, v52
	ds_read_u16 v54, v54
	v_add_u32_e32 v55, 1, v53
	s_waitcnt lgkmcnt(0)
	v_cmp_gt_i16_e64 s[8:9], v52, v54
	v_cndmask_b32_e64 v34, v34, v53, s[8:9]
	v_cndmask_b32_e64 v31, v55, v31, s[8:9]
	v_cmp_ge_u32_e64 s[8:9], v31, v34
	s_or_b64 s[20:21], s[8:9], s[20:21]
	s_andn2_b64 exec, exec, s[20:21]
	s_cbranch_execnz .LBB1028_216
; %bb.217:
	s_or_b64 exec, exec, s[20:21]
.LBB1028_218:
	s_or_b64 exec, exec, s[12:13]
	v_add_u32_e32 v11, v27, v11
	v_add_u32_e32 v33, v31, v33
	v_sub_u32_e32 v34, v11, v31
	v_cmp_le_u32_e64 s[8:9], v33, v27
	v_cmp_le_u32_e64 s[12:13], v34, v28
	s_or_b64 s[8:9], s[8:9], s[12:13]
	s_and_saveexec_b64 s[56:57], s[8:9]
	s_cbranch_execz .LBB1028_224
; %bb.219:
	v_cmp_lt_u32_e64 s[8:9], v33, v27
                                        ; implicit-def: $vgpr11
	s_and_saveexec_b64 s[12:13], s[8:9]
; %bb.220:
	v_lshl_add_u32 v4, v31, 1, v29
	ds_read_u16 v11, v4
; %bb.221:
	s_or_b64 exec, exec, s[12:13]
	v_cmp_ge_u32_e64 s[20:21], v34, v28
	v_cmp_lt_u32_e64 s[12:13], v34, v28
                                        ; implicit-def: $vgpr24
	s_and_saveexec_b64 s[22:23], s[12:13]
; %bb.222:
	v_lshl_add_u32 v4, v34, 1, v26
	ds_read_u16 v24, v4
; %bb.223:
	s_or_b64 exec, exec, s[22:23]
	s_waitcnt lgkmcnt(0)
	v_cmp_le_i16_e64 s[12:13], v11, v24
	s_and_b64 s[8:9], s[8:9], s[12:13]
	s_or_b64 s[8:9], s[20:21], s[8:9]
	v_cndmask_b32_e64 v4, v34, v33, s[8:9]
	v_cndmask_b32_e64 v5, v28, v27, s[8:9]
	v_add_u32_e32 v8, 1, v4
	v_add_u32_e32 v5, -1, v5
	v_min_u32_e32 v5, v8, v5
	v_lshl_add_u32 v5, v5, 1, v26
	ds_read_u16 v5, v5
	v_cndmask_b32_e64 v9, v8, v34, s[8:9]
	v_cmp_ge_u32_e64 s[12:13], v9, v28
	v_lshl_add_u32 v4, v4, 3, v10
	s_waitcnt lgkmcnt(0)
	v_cndmask_b32_e64 v25, v5, v24, s[8:9]
	v_cndmask_b32_e64 v29, v11, v5, s[8:9]
	;; [unrolled: 1-line block ×3, first 2 shown]
	v_cmp_lt_u32_e64 s[20:21], v5, v27
	v_cmp_le_i16_e64 s[22:23], v29, v25
	s_and_b64 s[20:21], s[20:21], s[22:23]
	s_or_b64 s[20:21], s[12:13], s[20:21]
	v_cndmask_b32_e64 v8, v9, v5, s[20:21]
	v_cndmask_b32_e64 v14, v28, v27, s[20:21]
	v_add_u32_e32 v15, 1, v8
	v_add_u32_e32 v14, -1, v14
	v_min_u32_e32 v14, v15, v14
	v_lshl_add_u32 v14, v14, 1, v26
	ds_read_u16 v14, v14
	v_cndmask_b32_e64 v5, v5, v15, s[20:21]
	v_cndmask_b32_e64 v9, v15, v9, s[20:21]
	v_cmp_lt_u32_e64 s[22:23], v5, v27
	v_cmp_ge_u32_e64 s[12:13], v9, v28
	s_waitcnt lgkmcnt(0)
	v_cndmask_b32_e64 v31, v14, v25, s[20:21]
	v_cndmask_b32_e64 v33, v29, v14, s[20:21]
	v_cmp_le_i16_e64 s[24:25], v33, v31
	s_and_b64 s[22:23], s[22:23], s[24:25]
	s_or_b64 s[22:23], s[12:13], s[22:23]
	v_cndmask_b32_e64 v14, v9, v5, s[22:23]
	v_cndmask_b32_e64 v15, v28, v27, s[22:23]
	v_add_u32_e32 v16, 1, v14
	v_add_u32_e32 v15, -1, v15
	v_min_u32_e32 v15, v16, v15
	v_lshl_add_u32 v15, v15, 1, v26
	ds_read_u16 v15, v15
	v_lshl_add_u32 v8, v8, 3, v10
	v_lshl_add_u32 v14, v14, 3, v10
	v_cndmask_b32_e64 v39, v31, v33, s[22:23]
	s_waitcnt lgkmcnt(0)
	v_cndmask_b32_e64 v34, v15, v31, s[22:23]
	v_cndmask_b32_e64 v36, v33, v15, s[22:23]
	;; [unrolled: 1-line block ×4, first 2 shown]
	v_cmp_lt_u32_e64 s[24:25], v16, v27
	v_cmp_le_i16_e64 s[28:29], v36, v34
	v_cmp_ge_u32_e64 s[12:13], v15, v28
	s_and_b64 s[24:25], s[24:25], s[28:29]
	s_or_b64 s[12:13], s[12:13], s[24:25]
	v_cndmask_b32_e64 v17, v15, v16, s[12:13]
	v_cndmask_b32_e64 v5, v28, v27, s[12:13]
	v_add_u32_e32 v18, 1, v17
	v_add_u32_e32 v5, -1, v5
	v_min_u32_e32 v5, v18, v5
	v_lshl_add_u32 v5, v5, 1, v26
	ds_read_u16 v19, v5
	ds_read_b64 v[4:5], v4 offset:4096
	ds_read_b64 v[8:9], v8 offset:4096
	v_cndmask_b32_e64 v49, v34, v36, s[12:13]
	s_waitcnt lgkmcnt(2)
	v_cndmask_b32_e64 v37, v19, v34, s[12:13]
	v_cndmask_b32_e64 v48, v36, v19, s[12:13]
	;; [unrolled: 1-line block ×4, first 2 shown]
	v_cmp_lt_u32_e64 s[28:29], v18, v27
	v_cmp_le_i16_e64 s[40:41], v48, v37
	v_cmp_ge_u32_e64 s[24:25], v19, v28
	s_and_b64 s[28:29], s[28:29], s[40:41]
	s_or_b64 s[24:25], s[24:25], s[28:29]
	v_cndmask_b32_e64 v20, v19, v18, s[24:25]
	v_cndmask_b32_e64 v15, v28, v27, s[24:25]
	v_add_u32_e32 v21, 1, v20
	v_add_u32_e32 v15, -1, v15
	v_min_u32_e32 v15, v21, v15
	v_lshl_add_u32 v15, v15, 1, v26
	ds_read_u16 v22, v15
	v_cndmask_b32_e64 v18, v18, v21, s[24:25]
	v_cndmask_b32_e64 v19, v21, v19, s[24:25]
	v_cmp_lt_u32_e64 s[40:41], v18, v27
	v_cmp_ge_u32_e64 s[28:29], v19, v28
	s_waitcnt lgkmcnt(0)
	v_cndmask_b32_e64 v50, v22, v37, s[24:25]
	v_cndmask_b32_e64 v51, v48, v22, s[24:25]
	v_cmp_le_i16_e64 s[42:43], v51, v50
	s_and_b64 s[40:41], s[40:41], s[42:43]
	s_or_b64 s[28:29], s[28:29], s[40:41]
	v_cndmask_b32_e64 v22, v19, v18, s[28:29]
	v_cndmask_b32_e64 v21, v28, v27, s[28:29]
	v_add_u32_e32 v35, 1, v22
	v_add_u32_e32 v21, -1, v21
	v_min_u32_e32 v21, v35, v21
	v_lshl_add_u32 v21, v21, 1, v26
	ds_read_u16 v38, v21
	v_cndmask_b32_e64 v55, v18, v35, s[28:29]
	v_cndmask_b32_e64 v54, v35, v19, s[28:29]
	v_cmp_lt_u32_e64 s[42:43], v55, v27
	v_cmp_ge_u32_e64 s[40:41], v54, v28
	s_waitcnt lgkmcnt(0)
	v_cndmask_b32_e64 v52, v38, v50, s[28:29]
	v_cndmask_b32_e64 v53, v51, v38, s[28:29]
	v_cmp_le_i16_e64 s[44:45], v53, v52
	s_and_b64 s[42:43], s[42:43], s[44:45]
	s_or_b64 s[40:41], s[40:41], s[42:43]
	v_cndmask_b32_e64 v18, v54, v55, s[40:41]
	v_cndmask_b32_e64 v19, v28, v27, s[40:41]
	v_lshl_add_u32 v35, v18, 3, v10
	v_add_u32_e32 v64, 1, v18
	v_add_u32_e32 v18, -1, v19
	v_min_u32_e32 v18, v64, v18
	v_lshl_add_u32 v16, v17, 3, v10
	v_lshl_add_u32 v20, v20, 3, v10
	;; [unrolled: 1-line block ×4, first 2 shown]
	ds_read_b64 v[14:15], v14 offset:4096
	ds_read_b64 v[16:17], v16 offset:4096
	ds_read_b64 v[20:21], v20 offset:4096
	ds_read_b64 v[22:23], v22 offset:4096
	ds_read_b64 v[18:19], v35 offset:4096
	ds_read_u16 v26, v26
	v_cndmask_b32_e64 v35, v24, v11, s[8:9]
	v_cndmask_b32_e64 v38, v25, v29, s[20:21]
	;; [unrolled: 1-line block ×4, first 2 shown]
	s_waitcnt lgkmcnt(0)
	v_cndmask_b32_e64 v11, v26, v52, s[40:41]
	v_cndmask_b32_e64 v26, v53, v26, s[40:41]
	v_cmp_lt_u32_e64 s[12:13], v25, v27
	v_cmp_le_i16_e64 s[20:21], v26, v11
	v_cmp_ge_u32_e64 s[8:9], v24, v28
	s_and_b64 s[12:13], s[12:13], s[20:21]
	s_or_b64 s[8:9], s[8:9], s[12:13]
	v_cndmask_b32_e64 v24, v24, v25, s[8:9]
	v_lshl_add_u32 v10, v24, 3, v10
	ds_read_b64 v[24:25], v10 offset:4096
	v_cndmask_b32_e64 v48, v37, v48, s[24:25]
	v_cndmask_b32_e64 v37, v50, v51, s[28:29]
	;; [unrolled: 1-line block ×4, first 2 shown]
.LBB1028_224:
	s_or_b64 exec, exec, s[56:57]
	; wave barrier
	s_waitcnt lgkmcnt(0)
	s_barrier
.LBB1028_225:
	s_or_b64 exec, exec, s[46:47]
	v_add_co_u32_e64 v2, s[8:9], v2, v12
	v_addc_co_u32_e64 v3, s[8:9], v3, v13, s[8:9]
	v_add_co_u32_e64 v2, s[8:9], v2, v30
	v_addc_co_u32_e64 v3, s[8:9], 0, v3, s[8:9]
	s_waitcnt lgkmcnt(0)
	; wave barrier
	s_and_saveexec_b64 s[8:9], vcc
	s_cbranch_execnz .LBB1028_250
; %bb.226:
	s_or_b64 exec, exec, s[8:9]
	s_and_saveexec_b64 s[8:9], s[4:5]
	s_cbranch_execnz .LBB1028_251
.LBB1028_227:
	s_or_b64 exec, exec, s[8:9]
	s_and_saveexec_b64 s[8:9], s[6:7]
	s_cbranch_execnz .LBB1028_252
.LBB1028_228:
	s_or_b64 exec, exec, s[8:9]
	s_and_saveexec_b64 s[8:9], s[18:19]
	s_cbranch_execnz .LBB1028_253
.LBB1028_229:
	s_or_b64 exec, exec, s[8:9]
	s_and_saveexec_b64 s[8:9], s[10:11]
	s_cbranch_execnz .LBB1028_254
.LBB1028_230:
	s_or_b64 exec, exec, s[8:9]
	s_and_saveexec_b64 s[8:9], s[26:27]
	s_cbranch_execnz .LBB1028_255
.LBB1028_231:
	s_or_b64 exec, exec, s[8:9]
	s_and_saveexec_b64 s[8:9], s[14:15]
	s_cbranch_execnz .LBB1028_256
.LBB1028_232:
	s_or_b64 exec, exec, s[8:9]
	s_and_saveexec_b64 s[8:9], s[16:17]
	s_cbranch_execz .LBB1028_234
.LBB1028_233:
	s_waitcnt vmcnt(0)
	flat_store_short v[2:3], v36 offset:14
.LBB1028_234:
	s_or_b64 exec, exec, s[8:9]
	v_add_co_u32_e64 v0, s[8:9], v6, v0
	v_addc_co_u32_e64 v1, s[8:9], v7, v1, s[8:9]
	v_add_co_u32_e64 v0, s[8:9], v0, v32
	v_addc_co_u32_e64 v1, s[8:9], 0, v1, s[8:9]
	; wave barrier
	s_and_saveexec_b64 s[8:9], vcc
	s_cbranch_execnz .LBB1028_257
; %bb.235:
	s_or_b64 exec, exec, s[8:9]
	s_and_saveexec_b64 s[8:9], s[4:5]
	s_cbranch_execnz .LBB1028_258
.LBB1028_236:
	s_or_b64 exec, exec, s[8:9]
	s_and_saveexec_b64 s[4:5], s[6:7]
	s_cbranch_execnz .LBB1028_259
.LBB1028_237:
	s_or_b64 exec, exec, s[4:5]
	s_and_saveexec_b64 s[4:5], s[18:19]
	s_cbranch_execnz .LBB1028_260
.LBB1028_238:
	s_or_b64 exec, exec, s[4:5]
	s_and_saveexec_b64 s[4:5], s[10:11]
	s_cbranch_execnz .LBB1028_261
.LBB1028_239:
	s_or_b64 exec, exec, s[4:5]
	s_and_saveexec_b64 s[4:5], s[26:27]
	s_cbranch_execnz .LBB1028_262
.LBB1028_240:
	s_or_b64 exec, exec, s[4:5]
	s_and_saveexec_b64 s[4:5], s[14:15]
	s_cbranch_execnz .LBB1028_263
.LBB1028_241:
	s_or_b64 exec, exec, s[4:5]
	s_and_saveexec_b64 s[4:5], s[16:17]
	s_cbranch_execnz .LBB1028_264
.LBB1028_242:
	s_or_b64 exec, exec, s[4:5]
	s_waitcnt vmcnt(0) lgkmcnt(0)
	s_setpc_b64 s[30:31]
.LBB1028_243:
	flat_load_dwordx2 v[4:5], v[26:27]
	s_or_b64 exec, exec, s[20:21]
	s_and_saveexec_b64 s[20:21], s[4:5]
                                        ; implicit-def: $vgpr8_vgpr9
	s_cbranch_execz .LBB1028_18
.LBB1028_244:
	flat_load_dwordx2 v[8:9], v[26:27] offset:8
	s_or_b64 exec, exec, s[20:21]
                                        ; implicit-def: $vgpr14_vgpr15
	s_and_saveexec_b64 s[20:21], s[6:7]
	s_cbranch_execz .LBB1028_19
.LBB1028_245:
	flat_load_dwordx2 v[14:15], v[26:27] offset:16
	s_or_b64 exec, exec, s[20:21]
	s_and_saveexec_b64 s[20:21], s[18:19]
                                        ; implicit-def: $vgpr16_vgpr17
	s_cbranch_execz .LBB1028_20
.LBB1028_246:
	flat_load_dwordx2 v[16:17], v[26:27] offset:24
	s_or_b64 exec, exec, s[20:21]
                                        ; implicit-def: $vgpr20_vgpr21
	s_and_saveexec_b64 s[20:21], s[10:11]
	s_cbranch_execz .LBB1028_21
.LBB1028_247:
	flat_load_dwordx2 v[20:21], v[26:27] offset:32
	s_or_b64 exec, exec, s[20:21]
	s_and_saveexec_b64 s[20:21], s[26:27]
                                        ; implicit-def: $vgpr22_vgpr23
	s_cbranch_execz .LBB1028_22
.LBB1028_248:
	flat_load_dwordx2 v[22:23], v[26:27] offset:40
	s_or_b64 exec, exec, s[20:21]
                                        ; implicit-def: $vgpr18_vgpr19
	s_and_saveexec_b64 s[20:21], s[14:15]
	s_cbranch_execz .LBB1028_23
.LBB1028_249:
	flat_load_dwordx2 v[18:19], v[26:27] offset:48
	s_or_b64 exec, exec, s[20:21]
	s_and_saveexec_b64 s[20:21], s[16:17]
                                        ; implicit-def: $vgpr24_vgpr25
	s_cbranch_execnz .LBB1028_24
	s_branch .LBB1028_25
.LBB1028_250:
	s_waitcnt vmcnt(0)
	flat_store_short v[2:3], v35
	s_or_b64 exec, exec, s[8:9]
	s_and_saveexec_b64 s[8:9], s[4:5]
	s_cbranch_execz .LBB1028_227
.LBB1028_251:
	s_waitcnt vmcnt(0)
	flat_store_short v[2:3], v38 offset:2
	s_or_b64 exec, exec, s[8:9]
	s_and_saveexec_b64 s[8:9], s[6:7]
	s_cbranch_execz .LBB1028_228
.LBB1028_252:
	s_waitcnt vmcnt(0)
	flat_store_short v[2:3], v39 offset:4
	s_or_b64 exec, exec, s[8:9]
	s_and_saveexec_b64 s[8:9], s[18:19]
	s_cbranch_execz .LBB1028_229
.LBB1028_253:
	s_waitcnt vmcnt(0)
	flat_store_short v[2:3], v49 offset:6
	s_or_b64 exec, exec, s[8:9]
	s_and_saveexec_b64 s[8:9], s[10:11]
	s_cbranch_execz .LBB1028_230
.LBB1028_254:
	s_waitcnt vmcnt(0)
	flat_store_short v[2:3], v48 offset:8
	s_or_b64 exec, exec, s[8:9]
	s_and_saveexec_b64 s[8:9], s[26:27]
	s_cbranch_execz .LBB1028_231
.LBB1028_255:
	s_waitcnt vmcnt(0)
	flat_store_short v[2:3], v37 offset:10
	s_or_b64 exec, exec, s[8:9]
	s_and_saveexec_b64 s[8:9], s[14:15]
	s_cbranch_execz .LBB1028_232
.LBB1028_256:
	s_waitcnt vmcnt(0)
	flat_store_short v[2:3], v50 offset:12
	s_or_b64 exec, exec, s[8:9]
	s_and_saveexec_b64 s[8:9], s[16:17]
	s_cbranch_execnz .LBB1028_233
	s_branch .LBB1028_234
.LBB1028_257:
	s_waitcnt vmcnt(0)
	flat_store_dwordx2 v[0:1], v[4:5]
	s_or_b64 exec, exec, s[8:9]
	s_and_saveexec_b64 s[8:9], s[4:5]
	s_cbranch_execz .LBB1028_236
.LBB1028_258:
	s_waitcnt vmcnt(0)
	flat_store_dwordx2 v[0:1], v[8:9] offset:8
	s_or_b64 exec, exec, s[8:9]
	s_and_saveexec_b64 s[4:5], s[6:7]
	s_cbranch_execz .LBB1028_237
.LBB1028_259:
	s_waitcnt vmcnt(0)
	flat_store_dwordx2 v[0:1], v[14:15] offset:16
	s_or_b64 exec, exec, s[4:5]
	s_and_saveexec_b64 s[4:5], s[18:19]
	s_cbranch_execz .LBB1028_238
.LBB1028_260:
	s_waitcnt vmcnt(0)
	flat_store_dwordx2 v[0:1], v[16:17] offset:24
	s_or_b64 exec, exec, s[4:5]
	s_and_saveexec_b64 s[4:5], s[10:11]
	s_cbranch_execz .LBB1028_239
.LBB1028_261:
	s_waitcnt vmcnt(0)
	flat_store_dwordx2 v[0:1], v[20:21] offset:32
	s_or_b64 exec, exec, s[4:5]
	s_and_saveexec_b64 s[4:5], s[26:27]
	s_cbranch_execz .LBB1028_240
.LBB1028_262:
	s_waitcnt vmcnt(0)
	flat_store_dwordx2 v[0:1], v[22:23] offset:40
	s_or_b64 exec, exec, s[4:5]
	s_and_saveexec_b64 s[4:5], s[14:15]
	s_cbranch_execz .LBB1028_241
.LBB1028_263:
	s_waitcnt vmcnt(0)
	flat_store_dwordx2 v[0:1], v[18:19] offset:48
	s_or_b64 exec, exec, s[4:5]
	s_and_saveexec_b64 s[4:5], s[16:17]
	s_cbranch_execz .LBB1028_242
.LBB1028_264:
	s_waitcnt vmcnt(0)
	flat_store_dwordx2 v[0:1], v[24:25] offset:56
	s_or_b64 exec, exec, s[4:5]
	s_waitcnt vmcnt(0) lgkmcnt(0)
	s_setpc_b64 s[30:31]
.Lfunc_end1028:
	.size	_ZN7rocprim17ROCPRIM_400000_NS6detail26segmented_warp_sort_helperINS1_20WarpSortHelperConfigILj16ELj8ELj256EEEslLi256ELb0EvE4sortIPKsPsPKlPlEEvT_T0_T1_T2_jjjjRNS5_12storage_typeE, .Lfunc_end1028-_ZN7rocprim17ROCPRIM_400000_NS6detail26segmented_warp_sort_helperINS1_20WarpSortHelperConfigILj16ELj8ELj256EEEslLi256ELb0EvE4sortIPKsPsPKlPlEEvT_T0_T1_T2_jjjjRNS5_12storage_typeE
                                        ; -- End function
	.set .L_ZN7rocprim17ROCPRIM_400000_NS6detail26segmented_warp_sort_helperINS1_20WarpSortHelperConfigILj16ELj8ELj256EEEslLi256ELb0EvE4sortIPKsPsPKlPlEEvT_T0_T1_T2_jjjjRNS5_12storage_typeE.num_vgpr, 70
	.set .L_ZN7rocprim17ROCPRIM_400000_NS6detail26segmented_warp_sort_helperINS1_20WarpSortHelperConfigILj16ELj8ELj256EEEslLi256ELb0EvE4sortIPKsPsPKlPlEEvT_T0_T1_T2_jjjjRNS5_12storage_typeE.num_agpr, 0
	.set .L_ZN7rocprim17ROCPRIM_400000_NS6detail26segmented_warp_sort_helperINS1_20WarpSortHelperConfigILj16ELj8ELj256EEEslLi256ELb0EvE4sortIPKsPsPKlPlEEvT_T0_T1_T2_jjjjRNS5_12storage_typeE.numbered_sgpr, 62
	.set .L_ZN7rocprim17ROCPRIM_400000_NS6detail26segmented_warp_sort_helperINS1_20WarpSortHelperConfigILj16ELj8ELj256EEEslLi256ELb0EvE4sortIPKsPsPKlPlEEvT_T0_T1_T2_jjjjRNS5_12storage_typeE.num_named_barrier, 0
	.set .L_ZN7rocprim17ROCPRIM_400000_NS6detail26segmented_warp_sort_helperINS1_20WarpSortHelperConfigILj16ELj8ELj256EEEslLi256ELb0EvE4sortIPKsPsPKlPlEEvT_T0_T1_T2_jjjjRNS5_12storage_typeE.private_seg_size, 0
	.set .L_ZN7rocprim17ROCPRIM_400000_NS6detail26segmented_warp_sort_helperINS1_20WarpSortHelperConfigILj16ELj8ELj256EEEslLi256ELb0EvE4sortIPKsPsPKlPlEEvT_T0_T1_T2_jjjjRNS5_12storage_typeE.uses_vcc, 1
	.set .L_ZN7rocprim17ROCPRIM_400000_NS6detail26segmented_warp_sort_helperINS1_20WarpSortHelperConfigILj16ELj8ELj256EEEslLi256ELb0EvE4sortIPKsPsPKlPlEEvT_T0_T1_T2_jjjjRNS5_12storage_typeE.uses_flat_scratch, 0
	.set .L_ZN7rocprim17ROCPRIM_400000_NS6detail26segmented_warp_sort_helperINS1_20WarpSortHelperConfigILj16ELj8ELj256EEEslLi256ELb0EvE4sortIPKsPsPKlPlEEvT_T0_T1_T2_jjjjRNS5_12storage_typeE.has_dyn_sized_stack, 0
	.set .L_ZN7rocprim17ROCPRIM_400000_NS6detail26segmented_warp_sort_helperINS1_20WarpSortHelperConfigILj16ELj8ELj256EEEslLi256ELb0EvE4sortIPKsPsPKlPlEEvT_T0_T1_T2_jjjjRNS5_12storage_typeE.has_recursion, 0
	.set .L_ZN7rocprim17ROCPRIM_400000_NS6detail26segmented_warp_sort_helperINS1_20WarpSortHelperConfigILj16ELj8ELj256EEEslLi256ELb0EvE4sortIPKsPsPKlPlEEvT_T0_T1_T2_jjjjRNS5_12storage_typeE.has_indirect_call, 0
	.section	.AMDGPU.csdata,"",@progbits
; Function info:
; codeLenInByte = 16676
; TotalNumSgprs: 66
; NumVgprs: 70
; ScratchSize: 0
; MemoryBound: 0
	.section	.text._ZN7rocprim17ROCPRIM_400000_NS6detail17trampoline_kernelINS0_14default_configENS1_36segmented_radix_sort_config_selectorIslEEZNS1_25segmented_radix_sort_implIS3_Lb0EPKsPsPKlPlN2at6native12_GLOBAL__N_18offset_tEEE10hipError_tPvRmT1_PNSt15iterator_traitsISK_E10value_typeET2_T3_PNSL_ISQ_E10value_typeET4_jRbjT5_SW_jjP12ihipStream_tbEUlT_E0_NS1_11comp_targetILNS1_3genE2ELNS1_11target_archE906ELNS1_3gpuE6ELNS1_3repE0EEENS1_60segmented_radix_sort_warp_sort_medium_config_static_selectorELNS0_4arch9wavefront6targetE1EEEvSK_,"axG",@progbits,_ZN7rocprim17ROCPRIM_400000_NS6detail17trampoline_kernelINS0_14default_configENS1_36segmented_radix_sort_config_selectorIslEEZNS1_25segmented_radix_sort_implIS3_Lb0EPKsPsPKlPlN2at6native12_GLOBAL__N_18offset_tEEE10hipError_tPvRmT1_PNSt15iterator_traitsISK_E10value_typeET2_T3_PNSL_ISQ_E10value_typeET4_jRbjT5_SW_jjP12ihipStream_tbEUlT_E0_NS1_11comp_targetILNS1_3genE2ELNS1_11target_archE906ELNS1_3gpuE6ELNS1_3repE0EEENS1_60segmented_radix_sort_warp_sort_medium_config_static_selectorELNS0_4arch9wavefront6targetE1EEEvSK_,comdat
	.globl	_ZN7rocprim17ROCPRIM_400000_NS6detail17trampoline_kernelINS0_14default_configENS1_36segmented_radix_sort_config_selectorIslEEZNS1_25segmented_radix_sort_implIS3_Lb0EPKsPsPKlPlN2at6native12_GLOBAL__N_18offset_tEEE10hipError_tPvRmT1_PNSt15iterator_traitsISK_E10value_typeET2_T3_PNSL_ISQ_E10value_typeET4_jRbjT5_SW_jjP12ihipStream_tbEUlT_E0_NS1_11comp_targetILNS1_3genE2ELNS1_11target_archE906ELNS1_3gpuE6ELNS1_3repE0EEENS1_60segmented_radix_sort_warp_sort_medium_config_static_selectorELNS0_4arch9wavefront6targetE1EEEvSK_ ; -- Begin function _ZN7rocprim17ROCPRIM_400000_NS6detail17trampoline_kernelINS0_14default_configENS1_36segmented_radix_sort_config_selectorIslEEZNS1_25segmented_radix_sort_implIS3_Lb0EPKsPsPKlPlN2at6native12_GLOBAL__N_18offset_tEEE10hipError_tPvRmT1_PNSt15iterator_traitsISK_E10value_typeET2_T3_PNSL_ISQ_E10value_typeET4_jRbjT5_SW_jjP12ihipStream_tbEUlT_E0_NS1_11comp_targetILNS1_3genE2ELNS1_11target_archE906ELNS1_3gpuE6ELNS1_3repE0EEENS1_60segmented_radix_sort_warp_sort_medium_config_static_selectorELNS0_4arch9wavefront6targetE1EEEvSK_
	.p2align	8
	.type	_ZN7rocprim17ROCPRIM_400000_NS6detail17trampoline_kernelINS0_14default_configENS1_36segmented_radix_sort_config_selectorIslEEZNS1_25segmented_radix_sort_implIS3_Lb0EPKsPsPKlPlN2at6native12_GLOBAL__N_18offset_tEEE10hipError_tPvRmT1_PNSt15iterator_traitsISK_E10value_typeET2_T3_PNSL_ISQ_E10value_typeET4_jRbjT5_SW_jjP12ihipStream_tbEUlT_E0_NS1_11comp_targetILNS1_3genE2ELNS1_11target_archE906ELNS1_3gpuE6ELNS1_3repE0EEENS1_60segmented_radix_sort_warp_sort_medium_config_static_selectorELNS0_4arch9wavefront6targetE1EEEvSK_,@function
_ZN7rocprim17ROCPRIM_400000_NS6detail17trampoline_kernelINS0_14default_configENS1_36segmented_radix_sort_config_selectorIslEEZNS1_25segmented_radix_sort_implIS3_Lb0EPKsPsPKlPlN2at6native12_GLOBAL__N_18offset_tEEE10hipError_tPvRmT1_PNSt15iterator_traitsISK_E10value_typeET2_T3_PNSL_ISQ_E10value_typeET4_jRbjT5_SW_jjP12ihipStream_tbEUlT_E0_NS1_11comp_targetILNS1_3genE2ELNS1_11target_archE906ELNS1_3gpuE6ELNS1_3repE0EEENS1_60segmented_radix_sort_warp_sort_medium_config_static_selectorELNS0_4arch9wavefront6targetE1EEEvSK_: ; @_ZN7rocprim17ROCPRIM_400000_NS6detail17trampoline_kernelINS0_14default_configENS1_36segmented_radix_sort_config_selectorIslEEZNS1_25segmented_radix_sort_implIS3_Lb0EPKsPsPKlPlN2at6native12_GLOBAL__N_18offset_tEEE10hipError_tPvRmT1_PNSt15iterator_traitsISK_E10value_typeET2_T3_PNSL_ISQ_E10value_typeET4_jRbjT5_SW_jjP12ihipStream_tbEUlT_E0_NS1_11comp_targetILNS1_3genE2ELNS1_11target_archE906ELNS1_3gpuE6ELNS1_3repE0EEENS1_60segmented_radix_sort_warp_sort_medium_config_static_selectorELNS0_4arch9wavefront6targetE1EEEvSK_
; %bb.0:
	s_add_u32 s0, s0, s8
	s_load_dword s8, s[4:5], 0x64
	s_addc_u32 s1, s1, 0
	s_mov_b32 s32, 0
	s_waitcnt lgkmcnt(0)
	s_lshr_b32 s9, s8, 16
	s_and_b32 s8, s8, 0xffff
	v_mad_u32_u24 v3, v2, s9, v1
	v_mad_u64_u32 v[3:4], s[8:9], v3, s8, v[0:1]
	s_load_dword s8, s[4:5], 0x34
	v_lshrrev_b32_e32 v3, 4, v3
	v_lshl_add_u32 v3, s6, 4, v3
	s_waitcnt lgkmcnt(0)
	v_cmp_gt_u32_e32 vcc, s8, v3
	s_and_saveexec_b64 s[8:9], vcc
	s_cbranch_execz .LBB1029_6
; %bb.1:
	s_load_dwordx2 s[12:13], s[4:5], 0x38
	s_load_dwordx4 s[8:11], s[4:5], 0x40
	v_mov_b32_e32 v4, 0
	v_lshlrev_b64 v[3:4], 2, v[3:4]
	s_waitcnt lgkmcnt(0)
	v_mov_b32_e32 v5, s13
	v_add_co_u32_e32 v3, vcc, s12, v3
	v_addc_co_u32_e32 v4, vcc, v5, v4, vcc
	global_load_dword v3, v[3:4], off
	s_waitcnt vmcnt(0)
	v_add_u32_e32 v4, s9, v3
	v_add_u32_e32 v3, s11, v3
	v_mul_lo_u32 v40, v4, s8
	v_mul_lo_u32 v41, v3, s10
	v_cmp_gt_u32_e32 vcc, v41, v40
	s_and_b64 exec, exec, vcc
	s_cbranch_execz .LBB1029_6
; %bb.2:
	s_load_dword s10, s[4:5], 0x30
	s_load_dwordx4 s[36:39], s[4:5], 0x20
	s_load_dwordx8 s[48:55], s[4:5], 0x0
	s_load_dwordx2 s[34:35], s[4:5], 0x50
	s_mov_b64 s[8:9], -1
	s_waitcnt lgkmcnt(0)
	s_bitcmp0_b32 s10, 0
	v_lshlrev_b32_e32 v43, 20, v2
	v_lshlrev_b32_e32 v44, 10, v1
	s_cbranch_scc0 .LBB1029_4
; %bb.3:
	s_add_u32 s8, s4, 0x58
	s_addc_u32 s9, s5, 0
	s_getpc_b64 s[10:11]
	s_add_u32 s10, s10, _ZN7rocprim17ROCPRIM_400000_NS6detail26segmented_warp_sort_helperINS1_20WarpSortHelperConfigILj16ELj8ELj256EEEslLi256ELb0EvE4sortIPKsPsPKlPlEEvT_T0_T1_T2_jjjjRNS5_12storage_typeE@rel32@lo+4
	s_addc_u32 s11, s11, _ZN7rocprim17ROCPRIM_400000_NS6detail26segmented_warp_sort_helperINS1_20WarpSortHelperConfigILj16ELj8ELj256EEEslLi256ELb0EvE4sortIPKsPsPKlPlEEvT_T0_T1_T2_jjjjRNS5_12storage_typeE@rel32@hi+12
	v_or3_b32 v31, v0, v44, v43
	s_mov_b32 s12, s6
	s_mov_b32 s13, s7
	v_mov_b32_e32 v42, v0
	v_mov_b32_e32 v0, s48
	;; [unrolled: 1-line block ×13, first 2 shown]
	s_mov_b64 s[36:37], s[4:5]
	s_mov_b32 s50, s7
	s_mov_b32 s33, s6
	s_swappc_b64 s[30:31], s[10:11]
	v_mov_b32_e32 v0, v42
	s_mov_b32 s6, s33
	s_mov_b32 s7, s50
	s_mov_b64 s[4:5], s[36:37]
	s_mov_b64 s[8:9], 0
.LBB1029_4:
	s_andn2_b64 vcc, exec, s[8:9]
	s_cbranch_vccnz .LBB1029_6
; %bb.5:
	s_add_u32 s8, s4, 0x58
	s_addc_u32 s9, s5, 0
	s_getpc_b64 s[4:5]
	s_add_u32 s4, s4, _ZN7rocprim17ROCPRIM_400000_NS6detail26segmented_warp_sort_helperINS1_20WarpSortHelperConfigILj16ELj8ELj256EEEslLi256ELb0EvE4sortIPKsPsPKlPlEEvT_T0_T1_T2_jjjjRNS5_12storage_typeE@rel32@lo+4
	s_addc_u32 s5, s5, _ZN7rocprim17ROCPRIM_400000_NS6detail26segmented_warp_sort_helperINS1_20WarpSortHelperConfigILj16ELj8ELj256EEEslLi256ELb0EvE4sortIPKsPsPKlPlEEvT_T0_T1_T2_jjjjRNS5_12storage_typeE@rel32@hi+12
	v_or3_b32 v31, v0, v44, v43
	s_mov_b32 s12, s6
	s_mov_b32 s13, s7
	v_mov_b32_e32 v0, s48
	v_mov_b32_e32 v1, s49
	;; [unrolled: 1-line block ×12, first 2 shown]
	s_swappc_b64 s[30:31], s[4:5]
.LBB1029_6:
	s_endpgm
	.section	.rodata,"a",@progbits
	.p2align	6, 0x0
	.amdhsa_kernel _ZN7rocprim17ROCPRIM_400000_NS6detail17trampoline_kernelINS0_14default_configENS1_36segmented_radix_sort_config_selectorIslEEZNS1_25segmented_radix_sort_implIS3_Lb0EPKsPsPKlPlN2at6native12_GLOBAL__N_18offset_tEEE10hipError_tPvRmT1_PNSt15iterator_traitsISK_E10value_typeET2_T3_PNSL_ISQ_E10value_typeET4_jRbjT5_SW_jjP12ihipStream_tbEUlT_E0_NS1_11comp_targetILNS1_3genE2ELNS1_11target_archE906ELNS1_3gpuE6ELNS1_3repE0EEENS1_60segmented_radix_sort_warp_sort_medium_config_static_selectorELNS0_4arch9wavefront6targetE1EEEvSK_
		.amdhsa_group_segment_fixed_size 20480
		.amdhsa_private_segment_fixed_size 0
		.amdhsa_kernarg_size 344
		.amdhsa_user_sgpr_count 6
		.amdhsa_user_sgpr_private_segment_buffer 1
		.amdhsa_user_sgpr_dispatch_ptr 0
		.amdhsa_user_sgpr_queue_ptr 0
		.amdhsa_user_sgpr_kernarg_segment_ptr 1
		.amdhsa_user_sgpr_dispatch_id 0
		.amdhsa_user_sgpr_flat_scratch_init 0
		.amdhsa_user_sgpr_private_segment_size 0
		.amdhsa_uses_dynamic_stack 0
		.amdhsa_system_sgpr_private_segment_wavefront_offset 0
		.amdhsa_system_sgpr_workgroup_id_x 1
		.amdhsa_system_sgpr_workgroup_id_y 1
		.amdhsa_system_sgpr_workgroup_id_z 0
		.amdhsa_system_sgpr_workgroup_info 0
		.amdhsa_system_vgpr_workitem_id 2
		.amdhsa_next_free_vgpr 70
		.amdhsa_next_free_sgpr 98
		.amdhsa_reserve_vcc 1
		.amdhsa_reserve_flat_scratch 0
		.amdhsa_float_round_mode_32 0
		.amdhsa_float_round_mode_16_64 0
		.amdhsa_float_denorm_mode_32 3
		.amdhsa_float_denorm_mode_16_64 3
		.amdhsa_dx10_clamp 1
		.amdhsa_ieee_mode 1
		.amdhsa_fp16_overflow 0
		.amdhsa_exception_fp_ieee_invalid_op 0
		.amdhsa_exception_fp_denorm_src 0
		.amdhsa_exception_fp_ieee_div_zero 0
		.amdhsa_exception_fp_ieee_overflow 0
		.amdhsa_exception_fp_ieee_underflow 0
		.amdhsa_exception_fp_ieee_inexact 0
		.amdhsa_exception_int_div_zero 0
	.end_amdhsa_kernel
	.section	.text._ZN7rocprim17ROCPRIM_400000_NS6detail17trampoline_kernelINS0_14default_configENS1_36segmented_radix_sort_config_selectorIslEEZNS1_25segmented_radix_sort_implIS3_Lb0EPKsPsPKlPlN2at6native12_GLOBAL__N_18offset_tEEE10hipError_tPvRmT1_PNSt15iterator_traitsISK_E10value_typeET2_T3_PNSL_ISQ_E10value_typeET4_jRbjT5_SW_jjP12ihipStream_tbEUlT_E0_NS1_11comp_targetILNS1_3genE2ELNS1_11target_archE906ELNS1_3gpuE6ELNS1_3repE0EEENS1_60segmented_radix_sort_warp_sort_medium_config_static_selectorELNS0_4arch9wavefront6targetE1EEEvSK_,"axG",@progbits,_ZN7rocprim17ROCPRIM_400000_NS6detail17trampoline_kernelINS0_14default_configENS1_36segmented_radix_sort_config_selectorIslEEZNS1_25segmented_radix_sort_implIS3_Lb0EPKsPsPKlPlN2at6native12_GLOBAL__N_18offset_tEEE10hipError_tPvRmT1_PNSt15iterator_traitsISK_E10value_typeET2_T3_PNSL_ISQ_E10value_typeET4_jRbjT5_SW_jjP12ihipStream_tbEUlT_E0_NS1_11comp_targetILNS1_3genE2ELNS1_11target_archE906ELNS1_3gpuE6ELNS1_3repE0EEENS1_60segmented_radix_sort_warp_sort_medium_config_static_selectorELNS0_4arch9wavefront6targetE1EEEvSK_,comdat
.Lfunc_end1029:
	.size	_ZN7rocprim17ROCPRIM_400000_NS6detail17trampoline_kernelINS0_14default_configENS1_36segmented_radix_sort_config_selectorIslEEZNS1_25segmented_radix_sort_implIS3_Lb0EPKsPsPKlPlN2at6native12_GLOBAL__N_18offset_tEEE10hipError_tPvRmT1_PNSt15iterator_traitsISK_E10value_typeET2_T3_PNSL_ISQ_E10value_typeET4_jRbjT5_SW_jjP12ihipStream_tbEUlT_E0_NS1_11comp_targetILNS1_3genE2ELNS1_11target_archE906ELNS1_3gpuE6ELNS1_3repE0EEENS1_60segmented_radix_sort_warp_sort_medium_config_static_selectorELNS0_4arch9wavefront6targetE1EEEvSK_, .Lfunc_end1029-_ZN7rocprim17ROCPRIM_400000_NS6detail17trampoline_kernelINS0_14default_configENS1_36segmented_radix_sort_config_selectorIslEEZNS1_25segmented_radix_sort_implIS3_Lb0EPKsPsPKlPlN2at6native12_GLOBAL__N_18offset_tEEE10hipError_tPvRmT1_PNSt15iterator_traitsISK_E10value_typeET2_T3_PNSL_ISQ_E10value_typeET4_jRbjT5_SW_jjP12ihipStream_tbEUlT_E0_NS1_11comp_targetILNS1_3genE2ELNS1_11target_archE906ELNS1_3gpuE6ELNS1_3repE0EEENS1_60segmented_radix_sort_warp_sort_medium_config_static_selectorELNS0_4arch9wavefront6targetE1EEEvSK_
                                        ; -- End function
	.set _ZN7rocprim17ROCPRIM_400000_NS6detail17trampoline_kernelINS0_14default_configENS1_36segmented_radix_sort_config_selectorIslEEZNS1_25segmented_radix_sort_implIS3_Lb0EPKsPsPKlPlN2at6native12_GLOBAL__N_18offset_tEEE10hipError_tPvRmT1_PNSt15iterator_traitsISK_E10value_typeET2_T3_PNSL_ISQ_E10value_typeET4_jRbjT5_SW_jjP12ihipStream_tbEUlT_E0_NS1_11comp_targetILNS1_3genE2ELNS1_11target_archE906ELNS1_3gpuE6ELNS1_3repE0EEENS1_60segmented_radix_sort_warp_sort_medium_config_static_selectorELNS0_4arch9wavefront6targetE1EEEvSK_.num_vgpr, max(45, .L_ZN7rocprim17ROCPRIM_400000_NS6detail26segmented_warp_sort_helperINS1_20WarpSortHelperConfigILj16ELj8ELj256EEEslLi256ELb0EvE4sortIPKsPsPKlPlEEvT_T0_T1_T2_jjjjRNS5_12storage_typeE.num_vgpr)
	.set _ZN7rocprim17ROCPRIM_400000_NS6detail17trampoline_kernelINS0_14default_configENS1_36segmented_radix_sort_config_selectorIslEEZNS1_25segmented_radix_sort_implIS3_Lb0EPKsPsPKlPlN2at6native12_GLOBAL__N_18offset_tEEE10hipError_tPvRmT1_PNSt15iterator_traitsISK_E10value_typeET2_T3_PNSL_ISQ_E10value_typeET4_jRbjT5_SW_jjP12ihipStream_tbEUlT_E0_NS1_11comp_targetILNS1_3genE2ELNS1_11target_archE906ELNS1_3gpuE6ELNS1_3repE0EEENS1_60segmented_radix_sort_warp_sort_medium_config_static_selectorELNS0_4arch9wavefront6targetE1EEEvSK_.num_agpr, max(0, .L_ZN7rocprim17ROCPRIM_400000_NS6detail26segmented_warp_sort_helperINS1_20WarpSortHelperConfigILj16ELj8ELj256EEEslLi256ELb0EvE4sortIPKsPsPKlPlEEvT_T0_T1_T2_jjjjRNS5_12storage_typeE.num_agpr)
	.set _ZN7rocprim17ROCPRIM_400000_NS6detail17trampoline_kernelINS0_14default_configENS1_36segmented_radix_sort_config_selectorIslEEZNS1_25segmented_radix_sort_implIS3_Lb0EPKsPsPKlPlN2at6native12_GLOBAL__N_18offset_tEEE10hipError_tPvRmT1_PNSt15iterator_traitsISK_E10value_typeET2_T3_PNSL_ISQ_E10value_typeET4_jRbjT5_SW_jjP12ihipStream_tbEUlT_E0_NS1_11comp_targetILNS1_3genE2ELNS1_11target_archE906ELNS1_3gpuE6ELNS1_3repE0EEENS1_60segmented_radix_sort_warp_sort_medium_config_static_selectorELNS0_4arch9wavefront6targetE1EEEvSK_.numbered_sgpr, max(56, .L_ZN7rocprim17ROCPRIM_400000_NS6detail26segmented_warp_sort_helperINS1_20WarpSortHelperConfigILj16ELj8ELj256EEEslLi256ELb0EvE4sortIPKsPsPKlPlEEvT_T0_T1_T2_jjjjRNS5_12storage_typeE.numbered_sgpr)
	.set _ZN7rocprim17ROCPRIM_400000_NS6detail17trampoline_kernelINS0_14default_configENS1_36segmented_radix_sort_config_selectorIslEEZNS1_25segmented_radix_sort_implIS3_Lb0EPKsPsPKlPlN2at6native12_GLOBAL__N_18offset_tEEE10hipError_tPvRmT1_PNSt15iterator_traitsISK_E10value_typeET2_T3_PNSL_ISQ_E10value_typeET4_jRbjT5_SW_jjP12ihipStream_tbEUlT_E0_NS1_11comp_targetILNS1_3genE2ELNS1_11target_archE906ELNS1_3gpuE6ELNS1_3repE0EEENS1_60segmented_radix_sort_warp_sort_medium_config_static_selectorELNS0_4arch9wavefront6targetE1EEEvSK_.num_named_barrier, max(0, .L_ZN7rocprim17ROCPRIM_400000_NS6detail26segmented_warp_sort_helperINS1_20WarpSortHelperConfigILj16ELj8ELj256EEEslLi256ELb0EvE4sortIPKsPsPKlPlEEvT_T0_T1_T2_jjjjRNS5_12storage_typeE.num_named_barrier)
	.set _ZN7rocprim17ROCPRIM_400000_NS6detail17trampoline_kernelINS0_14default_configENS1_36segmented_radix_sort_config_selectorIslEEZNS1_25segmented_radix_sort_implIS3_Lb0EPKsPsPKlPlN2at6native12_GLOBAL__N_18offset_tEEE10hipError_tPvRmT1_PNSt15iterator_traitsISK_E10value_typeET2_T3_PNSL_ISQ_E10value_typeET4_jRbjT5_SW_jjP12ihipStream_tbEUlT_E0_NS1_11comp_targetILNS1_3genE2ELNS1_11target_archE906ELNS1_3gpuE6ELNS1_3repE0EEENS1_60segmented_radix_sort_warp_sort_medium_config_static_selectorELNS0_4arch9wavefront6targetE1EEEvSK_.private_seg_size, 0+max(.L_ZN7rocprim17ROCPRIM_400000_NS6detail26segmented_warp_sort_helperINS1_20WarpSortHelperConfigILj16ELj8ELj256EEEslLi256ELb0EvE4sortIPKsPsPKlPlEEvT_T0_T1_T2_jjjjRNS5_12storage_typeE.private_seg_size)
	.set _ZN7rocprim17ROCPRIM_400000_NS6detail17trampoline_kernelINS0_14default_configENS1_36segmented_radix_sort_config_selectorIslEEZNS1_25segmented_radix_sort_implIS3_Lb0EPKsPsPKlPlN2at6native12_GLOBAL__N_18offset_tEEE10hipError_tPvRmT1_PNSt15iterator_traitsISK_E10value_typeET2_T3_PNSL_ISQ_E10value_typeET4_jRbjT5_SW_jjP12ihipStream_tbEUlT_E0_NS1_11comp_targetILNS1_3genE2ELNS1_11target_archE906ELNS1_3gpuE6ELNS1_3repE0EEENS1_60segmented_radix_sort_warp_sort_medium_config_static_selectorELNS0_4arch9wavefront6targetE1EEEvSK_.uses_vcc, or(1, .L_ZN7rocprim17ROCPRIM_400000_NS6detail26segmented_warp_sort_helperINS1_20WarpSortHelperConfigILj16ELj8ELj256EEEslLi256ELb0EvE4sortIPKsPsPKlPlEEvT_T0_T1_T2_jjjjRNS5_12storage_typeE.uses_vcc)
	.set _ZN7rocprim17ROCPRIM_400000_NS6detail17trampoline_kernelINS0_14default_configENS1_36segmented_radix_sort_config_selectorIslEEZNS1_25segmented_radix_sort_implIS3_Lb0EPKsPsPKlPlN2at6native12_GLOBAL__N_18offset_tEEE10hipError_tPvRmT1_PNSt15iterator_traitsISK_E10value_typeET2_T3_PNSL_ISQ_E10value_typeET4_jRbjT5_SW_jjP12ihipStream_tbEUlT_E0_NS1_11comp_targetILNS1_3genE2ELNS1_11target_archE906ELNS1_3gpuE6ELNS1_3repE0EEENS1_60segmented_radix_sort_warp_sort_medium_config_static_selectorELNS0_4arch9wavefront6targetE1EEEvSK_.uses_flat_scratch, or(0, .L_ZN7rocprim17ROCPRIM_400000_NS6detail26segmented_warp_sort_helperINS1_20WarpSortHelperConfigILj16ELj8ELj256EEEslLi256ELb0EvE4sortIPKsPsPKlPlEEvT_T0_T1_T2_jjjjRNS5_12storage_typeE.uses_flat_scratch)
	.set _ZN7rocprim17ROCPRIM_400000_NS6detail17trampoline_kernelINS0_14default_configENS1_36segmented_radix_sort_config_selectorIslEEZNS1_25segmented_radix_sort_implIS3_Lb0EPKsPsPKlPlN2at6native12_GLOBAL__N_18offset_tEEE10hipError_tPvRmT1_PNSt15iterator_traitsISK_E10value_typeET2_T3_PNSL_ISQ_E10value_typeET4_jRbjT5_SW_jjP12ihipStream_tbEUlT_E0_NS1_11comp_targetILNS1_3genE2ELNS1_11target_archE906ELNS1_3gpuE6ELNS1_3repE0EEENS1_60segmented_radix_sort_warp_sort_medium_config_static_selectorELNS0_4arch9wavefront6targetE1EEEvSK_.has_dyn_sized_stack, or(0, .L_ZN7rocprim17ROCPRIM_400000_NS6detail26segmented_warp_sort_helperINS1_20WarpSortHelperConfigILj16ELj8ELj256EEEslLi256ELb0EvE4sortIPKsPsPKlPlEEvT_T0_T1_T2_jjjjRNS5_12storage_typeE.has_dyn_sized_stack)
	.set _ZN7rocprim17ROCPRIM_400000_NS6detail17trampoline_kernelINS0_14default_configENS1_36segmented_radix_sort_config_selectorIslEEZNS1_25segmented_radix_sort_implIS3_Lb0EPKsPsPKlPlN2at6native12_GLOBAL__N_18offset_tEEE10hipError_tPvRmT1_PNSt15iterator_traitsISK_E10value_typeET2_T3_PNSL_ISQ_E10value_typeET4_jRbjT5_SW_jjP12ihipStream_tbEUlT_E0_NS1_11comp_targetILNS1_3genE2ELNS1_11target_archE906ELNS1_3gpuE6ELNS1_3repE0EEENS1_60segmented_radix_sort_warp_sort_medium_config_static_selectorELNS0_4arch9wavefront6targetE1EEEvSK_.has_recursion, or(0, .L_ZN7rocprim17ROCPRIM_400000_NS6detail26segmented_warp_sort_helperINS1_20WarpSortHelperConfigILj16ELj8ELj256EEEslLi256ELb0EvE4sortIPKsPsPKlPlEEvT_T0_T1_T2_jjjjRNS5_12storage_typeE.has_recursion)
	.set _ZN7rocprim17ROCPRIM_400000_NS6detail17trampoline_kernelINS0_14default_configENS1_36segmented_radix_sort_config_selectorIslEEZNS1_25segmented_radix_sort_implIS3_Lb0EPKsPsPKlPlN2at6native12_GLOBAL__N_18offset_tEEE10hipError_tPvRmT1_PNSt15iterator_traitsISK_E10value_typeET2_T3_PNSL_ISQ_E10value_typeET4_jRbjT5_SW_jjP12ihipStream_tbEUlT_E0_NS1_11comp_targetILNS1_3genE2ELNS1_11target_archE906ELNS1_3gpuE6ELNS1_3repE0EEENS1_60segmented_radix_sort_warp_sort_medium_config_static_selectorELNS0_4arch9wavefront6targetE1EEEvSK_.has_indirect_call, or(0, .L_ZN7rocprim17ROCPRIM_400000_NS6detail26segmented_warp_sort_helperINS1_20WarpSortHelperConfigILj16ELj8ELj256EEEslLi256ELb0EvE4sortIPKsPsPKlPlEEvT_T0_T1_T2_jjjjRNS5_12storage_typeE.has_indirect_call)
	.section	.AMDGPU.csdata,"",@progbits
; Kernel info:
; codeLenInByte = 484
; TotalNumSgprs: 66
; NumVgprs: 70
; ScratchSize: 0
; MemoryBound: 0
; FloatMode: 240
; IeeeMode: 1
; LDSByteSize: 20480 bytes/workgroup (compile time only)
; SGPRBlocks: 12
; VGPRBlocks: 17
; NumSGPRsForWavesPerEU: 102
; NumVGPRsForWavesPerEU: 70
; Occupancy: 3
; WaveLimiterHint : 0
; COMPUTE_PGM_RSRC2:SCRATCH_EN: 0
; COMPUTE_PGM_RSRC2:USER_SGPR: 6
; COMPUTE_PGM_RSRC2:TRAP_HANDLER: 0
; COMPUTE_PGM_RSRC2:TGID_X_EN: 1
; COMPUTE_PGM_RSRC2:TGID_Y_EN: 1
; COMPUTE_PGM_RSRC2:TGID_Z_EN: 0
; COMPUTE_PGM_RSRC2:TIDIG_COMP_CNT: 2
	.section	.text._ZN7rocprim17ROCPRIM_400000_NS6detail17trampoline_kernelINS0_14default_configENS1_36segmented_radix_sort_config_selectorIslEEZNS1_25segmented_radix_sort_implIS3_Lb0EPKsPsPKlPlN2at6native12_GLOBAL__N_18offset_tEEE10hipError_tPvRmT1_PNSt15iterator_traitsISK_E10value_typeET2_T3_PNSL_ISQ_E10value_typeET4_jRbjT5_SW_jjP12ihipStream_tbEUlT_E0_NS1_11comp_targetILNS1_3genE10ELNS1_11target_archE1201ELNS1_3gpuE5ELNS1_3repE0EEENS1_60segmented_radix_sort_warp_sort_medium_config_static_selectorELNS0_4arch9wavefront6targetE1EEEvSK_,"axG",@progbits,_ZN7rocprim17ROCPRIM_400000_NS6detail17trampoline_kernelINS0_14default_configENS1_36segmented_radix_sort_config_selectorIslEEZNS1_25segmented_radix_sort_implIS3_Lb0EPKsPsPKlPlN2at6native12_GLOBAL__N_18offset_tEEE10hipError_tPvRmT1_PNSt15iterator_traitsISK_E10value_typeET2_T3_PNSL_ISQ_E10value_typeET4_jRbjT5_SW_jjP12ihipStream_tbEUlT_E0_NS1_11comp_targetILNS1_3genE10ELNS1_11target_archE1201ELNS1_3gpuE5ELNS1_3repE0EEENS1_60segmented_radix_sort_warp_sort_medium_config_static_selectorELNS0_4arch9wavefront6targetE1EEEvSK_,comdat
	.globl	_ZN7rocprim17ROCPRIM_400000_NS6detail17trampoline_kernelINS0_14default_configENS1_36segmented_radix_sort_config_selectorIslEEZNS1_25segmented_radix_sort_implIS3_Lb0EPKsPsPKlPlN2at6native12_GLOBAL__N_18offset_tEEE10hipError_tPvRmT1_PNSt15iterator_traitsISK_E10value_typeET2_T3_PNSL_ISQ_E10value_typeET4_jRbjT5_SW_jjP12ihipStream_tbEUlT_E0_NS1_11comp_targetILNS1_3genE10ELNS1_11target_archE1201ELNS1_3gpuE5ELNS1_3repE0EEENS1_60segmented_radix_sort_warp_sort_medium_config_static_selectorELNS0_4arch9wavefront6targetE1EEEvSK_ ; -- Begin function _ZN7rocprim17ROCPRIM_400000_NS6detail17trampoline_kernelINS0_14default_configENS1_36segmented_radix_sort_config_selectorIslEEZNS1_25segmented_radix_sort_implIS3_Lb0EPKsPsPKlPlN2at6native12_GLOBAL__N_18offset_tEEE10hipError_tPvRmT1_PNSt15iterator_traitsISK_E10value_typeET2_T3_PNSL_ISQ_E10value_typeET4_jRbjT5_SW_jjP12ihipStream_tbEUlT_E0_NS1_11comp_targetILNS1_3genE10ELNS1_11target_archE1201ELNS1_3gpuE5ELNS1_3repE0EEENS1_60segmented_radix_sort_warp_sort_medium_config_static_selectorELNS0_4arch9wavefront6targetE1EEEvSK_
	.p2align	8
	.type	_ZN7rocprim17ROCPRIM_400000_NS6detail17trampoline_kernelINS0_14default_configENS1_36segmented_radix_sort_config_selectorIslEEZNS1_25segmented_radix_sort_implIS3_Lb0EPKsPsPKlPlN2at6native12_GLOBAL__N_18offset_tEEE10hipError_tPvRmT1_PNSt15iterator_traitsISK_E10value_typeET2_T3_PNSL_ISQ_E10value_typeET4_jRbjT5_SW_jjP12ihipStream_tbEUlT_E0_NS1_11comp_targetILNS1_3genE10ELNS1_11target_archE1201ELNS1_3gpuE5ELNS1_3repE0EEENS1_60segmented_radix_sort_warp_sort_medium_config_static_selectorELNS0_4arch9wavefront6targetE1EEEvSK_,@function
_ZN7rocprim17ROCPRIM_400000_NS6detail17trampoline_kernelINS0_14default_configENS1_36segmented_radix_sort_config_selectorIslEEZNS1_25segmented_radix_sort_implIS3_Lb0EPKsPsPKlPlN2at6native12_GLOBAL__N_18offset_tEEE10hipError_tPvRmT1_PNSt15iterator_traitsISK_E10value_typeET2_T3_PNSL_ISQ_E10value_typeET4_jRbjT5_SW_jjP12ihipStream_tbEUlT_E0_NS1_11comp_targetILNS1_3genE10ELNS1_11target_archE1201ELNS1_3gpuE5ELNS1_3repE0EEENS1_60segmented_radix_sort_warp_sort_medium_config_static_selectorELNS0_4arch9wavefront6targetE1EEEvSK_: ; @_ZN7rocprim17ROCPRIM_400000_NS6detail17trampoline_kernelINS0_14default_configENS1_36segmented_radix_sort_config_selectorIslEEZNS1_25segmented_radix_sort_implIS3_Lb0EPKsPsPKlPlN2at6native12_GLOBAL__N_18offset_tEEE10hipError_tPvRmT1_PNSt15iterator_traitsISK_E10value_typeET2_T3_PNSL_ISQ_E10value_typeET4_jRbjT5_SW_jjP12ihipStream_tbEUlT_E0_NS1_11comp_targetILNS1_3genE10ELNS1_11target_archE1201ELNS1_3gpuE5ELNS1_3repE0EEENS1_60segmented_radix_sort_warp_sort_medium_config_static_selectorELNS0_4arch9wavefront6targetE1EEEvSK_
; %bb.0:
	.section	.rodata,"a",@progbits
	.p2align	6, 0x0
	.amdhsa_kernel _ZN7rocprim17ROCPRIM_400000_NS6detail17trampoline_kernelINS0_14default_configENS1_36segmented_radix_sort_config_selectorIslEEZNS1_25segmented_radix_sort_implIS3_Lb0EPKsPsPKlPlN2at6native12_GLOBAL__N_18offset_tEEE10hipError_tPvRmT1_PNSt15iterator_traitsISK_E10value_typeET2_T3_PNSL_ISQ_E10value_typeET4_jRbjT5_SW_jjP12ihipStream_tbEUlT_E0_NS1_11comp_targetILNS1_3genE10ELNS1_11target_archE1201ELNS1_3gpuE5ELNS1_3repE0EEENS1_60segmented_radix_sort_warp_sort_medium_config_static_selectorELNS0_4arch9wavefront6targetE1EEEvSK_
		.amdhsa_group_segment_fixed_size 0
		.amdhsa_private_segment_fixed_size 0
		.amdhsa_kernarg_size 88
		.amdhsa_user_sgpr_count 6
		.amdhsa_user_sgpr_private_segment_buffer 1
		.amdhsa_user_sgpr_dispatch_ptr 0
		.amdhsa_user_sgpr_queue_ptr 0
		.amdhsa_user_sgpr_kernarg_segment_ptr 1
		.amdhsa_user_sgpr_dispatch_id 0
		.amdhsa_user_sgpr_flat_scratch_init 0
		.amdhsa_user_sgpr_private_segment_size 0
		.amdhsa_uses_dynamic_stack 0
		.amdhsa_system_sgpr_private_segment_wavefront_offset 0
		.amdhsa_system_sgpr_workgroup_id_x 1
		.amdhsa_system_sgpr_workgroup_id_y 0
		.amdhsa_system_sgpr_workgroup_id_z 0
		.amdhsa_system_sgpr_workgroup_info 0
		.amdhsa_system_vgpr_workitem_id 0
		.amdhsa_next_free_vgpr 1
		.amdhsa_next_free_sgpr 0
		.amdhsa_reserve_vcc 0
		.amdhsa_reserve_flat_scratch 0
		.amdhsa_float_round_mode_32 0
		.amdhsa_float_round_mode_16_64 0
		.amdhsa_float_denorm_mode_32 3
		.amdhsa_float_denorm_mode_16_64 3
		.amdhsa_dx10_clamp 1
		.amdhsa_ieee_mode 1
		.amdhsa_fp16_overflow 0
		.amdhsa_exception_fp_ieee_invalid_op 0
		.amdhsa_exception_fp_denorm_src 0
		.amdhsa_exception_fp_ieee_div_zero 0
		.amdhsa_exception_fp_ieee_overflow 0
		.amdhsa_exception_fp_ieee_underflow 0
		.amdhsa_exception_fp_ieee_inexact 0
		.amdhsa_exception_int_div_zero 0
	.end_amdhsa_kernel
	.section	.text._ZN7rocprim17ROCPRIM_400000_NS6detail17trampoline_kernelINS0_14default_configENS1_36segmented_radix_sort_config_selectorIslEEZNS1_25segmented_radix_sort_implIS3_Lb0EPKsPsPKlPlN2at6native12_GLOBAL__N_18offset_tEEE10hipError_tPvRmT1_PNSt15iterator_traitsISK_E10value_typeET2_T3_PNSL_ISQ_E10value_typeET4_jRbjT5_SW_jjP12ihipStream_tbEUlT_E0_NS1_11comp_targetILNS1_3genE10ELNS1_11target_archE1201ELNS1_3gpuE5ELNS1_3repE0EEENS1_60segmented_radix_sort_warp_sort_medium_config_static_selectorELNS0_4arch9wavefront6targetE1EEEvSK_,"axG",@progbits,_ZN7rocprim17ROCPRIM_400000_NS6detail17trampoline_kernelINS0_14default_configENS1_36segmented_radix_sort_config_selectorIslEEZNS1_25segmented_radix_sort_implIS3_Lb0EPKsPsPKlPlN2at6native12_GLOBAL__N_18offset_tEEE10hipError_tPvRmT1_PNSt15iterator_traitsISK_E10value_typeET2_T3_PNSL_ISQ_E10value_typeET4_jRbjT5_SW_jjP12ihipStream_tbEUlT_E0_NS1_11comp_targetILNS1_3genE10ELNS1_11target_archE1201ELNS1_3gpuE5ELNS1_3repE0EEENS1_60segmented_radix_sort_warp_sort_medium_config_static_selectorELNS0_4arch9wavefront6targetE1EEEvSK_,comdat
.Lfunc_end1030:
	.size	_ZN7rocprim17ROCPRIM_400000_NS6detail17trampoline_kernelINS0_14default_configENS1_36segmented_radix_sort_config_selectorIslEEZNS1_25segmented_radix_sort_implIS3_Lb0EPKsPsPKlPlN2at6native12_GLOBAL__N_18offset_tEEE10hipError_tPvRmT1_PNSt15iterator_traitsISK_E10value_typeET2_T3_PNSL_ISQ_E10value_typeET4_jRbjT5_SW_jjP12ihipStream_tbEUlT_E0_NS1_11comp_targetILNS1_3genE10ELNS1_11target_archE1201ELNS1_3gpuE5ELNS1_3repE0EEENS1_60segmented_radix_sort_warp_sort_medium_config_static_selectorELNS0_4arch9wavefront6targetE1EEEvSK_, .Lfunc_end1030-_ZN7rocprim17ROCPRIM_400000_NS6detail17trampoline_kernelINS0_14default_configENS1_36segmented_radix_sort_config_selectorIslEEZNS1_25segmented_radix_sort_implIS3_Lb0EPKsPsPKlPlN2at6native12_GLOBAL__N_18offset_tEEE10hipError_tPvRmT1_PNSt15iterator_traitsISK_E10value_typeET2_T3_PNSL_ISQ_E10value_typeET4_jRbjT5_SW_jjP12ihipStream_tbEUlT_E0_NS1_11comp_targetILNS1_3genE10ELNS1_11target_archE1201ELNS1_3gpuE5ELNS1_3repE0EEENS1_60segmented_radix_sort_warp_sort_medium_config_static_selectorELNS0_4arch9wavefront6targetE1EEEvSK_
                                        ; -- End function
	.set _ZN7rocprim17ROCPRIM_400000_NS6detail17trampoline_kernelINS0_14default_configENS1_36segmented_radix_sort_config_selectorIslEEZNS1_25segmented_radix_sort_implIS3_Lb0EPKsPsPKlPlN2at6native12_GLOBAL__N_18offset_tEEE10hipError_tPvRmT1_PNSt15iterator_traitsISK_E10value_typeET2_T3_PNSL_ISQ_E10value_typeET4_jRbjT5_SW_jjP12ihipStream_tbEUlT_E0_NS1_11comp_targetILNS1_3genE10ELNS1_11target_archE1201ELNS1_3gpuE5ELNS1_3repE0EEENS1_60segmented_radix_sort_warp_sort_medium_config_static_selectorELNS0_4arch9wavefront6targetE1EEEvSK_.num_vgpr, 0
	.set _ZN7rocprim17ROCPRIM_400000_NS6detail17trampoline_kernelINS0_14default_configENS1_36segmented_radix_sort_config_selectorIslEEZNS1_25segmented_radix_sort_implIS3_Lb0EPKsPsPKlPlN2at6native12_GLOBAL__N_18offset_tEEE10hipError_tPvRmT1_PNSt15iterator_traitsISK_E10value_typeET2_T3_PNSL_ISQ_E10value_typeET4_jRbjT5_SW_jjP12ihipStream_tbEUlT_E0_NS1_11comp_targetILNS1_3genE10ELNS1_11target_archE1201ELNS1_3gpuE5ELNS1_3repE0EEENS1_60segmented_radix_sort_warp_sort_medium_config_static_selectorELNS0_4arch9wavefront6targetE1EEEvSK_.num_agpr, 0
	.set _ZN7rocprim17ROCPRIM_400000_NS6detail17trampoline_kernelINS0_14default_configENS1_36segmented_radix_sort_config_selectorIslEEZNS1_25segmented_radix_sort_implIS3_Lb0EPKsPsPKlPlN2at6native12_GLOBAL__N_18offset_tEEE10hipError_tPvRmT1_PNSt15iterator_traitsISK_E10value_typeET2_T3_PNSL_ISQ_E10value_typeET4_jRbjT5_SW_jjP12ihipStream_tbEUlT_E0_NS1_11comp_targetILNS1_3genE10ELNS1_11target_archE1201ELNS1_3gpuE5ELNS1_3repE0EEENS1_60segmented_radix_sort_warp_sort_medium_config_static_selectorELNS0_4arch9wavefront6targetE1EEEvSK_.numbered_sgpr, 0
	.set _ZN7rocprim17ROCPRIM_400000_NS6detail17trampoline_kernelINS0_14default_configENS1_36segmented_radix_sort_config_selectorIslEEZNS1_25segmented_radix_sort_implIS3_Lb0EPKsPsPKlPlN2at6native12_GLOBAL__N_18offset_tEEE10hipError_tPvRmT1_PNSt15iterator_traitsISK_E10value_typeET2_T3_PNSL_ISQ_E10value_typeET4_jRbjT5_SW_jjP12ihipStream_tbEUlT_E0_NS1_11comp_targetILNS1_3genE10ELNS1_11target_archE1201ELNS1_3gpuE5ELNS1_3repE0EEENS1_60segmented_radix_sort_warp_sort_medium_config_static_selectorELNS0_4arch9wavefront6targetE1EEEvSK_.num_named_barrier, 0
	.set _ZN7rocprim17ROCPRIM_400000_NS6detail17trampoline_kernelINS0_14default_configENS1_36segmented_radix_sort_config_selectorIslEEZNS1_25segmented_radix_sort_implIS3_Lb0EPKsPsPKlPlN2at6native12_GLOBAL__N_18offset_tEEE10hipError_tPvRmT1_PNSt15iterator_traitsISK_E10value_typeET2_T3_PNSL_ISQ_E10value_typeET4_jRbjT5_SW_jjP12ihipStream_tbEUlT_E0_NS1_11comp_targetILNS1_3genE10ELNS1_11target_archE1201ELNS1_3gpuE5ELNS1_3repE0EEENS1_60segmented_radix_sort_warp_sort_medium_config_static_selectorELNS0_4arch9wavefront6targetE1EEEvSK_.private_seg_size, 0
	.set _ZN7rocprim17ROCPRIM_400000_NS6detail17trampoline_kernelINS0_14default_configENS1_36segmented_radix_sort_config_selectorIslEEZNS1_25segmented_radix_sort_implIS3_Lb0EPKsPsPKlPlN2at6native12_GLOBAL__N_18offset_tEEE10hipError_tPvRmT1_PNSt15iterator_traitsISK_E10value_typeET2_T3_PNSL_ISQ_E10value_typeET4_jRbjT5_SW_jjP12ihipStream_tbEUlT_E0_NS1_11comp_targetILNS1_3genE10ELNS1_11target_archE1201ELNS1_3gpuE5ELNS1_3repE0EEENS1_60segmented_radix_sort_warp_sort_medium_config_static_selectorELNS0_4arch9wavefront6targetE1EEEvSK_.uses_vcc, 0
	.set _ZN7rocprim17ROCPRIM_400000_NS6detail17trampoline_kernelINS0_14default_configENS1_36segmented_radix_sort_config_selectorIslEEZNS1_25segmented_radix_sort_implIS3_Lb0EPKsPsPKlPlN2at6native12_GLOBAL__N_18offset_tEEE10hipError_tPvRmT1_PNSt15iterator_traitsISK_E10value_typeET2_T3_PNSL_ISQ_E10value_typeET4_jRbjT5_SW_jjP12ihipStream_tbEUlT_E0_NS1_11comp_targetILNS1_3genE10ELNS1_11target_archE1201ELNS1_3gpuE5ELNS1_3repE0EEENS1_60segmented_radix_sort_warp_sort_medium_config_static_selectorELNS0_4arch9wavefront6targetE1EEEvSK_.uses_flat_scratch, 0
	.set _ZN7rocprim17ROCPRIM_400000_NS6detail17trampoline_kernelINS0_14default_configENS1_36segmented_radix_sort_config_selectorIslEEZNS1_25segmented_radix_sort_implIS3_Lb0EPKsPsPKlPlN2at6native12_GLOBAL__N_18offset_tEEE10hipError_tPvRmT1_PNSt15iterator_traitsISK_E10value_typeET2_T3_PNSL_ISQ_E10value_typeET4_jRbjT5_SW_jjP12ihipStream_tbEUlT_E0_NS1_11comp_targetILNS1_3genE10ELNS1_11target_archE1201ELNS1_3gpuE5ELNS1_3repE0EEENS1_60segmented_radix_sort_warp_sort_medium_config_static_selectorELNS0_4arch9wavefront6targetE1EEEvSK_.has_dyn_sized_stack, 0
	.set _ZN7rocprim17ROCPRIM_400000_NS6detail17trampoline_kernelINS0_14default_configENS1_36segmented_radix_sort_config_selectorIslEEZNS1_25segmented_radix_sort_implIS3_Lb0EPKsPsPKlPlN2at6native12_GLOBAL__N_18offset_tEEE10hipError_tPvRmT1_PNSt15iterator_traitsISK_E10value_typeET2_T3_PNSL_ISQ_E10value_typeET4_jRbjT5_SW_jjP12ihipStream_tbEUlT_E0_NS1_11comp_targetILNS1_3genE10ELNS1_11target_archE1201ELNS1_3gpuE5ELNS1_3repE0EEENS1_60segmented_radix_sort_warp_sort_medium_config_static_selectorELNS0_4arch9wavefront6targetE1EEEvSK_.has_recursion, 0
	.set _ZN7rocprim17ROCPRIM_400000_NS6detail17trampoline_kernelINS0_14default_configENS1_36segmented_radix_sort_config_selectorIslEEZNS1_25segmented_radix_sort_implIS3_Lb0EPKsPsPKlPlN2at6native12_GLOBAL__N_18offset_tEEE10hipError_tPvRmT1_PNSt15iterator_traitsISK_E10value_typeET2_T3_PNSL_ISQ_E10value_typeET4_jRbjT5_SW_jjP12ihipStream_tbEUlT_E0_NS1_11comp_targetILNS1_3genE10ELNS1_11target_archE1201ELNS1_3gpuE5ELNS1_3repE0EEENS1_60segmented_radix_sort_warp_sort_medium_config_static_selectorELNS0_4arch9wavefront6targetE1EEEvSK_.has_indirect_call, 0
	.section	.AMDGPU.csdata,"",@progbits
; Kernel info:
; codeLenInByte = 0
; TotalNumSgprs: 4
; NumVgprs: 0
; ScratchSize: 0
; MemoryBound: 0
; FloatMode: 240
; IeeeMode: 1
; LDSByteSize: 0 bytes/workgroup (compile time only)
; SGPRBlocks: 0
; VGPRBlocks: 0
; NumSGPRsForWavesPerEU: 4
; NumVGPRsForWavesPerEU: 1
; Occupancy: 10
; WaveLimiterHint : 0
; COMPUTE_PGM_RSRC2:SCRATCH_EN: 0
; COMPUTE_PGM_RSRC2:USER_SGPR: 6
; COMPUTE_PGM_RSRC2:TRAP_HANDLER: 0
; COMPUTE_PGM_RSRC2:TGID_X_EN: 1
; COMPUTE_PGM_RSRC2:TGID_Y_EN: 0
; COMPUTE_PGM_RSRC2:TGID_Z_EN: 0
; COMPUTE_PGM_RSRC2:TIDIG_COMP_CNT: 0
	.section	.text._ZN7rocprim17ROCPRIM_400000_NS6detail17trampoline_kernelINS0_14default_configENS1_36segmented_radix_sort_config_selectorIslEEZNS1_25segmented_radix_sort_implIS3_Lb0EPKsPsPKlPlN2at6native12_GLOBAL__N_18offset_tEEE10hipError_tPvRmT1_PNSt15iterator_traitsISK_E10value_typeET2_T3_PNSL_ISQ_E10value_typeET4_jRbjT5_SW_jjP12ihipStream_tbEUlT_E0_NS1_11comp_targetILNS1_3genE10ELNS1_11target_archE1200ELNS1_3gpuE4ELNS1_3repE0EEENS1_60segmented_radix_sort_warp_sort_medium_config_static_selectorELNS0_4arch9wavefront6targetE1EEEvSK_,"axG",@progbits,_ZN7rocprim17ROCPRIM_400000_NS6detail17trampoline_kernelINS0_14default_configENS1_36segmented_radix_sort_config_selectorIslEEZNS1_25segmented_radix_sort_implIS3_Lb0EPKsPsPKlPlN2at6native12_GLOBAL__N_18offset_tEEE10hipError_tPvRmT1_PNSt15iterator_traitsISK_E10value_typeET2_T3_PNSL_ISQ_E10value_typeET4_jRbjT5_SW_jjP12ihipStream_tbEUlT_E0_NS1_11comp_targetILNS1_3genE10ELNS1_11target_archE1200ELNS1_3gpuE4ELNS1_3repE0EEENS1_60segmented_radix_sort_warp_sort_medium_config_static_selectorELNS0_4arch9wavefront6targetE1EEEvSK_,comdat
	.globl	_ZN7rocprim17ROCPRIM_400000_NS6detail17trampoline_kernelINS0_14default_configENS1_36segmented_radix_sort_config_selectorIslEEZNS1_25segmented_radix_sort_implIS3_Lb0EPKsPsPKlPlN2at6native12_GLOBAL__N_18offset_tEEE10hipError_tPvRmT1_PNSt15iterator_traitsISK_E10value_typeET2_T3_PNSL_ISQ_E10value_typeET4_jRbjT5_SW_jjP12ihipStream_tbEUlT_E0_NS1_11comp_targetILNS1_3genE10ELNS1_11target_archE1200ELNS1_3gpuE4ELNS1_3repE0EEENS1_60segmented_radix_sort_warp_sort_medium_config_static_selectorELNS0_4arch9wavefront6targetE1EEEvSK_ ; -- Begin function _ZN7rocprim17ROCPRIM_400000_NS6detail17trampoline_kernelINS0_14default_configENS1_36segmented_radix_sort_config_selectorIslEEZNS1_25segmented_radix_sort_implIS3_Lb0EPKsPsPKlPlN2at6native12_GLOBAL__N_18offset_tEEE10hipError_tPvRmT1_PNSt15iterator_traitsISK_E10value_typeET2_T3_PNSL_ISQ_E10value_typeET4_jRbjT5_SW_jjP12ihipStream_tbEUlT_E0_NS1_11comp_targetILNS1_3genE10ELNS1_11target_archE1200ELNS1_3gpuE4ELNS1_3repE0EEENS1_60segmented_radix_sort_warp_sort_medium_config_static_selectorELNS0_4arch9wavefront6targetE1EEEvSK_
	.p2align	8
	.type	_ZN7rocprim17ROCPRIM_400000_NS6detail17trampoline_kernelINS0_14default_configENS1_36segmented_radix_sort_config_selectorIslEEZNS1_25segmented_radix_sort_implIS3_Lb0EPKsPsPKlPlN2at6native12_GLOBAL__N_18offset_tEEE10hipError_tPvRmT1_PNSt15iterator_traitsISK_E10value_typeET2_T3_PNSL_ISQ_E10value_typeET4_jRbjT5_SW_jjP12ihipStream_tbEUlT_E0_NS1_11comp_targetILNS1_3genE10ELNS1_11target_archE1200ELNS1_3gpuE4ELNS1_3repE0EEENS1_60segmented_radix_sort_warp_sort_medium_config_static_selectorELNS0_4arch9wavefront6targetE1EEEvSK_,@function
_ZN7rocprim17ROCPRIM_400000_NS6detail17trampoline_kernelINS0_14default_configENS1_36segmented_radix_sort_config_selectorIslEEZNS1_25segmented_radix_sort_implIS3_Lb0EPKsPsPKlPlN2at6native12_GLOBAL__N_18offset_tEEE10hipError_tPvRmT1_PNSt15iterator_traitsISK_E10value_typeET2_T3_PNSL_ISQ_E10value_typeET4_jRbjT5_SW_jjP12ihipStream_tbEUlT_E0_NS1_11comp_targetILNS1_3genE10ELNS1_11target_archE1200ELNS1_3gpuE4ELNS1_3repE0EEENS1_60segmented_radix_sort_warp_sort_medium_config_static_selectorELNS0_4arch9wavefront6targetE1EEEvSK_: ; @_ZN7rocprim17ROCPRIM_400000_NS6detail17trampoline_kernelINS0_14default_configENS1_36segmented_radix_sort_config_selectorIslEEZNS1_25segmented_radix_sort_implIS3_Lb0EPKsPsPKlPlN2at6native12_GLOBAL__N_18offset_tEEE10hipError_tPvRmT1_PNSt15iterator_traitsISK_E10value_typeET2_T3_PNSL_ISQ_E10value_typeET4_jRbjT5_SW_jjP12ihipStream_tbEUlT_E0_NS1_11comp_targetILNS1_3genE10ELNS1_11target_archE1200ELNS1_3gpuE4ELNS1_3repE0EEENS1_60segmented_radix_sort_warp_sort_medium_config_static_selectorELNS0_4arch9wavefront6targetE1EEEvSK_
; %bb.0:
	.section	.rodata,"a",@progbits
	.p2align	6, 0x0
	.amdhsa_kernel _ZN7rocprim17ROCPRIM_400000_NS6detail17trampoline_kernelINS0_14default_configENS1_36segmented_radix_sort_config_selectorIslEEZNS1_25segmented_radix_sort_implIS3_Lb0EPKsPsPKlPlN2at6native12_GLOBAL__N_18offset_tEEE10hipError_tPvRmT1_PNSt15iterator_traitsISK_E10value_typeET2_T3_PNSL_ISQ_E10value_typeET4_jRbjT5_SW_jjP12ihipStream_tbEUlT_E0_NS1_11comp_targetILNS1_3genE10ELNS1_11target_archE1200ELNS1_3gpuE4ELNS1_3repE0EEENS1_60segmented_radix_sort_warp_sort_medium_config_static_selectorELNS0_4arch9wavefront6targetE1EEEvSK_
		.amdhsa_group_segment_fixed_size 0
		.amdhsa_private_segment_fixed_size 0
		.amdhsa_kernarg_size 88
		.amdhsa_user_sgpr_count 6
		.amdhsa_user_sgpr_private_segment_buffer 1
		.amdhsa_user_sgpr_dispatch_ptr 0
		.amdhsa_user_sgpr_queue_ptr 0
		.amdhsa_user_sgpr_kernarg_segment_ptr 1
		.amdhsa_user_sgpr_dispatch_id 0
		.amdhsa_user_sgpr_flat_scratch_init 0
		.amdhsa_user_sgpr_private_segment_size 0
		.amdhsa_uses_dynamic_stack 0
		.amdhsa_system_sgpr_private_segment_wavefront_offset 0
		.amdhsa_system_sgpr_workgroup_id_x 1
		.amdhsa_system_sgpr_workgroup_id_y 0
		.amdhsa_system_sgpr_workgroup_id_z 0
		.amdhsa_system_sgpr_workgroup_info 0
		.amdhsa_system_vgpr_workitem_id 0
		.amdhsa_next_free_vgpr 1
		.amdhsa_next_free_sgpr 0
		.amdhsa_reserve_vcc 0
		.amdhsa_reserve_flat_scratch 0
		.amdhsa_float_round_mode_32 0
		.amdhsa_float_round_mode_16_64 0
		.amdhsa_float_denorm_mode_32 3
		.amdhsa_float_denorm_mode_16_64 3
		.amdhsa_dx10_clamp 1
		.amdhsa_ieee_mode 1
		.amdhsa_fp16_overflow 0
		.amdhsa_exception_fp_ieee_invalid_op 0
		.amdhsa_exception_fp_denorm_src 0
		.amdhsa_exception_fp_ieee_div_zero 0
		.amdhsa_exception_fp_ieee_overflow 0
		.amdhsa_exception_fp_ieee_underflow 0
		.amdhsa_exception_fp_ieee_inexact 0
		.amdhsa_exception_int_div_zero 0
	.end_amdhsa_kernel
	.section	.text._ZN7rocprim17ROCPRIM_400000_NS6detail17trampoline_kernelINS0_14default_configENS1_36segmented_radix_sort_config_selectorIslEEZNS1_25segmented_radix_sort_implIS3_Lb0EPKsPsPKlPlN2at6native12_GLOBAL__N_18offset_tEEE10hipError_tPvRmT1_PNSt15iterator_traitsISK_E10value_typeET2_T3_PNSL_ISQ_E10value_typeET4_jRbjT5_SW_jjP12ihipStream_tbEUlT_E0_NS1_11comp_targetILNS1_3genE10ELNS1_11target_archE1200ELNS1_3gpuE4ELNS1_3repE0EEENS1_60segmented_radix_sort_warp_sort_medium_config_static_selectorELNS0_4arch9wavefront6targetE1EEEvSK_,"axG",@progbits,_ZN7rocprim17ROCPRIM_400000_NS6detail17trampoline_kernelINS0_14default_configENS1_36segmented_radix_sort_config_selectorIslEEZNS1_25segmented_radix_sort_implIS3_Lb0EPKsPsPKlPlN2at6native12_GLOBAL__N_18offset_tEEE10hipError_tPvRmT1_PNSt15iterator_traitsISK_E10value_typeET2_T3_PNSL_ISQ_E10value_typeET4_jRbjT5_SW_jjP12ihipStream_tbEUlT_E0_NS1_11comp_targetILNS1_3genE10ELNS1_11target_archE1200ELNS1_3gpuE4ELNS1_3repE0EEENS1_60segmented_radix_sort_warp_sort_medium_config_static_selectorELNS0_4arch9wavefront6targetE1EEEvSK_,comdat
.Lfunc_end1031:
	.size	_ZN7rocprim17ROCPRIM_400000_NS6detail17trampoline_kernelINS0_14default_configENS1_36segmented_radix_sort_config_selectorIslEEZNS1_25segmented_radix_sort_implIS3_Lb0EPKsPsPKlPlN2at6native12_GLOBAL__N_18offset_tEEE10hipError_tPvRmT1_PNSt15iterator_traitsISK_E10value_typeET2_T3_PNSL_ISQ_E10value_typeET4_jRbjT5_SW_jjP12ihipStream_tbEUlT_E0_NS1_11comp_targetILNS1_3genE10ELNS1_11target_archE1200ELNS1_3gpuE4ELNS1_3repE0EEENS1_60segmented_radix_sort_warp_sort_medium_config_static_selectorELNS0_4arch9wavefront6targetE1EEEvSK_, .Lfunc_end1031-_ZN7rocprim17ROCPRIM_400000_NS6detail17trampoline_kernelINS0_14default_configENS1_36segmented_radix_sort_config_selectorIslEEZNS1_25segmented_radix_sort_implIS3_Lb0EPKsPsPKlPlN2at6native12_GLOBAL__N_18offset_tEEE10hipError_tPvRmT1_PNSt15iterator_traitsISK_E10value_typeET2_T3_PNSL_ISQ_E10value_typeET4_jRbjT5_SW_jjP12ihipStream_tbEUlT_E0_NS1_11comp_targetILNS1_3genE10ELNS1_11target_archE1200ELNS1_3gpuE4ELNS1_3repE0EEENS1_60segmented_radix_sort_warp_sort_medium_config_static_selectorELNS0_4arch9wavefront6targetE1EEEvSK_
                                        ; -- End function
	.set _ZN7rocprim17ROCPRIM_400000_NS6detail17trampoline_kernelINS0_14default_configENS1_36segmented_radix_sort_config_selectorIslEEZNS1_25segmented_radix_sort_implIS3_Lb0EPKsPsPKlPlN2at6native12_GLOBAL__N_18offset_tEEE10hipError_tPvRmT1_PNSt15iterator_traitsISK_E10value_typeET2_T3_PNSL_ISQ_E10value_typeET4_jRbjT5_SW_jjP12ihipStream_tbEUlT_E0_NS1_11comp_targetILNS1_3genE10ELNS1_11target_archE1200ELNS1_3gpuE4ELNS1_3repE0EEENS1_60segmented_radix_sort_warp_sort_medium_config_static_selectorELNS0_4arch9wavefront6targetE1EEEvSK_.num_vgpr, 0
	.set _ZN7rocprim17ROCPRIM_400000_NS6detail17trampoline_kernelINS0_14default_configENS1_36segmented_radix_sort_config_selectorIslEEZNS1_25segmented_radix_sort_implIS3_Lb0EPKsPsPKlPlN2at6native12_GLOBAL__N_18offset_tEEE10hipError_tPvRmT1_PNSt15iterator_traitsISK_E10value_typeET2_T3_PNSL_ISQ_E10value_typeET4_jRbjT5_SW_jjP12ihipStream_tbEUlT_E0_NS1_11comp_targetILNS1_3genE10ELNS1_11target_archE1200ELNS1_3gpuE4ELNS1_3repE0EEENS1_60segmented_radix_sort_warp_sort_medium_config_static_selectorELNS0_4arch9wavefront6targetE1EEEvSK_.num_agpr, 0
	.set _ZN7rocprim17ROCPRIM_400000_NS6detail17trampoline_kernelINS0_14default_configENS1_36segmented_radix_sort_config_selectorIslEEZNS1_25segmented_radix_sort_implIS3_Lb0EPKsPsPKlPlN2at6native12_GLOBAL__N_18offset_tEEE10hipError_tPvRmT1_PNSt15iterator_traitsISK_E10value_typeET2_T3_PNSL_ISQ_E10value_typeET4_jRbjT5_SW_jjP12ihipStream_tbEUlT_E0_NS1_11comp_targetILNS1_3genE10ELNS1_11target_archE1200ELNS1_3gpuE4ELNS1_3repE0EEENS1_60segmented_radix_sort_warp_sort_medium_config_static_selectorELNS0_4arch9wavefront6targetE1EEEvSK_.numbered_sgpr, 0
	.set _ZN7rocprim17ROCPRIM_400000_NS6detail17trampoline_kernelINS0_14default_configENS1_36segmented_radix_sort_config_selectorIslEEZNS1_25segmented_radix_sort_implIS3_Lb0EPKsPsPKlPlN2at6native12_GLOBAL__N_18offset_tEEE10hipError_tPvRmT1_PNSt15iterator_traitsISK_E10value_typeET2_T3_PNSL_ISQ_E10value_typeET4_jRbjT5_SW_jjP12ihipStream_tbEUlT_E0_NS1_11comp_targetILNS1_3genE10ELNS1_11target_archE1200ELNS1_3gpuE4ELNS1_3repE0EEENS1_60segmented_radix_sort_warp_sort_medium_config_static_selectorELNS0_4arch9wavefront6targetE1EEEvSK_.num_named_barrier, 0
	.set _ZN7rocprim17ROCPRIM_400000_NS6detail17trampoline_kernelINS0_14default_configENS1_36segmented_radix_sort_config_selectorIslEEZNS1_25segmented_radix_sort_implIS3_Lb0EPKsPsPKlPlN2at6native12_GLOBAL__N_18offset_tEEE10hipError_tPvRmT1_PNSt15iterator_traitsISK_E10value_typeET2_T3_PNSL_ISQ_E10value_typeET4_jRbjT5_SW_jjP12ihipStream_tbEUlT_E0_NS1_11comp_targetILNS1_3genE10ELNS1_11target_archE1200ELNS1_3gpuE4ELNS1_3repE0EEENS1_60segmented_radix_sort_warp_sort_medium_config_static_selectorELNS0_4arch9wavefront6targetE1EEEvSK_.private_seg_size, 0
	.set _ZN7rocprim17ROCPRIM_400000_NS6detail17trampoline_kernelINS0_14default_configENS1_36segmented_radix_sort_config_selectorIslEEZNS1_25segmented_radix_sort_implIS3_Lb0EPKsPsPKlPlN2at6native12_GLOBAL__N_18offset_tEEE10hipError_tPvRmT1_PNSt15iterator_traitsISK_E10value_typeET2_T3_PNSL_ISQ_E10value_typeET4_jRbjT5_SW_jjP12ihipStream_tbEUlT_E0_NS1_11comp_targetILNS1_3genE10ELNS1_11target_archE1200ELNS1_3gpuE4ELNS1_3repE0EEENS1_60segmented_radix_sort_warp_sort_medium_config_static_selectorELNS0_4arch9wavefront6targetE1EEEvSK_.uses_vcc, 0
	.set _ZN7rocprim17ROCPRIM_400000_NS6detail17trampoline_kernelINS0_14default_configENS1_36segmented_radix_sort_config_selectorIslEEZNS1_25segmented_radix_sort_implIS3_Lb0EPKsPsPKlPlN2at6native12_GLOBAL__N_18offset_tEEE10hipError_tPvRmT1_PNSt15iterator_traitsISK_E10value_typeET2_T3_PNSL_ISQ_E10value_typeET4_jRbjT5_SW_jjP12ihipStream_tbEUlT_E0_NS1_11comp_targetILNS1_3genE10ELNS1_11target_archE1200ELNS1_3gpuE4ELNS1_3repE0EEENS1_60segmented_radix_sort_warp_sort_medium_config_static_selectorELNS0_4arch9wavefront6targetE1EEEvSK_.uses_flat_scratch, 0
	.set _ZN7rocprim17ROCPRIM_400000_NS6detail17trampoline_kernelINS0_14default_configENS1_36segmented_radix_sort_config_selectorIslEEZNS1_25segmented_radix_sort_implIS3_Lb0EPKsPsPKlPlN2at6native12_GLOBAL__N_18offset_tEEE10hipError_tPvRmT1_PNSt15iterator_traitsISK_E10value_typeET2_T3_PNSL_ISQ_E10value_typeET4_jRbjT5_SW_jjP12ihipStream_tbEUlT_E0_NS1_11comp_targetILNS1_3genE10ELNS1_11target_archE1200ELNS1_3gpuE4ELNS1_3repE0EEENS1_60segmented_radix_sort_warp_sort_medium_config_static_selectorELNS0_4arch9wavefront6targetE1EEEvSK_.has_dyn_sized_stack, 0
	.set _ZN7rocprim17ROCPRIM_400000_NS6detail17trampoline_kernelINS0_14default_configENS1_36segmented_radix_sort_config_selectorIslEEZNS1_25segmented_radix_sort_implIS3_Lb0EPKsPsPKlPlN2at6native12_GLOBAL__N_18offset_tEEE10hipError_tPvRmT1_PNSt15iterator_traitsISK_E10value_typeET2_T3_PNSL_ISQ_E10value_typeET4_jRbjT5_SW_jjP12ihipStream_tbEUlT_E0_NS1_11comp_targetILNS1_3genE10ELNS1_11target_archE1200ELNS1_3gpuE4ELNS1_3repE0EEENS1_60segmented_radix_sort_warp_sort_medium_config_static_selectorELNS0_4arch9wavefront6targetE1EEEvSK_.has_recursion, 0
	.set _ZN7rocprim17ROCPRIM_400000_NS6detail17trampoline_kernelINS0_14default_configENS1_36segmented_radix_sort_config_selectorIslEEZNS1_25segmented_radix_sort_implIS3_Lb0EPKsPsPKlPlN2at6native12_GLOBAL__N_18offset_tEEE10hipError_tPvRmT1_PNSt15iterator_traitsISK_E10value_typeET2_T3_PNSL_ISQ_E10value_typeET4_jRbjT5_SW_jjP12ihipStream_tbEUlT_E0_NS1_11comp_targetILNS1_3genE10ELNS1_11target_archE1200ELNS1_3gpuE4ELNS1_3repE0EEENS1_60segmented_radix_sort_warp_sort_medium_config_static_selectorELNS0_4arch9wavefront6targetE1EEEvSK_.has_indirect_call, 0
	.section	.AMDGPU.csdata,"",@progbits
; Kernel info:
; codeLenInByte = 0
; TotalNumSgprs: 4
; NumVgprs: 0
; ScratchSize: 0
; MemoryBound: 0
; FloatMode: 240
; IeeeMode: 1
; LDSByteSize: 0 bytes/workgroup (compile time only)
; SGPRBlocks: 0
; VGPRBlocks: 0
; NumSGPRsForWavesPerEU: 4
; NumVGPRsForWavesPerEU: 1
; Occupancy: 10
; WaveLimiterHint : 0
; COMPUTE_PGM_RSRC2:SCRATCH_EN: 0
; COMPUTE_PGM_RSRC2:USER_SGPR: 6
; COMPUTE_PGM_RSRC2:TRAP_HANDLER: 0
; COMPUTE_PGM_RSRC2:TGID_X_EN: 1
; COMPUTE_PGM_RSRC2:TGID_Y_EN: 0
; COMPUTE_PGM_RSRC2:TGID_Z_EN: 0
; COMPUTE_PGM_RSRC2:TIDIG_COMP_CNT: 0
	.section	.text._ZN7rocprim17ROCPRIM_400000_NS6detail17trampoline_kernelINS0_14default_configENS1_36segmented_radix_sort_config_selectorIslEEZNS1_25segmented_radix_sort_implIS3_Lb0EPKsPsPKlPlN2at6native12_GLOBAL__N_18offset_tEEE10hipError_tPvRmT1_PNSt15iterator_traitsISK_E10value_typeET2_T3_PNSL_ISQ_E10value_typeET4_jRbjT5_SW_jjP12ihipStream_tbEUlT_E0_NS1_11comp_targetILNS1_3genE9ELNS1_11target_archE1100ELNS1_3gpuE3ELNS1_3repE0EEENS1_60segmented_radix_sort_warp_sort_medium_config_static_selectorELNS0_4arch9wavefront6targetE1EEEvSK_,"axG",@progbits,_ZN7rocprim17ROCPRIM_400000_NS6detail17trampoline_kernelINS0_14default_configENS1_36segmented_radix_sort_config_selectorIslEEZNS1_25segmented_radix_sort_implIS3_Lb0EPKsPsPKlPlN2at6native12_GLOBAL__N_18offset_tEEE10hipError_tPvRmT1_PNSt15iterator_traitsISK_E10value_typeET2_T3_PNSL_ISQ_E10value_typeET4_jRbjT5_SW_jjP12ihipStream_tbEUlT_E0_NS1_11comp_targetILNS1_3genE9ELNS1_11target_archE1100ELNS1_3gpuE3ELNS1_3repE0EEENS1_60segmented_radix_sort_warp_sort_medium_config_static_selectorELNS0_4arch9wavefront6targetE1EEEvSK_,comdat
	.globl	_ZN7rocprim17ROCPRIM_400000_NS6detail17trampoline_kernelINS0_14default_configENS1_36segmented_radix_sort_config_selectorIslEEZNS1_25segmented_radix_sort_implIS3_Lb0EPKsPsPKlPlN2at6native12_GLOBAL__N_18offset_tEEE10hipError_tPvRmT1_PNSt15iterator_traitsISK_E10value_typeET2_T3_PNSL_ISQ_E10value_typeET4_jRbjT5_SW_jjP12ihipStream_tbEUlT_E0_NS1_11comp_targetILNS1_3genE9ELNS1_11target_archE1100ELNS1_3gpuE3ELNS1_3repE0EEENS1_60segmented_radix_sort_warp_sort_medium_config_static_selectorELNS0_4arch9wavefront6targetE1EEEvSK_ ; -- Begin function _ZN7rocprim17ROCPRIM_400000_NS6detail17trampoline_kernelINS0_14default_configENS1_36segmented_radix_sort_config_selectorIslEEZNS1_25segmented_radix_sort_implIS3_Lb0EPKsPsPKlPlN2at6native12_GLOBAL__N_18offset_tEEE10hipError_tPvRmT1_PNSt15iterator_traitsISK_E10value_typeET2_T3_PNSL_ISQ_E10value_typeET4_jRbjT5_SW_jjP12ihipStream_tbEUlT_E0_NS1_11comp_targetILNS1_3genE9ELNS1_11target_archE1100ELNS1_3gpuE3ELNS1_3repE0EEENS1_60segmented_radix_sort_warp_sort_medium_config_static_selectorELNS0_4arch9wavefront6targetE1EEEvSK_
	.p2align	8
	.type	_ZN7rocprim17ROCPRIM_400000_NS6detail17trampoline_kernelINS0_14default_configENS1_36segmented_radix_sort_config_selectorIslEEZNS1_25segmented_radix_sort_implIS3_Lb0EPKsPsPKlPlN2at6native12_GLOBAL__N_18offset_tEEE10hipError_tPvRmT1_PNSt15iterator_traitsISK_E10value_typeET2_T3_PNSL_ISQ_E10value_typeET4_jRbjT5_SW_jjP12ihipStream_tbEUlT_E0_NS1_11comp_targetILNS1_3genE9ELNS1_11target_archE1100ELNS1_3gpuE3ELNS1_3repE0EEENS1_60segmented_radix_sort_warp_sort_medium_config_static_selectorELNS0_4arch9wavefront6targetE1EEEvSK_,@function
_ZN7rocprim17ROCPRIM_400000_NS6detail17trampoline_kernelINS0_14default_configENS1_36segmented_radix_sort_config_selectorIslEEZNS1_25segmented_radix_sort_implIS3_Lb0EPKsPsPKlPlN2at6native12_GLOBAL__N_18offset_tEEE10hipError_tPvRmT1_PNSt15iterator_traitsISK_E10value_typeET2_T3_PNSL_ISQ_E10value_typeET4_jRbjT5_SW_jjP12ihipStream_tbEUlT_E0_NS1_11comp_targetILNS1_3genE9ELNS1_11target_archE1100ELNS1_3gpuE3ELNS1_3repE0EEENS1_60segmented_radix_sort_warp_sort_medium_config_static_selectorELNS0_4arch9wavefront6targetE1EEEvSK_: ; @_ZN7rocprim17ROCPRIM_400000_NS6detail17trampoline_kernelINS0_14default_configENS1_36segmented_radix_sort_config_selectorIslEEZNS1_25segmented_radix_sort_implIS3_Lb0EPKsPsPKlPlN2at6native12_GLOBAL__N_18offset_tEEE10hipError_tPvRmT1_PNSt15iterator_traitsISK_E10value_typeET2_T3_PNSL_ISQ_E10value_typeET4_jRbjT5_SW_jjP12ihipStream_tbEUlT_E0_NS1_11comp_targetILNS1_3genE9ELNS1_11target_archE1100ELNS1_3gpuE3ELNS1_3repE0EEENS1_60segmented_radix_sort_warp_sort_medium_config_static_selectorELNS0_4arch9wavefront6targetE1EEEvSK_
; %bb.0:
	.section	.rodata,"a",@progbits
	.p2align	6, 0x0
	.amdhsa_kernel _ZN7rocprim17ROCPRIM_400000_NS6detail17trampoline_kernelINS0_14default_configENS1_36segmented_radix_sort_config_selectorIslEEZNS1_25segmented_radix_sort_implIS3_Lb0EPKsPsPKlPlN2at6native12_GLOBAL__N_18offset_tEEE10hipError_tPvRmT1_PNSt15iterator_traitsISK_E10value_typeET2_T3_PNSL_ISQ_E10value_typeET4_jRbjT5_SW_jjP12ihipStream_tbEUlT_E0_NS1_11comp_targetILNS1_3genE9ELNS1_11target_archE1100ELNS1_3gpuE3ELNS1_3repE0EEENS1_60segmented_radix_sort_warp_sort_medium_config_static_selectorELNS0_4arch9wavefront6targetE1EEEvSK_
		.amdhsa_group_segment_fixed_size 0
		.amdhsa_private_segment_fixed_size 0
		.amdhsa_kernarg_size 88
		.amdhsa_user_sgpr_count 6
		.amdhsa_user_sgpr_private_segment_buffer 1
		.amdhsa_user_sgpr_dispatch_ptr 0
		.amdhsa_user_sgpr_queue_ptr 0
		.amdhsa_user_sgpr_kernarg_segment_ptr 1
		.amdhsa_user_sgpr_dispatch_id 0
		.amdhsa_user_sgpr_flat_scratch_init 0
		.amdhsa_user_sgpr_private_segment_size 0
		.amdhsa_uses_dynamic_stack 0
		.amdhsa_system_sgpr_private_segment_wavefront_offset 0
		.amdhsa_system_sgpr_workgroup_id_x 1
		.amdhsa_system_sgpr_workgroup_id_y 0
		.amdhsa_system_sgpr_workgroup_id_z 0
		.amdhsa_system_sgpr_workgroup_info 0
		.amdhsa_system_vgpr_workitem_id 0
		.amdhsa_next_free_vgpr 1
		.amdhsa_next_free_sgpr 0
		.amdhsa_reserve_vcc 0
		.amdhsa_reserve_flat_scratch 0
		.amdhsa_float_round_mode_32 0
		.amdhsa_float_round_mode_16_64 0
		.amdhsa_float_denorm_mode_32 3
		.amdhsa_float_denorm_mode_16_64 3
		.amdhsa_dx10_clamp 1
		.amdhsa_ieee_mode 1
		.amdhsa_fp16_overflow 0
		.amdhsa_exception_fp_ieee_invalid_op 0
		.amdhsa_exception_fp_denorm_src 0
		.amdhsa_exception_fp_ieee_div_zero 0
		.amdhsa_exception_fp_ieee_overflow 0
		.amdhsa_exception_fp_ieee_underflow 0
		.amdhsa_exception_fp_ieee_inexact 0
		.amdhsa_exception_int_div_zero 0
	.end_amdhsa_kernel
	.section	.text._ZN7rocprim17ROCPRIM_400000_NS6detail17trampoline_kernelINS0_14default_configENS1_36segmented_radix_sort_config_selectorIslEEZNS1_25segmented_radix_sort_implIS3_Lb0EPKsPsPKlPlN2at6native12_GLOBAL__N_18offset_tEEE10hipError_tPvRmT1_PNSt15iterator_traitsISK_E10value_typeET2_T3_PNSL_ISQ_E10value_typeET4_jRbjT5_SW_jjP12ihipStream_tbEUlT_E0_NS1_11comp_targetILNS1_3genE9ELNS1_11target_archE1100ELNS1_3gpuE3ELNS1_3repE0EEENS1_60segmented_radix_sort_warp_sort_medium_config_static_selectorELNS0_4arch9wavefront6targetE1EEEvSK_,"axG",@progbits,_ZN7rocprim17ROCPRIM_400000_NS6detail17trampoline_kernelINS0_14default_configENS1_36segmented_radix_sort_config_selectorIslEEZNS1_25segmented_radix_sort_implIS3_Lb0EPKsPsPKlPlN2at6native12_GLOBAL__N_18offset_tEEE10hipError_tPvRmT1_PNSt15iterator_traitsISK_E10value_typeET2_T3_PNSL_ISQ_E10value_typeET4_jRbjT5_SW_jjP12ihipStream_tbEUlT_E0_NS1_11comp_targetILNS1_3genE9ELNS1_11target_archE1100ELNS1_3gpuE3ELNS1_3repE0EEENS1_60segmented_radix_sort_warp_sort_medium_config_static_selectorELNS0_4arch9wavefront6targetE1EEEvSK_,comdat
.Lfunc_end1032:
	.size	_ZN7rocprim17ROCPRIM_400000_NS6detail17trampoline_kernelINS0_14default_configENS1_36segmented_radix_sort_config_selectorIslEEZNS1_25segmented_radix_sort_implIS3_Lb0EPKsPsPKlPlN2at6native12_GLOBAL__N_18offset_tEEE10hipError_tPvRmT1_PNSt15iterator_traitsISK_E10value_typeET2_T3_PNSL_ISQ_E10value_typeET4_jRbjT5_SW_jjP12ihipStream_tbEUlT_E0_NS1_11comp_targetILNS1_3genE9ELNS1_11target_archE1100ELNS1_3gpuE3ELNS1_3repE0EEENS1_60segmented_radix_sort_warp_sort_medium_config_static_selectorELNS0_4arch9wavefront6targetE1EEEvSK_, .Lfunc_end1032-_ZN7rocprim17ROCPRIM_400000_NS6detail17trampoline_kernelINS0_14default_configENS1_36segmented_radix_sort_config_selectorIslEEZNS1_25segmented_radix_sort_implIS3_Lb0EPKsPsPKlPlN2at6native12_GLOBAL__N_18offset_tEEE10hipError_tPvRmT1_PNSt15iterator_traitsISK_E10value_typeET2_T3_PNSL_ISQ_E10value_typeET4_jRbjT5_SW_jjP12ihipStream_tbEUlT_E0_NS1_11comp_targetILNS1_3genE9ELNS1_11target_archE1100ELNS1_3gpuE3ELNS1_3repE0EEENS1_60segmented_radix_sort_warp_sort_medium_config_static_selectorELNS0_4arch9wavefront6targetE1EEEvSK_
                                        ; -- End function
	.set _ZN7rocprim17ROCPRIM_400000_NS6detail17trampoline_kernelINS0_14default_configENS1_36segmented_radix_sort_config_selectorIslEEZNS1_25segmented_radix_sort_implIS3_Lb0EPKsPsPKlPlN2at6native12_GLOBAL__N_18offset_tEEE10hipError_tPvRmT1_PNSt15iterator_traitsISK_E10value_typeET2_T3_PNSL_ISQ_E10value_typeET4_jRbjT5_SW_jjP12ihipStream_tbEUlT_E0_NS1_11comp_targetILNS1_3genE9ELNS1_11target_archE1100ELNS1_3gpuE3ELNS1_3repE0EEENS1_60segmented_radix_sort_warp_sort_medium_config_static_selectorELNS0_4arch9wavefront6targetE1EEEvSK_.num_vgpr, 0
	.set _ZN7rocprim17ROCPRIM_400000_NS6detail17trampoline_kernelINS0_14default_configENS1_36segmented_radix_sort_config_selectorIslEEZNS1_25segmented_radix_sort_implIS3_Lb0EPKsPsPKlPlN2at6native12_GLOBAL__N_18offset_tEEE10hipError_tPvRmT1_PNSt15iterator_traitsISK_E10value_typeET2_T3_PNSL_ISQ_E10value_typeET4_jRbjT5_SW_jjP12ihipStream_tbEUlT_E0_NS1_11comp_targetILNS1_3genE9ELNS1_11target_archE1100ELNS1_3gpuE3ELNS1_3repE0EEENS1_60segmented_radix_sort_warp_sort_medium_config_static_selectorELNS0_4arch9wavefront6targetE1EEEvSK_.num_agpr, 0
	.set _ZN7rocprim17ROCPRIM_400000_NS6detail17trampoline_kernelINS0_14default_configENS1_36segmented_radix_sort_config_selectorIslEEZNS1_25segmented_radix_sort_implIS3_Lb0EPKsPsPKlPlN2at6native12_GLOBAL__N_18offset_tEEE10hipError_tPvRmT1_PNSt15iterator_traitsISK_E10value_typeET2_T3_PNSL_ISQ_E10value_typeET4_jRbjT5_SW_jjP12ihipStream_tbEUlT_E0_NS1_11comp_targetILNS1_3genE9ELNS1_11target_archE1100ELNS1_3gpuE3ELNS1_3repE0EEENS1_60segmented_radix_sort_warp_sort_medium_config_static_selectorELNS0_4arch9wavefront6targetE1EEEvSK_.numbered_sgpr, 0
	.set _ZN7rocprim17ROCPRIM_400000_NS6detail17trampoline_kernelINS0_14default_configENS1_36segmented_radix_sort_config_selectorIslEEZNS1_25segmented_radix_sort_implIS3_Lb0EPKsPsPKlPlN2at6native12_GLOBAL__N_18offset_tEEE10hipError_tPvRmT1_PNSt15iterator_traitsISK_E10value_typeET2_T3_PNSL_ISQ_E10value_typeET4_jRbjT5_SW_jjP12ihipStream_tbEUlT_E0_NS1_11comp_targetILNS1_3genE9ELNS1_11target_archE1100ELNS1_3gpuE3ELNS1_3repE0EEENS1_60segmented_radix_sort_warp_sort_medium_config_static_selectorELNS0_4arch9wavefront6targetE1EEEvSK_.num_named_barrier, 0
	.set _ZN7rocprim17ROCPRIM_400000_NS6detail17trampoline_kernelINS0_14default_configENS1_36segmented_radix_sort_config_selectorIslEEZNS1_25segmented_radix_sort_implIS3_Lb0EPKsPsPKlPlN2at6native12_GLOBAL__N_18offset_tEEE10hipError_tPvRmT1_PNSt15iterator_traitsISK_E10value_typeET2_T3_PNSL_ISQ_E10value_typeET4_jRbjT5_SW_jjP12ihipStream_tbEUlT_E0_NS1_11comp_targetILNS1_3genE9ELNS1_11target_archE1100ELNS1_3gpuE3ELNS1_3repE0EEENS1_60segmented_radix_sort_warp_sort_medium_config_static_selectorELNS0_4arch9wavefront6targetE1EEEvSK_.private_seg_size, 0
	.set _ZN7rocprim17ROCPRIM_400000_NS6detail17trampoline_kernelINS0_14default_configENS1_36segmented_radix_sort_config_selectorIslEEZNS1_25segmented_radix_sort_implIS3_Lb0EPKsPsPKlPlN2at6native12_GLOBAL__N_18offset_tEEE10hipError_tPvRmT1_PNSt15iterator_traitsISK_E10value_typeET2_T3_PNSL_ISQ_E10value_typeET4_jRbjT5_SW_jjP12ihipStream_tbEUlT_E0_NS1_11comp_targetILNS1_3genE9ELNS1_11target_archE1100ELNS1_3gpuE3ELNS1_3repE0EEENS1_60segmented_radix_sort_warp_sort_medium_config_static_selectorELNS0_4arch9wavefront6targetE1EEEvSK_.uses_vcc, 0
	.set _ZN7rocprim17ROCPRIM_400000_NS6detail17trampoline_kernelINS0_14default_configENS1_36segmented_radix_sort_config_selectorIslEEZNS1_25segmented_radix_sort_implIS3_Lb0EPKsPsPKlPlN2at6native12_GLOBAL__N_18offset_tEEE10hipError_tPvRmT1_PNSt15iterator_traitsISK_E10value_typeET2_T3_PNSL_ISQ_E10value_typeET4_jRbjT5_SW_jjP12ihipStream_tbEUlT_E0_NS1_11comp_targetILNS1_3genE9ELNS1_11target_archE1100ELNS1_3gpuE3ELNS1_3repE0EEENS1_60segmented_radix_sort_warp_sort_medium_config_static_selectorELNS0_4arch9wavefront6targetE1EEEvSK_.uses_flat_scratch, 0
	.set _ZN7rocprim17ROCPRIM_400000_NS6detail17trampoline_kernelINS0_14default_configENS1_36segmented_radix_sort_config_selectorIslEEZNS1_25segmented_radix_sort_implIS3_Lb0EPKsPsPKlPlN2at6native12_GLOBAL__N_18offset_tEEE10hipError_tPvRmT1_PNSt15iterator_traitsISK_E10value_typeET2_T3_PNSL_ISQ_E10value_typeET4_jRbjT5_SW_jjP12ihipStream_tbEUlT_E0_NS1_11comp_targetILNS1_3genE9ELNS1_11target_archE1100ELNS1_3gpuE3ELNS1_3repE0EEENS1_60segmented_radix_sort_warp_sort_medium_config_static_selectorELNS0_4arch9wavefront6targetE1EEEvSK_.has_dyn_sized_stack, 0
	.set _ZN7rocprim17ROCPRIM_400000_NS6detail17trampoline_kernelINS0_14default_configENS1_36segmented_radix_sort_config_selectorIslEEZNS1_25segmented_radix_sort_implIS3_Lb0EPKsPsPKlPlN2at6native12_GLOBAL__N_18offset_tEEE10hipError_tPvRmT1_PNSt15iterator_traitsISK_E10value_typeET2_T3_PNSL_ISQ_E10value_typeET4_jRbjT5_SW_jjP12ihipStream_tbEUlT_E0_NS1_11comp_targetILNS1_3genE9ELNS1_11target_archE1100ELNS1_3gpuE3ELNS1_3repE0EEENS1_60segmented_radix_sort_warp_sort_medium_config_static_selectorELNS0_4arch9wavefront6targetE1EEEvSK_.has_recursion, 0
	.set _ZN7rocprim17ROCPRIM_400000_NS6detail17trampoline_kernelINS0_14default_configENS1_36segmented_radix_sort_config_selectorIslEEZNS1_25segmented_radix_sort_implIS3_Lb0EPKsPsPKlPlN2at6native12_GLOBAL__N_18offset_tEEE10hipError_tPvRmT1_PNSt15iterator_traitsISK_E10value_typeET2_T3_PNSL_ISQ_E10value_typeET4_jRbjT5_SW_jjP12ihipStream_tbEUlT_E0_NS1_11comp_targetILNS1_3genE9ELNS1_11target_archE1100ELNS1_3gpuE3ELNS1_3repE0EEENS1_60segmented_radix_sort_warp_sort_medium_config_static_selectorELNS0_4arch9wavefront6targetE1EEEvSK_.has_indirect_call, 0
	.section	.AMDGPU.csdata,"",@progbits
; Kernel info:
; codeLenInByte = 0
; TotalNumSgprs: 4
; NumVgprs: 0
; ScratchSize: 0
; MemoryBound: 0
; FloatMode: 240
; IeeeMode: 1
; LDSByteSize: 0 bytes/workgroup (compile time only)
; SGPRBlocks: 0
; VGPRBlocks: 0
; NumSGPRsForWavesPerEU: 4
; NumVGPRsForWavesPerEU: 1
; Occupancy: 10
; WaveLimiterHint : 0
; COMPUTE_PGM_RSRC2:SCRATCH_EN: 0
; COMPUTE_PGM_RSRC2:USER_SGPR: 6
; COMPUTE_PGM_RSRC2:TRAP_HANDLER: 0
; COMPUTE_PGM_RSRC2:TGID_X_EN: 1
; COMPUTE_PGM_RSRC2:TGID_Y_EN: 0
; COMPUTE_PGM_RSRC2:TGID_Z_EN: 0
; COMPUTE_PGM_RSRC2:TIDIG_COMP_CNT: 0
	.section	.text._ZN7rocprim17ROCPRIM_400000_NS6detail17trampoline_kernelINS0_14default_configENS1_36segmented_radix_sort_config_selectorIslEEZNS1_25segmented_radix_sort_implIS3_Lb0EPKsPsPKlPlN2at6native12_GLOBAL__N_18offset_tEEE10hipError_tPvRmT1_PNSt15iterator_traitsISK_E10value_typeET2_T3_PNSL_ISQ_E10value_typeET4_jRbjT5_SW_jjP12ihipStream_tbEUlT_E0_NS1_11comp_targetILNS1_3genE8ELNS1_11target_archE1030ELNS1_3gpuE2ELNS1_3repE0EEENS1_60segmented_radix_sort_warp_sort_medium_config_static_selectorELNS0_4arch9wavefront6targetE1EEEvSK_,"axG",@progbits,_ZN7rocprim17ROCPRIM_400000_NS6detail17trampoline_kernelINS0_14default_configENS1_36segmented_radix_sort_config_selectorIslEEZNS1_25segmented_radix_sort_implIS3_Lb0EPKsPsPKlPlN2at6native12_GLOBAL__N_18offset_tEEE10hipError_tPvRmT1_PNSt15iterator_traitsISK_E10value_typeET2_T3_PNSL_ISQ_E10value_typeET4_jRbjT5_SW_jjP12ihipStream_tbEUlT_E0_NS1_11comp_targetILNS1_3genE8ELNS1_11target_archE1030ELNS1_3gpuE2ELNS1_3repE0EEENS1_60segmented_radix_sort_warp_sort_medium_config_static_selectorELNS0_4arch9wavefront6targetE1EEEvSK_,comdat
	.globl	_ZN7rocprim17ROCPRIM_400000_NS6detail17trampoline_kernelINS0_14default_configENS1_36segmented_radix_sort_config_selectorIslEEZNS1_25segmented_radix_sort_implIS3_Lb0EPKsPsPKlPlN2at6native12_GLOBAL__N_18offset_tEEE10hipError_tPvRmT1_PNSt15iterator_traitsISK_E10value_typeET2_T3_PNSL_ISQ_E10value_typeET4_jRbjT5_SW_jjP12ihipStream_tbEUlT_E0_NS1_11comp_targetILNS1_3genE8ELNS1_11target_archE1030ELNS1_3gpuE2ELNS1_3repE0EEENS1_60segmented_radix_sort_warp_sort_medium_config_static_selectorELNS0_4arch9wavefront6targetE1EEEvSK_ ; -- Begin function _ZN7rocprim17ROCPRIM_400000_NS6detail17trampoline_kernelINS0_14default_configENS1_36segmented_radix_sort_config_selectorIslEEZNS1_25segmented_radix_sort_implIS3_Lb0EPKsPsPKlPlN2at6native12_GLOBAL__N_18offset_tEEE10hipError_tPvRmT1_PNSt15iterator_traitsISK_E10value_typeET2_T3_PNSL_ISQ_E10value_typeET4_jRbjT5_SW_jjP12ihipStream_tbEUlT_E0_NS1_11comp_targetILNS1_3genE8ELNS1_11target_archE1030ELNS1_3gpuE2ELNS1_3repE0EEENS1_60segmented_radix_sort_warp_sort_medium_config_static_selectorELNS0_4arch9wavefront6targetE1EEEvSK_
	.p2align	8
	.type	_ZN7rocprim17ROCPRIM_400000_NS6detail17trampoline_kernelINS0_14default_configENS1_36segmented_radix_sort_config_selectorIslEEZNS1_25segmented_radix_sort_implIS3_Lb0EPKsPsPKlPlN2at6native12_GLOBAL__N_18offset_tEEE10hipError_tPvRmT1_PNSt15iterator_traitsISK_E10value_typeET2_T3_PNSL_ISQ_E10value_typeET4_jRbjT5_SW_jjP12ihipStream_tbEUlT_E0_NS1_11comp_targetILNS1_3genE8ELNS1_11target_archE1030ELNS1_3gpuE2ELNS1_3repE0EEENS1_60segmented_radix_sort_warp_sort_medium_config_static_selectorELNS0_4arch9wavefront6targetE1EEEvSK_,@function
_ZN7rocprim17ROCPRIM_400000_NS6detail17trampoline_kernelINS0_14default_configENS1_36segmented_radix_sort_config_selectorIslEEZNS1_25segmented_radix_sort_implIS3_Lb0EPKsPsPKlPlN2at6native12_GLOBAL__N_18offset_tEEE10hipError_tPvRmT1_PNSt15iterator_traitsISK_E10value_typeET2_T3_PNSL_ISQ_E10value_typeET4_jRbjT5_SW_jjP12ihipStream_tbEUlT_E0_NS1_11comp_targetILNS1_3genE8ELNS1_11target_archE1030ELNS1_3gpuE2ELNS1_3repE0EEENS1_60segmented_radix_sort_warp_sort_medium_config_static_selectorELNS0_4arch9wavefront6targetE1EEEvSK_: ; @_ZN7rocprim17ROCPRIM_400000_NS6detail17trampoline_kernelINS0_14default_configENS1_36segmented_radix_sort_config_selectorIslEEZNS1_25segmented_radix_sort_implIS3_Lb0EPKsPsPKlPlN2at6native12_GLOBAL__N_18offset_tEEE10hipError_tPvRmT1_PNSt15iterator_traitsISK_E10value_typeET2_T3_PNSL_ISQ_E10value_typeET4_jRbjT5_SW_jjP12ihipStream_tbEUlT_E0_NS1_11comp_targetILNS1_3genE8ELNS1_11target_archE1030ELNS1_3gpuE2ELNS1_3repE0EEENS1_60segmented_radix_sort_warp_sort_medium_config_static_selectorELNS0_4arch9wavefront6targetE1EEEvSK_
; %bb.0:
	.section	.rodata,"a",@progbits
	.p2align	6, 0x0
	.amdhsa_kernel _ZN7rocprim17ROCPRIM_400000_NS6detail17trampoline_kernelINS0_14default_configENS1_36segmented_radix_sort_config_selectorIslEEZNS1_25segmented_radix_sort_implIS3_Lb0EPKsPsPKlPlN2at6native12_GLOBAL__N_18offset_tEEE10hipError_tPvRmT1_PNSt15iterator_traitsISK_E10value_typeET2_T3_PNSL_ISQ_E10value_typeET4_jRbjT5_SW_jjP12ihipStream_tbEUlT_E0_NS1_11comp_targetILNS1_3genE8ELNS1_11target_archE1030ELNS1_3gpuE2ELNS1_3repE0EEENS1_60segmented_radix_sort_warp_sort_medium_config_static_selectorELNS0_4arch9wavefront6targetE1EEEvSK_
		.amdhsa_group_segment_fixed_size 0
		.amdhsa_private_segment_fixed_size 0
		.amdhsa_kernarg_size 88
		.amdhsa_user_sgpr_count 6
		.amdhsa_user_sgpr_private_segment_buffer 1
		.amdhsa_user_sgpr_dispatch_ptr 0
		.amdhsa_user_sgpr_queue_ptr 0
		.amdhsa_user_sgpr_kernarg_segment_ptr 1
		.amdhsa_user_sgpr_dispatch_id 0
		.amdhsa_user_sgpr_flat_scratch_init 0
		.amdhsa_user_sgpr_private_segment_size 0
		.amdhsa_uses_dynamic_stack 0
		.amdhsa_system_sgpr_private_segment_wavefront_offset 0
		.amdhsa_system_sgpr_workgroup_id_x 1
		.amdhsa_system_sgpr_workgroup_id_y 0
		.amdhsa_system_sgpr_workgroup_id_z 0
		.amdhsa_system_sgpr_workgroup_info 0
		.amdhsa_system_vgpr_workitem_id 0
		.amdhsa_next_free_vgpr 1
		.amdhsa_next_free_sgpr 0
		.amdhsa_reserve_vcc 0
		.amdhsa_reserve_flat_scratch 0
		.amdhsa_float_round_mode_32 0
		.amdhsa_float_round_mode_16_64 0
		.amdhsa_float_denorm_mode_32 3
		.amdhsa_float_denorm_mode_16_64 3
		.amdhsa_dx10_clamp 1
		.amdhsa_ieee_mode 1
		.amdhsa_fp16_overflow 0
		.amdhsa_exception_fp_ieee_invalid_op 0
		.amdhsa_exception_fp_denorm_src 0
		.amdhsa_exception_fp_ieee_div_zero 0
		.amdhsa_exception_fp_ieee_overflow 0
		.amdhsa_exception_fp_ieee_underflow 0
		.amdhsa_exception_fp_ieee_inexact 0
		.amdhsa_exception_int_div_zero 0
	.end_amdhsa_kernel
	.section	.text._ZN7rocprim17ROCPRIM_400000_NS6detail17trampoline_kernelINS0_14default_configENS1_36segmented_radix_sort_config_selectorIslEEZNS1_25segmented_radix_sort_implIS3_Lb0EPKsPsPKlPlN2at6native12_GLOBAL__N_18offset_tEEE10hipError_tPvRmT1_PNSt15iterator_traitsISK_E10value_typeET2_T3_PNSL_ISQ_E10value_typeET4_jRbjT5_SW_jjP12ihipStream_tbEUlT_E0_NS1_11comp_targetILNS1_3genE8ELNS1_11target_archE1030ELNS1_3gpuE2ELNS1_3repE0EEENS1_60segmented_radix_sort_warp_sort_medium_config_static_selectorELNS0_4arch9wavefront6targetE1EEEvSK_,"axG",@progbits,_ZN7rocprim17ROCPRIM_400000_NS6detail17trampoline_kernelINS0_14default_configENS1_36segmented_radix_sort_config_selectorIslEEZNS1_25segmented_radix_sort_implIS3_Lb0EPKsPsPKlPlN2at6native12_GLOBAL__N_18offset_tEEE10hipError_tPvRmT1_PNSt15iterator_traitsISK_E10value_typeET2_T3_PNSL_ISQ_E10value_typeET4_jRbjT5_SW_jjP12ihipStream_tbEUlT_E0_NS1_11comp_targetILNS1_3genE8ELNS1_11target_archE1030ELNS1_3gpuE2ELNS1_3repE0EEENS1_60segmented_radix_sort_warp_sort_medium_config_static_selectorELNS0_4arch9wavefront6targetE1EEEvSK_,comdat
.Lfunc_end1033:
	.size	_ZN7rocprim17ROCPRIM_400000_NS6detail17trampoline_kernelINS0_14default_configENS1_36segmented_radix_sort_config_selectorIslEEZNS1_25segmented_radix_sort_implIS3_Lb0EPKsPsPKlPlN2at6native12_GLOBAL__N_18offset_tEEE10hipError_tPvRmT1_PNSt15iterator_traitsISK_E10value_typeET2_T3_PNSL_ISQ_E10value_typeET4_jRbjT5_SW_jjP12ihipStream_tbEUlT_E0_NS1_11comp_targetILNS1_3genE8ELNS1_11target_archE1030ELNS1_3gpuE2ELNS1_3repE0EEENS1_60segmented_radix_sort_warp_sort_medium_config_static_selectorELNS0_4arch9wavefront6targetE1EEEvSK_, .Lfunc_end1033-_ZN7rocprim17ROCPRIM_400000_NS6detail17trampoline_kernelINS0_14default_configENS1_36segmented_radix_sort_config_selectorIslEEZNS1_25segmented_radix_sort_implIS3_Lb0EPKsPsPKlPlN2at6native12_GLOBAL__N_18offset_tEEE10hipError_tPvRmT1_PNSt15iterator_traitsISK_E10value_typeET2_T3_PNSL_ISQ_E10value_typeET4_jRbjT5_SW_jjP12ihipStream_tbEUlT_E0_NS1_11comp_targetILNS1_3genE8ELNS1_11target_archE1030ELNS1_3gpuE2ELNS1_3repE0EEENS1_60segmented_radix_sort_warp_sort_medium_config_static_selectorELNS0_4arch9wavefront6targetE1EEEvSK_
                                        ; -- End function
	.set _ZN7rocprim17ROCPRIM_400000_NS6detail17trampoline_kernelINS0_14default_configENS1_36segmented_radix_sort_config_selectorIslEEZNS1_25segmented_radix_sort_implIS3_Lb0EPKsPsPKlPlN2at6native12_GLOBAL__N_18offset_tEEE10hipError_tPvRmT1_PNSt15iterator_traitsISK_E10value_typeET2_T3_PNSL_ISQ_E10value_typeET4_jRbjT5_SW_jjP12ihipStream_tbEUlT_E0_NS1_11comp_targetILNS1_3genE8ELNS1_11target_archE1030ELNS1_3gpuE2ELNS1_3repE0EEENS1_60segmented_radix_sort_warp_sort_medium_config_static_selectorELNS0_4arch9wavefront6targetE1EEEvSK_.num_vgpr, 0
	.set _ZN7rocprim17ROCPRIM_400000_NS6detail17trampoline_kernelINS0_14default_configENS1_36segmented_radix_sort_config_selectorIslEEZNS1_25segmented_radix_sort_implIS3_Lb0EPKsPsPKlPlN2at6native12_GLOBAL__N_18offset_tEEE10hipError_tPvRmT1_PNSt15iterator_traitsISK_E10value_typeET2_T3_PNSL_ISQ_E10value_typeET4_jRbjT5_SW_jjP12ihipStream_tbEUlT_E0_NS1_11comp_targetILNS1_3genE8ELNS1_11target_archE1030ELNS1_3gpuE2ELNS1_3repE0EEENS1_60segmented_radix_sort_warp_sort_medium_config_static_selectorELNS0_4arch9wavefront6targetE1EEEvSK_.num_agpr, 0
	.set _ZN7rocprim17ROCPRIM_400000_NS6detail17trampoline_kernelINS0_14default_configENS1_36segmented_radix_sort_config_selectorIslEEZNS1_25segmented_radix_sort_implIS3_Lb0EPKsPsPKlPlN2at6native12_GLOBAL__N_18offset_tEEE10hipError_tPvRmT1_PNSt15iterator_traitsISK_E10value_typeET2_T3_PNSL_ISQ_E10value_typeET4_jRbjT5_SW_jjP12ihipStream_tbEUlT_E0_NS1_11comp_targetILNS1_3genE8ELNS1_11target_archE1030ELNS1_3gpuE2ELNS1_3repE0EEENS1_60segmented_radix_sort_warp_sort_medium_config_static_selectorELNS0_4arch9wavefront6targetE1EEEvSK_.numbered_sgpr, 0
	.set _ZN7rocprim17ROCPRIM_400000_NS6detail17trampoline_kernelINS0_14default_configENS1_36segmented_radix_sort_config_selectorIslEEZNS1_25segmented_radix_sort_implIS3_Lb0EPKsPsPKlPlN2at6native12_GLOBAL__N_18offset_tEEE10hipError_tPvRmT1_PNSt15iterator_traitsISK_E10value_typeET2_T3_PNSL_ISQ_E10value_typeET4_jRbjT5_SW_jjP12ihipStream_tbEUlT_E0_NS1_11comp_targetILNS1_3genE8ELNS1_11target_archE1030ELNS1_3gpuE2ELNS1_3repE0EEENS1_60segmented_radix_sort_warp_sort_medium_config_static_selectorELNS0_4arch9wavefront6targetE1EEEvSK_.num_named_barrier, 0
	.set _ZN7rocprim17ROCPRIM_400000_NS6detail17trampoline_kernelINS0_14default_configENS1_36segmented_radix_sort_config_selectorIslEEZNS1_25segmented_radix_sort_implIS3_Lb0EPKsPsPKlPlN2at6native12_GLOBAL__N_18offset_tEEE10hipError_tPvRmT1_PNSt15iterator_traitsISK_E10value_typeET2_T3_PNSL_ISQ_E10value_typeET4_jRbjT5_SW_jjP12ihipStream_tbEUlT_E0_NS1_11comp_targetILNS1_3genE8ELNS1_11target_archE1030ELNS1_3gpuE2ELNS1_3repE0EEENS1_60segmented_radix_sort_warp_sort_medium_config_static_selectorELNS0_4arch9wavefront6targetE1EEEvSK_.private_seg_size, 0
	.set _ZN7rocprim17ROCPRIM_400000_NS6detail17trampoline_kernelINS0_14default_configENS1_36segmented_radix_sort_config_selectorIslEEZNS1_25segmented_radix_sort_implIS3_Lb0EPKsPsPKlPlN2at6native12_GLOBAL__N_18offset_tEEE10hipError_tPvRmT1_PNSt15iterator_traitsISK_E10value_typeET2_T3_PNSL_ISQ_E10value_typeET4_jRbjT5_SW_jjP12ihipStream_tbEUlT_E0_NS1_11comp_targetILNS1_3genE8ELNS1_11target_archE1030ELNS1_3gpuE2ELNS1_3repE0EEENS1_60segmented_radix_sort_warp_sort_medium_config_static_selectorELNS0_4arch9wavefront6targetE1EEEvSK_.uses_vcc, 0
	.set _ZN7rocprim17ROCPRIM_400000_NS6detail17trampoline_kernelINS0_14default_configENS1_36segmented_radix_sort_config_selectorIslEEZNS1_25segmented_radix_sort_implIS3_Lb0EPKsPsPKlPlN2at6native12_GLOBAL__N_18offset_tEEE10hipError_tPvRmT1_PNSt15iterator_traitsISK_E10value_typeET2_T3_PNSL_ISQ_E10value_typeET4_jRbjT5_SW_jjP12ihipStream_tbEUlT_E0_NS1_11comp_targetILNS1_3genE8ELNS1_11target_archE1030ELNS1_3gpuE2ELNS1_3repE0EEENS1_60segmented_radix_sort_warp_sort_medium_config_static_selectorELNS0_4arch9wavefront6targetE1EEEvSK_.uses_flat_scratch, 0
	.set _ZN7rocprim17ROCPRIM_400000_NS6detail17trampoline_kernelINS0_14default_configENS1_36segmented_radix_sort_config_selectorIslEEZNS1_25segmented_radix_sort_implIS3_Lb0EPKsPsPKlPlN2at6native12_GLOBAL__N_18offset_tEEE10hipError_tPvRmT1_PNSt15iterator_traitsISK_E10value_typeET2_T3_PNSL_ISQ_E10value_typeET4_jRbjT5_SW_jjP12ihipStream_tbEUlT_E0_NS1_11comp_targetILNS1_3genE8ELNS1_11target_archE1030ELNS1_3gpuE2ELNS1_3repE0EEENS1_60segmented_radix_sort_warp_sort_medium_config_static_selectorELNS0_4arch9wavefront6targetE1EEEvSK_.has_dyn_sized_stack, 0
	.set _ZN7rocprim17ROCPRIM_400000_NS6detail17trampoline_kernelINS0_14default_configENS1_36segmented_radix_sort_config_selectorIslEEZNS1_25segmented_radix_sort_implIS3_Lb0EPKsPsPKlPlN2at6native12_GLOBAL__N_18offset_tEEE10hipError_tPvRmT1_PNSt15iterator_traitsISK_E10value_typeET2_T3_PNSL_ISQ_E10value_typeET4_jRbjT5_SW_jjP12ihipStream_tbEUlT_E0_NS1_11comp_targetILNS1_3genE8ELNS1_11target_archE1030ELNS1_3gpuE2ELNS1_3repE0EEENS1_60segmented_radix_sort_warp_sort_medium_config_static_selectorELNS0_4arch9wavefront6targetE1EEEvSK_.has_recursion, 0
	.set _ZN7rocprim17ROCPRIM_400000_NS6detail17trampoline_kernelINS0_14default_configENS1_36segmented_radix_sort_config_selectorIslEEZNS1_25segmented_radix_sort_implIS3_Lb0EPKsPsPKlPlN2at6native12_GLOBAL__N_18offset_tEEE10hipError_tPvRmT1_PNSt15iterator_traitsISK_E10value_typeET2_T3_PNSL_ISQ_E10value_typeET4_jRbjT5_SW_jjP12ihipStream_tbEUlT_E0_NS1_11comp_targetILNS1_3genE8ELNS1_11target_archE1030ELNS1_3gpuE2ELNS1_3repE0EEENS1_60segmented_radix_sort_warp_sort_medium_config_static_selectorELNS0_4arch9wavefront6targetE1EEEvSK_.has_indirect_call, 0
	.section	.AMDGPU.csdata,"",@progbits
; Kernel info:
; codeLenInByte = 0
; TotalNumSgprs: 4
; NumVgprs: 0
; ScratchSize: 0
; MemoryBound: 0
; FloatMode: 240
; IeeeMode: 1
; LDSByteSize: 0 bytes/workgroup (compile time only)
; SGPRBlocks: 0
; VGPRBlocks: 0
; NumSGPRsForWavesPerEU: 4
; NumVGPRsForWavesPerEU: 1
; Occupancy: 10
; WaveLimiterHint : 0
; COMPUTE_PGM_RSRC2:SCRATCH_EN: 0
; COMPUTE_PGM_RSRC2:USER_SGPR: 6
; COMPUTE_PGM_RSRC2:TRAP_HANDLER: 0
; COMPUTE_PGM_RSRC2:TGID_X_EN: 1
; COMPUTE_PGM_RSRC2:TGID_Y_EN: 0
; COMPUTE_PGM_RSRC2:TGID_Z_EN: 0
; COMPUTE_PGM_RSRC2:TIDIG_COMP_CNT: 0
	.section	.text._ZN7rocprim17ROCPRIM_400000_NS6detail17trampoline_kernelINS0_14default_configENS1_36segmented_radix_sort_config_selectorIslEEZNS1_25segmented_radix_sort_implIS3_Lb0EPKsPsPKlPlN2at6native12_GLOBAL__N_18offset_tEEE10hipError_tPvRmT1_PNSt15iterator_traitsISK_E10value_typeET2_T3_PNSL_ISQ_E10value_typeET4_jRbjT5_SW_jjP12ihipStream_tbEUlT_E1_NS1_11comp_targetILNS1_3genE0ELNS1_11target_archE4294967295ELNS1_3gpuE0ELNS1_3repE0EEENS1_59segmented_radix_sort_warp_sort_small_config_static_selectorELNS0_4arch9wavefront6targetE1EEEvSK_,"axG",@progbits,_ZN7rocprim17ROCPRIM_400000_NS6detail17trampoline_kernelINS0_14default_configENS1_36segmented_radix_sort_config_selectorIslEEZNS1_25segmented_radix_sort_implIS3_Lb0EPKsPsPKlPlN2at6native12_GLOBAL__N_18offset_tEEE10hipError_tPvRmT1_PNSt15iterator_traitsISK_E10value_typeET2_T3_PNSL_ISQ_E10value_typeET4_jRbjT5_SW_jjP12ihipStream_tbEUlT_E1_NS1_11comp_targetILNS1_3genE0ELNS1_11target_archE4294967295ELNS1_3gpuE0ELNS1_3repE0EEENS1_59segmented_radix_sort_warp_sort_small_config_static_selectorELNS0_4arch9wavefront6targetE1EEEvSK_,comdat
	.globl	_ZN7rocprim17ROCPRIM_400000_NS6detail17trampoline_kernelINS0_14default_configENS1_36segmented_radix_sort_config_selectorIslEEZNS1_25segmented_radix_sort_implIS3_Lb0EPKsPsPKlPlN2at6native12_GLOBAL__N_18offset_tEEE10hipError_tPvRmT1_PNSt15iterator_traitsISK_E10value_typeET2_T3_PNSL_ISQ_E10value_typeET4_jRbjT5_SW_jjP12ihipStream_tbEUlT_E1_NS1_11comp_targetILNS1_3genE0ELNS1_11target_archE4294967295ELNS1_3gpuE0ELNS1_3repE0EEENS1_59segmented_radix_sort_warp_sort_small_config_static_selectorELNS0_4arch9wavefront6targetE1EEEvSK_ ; -- Begin function _ZN7rocprim17ROCPRIM_400000_NS6detail17trampoline_kernelINS0_14default_configENS1_36segmented_radix_sort_config_selectorIslEEZNS1_25segmented_radix_sort_implIS3_Lb0EPKsPsPKlPlN2at6native12_GLOBAL__N_18offset_tEEE10hipError_tPvRmT1_PNSt15iterator_traitsISK_E10value_typeET2_T3_PNSL_ISQ_E10value_typeET4_jRbjT5_SW_jjP12ihipStream_tbEUlT_E1_NS1_11comp_targetILNS1_3genE0ELNS1_11target_archE4294967295ELNS1_3gpuE0ELNS1_3repE0EEENS1_59segmented_radix_sort_warp_sort_small_config_static_selectorELNS0_4arch9wavefront6targetE1EEEvSK_
	.p2align	8
	.type	_ZN7rocprim17ROCPRIM_400000_NS6detail17trampoline_kernelINS0_14default_configENS1_36segmented_radix_sort_config_selectorIslEEZNS1_25segmented_radix_sort_implIS3_Lb0EPKsPsPKlPlN2at6native12_GLOBAL__N_18offset_tEEE10hipError_tPvRmT1_PNSt15iterator_traitsISK_E10value_typeET2_T3_PNSL_ISQ_E10value_typeET4_jRbjT5_SW_jjP12ihipStream_tbEUlT_E1_NS1_11comp_targetILNS1_3genE0ELNS1_11target_archE4294967295ELNS1_3gpuE0ELNS1_3repE0EEENS1_59segmented_radix_sort_warp_sort_small_config_static_selectorELNS0_4arch9wavefront6targetE1EEEvSK_,@function
_ZN7rocprim17ROCPRIM_400000_NS6detail17trampoline_kernelINS0_14default_configENS1_36segmented_radix_sort_config_selectorIslEEZNS1_25segmented_radix_sort_implIS3_Lb0EPKsPsPKlPlN2at6native12_GLOBAL__N_18offset_tEEE10hipError_tPvRmT1_PNSt15iterator_traitsISK_E10value_typeET2_T3_PNSL_ISQ_E10value_typeET4_jRbjT5_SW_jjP12ihipStream_tbEUlT_E1_NS1_11comp_targetILNS1_3genE0ELNS1_11target_archE4294967295ELNS1_3gpuE0ELNS1_3repE0EEENS1_59segmented_radix_sort_warp_sort_small_config_static_selectorELNS0_4arch9wavefront6targetE1EEEvSK_: ; @_ZN7rocprim17ROCPRIM_400000_NS6detail17trampoline_kernelINS0_14default_configENS1_36segmented_radix_sort_config_selectorIslEEZNS1_25segmented_radix_sort_implIS3_Lb0EPKsPsPKlPlN2at6native12_GLOBAL__N_18offset_tEEE10hipError_tPvRmT1_PNSt15iterator_traitsISK_E10value_typeET2_T3_PNSL_ISQ_E10value_typeET4_jRbjT5_SW_jjP12ihipStream_tbEUlT_E1_NS1_11comp_targetILNS1_3genE0ELNS1_11target_archE4294967295ELNS1_3gpuE0ELNS1_3repE0EEENS1_59segmented_radix_sort_warp_sort_small_config_static_selectorELNS0_4arch9wavefront6targetE1EEEvSK_
; %bb.0:
	.section	.rodata,"a",@progbits
	.p2align	6, 0x0
	.amdhsa_kernel _ZN7rocprim17ROCPRIM_400000_NS6detail17trampoline_kernelINS0_14default_configENS1_36segmented_radix_sort_config_selectorIslEEZNS1_25segmented_radix_sort_implIS3_Lb0EPKsPsPKlPlN2at6native12_GLOBAL__N_18offset_tEEE10hipError_tPvRmT1_PNSt15iterator_traitsISK_E10value_typeET2_T3_PNSL_ISQ_E10value_typeET4_jRbjT5_SW_jjP12ihipStream_tbEUlT_E1_NS1_11comp_targetILNS1_3genE0ELNS1_11target_archE4294967295ELNS1_3gpuE0ELNS1_3repE0EEENS1_59segmented_radix_sort_warp_sort_small_config_static_selectorELNS0_4arch9wavefront6targetE1EEEvSK_
		.amdhsa_group_segment_fixed_size 0
		.amdhsa_private_segment_fixed_size 0
		.amdhsa_kernarg_size 88
		.amdhsa_user_sgpr_count 6
		.amdhsa_user_sgpr_private_segment_buffer 1
		.amdhsa_user_sgpr_dispatch_ptr 0
		.amdhsa_user_sgpr_queue_ptr 0
		.amdhsa_user_sgpr_kernarg_segment_ptr 1
		.amdhsa_user_sgpr_dispatch_id 0
		.amdhsa_user_sgpr_flat_scratch_init 0
		.amdhsa_user_sgpr_private_segment_size 0
		.amdhsa_uses_dynamic_stack 0
		.amdhsa_system_sgpr_private_segment_wavefront_offset 0
		.amdhsa_system_sgpr_workgroup_id_x 1
		.amdhsa_system_sgpr_workgroup_id_y 0
		.amdhsa_system_sgpr_workgroup_id_z 0
		.amdhsa_system_sgpr_workgroup_info 0
		.amdhsa_system_vgpr_workitem_id 0
		.amdhsa_next_free_vgpr 1
		.amdhsa_next_free_sgpr 0
		.amdhsa_reserve_vcc 0
		.amdhsa_reserve_flat_scratch 0
		.amdhsa_float_round_mode_32 0
		.amdhsa_float_round_mode_16_64 0
		.amdhsa_float_denorm_mode_32 3
		.amdhsa_float_denorm_mode_16_64 3
		.amdhsa_dx10_clamp 1
		.amdhsa_ieee_mode 1
		.amdhsa_fp16_overflow 0
		.amdhsa_exception_fp_ieee_invalid_op 0
		.amdhsa_exception_fp_denorm_src 0
		.amdhsa_exception_fp_ieee_div_zero 0
		.amdhsa_exception_fp_ieee_overflow 0
		.amdhsa_exception_fp_ieee_underflow 0
		.amdhsa_exception_fp_ieee_inexact 0
		.amdhsa_exception_int_div_zero 0
	.end_amdhsa_kernel
	.section	.text._ZN7rocprim17ROCPRIM_400000_NS6detail17trampoline_kernelINS0_14default_configENS1_36segmented_radix_sort_config_selectorIslEEZNS1_25segmented_radix_sort_implIS3_Lb0EPKsPsPKlPlN2at6native12_GLOBAL__N_18offset_tEEE10hipError_tPvRmT1_PNSt15iterator_traitsISK_E10value_typeET2_T3_PNSL_ISQ_E10value_typeET4_jRbjT5_SW_jjP12ihipStream_tbEUlT_E1_NS1_11comp_targetILNS1_3genE0ELNS1_11target_archE4294967295ELNS1_3gpuE0ELNS1_3repE0EEENS1_59segmented_radix_sort_warp_sort_small_config_static_selectorELNS0_4arch9wavefront6targetE1EEEvSK_,"axG",@progbits,_ZN7rocprim17ROCPRIM_400000_NS6detail17trampoline_kernelINS0_14default_configENS1_36segmented_radix_sort_config_selectorIslEEZNS1_25segmented_radix_sort_implIS3_Lb0EPKsPsPKlPlN2at6native12_GLOBAL__N_18offset_tEEE10hipError_tPvRmT1_PNSt15iterator_traitsISK_E10value_typeET2_T3_PNSL_ISQ_E10value_typeET4_jRbjT5_SW_jjP12ihipStream_tbEUlT_E1_NS1_11comp_targetILNS1_3genE0ELNS1_11target_archE4294967295ELNS1_3gpuE0ELNS1_3repE0EEENS1_59segmented_radix_sort_warp_sort_small_config_static_selectorELNS0_4arch9wavefront6targetE1EEEvSK_,comdat
.Lfunc_end1034:
	.size	_ZN7rocprim17ROCPRIM_400000_NS6detail17trampoline_kernelINS0_14default_configENS1_36segmented_radix_sort_config_selectorIslEEZNS1_25segmented_radix_sort_implIS3_Lb0EPKsPsPKlPlN2at6native12_GLOBAL__N_18offset_tEEE10hipError_tPvRmT1_PNSt15iterator_traitsISK_E10value_typeET2_T3_PNSL_ISQ_E10value_typeET4_jRbjT5_SW_jjP12ihipStream_tbEUlT_E1_NS1_11comp_targetILNS1_3genE0ELNS1_11target_archE4294967295ELNS1_3gpuE0ELNS1_3repE0EEENS1_59segmented_radix_sort_warp_sort_small_config_static_selectorELNS0_4arch9wavefront6targetE1EEEvSK_, .Lfunc_end1034-_ZN7rocprim17ROCPRIM_400000_NS6detail17trampoline_kernelINS0_14default_configENS1_36segmented_radix_sort_config_selectorIslEEZNS1_25segmented_radix_sort_implIS3_Lb0EPKsPsPKlPlN2at6native12_GLOBAL__N_18offset_tEEE10hipError_tPvRmT1_PNSt15iterator_traitsISK_E10value_typeET2_T3_PNSL_ISQ_E10value_typeET4_jRbjT5_SW_jjP12ihipStream_tbEUlT_E1_NS1_11comp_targetILNS1_3genE0ELNS1_11target_archE4294967295ELNS1_3gpuE0ELNS1_3repE0EEENS1_59segmented_radix_sort_warp_sort_small_config_static_selectorELNS0_4arch9wavefront6targetE1EEEvSK_
                                        ; -- End function
	.set _ZN7rocprim17ROCPRIM_400000_NS6detail17trampoline_kernelINS0_14default_configENS1_36segmented_radix_sort_config_selectorIslEEZNS1_25segmented_radix_sort_implIS3_Lb0EPKsPsPKlPlN2at6native12_GLOBAL__N_18offset_tEEE10hipError_tPvRmT1_PNSt15iterator_traitsISK_E10value_typeET2_T3_PNSL_ISQ_E10value_typeET4_jRbjT5_SW_jjP12ihipStream_tbEUlT_E1_NS1_11comp_targetILNS1_3genE0ELNS1_11target_archE4294967295ELNS1_3gpuE0ELNS1_3repE0EEENS1_59segmented_radix_sort_warp_sort_small_config_static_selectorELNS0_4arch9wavefront6targetE1EEEvSK_.num_vgpr, 0
	.set _ZN7rocprim17ROCPRIM_400000_NS6detail17trampoline_kernelINS0_14default_configENS1_36segmented_radix_sort_config_selectorIslEEZNS1_25segmented_radix_sort_implIS3_Lb0EPKsPsPKlPlN2at6native12_GLOBAL__N_18offset_tEEE10hipError_tPvRmT1_PNSt15iterator_traitsISK_E10value_typeET2_T3_PNSL_ISQ_E10value_typeET4_jRbjT5_SW_jjP12ihipStream_tbEUlT_E1_NS1_11comp_targetILNS1_3genE0ELNS1_11target_archE4294967295ELNS1_3gpuE0ELNS1_3repE0EEENS1_59segmented_radix_sort_warp_sort_small_config_static_selectorELNS0_4arch9wavefront6targetE1EEEvSK_.num_agpr, 0
	.set _ZN7rocprim17ROCPRIM_400000_NS6detail17trampoline_kernelINS0_14default_configENS1_36segmented_radix_sort_config_selectorIslEEZNS1_25segmented_radix_sort_implIS3_Lb0EPKsPsPKlPlN2at6native12_GLOBAL__N_18offset_tEEE10hipError_tPvRmT1_PNSt15iterator_traitsISK_E10value_typeET2_T3_PNSL_ISQ_E10value_typeET4_jRbjT5_SW_jjP12ihipStream_tbEUlT_E1_NS1_11comp_targetILNS1_3genE0ELNS1_11target_archE4294967295ELNS1_3gpuE0ELNS1_3repE0EEENS1_59segmented_radix_sort_warp_sort_small_config_static_selectorELNS0_4arch9wavefront6targetE1EEEvSK_.numbered_sgpr, 0
	.set _ZN7rocprim17ROCPRIM_400000_NS6detail17trampoline_kernelINS0_14default_configENS1_36segmented_radix_sort_config_selectorIslEEZNS1_25segmented_radix_sort_implIS3_Lb0EPKsPsPKlPlN2at6native12_GLOBAL__N_18offset_tEEE10hipError_tPvRmT1_PNSt15iterator_traitsISK_E10value_typeET2_T3_PNSL_ISQ_E10value_typeET4_jRbjT5_SW_jjP12ihipStream_tbEUlT_E1_NS1_11comp_targetILNS1_3genE0ELNS1_11target_archE4294967295ELNS1_3gpuE0ELNS1_3repE0EEENS1_59segmented_radix_sort_warp_sort_small_config_static_selectorELNS0_4arch9wavefront6targetE1EEEvSK_.num_named_barrier, 0
	.set _ZN7rocprim17ROCPRIM_400000_NS6detail17trampoline_kernelINS0_14default_configENS1_36segmented_radix_sort_config_selectorIslEEZNS1_25segmented_radix_sort_implIS3_Lb0EPKsPsPKlPlN2at6native12_GLOBAL__N_18offset_tEEE10hipError_tPvRmT1_PNSt15iterator_traitsISK_E10value_typeET2_T3_PNSL_ISQ_E10value_typeET4_jRbjT5_SW_jjP12ihipStream_tbEUlT_E1_NS1_11comp_targetILNS1_3genE0ELNS1_11target_archE4294967295ELNS1_3gpuE0ELNS1_3repE0EEENS1_59segmented_radix_sort_warp_sort_small_config_static_selectorELNS0_4arch9wavefront6targetE1EEEvSK_.private_seg_size, 0
	.set _ZN7rocprim17ROCPRIM_400000_NS6detail17trampoline_kernelINS0_14default_configENS1_36segmented_radix_sort_config_selectorIslEEZNS1_25segmented_radix_sort_implIS3_Lb0EPKsPsPKlPlN2at6native12_GLOBAL__N_18offset_tEEE10hipError_tPvRmT1_PNSt15iterator_traitsISK_E10value_typeET2_T3_PNSL_ISQ_E10value_typeET4_jRbjT5_SW_jjP12ihipStream_tbEUlT_E1_NS1_11comp_targetILNS1_3genE0ELNS1_11target_archE4294967295ELNS1_3gpuE0ELNS1_3repE0EEENS1_59segmented_radix_sort_warp_sort_small_config_static_selectorELNS0_4arch9wavefront6targetE1EEEvSK_.uses_vcc, 0
	.set _ZN7rocprim17ROCPRIM_400000_NS6detail17trampoline_kernelINS0_14default_configENS1_36segmented_radix_sort_config_selectorIslEEZNS1_25segmented_radix_sort_implIS3_Lb0EPKsPsPKlPlN2at6native12_GLOBAL__N_18offset_tEEE10hipError_tPvRmT1_PNSt15iterator_traitsISK_E10value_typeET2_T3_PNSL_ISQ_E10value_typeET4_jRbjT5_SW_jjP12ihipStream_tbEUlT_E1_NS1_11comp_targetILNS1_3genE0ELNS1_11target_archE4294967295ELNS1_3gpuE0ELNS1_3repE0EEENS1_59segmented_radix_sort_warp_sort_small_config_static_selectorELNS0_4arch9wavefront6targetE1EEEvSK_.uses_flat_scratch, 0
	.set _ZN7rocprim17ROCPRIM_400000_NS6detail17trampoline_kernelINS0_14default_configENS1_36segmented_radix_sort_config_selectorIslEEZNS1_25segmented_radix_sort_implIS3_Lb0EPKsPsPKlPlN2at6native12_GLOBAL__N_18offset_tEEE10hipError_tPvRmT1_PNSt15iterator_traitsISK_E10value_typeET2_T3_PNSL_ISQ_E10value_typeET4_jRbjT5_SW_jjP12ihipStream_tbEUlT_E1_NS1_11comp_targetILNS1_3genE0ELNS1_11target_archE4294967295ELNS1_3gpuE0ELNS1_3repE0EEENS1_59segmented_radix_sort_warp_sort_small_config_static_selectorELNS0_4arch9wavefront6targetE1EEEvSK_.has_dyn_sized_stack, 0
	.set _ZN7rocprim17ROCPRIM_400000_NS6detail17trampoline_kernelINS0_14default_configENS1_36segmented_radix_sort_config_selectorIslEEZNS1_25segmented_radix_sort_implIS3_Lb0EPKsPsPKlPlN2at6native12_GLOBAL__N_18offset_tEEE10hipError_tPvRmT1_PNSt15iterator_traitsISK_E10value_typeET2_T3_PNSL_ISQ_E10value_typeET4_jRbjT5_SW_jjP12ihipStream_tbEUlT_E1_NS1_11comp_targetILNS1_3genE0ELNS1_11target_archE4294967295ELNS1_3gpuE0ELNS1_3repE0EEENS1_59segmented_radix_sort_warp_sort_small_config_static_selectorELNS0_4arch9wavefront6targetE1EEEvSK_.has_recursion, 0
	.set _ZN7rocprim17ROCPRIM_400000_NS6detail17trampoline_kernelINS0_14default_configENS1_36segmented_radix_sort_config_selectorIslEEZNS1_25segmented_radix_sort_implIS3_Lb0EPKsPsPKlPlN2at6native12_GLOBAL__N_18offset_tEEE10hipError_tPvRmT1_PNSt15iterator_traitsISK_E10value_typeET2_T3_PNSL_ISQ_E10value_typeET4_jRbjT5_SW_jjP12ihipStream_tbEUlT_E1_NS1_11comp_targetILNS1_3genE0ELNS1_11target_archE4294967295ELNS1_3gpuE0ELNS1_3repE0EEENS1_59segmented_radix_sort_warp_sort_small_config_static_selectorELNS0_4arch9wavefront6targetE1EEEvSK_.has_indirect_call, 0
	.section	.AMDGPU.csdata,"",@progbits
; Kernel info:
; codeLenInByte = 0
; TotalNumSgprs: 4
; NumVgprs: 0
; ScratchSize: 0
; MemoryBound: 0
; FloatMode: 240
; IeeeMode: 1
; LDSByteSize: 0 bytes/workgroup (compile time only)
; SGPRBlocks: 0
; VGPRBlocks: 0
; NumSGPRsForWavesPerEU: 4
; NumVGPRsForWavesPerEU: 1
; Occupancy: 10
; WaveLimiterHint : 0
; COMPUTE_PGM_RSRC2:SCRATCH_EN: 0
; COMPUTE_PGM_RSRC2:USER_SGPR: 6
; COMPUTE_PGM_RSRC2:TRAP_HANDLER: 0
; COMPUTE_PGM_RSRC2:TGID_X_EN: 1
; COMPUTE_PGM_RSRC2:TGID_Y_EN: 0
; COMPUTE_PGM_RSRC2:TGID_Z_EN: 0
; COMPUTE_PGM_RSRC2:TIDIG_COMP_CNT: 0
	.section	.text._ZN7rocprim17ROCPRIM_400000_NS6detail17trampoline_kernelINS0_14default_configENS1_36segmented_radix_sort_config_selectorIslEEZNS1_25segmented_radix_sort_implIS3_Lb0EPKsPsPKlPlN2at6native12_GLOBAL__N_18offset_tEEE10hipError_tPvRmT1_PNSt15iterator_traitsISK_E10value_typeET2_T3_PNSL_ISQ_E10value_typeET4_jRbjT5_SW_jjP12ihipStream_tbEUlT_E1_NS1_11comp_targetILNS1_3genE5ELNS1_11target_archE942ELNS1_3gpuE9ELNS1_3repE0EEENS1_59segmented_radix_sort_warp_sort_small_config_static_selectorELNS0_4arch9wavefront6targetE1EEEvSK_,"axG",@progbits,_ZN7rocprim17ROCPRIM_400000_NS6detail17trampoline_kernelINS0_14default_configENS1_36segmented_radix_sort_config_selectorIslEEZNS1_25segmented_radix_sort_implIS3_Lb0EPKsPsPKlPlN2at6native12_GLOBAL__N_18offset_tEEE10hipError_tPvRmT1_PNSt15iterator_traitsISK_E10value_typeET2_T3_PNSL_ISQ_E10value_typeET4_jRbjT5_SW_jjP12ihipStream_tbEUlT_E1_NS1_11comp_targetILNS1_3genE5ELNS1_11target_archE942ELNS1_3gpuE9ELNS1_3repE0EEENS1_59segmented_radix_sort_warp_sort_small_config_static_selectorELNS0_4arch9wavefront6targetE1EEEvSK_,comdat
	.globl	_ZN7rocprim17ROCPRIM_400000_NS6detail17trampoline_kernelINS0_14default_configENS1_36segmented_radix_sort_config_selectorIslEEZNS1_25segmented_radix_sort_implIS3_Lb0EPKsPsPKlPlN2at6native12_GLOBAL__N_18offset_tEEE10hipError_tPvRmT1_PNSt15iterator_traitsISK_E10value_typeET2_T3_PNSL_ISQ_E10value_typeET4_jRbjT5_SW_jjP12ihipStream_tbEUlT_E1_NS1_11comp_targetILNS1_3genE5ELNS1_11target_archE942ELNS1_3gpuE9ELNS1_3repE0EEENS1_59segmented_radix_sort_warp_sort_small_config_static_selectorELNS0_4arch9wavefront6targetE1EEEvSK_ ; -- Begin function _ZN7rocprim17ROCPRIM_400000_NS6detail17trampoline_kernelINS0_14default_configENS1_36segmented_radix_sort_config_selectorIslEEZNS1_25segmented_radix_sort_implIS3_Lb0EPKsPsPKlPlN2at6native12_GLOBAL__N_18offset_tEEE10hipError_tPvRmT1_PNSt15iterator_traitsISK_E10value_typeET2_T3_PNSL_ISQ_E10value_typeET4_jRbjT5_SW_jjP12ihipStream_tbEUlT_E1_NS1_11comp_targetILNS1_3genE5ELNS1_11target_archE942ELNS1_3gpuE9ELNS1_3repE0EEENS1_59segmented_radix_sort_warp_sort_small_config_static_selectorELNS0_4arch9wavefront6targetE1EEEvSK_
	.p2align	8
	.type	_ZN7rocprim17ROCPRIM_400000_NS6detail17trampoline_kernelINS0_14default_configENS1_36segmented_radix_sort_config_selectorIslEEZNS1_25segmented_radix_sort_implIS3_Lb0EPKsPsPKlPlN2at6native12_GLOBAL__N_18offset_tEEE10hipError_tPvRmT1_PNSt15iterator_traitsISK_E10value_typeET2_T3_PNSL_ISQ_E10value_typeET4_jRbjT5_SW_jjP12ihipStream_tbEUlT_E1_NS1_11comp_targetILNS1_3genE5ELNS1_11target_archE942ELNS1_3gpuE9ELNS1_3repE0EEENS1_59segmented_radix_sort_warp_sort_small_config_static_selectorELNS0_4arch9wavefront6targetE1EEEvSK_,@function
_ZN7rocprim17ROCPRIM_400000_NS6detail17trampoline_kernelINS0_14default_configENS1_36segmented_radix_sort_config_selectorIslEEZNS1_25segmented_radix_sort_implIS3_Lb0EPKsPsPKlPlN2at6native12_GLOBAL__N_18offset_tEEE10hipError_tPvRmT1_PNSt15iterator_traitsISK_E10value_typeET2_T3_PNSL_ISQ_E10value_typeET4_jRbjT5_SW_jjP12ihipStream_tbEUlT_E1_NS1_11comp_targetILNS1_3genE5ELNS1_11target_archE942ELNS1_3gpuE9ELNS1_3repE0EEENS1_59segmented_radix_sort_warp_sort_small_config_static_selectorELNS0_4arch9wavefront6targetE1EEEvSK_: ; @_ZN7rocprim17ROCPRIM_400000_NS6detail17trampoline_kernelINS0_14default_configENS1_36segmented_radix_sort_config_selectorIslEEZNS1_25segmented_radix_sort_implIS3_Lb0EPKsPsPKlPlN2at6native12_GLOBAL__N_18offset_tEEE10hipError_tPvRmT1_PNSt15iterator_traitsISK_E10value_typeET2_T3_PNSL_ISQ_E10value_typeET4_jRbjT5_SW_jjP12ihipStream_tbEUlT_E1_NS1_11comp_targetILNS1_3genE5ELNS1_11target_archE942ELNS1_3gpuE9ELNS1_3repE0EEENS1_59segmented_radix_sort_warp_sort_small_config_static_selectorELNS0_4arch9wavefront6targetE1EEEvSK_
; %bb.0:
	.section	.rodata,"a",@progbits
	.p2align	6, 0x0
	.amdhsa_kernel _ZN7rocprim17ROCPRIM_400000_NS6detail17trampoline_kernelINS0_14default_configENS1_36segmented_radix_sort_config_selectorIslEEZNS1_25segmented_radix_sort_implIS3_Lb0EPKsPsPKlPlN2at6native12_GLOBAL__N_18offset_tEEE10hipError_tPvRmT1_PNSt15iterator_traitsISK_E10value_typeET2_T3_PNSL_ISQ_E10value_typeET4_jRbjT5_SW_jjP12ihipStream_tbEUlT_E1_NS1_11comp_targetILNS1_3genE5ELNS1_11target_archE942ELNS1_3gpuE9ELNS1_3repE0EEENS1_59segmented_radix_sort_warp_sort_small_config_static_selectorELNS0_4arch9wavefront6targetE1EEEvSK_
		.amdhsa_group_segment_fixed_size 0
		.amdhsa_private_segment_fixed_size 0
		.amdhsa_kernarg_size 88
		.amdhsa_user_sgpr_count 6
		.amdhsa_user_sgpr_private_segment_buffer 1
		.amdhsa_user_sgpr_dispatch_ptr 0
		.amdhsa_user_sgpr_queue_ptr 0
		.amdhsa_user_sgpr_kernarg_segment_ptr 1
		.amdhsa_user_sgpr_dispatch_id 0
		.amdhsa_user_sgpr_flat_scratch_init 0
		.amdhsa_user_sgpr_private_segment_size 0
		.amdhsa_uses_dynamic_stack 0
		.amdhsa_system_sgpr_private_segment_wavefront_offset 0
		.amdhsa_system_sgpr_workgroup_id_x 1
		.amdhsa_system_sgpr_workgroup_id_y 0
		.amdhsa_system_sgpr_workgroup_id_z 0
		.amdhsa_system_sgpr_workgroup_info 0
		.amdhsa_system_vgpr_workitem_id 0
		.amdhsa_next_free_vgpr 1
		.amdhsa_next_free_sgpr 0
		.amdhsa_reserve_vcc 0
		.amdhsa_reserve_flat_scratch 0
		.amdhsa_float_round_mode_32 0
		.amdhsa_float_round_mode_16_64 0
		.amdhsa_float_denorm_mode_32 3
		.amdhsa_float_denorm_mode_16_64 3
		.amdhsa_dx10_clamp 1
		.amdhsa_ieee_mode 1
		.amdhsa_fp16_overflow 0
		.amdhsa_exception_fp_ieee_invalid_op 0
		.amdhsa_exception_fp_denorm_src 0
		.amdhsa_exception_fp_ieee_div_zero 0
		.amdhsa_exception_fp_ieee_overflow 0
		.amdhsa_exception_fp_ieee_underflow 0
		.amdhsa_exception_fp_ieee_inexact 0
		.amdhsa_exception_int_div_zero 0
	.end_amdhsa_kernel
	.section	.text._ZN7rocprim17ROCPRIM_400000_NS6detail17trampoline_kernelINS0_14default_configENS1_36segmented_radix_sort_config_selectorIslEEZNS1_25segmented_radix_sort_implIS3_Lb0EPKsPsPKlPlN2at6native12_GLOBAL__N_18offset_tEEE10hipError_tPvRmT1_PNSt15iterator_traitsISK_E10value_typeET2_T3_PNSL_ISQ_E10value_typeET4_jRbjT5_SW_jjP12ihipStream_tbEUlT_E1_NS1_11comp_targetILNS1_3genE5ELNS1_11target_archE942ELNS1_3gpuE9ELNS1_3repE0EEENS1_59segmented_radix_sort_warp_sort_small_config_static_selectorELNS0_4arch9wavefront6targetE1EEEvSK_,"axG",@progbits,_ZN7rocprim17ROCPRIM_400000_NS6detail17trampoline_kernelINS0_14default_configENS1_36segmented_radix_sort_config_selectorIslEEZNS1_25segmented_radix_sort_implIS3_Lb0EPKsPsPKlPlN2at6native12_GLOBAL__N_18offset_tEEE10hipError_tPvRmT1_PNSt15iterator_traitsISK_E10value_typeET2_T3_PNSL_ISQ_E10value_typeET4_jRbjT5_SW_jjP12ihipStream_tbEUlT_E1_NS1_11comp_targetILNS1_3genE5ELNS1_11target_archE942ELNS1_3gpuE9ELNS1_3repE0EEENS1_59segmented_radix_sort_warp_sort_small_config_static_selectorELNS0_4arch9wavefront6targetE1EEEvSK_,comdat
.Lfunc_end1035:
	.size	_ZN7rocprim17ROCPRIM_400000_NS6detail17trampoline_kernelINS0_14default_configENS1_36segmented_radix_sort_config_selectorIslEEZNS1_25segmented_radix_sort_implIS3_Lb0EPKsPsPKlPlN2at6native12_GLOBAL__N_18offset_tEEE10hipError_tPvRmT1_PNSt15iterator_traitsISK_E10value_typeET2_T3_PNSL_ISQ_E10value_typeET4_jRbjT5_SW_jjP12ihipStream_tbEUlT_E1_NS1_11comp_targetILNS1_3genE5ELNS1_11target_archE942ELNS1_3gpuE9ELNS1_3repE0EEENS1_59segmented_radix_sort_warp_sort_small_config_static_selectorELNS0_4arch9wavefront6targetE1EEEvSK_, .Lfunc_end1035-_ZN7rocprim17ROCPRIM_400000_NS6detail17trampoline_kernelINS0_14default_configENS1_36segmented_radix_sort_config_selectorIslEEZNS1_25segmented_radix_sort_implIS3_Lb0EPKsPsPKlPlN2at6native12_GLOBAL__N_18offset_tEEE10hipError_tPvRmT1_PNSt15iterator_traitsISK_E10value_typeET2_T3_PNSL_ISQ_E10value_typeET4_jRbjT5_SW_jjP12ihipStream_tbEUlT_E1_NS1_11comp_targetILNS1_3genE5ELNS1_11target_archE942ELNS1_3gpuE9ELNS1_3repE0EEENS1_59segmented_radix_sort_warp_sort_small_config_static_selectorELNS0_4arch9wavefront6targetE1EEEvSK_
                                        ; -- End function
	.set _ZN7rocprim17ROCPRIM_400000_NS6detail17trampoline_kernelINS0_14default_configENS1_36segmented_radix_sort_config_selectorIslEEZNS1_25segmented_radix_sort_implIS3_Lb0EPKsPsPKlPlN2at6native12_GLOBAL__N_18offset_tEEE10hipError_tPvRmT1_PNSt15iterator_traitsISK_E10value_typeET2_T3_PNSL_ISQ_E10value_typeET4_jRbjT5_SW_jjP12ihipStream_tbEUlT_E1_NS1_11comp_targetILNS1_3genE5ELNS1_11target_archE942ELNS1_3gpuE9ELNS1_3repE0EEENS1_59segmented_radix_sort_warp_sort_small_config_static_selectorELNS0_4arch9wavefront6targetE1EEEvSK_.num_vgpr, 0
	.set _ZN7rocprim17ROCPRIM_400000_NS6detail17trampoline_kernelINS0_14default_configENS1_36segmented_radix_sort_config_selectorIslEEZNS1_25segmented_radix_sort_implIS3_Lb0EPKsPsPKlPlN2at6native12_GLOBAL__N_18offset_tEEE10hipError_tPvRmT1_PNSt15iterator_traitsISK_E10value_typeET2_T3_PNSL_ISQ_E10value_typeET4_jRbjT5_SW_jjP12ihipStream_tbEUlT_E1_NS1_11comp_targetILNS1_3genE5ELNS1_11target_archE942ELNS1_3gpuE9ELNS1_3repE0EEENS1_59segmented_radix_sort_warp_sort_small_config_static_selectorELNS0_4arch9wavefront6targetE1EEEvSK_.num_agpr, 0
	.set _ZN7rocprim17ROCPRIM_400000_NS6detail17trampoline_kernelINS0_14default_configENS1_36segmented_radix_sort_config_selectorIslEEZNS1_25segmented_radix_sort_implIS3_Lb0EPKsPsPKlPlN2at6native12_GLOBAL__N_18offset_tEEE10hipError_tPvRmT1_PNSt15iterator_traitsISK_E10value_typeET2_T3_PNSL_ISQ_E10value_typeET4_jRbjT5_SW_jjP12ihipStream_tbEUlT_E1_NS1_11comp_targetILNS1_3genE5ELNS1_11target_archE942ELNS1_3gpuE9ELNS1_3repE0EEENS1_59segmented_radix_sort_warp_sort_small_config_static_selectorELNS0_4arch9wavefront6targetE1EEEvSK_.numbered_sgpr, 0
	.set _ZN7rocprim17ROCPRIM_400000_NS6detail17trampoline_kernelINS0_14default_configENS1_36segmented_radix_sort_config_selectorIslEEZNS1_25segmented_radix_sort_implIS3_Lb0EPKsPsPKlPlN2at6native12_GLOBAL__N_18offset_tEEE10hipError_tPvRmT1_PNSt15iterator_traitsISK_E10value_typeET2_T3_PNSL_ISQ_E10value_typeET4_jRbjT5_SW_jjP12ihipStream_tbEUlT_E1_NS1_11comp_targetILNS1_3genE5ELNS1_11target_archE942ELNS1_3gpuE9ELNS1_3repE0EEENS1_59segmented_radix_sort_warp_sort_small_config_static_selectorELNS0_4arch9wavefront6targetE1EEEvSK_.num_named_barrier, 0
	.set _ZN7rocprim17ROCPRIM_400000_NS6detail17trampoline_kernelINS0_14default_configENS1_36segmented_radix_sort_config_selectorIslEEZNS1_25segmented_radix_sort_implIS3_Lb0EPKsPsPKlPlN2at6native12_GLOBAL__N_18offset_tEEE10hipError_tPvRmT1_PNSt15iterator_traitsISK_E10value_typeET2_T3_PNSL_ISQ_E10value_typeET4_jRbjT5_SW_jjP12ihipStream_tbEUlT_E1_NS1_11comp_targetILNS1_3genE5ELNS1_11target_archE942ELNS1_3gpuE9ELNS1_3repE0EEENS1_59segmented_radix_sort_warp_sort_small_config_static_selectorELNS0_4arch9wavefront6targetE1EEEvSK_.private_seg_size, 0
	.set _ZN7rocprim17ROCPRIM_400000_NS6detail17trampoline_kernelINS0_14default_configENS1_36segmented_radix_sort_config_selectorIslEEZNS1_25segmented_radix_sort_implIS3_Lb0EPKsPsPKlPlN2at6native12_GLOBAL__N_18offset_tEEE10hipError_tPvRmT1_PNSt15iterator_traitsISK_E10value_typeET2_T3_PNSL_ISQ_E10value_typeET4_jRbjT5_SW_jjP12ihipStream_tbEUlT_E1_NS1_11comp_targetILNS1_3genE5ELNS1_11target_archE942ELNS1_3gpuE9ELNS1_3repE0EEENS1_59segmented_radix_sort_warp_sort_small_config_static_selectorELNS0_4arch9wavefront6targetE1EEEvSK_.uses_vcc, 0
	.set _ZN7rocprim17ROCPRIM_400000_NS6detail17trampoline_kernelINS0_14default_configENS1_36segmented_radix_sort_config_selectorIslEEZNS1_25segmented_radix_sort_implIS3_Lb0EPKsPsPKlPlN2at6native12_GLOBAL__N_18offset_tEEE10hipError_tPvRmT1_PNSt15iterator_traitsISK_E10value_typeET2_T3_PNSL_ISQ_E10value_typeET4_jRbjT5_SW_jjP12ihipStream_tbEUlT_E1_NS1_11comp_targetILNS1_3genE5ELNS1_11target_archE942ELNS1_3gpuE9ELNS1_3repE0EEENS1_59segmented_radix_sort_warp_sort_small_config_static_selectorELNS0_4arch9wavefront6targetE1EEEvSK_.uses_flat_scratch, 0
	.set _ZN7rocprim17ROCPRIM_400000_NS6detail17trampoline_kernelINS0_14default_configENS1_36segmented_radix_sort_config_selectorIslEEZNS1_25segmented_radix_sort_implIS3_Lb0EPKsPsPKlPlN2at6native12_GLOBAL__N_18offset_tEEE10hipError_tPvRmT1_PNSt15iterator_traitsISK_E10value_typeET2_T3_PNSL_ISQ_E10value_typeET4_jRbjT5_SW_jjP12ihipStream_tbEUlT_E1_NS1_11comp_targetILNS1_3genE5ELNS1_11target_archE942ELNS1_3gpuE9ELNS1_3repE0EEENS1_59segmented_radix_sort_warp_sort_small_config_static_selectorELNS0_4arch9wavefront6targetE1EEEvSK_.has_dyn_sized_stack, 0
	.set _ZN7rocprim17ROCPRIM_400000_NS6detail17trampoline_kernelINS0_14default_configENS1_36segmented_radix_sort_config_selectorIslEEZNS1_25segmented_radix_sort_implIS3_Lb0EPKsPsPKlPlN2at6native12_GLOBAL__N_18offset_tEEE10hipError_tPvRmT1_PNSt15iterator_traitsISK_E10value_typeET2_T3_PNSL_ISQ_E10value_typeET4_jRbjT5_SW_jjP12ihipStream_tbEUlT_E1_NS1_11comp_targetILNS1_3genE5ELNS1_11target_archE942ELNS1_3gpuE9ELNS1_3repE0EEENS1_59segmented_radix_sort_warp_sort_small_config_static_selectorELNS0_4arch9wavefront6targetE1EEEvSK_.has_recursion, 0
	.set _ZN7rocprim17ROCPRIM_400000_NS6detail17trampoline_kernelINS0_14default_configENS1_36segmented_radix_sort_config_selectorIslEEZNS1_25segmented_radix_sort_implIS3_Lb0EPKsPsPKlPlN2at6native12_GLOBAL__N_18offset_tEEE10hipError_tPvRmT1_PNSt15iterator_traitsISK_E10value_typeET2_T3_PNSL_ISQ_E10value_typeET4_jRbjT5_SW_jjP12ihipStream_tbEUlT_E1_NS1_11comp_targetILNS1_3genE5ELNS1_11target_archE942ELNS1_3gpuE9ELNS1_3repE0EEENS1_59segmented_radix_sort_warp_sort_small_config_static_selectorELNS0_4arch9wavefront6targetE1EEEvSK_.has_indirect_call, 0
	.section	.AMDGPU.csdata,"",@progbits
; Kernel info:
; codeLenInByte = 0
; TotalNumSgprs: 4
; NumVgprs: 0
; ScratchSize: 0
; MemoryBound: 0
; FloatMode: 240
; IeeeMode: 1
; LDSByteSize: 0 bytes/workgroup (compile time only)
; SGPRBlocks: 0
; VGPRBlocks: 0
; NumSGPRsForWavesPerEU: 4
; NumVGPRsForWavesPerEU: 1
; Occupancy: 10
; WaveLimiterHint : 0
; COMPUTE_PGM_RSRC2:SCRATCH_EN: 0
; COMPUTE_PGM_RSRC2:USER_SGPR: 6
; COMPUTE_PGM_RSRC2:TRAP_HANDLER: 0
; COMPUTE_PGM_RSRC2:TGID_X_EN: 1
; COMPUTE_PGM_RSRC2:TGID_Y_EN: 0
; COMPUTE_PGM_RSRC2:TGID_Z_EN: 0
; COMPUTE_PGM_RSRC2:TIDIG_COMP_CNT: 0
	.section	.text._ZN7rocprim17ROCPRIM_400000_NS6detail17trampoline_kernelINS0_14default_configENS1_36segmented_radix_sort_config_selectorIslEEZNS1_25segmented_radix_sort_implIS3_Lb0EPKsPsPKlPlN2at6native12_GLOBAL__N_18offset_tEEE10hipError_tPvRmT1_PNSt15iterator_traitsISK_E10value_typeET2_T3_PNSL_ISQ_E10value_typeET4_jRbjT5_SW_jjP12ihipStream_tbEUlT_E1_NS1_11comp_targetILNS1_3genE4ELNS1_11target_archE910ELNS1_3gpuE8ELNS1_3repE0EEENS1_59segmented_radix_sort_warp_sort_small_config_static_selectorELNS0_4arch9wavefront6targetE1EEEvSK_,"axG",@progbits,_ZN7rocprim17ROCPRIM_400000_NS6detail17trampoline_kernelINS0_14default_configENS1_36segmented_radix_sort_config_selectorIslEEZNS1_25segmented_radix_sort_implIS3_Lb0EPKsPsPKlPlN2at6native12_GLOBAL__N_18offset_tEEE10hipError_tPvRmT1_PNSt15iterator_traitsISK_E10value_typeET2_T3_PNSL_ISQ_E10value_typeET4_jRbjT5_SW_jjP12ihipStream_tbEUlT_E1_NS1_11comp_targetILNS1_3genE4ELNS1_11target_archE910ELNS1_3gpuE8ELNS1_3repE0EEENS1_59segmented_radix_sort_warp_sort_small_config_static_selectorELNS0_4arch9wavefront6targetE1EEEvSK_,comdat
	.globl	_ZN7rocprim17ROCPRIM_400000_NS6detail17trampoline_kernelINS0_14default_configENS1_36segmented_radix_sort_config_selectorIslEEZNS1_25segmented_radix_sort_implIS3_Lb0EPKsPsPKlPlN2at6native12_GLOBAL__N_18offset_tEEE10hipError_tPvRmT1_PNSt15iterator_traitsISK_E10value_typeET2_T3_PNSL_ISQ_E10value_typeET4_jRbjT5_SW_jjP12ihipStream_tbEUlT_E1_NS1_11comp_targetILNS1_3genE4ELNS1_11target_archE910ELNS1_3gpuE8ELNS1_3repE0EEENS1_59segmented_radix_sort_warp_sort_small_config_static_selectorELNS0_4arch9wavefront6targetE1EEEvSK_ ; -- Begin function _ZN7rocprim17ROCPRIM_400000_NS6detail17trampoline_kernelINS0_14default_configENS1_36segmented_radix_sort_config_selectorIslEEZNS1_25segmented_radix_sort_implIS3_Lb0EPKsPsPKlPlN2at6native12_GLOBAL__N_18offset_tEEE10hipError_tPvRmT1_PNSt15iterator_traitsISK_E10value_typeET2_T3_PNSL_ISQ_E10value_typeET4_jRbjT5_SW_jjP12ihipStream_tbEUlT_E1_NS1_11comp_targetILNS1_3genE4ELNS1_11target_archE910ELNS1_3gpuE8ELNS1_3repE0EEENS1_59segmented_radix_sort_warp_sort_small_config_static_selectorELNS0_4arch9wavefront6targetE1EEEvSK_
	.p2align	8
	.type	_ZN7rocprim17ROCPRIM_400000_NS6detail17trampoline_kernelINS0_14default_configENS1_36segmented_radix_sort_config_selectorIslEEZNS1_25segmented_radix_sort_implIS3_Lb0EPKsPsPKlPlN2at6native12_GLOBAL__N_18offset_tEEE10hipError_tPvRmT1_PNSt15iterator_traitsISK_E10value_typeET2_T3_PNSL_ISQ_E10value_typeET4_jRbjT5_SW_jjP12ihipStream_tbEUlT_E1_NS1_11comp_targetILNS1_3genE4ELNS1_11target_archE910ELNS1_3gpuE8ELNS1_3repE0EEENS1_59segmented_radix_sort_warp_sort_small_config_static_selectorELNS0_4arch9wavefront6targetE1EEEvSK_,@function
_ZN7rocprim17ROCPRIM_400000_NS6detail17trampoline_kernelINS0_14default_configENS1_36segmented_radix_sort_config_selectorIslEEZNS1_25segmented_radix_sort_implIS3_Lb0EPKsPsPKlPlN2at6native12_GLOBAL__N_18offset_tEEE10hipError_tPvRmT1_PNSt15iterator_traitsISK_E10value_typeET2_T3_PNSL_ISQ_E10value_typeET4_jRbjT5_SW_jjP12ihipStream_tbEUlT_E1_NS1_11comp_targetILNS1_3genE4ELNS1_11target_archE910ELNS1_3gpuE8ELNS1_3repE0EEENS1_59segmented_radix_sort_warp_sort_small_config_static_selectorELNS0_4arch9wavefront6targetE1EEEvSK_: ; @_ZN7rocprim17ROCPRIM_400000_NS6detail17trampoline_kernelINS0_14default_configENS1_36segmented_radix_sort_config_selectorIslEEZNS1_25segmented_radix_sort_implIS3_Lb0EPKsPsPKlPlN2at6native12_GLOBAL__N_18offset_tEEE10hipError_tPvRmT1_PNSt15iterator_traitsISK_E10value_typeET2_T3_PNSL_ISQ_E10value_typeET4_jRbjT5_SW_jjP12ihipStream_tbEUlT_E1_NS1_11comp_targetILNS1_3genE4ELNS1_11target_archE910ELNS1_3gpuE8ELNS1_3repE0EEENS1_59segmented_radix_sort_warp_sort_small_config_static_selectorELNS0_4arch9wavefront6targetE1EEEvSK_
; %bb.0:
	.section	.rodata,"a",@progbits
	.p2align	6, 0x0
	.amdhsa_kernel _ZN7rocprim17ROCPRIM_400000_NS6detail17trampoline_kernelINS0_14default_configENS1_36segmented_radix_sort_config_selectorIslEEZNS1_25segmented_radix_sort_implIS3_Lb0EPKsPsPKlPlN2at6native12_GLOBAL__N_18offset_tEEE10hipError_tPvRmT1_PNSt15iterator_traitsISK_E10value_typeET2_T3_PNSL_ISQ_E10value_typeET4_jRbjT5_SW_jjP12ihipStream_tbEUlT_E1_NS1_11comp_targetILNS1_3genE4ELNS1_11target_archE910ELNS1_3gpuE8ELNS1_3repE0EEENS1_59segmented_radix_sort_warp_sort_small_config_static_selectorELNS0_4arch9wavefront6targetE1EEEvSK_
		.amdhsa_group_segment_fixed_size 0
		.amdhsa_private_segment_fixed_size 0
		.amdhsa_kernarg_size 88
		.amdhsa_user_sgpr_count 6
		.amdhsa_user_sgpr_private_segment_buffer 1
		.amdhsa_user_sgpr_dispatch_ptr 0
		.amdhsa_user_sgpr_queue_ptr 0
		.amdhsa_user_sgpr_kernarg_segment_ptr 1
		.amdhsa_user_sgpr_dispatch_id 0
		.amdhsa_user_sgpr_flat_scratch_init 0
		.amdhsa_user_sgpr_private_segment_size 0
		.amdhsa_uses_dynamic_stack 0
		.amdhsa_system_sgpr_private_segment_wavefront_offset 0
		.amdhsa_system_sgpr_workgroup_id_x 1
		.amdhsa_system_sgpr_workgroup_id_y 0
		.amdhsa_system_sgpr_workgroup_id_z 0
		.amdhsa_system_sgpr_workgroup_info 0
		.amdhsa_system_vgpr_workitem_id 0
		.amdhsa_next_free_vgpr 1
		.amdhsa_next_free_sgpr 0
		.amdhsa_reserve_vcc 0
		.amdhsa_reserve_flat_scratch 0
		.amdhsa_float_round_mode_32 0
		.amdhsa_float_round_mode_16_64 0
		.amdhsa_float_denorm_mode_32 3
		.amdhsa_float_denorm_mode_16_64 3
		.amdhsa_dx10_clamp 1
		.amdhsa_ieee_mode 1
		.amdhsa_fp16_overflow 0
		.amdhsa_exception_fp_ieee_invalid_op 0
		.amdhsa_exception_fp_denorm_src 0
		.amdhsa_exception_fp_ieee_div_zero 0
		.amdhsa_exception_fp_ieee_overflow 0
		.amdhsa_exception_fp_ieee_underflow 0
		.amdhsa_exception_fp_ieee_inexact 0
		.amdhsa_exception_int_div_zero 0
	.end_amdhsa_kernel
	.section	.text._ZN7rocprim17ROCPRIM_400000_NS6detail17trampoline_kernelINS0_14default_configENS1_36segmented_radix_sort_config_selectorIslEEZNS1_25segmented_radix_sort_implIS3_Lb0EPKsPsPKlPlN2at6native12_GLOBAL__N_18offset_tEEE10hipError_tPvRmT1_PNSt15iterator_traitsISK_E10value_typeET2_T3_PNSL_ISQ_E10value_typeET4_jRbjT5_SW_jjP12ihipStream_tbEUlT_E1_NS1_11comp_targetILNS1_3genE4ELNS1_11target_archE910ELNS1_3gpuE8ELNS1_3repE0EEENS1_59segmented_radix_sort_warp_sort_small_config_static_selectorELNS0_4arch9wavefront6targetE1EEEvSK_,"axG",@progbits,_ZN7rocprim17ROCPRIM_400000_NS6detail17trampoline_kernelINS0_14default_configENS1_36segmented_radix_sort_config_selectorIslEEZNS1_25segmented_radix_sort_implIS3_Lb0EPKsPsPKlPlN2at6native12_GLOBAL__N_18offset_tEEE10hipError_tPvRmT1_PNSt15iterator_traitsISK_E10value_typeET2_T3_PNSL_ISQ_E10value_typeET4_jRbjT5_SW_jjP12ihipStream_tbEUlT_E1_NS1_11comp_targetILNS1_3genE4ELNS1_11target_archE910ELNS1_3gpuE8ELNS1_3repE0EEENS1_59segmented_radix_sort_warp_sort_small_config_static_selectorELNS0_4arch9wavefront6targetE1EEEvSK_,comdat
.Lfunc_end1036:
	.size	_ZN7rocprim17ROCPRIM_400000_NS6detail17trampoline_kernelINS0_14default_configENS1_36segmented_radix_sort_config_selectorIslEEZNS1_25segmented_radix_sort_implIS3_Lb0EPKsPsPKlPlN2at6native12_GLOBAL__N_18offset_tEEE10hipError_tPvRmT1_PNSt15iterator_traitsISK_E10value_typeET2_T3_PNSL_ISQ_E10value_typeET4_jRbjT5_SW_jjP12ihipStream_tbEUlT_E1_NS1_11comp_targetILNS1_3genE4ELNS1_11target_archE910ELNS1_3gpuE8ELNS1_3repE0EEENS1_59segmented_radix_sort_warp_sort_small_config_static_selectorELNS0_4arch9wavefront6targetE1EEEvSK_, .Lfunc_end1036-_ZN7rocprim17ROCPRIM_400000_NS6detail17trampoline_kernelINS0_14default_configENS1_36segmented_radix_sort_config_selectorIslEEZNS1_25segmented_radix_sort_implIS3_Lb0EPKsPsPKlPlN2at6native12_GLOBAL__N_18offset_tEEE10hipError_tPvRmT1_PNSt15iterator_traitsISK_E10value_typeET2_T3_PNSL_ISQ_E10value_typeET4_jRbjT5_SW_jjP12ihipStream_tbEUlT_E1_NS1_11comp_targetILNS1_3genE4ELNS1_11target_archE910ELNS1_3gpuE8ELNS1_3repE0EEENS1_59segmented_radix_sort_warp_sort_small_config_static_selectorELNS0_4arch9wavefront6targetE1EEEvSK_
                                        ; -- End function
	.set _ZN7rocprim17ROCPRIM_400000_NS6detail17trampoline_kernelINS0_14default_configENS1_36segmented_radix_sort_config_selectorIslEEZNS1_25segmented_radix_sort_implIS3_Lb0EPKsPsPKlPlN2at6native12_GLOBAL__N_18offset_tEEE10hipError_tPvRmT1_PNSt15iterator_traitsISK_E10value_typeET2_T3_PNSL_ISQ_E10value_typeET4_jRbjT5_SW_jjP12ihipStream_tbEUlT_E1_NS1_11comp_targetILNS1_3genE4ELNS1_11target_archE910ELNS1_3gpuE8ELNS1_3repE0EEENS1_59segmented_radix_sort_warp_sort_small_config_static_selectorELNS0_4arch9wavefront6targetE1EEEvSK_.num_vgpr, 0
	.set _ZN7rocprim17ROCPRIM_400000_NS6detail17trampoline_kernelINS0_14default_configENS1_36segmented_radix_sort_config_selectorIslEEZNS1_25segmented_radix_sort_implIS3_Lb0EPKsPsPKlPlN2at6native12_GLOBAL__N_18offset_tEEE10hipError_tPvRmT1_PNSt15iterator_traitsISK_E10value_typeET2_T3_PNSL_ISQ_E10value_typeET4_jRbjT5_SW_jjP12ihipStream_tbEUlT_E1_NS1_11comp_targetILNS1_3genE4ELNS1_11target_archE910ELNS1_3gpuE8ELNS1_3repE0EEENS1_59segmented_radix_sort_warp_sort_small_config_static_selectorELNS0_4arch9wavefront6targetE1EEEvSK_.num_agpr, 0
	.set _ZN7rocprim17ROCPRIM_400000_NS6detail17trampoline_kernelINS0_14default_configENS1_36segmented_radix_sort_config_selectorIslEEZNS1_25segmented_radix_sort_implIS3_Lb0EPKsPsPKlPlN2at6native12_GLOBAL__N_18offset_tEEE10hipError_tPvRmT1_PNSt15iterator_traitsISK_E10value_typeET2_T3_PNSL_ISQ_E10value_typeET4_jRbjT5_SW_jjP12ihipStream_tbEUlT_E1_NS1_11comp_targetILNS1_3genE4ELNS1_11target_archE910ELNS1_3gpuE8ELNS1_3repE0EEENS1_59segmented_radix_sort_warp_sort_small_config_static_selectorELNS0_4arch9wavefront6targetE1EEEvSK_.numbered_sgpr, 0
	.set _ZN7rocprim17ROCPRIM_400000_NS6detail17trampoline_kernelINS0_14default_configENS1_36segmented_radix_sort_config_selectorIslEEZNS1_25segmented_radix_sort_implIS3_Lb0EPKsPsPKlPlN2at6native12_GLOBAL__N_18offset_tEEE10hipError_tPvRmT1_PNSt15iterator_traitsISK_E10value_typeET2_T3_PNSL_ISQ_E10value_typeET4_jRbjT5_SW_jjP12ihipStream_tbEUlT_E1_NS1_11comp_targetILNS1_3genE4ELNS1_11target_archE910ELNS1_3gpuE8ELNS1_3repE0EEENS1_59segmented_radix_sort_warp_sort_small_config_static_selectorELNS0_4arch9wavefront6targetE1EEEvSK_.num_named_barrier, 0
	.set _ZN7rocprim17ROCPRIM_400000_NS6detail17trampoline_kernelINS0_14default_configENS1_36segmented_radix_sort_config_selectorIslEEZNS1_25segmented_radix_sort_implIS3_Lb0EPKsPsPKlPlN2at6native12_GLOBAL__N_18offset_tEEE10hipError_tPvRmT1_PNSt15iterator_traitsISK_E10value_typeET2_T3_PNSL_ISQ_E10value_typeET4_jRbjT5_SW_jjP12ihipStream_tbEUlT_E1_NS1_11comp_targetILNS1_3genE4ELNS1_11target_archE910ELNS1_3gpuE8ELNS1_3repE0EEENS1_59segmented_radix_sort_warp_sort_small_config_static_selectorELNS0_4arch9wavefront6targetE1EEEvSK_.private_seg_size, 0
	.set _ZN7rocprim17ROCPRIM_400000_NS6detail17trampoline_kernelINS0_14default_configENS1_36segmented_radix_sort_config_selectorIslEEZNS1_25segmented_radix_sort_implIS3_Lb0EPKsPsPKlPlN2at6native12_GLOBAL__N_18offset_tEEE10hipError_tPvRmT1_PNSt15iterator_traitsISK_E10value_typeET2_T3_PNSL_ISQ_E10value_typeET4_jRbjT5_SW_jjP12ihipStream_tbEUlT_E1_NS1_11comp_targetILNS1_3genE4ELNS1_11target_archE910ELNS1_3gpuE8ELNS1_3repE0EEENS1_59segmented_radix_sort_warp_sort_small_config_static_selectorELNS0_4arch9wavefront6targetE1EEEvSK_.uses_vcc, 0
	.set _ZN7rocprim17ROCPRIM_400000_NS6detail17trampoline_kernelINS0_14default_configENS1_36segmented_radix_sort_config_selectorIslEEZNS1_25segmented_radix_sort_implIS3_Lb0EPKsPsPKlPlN2at6native12_GLOBAL__N_18offset_tEEE10hipError_tPvRmT1_PNSt15iterator_traitsISK_E10value_typeET2_T3_PNSL_ISQ_E10value_typeET4_jRbjT5_SW_jjP12ihipStream_tbEUlT_E1_NS1_11comp_targetILNS1_3genE4ELNS1_11target_archE910ELNS1_3gpuE8ELNS1_3repE0EEENS1_59segmented_radix_sort_warp_sort_small_config_static_selectorELNS0_4arch9wavefront6targetE1EEEvSK_.uses_flat_scratch, 0
	.set _ZN7rocprim17ROCPRIM_400000_NS6detail17trampoline_kernelINS0_14default_configENS1_36segmented_radix_sort_config_selectorIslEEZNS1_25segmented_radix_sort_implIS3_Lb0EPKsPsPKlPlN2at6native12_GLOBAL__N_18offset_tEEE10hipError_tPvRmT1_PNSt15iterator_traitsISK_E10value_typeET2_T3_PNSL_ISQ_E10value_typeET4_jRbjT5_SW_jjP12ihipStream_tbEUlT_E1_NS1_11comp_targetILNS1_3genE4ELNS1_11target_archE910ELNS1_3gpuE8ELNS1_3repE0EEENS1_59segmented_radix_sort_warp_sort_small_config_static_selectorELNS0_4arch9wavefront6targetE1EEEvSK_.has_dyn_sized_stack, 0
	.set _ZN7rocprim17ROCPRIM_400000_NS6detail17trampoline_kernelINS0_14default_configENS1_36segmented_radix_sort_config_selectorIslEEZNS1_25segmented_radix_sort_implIS3_Lb0EPKsPsPKlPlN2at6native12_GLOBAL__N_18offset_tEEE10hipError_tPvRmT1_PNSt15iterator_traitsISK_E10value_typeET2_T3_PNSL_ISQ_E10value_typeET4_jRbjT5_SW_jjP12ihipStream_tbEUlT_E1_NS1_11comp_targetILNS1_3genE4ELNS1_11target_archE910ELNS1_3gpuE8ELNS1_3repE0EEENS1_59segmented_radix_sort_warp_sort_small_config_static_selectorELNS0_4arch9wavefront6targetE1EEEvSK_.has_recursion, 0
	.set _ZN7rocprim17ROCPRIM_400000_NS6detail17trampoline_kernelINS0_14default_configENS1_36segmented_radix_sort_config_selectorIslEEZNS1_25segmented_radix_sort_implIS3_Lb0EPKsPsPKlPlN2at6native12_GLOBAL__N_18offset_tEEE10hipError_tPvRmT1_PNSt15iterator_traitsISK_E10value_typeET2_T3_PNSL_ISQ_E10value_typeET4_jRbjT5_SW_jjP12ihipStream_tbEUlT_E1_NS1_11comp_targetILNS1_3genE4ELNS1_11target_archE910ELNS1_3gpuE8ELNS1_3repE0EEENS1_59segmented_radix_sort_warp_sort_small_config_static_selectorELNS0_4arch9wavefront6targetE1EEEvSK_.has_indirect_call, 0
	.section	.AMDGPU.csdata,"",@progbits
; Kernel info:
; codeLenInByte = 0
; TotalNumSgprs: 4
; NumVgprs: 0
; ScratchSize: 0
; MemoryBound: 0
; FloatMode: 240
; IeeeMode: 1
; LDSByteSize: 0 bytes/workgroup (compile time only)
; SGPRBlocks: 0
; VGPRBlocks: 0
; NumSGPRsForWavesPerEU: 4
; NumVGPRsForWavesPerEU: 1
; Occupancy: 10
; WaveLimiterHint : 0
; COMPUTE_PGM_RSRC2:SCRATCH_EN: 0
; COMPUTE_PGM_RSRC2:USER_SGPR: 6
; COMPUTE_PGM_RSRC2:TRAP_HANDLER: 0
; COMPUTE_PGM_RSRC2:TGID_X_EN: 1
; COMPUTE_PGM_RSRC2:TGID_Y_EN: 0
; COMPUTE_PGM_RSRC2:TGID_Z_EN: 0
; COMPUTE_PGM_RSRC2:TIDIG_COMP_CNT: 0
	.section	.text._ZN7rocprim17ROCPRIM_400000_NS6detail17trampoline_kernelINS0_14default_configENS1_36segmented_radix_sort_config_selectorIslEEZNS1_25segmented_radix_sort_implIS3_Lb0EPKsPsPKlPlN2at6native12_GLOBAL__N_18offset_tEEE10hipError_tPvRmT1_PNSt15iterator_traitsISK_E10value_typeET2_T3_PNSL_ISQ_E10value_typeET4_jRbjT5_SW_jjP12ihipStream_tbEUlT_E1_NS1_11comp_targetILNS1_3genE3ELNS1_11target_archE908ELNS1_3gpuE7ELNS1_3repE0EEENS1_59segmented_radix_sort_warp_sort_small_config_static_selectorELNS0_4arch9wavefront6targetE1EEEvSK_,"axG",@progbits,_ZN7rocprim17ROCPRIM_400000_NS6detail17trampoline_kernelINS0_14default_configENS1_36segmented_radix_sort_config_selectorIslEEZNS1_25segmented_radix_sort_implIS3_Lb0EPKsPsPKlPlN2at6native12_GLOBAL__N_18offset_tEEE10hipError_tPvRmT1_PNSt15iterator_traitsISK_E10value_typeET2_T3_PNSL_ISQ_E10value_typeET4_jRbjT5_SW_jjP12ihipStream_tbEUlT_E1_NS1_11comp_targetILNS1_3genE3ELNS1_11target_archE908ELNS1_3gpuE7ELNS1_3repE0EEENS1_59segmented_radix_sort_warp_sort_small_config_static_selectorELNS0_4arch9wavefront6targetE1EEEvSK_,comdat
	.globl	_ZN7rocprim17ROCPRIM_400000_NS6detail17trampoline_kernelINS0_14default_configENS1_36segmented_radix_sort_config_selectorIslEEZNS1_25segmented_radix_sort_implIS3_Lb0EPKsPsPKlPlN2at6native12_GLOBAL__N_18offset_tEEE10hipError_tPvRmT1_PNSt15iterator_traitsISK_E10value_typeET2_T3_PNSL_ISQ_E10value_typeET4_jRbjT5_SW_jjP12ihipStream_tbEUlT_E1_NS1_11comp_targetILNS1_3genE3ELNS1_11target_archE908ELNS1_3gpuE7ELNS1_3repE0EEENS1_59segmented_radix_sort_warp_sort_small_config_static_selectorELNS0_4arch9wavefront6targetE1EEEvSK_ ; -- Begin function _ZN7rocprim17ROCPRIM_400000_NS6detail17trampoline_kernelINS0_14default_configENS1_36segmented_radix_sort_config_selectorIslEEZNS1_25segmented_radix_sort_implIS3_Lb0EPKsPsPKlPlN2at6native12_GLOBAL__N_18offset_tEEE10hipError_tPvRmT1_PNSt15iterator_traitsISK_E10value_typeET2_T3_PNSL_ISQ_E10value_typeET4_jRbjT5_SW_jjP12ihipStream_tbEUlT_E1_NS1_11comp_targetILNS1_3genE3ELNS1_11target_archE908ELNS1_3gpuE7ELNS1_3repE0EEENS1_59segmented_radix_sort_warp_sort_small_config_static_selectorELNS0_4arch9wavefront6targetE1EEEvSK_
	.p2align	8
	.type	_ZN7rocprim17ROCPRIM_400000_NS6detail17trampoline_kernelINS0_14default_configENS1_36segmented_radix_sort_config_selectorIslEEZNS1_25segmented_radix_sort_implIS3_Lb0EPKsPsPKlPlN2at6native12_GLOBAL__N_18offset_tEEE10hipError_tPvRmT1_PNSt15iterator_traitsISK_E10value_typeET2_T3_PNSL_ISQ_E10value_typeET4_jRbjT5_SW_jjP12ihipStream_tbEUlT_E1_NS1_11comp_targetILNS1_3genE3ELNS1_11target_archE908ELNS1_3gpuE7ELNS1_3repE0EEENS1_59segmented_radix_sort_warp_sort_small_config_static_selectorELNS0_4arch9wavefront6targetE1EEEvSK_,@function
_ZN7rocprim17ROCPRIM_400000_NS6detail17trampoline_kernelINS0_14default_configENS1_36segmented_radix_sort_config_selectorIslEEZNS1_25segmented_radix_sort_implIS3_Lb0EPKsPsPKlPlN2at6native12_GLOBAL__N_18offset_tEEE10hipError_tPvRmT1_PNSt15iterator_traitsISK_E10value_typeET2_T3_PNSL_ISQ_E10value_typeET4_jRbjT5_SW_jjP12ihipStream_tbEUlT_E1_NS1_11comp_targetILNS1_3genE3ELNS1_11target_archE908ELNS1_3gpuE7ELNS1_3repE0EEENS1_59segmented_radix_sort_warp_sort_small_config_static_selectorELNS0_4arch9wavefront6targetE1EEEvSK_: ; @_ZN7rocprim17ROCPRIM_400000_NS6detail17trampoline_kernelINS0_14default_configENS1_36segmented_radix_sort_config_selectorIslEEZNS1_25segmented_radix_sort_implIS3_Lb0EPKsPsPKlPlN2at6native12_GLOBAL__N_18offset_tEEE10hipError_tPvRmT1_PNSt15iterator_traitsISK_E10value_typeET2_T3_PNSL_ISQ_E10value_typeET4_jRbjT5_SW_jjP12ihipStream_tbEUlT_E1_NS1_11comp_targetILNS1_3genE3ELNS1_11target_archE908ELNS1_3gpuE7ELNS1_3repE0EEENS1_59segmented_radix_sort_warp_sort_small_config_static_selectorELNS0_4arch9wavefront6targetE1EEEvSK_
; %bb.0:
	.section	.rodata,"a",@progbits
	.p2align	6, 0x0
	.amdhsa_kernel _ZN7rocprim17ROCPRIM_400000_NS6detail17trampoline_kernelINS0_14default_configENS1_36segmented_radix_sort_config_selectorIslEEZNS1_25segmented_radix_sort_implIS3_Lb0EPKsPsPKlPlN2at6native12_GLOBAL__N_18offset_tEEE10hipError_tPvRmT1_PNSt15iterator_traitsISK_E10value_typeET2_T3_PNSL_ISQ_E10value_typeET4_jRbjT5_SW_jjP12ihipStream_tbEUlT_E1_NS1_11comp_targetILNS1_3genE3ELNS1_11target_archE908ELNS1_3gpuE7ELNS1_3repE0EEENS1_59segmented_radix_sort_warp_sort_small_config_static_selectorELNS0_4arch9wavefront6targetE1EEEvSK_
		.amdhsa_group_segment_fixed_size 0
		.amdhsa_private_segment_fixed_size 0
		.amdhsa_kernarg_size 88
		.amdhsa_user_sgpr_count 6
		.amdhsa_user_sgpr_private_segment_buffer 1
		.amdhsa_user_sgpr_dispatch_ptr 0
		.amdhsa_user_sgpr_queue_ptr 0
		.amdhsa_user_sgpr_kernarg_segment_ptr 1
		.amdhsa_user_sgpr_dispatch_id 0
		.amdhsa_user_sgpr_flat_scratch_init 0
		.amdhsa_user_sgpr_private_segment_size 0
		.amdhsa_uses_dynamic_stack 0
		.amdhsa_system_sgpr_private_segment_wavefront_offset 0
		.amdhsa_system_sgpr_workgroup_id_x 1
		.amdhsa_system_sgpr_workgroup_id_y 0
		.amdhsa_system_sgpr_workgroup_id_z 0
		.amdhsa_system_sgpr_workgroup_info 0
		.amdhsa_system_vgpr_workitem_id 0
		.amdhsa_next_free_vgpr 1
		.amdhsa_next_free_sgpr 0
		.amdhsa_reserve_vcc 0
		.amdhsa_reserve_flat_scratch 0
		.amdhsa_float_round_mode_32 0
		.amdhsa_float_round_mode_16_64 0
		.amdhsa_float_denorm_mode_32 3
		.amdhsa_float_denorm_mode_16_64 3
		.amdhsa_dx10_clamp 1
		.amdhsa_ieee_mode 1
		.amdhsa_fp16_overflow 0
		.amdhsa_exception_fp_ieee_invalid_op 0
		.amdhsa_exception_fp_denorm_src 0
		.amdhsa_exception_fp_ieee_div_zero 0
		.amdhsa_exception_fp_ieee_overflow 0
		.amdhsa_exception_fp_ieee_underflow 0
		.amdhsa_exception_fp_ieee_inexact 0
		.amdhsa_exception_int_div_zero 0
	.end_amdhsa_kernel
	.section	.text._ZN7rocprim17ROCPRIM_400000_NS6detail17trampoline_kernelINS0_14default_configENS1_36segmented_radix_sort_config_selectorIslEEZNS1_25segmented_radix_sort_implIS3_Lb0EPKsPsPKlPlN2at6native12_GLOBAL__N_18offset_tEEE10hipError_tPvRmT1_PNSt15iterator_traitsISK_E10value_typeET2_T3_PNSL_ISQ_E10value_typeET4_jRbjT5_SW_jjP12ihipStream_tbEUlT_E1_NS1_11comp_targetILNS1_3genE3ELNS1_11target_archE908ELNS1_3gpuE7ELNS1_3repE0EEENS1_59segmented_radix_sort_warp_sort_small_config_static_selectorELNS0_4arch9wavefront6targetE1EEEvSK_,"axG",@progbits,_ZN7rocprim17ROCPRIM_400000_NS6detail17trampoline_kernelINS0_14default_configENS1_36segmented_radix_sort_config_selectorIslEEZNS1_25segmented_radix_sort_implIS3_Lb0EPKsPsPKlPlN2at6native12_GLOBAL__N_18offset_tEEE10hipError_tPvRmT1_PNSt15iterator_traitsISK_E10value_typeET2_T3_PNSL_ISQ_E10value_typeET4_jRbjT5_SW_jjP12ihipStream_tbEUlT_E1_NS1_11comp_targetILNS1_3genE3ELNS1_11target_archE908ELNS1_3gpuE7ELNS1_3repE0EEENS1_59segmented_radix_sort_warp_sort_small_config_static_selectorELNS0_4arch9wavefront6targetE1EEEvSK_,comdat
.Lfunc_end1037:
	.size	_ZN7rocprim17ROCPRIM_400000_NS6detail17trampoline_kernelINS0_14default_configENS1_36segmented_radix_sort_config_selectorIslEEZNS1_25segmented_radix_sort_implIS3_Lb0EPKsPsPKlPlN2at6native12_GLOBAL__N_18offset_tEEE10hipError_tPvRmT1_PNSt15iterator_traitsISK_E10value_typeET2_T3_PNSL_ISQ_E10value_typeET4_jRbjT5_SW_jjP12ihipStream_tbEUlT_E1_NS1_11comp_targetILNS1_3genE3ELNS1_11target_archE908ELNS1_3gpuE7ELNS1_3repE0EEENS1_59segmented_radix_sort_warp_sort_small_config_static_selectorELNS0_4arch9wavefront6targetE1EEEvSK_, .Lfunc_end1037-_ZN7rocprim17ROCPRIM_400000_NS6detail17trampoline_kernelINS0_14default_configENS1_36segmented_radix_sort_config_selectorIslEEZNS1_25segmented_radix_sort_implIS3_Lb0EPKsPsPKlPlN2at6native12_GLOBAL__N_18offset_tEEE10hipError_tPvRmT1_PNSt15iterator_traitsISK_E10value_typeET2_T3_PNSL_ISQ_E10value_typeET4_jRbjT5_SW_jjP12ihipStream_tbEUlT_E1_NS1_11comp_targetILNS1_3genE3ELNS1_11target_archE908ELNS1_3gpuE7ELNS1_3repE0EEENS1_59segmented_radix_sort_warp_sort_small_config_static_selectorELNS0_4arch9wavefront6targetE1EEEvSK_
                                        ; -- End function
	.set _ZN7rocprim17ROCPRIM_400000_NS6detail17trampoline_kernelINS0_14default_configENS1_36segmented_radix_sort_config_selectorIslEEZNS1_25segmented_radix_sort_implIS3_Lb0EPKsPsPKlPlN2at6native12_GLOBAL__N_18offset_tEEE10hipError_tPvRmT1_PNSt15iterator_traitsISK_E10value_typeET2_T3_PNSL_ISQ_E10value_typeET4_jRbjT5_SW_jjP12ihipStream_tbEUlT_E1_NS1_11comp_targetILNS1_3genE3ELNS1_11target_archE908ELNS1_3gpuE7ELNS1_3repE0EEENS1_59segmented_radix_sort_warp_sort_small_config_static_selectorELNS0_4arch9wavefront6targetE1EEEvSK_.num_vgpr, 0
	.set _ZN7rocprim17ROCPRIM_400000_NS6detail17trampoline_kernelINS0_14default_configENS1_36segmented_radix_sort_config_selectorIslEEZNS1_25segmented_radix_sort_implIS3_Lb0EPKsPsPKlPlN2at6native12_GLOBAL__N_18offset_tEEE10hipError_tPvRmT1_PNSt15iterator_traitsISK_E10value_typeET2_T3_PNSL_ISQ_E10value_typeET4_jRbjT5_SW_jjP12ihipStream_tbEUlT_E1_NS1_11comp_targetILNS1_3genE3ELNS1_11target_archE908ELNS1_3gpuE7ELNS1_3repE0EEENS1_59segmented_radix_sort_warp_sort_small_config_static_selectorELNS0_4arch9wavefront6targetE1EEEvSK_.num_agpr, 0
	.set _ZN7rocprim17ROCPRIM_400000_NS6detail17trampoline_kernelINS0_14default_configENS1_36segmented_radix_sort_config_selectorIslEEZNS1_25segmented_radix_sort_implIS3_Lb0EPKsPsPKlPlN2at6native12_GLOBAL__N_18offset_tEEE10hipError_tPvRmT1_PNSt15iterator_traitsISK_E10value_typeET2_T3_PNSL_ISQ_E10value_typeET4_jRbjT5_SW_jjP12ihipStream_tbEUlT_E1_NS1_11comp_targetILNS1_3genE3ELNS1_11target_archE908ELNS1_3gpuE7ELNS1_3repE0EEENS1_59segmented_radix_sort_warp_sort_small_config_static_selectorELNS0_4arch9wavefront6targetE1EEEvSK_.numbered_sgpr, 0
	.set _ZN7rocprim17ROCPRIM_400000_NS6detail17trampoline_kernelINS0_14default_configENS1_36segmented_radix_sort_config_selectorIslEEZNS1_25segmented_radix_sort_implIS3_Lb0EPKsPsPKlPlN2at6native12_GLOBAL__N_18offset_tEEE10hipError_tPvRmT1_PNSt15iterator_traitsISK_E10value_typeET2_T3_PNSL_ISQ_E10value_typeET4_jRbjT5_SW_jjP12ihipStream_tbEUlT_E1_NS1_11comp_targetILNS1_3genE3ELNS1_11target_archE908ELNS1_3gpuE7ELNS1_3repE0EEENS1_59segmented_radix_sort_warp_sort_small_config_static_selectorELNS0_4arch9wavefront6targetE1EEEvSK_.num_named_barrier, 0
	.set _ZN7rocprim17ROCPRIM_400000_NS6detail17trampoline_kernelINS0_14default_configENS1_36segmented_radix_sort_config_selectorIslEEZNS1_25segmented_radix_sort_implIS3_Lb0EPKsPsPKlPlN2at6native12_GLOBAL__N_18offset_tEEE10hipError_tPvRmT1_PNSt15iterator_traitsISK_E10value_typeET2_T3_PNSL_ISQ_E10value_typeET4_jRbjT5_SW_jjP12ihipStream_tbEUlT_E1_NS1_11comp_targetILNS1_3genE3ELNS1_11target_archE908ELNS1_3gpuE7ELNS1_3repE0EEENS1_59segmented_radix_sort_warp_sort_small_config_static_selectorELNS0_4arch9wavefront6targetE1EEEvSK_.private_seg_size, 0
	.set _ZN7rocprim17ROCPRIM_400000_NS6detail17trampoline_kernelINS0_14default_configENS1_36segmented_radix_sort_config_selectorIslEEZNS1_25segmented_radix_sort_implIS3_Lb0EPKsPsPKlPlN2at6native12_GLOBAL__N_18offset_tEEE10hipError_tPvRmT1_PNSt15iterator_traitsISK_E10value_typeET2_T3_PNSL_ISQ_E10value_typeET4_jRbjT5_SW_jjP12ihipStream_tbEUlT_E1_NS1_11comp_targetILNS1_3genE3ELNS1_11target_archE908ELNS1_3gpuE7ELNS1_3repE0EEENS1_59segmented_radix_sort_warp_sort_small_config_static_selectorELNS0_4arch9wavefront6targetE1EEEvSK_.uses_vcc, 0
	.set _ZN7rocprim17ROCPRIM_400000_NS6detail17trampoline_kernelINS0_14default_configENS1_36segmented_radix_sort_config_selectorIslEEZNS1_25segmented_radix_sort_implIS3_Lb0EPKsPsPKlPlN2at6native12_GLOBAL__N_18offset_tEEE10hipError_tPvRmT1_PNSt15iterator_traitsISK_E10value_typeET2_T3_PNSL_ISQ_E10value_typeET4_jRbjT5_SW_jjP12ihipStream_tbEUlT_E1_NS1_11comp_targetILNS1_3genE3ELNS1_11target_archE908ELNS1_3gpuE7ELNS1_3repE0EEENS1_59segmented_radix_sort_warp_sort_small_config_static_selectorELNS0_4arch9wavefront6targetE1EEEvSK_.uses_flat_scratch, 0
	.set _ZN7rocprim17ROCPRIM_400000_NS6detail17trampoline_kernelINS0_14default_configENS1_36segmented_radix_sort_config_selectorIslEEZNS1_25segmented_radix_sort_implIS3_Lb0EPKsPsPKlPlN2at6native12_GLOBAL__N_18offset_tEEE10hipError_tPvRmT1_PNSt15iterator_traitsISK_E10value_typeET2_T3_PNSL_ISQ_E10value_typeET4_jRbjT5_SW_jjP12ihipStream_tbEUlT_E1_NS1_11comp_targetILNS1_3genE3ELNS1_11target_archE908ELNS1_3gpuE7ELNS1_3repE0EEENS1_59segmented_radix_sort_warp_sort_small_config_static_selectorELNS0_4arch9wavefront6targetE1EEEvSK_.has_dyn_sized_stack, 0
	.set _ZN7rocprim17ROCPRIM_400000_NS6detail17trampoline_kernelINS0_14default_configENS1_36segmented_radix_sort_config_selectorIslEEZNS1_25segmented_radix_sort_implIS3_Lb0EPKsPsPKlPlN2at6native12_GLOBAL__N_18offset_tEEE10hipError_tPvRmT1_PNSt15iterator_traitsISK_E10value_typeET2_T3_PNSL_ISQ_E10value_typeET4_jRbjT5_SW_jjP12ihipStream_tbEUlT_E1_NS1_11comp_targetILNS1_3genE3ELNS1_11target_archE908ELNS1_3gpuE7ELNS1_3repE0EEENS1_59segmented_radix_sort_warp_sort_small_config_static_selectorELNS0_4arch9wavefront6targetE1EEEvSK_.has_recursion, 0
	.set _ZN7rocprim17ROCPRIM_400000_NS6detail17trampoline_kernelINS0_14default_configENS1_36segmented_radix_sort_config_selectorIslEEZNS1_25segmented_radix_sort_implIS3_Lb0EPKsPsPKlPlN2at6native12_GLOBAL__N_18offset_tEEE10hipError_tPvRmT1_PNSt15iterator_traitsISK_E10value_typeET2_T3_PNSL_ISQ_E10value_typeET4_jRbjT5_SW_jjP12ihipStream_tbEUlT_E1_NS1_11comp_targetILNS1_3genE3ELNS1_11target_archE908ELNS1_3gpuE7ELNS1_3repE0EEENS1_59segmented_radix_sort_warp_sort_small_config_static_selectorELNS0_4arch9wavefront6targetE1EEEvSK_.has_indirect_call, 0
	.section	.AMDGPU.csdata,"",@progbits
; Kernel info:
; codeLenInByte = 0
; TotalNumSgprs: 4
; NumVgprs: 0
; ScratchSize: 0
; MemoryBound: 0
; FloatMode: 240
; IeeeMode: 1
; LDSByteSize: 0 bytes/workgroup (compile time only)
; SGPRBlocks: 0
; VGPRBlocks: 0
; NumSGPRsForWavesPerEU: 4
; NumVGPRsForWavesPerEU: 1
; Occupancy: 10
; WaveLimiterHint : 0
; COMPUTE_PGM_RSRC2:SCRATCH_EN: 0
; COMPUTE_PGM_RSRC2:USER_SGPR: 6
; COMPUTE_PGM_RSRC2:TRAP_HANDLER: 0
; COMPUTE_PGM_RSRC2:TGID_X_EN: 1
; COMPUTE_PGM_RSRC2:TGID_Y_EN: 0
; COMPUTE_PGM_RSRC2:TGID_Z_EN: 0
; COMPUTE_PGM_RSRC2:TIDIG_COMP_CNT: 0
	.text
	.p2align	2                               ; -- Begin function _ZN7rocprim17ROCPRIM_400000_NS6detail26segmented_warp_sort_helperINS1_20WarpSortHelperConfigILj8ELj4ELj256EEEslLi256ELb0EvE4sortIPKsPsPKlPlEEvT_T0_T1_T2_jjjjRNS5_12storage_typeE
	.type	_ZN7rocprim17ROCPRIM_400000_NS6detail26segmented_warp_sort_helperINS1_20WarpSortHelperConfigILj8ELj4ELj256EEEslLi256ELb0EvE4sortIPKsPsPKlPlEEvT_T0_T1_T2_jjjjRNS5_12storage_typeE,@function
_ZN7rocprim17ROCPRIM_400000_NS6detail26segmented_warp_sort_helperINS1_20WarpSortHelperConfigILj8ELj4ELj256EEEslLi256ELb0EvE4sortIPKsPsPKlPlEEvT_T0_T1_T2_jjjjRNS5_12storage_typeE: ; @_ZN7rocprim17ROCPRIM_400000_NS6detail26segmented_warp_sort_helperINS1_20WarpSortHelperConfigILj8ELj4ELj256EEEslLi256ELb0EvE4sortIPKsPsPKlPlEEvT_T0_T1_T2_jjjjRNS5_12storage_typeE
; %bb.0:
	s_waitcnt vmcnt(0) expcnt(0) lgkmcnt(0)
	v_mov_b32_e32 v14, v9
	v_mov_b32_e32 v9, 0
	v_mbcnt_lo_u32_b32 v15, -1, 0
	v_lshlrev_b64 v[32:33], 1, v[8:9]
	v_mbcnt_hi_u32_b32 v15, -1, v15
	v_lshlrev_b32_e32 v37, 2, v15
	v_add_co_u32_e32 v0, vcc, v0, v32
	v_and_b32_e32 v38, 28, v37
	v_addc_co_u32_e32 v1, vcc, v1, v33, vcc
	v_lshlrev_b32_e32 v30, 1, v38
	v_add_co_u32_e32 v0, vcc, v0, v30
	v_addc_co_u32_e32 v1, vcc, 0, v1, vcc
	v_sub_u32_e32 v14, v14, v8
	v_cmp_lt_u32_e32 vcc, v38, v14
	v_mov_b32_e32 v39, 0x7fff
	v_mov_b32_e32 v49, 0x7fff
	s_and_saveexec_b64 s[4:5], vcc
	s_cbranch_execz .LBB1038_2
; %bb.1:
	flat_load_ushort v49, v[0:1]
.LBB1038_2:
	s_or_b64 exec, exec, s[4:5]
	v_or_b32_e32 v15, 1, v38
	v_cmp_lt_u32_e64 s[4:5], v15, v14
	s_and_saveexec_b64 s[6:7], s[4:5]
	s_cbranch_execz .LBB1038_4
; %bb.3:
	flat_load_ushort v39, v[0:1] offset:2
.LBB1038_4:
	s_or_b64 exec, exec, s[6:7]
	v_or_b32_e32 v15, 2, v38
	v_cmp_lt_u32_e64 s[6:7], v15, v14
	v_mov_b32_e32 v48, 0x7fff
	v_mov_b32_e32 v24, 0x7fff
	s_and_saveexec_b64 s[10:11], s[6:7]
	s_cbranch_execz .LBB1038_6
; %bb.5:
	flat_load_ushort v24, v[0:1] offset:4
.LBB1038_6:
	s_or_b64 exec, exec, s[10:11]
	v_or_b32_e32 v15, 3, v38
	v_cmp_lt_u32_e64 s[10:11], v15, v14
	s_and_saveexec_b64 s[14:15], s[10:11]
	s_cbranch_execz .LBB1038_8
; %bb.7:
	flat_load_ushort v48, v[0:1] offset:6
.LBB1038_8:
	s_or_b64 exec, exec, s[14:15]
	v_lshlrev_b64 v[0:1], 3, v[8:9]
	v_lshlrev_b32_e32 v36, 3, v38
	v_add_co_u32_e64 v14, s[14:15], v4, v0
	v_addc_co_u32_e64 v15, s[14:15], v5, v1, s[14:15]
	v_mov_b32_e32 v8, 0
	v_mov_b32_e32 v4, 0
	v_add_co_u32_e64 v16, s[14:15], v14, v36
	v_mov_b32_e32 v9, 0
	v_mov_b32_e32 v5, 0
	v_addc_co_u32_e64 v17, s[14:15], 0, v15, s[14:15]
	; wave barrier
	s_and_saveexec_b64 s[14:15], vcc
	s_cbranch_execz .LBB1038_10
; %bb.9:
	flat_load_dwordx2 v[4:5], v[16:17]
.LBB1038_10:
	s_or_b64 exec, exec, s[14:15]
	s_mov_b32 s16, 0
	v_mov_b32_e32 v18, s16
	v_mov_b32_e32 v19, s16
	;; [unrolled: 1-line block ×6, first 2 shown]
	s_and_saveexec_b64 s[14:15], s[4:5]
	s_cbranch_execz .LBB1038_12
; %bb.11:
	flat_load_dwordx2 v[18:19], v[16:17] offset:8
	v_mov_b32_e32 v22, s16
	v_mov_b32_e32 v23, s16
	;; [unrolled: 1-line block ×4, first 2 shown]
	s_waitcnt vmcnt(0) lgkmcnt(0)
	v_mov_b32_e32 v8, v18
	v_mov_b32_e32 v9, v19
.LBB1038_12:
	s_or_b64 exec, exec, s[14:15]
	v_mov_b32_e32 v20, 0
	v_mov_b32_e32 v14, 0
	;; [unrolled: 1-line block ×4, first 2 shown]
	s_and_saveexec_b64 s[14:15], s[6:7]
	s_cbranch_execz .LBB1038_14
; %bb.13:
	flat_load_dwordx2 v[22:23], v[16:17] offset:16
	v_mov_b32_e32 v34, s16
	v_mov_b32_e32 v35, s16
	s_waitcnt vmcnt(0) lgkmcnt(0)
	v_mov_b32_e32 v14, v22
	v_mov_b32_e32 v15, v23
.LBB1038_14:
	s_or_b64 exec, exec, s[14:15]
	s_and_saveexec_b64 s[14:15], s[10:11]
	s_cbranch_execz .LBB1038_16
; %bb.15:
	flat_load_dwordx2 v[34:35], v[16:17] offset:24
	s_waitcnt vmcnt(0) lgkmcnt(0)
	v_mov_b32_e32 v20, v34
	v_mov_b32_e32 v21, v35
.LBB1038_16:
	s_or_b64 exec, exec, s[14:15]
	v_cmp_ne_u32_e64 s[14:15], 0, v10
	v_cmp_ne_u32_e64 s[16:17], 16, v11
	s_or_b64 s[14:15], s[14:15], s[16:17]
	v_bfe_u32 v16, v31, 10, 10
	v_bfe_u32 v25, v31, 20, 10
	; wave barrier
	s_and_saveexec_b64 s[16:17], s[14:15]
	s_xor_b64 s[26:27], exec, s[16:17]
	s_cbranch_execz .LBB1038_60
; %bb.17:
	s_load_dwordx2 s[14:15], s[8:9], 0x0
	v_mov_b32_e32 v17, 0
	v_lshlrev_b32_e64 v11, v11, -1
	v_lshlrev_b32_e64 v10, v10, -1
	s_waitcnt lgkmcnt(0)
	s_cmp_lt_u32 s13, s15
	s_cselect_b32 s15, 14, 20
	s_add_u32 s16, s8, s15
	s_addc_u32 s17, s9, 0
	s_cmp_lt_u32 s12, s14
	s_cselect_b32 s14, 12, 18
	s_add_u32 s14, s8, s14
	s_addc_u32 s15, s9, 0
	global_load_ushort v26, v17, s[16:17]
	global_load_ushort v27, v17, s[14:15]
	v_and_b32_e32 v17, 0x3ff, v31
	v_xor_b32_e32 v31, v11, v10
	s_movk_i32 s14, 0x400
	s_waitcnt vmcnt(0)
	v_mad_u32_u24 v16, v25, v26, v16
	v_mul_lo_u32 v16, v16, v27
	v_add_lshl_u32 v10, v16, v17, 2
	v_cmp_gt_u32_e64 s[14:15], s14, v10
	s_and_saveexec_b64 s[18:19], s[14:15]
	s_cbranch_execz .LBB1038_29
; %bb.18:
	v_and_b32_e32 v8, v39, v31
	v_and_b32_e32 v9, v49, v31
	v_cmp_gt_i16_e64 s[14:15], v9, v8
	v_cndmask_b32_e64 v17, v19, v5, s[14:15]
	v_cndmask_b32_e64 v16, v18, v4, s[14:15]
	v_cndmask_b32_e64 v15, v5, v19, s[14:15]
	v_cndmask_b32_e64 v14, v4, v18, s[14:15]
	v_and_b32_e32 v5, v48, v31
	v_and_b32_e32 v4, v24, v31
	v_mov_b32_e32 v18, v22
	v_cmp_gt_i16_e64 s[16:17], v4, v5
	v_mov_b32_e32 v11, v24
	v_mov_b32_e32 v19, v23
	s_and_saveexec_b64 s[20:21], s[16:17]
; %bb.19:
	v_mov_b32_e32 v18, v34
	v_mov_b32_e32 v19, v35
	;; [unrolled: 1-line block ×7, first 2 shown]
; %bb.20:
	s_or_b64 exec, exec, s[20:21]
	v_cndmask_b32_e64 v5, v39, v49, s[14:15]
	v_mov_b32_e32 v20, v34
	v_and_b32_e32 v8, v5, v31
	v_mov_b32_e32 v29, v21
	v_cmp_le_i16_e64 s[16:17], v8, v4
	v_mov_b32_e32 v23, v15
	v_mov_b32_e32 v22, v14
                                        ; implicit-def: $vgpr50
	v_mov_b32_e32 v28, v20
	v_mov_b32_e32 v27, v19
	;; [unrolled: 1-line block ×5, first 2 shown]
	s_and_saveexec_b64 s[20:21], s[16:17]
	s_xor_b64 s[16:17], exec, s[20:21]
; %bb.21:
	v_and_b32_e32 v50, v11, v31
                                        ; implicit-def: $vgpr22_vgpr23_vgpr24_vgpr25_vgpr26_vgpr27_vgpr28_vgpr29
                                        ; implicit-def: $vgpr4
; %bb.22:
	s_or_saveexec_b64 s[16:17], s[16:17]
	v_mov_b32_e32 v21, v35
	v_mov_b32_e32 v25, v5
	s_xor_b64 exec, exec, s[16:17]
	s_cbranch_execz .LBB1038_24
; %bb.23:
	v_mov_b32_e32 v24, v18
	v_mov_b32_e32 v25, v19
	;; [unrolled: 1-line block ×18, first 2 shown]
.LBB1038_24:
	s_or_b64 exec, exec, s[16:17]
	v_cndmask_b32_e64 v22, v49, v39, s[14:15]
	v_and_b32_e32 v4, v22, v31
	v_cmp_gt_i16_e64 s[14:15], v4, v8
	v_cndmask_b32_e64 v8, v16, v14, s[14:15]
	v_cndmask_b32_e64 v4, v14, v16, s[14:15]
	v_and_b32_e32 v14, v48, v31
	v_cndmask_b32_e64 v9, v17, v15, s[14:15]
	v_cndmask_b32_e64 v5, v15, v17, s[14:15]
	v_cmp_gt_i16_e64 s[16:17], v50, v14
	v_mov_b32_e32 v16, v11
	s_and_saveexec_b64 s[20:21], s[16:17]
; %bb.25:
	v_mov_b32_e32 v24, v19
	v_mov_b32_e32 v23, v18
	;; [unrolled: 1-line block ×9, first 2 shown]
; %bb.26:
	s_or_b64 exec, exec, s[20:21]
	v_cndmask_b32_e64 v39, v25, v22, s[14:15]
	v_and_b32_e32 v11, v39, v31
	v_mov_b32_e32 v14, v18
	v_cmp_gt_i16_e64 s[16:17], v11, v50
	v_mov_b32_e32 v15, v19
	v_mov_b32_e32 v24, v16
	s_and_saveexec_b64 s[20:21], s[16:17]
; %bb.27:
	v_mov_b32_e32 v15, v9
	v_mov_b32_e32 v14, v8
	;; [unrolled: 1-line block ×6, first 2 shown]
; %bb.28:
	s_or_b64 exec, exec, s[20:21]
	v_cndmask_b32_e64 v49, v22, v25, s[14:15]
.LBB1038_29:
	s_or_b64 exec, exec, s[18:19]
	v_and_b32_e32 v16, 0xffffff00, v10
	v_mov_b32_e32 v17, 0
	v_lshlrev_b64 v[10:11], 1, v[16:17]
	s_movk_i32 s16, 0x400
	v_add_co_u32_e64 v12, s[14:15], v12, v10
	v_addc_co_u32_e64 v13, s[14:15], v13, v11, s[14:15]
	v_mad_u64_u32 v[10:11], s[14:15], v16, 6, v[12:13]
	v_sub_u32_e64 v11, s16, v16 clamp
	v_or_b32_e32 v17, 4, v37
	v_min_u32_e32 v26, v11, v17
	v_add_u32_e32 v17, 4, v26
	v_and_b32_e32 v28, 0x1f8, v37
	v_min_u32_e32 v27, v11, v17
	v_and_b32_e32 v17, 4, v37
	v_min_u32_e32 v29, v11, v17
	v_sub_u32_e32 v17, v26, v28
	v_sub_u32_e32 v18, v27, v26
	v_lshl_add_u32 v25, v37, 3, v10
	v_sub_u32_e64 v35, v29, v18 clamp
	v_min_u32_e32 v17, v29, v17
	v_lshl_add_u32 v13, v37, 1, v12
	v_add_u32_e32 v16, 0x800, v25
	v_cmp_lt_u32_e64 s[14:15], v35, v17
	ds_write_b16 v13, v49
	ds_write_b16 v13, v39 offset:2
	ds_write2_b64 v16, v[4:5], v[8:9] offset1:1
	ds_write_b16 v13, v24 offset:4
	ds_write_b16 v13, v48 offset:6
	ds_write2_b64 v16, v[14:15], v[20:21] offset0:2 offset1:3
	; wave barrier
	s_and_saveexec_b64 s[16:17], s[14:15]
	s_cbranch_execz .LBB1038_33
; %bb.30:
	v_lshlrev_b32_e32 v18, 1, v28
	v_lshlrev_b32_e32 v19, 1, v26
	v_add_co_u32_e64 v18, s[14:15], v12, v18
	v_add_co_u32_e64 v19, s[14:15], v12, v19
	s_mov_b64 s[18:19], 0
.LBB1038_31:                            ; =>This Inner Loop Header: Depth=1
	v_add_u32_e32 v22, v17, v35
	v_lshrrev_b32_e32 v23, 1, v22
	v_and_b32_e32 v22, -2, v22
	v_xad_u32 v34, v23, -1, v29
	v_add_u32_e32 v22, v18, v22
	v_lshl_add_u32 v34, v34, 1, v19
	ds_read_u16 v22, v22
	ds_read_u16 v34, v34
	v_add_u32_e32 v50, 1, v23
	s_waitcnt lgkmcnt(1)
	v_and_b32_e32 v22, v22, v31
	s_waitcnt lgkmcnt(0)
	v_and_b32_e32 v34, v34, v31
	v_cmp_gt_i16_e64 s[14:15], v22, v34
	v_cndmask_b32_e64 v17, v17, v23, s[14:15]
	v_cndmask_b32_e64 v35, v50, v35, s[14:15]
	v_cmp_ge_u32_e64 s[14:15], v35, v17
	s_or_b64 s[18:19], s[14:15], s[18:19]
	s_andn2_b64 exec, exec, s[18:19]
	s_cbranch_execnz .LBB1038_31
; %bb.32:
	s_or_b64 exec, exec, s[18:19]
.LBB1038_33:
	s_or_b64 exec, exec, s[16:17]
	v_add_u32_e32 v34, v35, v28
	v_add_u32_e32 v28, v26, v29
	v_sub_u32_e32 v29, v28, v35
	v_cmp_le_u32_e64 s[14:15], v34, v26
	v_cmp_le_u32_e64 s[16:17], v29, v27
	v_add_u32_e32 v17, 2, v13
	v_add_u32_e32 v18, 0x808, v25
	;; [unrolled: 1-line block ×6, first 2 shown]
	s_or_b64 s[14:15], s[14:15], s[16:17]
	s_and_saveexec_b64 s[28:29], s[14:15]
	s_cbranch_execz .LBB1038_39
; %bb.34:
	v_cmp_lt_u32_e64 s[16:17], v34, v26
                                        ; implicit-def: $vgpr24
	s_and_saveexec_b64 s[14:15], s[16:17]
; %bb.35:
	v_lshl_add_u32 v4, v34, 1, v12
	ds_read_u16 v24, v4
; %bb.36:
	s_or_b64 exec, exec, s[14:15]
	v_cmp_ge_u32_e64 s[14:15], v29, v27
	v_cmp_lt_u32_e64 s[18:19], v29, v27
                                        ; implicit-def: $vgpr28
	s_and_saveexec_b64 s[20:21], s[18:19]
; %bb.37:
	v_lshl_add_u32 v4, v29, 1, v12
	ds_read_u16 v28, v4
; %bb.38:
	s_or_b64 exec, exec, s[20:21]
	s_waitcnt lgkmcnt(0)
	v_and_b32_e32 v4, v28, v31
	v_and_b32_e32 v5, v24, v31
	v_cmp_le_i16_e64 s[18:19], v5, v4
	s_and_b64 s[16:17], s[16:17], s[18:19]
	s_or_b64 s[14:15], s[14:15], s[16:17]
	v_cndmask_b32_e64 v4, v29, v34, s[14:15]
	v_cndmask_b32_e64 v5, v27, v26, s[14:15]
	v_add_u32_e32 v8, 1, v4
	v_add_u32_e32 v5, -1, v5
	v_min_u32_e32 v5, v8, v5
	v_lshl_add_u32 v5, v5, 1, v12
	ds_read_u16 v5, v5
	v_cndmask_b32_e64 v9, v8, v29, s[14:15]
	v_cndmask_b32_e64 v8, v34, v8, s[14:15]
	v_cmp_lt_u32_e64 s[18:19], v8, v26
	v_cmp_ge_u32_e64 s[16:17], v9, v27
	s_waitcnt lgkmcnt(0)
	v_cndmask_b32_e64 v35, v5, v28, s[14:15]
	v_cndmask_b32_e64 v39, v24, v5, s[14:15]
	v_and_b32_e32 v5, v35, v31
	v_and_b32_e32 v14, v39, v31
	v_cmp_le_i16_e64 s[20:21], v14, v5
	s_and_b64 s[18:19], s[18:19], s[20:21]
	s_or_b64 s[16:17], s[16:17], s[18:19]
	v_cndmask_b32_e64 v14, v9, v8, s[16:17]
	v_cndmask_b32_e64 v5, v27, v26, s[16:17]
	v_add_u32_e32 v15, 1, v14
	v_add_u32_e32 v5, -1, v5
	v_min_u32_e32 v5, v15, v5
	v_lshl_add_u32 v5, v5, 1, v12
	ds_read_u16 v20, v5
	v_cndmask_b32_e64 v21, v8, v15, s[16:17]
	v_cmp_lt_u32_e64 s[20:21], v21, v26
	v_lshl_add_u32 v4, v4, 3, v10
	ds_read_b64 v[4:5], v4 offset:2048
	s_waitcnt lgkmcnt(1)
	v_cndmask_b32_e64 v29, v20, v35, s[16:17]
	v_cndmask_b32_e64 v34, v39, v20, s[16:17]
	;; [unrolled: 1-line block ×3, first 2 shown]
	v_and_b32_e32 v8, v29, v31
	v_and_b32_e32 v9, v34, v31
	v_cmp_le_i16_e64 s[22:23], v9, v8
	v_cmp_ge_u32_e64 s[18:19], v20, v27
	s_and_b64 s[20:21], s[20:21], s[22:23]
	s_or_b64 s[18:19], s[18:19], s[20:21]
	v_cndmask_b32_e64 v15, v20, v21, s[18:19]
	v_cndmask_b32_e64 v8, v27, v26, s[18:19]
	v_add_u32_e32 v48, 1, v15
	v_add_u32_e32 v8, -1, v8
	v_min_u32_e32 v8, v48, v8
	v_lshl_add_u32 v8, v8, 1, v12
	ds_read_u16 v49, v8
	v_cndmask_b32_e64 v20, v48, v20, s[18:19]
	v_cndmask_b32_e64 v21, v21, v48, s[18:19]
	v_cmp_ge_u32_e64 s[20:21], v20, v27
	v_cmp_lt_u32_e64 s[22:23], v21, v26
	s_waitcnt lgkmcnt(0)
	v_cndmask_b32_e64 v50, v49, v29, s[18:19]
	v_cndmask_b32_e64 v51, v34, v49, s[18:19]
	v_and_b32_e32 v26, v50, v31
	v_and_b32_e32 v27, v51, v31
	v_cmp_le_i16_e64 s[24:25], v27, v26
	s_and_b64 s[22:23], s[22:23], s[24:25]
	s_or_b64 s[20:21], s[20:21], s[22:23]
	v_cndmask_b32_e64 v20, v20, v21, s[20:21]
	v_lshl_add_u32 v8, v14, 3, v10
	v_lshl_add_u32 v14, v15, 3, v10
	;; [unrolled: 1-line block ×3, first 2 shown]
	ds_read_b64 v[8:9], v8 offset:2048
	ds_read_b64 v[14:15], v14 offset:2048
	;; [unrolled: 1-line block ×3, first 2 shown]
	v_cndmask_b32_e64 v49, v28, v24, s[14:15]
	v_cndmask_b32_e64 v39, v35, v39, s[16:17]
	;; [unrolled: 1-line block ×4, first 2 shown]
.LBB1038_39:
	s_or_b64 exec, exec, s[28:29]
	v_and_b32_e32 v28, 0x1f0, v37
	v_or_b32_e32 v26, 8, v28
	v_min_u32_e32 v26, v11, v26
	v_add_u32_e32 v27, 8, v26
	v_min_u32_e32 v27, v11, v27
	v_and_b32_e32 v29, 12, v37
	v_min_u32_e32 v34, v11, v29
	v_sub_u32_e32 v29, v26, v28
	v_sub_u32_e32 v35, v27, v26
	v_sub_u32_e64 v35, v34, v35 clamp
	v_min_u32_e32 v29, v34, v29
	v_cmp_lt_u32_e64 s[14:15], v35, v29
	; wave barrier
	ds_write_b16 v13, v49
	ds_write_b64 v16, v[4:5]
	ds_write_b16 v17, v39
	s_waitcnt lgkmcnt(5)
	ds_write_b64 v18, v[8:9]
	ds_write_b16 v19, v24
	s_waitcnt lgkmcnt(6)
	;; [unrolled: 3-line block ×3, first 2 shown]
	ds_write_b64 v25, v[20:21]
	; wave barrier
	s_and_saveexec_b64 s[16:17], s[14:15]
	s_cbranch_execz .LBB1038_43
; %bb.40:
	v_lshlrev_b32_e32 v50, 1, v28
	v_lshlrev_b32_e32 v51, 1, v26
	v_add_co_u32_e64 v50, s[14:15], v12, v50
	v_add_co_u32_e64 v51, s[14:15], v12, v51
	s_mov_b64 s[18:19], 0
.LBB1038_41:                            ; =>This Inner Loop Header: Depth=1
	v_add_u32_e32 v52, v29, v35
	v_lshrrev_b32_e32 v53, 1, v52
	v_and_b32_e32 v52, -2, v52
	v_xad_u32 v54, v53, -1, v34
	v_add_u32_e32 v52, v50, v52
	v_lshl_add_u32 v54, v54, 1, v51
	ds_read_u16 v52, v52
	ds_read_u16 v54, v54
	v_add_u32_e32 v55, 1, v53
	s_waitcnt lgkmcnt(1)
	v_and_b32_e32 v52, v52, v31
	s_waitcnt lgkmcnt(0)
	v_and_b32_e32 v54, v54, v31
	v_cmp_gt_i16_e64 s[14:15], v52, v54
	v_cndmask_b32_e64 v29, v29, v53, s[14:15]
	v_cndmask_b32_e64 v35, v55, v35, s[14:15]
	v_cmp_ge_u32_e64 s[14:15], v35, v29
	s_or_b64 s[18:19], s[14:15], s[18:19]
	s_andn2_b64 exec, exec, s[18:19]
	s_cbranch_execnz .LBB1038_41
; %bb.42:
	s_or_b64 exec, exec, s[18:19]
.LBB1038_43:
	s_or_b64 exec, exec, s[16:17]
	v_add_u32_e32 v29, v35, v28
	v_add_u32_e32 v28, v26, v34
	v_sub_u32_e32 v34, v28, v35
	v_cmp_le_u32_e64 s[14:15], v29, v26
	v_cmp_le_u32_e64 s[16:17], v34, v27
	s_or_b64 s[14:15], s[14:15], s[16:17]
	s_and_saveexec_b64 s[28:29], s[14:15]
	s_cbranch_execz .LBB1038_49
; %bb.44:
	v_cmp_lt_u32_e64 s[16:17], v29, v26
                                        ; implicit-def: $vgpr24
	s_and_saveexec_b64 s[14:15], s[16:17]
; %bb.45:
	v_lshl_add_u32 v4, v29, 1, v12
	ds_read_u16 v24, v4
; %bb.46:
	s_or_b64 exec, exec, s[14:15]
	v_cmp_ge_u32_e64 s[14:15], v34, v27
	v_cmp_lt_u32_e64 s[18:19], v34, v27
                                        ; implicit-def: $vgpr28
	s_and_saveexec_b64 s[20:21], s[18:19]
; %bb.47:
	v_lshl_add_u32 v4, v34, 1, v12
	ds_read_u16 v28, v4
; %bb.48:
	s_or_b64 exec, exec, s[20:21]
	s_waitcnt lgkmcnt(0)
	v_and_b32_e32 v4, v28, v31
	v_and_b32_e32 v5, v24, v31
	v_cmp_le_i16_e64 s[18:19], v5, v4
	s_and_b64 s[16:17], s[16:17], s[18:19]
	s_or_b64 s[14:15], s[14:15], s[16:17]
	v_cndmask_b32_e64 v4, v34, v29, s[14:15]
	v_cndmask_b32_e64 v5, v27, v26, s[14:15]
	v_add_u32_e32 v8, 1, v4
	v_add_u32_e32 v5, -1, v5
	v_min_u32_e32 v5, v8, v5
	v_lshl_add_u32 v5, v5, 1, v12
	ds_read_u16 v5, v5
	v_cndmask_b32_e64 v9, v8, v34, s[14:15]
	v_cndmask_b32_e64 v8, v29, v8, s[14:15]
	v_cmp_lt_u32_e64 s[18:19], v8, v26
	v_cmp_ge_u32_e64 s[16:17], v9, v27
	s_waitcnt lgkmcnt(0)
	v_cndmask_b32_e64 v35, v5, v28, s[14:15]
	v_cndmask_b32_e64 v39, v24, v5, s[14:15]
	v_and_b32_e32 v5, v35, v31
	v_and_b32_e32 v14, v39, v31
	v_cmp_le_i16_e64 s[20:21], v14, v5
	s_and_b64 s[18:19], s[18:19], s[20:21]
	s_or_b64 s[16:17], s[16:17], s[18:19]
	v_cndmask_b32_e64 v14, v9, v8, s[16:17]
	v_cndmask_b32_e64 v5, v27, v26, s[16:17]
	v_add_u32_e32 v15, 1, v14
	v_add_u32_e32 v5, -1, v5
	v_min_u32_e32 v5, v15, v5
	v_lshl_add_u32 v5, v5, 1, v12
	ds_read_u16 v20, v5
	v_cndmask_b32_e64 v21, v8, v15, s[16:17]
	v_cmp_lt_u32_e64 s[20:21], v21, v26
	v_lshl_add_u32 v4, v4, 3, v10
	ds_read_b64 v[4:5], v4 offset:2048
	s_waitcnt lgkmcnt(1)
	v_cndmask_b32_e64 v29, v20, v35, s[16:17]
	v_cndmask_b32_e64 v34, v39, v20, s[16:17]
	;; [unrolled: 1-line block ×3, first 2 shown]
	v_and_b32_e32 v8, v29, v31
	v_and_b32_e32 v9, v34, v31
	v_cmp_le_i16_e64 s[22:23], v9, v8
	v_cmp_ge_u32_e64 s[18:19], v20, v27
	s_and_b64 s[20:21], s[20:21], s[22:23]
	s_or_b64 s[18:19], s[18:19], s[20:21]
	v_cndmask_b32_e64 v15, v20, v21, s[18:19]
	v_cndmask_b32_e64 v8, v27, v26, s[18:19]
	v_add_u32_e32 v48, 1, v15
	v_add_u32_e32 v8, -1, v8
	v_min_u32_e32 v8, v48, v8
	v_lshl_add_u32 v8, v8, 1, v12
	ds_read_u16 v49, v8
	v_cndmask_b32_e64 v20, v48, v20, s[18:19]
	v_cndmask_b32_e64 v21, v21, v48, s[18:19]
	v_cmp_ge_u32_e64 s[20:21], v20, v27
	v_cmp_lt_u32_e64 s[22:23], v21, v26
	s_waitcnt lgkmcnt(0)
	v_cndmask_b32_e64 v50, v49, v29, s[18:19]
	v_cndmask_b32_e64 v51, v34, v49, s[18:19]
	v_and_b32_e32 v26, v50, v31
	v_and_b32_e32 v27, v51, v31
	v_cmp_le_i16_e64 s[24:25], v27, v26
	s_and_b64 s[22:23], s[22:23], s[24:25]
	s_or_b64 s[20:21], s[20:21], s[22:23]
	v_cndmask_b32_e64 v20, v20, v21, s[20:21]
	v_lshl_add_u32 v8, v14, 3, v10
	v_lshl_add_u32 v14, v15, 3, v10
	;; [unrolled: 1-line block ×3, first 2 shown]
	ds_read_b64 v[8:9], v8 offset:2048
	ds_read_b64 v[14:15], v14 offset:2048
	;; [unrolled: 1-line block ×3, first 2 shown]
	v_cndmask_b32_e64 v49, v28, v24, s[14:15]
	v_cndmask_b32_e64 v39, v35, v39, s[16:17]
	;; [unrolled: 1-line block ×4, first 2 shown]
.LBB1038_49:
	s_or_b64 exec, exec, s[28:29]
	; wave barrier
	ds_write_b16 v13, v49
	ds_write_b64 v16, v[4:5]
	ds_write_b16 v17, v39
	s_waitcnt lgkmcnt(5)
	ds_write_b64 v18, v[8:9]
	ds_write_b16 v19, v24
	s_waitcnt lgkmcnt(6)
	;; [unrolled: 3-line block ×3, first 2 shown]
	ds_write_b64 v25, v[20:21]
	v_and_b32_e32 v17, 0x1e0, v37
	v_or_b32_e32 v13, 16, v17
	v_min_u32_e32 v13, v11, v13
	v_add_u32_e32 v16, 16, v13
	v_min_u32_e32 v16, v11, v16
	v_min_u32_e32 v11, v11, v38
	v_sub_u32_e32 v18, v13, v17
	v_sub_u32_e32 v19, v16, v13
	v_sub_u32_e64 v19, v11, v19 clamp
	v_min_u32_e32 v18, v11, v18
	v_cmp_lt_u32_e64 s[14:15], v19, v18
	; wave barrier
	s_and_saveexec_b64 s[16:17], s[14:15]
	s_cbranch_execz .LBB1038_53
; %bb.50:
	v_lshlrev_b32_e32 v22, 1, v17
	v_lshlrev_b32_e32 v23, 1, v13
	v_add_co_u32_e64 v22, s[14:15], v12, v22
	v_add_co_u32_e64 v23, s[14:15], v12, v23
	s_mov_b64 s[18:19], 0
.LBB1038_51:                            ; =>This Inner Loop Header: Depth=1
	v_add_u32_e32 v25, v18, v19
	v_lshrrev_b32_e32 v26, 1, v25
	v_and_b32_e32 v25, -2, v25
	v_xad_u32 v27, v26, -1, v11
	v_add_u32_e32 v25, v22, v25
	v_lshl_add_u32 v27, v27, 1, v23
	ds_read_u16 v25, v25
	ds_read_u16 v27, v27
	v_add_u32_e32 v28, 1, v26
	s_waitcnt lgkmcnt(1)
	v_and_b32_e32 v25, v25, v31
	s_waitcnt lgkmcnt(0)
	v_and_b32_e32 v27, v27, v31
	v_cmp_gt_i16_e64 s[14:15], v25, v27
	v_cndmask_b32_e64 v18, v18, v26, s[14:15]
	v_cndmask_b32_e64 v19, v28, v19, s[14:15]
	v_cmp_ge_u32_e64 s[14:15], v19, v18
	s_or_b64 s[18:19], s[14:15], s[18:19]
	s_andn2_b64 exec, exec, s[18:19]
	s_cbranch_execnz .LBB1038_51
; %bb.52:
	s_or_b64 exec, exec, s[18:19]
.LBB1038_53:
	s_or_b64 exec, exec, s[16:17]
	v_add_u32_e32 v11, v13, v11
	v_add_u32_e32 v18, v19, v17
	v_sub_u32_e32 v19, v11, v19
	v_cmp_le_u32_e64 s[14:15], v18, v13
	v_cmp_le_u32_e64 s[16:17], v19, v16
	s_or_b64 s[14:15], s[14:15], s[16:17]
	s_and_saveexec_b64 s[28:29], s[14:15]
	s_cbranch_execz .LBB1038_59
; %bb.54:
	v_cmp_lt_u32_e64 s[16:17], v18, v13
                                        ; implicit-def: $vgpr11
	s_and_saveexec_b64 s[14:15], s[16:17]
; %bb.55:
	v_lshl_add_u32 v4, v18, 1, v12
	ds_read_u16 v11, v4
; %bb.56:
	s_or_b64 exec, exec, s[14:15]
	v_cmp_ge_u32_e64 s[14:15], v19, v16
	v_cmp_lt_u32_e64 s[18:19], v19, v16
                                        ; implicit-def: $vgpr17
	s_and_saveexec_b64 s[20:21], s[18:19]
; %bb.57:
	v_lshl_add_u32 v4, v19, 1, v12
	ds_read_u16 v17, v4
; %bb.58:
	s_or_b64 exec, exec, s[20:21]
	s_waitcnt lgkmcnt(0)
	v_and_b32_e32 v4, v17, v31
	v_and_b32_e32 v5, v11, v31
	v_cmp_le_i16_e64 s[18:19], v5, v4
	s_and_b64 s[16:17], s[16:17], s[18:19]
	s_or_b64 s[14:15], s[14:15], s[16:17]
	v_cndmask_b32_e64 v4, v19, v18, s[14:15]
	v_cndmask_b32_e64 v5, v16, v13, s[14:15]
	v_add_u32_e32 v8, 1, v4
	v_add_u32_e32 v5, -1, v5
	v_min_u32_e32 v5, v8, v5
	v_lshl_add_u32 v5, v5, 1, v12
	ds_read_u16 v5, v5
	v_cndmask_b32_e64 v9, v8, v19, s[14:15]
	v_cndmask_b32_e64 v8, v18, v8, s[14:15]
	v_cmp_lt_u32_e64 s[18:19], v8, v13
	v_cmp_ge_u32_e64 s[16:17], v9, v16
	s_waitcnt lgkmcnt(0)
	v_cndmask_b32_e64 v22, v5, v17, s[14:15]
	v_cndmask_b32_e64 v23, v11, v5, s[14:15]
	v_and_b32_e32 v5, v22, v31
	v_and_b32_e32 v14, v23, v31
	v_cmp_le_i16_e64 s[20:21], v14, v5
	s_and_b64 s[18:19], s[18:19], s[20:21]
	s_or_b64 s[16:17], s[16:17], s[18:19]
	v_cndmask_b32_e64 v14, v9, v8, s[16:17]
	v_cndmask_b32_e64 v5, v16, v13, s[16:17]
	v_add_u32_e32 v15, 1, v14
	v_add_u32_e32 v5, -1, v5
	v_min_u32_e32 v5, v15, v5
	v_lshl_add_u32 v5, v5, 1, v12
	ds_read_u16 v18, v5
	v_cndmask_b32_e64 v20, v15, v9, s[16:17]
	v_cndmask_b32_e64 v21, v8, v15, s[16:17]
	v_cmp_lt_u32_e64 s[20:21], v21, v13
	v_cmp_ge_u32_e64 s[18:19], v20, v16
	s_waitcnt lgkmcnt(0)
	v_cndmask_b32_e64 v19, v18, v22, s[16:17]
	v_cndmask_b32_e64 v18, v23, v18, s[16:17]
	v_and_b32_e32 v8, v19, v31
	v_and_b32_e32 v9, v18, v31
	v_cmp_le_i16_e64 s[22:23], v9, v8
	s_and_b64 s[20:21], s[20:21], s[22:23]
	s_or_b64 s[18:19], s[18:19], s[20:21]
	v_cndmask_b32_e64 v15, v20, v21, s[18:19]
	v_cndmask_b32_e64 v8, v16, v13, s[18:19]
	v_add_u32_e32 v24, 1, v15
	v_add_u32_e32 v8, -1, v8
	v_min_u32_e32 v8, v24, v8
	v_lshl_add_u32 v8, v8, 1, v12
	ds_read_u16 v12, v8
	v_cndmask_b32_e64 v20, v24, v20, s[18:19]
	v_cndmask_b32_e64 v21, v21, v24, s[18:19]
	v_cmp_ge_u32_e64 s[20:21], v20, v16
	v_cmp_lt_u32_e64 s[22:23], v21, v13
	s_waitcnt lgkmcnt(0)
	v_cndmask_b32_e64 v25, v12, v19, s[18:19]
	v_cndmask_b32_e64 v12, v18, v12, s[18:19]
	v_and_b32_e32 v13, v25, v31
	v_and_b32_e32 v16, v12, v31
	v_cmp_le_i16_e64 s[24:25], v16, v13
	s_and_b64 s[22:23], s[22:23], s[24:25]
	s_or_b64 s[20:21], s[20:21], s[22:23]
	v_cndmask_b32_e64 v13, v20, v21, s[20:21]
	v_lshl_add_u32 v4, v4, 3, v10
	v_lshl_add_u32 v8, v14, 3, v10
	;; [unrolled: 1-line block ×4, first 2 shown]
	ds_read_b64 v[4:5], v4 offset:2048
	ds_read_b64 v[8:9], v8 offset:2048
	;; [unrolled: 1-line block ×4, first 2 shown]
	v_cndmask_b32_e64 v49, v17, v11, s[14:15]
	v_cndmask_b32_e64 v39, v22, v23, s[16:17]
	;; [unrolled: 1-line block ×4, first 2 shown]
.LBB1038_59:
	s_or_b64 exec, exec, s[28:29]
	; wave barrier
	s_waitcnt lgkmcnt(0)
	s_barrier
                                        ; implicit-def: $vgpr37
                                        ; implicit-def: $vgpr12
                                        ; implicit-def: $vgpr13
                                        ; implicit-def: $vgpr38
                                        ; implicit-def: $vgpr31
                                        ; implicit-def: $vgpr16
                                        ; implicit-def: $vgpr25
                                        ; implicit-def: $vgpr34_vgpr35
                                        ; implicit-def: $vgpr22_vgpr23
                                        ; implicit-def: $vgpr18_vgpr19
.LBB1038_60:
	s_andn2_saveexec_b64 s[22:23], s[26:27]
	s_cbranch_execz .LBB1038_96
; %bb.61:
	s_load_dwordx2 s[14:15], s[8:9], 0x0
	v_mov_b32_e32 v17, 0
	s_movk_i32 s20, 0x400
	s_waitcnt lgkmcnt(0)
	s_cmp_lt_u32 s13, s15
	s_cselect_b32 s13, 14, 20
	s_add_u32 s16, s8, s13
	s_addc_u32 s17, s9, 0
	s_cmp_lt_u32 s12, s14
	s_cselect_b32 s12, 12, 18
	s_add_u32 s8, s8, s12
	s_addc_u32 s9, s9, 0
	global_load_ushort v10, v17, s[16:17]
	global_load_ushort v11, v17, s[8:9]
	s_waitcnt vmcnt(0)
	v_mad_u32_u24 v10, v25, v10, v16
	v_mul_lo_u32 v10, v10, v11
	v_and_b32_e32 v11, 0x3ff, v31
	v_add_lshl_u32 v10, v10, v11, 2
	v_cmp_gt_u32_e64 s[8:9], s20, v10
	s_and_saveexec_b64 s[16:17], s[8:9]
	s_cbranch_execz .LBB1038_65
; %bb.62:
	v_cmp_gt_i16_e64 s[8:9], v49, v39
	v_max_i16_e32 v14, v49, v39
	v_cndmask_b32_e64 v8, v4, v18, s[8:9]
	v_cndmask_b32_e64 v9, v5, v19, s[8:9]
	;; [unrolled: 1-line block ×4, first 2 shown]
	v_min_i16_e32 v15, v24, v48
	v_cmp_gt_i16_e64 s[8:9], v24, v48
	v_min_i16_e32 v11, v49, v39
	v_max_i16_e32 v16, v24, v48
	v_cndmask_b32_e64 v24, v34, v22, s[8:9]
	v_cndmask_b32_e64 v25, v35, v23, s[8:9]
	;; [unrolled: 1-line block ×4, first 2 shown]
	v_cmp_gt_i16_e64 s[8:9], v14, v15
	v_min_i16_e32 v18, v14, v15
	v_max_i16_e32 v19, v14, v15
	v_cndmask_b32_e64 v23, v21, v4, s[8:9]
	v_cndmask_b32_e64 v26, v20, v5, s[8:9]
	v_cndmask_b32_e64 v21, v4, v21, s[8:9]
	v_cndmask_b32_e64 v20, v5, v20, s[8:9]
	v_cmp_lt_i16_e64 s[8:9], v15, v11
	v_cmp_gt_i16_e64 s[12:13], v14, v16
	v_cndmask_b32_e64 v39, v18, v11, s[8:9]
	v_cndmask_b32_e64 v22, v19, v16, s[12:13]
	;; [unrolled: 1-line block ×10, first 2 shown]
	v_cmp_gt_i16_e64 s[14:15], v39, v22
	v_mov_b32_e32 v24, v22
	s_and_saveexec_b64 s[18:19], s[14:15]
; %bb.63:
	v_mov_b32_e32 v24, v15
	v_mov_b32_e32 v23, v14
	;; [unrolled: 1-line block ×8, first 2 shown]
; %bb.64:
	s_or_b64 exec, exec, s[18:19]
	v_cndmask_b32_e64 v49, v11, v18, s[8:9]
	v_cndmask_b32_e64 v48, v16, v19, s[12:13]
.LBB1038_65:
	s_or_b64 exec, exec, s[16:17]
	v_and_b32_e32 v16, 0xffffff00, v10
	v_lshlrev_b64 v[10:11], 1, v[16:17]
	v_or_b32_e32 v17, 4, v37
	v_add_co_u32_e64 v12, s[8:9], v12, v10
	v_addc_co_u32_e64 v13, s[8:9], v13, v11, s[8:9]
	v_mad_u64_u32 v[10:11], s[8:9], v16, 6, v[12:13]
	v_sub_u32_e64 v11, s20, v16 clamp
	v_min_u32_e32 v26, v11, v17
	v_add_u32_e32 v17, 4, v26
	v_and_b32_e32 v28, 0x1f8, v37
	v_min_u32_e32 v27, v11, v17
	v_and_b32_e32 v17, 4, v37
	v_min_u32_e32 v31, v11, v17
	v_sub_u32_e32 v17, v26, v28
	v_sub_u32_e32 v18, v27, v26
	v_lshl_add_u32 v25, v37, 3, v10
	v_sub_u32_e64 v34, v31, v18 clamp
	v_min_u32_e32 v17, v31, v17
	v_lshl_add_u32 v13, v37, 1, v12
	v_add_u32_e32 v16, 0x800, v25
	v_cmp_lt_u32_e64 s[8:9], v34, v17
	ds_write_b16 v13, v49
	ds_write_b16 v13, v39 offset:2
	ds_write2_b64 v16, v[4:5], v[8:9] offset1:1
	ds_write_b16 v13, v24 offset:4
	ds_write_b16 v13, v48 offset:6
	ds_write2_b64 v16, v[14:15], v[20:21] offset0:2 offset1:3
	; wave barrier
	s_and_saveexec_b64 s[12:13], s[8:9]
	s_cbranch_execz .LBB1038_69
; %bb.66:
	v_lshlrev_b32_e32 v18, 1, v28
	v_lshlrev_b32_e32 v19, 1, v26
	v_add_co_u32_e64 v18, s[8:9], v12, v18
	v_add_co_u32_e64 v19, s[8:9], v12, v19
	s_mov_b64 s[14:15], 0
.LBB1038_67:                            ; =>This Inner Loop Header: Depth=1
	v_add_u32_e32 v22, v17, v34
	v_lshrrev_b32_e32 v23, 1, v22
	v_and_b32_e32 v22, -2, v22
	v_xad_u32 v29, v23, -1, v31
	v_add_u32_e32 v22, v18, v22
	v_lshl_add_u32 v29, v29, 1, v19
	ds_read_u16 v22, v22
	ds_read_u16 v29, v29
	v_add_u32_e32 v35, 1, v23
	s_waitcnt lgkmcnt(0)
	v_cmp_gt_i16_e64 s[8:9], v22, v29
	v_cndmask_b32_e64 v17, v17, v23, s[8:9]
	v_cndmask_b32_e64 v34, v35, v34, s[8:9]
	v_cmp_ge_u32_e64 s[8:9], v34, v17
	s_or_b64 s[14:15], s[8:9], s[14:15]
	s_andn2_b64 exec, exec, s[14:15]
	s_cbranch_execnz .LBB1038_67
; %bb.68:
	s_or_b64 exec, exec, s[14:15]
.LBB1038_69:
	s_or_b64 exec, exec, s[12:13]
	v_add_u32_e32 v29, v34, v28
	v_add_u32_e32 v28, v26, v31
	v_sub_u32_e32 v31, v28, v34
	v_cmp_le_u32_e64 s[8:9], v29, v26
	v_cmp_le_u32_e64 s[12:13], v31, v27
	v_add_u32_e32 v17, 2, v13
	v_add_u32_e32 v18, 0x808, v25
	;; [unrolled: 1-line block ×6, first 2 shown]
	s_or_b64 s[8:9], s[8:9], s[12:13]
	s_and_saveexec_b64 s[24:25], s[8:9]
	s_cbranch_execz .LBB1038_75
; %bb.70:
	v_cmp_lt_u32_e64 s[8:9], v29, v26
                                        ; implicit-def: $vgpr24
	s_and_saveexec_b64 s[12:13], s[8:9]
; %bb.71:
	v_lshl_add_u32 v4, v29, 1, v12
	ds_read_u16 v24, v4
; %bb.72:
	s_or_b64 exec, exec, s[12:13]
	v_cmp_ge_u32_e64 s[12:13], v31, v27
	v_cmp_lt_u32_e64 s[14:15], v31, v27
                                        ; implicit-def: $vgpr28
	s_and_saveexec_b64 s[16:17], s[14:15]
; %bb.73:
	v_lshl_add_u32 v4, v31, 1, v12
	ds_read_u16 v28, v4
; %bb.74:
	s_or_b64 exec, exec, s[16:17]
	s_waitcnt lgkmcnt(0)
	v_cmp_le_i16_e64 s[14:15], v24, v28
	s_and_b64 s[8:9], s[8:9], s[14:15]
	s_or_b64 s[8:9], s[12:13], s[8:9]
	v_cndmask_b32_e64 v4, v31, v29, s[8:9]
	v_cndmask_b32_e64 v5, v27, v26, s[8:9]
	v_add_u32_e32 v8, 1, v4
	v_add_u32_e32 v5, -1, v5
	v_min_u32_e32 v5, v8, v5
	v_lshl_add_u32 v5, v5, 1, v12
	ds_read_u16 v5, v5
	v_cndmask_b32_e64 v9, v8, v31, s[8:9]
	v_cndmask_b32_e64 v8, v29, v8, s[8:9]
	v_cmp_lt_u32_e64 s[14:15], v8, v26
	v_cmp_ge_u32_e64 s[12:13], v9, v27
	s_waitcnt lgkmcnt(0)
	v_cndmask_b32_e64 v31, v5, v28, s[8:9]
	v_cndmask_b32_e64 v34, v24, v5, s[8:9]
	v_cmp_le_i16_e64 s[16:17], v34, v31
	s_and_b64 s[14:15], s[14:15], s[16:17]
	s_or_b64 s[12:13], s[12:13], s[14:15]
	v_cndmask_b32_e64 v14, v9, v8, s[12:13]
	v_cndmask_b32_e64 v5, v27, v26, s[12:13]
	v_add_u32_e32 v15, 1, v14
	v_add_u32_e32 v5, -1, v5
	v_min_u32_e32 v5, v15, v5
	v_lshl_add_u32 v5, v5, 1, v12
	ds_read_u16 v20, v5
	v_cndmask_b32_e64 v21, v8, v15, s[12:13]
	v_cmp_lt_u32_e64 s[16:17], v21, v26
	v_lshl_add_u32 v4, v4, 3, v10
	ds_read_b64 v[4:5], v4 offset:2048
	s_waitcnt lgkmcnt(1)
	v_cndmask_b32_e64 v29, v20, v31, s[12:13]
	v_cndmask_b32_e64 v35, v34, v20, s[12:13]
	;; [unrolled: 1-line block ×3, first 2 shown]
	v_cmp_le_i16_e64 s[18:19], v35, v29
	v_cmp_ge_u32_e64 s[14:15], v20, v27
	s_and_b64 s[16:17], s[16:17], s[18:19]
	s_or_b64 s[14:15], s[14:15], s[16:17]
	v_cndmask_b32_e64 v15, v20, v21, s[14:15]
	v_cndmask_b32_e64 v8, v27, v26, s[14:15]
	v_add_u32_e32 v39, 1, v15
	v_add_u32_e32 v8, -1, v8
	v_min_u32_e32 v8, v39, v8
	v_lshl_add_u32 v8, v8, 1, v12
	ds_read_u16 v48, v8
	v_cndmask_b32_e64 v21, v21, v39, s[14:15]
	v_cndmask_b32_e64 v20, v39, v20, s[14:15]
	v_cmp_lt_u32_e64 s[18:19], v21, v26
	v_cmp_ge_u32_e64 s[16:17], v20, v27
	s_waitcnt lgkmcnt(0)
	v_cndmask_b32_e64 v50, v48, v29, s[14:15]
	v_cndmask_b32_e64 v48, v35, v48, s[14:15]
	v_cmp_le_i16_e64 s[20:21], v48, v50
	s_and_b64 s[18:19], s[18:19], s[20:21]
	s_or_b64 s[16:17], s[16:17], s[18:19]
	v_cndmask_b32_e64 v20, v20, v21, s[16:17]
	v_lshl_add_u32 v8, v14, 3, v10
	v_lshl_add_u32 v14, v15, 3, v10
	;; [unrolled: 1-line block ×3, first 2 shown]
	ds_read_b64 v[8:9], v8 offset:2048
	ds_read_b64 v[14:15], v14 offset:2048
	;; [unrolled: 1-line block ×3, first 2 shown]
	v_cndmask_b32_e64 v49, v28, v24, s[8:9]
	v_cndmask_b32_e64 v39, v31, v34, s[12:13]
	;; [unrolled: 1-line block ×4, first 2 shown]
.LBB1038_75:
	s_or_b64 exec, exec, s[24:25]
	v_and_b32_e32 v28, 0x1f0, v37
	v_or_b32_e32 v26, 8, v28
	v_min_u32_e32 v26, v11, v26
	v_add_u32_e32 v27, 8, v26
	v_min_u32_e32 v27, v11, v27
	v_and_b32_e32 v29, 12, v37
	v_min_u32_e32 v31, v11, v29
	v_sub_u32_e32 v29, v26, v28
	v_sub_u32_e32 v34, v27, v26
	v_sub_u32_e64 v34, v31, v34 clamp
	v_min_u32_e32 v29, v31, v29
	v_cmp_lt_u32_e64 s[8:9], v34, v29
	; wave barrier
	ds_write_b16 v13, v49
	ds_write_b64 v16, v[4:5]
	ds_write_b16 v17, v39
	s_waitcnt lgkmcnt(5)
	ds_write_b64 v18, v[8:9]
	ds_write_b16 v19, v24
	s_waitcnt lgkmcnt(6)
	;; [unrolled: 3-line block ×3, first 2 shown]
	ds_write_b64 v25, v[20:21]
	; wave barrier
	s_and_saveexec_b64 s[12:13], s[8:9]
	s_cbranch_execz .LBB1038_79
; %bb.76:
	v_lshlrev_b32_e32 v35, 1, v28
	v_lshlrev_b32_e32 v50, 1, v26
	v_add_co_u32_e64 v35, s[8:9], v12, v35
	v_add_co_u32_e64 v50, s[8:9], v12, v50
	s_mov_b64 s[14:15], 0
.LBB1038_77:                            ; =>This Inner Loop Header: Depth=1
	v_add_u32_e32 v51, v29, v34
	v_lshrrev_b32_e32 v52, 1, v51
	v_and_b32_e32 v51, -2, v51
	v_xad_u32 v53, v52, -1, v31
	v_add_u32_e32 v51, v35, v51
	v_lshl_add_u32 v53, v53, 1, v50
	ds_read_u16 v51, v51
	ds_read_u16 v53, v53
	v_add_u32_e32 v54, 1, v52
	s_waitcnt lgkmcnt(0)
	v_cmp_gt_i16_e64 s[8:9], v51, v53
	v_cndmask_b32_e64 v29, v29, v52, s[8:9]
	v_cndmask_b32_e64 v34, v54, v34, s[8:9]
	v_cmp_ge_u32_e64 s[8:9], v34, v29
	s_or_b64 s[14:15], s[8:9], s[14:15]
	s_andn2_b64 exec, exec, s[14:15]
	s_cbranch_execnz .LBB1038_77
; %bb.78:
	s_or_b64 exec, exec, s[14:15]
.LBB1038_79:
	s_or_b64 exec, exec, s[12:13]
	v_add_u32_e32 v29, v34, v28
	v_add_u32_e32 v28, v26, v31
	v_sub_u32_e32 v31, v28, v34
	v_cmp_le_u32_e64 s[8:9], v29, v26
	v_cmp_le_u32_e64 s[12:13], v31, v27
	s_or_b64 s[8:9], s[8:9], s[12:13]
	s_and_saveexec_b64 s[24:25], s[8:9]
	s_cbranch_execz .LBB1038_85
; %bb.80:
	v_cmp_lt_u32_e64 s[8:9], v29, v26
                                        ; implicit-def: $vgpr24
	s_and_saveexec_b64 s[12:13], s[8:9]
; %bb.81:
	v_lshl_add_u32 v4, v29, 1, v12
	ds_read_u16 v24, v4
; %bb.82:
	s_or_b64 exec, exec, s[12:13]
	v_cmp_ge_u32_e64 s[12:13], v31, v27
	v_cmp_lt_u32_e64 s[14:15], v31, v27
                                        ; implicit-def: $vgpr28
	s_and_saveexec_b64 s[16:17], s[14:15]
; %bb.83:
	v_lshl_add_u32 v4, v31, 1, v12
	ds_read_u16 v28, v4
; %bb.84:
	s_or_b64 exec, exec, s[16:17]
	s_waitcnt lgkmcnt(0)
	v_cmp_le_i16_e64 s[14:15], v24, v28
	s_and_b64 s[8:9], s[8:9], s[14:15]
	s_or_b64 s[8:9], s[12:13], s[8:9]
	v_cndmask_b32_e64 v4, v31, v29, s[8:9]
	v_cndmask_b32_e64 v5, v27, v26, s[8:9]
	v_add_u32_e32 v8, 1, v4
	v_add_u32_e32 v5, -1, v5
	v_min_u32_e32 v5, v8, v5
	v_lshl_add_u32 v5, v5, 1, v12
	ds_read_u16 v5, v5
	v_cndmask_b32_e64 v9, v8, v31, s[8:9]
	v_cndmask_b32_e64 v8, v29, v8, s[8:9]
	v_cmp_lt_u32_e64 s[14:15], v8, v26
	v_cmp_ge_u32_e64 s[12:13], v9, v27
	s_waitcnt lgkmcnt(0)
	v_cndmask_b32_e64 v31, v5, v28, s[8:9]
	v_cndmask_b32_e64 v34, v24, v5, s[8:9]
	v_cmp_le_i16_e64 s[16:17], v34, v31
	s_and_b64 s[14:15], s[14:15], s[16:17]
	s_or_b64 s[12:13], s[12:13], s[14:15]
	v_cndmask_b32_e64 v14, v9, v8, s[12:13]
	v_cndmask_b32_e64 v5, v27, v26, s[12:13]
	v_add_u32_e32 v15, 1, v14
	v_add_u32_e32 v5, -1, v5
	v_min_u32_e32 v5, v15, v5
	v_lshl_add_u32 v5, v5, 1, v12
	ds_read_u16 v20, v5
	v_cndmask_b32_e64 v21, v8, v15, s[12:13]
	v_cmp_lt_u32_e64 s[16:17], v21, v26
	v_lshl_add_u32 v4, v4, 3, v10
	ds_read_b64 v[4:5], v4 offset:2048
	s_waitcnt lgkmcnt(1)
	v_cndmask_b32_e64 v29, v20, v31, s[12:13]
	v_cndmask_b32_e64 v35, v34, v20, s[12:13]
	;; [unrolled: 1-line block ×3, first 2 shown]
	v_cmp_le_i16_e64 s[18:19], v35, v29
	v_cmp_ge_u32_e64 s[14:15], v20, v27
	s_and_b64 s[16:17], s[16:17], s[18:19]
	s_or_b64 s[14:15], s[14:15], s[16:17]
	v_cndmask_b32_e64 v15, v20, v21, s[14:15]
	v_cndmask_b32_e64 v8, v27, v26, s[14:15]
	v_add_u32_e32 v39, 1, v15
	v_add_u32_e32 v8, -1, v8
	v_min_u32_e32 v8, v39, v8
	v_lshl_add_u32 v8, v8, 1, v12
	ds_read_u16 v48, v8
	v_cndmask_b32_e64 v21, v21, v39, s[14:15]
	v_cndmask_b32_e64 v20, v39, v20, s[14:15]
	v_cmp_lt_u32_e64 s[18:19], v21, v26
	v_cmp_ge_u32_e64 s[16:17], v20, v27
	s_waitcnt lgkmcnt(0)
	v_cndmask_b32_e64 v50, v48, v29, s[14:15]
	v_cndmask_b32_e64 v48, v35, v48, s[14:15]
	v_cmp_le_i16_e64 s[20:21], v48, v50
	s_and_b64 s[18:19], s[18:19], s[20:21]
	s_or_b64 s[16:17], s[16:17], s[18:19]
	v_cndmask_b32_e64 v20, v20, v21, s[16:17]
	v_lshl_add_u32 v8, v14, 3, v10
	v_lshl_add_u32 v14, v15, 3, v10
	;; [unrolled: 1-line block ×3, first 2 shown]
	ds_read_b64 v[8:9], v8 offset:2048
	ds_read_b64 v[14:15], v14 offset:2048
	;; [unrolled: 1-line block ×3, first 2 shown]
	v_cndmask_b32_e64 v49, v28, v24, s[8:9]
	v_cndmask_b32_e64 v39, v31, v34, s[12:13]
	;; [unrolled: 1-line block ×4, first 2 shown]
.LBB1038_85:
	s_or_b64 exec, exec, s[24:25]
	; wave barrier
	ds_write_b16 v13, v49
	ds_write_b64 v16, v[4:5]
	ds_write_b16 v17, v39
	s_waitcnt lgkmcnt(5)
	ds_write_b64 v18, v[8:9]
	ds_write_b16 v19, v24
	s_waitcnt lgkmcnt(6)
	;; [unrolled: 3-line block ×3, first 2 shown]
	ds_write_b64 v25, v[20:21]
	v_and_b32_e32 v17, 0x1e0, v37
	v_or_b32_e32 v13, 16, v17
	v_min_u32_e32 v13, v11, v13
	v_add_u32_e32 v16, 16, v13
	v_min_u32_e32 v16, v11, v16
	v_min_u32_e32 v11, v11, v38
	v_sub_u32_e32 v18, v13, v17
	v_sub_u32_e32 v19, v16, v13
	v_sub_u32_e64 v19, v11, v19 clamp
	v_min_u32_e32 v18, v11, v18
	v_cmp_lt_u32_e64 s[8:9], v19, v18
	; wave barrier
	s_and_saveexec_b64 s[12:13], s[8:9]
	s_cbranch_execz .LBB1038_89
; %bb.86:
	v_lshlrev_b32_e32 v22, 1, v17
	v_lshlrev_b32_e32 v23, 1, v13
	v_add_co_u32_e64 v22, s[8:9], v12, v22
	v_add_co_u32_e64 v23, s[8:9], v12, v23
	s_mov_b64 s[14:15], 0
.LBB1038_87:                            ; =>This Inner Loop Header: Depth=1
	v_add_u32_e32 v25, v18, v19
	v_lshrrev_b32_e32 v26, 1, v25
	v_and_b32_e32 v25, -2, v25
	v_xad_u32 v27, v26, -1, v11
	v_add_u32_e32 v25, v22, v25
	v_lshl_add_u32 v27, v27, 1, v23
	ds_read_u16 v25, v25
	ds_read_u16 v27, v27
	v_add_u32_e32 v28, 1, v26
	s_waitcnt lgkmcnt(0)
	v_cmp_gt_i16_e64 s[8:9], v25, v27
	v_cndmask_b32_e64 v18, v18, v26, s[8:9]
	v_cndmask_b32_e64 v19, v28, v19, s[8:9]
	v_cmp_ge_u32_e64 s[8:9], v19, v18
	s_or_b64 s[14:15], s[8:9], s[14:15]
	s_andn2_b64 exec, exec, s[14:15]
	s_cbranch_execnz .LBB1038_87
; %bb.88:
	s_or_b64 exec, exec, s[14:15]
.LBB1038_89:
	s_or_b64 exec, exec, s[12:13]
	v_add_u32_e32 v11, v13, v11
	v_add_u32_e32 v18, v19, v17
	v_sub_u32_e32 v19, v11, v19
	v_cmp_le_u32_e64 s[8:9], v18, v13
	v_cmp_le_u32_e64 s[12:13], v19, v16
	s_or_b64 s[8:9], s[8:9], s[12:13]
	s_and_saveexec_b64 s[24:25], s[8:9]
	s_cbranch_execz .LBB1038_95
; %bb.90:
	v_cmp_lt_u32_e64 s[8:9], v18, v13
                                        ; implicit-def: $vgpr11
	s_and_saveexec_b64 s[12:13], s[8:9]
; %bb.91:
	v_lshl_add_u32 v4, v18, 1, v12
	ds_read_u16 v11, v4
; %bb.92:
	s_or_b64 exec, exec, s[12:13]
	v_cmp_ge_u32_e64 s[12:13], v19, v16
	v_cmp_lt_u32_e64 s[14:15], v19, v16
                                        ; implicit-def: $vgpr17
	s_and_saveexec_b64 s[16:17], s[14:15]
; %bb.93:
	v_lshl_add_u32 v4, v19, 1, v12
	ds_read_u16 v17, v4
; %bb.94:
	s_or_b64 exec, exec, s[16:17]
	s_waitcnt lgkmcnt(0)
	v_cmp_le_i16_e64 s[14:15], v11, v17
	s_and_b64 s[8:9], s[8:9], s[14:15]
	s_or_b64 s[8:9], s[12:13], s[8:9]
	v_cndmask_b32_e64 v4, v19, v18, s[8:9]
	v_cndmask_b32_e64 v5, v16, v13, s[8:9]
	v_add_u32_e32 v8, 1, v4
	v_add_u32_e32 v5, -1, v5
	v_min_u32_e32 v5, v8, v5
	v_lshl_add_u32 v5, v5, 1, v12
	ds_read_u16 v5, v5
	v_cndmask_b32_e64 v9, v8, v19, s[8:9]
	v_cndmask_b32_e64 v8, v18, v8, s[8:9]
	v_cmp_lt_u32_e64 s[14:15], v8, v13
	v_cmp_ge_u32_e64 s[12:13], v9, v16
	s_waitcnt lgkmcnt(0)
	v_cndmask_b32_e64 v19, v5, v17, s[8:9]
	v_cndmask_b32_e64 v22, v11, v5, s[8:9]
	v_cmp_le_i16_e64 s[16:17], v22, v19
	s_and_b64 s[14:15], s[14:15], s[16:17]
	s_or_b64 s[12:13], s[12:13], s[14:15]
	v_cndmask_b32_e64 v14, v9, v8, s[12:13]
	v_cndmask_b32_e64 v5, v16, v13, s[12:13]
	v_add_u32_e32 v15, 1, v14
	v_add_u32_e32 v5, -1, v5
	v_min_u32_e32 v5, v15, v5
	v_lshl_add_u32 v5, v5, 1, v12
	ds_read_u16 v18, v5
	v_cndmask_b32_e64 v21, v8, v15, s[12:13]
	v_cndmask_b32_e64 v20, v15, v9, s[12:13]
	v_cmp_lt_u32_e64 s[16:17], v21, v13
	v_cmp_ge_u32_e64 s[14:15], v20, v16
	s_waitcnt lgkmcnt(0)
	v_cndmask_b32_e64 v23, v18, v19, s[12:13]
	v_cndmask_b32_e64 v18, v22, v18, s[12:13]
	;; [unrolled: 17-line block ×3, first 2 shown]
	v_cmp_le_i16_e64 s[20:21], v12, v25
	s_and_b64 s[18:19], s[18:19], s[20:21]
	s_or_b64 s[16:17], s[16:17], s[18:19]
	v_cndmask_b32_e64 v13, v20, v21, s[16:17]
	v_lshl_add_u32 v4, v4, 3, v10
	v_lshl_add_u32 v8, v14, 3, v10
	;; [unrolled: 1-line block ×4, first 2 shown]
	ds_read_b64 v[4:5], v4 offset:2048
	ds_read_b64 v[8:9], v8 offset:2048
	;; [unrolled: 1-line block ×4, first 2 shown]
	v_cndmask_b32_e64 v49, v17, v11, s[8:9]
	v_cndmask_b32_e64 v39, v19, v22, s[12:13]
	;; [unrolled: 1-line block ×4, first 2 shown]
.LBB1038_95:
	s_or_b64 exec, exec, s[24:25]
	; wave barrier
	s_waitcnt lgkmcnt(0)
	s_barrier
.LBB1038_96:
	s_or_b64 exec, exec, s[22:23]
	v_add_co_u32_e64 v2, s[8:9], v2, v32
	v_addc_co_u32_e64 v3, s[8:9], v3, v33, s[8:9]
	v_add_co_u32_e64 v2, s[8:9], v2, v30
	v_addc_co_u32_e64 v3, s[8:9], 0, v3, s[8:9]
	s_waitcnt lgkmcnt(0)
	; wave barrier
	s_and_saveexec_b64 s[8:9], vcc
	s_cbranch_execnz .LBB1038_106
; %bb.97:
	s_or_b64 exec, exec, s[8:9]
	s_and_saveexec_b64 s[8:9], s[4:5]
	s_cbranch_execnz .LBB1038_107
.LBB1038_98:
	s_or_b64 exec, exec, s[8:9]
	s_and_saveexec_b64 s[8:9], s[6:7]
	s_cbranch_execnz .LBB1038_108
.LBB1038_99:
	s_or_b64 exec, exec, s[8:9]
	s_and_saveexec_b64 s[8:9], s[10:11]
	s_cbranch_execz .LBB1038_101
.LBB1038_100:
	s_waitcnt vmcnt(0)
	flat_store_short v[2:3], v48 offset:6
.LBB1038_101:
	s_or_b64 exec, exec, s[8:9]
	v_add_co_u32_e64 v0, s[8:9], v6, v0
	v_addc_co_u32_e64 v1, s[8:9], v7, v1, s[8:9]
	v_add_co_u32_e64 v0, s[8:9], v0, v36
	v_addc_co_u32_e64 v1, s[8:9], 0, v1, s[8:9]
	; wave barrier
	s_and_saveexec_b64 s[8:9], vcc
	s_cbranch_execnz .LBB1038_109
; %bb.102:
	s_or_b64 exec, exec, s[8:9]
	s_and_saveexec_b64 s[8:9], s[4:5]
	s_cbranch_execnz .LBB1038_110
.LBB1038_103:
	s_or_b64 exec, exec, s[8:9]
	s_and_saveexec_b64 s[4:5], s[6:7]
	s_cbranch_execnz .LBB1038_111
.LBB1038_104:
	s_or_b64 exec, exec, s[4:5]
	s_and_saveexec_b64 s[4:5], s[10:11]
	s_cbranch_execnz .LBB1038_112
.LBB1038_105:
	s_or_b64 exec, exec, s[4:5]
	s_waitcnt vmcnt(0) lgkmcnt(0)
	s_setpc_b64 s[30:31]
.LBB1038_106:
	s_waitcnt vmcnt(0)
	flat_store_short v[2:3], v49
	s_or_b64 exec, exec, s[8:9]
	s_and_saveexec_b64 s[8:9], s[4:5]
	s_cbranch_execz .LBB1038_98
.LBB1038_107:
	s_waitcnt vmcnt(0)
	flat_store_short v[2:3], v39 offset:2
	s_or_b64 exec, exec, s[8:9]
	s_and_saveexec_b64 s[8:9], s[6:7]
	s_cbranch_execz .LBB1038_99
.LBB1038_108:
	s_waitcnt vmcnt(0)
	flat_store_short v[2:3], v24 offset:4
	s_or_b64 exec, exec, s[8:9]
	s_and_saveexec_b64 s[8:9], s[10:11]
	s_cbranch_execnz .LBB1038_100
	s_branch .LBB1038_101
.LBB1038_109:
	s_waitcnt vmcnt(0)
	flat_store_dwordx2 v[0:1], v[4:5]
	s_or_b64 exec, exec, s[8:9]
	s_and_saveexec_b64 s[8:9], s[4:5]
	s_cbranch_execz .LBB1038_103
.LBB1038_110:
	flat_store_dwordx2 v[0:1], v[8:9] offset:8
	s_or_b64 exec, exec, s[8:9]
	s_and_saveexec_b64 s[4:5], s[6:7]
	s_cbranch_execz .LBB1038_104
.LBB1038_111:
	flat_store_dwordx2 v[0:1], v[14:15] offset:16
	s_or_b64 exec, exec, s[4:5]
	s_and_saveexec_b64 s[4:5], s[10:11]
	s_cbranch_execz .LBB1038_105
.LBB1038_112:
	flat_store_dwordx2 v[0:1], v[20:21] offset:24
	s_or_b64 exec, exec, s[4:5]
	s_waitcnt vmcnt(0) lgkmcnt(0)
	s_setpc_b64 s[30:31]
.Lfunc_end1038:
	.size	_ZN7rocprim17ROCPRIM_400000_NS6detail26segmented_warp_sort_helperINS1_20WarpSortHelperConfigILj8ELj4ELj256EEEslLi256ELb0EvE4sortIPKsPsPKlPlEEvT_T0_T1_T2_jjjjRNS5_12storage_typeE, .Lfunc_end1038-_ZN7rocprim17ROCPRIM_400000_NS6detail26segmented_warp_sort_helperINS1_20WarpSortHelperConfigILj8ELj4ELj256EEEslLi256ELb0EvE4sortIPKsPsPKlPlEEvT_T0_T1_T2_jjjjRNS5_12storage_typeE
                                        ; -- End function
	.set .L_ZN7rocprim17ROCPRIM_400000_NS6detail26segmented_warp_sort_helperINS1_20WarpSortHelperConfigILj8ELj4ELj256EEEslLi256ELb0EvE4sortIPKsPsPKlPlEEvT_T0_T1_T2_jjjjRNS5_12storage_typeE.num_vgpr, 56
	.set .L_ZN7rocprim17ROCPRIM_400000_NS6detail26segmented_warp_sort_helperINS1_20WarpSortHelperConfigILj8ELj4ELj256EEEslLi256ELb0EvE4sortIPKsPsPKlPlEEvT_T0_T1_T2_jjjjRNS5_12storage_typeE.num_agpr, 0
	.set .L_ZN7rocprim17ROCPRIM_400000_NS6detail26segmented_warp_sort_helperINS1_20WarpSortHelperConfigILj8ELj4ELj256EEEslLi256ELb0EvE4sortIPKsPsPKlPlEEvT_T0_T1_T2_jjjjRNS5_12storage_typeE.numbered_sgpr, 32
	.set .L_ZN7rocprim17ROCPRIM_400000_NS6detail26segmented_warp_sort_helperINS1_20WarpSortHelperConfigILj8ELj4ELj256EEEslLi256ELb0EvE4sortIPKsPsPKlPlEEvT_T0_T1_T2_jjjjRNS5_12storage_typeE.num_named_barrier, 0
	.set .L_ZN7rocprim17ROCPRIM_400000_NS6detail26segmented_warp_sort_helperINS1_20WarpSortHelperConfigILj8ELj4ELj256EEEslLi256ELb0EvE4sortIPKsPsPKlPlEEvT_T0_T1_T2_jjjjRNS5_12storage_typeE.private_seg_size, 0
	.set .L_ZN7rocprim17ROCPRIM_400000_NS6detail26segmented_warp_sort_helperINS1_20WarpSortHelperConfigILj8ELj4ELj256EEEslLi256ELb0EvE4sortIPKsPsPKlPlEEvT_T0_T1_T2_jjjjRNS5_12storage_typeE.uses_vcc, 1
	.set .L_ZN7rocprim17ROCPRIM_400000_NS6detail26segmented_warp_sort_helperINS1_20WarpSortHelperConfigILj8ELj4ELj256EEEslLi256ELb0EvE4sortIPKsPsPKlPlEEvT_T0_T1_T2_jjjjRNS5_12storage_typeE.uses_flat_scratch, 0
	.set .L_ZN7rocprim17ROCPRIM_400000_NS6detail26segmented_warp_sort_helperINS1_20WarpSortHelperConfigILj8ELj4ELj256EEEslLi256ELb0EvE4sortIPKsPsPKlPlEEvT_T0_T1_T2_jjjjRNS5_12storage_typeE.has_dyn_sized_stack, 0
	.set .L_ZN7rocprim17ROCPRIM_400000_NS6detail26segmented_warp_sort_helperINS1_20WarpSortHelperConfigILj8ELj4ELj256EEEslLi256ELb0EvE4sortIPKsPsPKlPlEEvT_T0_T1_T2_jjjjRNS5_12storage_typeE.has_recursion, 0
	.set .L_ZN7rocprim17ROCPRIM_400000_NS6detail26segmented_warp_sort_helperINS1_20WarpSortHelperConfigILj8ELj4ELj256EEEslLi256ELb0EvE4sortIPKsPsPKlPlEEvT_T0_T1_T2_jjjjRNS5_12storage_typeE.has_indirect_call, 0
	.section	.AMDGPU.csdata,"",@progbits
; Function info:
; codeLenInByte = 7348
; TotalNumSgprs: 36
; NumVgprs: 56
; ScratchSize: 0
; MemoryBound: 1
	.section	.text._ZN7rocprim17ROCPRIM_400000_NS6detail17trampoline_kernelINS0_14default_configENS1_36segmented_radix_sort_config_selectorIslEEZNS1_25segmented_radix_sort_implIS3_Lb0EPKsPsPKlPlN2at6native12_GLOBAL__N_18offset_tEEE10hipError_tPvRmT1_PNSt15iterator_traitsISK_E10value_typeET2_T3_PNSL_ISQ_E10value_typeET4_jRbjT5_SW_jjP12ihipStream_tbEUlT_E1_NS1_11comp_targetILNS1_3genE2ELNS1_11target_archE906ELNS1_3gpuE6ELNS1_3repE0EEENS1_59segmented_radix_sort_warp_sort_small_config_static_selectorELNS0_4arch9wavefront6targetE1EEEvSK_,"axG",@progbits,_ZN7rocprim17ROCPRIM_400000_NS6detail17trampoline_kernelINS0_14default_configENS1_36segmented_radix_sort_config_selectorIslEEZNS1_25segmented_radix_sort_implIS3_Lb0EPKsPsPKlPlN2at6native12_GLOBAL__N_18offset_tEEE10hipError_tPvRmT1_PNSt15iterator_traitsISK_E10value_typeET2_T3_PNSL_ISQ_E10value_typeET4_jRbjT5_SW_jjP12ihipStream_tbEUlT_E1_NS1_11comp_targetILNS1_3genE2ELNS1_11target_archE906ELNS1_3gpuE6ELNS1_3repE0EEENS1_59segmented_radix_sort_warp_sort_small_config_static_selectorELNS0_4arch9wavefront6targetE1EEEvSK_,comdat
	.globl	_ZN7rocprim17ROCPRIM_400000_NS6detail17trampoline_kernelINS0_14default_configENS1_36segmented_radix_sort_config_selectorIslEEZNS1_25segmented_radix_sort_implIS3_Lb0EPKsPsPKlPlN2at6native12_GLOBAL__N_18offset_tEEE10hipError_tPvRmT1_PNSt15iterator_traitsISK_E10value_typeET2_T3_PNSL_ISQ_E10value_typeET4_jRbjT5_SW_jjP12ihipStream_tbEUlT_E1_NS1_11comp_targetILNS1_3genE2ELNS1_11target_archE906ELNS1_3gpuE6ELNS1_3repE0EEENS1_59segmented_radix_sort_warp_sort_small_config_static_selectorELNS0_4arch9wavefront6targetE1EEEvSK_ ; -- Begin function _ZN7rocprim17ROCPRIM_400000_NS6detail17trampoline_kernelINS0_14default_configENS1_36segmented_radix_sort_config_selectorIslEEZNS1_25segmented_radix_sort_implIS3_Lb0EPKsPsPKlPlN2at6native12_GLOBAL__N_18offset_tEEE10hipError_tPvRmT1_PNSt15iterator_traitsISK_E10value_typeET2_T3_PNSL_ISQ_E10value_typeET4_jRbjT5_SW_jjP12ihipStream_tbEUlT_E1_NS1_11comp_targetILNS1_3genE2ELNS1_11target_archE906ELNS1_3gpuE6ELNS1_3repE0EEENS1_59segmented_radix_sort_warp_sort_small_config_static_selectorELNS0_4arch9wavefront6targetE1EEEvSK_
	.p2align	8
	.type	_ZN7rocprim17ROCPRIM_400000_NS6detail17trampoline_kernelINS0_14default_configENS1_36segmented_radix_sort_config_selectorIslEEZNS1_25segmented_radix_sort_implIS3_Lb0EPKsPsPKlPlN2at6native12_GLOBAL__N_18offset_tEEE10hipError_tPvRmT1_PNSt15iterator_traitsISK_E10value_typeET2_T3_PNSL_ISQ_E10value_typeET4_jRbjT5_SW_jjP12ihipStream_tbEUlT_E1_NS1_11comp_targetILNS1_3genE2ELNS1_11target_archE906ELNS1_3gpuE6ELNS1_3repE0EEENS1_59segmented_radix_sort_warp_sort_small_config_static_selectorELNS0_4arch9wavefront6targetE1EEEvSK_,@function
_ZN7rocprim17ROCPRIM_400000_NS6detail17trampoline_kernelINS0_14default_configENS1_36segmented_radix_sort_config_selectorIslEEZNS1_25segmented_radix_sort_implIS3_Lb0EPKsPsPKlPlN2at6native12_GLOBAL__N_18offset_tEEE10hipError_tPvRmT1_PNSt15iterator_traitsISK_E10value_typeET2_T3_PNSL_ISQ_E10value_typeET4_jRbjT5_SW_jjP12ihipStream_tbEUlT_E1_NS1_11comp_targetILNS1_3genE2ELNS1_11target_archE906ELNS1_3gpuE6ELNS1_3repE0EEENS1_59segmented_radix_sort_warp_sort_small_config_static_selectorELNS0_4arch9wavefront6targetE1EEEvSK_: ; @_ZN7rocprim17ROCPRIM_400000_NS6detail17trampoline_kernelINS0_14default_configENS1_36segmented_radix_sort_config_selectorIslEEZNS1_25segmented_radix_sort_implIS3_Lb0EPKsPsPKlPlN2at6native12_GLOBAL__N_18offset_tEEE10hipError_tPvRmT1_PNSt15iterator_traitsISK_E10value_typeET2_T3_PNSL_ISQ_E10value_typeET4_jRbjT5_SW_jjP12ihipStream_tbEUlT_E1_NS1_11comp_targetILNS1_3genE2ELNS1_11target_archE906ELNS1_3gpuE6ELNS1_3repE0EEENS1_59segmented_radix_sort_warp_sort_small_config_static_selectorELNS0_4arch9wavefront6targetE1EEEvSK_
; %bb.0:
	s_add_u32 s0, s0, s8
	s_load_dword s8, s[4:5], 0x64
	s_addc_u32 s1, s1, 0
	s_mov_b32 s32, 0
	s_waitcnt lgkmcnt(0)
	s_lshr_b32 s9, s8, 16
	s_and_b32 s8, s8, 0xffff
	v_mad_u32_u24 v3, v2, s9, v1
	v_mad_u64_u32 v[3:4], s[8:9], v3, s8, v[0:1]
	s_load_dword s8, s[4:5], 0x34
	v_lshrrev_b32_e32 v3, 3, v3
	v_lshl_add_u32 v3, s6, 5, v3
	s_waitcnt lgkmcnt(0)
	v_cmp_gt_u32_e32 vcc, s8, v3
	s_and_saveexec_b64 s[8:9], vcc
	s_cbranch_execz .LBB1039_6
; %bb.1:
	s_load_dwordx2 s[12:13], s[4:5], 0x38
	s_load_dwordx4 s[8:11], s[4:5], 0x40
	v_mov_b32_e32 v4, 0
	v_lshlrev_b64 v[3:4], 2, v[3:4]
	s_waitcnt lgkmcnt(0)
	v_mov_b32_e32 v5, s13
	v_sub_co_u32_e32 v3, vcc, s12, v3
	v_subb_co_u32_e32 v4, vcc, v5, v4, vcc
	global_load_dword v3, v[3:4], off offset:-4
	s_waitcnt vmcnt(0)
	v_add_u32_e32 v4, s9, v3
	v_add_u32_e32 v3, s11, v3
	v_mul_lo_u32 v40, v4, s8
	v_mul_lo_u32 v41, v3, s10
	v_cmp_gt_u32_e32 vcc, v41, v40
	s_and_b64 exec, exec, vcc
	s_cbranch_execz .LBB1039_6
; %bb.2:
	s_load_dword s10, s[4:5], 0x30
	s_load_dwordx4 s[44:47], s[4:5], 0x20
	s_load_dwordx8 s[36:43], s[4:5], 0x0
	s_load_dwordx2 s[34:35], s[4:5], 0x50
	s_mov_b64 s[8:9], -1
	s_waitcnt lgkmcnt(0)
	s_bitcmp0_b32 s10, 0
	v_lshlrev_b32_e32 v43, 20, v2
	v_lshlrev_b32_e32 v44, 10, v1
	s_cbranch_scc0 .LBB1039_4
; %bb.3:
	s_add_u32 s8, s4, 0x58
	s_mov_b64 s[10:11], src_shared_base
	s_addc_u32 s9, s5, 0
	s_getpc_b64 s[14:15]
	s_add_u32 s14, s14, _ZN7rocprim17ROCPRIM_400000_NS6detail26segmented_warp_sort_helperINS1_20WarpSortHelperConfigILj8ELj4ELj256EEEslLi256ELb0EvE4sortIPKsPsPKlPlEEvT_T0_T1_T2_jjjjRNS5_12storage_typeE@rel32@lo+4
	s_addc_u32 s15, s15, _ZN7rocprim17ROCPRIM_400000_NS6detail26segmented_warp_sort_helperINS1_20WarpSortHelperConfigILj8ELj4ELj256EEEslLi256ELb0EvE4sortIPKsPsPKlPlEEvT_T0_T1_T2_jjjjRNS5_12storage_typeE@rel32@hi+12
	v_or3_b32 v31, v0, v44, v43
	s_mov_b32 s12, s6
	s_mov_b32 s13, s7
	v_mov_b32_e32 v42, v0
	v_mov_b32_e32 v0, s36
	;; [unrolled: 1-line block ×15, first 2 shown]
	s_mov_b64 s[38:39], s[4:5]
	s_mov_b32 s44, s7
	s_mov_b32 s33, s6
	s_swappc_b64 s[30:31], s[14:15]
	v_mov_b32_e32 v0, v42
	s_mov_b32 s6, s33
	s_mov_b32 s7, s44
	s_mov_b64 s[4:5], s[38:39]
	s_mov_b64 s[8:9], 0
.LBB1039_4:
	s_andn2_b64 vcc, exec, s[8:9]
	s_cbranch_vccnz .LBB1039_6
; %bb.5:
	s_add_u32 s8, s4, 0x58
	s_mov_b64 s[10:11], src_shared_base
	s_addc_u32 s9, s5, 0
	s_getpc_b64 s[4:5]
	s_add_u32 s4, s4, _ZN7rocprim17ROCPRIM_400000_NS6detail26segmented_warp_sort_helperINS1_20WarpSortHelperConfigILj8ELj4ELj256EEEslLi256ELb0EvE4sortIPKsPsPKlPlEEvT_T0_T1_T2_jjjjRNS5_12storage_typeE@rel32@lo+4
	s_addc_u32 s5, s5, _ZN7rocprim17ROCPRIM_400000_NS6detail26segmented_warp_sort_helperINS1_20WarpSortHelperConfigILj8ELj4ELj256EEEslLi256ELb0EvE4sortIPKsPsPKlPlEEvT_T0_T1_T2_jjjjRNS5_12storage_typeE@rel32@hi+12
	v_or3_b32 v31, v0, v44, v43
	s_mov_b32 s12, s6
	s_mov_b32 s13, s7
	v_mov_b32_e32 v0, s36
	v_mov_b32_e32 v1, s37
	;; [unrolled: 1-line block ×14, first 2 shown]
	s_swappc_b64 s[30:31], s[4:5]
.LBB1039_6:
	s_endpgm
	.section	.rodata,"a",@progbits
	.p2align	6, 0x0
	.amdhsa_kernel _ZN7rocprim17ROCPRIM_400000_NS6detail17trampoline_kernelINS0_14default_configENS1_36segmented_radix_sort_config_selectorIslEEZNS1_25segmented_radix_sort_implIS3_Lb0EPKsPsPKlPlN2at6native12_GLOBAL__N_18offset_tEEE10hipError_tPvRmT1_PNSt15iterator_traitsISK_E10value_typeET2_T3_PNSL_ISQ_E10value_typeET4_jRbjT5_SW_jjP12ihipStream_tbEUlT_E1_NS1_11comp_targetILNS1_3genE2ELNS1_11target_archE906ELNS1_3gpuE6ELNS1_3repE0EEENS1_59segmented_radix_sort_warp_sort_small_config_static_selectorELNS0_4arch9wavefront6targetE1EEEvSK_
		.amdhsa_group_segment_fixed_size 10240
		.amdhsa_private_segment_fixed_size 0
		.amdhsa_kernarg_size 344
		.amdhsa_user_sgpr_count 6
		.amdhsa_user_sgpr_private_segment_buffer 1
		.amdhsa_user_sgpr_dispatch_ptr 0
		.amdhsa_user_sgpr_queue_ptr 0
		.amdhsa_user_sgpr_kernarg_segment_ptr 1
		.amdhsa_user_sgpr_dispatch_id 0
		.amdhsa_user_sgpr_flat_scratch_init 0
		.amdhsa_user_sgpr_private_segment_size 0
		.amdhsa_uses_dynamic_stack 0
		.amdhsa_system_sgpr_private_segment_wavefront_offset 0
		.amdhsa_system_sgpr_workgroup_id_x 1
		.amdhsa_system_sgpr_workgroup_id_y 1
		.amdhsa_system_sgpr_workgroup_id_z 0
		.amdhsa_system_sgpr_workgroup_info 0
		.amdhsa_system_vgpr_workitem_id 2
		.amdhsa_next_free_vgpr 56
		.amdhsa_next_free_sgpr 93
		.amdhsa_reserve_vcc 1
		.amdhsa_reserve_flat_scratch 0
		.amdhsa_float_round_mode_32 0
		.amdhsa_float_round_mode_16_64 0
		.amdhsa_float_denorm_mode_32 3
		.amdhsa_float_denorm_mode_16_64 3
		.amdhsa_dx10_clamp 1
		.amdhsa_ieee_mode 1
		.amdhsa_fp16_overflow 0
		.amdhsa_exception_fp_ieee_invalid_op 0
		.amdhsa_exception_fp_denorm_src 0
		.amdhsa_exception_fp_ieee_div_zero 0
		.amdhsa_exception_fp_ieee_overflow 0
		.amdhsa_exception_fp_ieee_underflow 0
		.amdhsa_exception_fp_ieee_inexact 0
		.amdhsa_exception_int_div_zero 0
	.end_amdhsa_kernel
	.section	.text._ZN7rocprim17ROCPRIM_400000_NS6detail17trampoline_kernelINS0_14default_configENS1_36segmented_radix_sort_config_selectorIslEEZNS1_25segmented_radix_sort_implIS3_Lb0EPKsPsPKlPlN2at6native12_GLOBAL__N_18offset_tEEE10hipError_tPvRmT1_PNSt15iterator_traitsISK_E10value_typeET2_T3_PNSL_ISQ_E10value_typeET4_jRbjT5_SW_jjP12ihipStream_tbEUlT_E1_NS1_11comp_targetILNS1_3genE2ELNS1_11target_archE906ELNS1_3gpuE6ELNS1_3repE0EEENS1_59segmented_radix_sort_warp_sort_small_config_static_selectorELNS0_4arch9wavefront6targetE1EEEvSK_,"axG",@progbits,_ZN7rocprim17ROCPRIM_400000_NS6detail17trampoline_kernelINS0_14default_configENS1_36segmented_radix_sort_config_selectorIslEEZNS1_25segmented_radix_sort_implIS3_Lb0EPKsPsPKlPlN2at6native12_GLOBAL__N_18offset_tEEE10hipError_tPvRmT1_PNSt15iterator_traitsISK_E10value_typeET2_T3_PNSL_ISQ_E10value_typeET4_jRbjT5_SW_jjP12ihipStream_tbEUlT_E1_NS1_11comp_targetILNS1_3genE2ELNS1_11target_archE906ELNS1_3gpuE6ELNS1_3repE0EEENS1_59segmented_radix_sort_warp_sort_small_config_static_selectorELNS0_4arch9wavefront6targetE1EEEvSK_,comdat
.Lfunc_end1039:
	.size	_ZN7rocprim17ROCPRIM_400000_NS6detail17trampoline_kernelINS0_14default_configENS1_36segmented_radix_sort_config_selectorIslEEZNS1_25segmented_radix_sort_implIS3_Lb0EPKsPsPKlPlN2at6native12_GLOBAL__N_18offset_tEEE10hipError_tPvRmT1_PNSt15iterator_traitsISK_E10value_typeET2_T3_PNSL_ISQ_E10value_typeET4_jRbjT5_SW_jjP12ihipStream_tbEUlT_E1_NS1_11comp_targetILNS1_3genE2ELNS1_11target_archE906ELNS1_3gpuE6ELNS1_3repE0EEENS1_59segmented_radix_sort_warp_sort_small_config_static_selectorELNS0_4arch9wavefront6targetE1EEEvSK_, .Lfunc_end1039-_ZN7rocprim17ROCPRIM_400000_NS6detail17trampoline_kernelINS0_14default_configENS1_36segmented_radix_sort_config_selectorIslEEZNS1_25segmented_radix_sort_implIS3_Lb0EPKsPsPKlPlN2at6native12_GLOBAL__N_18offset_tEEE10hipError_tPvRmT1_PNSt15iterator_traitsISK_E10value_typeET2_T3_PNSL_ISQ_E10value_typeET4_jRbjT5_SW_jjP12ihipStream_tbEUlT_E1_NS1_11comp_targetILNS1_3genE2ELNS1_11target_archE906ELNS1_3gpuE6ELNS1_3repE0EEENS1_59segmented_radix_sort_warp_sort_small_config_static_selectorELNS0_4arch9wavefront6targetE1EEEvSK_
                                        ; -- End function
	.set _ZN7rocprim17ROCPRIM_400000_NS6detail17trampoline_kernelINS0_14default_configENS1_36segmented_radix_sort_config_selectorIslEEZNS1_25segmented_radix_sort_implIS3_Lb0EPKsPsPKlPlN2at6native12_GLOBAL__N_18offset_tEEE10hipError_tPvRmT1_PNSt15iterator_traitsISK_E10value_typeET2_T3_PNSL_ISQ_E10value_typeET4_jRbjT5_SW_jjP12ihipStream_tbEUlT_E1_NS1_11comp_targetILNS1_3genE2ELNS1_11target_archE906ELNS1_3gpuE6ELNS1_3repE0EEENS1_59segmented_radix_sort_warp_sort_small_config_static_selectorELNS0_4arch9wavefront6targetE1EEEvSK_.num_vgpr, max(45, .L_ZN7rocprim17ROCPRIM_400000_NS6detail26segmented_warp_sort_helperINS1_20WarpSortHelperConfigILj8ELj4ELj256EEEslLi256ELb0EvE4sortIPKsPsPKlPlEEvT_T0_T1_T2_jjjjRNS5_12storage_typeE.num_vgpr)
	.set _ZN7rocprim17ROCPRIM_400000_NS6detail17trampoline_kernelINS0_14default_configENS1_36segmented_radix_sort_config_selectorIslEEZNS1_25segmented_radix_sort_implIS3_Lb0EPKsPsPKlPlN2at6native12_GLOBAL__N_18offset_tEEE10hipError_tPvRmT1_PNSt15iterator_traitsISK_E10value_typeET2_T3_PNSL_ISQ_E10value_typeET4_jRbjT5_SW_jjP12ihipStream_tbEUlT_E1_NS1_11comp_targetILNS1_3genE2ELNS1_11target_archE906ELNS1_3gpuE6ELNS1_3repE0EEENS1_59segmented_radix_sort_warp_sort_small_config_static_selectorELNS0_4arch9wavefront6targetE1EEEvSK_.num_agpr, max(0, .L_ZN7rocprim17ROCPRIM_400000_NS6detail26segmented_warp_sort_helperINS1_20WarpSortHelperConfigILj8ELj4ELj256EEEslLi256ELb0EvE4sortIPKsPsPKlPlEEvT_T0_T1_T2_jjjjRNS5_12storage_typeE.num_agpr)
	.set _ZN7rocprim17ROCPRIM_400000_NS6detail17trampoline_kernelINS0_14default_configENS1_36segmented_radix_sort_config_selectorIslEEZNS1_25segmented_radix_sort_implIS3_Lb0EPKsPsPKlPlN2at6native12_GLOBAL__N_18offset_tEEE10hipError_tPvRmT1_PNSt15iterator_traitsISK_E10value_typeET2_T3_PNSL_ISQ_E10value_typeET4_jRbjT5_SW_jjP12ihipStream_tbEUlT_E1_NS1_11comp_targetILNS1_3genE2ELNS1_11target_archE906ELNS1_3gpuE6ELNS1_3repE0EEENS1_59segmented_radix_sort_warp_sort_small_config_static_selectorELNS0_4arch9wavefront6targetE1EEEvSK_.numbered_sgpr, max(48, .L_ZN7rocprim17ROCPRIM_400000_NS6detail26segmented_warp_sort_helperINS1_20WarpSortHelperConfigILj8ELj4ELj256EEEslLi256ELb0EvE4sortIPKsPsPKlPlEEvT_T0_T1_T2_jjjjRNS5_12storage_typeE.numbered_sgpr)
	.set _ZN7rocprim17ROCPRIM_400000_NS6detail17trampoline_kernelINS0_14default_configENS1_36segmented_radix_sort_config_selectorIslEEZNS1_25segmented_radix_sort_implIS3_Lb0EPKsPsPKlPlN2at6native12_GLOBAL__N_18offset_tEEE10hipError_tPvRmT1_PNSt15iterator_traitsISK_E10value_typeET2_T3_PNSL_ISQ_E10value_typeET4_jRbjT5_SW_jjP12ihipStream_tbEUlT_E1_NS1_11comp_targetILNS1_3genE2ELNS1_11target_archE906ELNS1_3gpuE6ELNS1_3repE0EEENS1_59segmented_radix_sort_warp_sort_small_config_static_selectorELNS0_4arch9wavefront6targetE1EEEvSK_.num_named_barrier, max(0, .L_ZN7rocprim17ROCPRIM_400000_NS6detail26segmented_warp_sort_helperINS1_20WarpSortHelperConfigILj8ELj4ELj256EEEslLi256ELb0EvE4sortIPKsPsPKlPlEEvT_T0_T1_T2_jjjjRNS5_12storage_typeE.num_named_barrier)
	.set _ZN7rocprim17ROCPRIM_400000_NS6detail17trampoline_kernelINS0_14default_configENS1_36segmented_radix_sort_config_selectorIslEEZNS1_25segmented_radix_sort_implIS3_Lb0EPKsPsPKlPlN2at6native12_GLOBAL__N_18offset_tEEE10hipError_tPvRmT1_PNSt15iterator_traitsISK_E10value_typeET2_T3_PNSL_ISQ_E10value_typeET4_jRbjT5_SW_jjP12ihipStream_tbEUlT_E1_NS1_11comp_targetILNS1_3genE2ELNS1_11target_archE906ELNS1_3gpuE6ELNS1_3repE0EEENS1_59segmented_radix_sort_warp_sort_small_config_static_selectorELNS0_4arch9wavefront6targetE1EEEvSK_.private_seg_size, 0+max(.L_ZN7rocprim17ROCPRIM_400000_NS6detail26segmented_warp_sort_helperINS1_20WarpSortHelperConfigILj8ELj4ELj256EEEslLi256ELb0EvE4sortIPKsPsPKlPlEEvT_T0_T1_T2_jjjjRNS5_12storage_typeE.private_seg_size)
	.set _ZN7rocprim17ROCPRIM_400000_NS6detail17trampoline_kernelINS0_14default_configENS1_36segmented_radix_sort_config_selectorIslEEZNS1_25segmented_radix_sort_implIS3_Lb0EPKsPsPKlPlN2at6native12_GLOBAL__N_18offset_tEEE10hipError_tPvRmT1_PNSt15iterator_traitsISK_E10value_typeET2_T3_PNSL_ISQ_E10value_typeET4_jRbjT5_SW_jjP12ihipStream_tbEUlT_E1_NS1_11comp_targetILNS1_3genE2ELNS1_11target_archE906ELNS1_3gpuE6ELNS1_3repE0EEENS1_59segmented_radix_sort_warp_sort_small_config_static_selectorELNS0_4arch9wavefront6targetE1EEEvSK_.uses_vcc, or(1, .L_ZN7rocprim17ROCPRIM_400000_NS6detail26segmented_warp_sort_helperINS1_20WarpSortHelperConfigILj8ELj4ELj256EEEslLi256ELb0EvE4sortIPKsPsPKlPlEEvT_T0_T1_T2_jjjjRNS5_12storage_typeE.uses_vcc)
	.set _ZN7rocprim17ROCPRIM_400000_NS6detail17trampoline_kernelINS0_14default_configENS1_36segmented_radix_sort_config_selectorIslEEZNS1_25segmented_radix_sort_implIS3_Lb0EPKsPsPKlPlN2at6native12_GLOBAL__N_18offset_tEEE10hipError_tPvRmT1_PNSt15iterator_traitsISK_E10value_typeET2_T3_PNSL_ISQ_E10value_typeET4_jRbjT5_SW_jjP12ihipStream_tbEUlT_E1_NS1_11comp_targetILNS1_3genE2ELNS1_11target_archE906ELNS1_3gpuE6ELNS1_3repE0EEENS1_59segmented_radix_sort_warp_sort_small_config_static_selectorELNS0_4arch9wavefront6targetE1EEEvSK_.uses_flat_scratch, or(0, .L_ZN7rocprim17ROCPRIM_400000_NS6detail26segmented_warp_sort_helperINS1_20WarpSortHelperConfigILj8ELj4ELj256EEEslLi256ELb0EvE4sortIPKsPsPKlPlEEvT_T0_T1_T2_jjjjRNS5_12storage_typeE.uses_flat_scratch)
	.set _ZN7rocprim17ROCPRIM_400000_NS6detail17trampoline_kernelINS0_14default_configENS1_36segmented_radix_sort_config_selectorIslEEZNS1_25segmented_radix_sort_implIS3_Lb0EPKsPsPKlPlN2at6native12_GLOBAL__N_18offset_tEEE10hipError_tPvRmT1_PNSt15iterator_traitsISK_E10value_typeET2_T3_PNSL_ISQ_E10value_typeET4_jRbjT5_SW_jjP12ihipStream_tbEUlT_E1_NS1_11comp_targetILNS1_3genE2ELNS1_11target_archE906ELNS1_3gpuE6ELNS1_3repE0EEENS1_59segmented_radix_sort_warp_sort_small_config_static_selectorELNS0_4arch9wavefront6targetE1EEEvSK_.has_dyn_sized_stack, or(0, .L_ZN7rocprim17ROCPRIM_400000_NS6detail26segmented_warp_sort_helperINS1_20WarpSortHelperConfigILj8ELj4ELj256EEEslLi256ELb0EvE4sortIPKsPsPKlPlEEvT_T0_T1_T2_jjjjRNS5_12storage_typeE.has_dyn_sized_stack)
	.set _ZN7rocprim17ROCPRIM_400000_NS6detail17trampoline_kernelINS0_14default_configENS1_36segmented_radix_sort_config_selectorIslEEZNS1_25segmented_radix_sort_implIS3_Lb0EPKsPsPKlPlN2at6native12_GLOBAL__N_18offset_tEEE10hipError_tPvRmT1_PNSt15iterator_traitsISK_E10value_typeET2_T3_PNSL_ISQ_E10value_typeET4_jRbjT5_SW_jjP12ihipStream_tbEUlT_E1_NS1_11comp_targetILNS1_3genE2ELNS1_11target_archE906ELNS1_3gpuE6ELNS1_3repE0EEENS1_59segmented_radix_sort_warp_sort_small_config_static_selectorELNS0_4arch9wavefront6targetE1EEEvSK_.has_recursion, or(0, .L_ZN7rocprim17ROCPRIM_400000_NS6detail26segmented_warp_sort_helperINS1_20WarpSortHelperConfigILj8ELj4ELj256EEEslLi256ELb0EvE4sortIPKsPsPKlPlEEvT_T0_T1_T2_jjjjRNS5_12storage_typeE.has_recursion)
	.set _ZN7rocprim17ROCPRIM_400000_NS6detail17trampoline_kernelINS0_14default_configENS1_36segmented_radix_sort_config_selectorIslEEZNS1_25segmented_radix_sort_implIS3_Lb0EPKsPsPKlPlN2at6native12_GLOBAL__N_18offset_tEEE10hipError_tPvRmT1_PNSt15iterator_traitsISK_E10value_typeET2_T3_PNSL_ISQ_E10value_typeET4_jRbjT5_SW_jjP12ihipStream_tbEUlT_E1_NS1_11comp_targetILNS1_3genE2ELNS1_11target_archE906ELNS1_3gpuE6ELNS1_3repE0EEENS1_59segmented_radix_sort_warp_sort_small_config_static_selectorELNS0_4arch9wavefront6targetE1EEEvSK_.has_indirect_call, or(0, .L_ZN7rocprim17ROCPRIM_400000_NS6detail26segmented_warp_sort_helperINS1_20WarpSortHelperConfigILj8ELj4ELj256EEEslLi256ELb0EvE4sortIPKsPsPKlPlEEvT_T0_T1_T2_jjjjRNS5_12storage_typeE.has_indirect_call)
	.section	.AMDGPU.csdata,"",@progbits
; Kernel info:
; codeLenInByte = 508
; TotalNumSgprs: 52
; NumVgprs: 56
; ScratchSize: 0
; MemoryBound: 0
; FloatMode: 240
; IeeeMode: 1
; LDSByteSize: 10240 bytes/workgroup (compile time only)
; SGPRBlocks: 12
; VGPRBlocks: 13
; NumSGPRsForWavesPerEU: 97
; NumVGPRsForWavesPerEU: 56
; Occupancy: 4
; WaveLimiterHint : 0
; COMPUTE_PGM_RSRC2:SCRATCH_EN: 0
; COMPUTE_PGM_RSRC2:USER_SGPR: 6
; COMPUTE_PGM_RSRC2:TRAP_HANDLER: 0
; COMPUTE_PGM_RSRC2:TGID_X_EN: 1
; COMPUTE_PGM_RSRC2:TGID_Y_EN: 1
; COMPUTE_PGM_RSRC2:TGID_Z_EN: 0
; COMPUTE_PGM_RSRC2:TIDIG_COMP_CNT: 2
	.section	.text._ZN7rocprim17ROCPRIM_400000_NS6detail17trampoline_kernelINS0_14default_configENS1_36segmented_radix_sort_config_selectorIslEEZNS1_25segmented_radix_sort_implIS3_Lb0EPKsPsPKlPlN2at6native12_GLOBAL__N_18offset_tEEE10hipError_tPvRmT1_PNSt15iterator_traitsISK_E10value_typeET2_T3_PNSL_ISQ_E10value_typeET4_jRbjT5_SW_jjP12ihipStream_tbEUlT_E1_NS1_11comp_targetILNS1_3genE10ELNS1_11target_archE1201ELNS1_3gpuE5ELNS1_3repE0EEENS1_59segmented_radix_sort_warp_sort_small_config_static_selectorELNS0_4arch9wavefront6targetE1EEEvSK_,"axG",@progbits,_ZN7rocprim17ROCPRIM_400000_NS6detail17trampoline_kernelINS0_14default_configENS1_36segmented_radix_sort_config_selectorIslEEZNS1_25segmented_radix_sort_implIS3_Lb0EPKsPsPKlPlN2at6native12_GLOBAL__N_18offset_tEEE10hipError_tPvRmT1_PNSt15iterator_traitsISK_E10value_typeET2_T3_PNSL_ISQ_E10value_typeET4_jRbjT5_SW_jjP12ihipStream_tbEUlT_E1_NS1_11comp_targetILNS1_3genE10ELNS1_11target_archE1201ELNS1_3gpuE5ELNS1_3repE0EEENS1_59segmented_radix_sort_warp_sort_small_config_static_selectorELNS0_4arch9wavefront6targetE1EEEvSK_,comdat
	.globl	_ZN7rocprim17ROCPRIM_400000_NS6detail17trampoline_kernelINS0_14default_configENS1_36segmented_radix_sort_config_selectorIslEEZNS1_25segmented_radix_sort_implIS3_Lb0EPKsPsPKlPlN2at6native12_GLOBAL__N_18offset_tEEE10hipError_tPvRmT1_PNSt15iterator_traitsISK_E10value_typeET2_T3_PNSL_ISQ_E10value_typeET4_jRbjT5_SW_jjP12ihipStream_tbEUlT_E1_NS1_11comp_targetILNS1_3genE10ELNS1_11target_archE1201ELNS1_3gpuE5ELNS1_3repE0EEENS1_59segmented_radix_sort_warp_sort_small_config_static_selectorELNS0_4arch9wavefront6targetE1EEEvSK_ ; -- Begin function _ZN7rocprim17ROCPRIM_400000_NS6detail17trampoline_kernelINS0_14default_configENS1_36segmented_radix_sort_config_selectorIslEEZNS1_25segmented_radix_sort_implIS3_Lb0EPKsPsPKlPlN2at6native12_GLOBAL__N_18offset_tEEE10hipError_tPvRmT1_PNSt15iterator_traitsISK_E10value_typeET2_T3_PNSL_ISQ_E10value_typeET4_jRbjT5_SW_jjP12ihipStream_tbEUlT_E1_NS1_11comp_targetILNS1_3genE10ELNS1_11target_archE1201ELNS1_3gpuE5ELNS1_3repE0EEENS1_59segmented_radix_sort_warp_sort_small_config_static_selectorELNS0_4arch9wavefront6targetE1EEEvSK_
	.p2align	8
	.type	_ZN7rocprim17ROCPRIM_400000_NS6detail17trampoline_kernelINS0_14default_configENS1_36segmented_radix_sort_config_selectorIslEEZNS1_25segmented_radix_sort_implIS3_Lb0EPKsPsPKlPlN2at6native12_GLOBAL__N_18offset_tEEE10hipError_tPvRmT1_PNSt15iterator_traitsISK_E10value_typeET2_T3_PNSL_ISQ_E10value_typeET4_jRbjT5_SW_jjP12ihipStream_tbEUlT_E1_NS1_11comp_targetILNS1_3genE10ELNS1_11target_archE1201ELNS1_3gpuE5ELNS1_3repE0EEENS1_59segmented_radix_sort_warp_sort_small_config_static_selectorELNS0_4arch9wavefront6targetE1EEEvSK_,@function
_ZN7rocprim17ROCPRIM_400000_NS6detail17trampoline_kernelINS0_14default_configENS1_36segmented_radix_sort_config_selectorIslEEZNS1_25segmented_radix_sort_implIS3_Lb0EPKsPsPKlPlN2at6native12_GLOBAL__N_18offset_tEEE10hipError_tPvRmT1_PNSt15iterator_traitsISK_E10value_typeET2_T3_PNSL_ISQ_E10value_typeET4_jRbjT5_SW_jjP12ihipStream_tbEUlT_E1_NS1_11comp_targetILNS1_3genE10ELNS1_11target_archE1201ELNS1_3gpuE5ELNS1_3repE0EEENS1_59segmented_radix_sort_warp_sort_small_config_static_selectorELNS0_4arch9wavefront6targetE1EEEvSK_: ; @_ZN7rocprim17ROCPRIM_400000_NS6detail17trampoline_kernelINS0_14default_configENS1_36segmented_radix_sort_config_selectorIslEEZNS1_25segmented_radix_sort_implIS3_Lb0EPKsPsPKlPlN2at6native12_GLOBAL__N_18offset_tEEE10hipError_tPvRmT1_PNSt15iterator_traitsISK_E10value_typeET2_T3_PNSL_ISQ_E10value_typeET4_jRbjT5_SW_jjP12ihipStream_tbEUlT_E1_NS1_11comp_targetILNS1_3genE10ELNS1_11target_archE1201ELNS1_3gpuE5ELNS1_3repE0EEENS1_59segmented_radix_sort_warp_sort_small_config_static_selectorELNS0_4arch9wavefront6targetE1EEEvSK_
; %bb.0:
	.section	.rodata,"a",@progbits
	.p2align	6, 0x0
	.amdhsa_kernel _ZN7rocprim17ROCPRIM_400000_NS6detail17trampoline_kernelINS0_14default_configENS1_36segmented_radix_sort_config_selectorIslEEZNS1_25segmented_radix_sort_implIS3_Lb0EPKsPsPKlPlN2at6native12_GLOBAL__N_18offset_tEEE10hipError_tPvRmT1_PNSt15iterator_traitsISK_E10value_typeET2_T3_PNSL_ISQ_E10value_typeET4_jRbjT5_SW_jjP12ihipStream_tbEUlT_E1_NS1_11comp_targetILNS1_3genE10ELNS1_11target_archE1201ELNS1_3gpuE5ELNS1_3repE0EEENS1_59segmented_radix_sort_warp_sort_small_config_static_selectorELNS0_4arch9wavefront6targetE1EEEvSK_
		.amdhsa_group_segment_fixed_size 0
		.amdhsa_private_segment_fixed_size 0
		.amdhsa_kernarg_size 88
		.amdhsa_user_sgpr_count 6
		.amdhsa_user_sgpr_private_segment_buffer 1
		.amdhsa_user_sgpr_dispatch_ptr 0
		.amdhsa_user_sgpr_queue_ptr 0
		.amdhsa_user_sgpr_kernarg_segment_ptr 1
		.amdhsa_user_sgpr_dispatch_id 0
		.amdhsa_user_sgpr_flat_scratch_init 0
		.amdhsa_user_sgpr_private_segment_size 0
		.amdhsa_uses_dynamic_stack 0
		.amdhsa_system_sgpr_private_segment_wavefront_offset 0
		.amdhsa_system_sgpr_workgroup_id_x 1
		.amdhsa_system_sgpr_workgroup_id_y 0
		.amdhsa_system_sgpr_workgroup_id_z 0
		.amdhsa_system_sgpr_workgroup_info 0
		.amdhsa_system_vgpr_workitem_id 0
		.amdhsa_next_free_vgpr 1
		.amdhsa_next_free_sgpr 0
		.amdhsa_reserve_vcc 0
		.amdhsa_reserve_flat_scratch 0
		.amdhsa_float_round_mode_32 0
		.amdhsa_float_round_mode_16_64 0
		.amdhsa_float_denorm_mode_32 3
		.amdhsa_float_denorm_mode_16_64 3
		.amdhsa_dx10_clamp 1
		.amdhsa_ieee_mode 1
		.amdhsa_fp16_overflow 0
		.amdhsa_exception_fp_ieee_invalid_op 0
		.amdhsa_exception_fp_denorm_src 0
		.amdhsa_exception_fp_ieee_div_zero 0
		.amdhsa_exception_fp_ieee_overflow 0
		.amdhsa_exception_fp_ieee_underflow 0
		.amdhsa_exception_fp_ieee_inexact 0
		.amdhsa_exception_int_div_zero 0
	.end_amdhsa_kernel
	.section	.text._ZN7rocprim17ROCPRIM_400000_NS6detail17trampoline_kernelINS0_14default_configENS1_36segmented_radix_sort_config_selectorIslEEZNS1_25segmented_radix_sort_implIS3_Lb0EPKsPsPKlPlN2at6native12_GLOBAL__N_18offset_tEEE10hipError_tPvRmT1_PNSt15iterator_traitsISK_E10value_typeET2_T3_PNSL_ISQ_E10value_typeET4_jRbjT5_SW_jjP12ihipStream_tbEUlT_E1_NS1_11comp_targetILNS1_3genE10ELNS1_11target_archE1201ELNS1_3gpuE5ELNS1_3repE0EEENS1_59segmented_radix_sort_warp_sort_small_config_static_selectorELNS0_4arch9wavefront6targetE1EEEvSK_,"axG",@progbits,_ZN7rocprim17ROCPRIM_400000_NS6detail17trampoline_kernelINS0_14default_configENS1_36segmented_radix_sort_config_selectorIslEEZNS1_25segmented_radix_sort_implIS3_Lb0EPKsPsPKlPlN2at6native12_GLOBAL__N_18offset_tEEE10hipError_tPvRmT1_PNSt15iterator_traitsISK_E10value_typeET2_T3_PNSL_ISQ_E10value_typeET4_jRbjT5_SW_jjP12ihipStream_tbEUlT_E1_NS1_11comp_targetILNS1_3genE10ELNS1_11target_archE1201ELNS1_3gpuE5ELNS1_3repE0EEENS1_59segmented_radix_sort_warp_sort_small_config_static_selectorELNS0_4arch9wavefront6targetE1EEEvSK_,comdat
.Lfunc_end1040:
	.size	_ZN7rocprim17ROCPRIM_400000_NS6detail17trampoline_kernelINS0_14default_configENS1_36segmented_radix_sort_config_selectorIslEEZNS1_25segmented_radix_sort_implIS3_Lb0EPKsPsPKlPlN2at6native12_GLOBAL__N_18offset_tEEE10hipError_tPvRmT1_PNSt15iterator_traitsISK_E10value_typeET2_T3_PNSL_ISQ_E10value_typeET4_jRbjT5_SW_jjP12ihipStream_tbEUlT_E1_NS1_11comp_targetILNS1_3genE10ELNS1_11target_archE1201ELNS1_3gpuE5ELNS1_3repE0EEENS1_59segmented_radix_sort_warp_sort_small_config_static_selectorELNS0_4arch9wavefront6targetE1EEEvSK_, .Lfunc_end1040-_ZN7rocprim17ROCPRIM_400000_NS6detail17trampoline_kernelINS0_14default_configENS1_36segmented_radix_sort_config_selectorIslEEZNS1_25segmented_radix_sort_implIS3_Lb0EPKsPsPKlPlN2at6native12_GLOBAL__N_18offset_tEEE10hipError_tPvRmT1_PNSt15iterator_traitsISK_E10value_typeET2_T3_PNSL_ISQ_E10value_typeET4_jRbjT5_SW_jjP12ihipStream_tbEUlT_E1_NS1_11comp_targetILNS1_3genE10ELNS1_11target_archE1201ELNS1_3gpuE5ELNS1_3repE0EEENS1_59segmented_radix_sort_warp_sort_small_config_static_selectorELNS0_4arch9wavefront6targetE1EEEvSK_
                                        ; -- End function
	.set _ZN7rocprim17ROCPRIM_400000_NS6detail17trampoline_kernelINS0_14default_configENS1_36segmented_radix_sort_config_selectorIslEEZNS1_25segmented_radix_sort_implIS3_Lb0EPKsPsPKlPlN2at6native12_GLOBAL__N_18offset_tEEE10hipError_tPvRmT1_PNSt15iterator_traitsISK_E10value_typeET2_T3_PNSL_ISQ_E10value_typeET4_jRbjT5_SW_jjP12ihipStream_tbEUlT_E1_NS1_11comp_targetILNS1_3genE10ELNS1_11target_archE1201ELNS1_3gpuE5ELNS1_3repE0EEENS1_59segmented_radix_sort_warp_sort_small_config_static_selectorELNS0_4arch9wavefront6targetE1EEEvSK_.num_vgpr, 0
	.set _ZN7rocprim17ROCPRIM_400000_NS6detail17trampoline_kernelINS0_14default_configENS1_36segmented_radix_sort_config_selectorIslEEZNS1_25segmented_radix_sort_implIS3_Lb0EPKsPsPKlPlN2at6native12_GLOBAL__N_18offset_tEEE10hipError_tPvRmT1_PNSt15iterator_traitsISK_E10value_typeET2_T3_PNSL_ISQ_E10value_typeET4_jRbjT5_SW_jjP12ihipStream_tbEUlT_E1_NS1_11comp_targetILNS1_3genE10ELNS1_11target_archE1201ELNS1_3gpuE5ELNS1_3repE0EEENS1_59segmented_radix_sort_warp_sort_small_config_static_selectorELNS0_4arch9wavefront6targetE1EEEvSK_.num_agpr, 0
	.set _ZN7rocprim17ROCPRIM_400000_NS6detail17trampoline_kernelINS0_14default_configENS1_36segmented_radix_sort_config_selectorIslEEZNS1_25segmented_radix_sort_implIS3_Lb0EPKsPsPKlPlN2at6native12_GLOBAL__N_18offset_tEEE10hipError_tPvRmT1_PNSt15iterator_traitsISK_E10value_typeET2_T3_PNSL_ISQ_E10value_typeET4_jRbjT5_SW_jjP12ihipStream_tbEUlT_E1_NS1_11comp_targetILNS1_3genE10ELNS1_11target_archE1201ELNS1_3gpuE5ELNS1_3repE0EEENS1_59segmented_radix_sort_warp_sort_small_config_static_selectorELNS0_4arch9wavefront6targetE1EEEvSK_.numbered_sgpr, 0
	.set _ZN7rocprim17ROCPRIM_400000_NS6detail17trampoline_kernelINS0_14default_configENS1_36segmented_radix_sort_config_selectorIslEEZNS1_25segmented_radix_sort_implIS3_Lb0EPKsPsPKlPlN2at6native12_GLOBAL__N_18offset_tEEE10hipError_tPvRmT1_PNSt15iterator_traitsISK_E10value_typeET2_T3_PNSL_ISQ_E10value_typeET4_jRbjT5_SW_jjP12ihipStream_tbEUlT_E1_NS1_11comp_targetILNS1_3genE10ELNS1_11target_archE1201ELNS1_3gpuE5ELNS1_3repE0EEENS1_59segmented_radix_sort_warp_sort_small_config_static_selectorELNS0_4arch9wavefront6targetE1EEEvSK_.num_named_barrier, 0
	.set _ZN7rocprim17ROCPRIM_400000_NS6detail17trampoline_kernelINS0_14default_configENS1_36segmented_radix_sort_config_selectorIslEEZNS1_25segmented_radix_sort_implIS3_Lb0EPKsPsPKlPlN2at6native12_GLOBAL__N_18offset_tEEE10hipError_tPvRmT1_PNSt15iterator_traitsISK_E10value_typeET2_T3_PNSL_ISQ_E10value_typeET4_jRbjT5_SW_jjP12ihipStream_tbEUlT_E1_NS1_11comp_targetILNS1_3genE10ELNS1_11target_archE1201ELNS1_3gpuE5ELNS1_3repE0EEENS1_59segmented_radix_sort_warp_sort_small_config_static_selectorELNS0_4arch9wavefront6targetE1EEEvSK_.private_seg_size, 0
	.set _ZN7rocprim17ROCPRIM_400000_NS6detail17trampoline_kernelINS0_14default_configENS1_36segmented_radix_sort_config_selectorIslEEZNS1_25segmented_radix_sort_implIS3_Lb0EPKsPsPKlPlN2at6native12_GLOBAL__N_18offset_tEEE10hipError_tPvRmT1_PNSt15iterator_traitsISK_E10value_typeET2_T3_PNSL_ISQ_E10value_typeET4_jRbjT5_SW_jjP12ihipStream_tbEUlT_E1_NS1_11comp_targetILNS1_3genE10ELNS1_11target_archE1201ELNS1_3gpuE5ELNS1_3repE0EEENS1_59segmented_radix_sort_warp_sort_small_config_static_selectorELNS0_4arch9wavefront6targetE1EEEvSK_.uses_vcc, 0
	.set _ZN7rocprim17ROCPRIM_400000_NS6detail17trampoline_kernelINS0_14default_configENS1_36segmented_radix_sort_config_selectorIslEEZNS1_25segmented_radix_sort_implIS3_Lb0EPKsPsPKlPlN2at6native12_GLOBAL__N_18offset_tEEE10hipError_tPvRmT1_PNSt15iterator_traitsISK_E10value_typeET2_T3_PNSL_ISQ_E10value_typeET4_jRbjT5_SW_jjP12ihipStream_tbEUlT_E1_NS1_11comp_targetILNS1_3genE10ELNS1_11target_archE1201ELNS1_3gpuE5ELNS1_3repE0EEENS1_59segmented_radix_sort_warp_sort_small_config_static_selectorELNS0_4arch9wavefront6targetE1EEEvSK_.uses_flat_scratch, 0
	.set _ZN7rocprim17ROCPRIM_400000_NS6detail17trampoline_kernelINS0_14default_configENS1_36segmented_radix_sort_config_selectorIslEEZNS1_25segmented_radix_sort_implIS3_Lb0EPKsPsPKlPlN2at6native12_GLOBAL__N_18offset_tEEE10hipError_tPvRmT1_PNSt15iterator_traitsISK_E10value_typeET2_T3_PNSL_ISQ_E10value_typeET4_jRbjT5_SW_jjP12ihipStream_tbEUlT_E1_NS1_11comp_targetILNS1_3genE10ELNS1_11target_archE1201ELNS1_3gpuE5ELNS1_3repE0EEENS1_59segmented_radix_sort_warp_sort_small_config_static_selectorELNS0_4arch9wavefront6targetE1EEEvSK_.has_dyn_sized_stack, 0
	.set _ZN7rocprim17ROCPRIM_400000_NS6detail17trampoline_kernelINS0_14default_configENS1_36segmented_radix_sort_config_selectorIslEEZNS1_25segmented_radix_sort_implIS3_Lb0EPKsPsPKlPlN2at6native12_GLOBAL__N_18offset_tEEE10hipError_tPvRmT1_PNSt15iterator_traitsISK_E10value_typeET2_T3_PNSL_ISQ_E10value_typeET4_jRbjT5_SW_jjP12ihipStream_tbEUlT_E1_NS1_11comp_targetILNS1_3genE10ELNS1_11target_archE1201ELNS1_3gpuE5ELNS1_3repE0EEENS1_59segmented_radix_sort_warp_sort_small_config_static_selectorELNS0_4arch9wavefront6targetE1EEEvSK_.has_recursion, 0
	.set _ZN7rocprim17ROCPRIM_400000_NS6detail17trampoline_kernelINS0_14default_configENS1_36segmented_radix_sort_config_selectorIslEEZNS1_25segmented_radix_sort_implIS3_Lb0EPKsPsPKlPlN2at6native12_GLOBAL__N_18offset_tEEE10hipError_tPvRmT1_PNSt15iterator_traitsISK_E10value_typeET2_T3_PNSL_ISQ_E10value_typeET4_jRbjT5_SW_jjP12ihipStream_tbEUlT_E1_NS1_11comp_targetILNS1_3genE10ELNS1_11target_archE1201ELNS1_3gpuE5ELNS1_3repE0EEENS1_59segmented_radix_sort_warp_sort_small_config_static_selectorELNS0_4arch9wavefront6targetE1EEEvSK_.has_indirect_call, 0
	.section	.AMDGPU.csdata,"",@progbits
; Kernel info:
; codeLenInByte = 0
; TotalNumSgprs: 4
; NumVgprs: 0
; ScratchSize: 0
; MemoryBound: 0
; FloatMode: 240
; IeeeMode: 1
; LDSByteSize: 0 bytes/workgroup (compile time only)
; SGPRBlocks: 0
; VGPRBlocks: 0
; NumSGPRsForWavesPerEU: 4
; NumVGPRsForWavesPerEU: 1
; Occupancy: 10
; WaveLimiterHint : 0
; COMPUTE_PGM_RSRC2:SCRATCH_EN: 0
; COMPUTE_PGM_RSRC2:USER_SGPR: 6
; COMPUTE_PGM_RSRC2:TRAP_HANDLER: 0
; COMPUTE_PGM_RSRC2:TGID_X_EN: 1
; COMPUTE_PGM_RSRC2:TGID_Y_EN: 0
; COMPUTE_PGM_RSRC2:TGID_Z_EN: 0
; COMPUTE_PGM_RSRC2:TIDIG_COMP_CNT: 0
	.section	.text._ZN7rocprim17ROCPRIM_400000_NS6detail17trampoline_kernelINS0_14default_configENS1_36segmented_radix_sort_config_selectorIslEEZNS1_25segmented_radix_sort_implIS3_Lb0EPKsPsPKlPlN2at6native12_GLOBAL__N_18offset_tEEE10hipError_tPvRmT1_PNSt15iterator_traitsISK_E10value_typeET2_T3_PNSL_ISQ_E10value_typeET4_jRbjT5_SW_jjP12ihipStream_tbEUlT_E1_NS1_11comp_targetILNS1_3genE10ELNS1_11target_archE1200ELNS1_3gpuE4ELNS1_3repE0EEENS1_59segmented_radix_sort_warp_sort_small_config_static_selectorELNS0_4arch9wavefront6targetE1EEEvSK_,"axG",@progbits,_ZN7rocprim17ROCPRIM_400000_NS6detail17trampoline_kernelINS0_14default_configENS1_36segmented_radix_sort_config_selectorIslEEZNS1_25segmented_radix_sort_implIS3_Lb0EPKsPsPKlPlN2at6native12_GLOBAL__N_18offset_tEEE10hipError_tPvRmT1_PNSt15iterator_traitsISK_E10value_typeET2_T3_PNSL_ISQ_E10value_typeET4_jRbjT5_SW_jjP12ihipStream_tbEUlT_E1_NS1_11comp_targetILNS1_3genE10ELNS1_11target_archE1200ELNS1_3gpuE4ELNS1_3repE0EEENS1_59segmented_radix_sort_warp_sort_small_config_static_selectorELNS0_4arch9wavefront6targetE1EEEvSK_,comdat
	.globl	_ZN7rocprim17ROCPRIM_400000_NS6detail17trampoline_kernelINS0_14default_configENS1_36segmented_radix_sort_config_selectorIslEEZNS1_25segmented_radix_sort_implIS3_Lb0EPKsPsPKlPlN2at6native12_GLOBAL__N_18offset_tEEE10hipError_tPvRmT1_PNSt15iterator_traitsISK_E10value_typeET2_T3_PNSL_ISQ_E10value_typeET4_jRbjT5_SW_jjP12ihipStream_tbEUlT_E1_NS1_11comp_targetILNS1_3genE10ELNS1_11target_archE1200ELNS1_3gpuE4ELNS1_3repE0EEENS1_59segmented_radix_sort_warp_sort_small_config_static_selectorELNS0_4arch9wavefront6targetE1EEEvSK_ ; -- Begin function _ZN7rocprim17ROCPRIM_400000_NS6detail17trampoline_kernelINS0_14default_configENS1_36segmented_radix_sort_config_selectorIslEEZNS1_25segmented_radix_sort_implIS3_Lb0EPKsPsPKlPlN2at6native12_GLOBAL__N_18offset_tEEE10hipError_tPvRmT1_PNSt15iterator_traitsISK_E10value_typeET2_T3_PNSL_ISQ_E10value_typeET4_jRbjT5_SW_jjP12ihipStream_tbEUlT_E1_NS1_11comp_targetILNS1_3genE10ELNS1_11target_archE1200ELNS1_3gpuE4ELNS1_3repE0EEENS1_59segmented_radix_sort_warp_sort_small_config_static_selectorELNS0_4arch9wavefront6targetE1EEEvSK_
	.p2align	8
	.type	_ZN7rocprim17ROCPRIM_400000_NS6detail17trampoline_kernelINS0_14default_configENS1_36segmented_radix_sort_config_selectorIslEEZNS1_25segmented_radix_sort_implIS3_Lb0EPKsPsPKlPlN2at6native12_GLOBAL__N_18offset_tEEE10hipError_tPvRmT1_PNSt15iterator_traitsISK_E10value_typeET2_T3_PNSL_ISQ_E10value_typeET4_jRbjT5_SW_jjP12ihipStream_tbEUlT_E1_NS1_11comp_targetILNS1_3genE10ELNS1_11target_archE1200ELNS1_3gpuE4ELNS1_3repE0EEENS1_59segmented_radix_sort_warp_sort_small_config_static_selectorELNS0_4arch9wavefront6targetE1EEEvSK_,@function
_ZN7rocprim17ROCPRIM_400000_NS6detail17trampoline_kernelINS0_14default_configENS1_36segmented_radix_sort_config_selectorIslEEZNS1_25segmented_radix_sort_implIS3_Lb0EPKsPsPKlPlN2at6native12_GLOBAL__N_18offset_tEEE10hipError_tPvRmT1_PNSt15iterator_traitsISK_E10value_typeET2_T3_PNSL_ISQ_E10value_typeET4_jRbjT5_SW_jjP12ihipStream_tbEUlT_E1_NS1_11comp_targetILNS1_3genE10ELNS1_11target_archE1200ELNS1_3gpuE4ELNS1_3repE0EEENS1_59segmented_radix_sort_warp_sort_small_config_static_selectorELNS0_4arch9wavefront6targetE1EEEvSK_: ; @_ZN7rocprim17ROCPRIM_400000_NS6detail17trampoline_kernelINS0_14default_configENS1_36segmented_radix_sort_config_selectorIslEEZNS1_25segmented_radix_sort_implIS3_Lb0EPKsPsPKlPlN2at6native12_GLOBAL__N_18offset_tEEE10hipError_tPvRmT1_PNSt15iterator_traitsISK_E10value_typeET2_T3_PNSL_ISQ_E10value_typeET4_jRbjT5_SW_jjP12ihipStream_tbEUlT_E1_NS1_11comp_targetILNS1_3genE10ELNS1_11target_archE1200ELNS1_3gpuE4ELNS1_3repE0EEENS1_59segmented_radix_sort_warp_sort_small_config_static_selectorELNS0_4arch9wavefront6targetE1EEEvSK_
; %bb.0:
	.section	.rodata,"a",@progbits
	.p2align	6, 0x0
	.amdhsa_kernel _ZN7rocprim17ROCPRIM_400000_NS6detail17trampoline_kernelINS0_14default_configENS1_36segmented_radix_sort_config_selectorIslEEZNS1_25segmented_radix_sort_implIS3_Lb0EPKsPsPKlPlN2at6native12_GLOBAL__N_18offset_tEEE10hipError_tPvRmT1_PNSt15iterator_traitsISK_E10value_typeET2_T3_PNSL_ISQ_E10value_typeET4_jRbjT5_SW_jjP12ihipStream_tbEUlT_E1_NS1_11comp_targetILNS1_3genE10ELNS1_11target_archE1200ELNS1_3gpuE4ELNS1_3repE0EEENS1_59segmented_radix_sort_warp_sort_small_config_static_selectorELNS0_4arch9wavefront6targetE1EEEvSK_
		.amdhsa_group_segment_fixed_size 0
		.amdhsa_private_segment_fixed_size 0
		.amdhsa_kernarg_size 88
		.amdhsa_user_sgpr_count 6
		.amdhsa_user_sgpr_private_segment_buffer 1
		.amdhsa_user_sgpr_dispatch_ptr 0
		.amdhsa_user_sgpr_queue_ptr 0
		.amdhsa_user_sgpr_kernarg_segment_ptr 1
		.amdhsa_user_sgpr_dispatch_id 0
		.amdhsa_user_sgpr_flat_scratch_init 0
		.amdhsa_user_sgpr_private_segment_size 0
		.amdhsa_uses_dynamic_stack 0
		.amdhsa_system_sgpr_private_segment_wavefront_offset 0
		.amdhsa_system_sgpr_workgroup_id_x 1
		.amdhsa_system_sgpr_workgroup_id_y 0
		.amdhsa_system_sgpr_workgroup_id_z 0
		.amdhsa_system_sgpr_workgroup_info 0
		.amdhsa_system_vgpr_workitem_id 0
		.amdhsa_next_free_vgpr 1
		.amdhsa_next_free_sgpr 0
		.amdhsa_reserve_vcc 0
		.amdhsa_reserve_flat_scratch 0
		.amdhsa_float_round_mode_32 0
		.amdhsa_float_round_mode_16_64 0
		.amdhsa_float_denorm_mode_32 3
		.amdhsa_float_denorm_mode_16_64 3
		.amdhsa_dx10_clamp 1
		.amdhsa_ieee_mode 1
		.amdhsa_fp16_overflow 0
		.amdhsa_exception_fp_ieee_invalid_op 0
		.amdhsa_exception_fp_denorm_src 0
		.amdhsa_exception_fp_ieee_div_zero 0
		.amdhsa_exception_fp_ieee_overflow 0
		.amdhsa_exception_fp_ieee_underflow 0
		.amdhsa_exception_fp_ieee_inexact 0
		.amdhsa_exception_int_div_zero 0
	.end_amdhsa_kernel
	.section	.text._ZN7rocprim17ROCPRIM_400000_NS6detail17trampoline_kernelINS0_14default_configENS1_36segmented_radix_sort_config_selectorIslEEZNS1_25segmented_radix_sort_implIS3_Lb0EPKsPsPKlPlN2at6native12_GLOBAL__N_18offset_tEEE10hipError_tPvRmT1_PNSt15iterator_traitsISK_E10value_typeET2_T3_PNSL_ISQ_E10value_typeET4_jRbjT5_SW_jjP12ihipStream_tbEUlT_E1_NS1_11comp_targetILNS1_3genE10ELNS1_11target_archE1200ELNS1_3gpuE4ELNS1_3repE0EEENS1_59segmented_radix_sort_warp_sort_small_config_static_selectorELNS0_4arch9wavefront6targetE1EEEvSK_,"axG",@progbits,_ZN7rocprim17ROCPRIM_400000_NS6detail17trampoline_kernelINS0_14default_configENS1_36segmented_radix_sort_config_selectorIslEEZNS1_25segmented_radix_sort_implIS3_Lb0EPKsPsPKlPlN2at6native12_GLOBAL__N_18offset_tEEE10hipError_tPvRmT1_PNSt15iterator_traitsISK_E10value_typeET2_T3_PNSL_ISQ_E10value_typeET4_jRbjT5_SW_jjP12ihipStream_tbEUlT_E1_NS1_11comp_targetILNS1_3genE10ELNS1_11target_archE1200ELNS1_3gpuE4ELNS1_3repE0EEENS1_59segmented_radix_sort_warp_sort_small_config_static_selectorELNS0_4arch9wavefront6targetE1EEEvSK_,comdat
.Lfunc_end1041:
	.size	_ZN7rocprim17ROCPRIM_400000_NS6detail17trampoline_kernelINS0_14default_configENS1_36segmented_radix_sort_config_selectorIslEEZNS1_25segmented_radix_sort_implIS3_Lb0EPKsPsPKlPlN2at6native12_GLOBAL__N_18offset_tEEE10hipError_tPvRmT1_PNSt15iterator_traitsISK_E10value_typeET2_T3_PNSL_ISQ_E10value_typeET4_jRbjT5_SW_jjP12ihipStream_tbEUlT_E1_NS1_11comp_targetILNS1_3genE10ELNS1_11target_archE1200ELNS1_3gpuE4ELNS1_3repE0EEENS1_59segmented_radix_sort_warp_sort_small_config_static_selectorELNS0_4arch9wavefront6targetE1EEEvSK_, .Lfunc_end1041-_ZN7rocprim17ROCPRIM_400000_NS6detail17trampoline_kernelINS0_14default_configENS1_36segmented_radix_sort_config_selectorIslEEZNS1_25segmented_radix_sort_implIS3_Lb0EPKsPsPKlPlN2at6native12_GLOBAL__N_18offset_tEEE10hipError_tPvRmT1_PNSt15iterator_traitsISK_E10value_typeET2_T3_PNSL_ISQ_E10value_typeET4_jRbjT5_SW_jjP12ihipStream_tbEUlT_E1_NS1_11comp_targetILNS1_3genE10ELNS1_11target_archE1200ELNS1_3gpuE4ELNS1_3repE0EEENS1_59segmented_radix_sort_warp_sort_small_config_static_selectorELNS0_4arch9wavefront6targetE1EEEvSK_
                                        ; -- End function
	.set _ZN7rocprim17ROCPRIM_400000_NS6detail17trampoline_kernelINS0_14default_configENS1_36segmented_radix_sort_config_selectorIslEEZNS1_25segmented_radix_sort_implIS3_Lb0EPKsPsPKlPlN2at6native12_GLOBAL__N_18offset_tEEE10hipError_tPvRmT1_PNSt15iterator_traitsISK_E10value_typeET2_T3_PNSL_ISQ_E10value_typeET4_jRbjT5_SW_jjP12ihipStream_tbEUlT_E1_NS1_11comp_targetILNS1_3genE10ELNS1_11target_archE1200ELNS1_3gpuE4ELNS1_3repE0EEENS1_59segmented_radix_sort_warp_sort_small_config_static_selectorELNS0_4arch9wavefront6targetE1EEEvSK_.num_vgpr, 0
	.set _ZN7rocprim17ROCPRIM_400000_NS6detail17trampoline_kernelINS0_14default_configENS1_36segmented_radix_sort_config_selectorIslEEZNS1_25segmented_radix_sort_implIS3_Lb0EPKsPsPKlPlN2at6native12_GLOBAL__N_18offset_tEEE10hipError_tPvRmT1_PNSt15iterator_traitsISK_E10value_typeET2_T3_PNSL_ISQ_E10value_typeET4_jRbjT5_SW_jjP12ihipStream_tbEUlT_E1_NS1_11comp_targetILNS1_3genE10ELNS1_11target_archE1200ELNS1_3gpuE4ELNS1_3repE0EEENS1_59segmented_radix_sort_warp_sort_small_config_static_selectorELNS0_4arch9wavefront6targetE1EEEvSK_.num_agpr, 0
	.set _ZN7rocprim17ROCPRIM_400000_NS6detail17trampoline_kernelINS0_14default_configENS1_36segmented_radix_sort_config_selectorIslEEZNS1_25segmented_radix_sort_implIS3_Lb0EPKsPsPKlPlN2at6native12_GLOBAL__N_18offset_tEEE10hipError_tPvRmT1_PNSt15iterator_traitsISK_E10value_typeET2_T3_PNSL_ISQ_E10value_typeET4_jRbjT5_SW_jjP12ihipStream_tbEUlT_E1_NS1_11comp_targetILNS1_3genE10ELNS1_11target_archE1200ELNS1_3gpuE4ELNS1_3repE0EEENS1_59segmented_radix_sort_warp_sort_small_config_static_selectorELNS0_4arch9wavefront6targetE1EEEvSK_.numbered_sgpr, 0
	.set _ZN7rocprim17ROCPRIM_400000_NS6detail17trampoline_kernelINS0_14default_configENS1_36segmented_radix_sort_config_selectorIslEEZNS1_25segmented_radix_sort_implIS3_Lb0EPKsPsPKlPlN2at6native12_GLOBAL__N_18offset_tEEE10hipError_tPvRmT1_PNSt15iterator_traitsISK_E10value_typeET2_T3_PNSL_ISQ_E10value_typeET4_jRbjT5_SW_jjP12ihipStream_tbEUlT_E1_NS1_11comp_targetILNS1_3genE10ELNS1_11target_archE1200ELNS1_3gpuE4ELNS1_3repE0EEENS1_59segmented_radix_sort_warp_sort_small_config_static_selectorELNS0_4arch9wavefront6targetE1EEEvSK_.num_named_barrier, 0
	.set _ZN7rocprim17ROCPRIM_400000_NS6detail17trampoline_kernelINS0_14default_configENS1_36segmented_radix_sort_config_selectorIslEEZNS1_25segmented_radix_sort_implIS3_Lb0EPKsPsPKlPlN2at6native12_GLOBAL__N_18offset_tEEE10hipError_tPvRmT1_PNSt15iterator_traitsISK_E10value_typeET2_T3_PNSL_ISQ_E10value_typeET4_jRbjT5_SW_jjP12ihipStream_tbEUlT_E1_NS1_11comp_targetILNS1_3genE10ELNS1_11target_archE1200ELNS1_3gpuE4ELNS1_3repE0EEENS1_59segmented_radix_sort_warp_sort_small_config_static_selectorELNS0_4arch9wavefront6targetE1EEEvSK_.private_seg_size, 0
	.set _ZN7rocprim17ROCPRIM_400000_NS6detail17trampoline_kernelINS0_14default_configENS1_36segmented_radix_sort_config_selectorIslEEZNS1_25segmented_radix_sort_implIS3_Lb0EPKsPsPKlPlN2at6native12_GLOBAL__N_18offset_tEEE10hipError_tPvRmT1_PNSt15iterator_traitsISK_E10value_typeET2_T3_PNSL_ISQ_E10value_typeET4_jRbjT5_SW_jjP12ihipStream_tbEUlT_E1_NS1_11comp_targetILNS1_3genE10ELNS1_11target_archE1200ELNS1_3gpuE4ELNS1_3repE0EEENS1_59segmented_radix_sort_warp_sort_small_config_static_selectorELNS0_4arch9wavefront6targetE1EEEvSK_.uses_vcc, 0
	.set _ZN7rocprim17ROCPRIM_400000_NS6detail17trampoline_kernelINS0_14default_configENS1_36segmented_radix_sort_config_selectorIslEEZNS1_25segmented_radix_sort_implIS3_Lb0EPKsPsPKlPlN2at6native12_GLOBAL__N_18offset_tEEE10hipError_tPvRmT1_PNSt15iterator_traitsISK_E10value_typeET2_T3_PNSL_ISQ_E10value_typeET4_jRbjT5_SW_jjP12ihipStream_tbEUlT_E1_NS1_11comp_targetILNS1_3genE10ELNS1_11target_archE1200ELNS1_3gpuE4ELNS1_3repE0EEENS1_59segmented_radix_sort_warp_sort_small_config_static_selectorELNS0_4arch9wavefront6targetE1EEEvSK_.uses_flat_scratch, 0
	.set _ZN7rocprim17ROCPRIM_400000_NS6detail17trampoline_kernelINS0_14default_configENS1_36segmented_radix_sort_config_selectorIslEEZNS1_25segmented_radix_sort_implIS3_Lb0EPKsPsPKlPlN2at6native12_GLOBAL__N_18offset_tEEE10hipError_tPvRmT1_PNSt15iterator_traitsISK_E10value_typeET2_T3_PNSL_ISQ_E10value_typeET4_jRbjT5_SW_jjP12ihipStream_tbEUlT_E1_NS1_11comp_targetILNS1_3genE10ELNS1_11target_archE1200ELNS1_3gpuE4ELNS1_3repE0EEENS1_59segmented_radix_sort_warp_sort_small_config_static_selectorELNS0_4arch9wavefront6targetE1EEEvSK_.has_dyn_sized_stack, 0
	.set _ZN7rocprim17ROCPRIM_400000_NS6detail17trampoline_kernelINS0_14default_configENS1_36segmented_radix_sort_config_selectorIslEEZNS1_25segmented_radix_sort_implIS3_Lb0EPKsPsPKlPlN2at6native12_GLOBAL__N_18offset_tEEE10hipError_tPvRmT1_PNSt15iterator_traitsISK_E10value_typeET2_T3_PNSL_ISQ_E10value_typeET4_jRbjT5_SW_jjP12ihipStream_tbEUlT_E1_NS1_11comp_targetILNS1_3genE10ELNS1_11target_archE1200ELNS1_3gpuE4ELNS1_3repE0EEENS1_59segmented_radix_sort_warp_sort_small_config_static_selectorELNS0_4arch9wavefront6targetE1EEEvSK_.has_recursion, 0
	.set _ZN7rocprim17ROCPRIM_400000_NS6detail17trampoline_kernelINS0_14default_configENS1_36segmented_radix_sort_config_selectorIslEEZNS1_25segmented_radix_sort_implIS3_Lb0EPKsPsPKlPlN2at6native12_GLOBAL__N_18offset_tEEE10hipError_tPvRmT1_PNSt15iterator_traitsISK_E10value_typeET2_T3_PNSL_ISQ_E10value_typeET4_jRbjT5_SW_jjP12ihipStream_tbEUlT_E1_NS1_11comp_targetILNS1_3genE10ELNS1_11target_archE1200ELNS1_3gpuE4ELNS1_3repE0EEENS1_59segmented_radix_sort_warp_sort_small_config_static_selectorELNS0_4arch9wavefront6targetE1EEEvSK_.has_indirect_call, 0
	.section	.AMDGPU.csdata,"",@progbits
; Kernel info:
; codeLenInByte = 0
; TotalNumSgprs: 4
; NumVgprs: 0
; ScratchSize: 0
; MemoryBound: 0
; FloatMode: 240
; IeeeMode: 1
; LDSByteSize: 0 bytes/workgroup (compile time only)
; SGPRBlocks: 0
; VGPRBlocks: 0
; NumSGPRsForWavesPerEU: 4
; NumVGPRsForWavesPerEU: 1
; Occupancy: 10
; WaveLimiterHint : 0
; COMPUTE_PGM_RSRC2:SCRATCH_EN: 0
; COMPUTE_PGM_RSRC2:USER_SGPR: 6
; COMPUTE_PGM_RSRC2:TRAP_HANDLER: 0
; COMPUTE_PGM_RSRC2:TGID_X_EN: 1
; COMPUTE_PGM_RSRC2:TGID_Y_EN: 0
; COMPUTE_PGM_RSRC2:TGID_Z_EN: 0
; COMPUTE_PGM_RSRC2:TIDIG_COMP_CNT: 0
	.section	.text._ZN7rocprim17ROCPRIM_400000_NS6detail17trampoline_kernelINS0_14default_configENS1_36segmented_radix_sort_config_selectorIslEEZNS1_25segmented_radix_sort_implIS3_Lb0EPKsPsPKlPlN2at6native12_GLOBAL__N_18offset_tEEE10hipError_tPvRmT1_PNSt15iterator_traitsISK_E10value_typeET2_T3_PNSL_ISQ_E10value_typeET4_jRbjT5_SW_jjP12ihipStream_tbEUlT_E1_NS1_11comp_targetILNS1_3genE9ELNS1_11target_archE1100ELNS1_3gpuE3ELNS1_3repE0EEENS1_59segmented_radix_sort_warp_sort_small_config_static_selectorELNS0_4arch9wavefront6targetE1EEEvSK_,"axG",@progbits,_ZN7rocprim17ROCPRIM_400000_NS6detail17trampoline_kernelINS0_14default_configENS1_36segmented_radix_sort_config_selectorIslEEZNS1_25segmented_radix_sort_implIS3_Lb0EPKsPsPKlPlN2at6native12_GLOBAL__N_18offset_tEEE10hipError_tPvRmT1_PNSt15iterator_traitsISK_E10value_typeET2_T3_PNSL_ISQ_E10value_typeET4_jRbjT5_SW_jjP12ihipStream_tbEUlT_E1_NS1_11comp_targetILNS1_3genE9ELNS1_11target_archE1100ELNS1_3gpuE3ELNS1_3repE0EEENS1_59segmented_radix_sort_warp_sort_small_config_static_selectorELNS0_4arch9wavefront6targetE1EEEvSK_,comdat
	.globl	_ZN7rocprim17ROCPRIM_400000_NS6detail17trampoline_kernelINS0_14default_configENS1_36segmented_radix_sort_config_selectorIslEEZNS1_25segmented_radix_sort_implIS3_Lb0EPKsPsPKlPlN2at6native12_GLOBAL__N_18offset_tEEE10hipError_tPvRmT1_PNSt15iterator_traitsISK_E10value_typeET2_T3_PNSL_ISQ_E10value_typeET4_jRbjT5_SW_jjP12ihipStream_tbEUlT_E1_NS1_11comp_targetILNS1_3genE9ELNS1_11target_archE1100ELNS1_3gpuE3ELNS1_3repE0EEENS1_59segmented_radix_sort_warp_sort_small_config_static_selectorELNS0_4arch9wavefront6targetE1EEEvSK_ ; -- Begin function _ZN7rocprim17ROCPRIM_400000_NS6detail17trampoline_kernelINS0_14default_configENS1_36segmented_radix_sort_config_selectorIslEEZNS1_25segmented_radix_sort_implIS3_Lb0EPKsPsPKlPlN2at6native12_GLOBAL__N_18offset_tEEE10hipError_tPvRmT1_PNSt15iterator_traitsISK_E10value_typeET2_T3_PNSL_ISQ_E10value_typeET4_jRbjT5_SW_jjP12ihipStream_tbEUlT_E1_NS1_11comp_targetILNS1_3genE9ELNS1_11target_archE1100ELNS1_3gpuE3ELNS1_3repE0EEENS1_59segmented_radix_sort_warp_sort_small_config_static_selectorELNS0_4arch9wavefront6targetE1EEEvSK_
	.p2align	8
	.type	_ZN7rocprim17ROCPRIM_400000_NS6detail17trampoline_kernelINS0_14default_configENS1_36segmented_radix_sort_config_selectorIslEEZNS1_25segmented_radix_sort_implIS3_Lb0EPKsPsPKlPlN2at6native12_GLOBAL__N_18offset_tEEE10hipError_tPvRmT1_PNSt15iterator_traitsISK_E10value_typeET2_T3_PNSL_ISQ_E10value_typeET4_jRbjT5_SW_jjP12ihipStream_tbEUlT_E1_NS1_11comp_targetILNS1_3genE9ELNS1_11target_archE1100ELNS1_3gpuE3ELNS1_3repE0EEENS1_59segmented_radix_sort_warp_sort_small_config_static_selectorELNS0_4arch9wavefront6targetE1EEEvSK_,@function
_ZN7rocprim17ROCPRIM_400000_NS6detail17trampoline_kernelINS0_14default_configENS1_36segmented_radix_sort_config_selectorIslEEZNS1_25segmented_radix_sort_implIS3_Lb0EPKsPsPKlPlN2at6native12_GLOBAL__N_18offset_tEEE10hipError_tPvRmT1_PNSt15iterator_traitsISK_E10value_typeET2_T3_PNSL_ISQ_E10value_typeET4_jRbjT5_SW_jjP12ihipStream_tbEUlT_E1_NS1_11comp_targetILNS1_3genE9ELNS1_11target_archE1100ELNS1_3gpuE3ELNS1_3repE0EEENS1_59segmented_radix_sort_warp_sort_small_config_static_selectorELNS0_4arch9wavefront6targetE1EEEvSK_: ; @_ZN7rocprim17ROCPRIM_400000_NS6detail17trampoline_kernelINS0_14default_configENS1_36segmented_radix_sort_config_selectorIslEEZNS1_25segmented_radix_sort_implIS3_Lb0EPKsPsPKlPlN2at6native12_GLOBAL__N_18offset_tEEE10hipError_tPvRmT1_PNSt15iterator_traitsISK_E10value_typeET2_T3_PNSL_ISQ_E10value_typeET4_jRbjT5_SW_jjP12ihipStream_tbEUlT_E1_NS1_11comp_targetILNS1_3genE9ELNS1_11target_archE1100ELNS1_3gpuE3ELNS1_3repE0EEENS1_59segmented_radix_sort_warp_sort_small_config_static_selectorELNS0_4arch9wavefront6targetE1EEEvSK_
; %bb.0:
	.section	.rodata,"a",@progbits
	.p2align	6, 0x0
	.amdhsa_kernel _ZN7rocprim17ROCPRIM_400000_NS6detail17trampoline_kernelINS0_14default_configENS1_36segmented_radix_sort_config_selectorIslEEZNS1_25segmented_radix_sort_implIS3_Lb0EPKsPsPKlPlN2at6native12_GLOBAL__N_18offset_tEEE10hipError_tPvRmT1_PNSt15iterator_traitsISK_E10value_typeET2_T3_PNSL_ISQ_E10value_typeET4_jRbjT5_SW_jjP12ihipStream_tbEUlT_E1_NS1_11comp_targetILNS1_3genE9ELNS1_11target_archE1100ELNS1_3gpuE3ELNS1_3repE0EEENS1_59segmented_radix_sort_warp_sort_small_config_static_selectorELNS0_4arch9wavefront6targetE1EEEvSK_
		.amdhsa_group_segment_fixed_size 0
		.amdhsa_private_segment_fixed_size 0
		.amdhsa_kernarg_size 88
		.amdhsa_user_sgpr_count 6
		.amdhsa_user_sgpr_private_segment_buffer 1
		.amdhsa_user_sgpr_dispatch_ptr 0
		.amdhsa_user_sgpr_queue_ptr 0
		.amdhsa_user_sgpr_kernarg_segment_ptr 1
		.amdhsa_user_sgpr_dispatch_id 0
		.amdhsa_user_sgpr_flat_scratch_init 0
		.amdhsa_user_sgpr_private_segment_size 0
		.amdhsa_uses_dynamic_stack 0
		.amdhsa_system_sgpr_private_segment_wavefront_offset 0
		.amdhsa_system_sgpr_workgroup_id_x 1
		.amdhsa_system_sgpr_workgroup_id_y 0
		.amdhsa_system_sgpr_workgroup_id_z 0
		.amdhsa_system_sgpr_workgroup_info 0
		.amdhsa_system_vgpr_workitem_id 0
		.amdhsa_next_free_vgpr 1
		.amdhsa_next_free_sgpr 0
		.amdhsa_reserve_vcc 0
		.amdhsa_reserve_flat_scratch 0
		.amdhsa_float_round_mode_32 0
		.amdhsa_float_round_mode_16_64 0
		.amdhsa_float_denorm_mode_32 3
		.amdhsa_float_denorm_mode_16_64 3
		.amdhsa_dx10_clamp 1
		.amdhsa_ieee_mode 1
		.amdhsa_fp16_overflow 0
		.amdhsa_exception_fp_ieee_invalid_op 0
		.amdhsa_exception_fp_denorm_src 0
		.amdhsa_exception_fp_ieee_div_zero 0
		.amdhsa_exception_fp_ieee_overflow 0
		.amdhsa_exception_fp_ieee_underflow 0
		.amdhsa_exception_fp_ieee_inexact 0
		.amdhsa_exception_int_div_zero 0
	.end_amdhsa_kernel
	.section	.text._ZN7rocprim17ROCPRIM_400000_NS6detail17trampoline_kernelINS0_14default_configENS1_36segmented_radix_sort_config_selectorIslEEZNS1_25segmented_radix_sort_implIS3_Lb0EPKsPsPKlPlN2at6native12_GLOBAL__N_18offset_tEEE10hipError_tPvRmT1_PNSt15iterator_traitsISK_E10value_typeET2_T3_PNSL_ISQ_E10value_typeET4_jRbjT5_SW_jjP12ihipStream_tbEUlT_E1_NS1_11comp_targetILNS1_3genE9ELNS1_11target_archE1100ELNS1_3gpuE3ELNS1_3repE0EEENS1_59segmented_radix_sort_warp_sort_small_config_static_selectorELNS0_4arch9wavefront6targetE1EEEvSK_,"axG",@progbits,_ZN7rocprim17ROCPRIM_400000_NS6detail17trampoline_kernelINS0_14default_configENS1_36segmented_radix_sort_config_selectorIslEEZNS1_25segmented_radix_sort_implIS3_Lb0EPKsPsPKlPlN2at6native12_GLOBAL__N_18offset_tEEE10hipError_tPvRmT1_PNSt15iterator_traitsISK_E10value_typeET2_T3_PNSL_ISQ_E10value_typeET4_jRbjT5_SW_jjP12ihipStream_tbEUlT_E1_NS1_11comp_targetILNS1_3genE9ELNS1_11target_archE1100ELNS1_3gpuE3ELNS1_3repE0EEENS1_59segmented_radix_sort_warp_sort_small_config_static_selectorELNS0_4arch9wavefront6targetE1EEEvSK_,comdat
.Lfunc_end1042:
	.size	_ZN7rocprim17ROCPRIM_400000_NS6detail17trampoline_kernelINS0_14default_configENS1_36segmented_radix_sort_config_selectorIslEEZNS1_25segmented_radix_sort_implIS3_Lb0EPKsPsPKlPlN2at6native12_GLOBAL__N_18offset_tEEE10hipError_tPvRmT1_PNSt15iterator_traitsISK_E10value_typeET2_T3_PNSL_ISQ_E10value_typeET4_jRbjT5_SW_jjP12ihipStream_tbEUlT_E1_NS1_11comp_targetILNS1_3genE9ELNS1_11target_archE1100ELNS1_3gpuE3ELNS1_3repE0EEENS1_59segmented_radix_sort_warp_sort_small_config_static_selectorELNS0_4arch9wavefront6targetE1EEEvSK_, .Lfunc_end1042-_ZN7rocprim17ROCPRIM_400000_NS6detail17trampoline_kernelINS0_14default_configENS1_36segmented_radix_sort_config_selectorIslEEZNS1_25segmented_radix_sort_implIS3_Lb0EPKsPsPKlPlN2at6native12_GLOBAL__N_18offset_tEEE10hipError_tPvRmT1_PNSt15iterator_traitsISK_E10value_typeET2_T3_PNSL_ISQ_E10value_typeET4_jRbjT5_SW_jjP12ihipStream_tbEUlT_E1_NS1_11comp_targetILNS1_3genE9ELNS1_11target_archE1100ELNS1_3gpuE3ELNS1_3repE0EEENS1_59segmented_radix_sort_warp_sort_small_config_static_selectorELNS0_4arch9wavefront6targetE1EEEvSK_
                                        ; -- End function
	.set _ZN7rocprim17ROCPRIM_400000_NS6detail17trampoline_kernelINS0_14default_configENS1_36segmented_radix_sort_config_selectorIslEEZNS1_25segmented_radix_sort_implIS3_Lb0EPKsPsPKlPlN2at6native12_GLOBAL__N_18offset_tEEE10hipError_tPvRmT1_PNSt15iterator_traitsISK_E10value_typeET2_T3_PNSL_ISQ_E10value_typeET4_jRbjT5_SW_jjP12ihipStream_tbEUlT_E1_NS1_11comp_targetILNS1_3genE9ELNS1_11target_archE1100ELNS1_3gpuE3ELNS1_3repE0EEENS1_59segmented_radix_sort_warp_sort_small_config_static_selectorELNS0_4arch9wavefront6targetE1EEEvSK_.num_vgpr, 0
	.set _ZN7rocprim17ROCPRIM_400000_NS6detail17trampoline_kernelINS0_14default_configENS1_36segmented_radix_sort_config_selectorIslEEZNS1_25segmented_radix_sort_implIS3_Lb0EPKsPsPKlPlN2at6native12_GLOBAL__N_18offset_tEEE10hipError_tPvRmT1_PNSt15iterator_traitsISK_E10value_typeET2_T3_PNSL_ISQ_E10value_typeET4_jRbjT5_SW_jjP12ihipStream_tbEUlT_E1_NS1_11comp_targetILNS1_3genE9ELNS1_11target_archE1100ELNS1_3gpuE3ELNS1_3repE0EEENS1_59segmented_radix_sort_warp_sort_small_config_static_selectorELNS0_4arch9wavefront6targetE1EEEvSK_.num_agpr, 0
	.set _ZN7rocprim17ROCPRIM_400000_NS6detail17trampoline_kernelINS0_14default_configENS1_36segmented_radix_sort_config_selectorIslEEZNS1_25segmented_radix_sort_implIS3_Lb0EPKsPsPKlPlN2at6native12_GLOBAL__N_18offset_tEEE10hipError_tPvRmT1_PNSt15iterator_traitsISK_E10value_typeET2_T3_PNSL_ISQ_E10value_typeET4_jRbjT5_SW_jjP12ihipStream_tbEUlT_E1_NS1_11comp_targetILNS1_3genE9ELNS1_11target_archE1100ELNS1_3gpuE3ELNS1_3repE0EEENS1_59segmented_radix_sort_warp_sort_small_config_static_selectorELNS0_4arch9wavefront6targetE1EEEvSK_.numbered_sgpr, 0
	.set _ZN7rocprim17ROCPRIM_400000_NS6detail17trampoline_kernelINS0_14default_configENS1_36segmented_radix_sort_config_selectorIslEEZNS1_25segmented_radix_sort_implIS3_Lb0EPKsPsPKlPlN2at6native12_GLOBAL__N_18offset_tEEE10hipError_tPvRmT1_PNSt15iterator_traitsISK_E10value_typeET2_T3_PNSL_ISQ_E10value_typeET4_jRbjT5_SW_jjP12ihipStream_tbEUlT_E1_NS1_11comp_targetILNS1_3genE9ELNS1_11target_archE1100ELNS1_3gpuE3ELNS1_3repE0EEENS1_59segmented_radix_sort_warp_sort_small_config_static_selectorELNS0_4arch9wavefront6targetE1EEEvSK_.num_named_barrier, 0
	.set _ZN7rocprim17ROCPRIM_400000_NS6detail17trampoline_kernelINS0_14default_configENS1_36segmented_radix_sort_config_selectorIslEEZNS1_25segmented_radix_sort_implIS3_Lb0EPKsPsPKlPlN2at6native12_GLOBAL__N_18offset_tEEE10hipError_tPvRmT1_PNSt15iterator_traitsISK_E10value_typeET2_T3_PNSL_ISQ_E10value_typeET4_jRbjT5_SW_jjP12ihipStream_tbEUlT_E1_NS1_11comp_targetILNS1_3genE9ELNS1_11target_archE1100ELNS1_3gpuE3ELNS1_3repE0EEENS1_59segmented_radix_sort_warp_sort_small_config_static_selectorELNS0_4arch9wavefront6targetE1EEEvSK_.private_seg_size, 0
	.set _ZN7rocprim17ROCPRIM_400000_NS6detail17trampoline_kernelINS0_14default_configENS1_36segmented_radix_sort_config_selectorIslEEZNS1_25segmented_radix_sort_implIS3_Lb0EPKsPsPKlPlN2at6native12_GLOBAL__N_18offset_tEEE10hipError_tPvRmT1_PNSt15iterator_traitsISK_E10value_typeET2_T3_PNSL_ISQ_E10value_typeET4_jRbjT5_SW_jjP12ihipStream_tbEUlT_E1_NS1_11comp_targetILNS1_3genE9ELNS1_11target_archE1100ELNS1_3gpuE3ELNS1_3repE0EEENS1_59segmented_radix_sort_warp_sort_small_config_static_selectorELNS0_4arch9wavefront6targetE1EEEvSK_.uses_vcc, 0
	.set _ZN7rocprim17ROCPRIM_400000_NS6detail17trampoline_kernelINS0_14default_configENS1_36segmented_radix_sort_config_selectorIslEEZNS1_25segmented_radix_sort_implIS3_Lb0EPKsPsPKlPlN2at6native12_GLOBAL__N_18offset_tEEE10hipError_tPvRmT1_PNSt15iterator_traitsISK_E10value_typeET2_T3_PNSL_ISQ_E10value_typeET4_jRbjT5_SW_jjP12ihipStream_tbEUlT_E1_NS1_11comp_targetILNS1_3genE9ELNS1_11target_archE1100ELNS1_3gpuE3ELNS1_3repE0EEENS1_59segmented_radix_sort_warp_sort_small_config_static_selectorELNS0_4arch9wavefront6targetE1EEEvSK_.uses_flat_scratch, 0
	.set _ZN7rocprim17ROCPRIM_400000_NS6detail17trampoline_kernelINS0_14default_configENS1_36segmented_radix_sort_config_selectorIslEEZNS1_25segmented_radix_sort_implIS3_Lb0EPKsPsPKlPlN2at6native12_GLOBAL__N_18offset_tEEE10hipError_tPvRmT1_PNSt15iterator_traitsISK_E10value_typeET2_T3_PNSL_ISQ_E10value_typeET4_jRbjT5_SW_jjP12ihipStream_tbEUlT_E1_NS1_11comp_targetILNS1_3genE9ELNS1_11target_archE1100ELNS1_3gpuE3ELNS1_3repE0EEENS1_59segmented_radix_sort_warp_sort_small_config_static_selectorELNS0_4arch9wavefront6targetE1EEEvSK_.has_dyn_sized_stack, 0
	.set _ZN7rocprim17ROCPRIM_400000_NS6detail17trampoline_kernelINS0_14default_configENS1_36segmented_radix_sort_config_selectorIslEEZNS1_25segmented_radix_sort_implIS3_Lb0EPKsPsPKlPlN2at6native12_GLOBAL__N_18offset_tEEE10hipError_tPvRmT1_PNSt15iterator_traitsISK_E10value_typeET2_T3_PNSL_ISQ_E10value_typeET4_jRbjT5_SW_jjP12ihipStream_tbEUlT_E1_NS1_11comp_targetILNS1_3genE9ELNS1_11target_archE1100ELNS1_3gpuE3ELNS1_3repE0EEENS1_59segmented_radix_sort_warp_sort_small_config_static_selectorELNS0_4arch9wavefront6targetE1EEEvSK_.has_recursion, 0
	.set _ZN7rocprim17ROCPRIM_400000_NS6detail17trampoline_kernelINS0_14default_configENS1_36segmented_radix_sort_config_selectorIslEEZNS1_25segmented_radix_sort_implIS3_Lb0EPKsPsPKlPlN2at6native12_GLOBAL__N_18offset_tEEE10hipError_tPvRmT1_PNSt15iterator_traitsISK_E10value_typeET2_T3_PNSL_ISQ_E10value_typeET4_jRbjT5_SW_jjP12ihipStream_tbEUlT_E1_NS1_11comp_targetILNS1_3genE9ELNS1_11target_archE1100ELNS1_3gpuE3ELNS1_3repE0EEENS1_59segmented_radix_sort_warp_sort_small_config_static_selectorELNS0_4arch9wavefront6targetE1EEEvSK_.has_indirect_call, 0
	.section	.AMDGPU.csdata,"",@progbits
; Kernel info:
; codeLenInByte = 0
; TotalNumSgprs: 4
; NumVgprs: 0
; ScratchSize: 0
; MemoryBound: 0
; FloatMode: 240
; IeeeMode: 1
; LDSByteSize: 0 bytes/workgroup (compile time only)
; SGPRBlocks: 0
; VGPRBlocks: 0
; NumSGPRsForWavesPerEU: 4
; NumVGPRsForWavesPerEU: 1
; Occupancy: 10
; WaveLimiterHint : 0
; COMPUTE_PGM_RSRC2:SCRATCH_EN: 0
; COMPUTE_PGM_RSRC2:USER_SGPR: 6
; COMPUTE_PGM_RSRC2:TRAP_HANDLER: 0
; COMPUTE_PGM_RSRC2:TGID_X_EN: 1
; COMPUTE_PGM_RSRC2:TGID_Y_EN: 0
; COMPUTE_PGM_RSRC2:TGID_Z_EN: 0
; COMPUTE_PGM_RSRC2:TIDIG_COMP_CNT: 0
	.section	.text._ZN7rocprim17ROCPRIM_400000_NS6detail17trampoline_kernelINS0_14default_configENS1_36segmented_radix_sort_config_selectorIslEEZNS1_25segmented_radix_sort_implIS3_Lb0EPKsPsPKlPlN2at6native12_GLOBAL__N_18offset_tEEE10hipError_tPvRmT1_PNSt15iterator_traitsISK_E10value_typeET2_T3_PNSL_ISQ_E10value_typeET4_jRbjT5_SW_jjP12ihipStream_tbEUlT_E1_NS1_11comp_targetILNS1_3genE8ELNS1_11target_archE1030ELNS1_3gpuE2ELNS1_3repE0EEENS1_59segmented_radix_sort_warp_sort_small_config_static_selectorELNS0_4arch9wavefront6targetE1EEEvSK_,"axG",@progbits,_ZN7rocprim17ROCPRIM_400000_NS6detail17trampoline_kernelINS0_14default_configENS1_36segmented_radix_sort_config_selectorIslEEZNS1_25segmented_radix_sort_implIS3_Lb0EPKsPsPKlPlN2at6native12_GLOBAL__N_18offset_tEEE10hipError_tPvRmT1_PNSt15iterator_traitsISK_E10value_typeET2_T3_PNSL_ISQ_E10value_typeET4_jRbjT5_SW_jjP12ihipStream_tbEUlT_E1_NS1_11comp_targetILNS1_3genE8ELNS1_11target_archE1030ELNS1_3gpuE2ELNS1_3repE0EEENS1_59segmented_radix_sort_warp_sort_small_config_static_selectorELNS0_4arch9wavefront6targetE1EEEvSK_,comdat
	.globl	_ZN7rocprim17ROCPRIM_400000_NS6detail17trampoline_kernelINS0_14default_configENS1_36segmented_radix_sort_config_selectorIslEEZNS1_25segmented_radix_sort_implIS3_Lb0EPKsPsPKlPlN2at6native12_GLOBAL__N_18offset_tEEE10hipError_tPvRmT1_PNSt15iterator_traitsISK_E10value_typeET2_T3_PNSL_ISQ_E10value_typeET4_jRbjT5_SW_jjP12ihipStream_tbEUlT_E1_NS1_11comp_targetILNS1_3genE8ELNS1_11target_archE1030ELNS1_3gpuE2ELNS1_3repE0EEENS1_59segmented_radix_sort_warp_sort_small_config_static_selectorELNS0_4arch9wavefront6targetE1EEEvSK_ ; -- Begin function _ZN7rocprim17ROCPRIM_400000_NS6detail17trampoline_kernelINS0_14default_configENS1_36segmented_radix_sort_config_selectorIslEEZNS1_25segmented_radix_sort_implIS3_Lb0EPKsPsPKlPlN2at6native12_GLOBAL__N_18offset_tEEE10hipError_tPvRmT1_PNSt15iterator_traitsISK_E10value_typeET2_T3_PNSL_ISQ_E10value_typeET4_jRbjT5_SW_jjP12ihipStream_tbEUlT_E1_NS1_11comp_targetILNS1_3genE8ELNS1_11target_archE1030ELNS1_3gpuE2ELNS1_3repE0EEENS1_59segmented_radix_sort_warp_sort_small_config_static_selectorELNS0_4arch9wavefront6targetE1EEEvSK_
	.p2align	8
	.type	_ZN7rocprim17ROCPRIM_400000_NS6detail17trampoline_kernelINS0_14default_configENS1_36segmented_radix_sort_config_selectorIslEEZNS1_25segmented_radix_sort_implIS3_Lb0EPKsPsPKlPlN2at6native12_GLOBAL__N_18offset_tEEE10hipError_tPvRmT1_PNSt15iterator_traitsISK_E10value_typeET2_T3_PNSL_ISQ_E10value_typeET4_jRbjT5_SW_jjP12ihipStream_tbEUlT_E1_NS1_11comp_targetILNS1_3genE8ELNS1_11target_archE1030ELNS1_3gpuE2ELNS1_3repE0EEENS1_59segmented_radix_sort_warp_sort_small_config_static_selectorELNS0_4arch9wavefront6targetE1EEEvSK_,@function
_ZN7rocprim17ROCPRIM_400000_NS6detail17trampoline_kernelINS0_14default_configENS1_36segmented_radix_sort_config_selectorIslEEZNS1_25segmented_radix_sort_implIS3_Lb0EPKsPsPKlPlN2at6native12_GLOBAL__N_18offset_tEEE10hipError_tPvRmT1_PNSt15iterator_traitsISK_E10value_typeET2_T3_PNSL_ISQ_E10value_typeET4_jRbjT5_SW_jjP12ihipStream_tbEUlT_E1_NS1_11comp_targetILNS1_3genE8ELNS1_11target_archE1030ELNS1_3gpuE2ELNS1_3repE0EEENS1_59segmented_radix_sort_warp_sort_small_config_static_selectorELNS0_4arch9wavefront6targetE1EEEvSK_: ; @_ZN7rocprim17ROCPRIM_400000_NS6detail17trampoline_kernelINS0_14default_configENS1_36segmented_radix_sort_config_selectorIslEEZNS1_25segmented_radix_sort_implIS3_Lb0EPKsPsPKlPlN2at6native12_GLOBAL__N_18offset_tEEE10hipError_tPvRmT1_PNSt15iterator_traitsISK_E10value_typeET2_T3_PNSL_ISQ_E10value_typeET4_jRbjT5_SW_jjP12ihipStream_tbEUlT_E1_NS1_11comp_targetILNS1_3genE8ELNS1_11target_archE1030ELNS1_3gpuE2ELNS1_3repE0EEENS1_59segmented_radix_sort_warp_sort_small_config_static_selectorELNS0_4arch9wavefront6targetE1EEEvSK_
; %bb.0:
	.section	.rodata,"a",@progbits
	.p2align	6, 0x0
	.amdhsa_kernel _ZN7rocprim17ROCPRIM_400000_NS6detail17trampoline_kernelINS0_14default_configENS1_36segmented_radix_sort_config_selectorIslEEZNS1_25segmented_radix_sort_implIS3_Lb0EPKsPsPKlPlN2at6native12_GLOBAL__N_18offset_tEEE10hipError_tPvRmT1_PNSt15iterator_traitsISK_E10value_typeET2_T3_PNSL_ISQ_E10value_typeET4_jRbjT5_SW_jjP12ihipStream_tbEUlT_E1_NS1_11comp_targetILNS1_3genE8ELNS1_11target_archE1030ELNS1_3gpuE2ELNS1_3repE0EEENS1_59segmented_radix_sort_warp_sort_small_config_static_selectorELNS0_4arch9wavefront6targetE1EEEvSK_
		.amdhsa_group_segment_fixed_size 0
		.amdhsa_private_segment_fixed_size 0
		.amdhsa_kernarg_size 88
		.amdhsa_user_sgpr_count 6
		.amdhsa_user_sgpr_private_segment_buffer 1
		.amdhsa_user_sgpr_dispatch_ptr 0
		.amdhsa_user_sgpr_queue_ptr 0
		.amdhsa_user_sgpr_kernarg_segment_ptr 1
		.amdhsa_user_sgpr_dispatch_id 0
		.amdhsa_user_sgpr_flat_scratch_init 0
		.amdhsa_user_sgpr_private_segment_size 0
		.amdhsa_uses_dynamic_stack 0
		.amdhsa_system_sgpr_private_segment_wavefront_offset 0
		.amdhsa_system_sgpr_workgroup_id_x 1
		.amdhsa_system_sgpr_workgroup_id_y 0
		.amdhsa_system_sgpr_workgroup_id_z 0
		.amdhsa_system_sgpr_workgroup_info 0
		.amdhsa_system_vgpr_workitem_id 0
		.amdhsa_next_free_vgpr 1
		.amdhsa_next_free_sgpr 0
		.amdhsa_reserve_vcc 0
		.amdhsa_reserve_flat_scratch 0
		.amdhsa_float_round_mode_32 0
		.amdhsa_float_round_mode_16_64 0
		.amdhsa_float_denorm_mode_32 3
		.amdhsa_float_denorm_mode_16_64 3
		.amdhsa_dx10_clamp 1
		.amdhsa_ieee_mode 1
		.amdhsa_fp16_overflow 0
		.amdhsa_exception_fp_ieee_invalid_op 0
		.amdhsa_exception_fp_denorm_src 0
		.amdhsa_exception_fp_ieee_div_zero 0
		.amdhsa_exception_fp_ieee_overflow 0
		.amdhsa_exception_fp_ieee_underflow 0
		.amdhsa_exception_fp_ieee_inexact 0
		.amdhsa_exception_int_div_zero 0
	.end_amdhsa_kernel
	.section	.text._ZN7rocprim17ROCPRIM_400000_NS6detail17trampoline_kernelINS0_14default_configENS1_36segmented_radix_sort_config_selectorIslEEZNS1_25segmented_radix_sort_implIS3_Lb0EPKsPsPKlPlN2at6native12_GLOBAL__N_18offset_tEEE10hipError_tPvRmT1_PNSt15iterator_traitsISK_E10value_typeET2_T3_PNSL_ISQ_E10value_typeET4_jRbjT5_SW_jjP12ihipStream_tbEUlT_E1_NS1_11comp_targetILNS1_3genE8ELNS1_11target_archE1030ELNS1_3gpuE2ELNS1_3repE0EEENS1_59segmented_radix_sort_warp_sort_small_config_static_selectorELNS0_4arch9wavefront6targetE1EEEvSK_,"axG",@progbits,_ZN7rocprim17ROCPRIM_400000_NS6detail17trampoline_kernelINS0_14default_configENS1_36segmented_radix_sort_config_selectorIslEEZNS1_25segmented_radix_sort_implIS3_Lb0EPKsPsPKlPlN2at6native12_GLOBAL__N_18offset_tEEE10hipError_tPvRmT1_PNSt15iterator_traitsISK_E10value_typeET2_T3_PNSL_ISQ_E10value_typeET4_jRbjT5_SW_jjP12ihipStream_tbEUlT_E1_NS1_11comp_targetILNS1_3genE8ELNS1_11target_archE1030ELNS1_3gpuE2ELNS1_3repE0EEENS1_59segmented_radix_sort_warp_sort_small_config_static_selectorELNS0_4arch9wavefront6targetE1EEEvSK_,comdat
.Lfunc_end1043:
	.size	_ZN7rocprim17ROCPRIM_400000_NS6detail17trampoline_kernelINS0_14default_configENS1_36segmented_radix_sort_config_selectorIslEEZNS1_25segmented_radix_sort_implIS3_Lb0EPKsPsPKlPlN2at6native12_GLOBAL__N_18offset_tEEE10hipError_tPvRmT1_PNSt15iterator_traitsISK_E10value_typeET2_T3_PNSL_ISQ_E10value_typeET4_jRbjT5_SW_jjP12ihipStream_tbEUlT_E1_NS1_11comp_targetILNS1_3genE8ELNS1_11target_archE1030ELNS1_3gpuE2ELNS1_3repE0EEENS1_59segmented_radix_sort_warp_sort_small_config_static_selectorELNS0_4arch9wavefront6targetE1EEEvSK_, .Lfunc_end1043-_ZN7rocprim17ROCPRIM_400000_NS6detail17trampoline_kernelINS0_14default_configENS1_36segmented_radix_sort_config_selectorIslEEZNS1_25segmented_radix_sort_implIS3_Lb0EPKsPsPKlPlN2at6native12_GLOBAL__N_18offset_tEEE10hipError_tPvRmT1_PNSt15iterator_traitsISK_E10value_typeET2_T3_PNSL_ISQ_E10value_typeET4_jRbjT5_SW_jjP12ihipStream_tbEUlT_E1_NS1_11comp_targetILNS1_3genE8ELNS1_11target_archE1030ELNS1_3gpuE2ELNS1_3repE0EEENS1_59segmented_radix_sort_warp_sort_small_config_static_selectorELNS0_4arch9wavefront6targetE1EEEvSK_
                                        ; -- End function
	.set _ZN7rocprim17ROCPRIM_400000_NS6detail17trampoline_kernelINS0_14default_configENS1_36segmented_radix_sort_config_selectorIslEEZNS1_25segmented_radix_sort_implIS3_Lb0EPKsPsPKlPlN2at6native12_GLOBAL__N_18offset_tEEE10hipError_tPvRmT1_PNSt15iterator_traitsISK_E10value_typeET2_T3_PNSL_ISQ_E10value_typeET4_jRbjT5_SW_jjP12ihipStream_tbEUlT_E1_NS1_11comp_targetILNS1_3genE8ELNS1_11target_archE1030ELNS1_3gpuE2ELNS1_3repE0EEENS1_59segmented_radix_sort_warp_sort_small_config_static_selectorELNS0_4arch9wavefront6targetE1EEEvSK_.num_vgpr, 0
	.set _ZN7rocprim17ROCPRIM_400000_NS6detail17trampoline_kernelINS0_14default_configENS1_36segmented_radix_sort_config_selectorIslEEZNS1_25segmented_radix_sort_implIS3_Lb0EPKsPsPKlPlN2at6native12_GLOBAL__N_18offset_tEEE10hipError_tPvRmT1_PNSt15iterator_traitsISK_E10value_typeET2_T3_PNSL_ISQ_E10value_typeET4_jRbjT5_SW_jjP12ihipStream_tbEUlT_E1_NS1_11comp_targetILNS1_3genE8ELNS1_11target_archE1030ELNS1_3gpuE2ELNS1_3repE0EEENS1_59segmented_radix_sort_warp_sort_small_config_static_selectorELNS0_4arch9wavefront6targetE1EEEvSK_.num_agpr, 0
	.set _ZN7rocprim17ROCPRIM_400000_NS6detail17trampoline_kernelINS0_14default_configENS1_36segmented_radix_sort_config_selectorIslEEZNS1_25segmented_radix_sort_implIS3_Lb0EPKsPsPKlPlN2at6native12_GLOBAL__N_18offset_tEEE10hipError_tPvRmT1_PNSt15iterator_traitsISK_E10value_typeET2_T3_PNSL_ISQ_E10value_typeET4_jRbjT5_SW_jjP12ihipStream_tbEUlT_E1_NS1_11comp_targetILNS1_3genE8ELNS1_11target_archE1030ELNS1_3gpuE2ELNS1_3repE0EEENS1_59segmented_radix_sort_warp_sort_small_config_static_selectorELNS0_4arch9wavefront6targetE1EEEvSK_.numbered_sgpr, 0
	.set _ZN7rocprim17ROCPRIM_400000_NS6detail17trampoline_kernelINS0_14default_configENS1_36segmented_radix_sort_config_selectorIslEEZNS1_25segmented_radix_sort_implIS3_Lb0EPKsPsPKlPlN2at6native12_GLOBAL__N_18offset_tEEE10hipError_tPvRmT1_PNSt15iterator_traitsISK_E10value_typeET2_T3_PNSL_ISQ_E10value_typeET4_jRbjT5_SW_jjP12ihipStream_tbEUlT_E1_NS1_11comp_targetILNS1_3genE8ELNS1_11target_archE1030ELNS1_3gpuE2ELNS1_3repE0EEENS1_59segmented_radix_sort_warp_sort_small_config_static_selectorELNS0_4arch9wavefront6targetE1EEEvSK_.num_named_barrier, 0
	.set _ZN7rocprim17ROCPRIM_400000_NS6detail17trampoline_kernelINS0_14default_configENS1_36segmented_radix_sort_config_selectorIslEEZNS1_25segmented_radix_sort_implIS3_Lb0EPKsPsPKlPlN2at6native12_GLOBAL__N_18offset_tEEE10hipError_tPvRmT1_PNSt15iterator_traitsISK_E10value_typeET2_T3_PNSL_ISQ_E10value_typeET4_jRbjT5_SW_jjP12ihipStream_tbEUlT_E1_NS1_11comp_targetILNS1_3genE8ELNS1_11target_archE1030ELNS1_3gpuE2ELNS1_3repE0EEENS1_59segmented_radix_sort_warp_sort_small_config_static_selectorELNS0_4arch9wavefront6targetE1EEEvSK_.private_seg_size, 0
	.set _ZN7rocprim17ROCPRIM_400000_NS6detail17trampoline_kernelINS0_14default_configENS1_36segmented_radix_sort_config_selectorIslEEZNS1_25segmented_radix_sort_implIS3_Lb0EPKsPsPKlPlN2at6native12_GLOBAL__N_18offset_tEEE10hipError_tPvRmT1_PNSt15iterator_traitsISK_E10value_typeET2_T3_PNSL_ISQ_E10value_typeET4_jRbjT5_SW_jjP12ihipStream_tbEUlT_E1_NS1_11comp_targetILNS1_3genE8ELNS1_11target_archE1030ELNS1_3gpuE2ELNS1_3repE0EEENS1_59segmented_radix_sort_warp_sort_small_config_static_selectorELNS0_4arch9wavefront6targetE1EEEvSK_.uses_vcc, 0
	.set _ZN7rocprim17ROCPRIM_400000_NS6detail17trampoline_kernelINS0_14default_configENS1_36segmented_radix_sort_config_selectorIslEEZNS1_25segmented_radix_sort_implIS3_Lb0EPKsPsPKlPlN2at6native12_GLOBAL__N_18offset_tEEE10hipError_tPvRmT1_PNSt15iterator_traitsISK_E10value_typeET2_T3_PNSL_ISQ_E10value_typeET4_jRbjT5_SW_jjP12ihipStream_tbEUlT_E1_NS1_11comp_targetILNS1_3genE8ELNS1_11target_archE1030ELNS1_3gpuE2ELNS1_3repE0EEENS1_59segmented_radix_sort_warp_sort_small_config_static_selectorELNS0_4arch9wavefront6targetE1EEEvSK_.uses_flat_scratch, 0
	.set _ZN7rocprim17ROCPRIM_400000_NS6detail17trampoline_kernelINS0_14default_configENS1_36segmented_radix_sort_config_selectorIslEEZNS1_25segmented_radix_sort_implIS3_Lb0EPKsPsPKlPlN2at6native12_GLOBAL__N_18offset_tEEE10hipError_tPvRmT1_PNSt15iterator_traitsISK_E10value_typeET2_T3_PNSL_ISQ_E10value_typeET4_jRbjT5_SW_jjP12ihipStream_tbEUlT_E1_NS1_11comp_targetILNS1_3genE8ELNS1_11target_archE1030ELNS1_3gpuE2ELNS1_3repE0EEENS1_59segmented_radix_sort_warp_sort_small_config_static_selectorELNS0_4arch9wavefront6targetE1EEEvSK_.has_dyn_sized_stack, 0
	.set _ZN7rocprim17ROCPRIM_400000_NS6detail17trampoline_kernelINS0_14default_configENS1_36segmented_radix_sort_config_selectorIslEEZNS1_25segmented_radix_sort_implIS3_Lb0EPKsPsPKlPlN2at6native12_GLOBAL__N_18offset_tEEE10hipError_tPvRmT1_PNSt15iterator_traitsISK_E10value_typeET2_T3_PNSL_ISQ_E10value_typeET4_jRbjT5_SW_jjP12ihipStream_tbEUlT_E1_NS1_11comp_targetILNS1_3genE8ELNS1_11target_archE1030ELNS1_3gpuE2ELNS1_3repE0EEENS1_59segmented_radix_sort_warp_sort_small_config_static_selectorELNS0_4arch9wavefront6targetE1EEEvSK_.has_recursion, 0
	.set _ZN7rocprim17ROCPRIM_400000_NS6detail17trampoline_kernelINS0_14default_configENS1_36segmented_radix_sort_config_selectorIslEEZNS1_25segmented_radix_sort_implIS3_Lb0EPKsPsPKlPlN2at6native12_GLOBAL__N_18offset_tEEE10hipError_tPvRmT1_PNSt15iterator_traitsISK_E10value_typeET2_T3_PNSL_ISQ_E10value_typeET4_jRbjT5_SW_jjP12ihipStream_tbEUlT_E1_NS1_11comp_targetILNS1_3genE8ELNS1_11target_archE1030ELNS1_3gpuE2ELNS1_3repE0EEENS1_59segmented_radix_sort_warp_sort_small_config_static_selectorELNS0_4arch9wavefront6targetE1EEEvSK_.has_indirect_call, 0
	.section	.AMDGPU.csdata,"",@progbits
; Kernel info:
; codeLenInByte = 0
; TotalNumSgprs: 4
; NumVgprs: 0
; ScratchSize: 0
; MemoryBound: 0
; FloatMode: 240
; IeeeMode: 1
; LDSByteSize: 0 bytes/workgroup (compile time only)
; SGPRBlocks: 0
; VGPRBlocks: 0
; NumSGPRsForWavesPerEU: 4
; NumVGPRsForWavesPerEU: 1
; Occupancy: 10
; WaveLimiterHint : 0
; COMPUTE_PGM_RSRC2:SCRATCH_EN: 0
; COMPUTE_PGM_RSRC2:USER_SGPR: 6
; COMPUTE_PGM_RSRC2:TRAP_HANDLER: 0
; COMPUTE_PGM_RSRC2:TGID_X_EN: 1
; COMPUTE_PGM_RSRC2:TGID_Y_EN: 0
; COMPUTE_PGM_RSRC2:TGID_Z_EN: 0
; COMPUTE_PGM_RSRC2:TIDIG_COMP_CNT: 0
	.section	.text._ZN7rocprim17ROCPRIM_400000_NS6detail17trampoline_kernelINS0_14default_configENS1_36segmented_radix_sort_config_selectorIslEEZNS1_25segmented_radix_sort_implIS3_Lb0EPKsPsPKlPlN2at6native12_GLOBAL__N_18offset_tEEE10hipError_tPvRmT1_PNSt15iterator_traitsISK_E10value_typeET2_T3_PNSL_ISQ_E10value_typeET4_jRbjT5_SW_jjP12ihipStream_tbEUlT_E2_NS1_11comp_targetILNS1_3genE0ELNS1_11target_archE4294967295ELNS1_3gpuE0ELNS1_3repE0EEENS1_30default_config_static_selectorELNS0_4arch9wavefront6targetE1EEEvSK_,"axG",@progbits,_ZN7rocprim17ROCPRIM_400000_NS6detail17trampoline_kernelINS0_14default_configENS1_36segmented_radix_sort_config_selectorIslEEZNS1_25segmented_radix_sort_implIS3_Lb0EPKsPsPKlPlN2at6native12_GLOBAL__N_18offset_tEEE10hipError_tPvRmT1_PNSt15iterator_traitsISK_E10value_typeET2_T3_PNSL_ISQ_E10value_typeET4_jRbjT5_SW_jjP12ihipStream_tbEUlT_E2_NS1_11comp_targetILNS1_3genE0ELNS1_11target_archE4294967295ELNS1_3gpuE0ELNS1_3repE0EEENS1_30default_config_static_selectorELNS0_4arch9wavefront6targetE1EEEvSK_,comdat
	.globl	_ZN7rocprim17ROCPRIM_400000_NS6detail17trampoline_kernelINS0_14default_configENS1_36segmented_radix_sort_config_selectorIslEEZNS1_25segmented_radix_sort_implIS3_Lb0EPKsPsPKlPlN2at6native12_GLOBAL__N_18offset_tEEE10hipError_tPvRmT1_PNSt15iterator_traitsISK_E10value_typeET2_T3_PNSL_ISQ_E10value_typeET4_jRbjT5_SW_jjP12ihipStream_tbEUlT_E2_NS1_11comp_targetILNS1_3genE0ELNS1_11target_archE4294967295ELNS1_3gpuE0ELNS1_3repE0EEENS1_30default_config_static_selectorELNS0_4arch9wavefront6targetE1EEEvSK_ ; -- Begin function _ZN7rocprim17ROCPRIM_400000_NS6detail17trampoline_kernelINS0_14default_configENS1_36segmented_radix_sort_config_selectorIslEEZNS1_25segmented_radix_sort_implIS3_Lb0EPKsPsPKlPlN2at6native12_GLOBAL__N_18offset_tEEE10hipError_tPvRmT1_PNSt15iterator_traitsISK_E10value_typeET2_T3_PNSL_ISQ_E10value_typeET4_jRbjT5_SW_jjP12ihipStream_tbEUlT_E2_NS1_11comp_targetILNS1_3genE0ELNS1_11target_archE4294967295ELNS1_3gpuE0ELNS1_3repE0EEENS1_30default_config_static_selectorELNS0_4arch9wavefront6targetE1EEEvSK_
	.p2align	8
	.type	_ZN7rocprim17ROCPRIM_400000_NS6detail17trampoline_kernelINS0_14default_configENS1_36segmented_radix_sort_config_selectorIslEEZNS1_25segmented_radix_sort_implIS3_Lb0EPKsPsPKlPlN2at6native12_GLOBAL__N_18offset_tEEE10hipError_tPvRmT1_PNSt15iterator_traitsISK_E10value_typeET2_T3_PNSL_ISQ_E10value_typeET4_jRbjT5_SW_jjP12ihipStream_tbEUlT_E2_NS1_11comp_targetILNS1_3genE0ELNS1_11target_archE4294967295ELNS1_3gpuE0ELNS1_3repE0EEENS1_30default_config_static_selectorELNS0_4arch9wavefront6targetE1EEEvSK_,@function
_ZN7rocprim17ROCPRIM_400000_NS6detail17trampoline_kernelINS0_14default_configENS1_36segmented_radix_sort_config_selectorIslEEZNS1_25segmented_radix_sort_implIS3_Lb0EPKsPsPKlPlN2at6native12_GLOBAL__N_18offset_tEEE10hipError_tPvRmT1_PNSt15iterator_traitsISK_E10value_typeET2_T3_PNSL_ISQ_E10value_typeET4_jRbjT5_SW_jjP12ihipStream_tbEUlT_E2_NS1_11comp_targetILNS1_3genE0ELNS1_11target_archE4294967295ELNS1_3gpuE0ELNS1_3repE0EEENS1_30default_config_static_selectorELNS0_4arch9wavefront6targetE1EEEvSK_: ; @_ZN7rocprim17ROCPRIM_400000_NS6detail17trampoline_kernelINS0_14default_configENS1_36segmented_radix_sort_config_selectorIslEEZNS1_25segmented_radix_sort_implIS3_Lb0EPKsPsPKlPlN2at6native12_GLOBAL__N_18offset_tEEE10hipError_tPvRmT1_PNSt15iterator_traitsISK_E10value_typeET2_T3_PNSL_ISQ_E10value_typeET4_jRbjT5_SW_jjP12ihipStream_tbEUlT_E2_NS1_11comp_targetILNS1_3genE0ELNS1_11target_archE4294967295ELNS1_3gpuE0ELNS1_3repE0EEENS1_30default_config_static_selectorELNS0_4arch9wavefront6targetE1EEEvSK_
; %bb.0:
	.section	.rodata,"a",@progbits
	.p2align	6, 0x0
	.amdhsa_kernel _ZN7rocprim17ROCPRIM_400000_NS6detail17trampoline_kernelINS0_14default_configENS1_36segmented_radix_sort_config_selectorIslEEZNS1_25segmented_radix_sort_implIS3_Lb0EPKsPsPKlPlN2at6native12_GLOBAL__N_18offset_tEEE10hipError_tPvRmT1_PNSt15iterator_traitsISK_E10value_typeET2_T3_PNSL_ISQ_E10value_typeET4_jRbjT5_SW_jjP12ihipStream_tbEUlT_E2_NS1_11comp_targetILNS1_3genE0ELNS1_11target_archE4294967295ELNS1_3gpuE0ELNS1_3repE0EEENS1_30default_config_static_selectorELNS0_4arch9wavefront6targetE1EEEvSK_
		.amdhsa_group_segment_fixed_size 0
		.amdhsa_private_segment_fixed_size 0
		.amdhsa_kernarg_size 80
		.amdhsa_user_sgpr_count 6
		.amdhsa_user_sgpr_private_segment_buffer 1
		.amdhsa_user_sgpr_dispatch_ptr 0
		.amdhsa_user_sgpr_queue_ptr 0
		.amdhsa_user_sgpr_kernarg_segment_ptr 1
		.amdhsa_user_sgpr_dispatch_id 0
		.amdhsa_user_sgpr_flat_scratch_init 0
		.amdhsa_user_sgpr_private_segment_size 0
		.amdhsa_uses_dynamic_stack 0
		.amdhsa_system_sgpr_private_segment_wavefront_offset 0
		.amdhsa_system_sgpr_workgroup_id_x 1
		.amdhsa_system_sgpr_workgroup_id_y 0
		.amdhsa_system_sgpr_workgroup_id_z 0
		.amdhsa_system_sgpr_workgroup_info 0
		.amdhsa_system_vgpr_workitem_id 0
		.amdhsa_next_free_vgpr 1
		.amdhsa_next_free_sgpr 0
		.amdhsa_reserve_vcc 0
		.amdhsa_reserve_flat_scratch 0
		.amdhsa_float_round_mode_32 0
		.amdhsa_float_round_mode_16_64 0
		.amdhsa_float_denorm_mode_32 3
		.amdhsa_float_denorm_mode_16_64 3
		.amdhsa_dx10_clamp 1
		.amdhsa_ieee_mode 1
		.amdhsa_fp16_overflow 0
		.amdhsa_exception_fp_ieee_invalid_op 0
		.amdhsa_exception_fp_denorm_src 0
		.amdhsa_exception_fp_ieee_div_zero 0
		.amdhsa_exception_fp_ieee_overflow 0
		.amdhsa_exception_fp_ieee_underflow 0
		.amdhsa_exception_fp_ieee_inexact 0
		.amdhsa_exception_int_div_zero 0
	.end_amdhsa_kernel
	.section	.text._ZN7rocprim17ROCPRIM_400000_NS6detail17trampoline_kernelINS0_14default_configENS1_36segmented_radix_sort_config_selectorIslEEZNS1_25segmented_radix_sort_implIS3_Lb0EPKsPsPKlPlN2at6native12_GLOBAL__N_18offset_tEEE10hipError_tPvRmT1_PNSt15iterator_traitsISK_E10value_typeET2_T3_PNSL_ISQ_E10value_typeET4_jRbjT5_SW_jjP12ihipStream_tbEUlT_E2_NS1_11comp_targetILNS1_3genE0ELNS1_11target_archE4294967295ELNS1_3gpuE0ELNS1_3repE0EEENS1_30default_config_static_selectorELNS0_4arch9wavefront6targetE1EEEvSK_,"axG",@progbits,_ZN7rocprim17ROCPRIM_400000_NS6detail17trampoline_kernelINS0_14default_configENS1_36segmented_radix_sort_config_selectorIslEEZNS1_25segmented_radix_sort_implIS3_Lb0EPKsPsPKlPlN2at6native12_GLOBAL__N_18offset_tEEE10hipError_tPvRmT1_PNSt15iterator_traitsISK_E10value_typeET2_T3_PNSL_ISQ_E10value_typeET4_jRbjT5_SW_jjP12ihipStream_tbEUlT_E2_NS1_11comp_targetILNS1_3genE0ELNS1_11target_archE4294967295ELNS1_3gpuE0ELNS1_3repE0EEENS1_30default_config_static_selectorELNS0_4arch9wavefront6targetE1EEEvSK_,comdat
.Lfunc_end1044:
	.size	_ZN7rocprim17ROCPRIM_400000_NS6detail17trampoline_kernelINS0_14default_configENS1_36segmented_radix_sort_config_selectorIslEEZNS1_25segmented_radix_sort_implIS3_Lb0EPKsPsPKlPlN2at6native12_GLOBAL__N_18offset_tEEE10hipError_tPvRmT1_PNSt15iterator_traitsISK_E10value_typeET2_T3_PNSL_ISQ_E10value_typeET4_jRbjT5_SW_jjP12ihipStream_tbEUlT_E2_NS1_11comp_targetILNS1_3genE0ELNS1_11target_archE4294967295ELNS1_3gpuE0ELNS1_3repE0EEENS1_30default_config_static_selectorELNS0_4arch9wavefront6targetE1EEEvSK_, .Lfunc_end1044-_ZN7rocprim17ROCPRIM_400000_NS6detail17trampoline_kernelINS0_14default_configENS1_36segmented_radix_sort_config_selectorIslEEZNS1_25segmented_radix_sort_implIS3_Lb0EPKsPsPKlPlN2at6native12_GLOBAL__N_18offset_tEEE10hipError_tPvRmT1_PNSt15iterator_traitsISK_E10value_typeET2_T3_PNSL_ISQ_E10value_typeET4_jRbjT5_SW_jjP12ihipStream_tbEUlT_E2_NS1_11comp_targetILNS1_3genE0ELNS1_11target_archE4294967295ELNS1_3gpuE0ELNS1_3repE0EEENS1_30default_config_static_selectorELNS0_4arch9wavefront6targetE1EEEvSK_
                                        ; -- End function
	.set _ZN7rocprim17ROCPRIM_400000_NS6detail17trampoline_kernelINS0_14default_configENS1_36segmented_radix_sort_config_selectorIslEEZNS1_25segmented_radix_sort_implIS3_Lb0EPKsPsPKlPlN2at6native12_GLOBAL__N_18offset_tEEE10hipError_tPvRmT1_PNSt15iterator_traitsISK_E10value_typeET2_T3_PNSL_ISQ_E10value_typeET4_jRbjT5_SW_jjP12ihipStream_tbEUlT_E2_NS1_11comp_targetILNS1_3genE0ELNS1_11target_archE4294967295ELNS1_3gpuE0ELNS1_3repE0EEENS1_30default_config_static_selectorELNS0_4arch9wavefront6targetE1EEEvSK_.num_vgpr, 0
	.set _ZN7rocprim17ROCPRIM_400000_NS6detail17trampoline_kernelINS0_14default_configENS1_36segmented_radix_sort_config_selectorIslEEZNS1_25segmented_radix_sort_implIS3_Lb0EPKsPsPKlPlN2at6native12_GLOBAL__N_18offset_tEEE10hipError_tPvRmT1_PNSt15iterator_traitsISK_E10value_typeET2_T3_PNSL_ISQ_E10value_typeET4_jRbjT5_SW_jjP12ihipStream_tbEUlT_E2_NS1_11comp_targetILNS1_3genE0ELNS1_11target_archE4294967295ELNS1_3gpuE0ELNS1_3repE0EEENS1_30default_config_static_selectorELNS0_4arch9wavefront6targetE1EEEvSK_.num_agpr, 0
	.set _ZN7rocprim17ROCPRIM_400000_NS6detail17trampoline_kernelINS0_14default_configENS1_36segmented_radix_sort_config_selectorIslEEZNS1_25segmented_radix_sort_implIS3_Lb0EPKsPsPKlPlN2at6native12_GLOBAL__N_18offset_tEEE10hipError_tPvRmT1_PNSt15iterator_traitsISK_E10value_typeET2_T3_PNSL_ISQ_E10value_typeET4_jRbjT5_SW_jjP12ihipStream_tbEUlT_E2_NS1_11comp_targetILNS1_3genE0ELNS1_11target_archE4294967295ELNS1_3gpuE0ELNS1_3repE0EEENS1_30default_config_static_selectorELNS0_4arch9wavefront6targetE1EEEvSK_.numbered_sgpr, 0
	.set _ZN7rocprim17ROCPRIM_400000_NS6detail17trampoline_kernelINS0_14default_configENS1_36segmented_radix_sort_config_selectorIslEEZNS1_25segmented_radix_sort_implIS3_Lb0EPKsPsPKlPlN2at6native12_GLOBAL__N_18offset_tEEE10hipError_tPvRmT1_PNSt15iterator_traitsISK_E10value_typeET2_T3_PNSL_ISQ_E10value_typeET4_jRbjT5_SW_jjP12ihipStream_tbEUlT_E2_NS1_11comp_targetILNS1_3genE0ELNS1_11target_archE4294967295ELNS1_3gpuE0ELNS1_3repE0EEENS1_30default_config_static_selectorELNS0_4arch9wavefront6targetE1EEEvSK_.num_named_barrier, 0
	.set _ZN7rocprim17ROCPRIM_400000_NS6detail17trampoline_kernelINS0_14default_configENS1_36segmented_radix_sort_config_selectorIslEEZNS1_25segmented_radix_sort_implIS3_Lb0EPKsPsPKlPlN2at6native12_GLOBAL__N_18offset_tEEE10hipError_tPvRmT1_PNSt15iterator_traitsISK_E10value_typeET2_T3_PNSL_ISQ_E10value_typeET4_jRbjT5_SW_jjP12ihipStream_tbEUlT_E2_NS1_11comp_targetILNS1_3genE0ELNS1_11target_archE4294967295ELNS1_3gpuE0ELNS1_3repE0EEENS1_30default_config_static_selectorELNS0_4arch9wavefront6targetE1EEEvSK_.private_seg_size, 0
	.set _ZN7rocprim17ROCPRIM_400000_NS6detail17trampoline_kernelINS0_14default_configENS1_36segmented_radix_sort_config_selectorIslEEZNS1_25segmented_radix_sort_implIS3_Lb0EPKsPsPKlPlN2at6native12_GLOBAL__N_18offset_tEEE10hipError_tPvRmT1_PNSt15iterator_traitsISK_E10value_typeET2_T3_PNSL_ISQ_E10value_typeET4_jRbjT5_SW_jjP12ihipStream_tbEUlT_E2_NS1_11comp_targetILNS1_3genE0ELNS1_11target_archE4294967295ELNS1_3gpuE0ELNS1_3repE0EEENS1_30default_config_static_selectorELNS0_4arch9wavefront6targetE1EEEvSK_.uses_vcc, 0
	.set _ZN7rocprim17ROCPRIM_400000_NS6detail17trampoline_kernelINS0_14default_configENS1_36segmented_radix_sort_config_selectorIslEEZNS1_25segmented_radix_sort_implIS3_Lb0EPKsPsPKlPlN2at6native12_GLOBAL__N_18offset_tEEE10hipError_tPvRmT1_PNSt15iterator_traitsISK_E10value_typeET2_T3_PNSL_ISQ_E10value_typeET4_jRbjT5_SW_jjP12ihipStream_tbEUlT_E2_NS1_11comp_targetILNS1_3genE0ELNS1_11target_archE4294967295ELNS1_3gpuE0ELNS1_3repE0EEENS1_30default_config_static_selectorELNS0_4arch9wavefront6targetE1EEEvSK_.uses_flat_scratch, 0
	.set _ZN7rocprim17ROCPRIM_400000_NS6detail17trampoline_kernelINS0_14default_configENS1_36segmented_radix_sort_config_selectorIslEEZNS1_25segmented_radix_sort_implIS3_Lb0EPKsPsPKlPlN2at6native12_GLOBAL__N_18offset_tEEE10hipError_tPvRmT1_PNSt15iterator_traitsISK_E10value_typeET2_T3_PNSL_ISQ_E10value_typeET4_jRbjT5_SW_jjP12ihipStream_tbEUlT_E2_NS1_11comp_targetILNS1_3genE0ELNS1_11target_archE4294967295ELNS1_3gpuE0ELNS1_3repE0EEENS1_30default_config_static_selectorELNS0_4arch9wavefront6targetE1EEEvSK_.has_dyn_sized_stack, 0
	.set _ZN7rocprim17ROCPRIM_400000_NS6detail17trampoline_kernelINS0_14default_configENS1_36segmented_radix_sort_config_selectorIslEEZNS1_25segmented_radix_sort_implIS3_Lb0EPKsPsPKlPlN2at6native12_GLOBAL__N_18offset_tEEE10hipError_tPvRmT1_PNSt15iterator_traitsISK_E10value_typeET2_T3_PNSL_ISQ_E10value_typeET4_jRbjT5_SW_jjP12ihipStream_tbEUlT_E2_NS1_11comp_targetILNS1_3genE0ELNS1_11target_archE4294967295ELNS1_3gpuE0ELNS1_3repE0EEENS1_30default_config_static_selectorELNS0_4arch9wavefront6targetE1EEEvSK_.has_recursion, 0
	.set _ZN7rocprim17ROCPRIM_400000_NS6detail17trampoline_kernelINS0_14default_configENS1_36segmented_radix_sort_config_selectorIslEEZNS1_25segmented_radix_sort_implIS3_Lb0EPKsPsPKlPlN2at6native12_GLOBAL__N_18offset_tEEE10hipError_tPvRmT1_PNSt15iterator_traitsISK_E10value_typeET2_T3_PNSL_ISQ_E10value_typeET4_jRbjT5_SW_jjP12ihipStream_tbEUlT_E2_NS1_11comp_targetILNS1_3genE0ELNS1_11target_archE4294967295ELNS1_3gpuE0ELNS1_3repE0EEENS1_30default_config_static_selectorELNS0_4arch9wavefront6targetE1EEEvSK_.has_indirect_call, 0
	.section	.AMDGPU.csdata,"",@progbits
; Kernel info:
; codeLenInByte = 0
; TotalNumSgprs: 4
; NumVgprs: 0
; ScratchSize: 0
; MemoryBound: 0
; FloatMode: 240
; IeeeMode: 1
; LDSByteSize: 0 bytes/workgroup (compile time only)
; SGPRBlocks: 0
; VGPRBlocks: 0
; NumSGPRsForWavesPerEU: 4
; NumVGPRsForWavesPerEU: 1
; Occupancy: 10
; WaveLimiterHint : 0
; COMPUTE_PGM_RSRC2:SCRATCH_EN: 0
; COMPUTE_PGM_RSRC2:USER_SGPR: 6
; COMPUTE_PGM_RSRC2:TRAP_HANDLER: 0
; COMPUTE_PGM_RSRC2:TGID_X_EN: 1
; COMPUTE_PGM_RSRC2:TGID_Y_EN: 0
; COMPUTE_PGM_RSRC2:TGID_Z_EN: 0
; COMPUTE_PGM_RSRC2:TIDIG_COMP_CNT: 0
	.section	.text._ZN7rocprim17ROCPRIM_400000_NS6detail17trampoline_kernelINS0_14default_configENS1_36segmented_radix_sort_config_selectorIslEEZNS1_25segmented_radix_sort_implIS3_Lb0EPKsPsPKlPlN2at6native12_GLOBAL__N_18offset_tEEE10hipError_tPvRmT1_PNSt15iterator_traitsISK_E10value_typeET2_T3_PNSL_ISQ_E10value_typeET4_jRbjT5_SW_jjP12ihipStream_tbEUlT_E2_NS1_11comp_targetILNS1_3genE5ELNS1_11target_archE942ELNS1_3gpuE9ELNS1_3repE0EEENS1_30default_config_static_selectorELNS0_4arch9wavefront6targetE1EEEvSK_,"axG",@progbits,_ZN7rocprim17ROCPRIM_400000_NS6detail17trampoline_kernelINS0_14default_configENS1_36segmented_radix_sort_config_selectorIslEEZNS1_25segmented_radix_sort_implIS3_Lb0EPKsPsPKlPlN2at6native12_GLOBAL__N_18offset_tEEE10hipError_tPvRmT1_PNSt15iterator_traitsISK_E10value_typeET2_T3_PNSL_ISQ_E10value_typeET4_jRbjT5_SW_jjP12ihipStream_tbEUlT_E2_NS1_11comp_targetILNS1_3genE5ELNS1_11target_archE942ELNS1_3gpuE9ELNS1_3repE0EEENS1_30default_config_static_selectorELNS0_4arch9wavefront6targetE1EEEvSK_,comdat
	.globl	_ZN7rocprim17ROCPRIM_400000_NS6detail17trampoline_kernelINS0_14default_configENS1_36segmented_radix_sort_config_selectorIslEEZNS1_25segmented_radix_sort_implIS3_Lb0EPKsPsPKlPlN2at6native12_GLOBAL__N_18offset_tEEE10hipError_tPvRmT1_PNSt15iterator_traitsISK_E10value_typeET2_T3_PNSL_ISQ_E10value_typeET4_jRbjT5_SW_jjP12ihipStream_tbEUlT_E2_NS1_11comp_targetILNS1_3genE5ELNS1_11target_archE942ELNS1_3gpuE9ELNS1_3repE0EEENS1_30default_config_static_selectorELNS0_4arch9wavefront6targetE1EEEvSK_ ; -- Begin function _ZN7rocprim17ROCPRIM_400000_NS6detail17trampoline_kernelINS0_14default_configENS1_36segmented_radix_sort_config_selectorIslEEZNS1_25segmented_radix_sort_implIS3_Lb0EPKsPsPKlPlN2at6native12_GLOBAL__N_18offset_tEEE10hipError_tPvRmT1_PNSt15iterator_traitsISK_E10value_typeET2_T3_PNSL_ISQ_E10value_typeET4_jRbjT5_SW_jjP12ihipStream_tbEUlT_E2_NS1_11comp_targetILNS1_3genE5ELNS1_11target_archE942ELNS1_3gpuE9ELNS1_3repE0EEENS1_30default_config_static_selectorELNS0_4arch9wavefront6targetE1EEEvSK_
	.p2align	8
	.type	_ZN7rocprim17ROCPRIM_400000_NS6detail17trampoline_kernelINS0_14default_configENS1_36segmented_radix_sort_config_selectorIslEEZNS1_25segmented_radix_sort_implIS3_Lb0EPKsPsPKlPlN2at6native12_GLOBAL__N_18offset_tEEE10hipError_tPvRmT1_PNSt15iterator_traitsISK_E10value_typeET2_T3_PNSL_ISQ_E10value_typeET4_jRbjT5_SW_jjP12ihipStream_tbEUlT_E2_NS1_11comp_targetILNS1_3genE5ELNS1_11target_archE942ELNS1_3gpuE9ELNS1_3repE0EEENS1_30default_config_static_selectorELNS0_4arch9wavefront6targetE1EEEvSK_,@function
_ZN7rocprim17ROCPRIM_400000_NS6detail17trampoline_kernelINS0_14default_configENS1_36segmented_radix_sort_config_selectorIslEEZNS1_25segmented_radix_sort_implIS3_Lb0EPKsPsPKlPlN2at6native12_GLOBAL__N_18offset_tEEE10hipError_tPvRmT1_PNSt15iterator_traitsISK_E10value_typeET2_T3_PNSL_ISQ_E10value_typeET4_jRbjT5_SW_jjP12ihipStream_tbEUlT_E2_NS1_11comp_targetILNS1_3genE5ELNS1_11target_archE942ELNS1_3gpuE9ELNS1_3repE0EEENS1_30default_config_static_selectorELNS0_4arch9wavefront6targetE1EEEvSK_: ; @_ZN7rocprim17ROCPRIM_400000_NS6detail17trampoline_kernelINS0_14default_configENS1_36segmented_radix_sort_config_selectorIslEEZNS1_25segmented_radix_sort_implIS3_Lb0EPKsPsPKlPlN2at6native12_GLOBAL__N_18offset_tEEE10hipError_tPvRmT1_PNSt15iterator_traitsISK_E10value_typeET2_T3_PNSL_ISQ_E10value_typeET4_jRbjT5_SW_jjP12ihipStream_tbEUlT_E2_NS1_11comp_targetILNS1_3genE5ELNS1_11target_archE942ELNS1_3gpuE9ELNS1_3repE0EEENS1_30default_config_static_selectorELNS0_4arch9wavefront6targetE1EEEvSK_
; %bb.0:
	.section	.rodata,"a",@progbits
	.p2align	6, 0x0
	.amdhsa_kernel _ZN7rocprim17ROCPRIM_400000_NS6detail17trampoline_kernelINS0_14default_configENS1_36segmented_radix_sort_config_selectorIslEEZNS1_25segmented_radix_sort_implIS3_Lb0EPKsPsPKlPlN2at6native12_GLOBAL__N_18offset_tEEE10hipError_tPvRmT1_PNSt15iterator_traitsISK_E10value_typeET2_T3_PNSL_ISQ_E10value_typeET4_jRbjT5_SW_jjP12ihipStream_tbEUlT_E2_NS1_11comp_targetILNS1_3genE5ELNS1_11target_archE942ELNS1_3gpuE9ELNS1_3repE0EEENS1_30default_config_static_selectorELNS0_4arch9wavefront6targetE1EEEvSK_
		.amdhsa_group_segment_fixed_size 0
		.amdhsa_private_segment_fixed_size 0
		.amdhsa_kernarg_size 80
		.amdhsa_user_sgpr_count 6
		.amdhsa_user_sgpr_private_segment_buffer 1
		.amdhsa_user_sgpr_dispatch_ptr 0
		.amdhsa_user_sgpr_queue_ptr 0
		.amdhsa_user_sgpr_kernarg_segment_ptr 1
		.amdhsa_user_sgpr_dispatch_id 0
		.amdhsa_user_sgpr_flat_scratch_init 0
		.amdhsa_user_sgpr_private_segment_size 0
		.amdhsa_uses_dynamic_stack 0
		.amdhsa_system_sgpr_private_segment_wavefront_offset 0
		.amdhsa_system_sgpr_workgroup_id_x 1
		.amdhsa_system_sgpr_workgroup_id_y 0
		.amdhsa_system_sgpr_workgroup_id_z 0
		.amdhsa_system_sgpr_workgroup_info 0
		.amdhsa_system_vgpr_workitem_id 0
		.amdhsa_next_free_vgpr 1
		.amdhsa_next_free_sgpr 0
		.amdhsa_reserve_vcc 0
		.amdhsa_reserve_flat_scratch 0
		.amdhsa_float_round_mode_32 0
		.amdhsa_float_round_mode_16_64 0
		.amdhsa_float_denorm_mode_32 3
		.amdhsa_float_denorm_mode_16_64 3
		.amdhsa_dx10_clamp 1
		.amdhsa_ieee_mode 1
		.amdhsa_fp16_overflow 0
		.amdhsa_exception_fp_ieee_invalid_op 0
		.amdhsa_exception_fp_denorm_src 0
		.amdhsa_exception_fp_ieee_div_zero 0
		.amdhsa_exception_fp_ieee_overflow 0
		.amdhsa_exception_fp_ieee_underflow 0
		.amdhsa_exception_fp_ieee_inexact 0
		.amdhsa_exception_int_div_zero 0
	.end_amdhsa_kernel
	.section	.text._ZN7rocprim17ROCPRIM_400000_NS6detail17trampoline_kernelINS0_14default_configENS1_36segmented_radix_sort_config_selectorIslEEZNS1_25segmented_radix_sort_implIS3_Lb0EPKsPsPKlPlN2at6native12_GLOBAL__N_18offset_tEEE10hipError_tPvRmT1_PNSt15iterator_traitsISK_E10value_typeET2_T3_PNSL_ISQ_E10value_typeET4_jRbjT5_SW_jjP12ihipStream_tbEUlT_E2_NS1_11comp_targetILNS1_3genE5ELNS1_11target_archE942ELNS1_3gpuE9ELNS1_3repE0EEENS1_30default_config_static_selectorELNS0_4arch9wavefront6targetE1EEEvSK_,"axG",@progbits,_ZN7rocprim17ROCPRIM_400000_NS6detail17trampoline_kernelINS0_14default_configENS1_36segmented_radix_sort_config_selectorIslEEZNS1_25segmented_radix_sort_implIS3_Lb0EPKsPsPKlPlN2at6native12_GLOBAL__N_18offset_tEEE10hipError_tPvRmT1_PNSt15iterator_traitsISK_E10value_typeET2_T3_PNSL_ISQ_E10value_typeET4_jRbjT5_SW_jjP12ihipStream_tbEUlT_E2_NS1_11comp_targetILNS1_3genE5ELNS1_11target_archE942ELNS1_3gpuE9ELNS1_3repE0EEENS1_30default_config_static_selectorELNS0_4arch9wavefront6targetE1EEEvSK_,comdat
.Lfunc_end1045:
	.size	_ZN7rocprim17ROCPRIM_400000_NS6detail17trampoline_kernelINS0_14default_configENS1_36segmented_radix_sort_config_selectorIslEEZNS1_25segmented_radix_sort_implIS3_Lb0EPKsPsPKlPlN2at6native12_GLOBAL__N_18offset_tEEE10hipError_tPvRmT1_PNSt15iterator_traitsISK_E10value_typeET2_T3_PNSL_ISQ_E10value_typeET4_jRbjT5_SW_jjP12ihipStream_tbEUlT_E2_NS1_11comp_targetILNS1_3genE5ELNS1_11target_archE942ELNS1_3gpuE9ELNS1_3repE0EEENS1_30default_config_static_selectorELNS0_4arch9wavefront6targetE1EEEvSK_, .Lfunc_end1045-_ZN7rocprim17ROCPRIM_400000_NS6detail17trampoline_kernelINS0_14default_configENS1_36segmented_radix_sort_config_selectorIslEEZNS1_25segmented_radix_sort_implIS3_Lb0EPKsPsPKlPlN2at6native12_GLOBAL__N_18offset_tEEE10hipError_tPvRmT1_PNSt15iterator_traitsISK_E10value_typeET2_T3_PNSL_ISQ_E10value_typeET4_jRbjT5_SW_jjP12ihipStream_tbEUlT_E2_NS1_11comp_targetILNS1_3genE5ELNS1_11target_archE942ELNS1_3gpuE9ELNS1_3repE0EEENS1_30default_config_static_selectorELNS0_4arch9wavefront6targetE1EEEvSK_
                                        ; -- End function
	.set _ZN7rocprim17ROCPRIM_400000_NS6detail17trampoline_kernelINS0_14default_configENS1_36segmented_radix_sort_config_selectorIslEEZNS1_25segmented_radix_sort_implIS3_Lb0EPKsPsPKlPlN2at6native12_GLOBAL__N_18offset_tEEE10hipError_tPvRmT1_PNSt15iterator_traitsISK_E10value_typeET2_T3_PNSL_ISQ_E10value_typeET4_jRbjT5_SW_jjP12ihipStream_tbEUlT_E2_NS1_11comp_targetILNS1_3genE5ELNS1_11target_archE942ELNS1_3gpuE9ELNS1_3repE0EEENS1_30default_config_static_selectorELNS0_4arch9wavefront6targetE1EEEvSK_.num_vgpr, 0
	.set _ZN7rocprim17ROCPRIM_400000_NS6detail17trampoline_kernelINS0_14default_configENS1_36segmented_radix_sort_config_selectorIslEEZNS1_25segmented_radix_sort_implIS3_Lb0EPKsPsPKlPlN2at6native12_GLOBAL__N_18offset_tEEE10hipError_tPvRmT1_PNSt15iterator_traitsISK_E10value_typeET2_T3_PNSL_ISQ_E10value_typeET4_jRbjT5_SW_jjP12ihipStream_tbEUlT_E2_NS1_11comp_targetILNS1_3genE5ELNS1_11target_archE942ELNS1_3gpuE9ELNS1_3repE0EEENS1_30default_config_static_selectorELNS0_4arch9wavefront6targetE1EEEvSK_.num_agpr, 0
	.set _ZN7rocprim17ROCPRIM_400000_NS6detail17trampoline_kernelINS0_14default_configENS1_36segmented_radix_sort_config_selectorIslEEZNS1_25segmented_radix_sort_implIS3_Lb0EPKsPsPKlPlN2at6native12_GLOBAL__N_18offset_tEEE10hipError_tPvRmT1_PNSt15iterator_traitsISK_E10value_typeET2_T3_PNSL_ISQ_E10value_typeET4_jRbjT5_SW_jjP12ihipStream_tbEUlT_E2_NS1_11comp_targetILNS1_3genE5ELNS1_11target_archE942ELNS1_3gpuE9ELNS1_3repE0EEENS1_30default_config_static_selectorELNS0_4arch9wavefront6targetE1EEEvSK_.numbered_sgpr, 0
	.set _ZN7rocprim17ROCPRIM_400000_NS6detail17trampoline_kernelINS0_14default_configENS1_36segmented_radix_sort_config_selectorIslEEZNS1_25segmented_radix_sort_implIS3_Lb0EPKsPsPKlPlN2at6native12_GLOBAL__N_18offset_tEEE10hipError_tPvRmT1_PNSt15iterator_traitsISK_E10value_typeET2_T3_PNSL_ISQ_E10value_typeET4_jRbjT5_SW_jjP12ihipStream_tbEUlT_E2_NS1_11comp_targetILNS1_3genE5ELNS1_11target_archE942ELNS1_3gpuE9ELNS1_3repE0EEENS1_30default_config_static_selectorELNS0_4arch9wavefront6targetE1EEEvSK_.num_named_barrier, 0
	.set _ZN7rocprim17ROCPRIM_400000_NS6detail17trampoline_kernelINS0_14default_configENS1_36segmented_radix_sort_config_selectorIslEEZNS1_25segmented_radix_sort_implIS3_Lb0EPKsPsPKlPlN2at6native12_GLOBAL__N_18offset_tEEE10hipError_tPvRmT1_PNSt15iterator_traitsISK_E10value_typeET2_T3_PNSL_ISQ_E10value_typeET4_jRbjT5_SW_jjP12ihipStream_tbEUlT_E2_NS1_11comp_targetILNS1_3genE5ELNS1_11target_archE942ELNS1_3gpuE9ELNS1_3repE0EEENS1_30default_config_static_selectorELNS0_4arch9wavefront6targetE1EEEvSK_.private_seg_size, 0
	.set _ZN7rocprim17ROCPRIM_400000_NS6detail17trampoline_kernelINS0_14default_configENS1_36segmented_radix_sort_config_selectorIslEEZNS1_25segmented_radix_sort_implIS3_Lb0EPKsPsPKlPlN2at6native12_GLOBAL__N_18offset_tEEE10hipError_tPvRmT1_PNSt15iterator_traitsISK_E10value_typeET2_T3_PNSL_ISQ_E10value_typeET4_jRbjT5_SW_jjP12ihipStream_tbEUlT_E2_NS1_11comp_targetILNS1_3genE5ELNS1_11target_archE942ELNS1_3gpuE9ELNS1_3repE0EEENS1_30default_config_static_selectorELNS0_4arch9wavefront6targetE1EEEvSK_.uses_vcc, 0
	.set _ZN7rocprim17ROCPRIM_400000_NS6detail17trampoline_kernelINS0_14default_configENS1_36segmented_radix_sort_config_selectorIslEEZNS1_25segmented_radix_sort_implIS3_Lb0EPKsPsPKlPlN2at6native12_GLOBAL__N_18offset_tEEE10hipError_tPvRmT1_PNSt15iterator_traitsISK_E10value_typeET2_T3_PNSL_ISQ_E10value_typeET4_jRbjT5_SW_jjP12ihipStream_tbEUlT_E2_NS1_11comp_targetILNS1_3genE5ELNS1_11target_archE942ELNS1_3gpuE9ELNS1_3repE0EEENS1_30default_config_static_selectorELNS0_4arch9wavefront6targetE1EEEvSK_.uses_flat_scratch, 0
	.set _ZN7rocprim17ROCPRIM_400000_NS6detail17trampoline_kernelINS0_14default_configENS1_36segmented_radix_sort_config_selectorIslEEZNS1_25segmented_radix_sort_implIS3_Lb0EPKsPsPKlPlN2at6native12_GLOBAL__N_18offset_tEEE10hipError_tPvRmT1_PNSt15iterator_traitsISK_E10value_typeET2_T3_PNSL_ISQ_E10value_typeET4_jRbjT5_SW_jjP12ihipStream_tbEUlT_E2_NS1_11comp_targetILNS1_3genE5ELNS1_11target_archE942ELNS1_3gpuE9ELNS1_3repE0EEENS1_30default_config_static_selectorELNS0_4arch9wavefront6targetE1EEEvSK_.has_dyn_sized_stack, 0
	.set _ZN7rocprim17ROCPRIM_400000_NS6detail17trampoline_kernelINS0_14default_configENS1_36segmented_radix_sort_config_selectorIslEEZNS1_25segmented_radix_sort_implIS3_Lb0EPKsPsPKlPlN2at6native12_GLOBAL__N_18offset_tEEE10hipError_tPvRmT1_PNSt15iterator_traitsISK_E10value_typeET2_T3_PNSL_ISQ_E10value_typeET4_jRbjT5_SW_jjP12ihipStream_tbEUlT_E2_NS1_11comp_targetILNS1_3genE5ELNS1_11target_archE942ELNS1_3gpuE9ELNS1_3repE0EEENS1_30default_config_static_selectorELNS0_4arch9wavefront6targetE1EEEvSK_.has_recursion, 0
	.set _ZN7rocprim17ROCPRIM_400000_NS6detail17trampoline_kernelINS0_14default_configENS1_36segmented_radix_sort_config_selectorIslEEZNS1_25segmented_radix_sort_implIS3_Lb0EPKsPsPKlPlN2at6native12_GLOBAL__N_18offset_tEEE10hipError_tPvRmT1_PNSt15iterator_traitsISK_E10value_typeET2_T3_PNSL_ISQ_E10value_typeET4_jRbjT5_SW_jjP12ihipStream_tbEUlT_E2_NS1_11comp_targetILNS1_3genE5ELNS1_11target_archE942ELNS1_3gpuE9ELNS1_3repE0EEENS1_30default_config_static_selectorELNS0_4arch9wavefront6targetE1EEEvSK_.has_indirect_call, 0
	.section	.AMDGPU.csdata,"",@progbits
; Kernel info:
; codeLenInByte = 0
; TotalNumSgprs: 4
; NumVgprs: 0
; ScratchSize: 0
; MemoryBound: 0
; FloatMode: 240
; IeeeMode: 1
; LDSByteSize: 0 bytes/workgroup (compile time only)
; SGPRBlocks: 0
; VGPRBlocks: 0
; NumSGPRsForWavesPerEU: 4
; NumVGPRsForWavesPerEU: 1
; Occupancy: 10
; WaveLimiterHint : 0
; COMPUTE_PGM_RSRC2:SCRATCH_EN: 0
; COMPUTE_PGM_RSRC2:USER_SGPR: 6
; COMPUTE_PGM_RSRC2:TRAP_HANDLER: 0
; COMPUTE_PGM_RSRC2:TGID_X_EN: 1
; COMPUTE_PGM_RSRC2:TGID_Y_EN: 0
; COMPUTE_PGM_RSRC2:TGID_Z_EN: 0
; COMPUTE_PGM_RSRC2:TIDIG_COMP_CNT: 0
	.section	.text._ZN7rocprim17ROCPRIM_400000_NS6detail17trampoline_kernelINS0_14default_configENS1_36segmented_radix_sort_config_selectorIslEEZNS1_25segmented_radix_sort_implIS3_Lb0EPKsPsPKlPlN2at6native12_GLOBAL__N_18offset_tEEE10hipError_tPvRmT1_PNSt15iterator_traitsISK_E10value_typeET2_T3_PNSL_ISQ_E10value_typeET4_jRbjT5_SW_jjP12ihipStream_tbEUlT_E2_NS1_11comp_targetILNS1_3genE4ELNS1_11target_archE910ELNS1_3gpuE8ELNS1_3repE0EEENS1_30default_config_static_selectorELNS0_4arch9wavefront6targetE1EEEvSK_,"axG",@progbits,_ZN7rocprim17ROCPRIM_400000_NS6detail17trampoline_kernelINS0_14default_configENS1_36segmented_radix_sort_config_selectorIslEEZNS1_25segmented_radix_sort_implIS3_Lb0EPKsPsPKlPlN2at6native12_GLOBAL__N_18offset_tEEE10hipError_tPvRmT1_PNSt15iterator_traitsISK_E10value_typeET2_T3_PNSL_ISQ_E10value_typeET4_jRbjT5_SW_jjP12ihipStream_tbEUlT_E2_NS1_11comp_targetILNS1_3genE4ELNS1_11target_archE910ELNS1_3gpuE8ELNS1_3repE0EEENS1_30default_config_static_selectorELNS0_4arch9wavefront6targetE1EEEvSK_,comdat
	.globl	_ZN7rocprim17ROCPRIM_400000_NS6detail17trampoline_kernelINS0_14default_configENS1_36segmented_radix_sort_config_selectorIslEEZNS1_25segmented_radix_sort_implIS3_Lb0EPKsPsPKlPlN2at6native12_GLOBAL__N_18offset_tEEE10hipError_tPvRmT1_PNSt15iterator_traitsISK_E10value_typeET2_T3_PNSL_ISQ_E10value_typeET4_jRbjT5_SW_jjP12ihipStream_tbEUlT_E2_NS1_11comp_targetILNS1_3genE4ELNS1_11target_archE910ELNS1_3gpuE8ELNS1_3repE0EEENS1_30default_config_static_selectorELNS0_4arch9wavefront6targetE1EEEvSK_ ; -- Begin function _ZN7rocprim17ROCPRIM_400000_NS6detail17trampoline_kernelINS0_14default_configENS1_36segmented_radix_sort_config_selectorIslEEZNS1_25segmented_radix_sort_implIS3_Lb0EPKsPsPKlPlN2at6native12_GLOBAL__N_18offset_tEEE10hipError_tPvRmT1_PNSt15iterator_traitsISK_E10value_typeET2_T3_PNSL_ISQ_E10value_typeET4_jRbjT5_SW_jjP12ihipStream_tbEUlT_E2_NS1_11comp_targetILNS1_3genE4ELNS1_11target_archE910ELNS1_3gpuE8ELNS1_3repE0EEENS1_30default_config_static_selectorELNS0_4arch9wavefront6targetE1EEEvSK_
	.p2align	8
	.type	_ZN7rocprim17ROCPRIM_400000_NS6detail17trampoline_kernelINS0_14default_configENS1_36segmented_radix_sort_config_selectorIslEEZNS1_25segmented_radix_sort_implIS3_Lb0EPKsPsPKlPlN2at6native12_GLOBAL__N_18offset_tEEE10hipError_tPvRmT1_PNSt15iterator_traitsISK_E10value_typeET2_T3_PNSL_ISQ_E10value_typeET4_jRbjT5_SW_jjP12ihipStream_tbEUlT_E2_NS1_11comp_targetILNS1_3genE4ELNS1_11target_archE910ELNS1_3gpuE8ELNS1_3repE0EEENS1_30default_config_static_selectorELNS0_4arch9wavefront6targetE1EEEvSK_,@function
_ZN7rocprim17ROCPRIM_400000_NS6detail17trampoline_kernelINS0_14default_configENS1_36segmented_radix_sort_config_selectorIslEEZNS1_25segmented_radix_sort_implIS3_Lb0EPKsPsPKlPlN2at6native12_GLOBAL__N_18offset_tEEE10hipError_tPvRmT1_PNSt15iterator_traitsISK_E10value_typeET2_T3_PNSL_ISQ_E10value_typeET4_jRbjT5_SW_jjP12ihipStream_tbEUlT_E2_NS1_11comp_targetILNS1_3genE4ELNS1_11target_archE910ELNS1_3gpuE8ELNS1_3repE0EEENS1_30default_config_static_selectorELNS0_4arch9wavefront6targetE1EEEvSK_: ; @_ZN7rocprim17ROCPRIM_400000_NS6detail17trampoline_kernelINS0_14default_configENS1_36segmented_radix_sort_config_selectorIslEEZNS1_25segmented_radix_sort_implIS3_Lb0EPKsPsPKlPlN2at6native12_GLOBAL__N_18offset_tEEE10hipError_tPvRmT1_PNSt15iterator_traitsISK_E10value_typeET2_T3_PNSL_ISQ_E10value_typeET4_jRbjT5_SW_jjP12ihipStream_tbEUlT_E2_NS1_11comp_targetILNS1_3genE4ELNS1_11target_archE910ELNS1_3gpuE8ELNS1_3repE0EEENS1_30default_config_static_selectorELNS0_4arch9wavefront6targetE1EEEvSK_
; %bb.0:
	.section	.rodata,"a",@progbits
	.p2align	6, 0x0
	.amdhsa_kernel _ZN7rocprim17ROCPRIM_400000_NS6detail17trampoline_kernelINS0_14default_configENS1_36segmented_radix_sort_config_selectorIslEEZNS1_25segmented_radix_sort_implIS3_Lb0EPKsPsPKlPlN2at6native12_GLOBAL__N_18offset_tEEE10hipError_tPvRmT1_PNSt15iterator_traitsISK_E10value_typeET2_T3_PNSL_ISQ_E10value_typeET4_jRbjT5_SW_jjP12ihipStream_tbEUlT_E2_NS1_11comp_targetILNS1_3genE4ELNS1_11target_archE910ELNS1_3gpuE8ELNS1_3repE0EEENS1_30default_config_static_selectorELNS0_4arch9wavefront6targetE1EEEvSK_
		.amdhsa_group_segment_fixed_size 0
		.amdhsa_private_segment_fixed_size 0
		.amdhsa_kernarg_size 80
		.amdhsa_user_sgpr_count 6
		.amdhsa_user_sgpr_private_segment_buffer 1
		.amdhsa_user_sgpr_dispatch_ptr 0
		.amdhsa_user_sgpr_queue_ptr 0
		.amdhsa_user_sgpr_kernarg_segment_ptr 1
		.amdhsa_user_sgpr_dispatch_id 0
		.amdhsa_user_sgpr_flat_scratch_init 0
		.amdhsa_user_sgpr_private_segment_size 0
		.amdhsa_uses_dynamic_stack 0
		.amdhsa_system_sgpr_private_segment_wavefront_offset 0
		.amdhsa_system_sgpr_workgroup_id_x 1
		.amdhsa_system_sgpr_workgroup_id_y 0
		.amdhsa_system_sgpr_workgroup_id_z 0
		.amdhsa_system_sgpr_workgroup_info 0
		.amdhsa_system_vgpr_workitem_id 0
		.amdhsa_next_free_vgpr 1
		.amdhsa_next_free_sgpr 0
		.amdhsa_reserve_vcc 0
		.amdhsa_reserve_flat_scratch 0
		.amdhsa_float_round_mode_32 0
		.amdhsa_float_round_mode_16_64 0
		.amdhsa_float_denorm_mode_32 3
		.amdhsa_float_denorm_mode_16_64 3
		.amdhsa_dx10_clamp 1
		.amdhsa_ieee_mode 1
		.amdhsa_fp16_overflow 0
		.amdhsa_exception_fp_ieee_invalid_op 0
		.amdhsa_exception_fp_denorm_src 0
		.amdhsa_exception_fp_ieee_div_zero 0
		.amdhsa_exception_fp_ieee_overflow 0
		.amdhsa_exception_fp_ieee_underflow 0
		.amdhsa_exception_fp_ieee_inexact 0
		.amdhsa_exception_int_div_zero 0
	.end_amdhsa_kernel
	.section	.text._ZN7rocprim17ROCPRIM_400000_NS6detail17trampoline_kernelINS0_14default_configENS1_36segmented_radix_sort_config_selectorIslEEZNS1_25segmented_radix_sort_implIS3_Lb0EPKsPsPKlPlN2at6native12_GLOBAL__N_18offset_tEEE10hipError_tPvRmT1_PNSt15iterator_traitsISK_E10value_typeET2_T3_PNSL_ISQ_E10value_typeET4_jRbjT5_SW_jjP12ihipStream_tbEUlT_E2_NS1_11comp_targetILNS1_3genE4ELNS1_11target_archE910ELNS1_3gpuE8ELNS1_3repE0EEENS1_30default_config_static_selectorELNS0_4arch9wavefront6targetE1EEEvSK_,"axG",@progbits,_ZN7rocprim17ROCPRIM_400000_NS6detail17trampoline_kernelINS0_14default_configENS1_36segmented_radix_sort_config_selectorIslEEZNS1_25segmented_radix_sort_implIS3_Lb0EPKsPsPKlPlN2at6native12_GLOBAL__N_18offset_tEEE10hipError_tPvRmT1_PNSt15iterator_traitsISK_E10value_typeET2_T3_PNSL_ISQ_E10value_typeET4_jRbjT5_SW_jjP12ihipStream_tbEUlT_E2_NS1_11comp_targetILNS1_3genE4ELNS1_11target_archE910ELNS1_3gpuE8ELNS1_3repE0EEENS1_30default_config_static_selectorELNS0_4arch9wavefront6targetE1EEEvSK_,comdat
.Lfunc_end1046:
	.size	_ZN7rocprim17ROCPRIM_400000_NS6detail17trampoline_kernelINS0_14default_configENS1_36segmented_radix_sort_config_selectorIslEEZNS1_25segmented_radix_sort_implIS3_Lb0EPKsPsPKlPlN2at6native12_GLOBAL__N_18offset_tEEE10hipError_tPvRmT1_PNSt15iterator_traitsISK_E10value_typeET2_T3_PNSL_ISQ_E10value_typeET4_jRbjT5_SW_jjP12ihipStream_tbEUlT_E2_NS1_11comp_targetILNS1_3genE4ELNS1_11target_archE910ELNS1_3gpuE8ELNS1_3repE0EEENS1_30default_config_static_selectorELNS0_4arch9wavefront6targetE1EEEvSK_, .Lfunc_end1046-_ZN7rocprim17ROCPRIM_400000_NS6detail17trampoline_kernelINS0_14default_configENS1_36segmented_radix_sort_config_selectorIslEEZNS1_25segmented_radix_sort_implIS3_Lb0EPKsPsPKlPlN2at6native12_GLOBAL__N_18offset_tEEE10hipError_tPvRmT1_PNSt15iterator_traitsISK_E10value_typeET2_T3_PNSL_ISQ_E10value_typeET4_jRbjT5_SW_jjP12ihipStream_tbEUlT_E2_NS1_11comp_targetILNS1_3genE4ELNS1_11target_archE910ELNS1_3gpuE8ELNS1_3repE0EEENS1_30default_config_static_selectorELNS0_4arch9wavefront6targetE1EEEvSK_
                                        ; -- End function
	.set _ZN7rocprim17ROCPRIM_400000_NS6detail17trampoline_kernelINS0_14default_configENS1_36segmented_radix_sort_config_selectorIslEEZNS1_25segmented_radix_sort_implIS3_Lb0EPKsPsPKlPlN2at6native12_GLOBAL__N_18offset_tEEE10hipError_tPvRmT1_PNSt15iterator_traitsISK_E10value_typeET2_T3_PNSL_ISQ_E10value_typeET4_jRbjT5_SW_jjP12ihipStream_tbEUlT_E2_NS1_11comp_targetILNS1_3genE4ELNS1_11target_archE910ELNS1_3gpuE8ELNS1_3repE0EEENS1_30default_config_static_selectorELNS0_4arch9wavefront6targetE1EEEvSK_.num_vgpr, 0
	.set _ZN7rocprim17ROCPRIM_400000_NS6detail17trampoline_kernelINS0_14default_configENS1_36segmented_radix_sort_config_selectorIslEEZNS1_25segmented_radix_sort_implIS3_Lb0EPKsPsPKlPlN2at6native12_GLOBAL__N_18offset_tEEE10hipError_tPvRmT1_PNSt15iterator_traitsISK_E10value_typeET2_T3_PNSL_ISQ_E10value_typeET4_jRbjT5_SW_jjP12ihipStream_tbEUlT_E2_NS1_11comp_targetILNS1_3genE4ELNS1_11target_archE910ELNS1_3gpuE8ELNS1_3repE0EEENS1_30default_config_static_selectorELNS0_4arch9wavefront6targetE1EEEvSK_.num_agpr, 0
	.set _ZN7rocprim17ROCPRIM_400000_NS6detail17trampoline_kernelINS0_14default_configENS1_36segmented_radix_sort_config_selectorIslEEZNS1_25segmented_radix_sort_implIS3_Lb0EPKsPsPKlPlN2at6native12_GLOBAL__N_18offset_tEEE10hipError_tPvRmT1_PNSt15iterator_traitsISK_E10value_typeET2_T3_PNSL_ISQ_E10value_typeET4_jRbjT5_SW_jjP12ihipStream_tbEUlT_E2_NS1_11comp_targetILNS1_3genE4ELNS1_11target_archE910ELNS1_3gpuE8ELNS1_3repE0EEENS1_30default_config_static_selectorELNS0_4arch9wavefront6targetE1EEEvSK_.numbered_sgpr, 0
	.set _ZN7rocprim17ROCPRIM_400000_NS6detail17trampoline_kernelINS0_14default_configENS1_36segmented_radix_sort_config_selectorIslEEZNS1_25segmented_radix_sort_implIS3_Lb0EPKsPsPKlPlN2at6native12_GLOBAL__N_18offset_tEEE10hipError_tPvRmT1_PNSt15iterator_traitsISK_E10value_typeET2_T3_PNSL_ISQ_E10value_typeET4_jRbjT5_SW_jjP12ihipStream_tbEUlT_E2_NS1_11comp_targetILNS1_3genE4ELNS1_11target_archE910ELNS1_3gpuE8ELNS1_3repE0EEENS1_30default_config_static_selectorELNS0_4arch9wavefront6targetE1EEEvSK_.num_named_barrier, 0
	.set _ZN7rocprim17ROCPRIM_400000_NS6detail17trampoline_kernelINS0_14default_configENS1_36segmented_radix_sort_config_selectorIslEEZNS1_25segmented_radix_sort_implIS3_Lb0EPKsPsPKlPlN2at6native12_GLOBAL__N_18offset_tEEE10hipError_tPvRmT1_PNSt15iterator_traitsISK_E10value_typeET2_T3_PNSL_ISQ_E10value_typeET4_jRbjT5_SW_jjP12ihipStream_tbEUlT_E2_NS1_11comp_targetILNS1_3genE4ELNS1_11target_archE910ELNS1_3gpuE8ELNS1_3repE0EEENS1_30default_config_static_selectorELNS0_4arch9wavefront6targetE1EEEvSK_.private_seg_size, 0
	.set _ZN7rocprim17ROCPRIM_400000_NS6detail17trampoline_kernelINS0_14default_configENS1_36segmented_radix_sort_config_selectorIslEEZNS1_25segmented_radix_sort_implIS3_Lb0EPKsPsPKlPlN2at6native12_GLOBAL__N_18offset_tEEE10hipError_tPvRmT1_PNSt15iterator_traitsISK_E10value_typeET2_T3_PNSL_ISQ_E10value_typeET4_jRbjT5_SW_jjP12ihipStream_tbEUlT_E2_NS1_11comp_targetILNS1_3genE4ELNS1_11target_archE910ELNS1_3gpuE8ELNS1_3repE0EEENS1_30default_config_static_selectorELNS0_4arch9wavefront6targetE1EEEvSK_.uses_vcc, 0
	.set _ZN7rocprim17ROCPRIM_400000_NS6detail17trampoline_kernelINS0_14default_configENS1_36segmented_radix_sort_config_selectorIslEEZNS1_25segmented_radix_sort_implIS3_Lb0EPKsPsPKlPlN2at6native12_GLOBAL__N_18offset_tEEE10hipError_tPvRmT1_PNSt15iterator_traitsISK_E10value_typeET2_T3_PNSL_ISQ_E10value_typeET4_jRbjT5_SW_jjP12ihipStream_tbEUlT_E2_NS1_11comp_targetILNS1_3genE4ELNS1_11target_archE910ELNS1_3gpuE8ELNS1_3repE0EEENS1_30default_config_static_selectorELNS0_4arch9wavefront6targetE1EEEvSK_.uses_flat_scratch, 0
	.set _ZN7rocprim17ROCPRIM_400000_NS6detail17trampoline_kernelINS0_14default_configENS1_36segmented_radix_sort_config_selectorIslEEZNS1_25segmented_radix_sort_implIS3_Lb0EPKsPsPKlPlN2at6native12_GLOBAL__N_18offset_tEEE10hipError_tPvRmT1_PNSt15iterator_traitsISK_E10value_typeET2_T3_PNSL_ISQ_E10value_typeET4_jRbjT5_SW_jjP12ihipStream_tbEUlT_E2_NS1_11comp_targetILNS1_3genE4ELNS1_11target_archE910ELNS1_3gpuE8ELNS1_3repE0EEENS1_30default_config_static_selectorELNS0_4arch9wavefront6targetE1EEEvSK_.has_dyn_sized_stack, 0
	.set _ZN7rocprim17ROCPRIM_400000_NS6detail17trampoline_kernelINS0_14default_configENS1_36segmented_radix_sort_config_selectorIslEEZNS1_25segmented_radix_sort_implIS3_Lb0EPKsPsPKlPlN2at6native12_GLOBAL__N_18offset_tEEE10hipError_tPvRmT1_PNSt15iterator_traitsISK_E10value_typeET2_T3_PNSL_ISQ_E10value_typeET4_jRbjT5_SW_jjP12ihipStream_tbEUlT_E2_NS1_11comp_targetILNS1_3genE4ELNS1_11target_archE910ELNS1_3gpuE8ELNS1_3repE0EEENS1_30default_config_static_selectorELNS0_4arch9wavefront6targetE1EEEvSK_.has_recursion, 0
	.set _ZN7rocprim17ROCPRIM_400000_NS6detail17trampoline_kernelINS0_14default_configENS1_36segmented_radix_sort_config_selectorIslEEZNS1_25segmented_radix_sort_implIS3_Lb0EPKsPsPKlPlN2at6native12_GLOBAL__N_18offset_tEEE10hipError_tPvRmT1_PNSt15iterator_traitsISK_E10value_typeET2_T3_PNSL_ISQ_E10value_typeET4_jRbjT5_SW_jjP12ihipStream_tbEUlT_E2_NS1_11comp_targetILNS1_3genE4ELNS1_11target_archE910ELNS1_3gpuE8ELNS1_3repE0EEENS1_30default_config_static_selectorELNS0_4arch9wavefront6targetE1EEEvSK_.has_indirect_call, 0
	.section	.AMDGPU.csdata,"",@progbits
; Kernel info:
; codeLenInByte = 0
; TotalNumSgprs: 4
; NumVgprs: 0
; ScratchSize: 0
; MemoryBound: 0
; FloatMode: 240
; IeeeMode: 1
; LDSByteSize: 0 bytes/workgroup (compile time only)
; SGPRBlocks: 0
; VGPRBlocks: 0
; NumSGPRsForWavesPerEU: 4
; NumVGPRsForWavesPerEU: 1
; Occupancy: 10
; WaveLimiterHint : 0
; COMPUTE_PGM_RSRC2:SCRATCH_EN: 0
; COMPUTE_PGM_RSRC2:USER_SGPR: 6
; COMPUTE_PGM_RSRC2:TRAP_HANDLER: 0
; COMPUTE_PGM_RSRC2:TGID_X_EN: 1
; COMPUTE_PGM_RSRC2:TGID_Y_EN: 0
; COMPUTE_PGM_RSRC2:TGID_Z_EN: 0
; COMPUTE_PGM_RSRC2:TIDIG_COMP_CNT: 0
	.section	.text._ZN7rocprim17ROCPRIM_400000_NS6detail17trampoline_kernelINS0_14default_configENS1_36segmented_radix_sort_config_selectorIslEEZNS1_25segmented_radix_sort_implIS3_Lb0EPKsPsPKlPlN2at6native12_GLOBAL__N_18offset_tEEE10hipError_tPvRmT1_PNSt15iterator_traitsISK_E10value_typeET2_T3_PNSL_ISQ_E10value_typeET4_jRbjT5_SW_jjP12ihipStream_tbEUlT_E2_NS1_11comp_targetILNS1_3genE3ELNS1_11target_archE908ELNS1_3gpuE7ELNS1_3repE0EEENS1_30default_config_static_selectorELNS0_4arch9wavefront6targetE1EEEvSK_,"axG",@progbits,_ZN7rocprim17ROCPRIM_400000_NS6detail17trampoline_kernelINS0_14default_configENS1_36segmented_radix_sort_config_selectorIslEEZNS1_25segmented_radix_sort_implIS3_Lb0EPKsPsPKlPlN2at6native12_GLOBAL__N_18offset_tEEE10hipError_tPvRmT1_PNSt15iterator_traitsISK_E10value_typeET2_T3_PNSL_ISQ_E10value_typeET4_jRbjT5_SW_jjP12ihipStream_tbEUlT_E2_NS1_11comp_targetILNS1_3genE3ELNS1_11target_archE908ELNS1_3gpuE7ELNS1_3repE0EEENS1_30default_config_static_selectorELNS0_4arch9wavefront6targetE1EEEvSK_,comdat
	.globl	_ZN7rocprim17ROCPRIM_400000_NS6detail17trampoline_kernelINS0_14default_configENS1_36segmented_radix_sort_config_selectorIslEEZNS1_25segmented_radix_sort_implIS3_Lb0EPKsPsPKlPlN2at6native12_GLOBAL__N_18offset_tEEE10hipError_tPvRmT1_PNSt15iterator_traitsISK_E10value_typeET2_T3_PNSL_ISQ_E10value_typeET4_jRbjT5_SW_jjP12ihipStream_tbEUlT_E2_NS1_11comp_targetILNS1_3genE3ELNS1_11target_archE908ELNS1_3gpuE7ELNS1_3repE0EEENS1_30default_config_static_selectorELNS0_4arch9wavefront6targetE1EEEvSK_ ; -- Begin function _ZN7rocprim17ROCPRIM_400000_NS6detail17trampoline_kernelINS0_14default_configENS1_36segmented_radix_sort_config_selectorIslEEZNS1_25segmented_radix_sort_implIS3_Lb0EPKsPsPKlPlN2at6native12_GLOBAL__N_18offset_tEEE10hipError_tPvRmT1_PNSt15iterator_traitsISK_E10value_typeET2_T3_PNSL_ISQ_E10value_typeET4_jRbjT5_SW_jjP12ihipStream_tbEUlT_E2_NS1_11comp_targetILNS1_3genE3ELNS1_11target_archE908ELNS1_3gpuE7ELNS1_3repE0EEENS1_30default_config_static_selectorELNS0_4arch9wavefront6targetE1EEEvSK_
	.p2align	8
	.type	_ZN7rocprim17ROCPRIM_400000_NS6detail17trampoline_kernelINS0_14default_configENS1_36segmented_radix_sort_config_selectorIslEEZNS1_25segmented_radix_sort_implIS3_Lb0EPKsPsPKlPlN2at6native12_GLOBAL__N_18offset_tEEE10hipError_tPvRmT1_PNSt15iterator_traitsISK_E10value_typeET2_T3_PNSL_ISQ_E10value_typeET4_jRbjT5_SW_jjP12ihipStream_tbEUlT_E2_NS1_11comp_targetILNS1_3genE3ELNS1_11target_archE908ELNS1_3gpuE7ELNS1_3repE0EEENS1_30default_config_static_selectorELNS0_4arch9wavefront6targetE1EEEvSK_,@function
_ZN7rocprim17ROCPRIM_400000_NS6detail17trampoline_kernelINS0_14default_configENS1_36segmented_radix_sort_config_selectorIslEEZNS1_25segmented_radix_sort_implIS3_Lb0EPKsPsPKlPlN2at6native12_GLOBAL__N_18offset_tEEE10hipError_tPvRmT1_PNSt15iterator_traitsISK_E10value_typeET2_T3_PNSL_ISQ_E10value_typeET4_jRbjT5_SW_jjP12ihipStream_tbEUlT_E2_NS1_11comp_targetILNS1_3genE3ELNS1_11target_archE908ELNS1_3gpuE7ELNS1_3repE0EEENS1_30default_config_static_selectorELNS0_4arch9wavefront6targetE1EEEvSK_: ; @_ZN7rocprim17ROCPRIM_400000_NS6detail17trampoline_kernelINS0_14default_configENS1_36segmented_radix_sort_config_selectorIslEEZNS1_25segmented_radix_sort_implIS3_Lb0EPKsPsPKlPlN2at6native12_GLOBAL__N_18offset_tEEE10hipError_tPvRmT1_PNSt15iterator_traitsISK_E10value_typeET2_T3_PNSL_ISQ_E10value_typeET4_jRbjT5_SW_jjP12ihipStream_tbEUlT_E2_NS1_11comp_targetILNS1_3genE3ELNS1_11target_archE908ELNS1_3gpuE7ELNS1_3repE0EEENS1_30default_config_static_selectorELNS0_4arch9wavefront6targetE1EEEvSK_
; %bb.0:
	.section	.rodata,"a",@progbits
	.p2align	6, 0x0
	.amdhsa_kernel _ZN7rocprim17ROCPRIM_400000_NS6detail17trampoline_kernelINS0_14default_configENS1_36segmented_radix_sort_config_selectorIslEEZNS1_25segmented_radix_sort_implIS3_Lb0EPKsPsPKlPlN2at6native12_GLOBAL__N_18offset_tEEE10hipError_tPvRmT1_PNSt15iterator_traitsISK_E10value_typeET2_T3_PNSL_ISQ_E10value_typeET4_jRbjT5_SW_jjP12ihipStream_tbEUlT_E2_NS1_11comp_targetILNS1_3genE3ELNS1_11target_archE908ELNS1_3gpuE7ELNS1_3repE0EEENS1_30default_config_static_selectorELNS0_4arch9wavefront6targetE1EEEvSK_
		.amdhsa_group_segment_fixed_size 0
		.amdhsa_private_segment_fixed_size 0
		.amdhsa_kernarg_size 80
		.amdhsa_user_sgpr_count 6
		.amdhsa_user_sgpr_private_segment_buffer 1
		.amdhsa_user_sgpr_dispatch_ptr 0
		.amdhsa_user_sgpr_queue_ptr 0
		.amdhsa_user_sgpr_kernarg_segment_ptr 1
		.amdhsa_user_sgpr_dispatch_id 0
		.amdhsa_user_sgpr_flat_scratch_init 0
		.amdhsa_user_sgpr_private_segment_size 0
		.amdhsa_uses_dynamic_stack 0
		.amdhsa_system_sgpr_private_segment_wavefront_offset 0
		.amdhsa_system_sgpr_workgroup_id_x 1
		.amdhsa_system_sgpr_workgroup_id_y 0
		.amdhsa_system_sgpr_workgroup_id_z 0
		.amdhsa_system_sgpr_workgroup_info 0
		.amdhsa_system_vgpr_workitem_id 0
		.amdhsa_next_free_vgpr 1
		.amdhsa_next_free_sgpr 0
		.amdhsa_reserve_vcc 0
		.amdhsa_reserve_flat_scratch 0
		.amdhsa_float_round_mode_32 0
		.amdhsa_float_round_mode_16_64 0
		.amdhsa_float_denorm_mode_32 3
		.amdhsa_float_denorm_mode_16_64 3
		.amdhsa_dx10_clamp 1
		.amdhsa_ieee_mode 1
		.amdhsa_fp16_overflow 0
		.amdhsa_exception_fp_ieee_invalid_op 0
		.amdhsa_exception_fp_denorm_src 0
		.amdhsa_exception_fp_ieee_div_zero 0
		.amdhsa_exception_fp_ieee_overflow 0
		.amdhsa_exception_fp_ieee_underflow 0
		.amdhsa_exception_fp_ieee_inexact 0
		.amdhsa_exception_int_div_zero 0
	.end_amdhsa_kernel
	.section	.text._ZN7rocprim17ROCPRIM_400000_NS6detail17trampoline_kernelINS0_14default_configENS1_36segmented_radix_sort_config_selectorIslEEZNS1_25segmented_radix_sort_implIS3_Lb0EPKsPsPKlPlN2at6native12_GLOBAL__N_18offset_tEEE10hipError_tPvRmT1_PNSt15iterator_traitsISK_E10value_typeET2_T3_PNSL_ISQ_E10value_typeET4_jRbjT5_SW_jjP12ihipStream_tbEUlT_E2_NS1_11comp_targetILNS1_3genE3ELNS1_11target_archE908ELNS1_3gpuE7ELNS1_3repE0EEENS1_30default_config_static_selectorELNS0_4arch9wavefront6targetE1EEEvSK_,"axG",@progbits,_ZN7rocprim17ROCPRIM_400000_NS6detail17trampoline_kernelINS0_14default_configENS1_36segmented_radix_sort_config_selectorIslEEZNS1_25segmented_radix_sort_implIS3_Lb0EPKsPsPKlPlN2at6native12_GLOBAL__N_18offset_tEEE10hipError_tPvRmT1_PNSt15iterator_traitsISK_E10value_typeET2_T3_PNSL_ISQ_E10value_typeET4_jRbjT5_SW_jjP12ihipStream_tbEUlT_E2_NS1_11comp_targetILNS1_3genE3ELNS1_11target_archE908ELNS1_3gpuE7ELNS1_3repE0EEENS1_30default_config_static_selectorELNS0_4arch9wavefront6targetE1EEEvSK_,comdat
.Lfunc_end1047:
	.size	_ZN7rocprim17ROCPRIM_400000_NS6detail17trampoline_kernelINS0_14default_configENS1_36segmented_radix_sort_config_selectorIslEEZNS1_25segmented_radix_sort_implIS3_Lb0EPKsPsPKlPlN2at6native12_GLOBAL__N_18offset_tEEE10hipError_tPvRmT1_PNSt15iterator_traitsISK_E10value_typeET2_T3_PNSL_ISQ_E10value_typeET4_jRbjT5_SW_jjP12ihipStream_tbEUlT_E2_NS1_11comp_targetILNS1_3genE3ELNS1_11target_archE908ELNS1_3gpuE7ELNS1_3repE0EEENS1_30default_config_static_selectorELNS0_4arch9wavefront6targetE1EEEvSK_, .Lfunc_end1047-_ZN7rocprim17ROCPRIM_400000_NS6detail17trampoline_kernelINS0_14default_configENS1_36segmented_radix_sort_config_selectorIslEEZNS1_25segmented_radix_sort_implIS3_Lb0EPKsPsPKlPlN2at6native12_GLOBAL__N_18offset_tEEE10hipError_tPvRmT1_PNSt15iterator_traitsISK_E10value_typeET2_T3_PNSL_ISQ_E10value_typeET4_jRbjT5_SW_jjP12ihipStream_tbEUlT_E2_NS1_11comp_targetILNS1_3genE3ELNS1_11target_archE908ELNS1_3gpuE7ELNS1_3repE0EEENS1_30default_config_static_selectorELNS0_4arch9wavefront6targetE1EEEvSK_
                                        ; -- End function
	.set _ZN7rocprim17ROCPRIM_400000_NS6detail17trampoline_kernelINS0_14default_configENS1_36segmented_radix_sort_config_selectorIslEEZNS1_25segmented_radix_sort_implIS3_Lb0EPKsPsPKlPlN2at6native12_GLOBAL__N_18offset_tEEE10hipError_tPvRmT1_PNSt15iterator_traitsISK_E10value_typeET2_T3_PNSL_ISQ_E10value_typeET4_jRbjT5_SW_jjP12ihipStream_tbEUlT_E2_NS1_11comp_targetILNS1_3genE3ELNS1_11target_archE908ELNS1_3gpuE7ELNS1_3repE0EEENS1_30default_config_static_selectorELNS0_4arch9wavefront6targetE1EEEvSK_.num_vgpr, 0
	.set _ZN7rocprim17ROCPRIM_400000_NS6detail17trampoline_kernelINS0_14default_configENS1_36segmented_radix_sort_config_selectorIslEEZNS1_25segmented_radix_sort_implIS3_Lb0EPKsPsPKlPlN2at6native12_GLOBAL__N_18offset_tEEE10hipError_tPvRmT1_PNSt15iterator_traitsISK_E10value_typeET2_T3_PNSL_ISQ_E10value_typeET4_jRbjT5_SW_jjP12ihipStream_tbEUlT_E2_NS1_11comp_targetILNS1_3genE3ELNS1_11target_archE908ELNS1_3gpuE7ELNS1_3repE0EEENS1_30default_config_static_selectorELNS0_4arch9wavefront6targetE1EEEvSK_.num_agpr, 0
	.set _ZN7rocprim17ROCPRIM_400000_NS6detail17trampoline_kernelINS0_14default_configENS1_36segmented_radix_sort_config_selectorIslEEZNS1_25segmented_radix_sort_implIS3_Lb0EPKsPsPKlPlN2at6native12_GLOBAL__N_18offset_tEEE10hipError_tPvRmT1_PNSt15iterator_traitsISK_E10value_typeET2_T3_PNSL_ISQ_E10value_typeET4_jRbjT5_SW_jjP12ihipStream_tbEUlT_E2_NS1_11comp_targetILNS1_3genE3ELNS1_11target_archE908ELNS1_3gpuE7ELNS1_3repE0EEENS1_30default_config_static_selectorELNS0_4arch9wavefront6targetE1EEEvSK_.numbered_sgpr, 0
	.set _ZN7rocprim17ROCPRIM_400000_NS6detail17trampoline_kernelINS0_14default_configENS1_36segmented_radix_sort_config_selectorIslEEZNS1_25segmented_radix_sort_implIS3_Lb0EPKsPsPKlPlN2at6native12_GLOBAL__N_18offset_tEEE10hipError_tPvRmT1_PNSt15iterator_traitsISK_E10value_typeET2_T3_PNSL_ISQ_E10value_typeET4_jRbjT5_SW_jjP12ihipStream_tbEUlT_E2_NS1_11comp_targetILNS1_3genE3ELNS1_11target_archE908ELNS1_3gpuE7ELNS1_3repE0EEENS1_30default_config_static_selectorELNS0_4arch9wavefront6targetE1EEEvSK_.num_named_barrier, 0
	.set _ZN7rocprim17ROCPRIM_400000_NS6detail17trampoline_kernelINS0_14default_configENS1_36segmented_radix_sort_config_selectorIslEEZNS1_25segmented_radix_sort_implIS3_Lb0EPKsPsPKlPlN2at6native12_GLOBAL__N_18offset_tEEE10hipError_tPvRmT1_PNSt15iterator_traitsISK_E10value_typeET2_T3_PNSL_ISQ_E10value_typeET4_jRbjT5_SW_jjP12ihipStream_tbEUlT_E2_NS1_11comp_targetILNS1_3genE3ELNS1_11target_archE908ELNS1_3gpuE7ELNS1_3repE0EEENS1_30default_config_static_selectorELNS0_4arch9wavefront6targetE1EEEvSK_.private_seg_size, 0
	.set _ZN7rocprim17ROCPRIM_400000_NS6detail17trampoline_kernelINS0_14default_configENS1_36segmented_radix_sort_config_selectorIslEEZNS1_25segmented_radix_sort_implIS3_Lb0EPKsPsPKlPlN2at6native12_GLOBAL__N_18offset_tEEE10hipError_tPvRmT1_PNSt15iterator_traitsISK_E10value_typeET2_T3_PNSL_ISQ_E10value_typeET4_jRbjT5_SW_jjP12ihipStream_tbEUlT_E2_NS1_11comp_targetILNS1_3genE3ELNS1_11target_archE908ELNS1_3gpuE7ELNS1_3repE0EEENS1_30default_config_static_selectorELNS0_4arch9wavefront6targetE1EEEvSK_.uses_vcc, 0
	.set _ZN7rocprim17ROCPRIM_400000_NS6detail17trampoline_kernelINS0_14default_configENS1_36segmented_radix_sort_config_selectorIslEEZNS1_25segmented_radix_sort_implIS3_Lb0EPKsPsPKlPlN2at6native12_GLOBAL__N_18offset_tEEE10hipError_tPvRmT1_PNSt15iterator_traitsISK_E10value_typeET2_T3_PNSL_ISQ_E10value_typeET4_jRbjT5_SW_jjP12ihipStream_tbEUlT_E2_NS1_11comp_targetILNS1_3genE3ELNS1_11target_archE908ELNS1_3gpuE7ELNS1_3repE0EEENS1_30default_config_static_selectorELNS0_4arch9wavefront6targetE1EEEvSK_.uses_flat_scratch, 0
	.set _ZN7rocprim17ROCPRIM_400000_NS6detail17trampoline_kernelINS0_14default_configENS1_36segmented_radix_sort_config_selectorIslEEZNS1_25segmented_radix_sort_implIS3_Lb0EPKsPsPKlPlN2at6native12_GLOBAL__N_18offset_tEEE10hipError_tPvRmT1_PNSt15iterator_traitsISK_E10value_typeET2_T3_PNSL_ISQ_E10value_typeET4_jRbjT5_SW_jjP12ihipStream_tbEUlT_E2_NS1_11comp_targetILNS1_3genE3ELNS1_11target_archE908ELNS1_3gpuE7ELNS1_3repE0EEENS1_30default_config_static_selectorELNS0_4arch9wavefront6targetE1EEEvSK_.has_dyn_sized_stack, 0
	.set _ZN7rocprim17ROCPRIM_400000_NS6detail17trampoline_kernelINS0_14default_configENS1_36segmented_radix_sort_config_selectorIslEEZNS1_25segmented_radix_sort_implIS3_Lb0EPKsPsPKlPlN2at6native12_GLOBAL__N_18offset_tEEE10hipError_tPvRmT1_PNSt15iterator_traitsISK_E10value_typeET2_T3_PNSL_ISQ_E10value_typeET4_jRbjT5_SW_jjP12ihipStream_tbEUlT_E2_NS1_11comp_targetILNS1_3genE3ELNS1_11target_archE908ELNS1_3gpuE7ELNS1_3repE0EEENS1_30default_config_static_selectorELNS0_4arch9wavefront6targetE1EEEvSK_.has_recursion, 0
	.set _ZN7rocprim17ROCPRIM_400000_NS6detail17trampoline_kernelINS0_14default_configENS1_36segmented_radix_sort_config_selectorIslEEZNS1_25segmented_radix_sort_implIS3_Lb0EPKsPsPKlPlN2at6native12_GLOBAL__N_18offset_tEEE10hipError_tPvRmT1_PNSt15iterator_traitsISK_E10value_typeET2_T3_PNSL_ISQ_E10value_typeET4_jRbjT5_SW_jjP12ihipStream_tbEUlT_E2_NS1_11comp_targetILNS1_3genE3ELNS1_11target_archE908ELNS1_3gpuE7ELNS1_3repE0EEENS1_30default_config_static_selectorELNS0_4arch9wavefront6targetE1EEEvSK_.has_indirect_call, 0
	.section	.AMDGPU.csdata,"",@progbits
; Kernel info:
; codeLenInByte = 0
; TotalNumSgprs: 4
; NumVgprs: 0
; ScratchSize: 0
; MemoryBound: 0
; FloatMode: 240
; IeeeMode: 1
; LDSByteSize: 0 bytes/workgroup (compile time only)
; SGPRBlocks: 0
; VGPRBlocks: 0
; NumSGPRsForWavesPerEU: 4
; NumVGPRsForWavesPerEU: 1
; Occupancy: 10
; WaveLimiterHint : 0
; COMPUTE_PGM_RSRC2:SCRATCH_EN: 0
; COMPUTE_PGM_RSRC2:USER_SGPR: 6
; COMPUTE_PGM_RSRC2:TRAP_HANDLER: 0
; COMPUTE_PGM_RSRC2:TGID_X_EN: 1
; COMPUTE_PGM_RSRC2:TGID_Y_EN: 0
; COMPUTE_PGM_RSRC2:TGID_Z_EN: 0
; COMPUTE_PGM_RSRC2:TIDIG_COMP_CNT: 0
	.section	.text._ZN7rocprim17ROCPRIM_400000_NS6detail17trampoline_kernelINS0_14default_configENS1_36segmented_radix_sort_config_selectorIslEEZNS1_25segmented_radix_sort_implIS3_Lb0EPKsPsPKlPlN2at6native12_GLOBAL__N_18offset_tEEE10hipError_tPvRmT1_PNSt15iterator_traitsISK_E10value_typeET2_T3_PNSL_ISQ_E10value_typeET4_jRbjT5_SW_jjP12ihipStream_tbEUlT_E2_NS1_11comp_targetILNS1_3genE2ELNS1_11target_archE906ELNS1_3gpuE6ELNS1_3repE0EEENS1_30default_config_static_selectorELNS0_4arch9wavefront6targetE1EEEvSK_,"axG",@progbits,_ZN7rocprim17ROCPRIM_400000_NS6detail17trampoline_kernelINS0_14default_configENS1_36segmented_radix_sort_config_selectorIslEEZNS1_25segmented_radix_sort_implIS3_Lb0EPKsPsPKlPlN2at6native12_GLOBAL__N_18offset_tEEE10hipError_tPvRmT1_PNSt15iterator_traitsISK_E10value_typeET2_T3_PNSL_ISQ_E10value_typeET4_jRbjT5_SW_jjP12ihipStream_tbEUlT_E2_NS1_11comp_targetILNS1_3genE2ELNS1_11target_archE906ELNS1_3gpuE6ELNS1_3repE0EEENS1_30default_config_static_selectorELNS0_4arch9wavefront6targetE1EEEvSK_,comdat
	.globl	_ZN7rocprim17ROCPRIM_400000_NS6detail17trampoline_kernelINS0_14default_configENS1_36segmented_radix_sort_config_selectorIslEEZNS1_25segmented_radix_sort_implIS3_Lb0EPKsPsPKlPlN2at6native12_GLOBAL__N_18offset_tEEE10hipError_tPvRmT1_PNSt15iterator_traitsISK_E10value_typeET2_T3_PNSL_ISQ_E10value_typeET4_jRbjT5_SW_jjP12ihipStream_tbEUlT_E2_NS1_11comp_targetILNS1_3genE2ELNS1_11target_archE906ELNS1_3gpuE6ELNS1_3repE0EEENS1_30default_config_static_selectorELNS0_4arch9wavefront6targetE1EEEvSK_ ; -- Begin function _ZN7rocprim17ROCPRIM_400000_NS6detail17trampoline_kernelINS0_14default_configENS1_36segmented_radix_sort_config_selectorIslEEZNS1_25segmented_radix_sort_implIS3_Lb0EPKsPsPKlPlN2at6native12_GLOBAL__N_18offset_tEEE10hipError_tPvRmT1_PNSt15iterator_traitsISK_E10value_typeET2_T3_PNSL_ISQ_E10value_typeET4_jRbjT5_SW_jjP12ihipStream_tbEUlT_E2_NS1_11comp_targetILNS1_3genE2ELNS1_11target_archE906ELNS1_3gpuE6ELNS1_3repE0EEENS1_30default_config_static_selectorELNS0_4arch9wavefront6targetE1EEEvSK_
	.p2align	8
	.type	_ZN7rocprim17ROCPRIM_400000_NS6detail17trampoline_kernelINS0_14default_configENS1_36segmented_radix_sort_config_selectorIslEEZNS1_25segmented_radix_sort_implIS3_Lb0EPKsPsPKlPlN2at6native12_GLOBAL__N_18offset_tEEE10hipError_tPvRmT1_PNSt15iterator_traitsISK_E10value_typeET2_T3_PNSL_ISQ_E10value_typeET4_jRbjT5_SW_jjP12ihipStream_tbEUlT_E2_NS1_11comp_targetILNS1_3genE2ELNS1_11target_archE906ELNS1_3gpuE6ELNS1_3repE0EEENS1_30default_config_static_selectorELNS0_4arch9wavefront6targetE1EEEvSK_,@function
_ZN7rocprim17ROCPRIM_400000_NS6detail17trampoline_kernelINS0_14default_configENS1_36segmented_radix_sort_config_selectorIslEEZNS1_25segmented_radix_sort_implIS3_Lb0EPKsPsPKlPlN2at6native12_GLOBAL__N_18offset_tEEE10hipError_tPvRmT1_PNSt15iterator_traitsISK_E10value_typeET2_T3_PNSL_ISQ_E10value_typeET4_jRbjT5_SW_jjP12ihipStream_tbEUlT_E2_NS1_11comp_targetILNS1_3genE2ELNS1_11target_archE906ELNS1_3gpuE6ELNS1_3repE0EEENS1_30default_config_static_selectorELNS0_4arch9wavefront6targetE1EEEvSK_: ; @_ZN7rocprim17ROCPRIM_400000_NS6detail17trampoline_kernelINS0_14default_configENS1_36segmented_radix_sort_config_selectorIslEEZNS1_25segmented_radix_sort_implIS3_Lb0EPKsPsPKlPlN2at6native12_GLOBAL__N_18offset_tEEE10hipError_tPvRmT1_PNSt15iterator_traitsISK_E10value_typeET2_T3_PNSL_ISQ_E10value_typeET4_jRbjT5_SW_jjP12ihipStream_tbEUlT_E2_NS1_11comp_targetILNS1_3genE2ELNS1_11target_archE906ELNS1_3gpuE6ELNS1_3repE0EEENS1_30default_config_static_selectorELNS0_4arch9wavefront6targetE1EEEvSK_
; %bb.0:
	s_add_u32 s0, s0, s8
	s_load_dwordx4 s[8:11], s[4:5], 0x34
	s_addc_u32 s1, s1, 0
	s_mov_b32 s32, 0
	s_waitcnt lgkmcnt(0)
	s_add_i32 s49, s9, s6
	s_add_i32 s76, s11, s6
	s_mul_i32 s49, s49, s8
	s_mul_i32 s76, s76, s10
	s_cmp_le_u32 s76, s49
	s_cbranch_scc1 .LBB1048_422
; %bb.1:
	s_mov_b32 s48, s6
	s_load_dword s6, s[4:5], 0x30
	s_load_dwordx4 s[52:55], s[4:5], 0x20
	s_load_dwordx4 s[72:75], s[4:5], 0x44
	s_load_dwordx8 s[64:71], s[4:5], 0x0
	s_mov_b32 s33, s7
	s_waitcnt lgkmcnt(0)
	s_bitcmp1_b32 s6, 0
	s_cselect_b64 s[50:51], -1, 0
	s_sub_i32 s75, s76, s49
	s_cmpk_lt_u32 s75, 0x401
	s_mov_b64 s[6:7], -1
	s_cbranch_scc0 .LBB1048_15
; %bb.2:
	s_cmp_lt_u32 s75, 33
	s_cbranch_scc0 .LBB1048_9
; %bb.3:
	s_load_dword s6, s[4:5], 0x5c
	s_waitcnt lgkmcnt(0)
	s_lshr_b32 s7, s6, 16
	s_and_b32 s6, s6, 0xffff
	v_mad_u32_u24 v3, v2, s7, v1
	v_mad_u64_u32 v[3:4], s[6:7], v3, s6, v[0:1]
	v_cmp_gt_u32_e32 vcc, 8, v3
	s_and_saveexec_b64 s[34:35], vcc
	s_cbranch_execz .LBB1048_8
; %bb.4:
	s_and_b32 s6, s72, 1
	v_cndmask_b32_e64 v3, 0, 1, s[50:51]
	v_cmp_ne_u32_e32 vcc, s6, v3
	s_mov_b64 s[6:7], -1
	s_cbranch_vccnz .LBB1048_6
; %bb.5:
	s_add_u32 s8, s4, 0x50
	s_mov_b64 s[6:7], src_shared_base
	s_addc_u32 s9, s5, 0
	v_lshlrev_b32_e32 v3, 20, v2
	v_lshlrev_b32_e32 v4, 10, v1
	s_getpc_b64 s[10:11]
	s_add_u32 s10, s10, _ZN7rocprim17ROCPRIM_400000_NS6detail26segmented_warp_sort_helperINS1_20WarpSortHelperConfigILj8ELj4ELj256EEEslLi256ELb0EvE4sortIPKsPsPKlPlEEvT_T0_T1_T2_jjjjRNS5_12storage_typeE@rel32@lo+4
	s_addc_u32 s11, s11, _ZN7rocprim17ROCPRIM_400000_NS6detail26segmented_warp_sort_helperINS1_20WarpSortHelperConfigILj8ELj4ELj256EEEslLi256ELb0EvE4sortIPKsPsPKlPlEEvT_T0_T1_T2_jjjjRNS5_12storage_typeE@rel32@hi+12
	v_or3_b32 v31, v0, v4, v3
	s_mov_b32 s12, s48
	s_mov_b32 s13, s33
	v_mov_b32_e32 v40, v0
	v_mov_b32_e32 v0, s64
	;; [unrolled: 1-line block ×17, first 2 shown]
	s_mov_b64 s[36:37], s[4:5]
	s_swappc_b64 s[30:31], s[10:11]
	v_mov_b32_e32 v1, v41
	v_mov_b32_e32 v2, v42
	;; [unrolled: 1-line block ×3, first 2 shown]
	s_mov_b64 s[4:5], s[36:37]
	s_mov_b64 s[6:7], 0
.LBB1048_6:
	s_andn2_b64 vcc, exec, s[6:7]
	s_cbranch_vccnz .LBB1048_8
; %bb.7:
	s_add_u32 s8, s4, 0x50
	s_mov_b64 s[6:7], src_shared_base
	s_addc_u32 s9, s5, 0
	v_lshlrev_b32_e32 v3, 20, v2
	v_lshlrev_b32_e32 v4, 10, v1
	s_getpc_b64 s[10:11]
	s_add_u32 s10, s10, _ZN7rocprim17ROCPRIM_400000_NS6detail26segmented_warp_sort_helperINS1_20WarpSortHelperConfigILj8ELj4ELj256EEEslLi256ELb0EvE4sortIPKsPsPKlPlEEvT_T0_T1_T2_jjjjRNS5_12storage_typeE@rel32@lo+4
	s_addc_u32 s11, s11, _ZN7rocprim17ROCPRIM_400000_NS6detail26segmented_warp_sort_helperINS1_20WarpSortHelperConfigILj8ELj4ELj256EEEslLi256ELb0EvE4sortIPKsPsPKlPlEEvT_T0_T1_T2_jjjjRNS5_12storage_typeE@rel32@hi+12
	v_or3_b32 v31, v0, v4, v3
	s_mov_b32 s12, s48
	s_mov_b32 s13, s33
	v_mov_b32_e32 v40, v0
	v_mov_b32_e32 v0, s64
	;; [unrolled: 1-line block ×17, first 2 shown]
	s_mov_b64 s[36:37], s[4:5]
	s_swappc_b64 s[30:31], s[10:11]
	v_mov_b32_e32 v1, v41
	v_mov_b32_e32 v2, v42
	;; [unrolled: 1-line block ×3, first 2 shown]
	s_mov_b64 s[4:5], s[36:37]
.LBB1048_8:
	s_or_b64 exec, exec, s[34:35]
	s_mov_b64 s[6:7], 0
.LBB1048_9:
	s_andn2_b64 vcc, exec, s[6:7]
	s_cbranch_vccnz .LBB1048_14
; %bb.10:
	s_and_b32 s6, s72, 1
	v_cndmask_b32_e64 v3, 0, 1, s[50:51]
	v_cmp_ne_u32_e32 vcc, s6, v3
	s_mov_b64 s[6:7], -1
	v_lshlrev_b32_e32 v41, 20, v2
	v_lshlrev_b32_e32 v42, 10, v1
	s_cbranch_vccnz .LBB1048_12
; %bb.11:
	s_add_u32 s8, s4, 0x50
	s_mov_b64 s[6:7], src_shared_base
	s_addc_u32 s9, s5, 0
	s_getpc_b64 s[10:11]
	s_add_u32 s10, s10, _ZN7rocprim17ROCPRIM_400000_NS6detail40segmented_radix_sort_single_block_helperIslLj256ELj4ELb0EE4sortIPKsPsPKlPlEEbT_T0_T1_T2_jjjjRNS3_12storage_typeE@rel32@lo+4
	s_addc_u32 s11, s11, _ZN7rocprim17ROCPRIM_400000_NS6detail40segmented_radix_sort_single_block_helperIslLj256ELj4ELb0EE4sortIPKsPsPKlPlEEbT_T0_T1_T2_jjjjRNS3_12storage_typeE@rel32@hi+12
	v_or3_b32 v31, v0, v42, v41
	s_mov_b32 s12, s48
	s_mov_b32 s13, s33
	v_mov_b32_e32 v40, v0
	v_mov_b32_e32 v0, s64
	;; [unrolled: 1-line block ×17, first 2 shown]
	s_mov_b64 s[34:35], s[4:5]
	s_swappc_b64 s[30:31], s[10:11]
	v_mov_b32_e32 v1, v43
	v_mov_b32_e32 v2, v44
	;; [unrolled: 1-line block ×3, first 2 shown]
	s_mov_b64 s[4:5], s[34:35]
	s_mov_b64 s[6:7], 0
.LBB1048_12:
	s_andn2_b64 vcc, exec, s[6:7]
	s_cbranch_vccnz .LBB1048_14
; %bb.13:
	s_add_u32 s8, s4, 0x50
	s_mov_b64 s[6:7], src_shared_base
	s_addc_u32 s9, s5, 0
	s_getpc_b64 s[10:11]
	s_add_u32 s10, s10, _ZN7rocprim17ROCPRIM_400000_NS6detail40segmented_radix_sort_single_block_helperIslLj256ELj4ELb0EE4sortIPKsPsPKlPlEEbT_T0_T1_T2_jjjjRNS3_12storage_typeE@rel32@lo+4
	s_addc_u32 s11, s11, _ZN7rocprim17ROCPRIM_400000_NS6detail40segmented_radix_sort_single_block_helperIslLj256ELj4ELb0EE4sortIPKsPsPKlPlEEbT_T0_T1_T2_jjjjRNS3_12storage_typeE@rel32@hi+12
	v_or3_b32 v31, v0, v42, v41
	s_mov_b32 s12, s48
	s_mov_b32 s13, s33
	v_mov_b32_e32 v40, v0
	v_mov_b32_e32 v0, s64
	v_mov_b32_e32 v41, v1
	v_mov_b32_e32 v1, s65
	v_mov_b32_e32 v42, v2
	v_mov_b32_e32 v2, s66
	v_mov_b32_e32 v3, s67
	v_mov_b32_e32 v4, s70
	v_mov_b32_e32 v5, s71
	v_mov_b32_e32 v6, s52
	v_mov_b32_e32 v7, s53
	v_mov_b32_e32 v8, s49
	v_mov_b32_e32 v9, s76
	v_mov_b32_e32 v10, s73
	v_mov_b32_e32 v11, s74
	v_mov_b32_e32 v12, 0
	v_mov_b32_e32 v13, s7
	s_mov_b64 s[34:35], s[4:5]
	s_swappc_b64 s[30:31], s[10:11]
	v_mov_b32_e32 v1, v41
	v_mov_b32_e32 v2, v42
	;; [unrolled: 1-line block ×3, first 2 shown]
	s_mov_b64 s[4:5], s[34:35]
.LBB1048_14:
	s_mov_b64 s[6:7], 0
.LBB1048_15:
	s_andn2_b64 vcc, exec, s[6:7]
	s_cbranch_vccnz .LBB1048_422
; %bb.16:
	s_cmp_ge_u32 s73, s74
	s_cbranch_scc1 .LBB1048_422
; %bb.17:
	v_and_b32_e32 v3, 3, v0
	v_lshlrev_b32_e32 v19, 2, v0
	s_movk_i32 s6, 0x100
	v_lshlrev_b32_e32 v4, 1, v0
	v_lshlrev_b32_e32 v25, 2, v3
	v_or_b32_e32 v3, 63, v0
	v_mov_b32_e32 v5, s69
	v_add_co_u32_e32 v23, vcc, s68, v4
	s_mov_b64 s[12:13], s[4:5]
	v_cmp_gt_u32_e64 s[4:5], s6, v0
	v_mad_u32_u24 v26, v0, 12, v19
	v_cmp_eq_u32_e64 s[6:7], v0, v3
	v_lshrrev_b32_e32 v3, 4, v0
	v_addc_co_u32_e32 v24, vcc, 0, v5, vcc
	v_and_b32_e32 v27, 12, v3
	v_and_b32_e32 v3, 0x300, v19
	v_add_u32_e32 v30, v26, v19
	v_lshlrev_b32_e32 v5, 4, v0
	v_sub_u32_e32 v31, v30, v5
	v_lshlrev_b32_e32 v5, 3, v3
	v_mov_b32_e32 v6, s55
	v_add_co_u32_e32 v32, vcc, s54, v5
	v_addc_co_u32_e32 v33, vcc, 0, v6, vcc
	v_lshlrev_b32_e32 v6, 1, v3
	v_mov_b32_e32 v7, s69
	v_add_co_u32_e32 v34, vcc, s68, v6
	v_addc_co_u32_e32 v35, vcc, 0, v7, vcc
	v_mov_b32_e32 v7, s67
	v_add_co_u32_e32 v37, vcc, s66, v4
	v_addc_co_u32_e32 v38, vcc, 0, v7, vcc
	;; [unrolled: 3-line block ×5, first 2 shown]
	v_sub_u32_e32 v36, v31, v4
	v_mov_b32_e32 v4, s71
	v_add_co_u32_e32 v45, vcc, s70, v5
	v_addc_co_u32_e32 v46, vcc, 0, v4, vcc
	v_mov_b32_e32 v4, s65
	v_add_co_u32_e32 v47, vcc, s64, v6
	v_addc_co_u32_e32 v48, vcc, 0, v4, vcc
	v_mbcnt_lo_u32_b32 v4, -1, 0
	v_mbcnt_hi_u32_b32 v49, -1, v4
	v_and_b32_e32 v4, 63, v49
	s_add_u32 s44, s12, 0x50
	s_movk_i32 s14, 0xff
	v_or_b32_e32 v51, v4, v3
	v_or_b32_e32 v20, 0x100, v0
	;; [unrolled: 1-line block ×5, first 2 shown]
	v_cmp_gt_u32_e64 s[8:9], 4, v0
	v_or_b32_e32 v29, 0x2800, v19
	v_cmp_lt_u32_e64 s[10:11], 63, v0
	s_addc_u32 s45, s13, 0
	s_mov_b32 s47, 0
	v_cmp_eq_u32_e64 s[12:13], 0, v0
	v_cmp_ne_u32_e64 s[14:15], s14, v0
	s_mov_b32 s58, 0x5040100
	s_mov_b32 s59, 0xffff
	s_movk_i32 s60, 0x8000
	s_movk_i32 s61, 0x7fff
	v_lshlrev_b32_e32 v50, 3, v4
	v_lshlrev_b32_e32 v52, 1, v4
	s_mov_b32 s62, s73
	v_add_u32_e32 v53, 0x27fc, v27
	v_mul_u32_u24_e32 v54, 6, v0
	v_mov_b32_e32 v55, 1
	v_add_u32_e32 v56, 0x410, v30
	v_add_u32_e32 v57, 0x418, v30
	v_lshlrev_b32_e32 v58, 1, v0
	v_and_b32_e32 v59, 15, v49
	v_bfe_i32 v60, v49, 4, 1
	v_and_b32_e32 v61, 16, v49
	v_and_b32_e32 v62, 3, v49
	;; [unrolled: 1-line block ×3, first 2 shown]
	v_or_b32_e32 v64, 64, v51
	v_or_b32_e32 v65, 0x80, v51
	;; [unrolled: 1-line block ×3, first 2 shown]
	v_mov_b32_e32 v67, 0x5040100
	v_mov_b32_e32 v3, 0
	;; [unrolled: 1-line block ×3, first 2 shown]
	s_branch .LBB1048_20
.LBB1048_18:                            ;   in Loop: Header=BB1048_20 Depth=1
	s_waitcnt lgkmcnt(0)
	s_barrier
.LBB1048_19:                            ;   in Loop: Header=BB1048_20 Depth=1
	s_add_i32 s62, s62, 8
	s_cmp_ge_u32 s62, s74
	s_cbranch_scc1 .LBB1048_422
.LBB1048_20:                            ; =>This Loop Header: Depth=1
                                        ;     Child Loop BB1048_24 Depth 2
                                        ;     Child Loop BB1048_56 Depth 2
	;; [unrolled: 1-line block ×8, first 2 shown]
	s_sub_i32 s16, s74, s62
	s_min_u32 s16, s16, 8
	s_lshl_b32 s16, -1, s16
	s_xor_b64 s[50:51], s[50:51], -1
	s_not_b32 s63, s16
	s_cmp_lg_u32 s62, s73
	s_mov_b64 s[16:17], -1
	ds_write2st64_b32 v19, v3, v3 offset1:4
	ds_write2st64_b32 v19, v3, v3 offset0:8 offset1:12
	s_waitcnt lgkmcnt(0)
	s_cbranch_scc0 .LBB1048_222
; %bb.21:                               ;   in Loop: Header=BB1048_20 Depth=1
	s_and_b64 vcc, exec, s[50:51]
	s_cbranch_vccz .LBB1048_121
; %bb.22:                               ;   in Loop: Header=BB1048_20 Depth=1
	v_mov_b32_e32 v4, v3
	v_mov_b32_e32 v7, v4
	s_mov_b32 s20, s75
	s_mov_b32 s46, s49
	v_mov_b32_e32 v6, v3
	s_barrier
	s_branch .LBB1048_24
.LBB1048_23:                            ;   in Loop: Header=BB1048_24 Depth=2
	s_or_b64 exec, exec, s[16:17]
	s_addk_i32 s20, 0xfc00
	s_cmp_ge_u32 s21, s76
	s_mov_b32 s46, s21
	s_cbranch_scc1 .LBB1048_44
.LBB1048_24:                            ;   Parent Loop BB1048_20 Depth=1
                                        ; =>  This Inner Loop Header: Depth=2
	s_add_i32 s21, s46, 0x400
	s_cmp_gt_u32 s21, s76
	s_mov_b64 s[16:17], -1
                                        ; implicit-def: $vgpr8_vgpr9
	s_cbranch_scc1 .LBB1048_26
; %bb.25:                               ;   in Loop: Header=BB1048_24 Depth=2
	s_lshl_b64 s[16:17], s[46:47], 1
	v_mov_b32_e32 v4, s17
	v_add_co_u32_e32 v8, vcc, s16, v23
	v_addc_co_u32_e32 v9, vcc, v24, v4, vcc
	global_load_ushort v4, v[8:9], off
	global_load_ushort v10, v[8:9], off offset:1024
	global_load_ushort v11, v[8:9], off offset:1536
	;; [unrolled: 1-line block ×3, first 2 shown]
	s_mov_b64 s[16:17], 0
	s_waitcnt vmcnt(1)
	v_perm_b32 v9, v11, v10, s58
	s_waitcnt vmcnt(0)
	v_perm_b32 v8, v12, v4, s58
.LBB1048_26:                            ;   in Loop: Header=BB1048_24 Depth=2
	s_andn2_b64 vcc, exec, s[16:17]
	s_movk_i32 s18, 0x400
	s_cbranch_vccnz .LBB1048_33
; %bb.27:                               ;   in Loop: Header=BB1048_24 Depth=2
	s_lshl_b64 s[16:17], s[46:47], 1
	s_add_u32 s16, s68, s16
	s_addc_u32 s17, s69, s17
	v_cmp_gt_u32_e32 vcc, s20, v0
	s_and_saveexec_b64 s[18:19], vcc
	s_cbranch_execnz .LBB1048_41
; %bb.28:                               ;   in Loop: Header=BB1048_24 Depth=2
	s_or_b64 exec, exec, s[18:19]
	v_cmp_gt_u32_e32 vcc, s20, v20
	s_and_saveexec_b64 s[18:19], vcc
	s_cbranch_execnz .LBB1048_42
.LBB1048_29:                            ;   in Loop: Header=BB1048_24 Depth=2
	s_or_b64 exec, exec, s[18:19]
	v_cmp_gt_u32_e32 vcc, s20, v21
	s_and_saveexec_b64 s[18:19], vcc
	s_cbranch_execnz .LBB1048_43
.LBB1048_30:                            ;   in Loop: Header=BB1048_24 Depth=2
	s_or_b64 exec, exec, s[18:19]
	v_cmp_gt_u32_e32 vcc, s20, v22
	s_and_saveexec_b64 s[18:19], vcc
	s_cbranch_execz .LBB1048_32
.LBB1048_31:                            ;   in Loop: Header=BB1048_24 Depth=2
	global_load_ushort v4, v58, s[16:17] offset:1536
	s_waitcnt vmcnt(0)
	v_perm_b32 v7, v4, v7, s58
.LBB1048_32:                            ;   in Loop: Header=BB1048_24 Depth=2
	s_or_b64 exec, exec, s[18:19]
	v_mov_b32_e32 v9, v7
	s_mov_b32 s18, s20
	v_mov_b32_e32 v8, v6
.LBB1048_33:                            ;   in Loop: Header=BB1048_24 Depth=2
	v_mov_b32_e32 v6, v8
	v_mov_b32_e32 v7, v9
	v_cmp_gt_u32_e32 vcc, s18, v0
	s_and_saveexec_b64 s[16:17], vcc
	s_cbranch_execnz .LBB1048_37
; %bb.34:                               ;   in Loop: Header=BB1048_24 Depth=2
	s_or_b64 exec, exec, s[16:17]
	v_cmp_gt_u32_e32 vcc, s18, v20
	s_and_saveexec_b64 s[16:17], vcc
	s_cbranch_execnz .LBB1048_38
.LBB1048_35:                            ;   in Loop: Header=BB1048_24 Depth=2
	s_or_b64 exec, exec, s[16:17]
	v_cmp_gt_u32_e32 vcc, s18, v21
	s_and_saveexec_b64 s[16:17], vcc
	s_cbranch_execnz .LBB1048_39
.LBB1048_36:                            ;   in Loop: Header=BB1048_24 Depth=2
	s_or_b64 exec, exec, s[16:17]
	v_cmp_gt_u32_e32 vcc, s18, v22
	s_and_saveexec_b64 s[16:17], vcc
	s_cbranch_execz .LBB1048_23
	s_branch .LBB1048_40
.LBB1048_37:                            ;   in Loop: Header=BB1048_24 Depth=2
	v_xor_b32_e32 v4, 0xffff8000, v6
	v_lshrrev_b32_sdwa v4, s62, v4 dst_sel:DWORD dst_unused:UNUSED_PAD src0_sel:DWORD src1_sel:WORD_0
	v_and_b32_e32 v4, s63, v4
	v_lshl_or_b32 v4, v4, 4, v25
	ds_add_u32 v4, v55
	s_or_b64 exec, exec, s[16:17]
	v_cmp_gt_u32_e32 vcc, s18, v20
	s_and_saveexec_b64 s[16:17], vcc
	s_cbranch_execz .LBB1048_35
.LBB1048_38:                            ;   in Loop: Header=BB1048_24 Depth=2
	v_xor_b32_sdwa v4, v6, s60 dst_sel:DWORD dst_unused:UNUSED_PAD src0_sel:WORD_1 src1_sel:DWORD
	v_lshrrev_b32_sdwa v4, s62, v4 dst_sel:DWORD dst_unused:UNUSED_PAD src0_sel:DWORD src1_sel:WORD_0
	v_and_b32_e32 v4, s63, v4
	v_lshl_or_b32 v4, v4, 4, v25
	ds_add_u32 v4, v55
	s_or_b64 exec, exec, s[16:17]
	v_cmp_gt_u32_e32 vcc, s18, v21
	s_and_saveexec_b64 s[16:17], vcc
	s_cbranch_execz .LBB1048_36
.LBB1048_39:                            ;   in Loop: Header=BB1048_24 Depth=2
	v_xor_b32_e32 v4, 0xffff8000, v7
	v_lshrrev_b32_sdwa v4, s62, v4 dst_sel:DWORD dst_unused:UNUSED_PAD src0_sel:DWORD src1_sel:WORD_0
	v_and_b32_e32 v4, s63, v4
	v_lshl_or_b32 v4, v4, 4, v25
	ds_add_u32 v4, v55
	s_or_b64 exec, exec, s[16:17]
	v_cmp_gt_u32_e32 vcc, s18, v22
	s_and_saveexec_b64 s[16:17], vcc
	s_cbranch_execz .LBB1048_23
.LBB1048_40:                            ;   in Loop: Header=BB1048_24 Depth=2
	v_xor_b32_sdwa v4, v7, s60 dst_sel:DWORD dst_unused:UNUSED_PAD src0_sel:WORD_1 src1_sel:DWORD
	v_lshrrev_b32_sdwa v4, s62, v4 dst_sel:DWORD dst_unused:UNUSED_PAD src0_sel:DWORD src1_sel:WORD_0
	v_and_b32_e32 v4, s63, v4
	v_lshl_or_b32 v4, v4, 4, v25
	ds_add_u32 v4, v55
	s_branch .LBB1048_23
.LBB1048_41:                            ;   in Loop: Header=BB1048_24 Depth=2
	global_load_ushort v4, v58, s[16:17]
	s_waitcnt vmcnt(0)
	v_bfi_b32 v6, s59, v4, v6
	s_or_b64 exec, exec, s[18:19]
	v_cmp_gt_u32_e32 vcc, s20, v20
	s_and_saveexec_b64 s[18:19], vcc
	s_cbranch_execz .LBB1048_29
.LBB1048_42:                            ;   in Loop: Header=BB1048_24 Depth=2
	global_load_ushort v4, v58, s[16:17] offset:512
	s_waitcnt vmcnt(0)
	v_perm_b32 v6, v4, v6, s58
	s_or_b64 exec, exec, s[18:19]
	v_cmp_gt_u32_e32 vcc, s20, v21
	s_and_saveexec_b64 s[18:19], vcc
	s_cbranch_execz .LBB1048_30
.LBB1048_43:                            ;   in Loop: Header=BB1048_24 Depth=2
	global_load_ushort v4, v58, s[16:17] offset:1024
	s_waitcnt vmcnt(0)
	v_bfi_b32 v7, s59, v4, v7
	s_or_b64 exec, exec, s[18:19]
	v_cmp_gt_u32_e32 vcc, s20, v22
	s_and_saveexec_b64 s[18:19], vcc
	s_cbranch_execnz .LBB1048_31
	s_branch .LBB1048_32
.LBB1048_44:                            ;   in Loop: Header=BB1048_20 Depth=1
	v_mov_b32_e32 v4, 0
	s_waitcnt lgkmcnt(0)
	s_barrier
	s_and_saveexec_b64 s[16:17], s[4:5]
	s_cbranch_execz .LBB1048_46
; %bb.45:                               ;   in Loop: Header=BB1048_20 Depth=1
	ds_read2_b64 v[6:9], v26 offset1:1
	s_waitcnt lgkmcnt(0)
	v_add_u32_e32 v4, v7, v6
	v_add3_u32 v4, v4, v8, v9
.LBB1048_46:                            ;   in Loop: Header=BB1048_20 Depth=1
	s_or_b64 exec, exec, s[16:17]
	s_nop 0
	v_mov_b32_dpp v6, v4 row_shr:1 row_mask:0xf bank_mask:0xf
	v_cmp_eq_u32_e64 s[16:17], 0, v59
	v_cndmask_b32_e64 v6, v6, 0, s[16:17]
	v_add_u32_e32 v4, v6, v4
	v_cmp_lt_u32_e64 s[18:19], 1, v59
	v_cmp_lt_u32_e64 s[20:21], 3, v59
	v_mov_b32_dpp v6, v4 row_shr:2 row_mask:0xf bank_mask:0xf
	v_cndmask_b32_e64 v6, 0, v6, s[18:19]
	v_add_u32_e32 v4, v4, v6
	v_cmp_lt_u32_e64 s[22:23], 7, v59
	v_cmp_lt_u32_e64 s[26:27], 31, v49
	v_mov_b32_dpp v6, v4 row_shr:4 row_mask:0xf bank_mask:0xf
	v_cndmask_b32_e64 v6, 0, v6, s[20:21]
	v_add_u32_e32 v4, v4, v6
	v_cmp_eq_u32_e64 s[24:25], 0, v61
	s_nop 0
	v_mov_b32_dpp v6, v4 row_shr:8 row_mask:0xf bank_mask:0xf
	v_cndmask_b32_e64 v6, 0, v6, s[22:23]
	v_add_u32_e32 v4, v4, v6
	s_nop 1
	v_mov_b32_dpp v6, v4 row_bcast:15 row_mask:0xf bank_mask:0xf
	v_and_b32_e32 v6, v60, v6
	v_add_u32_e32 v4, v4, v6
	s_nop 1
	v_mov_b32_dpp v6, v4 row_bcast:31 row_mask:0xf bank_mask:0xf
	v_cndmask_b32_e64 v6, 0, v6, s[26:27]
	v_add_u32_e32 v4, v4, v6
	s_and_saveexec_b64 s[28:29], s[6:7]
; %bb.47:                               ;   in Loop: Header=BB1048_20 Depth=1
	ds_write_b32 v28, v4
; %bb.48:                               ;   in Loop: Header=BB1048_20 Depth=1
	s_or_b64 exec, exec, s[28:29]
	s_waitcnt lgkmcnt(0)
	s_barrier
	s_and_saveexec_b64 s[28:29], s[8:9]
	s_cbranch_execz .LBB1048_50
; %bb.49:                               ;   in Loop: Header=BB1048_20 Depth=1
	ds_read_b32 v6, v29
	v_cmp_ne_u32_e32 vcc, 0, v62
	s_waitcnt lgkmcnt(0)
	v_mov_b32_dpp v7, v6 row_shr:1 row_mask:0xf bank_mask:0xf
	v_cndmask_b32_e32 v7, 0, v7, vcc
	v_add_u32_e32 v6, v7, v6
	v_cmp_lt_u32_e32 vcc, 1, v62
	s_nop 0
	v_mov_b32_dpp v7, v6 row_shr:2 row_mask:0xf bank_mask:0xf
	v_cndmask_b32_e32 v7, 0, v7, vcc
	v_add_u32_e32 v6, v6, v7
	ds_write_b32 v29, v6
.LBB1048_50:                            ;   in Loop: Header=BB1048_20 Depth=1
	s_or_b64 exec, exec, s[28:29]
	v_mov_b32_e32 v6, 0
	s_waitcnt lgkmcnt(0)
	s_barrier
	s_and_saveexec_b64 s[28:29], s[10:11]
; %bb.51:                               ;   in Loop: Header=BB1048_20 Depth=1
	ds_read_b32 v6, v53
; %bb.52:                               ;   in Loop: Header=BB1048_20 Depth=1
	s_or_b64 exec, exec, s[28:29]
	v_subrev_co_u32_e64 v7, s[28:29], 1, v49
	v_cmp_lt_i32_e32 vcc, v7, v63
	v_cndmask_b32_e32 v7, v7, v49, vcc
	s_waitcnt lgkmcnt(0)
	v_add_u32_e32 v4, v6, v4
	v_lshlrev_b32_e32 v68, 2, v7
	ds_bpermute_b32 v4, v68, v4
	s_waitcnt lgkmcnt(0)
	s_barrier
	s_and_saveexec_b64 s[30:31], s[4:5]
; %bb.53:                               ;   in Loop: Header=BB1048_20 Depth=1
	v_cndmask_b32_e64 v4, v4, v6, s[28:29]
	v_add_u32_e32 v4, s49, v4
	ds_write_b32 v19, v4
; %bb.54:                               ;   in Loop: Header=BB1048_20 Depth=1
	s_or_b64 exec, exec, s[30:31]
	s_load_dword s30, s[44:45], 0x4
	s_load_dword s36, s[44:45], 0xc
	v_add_co_u32_e32 v69, vcc, v32, v50
	v_addc_co_u32_e32 v70, vcc, 0, v33, vcc
	s_waitcnt lgkmcnt(0)
	s_cmp_lt_u32 s33, s30
	s_cselect_b32 s30, 14, 20
	s_add_u32 s30, s44, s30
	s_addc_u32 s31, s45, 0
	global_load_ushort v4, v3, s[30:31]
	s_and_b32 s36, s36, 0xffff
	v_add_co_u32_e32 v71, vcc, v34, v52
	v_cmp_eq_u32_e64 s[30:31], 0, v62
	v_cmp_lt_u32_e64 s[34:35], 1, v62
	v_addc_co_u32_e32 v72, vcc, 0, v35, vcc
	s_mov_b32 s70, s75
	s_mov_b32 s46, s49
                                        ; implicit-def: $vgpr9_vgpr10
                                        ; implicit-def: $vgpr11_vgpr12
                                        ; implicit-def: $vgpr13_vgpr14
                                        ; implicit-def: $vgpr73
                                        ; implicit-def: $vgpr74
                                        ; implicit-def: $vgpr76
                                        ; implicit-def: $vgpr77
	s_waitcnt vmcnt(0)
	v_mad_u32_u24 v4, v2, v4, v1
	v_mad_u64_u32 v[6:7], s[36:37], v4, s36, v[0:1]
                                        ; implicit-def: $vgpr7_vgpr8
	v_lshrrev_b32_e32 v4, 4, v6
	v_and_b32_e32 v75, 0xffffffc, v4
	s_branch .LBB1048_56
.LBB1048_55:                            ;   in Loop: Header=BB1048_56 Depth=2
	s_or_b64 exec, exec, s[36:37]
	s_addk_i32 s70, 0xfc00
	s_cmp_lt_u32 s71, s76
	s_mov_b32 s46, s71
	s_cbranch_scc0 .LBB1048_120
.LBB1048_56:                            ;   Parent Loop BB1048_20 Depth=1
                                        ; =>  This Inner Loop Header: Depth=2
	s_add_i32 s71, s46, 0x400
	s_cmp_gt_u32 s71, s76
	s_cbranch_scc1 .LBB1048_58
; %bb.57:                               ;   in Loop: Header=BB1048_56 Depth=2
	s_lshl_b64 s[36:37], s[46:47], 1
	v_mov_b32_e32 v4, s37
	v_add_co_u32_e32 v15, vcc, s36, v71
	v_addc_co_u32_e32 v16, vcc, v72, v4, vcc
	global_load_ushort v4, v[15:16], off
	global_load_ushort v6, v[15:16], off offset:128
	s_nop 0
	global_load_ushort v16, v[15:16], off offset:256
	s_mov_b64 s[36:37], -1
	s_waitcnt vmcnt(1)
	v_perm_b32 v15, v6, v4, s58
	s_movk_i32 s40, 0x400
	s_cbranch_execz .LBB1048_59
	s_branch .LBB1048_64
.LBB1048_58:                            ;   in Loop: Header=BB1048_56 Depth=2
	s_mov_b64 s[36:37], 0
                                        ; implicit-def: $vgpr15_vgpr16
	s_movk_i32 s40, 0x400
.LBB1048_59:                            ;   in Loop: Header=BB1048_56 Depth=2
	s_lshl_b64 s[36:37], s[46:47], 1
	v_mov_b32_e32 v4, s37
	v_add_co_u32_e32 v17, vcc, s36, v71
	v_mov_b32_e32 v6, v5
	v_addc_co_u32_e32 v18, vcc, v72, v4, vcc
	s_waitcnt vmcnt(0)
	v_mov_b32_e32 v16, v6
	v_cmp_gt_u32_e32 vcc, s70, v51
	v_mov_b32_e32 v15, v5
	s_and_saveexec_b64 s[36:37], vcc
	s_cbranch_execnz .LBB1048_118
; %bb.60:                               ;   in Loop: Header=BB1048_56 Depth=2
	s_or_b64 exec, exec, s[36:37]
	v_cmp_gt_u32_e32 vcc, s70, v64
	s_and_saveexec_b64 s[36:37], vcc
	s_cbranch_execnz .LBB1048_119
.LBB1048_61:                            ;   in Loop: Header=BB1048_56 Depth=2
	s_or_b64 exec, exec, s[36:37]
	v_cmp_gt_u32_e32 vcc, s70, v65
	s_and_saveexec_b64 s[36:37], vcc
	s_cbranch_execz .LBB1048_63
.LBB1048_62:                            ;   in Loop: Header=BB1048_56 Depth=2
	global_load_ushort v4, v[17:18], off offset:256
	s_waitcnt vmcnt(0)
	v_bfi_b32 v16, s59, v4, v16
.LBB1048_63:                            ;   in Loop: Header=BB1048_56 Depth=2
	s_or_b64 exec, exec, s[36:37]
	s_sub_i32 s40, s76, s46
	v_cmp_gt_u32_e64 s[36:37], s70, v66
.LBB1048_64:                            ;   in Loop: Header=BB1048_56 Depth=2
	v_mov_b32_e32 v78, s70
	s_and_saveexec_b64 s[38:39], s[36:37]
	s_cbranch_execz .LBB1048_66
; %bb.65:                               ;   in Loop: Header=BB1048_56 Depth=2
	s_lshl_b64 s[36:37], s[46:47], 1
	v_mov_b32_e32 v4, s37
	v_add_co_u32_e32 v17, vcc, s36, v71
	v_addc_co_u32_e32 v18, vcc, v72, v4, vcc
	global_load_ushort v4, v[17:18], off offset:384
	v_mov_b32_e32 v78, s40
	s_waitcnt vmcnt(0)
	v_perm_b32 v16, v4, v16, s58
.LBB1048_66:                            ;   in Loop: Header=BB1048_56 Depth=2
	s_or_b64 exec, exec, s[38:39]
	v_xor_b32_e32 v6, 0xffff8000, v15
	v_lshrrev_b32_sdwa v4, s62, v6 dst_sel:DWORD dst_unused:UNUSED_PAD src0_sel:DWORD src1_sel:WORD_0
	v_and_b32_e32 v17, s63, v4
	v_and_b32_e32 v4, 1, v17
	v_add_co_u32_e32 v18, vcc, -1, v4
	v_addc_co_u32_e64 v79, s[36:37], 0, -1, vcc
	v_cmp_ne_u32_e32 vcc, 0, v4
	v_xor_b32_e32 v4, vcc_hi, v79
	v_and_b32_e32 v79, exec_hi, v4
	v_lshlrev_b32_e32 v4, 30, v17
	v_xor_b32_e32 v18, vcc_lo, v18
	v_cmp_gt_i64_e32 vcc, 0, v[3:4]
	v_not_b32_e32 v4, v4
	v_ashrrev_i32_e32 v4, 31, v4
	v_and_b32_e32 v18, exec_lo, v18
	v_xor_b32_e32 v81, vcc_hi, v4
	v_xor_b32_e32 v4, vcc_lo, v4
	v_and_b32_e32 v18, v18, v4
	v_lshlrev_b32_e32 v4, 29, v17
	v_cmp_gt_i64_e32 vcc, 0, v[3:4]
	v_not_b32_e32 v4, v4
	v_ashrrev_i32_e32 v4, 31, v4
	v_and_b32_e32 v79, v79, v81
	v_xor_b32_e32 v81, vcc_hi, v4
	v_xor_b32_e32 v4, vcc_lo, v4
	v_and_b32_e32 v18, v18, v4
	v_lshlrev_b32_e32 v4, 28, v17
	v_cmp_gt_i64_e32 vcc, 0, v[3:4]
	v_not_b32_e32 v4, v4
	v_ashrrev_i32_e32 v4, 31, v4
	v_and_b32_e32 v79, v79, v81
	;; [unrolled: 8-line block ×5, first 2 shown]
	v_xor_b32_e32 v81, vcc_hi, v4
	v_xor_b32_e32 v4, vcc_lo, v4
	v_and_b32_e32 v79, v79, v81
	v_and_b32_e32 v81, v18, v4
	v_lshlrev_b32_e32 v4, 24, v17
	v_cmp_gt_i64_e32 vcc, 0, v[3:4]
	v_not_b32_e32 v4, v4
	v_ashrrev_i32_e32 v4, 31, v4
	v_mul_u32_u24_e32 v80, 20, v17
	v_xor_b32_e32 v17, vcc_hi, v4
	v_xor_b32_e32 v4, vcc_lo, v4
	v_and_b32_e32 v18, v79, v17
	v_and_b32_e32 v17, v81, v4
	v_mbcnt_lo_u32_b32 v4, v17, 0
	v_mbcnt_hi_u32_b32 v79, v18, v4
	v_cmp_ne_u64_e32 vcc, 0, v[17:18]
	v_cmp_eq_u32_e64 s[36:37], 0, v79
	s_and_b64 s[38:39], vcc, s[36:37]
	v_add_u32_e32 v82, v75, v80
	ds_write2_b32 v56, v3, v3 offset1:1
	ds_write2_b32 v57, v3, v3 offset1:1
	ds_write_b32 v30, v3 offset:1056
	s_waitcnt vmcnt(0) lgkmcnt(0)
	s_barrier
	; wave barrier
	s_and_saveexec_b64 s[36:37], s[38:39]
; %bb.67:                               ;   in Loop: Header=BB1048_56 Depth=2
	v_bcnt_u32_b32 v4, v17, 0
	v_bcnt_u32_b32 v4, v18, v4
	ds_write_b32 v82, v4 offset:1040
; %bb.68:                               ;   in Loop: Header=BB1048_56 Depth=2
	s_or_b64 exec, exec, s[36:37]
	v_xor_b32_sdwa v80, v15, s60 dst_sel:DWORD dst_unused:UNUSED_PAD src0_sel:WORD_1 src1_sel:DWORD
	v_lshrrev_b32_sdwa v4, s62, v80 dst_sel:DWORD dst_unused:UNUSED_PAD src0_sel:DWORD src1_sel:WORD_0
	v_and_b32_e32 v15, s63, v4
	v_mad_u32_u24 v4, v15, 20, v75
	; wave barrier
	ds_read_b32 v81, v4 offset:1040
	v_and_b32_e32 v4, 1, v15
	v_add_co_u32_e32 v17, vcc, -1, v4
	v_addc_co_u32_e64 v18, s[36:37], 0, -1, vcc
	v_cmp_ne_u32_e32 vcc, 0, v4
	v_xor_b32_e32 v4, vcc_hi, v18
	v_and_b32_e32 v18, exec_hi, v4
	v_lshlrev_b32_e32 v4, 30, v15
	v_xor_b32_e32 v17, vcc_lo, v17
	v_cmp_gt_i64_e32 vcc, 0, v[3:4]
	v_not_b32_e32 v4, v4
	v_ashrrev_i32_e32 v4, 31, v4
	v_and_b32_e32 v17, exec_lo, v17
	v_xor_b32_e32 v83, vcc_hi, v4
	v_xor_b32_e32 v4, vcc_lo, v4
	v_and_b32_e32 v17, v17, v4
	v_lshlrev_b32_e32 v4, 29, v15
	v_cmp_gt_i64_e32 vcc, 0, v[3:4]
	v_not_b32_e32 v4, v4
	v_ashrrev_i32_e32 v4, 31, v4
	v_and_b32_e32 v18, v18, v83
	v_xor_b32_e32 v83, vcc_hi, v4
	v_xor_b32_e32 v4, vcc_lo, v4
	v_and_b32_e32 v17, v17, v4
	v_lshlrev_b32_e32 v4, 28, v15
	v_cmp_gt_i64_e32 vcc, 0, v[3:4]
	v_not_b32_e32 v4, v4
	v_ashrrev_i32_e32 v4, 31, v4
	v_and_b32_e32 v18, v18, v83
	;; [unrolled: 8-line block ×5, first 2 shown]
	v_xor_b32_e32 v83, vcc_hi, v4
	v_xor_b32_e32 v4, vcc_lo, v4
	v_and_b32_e32 v17, v17, v4
	v_lshlrev_b32_e32 v4, 24, v15
	v_cmp_gt_i64_e32 vcc, 0, v[3:4]
	v_not_b32_e32 v4, v4
	v_ashrrev_i32_e32 v4, 31, v4
	v_mul_u32_u24_e32 v84, 20, v15
	v_xor_b32_e32 v15, vcc_hi, v4
	v_xor_b32_e32 v4, vcc_lo, v4
	v_and_b32_e32 v18, v18, v83
	v_and_b32_e32 v17, v17, v4
	;; [unrolled: 1-line block ×3, first 2 shown]
	v_mbcnt_lo_u32_b32 v4, v17, 0
	v_mbcnt_hi_u32_b32 v83, v18, v4
	v_cmp_ne_u64_e32 vcc, 0, v[17:18]
	v_cmp_eq_u32_e64 s[36:37], 0, v83
	s_and_b64 s[38:39], vcc, s[36:37]
	v_add_u32_e32 v86, v75, v84
	; wave barrier
	s_and_saveexec_b64 s[36:37], s[38:39]
	s_cbranch_execz .LBB1048_70
; %bb.69:                               ;   in Loop: Header=BB1048_56 Depth=2
	v_bcnt_u32_b32 v4, v17, 0
	v_bcnt_u32_b32 v4, v18, v4
	s_waitcnt lgkmcnt(0)
	v_add_u32_e32 v4, v81, v4
	ds_write_b32 v86, v4 offset:1040
.LBB1048_70:                            ;   in Loop: Header=BB1048_56 Depth=2
	s_or_b64 exec, exec, s[36:37]
	v_xor_b32_e32 v84, 0xffff8000, v16
	v_lshrrev_b32_sdwa v4, s62, v84 dst_sel:DWORD dst_unused:UNUSED_PAD src0_sel:DWORD src1_sel:WORD_0
	v_and_b32_e32 v15, s63, v4
	v_mad_u32_u24 v4, v15, 20, v75
	; wave barrier
	ds_read_b32 v85, v4 offset:1040
	v_and_b32_e32 v4, 1, v15
	v_add_co_u32_e32 v17, vcc, -1, v4
	v_addc_co_u32_e64 v18, s[36:37], 0, -1, vcc
	v_cmp_ne_u32_e32 vcc, 0, v4
	v_xor_b32_e32 v4, vcc_hi, v18
	v_and_b32_e32 v18, exec_hi, v4
	v_lshlrev_b32_e32 v4, 30, v15
	v_xor_b32_e32 v17, vcc_lo, v17
	v_cmp_gt_i64_e32 vcc, 0, v[3:4]
	v_not_b32_e32 v4, v4
	v_ashrrev_i32_e32 v4, 31, v4
	v_and_b32_e32 v17, exec_lo, v17
	v_xor_b32_e32 v87, vcc_hi, v4
	v_xor_b32_e32 v4, vcc_lo, v4
	v_and_b32_e32 v17, v17, v4
	v_lshlrev_b32_e32 v4, 29, v15
	v_cmp_gt_i64_e32 vcc, 0, v[3:4]
	v_not_b32_e32 v4, v4
	v_ashrrev_i32_e32 v4, 31, v4
	v_and_b32_e32 v18, v18, v87
	v_xor_b32_e32 v87, vcc_hi, v4
	v_xor_b32_e32 v4, vcc_lo, v4
	v_and_b32_e32 v17, v17, v4
	v_lshlrev_b32_e32 v4, 28, v15
	v_cmp_gt_i64_e32 vcc, 0, v[3:4]
	v_not_b32_e32 v4, v4
	v_ashrrev_i32_e32 v4, 31, v4
	v_and_b32_e32 v18, v18, v87
	;; [unrolled: 8-line block ×5, first 2 shown]
	v_xor_b32_e32 v87, vcc_hi, v4
	v_xor_b32_e32 v4, vcc_lo, v4
	v_and_b32_e32 v17, v17, v4
	v_lshlrev_b32_e32 v4, 24, v15
	v_cmp_gt_i64_e32 vcc, 0, v[3:4]
	v_not_b32_e32 v4, v4
	v_ashrrev_i32_e32 v4, 31, v4
	v_mul_u32_u24_e32 v88, 20, v15
	v_xor_b32_e32 v15, vcc_hi, v4
	v_xor_b32_e32 v4, vcc_lo, v4
	v_and_b32_e32 v18, v18, v87
	v_and_b32_e32 v17, v17, v4
	;; [unrolled: 1-line block ×3, first 2 shown]
	v_mbcnt_lo_u32_b32 v4, v17, 0
	v_mbcnt_hi_u32_b32 v87, v18, v4
	v_cmp_ne_u64_e32 vcc, 0, v[17:18]
	v_cmp_eq_u32_e64 s[36:37], 0, v87
	s_and_b64 s[38:39], vcc, s[36:37]
	v_add_u32_e32 v90, v75, v88
	; wave barrier
	s_and_saveexec_b64 s[36:37], s[38:39]
	s_cbranch_execz .LBB1048_72
; %bb.71:                               ;   in Loop: Header=BB1048_56 Depth=2
	v_bcnt_u32_b32 v4, v17, 0
	v_bcnt_u32_b32 v4, v18, v4
	s_waitcnt lgkmcnt(0)
	v_add_u32_e32 v4, v85, v4
	ds_write_b32 v90, v4 offset:1040
.LBB1048_72:                            ;   in Loop: Header=BB1048_56 Depth=2
	s_or_b64 exec, exec, s[36:37]
	v_xor_b32_sdwa v88, v16, s60 dst_sel:DWORD dst_unused:UNUSED_PAD src0_sel:WORD_1 src1_sel:DWORD
	v_lshrrev_b32_sdwa v4, s62, v88 dst_sel:DWORD dst_unused:UNUSED_PAD src0_sel:DWORD src1_sel:WORD_0
	v_and_b32_e32 v15, s63, v4
	v_mad_u32_u24 v4, v15, 20, v75
	; wave barrier
	ds_read_b32 v89, v4 offset:1040
	v_and_b32_e32 v4, 1, v15
	v_add_co_u32_e32 v16, vcc, -1, v4
	v_addc_co_u32_e64 v18, s[36:37], 0, -1, vcc
	v_cmp_ne_u32_e32 vcc, 0, v4
	v_xor_b32_e32 v4, vcc_hi, v18
	v_and_b32_e32 v18, exec_hi, v4
	v_lshlrev_b32_e32 v4, 30, v15
	v_xor_b32_e32 v16, vcc_lo, v16
	v_cmp_gt_i64_e32 vcc, 0, v[3:4]
	v_not_b32_e32 v4, v4
	v_ashrrev_i32_e32 v4, 31, v4
	v_and_b32_e32 v16, exec_lo, v16
	v_xor_b32_e32 v91, vcc_hi, v4
	v_xor_b32_e32 v4, vcc_lo, v4
	v_and_b32_e32 v16, v16, v4
	v_lshlrev_b32_e32 v4, 29, v15
	v_cmp_gt_i64_e32 vcc, 0, v[3:4]
	v_not_b32_e32 v4, v4
	v_ashrrev_i32_e32 v4, 31, v4
	v_and_b32_e32 v18, v18, v91
	v_xor_b32_e32 v91, vcc_hi, v4
	v_xor_b32_e32 v4, vcc_lo, v4
	v_and_b32_e32 v16, v16, v4
	v_lshlrev_b32_e32 v4, 28, v15
	v_cmp_gt_i64_e32 vcc, 0, v[3:4]
	v_not_b32_e32 v4, v4
	v_ashrrev_i32_e32 v4, 31, v4
	v_and_b32_e32 v18, v18, v91
	;; [unrolled: 8-line block ×5, first 2 shown]
	v_xor_b32_e32 v91, vcc_hi, v4
	v_xor_b32_e32 v4, vcc_lo, v4
	v_and_b32_e32 v18, v18, v91
	v_and_b32_e32 v91, v16, v4
	v_lshlrev_b32_e32 v4, 24, v15
	v_cmp_gt_i64_e32 vcc, 0, v[3:4]
	v_not_b32_e32 v4, v4
	v_ashrrev_i32_e32 v4, 31, v4
	v_mul_u32_u24_e32 v17, 20, v15
	v_xor_b32_e32 v15, vcc_hi, v4
	v_xor_b32_e32 v4, vcc_lo, v4
	v_and_b32_e32 v16, v18, v15
	v_and_b32_e32 v15, v91, v4
	v_mbcnt_lo_u32_b32 v4, v15, 0
	v_mbcnt_hi_u32_b32 v4, v16, v4
	v_cmp_ne_u64_e32 vcc, 0, v[15:16]
	v_cmp_eq_u32_e64 s[36:37], 0, v4
	s_and_b64 s[38:39], vcc, s[36:37]
	v_add_u32_e32 v91, v75, v17
	; wave barrier
	s_and_saveexec_b64 s[36:37], s[38:39]
	s_cbranch_execz .LBB1048_74
; %bb.73:                               ;   in Loop: Header=BB1048_56 Depth=2
	v_bcnt_u32_b32 v15, v15, 0
	v_bcnt_u32_b32 v15, v16, v15
	s_waitcnt lgkmcnt(0)
	v_add_u32_e32 v15, v89, v15
	ds_write_b32 v91, v15 offset:1040
.LBB1048_74:                            ;   in Loop: Header=BB1048_56 Depth=2
	s_or_b64 exec, exec, s[36:37]
	; wave barrier
	s_waitcnt lgkmcnt(0)
	s_barrier
	ds_read2_b32 v[17:18], v56 offset1:1
	ds_read2_b32 v[15:16], v57 offset1:1
	ds_read_b32 v92, v30 offset:1056
	s_waitcnt lgkmcnt(1)
	v_add3_u32 v93, v18, v17, v15
	s_waitcnt lgkmcnt(0)
	v_add3_u32 v92, v93, v16, v92
	s_nop 1
	v_mov_b32_dpp v93, v92 row_shr:1 row_mask:0xf bank_mask:0xf
	v_cndmask_b32_e64 v93, v93, 0, s[16:17]
	v_add_u32_e32 v92, v93, v92
	s_nop 1
	v_mov_b32_dpp v93, v92 row_shr:2 row_mask:0xf bank_mask:0xf
	v_cndmask_b32_e64 v93, 0, v93, s[18:19]
	v_add_u32_e32 v92, v92, v93
	;; [unrolled: 4-line block ×4, first 2 shown]
	s_nop 1
	v_mov_b32_dpp v93, v92 row_bcast:15 row_mask:0xf bank_mask:0xf
	v_cndmask_b32_e64 v93, v93, 0, s[24:25]
	v_add_u32_e32 v92, v92, v93
	s_nop 1
	v_mov_b32_dpp v93, v92 row_bcast:31 row_mask:0xf bank_mask:0xf
	v_cndmask_b32_e64 v93, 0, v93, s[26:27]
	v_add_u32_e32 v92, v92, v93
	s_and_saveexec_b64 s[36:37], s[6:7]
; %bb.75:                               ;   in Loop: Header=BB1048_56 Depth=2
	ds_write_b32 v27, v92 offset:1024
; %bb.76:                               ;   in Loop: Header=BB1048_56 Depth=2
	s_or_b64 exec, exec, s[36:37]
	s_waitcnt lgkmcnt(0)
	s_barrier
	s_and_saveexec_b64 s[36:37], s[8:9]
	s_cbranch_execz .LBB1048_78
; %bb.77:                               ;   in Loop: Header=BB1048_56 Depth=2
	ds_read_b32 v93, v31 offset:1024
	s_waitcnt lgkmcnt(0)
	s_nop 0
	v_mov_b32_dpp v94, v93 row_shr:1 row_mask:0xf bank_mask:0xf
	v_cndmask_b32_e64 v94, v94, 0, s[30:31]
	v_add_u32_e32 v93, v94, v93
	s_nop 1
	v_mov_b32_dpp v94, v93 row_shr:2 row_mask:0xf bank_mask:0xf
	v_cndmask_b32_e64 v94, 0, v94, s[34:35]
	v_add_u32_e32 v93, v93, v94
	ds_write_b32 v31, v93 offset:1024
.LBB1048_78:                            ;   in Loop: Header=BB1048_56 Depth=2
	s_or_b64 exec, exec, s[36:37]
	v_mov_b32_e32 v93, 0
	s_waitcnt lgkmcnt(0)
	s_barrier
	s_and_saveexec_b64 s[36:37], s[10:11]
; %bb.79:                               ;   in Loop: Header=BB1048_56 Depth=2
	ds_read_b32 v93, v27 offset:1020
; %bb.80:                               ;   in Loop: Header=BB1048_56 Depth=2
	s_or_b64 exec, exec, s[36:37]
	s_waitcnt lgkmcnt(0)
	v_add_u32_e32 v92, v93, v92
	ds_bpermute_b32 v92, v68, v92
	s_waitcnt lgkmcnt(0)
	v_cndmask_b32_e64 v92, v92, v93, s[28:29]
	v_cndmask_b32_e64 v92, v92, 0, s[12:13]
	v_add_u32_e32 v17, v92, v17
	v_add_u32_e32 v18, v17, v18
	;; [unrolled: 1-line block ×4, first 2 shown]
	ds_write2_b32 v56, v92, v17 offset1:1
	ds_write2_b32 v57, v18, v15 offset1:1
	ds_write_b32 v30, v16 offset:1056
	s_waitcnt lgkmcnt(0)
	s_barrier
	ds_read_b32 v15, v82 offset:1040
	ds_read_b32 v16, v86 offset:1040
	;; [unrolled: 1-line block ×5, first 2 shown]
	v_mov_b32_e32 v82, 0x400
	s_and_saveexec_b64 s[36:37], s[14:15]
; %bb.81:                               ;   in Loop: Header=BB1048_56 Depth=2
	ds_read_b32 v82, v30 offset:1060
; %bb.82:                               ;   in Loop: Header=BB1048_56 Depth=2
	s_or_b64 exec, exec, s[36:37]
	s_waitcnt lgkmcnt(0)
	s_barrier
	s_and_saveexec_b64 s[36:37], s[4:5]
	s_cbranch_execz .LBB1048_84
; %bb.83:                               ;   in Loop: Header=BB1048_56 Depth=2
	ds_read_b32 v90, v19
	s_waitcnt lgkmcnt(0)
	v_sub_u32_e32 v86, v90, v86
	ds_write_b32 v19, v86
.LBB1048_84:                            ;   in Loop: Header=BB1048_56 Depth=2
	s_or_b64 exec, exec, s[36:37]
	v_add_u32_e32 v86, v15, v79
	v_add3_u32 v83, v83, v81, v16
	v_add3_u32 v81, v87, v85, v17
	;; [unrolled: 1-line block ×3, first 2 shown]
	v_lshlrev_b32_e32 v16, 1, v86
	ds_write_b16 v16, v6 offset:1024
	v_lshlrev_b32_e32 v15, 1, v83
	v_lshlrev_b32_e32 v6, 1, v81
	;; [unrolled: 1-line block ×3, first 2 shown]
	v_cmp_lt_u32_e32 vcc, v0, v78
	ds_write_b16 v15, v80 offset:1024
	ds_write_b16 v6, v84 offset:1024
	;; [unrolled: 1-line block ×3, first 2 shown]
	s_waitcnt lgkmcnt(0)
	s_barrier
	s_and_saveexec_b64 s[38:39], vcc
	s_cbranch_execnz .LBB1048_105
; %bb.85:                               ;   in Loop: Header=BB1048_56 Depth=2
	s_or_b64 exec, exec, s[38:39]
	v_cmp_lt_u32_e64 s[36:37], v20, v78
	s_and_saveexec_b64 s[40:41], s[36:37]
	s_cbranch_execnz .LBB1048_106
.LBB1048_86:                            ;   in Loop: Header=BB1048_56 Depth=2
	s_or_b64 exec, exec, s[40:41]
	v_cmp_lt_u32_e64 s[38:39], v21, v78
	s_and_saveexec_b64 s[42:43], s[38:39]
	s_cbranch_execnz .LBB1048_107
.LBB1048_87:                            ;   in Loop: Header=BB1048_56 Depth=2
	s_or_b64 exec, exec, s[42:43]
	v_cmp_lt_u32_e64 s[40:41], v22, v78
	s_and_saveexec_b64 s[56:57], s[40:41]
	s_cbranch_execz .LBB1048_89
.LBB1048_88:                            ;   in Loop: Header=BB1048_56 Depth=2
	ds_read_u16 v17, v36 offset:2560
	v_mov_b32_e32 v84, s67
	s_waitcnt lgkmcnt(0)
	v_lshrrev_b32_sdwa v18, s62, v17 dst_sel:DWORD dst_unused:UNUSED_PAD src0_sel:DWORD src1_sel:WORD_0
	v_and_b32_e32 v18, s63, v18
	v_lshlrev_b32_e32 v18, 2, v18
	ds_read_b32 v80, v18
	v_mov_b32_e32 v18, v3
	v_xor_b32_e32 v85, 0xffff8000, v17
	s_waitcnt lgkmcnt(0)
	v_add_u32_e32 v17, v80, v22
	v_lshlrev_b64 v[17:18], 1, v[17:18]
	v_add_co_u32_e64 v17, s[42:43], s66, v17
	v_addc_co_u32_e64 v18, s[42:43], v84, v18, s[42:43]
	global_store_short v[17:18], v85, off
.LBB1048_89:                            ;   in Loop: Header=BB1048_56 Depth=2
	s_or_b64 exec, exec, s[56:57]
	s_lshl_b64 s[42:43], s[46:47], 3
	v_mov_b32_e32 v18, s43
	v_add_co_u32_e64 v17, s[42:43], s42, v69
	v_addc_co_u32_e64 v18, s[42:43], v70, v18, s[42:43]
	v_cmp_lt_u32_e64 s[42:43], v51, v78
	s_and_saveexec_b64 s[56:57], s[42:43]
	s_xor_b64 s[42:43], exec, s[56:57]
	s_cbranch_execnz .LBB1048_108
; %bb.90:                               ;   in Loop: Header=BB1048_56 Depth=2
	s_or_b64 exec, exec, s[42:43]
	v_cmp_lt_u32_e64 s[42:43], v64, v78
	s_and_saveexec_b64 s[56:57], s[42:43]
	s_cbranch_execnz .LBB1048_109
.LBB1048_91:                            ;   in Loop: Header=BB1048_56 Depth=2
	s_or_b64 exec, exec, s[56:57]
	v_cmp_lt_u32_e64 s[42:43], v65, v78
	s_and_saveexec_b64 s[56:57], s[42:43]
	s_cbranch_execnz .LBB1048_110
.LBB1048_92:                            ;   in Loop: Header=BB1048_56 Depth=2
	s_or_b64 exec, exec, s[56:57]
	v_cmp_lt_u32_e64 s[42:43], v66, v78
	s_and_saveexec_b64 s[56:57], s[42:43]
	s_cbranch_execnz .LBB1048_111
.LBB1048_93:                            ;   in Loop: Header=BB1048_56 Depth=2
	s_or_b64 exec, exec, s[56:57]
	s_and_saveexec_b64 s[42:43], vcc
	s_cbranch_execnz .LBB1048_112
.LBB1048_94:                            ;   in Loop: Header=BB1048_56 Depth=2
	s_or_b64 exec, exec, s[42:43]
	s_and_saveexec_b64 s[42:43], s[36:37]
	s_cbranch_execnz .LBB1048_113
.LBB1048_95:                            ;   in Loop: Header=BB1048_56 Depth=2
	s_or_b64 exec, exec, s[42:43]
	s_and_saveexec_b64 s[42:43], s[38:39]
	s_cbranch_execnz .LBB1048_114
.LBB1048_96:                            ;   in Loop: Header=BB1048_56 Depth=2
	s_or_b64 exec, exec, s[42:43]
	s_and_saveexec_b64 s[42:43], s[40:41]
	s_cbranch_execz .LBB1048_98
.LBB1048_97:                            ;   in Loop: Header=BB1048_56 Depth=2
	ds_read_u16 v17, v36 offset:2560
	s_waitcnt lgkmcnt(0)
	v_lshrrev_b32_e32 v17, s62, v17
	v_and_b32_e32 v73, s63, v17
.LBB1048_98:                            ;   in Loop: Header=BB1048_56 Depth=2
	s_or_b64 exec, exec, s[42:43]
	v_mad_u64_u32 v[16:17], s[42:43], v86, 6, v[16:17]
	s_waitcnt vmcnt(0)
	v_mad_u64_u32 v[80:81], s[42:43], v81, 6, v[6:7]
	v_mad_u64_u32 v[17:18], s[42:43], v83, 6, v[15:16]
	;; [unrolled: 1-line block ×3, first 2 shown]
	s_barrier
	ds_write_b64 v16, v[13:14] offset:1024
	ds_write_b64 v17, v[11:12] offset:1024
	;; [unrolled: 1-line block ×4, first 2 shown]
	s_waitcnt lgkmcnt(0)
	s_barrier
	s_and_saveexec_b64 s[42:43], vcc
	s_cbranch_execnz .LBB1048_115
; %bb.99:                               ;   in Loop: Header=BB1048_56 Depth=2
	s_or_b64 exec, exec, s[42:43]
	s_and_saveexec_b64 s[42:43], s[36:37]
	s_cbranch_execnz .LBB1048_116
.LBB1048_100:                           ;   in Loop: Header=BB1048_56 Depth=2
	s_or_b64 exec, exec, s[42:43]
	s_and_saveexec_b64 s[36:37], s[38:39]
	s_cbranch_execnz .LBB1048_117
.LBB1048_101:                           ;   in Loop: Header=BB1048_56 Depth=2
	s_or_b64 exec, exec, s[36:37]
	s_and_saveexec_b64 s[36:37], s[40:41]
	s_cbranch_execz .LBB1048_103
.LBB1048_102:                           ;   in Loop: Header=BB1048_56 Depth=2
	v_lshlrev_b32_e32 v4, 2, v73
	ds_read_b32 v4, v4
	v_add_u32_e32 v6, v36, v54
	ds_read_b64 v[15:16], v6 offset:7168
	v_mov_b32_e32 v18, v3
	v_mov_b32_e32 v6, s53
	s_waitcnt lgkmcnt(1)
	v_add_u32_e32 v17, v4, v22
	v_lshlrev_b64 v[17:18], 3, v[17:18]
	v_add_co_u32_e32 v17, vcc, s52, v17
	v_addc_co_u32_e32 v18, vcc, v6, v18, vcc
	s_waitcnt lgkmcnt(0)
	global_store_dwordx2 v[17:18], v[15:16], off
.LBB1048_103:                           ;   in Loop: Header=BB1048_56 Depth=2
	s_or_b64 exec, exec, s[36:37]
	s_waitcnt vmcnt(0)
	s_barrier
	s_and_saveexec_b64 s[36:37], s[4:5]
	s_cbranch_execz .LBB1048_55
; %bb.104:                              ;   in Loop: Header=BB1048_56 Depth=2
	ds_read_b32 v4, v19
	s_waitcnt lgkmcnt(0)
	v_add_u32_e32 v4, v4, v82
	ds_write_b32 v19, v4
	s_branch .LBB1048_55
.LBB1048_105:                           ;   in Loop: Header=BB1048_56 Depth=2
	ds_read_u16 v17, v36 offset:1024
	v_mov_b32_e32 v84, s67
	s_waitcnt lgkmcnt(0)
	v_lshrrev_b32_sdwa v18, s62, v17 dst_sel:DWORD dst_unused:UNUSED_PAD src0_sel:DWORD src1_sel:WORD_0
	v_and_b32_e32 v18, s63, v18
	v_lshlrev_b32_e32 v18, 2, v18
	ds_read_b32 v80, v18
	v_mov_b32_e32 v18, v3
	v_xor_b32_e32 v85, 0xffff8000, v17
	s_waitcnt lgkmcnt(0)
	v_add_u32_e32 v17, v80, v0
	v_lshlrev_b64 v[17:18], 1, v[17:18]
	v_add_co_u32_e64 v17, s[36:37], s66, v17
	v_addc_co_u32_e64 v18, s[36:37], v84, v18, s[36:37]
	global_store_short v[17:18], v85, off
	s_or_b64 exec, exec, s[38:39]
	v_cmp_lt_u32_e64 s[36:37], v20, v78
	s_and_saveexec_b64 s[40:41], s[36:37]
	s_cbranch_execz .LBB1048_86
.LBB1048_106:                           ;   in Loop: Header=BB1048_56 Depth=2
	ds_read_u16 v17, v36 offset:1536
	v_mov_b32_e32 v84, s67
	s_waitcnt lgkmcnt(0)
	v_lshrrev_b32_sdwa v18, s62, v17 dst_sel:DWORD dst_unused:UNUSED_PAD src0_sel:DWORD src1_sel:WORD_0
	v_and_b32_e32 v18, s63, v18
	v_lshlrev_b32_e32 v18, 2, v18
	ds_read_b32 v80, v18
	v_mov_b32_e32 v18, v3
	v_xor_b32_e32 v85, 0xffff8000, v17
	s_waitcnt lgkmcnt(0)
	v_add_u32_e32 v17, v80, v20
	v_lshlrev_b64 v[17:18], 1, v[17:18]
	v_add_co_u32_e64 v17, s[38:39], s66, v17
	v_addc_co_u32_e64 v18, s[38:39], v84, v18, s[38:39]
	global_store_short v[17:18], v85, off
	s_or_b64 exec, exec, s[40:41]
	v_cmp_lt_u32_e64 s[38:39], v21, v78
	s_and_saveexec_b64 s[42:43], s[38:39]
	s_cbranch_execz .LBB1048_87
.LBB1048_107:                           ;   in Loop: Header=BB1048_56 Depth=2
	ds_read_u16 v17, v36 offset:2048
	v_mov_b32_e32 v84, s67
	s_waitcnt lgkmcnt(0)
	v_lshrrev_b32_sdwa v18, s62, v17 dst_sel:DWORD dst_unused:UNUSED_PAD src0_sel:DWORD src1_sel:WORD_0
	v_and_b32_e32 v18, s63, v18
	v_lshlrev_b32_e32 v18, 2, v18
	ds_read_b32 v80, v18
	v_mov_b32_e32 v18, v3
	v_xor_b32_e32 v85, 0xffff8000, v17
	s_waitcnt lgkmcnt(0)
	v_add_u32_e32 v17, v80, v21
	v_lshlrev_b64 v[17:18], 1, v[17:18]
	v_add_co_u32_e64 v17, s[40:41], s66, v17
	v_addc_co_u32_e64 v18, s[40:41], v84, v18, s[40:41]
	global_store_short v[17:18], v85, off
	s_or_b64 exec, exec, s[42:43]
	v_cmp_lt_u32_e64 s[40:41], v22, v78
	s_and_saveexec_b64 s[56:57], s[40:41]
	s_cbranch_execnz .LBB1048_88
	s_branch .LBB1048_89
.LBB1048_108:                           ;   in Loop: Header=BB1048_56 Depth=2
	global_load_dwordx2 v[13:14], v[17:18], off
	s_or_b64 exec, exec, s[42:43]
	v_cmp_lt_u32_e64 s[42:43], v64, v78
	s_and_saveexec_b64 s[56:57], s[42:43]
	s_cbranch_execz .LBB1048_91
.LBB1048_109:                           ;   in Loop: Header=BB1048_56 Depth=2
	global_load_dwordx2 v[11:12], v[17:18], off offset:512
	s_or_b64 exec, exec, s[56:57]
	v_cmp_lt_u32_e64 s[42:43], v65, v78
	s_and_saveexec_b64 s[56:57], s[42:43]
	s_cbranch_execz .LBB1048_92
.LBB1048_110:                           ;   in Loop: Header=BB1048_56 Depth=2
	global_load_dwordx2 v[9:10], v[17:18], off offset:1024
	s_or_b64 exec, exec, s[56:57]
	v_cmp_lt_u32_e64 s[42:43], v66, v78
	s_and_saveexec_b64 s[56:57], s[42:43]
	s_cbranch_execz .LBB1048_93
.LBB1048_111:                           ;   in Loop: Header=BB1048_56 Depth=2
	global_load_dwordx2 v[7:8], v[17:18], off offset:1536
	s_or_b64 exec, exec, s[56:57]
	s_and_saveexec_b64 s[42:43], vcc
	s_cbranch_execz .LBB1048_94
.LBB1048_112:                           ;   in Loop: Header=BB1048_56 Depth=2
	ds_read_u16 v17, v36 offset:1024
	s_waitcnt lgkmcnt(0)
	v_lshrrev_b32_e32 v17, s62, v17
	v_and_b32_e32 v77, s63, v17
	s_or_b64 exec, exec, s[42:43]
	s_and_saveexec_b64 s[42:43], s[36:37]
	s_cbranch_execz .LBB1048_95
.LBB1048_113:                           ;   in Loop: Header=BB1048_56 Depth=2
	ds_read_u16 v17, v36 offset:1536
	s_waitcnt lgkmcnt(0)
	v_lshrrev_b32_e32 v17, s62, v17
	v_and_b32_e32 v76, s63, v17
	s_or_b64 exec, exec, s[42:43]
	s_and_saveexec_b64 s[42:43], s[38:39]
	s_cbranch_execz .LBB1048_96
.LBB1048_114:                           ;   in Loop: Header=BB1048_56 Depth=2
	ds_read_u16 v17, v36 offset:2048
	s_waitcnt lgkmcnt(0)
	v_lshrrev_b32_e32 v17, s62, v17
	v_and_b32_e32 v74, s63, v17
	s_or_b64 exec, exec, s[42:43]
	s_and_saveexec_b64 s[42:43], s[40:41]
	s_cbranch_execnz .LBB1048_97
	s_branch .LBB1048_98
.LBB1048_115:                           ;   in Loop: Header=BB1048_56 Depth=2
	v_lshlrev_b32_e32 v4, 2, v77
	ds_read_b32 v4, v4
	v_add_u32_e32 v6, v36, v54
	ds_read_b64 v[15:16], v6 offset:1024
	v_mov_b32_e32 v18, v3
	v_mov_b32_e32 v6, s53
	s_waitcnt lgkmcnt(1)
	v_add_u32_e32 v17, v4, v0
	v_lshlrev_b64 v[17:18], 3, v[17:18]
	v_add_co_u32_e32 v17, vcc, s52, v17
	v_addc_co_u32_e32 v18, vcc, v6, v18, vcc
	s_waitcnt lgkmcnt(0)
	global_store_dwordx2 v[17:18], v[15:16], off
	s_or_b64 exec, exec, s[42:43]
	s_and_saveexec_b64 s[42:43], s[36:37]
	s_cbranch_execz .LBB1048_100
.LBB1048_116:                           ;   in Loop: Header=BB1048_56 Depth=2
	v_lshlrev_b32_e32 v4, 2, v76
	ds_read_b32 v4, v4
	v_add_u32_e32 v6, v36, v54
	ds_read_b64 v[15:16], v6 offset:3072
	v_mov_b32_e32 v18, v3
	v_mov_b32_e32 v6, s53
	s_waitcnt lgkmcnt(1)
	v_add_u32_e32 v17, v4, v20
	v_lshlrev_b64 v[17:18], 3, v[17:18]
	v_add_co_u32_e32 v17, vcc, s52, v17
	v_addc_co_u32_e32 v18, vcc, v6, v18, vcc
	s_waitcnt lgkmcnt(0)
	global_store_dwordx2 v[17:18], v[15:16], off
	s_or_b64 exec, exec, s[42:43]
	s_and_saveexec_b64 s[36:37], s[38:39]
	s_cbranch_execz .LBB1048_101
.LBB1048_117:                           ;   in Loop: Header=BB1048_56 Depth=2
	v_lshlrev_b32_e32 v4, 2, v74
	ds_read_b32 v4, v4
	v_add_u32_e32 v6, v36, v54
	ds_read_b64 v[15:16], v6 offset:5120
	v_mov_b32_e32 v18, v3
	v_mov_b32_e32 v6, s53
	s_waitcnt lgkmcnt(1)
	v_add_u32_e32 v17, v4, v21
	v_lshlrev_b64 v[17:18], 3, v[17:18]
	v_add_co_u32_e32 v17, vcc, s52, v17
	v_addc_co_u32_e32 v18, vcc, v6, v18, vcc
	s_waitcnt lgkmcnt(0)
	global_store_dwordx2 v[17:18], v[15:16], off
	s_or_b64 exec, exec, s[36:37]
	s_and_saveexec_b64 s[36:37], s[40:41]
	s_cbranch_execnz .LBB1048_102
	s_branch .LBB1048_103
.LBB1048_118:                           ;   in Loop: Header=BB1048_56 Depth=2
	global_load_ushort v4, v[17:18], off
	v_mov_b32_e32 v16, v5
	s_waitcnt vmcnt(0)
	v_perm_b32 v15, s61, v4, v67
	s_or_b64 exec, exec, s[36:37]
	v_cmp_gt_u32_e32 vcc, s70, v64
	s_and_saveexec_b64 s[36:37], vcc
	s_cbranch_execz .LBB1048_61
.LBB1048_119:                           ;   in Loop: Header=BB1048_56 Depth=2
	global_load_ushort v4, v[17:18], off offset:128
	s_waitcnt vmcnt(0)
	v_perm_b32 v15, v4, v15, s58
	s_or_b64 exec, exec, s[36:37]
	v_cmp_gt_u32_e32 vcc, s70, v65
	s_and_saveexec_b64 s[36:37], vcc
	s_cbranch_execnz .LBB1048_62
	s_branch .LBB1048_63
.LBB1048_120:                           ;   in Loop: Header=BB1048_20 Depth=1
	s_waitcnt lgkmcnt(0)
	s_barrier
	s_mov_b64 s[16:17], 0
.LBB1048_121:                           ;   in Loop: Header=BB1048_20 Depth=1
	s_and_b64 vcc, exec, s[16:17]
	s_cbranch_vccz .LBB1048_221
; %bb.122:                              ;   in Loop: Header=BB1048_20 Depth=1
	v_mov_b32_e32 v4, v3
	v_mov_b32_e32 v7, v4
	s_mov_b32 s20, s75
	s_mov_b32 s46, s49
	v_mov_b32_e32 v6, v3
	s_barrier
	s_branch .LBB1048_124
.LBB1048_123:                           ;   in Loop: Header=BB1048_124 Depth=2
	s_or_b64 exec, exec, s[16:17]
	s_addk_i32 s20, 0xfc00
	s_cmp_ge_u32 s21, s76
	s_mov_b32 s46, s21
	s_cbranch_scc1 .LBB1048_144
.LBB1048_124:                           ;   Parent Loop BB1048_20 Depth=1
                                        ; =>  This Inner Loop Header: Depth=2
	s_add_i32 s21, s46, 0x400
	s_cmp_gt_u32 s21, s76
	s_mov_b64 s[16:17], -1
                                        ; implicit-def: $vgpr8_vgpr9
	s_cbranch_scc1 .LBB1048_126
; %bb.125:                              ;   in Loop: Header=BB1048_124 Depth=2
	s_lshl_b64 s[16:17], s[46:47], 1
	v_mov_b32_e32 v4, s17
	v_add_co_u32_e32 v8, vcc, s16, v37
	v_addc_co_u32_e32 v9, vcc, v38, v4, vcc
	global_load_ushort v4, v[8:9], off
	global_load_ushort v10, v[8:9], off offset:1024
	global_load_ushort v11, v[8:9], off offset:1536
	;; [unrolled: 1-line block ×3, first 2 shown]
	s_mov_b64 s[16:17], 0
	s_waitcnt vmcnt(1)
	v_perm_b32 v9, v11, v10, s58
	s_waitcnt vmcnt(0)
	v_perm_b32 v8, v12, v4, s58
.LBB1048_126:                           ;   in Loop: Header=BB1048_124 Depth=2
	s_andn2_b64 vcc, exec, s[16:17]
	s_movk_i32 s18, 0x400
	s_cbranch_vccnz .LBB1048_133
; %bb.127:                              ;   in Loop: Header=BB1048_124 Depth=2
	s_lshl_b64 s[16:17], s[46:47], 1
	s_add_u32 s16, s66, s16
	s_addc_u32 s17, s67, s17
	v_cmp_gt_u32_e32 vcc, s20, v0
	s_and_saveexec_b64 s[18:19], vcc
	s_cbranch_execnz .LBB1048_141
; %bb.128:                              ;   in Loop: Header=BB1048_124 Depth=2
	s_or_b64 exec, exec, s[18:19]
	v_cmp_gt_u32_e32 vcc, s20, v20
	s_and_saveexec_b64 s[18:19], vcc
	s_cbranch_execnz .LBB1048_142
.LBB1048_129:                           ;   in Loop: Header=BB1048_124 Depth=2
	s_or_b64 exec, exec, s[18:19]
	v_cmp_gt_u32_e32 vcc, s20, v21
	s_and_saveexec_b64 s[18:19], vcc
	s_cbranch_execnz .LBB1048_143
.LBB1048_130:                           ;   in Loop: Header=BB1048_124 Depth=2
	s_or_b64 exec, exec, s[18:19]
	v_cmp_gt_u32_e32 vcc, s20, v22
	s_and_saveexec_b64 s[18:19], vcc
	s_cbranch_execz .LBB1048_132
.LBB1048_131:                           ;   in Loop: Header=BB1048_124 Depth=2
	global_load_ushort v4, v58, s[16:17] offset:1536
	s_waitcnt vmcnt(0)
	v_perm_b32 v7, v4, v7, s58
.LBB1048_132:                           ;   in Loop: Header=BB1048_124 Depth=2
	s_or_b64 exec, exec, s[18:19]
	v_mov_b32_e32 v9, v7
	s_mov_b32 s18, s20
	v_mov_b32_e32 v8, v6
.LBB1048_133:                           ;   in Loop: Header=BB1048_124 Depth=2
	v_mov_b32_e32 v6, v8
	v_mov_b32_e32 v7, v9
	v_cmp_gt_u32_e32 vcc, s18, v0
	s_and_saveexec_b64 s[16:17], vcc
	s_cbranch_execnz .LBB1048_137
; %bb.134:                              ;   in Loop: Header=BB1048_124 Depth=2
	s_or_b64 exec, exec, s[16:17]
	v_cmp_gt_u32_e32 vcc, s18, v20
	s_and_saveexec_b64 s[16:17], vcc
	s_cbranch_execnz .LBB1048_138
.LBB1048_135:                           ;   in Loop: Header=BB1048_124 Depth=2
	s_or_b64 exec, exec, s[16:17]
	v_cmp_gt_u32_e32 vcc, s18, v21
	s_and_saveexec_b64 s[16:17], vcc
	s_cbranch_execnz .LBB1048_139
.LBB1048_136:                           ;   in Loop: Header=BB1048_124 Depth=2
	s_or_b64 exec, exec, s[16:17]
	v_cmp_gt_u32_e32 vcc, s18, v22
	s_and_saveexec_b64 s[16:17], vcc
	s_cbranch_execz .LBB1048_123
	s_branch .LBB1048_140
.LBB1048_137:                           ;   in Loop: Header=BB1048_124 Depth=2
	v_xor_b32_e32 v4, 0xffff8000, v6
	v_lshrrev_b32_sdwa v4, s62, v4 dst_sel:DWORD dst_unused:UNUSED_PAD src0_sel:DWORD src1_sel:WORD_0
	v_and_b32_e32 v4, s63, v4
	v_lshl_or_b32 v4, v4, 4, v25
	ds_add_u32 v4, v55
	s_or_b64 exec, exec, s[16:17]
	v_cmp_gt_u32_e32 vcc, s18, v20
	s_and_saveexec_b64 s[16:17], vcc
	s_cbranch_execz .LBB1048_135
.LBB1048_138:                           ;   in Loop: Header=BB1048_124 Depth=2
	v_xor_b32_sdwa v4, v6, s60 dst_sel:DWORD dst_unused:UNUSED_PAD src0_sel:WORD_1 src1_sel:DWORD
	v_lshrrev_b32_sdwa v4, s62, v4 dst_sel:DWORD dst_unused:UNUSED_PAD src0_sel:DWORD src1_sel:WORD_0
	v_and_b32_e32 v4, s63, v4
	v_lshl_or_b32 v4, v4, 4, v25
	ds_add_u32 v4, v55
	s_or_b64 exec, exec, s[16:17]
	v_cmp_gt_u32_e32 vcc, s18, v21
	s_and_saveexec_b64 s[16:17], vcc
	s_cbranch_execz .LBB1048_136
.LBB1048_139:                           ;   in Loop: Header=BB1048_124 Depth=2
	v_xor_b32_e32 v4, 0xffff8000, v7
	v_lshrrev_b32_sdwa v4, s62, v4 dst_sel:DWORD dst_unused:UNUSED_PAD src0_sel:DWORD src1_sel:WORD_0
	v_and_b32_e32 v4, s63, v4
	v_lshl_or_b32 v4, v4, 4, v25
	ds_add_u32 v4, v55
	s_or_b64 exec, exec, s[16:17]
	v_cmp_gt_u32_e32 vcc, s18, v22
	s_and_saveexec_b64 s[16:17], vcc
	s_cbranch_execz .LBB1048_123
.LBB1048_140:                           ;   in Loop: Header=BB1048_124 Depth=2
	v_xor_b32_sdwa v4, v7, s60 dst_sel:DWORD dst_unused:UNUSED_PAD src0_sel:WORD_1 src1_sel:DWORD
	v_lshrrev_b32_sdwa v4, s62, v4 dst_sel:DWORD dst_unused:UNUSED_PAD src0_sel:DWORD src1_sel:WORD_0
	v_and_b32_e32 v4, s63, v4
	v_lshl_or_b32 v4, v4, 4, v25
	ds_add_u32 v4, v55
	s_branch .LBB1048_123
.LBB1048_141:                           ;   in Loop: Header=BB1048_124 Depth=2
	global_load_ushort v4, v58, s[16:17]
	s_waitcnt vmcnt(0)
	v_bfi_b32 v6, s59, v4, v6
	s_or_b64 exec, exec, s[18:19]
	v_cmp_gt_u32_e32 vcc, s20, v20
	s_and_saveexec_b64 s[18:19], vcc
	s_cbranch_execz .LBB1048_129
.LBB1048_142:                           ;   in Loop: Header=BB1048_124 Depth=2
	global_load_ushort v4, v58, s[16:17] offset:512
	s_waitcnt vmcnt(0)
	v_perm_b32 v6, v4, v6, s58
	s_or_b64 exec, exec, s[18:19]
	v_cmp_gt_u32_e32 vcc, s20, v21
	s_and_saveexec_b64 s[18:19], vcc
	s_cbranch_execz .LBB1048_130
.LBB1048_143:                           ;   in Loop: Header=BB1048_124 Depth=2
	global_load_ushort v4, v58, s[16:17] offset:1024
	s_waitcnt vmcnt(0)
	v_bfi_b32 v7, s59, v4, v7
	s_or_b64 exec, exec, s[18:19]
	v_cmp_gt_u32_e32 vcc, s20, v22
	s_and_saveexec_b64 s[18:19], vcc
	s_cbranch_execnz .LBB1048_131
	s_branch .LBB1048_132
.LBB1048_144:                           ;   in Loop: Header=BB1048_20 Depth=1
	v_mov_b32_e32 v4, 0
	s_waitcnt lgkmcnt(0)
	s_barrier
	s_and_saveexec_b64 s[16:17], s[4:5]
	s_cbranch_execz .LBB1048_146
; %bb.145:                              ;   in Loop: Header=BB1048_20 Depth=1
	ds_read2_b64 v[6:9], v26 offset1:1
	s_waitcnt lgkmcnt(0)
	v_add_u32_e32 v4, v7, v6
	v_add3_u32 v4, v4, v8, v9
.LBB1048_146:                           ;   in Loop: Header=BB1048_20 Depth=1
	s_or_b64 exec, exec, s[16:17]
	s_nop 0
	v_mov_b32_dpp v6, v4 row_shr:1 row_mask:0xf bank_mask:0xf
	v_cmp_eq_u32_e64 s[16:17], 0, v59
	v_cndmask_b32_e64 v6, v6, 0, s[16:17]
	v_add_u32_e32 v4, v6, v4
	v_cmp_lt_u32_e64 s[18:19], 1, v59
	v_cmp_lt_u32_e64 s[20:21], 3, v59
	v_mov_b32_dpp v6, v4 row_shr:2 row_mask:0xf bank_mask:0xf
	v_cndmask_b32_e64 v6, 0, v6, s[18:19]
	v_add_u32_e32 v4, v4, v6
	v_cmp_lt_u32_e64 s[22:23], 7, v59
	v_cmp_lt_u32_e64 s[26:27], 31, v49
	v_mov_b32_dpp v6, v4 row_shr:4 row_mask:0xf bank_mask:0xf
	v_cndmask_b32_e64 v6, 0, v6, s[20:21]
	v_add_u32_e32 v4, v4, v6
	v_cmp_eq_u32_e64 s[24:25], 0, v61
	s_nop 0
	v_mov_b32_dpp v6, v4 row_shr:8 row_mask:0xf bank_mask:0xf
	v_cndmask_b32_e64 v6, 0, v6, s[22:23]
	v_add_u32_e32 v4, v4, v6
	s_nop 1
	v_mov_b32_dpp v6, v4 row_bcast:15 row_mask:0xf bank_mask:0xf
	v_and_b32_e32 v6, v60, v6
	v_add_u32_e32 v4, v4, v6
	s_nop 1
	v_mov_b32_dpp v6, v4 row_bcast:31 row_mask:0xf bank_mask:0xf
	v_cndmask_b32_e64 v6, 0, v6, s[26:27]
	v_add_u32_e32 v4, v4, v6
	s_and_saveexec_b64 s[28:29], s[6:7]
; %bb.147:                              ;   in Loop: Header=BB1048_20 Depth=1
	ds_write_b32 v28, v4
; %bb.148:                              ;   in Loop: Header=BB1048_20 Depth=1
	s_or_b64 exec, exec, s[28:29]
	s_waitcnt lgkmcnt(0)
	s_barrier
	s_and_saveexec_b64 s[28:29], s[8:9]
	s_cbranch_execz .LBB1048_150
; %bb.149:                              ;   in Loop: Header=BB1048_20 Depth=1
	ds_read_b32 v6, v29
	v_cmp_ne_u32_e32 vcc, 0, v62
	s_waitcnt lgkmcnt(0)
	v_mov_b32_dpp v7, v6 row_shr:1 row_mask:0xf bank_mask:0xf
	v_cndmask_b32_e32 v7, 0, v7, vcc
	v_add_u32_e32 v6, v7, v6
	v_cmp_lt_u32_e32 vcc, 1, v62
	s_nop 0
	v_mov_b32_dpp v7, v6 row_shr:2 row_mask:0xf bank_mask:0xf
	v_cndmask_b32_e32 v7, 0, v7, vcc
	v_add_u32_e32 v6, v6, v7
	ds_write_b32 v29, v6
.LBB1048_150:                           ;   in Loop: Header=BB1048_20 Depth=1
	s_or_b64 exec, exec, s[28:29]
	v_mov_b32_e32 v6, 0
	s_waitcnt lgkmcnt(0)
	s_barrier
	s_and_saveexec_b64 s[28:29], s[10:11]
; %bb.151:                              ;   in Loop: Header=BB1048_20 Depth=1
	ds_read_b32 v6, v53
; %bb.152:                              ;   in Loop: Header=BB1048_20 Depth=1
	s_or_b64 exec, exec, s[28:29]
	v_subrev_co_u32_e64 v7, s[28:29], 1, v49
	v_cmp_lt_i32_e32 vcc, v7, v63
	v_cndmask_b32_e32 v7, v7, v49, vcc
	s_waitcnt lgkmcnt(0)
	v_add_u32_e32 v4, v6, v4
	v_lshlrev_b32_e32 v68, 2, v7
	ds_bpermute_b32 v4, v68, v4
	s_waitcnt lgkmcnt(0)
	s_barrier
	s_and_saveexec_b64 s[30:31], s[4:5]
; %bb.153:                              ;   in Loop: Header=BB1048_20 Depth=1
	v_cndmask_b32_e64 v4, v4, v6, s[28:29]
	v_add_u32_e32 v4, s49, v4
	ds_write_b32 v19, v4
; %bb.154:                              ;   in Loop: Header=BB1048_20 Depth=1
	s_or_b64 exec, exec, s[30:31]
	s_load_dwordx2 s[30:31], s[44:45], 0x0
	v_add_co_u32_e32 v69, vcc, v39, v50
	v_addc_co_u32_e32 v70, vcc, 0, v40, vcc
	s_waitcnt lgkmcnt(0)
	s_cmp_lt_u32 s33, s31
	s_cselect_b32 s31, 14, 20
	s_add_u32 s34, s44, s31
	s_addc_u32 s35, s45, 0
	s_cmp_lt_u32 s48, s30
	s_cselect_b32 s30, 12, 18
	s_add_u32 s30, s44, s30
	global_load_ushort v4, v3, s[34:35]
	s_addc_u32 s31, s45, 0
	global_load_ushort v6, v3, s[30:31]
	v_add_co_u32_e32 v71, vcc, v41, v52
	v_cmp_eq_u32_e64 s[30:31], 0, v62
	v_cmp_lt_u32_e64 s[34:35], 1, v62
	v_addc_co_u32_e32 v72, vcc, 0, v42, vcc
	s_mov_b32 s70, s75
	s_mov_b32 s46, s49
                                        ; implicit-def: $vgpr9_vgpr10
                                        ; implicit-def: $vgpr11_vgpr12
                                        ; implicit-def: $vgpr13_vgpr14
                                        ; implicit-def: $vgpr73
                                        ; implicit-def: $vgpr74
                                        ; implicit-def: $vgpr76
                                        ; implicit-def: $vgpr77
	s_waitcnt vmcnt(1)
	v_mad_u32_u24 v4, v2, v4, v1
	s_waitcnt vmcnt(0)
	v_mad_u64_u32 v[6:7], s[36:37], v4, v6, v[0:1]
                                        ; implicit-def: $vgpr7_vgpr8
	v_lshrrev_b32_e32 v4, 4, v6
	v_and_b32_e32 v75, 0xffffffc, v4
	s_branch .LBB1048_156
.LBB1048_155:                           ;   in Loop: Header=BB1048_156 Depth=2
	s_or_b64 exec, exec, s[36:37]
	s_addk_i32 s70, 0xfc00
	s_cmp_lt_u32 s71, s76
	s_mov_b32 s46, s71
	s_cbranch_scc0 .LBB1048_220
.LBB1048_156:                           ;   Parent Loop BB1048_20 Depth=1
                                        ; =>  This Inner Loop Header: Depth=2
	s_add_i32 s71, s46, 0x400
	s_cmp_gt_u32 s71, s76
	s_cbranch_scc1 .LBB1048_158
; %bb.157:                              ;   in Loop: Header=BB1048_156 Depth=2
	s_lshl_b64 s[36:37], s[46:47], 1
	v_mov_b32_e32 v4, s37
	v_add_co_u32_e32 v15, vcc, s36, v71
	v_addc_co_u32_e32 v16, vcc, v72, v4, vcc
	global_load_ushort v4, v[15:16], off
	global_load_ushort v6, v[15:16], off offset:128
	s_nop 0
	global_load_ushort v16, v[15:16], off offset:256
	s_mov_b64 s[36:37], -1
	s_waitcnt vmcnt(1)
	v_perm_b32 v15, v6, v4, s58
	s_movk_i32 s40, 0x400
	s_cbranch_execz .LBB1048_159
	s_branch .LBB1048_164
.LBB1048_158:                           ;   in Loop: Header=BB1048_156 Depth=2
	s_mov_b64 s[36:37], 0
                                        ; implicit-def: $vgpr15_vgpr16
	s_movk_i32 s40, 0x400
.LBB1048_159:                           ;   in Loop: Header=BB1048_156 Depth=2
	s_lshl_b64 s[36:37], s[46:47], 1
	v_mov_b32_e32 v4, s37
	v_add_co_u32_e32 v17, vcc, s36, v71
	v_mov_b32_e32 v6, v5
	v_addc_co_u32_e32 v18, vcc, v72, v4, vcc
	s_waitcnt vmcnt(0)
	v_mov_b32_e32 v16, v6
	v_cmp_gt_u32_e32 vcc, s70, v51
	v_mov_b32_e32 v15, v5
	s_and_saveexec_b64 s[36:37], vcc
	s_cbranch_execnz .LBB1048_218
; %bb.160:                              ;   in Loop: Header=BB1048_156 Depth=2
	s_or_b64 exec, exec, s[36:37]
	v_cmp_gt_u32_e32 vcc, s70, v64
	s_and_saveexec_b64 s[36:37], vcc
	s_cbranch_execnz .LBB1048_219
.LBB1048_161:                           ;   in Loop: Header=BB1048_156 Depth=2
	s_or_b64 exec, exec, s[36:37]
	v_cmp_gt_u32_e32 vcc, s70, v65
	s_and_saveexec_b64 s[36:37], vcc
	s_cbranch_execz .LBB1048_163
.LBB1048_162:                           ;   in Loop: Header=BB1048_156 Depth=2
	global_load_ushort v4, v[17:18], off offset:256
	s_waitcnt vmcnt(0)
	v_bfi_b32 v16, s59, v4, v16
.LBB1048_163:                           ;   in Loop: Header=BB1048_156 Depth=2
	s_or_b64 exec, exec, s[36:37]
	s_sub_i32 s40, s76, s46
	v_cmp_gt_u32_e64 s[36:37], s70, v66
.LBB1048_164:                           ;   in Loop: Header=BB1048_156 Depth=2
	v_mov_b32_e32 v78, s70
	s_and_saveexec_b64 s[38:39], s[36:37]
	s_cbranch_execz .LBB1048_166
; %bb.165:                              ;   in Loop: Header=BB1048_156 Depth=2
	s_lshl_b64 s[36:37], s[46:47], 1
	v_mov_b32_e32 v4, s37
	v_add_co_u32_e32 v17, vcc, s36, v71
	v_addc_co_u32_e32 v18, vcc, v72, v4, vcc
	global_load_ushort v4, v[17:18], off offset:384
	v_mov_b32_e32 v78, s40
	s_waitcnt vmcnt(0)
	v_perm_b32 v16, v4, v16, s58
.LBB1048_166:                           ;   in Loop: Header=BB1048_156 Depth=2
	s_or_b64 exec, exec, s[38:39]
	v_xor_b32_e32 v6, 0xffff8000, v15
	v_lshrrev_b32_sdwa v4, s62, v6 dst_sel:DWORD dst_unused:UNUSED_PAD src0_sel:DWORD src1_sel:WORD_0
	v_and_b32_e32 v17, s63, v4
	v_and_b32_e32 v4, 1, v17
	v_add_co_u32_e32 v18, vcc, -1, v4
	v_addc_co_u32_e64 v79, s[36:37], 0, -1, vcc
	v_cmp_ne_u32_e32 vcc, 0, v4
	v_xor_b32_e32 v4, vcc_hi, v79
	v_and_b32_e32 v79, exec_hi, v4
	v_lshlrev_b32_e32 v4, 30, v17
	v_xor_b32_e32 v18, vcc_lo, v18
	v_cmp_gt_i64_e32 vcc, 0, v[3:4]
	v_not_b32_e32 v4, v4
	v_ashrrev_i32_e32 v4, 31, v4
	v_and_b32_e32 v18, exec_lo, v18
	v_xor_b32_e32 v81, vcc_hi, v4
	v_xor_b32_e32 v4, vcc_lo, v4
	v_and_b32_e32 v18, v18, v4
	v_lshlrev_b32_e32 v4, 29, v17
	v_cmp_gt_i64_e32 vcc, 0, v[3:4]
	v_not_b32_e32 v4, v4
	v_ashrrev_i32_e32 v4, 31, v4
	v_and_b32_e32 v79, v79, v81
	v_xor_b32_e32 v81, vcc_hi, v4
	v_xor_b32_e32 v4, vcc_lo, v4
	v_and_b32_e32 v18, v18, v4
	v_lshlrev_b32_e32 v4, 28, v17
	v_cmp_gt_i64_e32 vcc, 0, v[3:4]
	v_not_b32_e32 v4, v4
	v_ashrrev_i32_e32 v4, 31, v4
	v_and_b32_e32 v79, v79, v81
	;; [unrolled: 8-line block ×5, first 2 shown]
	v_xor_b32_e32 v81, vcc_hi, v4
	v_xor_b32_e32 v4, vcc_lo, v4
	v_and_b32_e32 v79, v79, v81
	v_and_b32_e32 v81, v18, v4
	v_lshlrev_b32_e32 v4, 24, v17
	v_cmp_gt_i64_e32 vcc, 0, v[3:4]
	v_not_b32_e32 v4, v4
	v_ashrrev_i32_e32 v4, 31, v4
	v_mul_u32_u24_e32 v80, 20, v17
	v_xor_b32_e32 v17, vcc_hi, v4
	v_xor_b32_e32 v4, vcc_lo, v4
	v_and_b32_e32 v18, v79, v17
	v_and_b32_e32 v17, v81, v4
	v_mbcnt_lo_u32_b32 v4, v17, 0
	v_mbcnt_hi_u32_b32 v79, v18, v4
	v_cmp_ne_u64_e32 vcc, 0, v[17:18]
	v_cmp_eq_u32_e64 s[36:37], 0, v79
	s_and_b64 s[38:39], vcc, s[36:37]
	v_add_u32_e32 v82, v75, v80
	ds_write2_b32 v56, v3, v3 offset1:1
	ds_write2_b32 v57, v3, v3 offset1:1
	ds_write_b32 v30, v3 offset:1056
	s_waitcnt vmcnt(0) lgkmcnt(0)
	s_barrier
	; wave barrier
	s_and_saveexec_b64 s[36:37], s[38:39]
; %bb.167:                              ;   in Loop: Header=BB1048_156 Depth=2
	v_bcnt_u32_b32 v4, v17, 0
	v_bcnt_u32_b32 v4, v18, v4
	ds_write_b32 v82, v4 offset:1040
; %bb.168:                              ;   in Loop: Header=BB1048_156 Depth=2
	s_or_b64 exec, exec, s[36:37]
	v_xor_b32_sdwa v80, v15, s60 dst_sel:DWORD dst_unused:UNUSED_PAD src0_sel:WORD_1 src1_sel:DWORD
	v_lshrrev_b32_sdwa v4, s62, v80 dst_sel:DWORD dst_unused:UNUSED_PAD src0_sel:DWORD src1_sel:WORD_0
	v_and_b32_e32 v15, s63, v4
	v_mad_u32_u24 v4, v15, 20, v75
	; wave barrier
	ds_read_b32 v81, v4 offset:1040
	v_and_b32_e32 v4, 1, v15
	v_add_co_u32_e32 v17, vcc, -1, v4
	v_addc_co_u32_e64 v18, s[36:37], 0, -1, vcc
	v_cmp_ne_u32_e32 vcc, 0, v4
	v_xor_b32_e32 v4, vcc_hi, v18
	v_and_b32_e32 v18, exec_hi, v4
	v_lshlrev_b32_e32 v4, 30, v15
	v_xor_b32_e32 v17, vcc_lo, v17
	v_cmp_gt_i64_e32 vcc, 0, v[3:4]
	v_not_b32_e32 v4, v4
	v_ashrrev_i32_e32 v4, 31, v4
	v_and_b32_e32 v17, exec_lo, v17
	v_xor_b32_e32 v83, vcc_hi, v4
	v_xor_b32_e32 v4, vcc_lo, v4
	v_and_b32_e32 v17, v17, v4
	v_lshlrev_b32_e32 v4, 29, v15
	v_cmp_gt_i64_e32 vcc, 0, v[3:4]
	v_not_b32_e32 v4, v4
	v_ashrrev_i32_e32 v4, 31, v4
	v_and_b32_e32 v18, v18, v83
	v_xor_b32_e32 v83, vcc_hi, v4
	v_xor_b32_e32 v4, vcc_lo, v4
	v_and_b32_e32 v17, v17, v4
	v_lshlrev_b32_e32 v4, 28, v15
	v_cmp_gt_i64_e32 vcc, 0, v[3:4]
	v_not_b32_e32 v4, v4
	v_ashrrev_i32_e32 v4, 31, v4
	v_and_b32_e32 v18, v18, v83
	;; [unrolled: 8-line block ×5, first 2 shown]
	v_xor_b32_e32 v83, vcc_hi, v4
	v_xor_b32_e32 v4, vcc_lo, v4
	v_and_b32_e32 v17, v17, v4
	v_lshlrev_b32_e32 v4, 24, v15
	v_cmp_gt_i64_e32 vcc, 0, v[3:4]
	v_not_b32_e32 v4, v4
	v_ashrrev_i32_e32 v4, 31, v4
	v_mul_u32_u24_e32 v84, 20, v15
	v_xor_b32_e32 v15, vcc_hi, v4
	v_xor_b32_e32 v4, vcc_lo, v4
	v_and_b32_e32 v18, v18, v83
	v_and_b32_e32 v17, v17, v4
	;; [unrolled: 1-line block ×3, first 2 shown]
	v_mbcnt_lo_u32_b32 v4, v17, 0
	v_mbcnt_hi_u32_b32 v83, v18, v4
	v_cmp_ne_u64_e32 vcc, 0, v[17:18]
	v_cmp_eq_u32_e64 s[36:37], 0, v83
	s_and_b64 s[38:39], vcc, s[36:37]
	v_add_u32_e32 v86, v75, v84
	; wave barrier
	s_and_saveexec_b64 s[36:37], s[38:39]
	s_cbranch_execz .LBB1048_170
; %bb.169:                              ;   in Loop: Header=BB1048_156 Depth=2
	v_bcnt_u32_b32 v4, v17, 0
	v_bcnt_u32_b32 v4, v18, v4
	s_waitcnt lgkmcnt(0)
	v_add_u32_e32 v4, v81, v4
	ds_write_b32 v86, v4 offset:1040
.LBB1048_170:                           ;   in Loop: Header=BB1048_156 Depth=2
	s_or_b64 exec, exec, s[36:37]
	v_xor_b32_e32 v84, 0xffff8000, v16
	v_lshrrev_b32_sdwa v4, s62, v84 dst_sel:DWORD dst_unused:UNUSED_PAD src0_sel:DWORD src1_sel:WORD_0
	v_and_b32_e32 v15, s63, v4
	v_mad_u32_u24 v4, v15, 20, v75
	; wave barrier
	ds_read_b32 v85, v4 offset:1040
	v_and_b32_e32 v4, 1, v15
	v_add_co_u32_e32 v17, vcc, -1, v4
	v_addc_co_u32_e64 v18, s[36:37], 0, -1, vcc
	v_cmp_ne_u32_e32 vcc, 0, v4
	v_xor_b32_e32 v4, vcc_hi, v18
	v_and_b32_e32 v18, exec_hi, v4
	v_lshlrev_b32_e32 v4, 30, v15
	v_xor_b32_e32 v17, vcc_lo, v17
	v_cmp_gt_i64_e32 vcc, 0, v[3:4]
	v_not_b32_e32 v4, v4
	v_ashrrev_i32_e32 v4, 31, v4
	v_and_b32_e32 v17, exec_lo, v17
	v_xor_b32_e32 v87, vcc_hi, v4
	v_xor_b32_e32 v4, vcc_lo, v4
	v_and_b32_e32 v17, v17, v4
	v_lshlrev_b32_e32 v4, 29, v15
	v_cmp_gt_i64_e32 vcc, 0, v[3:4]
	v_not_b32_e32 v4, v4
	v_ashrrev_i32_e32 v4, 31, v4
	v_and_b32_e32 v18, v18, v87
	v_xor_b32_e32 v87, vcc_hi, v4
	v_xor_b32_e32 v4, vcc_lo, v4
	v_and_b32_e32 v17, v17, v4
	v_lshlrev_b32_e32 v4, 28, v15
	v_cmp_gt_i64_e32 vcc, 0, v[3:4]
	v_not_b32_e32 v4, v4
	v_ashrrev_i32_e32 v4, 31, v4
	v_and_b32_e32 v18, v18, v87
	;; [unrolled: 8-line block ×5, first 2 shown]
	v_xor_b32_e32 v87, vcc_hi, v4
	v_xor_b32_e32 v4, vcc_lo, v4
	v_and_b32_e32 v17, v17, v4
	v_lshlrev_b32_e32 v4, 24, v15
	v_cmp_gt_i64_e32 vcc, 0, v[3:4]
	v_not_b32_e32 v4, v4
	v_ashrrev_i32_e32 v4, 31, v4
	v_mul_u32_u24_e32 v88, 20, v15
	v_xor_b32_e32 v15, vcc_hi, v4
	v_xor_b32_e32 v4, vcc_lo, v4
	v_and_b32_e32 v18, v18, v87
	v_and_b32_e32 v17, v17, v4
	;; [unrolled: 1-line block ×3, first 2 shown]
	v_mbcnt_lo_u32_b32 v4, v17, 0
	v_mbcnt_hi_u32_b32 v87, v18, v4
	v_cmp_ne_u64_e32 vcc, 0, v[17:18]
	v_cmp_eq_u32_e64 s[36:37], 0, v87
	s_and_b64 s[38:39], vcc, s[36:37]
	v_add_u32_e32 v90, v75, v88
	; wave barrier
	s_and_saveexec_b64 s[36:37], s[38:39]
	s_cbranch_execz .LBB1048_172
; %bb.171:                              ;   in Loop: Header=BB1048_156 Depth=2
	v_bcnt_u32_b32 v4, v17, 0
	v_bcnt_u32_b32 v4, v18, v4
	s_waitcnt lgkmcnt(0)
	v_add_u32_e32 v4, v85, v4
	ds_write_b32 v90, v4 offset:1040
.LBB1048_172:                           ;   in Loop: Header=BB1048_156 Depth=2
	s_or_b64 exec, exec, s[36:37]
	v_xor_b32_sdwa v88, v16, s60 dst_sel:DWORD dst_unused:UNUSED_PAD src0_sel:WORD_1 src1_sel:DWORD
	v_lshrrev_b32_sdwa v4, s62, v88 dst_sel:DWORD dst_unused:UNUSED_PAD src0_sel:DWORD src1_sel:WORD_0
	v_and_b32_e32 v15, s63, v4
	v_mad_u32_u24 v4, v15, 20, v75
	; wave barrier
	ds_read_b32 v89, v4 offset:1040
	v_and_b32_e32 v4, 1, v15
	v_add_co_u32_e32 v16, vcc, -1, v4
	v_addc_co_u32_e64 v18, s[36:37], 0, -1, vcc
	v_cmp_ne_u32_e32 vcc, 0, v4
	v_xor_b32_e32 v4, vcc_hi, v18
	v_and_b32_e32 v18, exec_hi, v4
	v_lshlrev_b32_e32 v4, 30, v15
	v_xor_b32_e32 v16, vcc_lo, v16
	v_cmp_gt_i64_e32 vcc, 0, v[3:4]
	v_not_b32_e32 v4, v4
	v_ashrrev_i32_e32 v4, 31, v4
	v_and_b32_e32 v16, exec_lo, v16
	v_xor_b32_e32 v91, vcc_hi, v4
	v_xor_b32_e32 v4, vcc_lo, v4
	v_and_b32_e32 v16, v16, v4
	v_lshlrev_b32_e32 v4, 29, v15
	v_cmp_gt_i64_e32 vcc, 0, v[3:4]
	v_not_b32_e32 v4, v4
	v_ashrrev_i32_e32 v4, 31, v4
	v_and_b32_e32 v18, v18, v91
	v_xor_b32_e32 v91, vcc_hi, v4
	v_xor_b32_e32 v4, vcc_lo, v4
	v_and_b32_e32 v16, v16, v4
	v_lshlrev_b32_e32 v4, 28, v15
	v_cmp_gt_i64_e32 vcc, 0, v[3:4]
	v_not_b32_e32 v4, v4
	v_ashrrev_i32_e32 v4, 31, v4
	v_and_b32_e32 v18, v18, v91
	;; [unrolled: 8-line block ×5, first 2 shown]
	v_xor_b32_e32 v91, vcc_hi, v4
	v_xor_b32_e32 v4, vcc_lo, v4
	v_and_b32_e32 v18, v18, v91
	v_and_b32_e32 v91, v16, v4
	v_lshlrev_b32_e32 v4, 24, v15
	v_cmp_gt_i64_e32 vcc, 0, v[3:4]
	v_not_b32_e32 v4, v4
	v_ashrrev_i32_e32 v4, 31, v4
	v_mul_u32_u24_e32 v17, 20, v15
	v_xor_b32_e32 v15, vcc_hi, v4
	v_xor_b32_e32 v4, vcc_lo, v4
	v_and_b32_e32 v16, v18, v15
	v_and_b32_e32 v15, v91, v4
	v_mbcnt_lo_u32_b32 v4, v15, 0
	v_mbcnt_hi_u32_b32 v4, v16, v4
	v_cmp_ne_u64_e32 vcc, 0, v[15:16]
	v_cmp_eq_u32_e64 s[36:37], 0, v4
	s_and_b64 s[38:39], vcc, s[36:37]
	v_add_u32_e32 v91, v75, v17
	; wave barrier
	s_and_saveexec_b64 s[36:37], s[38:39]
	s_cbranch_execz .LBB1048_174
; %bb.173:                              ;   in Loop: Header=BB1048_156 Depth=2
	v_bcnt_u32_b32 v15, v15, 0
	v_bcnt_u32_b32 v15, v16, v15
	s_waitcnt lgkmcnt(0)
	v_add_u32_e32 v15, v89, v15
	ds_write_b32 v91, v15 offset:1040
.LBB1048_174:                           ;   in Loop: Header=BB1048_156 Depth=2
	s_or_b64 exec, exec, s[36:37]
	; wave barrier
	s_waitcnt lgkmcnt(0)
	s_barrier
	ds_read2_b32 v[17:18], v56 offset1:1
	ds_read2_b32 v[15:16], v57 offset1:1
	ds_read_b32 v92, v30 offset:1056
	s_waitcnt lgkmcnt(1)
	v_add3_u32 v93, v18, v17, v15
	s_waitcnt lgkmcnt(0)
	v_add3_u32 v92, v93, v16, v92
	s_nop 1
	v_mov_b32_dpp v93, v92 row_shr:1 row_mask:0xf bank_mask:0xf
	v_cndmask_b32_e64 v93, v93, 0, s[16:17]
	v_add_u32_e32 v92, v93, v92
	s_nop 1
	v_mov_b32_dpp v93, v92 row_shr:2 row_mask:0xf bank_mask:0xf
	v_cndmask_b32_e64 v93, 0, v93, s[18:19]
	v_add_u32_e32 v92, v92, v93
	;; [unrolled: 4-line block ×4, first 2 shown]
	s_nop 1
	v_mov_b32_dpp v93, v92 row_bcast:15 row_mask:0xf bank_mask:0xf
	v_cndmask_b32_e64 v93, v93, 0, s[24:25]
	v_add_u32_e32 v92, v92, v93
	s_nop 1
	v_mov_b32_dpp v93, v92 row_bcast:31 row_mask:0xf bank_mask:0xf
	v_cndmask_b32_e64 v93, 0, v93, s[26:27]
	v_add_u32_e32 v92, v92, v93
	s_and_saveexec_b64 s[36:37], s[6:7]
; %bb.175:                              ;   in Loop: Header=BB1048_156 Depth=2
	ds_write_b32 v27, v92 offset:1024
; %bb.176:                              ;   in Loop: Header=BB1048_156 Depth=2
	s_or_b64 exec, exec, s[36:37]
	s_waitcnt lgkmcnt(0)
	s_barrier
	s_and_saveexec_b64 s[36:37], s[8:9]
	s_cbranch_execz .LBB1048_178
; %bb.177:                              ;   in Loop: Header=BB1048_156 Depth=2
	ds_read_b32 v93, v31 offset:1024
	s_waitcnt lgkmcnt(0)
	s_nop 0
	v_mov_b32_dpp v94, v93 row_shr:1 row_mask:0xf bank_mask:0xf
	v_cndmask_b32_e64 v94, v94, 0, s[30:31]
	v_add_u32_e32 v93, v94, v93
	s_nop 1
	v_mov_b32_dpp v94, v93 row_shr:2 row_mask:0xf bank_mask:0xf
	v_cndmask_b32_e64 v94, 0, v94, s[34:35]
	v_add_u32_e32 v93, v93, v94
	ds_write_b32 v31, v93 offset:1024
.LBB1048_178:                           ;   in Loop: Header=BB1048_156 Depth=2
	s_or_b64 exec, exec, s[36:37]
	v_mov_b32_e32 v93, 0
	s_waitcnt lgkmcnt(0)
	s_barrier
	s_and_saveexec_b64 s[36:37], s[10:11]
; %bb.179:                              ;   in Loop: Header=BB1048_156 Depth=2
	ds_read_b32 v93, v27 offset:1020
; %bb.180:                              ;   in Loop: Header=BB1048_156 Depth=2
	s_or_b64 exec, exec, s[36:37]
	s_waitcnt lgkmcnt(0)
	v_add_u32_e32 v92, v93, v92
	ds_bpermute_b32 v92, v68, v92
	s_waitcnt lgkmcnt(0)
	v_cndmask_b32_e64 v92, v92, v93, s[28:29]
	v_cndmask_b32_e64 v92, v92, 0, s[12:13]
	v_add_u32_e32 v17, v92, v17
	v_add_u32_e32 v18, v17, v18
	;; [unrolled: 1-line block ×4, first 2 shown]
	ds_write2_b32 v56, v92, v17 offset1:1
	ds_write2_b32 v57, v18, v15 offset1:1
	ds_write_b32 v30, v16 offset:1056
	s_waitcnt lgkmcnt(0)
	s_barrier
	ds_read_b32 v15, v82 offset:1040
	ds_read_b32 v16, v86 offset:1040
	;; [unrolled: 1-line block ×5, first 2 shown]
	v_mov_b32_e32 v82, 0x400
	s_and_saveexec_b64 s[36:37], s[14:15]
; %bb.181:                              ;   in Loop: Header=BB1048_156 Depth=2
	ds_read_b32 v82, v30 offset:1060
; %bb.182:                              ;   in Loop: Header=BB1048_156 Depth=2
	s_or_b64 exec, exec, s[36:37]
	s_waitcnt lgkmcnt(0)
	s_barrier
	s_and_saveexec_b64 s[36:37], s[4:5]
	s_cbranch_execz .LBB1048_184
; %bb.183:                              ;   in Loop: Header=BB1048_156 Depth=2
	ds_read_b32 v90, v19
	s_waitcnt lgkmcnt(0)
	v_sub_u32_e32 v86, v90, v86
	ds_write_b32 v19, v86
.LBB1048_184:                           ;   in Loop: Header=BB1048_156 Depth=2
	s_or_b64 exec, exec, s[36:37]
	v_add_u32_e32 v86, v15, v79
	v_add3_u32 v83, v83, v81, v16
	v_add3_u32 v81, v87, v85, v17
	;; [unrolled: 1-line block ×3, first 2 shown]
	v_lshlrev_b32_e32 v16, 1, v86
	ds_write_b16 v16, v6 offset:1024
	v_lshlrev_b32_e32 v15, 1, v83
	v_lshlrev_b32_e32 v6, 1, v81
	;; [unrolled: 1-line block ×3, first 2 shown]
	v_cmp_lt_u32_e32 vcc, v0, v78
	ds_write_b16 v15, v80 offset:1024
	ds_write_b16 v6, v84 offset:1024
	;; [unrolled: 1-line block ×3, first 2 shown]
	s_waitcnt lgkmcnt(0)
	s_barrier
	s_and_saveexec_b64 s[38:39], vcc
	s_cbranch_execnz .LBB1048_205
; %bb.185:                              ;   in Loop: Header=BB1048_156 Depth=2
	s_or_b64 exec, exec, s[38:39]
	v_cmp_lt_u32_e64 s[36:37], v20, v78
	s_and_saveexec_b64 s[40:41], s[36:37]
	s_cbranch_execnz .LBB1048_206
.LBB1048_186:                           ;   in Loop: Header=BB1048_156 Depth=2
	s_or_b64 exec, exec, s[40:41]
	v_cmp_lt_u32_e64 s[38:39], v21, v78
	s_and_saveexec_b64 s[42:43], s[38:39]
	s_cbranch_execnz .LBB1048_207
.LBB1048_187:                           ;   in Loop: Header=BB1048_156 Depth=2
	s_or_b64 exec, exec, s[42:43]
	v_cmp_lt_u32_e64 s[40:41], v22, v78
	s_and_saveexec_b64 s[56:57], s[40:41]
	s_cbranch_execz .LBB1048_189
.LBB1048_188:                           ;   in Loop: Header=BB1048_156 Depth=2
	ds_read_u16 v17, v36 offset:2560
	v_mov_b32_e32 v84, s69
	s_waitcnt lgkmcnt(0)
	v_lshrrev_b32_sdwa v18, s62, v17 dst_sel:DWORD dst_unused:UNUSED_PAD src0_sel:DWORD src1_sel:WORD_0
	v_and_b32_e32 v18, s63, v18
	v_lshlrev_b32_e32 v18, 2, v18
	ds_read_b32 v80, v18
	v_mov_b32_e32 v18, v3
	v_xor_b32_e32 v85, 0xffff8000, v17
	s_waitcnt lgkmcnt(0)
	v_add_u32_e32 v17, v80, v22
	v_lshlrev_b64 v[17:18], 1, v[17:18]
	v_add_co_u32_e64 v17, s[42:43], s68, v17
	v_addc_co_u32_e64 v18, s[42:43], v84, v18, s[42:43]
	global_store_short v[17:18], v85, off
.LBB1048_189:                           ;   in Loop: Header=BB1048_156 Depth=2
	s_or_b64 exec, exec, s[56:57]
	s_lshl_b64 s[42:43], s[46:47], 3
	v_mov_b32_e32 v18, s43
	v_add_co_u32_e64 v17, s[42:43], s42, v69
	v_addc_co_u32_e64 v18, s[42:43], v70, v18, s[42:43]
	v_cmp_lt_u32_e64 s[42:43], v51, v78
	s_and_saveexec_b64 s[56:57], s[42:43]
	s_xor_b64 s[42:43], exec, s[56:57]
	s_cbranch_execnz .LBB1048_208
; %bb.190:                              ;   in Loop: Header=BB1048_156 Depth=2
	s_or_b64 exec, exec, s[42:43]
	v_cmp_lt_u32_e64 s[42:43], v64, v78
	s_and_saveexec_b64 s[56:57], s[42:43]
	s_cbranch_execnz .LBB1048_209
.LBB1048_191:                           ;   in Loop: Header=BB1048_156 Depth=2
	s_or_b64 exec, exec, s[56:57]
	v_cmp_lt_u32_e64 s[42:43], v65, v78
	s_and_saveexec_b64 s[56:57], s[42:43]
	s_cbranch_execnz .LBB1048_210
.LBB1048_192:                           ;   in Loop: Header=BB1048_156 Depth=2
	s_or_b64 exec, exec, s[56:57]
	v_cmp_lt_u32_e64 s[42:43], v66, v78
	s_and_saveexec_b64 s[56:57], s[42:43]
	s_cbranch_execnz .LBB1048_211
.LBB1048_193:                           ;   in Loop: Header=BB1048_156 Depth=2
	s_or_b64 exec, exec, s[56:57]
	s_and_saveexec_b64 s[42:43], vcc
	s_cbranch_execnz .LBB1048_212
.LBB1048_194:                           ;   in Loop: Header=BB1048_156 Depth=2
	s_or_b64 exec, exec, s[42:43]
	s_and_saveexec_b64 s[42:43], s[36:37]
	s_cbranch_execnz .LBB1048_213
.LBB1048_195:                           ;   in Loop: Header=BB1048_156 Depth=2
	s_or_b64 exec, exec, s[42:43]
	s_and_saveexec_b64 s[42:43], s[38:39]
	s_cbranch_execnz .LBB1048_214
.LBB1048_196:                           ;   in Loop: Header=BB1048_156 Depth=2
	s_or_b64 exec, exec, s[42:43]
	s_and_saveexec_b64 s[42:43], s[40:41]
	s_cbranch_execz .LBB1048_198
.LBB1048_197:                           ;   in Loop: Header=BB1048_156 Depth=2
	ds_read_u16 v17, v36 offset:2560
	s_waitcnt lgkmcnt(0)
	v_lshrrev_b32_e32 v17, s62, v17
	v_and_b32_e32 v73, s63, v17
.LBB1048_198:                           ;   in Loop: Header=BB1048_156 Depth=2
	s_or_b64 exec, exec, s[42:43]
	v_mad_u64_u32 v[16:17], s[42:43], v86, 6, v[16:17]
	s_waitcnt vmcnt(0)
	v_mad_u64_u32 v[80:81], s[42:43], v81, 6, v[6:7]
	v_mad_u64_u32 v[17:18], s[42:43], v83, 6, v[15:16]
	;; [unrolled: 1-line block ×3, first 2 shown]
	s_barrier
	ds_write_b64 v16, v[13:14] offset:1024
	ds_write_b64 v17, v[11:12] offset:1024
	;; [unrolled: 1-line block ×4, first 2 shown]
	s_waitcnt lgkmcnt(0)
	s_barrier
	s_and_saveexec_b64 s[42:43], vcc
	s_cbranch_execnz .LBB1048_215
; %bb.199:                              ;   in Loop: Header=BB1048_156 Depth=2
	s_or_b64 exec, exec, s[42:43]
	s_and_saveexec_b64 s[42:43], s[36:37]
	s_cbranch_execnz .LBB1048_216
.LBB1048_200:                           ;   in Loop: Header=BB1048_156 Depth=2
	s_or_b64 exec, exec, s[42:43]
	s_and_saveexec_b64 s[36:37], s[38:39]
	s_cbranch_execnz .LBB1048_217
.LBB1048_201:                           ;   in Loop: Header=BB1048_156 Depth=2
	s_or_b64 exec, exec, s[36:37]
	s_and_saveexec_b64 s[36:37], s[40:41]
	s_cbranch_execz .LBB1048_203
.LBB1048_202:                           ;   in Loop: Header=BB1048_156 Depth=2
	v_lshlrev_b32_e32 v4, 2, v73
	ds_read_b32 v4, v4
	v_add_u32_e32 v6, v36, v54
	ds_read_b64 v[15:16], v6 offset:7168
	v_mov_b32_e32 v18, v3
	v_mov_b32_e32 v6, s55
	s_waitcnt lgkmcnt(1)
	v_add_u32_e32 v17, v4, v22
	v_lshlrev_b64 v[17:18], 3, v[17:18]
	v_add_co_u32_e32 v17, vcc, s54, v17
	v_addc_co_u32_e32 v18, vcc, v6, v18, vcc
	s_waitcnt lgkmcnt(0)
	global_store_dwordx2 v[17:18], v[15:16], off
.LBB1048_203:                           ;   in Loop: Header=BB1048_156 Depth=2
	s_or_b64 exec, exec, s[36:37]
	s_waitcnt vmcnt(0)
	s_barrier
	s_and_saveexec_b64 s[36:37], s[4:5]
	s_cbranch_execz .LBB1048_155
; %bb.204:                              ;   in Loop: Header=BB1048_156 Depth=2
	ds_read_b32 v4, v19
	s_waitcnt lgkmcnt(0)
	v_add_u32_e32 v4, v4, v82
	ds_write_b32 v19, v4
	s_branch .LBB1048_155
.LBB1048_205:                           ;   in Loop: Header=BB1048_156 Depth=2
	ds_read_u16 v17, v36 offset:1024
	v_mov_b32_e32 v84, s69
	s_waitcnt lgkmcnt(0)
	v_lshrrev_b32_sdwa v18, s62, v17 dst_sel:DWORD dst_unused:UNUSED_PAD src0_sel:DWORD src1_sel:WORD_0
	v_and_b32_e32 v18, s63, v18
	v_lshlrev_b32_e32 v18, 2, v18
	ds_read_b32 v80, v18
	v_mov_b32_e32 v18, v3
	v_xor_b32_e32 v85, 0xffff8000, v17
	s_waitcnt lgkmcnt(0)
	v_add_u32_e32 v17, v80, v0
	v_lshlrev_b64 v[17:18], 1, v[17:18]
	v_add_co_u32_e64 v17, s[36:37], s68, v17
	v_addc_co_u32_e64 v18, s[36:37], v84, v18, s[36:37]
	global_store_short v[17:18], v85, off
	s_or_b64 exec, exec, s[38:39]
	v_cmp_lt_u32_e64 s[36:37], v20, v78
	s_and_saveexec_b64 s[40:41], s[36:37]
	s_cbranch_execz .LBB1048_186
.LBB1048_206:                           ;   in Loop: Header=BB1048_156 Depth=2
	ds_read_u16 v17, v36 offset:1536
	v_mov_b32_e32 v84, s69
	s_waitcnt lgkmcnt(0)
	v_lshrrev_b32_sdwa v18, s62, v17 dst_sel:DWORD dst_unused:UNUSED_PAD src0_sel:DWORD src1_sel:WORD_0
	v_and_b32_e32 v18, s63, v18
	v_lshlrev_b32_e32 v18, 2, v18
	ds_read_b32 v80, v18
	v_mov_b32_e32 v18, v3
	v_xor_b32_e32 v85, 0xffff8000, v17
	s_waitcnt lgkmcnt(0)
	v_add_u32_e32 v17, v80, v20
	v_lshlrev_b64 v[17:18], 1, v[17:18]
	v_add_co_u32_e64 v17, s[38:39], s68, v17
	v_addc_co_u32_e64 v18, s[38:39], v84, v18, s[38:39]
	global_store_short v[17:18], v85, off
	s_or_b64 exec, exec, s[40:41]
	v_cmp_lt_u32_e64 s[38:39], v21, v78
	s_and_saveexec_b64 s[42:43], s[38:39]
	s_cbranch_execz .LBB1048_187
.LBB1048_207:                           ;   in Loop: Header=BB1048_156 Depth=2
	ds_read_u16 v17, v36 offset:2048
	v_mov_b32_e32 v84, s69
	s_waitcnt lgkmcnt(0)
	v_lshrrev_b32_sdwa v18, s62, v17 dst_sel:DWORD dst_unused:UNUSED_PAD src0_sel:DWORD src1_sel:WORD_0
	v_and_b32_e32 v18, s63, v18
	v_lshlrev_b32_e32 v18, 2, v18
	ds_read_b32 v80, v18
	v_mov_b32_e32 v18, v3
	v_xor_b32_e32 v85, 0xffff8000, v17
	s_waitcnt lgkmcnt(0)
	v_add_u32_e32 v17, v80, v21
	v_lshlrev_b64 v[17:18], 1, v[17:18]
	v_add_co_u32_e64 v17, s[40:41], s68, v17
	v_addc_co_u32_e64 v18, s[40:41], v84, v18, s[40:41]
	global_store_short v[17:18], v85, off
	s_or_b64 exec, exec, s[42:43]
	v_cmp_lt_u32_e64 s[40:41], v22, v78
	s_and_saveexec_b64 s[56:57], s[40:41]
	s_cbranch_execnz .LBB1048_188
	s_branch .LBB1048_189
.LBB1048_208:                           ;   in Loop: Header=BB1048_156 Depth=2
	global_load_dwordx2 v[13:14], v[17:18], off
	s_or_b64 exec, exec, s[42:43]
	v_cmp_lt_u32_e64 s[42:43], v64, v78
	s_and_saveexec_b64 s[56:57], s[42:43]
	s_cbranch_execz .LBB1048_191
.LBB1048_209:                           ;   in Loop: Header=BB1048_156 Depth=2
	global_load_dwordx2 v[11:12], v[17:18], off offset:512
	s_or_b64 exec, exec, s[56:57]
	v_cmp_lt_u32_e64 s[42:43], v65, v78
	s_and_saveexec_b64 s[56:57], s[42:43]
	s_cbranch_execz .LBB1048_192
.LBB1048_210:                           ;   in Loop: Header=BB1048_156 Depth=2
	global_load_dwordx2 v[9:10], v[17:18], off offset:1024
	s_or_b64 exec, exec, s[56:57]
	v_cmp_lt_u32_e64 s[42:43], v66, v78
	s_and_saveexec_b64 s[56:57], s[42:43]
	s_cbranch_execz .LBB1048_193
.LBB1048_211:                           ;   in Loop: Header=BB1048_156 Depth=2
	global_load_dwordx2 v[7:8], v[17:18], off offset:1536
	s_or_b64 exec, exec, s[56:57]
	s_and_saveexec_b64 s[42:43], vcc
	s_cbranch_execz .LBB1048_194
.LBB1048_212:                           ;   in Loop: Header=BB1048_156 Depth=2
	ds_read_u16 v17, v36 offset:1024
	s_waitcnt lgkmcnt(0)
	v_lshrrev_b32_e32 v17, s62, v17
	v_and_b32_e32 v77, s63, v17
	s_or_b64 exec, exec, s[42:43]
	s_and_saveexec_b64 s[42:43], s[36:37]
	s_cbranch_execz .LBB1048_195
.LBB1048_213:                           ;   in Loop: Header=BB1048_156 Depth=2
	ds_read_u16 v17, v36 offset:1536
	s_waitcnt lgkmcnt(0)
	v_lshrrev_b32_e32 v17, s62, v17
	v_and_b32_e32 v76, s63, v17
	s_or_b64 exec, exec, s[42:43]
	s_and_saveexec_b64 s[42:43], s[38:39]
	s_cbranch_execz .LBB1048_196
.LBB1048_214:                           ;   in Loop: Header=BB1048_156 Depth=2
	ds_read_u16 v17, v36 offset:2048
	s_waitcnt lgkmcnt(0)
	v_lshrrev_b32_e32 v17, s62, v17
	v_and_b32_e32 v74, s63, v17
	s_or_b64 exec, exec, s[42:43]
	s_and_saveexec_b64 s[42:43], s[40:41]
	s_cbranch_execnz .LBB1048_197
	s_branch .LBB1048_198
.LBB1048_215:                           ;   in Loop: Header=BB1048_156 Depth=2
	v_lshlrev_b32_e32 v4, 2, v77
	ds_read_b32 v4, v4
	v_add_u32_e32 v6, v36, v54
	ds_read_b64 v[15:16], v6 offset:1024
	v_mov_b32_e32 v18, v3
	v_mov_b32_e32 v6, s55
	s_waitcnt lgkmcnt(1)
	v_add_u32_e32 v17, v4, v0
	v_lshlrev_b64 v[17:18], 3, v[17:18]
	v_add_co_u32_e32 v17, vcc, s54, v17
	v_addc_co_u32_e32 v18, vcc, v6, v18, vcc
	s_waitcnt lgkmcnt(0)
	global_store_dwordx2 v[17:18], v[15:16], off
	s_or_b64 exec, exec, s[42:43]
	s_and_saveexec_b64 s[42:43], s[36:37]
	s_cbranch_execz .LBB1048_200
.LBB1048_216:                           ;   in Loop: Header=BB1048_156 Depth=2
	v_lshlrev_b32_e32 v4, 2, v76
	ds_read_b32 v4, v4
	v_add_u32_e32 v6, v36, v54
	ds_read_b64 v[15:16], v6 offset:3072
	v_mov_b32_e32 v18, v3
	v_mov_b32_e32 v6, s55
	s_waitcnt lgkmcnt(1)
	v_add_u32_e32 v17, v4, v20
	v_lshlrev_b64 v[17:18], 3, v[17:18]
	v_add_co_u32_e32 v17, vcc, s54, v17
	v_addc_co_u32_e32 v18, vcc, v6, v18, vcc
	s_waitcnt lgkmcnt(0)
	global_store_dwordx2 v[17:18], v[15:16], off
	s_or_b64 exec, exec, s[42:43]
	s_and_saveexec_b64 s[36:37], s[38:39]
	s_cbranch_execz .LBB1048_201
.LBB1048_217:                           ;   in Loop: Header=BB1048_156 Depth=2
	v_lshlrev_b32_e32 v4, 2, v74
	ds_read_b32 v4, v4
	v_add_u32_e32 v6, v36, v54
	ds_read_b64 v[15:16], v6 offset:5120
	v_mov_b32_e32 v18, v3
	v_mov_b32_e32 v6, s55
	s_waitcnt lgkmcnt(1)
	v_add_u32_e32 v17, v4, v21
	v_lshlrev_b64 v[17:18], 3, v[17:18]
	v_add_co_u32_e32 v17, vcc, s54, v17
	v_addc_co_u32_e32 v18, vcc, v6, v18, vcc
	s_waitcnt lgkmcnt(0)
	global_store_dwordx2 v[17:18], v[15:16], off
	s_or_b64 exec, exec, s[36:37]
	s_and_saveexec_b64 s[36:37], s[40:41]
	s_cbranch_execnz .LBB1048_202
	s_branch .LBB1048_203
.LBB1048_218:                           ;   in Loop: Header=BB1048_156 Depth=2
	global_load_ushort v4, v[17:18], off
	v_mov_b32_e32 v16, v5
	s_waitcnt vmcnt(0)
	v_perm_b32 v15, s61, v4, v67
	s_or_b64 exec, exec, s[36:37]
	v_cmp_gt_u32_e32 vcc, s70, v64
	s_and_saveexec_b64 s[36:37], vcc
	s_cbranch_execz .LBB1048_161
.LBB1048_219:                           ;   in Loop: Header=BB1048_156 Depth=2
	global_load_ushort v4, v[17:18], off offset:128
	s_waitcnt vmcnt(0)
	v_perm_b32 v15, v4, v15, s58
	s_or_b64 exec, exec, s[36:37]
	v_cmp_gt_u32_e32 vcc, s70, v65
	s_and_saveexec_b64 s[36:37], vcc
	s_cbranch_execnz .LBB1048_162
	s_branch .LBB1048_163
.LBB1048_220:                           ;   in Loop: Header=BB1048_20 Depth=1
	s_waitcnt lgkmcnt(0)
	s_barrier
.LBB1048_221:                           ;   in Loop: Header=BB1048_20 Depth=1
	s_mov_b64 s[16:17], 0
.LBB1048_222:                           ;   in Loop: Header=BB1048_20 Depth=1
	s_andn2_b64 vcc, exec, s[16:17]
	s_cbranch_vccnz .LBB1048_19
; %bb.223:                              ;   in Loop: Header=BB1048_20 Depth=1
	s_mov_b64 s[16:17], -1
	s_and_b64 vcc, exec, s[50:51]
	s_cbranch_vccz .LBB1048_323
; %bb.224:                              ;   in Loop: Header=BB1048_20 Depth=1
	v_mov_b32_e32 v4, v3
	v_mov_b32_e32 v7, v4
	s_mov_b32 s20, s75
	s_mov_b32 s46, s49
	v_mov_b32_e32 v6, v3
	s_barrier
	s_branch .LBB1048_226
.LBB1048_225:                           ;   in Loop: Header=BB1048_226 Depth=2
	s_or_b64 exec, exec, s[16:17]
	s_addk_i32 s20, 0xfc00
	s_cmp_ge_u32 s21, s76
	s_mov_b32 s46, s21
	s_cbranch_scc1 .LBB1048_246
.LBB1048_226:                           ;   Parent Loop BB1048_20 Depth=1
                                        ; =>  This Inner Loop Header: Depth=2
	s_add_i32 s21, s46, 0x400
	s_cmp_gt_u32 s21, s76
	s_mov_b64 s[16:17], -1
                                        ; implicit-def: $vgpr8_vgpr9
	s_cbranch_scc1 .LBB1048_228
; %bb.227:                              ;   in Loop: Header=BB1048_226 Depth=2
	s_lshl_b64 s[16:17], s[46:47], 1
	v_mov_b32_e32 v4, s17
	v_add_co_u32_e32 v8, vcc, s16, v43
	v_addc_co_u32_e32 v9, vcc, v44, v4, vcc
	global_load_ushort v4, v[8:9], off
	global_load_ushort v10, v[8:9], off offset:1024
	global_load_ushort v11, v[8:9], off offset:1536
	;; [unrolled: 1-line block ×3, first 2 shown]
	s_mov_b64 s[16:17], 0
	s_waitcnt vmcnt(1)
	v_perm_b32 v9, v11, v10, s58
	s_waitcnt vmcnt(0)
	v_perm_b32 v8, v12, v4, s58
.LBB1048_228:                           ;   in Loop: Header=BB1048_226 Depth=2
	s_andn2_b64 vcc, exec, s[16:17]
	s_movk_i32 s18, 0x400
	s_cbranch_vccnz .LBB1048_235
; %bb.229:                              ;   in Loop: Header=BB1048_226 Depth=2
	s_lshl_b64 s[16:17], s[46:47], 1
	s_add_u32 s16, s64, s16
	s_addc_u32 s17, s65, s17
	v_cmp_gt_u32_e32 vcc, s20, v0
	s_and_saveexec_b64 s[18:19], vcc
	s_cbranch_execnz .LBB1048_243
; %bb.230:                              ;   in Loop: Header=BB1048_226 Depth=2
	s_or_b64 exec, exec, s[18:19]
	v_cmp_gt_u32_e32 vcc, s20, v20
	s_and_saveexec_b64 s[18:19], vcc
	s_cbranch_execnz .LBB1048_244
.LBB1048_231:                           ;   in Loop: Header=BB1048_226 Depth=2
	s_or_b64 exec, exec, s[18:19]
	v_cmp_gt_u32_e32 vcc, s20, v21
	s_and_saveexec_b64 s[18:19], vcc
	s_cbranch_execnz .LBB1048_245
.LBB1048_232:                           ;   in Loop: Header=BB1048_226 Depth=2
	s_or_b64 exec, exec, s[18:19]
	v_cmp_gt_u32_e32 vcc, s20, v22
	s_and_saveexec_b64 s[18:19], vcc
	s_cbranch_execz .LBB1048_234
.LBB1048_233:                           ;   in Loop: Header=BB1048_226 Depth=2
	global_load_ushort v4, v58, s[16:17] offset:1536
	s_waitcnt vmcnt(0)
	v_perm_b32 v7, v4, v7, s58
.LBB1048_234:                           ;   in Loop: Header=BB1048_226 Depth=2
	s_or_b64 exec, exec, s[18:19]
	v_mov_b32_e32 v9, v7
	s_mov_b32 s18, s20
	v_mov_b32_e32 v8, v6
.LBB1048_235:                           ;   in Loop: Header=BB1048_226 Depth=2
	v_mov_b32_e32 v6, v8
	v_mov_b32_e32 v7, v9
	v_cmp_gt_u32_e32 vcc, s18, v0
	s_and_saveexec_b64 s[16:17], vcc
	s_cbranch_execnz .LBB1048_239
; %bb.236:                              ;   in Loop: Header=BB1048_226 Depth=2
	s_or_b64 exec, exec, s[16:17]
	v_cmp_gt_u32_e32 vcc, s18, v20
	s_and_saveexec_b64 s[16:17], vcc
	s_cbranch_execnz .LBB1048_240
.LBB1048_237:                           ;   in Loop: Header=BB1048_226 Depth=2
	s_or_b64 exec, exec, s[16:17]
	v_cmp_gt_u32_e32 vcc, s18, v21
	s_and_saveexec_b64 s[16:17], vcc
	s_cbranch_execnz .LBB1048_241
.LBB1048_238:                           ;   in Loop: Header=BB1048_226 Depth=2
	s_or_b64 exec, exec, s[16:17]
	v_cmp_gt_u32_e32 vcc, s18, v22
	s_and_saveexec_b64 s[16:17], vcc
	s_cbranch_execz .LBB1048_225
	s_branch .LBB1048_242
.LBB1048_239:                           ;   in Loop: Header=BB1048_226 Depth=2
	v_xor_b32_e32 v4, 0xffff8000, v6
	v_lshrrev_b32_sdwa v4, s73, v4 dst_sel:DWORD dst_unused:UNUSED_PAD src0_sel:DWORD src1_sel:WORD_0
	v_and_b32_e32 v4, s63, v4
	v_lshl_or_b32 v4, v4, 4, v25
	ds_add_u32 v4, v55
	s_or_b64 exec, exec, s[16:17]
	v_cmp_gt_u32_e32 vcc, s18, v20
	s_and_saveexec_b64 s[16:17], vcc
	s_cbranch_execz .LBB1048_237
.LBB1048_240:                           ;   in Loop: Header=BB1048_226 Depth=2
	v_xor_b32_sdwa v4, v6, s60 dst_sel:DWORD dst_unused:UNUSED_PAD src0_sel:WORD_1 src1_sel:DWORD
	v_lshrrev_b32_sdwa v4, s73, v4 dst_sel:DWORD dst_unused:UNUSED_PAD src0_sel:DWORD src1_sel:WORD_0
	v_and_b32_e32 v4, s63, v4
	v_lshl_or_b32 v4, v4, 4, v25
	ds_add_u32 v4, v55
	s_or_b64 exec, exec, s[16:17]
	v_cmp_gt_u32_e32 vcc, s18, v21
	s_and_saveexec_b64 s[16:17], vcc
	s_cbranch_execz .LBB1048_238
.LBB1048_241:                           ;   in Loop: Header=BB1048_226 Depth=2
	v_xor_b32_e32 v4, 0xffff8000, v7
	v_lshrrev_b32_sdwa v4, s73, v4 dst_sel:DWORD dst_unused:UNUSED_PAD src0_sel:DWORD src1_sel:WORD_0
	v_and_b32_e32 v4, s63, v4
	v_lshl_or_b32 v4, v4, 4, v25
	ds_add_u32 v4, v55
	s_or_b64 exec, exec, s[16:17]
	v_cmp_gt_u32_e32 vcc, s18, v22
	s_and_saveexec_b64 s[16:17], vcc
	s_cbranch_execz .LBB1048_225
.LBB1048_242:                           ;   in Loop: Header=BB1048_226 Depth=2
	v_xor_b32_sdwa v4, v7, s60 dst_sel:DWORD dst_unused:UNUSED_PAD src0_sel:WORD_1 src1_sel:DWORD
	v_lshrrev_b32_sdwa v4, s73, v4 dst_sel:DWORD dst_unused:UNUSED_PAD src0_sel:DWORD src1_sel:WORD_0
	v_and_b32_e32 v4, s63, v4
	v_lshl_or_b32 v4, v4, 4, v25
	ds_add_u32 v4, v55
	s_branch .LBB1048_225
.LBB1048_243:                           ;   in Loop: Header=BB1048_226 Depth=2
	global_load_ushort v4, v58, s[16:17]
	s_waitcnt vmcnt(0)
	v_bfi_b32 v6, s59, v4, v6
	s_or_b64 exec, exec, s[18:19]
	v_cmp_gt_u32_e32 vcc, s20, v20
	s_and_saveexec_b64 s[18:19], vcc
	s_cbranch_execz .LBB1048_231
.LBB1048_244:                           ;   in Loop: Header=BB1048_226 Depth=2
	global_load_ushort v4, v58, s[16:17] offset:512
	s_waitcnt vmcnt(0)
	v_perm_b32 v6, v4, v6, s58
	s_or_b64 exec, exec, s[18:19]
	v_cmp_gt_u32_e32 vcc, s20, v21
	s_and_saveexec_b64 s[18:19], vcc
	s_cbranch_execz .LBB1048_232
.LBB1048_245:                           ;   in Loop: Header=BB1048_226 Depth=2
	global_load_ushort v4, v58, s[16:17] offset:1024
	s_waitcnt vmcnt(0)
	v_bfi_b32 v7, s59, v4, v7
	s_or_b64 exec, exec, s[18:19]
	v_cmp_gt_u32_e32 vcc, s20, v22
	s_and_saveexec_b64 s[18:19], vcc
	s_cbranch_execnz .LBB1048_233
	s_branch .LBB1048_234
.LBB1048_246:                           ;   in Loop: Header=BB1048_20 Depth=1
	v_mov_b32_e32 v4, 0
	s_waitcnt lgkmcnt(0)
	s_barrier
	s_and_saveexec_b64 s[16:17], s[4:5]
	s_cbranch_execz .LBB1048_248
; %bb.247:                              ;   in Loop: Header=BB1048_20 Depth=1
	ds_read2_b64 v[6:9], v26 offset1:1
	s_waitcnt lgkmcnt(0)
	v_add_u32_e32 v4, v7, v6
	v_add3_u32 v4, v4, v8, v9
.LBB1048_248:                           ;   in Loop: Header=BB1048_20 Depth=1
	s_or_b64 exec, exec, s[16:17]
	s_nop 0
	v_mov_b32_dpp v6, v4 row_shr:1 row_mask:0xf bank_mask:0xf
	v_cmp_eq_u32_e64 s[16:17], 0, v59
	v_cndmask_b32_e64 v6, v6, 0, s[16:17]
	v_add_u32_e32 v4, v6, v4
	v_cmp_lt_u32_e64 s[18:19], 1, v59
	v_cmp_lt_u32_e64 s[20:21], 3, v59
	v_mov_b32_dpp v6, v4 row_shr:2 row_mask:0xf bank_mask:0xf
	v_cndmask_b32_e64 v6, 0, v6, s[18:19]
	v_add_u32_e32 v4, v4, v6
	v_cmp_lt_u32_e64 s[22:23], 7, v59
	v_cmp_lt_u32_e64 s[26:27], 31, v49
	v_mov_b32_dpp v6, v4 row_shr:4 row_mask:0xf bank_mask:0xf
	v_cndmask_b32_e64 v6, 0, v6, s[20:21]
	v_add_u32_e32 v4, v4, v6
	v_cmp_eq_u32_e64 s[24:25], 0, v61
	s_nop 0
	v_mov_b32_dpp v6, v4 row_shr:8 row_mask:0xf bank_mask:0xf
	v_cndmask_b32_e64 v6, 0, v6, s[22:23]
	v_add_u32_e32 v4, v4, v6
	s_nop 1
	v_mov_b32_dpp v6, v4 row_bcast:15 row_mask:0xf bank_mask:0xf
	v_and_b32_e32 v6, v60, v6
	v_add_u32_e32 v4, v4, v6
	s_nop 1
	v_mov_b32_dpp v6, v4 row_bcast:31 row_mask:0xf bank_mask:0xf
	v_cndmask_b32_e64 v6, 0, v6, s[26:27]
	v_add_u32_e32 v4, v4, v6
	s_and_saveexec_b64 s[28:29], s[6:7]
; %bb.249:                              ;   in Loop: Header=BB1048_20 Depth=1
	ds_write_b32 v28, v4
; %bb.250:                              ;   in Loop: Header=BB1048_20 Depth=1
	s_or_b64 exec, exec, s[28:29]
	s_waitcnt lgkmcnt(0)
	s_barrier
	s_and_saveexec_b64 s[28:29], s[8:9]
	s_cbranch_execz .LBB1048_252
; %bb.251:                              ;   in Loop: Header=BB1048_20 Depth=1
	ds_read_b32 v6, v29
	v_cmp_ne_u32_e32 vcc, 0, v62
	s_waitcnt lgkmcnt(0)
	v_mov_b32_dpp v7, v6 row_shr:1 row_mask:0xf bank_mask:0xf
	v_cndmask_b32_e32 v7, 0, v7, vcc
	v_add_u32_e32 v6, v7, v6
	v_cmp_lt_u32_e32 vcc, 1, v62
	s_nop 0
	v_mov_b32_dpp v7, v6 row_shr:2 row_mask:0xf bank_mask:0xf
	v_cndmask_b32_e32 v7, 0, v7, vcc
	v_add_u32_e32 v6, v6, v7
	ds_write_b32 v29, v6
.LBB1048_252:                           ;   in Loop: Header=BB1048_20 Depth=1
	s_or_b64 exec, exec, s[28:29]
	v_mov_b32_e32 v6, 0
	s_waitcnt lgkmcnt(0)
	s_barrier
	s_and_saveexec_b64 s[28:29], s[10:11]
; %bb.253:                              ;   in Loop: Header=BB1048_20 Depth=1
	ds_read_b32 v6, v53
; %bb.254:                              ;   in Loop: Header=BB1048_20 Depth=1
	s_or_b64 exec, exec, s[28:29]
	v_subrev_co_u32_e64 v7, s[28:29], 1, v49
	v_cmp_lt_i32_e32 vcc, v7, v63
	v_cndmask_b32_e32 v7, v7, v49, vcc
	s_waitcnt lgkmcnt(0)
	v_add_u32_e32 v4, v6, v4
	v_lshlrev_b32_e32 v68, 2, v7
	ds_bpermute_b32 v4, v68, v4
	s_waitcnt lgkmcnt(0)
	s_barrier
	s_and_saveexec_b64 s[30:31], s[4:5]
; %bb.255:                              ;   in Loop: Header=BB1048_20 Depth=1
	v_cndmask_b32_e64 v4, v4, v6, s[28:29]
	v_add_u32_e32 v4, s49, v4
	ds_write_b32 v19, v4
; %bb.256:                              ;   in Loop: Header=BB1048_20 Depth=1
	s_or_b64 exec, exec, s[30:31]
	s_load_dwordx2 s[30:31], s[44:45], 0x0
	v_add_co_u32_e32 v69, vcc, v45, v50
	v_addc_co_u32_e32 v70, vcc, 0, v46, vcc
	s_waitcnt lgkmcnt(0)
	s_cmp_lt_u32 s33, s31
	s_cselect_b32 s31, 14, 20
	s_add_u32 s34, s44, s31
	s_addc_u32 s35, s45, 0
	s_cmp_lt_u32 s48, s30
	s_cselect_b32 s30, 12, 18
	s_add_u32 s30, s44, s30
	global_load_ushort v4, v3, s[34:35]
	s_addc_u32 s31, s45, 0
	global_load_ushort v6, v3, s[30:31]
	v_add_co_u32_e32 v71, vcc, v47, v52
	v_cmp_eq_u32_e64 s[30:31], 0, v62
	v_cmp_lt_u32_e64 s[34:35], 1, v62
	v_addc_co_u32_e32 v72, vcc, 0, v48, vcc
	s_mov_b32 s70, s75
	s_mov_b32 s46, s49
                                        ; implicit-def: $vgpr9_vgpr10
                                        ; implicit-def: $vgpr11_vgpr12
                                        ; implicit-def: $vgpr13_vgpr14
                                        ; implicit-def: $vgpr73
                                        ; implicit-def: $vgpr74
                                        ; implicit-def: $vgpr76
                                        ; implicit-def: $vgpr77
	s_waitcnt vmcnt(1)
	v_mad_u32_u24 v4, v2, v4, v1
	s_waitcnt vmcnt(0)
	v_mad_u64_u32 v[6:7], s[36:37], v4, v6, v[0:1]
                                        ; implicit-def: $vgpr7_vgpr8
	v_lshrrev_b32_e32 v4, 4, v6
	v_and_b32_e32 v75, 0xffffffc, v4
	s_branch .LBB1048_258
.LBB1048_257:                           ;   in Loop: Header=BB1048_258 Depth=2
	s_or_b64 exec, exec, s[36:37]
	s_addk_i32 s70, 0xfc00
	s_cmp_lt_u32 s71, s76
	s_mov_b32 s46, s71
	s_cbranch_scc0 .LBB1048_322
.LBB1048_258:                           ;   Parent Loop BB1048_20 Depth=1
                                        ; =>  This Inner Loop Header: Depth=2
	s_add_i32 s71, s46, 0x400
	s_cmp_gt_u32 s71, s76
	s_cbranch_scc1 .LBB1048_260
; %bb.259:                              ;   in Loop: Header=BB1048_258 Depth=2
	s_lshl_b64 s[36:37], s[46:47], 1
	v_mov_b32_e32 v4, s37
	v_add_co_u32_e32 v15, vcc, s36, v71
	v_addc_co_u32_e32 v16, vcc, v72, v4, vcc
	global_load_ushort v4, v[15:16], off
	global_load_ushort v6, v[15:16], off offset:128
	s_nop 0
	global_load_ushort v16, v[15:16], off offset:256
	s_mov_b64 s[36:37], -1
	s_waitcnt vmcnt(1)
	v_perm_b32 v15, v6, v4, s58
	s_movk_i32 s40, 0x400
	s_cbranch_execz .LBB1048_261
	s_branch .LBB1048_266
.LBB1048_260:                           ;   in Loop: Header=BB1048_258 Depth=2
	s_mov_b64 s[36:37], 0
                                        ; implicit-def: $vgpr15_vgpr16
	s_movk_i32 s40, 0x400
.LBB1048_261:                           ;   in Loop: Header=BB1048_258 Depth=2
	s_lshl_b64 s[36:37], s[46:47], 1
	v_mov_b32_e32 v4, s37
	v_add_co_u32_e32 v17, vcc, s36, v71
	v_mov_b32_e32 v6, v5
	v_addc_co_u32_e32 v18, vcc, v72, v4, vcc
	s_waitcnt vmcnt(0)
	v_mov_b32_e32 v16, v6
	v_cmp_gt_u32_e32 vcc, s70, v51
	v_mov_b32_e32 v15, v5
	s_and_saveexec_b64 s[36:37], vcc
	s_cbranch_execnz .LBB1048_320
; %bb.262:                              ;   in Loop: Header=BB1048_258 Depth=2
	s_or_b64 exec, exec, s[36:37]
	v_cmp_gt_u32_e32 vcc, s70, v64
	s_and_saveexec_b64 s[36:37], vcc
	s_cbranch_execnz .LBB1048_321
.LBB1048_263:                           ;   in Loop: Header=BB1048_258 Depth=2
	s_or_b64 exec, exec, s[36:37]
	v_cmp_gt_u32_e32 vcc, s70, v65
	s_and_saveexec_b64 s[36:37], vcc
	s_cbranch_execz .LBB1048_265
.LBB1048_264:                           ;   in Loop: Header=BB1048_258 Depth=2
	global_load_ushort v4, v[17:18], off offset:256
	s_waitcnt vmcnt(0)
	v_bfi_b32 v16, s59, v4, v16
.LBB1048_265:                           ;   in Loop: Header=BB1048_258 Depth=2
	s_or_b64 exec, exec, s[36:37]
	s_sub_i32 s40, s76, s46
	v_cmp_gt_u32_e64 s[36:37], s70, v66
.LBB1048_266:                           ;   in Loop: Header=BB1048_258 Depth=2
	v_mov_b32_e32 v78, s70
	s_and_saveexec_b64 s[38:39], s[36:37]
	s_cbranch_execz .LBB1048_268
; %bb.267:                              ;   in Loop: Header=BB1048_258 Depth=2
	s_lshl_b64 s[36:37], s[46:47], 1
	v_mov_b32_e32 v4, s37
	v_add_co_u32_e32 v17, vcc, s36, v71
	v_addc_co_u32_e32 v18, vcc, v72, v4, vcc
	global_load_ushort v4, v[17:18], off offset:384
	v_mov_b32_e32 v78, s40
	s_waitcnt vmcnt(0)
	v_perm_b32 v16, v4, v16, s58
.LBB1048_268:                           ;   in Loop: Header=BB1048_258 Depth=2
	s_or_b64 exec, exec, s[38:39]
	v_xor_b32_e32 v6, 0xffff8000, v15
	v_lshrrev_b32_sdwa v4, s73, v6 dst_sel:DWORD dst_unused:UNUSED_PAD src0_sel:DWORD src1_sel:WORD_0
	v_and_b32_e32 v17, s63, v4
	v_and_b32_e32 v4, 1, v17
	v_add_co_u32_e32 v18, vcc, -1, v4
	v_addc_co_u32_e64 v79, s[36:37], 0, -1, vcc
	v_cmp_ne_u32_e32 vcc, 0, v4
	v_xor_b32_e32 v4, vcc_hi, v79
	v_and_b32_e32 v79, exec_hi, v4
	v_lshlrev_b32_e32 v4, 30, v17
	v_xor_b32_e32 v18, vcc_lo, v18
	v_cmp_gt_i64_e32 vcc, 0, v[3:4]
	v_not_b32_e32 v4, v4
	v_ashrrev_i32_e32 v4, 31, v4
	v_and_b32_e32 v18, exec_lo, v18
	v_xor_b32_e32 v81, vcc_hi, v4
	v_xor_b32_e32 v4, vcc_lo, v4
	v_and_b32_e32 v18, v18, v4
	v_lshlrev_b32_e32 v4, 29, v17
	v_cmp_gt_i64_e32 vcc, 0, v[3:4]
	v_not_b32_e32 v4, v4
	v_ashrrev_i32_e32 v4, 31, v4
	v_and_b32_e32 v79, v79, v81
	v_xor_b32_e32 v81, vcc_hi, v4
	v_xor_b32_e32 v4, vcc_lo, v4
	v_and_b32_e32 v18, v18, v4
	v_lshlrev_b32_e32 v4, 28, v17
	v_cmp_gt_i64_e32 vcc, 0, v[3:4]
	v_not_b32_e32 v4, v4
	v_ashrrev_i32_e32 v4, 31, v4
	v_and_b32_e32 v79, v79, v81
	;; [unrolled: 8-line block ×5, first 2 shown]
	v_xor_b32_e32 v81, vcc_hi, v4
	v_xor_b32_e32 v4, vcc_lo, v4
	v_and_b32_e32 v79, v79, v81
	v_and_b32_e32 v81, v18, v4
	v_lshlrev_b32_e32 v4, 24, v17
	v_cmp_gt_i64_e32 vcc, 0, v[3:4]
	v_not_b32_e32 v4, v4
	v_ashrrev_i32_e32 v4, 31, v4
	v_mul_u32_u24_e32 v80, 20, v17
	v_xor_b32_e32 v17, vcc_hi, v4
	v_xor_b32_e32 v4, vcc_lo, v4
	v_and_b32_e32 v18, v79, v17
	v_and_b32_e32 v17, v81, v4
	v_mbcnt_lo_u32_b32 v4, v17, 0
	v_mbcnt_hi_u32_b32 v79, v18, v4
	v_cmp_ne_u64_e32 vcc, 0, v[17:18]
	v_cmp_eq_u32_e64 s[36:37], 0, v79
	s_and_b64 s[38:39], vcc, s[36:37]
	v_add_u32_e32 v82, v75, v80
	ds_write2_b32 v56, v3, v3 offset1:1
	ds_write2_b32 v57, v3, v3 offset1:1
	ds_write_b32 v30, v3 offset:1056
	s_waitcnt vmcnt(0) lgkmcnt(0)
	s_barrier
	; wave barrier
	s_and_saveexec_b64 s[36:37], s[38:39]
; %bb.269:                              ;   in Loop: Header=BB1048_258 Depth=2
	v_bcnt_u32_b32 v4, v17, 0
	v_bcnt_u32_b32 v4, v18, v4
	ds_write_b32 v82, v4 offset:1040
; %bb.270:                              ;   in Loop: Header=BB1048_258 Depth=2
	s_or_b64 exec, exec, s[36:37]
	v_xor_b32_sdwa v80, v15, s60 dst_sel:DWORD dst_unused:UNUSED_PAD src0_sel:WORD_1 src1_sel:DWORD
	v_lshrrev_b32_sdwa v4, s73, v80 dst_sel:DWORD dst_unused:UNUSED_PAD src0_sel:DWORD src1_sel:WORD_0
	v_and_b32_e32 v15, s63, v4
	v_mad_u32_u24 v4, v15, 20, v75
	; wave barrier
	ds_read_b32 v81, v4 offset:1040
	v_and_b32_e32 v4, 1, v15
	v_add_co_u32_e32 v17, vcc, -1, v4
	v_addc_co_u32_e64 v18, s[36:37], 0, -1, vcc
	v_cmp_ne_u32_e32 vcc, 0, v4
	v_xor_b32_e32 v4, vcc_hi, v18
	v_and_b32_e32 v18, exec_hi, v4
	v_lshlrev_b32_e32 v4, 30, v15
	v_xor_b32_e32 v17, vcc_lo, v17
	v_cmp_gt_i64_e32 vcc, 0, v[3:4]
	v_not_b32_e32 v4, v4
	v_ashrrev_i32_e32 v4, 31, v4
	v_and_b32_e32 v17, exec_lo, v17
	v_xor_b32_e32 v83, vcc_hi, v4
	v_xor_b32_e32 v4, vcc_lo, v4
	v_and_b32_e32 v17, v17, v4
	v_lshlrev_b32_e32 v4, 29, v15
	v_cmp_gt_i64_e32 vcc, 0, v[3:4]
	v_not_b32_e32 v4, v4
	v_ashrrev_i32_e32 v4, 31, v4
	v_and_b32_e32 v18, v18, v83
	v_xor_b32_e32 v83, vcc_hi, v4
	v_xor_b32_e32 v4, vcc_lo, v4
	v_and_b32_e32 v17, v17, v4
	v_lshlrev_b32_e32 v4, 28, v15
	v_cmp_gt_i64_e32 vcc, 0, v[3:4]
	v_not_b32_e32 v4, v4
	v_ashrrev_i32_e32 v4, 31, v4
	v_and_b32_e32 v18, v18, v83
	;; [unrolled: 8-line block ×5, first 2 shown]
	v_xor_b32_e32 v83, vcc_hi, v4
	v_xor_b32_e32 v4, vcc_lo, v4
	v_and_b32_e32 v17, v17, v4
	v_lshlrev_b32_e32 v4, 24, v15
	v_cmp_gt_i64_e32 vcc, 0, v[3:4]
	v_not_b32_e32 v4, v4
	v_ashrrev_i32_e32 v4, 31, v4
	v_mul_u32_u24_e32 v84, 20, v15
	v_xor_b32_e32 v15, vcc_hi, v4
	v_xor_b32_e32 v4, vcc_lo, v4
	v_and_b32_e32 v18, v18, v83
	v_and_b32_e32 v17, v17, v4
	;; [unrolled: 1-line block ×3, first 2 shown]
	v_mbcnt_lo_u32_b32 v4, v17, 0
	v_mbcnt_hi_u32_b32 v83, v18, v4
	v_cmp_ne_u64_e32 vcc, 0, v[17:18]
	v_cmp_eq_u32_e64 s[36:37], 0, v83
	s_and_b64 s[38:39], vcc, s[36:37]
	v_add_u32_e32 v86, v75, v84
	; wave barrier
	s_and_saveexec_b64 s[36:37], s[38:39]
	s_cbranch_execz .LBB1048_272
; %bb.271:                              ;   in Loop: Header=BB1048_258 Depth=2
	v_bcnt_u32_b32 v4, v17, 0
	v_bcnt_u32_b32 v4, v18, v4
	s_waitcnt lgkmcnt(0)
	v_add_u32_e32 v4, v81, v4
	ds_write_b32 v86, v4 offset:1040
.LBB1048_272:                           ;   in Loop: Header=BB1048_258 Depth=2
	s_or_b64 exec, exec, s[36:37]
	v_xor_b32_e32 v84, 0xffff8000, v16
	v_lshrrev_b32_sdwa v4, s73, v84 dst_sel:DWORD dst_unused:UNUSED_PAD src0_sel:DWORD src1_sel:WORD_0
	v_and_b32_e32 v15, s63, v4
	v_mad_u32_u24 v4, v15, 20, v75
	; wave barrier
	ds_read_b32 v85, v4 offset:1040
	v_and_b32_e32 v4, 1, v15
	v_add_co_u32_e32 v17, vcc, -1, v4
	v_addc_co_u32_e64 v18, s[36:37], 0, -1, vcc
	v_cmp_ne_u32_e32 vcc, 0, v4
	v_xor_b32_e32 v4, vcc_hi, v18
	v_and_b32_e32 v18, exec_hi, v4
	v_lshlrev_b32_e32 v4, 30, v15
	v_xor_b32_e32 v17, vcc_lo, v17
	v_cmp_gt_i64_e32 vcc, 0, v[3:4]
	v_not_b32_e32 v4, v4
	v_ashrrev_i32_e32 v4, 31, v4
	v_and_b32_e32 v17, exec_lo, v17
	v_xor_b32_e32 v87, vcc_hi, v4
	v_xor_b32_e32 v4, vcc_lo, v4
	v_and_b32_e32 v17, v17, v4
	v_lshlrev_b32_e32 v4, 29, v15
	v_cmp_gt_i64_e32 vcc, 0, v[3:4]
	v_not_b32_e32 v4, v4
	v_ashrrev_i32_e32 v4, 31, v4
	v_and_b32_e32 v18, v18, v87
	v_xor_b32_e32 v87, vcc_hi, v4
	v_xor_b32_e32 v4, vcc_lo, v4
	v_and_b32_e32 v17, v17, v4
	v_lshlrev_b32_e32 v4, 28, v15
	v_cmp_gt_i64_e32 vcc, 0, v[3:4]
	v_not_b32_e32 v4, v4
	v_ashrrev_i32_e32 v4, 31, v4
	v_and_b32_e32 v18, v18, v87
	;; [unrolled: 8-line block ×5, first 2 shown]
	v_xor_b32_e32 v87, vcc_hi, v4
	v_xor_b32_e32 v4, vcc_lo, v4
	v_and_b32_e32 v17, v17, v4
	v_lshlrev_b32_e32 v4, 24, v15
	v_cmp_gt_i64_e32 vcc, 0, v[3:4]
	v_not_b32_e32 v4, v4
	v_ashrrev_i32_e32 v4, 31, v4
	v_mul_u32_u24_e32 v88, 20, v15
	v_xor_b32_e32 v15, vcc_hi, v4
	v_xor_b32_e32 v4, vcc_lo, v4
	v_and_b32_e32 v18, v18, v87
	v_and_b32_e32 v17, v17, v4
	;; [unrolled: 1-line block ×3, first 2 shown]
	v_mbcnt_lo_u32_b32 v4, v17, 0
	v_mbcnt_hi_u32_b32 v87, v18, v4
	v_cmp_ne_u64_e32 vcc, 0, v[17:18]
	v_cmp_eq_u32_e64 s[36:37], 0, v87
	s_and_b64 s[38:39], vcc, s[36:37]
	v_add_u32_e32 v90, v75, v88
	; wave barrier
	s_and_saveexec_b64 s[36:37], s[38:39]
	s_cbranch_execz .LBB1048_274
; %bb.273:                              ;   in Loop: Header=BB1048_258 Depth=2
	v_bcnt_u32_b32 v4, v17, 0
	v_bcnt_u32_b32 v4, v18, v4
	s_waitcnt lgkmcnt(0)
	v_add_u32_e32 v4, v85, v4
	ds_write_b32 v90, v4 offset:1040
.LBB1048_274:                           ;   in Loop: Header=BB1048_258 Depth=2
	s_or_b64 exec, exec, s[36:37]
	v_xor_b32_sdwa v88, v16, s60 dst_sel:DWORD dst_unused:UNUSED_PAD src0_sel:WORD_1 src1_sel:DWORD
	v_lshrrev_b32_sdwa v4, s73, v88 dst_sel:DWORD dst_unused:UNUSED_PAD src0_sel:DWORD src1_sel:WORD_0
	v_and_b32_e32 v15, s63, v4
	v_mad_u32_u24 v4, v15, 20, v75
	; wave barrier
	ds_read_b32 v89, v4 offset:1040
	v_and_b32_e32 v4, 1, v15
	v_add_co_u32_e32 v16, vcc, -1, v4
	v_addc_co_u32_e64 v18, s[36:37], 0, -1, vcc
	v_cmp_ne_u32_e32 vcc, 0, v4
	v_xor_b32_e32 v4, vcc_hi, v18
	v_and_b32_e32 v18, exec_hi, v4
	v_lshlrev_b32_e32 v4, 30, v15
	v_xor_b32_e32 v16, vcc_lo, v16
	v_cmp_gt_i64_e32 vcc, 0, v[3:4]
	v_not_b32_e32 v4, v4
	v_ashrrev_i32_e32 v4, 31, v4
	v_and_b32_e32 v16, exec_lo, v16
	v_xor_b32_e32 v91, vcc_hi, v4
	v_xor_b32_e32 v4, vcc_lo, v4
	v_and_b32_e32 v16, v16, v4
	v_lshlrev_b32_e32 v4, 29, v15
	v_cmp_gt_i64_e32 vcc, 0, v[3:4]
	v_not_b32_e32 v4, v4
	v_ashrrev_i32_e32 v4, 31, v4
	v_and_b32_e32 v18, v18, v91
	v_xor_b32_e32 v91, vcc_hi, v4
	v_xor_b32_e32 v4, vcc_lo, v4
	v_and_b32_e32 v16, v16, v4
	v_lshlrev_b32_e32 v4, 28, v15
	v_cmp_gt_i64_e32 vcc, 0, v[3:4]
	v_not_b32_e32 v4, v4
	v_ashrrev_i32_e32 v4, 31, v4
	v_and_b32_e32 v18, v18, v91
	v_xor_b32_e32 v91, vcc_hi, v4
	v_xor_b32_e32 v4, vcc_lo, v4
	v_and_b32_e32 v16, v16, v4
	v_lshlrev_b32_e32 v4, 27, v15
	v_cmp_gt_i64_e32 vcc, 0, v[3:4]
	v_not_b32_e32 v4, v4
	v_ashrrev_i32_e32 v4, 31, v4
	v_and_b32_e32 v18, v18, v91
	v_xor_b32_e32 v91, vcc_hi, v4
	v_xor_b32_e32 v4, vcc_lo, v4
	v_and_b32_e32 v16, v16, v4
	v_lshlrev_b32_e32 v4, 26, v15
	v_cmp_gt_i64_e32 vcc, 0, v[3:4]
	v_not_b32_e32 v4, v4
	v_ashrrev_i32_e32 v4, 31, v4
	v_and_b32_e32 v18, v18, v91
	v_xor_b32_e32 v91, vcc_hi, v4
	v_xor_b32_e32 v4, vcc_lo, v4
	v_and_b32_e32 v16, v16, v4
	v_lshlrev_b32_e32 v4, 25, v15
	v_cmp_gt_i64_e32 vcc, 0, v[3:4]
	v_not_b32_e32 v4, v4
	v_ashrrev_i32_e32 v4, 31, v4
	v_and_b32_e32 v18, v18, v91
	v_xor_b32_e32 v91, vcc_hi, v4
	v_xor_b32_e32 v4, vcc_lo, v4
	v_and_b32_e32 v18, v18, v91
	v_and_b32_e32 v91, v16, v4
	v_lshlrev_b32_e32 v4, 24, v15
	v_cmp_gt_i64_e32 vcc, 0, v[3:4]
	v_not_b32_e32 v4, v4
	v_ashrrev_i32_e32 v4, 31, v4
	v_mul_u32_u24_e32 v17, 20, v15
	v_xor_b32_e32 v15, vcc_hi, v4
	v_xor_b32_e32 v4, vcc_lo, v4
	v_and_b32_e32 v16, v18, v15
	v_and_b32_e32 v15, v91, v4
	v_mbcnt_lo_u32_b32 v4, v15, 0
	v_mbcnt_hi_u32_b32 v4, v16, v4
	v_cmp_ne_u64_e32 vcc, 0, v[15:16]
	v_cmp_eq_u32_e64 s[36:37], 0, v4
	s_and_b64 s[38:39], vcc, s[36:37]
	v_add_u32_e32 v91, v75, v17
	; wave barrier
	s_and_saveexec_b64 s[36:37], s[38:39]
	s_cbranch_execz .LBB1048_276
; %bb.275:                              ;   in Loop: Header=BB1048_258 Depth=2
	v_bcnt_u32_b32 v15, v15, 0
	v_bcnt_u32_b32 v15, v16, v15
	s_waitcnt lgkmcnt(0)
	v_add_u32_e32 v15, v89, v15
	ds_write_b32 v91, v15 offset:1040
.LBB1048_276:                           ;   in Loop: Header=BB1048_258 Depth=2
	s_or_b64 exec, exec, s[36:37]
	; wave barrier
	s_waitcnt lgkmcnt(0)
	s_barrier
	ds_read2_b32 v[17:18], v56 offset1:1
	ds_read2_b32 v[15:16], v57 offset1:1
	ds_read_b32 v92, v30 offset:1056
	s_waitcnt lgkmcnt(1)
	v_add3_u32 v93, v18, v17, v15
	s_waitcnt lgkmcnt(0)
	v_add3_u32 v92, v93, v16, v92
	s_nop 1
	v_mov_b32_dpp v93, v92 row_shr:1 row_mask:0xf bank_mask:0xf
	v_cndmask_b32_e64 v93, v93, 0, s[16:17]
	v_add_u32_e32 v92, v93, v92
	s_nop 1
	v_mov_b32_dpp v93, v92 row_shr:2 row_mask:0xf bank_mask:0xf
	v_cndmask_b32_e64 v93, 0, v93, s[18:19]
	v_add_u32_e32 v92, v92, v93
	;; [unrolled: 4-line block ×4, first 2 shown]
	s_nop 1
	v_mov_b32_dpp v93, v92 row_bcast:15 row_mask:0xf bank_mask:0xf
	v_cndmask_b32_e64 v93, v93, 0, s[24:25]
	v_add_u32_e32 v92, v92, v93
	s_nop 1
	v_mov_b32_dpp v93, v92 row_bcast:31 row_mask:0xf bank_mask:0xf
	v_cndmask_b32_e64 v93, 0, v93, s[26:27]
	v_add_u32_e32 v92, v92, v93
	s_and_saveexec_b64 s[36:37], s[6:7]
; %bb.277:                              ;   in Loop: Header=BB1048_258 Depth=2
	ds_write_b32 v27, v92 offset:1024
; %bb.278:                              ;   in Loop: Header=BB1048_258 Depth=2
	s_or_b64 exec, exec, s[36:37]
	s_waitcnt lgkmcnt(0)
	s_barrier
	s_and_saveexec_b64 s[36:37], s[8:9]
	s_cbranch_execz .LBB1048_280
; %bb.279:                              ;   in Loop: Header=BB1048_258 Depth=2
	ds_read_b32 v93, v31 offset:1024
	s_waitcnt lgkmcnt(0)
	s_nop 0
	v_mov_b32_dpp v94, v93 row_shr:1 row_mask:0xf bank_mask:0xf
	v_cndmask_b32_e64 v94, v94, 0, s[30:31]
	v_add_u32_e32 v93, v94, v93
	s_nop 1
	v_mov_b32_dpp v94, v93 row_shr:2 row_mask:0xf bank_mask:0xf
	v_cndmask_b32_e64 v94, 0, v94, s[34:35]
	v_add_u32_e32 v93, v93, v94
	ds_write_b32 v31, v93 offset:1024
.LBB1048_280:                           ;   in Loop: Header=BB1048_258 Depth=2
	s_or_b64 exec, exec, s[36:37]
	v_mov_b32_e32 v93, 0
	s_waitcnt lgkmcnt(0)
	s_barrier
	s_and_saveexec_b64 s[36:37], s[10:11]
; %bb.281:                              ;   in Loop: Header=BB1048_258 Depth=2
	ds_read_b32 v93, v27 offset:1020
; %bb.282:                              ;   in Loop: Header=BB1048_258 Depth=2
	s_or_b64 exec, exec, s[36:37]
	s_waitcnt lgkmcnt(0)
	v_add_u32_e32 v92, v93, v92
	ds_bpermute_b32 v92, v68, v92
	s_waitcnt lgkmcnt(0)
	v_cndmask_b32_e64 v92, v92, v93, s[28:29]
	v_cndmask_b32_e64 v92, v92, 0, s[12:13]
	v_add_u32_e32 v17, v92, v17
	v_add_u32_e32 v18, v17, v18
	;; [unrolled: 1-line block ×4, first 2 shown]
	ds_write2_b32 v56, v92, v17 offset1:1
	ds_write2_b32 v57, v18, v15 offset1:1
	ds_write_b32 v30, v16 offset:1056
	s_waitcnt lgkmcnt(0)
	s_barrier
	ds_read_b32 v15, v82 offset:1040
	ds_read_b32 v16, v86 offset:1040
	;; [unrolled: 1-line block ×5, first 2 shown]
	v_mov_b32_e32 v82, 0x400
	s_and_saveexec_b64 s[36:37], s[14:15]
; %bb.283:                              ;   in Loop: Header=BB1048_258 Depth=2
	ds_read_b32 v82, v30 offset:1060
; %bb.284:                              ;   in Loop: Header=BB1048_258 Depth=2
	s_or_b64 exec, exec, s[36:37]
	s_waitcnt lgkmcnt(0)
	s_barrier
	s_and_saveexec_b64 s[36:37], s[4:5]
	s_cbranch_execz .LBB1048_286
; %bb.285:                              ;   in Loop: Header=BB1048_258 Depth=2
	ds_read_b32 v90, v19
	s_waitcnt lgkmcnt(0)
	v_sub_u32_e32 v86, v90, v86
	ds_write_b32 v19, v86
.LBB1048_286:                           ;   in Loop: Header=BB1048_258 Depth=2
	s_or_b64 exec, exec, s[36:37]
	v_add_u32_e32 v86, v15, v79
	v_add3_u32 v83, v83, v81, v16
	v_add3_u32 v81, v87, v85, v17
	;; [unrolled: 1-line block ×3, first 2 shown]
	v_lshlrev_b32_e32 v16, 1, v86
	ds_write_b16 v16, v6 offset:1024
	v_lshlrev_b32_e32 v15, 1, v83
	v_lshlrev_b32_e32 v6, 1, v81
	;; [unrolled: 1-line block ×3, first 2 shown]
	v_cmp_lt_u32_e32 vcc, v0, v78
	ds_write_b16 v15, v80 offset:1024
	ds_write_b16 v6, v84 offset:1024
	;; [unrolled: 1-line block ×3, first 2 shown]
	s_waitcnt lgkmcnt(0)
	s_barrier
	s_and_saveexec_b64 s[38:39], vcc
	s_cbranch_execnz .LBB1048_307
; %bb.287:                              ;   in Loop: Header=BB1048_258 Depth=2
	s_or_b64 exec, exec, s[38:39]
	v_cmp_lt_u32_e64 s[36:37], v20, v78
	s_and_saveexec_b64 s[40:41], s[36:37]
	s_cbranch_execnz .LBB1048_308
.LBB1048_288:                           ;   in Loop: Header=BB1048_258 Depth=2
	s_or_b64 exec, exec, s[40:41]
	v_cmp_lt_u32_e64 s[38:39], v21, v78
	s_and_saveexec_b64 s[42:43], s[38:39]
	s_cbranch_execnz .LBB1048_309
.LBB1048_289:                           ;   in Loop: Header=BB1048_258 Depth=2
	s_or_b64 exec, exec, s[42:43]
	v_cmp_lt_u32_e64 s[40:41], v22, v78
	s_and_saveexec_b64 s[56:57], s[40:41]
	s_cbranch_execz .LBB1048_291
.LBB1048_290:                           ;   in Loop: Header=BB1048_258 Depth=2
	ds_read_u16 v17, v36 offset:2560
	v_mov_b32_e32 v84, s67
	s_waitcnt lgkmcnt(0)
	v_lshrrev_b32_sdwa v18, s73, v17 dst_sel:DWORD dst_unused:UNUSED_PAD src0_sel:DWORD src1_sel:WORD_0
	v_and_b32_e32 v18, s63, v18
	v_lshlrev_b32_e32 v18, 2, v18
	ds_read_b32 v80, v18
	v_mov_b32_e32 v18, v3
	v_xor_b32_e32 v85, 0xffff8000, v17
	s_waitcnt lgkmcnt(0)
	v_add_u32_e32 v17, v80, v22
	v_lshlrev_b64 v[17:18], 1, v[17:18]
	v_add_co_u32_e64 v17, s[42:43], s66, v17
	v_addc_co_u32_e64 v18, s[42:43], v84, v18, s[42:43]
	global_store_short v[17:18], v85, off
.LBB1048_291:                           ;   in Loop: Header=BB1048_258 Depth=2
	s_or_b64 exec, exec, s[56:57]
	s_lshl_b64 s[42:43], s[46:47], 3
	v_mov_b32_e32 v18, s43
	v_add_co_u32_e64 v17, s[42:43], s42, v69
	v_addc_co_u32_e64 v18, s[42:43], v70, v18, s[42:43]
	v_cmp_lt_u32_e64 s[42:43], v51, v78
	s_and_saveexec_b64 s[56:57], s[42:43]
	s_xor_b64 s[42:43], exec, s[56:57]
	s_cbranch_execnz .LBB1048_310
; %bb.292:                              ;   in Loop: Header=BB1048_258 Depth=2
	s_or_b64 exec, exec, s[42:43]
	v_cmp_lt_u32_e64 s[42:43], v64, v78
	s_and_saveexec_b64 s[56:57], s[42:43]
	s_cbranch_execnz .LBB1048_311
.LBB1048_293:                           ;   in Loop: Header=BB1048_258 Depth=2
	s_or_b64 exec, exec, s[56:57]
	v_cmp_lt_u32_e64 s[42:43], v65, v78
	s_and_saveexec_b64 s[56:57], s[42:43]
	s_cbranch_execnz .LBB1048_312
.LBB1048_294:                           ;   in Loop: Header=BB1048_258 Depth=2
	s_or_b64 exec, exec, s[56:57]
	v_cmp_lt_u32_e64 s[42:43], v66, v78
	s_and_saveexec_b64 s[56:57], s[42:43]
	s_cbranch_execnz .LBB1048_313
.LBB1048_295:                           ;   in Loop: Header=BB1048_258 Depth=2
	s_or_b64 exec, exec, s[56:57]
	s_and_saveexec_b64 s[42:43], vcc
	s_cbranch_execnz .LBB1048_314
.LBB1048_296:                           ;   in Loop: Header=BB1048_258 Depth=2
	s_or_b64 exec, exec, s[42:43]
	s_and_saveexec_b64 s[42:43], s[36:37]
	s_cbranch_execnz .LBB1048_315
.LBB1048_297:                           ;   in Loop: Header=BB1048_258 Depth=2
	s_or_b64 exec, exec, s[42:43]
	s_and_saveexec_b64 s[42:43], s[38:39]
	s_cbranch_execnz .LBB1048_316
.LBB1048_298:                           ;   in Loop: Header=BB1048_258 Depth=2
	s_or_b64 exec, exec, s[42:43]
	s_and_saveexec_b64 s[42:43], s[40:41]
	s_cbranch_execz .LBB1048_300
.LBB1048_299:                           ;   in Loop: Header=BB1048_258 Depth=2
	ds_read_u16 v17, v36 offset:2560
	s_waitcnt lgkmcnt(0)
	v_lshrrev_b32_e32 v17, s73, v17
	v_and_b32_e32 v73, s63, v17
.LBB1048_300:                           ;   in Loop: Header=BB1048_258 Depth=2
	s_or_b64 exec, exec, s[42:43]
	v_mad_u64_u32 v[16:17], s[42:43], v86, 6, v[16:17]
	s_waitcnt vmcnt(0)
	v_mad_u64_u32 v[80:81], s[42:43], v81, 6, v[6:7]
	v_mad_u64_u32 v[17:18], s[42:43], v83, 6, v[15:16]
	;; [unrolled: 1-line block ×3, first 2 shown]
	s_barrier
	ds_write_b64 v16, v[13:14] offset:1024
	ds_write_b64 v17, v[11:12] offset:1024
	;; [unrolled: 1-line block ×4, first 2 shown]
	s_waitcnt lgkmcnt(0)
	s_barrier
	s_and_saveexec_b64 s[42:43], vcc
	s_cbranch_execnz .LBB1048_317
; %bb.301:                              ;   in Loop: Header=BB1048_258 Depth=2
	s_or_b64 exec, exec, s[42:43]
	s_and_saveexec_b64 s[42:43], s[36:37]
	s_cbranch_execnz .LBB1048_318
.LBB1048_302:                           ;   in Loop: Header=BB1048_258 Depth=2
	s_or_b64 exec, exec, s[42:43]
	s_and_saveexec_b64 s[36:37], s[38:39]
	s_cbranch_execnz .LBB1048_319
.LBB1048_303:                           ;   in Loop: Header=BB1048_258 Depth=2
	s_or_b64 exec, exec, s[36:37]
	s_and_saveexec_b64 s[36:37], s[40:41]
	s_cbranch_execz .LBB1048_305
.LBB1048_304:                           ;   in Loop: Header=BB1048_258 Depth=2
	v_lshlrev_b32_e32 v4, 2, v73
	ds_read_b32 v4, v4
	v_add_u32_e32 v6, v36, v54
	ds_read_b64 v[15:16], v6 offset:7168
	v_mov_b32_e32 v18, v3
	v_mov_b32_e32 v6, s53
	s_waitcnt lgkmcnt(1)
	v_add_u32_e32 v17, v4, v22
	v_lshlrev_b64 v[17:18], 3, v[17:18]
	v_add_co_u32_e32 v17, vcc, s52, v17
	v_addc_co_u32_e32 v18, vcc, v6, v18, vcc
	s_waitcnt lgkmcnt(0)
	global_store_dwordx2 v[17:18], v[15:16], off
.LBB1048_305:                           ;   in Loop: Header=BB1048_258 Depth=2
	s_or_b64 exec, exec, s[36:37]
	s_waitcnt vmcnt(0)
	s_barrier
	s_and_saveexec_b64 s[36:37], s[4:5]
	s_cbranch_execz .LBB1048_257
; %bb.306:                              ;   in Loop: Header=BB1048_258 Depth=2
	ds_read_b32 v4, v19
	s_waitcnt lgkmcnt(0)
	v_add_u32_e32 v4, v4, v82
	ds_write_b32 v19, v4
	s_branch .LBB1048_257
.LBB1048_307:                           ;   in Loop: Header=BB1048_258 Depth=2
	ds_read_u16 v17, v36 offset:1024
	v_mov_b32_e32 v84, s67
	s_waitcnt lgkmcnt(0)
	v_lshrrev_b32_sdwa v18, s73, v17 dst_sel:DWORD dst_unused:UNUSED_PAD src0_sel:DWORD src1_sel:WORD_0
	v_and_b32_e32 v18, s63, v18
	v_lshlrev_b32_e32 v18, 2, v18
	ds_read_b32 v80, v18
	v_mov_b32_e32 v18, v3
	v_xor_b32_e32 v85, 0xffff8000, v17
	s_waitcnt lgkmcnt(0)
	v_add_u32_e32 v17, v80, v0
	v_lshlrev_b64 v[17:18], 1, v[17:18]
	v_add_co_u32_e64 v17, s[36:37], s66, v17
	v_addc_co_u32_e64 v18, s[36:37], v84, v18, s[36:37]
	global_store_short v[17:18], v85, off
	s_or_b64 exec, exec, s[38:39]
	v_cmp_lt_u32_e64 s[36:37], v20, v78
	s_and_saveexec_b64 s[40:41], s[36:37]
	s_cbranch_execz .LBB1048_288
.LBB1048_308:                           ;   in Loop: Header=BB1048_258 Depth=2
	ds_read_u16 v17, v36 offset:1536
	v_mov_b32_e32 v84, s67
	s_waitcnt lgkmcnt(0)
	v_lshrrev_b32_sdwa v18, s73, v17 dst_sel:DWORD dst_unused:UNUSED_PAD src0_sel:DWORD src1_sel:WORD_0
	v_and_b32_e32 v18, s63, v18
	v_lshlrev_b32_e32 v18, 2, v18
	ds_read_b32 v80, v18
	v_mov_b32_e32 v18, v3
	v_xor_b32_e32 v85, 0xffff8000, v17
	s_waitcnt lgkmcnt(0)
	v_add_u32_e32 v17, v80, v20
	v_lshlrev_b64 v[17:18], 1, v[17:18]
	v_add_co_u32_e64 v17, s[38:39], s66, v17
	v_addc_co_u32_e64 v18, s[38:39], v84, v18, s[38:39]
	global_store_short v[17:18], v85, off
	s_or_b64 exec, exec, s[40:41]
	v_cmp_lt_u32_e64 s[38:39], v21, v78
	s_and_saveexec_b64 s[42:43], s[38:39]
	s_cbranch_execz .LBB1048_289
.LBB1048_309:                           ;   in Loop: Header=BB1048_258 Depth=2
	ds_read_u16 v17, v36 offset:2048
	v_mov_b32_e32 v84, s67
	s_waitcnt lgkmcnt(0)
	v_lshrrev_b32_sdwa v18, s73, v17 dst_sel:DWORD dst_unused:UNUSED_PAD src0_sel:DWORD src1_sel:WORD_0
	v_and_b32_e32 v18, s63, v18
	v_lshlrev_b32_e32 v18, 2, v18
	ds_read_b32 v80, v18
	v_mov_b32_e32 v18, v3
	v_xor_b32_e32 v85, 0xffff8000, v17
	s_waitcnt lgkmcnt(0)
	v_add_u32_e32 v17, v80, v21
	v_lshlrev_b64 v[17:18], 1, v[17:18]
	v_add_co_u32_e64 v17, s[40:41], s66, v17
	v_addc_co_u32_e64 v18, s[40:41], v84, v18, s[40:41]
	global_store_short v[17:18], v85, off
	s_or_b64 exec, exec, s[42:43]
	v_cmp_lt_u32_e64 s[40:41], v22, v78
	s_and_saveexec_b64 s[56:57], s[40:41]
	s_cbranch_execnz .LBB1048_290
	s_branch .LBB1048_291
.LBB1048_310:                           ;   in Loop: Header=BB1048_258 Depth=2
	global_load_dwordx2 v[13:14], v[17:18], off
	s_or_b64 exec, exec, s[42:43]
	v_cmp_lt_u32_e64 s[42:43], v64, v78
	s_and_saveexec_b64 s[56:57], s[42:43]
	s_cbranch_execz .LBB1048_293
.LBB1048_311:                           ;   in Loop: Header=BB1048_258 Depth=2
	global_load_dwordx2 v[11:12], v[17:18], off offset:512
	s_or_b64 exec, exec, s[56:57]
	v_cmp_lt_u32_e64 s[42:43], v65, v78
	s_and_saveexec_b64 s[56:57], s[42:43]
	s_cbranch_execz .LBB1048_294
.LBB1048_312:                           ;   in Loop: Header=BB1048_258 Depth=2
	global_load_dwordx2 v[9:10], v[17:18], off offset:1024
	s_or_b64 exec, exec, s[56:57]
	v_cmp_lt_u32_e64 s[42:43], v66, v78
	s_and_saveexec_b64 s[56:57], s[42:43]
	s_cbranch_execz .LBB1048_295
.LBB1048_313:                           ;   in Loop: Header=BB1048_258 Depth=2
	global_load_dwordx2 v[7:8], v[17:18], off offset:1536
	s_or_b64 exec, exec, s[56:57]
	s_and_saveexec_b64 s[42:43], vcc
	s_cbranch_execz .LBB1048_296
.LBB1048_314:                           ;   in Loop: Header=BB1048_258 Depth=2
	ds_read_u16 v17, v36 offset:1024
	s_waitcnt lgkmcnt(0)
	v_lshrrev_b32_e32 v17, s73, v17
	v_and_b32_e32 v77, s63, v17
	s_or_b64 exec, exec, s[42:43]
	s_and_saveexec_b64 s[42:43], s[36:37]
	s_cbranch_execz .LBB1048_297
.LBB1048_315:                           ;   in Loop: Header=BB1048_258 Depth=2
	ds_read_u16 v17, v36 offset:1536
	s_waitcnt lgkmcnt(0)
	v_lshrrev_b32_e32 v17, s73, v17
	v_and_b32_e32 v76, s63, v17
	s_or_b64 exec, exec, s[42:43]
	s_and_saveexec_b64 s[42:43], s[38:39]
	s_cbranch_execz .LBB1048_298
.LBB1048_316:                           ;   in Loop: Header=BB1048_258 Depth=2
	ds_read_u16 v17, v36 offset:2048
	s_waitcnt lgkmcnt(0)
	v_lshrrev_b32_e32 v17, s73, v17
	v_and_b32_e32 v74, s63, v17
	s_or_b64 exec, exec, s[42:43]
	s_and_saveexec_b64 s[42:43], s[40:41]
	s_cbranch_execnz .LBB1048_299
	s_branch .LBB1048_300
.LBB1048_317:                           ;   in Loop: Header=BB1048_258 Depth=2
	v_lshlrev_b32_e32 v4, 2, v77
	ds_read_b32 v4, v4
	v_add_u32_e32 v6, v36, v54
	ds_read_b64 v[15:16], v6 offset:1024
	v_mov_b32_e32 v18, v3
	v_mov_b32_e32 v6, s53
	s_waitcnt lgkmcnt(1)
	v_add_u32_e32 v17, v4, v0
	v_lshlrev_b64 v[17:18], 3, v[17:18]
	v_add_co_u32_e32 v17, vcc, s52, v17
	v_addc_co_u32_e32 v18, vcc, v6, v18, vcc
	s_waitcnt lgkmcnt(0)
	global_store_dwordx2 v[17:18], v[15:16], off
	s_or_b64 exec, exec, s[42:43]
	s_and_saveexec_b64 s[42:43], s[36:37]
	s_cbranch_execz .LBB1048_302
.LBB1048_318:                           ;   in Loop: Header=BB1048_258 Depth=2
	v_lshlrev_b32_e32 v4, 2, v76
	ds_read_b32 v4, v4
	v_add_u32_e32 v6, v36, v54
	ds_read_b64 v[15:16], v6 offset:3072
	v_mov_b32_e32 v18, v3
	v_mov_b32_e32 v6, s53
	s_waitcnt lgkmcnt(1)
	v_add_u32_e32 v17, v4, v20
	v_lshlrev_b64 v[17:18], 3, v[17:18]
	v_add_co_u32_e32 v17, vcc, s52, v17
	v_addc_co_u32_e32 v18, vcc, v6, v18, vcc
	s_waitcnt lgkmcnt(0)
	global_store_dwordx2 v[17:18], v[15:16], off
	s_or_b64 exec, exec, s[42:43]
	s_and_saveexec_b64 s[36:37], s[38:39]
	s_cbranch_execz .LBB1048_303
.LBB1048_319:                           ;   in Loop: Header=BB1048_258 Depth=2
	v_lshlrev_b32_e32 v4, 2, v74
	ds_read_b32 v4, v4
	v_add_u32_e32 v6, v36, v54
	ds_read_b64 v[15:16], v6 offset:5120
	v_mov_b32_e32 v18, v3
	v_mov_b32_e32 v6, s53
	s_waitcnt lgkmcnt(1)
	v_add_u32_e32 v17, v4, v21
	v_lshlrev_b64 v[17:18], 3, v[17:18]
	v_add_co_u32_e32 v17, vcc, s52, v17
	v_addc_co_u32_e32 v18, vcc, v6, v18, vcc
	s_waitcnt lgkmcnt(0)
	global_store_dwordx2 v[17:18], v[15:16], off
	s_or_b64 exec, exec, s[36:37]
	s_and_saveexec_b64 s[36:37], s[40:41]
	s_cbranch_execnz .LBB1048_304
	s_branch .LBB1048_305
.LBB1048_320:                           ;   in Loop: Header=BB1048_258 Depth=2
	global_load_ushort v4, v[17:18], off
	v_mov_b32_e32 v16, v5
	s_waitcnt vmcnt(0)
	v_perm_b32 v15, s61, v4, v67
	s_or_b64 exec, exec, s[36:37]
	v_cmp_gt_u32_e32 vcc, s70, v64
	s_and_saveexec_b64 s[36:37], vcc
	s_cbranch_execz .LBB1048_263
.LBB1048_321:                           ;   in Loop: Header=BB1048_258 Depth=2
	global_load_ushort v4, v[17:18], off offset:128
	s_waitcnt vmcnt(0)
	v_perm_b32 v15, v4, v15, s58
	s_or_b64 exec, exec, s[36:37]
	v_cmp_gt_u32_e32 vcc, s70, v65
	s_and_saveexec_b64 s[36:37], vcc
	s_cbranch_execnz .LBB1048_264
	s_branch .LBB1048_265
.LBB1048_322:                           ;   in Loop: Header=BB1048_20 Depth=1
	s_waitcnt lgkmcnt(0)
	s_barrier
	s_mov_b64 s[16:17], 0
.LBB1048_323:                           ;   in Loop: Header=BB1048_20 Depth=1
	s_and_b64 vcc, exec, s[16:17]
	s_cbranch_vccz .LBB1048_19
; %bb.324:                              ;   in Loop: Header=BB1048_20 Depth=1
	v_mov_b32_e32 v4, v3
	v_mov_b32_e32 v7, v4
	s_mov_b32 s20, s75
	s_mov_b32 s46, s49
	v_mov_b32_e32 v6, v3
	s_barrier
	s_branch .LBB1048_326
.LBB1048_325:                           ;   in Loop: Header=BB1048_326 Depth=2
	s_or_b64 exec, exec, s[16:17]
	s_addk_i32 s20, 0xfc00
	s_cmp_ge_u32 s21, s76
	s_mov_b32 s46, s21
	s_cbranch_scc1 .LBB1048_346
.LBB1048_326:                           ;   Parent Loop BB1048_20 Depth=1
                                        ; =>  This Inner Loop Header: Depth=2
	s_add_i32 s21, s46, 0x400
	s_cmp_gt_u32 s21, s76
	s_mov_b64 s[16:17], -1
                                        ; implicit-def: $vgpr8_vgpr9
	s_cbranch_scc1 .LBB1048_328
; %bb.327:                              ;   in Loop: Header=BB1048_326 Depth=2
	s_lshl_b64 s[16:17], s[46:47], 1
	v_mov_b32_e32 v4, s17
	v_add_co_u32_e32 v8, vcc, s16, v43
	v_addc_co_u32_e32 v9, vcc, v44, v4, vcc
	global_load_ushort v4, v[8:9], off
	global_load_ushort v10, v[8:9], off offset:1024
	global_load_ushort v11, v[8:9], off offset:1536
	;; [unrolled: 1-line block ×3, first 2 shown]
	s_mov_b64 s[16:17], 0
	s_waitcnt vmcnt(1)
	v_perm_b32 v9, v11, v10, s58
	s_waitcnt vmcnt(0)
	v_perm_b32 v8, v12, v4, s58
.LBB1048_328:                           ;   in Loop: Header=BB1048_326 Depth=2
	s_andn2_b64 vcc, exec, s[16:17]
	s_movk_i32 s18, 0x400
	s_cbranch_vccnz .LBB1048_335
; %bb.329:                              ;   in Loop: Header=BB1048_326 Depth=2
	s_lshl_b64 s[16:17], s[46:47], 1
	s_add_u32 s16, s64, s16
	s_addc_u32 s17, s65, s17
	v_cmp_gt_u32_e32 vcc, s20, v0
	s_and_saveexec_b64 s[18:19], vcc
	s_cbranch_execnz .LBB1048_343
; %bb.330:                              ;   in Loop: Header=BB1048_326 Depth=2
	s_or_b64 exec, exec, s[18:19]
	v_cmp_gt_u32_e32 vcc, s20, v20
	s_and_saveexec_b64 s[18:19], vcc
	s_cbranch_execnz .LBB1048_344
.LBB1048_331:                           ;   in Loop: Header=BB1048_326 Depth=2
	s_or_b64 exec, exec, s[18:19]
	v_cmp_gt_u32_e32 vcc, s20, v21
	s_and_saveexec_b64 s[18:19], vcc
	s_cbranch_execnz .LBB1048_345
.LBB1048_332:                           ;   in Loop: Header=BB1048_326 Depth=2
	s_or_b64 exec, exec, s[18:19]
	v_cmp_gt_u32_e32 vcc, s20, v22
	s_and_saveexec_b64 s[18:19], vcc
	s_cbranch_execz .LBB1048_334
.LBB1048_333:                           ;   in Loop: Header=BB1048_326 Depth=2
	global_load_ushort v4, v58, s[16:17] offset:1536
	s_waitcnt vmcnt(0)
	v_perm_b32 v7, v4, v7, s58
.LBB1048_334:                           ;   in Loop: Header=BB1048_326 Depth=2
	s_or_b64 exec, exec, s[18:19]
	v_mov_b32_e32 v9, v7
	s_mov_b32 s18, s20
	v_mov_b32_e32 v8, v6
.LBB1048_335:                           ;   in Loop: Header=BB1048_326 Depth=2
	v_mov_b32_e32 v6, v8
	v_mov_b32_e32 v7, v9
	v_cmp_gt_u32_e32 vcc, s18, v0
	s_and_saveexec_b64 s[16:17], vcc
	s_cbranch_execnz .LBB1048_339
; %bb.336:                              ;   in Loop: Header=BB1048_326 Depth=2
	s_or_b64 exec, exec, s[16:17]
	v_cmp_gt_u32_e32 vcc, s18, v20
	s_and_saveexec_b64 s[16:17], vcc
	s_cbranch_execnz .LBB1048_340
.LBB1048_337:                           ;   in Loop: Header=BB1048_326 Depth=2
	s_or_b64 exec, exec, s[16:17]
	v_cmp_gt_u32_e32 vcc, s18, v21
	s_and_saveexec_b64 s[16:17], vcc
	s_cbranch_execnz .LBB1048_341
.LBB1048_338:                           ;   in Loop: Header=BB1048_326 Depth=2
	s_or_b64 exec, exec, s[16:17]
	v_cmp_gt_u32_e32 vcc, s18, v22
	s_and_saveexec_b64 s[16:17], vcc
	s_cbranch_execz .LBB1048_325
	s_branch .LBB1048_342
.LBB1048_339:                           ;   in Loop: Header=BB1048_326 Depth=2
	v_xor_b32_e32 v4, 0xffff8000, v6
	v_lshrrev_b32_sdwa v4, s73, v4 dst_sel:DWORD dst_unused:UNUSED_PAD src0_sel:DWORD src1_sel:WORD_0
	v_and_b32_e32 v4, s63, v4
	v_lshl_or_b32 v4, v4, 4, v25
	ds_add_u32 v4, v55
	s_or_b64 exec, exec, s[16:17]
	v_cmp_gt_u32_e32 vcc, s18, v20
	s_and_saveexec_b64 s[16:17], vcc
	s_cbranch_execz .LBB1048_337
.LBB1048_340:                           ;   in Loop: Header=BB1048_326 Depth=2
	v_xor_b32_sdwa v4, v6, s60 dst_sel:DWORD dst_unused:UNUSED_PAD src0_sel:WORD_1 src1_sel:DWORD
	v_lshrrev_b32_sdwa v4, s73, v4 dst_sel:DWORD dst_unused:UNUSED_PAD src0_sel:DWORD src1_sel:WORD_0
	v_and_b32_e32 v4, s63, v4
	v_lshl_or_b32 v4, v4, 4, v25
	ds_add_u32 v4, v55
	s_or_b64 exec, exec, s[16:17]
	v_cmp_gt_u32_e32 vcc, s18, v21
	s_and_saveexec_b64 s[16:17], vcc
	s_cbranch_execz .LBB1048_338
.LBB1048_341:                           ;   in Loop: Header=BB1048_326 Depth=2
	v_xor_b32_e32 v4, 0xffff8000, v7
	v_lshrrev_b32_sdwa v4, s73, v4 dst_sel:DWORD dst_unused:UNUSED_PAD src0_sel:DWORD src1_sel:WORD_0
	v_and_b32_e32 v4, s63, v4
	v_lshl_or_b32 v4, v4, 4, v25
	ds_add_u32 v4, v55
	s_or_b64 exec, exec, s[16:17]
	v_cmp_gt_u32_e32 vcc, s18, v22
	s_and_saveexec_b64 s[16:17], vcc
	s_cbranch_execz .LBB1048_325
.LBB1048_342:                           ;   in Loop: Header=BB1048_326 Depth=2
	v_xor_b32_sdwa v4, v7, s60 dst_sel:DWORD dst_unused:UNUSED_PAD src0_sel:WORD_1 src1_sel:DWORD
	v_lshrrev_b32_sdwa v4, s73, v4 dst_sel:DWORD dst_unused:UNUSED_PAD src0_sel:DWORD src1_sel:WORD_0
	v_and_b32_e32 v4, s63, v4
	v_lshl_or_b32 v4, v4, 4, v25
	ds_add_u32 v4, v55
	s_branch .LBB1048_325
.LBB1048_343:                           ;   in Loop: Header=BB1048_326 Depth=2
	global_load_ushort v4, v58, s[16:17]
	s_waitcnt vmcnt(0)
	v_bfi_b32 v6, s59, v4, v6
	s_or_b64 exec, exec, s[18:19]
	v_cmp_gt_u32_e32 vcc, s20, v20
	s_and_saveexec_b64 s[18:19], vcc
	s_cbranch_execz .LBB1048_331
.LBB1048_344:                           ;   in Loop: Header=BB1048_326 Depth=2
	global_load_ushort v4, v58, s[16:17] offset:512
	s_waitcnt vmcnt(0)
	v_perm_b32 v6, v4, v6, s58
	s_or_b64 exec, exec, s[18:19]
	v_cmp_gt_u32_e32 vcc, s20, v21
	s_and_saveexec_b64 s[18:19], vcc
	s_cbranch_execz .LBB1048_332
.LBB1048_345:                           ;   in Loop: Header=BB1048_326 Depth=2
	global_load_ushort v4, v58, s[16:17] offset:1024
	s_waitcnt vmcnt(0)
	v_bfi_b32 v7, s59, v4, v7
	s_or_b64 exec, exec, s[18:19]
	v_cmp_gt_u32_e32 vcc, s20, v22
	s_and_saveexec_b64 s[18:19], vcc
	s_cbranch_execnz .LBB1048_333
	s_branch .LBB1048_334
.LBB1048_346:                           ;   in Loop: Header=BB1048_20 Depth=1
	v_mov_b32_e32 v4, 0
	s_waitcnt lgkmcnt(0)
	s_barrier
	s_and_saveexec_b64 s[16:17], s[4:5]
	s_cbranch_execz .LBB1048_348
; %bb.347:                              ;   in Loop: Header=BB1048_20 Depth=1
	ds_read2_b64 v[6:9], v26 offset1:1
	s_waitcnt lgkmcnt(0)
	v_add_u32_e32 v4, v7, v6
	v_add3_u32 v4, v4, v8, v9
.LBB1048_348:                           ;   in Loop: Header=BB1048_20 Depth=1
	s_or_b64 exec, exec, s[16:17]
	s_nop 0
	v_mov_b32_dpp v6, v4 row_shr:1 row_mask:0xf bank_mask:0xf
	v_cmp_eq_u32_e64 s[16:17], 0, v59
	v_cndmask_b32_e64 v6, v6, 0, s[16:17]
	v_add_u32_e32 v4, v6, v4
	v_cmp_lt_u32_e64 s[18:19], 1, v59
	v_cmp_lt_u32_e64 s[20:21], 3, v59
	v_mov_b32_dpp v6, v4 row_shr:2 row_mask:0xf bank_mask:0xf
	v_cndmask_b32_e64 v6, 0, v6, s[18:19]
	v_add_u32_e32 v4, v4, v6
	v_cmp_lt_u32_e64 s[22:23], 7, v59
	v_cmp_lt_u32_e64 s[26:27], 31, v49
	v_mov_b32_dpp v6, v4 row_shr:4 row_mask:0xf bank_mask:0xf
	v_cndmask_b32_e64 v6, 0, v6, s[20:21]
	v_add_u32_e32 v4, v4, v6
	v_cmp_eq_u32_e64 s[24:25], 0, v61
	s_nop 0
	v_mov_b32_dpp v6, v4 row_shr:8 row_mask:0xf bank_mask:0xf
	v_cndmask_b32_e64 v6, 0, v6, s[22:23]
	v_add_u32_e32 v4, v4, v6
	s_nop 1
	v_mov_b32_dpp v6, v4 row_bcast:15 row_mask:0xf bank_mask:0xf
	v_and_b32_e32 v6, v60, v6
	v_add_u32_e32 v4, v4, v6
	s_nop 1
	v_mov_b32_dpp v6, v4 row_bcast:31 row_mask:0xf bank_mask:0xf
	v_cndmask_b32_e64 v6, 0, v6, s[26:27]
	v_add_u32_e32 v4, v4, v6
	s_and_saveexec_b64 s[28:29], s[6:7]
; %bb.349:                              ;   in Loop: Header=BB1048_20 Depth=1
	ds_write_b32 v28, v4
; %bb.350:                              ;   in Loop: Header=BB1048_20 Depth=1
	s_or_b64 exec, exec, s[28:29]
	s_waitcnt lgkmcnt(0)
	s_barrier
	s_and_saveexec_b64 s[28:29], s[8:9]
	s_cbranch_execz .LBB1048_352
; %bb.351:                              ;   in Loop: Header=BB1048_20 Depth=1
	ds_read_b32 v6, v29
	v_cmp_ne_u32_e32 vcc, 0, v62
	s_waitcnt lgkmcnt(0)
	v_mov_b32_dpp v7, v6 row_shr:1 row_mask:0xf bank_mask:0xf
	v_cndmask_b32_e32 v7, 0, v7, vcc
	v_add_u32_e32 v6, v7, v6
	v_cmp_lt_u32_e32 vcc, 1, v62
	s_nop 0
	v_mov_b32_dpp v7, v6 row_shr:2 row_mask:0xf bank_mask:0xf
	v_cndmask_b32_e32 v7, 0, v7, vcc
	v_add_u32_e32 v6, v6, v7
	ds_write_b32 v29, v6
.LBB1048_352:                           ;   in Loop: Header=BB1048_20 Depth=1
	s_or_b64 exec, exec, s[28:29]
	v_mov_b32_e32 v6, 0
	s_waitcnt lgkmcnt(0)
	s_barrier
	s_and_saveexec_b64 s[28:29], s[10:11]
; %bb.353:                              ;   in Loop: Header=BB1048_20 Depth=1
	ds_read_b32 v6, v53
; %bb.354:                              ;   in Loop: Header=BB1048_20 Depth=1
	s_or_b64 exec, exec, s[28:29]
	v_subrev_co_u32_e64 v7, s[28:29], 1, v49
	v_cmp_lt_i32_e32 vcc, v7, v63
	v_cndmask_b32_e32 v7, v7, v49, vcc
	s_waitcnt lgkmcnt(0)
	v_add_u32_e32 v4, v6, v4
	v_lshlrev_b32_e32 v68, 2, v7
	ds_bpermute_b32 v4, v68, v4
	s_waitcnt lgkmcnt(0)
	s_barrier
	s_and_saveexec_b64 s[30:31], s[4:5]
; %bb.355:                              ;   in Loop: Header=BB1048_20 Depth=1
	v_cndmask_b32_e64 v4, v4, v6, s[28:29]
	v_add_u32_e32 v4, s49, v4
	ds_write_b32 v19, v4
; %bb.356:                              ;   in Loop: Header=BB1048_20 Depth=1
	s_or_b64 exec, exec, s[30:31]
	s_load_dwordx2 s[30:31], s[44:45], 0x0
	v_add_co_u32_e32 v69, vcc, v45, v50
	v_addc_co_u32_e32 v70, vcc, 0, v46, vcc
	s_waitcnt lgkmcnt(0)
	s_cmp_lt_u32 s33, s31
	s_cselect_b32 s31, 14, 20
	s_add_u32 s34, s44, s31
	s_addc_u32 s35, s45, 0
	s_cmp_lt_u32 s48, s30
	s_cselect_b32 s30, 12, 18
	s_add_u32 s30, s44, s30
	global_load_ushort v4, v3, s[34:35]
	s_addc_u32 s31, s45, 0
	global_load_ushort v6, v3, s[30:31]
	v_add_co_u32_e32 v71, vcc, v47, v52
	v_cmp_eq_u32_e64 s[30:31], 0, v62
	v_cmp_lt_u32_e64 s[34:35], 1, v62
	v_addc_co_u32_e32 v72, vcc, 0, v48, vcc
	s_mov_b32 s70, s75
	s_mov_b32 s46, s49
                                        ; implicit-def: $vgpr9_vgpr10
                                        ; implicit-def: $vgpr11_vgpr12
                                        ; implicit-def: $vgpr13_vgpr14
                                        ; implicit-def: $vgpr73
                                        ; implicit-def: $vgpr74
                                        ; implicit-def: $vgpr76
                                        ; implicit-def: $vgpr77
	s_waitcnt vmcnt(1)
	v_mad_u32_u24 v4, v2, v4, v1
	s_waitcnt vmcnt(0)
	v_mad_u64_u32 v[6:7], s[36:37], v4, v6, v[0:1]
                                        ; implicit-def: $vgpr7_vgpr8
	v_lshrrev_b32_e32 v4, 4, v6
	v_and_b32_e32 v75, 0xffffffc, v4
	s_branch .LBB1048_358
.LBB1048_357:                           ;   in Loop: Header=BB1048_358 Depth=2
	s_or_b64 exec, exec, s[36:37]
	s_addk_i32 s70, 0xfc00
	s_cmp_lt_u32 s71, s76
	s_mov_b32 s46, s71
	s_cbranch_scc0 .LBB1048_18
.LBB1048_358:                           ;   Parent Loop BB1048_20 Depth=1
                                        ; =>  This Inner Loop Header: Depth=2
	s_add_i32 s71, s46, 0x400
	s_cmp_gt_u32 s71, s76
	s_cbranch_scc1 .LBB1048_360
; %bb.359:                              ;   in Loop: Header=BB1048_358 Depth=2
	s_lshl_b64 s[36:37], s[46:47], 1
	v_mov_b32_e32 v4, s37
	v_add_co_u32_e32 v15, vcc, s36, v71
	v_addc_co_u32_e32 v16, vcc, v72, v4, vcc
	global_load_ushort v4, v[15:16], off
	global_load_ushort v6, v[15:16], off offset:128
	s_nop 0
	global_load_ushort v16, v[15:16], off offset:256
	s_mov_b64 s[36:37], -1
	s_waitcnt vmcnt(1)
	v_perm_b32 v15, v6, v4, s58
	s_movk_i32 s40, 0x400
	s_cbranch_execz .LBB1048_361
	s_branch .LBB1048_366
.LBB1048_360:                           ;   in Loop: Header=BB1048_358 Depth=2
	s_mov_b64 s[36:37], 0
                                        ; implicit-def: $vgpr15_vgpr16
	s_movk_i32 s40, 0x400
.LBB1048_361:                           ;   in Loop: Header=BB1048_358 Depth=2
	s_lshl_b64 s[36:37], s[46:47], 1
	v_mov_b32_e32 v4, s37
	v_add_co_u32_e32 v17, vcc, s36, v71
	v_mov_b32_e32 v6, v5
	v_addc_co_u32_e32 v18, vcc, v72, v4, vcc
	s_waitcnt vmcnt(0)
	v_mov_b32_e32 v16, v6
	v_cmp_gt_u32_e32 vcc, s70, v51
	v_mov_b32_e32 v15, v5
	s_and_saveexec_b64 s[36:37], vcc
	s_cbranch_execnz .LBB1048_420
; %bb.362:                              ;   in Loop: Header=BB1048_358 Depth=2
	s_or_b64 exec, exec, s[36:37]
	v_cmp_gt_u32_e32 vcc, s70, v64
	s_and_saveexec_b64 s[36:37], vcc
	s_cbranch_execnz .LBB1048_421
.LBB1048_363:                           ;   in Loop: Header=BB1048_358 Depth=2
	s_or_b64 exec, exec, s[36:37]
	v_cmp_gt_u32_e32 vcc, s70, v65
	s_and_saveexec_b64 s[36:37], vcc
	s_cbranch_execz .LBB1048_365
.LBB1048_364:                           ;   in Loop: Header=BB1048_358 Depth=2
	global_load_ushort v4, v[17:18], off offset:256
	s_waitcnt vmcnt(0)
	v_bfi_b32 v16, s59, v4, v16
.LBB1048_365:                           ;   in Loop: Header=BB1048_358 Depth=2
	s_or_b64 exec, exec, s[36:37]
	s_sub_i32 s40, s76, s46
	v_cmp_gt_u32_e64 s[36:37], s70, v66
.LBB1048_366:                           ;   in Loop: Header=BB1048_358 Depth=2
	v_mov_b32_e32 v78, s70
	s_and_saveexec_b64 s[38:39], s[36:37]
	s_cbranch_execz .LBB1048_368
; %bb.367:                              ;   in Loop: Header=BB1048_358 Depth=2
	s_lshl_b64 s[36:37], s[46:47], 1
	v_mov_b32_e32 v4, s37
	v_add_co_u32_e32 v17, vcc, s36, v71
	v_addc_co_u32_e32 v18, vcc, v72, v4, vcc
	global_load_ushort v4, v[17:18], off offset:384
	v_mov_b32_e32 v78, s40
	s_waitcnt vmcnt(0)
	v_perm_b32 v16, v4, v16, s58
.LBB1048_368:                           ;   in Loop: Header=BB1048_358 Depth=2
	s_or_b64 exec, exec, s[38:39]
	v_xor_b32_e32 v6, 0xffff8000, v15
	v_lshrrev_b32_sdwa v4, s73, v6 dst_sel:DWORD dst_unused:UNUSED_PAD src0_sel:DWORD src1_sel:WORD_0
	v_and_b32_e32 v17, s63, v4
	v_and_b32_e32 v4, 1, v17
	v_add_co_u32_e32 v18, vcc, -1, v4
	v_addc_co_u32_e64 v79, s[36:37], 0, -1, vcc
	v_cmp_ne_u32_e32 vcc, 0, v4
	v_xor_b32_e32 v4, vcc_hi, v79
	v_and_b32_e32 v79, exec_hi, v4
	v_lshlrev_b32_e32 v4, 30, v17
	v_xor_b32_e32 v18, vcc_lo, v18
	v_cmp_gt_i64_e32 vcc, 0, v[3:4]
	v_not_b32_e32 v4, v4
	v_ashrrev_i32_e32 v4, 31, v4
	v_and_b32_e32 v18, exec_lo, v18
	v_xor_b32_e32 v81, vcc_hi, v4
	v_xor_b32_e32 v4, vcc_lo, v4
	v_and_b32_e32 v18, v18, v4
	v_lshlrev_b32_e32 v4, 29, v17
	v_cmp_gt_i64_e32 vcc, 0, v[3:4]
	v_not_b32_e32 v4, v4
	v_ashrrev_i32_e32 v4, 31, v4
	v_and_b32_e32 v79, v79, v81
	v_xor_b32_e32 v81, vcc_hi, v4
	v_xor_b32_e32 v4, vcc_lo, v4
	v_and_b32_e32 v18, v18, v4
	v_lshlrev_b32_e32 v4, 28, v17
	v_cmp_gt_i64_e32 vcc, 0, v[3:4]
	v_not_b32_e32 v4, v4
	v_ashrrev_i32_e32 v4, 31, v4
	v_and_b32_e32 v79, v79, v81
	;; [unrolled: 8-line block ×5, first 2 shown]
	v_xor_b32_e32 v81, vcc_hi, v4
	v_xor_b32_e32 v4, vcc_lo, v4
	v_and_b32_e32 v79, v79, v81
	v_and_b32_e32 v81, v18, v4
	v_lshlrev_b32_e32 v4, 24, v17
	v_cmp_gt_i64_e32 vcc, 0, v[3:4]
	v_not_b32_e32 v4, v4
	v_ashrrev_i32_e32 v4, 31, v4
	v_mul_u32_u24_e32 v80, 20, v17
	v_xor_b32_e32 v17, vcc_hi, v4
	v_xor_b32_e32 v4, vcc_lo, v4
	v_and_b32_e32 v18, v79, v17
	v_and_b32_e32 v17, v81, v4
	v_mbcnt_lo_u32_b32 v4, v17, 0
	v_mbcnt_hi_u32_b32 v79, v18, v4
	v_cmp_ne_u64_e32 vcc, 0, v[17:18]
	v_cmp_eq_u32_e64 s[36:37], 0, v79
	s_and_b64 s[38:39], vcc, s[36:37]
	v_add_u32_e32 v82, v75, v80
	ds_write2_b32 v56, v3, v3 offset1:1
	ds_write2_b32 v57, v3, v3 offset1:1
	ds_write_b32 v30, v3 offset:1056
	s_waitcnt vmcnt(0) lgkmcnt(0)
	s_barrier
	; wave barrier
	s_and_saveexec_b64 s[36:37], s[38:39]
; %bb.369:                              ;   in Loop: Header=BB1048_358 Depth=2
	v_bcnt_u32_b32 v4, v17, 0
	v_bcnt_u32_b32 v4, v18, v4
	ds_write_b32 v82, v4 offset:1040
; %bb.370:                              ;   in Loop: Header=BB1048_358 Depth=2
	s_or_b64 exec, exec, s[36:37]
	v_xor_b32_sdwa v80, v15, s60 dst_sel:DWORD dst_unused:UNUSED_PAD src0_sel:WORD_1 src1_sel:DWORD
	v_lshrrev_b32_sdwa v4, s73, v80 dst_sel:DWORD dst_unused:UNUSED_PAD src0_sel:DWORD src1_sel:WORD_0
	v_and_b32_e32 v15, s63, v4
	v_mad_u32_u24 v4, v15, 20, v75
	; wave barrier
	ds_read_b32 v81, v4 offset:1040
	v_and_b32_e32 v4, 1, v15
	v_add_co_u32_e32 v17, vcc, -1, v4
	v_addc_co_u32_e64 v18, s[36:37], 0, -1, vcc
	v_cmp_ne_u32_e32 vcc, 0, v4
	v_xor_b32_e32 v4, vcc_hi, v18
	v_and_b32_e32 v18, exec_hi, v4
	v_lshlrev_b32_e32 v4, 30, v15
	v_xor_b32_e32 v17, vcc_lo, v17
	v_cmp_gt_i64_e32 vcc, 0, v[3:4]
	v_not_b32_e32 v4, v4
	v_ashrrev_i32_e32 v4, 31, v4
	v_and_b32_e32 v17, exec_lo, v17
	v_xor_b32_e32 v83, vcc_hi, v4
	v_xor_b32_e32 v4, vcc_lo, v4
	v_and_b32_e32 v17, v17, v4
	v_lshlrev_b32_e32 v4, 29, v15
	v_cmp_gt_i64_e32 vcc, 0, v[3:4]
	v_not_b32_e32 v4, v4
	v_ashrrev_i32_e32 v4, 31, v4
	v_and_b32_e32 v18, v18, v83
	v_xor_b32_e32 v83, vcc_hi, v4
	v_xor_b32_e32 v4, vcc_lo, v4
	v_and_b32_e32 v17, v17, v4
	v_lshlrev_b32_e32 v4, 28, v15
	v_cmp_gt_i64_e32 vcc, 0, v[3:4]
	v_not_b32_e32 v4, v4
	v_ashrrev_i32_e32 v4, 31, v4
	v_and_b32_e32 v18, v18, v83
	;; [unrolled: 8-line block ×5, first 2 shown]
	v_xor_b32_e32 v83, vcc_hi, v4
	v_xor_b32_e32 v4, vcc_lo, v4
	v_and_b32_e32 v17, v17, v4
	v_lshlrev_b32_e32 v4, 24, v15
	v_cmp_gt_i64_e32 vcc, 0, v[3:4]
	v_not_b32_e32 v4, v4
	v_ashrrev_i32_e32 v4, 31, v4
	v_mul_u32_u24_e32 v84, 20, v15
	v_xor_b32_e32 v15, vcc_hi, v4
	v_xor_b32_e32 v4, vcc_lo, v4
	v_and_b32_e32 v18, v18, v83
	v_and_b32_e32 v17, v17, v4
	;; [unrolled: 1-line block ×3, first 2 shown]
	v_mbcnt_lo_u32_b32 v4, v17, 0
	v_mbcnt_hi_u32_b32 v83, v18, v4
	v_cmp_ne_u64_e32 vcc, 0, v[17:18]
	v_cmp_eq_u32_e64 s[36:37], 0, v83
	s_and_b64 s[38:39], vcc, s[36:37]
	v_add_u32_e32 v86, v75, v84
	; wave barrier
	s_and_saveexec_b64 s[36:37], s[38:39]
	s_cbranch_execz .LBB1048_372
; %bb.371:                              ;   in Loop: Header=BB1048_358 Depth=2
	v_bcnt_u32_b32 v4, v17, 0
	v_bcnt_u32_b32 v4, v18, v4
	s_waitcnt lgkmcnt(0)
	v_add_u32_e32 v4, v81, v4
	ds_write_b32 v86, v4 offset:1040
.LBB1048_372:                           ;   in Loop: Header=BB1048_358 Depth=2
	s_or_b64 exec, exec, s[36:37]
	v_xor_b32_e32 v84, 0xffff8000, v16
	v_lshrrev_b32_sdwa v4, s73, v84 dst_sel:DWORD dst_unused:UNUSED_PAD src0_sel:DWORD src1_sel:WORD_0
	v_and_b32_e32 v15, s63, v4
	v_mad_u32_u24 v4, v15, 20, v75
	; wave barrier
	ds_read_b32 v85, v4 offset:1040
	v_and_b32_e32 v4, 1, v15
	v_add_co_u32_e32 v17, vcc, -1, v4
	v_addc_co_u32_e64 v18, s[36:37], 0, -1, vcc
	v_cmp_ne_u32_e32 vcc, 0, v4
	v_xor_b32_e32 v4, vcc_hi, v18
	v_and_b32_e32 v18, exec_hi, v4
	v_lshlrev_b32_e32 v4, 30, v15
	v_xor_b32_e32 v17, vcc_lo, v17
	v_cmp_gt_i64_e32 vcc, 0, v[3:4]
	v_not_b32_e32 v4, v4
	v_ashrrev_i32_e32 v4, 31, v4
	v_and_b32_e32 v17, exec_lo, v17
	v_xor_b32_e32 v87, vcc_hi, v4
	v_xor_b32_e32 v4, vcc_lo, v4
	v_and_b32_e32 v17, v17, v4
	v_lshlrev_b32_e32 v4, 29, v15
	v_cmp_gt_i64_e32 vcc, 0, v[3:4]
	v_not_b32_e32 v4, v4
	v_ashrrev_i32_e32 v4, 31, v4
	v_and_b32_e32 v18, v18, v87
	v_xor_b32_e32 v87, vcc_hi, v4
	v_xor_b32_e32 v4, vcc_lo, v4
	v_and_b32_e32 v17, v17, v4
	v_lshlrev_b32_e32 v4, 28, v15
	v_cmp_gt_i64_e32 vcc, 0, v[3:4]
	v_not_b32_e32 v4, v4
	v_ashrrev_i32_e32 v4, 31, v4
	v_and_b32_e32 v18, v18, v87
	;; [unrolled: 8-line block ×5, first 2 shown]
	v_xor_b32_e32 v87, vcc_hi, v4
	v_xor_b32_e32 v4, vcc_lo, v4
	v_and_b32_e32 v17, v17, v4
	v_lshlrev_b32_e32 v4, 24, v15
	v_cmp_gt_i64_e32 vcc, 0, v[3:4]
	v_not_b32_e32 v4, v4
	v_ashrrev_i32_e32 v4, 31, v4
	v_mul_u32_u24_e32 v88, 20, v15
	v_xor_b32_e32 v15, vcc_hi, v4
	v_xor_b32_e32 v4, vcc_lo, v4
	v_and_b32_e32 v18, v18, v87
	v_and_b32_e32 v17, v17, v4
	;; [unrolled: 1-line block ×3, first 2 shown]
	v_mbcnt_lo_u32_b32 v4, v17, 0
	v_mbcnt_hi_u32_b32 v87, v18, v4
	v_cmp_ne_u64_e32 vcc, 0, v[17:18]
	v_cmp_eq_u32_e64 s[36:37], 0, v87
	s_and_b64 s[38:39], vcc, s[36:37]
	v_add_u32_e32 v90, v75, v88
	; wave barrier
	s_and_saveexec_b64 s[36:37], s[38:39]
	s_cbranch_execz .LBB1048_374
; %bb.373:                              ;   in Loop: Header=BB1048_358 Depth=2
	v_bcnt_u32_b32 v4, v17, 0
	v_bcnt_u32_b32 v4, v18, v4
	s_waitcnt lgkmcnt(0)
	v_add_u32_e32 v4, v85, v4
	ds_write_b32 v90, v4 offset:1040
.LBB1048_374:                           ;   in Loop: Header=BB1048_358 Depth=2
	s_or_b64 exec, exec, s[36:37]
	v_xor_b32_sdwa v88, v16, s60 dst_sel:DWORD dst_unused:UNUSED_PAD src0_sel:WORD_1 src1_sel:DWORD
	v_lshrrev_b32_sdwa v4, s73, v88 dst_sel:DWORD dst_unused:UNUSED_PAD src0_sel:DWORD src1_sel:WORD_0
	v_and_b32_e32 v15, s63, v4
	v_mad_u32_u24 v4, v15, 20, v75
	; wave barrier
	ds_read_b32 v89, v4 offset:1040
	v_and_b32_e32 v4, 1, v15
	v_add_co_u32_e32 v16, vcc, -1, v4
	v_addc_co_u32_e64 v18, s[36:37], 0, -1, vcc
	v_cmp_ne_u32_e32 vcc, 0, v4
	v_xor_b32_e32 v4, vcc_hi, v18
	v_and_b32_e32 v18, exec_hi, v4
	v_lshlrev_b32_e32 v4, 30, v15
	v_xor_b32_e32 v16, vcc_lo, v16
	v_cmp_gt_i64_e32 vcc, 0, v[3:4]
	v_not_b32_e32 v4, v4
	v_ashrrev_i32_e32 v4, 31, v4
	v_and_b32_e32 v16, exec_lo, v16
	v_xor_b32_e32 v91, vcc_hi, v4
	v_xor_b32_e32 v4, vcc_lo, v4
	v_and_b32_e32 v16, v16, v4
	v_lshlrev_b32_e32 v4, 29, v15
	v_cmp_gt_i64_e32 vcc, 0, v[3:4]
	v_not_b32_e32 v4, v4
	v_ashrrev_i32_e32 v4, 31, v4
	v_and_b32_e32 v18, v18, v91
	v_xor_b32_e32 v91, vcc_hi, v4
	v_xor_b32_e32 v4, vcc_lo, v4
	v_and_b32_e32 v16, v16, v4
	v_lshlrev_b32_e32 v4, 28, v15
	v_cmp_gt_i64_e32 vcc, 0, v[3:4]
	v_not_b32_e32 v4, v4
	v_ashrrev_i32_e32 v4, 31, v4
	v_and_b32_e32 v18, v18, v91
	;; [unrolled: 8-line block ×5, first 2 shown]
	v_xor_b32_e32 v91, vcc_hi, v4
	v_xor_b32_e32 v4, vcc_lo, v4
	v_and_b32_e32 v18, v18, v91
	v_and_b32_e32 v91, v16, v4
	v_lshlrev_b32_e32 v4, 24, v15
	v_cmp_gt_i64_e32 vcc, 0, v[3:4]
	v_not_b32_e32 v4, v4
	v_ashrrev_i32_e32 v4, 31, v4
	v_mul_u32_u24_e32 v17, 20, v15
	v_xor_b32_e32 v15, vcc_hi, v4
	v_xor_b32_e32 v4, vcc_lo, v4
	v_and_b32_e32 v16, v18, v15
	v_and_b32_e32 v15, v91, v4
	v_mbcnt_lo_u32_b32 v4, v15, 0
	v_mbcnt_hi_u32_b32 v4, v16, v4
	v_cmp_ne_u64_e32 vcc, 0, v[15:16]
	v_cmp_eq_u32_e64 s[36:37], 0, v4
	s_and_b64 s[38:39], vcc, s[36:37]
	v_add_u32_e32 v91, v75, v17
	; wave barrier
	s_and_saveexec_b64 s[36:37], s[38:39]
	s_cbranch_execz .LBB1048_376
; %bb.375:                              ;   in Loop: Header=BB1048_358 Depth=2
	v_bcnt_u32_b32 v15, v15, 0
	v_bcnt_u32_b32 v15, v16, v15
	s_waitcnt lgkmcnt(0)
	v_add_u32_e32 v15, v89, v15
	ds_write_b32 v91, v15 offset:1040
.LBB1048_376:                           ;   in Loop: Header=BB1048_358 Depth=2
	s_or_b64 exec, exec, s[36:37]
	; wave barrier
	s_waitcnt lgkmcnt(0)
	s_barrier
	ds_read2_b32 v[17:18], v56 offset1:1
	ds_read2_b32 v[15:16], v57 offset1:1
	ds_read_b32 v92, v30 offset:1056
	s_waitcnt lgkmcnt(1)
	v_add3_u32 v93, v18, v17, v15
	s_waitcnt lgkmcnt(0)
	v_add3_u32 v92, v93, v16, v92
	s_nop 1
	v_mov_b32_dpp v93, v92 row_shr:1 row_mask:0xf bank_mask:0xf
	v_cndmask_b32_e64 v93, v93, 0, s[16:17]
	v_add_u32_e32 v92, v93, v92
	s_nop 1
	v_mov_b32_dpp v93, v92 row_shr:2 row_mask:0xf bank_mask:0xf
	v_cndmask_b32_e64 v93, 0, v93, s[18:19]
	v_add_u32_e32 v92, v92, v93
	;; [unrolled: 4-line block ×4, first 2 shown]
	s_nop 1
	v_mov_b32_dpp v93, v92 row_bcast:15 row_mask:0xf bank_mask:0xf
	v_cndmask_b32_e64 v93, v93, 0, s[24:25]
	v_add_u32_e32 v92, v92, v93
	s_nop 1
	v_mov_b32_dpp v93, v92 row_bcast:31 row_mask:0xf bank_mask:0xf
	v_cndmask_b32_e64 v93, 0, v93, s[26:27]
	v_add_u32_e32 v92, v92, v93
	s_and_saveexec_b64 s[36:37], s[6:7]
; %bb.377:                              ;   in Loop: Header=BB1048_358 Depth=2
	ds_write_b32 v27, v92 offset:1024
; %bb.378:                              ;   in Loop: Header=BB1048_358 Depth=2
	s_or_b64 exec, exec, s[36:37]
	s_waitcnt lgkmcnt(0)
	s_barrier
	s_and_saveexec_b64 s[36:37], s[8:9]
	s_cbranch_execz .LBB1048_380
; %bb.379:                              ;   in Loop: Header=BB1048_358 Depth=2
	ds_read_b32 v93, v31 offset:1024
	s_waitcnt lgkmcnt(0)
	s_nop 0
	v_mov_b32_dpp v94, v93 row_shr:1 row_mask:0xf bank_mask:0xf
	v_cndmask_b32_e64 v94, v94, 0, s[30:31]
	v_add_u32_e32 v93, v94, v93
	s_nop 1
	v_mov_b32_dpp v94, v93 row_shr:2 row_mask:0xf bank_mask:0xf
	v_cndmask_b32_e64 v94, 0, v94, s[34:35]
	v_add_u32_e32 v93, v93, v94
	ds_write_b32 v31, v93 offset:1024
.LBB1048_380:                           ;   in Loop: Header=BB1048_358 Depth=2
	s_or_b64 exec, exec, s[36:37]
	v_mov_b32_e32 v93, 0
	s_waitcnt lgkmcnt(0)
	s_barrier
	s_and_saveexec_b64 s[36:37], s[10:11]
; %bb.381:                              ;   in Loop: Header=BB1048_358 Depth=2
	ds_read_b32 v93, v27 offset:1020
; %bb.382:                              ;   in Loop: Header=BB1048_358 Depth=2
	s_or_b64 exec, exec, s[36:37]
	s_waitcnt lgkmcnt(0)
	v_add_u32_e32 v92, v93, v92
	ds_bpermute_b32 v92, v68, v92
	s_waitcnt lgkmcnt(0)
	v_cndmask_b32_e64 v92, v92, v93, s[28:29]
	v_cndmask_b32_e64 v92, v92, 0, s[12:13]
	v_add_u32_e32 v17, v92, v17
	v_add_u32_e32 v18, v17, v18
	;; [unrolled: 1-line block ×4, first 2 shown]
	ds_write2_b32 v56, v92, v17 offset1:1
	ds_write2_b32 v57, v18, v15 offset1:1
	ds_write_b32 v30, v16 offset:1056
	s_waitcnt lgkmcnt(0)
	s_barrier
	ds_read_b32 v15, v82 offset:1040
	ds_read_b32 v16, v86 offset:1040
	;; [unrolled: 1-line block ×5, first 2 shown]
	v_mov_b32_e32 v82, 0x400
	s_and_saveexec_b64 s[36:37], s[14:15]
; %bb.383:                              ;   in Loop: Header=BB1048_358 Depth=2
	ds_read_b32 v82, v30 offset:1060
; %bb.384:                              ;   in Loop: Header=BB1048_358 Depth=2
	s_or_b64 exec, exec, s[36:37]
	s_waitcnt lgkmcnt(0)
	s_barrier
	s_and_saveexec_b64 s[36:37], s[4:5]
	s_cbranch_execz .LBB1048_386
; %bb.385:                              ;   in Loop: Header=BB1048_358 Depth=2
	ds_read_b32 v90, v19
	s_waitcnt lgkmcnt(0)
	v_sub_u32_e32 v86, v90, v86
	ds_write_b32 v19, v86
.LBB1048_386:                           ;   in Loop: Header=BB1048_358 Depth=2
	s_or_b64 exec, exec, s[36:37]
	v_add_u32_e32 v86, v15, v79
	v_add3_u32 v83, v83, v81, v16
	v_add3_u32 v81, v87, v85, v17
	;; [unrolled: 1-line block ×3, first 2 shown]
	v_lshlrev_b32_e32 v16, 1, v86
	ds_write_b16 v16, v6 offset:1024
	v_lshlrev_b32_e32 v15, 1, v83
	v_lshlrev_b32_e32 v6, 1, v81
	;; [unrolled: 1-line block ×3, first 2 shown]
	v_cmp_lt_u32_e32 vcc, v0, v78
	ds_write_b16 v15, v80 offset:1024
	ds_write_b16 v6, v84 offset:1024
	;; [unrolled: 1-line block ×3, first 2 shown]
	s_waitcnt lgkmcnt(0)
	s_barrier
	s_and_saveexec_b64 s[38:39], vcc
	s_cbranch_execnz .LBB1048_407
; %bb.387:                              ;   in Loop: Header=BB1048_358 Depth=2
	s_or_b64 exec, exec, s[38:39]
	v_cmp_lt_u32_e64 s[36:37], v20, v78
	s_and_saveexec_b64 s[40:41], s[36:37]
	s_cbranch_execnz .LBB1048_408
.LBB1048_388:                           ;   in Loop: Header=BB1048_358 Depth=2
	s_or_b64 exec, exec, s[40:41]
	v_cmp_lt_u32_e64 s[38:39], v21, v78
	s_and_saveexec_b64 s[42:43], s[38:39]
	s_cbranch_execnz .LBB1048_409
.LBB1048_389:                           ;   in Loop: Header=BB1048_358 Depth=2
	s_or_b64 exec, exec, s[42:43]
	v_cmp_lt_u32_e64 s[40:41], v22, v78
	s_and_saveexec_b64 s[56:57], s[40:41]
	s_cbranch_execz .LBB1048_391
.LBB1048_390:                           ;   in Loop: Header=BB1048_358 Depth=2
	ds_read_u16 v17, v36 offset:2560
	v_mov_b32_e32 v84, s69
	s_waitcnt lgkmcnt(0)
	v_lshrrev_b32_sdwa v18, s73, v17 dst_sel:DWORD dst_unused:UNUSED_PAD src0_sel:DWORD src1_sel:WORD_0
	v_and_b32_e32 v18, s63, v18
	v_lshlrev_b32_e32 v18, 2, v18
	ds_read_b32 v80, v18
	v_mov_b32_e32 v18, v3
	v_xor_b32_e32 v85, 0xffff8000, v17
	s_waitcnt lgkmcnt(0)
	v_add_u32_e32 v17, v80, v22
	v_lshlrev_b64 v[17:18], 1, v[17:18]
	v_add_co_u32_e64 v17, s[42:43], s68, v17
	v_addc_co_u32_e64 v18, s[42:43], v84, v18, s[42:43]
	global_store_short v[17:18], v85, off
.LBB1048_391:                           ;   in Loop: Header=BB1048_358 Depth=2
	s_or_b64 exec, exec, s[56:57]
	s_lshl_b64 s[42:43], s[46:47], 3
	v_mov_b32_e32 v18, s43
	v_add_co_u32_e64 v17, s[42:43], s42, v69
	v_addc_co_u32_e64 v18, s[42:43], v70, v18, s[42:43]
	v_cmp_lt_u32_e64 s[42:43], v51, v78
	s_and_saveexec_b64 s[56:57], s[42:43]
	s_xor_b64 s[42:43], exec, s[56:57]
	s_cbranch_execnz .LBB1048_410
; %bb.392:                              ;   in Loop: Header=BB1048_358 Depth=2
	s_or_b64 exec, exec, s[42:43]
	v_cmp_lt_u32_e64 s[42:43], v64, v78
	s_and_saveexec_b64 s[56:57], s[42:43]
	s_cbranch_execnz .LBB1048_411
.LBB1048_393:                           ;   in Loop: Header=BB1048_358 Depth=2
	s_or_b64 exec, exec, s[56:57]
	v_cmp_lt_u32_e64 s[42:43], v65, v78
	s_and_saveexec_b64 s[56:57], s[42:43]
	s_cbranch_execnz .LBB1048_412
.LBB1048_394:                           ;   in Loop: Header=BB1048_358 Depth=2
	s_or_b64 exec, exec, s[56:57]
	v_cmp_lt_u32_e64 s[42:43], v66, v78
	s_and_saveexec_b64 s[56:57], s[42:43]
	s_cbranch_execnz .LBB1048_413
.LBB1048_395:                           ;   in Loop: Header=BB1048_358 Depth=2
	s_or_b64 exec, exec, s[56:57]
	s_and_saveexec_b64 s[42:43], vcc
	s_cbranch_execnz .LBB1048_414
.LBB1048_396:                           ;   in Loop: Header=BB1048_358 Depth=2
	s_or_b64 exec, exec, s[42:43]
	s_and_saveexec_b64 s[42:43], s[36:37]
	s_cbranch_execnz .LBB1048_415
.LBB1048_397:                           ;   in Loop: Header=BB1048_358 Depth=2
	s_or_b64 exec, exec, s[42:43]
	s_and_saveexec_b64 s[42:43], s[38:39]
	s_cbranch_execnz .LBB1048_416
.LBB1048_398:                           ;   in Loop: Header=BB1048_358 Depth=2
	s_or_b64 exec, exec, s[42:43]
	s_and_saveexec_b64 s[42:43], s[40:41]
	s_cbranch_execz .LBB1048_400
.LBB1048_399:                           ;   in Loop: Header=BB1048_358 Depth=2
	ds_read_u16 v17, v36 offset:2560
	s_waitcnt lgkmcnt(0)
	v_lshrrev_b32_e32 v17, s73, v17
	v_and_b32_e32 v73, s63, v17
.LBB1048_400:                           ;   in Loop: Header=BB1048_358 Depth=2
	s_or_b64 exec, exec, s[42:43]
	v_mad_u64_u32 v[16:17], s[42:43], v86, 6, v[16:17]
	s_waitcnt vmcnt(0)
	v_mad_u64_u32 v[80:81], s[42:43], v81, 6, v[6:7]
	v_mad_u64_u32 v[17:18], s[42:43], v83, 6, v[15:16]
	;; [unrolled: 1-line block ×3, first 2 shown]
	v_add_u32_e32 v4, v36, v54
	s_barrier
	ds_write_b64 v16, v[13:14] offset:1024
	ds_write_b64 v17, v[11:12] offset:1024
	;; [unrolled: 1-line block ×4, first 2 shown]
	s_waitcnt lgkmcnt(0)
	s_barrier
	s_and_saveexec_b64 s[42:43], vcc
	s_cbranch_execnz .LBB1048_417
; %bb.401:                              ;   in Loop: Header=BB1048_358 Depth=2
	s_or_b64 exec, exec, s[42:43]
	s_and_saveexec_b64 s[42:43], s[36:37]
	s_cbranch_execnz .LBB1048_418
.LBB1048_402:                           ;   in Loop: Header=BB1048_358 Depth=2
	s_or_b64 exec, exec, s[42:43]
	s_and_saveexec_b64 s[36:37], s[38:39]
	s_cbranch_execnz .LBB1048_419
.LBB1048_403:                           ;   in Loop: Header=BB1048_358 Depth=2
	s_or_b64 exec, exec, s[36:37]
	s_and_saveexec_b64 s[36:37], s[40:41]
	s_cbranch_execz .LBB1048_405
.LBB1048_404:                           ;   in Loop: Header=BB1048_358 Depth=2
	v_lshlrev_b32_e32 v6, 2, v73
	ds_read_b32 v6, v6
	ds_read_b64 v[15:16], v4 offset:7168
	v_mov_b32_e32 v18, v3
	v_mov_b32_e32 v4, s55
	s_waitcnt lgkmcnt(1)
	v_add_u32_e32 v17, v6, v22
	v_lshlrev_b64 v[17:18], 3, v[17:18]
	v_add_co_u32_e32 v17, vcc, s54, v17
	v_addc_co_u32_e32 v18, vcc, v4, v18, vcc
	s_waitcnt lgkmcnt(0)
	global_store_dwordx2 v[17:18], v[15:16], off
.LBB1048_405:                           ;   in Loop: Header=BB1048_358 Depth=2
	s_or_b64 exec, exec, s[36:37]
	s_waitcnt vmcnt(0)
	s_barrier
	s_and_saveexec_b64 s[36:37], s[4:5]
	s_cbranch_execz .LBB1048_357
; %bb.406:                              ;   in Loop: Header=BB1048_358 Depth=2
	ds_read_b32 v4, v19
	s_waitcnt lgkmcnt(0)
	v_add_u32_e32 v4, v4, v82
	ds_write_b32 v19, v4
	s_branch .LBB1048_357
.LBB1048_407:                           ;   in Loop: Header=BB1048_358 Depth=2
	ds_read_u16 v17, v36 offset:1024
	v_mov_b32_e32 v84, s69
	s_waitcnt lgkmcnt(0)
	v_lshrrev_b32_sdwa v18, s73, v17 dst_sel:DWORD dst_unused:UNUSED_PAD src0_sel:DWORD src1_sel:WORD_0
	v_and_b32_e32 v18, s63, v18
	v_lshlrev_b32_e32 v18, 2, v18
	ds_read_b32 v80, v18
	v_mov_b32_e32 v18, v3
	v_xor_b32_e32 v85, 0xffff8000, v17
	s_waitcnt lgkmcnt(0)
	v_add_u32_e32 v17, v80, v0
	v_lshlrev_b64 v[17:18], 1, v[17:18]
	v_add_co_u32_e64 v17, s[36:37], s68, v17
	v_addc_co_u32_e64 v18, s[36:37], v84, v18, s[36:37]
	global_store_short v[17:18], v85, off
	s_or_b64 exec, exec, s[38:39]
	v_cmp_lt_u32_e64 s[36:37], v20, v78
	s_and_saveexec_b64 s[40:41], s[36:37]
	s_cbranch_execz .LBB1048_388
.LBB1048_408:                           ;   in Loop: Header=BB1048_358 Depth=2
	ds_read_u16 v17, v36 offset:1536
	v_mov_b32_e32 v84, s69
	s_waitcnt lgkmcnt(0)
	v_lshrrev_b32_sdwa v18, s73, v17 dst_sel:DWORD dst_unused:UNUSED_PAD src0_sel:DWORD src1_sel:WORD_0
	v_and_b32_e32 v18, s63, v18
	v_lshlrev_b32_e32 v18, 2, v18
	ds_read_b32 v80, v18
	v_mov_b32_e32 v18, v3
	v_xor_b32_e32 v85, 0xffff8000, v17
	s_waitcnt lgkmcnt(0)
	v_add_u32_e32 v17, v80, v20
	v_lshlrev_b64 v[17:18], 1, v[17:18]
	v_add_co_u32_e64 v17, s[38:39], s68, v17
	v_addc_co_u32_e64 v18, s[38:39], v84, v18, s[38:39]
	global_store_short v[17:18], v85, off
	s_or_b64 exec, exec, s[40:41]
	v_cmp_lt_u32_e64 s[38:39], v21, v78
	s_and_saveexec_b64 s[42:43], s[38:39]
	s_cbranch_execz .LBB1048_389
.LBB1048_409:                           ;   in Loop: Header=BB1048_358 Depth=2
	ds_read_u16 v17, v36 offset:2048
	v_mov_b32_e32 v84, s69
	s_waitcnt lgkmcnt(0)
	v_lshrrev_b32_sdwa v18, s73, v17 dst_sel:DWORD dst_unused:UNUSED_PAD src0_sel:DWORD src1_sel:WORD_0
	v_and_b32_e32 v18, s63, v18
	v_lshlrev_b32_e32 v18, 2, v18
	ds_read_b32 v80, v18
	v_mov_b32_e32 v18, v3
	v_xor_b32_e32 v85, 0xffff8000, v17
	s_waitcnt lgkmcnt(0)
	v_add_u32_e32 v17, v80, v21
	v_lshlrev_b64 v[17:18], 1, v[17:18]
	v_add_co_u32_e64 v17, s[40:41], s68, v17
	v_addc_co_u32_e64 v18, s[40:41], v84, v18, s[40:41]
	global_store_short v[17:18], v85, off
	s_or_b64 exec, exec, s[42:43]
	v_cmp_lt_u32_e64 s[40:41], v22, v78
	s_and_saveexec_b64 s[56:57], s[40:41]
	s_cbranch_execnz .LBB1048_390
	s_branch .LBB1048_391
.LBB1048_410:                           ;   in Loop: Header=BB1048_358 Depth=2
	global_load_dwordx2 v[13:14], v[17:18], off
	s_or_b64 exec, exec, s[42:43]
	v_cmp_lt_u32_e64 s[42:43], v64, v78
	s_and_saveexec_b64 s[56:57], s[42:43]
	s_cbranch_execz .LBB1048_393
.LBB1048_411:                           ;   in Loop: Header=BB1048_358 Depth=2
	global_load_dwordx2 v[11:12], v[17:18], off offset:512
	s_or_b64 exec, exec, s[56:57]
	v_cmp_lt_u32_e64 s[42:43], v65, v78
	s_and_saveexec_b64 s[56:57], s[42:43]
	s_cbranch_execz .LBB1048_394
.LBB1048_412:                           ;   in Loop: Header=BB1048_358 Depth=2
	global_load_dwordx2 v[9:10], v[17:18], off offset:1024
	s_or_b64 exec, exec, s[56:57]
	v_cmp_lt_u32_e64 s[42:43], v66, v78
	s_and_saveexec_b64 s[56:57], s[42:43]
	s_cbranch_execz .LBB1048_395
.LBB1048_413:                           ;   in Loop: Header=BB1048_358 Depth=2
	global_load_dwordx2 v[7:8], v[17:18], off offset:1536
	s_or_b64 exec, exec, s[56:57]
	s_and_saveexec_b64 s[42:43], vcc
	s_cbranch_execz .LBB1048_396
.LBB1048_414:                           ;   in Loop: Header=BB1048_358 Depth=2
	ds_read_u16 v17, v36 offset:1024
	s_waitcnt lgkmcnt(0)
	v_lshrrev_b32_e32 v17, s73, v17
	v_and_b32_e32 v77, s63, v17
	s_or_b64 exec, exec, s[42:43]
	s_and_saveexec_b64 s[42:43], s[36:37]
	s_cbranch_execz .LBB1048_397
.LBB1048_415:                           ;   in Loop: Header=BB1048_358 Depth=2
	ds_read_u16 v17, v36 offset:1536
	s_waitcnt lgkmcnt(0)
	v_lshrrev_b32_e32 v17, s73, v17
	v_and_b32_e32 v76, s63, v17
	s_or_b64 exec, exec, s[42:43]
	s_and_saveexec_b64 s[42:43], s[38:39]
	s_cbranch_execz .LBB1048_398
.LBB1048_416:                           ;   in Loop: Header=BB1048_358 Depth=2
	ds_read_u16 v17, v36 offset:2048
	s_waitcnt lgkmcnt(0)
	v_lshrrev_b32_e32 v17, s73, v17
	v_and_b32_e32 v74, s63, v17
	s_or_b64 exec, exec, s[42:43]
	s_and_saveexec_b64 s[42:43], s[40:41]
	s_cbranch_execnz .LBB1048_399
	s_branch .LBB1048_400
.LBB1048_417:                           ;   in Loop: Header=BB1048_358 Depth=2
	v_lshlrev_b32_e32 v6, 2, v77
	ds_read_b32 v6, v6
	ds_read_b64 v[15:16], v4 offset:1024
	v_mov_b32_e32 v18, v3
	v_mov_b32_e32 v78, s55
	s_waitcnt lgkmcnt(1)
	v_add_u32_e32 v17, v6, v0
	v_lshlrev_b64 v[17:18], 3, v[17:18]
	v_add_co_u32_e32 v17, vcc, s54, v17
	v_addc_co_u32_e32 v18, vcc, v78, v18, vcc
	s_waitcnt lgkmcnt(0)
	global_store_dwordx2 v[17:18], v[15:16], off
	s_or_b64 exec, exec, s[42:43]
	s_and_saveexec_b64 s[42:43], s[36:37]
	s_cbranch_execz .LBB1048_402
.LBB1048_418:                           ;   in Loop: Header=BB1048_358 Depth=2
	v_lshlrev_b32_e32 v6, 2, v76
	ds_read_b32 v6, v6
	ds_read_b64 v[15:16], v4 offset:3072
	v_mov_b32_e32 v18, v3
	v_mov_b32_e32 v78, s55
	s_waitcnt lgkmcnt(1)
	v_add_u32_e32 v17, v6, v20
	v_lshlrev_b64 v[17:18], 3, v[17:18]
	v_add_co_u32_e32 v17, vcc, s54, v17
	v_addc_co_u32_e32 v18, vcc, v78, v18, vcc
	s_waitcnt lgkmcnt(0)
	global_store_dwordx2 v[17:18], v[15:16], off
	s_or_b64 exec, exec, s[42:43]
	s_and_saveexec_b64 s[36:37], s[38:39]
	s_cbranch_execz .LBB1048_403
.LBB1048_419:                           ;   in Loop: Header=BB1048_358 Depth=2
	v_lshlrev_b32_e32 v6, 2, v74
	ds_read_b32 v6, v6
	ds_read_b64 v[15:16], v4 offset:5120
	v_mov_b32_e32 v18, v3
	v_mov_b32_e32 v78, s55
	s_waitcnt lgkmcnt(1)
	v_add_u32_e32 v17, v6, v21
	v_lshlrev_b64 v[17:18], 3, v[17:18]
	v_add_co_u32_e32 v17, vcc, s54, v17
	v_addc_co_u32_e32 v18, vcc, v78, v18, vcc
	s_waitcnt lgkmcnt(0)
	global_store_dwordx2 v[17:18], v[15:16], off
	s_or_b64 exec, exec, s[36:37]
	s_and_saveexec_b64 s[36:37], s[40:41]
	s_cbranch_execnz .LBB1048_404
	s_branch .LBB1048_405
.LBB1048_420:                           ;   in Loop: Header=BB1048_358 Depth=2
	global_load_ushort v4, v[17:18], off
	v_mov_b32_e32 v16, v5
	s_waitcnt vmcnt(0)
	v_perm_b32 v15, s61, v4, v67
	s_or_b64 exec, exec, s[36:37]
	v_cmp_gt_u32_e32 vcc, s70, v64
	s_and_saveexec_b64 s[36:37], vcc
	s_cbranch_execz .LBB1048_363
.LBB1048_421:                           ;   in Loop: Header=BB1048_358 Depth=2
	global_load_ushort v4, v[17:18], off offset:128
	s_waitcnt vmcnt(0)
	v_perm_b32 v15, v4, v15, s58
	s_or_b64 exec, exec, s[36:37]
	v_cmp_gt_u32_e32 vcc, s70, v65
	s_and_saveexec_b64 s[36:37], vcc
	s_cbranch_execnz .LBB1048_364
	s_branch .LBB1048_365
.LBB1048_422:
	s_endpgm
	.section	.rodata,"a",@progbits
	.p2align	6, 0x0
	.amdhsa_kernel _ZN7rocprim17ROCPRIM_400000_NS6detail17trampoline_kernelINS0_14default_configENS1_36segmented_radix_sort_config_selectorIslEEZNS1_25segmented_radix_sort_implIS3_Lb0EPKsPsPKlPlN2at6native12_GLOBAL__N_18offset_tEEE10hipError_tPvRmT1_PNSt15iterator_traitsISK_E10value_typeET2_T3_PNSL_ISQ_E10value_typeET4_jRbjT5_SW_jjP12ihipStream_tbEUlT_E2_NS1_11comp_targetILNS1_3genE2ELNS1_11target_archE906ELNS1_3gpuE6ELNS1_3repE0EEENS1_30default_config_static_selectorELNS0_4arch9wavefront6targetE1EEEvSK_
		.amdhsa_group_segment_fixed_size 10256
		.amdhsa_private_segment_fixed_size 0
		.amdhsa_kernarg_size 336
		.amdhsa_user_sgpr_count 6
		.amdhsa_user_sgpr_private_segment_buffer 1
		.amdhsa_user_sgpr_dispatch_ptr 0
		.amdhsa_user_sgpr_queue_ptr 0
		.amdhsa_user_sgpr_kernarg_segment_ptr 1
		.amdhsa_user_sgpr_dispatch_id 0
		.amdhsa_user_sgpr_flat_scratch_init 0
		.amdhsa_user_sgpr_private_segment_size 0
		.amdhsa_uses_dynamic_stack 0
		.amdhsa_system_sgpr_private_segment_wavefront_offset 0
		.amdhsa_system_sgpr_workgroup_id_x 1
		.amdhsa_system_sgpr_workgroup_id_y 1
		.amdhsa_system_sgpr_workgroup_id_z 0
		.amdhsa_system_sgpr_workgroup_info 0
		.amdhsa_system_vgpr_workitem_id 2
		.amdhsa_next_free_vgpr 95
		.amdhsa_next_free_sgpr 93
		.amdhsa_reserve_vcc 1
		.amdhsa_reserve_flat_scratch 0
		.amdhsa_float_round_mode_32 0
		.amdhsa_float_round_mode_16_64 0
		.amdhsa_float_denorm_mode_32 3
		.amdhsa_float_denorm_mode_16_64 3
		.amdhsa_dx10_clamp 1
		.amdhsa_ieee_mode 1
		.amdhsa_fp16_overflow 0
		.amdhsa_exception_fp_ieee_invalid_op 0
		.amdhsa_exception_fp_denorm_src 0
		.amdhsa_exception_fp_ieee_div_zero 0
		.amdhsa_exception_fp_ieee_overflow 0
		.amdhsa_exception_fp_ieee_underflow 0
		.amdhsa_exception_fp_ieee_inexact 0
		.amdhsa_exception_int_div_zero 0
	.end_amdhsa_kernel
	.section	.text._ZN7rocprim17ROCPRIM_400000_NS6detail17trampoline_kernelINS0_14default_configENS1_36segmented_radix_sort_config_selectorIslEEZNS1_25segmented_radix_sort_implIS3_Lb0EPKsPsPKlPlN2at6native12_GLOBAL__N_18offset_tEEE10hipError_tPvRmT1_PNSt15iterator_traitsISK_E10value_typeET2_T3_PNSL_ISQ_E10value_typeET4_jRbjT5_SW_jjP12ihipStream_tbEUlT_E2_NS1_11comp_targetILNS1_3genE2ELNS1_11target_archE906ELNS1_3gpuE6ELNS1_3repE0EEENS1_30default_config_static_selectorELNS0_4arch9wavefront6targetE1EEEvSK_,"axG",@progbits,_ZN7rocprim17ROCPRIM_400000_NS6detail17trampoline_kernelINS0_14default_configENS1_36segmented_radix_sort_config_selectorIslEEZNS1_25segmented_radix_sort_implIS3_Lb0EPKsPsPKlPlN2at6native12_GLOBAL__N_18offset_tEEE10hipError_tPvRmT1_PNSt15iterator_traitsISK_E10value_typeET2_T3_PNSL_ISQ_E10value_typeET4_jRbjT5_SW_jjP12ihipStream_tbEUlT_E2_NS1_11comp_targetILNS1_3genE2ELNS1_11target_archE906ELNS1_3gpuE6ELNS1_3repE0EEENS1_30default_config_static_selectorELNS0_4arch9wavefront6targetE1EEEvSK_,comdat
.Lfunc_end1048:
	.size	_ZN7rocprim17ROCPRIM_400000_NS6detail17trampoline_kernelINS0_14default_configENS1_36segmented_radix_sort_config_selectorIslEEZNS1_25segmented_radix_sort_implIS3_Lb0EPKsPsPKlPlN2at6native12_GLOBAL__N_18offset_tEEE10hipError_tPvRmT1_PNSt15iterator_traitsISK_E10value_typeET2_T3_PNSL_ISQ_E10value_typeET4_jRbjT5_SW_jjP12ihipStream_tbEUlT_E2_NS1_11comp_targetILNS1_3genE2ELNS1_11target_archE906ELNS1_3gpuE6ELNS1_3repE0EEENS1_30default_config_static_selectorELNS0_4arch9wavefront6targetE1EEEvSK_, .Lfunc_end1048-_ZN7rocprim17ROCPRIM_400000_NS6detail17trampoline_kernelINS0_14default_configENS1_36segmented_radix_sort_config_selectorIslEEZNS1_25segmented_radix_sort_implIS3_Lb0EPKsPsPKlPlN2at6native12_GLOBAL__N_18offset_tEEE10hipError_tPvRmT1_PNSt15iterator_traitsISK_E10value_typeET2_T3_PNSL_ISQ_E10value_typeET4_jRbjT5_SW_jjP12ihipStream_tbEUlT_E2_NS1_11comp_targetILNS1_3genE2ELNS1_11target_archE906ELNS1_3gpuE6ELNS1_3repE0EEENS1_30default_config_static_selectorELNS0_4arch9wavefront6targetE1EEEvSK_
                                        ; -- End function
	.set _ZN7rocprim17ROCPRIM_400000_NS6detail17trampoline_kernelINS0_14default_configENS1_36segmented_radix_sort_config_selectorIslEEZNS1_25segmented_radix_sort_implIS3_Lb0EPKsPsPKlPlN2at6native12_GLOBAL__N_18offset_tEEE10hipError_tPvRmT1_PNSt15iterator_traitsISK_E10value_typeET2_T3_PNSL_ISQ_E10value_typeET4_jRbjT5_SW_jjP12ihipStream_tbEUlT_E2_NS1_11comp_targetILNS1_3genE2ELNS1_11target_archE906ELNS1_3gpuE6ELNS1_3repE0EEENS1_30default_config_static_selectorELNS0_4arch9wavefront6targetE1EEEvSK_.num_vgpr, max(95, .L_ZN7rocprim17ROCPRIM_400000_NS6detail26segmented_warp_sort_helperINS1_20WarpSortHelperConfigILj8ELj4ELj256EEEslLi256ELb0EvE4sortIPKsPsPKlPlEEvT_T0_T1_T2_jjjjRNS5_12storage_typeE.num_vgpr, .L_ZN7rocprim17ROCPRIM_400000_NS6detail40segmented_radix_sort_single_block_helperIslLj256ELj4ELb0EE4sortIPKsPsPKlPlEEbT_T0_T1_T2_jjjjRNS3_12storage_typeE.num_vgpr)
	.set _ZN7rocprim17ROCPRIM_400000_NS6detail17trampoline_kernelINS0_14default_configENS1_36segmented_radix_sort_config_selectorIslEEZNS1_25segmented_radix_sort_implIS3_Lb0EPKsPsPKlPlN2at6native12_GLOBAL__N_18offset_tEEE10hipError_tPvRmT1_PNSt15iterator_traitsISK_E10value_typeET2_T3_PNSL_ISQ_E10value_typeET4_jRbjT5_SW_jjP12ihipStream_tbEUlT_E2_NS1_11comp_targetILNS1_3genE2ELNS1_11target_archE906ELNS1_3gpuE6ELNS1_3repE0EEENS1_30default_config_static_selectorELNS0_4arch9wavefront6targetE1EEEvSK_.num_agpr, max(0, .L_ZN7rocprim17ROCPRIM_400000_NS6detail26segmented_warp_sort_helperINS1_20WarpSortHelperConfigILj8ELj4ELj256EEEslLi256ELb0EvE4sortIPKsPsPKlPlEEvT_T0_T1_T2_jjjjRNS5_12storage_typeE.num_agpr, .L_ZN7rocprim17ROCPRIM_400000_NS6detail40segmented_radix_sort_single_block_helperIslLj256ELj4ELb0EE4sortIPKsPsPKlPlEEbT_T0_T1_T2_jjjjRNS3_12storage_typeE.num_agpr)
	.set _ZN7rocprim17ROCPRIM_400000_NS6detail17trampoline_kernelINS0_14default_configENS1_36segmented_radix_sort_config_selectorIslEEZNS1_25segmented_radix_sort_implIS3_Lb0EPKsPsPKlPlN2at6native12_GLOBAL__N_18offset_tEEE10hipError_tPvRmT1_PNSt15iterator_traitsISK_E10value_typeET2_T3_PNSL_ISQ_E10value_typeET4_jRbjT5_SW_jjP12ihipStream_tbEUlT_E2_NS1_11comp_targetILNS1_3genE2ELNS1_11target_archE906ELNS1_3gpuE6ELNS1_3repE0EEENS1_30default_config_static_selectorELNS0_4arch9wavefront6targetE1EEEvSK_.numbered_sgpr, max(77, .L_ZN7rocprim17ROCPRIM_400000_NS6detail26segmented_warp_sort_helperINS1_20WarpSortHelperConfigILj8ELj4ELj256EEEslLi256ELb0EvE4sortIPKsPsPKlPlEEvT_T0_T1_T2_jjjjRNS5_12storage_typeE.numbered_sgpr, .L_ZN7rocprim17ROCPRIM_400000_NS6detail40segmented_radix_sort_single_block_helperIslLj256ELj4ELb0EE4sortIPKsPsPKlPlEEbT_T0_T1_T2_jjjjRNS3_12storage_typeE.numbered_sgpr)
	.set _ZN7rocprim17ROCPRIM_400000_NS6detail17trampoline_kernelINS0_14default_configENS1_36segmented_radix_sort_config_selectorIslEEZNS1_25segmented_radix_sort_implIS3_Lb0EPKsPsPKlPlN2at6native12_GLOBAL__N_18offset_tEEE10hipError_tPvRmT1_PNSt15iterator_traitsISK_E10value_typeET2_T3_PNSL_ISQ_E10value_typeET4_jRbjT5_SW_jjP12ihipStream_tbEUlT_E2_NS1_11comp_targetILNS1_3genE2ELNS1_11target_archE906ELNS1_3gpuE6ELNS1_3repE0EEENS1_30default_config_static_selectorELNS0_4arch9wavefront6targetE1EEEvSK_.num_named_barrier, max(0, .L_ZN7rocprim17ROCPRIM_400000_NS6detail26segmented_warp_sort_helperINS1_20WarpSortHelperConfigILj8ELj4ELj256EEEslLi256ELb0EvE4sortIPKsPsPKlPlEEvT_T0_T1_T2_jjjjRNS5_12storage_typeE.num_named_barrier, .L_ZN7rocprim17ROCPRIM_400000_NS6detail40segmented_radix_sort_single_block_helperIslLj256ELj4ELb0EE4sortIPKsPsPKlPlEEbT_T0_T1_T2_jjjjRNS3_12storage_typeE.num_named_barrier)
	.set _ZN7rocprim17ROCPRIM_400000_NS6detail17trampoline_kernelINS0_14default_configENS1_36segmented_radix_sort_config_selectorIslEEZNS1_25segmented_radix_sort_implIS3_Lb0EPKsPsPKlPlN2at6native12_GLOBAL__N_18offset_tEEE10hipError_tPvRmT1_PNSt15iterator_traitsISK_E10value_typeET2_T3_PNSL_ISQ_E10value_typeET4_jRbjT5_SW_jjP12ihipStream_tbEUlT_E2_NS1_11comp_targetILNS1_3genE2ELNS1_11target_archE906ELNS1_3gpuE6ELNS1_3repE0EEENS1_30default_config_static_selectorELNS0_4arch9wavefront6targetE1EEEvSK_.private_seg_size, 0+max(.L_ZN7rocprim17ROCPRIM_400000_NS6detail26segmented_warp_sort_helperINS1_20WarpSortHelperConfigILj8ELj4ELj256EEEslLi256ELb0EvE4sortIPKsPsPKlPlEEvT_T0_T1_T2_jjjjRNS5_12storage_typeE.private_seg_size, .L_ZN7rocprim17ROCPRIM_400000_NS6detail40segmented_radix_sort_single_block_helperIslLj256ELj4ELb0EE4sortIPKsPsPKlPlEEbT_T0_T1_T2_jjjjRNS3_12storage_typeE.private_seg_size)
	.set _ZN7rocprim17ROCPRIM_400000_NS6detail17trampoline_kernelINS0_14default_configENS1_36segmented_radix_sort_config_selectorIslEEZNS1_25segmented_radix_sort_implIS3_Lb0EPKsPsPKlPlN2at6native12_GLOBAL__N_18offset_tEEE10hipError_tPvRmT1_PNSt15iterator_traitsISK_E10value_typeET2_T3_PNSL_ISQ_E10value_typeET4_jRbjT5_SW_jjP12ihipStream_tbEUlT_E2_NS1_11comp_targetILNS1_3genE2ELNS1_11target_archE906ELNS1_3gpuE6ELNS1_3repE0EEENS1_30default_config_static_selectorELNS0_4arch9wavefront6targetE1EEEvSK_.uses_vcc, or(1, .L_ZN7rocprim17ROCPRIM_400000_NS6detail26segmented_warp_sort_helperINS1_20WarpSortHelperConfigILj8ELj4ELj256EEEslLi256ELb0EvE4sortIPKsPsPKlPlEEvT_T0_T1_T2_jjjjRNS5_12storage_typeE.uses_vcc, .L_ZN7rocprim17ROCPRIM_400000_NS6detail40segmented_radix_sort_single_block_helperIslLj256ELj4ELb0EE4sortIPKsPsPKlPlEEbT_T0_T1_T2_jjjjRNS3_12storage_typeE.uses_vcc)
	.set _ZN7rocprim17ROCPRIM_400000_NS6detail17trampoline_kernelINS0_14default_configENS1_36segmented_radix_sort_config_selectorIslEEZNS1_25segmented_radix_sort_implIS3_Lb0EPKsPsPKlPlN2at6native12_GLOBAL__N_18offset_tEEE10hipError_tPvRmT1_PNSt15iterator_traitsISK_E10value_typeET2_T3_PNSL_ISQ_E10value_typeET4_jRbjT5_SW_jjP12ihipStream_tbEUlT_E2_NS1_11comp_targetILNS1_3genE2ELNS1_11target_archE906ELNS1_3gpuE6ELNS1_3repE0EEENS1_30default_config_static_selectorELNS0_4arch9wavefront6targetE1EEEvSK_.uses_flat_scratch, or(0, .L_ZN7rocprim17ROCPRIM_400000_NS6detail26segmented_warp_sort_helperINS1_20WarpSortHelperConfigILj8ELj4ELj256EEEslLi256ELb0EvE4sortIPKsPsPKlPlEEvT_T0_T1_T2_jjjjRNS5_12storage_typeE.uses_flat_scratch, .L_ZN7rocprim17ROCPRIM_400000_NS6detail40segmented_radix_sort_single_block_helperIslLj256ELj4ELb0EE4sortIPKsPsPKlPlEEbT_T0_T1_T2_jjjjRNS3_12storage_typeE.uses_flat_scratch)
	.set _ZN7rocprim17ROCPRIM_400000_NS6detail17trampoline_kernelINS0_14default_configENS1_36segmented_radix_sort_config_selectorIslEEZNS1_25segmented_radix_sort_implIS3_Lb0EPKsPsPKlPlN2at6native12_GLOBAL__N_18offset_tEEE10hipError_tPvRmT1_PNSt15iterator_traitsISK_E10value_typeET2_T3_PNSL_ISQ_E10value_typeET4_jRbjT5_SW_jjP12ihipStream_tbEUlT_E2_NS1_11comp_targetILNS1_3genE2ELNS1_11target_archE906ELNS1_3gpuE6ELNS1_3repE0EEENS1_30default_config_static_selectorELNS0_4arch9wavefront6targetE1EEEvSK_.has_dyn_sized_stack, or(0, .L_ZN7rocprim17ROCPRIM_400000_NS6detail26segmented_warp_sort_helperINS1_20WarpSortHelperConfigILj8ELj4ELj256EEEslLi256ELb0EvE4sortIPKsPsPKlPlEEvT_T0_T1_T2_jjjjRNS5_12storage_typeE.has_dyn_sized_stack, .L_ZN7rocprim17ROCPRIM_400000_NS6detail40segmented_radix_sort_single_block_helperIslLj256ELj4ELb0EE4sortIPKsPsPKlPlEEbT_T0_T1_T2_jjjjRNS3_12storage_typeE.has_dyn_sized_stack)
	.set _ZN7rocprim17ROCPRIM_400000_NS6detail17trampoline_kernelINS0_14default_configENS1_36segmented_radix_sort_config_selectorIslEEZNS1_25segmented_radix_sort_implIS3_Lb0EPKsPsPKlPlN2at6native12_GLOBAL__N_18offset_tEEE10hipError_tPvRmT1_PNSt15iterator_traitsISK_E10value_typeET2_T3_PNSL_ISQ_E10value_typeET4_jRbjT5_SW_jjP12ihipStream_tbEUlT_E2_NS1_11comp_targetILNS1_3genE2ELNS1_11target_archE906ELNS1_3gpuE6ELNS1_3repE0EEENS1_30default_config_static_selectorELNS0_4arch9wavefront6targetE1EEEvSK_.has_recursion, or(0, .L_ZN7rocprim17ROCPRIM_400000_NS6detail26segmented_warp_sort_helperINS1_20WarpSortHelperConfigILj8ELj4ELj256EEEslLi256ELb0EvE4sortIPKsPsPKlPlEEvT_T0_T1_T2_jjjjRNS5_12storage_typeE.has_recursion, .L_ZN7rocprim17ROCPRIM_400000_NS6detail40segmented_radix_sort_single_block_helperIslLj256ELj4ELb0EE4sortIPKsPsPKlPlEEbT_T0_T1_T2_jjjjRNS3_12storage_typeE.has_recursion)
	.set _ZN7rocprim17ROCPRIM_400000_NS6detail17trampoline_kernelINS0_14default_configENS1_36segmented_radix_sort_config_selectorIslEEZNS1_25segmented_radix_sort_implIS3_Lb0EPKsPsPKlPlN2at6native12_GLOBAL__N_18offset_tEEE10hipError_tPvRmT1_PNSt15iterator_traitsISK_E10value_typeET2_T3_PNSL_ISQ_E10value_typeET4_jRbjT5_SW_jjP12ihipStream_tbEUlT_E2_NS1_11comp_targetILNS1_3genE2ELNS1_11target_archE906ELNS1_3gpuE6ELNS1_3repE0EEENS1_30default_config_static_selectorELNS0_4arch9wavefront6targetE1EEEvSK_.has_indirect_call, or(0, .L_ZN7rocprim17ROCPRIM_400000_NS6detail26segmented_warp_sort_helperINS1_20WarpSortHelperConfigILj8ELj4ELj256EEEslLi256ELb0EvE4sortIPKsPsPKlPlEEvT_T0_T1_T2_jjjjRNS5_12storage_typeE.has_indirect_call, .L_ZN7rocprim17ROCPRIM_400000_NS6detail40segmented_radix_sort_single_block_helperIslLj256ELj4ELb0EE4sortIPKsPsPKlPlEEbT_T0_T1_T2_jjjjRNS3_12storage_typeE.has_indirect_call)
	.section	.AMDGPU.csdata,"",@progbits
; Kernel info:
; codeLenInByte = 21792
; TotalNumSgprs: 81
; NumVgprs: 95
; ScratchSize: 0
; MemoryBound: 0
; FloatMode: 240
; IeeeMode: 1
; LDSByteSize: 10256 bytes/workgroup (compile time only)
; SGPRBlocks: 12
; VGPRBlocks: 23
; NumSGPRsForWavesPerEU: 97
; NumVGPRsForWavesPerEU: 95
; Occupancy: 2
; WaveLimiterHint : 1
; COMPUTE_PGM_RSRC2:SCRATCH_EN: 0
; COMPUTE_PGM_RSRC2:USER_SGPR: 6
; COMPUTE_PGM_RSRC2:TRAP_HANDLER: 0
; COMPUTE_PGM_RSRC2:TGID_X_EN: 1
; COMPUTE_PGM_RSRC2:TGID_Y_EN: 1
; COMPUTE_PGM_RSRC2:TGID_Z_EN: 0
; COMPUTE_PGM_RSRC2:TIDIG_COMP_CNT: 2
	.section	.text._ZN7rocprim17ROCPRIM_400000_NS6detail17trampoline_kernelINS0_14default_configENS1_36segmented_radix_sort_config_selectorIslEEZNS1_25segmented_radix_sort_implIS3_Lb0EPKsPsPKlPlN2at6native12_GLOBAL__N_18offset_tEEE10hipError_tPvRmT1_PNSt15iterator_traitsISK_E10value_typeET2_T3_PNSL_ISQ_E10value_typeET4_jRbjT5_SW_jjP12ihipStream_tbEUlT_E2_NS1_11comp_targetILNS1_3genE10ELNS1_11target_archE1201ELNS1_3gpuE5ELNS1_3repE0EEENS1_30default_config_static_selectorELNS0_4arch9wavefront6targetE1EEEvSK_,"axG",@progbits,_ZN7rocprim17ROCPRIM_400000_NS6detail17trampoline_kernelINS0_14default_configENS1_36segmented_radix_sort_config_selectorIslEEZNS1_25segmented_radix_sort_implIS3_Lb0EPKsPsPKlPlN2at6native12_GLOBAL__N_18offset_tEEE10hipError_tPvRmT1_PNSt15iterator_traitsISK_E10value_typeET2_T3_PNSL_ISQ_E10value_typeET4_jRbjT5_SW_jjP12ihipStream_tbEUlT_E2_NS1_11comp_targetILNS1_3genE10ELNS1_11target_archE1201ELNS1_3gpuE5ELNS1_3repE0EEENS1_30default_config_static_selectorELNS0_4arch9wavefront6targetE1EEEvSK_,comdat
	.globl	_ZN7rocprim17ROCPRIM_400000_NS6detail17trampoline_kernelINS0_14default_configENS1_36segmented_radix_sort_config_selectorIslEEZNS1_25segmented_radix_sort_implIS3_Lb0EPKsPsPKlPlN2at6native12_GLOBAL__N_18offset_tEEE10hipError_tPvRmT1_PNSt15iterator_traitsISK_E10value_typeET2_T3_PNSL_ISQ_E10value_typeET4_jRbjT5_SW_jjP12ihipStream_tbEUlT_E2_NS1_11comp_targetILNS1_3genE10ELNS1_11target_archE1201ELNS1_3gpuE5ELNS1_3repE0EEENS1_30default_config_static_selectorELNS0_4arch9wavefront6targetE1EEEvSK_ ; -- Begin function _ZN7rocprim17ROCPRIM_400000_NS6detail17trampoline_kernelINS0_14default_configENS1_36segmented_radix_sort_config_selectorIslEEZNS1_25segmented_radix_sort_implIS3_Lb0EPKsPsPKlPlN2at6native12_GLOBAL__N_18offset_tEEE10hipError_tPvRmT1_PNSt15iterator_traitsISK_E10value_typeET2_T3_PNSL_ISQ_E10value_typeET4_jRbjT5_SW_jjP12ihipStream_tbEUlT_E2_NS1_11comp_targetILNS1_3genE10ELNS1_11target_archE1201ELNS1_3gpuE5ELNS1_3repE0EEENS1_30default_config_static_selectorELNS0_4arch9wavefront6targetE1EEEvSK_
	.p2align	8
	.type	_ZN7rocprim17ROCPRIM_400000_NS6detail17trampoline_kernelINS0_14default_configENS1_36segmented_radix_sort_config_selectorIslEEZNS1_25segmented_radix_sort_implIS3_Lb0EPKsPsPKlPlN2at6native12_GLOBAL__N_18offset_tEEE10hipError_tPvRmT1_PNSt15iterator_traitsISK_E10value_typeET2_T3_PNSL_ISQ_E10value_typeET4_jRbjT5_SW_jjP12ihipStream_tbEUlT_E2_NS1_11comp_targetILNS1_3genE10ELNS1_11target_archE1201ELNS1_3gpuE5ELNS1_3repE0EEENS1_30default_config_static_selectorELNS0_4arch9wavefront6targetE1EEEvSK_,@function
_ZN7rocprim17ROCPRIM_400000_NS6detail17trampoline_kernelINS0_14default_configENS1_36segmented_radix_sort_config_selectorIslEEZNS1_25segmented_radix_sort_implIS3_Lb0EPKsPsPKlPlN2at6native12_GLOBAL__N_18offset_tEEE10hipError_tPvRmT1_PNSt15iterator_traitsISK_E10value_typeET2_T3_PNSL_ISQ_E10value_typeET4_jRbjT5_SW_jjP12ihipStream_tbEUlT_E2_NS1_11comp_targetILNS1_3genE10ELNS1_11target_archE1201ELNS1_3gpuE5ELNS1_3repE0EEENS1_30default_config_static_selectorELNS0_4arch9wavefront6targetE1EEEvSK_: ; @_ZN7rocprim17ROCPRIM_400000_NS6detail17trampoline_kernelINS0_14default_configENS1_36segmented_radix_sort_config_selectorIslEEZNS1_25segmented_radix_sort_implIS3_Lb0EPKsPsPKlPlN2at6native12_GLOBAL__N_18offset_tEEE10hipError_tPvRmT1_PNSt15iterator_traitsISK_E10value_typeET2_T3_PNSL_ISQ_E10value_typeET4_jRbjT5_SW_jjP12ihipStream_tbEUlT_E2_NS1_11comp_targetILNS1_3genE10ELNS1_11target_archE1201ELNS1_3gpuE5ELNS1_3repE0EEENS1_30default_config_static_selectorELNS0_4arch9wavefront6targetE1EEEvSK_
; %bb.0:
	.section	.rodata,"a",@progbits
	.p2align	6, 0x0
	.amdhsa_kernel _ZN7rocprim17ROCPRIM_400000_NS6detail17trampoline_kernelINS0_14default_configENS1_36segmented_radix_sort_config_selectorIslEEZNS1_25segmented_radix_sort_implIS3_Lb0EPKsPsPKlPlN2at6native12_GLOBAL__N_18offset_tEEE10hipError_tPvRmT1_PNSt15iterator_traitsISK_E10value_typeET2_T3_PNSL_ISQ_E10value_typeET4_jRbjT5_SW_jjP12ihipStream_tbEUlT_E2_NS1_11comp_targetILNS1_3genE10ELNS1_11target_archE1201ELNS1_3gpuE5ELNS1_3repE0EEENS1_30default_config_static_selectorELNS0_4arch9wavefront6targetE1EEEvSK_
		.amdhsa_group_segment_fixed_size 0
		.amdhsa_private_segment_fixed_size 0
		.amdhsa_kernarg_size 80
		.amdhsa_user_sgpr_count 6
		.amdhsa_user_sgpr_private_segment_buffer 1
		.amdhsa_user_sgpr_dispatch_ptr 0
		.amdhsa_user_sgpr_queue_ptr 0
		.amdhsa_user_sgpr_kernarg_segment_ptr 1
		.amdhsa_user_sgpr_dispatch_id 0
		.amdhsa_user_sgpr_flat_scratch_init 0
		.amdhsa_user_sgpr_private_segment_size 0
		.amdhsa_uses_dynamic_stack 0
		.amdhsa_system_sgpr_private_segment_wavefront_offset 0
		.amdhsa_system_sgpr_workgroup_id_x 1
		.amdhsa_system_sgpr_workgroup_id_y 0
		.amdhsa_system_sgpr_workgroup_id_z 0
		.amdhsa_system_sgpr_workgroup_info 0
		.amdhsa_system_vgpr_workitem_id 0
		.amdhsa_next_free_vgpr 1
		.amdhsa_next_free_sgpr 0
		.amdhsa_reserve_vcc 0
		.amdhsa_reserve_flat_scratch 0
		.amdhsa_float_round_mode_32 0
		.amdhsa_float_round_mode_16_64 0
		.amdhsa_float_denorm_mode_32 3
		.amdhsa_float_denorm_mode_16_64 3
		.amdhsa_dx10_clamp 1
		.amdhsa_ieee_mode 1
		.amdhsa_fp16_overflow 0
		.amdhsa_exception_fp_ieee_invalid_op 0
		.amdhsa_exception_fp_denorm_src 0
		.amdhsa_exception_fp_ieee_div_zero 0
		.amdhsa_exception_fp_ieee_overflow 0
		.amdhsa_exception_fp_ieee_underflow 0
		.amdhsa_exception_fp_ieee_inexact 0
		.amdhsa_exception_int_div_zero 0
	.end_amdhsa_kernel
	.section	.text._ZN7rocprim17ROCPRIM_400000_NS6detail17trampoline_kernelINS0_14default_configENS1_36segmented_radix_sort_config_selectorIslEEZNS1_25segmented_radix_sort_implIS3_Lb0EPKsPsPKlPlN2at6native12_GLOBAL__N_18offset_tEEE10hipError_tPvRmT1_PNSt15iterator_traitsISK_E10value_typeET2_T3_PNSL_ISQ_E10value_typeET4_jRbjT5_SW_jjP12ihipStream_tbEUlT_E2_NS1_11comp_targetILNS1_3genE10ELNS1_11target_archE1201ELNS1_3gpuE5ELNS1_3repE0EEENS1_30default_config_static_selectorELNS0_4arch9wavefront6targetE1EEEvSK_,"axG",@progbits,_ZN7rocprim17ROCPRIM_400000_NS6detail17trampoline_kernelINS0_14default_configENS1_36segmented_radix_sort_config_selectorIslEEZNS1_25segmented_radix_sort_implIS3_Lb0EPKsPsPKlPlN2at6native12_GLOBAL__N_18offset_tEEE10hipError_tPvRmT1_PNSt15iterator_traitsISK_E10value_typeET2_T3_PNSL_ISQ_E10value_typeET4_jRbjT5_SW_jjP12ihipStream_tbEUlT_E2_NS1_11comp_targetILNS1_3genE10ELNS1_11target_archE1201ELNS1_3gpuE5ELNS1_3repE0EEENS1_30default_config_static_selectorELNS0_4arch9wavefront6targetE1EEEvSK_,comdat
.Lfunc_end1049:
	.size	_ZN7rocprim17ROCPRIM_400000_NS6detail17trampoline_kernelINS0_14default_configENS1_36segmented_radix_sort_config_selectorIslEEZNS1_25segmented_radix_sort_implIS3_Lb0EPKsPsPKlPlN2at6native12_GLOBAL__N_18offset_tEEE10hipError_tPvRmT1_PNSt15iterator_traitsISK_E10value_typeET2_T3_PNSL_ISQ_E10value_typeET4_jRbjT5_SW_jjP12ihipStream_tbEUlT_E2_NS1_11comp_targetILNS1_3genE10ELNS1_11target_archE1201ELNS1_3gpuE5ELNS1_3repE0EEENS1_30default_config_static_selectorELNS0_4arch9wavefront6targetE1EEEvSK_, .Lfunc_end1049-_ZN7rocprim17ROCPRIM_400000_NS6detail17trampoline_kernelINS0_14default_configENS1_36segmented_radix_sort_config_selectorIslEEZNS1_25segmented_radix_sort_implIS3_Lb0EPKsPsPKlPlN2at6native12_GLOBAL__N_18offset_tEEE10hipError_tPvRmT1_PNSt15iterator_traitsISK_E10value_typeET2_T3_PNSL_ISQ_E10value_typeET4_jRbjT5_SW_jjP12ihipStream_tbEUlT_E2_NS1_11comp_targetILNS1_3genE10ELNS1_11target_archE1201ELNS1_3gpuE5ELNS1_3repE0EEENS1_30default_config_static_selectorELNS0_4arch9wavefront6targetE1EEEvSK_
                                        ; -- End function
	.set _ZN7rocprim17ROCPRIM_400000_NS6detail17trampoline_kernelINS0_14default_configENS1_36segmented_radix_sort_config_selectorIslEEZNS1_25segmented_radix_sort_implIS3_Lb0EPKsPsPKlPlN2at6native12_GLOBAL__N_18offset_tEEE10hipError_tPvRmT1_PNSt15iterator_traitsISK_E10value_typeET2_T3_PNSL_ISQ_E10value_typeET4_jRbjT5_SW_jjP12ihipStream_tbEUlT_E2_NS1_11comp_targetILNS1_3genE10ELNS1_11target_archE1201ELNS1_3gpuE5ELNS1_3repE0EEENS1_30default_config_static_selectorELNS0_4arch9wavefront6targetE1EEEvSK_.num_vgpr, 0
	.set _ZN7rocprim17ROCPRIM_400000_NS6detail17trampoline_kernelINS0_14default_configENS1_36segmented_radix_sort_config_selectorIslEEZNS1_25segmented_radix_sort_implIS3_Lb0EPKsPsPKlPlN2at6native12_GLOBAL__N_18offset_tEEE10hipError_tPvRmT1_PNSt15iterator_traitsISK_E10value_typeET2_T3_PNSL_ISQ_E10value_typeET4_jRbjT5_SW_jjP12ihipStream_tbEUlT_E2_NS1_11comp_targetILNS1_3genE10ELNS1_11target_archE1201ELNS1_3gpuE5ELNS1_3repE0EEENS1_30default_config_static_selectorELNS0_4arch9wavefront6targetE1EEEvSK_.num_agpr, 0
	.set _ZN7rocprim17ROCPRIM_400000_NS6detail17trampoline_kernelINS0_14default_configENS1_36segmented_radix_sort_config_selectorIslEEZNS1_25segmented_radix_sort_implIS3_Lb0EPKsPsPKlPlN2at6native12_GLOBAL__N_18offset_tEEE10hipError_tPvRmT1_PNSt15iterator_traitsISK_E10value_typeET2_T3_PNSL_ISQ_E10value_typeET4_jRbjT5_SW_jjP12ihipStream_tbEUlT_E2_NS1_11comp_targetILNS1_3genE10ELNS1_11target_archE1201ELNS1_3gpuE5ELNS1_3repE0EEENS1_30default_config_static_selectorELNS0_4arch9wavefront6targetE1EEEvSK_.numbered_sgpr, 0
	.set _ZN7rocprim17ROCPRIM_400000_NS6detail17trampoline_kernelINS0_14default_configENS1_36segmented_radix_sort_config_selectorIslEEZNS1_25segmented_radix_sort_implIS3_Lb0EPKsPsPKlPlN2at6native12_GLOBAL__N_18offset_tEEE10hipError_tPvRmT1_PNSt15iterator_traitsISK_E10value_typeET2_T3_PNSL_ISQ_E10value_typeET4_jRbjT5_SW_jjP12ihipStream_tbEUlT_E2_NS1_11comp_targetILNS1_3genE10ELNS1_11target_archE1201ELNS1_3gpuE5ELNS1_3repE0EEENS1_30default_config_static_selectorELNS0_4arch9wavefront6targetE1EEEvSK_.num_named_barrier, 0
	.set _ZN7rocprim17ROCPRIM_400000_NS6detail17trampoline_kernelINS0_14default_configENS1_36segmented_radix_sort_config_selectorIslEEZNS1_25segmented_radix_sort_implIS3_Lb0EPKsPsPKlPlN2at6native12_GLOBAL__N_18offset_tEEE10hipError_tPvRmT1_PNSt15iterator_traitsISK_E10value_typeET2_T3_PNSL_ISQ_E10value_typeET4_jRbjT5_SW_jjP12ihipStream_tbEUlT_E2_NS1_11comp_targetILNS1_3genE10ELNS1_11target_archE1201ELNS1_3gpuE5ELNS1_3repE0EEENS1_30default_config_static_selectorELNS0_4arch9wavefront6targetE1EEEvSK_.private_seg_size, 0
	.set _ZN7rocprim17ROCPRIM_400000_NS6detail17trampoline_kernelINS0_14default_configENS1_36segmented_radix_sort_config_selectorIslEEZNS1_25segmented_radix_sort_implIS3_Lb0EPKsPsPKlPlN2at6native12_GLOBAL__N_18offset_tEEE10hipError_tPvRmT1_PNSt15iterator_traitsISK_E10value_typeET2_T3_PNSL_ISQ_E10value_typeET4_jRbjT5_SW_jjP12ihipStream_tbEUlT_E2_NS1_11comp_targetILNS1_3genE10ELNS1_11target_archE1201ELNS1_3gpuE5ELNS1_3repE0EEENS1_30default_config_static_selectorELNS0_4arch9wavefront6targetE1EEEvSK_.uses_vcc, 0
	.set _ZN7rocprim17ROCPRIM_400000_NS6detail17trampoline_kernelINS0_14default_configENS1_36segmented_radix_sort_config_selectorIslEEZNS1_25segmented_radix_sort_implIS3_Lb0EPKsPsPKlPlN2at6native12_GLOBAL__N_18offset_tEEE10hipError_tPvRmT1_PNSt15iterator_traitsISK_E10value_typeET2_T3_PNSL_ISQ_E10value_typeET4_jRbjT5_SW_jjP12ihipStream_tbEUlT_E2_NS1_11comp_targetILNS1_3genE10ELNS1_11target_archE1201ELNS1_3gpuE5ELNS1_3repE0EEENS1_30default_config_static_selectorELNS0_4arch9wavefront6targetE1EEEvSK_.uses_flat_scratch, 0
	.set _ZN7rocprim17ROCPRIM_400000_NS6detail17trampoline_kernelINS0_14default_configENS1_36segmented_radix_sort_config_selectorIslEEZNS1_25segmented_radix_sort_implIS3_Lb0EPKsPsPKlPlN2at6native12_GLOBAL__N_18offset_tEEE10hipError_tPvRmT1_PNSt15iterator_traitsISK_E10value_typeET2_T3_PNSL_ISQ_E10value_typeET4_jRbjT5_SW_jjP12ihipStream_tbEUlT_E2_NS1_11comp_targetILNS1_3genE10ELNS1_11target_archE1201ELNS1_3gpuE5ELNS1_3repE0EEENS1_30default_config_static_selectorELNS0_4arch9wavefront6targetE1EEEvSK_.has_dyn_sized_stack, 0
	.set _ZN7rocprim17ROCPRIM_400000_NS6detail17trampoline_kernelINS0_14default_configENS1_36segmented_radix_sort_config_selectorIslEEZNS1_25segmented_radix_sort_implIS3_Lb0EPKsPsPKlPlN2at6native12_GLOBAL__N_18offset_tEEE10hipError_tPvRmT1_PNSt15iterator_traitsISK_E10value_typeET2_T3_PNSL_ISQ_E10value_typeET4_jRbjT5_SW_jjP12ihipStream_tbEUlT_E2_NS1_11comp_targetILNS1_3genE10ELNS1_11target_archE1201ELNS1_3gpuE5ELNS1_3repE0EEENS1_30default_config_static_selectorELNS0_4arch9wavefront6targetE1EEEvSK_.has_recursion, 0
	.set _ZN7rocprim17ROCPRIM_400000_NS6detail17trampoline_kernelINS0_14default_configENS1_36segmented_radix_sort_config_selectorIslEEZNS1_25segmented_radix_sort_implIS3_Lb0EPKsPsPKlPlN2at6native12_GLOBAL__N_18offset_tEEE10hipError_tPvRmT1_PNSt15iterator_traitsISK_E10value_typeET2_T3_PNSL_ISQ_E10value_typeET4_jRbjT5_SW_jjP12ihipStream_tbEUlT_E2_NS1_11comp_targetILNS1_3genE10ELNS1_11target_archE1201ELNS1_3gpuE5ELNS1_3repE0EEENS1_30default_config_static_selectorELNS0_4arch9wavefront6targetE1EEEvSK_.has_indirect_call, 0
	.section	.AMDGPU.csdata,"",@progbits
; Kernel info:
; codeLenInByte = 0
; TotalNumSgprs: 4
; NumVgprs: 0
; ScratchSize: 0
; MemoryBound: 0
; FloatMode: 240
; IeeeMode: 1
; LDSByteSize: 0 bytes/workgroup (compile time only)
; SGPRBlocks: 0
; VGPRBlocks: 0
; NumSGPRsForWavesPerEU: 4
; NumVGPRsForWavesPerEU: 1
; Occupancy: 10
; WaveLimiterHint : 0
; COMPUTE_PGM_RSRC2:SCRATCH_EN: 0
; COMPUTE_PGM_RSRC2:USER_SGPR: 6
; COMPUTE_PGM_RSRC2:TRAP_HANDLER: 0
; COMPUTE_PGM_RSRC2:TGID_X_EN: 1
; COMPUTE_PGM_RSRC2:TGID_Y_EN: 0
; COMPUTE_PGM_RSRC2:TGID_Z_EN: 0
; COMPUTE_PGM_RSRC2:TIDIG_COMP_CNT: 0
	.section	.text._ZN7rocprim17ROCPRIM_400000_NS6detail17trampoline_kernelINS0_14default_configENS1_36segmented_radix_sort_config_selectorIslEEZNS1_25segmented_radix_sort_implIS3_Lb0EPKsPsPKlPlN2at6native12_GLOBAL__N_18offset_tEEE10hipError_tPvRmT1_PNSt15iterator_traitsISK_E10value_typeET2_T3_PNSL_ISQ_E10value_typeET4_jRbjT5_SW_jjP12ihipStream_tbEUlT_E2_NS1_11comp_targetILNS1_3genE10ELNS1_11target_archE1200ELNS1_3gpuE4ELNS1_3repE0EEENS1_30default_config_static_selectorELNS0_4arch9wavefront6targetE1EEEvSK_,"axG",@progbits,_ZN7rocprim17ROCPRIM_400000_NS6detail17trampoline_kernelINS0_14default_configENS1_36segmented_radix_sort_config_selectorIslEEZNS1_25segmented_radix_sort_implIS3_Lb0EPKsPsPKlPlN2at6native12_GLOBAL__N_18offset_tEEE10hipError_tPvRmT1_PNSt15iterator_traitsISK_E10value_typeET2_T3_PNSL_ISQ_E10value_typeET4_jRbjT5_SW_jjP12ihipStream_tbEUlT_E2_NS1_11comp_targetILNS1_3genE10ELNS1_11target_archE1200ELNS1_3gpuE4ELNS1_3repE0EEENS1_30default_config_static_selectorELNS0_4arch9wavefront6targetE1EEEvSK_,comdat
	.globl	_ZN7rocprim17ROCPRIM_400000_NS6detail17trampoline_kernelINS0_14default_configENS1_36segmented_radix_sort_config_selectorIslEEZNS1_25segmented_radix_sort_implIS3_Lb0EPKsPsPKlPlN2at6native12_GLOBAL__N_18offset_tEEE10hipError_tPvRmT1_PNSt15iterator_traitsISK_E10value_typeET2_T3_PNSL_ISQ_E10value_typeET4_jRbjT5_SW_jjP12ihipStream_tbEUlT_E2_NS1_11comp_targetILNS1_3genE10ELNS1_11target_archE1200ELNS1_3gpuE4ELNS1_3repE0EEENS1_30default_config_static_selectorELNS0_4arch9wavefront6targetE1EEEvSK_ ; -- Begin function _ZN7rocprim17ROCPRIM_400000_NS6detail17trampoline_kernelINS0_14default_configENS1_36segmented_radix_sort_config_selectorIslEEZNS1_25segmented_radix_sort_implIS3_Lb0EPKsPsPKlPlN2at6native12_GLOBAL__N_18offset_tEEE10hipError_tPvRmT1_PNSt15iterator_traitsISK_E10value_typeET2_T3_PNSL_ISQ_E10value_typeET4_jRbjT5_SW_jjP12ihipStream_tbEUlT_E2_NS1_11comp_targetILNS1_3genE10ELNS1_11target_archE1200ELNS1_3gpuE4ELNS1_3repE0EEENS1_30default_config_static_selectorELNS0_4arch9wavefront6targetE1EEEvSK_
	.p2align	8
	.type	_ZN7rocprim17ROCPRIM_400000_NS6detail17trampoline_kernelINS0_14default_configENS1_36segmented_radix_sort_config_selectorIslEEZNS1_25segmented_radix_sort_implIS3_Lb0EPKsPsPKlPlN2at6native12_GLOBAL__N_18offset_tEEE10hipError_tPvRmT1_PNSt15iterator_traitsISK_E10value_typeET2_T3_PNSL_ISQ_E10value_typeET4_jRbjT5_SW_jjP12ihipStream_tbEUlT_E2_NS1_11comp_targetILNS1_3genE10ELNS1_11target_archE1200ELNS1_3gpuE4ELNS1_3repE0EEENS1_30default_config_static_selectorELNS0_4arch9wavefront6targetE1EEEvSK_,@function
_ZN7rocprim17ROCPRIM_400000_NS6detail17trampoline_kernelINS0_14default_configENS1_36segmented_radix_sort_config_selectorIslEEZNS1_25segmented_radix_sort_implIS3_Lb0EPKsPsPKlPlN2at6native12_GLOBAL__N_18offset_tEEE10hipError_tPvRmT1_PNSt15iterator_traitsISK_E10value_typeET2_T3_PNSL_ISQ_E10value_typeET4_jRbjT5_SW_jjP12ihipStream_tbEUlT_E2_NS1_11comp_targetILNS1_3genE10ELNS1_11target_archE1200ELNS1_3gpuE4ELNS1_3repE0EEENS1_30default_config_static_selectorELNS0_4arch9wavefront6targetE1EEEvSK_: ; @_ZN7rocprim17ROCPRIM_400000_NS6detail17trampoline_kernelINS0_14default_configENS1_36segmented_radix_sort_config_selectorIslEEZNS1_25segmented_radix_sort_implIS3_Lb0EPKsPsPKlPlN2at6native12_GLOBAL__N_18offset_tEEE10hipError_tPvRmT1_PNSt15iterator_traitsISK_E10value_typeET2_T3_PNSL_ISQ_E10value_typeET4_jRbjT5_SW_jjP12ihipStream_tbEUlT_E2_NS1_11comp_targetILNS1_3genE10ELNS1_11target_archE1200ELNS1_3gpuE4ELNS1_3repE0EEENS1_30default_config_static_selectorELNS0_4arch9wavefront6targetE1EEEvSK_
; %bb.0:
	.section	.rodata,"a",@progbits
	.p2align	6, 0x0
	.amdhsa_kernel _ZN7rocprim17ROCPRIM_400000_NS6detail17trampoline_kernelINS0_14default_configENS1_36segmented_radix_sort_config_selectorIslEEZNS1_25segmented_radix_sort_implIS3_Lb0EPKsPsPKlPlN2at6native12_GLOBAL__N_18offset_tEEE10hipError_tPvRmT1_PNSt15iterator_traitsISK_E10value_typeET2_T3_PNSL_ISQ_E10value_typeET4_jRbjT5_SW_jjP12ihipStream_tbEUlT_E2_NS1_11comp_targetILNS1_3genE10ELNS1_11target_archE1200ELNS1_3gpuE4ELNS1_3repE0EEENS1_30default_config_static_selectorELNS0_4arch9wavefront6targetE1EEEvSK_
		.amdhsa_group_segment_fixed_size 0
		.amdhsa_private_segment_fixed_size 0
		.amdhsa_kernarg_size 80
		.amdhsa_user_sgpr_count 6
		.amdhsa_user_sgpr_private_segment_buffer 1
		.amdhsa_user_sgpr_dispatch_ptr 0
		.amdhsa_user_sgpr_queue_ptr 0
		.amdhsa_user_sgpr_kernarg_segment_ptr 1
		.amdhsa_user_sgpr_dispatch_id 0
		.amdhsa_user_sgpr_flat_scratch_init 0
		.amdhsa_user_sgpr_private_segment_size 0
		.amdhsa_uses_dynamic_stack 0
		.amdhsa_system_sgpr_private_segment_wavefront_offset 0
		.amdhsa_system_sgpr_workgroup_id_x 1
		.amdhsa_system_sgpr_workgroup_id_y 0
		.amdhsa_system_sgpr_workgroup_id_z 0
		.amdhsa_system_sgpr_workgroup_info 0
		.amdhsa_system_vgpr_workitem_id 0
		.amdhsa_next_free_vgpr 1
		.amdhsa_next_free_sgpr 0
		.amdhsa_reserve_vcc 0
		.amdhsa_reserve_flat_scratch 0
		.amdhsa_float_round_mode_32 0
		.amdhsa_float_round_mode_16_64 0
		.amdhsa_float_denorm_mode_32 3
		.amdhsa_float_denorm_mode_16_64 3
		.amdhsa_dx10_clamp 1
		.amdhsa_ieee_mode 1
		.amdhsa_fp16_overflow 0
		.amdhsa_exception_fp_ieee_invalid_op 0
		.amdhsa_exception_fp_denorm_src 0
		.amdhsa_exception_fp_ieee_div_zero 0
		.amdhsa_exception_fp_ieee_overflow 0
		.amdhsa_exception_fp_ieee_underflow 0
		.amdhsa_exception_fp_ieee_inexact 0
		.amdhsa_exception_int_div_zero 0
	.end_amdhsa_kernel
	.section	.text._ZN7rocprim17ROCPRIM_400000_NS6detail17trampoline_kernelINS0_14default_configENS1_36segmented_radix_sort_config_selectorIslEEZNS1_25segmented_radix_sort_implIS3_Lb0EPKsPsPKlPlN2at6native12_GLOBAL__N_18offset_tEEE10hipError_tPvRmT1_PNSt15iterator_traitsISK_E10value_typeET2_T3_PNSL_ISQ_E10value_typeET4_jRbjT5_SW_jjP12ihipStream_tbEUlT_E2_NS1_11comp_targetILNS1_3genE10ELNS1_11target_archE1200ELNS1_3gpuE4ELNS1_3repE0EEENS1_30default_config_static_selectorELNS0_4arch9wavefront6targetE1EEEvSK_,"axG",@progbits,_ZN7rocprim17ROCPRIM_400000_NS6detail17trampoline_kernelINS0_14default_configENS1_36segmented_radix_sort_config_selectorIslEEZNS1_25segmented_radix_sort_implIS3_Lb0EPKsPsPKlPlN2at6native12_GLOBAL__N_18offset_tEEE10hipError_tPvRmT1_PNSt15iterator_traitsISK_E10value_typeET2_T3_PNSL_ISQ_E10value_typeET4_jRbjT5_SW_jjP12ihipStream_tbEUlT_E2_NS1_11comp_targetILNS1_3genE10ELNS1_11target_archE1200ELNS1_3gpuE4ELNS1_3repE0EEENS1_30default_config_static_selectorELNS0_4arch9wavefront6targetE1EEEvSK_,comdat
.Lfunc_end1050:
	.size	_ZN7rocprim17ROCPRIM_400000_NS6detail17trampoline_kernelINS0_14default_configENS1_36segmented_radix_sort_config_selectorIslEEZNS1_25segmented_radix_sort_implIS3_Lb0EPKsPsPKlPlN2at6native12_GLOBAL__N_18offset_tEEE10hipError_tPvRmT1_PNSt15iterator_traitsISK_E10value_typeET2_T3_PNSL_ISQ_E10value_typeET4_jRbjT5_SW_jjP12ihipStream_tbEUlT_E2_NS1_11comp_targetILNS1_3genE10ELNS1_11target_archE1200ELNS1_3gpuE4ELNS1_3repE0EEENS1_30default_config_static_selectorELNS0_4arch9wavefront6targetE1EEEvSK_, .Lfunc_end1050-_ZN7rocprim17ROCPRIM_400000_NS6detail17trampoline_kernelINS0_14default_configENS1_36segmented_radix_sort_config_selectorIslEEZNS1_25segmented_radix_sort_implIS3_Lb0EPKsPsPKlPlN2at6native12_GLOBAL__N_18offset_tEEE10hipError_tPvRmT1_PNSt15iterator_traitsISK_E10value_typeET2_T3_PNSL_ISQ_E10value_typeET4_jRbjT5_SW_jjP12ihipStream_tbEUlT_E2_NS1_11comp_targetILNS1_3genE10ELNS1_11target_archE1200ELNS1_3gpuE4ELNS1_3repE0EEENS1_30default_config_static_selectorELNS0_4arch9wavefront6targetE1EEEvSK_
                                        ; -- End function
	.set _ZN7rocprim17ROCPRIM_400000_NS6detail17trampoline_kernelINS0_14default_configENS1_36segmented_radix_sort_config_selectorIslEEZNS1_25segmented_radix_sort_implIS3_Lb0EPKsPsPKlPlN2at6native12_GLOBAL__N_18offset_tEEE10hipError_tPvRmT1_PNSt15iterator_traitsISK_E10value_typeET2_T3_PNSL_ISQ_E10value_typeET4_jRbjT5_SW_jjP12ihipStream_tbEUlT_E2_NS1_11comp_targetILNS1_3genE10ELNS1_11target_archE1200ELNS1_3gpuE4ELNS1_3repE0EEENS1_30default_config_static_selectorELNS0_4arch9wavefront6targetE1EEEvSK_.num_vgpr, 0
	.set _ZN7rocprim17ROCPRIM_400000_NS6detail17trampoline_kernelINS0_14default_configENS1_36segmented_radix_sort_config_selectorIslEEZNS1_25segmented_radix_sort_implIS3_Lb0EPKsPsPKlPlN2at6native12_GLOBAL__N_18offset_tEEE10hipError_tPvRmT1_PNSt15iterator_traitsISK_E10value_typeET2_T3_PNSL_ISQ_E10value_typeET4_jRbjT5_SW_jjP12ihipStream_tbEUlT_E2_NS1_11comp_targetILNS1_3genE10ELNS1_11target_archE1200ELNS1_3gpuE4ELNS1_3repE0EEENS1_30default_config_static_selectorELNS0_4arch9wavefront6targetE1EEEvSK_.num_agpr, 0
	.set _ZN7rocprim17ROCPRIM_400000_NS6detail17trampoline_kernelINS0_14default_configENS1_36segmented_radix_sort_config_selectorIslEEZNS1_25segmented_radix_sort_implIS3_Lb0EPKsPsPKlPlN2at6native12_GLOBAL__N_18offset_tEEE10hipError_tPvRmT1_PNSt15iterator_traitsISK_E10value_typeET2_T3_PNSL_ISQ_E10value_typeET4_jRbjT5_SW_jjP12ihipStream_tbEUlT_E2_NS1_11comp_targetILNS1_3genE10ELNS1_11target_archE1200ELNS1_3gpuE4ELNS1_3repE0EEENS1_30default_config_static_selectorELNS0_4arch9wavefront6targetE1EEEvSK_.numbered_sgpr, 0
	.set _ZN7rocprim17ROCPRIM_400000_NS6detail17trampoline_kernelINS0_14default_configENS1_36segmented_radix_sort_config_selectorIslEEZNS1_25segmented_radix_sort_implIS3_Lb0EPKsPsPKlPlN2at6native12_GLOBAL__N_18offset_tEEE10hipError_tPvRmT1_PNSt15iterator_traitsISK_E10value_typeET2_T3_PNSL_ISQ_E10value_typeET4_jRbjT5_SW_jjP12ihipStream_tbEUlT_E2_NS1_11comp_targetILNS1_3genE10ELNS1_11target_archE1200ELNS1_3gpuE4ELNS1_3repE0EEENS1_30default_config_static_selectorELNS0_4arch9wavefront6targetE1EEEvSK_.num_named_barrier, 0
	.set _ZN7rocprim17ROCPRIM_400000_NS6detail17trampoline_kernelINS0_14default_configENS1_36segmented_radix_sort_config_selectorIslEEZNS1_25segmented_radix_sort_implIS3_Lb0EPKsPsPKlPlN2at6native12_GLOBAL__N_18offset_tEEE10hipError_tPvRmT1_PNSt15iterator_traitsISK_E10value_typeET2_T3_PNSL_ISQ_E10value_typeET4_jRbjT5_SW_jjP12ihipStream_tbEUlT_E2_NS1_11comp_targetILNS1_3genE10ELNS1_11target_archE1200ELNS1_3gpuE4ELNS1_3repE0EEENS1_30default_config_static_selectorELNS0_4arch9wavefront6targetE1EEEvSK_.private_seg_size, 0
	.set _ZN7rocprim17ROCPRIM_400000_NS6detail17trampoline_kernelINS0_14default_configENS1_36segmented_radix_sort_config_selectorIslEEZNS1_25segmented_radix_sort_implIS3_Lb0EPKsPsPKlPlN2at6native12_GLOBAL__N_18offset_tEEE10hipError_tPvRmT1_PNSt15iterator_traitsISK_E10value_typeET2_T3_PNSL_ISQ_E10value_typeET4_jRbjT5_SW_jjP12ihipStream_tbEUlT_E2_NS1_11comp_targetILNS1_3genE10ELNS1_11target_archE1200ELNS1_3gpuE4ELNS1_3repE0EEENS1_30default_config_static_selectorELNS0_4arch9wavefront6targetE1EEEvSK_.uses_vcc, 0
	.set _ZN7rocprim17ROCPRIM_400000_NS6detail17trampoline_kernelINS0_14default_configENS1_36segmented_radix_sort_config_selectorIslEEZNS1_25segmented_radix_sort_implIS3_Lb0EPKsPsPKlPlN2at6native12_GLOBAL__N_18offset_tEEE10hipError_tPvRmT1_PNSt15iterator_traitsISK_E10value_typeET2_T3_PNSL_ISQ_E10value_typeET4_jRbjT5_SW_jjP12ihipStream_tbEUlT_E2_NS1_11comp_targetILNS1_3genE10ELNS1_11target_archE1200ELNS1_3gpuE4ELNS1_3repE0EEENS1_30default_config_static_selectorELNS0_4arch9wavefront6targetE1EEEvSK_.uses_flat_scratch, 0
	.set _ZN7rocprim17ROCPRIM_400000_NS6detail17trampoline_kernelINS0_14default_configENS1_36segmented_radix_sort_config_selectorIslEEZNS1_25segmented_radix_sort_implIS3_Lb0EPKsPsPKlPlN2at6native12_GLOBAL__N_18offset_tEEE10hipError_tPvRmT1_PNSt15iterator_traitsISK_E10value_typeET2_T3_PNSL_ISQ_E10value_typeET4_jRbjT5_SW_jjP12ihipStream_tbEUlT_E2_NS1_11comp_targetILNS1_3genE10ELNS1_11target_archE1200ELNS1_3gpuE4ELNS1_3repE0EEENS1_30default_config_static_selectorELNS0_4arch9wavefront6targetE1EEEvSK_.has_dyn_sized_stack, 0
	.set _ZN7rocprim17ROCPRIM_400000_NS6detail17trampoline_kernelINS0_14default_configENS1_36segmented_radix_sort_config_selectorIslEEZNS1_25segmented_radix_sort_implIS3_Lb0EPKsPsPKlPlN2at6native12_GLOBAL__N_18offset_tEEE10hipError_tPvRmT1_PNSt15iterator_traitsISK_E10value_typeET2_T3_PNSL_ISQ_E10value_typeET4_jRbjT5_SW_jjP12ihipStream_tbEUlT_E2_NS1_11comp_targetILNS1_3genE10ELNS1_11target_archE1200ELNS1_3gpuE4ELNS1_3repE0EEENS1_30default_config_static_selectorELNS0_4arch9wavefront6targetE1EEEvSK_.has_recursion, 0
	.set _ZN7rocprim17ROCPRIM_400000_NS6detail17trampoline_kernelINS0_14default_configENS1_36segmented_radix_sort_config_selectorIslEEZNS1_25segmented_radix_sort_implIS3_Lb0EPKsPsPKlPlN2at6native12_GLOBAL__N_18offset_tEEE10hipError_tPvRmT1_PNSt15iterator_traitsISK_E10value_typeET2_T3_PNSL_ISQ_E10value_typeET4_jRbjT5_SW_jjP12ihipStream_tbEUlT_E2_NS1_11comp_targetILNS1_3genE10ELNS1_11target_archE1200ELNS1_3gpuE4ELNS1_3repE0EEENS1_30default_config_static_selectorELNS0_4arch9wavefront6targetE1EEEvSK_.has_indirect_call, 0
	.section	.AMDGPU.csdata,"",@progbits
; Kernel info:
; codeLenInByte = 0
; TotalNumSgprs: 4
; NumVgprs: 0
; ScratchSize: 0
; MemoryBound: 0
; FloatMode: 240
; IeeeMode: 1
; LDSByteSize: 0 bytes/workgroup (compile time only)
; SGPRBlocks: 0
; VGPRBlocks: 0
; NumSGPRsForWavesPerEU: 4
; NumVGPRsForWavesPerEU: 1
; Occupancy: 10
; WaveLimiterHint : 0
; COMPUTE_PGM_RSRC2:SCRATCH_EN: 0
; COMPUTE_PGM_RSRC2:USER_SGPR: 6
; COMPUTE_PGM_RSRC2:TRAP_HANDLER: 0
; COMPUTE_PGM_RSRC2:TGID_X_EN: 1
; COMPUTE_PGM_RSRC2:TGID_Y_EN: 0
; COMPUTE_PGM_RSRC2:TGID_Z_EN: 0
; COMPUTE_PGM_RSRC2:TIDIG_COMP_CNT: 0
	.section	.text._ZN7rocprim17ROCPRIM_400000_NS6detail17trampoline_kernelINS0_14default_configENS1_36segmented_radix_sort_config_selectorIslEEZNS1_25segmented_radix_sort_implIS3_Lb0EPKsPsPKlPlN2at6native12_GLOBAL__N_18offset_tEEE10hipError_tPvRmT1_PNSt15iterator_traitsISK_E10value_typeET2_T3_PNSL_ISQ_E10value_typeET4_jRbjT5_SW_jjP12ihipStream_tbEUlT_E2_NS1_11comp_targetILNS1_3genE9ELNS1_11target_archE1100ELNS1_3gpuE3ELNS1_3repE0EEENS1_30default_config_static_selectorELNS0_4arch9wavefront6targetE1EEEvSK_,"axG",@progbits,_ZN7rocprim17ROCPRIM_400000_NS6detail17trampoline_kernelINS0_14default_configENS1_36segmented_radix_sort_config_selectorIslEEZNS1_25segmented_radix_sort_implIS3_Lb0EPKsPsPKlPlN2at6native12_GLOBAL__N_18offset_tEEE10hipError_tPvRmT1_PNSt15iterator_traitsISK_E10value_typeET2_T3_PNSL_ISQ_E10value_typeET4_jRbjT5_SW_jjP12ihipStream_tbEUlT_E2_NS1_11comp_targetILNS1_3genE9ELNS1_11target_archE1100ELNS1_3gpuE3ELNS1_3repE0EEENS1_30default_config_static_selectorELNS0_4arch9wavefront6targetE1EEEvSK_,comdat
	.globl	_ZN7rocprim17ROCPRIM_400000_NS6detail17trampoline_kernelINS0_14default_configENS1_36segmented_radix_sort_config_selectorIslEEZNS1_25segmented_radix_sort_implIS3_Lb0EPKsPsPKlPlN2at6native12_GLOBAL__N_18offset_tEEE10hipError_tPvRmT1_PNSt15iterator_traitsISK_E10value_typeET2_T3_PNSL_ISQ_E10value_typeET4_jRbjT5_SW_jjP12ihipStream_tbEUlT_E2_NS1_11comp_targetILNS1_3genE9ELNS1_11target_archE1100ELNS1_3gpuE3ELNS1_3repE0EEENS1_30default_config_static_selectorELNS0_4arch9wavefront6targetE1EEEvSK_ ; -- Begin function _ZN7rocprim17ROCPRIM_400000_NS6detail17trampoline_kernelINS0_14default_configENS1_36segmented_radix_sort_config_selectorIslEEZNS1_25segmented_radix_sort_implIS3_Lb0EPKsPsPKlPlN2at6native12_GLOBAL__N_18offset_tEEE10hipError_tPvRmT1_PNSt15iterator_traitsISK_E10value_typeET2_T3_PNSL_ISQ_E10value_typeET4_jRbjT5_SW_jjP12ihipStream_tbEUlT_E2_NS1_11comp_targetILNS1_3genE9ELNS1_11target_archE1100ELNS1_3gpuE3ELNS1_3repE0EEENS1_30default_config_static_selectorELNS0_4arch9wavefront6targetE1EEEvSK_
	.p2align	8
	.type	_ZN7rocprim17ROCPRIM_400000_NS6detail17trampoline_kernelINS0_14default_configENS1_36segmented_radix_sort_config_selectorIslEEZNS1_25segmented_radix_sort_implIS3_Lb0EPKsPsPKlPlN2at6native12_GLOBAL__N_18offset_tEEE10hipError_tPvRmT1_PNSt15iterator_traitsISK_E10value_typeET2_T3_PNSL_ISQ_E10value_typeET4_jRbjT5_SW_jjP12ihipStream_tbEUlT_E2_NS1_11comp_targetILNS1_3genE9ELNS1_11target_archE1100ELNS1_3gpuE3ELNS1_3repE0EEENS1_30default_config_static_selectorELNS0_4arch9wavefront6targetE1EEEvSK_,@function
_ZN7rocprim17ROCPRIM_400000_NS6detail17trampoline_kernelINS0_14default_configENS1_36segmented_radix_sort_config_selectorIslEEZNS1_25segmented_radix_sort_implIS3_Lb0EPKsPsPKlPlN2at6native12_GLOBAL__N_18offset_tEEE10hipError_tPvRmT1_PNSt15iterator_traitsISK_E10value_typeET2_T3_PNSL_ISQ_E10value_typeET4_jRbjT5_SW_jjP12ihipStream_tbEUlT_E2_NS1_11comp_targetILNS1_3genE9ELNS1_11target_archE1100ELNS1_3gpuE3ELNS1_3repE0EEENS1_30default_config_static_selectorELNS0_4arch9wavefront6targetE1EEEvSK_: ; @_ZN7rocprim17ROCPRIM_400000_NS6detail17trampoline_kernelINS0_14default_configENS1_36segmented_radix_sort_config_selectorIslEEZNS1_25segmented_radix_sort_implIS3_Lb0EPKsPsPKlPlN2at6native12_GLOBAL__N_18offset_tEEE10hipError_tPvRmT1_PNSt15iterator_traitsISK_E10value_typeET2_T3_PNSL_ISQ_E10value_typeET4_jRbjT5_SW_jjP12ihipStream_tbEUlT_E2_NS1_11comp_targetILNS1_3genE9ELNS1_11target_archE1100ELNS1_3gpuE3ELNS1_3repE0EEENS1_30default_config_static_selectorELNS0_4arch9wavefront6targetE1EEEvSK_
; %bb.0:
	.section	.rodata,"a",@progbits
	.p2align	6, 0x0
	.amdhsa_kernel _ZN7rocprim17ROCPRIM_400000_NS6detail17trampoline_kernelINS0_14default_configENS1_36segmented_radix_sort_config_selectorIslEEZNS1_25segmented_radix_sort_implIS3_Lb0EPKsPsPKlPlN2at6native12_GLOBAL__N_18offset_tEEE10hipError_tPvRmT1_PNSt15iterator_traitsISK_E10value_typeET2_T3_PNSL_ISQ_E10value_typeET4_jRbjT5_SW_jjP12ihipStream_tbEUlT_E2_NS1_11comp_targetILNS1_3genE9ELNS1_11target_archE1100ELNS1_3gpuE3ELNS1_3repE0EEENS1_30default_config_static_selectorELNS0_4arch9wavefront6targetE1EEEvSK_
		.amdhsa_group_segment_fixed_size 0
		.amdhsa_private_segment_fixed_size 0
		.amdhsa_kernarg_size 80
		.amdhsa_user_sgpr_count 6
		.amdhsa_user_sgpr_private_segment_buffer 1
		.amdhsa_user_sgpr_dispatch_ptr 0
		.amdhsa_user_sgpr_queue_ptr 0
		.amdhsa_user_sgpr_kernarg_segment_ptr 1
		.amdhsa_user_sgpr_dispatch_id 0
		.amdhsa_user_sgpr_flat_scratch_init 0
		.amdhsa_user_sgpr_private_segment_size 0
		.amdhsa_uses_dynamic_stack 0
		.amdhsa_system_sgpr_private_segment_wavefront_offset 0
		.amdhsa_system_sgpr_workgroup_id_x 1
		.amdhsa_system_sgpr_workgroup_id_y 0
		.amdhsa_system_sgpr_workgroup_id_z 0
		.amdhsa_system_sgpr_workgroup_info 0
		.amdhsa_system_vgpr_workitem_id 0
		.amdhsa_next_free_vgpr 1
		.amdhsa_next_free_sgpr 0
		.amdhsa_reserve_vcc 0
		.amdhsa_reserve_flat_scratch 0
		.amdhsa_float_round_mode_32 0
		.amdhsa_float_round_mode_16_64 0
		.amdhsa_float_denorm_mode_32 3
		.amdhsa_float_denorm_mode_16_64 3
		.amdhsa_dx10_clamp 1
		.amdhsa_ieee_mode 1
		.amdhsa_fp16_overflow 0
		.amdhsa_exception_fp_ieee_invalid_op 0
		.amdhsa_exception_fp_denorm_src 0
		.amdhsa_exception_fp_ieee_div_zero 0
		.amdhsa_exception_fp_ieee_overflow 0
		.amdhsa_exception_fp_ieee_underflow 0
		.amdhsa_exception_fp_ieee_inexact 0
		.amdhsa_exception_int_div_zero 0
	.end_amdhsa_kernel
	.section	.text._ZN7rocprim17ROCPRIM_400000_NS6detail17trampoline_kernelINS0_14default_configENS1_36segmented_radix_sort_config_selectorIslEEZNS1_25segmented_radix_sort_implIS3_Lb0EPKsPsPKlPlN2at6native12_GLOBAL__N_18offset_tEEE10hipError_tPvRmT1_PNSt15iterator_traitsISK_E10value_typeET2_T3_PNSL_ISQ_E10value_typeET4_jRbjT5_SW_jjP12ihipStream_tbEUlT_E2_NS1_11comp_targetILNS1_3genE9ELNS1_11target_archE1100ELNS1_3gpuE3ELNS1_3repE0EEENS1_30default_config_static_selectorELNS0_4arch9wavefront6targetE1EEEvSK_,"axG",@progbits,_ZN7rocprim17ROCPRIM_400000_NS6detail17trampoline_kernelINS0_14default_configENS1_36segmented_radix_sort_config_selectorIslEEZNS1_25segmented_radix_sort_implIS3_Lb0EPKsPsPKlPlN2at6native12_GLOBAL__N_18offset_tEEE10hipError_tPvRmT1_PNSt15iterator_traitsISK_E10value_typeET2_T3_PNSL_ISQ_E10value_typeET4_jRbjT5_SW_jjP12ihipStream_tbEUlT_E2_NS1_11comp_targetILNS1_3genE9ELNS1_11target_archE1100ELNS1_3gpuE3ELNS1_3repE0EEENS1_30default_config_static_selectorELNS0_4arch9wavefront6targetE1EEEvSK_,comdat
.Lfunc_end1051:
	.size	_ZN7rocprim17ROCPRIM_400000_NS6detail17trampoline_kernelINS0_14default_configENS1_36segmented_radix_sort_config_selectorIslEEZNS1_25segmented_radix_sort_implIS3_Lb0EPKsPsPKlPlN2at6native12_GLOBAL__N_18offset_tEEE10hipError_tPvRmT1_PNSt15iterator_traitsISK_E10value_typeET2_T3_PNSL_ISQ_E10value_typeET4_jRbjT5_SW_jjP12ihipStream_tbEUlT_E2_NS1_11comp_targetILNS1_3genE9ELNS1_11target_archE1100ELNS1_3gpuE3ELNS1_3repE0EEENS1_30default_config_static_selectorELNS0_4arch9wavefront6targetE1EEEvSK_, .Lfunc_end1051-_ZN7rocprim17ROCPRIM_400000_NS6detail17trampoline_kernelINS0_14default_configENS1_36segmented_radix_sort_config_selectorIslEEZNS1_25segmented_radix_sort_implIS3_Lb0EPKsPsPKlPlN2at6native12_GLOBAL__N_18offset_tEEE10hipError_tPvRmT1_PNSt15iterator_traitsISK_E10value_typeET2_T3_PNSL_ISQ_E10value_typeET4_jRbjT5_SW_jjP12ihipStream_tbEUlT_E2_NS1_11comp_targetILNS1_3genE9ELNS1_11target_archE1100ELNS1_3gpuE3ELNS1_3repE0EEENS1_30default_config_static_selectorELNS0_4arch9wavefront6targetE1EEEvSK_
                                        ; -- End function
	.set _ZN7rocprim17ROCPRIM_400000_NS6detail17trampoline_kernelINS0_14default_configENS1_36segmented_radix_sort_config_selectorIslEEZNS1_25segmented_radix_sort_implIS3_Lb0EPKsPsPKlPlN2at6native12_GLOBAL__N_18offset_tEEE10hipError_tPvRmT1_PNSt15iterator_traitsISK_E10value_typeET2_T3_PNSL_ISQ_E10value_typeET4_jRbjT5_SW_jjP12ihipStream_tbEUlT_E2_NS1_11comp_targetILNS1_3genE9ELNS1_11target_archE1100ELNS1_3gpuE3ELNS1_3repE0EEENS1_30default_config_static_selectorELNS0_4arch9wavefront6targetE1EEEvSK_.num_vgpr, 0
	.set _ZN7rocprim17ROCPRIM_400000_NS6detail17trampoline_kernelINS0_14default_configENS1_36segmented_radix_sort_config_selectorIslEEZNS1_25segmented_radix_sort_implIS3_Lb0EPKsPsPKlPlN2at6native12_GLOBAL__N_18offset_tEEE10hipError_tPvRmT1_PNSt15iterator_traitsISK_E10value_typeET2_T3_PNSL_ISQ_E10value_typeET4_jRbjT5_SW_jjP12ihipStream_tbEUlT_E2_NS1_11comp_targetILNS1_3genE9ELNS1_11target_archE1100ELNS1_3gpuE3ELNS1_3repE0EEENS1_30default_config_static_selectorELNS0_4arch9wavefront6targetE1EEEvSK_.num_agpr, 0
	.set _ZN7rocprim17ROCPRIM_400000_NS6detail17trampoline_kernelINS0_14default_configENS1_36segmented_radix_sort_config_selectorIslEEZNS1_25segmented_radix_sort_implIS3_Lb0EPKsPsPKlPlN2at6native12_GLOBAL__N_18offset_tEEE10hipError_tPvRmT1_PNSt15iterator_traitsISK_E10value_typeET2_T3_PNSL_ISQ_E10value_typeET4_jRbjT5_SW_jjP12ihipStream_tbEUlT_E2_NS1_11comp_targetILNS1_3genE9ELNS1_11target_archE1100ELNS1_3gpuE3ELNS1_3repE0EEENS1_30default_config_static_selectorELNS0_4arch9wavefront6targetE1EEEvSK_.numbered_sgpr, 0
	.set _ZN7rocprim17ROCPRIM_400000_NS6detail17trampoline_kernelINS0_14default_configENS1_36segmented_radix_sort_config_selectorIslEEZNS1_25segmented_radix_sort_implIS3_Lb0EPKsPsPKlPlN2at6native12_GLOBAL__N_18offset_tEEE10hipError_tPvRmT1_PNSt15iterator_traitsISK_E10value_typeET2_T3_PNSL_ISQ_E10value_typeET4_jRbjT5_SW_jjP12ihipStream_tbEUlT_E2_NS1_11comp_targetILNS1_3genE9ELNS1_11target_archE1100ELNS1_3gpuE3ELNS1_3repE0EEENS1_30default_config_static_selectorELNS0_4arch9wavefront6targetE1EEEvSK_.num_named_barrier, 0
	.set _ZN7rocprim17ROCPRIM_400000_NS6detail17trampoline_kernelINS0_14default_configENS1_36segmented_radix_sort_config_selectorIslEEZNS1_25segmented_radix_sort_implIS3_Lb0EPKsPsPKlPlN2at6native12_GLOBAL__N_18offset_tEEE10hipError_tPvRmT1_PNSt15iterator_traitsISK_E10value_typeET2_T3_PNSL_ISQ_E10value_typeET4_jRbjT5_SW_jjP12ihipStream_tbEUlT_E2_NS1_11comp_targetILNS1_3genE9ELNS1_11target_archE1100ELNS1_3gpuE3ELNS1_3repE0EEENS1_30default_config_static_selectorELNS0_4arch9wavefront6targetE1EEEvSK_.private_seg_size, 0
	.set _ZN7rocprim17ROCPRIM_400000_NS6detail17trampoline_kernelINS0_14default_configENS1_36segmented_radix_sort_config_selectorIslEEZNS1_25segmented_radix_sort_implIS3_Lb0EPKsPsPKlPlN2at6native12_GLOBAL__N_18offset_tEEE10hipError_tPvRmT1_PNSt15iterator_traitsISK_E10value_typeET2_T3_PNSL_ISQ_E10value_typeET4_jRbjT5_SW_jjP12ihipStream_tbEUlT_E2_NS1_11comp_targetILNS1_3genE9ELNS1_11target_archE1100ELNS1_3gpuE3ELNS1_3repE0EEENS1_30default_config_static_selectorELNS0_4arch9wavefront6targetE1EEEvSK_.uses_vcc, 0
	.set _ZN7rocprim17ROCPRIM_400000_NS6detail17trampoline_kernelINS0_14default_configENS1_36segmented_radix_sort_config_selectorIslEEZNS1_25segmented_radix_sort_implIS3_Lb0EPKsPsPKlPlN2at6native12_GLOBAL__N_18offset_tEEE10hipError_tPvRmT1_PNSt15iterator_traitsISK_E10value_typeET2_T3_PNSL_ISQ_E10value_typeET4_jRbjT5_SW_jjP12ihipStream_tbEUlT_E2_NS1_11comp_targetILNS1_3genE9ELNS1_11target_archE1100ELNS1_3gpuE3ELNS1_3repE0EEENS1_30default_config_static_selectorELNS0_4arch9wavefront6targetE1EEEvSK_.uses_flat_scratch, 0
	.set _ZN7rocprim17ROCPRIM_400000_NS6detail17trampoline_kernelINS0_14default_configENS1_36segmented_radix_sort_config_selectorIslEEZNS1_25segmented_radix_sort_implIS3_Lb0EPKsPsPKlPlN2at6native12_GLOBAL__N_18offset_tEEE10hipError_tPvRmT1_PNSt15iterator_traitsISK_E10value_typeET2_T3_PNSL_ISQ_E10value_typeET4_jRbjT5_SW_jjP12ihipStream_tbEUlT_E2_NS1_11comp_targetILNS1_3genE9ELNS1_11target_archE1100ELNS1_3gpuE3ELNS1_3repE0EEENS1_30default_config_static_selectorELNS0_4arch9wavefront6targetE1EEEvSK_.has_dyn_sized_stack, 0
	.set _ZN7rocprim17ROCPRIM_400000_NS6detail17trampoline_kernelINS0_14default_configENS1_36segmented_radix_sort_config_selectorIslEEZNS1_25segmented_radix_sort_implIS3_Lb0EPKsPsPKlPlN2at6native12_GLOBAL__N_18offset_tEEE10hipError_tPvRmT1_PNSt15iterator_traitsISK_E10value_typeET2_T3_PNSL_ISQ_E10value_typeET4_jRbjT5_SW_jjP12ihipStream_tbEUlT_E2_NS1_11comp_targetILNS1_3genE9ELNS1_11target_archE1100ELNS1_3gpuE3ELNS1_3repE0EEENS1_30default_config_static_selectorELNS0_4arch9wavefront6targetE1EEEvSK_.has_recursion, 0
	.set _ZN7rocprim17ROCPRIM_400000_NS6detail17trampoline_kernelINS0_14default_configENS1_36segmented_radix_sort_config_selectorIslEEZNS1_25segmented_radix_sort_implIS3_Lb0EPKsPsPKlPlN2at6native12_GLOBAL__N_18offset_tEEE10hipError_tPvRmT1_PNSt15iterator_traitsISK_E10value_typeET2_T3_PNSL_ISQ_E10value_typeET4_jRbjT5_SW_jjP12ihipStream_tbEUlT_E2_NS1_11comp_targetILNS1_3genE9ELNS1_11target_archE1100ELNS1_3gpuE3ELNS1_3repE0EEENS1_30default_config_static_selectorELNS0_4arch9wavefront6targetE1EEEvSK_.has_indirect_call, 0
	.section	.AMDGPU.csdata,"",@progbits
; Kernel info:
; codeLenInByte = 0
; TotalNumSgprs: 4
; NumVgprs: 0
; ScratchSize: 0
; MemoryBound: 0
; FloatMode: 240
; IeeeMode: 1
; LDSByteSize: 0 bytes/workgroup (compile time only)
; SGPRBlocks: 0
; VGPRBlocks: 0
; NumSGPRsForWavesPerEU: 4
; NumVGPRsForWavesPerEU: 1
; Occupancy: 10
; WaveLimiterHint : 0
; COMPUTE_PGM_RSRC2:SCRATCH_EN: 0
; COMPUTE_PGM_RSRC2:USER_SGPR: 6
; COMPUTE_PGM_RSRC2:TRAP_HANDLER: 0
; COMPUTE_PGM_RSRC2:TGID_X_EN: 1
; COMPUTE_PGM_RSRC2:TGID_Y_EN: 0
; COMPUTE_PGM_RSRC2:TGID_Z_EN: 0
; COMPUTE_PGM_RSRC2:TIDIG_COMP_CNT: 0
	.section	.text._ZN7rocprim17ROCPRIM_400000_NS6detail17trampoline_kernelINS0_14default_configENS1_36segmented_radix_sort_config_selectorIslEEZNS1_25segmented_radix_sort_implIS3_Lb0EPKsPsPKlPlN2at6native12_GLOBAL__N_18offset_tEEE10hipError_tPvRmT1_PNSt15iterator_traitsISK_E10value_typeET2_T3_PNSL_ISQ_E10value_typeET4_jRbjT5_SW_jjP12ihipStream_tbEUlT_E2_NS1_11comp_targetILNS1_3genE8ELNS1_11target_archE1030ELNS1_3gpuE2ELNS1_3repE0EEENS1_30default_config_static_selectorELNS0_4arch9wavefront6targetE1EEEvSK_,"axG",@progbits,_ZN7rocprim17ROCPRIM_400000_NS6detail17trampoline_kernelINS0_14default_configENS1_36segmented_radix_sort_config_selectorIslEEZNS1_25segmented_radix_sort_implIS3_Lb0EPKsPsPKlPlN2at6native12_GLOBAL__N_18offset_tEEE10hipError_tPvRmT1_PNSt15iterator_traitsISK_E10value_typeET2_T3_PNSL_ISQ_E10value_typeET4_jRbjT5_SW_jjP12ihipStream_tbEUlT_E2_NS1_11comp_targetILNS1_3genE8ELNS1_11target_archE1030ELNS1_3gpuE2ELNS1_3repE0EEENS1_30default_config_static_selectorELNS0_4arch9wavefront6targetE1EEEvSK_,comdat
	.globl	_ZN7rocprim17ROCPRIM_400000_NS6detail17trampoline_kernelINS0_14default_configENS1_36segmented_radix_sort_config_selectorIslEEZNS1_25segmented_radix_sort_implIS3_Lb0EPKsPsPKlPlN2at6native12_GLOBAL__N_18offset_tEEE10hipError_tPvRmT1_PNSt15iterator_traitsISK_E10value_typeET2_T3_PNSL_ISQ_E10value_typeET4_jRbjT5_SW_jjP12ihipStream_tbEUlT_E2_NS1_11comp_targetILNS1_3genE8ELNS1_11target_archE1030ELNS1_3gpuE2ELNS1_3repE0EEENS1_30default_config_static_selectorELNS0_4arch9wavefront6targetE1EEEvSK_ ; -- Begin function _ZN7rocprim17ROCPRIM_400000_NS6detail17trampoline_kernelINS0_14default_configENS1_36segmented_radix_sort_config_selectorIslEEZNS1_25segmented_radix_sort_implIS3_Lb0EPKsPsPKlPlN2at6native12_GLOBAL__N_18offset_tEEE10hipError_tPvRmT1_PNSt15iterator_traitsISK_E10value_typeET2_T3_PNSL_ISQ_E10value_typeET4_jRbjT5_SW_jjP12ihipStream_tbEUlT_E2_NS1_11comp_targetILNS1_3genE8ELNS1_11target_archE1030ELNS1_3gpuE2ELNS1_3repE0EEENS1_30default_config_static_selectorELNS0_4arch9wavefront6targetE1EEEvSK_
	.p2align	8
	.type	_ZN7rocprim17ROCPRIM_400000_NS6detail17trampoline_kernelINS0_14default_configENS1_36segmented_radix_sort_config_selectorIslEEZNS1_25segmented_radix_sort_implIS3_Lb0EPKsPsPKlPlN2at6native12_GLOBAL__N_18offset_tEEE10hipError_tPvRmT1_PNSt15iterator_traitsISK_E10value_typeET2_T3_PNSL_ISQ_E10value_typeET4_jRbjT5_SW_jjP12ihipStream_tbEUlT_E2_NS1_11comp_targetILNS1_3genE8ELNS1_11target_archE1030ELNS1_3gpuE2ELNS1_3repE0EEENS1_30default_config_static_selectorELNS0_4arch9wavefront6targetE1EEEvSK_,@function
_ZN7rocprim17ROCPRIM_400000_NS6detail17trampoline_kernelINS0_14default_configENS1_36segmented_radix_sort_config_selectorIslEEZNS1_25segmented_radix_sort_implIS3_Lb0EPKsPsPKlPlN2at6native12_GLOBAL__N_18offset_tEEE10hipError_tPvRmT1_PNSt15iterator_traitsISK_E10value_typeET2_T3_PNSL_ISQ_E10value_typeET4_jRbjT5_SW_jjP12ihipStream_tbEUlT_E2_NS1_11comp_targetILNS1_3genE8ELNS1_11target_archE1030ELNS1_3gpuE2ELNS1_3repE0EEENS1_30default_config_static_selectorELNS0_4arch9wavefront6targetE1EEEvSK_: ; @_ZN7rocprim17ROCPRIM_400000_NS6detail17trampoline_kernelINS0_14default_configENS1_36segmented_radix_sort_config_selectorIslEEZNS1_25segmented_radix_sort_implIS3_Lb0EPKsPsPKlPlN2at6native12_GLOBAL__N_18offset_tEEE10hipError_tPvRmT1_PNSt15iterator_traitsISK_E10value_typeET2_T3_PNSL_ISQ_E10value_typeET4_jRbjT5_SW_jjP12ihipStream_tbEUlT_E2_NS1_11comp_targetILNS1_3genE8ELNS1_11target_archE1030ELNS1_3gpuE2ELNS1_3repE0EEENS1_30default_config_static_selectorELNS0_4arch9wavefront6targetE1EEEvSK_
; %bb.0:
	.section	.rodata,"a",@progbits
	.p2align	6, 0x0
	.amdhsa_kernel _ZN7rocprim17ROCPRIM_400000_NS6detail17trampoline_kernelINS0_14default_configENS1_36segmented_radix_sort_config_selectorIslEEZNS1_25segmented_radix_sort_implIS3_Lb0EPKsPsPKlPlN2at6native12_GLOBAL__N_18offset_tEEE10hipError_tPvRmT1_PNSt15iterator_traitsISK_E10value_typeET2_T3_PNSL_ISQ_E10value_typeET4_jRbjT5_SW_jjP12ihipStream_tbEUlT_E2_NS1_11comp_targetILNS1_3genE8ELNS1_11target_archE1030ELNS1_3gpuE2ELNS1_3repE0EEENS1_30default_config_static_selectorELNS0_4arch9wavefront6targetE1EEEvSK_
		.amdhsa_group_segment_fixed_size 0
		.amdhsa_private_segment_fixed_size 0
		.amdhsa_kernarg_size 80
		.amdhsa_user_sgpr_count 6
		.amdhsa_user_sgpr_private_segment_buffer 1
		.amdhsa_user_sgpr_dispatch_ptr 0
		.amdhsa_user_sgpr_queue_ptr 0
		.amdhsa_user_sgpr_kernarg_segment_ptr 1
		.amdhsa_user_sgpr_dispatch_id 0
		.amdhsa_user_sgpr_flat_scratch_init 0
		.amdhsa_user_sgpr_private_segment_size 0
		.amdhsa_uses_dynamic_stack 0
		.amdhsa_system_sgpr_private_segment_wavefront_offset 0
		.amdhsa_system_sgpr_workgroup_id_x 1
		.amdhsa_system_sgpr_workgroup_id_y 0
		.amdhsa_system_sgpr_workgroup_id_z 0
		.amdhsa_system_sgpr_workgroup_info 0
		.amdhsa_system_vgpr_workitem_id 0
		.amdhsa_next_free_vgpr 1
		.amdhsa_next_free_sgpr 0
		.amdhsa_reserve_vcc 0
		.amdhsa_reserve_flat_scratch 0
		.amdhsa_float_round_mode_32 0
		.amdhsa_float_round_mode_16_64 0
		.amdhsa_float_denorm_mode_32 3
		.amdhsa_float_denorm_mode_16_64 3
		.amdhsa_dx10_clamp 1
		.amdhsa_ieee_mode 1
		.amdhsa_fp16_overflow 0
		.amdhsa_exception_fp_ieee_invalid_op 0
		.amdhsa_exception_fp_denorm_src 0
		.amdhsa_exception_fp_ieee_div_zero 0
		.amdhsa_exception_fp_ieee_overflow 0
		.amdhsa_exception_fp_ieee_underflow 0
		.amdhsa_exception_fp_ieee_inexact 0
		.amdhsa_exception_int_div_zero 0
	.end_amdhsa_kernel
	.section	.text._ZN7rocprim17ROCPRIM_400000_NS6detail17trampoline_kernelINS0_14default_configENS1_36segmented_radix_sort_config_selectorIslEEZNS1_25segmented_radix_sort_implIS3_Lb0EPKsPsPKlPlN2at6native12_GLOBAL__N_18offset_tEEE10hipError_tPvRmT1_PNSt15iterator_traitsISK_E10value_typeET2_T3_PNSL_ISQ_E10value_typeET4_jRbjT5_SW_jjP12ihipStream_tbEUlT_E2_NS1_11comp_targetILNS1_3genE8ELNS1_11target_archE1030ELNS1_3gpuE2ELNS1_3repE0EEENS1_30default_config_static_selectorELNS0_4arch9wavefront6targetE1EEEvSK_,"axG",@progbits,_ZN7rocprim17ROCPRIM_400000_NS6detail17trampoline_kernelINS0_14default_configENS1_36segmented_radix_sort_config_selectorIslEEZNS1_25segmented_radix_sort_implIS3_Lb0EPKsPsPKlPlN2at6native12_GLOBAL__N_18offset_tEEE10hipError_tPvRmT1_PNSt15iterator_traitsISK_E10value_typeET2_T3_PNSL_ISQ_E10value_typeET4_jRbjT5_SW_jjP12ihipStream_tbEUlT_E2_NS1_11comp_targetILNS1_3genE8ELNS1_11target_archE1030ELNS1_3gpuE2ELNS1_3repE0EEENS1_30default_config_static_selectorELNS0_4arch9wavefront6targetE1EEEvSK_,comdat
.Lfunc_end1052:
	.size	_ZN7rocprim17ROCPRIM_400000_NS6detail17trampoline_kernelINS0_14default_configENS1_36segmented_radix_sort_config_selectorIslEEZNS1_25segmented_radix_sort_implIS3_Lb0EPKsPsPKlPlN2at6native12_GLOBAL__N_18offset_tEEE10hipError_tPvRmT1_PNSt15iterator_traitsISK_E10value_typeET2_T3_PNSL_ISQ_E10value_typeET4_jRbjT5_SW_jjP12ihipStream_tbEUlT_E2_NS1_11comp_targetILNS1_3genE8ELNS1_11target_archE1030ELNS1_3gpuE2ELNS1_3repE0EEENS1_30default_config_static_selectorELNS0_4arch9wavefront6targetE1EEEvSK_, .Lfunc_end1052-_ZN7rocprim17ROCPRIM_400000_NS6detail17trampoline_kernelINS0_14default_configENS1_36segmented_radix_sort_config_selectorIslEEZNS1_25segmented_radix_sort_implIS3_Lb0EPKsPsPKlPlN2at6native12_GLOBAL__N_18offset_tEEE10hipError_tPvRmT1_PNSt15iterator_traitsISK_E10value_typeET2_T3_PNSL_ISQ_E10value_typeET4_jRbjT5_SW_jjP12ihipStream_tbEUlT_E2_NS1_11comp_targetILNS1_3genE8ELNS1_11target_archE1030ELNS1_3gpuE2ELNS1_3repE0EEENS1_30default_config_static_selectorELNS0_4arch9wavefront6targetE1EEEvSK_
                                        ; -- End function
	.set _ZN7rocprim17ROCPRIM_400000_NS6detail17trampoline_kernelINS0_14default_configENS1_36segmented_radix_sort_config_selectorIslEEZNS1_25segmented_radix_sort_implIS3_Lb0EPKsPsPKlPlN2at6native12_GLOBAL__N_18offset_tEEE10hipError_tPvRmT1_PNSt15iterator_traitsISK_E10value_typeET2_T3_PNSL_ISQ_E10value_typeET4_jRbjT5_SW_jjP12ihipStream_tbEUlT_E2_NS1_11comp_targetILNS1_3genE8ELNS1_11target_archE1030ELNS1_3gpuE2ELNS1_3repE0EEENS1_30default_config_static_selectorELNS0_4arch9wavefront6targetE1EEEvSK_.num_vgpr, 0
	.set _ZN7rocprim17ROCPRIM_400000_NS6detail17trampoline_kernelINS0_14default_configENS1_36segmented_radix_sort_config_selectorIslEEZNS1_25segmented_radix_sort_implIS3_Lb0EPKsPsPKlPlN2at6native12_GLOBAL__N_18offset_tEEE10hipError_tPvRmT1_PNSt15iterator_traitsISK_E10value_typeET2_T3_PNSL_ISQ_E10value_typeET4_jRbjT5_SW_jjP12ihipStream_tbEUlT_E2_NS1_11comp_targetILNS1_3genE8ELNS1_11target_archE1030ELNS1_3gpuE2ELNS1_3repE0EEENS1_30default_config_static_selectorELNS0_4arch9wavefront6targetE1EEEvSK_.num_agpr, 0
	.set _ZN7rocprim17ROCPRIM_400000_NS6detail17trampoline_kernelINS0_14default_configENS1_36segmented_radix_sort_config_selectorIslEEZNS1_25segmented_radix_sort_implIS3_Lb0EPKsPsPKlPlN2at6native12_GLOBAL__N_18offset_tEEE10hipError_tPvRmT1_PNSt15iterator_traitsISK_E10value_typeET2_T3_PNSL_ISQ_E10value_typeET4_jRbjT5_SW_jjP12ihipStream_tbEUlT_E2_NS1_11comp_targetILNS1_3genE8ELNS1_11target_archE1030ELNS1_3gpuE2ELNS1_3repE0EEENS1_30default_config_static_selectorELNS0_4arch9wavefront6targetE1EEEvSK_.numbered_sgpr, 0
	.set _ZN7rocprim17ROCPRIM_400000_NS6detail17trampoline_kernelINS0_14default_configENS1_36segmented_radix_sort_config_selectorIslEEZNS1_25segmented_radix_sort_implIS3_Lb0EPKsPsPKlPlN2at6native12_GLOBAL__N_18offset_tEEE10hipError_tPvRmT1_PNSt15iterator_traitsISK_E10value_typeET2_T3_PNSL_ISQ_E10value_typeET4_jRbjT5_SW_jjP12ihipStream_tbEUlT_E2_NS1_11comp_targetILNS1_3genE8ELNS1_11target_archE1030ELNS1_3gpuE2ELNS1_3repE0EEENS1_30default_config_static_selectorELNS0_4arch9wavefront6targetE1EEEvSK_.num_named_barrier, 0
	.set _ZN7rocprim17ROCPRIM_400000_NS6detail17trampoline_kernelINS0_14default_configENS1_36segmented_radix_sort_config_selectorIslEEZNS1_25segmented_radix_sort_implIS3_Lb0EPKsPsPKlPlN2at6native12_GLOBAL__N_18offset_tEEE10hipError_tPvRmT1_PNSt15iterator_traitsISK_E10value_typeET2_T3_PNSL_ISQ_E10value_typeET4_jRbjT5_SW_jjP12ihipStream_tbEUlT_E2_NS1_11comp_targetILNS1_3genE8ELNS1_11target_archE1030ELNS1_3gpuE2ELNS1_3repE0EEENS1_30default_config_static_selectorELNS0_4arch9wavefront6targetE1EEEvSK_.private_seg_size, 0
	.set _ZN7rocprim17ROCPRIM_400000_NS6detail17trampoline_kernelINS0_14default_configENS1_36segmented_radix_sort_config_selectorIslEEZNS1_25segmented_radix_sort_implIS3_Lb0EPKsPsPKlPlN2at6native12_GLOBAL__N_18offset_tEEE10hipError_tPvRmT1_PNSt15iterator_traitsISK_E10value_typeET2_T3_PNSL_ISQ_E10value_typeET4_jRbjT5_SW_jjP12ihipStream_tbEUlT_E2_NS1_11comp_targetILNS1_3genE8ELNS1_11target_archE1030ELNS1_3gpuE2ELNS1_3repE0EEENS1_30default_config_static_selectorELNS0_4arch9wavefront6targetE1EEEvSK_.uses_vcc, 0
	.set _ZN7rocprim17ROCPRIM_400000_NS6detail17trampoline_kernelINS0_14default_configENS1_36segmented_radix_sort_config_selectorIslEEZNS1_25segmented_radix_sort_implIS3_Lb0EPKsPsPKlPlN2at6native12_GLOBAL__N_18offset_tEEE10hipError_tPvRmT1_PNSt15iterator_traitsISK_E10value_typeET2_T3_PNSL_ISQ_E10value_typeET4_jRbjT5_SW_jjP12ihipStream_tbEUlT_E2_NS1_11comp_targetILNS1_3genE8ELNS1_11target_archE1030ELNS1_3gpuE2ELNS1_3repE0EEENS1_30default_config_static_selectorELNS0_4arch9wavefront6targetE1EEEvSK_.uses_flat_scratch, 0
	.set _ZN7rocprim17ROCPRIM_400000_NS6detail17trampoline_kernelINS0_14default_configENS1_36segmented_radix_sort_config_selectorIslEEZNS1_25segmented_radix_sort_implIS3_Lb0EPKsPsPKlPlN2at6native12_GLOBAL__N_18offset_tEEE10hipError_tPvRmT1_PNSt15iterator_traitsISK_E10value_typeET2_T3_PNSL_ISQ_E10value_typeET4_jRbjT5_SW_jjP12ihipStream_tbEUlT_E2_NS1_11comp_targetILNS1_3genE8ELNS1_11target_archE1030ELNS1_3gpuE2ELNS1_3repE0EEENS1_30default_config_static_selectorELNS0_4arch9wavefront6targetE1EEEvSK_.has_dyn_sized_stack, 0
	.set _ZN7rocprim17ROCPRIM_400000_NS6detail17trampoline_kernelINS0_14default_configENS1_36segmented_radix_sort_config_selectorIslEEZNS1_25segmented_radix_sort_implIS3_Lb0EPKsPsPKlPlN2at6native12_GLOBAL__N_18offset_tEEE10hipError_tPvRmT1_PNSt15iterator_traitsISK_E10value_typeET2_T3_PNSL_ISQ_E10value_typeET4_jRbjT5_SW_jjP12ihipStream_tbEUlT_E2_NS1_11comp_targetILNS1_3genE8ELNS1_11target_archE1030ELNS1_3gpuE2ELNS1_3repE0EEENS1_30default_config_static_selectorELNS0_4arch9wavefront6targetE1EEEvSK_.has_recursion, 0
	.set _ZN7rocprim17ROCPRIM_400000_NS6detail17trampoline_kernelINS0_14default_configENS1_36segmented_radix_sort_config_selectorIslEEZNS1_25segmented_radix_sort_implIS3_Lb0EPKsPsPKlPlN2at6native12_GLOBAL__N_18offset_tEEE10hipError_tPvRmT1_PNSt15iterator_traitsISK_E10value_typeET2_T3_PNSL_ISQ_E10value_typeET4_jRbjT5_SW_jjP12ihipStream_tbEUlT_E2_NS1_11comp_targetILNS1_3genE8ELNS1_11target_archE1030ELNS1_3gpuE2ELNS1_3repE0EEENS1_30default_config_static_selectorELNS0_4arch9wavefront6targetE1EEEvSK_.has_indirect_call, 0
	.section	.AMDGPU.csdata,"",@progbits
; Kernel info:
; codeLenInByte = 0
; TotalNumSgprs: 4
; NumVgprs: 0
; ScratchSize: 0
; MemoryBound: 0
; FloatMode: 240
; IeeeMode: 1
; LDSByteSize: 0 bytes/workgroup (compile time only)
; SGPRBlocks: 0
; VGPRBlocks: 0
; NumSGPRsForWavesPerEU: 4
; NumVGPRsForWavesPerEU: 1
; Occupancy: 10
; WaveLimiterHint : 0
; COMPUTE_PGM_RSRC2:SCRATCH_EN: 0
; COMPUTE_PGM_RSRC2:USER_SGPR: 6
; COMPUTE_PGM_RSRC2:TRAP_HANDLER: 0
; COMPUTE_PGM_RSRC2:TGID_X_EN: 1
; COMPUTE_PGM_RSRC2:TGID_Y_EN: 0
; COMPUTE_PGM_RSRC2:TGID_Z_EN: 0
; COMPUTE_PGM_RSRC2:TIDIG_COMP_CNT: 0
	.section	.text._ZN2at6native12_GLOBAL__N_123sort_postprocess_kernelIdEEvPKT_PS3_PlPK15HIP_vector_typeIiLj2EEii,"axG",@progbits,_ZN2at6native12_GLOBAL__N_123sort_postprocess_kernelIdEEvPKT_PS3_PlPK15HIP_vector_typeIiLj2EEii,comdat
	.globl	_ZN2at6native12_GLOBAL__N_123sort_postprocess_kernelIdEEvPKT_PS3_PlPK15HIP_vector_typeIiLj2EEii ; -- Begin function _ZN2at6native12_GLOBAL__N_123sort_postprocess_kernelIdEEvPKT_PS3_PlPK15HIP_vector_typeIiLj2EEii
	.p2align	8
	.type	_ZN2at6native12_GLOBAL__N_123sort_postprocess_kernelIdEEvPKT_PS3_PlPK15HIP_vector_typeIiLj2EEii,@function
_ZN2at6native12_GLOBAL__N_123sort_postprocess_kernelIdEEvPKT_PS3_PlPK15HIP_vector_typeIiLj2EEii: ; @_ZN2at6native12_GLOBAL__N_123sort_postprocess_kernelIdEEvPKT_PS3_PlPK15HIP_vector_typeIiLj2EEii
; %bb.0:
	s_load_dword s0, s[4:5], 0x34
	s_load_dwordx2 s[8:9], s[4:5], 0x20
	s_add_u32 s2, s4, 40
	s_addc_u32 s3, s5, 0
	s_waitcnt lgkmcnt(0)
	s_and_b32 s17, s0, 0xffff
	s_mul_hi_u32 s16, s17, s6
	s_mul_i32 s6, s17, s6
	v_mov_b32_e32 v2, s16
	v_add_co_u32_e32 v1, vcc, s6, v0
	s_mul_i32 s0, s9, s8
	v_addc_co_u32_e32 v2, vcc, 0, v2, vcc
	s_ashr_i32 s1, s0, 31
	v_cmp_gt_i64_e32 vcc, s[0:1], v[1:2]
	v_mov_b32_e32 v1, 0
	s_and_saveexec_b64 s[10:11], vcc
	s_cbranch_execz .LBB1053_3
; %bb.1:
	s_abs_i32 s7, s9
	v_cvt_f32_u32_e32 v2, s7
	s_load_dword s18, s[2:3], 0x0
	s_load_dwordx8 s[8:15], s[4:5], 0x0
	s_sub_i32 s2, 0, s7
	v_rcp_iflag_f32_e32 v2, v2
	s_waitcnt lgkmcnt(0)
	s_mul_i32 s4, s18, s17
	v_mov_b32_e32 v4, s13
	v_mov_b32_e32 v5, s15
	v_mul_f32_e32 v2, 0x4f7ffffe, v2
	v_cvt_u32_f32_e32 v6, v2
	v_mov_b32_e32 v2, s9
	v_mul_lo_u32 v3, s2, v6
	s_mov_b64 s[2:3], 0
	v_mul_hi_u32 v7, v6, v3
	v_mov_b32_e32 v3, s11
	v_add_u32_e32 v6, v6, v7
	v_mov_b32_e32 v7, s16
.LBB1053_2:                             ; =>This Inner Loop Header: Depth=1
	v_add_u32_e32 v8, s6, v0
	v_ashrrev_i32_e32 v9, 31, v8
	v_sub_u32_e32 v10, 0, v8
	v_add_u32_e32 v11, v8, v9
	v_max_i32_e32 v8, v8, v10
	v_mul_hi_u32 v10, v8, v6
	v_mul_lo_u32 v10, v10, s7
	v_sub_u32_e32 v8, v8, v10
	v_subrev_u32_e32 v10, s7, v8
	v_cmp_le_u32_e32 vcc, s7, v8
	v_cndmask_b32_e32 v8, v8, v10, vcc
	v_subrev_u32_e32 v10, s7, v8
	v_cmp_le_u32_e32 vcc, s7, v8
	v_cndmask_b32_e32 v8, v8, v10, vcc
	v_xor_b32_e32 v10, v8, v9
	v_sub_u32_e32 v8, v10, v9
	v_sub_u32_e32 v10, v11, v10
	v_ashrrev_i32_e32 v11, 31, v10
	v_lshlrev_b64 v[10:11], 3, v[10:11]
	v_ashrrev_i32_e32 v9, 31, v8
	v_lshlrev_b64 v[8:9], 3, v[8:9]
	v_add_co_u32_e32 v12, vcc, s14, v10
	v_addc_co_u32_e32 v13, vcc, v5, v11, vcc
	v_add_co_u32_e32 v12, vcc, v12, v8
	v_addc_co_u32_e32 v13, vcc, v13, v9, vcc
	global_load_dword v12, v[12:13], off offset:4
	v_add_co_u32_e32 v16, vcc, s8, v10
	v_addc_co_u32_e32 v17, vcc, v2, v11, vcc
	s_waitcnt vmcnt(0)
	v_ashrrev_i32_e32 v13, 31, v12
	v_lshlrev_b64 v[14:15], 3, v[12:13]
	v_add_co_u32_e32 v14, vcc, v16, v14
	v_addc_co_u32_e32 v15, vcc, v17, v15, vcc
	global_load_dwordx2 v[14:15], v[14:15], off
	v_add_co_u32_e32 v0, vcc, s4, v0
	v_addc_co_u32_e32 v1, vcc, 0, v1, vcc
	v_add_co_u32_e32 v16, vcc, s6, v0
	v_addc_co_u32_e32 v17, vcc, v7, v1, vcc
	v_cmp_le_i64_e32 vcc, s[0:1], v[16:17]
	s_or_b64 s[2:3], vcc, s[2:3]
	v_add_co_u32_e32 v16, vcc, s10, v10
	v_addc_co_u32_e32 v17, vcc, v3, v11, vcc
	v_add_co_u32_e32 v10, vcc, s12, v10
	v_addc_co_u32_e32 v11, vcc, v4, v11, vcc
	;; [unrolled: 2-line block ×4, first 2 shown]
	global_store_dwordx2 v[10:11], v[12:13], off
	s_waitcnt vmcnt(1)
	global_store_dwordx2 v[8:9], v[14:15], off
	s_andn2_b64 exec, exec, s[2:3]
	s_cbranch_execnz .LBB1053_2
.LBB1053_3:
	s_endpgm
	.section	.rodata,"a",@progbits
	.p2align	6, 0x0
	.amdhsa_kernel _ZN2at6native12_GLOBAL__N_123sort_postprocess_kernelIdEEvPKT_PS3_PlPK15HIP_vector_typeIiLj2EEii
		.amdhsa_group_segment_fixed_size 0
		.amdhsa_private_segment_fixed_size 0
		.amdhsa_kernarg_size 296
		.amdhsa_user_sgpr_count 6
		.amdhsa_user_sgpr_private_segment_buffer 1
		.amdhsa_user_sgpr_dispatch_ptr 0
		.amdhsa_user_sgpr_queue_ptr 0
		.amdhsa_user_sgpr_kernarg_segment_ptr 1
		.amdhsa_user_sgpr_dispatch_id 0
		.amdhsa_user_sgpr_flat_scratch_init 0
		.amdhsa_user_sgpr_private_segment_size 0
		.amdhsa_uses_dynamic_stack 0
		.amdhsa_system_sgpr_private_segment_wavefront_offset 0
		.amdhsa_system_sgpr_workgroup_id_x 1
		.amdhsa_system_sgpr_workgroup_id_y 0
		.amdhsa_system_sgpr_workgroup_id_z 0
		.amdhsa_system_sgpr_workgroup_info 0
		.amdhsa_system_vgpr_workitem_id 0
		.amdhsa_next_free_vgpr 18
		.amdhsa_next_free_sgpr 19
		.amdhsa_reserve_vcc 1
		.amdhsa_reserve_flat_scratch 0
		.amdhsa_float_round_mode_32 0
		.amdhsa_float_round_mode_16_64 0
		.amdhsa_float_denorm_mode_32 3
		.amdhsa_float_denorm_mode_16_64 3
		.amdhsa_dx10_clamp 1
		.amdhsa_ieee_mode 1
		.amdhsa_fp16_overflow 0
		.amdhsa_exception_fp_ieee_invalid_op 0
		.amdhsa_exception_fp_denorm_src 0
		.amdhsa_exception_fp_ieee_div_zero 0
		.amdhsa_exception_fp_ieee_overflow 0
		.amdhsa_exception_fp_ieee_underflow 0
		.amdhsa_exception_fp_ieee_inexact 0
		.amdhsa_exception_int_div_zero 0
	.end_amdhsa_kernel
	.section	.text._ZN2at6native12_GLOBAL__N_123sort_postprocess_kernelIdEEvPKT_PS3_PlPK15HIP_vector_typeIiLj2EEii,"axG",@progbits,_ZN2at6native12_GLOBAL__N_123sort_postprocess_kernelIdEEvPKT_PS3_PlPK15HIP_vector_typeIiLj2EEii,comdat
.Lfunc_end1053:
	.size	_ZN2at6native12_GLOBAL__N_123sort_postprocess_kernelIdEEvPKT_PS3_PlPK15HIP_vector_typeIiLj2EEii, .Lfunc_end1053-_ZN2at6native12_GLOBAL__N_123sort_postprocess_kernelIdEEvPKT_PS3_PlPK15HIP_vector_typeIiLj2EEii
                                        ; -- End function
	.set _ZN2at6native12_GLOBAL__N_123sort_postprocess_kernelIdEEvPKT_PS3_PlPK15HIP_vector_typeIiLj2EEii.num_vgpr, 18
	.set _ZN2at6native12_GLOBAL__N_123sort_postprocess_kernelIdEEvPKT_PS3_PlPK15HIP_vector_typeIiLj2EEii.num_agpr, 0
	.set _ZN2at6native12_GLOBAL__N_123sort_postprocess_kernelIdEEvPKT_PS3_PlPK15HIP_vector_typeIiLj2EEii.numbered_sgpr, 19
	.set _ZN2at6native12_GLOBAL__N_123sort_postprocess_kernelIdEEvPKT_PS3_PlPK15HIP_vector_typeIiLj2EEii.num_named_barrier, 0
	.set _ZN2at6native12_GLOBAL__N_123sort_postprocess_kernelIdEEvPKT_PS3_PlPK15HIP_vector_typeIiLj2EEii.private_seg_size, 0
	.set _ZN2at6native12_GLOBAL__N_123sort_postprocess_kernelIdEEvPKT_PS3_PlPK15HIP_vector_typeIiLj2EEii.uses_vcc, 1
	.set _ZN2at6native12_GLOBAL__N_123sort_postprocess_kernelIdEEvPKT_PS3_PlPK15HIP_vector_typeIiLj2EEii.uses_flat_scratch, 0
	.set _ZN2at6native12_GLOBAL__N_123sort_postprocess_kernelIdEEvPKT_PS3_PlPK15HIP_vector_typeIiLj2EEii.has_dyn_sized_stack, 0
	.set _ZN2at6native12_GLOBAL__N_123sort_postprocess_kernelIdEEvPKT_PS3_PlPK15HIP_vector_typeIiLj2EEii.has_recursion, 0
	.set _ZN2at6native12_GLOBAL__N_123sort_postprocess_kernelIdEEvPKT_PS3_PlPK15HIP_vector_typeIiLj2EEii.has_indirect_call, 0
	.section	.AMDGPU.csdata,"",@progbits
; Kernel info:
; codeLenInByte = 428
; TotalNumSgprs: 23
; NumVgprs: 18
; ScratchSize: 0
; MemoryBound: 0
; FloatMode: 240
; IeeeMode: 1
; LDSByteSize: 0 bytes/workgroup (compile time only)
; SGPRBlocks: 2
; VGPRBlocks: 4
; NumSGPRsForWavesPerEU: 23
; NumVGPRsForWavesPerEU: 18
; Occupancy: 10
; WaveLimiterHint : 1
; COMPUTE_PGM_RSRC2:SCRATCH_EN: 0
; COMPUTE_PGM_RSRC2:USER_SGPR: 6
; COMPUTE_PGM_RSRC2:TRAP_HANDLER: 0
; COMPUTE_PGM_RSRC2:TGID_X_EN: 1
; COMPUTE_PGM_RSRC2:TGID_Y_EN: 0
; COMPUTE_PGM_RSRC2:TGID_Z_EN: 0
; COMPUTE_PGM_RSRC2:TIDIG_COMP_CNT: 0
	.section	.text._ZN7rocprim17ROCPRIM_400000_NS6detail17trampoline_kernelINS0_13select_configILj256ELj13ELNS0_17block_load_methodE3ELS4_3ELS4_3ELNS0_20block_scan_algorithmE0ELj4294967295EEENS1_25partition_config_selectorILNS1_17partition_subalgoE4EjNS0_10empty_typeEbEEZZNS1_14partition_implILS8_4ELb0ES6_15HIP_vector_typeIjLj2EENS0_17counting_iteratorIjlEEPS9_SG_NS0_5tupleIJPjSI_NS0_16reverse_iteratorISI_EEEEENSH_IJSG_SG_SG_EEES9_SI_JZNS1_25segmented_radix_sort_implINS0_14default_configELb1EPKdPdPKlPlN2at6native12_GLOBAL__N_18offset_tEEE10hipError_tPvRmT1_PNSt15iterator_traitsIS12_E10value_typeET2_T3_PNS13_IS18_E10value_typeET4_jRbjT5_S1E_jjP12ihipStream_tbEUljE_ZNSN_ISO_Lb1ESQ_SR_ST_SU_SY_EESZ_S10_S11_S12_S16_S17_S18_S1B_S1C_jS1D_jS1E_S1E_jjS1G_bEUljE0_EEESZ_S10_S11_S18_S1C_S1E_T6_T7_T9_mT8_S1G_bDpT10_ENKUlT_T0_E_clISt17integral_constantIbLb0EES1U_EEDaS1P_S1Q_EUlS1P_E_NS1_11comp_targetILNS1_3genE0ELNS1_11target_archE4294967295ELNS1_3gpuE0ELNS1_3repE0EEENS1_30default_config_static_selectorELNS0_4arch9wavefront6targetE1EEEvS12_,"axG",@progbits,_ZN7rocprim17ROCPRIM_400000_NS6detail17trampoline_kernelINS0_13select_configILj256ELj13ELNS0_17block_load_methodE3ELS4_3ELS4_3ELNS0_20block_scan_algorithmE0ELj4294967295EEENS1_25partition_config_selectorILNS1_17partition_subalgoE4EjNS0_10empty_typeEbEEZZNS1_14partition_implILS8_4ELb0ES6_15HIP_vector_typeIjLj2EENS0_17counting_iteratorIjlEEPS9_SG_NS0_5tupleIJPjSI_NS0_16reverse_iteratorISI_EEEEENSH_IJSG_SG_SG_EEES9_SI_JZNS1_25segmented_radix_sort_implINS0_14default_configELb1EPKdPdPKlPlN2at6native12_GLOBAL__N_18offset_tEEE10hipError_tPvRmT1_PNSt15iterator_traitsIS12_E10value_typeET2_T3_PNS13_IS18_E10value_typeET4_jRbjT5_S1E_jjP12ihipStream_tbEUljE_ZNSN_ISO_Lb1ESQ_SR_ST_SU_SY_EESZ_S10_S11_S12_S16_S17_S18_S1B_S1C_jS1D_jS1E_S1E_jjS1G_bEUljE0_EEESZ_S10_S11_S18_S1C_S1E_T6_T7_T9_mT8_S1G_bDpT10_ENKUlT_T0_E_clISt17integral_constantIbLb0EES1U_EEDaS1P_S1Q_EUlS1P_E_NS1_11comp_targetILNS1_3genE0ELNS1_11target_archE4294967295ELNS1_3gpuE0ELNS1_3repE0EEENS1_30default_config_static_selectorELNS0_4arch9wavefront6targetE1EEEvS12_,comdat
	.globl	_ZN7rocprim17ROCPRIM_400000_NS6detail17trampoline_kernelINS0_13select_configILj256ELj13ELNS0_17block_load_methodE3ELS4_3ELS4_3ELNS0_20block_scan_algorithmE0ELj4294967295EEENS1_25partition_config_selectorILNS1_17partition_subalgoE4EjNS0_10empty_typeEbEEZZNS1_14partition_implILS8_4ELb0ES6_15HIP_vector_typeIjLj2EENS0_17counting_iteratorIjlEEPS9_SG_NS0_5tupleIJPjSI_NS0_16reverse_iteratorISI_EEEEENSH_IJSG_SG_SG_EEES9_SI_JZNS1_25segmented_radix_sort_implINS0_14default_configELb1EPKdPdPKlPlN2at6native12_GLOBAL__N_18offset_tEEE10hipError_tPvRmT1_PNSt15iterator_traitsIS12_E10value_typeET2_T3_PNS13_IS18_E10value_typeET4_jRbjT5_S1E_jjP12ihipStream_tbEUljE_ZNSN_ISO_Lb1ESQ_SR_ST_SU_SY_EESZ_S10_S11_S12_S16_S17_S18_S1B_S1C_jS1D_jS1E_S1E_jjS1G_bEUljE0_EEESZ_S10_S11_S18_S1C_S1E_T6_T7_T9_mT8_S1G_bDpT10_ENKUlT_T0_E_clISt17integral_constantIbLb0EES1U_EEDaS1P_S1Q_EUlS1P_E_NS1_11comp_targetILNS1_3genE0ELNS1_11target_archE4294967295ELNS1_3gpuE0ELNS1_3repE0EEENS1_30default_config_static_selectorELNS0_4arch9wavefront6targetE1EEEvS12_ ; -- Begin function _ZN7rocprim17ROCPRIM_400000_NS6detail17trampoline_kernelINS0_13select_configILj256ELj13ELNS0_17block_load_methodE3ELS4_3ELS4_3ELNS0_20block_scan_algorithmE0ELj4294967295EEENS1_25partition_config_selectorILNS1_17partition_subalgoE4EjNS0_10empty_typeEbEEZZNS1_14partition_implILS8_4ELb0ES6_15HIP_vector_typeIjLj2EENS0_17counting_iteratorIjlEEPS9_SG_NS0_5tupleIJPjSI_NS0_16reverse_iteratorISI_EEEEENSH_IJSG_SG_SG_EEES9_SI_JZNS1_25segmented_radix_sort_implINS0_14default_configELb1EPKdPdPKlPlN2at6native12_GLOBAL__N_18offset_tEEE10hipError_tPvRmT1_PNSt15iterator_traitsIS12_E10value_typeET2_T3_PNS13_IS18_E10value_typeET4_jRbjT5_S1E_jjP12ihipStream_tbEUljE_ZNSN_ISO_Lb1ESQ_SR_ST_SU_SY_EESZ_S10_S11_S12_S16_S17_S18_S1B_S1C_jS1D_jS1E_S1E_jjS1G_bEUljE0_EEESZ_S10_S11_S18_S1C_S1E_T6_T7_T9_mT8_S1G_bDpT10_ENKUlT_T0_E_clISt17integral_constantIbLb0EES1U_EEDaS1P_S1Q_EUlS1P_E_NS1_11comp_targetILNS1_3genE0ELNS1_11target_archE4294967295ELNS1_3gpuE0ELNS1_3repE0EEENS1_30default_config_static_selectorELNS0_4arch9wavefront6targetE1EEEvS12_
	.p2align	8
	.type	_ZN7rocprim17ROCPRIM_400000_NS6detail17trampoline_kernelINS0_13select_configILj256ELj13ELNS0_17block_load_methodE3ELS4_3ELS4_3ELNS0_20block_scan_algorithmE0ELj4294967295EEENS1_25partition_config_selectorILNS1_17partition_subalgoE4EjNS0_10empty_typeEbEEZZNS1_14partition_implILS8_4ELb0ES6_15HIP_vector_typeIjLj2EENS0_17counting_iteratorIjlEEPS9_SG_NS0_5tupleIJPjSI_NS0_16reverse_iteratorISI_EEEEENSH_IJSG_SG_SG_EEES9_SI_JZNS1_25segmented_radix_sort_implINS0_14default_configELb1EPKdPdPKlPlN2at6native12_GLOBAL__N_18offset_tEEE10hipError_tPvRmT1_PNSt15iterator_traitsIS12_E10value_typeET2_T3_PNS13_IS18_E10value_typeET4_jRbjT5_S1E_jjP12ihipStream_tbEUljE_ZNSN_ISO_Lb1ESQ_SR_ST_SU_SY_EESZ_S10_S11_S12_S16_S17_S18_S1B_S1C_jS1D_jS1E_S1E_jjS1G_bEUljE0_EEESZ_S10_S11_S18_S1C_S1E_T6_T7_T9_mT8_S1G_bDpT10_ENKUlT_T0_E_clISt17integral_constantIbLb0EES1U_EEDaS1P_S1Q_EUlS1P_E_NS1_11comp_targetILNS1_3genE0ELNS1_11target_archE4294967295ELNS1_3gpuE0ELNS1_3repE0EEENS1_30default_config_static_selectorELNS0_4arch9wavefront6targetE1EEEvS12_,@function
_ZN7rocprim17ROCPRIM_400000_NS6detail17trampoline_kernelINS0_13select_configILj256ELj13ELNS0_17block_load_methodE3ELS4_3ELS4_3ELNS0_20block_scan_algorithmE0ELj4294967295EEENS1_25partition_config_selectorILNS1_17partition_subalgoE4EjNS0_10empty_typeEbEEZZNS1_14partition_implILS8_4ELb0ES6_15HIP_vector_typeIjLj2EENS0_17counting_iteratorIjlEEPS9_SG_NS0_5tupleIJPjSI_NS0_16reverse_iteratorISI_EEEEENSH_IJSG_SG_SG_EEES9_SI_JZNS1_25segmented_radix_sort_implINS0_14default_configELb1EPKdPdPKlPlN2at6native12_GLOBAL__N_18offset_tEEE10hipError_tPvRmT1_PNSt15iterator_traitsIS12_E10value_typeET2_T3_PNS13_IS18_E10value_typeET4_jRbjT5_S1E_jjP12ihipStream_tbEUljE_ZNSN_ISO_Lb1ESQ_SR_ST_SU_SY_EESZ_S10_S11_S12_S16_S17_S18_S1B_S1C_jS1D_jS1E_S1E_jjS1G_bEUljE0_EEESZ_S10_S11_S18_S1C_S1E_T6_T7_T9_mT8_S1G_bDpT10_ENKUlT_T0_E_clISt17integral_constantIbLb0EES1U_EEDaS1P_S1Q_EUlS1P_E_NS1_11comp_targetILNS1_3genE0ELNS1_11target_archE4294967295ELNS1_3gpuE0ELNS1_3repE0EEENS1_30default_config_static_selectorELNS0_4arch9wavefront6targetE1EEEvS12_: ; @_ZN7rocprim17ROCPRIM_400000_NS6detail17trampoline_kernelINS0_13select_configILj256ELj13ELNS0_17block_load_methodE3ELS4_3ELS4_3ELNS0_20block_scan_algorithmE0ELj4294967295EEENS1_25partition_config_selectorILNS1_17partition_subalgoE4EjNS0_10empty_typeEbEEZZNS1_14partition_implILS8_4ELb0ES6_15HIP_vector_typeIjLj2EENS0_17counting_iteratorIjlEEPS9_SG_NS0_5tupleIJPjSI_NS0_16reverse_iteratorISI_EEEEENSH_IJSG_SG_SG_EEES9_SI_JZNS1_25segmented_radix_sort_implINS0_14default_configELb1EPKdPdPKlPlN2at6native12_GLOBAL__N_18offset_tEEE10hipError_tPvRmT1_PNSt15iterator_traitsIS12_E10value_typeET2_T3_PNS13_IS18_E10value_typeET4_jRbjT5_S1E_jjP12ihipStream_tbEUljE_ZNSN_ISO_Lb1ESQ_SR_ST_SU_SY_EESZ_S10_S11_S12_S16_S17_S18_S1B_S1C_jS1D_jS1E_S1E_jjS1G_bEUljE0_EEESZ_S10_S11_S18_S1C_S1E_T6_T7_T9_mT8_S1G_bDpT10_ENKUlT_T0_E_clISt17integral_constantIbLb0EES1U_EEDaS1P_S1Q_EUlS1P_E_NS1_11comp_targetILNS1_3genE0ELNS1_11target_archE4294967295ELNS1_3gpuE0ELNS1_3repE0EEENS1_30default_config_static_selectorELNS0_4arch9wavefront6targetE1EEEvS12_
; %bb.0:
	.section	.rodata,"a",@progbits
	.p2align	6, 0x0
	.amdhsa_kernel _ZN7rocprim17ROCPRIM_400000_NS6detail17trampoline_kernelINS0_13select_configILj256ELj13ELNS0_17block_load_methodE3ELS4_3ELS4_3ELNS0_20block_scan_algorithmE0ELj4294967295EEENS1_25partition_config_selectorILNS1_17partition_subalgoE4EjNS0_10empty_typeEbEEZZNS1_14partition_implILS8_4ELb0ES6_15HIP_vector_typeIjLj2EENS0_17counting_iteratorIjlEEPS9_SG_NS0_5tupleIJPjSI_NS0_16reverse_iteratorISI_EEEEENSH_IJSG_SG_SG_EEES9_SI_JZNS1_25segmented_radix_sort_implINS0_14default_configELb1EPKdPdPKlPlN2at6native12_GLOBAL__N_18offset_tEEE10hipError_tPvRmT1_PNSt15iterator_traitsIS12_E10value_typeET2_T3_PNS13_IS18_E10value_typeET4_jRbjT5_S1E_jjP12ihipStream_tbEUljE_ZNSN_ISO_Lb1ESQ_SR_ST_SU_SY_EESZ_S10_S11_S12_S16_S17_S18_S1B_S1C_jS1D_jS1E_S1E_jjS1G_bEUljE0_EEESZ_S10_S11_S18_S1C_S1E_T6_T7_T9_mT8_S1G_bDpT10_ENKUlT_T0_E_clISt17integral_constantIbLb0EES1U_EEDaS1P_S1Q_EUlS1P_E_NS1_11comp_targetILNS1_3genE0ELNS1_11target_archE4294967295ELNS1_3gpuE0ELNS1_3repE0EEENS1_30default_config_static_selectorELNS0_4arch9wavefront6targetE1EEEvS12_
		.amdhsa_group_segment_fixed_size 0
		.amdhsa_private_segment_fixed_size 0
		.amdhsa_kernarg_size 176
		.amdhsa_user_sgpr_count 6
		.amdhsa_user_sgpr_private_segment_buffer 1
		.amdhsa_user_sgpr_dispatch_ptr 0
		.amdhsa_user_sgpr_queue_ptr 0
		.amdhsa_user_sgpr_kernarg_segment_ptr 1
		.amdhsa_user_sgpr_dispatch_id 0
		.amdhsa_user_sgpr_flat_scratch_init 0
		.amdhsa_user_sgpr_private_segment_size 0
		.amdhsa_uses_dynamic_stack 0
		.amdhsa_system_sgpr_private_segment_wavefront_offset 0
		.amdhsa_system_sgpr_workgroup_id_x 1
		.amdhsa_system_sgpr_workgroup_id_y 0
		.amdhsa_system_sgpr_workgroup_id_z 0
		.amdhsa_system_sgpr_workgroup_info 0
		.amdhsa_system_vgpr_workitem_id 0
		.amdhsa_next_free_vgpr 1
		.amdhsa_next_free_sgpr 0
		.amdhsa_reserve_vcc 0
		.amdhsa_reserve_flat_scratch 0
		.amdhsa_float_round_mode_32 0
		.amdhsa_float_round_mode_16_64 0
		.amdhsa_float_denorm_mode_32 3
		.amdhsa_float_denorm_mode_16_64 3
		.amdhsa_dx10_clamp 1
		.amdhsa_ieee_mode 1
		.amdhsa_fp16_overflow 0
		.amdhsa_exception_fp_ieee_invalid_op 0
		.amdhsa_exception_fp_denorm_src 0
		.amdhsa_exception_fp_ieee_div_zero 0
		.amdhsa_exception_fp_ieee_overflow 0
		.amdhsa_exception_fp_ieee_underflow 0
		.amdhsa_exception_fp_ieee_inexact 0
		.amdhsa_exception_int_div_zero 0
	.end_amdhsa_kernel
	.section	.text._ZN7rocprim17ROCPRIM_400000_NS6detail17trampoline_kernelINS0_13select_configILj256ELj13ELNS0_17block_load_methodE3ELS4_3ELS4_3ELNS0_20block_scan_algorithmE0ELj4294967295EEENS1_25partition_config_selectorILNS1_17partition_subalgoE4EjNS0_10empty_typeEbEEZZNS1_14partition_implILS8_4ELb0ES6_15HIP_vector_typeIjLj2EENS0_17counting_iteratorIjlEEPS9_SG_NS0_5tupleIJPjSI_NS0_16reverse_iteratorISI_EEEEENSH_IJSG_SG_SG_EEES9_SI_JZNS1_25segmented_radix_sort_implINS0_14default_configELb1EPKdPdPKlPlN2at6native12_GLOBAL__N_18offset_tEEE10hipError_tPvRmT1_PNSt15iterator_traitsIS12_E10value_typeET2_T3_PNS13_IS18_E10value_typeET4_jRbjT5_S1E_jjP12ihipStream_tbEUljE_ZNSN_ISO_Lb1ESQ_SR_ST_SU_SY_EESZ_S10_S11_S12_S16_S17_S18_S1B_S1C_jS1D_jS1E_S1E_jjS1G_bEUljE0_EEESZ_S10_S11_S18_S1C_S1E_T6_T7_T9_mT8_S1G_bDpT10_ENKUlT_T0_E_clISt17integral_constantIbLb0EES1U_EEDaS1P_S1Q_EUlS1P_E_NS1_11comp_targetILNS1_3genE0ELNS1_11target_archE4294967295ELNS1_3gpuE0ELNS1_3repE0EEENS1_30default_config_static_selectorELNS0_4arch9wavefront6targetE1EEEvS12_,"axG",@progbits,_ZN7rocprim17ROCPRIM_400000_NS6detail17trampoline_kernelINS0_13select_configILj256ELj13ELNS0_17block_load_methodE3ELS4_3ELS4_3ELNS0_20block_scan_algorithmE0ELj4294967295EEENS1_25partition_config_selectorILNS1_17partition_subalgoE4EjNS0_10empty_typeEbEEZZNS1_14partition_implILS8_4ELb0ES6_15HIP_vector_typeIjLj2EENS0_17counting_iteratorIjlEEPS9_SG_NS0_5tupleIJPjSI_NS0_16reverse_iteratorISI_EEEEENSH_IJSG_SG_SG_EEES9_SI_JZNS1_25segmented_radix_sort_implINS0_14default_configELb1EPKdPdPKlPlN2at6native12_GLOBAL__N_18offset_tEEE10hipError_tPvRmT1_PNSt15iterator_traitsIS12_E10value_typeET2_T3_PNS13_IS18_E10value_typeET4_jRbjT5_S1E_jjP12ihipStream_tbEUljE_ZNSN_ISO_Lb1ESQ_SR_ST_SU_SY_EESZ_S10_S11_S12_S16_S17_S18_S1B_S1C_jS1D_jS1E_S1E_jjS1G_bEUljE0_EEESZ_S10_S11_S18_S1C_S1E_T6_T7_T9_mT8_S1G_bDpT10_ENKUlT_T0_E_clISt17integral_constantIbLb0EES1U_EEDaS1P_S1Q_EUlS1P_E_NS1_11comp_targetILNS1_3genE0ELNS1_11target_archE4294967295ELNS1_3gpuE0ELNS1_3repE0EEENS1_30default_config_static_selectorELNS0_4arch9wavefront6targetE1EEEvS12_,comdat
.Lfunc_end1054:
	.size	_ZN7rocprim17ROCPRIM_400000_NS6detail17trampoline_kernelINS0_13select_configILj256ELj13ELNS0_17block_load_methodE3ELS4_3ELS4_3ELNS0_20block_scan_algorithmE0ELj4294967295EEENS1_25partition_config_selectorILNS1_17partition_subalgoE4EjNS0_10empty_typeEbEEZZNS1_14partition_implILS8_4ELb0ES6_15HIP_vector_typeIjLj2EENS0_17counting_iteratorIjlEEPS9_SG_NS0_5tupleIJPjSI_NS0_16reverse_iteratorISI_EEEEENSH_IJSG_SG_SG_EEES9_SI_JZNS1_25segmented_radix_sort_implINS0_14default_configELb1EPKdPdPKlPlN2at6native12_GLOBAL__N_18offset_tEEE10hipError_tPvRmT1_PNSt15iterator_traitsIS12_E10value_typeET2_T3_PNS13_IS18_E10value_typeET4_jRbjT5_S1E_jjP12ihipStream_tbEUljE_ZNSN_ISO_Lb1ESQ_SR_ST_SU_SY_EESZ_S10_S11_S12_S16_S17_S18_S1B_S1C_jS1D_jS1E_S1E_jjS1G_bEUljE0_EEESZ_S10_S11_S18_S1C_S1E_T6_T7_T9_mT8_S1G_bDpT10_ENKUlT_T0_E_clISt17integral_constantIbLb0EES1U_EEDaS1P_S1Q_EUlS1P_E_NS1_11comp_targetILNS1_3genE0ELNS1_11target_archE4294967295ELNS1_3gpuE0ELNS1_3repE0EEENS1_30default_config_static_selectorELNS0_4arch9wavefront6targetE1EEEvS12_, .Lfunc_end1054-_ZN7rocprim17ROCPRIM_400000_NS6detail17trampoline_kernelINS0_13select_configILj256ELj13ELNS0_17block_load_methodE3ELS4_3ELS4_3ELNS0_20block_scan_algorithmE0ELj4294967295EEENS1_25partition_config_selectorILNS1_17partition_subalgoE4EjNS0_10empty_typeEbEEZZNS1_14partition_implILS8_4ELb0ES6_15HIP_vector_typeIjLj2EENS0_17counting_iteratorIjlEEPS9_SG_NS0_5tupleIJPjSI_NS0_16reverse_iteratorISI_EEEEENSH_IJSG_SG_SG_EEES9_SI_JZNS1_25segmented_radix_sort_implINS0_14default_configELb1EPKdPdPKlPlN2at6native12_GLOBAL__N_18offset_tEEE10hipError_tPvRmT1_PNSt15iterator_traitsIS12_E10value_typeET2_T3_PNS13_IS18_E10value_typeET4_jRbjT5_S1E_jjP12ihipStream_tbEUljE_ZNSN_ISO_Lb1ESQ_SR_ST_SU_SY_EESZ_S10_S11_S12_S16_S17_S18_S1B_S1C_jS1D_jS1E_S1E_jjS1G_bEUljE0_EEESZ_S10_S11_S18_S1C_S1E_T6_T7_T9_mT8_S1G_bDpT10_ENKUlT_T0_E_clISt17integral_constantIbLb0EES1U_EEDaS1P_S1Q_EUlS1P_E_NS1_11comp_targetILNS1_3genE0ELNS1_11target_archE4294967295ELNS1_3gpuE0ELNS1_3repE0EEENS1_30default_config_static_selectorELNS0_4arch9wavefront6targetE1EEEvS12_
                                        ; -- End function
	.set _ZN7rocprim17ROCPRIM_400000_NS6detail17trampoline_kernelINS0_13select_configILj256ELj13ELNS0_17block_load_methodE3ELS4_3ELS4_3ELNS0_20block_scan_algorithmE0ELj4294967295EEENS1_25partition_config_selectorILNS1_17partition_subalgoE4EjNS0_10empty_typeEbEEZZNS1_14partition_implILS8_4ELb0ES6_15HIP_vector_typeIjLj2EENS0_17counting_iteratorIjlEEPS9_SG_NS0_5tupleIJPjSI_NS0_16reverse_iteratorISI_EEEEENSH_IJSG_SG_SG_EEES9_SI_JZNS1_25segmented_radix_sort_implINS0_14default_configELb1EPKdPdPKlPlN2at6native12_GLOBAL__N_18offset_tEEE10hipError_tPvRmT1_PNSt15iterator_traitsIS12_E10value_typeET2_T3_PNS13_IS18_E10value_typeET4_jRbjT5_S1E_jjP12ihipStream_tbEUljE_ZNSN_ISO_Lb1ESQ_SR_ST_SU_SY_EESZ_S10_S11_S12_S16_S17_S18_S1B_S1C_jS1D_jS1E_S1E_jjS1G_bEUljE0_EEESZ_S10_S11_S18_S1C_S1E_T6_T7_T9_mT8_S1G_bDpT10_ENKUlT_T0_E_clISt17integral_constantIbLb0EES1U_EEDaS1P_S1Q_EUlS1P_E_NS1_11comp_targetILNS1_3genE0ELNS1_11target_archE4294967295ELNS1_3gpuE0ELNS1_3repE0EEENS1_30default_config_static_selectorELNS0_4arch9wavefront6targetE1EEEvS12_.num_vgpr, 0
	.set _ZN7rocprim17ROCPRIM_400000_NS6detail17trampoline_kernelINS0_13select_configILj256ELj13ELNS0_17block_load_methodE3ELS4_3ELS4_3ELNS0_20block_scan_algorithmE0ELj4294967295EEENS1_25partition_config_selectorILNS1_17partition_subalgoE4EjNS0_10empty_typeEbEEZZNS1_14partition_implILS8_4ELb0ES6_15HIP_vector_typeIjLj2EENS0_17counting_iteratorIjlEEPS9_SG_NS0_5tupleIJPjSI_NS0_16reverse_iteratorISI_EEEEENSH_IJSG_SG_SG_EEES9_SI_JZNS1_25segmented_radix_sort_implINS0_14default_configELb1EPKdPdPKlPlN2at6native12_GLOBAL__N_18offset_tEEE10hipError_tPvRmT1_PNSt15iterator_traitsIS12_E10value_typeET2_T3_PNS13_IS18_E10value_typeET4_jRbjT5_S1E_jjP12ihipStream_tbEUljE_ZNSN_ISO_Lb1ESQ_SR_ST_SU_SY_EESZ_S10_S11_S12_S16_S17_S18_S1B_S1C_jS1D_jS1E_S1E_jjS1G_bEUljE0_EEESZ_S10_S11_S18_S1C_S1E_T6_T7_T9_mT8_S1G_bDpT10_ENKUlT_T0_E_clISt17integral_constantIbLb0EES1U_EEDaS1P_S1Q_EUlS1P_E_NS1_11comp_targetILNS1_3genE0ELNS1_11target_archE4294967295ELNS1_3gpuE0ELNS1_3repE0EEENS1_30default_config_static_selectorELNS0_4arch9wavefront6targetE1EEEvS12_.num_agpr, 0
	.set _ZN7rocprim17ROCPRIM_400000_NS6detail17trampoline_kernelINS0_13select_configILj256ELj13ELNS0_17block_load_methodE3ELS4_3ELS4_3ELNS0_20block_scan_algorithmE0ELj4294967295EEENS1_25partition_config_selectorILNS1_17partition_subalgoE4EjNS0_10empty_typeEbEEZZNS1_14partition_implILS8_4ELb0ES6_15HIP_vector_typeIjLj2EENS0_17counting_iteratorIjlEEPS9_SG_NS0_5tupleIJPjSI_NS0_16reverse_iteratorISI_EEEEENSH_IJSG_SG_SG_EEES9_SI_JZNS1_25segmented_radix_sort_implINS0_14default_configELb1EPKdPdPKlPlN2at6native12_GLOBAL__N_18offset_tEEE10hipError_tPvRmT1_PNSt15iterator_traitsIS12_E10value_typeET2_T3_PNS13_IS18_E10value_typeET4_jRbjT5_S1E_jjP12ihipStream_tbEUljE_ZNSN_ISO_Lb1ESQ_SR_ST_SU_SY_EESZ_S10_S11_S12_S16_S17_S18_S1B_S1C_jS1D_jS1E_S1E_jjS1G_bEUljE0_EEESZ_S10_S11_S18_S1C_S1E_T6_T7_T9_mT8_S1G_bDpT10_ENKUlT_T0_E_clISt17integral_constantIbLb0EES1U_EEDaS1P_S1Q_EUlS1P_E_NS1_11comp_targetILNS1_3genE0ELNS1_11target_archE4294967295ELNS1_3gpuE0ELNS1_3repE0EEENS1_30default_config_static_selectorELNS0_4arch9wavefront6targetE1EEEvS12_.numbered_sgpr, 0
	.set _ZN7rocprim17ROCPRIM_400000_NS6detail17trampoline_kernelINS0_13select_configILj256ELj13ELNS0_17block_load_methodE3ELS4_3ELS4_3ELNS0_20block_scan_algorithmE0ELj4294967295EEENS1_25partition_config_selectorILNS1_17partition_subalgoE4EjNS0_10empty_typeEbEEZZNS1_14partition_implILS8_4ELb0ES6_15HIP_vector_typeIjLj2EENS0_17counting_iteratorIjlEEPS9_SG_NS0_5tupleIJPjSI_NS0_16reverse_iteratorISI_EEEEENSH_IJSG_SG_SG_EEES9_SI_JZNS1_25segmented_radix_sort_implINS0_14default_configELb1EPKdPdPKlPlN2at6native12_GLOBAL__N_18offset_tEEE10hipError_tPvRmT1_PNSt15iterator_traitsIS12_E10value_typeET2_T3_PNS13_IS18_E10value_typeET4_jRbjT5_S1E_jjP12ihipStream_tbEUljE_ZNSN_ISO_Lb1ESQ_SR_ST_SU_SY_EESZ_S10_S11_S12_S16_S17_S18_S1B_S1C_jS1D_jS1E_S1E_jjS1G_bEUljE0_EEESZ_S10_S11_S18_S1C_S1E_T6_T7_T9_mT8_S1G_bDpT10_ENKUlT_T0_E_clISt17integral_constantIbLb0EES1U_EEDaS1P_S1Q_EUlS1P_E_NS1_11comp_targetILNS1_3genE0ELNS1_11target_archE4294967295ELNS1_3gpuE0ELNS1_3repE0EEENS1_30default_config_static_selectorELNS0_4arch9wavefront6targetE1EEEvS12_.num_named_barrier, 0
	.set _ZN7rocprim17ROCPRIM_400000_NS6detail17trampoline_kernelINS0_13select_configILj256ELj13ELNS0_17block_load_methodE3ELS4_3ELS4_3ELNS0_20block_scan_algorithmE0ELj4294967295EEENS1_25partition_config_selectorILNS1_17partition_subalgoE4EjNS0_10empty_typeEbEEZZNS1_14partition_implILS8_4ELb0ES6_15HIP_vector_typeIjLj2EENS0_17counting_iteratorIjlEEPS9_SG_NS0_5tupleIJPjSI_NS0_16reverse_iteratorISI_EEEEENSH_IJSG_SG_SG_EEES9_SI_JZNS1_25segmented_radix_sort_implINS0_14default_configELb1EPKdPdPKlPlN2at6native12_GLOBAL__N_18offset_tEEE10hipError_tPvRmT1_PNSt15iterator_traitsIS12_E10value_typeET2_T3_PNS13_IS18_E10value_typeET4_jRbjT5_S1E_jjP12ihipStream_tbEUljE_ZNSN_ISO_Lb1ESQ_SR_ST_SU_SY_EESZ_S10_S11_S12_S16_S17_S18_S1B_S1C_jS1D_jS1E_S1E_jjS1G_bEUljE0_EEESZ_S10_S11_S18_S1C_S1E_T6_T7_T9_mT8_S1G_bDpT10_ENKUlT_T0_E_clISt17integral_constantIbLb0EES1U_EEDaS1P_S1Q_EUlS1P_E_NS1_11comp_targetILNS1_3genE0ELNS1_11target_archE4294967295ELNS1_3gpuE0ELNS1_3repE0EEENS1_30default_config_static_selectorELNS0_4arch9wavefront6targetE1EEEvS12_.private_seg_size, 0
	.set _ZN7rocprim17ROCPRIM_400000_NS6detail17trampoline_kernelINS0_13select_configILj256ELj13ELNS0_17block_load_methodE3ELS4_3ELS4_3ELNS0_20block_scan_algorithmE0ELj4294967295EEENS1_25partition_config_selectorILNS1_17partition_subalgoE4EjNS0_10empty_typeEbEEZZNS1_14partition_implILS8_4ELb0ES6_15HIP_vector_typeIjLj2EENS0_17counting_iteratorIjlEEPS9_SG_NS0_5tupleIJPjSI_NS0_16reverse_iteratorISI_EEEEENSH_IJSG_SG_SG_EEES9_SI_JZNS1_25segmented_radix_sort_implINS0_14default_configELb1EPKdPdPKlPlN2at6native12_GLOBAL__N_18offset_tEEE10hipError_tPvRmT1_PNSt15iterator_traitsIS12_E10value_typeET2_T3_PNS13_IS18_E10value_typeET4_jRbjT5_S1E_jjP12ihipStream_tbEUljE_ZNSN_ISO_Lb1ESQ_SR_ST_SU_SY_EESZ_S10_S11_S12_S16_S17_S18_S1B_S1C_jS1D_jS1E_S1E_jjS1G_bEUljE0_EEESZ_S10_S11_S18_S1C_S1E_T6_T7_T9_mT8_S1G_bDpT10_ENKUlT_T0_E_clISt17integral_constantIbLb0EES1U_EEDaS1P_S1Q_EUlS1P_E_NS1_11comp_targetILNS1_3genE0ELNS1_11target_archE4294967295ELNS1_3gpuE0ELNS1_3repE0EEENS1_30default_config_static_selectorELNS0_4arch9wavefront6targetE1EEEvS12_.uses_vcc, 0
	.set _ZN7rocprim17ROCPRIM_400000_NS6detail17trampoline_kernelINS0_13select_configILj256ELj13ELNS0_17block_load_methodE3ELS4_3ELS4_3ELNS0_20block_scan_algorithmE0ELj4294967295EEENS1_25partition_config_selectorILNS1_17partition_subalgoE4EjNS0_10empty_typeEbEEZZNS1_14partition_implILS8_4ELb0ES6_15HIP_vector_typeIjLj2EENS0_17counting_iteratorIjlEEPS9_SG_NS0_5tupleIJPjSI_NS0_16reverse_iteratorISI_EEEEENSH_IJSG_SG_SG_EEES9_SI_JZNS1_25segmented_radix_sort_implINS0_14default_configELb1EPKdPdPKlPlN2at6native12_GLOBAL__N_18offset_tEEE10hipError_tPvRmT1_PNSt15iterator_traitsIS12_E10value_typeET2_T3_PNS13_IS18_E10value_typeET4_jRbjT5_S1E_jjP12ihipStream_tbEUljE_ZNSN_ISO_Lb1ESQ_SR_ST_SU_SY_EESZ_S10_S11_S12_S16_S17_S18_S1B_S1C_jS1D_jS1E_S1E_jjS1G_bEUljE0_EEESZ_S10_S11_S18_S1C_S1E_T6_T7_T9_mT8_S1G_bDpT10_ENKUlT_T0_E_clISt17integral_constantIbLb0EES1U_EEDaS1P_S1Q_EUlS1P_E_NS1_11comp_targetILNS1_3genE0ELNS1_11target_archE4294967295ELNS1_3gpuE0ELNS1_3repE0EEENS1_30default_config_static_selectorELNS0_4arch9wavefront6targetE1EEEvS12_.uses_flat_scratch, 0
	.set _ZN7rocprim17ROCPRIM_400000_NS6detail17trampoline_kernelINS0_13select_configILj256ELj13ELNS0_17block_load_methodE3ELS4_3ELS4_3ELNS0_20block_scan_algorithmE0ELj4294967295EEENS1_25partition_config_selectorILNS1_17partition_subalgoE4EjNS0_10empty_typeEbEEZZNS1_14partition_implILS8_4ELb0ES6_15HIP_vector_typeIjLj2EENS0_17counting_iteratorIjlEEPS9_SG_NS0_5tupleIJPjSI_NS0_16reverse_iteratorISI_EEEEENSH_IJSG_SG_SG_EEES9_SI_JZNS1_25segmented_radix_sort_implINS0_14default_configELb1EPKdPdPKlPlN2at6native12_GLOBAL__N_18offset_tEEE10hipError_tPvRmT1_PNSt15iterator_traitsIS12_E10value_typeET2_T3_PNS13_IS18_E10value_typeET4_jRbjT5_S1E_jjP12ihipStream_tbEUljE_ZNSN_ISO_Lb1ESQ_SR_ST_SU_SY_EESZ_S10_S11_S12_S16_S17_S18_S1B_S1C_jS1D_jS1E_S1E_jjS1G_bEUljE0_EEESZ_S10_S11_S18_S1C_S1E_T6_T7_T9_mT8_S1G_bDpT10_ENKUlT_T0_E_clISt17integral_constantIbLb0EES1U_EEDaS1P_S1Q_EUlS1P_E_NS1_11comp_targetILNS1_3genE0ELNS1_11target_archE4294967295ELNS1_3gpuE0ELNS1_3repE0EEENS1_30default_config_static_selectorELNS0_4arch9wavefront6targetE1EEEvS12_.has_dyn_sized_stack, 0
	.set _ZN7rocprim17ROCPRIM_400000_NS6detail17trampoline_kernelINS0_13select_configILj256ELj13ELNS0_17block_load_methodE3ELS4_3ELS4_3ELNS0_20block_scan_algorithmE0ELj4294967295EEENS1_25partition_config_selectorILNS1_17partition_subalgoE4EjNS0_10empty_typeEbEEZZNS1_14partition_implILS8_4ELb0ES6_15HIP_vector_typeIjLj2EENS0_17counting_iteratorIjlEEPS9_SG_NS0_5tupleIJPjSI_NS0_16reverse_iteratorISI_EEEEENSH_IJSG_SG_SG_EEES9_SI_JZNS1_25segmented_radix_sort_implINS0_14default_configELb1EPKdPdPKlPlN2at6native12_GLOBAL__N_18offset_tEEE10hipError_tPvRmT1_PNSt15iterator_traitsIS12_E10value_typeET2_T3_PNS13_IS18_E10value_typeET4_jRbjT5_S1E_jjP12ihipStream_tbEUljE_ZNSN_ISO_Lb1ESQ_SR_ST_SU_SY_EESZ_S10_S11_S12_S16_S17_S18_S1B_S1C_jS1D_jS1E_S1E_jjS1G_bEUljE0_EEESZ_S10_S11_S18_S1C_S1E_T6_T7_T9_mT8_S1G_bDpT10_ENKUlT_T0_E_clISt17integral_constantIbLb0EES1U_EEDaS1P_S1Q_EUlS1P_E_NS1_11comp_targetILNS1_3genE0ELNS1_11target_archE4294967295ELNS1_3gpuE0ELNS1_3repE0EEENS1_30default_config_static_selectorELNS0_4arch9wavefront6targetE1EEEvS12_.has_recursion, 0
	.set _ZN7rocprim17ROCPRIM_400000_NS6detail17trampoline_kernelINS0_13select_configILj256ELj13ELNS0_17block_load_methodE3ELS4_3ELS4_3ELNS0_20block_scan_algorithmE0ELj4294967295EEENS1_25partition_config_selectorILNS1_17partition_subalgoE4EjNS0_10empty_typeEbEEZZNS1_14partition_implILS8_4ELb0ES6_15HIP_vector_typeIjLj2EENS0_17counting_iteratorIjlEEPS9_SG_NS0_5tupleIJPjSI_NS0_16reverse_iteratorISI_EEEEENSH_IJSG_SG_SG_EEES9_SI_JZNS1_25segmented_radix_sort_implINS0_14default_configELb1EPKdPdPKlPlN2at6native12_GLOBAL__N_18offset_tEEE10hipError_tPvRmT1_PNSt15iterator_traitsIS12_E10value_typeET2_T3_PNS13_IS18_E10value_typeET4_jRbjT5_S1E_jjP12ihipStream_tbEUljE_ZNSN_ISO_Lb1ESQ_SR_ST_SU_SY_EESZ_S10_S11_S12_S16_S17_S18_S1B_S1C_jS1D_jS1E_S1E_jjS1G_bEUljE0_EEESZ_S10_S11_S18_S1C_S1E_T6_T7_T9_mT8_S1G_bDpT10_ENKUlT_T0_E_clISt17integral_constantIbLb0EES1U_EEDaS1P_S1Q_EUlS1P_E_NS1_11comp_targetILNS1_3genE0ELNS1_11target_archE4294967295ELNS1_3gpuE0ELNS1_3repE0EEENS1_30default_config_static_selectorELNS0_4arch9wavefront6targetE1EEEvS12_.has_indirect_call, 0
	.section	.AMDGPU.csdata,"",@progbits
; Kernel info:
; codeLenInByte = 0
; TotalNumSgprs: 4
; NumVgprs: 0
; ScratchSize: 0
; MemoryBound: 0
; FloatMode: 240
; IeeeMode: 1
; LDSByteSize: 0 bytes/workgroup (compile time only)
; SGPRBlocks: 0
; VGPRBlocks: 0
; NumSGPRsForWavesPerEU: 4
; NumVGPRsForWavesPerEU: 1
; Occupancy: 10
; WaveLimiterHint : 0
; COMPUTE_PGM_RSRC2:SCRATCH_EN: 0
; COMPUTE_PGM_RSRC2:USER_SGPR: 6
; COMPUTE_PGM_RSRC2:TRAP_HANDLER: 0
; COMPUTE_PGM_RSRC2:TGID_X_EN: 1
; COMPUTE_PGM_RSRC2:TGID_Y_EN: 0
; COMPUTE_PGM_RSRC2:TGID_Z_EN: 0
; COMPUTE_PGM_RSRC2:TIDIG_COMP_CNT: 0
	.section	.text._ZN7rocprim17ROCPRIM_400000_NS6detail17trampoline_kernelINS0_13select_configILj256ELj13ELNS0_17block_load_methodE3ELS4_3ELS4_3ELNS0_20block_scan_algorithmE0ELj4294967295EEENS1_25partition_config_selectorILNS1_17partition_subalgoE4EjNS0_10empty_typeEbEEZZNS1_14partition_implILS8_4ELb0ES6_15HIP_vector_typeIjLj2EENS0_17counting_iteratorIjlEEPS9_SG_NS0_5tupleIJPjSI_NS0_16reverse_iteratorISI_EEEEENSH_IJSG_SG_SG_EEES9_SI_JZNS1_25segmented_radix_sort_implINS0_14default_configELb1EPKdPdPKlPlN2at6native12_GLOBAL__N_18offset_tEEE10hipError_tPvRmT1_PNSt15iterator_traitsIS12_E10value_typeET2_T3_PNS13_IS18_E10value_typeET4_jRbjT5_S1E_jjP12ihipStream_tbEUljE_ZNSN_ISO_Lb1ESQ_SR_ST_SU_SY_EESZ_S10_S11_S12_S16_S17_S18_S1B_S1C_jS1D_jS1E_S1E_jjS1G_bEUljE0_EEESZ_S10_S11_S18_S1C_S1E_T6_T7_T9_mT8_S1G_bDpT10_ENKUlT_T0_E_clISt17integral_constantIbLb0EES1U_EEDaS1P_S1Q_EUlS1P_E_NS1_11comp_targetILNS1_3genE5ELNS1_11target_archE942ELNS1_3gpuE9ELNS1_3repE0EEENS1_30default_config_static_selectorELNS0_4arch9wavefront6targetE1EEEvS12_,"axG",@progbits,_ZN7rocprim17ROCPRIM_400000_NS6detail17trampoline_kernelINS0_13select_configILj256ELj13ELNS0_17block_load_methodE3ELS4_3ELS4_3ELNS0_20block_scan_algorithmE0ELj4294967295EEENS1_25partition_config_selectorILNS1_17partition_subalgoE4EjNS0_10empty_typeEbEEZZNS1_14partition_implILS8_4ELb0ES6_15HIP_vector_typeIjLj2EENS0_17counting_iteratorIjlEEPS9_SG_NS0_5tupleIJPjSI_NS0_16reverse_iteratorISI_EEEEENSH_IJSG_SG_SG_EEES9_SI_JZNS1_25segmented_radix_sort_implINS0_14default_configELb1EPKdPdPKlPlN2at6native12_GLOBAL__N_18offset_tEEE10hipError_tPvRmT1_PNSt15iterator_traitsIS12_E10value_typeET2_T3_PNS13_IS18_E10value_typeET4_jRbjT5_S1E_jjP12ihipStream_tbEUljE_ZNSN_ISO_Lb1ESQ_SR_ST_SU_SY_EESZ_S10_S11_S12_S16_S17_S18_S1B_S1C_jS1D_jS1E_S1E_jjS1G_bEUljE0_EEESZ_S10_S11_S18_S1C_S1E_T6_T7_T9_mT8_S1G_bDpT10_ENKUlT_T0_E_clISt17integral_constantIbLb0EES1U_EEDaS1P_S1Q_EUlS1P_E_NS1_11comp_targetILNS1_3genE5ELNS1_11target_archE942ELNS1_3gpuE9ELNS1_3repE0EEENS1_30default_config_static_selectorELNS0_4arch9wavefront6targetE1EEEvS12_,comdat
	.globl	_ZN7rocprim17ROCPRIM_400000_NS6detail17trampoline_kernelINS0_13select_configILj256ELj13ELNS0_17block_load_methodE3ELS4_3ELS4_3ELNS0_20block_scan_algorithmE0ELj4294967295EEENS1_25partition_config_selectorILNS1_17partition_subalgoE4EjNS0_10empty_typeEbEEZZNS1_14partition_implILS8_4ELb0ES6_15HIP_vector_typeIjLj2EENS0_17counting_iteratorIjlEEPS9_SG_NS0_5tupleIJPjSI_NS0_16reverse_iteratorISI_EEEEENSH_IJSG_SG_SG_EEES9_SI_JZNS1_25segmented_radix_sort_implINS0_14default_configELb1EPKdPdPKlPlN2at6native12_GLOBAL__N_18offset_tEEE10hipError_tPvRmT1_PNSt15iterator_traitsIS12_E10value_typeET2_T3_PNS13_IS18_E10value_typeET4_jRbjT5_S1E_jjP12ihipStream_tbEUljE_ZNSN_ISO_Lb1ESQ_SR_ST_SU_SY_EESZ_S10_S11_S12_S16_S17_S18_S1B_S1C_jS1D_jS1E_S1E_jjS1G_bEUljE0_EEESZ_S10_S11_S18_S1C_S1E_T6_T7_T9_mT8_S1G_bDpT10_ENKUlT_T0_E_clISt17integral_constantIbLb0EES1U_EEDaS1P_S1Q_EUlS1P_E_NS1_11comp_targetILNS1_3genE5ELNS1_11target_archE942ELNS1_3gpuE9ELNS1_3repE0EEENS1_30default_config_static_selectorELNS0_4arch9wavefront6targetE1EEEvS12_ ; -- Begin function _ZN7rocprim17ROCPRIM_400000_NS6detail17trampoline_kernelINS0_13select_configILj256ELj13ELNS0_17block_load_methodE3ELS4_3ELS4_3ELNS0_20block_scan_algorithmE0ELj4294967295EEENS1_25partition_config_selectorILNS1_17partition_subalgoE4EjNS0_10empty_typeEbEEZZNS1_14partition_implILS8_4ELb0ES6_15HIP_vector_typeIjLj2EENS0_17counting_iteratorIjlEEPS9_SG_NS0_5tupleIJPjSI_NS0_16reverse_iteratorISI_EEEEENSH_IJSG_SG_SG_EEES9_SI_JZNS1_25segmented_radix_sort_implINS0_14default_configELb1EPKdPdPKlPlN2at6native12_GLOBAL__N_18offset_tEEE10hipError_tPvRmT1_PNSt15iterator_traitsIS12_E10value_typeET2_T3_PNS13_IS18_E10value_typeET4_jRbjT5_S1E_jjP12ihipStream_tbEUljE_ZNSN_ISO_Lb1ESQ_SR_ST_SU_SY_EESZ_S10_S11_S12_S16_S17_S18_S1B_S1C_jS1D_jS1E_S1E_jjS1G_bEUljE0_EEESZ_S10_S11_S18_S1C_S1E_T6_T7_T9_mT8_S1G_bDpT10_ENKUlT_T0_E_clISt17integral_constantIbLb0EES1U_EEDaS1P_S1Q_EUlS1P_E_NS1_11comp_targetILNS1_3genE5ELNS1_11target_archE942ELNS1_3gpuE9ELNS1_3repE0EEENS1_30default_config_static_selectorELNS0_4arch9wavefront6targetE1EEEvS12_
	.p2align	8
	.type	_ZN7rocprim17ROCPRIM_400000_NS6detail17trampoline_kernelINS0_13select_configILj256ELj13ELNS0_17block_load_methodE3ELS4_3ELS4_3ELNS0_20block_scan_algorithmE0ELj4294967295EEENS1_25partition_config_selectorILNS1_17partition_subalgoE4EjNS0_10empty_typeEbEEZZNS1_14partition_implILS8_4ELb0ES6_15HIP_vector_typeIjLj2EENS0_17counting_iteratorIjlEEPS9_SG_NS0_5tupleIJPjSI_NS0_16reverse_iteratorISI_EEEEENSH_IJSG_SG_SG_EEES9_SI_JZNS1_25segmented_radix_sort_implINS0_14default_configELb1EPKdPdPKlPlN2at6native12_GLOBAL__N_18offset_tEEE10hipError_tPvRmT1_PNSt15iterator_traitsIS12_E10value_typeET2_T3_PNS13_IS18_E10value_typeET4_jRbjT5_S1E_jjP12ihipStream_tbEUljE_ZNSN_ISO_Lb1ESQ_SR_ST_SU_SY_EESZ_S10_S11_S12_S16_S17_S18_S1B_S1C_jS1D_jS1E_S1E_jjS1G_bEUljE0_EEESZ_S10_S11_S18_S1C_S1E_T6_T7_T9_mT8_S1G_bDpT10_ENKUlT_T0_E_clISt17integral_constantIbLb0EES1U_EEDaS1P_S1Q_EUlS1P_E_NS1_11comp_targetILNS1_3genE5ELNS1_11target_archE942ELNS1_3gpuE9ELNS1_3repE0EEENS1_30default_config_static_selectorELNS0_4arch9wavefront6targetE1EEEvS12_,@function
_ZN7rocprim17ROCPRIM_400000_NS6detail17trampoline_kernelINS0_13select_configILj256ELj13ELNS0_17block_load_methodE3ELS4_3ELS4_3ELNS0_20block_scan_algorithmE0ELj4294967295EEENS1_25partition_config_selectorILNS1_17partition_subalgoE4EjNS0_10empty_typeEbEEZZNS1_14partition_implILS8_4ELb0ES6_15HIP_vector_typeIjLj2EENS0_17counting_iteratorIjlEEPS9_SG_NS0_5tupleIJPjSI_NS0_16reverse_iteratorISI_EEEEENSH_IJSG_SG_SG_EEES9_SI_JZNS1_25segmented_radix_sort_implINS0_14default_configELb1EPKdPdPKlPlN2at6native12_GLOBAL__N_18offset_tEEE10hipError_tPvRmT1_PNSt15iterator_traitsIS12_E10value_typeET2_T3_PNS13_IS18_E10value_typeET4_jRbjT5_S1E_jjP12ihipStream_tbEUljE_ZNSN_ISO_Lb1ESQ_SR_ST_SU_SY_EESZ_S10_S11_S12_S16_S17_S18_S1B_S1C_jS1D_jS1E_S1E_jjS1G_bEUljE0_EEESZ_S10_S11_S18_S1C_S1E_T6_T7_T9_mT8_S1G_bDpT10_ENKUlT_T0_E_clISt17integral_constantIbLb0EES1U_EEDaS1P_S1Q_EUlS1P_E_NS1_11comp_targetILNS1_3genE5ELNS1_11target_archE942ELNS1_3gpuE9ELNS1_3repE0EEENS1_30default_config_static_selectorELNS0_4arch9wavefront6targetE1EEEvS12_: ; @_ZN7rocprim17ROCPRIM_400000_NS6detail17trampoline_kernelINS0_13select_configILj256ELj13ELNS0_17block_load_methodE3ELS4_3ELS4_3ELNS0_20block_scan_algorithmE0ELj4294967295EEENS1_25partition_config_selectorILNS1_17partition_subalgoE4EjNS0_10empty_typeEbEEZZNS1_14partition_implILS8_4ELb0ES6_15HIP_vector_typeIjLj2EENS0_17counting_iteratorIjlEEPS9_SG_NS0_5tupleIJPjSI_NS0_16reverse_iteratorISI_EEEEENSH_IJSG_SG_SG_EEES9_SI_JZNS1_25segmented_radix_sort_implINS0_14default_configELb1EPKdPdPKlPlN2at6native12_GLOBAL__N_18offset_tEEE10hipError_tPvRmT1_PNSt15iterator_traitsIS12_E10value_typeET2_T3_PNS13_IS18_E10value_typeET4_jRbjT5_S1E_jjP12ihipStream_tbEUljE_ZNSN_ISO_Lb1ESQ_SR_ST_SU_SY_EESZ_S10_S11_S12_S16_S17_S18_S1B_S1C_jS1D_jS1E_S1E_jjS1G_bEUljE0_EEESZ_S10_S11_S18_S1C_S1E_T6_T7_T9_mT8_S1G_bDpT10_ENKUlT_T0_E_clISt17integral_constantIbLb0EES1U_EEDaS1P_S1Q_EUlS1P_E_NS1_11comp_targetILNS1_3genE5ELNS1_11target_archE942ELNS1_3gpuE9ELNS1_3repE0EEENS1_30default_config_static_selectorELNS0_4arch9wavefront6targetE1EEEvS12_
; %bb.0:
	.section	.rodata,"a",@progbits
	.p2align	6, 0x0
	.amdhsa_kernel _ZN7rocprim17ROCPRIM_400000_NS6detail17trampoline_kernelINS0_13select_configILj256ELj13ELNS0_17block_load_methodE3ELS4_3ELS4_3ELNS0_20block_scan_algorithmE0ELj4294967295EEENS1_25partition_config_selectorILNS1_17partition_subalgoE4EjNS0_10empty_typeEbEEZZNS1_14partition_implILS8_4ELb0ES6_15HIP_vector_typeIjLj2EENS0_17counting_iteratorIjlEEPS9_SG_NS0_5tupleIJPjSI_NS0_16reverse_iteratorISI_EEEEENSH_IJSG_SG_SG_EEES9_SI_JZNS1_25segmented_radix_sort_implINS0_14default_configELb1EPKdPdPKlPlN2at6native12_GLOBAL__N_18offset_tEEE10hipError_tPvRmT1_PNSt15iterator_traitsIS12_E10value_typeET2_T3_PNS13_IS18_E10value_typeET4_jRbjT5_S1E_jjP12ihipStream_tbEUljE_ZNSN_ISO_Lb1ESQ_SR_ST_SU_SY_EESZ_S10_S11_S12_S16_S17_S18_S1B_S1C_jS1D_jS1E_S1E_jjS1G_bEUljE0_EEESZ_S10_S11_S18_S1C_S1E_T6_T7_T9_mT8_S1G_bDpT10_ENKUlT_T0_E_clISt17integral_constantIbLb0EES1U_EEDaS1P_S1Q_EUlS1P_E_NS1_11comp_targetILNS1_3genE5ELNS1_11target_archE942ELNS1_3gpuE9ELNS1_3repE0EEENS1_30default_config_static_selectorELNS0_4arch9wavefront6targetE1EEEvS12_
		.amdhsa_group_segment_fixed_size 0
		.amdhsa_private_segment_fixed_size 0
		.amdhsa_kernarg_size 176
		.amdhsa_user_sgpr_count 6
		.amdhsa_user_sgpr_private_segment_buffer 1
		.amdhsa_user_sgpr_dispatch_ptr 0
		.amdhsa_user_sgpr_queue_ptr 0
		.amdhsa_user_sgpr_kernarg_segment_ptr 1
		.amdhsa_user_sgpr_dispatch_id 0
		.amdhsa_user_sgpr_flat_scratch_init 0
		.amdhsa_user_sgpr_private_segment_size 0
		.amdhsa_uses_dynamic_stack 0
		.amdhsa_system_sgpr_private_segment_wavefront_offset 0
		.amdhsa_system_sgpr_workgroup_id_x 1
		.amdhsa_system_sgpr_workgroup_id_y 0
		.amdhsa_system_sgpr_workgroup_id_z 0
		.amdhsa_system_sgpr_workgroup_info 0
		.amdhsa_system_vgpr_workitem_id 0
		.amdhsa_next_free_vgpr 1
		.amdhsa_next_free_sgpr 0
		.amdhsa_reserve_vcc 0
		.amdhsa_reserve_flat_scratch 0
		.amdhsa_float_round_mode_32 0
		.amdhsa_float_round_mode_16_64 0
		.amdhsa_float_denorm_mode_32 3
		.amdhsa_float_denorm_mode_16_64 3
		.amdhsa_dx10_clamp 1
		.amdhsa_ieee_mode 1
		.amdhsa_fp16_overflow 0
		.amdhsa_exception_fp_ieee_invalid_op 0
		.amdhsa_exception_fp_denorm_src 0
		.amdhsa_exception_fp_ieee_div_zero 0
		.amdhsa_exception_fp_ieee_overflow 0
		.amdhsa_exception_fp_ieee_underflow 0
		.amdhsa_exception_fp_ieee_inexact 0
		.amdhsa_exception_int_div_zero 0
	.end_amdhsa_kernel
	.section	.text._ZN7rocprim17ROCPRIM_400000_NS6detail17trampoline_kernelINS0_13select_configILj256ELj13ELNS0_17block_load_methodE3ELS4_3ELS4_3ELNS0_20block_scan_algorithmE0ELj4294967295EEENS1_25partition_config_selectorILNS1_17partition_subalgoE4EjNS0_10empty_typeEbEEZZNS1_14partition_implILS8_4ELb0ES6_15HIP_vector_typeIjLj2EENS0_17counting_iteratorIjlEEPS9_SG_NS0_5tupleIJPjSI_NS0_16reverse_iteratorISI_EEEEENSH_IJSG_SG_SG_EEES9_SI_JZNS1_25segmented_radix_sort_implINS0_14default_configELb1EPKdPdPKlPlN2at6native12_GLOBAL__N_18offset_tEEE10hipError_tPvRmT1_PNSt15iterator_traitsIS12_E10value_typeET2_T3_PNS13_IS18_E10value_typeET4_jRbjT5_S1E_jjP12ihipStream_tbEUljE_ZNSN_ISO_Lb1ESQ_SR_ST_SU_SY_EESZ_S10_S11_S12_S16_S17_S18_S1B_S1C_jS1D_jS1E_S1E_jjS1G_bEUljE0_EEESZ_S10_S11_S18_S1C_S1E_T6_T7_T9_mT8_S1G_bDpT10_ENKUlT_T0_E_clISt17integral_constantIbLb0EES1U_EEDaS1P_S1Q_EUlS1P_E_NS1_11comp_targetILNS1_3genE5ELNS1_11target_archE942ELNS1_3gpuE9ELNS1_3repE0EEENS1_30default_config_static_selectorELNS0_4arch9wavefront6targetE1EEEvS12_,"axG",@progbits,_ZN7rocprim17ROCPRIM_400000_NS6detail17trampoline_kernelINS0_13select_configILj256ELj13ELNS0_17block_load_methodE3ELS4_3ELS4_3ELNS0_20block_scan_algorithmE0ELj4294967295EEENS1_25partition_config_selectorILNS1_17partition_subalgoE4EjNS0_10empty_typeEbEEZZNS1_14partition_implILS8_4ELb0ES6_15HIP_vector_typeIjLj2EENS0_17counting_iteratorIjlEEPS9_SG_NS0_5tupleIJPjSI_NS0_16reverse_iteratorISI_EEEEENSH_IJSG_SG_SG_EEES9_SI_JZNS1_25segmented_radix_sort_implINS0_14default_configELb1EPKdPdPKlPlN2at6native12_GLOBAL__N_18offset_tEEE10hipError_tPvRmT1_PNSt15iterator_traitsIS12_E10value_typeET2_T3_PNS13_IS18_E10value_typeET4_jRbjT5_S1E_jjP12ihipStream_tbEUljE_ZNSN_ISO_Lb1ESQ_SR_ST_SU_SY_EESZ_S10_S11_S12_S16_S17_S18_S1B_S1C_jS1D_jS1E_S1E_jjS1G_bEUljE0_EEESZ_S10_S11_S18_S1C_S1E_T6_T7_T9_mT8_S1G_bDpT10_ENKUlT_T0_E_clISt17integral_constantIbLb0EES1U_EEDaS1P_S1Q_EUlS1P_E_NS1_11comp_targetILNS1_3genE5ELNS1_11target_archE942ELNS1_3gpuE9ELNS1_3repE0EEENS1_30default_config_static_selectorELNS0_4arch9wavefront6targetE1EEEvS12_,comdat
.Lfunc_end1055:
	.size	_ZN7rocprim17ROCPRIM_400000_NS6detail17trampoline_kernelINS0_13select_configILj256ELj13ELNS0_17block_load_methodE3ELS4_3ELS4_3ELNS0_20block_scan_algorithmE0ELj4294967295EEENS1_25partition_config_selectorILNS1_17partition_subalgoE4EjNS0_10empty_typeEbEEZZNS1_14partition_implILS8_4ELb0ES6_15HIP_vector_typeIjLj2EENS0_17counting_iteratorIjlEEPS9_SG_NS0_5tupleIJPjSI_NS0_16reverse_iteratorISI_EEEEENSH_IJSG_SG_SG_EEES9_SI_JZNS1_25segmented_radix_sort_implINS0_14default_configELb1EPKdPdPKlPlN2at6native12_GLOBAL__N_18offset_tEEE10hipError_tPvRmT1_PNSt15iterator_traitsIS12_E10value_typeET2_T3_PNS13_IS18_E10value_typeET4_jRbjT5_S1E_jjP12ihipStream_tbEUljE_ZNSN_ISO_Lb1ESQ_SR_ST_SU_SY_EESZ_S10_S11_S12_S16_S17_S18_S1B_S1C_jS1D_jS1E_S1E_jjS1G_bEUljE0_EEESZ_S10_S11_S18_S1C_S1E_T6_T7_T9_mT8_S1G_bDpT10_ENKUlT_T0_E_clISt17integral_constantIbLb0EES1U_EEDaS1P_S1Q_EUlS1P_E_NS1_11comp_targetILNS1_3genE5ELNS1_11target_archE942ELNS1_3gpuE9ELNS1_3repE0EEENS1_30default_config_static_selectorELNS0_4arch9wavefront6targetE1EEEvS12_, .Lfunc_end1055-_ZN7rocprim17ROCPRIM_400000_NS6detail17trampoline_kernelINS0_13select_configILj256ELj13ELNS0_17block_load_methodE3ELS4_3ELS4_3ELNS0_20block_scan_algorithmE0ELj4294967295EEENS1_25partition_config_selectorILNS1_17partition_subalgoE4EjNS0_10empty_typeEbEEZZNS1_14partition_implILS8_4ELb0ES6_15HIP_vector_typeIjLj2EENS0_17counting_iteratorIjlEEPS9_SG_NS0_5tupleIJPjSI_NS0_16reverse_iteratorISI_EEEEENSH_IJSG_SG_SG_EEES9_SI_JZNS1_25segmented_radix_sort_implINS0_14default_configELb1EPKdPdPKlPlN2at6native12_GLOBAL__N_18offset_tEEE10hipError_tPvRmT1_PNSt15iterator_traitsIS12_E10value_typeET2_T3_PNS13_IS18_E10value_typeET4_jRbjT5_S1E_jjP12ihipStream_tbEUljE_ZNSN_ISO_Lb1ESQ_SR_ST_SU_SY_EESZ_S10_S11_S12_S16_S17_S18_S1B_S1C_jS1D_jS1E_S1E_jjS1G_bEUljE0_EEESZ_S10_S11_S18_S1C_S1E_T6_T7_T9_mT8_S1G_bDpT10_ENKUlT_T0_E_clISt17integral_constantIbLb0EES1U_EEDaS1P_S1Q_EUlS1P_E_NS1_11comp_targetILNS1_3genE5ELNS1_11target_archE942ELNS1_3gpuE9ELNS1_3repE0EEENS1_30default_config_static_selectorELNS0_4arch9wavefront6targetE1EEEvS12_
                                        ; -- End function
	.set _ZN7rocprim17ROCPRIM_400000_NS6detail17trampoline_kernelINS0_13select_configILj256ELj13ELNS0_17block_load_methodE3ELS4_3ELS4_3ELNS0_20block_scan_algorithmE0ELj4294967295EEENS1_25partition_config_selectorILNS1_17partition_subalgoE4EjNS0_10empty_typeEbEEZZNS1_14partition_implILS8_4ELb0ES6_15HIP_vector_typeIjLj2EENS0_17counting_iteratorIjlEEPS9_SG_NS0_5tupleIJPjSI_NS0_16reverse_iteratorISI_EEEEENSH_IJSG_SG_SG_EEES9_SI_JZNS1_25segmented_radix_sort_implINS0_14default_configELb1EPKdPdPKlPlN2at6native12_GLOBAL__N_18offset_tEEE10hipError_tPvRmT1_PNSt15iterator_traitsIS12_E10value_typeET2_T3_PNS13_IS18_E10value_typeET4_jRbjT5_S1E_jjP12ihipStream_tbEUljE_ZNSN_ISO_Lb1ESQ_SR_ST_SU_SY_EESZ_S10_S11_S12_S16_S17_S18_S1B_S1C_jS1D_jS1E_S1E_jjS1G_bEUljE0_EEESZ_S10_S11_S18_S1C_S1E_T6_T7_T9_mT8_S1G_bDpT10_ENKUlT_T0_E_clISt17integral_constantIbLb0EES1U_EEDaS1P_S1Q_EUlS1P_E_NS1_11comp_targetILNS1_3genE5ELNS1_11target_archE942ELNS1_3gpuE9ELNS1_3repE0EEENS1_30default_config_static_selectorELNS0_4arch9wavefront6targetE1EEEvS12_.num_vgpr, 0
	.set _ZN7rocprim17ROCPRIM_400000_NS6detail17trampoline_kernelINS0_13select_configILj256ELj13ELNS0_17block_load_methodE3ELS4_3ELS4_3ELNS0_20block_scan_algorithmE0ELj4294967295EEENS1_25partition_config_selectorILNS1_17partition_subalgoE4EjNS0_10empty_typeEbEEZZNS1_14partition_implILS8_4ELb0ES6_15HIP_vector_typeIjLj2EENS0_17counting_iteratorIjlEEPS9_SG_NS0_5tupleIJPjSI_NS0_16reverse_iteratorISI_EEEEENSH_IJSG_SG_SG_EEES9_SI_JZNS1_25segmented_radix_sort_implINS0_14default_configELb1EPKdPdPKlPlN2at6native12_GLOBAL__N_18offset_tEEE10hipError_tPvRmT1_PNSt15iterator_traitsIS12_E10value_typeET2_T3_PNS13_IS18_E10value_typeET4_jRbjT5_S1E_jjP12ihipStream_tbEUljE_ZNSN_ISO_Lb1ESQ_SR_ST_SU_SY_EESZ_S10_S11_S12_S16_S17_S18_S1B_S1C_jS1D_jS1E_S1E_jjS1G_bEUljE0_EEESZ_S10_S11_S18_S1C_S1E_T6_T7_T9_mT8_S1G_bDpT10_ENKUlT_T0_E_clISt17integral_constantIbLb0EES1U_EEDaS1P_S1Q_EUlS1P_E_NS1_11comp_targetILNS1_3genE5ELNS1_11target_archE942ELNS1_3gpuE9ELNS1_3repE0EEENS1_30default_config_static_selectorELNS0_4arch9wavefront6targetE1EEEvS12_.num_agpr, 0
	.set _ZN7rocprim17ROCPRIM_400000_NS6detail17trampoline_kernelINS0_13select_configILj256ELj13ELNS0_17block_load_methodE3ELS4_3ELS4_3ELNS0_20block_scan_algorithmE0ELj4294967295EEENS1_25partition_config_selectorILNS1_17partition_subalgoE4EjNS0_10empty_typeEbEEZZNS1_14partition_implILS8_4ELb0ES6_15HIP_vector_typeIjLj2EENS0_17counting_iteratorIjlEEPS9_SG_NS0_5tupleIJPjSI_NS0_16reverse_iteratorISI_EEEEENSH_IJSG_SG_SG_EEES9_SI_JZNS1_25segmented_radix_sort_implINS0_14default_configELb1EPKdPdPKlPlN2at6native12_GLOBAL__N_18offset_tEEE10hipError_tPvRmT1_PNSt15iterator_traitsIS12_E10value_typeET2_T3_PNS13_IS18_E10value_typeET4_jRbjT5_S1E_jjP12ihipStream_tbEUljE_ZNSN_ISO_Lb1ESQ_SR_ST_SU_SY_EESZ_S10_S11_S12_S16_S17_S18_S1B_S1C_jS1D_jS1E_S1E_jjS1G_bEUljE0_EEESZ_S10_S11_S18_S1C_S1E_T6_T7_T9_mT8_S1G_bDpT10_ENKUlT_T0_E_clISt17integral_constantIbLb0EES1U_EEDaS1P_S1Q_EUlS1P_E_NS1_11comp_targetILNS1_3genE5ELNS1_11target_archE942ELNS1_3gpuE9ELNS1_3repE0EEENS1_30default_config_static_selectorELNS0_4arch9wavefront6targetE1EEEvS12_.numbered_sgpr, 0
	.set _ZN7rocprim17ROCPRIM_400000_NS6detail17trampoline_kernelINS0_13select_configILj256ELj13ELNS0_17block_load_methodE3ELS4_3ELS4_3ELNS0_20block_scan_algorithmE0ELj4294967295EEENS1_25partition_config_selectorILNS1_17partition_subalgoE4EjNS0_10empty_typeEbEEZZNS1_14partition_implILS8_4ELb0ES6_15HIP_vector_typeIjLj2EENS0_17counting_iteratorIjlEEPS9_SG_NS0_5tupleIJPjSI_NS0_16reverse_iteratorISI_EEEEENSH_IJSG_SG_SG_EEES9_SI_JZNS1_25segmented_radix_sort_implINS0_14default_configELb1EPKdPdPKlPlN2at6native12_GLOBAL__N_18offset_tEEE10hipError_tPvRmT1_PNSt15iterator_traitsIS12_E10value_typeET2_T3_PNS13_IS18_E10value_typeET4_jRbjT5_S1E_jjP12ihipStream_tbEUljE_ZNSN_ISO_Lb1ESQ_SR_ST_SU_SY_EESZ_S10_S11_S12_S16_S17_S18_S1B_S1C_jS1D_jS1E_S1E_jjS1G_bEUljE0_EEESZ_S10_S11_S18_S1C_S1E_T6_T7_T9_mT8_S1G_bDpT10_ENKUlT_T0_E_clISt17integral_constantIbLb0EES1U_EEDaS1P_S1Q_EUlS1P_E_NS1_11comp_targetILNS1_3genE5ELNS1_11target_archE942ELNS1_3gpuE9ELNS1_3repE0EEENS1_30default_config_static_selectorELNS0_4arch9wavefront6targetE1EEEvS12_.num_named_barrier, 0
	.set _ZN7rocprim17ROCPRIM_400000_NS6detail17trampoline_kernelINS0_13select_configILj256ELj13ELNS0_17block_load_methodE3ELS4_3ELS4_3ELNS0_20block_scan_algorithmE0ELj4294967295EEENS1_25partition_config_selectorILNS1_17partition_subalgoE4EjNS0_10empty_typeEbEEZZNS1_14partition_implILS8_4ELb0ES6_15HIP_vector_typeIjLj2EENS0_17counting_iteratorIjlEEPS9_SG_NS0_5tupleIJPjSI_NS0_16reverse_iteratorISI_EEEEENSH_IJSG_SG_SG_EEES9_SI_JZNS1_25segmented_radix_sort_implINS0_14default_configELb1EPKdPdPKlPlN2at6native12_GLOBAL__N_18offset_tEEE10hipError_tPvRmT1_PNSt15iterator_traitsIS12_E10value_typeET2_T3_PNS13_IS18_E10value_typeET4_jRbjT5_S1E_jjP12ihipStream_tbEUljE_ZNSN_ISO_Lb1ESQ_SR_ST_SU_SY_EESZ_S10_S11_S12_S16_S17_S18_S1B_S1C_jS1D_jS1E_S1E_jjS1G_bEUljE0_EEESZ_S10_S11_S18_S1C_S1E_T6_T7_T9_mT8_S1G_bDpT10_ENKUlT_T0_E_clISt17integral_constantIbLb0EES1U_EEDaS1P_S1Q_EUlS1P_E_NS1_11comp_targetILNS1_3genE5ELNS1_11target_archE942ELNS1_3gpuE9ELNS1_3repE0EEENS1_30default_config_static_selectorELNS0_4arch9wavefront6targetE1EEEvS12_.private_seg_size, 0
	.set _ZN7rocprim17ROCPRIM_400000_NS6detail17trampoline_kernelINS0_13select_configILj256ELj13ELNS0_17block_load_methodE3ELS4_3ELS4_3ELNS0_20block_scan_algorithmE0ELj4294967295EEENS1_25partition_config_selectorILNS1_17partition_subalgoE4EjNS0_10empty_typeEbEEZZNS1_14partition_implILS8_4ELb0ES6_15HIP_vector_typeIjLj2EENS0_17counting_iteratorIjlEEPS9_SG_NS0_5tupleIJPjSI_NS0_16reverse_iteratorISI_EEEEENSH_IJSG_SG_SG_EEES9_SI_JZNS1_25segmented_radix_sort_implINS0_14default_configELb1EPKdPdPKlPlN2at6native12_GLOBAL__N_18offset_tEEE10hipError_tPvRmT1_PNSt15iterator_traitsIS12_E10value_typeET2_T3_PNS13_IS18_E10value_typeET4_jRbjT5_S1E_jjP12ihipStream_tbEUljE_ZNSN_ISO_Lb1ESQ_SR_ST_SU_SY_EESZ_S10_S11_S12_S16_S17_S18_S1B_S1C_jS1D_jS1E_S1E_jjS1G_bEUljE0_EEESZ_S10_S11_S18_S1C_S1E_T6_T7_T9_mT8_S1G_bDpT10_ENKUlT_T0_E_clISt17integral_constantIbLb0EES1U_EEDaS1P_S1Q_EUlS1P_E_NS1_11comp_targetILNS1_3genE5ELNS1_11target_archE942ELNS1_3gpuE9ELNS1_3repE0EEENS1_30default_config_static_selectorELNS0_4arch9wavefront6targetE1EEEvS12_.uses_vcc, 0
	.set _ZN7rocprim17ROCPRIM_400000_NS6detail17trampoline_kernelINS0_13select_configILj256ELj13ELNS0_17block_load_methodE3ELS4_3ELS4_3ELNS0_20block_scan_algorithmE0ELj4294967295EEENS1_25partition_config_selectorILNS1_17partition_subalgoE4EjNS0_10empty_typeEbEEZZNS1_14partition_implILS8_4ELb0ES6_15HIP_vector_typeIjLj2EENS0_17counting_iteratorIjlEEPS9_SG_NS0_5tupleIJPjSI_NS0_16reverse_iteratorISI_EEEEENSH_IJSG_SG_SG_EEES9_SI_JZNS1_25segmented_radix_sort_implINS0_14default_configELb1EPKdPdPKlPlN2at6native12_GLOBAL__N_18offset_tEEE10hipError_tPvRmT1_PNSt15iterator_traitsIS12_E10value_typeET2_T3_PNS13_IS18_E10value_typeET4_jRbjT5_S1E_jjP12ihipStream_tbEUljE_ZNSN_ISO_Lb1ESQ_SR_ST_SU_SY_EESZ_S10_S11_S12_S16_S17_S18_S1B_S1C_jS1D_jS1E_S1E_jjS1G_bEUljE0_EEESZ_S10_S11_S18_S1C_S1E_T6_T7_T9_mT8_S1G_bDpT10_ENKUlT_T0_E_clISt17integral_constantIbLb0EES1U_EEDaS1P_S1Q_EUlS1P_E_NS1_11comp_targetILNS1_3genE5ELNS1_11target_archE942ELNS1_3gpuE9ELNS1_3repE0EEENS1_30default_config_static_selectorELNS0_4arch9wavefront6targetE1EEEvS12_.uses_flat_scratch, 0
	.set _ZN7rocprim17ROCPRIM_400000_NS6detail17trampoline_kernelINS0_13select_configILj256ELj13ELNS0_17block_load_methodE3ELS4_3ELS4_3ELNS0_20block_scan_algorithmE0ELj4294967295EEENS1_25partition_config_selectorILNS1_17partition_subalgoE4EjNS0_10empty_typeEbEEZZNS1_14partition_implILS8_4ELb0ES6_15HIP_vector_typeIjLj2EENS0_17counting_iteratorIjlEEPS9_SG_NS0_5tupleIJPjSI_NS0_16reverse_iteratorISI_EEEEENSH_IJSG_SG_SG_EEES9_SI_JZNS1_25segmented_radix_sort_implINS0_14default_configELb1EPKdPdPKlPlN2at6native12_GLOBAL__N_18offset_tEEE10hipError_tPvRmT1_PNSt15iterator_traitsIS12_E10value_typeET2_T3_PNS13_IS18_E10value_typeET4_jRbjT5_S1E_jjP12ihipStream_tbEUljE_ZNSN_ISO_Lb1ESQ_SR_ST_SU_SY_EESZ_S10_S11_S12_S16_S17_S18_S1B_S1C_jS1D_jS1E_S1E_jjS1G_bEUljE0_EEESZ_S10_S11_S18_S1C_S1E_T6_T7_T9_mT8_S1G_bDpT10_ENKUlT_T0_E_clISt17integral_constantIbLb0EES1U_EEDaS1P_S1Q_EUlS1P_E_NS1_11comp_targetILNS1_3genE5ELNS1_11target_archE942ELNS1_3gpuE9ELNS1_3repE0EEENS1_30default_config_static_selectorELNS0_4arch9wavefront6targetE1EEEvS12_.has_dyn_sized_stack, 0
	.set _ZN7rocprim17ROCPRIM_400000_NS6detail17trampoline_kernelINS0_13select_configILj256ELj13ELNS0_17block_load_methodE3ELS4_3ELS4_3ELNS0_20block_scan_algorithmE0ELj4294967295EEENS1_25partition_config_selectorILNS1_17partition_subalgoE4EjNS0_10empty_typeEbEEZZNS1_14partition_implILS8_4ELb0ES6_15HIP_vector_typeIjLj2EENS0_17counting_iteratorIjlEEPS9_SG_NS0_5tupleIJPjSI_NS0_16reverse_iteratorISI_EEEEENSH_IJSG_SG_SG_EEES9_SI_JZNS1_25segmented_radix_sort_implINS0_14default_configELb1EPKdPdPKlPlN2at6native12_GLOBAL__N_18offset_tEEE10hipError_tPvRmT1_PNSt15iterator_traitsIS12_E10value_typeET2_T3_PNS13_IS18_E10value_typeET4_jRbjT5_S1E_jjP12ihipStream_tbEUljE_ZNSN_ISO_Lb1ESQ_SR_ST_SU_SY_EESZ_S10_S11_S12_S16_S17_S18_S1B_S1C_jS1D_jS1E_S1E_jjS1G_bEUljE0_EEESZ_S10_S11_S18_S1C_S1E_T6_T7_T9_mT8_S1G_bDpT10_ENKUlT_T0_E_clISt17integral_constantIbLb0EES1U_EEDaS1P_S1Q_EUlS1P_E_NS1_11comp_targetILNS1_3genE5ELNS1_11target_archE942ELNS1_3gpuE9ELNS1_3repE0EEENS1_30default_config_static_selectorELNS0_4arch9wavefront6targetE1EEEvS12_.has_recursion, 0
	.set _ZN7rocprim17ROCPRIM_400000_NS6detail17trampoline_kernelINS0_13select_configILj256ELj13ELNS0_17block_load_methodE3ELS4_3ELS4_3ELNS0_20block_scan_algorithmE0ELj4294967295EEENS1_25partition_config_selectorILNS1_17partition_subalgoE4EjNS0_10empty_typeEbEEZZNS1_14partition_implILS8_4ELb0ES6_15HIP_vector_typeIjLj2EENS0_17counting_iteratorIjlEEPS9_SG_NS0_5tupleIJPjSI_NS0_16reverse_iteratorISI_EEEEENSH_IJSG_SG_SG_EEES9_SI_JZNS1_25segmented_radix_sort_implINS0_14default_configELb1EPKdPdPKlPlN2at6native12_GLOBAL__N_18offset_tEEE10hipError_tPvRmT1_PNSt15iterator_traitsIS12_E10value_typeET2_T3_PNS13_IS18_E10value_typeET4_jRbjT5_S1E_jjP12ihipStream_tbEUljE_ZNSN_ISO_Lb1ESQ_SR_ST_SU_SY_EESZ_S10_S11_S12_S16_S17_S18_S1B_S1C_jS1D_jS1E_S1E_jjS1G_bEUljE0_EEESZ_S10_S11_S18_S1C_S1E_T6_T7_T9_mT8_S1G_bDpT10_ENKUlT_T0_E_clISt17integral_constantIbLb0EES1U_EEDaS1P_S1Q_EUlS1P_E_NS1_11comp_targetILNS1_3genE5ELNS1_11target_archE942ELNS1_3gpuE9ELNS1_3repE0EEENS1_30default_config_static_selectorELNS0_4arch9wavefront6targetE1EEEvS12_.has_indirect_call, 0
	.section	.AMDGPU.csdata,"",@progbits
; Kernel info:
; codeLenInByte = 0
; TotalNumSgprs: 4
; NumVgprs: 0
; ScratchSize: 0
; MemoryBound: 0
; FloatMode: 240
; IeeeMode: 1
; LDSByteSize: 0 bytes/workgroup (compile time only)
; SGPRBlocks: 0
; VGPRBlocks: 0
; NumSGPRsForWavesPerEU: 4
; NumVGPRsForWavesPerEU: 1
; Occupancy: 10
; WaveLimiterHint : 0
; COMPUTE_PGM_RSRC2:SCRATCH_EN: 0
; COMPUTE_PGM_RSRC2:USER_SGPR: 6
; COMPUTE_PGM_RSRC2:TRAP_HANDLER: 0
; COMPUTE_PGM_RSRC2:TGID_X_EN: 1
; COMPUTE_PGM_RSRC2:TGID_Y_EN: 0
; COMPUTE_PGM_RSRC2:TGID_Z_EN: 0
; COMPUTE_PGM_RSRC2:TIDIG_COMP_CNT: 0
	.section	.text._ZN7rocprim17ROCPRIM_400000_NS6detail17trampoline_kernelINS0_13select_configILj256ELj13ELNS0_17block_load_methodE3ELS4_3ELS4_3ELNS0_20block_scan_algorithmE0ELj4294967295EEENS1_25partition_config_selectorILNS1_17partition_subalgoE4EjNS0_10empty_typeEbEEZZNS1_14partition_implILS8_4ELb0ES6_15HIP_vector_typeIjLj2EENS0_17counting_iteratorIjlEEPS9_SG_NS0_5tupleIJPjSI_NS0_16reverse_iteratorISI_EEEEENSH_IJSG_SG_SG_EEES9_SI_JZNS1_25segmented_radix_sort_implINS0_14default_configELb1EPKdPdPKlPlN2at6native12_GLOBAL__N_18offset_tEEE10hipError_tPvRmT1_PNSt15iterator_traitsIS12_E10value_typeET2_T3_PNS13_IS18_E10value_typeET4_jRbjT5_S1E_jjP12ihipStream_tbEUljE_ZNSN_ISO_Lb1ESQ_SR_ST_SU_SY_EESZ_S10_S11_S12_S16_S17_S18_S1B_S1C_jS1D_jS1E_S1E_jjS1G_bEUljE0_EEESZ_S10_S11_S18_S1C_S1E_T6_T7_T9_mT8_S1G_bDpT10_ENKUlT_T0_E_clISt17integral_constantIbLb0EES1U_EEDaS1P_S1Q_EUlS1P_E_NS1_11comp_targetILNS1_3genE4ELNS1_11target_archE910ELNS1_3gpuE8ELNS1_3repE0EEENS1_30default_config_static_selectorELNS0_4arch9wavefront6targetE1EEEvS12_,"axG",@progbits,_ZN7rocprim17ROCPRIM_400000_NS6detail17trampoline_kernelINS0_13select_configILj256ELj13ELNS0_17block_load_methodE3ELS4_3ELS4_3ELNS0_20block_scan_algorithmE0ELj4294967295EEENS1_25partition_config_selectorILNS1_17partition_subalgoE4EjNS0_10empty_typeEbEEZZNS1_14partition_implILS8_4ELb0ES6_15HIP_vector_typeIjLj2EENS0_17counting_iteratorIjlEEPS9_SG_NS0_5tupleIJPjSI_NS0_16reverse_iteratorISI_EEEEENSH_IJSG_SG_SG_EEES9_SI_JZNS1_25segmented_radix_sort_implINS0_14default_configELb1EPKdPdPKlPlN2at6native12_GLOBAL__N_18offset_tEEE10hipError_tPvRmT1_PNSt15iterator_traitsIS12_E10value_typeET2_T3_PNS13_IS18_E10value_typeET4_jRbjT5_S1E_jjP12ihipStream_tbEUljE_ZNSN_ISO_Lb1ESQ_SR_ST_SU_SY_EESZ_S10_S11_S12_S16_S17_S18_S1B_S1C_jS1D_jS1E_S1E_jjS1G_bEUljE0_EEESZ_S10_S11_S18_S1C_S1E_T6_T7_T9_mT8_S1G_bDpT10_ENKUlT_T0_E_clISt17integral_constantIbLb0EES1U_EEDaS1P_S1Q_EUlS1P_E_NS1_11comp_targetILNS1_3genE4ELNS1_11target_archE910ELNS1_3gpuE8ELNS1_3repE0EEENS1_30default_config_static_selectorELNS0_4arch9wavefront6targetE1EEEvS12_,comdat
	.globl	_ZN7rocprim17ROCPRIM_400000_NS6detail17trampoline_kernelINS0_13select_configILj256ELj13ELNS0_17block_load_methodE3ELS4_3ELS4_3ELNS0_20block_scan_algorithmE0ELj4294967295EEENS1_25partition_config_selectorILNS1_17partition_subalgoE4EjNS0_10empty_typeEbEEZZNS1_14partition_implILS8_4ELb0ES6_15HIP_vector_typeIjLj2EENS0_17counting_iteratorIjlEEPS9_SG_NS0_5tupleIJPjSI_NS0_16reverse_iteratorISI_EEEEENSH_IJSG_SG_SG_EEES9_SI_JZNS1_25segmented_radix_sort_implINS0_14default_configELb1EPKdPdPKlPlN2at6native12_GLOBAL__N_18offset_tEEE10hipError_tPvRmT1_PNSt15iterator_traitsIS12_E10value_typeET2_T3_PNS13_IS18_E10value_typeET4_jRbjT5_S1E_jjP12ihipStream_tbEUljE_ZNSN_ISO_Lb1ESQ_SR_ST_SU_SY_EESZ_S10_S11_S12_S16_S17_S18_S1B_S1C_jS1D_jS1E_S1E_jjS1G_bEUljE0_EEESZ_S10_S11_S18_S1C_S1E_T6_T7_T9_mT8_S1G_bDpT10_ENKUlT_T0_E_clISt17integral_constantIbLb0EES1U_EEDaS1P_S1Q_EUlS1P_E_NS1_11comp_targetILNS1_3genE4ELNS1_11target_archE910ELNS1_3gpuE8ELNS1_3repE0EEENS1_30default_config_static_selectorELNS0_4arch9wavefront6targetE1EEEvS12_ ; -- Begin function _ZN7rocprim17ROCPRIM_400000_NS6detail17trampoline_kernelINS0_13select_configILj256ELj13ELNS0_17block_load_methodE3ELS4_3ELS4_3ELNS0_20block_scan_algorithmE0ELj4294967295EEENS1_25partition_config_selectorILNS1_17partition_subalgoE4EjNS0_10empty_typeEbEEZZNS1_14partition_implILS8_4ELb0ES6_15HIP_vector_typeIjLj2EENS0_17counting_iteratorIjlEEPS9_SG_NS0_5tupleIJPjSI_NS0_16reverse_iteratorISI_EEEEENSH_IJSG_SG_SG_EEES9_SI_JZNS1_25segmented_radix_sort_implINS0_14default_configELb1EPKdPdPKlPlN2at6native12_GLOBAL__N_18offset_tEEE10hipError_tPvRmT1_PNSt15iterator_traitsIS12_E10value_typeET2_T3_PNS13_IS18_E10value_typeET4_jRbjT5_S1E_jjP12ihipStream_tbEUljE_ZNSN_ISO_Lb1ESQ_SR_ST_SU_SY_EESZ_S10_S11_S12_S16_S17_S18_S1B_S1C_jS1D_jS1E_S1E_jjS1G_bEUljE0_EEESZ_S10_S11_S18_S1C_S1E_T6_T7_T9_mT8_S1G_bDpT10_ENKUlT_T0_E_clISt17integral_constantIbLb0EES1U_EEDaS1P_S1Q_EUlS1P_E_NS1_11comp_targetILNS1_3genE4ELNS1_11target_archE910ELNS1_3gpuE8ELNS1_3repE0EEENS1_30default_config_static_selectorELNS0_4arch9wavefront6targetE1EEEvS12_
	.p2align	8
	.type	_ZN7rocprim17ROCPRIM_400000_NS6detail17trampoline_kernelINS0_13select_configILj256ELj13ELNS0_17block_load_methodE3ELS4_3ELS4_3ELNS0_20block_scan_algorithmE0ELj4294967295EEENS1_25partition_config_selectorILNS1_17partition_subalgoE4EjNS0_10empty_typeEbEEZZNS1_14partition_implILS8_4ELb0ES6_15HIP_vector_typeIjLj2EENS0_17counting_iteratorIjlEEPS9_SG_NS0_5tupleIJPjSI_NS0_16reverse_iteratorISI_EEEEENSH_IJSG_SG_SG_EEES9_SI_JZNS1_25segmented_radix_sort_implINS0_14default_configELb1EPKdPdPKlPlN2at6native12_GLOBAL__N_18offset_tEEE10hipError_tPvRmT1_PNSt15iterator_traitsIS12_E10value_typeET2_T3_PNS13_IS18_E10value_typeET4_jRbjT5_S1E_jjP12ihipStream_tbEUljE_ZNSN_ISO_Lb1ESQ_SR_ST_SU_SY_EESZ_S10_S11_S12_S16_S17_S18_S1B_S1C_jS1D_jS1E_S1E_jjS1G_bEUljE0_EEESZ_S10_S11_S18_S1C_S1E_T6_T7_T9_mT8_S1G_bDpT10_ENKUlT_T0_E_clISt17integral_constantIbLb0EES1U_EEDaS1P_S1Q_EUlS1P_E_NS1_11comp_targetILNS1_3genE4ELNS1_11target_archE910ELNS1_3gpuE8ELNS1_3repE0EEENS1_30default_config_static_selectorELNS0_4arch9wavefront6targetE1EEEvS12_,@function
_ZN7rocprim17ROCPRIM_400000_NS6detail17trampoline_kernelINS0_13select_configILj256ELj13ELNS0_17block_load_methodE3ELS4_3ELS4_3ELNS0_20block_scan_algorithmE0ELj4294967295EEENS1_25partition_config_selectorILNS1_17partition_subalgoE4EjNS0_10empty_typeEbEEZZNS1_14partition_implILS8_4ELb0ES6_15HIP_vector_typeIjLj2EENS0_17counting_iteratorIjlEEPS9_SG_NS0_5tupleIJPjSI_NS0_16reverse_iteratorISI_EEEEENSH_IJSG_SG_SG_EEES9_SI_JZNS1_25segmented_radix_sort_implINS0_14default_configELb1EPKdPdPKlPlN2at6native12_GLOBAL__N_18offset_tEEE10hipError_tPvRmT1_PNSt15iterator_traitsIS12_E10value_typeET2_T3_PNS13_IS18_E10value_typeET4_jRbjT5_S1E_jjP12ihipStream_tbEUljE_ZNSN_ISO_Lb1ESQ_SR_ST_SU_SY_EESZ_S10_S11_S12_S16_S17_S18_S1B_S1C_jS1D_jS1E_S1E_jjS1G_bEUljE0_EEESZ_S10_S11_S18_S1C_S1E_T6_T7_T9_mT8_S1G_bDpT10_ENKUlT_T0_E_clISt17integral_constantIbLb0EES1U_EEDaS1P_S1Q_EUlS1P_E_NS1_11comp_targetILNS1_3genE4ELNS1_11target_archE910ELNS1_3gpuE8ELNS1_3repE0EEENS1_30default_config_static_selectorELNS0_4arch9wavefront6targetE1EEEvS12_: ; @_ZN7rocprim17ROCPRIM_400000_NS6detail17trampoline_kernelINS0_13select_configILj256ELj13ELNS0_17block_load_methodE3ELS4_3ELS4_3ELNS0_20block_scan_algorithmE0ELj4294967295EEENS1_25partition_config_selectorILNS1_17partition_subalgoE4EjNS0_10empty_typeEbEEZZNS1_14partition_implILS8_4ELb0ES6_15HIP_vector_typeIjLj2EENS0_17counting_iteratorIjlEEPS9_SG_NS0_5tupleIJPjSI_NS0_16reverse_iteratorISI_EEEEENSH_IJSG_SG_SG_EEES9_SI_JZNS1_25segmented_radix_sort_implINS0_14default_configELb1EPKdPdPKlPlN2at6native12_GLOBAL__N_18offset_tEEE10hipError_tPvRmT1_PNSt15iterator_traitsIS12_E10value_typeET2_T3_PNS13_IS18_E10value_typeET4_jRbjT5_S1E_jjP12ihipStream_tbEUljE_ZNSN_ISO_Lb1ESQ_SR_ST_SU_SY_EESZ_S10_S11_S12_S16_S17_S18_S1B_S1C_jS1D_jS1E_S1E_jjS1G_bEUljE0_EEESZ_S10_S11_S18_S1C_S1E_T6_T7_T9_mT8_S1G_bDpT10_ENKUlT_T0_E_clISt17integral_constantIbLb0EES1U_EEDaS1P_S1Q_EUlS1P_E_NS1_11comp_targetILNS1_3genE4ELNS1_11target_archE910ELNS1_3gpuE8ELNS1_3repE0EEENS1_30default_config_static_selectorELNS0_4arch9wavefront6targetE1EEEvS12_
; %bb.0:
	.section	.rodata,"a",@progbits
	.p2align	6, 0x0
	.amdhsa_kernel _ZN7rocprim17ROCPRIM_400000_NS6detail17trampoline_kernelINS0_13select_configILj256ELj13ELNS0_17block_load_methodE3ELS4_3ELS4_3ELNS0_20block_scan_algorithmE0ELj4294967295EEENS1_25partition_config_selectorILNS1_17partition_subalgoE4EjNS0_10empty_typeEbEEZZNS1_14partition_implILS8_4ELb0ES6_15HIP_vector_typeIjLj2EENS0_17counting_iteratorIjlEEPS9_SG_NS0_5tupleIJPjSI_NS0_16reverse_iteratorISI_EEEEENSH_IJSG_SG_SG_EEES9_SI_JZNS1_25segmented_radix_sort_implINS0_14default_configELb1EPKdPdPKlPlN2at6native12_GLOBAL__N_18offset_tEEE10hipError_tPvRmT1_PNSt15iterator_traitsIS12_E10value_typeET2_T3_PNS13_IS18_E10value_typeET4_jRbjT5_S1E_jjP12ihipStream_tbEUljE_ZNSN_ISO_Lb1ESQ_SR_ST_SU_SY_EESZ_S10_S11_S12_S16_S17_S18_S1B_S1C_jS1D_jS1E_S1E_jjS1G_bEUljE0_EEESZ_S10_S11_S18_S1C_S1E_T6_T7_T9_mT8_S1G_bDpT10_ENKUlT_T0_E_clISt17integral_constantIbLb0EES1U_EEDaS1P_S1Q_EUlS1P_E_NS1_11comp_targetILNS1_3genE4ELNS1_11target_archE910ELNS1_3gpuE8ELNS1_3repE0EEENS1_30default_config_static_selectorELNS0_4arch9wavefront6targetE1EEEvS12_
		.amdhsa_group_segment_fixed_size 0
		.amdhsa_private_segment_fixed_size 0
		.amdhsa_kernarg_size 176
		.amdhsa_user_sgpr_count 6
		.amdhsa_user_sgpr_private_segment_buffer 1
		.amdhsa_user_sgpr_dispatch_ptr 0
		.amdhsa_user_sgpr_queue_ptr 0
		.amdhsa_user_sgpr_kernarg_segment_ptr 1
		.amdhsa_user_sgpr_dispatch_id 0
		.amdhsa_user_sgpr_flat_scratch_init 0
		.amdhsa_user_sgpr_private_segment_size 0
		.amdhsa_uses_dynamic_stack 0
		.amdhsa_system_sgpr_private_segment_wavefront_offset 0
		.amdhsa_system_sgpr_workgroup_id_x 1
		.amdhsa_system_sgpr_workgroup_id_y 0
		.amdhsa_system_sgpr_workgroup_id_z 0
		.amdhsa_system_sgpr_workgroup_info 0
		.amdhsa_system_vgpr_workitem_id 0
		.amdhsa_next_free_vgpr 1
		.amdhsa_next_free_sgpr 0
		.amdhsa_reserve_vcc 0
		.amdhsa_reserve_flat_scratch 0
		.amdhsa_float_round_mode_32 0
		.amdhsa_float_round_mode_16_64 0
		.amdhsa_float_denorm_mode_32 3
		.amdhsa_float_denorm_mode_16_64 3
		.amdhsa_dx10_clamp 1
		.amdhsa_ieee_mode 1
		.amdhsa_fp16_overflow 0
		.amdhsa_exception_fp_ieee_invalid_op 0
		.amdhsa_exception_fp_denorm_src 0
		.amdhsa_exception_fp_ieee_div_zero 0
		.amdhsa_exception_fp_ieee_overflow 0
		.amdhsa_exception_fp_ieee_underflow 0
		.amdhsa_exception_fp_ieee_inexact 0
		.amdhsa_exception_int_div_zero 0
	.end_amdhsa_kernel
	.section	.text._ZN7rocprim17ROCPRIM_400000_NS6detail17trampoline_kernelINS0_13select_configILj256ELj13ELNS0_17block_load_methodE3ELS4_3ELS4_3ELNS0_20block_scan_algorithmE0ELj4294967295EEENS1_25partition_config_selectorILNS1_17partition_subalgoE4EjNS0_10empty_typeEbEEZZNS1_14partition_implILS8_4ELb0ES6_15HIP_vector_typeIjLj2EENS0_17counting_iteratorIjlEEPS9_SG_NS0_5tupleIJPjSI_NS0_16reverse_iteratorISI_EEEEENSH_IJSG_SG_SG_EEES9_SI_JZNS1_25segmented_radix_sort_implINS0_14default_configELb1EPKdPdPKlPlN2at6native12_GLOBAL__N_18offset_tEEE10hipError_tPvRmT1_PNSt15iterator_traitsIS12_E10value_typeET2_T3_PNS13_IS18_E10value_typeET4_jRbjT5_S1E_jjP12ihipStream_tbEUljE_ZNSN_ISO_Lb1ESQ_SR_ST_SU_SY_EESZ_S10_S11_S12_S16_S17_S18_S1B_S1C_jS1D_jS1E_S1E_jjS1G_bEUljE0_EEESZ_S10_S11_S18_S1C_S1E_T6_T7_T9_mT8_S1G_bDpT10_ENKUlT_T0_E_clISt17integral_constantIbLb0EES1U_EEDaS1P_S1Q_EUlS1P_E_NS1_11comp_targetILNS1_3genE4ELNS1_11target_archE910ELNS1_3gpuE8ELNS1_3repE0EEENS1_30default_config_static_selectorELNS0_4arch9wavefront6targetE1EEEvS12_,"axG",@progbits,_ZN7rocprim17ROCPRIM_400000_NS6detail17trampoline_kernelINS0_13select_configILj256ELj13ELNS0_17block_load_methodE3ELS4_3ELS4_3ELNS0_20block_scan_algorithmE0ELj4294967295EEENS1_25partition_config_selectorILNS1_17partition_subalgoE4EjNS0_10empty_typeEbEEZZNS1_14partition_implILS8_4ELb0ES6_15HIP_vector_typeIjLj2EENS0_17counting_iteratorIjlEEPS9_SG_NS0_5tupleIJPjSI_NS0_16reverse_iteratorISI_EEEEENSH_IJSG_SG_SG_EEES9_SI_JZNS1_25segmented_radix_sort_implINS0_14default_configELb1EPKdPdPKlPlN2at6native12_GLOBAL__N_18offset_tEEE10hipError_tPvRmT1_PNSt15iterator_traitsIS12_E10value_typeET2_T3_PNS13_IS18_E10value_typeET4_jRbjT5_S1E_jjP12ihipStream_tbEUljE_ZNSN_ISO_Lb1ESQ_SR_ST_SU_SY_EESZ_S10_S11_S12_S16_S17_S18_S1B_S1C_jS1D_jS1E_S1E_jjS1G_bEUljE0_EEESZ_S10_S11_S18_S1C_S1E_T6_T7_T9_mT8_S1G_bDpT10_ENKUlT_T0_E_clISt17integral_constantIbLb0EES1U_EEDaS1P_S1Q_EUlS1P_E_NS1_11comp_targetILNS1_3genE4ELNS1_11target_archE910ELNS1_3gpuE8ELNS1_3repE0EEENS1_30default_config_static_selectorELNS0_4arch9wavefront6targetE1EEEvS12_,comdat
.Lfunc_end1056:
	.size	_ZN7rocprim17ROCPRIM_400000_NS6detail17trampoline_kernelINS0_13select_configILj256ELj13ELNS0_17block_load_methodE3ELS4_3ELS4_3ELNS0_20block_scan_algorithmE0ELj4294967295EEENS1_25partition_config_selectorILNS1_17partition_subalgoE4EjNS0_10empty_typeEbEEZZNS1_14partition_implILS8_4ELb0ES6_15HIP_vector_typeIjLj2EENS0_17counting_iteratorIjlEEPS9_SG_NS0_5tupleIJPjSI_NS0_16reverse_iteratorISI_EEEEENSH_IJSG_SG_SG_EEES9_SI_JZNS1_25segmented_radix_sort_implINS0_14default_configELb1EPKdPdPKlPlN2at6native12_GLOBAL__N_18offset_tEEE10hipError_tPvRmT1_PNSt15iterator_traitsIS12_E10value_typeET2_T3_PNS13_IS18_E10value_typeET4_jRbjT5_S1E_jjP12ihipStream_tbEUljE_ZNSN_ISO_Lb1ESQ_SR_ST_SU_SY_EESZ_S10_S11_S12_S16_S17_S18_S1B_S1C_jS1D_jS1E_S1E_jjS1G_bEUljE0_EEESZ_S10_S11_S18_S1C_S1E_T6_T7_T9_mT8_S1G_bDpT10_ENKUlT_T0_E_clISt17integral_constantIbLb0EES1U_EEDaS1P_S1Q_EUlS1P_E_NS1_11comp_targetILNS1_3genE4ELNS1_11target_archE910ELNS1_3gpuE8ELNS1_3repE0EEENS1_30default_config_static_selectorELNS0_4arch9wavefront6targetE1EEEvS12_, .Lfunc_end1056-_ZN7rocprim17ROCPRIM_400000_NS6detail17trampoline_kernelINS0_13select_configILj256ELj13ELNS0_17block_load_methodE3ELS4_3ELS4_3ELNS0_20block_scan_algorithmE0ELj4294967295EEENS1_25partition_config_selectorILNS1_17partition_subalgoE4EjNS0_10empty_typeEbEEZZNS1_14partition_implILS8_4ELb0ES6_15HIP_vector_typeIjLj2EENS0_17counting_iteratorIjlEEPS9_SG_NS0_5tupleIJPjSI_NS0_16reverse_iteratorISI_EEEEENSH_IJSG_SG_SG_EEES9_SI_JZNS1_25segmented_radix_sort_implINS0_14default_configELb1EPKdPdPKlPlN2at6native12_GLOBAL__N_18offset_tEEE10hipError_tPvRmT1_PNSt15iterator_traitsIS12_E10value_typeET2_T3_PNS13_IS18_E10value_typeET4_jRbjT5_S1E_jjP12ihipStream_tbEUljE_ZNSN_ISO_Lb1ESQ_SR_ST_SU_SY_EESZ_S10_S11_S12_S16_S17_S18_S1B_S1C_jS1D_jS1E_S1E_jjS1G_bEUljE0_EEESZ_S10_S11_S18_S1C_S1E_T6_T7_T9_mT8_S1G_bDpT10_ENKUlT_T0_E_clISt17integral_constantIbLb0EES1U_EEDaS1P_S1Q_EUlS1P_E_NS1_11comp_targetILNS1_3genE4ELNS1_11target_archE910ELNS1_3gpuE8ELNS1_3repE0EEENS1_30default_config_static_selectorELNS0_4arch9wavefront6targetE1EEEvS12_
                                        ; -- End function
	.set _ZN7rocprim17ROCPRIM_400000_NS6detail17trampoline_kernelINS0_13select_configILj256ELj13ELNS0_17block_load_methodE3ELS4_3ELS4_3ELNS0_20block_scan_algorithmE0ELj4294967295EEENS1_25partition_config_selectorILNS1_17partition_subalgoE4EjNS0_10empty_typeEbEEZZNS1_14partition_implILS8_4ELb0ES6_15HIP_vector_typeIjLj2EENS0_17counting_iteratorIjlEEPS9_SG_NS0_5tupleIJPjSI_NS0_16reverse_iteratorISI_EEEEENSH_IJSG_SG_SG_EEES9_SI_JZNS1_25segmented_radix_sort_implINS0_14default_configELb1EPKdPdPKlPlN2at6native12_GLOBAL__N_18offset_tEEE10hipError_tPvRmT1_PNSt15iterator_traitsIS12_E10value_typeET2_T3_PNS13_IS18_E10value_typeET4_jRbjT5_S1E_jjP12ihipStream_tbEUljE_ZNSN_ISO_Lb1ESQ_SR_ST_SU_SY_EESZ_S10_S11_S12_S16_S17_S18_S1B_S1C_jS1D_jS1E_S1E_jjS1G_bEUljE0_EEESZ_S10_S11_S18_S1C_S1E_T6_T7_T9_mT8_S1G_bDpT10_ENKUlT_T0_E_clISt17integral_constantIbLb0EES1U_EEDaS1P_S1Q_EUlS1P_E_NS1_11comp_targetILNS1_3genE4ELNS1_11target_archE910ELNS1_3gpuE8ELNS1_3repE0EEENS1_30default_config_static_selectorELNS0_4arch9wavefront6targetE1EEEvS12_.num_vgpr, 0
	.set _ZN7rocprim17ROCPRIM_400000_NS6detail17trampoline_kernelINS0_13select_configILj256ELj13ELNS0_17block_load_methodE3ELS4_3ELS4_3ELNS0_20block_scan_algorithmE0ELj4294967295EEENS1_25partition_config_selectorILNS1_17partition_subalgoE4EjNS0_10empty_typeEbEEZZNS1_14partition_implILS8_4ELb0ES6_15HIP_vector_typeIjLj2EENS0_17counting_iteratorIjlEEPS9_SG_NS0_5tupleIJPjSI_NS0_16reverse_iteratorISI_EEEEENSH_IJSG_SG_SG_EEES9_SI_JZNS1_25segmented_radix_sort_implINS0_14default_configELb1EPKdPdPKlPlN2at6native12_GLOBAL__N_18offset_tEEE10hipError_tPvRmT1_PNSt15iterator_traitsIS12_E10value_typeET2_T3_PNS13_IS18_E10value_typeET4_jRbjT5_S1E_jjP12ihipStream_tbEUljE_ZNSN_ISO_Lb1ESQ_SR_ST_SU_SY_EESZ_S10_S11_S12_S16_S17_S18_S1B_S1C_jS1D_jS1E_S1E_jjS1G_bEUljE0_EEESZ_S10_S11_S18_S1C_S1E_T6_T7_T9_mT8_S1G_bDpT10_ENKUlT_T0_E_clISt17integral_constantIbLb0EES1U_EEDaS1P_S1Q_EUlS1P_E_NS1_11comp_targetILNS1_3genE4ELNS1_11target_archE910ELNS1_3gpuE8ELNS1_3repE0EEENS1_30default_config_static_selectorELNS0_4arch9wavefront6targetE1EEEvS12_.num_agpr, 0
	.set _ZN7rocprim17ROCPRIM_400000_NS6detail17trampoline_kernelINS0_13select_configILj256ELj13ELNS0_17block_load_methodE3ELS4_3ELS4_3ELNS0_20block_scan_algorithmE0ELj4294967295EEENS1_25partition_config_selectorILNS1_17partition_subalgoE4EjNS0_10empty_typeEbEEZZNS1_14partition_implILS8_4ELb0ES6_15HIP_vector_typeIjLj2EENS0_17counting_iteratorIjlEEPS9_SG_NS0_5tupleIJPjSI_NS0_16reverse_iteratorISI_EEEEENSH_IJSG_SG_SG_EEES9_SI_JZNS1_25segmented_radix_sort_implINS0_14default_configELb1EPKdPdPKlPlN2at6native12_GLOBAL__N_18offset_tEEE10hipError_tPvRmT1_PNSt15iterator_traitsIS12_E10value_typeET2_T3_PNS13_IS18_E10value_typeET4_jRbjT5_S1E_jjP12ihipStream_tbEUljE_ZNSN_ISO_Lb1ESQ_SR_ST_SU_SY_EESZ_S10_S11_S12_S16_S17_S18_S1B_S1C_jS1D_jS1E_S1E_jjS1G_bEUljE0_EEESZ_S10_S11_S18_S1C_S1E_T6_T7_T9_mT8_S1G_bDpT10_ENKUlT_T0_E_clISt17integral_constantIbLb0EES1U_EEDaS1P_S1Q_EUlS1P_E_NS1_11comp_targetILNS1_3genE4ELNS1_11target_archE910ELNS1_3gpuE8ELNS1_3repE0EEENS1_30default_config_static_selectorELNS0_4arch9wavefront6targetE1EEEvS12_.numbered_sgpr, 0
	.set _ZN7rocprim17ROCPRIM_400000_NS6detail17trampoline_kernelINS0_13select_configILj256ELj13ELNS0_17block_load_methodE3ELS4_3ELS4_3ELNS0_20block_scan_algorithmE0ELj4294967295EEENS1_25partition_config_selectorILNS1_17partition_subalgoE4EjNS0_10empty_typeEbEEZZNS1_14partition_implILS8_4ELb0ES6_15HIP_vector_typeIjLj2EENS0_17counting_iteratorIjlEEPS9_SG_NS0_5tupleIJPjSI_NS0_16reverse_iteratorISI_EEEEENSH_IJSG_SG_SG_EEES9_SI_JZNS1_25segmented_radix_sort_implINS0_14default_configELb1EPKdPdPKlPlN2at6native12_GLOBAL__N_18offset_tEEE10hipError_tPvRmT1_PNSt15iterator_traitsIS12_E10value_typeET2_T3_PNS13_IS18_E10value_typeET4_jRbjT5_S1E_jjP12ihipStream_tbEUljE_ZNSN_ISO_Lb1ESQ_SR_ST_SU_SY_EESZ_S10_S11_S12_S16_S17_S18_S1B_S1C_jS1D_jS1E_S1E_jjS1G_bEUljE0_EEESZ_S10_S11_S18_S1C_S1E_T6_T7_T9_mT8_S1G_bDpT10_ENKUlT_T0_E_clISt17integral_constantIbLb0EES1U_EEDaS1P_S1Q_EUlS1P_E_NS1_11comp_targetILNS1_3genE4ELNS1_11target_archE910ELNS1_3gpuE8ELNS1_3repE0EEENS1_30default_config_static_selectorELNS0_4arch9wavefront6targetE1EEEvS12_.num_named_barrier, 0
	.set _ZN7rocprim17ROCPRIM_400000_NS6detail17trampoline_kernelINS0_13select_configILj256ELj13ELNS0_17block_load_methodE3ELS4_3ELS4_3ELNS0_20block_scan_algorithmE0ELj4294967295EEENS1_25partition_config_selectorILNS1_17partition_subalgoE4EjNS0_10empty_typeEbEEZZNS1_14partition_implILS8_4ELb0ES6_15HIP_vector_typeIjLj2EENS0_17counting_iteratorIjlEEPS9_SG_NS0_5tupleIJPjSI_NS0_16reverse_iteratorISI_EEEEENSH_IJSG_SG_SG_EEES9_SI_JZNS1_25segmented_radix_sort_implINS0_14default_configELb1EPKdPdPKlPlN2at6native12_GLOBAL__N_18offset_tEEE10hipError_tPvRmT1_PNSt15iterator_traitsIS12_E10value_typeET2_T3_PNS13_IS18_E10value_typeET4_jRbjT5_S1E_jjP12ihipStream_tbEUljE_ZNSN_ISO_Lb1ESQ_SR_ST_SU_SY_EESZ_S10_S11_S12_S16_S17_S18_S1B_S1C_jS1D_jS1E_S1E_jjS1G_bEUljE0_EEESZ_S10_S11_S18_S1C_S1E_T6_T7_T9_mT8_S1G_bDpT10_ENKUlT_T0_E_clISt17integral_constantIbLb0EES1U_EEDaS1P_S1Q_EUlS1P_E_NS1_11comp_targetILNS1_3genE4ELNS1_11target_archE910ELNS1_3gpuE8ELNS1_3repE0EEENS1_30default_config_static_selectorELNS0_4arch9wavefront6targetE1EEEvS12_.private_seg_size, 0
	.set _ZN7rocprim17ROCPRIM_400000_NS6detail17trampoline_kernelINS0_13select_configILj256ELj13ELNS0_17block_load_methodE3ELS4_3ELS4_3ELNS0_20block_scan_algorithmE0ELj4294967295EEENS1_25partition_config_selectorILNS1_17partition_subalgoE4EjNS0_10empty_typeEbEEZZNS1_14partition_implILS8_4ELb0ES6_15HIP_vector_typeIjLj2EENS0_17counting_iteratorIjlEEPS9_SG_NS0_5tupleIJPjSI_NS0_16reverse_iteratorISI_EEEEENSH_IJSG_SG_SG_EEES9_SI_JZNS1_25segmented_radix_sort_implINS0_14default_configELb1EPKdPdPKlPlN2at6native12_GLOBAL__N_18offset_tEEE10hipError_tPvRmT1_PNSt15iterator_traitsIS12_E10value_typeET2_T3_PNS13_IS18_E10value_typeET4_jRbjT5_S1E_jjP12ihipStream_tbEUljE_ZNSN_ISO_Lb1ESQ_SR_ST_SU_SY_EESZ_S10_S11_S12_S16_S17_S18_S1B_S1C_jS1D_jS1E_S1E_jjS1G_bEUljE0_EEESZ_S10_S11_S18_S1C_S1E_T6_T7_T9_mT8_S1G_bDpT10_ENKUlT_T0_E_clISt17integral_constantIbLb0EES1U_EEDaS1P_S1Q_EUlS1P_E_NS1_11comp_targetILNS1_3genE4ELNS1_11target_archE910ELNS1_3gpuE8ELNS1_3repE0EEENS1_30default_config_static_selectorELNS0_4arch9wavefront6targetE1EEEvS12_.uses_vcc, 0
	.set _ZN7rocprim17ROCPRIM_400000_NS6detail17trampoline_kernelINS0_13select_configILj256ELj13ELNS0_17block_load_methodE3ELS4_3ELS4_3ELNS0_20block_scan_algorithmE0ELj4294967295EEENS1_25partition_config_selectorILNS1_17partition_subalgoE4EjNS0_10empty_typeEbEEZZNS1_14partition_implILS8_4ELb0ES6_15HIP_vector_typeIjLj2EENS0_17counting_iteratorIjlEEPS9_SG_NS0_5tupleIJPjSI_NS0_16reverse_iteratorISI_EEEEENSH_IJSG_SG_SG_EEES9_SI_JZNS1_25segmented_radix_sort_implINS0_14default_configELb1EPKdPdPKlPlN2at6native12_GLOBAL__N_18offset_tEEE10hipError_tPvRmT1_PNSt15iterator_traitsIS12_E10value_typeET2_T3_PNS13_IS18_E10value_typeET4_jRbjT5_S1E_jjP12ihipStream_tbEUljE_ZNSN_ISO_Lb1ESQ_SR_ST_SU_SY_EESZ_S10_S11_S12_S16_S17_S18_S1B_S1C_jS1D_jS1E_S1E_jjS1G_bEUljE0_EEESZ_S10_S11_S18_S1C_S1E_T6_T7_T9_mT8_S1G_bDpT10_ENKUlT_T0_E_clISt17integral_constantIbLb0EES1U_EEDaS1P_S1Q_EUlS1P_E_NS1_11comp_targetILNS1_3genE4ELNS1_11target_archE910ELNS1_3gpuE8ELNS1_3repE0EEENS1_30default_config_static_selectorELNS0_4arch9wavefront6targetE1EEEvS12_.uses_flat_scratch, 0
	.set _ZN7rocprim17ROCPRIM_400000_NS6detail17trampoline_kernelINS0_13select_configILj256ELj13ELNS0_17block_load_methodE3ELS4_3ELS4_3ELNS0_20block_scan_algorithmE0ELj4294967295EEENS1_25partition_config_selectorILNS1_17partition_subalgoE4EjNS0_10empty_typeEbEEZZNS1_14partition_implILS8_4ELb0ES6_15HIP_vector_typeIjLj2EENS0_17counting_iteratorIjlEEPS9_SG_NS0_5tupleIJPjSI_NS0_16reverse_iteratorISI_EEEEENSH_IJSG_SG_SG_EEES9_SI_JZNS1_25segmented_radix_sort_implINS0_14default_configELb1EPKdPdPKlPlN2at6native12_GLOBAL__N_18offset_tEEE10hipError_tPvRmT1_PNSt15iterator_traitsIS12_E10value_typeET2_T3_PNS13_IS18_E10value_typeET4_jRbjT5_S1E_jjP12ihipStream_tbEUljE_ZNSN_ISO_Lb1ESQ_SR_ST_SU_SY_EESZ_S10_S11_S12_S16_S17_S18_S1B_S1C_jS1D_jS1E_S1E_jjS1G_bEUljE0_EEESZ_S10_S11_S18_S1C_S1E_T6_T7_T9_mT8_S1G_bDpT10_ENKUlT_T0_E_clISt17integral_constantIbLb0EES1U_EEDaS1P_S1Q_EUlS1P_E_NS1_11comp_targetILNS1_3genE4ELNS1_11target_archE910ELNS1_3gpuE8ELNS1_3repE0EEENS1_30default_config_static_selectorELNS0_4arch9wavefront6targetE1EEEvS12_.has_dyn_sized_stack, 0
	.set _ZN7rocprim17ROCPRIM_400000_NS6detail17trampoline_kernelINS0_13select_configILj256ELj13ELNS0_17block_load_methodE3ELS4_3ELS4_3ELNS0_20block_scan_algorithmE0ELj4294967295EEENS1_25partition_config_selectorILNS1_17partition_subalgoE4EjNS0_10empty_typeEbEEZZNS1_14partition_implILS8_4ELb0ES6_15HIP_vector_typeIjLj2EENS0_17counting_iteratorIjlEEPS9_SG_NS0_5tupleIJPjSI_NS0_16reverse_iteratorISI_EEEEENSH_IJSG_SG_SG_EEES9_SI_JZNS1_25segmented_radix_sort_implINS0_14default_configELb1EPKdPdPKlPlN2at6native12_GLOBAL__N_18offset_tEEE10hipError_tPvRmT1_PNSt15iterator_traitsIS12_E10value_typeET2_T3_PNS13_IS18_E10value_typeET4_jRbjT5_S1E_jjP12ihipStream_tbEUljE_ZNSN_ISO_Lb1ESQ_SR_ST_SU_SY_EESZ_S10_S11_S12_S16_S17_S18_S1B_S1C_jS1D_jS1E_S1E_jjS1G_bEUljE0_EEESZ_S10_S11_S18_S1C_S1E_T6_T7_T9_mT8_S1G_bDpT10_ENKUlT_T0_E_clISt17integral_constantIbLb0EES1U_EEDaS1P_S1Q_EUlS1P_E_NS1_11comp_targetILNS1_3genE4ELNS1_11target_archE910ELNS1_3gpuE8ELNS1_3repE0EEENS1_30default_config_static_selectorELNS0_4arch9wavefront6targetE1EEEvS12_.has_recursion, 0
	.set _ZN7rocprim17ROCPRIM_400000_NS6detail17trampoline_kernelINS0_13select_configILj256ELj13ELNS0_17block_load_methodE3ELS4_3ELS4_3ELNS0_20block_scan_algorithmE0ELj4294967295EEENS1_25partition_config_selectorILNS1_17partition_subalgoE4EjNS0_10empty_typeEbEEZZNS1_14partition_implILS8_4ELb0ES6_15HIP_vector_typeIjLj2EENS0_17counting_iteratorIjlEEPS9_SG_NS0_5tupleIJPjSI_NS0_16reverse_iteratorISI_EEEEENSH_IJSG_SG_SG_EEES9_SI_JZNS1_25segmented_radix_sort_implINS0_14default_configELb1EPKdPdPKlPlN2at6native12_GLOBAL__N_18offset_tEEE10hipError_tPvRmT1_PNSt15iterator_traitsIS12_E10value_typeET2_T3_PNS13_IS18_E10value_typeET4_jRbjT5_S1E_jjP12ihipStream_tbEUljE_ZNSN_ISO_Lb1ESQ_SR_ST_SU_SY_EESZ_S10_S11_S12_S16_S17_S18_S1B_S1C_jS1D_jS1E_S1E_jjS1G_bEUljE0_EEESZ_S10_S11_S18_S1C_S1E_T6_T7_T9_mT8_S1G_bDpT10_ENKUlT_T0_E_clISt17integral_constantIbLb0EES1U_EEDaS1P_S1Q_EUlS1P_E_NS1_11comp_targetILNS1_3genE4ELNS1_11target_archE910ELNS1_3gpuE8ELNS1_3repE0EEENS1_30default_config_static_selectorELNS0_4arch9wavefront6targetE1EEEvS12_.has_indirect_call, 0
	.section	.AMDGPU.csdata,"",@progbits
; Kernel info:
; codeLenInByte = 0
; TotalNumSgprs: 4
; NumVgprs: 0
; ScratchSize: 0
; MemoryBound: 0
; FloatMode: 240
; IeeeMode: 1
; LDSByteSize: 0 bytes/workgroup (compile time only)
; SGPRBlocks: 0
; VGPRBlocks: 0
; NumSGPRsForWavesPerEU: 4
; NumVGPRsForWavesPerEU: 1
; Occupancy: 10
; WaveLimiterHint : 0
; COMPUTE_PGM_RSRC2:SCRATCH_EN: 0
; COMPUTE_PGM_RSRC2:USER_SGPR: 6
; COMPUTE_PGM_RSRC2:TRAP_HANDLER: 0
; COMPUTE_PGM_RSRC2:TGID_X_EN: 1
; COMPUTE_PGM_RSRC2:TGID_Y_EN: 0
; COMPUTE_PGM_RSRC2:TGID_Z_EN: 0
; COMPUTE_PGM_RSRC2:TIDIG_COMP_CNT: 0
	.section	.text._ZN7rocprim17ROCPRIM_400000_NS6detail17trampoline_kernelINS0_13select_configILj256ELj13ELNS0_17block_load_methodE3ELS4_3ELS4_3ELNS0_20block_scan_algorithmE0ELj4294967295EEENS1_25partition_config_selectorILNS1_17partition_subalgoE4EjNS0_10empty_typeEbEEZZNS1_14partition_implILS8_4ELb0ES6_15HIP_vector_typeIjLj2EENS0_17counting_iteratorIjlEEPS9_SG_NS0_5tupleIJPjSI_NS0_16reverse_iteratorISI_EEEEENSH_IJSG_SG_SG_EEES9_SI_JZNS1_25segmented_radix_sort_implINS0_14default_configELb1EPKdPdPKlPlN2at6native12_GLOBAL__N_18offset_tEEE10hipError_tPvRmT1_PNSt15iterator_traitsIS12_E10value_typeET2_T3_PNS13_IS18_E10value_typeET4_jRbjT5_S1E_jjP12ihipStream_tbEUljE_ZNSN_ISO_Lb1ESQ_SR_ST_SU_SY_EESZ_S10_S11_S12_S16_S17_S18_S1B_S1C_jS1D_jS1E_S1E_jjS1G_bEUljE0_EEESZ_S10_S11_S18_S1C_S1E_T6_T7_T9_mT8_S1G_bDpT10_ENKUlT_T0_E_clISt17integral_constantIbLb0EES1U_EEDaS1P_S1Q_EUlS1P_E_NS1_11comp_targetILNS1_3genE3ELNS1_11target_archE908ELNS1_3gpuE7ELNS1_3repE0EEENS1_30default_config_static_selectorELNS0_4arch9wavefront6targetE1EEEvS12_,"axG",@progbits,_ZN7rocprim17ROCPRIM_400000_NS6detail17trampoline_kernelINS0_13select_configILj256ELj13ELNS0_17block_load_methodE3ELS4_3ELS4_3ELNS0_20block_scan_algorithmE0ELj4294967295EEENS1_25partition_config_selectorILNS1_17partition_subalgoE4EjNS0_10empty_typeEbEEZZNS1_14partition_implILS8_4ELb0ES6_15HIP_vector_typeIjLj2EENS0_17counting_iteratorIjlEEPS9_SG_NS0_5tupleIJPjSI_NS0_16reverse_iteratorISI_EEEEENSH_IJSG_SG_SG_EEES9_SI_JZNS1_25segmented_radix_sort_implINS0_14default_configELb1EPKdPdPKlPlN2at6native12_GLOBAL__N_18offset_tEEE10hipError_tPvRmT1_PNSt15iterator_traitsIS12_E10value_typeET2_T3_PNS13_IS18_E10value_typeET4_jRbjT5_S1E_jjP12ihipStream_tbEUljE_ZNSN_ISO_Lb1ESQ_SR_ST_SU_SY_EESZ_S10_S11_S12_S16_S17_S18_S1B_S1C_jS1D_jS1E_S1E_jjS1G_bEUljE0_EEESZ_S10_S11_S18_S1C_S1E_T6_T7_T9_mT8_S1G_bDpT10_ENKUlT_T0_E_clISt17integral_constantIbLb0EES1U_EEDaS1P_S1Q_EUlS1P_E_NS1_11comp_targetILNS1_3genE3ELNS1_11target_archE908ELNS1_3gpuE7ELNS1_3repE0EEENS1_30default_config_static_selectorELNS0_4arch9wavefront6targetE1EEEvS12_,comdat
	.globl	_ZN7rocprim17ROCPRIM_400000_NS6detail17trampoline_kernelINS0_13select_configILj256ELj13ELNS0_17block_load_methodE3ELS4_3ELS4_3ELNS0_20block_scan_algorithmE0ELj4294967295EEENS1_25partition_config_selectorILNS1_17partition_subalgoE4EjNS0_10empty_typeEbEEZZNS1_14partition_implILS8_4ELb0ES6_15HIP_vector_typeIjLj2EENS0_17counting_iteratorIjlEEPS9_SG_NS0_5tupleIJPjSI_NS0_16reverse_iteratorISI_EEEEENSH_IJSG_SG_SG_EEES9_SI_JZNS1_25segmented_radix_sort_implINS0_14default_configELb1EPKdPdPKlPlN2at6native12_GLOBAL__N_18offset_tEEE10hipError_tPvRmT1_PNSt15iterator_traitsIS12_E10value_typeET2_T3_PNS13_IS18_E10value_typeET4_jRbjT5_S1E_jjP12ihipStream_tbEUljE_ZNSN_ISO_Lb1ESQ_SR_ST_SU_SY_EESZ_S10_S11_S12_S16_S17_S18_S1B_S1C_jS1D_jS1E_S1E_jjS1G_bEUljE0_EEESZ_S10_S11_S18_S1C_S1E_T6_T7_T9_mT8_S1G_bDpT10_ENKUlT_T0_E_clISt17integral_constantIbLb0EES1U_EEDaS1P_S1Q_EUlS1P_E_NS1_11comp_targetILNS1_3genE3ELNS1_11target_archE908ELNS1_3gpuE7ELNS1_3repE0EEENS1_30default_config_static_selectorELNS0_4arch9wavefront6targetE1EEEvS12_ ; -- Begin function _ZN7rocprim17ROCPRIM_400000_NS6detail17trampoline_kernelINS0_13select_configILj256ELj13ELNS0_17block_load_methodE3ELS4_3ELS4_3ELNS0_20block_scan_algorithmE0ELj4294967295EEENS1_25partition_config_selectorILNS1_17partition_subalgoE4EjNS0_10empty_typeEbEEZZNS1_14partition_implILS8_4ELb0ES6_15HIP_vector_typeIjLj2EENS0_17counting_iteratorIjlEEPS9_SG_NS0_5tupleIJPjSI_NS0_16reverse_iteratorISI_EEEEENSH_IJSG_SG_SG_EEES9_SI_JZNS1_25segmented_radix_sort_implINS0_14default_configELb1EPKdPdPKlPlN2at6native12_GLOBAL__N_18offset_tEEE10hipError_tPvRmT1_PNSt15iterator_traitsIS12_E10value_typeET2_T3_PNS13_IS18_E10value_typeET4_jRbjT5_S1E_jjP12ihipStream_tbEUljE_ZNSN_ISO_Lb1ESQ_SR_ST_SU_SY_EESZ_S10_S11_S12_S16_S17_S18_S1B_S1C_jS1D_jS1E_S1E_jjS1G_bEUljE0_EEESZ_S10_S11_S18_S1C_S1E_T6_T7_T9_mT8_S1G_bDpT10_ENKUlT_T0_E_clISt17integral_constantIbLb0EES1U_EEDaS1P_S1Q_EUlS1P_E_NS1_11comp_targetILNS1_3genE3ELNS1_11target_archE908ELNS1_3gpuE7ELNS1_3repE0EEENS1_30default_config_static_selectorELNS0_4arch9wavefront6targetE1EEEvS12_
	.p2align	8
	.type	_ZN7rocprim17ROCPRIM_400000_NS6detail17trampoline_kernelINS0_13select_configILj256ELj13ELNS0_17block_load_methodE3ELS4_3ELS4_3ELNS0_20block_scan_algorithmE0ELj4294967295EEENS1_25partition_config_selectorILNS1_17partition_subalgoE4EjNS0_10empty_typeEbEEZZNS1_14partition_implILS8_4ELb0ES6_15HIP_vector_typeIjLj2EENS0_17counting_iteratorIjlEEPS9_SG_NS0_5tupleIJPjSI_NS0_16reverse_iteratorISI_EEEEENSH_IJSG_SG_SG_EEES9_SI_JZNS1_25segmented_radix_sort_implINS0_14default_configELb1EPKdPdPKlPlN2at6native12_GLOBAL__N_18offset_tEEE10hipError_tPvRmT1_PNSt15iterator_traitsIS12_E10value_typeET2_T3_PNS13_IS18_E10value_typeET4_jRbjT5_S1E_jjP12ihipStream_tbEUljE_ZNSN_ISO_Lb1ESQ_SR_ST_SU_SY_EESZ_S10_S11_S12_S16_S17_S18_S1B_S1C_jS1D_jS1E_S1E_jjS1G_bEUljE0_EEESZ_S10_S11_S18_S1C_S1E_T6_T7_T9_mT8_S1G_bDpT10_ENKUlT_T0_E_clISt17integral_constantIbLb0EES1U_EEDaS1P_S1Q_EUlS1P_E_NS1_11comp_targetILNS1_3genE3ELNS1_11target_archE908ELNS1_3gpuE7ELNS1_3repE0EEENS1_30default_config_static_selectorELNS0_4arch9wavefront6targetE1EEEvS12_,@function
_ZN7rocprim17ROCPRIM_400000_NS6detail17trampoline_kernelINS0_13select_configILj256ELj13ELNS0_17block_load_methodE3ELS4_3ELS4_3ELNS0_20block_scan_algorithmE0ELj4294967295EEENS1_25partition_config_selectorILNS1_17partition_subalgoE4EjNS0_10empty_typeEbEEZZNS1_14partition_implILS8_4ELb0ES6_15HIP_vector_typeIjLj2EENS0_17counting_iteratorIjlEEPS9_SG_NS0_5tupleIJPjSI_NS0_16reverse_iteratorISI_EEEEENSH_IJSG_SG_SG_EEES9_SI_JZNS1_25segmented_radix_sort_implINS0_14default_configELb1EPKdPdPKlPlN2at6native12_GLOBAL__N_18offset_tEEE10hipError_tPvRmT1_PNSt15iterator_traitsIS12_E10value_typeET2_T3_PNS13_IS18_E10value_typeET4_jRbjT5_S1E_jjP12ihipStream_tbEUljE_ZNSN_ISO_Lb1ESQ_SR_ST_SU_SY_EESZ_S10_S11_S12_S16_S17_S18_S1B_S1C_jS1D_jS1E_S1E_jjS1G_bEUljE0_EEESZ_S10_S11_S18_S1C_S1E_T6_T7_T9_mT8_S1G_bDpT10_ENKUlT_T0_E_clISt17integral_constantIbLb0EES1U_EEDaS1P_S1Q_EUlS1P_E_NS1_11comp_targetILNS1_3genE3ELNS1_11target_archE908ELNS1_3gpuE7ELNS1_3repE0EEENS1_30default_config_static_selectorELNS0_4arch9wavefront6targetE1EEEvS12_: ; @_ZN7rocprim17ROCPRIM_400000_NS6detail17trampoline_kernelINS0_13select_configILj256ELj13ELNS0_17block_load_methodE3ELS4_3ELS4_3ELNS0_20block_scan_algorithmE0ELj4294967295EEENS1_25partition_config_selectorILNS1_17partition_subalgoE4EjNS0_10empty_typeEbEEZZNS1_14partition_implILS8_4ELb0ES6_15HIP_vector_typeIjLj2EENS0_17counting_iteratorIjlEEPS9_SG_NS0_5tupleIJPjSI_NS0_16reverse_iteratorISI_EEEEENSH_IJSG_SG_SG_EEES9_SI_JZNS1_25segmented_radix_sort_implINS0_14default_configELb1EPKdPdPKlPlN2at6native12_GLOBAL__N_18offset_tEEE10hipError_tPvRmT1_PNSt15iterator_traitsIS12_E10value_typeET2_T3_PNS13_IS18_E10value_typeET4_jRbjT5_S1E_jjP12ihipStream_tbEUljE_ZNSN_ISO_Lb1ESQ_SR_ST_SU_SY_EESZ_S10_S11_S12_S16_S17_S18_S1B_S1C_jS1D_jS1E_S1E_jjS1G_bEUljE0_EEESZ_S10_S11_S18_S1C_S1E_T6_T7_T9_mT8_S1G_bDpT10_ENKUlT_T0_E_clISt17integral_constantIbLb0EES1U_EEDaS1P_S1Q_EUlS1P_E_NS1_11comp_targetILNS1_3genE3ELNS1_11target_archE908ELNS1_3gpuE7ELNS1_3repE0EEENS1_30default_config_static_selectorELNS0_4arch9wavefront6targetE1EEEvS12_
; %bb.0:
	.section	.rodata,"a",@progbits
	.p2align	6, 0x0
	.amdhsa_kernel _ZN7rocprim17ROCPRIM_400000_NS6detail17trampoline_kernelINS0_13select_configILj256ELj13ELNS0_17block_load_methodE3ELS4_3ELS4_3ELNS0_20block_scan_algorithmE0ELj4294967295EEENS1_25partition_config_selectorILNS1_17partition_subalgoE4EjNS0_10empty_typeEbEEZZNS1_14partition_implILS8_4ELb0ES6_15HIP_vector_typeIjLj2EENS0_17counting_iteratorIjlEEPS9_SG_NS0_5tupleIJPjSI_NS0_16reverse_iteratorISI_EEEEENSH_IJSG_SG_SG_EEES9_SI_JZNS1_25segmented_radix_sort_implINS0_14default_configELb1EPKdPdPKlPlN2at6native12_GLOBAL__N_18offset_tEEE10hipError_tPvRmT1_PNSt15iterator_traitsIS12_E10value_typeET2_T3_PNS13_IS18_E10value_typeET4_jRbjT5_S1E_jjP12ihipStream_tbEUljE_ZNSN_ISO_Lb1ESQ_SR_ST_SU_SY_EESZ_S10_S11_S12_S16_S17_S18_S1B_S1C_jS1D_jS1E_S1E_jjS1G_bEUljE0_EEESZ_S10_S11_S18_S1C_S1E_T6_T7_T9_mT8_S1G_bDpT10_ENKUlT_T0_E_clISt17integral_constantIbLb0EES1U_EEDaS1P_S1Q_EUlS1P_E_NS1_11comp_targetILNS1_3genE3ELNS1_11target_archE908ELNS1_3gpuE7ELNS1_3repE0EEENS1_30default_config_static_selectorELNS0_4arch9wavefront6targetE1EEEvS12_
		.amdhsa_group_segment_fixed_size 0
		.amdhsa_private_segment_fixed_size 0
		.amdhsa_kernarg_size 176
		.amdhsa_user_sgpr_count 6
		.amdhsa_user_sgpr_private_segment_buffer 1
		.amdhsa_user_sgpr_dispatch_ptr 0
		.amdhsa_user_sgpr_queue_ptr 0
		.amdhsa_user_sgpr_kernarg_segment_ptr 1
		.amdhsa_user_sgpr_dispatch_id 0
		.amdhsa_user_sgpr_flat_scratch_init 0
		.amdhsa_user_sgpr_private_segment_size 0
		.amdhsa_uses_dynamic_stack 0
		.amdhsa_system_sgpr_private_segment_wavefront_offset 0
		.amdhsa_system_sgpr_workgroup_id_x 1
		.amdhsa_system_sgpr_workgroup_id_y 0
		.amdhsa_system_sgpr_workgroup_id_z 0
		.amdhsa_system_sgpr_workgroup_info 0
		.amdhsa_system_vgpr_workitem_id 0
		.amdhsa_next_free_vgpr 1
		.amdhsa_next_free_sgpr 0
		.amdhsa_reserve_vcc 0
		.amdhsa_reserve_flat_scratch 0
		.amdhsa_float_round_mode_32 0
		.amdhsa_float_round_mode_16_64 0
		.amdhsa_float_denorm_mode_32 3
		.amdhsa_float_denorm_mode_16_64 3
		.amdhsa_dx10_clamp 1
		.amdhsa_ieee_mode 1
		.amdhsa_fp16_overflow 0
		.amdhsa_exception_fp_ieee_invalid_op 0
		.amdhsa_exception_fp_denorm_src 0
		.amdhsa_exception_fp_ieee_div_zero 0
		.amdhsa_exception_fp_ieee_overflow 0
		.amdhsa_exception_fp_ieee_underflow 0
		.amdhsa_exception_fp_ieee_inexact 0
		.amdhsa_exception_int_div_zero 0
	.end_amdhsa_kernel
	.section	.text._ZN7rocprim17ROCPRIM_400000_NS6detail17trampoline_kernelINS0_13select_configILj256ELj13ELNS0_17block_load_methodE3ELS4_3ELS4_3ELNS0_20block_scan_algorithmE0ELj4294967295EEENS1_25partition_config_selectorILNS1_17partition_subalgoE4EjNS0_10empty_typeEbEEZZNS1_14partition_implILS8_4ELb0ES6_15HIP_vector_typeIjLj2EENS0_17counting_iteratorIjlEEPS9_SG_NS0_5tupleIJPjSI_NS0_16reverse_iteratorISI_EEEEENSH_IJSG_SG_SG_EEES9_SI_JZNS1_25segmented_radix_sort_implINS0_14default_configELb1EPKdPdPKlPlN2at6native12_GLOBAL__N_18offset_tEEE10hipError_tPvRmT1_PNSt15iterator_traitsIS12_E10value_typeET2_T3_PNS13_IS18_E10value_typeET4_jRbjT5_S1E_jjP12ihipStream_tbEUljE_ZNSN_ISO_Lb1ESQ_SR_ST_SU_SY_EESZ_S10_S11_S12_S16_S17_S18_S1B_S1C_jS1D_jS1E_S1E_jjS1G_bEUljE0_EEESZ_S10_S11_S18_S1C_S1E_T6_T7_T9_mT8_S1G_bDpT10_ENKUlT_T0_E_clISt17integral_constantIbLb0EES1U_EEDaS1P_S1Q_EUlS1P_E_NS1_11comp_targetILNS1_3genE3ELNS1_11target_archE908ELNS1_3gpuE7ELNS1_3repE0EEENS1_30default_config_static_selectorELNS0_4arch9wavefront6targetE1EEEvS12_,"axG",@progbits,_ZN7rocprim17ROCPRIM_400000_NS6detail17trampoline_kernelINS0_13select_configILj256ELj13ELNS0_17block_load_methodE3ELS4_3ELS4_3ELNS0_20block_scan_algorithmE0ELj4294967295EEENS1_25partition_config_selectorILNS1_17partition_subalgoE4EjNS0_10empty_typeEbEEZZNS1_14partition_implILS8_4ELb0ES6_15HIP_vector_typeIjLj2EENS0_17counting_iteratorIjlEEPS9_SG_NS0_5tupleIJPjSI_NS0_16reverse_iteratorISI_EEEEENSH_IJSG_SG_SG_EEES9_SI_JZNS1_25segmented_radix_sort_implINS0_14default_configELb1EPKdPdPKlPlN2at6native12_GLOBAL__N_18offset_tEEE10hipError_tPvRmT1_PNSt15iterator_traitsIS12_E10value_typeET2_T3_PNS13_IS18_E10value_typeET4_jRbjT5_S1E_jjP12ihipStream_tbEUljE_ZNSN_ISO_Lb1ESQ_SR_ST_SU_SY_EESZ_S10_S11_S12_S16_S17_S18_S1B_S1C_jS1D_jS1E_S1E_jjS1G_bEUljE0_EEESZ_S10_S11_S18_S1C_S1E_T6_T7_T9_mT8_S1G_bDpT10_ENKUlT_T0_E_clISt17integral_constantIbLb0EES1U_EEDaS1P_S1Q_EUlS1P_E_NS1_11comp_targetILNS1_3genE3ELNS1_11target_archE908ELNS1_3gpuE7ELNS1_3repE0EEENS1_30default_config_static_selectorELNS0_4arch9wavefront6targetE1EEEvS12_,comdat
.Lfunc_end1057:
	.size	_ZN7rocprim17ROCPRIM_400000_NS6detail17trampoline_kernelINS0_13select_configILj256ELj13ELNS0_17block_load_methodE3ELS4_3ELS4_3ELNS0_20block_scan_algorithmE0ELj4294967295EEENS1_25partition_config_selectorILNS1_17partition_subalgoE4EjNS0_10empty_typeEbEEZZNS1_14partition_implILS8_4ELb0ES6_15HIP_vector_typeIjLj2EENS0_17counting_iteratorIjlEEPS9_SG_NS0_5tupleIJPjSI_NS0_16reverse_iteratorISI_EEEEENSH_IJSG_SG_SG_EEES9_SI_JZNS1_25segmented_radix_sort_implINS0_14default_configELb1EPKdPdPKlPlN2at6native12_GLOBAL__N_18offset_tEEE10hipError_tPvRmT1_PNSt15iterator_traitsIS12_E10value_typeET2_T3_PNS13_IS18_E10value_typeET4_jRbjT5_S1E_jjP12ihipStream_tbEUljE_ZNSN_ISO_Lb1ESQ_SR_ST_SU_SY_EESZ_S10_S11_S12_S16_S17_S18_S1B_S1C_jS1D_jS1E_S1E_jjS1G_bEUljE0_EEESZ_S10_S11_S18_S1C_S1E_T6_T7_T9_mT8_S1G_bDpT10_ENKUlT_T0_E_clISt17integral_constantIbLb0EES1U_EEDaS1P_S1Q_EUlS1P_E_NS1_11comp_targetILNS1_3genE3ELNS1_11target_archE908ELNS1_3gpuE7ELNS1_3repE0EEENS1_30default_config_static_selectorELNS0_4arch9wavefront6targetE1EEEvS12_, .Lfunc_end1057-_ZN7rocprim17ROCPRIM_400000_NS6detail17trampoline_kernelINS0_13select_configILj256ELj13ELNS0_17block_load_methodE3ELS4_3ELS4_3ELNS0_20block_scan_algorithmE0ELj4294967295EEENS1_25partition_config_selectorILNS1_17partition_subalgoE4EjNS0_10empty_typeEbEEZZNS1_14partition_implILS8_4ELb0ES6_15HIP_vector_typeIjLj2EENS0_17counting_iteratorIjlEEPS9_SG_NS0_5tupleIJPjSI_NS0_16reverse_iteratorISI_EEEEENSH_IJSG_SG_SG_EEES9_SI_JZNS1_25segmented_radix_sort_implINS0_14default_configELb1EPKdPdPKlPlN2at6native12_GLOBAL__N_18offset_tEEE10hipError_tPvRmT1_PNSt15iterator_traitsIS12_E10value_typeET2_T3_PNS13_IS18_E10value_typeET4_jRbjT5_S1E_jjP12ihipStream_tbEUljE_ZNSN_ISO_Lb1ESQ_SR_ST_SU_SY_EESZ_S10_S11_S12_S16_S17_S18_S1B_S1C_jS1D_jS1E_S1E_jjS1G_bEUljE0_EEESZ_S10_S11_S18_S1C_S1E_T6_T7_T9_mT8_S1G_bDpT10_ENKUlT_T0_E_clISt17integral_constantIbLb0EES1U_EEDaS1P_S1Q_EUlS1P_E_NS1_11comp_targetILNS1_3genE3ELNS1_11target_archE908ELNS1_3gpuE7ELNS1_3repE0EEENS1_30default_config_static_selectorELNS0_4arch9wavefront6targetE1EEEvS12_
                                        ; -- End function
	.set _ZN7rocprim17ROCPRIM_400000_NS6detail17trampoline_kernelINS0_13select_configILj256ELj13ELNS0_17block_load_methodE3ELS4_3ELS4_3ELNS0_20block_scan_algorithmE0ELj4294967295EEENS1_25partition_config_selectorILNS1_17partition_subalgoE4EjNS0_10empty_typeEbEEZZNS1_14partition_implILS8_4ELb0ES6_15HIP_vector_typeIjLj2EENS0_17counting_iteratorIjlEEPS9_SG_NS0_5tupleIJPjSI_NS0_16reverse_iteratorISI_EEEEENSH_IJSG_SG_SG_EEES9_SI_JZNS1_25segmented_radix_sort_implINS0_14default_configELb1EPKdPdPKlPlN2at6native12_GLOBAL__N_18offset_tEEE10hipError_tPvRmT1_PNSt15iterator_traitsIS12_E10value_typeET2_T3_PNS13_IS18_E10value_typeET4_jRbjT5_S1E_jjP12ihipStream_tbEUljE_ZNSN_ISO_Lb1ESQ_SR_ST_SU_SY_EESZ_S10_S11_S12_S16_S17_S18_S1B_S1C_jS1D_jS1E_S1E_jjS1G_bEUljE0_EEESZ_S10_S11_S18_S1C_S1E_T6_T7_T9_mT8_S1G_bDpT10_ENKUlT_T0_E_clISt17integral_constantIbLb0EES1U_EEDaS1P_S1Q_EUlS1P_E_NS1_11comp_targetILNS1_3genE3ELNS1_11target_archE908ELNS1_3gpuE7ELNS1_3repE0EEENS1_30default_config_static_selectorELNS0_4arch9wavefront6targetE1EEEvS12_.num_vgpr, 0
	.set _ZN7rocprim17ROCPRIM_400000_NS6detail17trampoline_kernelINS0_13select_configILj256ELj13ELNS0_17block_load_methodE3ELS4_3ELS4_3ELNS0_20block_scan_algorithmE0ELj4294967295EEENS1_25partition_config_selectorILNS1_17partition_subalgoE4EjNS0_10empty_typeEbEEZZNS1_14partition_implILS8_4ELb0ES6_15HIP_vector_typeIjLj2EENS0_17counting_iteratorIjlEEPS9_SG_NS0_5tupleIJPjSI_NS0_16reverse_iteratorISI_EEEEENSH_IJSG_SG_SG_EEES9_SI_JZNS1_25segmented_radix_sort_implINS0_14default_configELb1EPKdPdPKlPlN2at6native12_GLOBAL__N_18offset_tEEE10hipError_tPvRmT1_PNSt15iterator_traitsIS12_E10value_typeET2_T3_PNS13_IS18_E10value_typeET4_jRbjT5_S1E_jjP12ihipStream_tbEUljE_ZNSN_ISO_Lb1ESQ_SR_ST_SU_SY_EESZ_S10_S11_S12_S16_S17_S18_S1B_S1C_jS1D_jS1E_S1E_jjS1G_bEUljE0_EEESZ_S10_S11_S18_S1C_S1E_T6_T7_T9_mT8_S1G_bDpT10_ENKUlT_T0_E_clISt17integral_constantIbLb0EES1U_EEDaS1P_S1Q_EUlS1P_E_NS1_11comp_targetILNS1_3genE3ELNS1_11target_archE908ELNS1_3gpuE7ELNS1_3repE0EEENS1_30default_config_static_selectorELNS0_4arch9wavefront6targetE1EEEvS12_.num_agpr, 0
	.set _ZN7rocprim17ROCPRIM_400000_NS6detail17trampoline_kernelINS0_13select_configILj256ELj13ELNS0_17block_load_methodE3ELS4_3ELS4_3ELNS0_20block_scan_algorithmE0ELj4294967295EEENS1_25partition_config_selectorILNS1_17partition_subalgoE4EjNS0_10empty_typeEbEEZZNS1_14partition_implILS8_4ELb0ES6_15HIP_vector_typeIjLj2EENS0_17counting_iteratorIjlEEPS9_SG_NS0_5tupleIJPjSI_NS0_16reverse_iteratorISI_EEEEENSH_IJSG_SG_SG_EEES9_SI_JZNS1_25segmented_radix_sort_implINS0_14default_configELb1EPKdPdPKlPlN2at6native12_GLOBAL__N_18offset_tEEE10hipError_tPvRmT1_PNSt15iterator_traitsIS12_E10value_typeET2_T3_PNS13_IS18_E10value_typeET4_jRbjT5_S1E_jjP12ihipStream_tbEUljE_ZNSN_ISO_Lb1ESQ_SR_ST_SU_SY_EESZ_S10_S11_S12_S16_S17_S18_S1B_S1C_jS1D_jS1E_S1E_jjS1G_bEUljE0_EEESZ_S10_S11_S18_S1C_S1E_T6_T7_T9_mT8_S1G_bDpT10_ENKUlT_T0_E_clISt17integral_constantIbLb0EES1U_EEDaS1P_S1Q_EUlS1P_E_NS1_11comp_targetILNS1_3genE3ELNS1_11target_archE908ELNS1_3gpuE7ELNS1_3repE0EEENS1_30default_config_static_selectorELNS0_4arch9wavefront6targetE1EEEvS12_.numbered_sgpr, 0
	.set _ZN7rocprim17ROCPRIM_400000_NS6detail17trampoline_kernelINS0_13select_configILj256ELj13ELNS0_17block_load_methodE3ELS4_3ELS4_3ELNS0_20block_scan_algorithmE0ELj4294967295EEENS1_25partition_config_selectorILNS1_17partition_subalgoE4EjNS0_10empty_typeEbEEZZNS1_14partition_implILS8_4ELb0ES6_15HIP_vector_typeIjLj2EENS0_17counting_iteratorIjlEEPS9_SG_NS0_5tupleIJPjSI_NS0_16reverse_iteratorISI_EEEEENSH_IJSG_SG_SG_EEES9_SI_JZNS1_25segmented_radix_sort_implINS0_14default_configELb1EPKdPdPKlPlN2at6native12_GLOBAL__N_18offset_tEEE10hipError_tPvRmT1_PNSt15iterator_traitsIS12_E10value_typeET2_T3_PNS13_IS18_E10value_typeET4_jRbjT5_S1E_jjP12ihipStream_tbEUljE_ZNSN_ISO_Lb1ESQ_SR_ST_SU_SY_EESZ_S10_S11_S12_S16_S17_S18_S1B_S1C_jS1D_jS1E_S1E_jjS1G_bEUljE0_EEESZ_S10_S11_S18_S1C_S1E_T6_T7_T9_mT8_S1G_bDpT10_ENKUlT_T0_E_clISt17integral_constantIbLb0EES1U_EEDaS1P_S1Q_EUlS1P_E_NS1_11comp_targetILNS1_3genE3ELNS1_11target_archE908ELNS1_3gpuE7ELNS1_3repE0EEENS1_30default_config_static_selectorELNS0_4arch9wavefront6targetE1EEEvS12_.num_named_barrier, 0
	.set _ZN7rocprim17ROCPRIM_400000_NS6detail17trampoline_kernelINS0_13select_configILj256ELj13ELNS0_17block_load_methodE3ELS4_3ELS4_3ELNS0_20block_scan_algorithmE0ELj4294967295EEENS1_25partition_config_selectorILNS1_17partition_subalgoE4EjNS0_10empty_typeEbEEZZNS1_14partition_implILS8_4ELb0ES6_15HIP_vector_typeIjLj2EENS0_17counting_iteratorIjlEEPS9_SG_NS0_5tupleIJPjSI_NS0_16reverse_iteratorISI_EEEEENSH_IJSG_SG_SG_EEES9_SI_JZNS1_25segmented_radix_sort_implINS0_14default_configELb1EPKdPdPKlPlN2at6native12_GLOBAL__N_18offset_tEEE10hipError_tPvRmT1_PNSt15iterator_traitsIS12_E10value_typeET2_T3_PNS13_IS18_E10value_typeET4_jRbjT5_S1E_jjP12ihipStream_tbEUljE_ZNSN_ISO_Lb1ESQ_SR_ST_SU_SY_EESZ_S10_S11_S12_S16_S17_S18_S1B_S1C_jS1D_jS1E_S1E_jjS1G_bEUljE0_EEESZ_S10_S11_S18_S1C_S1E_T6_T7_T9_mT8_S1G_bDpT10_ENKUlT_T0_E_clISt17integral_constantIbLb0EES1U_EEDaS1P_S1Q_EUlS1P_E_NS1_11comp_targetILNS1_3genE3ELNS1_11target_archE908ELNS1_3gpuE7ELNS1_3repE0EEENS1_30default_config_static_selectorELNS0_4arch9wavefront6targetE1EEEvS12_.private_seg_size, 0
	.set _ZN7rocprim17ROCPRIM_400000_NS6detail17trampoline_kernelINS0_13select_configILj256ELj13ELNS0_17block_load_methodE3ELS4_3ELS4_3ELNS0_20block_scan_algorithmE0ELj4294967295EEENS1_25partition_config_selectorILNS1_17partition_subalgoE4EjNS0_10empty_typeEbEEZZNS1_14partition_implILS8_4ELb0ES6_15HIP_vector_typeIjLj2EENS0_17counting_iteratorIjlEEPS9_SG_NS0_5tupleIJPjSI_NS0_16reverse_iteratorISI_EEEEENSH_IJSG_SG_SG_EEES9_SI_JZNS1_25segmented_radix_sort_implINS0_14default_configELb1EPKdPdPKlPlN2at6native12_GLOBAL__N_18offset_tEEE10hipError_tPvRmT1_PNSt15iterator_traitsIS12_E10value_typeET2_T3_PNS13_IS18_E10value_typeET4_jRbjT5_S1E_jjP12ihipStream_tbEUljE_ZNSN_ISO_Lb1ESQ_SR_ST_SU_SY_EESZ_S10_S11_S12_S16_S17_S18_S1B_S1C_jS1D_jS1E_S1E_jjS1G_bEUljE0_EEESZ_S10_S11_S18_S1C_S1E_T6_T7_T9_mT8_S1G_bDpT10_ENKUlT_T0_E_clISt17integral_constantIbLb0EES1U_EEDaS1P_S1Q_EUlS1P_E_NS1_11comp_targetILNS1_3genE3ELNS1_11target_archE908ELNS1_3gpuE7ELNS1_3repE0EEENS1_30default_config_static_selectorELNS0_4arch9wavefront6targetE1EEEvS12_.uses_vcc, 0
	.set _ZN7rocprim17ROCPRIM_400000_NS6detail17trampoline_kernelINS0_13select_configILj256ELj13ELNS0_17block_load_methodE3ELS4_3ELS4_3ELNS0_20block_scan_algorithmE0ELj4294967295EEENS1_25partition_config_selectorILNS1_17partition_subalgoE4EjNS0_10empty_typeEbEEZZNS1_14partition_implILS8_4ELb0ES6_15HIP_vector_typeIjLj2EENS0_17counting_iteratorIjlEEPS9_SG_NS0_5tupleIJPjSI_NS0_16reverse_iteratorISI_EEEEENSH_IJSG_SG_SG_EEES9_SI_JZNS1_25segmented_radix_sort_implINS0_14default_configELb1EPKdPdPKlPlN2at6native12_GLOBAL__N_18offset_tEEE10hipError_tPvRmT1_PNSt15iterator_traitsIS12_E10value_typeET2_T3_PNS13_IS18_E10value_typeET4_jRbjT5_S1E_jjP12ihipStream_tbEUljE_ZNSN_ISO_Lb1ESQ_SR_ST_SU_SY_EESZ_S10_S11_S12_S16_S17_S18_S1B_S1C_jS1D_jS1E_S1E_jjS1G_bEUljE0_EEESZ_S10_S11_S18_S1C_S1E_T6_T7_T9_mT8_S1G_bDpT10_ENKUlT_T0_E_clISt17integral_constantIbLb0EES1U_EEDaS1P_S1Q_EUlS1P_E_NS1_11comp_targetILNS1_3genE3ELNS1_11target_archE908ELNS1_3gpuE7ELNS1_3repE0EEENS1_30default_config_static_selectorELNS0_4arch9wavefront6targetE1EEEvS12_.uses_flat_scratch, 0
	.set _ZN7rocprim17ROCPRIM_400000_NS6detail17trampoline_kernelINS0_13select_configILj256ELj13ELNS0_17block_load_methodE3ELS4_3ELS4_3ELNS0_20block_scan_algorithmE0ELj4294967295EEENS1_25partition_config_selectorILNS1_17partition_subalgoE4EjNS0_10empty_typeEbEEZZNS1_14partition_implILS8_4ELb0ES6_15HIP_vector_typeIjLj2EENS0_17counting_iteratorIjlEEPS9_SG_NS0_5tupleIJPjSI_NS0_16reverse_iteratorISI_EEEEENSH_IJSG_SG_SG_EEES9_SI_JZNS1_25segmented_radix_sort_implINS0_14default_configELb1EPKdPdPKlPlN2at6native12_GLOBAL__N_18offset_tEEE10hipError_tPvRmT1_PNSt15iterator_traitsIS12_E10value_typeET2_T3_PNS13_IS18_E10value_typeET4_jRbjT5_S1E_jjP12ihipStream_tbEUljE_ZNSN_ISO_Lb1ESQ_SR_ST_SU_SY_EESZ_S10_S11_S12_S16_S17_S18_S1B_S1C_jS1D_jS1E_S1E_jjS1G_bEUljE0_EEESZ_S10_S11_S18_S1C_S1E_T6_T7_T9_mT8_S1G_bDpT10_ENKUlT_T0_E_clISt17integral_constantIbLb0EES1U_EEDaS1P_S1Q_EUlS1P_E_NS1_11comp_targetILNS1_3genE3ELNS1_11target_archE908ELNS1_3gpuE7ELNS1_3repE0EEENS1_30default_config_static_selectorELNS0_4arch9wavefront6targetE1EEEvS12_.has_dyn_sized_stack, 0
	.set _ZN7rocprim17ROCPRIM_400000_NS6detail17trampoline_kernelINS0_13select_configILj256ELj13ELNS0_17block_load_methodE3ELS4_3ELS4_3ELNS0_20block_scan_algorithmE0ELj4294967295EEENS1_25partition_config_selectorILNS1_17partition_subalgoE4EjNS0_10empty_typeEbEEZZNS1_14partition_implILS8_4ELb0ES6_15HIP_vector_typeIjLj2EENS0_17counting_iteratorIjlEEPS9_SG_NS0_5tupleIJPjSI_NS0_16reverse_iteratorISI_EEEEENSH_IJSG_SG_SG_EEES9_SI_JZNS1_25segmented_radix_sort_implINS0_14default_configELb1EPKdPdPKlPlN2at6native12_GLOBAL__N_18offset_tEEE10hipError_tPvRmT1_PNSt15iterator_traitsIS12_E10value_typeET2_T3_PNS13_IS18_E10value_typeET4_jRbjT5_S1E_jjP12ihipStream_tbEUljE_ZNSN_ISO_Lb1ESQ_SR_ST_SU_SY_EESZ_S10_S11_S12_S16_S17_S18_S1B_S1C_jS1D_jS1E_S1E_jjS1G_bEUljE0_EEESZ_S10_S11_S18_S1C_S1E_T6_T7_T9_mT8_S1G_bDpT10_ENKUlT_T0_E_clISt17integral_constantIbLb0EES1U_EEDaS1P_S1Q_EUlS1P_E_NS1_11comp_targetILNS1_3genE3ELNS1_11target_archE908ELNS1_3gpuE7ELNS1_3repE0EEENS1_30default_config_static_selectorELNS0_4arch9wavefront6targetE1EEEvS12_.has_recursion, 0
	.set _ZN7rocprim17ROCPRIM_400000_NS6detail17trampoline_kernelINS0_13select_configILj256ELj13ELNS0_17block_load_methodE3ELS4_3ELS4_3ELNS0_20block_scan_algorithmE0ELj4294967295EEENS1_25partition_config_selectorILNS1_17partition_subalgoE4EjNS0_10empty_typeEbEEZZNS1_14partition_implILS8_4ELb0ES6_15HIP_vector_typeIjLj2EENS0_17counting_iteratorIjlEEPS9_SG_NS0_5tupleIJPjSI_NS0_16reverse_iteratorISI_EEEEENSH_IJSG_SG_SG_EEES9_SI_JZNS1_25segmented_radix_sort_implINS0_14default_configELb1EPKdPdPKlPlN2at6native12_GLOBAL__N_18offset_tEEE10hipError_tPvRmT1_PNSt15iterator_traitsIS12_E10value_typeET2_T3_PNS13_IS18_E10value_typeET4_jRbjT5_S1E_jjP12ihipStream_tbEUljE_ZNSN_ISO_Lb1ESQ_SR_ST_SU_SY_EESZ_S10_S11_S12_S16_S17_S18_S1B_S1C_jS1D_jS1E_S1E_jjS1G_bEUljE0_EEESZ_S10_S11_S18_S1C_S1E_T6_T7_T9_mT8_S1G_bDpT10_ENKUlT_T0_E_clISt17integral_constantIbLb0EES1U_EEDaS1P_S1Q_EUlS1P_E_NS1_11comp_targetILNS1_3genE3ELNS1_11target_archE908ELNS1_3gpuE7ELNS1_3repE0EEENS1_30default_config_static_selectorELNS0_4arch9wavefront6targetE1EEEvS12_.has_indirect_call, 0
	.section	.AMDGPU.csdata,"",@progbits
; Kernel info:
; codeLenInByte = 0
; TotalNumSgprs: 4
; NumVgprs: 0
; ScratchSize: 0
; MemoryBound: 0
; FloatMode: 240
; IeeeMode: 1
; LDSByteSize: 0 bytes/workgroup (compile time only)
; SGPRBlocks: 0
; VGPRBlocks: 0
; NumSGPRsForWavesPerEU: 4
; NumVGPRsForWavesPerEU: 1
; Occupancy: 10
; WaveLimiterHint : 0
; COMPUTE_PGM_RSRC2:SCRATCH_EN: 0
; COMPUTE_PGM_RSRC2:USER_SGPR: 6
; COMPUTE_PGM_RSRC2:TRAP_HANDLER: 0
; COMPUTE_PGM_RSRC2:TGID_X_EN: 1
; COMPUTE_PGM_RSRC2:TGID_Y_EN: 0
; COMPUTE_PGM_RSRC2:TGID_Z_EN: 0
; COMPUTE_PGM_RSRC2:TIDIG_COMP_CNT: 0
	.section	.text._ZN7rocprim17ROCPRIM_400000_NS6detail17trampoline_kernelINS0_13select_configILj256ELj13ELNS0_17block_load_methodE3ELS4_3ELS4_3ELNS0_20block_scan_algorithmE0ELj4294967295EEENS1_25partition_config_selectorILNS1_17partition_subalgoE4EjNS0_10empty_typeEbEEZZNS1_14partition_implILS8_4ELb0ES6_15HIP_vector_typeIjLj2EENS0_17counting_iteratorIjlEEPS9_SG_NS0_5tupleIJPjSI_NS0_16reverse_iteratorISI_EEEEENSH_IJSG_SG_SG_EEES9_SI_JZNS1_25segmented_radix_sort_implINS0_14default_configELb1EPKdPdPKlPlN2at6native12_GLOBAL__N_18offset_tEEE10hipError_tPvRmT1_PNSt15iterator_traitsIS12_E10value_typeET2_T3_PNS13_IS18_E10value_typeET4_jRbjT5_S1E_jjP12ihipStream_tbEUljE_ZNSN_ISO_Lb1ESQ_SR_ST_SU_SY_EESZ_S10_S11_S12_S16_S17_S18_S1B_S1C_jS1D_jS1E_S1E_jjS1G_bEUljE0_EEESZ_S10_S11_S18_S1C_S1E_T6_T7_T9_mT8_S1G_bDpT10_ENKUlT_T0_E_clISt17integral_constantIbLb0EES1U_EEDaS1P_S1Q_EUlS1P_E_NS1_11comp_targetILNS1_3genE2ELNS1_11target_archE906ELNS1_3gpuE6ELNS1_3repE0EEENS1_30default_config_static_selectorELNS0_4arch9wavefront6targetE1EEEvS12_,"axG",@progbits,_ZN7rocprim17ROCPRIM_400000_NS6detail17trampoline_kernelINS0_13select_configILj256ELj13ELNS0_17block_load_methodE3ELS4_3ELS4_3ELNS0_20block_scan_algorithmE0ELj4294967295EEENS1_25partition_config_selectorILNS1_17partition_subalgoE4EjNS0_10empty_typeEbEEZZNS1_14partition_implILS8_4ELb0ES6_15HIP_vector_typeIjLj2EENS0_17counting_iteratorIjlEEPS9_SG_NS0_5tupleIJPjSI_NS0_16reverse_iteratorISI_EEEEENSH_IJSG_SG_SG_EEES9_SI_JZNS1_25segmented_radix_sort_implINS0_14default_configELb1EPKdPdPKlPlN2at6native12_GLOBAL__N_18offset_tEEE10hipError_tPvRmT1_PNSt15iterator_traitsIS12_E10value_typeET2_T3_PNS13_IS18_E10value_typeET4_jRbjT5_S1E_jjP12ihipStream_tbEUljE_ZNSN_ISO_Lb1ESQ_SR_ST_SU_SY_EESZ_S10_S11_S12_S16_S17_S18_S1B_S1C_jS1D_jS1E_S1E_jjS1G_bEUljE0_EEESZ_S10_S11_S18_S1C_S1E_T6_T7_T9_mT8_S1G_bDpT10_ENKUlT_T0_E_clISt17integral_constantIbLb0EES1U_EEDaS1P_S1Q_EUlS1P_E_NS1_11comp_targetILNS1_3genE2ELNS1_11target_archE906ELNS1_3gpuE6ELNS1_3repE0EEENS1_30default_config_static_selectorELNS0_4arch9wavefront6targetE1EEEvS12_,comdat
	.globl	_ZN7rocprim17ROCPRIM_400000_NS6detail17trampoline_kernelINS0_13select_configILj256ELj13ELNS0_17block_load_methodE3ELS4_3ELS4_3ELNS0_20block_scan_algorithmE0ELj4294967295EEENS1_25partition_config_selectorILNS1_17partition_subalgoE4EjNS0_10empty_typeEbEEZZNS1_14partition_implILS8_4ELb0ES6_15HIP_vector_typeIjLj2EENS0_17counting_iteratorIjlEEPS9_SG_NS0_5tupleIJPjSI_NS0_16reverse_iteratorISI_EEEEENSH_IJSG_SG_SG_EEES9_SI_JZNS1_25segmented_radix_sort_implINS0_14default_configELb1EPKdPdPKlPlN2at6native12_GLOBAL__N_18offset_tEEE10hipError_tPvRmT1_PNSt15iterator_traitsIS12_E10value_typeET2_T3_PNS13_IS18_E10value_typeET4_jRbjT5_S1E_jjP12ihipStream_tbEUljE_ZNSN_ISO_Lb1ESQ_SR_ST_SU_SY_EESZ_S10_S11_S12_S16_S17_S18_S1B_S1C_jS1D_jS1E_S1E_jjS1G_bEUljE0_EEESZ_S10_S11_S18_S1C_S1E_T6_T7_T9_mT8_S1G_bDpT10_ENKUlT_T0_E_clISt17integral_constantIbLb0EES1U_EEDaS1P_S1Q_EUlS1P_E_NS1_11comp_targetILNS1_3genE2ELNS1_11target_archE906ELNS1_3gpuE6ELNS1_3repE0EEENS1_30default_config_static_selectorELNS0_4arch9wavefront6targetE1EEEvS12_ ; -- Begin function _ZN7rocprim17ROCPRIM_400000_NS6detail17trampoline_kernelINS0_13select_configILj256ELj13ELNS0_17block_load_methodE3ELS4_3ELS4_3ELNS0_20block_scan_algorithmE0ELj4294967295EEENS1_25partition_config_selectorILNS1_17partition_subalgoE4EjNS0_10empty_typeEbEEZZNS1_14partition_implILS8_4ELb0ES6_15HIP_vector_typeIjLj2EENS0_17counting_iteratorIjlEEPS9_SG_NS0_5tupleIJPjSI_NS0_16reverse_iteratorISI_EEEEENSH_IJSG_SG_SG_EEES9_SI_JZNS1_25segmented_radix_sort_implINS0_14default_configELb1EPKdPdPKlPlN2at6native12_GLOBAL__N_18offset_tEEE10hipError_tPvRmT1_PNSt15iterator_traitsIS12_E10value_typeET2_T3_PNS13_IS18_E10value_typeET4_jRbjT5_S1E_jjP12ihipStream_tbEUljE_ZNSN_ISO_Lb1ESQ_SR_ST_SU_SY_EESZ_S10_S11_S12_S16_S17_S18_S1B_S1C_jS1D_jS1E_S1E_jjS1G_bEUljE0_EEESZ_S10_S11_S18_S1C_S1E_T6_T7_T9_mT8_S1G_bDpT10_ENKUlT_T0_E_clISt17integral_constantIbLb0EES1U_EEDaS1P_S1Q_EUlS1P_E_NS1_11comp_targetILNS1_3genE2ELNS1_11target_archE906ELNS1_3gpuE6ELNS1_3repE0EEENS1_30default_config_static_selectorELNS0_4arch9wavefront6targetE1EEEvS12_
	.p2align	8
	.type	_ZN7rocprim17ROCPRIM_400000_NS6detail17trampoline_kernelINS0_13select_configILj256ELj13ELNS0_17block_load_methodE3ELS4_3ELS4_3ELNS0_20block_scan_algorithmE0ELj4294967295EEENS1_25partition_config_selectorILNS1_17partition_subalgoE4EjNS0_10empty_typeEbEEZZNS1_14partition_implILS8_4ELb0ES6_15HIP_vector_typeIjLj2EENS0_17counting_iteratorIjlEEPS9_SG_NS0_5tupleIJPjSI_NS0_16reverse_iteratorISI_EEEEENSH_IJSG_SG_SG_EEES9_SI_JZNS1_25segmented_radix_sort_implINS0_14default_configELb1EPKdPdPKlPlN2at6native12_GLOBAL__N_18offset_tEEE10hipError_tPvRmT1_PNSt15iterator_traitsIS12_E10value_typeET2_T3_PNS13_IS18_E10value_typeET4_jRbjT5_S1E_jjP12ihipStream_tbEUljE_ZNSN_ISO_Lb1ESQ_SR_ST_SU_SY_EESZ_S10_S11_S12_S16_S17_S18_S1B_S1C_jS1D_jS1E_S1E_jjS1G_bEUljE0_EEESZ_S10_S11_S18_S1C_S1E_T6_T7_T9_mT8_S1G_bDpT10_ENKUlT_T0_E_clISt17integral_constantIbLb0EES1U_EEDaS1P_S1Q_EUlS1P_E_NS1_11comp_targetILNS1_3genE2ELNS1_11target_archE906ELNS1_3gpuE6ELNS1_3repE0EEENS1_30default_config_static_selectorELNS0_4arch9wavefront6targetE1EEEvS12_,@function
_ZN7rocprim17ROCPRIM_400000_NS6detail17trampoline_kernelINS0_13select_configILj256ELj13ELNS0_17block_load_methodE3ELS4_3ELS4_3ELNS0_20block_scan_algorithmE0ELj4294967295EEENS1_25partition_config_selectorILNS1_17partition_subalgoE4EjNS0_10empty_typeEbEEZZNS1_14partition_implILS8_4ELb0ES6_15HIP_vector_typeIjLj2EENS0_17counting_iteratorIjlEEPS9_SG_NS0_5tupleIJPjSI_NS0_16reverse_iteratorISI_EEEEENSH_IJSG_SG_SG_EEES9_SI_JZNS1_25segmented_radix_sort_implINS0_14default_configELb1EPKdPdPKlPlN2at6native12_GLOBAL__N_18offset_tEEE10hipError_tPvRmT1_PNSt15iterator_traitsIS12_E10value_typeET2_T3_PNS13_IS18_E10value_typeET4_jRbjT5_S1E_jjP12ihipStream_tbEUljE_ZNSN_ISO_Lb1ESQ_SR_ST_SU_SY_EESZ_S10_S11_S12_S16_S17_S18_S1B_S1C_jS1D_jS1E_S1E_jjS1G_bEUljE0_EEESZ_S10_S11_S18_S1C_S1E_T6_T7_T9_mT8_S1G_bDpT10_ENKUlT_T0_E_clISt17integral_constantIbLb0EES1U_EEDaS1P_S1Q_EUlS1P_E_NS1_11comp_targetILNS1_3genE2ELNS1_11target_archE906ELNS1_3gpuE6ELNS1_3repE0EEENS1_30default_config_static_selectorELNS0_4arch9wavefront6targetE1EEEvS12_: ; @_ZN7rocprim17ROCPRIM_400000_NS6detail17trampoline_kernelINS0_13select_configILj256ELj13ELNS0_17block_load_methodE3ELS4_3ELS4_3ELNS0_20block_scan_algorithmE0ELj4294967295EEENS1_25partition_config_selectorILNS1_17partition_subalgoE4EjNS0_10empty_typeEbEEZZNS1_14partition_implILS8_4ELb0ES6_15HIP_vector_typeIjLj2EENS0_17counting_iteratorIjlEEPS9_SG_NS0_5tupleIJPjSI_NS0_16reverse_iteratorISI_EEEEENSH_IJSG_SG_SG_EEES9_SI_JZNS1_25segmented_radix_sort_implINS0_14default_configELb1EPKdPdPKlPlN2at6native12_GLOBAL__N_18offset_tEEE10hipError_tPvRmT1_PNSt15iterator_traitsIS12_E10value_typeET2_T3_PNS13_IS18_E10value_typeET4_jRbjT5_S1E_jjP12ihipStream_tbEUljE_ZNSN_ISO_Lb1ESQ_SR_ST_SU_SY_EESZ_S10_S11_S12_S16_S17_S18_S1B_S1C_jS1D_jS1E_S1E_jjS1G_bEUljE0_EEESZ_S10_S11_S18_S1C_S1E_T6_T7_T9_mT8_S1G_bDpT10_ENKUlT_T0_E_clISt17integral_constantIbLb0EES1U_EEDaS1P_S1Q_EUlS1P_E_NS1_11comp_targetILNS1_3genE2ELNS1_11target_archE906ELNS1_3gpuE6ELNS1_3repE0EEENS1_30default_config_static_selectorELNS0_4arch9wavefront6targetE1EEEvS12_
; %bb.0:
	s_load_dwordx2 s[0:1], s[4:5], 0x68
	s_load_dwordx4 s[44:47], s[4:5], 0x58
	s_load_dword s8, s[4:5], 0x8
	s_load_dwordx2 s[56:57], s[4:5], 0x10
	s_load_dword s7, s[4:5], 0x80
	s_load_dwordx2 s[58:59], s[4:5], 0xa8
	s_load_dwordx8 s[36:43], s[4:5], 0x88
	s_waitcnt lgkmcnt(0)
	s_load_dwordx4 s[48:51], s[46:47], 0x0
	s_mul_i32 s33, s6, 0xd00
	s_add_i32 s9, s7, -1
	s_mulk_i32 s7, 0xd00
	s_add_u32 s2, s56, s7
	s_addc_u32 s3, s57, 0
	v_mov_b32_e32 v1, s2
	v_mov_b32_e32 v2, s3
	s_cmp_eq_u32 s6, s9
	v_cmp_gt_u64_e32 vcc, s[0:1], v[1:2]
	s_cselect_b64 s[34:35], -1, 0
	s_cmp_lg_u32 s6, s9
	s_cselect_b64 s[2:3], -1, 0
	s_add_i32 s1, s8, s33
	s_or_b64 s[2:3], s[2:3], vcc
	s_add_i32 s1, s1, s56
	s_mov_b64 s[8:9], -1
	s_and_b64 vcc, exec, s[2:3]
	v_add_u32_e32 v1, s1, v0
	s_cbranch_vccz .LBB1058_2
; %bb.1:
	v_add_u32_e32 v2, 0x100, v1
	v_lshlrev_b32_e32 v14, 2, v0
	v_add_u32_e32 v3, 0x200, v1
	v_add_u32_e32 v4, 0x300, v1
	v_add_u32_e32 v5, 0x400, v1
	v_add_u32_e32 v6, 0x500, v1
	v_add_u32_e32 v7, 0x600, v1
	v_add_u32_e32 v8, 0x700, v1
	v_add_u32_e32 v9, 0x800, v1
	v_add_u32_e32 v10, 0x900, v1
	v_add_u32_e32 v11, 0xa00, v1
	v_add_u32_e32 v12, 0xb00, v1
	v_add_u32_e32 v13, 0xc00, v1
	ds_write2st64_b32 v14, v1, v2 offset1:4
	ds_write2st64_b32 v14, v3, v4 offset0:8 offset1:12
	ds_write2st64_b32 v14, v5, v6 offset0:16 offset1:20
	ds_write2st64_b32 v14, v7, v8 offset0:24 offset1:28
	ds_write2st64_b32 v14, v9, v10 offset0:32 offset1:36
	ds_write2st64_b32 v14, v11, v12 offset0:40 offset1:44
	ds_write_b32 v14, v13 offset:12288
	s_waitcnt lgkmcnt(0)
	s_barrier
	s_mov_b64 s[8:9], 0
.LBB1058_2:
	s_andn2_b64 vcc, exec, s[8:9]
	s_add_i32 s7, s7, s56
	s_cbranch_vccnz .LBB1058_4
; %bb.3:
	v_add_u32_e32 v2, 0x100, v1
	v_lshlrev_b32_e32 v14, 2, v0
	v_add_u32_e32 v3, 0x200, v1
	v_add_u32_e32 v4, 0x300, v1
	v_add_u32_e32 v5, 0x400, v1
	v_add_u32_e32 v6, 0x500, v1
	v_add_u32_e32 v7, 0x600, v1
	v_add_u32_e32 v8, 0x700, v1
	v_add_u32_e32 v9, 0x800, v1
	v_add_u32_e32 v10, 0x900, v1
	v_add_u32_e32 v11, 0xa00, v1
	v_add_u32_e32 v12, 0xb00, v1
	v_add_u32_e32 v13, 0xc00, v1
	ds_write2st64_b32 v14, v1, v2 offset1:4
	ds_write2st64_b32 v14, v3, v4 offset0:8 offset1:12
	ds_write2st64_b32 v14, v5, v6 offset0:16 offset1:20
	;; [unrolled: 1-line block ×5, first 2 shown]
	ds_write_b32 v14, v13 offset:12288
	s_waitcnt lgkmcnt(0)
	s_barrier
.LBB1058_4:
	v_mul_u32_u24_e32 v30, 13, v0
	v_lshlrev_b32_e32 v1, 2, v30
	s_load_dwordx4 s[52:55], s[4:5], 0x28
	s_load_dwordx2 s[46:47], s[4:5], 0x38
	s_waitcnt lgkmcnt(0)
	ds_read_b32 v29, v1 offset:48
	ds_read2_b32 v[9:10], v1 offset0:10 offset1:11
	ds_read2_b32 v[11:12], v1 offset0:8 offset1:9
	;; [unrolled: 1-line block ×4, first 2 shown]
	ds_read2_b32 v[19:20], v1 offset1:1
	ds_read2_b32 v[17:18], v1 offset0:2 offset1:3
	v_cndmask_b32_e64 v1, 0, 1, s[2:3]
	s_sub_i32 s7, s0, s7
	v_cmp_ne_u32_e64 s[0:1], 1, v1
	s_andn2_b64 vcc, exec, s[2:3]
	s_waitcnt lgkmcnt(0)
	s_barrier
	s_cbranch_vccnz .LBB1058_32
; %bb.5:
	v_add_u32_e32 v1, s37, v19
	v_add_u32_e32 v2, s39, v19
	v_mul_lo_u32 v1, v1, s36
	v_mul_lo_u32 v2, v2, s38
	s_mov_b64 s[62:63], 0
	s_mov_b64 s[60:61], 0
	v_sub_u32_e32 v1, v1, v2
	v_cmp_lt_u32_e32 vcc, s40, v1
	v_cmp_ge_u32_e64 s[2:3], s40, v1
	s_and_saveexec_b64 s[8:9], s[2:3]
	s_cbranch_execz .LBB1058_7
; %bb.6:
	v_add_u32_e32 v1, s42, v19
	v_add_u32_e32 v2, s58, v19
	v_mul_lo_u32 v1, v1, s41
	v_mul_lo_u32 v2, v2, s43
	v_sub_u32_e32 v1, v1, v2
	v_cmp_lt_u32_e64 s[2:3], s59, v1
	s_and_b64 s[60:61], s[2:3], exec
.LBB1058_7:
	s_or_b64 exec, exec, s[8:9]
	v_add_u32_e32 v1, s37, v20
	v_add_u32_e32 v2, s39, v20
	v_mul_lo_u32 v1, v1, s36
	v_mul_lo_u32 v2, v2, s38
	v_sub_u32_e32 v1, v1, v2
	v_cmp_lt_u32_e64 s[2:3], s40, v1
	v_cmp_ge_u32_e64 s[8:9], s40, v1
	s_and_saveexec_b64 s[10:11], s[8:9]
	s_cbranch_execz .LBB1058_9
; %bb.8:
	v_add_u32_e32 v1, s42, v20
	v_add_u32_e32 v2, s58, v20
	v_mul_lo_u32 v1, v1, s41
	v_mul_lo_u32 v2, v2, s43
	v_sub_u32_e32 v1, v1, v2
	v_cmp_lt_u32_e64 s[8:9], s59, v1
	s_and_b64 s[62:63], s[8:9], exec
.LBB1058_9:
	s_or_b64 exec, exec, s[10:11]
	v_add_u32_e32 v1, s37, v17
	v_add_u32_e32 v2, s39, v17
	v_mul_lo_u32 v1, v1, s36
	v_mul_lo_u32 v2, v2, s38
	s_mov_b64 s[66:67], 0
	s_mov_b64 s[64:65], 0
	v_sub_u32_e32 v1, v1, v2
	v_cmp_lt_u32_e64 s[28:29], s40, v1
	v_cmp_ge_u32_e64 s[8:9], s40, v1
	s_and_saveexec_b64 s[10:11], s[8:9]
	s_cbranch_execz .LBB1058_11
; %bb.10:
	v_add_u32_e32 v1, s42, v17
	v_add_u32_e32 v2, s58, v17
	v_mul_lo_u32 v1, v1, s41
	v_mul_lo_u32 v2, v2, s43
	v_sub_u32_e32 v1, v1, v2
	v_cmp_lt_u32_e64 s[8:9], s59, v1
	s_and_b64 s[64:65], s[8:9], exec
.LBB1058_11:
	s_or_b64 exec, exec, s[10:11]
	v_add_u32_e32 v1, s37, v18
	v_add_u32_e32 v2, s39, v18
	v_mul_lo_u32 v1, v1, s36
	v_mul_lo_u32 v2, v2, s38
	v_sub_u32_e32 v1, v1, v2
	v_cmp_lt_u32_e64 s[8:9], s40, v1
	v_cmp_ge_u32_e64 s[10:11], s40, v1
	s_and_saveexec_b64 s[12:13], s[10:11]
	s_cbranch_execz .LBB1058_13
; %bb.12:
	v_add_u32_e32 v1, s42, v18
	v_add_u32_e32 v2, s58, v18
	v_mul_lo_u32 v1, v1, s41
	v_mul_lo_u32 v2, v2, s43
	v_sub_u32_e32 v1, v1, v2
	v_cmp_lt_u32_e64 s[10:11], s59, v1
	s_and_b64 s[66:67], s[10:11], exec
.LBB1058_13:
	s_or_b64 exec, exec, s[12:13]
	v_add_u32_e32 v1, s37, v15
	v_add_u32_e32 v2, s39, v15
	v_mul_lo_u32 v1, v1, s36
	v_mul_lo_u32 v2, v2, s38
	s_mov_b64 s[70:71], 0
	s_mov_b64 s[68:69], 0
	v_sub_u32_e32 v1, v1, v2
	v_cmp_lt_u32_e64 s[10:11], s40, v1
	v_cmp_ge_u32_e64 s[12:13], s40, v1
	s_and_saveexec_b64 s[14:15], s[12:13]
	s_cbranch_execz .LBB1058_15
; %bb.14:
	v_add_u32_e32 v1, s42, v15
	v_add_u32_e32 v2, s58, v15
	v_mul_lo_u32 v1, v1, s41
	v_mul_lo_u32 v2, v2, s43
	v_sub_u32_e32 v1, v1, v2
	v_cmp_lt_u32_e64 s[12:13], s59, v1
	s_and_b64 s[68:69], s[12:13], exec
.LBB1058_15:
	s_or_b64 exec, exec, s[14:15]
	v_add_u32_e32 v1, s37, v16
	v_add_u32_e32 v2, s39, v16
	v_mul_lo_u32 v1, v1, s36
	v_mul_lo_u32 v2, v2, s38
	v_sub_u32_e32 v1, v1, v2
	v_cmp_lt_u32_e64 s[12:13], s40, v1
	v_cmp_ge_u32_e64 s[14:15], s40, v1
	s_and_saveexec_b64 s[16:17], s[14:15]
	s_cbranch_execz .LBB1058_17
; %bb.16:
	v_add_u32_e32 v1, s42, v16
	v_add_u32_e32 v2, s58, v16
	v_mul_lo_u32 v1, v1, s41
	v_mul_lo_u32 v2, v2, s43
	v_sub_u32_e32 v1, v1, v2
	v_cmp_lt_u32_e64 s[14:15], s59, v1
	s_and_b64 s[70:71], s[14:15], exec
.LBB1058_17:
	s_or_b64 exec, exec, s[16:17]
	v_add_u32_e32 v1, s37, v13
	v_add_u32_e32 v2, s39, v13
	v_mul_lo_u32 v1, v1, s36
	v_mul_lo_u32 v2, v2, s38
	s_mov_b64 s[74:75], 0
	s_mov_b64 s[72:73], 0
	v_sub_u32_e32 v1, v1, v2
	v_cmp_lt_u32_e64 s[14:15], s40, v1
	v_cmp_ge_u32_e64 s[16:17], s40, v1
	s_and_saveexec_b64 s[18:19], s[16:17]
	s_cbranch_execz .LBB1058_19
; %bb.18:
	v_add_u32_e32 v1, s42, v13
	v_add_u32_e32 v2, s58, v13
	v_mul_lo_u32 v1, v1, s41
	v_mul_lo_u32 v2, v2, s43
	v_sub_u32_e32 v1, v1, v2
	v_cmp_lt_u32_e64 s[16:17], s59, v1
	s_and_b64 s[72:73], s[16:17], exec
.LBB1058_19:
	s_or_b64 exec, exec, s[18:19]
	v_add_u32_e32 v1, s37, v14
	v_add_u32_e32 v2, s39, v14
	v_mul_lo_u32 v1, v1, s36
	v_mul_lo_u32 v2, v2, s38
	v_sub_u32_e32 v1, v1, v2
	v_cmp_lt_u32_e64 s[16:17], s40, v1
	v_cmp_ge_u32_e64 s[18:19], s40, v1
	s_and_saveexec_b64 s[20:21], s[18:19]
	s_cbranch_execz .LBB1058_21
; %bb.20:
	v_add_u32_e32 v1, s42, v14
	v_add_u32_e32 v2, s58, v14
	v_mul_lo_u32 v1, v1, s41
	v_mul_lo_u32 v2, v2, s43
	v_sub_u32_e32 v1, v1, v2
	v_cmp_lt_u32_e64 s[18:19], s59, v1
	s_and_b64 s[74:75], s[18:19], exec
.LBB1058_21:
	s_or_b64 exec, exec, s[20:21]
	v_add_u32_e32 v1, s37, v11
	v_add_u32_e32 v2, s39, v11
	v_mul_lo_u32 v1, v1, s36
	v_mul_lo_u32 v2, v2, s38
	s_mov_b64 s[78:79], 0
	s_mov_b64 s[76:77], 0
	v_sub_u32_e32 v1, v1, v2
	v_cmp_lt_u32_e64 s[18:19], s40, v1
	v_cmp_ge_u32_e64 s[20:21], s40, v1
	s_and_saveexec_b64 s[22:23], s[20:21]
	s_cbranch_execz .LBB1058_23
; %bb.22:
	v_add_u32_e32 v1, s42, v11
	v_add_u32_e32 v2, s58, v11
	v_mul_lo_u32 v1, v1, s41
	v_mul_lo_u32 v2, v2, s43
	v_sub_u32_e32 v1, v1, v2
	v_cmp_lt_u32_e64 s[20:21], s59, v1
	s_and_b64 s[76:77], s[20:21], exec
.LBB1058_23:
	s_or_b64 exec, exec, s[22:23]
	v_add_u32_e32 v1, s37, v12
	v_add_u32_e32 v2, s39, v12
	v_mul_lo_u32 v1, v1, s36
	v_mul_lo_u32 v2, v2, s38
	v_sub_u32_e32 v1, v1, v2
	v_cmp_lt_u32_e64 s[20:21], s40, v1
	v_cmp_ge_u32_e64 s[22:23], s40, v1
	s_and_saveexec_b64 s[24:25], s[22:23]
	s_cbranch_execz .LBB1058_25
; %bb.24:
	v_add_u32_e32 v1, s42, v12
	v_add_u32_e32 v2, s58, v12
	v_mul_lo_u32 v1, v1, s41
	v_mul_lo_u32 v2, v2, s43
	v_sub_u32_e32 v1, v1, v2
	v_cmp_lt_u32_e64 s[22:23], s59, v1
	s_and_b64 s[78:79], s[22:23], exec
.LBB1058_25:
	s_or_b64 exec, exec, s[24:25]
	v_add_u32_e32 v1, s37, v9
	v_add_u32_e32 v2, s39, v9
	v_mul_lo_u32 v1, v1, s36
	v_mul_lo_u32 v2, v2, s38
	s_mov_b64 s[82:83], 0
	s_mov_b64 s[84:85], 0
	v_sub_u32_e32 v1, v1, v2
	v_cmp_lt_u32_e64 s[22:23], s40, v1
	v_cmp_ge_u32_e64 s[24:25], s40, v1
	s_and_saveexec_b64 s[26:27], s[24:25]
	s_cbranch_execz .LBB1058_27
; %bb.26:
	v_add_u32_e32 v1, s42, v9
	v_add_u32_e32 v2, s58, v9
	v_mul_lo_u32 v1, v1, s41
	v_mul_lo_u32 v2, v2, s43
	v_sub_u32_e32 v1, v1, v2
	v_cmp_lt_u32_e64 s[24:25], s59, v1
	s_and_b64 s[84:85], s[24:25], exec
.LBB1058_27:
	s_or_b64 exec, exec, s[26:27]
	v_add_u32_e32 v1, s37, v10
	v_add_u32_e32 v2, s39, v10
	v_mul_lo_u32 v1, v1, s36
	v_mul_lo_u32 v2, v2, s38
	v_sub_u32_e32 v1, v1, v2
	v_cmp_lt_u32_e64 s[24:25], s40, v1
	v_cmp_ge_u32_e64 s[26:27], s40, v1
	s_and_saveexec_b64 s[30:31], s[26:27]
	s_cbranch_execz .LBB1058_29
; %bb.28:
	v_add_u32_e32 v1, s42, v10
	v_add_u32_e32 v2, s58, v10
	v_mul_lo_u32 v1, v1, s41
	v_mul_lo_u32 v2, v2, s43
	v_sub_u32_e32 v1, v1, v2
	v_cmp_lt_u32_e64 s[26:27], s59, v1
	s_and_b64 s[82:83], s[26:27], exec
.LBB1058_29:
	s_or_b64 exec, exec, s[30:31]
	v_add_u32_e32 v1, s37, v29
	v_add_u32_e32 v2, s39, v29
	v_mul_lo_u32 v1, v1, s36
	v_mul_lo_u32 v2, v2, s38
	s_mov_b64 s[80:81], 0
	s_mov_b64 s[86:87], 0
	v_sub_u32_e32 v1, v1, v2
	v_cmp_lt_u32_e64 s[26:27], s40, v1
	v_cmp_ge_u32_e64 s[30:31], s40, v1
	s_and_saveexec_b64 s[88:89], s[30:31]
	s_cbranch_execz .LBB1058_31
; %bb.30:
	v_add_u32_e32 v1, s42, v29
	v_add_u32_e32 v2, s58, v29
	v_mul_lo_u32 v1, v1, s41
	v_mul_lo_u32 v2, v2, s43
	v_sub_u32_e32 v1, v1, v2
	v_cmp_lt_u32_e64 s[30:31], s59, v1
	s_and_b64 s[86:87], s[30:31], exec
.LBB1058_31:
	s_or_b64 exec, exec, s[88:89]
	v_cndmask_b32_e64 v2, 0, 1, s[2:3]
	v_cndmask_b32_e64 v1, 0, 1, vcc
	v_cndmask_b32_e64 v4, 0, 1, s[8:9]
	v_lshlrev_b16_e32 v2, 8, v2
	v_cndmask_b32_e64 v3, 0, 1, s[28:29]
	v_or_b32_e32 v1, v1, v2
	v_lshlrev_b16_e32 v2, 8, v4
	v_cndmask_b32_e64 v6, 0, 1, s[12:13]
	v_cndmask_b32_e64 v8, 0, 1, s[16:17]
	v_or_b32_sdwa v2, v3, v2 dst_sel:WORD_1 dst_unused:UNUSED_PAD src0_sel:DWORD src1_sel:DWORD
	v_cndmask_b32_e64 v5, 0, 1, s[10:11]
	v_cndmask_b32_e64 v7, 0, 1, s[14:15]
	v_or_b32_sdwa v31, v1, v2 dst_sel:DWORD dst_unused:UNUSED_PAD src0_sel:WORD_0 src1_sel:DWORD
	v_lshlrev_b16_e32 v1, 8, v6
	v_lshlrev_b16_e32 v2, 8, v8
	v_cndmask_b32_e64 v22, 0, 1, s[20:21]
	v_cndmask_b32_e64 v25, 0, 1, s[24:25]
	v_or_b32_e32 v1, v5, v1
	v_or_b32_sdwa v2, v7, v2 dst_sel:WORD_1 dst_unused:UNUSED_PAD src0_sel:DWORD src1_sel:DWORD
	v_cndmask_b32_e64 v21, 0, 1, s[18:19]
	v_cndmask_b32_e64 v23, 0, 1, s[22:23]
	v_or_b32_sdwa v33, v1, v2 dst_sel:DWORD dst_unused:UNUSED_PAD src0_sel:WORD_0 src1_sel:DWORD
	v_lshlrev_b16_e32 v1, 8, v22
	v_lshlrev_b16_e32 v2, 8, v25
	v_cndmask_b32_e64 v37, 0, 1, s[64:65]
	v_cndmask_b32_e64 v42, 0, 1, s[60:61]
	v_or_b32_e32 v1, v21, v1
	;; [unrolled: 9-line block ×4, first 2 shown]
	v_or_b32_sdwa v2, v34, v2 dst_sel:WORD_1 dst_unused:UNUSED_PAD src0_sel:DWORD src1_sel:DWORD
	v_cndmask_b32_e64 v26, 0, 1, s[78:79]
	v_cndmask_b32_e64 v28, 0, 1, s[74:75]
	v_or_b32_sdwa v32, v1, v2 dst_sel:DWORD dst_unused:UNUSED_PAD src0_sel:WORD_0 src1_sel:DWORD
	v_lshlrev_b16_e32 v1, 8, v27
	v_lshlrev_b16_e32 v2, 8, v24
	v_or_b32_e32 v1, v28, v1
	v_or_b32_sdwa v2, v26, v2 dst_sel:WORD_1 dst_unused:UNUSED_PAD src0_sel:DWORD src1_sel:DWORD
	v_cndmask_b32_e64 v35, 0, 1, s[82:83]
	v_cndmask_b32_e64 v38, 0, 1, s[86:87]
	v_or_b32_sdwa v34, v1, v2 dst_sel:DWORD dst_unused:UNUSED_PAD src0_sel:WORD_0 src1_sel:DWORD
	s_load_dwordx2 s[12:13], s[4:5], 0x78
	s_add_i32 s18, s7, 0xd00
	s_and_b64 vcc, exec, s[80:81]
	s_cbranch_vccnz .LBB1058_33
	s_branch .LBB1058_110
.LBB1058_32:
                                        ; implicit-def: $vgpr38
                                        ; implicit-def: $vgpr35
                                        ; implicit-def: $vgpr34
                                        ; implicit-def: $vgpr32
                                        ; implicit-def: $vgpr37
                                        ; implicit-def: $vgpr36
                                        ; implicit-def: $vgpr33
                                        ; implicit-def: $vgpr31
	s_load_dwordx2 s[12:13], s[4:5], 0x78
	s_add_i32 s18, s7, 0xd00
	s_cbranch_execz .LBB1058_110
.LBB1058_33:
	v_cmp_gt_u32_e32 vcc, s18, v30
	v_mov_b32_e32 v2, 0
	v_mov_b32_e32 v1, 0
	s_and_saveexec_b64 s[4:5], vcc
	s_cbranch_execz .LBB1058_37
; %bb.34:
	v_add_u32_e32 v1, s37, v19
	v_add_u32_e32 v2, s39, v19
	v_mul_lo_u32 v1, v1, s36
	v_mul_lo_u32 v2, v2, s38
	s_mov_b64 s[10:11], 0
	v_sub_u32_e32 v1, v1, v2
	v_cmp_lt_u32_e32 vcc, s40, v1
	v_cmp_ge_u32_e64 s[2:3], s40, v1
	s_and_saveexec_b64 s[8:9], s[2:3]
	s_cbranch_execz .LBB1058_36
; %bb.35:
	v_add_u32_e32 v1, s42, v19
	v_add_u32_e32 v2, s58, v19
	v_mul_lo_u32 v1, v1, s41
	v_mul_lo_u32 v2, v2, s43
	v_sub_u32_e32 v1, v1, v2
	v_cmp_lt_u32_e64 s[2:3], s59, v1
	s_and_b64 s[10:11], s[2:3], exec
.LBB1058_36:
	s_or_b64 exec, exec, s[8:9]
	v_cndmask_b32_e64 v2, 0, 1, s[10:11]
	v_cndmask_b32_e64 v1, 0, 1, vcc
.LBB1058_37:
	s_or_b64 exec, exec, s[4:5]
	v_lshlrev_b16_e32 v7, 8, v2
	v_add_u32_e32 v2, 1, v30
	v_cmp_le_u32_e32 vcc, s18, v2
	v_lshlrev_b16_e64 v4, 8, 0
                                        ; implicit-def: $vgpr3
                                        ; implicit-def: $vgpr5
                                        ; implicit-def: $vgpr6
                                        ; implicit-def: $vgpr2
                                        ; implicit-def: $vgpr8
	s_and_saveexec_b64 s[2:3], vcc
	s_xor_b64 s[2:3], exec, s[2:3]
; %bb.38:
	v_mov_b32_e32 v2, 8
	v_lshrrev_b32_sdwa v3, v2, v7 dst_sel:BYTE_1 dst_unused:UNUSED_PAD src0_sel:DWORD src1_sel:DWORD
	v_and_b32_e32 v8, 0xff, v1
	v_or_b32_sdwa v1, v7, v3 dst_sel:DWORD dst_unused:UNUSED_PAD src0_sel:BYTE_0 src1_sel:DWORD
	v_mov_b32_e32 v5, 0
	v_lshlrev_b16_e64 v4, 8, 0
	v_lshlrev_b16_e64 v2, 8, 0
	v_and_b32_e32 v6, 0xffff, v1
	v_lshlrev_b16_e64 v3, 8, 0
                                        ; implicit-def: $vgpr1
                                        ; implicit-def: $vgpr7
; %bb.39:
	s_andn2_saveexec_b64 s[4:5], s[2:3]
	s_cbranch_execz .LBB1058_43
; %bb.40:
	v_add_u32_e32 v2, s37, v20
	v_add_u32_e32 v3, s39, v20
	v_mul_lo_u32 v2, v2, s36
	v_mul_lo_u32 v3, v3, s38
	s_mov_b64 s[8:9], 0
	v_sub_u32_e32 v2, v2, v3
	v_cmp_lt_u32_e32 vcc, s40, v2
	v_cmp_ge_u32_e64 s[2:3], s40, v2
	s_and_saveexec_b64 s[10:11], s[2:3]
	s_cbranch_execz .LBB1058_42
; %bb.41:
	v_add_u32_e32 v2, s42, v20
	v_add_u32_e32 v3, s58, v20
	v_mul_lo_u32 v2, v2, s41
	v_mul_lo_u32 v3, v3, s43
	v_sub_u32_e32 v2, v2, v3
	v_cmp_lt_u32_e64 s[2:3], s59, v2
	s_and_b64 s[8:9], s[2:3], exec
.LBB1058_42:
	s_or_b64 exec, exec, s[10:11]
	v_cndmask_b32_e64 v3, 0, 1, vcc
	v_lshlrev_b16_e32 v3, 8, v3
	v_or_b32_sdwa v1, v1, v3 dst_sel:DWORD dst_unused:UNUSED_PAD src0_sel:BYTE_0 src1_sel:DWORD
	v_and_b32_e32 v8, 0xffff, v1
	v_mov_b32_e32 v1, 8
	v_lshrrev_b32_sdwa v1, v1, v7 dst_sel:BYTE_1 dst_unused:UNUSED_PAD src0_sel:DWORD src1_sel:DWORD
	v_or_b32_sdwa v1, v7, v1 dst_sel:DWORD dst_unused:UNUSED_PAD src0_sel:BYTE_0 src1_sel:DWORD
	v_and_b32_e32 v1, 0xffff, v1
	v_cndmask_b32_e64 v3, 0, 1, s[8:9]
	v_mov_b32_e32 v2, 0
	v_mov_b32_e32 v5, 0
	v_lshl_or_b32 v6, v3, 16, v1
	v_lshlrev_b16_e64 v3, 8, 0
.LBB1058_43:
	s_or_b64 exec, exec, s[4:5]
	v_add_u32_e32 v1, 2, v30
	v_cmp_le_u32_e32 vcc, s18, v1
	v_lshrrev_b32_e32 v21, 24, v8
                                        ; implicit-def: $vgpr1
                                        ; implicit-def: $vgpr7
	s_and_saveexec_b64 s[2:3], vcc
	s_xor_b64 s[2:3], exec, s[2:3]
	s_cbranch_execz .LBB1058_45
; %bb.44:
	s_mov_b32 s4, 0x40c0100
	v_perm_b32 v7, v21, v8, s4
	v_mov_b32_e32 v8, 8
	v_lshrrev_b32_sdwa v8, v8, v7 dst_sel:BYTE_1 dst_unused:UNUSED_PAD src0_sel:DWORD src1_sel:DWORD
	v_or_b32_sdwa v8, v7, v8 dst_sel:DWORD dst_unused:UNUSED_PAD src0_sel:BYTE_0 src1_sel:DWORD
	v_and_b32_e32 v8, 0xffff, v8
	s_mov_b32 s4, 0xff000000
	v_and_or_b32 v7, v7, s4, v8
	s_mov_b32 s4, 0x3060504
	v_and_b32_e32 v1, 0xff0000, v6
	v_perm_b32 v4, v4, v4, s4
	s_mov_b32 s4, 0x3020504
	v_perm_b32 v1, v6, v1, s4
                                        ; implicit-def: $vgpr8
                                        ; implicit-def: $vgpr21
                                        ; implicit-def: $vgpr6
.LBB1058_45:
	s_andn2_saveexec_b64 s[4:5], s[2:3]
	s_cbranch_execz .LBB1058_49
; %bb.46:
	v_add_u32_e32 v1, s37, v17
	v_add_u32_e32 v7, s39, v17
	v_mul_lo_u32 v1, v1, s36
	v_mul_lo_u32 v7, v7, s38
	s_mov_b64 s[8:9], 0
	v_sub_u32_e32 v1, v1, v7
	v_cmp_lt_u32_e32 vcc, s40, v1
	v_cmp_ge_u32_e64 s[2:3], s40, v1
	s_and_saveexec_b64 s[10:11], s[2:3]
	s_cbranch_execz .LBB1058_48
; %bb.47:
	v_add_u32_e32 v1, s42, v17
	v_add_u32_e32 v7, s58, v17
	v_mul_lo_u32 v1, v1, s41
	v_mul_lo_u32 v7, v7, s43
	v_sub_u32_e32 v1, v1, v7
	v_cmp_lt_u32_e64 s[2:3], s59, v1
	s_and_b64 s[8:9], s[2:3], exec
.LBB1058_48:
	s_or_b64 exec, exec, s[10:11]
	v_mov_b32_e32 v23, 8
	v_lshrrev_b32_sdwa v7, v23, v8 dst_sel:BYTE_1 dst_unused:UNUSED_PAD src0_sel:DWORD src1_sel:DWORD
	v_cndmask_b32_e64 v1, 0, 1, vcc
	v_or_b32_sdwa v7, v8, v7 dst_sel:DWORD dst_unused:UNUSED_PAD src0_sel:BYTE_0 src1_sel:DWORD
	v_lshlrev_b16_e32 v8, 8, v21
	v_or_b32_sdwa v1, v1, v8 dst_sel:WORD_1 dst_unused:UNUSED_PAD src0_sel:DWORD src1_sel:DWORD
	v_cndmask_b32_e64 v22, 0, 1, s[8:9]
	s_movk_i32 s2, 0xff
	v_or_b32_sdwa v7, v7, v1 dst_sel:DWORD dst_unused:UNUSED_PAD src0_sel:WORD_0 src1_sel:DWORD
	v_lshrrev_b32_sdwa v1, v23, v6 dst_sel:BYTE_1 dst_unused:UNUSED_PAD src0_sel:DWORD src1_sel:DWORD
	v_or_b32_sdwa v1, v6, v1 dst_sel:DWORD dst_unused:UNUSED_PAD src0_sel:BYTE_0 src1_sel:DWORD
	v_lshlrev_b16_e32 v8, 8, v22
	v_and_b32_sdwa v6, v6, s2 dst_sel:DWORD dst_unused:UNUSED_PAD src0_sel:WORD_1 src1_sel:DWORD
	v_or_b32_sdwa v6, v6, v8 dst_sel:WORD_1 dst_unused:UNUSED_PAD src0_sel:DWORD src1_sel:DWORD
	v_or_b32_sdwa v1, v1, v6 dst_sel:DWORD dst_unused:UNUSED_PAD src0_sel:WORD_0 src1_sel:DWORD
.LBB1058_49:
	s_or_b64 exec, exec, s[4:5]
	v_add_u32_e32 v6, 3, v30
	v_cmp_le_u32_e32 vcc, s18, v6
	v_lshrrev_b32_e32 v8, 24, v5
                                        ; implicit-def: $vgpr6
                                        ; implicit-def: $vgpr31
	s_and_saveexec_b64 s[2:3], vcc
	s_xor_b64 s[2:3], exec, s[2:3]
	s_cbranch_execz .LBB1058_51
; %bb.50:
	v_and_b32_e32 v6, 0xff0000, v7
	s_mov_b32 s4, 0x3020504
	s_movk_i32 s5, 0xff
	v_perm_b32 v31, v7, v6, s4
	v_lshlrev_b16_e32 v6, 8, v8
	v_and_b32_sdwa v7, v5, s5 dst_sel:DWORD dst_unused:UNUSED_PAD src0_sel:WORD_1 src1_sel:DWORD
	s_mov_b32 s4, 0x3060504
	v_or_b32_sdwa v6, v7, v6 dst_sel:WORD_1 dst_unused:UNUSED_PAD src0_sel:DWORD src1_sel:DWORD
	v_mov_b32_e32 v7, 8
	v_perm_b32 v4, v4, v4, s4
	v_lshrrev_b32_sdwa v6, v7, v5 dst_sel:BYTE_1 dst_unused:UNUSED_PRESERVE src0_sel:DWORD src1_sel:DWORD
	v_perm_b32 v3, v3, v3, s4
                                        ; implicit-def: $vgpr7
                                        ; implicit-def: $vgpr8
                                        ; implicit-def: $vgpr5
.LBB1058_51:
	s_andn2_saveexec_b64 s[4:5], s[2:3]
	s_cbranch_execz .LBB1058_55
; %bb.52:
	v_add_u32_e32 v6, s37, v18
	v_add_u32_e32 v21, s39, v18
	v_mul_lo_u32 v6, v6, s36
	v_mul_lo_u32 v21, v21, s38
	s_mov_b64 s[8:9], 0
	v_sub_u32_e32 v6, v6, v21
	v_cmp_lt_u32_e32 vcc, s40, v6
	v_cmp_ge_u32_e64 s[2:3], s40, v6
	s_and_saveexec_b64 s[10:11], s[2:3]
	s_cbranch_execz .LBB1058_54
; %bb.53:
	v_add_u32_e32 v6, s42, v18
	v_add_u32_e32 v21, s58, v18
	v_mul_lo_u32 v6, v6, s41
	v_mul_lo_u32 v21, v21, s43
	v_sub_u32_e32 v6, v6, v21
	v_cmp_lt_u32_e64 s[2:3], s59, v6
	s_and_b64 s[8:9], s[2:3], exec
.LBB1058_54:
	s_or_b64 exec, exec, s[10:11]
	v_mov_b32_e32 v22, 8
	v_cndmask_b32_e64 v6, 0, 1, vcc
	s_movk_i32 s2, 0xff
	v_lshrrev_b32_sdwa v23, v22, v7 dst_sel:BYTE_1 dst_unused:UNUSED_PAD src0_sel:DWORD src1_sel:DWORD
	v_or_b32_sdwa v23, v7, v23 dst_sel:DWORD dst_unused:UNUSED_PAD src0_sel:BYTE_0 src1_sel:DWORD
	v_lshlrev_b16_e32 v6, 8, v6
	v_and_b32_sdwa v7, v7, s2 dst_sel:DWORD dst_unused:UNUSED_PAD src0_sel:WORD_1 src1_sel:DWORD
	v_or_b32_sdwa v6, v7, v6 dst_sel:WORD_1 dst_unused:UNUSED_PAD src0_sel:DWORD src1_sel:DWORD
	v_cndmask_b32_e64 v21, 0, 1, s[8:9]
	v_or_b32_sdwa v31, v23, v6 dst_sel:DWORD dst_unused:UNUSED_PAD src0_sel:WORD_0 src1_sel:DWORD
	v_lshlrev_b16_e32 v6, 8, v8
	v_and_b32_sdwa v7, v5, s2 dst_sel:DWORD dst_unused:UNUSED_PAD src0_sel:WORD_1 src1_sel:DWORD
	v_lshrrev_b32_sdwa v5, v22, v5 dst_sel:BYTE_1 dst_unused:UNUSED_PAD src0_sel:DWORD src1_sel:DWORD
	v_or_b32_sdwa v6, v7, v6 dst_sel:WORD_1 dst_unused:UNUSED_PAD src0_sel:DWORD src1_sel:DWORD
	v_or_b32_e32 v5, v21, v5
	v_or_b32_sdwa v6, v5, v6 dst_sel:DWORD dst_unused:UNUSED_PAD src0_sel:WORD_0 src1_sel:DWORD
.LBB1058_55:
	s_or_b64 exec, exec, s[4:5]
	v_add_u32_e32 v5, 4, v30
	v_cmp_le_u32_e32 vcc, s18, v5
	v_lshrrev_b32_e32 v21, 24, v4
	v_lshrrev_b32_e32 v8, 24, v6
                                        ; implicit-def: $vgpr7
                                        ; implicit-def: $vgpr5
	s_and_saveexec_b64 s[2:3], vcc
	s_xor_b64 s[2:3], exec, s[2:3]
	s_cbranch_execz .LBB1058_57
; %bb.56:
	s_movk_i32 s4, 0xff
	v_lshlrev_b16_e32 v5, 8, v21
	v_and_b32_sdwa v21, v4, s4 dst_sel:DWORD dst_unused:UNUSED_PAD src0_sel:WORD_1 src1_sel:DWORD
	v_mov_b32_e32 v7, 8
	v_or_b32_sdwa v5, v21, v5 dst_sel:WORD_1 dst_unused:UNUSED_PAD src0_sel:DWORD src1_sel:DWORD
	v_lshrrev_b32_sdwa v5, v7, v4 dst_sel:BYTE_1 dst_unused:UNUSED_PRESERVE src0_sel:DWORD src1_sel:DWORD
	v_lshlrev_b16_e32 v4, 8, v8
	v_and_b32_sdwa v7, v6, s4 dst_sel:DWORD dst_unused:UNUSED_PAD src0_sel:WORD_1 src1_sel:DWORD
	v_or_b32_e32 v4, v7, v4
	s_mov_b32 s4, 0x5040c00
	v_perm_b32 v7, v4, v6, s4
	s_mov_b32 s4, 0x3060504
	v_perm_b32 v3, v3, v3, s4
                                        ; implicit-def: $vgpr21
                                        ; implicit-def: $vgpr4
                                        ; implicit-def: $vgpr6
                                        ; implicit-def: $vgpr8
.LBB1058_57:
	s_andn2_saveexec_b64 s[4:5], s[2:3]
	s_cbranch_execz .LBB1058_61
; %bb.58:
	v_add_u32_e32 v5, s37, v15
	v_add_u32_e32 v7, s39, v15
	v_mul_lo_u32 v5, v5, s36
	v_mul_lo_u32 v7, v7, s38
	s_mov_b64 s[8:9], 0
	v_sub_u32_e32 v5, v5, v7
	v_cmp_lt_u32_e32 vcc, s40, v5
	v_cmp_ge_u32_e64 s[2:3], s40, v5
	s_and_saveexec_b64 s[10:11], s[2:3]
	s_cbranch_execz .LBB1058_60
; %bb.59:
	v_add_u32_e32 v5, s42, v15
	v_add_u32_e32 v7, s58, v15
	v_mul_lo_u32 v5, v5, s41
	v_mul_lo_u32 v7, v7, s43
	v_sub_u32_e32 v5, v5, v7
	v_cmp_lt_u32_e64 s[2:3], s59, v5
	s_and_b64 s[8:9], s[2:3], exec
.LBB1058_60:
	s_or_b64 exec, exec, s[10:11]
	s_movk_i32 s2, 0xff
	v_lshlrev_b16_e32 v21, 8, v21
	v_and_b32_sdwa v22, v4, s2 dst_sel:DWORD dst_unused:UNUSED_PAD src0_sel:WORD_1 src1_sel:DWORD
	v_or_b32_sdwa v21, v22, v21 dst_sel:WORD_1 dst_unused:UNUSED_PAD src0_sel:DWORD src1_sel:DWORD
	v_mov_b32_e32 v22, 8
	v_cndmask_b32_e64 v5, 0, 1, vcc
	v_lshrrev_b32_sdwa v4, v22, v4 dst_sel:BYTE_1 dst_unused:UNUSED_PAD src0_sel:DWORD src1_sel:DWORD
	v_cndmask_b32_e64 v7, 0, 1, s[8:9]
	v_or_b32_e32 v4, v5, v4
	v_or_b32_sdwa v5, v4, v21 dst_sel:DWORD dst_unused:UNUSED_PAD src0_sel:WORD_0 src1_sel:DWORD
	v_lshlrev_b16_e32 v4, 8, v7
	v_or_b32_sdwa v4, v6, v4 dst_sel:DWORD dst_unused:UNUSED_PAD src0_sel:BYTE_0 src1_sel:DWORD
	v_lshlrev_b16_e32 v7, 8, v8
	v_and_b32_sdwa v6, v6, s2 dst_sel:DWORD dst_unused:UNUSED_PAD src0_sel:WORD_1 src1_sel:DWORD
	v_or_b32_sdwa v6, v6, v7 dst_sel:WORD_1 dst_unused:UNUSED_PAD src0_sel:DWORD src1_sel:DWORD
	v_or_b32_sdwa v7, v4, v6 dst_sel:DWORD dst_unused:UNUSED_PAD src0_sel:WORD_0 src1_sel:DWORD
.LBB1058_61:
	s_or_b64 exec, exec, s[4:5]
	v_add_u32_e32 v4, 5, v30
	v_cmp_le_u32_e32 vcc, s18, v4
	v_lshrrev_b32_e32 v8, 24, v7
	v_lshrrev_b32_e32 v21, 24, v5
                                        ; implicit-def: $vgpr4
                                        ; implicit-def: $vgpr6
	s_and_saveexec_b64 s[2:3], vcc
	s_xor_b64 s[2:3], exec, s[2:3]
	s_cbranch_execz .LBB1058_63
; %bb.62:
	s_mov_b32 s4, 0x40c0100
	v_perm_b32 v4, v8, v7, s4
	s_movk_i32 s4, 0xff
	v_lshlrev_b16_e32 v6, 8, v21
	v_and_b32_sdwa v7, v5, s4 dst_sel:DWORD dst_unused:UNUSED_PAD src0_sel:WORD_1 src1_sel:DWORD
	v_or_b32_e32 v6, v7, v6
	s_mov_b32 s4, 0x5040c00
	v_perm_b32 v6, v6, v5, s4
	v_mov_b32_e32 v5, 8
	v_lshrrev_b32_sdwa v5, v5, v4 dst_sel:BYTE_1 dst_unused:UNUSED_PAD src0_sel:DWORD src1_sel:DWORD
	v_or_b32_sdwa v5, v4, v5 dst_sel:DWORD dst_unused:UNUSED_PAD src0_sel:BYTE_0 src1_sel:DWORD
	v_and_b32_e32 v5, 0xffff, v5
	s_mov_b32 s4, 0xff000000
	v_and_or_b32 v4, v4, s4, v5
	s_mov_b32 s4, 0x3060504
	v_perm_b32 v3, v3, v3, s4
                                        ; implicit-def: $vgpr5
                                        ; implicit-def: $vgpr21
                                        ; implicit-def: $vgpr7
                                        ; implicit-def: $vgpr8
.LBB1058_63:
	s_andn2_saveexec_b64 s[4:5], s[2:3]
	s_cbranch_execz .LBB1058_67
; %bb.64:
	v_add_u32_e32 v4, s37, v16
	v_add_u32_e32 v6, s39, v16
	v_mul_lo_u32 v4, v4, s36
	v_mul_lo_u32 v6, v6, s38
	s_mov_b64 s[8:9], 0
	v_sub_u32_e32 v4, v4, v6
	v_cmp_lt_u32_e32 vcc, s40, v4
	v_cmp_ge_u32_e64 s[2:3], s40, v4
	s_and_saveexec_b64 s[10:11], s[2:3]
	s_cbranch_execz .LBB1058_66
; %bb.65:
	v_add_u32_e32 v4, s42, v16
	v_add_u32_e32 v6, s58, v16
	v_mul_lo_u32 v4, v4, s41
	v_mul_lo_u32 v6, v6, s43
	v_sub_u32_e32 v4, v4, v6
	v_cmp_lt_u32_e64 s[2:3], s59, v4
	s_and_b64 s[8:9], s[2:3], exec
.LBB1058_66:
	s_or_b64 exec, exec, s[10:11]
	v_cndmask_b32_e64 v4, 0, 1, vcc
	v_lshlrev_b16_e32 v4, 8, v4
	s_movk_i32 s2, 0xff
	v_or_b32_sdwa v4, v5, v4 dst_sel:DWORD dst_unused:UNUSED_PAD src0_sel:BYTE_0 src1_sel:DWORD
	v_lshlrev_b16_e32 v6, 8, v21
	v_and_b32_sdwa v5, v5, s2 dst_sel:DWORD dst_unused:UNUSED_PAD src0_sel:WORD_1 src1_sel:DWORD
	v_or_b32_sdwa v5, v5, v6 dst_sel:WORD_1 dst_unused:UNUSED_PAD src0_sel:DWORD src1_sel:DWORD
	v_or_b32_sdwa v6, v4, v5 dst_sel:DWORD dst_unused:UNUSED_PAD src0_sel:WORD_0 src1_sel:DWORD
	v_mov_b32_e32 v4, 8
	v_cndmask_b32_e64 v22, 0, 1, s[8:9]
	v_lshrrev_b32_sdwa v4, v4, v7 dst_sel:BYTE_1 dst_unused:UNUSED_PAD src0_sel:DWORD src1_sel:DWORD
	v_lshlrev_b16_e32 v5, 8, v8
	v_or_b32_sdwa v4, v7, v4 dst_sel:DWORD dst_unused:UNUSED_PAD src0_sel:BYTE_0 src1_sel:DWORD
	v_or_b32_sdwa v5, v22, v5 dst_sel:WORD_1 dst_unused:UNUSED_PAD src0_sel:DWORD src1_sel:DWORD
	v_or_b32_sdwa v4, v4, v5 dst_sel:DWORD dst_unused:UNUSED_PAD src0_sel:WORD_0 src1_sel:DWORD
.LBB1058_67:
	s_or_b64 exec, exec, s[4:5]
	v_add_u32_e32 v5, 6, v30
	v_cmp_le_u32_e32 vcc, s18, v5
	v_lshrrev_b32_e32 v7, 24, v6
                                        ; implicit-def: $vgpr32
                                        ; implicit-def: $vgpr5
	s_and_saveexec_b64 s[2:3], vcc
	s_xor_b64 s[2:3], exec, s[2:3]
	s_cbranch_execz .LBB1058_69
; %bb.68:
	s_mov_b32 s4, 0x40c0100
	v_perm_b32 v5, v7, v6, s4
	v_mov_b32_e32 v6, 8
	v_lshrrev_b32_sdwa v6, v6, v5 dst_sel:BYTE_1 dst_unused:UNUSED_PAD src0_sel:DWORD src1_sel:DWORD
	v_or_b32_sdwa v6, v5, v6 dst_sel:DWORD dst_unused:UNUSED_PAD src0_sel:BYTE_0 src1_sel:DWORD
	v_and_b32_e32 v6, 0xffff, v6
	s_mov_b32 s4, 0xff000000
	v_and_b32_e32 v8, 0xff0000, v4
	v_and_or_b32 v5, v5, s4, v6
	s_mov_b32 s4, 0x3020504
	v_perm_b32 v32, v4, v8, s4
	s_mov_b32 s4, 0x3060504
	v_perm_b32 v3, v3, v3, s4
                                        ; implicit-def: $vgpr6
                                        ; implicit-def: $vgpr7
                                        ; implicit-def: $vgpr4
.LBB1058_69:
	s_andn2_saveexec_b64 s[4:5], s[2:3]
	s_cbranch_execz .LBB1058_73
; %bb.70:
	v_add_u32_e32 v5, s37, v13
	v_add_u32_e32 v8, s39, v13
	v_mul_lo_u32 v5, v5, s36
	v_mul_lo_u32 v8, v8, s38
	s_mov_b64 s[8:9], 0
	v_sub_u32_e32 v5, v5, v8
	v_cmp_lt_u32_e32 vcc, s40, v5
	v_cmp_ge_u32_e64 s[2:3], s40, v5
	s_and_saveexec_b64 s[10:11], s[2:3]
	s_cbranch_execz .LBB1058_72
; %bb.71:
	v_add_u32_e32 v5, s42, v13
	v_add_u32_e32 v8, s58, v13
	v_mul_lo_u32 v5, v5, s41
	v_mul_lo_u32 v8, v8, s43
	v_sub_u32_e32 v5, v5, v8
	v_cmp_lt_u32_e64 s[2:3], s59, v5
	s_and_b64 s[8:9], s[2:3], exec
.LBB1058_72:
	s_or_b64 exec, exec, s[10:11]
	v_mov_b32_e32 v21, 8
	v_cndmask_b32_e64 v5, 0, 1, vcc
	v_lshrrev_b32_sdwa v22, v21, v6 dst_sel:BYTE_1 dst_unused:UNUSED_PAD src0_sel:DWORD src1_sel:DWORD
	v_lshlrev_b16_e32 v7, 8, v7
	v_or_b32_sdwa v6, v6, v22 dst_sel:DWORD dst_unused:UNUSED_PAD src0_sel:BYTE_0 src1_sel:DWORD
	v_or_b32_sdwa v5, v5, v7 dst_sel:WORD_1 dst_unused:UNUSED_PAD src0_sel:DWORD src1_sel:DWORD
	v_cndmask_b32_e64 v8, 0, 1, s[8:9]
	s_movk_i32 s2, 0xff
	v_or_b32_sdwa v5, v6, v5 dst_sel:DWORD dst_unused:UNUSED_PAD src0_sel:WORD_0 src1_sel:DWORD
	v_lshrrev_b32_sdwa v6, v21, v4 dst_sel:BYTE_1 dst_unused:UNUSED_PAD src0_sel:DWORD src1_sel:DWORD
	v_or_b32_sdwa v6, v4, v6 dst_sel:DWORD dst_unused:UNUSED_PAD src0_sel:BYTE_0 src1_sel:DWORD
	v_lshlrev_b16_e32 v7, 8, v8
	v_and_b32_sdwa v4, v4, s2 dst_sel:DWORD dst_unused:UNUSED_PAD src0_sel:WORD_1 src1_sel:DWORD
	v_or_b32_sdwa v4, v4, v7 dst_sel:WORD_1 dst_unused:UNUSED_PAD src0_sel:DWORD src1_sel:DWORD
	v_or_b32_sdwa v32, v6, v4 dst_sel:DWORD dst_unused:UNUSED_PAD src0_sel:WORD_0 src1_sel:DWORD
.LBB1058_73:
	s_or_b64 exec, exec, s[4:5]
	v_add_u32_e32 v4, 7, v30
	v_cmp_le_u32_e32 vcc, s18, v4
	v_lshrrev_b32_e32 v6, 24, v3
                                        ; implicit-def: $vgpr4
                                        ; implicit-def: $vgpr33
	s_and_saveexec_b64 s[2:3], vcc
	s_xor_b64 s[2:3], exec, s[2:3]
; %bb.74:
	v_and_b32_e32 v4, 0xff0000, v5
	s_mov_b32 s4, 0x3020504
	v_perm_b32 v33, v5, v4, s4
	s_movk_i32 s4, 0xff
	v_lshlrev_b16_e32 v4, 8, v6
	v_and_b32_sdwa v5, v3, s4 dst_sel:DWORD dst_unused:UNUSED_PAD src0_sel:WORD_1 src1_sel:DWORD
	v_mov_b32_e32 v7, 8
	v_or_b32_sdwa v4, v5, v4 dst_sel:WORD_1 dst_unused:UNUSED_PAD src0_sel:DWORD src1_sel:DWORD
	v_lshrrev_b32_sdwa v4, v7, v3 dst_sel:BYTE_1 dst_unused:UNUSED_PRESERVE src0_sel:DWORD src1_sel:DWORD
                                        ; implicit-def: $vgpr5
                                        ; implicit-def: $vgpr6
                                        ; implicit-def: $vgpr3
; %bb.75:
	s_andn2_saveexec_b64 s[4:5], s[2:3]
	s_cbranch_execz .LBB1058_79
; %bb.76:
	v_add_u32_e32 v4, s37, v14
	v_add_u32_e32 v7, s39, v14
	v_mul_lo_u32 v4, v4, s36
	v_mul_lo_u32 v7, v7, s38
	s_mov_b64 s[8:9], 0
	v_sub_u32_e32 v4, v4, v7
	v_cmp_lt_u32_e32 vcc, s40, v4
	v_cmp_ge_u32_e64 s[2:3], s40, v4
	s_and_saveexec_b64 s[10:11], s[2:3]
	s_cbranch_execz .LBB1058_78
; %bb.77:
	v_add_u32_e32 v4, s42, v14
	v_add_u32_e32 v7, s58, v14
	v_mul_lo_u32 v4, v4, s41
	v_mul_lo_u32 v7, v7, s43
	v_sub_u32_e32 v4, v4, v7
	v_cmp_lt_u32_e64 s[2:3], s59, v4
	s_and_b64 s[8:9], s[2:3], exec
.LBB1058_78:
	s_or_b64 exec, exec, s[10:11]
	v_mov_b32_e32 v8, 8
	v_cndmask_b32_e64 v4, 0, 1, vcc
	s_movk_i32 s2, 0xff
	v_lshrrev_b32_sdwa v21, v8, v5 dst_sel:BYTE_1 dst_unused:UNUSED_PAD src0_sel:DWORD src1_sel:DWORD
	v_or_b32_sdwa v21, v5, v21 dst_sel:DWORD dst_unused:UNUSED_PAD src0_sel:BYTE_0 src1_sel:DWORD
	v_lshlrev_b16_e32 v4, 8, v4
	v_and_b32_sdwa v5, v5, s2 dst_sel:DWORD dst_unused:UNUSED_PAD src0_sel:WORD_1 src1_sel:DWORD
	v_or_b32_sdwa v4, v5, v4 dst_sel:WORD_1 dst_unused:UNUSED_PAD src0_sel:DWORD src1_sel:DWORD
	v_cndmask_b32_e64 v7, 0, 1, s[8:9]
	v_or_b32_sdwa v33, v21, v4 dst_sel:DWORD dst_unused:UNUSED_PAD src0_sel:WORD_0 src1_sel:DWORD
	v_lshlrev_b16_e32 v4, 8, v6
	v_and_b32_sdwa v5, v3, s2 dst_sel:DWORD dst_unused:UNUSED_PAD src0_sel:WORD_1 src1_sel:DWORD
	v_lshrrev_b32_sdwa v3, v8, v3 dst_sel:BYTE_1 dst_unused:UNUSED_PAD src0_sel:DWORD src1_sel:DWORD
	v_or_b32_sdwa v4, v5, v4 dst_sel:WORD_1 dst_unused:UNUSED_PAD src0_sel:DWORD src1_sel:DWORD
	v_or_b32_e32 v3, v7, v3
	v_or_b32_sdwa v4, v3, v4 dst_sel:DWORD dst_unused:UNUSED_PAD src0_sel:WORD_0 src1_sel:DWORD
.LBB1058_79:
	s_or_b64 exec, exec, s[4:5]
	v_add_u32_e32 v3, 8, v30
	v_cmp_le_u32_e32 vcc, s18, v3
	v_lshrrev_b32_e32 v6, 24, v4
	v_lshrrev_b32_e32 v7, 24, v2
                                        ; implicit-def: $vgpr5
                                        ; implicit-def: $vgpr3
	s_and_saveexec_b64 s[2:3], vcc
	s_xor_b64 s[2:3], exec, s[2:3]
	s_cbranch_execz .LBB1058_81
; %bb.80:
	s_movk_i32 s4, 0xff
	v_lshlrev_b16_e32 v3, 8, v7
	v_and_b32_sdwa v5, v2, s4 dst_sel:DWORD dst_unused:UNUSED_PAD src0_sel:WORD_1 src1_sel:DWORD
	v_or_b32_sdwa v3, v5, v3 dst_sel:WORD_1 dst_unused:UNUSED_PAD src0_sel:DWORD src1_sel:DWORD
	v_mov_b32_e32 v5, 8
	v_lshrrev_b32_sdwa v3, v5, v2 dst_sel:BYTE_1 dst_unused:UNUSED_PRESERVE src0_sel:DWORD src1_sel:DWORD
	v_lshlrev_b16_e32 v2, 8, v6
	v_and_b32_sdwa v5, v4, s4 dst_sel:DWORD dst_unused:UNUSED_PAD src0_sel:WORD_1 src1_sel:DWORD
	s_mov_b32 s5, 0x3060504
	v_or_b32_e32 v2, v5, v2
	s_mov_b32 s4, 0x5040c00
	v_perm_b32 v1, v1, v1, s5
	v_perm_b32 v5, v2, v4, s4
                                        ; implicit-def: $vgpr7
                                        ; implicit-def: $vgpr2
                                        ; implicit-def: $vgpr4
                                        ; implicit-def: $vgpr6
.LBB1058_81:
	s_andn2_saveexec_b64 s[4:5], s[2:3]
	s_cbranch_execz .LBB1058_85
; %bb.82:
	v_add_u32_e32 v3, s37, v11
	v_add_u32_e32 v5, s39, v11
	v_mul_lo_u32 v3, v3, s36
	v_mul_lo_u32 v5, v5, s38
	s_mov_b64 s[8:9], 0
	v_sub_u32_e32 v3, v3, v5
	v_cmp_lt_u32_e32 vcc, s40, v3
	v_cmp_ge_u32_e64 s[2:3], s40, v3
	s_and_saveexec_b64 s[10:11], s[2:3]
	s_cbranch_execz .LBB1058_84
; %bb.83:
	v_add_u32_e32 v3, s42, v11
	v_add_u32_e32 v5, s58, v11
	v_mul_lo_u32 v3, v3, s41
	v_mul_lo_u32 v5, v5, s43
	v_sub_u32_e32 v3, v3, v5
	v_cmp_lt_u32_e64 s[2:3], s59, v3
	s_and_b64 s[8:9], s[2:3], exec
.LBB1058_84:
	s_or_b64 exec, exec, s[10:11]
	s_movk_i32 s2, 0xff
	v_lshlrev_b16_e32 v7, 8, v7
	v_and_b32_sdwa v8, v2, s2 dst_sel:DWORD dst_unused:UNUSED_PAD src0_sel:WORD_1 src1_sel:DWORD
	v_or_b32_sdwa v7, v8, v7 dst_sel:WORD_1 dst_unused:UNUSED_PAD src0_sel:DWORD src1_sel:DWORD
	v_mov_b32_e32 v8, 8
	v_cndmask_b32_e64 v3, 0, 1, vcc
	v_lshrrev_b32_sdwa v2, v8, v2 dst_sel:BYTE_1 dst_unused:UNUSED_PAD src0_sel:DWORD src1_sel:DWORD
	v_cndmask_b32_e64 v5, 0, 1, s[8:9]
	v_or_b32_e32 v2, v3, v2
	v_or_b32_sdwa v3, v2, v7 dst_sel:DWORD dst_unused:UNUSED_PAD src0_sel:WORD_0 src1_sel:DWORD
	v_lshlrev_b16_e32 v2, 8, v5
	v_or_b32_sdwa v2, v4, v2 dst_sel:DWORD dst_unused:UNUSED_PAD src0_sel:BYTE_0 src1_sel:DWORD
	v_lshlrev_b16_e32 v5, 8, v6
	v_and_b32_sdwa v4, v4, s2 dst_sel:DWORD dst_unused:UNUSED_PAD src0_sel:WORD_1 src1_sel:DWORD
	v_or_b32_sdwa v4, v4, v5 dst_sel:WORD_1 dst_unused:UNUSED_PAD src0_sel:DWORD src1_sel:DWORD
	v_or_b32_sdwa v5, v2, v4 dst_sel:DWORD dst_unused:UNUSED_PAD src0_sel:WORD_0 src1_sel:DWORD
.LBB1058_85:
	s_or_b64 exec, exec, s[4:5]
	v_add_u32_e32 v2, 9, v30
	v_cmp_le_u32_e32 vcc, s18, v2
	v_lshrrev_b32_e32 v6, 24, v5
	v_lshrrev_b32_e32 v7, 24, v3
                                        ; implicit-def: $vgpr2
                                        ; implicit-def: $vgpr4
	s_and_saveexec_b64 s[2:3], vcc
	s_xor_b64 s[2:3], exec, s[2:3]
	s_cbranch_execz .LBB1058_87
; %bb.86:
	s_mov_b32 s4, 0x40c0100
	v_perm_b32 v2, v6, v5, s4
	v_mov_b32_e32 v4, 8
	s_movk_i32 s4, 0xff
	v_lshrrev_b32_sdwa v5, v4, v2 dst_sel:BYTE_1 dst_unused:UNUSED_PAD src0_sel:DWORD src1_sel:DWORD
	v_lshlrev_b16_e32 v4, 8, v7
	v_and_b32_sdwa v6, v3, s4 dst_sel:DWORD dst_unused:UNUSED_PAD src0_sel:WORD_1 src1_sel:DWORD
	v_or_b32_e32 v4, v6, v4
	s_mov_b32 s4, 0x5040c00
	v_perm_b32 v4, v4, v3, s4
	s_mov_b32 s4, 0x3060504
	v_or_b32_sdwa v3, v2, v5 dst_sel:DWORD dst_unused:UNUSED_PAD src0_sel:BYTE_0 src1_sel:DWORD
	v_perm_b32 v1, v1, v1, s4
	v_and_b32_e32 v3, 0xffff, v3
	s_mov_b32 s4, 0xff000000
	v_and_or_b32 v2, v2, s4, v3
                                        ; implicit-def: $vgpr3
                                        ; implicit-def: $vgpr7
                                        ; implicit-def: $vgpr5
                                        ; implicit-def: $vgpr6
.LBB1058_87:
	s_andn2_saveexec_b64 s[4:5], s[2:3]
	s_cbranch_execz .LBB1058_91
; %bb.88:
	v_add_u32_e32 v2, s37, v12
	v_add_u32_e32 v4, s39, v12
	v_mul_lo_u32 v2, v2, s36
	v_mul_lo_u32 v4, v4, s38
	s_mov_b64 s[8:9], 0
	v_sub_u32_e32 v2, v2, v4
	v_cmp_lt_u32_e32 vcc, s40, v2
	v_cmp_ge_u32_e64 s[2:3], s40, v2
	s_and_saveexec_b64 s[10:11], s[2:3]
	s_cbranch_execz .LBB1058_90
; %bb.89:
	v_add_u32_e32 v2, s42, v12
	v_add_u32_e32 v4, s58, v12
	v_mul_lo_u32 v2, v2, s41
	v_mul_lo_u32 v4, v4, s43
	v_sub_u32_e32 v2, v2, v4
	v_cmp_lt_u32_e64 s[2:3], s59, v2
	s_and_b64 s[8:9], s[2:3], exec
.LBB1058_90:
	s_or_b64 exec, exec, s[10:11]
	v_cndmask_b32_e64 v2, 0, 1, vcc
	v_lshlrev_b16_e32 v2, 8, v2
	s_movk_i32 s2, 0xff
	v_or_b32_sdwa v2, v3, v2 dst_sel:DWORD dst_unused:UNUSED_PAD src0_sel:BYTE_0 src1_sel:DWORD
	v_lshlrev_b16_e32 v4, 8, v7
	v_and_b32_sdwa v3, v3, s2 dst_sel:DWORD dst_unused:UNUSED_PAD src0_sel:WORD_1 src1_sel:DWORD
	v_or_b32_sdwa v3, v3, v4 dst_sel:WORD_1 dst_unused:UNUSED_PAD src0_sel:DWORD src1_sel:DWORD
	v_or_b32_sdwa v4, v2, v3 dst_sel:DWORD dst_unused:UNUSED_PAD src0_sel:WORD_0 src1_sel:DWORD
	v_mov_b32_e32 v2, 8
	v_cndmask_b32_e64 v8, 0, 1, s[8:9]
	v_lshrrev_b32_sdwa v2, v2, v5 dst_sel:BYTE_1 dst_unused:UNUSED_PAD src0_sel:DWORD src1_sel:DWORD
	v_lshlrev_b16_e32 v3, 8, v6
	v_or_b32_sdwa v2, v5, v2 dst_sel:DWORD dst_unused:UNUSED_PAD src0_sel:BYTE_0 src1_sel:DWORD
	v_or_b32_sdwa v3, v8, v3 dst_sel:WORD_1 dst_unused:UNUSED_PAD src0_sel:DWORD src1_sel:DWORD
	v_or_b32_sdwa v2, v2, v3 dst_sel:DWORD dst_unused:UNUSED_PAD src0_sel:WORD_0 src1_sel:DWORD
.LBB1058_91:
	s_or_b64 exec, exec, s[4:5]
	v_add_u32_e32 v3, 10, v30
	v_cmp_le_u32_e32 vcc, s18, v3
	v_lshrrev_b32_e32 v5, 24, v4
                                        ; implicit-def: $vgpr34
                                        ; implicit-def: $vgpr3
	s_and_saveexec_b64 s[2:3], vcc
	s_xor_b64 s[2:3], exec, s[2:3]
	s_cbranch_execz .LBB1058_93
; %bb.92:
	s_mov_b32 s4, 0x40c0100
	v_perm_b32 v3, v5, v4, s4
	v_mov_b32_e32 v4, 8
	v_lshrrev_b32_sdwa v4, v4, v3 dst_sel:BYTE_1 dst_unused:UNUSED_PAD src0_sel:DWORD src1_sel:DWORD
	v_or_b32_sdwa v4, v3, v4 dst_sel:DWORD dst_unused:UNUSED_PAD src0_sel:BYTE_0 src1_sel:DWORD
	v_and_b32_e32 v4, 0xffff, v4
	s_mov_b32 s4, 0xff000000
	v_and_or_b32 v3, v3, s4, v4
	s_mov_b32 s4, 0x3060504
	v_and_b32_e32 v6, 0xff0000, v2
	v_perm_b32 v1, v1, v1, s4
	s_mov_b32 s4, 0x3020504
	v_perm_b32 v34, v2, v6, s4
                                        ; implicit-def: $vgpr4
                                        ; implicit-def: $vgpr5
                                        ; implicit-def: $vgpr2
.LBB1058_93:
	s_andn2_saveexec_b64 s[4:5], s[2:3]
	s_cbranch_execz .LBB1058_97
; %bb.94:
	v_add_u32_e32 v3, s37, v9
	v_add_u32_e32 v6, s39, v9
	v_mul_lo_u32 v3, v3, s36
	v_mul_lo_u32 v6, v6, s38
	s_mov_b64 s[8:9], 0
	v_sub_u32_e32 v3, v3, v6
	v_cmp_lt_u32_e32 vcc, s40, v3
	v_cmp_ge_u32_e64 s[2:3], s40, v3
	s_and_saveexec_b64 s[10:11], s[2:3]
	s_cbranch_execz .LBB1058_96
; %bb.95:
	v_add_u32_e32 v3, s42, v9
	v_add_u32_e32 v6, s58, v9
	v_mul_lo_u32 v3, v3, s41
	v_mul_lo_u32 v6, v6, s43
	v_sub_u32_e32 v3, v3, v6
	v_cmp_lt_u32_e64 s[2:3], s59, v3
	s_and_b64 s[8:9], s[2:3], exec
.LBB1058_96:
	s_or_b64 exec, exec, s[10:11]
	v_mov_b32_e32 v7, 8
	v_cndmask_b32_e64 v3, 0, 1, vcc
	v_lshrrev_b32_sdwa v8, v7, v4 dst_sel:BYTE_1 dst_unused:UNUSED_PAD src0_sel:DWORD src1_sel:DWORD
	v_lshlrev_b16_e32 v5, 8, v5
	v_or_b32_sdwa v4, v4, v8 dst_sel:DWORD dst_unused:UNUSED_PAD src0_sel:BYTE_0 src1_sel:DWORD
	v_or_b32_sdwa v3, v3, v5 dst_sel:WORD_1 dst_unused:UNUSED_PAD src0_sel:DWORD src1_sel:DWORD
	v_cndmask_b32_e64 v6, 0, 1, s[8:9]
	s_movk_i32 s2, 0xff
	v_or_b32_sdwa v3, v4, v3 dst_sel:DWORD dst_unused:UNUSED_PAD src0_sel:WORD_0 src1_sel:DWORD
	v_lshrrev_b32_sdwa v4, v7, v2 dst_sel:BYTE_1 dst_unused:UNUSED_PAD src0_sel:DWORD src1_sel:DWORD
	v_or_b32_sdwa v4, v2, v4 dst_sel:DWORD dst_unused:UNUSED_PAD src0_sel:BYTE_0 src1_sel:DWORD
	v_lshlrev_b16_e32 v5, 8, v6
	v_and_b32_sdwa v2, v2, s2 dst_sel:DWORD dst_unused:UNUSED_PAD src0_sel:WORD_1 src1_sel:DWORD
	v_or_b32_sdwa v2, v2, v5 dst_sel:WORD_1 dst_unused:UNUSED_PAD src0_sel:DWORD src1_sel:DWORD
	v_or_b32_sdwa v34, v4, v2 dst_sel:DWORD dst_unused:UNUSED_PAD src0_sel:WORD_0 src1_sel:DWORD
.LBB1058_97:
	s_or_b64 exec, exec, s[4:5]
	v_add_u32_e32 v2, 11, v30
	v_mov_b32_e32 v35, 0
	v_cmp_le_u32_e32 vcc, s18, v2
                                        ; implicit-def: $vgpr36
	s_and_saveexec_b64 s[2:3], vcc
	s_xor_b64 s[2:3], exec, s[2:3]
; %bb.98:
	v_and_b32_e32 v2, 0xff0000, v3
	s_mov_b32 s4, 0x3020504
	v_perm_b32 v36, v3, v2, s4
	s_mov_b32 s4, 0x3060504
	v_perm_b32 v1, v1, v1, s4
                                        ; implicit-def: $vgpr3
; %bb.99:
	s_andn2_saveexec_b64 s[4:5], s[2:3]
	s_cbranch_execz .LBB1058_103
; %bb.100:
	v_add_u32_e32 v2, s37, v10
	v_add_u32_e32 v4, s39, v10
	v_mul_lo_u32 v2, v2, s36
	v_mul_lo_u32 v4, v4, s38
	s_mov_b64 s[8:9], 0
	v_sub_u32_e32 v2, v2, v4
	v_cmp_lt_u32_e32 vcc, s40, v2
	v_cmp_ge_u32_e64 s[2:3], s40, v2
	s_and_saveexec_b64 s[10:11], s[2:3]
	s_cbranch_execz .LBB1058_102
; %bb.101:
	v_add_u32_e32 v2, s42, v10
	v_add_u32_e32 v4, s58, v10
	v_mul_lo_u32 v2, v2, s41
	v_mul_lo_u32 v4, v4, s43
	v_sub_u32_e32 v2, v2, v4
	v_cmp_lt_u32_e64 s[2:3], s59, v2
	s_and_b64 s[8:9], s[2:3], exec
.LBB1058_102:
	s_or_b64 exec, exec, s[10:11]
	v_mov_b32_e32 v4, 8
	v_cndmask_b32_e64 v2, 0, 1, vcc
	s_movk_i32 s2, 0xff
	v_lshrrev_b32_sdwa v4, v4, v3 dst_sel:BYTE_1 dst_unused:UNUSED_PAD src0_sel:DWORD src1_sel:DWORD
	v_or_b32_sdwa v4, v3, v4 dst_sel:DWORD dst_unused:UNUSED_PAD src0_sel:BYTE_0 src1_sel:DWORD
	v_lshlrev_b16_e32 v2, 8, v2
	v_and_b32_sdwa v3, v3, s2 dst_sel:DWORD dst_unused:UNUSED_PAD src0_sel:WORD_1 src1_sel:DWORD
	v_or_b32_sdwa v2, v3, v2 dst_sel:WORD_1 dst_unused:UNUSED_PAD src0_sel:DWORD src1_sel:DWORD
	v_cndmask_b32_e64 v35, 0, 1, s[8:9]
	v_or_b32_sdwa v36, v4, v2 dst_sel:DWORD dst_unused:UNUSED_PAD src0_sel:WORD_0 src1_sel:DWORD
.LBB1058_103:
	s_or_b64 exec, exec, s[4:5]
	v_add_u32_e32 v2, 12, v30
	v_cmp_le_u32_e32 vcc, s18, v2
	v_lshrrev_b32_e32 v2, 24, v1
                                        ; implicit-def: $vgpr37
	s_and_saveexec_b64 s[2:3], vcc
	s_xor_b64 s[2:3], exec, s[2:3]
; %bb.104:
	s_movk_i32 s4, 0xff
	v_lshlrev_b16_e32 v2, 8, v2
	v_and_b32_sdwa v4, v1, s4 dst_sel:DWORD dst_unused:UNUSED_PAD src0_sel:WORD_1 src1_sel:DWORD
	v_mov_b32_e32 v3, 8
	v_or_b32_sdwa v37, v4, v2 dst_sel:WORD_1 dst_unused:UNUSED_PAD src0_sel:DWORD src1_sel:DWORD
	v_lshrrev_b32_sdwa v37, v3, v1 dst_sel:BYTE_1 dst_unused:UNUSED_PRESERVE src0_sel:DWORD src1_sel:DWORD
                                        ; implicit-def: $vgpr2
                                        ; implicit-def: $vgpr1
; %bb.105:
	s_or_saveexec_b64 s[4:5], s[2:3]
	v_mov_b32_e32 v38, 0
	s_xor_b64 exec, exec, s[4:5]
	s_cbranch_execz .LBB1058_109
; %bb.106:
	v_add_u32_e32 v3, s37, v29
	v_add_u32_e32 v4, s39, v29
	v_mul_lo_u32 v3, v3, s36
	v_mul_lo_u32 v4, v4, s38
	s_mov_b64 s[8:9], 0
	v_sub_u32_e32 v3, v3, v4
	v_cmp_lt_u32_e32 vcc, s40, v3
	v_cmp_ge_u32_e64 s[2:3], s40, v3
	s_and_saveexec_b64 s[10:11], s[2:3]
	s_cbranch_execz .LBB1058_108
; %bb.107:
	v_add_u32_e32 v3, s42, v29
	v_add_u32_e32 v4, s58, v29
	v_mul_lo_u32 v3, v3, s41
	v_mul_lo_u32 v4, v4, s43
	v_sub_u32_e32 v3, v3, v4
	v_cmp_lt_u32_e64 s[2:3], s59, v3
	s_and_b64 s[8:9], s[2:3], exec
.LBB1058_108:
	s_or_b64 exec, exec, s[10:11]
	s_movk_i32 s2, 0xff
	v_lshlrev_b16_e32 v2, 8, v2
	v_and_b32_sdwa v4, v1, s2 dst_sel:DWORD dst_unused:UNUSED_PAD src0_sel:WORD_1 src1_sel:DWORD
	v_or_b32_sdwa v2, v4, v2 dst_sel:WORD_1 dst_unused:UNUSED_PAD src0_sel:DWORD src1_sel:DWORD
	v_mov_b32_e32 v4, 8
	v_cndmask_b32_e64 v3, 0, 1, vcc
	v_lshrrev_b32_sdwa v1, v4, v1 dst_sel:BYTE_1 dst_unused:UNUSED_PAD src0_sel:DWORD src1_sel:DWORD
	v_or_b32_e32 v1, v3, v1
	v_cndmask_b32_e64 v38, 0, 1, s[8:9]
	v_or_b32_sdwa v37, v1, v2 dst_sel:DWORD dst_unused:UNUSED_PAD src0_sel:WORD_0 src1_sel:DWORD
.LBB1058_109:
	s_or_b64 exec, exec, s[4:5]
.LBB1058_110:
	v_and_b32_e32 v48, 0xff, v31
	v_bfe_u32 v45, v31, 8, 8
	v_bfe_u32 v50, v31, 16, 8
	v_lshrrev_b32_e32 v43, 24, v31
	v_and_b32_e32 v51, 0xff, v33
	v_add3_u32 v4, v45, v48, v50
	v_bfe_u32 v46, v33, 8, 8
	v_bfe_u32 v53, v33, 16, 8
	v_add3_u32 v4, v4, v43, v51
	v_bfe_u32 v49, v37, 8, 8
	v_bfe_u32 v57, v37, 16, 8
	v_lshrrev_b32_e32 v44, 24, v37
	v_lshrrev_b32_e32 v41, 24, v33
	v_and_b32_e32 v54, 0xff, v36
	v_add3_u32 v4, v4, v46, v53
	v_and_b32_e32 v58, 0xff, v32
	v_bfe_u32 v52, v32, 8, 8
	v_bfe_u32 v47, v36, 8, 8
	;; [unrolled: 1-line block ×3, first 2 shown]
	v_add3_u32 v3, v57, v49, v44
	v_add3_u32 v4, v4, v41, v54
	v_bfe_u32 v59, v32, 16, 8
	v_lshrrev_b32_e32 v42, 24, v32
	v_lshrrev_b32_e32 v39, 24, v36
	v_and_b32_e32 v1, 0xff, v37
	v_add3_u32 v3, v3, v58, v52
	v_add3_u32 v4, v4, v47, v56
	v_and_b32_e32 v60, 0xff, v34
	v_bfe_u32 v55, v34, 8, 8
	v_add3_u32 v3, v3, v59, v42
	v_add3_u32 v68, v4, v39, v1
	v_mbcnt_lo_u32_b32 v1, -1, 0
	v_bfe_u32 v61, v34, 16, 8
	v_lshrrev_b32_e32 v40, 24, v34
	v_add3_u32 v3, v3, v60, v55
	v_mbcnt_hi_u32_b32 v63, -1, v1
	v_and_b32_e32 v62, 0xff, v35
	v_and_b32_e32 v2, 0xff, v38
	v_add3_u32 v3, v3, v61, v40
	v_and_b32_e32 v67, 15, v63
	s_cmp_lg_u32 s6, 0
	v_add3_u32 v69, v3, v62, v2
	v_cmp_eq_u32_e64 s[4:5], 0, v67
	v_cmp_lt_u32_e64 s[2:3], 1, v67
	v_cmp_lt_u32_e64 s[8:9], 3, v67
	;; [unrolled: 1-line block ×3, first 2 shown]
	v_and_b32_e32 v66, 16, v63
	v_cmp_lt_u32_e32 vcc, 31, v63
	v_lshrrev_b32_e32 v64, 6, v0
	v_or_b32_e32 v65, 63, v0
	s_cbranch_scc0 .LBB1058_132
; %bb.111:
	v_mov_b32_dpp v1, v68 row_shr:1 row_mask:0xf bank_mask:0xf
	v_mov_b32_dpp v2, v69 row_shr:1 row_mask:0xf bank_mask:0xf
	v_add_u32_e32 v1, v1, v68
	v_add_u32_e32 v2, v2, v69
	v_cndmask_b32_e64 v2, v2, v69, s[4:5]
	v_cndmask_b32_e64 v1, v1, v68, s[4:5]
	s_nop 0
	v_mov_b32_dpp v4, v2 row_shr:2 row_mask:0xf bank_mask:0xf
	v_mov_b32_dpp v3, v1 row_shr:2 row_mask:0xf bank_mask:0xf
	v_add_u32_e32 v3, v1, v3
	v_add_u32_e32 v4, v2, v4
	v_cndmask_b32_e64 v2, v2, v4, s[2:3]
	v_cndmask_b32_e64 v1, v1, v3, s[2:3]
	s_nop 0
	v_mov_b32_dpp v4, v2 row_shr:4 row_mask:0xf bank_mask:0xf
	v_mov_b32_dpp v3, v1 row_shr:4 row_mask:0xf bank_mask:0xf
	v_add_u32_e32 v3, v1, v3
	v_add_u32_e32 v4, v2, v4
	v_cndmask_b32_e64 v2, v2, v4, s[8:9]
	v_cndmask_b32_e64 v1, v1, v3, s[8:9]
	v_cmp_eq_u32_e64 s[8:9], 0, v66
	v_mov_b32_dpp v4, v2 row_shr:8 row_mask:0xf bank_mask:0xf
	v_mov_b32_dpp v3, v1 row_shr:8 row_mask:0xf bank_mask:0xf
	v_add_u32_e32 v3, v1, v3
	v_add_u32_e32 v4, v2, v4
	v_cndmask_b32_e64 v2, v2, v4, s[10:11]
	v_cndmask_b32_e64 v3, v1, v3, s[10:11]
	s_nop 0
	v_mov_b32_dpp v4, v2 row_bcast:15 row_mask:0xf bank_mask:0xf
	v_mov_b32_dpp v1, v3 row_bcast:15 row_mask:0xf bank_mask:0xf
	v_add_u32_e32 v5, v3, v1
	v_add_u32_e32 v1, v2, v4
	v_cndmask_b32_e64 v1, v1, v2, s[8:9]
	v_cndmask_b32_e64 v2, v5, v3, s[8:9]
	v_cmp_eq_u32_e64 s[8:9], v0, v65
	v_mov_b32_dpp v3, v1 row_bcast:31 row_mask:0xf bank_mask:0xf
	v_mov_b32_dpp v4, v2 row_bcast:31 row_mask:0xf bank_mask:0xf
	v_add_u32_e32 v3, v1, v3
	v_add_u32_e32 v4, v2, v4
	s_and_saveexec_b64 s[10:11], s[8:9]
; %bb.112:
	v_lshlrev_b32_e32 v7, 3, v64
	v_cndmask_b32_e32 v6, v1, v3, vcc
	v_cndmask_b32_e32 v5, v2, v4, vcc
	ds_write_b64 v7, v[5:6]
; %bb.113:
	s_or_b64 exec, exec, s[10:11]
	v_cmp_gt_u32_e64 s[8:9], 4, v0
	s_waitcnt lgkmcnt(0)
	s_barrier
	s_and_saveexec_b64 s[10:11], s[8:9]
	s_cbranch_execz .LBB1058_115
; %bb.114:
	v_lshlrev_b32_e32 v7, 3, v0
	ds_read_b64 v[5:6], v7
	v_and_b32_e32 v8, 3, v63
	v_cmp_eq_u32_e64 s[8:9], 0, v8
	s_waitcnt lgkmcnt(0)
	v_mov_b32_dpp v21, v5 row_shr:1 row_mask:0xf bank_mask:0xf
	v_mov_b32_dpp v22, v6 row_shr:1 row_mask:0xf bank_mask:0xf
	v_add_u32_e32 v21, v21, v5
	v_add_u32_e32 v22, v22, v6
	v_cndmask_b32_e64 v6, v22, v6, s[8:9]
	v_cndmask_b32_e64 v5, v21, v5, s[8:9]
	v_cmp_lt_u32_e64 s[8:9], 1, v8
	v_mov_b32_dpp v22, v6 row_shr:2 row_mask:0xf bank_mask:0xf
	v_mov_b32_dpp v21, v5 row_shr:2 row_mask:0xf bank_mask:0xf
	v_cndmask_b32_e64 v8, 0, v21, s[8:9]
	v_cndmask_b32_e64 v21, 0, v22, s[8:9]
	v_add_u32_e32 v6, v21, v6
	v_add_u32_e32 v5, v8, v5
	ds_write_b64 v7, v[5:6]
.LBB1058_115:
	s_or_b64 exec, exec, s[10:11]
	v_cndmask_b32_e32 v1, v1, v3, vcc
	v_cndmask_b32_e32 v2, v2, v4, vcc
	v_cmp_gt_u32_e32 vcc, 64, v0
	v_cmp_lt_u32_e64 s[8:9], 63, v0
	s_waitcnt lgkmcnt(0)
	s_barrier
                                        ; implicit-def: $vgpr21
	s_and_saveexec_b64 s[10:11], s[8:9]
	s_cbranch_execz .LBB1058_117
; %bb.116:
	v_lshl_add_u32 v3, v64, 3, -8
	ds_read_b64 v[21:22], v3
	s_waitcnt lgkmcnt(0)
	v_add_u32_e32 v1, v22, v1
	v_add_u32_e32 v2, v21, v2
.LBB1058_117:
	s_or_b64 exec, exec, s[10:11]
	v_subrev_co_u32_e64 v3, s[8:9], 1, v63
	v_and_b32_e32 v4, 64, v63
	v_cmp_lt_i32_e64 s[10:11], v3, v4
	v_cndmask_b32_e64 v3, v3, v63, s[10:11]
	v_lshlrev_b32_e32 v3, 2, v3
	ds_bpermute_b32 v70, v3, v2
	ds_bpermute_b32 v71, v3, v1
	s_and_saveexec_b64 s[10:11], vcc
	s_cbranch_execz .LBB1058_137
; %bb.118:
	v_mov_b32_e32 v4, 0
	ds_read_b64 v[1:2], v4 offset:24
	s_and_saveexec_b64 s[14:15], s[8:9]
	s_cbranch_execz .LBB1058_120
; %bb.119:
	s_add_i32 s16, s6, 64
	s_mov_b32 s17, 0
	s_lshl_b64 s[16:17], s[16:17], 4
	s_add_u32 s16, s12, s16
	s_addc_u32 s17, s13, s17
	v_mov_b32_e32 v5, s16
	v_mov_b32_e32 v3, 1
	;; [unrolled: 1-line block ×3, first 2 shown]
	s_waitcnt lgkmcnt(0)
	;;#ASMSTART
	global_store_dwordx4 v[5:6], v[1:4] off	
s_waitcnt vmcnt(0)
	;;#ASMEND
.LBB1058_120:
	s_or_b64 exec, exec, s[14:15]
	v_xad_u32 v23, v63, -1, s6
	v_add_u32_e32 v3, 64, v23
	v_lshlrev_b64 v[5:6], 4, v[3:4]
	v_mov_b32_e32 v3, s13
	v_add_co_u32_e32 v24, vcc, s12, v5
	v_addc_co_u32_e32 v25, vcc, v3, v6, vcc
	;;#ASMSTART
	global_load_dwordx4 v[5:8], v[24:25] off glc	
s_waitcnt vmcnt(0)
	;;#ASMEND
	v_cmp_eq_u16_sdwa s[16:17], v7, v4 src0_sel:BYTE_0 src1_sel:DWORD
	s_and_saveexec_b64 s[14:15], s[16:17]
	s_cbranch_execz .LBB1058_124
; %bb.121:
	s_mov_b64 s[16:17], 0
	v_mov_b32_e32 v3, 0
.LBB1058_122:                           ; =>This Inner Loop Header: Depth=1
	;;#ASMSTART
	global_load_dwordx4 v[5:8], v[24:25] off glc	
s_waitcnt vmcnt(0)
	;;#ASMEND
	v_cmp_ne_u16_sdwa s[20:21], v7, v3 src0_sel:BYTE_0 src1_sel:DWORD
	s_or_b64 s[16:17], s[20:21], s[16:17]
	s_andn2_b64 exec, exec, s[16:17]
	s_cbranch_execnz .LBB1058_122
; %bb.123:
	s_or_b64 exec, exec, s[16:17]
.LBB1058_124:
	s_or_b64 exec, exec, s[14:15]
	v_and_b32_e32 v73, 63, v63
	v_cmp_ne_u32_e32 vcc, 63, v73
	v_mov_b32_e32 v72, 2
	v_lshlrev_b64 v[25:26], v63, -1
	v_addc_co_u32_e32 v8, vcc, 0, v63, vcc
	v_cmp_eq_u16_sdwa s[14:15], v7, v72 src0_sel:BYTE_0 src1_sel:DWORD
	v_lshlrev_b32_e32 v74, 2, v8
	v_and_b32_e32 v3, s15, v26
	ds_bpermute_b32 v8, v74, v5
	ds_bpermute_b32 v24, v74, v6
	v_or_b32_e32 v3, 0x80000000, v3
	v_and_b32_e32 v4, s14, v25
	v_ffbl_b32_e32 v3, v3
	v_add_u32_e32 v3, 32, v3
	v_ffbl_b32_e32 v4, v4
	v_min_u32_e32 v3, v4, v3
	s_waitcnt lgkmcnt(1)
	v_add_u32_e32 v4, v8, v5
	s_waitcnt lgkmcnt(0)
	v_add_u32_e32 v8, v24, v6
	v_cmp_lt_u32_e32 vcc, v73, v3
	v_cndmask_b32_e32 v6, v6, v8, vcc
	v_cndmask_b32_e32 v4, v5, v4, vcc
	v_cmp_gt_u32_e32 vcc, 62, v73
	v_cndmask_b32_e64 v5, 0, 2, vcc
	v_add_lshl_u32 v75, v5, v63, 2
	ds_bpermute_b32 v5, v75, v4
	ds_bpermute_b32 v8, v75, v6
	v_add_u32_e32 v76, 2, v73
	v_cmp_gt_u32_e32 vcc, v76, v3
	v_add_u32_e32 v78, 4, v73
	s_waitcnt lgkmcnt(1)
	v_add_u32_e32 v5, v4, v5
	s_waitcnt lgkmcnt(0)
	v_add_u32_e32 v8, v6, v8
	v_cndmask_b32_e32 v6, v8, v6, vcc
	v_cndmask_b32_e32 v4, v5, v4, vcc
	v_cmp_gt_u32_e32 vcc, 60, v73
	v_cndmask_b32_e64 v5, 0, 4, vcc
	v_add_lshl_u32 v77, v5, v63, 2
	ds_bpermute_b32 v5, v77, v4
	ds_bpermute_b32 v8, v77, v6
	v_cmp_gt_u32_e32 vcc, v78, v3
	v_add_u32_e32 v80, 8, v73
	v_add_u32_e32 v82, 16, v73
	s_waitcnt lgkmcnt(1)
	v_add_u32_e32 v5, v4, v5
	s_waitcnt lgkmcnt(0)
	v_add_u32_e32 v8, v6, v8
	v_cndmask_b32_e32 v6, v8, v6, vcc
	v_cndmask_b32_e32 v4, v5, v4, vcc
	v_cmp_gt_u32_e32 vcc, 56, v73
	v_cndmask_b32_e64 v5, 0, 8, vcc
	v_add_lshl_u32 v79, v5, v63, 2
	ds_bpermute_b32 v5, v79, v4
	ds_bpermute_b32 v8, v79, v6
	v_cmp_gt_u32_e32 vcc, v80, v3
	v_add_u32_e32 v84, 32, v73
	v_mov_b32_e32 v24, 0
	s_waitcnt lgkmcnt(1)
	v_add_u32_e32 v5, v4, v5
	s_waitcnt lgkmcnt(0)
	v_add_u32_e32 v8, v6, v8
	v_cndmask_b32_e32 v6, v8, v6, vcc
	v_cndmask_b32_e32 v4, v5, v4, vcc
	v_cmp_gt_u32_e32 vcc, 48, v73
	v_cndmask_b32_e64 v5, 0, 16, vcc
	v_add_lshl_u32 v81, v5, v63, 2
	ds_bpermute_b32 v5, v81, v4
	ds_bpermute_b32 v8, v81, v6
	v_cmp_gt_u32_e32 vcc, v82, v3
	s_waitcnt lgkmcnt(1)
	v_add_u32_e32 v5, v4, v5
	s_waitcnt lgkmcnt(0)
	v_add_u32_e32 v8, v6, v8
	v_cndmask_b32_e32 v4, v5, v4, vcc
	v_mov_b32_e32 v5, 0x80
	v_cndmask_b32_e32 v6, v8, v6, vcc
	v_lshl_or_b32 v83, v63, 2, v5
	ds_bpermute_b32 v5, v83, v4
	ds_bpermute_b32 v8, v83, v6
	v_cmp_le_u32_e32 vcc, v84, v3
	s_waitcnt lgkmcnt(1)
	v_cndmask_b32_e32 v3, 0, v5, vcc
	s_waitcnt lgkmcnt(0)
	v_cndmask_b32_e32 v5, 0, v8, vcc
	v_add_u32_e32 v6, v6, v5
	v_add_u32_e32 v5, v4, v3
	s_branch .LBB1058_128
.LBB1058_125:                           ;   in Loop: Header=BB1058_128 Depth=1
	s_or_b64 exec, exec, s[16:17]
.LBB1058_126:                           ;   in Loop: Header=BB1058_128 Depth=1
	s_or_b64 exec, exec, s[14:15]
	v_cmp_eq_u16_sdwa s[14:15], v7, v72 src0_sel:BYTE_0 src1_sel:DWORD
	v_and_b32_e32 v8, s15, v26
	ds_bpermute_b32 v28, v74, v5
	ds_bpermute_b32 v85, v74, v6
	v_or_b32_e32 v8, 0x80000000, v8
	v_and_b32_e32 v27, s14, v25
	v_ffbl_b32_e32 v8, v8
	v_add_u32_e32 v8, 32, v8
	v_ffbl_b32_e32 v27, v27
	v_min_u32_e32 v8, v27, v8
	s_waitcnt lgkmcnt(1)
	v_add_u32_e32 v27, v28, v5
	s_waitcnt lgkmcnt(0)
	v_add_u32_e32 v28, v85, v6
	v_cmp_lt_u32_e32 vcc, v73, v8
	v_cndmask_b32_e32 v6, v6, v28, vcc
	v_cndmask_b32_e32 v5, v5, v27, vcc
	ds_bpermute_b32 v27, v75, v5
	ds_bpermute_b32 v28, v75, v6
	v_cmp_gt_u32_e32 vcc, v76, v8
	v_subrev_u32_e32 v23, 64, v23
	s_mov_b64 s[14:15], 0
	s_waitcnt lgkmcnt(1)
	v_add_u32_e32 v27, v5, v27
	s_waitcnt lgkmcnt(0)
	v_add_u32_e32 v28, v6, v28
	v_cndmask_b32_e32 v6, v28, v6, vcc
	v_cndmask_b32_e32 v5, v27, v5, vcc
	ds_bpermute_b32 v27, v77, v5
	ds_bpermute_b32 v28, v77, v6
	v_cmp_gt_u32_e32 vcc, v78, v8
	s_waitcnt lgkmcnt(1)
	v_add_u32_e32 v27, v5, v27
	s_waitcnt lgkmcnt(0)
	v_add_u32_e32 v28, v6, v28
	v_cndmask_b32_e32 v6, v28, v6, vcc
	v_cndmask_b32_e32 v5, v27, v5, vcc
	ds_bpermute_b32 v27, v79, v5
	ds_bpermute_b32 v28, v79, v6
	v_cmp_gt_u32_e32 vcc, v80, v8
	s_waitcnt lgkmcnt(1)
	v_add_u32_e32 v27, v5, v27
	s_waitcnt lgkmcnt(0)
	v_add_u32_e32 v28, v6, v28
	v_cndmask_b32_e32 v6, v28, v6, vcc
	v_cndmask_b32_e32 v5, v27, v5, vcc
	ds_bpermute_b32 v27, v81, v5
	ds_bpermute_b32 v28, v81, v6
	v_cmp_gt_u32_e32 vcc, v82, v8
	s_waitcnt lgkmcnt(1)
	v_add_u32_e32 v27, v5, v27
	s_waitcnt lgkmcnt(0)
	v_add_u32_e32 v28, v6, v28
	v_cndmask_b32_e32 v6, v28, v6, vcc
	v_cndmask_b32_e32 v5, v27, v5, vcc
	ds_bpermute_b32 v27, v83, v5
	ds_bpermute_b32 v28, v83, v6
	v_cmp_le_u32_e32 vcc, v84, v8
	s_waitcnt lgkmcnt(1)
	v_cndmask_b32_e32 v8, 0, v27, vcc
	s_waitcnt lgkmcnt(0)
	v_cndmask_b32_e32 v27, 0, v28, vcc
	v_add3_u32 v6, v27, v4, v6
	v_add3_u32 v5, v8, v3, v5
.LBB1058_127:                           ;   in Loop: Header=BB1058_128 Depth=1
	s_and_b64 vcc, exec, s[14:15]
	s_cbranch_vccnz .LBB1058_133
.LBB1058_128:                           ; =>This Loop Header: Depth=1
                                        ;     Child Loop BB1058_131 Depth 2
	v_mov_b32_e32 v3, v5
	v_cmp_ne_u16_sdwa s[14:15], v7, v72 src0_sel:BYTE_0 src1_sel:DWORD
	v_mov_b32_e32 v4, v6
	s_cmp_lg_u64 s[14:15], exec
	s_mov_b64 s[14:15], -1
                                        ; implicit-def: $vgpr7
                                        ; implicit-def: $vgpr5_vgpr6
	s_cbranch_scc1 .LBB1058_127
; %bb.129:                              ;   in Loop: Header=BB1058_128 Depth=1
	v_lshlrev_b64 v[5:6], 4, v[23:24]
	v_mov_b32_e32 v7, s13
	v_add_co_u32_e32 v27, vcc, s12, v5
	v_addc_co_u32_e32 v28, vcc, v7, v6, vcc
	;;#ASMSTART
	global_load_dwordx4 v[5:8], v[27:28] off glc	
s_waitcnt vmcnt(0)
	;;#ASMEND
	v_cmp_eq_u16_sdwa s[16:17], v7, v24 src0_sel:BYTE_0 src1_sel:DWORD
	s_and_saveexec_b64 s[14:15], s[16:17]
	s_cbranch_execz .LBB1058_126
; %bb.130:                              ;   in Loop: Header=BB1058_128 Depth=1
	s_mov_b64 s[16:17], 0
.LBB1058_131:                           ;   Parent Loop BB1058_128 Depth=1
                                        ; =>  This Inner Loop Header: Depth=2
	;;#ASMSTART
	global_load_dwordx4 v[5:8], v[27:28] off glc	
s_waitcnt vmcnt(0)
	;;#ASMEND
	v_cmp_ne_u16_sdwa s[20:21], v7, v24 src0_sel:BYTE_0 src1_sel:DWORD
	s_or_b64 s[16:17], s[20:21], s[16:17]
	s_andn2_b64 exec, exec, s[16:17]
	s_cbranch_execnz .LBB1058_131
	s_branch .LBB1058_125
.LBB1058_132:
                                        ; implicit-def: $vgpr22
                                        ; implicit-def: $vgpr3
                                        ; implicit-def: $vgpr23
	s_cbranch_execnz .LBB1058_138
	s_branch .LBB1058_147
.LBB1058_133:
	s_and_saveexec_b64 s[14:15], s[8:9]
	s_cbranch_execnz .LBB1058_375
; %bb.134:
	s_or_b64 exec, exec, s[14:15]
	s_and_saveexec_b64 s[6:7], s[8:9]
	s_cbranch_execnz .LBB1058_376
.LBB1058_135:
	s_or_b64 exec, exec, s[6:7]
	v_cmp_eq_u32_e32 vcc, 0, v0
	s_and_b64 exec, exec, vcc
.LBB1058_136:
	v_mov_b32_e32 v1, 0
	ds_write_b64 v1, v[3:4] offset:24
.LBB1058_137:
	s_or_b64 exec, exec, s[10:11]
	v_mov_b32_e32 v1, 0
	s_waitcnt lgkmcnt(0)
	s_barrier
	ds_read_b64 v[5:6], v1 offset:24
	v_cndmask_b32_e64 v2, v71, v22, s[8:9]
	v_cndmask_b32_e64 v3, v70, v21, s[8:9]
	s_waitcnt lgkmcnt(0)
	s_barrier
	v_add_u32_e32 v7, v5, v3
	v_add_u32_e32 v8, v6, v2
	ds_read_b128 v[1:4], v1 offset:13312
	v_cmp_eq_u32_e32 vcc, 0, v0
	v_cndmask_b32_e32 v22, v8, v6, vcc
	v_cndmask_b32_e32 v23, v7, v5, vcc
	s_branch .LBB1058_147
.LBB1058_138:
	s_waitcnt lgkmcnt(0)
	v_mov_b32_dpp v1, v68 row_shr:1 row_mask:0xf bank_mask:0xf
	v_mov_b32_dpp v2, v69 row_shr:1 row_mask:0xf bank_mask:0xf
	v_add_u32_e32 v1, v1, v68
	v_add_u32_e32 v2, v2, v69
	v_cndmask_b32_e64 v2, v2, v69, s[4:5]
	v_cndmask_b32_e64 v1, v1, v68, s[4:5]
	v_cmp_lt_u32_e32 vcc, 3, v67
	v_mov_b32_dpp v4, v2 row_shr:2 row_mask:0xf bank_mask:0xf
	v_mov_b32_dpp v3, v1 row_shr:2 row_mask:0xf bank_mask:0xf
	v_add_u32_e32 v3, v1, v3
	v_add_u32_e32 v4, v2, v4
	v_cndmask_b32_e64 v2, v2, v4, s[2:3]
	v_cndmask_b32_e64 v1, v1, v3, s[2:3]
	v_cmp_eq_u32_e64 s[2:3], v0, v65
	v_mov_b32_dpp v4, v2 row_shr:4 row_mask:0xf bank_mask:0xf
	v_mov_b32_dpp v3, v1 row_shr:4 row_mask:0xf bank_mask:0xf
	v_add_u32_e32 v3, v1, v3
	v_add_u32_e32 v4, v2, v4
	v_cndmask_b32_e32 v2, v2, v4, vcc
	v_cndmask_b32_e32 v1, v1, v3, vcc
	v_cmp_lt_u32_e32 vcc, 7, v67
	v_mov_b32_dpp v4, v2 row_shr:8 row_mask:0xf bank_mask:0xf
	v_mov_b32_dpp v3, v1 row_shr:8 row_mask:0xf bank_mask:0xf
	v_add_u32_e32 v3, v1, v3
	v_add_u32_e32 v4, v2, v4
	v_cndmask_b32_e32 v2, v2, v4, vcc
	v_cndmask_b32_e32 v3, v1, v3, vcc
	v_cmp_eq_u32_e32 vcc, 0, v66
	v_mov_b32_dpp v4, v2 row_bcast:15 row_mask:0xf bank_mask:0xf
	v_mov_b32_dpp v1, v3 row_bcast:15 row_mask:0xf bank_mask:0xf
	v_add_u32_e32 v5, v3, v1
	v_add_u32_e32 v1, v2, v4
	v_cndmask_b32_e32 v1, v1, v2, vcc
	v_cndmask_b32_e32 v2, v5, v3, vcc
	v_cmp_lt_u32_e32 vcc, 31, v63
	v_mov_b32_dpp v3, v1 row_bcast:31 row_mask:0xf bank_mask:0xf
	v_mov_b32_dpp v4, v2 row_bcast:31 row_mask:0xf bank_mask:0xf
	v_add_u32_e32 v3, v1, v3
	v_add_u32_e32 v4, v2, v4
	s_and_saveexec_b64 s[4:5], s[2:3]
; %bb.139:
	v_cndmask_b32_e32 v5, v2, v4, vcc
	v_cndmask_b32_e32 v6, v1, v3, vcc
	v_lshlrev_b32_e32 v7, 3, v64
	ds_write_b64 v7, v[5:6]
; %bb.140:
	s_or_b64 exec, exec, s[4:5]
	v_cmp_gt_u32_e64 s[2:3], 4, v0
	s_waitcnt lgkmcnt(0)
	s_barrier
	s_and_saveexec_b64 s[4:5], s[2:3]
	s_cbranch_execz .LBB1058_142
; %bb.141:
	v_lshlrev_b32_e32 v7, 3, v0
	ds_read_b64 v[5:6], v7
	v_and_b32_e32 v8, 3, v63
	v_cmp_eq_u32_e64 s[2:3], 0, v8
	s_waitcnt lgkmcnt(0)
	v_mov_b32_dpp v21, v5 row_shr:1 row_mask:0xf bank_mask:0xf
	v_mov_b32_dpp v22, v6 row_shr:1 row_mask:0xf bank_mask:0xf
	v_add_u32_e32 v21, v21, v5
	v_add_u32_e32 v22, v22, v6
	v_cndmask_b32_e64 v6, v22, v6, s[2:3]
	v_cndmask_b32_e64 v5, v21, v5, s[2:3]
	v_cmp_lt_u32_e64 s[2:3], 1, v8
	v_mov_b32_dpp v22, v6 row_shr:2 row_mask:0xf bank_mask:0xf
	v_mov_b32_dpp v21, v5 row_shr:2 row_mask:0xf bank_mask:0xf
	v_cndmask_b32_e64 v8, 0, v21, s[2:3]
	v_cndmask_b32_e64 v21, 0, v22, s[2:3]
	v_add_u32_e32 v6, v21, v6
	v_add_u32_e32 v5, v8, v5
	ds_write_b64 v7, v[5:6]
.LBB1058_142:
	s_or_b64 exec, exec, s[4:5]
	v_cmp_lt_u32_e64 s[2:3], 63, v0
	v_mov_b32_e32 v7, 0
	v_mov_b32_e32 v5, 0
	v_mov_b32_e32 v6, 0
	s_waitcnt lgkmcnt(0)
	s_barrier
	s_and_saveexec_b64 s[4:5], s[2:3]
; %bb.143:
	v_lshl_add_u32 v5, v64, 3, -8
	ds_read_b64 v[5:6], v5
; %bb.144:
	s_or_b64 exec, exec, s[4:5]
	v_cndmask_b32_e32 v2, v2, v4, vcc
	v_cndmask_b32_e32 v1, v1, v3, vcc
	v_subrev_co_u32_e32 v3, vcc, 1, v63
	v_and_b32_e32 v4, 64, v63
	v_cmp_lt_i32_e64 s[2:3], v3, v4
	v_cndmask_b32_e64 v3, v3, v63, s[2:3]
	s_waitcnt lgkmcnt(0)
	v_add_u32_e32 v1, v6, v1
	v_add_u32_e32 v2, v5, v2
	v_lshlrev_b32_e32 v3, 2, v3
	ds_bpermute_b32 v8, v3, v2
	ds_bpermute_b32 v21, v3, v1
	ds_read_b64 v[1:2], v7 offset:24
	v_cmp_eq_u32_e64 s[2:3], 0, v0
	s_and_saveexec_b64 s[4:5], s[2:3]
	s_cbranch_execz .LBB1058_146
; %bb.145:
	s_add_u32 s6, s12, 0x400
	s_addc_u32 s7, s13, 0
	v_mov_b32_e32 v23, s7
	v_mov_b32_e32 v3, 2
	;; [unrolled: 1-line block ×4, first 2 shown]
	s_waitcnt lgkmcnt(0)
	;;#ASMSTART
	global_store_dwordx4 v[22:23], v[1:4] off	
s_waitcnt vmcnt(0)
	;;#ASMEND
.LBB1058_146:
	s_or_b64 exec, exec, s[4:5]
	s_waitcnt lgkmcnt(2)
	v_cndmask_b32_e32 v3, v8, v5, vcc
	s_waitcnt lgkmcnt(1)
	v_cndmask_b32_e32 v4, v21, v6, vcc
	v_cndmask_b32_e64 v22, v4, 0, s[2:3]
	v_cndmask_b32_e64 v23, v3, 0, s[2:3]
	v_mov_b32_e32 v4, 0
	v_mov_b32_e32 v3, 0
	s_waitcnt lgkmcnt(0)
	s_barrier
.LBB1058_147:
	v_mov_b32_e32 v6, s49
	s_waitcnt lgkmcnt(0)
	v_add_co_u32_e32 v5, vcc, s48, v3
	v_addc_co_u32_e32 v6, vcc, 0, v6, vcc
	v_mov_b32_e32 v27, s51
	v_sub_co_u32_e32 v28, vcc, s50, v1
	v_subbrev_co_u32_e32 v69, vcc, 0, v27, vcc
	v_add_co_u32_e32 v27, vcc, v28, v4
	v_add_u32_e32 v49, v22, v49
	v_addc_co_u32_e32 v28, vcc, 0, v69, vcc
	v_lshlrev_b32_e32 v69, 1, v1
	v_sub_u32_e32 v22, v22, v4
	v_lshrrev_b32_e32 v26, 8, v37
	v_add_u32_e32 v48, v23, v48
	v_add_u32_e32 v70, v69, v2
	v_sub_u32_e32 v23, v23, v3
	v_add_u32_e32 v22, v22, v1
	v_add_u32_e32 v30, v70, v30
	v_and_b32_e32 v26, 1, v26
	v_add_u32_e32 v71, v23, v22
	v_and_b32_e32 v70, 1, v31
	v_sub_u32_e32 v71, v30, v71
	v_cmp_eq_u32_e32 vcc, 1, v26
	v_cndmask_b32_e32 v22, v71, v22, vcc
	v_cmp_eq_u32_e32 vcc, 1, v70
	v_cndmask_b32_e32 v22, v22, v23, vcc
	v_lshlrev_b32_e32 v22, 2, v22
	v_sub_u32_e32 v23, v49, v4
	v_lshrrev_b32_e32 v25, 8, v31
	ds_write_b32 v22, v19
	v_sub_u32_e32 v19, v48, v3
	v_add_u32_e32 v23, v23, v1
	v_add_u32_e32 v45, v48, v45
	v_and_b32_e32 v22, 1, v25
	v_mov_b32_e32 v25, 1
	v_add_u32_e32 v48, v23, v19
	v_and_b32_sdwa v26, v25, v37 dst_sel:DWORD dst_unused:UNUSED_PAD src0_sel:DWORD src1_sel:WORD_1
	v_sub_u32_e32 v48, v30, v48
	v_add_u32_e32 v48, 1, v48
	v_cmp_eq_u32_e32 vcc, 1, v26
	v_cndmask_b32_e32 v23, v48, v23, vcc
	v_cmp_eq_u32_e32 vcc, 1, v22
	v_add_u32_e32 v57, v49, v57
	v_cndmask_b32_e32 v19, v23, v19, vcc
	v_lshlrev_b32_e32 v19, 2, v19
	v_sub_u32_e32 v22, v57, v4
	ds_write_b32 v19, v20
	v_sub_u32_e32 v19, v45, v3
	v_add_u32_e32 v22, v22, v1
	v_add_u32_e32 v26, v22, v19
	v_and_b32_e32 v23, 1, v44
	v_sub_u32_e32 v26, v30, v26
	v_and_b32_sdwa v20, v25, v31 dst_sel:DWORD dst_unused:UNUSED_PAD src0_sel:DWORD src1_sel:WORD_1
	v_add_u32_e32 v26, 2, v26
	v_cmp_eq_u32_e32 vcc, 1, v23
	v_cndmask_b32_e32 v22, v26, v22, vcc
	v_cmp_eq_u32_e32 vcc, 1, v20
	v_add_u32_e32 v63, v57, v44
	v_cndmask_b32_e32 v19, v22, v19, vcc
	v_add_u32_e32 v50, v45, v50
	v_lshlrev_b32_e32 v19, 2, v19
	v_sub_u32_e32 v20, v63, v4
	ds_write_b32 v19, v17
	v_sub_u32_e32 v17, v50, v3
	v_add_u32_e32 v20, v20, v1
	v_add_u32_e32 v23, v17, v20
	v_and_b32_e32 v22, 1, v32
	v_sub_u32_e32 v23, v30, v23
	v_and_b32_e32 v19, 1, v43
	v_add_u32_e32 v23, 3, v23
	v_cmp_eq_u32_e32 vcc, 1, v22
	v_cndmask_b32_e32 v20, v23, v20, vcc
	v_cmp_eq_u32_e32 vcc, 1, v19
	v_add_u32_e32 v58, v63, v58
	v_cndmask_b32_e32 v17, v20, v17, vcc
	v_add_u32_e32 v64, v50, v43
	v_lshlrev_b32_e32 v17, 2, v17
	v_sub_u32_e32 v19, v58, v4
	ds_write_b32 v17, v18
	v_sub_u32_e32 v17, v64, v3
	v_add_u32_e32 v19, v19, v1
	v_lshrrev_b32_e32 v24, 8, v32
	v_add_u32_e32 v22, v17, v19
	v_and_b32_e32 v20, 1, v24
	v_sub_u32_e32 v22, v30, v22
	v_and_b32_e32 v18, 1, v33
	v_add_u32_e32 v22, 4, v22
	v_cmp_eq_u32_e32 vcc, 1, v20
	v_cndmask_b32_e32 v19, v22, v19, vcc
	v_cmp_eq_u32_e32 vcc, 1, v18
	v_add_u32_e32 v52, v58, v52
	v_cndmask_b32_e32 v17, v19, v17, vcc
	v_add_u32_e32 v51, v64, v51
	v_lshlrev_b32_e32 v17, 2, v17
	v_sub_u32_e32 v18, v52, v4
	ds_write_b32 v17, v15
	v_sub_u32_e32 v15, v51, v3
	v_add_u32_e32 v18, v18, v1
	v_add_u32_e32 v20, v15, v18
	v_lshrrev_b32_e32 v21, 8, v33
	v_and_b32_sdwa v19, v25, v32 dst_sel:DWORD dst_unused:UNUSED_PAD src0_sel:DWORD src1_sel:WORD_1
	v_sub_u32_e32 v20, v30, v20
	v_and_b32_e32 v17, 1, v21
	v_add_u32_e32 v20, 5, v20
	v_cmp_eq_u32_e32 vcc, 1, v19
	v_cndmask_b32_e32 v18, v20, v18, vcc
	v_cmp_eq_u32_e32 vcc, 1, v17
	v_add_u32_e32 v59, v52, v59
	v_cndmask_b32_e32 v15, v18, v15, vcc
	v_add_u32_e32 v46, v51, v46
	v_lshlrev_b32_e32 v15, 2, v15
	v_sub_u32_e32 v17, v59, v4
	ds_write_b32 v15, v16
	v_sub_u32_e32 v15, v46, v3
	v_add_u32_e32 v17, v17, v1
	v_add_u32_e32 v19, v15, v17
	v_and_b32_e32 v18, 1, v42
	v_sub_u32_e32 v19, v30, v19
	v_and_b32_sdwa v16, v25, v33 dst_sel:DWORD dst_unused:UNUSED_PAD src0_sel:DWORD src1_sel:WORD_1
	v_add_u32_e32 v19, 6, v19
	v_cmp_eq_u32_e32 vcc, 1, v18
	v_cndmask_b32_e32 v17, v19, v17, vcc
	v_cmp_eq_u32_e32 vcc, 1, v16
	v_add_u32_e32 v65, v59, v42
	v_cndmask_b32_e32 v15, v17, v15, vcc
	v_add_u32_e32 v53, v46, v53
	v_lshlrev_b32_e32 v15, 2, v15
	v_sub_u32_e32 v16, v65, v4
	ds_write_b32 v15, v13
	v_sub_u32_e32 v13, v53, v3
	v_add_u32_e32 v16, v16, v1
	v_add_u32_e32 v18, v13, v16
	v_and_b32_e32 v17, 1, v34
	v_sub_u32_e32 v18, v30, v18
	v_and_b32_e32 v15, 1, v41
	v_add_u32_e32 v18, 7, v18
	v_cmp_eq_u32_e32 vcc, 1, v17
	v_cndmask_b32_e32 v16, v18, v16, vcc
	v_cmp_eq_u32_e32 vcc, 1, v15
	v_add_u32_e32 v60, v65, v60
	v_cndmask_b32_e32 v13, v16, v13, vcc
	v_add_u32_e32 v66, v53, v41
	v_lshlrev_b32_e32 v13, 2, v13
	v_sub_u32_e32 v15, v60, v4
	ds_write_b32 v13, v14
	v_sub_u32_e32 v13, v66, v3
	v_add_u32_e32 v15, v15, v1
	v_lshrrev_b32_e32 v8, 8, v34
	v_add_u32_e32 v16, v13, v15
	v_and_b32_e32 v8, 1, v8
	v_sub_u32_e32 v16, v30, v16
	v_and_b32_e32 v14, 1, v36
	v_add_u32_e32 v16, 8, v16
	v_cmp_eq_u32_e32 vcc, 1, v8
	v_cndmask_b32_e32 v8, v16, v15, vcc
	v_cmp_eq_u32_e32 vcc, 1, v14
	v_cndmask_b32_e32 v8, v8, v13, vcc
	v_add_u32_e32 v55, v60, v55
	v_lshlrev_b32_e32 v8, 2, v8
	v_add_u32_e32 v54, v66, v54
	ds_write_b32 v8, v11
	v_sub_u32_e32 v11, v55, v4
	v_sub_u32_e32 v8, v54, v3
	v_add_u32_e32 v11, v11, v1
	v_add_u32_e32 v14, v8, v11
	v_lshrrev_b32_e32 v7, 8, v36
	v_and_b32_sdwa v13, v25, v34 dst_sel:DWORD dst_unused:UNUSED_PAD src0_sel:DWORD src1_sel:WORD_1
	v_sub_u32_e32 v14, v30, v14
	v_and_b32_e32 v7, 1, v7
	v_add_u32_e32 v14, 9, v14
	v_cmp_eq_u32_e32 vcc, 1, v13
	v_cndmask_b32_e32 v11, v14, v11, vcc
	v_cmp_eq_u32_e32 vcc, 1, v7
	v_add_u32_e32 v61, v55, v61
	v_cndmask_b32_e32 v7, v11, v8, vcc
	v_add_u32_e32 v47, v54, v47
	v_lshlrev_b32_e32 v7, 2, v7
	v_sub_u32_e32 v11, v61, v4
	ds_write_b32 v7, v12
	v_sub_u32_e32 v7, v47, v3
	v_add_u32_e32 v11, v11, v1
	v_add_u32_e32 v13, v7, v11
	v_and_b32_e32 v12, 1, v40
	v_sub_u32_e32 v13, v30, v13
	v_and_b32_sdwa v8, v25, v36 dst_sel:DWORD dst_unused:UNUSED_PAD src0_sel:DWORD src1_sel:WORD_1
	v_add_u32_e32 v13, 10, v13
	v_cmp_eq_u32_e32 vcc, 1, v12
	v_cndmask_b32_e32 v11, v13, v11, vcc
	v_cmp_eq_u32_e32 vcc, 1, v8
	v_cndmask_b32_e32 v7, v11, v7, vcc
	v_add_u32_e32 v67, v61, v40
	v_lshlrev_b32_e32 v7, 2, v7
	v_add_u32_e32 v56, v47, v56
	ds_write_b32 v7, v9
	v_sub_u32_e32 v9, v67, v4
	v_sub_u32_e32 v7, v56, v3
	v_add_u32_e32 v9, v9, v1
	v_add_u32_e32 v12, v7, v9
	v_and_b32_e32 v11, 1, v35
	v_sub_u32_e32 v12, v30, v12
	v_and_b32_e32 v8, 1, v39
	v_add_u32_e32 v12, 11, v12
	v_cmp_eq_u32_e32 vcc, 1, v11
	v_add_u32_e32 v62, v67, v62
	v_cndmask_b32_e32 v9, v12, v9, vcc
	v_cmp_eq_u32_e32 vcc, 1, v8
	v_add_u32_e32 v68, v56, v39
	v_cndmask_b32_e32 v7, v9, v7, vcc
	v_sub_u32_e32 v8, v62, v4
	v_lshlrev_b32_e32 v7, 2, v7
	v_sub_u32_e32 v3, v68, v3
	v_add_u32_e32 v8, v8, v1
	ds_write_b32 v7, v10
	v_add_u32_e32 v10, v3, v8
	v_and_b32_e32 v9, 1, v38
	v_sub_u32_e32 v10, v30, v10
	v_and_b32_e32 v7, 1, v37
	v_add_u32_e32 v10, 12, v10
	v_cmp_eq_u32_e32 vcc, 1, v9
	v_cndmask_b32_e32 v8, v10, v8, vcc
	v_cmp_eq_u32_e32 vcc, 1, v7
	v_cndmask_b32_e32 v3, v8, v3, vcc
	v_lshlrev_b32_e32 v3, 2, v3
	ds_write_b32 v3, v29
	v_add_co_u32_e32 v3, vcc, v2, v69
	v_addc_co_u32_e64 v7, s[2:3], 0, 0, vcc
	v_add_co_u32_e32 v3, vcc, v3, v27
	v_addc_co_u32_e32 v7, vcc, v7, v28, vcc
	s_add_u32 s4, s56, s33
	v_add_co_u32_e32 v3, vcc, v3, v5
	s_addc_u32 s5, s57, 0
	v_addc_co_u32_e32 v7, vcc, v7, v6, vcc
	v_mov_b32_e32 v8, s5
	v_sub_co_u32_e32 v3, vcc, s4, v3
	v_subb_co_u32_e32 v11, vcc, v8, v7, vcc
	v_lshlrev_b64 v[7:8], 2, v[27:28]
	v_mov_b32_e32 v9, s55
	v_add_co_u32_e32 v7, vcc, s54, v7
	v_addc_co_u32_e32 v8, vcc, v9, v8, vcc
	v_lshlrev_b64 v[9:10], 2, v[5:6]
	v_mov_b32_e32 v13, s53
	v_add_co_u32_e32 v9, vcc, s52, v9
	v_addc_co_u32_e32 v10, vcc, v13, v10, vcc
	v_add_u32_e32 v12, v1, v2
	s_and_b64 vcc, exec, s[0:1]
	s_mov_b64 s[0:1], -1
	s_waitcnt lgkmcnt(0)
	s_barrier
	s_cbranch_vccz .LBB1058_151
; %bb.148:
	s_and_b64 vcc, exec, s[0:1]
	s_cbranch_vccnz .LBB1058_256
.LBB1058_149:
	v_cmp_eq_u32_e32 vcc, 0, v0
	s_and_b64 s[0:1], vcc, s[34:35]
	s_and_saveexec_b64 s[2:3], s[0:1]
	s_cbranch_execnz .LBB1058_374
.LBB1058_150:
	s_endpgm
.LBB1058_151:
	v_cmp_ge_u32_e32 vcc, v0, v1
	s_and_saveexec_b64 s[0:1], vcc
	s_xor_b64 s[0:1], exec, s[0:1]
	s_cbranch_execz .LBB1058_157
; %bb.152:
	v_cmp_ge_u32_e32 vcc, v0, v12
	s_and_saveexec_b64 s[2:3], vcc
	s_xor_b64 s[2:3], exec, s[2:3]
	s_cbranch_execz .LBB1058_154
; %bb.153:
	v_add_co_u32_e32 v13, vcc, v3, v0
	v_lshlrev_b32_e32 v15, 2, v0
	v_addc_co_u32_e32 v14, vcc, 0, v11, vcc
	ds_read_b32 v15, v15
	v_lshlrev_b64 v[13:14], 2, v[13:14]
	v_mov_b32_e32 v16, s47
	v_sub_co_u32_e32 v13, vcc, s46, v13
	v_subb_co_u32_e32 v14, vcc, v16, v14, vcc
	s_waitcnt lgkmcnt(0)
	global_store_dword v[13:14], v15, off offset:-4
.LBB1058_154:
	s_andn2_saveexec_b64 s[2:3], s[2:3]
	s_cbranch_execz .LBB1058_156
; %bb.155:
	v_lshlrev_b32_e32 v13, 2, v0
	ds_read_b32 v14, v13
	v_readfirstlane_b32 s4, v7
	v_readfirstlane_b32 s5, v8
	s_waitcnt lgkmcnt(0)
	s_nop 3
	global_store_dword v13, v14, s[4:5]
.LBB1058_156:
	s_or_b64 exec, exec, s[2:3]
.LBB1058_157:
	s_andn2_saveexec_b64 s[0:1], s[0:1]
	s_cbranch_execz .LBB1058_159
; %bb.158:
	v_lshlrev_b32_e32 v13, 2, v0
	ds_read_b32 v14, v13
	v_readfirstlane_b32 s2, v9
	v_readfirstlane_b32 s3, v10
	s_waitcnt lgkmcnt(0)
	s_nop 3
	global_store_dword v13, v14, s[2:3]
.LBB1058_159:
	s_or_b64 exec, exec, s[0:1]
	v_or_b32_e32 v13, 0x100, v0
	v_cmp_ge_u32_e32 vcc, v13, v1
	s_and_saveexec_b64 s[0:1], vcc
	s_xor_b64 s[0:1], exec, s[0:1]
	s_cbranch_execz .LBB1058_165
; %bb.160:
	v_cmp_ge_u32_e32 vcc, v13, v12
	s_and_saveexec_b64 s[2:3], vcc
	s_xor_b64 s[2:3], exec, s[2:3]
	s_cbranch_execz .LBB1058_162
; %bb.161:
	v_lshlrev_b32_e32 v13, 2, v0
	ds_read_b32 v15, v13 offset:1024
	v_add_co_u32_e32 v13, vcc, v3, v0
	v_addc_co_u32_e32 v14, vcc, 0, v11, vcc
	v_lshlrev_b64 v[13:14], 2, v[13:14]
	v_mov_b32_e32 v16, s47
	v_sub_co_u32_e32 v13, vcc, s46, v13
	v_subb_co_u32_e32 v14, vcc, v16, v14, vcc
	s_waitcnt lgkmcnt(0)
	global_store_dword v[13:14], v15, off offset:-1028
.LBB1058_162:
	s_andn2_saveexec_b64 s[2:3], s[2:3]
	s_cbranch_execz .LBB1058_164
; %bb.163:
	v_lshlrev_b32_e32 v13, 2, v0
	ds_read_b32 v14, v13 offset:1024
	v_readfirstlane_b32 s4, v7
	v_readfirstlane_b32 s5, v8
	s_waitcnt lgkmcnt(0)
	s_nop 3
	global_store_dword v13, v14, s[4:5] offset:1024
.LBB1058_164:
	s_or_b64 exec, exec, s[2:3]
.LBB1058_165:
	s_andn2_saveexec_b64 s[0:1], s[0:1]
	s_cbranch_execz .LBB1058_167
; %bb.166:
	v_lshlrev_b32_e32 v13, 2, v0
	ds_read_b32 v14, v13 offset:1024
	v_readfirstlane_b32 s2, v9
	v_readfirstlane_b32 s3, v10
	s_waitcnt lgkmcnt(0)
	s_nop 3
	global_store_dword v13, v14, s[2:3] offset:1024
.LBB1058_167:
	s_or_b64 exec, exec, s[0:1]
	v_or_b32_e32 v13, 0x200, v0
	v_cmp_ge_u32_e32 vcc, v13, v1
	s_and_saveexec_b64 s[0:1], vcc
	s_xor_b64 s[0:1], exec, s[0:1]
	s_cbranch_execz .LBB1058_173
; %bb.168:
	v_cmp_ge_u32_e32 vcc, v13, v12
	s_and_saveexec_b64 s[2:3], vcc
	s_xor_b64 s[2:3], exec, s[2:3]
	s_cbranch_execz .LBB1058_170
; %bb.169:
	v_lshlrev_b32_e32 v13, 2, v0
	ds_read_b32 v15, v13 offset:2048
	v_add_co_u32_e32 v13, vcc, v3, v0
	v_addc_co_u32_e32 v14, vcc, 0, v11, vcc
	v_lshlrev_b64 v[13:14], 2, v[13:14]
	v_mov_b32_e32 v16, s47
	v_sub_co_u32_e32 v13, vcc, s46, v13
	v_subb_co_u32_e32 v14, vcc, v16, v14, vcc
	s_waitcnt lgkmcnt(0)
	global_store_dword v[13:14], v15, off offset:-2052
.LBB1058_170:
	s_andn2_saveexec_b64 s[2:3], s[2:3]
	s_cbranch_execz .LBB1058_172
; %bb.171:
	v_lshlrev_b32_e32 v13, 2, v0
	ds_read_b32 v14, v13 offset:2048
	v_readfirstlane_b32 s4, v7
	v_readfirstlane_b32 s5, v8
	s_waitcnt lgkmcnt(0)
	s_nop 3
	global_store_dword v13, v14, s[4:5] offset:2048
.LBB1058_172:
	s_or_b64 exec, exec, s[2:3]
.LBB1058_173:
	s_andn2_saveexec_b64 s[0:1], s[0:1]
	s_cbranch_execz .LBB1058_175
; %bb.174:
	v_lshlrev_b32_e32 v13, 2, v0
	ds_read_b32 v14, v13 offset:2048
	v_readfirstlane_b32 s2, v9
	v_readfirstlane_b32 s3, v10
	s_waitcnt lgkmcnt(0)
	s_nop 3
	global_store_dword v13, v14, s[2:3] offset:2048
.LBB1058_175:
	;; [unrolled: 47-line block ×3, first 2 shown]
	s_or_b64 exec, exec, s[0:1]
	v_or_b32_e32 v13, 0x400, v0
	v_cmp_ge_u32_e32 vcc, v13, v1
	s_and_saveexec_b64 s[0:1], vcc
	s_xor_b64 s[0:1], exec, s[0:1]
	s_cbranch_execz .LBB1058_189
; %bb.184:
	v_cmp_ge_u32_e32 vcc, v13, v12
	s_and_saveexec_b64 s[2:3], vcc
	s_xor_b64 s[2:3], exec, s[2:3]
	s_cbranch_execz .LBB1058_186
; %bb.185:
	v_lshlrev_b32_e32 v13, 2, v0
	ds_read_b32 v15, v13 offset:4096
	v_add_co_u32_e32 v13, vcc, v3, v0
	v_addc_co_u32_e32 v14, vcc, 0, v11, vcc
	v_lshlrev_b64 v[13:14], 2, v[13:14]
	v_mov_b32_e32 v16, s47
	v_sub_co_u32_e32 v13, vcc, s46, v13
	v_subb_co_u32_e32 v14, vcc, v16, v14, vcc
	v_add_co_u32_e32 v13, vcc, 0xfffff000, v13
	v_addc_co_u32_e32 v14, vcc, -1, v14, vcc
	s_waitcnt lgkmcnt(0)
	global_store_dword v[13:14], v15, off offset:-4
                                        ; implicit-def: $vgpr13
.LBB1058_186:
	s_andn2_saveexec_b64 s[2:3], s[2:3]
	s_cbranch_execz .LBB1058_188
; %bb.187:
	v_lshlrev_b32_e32 v14, 2, v0
	ds_read_b32 v14, v14 offset:4096
	v_lshlrev_b32_e32 v13, 2, v13
	v_readfirstlane_b32 s4, v7
	v_readfirstlane_b32 s5, v8
	s_waitcnt lgkmcnt(0)
	s_nop 3
	global_store_dword v13, v14, s[4:5]
.LBB1058_188:
	s_or_b64 exec, exec, s[2:3]
                                        ; implicit-def: $vgpr13
.LBB1058_189:
	s_andn2_saveexec_b64 s[0:1], s[0:1]
	s_cbranch_execz .LBB1058_191
; %bb.190:
	v_lshlrev_b32_e32 v14, 2, v0
	ds_read_b32 v14, v14 offset:4096
	v_lshlrev_b32_e32 v13, 2, v13
	v_readfirstlane_b32 s2, v9
	v_readfirstlane_b32 s3, v10
	s_waitcnt lgkmcnt(0)
	s_nop 3
	global_store_dword v13, v14, s[2:3]
.LBB1058_191:
	s_or_b64 exec, exec, s[0:1]
	v_or_b32_e32 v13, 0x500, v0
	v_cmp_ge_u32_e32 vcc, v13, v1
	s_and_saveexec_b64 s[0:1], vcc
	s_xor_b64 s[0:1], exec, s[0:1]
	s_cbranch_execz .LBB1058_197
; %bb.192:
	v_cmp_ge_u32_e32 vcc, v13, v12
	s_and_saveexec_b64 s[2:3], vcc
	s_xor_b64 s[2:3], exec, s[2:3]
	s_cbranch_execz .LBB1058_194
; %bb.193:
	v_add_co_u32_e32 v13, vcc, v3, v13
	v_lshlrev_b32_e32 v15, 2, v0
	v_addc_co_u32_e32 v14, vcc, 0, v11, vcc
	ds_read_b32 v15, v15 offset:5120
	v_lshlrev_b64 v[13:14], 2, v[13:14]
	v_mov_b32_e32 v16, s47
	v_sub_co_u32_e32 v13, vcc, s46, v13
	v_subb_co_u32_e32 v14, vcc, v16, v14, vcc
	s_waitcnt lgkmcnt(0)
	global_store_dword v[13:14], v15, off offset:-4
                                        ; implicit-def: $vgpr13
.LBB1058_194:
	s_andn2_saveexec_b64 s[2:3], s[2:3]
	s_cbranch_execz .LBB1058_196
; %bb.195:
	v_lshlrev_b32_e32 v14, 2, v0
	ds_read_b32 v14, v14 offset:5120
	v_lshlrev_b32_e32 v13, 2, v13
	v_readfirstlane_b32 s4, v7
	v_readfirstlane_b32 s5, v8
	s_waitcnt lgkmcnt(0)
	s_nop 3
	global_store_dword v13, v14, s[4:5]
.LBB1058_196:
	s_or_b64 exec, exec, s[2:3]
                                        ; implicit-def: $vgpr13
.LBB1058_197:
	s_andn2_saveexec_b64 s[0:1], s[0:1]
	s_cbranch_execz .LBB1058_199
; %bb.198:
	v_lshlrev_b32_e32 v14, 2, v0
	ds_read_b32 v14, v14 offset:5120
	v_lshlrev_b32_e32 v13, 2, v13
	v_readfirstlane_b32 s2, v9
	v_readfirstlane_b32 s3, v10
	s_waitcnt lgkmcnt(0)
	s_nop 3
	global_store_dword v13, v14, s[2:3]
.LBB1058_199:
	s_or_b64 exec, exec, s[0:1]
	v_or_b32_e32 v13, 0x600, v0
	v_cmp_ge_u32_e32 vcc, v13, v1
	s_and_saveexec_b64 s[0:1], vcc
	s_xor_b64 s[0:1], exec, s[0:1]
	s_cbranch_execz .LBB1058_205
; %bb.200:
	v_cmp_ge_u32_e32 vcc, v13, v12
	s_and_saveexec_b64 s[2:3], vcc
	s_xor_b64 s[2:3], exec, s[2:3]
	s_cbranch_execz .LBB1058_202
; %bb.201:
	v_add_co_u32_e32 v13, vcc, v3, v13
	v_lshlrev_b32_e32 v15, 2, v0
	v_addc_co_u32_e32 v14, vcc, 0, v11, vcc
	ds_read_b32 v15, v15 offset:6144
	v_lshlrev_b64 v[13:14], 2, v[13:14]
	v_mov_b32_e32 v16, s47
	v_sub_co_u32_e32 v13, vcc, s46, v13
	v_subb_co_u32_e32 v14, vcc, v16, v14, vcc
	s_waitcnt lgkmcnt(0)
	global_store_dword v[13:14], v15, off offset:-4
                                        ; implicit-def: $vgpr13
.LBB1058_202:
	s_andn2_saveexec_b64 s[2:3], s[2:3]
	s_cbranch_execz .LBB1058_204
; %bb.203:
	v_lshlrev_b32_e32 v14, 2, v0
	ds_read_b32 v14, v14 offset:6144
	v_lshlrev_b32_e32 v13, 2, v13
	v_readfirstlane_b32 s4, v7
	v_readfirstlane_b32 s5, v8
	s_waitcnt lgkmcnt(0)
	s_nop 3
	global_store_dword v13, v14, s[4:5]
.LBB1058_204:
	s_or_b64 exec, exec, s[2:3]
                                        ; implicit-def: $vgpr13
.LBB1058_205:
	;; [unrolled: 51-line block ×8, first 2 shown]
	s_andn2_saveexec_b64 s[0:1], s[0:1]
	s_cbranch_execz .LBB1058_255
; %bb.254:
	v_lshlrev_b32_e32 v14, 2, v0
	ds_read_b32 v14, v14 offset:12288
	v_lshlrev_b32_e32 v13, 2, v13
	v_readfirstlane_b32 s2, v9
	v_readfirstlane_b32 s3, v10
	s_waitcnt lgkmcnt(0)
	s_nop 3
	global_store_dword v13, v14, s[2:3]
.LBB1058_255:
	s_or_b64 exec, exec, s[0:1]
	s_branch .LBB1058_149
.LBB1058_256:
	v_cmp_gt_u32_e32 vcc, s18, v0
	s_and_saveexec_b64 s[0:1], vcc
	s_cbranch_execz .LBB1058_265
; %bb.257:
	v_cmp_ge_u32_e32 vcc, v0, v1
	s_and_saveexec_b64 s[2:3], vcc
	s_xor_b64 s[2:3], exec, s[2:3]
	s_cbranch_execz .LBB1058_263
; %bb.258:
	v_cmp_ge_u32_e32 vcc, v0, v12
	s_and_saveexec_b64 s[4:5], vcc
	s_xor_b64 s[4:5], exec, s[4:5]
	s_cbranch_execz .LBB1058_260
; %bb.259:
	v_add_co_u32_e32 v13, vcc, v3, v0
	v_lshlrev_b32_e32 v15, 2, v0
	v_addc_co_u32_e32 v14, vcc, 0, v11, vcc
	ds_read_b32 v15, v15
	v_lshlrev_b64 v[13:14], 2, v[13:14]
	v_mov_b32_e32 v16, s47
	v_sub_co_u32_e32 v13, vcc, s46, v13
	v_subb_co_u32_e32 v14, vcc, v16, v14, vcc
	s_waitcnt lgkmcnt(0)
	global_store_dword v[13:14], v15, off offset:-4
.LBB1058_260:
	s_andn2_saveexec_b64 s[4:5], s[4:5]
	s_cbranch_execz .LBB1058_262
; %bb.261:
	v_lshlrev_b32_e32 v13, 2, v0
	ds_read_b32 v14, v13
	v_readfirstlane_b32 s6, v7
	v_readfirstlane_b32 s7, v8
	s_waitcnt lgkmcnt(0)
	s_nop 3
	global_store_dword v13, v14, s[6:7]
.LBB1058_262:
	s_or_b64 exec, exec, s[4:5]
.LBB1058_263:
	s_andn2_saveexec_b64 s[2:3], s[2:3]
	s_cbranch_execz .LBB1058_265
; %bb.264:
	v_lshlrev_b32_e32 v13, 2, v0
	ds_read_b32 v14, v13
	v_readfirstlane_b32 s2, v9
	v_readfirstlane_b32 s3, v10
	s_waitcnt lgkmcnt(0)
	s_nop 3
	global_store_dword v13, v14, s[2:3]
.LBB1058_265:
	s_or_b64 exec, exec, s[0:1]
	v_or_b32_e32 v13, 0x100, v0
	v_cmp_gt_u32_e32 vcc, s18, v13
	s_and_saveexec_b64 s[0:1], vcc
	s_cbranch_execz .LBB1058_274
; %bb.266:
	v_cmp_ge_u32_e32 vcc, v13, v1
	s_and_saveexec_b64 s[2:3], vcc
	s_xor_b64 s[2:3], exec, s[2:3]
	s_cbranch_execz .LBB1058_272
; %bb.267:
	v_cmp_ge_u32_e32 vcc, v13, v12
	s_and_saveexec_b64 s[4:5], vcc
	s_xor_b64 s[4:5], exec, s[4:5]
	s_cbranch_execz .LBB1058_269
; %bb.268:
	v_lshlrev_b32_e32 v13, 2, v0
	ds_read_b32 v15, v13 offset:1024
	v_add_co_u32_e32 v13, vcc, v3, v0
	v_addc_co_u32_e32 v14, vcc, 0, v11, vcc
	v_lshlrev_b64 v[13:14], 2, v[13:14]
	v_mov_b32_e32 v16, s47
	v_sub_co_u32_e32 v13, vcc, s46, v13
	v_subb_co_u32_e32 v14, vcc, v16, v14, vcc
	s_waitcnt lgkmcnt(0)
	global_store_dword v[13:14], v15, off offset:-1028
.LBB1058_269:
	s_andn2_saveexec_b64 s[4:5], s[4:5]
	s_cbranch_execz .LBB1058_271
; %bb.270:
	v_lshlrev_b32_e32 v13, 2, v0
	ds_read_b32 v14, v13 offset:1024
	v_readfirstlane_b32 s6, v7
	v_readfirstlane_b32 s7, v8
	s_waitcnt lgkmcnt(0)
	s_nop 3
	global_store_dword v13, v14, s[6:7] offset:1024
.LBB1058_271:
	s_or_b64 exec, exec, s[4:5]
.LBB1058_272:
	s_andn2_saveexec_b64 s[2:3], s[2:3]
	s_cbranch_execz .LBB1058_274
; %bb.273:
	v_lshlrev_b32_e32 v13, 2, v0
	ds_read_b32 v14, v13 offset:1024
	v_readfirstlane_b32 s2, v9
	v_readfirstlane_b32 s3, v10
	s_waitcnt lgkmcnt(0)
	s_nop 3
	global_store_dword v13, v14, s[2:3] offset:1024
.LBB1058_274:
	s_or_b64 exec, exec, s[0:1]
	v_or_b32_e32 v13, 0x200, v0
	v_cmp_gt_u32_e32 vcc, s18, v13
	s_and_saveexec_b64 s[0:1], vcc
	s_cbranch_execz .LBB1058_283
; %bb.275:
	v_cmp_ge_u32_e32 vcc, v13, v1
	s_and_saveexec_b64 s[2:3], vcc
	s_xor_b64 s[2:3], exec, s[2:3]
	s_cbranch_execz .LBB1058_281
; %bb.276:
	v_cmp_ge_u32_e32 vcc, v13, v12
	s_and_saveexec_b64 s[4:5], vcc
	s_xor_b64 s[4:5], exec, s[4:5]
	s_cbranch_execz .LBB1058_278
; %bb.277:
	v_lshlrev_b32_e32 v13, 2, v0
	ds_read_b32 v15, v13 offset:2048
	v_add_co_u32_e32 v13, vcc, v3, v0
	v_addc_co_u32_e32 v14, vcc, 0, v11, vcc
	v_lshlrev_b64 v[13:14], 2, v[13:14]
	v_mov_b32_e32 v16, s47
	v_sub_co_u32_e32 v13, vcc, s46, v13
	v_subb_co_u32_e32 v14, vcc, v16, v14, vcc
	s_waitcnt lgkmcnt(0)
	global_store_dword v[13:14], v15, off offset:-2052
.LBB1058_278:
	s_andn2_saveexec_b64 s[4:5], s[4:5]
	s_cbranch_execz .LBB1058_280
; %bb.279:
	v_lshlrev_b32_e32 v13, 2, v0
	ds_read_b32 v14, v13 offset:2048
	v_readfirstlane_b32 s6, v7
	v_readfirstlane_b32 s7, v8
	s_waitcnt lgkmcnt(0)
	s_nop 3
	global_store_dword v13, v14, s[6:7] offset:2048
.LBB1058_280:
	s_or_b64 exec, exec, s[4:5]
.LBB1058_281:
	s_andn2_saveexec_b64 s[2:3], s[2:3]
	s_cbranch_execz .LBB1058_283
; %bb.282:
	v_lshlrev_b32_e32 v13, 2, v0
	ds_read_b32 v14, v13 offset:2048
	v_readfirstlane_b32 s2, v9
	v_readfirstlane_b32 s3, v10
	s_waitcnt lgkmcnt(0)
	s_nop 3
	global_store_dword v13, v14, s[2:3] offset:2048
.LBB1058_283:
	;; [unrolled: 51-line block ×3, first 2 shown]
	s_or_b64 exec, exec, s[0:1]
	v_or_b32_e32 v13, 0x400, v0
	v_cmp_gt_u32_e32 vcc, s18, v13
	s_and_saveexec_b64 s[0:1], vcc
	s_cbranch_execz .LBB1058_301
; %bb.293:
	v_cmp_ge_u32_e32 vcc, v13, v1
	s_and_saveexec_b64 s[2:3], vcc
	s_xor_b64 s[2:3], exec, s[2:3]
	s_cbranch_execz .LBB1058_299
; %bb.294:
	v_cmp_ge_u32_e32 vcc, v13, v12
	s_and_saveexec_b64 s[4:5], vcc
	s_xor_b64 s[4:5], exec, s[4:5]
	s_cbranch_execz .LBB1058_296
; %bb.295:
	v_lshlrev_b32_e32 v13, 2, v0
	ds_read_b32 v15, v13 offset:4096
	v_add_co_u32_e32 v13, vcc, v3, v0
	v_addc_co_u32_e32 v14, vcc, 0, v11, vcc
	v_lshlrev_b64 v[13:14], 2, v[13:14]
	v_mov_b32_e32 v16, s47
	v_sub_co_u32_e32 v13, vcc, s46, v13
	v_subb_co_u32_e32 v14, vcc, v16, v14, vcc
	v_add_co_u32_e32 v13, vcc, 0xfffff000, v13
	v_addc_co_u32_e32 v14, vcc, -1, v14, vcc
	s_waitcnt lgkmcnt(0)
	global_store_dword v[13:14], v15, off offset:-4
                                        ; implicit-def: $vgpr13
.LBB1058_296:
	s_andn2_saveexec_b64 s[4:5], s[4:5]
	s_cbranch_execz .LBB1058_298
; %bb.297:
	v_lshlrev_b32_e32 v14, 2, v0
	ds_read_b32 v14, v14 offset:4096
	v_lshlrev_b32_e32 v13, 2, v13
	v_readfirstlane_b32 s6, v7
	v_readfirstlane_b32 s7, v8
	s_waitcnt lgkmcnt(0)
	s_nop 3
	global_store_dword v13, v14, s[6:7]
.LBB1058_298:
	s_or_b64 exec, exec, s[4:5]
                                        ; implicit-def: $vgpr13
.LBB1058_299:
	s_andn2_saveexec_b64 s[2:3], s[2:3]
	s_cbranch_execz .LBB1058_301
; %bb.300:
	v_lshlrev_b32_e32 v14, 2, v0
	ds_read_b32 v14, v14 offset:4096
	v_lshlrev_b32_e32 v13, 2, v13
	v_readfirstlane_b32 s2, v9
	v_readfirstlane_b32 s3, v10
	s_waitcnt lgkmcnt(0)
	s_nop 3
	global_store_dword v13, v14, s[2:3]
.LBB1058_301:
	s_or_b64 exec, exec, s[0:1]
	v_or_b32_e32 v13, 0x500, v0
	v_cmp_gt_u32_e32 vcc, s18, v13
	s_and_saveexec_b64 s[0:1], vcc
	s_cbranch_execz .LBB1058_310
; %bb.302:
	v_cmp_ge_u32_e32 vcc, v13, v1
	s_and_saveexec_b64 s[2:3], vcc
	s_xor_b64 s[2:3], exec, s[2:3]
	s_cbranch_execz .LBB1058_308
; %bb.303:
	v_cmp_ge_u32_e32 vcc, v13, v12
	s_and_saveexec_b64 s[4:5], vcc
	s_xor_b64 s[4:5], exec, s[4:5]
	s_cbranch_execz .LBB1058_305
; %bb.304:
	v_add_co_u32_e32 v13, vcc, v3, v13
	v_lshlrev_b32_e32 v15, 2, v0
	v_addc_co_u32_e32 v14, vcc, 0, v11, vcc
	ds_read_b32 v15, v15 offset:5120
	v_lshlrev_b64 v[13:14], 2, v[13:14]
	v_mov_b32_e32 v16, s47
	v_sub_co_u32_e32 v13, vcc, s46, v13
	v_subb_co_u32_e32 v14, vcc, v16, v14, vcc
	s_waitcnt lgkmcnt(0)
	global_store_dword v[13:14], v15, off offset:-4
                                        ; implicit-def: $vgpr13
.LBB1058_305:
	s_andn2_saveexec_b64 s[4:5], s[4:5]
	s_cbranch_execz .LBB1058_307
; %bb.306:
	v_lshlrev_b32_e32 v14, 2, v0
	ds_read_b32 v14, v14 offset:5120
	v_lshlrev_b32_e32 v13, 2, v13
	v_readfirstlane_b32 s6, v7
	v_readfirstlane_b32 s7, v8
	s_waitcnt lgkmcnt(0)
	s_nop 3
	global_store_dword v13, v14, s[6:7]
.LBB1058_307:
	s_or_b64 exec, exec, s[4:5]
                                        ; implicit-def: $vgpr13
.LBB1058_308:
	s_andn2_saveexec_b64 s[2:3], s[2:3]
	s_cbranch_execz .LBB1058_310
; %bb.309:
	v_lshlrev_b32_e32 v14, 2, v0
	ds_read_b32 v14, v14 offset:5120
	v_lshlrev_b32_e32 v13, 2, v13
	v_readfirstlane_b32 s2, v9
	v_readfirstlane_b32 s3, v10
	s_waitcnt lgkmcnt(0)
	s_nop 3
	global_store_dword v13, v14, s[2:3]
.LBB1058_310:
	s_or_b64 exec, exec, s[0:1]
	v_or_b32_e32 v13, 0x600, v0
	v_cmp_gt_u32_e32 vcc, s18, v13
	s_and_saveexec_b64 s[0:1], vcc
	s_cbranch_execz .LBB1058_319
; %bb.311:
	v_cmp_ge_u32_e32 vcc, v13, v1
	s_and_saveexec_b64 s[2:3], vcc
	s_xor_b64 s[2:3], exec, s[2:3]
	s_cbranch_execz .LBB1058_317
; %bb.312:
	v_cmp_ge_u32_e32 vcc, v13, v12
	s_and_saveexec_b64 s[4:5], vcc
	s_xor_b64 s[4:5], exec, s[4:5]
	s_cbranch_execz .LBB1058_314
; %bb.313:
	v_add_co_u32_e32 v13, vcc, v3, v13
	v_lshlrev_b32_e32 v15, 2, v0
	v_addc_co_u32_e32 v14, vcc, 0, v11, vcc
	ds_read_b32 v15, v15 offset:6144
	v_lshlrev_b64 v[13:14], 2, v[13:14]
	v_mov_b32_e32 v16, s47
	v_sub_co_u32_e32 v13, vcc, s46, v13
	v_subb_co_u32_e32 v14, vcc, v16, v14, vcc
	s_waitcnt lgkmcnt(0)
	global_store_dword v[13:14], v15, off offset:-4
                                        ; implicit-def: $vgpr13
.LBB1058_314:
	s_andn2_saveexec_b64 s[4:5], s[4:5]
	s_cbranch_execz .LBB1058_316
; %bb.315:
	v_lshlrev_b32_e32 v14, 2, v0
	ds_read_b32 v14, v14 offset:6144
	v_lshlrev_b32_e32 v13, 2, v13
	v_readfirstlane_b32 s6, v7
	v_readfirstlane_b32 s7, v8
	s_waitcnt lgkmcnt(0)
	s_nop 3
	global_store_dword v13, v14, s[6:7]
.LBB1058_316:
	s_or_b64 exec, exec, s[4:5]
                                        ; implicit-def: $vgpr13
.LBB1058_317:
	s_andn2_saveexec_b64 s[2:3], s[2:3]
	s_cbranch_execz .LBB1058_319
; %bb.318:
	v_lshlrev_b32_e32 v14, 2, v0
	ds_read_b32 v14, v14 offset:6144
	v_lshlrev_b32_e32 v13, 2, v13
	v_readfirstlane_b32 s2, v9
	v_readfirstlane_b32 s3, v10
	s_waitcnt lgkmcnt(0)
	s_nop 3
	global_store_dword v13, v14, s[2:3]
.LBB1058_319:
	;; [unrolled: 55-line block ×7, first 2 shown]
	s_or_b64 exec, exec, s[0:1]
	v_or_b32_e32 v13, 0xc00, v0
	v_cmp_gt_u32_e32 vcc, s18, v13
	s_and_saveexec_b64 s[0:1], vcc
	s_cbranch_execz .LBB1058_373
; %bb.365:
	v_cmp_ge_u32_e32 vcc, v13, v1
	s_and_saveexec_b64 s[2:3], vcc
	s_xor_b64 s[2:3], exec, s[2:3]
	s_cbranch_execz .LBB1058_371
; %bb.366:
	v_cmp_ge_u32_e32 vcc, v13, v12
	s_and_saveexec_b64 s[4:5], vcc
	s_xor_b64 s[4:5], exec, s[4:5]
	s_cbranch_execz .LBB1058_368
; %bb.367:
	v_add_co_u32_e32 v7, vcc, v3, v13
	v_lshlrev_b32_e32 v3, 2, v0
	v_addc_co_u32_e32 v8, vcc, 0, v11, vcc
	ds_read_b32 v3, v3 offset:12288
	v_lshlrev_b64 v[7:8], 2, v[7:8]
	v_mov_b32_e32 v9, s47
	v_sub_co_u32_e32 v7, vcc, s46, v7
	v_subb_co_u32_e32 v8, vcc, v9, v8, vcc
	s_waitcnt lgkmcnt(0)
	global_store_dword v[7:8], v3, off offset:-4
                                        ; implicit-def: $vgpr13
                                        ; implicit-def: $vgpr7_vgpr8
.LBB1058_368:
	s_andn2_saveexec_b64 s[4:5], s[4:5]
	s_cbranch_execz .LBB1058_370
; %bb.369:
	v_lshlrev_b32_e32 v3, 2, v0
	ds_read_b32 v3, v3 offset:12288
	v_lshlrev_b32_e32 v9, 2, v13
	v_readfirstlane_b32 s6, v7
	v_readfirstlane_b32 s7, v8
	s_waitcnt lgkmcnt(0)
	s_nop 3
	global_store_dword v9, v3, s[6:7]
.LBB1058_370:
	s_or_b64 exec, exec, s[4:5]
                                        ; implicit-def: $vgpr13
                                        ; implicit-def: $vgpr9_vgpr10
.LBB1058_371:
	s_andn2_saveexec_b64 s[2:3], s[2:3]
	s_cbranch_execz .LBB1058_373
; %bb.372:
	v_lshlrev_b32_e32 v3, 2, v0
	ds_read_b32 v3, v3 offset:12288
	v_lshlrev_b32_e32 v7, 2, v13
	v_readfirstlane_b32 s2, v9
	v_readfirstlane_b32 s3, v10
	s_waitcnt lgkmcnt(0)
	s_nop 3
	global_store_dword v7, v3, s[2:3]
.LBB1058_373:
	s_or_b64 exec, exec, s[0:1]
	v_cmp_eq_u32_e32 vcc, 0, v0
	s_and_b64 s[0:1], vcc, s[34:35]
	s_and_saveexec_b64 s[2:3], s[0:1]
	s_cbranch_execz .LBB1058_150
.LBB1058_374:
	v_mov_b32_e32 v0, s51
	v_add_co_u32_e32 v2, vcc, s50, v2
	v_addc_co_u32_e32 v0, vcc, 0, v0, vcc
	v_add_co_u32_e32 v2, vcc, v2, v4
	v_addc_co_u32_e32 v3, vcc, 0, v0, vcc
	v_add_co_u32_e32 v0, vcc, v5, v1
	v_mov_b32_e32 v7, 0
	v_addc_co_u32_e32 v1, vcc, 0, v6, vcc
	global_store_dwordx4 v7, v[0:3], s[44:45]
	s_endpgm
.LBB1058_375:
	s_add_i32 s6, s6, 64
	s_mov_b32 s7, 0
	s_lshl_b64 s[6:7], s[6:7], 4
	s_add_u32 s6, s12, s6
	s_addc_u32 s7, s13, s7
	v_mov_b32_e32 v24, s7
	v_add_u32_e32 v6, v4, v2
	v_add_u32_e32 v5, v3, v1
	v_mov_b32_e32 v7, 2
	v_mov_b32_e32 v8, 0
	;; [unrolled: 1-line block ×3, first 2 shown]
	;;#ASMSTART
	global_store_dwordx4 v[23:24], v[5:8] off	
s_waitcnt vmcnt(0)
	;;#ASMEND
	s_or_b64 exec, exec, s[14:15]
	s_and_saveexec_b64 s[6:7], s[8:9]
	s_cbranch_execz .LBB1058_135
.LBB1058_376:
	v_mov_b32_e32 v5, 0
	ds_write_b128 v5, v[1:4] offset:13312
	s_or_b64 exec, exec, s[6:7]
	v_cmp_eq_u32_e32 vcc, 0, v0
	s_and_b64 exec, exec, vcc
	s_cbranch_execnz .LBB1058_136
	s_branch .LBB1058_137
	.section	.rodata,"a",@progbits
	.p2align	6, 0x0
	.amdhsa_kernel _ZN7rocprim17ROCPRIM_400000_NS6detail17trampoline_kernelINS0_13select_configILj256ELj13ELNS0_17block_load_methodE3ELS4_3ELS4_3ELNS0_20block_scan_algorithmE0ELj4294967295EEENS1_25partition_config_selectorILNS1_17partition_subalgoE4EjNS0_10empty_typeEbEEZZNS1_14partition_implILS8_4ELb0ES6_15HIP_vector_typeIjLj2EENS0_17counting_iteratorIjlEEPS9_SG_NS0_5tupleIJPjSI_NS0_16reverse_iteratorISI_EEEEENSH_IJSG_SG_SG_EEES9_SI_JZNS1_25segmented_radix_sort_implINS0_14default_configELb1EPKdPdPKlPlN2at6native12_GLOBAL__N_18offset_tEEE10hipError_tPvRmT1_PNSt15iterator_traitsIS12_E10value_typeET2_T3_PNS13_IS18_E10value_typeET4_jRbjT5_S1E_jjP12ihipStream_tbEUljE_ZNSN_ISO_Lb1ESQ_SR_ST_SU_SY_EESZ_S10_S11_S12_S16_S17_S18_S1B_S1C_jS1D_jS1E_S1E_jjS1G_bEUljE0_EEESZ_S10_S11_S18_S1C_S1E_T6_T7_T9_mT8_S1G_bDpT10_ENKUlT_T0_E_clISt17integral_constantIbLb0EES1U_EEDaS1P_S1Q_EUlS1P_E_NS1_11comp_targetILNS1_3genE2ELNS1_11target_archE906ELNS1_3gpuE6ELNS1_3repE0EEENS1_30default_config_static_selectorELNS0_4arch9wavefront6targetE1EEEvS12_
		.amdhsa_group_segment_fixed_size 13328
		.amdhsa_private_segment_fixed_size 0
		.amdhsa_kernarg_size 176
		.amdhsa_user_sgpr_count 6
		.amdhsa_user_sgpr_private_segment_buffer 1
		.amdhsa_user_sgpr_dispatch_ptr 0
		.amdhsa_user_sgpr_queue_ptr 0
		.amdhsa_user_sgpr_kernarg_segment_ptr 1
		.amdhsa_user_sgpr_dispatch_id 0
		.amdhsa_user_sgpr_flat_scratch_init 0
		.amdhsa_user_sgpr_private_segment_size 0
		.amdhsa_uses_dynamic_stack 0
		.amdhsa_system_sgpr_private_segment_wavefront_offset 0
		.amdhsa_system_sgpr_workgroup_id_x 1
		.amdhsa_system_sgpr_workgroup_id_y 0
		.amdhsa_system_sgpr_workgroup_id_z 0
		.amdhsa_system_sgpr_workgroup_info 0
		.amdhsa_system_vgpr_workitem_id 0
		.amdhsa_next_free_vgpr 86
		.amdhsa_next_free_sgpr 98
		.amdhsa_reserve_vcc 1
		.amdhsa_reserve_flat_scratch 0
		.amdhsa_float_round_mode_32 0
		.amdhsa_float_round_mode_16_64 0
		.amdhsa_float_denorm_mode_32 3
		.amdhsa_float_denorm_mode_16_64 3
		.amdhsa_dx10_clamp 1
		.amdhsa_ieee_mode 1
		.amdhsa_fp16_overflow 0
		.amdhsa_exception_fp_ieee_invalid_op 0
		.amdhsa_exception_fp_denorm_src 0
		.amdhsa_exception_fp_ieee_div_zero 0
		.amdhsa_exception_fp_ieee_overflow 0
		.amdhsa_exception_fp_ieee_underflow 0
		.amdhsa_exception_fp_ieee_inexact 0
		.amdhsa_exception_int_div_zero 0
	.end_amdhsa_kernel
	.section	.text._ZN7rocprim17ROCPRIM_400000_NS6detail17trampoline_kernelINS0_13select_configILj256ELj13ELNS0_17block_load_methodE3ELS4_3ELS4_3ELNS0_20block_scan_algorithmE0ELj4294967295EEENS1_25partition_config_selectorILNS1_17partition_subalgoE4EjNS0_10empty_typeEbEEZZNS1_14partition_implILS8_4ELb0ES6_15HIP_vector_typeIjLj2EENS0_17counting_iteratorIjlEEPS9_SG_NS0_5tupleIJPjSI_NS0_16reverse_iteratorISI_EEEEENSH_IJSG_SG_SG_EEES9_SI_JZNS1_25segmented_radix_sort_implINS0_14default_configELb1EPKdPdPKlPlN2at6native12_GLOBAL__N_18offset_tEEE10hipError_tPvRmT1_PNSt15iterator_traitsIS12_E10value_typeET2_T3_PNS13_IS18_E10value_typeET4_jRbjT5_S1E_jjP12ihipStream_tbEUljE_ZNSN_ISO_Lb1ESQ_SR_ST_SU_SY_EESZ_S10_S11_S12_S16_S17_S18_S1B_S1C_jS1D_jS1E_S1E_jjS1G_bEUljE0_EEESZ_S10_S11_S18_S1C_S1E_T6_T7_T9_mT8_S1G_bDpT10_ENKUlT_T0_E_clISt17integral_constantIbLb0EES1U_EEDaS1P_S1Q_EUlS1P_E_NS1_11comp_targetILNS1_3genE2ELNS1_11target_archE906ELNS1_3gpuE6ELNS1_3repE0EEENS1_30default_config_static_selectorELNS0_4arch9wavefront6targetE1EEEvS12_,"axG",@progbits,_ZN7rocprim17ROCPRIM_400000_NS6detail17trampoline_kernelINS0_13select_configILj256ELj13ELNS0_17block_load_methodE3ELS4_3ELS4_3ELNS0_20block_scan_algorithmE0ELj4294967295EEENS1_25partition_config_selectorILNS1_17partition_subalgoE4EjNS0_10empty_typeEbEEZZNS1_14partition_implILS8_4ELb0ES6_15HIP_vector_typeIjLj2EENS0_17counting_iteratorIjlEEPS9_SG_NS0_5tupleIJPjSI_NS0_16reverse_iteratorISI_EEEEENSH_IJSG_SG_SG_EEES9_SI_JZNS1_25segmented_radix_sort_implINS0_14default_configELb1EPKdPdPKlPlN2at6native12_GLOBAL__N_18offset_tEEE10hipError_tPvRmT1_PNSt15iterator_traitsIS12_E10value_typeET2_T3_PNS13_IS18_E10value_typeET4_jRbjT5_S1E_jjP12ihipStream_tbEUljE_ZNSN_ISO_Lb1ESQ_SR_ST_SU_SY_EESZ_S10_S11_S12_S16_S17_S18_S1B_S1C_jS1D_jS1E_S1E_jjS1G_bEUljE0_EEESZ_S10_S11_S18_S1C_S1E_T6_T7_T9_mT8_S1G_bDpT10_ENKUlT_T0_E_clISt17integral_constantIbLb0EES1U_EEDaS1P_S1Q_EUlS1P_E_NS1_11comp_targetILNS1_3genE2ELNS1_11target_archE906ELNS1_3gpuE6ELNS1_3repE0EEENS1_30default_config_static_selectorELNS0_4arch9wavefront6targetE1EEEvS12_,comdat
.Lfunc_end1058:
	.size	_ZN7rocprim17ROCPRIM_400000_NS6detail17trampoline_kernelINS0_13select_configILj256ELj13ELNS0_17block_load_methodE3ELS4_3ELS4_3ELNS0_20block_scan_algorithmE0ELj4294967295EEENS1_25partition_config_selectorILNS1_17partition_subalgoE4EjNS0_10empty_typeEbEEZZNS1_14partition_implILS8_4ELb0ES6_15HIP_vector_typeIjLj2EENS0_17counting_iteratorIjlEEPS9_SG_NS0_5tupleIJPjSI_NS0_16reverse_iteratorISI_EEEEENSH_IJSG_SG_SG_EEES9_SI_JZNS1_25segmented_radix_sort_implINS0_14default_configELb1EPKdPdPKlPlN2at6native12_GLOBAL__N_18offset_tEEE10hipError_tPvRmT1_PNSt15iterator_traitsIS12_E10value_typeET2_T3_PNS13_IS18_E10value_typeET4_jRbjT5_S1E_jjP12ihipStream_tbEUljE_ZNSN_ISO_Lb1ESQ_SR_ST_SU_SY_EESZ_S10_S11_S12_S16_S17_S18_S1B_S1C_jS1D_jS1E_S1E_jjS1G_bEUljE0_EEESZ_S10_S11_S18_S1C_S1E_T6_T7_T9_mT8_S1G_bDpT10_ENKUlT_T0_E_clISt17integral_constantIbLb0EES1U_EEDaS1P_S1Q_EUlS1P_E_NS1_11comp_targetILNS1_3genE2ELNS1_11target_archE906ELNS1_3gpuE6ELNS1_3repE0EEENS1_30default_config_static_selectorELNS0_4arch9wavefront6targetE1EEEvS12_, .Lfunc_end1058-_ZN7rocprim17ROCPRIM_400000_NS6detail17trampoline_kernelINS0_13select_configILj256ELj13ELNS0_17block_load_methodE3ELS4_3ELS4_3ELNS0_20block_scan_algorithmE0ELj4294967295EEENS1_25partition_config_selectorILNS1_17partition_subalgoE4EjNS0_10empty_typeEbEEZZNS1_14partition_implILS8_4ELb0ES6_15HIP_vector_typeIjLj2EENS0_17counting_iteratorIjlEEPS9_SG_NS0_5tupleIJPjSI_NS0_16reverse_iteratorISI_EEEEENSH_IJSG_SG_SG_EEES9_SI_JZNS1_25segmented_radix_sort_implINS0_14default_configELb1EPKdPdPKlPlN2at6native12_GLOBAL__N_18offset_tEEE10hipError_tPvRmT1_PNSt15iterator_traitsIS12_E10value_typeET2_T3_PNS13_IS18_E10value_typeET4_jRbjT5_S1E_jjP12ihipStream_tbEUljE_ZNSN_ISO_Lb1ESQ_SR_ST_SU_SY_EESZ_S10_S11_S12_S16_S17_S18_S1B_S1C_jS1D_jS1E_S1E_jjS1G_bEUljE0_EEESZ_S10_S11_S18_S1C_S1E_T6_T7_T9_mT8_S1G_bDpT10_ENKUlT_T0_E_clISt17integral_constantIbLb0EES1U_EEDaS1P_S1Q_EUlS1P_E_NS1_11comp_targetILNS1_3genE2ELNS1_11target_archE906ELNS1_3gpuE6ELNS1_3repE0EEENS1_30default_config_static_selectorELNS0_4arch9wavefront6targetE1EEEvS12_
                                        ; -- End function
	.set _ZN7rocprim17ROCPRIM_400000_NS6detail17trampoline_kernelINS0_13select_configILj256ELj13ELNS0_17block_load_methodE3ELS4_3ELS4_3ELNS0_20block_scan_algorithmE0ELj4294967295EEENS1_25partition_config_selectorILNS1_17partition_subalgoE4EjNS0_10empty_typeEbEEZZNS1_14partition_implILS8_4ELb0ES6_15HIP_vector_typeIjLj2EENS0_17counting_iteratorIjlEEPS9_SG_NS0_5tupleIJPjSI_NS0_16reverse_iteratorISI_EEEEENSH_IJSG_SG_SG_EEES9_SI_JZNS1_25segmented_radix_sort_implINS0_14default_configELb1EPKdPdPKlPlN2at6native12_GLOBAL__N_18offset_tEEE10hipError_tPvRmT1_PNSt15iterator_traitsIS12_E10value_typeET2_T3_PNS13_IS18_E10value_typeET4_jRbjT5_S1E_jjP12ihipStream_tbEUljE_ZNSN_ISO_Lb1ESQ_SR_ST_SU_SY_EESZ_S10_S11_S12_S16_S17_S18_S1B_S1C_jS1D_jS1E_S1E_jjS1G_bEUljE0_EEESZ_S10_S11_S18_S1C_S1E_T6_T7_T9_mT8_S1G_bDpT10_ENKUlT_T0_E_clISt17integral_constantIbLb0EES1U_EEDaS1P_S1Q_EUlS1P_E_NS1_11comp_targetILNS1_3genE2ELNS1_11target_archE906ELNS1_3gpuE6ELNS1_3repE0EEENS1_30default_config_static_selectorELNS0_4arch9wavefront6targetE1EEEvS12_.num_vgpr, 86
	.set _ZN7rocprim17ROCPRIM_400000_NS6detail17trampoline_kernelINS0_13select_configILj256ELj13ELNS0_17block_load_methodE3ELS4_3ELS4_3ELNS0_20block_scan_algorithmE0ELj4294967295EEENS1_25partition_config_selectorILNS1_17partition_subalgoE4EjNS0_10empty_typeEbEEZZNS1_14partition_implILS8_4ELb0ES6_15HIP_vector_typeIjLj2EENS0_17counting_iteratorIjlEEPS9_SG_NS0_5tupleIJPjSI_NS0_16reverse_iteratorISI_EEEEENSH_IJSG_SG_SG_EEES9_SI_JZNS1_25segmented_radix_sort_implINS0_14default_configELb1EPKdPdPKlPlN2at6native12_GLOBAL__N_18offset_tEEE10hipError_tPvRmT1_PNSt15iterator_traitsIS12_E10value_typeET2_T3_PNS13_IS18_E10value_typeET4_jRbjT5_S1E_jjP12ihipStream_tbEUljE_ZNSN_ISO_Lb1ESQ_SR_ST_SU_SY_EESZ_S10_S11_S12_S16_S17_S18_S1B_S1C_jS1D_jS1E_S1E_jjS1G_bEUljE0_EEESZ_S10_S11_S18_S1C_S1E_T6_T7_T9_mT8_S1G_bDpT10_ENKUlT_T0_E_clISt17integral_constantIbLb0EES1U_EEDaS1P_S1Q_EUlS1P_E_NS1_11comp_targetILNS1_3genE2ELNS1_11target_archE906ELNS1_3gpuE6ELNS1_3repE0EEENS1_30default_config_static_selectorELNS0_4arch9wavefront6targetE1EEEvS12_.num_agpr, 0
	.set _ZN7rocprim17ROCPRIM_400000_NS6detail17trampoline_kernelINS0_13select_configILj256ELj13ELNS0_17block_load_methodE3ELS4_3ELS4_3ELNS0_20block_scan_algorithmE0ELj4294967295EEENS1_25partition_config_selectorILNS1_17partition_subalgoE4EjNS0_10empty_typeEbEEZZNS1_14partition_implILS8_4ELb0ES6_15HIP_vector_typeIjLj2EENS0_17counting_iteratorIjlEEPS9_SG_NS0_5tupleIJPjSI_NS0_16reverse_iteratorISI_EEEEENSH_IJSG_SG_SG_EEES9_SI_JZNS1_25segmented_radix_sort_implINS0_14default_configELb1EPKdPdPKlPlN2at6native12_GLOBAL__N_18offset_tEEE10hipError_tPvRmT1_PNSt15iterator_traitsIS12_E10value_typeET2_T3_PNS13_IS18_E10value_typeET4_jRbjT5_S1E_jjP12ihipStream_tbEUljE_ZNSN_ISO_Lb1ESQ_SR_ST_SU_SY_EESZ_S10_S11_S12_S16_S17_S18_S1B_S1C_jS1D_jS1E_S1E_jjS1G_bEUljE0_EEESZ_S10_S11_S18_S1C_S1E_T6_T7_T9_mT8_S1G_bDpT10_ENKUlT_T0_E_clISt17integral_constantIbLb0EES1U_EEDaS1P_S1Q_EUlS1P_E_NS1_11comp_targetILNS1_3genE2ELNS1_11target_archE906ELNS1_3gpuE6ELNS1_3repE0EEENS1_30default_config_static_selectorELNS0_4arch9wavefront6targetE1EEEvS12_.numbered_sgpr, 90
	.set _ZN7rocprim17ROCPRIM_400000_NS6detail17trampoline_kernelINS0_13select_configILj256ELj13ELNS0_17block_load_methodE3ELS4_3ELS4_3ELNS0_20block_scan_algorithmE0ELj4294967295EEENS1_25partition_config_selectorILNS1_17partition_subalgoE4EjNS0_10empty_typeEbEEZZNS1_14partition_implILS8_4ELb0ES6_15HIP_vector_typeIjLj2EENS0_17counting_iteratorIjlEEPS9_SG_NS0_5tupleIJPjSI_NS0_16reverse_iteratorISI_EEEEENSH_IJSG_SG_SG_EEES9_SI_JZNS1_25segmented_radix_sort_implINS0_14default_configELb1EPKdPdPKlPlN2at6native12_GLOBAL__N_18offset_tEEE10hipError_tPvRmT1_PNSt15iterator_traitsIS12_E10value_typeET2_T3_PNS13_IS18_E10value_typeET4_jRbjT5_S1E_jjP12ihipStream_tbEUljE_ZNSN_ISO_Lb1ESQ_SR_ST_SU_SY_EESZ_S10_S11_S12_S16_S17_S18_S1B_S1C_jS1D_jS1E_S1E_jjS1G_bEUljE0_EEESZ_S10_S11_S18_S1C_S1E_T6_T7_T9_mT8_S1G_bDpT10_ENKUlT_T0_E_clISt17integral_constantIbLb0EES1U_EEDaS1P_S1Q_EUlS1P_E_NS1_11comp_targetILNS1_3genE2ELNS1_11target_archE906ELNS1_3gpuE6ELNS1_3repE0EEENS1_30default_config_static_selectorELNS0_4arch9wavefront6targetE1EEEvS12_.num_named_barrier, 0
	.set _ZN7rocprim17ROCPRIM_400000_NS6detail17trampoline_kernelINS0_13select_configILj256ELj13ELNS0_17block_load_methodE3ELS4_3ELS4_3ELNS0_20block_scan_algorithmE0ELj4294967295EEENS1_25partition_config_selectorILNS1_17partition_subalgoE4EjNS0_10empty_typeEbEEZZNS1_14partition_implILS8_4ELb0ES6_15HIP_vector_typeIjLj2EENS0_17counting_iteratorIjlEEPS9_SG_NS0_5tupleIJPjSI_NS0_16reverse_iteratorISI_EEEEENSH_IJSG_SG_SG_EEES9_SI_JZNS1_25segmented_radix_sort_implINS0_14default_configELb1EPKdPdPKlPlN2at6native12_GLOBAL__N_18offset_tEEE10hipError_tPvRmT1_PNSt15iterator_traitsIS12_E10value_typeET2_T3_PNS13_IS18_E10value_typeET4_jRbjT5_S1E_jjP12ihipStream_tbEUljE_ZNSN_ISO_Lb1ESQ_SR_ST_SU_SY_EESZ_S10_S11_S12_S16_S17_S18_S1B_S1C_jS1D_jS1E_S1E_jjS1G_bEUljE0_EEESZ_S10_S11_S18_S1C_S1E_T6_T7_T9_mT8_S1G_bDpT10_ENKUlT_T0_E_clISt17integral_constantIbLb0EES1U_EEDaS1P_S1Q_EUlS1P_E_NS1_11comp_targetILNS1_3genE2ELNS1_11target_archE906ELNS1_3gpuE6ELNS1_3repE0EEENS1_30default_config_static_selectorELNS0_4arch9wavefront6targetE1EEEvS12_.private_seg_size, 0
	.set _ZN7rocprim17ROCPRIM_400000_NS6detail17trampoline_kernelINS0_13select_configILj256ELj13ELNS0_17block_load_methodE3ELS4_3ELS4_3ELNS0_20block_scan_algorithmE0ELj4294967295EEENS1_25partition_config_selectorILNS1_17partition_subalgoE4EjNS0_10empty_typeEbEEZZNS1_14partition_implILS8_4ELb0ES6_15HIP_vector_typeIjLj2EENS0_17counting_iteratorIjlEEPS9_SG_NS0_5tupleIJPjSI_NS0_16reverse_iteratorISI_EEEEENSH_IJSG_SG_SG_EEES9_SI_JZNS1_25segmented_radix_sort_implINS0_14default_configELb1EPKdPdPKlPlN2at6native12_GLOBAL__N_18offset_tEEE10hipError_tPvRmT1_PNSt15iterator_traitsIS12_E10value_typeET2_T3_PNS13_IS18_E10value_typeET4_jRbjT5_S1E_jjP12ihipStream_tbEUljE_ZNSN_ISO_Lb1ESQ_SR_ST_SU_SY_EESZ_S10_S11_S12_S16_S17_S18_S1B_S1C_jS1D_jS1E_S1E_jjS1G_bEUljE0_EEESZ_S10_S11_S18_S1C_S1E_T6_T7_T9_mT8_S1G_bDpT10_ENKUlT_T0_E_clISt17integral_constantIbLb0EES1U_EEDaS1P_S1Q_EUlS1P_E_NS1_11comp_targetILNS1_3genE2ELNS1_11target_archE906ELNS1_3gpuE6ELNS1_3repE0EEENS1_30default_config_static_selectorELNS0_4arch9wavefront6targetE1EEEvS12_.uses_vcc, 1
	.set _ZN7rocprim17ROCPRIM_400000_NS6detail17trampoline_kernelINS0_13select_configILj256ELj13ELNS0_17block_load_methodE3ELS4_3ELS4_3ELNS0_20block_scan_algorithmE0ELj4294967295EEENS1_25partition_config_selectorILNS1_17partition_subalgoE4EjNS0_10empty_typeEbEEZZNS1_14partition_implILS8_4ELb0ES6_15HIP_vector_typeIjLj2EENS0_17counting_iteratorIjlEEPS9_SG_NS0_5tupleIJPjSI_NS0_16reverse_iteratorISI_EEEEENSH_IJSG_SG_SG_EEES9_SI_JZNS1_25segmented_radix_sort_implINS0_14default_configELb1EPKdPdPKlPlN2at6native12_GLOBAL__N_18offset_tEEE10hipError_tPvRmT1_PNSt15iterator_traitsIS12_E10value_typeET2_T3_PNS13_IS18_E10value_typeET4_jRbjT5_S1E_jjP12ihipStream_tbEUljE_ZNSN_ISO_Lb1ESQ_SR_ST_SU_SY_EESZ_S10_S11_S12_S16_S17_S18_S1B_S1C_jS1D_jS1E_S1E_jjS1G_bEUljE0_EEESZ_S10_S11_S18_S1C_S1E_T6_T7_T9_mT8_S1G_bDpT10_ENKUlT_T0_E_clISt17integral_constantIbLb0EES1U_EEDaS1P_S1Q_EUlS1P_E_NS1_11comp_targetILNS1_3genE2ELNS1_11target_archE906ELNS1_3gpuE6ELNS1_3repE0EEENS1_30default_config_static_selectorELNS0_4arch9wavefront6targetE1EEEvS12_.uses_flat_scratch, 0
	.set _ZN7rocprim17ROCPRIM_400000_NS6detail17trampoline_kernelINS0_13select_configILj256ELj13ELNS0_17block_load_methodE3ELS4_3ELS4_3ELNS0_20block_scan_algorithmE0ELj4294967295EEENS1_25partition_config_selectorILNS1_17partition_subalgoE4EjNS0_10empty_typeEbEEZZNS1_14partition_implILS8_4ELb0ES6_15HIP_vector_typeIjLj2EENS0_17counting_iteratorIjlEEPS9_SG_NS0_5tupleIJPjSI_NS0_16reverse_iteratorISI_EEEEENSH_IJSG_SG_SG_EEES9_SI_JZNS1_25segmented_radix_sort_implINS0_14default_configELb1EPKdPdPKlPlN2at6native12_GLOBAL__N_18offset_tEEE10hipError_tPvRmT1_PNSt15iterator_traitsIS12_E10value_typeET2_T3_PNS13_IS18_E10value_typeET4_jRbjT5_S1E_jjP12ihipStream_tbEUljE_ZNSN_ISO_Lb1ESQ_SR_ST_SU_SY_EESZ_S10_S11_S12_S16_S17_S18_S1B_S1C_jS1D_jS1E_S1E_jjS1G_bEUljE0_EEESZ_S10_S11_S18_S1C_S1E_T6_T7_T9_mT8_S1G_bDpT10_ENKUlT_T0_E_clISt17integral_constantIbLb0EES1U_EEDaS1P_S1Q_EUlS1P_E_NS1_11comp_targetILNS1_3genE2ELNS1_11target_archE906ELNS1_3gpuE6ELNS1_3repE0EEENS1_30default_config_static_selectorELNS0_4arch9wavefront6targetE1EEEvS12_.has_dyn_sized_stack, 0
	.set _ZN7rocprim17ROCPRIM_400000_NS6detail17trampoline_kernelINS0_13select_configILj256ELj13ELNS0_17block_load_methodE3ELS4_3ELS4_3ELNS0_20block_scan_algorithmE0ELj4294967295EEENS1_25partition_config_selectorILNS1_17partition_subalgoE4EjNS0_10empty_typeEbEEZZNS1_14partition_implILS8_4ELb0ES6_15HIP_vector_typeIjLj2EENS0_17counting_iteratorIjlEEPS9_SG_NS0_5tupleIJPjSI_NS0_16reverse_iteratorISI_EEEEENSH_IJSG_SG_SG_EEES9_SI_JZNS1_25segmented_radix_sort_implINS0_14default_configELb1EPKdPdPKlPlN2at6native12_GLOBAL__N_18offset_tEEE10hipError_tPvRmT1_PNSt15iterator_traitsIS12_E10value_typeET2_T3_PNS13_IS18_E10value_typeET4_jRbjT5_S1E_jjP12ihipStream_tbEUljE_ZNSN_ISO_Lb1ESQ_SR_ST_SU_SY_EESZ_S10_S11_S12_S16_S17_S18_S1B_S1C_jS1D_jS1E_S1E_jjS1G_bEUljE0_EEESZ_S10_S11_S18_S1C_S1E_T6_T7_T9_mT8_S1G_bDpT10_ENKUlT_T0_E_clISt17integral_constantIbLb0EES1U_EEDaS1P_S1Q_EUlS1P_E_NS1_11comp_targetILNS1_3genE2ELNS1_11target_archE906ELNS1_3gpuE6ELNS1_3repE0EEENS1_30default_config_static_selectorELNS0_4arch9wavefront6targetE1EEEvS12_.has_recursion, 0
	.set _ZN7rocprim17ROCPRIM_400000_NS6detail17trampoline_kernelINS0_13select_configILj256ELj13ELNS0_17block_load_methodE3ELS4_3ELS4_3ELNS0_20block_scan_algorithmE0ELj4294967295EEENS1_25partition_config_selectorILNS1_17partition_subalgoE4EjNS0_10empty_typeEbEEZZNS1_14partition_implILS8_4ELb0ES6_15HIP_vector_typeIjLj2EENS0_17counting_iteratorIjlEEPS9_SG_NS0_5tupleIJPjSI_NS0_16reverse_iteratorISI_EEEEENSH_IJSG_SG_SG_EEES9_SI_JZNS1_25segmented_radix_sort_implINS0_14default_configELb1EPKdPdPKlPlN2at6native12_GLOBAL__N_18offset_tEEE10hipError_tPvRmT1_PNSt15iterator_traitsIS12_E10value_typeET2_T3_PNS13_IS18_E10value_typeET4_jRbjT5_S1E_jjP12ihipStream_tbEUljE_ZNSN_ISO_Lb1ESQ_SR_ST_SU_SY_EESZ_S10_S11_S12_S16_S17_S18_S1B_S1C_jS1D_jS1E_S1E_jjS1G_bEUljE0_EEESZ_S10_S11_S18_S1C_S1E_T6_T7_T9_mT8_S1G_bDpT10_ENKUlT_T0_E_clISt17integral_constantIbLb0EES1U_EEDaS1P_S1Q_EUlS1P_E_NS1_11comp_targetILNS1_3genE2ELNS1_11target_archE906ELNS1_3gpuE6ELNS1_3repE0EEENS1_30default_config_static_selectorELNS0_4arch9wavefront6targetE1EEEvS12_.has_indirect_call, 0
	.section	.AMDGPU.csdata,"",@progbits
; Kernel info:
; codeLenInByte = 15480
; TotalNumSgprs: 94
; NumVgprs: 86
; ScratchSize: 0
; MemoryBound: 0
; FloatMode: 240
; IeeeMode: 1
; LDSByteSize: 13328 bytes/workgroup (compile time only)
; SGPRBlocks: 12
; VGPRBlocks: 21
; NumSGPRsForWavesPerEU: 102
; NumVGPRsForWavesPerEU: 86
; Occupancy: 2
; WaveLimiterHint : 1
; COMPUTE_PGM_RSRC2:SCRATCH_EN: 0
; COMPUTE_PGM_RSRC2:USER_SGPR: 6
; COMPUTE_PGM_RSRC2:TRAP_HANDLER: 0
; COMPUTE_PGM_RSRC2:TGID_X_EN: 1
; COMPUTE_PGM_RSRC2:TGID_Y_EN: 0
; COMPUTE_PGM_RSRC2:TGID_Z_EN: 0
; COMPUTE_PGM_RSRC2:TIDIG_COMP_CNT: 0
	.section	.text._ZN7rocprim17ROCPRIM_400000_NS6detail17trampoline_kernelINS0_13select_configILj256ELj13ELNS0_17block_load_methodE3ELS4_3ELS4_3ELNS0_20block_scan_algorithmE0ELj4294967295EEENS1_25partition_config_selectorILNS1_17partition_subalgoE4EjNS0_10empty_typeEbEEZZNS1_14partition_implILS8_4ELb0ES6_15HIP_vector_typeIjLj2EENS0_17counting_iteratorIjlEEPS9_SG_NS0_5tupleIJPjSI_NS0_16reverse_iteratorISI_EEEEENSH_IJSG_SG_SG_EEES9_SI_JZNS1_25segmented_radix_sort_implINS0_14default_configELb1EPKdPdPKlPlN2at6native12_GLOBAL__N_18offset_tEEE10hipError_tPvRmT1_PNSt15iterator_traitsIS12_E10value_typeET2_T3_PNS13_IS18_E10value_typeET4_jRbjT5_S1E_jjP12ihipStream_tbEUljE_ZNSN_ISO_Lb1ESQ_SR_ST_SU_SY_EESZ_S10_S11_S12_S16_S17_S18_S1B_S1C_jS1D_jS1E_S1E_jjS1G_bEUljE0_EEESZ_S10_S11_S18_S1C_S1E_T6_T7_T9_mT8_S1G_bDpT10_ENKUlT_T0_E_clISt17integral_constantIbLb0EES1U_EEDaS1P_S1Q_EUlS1P_E_NS1_11comp_targetILNS1_3genE10ELNS1_11target_archE1200ELNS1_3gpuE4ELNS1_3repE0EEENS1_30default_config_static_selectorELNS0_4arch9wavefront6targetE1EEEvS12_,"axG",@progbits,_ZN7rocprim17ROCPRIM_400000_NS6detail17trampoline_kernelINS0_13select_configILj256ELj13ELNS0_17block_load_methodE3ELS4_3ELS4_3ELNS0_20block_scan_algorithmE0ELj4294967295EEENS1_25partition_config_selectorILNS1_17partition_subalgoE4EjNS0_10empty_typeEbEEZZNS1_14partition_implILS8_4ELb0ES6_15HIP_vector_typeIjLj2EENS0_17counting_iteratorIjlEEPS9_SG_NS0_5tupleIJPjSI_NS0_16reverse_iteratorISI_EEEEENSH_IJSG_SG_SG_EEES9_SI_JZNS1_25segmented_radix_sort_implINS0_14default_configELb1EPKdPdPKlPlN2at6native12_GLOBAL__N_18offset_tEEE10hipError_tPvRmT1_PNSt15iterator_traitsIS12_E10value_typeET2_T3_PNS13_IS18_E10value_typeET4_jRbjT5_S1E_jjP12ihipStream_tbEUljE_ZNSN_ISO_Lb1ESQ_SR_ST_SU_SY_EESZ_S10_S11_S12_S16_S17_S18_S1B_S1C_jS1D_jS1E_S1E_jjS1G_bEUljE0_EEESZ_S10_S11_S18_S1C_S1E_T6_T7_T9_mT8_S1G_bDpT10_ENKUlT_T0_E_clISt17integral_constantIbLb0EES1U_EEDaS1P_S1Q_EUlS1P_E_NS1_11comp_targetILNS1_3genE10ELNS1_11target_archE1200ELNS1_3gpuE4ELNS1_3repE0EEENS1_30default_config_static_selectorELNS0_4arch9wavefront6targetE1EEEvS12_,comdat
	.globl	_ZN7rocprim17ROCPRIM_400000_NS6detail17trampoline_kernelINS0_13select_configILj256ELj13ELNS0_17block_load_methodE3ELS4_3ELS4_3ELNS0_20block_scan_algorithmE0ELj4294967295EEENS1_25partition_config_selectorILNS1_17partition_subalgoE4EjNS0_10empty_typeEbEEZZNS1_14partition_implILS8_4ELb0ES6_15HIP_vector_typeIjLj2EENS0_17counting_iteratorIjlEEPS9_SG_NS0_5tupleIJPjSI_NS0_16reverse_iteratorISI_EEEEENSH_IJSG_SG_SG_EEES9_SI_JZNS1_25segmented_radix_sort_implINS0_14default_configELb1EPKdPdPKlPlN2at6native12_GLOBAL__N_18offset_tEEE10hipError_tPvRmT1_PNSt15iterator_traitsIS12_E10value_typeET2_T3_PNS13_IS18_E10value_typeET4_jRbjT5_S1E_jjP12ihipStream_tbEUljE_ZNSN_ISO_Lb1ESQ_SR_ST_SU_SY_EESZ_S10_S11_S12_S16_S17_S18_S1B_S1C_jS1D_jS1E_S1E_jjS1G_bEUljE0_EEESZ_S10_S11_S18_S1C_S1E_T6_T7_T9_mT8_S1G_bDpT10_ENKUlT_T0_E_clISt17integral_constantIbLb0EES1U_EEDaS1P_S1Q_EUlS1P_E_NS1_11comp_targetILNS1_3genE10ELNS1_11target_archE1200ELNS1_3gpuE4ELNS1_3repE0EEENS1_30default_config_static_selectorELNS0_4arch9wavefront6targetE1EEEvS12_ ; -- Begin function _ZN7rocprim17ROCPRIM_400000_NS6detail17trampoline_kernelINS0_13select_configILj256ELj13ELNS0_17block_load_methodE3ELS4_3ELS4_3ELNS0_20block_scan_algorithmE0ELj4294967295EEENS1_25partition_config_selectorILNS1_17partition_subalgoE4EjNS0_10empty_typeEbEEZZNS1_14partition_implILS8_4ELb0ES6_15HIP_vector_typeIjLj2EENS0_17counting_iteratorIjlEEPS9_SG_NS0_5tupleIJPjSI_NS0_16reverse_iteratorISI_EEEEENSH_IJSG_SG_SG_EEES9_SI_JZNS1_25segmented_radix_sort_implINS0_14default_configELb1EPKdPdPKlPlN2at6native12_GLOBAL__N_18offset_tEEE10hipError_tPvRmT1_PNSt15iterator_traitsIS12_E10value_typeET2_T3_PNS13_IS18_E10value_typeET4_jRbjT5_S1E_jjP12ihipStream_tbEUljE_ZNSN_ISO_Lb1ESQ_SR_ST_SU_SY_EESZ_S10_S11_S12_S16_S17_S18_S1B_S1C_jS1D_jS1E_S1E_jjS1G_bEUljE0_EEESZ_S10_S11_S18_S1C_S1E_T6_T7_T9_mT8_S1G_bDpT10_ENKUlT_T0_E_clISt17integral_constantIbLb0EES1U_EEDaS1P_S1Q_EUlS1P_E_NS1_11comp_targetILNS1_3genE10ELNS1_11target_archE1200ELNS1_3gpuE4ELNS1_3repE0EEENS1_30default_config_static_selectorELNS0_4arch9wavefront6targetE1EEEvS12_
	.p2align	8
	.type	_ZN7rocprim17ROCPRIM_400000_NS6detail17trampoline_kernelINS0_13select_configILj256ELj13ELNS0_17block_load_methodE3ELS4_3ELS4_3ELNS0_20block_scan_algorithmE0ELj4294967295EEENS1_25partition_config_selectorILNS1_17partition_subalgoE4EjNS0_10empty_typeEbEEZZNS1_14partition_implILS8_4ELb0ES6_15HIP_vector_typeIjLj2EENS0_17counting_iteratorIjlEEPS9_SG_NS0_5tupleIJPjSI_NS0_16reverse_iteratorISI_EEEEENSH_IJSG_SG_SG_EEES9_SI_JZNS1_25segmented_radix_sort_implINS0_14default_configELb1EPKdPdPKlPlN2at6native12_GLOBAL__N_18offset_tEEE10hipError_tPvRmT1_PNSt15iterator_traitsIS12_E10value_typeET2_T3_PNS13_IS18_E10value_typeET4_jRbjT5_S1E_jjP12ihipStream_tbEUljE_ZNSN_ISO_Lb1ESQ_SR_ST_SU_SY_EESZ_S10_S11_S12_S16_S17_S18_S1B_S1C_jS1D_jS1E_S1E_jjS1G_bEUljE0_EEESZ_S10_S11_S18_S1C_S1E_T6_T7_T9_mT8_S1G_bDpT10_ENKUlT_T0_E_clISt17integral_constantIbLb0EES1U_EEDaS1P_S1Q_EUlS1P_E_NS1_11comp_targetILNS1_3genE10ELNS1_11target_archE1200ELNS1_3gpuE4ELNS1_3repE0EEENS1_30default_config_static_selectorELNS0_4arch9wavefront6targetE1EEEvS12_,@function
_ZN7rocprim17ROCPRIM_400000_NS6detail17trampoline_kernelINS0_13select_configILj256ELj13ELNS0_17block_load_methodE3ELS4_3ELS4_3ELNS0_20block_scan_algorithmE0ELj4294967295EEENS1_25partition_config_selectorILNS1_17partition_subalgoE4EjNS0_10empty_typeEbEEZZNS1_14partition_implILS8_4ELb0ES6_15HIP_vector_typeIjLj2EENS0_17counting_iteratorIjlEEPS9_SG_NS0_5tupleIJPjSI_NS0_16reverse_iteratorISI_EEEEENSH_IJSG_SG_SG_EEES9_SI_JZNS1_25segmented_radix_sort_implINS0_14default_configELb1EPKdPdPKlPlN2at6native12_GLOBAL__N_18offset_tEEE10hipError_tPvRmT1_PNSt15iterator_traitsIS12_E10value_typeET2_T3_PNS13_IS18_E10value_typeET4_jRbjT5_S1E_jjP12ihipStream_tbEUljE_ZNSN_ISO_Lb1ESQ_SR_ST_SU_SY_EESZ_S10_S11_S12_S16_S17_S18_S1B_S1C_jS1D_jS1E_S1E_jjS1G_bEUljE0_EEESZ_S10_S11_S18_S1C_S1E_T6_T7_T9_mT8_S1G_bDpT10_ENKUlT_T0_E_clISt17integral_constantIbLb0EES1U_EEDaS1P_S1Q_EUlS1P_E_NS1_11comp_targetILNS1_3genE10ELNS1_11target_archE1200ELNS1_3gpuE4ELNS1_3repE0EEENS1_30default_config_static_selectorELNS0_4arch9wavefront6targetE1EEEvS12_: ; @_ZN7rocprim17ROCPRIM_400000_NS6detail17trampoline_kernelINS0_13select_configILj256ELj13ELNS0_17block_load_methodE3ELS4_3ELS4_3ELNS0_20block_scan_algorithmE0ELj4294967295EEENS1_25partition_config_selectorILNS1_17partition_subalgoE4EjNS0_10empty_typeEbEEZZNS1_14partition_implILS8_4ELb0ES6_15HIP_vector_typeIjLj2EENS0_17counting_iteratorIjlEEPS9_SG_NS0_5tupleIJPjSI_NS0_16reverse_iteratorISI_EEEEENSH_IJSG_SG_SG_EEES9_SI_JZNS1_25segmented_radix_sort_implINS0_14default_configELb1EPKdPdPKlPlN2at6native12_GLOBAL__N_18offset_tEEE10hipError_tPvRmT1_PNSt15iterator_traitsIS12_E10value_typeET2_T3_PNS13_IS18_E10value_typeET4_jRbjT5_S1E_jjP12ihipStream_tbEUljE_ZNSN_ISO_Lb1ESQ_SR_ST_SU_SY_EESZ_S10_S11_S12_S16_S17_S18_S1B_S1C_jS1D_jS1E_S1E_jjS1G_bEUljE0_EEESZ_S10_S11_S18_S1C_S1E_T6_T7_T9_mT8_S1G_bDpT10_ENKUlT_T0_E_clISt17integral_constantIbLb0EES1U_EEDaS1P_S1Q_EUlS1P_E_NS1_11comp_targetILNS1_3genE10ELNS1_11target_archE1200ELNS1_3gpuE4ELNS1_3repE0EEENS1_30default_config_static_selectorELNS0_4arch9wavefront6targetE1EEEvS12_
; %bb.0:
	.section	.rodata,"a",@progbits
	.p2align	6, 0x0
	.amdhsa_kernel _ZN7rocprim17ROCPRIM_400000_NS6detail17trampoline_kernelINS0_13select_configILj256ELj13ELNS0_17block_load_methodE3ELS4_3ELS4_3ELNS0_20block_scan_algorithmE0ELj4294967295EEENS1_25partition_config_selectorILNS1_17partition_subalgoE4EjNS0_10empty_typeEbEEZZNS1_14partition_implILS8_4ELb0ES6_15HIP_vector_typeIjLj2EENS0_17counting_iteratorIjlEEPS9_SG_NS0_5tupleIJPjSI_NS0_16reverse_iteratorISI_EEEEENSH_IJSG_SG_SG_EEES9_SI_JZNS1_25segmented_radix_sort_implINS0_14default_configELb1EPKdPdPKlPlN2at6native12_GLOBAL__N_18offset_tEEE10hipError_tPvRmT1_PNSt15iterator_traitsIS12_E10value_typeET2_T3_PNS13_IS18_E10value_typeET4_jRbjT5_S1E_jjP12ihipStream_tbEUljE_ZNSN_ISO_Lb1ESQ_SR_ST_SU_SY_EESZ_S10_S11_S12_S16_S17_S18_S1B_S1C_jS1D_jS1E_S1E_jjS1G_bEUljE0_EEESZ_S10_S11_S18_S1C_S1E_T6_T7_T9_mT8_S1G_bDpT10_ENKUlT_T0_E_clISt17integral_constantIbLb0EES1U_EEDaS1P_S1Q_EUlS1P_E_NS1_11comp_targetILNS1_3genE10ELNS1_11target_archE1200ELNS1_3gpuE4ELNS1_3repE0EEENS1_30default_config_static_selectorELNS0_4arch9wavefront6targetE1EEEvS12_
		.amdhsa_group_segment_fixed_size 0
		.amdhsa_private_segment_fixed_size 0
		.amdhsa_kernarg_size 176
		.amdhsa_user_sgpr_count 6
		.amdhsa_user_sgpr_private_segment_buffer 1
		.amdhsa_user_sgpr_dispatch_ptr 0
		.amdhsa_user_sgpr_queue_ptr 0
		.amdhsa_user_sgpr_kernarg_segment_ptr 1
		.amdhsa_user_sgpr_dispatch_id 0
		.amdhsa_user_sgpr_flat_scratch_init 0
		.amdhsa_user_sgpr_private_segment_size 0
		.amdhsa_uses_dynamic_stack 0
		.amdhsa_system_sgpr_private_segment_wavefront_offset 0
		.amdhsa_system_sgpr_workgroup_id_x 1
		.amdhsa_system_sgpr_workgroup_id_y 0
		.amdhsa_system_sgpr_workgroup_id_z 0
		.amdhsa_system_sgpr_workgroup_info 0
		.amdhsa_system_vgpr_workitem_id 0
		.amdhsa_next_free_vgpr 1
		.amdhsa_next_free_sgpr 0
		.amdhsa_reserve_vcc 0
		.amdhsa_reserve_flat_scratch 0
		.amdhsa_float_round_mode_32 0
		.amdhsa_float_round_mode_16_64 0
		.amdhsa_float_denorm_mode_32 3
		.amdhsa_float_denorm_mode_16_64 3
		.amdhsa_dx10_clamp 1
		.amdhsa_ieee_mode 1
		.amdhsa_fp16_overflow 0
		.amdhsa_exception_fp_ieee_invalid_op 0
		.amdhsa_exception_fp_denorm_src 0
		.amdhsa_exception_fp_ieee_div_zero 0
		.amdhsa_exception_fp_ieee_overflow 0
		.amdhsa_exception_fp_ieee_underflow 0
		.amdhsa_exception_fp_ieee_inexact 0
		.amdhsa_exception_int_div_zero 0
	.end_amdhsa_kernel
	.section	.text._ZN7rocprim17ROCPRIM_400000_NS6detail17trampoline_kernelINS0_13select_configILj256ELj13ELNS0_17block_load_methodE3ELS4_3ELS4_3ELNS0_20block_scan_algorithmE0ELj4294967295EEENS1_25partition_config_selectorILNS1_17partition_subalgoE4EjNS0_10empty_typeEbEEZZNS1_14partition_implILS8_4ELb0ES6_15HIP_vector_typeIjLj2EENS0_17counting_iteratorIjlEEPS9_SG_NS0_5tupleIJPjSI_NS0_16reverse_iteratorISI_EEEEENSH_IJSG_SG_SG_EEES9_SI_JZNS1_25segmented_radix_sort_implINS0_14default_configELb1EPKdPdPKlPlN2at6native12_GLOBAL__N_18offset_tEEE10hipError_tPvRmT1_PNSt15iterator_traitsIS12_E10value_typeET2_T3_PNS13_IS18_E10value_typeET4_jRbjT5_S1E_jjP12ihipStream_tbEUljE_ZNSN_ISO_Lb1ESQ_SR_ST_SU_SY_EESZ_S10_S11_S12_S16_S17_S18_S1B_S1C_jS1D_jS1E_S1E_jjS1G_bEUljE0_EEESZ_S10_S11_S18_S1C_S1E_T6_T7_T9_mT8_S1G_bDpT10_ENKUlT_T0_E_clISt17integral_constantIbLb0EES1U_EEDaS1P_S1Q_EUlS1P_E_NS1_11comp_targetILNS1_3genE10ELNS1_11target_archE1200ELNS1_3gpuE4ELNS1_3repE0EEENS1_30default_config_static_selectorELNS0_4arch9wavefront6targetE1EEEvS12_,"axG",@progbits,_ZN7rocprim17ROCPRIM_400000_NS6detail17trampoline_kernelINS0_13select_configILj256ELj13ELNS0_17block_load_methodE3ELS4_3ELS4_3ELNS0_20block_scan_algorithmE0ELj4294967295EEENS1_25partition_config_selectorILNS1_17partition_subalgoE4EjNS0_10empty_typeEbEEZZNS1_14partition_implILS8_4ELb0ES6_15HIP_vector_typeIjLj2EENS0_17counting_iteratorIjlEEPS9_SG_NS0_5tupleIJPjSI_NS0_16reverse_iteratorISI_EEEEENSH_IJSG_SG_SG_EEES9_SI_JZNS1_25segmented_radix_sort_implINS0_14default_configELb1EPKdPdPKlPlN2at6native12_GLOBAL__N_18offset_tEEE10hipError_tPvRmT1_PNSt15iterator_traitsIS12_E10value_typeET2_T3_PNS13_IS18_E10value_typeET4_jRbjT5_S1E_jjP12ihipStream_tbEUljE_ZNSN_ISO_Lb1ESQ_SR_ST_SU_SY_EESZ_S10_S11_S12_S16_S17_S18_S1B_S1C_jS1D_jS1E_S1E_jjS1G_bEUljE0_EEESZ_S10_S11_S18_S1C_S1E_T6_T7_T9_mT8_S1G_bDpT10_ENKUlT_T0_E_clISt17integral_constantIbLb0EES1U_EEDaS1P_S1Q_EUlS1P_E_NS1_11comp_targetILNS1_3genE10ELNS1_11target_archE1200ELNS1_3gpuE4ELNS1_3repE0EEENS1_30default_config_static_selectorELNS0_4arch9wavefront6targetE1EEEvS12_,comdat
.Lfunc_end1059:
	.size	_ZN7rocprim17ROCPRIM_400000_NS6detail17trampoline_kernelINS0_13select_configILj256ELj13ELNS0_17block_load_methodE3ELS4_3ELS4_3ELNS0_20block_scan_algorithmE0ELj4294967295EEENS1_25partition_config_selectorILNS1_17partition_subalgoE4EjNS0_10empty_typeEbEEZZNS1_14partition_implILS8_4ELb0ES6_15HIP_vector_typeIjLj2EENS0_17counting_iteratorIjlEEPS9_SG_NS0_5tupleIJPjSI_NS0_16reverse_iteratorISI_EEEEENSH_IJSG_SG_SG_EEES9_SI_JZNS1_25segmented_radix_sort_implINS0_14default_configELb1EPKdPdPKlPlN2at6native12_GLOBAL__N_18offset_tEEE10hipError_tPvRmT1_PNSt15iterator_traitsIS12_E10value_typeET2_T3_PNS13_IS18_E10value_typeET4_jRbjT5_S1E_jjP12ihipStream_tbEUljE_ZNSN_ISO_Lb1ESQ_SR_ST_SU_SY_EESZ_S10_S11_S12_S16_S17_S18_S1B_S1C_jS1D_jS1E_S1E_jjS1G_bEUljE0_EEESZ_S10_S11_S18_S1C_S1E_T6_T7_T9_mT8_S1G_bDpT10_ENKUlT_T0_E_clISt17integral_constantIbLb0EES1U_EEDaS1P_S1Q_EUlS1P_E_NS1_11comp_targetILNS1_3genE10ELNS1_11target_archE1200ELNS1_3gpuE4ELNS1_3repE0EEENS1_30default_config_static_selectorELNS0_4arch9wavefront6targetE1EEEvS12_, .Lfunc_end1059-_ZN7rocprim17ROCPRIM_400000_NS6detail17trampoline_kernelINS0_13select_configILj256ELj13ELNS0_17block_load_methodE3ELS4_3ELS4_3ELNS0_20block_scan_algorithmE0ELj4294967295EEENS1_25partition_config_selectorILNS1_17partition_subalgoE4EjNS0_10empty_typeEbEEZZNS1_14partition_implILS8_4ELb0ES6_15HIP_vector_typeIjLj2EENS0_17counting_iteratorIjlEEPS9_SG_NS0_5tupleIJPjSI_NS0_16reverse_iteratorISI_EEEEENSH_IJSG_SG_SG_EEES9_SI_JZNS1_25segmented_radix_sort_implINS0_14default_configELb1EPKdPdPKlPlN2at6native12_GLOBAL__N_18offset_tEEE10hipError_tPvRmT1_PNSt15iterator_traitsIS12_E10value_typeET2_T3_PNS13_IS18_E10value_typeET4_jRbjT5_S1E_jjP12ihipStream_tbEUljE_ZNSN_ISO_Lb1ESQ_SR_ST_SU_SY_EESZ_S10_S11_S12_S16_S17_S18_S1B_S1C_jS1D_jS1E_S1E_jjS1G_bEUljE0_EEESZ_S10_S11_S18_S1C_S1E_T6_T7_T9_mT8_S1G_bDpT10_ENKUlT_T0_E_clISt17integral_constantIbLb0EES1U_EEDaS1P_S1Q_EUlS1P_E_NS1_11comp_targetILNS1_3genE10ELNS1_11target_archE1200ELNS1_3gpuE4ELNS1_3repE0EEENS1_30default_config_static_selectorELNS0_4arch9wavefront6targetE1EEEvS12_
                                        ; -- End function
	.set _ZN7rocprim17ROCPRIM_400000_NS6detail17trampoline_kernelINS0_13select_configILj256ELj13ELNS0_17block_load_methodE3ELS4_3ELS4_3ELNS0_20block_scan_algorithmE0ELj4294967295EEENS1_25partition_config_selectorILNS1_17partition_subalgoE4EjNS0_10empty_typeEbEEZZNS1_14partition_implILS8_4ELb0ES6_15HIP_vector_typeIjLj2EENS0_17counting_iteratorIjlEEPS9_SG_NS0_5tupleIJPjSI_NS0_16reverse_iteratorISI_EEEEENSH_IJSG_SG_SG_EEES9_SI_JZNS1_25segmented_radix_sort_implINS0_14default_configELb1EPKdPdPKlPlN2at6native12_GLOBAL__N_18offset_tEEE10hipError_tPvRmT1_PNSt15iterator_traitsIS12_E10value_typeET2_T3_PNS13_IS18_E10value_typeET4_jRbjT5_S1E_jjP12ihipStream_tbEUljE_ZNSN_ISO_Lb1ESQ_SR_ST_SU_SY_EESZ_S10_S11_S12_S16_S17_S18_S1B_S1C_jS1D_jS1E_S1E_jjS1G_bEUljE0_EEESZ_S10_S11_S18_S1C_S1E_T6_T7_T9_mT8_S1G_bDpT10_ENKUlT_T0_E_clISt17integral_constantIbLb0EES1U_EEDaS1P_S1Q_EUlS1P_E_NS1_11comp_targetILNS1_3genE10ELNS1_11target_archE1200ELNS1_3gpuE4ELNS1_3repE0EEENS1_30default_config_static_selectorELNS0_4arch9wavefront6targetE1EEEvS12_.num_vgpr, 0
	.set _ZN7rocprim17ROCPRIM_400000_NS6detail17trampoline_kernelINS0_13select_configILj256ELj13ELNS0_17block_load_methodE3ELS4_3ELS4_3ELNS0_20block_scan_algorithmE0ELj4294967295EEENS1_25partition_config_selectorILNS1_17partition_subalgoE4EjNS0_10empty_typeEbEEZZNS1_14partition_implILS8_4ELb0ES6_15HIP_vector_typeIjLj2EENS0_17counting_iteratorIjlEEPS9_SG_NS0_5tupleIJPjSI_NS0_16reverse_iteratorISI_EEEEENSH_IJSG_SG_SG_EEES9_SI_JZNS1_25segmented_radix_sort_implINS0_14default_configELb1EPKdPdPKlPlN2at6native12_GLOBAL__N_18offset_tEEE10hipError_tPvRmT1_PNSt15iterator_traitsIS12_E10value_typeET2_T3_PNS13_IS18_E10value_typeET4_jRbjT5_S1E_jjP12ihipStream_tbEUljE_ZNSN_ISO_Lb1ESQ_SR_ST_SU_SY_EESZ_S10_S11_S12_S16_S17_S18_S1B_S1C_jS1D_jS1E_S1E_jjS1G_bEUljE0_EEESZ_S10_S11_S18_S1C_S1E_T6_T7_T9_mT8_S1G_bDpT10_ENKUlT_T0_E_clISt17integral_constantIbLb0EES1U_EEDaS1P_S1Q_EUlS1P_E_NS1_11comp_targetILNS1_3genE10ELNS1_11target_archE1200ELNS1_3gpuE4ELNS1_3repE0EEENS1_30default_config_static_selectorELNS0_4arch9wavefront6targetE1EEEvS12_.num_agpr, 0
	.set _ZN7rocprim17ROCPRIM_400000_NS6detail17trampoline_kernelINS0_13select_configILj256ELj13ELNS0_17block_load_methodE3ELS4_3ELS4_3ELNS0_20block_scan_algorithmE0ELj4294967295EEENS1_25partition_config_selectorILNS1_17partition_subalgoE4EjNS0_10empty_typeEbEEZZNS1_14partition_implILS8_4ELb0ES6_15HIP_vector_typeIjLj2EENS0_17counting_iteratorIjlEEPS9_SG_NS0_5tupleIJPjSI_NS0_16reverse_iteratorISI_EEEEENSH_IJSG_SG_SG_EEES9_SI_JZNS1_25segmented_radix_sort_implINS0_14default_configELb1EPKdPdPKlPlN2at6native12_GLOBAL__N_18offset_tEEE10hipError_tPvRmT1_PNSt15iterator_traitsIS12_E10value_typeET2_T3_PNS13_IS18_E10value_typeET4_jRbjT5_S1E_jjP12ihipStream_tbEUljE_ZNSN_ISO_Lb1ESQ_SR_ST_SU_SY_EESZ_S10_S11_S12_S16_S17_S18_S1B_S1C_jS1D_jS1E_S1E_jjS1G_bEUljE0_EEESZ_S10_S11_S18_S1C_S1E_T6_T7_T9_mT8_S1G_bDpT10_ENKUlT_T0_E_clISt17integral_constantIbLb0EES1U_EEDaS1P_S1Q_EUlS1P_E_NS1_11comp_targetILNS1_3genE10ELNS1_11target_archE1200ELNS1_3gpuE4ELNS1_3repE0EEENS1_30default_config_static_selectorELNS0_4arch9wavefront6targetE1EEEvS12_.numbered_sgpr, 0
	.set _ZN7rocprim17ROCPRIM_400000_NS6detail17trampoline_kernelINS0_13select_configILj256ELj13ELNS0_17block_load_methodE3ELS4_3ELS4_3ELNS0_20block_scan_algorithmE0ELj4294967295EEENS1_25partition_config_selectorILNS1_17partition_subalgoE4EjNS0_10empty_typeEbEEZZNS1_14partition_implILS8_4ELb0ES6_15HIP_vector_typeIjLj2EENS0_17counting_iteratorIjlEEPS9_SG_NS0_5tupleIJPjSI_NS0_16reverse_iteratorISI_EEEEENSH_IJSG_SG_SG_EEES9_SI_JZNS1_25segmented_radix_sort_implINS0_14default_configELb1EPKdPdPKlPlN2at6native12_GLOBAL__N_18offset_tEEE10hipError_tPvRmT1_PNSt15iterator_traitsIS12_E10value_typeET2_T3_PNS13_IS18_E10value_typeET4_jRbjT5_S1E_jjP12ihipStream_tbEUljE_ZNSN_ISO_Lb1ESQ_SR_ST_SU_SY_EESZ_S10_S11_S12_S16_S17_S18_S1B_S1C_jS1D_jS1E_S1E_jjS1G_bEUljE0_EEESZ_S10_S11_S18_S1C_S1E_T6_T7_T9_mT8_S1G_bDpT10_ENKUlT_T0_E_clISt17integral_constantIbLb0EES1U_EEDaS1P_S1Q_EUlS1P_E_NS1_11comp_targetILNS1_3genE10ELNS1_11target_archE1200ELNS1_3gpuE4ELNS1_3repE0EEENS1_30default_config_static_selectorELNS0_4arch9wavefront6targetE1EEEvS12_.num_named_barrier, 0
	.set _ZN7rocprim17ROCPRIM_400000_NS6detail17trampoline_kernelINS0_13select_configILj256ELj13ELNS0_17block_load_methodE3ELS4_3ELS4_3ELNS0_20block_scan_algorithmE0ELj4294967295EEENS1_25partition_config_selectorILNS1_17partition_subalgoE4EjNS0_10empty_typeEbEEZZNS1_14partition_implILS8_4ELb0ES6_15HIP_vector_typeIjLj2EENS0_17counting_iteratorIjlEEPS9_SG_NS0_5tupleIJPjSI_NS0_16reverse_iteratorISI_EEEEENSH_IJSG_SG_SG_EEES9_SI_JZNS1_25segmented_radix_sort_implINS0_14default_configELb1EPKdPdPKlPlN2at6native12_GLOBAL__N_18offset_tEEE10hipError_tPvRmT1_PNSt15iterator_traitsIS12_E10value_typeET2_T3_PNS13_IS18_E10value_typeET4_jRbjT5_S1E_jjP12ihipStream_tbEUljE_ZNSN_ISO_Lb1ESQ_SR_ST_SU_SY_EESZ_S10_S11_S12_S16_S17_S18_S1B_S1C_jS1D_jS1E_S1E_jjS1G_bEUljE0_EEESZ_S10_S11_S18_S1C_S1E_T6_T7_T9_mT8_S1G_bDpT10_ENKUlT_T0_E_clISt17integral_constantIbLb0EES1U_EEDaS1P_S1Q_EUlS1P_E_NS1_11comp_targetILNS1_3genE10ELNS1_11target_archE1200ELNS1_3gpuE4ELNS1_3repE0EEENS1_30default_config_static_selectorELNS0_4arch9wavefront6targetE1EEEvS12_.private_seg_size, 0
	.set _ZN7rocprim17ROCPRIM_400000_NS6detail17trampoline_kernelINS0_13select_configILj256ELj13ELNS0_17block_load_methodE3ELS4_3ELS4_3ELNS0_20block_scan_algorithmE0ELj4294967295EEENS1_25partition_config_selectorILNS1_17partition_subalgoE4EjNS0_10empty_typeEbEEZZNS1_14partition_implILS8_4ELb0ES6_15HIP_vector_typeIjLj2EENS0_17counting_iteratorIjlEEPS9_SG_NS0_5tupleIJPjSI_NS0_16reverse_iteratorISI_EEEEENSH_IJSG_SG_SG_EEES9_SI_JZNS1_25segmented_radix_sort_implINS0_14default_configELb1EPKdPdPKlPlN2at6native12_GLOBAL__N_18offset_tEEE10hipError_tPvRmT1_PNSt15iterator_traitsIS12_E10value_typeET2_T3_PNS13_IS18_E10value_typeET4_jRbjT5_S1E_jjP12ihipStream_tbEUljE_ZNSN_ISO_Lb1ESQ_SR_ST_SU_SY_EESZ_S10_S11_S12_S16_S17_S18_S1B_S1C_jS1D_jS1E_S1E_jjS1G_bEUljE0_EEESZ_S10_S11_S18_S1C_S1E_T6_T7_T9_mT8_S1G_bDpT10_ENKUlT_T0_E_clISt17integral_constantIbLb0EES1U_EEDaS1P_S1Q_EUlS1P_E_NS1_11comp_targetILNS1_3genE10ELNS1_11target_archE1200ELNS1_3gpuE4ELNS1_3repE0EEENS1_30default_config_static_selectorELNS0_4arch9wavefront6targetE1EEEvS12_.uses_vcc, 0
	.set _ZN7rocprim17ROCPRIM_400000_NS6detail17trampoline_kernelINS0_13select_configILj256ELj13ELNS0_17block_load_methodE3ELS4_3ELS4_3ELNS0_20block_scan_algorithmE0ELj4294967295EEENS1_25partition_config_selectorILNS1_17partition_subalgoE4EjNS0_10empty_typeEbEEZZNS1_14partition_implILS8_4ELb0ES6_15HIP_vector_typeIjLj2EENS0_17counting_iteratorIjlEEPS9_SG_NS0_5tupleIJPjSI_NS0_16reverse_iteratorISI_EEEEENSH_IJSG_SG_SG_EEES9_SI_JZNS1_25segmented_radix_sort_implINS0_14default_configELb1EPKdPdPKlPlN2at6native12_GLOBAL__N_18offset_tEEE10hipError_tPvRmT1_PNSt15iterator_traitsIS12_E10value_typeET2_T3_PNS13_IS18_E10value_typeET4_jRbjT5_S1E_jjP12ihipStream_tbEUljE_ZNSN_ISO_Lb1ESQ_SR_ST_SU_SY_EESZ_S10_S11_S12_S16_S17_S18_S1B_S1C_jS1D_jS1E_S1E_jjS1G_bEUljE0_EEESZ_S10_S11_S18_S1C_S1E_T6_T7_T9_mT8_S1G_bDpT10_ENKUlT_T0_E_clISt17integral_constantIbLb0EES1U_EEDaS1P_S1Q_EUlS1P_E_NS1_11comp_targetILNS1_3genE10ELNS1_11target_archE1200ELNS1_3gpuE4ELNS1_3repE0EEENS1_30default_config_static_selectorELNS0_4arch9wavefront6targetE1EEEvS12_.uses_flat_scratch, 0
	.set _ZN7rocprim17ROCPRIM_400000_NS6detail17trampoline_kernelINS0_13select_configILj256ELj13ELNS0_17block_load_methodE3ELS4_3ELS4_3ELNS0_20block_scan_algorithmE0ELj4294967295EEENS1_25partition_config_selectorILNS1_17partition_subalgoE4EjNS0_10empty_typeEbEEZZNS1_14partition_implILS8_4ELb0ES6_15HIP_vector_typeIjLj2EENS0_17counting_iteratorIjlEEPS9_SG_NS0_5tupleIJPjSI_NS0_16reverse_iteratorISI_EEEEENSH_IJSG_SG_SG_EEES9_SI_JZNS1_25segmented_radix_sort_implINS0_14default_configELb1EPKdPdPKlPlN2at6native12_GLOBAL__N_18offset_tEEE10hipError_tPvRmT1_PNSt15iterator_traitsIS12_E10value_typeET2_T3_PNS13_IS18_E10value_typeET4_jRbjT5_S1E_jjP12ihipStream_tbEUljE_ZNSN_ISO_Lb1ESQ_SR_ST_SU_SY_EESZ_S10_S11_S12_S16_S17_S18_S1B_S1C_jS1D_jS1E_S1E_jjS1G_bEUljE0_EEESZ_S10_S11_S18_S1C_S1E_T6_T7_T9_mT8_S1G_bDpT10_ENKUlT_T0_E_clISt17integral_constantIbLb0EES1U_EEDaS1P_S1Q_EUlS1P_E_NS1_11comp_targetILNS1_3genE10ELNS1_11target_archE1200ELNS1_3gpuE4ELNS1_3repE0EEENS1_30default_config_static_selectorELNS0_4arch9wavefront6targetE1EEEvS12_.has_dyn_sized_stack, 0
	.set _ZN7rocprim17ROCPRIM_400000_NS6detail17trampoline_kernelINS0_13select_configILj256ELj13ELNS0_17block_load_methodE3ELS4_3ELS4_3ELNS0_20block_scan_algorithmE0ELj4294967295EEENS1_25partition_config_selectorILNS1_17partition_subalgoE4EjNS0_10empty_typeEbEEZZNS1_14partition_implILS8_4ELb0ES6_15HIP_vector_typeIjLj2EENS0_17counting_iteratorIjlEEPS9_SG_NS0_5tupleIJPjSI_NS0_16reverse_iteratorISI_EEEEENSH_IJSG_SG_SG_EEES9_SI_JZNS1_25segmented_radix_sort_implINS0_14default_configELb1EPKdPdPKlPlN2at6native12_GLOBAL__N_18offset_tEEE10hipError_tPvRmT1_PNSt15iterator_traitsIS12_E10value_typeET2_T3_PNS13_IS18_E10value_typeET4_jRbjT5_S1E_jjP12ihipStream_tbEUljE_ZNSN_ISO_Lb1ESQ_SR_ST_SU_SY_EESZ_S10_S11_S12_S16_S17_S18_S1B_S1C_jS1D_jS1E_S1E_jjS1G_bEUljE0_EEESZ_S10_S11_S18_S1C_S1E_T6_T7_T9_mT8_S1G_bDpT10_ENKUlT_T0_E_clISt17integral_constantIbLb0EES1U_EEDaS1P_S1Q_EUlS1P_E_NS1_11comp_targetILNS1_3genE10ELNS1_11target_archE1200ELNS1_3gpuE4ELNS1_3repE0EEENS1_30default_config_static_selectorELNS0_4arch9wavefront6targetE1EEEvS12_.has_recursion, 0
	.set _ZN7rocprim17ROCPRIM_400000_NS6detail17trampoline_kernelINS0_13select_configILj256ELj13ELNS0_17block_load_methodE3ELS4_3ELS4_3ELNS0_20block_scan_algorithmE0ELj4294967295EEENS1_25partition_config_selectorILNS1_17partition_subalgoE4EjNS0_10empty_typeEbEEZZNS1_14partition_implILS8_4ELb0ES6_15HIP_vector_typeIjLj2EENS0_17counting_iteratorIjlEEPS9_SG_NS0_5tupleIJPjSI_NS0_16reverse_iteratorISI_EEEEENSH_IJSG_SG_SG_EEES9_SI_JZNS1_25segmented_radix_sort_implINS0_14default_configELb1EPKdPdPKlPlN2at6native12_GLOBAL__N_18offset_tEEE10hipError_tPvRmT1_PNSt15iterator_traitsIS12_E10value_typeET2_T3_PNS13_IS18_E10value_typeET4_jRbjT5_S1E_jjP12ihipStream_tbEUljE_ZNSN_ISO_Lb1ESQ_SR_ST_SU_SY_EESZ_S10_S11_S12_S16_S17_S18_S1B_S1C_jS1D_jS1E_S1E_jjS1G_bEUljE0_EEESZ_S10_S11_S18_S1C_S1E_T6_T7_T9_mT8_S1G_bDpT10_ENKUlT_T0_E_clISt17integral_constantIbLb0EES1U_EEDaS1P_S1Q_EUlS1P_E_NS1_11comp_targetILNS1_3genE10ELNS1_11target_archE1200ELNS1_3gpuE4ELNS1_3repE0EEENS1_30default_config_static_selectorELNS0_4arch9wavefront6targetE1EEEvS12_.has_indirect_call, 0
	.section	.AMDGPU.csdata,"",@progbits
; Kernel info:
; codeLenInByte = 0
; TotalNumSgprs: 4
; NumVgprs: 0
; ScratchSize: 0
; MemoryBound: 0
; FloatMode: 240
; IeeeMode: 1
; LDSByteSize: 0 bytes/workgroup (compile time only)
; SGPRBlocks: 0
; VGPRBlocks: 0
; NumSGPRsForWavesPerEU: 4
; NumVGPRsForWavesPerEU: 1
; Occupancy: 10
; WaveLimiterHint : 0
; COMPUTE_PGM_RSRC2:SCRATCH_EN: 0
; COMPUTE_PGM_RSRC2:USER_SGPR: 6
; COMPUTE_PGM_RSRC2:TRAP_HANDLER: 0
; COMPUTE_PGM_RSRC2:TGID_X_EN: 1
; COMPUTE_PGM_RSRC2:TGID_Y_EN: 0
; COMPUTE_PGM_RSRC2:TGID_Z_EN: 0
; COMPUTE_PGM_RSRC2:TIDIG_COMP_CNT: 0
	.section	.text._ZN7rocprim17ROCPRIM_400000_NS6detail17trampoline_kernelINS0_13select_configILj256ELj13ELNS0_17block_load_methodE3ELS4_3ELS4_3ELNS0_20block_scan_algorithmE0ELj4294967295EEENS1_25partition_config_selectorILNS1_17partition_subalgoE4EjNS0_10empty_typeEbEEZZNS1_14partition_implILS8_4ELb0ES6_15HIP_vector_typeIjLj2EENS0_17counting_iteratorIjlEEPS9_SG_NS0_5tupleIJPjSI_NS0_16reverse_iteratorISI_EEEEENSH_IJSG_SG_SG_EEES9_SI_JZNS1_25segmented_radix_sort_implINS0_14default_configELb1EPKdPdPKlPlN2at6native12_GLOBAL__N_18offset_tEEE10hipError_tPvRmT1_PNSt15iterator_traitsIS12_E10value_typeET2_T3_PNS13_IS18_E10value_typeET4_jRbjT5_S1E_jjP12ihipStream_tbEUljE_ZNSN_ISO_Lb1ESQ_SR_ST_SU_SY_EESZ_S10_S11_S12_S16_S17_S18_S1B_S1C_jS1D_jS1E_S1E_jjS1G_bEUljE0_EEESZ_S10_S11_S18_S1C_S1E_T6_T7_T9_mT8_S1G_bDpT10_ENKUlT_T0_E_clISt17integral_constantIbLb0EES1U_EEDaS1P_S1Q_EUlS1P_E_NS1_11comp_targetILNS1_3genE9ELNS1_11target_archE1100ELNS1_3gpuE3ELNS1_3repE0EEENS1_30default_config_static_selectorELNS0_4arch9wavefront6targetE1EEEvS12_,"axG",@progbits,_ZN7rocprim17ROCPRIM_400000_NS6detail17trampoline_kernelINS0_13select_configILj256ELj13ELNS0_17block_load_methodE3ELS4_3ELS4_3ELNS0_20block_scan_algorithmE0ELj4294967295EEENS1_25partition_config_selectorILNS1_17partition_subalgoE4EjNS0_10empty_typeEbEEZZNS1_14partition_implILS8_4ELb0ES6_15HIP_vector_typeIjLj2EENS0_17counting_iteratorIjlEEPS9_SG_NS0_5tupleIJPjSI_NS0_16reverse_iteratorISI_EEEEENSH_IJSG_SG_SG_EEES9_SI_JZNS1_25segmented_radix_sort_implINS0_14default_configELb1EPKdPdPKlPlN2at6native12_GLOBAL__N_18offset_tEEE10hipError_tPvRmT1_PNSt15iterator_traitsIS12_E10value_typeET2_T3_PNS13_IS18_E10value_typeET4_jRbjT5_S1E_jjP12ihipStream_tbEUljE_ZNSN_ISO_Lb1ESQ_SR_ST_SU_SY_EESZ_S10_S11_S12_S16_S17_S18_S1B_S1C_jS1D_jS1E_S1E_jjS1G_bEUljE0_EEESZ_S10_S11_S18_S1C_S1E_T6_T7_T9_mT8_S1G_bDpT10_ENKUlT_T0_E_clISt17integral_constantIbLb0EES1U_EEDaS1P_S1Q_EUlS1P_E_NS1_11comp_targetILNS1_3genE9ELNS1_11target_archE1100ELNS1_3gpuE3ELNS1_3repE0EEENS1_30default_config_static_selectorELNS0_4arch9wavefront6targetE1EEEvS12_,comdat
	.globl	_ZN7rocprim17ROCPRIM_400000_NS6detail17trampoline_kernelINS0_13select_configILj256ELj13ELNS0_17block_load_methodE3ELS4_3ELS4_3ELNS0_20block_scan_algorithmE0ELj4294967295EEENS1_25partition_config_selectorILNS1_17partition_subalgoE4EjNS0_10empty_typeEbEEZZNS1_14partition_implILS8_4ELb0ES6_15HIP_vector_typeIjLj2EENS0_17counting_iteratorIjlEEPS9_SG_NS0_5tupleIJPjSI_NS0_16reverse_iteratorISI_EEEEENSH_IJSG_SG_SG_EEES9_SI_JZNS1_25segmented_radix_sort_implINS0_14default_configELb1EPKdPdPKlPlN2at6native12_GLOBAL__N_18offset_tEEE10hipError_tPvRmT1_PNSt15iterator_traitsIS12_E10value_typeET2_T3_PNS13_IS18_E10value_typeET4_jRbjT5_S1E_jjP12ihipStream_tbEUljE_ZNSN_ISO_Lb1ESQ_SR_ST_SU_SY_EESZ_S10_S11_S12_S16_S17_S18_S1B_S1C_jS1D_jS1E_S1E_jjS1G_bEUljE0_EEESZ_S10_S11_S18_S1C_S1E_T6_T7_T9_mT8_S1G_bDpT10_ENKUlT_T0_E_clISt17integral_constantIbLb0EES1U_EEDaS1P_S1Q_EUlS1P_E_NS1_11comp_targetILNS1_3genE9ELNS1_11target_archE1100ELNS1_3gpuE3ELNS1_3repE0EEENS1_30default_config_static_selectorELNS0_4arch9wavefront6targetE1EEEvS12_ ; -- Begin function _ZN7rocprim17ROCPRIM_400000_NS6detail17trampoline_kernelINS0_13select_configILj256ELj13ELNS0_17block_load_methodE3ELS4_3ELS4_3ELNS0_20block_scan_algorithmE0ELj4294967295EEENS1_25partition_config_selectorILNS1_17partition_subalgoE4EjNS0_10empty_typeEbEEZZNS1_14partition_implILS8_4ELb0ES6_15HIP_vector_typeIjLj2EENS0_17counting_iteratorIjlEEPS9_SG_NS0_5tupleIJPjSI_NS0_16reverse_iteratorISI_EEEEENSH_IJSG_SG_SG_EEES9_SI_JZNS1_25segmented_radix_sort_implINS0_14default_configELb1EPKdPdPKlPlN2at6native12_GLOBAL__N_18offset_tEEE10hipError_tPvRmT1_PNSt15iterator_traitsIS12_E10value_typeET2_T3_PNS13_IS18_E10value_typeET4_jRbjT5_S1E_jjP12ihipStream_tbEUljE_ZNSN_ISO_Lb1ESQ_SR_ST_SU_SY_EESZ_S10_S11_S12_S16_S17_S18_S1B_S1C_jS1D_jS1E_S1E_jjS1G_bEUljE0_EEESZ_S10_S11_S18_S1C_S1E_T6_T7_T9_mT8_S1G_bDpT10_ENKUlT_T0_E_clISt17integral_constantIbLb0EES1U_EEDaS1P_S1Q_EUlS1P_E_NS1_11comp_targetILNS1_3genE9ELNS1_11target_archE1100ELNS1_3gpuE3ELNS1_3repE0EEENS1_30default_config_static_selectorELNS0_4arch9wavefront6targetE1EEEvS12_
	.p2align	8
	.type	_ZN7rocprim17ROCPRIM_400000_NS6detail17trampoline_kernelINS0_13select_configILj256ELj13ELNS0_17block_load_methodE3ELS4_3ELS4_3ELNS0_20block_scan_algorithmE0ELj4294967295EEENS1_25partition_config_selectorILNS1_17partition_subalgoE4EjNS0_10empty_typeEbEEZZNS1_14partition_implILS8_4ELb0ES6_15HIP_vector_typeIjLj2EENS0_17counting_iteratorIjlEEPS9_SG_NS0_5tupleIJPjSI_NS0_16reverse_iteratorISI_EEEEENSH_IJSG_SG_SG_EEES9_SI_JZNS1_25segmented_radix_sort_implINS0_14default_configELb1EPKdPdPKlPlN2at6native12_GLOBAL__N_18offset_tEEE10hipError_tPvRmT1_PNSt15iterator_traitsIS12_E10value_typeET2_T3_PNS13_IS18_E10value_typeET4_jRbjT5_S1E_jjP12ihipStream_tbEUljE_ZNSN_ISO_Lb1ESQ_SR_ST_SU_SY_EESZ_S10_S11_S12_S16_S17_S18_S1B_S1C_jS1D_jS1E_S1E_jjS1G_bEUljE0_EEESZ_S10_S11_S18_S1C_S1E_T6_T7_T9_mT8_S1G_bDpT10_ENKUlT_T0_E_clISt17integral_constantIbLb0EES1U_EEDaS1P_S1Q_EUlS1P_E_NS1_11comp_targetILNS1_3genE9ELNS1_11target_archE1100ELNS1_3gpuE3ELNS1_3repE0EEENS1_30default_config_static_selectorELNS0_4arch9wavefront6targetE1EEEvS12_,@function
_ZN7rocprim17ROCPRIM_400000_NS6detail17trampoline_kernelINS0_13select_configILj256ELj13ELNS0_17block_load_methodE3ELS4_3ELS4_3ELNS0_20block_scan_algorithmE0ELj4294967295EEENS1_25partition_config_selectorILNS1_17partition_subalgoE4EjNS0_10empty_typeEbEEZZNS1_14partition_implILS8_4ELb0ES6_15HIP_vector_typeIjLj2EENS0_17counting_iteratorIjlEEPS9_SG_NS0_5tupleIJPjSI_NS0_16reverse_iteratorISI_EEEEENSH_IJSG_SG_SG_EEES9_SI_JZNS1_25segmented_radix_sort_implINS0_14default_configELb1EPKdPdPKlPlN2at6native12_GLOBAL__N_18offset_tEEE10hipError_tPvRmT1_PNSt15iterator_traitsIS12_E10value_typeET2_T3_PNS13_IS18_E10value_typeET4_jRbjT5_S1E_jjP12ihipStream_tbEUljE_ZNSN_ISO_Lb1ESQ_SR_ST_SU_SY_EESZ_S10_S11_S12_S16_S17_S18_S1B_S1C_jS1D_jS1E_S1E_jjS1G_bEUljE0_EEESZ_S10_S11_S18_S1C_S1E_T6_T7_T9_mT8_S1G_bDpT10_ENKUlT_T0_E_clISt17integral_constantIbLb0EES1U_EEDaS1P_S1Q_EUlS1P_E_NS1_11comp_targetILNS1_3genE9ELNS1_11target_archE1100ELNS1_3gpuE3ELNS1_3repE0EEENS1_30default_config_static_selectorELNS0_4arch9wavefront6targetE1EEEvS12_: ; @_ZN7rocprim17ROCPRIM_400000_NS6detail17trampoline_kernelINS0_13select_configILj256ELj13ELNS0_17block_load_methodE3ELS4_3ELS4_3ELNS0_20block_scan_algorithmE0ELj4294967295EEENS1_25partition_config_selectorILNS1_17partition_subalgoE4EjNS0_10empty_typeEbEEZZNS1_14partition_implILS8_4ELb0ES6_15HIP_vector_typeIjLj2EENS0_17counting_iteratorIjlEEPS9_SG_NS0_5tupleIJPjSI_NS0_16reverse_iteratorISI_EEEEENSH_IJSG_SG_SG_EEES9_SI_JZNS1_25segmented_radix_sort_implINS0_14default_configELb1EPKdPdPKlPlN2at6native12_GLOBAL__N_18offset_tEEE10hipError_tPvRmT1_PNSt15iterator_traitsIS12_E10value_typeET2_T3_PNS13_IS18_E10value_typeET4_jRbjT5_S1E_jjP12ihipStream_tbEUljE_ZNSN_ISO_Lb1ESQ_SR_ST_SU_SY_EESZ_S10_S11_S12_S16_S17_S18_S1B_S1C_jS1D_jS1E_S1E_jjS1G_bEUljE0_EEESZ_S10_S11_S18_S1C_S1E_T6_T7_T9_mT8_S1G_bDpT10_ENKUlT_T0_E_clISt17integral_constantIbLb0EES1U_EEDaS1P_S1Q_EUlS1P_E_NS1_11comp_targetILNS1_3genE9ELNS1_11target_archE1100ELNS1_3gpuE3ELNS1_3repE0EEENS1_30default_config_static_selectorELNS0_4arch9wavefront6targetE1EEEvS12_
; %bb.0:
	.section	.rodata,"a",@progbits
	.p2align	6, 0x0
	.amdhsa_kernel _ZN7rocprim17ROCPRIM_400000_NS6detail17trampoline_kernelINS0_13select_configILj256ELj13ELNS0_17block_load_methodE3ELS4_3ELS4_3ELNS0_20block_scan_algorithmE0ELj4294967295EEENS1_25partition_config_selectorILNS1_17partition_subalgoE4EjNS0_10empty_typeEbEEZZNS1_14partition_implILS8_4ELb0ES6_15HIP_vector_typeIjLj2EENS0_17counting_iteratorIjlEEPS9_SG_NS0_5tupleIJPjSI_NS0_16reverse_iteratorISI_EEEEENSH_IJSG_SG_SG_EEES9_SI_JZNS1_25segmented_radix_sort_implINS0_14default_configELb1EPKdPdPKlPlN2at6native12_GLOBAL__N_18offset_tEEE10hipError_tPvRmT1_PNSt15iterator_traitsIS12_E10value_typeET2_T3_PNS13_IS18_E10value_typeET4_jRbjT5_S1E_jjP12ihipStream_tbEUljE_ZNSN_ISO_Lb1ESQ_SR_ST_SU_SY_EESZ_S10_S11_S12_S16_S17_S18_S1B_S1C_jS1D_jS1E_S1E_jjS1G_bEUljE0_EEESZ_S10_S11_S18_S1C_S1E_T6_T7_T9_mT8_S1G_bDpT10_ENKUlT_T0_E_clISt17integral_constantIbLb0EES1U_EEDaS1P_S1Q_EUlS1P_E_NS1_11comp_targetILNS1_3genE9ELNS1_11target_archE1100ELNS1_3gpuE3ELNS1_3repE0EEENS1_30default_config_static_selectorELNS0_4arch9wavefront6targetE1EEEvS12_
		.amdhsa_group_segment_fixed_size 0
		.amdhsa_private_segment_fixed_size 0
		.amdhsa_kernarg_size 176
		.amdhsa_user_sgpr_count 6
		.amdhsa_user_sgpr_private_segment_buffer 1
		.amdhsa_user_sgpr_dispatch_ptr 0
		.amdhsa_user_sgpr_queue_ptr 0
		.amdhsa_user_sgpr_kernarg_segment_ptr 1
		.amdhsa_user_sgpr_dispatch_id 0
		.amdhsa_user_sgpr_flat_scratch_init 0
		.amdhsa_user_sgpr_private_segment_size 0
		.amdhsa_uses_dynamic_stack 0
		.amdhsa_system_sgpr_private_segment_wavefront_offset 0
		.amdhsa_system_sgpr_workgroup_id_x 1
		.amdhsa_system_sgpr_workgroup_id_y 0
		.amdhsa_system_sgpr_workgroup_id_z 0
		.amdhsa_system_sgpr_workgroup_info 0
		.amdhsa_system_vgpr_workitem_id 0
		.amdhsa_next_free_vgpr 1
		.amdhsa_next_free_sgpr 0
		.amdhsa_reserve_vcc 0
		.amdhsa_reserve_flat_scratch 0
		.amdhsa_float_round_mode_32 0
		.amdhsa_float_round_mode_16_64 0
		.amdhsa_float_denorm_mode_32 3
		.amdhsa_float_denorm_mode_16_64 3
		.amdhsa_dx10_clamp 1
		.amdhsa_ieee_mode 1
		.amdhsa_fp16_overflow 0
		.amdhsa_exception_fp_ieee_invalid_op 0
		.amdhsa_exception_fp_denorm_src 0
		.amdhsa_exception_fp_ieee_div_zero 0
		.amdhsa_exception_fp_ieee_overflow 0
		.amdhsa_exception_fp_ieee_underflow 0
		.amdhsa_exception_fp_ieee_inexact 0
		.amdhsa_exception_int_div_zero 0
	.end_amdhsa_kernel
	.section	.text._ZN7rocprim17ROCPRIM_400000_NS6detail17trampoline_kernelINS0_13select_configILj256ELj13ELNS0_17block_load_methodE3ELS4_3ELS4_3ELNS0_20block_scan_algorithmE0ELj4294967295EEENS1_25partition_config_selectorILNS1_17partition_subalgoE4EjNS0_10empty_typeEbEEZZNS1_14partition_implILS8_4ELb0ES6_15HIP_vector_typeIjLj2EENS0_17counting_iteratorIjlEEPS9_SG_NS0_5tupleIJPjSI_NS0_16reverse_iteratorISI_EEEEENSH_IJSG_SG_SG_EEES9_SI_JZNS1_25segmented_radix_sort_implINS0_14default_configELb1EPKdPdPKlPlN2at6native12_GLOBAL__N_18offset_tEEE10hipError_tPvRmT1_PNSt15iterator_traitsIS12_E10value_typeET2_T3_PNS13_IS18_E10value_typeET4_jRbjT5_S1E_jjP12ihipStream_tbEUljE_ZNSN_ISO_Lb1ESQ_SR_ST_SU_SY_EESZ_S10_S11_S12_S16_S17_S18_S1B_S1C_jS1D_jS1E_S1E_jjS1G_bEUljE0_EEESZ_S10_S11_S18_S1C_S1E_T6_T7_T9_mT8_S1G_bDpT10_ENKUlT_T0_E_clISt17integral_constantIbLb0EES1U_EEDaS1P_S1Q_EUlS1P_E_NS1_11comp_targetILNS1_3genE9ELNS1_11target_archE1100ELNS1_3gpuE3ELNS1_3repE0EEENS1_30default_config_static_selectorELNS0_4arch9wavefront6targetE1EEEvS12_,"axG",@progbits,_ZN7rocprim17ROCPRIM_400000_NS6detail17trampoline_kernelINS0_13select_configILj256ELj13ELNS0_17block_load_methodE3ELS4_3ELS4_3ELNS0_20block_scan_algorithmE0ELj4294967295EEENS1_25partition_config_selectorILNS1_17partition_subalgoE4EjNS0_10empty_typeEbEEZZNS1_14partition_implILS8_4ELb0ES6_15HIP_vector_typeIjLj2EENS0_17counting_iteratorIjlEEPS9_SG_NS0_5tupleIJPjSI_NS0_16reverse_iteratorISI_EEEEENSH_IJSG_SG_SG_EEES9_SI_JZNS1_25segmented_radix_sort_implINS0_14default_configELb1EPKdPdPKlPlN2at6native12_GLOBAL__N_18offset_tEEE10hipError_tPvRmT1_PNSt15iterator_traitsIS12_E10value_typeET2_T3_PNS13_IS18_E10value_typeET4_jRbjT5_S1E_jjP12ihipStream_tbEUljE_ZNSN_ISO_Lb1ESQ_SR_ST_SU_SY_EESZ_S10_S11_S12_S16_S17_S18_S1B_S1C_jS1D_jS1E_S1E_jjS1G_bEUljE0_EEESZ_S10_S11_S18_S1C_S1E_T6_T7_T9_mT8_S1G_bDpT10_ENKUlT_T0_E_clISt17integral_constantIbLb0EES1U_EEDaS1P_S1Q_EUlS1P_E_NS1_11comp_targetILNS1_3genE9ELNS1_11target_archE1100ELNS1_3gpuE3ELNS1_3repE0EEENS1_30default_config_static_selectorELNS0_4arch9wavefront6targetE1EEEvS12_,comdat
.Lfunc_end1060:
	.size	_ZN7rocprim17ROCPRIM_400000_NS6detail17trampoline_kernelINS0_13select_configILj256ELj13ELNS0_17block_load_methodE3ELS4_3ELS4_3ELNS0_20block_scan_algorithmE0ELj4294967295EEENS1_25partition_config_selectorILNS1_17partition_subalgoE4EjNS0_10empty_typeEbEEZZNS1_14partition_implILS8_4ELb0ES6_15HIP_vector_typeIjLj2EENS0_17counting_iteratorIjlEEPS9_SG_NS0_5tupleIJPjSI_NS0_16reverse_iteratorISI_EEEEENSH_IJSG_SG_SG_EEES9_SI_JZNS1_25segmented_radix_sort_implINS0_14default_configELb1EPKdPdPKlPlN2at6native12_GLOBAL__N_18offset_tEEE10hipError_tPvRmT1_PNSt15iterator_traitsIS12_E10value_typeET2_T3_PNS13_IS18_E10value_typeET4_jRbjT5_S1E_jjP12ihipStream_tbEUljE_ZNSN_ISO_Lb1ESQ_SR_ST_SU_SY_EESZ_S10_S11_S12_S16_S17_S18_S1B_S1C_jS1D_jS1E_S1E_jjS1G_bEUljE0_EEESZ_S10_S11_S18_S1C_S1E_T6_T7_T9_mT8_S1G_bDpT10_ENKUlT_T0_E_clISt17integral_constantIbLb0EES1U_EEDaS1P_S1Q_EUlS1P_E_NS1_11comp_targetILNS1_3genE9ELNS1_11target_archE1100ELNS1_3gpuE3ELNS1_3repE0EEENS1_30default_config_static_selectorELNS0_4arch9wavefront6targetE1EEEvS12_, .Lfunc_end1060-_ZN7rocprim17ROCPRIM_400000_NS6detail17trampoline_kernelINS0_13select_configILj256ELj13ELNS0_17block_load_methodE3ELS4_3ELS4_3ELNS0_20block_scan_algorithmE0ELj4294967295EEENS1_25partition_config_selectorILNS1_17partition_subalgoE4EjNS0_10empty_typeEbEEZZNS1_14partition_implILS8_4ELb0ES6_15HIP_vector_typeIjLj2EENS0_17counting_iteratorIjlEEPS9_SG_NS0_5tupleIJPjSI_NS0_16reverse_iteratorISI_EEEEENSH_IJSG_SG_SG_EEES9_SI_JZNS1_25segmented_radix_sort_implINS0_14default_configELb1EPKdPdPKlPlN2at6native12_GLOBAL__N_18offset_tEEE10hipError_tPvRmT1_PNSt15iterator_traitsIS12_E10value_typeET2_T3_PNS13_IS18_E10value_typeET4_jRbjT5_S1E_jjP12ihipStream_tbEUljE_ZNSN_ISO_Lb1ESQ_SR_ST_SU_SY_EESZ_S10_S11_S12_S16_S17_S18_S1B_S1C_jS1D_jS1E_S1E_jjS1G_bEUljE0_EEESZ_S10_S11_S18_S1C_S1E_T6_T7_T9_mT8_S1G_bDpT10_ENKUlT_T0_E_clISt17integral_constantIbLb0EES1U_EEDaS1P_S1Q_EUlS1P_E_NS1_11comp_targetILNS1_3genE9ELNS1_11target_archE1100ELNS1_3gpuE3ELNS1_3repE0EEENS1_30default_config_static_selectorELNS0_4arch9wavefront6targetE1EEEvS12_
                                        ; -- End function
	.set _ZN7rocprim17ROCPRIM_400000_NS6detail17trampoline_kernelINS0_13select_configILj256ELj13ELNS0_17block_load_methodE3ELS4_3ELS4_3ELNS0_20block_scan_algorithmE0ELj4294967295EEENS1_25partition_config_selectorILNS1_17partition_subalgoE4EjNS0_10empty_typeEbEEZZNS1_14partition_implILS8_4ELb0ES6_15HIP_vector_typeIjLj2EENS0_17counting_iteratorIjlEEPS9_SG_NS0_5tupleIJPjSI_NS0_16reverse_iteratorISI_EEEEENSH_IJSG_SG_SG_EEES9_SI_JZNS1_25segmented_radix_sort_implINS0_14default_configELb1EPKdPdPKlPlN2at6native12_GLOBAL__N_18offset_tEEE10hipError_tPvRmT1_PNSt15iterator_traitsIS12_E10value_typeET2_T3_PNS13_IS18_E10value_typeET4_jRbjT5_S1E_jjP12ihipStream_tbEUljE_ZNSN_ISO_Lb1ESQ_SR_ST_SU_SY_EESZ_S10_S11_S12_S16_S17_S18_S1B_S1C_jS1D_jS1E_S1E_jjS1G_bEUljE0_EEESZ_S10_S11_S18_S1C_S1E_T6_T7_T9_mT8_S1G_bDpT10_ENKUlT_T0_E_clISt17integral_constantIbLb0EES1U_EEDaS1P_S1Q_EUlS1P_E_NS1_11comp_targetILNS1_3genE9ELNS1_11target_archE1100ELNS1_3gpuE3ELNS1_3repE0EEENS1_30default_config_static_selectorELNS0_4arch9wavefront6targetE1EEEvS12_.num_vgpr, 0
	.set _ZN7rocprim17ROCPRIM_400000_NS6detail17trampoline_kernelINS0_13select_configILj256ELj13ELNS0_17block_load_methodE3ELS4_3ELS4_3ELNS0_20block_scan_algorithmE0ELj4294967295EEENS1_25partition_config_selectorILNS1_17partition_subalgoE4EjNS0_10empty_typeEbEEZZNS1_14partition_implILS8_4ELb0ES6_15HIP_vector_typeIjLj2EENS0_17counting_iteratorIjlEEPS9_SG_NS0_5tupleIJPjSI_NS0_16reverse_iteratorISI_EEEEENSH_IJSG_SG_SG_EEES9_SI_JZNS1_25segmented_radix_sort_implINS0_14default_configELb1EPKdPdPKlPlN2at6native12_GLOBAL__N_18offset_tEEE10hipError_tPvRmT1_PNSt15iterator_traitsIS12_E10value_typeET2_T3_PNS13_IS18_E10value_typeET4_jRbjT5_S1E_jjP12ihipStream_tbEUljE_ZNSN_ISO_Lb1ESQ_SR_ST_SU_SY_EESZ_S10_S11_S12_S16_S17_S18_S1B_S1C_jS1D_jS1E_S1E_jjS1G_bEUljE0_EEESZ_S10_S11_S18_S1C_S1E_T6_T7_T9_mT8_S1G_bDpT10_ENKUlT_T0_E_clISt17integral_constantIbLb0EES1U_EEDaS1P_S1Q_EUlS1P_E_NS1_11comp_targetILNS1_3genE9ELNS1_11target_archE1100ELNS1_3gpuE3ELNS1_3repE0EEENS1_30default_config_static_selectorELNS0_4arch9wavefront6targetE1EEEvS12_.num_agpr, 0
	.set _ZN7rocprim17ROCPRIM_400000_NS6detail17trampoline_kernelINS0_13select_configILj256ELj13ELNS0_17block_load_methodE3ELS4_3ELS4_3ELNS0_20block_scan_algorithmE0ELj4294967295EEENS1_25partition_config_selectorILNS1_17partition_subalgoE4EjNS0_10empty_typeEbEEZZNS1_14partition_implILS8_4ELb0ES6_15HIP_vector_typeIjLj2EENS0_17counting_iteratorIjlEEPS9_SG_NS0_5tupleIJPjSI_NS0_16reverse_iteratorISI_EEEEENSH_IJSG_SG_SG_EEES9_SI_JZNS1_25segmented_radix_sort_implINS0_14default_configELb1EPKdPdPKlPlN2at6native12_GLOBAL__N_18offset_tEEE10hipError_tPvRmT1_PNSt15iterator_traitsIS12_E10value_typeET2_T3_PNS13_IS18_E10value_typeET4_jRbjT5_S1E_jjP12ihipStream_tbEUljE_ZNSN_ISO_Lb1ESQ_SR_ST_SU_SY_EESZ_S10_S11_S12_S16_S17_S18_S1B_S1C_jS1D_jS1E_S1E_jjS1G_bEUljE0_EEESZ_S10_S11_S18_S1C_S1E_T6_T7_T9_mT8_S1G_bDpT10_ENKUlT_T0_E_clISt17integral_constantIbLb0EES1U_EEDaS1P_S1Q_EUlS1P_E_NS1_11comp_targetILNS1_3genE9ELNS1_11target_archE1100ELNS1_3gpuE3ELNS1_3repE0EEENS1_30default_config_static_selectorELNS0_4arch9wavefront6targetE1EEEvS12_.numbered_sgpr, 0
	.set _ZN7rocprim17ROCPRIM_400000_NS6detail17trampoline_kernelINS0_13select_configILj256ELj13ELNS0_17block_load_methodE3ELS4_3ELS4_3ELNS0_20block_scan_algorithmE0ELj4294967295EEENS1_25partition_config_selectorILNS1_17partition_subalgoE4EjNS0_10empty_typeEbEEZZNS1_14partition_implILS8_4ELb0ES6_15HIP_vector_typeIjLj2EENS0_17counting_iteratorIjlEEPS9_SG_NS0_5tupleIJPjSI_NS0_16reverse_iteratorISI_EEEEENSH_IJSG_SG_SG_EEES9_SI_JZNS1_25segmented_radix_sort_implINS0_14default_configELb1EPKdPdPKlPlN2at6native12_GLOBAL__N_18offset_tEEE10hipError_tPvRmT1_PNSt15iterator_traitsIS12_E10value_typeET2_T3_PNS13_IS18_E10value_typeET4_jRbjT5_S1E_jjP12ihipStream_tbEUljE_ZNSN_ISO_Lb1ESQ_SR_ST_SU_SY_EESZ_S10_S11_S12_S16_S17_S18_S1B_S1C_jS1D_jS1E_S1E_jjS1G_bEUljE0_EEESZ_S10_S11_S18_S1C_S1E_T6_T7_T9_mT8_S1G_bDpT10_ENKUlT_T0_E_clISt17integral_constantIbLb0EES1U_EEDaS1P_S1Q_EUlS1P_E_NS1_11comp_targetILNS1_3genE9ELNS1_11target_archE1100ELNS1_3gpuE3ELNS1_3repE0EEENS1_30default_config_static_selectorELNS0_4arch9wavefront6targetE1EEEvS12_.num_named_barrier, 0
	.set _ZN7rocprim17ROCPRIM_400000_NS6detail17trampoline_kernelINS0_13select_configILj256ELj13ELNS0_17block_load_methodE3ELS4_3ELS4_3ELNS0_20block_scan_algorithmE0ELj4294967295EEENS1_25partition_config_selectorILNS1_17partition_subalgoE4EjNS0_10empty_typeEbEEZZNS1_14partition_implILS8_4ELb0ES6_15HIP_vector_typeIjLj2EENS0_17counting_iteratorIjlEEPS9_SG_NS0_5tupleIJPjSI_NS0_16reverse_iteratorISI_EEEEENSH_IJSG_SG_SG_EEES9_SI_JZNS1_25segmented_radix_sort_implINS0_14default_configELb1EPKdPdPKlPlN2at6native12_GLOBAL__N_18offset_tEEE10hipError_tPvRmT1_PNSt15iterator_traitsIS12_E10value_typeET2_T3_PNS13_IS18_E10value_typeET4_jRbjT5_S1E_jjP12ihipStream_tbEUljE_ZNSN_ISO_Lb1ESQ_SR_ST_SU_SY_EESZ_S10_S11_S12_S16_S17_S18_S1B_S1C_jS1D_jS1E_S1E_jjS1G_bEUljE0_EEESZ_S10_S11_S18_S1C_S1E_T6_T7_T9_mT8_S1G_bDpT10_ENKUlT_T0_E_clISt17integral_constantIbLb0EES1U_EEDaS1P_S1Q_EUlS1P_E_NS1_11comp_targetILNS1_3genE9ELNS1_11target_archE1100ELNS1_3gpuE3ELNS1_3repE0EEENS1_30default_config_static_selectorELNS0_4arch9wavefront6targetE1EEEvS12_.private_seg_size, 0
	.set _ZN7rocprim17ROCPRIM_400000_NS6detail17trampoline_kernelINS0_13select_configILj256ELj13ELNS0_17block_load_methodE3ELS4_3ELS4_3ELNS0_20block_scan_algorithmE0ELj4294967295EEENS1_25partition_config_selectorILNS1_17partition_subalgoE4EjNS0_10empty_typeEbEEZZNS1_14partition_implILS8_4ELb0ES6_15HIP_vector_typeIjLj2EENS0_17counting_iteratorIjlEEPS9_SG_NS0_5tupleIJPjSI_NS0_16reverse_iteratorISI_EEEEENSH_IJSG_SG_SG_EEES9_SI_JZNS1_25segmented_radix_sort_implINS0_14default_configELb1EPKdPdPKlPlN2at6native12_GLOBAL__N_18offset_tEEE10hipError_tPvRmT1_PNSt15iterator_traitsIS12_E10value_typeET2_T3_PNS13_IS18_E10value_typeET4_jRbjT5_S1E_jjP12ihipStream_tbEUljE_ZNSN_ISO_Lb1ESQ_SR_ST_SU_SY_EESZ_S10_S11_S12_S16_S17_S18_S1B_S1C_jS1D_jS1E_S1E_jjS1G_bEUljE0_EEESZ_S10_S11_S18_S1C_S1E_T6_T7_T9_mT8_S1G_bDpT10_ENKUlT_T0_E_clISt17integral_constantIbLb0EES1U_EEDaS1P_S1Q_EUlS1P_E_NS1_11comp_targetILNS1_3genE9ELNS1_11target_archE1100ELNS1_3gpuE3ELNS1_3repE0EEENS1_30default_config_static_selectorELNS0_4arch9wavefront6targetE1EEEvS12_.uses_vcc, 0
	.set _ZN7rocprim17ROCPRIM_400000_NS6detail17trampoline_kernelINS0_13select_configILj256ELj13ELNS0_17block_load_methodE3ELS4_3ELS4_3ELNS0_20block_scan_algorithmE0ELj4294967295EEENS1_25partition_config_selectorILNS1_17partition_subalgoE4EjNS0_10empty_typeEbEEZZNS1_14partition_implILS8_4ELb0ES6_15HIP_vector_typeIjLj2EENS0_17counting_iteratorIjlEEPS9_SG_NS0_5tupleIJPjSI_NS0_16reverse_iteratorISI_EEEEENSH_IJSG_SG_SG_EEES9_SI_JZNS1_25segmented_radix_sort_implINS0_14default_configELb1EPKdPdPKlPlN2at6native12_GLOBAL__N_18offset_tEEE10hipError_tPvRmT1_PNSt15iterator_traitsIS12_E10value_typeET2_T3_PNS13_IS18_E10value_typeET4_jRbjT5_S1E_jjP12ihipStream_tbEUljE_ZNSN_ISO_Lb1ESQ_SR_ST_SU_SY_EESZ_S10_S11_S12_S16_S17_S18_S1B_S1C_jS1D_jS1E_S1E_jjS1G_bEUljE0_EEESZ_S10_S11_S18_S1C_S1E_T6_T7_T9_mT8_S1G_bDpT10_ENKUlT_T0_E_clISt17integral_constantIbLb0EES1U_EEDaS1P_S1Q_EUlS1P_E_NS1_11comp_targetILNS1_3genE9ELNS1_11target_archE1100ELNS1_3gpuE3ELNS1_3repE0EEENS1_30default_config_static_selectorELNS0_4arch9wavefront6targetE1EEEvS12_.uses_flat_scratch, 0
	.set _ZN7rocprim17ROCPRIM_400000_NS6detail17trampoline_kernelINS0_13select_configILj256ELj13ELNS0_17block_load_methodE3ELS4_3ELS4_3ELNS0_20block_scan_algorithmE0ELj4294967295EEENS1_25partition_config_selectorILNS1_17partition_subalgoE4EjNS0_10empty_typeEbEEZZNS1_14partition_implILS8_4ELb0ES6_15HIP_vector_typeIjLj2EENS0_17counting_iteratorIjlEEPS9_SG_NS0_5tupleIJPjSI_NS0_16reverse_iteratorISI_EEEEENSH_IJSG_SG_SG_EEES9_SI_JZNS1_25segmented_radix_sort_implINS0_14default_configELb1EPKdPdPKlPlN2at6native12_GLOBAL__N_18offset_tEEE10hipError_tPvRmT1_PNSt15iterator_traitsIS12_E10value_typeET2_T3_PNS13_IS18_E10value_typeET4_jRbjT5_S1E_jjP12ihipStream_tbEUljE_ZNSN_ISO_Lb1ESQ_SR_ST_SU_SY_EESZ_S10_S11_S12_S16_S17_S18_S1B_S1C_jS1D_jS1E_S1E_jjS1G_bEUljE0_EEESZ_S10_S11_S18_S1C_S1E_T6_T7_T9_mT8_S1G_bDpT10_ENKUlT_T0_E_clISt17integral_constantIbLb0EES1U_EEDaS1P_S1Q_EUlS1P_E_NS1_11comp_targetILNS1_3genE9ELNS1_11target_archE1100ELNS1_3gpuE3ELNS1_3repE0EEENS1_30default_config_static_selectorELNS0_4arch9wavefront6targetE1EEEvS12_.has_dyn_sized_stack, 0
	.set _ZN7rocprim17ROCPRIM_400000_NS6detail17trampoline_kernelINS0_13select_configILj256ELj13ELNS0_17block_load_methodE3ELS4_3ELS4_3ELNS0_20block_scan_algorithmE0ELj4294967295EEENS1_25partition_config_selectorILNS1_17partition_subalgoE4EjNS0_10empty_typeEbEEZZNS1_14partition_implILS8_4ELb0ES6_15HIP_vector_typeIjLj2EENS0_17counting_iteratorIjlEEPS9_SG_NS0_5tupleIJPjSI_NS0_16reverse_iteratorISI_EEEEENSH_IJSG_SG_SG_EEES9_SI_JZNS1_25segmented_radix_sort_implINS0_14default_configELb1EPKdPdPKlPlN2at6native12_GLOBAL__N_18offset_tEEE10hipError_tPvRmT1_PNSt15iterator_traitsIS12_E10value_typeET2_T3_PNS13_IS18_E10value_typeET4_jRbjT5_S1E_jjP12ihipStream_tbEUljE_ZNSN_ISO_Lb1ESQ_SR_ST_SU_SY_EESZ_S10_S11_S12_S16_S17_S18_S1B_S1C_jS1D_jS1E_S1E_jjS1G_bEUljE0_EEESZ_S10_S11_S18_S1C_S1E_T6_T7_T9_mT8_S1G_bDpT10_ENKUlT_T0_E_clISt17integral_constantIbLb0EES1U_EEDaS1P_S1Q_EUlS1P_E_NS1_11comp_targetILNS1_3genE9ELNS1_11target_archE1100ELNS1_3gpuE3ELNS1_3repE0EEENS1_30default_config_static_selectorELNS0_4arch9wavefront6targetE1EEEvS12_.has_recursion, 0
	.set _ZN7rocprim17ROCPRIM_400000_NS6detail17trampoline_kernelINS0_13select_configILj256ELj13ELNS0_17block_load_methodE3ELS4_3ELS4_3ELNS0_20block_scan_algorithmE0ELj4294967295EEENS1_25partition_config_selectorILNS1_17partition_subalgoE4EjNS0_10empty_typeEbEEZZNS1_14partition_implILS8_4ELb0ES6_15HIP_vector_typeIjLj2EENS0_17counting_iteratorIjlEEPS9_SG_NS0_5tupleIJPjSI_NS0_16reverse_iteratorISI_EEEEENSH_IJSG_SG_SG_EEES9_SI_JZNS1_25segmented_radix_sort_implINS0_14default_configELb1EPKdPdPKlPlN2at6native12_GLOBAL__N_18offset_tEEE10hipError_tPvRmT1_PNSt15iterator_traitsIS12_E10value_typeET2_T3_PNS13_IS18_E10value_typeET4_jRbjT5_S1E_jjP12ihipStream_tbEUljE_ZNSN_ISO_Lb1ESQ_SR_ST_SU_SY_EESZ_S10_S11_S12_S16_S17_S18_S1B_S1C_jS1D_jS1E_S1E_jjS1G_bEUljE0_EEESZ_S10_S11_S18_S1C_S1E_T6_T7_T9_mT8_S1G_bDpT10_ENKUlT_T0_E_clISt17integral_constantIbLb0EES1U_EEDaS1P_S1Q_EUlS1P_E_NS1_11comp_targetILNS1_3genE9ELNS1_11target_archE1100ELNS1_3gpuE3ELNS1_3repE0EEENS1_30default_config_static_selectorELNS0_4arch9wavefront6targetE1EEEvS12_.has_indirect_call, 0
	.section	.AMDGPU.csdata,"",@progbits
; Kernel info:
; codeLenInByte = 0
; TotalNumSgprs: 4
; NumVgprs: 0
; ScratchSize: 0
; MemoryBound: 0
; FloatMode: 240
; IeeeMode: 1
; LDSByteSize: 0 bytes/workgroup (compile time only)
; SGPRBlocks: 0
; VGPRBlocks: 0
; NumSGPRsForWavesPerEU: 4
; NumVGPRsForWavesPerEU: 1
; Occupancy: 10
; WaveLimiterHint : 0
; COMPUTE_PGM_RSRC2:SCRATCH_EN: 0
; COMPUTE_PGM_RSRC2:USER_SGPR: 6
; COMPUTE_PGM_RSRC2:TRAP_HANDLER: 0
; COMPUTE_PGM_RSRC2:TGID_X_EN: 1
; COMPUTE_PGM_RSRC2:TGID_Y_EN: 0
; COMPUTE_PGM_RSRC2:TGID_Z_EN: 0
; COMPUTE_PGM_RSRC2:TIDIG_COMP_CNT: 0
	.section	.text._ZN7rocprim17ROCPRIM_400000_NS6detail17trampoline_kernelINS0_13select_configILj256ELj13ELNS0_17block_load_methodE3ELS4_3ELS4_3ELNS0_20block_scan_algorithmE0ELj4294967295EEENS1_25partition_config_selectorILNS1_17partition_subalgoE4EjNS0_10empty_typeEbEEZZNS1_14partition_implILS8_4ELb0ES6_15HIP_vector_typeIjLj2EENS0_17counting_iteratorIjlEEPS9_SG_NS0_5tupleIJPjSI_NS0_16reverse_iteratorISI_EEEEENSH_IJSG_SG_SG_EEES9_SI_JZNS1_25segmented_radix_sort_implINS0_14default_configELb1EPKdPdPKlPlN2at6native12_GLOBAL__N_18offset_tEEE10hipError_tPvRmT1_PNSt15iterator_traitsIS12_E10value_typeET2_T3_PNS13_IS18_E10value_typeET4_jRbjT5_S1E_jjP12ihipStream_tbEUljE_ZNSN_ISO_Lb1ESQ_SR_ST_SU_SY_EESZ_S10_S11_S12_S16_S17_S18_S1B_S1C_jS1D_jS1E_S1E_jjS1G_bEUljE0_EEESZ_S10_S11_S18_S1C_S1E_T6_T7_T9_mT8_S1G_bDpT10_ENKUlT_T0_E_clISt17integral_constantIbLb0EES1U_EEDaS1P_S1Q_EUlS1P_E_NS1_11comp_targetILNS1_3genE8ELNS1_11target_archE1030ELNS1_3gpuE2ELNS1_3repE0EEENS1_30default_config_static_selectorELNS0_4arch9wavefront6targetE1EEEvS12_,"axG",@progbits,_ZN7rocprim17ROCPRIM_400000_NS6detail17trampoline_kernelINS0_13select_configILj256ELj13ELNS0_17block_load_methodE3ELS4_3ELS4_3ELNS0_20block_scan_algorithmE0ELj4294967295EEENS1_25partition_config_selectorILNS1_17partition_subalgoE4EjNS0_10empty_typeEbEEZZNS1_14partition_implILS8_4ELb0ES6_15HIP_vector_typeIjLj2EENS0_17counting_iteratorIjlEEPS9_SG_NS0_5tupleIJPjSI_NS0_16reverse_iteratorISI_EEEEENSH_IJSG_SG_SG_EEES9_SI_JZNS1_25segmented_radix_sort_implINS0_14default_configELb1EPKdPdPKlPlN2at6native12_GLOBAL__N_18offset_tEEE10hipError_tPvRmT1_PNSt15iterator_traitsIS12_E10value_typeET2_T3_PNS13_IS18_E10value_typeET4_jRbjT5_S1E_jjP12ihipStream_tbEUljE_ZNSN_ISO_Lb1ESQ_SR_ST_SU_SY_EESZ_S10_S11_S12_S16_S17_S18_S1B_S1C_jS1D_jS1E_S1E_jjS1G_bEUljE0_EEESZ_S10_S11_S18_S1C_S1E_T6_T7_T9_mT8_S1G_bDpT10_ENKUlT_T0_E_clISt17integral_constantIbLb0EES1U_EEDaS1P_S1Q_EUlS1P_E_NS1_11comp_targetILNS1_3genE8ELNS1_11target_archE1030ELNS1_3gpuE2ELNS1_3repE0EEENS1_30default_config_static_selectorELNS0_4arch9wavefront6targetE1EEEvS12_,comdat
	.globl	_ZN7rocprim17ROCPRIM_400000_NS6detail17trampoline_kernelINS0_13select_configILj256ELj13ELNS0_17block_load_methodE3ELS4_3ELS4_3ELNS0_20block_scan_algorithmE0ELj4294967295EEENS1_25partition_config_selectorILNS1_17partition_subalgoE4EjNS0_10empty_typeEbEEZZNS1_14partition_implILS8_4ELb0ES6_15HIP_vector_typeIjLj2EENS0_17counting_iteratorIjlEEPS9_SG_NS0_5tupleIJPjSI_NS0_16reverse_iteratorISI_EEEEENSH_IJSG_SG_SG_EEES9_SI_JZNS1_25segmented_radix_sort_implINS0_14default_configELb1EPKdPdPKlPlN2at6native12_GLOBAL__N_18offset_tEEE10hipError_tPvRmT1_PNSt15iterator_traitsIS12_E10value_typeET2_T3_PNS13_IS18_E10value_typeET4_jRbjT5_S1E_jjP12ihipStream_tbEUljE_ZNSN_ISO_Lb1ESQ_SR_ST_SU_SY_EESZ_S10_S11_S12_S16_S17_S18_S1B_S1C_jS1D_jS1E_S1E_jjS1G_bEUljE0_EEESZ_S10_S11_S18_S1C_S1E_T6_T7_T9_mT8_S1G_bDpT10_ENKUlT_T0_E_clISt17integral_constantIbLb0EES1U_EEDaS1P_S1Q_EUlS1P_E_NS1_11comp_targetILNS1_3genE8ELNS1_11target_archE1030ELNS1_3gpuE2ELNS1_3repE0EEENS1_30default_config_static_selectorELNS0_4arch9wavefront6targetE1EEEvS12_ ; -- Begin function _ZN7rocprim17ROCPRIM_400000_NS6detail17trampoline_kernelINS0_13select_configILj256ELj13ELNS0_17block_load_methodE3ELS4_3ELS4_3ELNS0_20block_scan_algorithmE0ELj4294967295EEENS1_25partition_config_selectorILNS1_17partition_subalgoE4EjNS0_10empty_typeEbEEZZNS1_14partition_implILS8_4ELb0ES6_15HIP_vector_typeIjLj2EENS0_17counting_iteratorIjlEEPS9_SG_NS0_5tupleIJPjSI_NS0_16reverse_iteratorISI_EEEEENSH_IJSG_SG_SG_EEES9_SI_JZNS1_25segmented_radix_sort_implINS0_14default_configELb1EPKdPdPKlPlN2at6native12_GLOBAL__N_18offset_tEEE10hipError_tPvRmT1_PNSt15iterator_traitsIS12_E10value_typeET2_T3_PNS13_IS18_E10value_typeET4_jRbjT5_S1E_jjP12ihipStream_tbEUljE_ZNSN_ISO_Lb1ESQ_SR_ST_SU_SY_EESZ_S10_S11_S12_S16_S17_S18_S1B_S1C_jS1D_jS1E_S1E_jjS1G_bEUljE0_EEESZ_S10_S11_S18_S1C_S1E_T6_T7_T9_mT8_S1G_bDpT10_ENKUlT_T0_E_clISt17integral_constantIbLb0EES1U_EEDaS1P_S1Q_EUlS1P_E_NS1_11comp_targetILNS1_3genE8ELNS1_11target_archE1030ELNS1_3gpuE2ELNS1_3repE0EEENS1_30default_config_static_selectorELNS0_4arch9wavefront6targetE1EEEvS12_
	.p2align	8
	.type	_ZN7rocprim17ROCPRIM_400000_NS6detail17trampoline_kernelINS0_13select_configILj256ELj13ELNS0_17block_load_methodE3ELS4_3ELS4_3ELNS0_20block_scan_algorithmE0ELj4294967295EEENS1_25partition_config_selectorILNS1_17partition_subalgoE4EjNS0_10empty_typeEbEEZZNS1_14partition_implILS8_4ELb0ES6_15HIP_vector_typeIjLj2EENS0_17counting_iteratorIjlEEPS9_SG_NS0_5tupleIJPjSI_NS0_16reverse_iteratorISI_EEEEENSH_IJSG_SG_SG_EEES9_SI_JZNS1_25segmented_radix_sort_implINS0_14default_configELb1EPKdPdPKlPlN2at6native12_GLOBAL__N_18offset_tEEE10hipError_tPvRmT1_PNSt15iterator_traitsIS12_E10value_typeET2_T3_PNS13_IS18_E10value_typeET4_jRbjT5_S1E_jjP12ihipStream_tbEUljE_ZNSN_ISO_Lb1ESQ_SR_ST_SU_SY_EESZ_S10_S11_S12_S16_S17_S18_S1B_S1C_jS1D_jS1E_S1E_jjS1G_bEUljE0_EEESZ_S10_S11_S18_S1C_S1E_T6_T7_T9_mT8_S1G_bDpT10_ENKUlT_T0_E_clISt17integral_constantIbLb0EES1U_EEDaS1P_S1Q_EUlS1P_E_NS1_11comp_targetILNS1_3genE8ELNS1_11target_archE1030ELNS1_3gpuE2ELNS1_3repE0EEENS1_30default_config_static_selectorELNS0_4arch9wavefront6targetE1EEEvS12_,@function
_ZN7rocprim17ROCPRIM_400000_NS6detail17trampoline_kernelINS0_13select_configILj256ELj13ELNS0_17block_load_methodE3ELS4_3ELS4_3ELNS0_20block_scan_algorithmE0ELj4294967295EEENS1_25partition_config_selectorILNS1_17partition_subalgoE4EjNS0_10empty_typeEbEEZZNS1_14partition_implILS8_4ELb0ES6_15HIP_vector_typeIjLj2EENS0_17counting_iteratorIjlEEPS9_SG_NS0_5tupleIJPjSI_NS0_16reverse_iteratorISI_EEEEENSH_IJSG_SG_SG_EEES9_SI_JZNS1_25segmented_radix_sort_implINS0_14default_configELb1EPKdPdPKlPlN2at6native12_GLOBAL__N_18offset_tEEE10hipError_tPvRmT1_PNSt15iterator_traitsIS12_E10value_typeET2_T3_PNS13_IS18_E10value_typeET4_jRbjT5_S1E_jjP12ihipStream_tbEUljE_ZNSN_ISO_Lb1ESQ_SR_ST_SU_SY_EESZ_S10_S11_S12_S16_S17_S18_S1B_S1C_jS1D_jS1E_S1E_jjS1G_bEUljE0_EEESZ_S10_S11_S18_S1C_S1E_T6_T7_T9_mT8_S1G_bDpT10_ENKUlT_T0_E_clISt17integral_constantIbLb0EES1U_EEDaS1P_S1Q_EUlS1P_E_NS1_11comp_targetILNS1_3genE8ELNS1_11target_archE1030ELNS1_3gpuE2ELNS1_3repE0EEENS1_30default_config_static_selectorELNS0_4arch9wavefront6targetE1EEEvS12_: ; @_ZN7rocprim17ROCPRIM_400000_NS6detail17trampoline_kernelINS0_13select_configILj256ELj13ELNS0_17block_load_methodE3ELS4_3ELS4_3ELNS0_20block_scan_algorithmE0ELj4294967295EEENS1_25partition_config_selectorILNS1_17partition_subalgoE4EjNS0_10empty_typeEbEEZZNS1_14partition_implILS8_4ELb0ES6_15HIP_vector_typeIjLj2EENS0_17counting_iteratorIjlEEPS9_SG_NS0_5tupleIJPjSI_NS0_16reverse_iteratorISI_EEEEENSH_IJSG_SG_SG_EEES9_SI_JZNS1_25segmented_radix_sort_implINS0_14default_configELb1EPKdPdPKlPlN2at6native12_GLOBAL__N_18offset_tEEE10hipError_tPvRmT1_PNSt15iterator_traitsIS12_E10value_typeET2_T3_PNS13_IS18_E10value_typeET4_jRbjT5_S1E_jjP12ihipStream_tbEUljE_ZNSN_ISO_Lb1ESQ_SR_ST_SU_SY_EESZ_S10_S11_S12_S16_S17_S18_S1B_S1C_jS1D_jS1E_S1E_jjS1G_bEUljE0_EEESZ_S10_S11_S18_S1C_S1E_T6_T7_T9_mT8_S1G_bDpT10_ENKUlT_T0_E_clISt17integral_constantIbLb0EES1U_EEDaS1P_S1Q_EUlS1P_E_NS1_11comp_targetILNS1_3genE8ELNS1_11target_archE1030ELNS1_3gpuE2ELNS1_3repE0EEENS1_30default_config_static_selectorELNS0_4arch9wavefront6targetE1EEEvS12_
; %bb.0:
	.section	.rodata,"a",@progbits
	.p2align	6, 0x0
	.amdhsa_kernel _ZN7rocprim17ROCPRIM_400000_NS6detail17trampoline_kernelINS0_13select_configILj256ELj13ELNS0_17block_load_methodE3ELS4_3ELS4_3ELNS0_20block_scan_algorithmE0ELj4294967295EEENS1_25partition_config_selectorILNS1_17partition_subalgoE4EjNS0_10empty_typeEbEEZZNS1_14partition_implILS8_4ELb0ES6_15HIP_vector_typeIjLj2EENS0_17counting_iteratorIjlEEPS9_SG_NS0_5tupleIJPjSI_NS0_16reverse_iteratorISI_EEEEENSH_IJSG_SG_SG_EEES9_SI_JZNS1_25segmented_radix_sort_implINS0_14default_configELb1EPKdPdPKlPlN2at6native12_GLOBAL__N_18offset_tEEE10hipError_tPvRmT1_PNSt15iterator_traitsIS12_E10value_typeET2_T3_PNS13_IS18_E10value_typeET4_jRbjT5_S1E_jjP12ihipStream_tbEUljE_ZNSN_ISO_Lb1ESQ_SR_ST_SU_SY_EESZ_S10_S11_S12_S16_S17_S18_S1B_S1C_jS1D_jS1E_S1E_jjS1G_bEUljE0_EEESZ_S10_S11_S18_S1C_S1E_T6_T7_T9_mT8_S1G_bDpT10_ENKUlT_T0_E_clISt17integral_constantIbLb0EES1U_EEDaS1P_S1Q_EUlS1P_E_NS1_11comp_targetILNS1_3genE8ELNS1_11target_archE1030ELNS1_3gpuE2ELNS1_3repE0EEENS1_30default_config_static_selectorELNS0_4arch9wavefront6targetE1EEEvS12_
		.amdhsa_group_segment_fixed_size 0
		.amdhsa_private_segment_fixed_size 0
		.amdhsa_kernarg_size 176
		.amdhsa_user_sgpr_count 6
		.amdhsa_user_sgpr_private_segment_buffer 1
		.amdhsa_user_sgpr_dispatch_ptr 0
		.amdhsa_user_sgpr_queue_ptr 0
		.amdhsa_user_sgpr_kernarg_segment_ptr 1
		.amdhsa_user_sgpr_dispatch_id 0
		.amdhsa_user_sgpr_flat_scratch_init 0
		.amdhsa_user_sgpr_private_segment_size 0
		.amdhsa_uses_dynamic_stack 0
		.amdhsa_system_sgpr_private_segment_wavefront_offset 0
		.amdhsa_system_sgpr_workgroup_id_x 1
		.amdhsa_system_sgpr_workgroup_id_y 0
		.amdhsa_system_sgpr_workgroup_id_z 0
		.amdhsa_system_sgpr_workgroup_info 0
		.amdhsa_system_vgpr_workitem_id 0
		.amdhsa_next_free_vgpr 1
		.amdhsa_next_free_sgpr 0
		.amdhsa_reserve_vcc 0
		.amdhsa_reserve_flat_scratch 0
		.amdhsa_float_round_mode_32 0
		.amdhsa_float_round_mode_16_64 0
		.amdhsa_float_denorm_mode_32 3
		.amdhsa_float_denorm_mode_16_64 3
		.amdhsa_dx10_clamp 1
		.amdhsa_ieee_mode 1
		.amdhsa_fp16_overflow 0
		.amdhsa_exception_fp_ieee_invalid_op 0
		.amdhsa_exception_fp_denorm_src 0
		.amdhsa_exception_fp_ieee_div_zero 0
		.amdhsa_exception_fp_ieee_overflow 0
		.amdhsa_exception_fp_ieee_underflow 0
		.amdhsa_exception_fp_ieee_inexact 0
		.amdhsa_exception_int_div_zero 0
	.end_amdhsa_kernel
	.section	.text._ZN7rocprim17ROCPRIM_400000_NS6detail17trampoline_kernelINS0_13select_configILj256ELj13ELNS0_17block_load_methodE3ELS4_3ELS4_3ELNS0_20block_scan_algorithmE0ELj4294967295EEENS1_25partition_config_selectorILNS1_17partition_subalgoE4EjNS0_10empty_typeEbEEZZNS1_14partition_implILS8_4ELb0ES6_15HIP_vector_typeIjLj2EENS0_17counting_iteratorIjlEEPS9_SG_NS0_5tupleIJPjSI_NS0_16reverse_iteratorISI_EEEEENSH_IJSG_SG_SG_EEES9_SI_JZNS1_25segmented_radix_sort_implINS0_14default_configELb1EPKdPdPKlPlN2at6native12_GLOBAL__N_18offset_tEEE10hipError_tPvRmT1_PNSt15iterator_traitsIS12_E10value_typeET2_T3_PNS13_IS18_E10value_typeET4_jRbjT5_S1E_jjP12ihipStream_tbEUljE_ZNSN_ISO_Lb1ESQ_SR_ST_SU_SY_EESZ_S10_S11_S12_S16_S17_S18_S1B_S1C_jS1D_jS1E_S1E_jjS1G_bEUljE0_EEESZ_S10_S11_S18_S1C_S1E_T6_T7_T9_mT8_S1G_bDpT10_ENKUlT_T0_E_clISt17integral_constantIbLb0EES1U_EEDaS1P_S1Q_EUlS1P_E_NS1_11comp_targetILNS1_3genE8ELNS1_11target_archE1030ELNS1_3gpuE2ELNS1_3repE0EEENS1_30default_config_static_selectorELNS0_4arch9wavefront6targetE1EEEvS12_,"axG",@progbits,_ZN7rocprim17ROCPRIM_400000_NS6detail17trampoline_kernelINS0_13select_configILj256ELj13ELNS0_17block_load_methodE3ELS4_3ELS4_3ELNS0_20block_scan_algorithmE0ELj4294967295EEENS1_25partition_config_selectorILNS1_17partition_subalgoE4EjNS0_10empty_typeEbEEZZNS1_14partition_implILS8_4ELb0ES6_15HIP_vector_typeIjLj2EENS0_17counting_iteratorIjlEEPS9_SG_NS0_5tupleIJPjSI_NS0_16reverse_iteratorISI_EEEEENSH_IJSG_SG_SG_EEES9_SI_JZNS1_25segmented_radix_sort_implINS0_14default_configELb1EPKdPdPKlPlN2at6native12_GLOBAL__N_18offset_tEEE10hipError_tPvRmT1_PNSt15iterator_traitsIS12_E10value_typeET2_T3_PNS13_IS18_E10value_typeET4_jRbjT5_S1E_jjP12ihipStream_tbEUljE_ZNSN_ISO_Lb1ESQ_SR_ST_SU_SY_EESZ_S10_S11_S12_S16_S17_S18_S1B_S1C_jS1D_jS1E_S1E_jjS1G_bEUljE0_EEESZ_S10_S11_S18_S1C_S1E_T6_T7_T9_mT8_S1G_bDpT10_ENKUlT_T0_E_clISt17integral_constantIbLb0EES1U_EEDaS1P_S1Q_EUlS1P_E_NS1_11comp_targetILNS1_3genE8ELNS1_11target_archE1030ELNS1_3gpuE2ELNS1_3repE0EEENS1_30default_config_static_selectorELNS0_4arch9wavefront6targetE1EEEvS12_,comdat
.Lfunc_end1061:
	.size	_ZN7rocprim17ROCPRIM_400000_NS6detail17trampoline_kernelINS0_13select_configILj256ELj13ELNS0_17block_load_methodE3ELS4_3ELS4_3ELNS0_20block_scan_algorithmE0ELj4294967295EEENS1_25partition_config_selectorILNS1_17partition_subalgoE4EjNS0_10empty_typeEbEEZZNS1_14partition_implILS8_4ELb0ES6_15HIP_vector_typeIjLj2EENS0_17counting_iteratorIjlEEPS9_SG_NS0_5tupleIJPjSI_NS0_16reverse_iteratorISI_EEEEENSH_IJSG_SG_SG_EEES9_SI_JZNS1_25segmented_radix_sort_implINS0_14default_configELb1EPKdPdPKlPlN2at6native12_GLOBAL__N_18offset_tEEE10hipError_tPvRmT1_PNSt15iterator_traitsIS12_E10value_typeET2_T3_PNS13_IS18_E10value_typeET4_jRbjT5_S1E_jjP12ihipStream_tbEUljE_ZNSN_ISO_Lb1ESQ_SR_ST_SU_SY_EESZ_S10_S11_S12_S16_S17_S18_S1B_S1C_jS1D_jS1E_S1E_jjS1G_bEUljE0_EEESZ_S10_S11_S18_S1C_S1E_T6_T7_T9_mT8_S1G_bDpT10_ENKUlT_T0_E_clISt17integral_constantIbLb0EES1U_EEDaS1P_S1Q_EUlS1P_E_NS1_11comp_targetILNS1_3genE8ELNS1_11target_archE1030ELNS1_3gpuE2ELNS1_3repE0EEENS1_30default_config_static_selectorELNS0_4arch9wavefront6targetE1EEEvS12_, .Lfunc_end1061-_ZN7rocprim17ROCPRIM_400000_NS6detail17trampoline_kernelINS0_13select_configILj256ELj13ELNS0_17block_load_methodE3ELS4_3ELS4_3ELNS0_20block_scan_algorithmE0ELj4294967295EEENS1_25partition_config_selectorILNS1_17partition_subalgoE4EjNS0_10empty_typeEbEEZZNS1_14partition_implILS8_4ELb0ES6_15HIP_vector_typeIjLj2EENS0_17counting_iteratorIjlEEPS9_SG_NS0_5tupleIJPjSI_NS0_16reverse_iteratorISI_EEEEENSH_IJSG_SG_SG_EEES9_SI_JZNS1_25segmented_radix_sort_implINS0_14default_configELb1EPKdPdPKlPlN2at6native12_GLOBAL__N_18offset_tEEE10hipError_tPvRmT1_PNSt15iterator_traitsIS12_E10value_typeET2_T3_PNS13_IS18_E10value_typeET4_jRbjT5_S1E_jjP12ihipStream_tbEUljE_ZNSN_ISO_Lb1ESQ_SR_ST_SU_SY_EESZ_S10_S11_S12_S16_S17_S18_S1B_S1C_jS1D_jS1E_S1E_jjS1G_bEUljE0_EEESZ_S10_S11_S18_S1C_S1E_T6_T7_T9_mT8_S1G_bDpT10_ENKUlT_T0_E_clISt17integral_constantIbLb0EES1U_EEDaS1P_S1Q_EUlS1P_E_NS1_11comp_targetILNS1_3genE8ELNS1_11target_archE1030ELNS1_3gpuE2ELNS1_3repE0EEENS1_30default_config_static_selectorELNS0_4arch9wavefront6targetE1EEEvS12_
                                        ; -- End function
	.set _ZN7rocprim17ROCPRIM_400000_NS6detail17trampoline_kernelINS0_13select_configILj256ELj13ELNS0_17block_load_methodE3ELS4_3ELS4_3ELNS0_20block_scan_algorithmE0ELj4294967295EEENS1_25partition_config_selectorILNS1_17partition_subalgoE4EjNS0_10empty_typeEbEEZZNS1_14partition_implILS8_4ELb0ES6_15HIP_vector_typeIjLj2EENS0_17counting_iteratorIjlEEPS9_SG_NS0_5tupleIJPjSI_NS0_16reverse_iteratorISI_EEEEENSH_IJSG_SG_SG_EEES9_SI_JZNS1_25segmented_radix_sort_implINS0_14default_configELb1EPKdPdPKlPlN2at6native12_GLOBAL__N_18offset_tEEE10hipError_tPvRmT1_PNSt15iterator_traitsIS12_E10value_typeET2_T3_PNS13_IS18_E10value_typeET4_jRbjT5_S1E_jjP12ihipStream_tbEUljE_ZNSN_ISO_Lb1ESQ_SR_ST_SU_SY_EESZ_S10_S11_S12_S16_S17_S18_S1B_S1C_jS1D_jS1E_S1E_jjS1G_bEUljE0_EEESZ_S10_S11_S18_S1C_S1E_T6_T7_T9_mT8_S1G_bDpT10_ENKUlT_T0_E_clISt17integral_constantIbLb0EES1U_EEDaS1P_S1Q_EUlS1P_E_NS1_11comp_targetILNS1_3genE8ELNS1_11target_archE1030ELNS1_3gpuE2ELNS1_3repE0EEENS1_30default_config_static_selectorELNS0_4arch9wavefront6targetE1EEEvS12_.num_vgpr, 0
	.set _ZN7rocprim17ROCPRIM_400000_NS6detail17trampoline_kernelINS0_13select_configILj256ELj13ELNS0_17block_load_methodE3ELS4_3ELS4_3ELNS0_20block_scan_algorithmE0ELj4294967295EEENS1_25partition_config_selectorILNS1_17partition_subalgoE4EjNS0_10empty_typeEbEEZZNS1_14partition_implILS8_4ELb0ES6_15HIP_vector_typeIjLj2EENS0_17counting_iteratorIjlEEPS9_SG_NS0_5tupleIJPjSI_NS0_16reverse_iteratorISI_EEEEENSH_IJSG_SG_SG_EEES9_SI_JZNS1_25segmented_radix_sort_implINS0_14default_configELb1EPKdPdPKlPlN2at6native12_GLOBAL__N_18offset_tEEE10hipError_tPvRmT1_PNSt15iterator_traitsIS12_E10value_typeET2_T3_PNS13_IS18_E10value_typeET4_jRbjT5_S1E_jjP12ihipStream_tbEUljE_ZNSN_ISO_Lb1ESQ_SR_ST_SU_SY_EESZ_S10_S11_S12_S16_S17_S18_S1B_S1C_jS1D_jS1E_S1E_jjS1G_bEUljE0_EEESZ_S10_S11_S18_S1C_S1E_T6_T7_T9_mT8_S1G_bDpT10_ENKUlT_T0_E_clISt17integral_constantIbLb0EES1U_EEDaS1P_S1Q_EUlS1P_E_NS1_11comp_targetILNS1_3genE8ELNS1_11target_archE1030ELNS1_3gpuE2ELNS1_3repE0EEENS1_30default_config_static_selectorELNS0_4arch9wavefront6targetE1EEEvS12_.num_agpr, 0
	.set _ZN7rocprim17ROCPRIM_400000_NS6detail17trampoline_kernelINS0_13select_configILj256ELj13ELNS0_17block_load_methodE3ELS4_3ELS4_3ELNS0_20block_scan_algorithmE0ELj4294967295EEENS1_25partition_config_selectorILNS1_17partition_subalgoE4EjNS0_10empty_typeEbEEZZNS1_14partition_implILS8_4ELb0ES6_15HIP_vector_typeIjLj2EENS0_17counting_iteratorIjlEEPS9_SG_NS0_5tupleIJPjSI_NS0_16reverse_iteratorISI_EEEEENSH_IJSG_SG_SG_EEES9_SI_JZNS1_25segmented_radix_sort_implINS0_14default_configELb1EPKdPdPKlPlN2at6native12_GLOBAL__N_18offset_tEEE10hipError_tPvRmT1_PNSt15iterator_traitsIS12_E10value_typeET2_T3_PNS13_IS18_E10value_typeET4_jRbjT5_S1E_jjP12ihipStream_tbEUljE_ZNSN_ISO_Lb1ESQ_SR_ST_SU_SY_EESZ_S10_S11_S12_S16_S17_S18_S1B_S1C_jS1D_jS1E_S1E_jjS1G_bEUljE0_EEESZ_S10_S11_S18_S1C_S1E_T6_T7_T9_mT8_S1G_bDpT10_ENKUlT_T0_E_clISt17integral_constantIbLb0EES1U_EEDaS1P_S1Q_EUlS1P_E_NS1_11comp_targetILNS1_3genE8ELNS1_11target_archE1030ELNS1_3gpuE2ELNS1_3repE0EEENS1_30default_config_static_selectorELNS0_4arch9wavefront6targetE1EEEvS12_.numbered_sgpr, 0
	.set _ZN7rocprim17ROCPRIM_400000_NS6detail17trampoline_kernelINS0_13select_configILj256ELj13ELNS0_17block_load_methodE3ELS4_3ELS4_3ELNS0_20block_scan_algorithmE0ELj4294967295EEENS1_25partition_config_selectorILNS1_17partition_subalgoE4EjNS0_10empty_typeEbEEZZNS1_14partition_implILS8_4ELb0ES6_15HIP_vector_typeIjLj2EENS0_17counting_iteratorIjlEEPS9_SG_NS0_5tupleIJPjSI_NS0_16reverse_iteratorISI_EEEEENSH_IJSG_SG_SG_EEES9_SI_JZNS1_25segmented_radix_sort_implINS0_14default_configELb1EPKdPdPKlPlN2at6native12_GLOBAL__N_18offset_tEEE10hipError_tPvRmT1_PNSt15iterator_traitsIS12_E10value_typeET2_T3_PNS13_IS18_E10value_typeET4_jRbjT5_S1E_jjP12ihipStream_tbEUljE_ZNSN_ISO_Lb1ESQ_SR_ST_SU_SY_EESZ_S10_S11_S12_S16_S17_S18_S1B_S1C_jS1D_jS1E_S1E_jjS1G_bEUljE0_EEESZ_S10_S11_S18_S1C_S1E_T6_T7_T9_mT8_S1G_bDpT10_ENKUlT_T0_E_clISt17integral_constantIbLb0EES1U_EEDaS1P_S1Q_EUlS1P_E_NS1_11comp_targetILNS1_3genE8ELNS1_11target_archE1030ELNS1_3gpuE2ELNS1_3repE0EEENS1_30default_config_static_selectorELNS0_4arch9wavefront6targetE1EEEvS12_.num_named_barrier, 0
	.set _ZN7rocprim17ROCPRIM_400000_NS6detail17trampoline_kernelINS0_13select_configILj256ELj13ELNS0_17block_load_methodE3ELS4_3ELS4_3ELNS0_20block_scan_algorithmE0ELj4294967295EEENS1_25partition_config_selectorILNS1_17partition_subalgoE4EjNS0_10empty_typeEbEEZZNS1_14partition_implILS8_4ELb0ES6_15HIP_vector_typeIjLj2EENS0_17counting_iteratorIjlEEPS9_SG_NS0_5tupleIJPjSI_NS0_16reverse_iteratorISI_EEEEENSH_IJSG_SG_SG_EEES9_SI_JZNS1_25segmented_radix_sort_implINS0_14default_configELb1EPKdPdPKlPlN2at6native12_GLOBAL__N_18offset_tEEE10hipError_tPvRmT1_PNSt15iterator_traitsIS12_E10value_typeET2_T3_PNS13_IS18_E10value_typeET4_jRbjT5_S1E_jjP12ihipStream_tbEUljE_ZNSN_ISO_Lb1ESQ_SR_ST_SU_SY_EESZ_S10_S11_S12_S16_S17_S18_S1B_S1C_jS1D_jS1E_S1E_jjS1G_bEUljE0_EEESZ_S10_S11_S18_S1C_S1E_T6_T7_T9_mT8_S1G_bDpT10_ENKUlT_T0_E_clISt17integral_constantIbLb0EES1U_EEDaS1P_S1Q_EUlS1P_E_NS1_11comp_targetILNS1_3genE8ELNS1_11target_archE1030ELNS1_3gpuE2ELNS1_3repE0EEENS1_30default_config_static_selectorELNS0_4arch9wavefront6targetE1EEEvS12_.private_seg_size, 0
	.set _ZN7rocprim17ROCPRIM_400000_NS6detail17trampoline_kernelINS0_13select_configILj256ELj13ELNS0_17block_load_methodE3ELS4_3ELS4_3ELNS0_20block_scan_algorithmE0ELj4294967295EEENS1_25partition_config_selectorILNS1_17partition_subalgoE4EjNS0_10empty_typeEbEEZZNS1_14partition_implILS8_4ELb0ES6_15HIP_vector_typeIjLj2EENS0_17counting_iteratorIjlEEPS9_SG_NS0_5tupleIJPjSI_NS0_16reverse_iteratorISI_EEEEENSH_IJSG_SG_SG_EEES9_SI_JZNS1_25segmented_radix_sort_implINS0_14default_configELb1EPKdPdPKlPlN2at6native12_GLOBAL__N_18offset_tEEE10hipError_tPvRmT1_PNSt15iterator_traitsIS12_E10value_typeET2_T3_PNS13_IS18_E10value_typeET4_jRbjT5_S1E_jjP12ihipStream_tbEUljE_ZNSN_ISO_Lb1ESQ_SR_ST_SU_SY_EESZ_S10_S11_S12_S16_S17_S18_S1B_S1C_jS1D_jS1E_S1E_jjS1G_bEUljE0_EEESZ_S10_S11_S18_S1C_S1E_T6_T7_T9_mT8_S1G_bDpT10_ENKUlT_T0_E_clISt17integral_constantIbLb0EES1U_EEDaS1P_S1Q_EUlS1P_E_NS1_11comp_targetILNS1_3genE8ELNS1_11target_archE1030ELNS1_3gpuE2ELNS1_3repE0EEENS1_30default_config_static_selectorELNS0_4arch9wavefront6targetE1EEEvS12_.uses_vcc, 0
	.set _ZN7rocprim17ROCPRIM_400000_NS6detail17trampoline_kernelINS0_13select_configILj256ELj13ELNS0_17block_load_methodE3ELS4_3ELS4_3ELNS0_20block_scan_algorithmE0ELj4294967295EEENS1_25partition_config_selectorILNS1_17partition_subalgoE4EjNS0_10empty_typeEbEEZZNS1_14partition_implILS8_4ELb0ES6_15HIP_vector_typeIjLj2EENS0_17counting_iteratorIjlEEPS9_SG_NS0_5tupleIJPjSI_NS0_16reverse_iteratorISI_EEEEENSH_IJSG_SG_SG_EEES9_SI_JZNS1_25segmented_radix_sort_implINS0_14default_configELb1EPKdPdPKlPlN2at6native12_GLOBAL__N_18offset_tEEE10hipError_tPvRmT1_PNSt15iterator_traitsIS12_E10value_typeET2_T3_PNS13_IS18_E10value_typeET4_jRbjT5_S1E_jjP12ihipStream_tbEUljE_ZNSN_ISO_Lb1ESQ_SR_ST_SU_SY_EESZ_S10_S11_S12_S16_S17_S18_S1B_S1C_jS1D_jS1E_S1E_jjS1G_bEUljE0_EEESZ_S10_S11_S18_S1C_S1E_T6_T7_T9_mT8_S1G_bDpT10_ENKUlT_T0_E_clISt17integral_constantIbLb0EES1U_EEDaS1P_S1Q_EUlS1P_E_NS1_11comp_targetILNS1_3genE8ELNS1_11target_archE1030ELNS1_3gpuE2ELNS1_3repE0EEENS1_30default_config_static_selectorELNS0_4arch9wavefront6targetE1EEEvS12_.uses_flat_scratch, 0
	.set _ZN7rocprim17ROCPRIM_400000_NS6detail17trampoline_kernelINS0_13select_configILj256ELj13ELNS0_17block_load_methodE3ELS4_3ELS4_3ELNS0_20block_scan_algorithmE0ELj4294967295EEENS1_25partition_config_selectorILNS1_17partition_subalgoE4EjNS0_10empty_typeEbEEZZNS1_14partition_implILS8_4ELb0ES6_15HIP_vector_typeIjLj2EENS0_17counting_iteratorIjlEEPS9_SG_NS0_5tupleIJPjSI_NS0_16reverse_iteratorISI_EEEEENSH_IJSG_SG_SG_EEES9_SI_JZNS1_25segmented_radix_sort_implINS0_14default_configELb1EPKdPdPKlPlN2at6native12_GLOBAL__N_18offset_tEEE10hipError_tPvRmT1_PNSt15iterator_traitsIS12_E10value_typeET2_T3_PNS13_IS18_E10value_typeET4_jRbjT5_S1E_jjP12ihipStream_tbEUljE_ZNSN_ISO_Lb1ESQ_SR_ST_SU_SY_EESZ_S10_S11_S12_S16_S17_S18_S1B_S1C_jS1D_jS1E_S1E_jjS1G_bEUljE0_EEESZ_S10_S11_S18_S1C_S1E_T6_T7_T9_mT8_S1G_bDpT10_ENKUlT_T0_E_clISt17integral_constantIbLb0EES1U_EEDaS1P_S1Q_EUlS1P_E_NS1_11comp_targetILNS1_3genE8ELNS1_11target_archE1030ELNS1_3gpuE2ELNS1_3repE0EEENS1_30default_config_static_selectorELNS0_4arch9wavefront6targetE1EEEvS12_.has_dyn_sized_stack, 0
	.set _ZN7rocprim17ROCPRIM_400000_NS6detail17trampoline_kernelINS0_13select_configILj256ELj13ELNS0_17block_load_methodE3ELS4_3ELS4_3ELNS0_20block_scan_algorithmE0ELj4294967295EEENS1_25partition_config_selectorILNS1_17partition_subalgoE4EjNS0_10empty_typeEbEEZZNS1_14partition_implILS8_4ELb0ES6_15HIP_vector_typeIjLj2EENS0_17counting_iteratorIjlEEPS9_SG_NS0_5tupleIJPjSI_NS0_16reverse_iteratorISI_EEEEENSH_IJSG_SG_SG_EEES9_SI_JZNS1_25segmented_radix_sort_implINS0_14default_configELb1EPKdPdPKlPlN2at6native12_GLOBAL__N_18offset_tEEE10hipError_tPvRmT1_PNSt15iterator_traitsIS12_E10value_typeET2_T3_PNS13_IS18_E10value_typeET4_jRbjT5_S1E_jjP12ihipStream_tbEUljE_ZNSN_ISO_Lb1ESQ_SR_ST_SU_SY_EESZ_S10_S11_S12_S16_S17_S18_S1B_S1C_jS1D_jS1E_S1E_jjS1G_bEUljE0_EEESZ_S10_S11_S18_S1C_S1E_T6_T7_T9_mT8_S1G_bDpT10_ENKUlT_T0_E_clISt17integral_constantIbLb0EES1U_EEDaS1P_S1Q_EUlS1P_E_NS1_11comp_targetILNS1_3genE8ELNS1_11target_archE1030ELNS1_3gpuE2ELNS1_3repE0EEENS1_30default_config_static_selectorELNS0_4arch9wavefront6targetE1EEEvS12_.has_recursion, 0
	.set _ZN7rocprim17ROCPRIM_400000_NS6detail17trampoline_kernelINS0_13select_configILj256ELj13ELNS0_17block_load_methodE3ELS4_3ELS4_3ELNS0_20block_scan_algorithmE0ELj4294967295EEENS1_25partition_config_selectorILNS1_17partition_subalgoE4EjNS0_10empty_typeEbEEZZNS1_14partition_implILS8_4ELb0ES6_15HIP_vector_typeIjLj2EENS0_17counting_iteratorIjlEEPS9_SG_NS0_5tupleIJPjSI_NS0_16reverse_iteratorISI_EEEEENSH_IJSG_SG_SG_EEES9_SI_JZNS1_25segmented_radix_sort_implINS0_14default_configELb1EPKdPdPKlPlN2at6native12_GLOBAL__N_18offset_tEEE10hipError_tPvRmT1_PNSt15iterator_traitsIS12_E10value_typeET2_T3_PNS13_IS18_E10value_typeET4_jRbjT5_S1E_jjP12ihipStream_tbEUljE_ZNSN_ISO_Lb1ESQ_SR_ST_SU_SY_EESZ_S10_S11_S12_S16_S17_S18_S1B_S1C_jS1D_jS1E_S1E_jjS1G_bEUljE0_EEESZ_S10_S11_S18_S1C_S1E_T6_T7_T9_mT8_S1G_bDpT10_ENKUlT_T0_E_clISt17integral_constantIbLb0EES1U_EEDaS1P_S1Q_EUlS1P_E_NS1_11comp_targetILNS1_3genE8ELNS1_11target_archE1030ELNS1_3gpuE2ELNS1_3repE0EEENS1_30default_config_static_selectorELNS0_4arch9wavefront6targetE1EEEvS12_.has_indirect_call, 0
	.section	.AMDGPU.csdata,"",@progbits
; Kernel info:
; codeLenInByte = 0
; TotalNumSgprs: 4
; NumVgprs: 0
; ScratchSize: 0
; MemoryBound: 0
; FloatMode: 240
; IeeeMode: 1
; LDSByteSize: 0 bytes/workgroup (compile time only)
; SGPRBlocks: 0
; VGPRBlocks: 0
; NumSGPRsForWavesPerEU: 4
; NumVGPRsForWavesPerEU: 1
; Occupancy: 10
; WaveLimiterHint : 0
; COMPUTE_PGM_RSRC2:SCRATCH_EN: 0
; COMPUTE_PGM_RSRC2:USER_SGPR: 6
; COMPUTE_PGM_RSRC2:TRAP_HANDLER: 0
; COMPUTE_PGM_RSRC2:TGID_X_EN: 1
; COMPUTE_PGM_RSRC2:TGID_Y_EN: 0
; COMPUTE_PGM_RSRC2:TGID_Z_EN: 0
; COMPUTE_PGM_RSRC2:TIDIG_COMP_CNT: 0
	.section	.text._ZN7rocprim17ROCPRIM_400000_NS6detail17trampoline_kernelINS0_13select_configILj256ELj13ELNS0_17block_load_methodE3ELS4_3ELS4_3ELNS0_20block_scan_algorithmE0ELj4294967295EEENS1_25partition_config_selectorILNS1_17partition_subalgoE4EjNS0_10empty_typeEbEEZZNS1_14partition_implILS8_4ELb0ES6_15HIP_vector_typeIjLj2EENS0_17counting_iteratorIjlEEPS9_SG_NS0_5tupleIJPjSI_NS0_16reverse_iteratorISI_EEEEENSH_IJSG_SG_SG_EEES9_SI_JZNS1_25segmented_radix_sort_implINS0_14default_configELb1EPKdPdPKlPlN2at6native12_GLOBAL__N_18offset_tEEE10hipError_tPvRmT1_PNSt15iterator_traitsIS12_E10value_typeET2_T3_PNS13_IS18_E10value_typeET4_jRbjT5_S1E_jjP12ihipStream_tbEUljE_ZNSN_ISO_Lb1ESQ_SR_ST_SU_SY_EESZ_S10_S11_S12_S16_S17_S18_S1B_S1C_jS1D_jS1E_S1E_jjS1G_bEUljE0_EEESZ_S10_S11_S18_S1C_S1E_T6_T7_T9_mT8_S1G_bDpT10_ENKUlT_T0_E_clISt17integral_constantIbLb1EES1U_EEDaS1P_S1Q_EUlS1P_E_NS1_11comp_targetILNS1_3genE0ELNS1_11target_archE4294967295ELNS1_3gpuE0ELNS1_3repE0EEENS1_30default_config_static_selectorELNS0_4arch9wavefront6targetE1EEEvS12_,"axG",@progbits,_ZN7rocprim17ROCPRIM_400000_NS6detail17trampoline_kernelINS0_13select_configILj256ELj13ELNS0_17block_load_methodE3ELS4_3ELS4_3ELNS0_20block_scan_algorithmE0ELj4294967295EEENS1_25partition_config_selectorILNS1_17partition_subalgoE4EjNS0_10empty_typeEbEEZZNS1_14partition_implILS8_4ELb0ES6_15HIP_vector_typeIjLj2EENS0_17counting_iteratorIjlEEPS9_SG_NS0_5tupleIJPjSI_NS0_16reverse_iteratorISI_EEEEENSH_IJSG_SG_SG_EEES9_SI_JZNS1_25segmented_radix_sort_implINS0_14default_configELb1EPKdPdPKlPlN2at6native12_GLOBAL__N_18offset_tEEE10hipError_tPvRmT1_PNSt15iterator_traitsIS12_E10value_typeET2_T3_PNS13_IS18_E10value_typeET4_jRbjT5_S1E_jjP12ihipStream_tbEUljE_ZNSN_ISO_Lb1ESQ_SR_ST_SU_SY_EESZ_S10_S11_S12_S16_S17_S18_S1B_S1C_jS1D_jS1E_S1E_jjS1G_bEUljE0_EEESZ_S10_S11_S18_S1C_S1E_T6_T7_T9_mT8_S1G_bDpT10_ENKUlT_T0_E_clISt17integral_constantIbLb1EES1U_EEDaS1P_S1Q_EUlS1P_E_NS1_11comp_targetILNS1_3genE0ELNS1_11target_archE4294967295ELNS1_3gpuE0ELNS1_3repE0EEENS1_30default_config_static_selectorELNS0_4arch9wavefront6targetE1EEEvS12_,comdat
	.globl	_ZN7rocprim17ROCPRIM_400000_NS6detail17trampoline_kernelINS0_13select_configILj256ELj13ELNS0_17block_load_methodE3ELS4_3ELS4_3ELNS0_20block_scan_algorithmE0ELj4294967295EEENS1_25partition_config_selectorILNS1_17partition_subalgoE4EjNS0_10empty_typeEbEEZZNS1_14partition_implILS8_4ELb0ES6_15HIP_vector_typeIjLj2EENS0_17counting_iteratorIjlEEPS9_SG_NS0_5tupleIJPjSI_NS0_16reverse_iteratorISI_EEEEENSH_IJSG_SG_SG_EEES9_SI_JZNS1_25segmented_radix_sort_implINS0_14default_configELb1EPKdPdPKlPlN2at6native12_GLOBAL__N_18offset_tEEE10hipError_tPvRmT1_PNSt15iterator_traitsIS12_E10value_typeET2_T3_PNS13_IS18_E10value_typeET4_jRbjT5_S1E_jjP12ihipStream_tbEUljE_ZNSN_ISO_Lb1ESQ_SR_ST_SU_SY_EESZ_S10_S11_S12_S16_S17_S18_S1B_S1C_jS1D_jS1E_S1E_jjS1G_bEUljE0_EEESZ_S10_S11_S18_S1C_S1E_T6_T7_T9_mT8_S1G_bDpT10_ENKUlT_T0_E_clISt17integral_constantIbLb1EES1U_EEDaS1P_S1Q_EUlS1P_E_NS1_11comp_targetILNS1_3genE0ELNS1_11target_archE4294967295ELNS1_3gpuE0ELNS1_3repE0EEENS1_30default_config_static_selectorELNS0_4arch9wavefront6targetE1EEEvS12_ ; -- Begin function _ZN7rocprim17ROCPRIM_400000_NS6detail17trampoline_kernelINS0_13select_configILj256ELj13ELNS0_17block_load_methodE3ELS4_3ELS4_3ELNS0_20block_scan_algorithmE0ELj4294967295EEENS1_25partition_config_selectorILNS1_17partition_subalgoE4EjNS0_10empty_typeEbEEZZNS1_14partition_implILS8_4ELb0ES6_15HIP_vector_typeIjLj2EENS0_17counting_iteratorIjlEEPS9_SG_NS0_5tupleIJPjSI_NS0_16reverse_iteratorISI_EEEEENSH_IJSG_SG_SG_EEES9_SI_JZNS1_25segmented_radix_sort_implINS0_14default_configELb1EPKdPdPKlPlN2at6native12_GLOBAL__N_18offset_tEEE10hipError_tPvRmT1_PNSt15iterator_traitsIS12_E10value_typeET2_T3_PNS13_IS18_E10value_typeET4_jRbjT5_S1E_jjP12ihipStream_tbEUljE_ZNSN_ISO_Lb1ESQ_SR_ST_SU_SY_EESZ_S10_S11_S12_S16_S17_S18_S1B_S1C_jS1D_jS1E_S1E_jjS1G_bEUljE0_EEESZ_S10_S11_S18_S1C_S1E_T6_T7_T9_mT8_S1G_bDpT10_ENKUlT_T0_E_clISt17integral_constantIbLb1EES1U_EEDaS1P_S1Q_EUlS1P_E_NS1_11comp_targetILNS1_3genE0ELNS1_11target_archE4294967295ELNS1_3gpuE0ELNS1_3repE0EEENS1_30default_config_static_selectorELNS0_4arch9wavefront6targetE1EEEvS12_
	.p2align	8
	.type	_ZN7rocprim17ROCPRIM_400000_NS6detail17trampoline_kernelINS0_13select_configILj256ELj13ELNS0_17block_load_methodE3ELS4_3ELS4_3ELNS0_20block_scan_algorithmE0ELj4294967295EEENS1_25partition_config_selectorILNS1_17partition_subalgoE4EjNS0_10empty_typeEbEEZZNS1_14partition_implILS8_4ELb0ES6_15HIP_vector_typeIjLj2EENS0_17counting_iteratorIjlEEPS9_SG_NS0_5tupleIJPjSI_NS0_16reverse_iteratorISI_EEEEENSH_IJSG_SG_SG_EEES9_SI_JZNS1_25segmented_radix_sort_implINS0_14default_configELb1EPKdPdPKlPlN2at6native12_GLOBAL__N_18offset_tEEE10hipError_tPvRmT1_PNSt15iterator_traitsIS12_E10value_typeET2_T3_PNS13_IS18_E10value_typeET4_jRbjT5_S1E_jjP12ihipStream_tbEUljE_ZNSN_ISO_Lb1ESQ_SR_ST_SU_SY_EESZ_S10_S11_S12_S16_S17_S18_S1B_S1C_jS1D_jS1E_S1E_jjS1G_bEUljE0_EEESZ_S10_S11_S18_S1C_S1E_T6_T7_T9_mT8_S1G_bDpT10_ENKUlT_T0_E_clISt17integral_constantIbLb1EES1U_EEDaS1P_S1Q_EUlS1P_E_NS1_11comp_targetILNS1_3genE0ELNS1_11target_archE4294967295ELNS1_3gpuE0ELNS1_3repE0EEENS1_30default_config_static_selectorELNS0_4arch9wavefront6targetE1EEEvS12_,@function
_ZN7rocprim17ROCPRIM_400000_NS6detail17trampoline_kernelINS0_13select_configILj256ELj13ELNS0_17block_load_methodE3ELS4_3ELS4_3ELNS0_20block_scan_algorithmE0ELj4294967295EEENS1_25partition_config_selectorILNS1_17partition_subalgoE4EjNS0_10empty_typeEbEEZZNS1_14partition_implILS8_4ELb0ES6_15HIP_vector_typeIjLj2EENS0_17counting_iteratorIjlEEPS9_SG_NS0_5tupleIJPjSI_NS0_16reverse_iteratorISI_EEEEENSH_IJSG_SG_SG_EEES9_SI_JZNS1_25segmented_radix_sort_implINS0_14default_configELb1EPKdPdPKlPlN2at6native12_GLOBAL__N_18offset_tEEE10hipError_tPvRmT1_PNSt15iterator_traitsIS12_E10value_typeET2_T3_PNS13_IS18_E10value_typeET4_jRbjT5_S1E_jjP12ihipStream_tbEUljE_ZNSN_ISO_Lb1ESQ_SR_ST_SU_SY_EESZ_S10_S11_S12_S16_S17_S18_S1B_S1C_jS1D_jS1E_S1E_jjS1G_bEUljE0_EEESZ_S10_S11_S18_S1C_S1E_T6_T7_T9_mT8_S1G_bDpT10_ENKUlT_T0_E_clISt17integral_constantIbLb1EES1U_EEDaS1P_S1Q_EUlS1P_E_NS1_11comp_targetILNS1_3genE0ELNS1_11target_archE4294967295ELNS1_3gpuE0ELNS1_3repE0EEENS1_30default_config_static_selectorELNS0_4arch9wavefront6targetE1EEEvS12_: ; @_ZN7rocprim17ROCPRIM_400000_NS6detail17trampoline_kernelINS0_13select_configILj256ELj13ELNS0_17block_load_methodE3ELS4_3ELS4_3ELNS0_20block_scan_algorithmE0ELj4294967295EEENS1_25partition_config_selectorILNS1_17partition_subalgoE4EjNS0_10empty_typeEbEEZZNS1_14partition_implILS8_4ELb0ES6_15HIP_vector_typeIjLj2EENS0_17counting_iteratorIjlEEPS9_SG_NS0_5tupleIJPjSI_NS0_16reverse_iteratorISI_EEEEENSH_IJSG_SG_SG_EEES9_SI_JZNS1_25segmented_radix_sort_implINS0_14default_configELb1EPKdPdPKlPlN2at6native12_GLOBAL__N_18offset_tEEE10hipError_tPvRmT1_PNSt15iterator_traitsIS12_E10value_typeET2_T3_PNS13_IS18_E10value_typeET4_jRbjT5_S1E_jjP12ihipStream_tbEUljE_ZNSN_ISO_Lb1ESQ_SR_ST_SU_SY_EESZ_S10_S11_S12_S16_S17_S18_S1B_S1C_jS1D_jS1E_S1E_jjS1G_bEUljE0_EEESZ_S10_S11_S18_S1C_S1E_T6_T7_T9_mT8_S1G_bDpT10_ENKUlT_T0_E_clISt17integral_constantIbLb1EES1U_EEDaS1P_S1Q_EUlS1P_E_NS1_11comp_targetILNS1_3genE0ELNS1_11target_archE4294967295ELNS1_3gpuE0ELNS1_3repE0EEENS1_30default_config_static_selectorELNS0_4arch9wavefront6targetE1EEEvS12_
; %bb.0:
	.section	.rodata,"a",@progbits
	.p2align	6, 0x0
	.amdhsa_kernel _ZN7rocprim17ROCPRIM_400000_NS6detail17trampoline_kernelINS0_13select_configILj256ELj13ELNS0_17block_load_methodE3ELS4_3ELS4_3ELNS0_20block_scan_algorithmE0ELj4294967295EEENS1_25partition_config_selectorILNS1_17partition_subalgoE4EjNS0_10empty_typeEbEEZZNS1_14partition_implILS8_4ELb0ES6_15HIP_vector_typeIjLj2EENS0_17counting_iteratorIjlEEPS9_SG_NS0_5tupleIJPjSI_NS0_16reverse_iteratorISI_EEEEENSH_IJSG_SG_SG_EEES9_SI_JZNS1_25segmented_radix_sort_implINS0_14default_configELb1EPKdPdPKlPlN2at6native12_GLOBAL__N_18offset_tEEE10hipError_tPvRmT1_PNSt15iterator_traitsIS12_E10value_typeET2_T3_PNS13_IS18_E10value_typeET4_jRbjT5_S1E_jjP12ihipStream_tbEUljE_ZNSN_ISO_Lb1ESQ_SR_ST_SU_SY_EESZ_S10_S11_S12_S16_S17_S18_S1B_S1C_jS1D_jS1E_S1E_jjS1G_bEUljE0_EEESZ_S10_S11_S18_S1C_S1E_T6_T7_T9_mT8_S1G_bDpT10_ENKUlT_T0_E_clISt17integral_constantIbLb1EES1U_EEDaS1P_S1Q_EUlS1P_E_NS1_11comp_targetILNS1_3genE0ELNS1_11target_archE4294967295ELNS1_3gpuE0ELNS1_3repE0EEENS1_30default_config_static_selectorELNS0_4arch9wavefront6targetE1EEEvS12_
		.amdhsa_group_segment_fixed_size 0
		.amdhsa_private_segment_fixed_size 0
		.amdhsa_kernarg_size 184
		.amdhsa_user_sgpr_count 6
		.amdhsa_user_sgpr_private_segment_buffer 1
		.amdhsa_user_sgpr_dispatch_ptr 0
		.amdhsa_user_sgpr_queue_ptr 0
		.amdhsa_user_sgpr_kernarg_segment_ptr 1
		.amdhsa_user_sgpr_dispatch_id 0
		.amdhsa_user_sgpr_flat_scratch_init 0
		.amdhsa_user_sgpr_private_segment_size 0
		.amdhsa_uses_dynamic_stack 0
		.amdhsa_system_sgpr_private_segment_wavefront_offset 0
		.amdhsa_system_sgpr_workgroup_id_x 1
		.amdhsa_system_sgpr_workgroup_id_y 0
		.amdhsa_system_sgpr_workgroup_id_z 0
		.amdhsa_system_sgpr_workgroup_info 0
		.amdhsa_system_vgpr_workitem_id 0
		.amdhsa_next_free_vgpr 1
		.amdhsa_next_free_sgpr 0
		.amdhsa_reserve_vcc 0
		.amdhsa_reserve_flat_scratch 0
		.amdhsa_float_round_mode_32 0
		.amdhsa_float_round_mode_16_64 0
		.amdhsa_float_denorm_mode_32 3
		.amdhsa_float_denorm_mode_16_64 3
		.amdhsa_dx10_clamp 1
		.amdhsa_ieee_mode 1
		.amdhsa_fp16_overflow 0
		.amdhsa_exception_fp_ieee_invalid_op 0
		.amdhsa_exception_fp_denorm_src 0
		.amdhsa_exception_fp_ieee_div_zero 0
		.amdhsa_exception_fp_ieee_overflow 0
		.amdhsa_exception_fp_ieee_underflow 0
		.amdhsa_exception_fp_ieee_inexact 0
		.amdhsa_exception_int_div_zero 0
	.end_amdhsa_kernel
	.section	.text._ZN7rocprim17ROCPRIM_400000_NS6detail17trampoline_kernelINS0_13select_configILj256ELj13ELNS0_17block_load_methodE3ELS4_3ELS4_3ELNS0_20block_scan_algorithmE0ELj4294967295EEENS1_25partition_config_selectorILNS1_17partition_subalgoE4EjNS0_10empty_typeEbEEZZNS1_14partition_implILS8_4ELb0ES6_15HIP_vector_typeIjLj2EENS0_17counting_iteratorIjlEEPS9_SG_NS0_5tupleIJPjSI_NS0_16reverse_iteratorISI_EEEEENSH_IJSG_SG_SG_EEES9_SI_JZNS1_25segmented_radix_sort_implINS0_14default_configELb1EPKdPdPKlPlN2at6native12_GLOBAL__N_18offset_tEEE10hipError_tPvRmT1_PNSt15iterator_traitsIS12_E10value_typeET2_T3_PNS13_IS18_E10value_typeET4_jRbjT5_S1E_jjP12ihipStream_tbEUljE_ZNSN_ISO_Lb1ESQ_SR_ST_SU_SY_EESZ_S10_S11_S12_S16_S17_S18_S1B_S1C_jS1D_jS1E_S1E_jjS1G_bEUljE0_EEESZ_S10_S11_S18_S1C_S1E_T6_T7_T9_mT8_S1G_bDpT10_ENKUlT_T0_E_clISt17integral_constantIbLb1EES1U_EEDaS1P_S1Q_EUlS1P_E_NS1_11comp_targetILNS1_3genE0ELNS1_11target_archE4294967295ELNS1_3gpuE0ELNS1_3repE0EEENS1_30default_config_static_selectorELNS0_4arch9wavefront6targetE1EEEvS12_,"axG",@progbits,_ZN7rocprim17ROCPRIM_400000_NS6detail17trampoline_kernelINS0_13select_configILj256ELj13ELNS0_17block_load_methodE3ELS4_3ELS4_3ELNS0_20block_scan_algorithmE0ELj4294967295EEENS1_25partition_config_selectorILNS1_17partition_subalgoE4EjNS0_10empty_typeEbEEZZNS1_14partition_implILS8_4ELb0ES6_15HIP_vector_typeIjLj2EENS0_17counting_iteratorIjlEEPS9_SG_NS0_5tupleIJPjSI_NS0_16reverse_iteratorISI_EEEEENSH_IJSG_SG_SG_EEES9_SI_JZNS1_25segmented_radix_sort_implINS0_14default_configELb1EPKdPdPKlPlN2at6native12_GLOBAL__N_18offset_tEEE10hipError_tPvRmT1_PNSt15iterator_traitsIS12_E10value_typeET2_T3_PNS13_IS18_E10value_typeET4_jRbjT5_S1E_jjP12ihipStream_tbEUljE_ZNSN_ISO_Lb1ESQ_SR_ST_SU_SY_EESZ_S10_S11_S12_S16_S17_S18_S1B_S1C_jS1D_jS1E_S1E_jjS1G_bEUljE0_EEESZ_S10_S11_S18_S1C_S1E_T6_T7_T9_mT8_S1G_bDpT10_ENKUlT_T0_E_clISt17integral_constantIbLb1EES1U_EEDaS1P_S1Q_EUlS1P_E_NS1_11comp_targetILNS1_3genE0ELNS1_11target_archE4294967295ELNS1_3gpuE0ELNS1_3repE0EEENS1_30default_config_static_selectorELNS0_4arch9wavefront6targetE1EEEvS12_,comdat
.Lfunc_end1062:
	.size	_ZN7rocprim17ROCPRIM_400000_NS6detail17trampoline_kernelINS0_13select_configILj256ELj13ELNS0_17block_load_methodE3ELS4_3ELS4_3ELNS0_20block_scan_algorithmE0ELj4294967295EEENS1_25partition_config_selectorILNS1_17partition_subalgoE4EjNS0_10empty_typeEbEEZZNS1_14partition_implILS8_4ELb0ES6_15HIP_vector_typeIjLj2EENS0_17counting_iteratorIjlEEPS9_SG_NS0_5tupleIJPjSI_NS0_16reverse_iteratorISI_EEEEENSH_IJSG_SG_SG_EEES9_SI_JZNS1_25segmented_radix_sort_implINS0_14default_configELb1EPKdPdPKlPlN2at6native12_GLOBAL__N_18offset_tEEE10hipError_tPvRmT1_PNSt15iterator_traitsIS12_E10value_typeET2_T3_PNS13_IS18_E10value_typeET4_jRbjT5_S1E_jjP12ihipStream_tbEUljE_ZNSN_ISO_Lb1ESQ_SR_ST_SU_SY_EESZ_S10_S11_S12_S16_S17_S18_S1B_S1C_jS1D_jS1E_S1E_jjS1G_bEUljE0_EEESZ_S10_S11_S18_S1C_S1E_T6_T7_T9_mT8_S1G_bDpT10_ENKUlT_T0_E_clISt17integral_constantIbLb1EES1U_EEDaS1P_S1Q_EUlS1P_E_NS1_11comp_targetILNS1_3genE0ELNS1_11target_archE4294967295ELNS1_3gpuE0ELNS1_3repE0EEENS1_30default_config_static_selectorELNS0_4arch9wavefront6targetE1EEEvS12_, .Lfunc_end1062-_ZN7rocprim17ROCPRIM_400000_NS6detail17trampoline_kernelINS0_13select_configILj256ELj13ELNS0_17block_load_methodE3ELS4_3ELS4_3ELNS0_20block_scan_algorithmE0ELj4294967295EEENS1_25partition_config_selectorILNS1_17partition_subalgoE4EjNS0_10empty_typeEbEEZZNS1_14partition_implILS8_4ELb0ES6_15HIP_vector_typeIjLj2EENS0_17counting_iteratorIjlEEPS9_SG_NS0_5tupleIJPjSI_NS0_16reverse_iteratorISI_EEEEENSH_IJSG_SG_SG_EEES9_SI_JZNS1_25segmented_radix_sort_implINS0_14default_configELb1EPKdPdPKlPlN2at6native12_GLOBAL__N_18offset_tEEE10hipError_tPvRmT1_PNSt15iterator_traitsIS12_E10value_typeET2_T3_PNS13_IS18_E10value_typeET4_jRbjT5_S1E_jjP12ihipStream_tbEUljE_ZNSN_ISO_Lb1ESQ_SR_ST_SU_SY_EESZ_S10_S11_S12_S16_S17_S18_S1B_S1C_jS1D_jS1E_S1E_jjS1G_bEUljE0_EEESZ_S10_S11_S18_S1C_S1E_T6_T7_T9_mT8_S1G_bDpT10_ENKUlT_T0_E_clISt17integral_constantIbLb1EES1U_EEDaS1P_S1Q_EUlS1P_E_NS1_11comp_targetILNS1_3genE0ELNS1_11target_archE4294967295ELNS1_3gpuE0ELNS1_3repE0EEENS1_30default_config_static_selectorELNS0_4arch9wavefront6targetE1EEEvS12_
                                        ; -- End function
	.set _ZN7rocprim17ROCPRIM_400000_NS6detail17trampoline_kernelINS0_13select_configILj256ELj13ELNS0_17block_load_methodE3ELS4_3ELS4_3ELNS0_20block_scan_algorithmE0ELj4294967295EEENS1_25partition_config_selectorILNS1_17partition_subalgoE4EjNS0_10empty_typeEbEEZZNS1_14partition_implILS8_4ELb0ES6_15HIP_vector_typeIjLj2EENS0_17counting_iteratorIjlEEPS9_SG_NS0_5tupleIJPjSI_NS0_16reverse_iteratorISI_EEEEENSH_IJSG_SG_SG_EEES9_SI_JZNS1_25segmented_radix_sort_implINS0_14default_configELb1EPKdPdPKlPlN2at6native12_GLOBAL__N_18offset_tEEE10hipError_tPvRmT1_PNSt15iterator_traitsIS12_E10value_typeET2_T3_PNS13_IS18_E10value_typeET4_jRbjT5_S1E_jjP12ihipStream_tbEUljE_ZNSN_ISO_Lb1ESQ_SR_ST_SU_SY_EESZ_S10_S11_S12_S16_S17_S18_S1B_S1C_jS1D_jS1E_S1E_jjS1G_bEUljE0_EEESZ_S10_S11_S18_S1C_S1E_T6_T7_T9_mT8_S1G_bDpT10_ENKUlT_T0_E_clISt17integral_constantIbLb1EES1U_EEDaS1P_S1Q_EUlS1P_E_NS1_11comp_targetILNS1_3genE0ELNS1_11target_archE4294967295ELNS1_3gpuE0ELNS1_3repE0EEENS1_30default_config_static_selectorELNS0_4arch9wavefront6targetE1EEEvS12_.num_vgpr, 0
	.set _ZN7rocprim17ROCPRIM_400000_NS6detail17trampoline_kernelINS0_13select_configILj256ELj13ELNS0_17block_load_methodE3ELS4_3ELS4_3ELNS0_20block_scan_algorithmE0ELj4294967295EEENS1_25partition_config_selectorILNS1_17partition_subalgoE4EjNS0_10empty_typeEbEEZZNS1_14partition_implILS8_4ELb0ES6_15HIP_vector_typeIjLj2EENS0_17counting_iteratorIjlEEPS9_SG_NS0_5tupleIJPjSI_NS0_16reverse_iteratorISI_EEEEENSH_IJSG_SG_SG_EEES9_SI_JZNS1_25segmented_radix_sort_implINS0_14default_configELb1EPKdPdPKlPlN2at6native12_GLOBAL__N_18offset_tEEE10hipError_tPvRmT1_PNSt15iterator_traitsIS12_E10value_typeET2_T3_PNS13_IS18_E10value_typeET4_jRbjT5_S1E_jjP12ihipStream_tbEUljE_ZNSN_ISO_Lb1ESQ_SR_ST_SU_SY_EESZ_S10_S11_S12_S16_S17_S18_S1B_S1C_jS1D_jS1E_S1E_jjS1G_bEUljE0_EEESZ_S10_S11_S18_S1C_S1E_T6_T7_T9_mT8_S1G_bDpT10_ENKUlT_T0_E_clISt17integral_constantIbLb1EES1U_EEDaS1P_S1Q_EUlS1P_E_NS1_11comp_targetILNS1_3genE0ELNS1_11target_archE4294967295ELNS1_3gpuE0ELNS1_3repE0EEENS1_30default_config_static_selectorELNS0_4arch9wavefront6targetE1EEEvS12_.num_agpr, 0
	.set _ZN7rocprim17ROCPRIM_400000_NS6detail17trampoline_kernelINS0_13select_configILj256ELj13ELNS0_17block_load_methodE3ELS4_3ELS4_3ELNS0_20block_scan_algorithmE0ELj4294967295EEENS1_25partition_config_selectorILNS1_17partition_subalgoE4EjNS0_10empty_typeEbEEZZNS1_14partition_implILS8_4ELb0ES6_15HIP_vector_typeIjLj2EENS0_17counting_iteratorIjlEEPS9_SG_NS0_5tupleIJPjSI_NS0_16reverse_iteratorISI_EEEEENSH_IJSG_SG_SG_EEES9_SI_JZNS1_25segmented_radix_sort_implINS0_14default_configELb1EPKdPdPKlPlN2at6native12_GLOBAL__N_18offset_tEEE10hipError_tPvRmT1_PNSt15iterator_traitsIS12_E10value_typeET2_T3_PNS13_IS18_E10value_typeET4_jRbjT5_S1E_jjP12ihipStream_tbEUljE_ZNSN_ISO_Lb1ESQ_SR_ST_SU_SY_EESZ_S10_S11_S12_S16_S17_S18_S1B_S1C_jS1D_jS1E_S1E_jjS1G_bEUljE0_EEESZ_S10_S11_S18_S1C_S1E_T6_T7_T9_mT8_S1G_bDpT10_ENKUlT_T0_E_clISt17integral_constantIbLb1EES1U_EEDaS1P_S1Q_EUlS1P_E_NS1_11comp_targetILNS1_3genE0ELNS1_11target_archE4294967295ELNS1_3gpuE0ELNS1_3repE0EEENS1_30default_config_static_selectorELNS0_4arch9wavefront6targetE1EEEvS12_.numbered_sgpr, 0
	.set _ZN7rocprim17ROCPRIM_400000_NS6detail17trampoline_kernelINS0_13select_configILj256ELj13ELNS0_17block_load_methodE3ELS4_3ELS4_3ELNS0_20block_scan_algorithmE0ELj4294967295EEENS1_25partition_config_selectorILNS1_17partition_subalgoE4EjNS0_10empty_typeEbEEZZNS1_14partition_implILS8_4ELb0ES6_15HIP_vector_typeIjLj2EENS0_17counting_iteratorIjlEEPS9_SG_NS0_5tupleIJPjSI_NS0_16reverse_iteratorISI_EEEEENSH_IJSG_SG_SG_EEES9_SI_JZNS1_25segmented_radix_sort_implINS0_14default_configELb1EPKdPdPKlPlN2at6native12_GLOBAL__N_18offset_tEEE10hipError_tPvRmT1_PNSt15iterator_traitsIS12_E10value_typeET2_T3_PNS13_IS18_E10value_typeET4_jRbjT5_S1E_jjP12ihipStream_tbEUljE_ZNSN_ISO_Lb1ESQ_SR_ST_SU_SY_EESZ_S10_S11_S12_S16_S17_S18_S1B_S1C_jS1D_jS1E_S1E_jjS1G_bEUljE0_EEESZ_S10_S11_S18_S1C_S1E_T6_T7_T9_mT8_S1G_bDpT10_ENKUlT_T0_E_clISt17integral_constantIbLb1EES1U_EEDaS1P_S1Q_EUlS1P_E_NS1_11comp_targetILNS1_3genE0ELNS1_11target_archE4294967295ELNS1_3gpuE0ELNS1_3repE0EEENS1_30default_config_static_selectorELNS0_4arch9wavefront6targetE1EEEvS12_.num_named_barrier, 0
	.set _ZN7rocprim17ROCPRIM_400000_NS6detail17trampoline_kernelINS0_13select_configILj256ELj13ELNS0_17block_load_methodE3ELS4_3ELS4_3ELNS0_20block_scan_algorithmE0ELj4294967295EEENS1_25partition_config_selectorILNS1_17partition_subalgoE4EjNS0_10empty_typeEbEEZZNS1_14partition_implILS8_4ELb0ES6_15HIP_vector_typeIjLj2EENS0_17counting_iteratorIjlEEPS9_SG_NS0_5tupleIJPjSI_NS0_16reverse_iteratorISI_EEEEENSH_IJSG_SG_SG_EEES9_SI_JZNS1_25segmented_radix_sort_implINS0_14default_configELb1EPKdPdPKlPlN2at6native12_GLOBAL__N_18offset_tEEE10hipError_tPvRmT1_PNSt15iterator_traitsIS12_E10value_typeET2_T3_PNS13_IS18_E10value_typeET4_jRbjT5_S1E_jjP12ihipStream_tbEUljE_ZNSN_ISO_Lb1ESQ_SR_ST_SU_SY_EESZ_S10_S11_S12_S16_S17_S18_S1B_S1C_jS1D_jS1E_S1E_jjS1G_bEUljE0_EEESZ_S10_S11_S18_S1C_S1E_T6_T7_T9_mT8_S1G_bDpT10_ENKUlT_T0_E_clISt17integral_constantIbLb1EES1U_EEDaS1P_S1Q_EUlS1P_E_NS1_11comp_targetILNS1_3genE0ELNS1_11target_archE4294967295ELNS1_3gpuE0ELNS1_3repE0EEENS1_30default_config_static_selectorELNS0_4arch9wavefront6targetE1EEEvS12_.private_seg_size, 0
	.set _ZN7rocprim17ROCPRIM_400000_NS6detail17trampoline_kernelINS0_13select_configILj256ELj13ELNS0_17block_load_methodE3ELS4_3ELS4_3ELNS0_20block_scan_algorithmE0ELj4294967295EEENS1_25partition_config_selectorILNS1_17partition_subalgoE4EjNS0_10empty_typeEbEEZZNS1_14partition_implILS8_4ELb0ES6_15HIP_vector_typeIjLj2EENS0_17counting_iteratorIjlEEPS9_SG_NS0_5tupleIJPjSI_NS0_16reverse_iteratorISI_EEEEENSH_IJSG_SG_SG_EEES9_SI_JZNS1_25segmented_radix_sort_implINS0_14default_configELb1EPKdPdPKlPlN2at6native12_GLOBAL__N_18offset_tEEE10hipError_tPvRmT1_PNSt15iterator_traitsIS12_E10value_typeET2_T3_PNS13_IS18_E10value_typeET4_jRbjT5_S1E_jjP12ihipStream_tbEUljE_ZNSN_ISO_Lb1ESQ_SR_ST_SU_SY_EESZ_S10_S11_S12_S16_S17_S18_S1B_S1C_jS1D_jS1E_S1E_jjS1G_bEUljE0_EEESZ_S10_S11_S18_S1C_S1E_T6_T7_T9_mT8_S1G_bDpT10_ENKUlT_T0_E_clISt17integral_constantIbLb1EES1U_EEDaS1P_S1Q_EUlS1P_E_NS1_11comp_targetILNS1_3genE0ELNS1_11target_archE4294967295ELNS1_3gpuE0ELNS1_3repE0EEENS1_30default_config_static_selectorELNS0_4arch9wavefront6targetE1EEEvS12_.uses_vcc, 0
	.set _ZN7rocprim17ROCPRIM_400000_NS6detail17trampoline_kernelINS0_13select_configILj256ELj13ELNS0_17block_load_methodE3ELS4_3ELS4_3ELNS0_20block_scan_algorithmE0ELj4294967295EEENS1_25partition_config_selectorILNS1_17partition_subalgoE4EjNS0_10empty_typeEbEEZZNS1_14partition_implILS8_4ELb0ES6_15HIP_vector_typeIjLj2EENS0_17counting_iteratorIjlEEPS9_SG_NS0_5tupleIJPjSI_NS0_16reverse_iteratorISI_EEEEENSH_IJSG_SG_SG_EEES9_SI_JZNS1_25segmented_radix_sort_implINS0_14default_configELb1EPKdPdPKlPlN2at6native12_GLOBAL__N_18offset_tEEE10hipError_tPvRmT1_PNSt15iterator_traitsIS12_E10value_typeET2_T3_PNS13_IS18_E10value_typeET4_jRbjT5_S1E_jjP12ihipStream_tbEUljE_ZNSN_ISO_Lb1ESQ_SR_ST_SU_SY_EESZ_S10_S11_S12_S16_S17_S18_S1B_S1C_jS1D_jS1E_S1E_jjS1G_bEUljE0_EEESZ_S10_S11_S18_S1C_S1E_T6_T7_T9_mT8_S1G_bDpT10_ENKUlT_T0_E_clISt17integral_constantIbLb1EES1U_EEDaS1P_S1Q_EUlS1P_E_NS1_11comp_targetILNS1_3genE0ELNS1_11target_archE4294967295ELNS1_3gpuE0ELNS1_3repE0EEENS1_30default_config_static_selectorELNS0_4arch9wavefront6targetE1EEEvS12_.uses_flat_scratch, 0
	.set _ZN7rocprim17ROCPRIM_400000_NS6detail17trampoline_kernelINS0_13select_configILj256ELj13ELNS0_17block_load_methodE3ELS4_3ELS4_3ELNS0_20block_scan_algorithmE0ELj4294967295EEENS1_25partition_config_selectorILNS1_17partition_subalgoE4EjNS0_10empty_typeEbEEZZNS1_14partition_implILS8_4ELb0ES6_15HIP_vector_typeIjLj2EENS0_17counting_iteratorIjlEEPS9_SG_NS0_5tupleIJPjSI_NS0_16reverse_iteratorISI_EEEEENSH_IJSG_SG_SG_EEES9_SI_JZNS1_25segmented_radix_sort_implINS0_14default_configELb1EPKdPdPKlPlN2at6native12_GLOBAL__N_18offset_tEEE10hipError_tPvRmT1_PNSt15iterator_traitsIS12_E10value_typeET2_T3_PNS13_IS18_E10value_typeET4_jRbjT5_S1E_jjP12ihipStream_tbEUljE_ZNSN_ISO_Lb1ESQ_SR_ST_SU_SY_EESZ_S10_S11_S12_S16_S17_S18_S1B_S1C_jS1D_jS1E_S1E_jjS1G_bEUljE0_EEESZ_S10_S11_S18_S1C_S1E_T6_T7_T9_mT8_S1G_bDpT10_ENKUlT_T0_E_clISt17integral_constantIbLb1EES1U_EEDaS1P_S1Q_EUlS1P_E_NS1_11comp_targetILNS1_3genE0ELNS1_11target_archE4294967295ELNS1_3gpuE0ELNS1_3repE0EEENS1_30default_config_static_selectorELNS0_4arch9wavefront6targetE1EEEvS12_.has_dyn_sized_stack, 0
	.set _ZN7rocprim17ROCPRIM_400000_NS6detail17trampoline_kernelINS0_13select_configILj256ELj13ELNS0_17block_load_methodE3ELS4_3ELS4_3ELNS0_20block_scan_algorithmE0ELj4294967295EEENS1_25partition_config_selectorILNS1_17partition_subalgoE4EjNS0_10empty_typeEbEEZZNS1_14partition_implILS8_4ELb0ES6_15HIP_vector_typeIjLj2EENS0_17counting_iteratorIjlEEPS9_SG_NS0_5tupleIJPjSI_NS0_16reverse_iteratorISI_EEEEENSH_IJSG_SG_SG_EEES9_SI_JZNS1_25segmented_radix_sort_implINS0_14default_configELb1EPKdPdPKlPlN2at6native12_GLOBAL__N_18offset_tEEE10hipError_tPvRmT1_PNSt15iterator_traitsIS12_E10value_typeET2_T3_PNS13_IS18_E10value_typeET4_jRbjT5_S1E_jjP12ihipStream_tbEUljE_ZNSN_ISO_Lb1ESQ_SR_ST_SU_SY_EESZ_S10_S11_S12_S16_S17_S18_S1B_S1C_jS1D_jS1E_S1E_jjS1G_bEUljE0_EEESZ_S10_S11_S18_S1C_S1E_T6_T7_T9_mT8_S1G_bDpT10_ENKUlT_T0_E_clISt17integral_constantIbLb1EES1U_EEDaS1P_S1Q_EUlS1P_E_NS1_11comp_targetILNS1_3genE0ELNS1_11target_archE4294967295ELNS1_3gpuE0ELNS1_3repE0EEENS1_30default_config_static_selectorELNS0_4arch9wavefront6targetE1EEEvS12_.has_recursion, 0
	.set _ZN7rocprim17ROCPRIM_400000_NS6detail17trampoline_kernelINS0_13select_configILj256ELj13ELNS0_17block_load_methodE3ELS4_3ELS4_3ELNS0_20block_scan_algorithmE0ELj4294967295EEENS1_25partition_config_selectorILNS1_17partition_subalgoE4EjNS0_10empty_typeEbEEZZNS1_14partition_implILS8_4ELb0ES6_15HIP_vector_typeIjLj2EENS0_17counting_iteratorIjlEEPS9_SG_NS0_5tupleIJPjSI_NS0_16reverse_iteratorISI_EEEEENSH_IJSG_SG_SG_EEES9_SI_JZNS1_25segmented_radix_sort_implINS0_14default_configELb1EPKdPdPKlPlN2at6native12_GLOBAL__N_18offset_tEEE10hipError_tPvRmT1_PNSt15iterator_traitsIS12_E10value_typeET2_T3_PNS13_IS18_E10value_typeET4_jRbjT5_S1E_jjP12ihipStream_tbEUljE_ZNSN_ISO_Lb1ESQ_SR_ST_SU_SY_EESZ_S10_S11_S12_S16_S17_S18_S1B_S1C_jS1D_jS1E_S1E_jjS1G_bEUljE0_EEESZ_S10_S11_S18_S1C_S1E_T6_T7_T9_mT8_S1G_bDpT10_ENKUlT_T0_E_clISt17integral_constantIbLb1EES1U_EEDaS1P_S1Q_EUlS1P_E_NS1_11comp_targetILNS1_3genE0ELNS1_11target_archE4294967295ELNS1_3gpuE0ELNS1_3repE0EEENS1_30default_config_static_selectorELNS0_4arch9wavefront6targetE1EEEvS12_.has_indirect_call, 0
	.section	.AMDGPU.csdata,"",@progbits
; Kernel info:
; codeLenInByte = 0
; TotalNumSgprs: 4
; NumVgprs: 0
; ScratchSize: 0
; MemoryBound: 0
; FloatMode: 240
; IeeeMode: 1
; LDSByteSize: 0 bytes/workgroup (compile time only)
; SGPRBlocks: 0
; VGPRBlocks: 0
; NumSGPRsForWavesPerEU: 4
; NumVGPRsForWavesPerEU: 1
; Occupancy: 10
; WaveLimiterHint : 0
; COMPUTE_PGM_RSRC2:SCRATCH_EN: 0
; COMPUTE_PGM_RSRC2:USER_SGPR: 6
; COMPUTE_PGM_RSRC2:TRAP_HANDLER: 0
; COMPUTE_PGM_RSRC2:TGID_X_EN: 1
; COMPUTE_PGM_RSRC2:TGID_Y_EN: 0
; COMPUTE_PGM_RSRC2:TGID_Z_EN: 0
; COMPUTE_PGM_RSRC2:TIDIG_COMP_CNT: 0
	.section	.text._ZN7rocprim17ROCPRIM_400000_NS6detail17trampoline_kernelINS0_13select_configILj256ELj13ELNS0_17block_load_methodE3ELS4_3ELS4_3ELNS0_20block_scan_algorithmE0ELj4294967295EEENS1_25partition_config_selectorILNS1_17partition_subalgoE4EjNS0_10empty_typeEbEEZZNS1_14partition_implILS8_4ELb0ES6_15HIP_vector_typeIjLj2EENS0_17counting_iteratorIjlEEPS9_SG_NS0_5tupleIJPjSI_NS0_16reverse_iteratorISI_EEEEENSH_IJSG_SG_SG_EEES9_SI_JZNS1_25segmented_radix_sort_implINS0_14default_configELb1EPKdPdPKlPlN2at6native12_GLOBAL__N_18offset_tEEE10hipError_tPvRmT1_PNSt15iterator_traitsIS12_E10value_typeET2_T3_PNS13_IS18_E10value_typeET4_jRbjT5_S1E_jjP12ihipStream_tbEUljE_ZNSN_ISO_Lb1ESQ_SR_ST_SU_SY_EESZ_S10_S11_S12_S16_S17_S18_S1B_S1C_jS1D_jS1E_S1E_jjS1G_bEUljE0_EEESZ_S10_S11_S18_S1C_S1E_T6_T7_T9_mT8_S1G_bDpT10_ENKUlT_T0_E_clISt17integral_constantIbLb1EES1U_EEDaS1P_S1Q_EUlS1P_E_NS1_11comp_targetILNS1_3genE5ELNS1_11target_archE942ELNS1_3gpuE9ELNS1_3repE0EEENS1_30default_config_static_selectorELNS0_4arch9wavefront6targetE1EEEvS12_,"axG",@progbits,_ZN7rocprim17ROCPRIM_400000_NS6detail17trampoline_kernelINS0_13select_configILj256ELj13ELNS0_17block_load_methodE3ELS4_3ELS4_3ELNS0_20block_scan_algorithmE0ELj4294967295EEENS1_25partition_config_selectorILNS1_17partition_subalgoE4EjNS0_10empty_typeEbEEZZNS1_14partition_implILS8_4ELb0ES6_15HIP_vector_typeIjLj2EENS0_17counting_iteratorIjlEEPS9_SG_NS0_5tupleIJPjSI_NS0_16reverse_iteratorISI_EEEEENSH_IJSG_SG_SG_EEES9_SI_JZNS1_25segmented_radix_sort_implINS0_14default_configELb1EPKdPdPKlPlN2at6native12_GLOBAL__N_18offset_tEEE10hipError_tPvRmT1_PNSt15iterator_traitsIS12_E10value_typeET2_T3_PNS13_IS18_E10value_typeET4_jRbjT5_S1E_jjP12ihipStream_tbEUljE_ZNSN_ISO_Lb1ESQ_SR_ST_SU_SY_EESZ_S10_S11_S12_S16_S17_S18_S1B_S1C_jS1D_jS1E_S1E_jjS1G_bEUljE0_EEESZ_S10_S11_S18_S1C_S1E_T6_T7_T9_mT8_S1G_bDpT10_ENKUlT_T0_E_clISt17integral_constantIbLb1EES1U_EEDaS1P_S1Q_EUlS1P_E_NS1_11comp_targetILNS1_3genE5ELNS1_11target_archE942ELNS1_3gpuE9ELNS1_3repE0EEENS1_30default_config_static_selectorELNS0_4arch9wavefront6targetE1EEEvS12_,comdat
	.globl	_ZN7rocprim17ROCPRIM_400000_NS6detail17trampoline_kernelINS0_13select_configILj256ELj13ELNS0_17block_load_methodE3ELS4_3ELS4_3ELNS0_20block_scan_algorithmE0ELj4294967295EEENS1_25partition_config_selectorILNS1_17partition_subalgoE4EjNS0_10empty_typeEbEEZZNS1_14partition_implILS8_4ELb0ES6_15HIP_vector_typeIjLj2EENS0_17counting_iteratorIjlEEPS9_SG_NS0_5tupleIJPjSI_NS0_16reverse_iteratorISI_EEEEENSH_IJSG_SG_SG_EEES9_SI_JZNS1_25segmented_radix_sort_implINS0_14default_configELb1EPKdPdPKlPlN2at6native12_GLOBAL__N_18offset_tEEE10hipError_tPvRmT1_PNSt15iterator_traitsIS12_E10value_typeET2_T3_PNS13_IS18_E10value_typeET4_jRbjT5_S1E_jjP12ihipStream_tbEUljE_ZNSN_ISO_Lb1ESQ_SR_ST_SU_SY_EESZ_S10_S11_S12_S16_S17_S18_S1B_S1C_jS1D_jS1E_S1E_jjS1G_bEUljE0_EEESZ_S10_S11_S18_S1C_S1E_T6_T7_T9_mT8_S1G_bDpT10_ENKUlT_T0_E_clISt17integral_constantIbLb1EES1U_EEDaS1P_S1Q_EUlS1P_E_NS1_11comp_targetILNS1_3genE5ELNS1_11target_archE942ELNS1_3gpuE9ELNS1_3repE0EEENS1_30default_config_static_selectorELNS0_4arch9wavefront6targetE1EEEvS12_ ; -- Begin function _ZN7rocprim17ROCPRIM_400000_NS6detail17trampoline_kernelINS0_13select_configILj256ELj13ELNS0_17block_load_methodE3ELS4_3ELS4_3ELNS0_20block_scan_algorithmE0ELj4294967295EEENS1_25partition_config_selectorILNS1_17partition_subalgoE4EjNS0_10empty_typeEbEEZZNS1_14partition_implILS8_4ELb0ES6_15HIP_vector_typeIjLj2EENS0_17counting_iteratorIjlEEPS9_SG_NS0_5tupleIJPjSI_NS0_16reverse_iteratorISI_EEEEENSH_IJSG_SG_SG_EEES9_SI_JZNS1_25segmented_radix_sort_implINS0_14default_configELb1EPKdPdPKlPlN2at6native12_GLOBAL__N_18offset_tEEE10hipError_tPvRmT1_PNSt15iterator_traitsIS12_E10value_typeET2_T3_PNS13_IS18_E10value_typeET4_jRbjT5_S1E_jjP12ihipStream_tbEUljE_ZNSN_ISO_Lb1ESQ_SR_ST_SU_SY_EESZ_S10_S11_S12_S16_S17_S18_S1B_S1C_jS1D_jS1E_S1E_jjS1G_bEUljE0_EEESZ_S10_S11_S18_S1C_S1E_T6_T7_T9_mT8_S1G_bDpT10_ENKUlT_T0_E_clISt17integral_constantIbLb1EES1U_EEDaS1P_S1Q_EUlS1P_E_NS1_11comp_targetILNS1_3genE5ELNS1_11target_archE942ELNS1_3gpuE9ELNS1_3repE0EEENS1_30default_config_static_selectorELNS0_4arch9wavefront6targetE1EEEvS12_
	.p2align	8
	.type	_ZN7rocprim17ROCPRIM_400000_NS6detail17trampoline_kernelINS0_13select_configILj256ELj13ELNS0_17block_load_methodE3ELS4_3ELS4_3ELNS0_20block_scan_algorithmE0ELj4294967295EEENS1_25partition_config_selectorILNS1_17partition_subalgoE4EjNS0_10empty_typeEbEEZZNS1_14partition_implILS8_4ELb0ES6_15HIP_vector_typeIjLj2EENS0_17counting_iteratorIjlEEPS9_SG_NS0_5tupleIJPjSI_NS0_16reverse_iteratorISI_EEEEENSH_IJSG_SG_SG_EEES9_SI_JZNS1_25segmented_radix_sort_implINS0_14default_configELb1EPKdPdPKlPlN2at6native12_GLOBAL__N_18offset_tEEE10hipError_tPvRmT1_PNSt15iterator_traitsIS12_E10value_typeET2_T3_PNS13_IS18_E10value_typeET4_jRbjT5_S1E_jjP12ihipStream_tbEUljE_ZNSN_ISO_Lb1ESQ_SR_ST_SU_SY_EESZ_S10_S11_S12_S16_S17_S18_S1B_S1C_jS1D_jS1E_S1E_jjS1G_bEUljE0_EEESZ_S10_S11_S18_S1C_S1E_T6_T7_T9_mT8_S1G_bDpT10_ENKUlT_T0_E_clISt17integral_constantIbLb1EES1U_EEDaS1P_S1Q_EUlS1P_E_NS1_11comp_targetILNS1_3genE5ELNS1_11target_archE942ELNS1_3gpuE9ELNS1_3repE0EEENS1_30default_config_static_selectorELNS0_4arch9wavefront6targetE1EEEvS12_,@function
_ZN7rocprim17ROCPRIM_400000_NS6detail17trampoline_kernelINS0_13select_configILj256ELj13ELNS0_17block_load_methodE3ELS4_3ELS4_3ELNS0_20block_scan_algorithmE0ELj4294967295EEENS1_25partition_config_selectorILNS1_17partition_subalgoE4EjNS0_10empty_typeEbEEZZNS1_14partition_implILS8_4ELb0ES6_15HIP_vector_typeIjLj2EENS0_17counting_iteratorIjlEEPS9_SG_NS0_5tupleIJPjSI_NS0_16reverse_iteratorISI_EEEEENSH_IJSG_SG_SG_EEES9_SI_JZNS1_25segmented_radix_sort_implINS0_14default_configELb1EPKdPdPKlPlN2at6native12_GLOBAL__N_18offset_tEEE10hipError_tPvRmT1_PNSt15iterator_traitsIS12_E10value_typeET2_T3_PNS13_IS18_E10value_typeET4_jRbjT5_S1E_jjP12ihipStream_tbEUljE_ZNSN_ISO_Lb1ESQ_SR_ST_SU_SY_EESZ_S10_S11_S12_S16_S17_S18_S1B_S1C_jS1D_jS1E_S1E_jjS1G_bEUljE0_EEESZ_S10_S11_S18_S1C_S1E_T6_T7_T9_mT8_S1G_bDpT10_ENKUlT_T0_E_clISt17integral_constantIbLb1EES1U_EEDaS1P_S1Q_EUlS1P_E_NS1_11comp_targetILNS1_3genE5ELNS1_11target_archE942ELNS1_3gpuE9ELNS1_3repE0EEENS1_30default_config_static_selectorELNS0_4arch9wavefront6targetE1EEEvS12_: ; @_ZN7rocprim17ROCPRIM_400000_NS6detail17trampoline_kernelINS0_13select_configILj256ELj13ELNS0_17block_load_methodE3ELS4_3ELS4_3ELNS0_20block_scan_algorithmE0ELj4294967295EEENS1_25partition_config_selectorILNS1_17partition_subalgoE4EjNS0_10empty_typeEbEEZZNS1_14partition_implILS8_4ELb0ES6_15HIP_vector_typeIjLj2EENS0_17counting_iteratorIjlEEPS9_SG_NS0_5tupleIJPjSI_NS0_16reverse_iteratorISI_EEEEENSH_IJSG_SG_SG_EEES9_SI_JZNS1_25segmented_radix_sort_implINS0_14default_configELb1EPKdPdPKlPlN2at6native12_GLOBAL__N_18offset_tEEE10hipError_tPvRmT1_PNSt15iterator_traitsIS12_E10value_typeET2_T3_PNS13_IS18_E10value_typeET4_jRbjT5_S1E_jjP12ihipStream_tbEUljE_ZNSN_ISO_Lb1ESQ_SR_ST_SU_SY_EESZ_S10_S11_S12_S16_S17_S18_S1B_S1C_jS1D_jS1E_S1E_jjS1G_bEUljE0_EEESZ_S10_S11_S18_S1C_S1E_T6_T7_T9_mT8_S1G_bDpT10_ENKUlT_T0_E_clISt17integral_constantIbLb1EES1U_EEDaS1P_S1Q_EUlS1P_E_NS1_11comp_targetILNS1_3genE5ELNS1_11target_archE942ELNS1_3gpuE9ELNS1_3repE0EEENS1_30default_config_static_selectorELNS0_4arch9wavefront6targetE1EEEvS12_
; %bb.0:
	.section	.rodata,"a",@progbits
	.p2align	6, 0x0
	.amdhsa_kernel _ZN7rocprim17ROCPRIM_400000_NS6detail17trampoline_kernelINS0_13select_configILj256ELj13ELNS0_17block_load_methodE3ELS4_3ELS4_3ELNS0_20block_scan_algorithmE0ELj4294967295EEENS1_25partition_config_selectorILNS1_17partition_subalgoE4EjNS0_10empty_typeEbEEZZNS1_14partition_implILS8_4ELb0ES6_15HIP_vector_typeIjLj2EENS0_17counting_iteratorIjlEEPS9_SG_NS0_5tupleIJPjSI_NS0_16reverse_iteratorISI_EEEEENSH_IJSG_SG_SG_EEES9_SI_JZNS1_25segmented_radix_sort_implINS0_14default_configELb1EPKdPdPKlPlN2at6native12_GLOBAL__N_18offset_tEEE10hipError_tPvRmT1_PNSt15iterator_traitsIS12_E10value_typeET2_T3_PNS13_IS18_E10value_typeET4_jRbjT5_S1E_jjP12ihipStream_tbEUljE_ZNSN_ISO_Lb1ESQ_SR_ST_SU_SY_EESZ_S10_S11_S12_S16_S17_S18_S1B_S1C_jS1D_jS1E_S1E_jjS1G_bEUljE0_EEESZ_S10_S11_S18_S1C_S1E_T6_T7_T9_mT8_S1G_bDpT10_ENKUlT_T0_E_clISt17integral_constantIbLb1EES1U_EEDaS1P_S1Q_EUlS1P_E_NS1_11comp_targetILNS1_3genE5ELNS1_11target_archE942ELNS1_3gpuE9ELNS1_3repE0EEENS1_30default_config_static_selectorELNS0_4arch9wavefront6targetE1EEEvS12_
		.amdhsa_group_segment_fixed_size 0
		.amdhsa_private_segment_fixed_size 0
		.amdhsa_kernarg_size 184
		.amdhsa_user_sgpr_count 6
		.amdhsa_user_sgpr_private_segment_buffer 1
		.amdhsa_user_sgpr_dispatch_ptr 0
		.amdhsa_user_sgpr_queue_ptr 0
		.amdhsa_user_sgpr_kernarg_segment_ptr 1
		.amdhsa_user_sgpr_dispatch_id 0
		.amdhsa_user_sgpr_flat_scratch_init 0
		.amdhsa_user_sgpr_private_segment_size 0
		.amdhsa_uses_dynamic_stack 0
		.amdhsa_system_sgpr_private_segment_wavefront_offset 0
		.amdhsa_system_sgpr_workgroup_id_x 1
		.amdhsa_system_sgpr_workgroup_id_y 0
		.amdhsa_system_sgpr_workgroup_id_z 0
		.amdhsa_system_sgpr_workgroup_info 0
		.amdhsa_system_vgpr_workitem_id 0
		.amdhsa_next_free_vgpr 1
		.amdhsa_next_free_sgpr 0
		.amdhsa_reserve_vcc 0
		.amdhsa_reserve_flat_scratch 0
		.amdhsa_float_round_mode_32 0
		.amdhsa_float_round_mode_16_64 0
		.amdhsa_float_denorm_mode_32 3
		.amdhsa_float_denorm_mode_16_64 3
		.amdhsa_dx10_clamp 1
		.amdhsa_ieee_mode 1
		.amdhsa_fp16_overflow 0
		.amdhsa_exception_fp_ieee_invalid_op 0
		.amdhsa_exception_fp_denorm_src 0
		.amdhsa_exception_fp_ieee_div_zero 0
		.amdhsa_exception_fp_ieee_overflow 0
		.amdhsa_exception_fp_ieee_underflow 0
		.amdhsa_exception_fp_ieee_inexact 0
		.amdhsa_exception_int_div_zero 0
	.end_amdhsa_kernel
	.section	.text._ZN7rocprim17ROCPRIM_400000_NS6detail17trampoline_kernelINS0_13select_configILj256ELj13ELNS0_17block_load_methodE3ELS4_3ELS4_3ELNS0_20block_scan_algorithmE0ELj4294967295EEENS1_25partition_config_selectorILNS1_17partition_subalgoE4EjNS0_10empty_typeEbEEZZNS1_14partition_implILS8_4ELb0ES6_15HIP_vector_typeIjLj2EENS0_17counting_iteratorIjlEEPS9_SG_NS0_5tupleIJPjSI_NS0_16reverse_iteratorISI_EEEEENSH_IJSG_SG_SG_EEES9_SI_JZNS1_25segmented_radix_sort_implINS0_14default_configELb1EPKdPdPKlPlN2at6native12_GLOBAL__N_18offset_tEEE10hipError_tPvRmT1_PNSt15iterator_traitsIS12_E10value_typeET2_T3_PNS13_IS18_E10value_typeET4_jRbjT5_S1E_jjP12ihipStream_tbEUljE_ZNSN_ISO_Lb1ESQ_SR_ST_SU_SY_EESZ_S10_S11_S12_S16_S17_S18_S1B_S1C_jS1D_jS1E_S1E_jjS1G_bEUljE0_EEESZ_S10_S11_S18_S1C_S1E_T6_T7_T9_mT8_S1G_bDpT10_ENKUlT_T0_E_clISt17integral_constantIbLb1EES1U_EEDaS1P_S1Q_EUlS1P_E_NS1_11comp_targetILNS1_3genE5ELNS1_11target_archE942ELNS1_3gpuE9ELNS1_3repE0EEENS1_30default_config_static_selectorELNS0_4arch9wavefront6targetE1EEEvS12_,"axG",@progbits,_ZN7rocprim17ROCPRIM_400000_NS6detail17trampoline_kernelINS0_13select_configILj256ELj13ELNS0_17block_load_methodE3ELS4_3ELS4_3ELNS0_20block_scan_algorithmE0ELj4294967295EEENS1_25partition_config_selectorILNS1_17partition_subalgoE4EjNS0_10empty_typeEbEEZZNS1_14partition_implILS8_4ELb0ES6_15HIP_vector_typeIjLj2EENS0_17counting_iteratorIjlEEPS9_SG_NS0_5tupleIJPjSI_NS0_16reverse_iteratorISI_EEEEENSH_IJSG_SG_SG_EEES9_SI_JZNS1_25segmented_radix_sort_implINS0_14default_configELb1EPKdPdPKlPlN2at6native12_GLOBAL__N_18offset_tEEE10hipError_tPvRmT1_PNSt15iterator_traitsIS12_E10value_typeET2_T3_PNS13_IS18_E10value_typeET4_jRbjT5_S1E_jjP12ihipStream_tbEUljE_ZNSN_ISO_Lb1ESQ_SR_ST_SU_SY_EESZ_S10_S11_S12_S16_S17_S18_S1B_S1C_jS1D_jS1E_S1E_jjS1G_bEUljE0_EEESZ_S10_S11_S18_S1C_S1E_T6_T7_T9_mT8_S1G_bDpT10_ENKUlT_T0_E_clISt17integral_constantIbLb1EES1U_EEDaS1P_S1Q_EUlS1P_E_NS1_11comp_targetILNS1_3genE5ELNS1_11target_archE942ELNS1_3gpuE9ELNS1_3repE0EEENS1_30default_config_static_selectorELNS0_4arch9wavefront6targetE1EEEvS12_,comdat
.Lfunc_end1063:
	.size	_ZN7rocprim17ROCPRIM_400000_NS6detail17trampoline_kernelINS0_13select_configILj256ELj13ELNS0_17block_load_methodE3ELS4_3ELS4_3ELNS0_20block_scan_algorithmE0ELj4294967295EEENS1_25partition_config_selectorILNS1_17partition_subalgoE4EjNS0_10empty_typeEbEEZZNS1_14partition_implILS8_4ELb0ES6_15HIP_vector_typeIjLj2EENS0_17counting_iteratorIjlEEPS9_SG_NS0_5tupleIJPjSI_NS0_16reverse_iteratorISI_EEEEENSH_IJSG_SG_SG_EEES9_SI_JZNS1_25segmented_radix_sort_implINS0_14default_configELb1EPKdPdPKlPlN2at6native12_GLOBAL__N_18offset_tEEE10hipError_tPvRmT1_PNSt15iterator_traitsIS12_E10value_typeET2_T3_PNS13_IS18_E10value_typeET4_jRbjT5_S1E_jjP12ihipStream_tbEUljE_ZNSN_ISO_Lb1ESQ_SR_ST_SU_SY_EESZ_S10_S11_S12_S16_S17_S18_S1B_S1C_jS1D_jS1E_S1E_jjS1G_bEUljE0_EEESZ_S10_S11_S18_S1C_S1E_T6_T7_T9_mT8_S1G_bDpT10_ENKUlT_T0_E_clISt17integral_constantIbLb1EES1U_EEDaS1P_S1Q_EUlS1P_E_NS1_11comp_targetILNS1_3genE5ELNS1_11target_archE942ELNS1_3gpuE9ELNS1_3repE0EEENS1_30default_config_static_selectorELNS0_4arch9wavefront6targetE1EEEvS12_, .Lfunc_end1063-_ZN7rocprim17ROCPRIM_400000_NS6detail17trampoline_kernelINS0_13select_configILj256ELj13ELNS0_17block_load_methodE3ELS4_3ELS4_3ELNS0_20block_scan_algorithmE0ELj4294967295EEENS1_25partition_config_selectorILNS1_17partition_subalgoE4EjNS0_10empty_typeEbEEZZNS1_14partition_implILS8_4ELb0ES6_15HIP_vector_typeIjLj2EENS0_17counting_iteratorIjlEEPS9_SG_NS0_5tupleIJPjSI_NS0_16reverse_iteratorISI_EEEEENSH_IJSG_SG_SG_EEES9_SI_JZNS1_25segmented_radix_sort_implINS0_14default_configELb1EPKdPdPKlPlN2at6native12_GLOBAL__N_18offset_tEEE10hipError_tPvRmT1_PNSt15iterator_traitsIS12_E10value_typeET2_T3_PNS13_IS18_E10value_typeET4_jRbjT5_S1E_jjP12ihipStream_tbEUljE_ZNSN_ISO_Lb1ESQ_SR_ST_SU_SY_EESZ_S10_S11_S12_S16_S17_S18_S1B_S1C_jS1D_jS1E_S1E_jjS1G_bEUljE0_EEESZ_S10_S11_S18_S1C_S1E_T6_T7_T9_mT8_S1G_bDpT10_ENKUlT_T0_E_clISt17integral_constantIbLb1EES1U_EEDaS1P_S1Q_EUlS1P_E_NS1_11comp_targetILNS1_3genE5ELNS1_11target_archE942ELNS1_3gpuE9ELNS1_3repE0EEENS1_30default_config_static_selectorELNS0_4arch9wavefront6targetE1EEEvS12_
                                        ; -- End function
	.set _ZN7rocprim17ROCPRIM_400000_NS6detail17trampoline_kernelINS0_13select_configILj256ELj13ELNS0_17block_load_methodE3ELS4_3ELS4_3ELNS0_20block_scan_algorithmE0ELj4294967295EEENS1_25partition_config_selectorILNS1_17partition_subalgoE4EjNS0_10empty_typeEbEEZZNS1_14partition_implILS8_4ELb0ES6_15HIP_vector_typeIjLj2EENS0_17counting_iteratorIjlEEPS9_SG_NS0_5tupleIJPjSI_NS0_16reverse_iteratorISI_EEEEENSH_IJSG_SG_SG_EEES9_SI_JZNS1_25segmented_radix_sort_implINS0_14default_configELb1EPKdPdPKlPlN2at6native12_GLOBAL__N_18offset_tEEE10hipError_tPvRmT1_PNSt15iterator_traitsIS12_E10value_typeET2_T3_PNS13_IS18_E10value_typeET4_jRbjT5_S1E_jjP12ihipStream_tbEUljE_ZNSN_ISO_Lb1ESQ_SR_ST_SU_SY_EESZ_S10_S11_S12_S16_S17_S18_S1B_S1C_jS1D_jS1E_S1E_jjS1G_bEUljE0_EEESZ_S10_S11_S18_S1C_S1E_T6_T7_T9_mT8_S1G_bDpT10_ENKUlT_T0_E_clISt17integral_constantIbLb1EES1U_EEDaS1P_S1Q_EUlS1P_E_NS1_11comp_targetILNS1_3genE5ELNS1_11target_archE942ELNS1_3gpuE9ELNS1_3repE0EEENS1_30default_config_static_selectorELNS0_4arch9wavefront6targetE1EEEvS12_.num_vgpr, 0
	.set _ZN7rocprim17ROCPRIM_400000_NS6detail17trampoline_kernelINS0_13select_configILj256ELj13ELNS0_17block_load_methodE3ELS4_3ELS4_3ELNS0_20block_scan_algorithmE0ELj4294967295EEENS1_25partition_config_selectorILNS1_17partition_subalgoE4EjNS0_10empty_typeEbEEZZNS1_14partition_implILS8_4ELb0ES6_15HIP_vector_typeIjLj2EENS0_17counting_iteratorIjlEEPS9_SG_NS0_5tupleIJPjSI_NS0_16reverse_iteratorISI_EEEEENSH_IJSG_SG_SG_EEES9_SI_JZNS1_25segmented_radix_sort_implINS0_14default_configELb1EPKdPdPKlPlN2at6native12_GLOBAL__N_18offset_tEEE10hipError_tPvRmT1_PNSt15iterator_traitsIS12_E10value_typeET2_T3_PNS13_IS18_E10value_typeET4_jRbjT5_S1E_jjP12ihipStream_tbEUljE_ZNSN_ISO_Lb1ESQ_SR_ST_SU_SY_EESZ_S10_S11_S12_S16_S17_S18_S1B_S1C_jS1D_jS1E_S1E_jjS1G_bEUljE0_EEESZ_S10_S11_S18_S1C_S1E_T6_T7_T9_mT8_S1G_bDpT10_ENKUlT_T0_E_clISt17integral_constantIbLb1EES1U_EEDaS1P_S1Q_EUlS1P_E_NS1_11comp_targetILNS1_3genE5ELNS1_11target_archE942ELNS1_3gpuE9ELNS1_3repE0EEENS1_30default_config_static_selectorELNS0_4arch9wavefront6targetE1EEEvS12_.num_agpr, 0
	.set _ZN7rocprim17ROCPRIM_400000_NS6detail17trampoline_kernelINS0_13select_configILj256ELj13ELNS0_17block_load_methodE3ELS4_3ELS4_3ELNS0_20block_scan_algorithmE0ELj4294967295EEENS1_25partition_config_selectorILNS1_17partition_subalgoE4EjNS0_10empty_typeEbEEZZNS1_14partition_implILS8_4ELb0ES6_15HIP_vector_typeIjLj2EENS0_17counting_iteratorIjlEEPS9_SG_NS0_5tupleIJPjSI_NS0_16reverse_iteratorISI_EEEEENSH_IJSG_SG_SG_EEES9_SI_JZNS1_25segmented_radix_sort_implINS0_14default_configELb1EPKdPdPKlPlN2at6native12_GLOBAL__N_18offset_tEEE10hipError_tPvRmT1_PNSt15iterator_traitsIS12_E10value_typeET2_T3_PNS13_IS18_E10value_typeET4_jRbjT5_S1E_jjP12ihipStream_tbEUljE_ZNSN_ISO_Lb1ESQ_SR_ST_SU_SY_EESZ_S10_S11_S12_S16_S17_S18_S1B_S1C_jS1D_jS1E_S1E_jjS1G_bEUljE0_EEESZ_S10_S11_S18_S1C_S1E_T6_T7_T9_mT8_S1G_bDpT10_ENKUlT_T0_E_clISt17integral_constantIbLb1EES1U_EEDaS1P_S1Q_EUlS1P_E_NS1_11comp_targetILNS1_3genE5ELNS1_11target_archE942ELNS1_3gpuE9ELNS1_3repE0EEENS1_30default_config_static_selectorELNS0_4arch9wavefront6targetE1EEEvS12_.numbered_sgpr, 0
	.set _ZN7rocprim17ROCPRIM_400000_NS6detail17trampoline_kernelINS0_13select_configILj256ELj13ELNS0_17block_load_methodE3ELS4_3ELS4_3ELNS0_20block_scan_algorithmE0ELj4294967295EEENS1_25partition_config_selectorILNS1_17partition_subalgoE4EjNS0_10empty_typeEbEEZZNS1_14partition_implILS8_4ELb0ES6_15HIP_vector_typeIjLj2EENS0_17counting_iteratorIjlEEPS9_SG_NS0_5tupleIJPjSI_NS0_16reverse_iteratorISI_EEEEENSH_IJSG_SG_SG_EEES9_SI_JZNS1_25segmented_radix_sort_implINS0_14default_configELb1EPKdPdPKlPlN2at6native12_GLOBAL__N_18offset_tEEE10hipError_tPvRmT1_PNSt15iterator_traitsIS12_E10value_typeET2_T3_PNS13_IS18_E10value_typeET4_jRbjT5_S1E_jjP12ihipStream_tbEUljE_ZNSN_ISO_Lb1ESQ_SR_ST_SU_SY_EESZ_S10_S11_S12_S16_S17_S18_S1B_S1C_jS1D_jS1E_S1E_jjS1G_bEUljE0_EEESZ_S10_S11_S18_S1C_S1E_T6_T7_T9_mT8_S1G_bDpT10_ENKUlT_T0_E_clISt17integral_constantIbLb1EES1U_EEDaS1P_S1Q_EUlS1P_E_NS1_11comp_targetILNS1_3genE5ELNS1_11target_archE942ELNS1_3gpuE9ELNS1_3repE0EEENS1_30default_config_static_selectorELNS0_4arch9wavefront6targetE1EEEvS12_.num_named_barrier, 0
	.set _ZN7rocprim17ROCPRIM_400000_NS6detail17trampoline_kernelINS0_13select_configILj256ELj13ELNS0_17block_load_methodE3ELS4_3ELS4_3ELNS0_20block_scan_algorithmE0ELj4294967295EEENS1_25partition_config_selectorILNS1_17partition_subalgoE4EjNS0_10empty_typeEbEEZZNS1_14partition_implILS8_4ELb0ES6_15HIP_vector_typeIjLj2EENS0_17counting_iteratorIjlEEPS9_SG_NS0_5tupleIJPjSI_NS0_16reverse_iteratorISI_EEEEENSH_IJSG_SG_SG_EEES9_SI_JZNS1_25segmented_radix_sort_implINS0_14default_configELb1EPKdPdPKlPlN2at6native12_GLOBAL__N_18offset_tEEE10hipError_tPvRmT1_PNSt15iterator_traitsIS12_E10value_typeET2_T3_PNS13_IS18_E10value_typeET4_jRbjT5_S1E_jjP12ihipStream_tbEUljE_ZNSN_ISO_Lb1ESQ_SR_ST_SU_SY_EESZ_S10_S11_S12_S16_S17_S18_S1B_S1C_jS1D_jS1E_S1E_jjS1G_bEUljE0_EEESZ_S10_S11_S18_S1C_S1E_T6_T7_T9_mT8_S1G_bDpT10_ENKUlT_T0_E_clISt17integral_constantIbLb1EES1U_EEDaS1P_S1Q_EUlS1P_E_NS1_11comp_targetILNS1_3genE5ELNS1_11target_archE942ELNS1_3gpuE9ELNS1_3repE0EEENS1_30default_config_static_selectorELNS0_4arch9wavefront6targetE1EEEvS12_.private_seg_size, 0
	.set _ZN7rocprim17ROCPRIM_400000_NS6detail17trampoline_kernelINS0_13select_configILj256ELj13ELNS0_17block_load_methodE3ELS4_3ELS4_3ELNS0_20block_scan_algorithmE0ELj4294967295EEENS1_25partition_config_selectorILNS1_17partition_subalgoE4EjNS0_10empty_typeEbEEZZNS1_14partition_implILS8_4ELb0ES6_15HIP_vector_typeIjLj2EENS0_17counting_iteratorIjlEEPS9_SG_NS0_5tupleIJPjSI_NS0_16reverse_iteratorISI_EEEEENSH_IJSG_SG_SG_EEES9_SI_JZNS1_25segmented_radix_sort_implINS0_14default_configELb1EPKdPdPKlPlN2at6native12_GLOBAL__N_18offset_tEEE10hipError_tPvRmT1_PNSt15iterator_traitsIS12_E10value_typeET2_T3_PNS13_IS18_E10value_typeET4_jRbjT5_S1E_jjP12ihipStream_tbEUljE_ZNSN_ISO_Lb1ESQ_SR_ST_SU_SY_EESZ_S10_S11_S12_S16_S17_S18_S1B_S1C_jS1D_jS1E_S1E_jjS1G_bEUljE0_EEESZ_S10_S11_S18_S1C_S1E_T6_T7_T9_mT8_S1G_bDpT10_ENKUlT_T0_E_clISt17integral_constantIbLb1EES1U_EEDaS1P_S1Q_EUlS1P_E_NS1_11comp_targetILNS1_3genE5ELNS1_11target_archE942ELNS1_3gpuE9ELNS1_3repE0EEENS1_30default_config_static_selectorELNS0_4arch9wavefront6targetE1EEEvS12_.uses_vcc, 0
	.set _ZN7rocprim17ROCPRIM_400000_NS6detail17trampoline_kernelINS0_13select_configILj256ELj13ELNS0_17block_load_methodE3ELS4_3ELS4_3ELNS0_20block_scan_algorithmE0ELj4294967295EEENS1_25partition_config_selectorILNS1_17partition_subalgoE4EjNS0_10empty_typeEbEEZZNS1_14partition_implILS8_4ELb0ES6_15HIP_vector_typeIjLj2EENS0_17counting_iteratorIjlEEPS9_SG_NS0_5tupleIJPjSI_NS0_16reverse_iteratorISI_EEEEENSH_IJSG_SG_SG_EEES9_SI_JZNS1_25segmented_radix_sort_implINS0_14default_configELb1EPKdPdPKlPlN2at6native12_GLOBAL__N_18offset_tEEE10hipError_tPvRmT1_PNSt15iterator_traitsIS12_E10value_typeET2_T3_PNS13_IS18_E10value_typeET4_jRbjT5_S1E_jjP12ihipStream_tbEUljE_ZNSN_ISO_Lb1ESQ_SR_ST_SU_SY_EESZ_S10_S11_S12_S16_S17_S18_S1B_S1C_jS1D_jS1E_S1E_jjS1G_bEUljE0_EEESZ_S10_S11_S18_S1C_S1E_T6_T7_T9_mT8_S1G_bDpT10_ENKUlT_T0_E_clISt17integral_constantIbLb1EES1U_EEDaS1P_S1Q_EUlS1P_E_NS1_11comp_targetILNS1_3genE5ELNS1_11target_archE942ELNS1_3gpuE9ELNS1_3repE0EEENS1_30default_config_static_selectorELNS0_4arch9wavefront6targetE1EEEvS12_.uses_flat_scratch, 0
	.set _ZN7rocprim17ROCPRIM_400000_NS6detail17trampoline_kernelINS0_13select_configILj256ELj13ELNS0_17block_load_methodE3ELS4_3ELS4_3ELNS0_20block_scan_algorithmE0ELj4294967295EEENS1_25partition_config_selectorILNS1_17partition_subalgoE4EjNS0_10empty_typeEbEEZZNS1_14partition_implILS8_4ELb0ES6_15HIP_vector_typeIjLj2EENS0_17counting_iteratorIjlEEPS9_SG_NS0_5tupleIJPjSI_NS0_16reverse_iteratorISI_EEEEENSH_IJSG_SG_SG_EEES9_SI_JZNS1_25segmented_radix_sort_implINS0_14default_configELb1EPKdPdPKlPlN2at6native12_GLOBAL__N_18offset_tEEE10hipError_tPvRmT1_PNSt15iterator_traitsIS12_E10value_typeET2_T3_PNS13_IS18_E10value_typeET4_jRbjT5_S1E_jjP12ihipStream_tbEUljE_ZNSN_ISO_Lb1ESQ_SR_ST_SU_SY_EESZ_S10_S11_S12_S16_S17_S18_S1B_S1C_jS1D_jS1E_S1E_jjS1G_bEUljE0_EEESZ_S10_S11_S18_S1C_S1E_T6_T7_T9_mT8_S1G_bDpT10_ENKUlT_T0_E_clISt17integral_constantIbLb1EES1U_EEDaS1P_S1Q_EUlS1P_E_NS1_11comp_targetILNS1_3genE5ELNS1_11target_archE942ELNS1_3gpuE9ELNS1_3repE0EEENS1_30default_config_static_selectorELNS0_4arch9wavefront6targetE1EEEvS12_.has_dyn_sized_stack, 0
	.set _ZN7rocprim17ROCPRIM_400000_NS6detail17trampoline_kernelINS0_13select_configILj256ELj13ELNS0_17block_load_methodE3ELS4_3ELS4_3ELNS0_20block_scan_algorithmE0ELj4294967295EEENS1_25partition_config_selectorILNS1_17partition_subalgoE4EjNS0_10empty_typeEbEEZZNS1_14partition_implILS8_4ELb0ES6_15HIP_vector_typeIjLj2EENS0_17counting_iteratorIjlEEPS9_SG_NS0_5tupleIJPjSI_NS0_16reverse_iteratorISI_EEEEENSH_IJSG_SG_SG_EEES9_SI_JZNS1_25segmented_radix_sort_implINS0_14default_configELb1EPKdPdPKlPlN2at6native12_GLOBAL__N_18offset_tEEE10hipError_tPvRmT1_PNSt15iterator_traitsIS12_E10value_typeET2_T3_PNS13_IS18_E10value_typeET4_jRbjT5_S1E_jjP12ihipStream_tbEUljE_ZNSN_ISO_Lb1ESQ_SR_ST_SU_SY_EESZ_S10_S11_S12_S16_S17_S18_S1B_S1C_jS1D_jS1E_S1E_jjS1G_bEUljE0_EEESZ_S10_S11_S18_S1C_S1E_T6_T7_T9_mT8_S1G_bDpT10_ENKUlT_T0_E_clISt17integral_constantIbLb1EES1U_EEDaS1P_S1Q_EUlS1P_E_NS1_11comp_targetILNS1_3genE5ELNS1_11target_archE942ELNS1_3gpuE9ELNS1_3repE0EEENS1_30default_config_static_selectorELNS0_4arch9wavefront6targetE1EEEvS12_.has_recursion, 0
	.set _ZN7rocprim17ROCPRIM_400000_NS6detail17trampoline_kernelINS0_13select_configILj256ELj13ELNS0_17block_load_methodE3ELS4_3ELS4_3ELNS0_20block_scan_algorithmE0ELj4294967295EEENS1_25partition_config_selectorILNS1_17partition_subalgoE4EjNS0_10empty_typeEbEEZZNS1_14partition_implILS8_4ELb0ES6_15HIP_vector_typeIjLj2EENS0_17counting_iteratorIjlEEPS9_SG_NS0_5tupleIJPjSI_NS0_16reverse_iteratorISI_EEEEENSH_IJSG_SG_SG_EEES9_SI_JZNS1_25segmented_radix_sort_implINS0_14default_configELb1EPKdPdPKlPlN2at6native12_GLOBAL__N_18offset_tEEE10hipError_tPvRmT1_PNSt15iterator_traitsIS12_E10value_typeET2_T3_PNS13_IS18_E10value_typeET4_jRbjT5_S1E_jjP12ihipStream_tbEUljE_ZNSN_ISO_Lb1ESQ_SR_ST_SU_SY_EESZ_S10_S11_S12_S16_S17_S18_S1B_S1C_jS1D_jS1E_S1E_jjS1G_bEUljE0_EEESZ_S10_S11_S18_S1C_S1E_T6_T7_T9_mT8_S1G_bDpT10_ENKUlT_T0_E_clISt17integral_constantIbLb1EES1U_EEDaS1P_S1Q_EUlS1P_E_NS1_11comp_targetILNS1_3genE5ELNS1_11target_archE942ELNS1_3gpuE9ELNS1_3repE0EEENS1_30default_config_static_selectorELNS0_4arch9wavefront6targetE1EEEvS12_.has_indirect_call, 0
	.section	.AMDGPU.csdata,"",@progbits
; Kernel info:
; codeLenInByte = 0
; TotalNumSgprs: 4
; NumVgprs: 0
; ScratchSize: 0
; MemoryBound: 0
; FloatMode: 240
; IeeeMode: 1
; LDSByteSize: 0 bytes/workgroup (compile time only)
; SGPRBlocks: 0
; VGPRBlocks: 0
; NumSGPRsForWavesPerEU: 4
; NumVGPRsForWavesPerEU: 1
; Occupancy: 10
; WaveLimiterHint : 0
; COMPUTE_PGM_RSRC2:SCRATCH_EN: 0
; COMPUTE_PGM_RSRC2:USER_SGPR: 6
; COMPUTE_PGM_RSRC2:TRAP_HANDLER: 0
; COMPUTE_PGM_RSRC2:TGID_X_EN: 1
; COMPUTE_PGM_RSRC2:TGID_Y_EN: 0
; COMPUTE_PGM_RSRC2:TGID_Z_EN: 0
; COMPUTE_PGM_RSRC2:TIDIG_COMP_CNT: 0
	.section	.text._ZN7rocprim17ROCPRIM_400000_NS6detail17trampoline_kernelINS0_13select_configILj256ELj13ELNS0_17block_load_methodE3ELS4_3ELS4_3ELNS0_20block_scan_algorithmE0ELj4294967295EEENS1_25partition_config_selectorILNS1_17partition_subalgoE4EjNS0_10empty_typeEbEEZZNS1_14partition_implILS8_4ELb0ES6_15HIP_vector_typeIjLj2EENS0_17counting_iteratorIjlEEPS9_SG_NS0_5tupleIJPjSI_NS0_16reverse_iteratorISI_EEEEENSH_IJSG_SG_SG_EEES9_SI_JZNS1_25segmented_radix_sort_implINS0_14default_configELb1EPKdPdPKlPlN2at6native12_GLOBAL__N_18offset_tEEE10hipError_tPvRmT1_PNSt15iterator_traitsIS12_E10value_typeET2_T3_PNS13_IS18_E10value_typeET4_jRbjT5_S1E_jjP12ihipStream_tbEUljE_ZNSN_ISO_Lb1ESQ_SR_ST_SU_SY_EESZ_S10_S11_S12_S16_S17_S18_S1B_S1C_jS1D_jS1E_S1E_jjS1G_bEUljE0_EEESZ_S10_S11_S18_S1C_S1E_T6_T7_T9_mT8_S1G_bDpT10_ENKUlT_T0_E_clISt17integral_constantIbLb1EES1U_EEDaS1P_S1Q_EUlS1P_E_NS1_11comp_targetILNS1_3genE4ELNS1_11target_archE910ELNS1_3gpuE8ELNS1_3repE0EEENS1_30default_config_static_selectorELNS0_4arch9wavefront6targetE1EEEvS12_,"axG",@progbits,_ZN7rocprim17ROCPRIM_400000_NS6detail17trampoline_kernelINS0_13select_configILj256ELj13ELNS0_17block_load_methodE3ELS4_3ELS4_3ELNS0_20block_scan_algorithmE0ELj4294967295EEENS1_25partition_config_selectorILNS1_17partition_subalgoE4EjNS0_10empty_typeEbEEZZNS1_14partition_implILS8_4ELb0ES6_15HIP_vector_typeIjLj2EENS0_17counting_iteratorIjlEEPS9_SG_NS0_5tupleIJPjSI_NS0_16reverse_iteratorISI_EEEEENSH_IJSG_SG_SG_EEES9_SI_JZNS1_25segmented_radix_sort_implINS0_14default_configELb1EPKdPdPKlPlN2at6native12_GLOBAL__N_18offset_tEEE10hipError_tPvRmT1_PNSt15iterator_traitsIS12_E10value_typeET2_T3_PNS13_IS18_E10value_typeET4_jRbjT5_S1E_jjP12ihipStream_tbEUljE_ZNSN_ISO_Lb1ESQ_SR_ST_SU_SY_EESZ_S10_S11_S12_S16_S17_S18_S1B_S1C_jS1D_jS1E_S1E_jjS1G_bEUljE0_EEESZ_S10_S11_S18_S1C_S1E_T6_T7_T9_mT8_S1G_bDpT10_ENKUlT_T0_E_clISt17integral_constantIbLb1EES1U_EEDaS1P_S1Q_EUlS1P_E_NS1_11comp_targetILNS1_3genE4ELNS1_11target_archE910ELNS1_3gpuE8ELNS1_3repE0EEENS1_30default_config_static_selectorELNS0_4arch9wavefront6targetE1EEEvS12_,comdat
	.globl	_ZN7rocprim17ROCPRIM_400000_NS6detail17trampoline_kernelINS0_13select_configILj256ELj13ELNS0_17block_load_methodE3ELS4_3ELS4_3ELNS0_20block_scan_algorithmE0ELj4294967295EEENS1_25partition_config_selectorILNS1_17partition_subalgoE4EjNS0_10empty_typeEbEEZZNS1_14partition_implILS8_4ELb0ES6_15HIP_vector_typeIjLj2EENS0_17counting_iteratorIjlEEPS9_SG_NS0_5tupleIJPjSI_NS0_16reverse_iteratorISI_EEEEENSH_IJSG_SG_SG_EEES9_SI_JZNS1_25segmented_radix_sort_implINS0_14default_configELb1EPKdPdPKlPlN2at6native12_GLOBAL__N_18offset_tEEE10hipError_tPvRmT1_PNSt15iterator_traitsIS12_E10value_typeET2_T3_PNS13_IS18_E10value_typeET4_jRbjT5_S1E_jjP12ihipStream_tbEUljE_ZNSN_ISO_Lb1ESQ_SR_ST_SU_SY_EESZ_S10_S11_S12_S16_S17_S18_S1B_S1C_jS1D_jS1E_S1E_jjS1G_bEUljE0_EEESZ_S10_S11_S18_S1C_S1E_T6_T7_T9_mT8_S1G_bDpT10_ENKUlT_T0_E_clISt17integral_constantIbLb1EES1U_EEDaS1P_S1Q_EUlS1P_E_NS1_11comp_targetILNS1_3genE4ELNS1_11target_archE910ELNS1_3gpuE8ELNS1_3repE0EEENS1_30default_config_static_selectorELNS0_4arch9wavefront6targetE1EEEvS12_ ; -- Begin function _ZN7rocprim17ROCPRIM_400000_NS6detail17trampoline_kernelINS0_13select_configILj256ELj13ELNS0_17block_load_methodE3ELS4_3ELS4_3ELNS0_20block_scan_algorithmE0ELj4294967295EEENS1_25partition_config_selectorILNS1_17partition_subalgoE4EjNS0_10empty_typeEbEEZZNS1_14partition_implILS8_4ELb0ES6_15HIP_vector_typeIjLj2EENS0_17counting_iteratorIjlEEPS9_SG_NS0_5tupleIJPjSI_NS0_16reverse_iteratorISI_EEEEENSH_IJSG_SG_SG_EEES9_SI_JZNS1_25segmented_radix_sort_implINS0_14default_configELb1EPKdPdPKlPlN2at6native12_GLOBAL__N_18offset_tEEE10hipError_tPvRmT1_PNSt15iterator_traitsIS12_E10value_typeET2_T3_PNS13_IS18_E10value_typeET4_jRbjT5_S1E_jjP12ihipStream_tbEUljE_ZNSN_ISO_Lb1ESQ_SR_ST_SU_SY_EESZ_S10_S11_S12_S16_S17_S18_S1B_S1C_jS1D_jS1E_S1E_jjS1G_bEUljE0_EEESZ_S10_S11_S18_S1C_S1E_T6_T7_T9_mT8_S1G_bDpT10_ENKUlT_T0_E_clISt17integral_constantIbLb1EES1U_EEDaS1P_S1Q_EUlS1P_E_NS1_11comp_targetILNS1_3genE4ELNS1_11target_archE910ELNS1_3gpuE8ELNS1_3repE0EEENS1_30default_config_static_selectorELNS0_4arch9wavefront6targetE1EEEvS12_
	.p2align	8
	.type	_ZN7rocprim17ROCPRIM_400000_NS6detail17trampoline_kernelINS0_13select_configILj256ELj13ELNS0_17block_load_methodE3ELS4_3ELS4_3ELNS0_20block_scan_algorithmE0ELj4294967295EEENS1_25partition_config_selectorILNS1_17partition_subalgoE4EjNS0_10empty_typeEbEEZZNS1_14partition_implILS8_4ELb0ES6_15HIP_vector_typeIjLj2EENS0_17counting_iteratorIjlEEPS9_SG_NS0_5tupleIJPjSI_NS0_16reverse_iteratorISI_EEEEENSH_IJSG_SG_SG_EEES9_SI_JZNS1_25segmented_radix_sort_implINS0_14default_configELb1EPKdPdPKlPlN2at6native12_GLOBAL__N_18offset_tEEE10hipError_tPvRmT1_PNSt15iterator_traitsIS12_E10value_typeET2_T3_PNS13_IS18_E10value_typeET4_jRbjT5_S1E_jjP12ihipStream_tbEUljE_ZNSN_ISO_Lb1ESQ_SR_ST_SU_SY_EESZ_S10_S11_S12_S16_S17_S18_S1B_S1C_jS1D_jS1E_S1E_jjS1G_bEUljE0_EEESZ_S10_S11_S18_S1C_S1E_T6_T7_T9_mT8_S1G_bDpT10_ENKUlT_T0_E_clISt17integral_constantIbLb1EES1U_EEDaS1P_S1Q_EUlS1P_E_NS1_11comp_targetILNS1_3genE4ELNS1_11target_archE910ELNS1_3gpuE8ELNS1_3repE0EEENS1_30default_config_static_selectorELNS0_4arch9wavefront6targetE1EEEvS12_,@function
_ZN7rocprim17ROCPRIM_400000_NS6detail17trampoline_kernelINS0_13select_configILj256ELj13ELNS0_17block_load_methodE3ELS4_3ELS4_3ELNS0_20block_scan_algorithmE0ELj4294967295EEENS1_25partition_config_selectorILNS1_17partition_subalgoE4EjNS0_10empty_typeEbEEZZNS1_14partition_implILS8_4ELb0ES6_15HIP_vector_typeIjLj2EENS0_17counting_iteratorIjlEEPS9_SG_NS0_5tupleIJPjSI_NS0_16reverse_iteratorISI_EEEEENSH_IJSG_SG_SG_EEES9_SI_JZNS1_25segmented_radix_sort_implINS0_14default_configELb1EPKdPdPKlPlN2at6native12_GLOBAL__N_18offset_tEEE10hipError_tPvRmT1_PNSt15iterator_traitsIS12_E10value_typeET2_T3_PNS13_IS18_E10value_typeET4_jRbjT5_S1E_jjP12ihipStream_tbEUljE_ZNSN_ISO_Lb1ESQ_SR_ST_SU_SY_EESZ_S10_S11_S12_S16_S17_S18_S1B_S1C_jS1D_jS1E_S1E_jjS1G_bEUljE0_EEESZ_S10_S11_S18_S1C_S1E_T6_T7_T9_mT8_S1G_bDpT10_ENKUlT_T0_E_clISt17integral_constantIbLb1EES1U_EEDaS1P_S1Q_EUlS1P_E_NS1_11comp_targetILNS1_3genE4ELNS1_11target_archE910ELNS1_3gpuE8ELNS1_3repE0EEENS1_30default_config_static_selectorELNS0_4arch9wavefront6targetE1EEEvS12_: ; @_ZN7rocprim17ROCPRIM_400000_NS6detail17trampoline_kernelINS0_13select_configILj256ELj13ELNS0_17block_load_methodE3ELS4_3ELS4_3ELNS0_20block_scan_algorithmE0ELj4294967295EEENS1_25partition_config_selectorILNS1_17partition_subalgoE4EjNS0_10empty_typeEbEEZZNS1_14partition_implILS8_4ELb0ES6_15HIP_vector_typeIjLj2EENS0_17counting_iteratorIjlEEPS9_SG_NS0_5tupleIJPjSI_NS0_16reverse_iteratorISI_EEEEENSH_IJSG_SG_SG_EEES9_SI_JZNS1_25segmented_radix_sort_implINS0_14default_configELb1EPKdPdPKlPlN2at6native12_GLOBAL__N_18offset_tEEE10hipError_tPvRmT1_PNSt15iterator_traitsIS12_E10value_typeET2_T3_PNS13_IS18_E10value_typeET4_jRbjT5_S1E_jjP12ihipStream_tbEUljE_ZNSN_ISO_Lb1ESQ_SR_ST_SU_SY_EESZ_S10_S11_S12_S16_S17_S18_S1B_S1C_jS1D_jS1E_S1E_jjS1G_bEUljE0_EEESZ_S10_S11_S18_S1C_S1E_T6_T7_T9_mT8_S1G_bDpT10_ENKUlT_T0_E_clISt17integral_constantIbLb1EES1U_EEDaS1P_S1Q_EUlS1P_E_NS1_11comp_targetILNS1_3genE4ELNS1_11target_archE910ELNS1_3gpuE8ELNS1_3repE0EEENS1_30default_config_static_selectorELNS0_4arch9wavefront6targetE1EEEvS12_
; %bb.0:
	.section	.rodata,"a",@progbits
	.p2align	6, 0x0
	.amdhsa_kernel _ZN7rocprim17ROCPRIM_400000_NS6detail17trampoline_kernelINS0_13select_configILj256ELj13ELNS0_17block_load_methodE3ELS4_3ELS4_3ELNS0_20block_scan_algorithmE0ELj4294967295EEENS1_25partition_config_selectorILNS1_17partition_subalgoE4EjNS0_10empty_typeEbEEZZNS1_14partition_implILS8_4ELb0ES6_15HIP_vector_typeIjLj2EENS0_17counting_iteratorIjlEEPS9_SG_NS0_5tupleIJPjSI_NS0_16reverse_iteratorISI_EEEEENSH_IJSG_SG_SG_EEES9_SI_JZNS1_25segmented_radix_sort_implINS0_14default_configELb1EPKdPdPKlPlN2at6native12_GLOBAL__N_18offset_tEEE10hipError_tPvRmT1_PNSt15iterator_traitsIS12_E10value_typeET2_T3_PNS13_IS18_E10value_typeET4_jRbjT5_S1E_jjP12ihipStream_tbEUljE_ZNSN_ISO_Lb1ESQ_SR_ST_SU_SY_EESZ_S10_S11_S12_S16_S17_S18_S1B_S1C_jS1D_jS1E_S1E_jjS1G_bEUljE0_EEESZ_S10_S11_S18_S1C_S1E_T6_T7_T9_mT8_S1G_bDpT10_ENKUlT_T0_E_clISt17integral_constantIbLb1EES1U_EEDaS1P_S1Q_EUlS1P_E_NS1_11comp_targetILNS1_3genE4ELNS1_11target_archE910ELNS1_3gpuE8ELNS1_3repE0EEENS1_30default_config_static_selectorELNS0_4arch9wavefront6targetE1EEEvS12_
		.amdhsa_group_segment_fixed_size 0
		.amdhsa_private_segment_fixed_size 0
		.amdhsa_kernarg_size 184
		.amdhsa_user_sgpr_count 6
		.amdhsa_user_sgpr_private_segment_buffer 1
		.amdhsa_user_sgpr_dispatch_ptr 0
		.amdhsa_user_sgpr_queue_ptr 0
		.amdhsa_user_sgpr_kernarg_segment_ptr 1
		.amdhsa_user_sgpr_dispatch_id 0
		.amdhsa_user_sgpr_flat_scratch_init 0
		.amdhsa_user_sgpr_private_segment_size 0
		.amdhsa_uses_dynamic_stack 0
		.amdhsa_system_sgpr_private_segment_wavefront_offset 0
		.amdhsa_system_sgpr_workgroup_id_x 1
		.amdhsa_system_sgpr_workgroup_id_y 0
		.amdhsa_system_sgpr_workgroup_id_z 0
		.amdhsa_system_sgpr_workgroup_info 0
		.amdhsa_system_vgpr_workitem_id 0
		.amdhsa_next_free_vgpr 1
		.amdhsa_next_free_sgpr 0
		.amdhsa_reserve_vcc 0
		.amdhsa_reserve_flat_scratch 0
		.amdhsa_float_round_mode_32 0
		.amdhsa_float_round_mode_16_64 0
		.amdhsa_float_denorm_mode_32 3
		.amdhsa_float_denorm_mode_16_64 3
		.amdhsa_dx10_clamp 1
		.amdhsa_ieee_mode 1
		.amdhsa_fp16_overflow 0
		.amdhsa_exception_fp_ieee_invalid_op 0
		.amdhsa_exception_fp_denorm_src 0
		.amdhsa_exception_fp_ieee_div_zero 0
		.amdhsa_exception_fp_ieee_overflow 0
		.amdhsa_exception_fp_ieee_underflow 0
		.amdhsa_exception_fp_ieee_inexact 0
		.amdhsa_exception_int_div_zero 0
	.end_amdhsa_kernel
	.section	.text._ZN7rocprim17ROCPRIM_400000_NS6detail17trampoline_kernelINS0_13select_configILj256ELj13ELNS0_17block_load_methodE3ELS4_3ELS4_3ELNS0_20block_scan_algorithmE0ELj4294967295EEENS1_25partition_config_selectorILNS1_17partition_subalgoE4EjNS0_10empty_typeEbEEZZNS1_14partition_implILS8_4ELb0ES6_15HIP_vector_typeIjLj2EENS0_17counting_iteratorIjlEEPS9_SG_NS0_5tupleIJPjSI_NS0_16reverse_iteratorISI_EEEEENSH_IJSG_SG_SG_EEES9_SI_JZNS1_25segmented_radix_sort_implINS0_14default_configELb1EPKdPdPKlPlN2at6native12_GLOBAL__N_18offset_tEEE10hipError_tPvRmT1_PNSt15iterator_traitsIS12_E10value_typeET2_T3_PNS13_IS18_E10value_typeET4_jRbjT5_S1E_jjP12ihipStream_tbEUljE_ZNSN_ISO_Lb1ESQ_SR_ST_SU_SY_EESZ_S10_S11_S12_S16_S17_S18_S1B_S1C_jS1D_jS1E_S1E_jjS1G_bEUljE0_EEESZ_S10_S11_S18_S1C_S1E_T6_T7_T9_mT8_S1G_bDpT10_ENKUlT_T0_E_clISt17integral_constantIbLb1EES1U_EEDaS1P_S1Q_EUlS1P_E_NS1_11comp_targetILNS1_3genE4ELNS1_11target_archE910ELNS1_3gpuE8ELNS1_3repE0EEENS1_30default_config_static_selectorELNS0_4arch9wavefront6targetE1EEEvS12_,"axG",@progbits,_ZN7rocprim17ROCPRIM_400000_NS6detail17trampoline_kernelINS0_13select_configILj256ELj13ELNS0_17block_load_methodE3ELS4_3ELS4_3ELNS0_20block_scan_algorithmE0ELj4294967295EEENS1_25partition_config_selectorILNS1_17partition_subalgoE4EjNS0_10empty_typeEbEEZZNS1_14partition_implILS8_4ELb0ES6_15HIP_vector_typeIjLj2EENS0_17counting_iteratorIjlEEPS9_SG_NS0_5tupleIJPjSI_NS0_16reverse_iteratorISI_EEEEENSH_IJSG_SG_SG_EEES9_SI_JZNS1_25segmented_radix_sort_implINS0_14default_configELb1EPKdPdPKlPlN2at6native12_GLOBAL__N_18offset_tEEE10hipError_tPvRmT1_PNSt15iterator_traitsIS12_E10value_typeET2_T3_PNS13_IS18_E10value_typeET4_jRbjT5_S1E_jjP12ihipStream_tbEUljE_ZNSN_ISO_Lb1ESQ_SR_ST_SU_SY_EESZ_S10_S11_S12_S16_S17_S18_S1B_S1C_jS1D_jS1E_S1E_jjS1G_bEUljE0_EEESZ_S10_S11_S18_S1C_S1E_T6_T7_T9_mT8_S1G_bDpT10_ENKUlT_T0_E_clISt17integral_constantIbLb1EES1U_EEDaS1P_S1Q_EUlS1P_E_NS1_11comp_targetILNS1_3genE4ELNS1_11target_archE910ELNS1_3gpuE8ELNS1_3repE0EEENS1_30default_config_static_selectorELNS0_4arch9wavefront6targetE1EEEvS12_,comdat
.Lfunc_end1064:
	.size	_ZN7rocprim17ROCPRIM_400000_NS6detail17trampoline_kernelINS0_13select_configILj256ELj13ELNS0_17block_load_methodE3ELS4_3ELS4_3ELNS0_20block_scan_algorithmE0ELj4294967295EEENS1_25partition_config_selectorILNS1_17partition_subalgoE4EjNS0_10empty_typeEbEEZZNS1_14partition_implILS8_4ELb0ES6_15HIP_vector_typeIjLj2EENS0_17counting_iteratorIjlEEPS9_SG_NS0_5tupleIJPjSI_NS0_16reverse_iteratorISI_EEEEENSH_IJSG_SG_SG_EEES9_SI_JZNS1_25segmented_radix_sort_implINS0_14default_configELb1EPKdPdPKlPlN2at6native12_GLOBAL__N_18offset_tEEE10hipError_tPvRmT1_PNSt15iterator_traitsIS12_E10value_typeET2_T3_PNS13_IS18_E10value_typeET4_jRbjT5_S1E_jjP12ihipStream_tbEUljE_ZNSN_ISO_Lb1ESQ_SR_ST_SU_SY_EESZ_S10_S11_S12_S16_S17_S18_S1B_S1C_jS1D_jS1E_S1E_jjS1G_bEUljE0_EEESZ_S10_S11_S18_S1C_S1E_T6_T7_T9_mT8_S1G_bDpT10_ENKUlT_T0_E_clISt17integral_constantIbLb1EES1U_EEDaS1P_S1Q_EUlS1P_E_NS1_11comp_targetILNS1_3genE4ELNS1_11target_archE910ELNS1_3gpuE8ELNS1_3repE0EEENS1_30default_config_static_selectorELNS0_4arch9wavefront6targetE1EEEvS12_, .Lfunc_end1064-_ZN7rocprim17ROCPRIM_400000_NS6detail17trampoline_kernelINS0_13select_configILj256ELj13ELNS0_17block_load_methodE3ELS4_3ELS4_3ELNS0_20block_scan_algorithmE0ELj4294967295EEENS1_25partition_config_selectorILNS1_17partition_subalgoE4EjNS0_10empty_typeEbEEZZNS1_14partition_implILS8_4ELb0ES6_15HIP_vector_typeIjLj2EENS0_17counting_iteratorIjlEEPS9_SG_NS0_5tupleIJPjSI_NS0_16reverse_iteratorISI_EEEEENSH_IJSG_SG_SG_EEES9_SI_JZNS1_25segmented_radix_sort_implINS0_14default_configELb1EPKdPdPKlPlN2at6native12_GLOBAL__N_18offset_tEEE10hipError_tPvRmT1_PNSt15iterator_traitsIS12_E10value_typeET2_T3_PNS13_IS18_E10value_typeET4_jRbjT5_S1E_jjP12ihipStream_tbEUljE_ZNSN_ISO_Lb1ESQ_SR_ST_SU_SY_EESZ_S10_S11_S12_S16_S17_S18_S1B_S1C_jS1D_jS1E_S1E_jjS1G_bEUljE0_EEESZ_S10_S11_S18_S1C_S1E_T6_T7_T9_mT8_S1G_bDpT10_ENKUlT_T0_E_clISt17integral_constantIbLb1EES1U_EEDaS1P_S1Q_EUlS1P_E_NS1_11comp_targetILNS1_3genE4ELNS1_11target_archE910ELNS1_3gpuE8ELNS1_3repE0EEENS1_30default_config_static_selectorELNS0_4arch9wavefront6targetE1EEEvS12_
                                        ; -- End function
	.set _ZN7rocprim17ROCPRIM_400000_NS6detail17trampoline_kernelINS0_13select_configILj256ELj13ELNS0_17block_load_methodE3ELS4_3ELS4_3ELNS0_20block_scan_algorithmE0ELj4294967295EEENS1_25partition_config_selectorILNS1_17partition_subalgoE4EjNS0_10empty_typeEbEEZZNS1_14partition_implILS8_4ELb0ES6_15HIP_vector_typeIjLj2EENS0_17counting_iteratorIjlEEPS9_SG_NS0_5tupleIJPjSI_NS0_16reverse_iteratorISI_EEEEENSH_IJSG_SG_SG_EEES9_SI_JZNS1_25segmented_radix_sort_implINS0_14default_configELb1EPKdPdPKlPlN2at6native12_GLOBAL__N_18offset_tEEE10hipError_tPvRmT1_PNSt15iterator_traitsIS12_E10value_typeET2_T3_PNS13_IS18_E10value_typeET4_jRbjT5_S1E_jjP12ihipStream_tbEUljE_ZNSN_ISO_Lb1ESQ_SR_ST_SU_SY_EESZ_S10_S11_S12_S16_S17_S18_S1B_S1C_jS1D_jS1E_S1E_jjS1G_bEUljE0_EEESZ_S10_S11_S18_S1C_S1E_T6_T7_T9_mT8_S1G_bDpT10_ENKUlT_T0_E_clISt17integral_constantIbLb1EES1U_EEDaS1P_S1Q_EUlS1P_E_NS1_11comp_targetILNS1_3genE4ELNS1_11target_archE910ELNS1_3gpuE8ELNS1_3repE0EEENS1_30default_config_static_selectorELNS0_4arch9wavefront6targetE1EEEvS12_.num_vgpr, 0
	.set _ZN7rocprim17ROCPRIM_400000_NS6detail17trampoline_kernelINS0_13select_configILj256ELj13ELNS0_17block_load_methodE3ELS4_3ELS4_3ELNS0_20block_scan_algorithmE0ELj4294967295EEENS1_25partition_config_selectorILNS1_17partition_subalgoE4EjNS0_10empty_typeEbEEZZNS1_14partition_implILS8_4ELb0ES6_15HIP_vector_typeIjLj2EENS0_17counting_iteratorIjlEEPS9_SG_NS0_5tupleIJPjSI_NS0_16reverse_iteratorISI_EEEEENSH_IJSG_SG_SG_EEES9_SI_JZNS1_25segmented_radix_sort_implINS0_14default_configELb1EPKdPdPKlPlN2at6native12_GLOBAL__N_18offset_tEEE10hipError_tPvRmT1_PNSt15iterator_traitsIS12_E10value_typeET2_T3_PNS13_IS18_E10value_typeET4_jRbjT5_S1E_jjP12ihipStream_tbEUljE_ZNSN_ISO_Lb1ESQ_SR_ST_SU_SY_EESZ_S10_S11_S12_S16_S17_S18_S1B_S1C_jS1D_jS1E_S1E_jjS1G_bEUljE0_EEESZ_S10_S11_S18_S1C_S1E_T6_T7_T9_mT8_S1G_bDpT10_ENKUlT_T0_E_clISt17integral_constantIbLb1EES1U_EEDaS1P_S1Q_EUlS1P_E_NS1_11comp_targetILNS1_3genE4ELNS1_11target_archE910ELNS1_3gpuE8ELNS1_3repE0EEENS1_30default_config_static_selectorELNS0_4arch9wavefront6targetE1EEEvS12_.num_agpr, 0
	.set _ZN7rocprim17ROCPRIM_400000_NS6detail17trampoline_kernelINS0_13select_configILj256ELj13ELNS0_17block_load_methodE3ELS4_3ELS4_3ELNS0_20block_scan_algorithmE0ELj4294967295EEENS1_25partition_config_selectorILNS1_17partition_subalgoE4EjNS0_10empty_typeEbEEZZNS1_14partition_implILS8_4ELb0ES6_15HIP_vector_typeIjLj2EENS0_17counting_iteratorIjlEEPS9_SG_NS0_5tupleIJPjSI_NS0_16reverse_iteratorISI_EEEEENSH_IJSG_SG_SG_EEES9_SI_JZNS1_25segmented_radix_sort_implINS0_14default_configELb1EPKdPdPKlPlN2at6native12_GLOBAL__N_18offset_tEEE10hipError_tPvRmT1_PNSt15iterator_traitsIS12_E10value_typeET2_T3_PNS13_IS18_E10value_typeET4_jRbjT5_S1E_jjP12ihipStream_tbEUljE_ZNSN_ISO_Lb1ESQ_SR_ST_SU_SY_EESZ_S10_S11_S12_S16_S17_S18_S1B_S1C_jS1D_jS1E_S1E_jjS1G_bEUljE0_EEESZ_S10_S11_S18_S1C_S1E_T6_T7_T9_mT8_S1G_bDpT10_ENKUlT_T0_E_clISt17integral_constantIbLb1EES1U_EEDaS1P_S1Q_EUlS1P_E_NS1_11comp_targetILNS1_3genE4ELNS1_11target_archE910ELNS1_3gpuE8ELNS1_3repE0EEENS1_30default_config_static_selectorELNS0_4arch9wavefront6targetE1EEEvS12_.numbered_sgpr, 0
	.set _ZN7rocprim17ROCPRIM_400000_NS6detail17trampoline_kernelINS0_13select_configILj256ELj13ELNS0_17block_load_methodE3ELS4_3ELS4_3ELNS0_20block_scan_algorithmE0ELj4294967295EEENS1_25partition_config_selectorILNS1_17partition_subalgoE4EjNS0_10empty_typeEbEEZZNS1_14partition_implILS8_4ELb0ES6_15HIP_vector_typeIjLj2EENS0_17counting_iteratorIjlEEPS9_SG_NS0_5tupleIJPjSI_NS0_16reverse_iteratorISI_EEEEENSH_IJSG_SG_SG_EEES9_SI_JZNS1_25segmented_radix_sort_implINS0_14default_configELb1EPKdPdPKlPlN2at6native12_GLOBAL__N_18offset_tEEE10hipError_tPvRmT1_PNSt15iterator_traitsIS12_E10value_typeET2_T3_PNS13_IS18_E10value_typeET4_jRbjT5_S1E_jjP12ihipStream_tbEUljE_ZNSN_ISO_Lb1ESQ_SR_ST_SU_SY_EESZ_S10_S11_S12_S16_S17_S18_S1B_S1C_jS1D_jS1E_S1E_jjS1G_bEUljE0_EEESZ_S10_S11_S18_S1C_S1E_T6_T7_T9_mT8_S1G_bDpT10_ENKUlT_T0_E_clISt17integral_constantIbLb1EES1U_EEDaS1P_S1Q_EUlS1P_E_NS1_11comp_targetILNS1_3genE4ELNS1_11target_archE910ELNS1_3gpuE8ELNS1_3repE0EEENS1_30default_config_static_selectorELNS0_4arch9wavefront6targetE1EEEvS12_.num_named_barrier, 0
	.set _ZN7rocprim17ROCPRIM_400000_NS6detail17trampoline_kernelINS0_13select_configILj256ELj13ELNS0_17block_load_methodE3ELS4_3ELS4_3ELNS0_20block_scan_algorithmE0ELj4294967295EEENS1_25partition_config_selectorILNS1_17partition_subalgoE4EjNS0_10empty_typeEbEEZZNS1_14partition_implILS8_4ELb0ES6_15HIP_vector_typeIjLj2EENS0_17counting_iteratorIjlEEPS9_SG_NS0_5tupleIJPjSI_NS0_16reverse_iteratorISI_EEEEENSH_IJSG_SG_SG_EEES9_SI_JZNS1_25segmented_radix_sort_implINS0_14default_configELb1EPKdPdPKlPlN2at6native12_GLOBAL__N_18offset_tEEE10hipError_tPvRmT1_PNSt15iterator_traitsIS12_E10value_typeET2_T3_PNS13_IS18_E10value_typeET4_jRbjT5_S1E_jjP12ihipStream_tbEUljE_ZNSN_ISO_Lb1ESQ_SR_ST_SU_SY_EESZ_S10_S11_S12_S16_S17_S18_S1B_S1C_jS1D_jS1E_S1E_jjS1G_bEUljE0_EEESZ_S10_S11_S18_S1C_S1E_T6_T7_T9_mT8_S1G_bDpT10_ENKUlT_T0_E_clISt17integral_constantIbLb1EES1U_EEDaS1P_S1Q_EUlS1P_E_NS1_11comp_targetILNS1_3genE4ELNS1_11target_archE910ELNS1_3gpuE8ELNS1_3repE0EEENS1_30default_config_static_selectorELNS0_4arch9wavefront6targetE1EEEvS12_.private_seg_size, 0
	.set _ZN7rocprim17ROCPRIM_400000_NS6detail17trampoline_kernelINS0_13select_configILj256ELj13ELNS0_17block_load_methodE3ELS4_3ELS4_3ELNS0_20block_scan_algorithmE0ELj4294967295EEENS1_25partition_config_selectorILNS1_17partition_subalgoE4EjNS0_10empty_typeEbEEZZNS1_14partition_implILS8_4ELb0ES6_15HIP_vector_typeIjLj2EENS0_17counting_iteratorIjlEEPS9_SG_NS0_5tupleIJPjSI_NS0_16reverse_iteratorISI_EEEEENSH_IJSG_SG_SG_EEES9_SI_JZNS1_25segmented_radix_sort_implINS0_14default_configELb1EPKdPdPKlPlN2at6native12_GLOBAL__N_18offset_tEEE10hipError_tPvRmT1_PNSt15iterator_traitsIS12_E10value_typeET2_T3_PNS13_IS18_E10value_typeET4_jRbjT5_S1E_jjP12ihipStream_tbEUljE_ZNSN_ISO_Lb1ESQ_SR_ST_SU_SY_EESZ_S10_S11_S12_S16_S17_S18_S1B_S1C_jS1D_jS1E_S1E_jjS1G_bEUljE0_EEESZ_S10_S11_S18_S1C_S1E_T6_T7_T9_mT8_S1G_bDpT10_ENKUlT_T0_E_clISt17integral_constantIbLb1EES1U_EEDaS1P_S1Q_EUlS1P_E_NS1_11comp_targetILNS1_3genE4ELNS1_11target_archE910ELNS1_3gpuE8ELNS1_3repE0EEENS1_30default_config_static_selectorELNS0_4arch9wavefront6targetE1EEEvS12_.uses_vcc, 0
	.set _ZN7rocprim17ROCPRIM_400000_NS6detail17trampoline_kernelINS0_13select_configILj256ELj13ELNS0_17block_load_methodE3ELS4_3ELS4_3ELNS0_20block_scan_algorithmE0ELj4294967295EEENS1_25partition_config_selectorILNS1_17partition_subalgoE4EjNS0_10empty_typeEbEEZZNS1_14partition_implILS8_4ELb0ES6_15HIP_vector_typeIjLj2EENS0_17counting_iteratorIjlEEPS9_SG_NS0_5tupleIJPjSI_NS0_16reverse_iteratorISI_EEEEENSH_IJSG_SG_SG_EEES9_SI_JZNS1_25segmented_radix_sort_implINS0_14default_configELb1EPKdPdPKlPlN2at6native12_GLOBAL__N_18offset_tEEE10hipError_tPvRmT1_PNSt15iterator_traitsIS12_E10value_typeET2_T3_PNS13_IS18_E10value_typeET4_jRbjT5_S1E_jjP12ihipStream_tbEUljE_ZNSN_ISO_Lb1ESQ_SR_ST_SU_SY_EESZ_S10_S11_S12_S16_S17_S18_S1B_S1C_jS1D_jS1E_S1E_jjS1G_bEUljE0_EEESZ_S10_S11_S18_S1C_S1E_T6_T7_T9_mT8_S1G_bDpT10_ENKUlT_T0_E_clISt17integral_constantIbLb1EES1U_EEDaS1P_S1Q_EUlS1P_E_NS1_11comp_targetILNS1_3genE4ELNS1_11target_archE910ELNS1_3gpuE8ELNS1_3repE0EEENS1_30default_config_static_selectorELNS0_4arch9wavefront6targetE1EEEvS12_.uses_flat_scratch, 0
	.set _ZN7rocprim17ROCPRIM_400000_NS6detail17trampoline_kernelINS0_13select_configILj256ELj13ELNS0_17block_load_methodE3ELS4_3ELS4_3ELNS0_20block_scan_algorithmE0ELj4294967295EEENS1_25partition_config_selectorILNS1_17partition_subalgoE4EjNS0_10empty_typeEbEEZZNS1_14partition_implILS8_4ELb0ES6_15HIP_vector_typeIjLj2EENS0_17counting_iteratorIjlEEPS9_SG_NS0_5tupleIJPjSI_NS0_16reverse_iteratorISI_EEEEENSH_IJSG_SG_SG_EEES9_SI_JZNS1_25segmented_radix_sort_implINS0_14default_configELb1EPKdPdPKlPlN2at6native12_GLOBAL__N_18offset_tEEE10hipError_tPvRmT1_PNSt15iterator_traitsIS12_E10value_typeET2_T3_PNS13_IS18_E10value_typeET4_jRbjT5_S1E_jjP12ihipStream_tbEUljE_ZNSN_ISO_Lb1ESQ_SR_ST_SU_SY_EESZ_S10_S11_S12_S16_S17_S18_S1B_S1C_jS1D_jS1E_S1E_jjS1G_bEUljE0_EEESZ_S10_S11_S18_S1C_S1E_T6_T7_T9_mT8_S1G_bDpT10_ENKUlT_T0_E_clISt17integral_constantIbLb1EES1U_EEDaS1P_S1Q_EUlS1P_E_NS1_11comp_targetILNS1_3genE4ELNS1_11target_archE910ELNS1_3gpuE8ELNS1_3repE0EEENS1_30default_config_static_selectorELNS0_4arch9wavefront6targetE1EEEvS12_.has_dyn_sized_stack, 0
	.set _ZN7rocprim17ROCPRIM_400000_NS6detail17trampoline_kernelINS0_13select_configILj256ELj13ELNS0_17block_load_methodE3ELS4_3ELS4_3ELNS0_20block_scan_algorithmE0ELj4294967295EEENS1_25partition_config_selectorILNS1_17partition_subalgoE4EjNS0_10empty_typeEbEEZZNS1_14partition_implILS8_4ELb0ES6_15HIP_vector_typeIjLj2EENS0_17counting_iteratorIjlEEPS9_SG_NS0_5tupleIJPjSI_NS0_16reverse_iteratorISI_EEEEENSH_IJSG_SG_SG_EEES9_SI_JZNS1_25segmented_radix_sort_implINS0_14default_configELb1EPKdPdPKlPlN2at6native12_GLOBAL__N_18offset_tEEE10hipError_tPvRmT1_PNSt15iterator_traitsIS12_E10value_typeET2_T3_PNS13_IS18_E10value_typeET4_jRbjT5_S1E_jjP12ihipStream_tbEUljE_ZNSN_ISO_Lb1ESQ_SR_ST_SU_SY_EESZ_S10_S11_S12_S16_S17_S18_S1B_S1C_jS1D_jS1E_S1E_jjS1G_bEUljE0_EEESZ_S10_S11_S18_S1C_S1E_T6_T7_T9_mT8_S1G_bDpT10_ENKUlT_T0_E_clISt17integral_constantIbLb1EES1U_EEDaS1P_S1Q_EUlS1P_E_NS1_11comp_targetILNS1_3genE4ELNS1_11target_archE910ELNS1_3gpuE8ELNS1_3repE0EEENS1_30default_config_static_selectorELNS0_4arch9wavefront6targetE1EEEvS12_.has_recursion, 0
	.set _ZN7rocprim17ROCPRIM_400000_NS6detail17trampoline_kernelINS0_13select_configILj256ELj13ELNS0_17block_load_methodE3ELS4_3ELS4_3ELNS0_20block_scan_algorithmE0ELj4294967295EEENS1_25partition_config_selectorILNS1_17partition_subalgoE4EjNS0_10empty_typeEbEEZZNS1_14partition_implILS8_4ELb0ES6_15HIP_vector_typeIjLj2EENS0_17counting_iteratorIjlEEPS9_SG_NS0_5tupleIJPjSI_NS0_16reverse_iteratorISI_EEEEENSH_IJSG_SG_SG_EEES9_SI_JZNS1_25segmented_radix_sort_implINS0_14default_configELb1EPKdPdPKlPlN2at6native12_GLOBAL__N_18offset_tEEE10hipError_tPvRmT1_PNSt15iterator_traitsIS12_E10value_typeET2_T3_PNS13_IS18_E10value_typeET4_jRbjT5_S1E_jjP12ihipStream_tbEUljE_ZNSN_ISO_Lb1ESQ_SR_ST_SU_SY_EESZ_S10_S11_S12_S16_S17_S18_S1B_S1C_jS1D_jS1E_S1E_jjS1G_bEUljE0_EEESZ_S10_S11_S18_S1C_S1E_T6_T7_T9_mT8_S1G_bDpT10_ENKUlT_T0_E_clISt17integral_constantIbLb1EES1U_EEDaS1P_S1Q_EUlS1P_E_NS1_11comp_targetILNS1_3genE4ELNS1_11target_archE910ELNS1_3gpuE8ELNS1_3repE0EEENS1_30default_config_static_selectorELNS0_4arch9wavefront6targetE1EEEvS12_.has_indirect_call, 0
	.section	.AMDGPU.csdata,"",@progbits
; Kernel info:
; codeLenInByte = 0
; TotalNumSgprs: 4
; NumVgprs: 0
; ScratchSize: 0
; MemoryBound: 0
; FloatMode: 240
; IeeeMode: 1
; LDSByteSize: 0 bytes/workgroup (compile time only)
; SGPRBlocks: 0
; VGPRBlocks: 0
; NumSGPRsForWavesPerEU: 4
; NumVGPRsForWavesPerEU: 1
; Occupancy: 10
; WaveLimiterHint : 0
; COMPUTE_PGM_RSRC2:SCRATCH_EN: 0
; COMPUTE_PGM_RSRC2:USER_SGPR: 6
; COMPUTE_PGM_RSRC2:TRAP_HANDLER: 0
; COMPUTE_PGM_RSRC2:TGID_X_EN: 1
; COMPUTE_PGM_RSRC2:TGID_Y_EN: 0
; COMPUTE_PGM_RSRC2:TGID_Z_EN: 0
; COMPUTE_PGM_RSRC2:TIDIG_COMP_CNT: 0
	.section	.text._ZN7rocprim17ROCPRIM_400000_NS6detail17trampoline_kernelINS0_13select_configILj256ELj13ELNS0_17block_load_methodE3ELS4_3ELS4_3ELNS0_20block_scan_algorithmE0ELj4294967295EEENS1_25partition_config_selectorILNS1_17partition_subalgoE4EjNS0_10empty_typeEbEEZZNS1_14partition_implILS8_4ELb0ES6_15HIP_vector_typeIjLj2EENS0_17counting_iteratorIjlEEPS9_SG_NS0_5tupleIJPjSI_NS0_16reverse_iteratorISI_EEEEENSH_IJSG_SG_SG_EEES9_SI_JZNS1_25segmented_radix_sort_implINS0_14default_configELb1EPKdPdPKlPlN2at6native12_GLOBAL__N_18offset_tEEE10hipError_tPvRmT1_PNSt15iterator_traitsIS12_E10value_typeET2_T3_PNS13_IS18_E10value_typeET4_jRbjT5_S1E_jjP12ihipStream_tbEUljE_ZNSN_ISO_Lb1ESQ_SR_ST_SU_SY_EESZ_S10_S11_S12_S16_S17_S18_S1B_S1C_jS1D_jS1E_S1E_jjS1G_bEUljE0_EEESZ_S10_S11_S18_S1C_S1E_T6_T7_T9_mT8_S1G_bDpT10_ENKUlT_T0_E_clISt17integral_constantIbLb1EES1U_EEDaS1P_S1Q_EUlS1P_E_NS1_11comp_targetILNS1_3genE3ELNS1_11target_archE908ELNS1_3gpuE7ELNS1_3repE0EEENS1_30default_config_static_selectorELNS0_4arch9wavefront6targetE1EEEvS12_,"axG",@progbits,_ZN7rocprim17ROCPRIM_400000_NS6detail17trampoline_kernelINS0_13select_configILj256ELj13ELNS0_17block_load_methodE3ELS4_3ELS4_3ELNS0_20block_scan_algorithmE0ELj4294967295EEENS1_25partition_config_selectorILNS1_17partition_subalgoE4EjNS0_10empty_typeEbEEZZNS1_14partition_implILS8_4ELb0ES6_15HIP_vector_typeIjLj2EENS0_17counting_iteratorIjlEEPS9_SG_NS0_5tupleIJPjSI_NS0_16reverse_iteratorISI_EEEEENSH_IJSG_SG_SG_EEES9_SI_JZNS1_25segmented_radix_sort_implINS0_14default_configELb1EPKdPdPKlPlN2at6native12_GLOBAL__N_18offset_tEEE10hipError_tPvRmT1_PNSt15iterator_traitsIS12_E10value_typeET2_T3_PNS13_IS18_E10value_typeET4_jRbjT5_S1E_jjP12ihipStream_tbEUljE_ZNSN_ISO_Lb1ESQ_SR_ST_SU_SY_EESZ_S10_S11_S12_S16_S17_S18_S1B_S1C_jS1D_jS1E_S1E_jjS1G_bEUljE0_EEESZ_S10_S11_S18_S1C_S1E_T6_T7_T9_mT8_S1G_bDpT10_ENKUlT_T0_E_clISt17integral_constantIbLb1EES1U_EEDaS1P_S1Q_EUlS1P_E_NS1_11comp_targetILNS1_3genE3ELNS1_11target_archE908ELNS1_3gpuE7ELNS1_3repE0EEENS1_30default_config_static_selectorELNS0_4arch9wavefront6targetE1EEEvS12_,comdat
	.globl	_ZN7rocprim17ROCPRIM_400000_NS6detail17trampoline_kernelINS0_13select_configILj256ELj13ELNS0_17block_load_methodE3ELS4_3ELS4_3ELNS0_20block_scan_algorithmE0ELj4294967295EEENS1_25partition_config_selectorILNS1_17partition_subalgoE4EjNS0_10empty_typeEbEEZZNS1_14partition_implILS8_4ELb0ES6_15HIP_vector_typeIjLj2EENS0_17counting_iteratorIjlEEPS9_SG_NS0_5tupleIJPjSI_NS0_16reverse_iteratorISI_EEEEENSH_IJSG_SG_SG_EEES9_SI_JZNS1_25segmented_radix_sort_implINS0_14default_configELb1EPKdPdPKlPlN2at6native12_GLOBAL__N_18offset_tEEE10hipError_tPvRmT1_PNSt15iterator_traitsIS12_E10value_typeET2_T3_PNS13_IS18_E10value_typeET4_jRbjT5_S1E_jjP12ihipStream_tbEUljE_ZNSN_ISO_Lb1ESQ_SR_ST_SU_SY_EESZ_S10_S11_S12_S16_S17_S18_S1B_S1C_jS1D_jS1E_S1E_jjS1G_bEUljE0_EEESZ_S10_S11_S18_S1C_S1E_T6_T7_T9_mT8_S1G_bDpT10_ENKUlT_T0_E_clISt17integral_constantIbLb1EES1U_EEDaS1P_S1Q_EUlS1P_E_NS1_11comp_targetILNS1_3genE3ELNS1_11target_archE908ELNS1_3gpuE7ELNS1_3repE0EEENS1_30default_config_static_selectorELNS0_4arch9wavefront6targetE1EEEvS12_ ; -- Begin function _ZN7rocprim17ROCPRIM_400000_NS6detail17trampoline_kernelINS0_13select_configILj256ELj13ELNS0_17block_load_methodE3ELS4_3ELS4_3ELNS0_20block_scan_algorithmE0ELj4294967295EEENS1_25partition_config_selectorILNS1_17partition_subalgoE4EjNS0_10empty_typeEbEEZZNS1_14partition_implILS8_4ELb0ES6_15HIP_vector_typeIjLj2EENS0_17counting_iteratorIjlEEPS9_SG_NS0_5tupleIJPjSI_NS0_16reverse_iteratorISI_EEEEENSH_IJSG_SG_SG_EEES9_SI_JZNS1_25segmented_radix_sort_implINS0_14default_configELb1EPKdPdPKlPlN2at6native12_GLOBAL__N_18offset_tEEE10hipError_tPvRmT1_PNSt15iterator_traitsIS12_E10value_typeET2_T3_PNS13_IS18_E10value_typeET4_jRbjT5_S1E_jjP12ihipStream_tbEUljE_ZNSN_ISO_Lb1ESQ_SR_ST_SU_SY_EESZ_S10_S11_S12_S16_S17_S18_S1B_S1C_jS1D_jS1E_S1E_jjS1G_bEUljE0_EEESZ_S10_S11_S18_S1C_S1E_T6_T7_T9_mT8_S1G_bDpT10_ENKUlT_T0_E_clISt17integral_constantIbLb1EES1U_EEDaS1P_S1Q_EUlS1P_E_NS1_11comp_targetILNS1_3genE3ELNS1_11target_archE908ELNS1_3gpuE7ELNS1_3repE0EEENS1_30default_config_static_selectorELNS0_4arch9wavefront6targetE1EEEvS12_
	.p2align	8
	.type	_ZN7rocprim17ROCPRIM_400000_NS6detail17trampoline_kernelINS0_13select_configILj256ELj13ELNS0_17block_load_methodE3ELS4_3ELS4_3ELNS0_20block_scan_algorithmE0ELj4294967295EEENS1_25partition_config_selectorILNS1_17partition_subalgoE4EjNS0_10empty_typeEbEEZZNS1_14partition_implILS8_4ELb0ES6_15HIP_vector_typeIjLj2EENS0_17counting_iteratorIjlEEPS9_SG_NS0_5tupleIJPjSI_NS0_16reverse_iteratorISI_EEEEENSH_IJSG_SG_SG_EEES9_SI_JZNS1_25segmented_radix_sort_implINS0_14default_configELb1EPKdPdPKlPlN2at6native12_GLOBAL__N_18offset_tEEE10hipError_tPvRmT1_PNSt15iterator_traitsIS12_E10value_typeET2_T3_PNS13_IS18_E10value_typeET4_jRbjT5_S1E_jjP12ihipStream_tbEUljE_ZNSN_ISO_Lb1ESQ_SR_ST_SU_SY_EESZ_S10_S11_S12_S16_S17_S18_S1B_S1C_jS1D_jS1E_S1E_jjS1G_bEUljE0_EEESZ_S10_S11_S18_S1C_S1E_T6_T7_T9_mT8_S1G_bDpT10_ENKUlT_T0_E_clISt17integral_constantIbLb1EES1U_EEDaS1P_S1Q_EUlS1P_E_NS1_11comp_targetILNS1_3genE3ELNS1_11target_archE908ELNS1_3gpuE7ELNS1_3repE0EEENS1_30default_config_static_selectorELNS0_4arch9wavefront6targetE1EEEvS12_,@function
_ZN7rocprim17ROCPRIM_400000_NS6detail17trampoline_kernelINS0_13select_configILj256ELj13ELNS0_17block_load_methodE3ELS4_3ELS4_3ELNS0_20block_scan_algorithmE0ELj4294967295EEENS1_25partition_config_selectorILNS1_17partition_subalgoE4EjNS0_10empty_typeEbEEZZNS1_14partition_implILS8_4ELb0ES6_15HIP_vector_typeIjLj2EENS0_17counting_iteratorIjlEEPS9_SG_NS0_5tupleIJPjSI_NS0_16reverse_iteratorISI_EEEEENSH_IJSG_SG_SG_EEES9_SI_JZNS1_25segmented_radix_sort_implINS0_14default_configELb1EPKdPdPKlPlN2at6native12_GLOBAL__N_18offset_tEEE10hipError_tPvRmT1_PNSt15iterator_traitsIS12_E10value_typeET2_T3_PNS13_IS18_E10value_typeET4_jRbjT5_S1E_jjP12ihipStream_tbEUljE_ZNSN_ISO_Lb1ESQ_SR_ST_SU_SY_EESZ_S10_S11_S12_S16_S17_S18_S1B_S1C_jS1D_jS1E_S1E_jjS1G_bEUljE0_EEESZ_S10_S11_S18_S1C_S1E_T6_T7_T9_mT8_S1G_bDpT10_ENKUlT_T0_E_clISt17integral_constantIbLb1EES1U_EEDaS1P_S1Q_EUlS1P_E_NS1_11comp_targetILNS1_3genE3ELNS1_11target_archE908ELNS1_3gpuE7ELNS1_3repE0EEENS1_30default_config_static_selectorELNS0_4arch9wavefront6targetE1EEEvS12_: ; @_ZN7rocprim17ROCPRIM_400000_NS6detail17trampoline_kernelINS0_13select_configILj256ELj13ELNS0_17block_load_methodE3ELS4_3ELS4_3ELNS0_20block_scan_algorithmE0ELj4294967295EEENS1_25partition_config_selectorILNS1_17partition_subalgoE4EjNS0_10empty_typeEbEEZZNS1_14partition_implILS8_4ELb0ES6_15HIP_vector_typeIjLj2EENS0_17counting_iteratorIjlEEPS9_SG_NS0_5tupleIJPjSI_NS0_16reverse_iteratorISI_EEEEENSH_IJSG_SG_SG_EEES9_SI_JZNS1_25segmented_radix_sort_implINS0_14default_configELb1EPKdPdPKlPlN2at6native12_GLOBAL__N_18offset_tEEE10hipError_tPvRmT1_PNSt15iterator_traitsIS12_E10value_typeET2_T3_PNS13_IS18_E10value_typeET4_jRbjT5_S1E_jjP12ihipStream_tbEUljE_ZNSN_ISO_Lb1ESQ_SR_ST_SU_SY_EESZ_S10_S11_S12_S16_S17_S18_S1B_S1C_jS1D_jS1E_S1E_jjS1G_bEUljE0_EEESZ_S10_S11_S18_S1C_S1E_T6_T7_T9_mT8_S1G_bDpT10_ENKUlT_T0_E_clISt17integral_constantIbLb1EES1U_EEDaS1P_S1Q_EUlS1P_E_NS1_11comp_targetILNS1_3genE3ELNS1_11target_archE908ELNS1_3gpuE7ELNS1_3repE0EEENS1_30default_config_static_selectorELNS0_4arch9wavefront6targetE1EEEvS12_
; %bb.0:
	.section	.rodata,"a",@progbits
	.p2align	6, 0x0
	.amdhsa_kernel _ZN7rocprim17ROCPRIM_400000_NS6detail17trampoline_kernelINS0_13select_configILj256ELj13ELNS0_17block_load_methodE3ELS4_3ELS4_3ELNS0_20block_scan_algorithmE0ELj4294967295EEENS1_25partition_config_selectorILNS1_17partition_subalgoE4EjNS0_10empty_typeEbEEZZNS1_14partition_implILS8_4ELb0ES6_15HIP_vector_typeIjLj2EENS0_17counting_iteratorIjlEEPS9_SG_NS0_5tupleIJPjSI_NS0_16reverse_iteratorISI_EEEEENSH_IJSG_SG_SG_EEES9_SI_JZNS1_25segmented_radix_sort_implINS0_14default_configELb1EPKdPdPKlPlN2at6native12_GLOBAL__N_18offset_tEEE10hipError_tPvRmT1_PNSt15iterator_traitsIS12_E10value_typeET2_T3_PNS13_IS18_E10value_typeET4_jRbjT5_S1E_jjP12ihipStream_tbEUljE_ZNSN_ISO_Lb1ESQ_SR_ST_SU_SY_EESZ_S10_S11_S12_S16_S17_S18_S1B_S1C_jS1D_jS1E_S1E_jjS1G_bEUljE0_EEESZ_S10_S11_S18_S1C_S1E_T6_T7_T9_mT8_S1G_bDpT10_ENKUlT_T0_E_clISt17integral_constantIbLb1EES1U_EEDaS1P_S1Q_EUlS1P_E_NS1_11comp_targetILNS1_3genE3ELNS1_11target_archE908ELNS1_3gpuE7ELNS1_3repE0EEENS1_30default_config_static_selectorELNS0_4arch9wavefront6targetE1EEEvS12_
		.amdhsa_group_segment_fixed_size 0
		.amdhsa_private_segment_fixed_size 0
		.amdhsa_kernarg_size 184
		.amdhsa_user_sgpr_count 6
		.amdhsa_user_sgpr_private_segment_buffer 1
		.amdhsa_user_sgpr_dispatch_ptr 0
		.amdhsa_user_sgpr_queue_ptr 0
		.amdhsa_user_sgpr_kernarg_segment_ptr 1
		.amdhsa_user_sgpr_dispatch_id 0
		.amdhsa_user_sgpr_flat_scratch_init 0
		.amdhsa_user_sgpr_private_segment_size 0
		.amdhsa_uses_dynamic_stack 0
		.amdhsa_system_sgpr_private_segment_wavefront_offset 0
		.amdhsa_system_sgpr_workgroup_id_x 1
		.amdhsa_system_sgpr_workgroup_id_y 0
		.amdhsa_system_sgpr_workgroup_id_z 0
		.amdhsa_system_sgpr_workgroup_info 0
		.amdhsa_system_vgpr_workitem_id 0
		.amdhsa_next_free_vgpr 1
		.amdhsa_next_free_sgpr 0
		.amdhsa_reserve_vcc 0
		.amdhsa_reserve_flat_scratch 0
		.amdhsa_float_round_mode_32 0
		.amdhsa_float_round_mode_16_64 0
		.amdhsa_float_denorm_mode_32 3
		.amdhsa_float_denorm_mode_16_64 3
		.amdhsa_dx10_clamp 1
		.amdhsa_ieee_mode 1
		.amdhsa_fp16_overflow 0
		.amdhsa_exception_fp_ieee_invalid_op 0
		.amdhsa_exception_fp_denorm_src 0
		.amdhsa_exception_fp_ieee_div_zero 0
		.amdhsa_exception_fp_ieee_overflow 0
		.amdhsa_exception_fp_ieee_underflow 0
		.amdhsa_exception_fp_ieee_inexact 0
		.amdhsa_exception_int_div_zero 0
	.end_amdhsa_kernel
	.section	.text._ZN7rocprim17ROCPRIM_400000_NS6detail17trampoline_kernelINS0_13select_configILj256ELj13ELNS0_17block_load_methodE3ELS4_3ELS4_3ELNS0_20block_scan_algorithmE0ELj4294967295EEENS1_25partition_config_selectorILNS1_17partition_subalgoE4EjNS0_10empty_typeEbEEZZNS1_14partition_implILS8_4ELb0ES6_15HIP_vector_typeIjLj2EENS0_17counting_iteratorIjlEEPS9_SG_NS0_5tupleIJPjSI_NS0_16reverse_iteratorISI_EEEEENSH_IJSG_SG_SG_EEES9_SI_JZNS1_25segmented_radix_sort_implINS0_14default_configELb1EPKdPdPKlPlN2at6native12_GLOBAL__N_18offset_tEEE10hipError_tPvRmT1_PNSt15iterator_traitsIS12_E10value_typeET2_T3_PNS13_IS18_E10value_typeET4_jRbjT5_S1E_jjP12ihipStream_tbEUljE_ZNSN_ISO_Lb1ESQ_SR_ST_SU_SY_EESZ_S10_S11_S12_S16_S17_S18_S1B_S1C_jS1D_jS1E_S1E_jjS1G_bEUljE0_EEESZ_S10_S11_S18_S1C_S1E_T6_T7_T9_mT8_S1G_bDpT10_ENKUlT_T0_E_clISt17integral_constantIbLb1EES1U_EEDaS1P_S1Q_EUlS1P_E_NS1_11comp_targetILNS1_3genE3ELNS1_11target_archE908ELNS1_3gpuE7ELNS1_3repE0EEENS1_30default_config_static_selectorELNS0_4arch9wavefront6targetE1EEEvS12_,"axG",@progbits,_ZN7rocprim17ROCPRIM_400000_NS6detail17trampoline_kernelINS0_13select_configILj256ELj13ELNS0_17block_load_methodE3ELS4_3ELS4_3ELNS0_20block_scan_algorithmE0ELj4294967295EEENS1_25partition_config_selectorILNS1_17partition_subalgoE4EjNS0_10empty_typeEbEEZZNS1_14partition_implILS8_4ELb0ES6_15HIP_vector_typeIjLj2EENS0_17counting_iteratorIjlEEPS9_SG_NS0_5tupleIJPjSI_NS0_16reverse_iteratorISI_EEEEENSH_IJSG_SG_SG_EEES9_SI_JZNS1_25segmented_radix_sort_implINS0_14default_configELb1EPKdPdPKlPlN2at6native12_GLOBAL__N_18offset_tEEE10hipError_tPvRmT1_PNSt15iterator_traitsIS12_E10value_typeET2_T3_PNS13_IS18_E10value_typeET4_jRbjT5_S1E_jjP12ihipStream_tbEUljE_ZNSN_ISO_Lb1ESQ_SR_ST_SU_SY_EESZ_S10_S11_S12_S16_S17_S18_S1B_S1C_jS1D_jS1E_S1E_jjS1G_bEUljE0_EEESZ_S10_S11_S18_S1C_S1E_T6_T7_T9_mT8_S1G_bDpT10_ENKUlT_T0_E_clISt17integral_constantIbLb1EES1U_EEDaS1P_S1Q_EUlS1P_E_NS1_11comp_targetILNS1_3genE3ELNS1_11target_archE908ELNS1_3gpuE7ELNS1_3repE0EEENS1_30default_config_static_selectorELNS0_4arch9wavefront6targetE1EEEvS12_,comdat
.Lfunc_end1065:
	.size	_ZN7rocprim17ROCPRIM_400000_NS6detail17trampoline_kernelINS0_13select_configILj256ELj13ELNS0_17block_load_methodE3ELS4_3ELS4_3ELNS0_20block_scan_algorithmE0ELj4294967295EEENS1_25partition_config_selectorILNS1_17partition_subalgoE4EjNS0_10empty_typeEbEEZZNS1_14partition_implILS8_4ELb0ES6_15HIP_vector_typeIjLj2EENS0_17counting_iteratorIjlEEPS9_SG_NS0_5tupleIJPjSI_NS0_16reverse_iteratorISI_EEEEENSH_IJSG_SG_SG_EEES9_SI_JZNS1_25segmented_radix_sort_implINS0_14default_configELb1EPKdPdPKlPlN2at6native12_GLOBAL__N_18offset_tEEE10hipError_tPvRmT1_PNSt15iterator_traitsIS12_E10value_typeET2_T3_PNS13_IS18_E10value_typeET4_jRbjT5_S1E_jjP12ihipStream_tbEUljE_ZNSN_ISO_Lb1ESQ_SR_ST_SU_SY_EESZ_S10_S11_S12_S16_S17_S18_S1B_S1C_jS1D_jS1E_S1E_jjS1G_bEUljE0_EEESZ_S10_S11_S18_S1C_S1E_T6_T7_T9_mT8_S1G_bDpT10_ENKUlT_T0_E_clISt17integral_constantIbLb1EES1U_EEDaS1P_S1Q_EUlS1P_E_NS1_11comp_targetILNS1_3genE3ELNS1_11target_archE908ELNS1_3gpuE7ELNS1_3repE0EEENS1_30default_config_static_selectorELNS0_4arch9wavefront6targetE1EEEvS12_, .Lfunc_end1065-_ZN7rocprim17ROCPRIM_400000_NS6detail17trampoline_kernelINS0_13select_configILj256ELj13ELNS0_17block_load_methodE3ELS4_3ELS4_3ELNS0_20block_scan_algorithmE0ELj4294967295EEENS1_25partition_config_selectorILNS1_17partition_subalgoE4EjNS0_10empty_typeEbEEZZNS1_14partition_implILS8_4ELb0ES6_15HIP_vector_typeIjLj2EENS0_17counting_iteratorIjlEEPS9_SG_NS0_5tupleIJPjSI_NS0_16reverse_iteratorISI_EEEEENSH_IJSG_SG_SG_EEES9_SI_JZNS1_25segmented_radix_sort_implINS0_14default_configELb1EPKdPdPKlPlN2at6native12_GLOBAL__N_18offset_tEEE10hipError_tPvRmT1_PNSt15iterator_traitsIS12_E10value_typeET2_T3_PNS13_IS18_E10value_typeET4_jRbjT5_S1E_jjP12ihipStream_tbEUljE_ZNSN_ISO_Lb1ESQ_SR_ST_SU_SY_EESZ_S10_S11_S12_S16_S17_S18_S1B_S1C_jS1D_jS1E_S1E_jjS1G_bEUljE0_EEESZ_S10_S11_S18_S1C_S1E_T6_T7_T9_mT8_S1G_bDpT10_ENKUlT_T0_E_clISt17integral_constantIbLb1EES1U_EEDaS1P_S1Q_EUlS1P_E_NS1_11comp_targetILNS1_3genE3ELNS1_11target_archE908ELNS1_3gpuE7ELNS1_3repE0EEENS1_30default_config_static_selectorELNS0_4arch9wavefront6targetE1EEEvS12_
                                        ; -- End function
	.set _ZN7rocprim17ROCPRIM_400000_NS6detail17trampoline_kernelINS0_13select_configILj256ELj13ELNS0_17block_load_methodE3ELS4_3ELS4_3ELNS0_20block_scan_algorithmE0ELj4294967295EEENS1_25partition_config_selectorILNS1_17partition_subalgoE4EjNS0_10empty_typeEbEEZZNS1_14partition_implILS8_4ELb0ES6_15HIP_vector_typeIjLj2EENS0_17counting_iteratorIjlEEPS9_SG_NS0_5tupleIJPjSI_NS0_16reverse_iteratorISI_EEEEENSH_IJSG_SG_SG_EEES9_SI_JZNS1_25segmented_radix_sort_implINS0_14default_configELb1EPKdPdPKlPlN2at6native12_GLOBAL__N_18offset_tEEE10hipError_tPvRmT1_PNSt15iterator_traitsIS12_E10value_typeET2_T3_PNS13_IS18_E10value_typeET4_jRbjT5_S1E_jjP12ihipStream_tbEUljE_ZNSN_ISO_Lb1ESQ_SR_ST_SU_SY_EESZ_S10_S11_S12_S16_S17_S18_S1B_S1C_jS1D_jS1E_S1E_jjS1G_bEUljE0_EEESZ_S10_S11_S18_S1C_S1E_T6_T7_T9_mT8_S1G_bDpT10_ENKUlT_T0_E_clISt17integral_constantIbLb1EES1U_EEDaS1P_S1Q_EUlS1P_E_NS1_11comp_targetILNS1_3genE3ELNS1_11target_archE908ELNS1_3gpuE7ELNS1_3repE0EEENS1_30default_config_static_selectorELNS0_4arch9wavefront6targetE1EEEvS12_.num_vgpr, 0
	.set _ZN7rocprim17ROCPRIM_400000_NS6detail17trampoline_kernelINS0_13select_configILj256ELj13ELNS0_17block_load_methodE3ELS4_3ELS4_3ELNS0_20block_scan_algorithmE0ELj4294967295EEENS1_25partition_config_selectorILNS1_17partition_subalgoE4EjNS0_10empty_typeEbEEZZNS1_14partition_implILS8_4ELb0ES6_15HIP_vector_typeIjLj2EENS0_17counting_iteratorIjlEEPS9_SG_NS0_5tupleIJPjSI_NS0_16reverse_iteratorISI_EEEEENSH_IJSG_SG_SG_EEES9_SI_JZNS1_25segmented_radix_sort_implINS0_14default_configELb1EPKdPdPKlPlN2at6native12_GLOBAL__N_18offset_tEEE10hipError_tPvRmT1_PNSt15iterator_traitsIS12_E10value_typeET2_T3_PNS13_IS18_E10value_typeET4_jRbjT5_S1E_jjP12ihipStream_tbEUljE_ZNSN_ISO_Lb1ESQ_SR_ST_SU_SY_EESZ_S10_S11_S12_S16_S17_S18_S1B_S1C_jS1D_jS1E_S1E_jjS1G_bEUljE0_EEESZ_S10_S11_S18_S1C_S1E_T6_T7_T9_mT8_S1G_bDpT10_ENKUlT_T0_E_clISt17integral_constantIbLb1EES1U_EEDaS1P_S1Q_EUlS1P_E_NS1_11comp_targetILNS1_3genE3ELNS1_11target_archE908ELNS1_3gpuE7ELNS1_3repE0EEENS1_30default_config_static_selectorELNS0_4arch9wavefront6targetE1EEEvS12_.num_agpr, 0
	.set _ZN7rocprim17ROCPRIM_400000_NS6detail17trampoline_kernelINS0_13select_configILj256ELj13ELNS0_17block_load_methodE3ELS4_3ELS4_3ELNS0_20block_scan_algorithmE0ELj4294967295EEENS1_25partition_config_selectorILNS1_17partition_subalgoE4EjNS0_10empty_typeEbEEZZNS1_14partition_implILS8_4ELb0ES6_15HIP_vector_typeIjLj2EENS0_17counting_iteratorIjlEEPS9_SG_NS0_5tupleIJPjSI_NS0_16reverse_iteratorISI_EEEEENSH_IJSG_SG_SG_EEES9_SI_JZNS1_25segmented_radix_sort_implINS0_14default_configELb1EPKdPdPKlPlN2at6native12_GLOBAL__N_18offset_tEEE10hipError_tPvRmT1_PNSt15iterator_traitsIS12_E10value_typeET2_T3_PNS13_IS18_E10value_typeET4_jRbjT5_S1E_jjP12ihipStream_tbEUljE_ZNSN_ISO_Lb1ESQ_SR_ST_SU_SY_EESZ_S10_S11_S12_S16_S17_S18_S1B_S1C_jS1D_jS1E_S1E_jjS1G_bEUljE0_EEESZ_S10_S11_S18_S1C_S1E_T6_T7_T9_mT8_S1G_bDpT10_ENKUlT_T0_E_clISt17integral_constantIbLb1EES1U_EEDaS1P_S1Q_EUlS1P_E_NS1_11comp_targetILNS1_3genE3ELNS1_11target_archE908ELNS1_3gpuE7ELNS1_3repE0EEENS1_30default_config_static_selectorELNS0_4arch9wavefront6targetE1EEEvS12_.numbered_sgpr, 0
	.set _ZN7rocprim17ROCPRIM_400000_NS6detail17trampoline_kernelINS0_13select_configILj256ELj13ELNS0_17block_load_methodE3ELS4_3ELS4_3ELNS0_20block_scan_algorithmE0ELj4294967295EEENS1_25partition_config_selectorILNS1_17partition_subalgoE4EjNS0_10empty_typeEbEEZZNS1_14partition_implILS8_4ELb0ES6_15HIP_vector_typeIjLj2EENS0_17counting_iteratorIjlEEPS9_SG_NS0_5tupleIJPjSI_NS0_16reverse_iteratorISI_EEEEENSH_IJSG_SG_SG_EEES9_SI_JZNS1_25segmented_radix_sort_implINS0_14default_configELb1EPKdPdPKlPlN2at6native12_GLOBAL__N_18offset_tEEE10hipError_tPvRmT1_PNSt15iterator_traitsIS12_E10value_typeET2_T3_PNS13_IS18_E10value_typeET4_jRbjT5_S1E_jjP12ihipStream_tbEUljE_ZNSN_ISO_Lb1ESQ_SR_ST_SU_SY_EESZ_S10_S11_S12_S16_S17_S18_S1B_S1C_jS1D_jS1E_S1E_jjS1G_bEUljE0_EEESZ_S10_S11_S18_S1C_S1E_T6_T7_T9_mT8_S1G_bDpT10_ENKUlT_T0_E_clISt17integral_constantIbLb1EES1U_EEDaS1P_S1Q_EUlS1P_E_NS1_11comp_targetILNS1_3genE3ELNS1_11target_archE908ELNS1_3gpuE7ELNS1_3repE0EEENS1_30default_config_static_selectorELNS0_4arch9wavefront6targetE1EEEvS12_.num_named_barrier, 0
	.set _ZN7rocprim17ROCPRIM_400000_NS6detail17trampoline_kernelINS0_13select_configILj256ELj13ELNS0_17block_load_methodE3ELS4_3ELS4_3ELNS0_20block_scan_algorithmE0ELj4294967295EEENS1_25partition_config_selectorILNS1_17partition_subalgoE4EjNS0_10empty_typeEbEEZZNS1_14partition_implILS8_4ELb0ES6_15HIP_vector_typeIjLj2EENS0_17counting_iteratorIjlEEPS9_SG_NS0_5tupleIJPjSI_NS0_16reverse_iteratorISI_EEEEENSH_IJSG_SG_SG_EEES9_SI_JZNS1_25segmented_radix_sort_implINS0_14default_configELb1EPKdPdPKlPlN2at6native12_GLOBAL__N_18offset_tEEE10hipError_tPvRmT1_PNSt15iterator_traitsIS12_E10value_typeET2_T3_PNS13_IS18_E10value_typeET4_jRbjT5_S1E_jjP12ihipStream_tbEUljE_ZNSN_ISO_Lb1ESQ_SR_ST_SU_SY_EESZ_S10_S11_S12_S16_S17_S18_S1B_S1C_jS1D_jS1E_S1E_jjS1G_bEUljE0_EEESZ_S10_S11_S18_S1C_S1E_T6_T7_T9_mT8_S1G_bDpT10_ENKUlT_T0_E_clISt17integral_constantIbLb1EES1U_EEDaS1P_S1Q_EUlS1P_E_NS1_11comp_targetILNS1_3genE3ELNS1_11target_archE908ELNS1_3gpuE7ELNS1_3repE0EEENS1_30default_config_static_selectorELNS0_4arch9wavefront6targetE1EEEvS12_.private_seg_size, 0
	.set _ZN7rocprim17ROCPRIM_400000_NS6detail17trampoline_kernelINS0_13select_configILj256ELj13ELNS0_17block_load_methodE3ELS4_3ELS4_3ELNS0_20block_scan_algorithmE0ELj4294967295EEENS1_25partition_config_selectorILNS1_17partition_subalgoE4EjNS0_10empty_typeEbEEZZNS1_14partition_implILS8_4ELb0ES6_15HIP_vector_typeIjLj2EENS0_17counting_iteratorIjlEEPS9_SG_NS0_5tupleIJPjSI_NS0_16reverse_iteratorISI_EEEEENSH_IJSG_SG_SG_EEES9_SI_JZNS1_25segmented_radix_sort_implINS0_14default_configELb1EPKdPdPKlPlN2at6native12_GLOBAL__N_18offset_tEEE10hipError_tPvRmT1_PNSt15iterator_traitsIS12_E10value_typeET2_T3_PNS13_IS18_E10value_typeET4_jRbjT5_S1E_jjP12ihipStream_tbEUljE_ZNSN_ISO_Lb1ESQ_SR_ST_SU_SY_EESZ_S10_S11_S12_S16_S17_S18_S1B_S1C_jS1D_jS1E_S1E_jjS1G_bEUljE0_EEESZ_S10_S11_S18_S1C_S1E_T6_T7_T9_mT8_S1G_bDpT10_ENKUlT_T0_E_clISt17integral_constantIbLb1EES1U_EEDaS1P_S1Q_EUlS1P_E_NS1_11comp_targetILNS1_3genE3ELNS1_11target_archE908ELNS1_3gpuE7ELNS1_3repE0EEENS1_30default_config_static_selectorELNS0_4arch9wavefront6targetE1EEEvS12_.uses_vcc, 0
	.set _ZN7rocprim17ROCPRIM_400000_NS6detail17trampoline_kernelINS0_13select_configILj256ELj13ELNS0_17block_load_methodE3ELS4_3ELS4_3ELNS0_20block_scan_algorithmE0ELj4294967295EEENS1_25partition_config_selectorILNS1_17partition_subalgoE4EjNS0_10empty_typeEbEEZZNS1_14partition_implILS8_4ELb0ES6_15HIP_vector_typeIjLj2EENS0_17counting_iteratorIjlEEPS9_SG_NS0_5tupleIJPjSI_NS0_16reverse_iteratorISI_EEEEENSH_IJSG_SG_SG_EEES9_SI_JZNS1_25segmented_radix_sort_implINS0_14default_configELb1EPKdPdPKlPlN2at6native12_GLOBAL__N_18offset_tEEE10hipError_tPvRmT1_PNSt15iterator_traitsIS12_E10value_typeET2_T3_PNS13_IS18_E10value_typeET4_jRbjT5_S1E_jjP12ihipStream_tbEUljE_ZNSN_ISO_Lb1ESQ_SR_ST_SU_SY_EESZ_S10_S11_S12_S16_S17_S18_S1B_S1C_jS1D_jS1E_S1E_jjS1G_bEUljE0_EEESZ_S10_S11_S18_S1C_S1E_T6_T7_T9_mT8_S1G_bDpT10_ENKUlT_T0_E_clISt17integral_constantIbLb1EES1U_EEDaS1P_S1Q_EUlS1P_E_NS1_11comp_targetILNS1_3genE3ELNS1_11target_archE908ELNS1_3gpuE7ELNS1_3repE0EEENS1_30default_config_static_selectorELNS0_4arch9wavefront6targetE1EEEvS12_.uses_flat_scratch, 0
	.set _ZN7rocprim17ROCPRIM_400000_NS6detail17trampoline_kernelINS0_13select_configILj256ELj13ELNS0_17block_load_methodE3ELS4_3ELS4_3ELNS0_20block_scan_algorithmE0ELj4294967295EEENS1_25partition_config_selectorILNS1_17partition_subalgoE4EjNS0_10empty_typeEbEEZZNS1_14partition_implILS8_4ELb0ES6_15HIP_vector_typeIjLj2EENS0_17counting_iteratorIjlEEPS9_SG_NS0_5tupleIJPjSI_NS0_16reverse_iteratorISI_EEEEENSH_IJSG_SG_SG_EEES9_SI_JZNS1_25segmented_radix_sort_implINS0_14default_configELb1EPKdPdPKlPlN2at6native12_GLOBAL__N_18offset_tEEE10hipError_tPvRmT1_PNSt15iterator_traitsIS12_E10value_typeET2_T3_PNS13_IS18_E10value_typeET4_jRbjT5_S1E_jjP12ihipStream_tbEUljE_ZNSN_ISO_Lb1ESQ_SR_ST_SU_SY_EESZ_S10_S11_S12_S16_S17_S18_S1B_S1C_jS1D_jS1E_S1E_jjS1G_bEUljE0_EEESZ_S10_S11_S18_S1C_S1E_T6_T7_T9_mT8_S1G_bDpT10_ENKUlT_T0_E_clISt17integral_constantIbLb1EES1U_EEDaS1P_S1Q_EUlS1P_E_NS1_11comp_targetILNS1_3genE3ELNS1_11target_archE908ELNS1_3gpuE7ELNS1_3repE0EEENS1_30default_config_static_selectorELNS0_4arch9wavefront6targetE1EEEvS12_.has_dyn_sized_stack, 0
	.set _ZN7rocprim17ROCPRIM_400000_NS6detail17trampoline_kernelINS0_13select_configILj256ELj13ELNS0_17block_load_methodE3ELS4_3ELS4_3ELNS0_20block_scan_algorithmE0ELj4294967295EEENS1_25partition_config_selectorILNS1_17partition_subalgoE4EjNS0_10empty_typeEbEEZZNS1_14partition_implILS8_4ELb0ES6_15HIP_vector_typeIjLj2EENS0_17counting_iteratorIjlEEPS9_SG_NS0_5tupleIJPjSI_NS0_16reverse_iteratorISI_EEEEENSH_IJSG_SG_SG_EEES9_SI_JZNS1_25segmented_radix_sort_implINS0_14default_configELb1EPKdPdPKlPlN2at6native12_GLOBAL__N_18offset_tEEE10hipError_tPvRmT1_PNSt15iterator_traitsIS12_E10value_typeET2_T3_PNS13_IS18_E10value_typeET4_jRbjT5_S1E_jjP12ihipStream_tbEUljE_ZNSN_ISO_Lb1ESQ_SR_ST_SU_SY_EESZ_S10_S11_S12_S16_S17_S18_S1B_S1C_jS1D_jS1E_S1E_jjS1G_bEUljE0_EEESZ_S10_S11_S18_S1C_S1E_T6_T7_T9_mT8_S1G_bDpT10_ENKUlT_T0_E_clISt17integral_constantIbLb1EES1U_EEDaS1P_S1Q_EUlS1P_E_NS1_11comp_targetILNS1_3genE3ELNS1_11target_archE908ELNS1_3gpuE7ELNS1_3repE0EEENS1_30default_config_static_selectorELNS0_4arch9wavefront6targetE1EEEvS12_.has_recursion, 0
	.set _ZN7rocprim17ROCPRIM_400000_NS6detail17trampoline_kernelINS0_13select_configILj256ELj13ELNS0_17block_load_methodE3ELS4_3ELS4_3ELNS0_20block_scan_algorithmE0ELj4294967295EEENS1_25partition_config_selectorILNS1_17partition_subalgoE4EjNS0_10empty_typeEbEEZZNS1_14partition_implILS8_4ELb0ES6_15HIP_vector_typeIjLj2EENS0_17counting_iteratorIjlEEPS9_SG_NS0_5tupleIJPjSI_NS0_16reverse_iteratorISI_EEEEENSH_IJSG_SG_SG_EEES9_SI_JZNS1_25segmented_radix_sort_implINS0_14default_configELb1EPKdPdPKlPlN2at6native12_GLOBAL__N_18offset_tEEE10hipError_tPvRmT1_PNSt15iterator_traitsIS12_E10value_typeET2_T3_PNS13_IS18_E10value_typeET4_jRbjT5_S1E_jjP12ihipStream_tbEUljE_ZNSN_ISO_Lb1ESQ_SR_ST_SU_SY_EESZ_S10_S11_S12_S16_S17_S18_S1B_S1C_jS1D_jS1E_S1E_jjS1G_bEUljE0_EEESZ_S10_S11_S18_S1C_S1E_T6_T7_T9_mT8_S1G_bDpT10_ENKUlT_T0_E_clISt17integral_constantIbLb1EES1U_EEDaS1P_S1Q_EUlS1P_E_NS1_11comp_targetILNS1_3genE3ELNS1_11target_archE908ELNS1_3gpuE7ELNS1_3repE0EEENS1_30default_config_static_selectorELNS0_4arch9wavefront6targetE1EEEvS12_.has_indirect_call, 0
	.section	.AMDGPU.csdata,"",@progbits
; Kernel info:
; codeLenInByte = 0
; TotalNumSgprs: 4
; NumVgprs: 0
; ScratchSize: 0
; MemoryBound: 0
; FloatMode: 240
; IeeeMode: 1
; LDSByteSize: 0 bytes/workgroup (compile time only)
; SGPRBlocks: 0
; VGPRBlocks: 0
; NumSGPRsForWavesPerEU: 4
; NumVGPRsForWavesPerEU: 1
; Occupancy: 10
; WaveLimiterHint : 0
; COMPUTE_PGM_RSRC2:SCRATCH_EN: 0
; COMPUTE_PGM_RSRC2:USER_SGPR: 6
; COMPUTE_PGM_RSRC2:TRAP_HANDLER: 0
; COMPUTE_PGM_RSRC2:TGID_X_EN: 1
; COMPUTE_PGM_RSRC2:TGID_Y_EN: 0
; COMPUTE_PGM_RSRC2:TGID_Z_EN: 0
; COMPUTE_PGM_RSRC2:TIDIG_COMP_CNT: 0
	.section	.text._ZN7rocprim17ROCPRIM_400000_NS6detail17trampoline_kernelINS0_13select_configILj256ELj13ELNS0_17block_load_methodE3ELS4_3ELS4_3ELNS0_20block_scan_algorithmE0ELj4294967295EEENS1_25partition_config_selectorILNS1_17partition_subalgoE4EjNS0_10empty_typeEbEEZZNS1_14partition_implILS8_4ELb0ES6_15HIP_vector_typeIjLj2EENS0_17counting_iteratorIjlEEPS9_SG_NS0_5tupleIJPjSI_NS0_16reverse_iteratorISI_EEEEENSH_IJSG_SG_SG_EEES9_SI_JZNS1_25segmented_radix_sort_implINS0_14default_configELb1EPKdPdPKlPlN2at6native12_GLOBAL__N_18offset_tEEE10hipError_tPvRmT1_PNSt15iterator_traitsIS12_E10value_typeET2_T3_PNS13_IS18_E10value_typeET4_jRbjT5_S1E_jjP12ihipStream_tbEUljE_ZNSN_ISO_Lb1ESQ_SR_ST_SU_SY_EESZ_S10_S11_S12_S16_S17_S18_S1B_S1C_jS1D_jS1E_S1E_jjS1G_bEUljE0_EEESZ_S10_S11_S18_S1C_S1E_T6_T7_T9_mT8_S1G_bDpT10_ENKUlT_T0_E_clISt17integral_constantIbLb1EES1U_EEDaS1P_S1Q_EUlS1P_E_NS1_11comp_targetILNS1_3genE2ELNS1_11target_archE906ELNS1_3gpuE6ELNS1_3repE0EEENS1_30default_config_static_selectorELNS0_4arch9wavefront6targetE1EEEvS12_,"axG",@progbits,_ZN7rocprim17ROCPRIM_400000_NS6detail17trampoline_kernelINS0_13select_configILj256ELj13ELNS0_17block_load_methodE3ELS4_3ELS4_3ELNS0_20block_scan_algorithmE0ELj4294967295EEENS1_25partition_config_selectorILNS1_17partition_subalgoE4EjNS0_10empty_typeEbEEZZNS1_14partition_implILS8_4ELb0ES6_15HIP_vector_typeIjLj2EENS0_17counting_iteratorIjlEEPS9_SG_NS0_5tupleIJPjSI_NS0_16reverse_iteratorISI_EEEEENSH_IJSG_SG_SG_EEES9_SI_JZNS1_25segmented_radix_sort_implINS0_14default_configELb1EPKdPdPKlPlN2at6native12_GLOBAL__N_18offset_tEEE10hipError_tPvRmT1_PNSt15iterator_traitsIS12_E10value_typeET2_T3_PNS13_IS18_E10value_typeET4_jRbjT5_S1E_jjP12ihipStream_tbEUljE_ZNSN_ISO_Lb1ESQ_SR_ST_SU_SY_EESZ_S10_S11_S12_S16_S17_S18_S1B_S1C_jS1D_jS1E_S1E_jjS1G_bEUljE0_EEESZ_S10_S11_S18_S1C_S1E_T6_T7_T9_mT8_S1G_bDpT10_ENKUlT_T0_E_clISt17integral_constantIbLb1EES1U_EEDaS1P_S1Q_EUlS1P_E_NS1_11comp_targetILNS1_3genE2ELNS1_11target_archE906ELNS1_3gpuE6ELNS1_3repE0EEENS1_30default_config_static_selectorELNS0_4arch9wavefront6targetE1EEEvS12_,comdat
	.globl	_ZN7rocprim17ROCPRIM_400000_NS6detail17trampoline_kernelINS0_13select_configILj256ELj13ELNS0_17block_load_methodE3ELS4_3ELS4_3ELNS0_20block_scan_algorithmE0ELj4294967295EEENS1_25partition_config_selectorILNS1_17partition_subalgoE4EjNS0_10empty_typeEbEEZZNS1_14partition_implILS8_4ELb0ES6_15HIP_vector_typeIjLj2EENS0_17counting_iteratorIjlEEPS9_SG_NS0_5tupleIJPjSI_NS0_16reverse_iteratorISI_EEEEENSH_IJSG_SG_SG_EEES9_SI_JZNS1_25segmented_radix_sort_implINS0_14default_configELb1EPKdPdPKlPlN2at6native12_GLOBAL__N_18offset_tEEE10hipError_tPvRmT1_PNSt15iterator_traitsIS12_E10value_typeET2_T3_PNS13_IS18_E10value_typeET4_jRbjT5_S1E_jjP12ihipStream_tbEUljE_ZNSN_ISO_Lb1ESQ_SR_ST_SU_SY_EESZ_S10_S11_S12_S16_S17_S18_S1B_S1C_jS1D_jS1E_S1E_jjS1G_bEUljE0_EEESZ_S10_S11_S18_S1C_S1E_T6_T7_T9_mT8_S1G_bDpT10_ENKUlT_T0_E_clISt17integral_constantIbLb1EES1U_EEDaS1P_S1Q_EUlS1P_E_NS1_11comp_targetILNS1_3genE2ELNS1_11target_archE906ELNS1_3gpuE6ELNS1_3repE0EEENS1_30default_config_static_selectorELNS0_4arch9wavefront6targetE1EEEvS12_ ; -- Begin function _ZN7rocprim17ROCPRIM_400000_NS6detail17trampoline_kernelINS0_13select_configILj256ELj13ELNS0_17block_load_methodE3ELS4_3ELS4_3ELNS0_20block_scan_algorithmE0ELj4294967295EEENS1_25partition_config_selectorILNS1_17partition_subalgoE4EjNS0_10empty_typeEbEEZZNS1_14partition_implILS8_4ELb0ES6_15HIP_vector_typeIjLj2EENS0_17counting_iteratorIjlEEPS9_SG_NS0_5tupleIJPjSI_NS0_16reverse_iteratorISI_EEEEENSH_IJSG_SG_SG_EEES9_SI_JZNS1_25segmented_radix_sort_implINS0_14default_configELb1EPKdPdPKlPlN2at6native12_GLOBAL__N_18offset_tEEE10hipError_tPvRmT1_PNSt15iterator_traitsIS12_E10value_typeET2_T3_PNS13_IS18_E10value_typeET4_jRbjT5_S1E_jjP12ihipStream_tbEUljE_ZNSN_ISO_Lb1ESQ_SR_ST_SU_SY_EESZ_S10_S11_S12_S16_S17_S18_S1B_S1C_jS1D_jS1E_S1E_jjS1G_bEUljE0_EEESZ_S10_S11_S18_S1C_S1E_T6_T7_T9_mT8_S1G_bDpT10_ENKUlT_T0_E_clISt17integral_constantIbLb1EES1U_EEDaS1P_S1Q_EUlS1P_E_NS1_11comp_targetILNS1_3genE2ELNS1_11target_archE906ELNS1_3gpuE6ELNS1_3repE0EEENS1_30default_config_static_selectorELNS0_4arch9wavefront6targetE1EEEvS12_
	.p2align	8
	.type	_ZN7rocprim17ROCPRIM_400000_NS6detail17trampoline_kernelINS0_13select_configILj256ELj13ELNS0_17block_load_methodE3ELS4_3ELS4_3ELNS0_20block_scan_algorithmE0ELj4294967295EEENS1_25partition_config_selectorILNS1_17partition_subalgoE4EjNS0_10empty_typeEbEEZZNS1_14partition_implILS8_4ELb0ES6_15HIP_vector_typeIjLj2EENS0_17counting_iteratorIjlEEPS9_SG_NS0_5tupleIJPjSI_NS0_16reverse_iteratorISI_EEEEENSH_IJSG_SG_SG_EEES9_SI_JZNS1_25segmented_radix_sort_implINS0_14default_configELb1EPKdPdPKlPlN2at6native12_GLOBAL__N_18offset_tEEE10hipError_tPvRmT1_PNSt15iterator_traitsIS12_E10value_typeET2_T3_PNS13_IS18_E10value_typeET4_jRbjT5_S1E_jjP12ihipStream_tbEUljE_ZNSN_ISO_Lb1ESQ_SR_ST_SU_SY_EESZ_S10_S11_S12_S16_S17_S18_S1B_S1C_jS1D_jS1E_S1E_jjS1G_bEUljE0_EEESZ_S10_S11_S18_S1C_S1E_T6_T7_T9_mT8_S1G_bDpT10_ENKUlT_T0_E_clISt17integral_constantIbLb1EES1U_EEDaS1P_S1Q_EUlS1P_E_NS1_11comp_targetILNS1_3genE2ELNS1_11target_archE906ELNS1_3gpuE6ELNS1_3repE0EEENS1_30default_config_static_selectorELNS0_4arch9wavefront6targetE1EEEvS12_,@function
_ZN7rocprim17ROCPRIM_400000_NS6detail17trampoline_kernelINS0_13select_configILj256ELj13ELNS0_17block_load_methodE3ELS4_3ELS4_3ELNS0_20block_scan_algorithmE0ELj4294967295EEENS1_25partition_config_selectorILNS1_17partition_subalgoE4EjNS0_10empty_typeEbEEZZNS1_14partition_implILS8_4ELb0ES6_15HIP_vector_typeIjLj2EENS0_17counting_iteratorIjlEEPS9_SG_NS0_5tupleIJPjSI_NS0_16reverse_iteratorISI_EEEEENSH_IJSG_SG_SG_EEES9_SI_JZNS1_25segmented_radix_sort_implINS0_14default_configELb1EPKdPdPKlPlN2at6native12_GLOBAL__N_18offset_tEEE10hipError_tPvRmT1_PNSt15iterator_traitsIS12_E10value_typeET2_T3_PNS13_IS18_E10value_typeET4_jRbjT5_S1E_jjP12ihipStream_tbEUljE_ZNSN_ISO_Lb1ESQ_SR_ST_SU_SY_EESZ_S10_S11_S12_S16_S17_S18_S1B_S1C_jS1D_jS1E_S1E_jjS1G_bEUljE0_EEESZ_S10_S11_S18_S1C_S1E_T6_T7_T9_mT8_S1G_bDpT10_ENKUlT_T0_E_clISt17integral_constantIbLb1EES1U_EEDaS1P_S1Q_EUlS1P_E_NS1_11comp_targetILNS1_3genE2ELNS1_11target_archE906ELNS1_3gpuE6ELNS1_3repE0EEENS1_30default_config_static_selectorELNS0_4arch9wavefront6targetE1EEEvS12_: ; @_ZN7rocprim17ROCPRIM_400000_NS6detail17trampoline_kernelINS0_13select_configILj256ELj13ELNS0_17block_load_methodE3ELS4_3ELS4_3ELNS0_20block_scan_algorithmE0ELj4294967295EEENS1_25partition_config_selectorILNS1_17partition_subalgoE4EjNS0_10empty_typeEbEEZZNS1_14partition_implILS8_4ELb0ES6_15HIP_vector_typeIjLj2EENS0_17counting_iteratorIjlEEPS9_SG_NS0_5tupleIJPjSI_NS0_16reverse_iteratorISI_EEEEENSH_IJSG_SG_SG_EEES9_SI_JZNS1_25segmented_radix_sort_implINS0_14default_configELb1EPKdPdPKlPlN2at6native12_GLOBAL__N_18offset_tEEE10hipError_tPvRmT1_PNSt15iterator_traitsIS12_E10value_typeET2_T3_PNS13_IS18_E10value_typeET4_jRbjT5_S1E_jjP12ihipStream_tbEUljE_ZNSN_ISO_Lb1ESQ_SR_ST_SU_SY_EESZ_S10_S11_S12_S16_S17_S18_S1B_S1C_jS1D_jS1E_S1E_jjS1G_bEUljE0_EEESZ_S10_S11_S18_S1C_S1E_T6_T7_T9_mT8_S1G_bDpT10_ENKUlT_T0_E_clISt17integral_constantIbLb1EES1U_EEDaS1P_S1Q_EUlS1P_E_NS1_11comp_targetILNS1_3genE2ELNS1_11target_archE906ELNS1_3gpuE6ELNS1_3repE0EEENS1_30default_config_static_selectorELNS0_4arch9wavefront6targetE1EEEvS12_
; %bb.0:
	s_endpgm
	.section	.rodata,"a",@progbits
	.p2align	6, 0x0
	.amdhsa_kernel _ZN7rocprim17ROCPRIM_400000_NS6detail17trampoline_kernelINS0_13select_configILj256ELj13ELNS0_17block_load_methodE3ELS4_3ELS4_3ELNS0_20block_scan_algorithmE0ELj4294967295EEENS1_25partition_config_selectorILNS1_17partition_subalgoE4EjNS0_10empty_typeEbEEZZNS1_14partition_implILS8_4ELb0ES6_15HIP_vector_typeIjLj2EENS0_17counting_iteratorIjlEEPS9_SG_NS0_5tupleIJPjSI_NS0_16reverse_iteratorISI_EEEEENSH_IJSG_SG_SG_EEES9_SI_JZNS1_25segmented_radix_sort_implINS0_14default_configELb1EPKdPdPKlPlN2at6native12_GLOBAL__N_18offset_tEEE10hipError_tPvRmT1_PNSt15iterator_traitsIS12_E10value_typeET2_T3_PNS13_IS18_E10value_typeET4_jRbjT5_S1E_jjP12ihipStream_tbEUljE_ZNSN_ISO_Lb1ESQ_SR_ST_SU_SY_EESZ_S10_S11_S12_S16_S17_S18_S1B_S1C_jS1D_jS1E_S1E_jjS1G_bEUljE0_EEESZ_S10_S11_S18_S1C_S1E_T6_T7_T9_mT8_S1G_bDpT10_ENKUlT_T0_E_clISt17integral_constantIbLb1EES1U_EEDaS1P_S1Q_EUlS1P_E_NS1_11comp_targetILNS1_3genE2ELNS1_11target_archE906ELNS1_3gpuE6ELNS1_3repE0EEENS1_30default_config_static_selectorELNS0_4arch9wavefront6targetE1EEEvS12_
		.amdhsa_group_segment_fixed_size 0
		.amdhsa_private_segment_fixed_size 0
		.amdhsa_kernarg_size 184
		.amdhsa_user_sgpr_count 6
		.amdhsa_user_sgpr_private_segment_buffer 1
		.amdhsa_user_sgpr_dispatch_ptr 0
		.amdhsa_user_sgpr_queue_ptr 0
		.amdhsa_user_sgpr_kernarg_segment_ptr 1
		.amdhsa_user_sgpr_dispatch_id 0
		.amdhsa_user_sgpr_flat_scratch_init 0
		.amdhsa_user_sgpr_private_segment_size 0
		.amdhsa_uses_dynamic_stack 0
		.amdhsa_system_sgpr_private_segment_wavefront_offset 0
		.amdhsa_system_sgpr_workgroup_id_x 1
		.amdhsa_system_sgpr_workgroup_id_y 0
		.amdhsa_system_sgpr_workgroup_id_z 0
		.amdhsa_system_sgpr_workgroup_info 0
		.amdhsa_system_vgpr_workitem_id 0
		.amdhsa_next_free_vgpr 1
		.amdhsa_next_free_sgpr 0
		.amdhsa_reserve_vcc 0
		.amdhsa_reserve_flat_scratch 0
		.amdhsa_float_round_mode_32 0
		.amdhsa_float_round_mode_16_64 0
		.amdhsa_float_denorm_mode_32 3
		.amdhsa_float_denorm_mode_16_64 3
		.amdhsa_dx10_clamp 1
		.amdhsa_ieee_mode 1
		.amdhsa_fp16_overflow 0
		.amdhsa_exception_fp_ieee_invalid_op 0
		.amdhsa_exception_fp_denorm_src 0
		.amdhsa_exception_fp_ieee_div_zero 0
		.amdhsa_exception_fp_ieee_overflow 0
		.amdhsa_exception_fp_ieee_underflow 0
		.amdhsa_exception_fp_ieee_inexact 0
		.amdhsa_exception_int_div_zero 0
	.end_amdhsa_kernel
	.section	.text._ZN7rocprim17ROCPRIM_400000_NS6detail17trampoline_kernelINS0_13select_configILj256ELj13ELNS0_17block_load_methodE3ELS4_3ELS4_3ELNS0_20block_scan_algorithmE0ELj4294967295EEENS1_25partition_config_selectorILNS1_17partition_subalgoE4EjNS0_10empty_typeEbEEZZNS1_14partition_implILS8_4ELb0ES6_15HIP_vector_typeIjLj2EENS0_17counting_iteratorIjlEEPS9_SG_NS0_5tupleIJPjSI_NS0_16reverse_iteratorISI_EEEEENSH_IJSG_SG_SG_EEES9_SI_JZNS1_25segmented_radix_sort_implINS0_14default_configELb1EPKdPdPKlPlN2at6native12_GLOBAL__N_18offset_tEEE10hipError_tPvRmT1_PNSt15iterator_traitsIS12_E10value_typeET2_T3_PNS13_IS18_E10value_typeET4_jRbjT5_S1E_jjP12ihipStream_tbEUljE_ZNSN_ISO_Lb1ESQ_SR_ST_SU_SY_EESZ_S10_S11_S12_S16_S17_S18_S1B_S1C_jS1D_jS1E_S1E_jjS1G_bEUljE0_EEESZ_S10_S11_S18_S1C_S1E_T6_T7_T9_mT8_S1G_bDpT10_ENKUlT_T0_E_clISt17integral_constantIbLb1EES1U_EEDaS1P_S1Q_EUlS1P_E_NS1_11comp_targetILNS1_3genE2ELNS1_11target_archE906ELNS1_3gpuE6ELNS1_3repE0EEENS1_30default_config_static_selectorELNS0_4arch9wavefront6targetE1EEEvS12_,"axG",@progbits,_ZN7rocprim17ROCPRIM_400000_NS6detail17trampoline_kernelINS0_13select_configILj256ELj13ELNS0_17block_load_methodE3ELS4_3ELS4_3ELNS0_20block_scan_algorithmE0ELj4294967295EEENS1_25partition_config_selectorILNS1_17partition_subalgoE4EjNS0_10empty_typeEbEEZZNS1_14partition_implILS8_4ELb0ES6_15HIP_vector_typeIjLj2EENS0_17counting_iteratorIjlEEPS9_SG_NS0_5tupleIJPjSI_NS0_16reverse_iteratorISI_EEEEENSH_IJSG_SG_SG_EEES9_SI_JZNS1_25segmented_radix_sort_implINS0_14default_configELb1EPKdPdPKlPlN2at6native12_GLOBAL__N_18offset_tEEE10hipError_tPvRmT1_PNSt15iterator_traitsIS12_E10value_typeET2_T3_PNS13_IS18_E10value_typeET4_jRbjT5_S1E_jjP12ihipStream_tbEUljE_ZNSN_ISO_Lb1ESQ_SR_ST_SU_SY_EESZ_S10_S11_S12_S16_S17_S18_S1B_S1C_jS1D_jS1E_S1E_jjS1G_bEUljE0_EEESZ_S10_S11_S18_S1C_S1E_T6_T7_T9_mT8_S1G_bDpT10_ENKUlT_T0_E_clISt17integral_constantIbLb1EES1U_EEDaS1P_S1Q_EUlS1P_E_NS1_11comp_targetILNS1_3genE2ELNS1_11target_archE906ELNS1_3gpuE6ELNS1_3repE0EEENS1_30default_config_static_selectorELNS0_4arch9wavefront6targetE1EEEvS12_,comdat
.Lfunc_end1066:
	.size	_ZN7rocprim17ROCPRIM_400000_NS6detail17trampoline_kernelINS0_13select_configILj256ELj13ELNS0_17block_load_methodE3ELS4_3ELS4_3ELNS0_20block_scan_algorithmE0ELj4294967295EEENS1_25partition_config_selectorILNS1_17partition_subalgoE4EjNS0_10empty_typeEbEEZZNS1_14partition_implILS8_4ELb0ES6_15HIP_vector_typeIjLj2EENS0_17counting_iteratorIjlEEPS9_SG_NS0_5tupleIJPjSI_NS0_16reverse_iteratorISI_EEEEENSH_IJSG_SG_SG_EEES9_SI_JZNS1_25segmented_radix_sort_implINS0_14default_configELb1EPKdPdPKlPlN2at6native12_GLOBAL__N_18offset_tEEE10hipError_tPvRmT1_PNSt15iterator_traitsIS12_E10value_typeET2_T3_PNS13_IS18_E10value_typeET4_jRbjT5_S1E_jjP12ihipStream_tbEUljE_ZNSN_ISO_Lb1ESQ_SR_ST_SU_SY_EESZ_S10_S11_S12_S16_S17_S18_S1B_S1C_jS1D_jS1E_S1E_jjS1G_bEUljE0_EEESZ_S10_S11_S18_S1C_S1E_T6_T7_T9_mT8_S1G_bDpT10_ENKUlT_T0_E_clISt17integral_constantIbLb1EES1U_EEDaS1P_S1Q_EUlS1P_E_NS1_11comp_targetILNS1_3genE2ELNS1_11target_archE906ELNS1_3gpuE6ELNS1_3repE0EEENS1_30default_config_static_selectorELNS0_4arch9wavefront6targetE1EEEvS12_, .Lfunc_end1066-_ZN7rocprim17ROCPRIM_400000_NS6detail17trampoline_kernelINS0_13select_configILj256ELj13ELNS0_17block_load_methodE3ELS4_3ELS4_3ELNS0_20block_scan_algorithmE0ELj4294967295EEENS1_25partition_config_selectorILNS1_17partition_subalgoE4EjNS0_10empty_typeEbEEZZNS1_14partition_implILS8_4ELb0ES6_15HIP_vector_typeIjLj2EENS0_17counting_iteratorIjlEEPS9_SG_NS0_5tupleIJPjSI_NS0_16reverse_iteratorISI_EEEEENSH_IJSG_SG_SG_EEES9_SI_JZNS1_25segmented_radix_sort_implINS0_14default_configELb1EPKdPdPKlPlN2at6native12_GLOBAL__N_18offset_tEEE10hipError_tPvRmT1_PNSt15iterator_traitsIS12_E10value_typeET2_T3_PNS13_IS18_E10value_typeET4_jRbjT5_S1E_jjP12ihipStream_tbEUljE_ZNSN_ISO_Lb1ESQ_SR_ST_SU_SY_EESZ_S10_S11_S12_S16_S17_S18_S1B_S1C_jS1D_jS1E_S1E_jjS1G_bEUljE0_EEESZ_S10_S11_S18_S1C_S1E_T6_T7_T9_mT8_S1G_bDpT10_ENKUlT_T0_E_clISt17integral_constantIbLb1EES1U_EEDaS1P_S1Q_EUlS1P_E_NS1_11comp_targetILNS1_3genE2ELNS1_11target_archE906ELNS1_3gpuE6ELNS1_3repE0EEENS1_30default_config_static_selectorELNS0_4arch9wavefront6targetE1EEEvS12_
                                        ; -- End function
	.set _ZN7rocprim17ROCPRIM_400000_NS6detail17trampoline_kernelINS0_13select_configILj256ELj13ELNS0_17block_load_methodE3ELS4_3ELS4_3ELNS0_20block_scan_algorithmE0ELj4294967295EEENS1_25partition_config_selectorILNS1_17partition_subalgoE4EjNS0_10empty_typeEbEEZZNS1_14partition_implILS8_4ELb0ES6_15HIP_vector_typeIjLj2EENS0_17counting_iteratorIjlEEPS9_SG_NS0_5tupleIJPjSI_NS0_16reverse_iteratorISI_EEEEENSH_IJSG_SG_SG_EEES9_SI_JZNS1_25segmented_radix_sort_implINS0_14default_configELb1EPKdPdPKlPlN2at6native12_GLOBAL__N_18offset_tEEE10hipError_tPvRmT1_PNSt15iterator_traitsIS12_E10value_typeET2_T3_PNS13_IS18_E10value_typeET4_jRbjT5_S1E_jjP12ihipStream_tbEUljE_ZNSN_ISO_Lb1ESQ_SR_ST_SU_SY_EESZ_S10_S11_S12_S16_S17_S18_S1B_S1C_jS1D_jS1E_S1E_jjS1G_bEUljE0_EEESZ_S10_S11_S18_S1C_S1E_T6_T7_T9_mT8_S1G_bDpT10_ENKUlT_T0_E_clISt17integral_constantIbLb1EES1U_EEDaS1P_S1Q_EUlS1P_E_NS1_11comp_targetILNS1_3genE2ELNS1_11target_archE906ELNS1_3gpuE6ELNS1_3repE0EEENS1_30default_config_static_selectorELNS0_4arch9wavefront6targetE1EEEvS12_.num_vgpr, 0
	.set _ZN7rocprim17ROCPRIM_400000_NS6detail17trampoline_kernelINS0_13select_configILj256ELj13ELNS0_17block_load_methodE3ELS4_3ELS4_3ELNS0_20block_scan_algorithmE0ELj4294967295EEENS1_25partition_config_selectorILNS1_17partition_subalgoE4EjNS0_10empty_typeEbEEZZNS1_14partition_implILS8_4ELb0ES6_15HIP_vector_typeIjLj2EENS0_17counting_iteratorIjlEEPS9_SG_NS0_5tupleIJPjSI_NS0_16reverse_iteratorISI_EEEEENSH_IJSG_SG_SG_EEES9_SI_JZNS1_25segmented_radix_sort_implINS0_14default_configELb1EPKdPdPKlPlN2at6native12_GLOBAL__N_18offset_tEEE10hipError_tPvRmT1_PNSt15iterator_traitsIS12_E10value_typeET2_T3_PNS13_IS18_E10value_typeET4_jRbjT5_S1E_jjP12ihipStream_tbEUljE_ZNSN_ISO_Lb1ESQ_SR_ST_SU_SY_EESZ_S10_S11_S12_S16_S17_S18_S1B_S1C_jS1D_jS1E_S1E_jjS1G_bEUljE0_EEESZ_S10_S11_S18_S1C_S1E_T6_T7_T9_mT8_S1G_bDpT10_ENKUlT_T0_E_clISt17integral_constantIbLb1EES1U_EEDaS1P_S1Q_EUlS1P_E_NS1_11comp_targetILNS1_3genE2ELNS1_11target_archE906ELNS1_3gpuE6ELNS1_3repE0EEENS1_30default_config_static_selectorELNS0_4arch9wavefront6targetE1EEEvS12_.num_agpr, 0
	.set _ZN7rocprim17ROCPRIM_400000_NS6detail17trampoline_kernelINS0_13select_configILj256ELj13ELNS0_17block_load_methodE3ELS4_3ELS4_3ELNS0_20block_scan_algorithmE0ELj4294967295EEENS1_25partition_config_selectorILNS1_17partition_subalgoE4EjNS0_10empty_typeEbEEZZNS1_14partition_implILS8_4ELb0ES6_15HIP_vector_typeIjLj2EENS0_17counting_iteratorIjlEEPS9_SG_NS0_5tupleIJPjSI_NS0_16reverse_iteratorISI_EEEEENSH_IJSG_SG_SG_EEES9_SI_JZNS1_25segmented_radix_sort_implINS0_14default_configELb1EPKdPdPKlPlN2at6native12_GLOBAL__N_18offset_tEEE10hipError_tPvRmT1_PNSt15iterator_traitsIS12_E10value_typeET2_T3_PNS13_IS18_E10value_typeET4_jRbjT5_S1E_jjP12ihipStream_tbEUljE_ZNSN_ISO_Lb1ESQ_SR_ST_SU_SY_EESZ_S10_S11_S12_S16_S17_S18_S1B_S1C_jS1D_jS1E_S1E_jjS1G_bEUljE0_EEESZ_S10_S11_S18_S1C_S1E_T6_T7_T9_mT8_S1G_bDpT10_ENKUlT_T0_E_clISt17integral_constantIbLb1EES1U_EEDaS1P_S1Q_EUlS1P_E_NS1_11comp_targetILNS1_3genE2ELNS1_11target_archE906ELNS1_3gpuE6ELNS1_3repE0EEENS1_30default_config_static_selectorELNS0_4arch9wavefront6targetE1EEEvS12_.numbered_sgpr, 0
	.set _ZN7rocprim17ROCPRIM_400000_NS6detail17trampoline_kernelINS0_13select_configILj256ELj13ELNS0_17block_load_methodE3ELS4_3ELS4_3ELNS0_20block_scan_algorithmE0ELj4294967295EEENS1_25partition_config_selectorILNS1_17partition_subalgoE4EjNS0_10empty_typeEbEEZZNS1_14partition_implILS8_4ELb0ES6_15HIP_vector_typeIjLj2EENS0_17counting_iteratorIjlEEPS9_SG_NS0_5tupleIJPjSI_NS0_16reverse_iteratorISI_EEEEENSH_IJSG_SG_SG_EEES9_SI_JZNS1_25segmented_radix_sort_implINS0_14default_configELb1EPKdPdPKlPlN2at6native12_GLOBAL__N_18offset_tEEE10hipError_tPvRmT1_PNSt15iterator_traitsIS12_E10value_typeET2_T3_PNS13_IS18_E10value_typeET4_jRbjT5_S1E_jjP12ihipStream_tbEUljE_ZNSN_ISO_Lb1ESQ_SR_ST_SU_SY_EESZ_S10_S11_S12_S16_S17_S18_S1B_S1C_jS1D_jS1E_S1E_jjS1G_bEUljE0_EEESZ_S10_S11_S18_S1C_S1E_T6_T7_T9_mT8_S1G_bDpT10_ENKUlT_T0_E_clISt17integral_constantIbLb1EES1U_EEDaS1P_S1Q_EUlS1P_E_NS1_11comp_targetILNS1_3genE2ELNS1_11target_archE906ELNS1_3gpuE6ELNS1_3repE0EEENS1_30default_config_static_selectorELNS0_4arch9wavefront6targetE1EEEvS12_.num_named_barrier, 0
	.set _ZN7rocprim17ROCPRIM_400000_NS6detail17trampoline_kernelINS0_13select_configILj256ELj13ELNS0_17block_load_methodE3ELS4_3ELS4_3ELNS0_20block_scan_algorithmE0ELj4294967295EEENS1_25partition_config_selectorILNS1_17partition_subalgoE4EjNS0_10empty_typeEbEEZZNS1_14partition_implILS8_4ELb0ES6_15HIP_vector_typeIjLj2EENS0_17counting_iteratorIjlEEPS9_SG_NS0_5tupleIJPjSI_NS0_16reverse_iteratorISI_EEEEENSH_IJSG_SG_SG_EEES9_SI_JZNS1_25segmented_radix_sort_implINS0_14default_configELb1EPKdPdPKlPlN2at6native12_GLOBAL__N_18offset_tEEE10hipError_tPvRmT1_PNSt15iterator_traitsIS12_E10value_typeET2_T3_PNS13_IS18_E10value_typeET4_jRbjT5_S1E_jjP12ihipStream_tbEUljE_ZNSN_ISO_Lb1ESQ_SR_ST_SU_SY_EESZ_S10_S11_S12_S16_S17_S18_S1B_S1C_jS1D_jS1E_S1E_jjS1G_bEUljE0_EEESZ_S10_S11_S18_S1C_S1E_T6_T7_T9_mT8_S1G_bDpT10_ENKUlT_T0_E_clISt17integral_constantIbLb1EES1U_EEDaS1P_S1Q_EUlS1P_E_NS1_11comp_targetILNS1_3genE2ELNS1_11target_archE906ELNS1_3gpuE6ELNS1_3repE0EEENS1_30default_config_static_selectorELNS0_4arch9wavefront6targetE1EEEvS12_.private_seg_size, 0
	.set _ZN7rocprim17ROCPRIM_400000_NS6detail17trampoline_kernelINS0_13select_configILj256ELj13ELNS0_17block_load_methodE3ELS4_3ELS4_3ELNS0_20block_scan_algorithmE0ELj4294967295EEENS1_25partition_config_selectorILNS1_17partition_subalgoE4EjNS0_10empty_typeEbEEZZNS1_14partition_implILS8_4ELb0ES6_15HIP_vector_typeIjLj2EENS0_17counting_iteratorIjlEEPS9_SG_NS0_5tupleIJPjSI_NS0_16reverse_iteratorISI_EEEEENSH_IJSG_SG_SG_EEES9_SI_JZNS1_25segmented_radix_sort_implINS0_14default_configELb1EPKdPdPKlPlN2at6native12_GLOBAL__N_18offset_tEEE10hipError_tPvRmT1_PNSt15iterator_traitsIS12_E10value_typeET2_T3_PNS13_IS18_E10value_typeET4_jRbjT5_S1E_jjP12ihipStream_tbEUljE_ZNSN_ISO_Lb1ESQ_SR_ST_SU_SY_EESZ_S10_S11_S12_S16_S17_S18_S1B_S1C_jS1D_jS1E_S1E_jjS1G_bEUljE0_EEESZ_S10_S11_S18_S1C_S1E_T6_T7_T9_mT8_S1G_bDpT10_ENKUlT_T0_E_clISt17integral_constantIbLb1EES1U_EEDaS1P_S1Q_EUlS1P_E_NS1_11comp_targetILNS1_3genE2ELNS1_11target_archE906ELNS1_3gpuE6ELNS1_3repE0EEENS1_30default_config_static_selectorELNS0_4arch9wavefront6targetE1EEEvS12_.uses_vcc, 0
	.set _ZN7rocprim17ROCPRIM_400000_NS6detail17trampoline_kernelINS0_13select_configILj256ELj13ELNS0_17block_load_methodE3ELS4_3ELS4_3ELNS0_20block_scan_algorithmE0ELj4294967295EEENS1_25partition_config_selectorILNS1_17partition_subalgoE4EjNS0_10empty_typeEbEEZZNS1_14partition_implILS8_4ELb0ES6_15HIP_vector_typeIjLj2EENS0_17counting_iteratorIjlEEPS9_SG_NS0_5tupleIJPjSI_NS0_16reverse_iteratorISI_EEEEENSH_IJSG_SG_SG_EEES9_SI_JZNS1_25segmented_radix_sort_implINS0_14default_configELb1EPKdPdPKlPlN2at6native12_GLOBAL__N_18offset_tEEE10hipError_tPvRmT1_PNSt15iterator_traitsIS12_E10value_typeET2_T3_PNS13_IS18_E10value_typeET4_jRbjT5_S1E_jjP12ihipStream_tbEUljE_ZNSN_ISO_Lb1ESQ_SR_ST_SU_SY_EESZ_S10_S11_S12_S16_S17_S18_S1B_S1C_jS1D_jS1E_S1E_jjS1G_bEUljE0_EEESZ_S10_S11_S18_S1C_S1E_T6_T7_T9_mT8_S1G_bDpT10_ENKUlT_T0_E_clISt17integral_constantIbLb1EES1U_EEDaS1P_S1Q_EUlS1P_E_NS1_11comp_targetILNS1_3genE2ELNS1_11target_archE906ELNS1_3gpuE6ELNS1_3repE0EEENS1_30default_config_static_selectorELNS0_4arch9wavefront6targetE1EEEvS12_.uses_flat_scratch, 0
	.set _ZN7rocprim17ROCPRIM_400000_NS6detail17trampoline_kernelINS0_13select_configILj256ELj13ELNS0_17block_load_methodE3ELS4_3ELS4_3ELNS0_20block_scan_algorithmE0ELj4294967295EEENS1_25partition_config_selectorILNS1_17partition_subalgoE4EjNS0_10empty_typeEbEEZZNS1_14partition_implILS8_4ELb0ES6_15HIP_vector_typeIjLj2EENS0_17counting_iteratorIjlEEPS9_SG_NS0_5tupleIJPjSI_NS0_16reverse_iteratorISI_EEEEENSH_IJSG_SG_SG_EEES9_SI_JZNS1_25segmented_radix_sort_implINS0_14default_configELb1EPKdPdPKlPlN2at6native12_GLOBAL__N_18offset_tEEE10hipError_tPvRmT1_PNSt15iterator_traitsIS12_E10value_typeET2_T3_PNS13_IS18_E10value_typeET4_jRbjT5_S1E_jjP12ihipStream_tbEUljE_ZNSN_ISO_Lb1ESQ_SR_ST_SU_SY_EESZ_S10_S11_S12_S16_S17_S18_S1B_S1C_jS1D_jS1E_S1E_jjS1G_bEUljE0_EEESZ_S10_S11_S18_S1C_S1E_T6_T7_T9_mT8_S1G_bDpT10_ENKUlT_T0_E_clISt17integral_constantIbLb1EES1U_EEDaS1P_S1Q_EUlS1P_E_NS1_11comp_targetILNS1_3genE2ELNS1_11target_archE906ELNS1_3gpuE6ELNS1_3repE0EEENS1_30default_config_static_selectorELNS0_4arch9wavefront6targetE1EEEvS12_.has_dyn_sized_stack, 0
	.set _ZN7rocprim17ROCPRIM_400000_NS6detail17trampoline_kernelINS0_13select_configILj256ELj13ELNS0_17block_load_methodE3ELS4_3ELS4_3ELNS0_20block_scan_algorithmE0ELj4294967295EEENS1_25partition_config_selectorILNS1_17partition_subalgoE4EjNS0_10empty_typeEbEEZZNS1_14partition_implILS8_4ELb0ES6_15HIP_vector_typeIjLj2EENS0_17counting_iteratorIjlEEPS9_SG_NS0_5tupleIJPjSI_NS0_16reverse_iteratorISI_EEEEENSH_IJSG_SG_SG_EEES9_SI_JZNS1_25segmented_radix_sort_implINS0_14default_configELb1EPKdPdPKlPlN2at6native12_GLOBAL__N_18offset_tEEE10hipError_tPvRmT1_PNSt15iterator_traitsIS12_E10value_typeET2_T3_PNS13_IS18_E10value_typeET4_jRbjT5_S1E_jjP12ihipStream_tbEUljE_ZNSN_ISO_Lb1ESQ_SR_ST_SU_SY_EESZ_S10_S11_S12_S16_S17_S18_S1B_S1C_jS1D_jS1E_S1E_jjS1G_bEUljE0_EEESZ_S10_S11_S18_S1C_S1E_T6_T7_T9_mT8_S1G_bDpT10_ENKUlT_T0_E_clISt17integral_constantIbLb1EES1U_EEDaS1P_S1Q_EUlS1P_E_NS1_11comp_targetILNS1_3genE2ELNS1_11target_archE906ELNS1_3gpuE6ELNS1_3repE0EEENS1_30default_config_static_selectorELNS0_4arch9wavefront6targetE1EEEvS12_.has_recursion, 0
	.set _ZN7rocprim17ROCPRIM_400000_NS6detail17trampoline_kernelINS0_13select_configILj256ELj13ELNS0_17block_load_methodE3ELS4_3ELS4_3ELNS0_20block_scan_algorithmE0ELj4294967295EEENS1_25partition_config_selectorILNS1_17partition_subalgoE4EjNS0_10empty_typeEbEEZZNS1_14partition_implILS8_4ELb0ES6_15HIP_vector_typeIjLj2EENS0_17counting_iteratorIjlEEPS9_SG_NS0_5tupleIJPjSI_NS0_16reverse_iteratorISI_EEEEENSH_IJSG_SG_SG_EEES9_SI_JZNS1_25segmented_radix_sort_implINS0_14default_configELb1EPKdPdPKlPlN2at6native12_GLOBAL__N_18offset_tEEE10hipError_tPvRmT1_PNSt15iterator_traitsIS12_E10value_typeET2_T3_PNS13_IS18_E10value_typeET4_jRbjT5_S1E_jjP12ihipStream_tbEUljE_ZNSN_ISO_Lb1ESQ_SR_ST_SU_SY_EESZ_S10_S11_S12_S16_S17_S18_S1B_S1C_jS1D_jS1E_S1E_jjS1G_bEUljE0_EEESZ_S10_S11_S18_S1C_S1E_T6_T7_T9_mT8_S1G_bDpT10_ENKUlT_T0_E_clISt17integral_constantIbLb1EES1U_EEDaS1P_S1Q_EUlS1P_E_NS1_11comp_targetILNS1_3genE2ELNS1_11target_archE906ELNS1_3gpuE6ELNS1_3repE0EEENS1_30default_config_static_selectorELNS0_4arch9wavefront6targetE1EEEvS12_.has_indirect_call, 0
	.section	.AMDGPU.csdata,"",@progbits
; Kernel info:
; codeLenInByte = 4
; TotalNumSgprs: 4
; NumVgprs: 0
; ScratchSize: 0
; MemoryBound: 0
; FloatMode: 240
; IeeeMode: 1
; LDSByteSize: 0 bytes/workgroup (compile time only)
; SGPRBlocks: 0
; VGPRBlocks: 0
; NumSGPRsForWavesPerEU: 4
; NumVGPRsForWavesPerEU: 1
; Occupancy: 10
; WaveLimiterHint : 0
; COMPUTE_PGM_RSRC2:SCRATCH_EN: 0
; COMPUTE_PGM_RSRC2:USER_SGPR: 6
; COMPUTE_PGM_RSRC2:TRAP_HANDLER: 0
; COMPUTE_PGM_RSRC2:TGID_X_EN: 1
; COMPUTE_PGM_RSRC2:TGID_Y_EN: 0
; COMPUTE_PGM_RSRC2:TGID_Z_EN: 0
; COMPUTE_PGM_RSRC2:TIDIG_COMP_CNT: 0
	.section	.text._ZN7rocprim17ROCPRIM_400000_NS6detail17trampoline_kernelINS0_13select_configILj256ELj13ELNS0_17block_load_methodE3ELS4_3ELS4_3ELNS0_20block_scan_algorithmE0ELj4294967295EEENS1_25partition_config_selectorILNS1_17partition_subalgoE4EjNS0_10empty_typeEbEEZZNS1_14partition_implILS8_4ELb0ES6_15HIP_vector_typeIjLj2EENS0_17counting_iteratorIjlEEPS9_SG_NS0_5tupleIJPjSI_NS0_16reverse_iteratorISI_EEEEENSH_IJSG_SG_SG_EEES9_SI_JZNS1_25segmented_radix_sort_implINS0_14default_configELb1EPKdPdPKlPlN2at6native12_GLOBAL__N_18offset_tEEE10hipError_tPvRmT1_PNSt15iterator_traitsIS12_E10value_typeET2_T3_PNS13_IS18_E10value_typeET4_jRbjT5_S1E_jjP12ihipStream_tbEUljE_ZNSN_ISO_Lb1ESQ_SR_ST_SU_SY_EESZ_S10_S11_S12_S16_S17_S18_S1B_S1C_jS1D_jS1E_S1E_jjS1G_bEUljE0_EEESZ_S10_S11_S18_S1C_S1E_T6_T7_T9_mT8_S1G_bDpT10_ENKUlT_T0_E_clISt17integral_constantIbLb1EES1U_EEDaS1P_S1Q_EUlS1P_E_NS1_11comp_targetILNS1_3genE10ELNS1_11target_archE1200ELNS1_3gpuE4ELNS1_3repE0EEENS1_30default_config_static_selectorELNS0_4arch9wavefront6targetE1EEEvS12_,"axG",@progbits,_ZN7rocprim17ROCPRIM_400000_NS6detail17trampoline_kernelINS0_13select_configILj256ELj13ELNS0_17block_load_methodE3ELS4_3ELS4_3ELNS0_20block_scan_algorithmE0ELj4294967295EEENS1_25partition_config_selectorILNS1_17partition_subalgoE4EjNS0_10empty_typeEbEEZZNS1_14partition_implILS8_4ELb0ES6_15HIP_vector_typeIjLj2EENS0_17counting_iteratorIjlEEPS9_SG_NS0_5tupleIJPjSI_NS0_16reverse_iteratorISI_EEEEENSH_IJSG_SG_SG_EEES9_SI_JZNS1_25segmented_radix_sort_implINS0_14default_configELb1EPKdPdPKlPlN2at6native12_GLOBAL__N_18offset_tEEE10hipError_tPvRmT1_PNSt15iterator_traitsIS12_E10value_typeET2_T3_PNS13_IS18_E10value_typeET4_jRbjT5_S1E_jjP12ihipStream_tbEUljE_ZNSN_ISO_Lb1ESQ_SR_ST_SU_SY_EESZ_S10_S11_S12_S16_S17_S18_S1B_S1C_jS1D_jS1E_S1E_jjS1G_bEUljE0_EEESZ_S10_S11_S18_S1C_S1E_T6_T7_T9_mT8_S1G_bDpT10_ENKUlT_T0_E_clISt17integral_constantIbLb1EES1U_EEDaS1P_S1Q_EUlS1P_E_NS1_11comp_targetILNS1_3genE10ELNS1_11target_archE1200ELNS1_3gpuE4ELNS1_3repE0EEENS1_30default_config_static_selectorELNS0_4arch9wavefront6targetE1EEEvS12_,comdat
	.globl	_ZN7rocprim17ROCPRIM_400000_NS6detail17trampoline_kernelINS0_13select_configILj256ELj13ELNS0_17block_load_methodE3ELS4_3ELS4_3ELNS0_20block_scan_algorithmE0ELj4294967295EEENS1_25partition_config_selectorILNS1_17partition_subalgoE4EjNS0_10empty_typeEbEEZZNS1_14partition_implILS8_4ELb0ES6_15HIP_vector_typeIjLj2EENS0_17counting_iteratorIjlEEPS9_SG_NS0_5tupleIJPjSI_NS0_16reverse_iteratorISI_EEEEENSH_IJSG_SG_SG_EEES9_SI_JZNS1_25segmented_radix_sort_implINS0_14default_configELb1EPKdPdPKlPlN2at6native12_GLOBAL__N_18offset_tEEE10hipError_tPvRmT1_PNSt15iterator_traitsIS12_E10value_typeET2_T3_PNS13_IS18_E10value_typeET4_jRbjT5_S1E_jjP12ihipStream_tbEUljE_ZNSN_ISO_Lb1ESQ_SR_ST_SU_SY_EESZ_S10_S11_S12_S16_S17_S18_S1B_S1C_jS1D_jS1E_S1E_jjS1G_bEUljE0_EEESZ_S10_S11_S18_S1C_S1E_T6_T7_T9_mT8_S1G_bDpT10_ENKUlT_T0_E_clISt17integral_constantIbLb1EES1U_EEDaS1P_S1Q_EUlS1P_E_NS1_11comp_targetILNS1_3genE10ELNS1_11target_archE1200ELNS1_3gpuE4ELNS1_3repE0EEENS1_30default_config_static_selectorELNS0_4arch9wavefront6targetE1EEEvS12_ ; -- Begin function _ZN7rocprim17ROCPRIM_400000_NS6detail17trampoline_kernelINS0_13select_configILj256ELj13ELNS0_17block_load_methodE3ELS4_3ELS4_3ELNS0_20block_scan_algorithmE0ELj4294967295EEENS1_25partition_config_selectorILNS1_17partition_subalgoE4EjNS0_10empty_typeEbEEZZNS1_14partition_implILS8_4ELb0ES6_15HIP_vector_typeIjLj2EENS0_17counting_iteratorIjlEEPS9_SG_NS0_5tupleIJPjSI_NS0_16reverse_iteratorISI_EEEEENSH_IJSG_SG_SG_EEES9_SI_JZNS1_25segmented_radix_sort_implINS0_14default_configELb1EPKdPdPKlPlN2at6native12_GLOBAL__N_18offset_tEEE10hipError_tPvRmT1_PNSt15iterator_traitsIS12_E10value_typeET2_T3_PNS13_IS18_E10value_typeET4_jRbjT5_S1E_jjP12ihipStream_tbEUljE_ZNSN_ISO_Lb1ESQ_SR_ST_SU_SY_EESZ_S10_S11_S12_S16_S17_S18_S1B_S1C_jS1D_jS1E_S1E_jjS1G_bEUljE0_EEESZ_S10_S11_S18_S1C_S1E_T6_T7_T9_mT8_S1G_bDpT10_ENKUlT_T0_E_clISt17integral_constantIbLb1EES1U_EEDaS1P_S1Q_EUlS1P_E_NS1_11comp_targetILNS1_3genE10ELNS1_11target_archE1200ELNS1_3gpuE4ELNS1_3repE0EEENS1_30default_config_static_selectorELNS0_4arch9wavefront6targetE1EEEvS12_
	.p2align	8
	.type	_ZN7rocprim17ROCPRIM_400000_NS6detail17trampoline_kernelINS0_13select_configILj256ELj13ELNS0_17block_load_methodE3ELS4_3ELS4_3ELNS0_20block_scan_algorithmE0ELj4294967295EEENS1_25partition_config_selectorILNS1_17partition_subalgoE4EjNS0_10empty_typeEbEEZZNS1_14partition_implILS8_4ELb0ES6_15HIP_vector_typeIjLj2EENS0_17counting_iteratorIjlEEPS9_SG_NS0_5tupleIJPjSI_NS0_16reverse_iteratorISI_EEEEENSH_IJSG_SG_SG_EEES9_SI_JZNS1_25segmented_radix_sort_implINS0_14default_configELb1EPKdPdPKlPlN2at6native12_GLOBAL__N_18offset_tEEE10hipError_tPvRmT1_PNSt15iterator_traitsIS12_E10value_typeET2_T3_PNS13_IS18_E10value_typeET4_jRbjT5_S1E_jjP12ihipStream_tbEUljE_ZNSN_ISO_Lb1ESQ_SR_ST_SU_SY_EESZ_S10_S11_S12_S16_S17_S18_S1B_S1C_jS1D_jS1E_S1E_jjS1G_bEUljE0_EEESZ_S10_S11_S18_S1C_S1E_T6_T7_T9_mT8_S1G_bDpT10_ENKUlT_T0_E_clISt17integral_constantIbLb1EES1U_EEDaS1P_S1Q_EUlS1P_E_NS1_11comp_targetILNS1_3genE10ELNS1_11target_archE1200ELNS1_3gpuE4ELNS1_3repE0EEENS1_30default_config_static_selectorELNS0_4arch9wavefront6targetE1EEEvS12_,@function
_ZN7rocprim17ROCPRIM_400000_NS6detail17trampoline_kernelINS0_13select_configILj256ELj13ELNS0_17block_load_methodE3ELS4_3ELS4_3ELNS0_20block_scan_algorithmE0ELj4294967295EEENS1_25partition_config_selectorILNS1_17partition_subalgoE4EjNS0_10empty_typeEbEEZZNS1_14partition_implILS8_4ELb0ES6_15HIP_vector_typeIjLj2EENS0_17counting_iteratorIjlEEPS9_SG_NS0_5tupleIJPjSI_NS0_16reverse_iteratorISI_EEEEENSH_IJSG_SG_SG_EEES9_SI_JZNS1_25segmented_radix_sort_implINS0_14default_configELb1EPKdPdPKlPlN2at6native12_GLOBAL__N_18offset_tEEE10hipError_tPvRmT1_PNSt15iterator_traitsIS12_E10value_typeET2_T3_PNS13_IS18_E10value_typeET4_jRbjT5_S1E_jjP12ihipStream_tbEUljE_ZNSN_ISO_Lb1ESQ_SR_ST_SU_SY_EESZ_S10_S11_S12_S16_S17_S18_S1B_S1C_jS1D_jS1E_S1E_jjS1G_bEUljE0_EEESZ_S10_S11_S18_S1C_S1E_T6_T7_T9_mT8_S1G_bDpT10_ENKUlT_T0_E_clISt17integral_constantIbLb1EES1U_EEDaS1P_S1Q_EUlS1P_E_NS1_11comp_targetILNS1_3genE10ELNS1_11target_archE1200ELNS1_3gpuE4ELNS1_3repE0EEENS1_30default_config_static_selectorELNS0_4arch9wavefront6targetE1EEEvS12_: ; @_ZN7rocprim17ROCPRIM_400000_NS6detail17trampoline_kernelINS0_13select_configILj256ELj13ELNS0_17block_load_methodE3ELS4_3ELS4_3ELNS0_20block_scan_algorithmE0ELj4294967295EEENS1_25partition_config_selectorILNS1_17partition_subalgoE4EjNS0_10empty_typeEbEEZZNS1_14partition_implILS8_4ELb0ES6_15HIP_vector_typeIjLj2EENS0_17counting_iteratorIjlEEPS9_SG_NS0_5tupleIJPjSI_NS0_16reverse_iteratorISI_EEEEENSH_IJSG_SG_SG_EEES9_SI_JZNS1_25segmented_radix_sort_implINS0_14default_configELb1EPKdPdPKlPlN2at6native12_GLOBAL__N_18offset_tEEE10hipError_tPvRmT1_PNSt15iterator_traitsIS12_E10value_typeET2_T3_PNS13_IS18_E10value_typeET4_jRbjT5_S1E_jjP12ihipStream_tbEUljE_ZNSN_ISO_Lb1ESQ_SR_ST_SU_SY_EESZ_S10_S11_S12_S16_S17_S18_S1B_S1C_jS1D_jS1E_S1E_jjS1G_bEUljE0_EEESZ_S10_S11_S18_S1C_S1E_T6_T7_T9_mT8_S1G_bDpT10_ENKUlT_T0_E_clISt17integral_constantIbLb1EES1U_EEDaS1P_S1Q_EUlS1P_E_NS1_11comp_targetILNS1_3genE10ELNS1_11target_archE1200ELNS1_3gpuE4ELNS1_3repE0EEENS1_30default_config_static_selectorELNS0_4arch9wavefront6targetE1EEEvS12_
; %bb.0:
	.section	.rodata,"a",@progbits
	.p2align	6, 0x0
	.amdhsa_kernel _ZN7rocprim17ROCPRIM_400000_NS6detail17trampoline_kernelINS0_13select_configILj256ELj13ELNS0_17block_load_methodE3ELS4_3ELS4_3ELNS0_20block_scan_algorithmE0ELj4294967295EEENS1_25partition_config_selectorILNS1_17partition_subalgoE4EjNS0_10empty_typeEbEEZZNS1_14partition_implILS8_4ELb0ES6_15HIP_vector_typeIjLj2EENS0_17counting_iteratorIjlEEPS9_SG_NS0_5tupleIJPjSI_NS0_16reverse_iteratorISI_EEEEENSH_IJSG_SG_SG_EEES9_SI_JZNS1_25segmented_radix_sort_implINS0_14default_configELb1EPKdPdPKlPlN2at6native12_GLOBAL__N_18offset_tEEE10hipError_tPvRmT1_PNSt15iterator_traitsIS12_E10value_typeET2_T3_PNS13_IS18_E10value_typeET4_jRbjT5_S1E_jjP12ihipStream_tbEUljE_ZNSN_ISO_Lb1ESQ_SR_ST_SU_SY_EESZ_S10_S11_S12_S16_S17_S18_S1B_S1C_jS1D_jS1E_S1E_jjS1G_bEUljE0_EEESZ_S10_S11_S18_S1C_S1E_T6_T7_T9_mT8_S1G_bDpT10_ENKUlT_T0_E_clISt17integral_constantIbLb1EES1U_EEDaS1P_S1Q_EUlS1P_E_NS1_11comp_targetILNS1_3genE10ELNS1_11target_archE1200ELNS1_3gpuE4ELNS1_3repE0EEENS1_30default_config_static_selectorELNS0_4arch9wavefront6targetE1EEEvS12_
		.amdhsa_group_segment_fixed_size 0
		.amdhsa_private_segment_fixed_size 0
		.amdhsa_kernarg_size 184
		.amdhsa_user_sgpr_count 6
		.amdhsa_user_sgpr_private_segment_buffer 1
		.amdhsa_user_sgpr_dispatch_ptr 0
		.amdhsa_user_sgpr_queue_ptr 0
		.amdhsa_user_sgpr_kernarg_segment_ptr 1
		.amdhsa_user_sgpr_dispatch_id 0
		.amdhsa_user_sgpr_flat_scratch_init 0
		.amdhsa_user_sgpr_private_segment_size 0
		.amdhsa_uses_dynamic_stack 0
		.amdhsa_system_sgpr_private_segment_wavefront_offset 0
		.amdhsa_system_sgpr_workgroup_id_x 1
		.amdhsa_system_sgpr_workgroup_id_y 0
		.amdhsa_system_sgpr_workgroup_id_z 0
		.amdhsa_system_sgpr_workgroup_info 0
		.amdhsa_system_vgpr_workitem_id 0
		.amdhsa_next_free_vgpr 1
		.amdhsa_next_free_sgpr 0
		.amdhsa_reserve_vcc 0
		.amdhsa_reserve_flat_scratch 0
		.amdhsa_float_round_mode_32 0
		.amdhsa_float_round_mode_16_64 0
		.amdhsa_float_denorm_mode_32 3
		.amdhsa_float_denorm_mode_16_64 3
		.amdhsa_dx10_clamp 1
		.amdhsa_ieee_mode 1
		.amdhsa_fp16_overflow 0
		.amdhsa_exception_fp_ieee_invalid_op 0
		.amdhsa_exception_fp_denorm_src 0
		.amdhsa_exception_fp_ieee_div_zero 0
		.amdhsa_exception_fp_ieee_overflow 0
		.amdhsa_exception_fp_ieee_underflow 0
		.amdhsa_exception_fp_ieee_inexact 0
		.amdhsa_exception_int_div_zero 0
	.end_amdhsa_kernel
	.section	.text._ZN7rocprim17ROCPRIM_400000_NS6detail17trampoline_kernelINS0_13select_configILj256ELj13ELNS0_17block_load_methodE3ELS4_3ELS4_3ELNS0_20block_scan_algorithmE0ELj4294967295EEENS1_25partition_config_selectorILNS1_17partition_subalgoE4EjNS0_10empty_typeEbEEZZNS1_14partition_implILS8_4ELb0ES6_15HIP_vector_typeIjLj2EENS0_17counting_iteratorIjlEEPS9_SG_NS0_5tupleIJPjSI_NS0_16reverse_iteratorISI_EEEEENSH_IJSG_SG_SG_EEES9_SI_JZNS1_25segmented_radix_sort_implINS0_14default_configELb1EPKdPdPKlPlN2at6native12_GLOBAL__N_18offset_tEEE10hipError_tPvRmT1_PNSt15iterator_traitsIS12_E10value_typeET2_T3_PNS13_IS18_E10value_typeET4_jRbjT5_S1E_jjP12ihipStream_tbEUljE_ZNSN_ISO_Lb1ESQ_SR_ST_SU_SY_EESZ_S10_S11_S12_S16_S17_S18_S1B_S1C_jS1D_jS1E_S1E_jjS1G_bEUljE0_EEESZ_S10_S11_S18_S1C_S1E_T6_T7_T9_mT8_S1G_bDpT10_ENKUlT_T0_E_clISt17integral_constantIbLb1EES1U_EEDaS1P_S1Q_EUlS1P_E_NS1_11comp_targetILNS1_3genE10ELNS1_11target_archE1200ELNS1_3gpuE4ELNS1_3repE0EEENS1_30default_config_static_selectorELNS0_4arch9wavefront6targetE1EEEvS12_,"axG",@progbits,_ZN7rocprim17ROCPRIM_400000_NS6detail17trampoline_kernelINS0_13select_configILj256ELj13ELNS0_17block_load_methodE3ELS4_3ELS4_3ELNS0_20block_scan_algorithmE0ELj4294967295EEENS1_25partition_config_selectorILNS1_17partition_subalgoE4EjNS0_10empty_typeEbEEZZNS1_14partition_implILS8_4ELb0ES6_15HIP_vector_typeIjLj2EENS0_17counting_iteratorIjlEEPS9_SG_NS0_5tupleIJPjSI_NS0_16reverse_iteratorISI_EEEEENSH_IJSG_SG_SG_EEES9_SI_JZNS1_25segmented_radix_sort_implINS0_14default_configELb1EPKdPdPKlPlN2at6native12_GLOBAL__N_18offset_tEEE10hipError_tPvRmT1_PNSt15iterator_traitsIS12_E10value_typeET2_T3_PNS13_IS18_E10value_typeET4_jRbjT5_S1E_jjP12ihipStream_tbEUljE_ZNSN_ISO_Lb1ESQ_SR_ST_SU_SY_EESZ_S10_S11_S12_S16_S17_S18_S1B_S1C_jS1D_jS1E_S1E_jjS1G_bEUljE0_EEESZ_S10_S11_S18_S1C_S1E_T6_T7_T9_mT8_S1G_bDpT10_ENKUlT_T0_E_clISt17integral_constantIbLb1EES1U_EEDaS1P_S1Q_EUlS1P_E_NS1_11comp_targetILNS1_3genE10ELNS1_11target_archE1200ELNS1_3gpuE4ELNS1_3repE0EEENS1_30default_config_static_selectorELNS0_4arch9wavefront6targetE1EEEvS12_,comdat
.Lfunc_end1067:
	.size	_ZN7rocprim17ROCPRIM_400000_NS6detail17trampoline_kernelINS0_13select_configILj256ELj13ELNS0_17block_load_methodE3ELS4_3ELS4_3ELNS0_20block_scan_algorithmE0ELj4294967295EEENS1_25partition_config_selectorILNS1_17partition_subalgoE4EjNS0_10empty_typeEbEEZZNS1_14partition_implILS8_4ELb0ES6_15HIP_vector_typeIjLj2EENS0_17counting_iteratorIjlEEPS9_SG_NS0_5tupleIJPjSI_NS0_16reverse_iteratorISI_EEEEENSH_IJSG_SG_SG_EEES9_SI_JZNS1_25segmented_radix_sort_implINS0_14default_configELb1EPKdPdPKlPlN2at6native12_GLOBAL__N_18offset_tEEE10hipError_tPvRmT1_PNSt15iterator_traitsIS12_E10value_typeET2_T3_PNS13_IS18_E10value_typeET4_jRbjT5_S1E_jjP12ihipStream_tbEUljE_ZNSN_ISO_Lb1ESQ_SR_ST_SU_SY_EESZ_S10_S11_S12_S16_S17_S18_S1B_S1C_jS1D_jS1E_S1E_jjS1G_bEUljE0_EEESZ_S10_S11_S18_S1C_S1E_T6_T7_T9_mT8_S1G_bDpT10_ENKUlT_T0_E_clISt17integral_constantIbLb1EES1U_EEDaS1P_S1Q_EUlS1P_E_NS1_11comp_targetILNS1_3genE10ELNS1_11target_archE1200ELNS1_3gpuE4ELNS1_3repE0EEENS1_30default_config_static_selectorELNS0_4arch9wavefront6targetE1EEEvS12_, .Lfunc_end1067-_ZN7rocprim17ROCPRIM_400000_NS6detail17trampoline_kernelINS0_13select_configILj256ELj13ELNS0_17block_load_methodE3ELS4_3ELS4_3ELNS0_20block_scan_algorithmE0ELj4294967295EEENS1_25partition_config_selectorILNS1_17partition_subalgoE4EjNS0_10empty_typeEbEEZZNS1_14partition_implILS8_4ELb0ES6_15HIP_vector_typeIjLj2EENS0_17counting_iteratorIjlEEPS9_SG_NS0_5tupleIJPjSI_NS0_16reverse_iteratorISI_EEEEENSH_IJSG_SG_SG_EEES9_SI_JZNS1_25segmented_radix_sort_implINS0_14default_configELb1EPKdPdPKlPlN2at6native12_GLOBAL__N_18offset_tEEE10hipError_tPvRmT1_PNSt15iterator_traitsIS12_E10value_typeET2_T3_PNS13_IS18_E10value_typeET4_jRbjT5_S1E_jjP12ihipStream_tbEUljE_ZNSN_ISO_Lb1ESQ_SR_ST_SU_SY_EESZ_S10_S11_S12_S16_S17_S18_S1B_S1C_jS1D_jS1E_S1E_jjS1G_bEUljE0_EEESZ_S10_S11_S18_S1C_S1E_T6_T7_T9_mT8_S1G_bDpT10_ENKUlT_T0_E_clISt17integral_constantIbLb1EES1U_EEDaS1P_S1Q_EUlS1P_E_NS1_11comp_targetILNS1_3genE10ELNS1_11target_archE1200ELNS1_3gpuE4ELNS1_3repE0EEENS1_30default_config_static_selectorELNS0_4arch9wavefront6targetE1EEEvS12_
                                        ; -- End function
	.set _ZN7rocprim17ROCPRIM_400000_NS6detail17trampoline_kernelINS0_13select_configILj256ELj13ELNS0_17block_load_methodE3ELS4_3ELS4_3ELNS0_20block_scan_algorithmE0ELj4294967295EEENS1_25partition_config_selectorILNS1_17partition_subalgoE4EjNS0_10empty_typeEbEEZZNS1_14partition_implILS8_4ELb0ES6_15HIP_vector_typeIjLj2EENS0_17counting_iteratorIjlEEPS9_SG_NS0_5tupleIJPjSI_NS0_16reverse_iteratorISI_EEEEENSH_IJSG_SG_SG_EEES9_SI_JZNS1_25segmented_radix_sort_implINS0_14default_configELb1EPKdPdPKlPlN2at6native12_GLOBAL__N_18offset_tEEE10hipError_tPvRmT1_PNSt15iterator_traitsIS12_E10value_typeET2_T3_PNS13_IS18_E10value_typeET4_jRbjT5_S1E_jjP12ihipStream_tbEUljE_ZNSN_ISO_Lb1ESQ_SR_ST_SU_SY_EESZ_S10_S11_S12_S16_S17_S18_S1B_S1C_jS1D_jS1E_S1E_jjS1G_bEUljE0_EEESZ_S10_S11_S18_S1C_S1E_T6_T7_T9_mT8_S1G_bDpT10_ENKUlT_T0_E_clISt17integral_constantIbLb1EES1U_EEDaS1P_S1Q_EUlS1P_E_NS1_11comp_targetILNS1_3genE10ELNS1_11target_archE1200ELNS1_3gpuE4ELNS1_3repE0EEENS1_30default_config_static_selectorELNS0_4arch9wavefront6targetE1EEEvS12_.num_vgpr, 0
	.set _ZN7rocprim17ROCPRIM_400000_NS6detail17trampoline_kernelINS0_13select_configILj256ELj13ELNS0_17block_load_methodE3ELS4_3ELS4_3ELNS0_20block_scan_algorithmE0ELj4294967295EEENS1_25partition_config_selectorILNS1_17partition_subalgoE4EjNS0_10empty_typeEbEEZZNS1_14partition_implILS8_4ELb0ES6_15HIP_vector_typeIjLj2EENS0_17counting_iteratorIjlEEPS9_SG_NS0_5tupleIJPjSI_NS0_16reverse_iteratorISI_EEEEENSH_IJSG_SG_SG_EEES9_SI_JZNS1_25segmented_radix_sort_implINS0_14default_configELb1EPKdPdPKlPlN2at6native12_GLOBAL__N_18offset_tEEE10hipError_tPvRmT1_PNSt15iterator_traitsIS12_E10value_typeET2_T3_PNS13_IS18_E10value_typeET4_jRbjT5_S1E_jjP12ihipStream_tbEUljE_ZNSN_ISO_Lb1ESQ_SR_ST_SU_SY_EESZ_S10_S11_S12_S16_S17_S18_S1B_S1C_jS1D_jS1E_S1E_jjS1G_bEUljE0_EEESZ_S10_S11_S18_S1C_S1E_T6_T7_T9_mT8_S1G_bDpT10_ENKUlT_T0_E_clISt17integral_constantIbLb1EES1U_EEDaS1P_S1Q_EUlS1P_E_NS1_11comp_targetILNS1_3genE10ELNS1_11target_archE1200ELNS1_3gpuE4ELNS1_3repE0EEENS1_30default_config_static_selectorELNS0_4arch9wavefront6targetE1EEEvS12_.num_agpr, 0
	.set _ZN7rocprim17ROCPRIM_400000_NS6detail17trampoline_kernelINS0_13select_configILj256ELj13ELNS0_17block_load_methodE3ELS4_3ELS4_3ELNS0_20block_scan_algorithmE0ELj4294967295EEENS1_25partition_config_selectorILNS1_17partition_subalgoE4EjNS0_10empty_typeEbEEZZNS1_14partition_implILS8_4ELb0ES6_15HIP_vector_typeIjLj2EENS0_17counting_iteratorIjlEEPS9_SG_NS0_5tupleIJPjSI_NS0_16reverse_iteratorISI_EEEEENSH_IJSG_SG_SG_EEES9_SI_JZNS1_25segmented_radix_sort_implINS0_14default_configELb1EPKdPdPKlPlN2at6native12_GLOBAL__N_18offset_tEEE10hipError_tPvRmT1_PNSt15iterator_traitsIS12_E10value_typeET2_T3_PNS13_IS18_E10value_typeET4_jRbjT5_S1E_jjP12ihipStream_tbEUljE_ZNSN_ISO_Lb1ESQ_SR_ST_SU_SY_EESZ_S10_S11_S12_S16_S17_S18_S1B_S1C_jS1D_jS1E_S1E_jjS1G_bEUljE0_EEESZ_S10_S11_S18_S1C_S1E_T6_T7_T9_mT8_S1G_bDpT10_ENKUlT_T0_E_clISt17integral_constantIbLb1EES1U_EEDaS1P_S1Q_EUlS1P_E_NS1_11comp_targetILNS1_3genE10ELNS1_11target_archE1200ELNS1_3gpuE4ELNS1_3repE0EEENS1_30default_config_static_selectorELNS0_4arch9wavefront6targetE1EEEvS12_.numbered_sgpr, 0
	.set _ZN7rocprim17ROCPRIM_400000_NS6detail17trampoline_kernelINS0_13select_configILj256ELj13ELNS0_17block_load_methodE3ELS4_3ELS4_3ELNS0_20block_scan_algorithmE0ELj4294967295EEENS1_25partition_config_selectorILNS1_17partition_subalgoE4EjNS0_10empty_typeEbEEZZNS1_14partition_implILS8_4ELb0ES6_15HIP_vector_typeIjLj2EENS0_17counting_iteratorIjlEEPS9_SG_NS0_5tupleIJPjSI_NS0_16reverse_iteratorISI_EEEEENSH_IJSG_SG_SG_EEES9_SI_JZNS1_25segmented_radix_sort_implINS0_14default_configELb1EPKdPdPKlPlN2at6native12_GLOBAL__N_18offset_tEEE10hipError_tPvRmT1_PNSt15iterator_traitsIS12_E10value_typeET2_T3_PNS13_IS18_E10value_typeET4_jRbjT5_S1E_jjP12ihipStream_tbEUljE_ZNSN_ISO_Lb1ESQ_SR_ST_SU_SY_EESZ_S10_S11_S12_S16_S17_S18_S1B_S1C_jS1D_jS1E_S1E_jjS1G_bEUljE0_EEESZ_S10_S11_S18_S1C_S1E_T6_T7_T9_mT8_S1G_bDpT10_ENKUlT_T0_E_clISt17integral_constantIbLb1EES1U_EEDaS1P_S1Q_EUlS1P_E_NS1_11comp_targetILNS1_3genE10ELNS1_11target_archE1200ELNS1_3gpuE4ELNS1_3repE0EEENS1_30default_config_static_selectorELNS0_4arch9wavefront6targetE1EEEvS12_.num_named_barrier, 0
	.set _ZN7rocprim17ROCPRIM_400000_NS6detail17trampoline_kernelINS0_13select_configILj256ELj13ELNS0_17block_load_methodE3ELS4_3ELS4_3ELNS0_20block_scan_algorithmE0ELj4294967295EEENS1_25partition_config_selectorILNS1_17partition_subalgoE4EjNS0_10empty_typeEbEEZZNS1_14partition_implILS8_4ELb0ES6_15HIP_vector_typeIjLj2EENS0_17counting_iteratorIjlEEPS9_SG_NS0_5tupleIJPjSI_NS0_16reverse_iteratorISI_EEEEENSH_IJSG_SG_SG_EEES9_SI_JZNS1_25segmented_radix_sort_implINS0_14default_configELb1EPKdPdPKlPlN2at6native12_GLOBAL__N_18offset_tEEE10hipError_tPvRmT1_PNSt15iterator_traitsIS12_E10value_typeET2_T3_PNS13_IS18_E10value_typeET4_jRbjT5_S1E_jjP12ihipStream_tbEUljE_ZNSN_ISO_Lb1ESQ_SR_ST_SU_SY_EESZ_S10_S11_S12_S16_S17_S18_S1B_S1C_jS1D_jS1E_S1E_jjS1G_bEUljE0_EEESZ_S10_S11_S18_S1C_S1E_T6_T7_T9_mT8_S1G_bDpT10_ENKUlT_T0_E_clISt17integral_constantIbLb1EES1U_EEDaS1P_S1Q_EUlS1P_E_NS1_11comp_targetILNS1_3genE10ELNS1_11target_archE1200ELNS1_3gpuE4ELNS1_3repE0EEENS1_30default_config_static_selectorELNS0_4arch9wavefront6targetE1EEEvS12_.private_seg_size, 0
	.set _ZN7rocprim17ROCPRIM_400000_NS6detail17trampoline_kernelINS0_13select_configILj256ELj13ELNS0_17block_load_methodE3ELS4_3ELS4_3ELNS0_20block_scan_algorithmE0ELj4294967295EEENS1_25partition_config_selectorILNS1_17partition_subalgoE4EjNS0_10empty_typeEbEEZZNS1_14partition_implILS8_4ELb0ES6_15HIP_vector_typeIjLj2EENS0_17counting_iteratorIjlEEPS9_SG_NS0_5tupleIJPjSI_NS0_16reverse_iteratorISI_EEEEENSH_IJSG_SG_SG_EEES9_SI_JZNS1_25segmented_radix_sort_implINS0_14default_configELb1EPKdPdPKlPlN2at6native12_GLOBAL__N_18offset_tEEE10hipError_tPvRmT1_PNSt15iterator_traitsIS12_E10value_typeET2_T3_PNS13_IS18_E10value_typeET4_jRbjT5_S1E_jjP12ihipStream_tbEUljE_ZNSN_ISO_Lb1ESQ_SR_ST_SU_SY_EESZ_S10_S11_S12_S16_S17_S18_S1B_S1C_jS1D_jS1E_S1E_jjS1G_bEUljE0_EEESZ_S10_S11_S18_S1C_S1E_T6_T7_T9_mT8_S1G_bDpT10_ENKUlT_T0_E_clISt17integral_constantIbLb1EES1U_EEDaS1P_S1Q_EUlS1P_E_NS1_11comp_targetILNS1_3genE10ELNS1_11target_archE1200ELNS1_3gpuE4ELNS1_3repE0EEENS1_30default_config_static_selectorELNS0_4arch9wavefront6targetE1EEEvS12_.uses_vcc, 0
	.set _ZN7rocprim17ROCPRIM_400000_NS6detail17trampoline_kernelINS0_13select_configILj256ELj13ELNS0_17block_load_methodE3ELS4_3ELS4_3ELNS0_20block_scan_algorithmE0ELj4294967295EEENS1_25partition_config_selectorILNS1_17partition_subalgoE4EjNS0_10empty_typeEbEEZZNS1_14partition_implILS8_4ELb0ES6_15HIP_vector_typeIjLj2EENS0_17counting_iteratorIjlEEPS9_SG_NS0_5tupleIJPjSI_NS0_16reverse_iteratorISI_EEEEENSH_IJSG_SG_SG_EEES9_SI_JZNS1_25segmented_radix_sort_implINS0_14default_configELb1EPKdPdPKlPlN2at6native12_GLOBAL__N_18offset_tEEE10hipError_tPvRmT1_PNSt15iterator_traitsIS12_E10value_typeET2_T3_PNS13_IS18_E10value_typeET4_jRbjT5_S1E_jjP12ihipStream_tbEUljE_ZNSN_ISO_Lb1ESQ_SR_ST_SU_SY_EESZ_S10_S11_S12_S16_S17_S18_S1B_S1C_jS1D_jS1E_S1E_jjS1G_bEUljE0_EEESZ_S10_S11_S18_S1C_S1E_T6_T7_T9_mT8_S1G_bDpT10_ENKUlT_T0_E_clISt17integral_constantIbLb1EES1U_EEDaS1P_S1Q_EUlS1P_E_NS1_11comp_targetILNS1_3genE10ELNS1_11target_archE1200ELNS1_3gpuE4ELNS1_3repE0EEENS1_30default_config_static_selectorELNS0_4arch9wavefront6targetE1EEEvS12_.uses_flat_scratch, 0
	.set _ZN7rocprim17ROCPRIM_400000_NS6detail17trampoline_kernelINS0_13select_configILj256ELj13ELNS0_17block_load_methodE3ELS4_3ELS4_3ELNS0_20block_scan_algorithmE0ELj4294967295EEENS1_25partition_config_selectorILNS1_17partition_subalgoE4EjNS0_10empty_typeEbEEZZNS1_14partition_implILS8_4ELb0ES6_15HIP_vector_typeIjLj2EENS0_17counting_iteratorIjlEEPS9_SG_NS0_5tupleIJPjSI_NS0_16reverse_iteratorISI_EEEEENSH_IJSG_SG_SG_EEES9_SI_JZNS1_25segmented_radix_sort_implINS0_14default_configELb1EPKdPdPKlPlN2at6native12_GLOBAL__N_18offset_tEEE10hipError_tPvRmT1_PNSt15iterator_traitsIS12_E10value_typeET2_T3_PNS13_IS18_E10value_typeET4_jRbjT5_S1E_jjP12ihipStream_tbEUljE_ZNSN_ISO_Lb1ESQ_SR_ST_SU_SY_EESZ_S10_S11_S12_S16_S17_S18_S1B_S1C_jS1D_jS1E_S1E_jjS1G_bEUljE0_EEESZ_S10_S11_S18_S1C_S1E_T6_T7_T9_mT8_S1G_bDpT10_ENKUlT_T0_E_clISt17integral_constantIbLb1EES1U_EEDaS1P_S1Q_EUlS1P_E_NS1_11comp_targetILNS1_3genE10ELNS1_11target_archE1200ELNS1_3gpuE4ELNS1_3repE0EEENS1_30default_config_static_selectorELNS0_4arch9wavefront6targetE1EEEvS12_.has_dyn_sized_stack, 0
	.set _ZN7rocprim17ROCPRIM_400000_NS6detail17trampoline_kernelINS0_13select_configILj256ELj13ELNS0_17block_load_methodE3ELS4_3ELS4_3ELNS0_20block_scan_algorithmE0ELj4294967295EEENS1_25partition_config_selectorILNS1_17partition_subalgoE4EjNS0_10empty_typeEbEEZZNS1_14partition_implILS8_4ELb0ES6_15HIP_vector_typeIjLj2EENS0_17counting_iteratorIjlEEPS9_SG_NS0_5tupleIJPjSI_NS0_16reverse_iteratorISI_EEEEENSH_IJSG_SG_SG_EEES9_SI_JZNS1_25segmented_radix_sort_implINS0_14default_configELb1EPKdPdPKlPlN2at6native12_GLOBAL__N_18offset_tEEE10hipError_tPvRmT1_PNSt15iterator_traitsIS12_E10value_typeET2_T3_PNS13_IS18_E10value_typeET4_jRbjT5_S1E_jjP12ihipStream_tbEUljE_ZNSN_ISO_Lb1ESQ_SR_ST_SU_SY_EESZ_S10_S11_S12_S16_S17_S18_S1B_S1C_jS1D_jS1E_S1E_jjS1G_bEUljE0_EEESZ_S10_S11_S18_S1C_S1E_T6_T7_T9_mT8_S1G_bDpT10_ENKUlT_T0_E_clISt17integral_constantIbLb1EES1U_EEDaS1P_S1Q_EUlS1P_E_NS1_11comp_targetILNS1_3genE10ELNS1_11target_archE1200ELNS1_3gpuE4ELNS1_3repE0EEENS1_30default_config_static_selectorELNS0_4arch9wavefront6targetE1EEEvS12_.has_recursion, 0
	.set _ZN7rocprim17ROCPRIM_400000_NS6detail17trampoline_kernelINS0_13select_configILj256ELj13ELNS0_17block_load_methodE3ELS4_3ELS4_3ELNS0_20block_scan_algorithmE0ELj4294967295EEENS1_25partition_config_selectorILNS1_17partition_subalgoE4EjNS0_10empty_typeEbEEZZNS1_14partition_implILS8_4ELb0ES6_15HIP_vector_typeIjLj2EENS0_17counting_iteratorIjlEEPS9_SG_NS0_5tupleIJPjSI_NS0_16reverse_iteratorISI_EEEEENSH_IJSG_SG_SG_EEES9_SI_JZNS1_25segmented_radix_sort_implINS0_14default_configELb1EPKdPdPKlPlN2at6native12_GLOBAL__N_18offset_tEEE10hipError_tPvRmT1_PNSt15iterator_traitsIS12_E10value_typeET2_T3_PNS13_IS18_E10value_typeET4_jRbjT5_S1E_jjP12ihipStream_tbEUljE_ZNSN_ISO_Lb1ESQ_SR_ST_SU_SY_EESZ_S10_S11_S12_S16_S17_S18_S1B_S1C_jS1D_jS1E_S1E_jjS1G_bEUljE0_EEESZ_S10_S11_S18_S1C_S1E_T6_T7_T9_mT8_S1G_bDpT10_ENKUlT_T0_E_clISt17integral_constantIbLb1EES1U_EEDaS1P_S1Q_EUlS1P_E_NS1_11comp_targetILNS1_3genE10ELNS1_11target_archE1200ELNS1_3gpuE4ELNS1_3repE0EEENS1_30default_config_static_selectorELNS0_4arch9wavefront6targetE1EEEvS12_.has_indirect_call, 0
	.section	.AMDGPU.csdata,"",@progbits
; Kernel info:
; codeLenInByte = 0
; TotalNumSgprs: 4
; NumVgprs: 0
; ScratchSize: 0
; MemoryBound: 0
; FloatMode: 240
; IeeeMode: 1
; LDSByteSize: 0 bytes/workgroup (compile time only)
; SGPRBlocks: 0
; VGPRBlocks: 0
; NumSGPRsForWavesPerEU: 4
; NumVGPRsForWavesPerEU: 1
; Occupancy: 10
; WaveLimiterHint : 0
; COMPUTE_PGM_RSRC2:SCRATCH_EN: 0
; COMPUTE_PGM_RSRC2:USER_SGPR: 6
; COMPUTE_PGM_RSRC2:TRAP_HANDLER: 0
; COMPUTE_PGM_RSRC2:TGID_X_EN: 1
; COMPUTE_PGM_RSRC2:TGID_Y_EN: 0
; COMPUTE_PGM_RSRC2:TGID_Z_EN: 0
; COMPUTE_PGM_RSRC2:TIDIG_COMP_CNT: 0
	.section	.text._ZN7rocprim17ROCPRIM_400000_NS6detail17trampoline_kernelINS0_13select_configILj256ELj13ELNS0_17block_load_methodE3ELS4_3ELS4_3ELNS0_20block_scan_algorithmE0ELj4294967295EEENS1_25partition_config_selectorILNS1_17partition_subalgoE4EjNS0_10empty_typeEbEEZZNS1_14partition_implILS8_4ELb0ES6_15HIP_vector_typeIjLj2EENS0_17counting_iteratorIjlEEPS9_SG_NS0_5tupleIJPjSI_NS0_16reverse_iteratorISI_EEEEENSH_IJSG_SG_SG_EEES9_SI_JZNS1_25segmented_radix_sort_implINS0_14default_configELb1EPKdPdPKlPlN2at6native12_GLOBAL__N_18offset_tEEE10hipError_tPvRmT1_PNSt15iterator_traitsIS12_E10value_typeET2_T3_PNS13_IS18_E10value_typeET4_jRbjT5_S1E_jjP12ihipStream_tbEUljE_ZNSN_ISO_Lb1ESQ_SR_ST_SU_SY_EESZ_S10_S11_S12_S16_S17_S18_S1B_S1C_jS1D_jS1E_S1E_jjS1G_bEUljE0_EEESZ_S10_S11_S18_S1C_S1E_T6_T7_T9_mT8_S1G_bDpT10_ENKUlT_T0_E_clISt17integral_constantIbLb1EES1U_EEDaS1P_S1Q_EUlS1P_E_NS1_11comp_targetILNS1_3genE9ELNS1_11target_archE1100ELNS1_3gpuE3ELNS1_3repE0EEENS1_30default_config_static_selectorELNS0_4arch9wavefront6targetE1EEEvS12_,"axG",@progbits,_ZN7rocprim17ROCPRIM_400000_NS6detail17trampoline_kernelINS0_13select_configILj256ELj13ELNS0_17block_load_methodE3ELS4_3ELS4_3ELNS0_20block_scan_algorithmE0ELj4294967295EEENS1_25partition_config_selectorILNS1_17partition_subalgoE4EjNS0_10empty_typeEbEEZZNS1_14partition_implILS8_4ELb0ES6_15HIP_vector_typeIjLj2EENS0_17counting_iteratorIjlEEPS9_SG_NS0_5tupleIJPjSI_NS0_16reverse_iteratorISI_EEEEENSH_IJSG_SG_SG_EEES9_SI_JZNS1_25segmented_radix_sort_implINS0_14default_configELb1EPKdPdPKlPlN2at6native12_GLOBAL__N_18offset_tEEE10hipError_tPvRmT1_PNSt15iterator_traitsIS12_E10value_typeET2_T3_PNS13_IS18_E10value_typeET4_jRbjT5_S1E_jjP12ihipStream_tbEUljE_ZNSN_ISO_Lb1ESQ_SR_ST_SU_SY_EESZ_S10_S11_S12_S16_S17_S18_S1B_S1C_jS1D_jS1E_S1E_jjS1G_bEUljE0_EEESZ_S10_S11_S18_S1C_S1E_T6_T7_T9_mT8_S1G_bDpT10_ENKUlT_T0_E_clISt17integral_constantIbLb1EES1U_EEDaS1P_S1Q_EUlS1P_E_NS1_11comp_targetILNS1_3genE9ELNS1_11target_archE1100ELNS1_3gpuE3ELNS1_3repE0EEENS1_30default_config_static_selectorELNS0_4arch9wavefront6targetE1EEEvS12_,comdat
	.globl	_ZN7rocprim17ROCPRIM_400000_NS6detail17trampoline_kernelINS0_13select_configILj256ELj13ELNS0_17block_load_methodE3ELS4_3ELS4_3ELNS0_20block_scan_algorithmE0ELj4294967295EEENS1_25partition_config_selectorILNS1_17partition_subalgoE4EjNS0_10empty_typeEbEEZZNS1_14partition_implILS8_4ELb0ES6_15HIP_vector_typeIjLj2EENS0_17counting_iteratorIjlEEPS9_SG_NS0_5tupleIJPjSI_NS0_16reverse_iteratorISI_EEEEENSH_IJSG_SG_SG_EEES9_SI_JZNS1_25segmented_radix_sort_implINS0_14default_configELb1EPKdPdPKlPlN2at6native12_GLOBAL__N_18offset_tEEE10hipError_tPvRmT1_PNSt15iterator_traitsIS12_E10value_typeET2_T3_PNS13_IS18_E10value_typeET4_jRbjT5_S1E_jjP12ihipStream_tbEUljE_ZNSN_ISO_Lb1ESQ_SR_ST_SU_SY_EESZ_S10_S11_S12_S16_S17_S18_S1B_S1C_jS1D_jS1E_S1E_jjS1G_bEUljE0_EEESZ_S10_S11_S18_S1C_S1E_T6_T7_T9_mT8_S1G_bDpT10_ENKUlT_T0_E_clISt17integral_constantIbLb1EES1U_EEDaS1P_S1Q_EUlS1P_E_NS1_11comp_targetILNS1_3genE9ELNS1_11target_archE1100ELNS1_3gpuE3ELNS1_3repE0EEENS1_30default_config_static_selectorELNS0_4arch9wavefront6targetE1EEEvS12_ ; -- Begin function _ZN7rocprim17ROCPRIM_400000_NS6detail17trampoline_kernelINS0_13select_configILj256ELj13ELNS0_17block_load_methodE3ELS4_3ELS4_3ELNS0_20block_scan_algorithmE0ELj4294967295EEENS1_25partition_config_selectorILNS1_17partition_subalgoE4EjNS0_10empty_typeEbEEZZNS1_14partition_implILS8_4ELb0ES6_15HIP_vector_typeIjLj2EENS0_17counting_iteratorIjlEEPS9_SG_NS0_5tupleIJPjSI_NS0_16reverse_iteratorISI_EEEEENSH_IJSG_SG_SG_EEES9_SI_JZNS1_25segmented_radix_sort_implINS0_14default_configELb1EPKdPdPKlPlN2at6native12_GLOBAL__N_18offset_tEEE10hipError_tPvRmT1_PNSt15iterator_traitsIS12_E10value_typeET2_T3_PNS13_IS18_E10value_typeET4_jRbjT5_S1E_jjP12ihipStream_tbEUljE_ZNSN_ISO_Lb1ESQ_SR_ST_SU_SY_EESZ_S10_S11_S12_S16_S17_S18_S1B_S1C_jS1D_jS1E_S1E_jjS1G_bEUljE0_EEESZ_S10_S11_S18_S1C_S1E_T6_T7_T9_mT8_S1G_bDpT10_ENKUlT_T0_E_clISt17integral_constantIbLb1EES1U_EEDaS1P_S1Q_EUlS1P_E_NS1_11comp_targetILNS1_3genE9ELNS1_11target_archE1100ELNS1_3gpuE3ELNS1_3repE0EEENS1_30default_config_static_selectorELNS0_4arch9wavefront6targetE1EEEvS12_
	.p2align	8
	.type	_ZN7rocprim17ROCPRIM_400000_NS6detail17trampoline_kernelINS0_13select_configILj256ELj13ELNS0_17block_load_methodE3ELS4_3ELS4_3ELNS0_20block_scan_algorithmE0ELj4294967295EEENS1_25partition_config_selectorILNS1_17partition_subalgoE4EjNS0_10empty_typeEbEEZZNS1_14partition_implILS8_4ELb0ES6_15HIP_vector_typeIjLj2EENS0_17counting_iteratorIjlEEPS9_SG_NS0_5tupleIJPjSI_NS0_16reverse_iteratorISI_EEEEENSH_IJSG_SG_SG_EEES9_SI_JZNS1_25segmented_radix_sort_implINS0_14default_configELb1EPKdPdPKlPlN2at6native12_GLOBAL__N_18offset_tEEE10hipError_tPvRmT1_PNSt15iterator_traitsIS12_E10value_typeET2_T3_PNS13_IS18_E10value_typeET4_jRbjT5_S1E_jjP12ihipStream_tbEUljE_ZNSN_ISO_Lb1ESQ_SR_ST_SU_SY_EESZ_S10_S11_S12_S16_S17_S18_S1B_S1C_jS1D_jS1E_S1E_jjS1G_bEUljE0_EEESZ_S10_S11_S18_S1C_S1E_T6_T7_T9_mT8_S1G_bDpT10_ENKUlT_T0_E_clISt17integral_constantIbLb1EES1U_EEDaS1P_S1Q_EUlS1P_E_NS1_11comp_targetILNS1_3genE9ELNS1_11target_archE1100ELNS1_3gpuE3ELNS1_3repE0EEENS1_30default_config_static_selectorELNS0_4arch9wavefront6targetE1EEEvS12_,@function
_ZN7rocprim17ROCPRIM_400000_NS6detail17trampoline_kernelINS0_13select_configILj256ELj13ELNS0_17block_load_methodE3ELS4_3ELS4_3ELNS0_20block_scan_algorithmE0ELj4294967295EEENS1_25partition_config_selectorILNS1_17partition_subalgoE4EjNS0_10empty_typeEbEEZZNS1_14partition_implILS8_4ELb0ES6_15HIP_vector_typeIjLj2EENS0_17counting_iteratorIjlEEPS9_SG_NS0_5tupleIJPjSI_NS0_16reverse_iteratorISI_EEEEENSH_IJSG_SG_SG_EEES9_SI_JZNS1_25segmented_radix_sort_implINS0_14default_configELb1EPKdPdPKlPlN2at6native12_GLOBAL__N_18offset_tEEE10hipError_tPvRmT1_PNSt15iterator_traitsIS12_E10value_typeET2_T3_PNS13_IS18_E10value_typeET4_jRbjT5_S1E_jjP12ihipStream_tbEUljE_ZNSN_ISO_Lb1ESQ_SR_ST_SU_SY_EESZ_S10_S11_S12_S16_S17_S18_S1B_S1C_jS1D_jS1E_S1E_jjS1G_bEUljE0_EEESZ_S10_S11_S18_S1C_S1E_T6_T7_T9_mT8_S1G_bDpT10_ENKUlT_T0_E_clISt17integral_constantIbLb1EES1U_EEDaS1P_S1Q_EUlS1P_E_NS1_11comp_targetILNS1_3genE9ELNS1_11target_archE1100ELNS1_3gpuE3ELNS1_3repE0EEENS1_30default_config_static_selectorELNS0_4arch9wavefront6targetE1EEEvS12_: ; @_ZN7rocprim17ROCPRIM_400000_NS6detail17trampoline_kernelINS0_13select_configILj256ELj13ELNS0_17block_load_methodE3ELS4_3ELS4_3ELNS0_20block_scan_algorithmE0ELj4294967295EEENS1_25partition_config_selectorILNS1_17partition_subalgoE4EjNS0_10empty_typeEbEEZZNS1_14partition_implILS8_4ELb0ES6_15HIP_vector_typeIjLj2EENS0_17counting_iteratorIjlEEPS9_SG_NS0_5tupleIJPjSI_NS0_16reverse_iteratorISI_EEEEENSH_IJSG_SG_SG_EEES9_SI_JZNS1_25segmented_radix_sort_implINS0_14default_configELb1EPKdPdPKlPlN2at6native12_GLOBAL__N_18offset_tEEE10hipError_tPvRmT1_PNSt15iterator_traitsIS12_E10value_typeET2_T3_PNS13_IS18_E10value_typeET4_jRbjT5_S1E_jjP12ihipStream_tbEUljE_ZNSN_ISO_Lb1ESQ_SR_ST_SU_SY_EESZ_S10_S11_S12_S16_S17_S18_S1B_S1C_jS1D_jS1E_S1E_jjS1G_bEUljE0_EEESZ_S10_S11_S18_S1C_S1E_T6_T7_T9_mT8_S1G_bDpT10_ENKUlT_T0_E_clISt17integral_constantIbLb1EES1U_EEDaS1P_S1Q_EUlS1P_E_NS1_11comp_targetILNS1_3genE9ELNS1_11target_archE1100ELNS1_3gpuE3ELNS1_3repE0EEENS1_30default_config_static_selectorELNS0_4arch9wavefront6targetE1EEEvS12_
; %bb.0:
	.section	.rodata,"a",@progbits
	.p2align	6, 0x0
	.amdhsa_kernel _ZN7rocprim17ROCPRIM_400000_NS6detail17trampoline_kernelINS0_13select_configILj256ELj13ELNS0_17block_load_methodE3ELS4_3ELS4_3ELNS0_20block_scan_algorithmE0ELj4294967295EEENS1_25partition_config_selectorILNS1_17partition_subalgoE4EjNS0_10empty_typeEbEEZZNS1_14partition_implILS8_4ELb0ES6_15HIP_vector_typeIjLj2EENS0_17counting_iteratorIjlEEPS9_SG_NS0_5tupleIJPjSI_NS0_16reverse_iteratorISI_EEEEENSH_IJSG_SG_SG_EEES9_SI_JZNS1_25segmented_radix_sort_implINS0_14default_configELb1EPKdPdPKlPlN2at6native12_GLOBAL__N_18offset_tEEE10hipError_tPvRmT1_PNSt15iterator_traitsIS12_E10value_typeET2_T3_PNS13_IS18_E10value_typeET4_jRbjT5_S1E_jjP12ihipStream_tbEUljE_ZNSN_ISO_Lb1ESQ_SR_ST_SU_SY_EESZ_S10_S11_S12_S16_S17_S18_S1B_S1C_jS1D_jS1E_S1E_jjS1G_bEUljE0_EEESZ_S10_S11_S18_S1C_S1E_T6_T7_T9_mT8_S1G_bDpT10_ENKUlT_T0_E_clISt17integral_constantIbLb1EES1U_EEDaS1P_S1Q_EUlS1P_E_NS1_11comp_targetILNS1_3genE9ELNS1_11target_archE1100ELNS1_3gpuE3ELNS1_3repE0EEENS1_30default_config_static_selectorELNS0_4arch9wavefront6targetE1EEEvS12_
		.amdhsa_group_segment_fixed_size 0
		.amdhsa_private_segment_fixed_size 0
		.amdhsa_kernarg_size 184
		.amdhsa_user_sgpr_count 6
		.amdhsa_user_sgpr_private_segment_buffer 1
		.amdhsa_user_sgpr_dispatch_ptr 0
		.amdhsa_user_sgpr_queue_ptr 0
		.amdhsa_user_sgpr_kernarg_segment_ptr 1
		.amdhsa_user_sgpr_dispatch_id 0
		.amdhsa_user_sgpr_flat_scratch_init 0
		.amdhsa_user_sgpr_private_segment_size 0
		.amdhsa_uses_dynamic_stack 0
		.amdhsa_system_sgpr_private_segment_wavefront_offset 0
		.amdhsa_system_sgpr_workgroup_id_x 1
		.amdhsa_system_sgpr_workgroup_id_y 0
		.amdhsa_system_sgpr_workgroup_id_z 0
		.amdhsa_system_sgpr_workgroup_info 0
		.amdhsa_system_vgpr_workitem_id 0
		.amdhsa_next_free_vgpr 1
		.amdhsa_next_free_sgpr 0
		.amdhsa_reserve_vcc 0
		.amdhsa_reserve_flat_scratch 0
		.amdhsa_float_round_mode_32 0
		.amdhsa_float_round_mode_16_64 0
		.amdhsa_float_denorm_mode_32 3
		.amdhsa_float_denorm_mode_16_64 3
		.amdhsa_dx10_clamp 1
		.amdhsa_ieee_mode 1
		.amdhsa_fp16_overflow 0
		.amdhsa_exception_fp_ieee_invalid_op 0
		.amdhsa_exception_fp_denorm_src 0
		.amdhsa_exception_fp_ieee_div_zero 0
		.amdhsa_exception_fp_ieee_overflow 0
		.amdhsa_exception_fp_ieee_underflow 0
		.amdhsa_exception_fp_ieee_inexact 0
		.amdhsa_exception_int_div_zero 0
	.end_amdhsa_kernel
	.section	.text._ZN7rocprim17ROCPRIM_400000_NS6detail17trampoline_kernelINS0_13select_configILj256ELj13ELNS0_17block_load_methodE3ELS4_3ELS4_3ELNS0_20block_scan_algorithmE0ELj4294967295EEENS1_25partition_config_selectorILNS1_17partition_subalgoE4EjNS0_10empty_typeEbEEZZNS1_14partition_implILS8_4ELb0ES6_15HIP_vector_typeIjLj2EENS0_17counting_iteratorIjlEEPS9_SG_NS0_5tupleIJPjSI_NS0_16reverse_iteratorISI_EEEEENSH_IJSG_SG_SG_EEES9_SI_JZNS1_25segmented_radix_sort_implINS0_14default_configELb1EPKdPdPKlPlN2at6native12_GLOBAL__N_18offset_tEEE10hipError_tPvRmT1_PNSt15iterator_traitsIS12_E10value_typeET2_T3_PNS13_IS18_E10value_typeET4_jRbjT5_S1E_jjP12ihipStream_tbEUljE_ZNSN_ISO_Lb1ESQ_SR_ST_SU_SY_EESZ_S10_S11_S12_S16_S17_S18_S1B_S1C_jS1D_jS1E_S1E_jjS1G_bEUljE0_EEESZ_S10_S11_S18_S1C_S1E_T6_T7_T9_mT8_S1G_bDpT10_ENKUlT_T0_E_clISt17integral_constantIbLb1EES1U_EEDaS1P_S1Q_EUlS1P_E_NS1_11comp_targetILNS1_3genE9ELNS1_11target_archE1100ELNS1_3gpuE3ELNS1_3repE0EEENS1_30default_config_static_selectorELNS0_4arch9wavefront6targetE1EEEvS12_,"axG",@progbits,_ZN7rocprim17ROCPRIM_400000_NS6detail17trampoline_kernelINS0_13select_configILj256ELj13ELNS0_17block_load_methodE3ELS4_3ELS4_3ELNS0_20block_scan_algorithmE0ELj4294967295EEENS1_25partition_config_selectorILNS1_17partition_subalgoE4EjNS0_10empty_typeEbEEZZNS1_14partition_implILS8_4ELb0ES6_15HIP_vector_typeIjLj2EENS0_17counting_iteratorIjlEEPS9_SG_NS0_5tupleIJPjSI_NS0_16reverse_iteratorISI_EEEEENSH_IJSG_SG_SG_EEES9_SI_JZNS1_25segmented_radix_sort_implINS0_14default_configELb1EPKdPdPKlPlN2at6native12_GLOBAL__N_18offset_tEEE10hipError_tPvRmT1_PNSt15iterator_traitsIS12_E10value_typeET2_T3_PNS13_IS18_E10value_typeET4_jRbjT5_S1E_jjP12ihipStream_tbEUljE_ZNSN_ISO_Lb1ESQ_SR_ST_SU_SY_EESZ_S10_S11_S12_S16_S17_S18_S1B_S1C_jS1D_jS1E_S1E_jjS1G_bEUljE0_EEESZ_S10_S11_S18_S1C_S1E_T6_T7_T9_mT8_S1G_bDpT10_ENKUlT_T0_E_clISt17integral_constantIbLb1EES1U_EEDaS1P_S1Q_EUlS1P_E_NS1_11comp_targetILNS1_3genE9ELNS1_11target_archE1100ELNS1_3gpuE3ELNS1_3repE0EEENS1_30default_config_static_selectorELNS0_4arch9wavefront6targetE1EEEvS12_,comdat
.Lfunc_end1068:
	.size	_ZN7rocprim17ROCPRIM_400000_NS6detail17trampoline_kernelINS0_13select_configILj256ELj13ELNS0_17block_load_methodE3ELS4_3ELS4_3ELNS0_20block_scan_algorithmE0ELj4294967295EEENS1_25partition_config_selectorILNS1_17partition_subalgoE4EjNS0_10empty_typeEbEEZZNS1_14partition_implILS8_4ELb0ES6_15HIP_vector_typeIjLj2EENS0_17counting_iteratorIjlEEPS9_SG_NS0_5tupleIJPjSI_NS0_16reverse_iteratorISI_EEEEENSH_IJSG_SG_SG_EEES9_SI_JZNS1_25segmented_radix_sort_implINS0_14default_configELb1EPKdPdPKlPlN2at6native12_GLOBAL__N_18offset_tEEE10hipError_tPvRmT1_PNSt15iterator_traitsIS12_E10value_typeET2_T3_PNS13_IS18_E10value_typeET4_jRbjT5_S1E_jjP12ihipStream_tbEUljE_ZNSN_ISO_Lb1ESQ_SR_ST_SU_SY_EESZ_S10_S11_S12_S16_S17_S18_S1B_S1C_jS1D_jS1E_S1E_jjS1G_bEUljE0_EEESZ_S10_S11_S18_S1C_S1E_T6_T7_T9_mT8_S1G_bDpT10_ENKUlT_T0_E_clISt17integral_constantIbLb1EES1U_EEDaS1P_S1Q_EUlS1P_E_NS1_11comp_targetILNS1_3genE9ELNS1_11target_archE1100ELNS1_3gpuE3ELNS1_3repE0EEENS1_30default_config_static_selectorELNS0_4arch9wavefront6targetE1EEEvS12_, .Lfunc_end1068-_ZN7rocprim17ROCPRIM_400000_NS6detail17trampoline_kernelINS0_13select_configILj256ELj13ELNS0_17block_load_methodE3ELS4_3ELS4_3ELNS0_20block_scan_algorithmE0ELj4294967295EEENS1_25partition_config_selectorILNS1_17partition_subalgoE4EjNS0_10empty_typeEbEEZZNS1_14partition_implILS8_4ELb0ES6_15HIP_vector_typeIjLj2EENS0_17counting_iteratorIjlEEPS9_SG_NS0_5tupleIJPjSI_NS0_16reverse_iteratorISI_EEEEENSH_IJSG_SG_SG_EEES9_SI_JZNS1_25segmented_radix_sort_implINS0_14default_configELb1EPKdPdPKlPlN2at6native12_GLOBAL__N_18offset_tEEE10hipError_tPvRmT1_PNSt15iterator_traitsIS12_E10value_typeET2_T3_PNS13_IS18_E10value_typeET4_jRbjT5_S1E_jjP12ihipStream_tbEUljE_ZNSN_ISO_Lb1ESQ_SR_ST_SU_SY_EESZ_S10_S11_S12_S16_S17_S18_S1B_S1C_jS1D_jS1E_S1E_jjS1G_bEUljE0_EEESZ_S10_S11_S18_S1C_S1E_T6_T7_T9_mT8_S1G_bDpT10_ENKUlT_T0_E_clISt17integral_constantIbLb1EES1U_EEDaS1P_S1Q_EUlS1P_E_NS1_11comp_targetILNS1_3genE9ELNS1_11target_archE1100ELNS1_3gpuE3ELNS1_3repE0EEENS1_30default_config_static_selectorELNS0_4arch9wavefront6targetE1EEEvS12_
                                        ; -- End function
	.set _ZN7rocprim17ROCPRIM_400000_NS6detail17trampoline_kernelINS0_13select_configILj256ELj13ELNS0_17block_load_methodE3ELS4_3ELS4_3ELNS0_20block_scan_algorithmE0ELj4294967295EEENS1_25partition_config_selectorILNS1_17partition_subalgoE4EjNS0_10empty_typeEbEEZZNS1_14partition_implILS8_4ELb0ES6_15HIP_vector_typeIjLj2EENS0_17counting_iteratorIjlEEPS9_SG_NS0_5tupleIJPjSI_NS0_16reverse_iteratorISI_EEEEENSH_IJSG_SG_SG_EEES9_SI_JZNS1_25segmented_radix_sort_implINS0_14default_configELb1EPKdPdPKlPlN2at6native12_GLOBAL__N_18offset_tEEE10hipError_tPvRmT1_PNSt15iterator_traitsIS12_E10value_typeET2_T3_PNS13_IS18_E10value_typeET4_jRbjT5_S1E_jjP12ihipStream_tbEUljE_ZNSN_ISO_Lb1ESQ_SR_ST_SU_SY_EESZ_S10_S11_S12_S16_S17_S18_S1B_S1C_jS1D_jS1E_S1E_jjS1G_bEUljE0_EEESZ_S10_S11_S18_S1C_S1E_T6_T7_T9_mT8_S1G_bDpT10_ENKUlT_T0_E_clISt17integral_constantIbLb1EES1U_EEDaS1P_S1Q_EUlS1P_E_NS1_11comp_targetILNS1_3genE9ELNS1_11target_archE1100ELNS1_3gpuE3ELNS1_3repE0EEENS1_30default_config_static_selectorELNS0_4arch9wavefront6targetE1EEEvS12_.num_vgpr, 0
	.set _ZN7rocprim17ROCPRIM_400000_NS6detail17trampoline_kernelINS0_13select_configILj256ELj13ELNS0_17block_load_methodE3ELS4_3ELS4_3ELNS0_20block_scan_algorithmE0ELj4294967295EEENS1_25partition_config_selectorILNS1_17partition_subalgoE4EjNS0_10empty_typeEbEEZZNS1_14partition_implILS8_4ELb0ES6_15HIP_vector_typeIjLj2EENS0_17counting_iteratorIjlEEPS9_SG_NS0_5tupleIJPjSI_NS0_16reverse_iteratorISI_EEEEENSH_IJSG_SG_SG_EEES9_SI_JZNS1_25segmented_radix_sort_implINS0_14default_configELb1EPKdPdPKlPlN2at6native12_GLOBAL__N_18offset_tEEE10hipError_tPvRmT1_PNSt15iterator_traitsIS12_E10value_typeET2_T3_PNS13_IS18_E10value_typeET4_jRbjT5_S1E_jjP12ihipStream_tbEUljE_ZNSN_ISO_Lb1ESQ_SR_ST_SU_SY_EESZ_S10_S11_S12_S16_S17_S18_S1B_S1C_jS1D_jS1E_S1E_jjS1G_bEUljE0_EEESZ_S10_S11_S18_S1C_S1E_T6_T7_T9_mT8_S1G_bDpT10_ENKUlT_T0_E_clISt17integral_constantIbLb1EES1U_EEDaS1P_S1Q_EUlS1P_E_NS1_11comp_targetILNS1_3genE9ELNS1_11target_archE1100ELNS1_3gpuE3ELNS1_3repE0EEENS1_30default_config_static_selectorELNS0_4arch9wavefront6targetE1EEEvS12_.num_agpr, 0
	.set _ZN7rocprim17ROCPRIM_400000_NS6detail17trampoline_kernelINS0_13select_configILj256ELj13ELNS0_17block_load_methodE3ELS4_3ELS4_3ELNS0_20block_scan_algorithmE0ELj4294967295EEENS1_25partition_config_selectorILNS1_17partition_subalgoE4EjNS0_10empty_typeEbEEZZNS1_14partition_implILS8_4ELb0ES6_15HIP_vector_typeIjLj2EENS0_17counting_iteratorIjlEEPS9_SG_NS0_5tupleIJPjSI_NS0_16reverse_iteratorISI_EEEEENSH_IJSG_SG_SG_EEES9_SI_JZNS1_25segmented_radix_sort_implINS0_14default_configELb1EPKdPdPKlPlN2at6native12_GLOBAL__N_18offset_tEEE10hipError_tPvRmT1_PNSt15iterator_traitsIS12_E10value_typeET2_T3_PNS13_IS18_E10value_typeET4_jRbjT5_S1E_jjP12ihipStream_tbEUljE_ZNSN_ISO_Lb1ESQ_SR_ST_SU_SY_EESZ_S10_S11_S12_S16_S17_S18_S1B_S1C_jS1D_jS1E_S1E_jjS1G_bEUljE0_EEESZ_S10_S11_S18_S1C_S1E_T6_T7_T9_mT8_S1G_bDpT10_ENKUlT_T0_E_clISt17integral_constantIbLb1EES1U_EEDaS1P_S1Q_EUlS1P_E_NS1_11comp_targetILNS1_3genE9ELNS1_11target_archE1100ELNS1_3gpuE3ELNS1_3repE0EEENS1_30default_config_static_selectorELNS0_4arch9wavefront6targetE1EEEvS12_.numbered_sgpr, 0
	.set _ZN7rocprim17ROCPRIM_400000_NS6detail17trampoline_kernelINS0_13select_configILj256ELj13ELNS0_17block_load_methodE3ELS4_3ELS4_3ELNS0_20block_scan_algorithmE0ELj4294967295EEENS1_25partition_config_selectorILNS1_17partition_subalgoE4EjNS0_10empty_typeEbEEZZNS1_14partition_implILS8_4ELb0ES6_15HIP_vector_typeIjLj2EENS0_17counting_iteratorIjlEEPS9_SG_NS0_5tupleIJPjSI_NS0_16reverse_iteratorISI_EEEEENSH_IJSG_SG_SG_EEES9_SI_JZNS1_25segmented_radix_sort_implINS0_14default_configELb1EPKdPdPKlPlN2at6native12_GLOBAL__N_18offset_tEEE10hipError_tPvRmT1_PNSt15iterator_traitsIS12_E10value_typeET2_T3_PNS13_IS18_E10value_typeET4_jRbjT5_S1E_jjP12ihipStream_tbEUljE_ZNSN_ISO_Lb1ESQ_SR_ST_SU_SY_EESZ_S10_S11_S12_S16_S17_S18_S1B_S1C_jS1D_jS1E_S1E_jjS1G_bEUljE0_EEESZ_S10_S11_S18_S1C_S1E_T6_T7_T9_mT8_S1G_bDpT10_ENKUlT_T0_E_clISt17integral_constantIbLb1EES1U_EEDaS1P_S1Q_EUlS1P_E_NS1_11comp_targetILNS1_3genE9ELNS1_11target_archE1100ELNS1_3gpuE3ELNS1_3repE0EEENS1_30default_config_static_selectorELNS0_4arch9wavefront6targetE1EEEvS12_.num_named_barrier, 0
	.set _ZN7rocprim17ROCPRIM_400000_NS6detail17trampoline_kernelINS0_13select_configILj256ELj13ELNS0_17block_load_methodE3ELS4_3ELS4_3ELNS0_20block_scan_algorithmE0ELj4294967295EEENS1_25partition_config_selectorILNS1_17partition_subalgoE4EjNS0_10empty_typeEbEEZZNS1_14partition_implILS8_4ELb0ES6_15HIP_vector_typeIjLj2EENS0_17counting_iteratorIjlEEPS9_SG_NS0_5tupleIJPjSI_NS0_16reverse_iteratorISI_EEEEENSH_IJSG_SG_SG_EEES9_SI_JZNS1_25segmented_radix_sort_implINS0_14default_configELb1EPKdPdPKlPlN2at6native12_GLOBAL__N_18offset_tEEE10hipError_tPvRmT1_PNSt15iterator_traitsIS12_E10value_typeET2_T3_PNS13_IS18_E10value_typeET4_jRbjT5_S1E_jjP12ihipStream_tbEUljE_ZNSN_ISO_Lb1ESQ_SR_ST_SU_SY_EESZ_S10_S11_S12_S16_S17_S18_S1B_S1C_jS1D_jS1E_S1E_jjS1G_bEUljE0_EEESZ_S10_S11_S18_S1C_S1E_T6_T7_T9_mT8_S1G_bDpT10_ENKUlT_T0_E_clISt17integral_constantIbLb1EES1U_EEDaS1P_S1Q_EUlS1P_E_NS1_11comp_targetILNS1_3genE9ELNS1_11target_archE1100ELNS1_3gpuE3ELNS1_3repE0EEENS1_30default_config_static_selectorELNS0_4arch9wavefront6targetE1EEEvS12_.private_seg_size, 0
	.set _ZN7rocprim17ROCPRIM_400000_NS6detail17trampoline_kernelINS0_13select_configILj256ELj13ELNS0_17block_load_methodE3ELS4_3ELS4_3ELNS0_20block_scan_algorithmE0ELj4294967295EEENS1_25partition_config_selectorILNS1_17partition_subalgoE4EjNS0_10empty_typeEbEEZZNS1_14partition_implILS8_4ELb0ES6_15HIP_vector_typeIjLj2EENS0_17counting_iteratorIjlEEPS9_SG_NS0_5tupleIJPjSI_NS0_16reverse_iteratorISI_EEEEENSH_IJSG_SG_SG_EEES9_SI_JZNS1_25segmented_radix_sort_implINS0_14default_configELb1EPKdPdPKlPlN2at6native12_GLOBAL__N_18offset_tEEE10hipError_tPvRmT1_PNSt15iterator_traitsIS12_E10value_typeET2_T3_PNS13_IS18_E10value_typeET4_jRbjT5_S1E_jjP12ihipStream_tbEUljE_ZNSN_ISO_Lb1ESQ_SR_ST_SU_SY_EESZ_S10_S11_S12_S16_S17_S18_S1B_S1C_jS1D_jS1E_S1E_jjS1G_bEUljE0_EEESZ_S10_S11_S18_S1C_S1E_T6_T7_T9_mT8_S1G_bDpT10_ENKUlT_T0_E_clISt17integral_constantIbLb1EES1U_EEDaS1P_S1Q_EUlS1P_E_NS1_11comp_targetILNS1_3genE9ELNS1_11target_archE1100ELNS1_3gpuE3ELNS1_3repE0EEENS1_30default_config_static_selectorELNS0_4arch9wavefront6targetE1EEEvS12_.uses_vcc, 0
	.set _ZN7rocprim17ROCPRIM_400000_NS6detail17trampoline_kernelINS0_13select_configILj256ELj13ELNS0_17block_load_methodE3ELS4_3ELS4_3ELNS0_20block_scan_algorithmE0ELj4294967295EEENS1_25partition_config_selectorILNS1_17partition_subalgoE4EjNS0_10empty_typeEbEEZZNS1_14partition_implILS8_4ELb0ES6_15HIP_vector_typeIjLj2EENS0_17counting_iteratorIjlEEPS9_SG_NS0_5tupleIJPjSI_NS0_16reverse_iteratorISI_EEEEENSH_IJSG_SG_SG_EEES9_SI_JZNS1_25segmented_radix_sort_implINS0_14default_configELb1EPKdPdPKlPlN2at6native12_GLOBAL__N_18offset_tEEE10hipError_tPvRmT1_PNSt15iterator_traitsIS12_E10value_typeET2_T3_PNS13_IS18_E10value_typeET4_jRbjT5_S1E_jjP12ihipStream_tbEUljE_ZNSN_ISO_Lb1ESQ_SR_ST_SU_SY_EESZ_S10_S11_S12_S16_S17_S18_S1B_S1C_jS1D_jS1E_S1E_jjS1G_bEUljE0_EEESZ_S10_S11_S18_S1C_S1E_T6_T7_T9_mT8_S1G_bDpT10_ENKUlT_T0_E_clISt17integral_constantIbLb1EES1U_EEDaS1P_S1Q_EUlS1P_E_NS1_11comp_targetILNS1_3genE9ELNS1_11target_archE1100ELNS1_3gpuE3ELNS1_3repE0EEENS1_30default_config_static_selectorELNS0_4arch9wavefront6targetE1EEEvS12_.uses_flat_scratch, 0
	.set _ZN7rocprim17ROCPRIM_400000_NS6detail17trampoline_kernelINS0_13select_configILj256ELj13ELNS0_17block_load_methodE3ELS4_3ELS4_3ELNS0_20block_scan_algorithmE0ELj4294967295EEENS1_25partition_config_selectorILNS1_17partition_subalgoE4EjNS0_10empty_typeEbEEZZNS1_14partition_implILS8_4ELb0ES6_15HIP_vector_typeIjLj2EENS0_17counting_iteratorIjlEEPS9_SG_NS0_5tupleIJPjSI_NS0_16reverse_iteratorISI_EEEEENSH_IJSG_SG_SG_EEES9_SI_JZNS1_25segmented_radix_sort_implINS0_14default_configELb1EPKdPdPKlPlN2at6native12_GLOBAL__N_18offset_tEEE10hipError_tPvRmT1_PNSt15iterator_traitsIS12_E10value_typeET2_T3_PNS13_IS18_E10value_typeET4_jRbjT5_S1E_jjP12ihipStream_tbEUljE_ZNSN_ISO_Lb1ESQ_SR_ST_SU_SY_EESZ_S10_S11_S12_S16_S17_S18_S1B_S1C_jS1D_jS1E_S1E_jjS1G_bEUljE0_EEESZ_S10_S11_S18_S1C_S1E_T6_T7_T9_mT8_S1G_bDpT10_ENKUlT_T0_E_clISt17integral_constantIbLb1EES1U_EEDaS1P_S1Q_EUlS1P_E_NS1_11comp_targetILNS1_3genE9ELNS1_11target_archE1100ELNS1_3gpuE3ELNS1_3repE0EEENS1_30default_config_static_selectorELNS0_4arch9wavefront6targetE1EEEvS12_.has_dyn_sized_stack, 0
	.set _ZN7rocprim17ROCPRIM_400000_NS6detail17trampoline_kernelINS0_13select_configILj256ELj13ELNS0_17block_load_methodE3ELS4_3ELS4_3ELNS0_20block_scan_algorithmE0ELj4294967295EEENS1_25partition_config_selectorILNS1_17partition_subalgoE4EjNS0_10empty_typeEbEEZZNS1_14partition_implILS8_4ELb0ES6_15HIP_vector_typeIjLj2EENS0_17counting_iteratorIjlEEPS9_SG_NS0_5tupleIJPjSI_NS0_16reverse_iteratorISI_EEEEENSH_IJSG_SG_SG_EEES9_SI_JZNS1_25segmented_radix_sort_implINS0_14default_configELb1EPKdPdPKlPlN2at6native12_GLOBAL__N_18offset_tEEE10hipError_tPvRmT1_PNSt15iterator_traitsIS12_E10value_typeET2_T3_PNS13_IS18_E10value_typeET4_jRbjT5_S1E_jjP12ihipStream_tbEUljE_ZNSN_ISO_Lb1ESQ_SR_ST_SU_SY_EESZ_S10_S11_S12_S16_S17_S18_S1B_S1C_jS1D_jS1E_S1E_jjS1G_bEUljE0_EEESZ_S10_S11_S18_S1C_S1E_T6_T7_T9_mT8_S1G_bDpT10_ENKUlT_T0_E_clISt17integral_constantIbLb1EES1U_EEDaS1P_S1Q_EUlS1P_E_NS1_11comp_targetILNS1_3genE9ELNS1_11target_archE1100ELNS1_3gpuE3ELNS1_3repE0EEENS1_30default_config_static_selectorELNS0_4arch9wavefront6targetE1EEEvS12_.has_recursion, 0
	.set _ZN7rocprim17ROCPRIM_400000_NS6detail17trampoline_kernelINS0_13select_configILj256ELj13ELNS0_17block_load_methodE3ELS4_3ELS4_3ELNS0_20block_scan_algorithmE0ELj4294967295EEENS1_25partition_config_selectorILNS1_17partition_subalgoE4EjNS0_10empty_typeEbEEZZNS1_14partition_implILS8_4ELb0ES6_15HIP_vector_typeIjLj2EENS0_17counting_iteratorIjlEEPS9_SG_NS0_5tupleIJPjSI_NS0_16reverse_iteratorISI_EEEEENSH_IJSG_SG_SG_EEES9_SI_JZNS1_25segmented_radix_sort_implINS0_14default_configELb1EPKdPdPKlPlN2at6native12_GLOBAL__N_18offset_tEEE10hipError_tPvRmT1_PNSt15iterator_traitsIS12_E10value_typeET2_T3_PNS13_IS18_E10value_typeET4_jRbjT5_S1E_jjP12ihipStream_tbEUljE_ZNSN_ISO_Lb1ESQ_SR_ST_SU_SY_EESZ_S10_S11_S12_S16_S17_S18_S1B_S1C_jS1D_jS1E_S1E_jjS1G_bEUljE0_EEESZ_S10_S11_S18_S1C_S1E_T6_T7_T9_mT8_S1G_bDpT10_ENKUlT_T0_E_clISt17integral_constantIbLb1EES1U_EEDaS1P_S1Q_EUlS1P_E_NS1_11comp_targetILNS1_3genE9ELNS1_11target_archE1100ELNS1_3gpuE3ELNS1_3repE0EEENS1_30default_config_static_selectorELNS0_4arch9wavefront6targetE1EEEvS12_.has_indirect_call, 0
	.section	.AMDGPU.csdata,"",@progbits
; Kernel info:
; codeLenInByte = 0
; TotalNumSgprs: 4
; NumVgprs: 0
; ScratchSize: 0
; MemoryBound: 0
; FloatMode: 240
; IeeeMode: 1
; LDSByteSize: 0 bytes/workgroup (compile time only)
; SGPRBlocks: 0
; VGPRBlocks: 0
; NumSGPRsForWavesPerEU: 4
; NumVGPRsForWavesPerEU: 1
; Occupancy: 10
; WaveLimiterHint : 0
; COMPUTE_PGM_RSRC2:SCRATCH_EN: 0
; COMPUTE_PGM_RSRC2:USER_SGPR: 6
; COMPUTE_PGM_RSRC2:TRAP_HANDLER: 0
; COMPUTE_PGM_RSRC2:TGID_X_EN: 1
; COMPUTE_PGM_RSRC2:TGID_Y_EN: 0
; COMPUTE_PGM_RSRC2:TGID_Z_EN: 0
; COMPUTE_PGM_RSRC2:TIDIG_COMP_CNT: 0
	.section	.text._ZN7rocprim17ROCPRIM_400000_NS6detail17trampoline_kernelINS0_13select_configILj256ELj13ELNS0_17block_load_methodE3ELS4_3ELS4_3ELNS0_20block_scan_algorithmE0ELj4294967295EEENS1_25partition_config_selectorILNS1_17partition_subalgoE4EjNS0_10empty_typeEbEEZZNS1_14partition_implILS8_4ELb0ES6_15HIP_vector_typeIjLj2EENS0_17counting_iteratorIjlEEPS9_SG_NS0_5tupleIJPjSI_NS0_16reverse_iteratorISI_EEEEENSH_IJSG_SG_SG_EEES9_SI_JZNS1_25segmented_radix_sort_implINS0_14default_configELb1EPKdPdPKlPlN2at6native12_GLOBAL__N_18offset_tEEE10hipError_tPvRmT1_PNSt15iterator_traitsIS12_E10value_typeET2_T3_PNS13_IS18_E10value_typeET4_jRbjT5_S1E_jjP12ihipStream_tbEUljE_ZNSN_ISO_Lb1ESQ_SR_ST_SU_SY_EESZ_S10_S11_S12_S16_S17_S18_S1B_S1C_jS1D_jS1E_S1E_jjS1G_bEUljE0_EEESZ_S10_S11_S18_S1C_S1E_T6_T7_T9_mT8_S1G_bDpT10_ENKUlT_T0_E_clISt17integral_constantIbLb1EES1U_EEDaS1P_S1Q_EUlS1P_E_NS1_11comp_targetILNS1_3genE8ELNS1_11target_archE1030ELNS1_3gpuE2ELNS1_3repE0EEENS1_30default_config_static_selectorELNS0_4arch9wavefront6targetE1EEEvS12_,"axG",@progbits,_ZN7rocprim17ROCPRIM_400000_NS6detail17trampoline_kernelINS0_13select_configILj256ELj13ELNS0_17block_load_methodE3ELS4_3ELS4_3ELNS0_20block_scan_algorithmE0ELj4294967295EEENS1_25partition_config_selectorILNS1_17partition_subalgoE4EjNS0_10empty_typeEbEEZZNS1_14partition_implILS8_4ELb0ES6_15HIP_vector_typeIjLj2EENS0_17counting_iteratorIjlEEPS9_SG_NS0_5tupleIJPjSI_NS0_16reverse_iteratorISI_EEEEENSH_IJSG_SG_SG_EEES9_SI_JZNS1_25segmented_radix_sort_implINS0_14default_configELb1EPKdPdPKlPlN2at6native12_GLOBAL__N_18offset_tEEE10hipError_tPvRmT1_PNSt15iterator_traitsIS12_E10value_typeET2_T3_PNS13_IS18_E10value_typeET4_jRbjT5_S1E_jjP12ihipStream_tbEUljE_ZNSN_ISO_Lb1ESQ_SR_ST_SU_SY_EESZ_S10_S11_S12_S16_S17_S18_S1B_S1C_jS1D_jS1E_S1E_jjS1G_bEUljE0_EEESZ_S10_S11_S18_S1C_S1E_T6_T7_T9_mT8_S1G_bDpT10_ENKUlT_T0_E_clISt17integral_constantIbLb1EES1U_EEDaS1P_S1Q_EUlS1P_E_NS1_11comp_targetILNS1_3genE8ELNS1_11target_archE1030ELNS1_3gpuE2ELNS1_3repE0EEENS1_30default_config_static_selectorELNS0_4arch9wavefront6targetE1EEEvS12_,comdat
	.globl	_ZN7rocprim17ROCPRIM_400000_NS6detail17trampoline_kernelINS0_13select_configILj256ELj13ELNS0_17block_load_methodE3ELS4_3ELS4_3ELNS0_20block_scan_algorithmE0ELj4294967295EEENS1_25partition_config_selectorILNS1_17partition_subalgoE4EjNS0_10empty_typeEbEEZZNS1_14partition_implILS8_4ELb0ES6_15HIP_vector_typeIjLj2EENS0_17counting_iteratorIjlEEPS9_SG_NS0_5tupleIJPjSI_NS0_16reverse_iteratorISI_EEEEENSH_IJSG_SG_SG_EEES9_SI_JZNS1_25segmented_radix_sort_implINS0_14default_configELb1EPKdPdPKlPlN2at6native12_GLOBAL__N_18offset_tEEE10hipError_tPvRmT1_PNSt15iterator_traitsIS12_E10value_typeET2_T3_PNS13_IS18_E10value_typeET4_jRbjT5_S1E_jjP12ihipStream_tbEUljE_ZNSN_ISO_Lb1ESQ_SR_ST_SU_SY_EESZ_S10_S11_S12_S16_S17_S18_S1B_S1C_jS1D_jS1E_S1E_jjS1G_bEUljE0_EEESZ_S10_S11_S18_S1C_S1E_T6_T7_T9_mT8_S1G_bDpT10_ENKUlT_T0_E_clISt17integral_constantIbLb1EES1U_EEDaS1P_S1Q_EUlS1P_E_NS1_11comp_targetILNS1_3genE8ELNS1_11target_archE1030ELNS1_3gpuE2ELNS1_3repE0EEENS1_30default_config_static_selectorELNS0_4arch9wavefront6targetE1EEEvS12_ ; -- Begin function _ZN7rocprim17ROCPRIM_400000_NS6detail17trampoline_kernelINS0_13select_configILj256ELj13ELNS0_17block_load_methodE3ELS4_3ELS4_3ELNS0_20block_scan_algorithmE0ELj4294967295EEENS1_25partition_config_selectorILNS1_17partition_subalgoE4EjNS0_10empty_typeEbEEZZNS1_14partition_implILS8_4ELb0ES6_15HIP_vector_typeIjLj2EENS0_17counting_iteratorIjlEEPS9_SG_NS0_5tupleIJPjSI_NS0_16reverse_iteratorISI_EEEEENSH_IJSG_SG_SG_EEES9_SI_JZNS1_25segmented_radix_sort_implINS0_14default_configELb1EPKdPdPKlPlN2at6native12_GLOBAL__N_18offset_tEEE10hipError_tPvRmT1_PNSt15iterator_traitsIS12_E10value_typeET2_T3_PNS13_IS18_E10value_typeET4_jRbjT5_S1E_jjP12ihipStream_tbEUljE_ZNSN_ISO_Lb1ESQ_SR_ST_SU_SY_EESZ_S10_S11_S12_S16_S17_S18_S1B_S1C_jS1D_jS1E_S1E_jjS1G_bEUljE0_EEESZ_S10_S11_S18_S1C_S1E_T6_T7_T9_mT8_S1G_bDpT10_ENKUlT_T0_E_clISt17integral_constantIbLb1EES1U_EEDaS1P_S1Q_EUlS1P_E_NS1_11comp_targetILNS1_3genE8ELNS1_11target_archE1030ELNS1_3gpuE2ELNS1_3repE0EEENS1_30default_config_static_selectorELNS0_4arch9wavefront6targetE1EEEvS12_
	.p2align	8
	.type	_ZN7rocprim17ROCPRIM_400000_NS6detail17trampoline_kernelINS0_13select_configILj256ELj13ELNS0_17block_load_methodE3ELS4_3ELS4_3ELNS0_20block_scan_algorithmE0ELj4294967295EEENS1_25partition_config_selectorILNS1_17partition_subalgoE4EjNS0_10empty_typeEbEEZZNS1_14partition_implILS8_4ELb0ES6_15HIP_vector_typeIjLj2EENS0_17counting_iteratorIjlEEPS9_SG_NS0_5tupleIJPjSI_NS0_16reverse_iteratorISI_EEEEENSH_IJSG_SG_SG_EEES9_SI_JZNS1_25segmented_radix_sort_implINS0_14default_configELb1EPKdPdPKlPlN2at6native12_GLOBAL__N_18offset_tEEE10hipError_tPvRmT1_PNSt15iterator_traitsIS12_E10value_typeET2_T3_PNS13_IS18_E10value_typeET4_jRbjT5_S1E_jjP12ihipStream_tbEUljE_ZNSN_ISO_Lb1ESQ_SR_ST_SU_SY_EESZ_S10_S11_S12_S16_S17_S18_S1B_S1C_jS1D_jS1E_S1E_jjS1G_bEUljE0_EEESZ_S10_S11_S18_S1C_S1E_T6_T7_T9_mT8_S1G_bDpT10_ENKUlT_T0_E_clISt17integral_constantIbLb1EES1U_EEDaS1P_S1Q_EUlS1P_E_NS1_11comp_targetILNS1_3genE8ELNS1_11target_archE1030ELNS1_3gpuE2ELNS1_3repE0EEENS1_30default_config_static_selectorELNS0_4arch9wavefront6targetE1EEEvS12_,@function
_ZN7rocprim17ROCPRIM_400000_NS6detail17trampoline_kernelINS0_13select_configILj256ELj13ELNS0_17block_load_methodE3ELS4_3ELS4_3ELNS0_20block_scan_algorithmE0ELj4294967295EEENS1_25partition_config_selectorILNS1_17partition_subalgoE4EjNS0_10empty_typeEbEEZZNS1_14partition_implILS8_4ELb0ES6_15HIP_vector_typeIjLj2EENS0_17counting_iteratorIjlEEPS9_SG_NS0_5tupleIJPjSI_NS0_16reverse_iteratorISI_EEEEENSH_IJSG_SG_SG_EEES9_SI_JZNS1_25segmented_radix_sort_implINS0_14default_configELb1EPKdPdPKlPlN2at6native12_GLOBAL__N_18offset_tEEE10hipError_tPvRmT1_PNSt15iterator_traitsIS12_E10value_typeET2_T3_PNS13_IS18_E10value_typeET4_jRbjT5_S1E_jjP12ihipStream_tbEUljE_ZNSN_ISO_Lb1ESQ_SR_ST_SU_SY_EESZ_S10_S11_S12_S16_S17_S18_S1B_S1C_jS1D_jS1E_S1E_jjS1G_bEUljE0_EEESZ_S10_S11_S18_S1C_S1E_T6_T7_T9_mT8_S1G_bDpT10_ENKUlT_T0_E_clISt17integral_constantIbLb1EES1U_EEDaS1P_S1Q_EUlS1P_E_NS1_11comp_targetILNS1_3genE8ELNS1_11target_archE1030ELNS1_3gpuE2ELNS1_3repE0EEENS1_30default_config_static_selectorELNS0_4arch9wavefront6targetE1EEEvS12_: ; @_ZN7rocprim17ROCPRIM_400000_NS6detail17trampoline_kernelINS0_13select_configILj256ELj13ELNS0_17block_load_methodE3ELS4_3ELS4_3ELNS0_20block_scan_algorithmE0ELj4294967295EEENS1_25partition_config_selectorILNS1_17partition_subalgoE4EjNS0_10empty_typeEbEEZZNS1_14partition_implILS8_4ELb0ES6_15HIP_vector_typeIjLj2EENS0_17counting_iteratorIjlEEPS9_SG_NS0_5tupleIJPjSI_NS0_16reverse_iteratorISI_EEEEENSH_IJSG_SG_SG_EEES9_SI_JZNS1_25segmented_radix_sort_implINS0_14default_configELb1EPKdPdPKlPlN2at6native12_GLOBAL__N_18offset_tEEE10hipError_tPvRmT1_PNSt15iterator_traitsIS12_E10value_typeET2_T3_PNS13_IS18_E10value_typeET4_jRbjT5_S1E_jjP12ihipStream_tbEUljE_ZNSN_ISO_Lb1ESQ_SR_ST_SU_SY_EESZ_S10_S11_S12_S16_S17_S18_S1B_S1C_jS1D_jS1E_S1E_jjS1G_bEUljE0_EEESZ_S10_S11_S18_S1C_S1E_T6_T7_T9_mT8_S1G_bDpT10_ENKUlT_T0_E_clISt17integral_constantIbLb1EES1U_EEDaS1P_S1Q_EUlS1P_E_NS1_11comp_targetILNS1_3genE8ELNS1_11target_archE1030ELNS1_3gpuE2ELNS1_3repE0EEENS1_30default_config_static_selectorELNS0_4arch9wavefront6targetE1EEEvS12_
; %bb.0:
	.section	.rodata,"a",@progbits
	.p2align	6, 0x0
	.amdhsa_kernel _ZN7rocprim17ROCPRIM_400000_NS6detail17trampoline_kernelINS0_13select_configILj256ELj13ELNS0_17block_load_methodE3ELS4_3ELS4_3ELNS0_20block_scan_algorithmE0ELj4294967295EEENS1_25partition_config_selectorILNS1_17partition_subalgoE4EjNS0_10empty_typeEbEEZZNS1_14partition_implILS8_4ELb0ES6_15HIP_vector_typeIjLj2EENS0_17counting_iteratorIjlEEPS9_SG_NS0_5tupleIJPjSI_NS0_16reverse_iteratorISI_EEEEENSH_IJSG_SG_SG_EEES9_SI_JZNS1_25segmented_radix_sort_implINS0_14default_configELb1EPKdPdPKlPlN2at6native12_GLOBAL__N_18offset_tEEE10hipError_tPvRmT1_PNSt15iterator_traitsIS12_E10value_typeET2_T3_PNS13_IS18_E10value_typeET4_jRbjT5_S1E_jjP12ihipStream_tbEUljE_ZNSN_ISO_Lb1ESQ_SR_ST_SU_SY_EESZ_S10_S11_S12_S16_S17_S18_S1B_S1C_jS1D_jS1E_S1E_jjS1G_bEUljE0_EEESZ_S10_S11_S18_S1C_S1E_T6_T7_T9_mT8_S1G_bDpT10_ENKUlT_T0_E_clISt17integral_constantIbLb1EES1U_EEDaS1P_S1Q_EUlS1P_E_NS1_11comp_targetILNS1_3genE8ELNS1_11target_archE1030ELNS1_3gpuE2ELNS1_3repE0EEENS1_30default_config_static_selectorELNS0_4arch9wavefront6targetE1EEEvS12_
		.amdhsa_group_segment_fixed_size 0
		.amdhsa_private_segment_fixed_size 0
		.amdhsa_kernarg_size 184
		.amdhsa_user_sgpr_count 6
		.amdhsa_user_sgpr_private_segment_buffer 1
		.amdhsa_user_sgpr_dispatch_ptr 0
		.amdhsa_user_sgpr_queue_ptr 0
		.amdhsa_user_sgpr_kernarg_segment_ptr 1
		.amdhsa_user_sgpr_dispatch_id 0
		.amdhsa_user_sgpr_flat_scratch_init 0
		.amdhsa_user_sgpr_private_segment_size 0
		.amdhsa_uses_dynamic_stack 0
		.amdhsa_system_sgpr_private_segment_wavefront_offset 0
		.amdhsa_system_sgpr_workgroup_id_x 1
		.amdhsa_system_sgpr_workgroup_id_y 0
		.amdhsa_system_sgpr_workgroup_id_z 0
		.amdhsa_system_sgpr_workgroup_info 0
		.amdhsa_system_vgpr_workitem_id 0
		.amdhsa_next_free_vgpr 1
		.amdhsa_next_free_sgpr 0
		.amdhsa_reserve_vcc 0
		.amdhsa_reserve_flat_scratch 0
		.amdhsa_float_round_mode_32 0
		.amdhsa_float_round_mode_16_64 0
		.amdhsa_float_denorm_mode_32 3
		.amdhsa_float_denorm_mode_16_64 3
		.amdhsa_dx10_clamp 1
		.amdhsa_ieee_mode 1
		.amdhsa_fp16_overflow 0
		.amdhsa_exception_fp_ieee_invalid_op 0
		.amdhsa_exception_fp_denorm_src 0
		.amdhsa_exception_fp_ieee_div_zero 0
		.amdhsa_exception_fp_ieee_overflow 0
		.amdhsa_exception_fp_ieee_underflow 0
		.amdhsa_exception_fp_ieee_inexact 0
		.amdhsa_exception_int_div_zero 0
	.end_amdhsa_kernel
	.section	.text._ZN7rocprim17ROCPRIM_400000_NS6detail17trampoline_kernelINS0_13select_configILj256ELj13ELNS0_17block_load_methodE3ELS4_3ELS4_3ELNS0_20block_scan_algorithmE0ELj4294967295EEENS1_25partition_config_selectorILNS1_17partition_subalgoE4EjNS0_10empty_typeEbEEZZNS1_14partition_implILS8_4ELb0ES6_15HIP_vector_typeIjLj2EENS0_17counting_iteratorIjlEEPS9_SG_NS0_5tupleIJPjSI_NS0_16reverse_iteratorISI_EEEEENSH_IJSG_SG_SG_EEES9_SI_JZNS1_25segmented_radix_sort_implINS0_14default_configELb1EPKdPdPKlPlN2at6native12_GLOBAL__N_18offset_tEEE10hipError_tPvRmT1_PNSt15iterator_traitsIS12_E10value_typeET2_T3_PNS13_IS18_E10value_typeET4_jRbjT5_S1E_jjP12ihipStream_tbEUljE_ZNSN_ISO_Lb1ESQ_SR_ST_SU_SY_EESZ_S10_S11_S12_S16_S17_S18_S1B_S1C_jS1D_jS1E_S1E_jjS1G_bEUljE0_EEESZ_S10_S11_S18_S1C_S1E_T6_T7_T9_mT8_S1G_bDpT10_ENKUlT_T0_E_clISt17integral_constantIbLb1EES1U_EEDaS1P_S1Q_EUlS1P_E_NS1_11comp_targetILNS1_3genE8ELNS1_11target_archE1030ELNS1_3gpuE2ELNS1_3repE0EEENS1_30default_config_static_selectorELNS0_4arch9wavefront6targetE1EEEvS12_,"axG",@progbits,_ZN7rocprim17ROCPRIM_400000_NS6detail17trampoline_kernelINS0_13select_configILj256ELj13ELNS0_17block_load_methodE3ELS4_3ELS4_3ELNS0_20block_scan_algorithmE0ELj4294967295EEENS1_25partition_config_selectorILNS1_17partition_subalgoE4EjNS0_10empty_typeEbEEZZNS1_14partition_implILS8_4ELb0ES6_15HIP_vector_typeIjLj2EENS0_17counting_iteratorIjlEEPS9_SG_NS0_5tupleIJPjSI_NS0_16reverse_iteratorISI_EEEEENSH_IJSG_SG_SG_EEES9_SI_JZNS1_25segmented_radix_sort_implINS0_14default_configELb1EPKdPdPKlPlN2at6native12_GLOBAL__N_18offset_tEEE10hipError_tPvRmT1_PNSt15iterator_traitsIS12_E10value_typeET2_T3_PNS13_IS18_E10value_typeET4_jRbjT5_S1E_jjP12ihipStream_tbEUljE_ZNSN_ISO_Lb1ESQ_SR_ST_SU_SY_EESZ_S10_S11_S12_S16_S17_S18_S1B_S1C_jS1D_jS1E_S1E_jjS1G_bEUljE0_EEESZ_S10_S11_S18_S1C_S1E_T6_T7_T9_mT8_S1G_bDpT10_ENKUlT_T0_E_clISt17integral_constantIbLb1EES1U_EEDaS1P_S1Q_EUlS1P_E_NS1_11comp_targetILNS1_3genE8ELNS1_11target_archE1030ELNS1_3gpuE2ELNS1_3repE0EEENS1_30default_config_static_selectorELNS0_4arch9wavefront6targetE1EEEvS12_,comdat
.Lfunc_end1069:
	.size	_ZN7rocprim17ROCPRIM_400000_NS6detail17trampoline_kernelINS0_13select_configILj256ELj13ELNS0_17block_load_methodE3ELS4_3ELS4_3ELNS0_20block_scan_algorithmE0ELj4294967295EEENS1_25partition_config_selectorILNS1_17partition_subalgoE4EjNS0_10empty_typeEbEEZZNS1_14partition_implILS8_4ELb0ES6_15HIP_vector_typeIjLj2EENS0_17counting_iteratorIjlEEPS9_SG_NS0_5tupleIJPjSI_NS0_16reverse_iteratorISI_EEEEENSH_IJSG_SG_SG_EEES9_SI_JZNS1_25segmented_radix_sort_implINS0_14default_configELb1EPKdPdPKlPlN2at6native12_GLOBAL__N_18offset_tEEE10hipError_tPvRmT1_PNSt15iterator_traitsIS12_E10value_typeET2_T3_PNS13_IS18_E10value_typeET4_jRbjT5_S1E_jjP12ihipStream_tbEUljE_ZNSN_ISO_Lb1ESQ_SR_ST_SU_SY_EESZ_S10_S11_S12_S16_S17_S18_S1B_S1C_jS1D_jS1E_S1E_jjS1G_bEUljE0_EEESZ_S10_S11_S18_S1C_S1E_T6_T7_T9_mT8_S1G_bDpT10_ENKUlT_T0_E_clISt17integral_constantIbLb1EES1U_EEDaS1P_S1Q_EUlS1P_E_NS1_11comp_targetILNS1_3genE8ELNS1_11target_archE1030ELNS1_3gpuE2ELNS1_3repE0EEENS1_30default_config_static_selectorELNS0_4arch9wavefront6targetE1EEEvS12_, .Lfunc_end1069-_ZN7rocprim17ROCPRIM_400000_NS6detail17trampoline_kernelINS0_13select_configILj256ELj13ELNS0_17block_load_methodE3ELS4_3ELS4_3ELNS0_20block_scan_algorithmE0ELj4294967295EEENS1_25partition_config_selectorILNS1_17partition_subalgoE4EjNS0_10empty_typeEbEEZZNS1_14partition_implILS8_4ELb0ES6_15HIP_vector_typeIjLj2EENS0_17counting_iteratorIjlEEPS9_SG_NS0_5tupleIJPjSI_NS0_16reverse_iteratorISI_EEEEENSH_IJSG_SG_SG_EEES9_SI_JZNS1_25segmented_radix_sort_implINS0_14default_configELb1EPKdPdPKlPlN2at6native12_GLOBAL__N_18offset_tEEE10hipError_tPvRmT1_PNSt15iterator_traitsIS12_E10value_typeET2_T3_PNS13_IS18_E10value_typeET4_jRbjT5_S1E_jjP12ihipStream_tbEUljE_ZNSN_ISO_Lb1ESQ_SR_ST_SU_SY_EESZ_S10_S11_S12_S16_S17_S18_S1B_S1C_jS1D_jS1E_S1E_jjS1G_bEUljE0_EEESZ_S10_S11_S18_S1C_S1E_T6_T7_T9_mT8_S1G_bDpT10_ENKUlT_T0_E_clISt17integral_constantIbLb1EES1U_EEDaS1P_S1Q_EUlS1P_E_NS1_11comp_targetILNS1_3genE8ELNS1_11target_archE1030ELNS1_3gpuE2ELNS1_3repE0EEENS1_30default_config_static_selectorELNS0_4arch9wavefront6targetE1EEEvS12_
                                        ; -- End function
	.set _ZN7rocprim17ROCPRIM_400000_NS6detail17trampoline_kernelINS0_13select_configILj256ELj13ELNS0_17block_load_methodE3ELS4_3ELS4_3ELNS0_20block_scan_algorithmE0ELj4294967295EEENS1_25partition_config_selectorILNS1_17partition_subalgoE4EjNS0_10empty_typeEbEEZZNS1_14partition_implILS8_4ELb0ES6_15HIP_vector_typeIjLj2EENS0_17counting_iteratorIjlEEPS9_SG_NS0_5tupleIJPjSI_NS0_16reverse_iteratorISI_EEEEENSH_IJSG_SG_SG_EEES9_SI_JZNS1_25segmented_radix_sort_implINS0_14default_configELb1EPKdPdPKlPlN2at6native12_GLOBAL__N_18offset_tEEE10hipError_tPvRmT1_PNSt15iterator_traitsIS12_E10value_typeET2_T3_PNS13_IS18_E10value_typeET4_jRbjT5_S1E_jjP12ihipStream_tbEUljE_ZNSN_ISO_Lb1ESQ_SR_ST_SU_SY_EESZ_S10_S11_S12_S16_S17_S18_S1B_S1C_jS1D_jS1E_S1E_jjS1G_bEUljE0_EEESZ_S10_S11_S18_S1C_S1E_T6_T7_T9_mT8_S1G_bDpT10_ENKUlT_T0_E_clISt17integral_constantIbLb1EES1U_EEDaS1P_S1Q_EUlS1P_E_NS1_11comp_targetILNS1_3genE8ELNS1_11target_archE1030ELNS1_3gpuE2ELNS1_3repE0EEENS1_30default_config_static_selectorELNS0_4arch9wavefront6targetE1EEEvS12_.num_vgpr, 0
	.set _ZN7rocprim17ROCPRIM_400000_NS6detail17trampoline_kernelINS0_13select_configILj256ELj13ELNS0_17block_load_methodE3ELS4_3ELS4_3ELNS0_20block_scan_algorithmE0ELj4294967295EEENS1_25partition_config_selectorILNS1_17partition_subalgoE4EjNS0_10empty_typeEbEEZZNS1_14partition_implILS8_4ELb0ES6_15HIP_vector_typeIjLj2EENS0_17counting_iteratorIjlEEPS9_SG_NS0_5tupleIJPjSI_NS0_16reverse_iteratorISI_EEEEENSH_IJSG_SG_SG_EEES9_SI_JZNS1_25segmented_radix_sort_implINS0_14default_configELb1EPKdPdPKlPlN2at6native12_GLOBAL__N_18offset_tEEE10hipError_tPvRmT1_PNSt15iterator_traitsIS12_E10value_typeET2_T3_PNS13_IS18_E10value_typeET4_jRbjT5_S1E_jjP12ihipStream_tbEUljE_ZNSN_ISO_Lb1ESQ_SR_ST_SU_SY_EESZ_S10_S11_S12_S16_S17_S18_S1B_S1C_jS1D_jS1E_S1E_jjS1G_bEUljE0_EEESZ_S10_S11_S18_S1C_S1E_T6_T7_T9_mT8_S1G_bDpT10_ENKUlT_T0_E_clISt17integral_constantIbLb1EES1U_EEDaS1P_S1Q_EUlS1P_E_NS1_11comp_targetILNS1_3genE8ELNS1_11target_archE1030ELNS1_3gpuE2ELNS1_3repE0EEENS1_30default_config_static_selectorELNS0_4arch9wavefront6targetE1EEEvS12_.num_agpr, 0
	.set _ZN7rocprim17ROCPRIM_400000_NS6detail17trampoline_kernelINS0_13select_configILj256ELj13ELNS0_17block_load_methodE3ELS4_3ELS4_3ELNS0_20block_scan_algorithmE0ELj4294967295EEENS1_25partition_config_selectorILNS1_17partition_subalgoE4EjNS0_10empty_typeEbEEZZNS1_14partition_implILS8_4ELb0ES6_15HIP_vector_typeIjLj2EENS0_17counting_iteratorIjlEEPS9_SG_NS0_5tupleIJPjSI_NS0_16reverse_iteratorISI_EEEEENSH_IJSG_SG_SG_EEES9_SI_JZNS1_25segmented_radix_sort_implINS0_14default_configELb1EPKdPdPKlPlN2at6native12_GLOBAL__N_18offset_tEEE10hipError_tPvRmT1_PNSt15iterator_traitsIS12_E10value_typeET2_T3_PNS13_IS18_E10value_typeET4_jRbjT5_S1E_jjP12ihipStream_tbEUljE_ZNSN_ISO_Lb1ESQ_SR_ST_SU_SY_EESZ_S10_S11_S12_S16_S17_S18_S1B_S1C_jS1D_jS1E_S1E_jjS1G_bEUljE0_EEESZ_S10_S11_S18_S1C_S1E_T6_T7_T9_mT8_S1G_bDpT10_ENKUlT_T0_E_clISt17integral_constantIbLb1EES1U_EEDaS1P_S1Q_EUlS1P_E_NS1_11comp_targetILNS1_3genE8ELNS1_11target_archE1030ELNS1_3gpuE2ELNS1_3repE0EEENS1_30default_config_static_selectorELNS0_4arch9wavefront6targetE1EEEvS12_.numbered_sgpr, 0
	.set _ZN7rocprim17ROCPRIM_400000_NS6detail17trampoline_kernelINS0_13select_configILj256ELj13ELNS0_17block_load_methodE3ELS4_3ELS4_3ELNS0_20block_scan_algorithmE0ELj4294967295EEENS1_25partition_config_selectorILNS1_17partition_subalgoE4EjNS0_10empty_typeEbEEZZNS1_14partition_implILS8_4ELb0ES6_15HIP_vector_typeIjLj2EENS0_17counting_iteratorIjlEEPS9_SG_NS0_5tupleIJPjSI_NS0_16reverse_iteratorISI_EEEEENSH_IJSG_SG_SG_EEES9_SI_JZNS1_25segmented_radix_sort_implINS0_14default_configELb1EPKdPdPKlPlN2at6native12_GLOBAL__N_18offset_tEEE10hipError_tPvRmT1_PNSt15iterator_traitsIS12_E10value_typeET2_T3_PNS13_IS18_E10value_typeET4_jRbjT5_S1E_jjP12ihipStream_tbEUljE_ZNSN_ISO_Lb1ESQ_SR_ST_SU_SY_EESZ_S10_S11_S12_S16_S17_S18_S1B_S1C_jS1D_jS1E_S1E_jjS1G_bEUljE0_EEESZ_S10_S11_S18_S1C_S1E_T6_T7_T9_mT8_S1G_bDpT10_ENKUlT_T0_E_clISt17integral_constantIbLb1EES1U_EEDaS1P_S1Q_EUlS1P_E_NS1_11comp_targetILNS1_3genE8ELNS1_11target_archE1030ELNS1_3gpuE2ELNS1_3repE0EEENS1_30default_config_static_selectorELNS0_4arch9wavefront6targetE1EEEvS12_.num_named_barrier, 0
	.set _ZN7rocprim17ROCPRIM_400000_NS6detail17trampoline_kernelINS0_13select_configILj256ELj13ELNS0_17block_load_methodE3ELS4_3ELS4_3ELNS0_20block_scan_algorithmE0ELj4294967295EEENS1_25partition_config_selectorILNS1_17partition_subalgoE4EjNS0_10empty_typeEbEEZZNS1_14partition_implILS8_4ELb0ES6_15HIP_vector_typeIjLj2EENS0_17counting_iteratorIjlEEPS9_SG_NS0_5tupleIJPjSI_NS0_16reverse_iteratorISI_EEEEENSH_IJSG_SG_SG_EEES9_SI_JZNS1_25segmented_radix_sort_implINS0_14default_configELb1EPKdPdPKlPlN2at6native12_GLOBAL__N_18offset_tEEE10hipError_tPvRmT1_PNSt15iterator_traitsIS12_E10value_typeET2_T3_PNS13_IS18_E10value_typeET4_jRbjT5_S1E_jjP12ihipStream_tbEUljE_ZNSN_ISO_Lb1ESQ_SR_ST_SU_SY_EESZ_S10_S11_S12_S16_S17_S18_S1B_S1C_jS1D_jS1E_S1E_jjS1G_bEUljE0_EEESZ_S10_S11_S18_S1C_S1E_T6_T7_T9_mT8_S1G_bDpT10_ENKUlT_T0_E_clISt17integral_constantIbLb1EES1U_EEDaS1P_S1Q_EUlS1P_E_NS1_11comp_targetILNS1_3genE8ELNS1_11target_archE1030ELNS1_3gpuE2ELNS1_3repE0EEENS1_30default_config_static_selectorELNS0_4arch9wavefront6targetE1EEEvS12_.private_seg_size, 0
	.set _ZN7rocprim17ROCPRIM_400000_NS6detail17trampoline_kernelINS0_13select_configILj256ELj13ELNS0_17block_load_methodE3ELS4_3ELS4_3ELNS0_20block_scan_algorithmE0ELj4294967295EEENS1_25partition_config_selectorILNS1_17partition_subalgoE4EjNS0_10empty_typeEbEEZZNS1_14partition_implILS8_4ELb0ES6_15HIP_vector_typeIjLj2EENS0_17counting_iteratorIjlEEPS9_SG_NS0_5tupleIJPjSI_NS0_16reverse_iteratorISI_EEEEENSH_IJSG_SG_SG_EEES9_SI_JZNS1_25segmented_radix_sort_implINS0_14default_configELb1EPKdPdPKlPlN2at6native12_GLOBAL__N_18offset_tEEE10hipError_tPvRmT1_PNSt15iterator_traitsIS12_E10value_typeET2_T3_PNS13_IS18_E10value_typeET4_jRbjT5_S1E_jjP12ihipStream_tbEUljE_ZNSN_ISO_Lb1ESQ_SR_ST_SU_SY_EESZ_S10_S11_S12_S16_S17_S18_S1B_S1C_jS1D_jS1E_S1E_jjS1G_bEUljE0_EEESZ_S10_S11_S18_S1C_S1E_T6_T7_T9_mT8_S1G_bDpT10_ENKUlT_T0_E_clISt17integral_constantIbLb1EES1U_EEDaS1P_S1Q_EUlS1P_E_NS1_11comp_targetILNS1_3genE8ELNS1_11target_archE1030ELNS1_3gpuE2ELNS1_3repE0EEENS1_30default_config_static_selectorELNS0_4arch9wavefront6targetE1EEEvS12_.uses_vcc, 0
	.set _ZN7rocprim17ROCPRIM_400000_NS6detail17trampoline_kernelINS0_13select_configILj256ELj13ELNS0_17block_load_methodE3ELS4_3ELS4_3ELNS0_20block_scan_algorithmE0ELj4294967295EEENS1_25partition_config_selectorILNS1_17partition_subalgoE4EjNS0_10empty_typeEbEEZZNS1_14partition_implILS8_4ELb0ES6_15HIP_vector_typeIjLj2EENS0_17counting_iteratorIjlEEPS9_SG_NS0_5tupleIJPjSI_NS0_16reverse_iteratorISI_EEEEENSH_IJSG_SG_SG_EEES9_SI_JZNS1_25segmented_radix_sort_implINS0_14default_configELb1EPKdPdPKlPlN2at6native12_GLOBAL__N_18offset_tEEE10hipError_tPvRmT1_PNSt15iterator_traitsIS12_E10value_typeET2_T3_PNS13_IS18_E10value_typeET4_jRbjT5_S1E_jjP12ihipStream_tbEUljE_ZNSN_ISO_Lb1ESQ_SR_ST_SU_SY_EESZ_S10_S11_S12_S16_S17_S18_S1B_S1C_jS1D_jS1E_S1E_jjS1G_bEUljE0_EEESZ_S10_S11_S18_S1C_S1E_T6_T7_T9_mT8_S1G_bDpT10_ENKUlT_T0_E_clISt17integral_constantIbLb1EES1U_EEDaS1P_S1Q_EUlS1P_E_NS1_11comp_targetILNS1_3genE8ELNS1_11target_archE1030ELNS1_3gpuE2ELNS1_3repE0EEENS1_30default_config_static_selectorELNS0_4arch9wavefront6targetE1EEEvS12_.uses_flat_scratch, 0
	.set _ZN7rocprim17ROCPRIM_400000_NS6detail17trampoline_kernelINS0_13select_configILj256ELj13ELNS0_17block_load_methodE3ELS4_3ELS4_3ELNS0_20block_scan_algorithmE0ELj4294967295EEENS1_25partition_config_selectorILNS1_17partition_subalgoE4EjNS0_10empty_typeEbEEZZNS1_14partition_implILS8_4ELb0ES6_15HIP_vector_typeIjLj2EENS0_17counting_iteratorIjlEEPS9_SG_NS0_5tupleIJPjSI_NS0_16reverse_iteratorISI_EEEEENSH_IJSG_SG_SG_EEES9_SI_JZNS1_25segmented_radix_sort_implINS0_14default_configELb1EPKdPdPKlPlN2at6native12_GLOBAL__N_18offset_tEEE10hipError_tPvRmT1_PNSt15iterator_traitsIS12_E10value_typeET2_T3_PNS13_IS18_E10value_typeET4_jRbjT5_S1E_jjP12ihipStream_tbEUljE_ZNSN_ISO_Lb1ESQ_SR_ST_SU_SY_EESZ_S10_S11_S12_S16_S17_S18_S1B_S1C_jS1D_jS1E_S1E_jjS1G_bEUljE0_EEESZ_S10_S11_S18_S1C_S1E_T6_T7_T9_mT8_S1G_bDpT10_ENKUlT_T0_E_clISt17integral_constantIbLb1EES1U_EEDaS1P_S1Q_EUlS1P_E_NS1_11comp_targetILNS1_3genE8ELNS1_11target_archE1030ELNS1_3gpuE2ELNS1_3repE0EEENS1_30default_config_static_selectorELNS0_4arch9wavefront6targetE1EEEvS12_.has_dyn_sized_stack, 0
	.set _ZN7rocprim17ROCPRIM_400000_NS6detail17trampoline_kernelINS0_13select_configILj256ELj13ELNS0_17block_load_methodE3ELS4_3ELS4_3ELNS0_20block_scan_algorithmE0ELj4294967295EEENS1_25partition_config_selectorILNS1_17partition_subalgoE4EjNS0_10empty_typeEbEEZZNS1_14partition_implILS8_4ELb0ES6_15HIP_vector_typeIjLj2EENS0_17counting_iteratorIjlEEPS9_SG_NS0_5tupleIJPjSI_NS0_16reverse_iteratorISI_EEEEENSH_IJSG_SG_SG_EEES9_SI_JZNS1_25segmented_radix_sort_implINS0_14default_configELb1EPKdPdPKlPlN2at6native12_GLOBAL__N_18offset_tEEE10hipError_tPvRmT1_PNSt15iterator_traitsIS12_E10value_typeET2_T3_PNS13_IS18_E10value_typeET4_jRbjT5_S1E_jjP12ihipStream_tbEUljE_ZNSN_ISO_Lb1ESQ_SR_ST_SU_SY_EESZ_S10_S11_S12_S16_S17_S18_S1B_S1C_jS1D_jS1E_S1E_jjS1G_bEUljE0_EEESZ_S10_S11_S18_S1C_S1E_T6_T7_T9_mT8_S1G_bDpT10_ENKUlT_T0_E_clISt17integral_constantIbLb1EES1U_EEDaS1P_S1Q_EUlS1P_E_NS1_11comp_targetILNS1_3genE8ELNS1_11target_archE1030ELNS1_3gpuE2ELNS1_3repE0EEENS1_30default_config_static_selectorELNS0_4arch9wavefront6targetE1EEEvS12_.has_recursion, 0
	.set _ZN7rocprim17ROCPRIM_400000_NS6detail17trampoline_kernelINS0_13select_configILj256ELj13ELNS0_17block_load_methodE3ELS4_3ELS4_3ELNS0_20block_scan_algorithmE0ELj4294967295EEENS1_25partition_config_selectorILNS1_17partition_subalgoE4EjNS0_10empty_typeEbEEZZNS1_14partition_implILS8_4ELb0ES6_15HIP_vector_typeIjLj2EENS0_17counting_iteratorIjlEEPS9_SG_NS0_5tupleIJPjSI_NS0_16reverse_iteratorISI_EEEEENSH_IJSG_SG_SG_EEES9_SI_JZNS1_25segmented_radix_sort_implINS0_14default_configELb1EPKdPdPKlPlN2at6native12_GLOBAL__N_18offset_tEEE10hipError_tPvRmT1_PNSt15iterator_traitsIS12_E10value_typeET2_T3_PNS13_IS18_E10value_typeET4_jRbjT5_S1E_jjP12ihipStream_tbEUljE_ZNSN_ISO_Lb1ESQ_SR_ST_SU_SY_EESZ_S10_S11_S12_S16_S17_S18_S1B_S1C_jS1D_jS1E_S1E_jjS1G_bEUljE0_EEESZ_S10_S11_S18_S1C_S1E_T6_T7_T9_mT8_S1G_bDpT10_ENKUlT_T0_E_clISt17integral_constantIbLb1EES1U_EEDaS1P_S1Q_EUlS1P_E_NS1_11comp_targetILNS1_3genE8ELNS1_11target_archE1030ELNS1_3gpuE2ELNS1_3repE0EEENS1_30default_config_static_selectorELNS0_4arch9wavefront6targetE1EEEvS12_.has_indirect_call, 0
	.section	.AMDGPU.csdata,"",@progbits
; Kernel info:
; codeLenInByte = 0
; TotalNumSgprs: 4
; NumVgprs: 0
; ScratchSize: 0
; MemoryBound: 0
; FloatMode: 240
; IeeeMode: 1
; LDSByteSize: 0 bytes/workgroup (compile time only)
; SGPRBlocks: 0
; VGPRBlocks: 0
; NumSGPRsForWavesPerEU: 4
; NumVGPRsForWavesPerEU: 1
; Occupancy: 10
; WaveLimiterHint : 0
; COMPUTE_PGM_RSRC2:SCRATCH_EN: 0
; COMPUTE_PGM_RSRC2:USER_SGPR: 6
; COMPUTE_PGM_RSRC2:TRAP_HANDLER: 0
; COMPUTE_PGM_RSRC2:TGID_X_EN: 1
; COMPUTE_PGM_RSRC2:TGID_Y_EN: 0
; COMPUTE_PGM_RSRC2:TGID_Z_EN: 0
; COMPUTE_PGM_RSRC2:TIDIG_COMP_CNT: 0
	.section	.text._ZN7rocprim17ROCPRIM_400000_NS6detail17trampoline_kernelINS0_13select_configILj256ELj13ELNS0_17block_load_methodE3ELS4_3ELS4_3ELNS0_20block_scan_algorithmE0ELj4294967295EEENS1_25partition_config_selectorILNS1_17partition_subalgoE4EjNS0_10empty_typeEbEEZZNS1_14partition_implILS8_4ELb0ES6_15HIP_vector_typeIjLj2EENS0_17counting_iteratorIjlEEPS9_SG_NS0_5tupleIJPjSI_NS0_16reverse_iteratorISI_EEEEENSH_IJSG_SG_SG_EEES9_SI_JZNS1_25segmented_radix_sort_implINS0_14default_configELb1EPKdPdPKlPlN2at6native12_GLOBAL__N_18offset_tEEE10hipError_tPvRmT1_PNSt15iterator_traitsIS12_E10value_typeET2_T3_PNS13_IS18_E10value_typeET4_jRbjT5_S1E_jjP12ihipStream_tbEUljE_ZNSN_ISO_Lb1ESQ_SR_ST_SU_SY_EESZ_S10_S11_S12_S16_S17_S18_S1B_S1C_jS1D_jS1E_S1E_jjS1G_bEUljE0_EEESZ_S10_S11_S18_S1C_S1E_T6_T7_T9_mT8_S1G_bDpT10_ENKUlT_T0_E_clISt17integral_constantIbLb1EES1T_IbLb0EEEEDaS1P_S1Q_EUlS1P_E_NS1_11comp_targetILNS1_3genE0ELNS1_11target_archE4294967295ELNS1_3gpuE0ELNS1_3repE0EEENS1_30default_config_static_selectorELNS0_4arch9wavefront6targetE1EEEvS12_,"axG",@progbits,_ZN7rocprim17ROCPRIM_400000_NS6detail17trampoline_kernelINS0_13select_configILj256ELj13ELNS0_17block_load_methodE3ELS4_3ELS4_3ELNS0_20block_scan_algorithmE0ELj4294967295EEENS1_25partition_config_selectorILNS1_17partition_subalgoE4EjNS0_10empty_typeEbEEZZNS1_14partition_implILS8_4ELb0ES6_15HIP_vector_typeIjLj2EENS0_17counting_iteratorIjlEEPS9_SG_NS0_5tupleIJPjSI_NS0_16reverse_iteratorISI_EEEEENSH_IJSG_SG_SG_EEES9_SI_JZNS1_25segmented_radix_sort_implINS0_14default_configELb1EPKdPdPKlPlN2at6native12_GLOBAL__N_18offset_tEEE10hipError_tPvRmT1_PNSt15iterator_traitsIS12_E10value_typeET2_T3_PNS13_IS18_E10value_typeET4_jRbjT5_S1E_jjP12ihipStream_tbEUljE_ZNSN_ISO_Lb1ESQ_SR_ST_SU_SY_EESZ_S10_S11_S12_S16_S17_S18_S1B_S1C_jS1D_jS1E_S1E_jjS1G_bEUljE0_EEESZ_S10_S11_S18_S1C_S1E_T6_T7_T9_mT8_S1G_bDpT10_ENKUlT_T0_E_clISt17integral_constantIbLb1EES1T_IbLb0EEEEDaS1P_S1Q_EUlS1P_E_NS1_11comp_targetILNS1_3genE0ELNS1_11target_archE4294967295ELNS1_3gpuE0ELNS1_3repE0EEENS1_30default_config_static_selectorELNS0_4arch9wavefront6targetE1EEEvS12_,comdat
	.globl	_ZN7rocprim17ROCPRIM_400000_NS6detail17trampoline_kernelINS0_13select_configILj256ELj13ELNS0_17block_load_methodE3ELS4_3ELS4_3ELNS0_20block_scan_algorithmE0ELj4294967295EEENS1_25partition_config_selectorILNS1_17partition_subalgoE4EjNS0_10empty_typeEbEEZZNS1_14partition_implILS8_4ELb0ES6_15HIP_vector_typeIjLj2EENS0_17counting_iteratorIjlEEPS9_SG_NS0_5tupleIJPjSI_NS0_16reverse_iteratorISI_EEEEENSH_IJSG_SG_SG_EEES9_SI_JZNS1_25segmented_radix_sort_implINS0_14default_configELb1EPKdPdPKlPlN2at6native12_GLOBAL__N_18offset_tEEE10hipError_tPvRmT1_PNSt15iterator_traitsIS12_E10value_typeET2_T3_PNS13_IS18_E10value_typeET4_jRbjT5_S1E_jjP12ihipStream_tbEUljE_ZNSN_ISO_Lb1ESQ_SR_ST_SU_SY_EESZ_S10_S11_S12_S16_S17_S18_S1B_S1C_jS1D_jS1E_S1E_jjS1G_bEUljE0_EEESZ_S10_S11_S18_S1C_S1E_T6_T7_T9_mT8_S1G_bDpT10_ENKUlT_T0_E_clISt17integral_constantIbLb1EES1T_IbLb0EEEEDaS1P_S1Q_EUlS1P_E_NS1_11comp_targetILNS1_3genE0ELNS1_11target_archE4294967295ELNS1_3gpuE0ELNS1_3repE0EEENS1_30default_config_static_selectorELNS0_4arch9wavefront6targetE1EEEvS12_ ; -- Begin function _ZN7rocprim17ROCPRIM_400000_NS6detail17trampoline_kernelINS0_13select_configILj256ELj13ELNS0_17block_load_methodE3ELS4_3ELS4_3ELNS0_20block_scan_algorithmE0ELj4294967295EEENS1_25partition_config_selectorILNS1_17partition_subalgoE4EjNS0_10empty_typeEbEEZZNS1_14partition_implILS8_4ELb0ES6_15HIP_vector_typeIjLj2EENS0_17counting_iteratorIjlEEPS9_SG_NS0_5tupleIJPjSI_NS0_16reverse_iteratorISI_EEEEENSH_IJSG_SG_SG_EEES9_SI_JZNS1_25segmented_radix_sort_implINS0_14default_configELb1EPKdPdPKlPlN2at6native12_GLOBAL__N_18offset_tEEE10hipError_tPvRmT1_PNSt15iterator_traitsIS12_E10value_typeET2_T3_PNS13_IS18_E10value_typeET4_jRbjT5_S1E_jjP12ihipStream_tbEUljE_ZNSN_ISO_Lb1ESQ_SR_ST_SU_SY_EESZ_S10_S11_S12_S16_S17_S18_S1B_S1C_jS1D_jS1E_S1E_jjS1G_bEUljE0_EEESZ_S10_S11_S18_S1C_S1E_T6_T7_T9_mT8_S1G_bDpT10_ENKUlT_T0_E_clISt17integral_constantIbLb1EES1T_IbLb0EEEEDaS1P_S1Q_EUlS1P_E_NS1_11comp_targetILNS1_3genE0ELNS1_11target_archE4294967295ELNS1_3gpuE0ELNS1_3repE0EEENS1_30default_config_static_selectorELNS0_4arch9wavefront6targetE1EEEvS12_
	.p2align	8
	.type	_ZN7rocprim17ROCPRIM_400000_NS6detail17trampoline_kernelINS0_13select_configILj256ELj13ELNS0_17block_load_methodE3ELS4_3ELS4_3ELNS0_20block_scan_algorithmE0ELj4294967295EEENS1_25partition_config_selectorILNS1_17partition_subalgoE4EjNS0_10empty_typeEbEEZZNS1_14partition_implILS8_4ELb0ES6_15HIP_vector_typeIjLj2EENS0_17counting_iteratorIjlEEPS9_SG_NS0_5tupleIJPjSI_NS0_16reverse_iteratorISI_EEEEENSH_IJSG_SG_SG_EEES9_SI_JZNS1_25segmented_radix_sort_implINS0_14default_configELb1EPKdPdPKlPlN2at6native12_GLOBAL__N_18offset_tEEE10hipError_tPvRmT1_PNSt15iterator_traitsIS12_E10value_typeET2_T3_PNS13_IS18_E10value_typeET4_jRbjT5_S1E_jjP12ihipStream_tbEUljE_ZNSN_ISO_Lb1ESQ_SR_ST_SU_SY_EESZ_S10_S11_S12_S16_S17_S18_S1B_S1C_jS1D_jS1E_S1E_jjS1G_bEUljE0_EEESZ_S10_S11_S18_S1C_S1E_T6_T7_T9_mT8_S1G_bDpT10_ENKUlT_T0_E_clISt17integral_constantIbLb1EES1T_IbLb0EEEEDaS1P_S1Q_EUlS1P_E_NS1_11comp_targetILNS1_3genE0ELNS1_11target_archE4294967295ELNS1_3gpuE0ELNS1_3repE0EEENS1_30default_config_static_selectorELNS0_4arch9wavefront6targetE1EEEvS12_,@function
_ZN7rocprim17ROCPRIM_400000_NS6detail17trampoline_kernelINS0_13select_configILj256ELj13ELNS0_17block_load_methodE3ELS4_3ELS4_3ELNS0_20block_scan_algorithmE0ELj4294967295EEENS1_25partition_config_selectorILNS1_17partition_subalgoE4EjNS0_10empty_typeEbEEZZNS1_14partition_implILS8_4ELb0ES6_15HIP_vector_typeIjLj2EENS0_17counting_iteratorIjlEEPS9_SG_NS0_5tupleIJPjSI_NS0_16reverse_iteratorISI_EEEEENSH_IJSG_SG_SG_EEES9_SI_JZNS1_25segmented_radix_sort_implINS0_14default_configELb1EPKdPdPKlPlN2at6native12_GLOBAL__N_18offset_tEEE10hipError_tPvRmT1_PNSt15iterator_traitsIS12_E10value_typeET2_T3_PNS13_IS18_E10value_typeET4_jRbjT5_S1E_jjP12ihipStream_tbEUljE_ZNSN_ISO_Lb1ESQ_SR_ST_SU_SY_EESZ_S10_S11_S12_S16_S17_S18_S1B_S1C_jS1D_jS1E_S1E_jjS1G_bEUljE0_EEESZ_S10_S11_S18_S1C_S1E_T6_T7_T9_mT8_S1G_bDpT10_ENKUlT_T0_E_clISt17integral_constantIbLb1EES1T_IbLb0EEEEDaS1P_S1Q_EUlS1P_E_NS1_11comp_targetILNS1_3genE0ELNS1_11target_archE4294967295ELNS1_3gpuE0ELNS1_3repE0EEENS1_30default_config_static_selectorELNS0_4arch9wavefront6targetE1EEEvS12_: ; @_ZN7rocprim17ROCPRIM_400000_NS6detail17trampoline_kernelINS0_13select_configILj256ELj13ELNS0_17block_load_methodE3ELS4_3ELS4_3ELNS0_20block_scan_algorithmE0ELj4294967295EEENS1_25partition_config_selectorILNS1_17partition_subalgoE4EjNS0_10empty_typeEbEEZZNS1_14partition_implILS8_4ELb0ES6_15HIP_vector_typeIjLj2EENS0_17counting_iteratorIjlEEPS9_SG_NS0_5tupleIJPjSI_NS0_16reverse_iteratorISI_EEEEENSH_IJSG_SG_SG_EEES9_SI_JZNS1_25segmented_radix_sort_implINS0_14default_configELb1EPKdPdPKlPlN2at6native12_GLOBAL__N_18offset_tEEE10hipError_tPvRmT1_PNSt15iterator_traitsIS12_E10value_typeET2_T3_PNS13_IS18_E10value_typeET4_jRbjT5_S1E_jjP12ihipStream_tbEUljE_ZNSN_ISO_Lb1ESQ_SR_ST_SU_SY_EESZ_S10_S11_S12_S16_S17_S18_S1B_S1C_jS1D_jS1E_S1E_jjS1G_bEUljE0_EEESZ_S10_S11_S18_S1C_S1E_T6_T7_T9_mT8_S1G_bDpT10_ENKUlT_T0_E_clISt17integral_constantIbLb1EES1T_IbLb0EEEEDaS1P_S1Q_EUlS1P_E_NS1_11comp_targetILNS1_3genE0ELNS1_11target_archE4294967295ELNS1_3gpuE0ELNS1_3repE0EEENS1_30default_config_static_selectorELNS0_4arch9wavefront6targetE1EEEvS12_
; %bb.0:
	.section	.rodata,"a",@progbits
	.p2align	6, 0x0
	.amdhsa_kernel _ZN7rocprim17ROCPRIM_400000_NS6detail17trampoline_kernelINS0_13select_configILj256ELj13ELNS0_17block_load_methodE3ELS4_3ELS4_3ELNS0_20block_scan_algorithmE0ELj4294967295EEENS1_25partition_config_selectorILNS1_17partition_subalgoE4EjNS0_10empty_typeEbEEZZNS1_14partition_implILS8_4ELb0ES6_15HIP_vector_typeIjLj2EENS0_17counting_iteratorIjlEEPS9_SG_NS0_5tupleIJPjSI_NS0_16reverse_iteratorISI_EEEEENSH_IJSG_SG_SG_EEES9_SI_JZNS1_25segmented_radix_sort_implINS0_14default_configELb1EPKdPdPKlPlN2at6native12_GLOBAL__N_18offset_tEEE10hipError_tPvRmT1_PNSt15iterator_traitsIS12_E10value_typeET2_T3_PNS13_IS18_E10value_typeET4_jRbjT5_S1E_jjP12ihipStream_tbEUljE_ZNSN_ISO_Lb1ESQ_SR_ST_SU_SY_EESZ_S10_S11_S12_S16_S17_S18_S1B_S1C_jS1D_jS1E_S1E_jjS1G_bEUljE0_EEESZ_S10_S11_S18_S1C_S1E_T6_T7_T9_mT8_S1G_bDpT10_ENKUlT_T0_E_clISt17integral_constantIbLb1EES1T_IbLb0EEEEDaS1P_S1Q_EUlS1P_E_NS1_11comp_targetILNS1_3genE0ELNS1_11target_archE4294967295ELNS1_3gpuE0ELNS1_3repE0EEENS1_30default_config_static_selectorELNS0_4arch9wavefront6targetE1EEEvS12_
		.amdhsa_group_segment_fixed_size 0
		.amdhsa_private_segment_fixed_size 0
		.amdhsa_kernarg_size 176
		.amdhsa_user_sgpr_count 6
		.amdhsa_user_sgpr_private_segment_buffer 1
		.amdhsa_user_sgpr_dispatch_ptr 0
		.amdhsa_user_sgpr_queue_ptr 0
		.amdhsa_user_sgpr_kernarg_segment_ptr 1
		.amdhsa_user_sgpr_dispatch_id 0
		.amdhsa_user_sgpr_flat_scratch_init 0
		.amdhsa_user_sgpr_private_segment_size 0
		.amdhsa_uses_dynamic_stack 0
		.amdhsa_system_sgpr_private_segment_wavefront_offset 0
		.amdhsa_system_sgpr_workgroup_id_x 1
		.amdhsa_system_sgpr_workgroup_id_y 0
		.amdhsa_system_sgpr_workgroup_id_z 0
		.amdhsa_system_sgpr_workgroup_info 0
		.amdhsa_system_vgpr_workitem_id 0
		.amdhsa_next_free_vgpr 1
		.amdhsa_next_free_sgpr 0
		.amdhsa_reserve_vcc 0
		.amdhsa_reserve_flat_scratch 0
		.amdhsa_float_round_mode_32 0
		.amdhsa_float_round_mode_16_64 0
		.amdhsa_float_denorm_mode_32 3
		.amdhsa_float_denorm_mode_16_64 3
		.amdhsa_dx10_clamp 1
		.amdhsa_ieee_mode 1
		.amdhsa_fp16_overflow 0
		.amdhsa_exception_fp_ieee_invalid_op 0
		.amdhsa_exception_fp_denorm_src 0
		.amdhsa_exception_fp_ieee_div_zero 0
		.amdhsa_exception_fp_ieee_overflow 0
		.amdhsa_exception_fp_ieee_underflow 0
		.amdhsa_exception_fp_ieee_inexact 0
		.amdhsa_exception_int_div_zero 0
	.end_amdhsa_kernel
	.section	.text._ZN7rocprim17ROCPRIM_400000_NS6detail17trampoline_kernelINS0_13select_configILj256ELj13ELNS0_17block_load_methodE3ELS4_3ELS4_3ELNS0_20block_scan_algorithmE0ELj4294967295EEENS1_25partition_config_selectorILNS1_17partition_subalgoE4EjNS0_10empty_typeEbEEZZNS1_14partition_implILS8_4ELb0ES6_15HIP_vector_typeIjLj2EENS0_17counting_iteratorIjlEEPS9_SG_NS0_5tupleIJPjSI_NS0_16reverse_iteratorISI_EEEEENSH_IJSG_SG_SG_EEES9_SI_JZNS1_25segmented_radix_sort_implINS0_14default_configELb1EPKdPdPKlPlN2at6native12_GLOBAL__N_18offset_tEEE10hipError_tPvRmT1_PNSt15iterator_traitsIS12_E10value_typeET2_T3_PNS13_IS18_E10value_typeET4_jRbjT5_S1E_jjP12ihipStream_tbEUljE_ZNSN_ISO_Lb1ESQ_SR_ST_SU_SY_EESZ_S10_S11_S12_S16_S17_S18_S1B_S1C_jS1D_jS1E_S1E_jjS1G_bEUljE0_EEESZ_S10_S11_S18_S1C_S1E_T6_T7_T9_mT8_S1G_bDpT10_ENKUlT_T0_E_clISt17integral_constantIbLb1EES1T_IbLb0EEEEDaS1P_S1Q_EUlS1P_E_NS1_11comp_targetILNS1_3genE0ELNS1_11target_archE4294967295ELNS1_3gpuE0ELNS1_3repE0EEENS1_30default_config_static_selectorELNS0_4arch9wavefront6targetE1EEEvS12_,"axG",@progbits,_ZN7rocprim17ROCPRIM_400000_NS6detail17trampoline_kernelINS0_13select_configILj256ELj13ELNS0_17block_load_methodE3ELS4_3ELS4_3ELNS0_20block_scan_algorithmE0ELj4294967295EEENS1_25partition_config_selectorILNS1_17partition_subalgoE4EjNS0_10empty_typeEbEEZZNS1_14partition_implILS8_4ELb0ES6_15HIP_vector_typeIjLj2EENS0_17counting_iteratorIjlEEPS9_SG_NS0_5tupleIJPjSI_NS0_16reverse_iteratorISI_EEEEENSH_IJSG_SG_SG_EEES9_SI_JZNS1_25segmented_radix_sort_implINS0_14default_configELb1EPKdPdPKlPlN2at6native12_GLOBAL__N_18offset_tEEE10hipError_tPvRmT1_PNSt15iterator_traitsIS12_E10value_typeET2_T3_PNS13_IS18_E10value_typeET4_jRbjT5_S1E_jjP12ihipStream_tbEUljE_ZNSN_ISO_Lb1ESQ_SR_ST_SU_SY_EESZ_S10_S11_S12_S16_S17_S18_S1B_S1C_jS1D_jS1E_S1E_jjS1G_bEUljE0_EEESZ_S10_S11_S18_S1C_S1E_T6_T7_T9_mT8_S1G_bDpT10_ENKUlT_T0_E_clISt17integral_constantIbLb1EES1T_IbLb0EEEEDaS1P_S1Q_EUlS1P_E_NS1_11comp_targetILNS1_3genE0ELNS1_11target_archE4294967295ELNS1_3gpuE0ELNS1_3repE0EEENS1_30default_config_static_selectorELNS0_4arch9wavefront6targetE1EEEvS12_,comdat
.Lfunc_end1070:
	.size	_ZN7rocprim17ROCPRIM_400000_NS6detail17trampoline_kernelINS0_13select_configILj256ELj13ELNS0_17block_load_methodE3ELS4_3ELS4_3ELNS0_20block_scan_algorithmE0ELj4294967295EEENS1_25partition_config_selectorILNS1_17partition_subalgoE4EjNS0_10empty_typeEbEEZZNS1_14partition_implILS8_4ELb0ES6_15HIP_vector_typeIjLj2EENS0_17counting_iteratorIjlEEPS9_SG_NS0_5tupleIJPjSI_NS0_16reverse_iteratorISI_EEEEENSH_IJSG_SG_SG_EEES9_SI_JZNS1_25segmented_radix_sort_implINS0_14default_configELb1EPKdPdPKlPlN2at6native12_GLOBAL__N_18offset_tEEE10hipError_tPvRmT1_PNSt15iterator_traitsIS12_E10value_typeET2_T3_PNS13_IS18_E10value_typeET4_jRbjT5_S1E_jjP12ihipStream_tbEUljE_ZNSN_ISO_Lb1ESQ_SR_ST_SU_SY_EESZ_S10_S11_S12_S16_S17_S18_S1B_S1C_jS1D_jS1E_S1E_jjS1G_bEUljE0_EEESZ_S10_S11_S18_S1C_S1E_T6_T7_T9_mT8_S1G_bDpT10_ENKUlT_T0_E_clISt17integral_constantIbLb1EES1T_IbLb0EEEEDaS1P_S1Q_EUlS1P_E_NS1_11comp_targetILNS1_3genE0ELNS1_11target_archE4294967295ELNS1_3gpuE0ELNS1_3repE0EEENS1_30default_config_static_selectorELNS0_4arch9wavefront6targetE1EEEvS12_, .Lfunc_end1070-_ZN7rocprim17ROCPRIM_400000_NS6detail17trampoline_kernelINS0_13select_configILj256ELj13ELNS0_17block_load_methodE3ELS4_3ELS4_3ELNS0_20block_scan_algorithmE0ELj4294967295EEENS1_25partition_config_selectorILNS1_17partition_subalgoE4EjNS0_10empty_typeEbEEZZNS1_14partition_implILS8_4ELb0ES6_15HIP_vector_typeIjLj2EENS0_17counting_iteratorIjlEEPS9_SG_NS0_5tupleIJPjSI_NS0_16reverse_iteratorISI_EEEEENSH_IJSG_SG_SG_EEES9_SI_JZNS1_25segmented_radix_sort_implINS0_14default_configELb1EPKdPdPKlPlN2at6native12_GLOBAL__N_18offset_tEEE10hipError_tPvRmT1_PNSt15iterator_traitsIS12_E10value_typeET2_T3_PNS13_IS18_E10value_typeET4_jRbjT5_S1E_jjP12ihipStream_tbEUljE_ZNSN_ISO_Lb1ESQ_SR_ST_SU_SY_EESZ_S10_S11_S12_S16_S17_S18_S1B_S1C_jS1D_jS1E_S1E_jjS1G_bEUljE0_EEESZ_S10_S11_S18_S1C_S1E_T6_T7_T9_mT8_S1G_bDpT10_ENKUlT_T0_E_clISt17integral_constantIbLb1EES1T_IbLb0EEEEDaS1P_S1Q_EUlS1P_E_NS1_11comp_targetILNS1_3genE0ELNS1_11target_archE4294967295ELNS1_3gpuE0ELNS1_3repE0EEENS1_30default_config_static_selectorELNS0_4arch9wavefront6targetE1EEEvS12_
                                        ; -- End function
	.set _ZN7rocprim17ROCPRIM_400000_NS6detail17trampoline_kernelINS0_13select_configILj256ELj13ELNS0_17block_load_methodE3ELS4_3ELS4_3ELNS0_20block_scan_algorithmE0ELj4294967295EEENS1_25partition_config_selectorILNS1_17partition_subalgoE4EjNS0_10empty_typeEbEEZZNS1_14partition_implILS8_4ELb0ES6_15HIP_vector_typeIjLj2EENS0_17counting_iteratorIjlEEPS9_SG_NS0_5tupleIJPjSI_NS0_16reverse_iteratorISI_EEEEENSH_IJSG_SG_SG_EEES9_SI_JZNS1_25segmented_radix_sort_implINS0_14default_configELb1EPKdPdPKlPlN2at6native12_GLOBAL__N_18offset_tEEE10hipError_tPvRmT1_PNSt15iterator_traitsIS12_E10value_typeET2_T3_PNS13_IS18_E10value_typeET4_jRbjT5_S1E_jjP12ihipStream_tbEUljE_ZNSN_ISO_Lb1ESQ_SR_ST_SU_SY_EESZ_S10_S11_S12_S16_S17_S18_S1B_S1C_jS1D_jS1E_S1E_jjS1G_bEUljE0_EEESZ_S10_S11_S18_S1C_S1E_T6_T7_T9_mT8_S1G_bDpT10_ENKUlT_T0_E_clISt17integral_constantIbLb1EES1T_IbLb0EEEEDaS1P_S1Q_EUlS1P_E_NS1_11comp_targetILNS1_3genE0ELNS1_11target_archE4294967295ELNS1_3gpuE0ELNS1_3repE0EEENS1_30default_config_static_selectorELNS0_4arch9wavefront6targetE1EEEvS12_.num_vgpr, 0
	.set _ZN7rocprim17ROCPRIM_400000_NS6detail17trampoline_kernelINS0_13select_configILj256ELj13ELNS0_17block_load_methodE3ELS4_3ELS4_3ELNS0_20block_scan_algorithmE0ELj4294967295EEENS1_25partition_config_selectorILNS1_17partition_subalgoE4EjNS0_10empty_typeEbEEZZNS1_14partition_implILS8_4ELb0ES6_15HIP_vector_typeIjLj2EENS0_17counting_iteratorIjlEEPS9_SG_NS0_5tupleIJPjSI_NS0_16reverse_iteratorISI_EEEEENSH_IJSG_SG_SG_EEES9_SI_JZNS1_25segmented_radix_sort_implINS0_14default_configELb1EPKdPdPKlPlN2at6native12_GLOBAL__N_18offset_tEEE10hipError_tPvRmT1_PNSt15iterator_traitsIS12_E10value_typeET2_T3_PNS13_IS18_E10value_typeET4_jRbjT5_S1E_jjP12ihipStream_tbEUljE_ZNSN_ISO_Lb1ESQ_SR_ST_SU_SY_EESZ_S10_S11_S12_S16_S17_S18_S1B_S1C_jS1D_jS1E_S1E_jjS1G_bEUljE0_EEESZ_S10_S11_S18_S1C_S1E_T6_T7_T9_mT8_S1G_bDpT10_ENKUlT_T0_E_clISt17integral_constantIbLb1EES1T_IbLb0EEEEDaS1P_S1Q_EUlS1P_E_NS1_11comp_targetILNS1_3genE0ELNS1_11target_archE4294967295ELNS1_3gpuE0ELNS1_3repE0EEENS1_30default_config_static_selectorELNS0_4arch9wavefront6targetE1EEEvS12_.num_agpr, 0
	.set _ZN7rocprim17ROCPRIM_400000_NS6detail17trampoline_kernelINS0_13select_configILj256ELj13ELNS0_17block_load_methodE3ELS4_3ELS4_3ELNS0_20block_scan_algorithmE0ELj4294967295EEENS1_25partition_config_selectorILNS1_17partition_subalgoE4EjNS0_10empty_typeEbEEZZNS1_14partition_implILS8_4ELb0ES6_15HIP_vector_typeIjLj2EENS0_17counting_iteratorIjlEEPS9_SG_NS0_5tupleIJPjSI_NS0_16reverse_iteratorISI_EEEEENSH_IJSG_SG_SG_EEES9_SI_JZNS1_25segmented_radix_sort_implINS0_14default_configELb1EPKdPdPKlPlN2at6native12_GLOBAL__N_18offset_tEEE10hipError_tPvRmT1_PNSt15iterator_traitsIS12_E10value_typeET2_T3_PNS13_IS18_E10value_typeET4_jRbjT5_S1E_jjP12ihipStream_tbEUljE_ZNSN_ISO_Lb1ESQ_SR_ST_SU_SY_EESZ_S10_S11_S12_S16_S17_S18_S1B_S1C_jS1D_jS1E_S1E_jjS1G_bEUljE0_EEESZ_S10_S11_S18_S1C_S1E_T6_T7_T9_mT8_S1G_bDpT10_ENKUlT_T0_E_clISt17integral_constantIbLb1EES1T_IbLb0EEEEDaS1P_S1Q_EUlS1P_E_NS1_11comp_targetILNS1_3genE0ELNS1_11target_archE4294967295ELNS1_3gpuE0ELNS1_3repE0EEENS1_30default_config_static_selectorELNS0_4arch9wavefront6targetE1EEEvS12_.numbered_sgpr, 0
	.set _ZN7rocprim17ROCPRIM_400000_NS6detail17trampoline_kernelINS0_13select_configILj256ELj13ELNS0_17block_load_methodE3ELS4_3ELS4_3ELNS0_20block_scan_algorithmE0ELj4294967295EEENS1_25partition_config_selectorILNS1_17partition_subalgoE4EjNS0_10empty_typeEbEEZZNS1_14partition_implILS8_4ELb0ES6_15HIP_vector_typeIjLj2EENS0_17counting_iteratorIjlEEPS9_SG_NS0_5tupleIJPjSI_NS0_16reverse_iteratorISI_EEEEENSH_IJSG_SG_SG_EEES9_SI_JZNS1_25segmented_radix_sort_implINS0_14default_configELb1EPKdPdPKlPlN2at6native12_GLOBAL__N_18offset_tEEE10hipError_tPvRmT1_PNSt15iterator_traitsIS12_E10value_typeET2_T3_PNS13_IS18_E10value_typeET4_jRbjT5_S1E_jjP12ihipStream_tbEUljE_ZNSN_ISO_Lb1ESQ_SR_ST_SU_SY_EESZ_S10_S11_S12_S16_S17_S18_S1B_S1C_jS1D_jS1E_S1E_jjS1G_bEUljE0_EEESZ_S10_S11_S18_S1C_S1E_T6_T7_T9_mT8_S1G_bDpT10_ENKUlT_T0_E_clISt17integral_constantIbLb1EES1T_IbLb0EEEEDaS1P_S1Q_EUlS1P_E_NS1_11comp_targetILNS1_3genE0ELNS1_11target_archE4294967295ELNS1_3gpuE0ELNS1_3repE0EEENS1_30default_config_static_selectorELNS0_4arch9wavefront6targetE1EEEvS12_.num_named_barrier, 0
	.set _ZN7rocprim17ROCPRIM_400000_NS6detail17trampoline_kernelINS0_13select_configILj256ELj13ELNS0_17block_load_methodE3ELS4_3ELS4_3ELNS0_20block_scan_algorithmE0ELj4294967295EEENS1_25partition_config_selectorILNS1_17partition_subalgoE4EjNS0_10empty_typeEbEEZZNS1_14partition_implILS8_4ELb0ES6_15HIP_vector_typeIjLj2EENS0_17counting_iteratorIjlEEPS9_SG_NS0_5tupleIJPjSI_NS0_16reverse_iteratorISI_EEEEENSH_IJSG_SG_SG_EEES9_SI_JZNS1_25segmented_radix_sort_implINS0_14default_configELb1EPKdPdPKlPlN2at6native12_GLOBAL__N_18offset_tEEE10hipError_tPvRmT1_PNSt15iterator_traitsIS12_E10value_typeET2_T3_PNS13_IS18_E10value_typeET4_jRbjT5_S1E_jjP12ihipStream_tbEUljE_ZNSN_ISO_Lb1ESQ_SR_ST_SU_SY_EESZ_S10_S11_S12_S16_S17_S18_S1B_S1C_jS1D_jS1E_S1E_jjS1G_bEUljE0_EEESZ_S10_S11_S18_S1C_S1E_T6_T7_T9_mT8_S1G_bDpT10_ENKUlT_T0_E_clISt17integral_constantIbLb1EES1T_IbLb0EEEEDaS1P_S1Q_EUlS1P_E_NS1_11comp_targetILNS1_3genE0ELNS1_11target_archE4294967295ELNS1_3gpuE0ELNS1_3repE0EEENS1_30default_config_static_selectorELNS0_4arch9wavefront6targetE1EEEvS12_.private_seg_size, 0
	.set _ZN7rocprim17ROCPRIM_400000_NS6detail17trampoline_kernelINS0_13select_configILj256ELj13ELNS0_17block_load_methodE3ELS4_3ELS4_3ELNS0_20block_scan_algorithmE0ELj4294967295EEENS1_25partition_config_selectorILNS1_17partition_subalgoE4EjNS0_10empty_typeEbEEZZNS1_14partition_implILS8_4ELb0ES6_15HIP_vector_typeIjLj2EENS0_17counting_iteratorIjlEEPS9_SG_NS0_5tupleIJPjSI_NS0_16reverse_iteratorISI_EEEEENSH_IJSG_SG_SG_EEES9_SI_JZNS1_25segmented_radix_sort_implINS0_14default_configELb1EPKdPdPKlPlN2at6native12_GLOBAL__N_18offset_tEEE10hipError_tPvRmT1_PNSt15iterator_traitsIS12_E10value_typeET2_T3_PNS13_IS18_E10value_typeET4_jRbjT5_S1E_jjP12ihipStream_tbEUljE_ZNSN_ISO_Lb1ESQ_SR_ST_SU_SY_EESZ_S10_S11_S12_S16_S17_S18_S1B_S1C_jS1D_jS1E_S1E_jjS1G_bEUljE0_EEESZ_S10_S11_S18_S1C_S1E_T6_T7_T9_mT8_S1G_bDpT10_ENKUlT_T0_E_clISt17integral_constantIbLb1EES1T_IbLb0EEEEDaS1P_S1Q_EUlS1P_E_NS1_11comp_targetILNS1_3genE0ELNS1_11target_archE4294967295ELNS1_3gpuE0ELNS1_3repE0EEENS1_30default_config_static_selectorELNS0_4arch9wavefront6targetE1EEEvS12_.uses_vcc, 0
	.set _ZN7rocprim17ROCPRIM_400000_NS6detail17trampoline_kernelINS0_13select_configILj256ELj13ELNS0_17block_load_methodE3ELS4_3ELS4_3ELNS0_20block_scan_algorithmE0ELj4294967295EEENS1_25partition_config_selectorILNS1_17partition_subalgoE4EjNS0_10empty_typeEbEEZZNS1_14partition_implILS8_4ELb0ES6_15HIP_vector_typeIjLj2EENS0_17counting_iteratorIjlEEPS9_SG_NS0_5tupleIJPjSI_NS0_16reverse_iteratorISI_EEEEENSH_IJSG_SG_SG_EEES9_SI_JZNS1_25segmented_radix_sort_implINS0_14default_configELb1EPKdPdPKlPlN2at6native12_GLOBAL__N_18offset_tEEE10hipError_tPvRmT1_PNSt15iterator_traitsIS12_E10value_typeET2_T3_PNS13_IS18_E10value_typeET4_jRbjT5_S1E_jjP12ihipStream_tbEUljE_ZNSN_ISO_Lb1ESQ_SR_ST_SU_SY_EESZ_S10_S11_S12_S16_S17_S18_S1B_S1C_jS1D_jS1E_S1E_jjS1G_bEUljE0_EEESZ_S10_S11_S18_S1C_S1E_T6_T7_T9_mT8_S1G_bDpT10_ENKUlT_T0_E_clISt17integral_constantIbLb1EES1T_IbLb0EEEEDaS1P_S1Q_EUlS1P_E_NS1_11comp_targetILNS1_3genE0ELNS1_11target_archE4294967295ELNS1_3gpuE0ELNS1_3repE0EEENS1_30default_config_static_selectorELNS0_4arch9wavefront6targetE1EEEvS12_.uses_flat_scratch, 0
	.set _ZN7rocprim17ROCPRIM_400000_NS6detail17trampoline_kernelINS0_13select_configILj256ELj13ELNS0_17block_load_methodE3ELS4_3ELS4_3ELNS0_20block_scan_algorithmE0ELj4294967295EEENS1_25partition_config_selectorILNS1_17partition_subalgoE4EjNS0_10empty_typeEbEEZZNS1_14partition_implILS8_4ELb0ES6_15HIP_vector_typeIjLj2EENS0_17counting_iteratorIjlEEPS9_SG_NS0_5tupleIJPjSI_NS0_16reverse_iteratorISI_EEEEENSH_IJSG_SG_SG_EEES9_SI_JZNS1_25segmented_radix_sort_implINS0_14default_configELb1EPKdPdPKlPlN2at6native12_GLOBAL__N_18offset_tEEE10hipError_tPvRmT1_PNSt15iterator_traitsIS12_E10value_typeET2_T3_PNS13_IS18_E10value_typeET4_jRbjT5_S1E_jjP12ihipStream_tbEUljE_ZNSN_ISO_Lb1ESQ_SR_ST_SU_SY_EESZ_S10_S11_S12_S16_S17_S18_S1B_S1C_jS1D_jS1E_S1E_jjS1G_bEUljE0_EEESZ_S10_S11_S18_S1C_S1E_T6_T7_T9_mT8_S1G_bDpT10_ENKUlT_T0_E_clISt17integral_constantIbLb1EES1T_IbLb0EEEEDaS1P_S1Q_EUlS1P_E_NS1_11comp_targetILNS1_3genE0ELNS1_11target_archE4294967295ELNS1_3gpuE0ELNS1_3repE0EEENS1_30default_config_static_selectorELNS0_4arch9wavefront6targetE1EEEvS12_.has_dyn_sized_stack, 0
	.set _ZN7rocprim17ROCPRIM_400000_NS6detail17trampoline_kernelINS0_13select_configILj256ELj13ELNS0_17block_load_methodE3ELS4_3ELS4_3ELNS0_20block_scan_algorithmE0ELj4294967295EEENS1_25partition_config_selectorILNS1_17partition_subalgoE4EjNS0_10empty_typeEbEEZZNS1_14partition_implILS8_4ELb0ES6_15HIP_vector_typeIjLj2EENS0_17counting_iteratorIjlEEPS9_SG_NS0_5tupleIJPjSI_NS0_16reverse_iteratorISI_EEEEENSH_IJSG_SG_SG_EEES9_SI_JZNS1_25segmented_radix_sort_implINS0_14default_configELb1EPKdPdPKlPlN2at6native12_GLOBAL__N_18offset_tEEE10hipError_tPvRmT1_PNSt15iterator_traitsIS12_E10value_typeET2_T3_PNS13_IS18_E10value_typeET4_jRbjT5_S1E_jjP12ihipStream_tbEUljE_ZNSN_ISO_Lb1ESQ_SR_ST_SU_SY_EESZ_S10_S11_S12_S16_S17_S18_S1B_S1C_jS1D_jS1E_S1E_jjS1G_bEUljE0_EEESZ_S10_S11_S18_S1C_S1E_T6_T7_T9_mT8_S1G_bDpT10_ENKUlT_T0_E_clISt17integral_constantIbLb1EES1T_IbLb0EEEEDaS1P_S1Q_EUlS1P_E_NS1_11comp_targetILNS1_3genE0ELNS1_11target_archE4294967295ELNS1_3gpuE0ELNS1_3repE0EEENS1_30default_config_static_selectorELNS0_4arch9wavefront6targetE1EEEvS12_.has_recursion, 0
	.set _ZN7rocprim17ROCPRIM_400000_NS6detail17trampoline_kernelINS0_13select_configILj256ELj13ELNS0_17block_load_methodE3ELS4_3ELS4_3ELNS0_20block_scan_algorithmE0ELj4294967295EEENS1_25partition_config_selectorILNS1_17partition_subalgoE4EjNS0_10empty_typeEbEEZZNS1_14partition_implILS8_4ELb0ES6_15HIP_vector_typeIjLj2EENS0_17counting_iteratorIjlEEPS9_SG_NS0_5tupleIJPjSI_NS0_16reverse_iteratorISI_EEEEENSH_IJSG_SG_SG_EEES9_SI_JZNS1_25segmented_radix_sort_implINS0_14default_configELb1EPKdPdPKlPlN2at6native12_GLOBAL__N_18offset_tEEE10hipError_tPvRmT1_PNSt15iterator_traitsIS12_E10value_typeET2_T3_PNS13_IS18_E10value_typeET4_jRbjT5_S1E_jjP12ihipStream_tbEUljE_ZNSN_ISO_Lb1ESQ_SR_ST_SU_SY_EESZ_S10_S11_S12_S16_S17_S18_S1B_S1C_jS1D_jS1E_S1E_jjS1G_bEUljE0_EEESZ_S10_S11_S18_S1C_S1E_T6_T7_T9_mT8_S1G_bDpT10_ENKUlT_T0_E_clISt17integral_constantIbLb1EES1T_IbLb0EEEEDaS1P_S1Q_EUlS1P_E_NS1_11comp_targetILNS1_3genE0ELNS1_11target_archE4294967295ELNS1_3gpuE0ELNS1_3repE0EEENS1_30default_config_static_selectorELNS0_4arch9wavefront6targetE1EEEvS12_.has_indirect_call, 0
	.section	.AMDGPU.csdata,"",@progbits
; Kernel info:
; codeLenInByte = 0
; TotalNumSgprs: 4
; NumVgprs: 0
; ScratchSize: 0
; MemoryBound: 0
; FloatMode: 240
; IeeeMode: 1
; LDSByteSize: 0 bytes/workgroup (compile time only)
; SGPRBlocks: 0
; VGPRBlocks: 0
; NumSGPRsForWavesPerEU: 4
; NumVGPRsForWavesPerEU: 1
; Occupancy: 10
; WaveLimiterHint : 0
; COMPUTE_PGM_RSRC2:SCRATCH_EN: 0
; COMPUTE_PGM_RSRC2:USER_SGPR: 6
; COMPUTE_PGM_RSRC2:TRAP_HANDLER: 0
; COMPUTE_PGM_RSRC2:TGID_X_EN: 1
; COMPUTE_PGM_RSRC2:TGID_Y_EN: 0
; COMPUTE_PGM_RSRC2:TGID_Z_EN: 0
; COMPUTE_PGM_RSRC2:TIDIG_COMP_CNT: 0
	.section	.text._ZN7rocprim17ROCPRIM_400000_NS6detail17trampoline_kernelINS0_13select_configILj256ELj13ELNS0_17block_load_methodE3ELS4_3ELS4_3ELNS0_20block_scan_algorithmE0ELj4294967295EEENS1_25partition_config_selectorILNS1_17partition_subalgoE4EjNS0_10empty_typeEbEEZZNS1_14partition_implILS8_4ELb0ES6_15HIP_vector_typeIjLj2EENS0_17counting_iteratorIjlEEPS9_SG_NS0_5tupleIJPjSI_NS0_16reverse_iteratorISI_EEEEENSH_IJSG_SG_SG_EEES9_SI_JZNS1_25segmented_radix_sort_implINS0_14default_configELb1EPKdPdPKlPlN2at6native12_GLOBAL__N_18offset_tEEE10hipError_tPvRmT1_PNSt15iterator_traitsIS12_E10value_typeET2_T3_PNS13_IS18_E10value_typeET4_jRbjT5_S1E_jjP12ihipStream_tbEUljE_ZNSN_ISO_Lb1ESQ_SR_ST_SU_SY_EESZ_S10_S11_S12_S16_S17_S18_S1B_S1C_jS1D_jS1E_S1E_jjS1G_bEUljE0_EEESZ_S10_S11_S18_S1C_S1E_T6_T7_T9_mT8_S1G_bDpT10_ENKUlT_T0_E_clISt17integral_constantIbLb1EES1T_IbLb0EEEEDaS1P_S1Q_EUlS1P_E_NS1_11comp_targetILNS1_3genE5ELNS1_11target_archE942ELNS1_3gpuE9ELNS1_3repE0EEENS1_30default_config_static_selectorELNS0_4arch9wavefront6targetE1EEEvS12_,"axG",@progbits,_ZN7rocprim17ROCPRIM_400000_NS6detail17trampoline_kernelINS0_13select_configILj256ELj13ELNS0_17block_load_methodE3ELS4_3ELS4_3ELNS0_20block_scan_algorithmE0ELj4294967295EEENS1_25partition_config_selectorILNS1_17partition_subalgoE4EjNS0_10empty_typeEbEEZZNS1_14partition_implILS8_4ELb0ES6_15HIP_vector_typeIjLj2EENS0_17counting_iteratorIjlEEPS9_SG_NS0_5tupleIJPjSI_NS0_16reverse_iteratorISI_EEEEENSH_IJSG_SG_SG_EEES9_SI_JZNS1_25segmented_radix_sort_implINS0_14default_configELb1EPKdPdPKlPlN2at6native12_GLOBAL__N_18offset_tEEE10hipError_tPvRmT1_PNSt15iterator_traitsIS12_E10value_typeET2_T3_PNS13_IS18_E10value_typeET4_jRbjT5_S1E_jjP12ihipStream_tbEUljE_ZNSN_ISO_Lb1ESQ_SR_ST_SU_SY_EESZ_S10_S11_S12_S16_S17_S18_S1B_S1C_jS1D_jS1E_S1E_jjS1G_bEUljE0_EEESZ_S10_S11_S18_S1C_S1E_T6_T7_T9_mT8_S1G_bDpT10_ENKUlT_T0_E_clISt17integral_constantIbLb1EES1T_IbLb0EEEEDaS1P_S1Q_EUlS1P_E_NS1_11comp_targetILNS1_3genE5ELNS1_11target_archE942ELNS1_3gpuE9ELNS1_3repE0EEENS1_30default_config_static_selectorELNS0_4arch9wavefront6targetE1EEEvS12_,comdat
	.globl	_ZN7rocprim17ROCPRIM_400000_NS6detail17trampoline_kernelINS0_13select_configILj256ELj13ELNS0_17block_load_methodE3ELS4_3ELS4_3ELNS0_20block_scan_algorithmE0ELj4294967295EEENS1_25partition_config_selectorILNS1_17partition_subalgoE4EjNS0_10empty_typeEbEEZZNS1_14partition_implILS8_4ELb0ES6_15HIP_vector_typeIjLj2EENS0_17counting_iteratorIjlEEPS9_SG_NS0_5tupleIJPjSI_NS0_16reverse_iteratorISI_EEEEENSH_IJSG_SG_SG_EEES9_SI_JZNS1_25segmented_radix_sort_implINS0_14default_configELb1EPKdPdPKlPlN2at6native12_GLOBAL__N_18offset_tEEE10hipError_tPvRmT1_PNSt15iterator_traitsIS12_E10value_typeET2_T3_PNS13_IS18_E10value_typeET4_jRbjT5_S1E_jjP12ihipStream_tbEUljE_ZNSN_ISO_Lb1ESQ_SR_ST_SU_SY_EESZ_S10_S11_S12_S16_S17_S18_S1B_S1C_jS1D_jS1E_S1E_jjS1G_bEUljE0_EEESZ_S10_S11_S18_S1C_S1E_T6_T7_T9_mT8_S1G_bDpT10_ENKUlT_T0_E_clISt17integral_constantIbLb1EES1T_IbLb0EEEEDaS1P_S1Q_EUlS1P_E_NS1_11comp_targetILNS1_3genE5ELNS1_11target_archE942ELNS1_3gpuE9ELNS1_3repE0EEENS1_30default_config_static_selectorELNS0_4arch9wavefront6targetE1EEEvS12_ ; -- Begin function _ZN7rocprim17ROCPRIM_400000_NS6detail17trampoline_kernelINS0_13select_configILj256ELj13ELNS0_17block_load_methodE3ELS4_3ELS4_3ELNS0_20block_scan_algorithmE0ELj4294967295EEENS1_25partition_config_selectorILNS1_17partition_subalgoE4EjNS0_10empty_typeEbEEZZNS1_14partition_implILS8_4ELb0ES6_15HIP_vector_typeIjLj2EENS0_17counting_iteratorIjlEEPS9_SG_NS0_5tupleIJPjSI_NS0_16reverse_iteratorISI_EEEEENSH_IJSG_SG_SG_EEES9_SI_JZNS1_25segmented_radix_sort_implINS0_14default_configELb1EPKdPdPKlPlN2at6native12_GLOBAL__N_18offset_tEEE10hipError_tPvRmT1_PNSt15iterator_traitsIS12_E10value_typeET2_T3_PNS13_IS18_E10value_typeET4_jRbjT5_S1E_jjP12ihipStream_tbEUljE_ZNSN_ISO_Lb1ESQ_SR_ST_SU_SY_EESZ_S10_S11_S12_S16_S17_S18_S1B_S1C_jS1D_jS1E_S1E_jjS1G_bEUljE0_EEESZ_S10_S11_S18_S1C_S1E_T6_T7_T9_mT8_S1G_bDpT10_ENKUlT_T0_E_clISt17integral_constantIbLb1EES1T_IbLb0EEEEDaS1P_S1Q_EUlS1P_E_NS1_11comp_targetILNS1_3genE5ELNS1_11target_archE942ELNS1_3gpuE9ELNS1_3repE0EEENS1_30default_config_static_selectorELNS0_4arch9wavefront6targetE1EEEvS12_
	.p2align	8
	.type	_ZN7rocprim17ROCPRIM_400000_NS6detail17trampoline_kernelINS0_13select_configILj256ELj13ELNS0_17block_load_methodE3ELS4_3ELS4_3ELNS0_20block_scan_algorithmE0ELj4294967295EEENS1_25partition_config_selectorILNS1_17partition_subalgoE4EjNS0_10empty_typeEbEEZZNS1_14partition_implILS8_4ELb0ES6_15HIP_vector_typeIjLj2EENS0_17counting_iteratorIjlEEPS9_SG_NS0_5tupleIJPjSI_NS0_16reverse_iteratorISI_EEEEENSH_IJSG_SG_SG_EEES9_SI_JZNS1_25segmented_radix_sort_implINS0_14default_configELb1EPKdPdPKlPlN2at6native12_GLOBAL__N_18offset_tEEE10hipError_tPvRmT1_PNSt15iterator_traitsIS12_E10value_typeET2_T3_PNS13_IS18_E10value_typeET4_jRbjT5_S1E_jjP12ihipStream_tbEUljE_ZNSN_ISO_Lb1ESQ_SR_ST_SU_SY_EESZ_S10_S11_S12_S16_S17_S18_S1B_S1C_jS1D_jS1E_S1E_jjS1G_bEUljE0_EEESZ_S10_S11_S18_S1C_S1E_T6_T7_T9_mT8_S1G_bDpT10_ENKUlT_T0_E_clISt17integral_constantIbLb1EES1T_IbLb0EEEEDaS1P_S1Q_EUlS1P_E_NS1_11comp_targetILNS1_3genE5ELNS1_11target_archE942ELNS1_3gpuE9ELNS1_3repE0EEENS1_30default_config_static_selectorELNS0_4arch9wavefront6targetE1EEEvS12_,@function
_ZN7rocprim17ROCPRIM_400000_NS6detail17trampoline_kernelINS0_13select_configILj256ELj13ELNS0_17block_load_methodE3ELS4_3ELS4_3ELNS0_20block_scan_algorithmE0ELj4294967295EEENS1_25partition_config_selectorILNS1_17partition_subalgoE4EjNS0_10empty_typeEbEEZZNS1_14partition_implILS8_4ELb0ES6_15HIP_vector_typeIjLj2EENS0_17counting_iteratorIjlEEPS9_SG_NS0_5tupleIJPjSI_NS0_16reverse_iteratorISI_EEEEENSH_IJSG_SG_SG_EEES9_SI_JZNS1_25segmented_radix_sort_implINS0_14default_configELb1EPKdPdPKlPlN2at6native12_GLOBAL__N_18offset_tEEE10hipError_tPvRmT1_PNSt15iterator_traitsIS12_E10value_typeET2_T3_PNS13_IS18_E10value_typeET4_jRbjT5_S1E_jjP12ihipStream_tbEUljE_ZNSN_ISO_Lb1ESQ_SR_ST_SU_SY_EESZ_S10_S11_S12_S16_S17_S18_S1B_S1C_jS1D_jS1E_S1E_jjS1G_bEUljE0_EEESZ_S10_S11_S18_S1C_S1E_T6_T7_T9_mT8_S1G_bDpT10_ENKUlT_T0_E_clISt17integral_constantIbLb1EES1T_IbLb0EEEEDaS1P_S1Q_EUlS1P_E_NS1_11comp_targetILNS1_3genE5ELNS1_11target_archE942ELNS1_3gpuE9ELNS1_3repE0EEENS1_30default_config_static_selectorELNS0_4arch9wavefront6targetE1EEEvS12_: ; @_ZN7rocprim17ROCPRIM_400000_NS6detail17trampoline_kernelINS0_13select_configILj256ELj13ELNS0_17block_load_methodE3ELS4_3ELS4_3ELNS0_20block_scan_algorithmE0ELj4294967295EEENS1_25partition_config_selectorILNS1_17partition_subalgoE4EjNS0_10empty_typeEbEEZZNS1_14partition_implILS8_4ELb0ES6_15HIP_vector_typeIjLj2EENS0_17counting_iteratorIjlEEPS9_SG_NS0_5tupleIJPjSI_NS0_16reverse_iteratorISI_EEEEENSH_IJSG_SG_SG_EEES9_SI_JZNS1_25segmented_radix_sort_implINS0_14default_configELb1EPKdPdPKlPlN2at6native12_GLOBAL__N_18offset_tEEE10hipError_tPvRmT1_PNSt15iterator_traitsIS12_E10value_typeET2_T3_PNS13_IS18_E10value_typeET4_jRbjT5_S1E_jjP12ihipStream_tbEUljE_ZNSN_ISO_Lb1ESQ_SR_ST_SU_SY_EESZ_S10_S11_S12_S16_S17_S18_S1B_S1C_jS1D_jS1E_S1E_jjS1G_bEUljE0_EEESZ_S10_S11_S18_S1C_S1E_T6_T7_T9_mT8_S1G_bDpT10_ENKUlT_T0_E_clISt17integral_constantIbLb1EES1T_IbLb0EEEEDaS1P_S1Q_EUlS1P_E_NS1_11comp_targetILNS1_3genE5ELNS1_11target_archE942ELNS1_3gpuE9ELNS1_3repE0EEENS1_30default_config_static_selectorELNS0_4arch9wavefront6targetE1EEEvS12_
; %bb.0:
	.section	.rodata,"a",@progbits
	.p2align	6, 0x0
	.amdhsa_kernel _ZN7rocprim17ROCPRIM_400000_NS6detail17trampoline_kernelINS0_13select_configILj256ELj13ELNS0_17block_load_methodE3ELS4_3ELS4_3ELNS0_20block_scan_algorithmE0ELj4294967295EEENS1_25partition_config_selectorILNS1_17partition_subalgoE4EjNS0_10empty_typeEbEEZZNS1_14partition_implILS8_4ELb0ES6_15HIP_vector_typeIjLj2EENS0_17counting_iteratorIjlEEPS9_SG_NS0_5tupleIJPjSI_NS0_16reverse_iteratorISI_EEEEENSH_IJSG_SG_SG_EEES9_SI_JZNS1_25segmented_radix_sort_implINS0_14default_configELb1EPKdPdPKlPlN2at6native12_GLOBAL__N_18offset_tEEE10hipError_tPvRmT1_PNSt15iterator_traitsIS12_E10value_typeET2_T3_PNS13_IS18_E10value_typeET4_jRbjT5_S1E_jjP12ihipStream_tbEUljE_ZNSN_ISO_Lb1ESQ_SR_ST_SU_SY_EESZ_S10_S11_S12_S16_S17_S18_S1B_S1C_jS1D_jS1E_S1E_jjS1G_bEUljE0_EEESZ_S10_S11_S18_S1C_S1E_T6_T7_T9_mT8_S1G_bDpT10_ENKUlT_T0_E_clISt17integral_constantIbLb1EES1T_IbLb0EEEEDaS1P_S1Q_EUlS1P_E_NS1_11comp_targetILNS1_3genE5ELNS1_11target_archE942ELNS1_3gpuE9ELNS1_3repE0EEENS1_30default_config_static_selectorELNS0_4arch9wavefront6targetE1EEEvS12_
		.amdhsa_group_segment_fixed_size 0
		.amdhsa_private_segment_fixed_size 0
		.amdhsa_kernarg_size 176
		.amdhsa_user_sgpr_count 6
		.amdhsa_user_sgpr_private_segment_buffer 1
		.amdhsa_user_sgpr_dispatch_ptr 0
		.amdhsa_user_sgpr_queue_ptr 0
		.amdhsa_user_sgpr_kernarg_segment_ptr 1
		.amdhsa_user_sgpr_dispatch_id 0
		.amdhsa_user_sgpr_flat_scratch_init 0
		.amdhsa_user_sgpr_private_segment_size 0
		.amdhsa_uses_dynamic_stack 0
		.amdhsa_system_sgpr_private_segment_wavefront_offset 0
		.amdhsa_system_sgpr_workgroup_id_x 1
		.amdhsa_system_sgpr_workgroup_id_y 0
		.amdhsa_system_sgpr_workgroup_id_z 0
		.amdhsa_system_sgpr_workgroup_info 0
		.amdhsa_system_vgpr_workitem_id 0
		.amdhsa_next_free_vgpr 1
		.amdhsa_next_free_sgpr 0
		.amdhsa_reserve_vcc 0
		.amdhsa_reserve_flat_scratch 0
		.amdhsa_float_round_mode_32 0
		.amdhsa_float_round_mode_16_64 0
		.amdhsa_float_denorm_mode_32 3
		.amdhsa_float_denorm_mode_16_64 3
		.amdhsa_dx10_clamp 1
		.amdhsa_ieee_mode 1
		.amdhsa_fp16_overflow 0
		.amdhsa_exception_fp_ieee_invalid_op 0
		.amdhsa_exception_fp_denorm_src 0
		.amdhsa_exception_fp_ieee_div_zero 0
		.amdhsa_exception_fp_ieee_overflow 0
		.amdhsa_exception_fp_ieee_underflow 0
		.amdhsa_exception_fp_ieee_inexact 0
		.amdhsa_exception_int_div_zero 0
	.end_amdhsa_kernel
	.section	.text._ZN7rocprim17ROCPRIM_400000_NS6detail17trampoline_kernelINS0_13select_configILj256ELj13ELNS0_17block_load_methodE3ELS4_3ELS4_3ELNS0_20block_scan_algorithmE0ELj4294967295EEENS1_25partition_config_selectorILNS1_17partition_subalgoE4EjNS0_10empty_typeEbEEZZNS1_14partition_implILS8_4ELb0ES6_15HIP_vector_typeIjLj2EENS0_17counting_iteratorIjlEEPS9_SG_NS0_5tupleIJPjSI_NS0_16reverse_iteratorISI_EEEEENSH_IJSG_SG_SG_EEES9_SI_JZNS1_25segmented_radix_sort_implINS0_14default_configELb1EPKdPdPKlPlN2at6native12_GLOBAL__N_18offset_tEEE10hipError_tPvRmT1_PNSt15iterator_traitsIS12_E10value_typeET2_T3_PNS13_IS18_E10value_typeET4_jRbjT5_S1E_jjP12ihipStream_tbEUljE_ZNSN_ISO_Lb1ESQ_SR_ST_SU_SY_EESZ_S10_S11_S12_S16_S17_S18_S1B_S1C_jS1D_jS1E_S1E_jjS1G_bEUljE0_EEESZ_S10_S11_S18_S1C_S1E_T6_T7_T9_mT8_S1G_bDpT10_ENKUlT_T0_E_clISt17integral_constantIbLb1EES1T_IbLb0EEEEDaS1P_S1Q_EUlS1P_E_NS1_11comp_targetILNS1_3genE5ELNS1_11target_archE942ELNS1_3gpuE9ELNS1_3repE0EEENS1_30default_config_static_selectorELNS0_4arch9wavefront6targetE1EEEvS12_,"axG",@progbits,_ZN7rocprim17ROCPRIM_400000_NS6detail17trampoline_kernelINS0_13select_configILj256ELj13ELNS0_17block_load_methodE3ELS4_3ELS4_3ELNS0_20block_scan_algorithmE0ELj4294967295EEENS1_25partition_config_selectorILNS1_17partition_subalgoE4EjNS0_10empty_typeEbEEZZNS1_14partition_implILS8_4ELb0ES6_15HIP_vector_typeIjLj2EENS0_17counting_iteratorIjlEEPS9_SG_NS0_5tupleIJPjSI_NS0_16reverse_iteratorISI_EEEEENSH_IJSG_SG_SG_EEES9_SI_JZNS1_25segmented_radix_sort_implINS0_14default_configELb1EPKdPdPKlPlN2at6native12_GLOBAL__N_18offset_tEEE10hipError_tPvRmT1_PNSt15iterator_traitsIS12_E10value_typeET2_T3_PNS13_IS18_E10value_typeET4_jRbjT5_S1E_jjP12ihipStream_tbEUljE_ZNSN_ISO_Lb1ESQ_SR_ST_SU_SY_EESZ_S10_S11_S12_S16_S17_S18_S1B_S1C_jS1D_jS1E_S1E_jjS1G_bEUljE0_EEESZ_S10_S11_S18_S1C_S1E_T6_T7_T9_mT8_S1G_bDpT10_ENKUlT_T0_E_clISt17integral_constantIbLb1EES1T_IbLb0EEEEDaS1P_S1Q_EUlS1P_E_NS1_11comp_targetILNS1_3genE5ELNS1_11target_archE942ELNS1_3gpuE9ELNS1_3repE0EEENS1_30default_config_static_selectorELNS0_4arch9wavefront6targetE1EEEvS12_,comdat
.Lfunc_end1071:
	.size	_ZN7rocprim17ROCPRIM_400000_NS6detail17trampoline_kernelINS0_13select_configILj256ELj13ELNS0_17block_load_methodE3ELS4_3ELS4_3ELNS0_20block_scan_algorithmE0ELj4294967295EEENS1_25partition_config_selectorILNS1_17partition_subalgoE4EjNS0_10empty_typeEbEEZZNS1_14partition_implILS8_4ELb0ES6_15HIP_vector_typeIjLj2EENS0_17counting_iteratorIjlEEPS9_SG_NS0_5tupleIJPjSI_NS0_16reverse_iteratorISI_EEEEENSH_IJSG_SG_SG_EEES9_SI_JZNS1_25segmented_radix_sort_implINS0_14default_configELb1EPKdPdPKlPlN2at6native12_GLOBAL__N_18offset_tEEE10hipError_tPvRmT1_PNSt15iterator_traitsIS12_E10value_typeET2_T3_PNS13_IS18_E10value_typeET4_jRbjT5_S1E_jjP12ihipStream_tbEUljE_ZNSN_ISO_Lb1ESQ_SR_ST_SU_SY_EESZ_S10_S11_S12_S16_S17_S18_S1B_S1C_jS1D_jS1E_S1E_jjS1G_bEUljE0_EEESZ_S10_S11_S18_S1C_S1E_T6_T7_T9_mT8_S1G_bDpT10_ENKUlT_T0_E_clISt17integral_constantIbLb1EES1T_IbLb0EEEEDaS1P_S1Q_EUlS1P_E_NS1_11comp_targetILNS1_3genE5ELNS1_11target_archE942ELNS1_3gpuE9ELNS1_3repE0EEENS1_30default_config_static_selectorELNS0_4arch9wavefront6targetE1EEEvS12_, .Lfunc_end1071-_ZN7rocprim17ROCPRIM_400000_NS6detail17trampoline_kernelINS0_13select_configILj256ELj13ELNS0_17block_load_methodE3ELS4_3ELS4_3ELNS0_20block_scan_algorithmE0ELj4294967295EEENS1_25partition_config_selectorILNS1_17partition_subalgoE4EjNS0_10empty_typeEbEEZZNS1_14partition_implILS8_4ELb0ES6_15HIP_vector_typeIjLj2EENS0_17counting_iteratorIjlEEPS9_SG_NS0_5tupleIJPjSI_NS0_16reverse_iteratorISI_EEEEENSH_IJSG_SG_SG_EEES9_SI_JZNS1_25segmented_radix_sort_implINS0_14default_configELb1EPKdPdPKlPlN2at6native12_GLOBAL__N_18offset_tEEE10hipError_tPvRmT1_PNSt15iterator_traitsIS12_E10value_typeET2_T3_PNS13_IS18_E10value_typeET4_jRbjT5_S1E_jjP12ihipStream_tbEUljE_ZNSN_ISO_Lb1ESQ_SR_ST_SU_SY_EESZ_S10_S11_S12_S16_S17_S18_S1B_S1C_jS1D_jS1E_S1E_jjS1G_bEUljE0_EEESZ_S10_S11_S18_S1C_S1E_T6_T7_T9_mT8_S1G_bDpT10_ENKUlT_T0_E_clISt17integral_constantIbLb1EES1T_IbLb0EEEEDaS1P_S1Q_EUlS1P_E_NS1_11comp_targetILNS1_3genE5ELNS1_11target_archE942ELNS1_3gpuE9ELNS1_3repE0EEENS1_30default_config_static_selectorELNS0_4arch9wavefront6targetE1EEEvS12_
                                        ; -- End function
	.set _ZN7rocprim17ROCPRIM_400000_NS6detail17trampoline_kernelINS0_13select_configILj256ELj13ELNS0_17block_load_methodE3ELS4_3ELS4_3ELNS0_20block_scan_algorithmE0ELj4294967295EEENS1_25partition_config_selectorILNS1_17partition_subalgoE4EjNS0_10empty_typeEbEEZZNS1_14partition_implILS8_4ELb0ES6_15HIP_vector_typeIjLj2EENS0_17counting_iteratorIjlEEPS9_SG_NS0_5tupleIJPjSI_NS0_16reverse_iteratorISI_EEEEENSH_IJSG_SG_SG_EEES9_SI_JZNS1_25segmented_radix_sort_implINS0_14default_configELb1EPKdPdPKlPlN2at6native12_GLOBAL__N_18offset_tEEE10hipError_tPvRmT1_PNSt15iterator_traitsIS12_E10value_typeET2_T3_PNS13_IS18_E10value_typeET4_jRbjT5_S1E_jjP12ihipStream_tbEUljE_ZNSN_ISO_Lb1ESQ_SR_ST_SU_SY_EESZ_S10_S11_S12_S16_S17_S18_S1B_S1C_jS1D_jS1E_S1E_jjS1G_bEUljE0_EEESZ_S10_S11_S18_S1C_S1E_T6_T7_T9_mT8_S1G_bDpT10_ENKUlT_T0_E_clISt17integral_constantIbLb1EES1T_IbLb0EEEEDaS1P_S1Q_EUlS1P_E_NS1_11comp_targetILNS1_3genE5ELNS1_11target_archE942ELNS1_3gpuE9ELNS1_3repE0EEENS1_30default_config_static_selectorELNS0_4arch9wavefront6targetE1EEEvS12_.num_vgpr, 0
	.set _ZN7rocprim17ROCPRIM_400000_NS6detail17trampoline_kernelINS0_13select_configILj256ELj13ELNS0_17block_load_methodE3ELS4_3ELS4_3ELNS0_20block_scan_algorithmE0ELj4294967295EEENS1_25partition_config_selectorILNS1_17partition_subalgoE4EjNS0_10empty_typeEbEEZZNS1_14partition_implILS8_4ELb0ES6_15HIP_vector_typeIjLj2EENS0_17counting_iteratorIjlEEPS9_SG_NS0_5tupleIJPjSI_NS0_16reverse_iteratorISI_EEEEENSH_IJSG_SG_SG_EEES9_SI_JZNS1_25segmented_radix_sort_implINS0_14default_configELb1EPKdPdPKlPlN2at6native12_GLOBAL__N_18offset_tEEE10hipError_tPvRmT1_PNSt15iterator_traitsIS12_E10value_typeET2_T3_PNS13_IS18_E10value_typeET4_jRbjT5_S1E_jjP12ihipStream_tbEUljE_ZNSN_ISO_Lb1ESQ_SR_ST_SU_SY_EESZ_S10_S11_S12_S16_S17_S18_S1B_S1C_jS1D_jS1E_S1E_jjS1G_bEUljE0_EEESZ_S10_S11_S18_S1C_S1E_T6_T7_T9_mT8_S1G_bDpT10_ENKUlT_T0_E_clISt17integral_constantIbLb1EES1T_IbLb0EEEEDaS1P_S1Q_EUlS1P_E_NS1_11comp_targetILNS1_3genE5ELNS1_11target_archE942ELNS1_3gpuE9ELNS1_3repE0EEENS1_30default_config_static_selectorELNS0_4arch9wavefront6targetE1EEEvS12_.num_agpr, 0
	.set _ZN7rocprim17ROCPRIM_400000_NS6detail17trampoline_kernelINS0_13select_configILj256ELj13ELNS0_17block_load_methodE3ELS4_3ELS4_3ELNS0_20block_scan_algorithmE0ELj4294967295EEENS1_25partition_config_selectorILNS1_17partition_subalgoE4EjNS0_10empty_typeEbEEZZNS1_14partition_implILS8_4ELb0ES6_15HIP_vector_typeIjLj2EENS0_17counting_iteratorIjlEEPS9_SG_NS0_5tupleIJPjSI_NS0_16reverse_iteratorISI_EEEEENSH_IJSG_SG_SG_EEES9_SI_JZNS1_25segmented_radix_sort_implINS0_14default_configELb1EPKdPdPKlPlN2at6native12_GLOBAL__N_18offset_tEEE10hipError_tPvRmT1_PNSt15iterator_traitsIS12_E10value_typeET2_T3_PNS13_IS18_E10value_typeET4_jRbjT5_S1E_jjP12ihipStream_tbEUljE_ZNSN_ISO_Lb1ESQ_SR_ST_SU_SY_EESZ_S10_S11_S12_S16_S17_S18_S1B_S1C_jS1D_jS1E_S1E_jjS1G_bEUljE0_EEESZ_S10_S11_S18_S1C_S1E_T6_T7_T9_mT8_S1G_bDpT10_ENKUlT_T0_E_clISt17integral_constantIbLb1EES1T_IbLb0EEEEDaS1P_S1Q_EUlS1P_E_NS1_11comp_targetILNS1_3genE5ELNS1_11target_archE942ELNS1_3gpuE9ELNS1_3repE0EEENS1_30default_config_static_selectorELNS0_4arch9wavefront6targetE1EEEvS12_.numbered_sgpr, 0
	.set _ZN7rocprim17ROCPRIM_400000_NS6detail17trampoline_kernelINS0_13select_configILj256ELj13ELNS0_17block_load_methodE3ELS4_3ELS4_3ELNS0_20block_scan_algorithmE0ELj4294967295EEENS1_25partition_config_selectorILNS1_17partition_subalgoE4EjNS0_10empty_typeEbEEZZNS1_14partition_implILS8_4ELb0ES6_15HIP_vector_typeIjLj2EENS0_17counting_iteratorIjlEEPS9_SG_NS0_5tupleIJPjSI_NS0_16reverse_iteratorISI_EEEEENSH_IJSG_SG_SG_EEES9_SI_JZNS1_25segmented_radix_sort_implINS0_14default_configELb1EPKdPdPKlPlN2at6native12_GLOBAL__N_18offset_tEEE10hipError_tPvRmT1_PNSt15iterator_traitsIS12_E10value_typeET2_T3_PNS13_IS18_E10value_typeET4_jRbjT5_S1E_jjP12ihipStream_tbEUljE_ZNSN_ISO_Lb1ESQ_SR_ST_SU_SY_EESZ_S10_S11_S12_S16_S17_S18_S1B_S1C_jS1D_jS1E_S1E_jjS1G_bEUljE0_EEESZ_S10_S11_S18_S1C_S1E_T6_T7_T9_mT8_S1G_bDpT10_ENKUlT_T0_E_clISt17integral_constantIbLb1EES1T_IbLb0EEEEDaS1P_S1Q_EUlS1P_E_NS1_11comp_targetILNS1_3genE5ELNS1_11target_archE942ELNS1_3gpuE9ELNS1_3repE0EEENS1_30default_config_static_selectorELNS0_4arch9wavefront6targetE1EEEvS12_.num_named_barrier, 0
	.set _ZN7rocprim17ROCPRIM_400000_NS6detail17trampoline_kernelINS0_13select_configILj256ELj13ELNS0_17block_load_methodE3ELS4_3ELS4_3ELNS0_20block_scan_algorithmE0ELj4294967295EEENS1_25partition_config_selectorILNS1_17partition_subalgoE4EjNS0_10empty_typeEbEEZZNS1_14partition_implILS8_4ELb0ES6_15HIP_vector_typeIjLj2EENS0_17counting_iteratorIjlEEPS9_SG_NS0_5tupleIJPjSI_NS0_16reverse_iteratorISI_EEEEENSH_IJSG_SG_SG_EEES9_SI_JZNS1_25segmented_radix_sort_implINS0_14default_configELb1EPKdPdPKlPlN2at6native12_GLOBAL__N_18offset_tEEE10hipError_tPvRmT1_PNSt15iterator_traitsIS12_E10value_typeET2_T3_PNS13_IS18_E10value_typeET4_jRbjT5_S1E_jjP12ihipStream_tbEUljE_ZNSN_ISO_Lb1ESQ_SR_ST_SU_SY_EESZ_S10_S11_S12_S16_S17_S18_S1B_S1C_jS1D_jS1E_S1E_jjS1G_bEUljE0_EEESZ_S10_S11_S18_S1C_S1E_T6_T7_T9_mT8_S1G_bDpT10_ENKUlT_T0_E_clISt17integral_constantIbLb1EES1T_IbLb0EEEEDaS1P_S1Q_EUlS1P_E_NS1_11comp_targetILNS1_3genE5ELNS1_11target_archE942ELNS1_3gpuE9ELNS1_3repE0EEENS1_30default_config_static_selectorELNS0_4arch9wavefront6targetE1EEEvS12_.private_seg_size, 0
	.set _ZN7rocprim17ROCPRIM_400000_NS6detail17trampoline_kernelINS0_13select_configILj256ELj13ELNS0_17block_load_methodE3ELS4_3ELS4_3ELNS0_20block_scan_algorithmE0ELj4294967295EEENS1_25partition_config_selectorILNS1_17partition_subalgoE4EjNS0_10empty_typeEbEEZZNS1_14partition_implILS8_4ELb0ES6_15HIP_vector_typeIjLj2EENS0_17counting_iteratorIjlEEPS9_SG_NS0_5tupleIJPjSI_NS0_16reverse_iteratorISI_EEEEENSH_IJSG_SG_SG_EEES9_SI_JZNS1_25segmented_radix_sort_implINS0_14default_configELb1EPKdPdPKlPlN2at6native12_GLOBAL__N_18offset_tEEE10hipError_tPvRmT1_PNSt15iterator_traitsIS12_E10value_typeET2_T3_PNS13_IS18_E10value_typeET4_jRbjT5_S1E_jjP12ihipStream_tbEUljE_ZNSN_ISO_Lb1ESQ_SR_ST_SU_SY_EESZ_S10_S11_S12_S16_S17_S18_S1B_S1C_jS1D_jS1E_S1E_jjS1G_bEUljE0_EEESZ_S10_S11_S18_S1C_S1E_T6_T7_T9_mT8_S1G_bDpT10_ENKUlT_T0_E_clISt17integral_constantIbLb1EES1T_IbLb0EEEEDaS1P_S1Q_EUlS1P_E_NS1_11comp_targetILNS1_3genE5ELNS1_11target_archE942ELNS1_3gpuE9ELNS1_3repE0EEENS1_30default_config_static_selectorELNS0_4arch9wavefront6targetE1EEEvS12_.uses_vcc, 0
	.set _ZN7rocprim17ROCPRIM_400000_NS6detail17trampoline_kernelINS0_13select_configILj256ELj13ELNS0_17block_load_methodE3ELS4_3ELS4_3ELNS0_20block_scan_algorithmE0ELj4294967295EEENS1_25partition_config_selectorILNS1_17partition_subalgoE4EjNS0_10empty_typeEbEEZZNS1_14partition_implILS8_4ELb0ES6_15HIP_vector_typeIjLj2EENS0_17counting_iteratorIjlEEPS9_SG_NS0_5tupleIJPjSI_NS0_16reverse_iteratorISI_EEEEENSH_IJSG_SG_SG_EEES9_SI_JZNS1_25segmented_radix_sort_implINS0_14default_configELb1EPKdPdPKlPlN2at6native12_GLOBAL__N_18offset_tEEE10hipError_tPvRmT1_PNSt15iterator_traitsIS12_E10value_typeET2_T3_PNS13_IS18_E10value_typeET4_jRbjT5_S1E_jjP12ihipStream_tbEUljE_ZNSN_ISO_Lb1ESQ_SR_ST_SU_SY_EESZ_S10_S11_S12_S16_S17_S18_S1B_S1C_jS1D_jS1E_S1E_jjS1G_bEUljE0_EEESZ_S10_S11_S18_S1C_S1E_T6_T7_T9_mT8_S1G_bDpT10_ENKUlT_T0_E_clISt17integral_constantIbLb1EES1T_IbLb0EEEEDaS1P_S1Q_EUlS1P_E_NS1_11comp_targetILNS1_3genE5ELNS1_11target_archE942ELNS1_3gpuE9ELNS1_3repE0EEENS1_30default_config_static_selectorELNS0_4arch9wavefront6targetE1EEEvS12_.uses_flat_scratch, 0
	.set _ZN7rocprim17ROCPRIM_400000_NS6detail17trampoline_kernelINS0_13select_configILj256ELj13ELNS0_17block_load_methodE3ELS4_3ELS4_3ELNS0_20block_scan_algorithmE0ELj4294967295EEENS1_25partition_config_selectorILNS1_17partition_subalgoE4EjNS0_10empty_typeEbEEZZNS1_14partition_implILS8_4ELb0ES6_15HIP_vector_typeIjLj2EENS0_17counting_iteratorIjlEEPS9_SG_NS0_5tupleIJPjSI_NS0_16reverse_iteratorISI_EEEEENSH_IJSG_SG_SG_EEES9_SI_JZNS1_25segmented_radix_sort_implINS0_14default_configELb1EPKdPdPKlPlN2at6native12_GLOBAL__N_18offset_tEEE10hipError_tPvRmT1_PNSt15iterator_traitsIS12_E10value_typeET2_T3_PNS13_IS18_E10value_typeET4_jRbjT5_S1E_jjP12ihipStream_tbEUljE_ZNSN_ISO_Lb1ESQ_SR_ST_SU_SY_EESZ_S10_S11_S12_S16_S17_S18_S1B_S1C_jS1D_jS1E_S1E_jjS1G_bEUljE0_EEESZ_S10_S11_S18_S1C_S1E_T6_T7_T9_mT8_S1G_bDpT10_ENKUlT_T0_E_clISt17integral_constantIbLb1EES1T_IbLb0EEEEDaS1P_S1Q_EUlS1P_E_NS1_11comp_targetILNS1_3genE5ELNS1_11target_archE942ELNS1_3gpuE9ELNS1_3repE0EEENS1_30default_config_static_selectorELNS0_4arch9wavefront6targetE1EEEvS12_.has_dyn_sized_stack, 0
	.set _ZN7rocprim17ROCPRIM_400000_NS6detail17trampoline_kernelINS0_13select_configILj256ELj13ELNS0_17block_load_methodE3ELS4_3ELS4_3ELNS0_20block_scan_algorithmE0ELj4294967295EEENS1_25partition_config_selectorILNS1_17partition_subalgoE4EjNS0_10empty_typeEbEEZZNS1_14partition_implILS8_4ELb0ES6_15HIP_vector_typeIjLj2EENS0_17counting_iteratorIjlEEPS9_SG_NS0_5tupleIJPjSI_NS0_16reverse_iteratorISI_EEEEENSH_IJSG_SG_SG_EEES9_SI_JZNS1_25segmented_radix_sort_implINS0_14default_configELb1EPKdPdPKlPlN2at6native12_GLOBAL__N_18offset_tEEE10hipError_tPvRmT1_PNSt15iterator_traitsIS12_E10value_typeET2_T3_PNS13_IS18_E10value_typeET4_jRbjT5_S1E_jjP12ihipStream_tbEUljE_ZNSN_ISO_Lb1ESQ_SR_ST_SU_SY_EESZ_S10_S11_S12_S16_S17_S18_S1B_S1C_jS1D_jS1E_S1E_jjS1G_bEUljE0_EEESZ_S10_S11_S18_S1C_S1E_T6_T7_T9_mT8_S1G_bDpT10_ENKUlT_T0_E_clISt17integral_constantIbLb1EES1T_IbLb0EEEEDaS1P_S1Q_EUlS1P_E_NS1_11comp_targetILNS1_3genE5ELNS1_11target_archE942ELNS1_3gpuE9ELNS1_3repE0EEENS1_30default_config_static_selectorELNS0_4arch9wavefront6targetE1EEEvS12_.has_recursion, 0
	.set _ZN7rocprim17ROCPRIM_400000_NS6detail17trampoline_kernelINS0_13select_configILj256ELj13ELNS0_17block_load_methodE3ELS4_3ELS4_3ELNS0_20block_scan_algorithmE0ELj4294967295EEENS1_25partition_config_selectorILNS1_17partition_subalgoE4EjNS0_10empty_typeEbEEZZNS1_14partition_implILS8_4ELb0ES6_15HIP_vector_typeIjLj2EENS0_17counting_iteratorIjlEEPS9_SG_NS0_5tupleIJPjSI_NS0_16reverse_iteratorISI_EEEEENSH_IJSG_SG_SG_EEES9_SI_JZNS1_25segmented_radix_sort_implINS0_14default_configELb1EPKdPdPKlPlN2at6native12_GLOBAL__N_18offset_tEEE10hipError_tPvRmT1_PNSt15iterator_traitsIS12_E10value_typeET2_T3_PNS13_IS18_E10value_typeET4_jRbjT5_S1E_jjP12ihipStream_tbEUljE_ZNSN_ISO_Lb1ESQ_SR_ST_SU_SY_EESZ_S10_S11_S12_S16_S17_S18_S1B_S1C_jS1D_jS1E_S1E_jjS1G_bEUljE0_EEESZ_S10_S11_S18_S1C_S1E_T6_T7_T9_mT8_S1G_bDpT10_ENKUlT_T0_E_clISt17integral_constantIbLb1EES1T_IbLb0EEEEDaS1P_S1Q_EUlS1P_E_NS1_11comp_targetILNS1_3genE5ELNS1_11target_archE942ELNS1_3gpuE9ELNS1_3repE0EEENS1_30default_config_static_selectorELNS0_4arch9wavefront6targetE1EEEvS12_.has_indirect_call, 0
	.section	.AMDGPU.csdata,"",@progbits
; Kernel info:
; codeLenInByte = 0
; TotalNumSgprs: 4
; NumVgprs: 0
; ScratchSize: 0
; MemoryBound: 0
; FloatMode: 240
; IeeeMode: 1
; LDSByteSize: 0 bytes/workgroup (compile time only)
; SGPRBlocks: 0
; VGPRBlocks: 0
; NumSGPRsForWavesPerEU: 4
; NumVGPRsForWavesPerEU: 1
; Occupancy: 10
; WaveLimiterHint : 0
; COMPUTE_PGM_RSRC2:SCRATCH_EN: 0
; COMPUTE_PGM_RSRC2:USER_SGPR: 6
; COMPUTE_PGM_RSRC2:TRAP_HANDLER: 0
; COMPUTE_PGM_RSRC2:TGID_X_EN: 1
; COMPUTE_PGM_RSRC2:TGID_Y_EN: 0
; COMPUTE_PGM_RSRC2:TGID_Z_EN: 0
; COMPUTE_PGM_RSRC2:TIDIG_COMP_CNT: 0
	.section	.text._ZN7rocprim17ROCPRIM_400000_NS6detail17trampoline_kernelINS0_13select_configILj256ELj13ELNS0_17block_load_methodE3ELS4_3ELS4_3ELNS0_20block_scan_algorithmE0ELj4294967295EEENS1_25partition_config_selectorILNS1_17partition_subalgoE4EjNS0_10empty_typeEbEEZZNS1_14partition_implILS8_4ELb0ES6_15HIP_vector_typeIjLj2EENS0_17counting_iteratorIjlEEPS9_SG_NS0_5tupleIJPjSI_NS0_16reverse_iteratorISI_EEEEENSH_IJSG_SG_SG_EEES9_SI_JZNS1_25segmented_radix_sort_implINS0_14default_configELb1EPKdPdPKlPlN2at6native12_GLOBAL__N_18offset_tEEE10hipError_tPvRmT1_PNSt15iterator_traitsIS12_E10value_typeET2_T3_PNS13_IS18_E10value_typeET4_jRbjT5_S1E_jjP12ihipStream_tbEUljE_ZNSN_ISO_Lb1ESQ_SR_ST_SU_SY_EESZ_S10_S11_S12_S16_S17_S18_S1B_S1C_jS1D_jS1E_S1E_jjS1G_bEUljE0_EEESZ_S10_S11_S18_S1C_S1E_T6_T7_T9_mT8_S1G_bDpT10_ENKUlT_T0_E_clISt17integral_constantIbLb1EES1T_IbLb0EEEEDaS1P_S1Q_EUlS1P_E_NS1_11comp_targetILNS1_3genE4ELNS1_11target_archE910ELNS1_3gpuE8ELNS1_3repE0EEENS1_30default_config_static_selectorELNS0_4arch9wavefront6targetE1EEEvS12_,"axG",@progbits,_ZN7rocprim17ROCPRIM_400000_NS6detail17trampoline_kernelINS0_13select_configILj256ELj13ELNS0_17block_load_methodE3ELS4_3ELS4_3ELNS0_20block_scan_algorithmE0ELj4294967295EEENS1_25partition_config_selectorILNS1_17partition_subalgoE4EjNS0_10empty_typeEbEEZZNS1_14partition_implILS8_4ELb0ES6_15HIP_vector_typeIjLj2EENS0_17counting_iteratorIjlEEPS9_SG_NS0_5tupleIJPjSI_NS0_16reverse_iteratorISI_EEEEENSH_IJSG_SG_SG_EEES9_SI_JZNS1_25segmented_radix_sort_implINS0_14default_configELb1EPKdPdPKlPlN2at6native12_GLOBAL__N_18offset_tEEE10hipError_tPvRmT1_PNSt15iterator_traitsIS12_E10value_typeET2_T3_PNS13_IS18_E10value_typeET4_jRbjT5_S1E_jjP12ihipStream_tbEUljE_ZNSN_ISO_Lb1ESQ_SR_ST_SU_SY_EESZ_S10_S11_S12_S16_S17_S18_S1B_S1C_jS1D_jS1E_S1E_jjS1G_bEUljE0_EEESZ_S10_S11_S18_S1C_S1E_T6_T7_T9_mT8_S1G_bDpT10_ENKUlT_T0_E_clISt17integral_constantIbLb1EES1T_IbLb0EEEEDaS1P_S1Q_EUlS1P_E_NS1_11comp_targetILNS1_3genE4ELNS1_11target_archE910ELNS1_3gpuE8ELNS1_3repE0EEENS1_30default_config_static_selectorELNS0_4arch9wavefront6targetE1EEEvS12_,comdat
	.globl	_ZN7rocprim17ROCPRIM_400000_NS6detail17trampoline_kernelINS0_13select_configILj256ELj13ELNS0_17block_load_methodE3ELS4_3ELS4_3ELNS0_20block_scan_algorithmE0ELj4294967295EEENS1_25partition_config_selectorILNS1_17partition_subalgoE4EjNS0_10empty_typeEbEEZZNS1_14partition_implILS8_4ELb0ES6_15HIP_vector_typeIjLj2EENS0_17counting_iteratorIjlEEPS9_SG_NS0_5tupleIJPjSI_NS0_16reverse_iteratorISI_EEEEENSH_IJSG_SG_SG_EEES9_SI_JZNS1_25segmented_radix_sort_implINS0_14default_configELb1EPKdPdPKlPlN2at6native12_GLOBAL__N_18offset_tEEE10hipError_tPvRmT1_PNSt15iterator_traitsIS12_E10value_typeET2_T3_PNS13_IS18_E10value_typeET4_jRbjT5_S1E_jjP12ihipStream_tbEUljE_ZNSN_ISO_Lb1ESQ_SR_ST_SU_SY_EESZ_S10_S11_S12_S16_S17_S18_S1B_S1C_jS1D_jS1E_S1E_jjS1G_bEUljE0_EEESZ_S10_S11_S18_S1C_S1E_T6_T7_T9_mT8_S1G_bDpT10_ENKUlT_T0_E_clISt17integral_constantIbLb1EES1T_IbLb0EEEEDaS1P_S1Q_EUlS1P_E_NS1_11comp_targetILNS1_3genE4ELNS1_11target_archE910ELNS1_3gpuE8ELNS1_3repE0EEENS1_30default_config_static_selectorELNS0_4arch9wavefront6targetE1EEEvS12_ ; -- Begin function _ZN7rocprim17ROCPRIM_400000_NS6detail17trampoline_kernelINS0_13select_configILj256ELj13ELNS0_17block_load_methodE3ELS4_3ELS4_3ELNS0_20block_scan_algorithmE0ELj4294967295EEENS1_25partition_config_selectorILNS1_17partition_subalgoE4EjNS0_10empty_typeEbEEZZNS1_14partition_implILS8_4ELb0ES6_15HIP_vector_typeIjLj2EENS0_17counting_iteratorIjlEEPS9_SG_NS0_5tupleIJPjSI_NS0_16reverse_iteratorISI_EEEEENSH_IJSG_SG_SG_EEES9_SI_JZNS1_25segmented_radix_sort_implINS0_14default_configELb1EPKdPdPKlPlN2at6native12_GLOBAL__N_18offset_tEEE10hipError_tPvRmT1_PNSt15iterator_traitsIS12_E10value_typeET2_T3_PNS13_IS18_E10value_typeET4_jRbjT5_S1E_jjP12ihipStream_tbEUljE_ZNSN_ISO_Lb1ESQ_SR_ST_SU_SY_EESZ_S10_S11_S12_S16_S17_S18_S1B_S1C_jS1D_jS1E_S1E_jjS1G_bEUljE0_EEESZ_S10_S11_S18_S1C_S1E_T6_T7_T9_mT8_S1G_bDpT10_ENKUlT_T0_E_clISt17integral_constantIbLb1EES1T_IbLb0EEEEDaS1P_S1Q_EUlS1P_E_NS1_11comp_targetILNS1_3genE4ELNS1_11target_archE910ELNS1_3gpuE8ELNS1_3repE0EEENS1_30default_config_static_selectorELNS0_4arch9wavefront6targetE1EEEvS12_
	.p2align	8
	.type	_ZN7rocprim17ROCPRIM_400000_NS6detail17trampoline_kernelINS0_13select_configILj256ELj13ELNS0_17block_load_methodE3ELS4_3ELS4_3ELNS0_20block_scan_algorithmE0ELj4294967295EEENS1_25partition_config_selectorILNS1_17partition_subalgoE4EjNS0_10empty_typeEbEEZZNS1_14partition_implILS8_4ELb0ES6_15HIP_vector_typeIjLj2EENS0_17counting_iteratorIjlEEPS9_SG_NS0_5tupleIJPjSI_NS0_16reverse_iteratorISI_EEEEENSH_IJSG_SG_SG_EEES9_SI_JZNS1_25segmented_radix_sort_implINS0_14default_configELb1EPKdPdPKlPlN2at6native12_GLOBAL__N_18offset_tEEE10hipError_tPvRmT1_PNSt15iterator_traitsIS12_E10value_typeET2_T3_PNS13_IS18_E10value_typeET4_jRbjT5_S1E_jjP12ihipStream_tbEUljE_ZNSN_ISO_Lb1ESQ_SR_ST_SU_SY_EESZ_S10_S11_S12_S16_S17_S18_S1B_S1C_jS1D_jS1E_S1E_jjS1G_bEUljE0_EEESZ_S10_S11_S18_S1C_S1E_T6_T7_T9_mT8_S1G_bDpT10_ENKUlT_T0_E_clISt17integral_constantIbLb1EES1T_IbLb0EEEEDaS1P_S1Q_EUlS1P_E_NS1_11comp_targetILNS1_3genE4ELNS1_11target_archE910ELNS1_3gpuE8ELNS1_3repE0EEENS1_30default_config_static_selectorELNS0_4arch9wavefront6targetE1EEEvS12_,@function
_ZN7rocprim17ROCPRIM_400000_NS6detail17trampoline_kernelINS0_13select_configILj256ELj13ELNS0_17block_load_methodE3ELS4_3ELS4_3ELNS0_20block_scan_algorithmE0ELj4294967295EEENS1_25partition_config_selectorILNS1_17partition_subalgoE4EjNS0_10empty_typeEbEEZZNS1_14partition_implILS8_4ELb0ES6_15HIP_vector_typeIjLj2EENS0_17counting_iteratorIjlEEPS9_SG_NS0_5tupleIJPjSI_NS0_16reverse_iteratorISI_EEEEENSH_IJSG_SG_SG_EEES9_SI_JZNS1_25segmented_radix_sort_implINS0_14default_configELb1EPKdPdPKlPlN2at6native12_GLOBAL__N_18offset_tEEE10hipError_tPvRmT1_PNSt15iterator_traitsIS12_E10value_typeET2_T3_PNS13_IS18_E10value_typeET4_jRbjT5_S1E_jjP12ihipStream_tbEUljE_ZNSN_ISO_Lb1ESQ_SR_ST_SU_SY_EESZ_S10_S11_S12_S16_S17_S18_S1B_S1C_jS1D_jS1E_S1E_jjS1G_bEUljE0_EEESZ_S10_S11_S18_S1C_S1E_T6_T7_T9_mT8_S1G_bDpT10_ENKUlT_T0_E_clISt17integral_constantIbLb1EES1T_IbLb0EEEEDaS1P_S1Q_EUlS1P_E_NS1_11comp_targetILNS1_3genE4ELNS1_11target_archE910ELNS1_3gpuE8ELNS1_3repE0EEENS1_30default_config_static_selectorELNS0_4arch9wavefront6targetE1EEEvS12_: ; @_ZN7rocprim17ROCPRIM_400000_NS6detail17trampoline_kernelINS0_13select_configILj256ELj13ELNS0_17block_load_methodE3ELS4_3ELS4_3ELNS0_20block_scan_algorithmE0ELj4294967295EEENS1_25partition_config_selectorILNS1_17partition_subalgoE4EjNS0_10empty_typeEbEEZZNS1_14partition_implILS8_4ELb0ES6_15HIP_vector_typeIjLj2EENS0_17counting_iteratorIjlEEPS9_SG_NS0_5tupleIJPjSI_NS0_16reverse_iteratorISI_EEEEENSH_IJSG_SG_SG_EEES9_SI_JZNS1_25segmented_radix_sort_implINS0_14default_configELb1EPKdPdPKlPlN2at6native12_GLOBAL__N_18offset_tEEE10hipError_tPvRmT1_PNSt15iterator_traitsIS12_E10value_typeET2_T3_PNS13_IS18_E10value_typeET4_jRbjT5_S1E_jjP12ihipStream_tbEUljE_ZNSN_ISO_Lb1ESQ_SR_ST_SU_SY_EESZ_S10_S11_S12_S16_S17_S18_S1B_S1C_jS1D_jS1E_S1E_jjS1G_bEUljE0_EEESZ_S10_S11_S18_S1C_S1E_T6_T7_T9_mT8_S1G_bDpT10_ENKUlT_T0_E_clISt17integral_constantIbLb1EES1T_IbLb0EEEEDaS1P_S1Q_EUlS1P_E_NS1_11comp_targetILNS1_3genE4ELNS1_11target_archE910ELNS1_3gpuE8ELNS1_3repE0EEENS1_30default_config_static_selectorELNS0_4arch9wavefront6targetE1EEEvS12_
; %bb.0:
	.section	.rodata,"a",@progbits
	.p2align	6, 0x0
	.amdhsa_kernel _ZN7rocprim17ROCPRIM_400000_NS6detail17trampoline_kernelINS0_13select_configILj256ELj13ELNS0_17block_load_methodE3ELS4_3ELS4_3ELNS0_20block_scan_algorithmE0ELj4294967295EEENS1_25partition_config_selectorILNS1_17partition_subalgoE4EjNS0_10empty_typeEbEEZZNS1_14partition_implILS8_4ELb0ES6_15HIP_vector_typeIjLj2EENS0_17counting_iteratorIjlEEPS9_SG_NS0_5tupleIJPjSI_NS0_16reverse_iteratorISI_EEEEENSH_IJSG_SG_SG_EEES9_SI_JZNS1_25segmented_radix_sort_implINS0_14default_configELb1EPKdPdPKlPlN2at6native12_GLOBAL__N_18offset_tEEE10hipError_tPvRmT1_PNSt15iterator_traitsIS12_E10value_typeET2_T3_PNS13_IS18_E10value_typeET4_jRbjT5_S1E_jjP12ihipStream_tbEUljE_ZNSN_ISO_Lb1ESQ_SR_ST_SU_SY_EESZ_S10_S11_S12_S16_S17_S18_S1B_S1C_jS1D_jS1E_S1E_jjS1G_bEUljE0_EEESZ_S10_S11_S18_S1C_S1E_T6_T7_T9_mT8_S1G_bDpT10_ENKUlT_T0_E_clISt17integral_constantIbLb1EES1T_IbLb0EEEEDaS1P_S1Q_EUlS1P_E_NS1_11comp_targetILNS1_3genE4ELNS1_11target_archE910ELNS1_3gpuE8ELNS1_3repE0EEENS1_30default_config_static_selectorELNS0_4arch9wavefront6targetE1EEEvS12_
		.amdhsa_group_segment_fixed_size 0
		.amdhsa_private_segment_fixed_size 0
		.amdhsa_kernarg_size 176
		.amdhsa_user_sgpr_count 6
		.amdhsa_user_sgpr_private_segment_buffer 1
		.amdhsa_user_sgpr_dispatch_ptr 0
		.amdhsa_user_sgpr_queue_ptr 0
		.amdhsa_user_sgpr_kernarg_segment_ptr 1
		.amdhsa_user_sgpr_dispatch_id 0
		.amdhsa_user_sgpr_flat_scratch_init 0
		.amdhsa_user_sgpr_private_segment_size 0
		.amdhsa_uses_dynamic_stack 0
		.amdhsa_system_sgpr_private_segment_wavefront_offset 0
		.amdhsa_system_sgpr_workgroup_id_x 1
		.amdhsa_system_sgpr_workgroup_id_y 0
		.amdhsa_system_sgpr_workgroup_id_z 0
		.amdhsa_system_sgpr_workgroup_info 0
		.amdhsa_system_vgpr_workitem_id 0
		.amdhsa_next_free_vgpr 1
		.amdhsa_next_free_sgpr 0
		.amdhsa_reserve_vcc 0
		.amdhsa_reserve_flat_scratch 0
		.amdhsa_float_round_mode_32 0
		.amdhsa_float_round_mode_16_64 0
		.amdhsa_float_denorm_mode_32 3
		.amdhsa_float_denorm_mode_16_64 3
		.amdhsa_dx10_clamp 1
		.amdhsa_ieee_mode 1
		.amdhsa_fp16_overflow 0
		.amdhsa_exception_fp_ieee_invalid_op 0
		.amdhsa_exception_fp_denorm_src 0
		.amdhsa_exception_fp_ieee_div_zero 0
		.amdhsa_exception_fp_ieee_overflow 0
		.amdhsa_exception_fp_ieee_underflow 0
		.amdhsa_exception_fp_ieee_inexact 0
		.amdhsa_exception_int_div_zero 0
	.end_amdhsa_kernel
	.section	.text._ZN7rocprim17ROCPRIM_400000_NS6detail17trampoline_kernelINS0_13select_configILj256ELj13ELNS0_17block_load_methodE3ELS4_3ELS4_3ELNS0_20block_scan_algorithmE0ELj4294967295EEENS1_25partition_config_selectorILNS1_17partition_subalgoE4EjNS0_10empty_typeEbEEZZNS1_14partition_implILS8_4ELb0ES6_15HIP_vector_typeIjLj2EENS0_17counting_iteratorIjlEEPS9_SG_NS0_5tupleIJPjSI_NS0_16reverse_iteratorISI_EEEEENSH_IJSG_SG_SG_EEES9_SI_JZNS1_25segmented_radix_sort_implINS0_14default_configELb1EPKdPdPKlPlN2at6native12_GLOBAL__N_18offset_tEEE10hipError_tPvRmT1_PNSt15iterator_traitsIS12_E10value_typeET2_T3_PNS13_IS18_E10value_typeET4_jRbjT5_S1E_jjP12ihipStream_tbEUljE_ZNSN_ISO_Lb1ESQ_SR_ST_SU_SY_EESZ_S10_S11_S12_S16_S17_S18_S1B_S1C_jS1D_jS1E_S1E_jjS1G_bEUljE0_EEESZ_S10_S11_S18_S1C_S1E_T6_T7_T9_mT8_S1G_bDpT10_ENKUlT_T0_E_clISt17integral_constantIbLb1EES1T_IbLb0EEEEDaS1P_S1Q_EUlS1P_E_NS1_11comp_targetILNS1_3genE4ELNS1_11target_archE910ELNS1_3gpuE8ELNS1_3repE0EEENS1_30default_config_static_selectorELNS0_4arch9wavefront6targetE1EEEvS12_,"axG",@progbits,_ZN7rocprim17ROCPRIM_400000_NS6detail17trampoline_kernelINS0_13select_configILj256ELj13ELNS0_17block_load_methodE3ELS4_3ELS4_3ELNS0_20block_scan_algorithmE0ELj4294967295EEENS1_25partition_config_selectorILNS1_17partition_subalgoE4EjNS0_10empty_typeEbEEZZNS1_14partition_implILS8_4ELb0ES6_15HIP_vector_typeIjLj2EENS0_17counting_iteratorIjlEEPS9_SG_NS0_5tupleIJPjSI_NS0_16reverse_iteratorISI_EEEEENSH_IJSG_SG_SG_EEES9_SI_JZNS1_25segmented_radix_sort_implINS0_14default_configELb1EPKdPdPKlPlN2at6native12_GLOBAL__N_18offset_tEEE10hipError_tPvRmT1_PNSt15iterator_traitsIS12_E10value_typeET2_T3_PNS13_IS18_E10value_typeET4_jRbjT5_S1E_jjP12ihipStream_tbEUljE_ZNSN_ISO_Lb1ESQ_SR_ST_SU_SY_EESZ_S10_S11_S12_S16_S17_S18_S1B_S1C_jS1D_jS1E_S1E_jjS1G_bEUljE0_EEESZ_S10_S11_S18_S1C_S1E_T6_T7_T9_mT8_S1G_bDpT10_ENKUlT_T0_E_clISt17integral_constantIbLb1EES1T_IbLb0EEEEDaS1P_S1Q_EUlS1P_E_NS1_11comp_targetILNS1_3genE4ELNS1_11target_archE910ELNS1_3gpuE8ELNS1_3repE0EEENS1_30default_config_static_selectorELNS0_4arch9wavefront6targetE1EEEvS12_,comdat
.Lfunc_end1072:
	.size	_ZN7rocprim17ROCPRIM_400000_NS6detail17trampoline_kernelINS0_13select_configILj256ELj13ELNS0_17block_load_methodE3ELS4_3ELS4_3ELNS0_20block_scan_algorithmE0ELj4294967295EEENS1_25partition_config_selectorILNS1_17partition_subalgoE4EjNS0_10empty_typeEbEEZZNS1_14partition_implILS8_4ELb0ES6_15HIP_vector_typeIjLj2EENS0_17counting_iteratorIjlEEPS9_SG_NS0_5tupleIJPjSI_NS0_16reverse_iteratorISI_EEEEENSH_IJSG_SG_SG_EEES9_SI_JZNS1_25segmented_radix_sort_implINS0_14default_configELb1EPKdPdPKlPlN2at6native12_GLOBAL__N_18offset_tEEE10hipError_tPvRmT1_PNSt15iterator_traitsIS12_E10value_typeET2_T3_PNS13_IS18_E10value_typeET4_jRbjT5_S1E_jjP12ihipStream_tbEUljE_ZNSN_ISO_Lb1ESQ_SR_ST_SU_SY_EESZ_S10_S11_S12_S16_S17_S18_S1B_S1C_jS1D_jS1E_S1E_jjS1G_bEUljE0_EEESZ_S10_S11_S18_S1C_S1E_T6_T7_T9_mT8_S1G_bDpT10_ENKUlT_T0_E_clISt17integral_constantIbLb1EES1T_IbLb0EEEEDaS1P_S1Q_EUlS1P_E_NS1_11comp_targetILNS1_3genE4ELNS1_11target_archE910ELNS1_3gpuE8ELNS1_3repE0EEENS1_30default_config_static_selectorELNS0_4arch9wavefront6targetE1EEEvS12_, .Lfunc_end1072-_ZN7rocprim17ROCPRIM_400000_NS6detail17trampoline_kernelINS0_13select_configILj256ELj13ELNS0_17block_load_methodE3ELS4_3ELS4_3ELNS0_20block_scan_algorithmE0ELj4294967295EEENS1_25partition_config_selectorILNS1_17partition_subalgoE4EjNS0_10empty_typeEbEEZZNS1_14partition_implILS8_4ELb0ES6_15HIP_vector_typeIjLj2EENS0_17counting_iteratorIjlEEPS9_SG_NS0_5tupleIJPjSI_NS0_16reverse_iteratorISI_EEEEENSH_IJSG_SG_SG_EEES9_SI_JZNS1_25segmented_radix_sort_implINS0_14default_configELb1EPKdPdPKlPlN2at6native12_GLOBAL__N_18offset_tEEE10hipError_tPvRmT1_PNSt15iterator_traitsIS12_E10value_typeET2_T3_PNS13_IS18_E10value_typeET4_jRbjT5_S1E_jjP12ihipStream_tbEUljE_ZNSN_ISO_Lb1ESQ_SR_ST_SU_SY_EESZ_S10_S11_S12_S16_S17_S18_S1B_S1C_jS1D_jS1E_S1E_jjS1G_bEUljE0_EEESZ_S10_S11_S18_S1C_S1E_T6_T7_T9_mT8_S1G_bDpT10_ENKUlT_T0_E_clISt17integral_constantIbLb1EES1T_IbLb0EEEEDaS1P_S1Q_EUlS1P_E_NS1_11comp_targetILNS1_3genE4ELNS1_11target_archE910ELNS1_3gpuE8ELNS1_3repE0EEENS1_30default_config_static_selectorELNS0_4arch9wavefront6targetE1EEEvS12_
                                        ; -- End function
	.set _ZN7rocprim17ROCPRIM_400000_NS6detail17trampoline_kernelINS0_13select_configILj256ELj13ELNS0_17block_load_methodE3ELS4_3ELS4_3ELNS0_20block_scan_algorithmE0ELj4294967295EEENS1_25partition_config_selectorILNS1_17partition_subalgoE4EjNS0_10empty_typeEbEEZZNS1_14partition_implILS8_4ELb0ES6_15HIP_vector_typeIjLj2EENS0_17counting_iteratorIjlEEPS9_SG_NS0_5tupleIJPjSI_NS0_16reverse_iteratorISI_EEEEENSH_IJSG_SG_SG_EEES9_SI_JZNS1_25segmented_radix_sort_implINS0_14default_configELb1EPKdPdPKlPlN2at6native12_GLOBAL__N_18offset_tEEE10hipError_tPvRmT1_PNSt15iterator_traitsIS12_E10value_typeET2_T3_PNS13_IS18_E10value_typeET4_jRbjT5_S1E_jjP12ihipStream_tbEUljE_ZNSN_ISO_Lb1ESQ_SR_ST_SU_SY_EESZ_S10_S11_S12_S16_S17_S18_S1B_S1C_jS1D_jS1E_S1E_jjS1G_bEUljE0_EEESZ_S10_S11_S18_S1C_S1E_T6_T7_T9_mT8_S1G_bDpT10_ENKUlT_T0_E_clISt17integral_constantIbLb1EES1T_IbLb0EEEEDaS1P_S1Q_EUlS1P_E_NS1_11comp_targetILNS1_3genE4ELNS1_11target_archE910ELNS1_3gpuE8ELNS1_3repE0EEENS1_30default_config_static_selectorELNS0_4arch9wavefront6targetE1EEEvS12_.num_vgpr, 0
	.set _ZN7rocprim17ROCPRIM_400000_NS6detail17trampoline_kernelINS0_13select_configILj256ELj13ELNS0_17block_load_methodE3ELS4_3ELS4_3ELNS0_20block_scan_algorithmE0ELj4294967295EEENS1_25partition_config_selectorILNS1_17partition_subalgoE4EjNS0_10empty_typeEbEEZZNS1_14partition_implILS8_4ELb0ES6_15HIP_vector_typeIjLj2EENS0_17counting_iteratorIjlEEPS9_SG_NS0_5tupleIJPjSI_NS0_16reverse_iteratorISI_EEEEENSH_IJSG_SG_SG_EEES9_SI_JZNS1_25segmented_radix_sort_implINS0_14default_configELb1EPKdPdPKlPlN2at6native12_GLOBAL__N_18offset_tEEE10hipError_tPvRmT1_PNSt15iterator_traitsIS12_E10value_typeET2_T3_PNS13_IS18_E10value_typeET4_jRbjT5_S1E_jjP12ihipStream_tbEUljE_ZNSN_ISO_Lb1ESQ_SR_ST_SU_SY_EESZ_S10_S11_S12_S16_S17_S18_S1B_S1C_jS1D_jS1E_S1E_jjS1G_bEUljE0_EEESZ_S10_S11_S18_S1C_S1E_T6_T7_T9_mT8_S1G_bDpT10_ENKUlT_T0_E_clISt17integral_constantIbLb1EES1T_IbLb0EEEEDaS1P_S1Q_EUlS1P_E_NS1_11comp_targetILNS1_3genE4ELNS1_11target_archE910ELNS1_3gpuE8ELNS1_3repE0EEENS1_30default_config_static_selectorELNS0_4arch9wavefront6targetE1EEEvS12_.num_agpr, 0
	.set _ZN7rocprim17ROCPRIM_400000_NS6detail17trampoline_kernelINS0_13select_configILj256ELj13ELNS0_17block_load_methodE3ELS4_3ELS4_3ELNS0_20block_scan_algorithmE0ELj4294967295EEENS1_25partition_config_selectorILNS1_17partition_subalgoE4EjNS0_10empty_typeEbEEZZNS1_14partition_implILS8_4ELb0ES6_15HIP_vector_typeIjLj2EENS0_17counting_iteratorIjlEEPS9_SG_NS0_5tupleIJPjSI_NS0_16reverse_iteratorISI_EEEEENSH_IJSG_SG_SG_EEES9_SI_JZNS1_25segmented_radix_sort_implINS0_14default_configELb1EPKdPdPKlPlN2at6native12_GLOBAL__N_18offset_tEEE10hipError_tPvRmT1_PNSt15iterator_traitsIS12_E10value_typeET2_T3_PNS13_IS18_E10value_typeET4_jRbjT5_S1E_jjP12ihipStream_tbEUljE_ZNSN_ISO_Lb1ESQ_SR_ST_SU_SY_EESZ_S10_S11_S12_S16_S17_S18_S1B_S1C_jS1D_jS1E_S1E_jjS1G_bEUljE0_EEESZ_S10_S11_S18_S1C_S1E_T6_T7_T9_mT8_S1G_bDpT10_ENKUlT_T0_E_clISt17integral_constantIbLb1EES1T_IbLb0EEEEDaS1P_S1Q_EUlS1P_E_NS1_11comp_targetILNS1_3genE4ELNS1_11target_archE910ELNS1_3gpuE8ELNS1_3repE0EEENS1_30default_config_static_selectorELNS0_4arch9wavefront6targetE1EEEvS12_.numbered_sgpr, 0
	.set _ZN7rocprim17ROCPRIM_400000_NS6detail17trampoline_kernelINS0_13select_configILj256ELj13ELNS0_17block_load_methodE3ELS4_3ELS4_3ELNS0_20block_scan_algorithmE0ELj4294967295EEENS1_25partition_config_selectorILNS1_17partition_subalgoE4EjNS0_10empty_typeEbEEZZNS1_14partition_implILS8_4ELb0ES6_15HIP_vector_typeIjLj2EENS0_17counting_iteratorIjlEEPS9_SG_NS0_5tupleIJPjSI_NS0_16reverse_iteratorISI_EEEEENSH_IJSG_SG_SG_EEES9_SI_JZNS1_25segmented_radix_sort_implINS0_14default_configELb1EPKdPdPKlPlN2at6native12_GLOBAL__N_18offset_tEEE10hipError_tPvRmT1_PNSt15iterator_traitsIS12_E10value_typeET2_T3_PNS13_IS18_E10value_typeET4_jRbjT5_S1E_jjP12ihipStream_tbEUljE_ZNSN_ISO_Lb1ESQ_SR_ST_SU_SY_EESZ_S10_S11_S12_S16_S17_S18_S1B_S1C_jS1D_jS1E_S1E_jjS1G_bEUljE0_EEESZ_S10_S11_S18_S1C_S1E_T6_T7_T9_mT8_S1G_bDpT10_ENKUlT_T0_E_clISt17integral_constantIbLb1EES1T_IbLb0EEEEDaS1P_S1Q_EUlS1P_E_NS1_11comp_targetILNS1_3genE4ELNS1_11target_archE910ELNS1_3gpuE8ELNS1_3repE0EEENS1_30default_config_static_selectorELNS0_4arch9wavefront6targetE1EEEvS12_.num_named_barrier, 0
	.set _ZN7rocprim17ROCPRIM_400000_NS6detail17trampoline_kernelINS0_13select_configILj256ELj13ELNS0_17block_load_methodE3ELS4_3ELS4_3ELNS0_20block_scan_algorithmE0ELj4294967295EEENS1_25partition_config_selectorILNS1_17partition_subalgoE4EjNS0_10empty_typeEbEEZZNS1_14partition_implILS8_4ELb0ES6_15HIP_vector_typeIjLj2EENS0_17counting_iteratorIjlEEPS9_SG_NS0_5tupleIJPjSI_NS0_16reverse_iteratorISI_EEEEENSH_IJSG_SG_SG_EEES9_SI_JZNS1_25segmented_radix_sort_implINS0_14default_configELb1EPKdPdPKlPlN2at6native12_GLOBAL__N_18offset_tEEE10hipError_tPvRmT1_PNSt15iterator_traitsIS12_E10value_typeET2_T3_PNS13_IS18_E10value_typeET4_jRbjT5_S1E_jjP12ihipStream_tbEUljE_ZNSN_ISO_Lb1ESQ_SR_ST_SU_SY_EESZ_S10_S11_S12_S16_S17_S18_S1B_S1C_jS1D_jS1E_S1E_jjS1G_bEUljE0_EEESZ_S10_S11_S18_S1C_S1E_T6_T7_T9_mT8_S1G_bDpT10_ENKUlT_T0_E_clISt17integral_constantIbLb1EES1T_IbLb0EEEEDaS1P_S1Q_EUlS1P_E_NS1_11comp_targetILNS1_3genE4ELNS1_11target_archE910ELNS1_3gpuE8ELNS1_3repE0EEENS1_30default_config_static_selectorELNS0_4arch9wavefront6targetE1EEEvS12_.private_seg_size, 0
	.set _ZN7rocprim17ROCPRIM_400000_NS6detail17trampoline_kernelINS0_13select_configILj256ELj13ELNS0_17block_load_methodE3ELS4_3ELS4_3ELNS0_20block_scan_algorithmE0ELj4294967295EEENS1_25partition_config_selectorILNS1_17partition_subalgoE4EjNS0_10empty_typeEbEEZZNS1_14partition_implILS8_4ELb0ES6_15HIP_vector_typeIjLj2EENS0_17counting_iteratorIjlEEPS9_SG_NS0_5tupleIJPjSI_NS0_16reverse_iteratorISI_EEEEENSH_IJSG_SG_SG_EEES9_SI_JZNS1_25segmented_radix_sort_implINS0_14default_configELb1EPKdPdPKlPlN2at6native12_GLOBAL__N_18offset_tEEE10hipError_tPvRmT1_PNSt15iterator_traitsIS12_E10value_typeET2_T3_PNS13_IS18_E10value_typeET4_jRbjT5_S1E_jjP12ihipStream_tbEUljE_ZNSN_ISO_Lb1ESQ_SR_ST_SU_SY_EESZ_S10_S11_S12_S16_S17_S18_S1B_S1C_jS1D_jS1E_S1E_jjS1G_bEUljE0_EEESZ_S10_S11_S18_S1C_S1E_T6_T7_T9_mT8_S1G_bDpT10_ENKUlT_T0_E_clISt17integral_constantIbLb1EES1T_IbLb0EEEEDaS1P_S1Q_EUlS1P_E_NS1_11comp_targetILNS1_3genE4ELNS1_11target_archE910ELNS1_3gpuE8ELNS1_3repE0EEENS1_30default_config_static_selectorELNS0_4arch9wavefront6targetE1EEEvS12_.uses_vcc, 0
	.set _ZN7rocprim17ROCPRIM_400000_NS6detail17trampoline_kernelINS0_13select_configILj256ELj13ELNS0_17block_load_methodE3ELS4_3ELS4_3ELNS0_20block_scan_algorithmE0ELj4294967295EEENS1_25partition_config_selectorILNS1_17partition_subalgoE4EjNS0_10empty_typeEbEEZZNS1_14partition_implILS8_4ELb0ES6_15HIP_vector_typeIjLj2EENS0_17counting_iteratorIjlEEPS9_SG_NS0_5tupleIJPjSI_NS0_16reverse_iteratorISI_EEEEENSH_IJSG_SG_SG_EEES9_SI_JZNS1_25segmented_radix_sort_implINS0_14default_configELb1EPKdPdPKlPlN2at6native12_GLOBAL__N_18offset_tEEE10hipError_tPvRmT1_PNSt15iterator_traitsIS12_E10value_typeET2_T3_PNS13_IS18_E10value_typeET4_jRbjT5_S1E_jjP12ihipStream_tbEUljE_ZNSN_ISO_Lb1ESQ_SR_ST_SU_SY_EESZ_S10_S11_S12_S16_S17_S18_S1B_S1C_jS1D_jS1E_S1E_jjS1G_bEUljE0_EEESZ_S10_S11_S18_S1C_S1E_T6_T7_T9_mT8_S1G_bDpT10_ENKUlT_T0_E_clISt17integral_constantIbLb1EES1T_IbLb0EEEEDaS1P_S1Q_EUlS1P_E_NS1_11comp_targetILNS1_3genE4ELNS1_11target_archE910ELNS1_3gpuE8ELNS1_3repE0EEENS1_30default_config_static_selectorELNS0_4arch9wavefront6targetE1EEEvS12_.uses_flat_scratch, 0
	.set _ZN7rocprim17ROCPRIM_400000_NS6detail17trampoline_kernelINS0_13select_configILj256ELj13ELNS0_17block_load_methodE3ELS4_3ELS4_3ELNS0_20block_scan_algorithmE0ELj4294967295EEENS1_25partition_config_selectorILNS1_17partition_subalgoE4EjNS0_10empty_typeEbEEZZNS1_14partition_implILS8_4ELb0ES6_15HIP_vector_typeIjLj2EENS0_17counting_iteratorIjlEEPS9_SG_NS0_5tupleIJPjSI_NS0_16reverse_iteratorISI_EEEEENSH_IJSG_SG_SG_EEES9_SI_JZNS1_25segmented_radix_sort_implINS0_14default_configELb1EPKdPdPKlPlN2at6native12_GLOBAL__N_18offset_tEEE10hipError_tPvRmT1_PNSt15iterator_traitsIS12_E10value_typeET2_T3_PNS13_IS18_E10value_typeET4_jRbjT5_S1E_jjP12ihipStream_tbEUljE_ZNSN_ISO_Lb1ESQ_SR_ST_SU_SY_EESZ_S10_S11_S12_S16_S17_S18_S1B_S1C_jS1D_jS1E_S1E_jjS1G_bEUljE0_EEESZ_S10_S11_S18_S1C_S1E_T6_T7_T9_mT8_S1G_bDpT10_ENKUlT_T0_E_clISt17integral_constantIbLb1EES1T_IbLb0EEEEDaS1P_S1Q_EUlS1P_E_NS1_11comp_targetILNS1_3genE4ELNS1_11target_archE910ELNS1_3gpuE8ELNS1_3repE0EEENS1_30default_config_static_selectorELNS0_4arch9wavefront6targetE1EEEvS12_.has_dyn_sized_stack, 0
	.set _ZN7rocprim17ROCPRIM_400000_NS6detail17trampoline_kernelINS0_13select_configILj256ELj13ELNS0_17block_load_methodE3ELS4_3ELS4_3ELNS0_20block_scan_algorithmE0ELj4294967295EEENS1_25partition_config_selectorILNS1_17partition_subalgoE4EjNS0_10empty_typeEbEEZZNS1_14partition_implILS8_4ELb0ES6_15HIP_vector_typeIjLj2EENS0_17counting_iteratorIjlEEPS9_SG_NS0_5tupleIJPjSI_NS0_16reverse_iteratorISI_EEEEENSH_IJSG_SG_SG_EEES9_SI_JZNS1_25segmented_radix_sort_implINS0_14default_configELb1EPKdPdPKlPlN2at6native12_GLOBAL__N_18offset_tEEE10hipError_tPvRmT1_PNSt15iterator_traitsIS12_E10value_typeET2_T3_PNS13_IS18_E10value_typeET4_jRbjT5_S1E_jjP12ihipStream_tbEUljE_ZNSN_ISO_Lb1ESQ_SR_ST_SU_SY_EESZ_S10_S11_S12_S16_S17_S18_S1B_S1C_jS1D_jS1E_S1E_jjS1G_bEUljE0_EEESZ_S10_S11_S18_S1C_S1E_T6_T7_T9_mT8_S1G_bDpT10_ENKUlT_T0_E_clISt17integral_constantIbLb1EES1T_IbLb0EEEEDaS1P_S1Q_EUlS1P_E_NS1_11comp_targetILNS1_3genE4ELNS1_11target_archE910ELNS1_3gpuE8ELNS1_3repE0EEENS1_30default_config_static_selectorELNS0_4arch9wavefront6targetE1EEEvS12_.has_recursion, 0
	.set _ZN7rocprim17ROCPRIM_400000_NS6detail17trampoline_kernelINS0_13select_configILj256ELj13ELNS0_17block_load_methodE3ELS4_3ELS4_3ELNS0_20block_scan_algorithmE0ELj4294967295EEENS1_25partition_config_selectorILNS1_17partition_subalgoE4EjNS0_10empty_typeEbEEZZNS1_14partition_implILS8_4ELb0ES6_15HIP_vector_typeIjLj2EENS0_17counting_iteratorIjlEEPS9_SG_NS0_5tupleIJPjSI_NS0_16reverse_iteratorISI_EEEEENSH_IJSG_SG_SG_EEES9_SI_JZNS1_25segmented_radix_sort_implINS0_14default_configELb1EPKdPdPKlPlN2at6native12_GLOBAL__N_18offset_tEEE10hipError_tPvRmT1_PNSt15iterator_traitsIS12_E10value_typeET2_T3_PNS13_IS18_E10value_typeET4_jRbjT5_S1E_jjP12ihipStream_tbEUljE_ZNSN_ISO_Lb1ESQ_SR_ST_SU_SY_EESZ_S10_S11_S12_S16_S17_S18_S1B_S1C_jS1D_jS1E_S1E_jjS1G_bEUljE0_EEESZ_S10_S11_S18_S1C_S1E_T6_T7_T9_mT8_S1G_bDpT10_ENKUlT_T0_E_clISt17integral_constantIbLb1EES1T_IbLb0EEEEDaS1P_S1Q_EUlS1P_E_NS1_11comp_targetILNS1_3genE4ELNS1_11target_archE910ELNS1_3gpuE8ELNS1_3repE0EEENS1_30default_config_static_selectorELNS0_4arch9wavefront6targetE1EEEvS12_.has_indirect_call, 0
	.section	.AMDGPU.csdata,"",@progbits
; Kernel info:
; codeLenInByte = 0
; TotalNumSgprs: 4
; NumVgprs: 0
; ScratchSize: 0
; MemoryBound: 0
; FloatMode: 240
; IeeeMode: 1
; LDSByteSize: 0 bytes/workgroup (compile time only)
; SGPRBlocks: 0
; VGPRBlocks: 0
; NumSGPRsForWavesPerEU: 4
; NumVGPRsForWavesPerEU: 1
; Occupancy: 10
; WaveLimiterHint : 0
; COMPUTE_PGM_RSRC2:SCRATCH_EN: 0
; COMPUTE_PGM_RSRC2:USER_SGPR: 6
; COMPUTE_PGM_RSRC2:TRAP_HANDLER: 0
; COMPUTE_PGM_RSRC2:TGID_X_EN: 1
; COMPUTE_PGM_RSRC2:TGID_Y_EN: 0
; COMPUTE_PGM_RSRC2:TGID_Z_EN: 0
; COMPUTE_PGM_RSRC2:TIDIG_COMP_CNT: 0
	.section	.text._ZN7rocprim17ROCPRIM_400000_NS6detail17trampoline_kernelINS0_13select_configILj256ELj13ELNS0_17block_load_methodE3ELS4_3ELS4_3ELNS0_20block_scan_algorithmE0ELj4294967295EEENS1_25partition_config_selectorILNS1_17partition_subalgoE4EjNS0_10empty_typeEbEEZZNS1_14partition_implILS8_4ELb0ES6_15HIP_vector_typeIjLj2EENS0_17counting_iteratorIjlEEPS9_SG_NS0_5tupleIJPjSI_NS0_16reverse_iteratorISI_EEEEENSH_IJSG_SG_SG_EEES9_SI_JZNS1_25segmented_radix_sort_implINS0_14default_configELb1EPKdPdPKlPlN2at6native12_GLOBAL__N_18offset_tEEE10hipError_tPvRmT1_PNSt15iterator_traitsIS12_E10value_typeET2_T3_PNS13_IS18_E10value_typeET4_jRbjT5_S1E_jjP12ihipStream_tbEUljE_ZNSN_ISO_Lb1ESQ_SR_ST_SU_SY_EESZ_S10_S11_S12_S16_S17_S18_S1B_S1C_jS1D_jS1E_S1E_jjS1G_bEUljE0_EEESZ_S10_S11_S18_S1C_S1E_T6_T7_T9_mT8_S1G_bDpT10_ENKUlT_T0_E_clISt17integral_constantIbLb1EES1T_IbLb0EEEEDaS1P_S1Q_EUlS1P_E_NS1_11comp_targetILNS1_3genE3ELNS1_11target_archE908ELNS1_3gpuE7ELNS1_3repE0EEENS1_30default_config_static_selectorELNS0_4arch9wavefront6targetE1EEEvS12_,"axG",@progbits,_ZN7rocprim17ROCPRIM_400000_NS6detail17trampoline_kernelINS0_13select_configILj256ELj13ELNS0_17block_load_methodE3ELS4_3ELS4_3ELNS0_20block_scan_algorithmE0ELj4294967295EEENS1_25partition_config_selectorILNS1_17partition_subalgoE4EjNS0_10empty_typeEbEEZZNS1_14partition_implILS8_4ELb0ES6_15HIP_vector_typeIjLj2EENS0_17counting_iteratorIjlEEPS9_SG_NS0_5tupleIJPjSI_NS0_16reverse_iteratorISI_EEEEENSH_IJSG_SG_SG_EEES9_SI_JZNS1_25segmented_radix_sort_implINS0_14default_configELb1EPKdPdPKlPlN2at6native12_GLOBAL__N_18offset_tEEE10hipError_tPvRmT1_PNSt15iterator_traitsIS12_E10value_typeET2_T3_PNS13_IS18_E10value_typeET4_jRbjT5_S1E_jjP12ihipStream_tbEUljE_ZNSN_ISO_Lb1ESQ_SR_ST_SU_SY_EESZ_S10_S11_S12_S16_S17_S18_S1B_S1C_jS1D_jS1E_S1E_jjS1G_bEUljE0_EEESZ_S10_S11_S18_S1C_S1E_T6_T7_T9_mT8_S1G_bDpT10_ENKUlT_T0_E_clISt17integral_constantIbLb1EES1T_IbLb0EEEEDaS1P_S1Q_EUlS1P_E_NS1_11comp_targetILNS1_3genE3ELNS1_11target_archE908ELNS1_3gpuE7ELNS1_3repE0EEENS1_30default_config_static_selectorELNS0_4arch9wavefront6targetE1EEEvS12_,comdat
	.globl	_ZN7rocprim17ROCPRIM_400000_NS6detail17trampoline_kernelINS0_13select_configILj256ELj13ELNS0_17block_load_methodE3ELS4_3ELS4_3ELNS0_20block_scan_algorithmE0ELj4294967295EEENS1_25partition_config_selectorILNS1_17partition_subalgoE4EjNS0_10empty_typeEbEEZZNS1_14partition_implILS8_4ELb0ES6_15HIP_vector_typeIjLj2EENS0_17counting_iteratorIjlEEPS9_SG_NS0_5tupleIJPjSI_NS0_16reverse_iteratorISI_EEEEENSH_IJSG_SG_SG_EEES9_SI_JZNS1_25segmented_radix_sort_implINS0_14default_configELb1EPKdPdPKlPlN2at6native12_GLOBAL__N_18offset_tEEE10hipError_tPvRmT1_PNSt15iterator_traitsIS12_E10value_typeET2_T3_PNS13_IS18_E10value_typeET4_jRbjT5_S1E_jjP12ihipStream_tbEUljE_ZNSN_ISO_Lb1ESQ_SR_ST_SU_SY_EESZ_S10_S11_S12_S16_S17_S18_S1B_S1C_jS1D_jS1E_S1E_jjS1G_bEUljE0_EEESZ_S10_S11_S18_S1C_S1E_T6_T7_T9_mT8_S1G_bDpT10_ENKUlT_T0_E_clISt17integral_constantIbLb1EES1T_IbLb0EEEEDaS1P_S1Q_EUlS1P_E_NS1_11comp_targetILNS1_3genE3ELNS1_11target_archE908ELNS1_3gpuE7ELNS1_3repE0EEENS1_30default_config_static_selectorELNS0_4arch9wavefront6targetE1EEEvS12_ ; -- Begin function _ZN7rocprim17ROCPRIM_400000_NS6detail17trampoline_kernelINS0_13select_configILj256ELj13ELNS0_17block_load_methodE3ELS4_3ELS4_3ELNS0_20block_scan_algorithmE0ELj4294967295EEENS1_25partition_config_selectorILNS1_17partition_subalgoE4EjNS0_10empty_typeEbEEZZNS1_14partition_implILS8_4ELb0ES6_15HIP_vector_typeIjLj2EENS0_17counting_iteratorIjlEEPS9_SG_NS0_5tupleIJPjSI_NS0_16reverse_iteratorISI_EEEEENSH_IJSG_SG_SG_EEES9_SI_JZNS1_25segmented_radix_sort_implINS0_14default_configELb1EPKdPdPKlPlN2at6native12_GLOBAL__N_18offset_tEEE10hipError_tPvRmT1_PNSt15iterator_traitsIS12_E10value_typeET2_T3_PNS13_IS18_E10value_typeET4_jRbjT5_S1E_jjP12ihipStream_tbEUljE_ZNSN_ISO_Lb1ESQ_SR_ST_SU_SY_EESZ_S10_S11_S12_S16_S17_S18_S1B_S1C_jS1D_jS1E_S1E_jjS1G_bEUljE0_EEESZ_S10_S11_S18_S1C_S1E_T6_T7_T9_mT8_S1G_bDpT10_ENKUlT_T0_E_clISt17integral_constantIbLb1EES1T_IbLb0EEEEDaS1P_S1Q_EUlS1P_E_NS1_11comp_targetILNS1_3genE3ELNS1_11target_archE908ELNS1_3gpuE7ELNS1_3repE0EEENS1_30default_config_static_selectorELNS0_4arch9wavefront6targetE1EEEvS12_
	.p2align	8
	.type	_ZN7rocprim17ROCPRIM_400000_NS6detail17trampoline_kernelINS0_13select_configILj256ELj13ELNS0_17block_load_methodE3ELS4_3ELS4_3ELNS0_20block_scan_algorithmE0ELj4294967295EEENS1_25partition_config_selectorILNS1_17partition_subalgoE4EjNS0_10empty_typeEbEEZZNS1_14partition_implILS8_4ELb0ES6_15HIP_vector_typeIjLj2EENS0_17counting_iteratorIjlEEPS9_SG_NS0_5tupleIJPjSI_NS0_16reverse_iteratorISI_EEEEENSH_IJSG_SG_SG_EEES9_SI_JZNS1_25segmented_radix_sort_implINS0_14default_configELb1EPKdPdPKlPlN2at6native12_GLOBAL__N_18offset_tEEE10hipError_tPvRmT1_PNSt15iterator_traitsIS12_E10value_typeET2_T3_PNS13_IS18_E10value_typeET4_jRbjT5_S1E_jjP12ihipStream_tbEUljE_ZNSN_ISO_Lb1ESQ_SR_ST_SU_SY_EESZ_S10_S11_S12_S16_S17_S18_S1B_S1C_jS1D_jS1E_S1E_jjS1G_bEUljE0_EEESZ_S10_S11_S18_S1C_S1E_T6_T7_T9_mT8_S1G_bDpT10_ENKUlT_T0_E_clISt17integral_constantIbLb1EES1T_IbLb0EEEEDaS1P_S1Q_EUlS1P_E_NS1_11comp_targetILNS1_3genE3ELNS1_11target_archE908ELNS1_3gpuE7ELNS1_3repE0EEENS1_30default_config_static_selectorELNS0_4arch9wavefront6targetE1EEEvS12_,@function
_ZN7rocprim17ROCPRIM_400000_NS6detail17trampoline_kernelINS0_13select_configILj256ELj13ELNS0_17block_load_methodE3ELS4_3ELS4_3ELNS0_20block_scan_algorithmE0ELj4294967295EEENS1_25partition_config_selectorILNS1_17partition_subalgoE4EjNS0_10empty_typeEbEEZZNS1_14partition_implILS8_4ELb0ES6_15HIP_vector_typeIjLj2EENS0_17counting_iteratorIjlEEPS9_SG_NS0_5tupleIJPjSI_NS0_16reverse_iteratorISI_EEEEENSH_IJSG_SG_SG_EEES9_SI_JZNS1_25segmented_radix_sort_implINS0_14default_configELb1EPKdPdPKlPlN2at6native12_GLOBAL__N_18offset_tEEE10hipError_tPvRmT1_PNSt15iterator_traitsIS12_E10value_typeET2_T3_PNS13_IS18_E10value_typeET4_jRbjT5_S1E_jjP12ihipStream_tbEUljE_ZNSN_ISO_Lb1ESQ_SR_ST_SU_SY_EESZ_S10_S11_S12_S16_S17_S18_S1B_S1C_jS1D_jS1E_S1E_jjS1G_bEUljE0_EEESZ_S10_S11_S18_S1C_S1E_T6_T7_T9_mT8_S1G_bDpT10_ENKUlT_T0_E_clISt17integral_constantIbLb1EES1T_IbLb0EEEEDaS1P_S1Q_EUlS1P_E_NS1_11comp_targetILNS1_3genE3ELNS1_11target_archE908ELNS1_3gpuE7ELNS1_3repE0EEENS1_30default_config_static_selectorELNS0_4arch9wavefront6targetE1EEEvS12_: ; @_ZN7rocprim17ROCPRIM_400000_NS6detail17trampoline_kernelINS0_13select_configILj256ELj13ELNS0_17block_load_methodE3ELS4_3ELS4_3ELNS0_20block_scan_algorithmE0ELj4294967295EEENS1_25partition_config_selectorILNS1_17partition_subalgoE4EjNS0_10empty_typeEbEEZZNS1_14partition_implILS8_4ELb0ES6_15HIP_vector_typeIjLj2EENS0_17counting_iteratorIjlEEPS9_SG_NS0_5tupleIJPjSI_NS0_16reverse_iteratorISI_EEEEENSH_IJSG_SG_SG_EEES9_SI_JZNS1_25segmented_radix_sort_implINS0_14default_configELb1EPKdPdPKlPlN2at6native12_GLOBAL__N_18offset_tEEE10hipError_tPvRmT1_PNSt15iterator_traitsIS12_E10value_typeET2_T3_PNS13_IS18_E10value_typeET4_jRbjT5_S1E_jjP12ihipStream_tbEUljE_ZNSN_ISO_Lb1ESQ_SR_ST_SU_SY_EESZ_S10_S11_S12_S16_S17_S18_S1B_S1C_jS1D_jS1E_S1E_jjS1G_bEUljE0_EEESZ_S10_S11_S18_S1C_S1E_T6_T7_T9_mT8_S1G_bDpT10_ENKUlT_T0_E_clISt17integral_constantIbLb1EES1T_IbLb0EEEEDaS1P_S1Q_EUlS1P_E_NS1_11comp_targetILNS1_3genE3ELNS1_11target_archE908ELNS1_3gpuE7ELNS1_3repE0EEENS1_30default_config_static_selectorELNS0_4arch9wavefront6targetE1EEEvS12_
; %bb.0:
	.section	.rodata,"a",@progbits
	.p2align	6, 0x0
	.amdhsa_kernel _ZN7rocprim17ROCPRIM_400000_NS6detail17trampoline_kernelINS0_13select_configILj256ELj13ELNS0_17block_load_methodE3ELS4_3ELS4_3ELNS0_20block_scan_algorithmE0ELj4294967295EEENS1_25partition_config_selectorILNS1_17partition_subalgoE4EjNS0_10empty_typeEbEEZZNS1_14partition_implILS8_4ELb0ES6_15HIP_vector_typeIjLj2EENS0_17counting_iteratorIjlEEPS9_SG_NS0_5tupleIJPjSI_NS0_16reverse_iteratorISI_EEEEENSH_IJSG_SG_SG_EEES9_SI_JZNS1_25segmented_radix_sort_implINS0_14default_configELb1EPKdPdPKlPlN2at6native12_GLOBAL__N_18offset_tEEE10hipError_tPvRmT1_PNSt15iterator_traitsIS12_E10value_typeET2_T3_PNS13_IS18_E10value_typeET4_jRbjT5_S1E_jjP12ihipStream_tbEUljE_ZNSN_ISO_Lb1ESQ_SR_ST_SU_SY_EESZ_S10_S11_S12_S16_S17_S18_S1B_S1C_jS1D_jS1E_S1E_jjS1G_bEUljE0_EEESZ_S10_S11_S18_S1C_S1E_T6_T7_T9_mT8_S1G_bDpT10_ENKUlT_T0_E_clISt17integral_constantIbLb1EES1T_IbLb0EEEEDaS1P_S1Q_EUlS1P_E_NS1_11comp_targetILNS1_3genE3ELNS1_11target_archE908ELNS1_3gpuE7ELNS1_3repE0EEENS1_30default_config_static_selectorELNS0_4arch9wavefront6targetE1EEEvS12_
		.amdhsa_group_segment_fixed_size 0
		.amdhsa_private_segment_fixed_size 0
		.amdhsa_kernarg_size 176
		.amdhsa_user_sgpr_count 6
		.amdhsa_user_sgpr_private_segment_buffer 1
		.amdhsa_user_sgpr_dispatch_ptr 0
		.amdhsa_user_sgpr_queue_ptr 0
		.amdhsa_user_sgpr_kernarg_segment_ptr 1
		.amdhsa_user_sgpr_dispatch_id 0
		.amdhsa_user_sgpr_flat_scratch_init 0
		.amdhsa_user_sgpr_private_segment_size 0
		.amdhsa_uses_dynamic_stack 0
		.amdhsa_system_sgpr_private_segment_wavefront_offset 0
		.amdhsa_system_sgpr_workgroup_id_x 1
		.amdhsa_system_sgpr_workgroup_id_y 0
		.amdhsa_system_sgpr_workgroup_id_z 0
		.amdhsa_system_sgpr_workgroup_info 0
		.amdhsa_system_vgpr_workitem_id 0
		.amdhsa_next_free_vgpr 1
		.amdhsa_next_free_sgpr 0
		.amdhsa_reserve_vcc 0
		.amdhsa_reserve_flat_scratch 0
		.amdhsa_float_round_mode_32 0
		.amdhsa_float_round_mode_16_64 0
		.amdhsa_float_denorm_mode_32 3
		.amdhsa_float_denorm_mode_16_64 3
		.amdhsa_dx10_clamp 1
		.amdhsa_ieee_mode 1
		.amdhsa_fp16_overflow 0
		.amdhsa_exception_fp_ieee_invalid_op 0
		.amdhsa_exception_fp_denorm_src 0
		.amdhsa_exception_fp_ieee_div_zero 0
		.amdhsa_exception_fp_ieee_overflow 0
		.amdhsa_exception_fp_ieee_underflow 0
		.amdhsa_exception_fp_ieee_inexact 0
		.amdhsa_exception_int_div_zero 0
	.end_amdhsa_kernel
	.section	.text._ZN7rocprim17ROCPRIM_400000_NS6detail17trampoline_kernelINS0_13select_configILj256ELj13ELNS0_17block_load_methodE3ELS4_3ELS4_3ELNS0_20block_scan_algorithmE0ELj4294967295EEENS1_25partition_config_selectorILNS1_17partition_subalgoE4EjNS0_10empty_typeEbEEZZNS1_14partition_implILS8_4ELb0ES6_15HIP_vector_typeIjLj2EENS0_17counting_iteratorIjlEEPS9_SG_NS0_5tupleIJPjSI_NS0_16reverse_iteratorISI_EEEEENSH_IJSG_SG_SG_EEES9_SI_JZNS1_25segmented_radix_sort_implINS0_14default_configELb1EPKdPdPKlPlN2at6native12_GLOBAL__N_18offset_tEEE10hipError_tPvRmT1_PNSt15iterator_traitsIS12_E10value_typeET2_T3_PNS13_IS18_E10value_typeET4_jRbjT5_S1E_jjP12ihipStream_tbEUljE_ZNSN_ISO_Lb1ESQ_SR_ST_SU_SY_EESZ_S10_S11_S12_S16_S17_S18_S1B_S1C_jS1D_jS1E_S1E_jjS1G_bEUljE0_EEESZ_S10_S11_S18_S1C_S1E_T6_T7_T9_mT8_S1G_bDpT10_ENKUlT_T0_E_clISt17integral_constantIbLb1EES1T_IbLb0EEEEDaS1P_S1Q_EUlS1P_E_NS1_11comp_targetILNS1_3genE3ELNS1_11target_archE908ELNS1_3gpuE7ELNS1_3repE0EEENS1_30default_config_static_selectorELNS0_4arch9wavefront6targetE1EEEvS12_,"axG",@progbits,_ZN7rocprim17ROCPRIM_400000_NS6detail17trampoline_kernelINS0_13select_configILj256ELj13ELNS0_17block_load_methodE3ELS4_3ELS4_3ELNS0_20block_scan_algorithmE0ELj4294967295EEENS1_25partition_config_selectorILNS1_17partition_subalgoE4EjNS0_10empty_typeEbEEZZNS1_14partition_implILS8_4ELb0ES6_15HIP_vector_typeIjLj2EENS0_17counting_iteratorIjlEEPS9_SG_NS0_5tupleIJPjSI_NS0_16reverse_iteratorISI_EEEEENSH_IJSG_SG_SG_EEES9_SI_JZNS1_25segmented_radix_sort_implINS0_14default_configELb1EPKdPdPKlPlN2at6native12_GLOBAL__N_18offset_tEEE10hipError_tPvRmT1_PNSt15iterator_traitsIS12_E10value_typeET2_T3_PNS13_IS18_E10value_typeET4_jRbjT5_S1E_jjP12ihipStream_tbEUljE_ZNSN_ISO_Lb1ESQ_SR_ST_SU_SY_EESZ_S10_S11_S12_S16_S17_S18_S1B_S1C_jS1D_jS1E_S1E_jjS1G_bEUljE0_EEESZ_S10_S11_S18_S1C_S1E_T6_T7_T9_mT8_S1G_bDpT10_ENKUlT_T0_E_clISt17integral_constantIbLb1EES1T_IbLb0EEEEDaS1P_S1Q_EUlS1P_E_NS1_11comp_targetILNS1_3genE3ELNS1_11target_archE908ELNS1_3gpuE7ELNS1_3repE0EEENS1_30default_config_static_selectorELNS0_4arch9wavefront6targetE1EEEvS12_,comdat
.Lfunc_end1073:
	.size	_ZN7rocprim17ROCPRIM_400000_NS6detail17trampoline_kernelINS0_13select_configILj256ELj13ELNS0_17block_load_methodE3ELS4_3ELS4_3ELNS0_20block_scan_algorithmE0ELj4294967295EEENS1_25partition_config_selectorILNS1_17partition_subalgoE4EjNS0_10empty_typeEbEEZZNS1_14partition_implILS8_4ELb0ES6_15HIP_vector_typeIjLj2EENS0_17counting_iteratorIjlEEPS9_SG_NS0_5tupleIJPjSI_NS0_16reverse_iteratorISI_EEEEENSH_IJSG_SG_SG_EEES9_SI_JZNS1_25segmented_radix_sort_implINS0_14default_configELb1EPKdPdPKlPlN2at6native12_GLOBAL__N_18offset_tEEE10hipError_tPvRmT1_PNSt15iterator_traitsIS12_E10value_typeET2_T3_PNS13_IS18_E10value_typeET4_jRbjT5_S1E_jjP12ihipStream_tbEUljE_ZNSN_ISO_Lb1ESQ_SR_ST_SU_SY_EESZ_S10_S11_S12_S16_S17_S18_S1B_S1C_jS1D_jS1E_S1E_jjS1G_bEUljE0_EEESZ_S10_S11_S18_S1C_S1E_T6_T7_T9_mT8_S1G_bDpT10_ENKUlT_T0_E_clISt17integral_constantIbLb1EES1T_IbLb0EEEEDaS1P_S1Q_EUlS1P_E_NS1_11comp_targetILNS1_3genE3ELNS1_11target_archE908ELNS1_3gpuE7ELNS1_3repE0EEENS1_30default_config_static_selectorELNS0_4arch9wavefront6targetE1EEEvS12_, .Lfunc_end1073-_ZN7rocprim17ROCPRIM_400000_NS6detail17trampoline_kernelINS0_13select_configILj256ELj13ELNS0_17block_load_methodE3ELS4_3ELS4_3ELNS0_20block_scan_algorithmE0ELj4294967295EEENS1_25partition_config_selectorILNS1_17partition_subalgoE4EjNS0_10empty_typeEbEEZZNS1_14partition_implILS8_4ELb0ES6_15HIP_vector_typeIjLj2EENS0_17counting_iteratorIjlEEPS9_SG_NS0_5tupleIJPjSI_NS0_16reverse_iteratorISI_EEEEENSH_IJSG_SG_SG_EEES9_SI_JZNS1_25segmented_radix_sort_implINS0_14default_configELb1EPKdPdPKlPlN2at6native12_GLOBAL__N_18offset_tEEE10hipError_tPvRmT1_PNSt15iterator_traitsIS12_E10value_typeET2_T3_PNS13_IS18_E10value_typeET4_jRbjT5_S1E_jjP12ihipStream_tbEUljE_ZNSN_ISO_Lb1ESQ_SR_ST_SU_SY_EESZ_S10_S11_S12_S16_S17_S18_S1B_S1C_jS1D_jS1E_S1E_jjS1G_bEUljE0_EEESZ_S10_S11_S18_S1C_S1E_T6_T7_T9_mT8_S1G_bDpT10_ENKUlT_T0_E_clISt17integral_constantIbLb1EES1T_IbLb0EEEEDaS1P_S1Q_EUlS1P_E_NS1_11comp_targetILNS1_3genE3ELNS1_11target_archE908ELNS1_3gpuE7ELNS1_3repE0EEENS1_30default_config_static_selectorELNS0_4arch9wavefront6targetE1EEEvS12_
                                        ; -- End function
	.set _ZN7rocprim17ROCPRIM_400000_NS6detail17trampoline_kernelINS0_13select_configILj256ELj13ELNS0_17block_load_methodE3ELS4_3ELS4_3ELNS0_20block_scan_algorithmE0ELj4294967295EEENS1_25partition_config_selectorILNS1_17partition_subalgoE4EjNS0_10empty_typeEbEEZZNS1_14partition_implILS8_4ELb0ES6_15HIP_vector_typeIjLj2EENS0_17counting_iteratorIjlEEPS9_SG_NS0_5tupleIJPjSI_NS0_16reverse_iteratorISI_EEEEENSH_IJSG_SG_SG_EEES9_SI_JZNS1_25segmented_radix_sort_implINS0_14default_configELb1EPKdPdPKlPlN2at6native12_GLOBAL__N_18offset_tEEE10hipError_tPvRmT1_PNSt15iterator_traitsIS12_E10value_typeET2_T3_PNS13_IS18_E10value_typeET4_jRbjT5_S1E_jjP12ihipStream_tbEUljE_ZNSN_ISO_Lb1ESQ_SR_ST_SU_SY_EESZ_S10_S11_S12_S16_S17_S18_S1B_S1C_jS1D_jS1E_S1E_jjS1G_bEUljE0_EEESZ_S10_S11_S18_S1C_S1E_T6_T7_T9_mT8_S1G_bDpT10_ENKUlT_T0_E_clISt17integral_constantIbLb1EES1T_IbLb0EEEEDaS1P_S1Q_EUlS1P_E_NS1_11comp_targetILNS1_3genE3ELNS1_11target_archE908ELNS1_3gpuE7ELNS1_3repE0EEENS1_30default_config_static_selectorELNS0_4arch9wavefront6targetE1EEEvS12_.num_vgpr, 0
	.set _ZN7rocprim17ROCPRIM_400000_NS6detail17trampoline_kernelINS0_13select_configILj256ELj13ELNS0_17block_load_methodE3ELS4_3ELS4_3ELNS0_20block_scan_algorithmE0ELj4294967295EEENS1_25partition_config_selectorILNS1_17partition_subalgoE4EjNS0_10empty_typeEbEEZZNS1_14partition_implILS8_4ELb0ES6_15HIP_vector_typeIjLj2EENS0_17counting_iteratorIjlEEPS9_SG_NS0_5tupleIJPjSI_NS0_16reverse_iteratorISI_EEEEENSH_IJSG_SG_SG_EEES9_SI_JZNS1_25segmented_radix_sort_implINS0_14default_configELb1EPKdPdPKlPlN2at6native12_GLOBAL__N_18offset_tEEE10hipError_tPvRmT1_PNSt15iterator_traitsIS12_E10value_typeET2_T3_PNS13_IS18_E10value_typeET4_jRbjT5_S1E_jjP12ihipStream_tbEUljE_ZNSN_ISO_Lb1ESQ_SR_ST_SU_SY_EESZ_S10_S11_S12_S16_S17_S18_S1B_S1C_jS1D_jS1E_S1E_jjS1G_bEUljE0_EEESZ_S10_S11_S18_S1C_S1E_T6_T7_T9_mT8_S1G_bDpT10_ENKUlT_T0_E_clISt17integral_constantIbLb1EES1T_IbLb0EEEEDaS1P_S1Q_EUlS1P_E_NS1_11comp_targetILNS1_3genE3ELNS1_11target_archE908ELNS1_3gpuE7ELNS1_3repE0EEENS1_30default_config_static_selectorELNS0_4arch9wavefront6targetE1EEEvS12_.num_agpr, 0
	.set _ZN7rocprim17ROCPRIM_400000_NS6detail17trampoline_kernelINS0_13select_configILj256ELj13ELNS0_17block_load_methodE3ELS4_3ELS4_3ELNS0_20block_scan_algorithmE0ELj4294967295EEENS1_25partition_config_selectorILNS1_17partition_subalgoE4EjNS0_10empty_typeEbEEZZNS1_14partition_implILS8_4ELb0ES6_15HIP_vector_typeIjLj2EENS0_17counting_iteratorIjlEEPS9_SG_NS0_5tupleIJPjSI_NS0_16reverse_iteratorISI_EEEEENSH_IJSG_SG_SG_EEES9_SI_JZNS1_25segmented_radix_sort_implINS0_14default_configELb1EPKdPdPKlPlN2at6native12_GLOBAL__N_18offset_tEEE10hipError_tPvRmT1_PNSt15iterator_traitsIS12_E10value_typeET2_T3_PNS13_IS18_E10value_typeET4_jRbjT5_S1E_jjP12ihipStream_tbEUljE_ZNSN_ISO_Lb1ESQ_SR_ST_SU_SY_EESZ_S10_S11_S12_S16_S17_S18_S1B_S1C_jS1D_jS1E_S1E_jjS1G_bEUljE0_EEESZ_S10_S11_S18_S1C_S1E_T6_T7_T9_mT8_S1G_bDpT10_ENKUlT_T0_E_clISt17integral_constantIbLb1EES1T_IbLb0EEEEDaS1P_S1Q_EUlS1P_E_NS1_11comp_targetILNS1_3genE3ELNS1_11target_archE908ELNS1_3gpuE7ELNS1_3repE0EEENS1_30default_config_static_selectorELNS0_4arch9wavefront6targetE1EEEvS12_.numbered_sgpr, 0
	.set _ZN7rocprim17ROCPRIM_400000_NS6detail17trampoline_kernelINS0_13select_configILj256ELj13ELNS0_17block_load_methodE3ELS4_3ELS4_3ELNS0_20block_scan_algorithmE0ELj4294967295EEENS1_25partition_config_selectorILNS1_17partition_subalgoE4EjNS0_10empty_typeEbEEZZNS1_14partition_implILS8_4ELb0ES6_15HIP_vector_typeIjLj2EENS0_17counting_iteratorIjlEEPS9_SG_NS0_5tupleIJPjSI_NS0_16reverse_iteratorISI_EEEEENSH_IJSG_SG_SG_EEES9_SI_JZNS1_25segmented_radix_sort_implINS0_14default_configELb1EPKdPdPKlPlN2at6native12_GLOBAL__N_18offset_tEEE10hipError_tPvRmT1_PNSt15iterator_traitsIS12_E10value_typeET2_T3_PNS13_IS18_E10value_typeET4_jRbjT5_S1E_jjP12ihipStream_tbEUljE_ZNSN_ISO_Lb1ESQ_SR_ST_SU_SY_EESZ_S10_S11_S12_S16_S17_S18_S1B_S1C_jS1D_jS1E_S1E_jjS1G_bEUljE0_EEESZ_S10_S11_S18_S1C_S1E_T6_T7_T9_mT8_S1G_bDpT10_ENKUlT_T0_E_clISt17integral_constantIbLb1EES1T_IbLb0EEEEDaS1P_S1Q_EUlS1P_E_NS1_11comp_targetILNS1_3genE3ELNS1_11target_archE908ELNS1_3gpuE7ELNS1_3repE0EEENS1_30default_config_static_selectorELNS0_4arch9wavefront6targetE1EEEvS12_.num_named_barrier, 0
	.set _ZN7rocprim17ROCPRIM_400000_NS6detail17trampoline_kernelINS0_13select_configILj256ELj13ELNS0_17block_load_methodE3ELS4_3ELS4_3ELNS0_20block_scan_algorithmE0ELj4294967295EEENS1_25partition_config_selectorILNS1_17partition_subalgoE4EjNS0_10empty_typeEbEEZZNS1_14partition_implILS8_4ELb0ES6_15HIP_vector_typeIjLj2EENS0_17counting_iteratorIjlEEPS9_SG_NS0_5tupleIJPjSI_NS0_16reverse_iteratorISI_EEEEENSH_IJSG_SG_SG_EEES9_SI_JZNS1_25segmented_radix_sort_implINS0_14default_configELb1EPKdPdPKlPlN2at6native12_GLOBAL__N_18offset_tEEE10hipError_tPvRmT1_PNSt15iterator_traitsIS12_E10value_typeET2_T3_PNS13_IS18_E10value_typeET4_jRbjT5_S1E_jjP12ihipStream_tbEUljE_ZNSN_ISO_Lb1ESQ_SR_ST_SU_SY_EESZ_S10_S11_S12_S16_S17_S18_S1B_S1C_jS1D_jS1E_S1E_jjS1G_bEUljE0_EEESZ_S10_S11_S18_S1C_S1E_T6_T7_T9_mT8_S1G_bDpT10_ENKUlT_T0_E_clISt17integral_constantIbLb1EES1T_IbLb0EEEEDaS1P_S1Q_EUlS1P_E_NS1_11comp_targetILNS1_3genE3ELNS1_11target_archE908ELNS1_3gpuE7ELNS1_3repE0EEENS1_30default_config_static_selectorELNS0_4arch9wavefront6targetE1EEEvS12_.private_seg_size, 0
	.set _ZN7rocprim17ROCPRIM_400000_NS6detail17trampoline_kernelINS0_13select_configILj256ELj13ELNS0_17block_load_methodE3ELS4_3ELS4_3ELNS0_20block_scan_algorithmE0ELj4294967295EEENS1_25partition_config_selectorILNS1_17partition_subalgoE4EjNS0_10empty_typeEbEEZZNS1_14partition_implILS8_4ELb0ES6_15HIP_vector_typeIjLj2EENS0_17counting_iteratorIjlEEPS9_SG_NS0_5tupleIJPjSI_NS0_16reverse_iteratorISI_EEEEENSH_IJSG_SG_SG_EEES9_SI_JZNS1_25segmented_radix_sort_implINS0_14default_configELb1EPKdPdPKlPlN2at6native12_GLOBAL__N_18offset_tEEE10hipError_tPvRmT1_PNSt15iterator_traitsIS12_E10value_typeET2_T3_PNS13_IS18_E10value_typeET4_jRbjT5_S1E_jjP12ihipStream_tbEUljE_ZNSN_ISO_Lb1ESQ_SR_ST_SU_SY_EESZ_S10_S11_S12_S16_S17_S18_S1B_S1C_jS1D_jS1E_S1E_jjS1G_bEUljE0_EEESZ_S10_S11_S18_S1C_S1E_T6_T7_T9_mT8_S1G_bDpT10_ENKUlT_T0_E_clISt17integral_constantIbLb1EES1T_IbLb0EEEEDaS1P_S1Q_EUlS1P_E_NS1_11comp_targetILNS1_3genE3ELNS1_11target_archE908ELNS1_3gpuE7ELNS1_3repE0EEENS1_30default_config_static_selectorELNS0_4arch9wavefront6targetE1EEEvS12_.uses_vcc, 0
	.set _ZN7rocprim17ROCPRIM_400000_NS6detail17trampoline_kernelINS0_13select_configILj256ELj13ELNS0_17block_load_methodE3ELS4_3ELS4_3ELNS0_20block_scan_algorithmE0ELj4294967295EEENS1_25partition_config_selectorILNS1_17partition_subalgoE4EjNS0_10empty_typeEbEEZZNS1_14partition_implILS8_4ELb0ES6_15HIP_vector_typeIjLj2EENS0_17counting_iteratorIjlEEPS9_SG_NS0_5tupleIJPjSI_NS0_16reverse_iteratorISI_EEEEENSH_IJSG_SG_SG_EEES9_SI_JZNS1_25segmented_radix_sort_implINS0_14default_configELb1EPKdPdPKlPlN2at6native12_GLOBAL__N_18offset_tEEE10hipError_tPvRmT1_PNSt15iterator_traitsIS12_E10value_typeET2_T3_PNS13_IS18_E10value_typeET4_jRbjT5_S1E_jjP12ihipStream_tbEUljE_ZNSN_ISO_Lb1ESQ_SR_ST_SU_SY_EESZ_S10_S11_S12_S16_S17_S18_S1B_S1C_jS1D_jS1E_S1E_jjS1G_bEUljE0_EEESZ_S10_S11_S18_S1C_S1E_T6_T7_T9_mT8_S1G_bDpT10_ENKUlT_T0_E_clISt17integral_constantIbLb1EES1T_IbLb0EEEEDaS1P_S1Q_EUlS1P_E_NS1_11comp_targetILNS1_3genE3ELNS1_11target_archE908ELNS1_3gpuE7ELNS1_3repE0EEENS1_30default_config_static_selectorELNS0_4arch9wavefront6targetE1EEEvS12_.uses_flat_scratch, 0
	.set _ZN7rocprim17ROCPRIM_400000_NS6detail17trampoline_kernelINS0_13select_configILj256ELj13ELNS0_17block_load_methodE3ELS4_3ELS4_3ELNS0_20block_scan_algorithmE0ELj4294967295EEENS1_25partition_config_selectorILNS1_17partition_subalgoE4EjNS0_10empty_typeEbEEZZNS1_14partition_implILS8_4ELb0ES6_15HIP_vector_typeIjLj2EENS0_17counting_iteratorIjlEEPS9_SG_NS0_5tupleIJPjSI_NS0_16reverse_iteratorISI_EEEEENSH_IJSG_SG_SG_EEES9_SI_JZNS1_25segmented_radix_sort_implINS0_14default_configELb1EPKdPdPKlPlN2at6native12_GLOBAL__N_18offset_tEEE10hipError_tPvRmT1_PNSt15iterator_traitsIS12_E10value_typeET2_T3_PNS13_IS18_E10value_typeET4_jRbjT5_S1E_jjP12ihipStream_tbEUljE_ZNSN_ISO_Lb1ESQ_SR_ST_SU_SY_EESZ_S10_S11_S12_S16_S17_S18_S1B_S1C_jS1D_jS1E_S1E_jjS1G_bEUljE0_EEESZ_S10_S11_S18_S1C_S1E_T6_T7_T9_mT8_S1G_bDpT10_ENKUlT_T0_E_clISt17integral_constantIbLb1EES1T_IbLb0EEEEDaS1P_S1Q_EUlS1P_E_NS1_11comp_targetILNS1_3genE3ELNS1_11target_archE908ELNS1_3gpuE7ELNS1_3repE0EEENS1_30default_config_static_selectorELNS0_4arch9wavefront6targetE1EEEvS12_.has_dyn_sized_stack, 0
	.set _ZN7rocprim17ROCPRIM_400000_NS6detail17trampoline_kernelINS0_13select_configILj256ELj13ELNS0_17block_load_methodE3ELS4_3ELS4_3ELNS0_20block_scan_algorithmE0ELj4294967295EEENS1_25partition_config_selectorILNS1_17partition_subalgoE4EjNS0_10empty_typeEbEEZZNS1_14partition_implILS8_4ELb0ES6_15HIP_vector_typeIjLj2EENS0_17counting_iteratorIjlEEPS9_SG_NS0_5tupleIJPjSI_NS0_16reverse_iteratorISI_EEEEENSH_IJSG_SG_SG_EEES9_SI_JZNS1_25segmented_radix_sort_implINS0_14default_configELb1EPKdPdPKlPlN2at6native12_GLOBAL__N_18offset_tEEE10hipError_tPvRmT1_PNSt15iterator_traitsIS12_E10value_typeET2_T3_PNS13_IS18_E10value_typeET4_jRbjT5_S1E_jjP12ihipStream_tbEUljE_ZNSN_ISO_Lb1ESQ_SR_ST_SU_SY_EESZ_S10_S11_S12_S16_S17_S18_S1B_S1C_jS1D_jS1E_S1E_jjS1G_bEUljE0_EEESZ_S10_S11_S18_S1C_S1E_T6_T7_T9_mT8_S1G_bDpT10_ENKUlT_T0_E_clISt17integral_constantIbLb1EES1T_IbLb0EEEEDaS1P_S1Q_EUlS1P_E_NS1_11comp_targetILNS1_3genE3ELNS1_11target_archE908ELNS1_3gpuE7ELNS1_3repE0EEENS1_30default_config_static_selectorELNS0_4arch9wavefront6targetE1EEEvS12_.has_recursion, 0
	.set _ZN7rocprim17ROCPRIM_400000_NS6detail17trampoline_kernelINS0_13select_configILj256ELj13ELNS0_17block_load_methodE3ELS4_3ELS4_3ELNS0_20block_scan_algorithmE0ELj4294967295EEENS1_25partition_config_selectorILNS1_17partition_subalgoE4EjNS0_10empty_typeEbEEZZNS1_14partition_implILS8_4ELb0ES6_15HIP_vector_typeIjLj2EENS0_17counting_iteratorIjlEEPS9_SG_NS0_5tupleIJPjSI_NS0_16reverse_iteratorISI_EEEEENSH_IJSG_SG_SG_EEES9_SI_JZNS1_25segmented_radix_sort_implINS0_14default_configELb1EPKdPdPKlPlN2at6native12_GLOBAL__N_18offset_tEEE10hipError_tPvRmT1_PNSt15iterator_traitsIS12_E10value_typeET2_T3_PNS13_IS18_E10value_typeET4_jRbjT5_S1E_jjP12ihipStream_tbEUljE_ZNSN_ISO_Lb1ESQ_SR_ST_SU_SY_EESZ_S10_S11_S12_S16_S17_S18_S1B_S1C_jS1D_jS1E_S1E_jjS1G_bEUljE0_EEESZ_S10_S11_S18_S1C_S1E_T6_T7_T9_mT8_S1G_bDpT10_ENKUlT_T0_E_clISt17integral_constantIbLb1EES1T_IbLb0EEEEDaS1P_S1Q_EUlS1P_E_NS1_11comp_targetILNS1_3genE3ELNS1_11target_archE908ELNS1_3gpuE7ELNS1_3repE0EEENS1_30default_config_static_selectorELNS0_4arch9wavefront6targetE1EEEvS12_.has_indirect_call, 0
	.section	.AMDGPU.csdata,"",@progbits
; Kernel info:
; codeLenInByte = 0
; TotalNumSgprs: 4
; NumVgprs: 0
; ScratchSize: 0
; MemoryBound: 0
; FloatMode: 240
; IeeeMode: 1
; LDSByteSize: 0 bytes/workgroup (compile time only)
; SGPRBlocks: 0
; VGPRBlocks: 0
; NumSGPRsForWavesPerEU: 4
; NumVGPRsForWavesPerEU: 1
; Occupancy: 10
; WaveLimiterHint : 0
; COMPUTE_PGM_RSRC2:SCRATCH_EN: 0
; COMPUTE_PGM_RSRC2:USER_SGPR: 6
; COMPUTE_PGM_RSRC2:TRAP_HANDLER: 0
; COMPUTE_PGM_RSRC2:TGID_X_EN: 1
; COMPUTE_PGM_RSRC2:TGID_Y_EN: 0
; COMPUTE_PGM_RSRC2:TGID_Z_EN: 0
; COMPUTE_PGM_RSRC2:TIDIG_COMP_CNT: 0
	.section	.text._ZN7rocprim17ROCPRIM_400000_NS6detail17trampoline_kernelINS0_13select_configILj256ELj13ELNS0_17block_load_methodE3ELS4_3ELS4_3ELNS0_20block_scan_algorithmE0ELj4294967295EEENS1_25partition_config_selectorILNS1_17partition_subalgoE4EjNS0_10empty_typeEbEEZZNS1_14partition_implILS8_4ELb0ES6_15HIP_vector_typeIjLj2EENS0_17counting_iteratorIjlEEPS9_SG_NS0_5tupleIJPjSI_NS0_16reverse_iteratorISI_EEEEENSH_IJSG_SG_SG_EEES9_SI_JZNS1_25segmented_radix_sort_implINS0_14default_configELb1EPKdPdPKlPlN2at6native12_GLOBAL__N_18offset_tEEE10hipError_tPvRmT1_PNSt15iterator_traitsIS12_E10value_typeET2_T3_PNS13_IS18_E10value_typeET4_jRbjT5_S1E_jjP12ihipStream_tbEUljE_ZNSN_ISO_Lb1ESQ_SR_ST_SU_SY_EESZ_S10_S11_S12_S16_S17_S18_S1B_S1C_jS1D_jS1E_S1E_jjS1G_bEUljE0_EEESZ_S10_S11_S18_S1C_S1E_T6_T7_T9_mT8_S1G_bDpT10_ENKUlT_T0_E_clISt17integral_constantIbLb1EES1T_IbLb0EEEEDaS1P_S1Q_EUlS1P_E_NS1_11comp_targetILNS1_3genE2ELNS1_11target_archE906ELNS1_3gpuE6ELNS1_3repE0EEENS1_30default_config_static_selectorELNS0_4arch9wavefront6targetE1EEEvS12_,"axG",@progbits,_ZN7rocprim17ROCPRIM_400000_NS6detail17trampoline_kernelINS0_13select_configILj256ELj13ELNS0_17block_load_methodE3ELS4_3ELS4_3ELNS0_20block_scan_algorithmE0ELj4294967295EEENS1_25partition_config_selectorILNS1_17partition_subalgoE4EjNS0_10empty_typeEbEEZZNS1_14partition_implILS8_4ELb0ES6_15HIP_vector_typeIjLj2EENS0_17counting_iteratorIjlEEPS9_SG_NS0_5tupleIJPjSI_NS0_16reverse_iteratorISI_EEEEENSH_IJSG_SG_SG_EEES9_SI_JZNS1_25segmented_radix_sort_implINS0_14default_configELb1EPKdPdPKlPlN2at6native12_GLOBAL__N_18offset_tEEE10hipError_tPvRmT1_PNSt15iterator_traitsIS12_E10value_typeET2_T3_PNS13_IS18_E10value_typeET4_jRbjT5_S1E_jjP12ihipStream_tbEUljE_ZNSN_ISO_Lb1ESQ_SR_ST_SU_SY_EESZ_S10_S11_S12_S16_S17_S18_S1B_S1C_jS1D_jS1E_S1E_jjS1G_bEUljE0_EEESZ_S10_S11_S18_S1C_S1E_T6_T7_T9_mT8_S1G_bDpT10_ENKUlT_T0_E_clISt17integral_constantIbLb1EES1T_IbLb0EEEEDaS1P_S1Q_EUlS1P_E_NS1_11comp_targetILNS1_3genE2ELNS1_11target_archE906ELNS1_3gpuE6ELNS1_3repE0EEENS1_30default_config_static_selectorELNS0_4arch9wavefront6targetE1EEEvS12_,comdat
	.globl	_ZN7rocprim17ROCPRIM_400000_NS6detail17trampoline_kernelINS0_13select_configILj256ELj13ELNS0_17block_load_methodE3ELS4_3ELS4_3ELNS0_20block_scan_algorithmE0ELj4294967295EEENS1_25partition_config_selectorILNS1_17partition_subalgoE4EjNS0_10empty_typeEbEEZZNS1_14partition_implILS8_4ELb0ES6_15HIP_vector_typeIjLj2EENS0_17counting_iteratorIjlEEPS9_SG_NS0_5tupleIJPjSI_NS0_16reverse_iteratorISI_EEEEENSH_IJSG_SG_SG_EEES9_SI_JZNS1_25segmented_radix_sort_implINS0_14default_configELb1EPKdPdPKlPlN2at6native12_GLOBAL__N_18offset_tEEE10hipError_tPvRmT1_PNSt15iterator_traitsIS12_E10value_typeET2_T3_PNS13_IS18_E10value_typeET4_jRbjT5_S1E_jjP12ihipStream_tbEUljE_ZNSN_ISO_Lb1ESQ_SR_ST_SU_SY_EESZ_S10_S11_S12_S16_S17_S18_S1B_S1C_jS1D_jS1E_S1E_jjS1G_bEUljE0_EEESZ_S10_S11_S18_S1C_S1E_T6_T7_T9_mT8_S1G_bDpT10_ENKUlT_T0_E_clISt17integral_constantIbLb1EES1T_IbLb0EEEEDaS1P_S1Q_EUlS1P_E_NS1_11comp_targetILNS1_3genE2ELNS1_11target_archE906ELNS1_3gpuE6ELNS1_3repE0EEENS1_30default_config_static_selectorELNS0_4arch9wavefront6targetE1EEEvS12_ ; -- Begin function _ZN7rocprim17ROCPRIM_400000_NS6detail17trampoline_kernelINS0_13select_configILj256ELj13ELNS0_17block_load_methodE3ELS4_3ELS4_3ELNS0_20block_scan_algorithmE0ELj4294967295EEENS1_25partition_config_selectorILNS1_17partition_subalgoE4EjNS0_10empty_typeEbEEZZNS1_14partition_implILS8_4ELb0ES6_15HIP_vector_typeIjLj2EENS0_17counting_iteratorIjlEEPS9_SG_NS0_5tupleIJPjSI_NS0_16reverse_iteratorISI_EEEEENSH_IJSG_SG_SG_EEES9_SI_JZNS1_25segmented_radix_sort_implINS0_14default_configELb1EPKdPdPKlPlN2at6native12_GLOBAL__N_18offset_tEEE10hipError_tPvRmT1_PNSt15iterator_traitsIS12_E10value_typeET2_T3_PNS13_IS18_E10value_typeET4_jRbjT5_S1E_jjP12ihipStream_tbEUljE_ZNSN_ISO_Lb1ESQ_SR_ST_SU_SY_EESZ_S10_S11_S12_S16_S17_S18_S1B_S1C_jS1D_jS1E_S1E_jjS1G_bEUljE0_EEESZ_S10_S11_S18_S1C_S1E_T6_T7_T9_mT8_S1G_bDpT10_ENKUlT_T0_E_clISt17integral_constantIbLb1EES1T_IbLb0EEEEDaS1P_S1Q_EUlS1P_E_NS1_11comp_targetILNS1_3genE2ELNS1_11target_archE906ELNS1_3gpuE6ELNS1_3repE0EEENS1_30default_config_static_selectorELNS0_4arch9wavefront6targetE1EEEvS12_
	.p2align	8
	.type	_ZN7rocprim17ROCPRIM_400000_NS6detail17trampoline_kernelINS0_13select_configILj256ELj13ELNS0_17block_load_methodE3ELS4_3ELS4_3ELNS0_20block_scan_algorithmE0ELj4294967295EEENS1_25partition_config_selectorILNS1_17partition_subalgoE4EjNS0_10empty_typeEbEEZZNS1_14partition_implILS8_4ELb0ES6_15HIP_vector_typeIjLj2EENS0_17counting_iteratorIjlEEPS9_SG_NS0_5tupleIJPjSI_NS0_16reverse_iteratorISI_EEEEENSH_IJSG_SG_SG_EEES9_SI_JZNS1_25segmented_radix_sort_implINS0_14default_configELb1EPKdPdPKlPlN2at6native12_GLOBAL__N_18offset_tEEE10hipError_tPvRmT1_PNSt15iterator_traitsIS12_E10value_typeET2_T3_PNS13_IS18_E10value_typeET4_jRbjT5_S1E_jjP12ihipStream_tbEUljE_ZNSN_ISO_Lb1ESQ_SR_ST_SU_SY_EESZ_S10_S11_S12_S16_S17_S18_S1B_S1C_jS1D_jS1E_S1E_jjS1G_bEUljE0_EEESZ_S10_S11_S18_S1C_S1E_T6_T7_T9_mT8_S1G_bDpT10_ENKUlT_T0_E_clISt17integral_constantIbLb1EES1T_IbLb0EEEEDaS1P_S1Q_EUlS1P_E_NS1_11comp_targetILNS1_3genE2ELNS1_11target_archE906ELNS1_3gpuE6ELNS1_3repE0EEENS1_30default_config_static_selectorELNS0_4arch9wavefront6targetE1EEEvS12_,@function
_ZN7rocprim17ROCPRIM_400000_NS6detail17trampoline_kernelINS0_13select_configILj256ELj13ELNS0_17block_load_methodE3ELS4_3ELS4_3ELNS0_20block_scan_algorithmE0ELj4294967295EEENS1_25partition_config_selectorILNS1_17partition_subalgoE4EjNS0_10empty_typeEbEEZZNS1_14partition_implILS8_4ELb0ES6_15HIP_vector_typeIjLj2EENS0_17counting_iteratorIjlEEPS9_SG_NS0_5tupleIJPjSI_NS0_16reverse_iteratorISI_EEEEENSH_IJSG_SG_SG_EEES9_SI_JZNS1_25segmented_radix_sort_implINS0_14default_configELb1EPKdPdPKlPlN2at6native12_GLOBAL__N_18offset_tEEE10hipError_tPvRmT1_PNSt15iterator_traitsIS12_E10value_typeET2_T3_PNS13_IS18_E10value_typeET4_jRbjT5_S1E_jjP12ihipStream_tbEUljE_ZNSN_ISO_Lb1ESQ_SR_ST_SU_SY_EESZ_S10_S11_S12_S16_S17_S18_S1B_S1C_jS1D_jS1E_S1E_jjS1G_bEUljE0_EEESZ_S10_S11_S18_S1C_S1E_T6_T7_T9_mT8_S1G_bDpT10_ENKUlT_T0_E_clISt17integral_constantIbLb1EES1T_IbLb0EEEEDaS1P_S1Q_EUlS1P_E_NS1_11comp_targetILNS1_3genE2ELNS1_11target_archE906ELNS1_3gpuE6ELNS1_3repE0EEENS1_30default_config_static_selectorELNS0_4arch9wavefront6targetE1EEEvS12_: ; @_ZN7rocprim17ROCPRIM_400000_NS6detail17trampoline_kernelINS0_13select_configILj256ELj13ELNS0_17block_load_methodE3ELS4_3ELS4_3ELNS0_20block_scan_algorithmE0ELj4294967295EEENS1_25partition_config_selectorILNS1_17partition_subalgoE4EjNS0_10empty_typeEbEEZZNS1_14partition_implILS8_4ELb0ES6_15HIP_vector_typeIjLj2EENS0_17counting_iteratorIjlEEPS9_SG_NS0_5tupleIJPjSI_NS0_16reverse_iteratorISI_EEEEENSH_IJSG_SG_SG_EEES9_SI_JZNS1_25segmented_radix_sort_implINS0_14default_configELb1EPKdPdPKlPlN2at6native12_GLOBAL__N_18offset_tEEE10hipError_tPvRmT1_PNSt15iterator_traitsIS12_E10value_typeET2_T3_PNS13_IS18_E10value_typeET4_jRbjT5_S1E_jjP12ihipStream_tbEUljE_ZNSN_ISO_Lb1ESQ_SR_ST_SU_SY_EESZ_S10_S11_S12_S16_S17_S18_S1B_S1C_jS1D_jS1E_S1E_jjS1G_bEUljE0_EEESZ_S10_S11_S18_S1C_S1E_T6_T7_T9_mT8_S1G_bDpT10_ENKUlT_T0_E_clISt17integral_constantIbLb1EES1T_IbLb0EEEEDaS1P_S1Q_EUlS1P_E_NS1_11comp_targetILNS1_3genE2ELNS1_11target_archE906ELNS1_3gpuE6ELNS1_3repE0EEENS1_30default_config_static_selectorELNS0_4arch9wavefront6targetE1EEEvS12_
; %bb.0:
	s_endpgm
	.section	.rodata,"a",@progbits
	.p2align	6, 0x0
	.amdhsa_kernel _ZN7rocprim17ROCPRIM_400000_NS6detail17trampoline_kernelINS0_13select_configILj256ELj13ELNS0_17block_load_methodE3ELS4_3ELS4_3ELNS0_20block_scan_algorithmE0ELj4294967295EEENS1_25partition_config_selectorILNS1_17partition_subalgoE4EjNS0_10empty_typeEbEEZZNS1_14partition_implILS8_4ELb0ES6_15HIP_vector_typeIjLj2EENS0_17counting_iteratorIjlEEPS9_SG_NS0_5tupleIJPjSI_NS0_16reverse_iteratorISI_EEEEENSH_IJSG_SG_SG_EEES9_SI_JZNS1_25segmented_radix_sort_implINS0_14default_configELb1EPKdPdPKlPlN2at6native12_GLOBAL__N_18offset_tEEE10hipError_tPvRmT1_PNSt15iterator_traitsIS12_E10value_typeET2_T3_PNS13_IS18_E10value_typeET4_jRbjT5_S1E_jjP12ihipStream_tbEUljE_ZNSN_ISO_Lb1ESQ_SR_ST_SU_SY_EESZ_S10_S11_S12_S16_S17_S18_S1B_S1C_jS1D_jS1E_S1E_jjS1G_bEUljE0_EEESZ_S10_S11_S18_S1C_S1E_T6_T7_T9_mT8_S1G_bDpT10_ENKUlT_T0_E_clISt17integral_constantIbLb1EES1T_IbLb0EEEEDaS1P_S1Q_EUlS1P_E_NS1_11comp_targetILNS1_3genE2ELNS1_11target_archE906ELNS1_3gpuE6ELNS1_3repE0EEENS1_30default_config_static_selectorELNS0_4arch9wavefront6targetE1EEEvS12_
		.amdhsa_group_segment_fixed_size 0
		.amdhsa_private_segment_fixed_size 0
		.amdhsa_kernarg_size 176
		.amdhsa_user_sgpr_count 6
		.amdhsa_user_sgpr_private_segment_buffer 1
		.amdhsa_user_sgpr_dispatch_ptr 0
		.amdhsa_user_sgpr_queue_ptr 0
		.amdhsa_user_sgpr_kernarg_segment_ptr 1
		.amdhsa_user_sgpr_dispatch_id 0
		.amdhsa_user_sgpr_flat_scratch_init 0
		.amdhsa_user_sgpr_private_segment_size 0
		.amdhsa_uses_dynamic_stack 0
		.amdhsa_system_sgpr_private_segment_wavefront_offset 0
		.amdhsa_system_sgpr_workgroup_id_x 1
		.amdhsa_system_sgpr_workgroup_id_y 0
		.amdhsa_system_sgpr_workgroup_id_z 0
		.amdhsa_system_sgpr_workgroup_info 0
		.amdhsa_system_vgpr_workitem_id 0
		.amdhsa_next_free_vgpr 1
		.amdhsa_next_free_sgpr 0
		.amdhsa_reserve_vcc 0
		.amdhsa_reserve_flat_scratch 0
		.amdhsa_float_round_mode_32 0
		.amdhsa_float_round_mode_16_64 0
		.amdhsa_float_denorm_mode_32 3
		.amdhsa_float_denorm_mode_16_64 3
		.amdhsa_dx10_clamp 1
		.amdhsa_ieee_mode 1
		.amdhsa_fp16_overflow 0
		.amdhsa_exception_fp_ieee_invalid_op 0
		.amdhsa_exception_fp_denorm_src 0
		.amdhsa_exception_fp_ieee_div_zero 0
		.amdhsa_exception_fp_ieee_overflow 0
		.amdhsa_exception_fp_ieee_underflow 0
		.amdhsa_exception_fp_ieee_inexact 0
		.amdhsa_exception_int_div_zero 0
	.end_amdhsa_kernel
	.section	.text._ZN7rocprim17ROCPRIM_400000_NS6detail17trampoline_kernelINS0_13select_configILj256ELj13ELNS0_17block_load_methodE3ELS4_3ELS4_3ELNS0_20block_scan_algorithmE0ELj4294967295EEENS1_25partition_config_selectorILNS1_17partition_subalgoE4EjNS0_10empty_typeEbEEZZNS1_14partition_implILS8_4ELb0ES6_15HIP_vector_typeIjLj2EENS0_17counting_iteratorIjlEEPS9_SG_NS0_5tupleIJPjSI_NS0_16reverse_iteratorISI_EEEEENSH_IJSG_SG_SG_EEES9_SI_JZNS1_25segmented_radix_sort_implINS0_14default_configELb1EPKdPdPKlPlN2at6native12_GLOBAL__N_18offset_tEEE10hipError_tPvRmT1_PNSt15iterator_traitsIS12_E10value_typeET2_T3_PNS13_IS18_E10value_typeET4_jRbjT5_S1E_jjP12ihipStream_tbEUljE_ZNSN_ISO_Lb1ESQ_SR_ST_SU_SY_EESZ_S10_S11_S12_S16_S17_S18_S1B_S1C_jS1D_jS1E_S1E_jjS1G_bEUljE0_EEESZ_S10_S11_S18_S1C_S1E_T6_T7_T9_mT8_S1G_bDpT10_ENKUlT_T0_E_clISt17integral_constantIbLb1EES1T_IbLb0EEEEDaS1P_S1Q_EUlS1P_E_NS1_11comp_targetILNS1_3genE2ELNS1_11target_archE906ELNS1_3gpuE6ELNS1_3repE0EEENS1_30default_config_static_selectorELNS0_4arch9wavefront6targetE1EEEvS12_,"axG",@progbits,_ZN7rocprim17ROCPRIM_400000_NS6detail17trampoline_kernelINS0_13select_configILj256ELj13ELNS0_17block_load_methodE3ELS4_3ELS4_3ELNS0_20block_scan_algorithmE0ELj4294967295EEENS1_25partition_config_selectorILNS1_17partition_subalgoE4EjNS0_10empty_typeEbEEZZNS1_14partition_implILS8_4ELb0ES6_15HIP_vector_typeIjLj2EENS0_17counting_iteratorIjlEEPS9_SG_NS0_5tupleIJPjSI_NS0_16reverse_iteratorISI_EEEEENSH_IJSG_SG_SG_EEES9_SI_JZNS1_25segmented_radix_sort_implINS0_14default_configELb1EPKdPdPKlPlN2at6native12_GLOBAL__N_18offset_tEEE10hipError_tPvRmT1_PNSt15iterator_traitsIS12_E10value_typeET2_T3_PNS13_IS18_E10value_typeET4_jRbjT5_S1E_jjP12ihipStream_tbEUljE_ZNSN_ISO_Lb1ESQ_SR_ST_SU_SY_EESZ_S10_S11_S12_S16_S17_S18_S1B_S1C_jS1D_jS1E_S1E_jjS1G_bEUljE0_EEESZ_S10_S11_S18_S1C_S1E_T6_T7_T9_mT8_S1G_bDpT10_ENKUlT_T0_E_clISt17integral_constantIbLb1EES1T_IbLb0EEEEDaS1P_S1Q_EUlS1P_E_NS1_11comp_targetILNS1_3genE2ELNS1_11target_archE906ELNS1_3gpuE6ELNS1_3repE0EEENS1_30default_config_static_selectorELNS0_4arch9wavefront6targetE1EEEvS12_,comdat
.Lfunc_end1074:
	.size	_ZN7rocprim17ROCPRIM_400000_NS6detail17trampoline_kernelINS0_13select_configILj256ELj13ELNS0_17block_load_methodE3ELS4_3ELS4_3ELNS0_20block_scan_algorithmE0ELj4294967295EEENS1_25partition_config_selectorILNS1_17partition_subalgoE4EjNS0_10empty_typeEbEEZZNS1_14partition_implILS8_4ELb0ES6_15HIP_vector_typeIjLj2EENS0_17counting_iteratorIjlEEPS9_SG_NS0_5tupleIJPjSI_NS0_16reverse_iteratorISI_EEEEENSH_IJSG_SG_SG_EEES9_SI_JZNS1_25segmented_radix_sort_implINS0_14default_configELb1EPKdPdPKlPlN2at6native12_GLOBAL__N_18offset_tEEE10hipError_tPvRmT1_PNSt15iterator_traitsIS12_E10value_typeET2_T3_PNS13_IS18_E10value_typeET4_jRbjT5_S1E_jjP12ihipStream_tbEUljE_ZNSN_ISO_Lb1ESQ_SR_ST_SU_SY_EESZ_S10_S11_S12_S16_S17_S18_S1B_S1C_jS1D_jS1E_S1E_jjS1G_bEUljE0_EEESZ_S10_S11_S18_S1C_S1E_T6_T7_T9_mT8_S1G_bDpT10_ENKUlT_T0_E_clISt17integral_constantIbLb1EES1T_IbLb0EEEEDaS1P_S1Q_EUlS1P_E_NS1_11comp_targetILNS1_3genE2ELNS1_11target_archE906ELNS1_3gpuE6ELNS1_3repE0EEENS1_30default_config_static_selectorELNS0_4arch9wavefront6targetE1EEEvS12_, .Lfunc_end1074-_ZN7rocprim17ROCPRIM_400000_NS6detail17trampoline_kernelINS0_13select_configILj256ELj13ELNS0_17block_load_methodE3ELS4_3ELS4_3ELNS0_20block_scan_algorithmE0ELj4294967295EEENS1_25partition_config_selectorILNS1_17partition_subalgoE4EjNS0_10empty_typeEbEEZZNS1_14partition_implILS8_4ELb0ES6_15HIP_vector_typeIjLj2EENS0_17counting_iteratorIjlEEPS9_SG_NS0_5tupleIJPjSI_NS0_16reverse_iteratorISI_EEEEENSH_IJSG_SG_SG_EEES9_SI_JZNS1_25segmented_radix_sort_implINS0_14default_configELb1EPKdPdPKlPlN2at6native12_GLOBAL__N_18offset_tEEE10hipError_tPvRmT1_PNSt15iterator_traitsIS12_E10value_typeET2_T3_PNS13_IS18_E10value_typeET4_jRbjT5_S1E_jjP12ihipStream_tbEUljE_ZNSN_ISO_Lb1ESQ_SR_ST_SU_SY_EESZ_S10_S11_S12_S16_S17_S18_S1B_S1C_jS1D_jS1E_S1E_jjS1G_bEUljE0_EEESZ_S10_S11_S18_S1C_S1E_T6_T7_T9_mT8_S1G_bDpT10_ENKUlT_T0_E_clISt17integral_constantIbLb1EES1T_IbLb0EEEEDaS1P_S1Q_EUlS1P_E_NS1_11comp_targetILNS1_3genE2ELNS1_11target_archE906ELNS1_3gpuE6ELNS1_3repE0EEENS1_30default_config_static_selectorELNS0_4arch9wavefront6targetE1EEEvS12_
                                        ; -- End function
	.set _ZN7rocprim17ROCPRIM_400000_NS6detail17trampoline_kernelINS0_13select_configILj256ELj13ELNS0_17block_load_methodE3ELS4_3ELS4_3ELNS0_20block_scan_algorithmE0ELj4294967295EEENS1_25partition_config_selectorILNS1_17partition_subalgoE4EjNS0_10empty_typeEbEEZZNS1_14partition_implILS8_4ELb0ES6_15HIP_vector_typeIjLj2EENS0_17counting_iteratorIjlEEPS9_SG_NS0_5tupleIJPjSI_NS0_16reverse_iteratorISI_EEEEENSH_IJSG_SG_SG_EEES9_SI_JZNS1_25segmented_radix_sort_implINS0_14default_configELb1EPKdPdPKlPlN2at6native12_GLOBAL__N_18offset_tEEE10hipError_tPvRmT1_PNSt15iterator_traitsIS12_E10value_typeET2_T3_PNS13_IS18_E10value_typeET4_jRbjT5_S1E_jjP12ihipStream_tbEUljE_ZNSN_ISO_Lb1ESQ_SR_ST_SU_SY_EESZ_S10_S11_S12_S16_S17_S18_S1B_S1C_jS1D_jS1E_S1E_jjS1G_bEUljE0_EEESZ_S10_S11_S18_S1C_S1E_T6_T7_T9_mT8_S1G_bDpT10_ENKUlT_T0_E_clISt17integral_constantIbLb1EES1T_IbLb0EEEEDaS1P_S1Q_EUlS1P_E_NS1_11comp_targetILNS1_3genE2ELNS1_11target_archE906ELNS1_3gpuE6ELNS1_3repE0EEENS1_30default_config_static_selectorELNS0_4arch9wavefront6targetE1EEEvS12_.num_vgpr, 0
	.set _ZN7rocprim17ROCPRIM_400000_NS6detail17trampoline_kernelINS0_13select_configILj256ELj13ELNS0_17block_load_methodE3ELS4_3ELS4_3ELNS0_20block_scan_algorithmE0ELj4294967295EEENS1_25partition_config_selectorILNS1_17partition_subalgoE4EjNS0_10empty_typeEbEEZZNS1_14partition_implILS8_4ELb0ES6_15HIP_vector_typeIjLj2EENS0_17counting_iteratorIjlEEPS9_SG_NS0_5tupleIJPjSI_NS0_16reverse_iteratorISI_EEEEENSH_IJSG_SG_SG_EEES9_SI_JZNS1_25segmented_radix_sort_implINS0_14default_configELb1EPKdPdPKlPlN2at6native12_GLOBAL__N_18offset_tEEE10hipError_tPvRmT1_PNSt15iterator_traitsIS12_E10value_typeET2_T3_PNS13_IS18_E10value_typeET4_jRbjT5_S1E_jjP12ihipStream_tbEUljE_ZNSN_ISO_Lb1ESQ_SR_ST_SU_SY_EESZ_S10_S11_S12_S16_S17_S18_S1B_S1C_jS1D_jS1E_S1E_jjS1G_bEUljE0_EEESZ_S10_S11_S18_S1C_S1E_T6_T7_T9_mT8_S1G_bDpT10_ENKUlT_T0_E_clISt17integral_constantIbLb1EES1T_IbLb0EEEEDaS1P_S1Q_EUlS1P_E_NS1_11comp_targetILNS1_3genE2ELNS1_11target_archE906ELNS1_3gpuE6ELNS1_3repE0EEENS1_30default_config_static_selectorELNS0_4arch9wavefront6targetE1EEEvS12_.num_agpr, 0
	.set _ZN7rocprim17ROCPRIM_400000_NS6detail17trampoline_kernelINS0_13select_configILj256ELj13ELNS0_17block_load_methodE3ELS4_3ELS4_3ELNS0_20block_scan_algorithmE0ELj4294967295EEENS1_25partition_config_selectorILNS1_17partition_subalgoE4EjNS0_10empty_typeEbEEZZNS1_14partition_implILS8_4ELb0ES6_15HIP_vector_typeIjLj2EENS0_17counting_iteratorIjlEEPS9_SG_NS0_5tupleIJPjSI_NS0_16reverse_iteratorISI_EEEEENSH_IJSG_SG_SG_EEES9_SI_JZNS1_25segmented_radix_sort_implINS0_14default_configELb1EPKdPdPKlPlN2at6native12_GLOBAL__N_18offset_tEEE10hipError_tPvRmT1_PNSt15iterator_traitsIS12_E10value_typeET2_T3_PNS13_IS18_E10value_typeET4_jRbjT5_S1E_jjP12ihipStream_tbEUljE_ZNSN_ISO_Lb1ESQ_SR_ST_SU_SY_EESZ_S10_S11_S12_S16_S17_S18_S1B_S1C_jS1D_jS1E_S1E_jjS1G_bEUljE0_EEESZ_S10_S11_S18_S1C_S1E_T6_T7_T9_mT8_S1G_bDpT10_ENKUlT_T0_E_clISt17integral_constantIbLb1EES1T_IbLb0EEEEDaS1P_S1Q_EUlS1P_E_NS1_11comp_targetILNS1_3genE2ELNS1_11target_archE906ELNS1_3gpuE6ELNS1_3repE0EEENS1_30default_config_static_selectorELNS0_4arch9wavefront6targetE1EEEvS12_.numbered_sgpr, 0
	.set _ZN7rocprim17ROCPRIM_400000_NS6detail17trampoline_kernelINS0_13select_configILj256ELj13ELNS0_17block_load_methodE3ELS4_3ELS4_3ELNS0_20block_scan_algorithmE0ELj4294967295EEENS1_25partition_config_selectorILNS1_17partition_subalgoE4EjNS0_10empty_typeEbEEZZNS1_14partition_implILS8_4ELb0ES6_15HIP_vector_typeIjLj2EENS0_17counting_iteratorIjlEEPS9_SG_NS0_5tupleIJPjSI_NS0_16reverse_iteratorISI_EEEEENSH_IJSG_SG_SG_EEES9_SI_JZNS1_25segmented_radix_sort_implINS0_14default_configELb1EPKdPdPKlPlN2at6native12_GLOBAL__N_18offset_tEEE10hipError_tPvRmT1_PNSt15iterator_traitsIS12_E10value_typeET2_T3_PNS13_IS18_E10value_typeET4_jRbjT5_S1E_jjP12ihipStream_tbEUljE_ZNSN_ISO_Lb1ESQ_SR_ST_SU_SY_EESZ_S10_S11_S12_S16_S17_S18_S1B_S1C_jS1D_jS1E_S1E_jjS1G_bEUljE0_EEESZ_S10_S11_S18_S1C_S1E_T6_T7_T9_mT8_S1G_bDpT10_ENKUlT_T0_E_clISt17integral_constantIbLb1EES1T_IbLb0EEEEDaS1P_S1Q_EUlS1P_E_NS1_11comp_targetILNS1_3genE2ELNS1_11target_archE906ELNS1_3gpuE6ELNS1_3repE0EEENS1_30default_config_static_selectorELNS0_4arch9wavefront6targetE1EEEvS12_.num_named_barrier, 0
	.set _ZN7rocprim17ROCPRIM_400000_NS6detail17trampoline_kernelINS0_13select_configILj256ELj13ELNS0_17block_load_methodE3ELS4_3ELS4_3ELNS0_20block_scan_algorithmE0ELj4294967295EEENS1_25partition_config_selectorILNS1_17partition_subalgoE4EjNS0_10empty_typeEbEEZZNS1_14partition_implILS8_4ELb0ES6_15HIP_vector_typeIjLj2EENS0_17counting_iteratorIjlEEPS9_SG_NS0_5tupleIJPjSI_NS0_16reverse_iteratorISI_EEEEENSH_IJSG_SG_SG_EEES9_SI_JZNS1_25segmented_radix_sort_implINS0_14default_configELb1EPKdPdPKlPlN2at6native12_GLOBAL__N_18offset_tEEE10hipError_tPvRmT1_PNSt15iterator_traitsIS12_E10value_typeET2_T3_PNS13_IS18_E10value_typeET4_jRbjT5_S1E_jjP12ihipStream_tbEUljE_ZNSN_ISO_Lb1ESQ_SR_ST_SU_SY_EESZ_S10_S11_S12_S16_S17_S18_S1B_S1C_jS1D_jS1E_S1E_jjS1G_bEUljE0_EEESZ_S10_S11_S18_S1C_S1E_T6_T7_T9_mT8_S1G_bDpT10_ENKUlT_T0_E_clISt17integral_constantIbLb1EES1T_IbLb0EEEEDaS1P_S1Q_EUlS1P_E_NS1_11comp_targetILNS1_3genE2ELNS1_11target_archE906ELNS1_3gpuE6ELNS1_3repE0EEENS1_30default_config_static_selectorELNS0_4arch9wavefront6targetE1EEEvS12_.private_seg_size, 0
	.set _ZN7rocprim17ROCPRIM_400000_NS6detail17trampoline_kernelINS0_13select_configILj256ELj13ELNS0_17block_load_methodE3ELS4_3ELS4_3ELNS0_20block_scan_algorithmE0ELj4294967295EEENS1_25partition_config_selectorILNS1_17partition_subalgoE4EjNS0_10empty_typeEbEEZZNS1_14partition_implILS8_4ELb0ES6_15HIP_vector_typeIjLj2EENS0_17counting_iteratorIjlEEPS9_SG_NS0_5tupleIJPjSI_NS0_16reverse_iteratorISI_EEEEENSH_IJSG_SG_SG_EEES9_SI_JZNS1_25segmented_radix_sort_implINS0_14default_configELb1EPKdPdPKlPlN2at6native12_GLOBAL__N_18offset_tEEE10hipError_tPvRmT1_PNSt15iterator_traitsIS12_E10value_typeET2_T3_PNS13_IS18_E10value_typeET4_jRbjT5_S1E_jjP12ihipStream_tbEUljE_ZNSN_ISO_Lb1ESQ_SR_ST_SU_SY_EESZ_S10_S11_S12_S16_S17_S18_S1B_S1C_jS1D_jS1E_S1E_jjS1G_bEUljE0_EEESZ_S10_S11_S18_S1C_S1E_T6_T7_T9_mT8_S1G_bDpT10_ENKUlT_T0_E_clISt17integral_constantIbLb1EES1T_IbLb0EEEEDaS1P_S1Q_EUlS1P_E_NS1_11comp_targetILNS1_3genE2ELNS1_11target_archE906ELNS1_3gpuE6ELNS1_3repE0EEENS1_30default_config_static_selectorELNS0_4arch9wavefront6targetE1EEEvS12_.uses_vcc, 0
	.set _ZN7rocprim17ROCPRIM_400000_NS6detail17trampoline_kernelINS0_13select_configILj256ELj13ELNS0_17block_load_methodE3ELS4_3ELS4_3ELNS0_20block_scan_algorithmE0ELj4294967295EEENS1_25partition_config_selectorILNS1_17partition_subalgoE4EjNS0_10empty_typeEbEEZZNS1_14partition_implILS8_4ELb0ES6_15HIP_vector_typeIjLj2EENS0_17counting_iteratorIjlEEPS9_SG_NS0_5tupleIJPjSI_NS0_16reverse_iteratorISI_EEEEENSH_IJSG_SG_SG_EEES9_SI_JZNS1_25segmented_radix_sort_implINS0_14default_configELb1EPKdPdPKlPlN2at6native12_GLOBAL__N_18offset_tEEE10hipError_tPvRmT1_PNSt15iterator_traitsIS12_E10value_typeET2_T3_PNS13_IS18_E10value_typeET4_jRbjT5_S1E_jjP12ihipStream_tbEUljE_ZNSN_ISO_Lb1ESQ_SR_ST_SU_SY_EESZ_S10_S11_S12_S16_S17_S18_S1B_S1C_jS1D_jS1E_S1E_jjS1G_bEUljE0_EEESZ_S10_S11_S18_S1C_S1E_T6_T7_T9_mT8_S1G_bDpT10_ENKUlT_T0_E_clISt17integral_constantIbLb1EES1T_IbLb0EEEEDaS1P_S1Q_EUlS1P_E_NS1_11comp_targetILNS1_3genE2ELNS1_11target_archE906ELNS1_3gpuE6ELNS1_3repE0EEENS1_30default_config_static_selectorELNS0_4arch9wavefront6targetE1EEEvS12_.uses_flat_scratch, 0
	.set _ZN7rocprim17ROCPRIM_400000_NS6detail17trampoline_kernelINS0_13select_configILj256ELj13ELNS0_17block_load_methodE3ELS4_3ELS4_3ELNS0_20block_scan_algorithmE0ELj4294967295EEENS1_25partition_config_selectorILNS1_17partition_subalgoE4EjNS0_10empty_typeEbEEZZNS1_14partition_implILS8_4ELb0ES6_15HIP_vector_typeIjLj2EENS0_17counting_iteratorIjlEEPS9_SG_NS0_5tupleIJPjSI_NS0_16reverse_iteratorISI_EEEEENSH_IJSG_SG_SG_EEES9_SI_JZNS1_25segmented_radix_sort_implINS0_14default_configELb1EPKdPdPKlPlN2at6native12_GLOBAL__N_18offset_tEEE10hipError_tPvRmT1_PNSt15iterator_traitsIS12_E10value_typeET2_T3_PNS13_IS18_E10value_typeET4_jRbjT5_S1E_jjP12ihipStream_tbEUljE_ZNSN_ISO_Lb1ESQ_SR_ST_SU_SY_EESZ_S10_S11_S12_S16_S17_S18_S1B_S1C_jS1D_jS1E_S1E_jjS1G_bEUljE0_EEESZ_S10_S11_S18_S1C_S1E_T6_T7_T9_mT8_S1G_bDpT10_ENKUlT_T0_E_clISt17integral_constantIbLb1EES1T_IbLb0EEEEDaS1P_S1Q_EUlS1P_E_NS1_11comp_targetILNS1_3genE2ELNS1_11target_archE906ELNS1_3gpuE6ELNS1_3repE0EEENS1_30default_config_static_selectorELNS0_4arch9wavefront6targetE1EEEvS12_.has_dyn_sized_stack, 0
	.set _ZN7rocprim17ROCPRIM_400000_NS6detail17trampoline_kernelINS0_13select_configILj256ELj13ELNS0_17block_load_methodE3ELS4_3ELS4_3ELNS0_20block_scan_algorithmE0ELj4294967295EEENS1_25partition_config_selectorILNS1_17partition_subalgoE4EjNS0_10empty_typeEbEEZZNS1_14partition_implILS8_4ELb0ES6_15HIP_vector_typeIjLj2EENS0_17counting_iteratorIjlEEPS9_SG_NS0_5tupleIJPjSI_NS0_16reverse_iteratorISI_EEEEENSH_IJSG_SG_SG_EEES9_SI_JZNS1_25segmented_radix_sort_implINS0_14default_configELb1EPKdPdPKlPlN2at6native12_GLOBAL__N_18offset_tEEE10hipError_tPvRmT1_PNSt15iterator_traitsIS12_E10value_typeET2_T3_PNS13_IS18_E10value_typeET4_jRbjT5_S1E_jjP12ihipStream_tbEUljE_ZNSN_ISO_Lb1ESQ_SR_ST_SU_SY_EESZ_S10_S11_S12_S16_S17_S18_S1B_S1C_jS1D_jS1E_S1E_jjS1G_bEUljE0_EEESZ_S10_S11_S18_S1C_S1E_T6_T7_T9_mT8_S1G_bDpT10_ENKUlT_T0_E_clISt17integral_constantIbLb1EES1T_IbLb0EEEEDaS1P_S1Q_EUlS1P_E_NS1_11comp_targetILNS1_3genE2ELNS1_11target_archE906ELNS1_3gpuE6ELNS1_3repE0EEENS1_30default_config_static_selectorELNS0_4arch9wavefront6targetE1EEEvS12_.has_recursion, 0
	.set _ZN7rocprim17ROCPRIM_400000_NS6detail17trampoline_kernelINS0_13select_configILj256ELj13ELNS0_17block_load_methodE3ELS4_3ELS4_3ELNS0_20block_scan_algorithmE0ELj4294967295EEENS1_25partition_config_selectorILNS1_17partition_subalgoE4EjNS0_10empty_typeEbEEZZNS1_14partition_implILS8_4ELb0ES6_15HIP_vector_typeIjLj2EENS0_17counting_iteratorIjlEEPS9_SG_NS0_5tupleIJPjSI_NS0_16reverse_iteratorISI_EEEEENSH_IJSG_SG_SG_EEES9_SI_JZNS1_25segmented_radix_sort_implINS0_14default_configELb1EPKdPdPKlPlN2at6native12_GLOBAL__N_18offset_tEEE10hipError_tPvRmT1_PNSt15iterator_traitsIS12_E10value_typeET2_T3_PNS13_IS18_E10value_typeET4_jRbjT5_S1E_jjP12ihipStream_tbEUljE_ZNSN_ISO_Lb1ESQ_SR_ST_SU_SY_EESZ_S10_S11_S12_S16_S17_S18_S1B_S1C_jS1D_jS1E_S1E_jjS1G_bEUljE0_EEESZ_S10_S11_S18_S1C_S1E_T6_T7_T9_mT8_S1G_bDpT10_ENKUlT_T0_E_clISt17integral_constantIbLb1EES1T_IbLb0EEEEDaS1P_S1Q_EUlS1P_E_NS1_11comp_targetILNS1_3genE2ELNS1_11target_archE906ELNS1_3gpuE6ELNS1_3repE0EEENS1_30default_config_static_selectorELNS0_4arch9wavefront6targetE1EEEvS12_.has_indirect_call, 0
	.section	.AMDGPU.csdata,"",@progbits
; Kernel info:
; codeLenInByte = 4
; TotalNumSgprs: 4
; NumVgprs: 0
; ScratchSize: 0
; MemoryBound: 0
; FloatMode: 240
; IeeeMode: 1
; LDSByteSize: 0 bytes/workgroup (compile time only)
; SGPRBlocks: 0
; VGPRBlocks: 0
; NumSGPRsForWavesPerEU: 4
; NumVGPRsForWavesPerEU: 1
; Occupancy: 10
; WaveLimiterHint : 0
; COMPUTE_PGM_RSRC2:SCRATCH_EN: 0
; COMPUTE_PGM_RSRC2:USER_SGPR: 6
; COMPUTE_PGM_RSRC2:TRAP_HANDLER: 0
; COMPUTE_PGM_RSRC2:TGID_X_EN: 1
; COMPUTE_PGM_RSRC2:TGID_Y_EN: 0
; COMPUTE_PGM_RSRC2:TGID_Z_EN: 0
; COMPUTE_PGM_RSRC2:TIDIG_COMP_CNT: 0
	.section	.text._ZN7rocprim17ROCPRIM_400000_NS6detail17trampoline_kernelINS0_13select_configILj256ELj13ELNS0_17block_load_methodE3ELS4_3ELS4_3ELNS0_20block_scan_algorithmE0ELj4294967295EEENS1_25partition_config_selectorILNS1_17partition_subalgoE4EjNS0_10empty_typeEbEEZZNS1_14partition_implILS8_4ELb0ES6_15HIP_vector_typeIjLj2EENS0_17counting_iteratorIjlEEPS9_SG_NS0_5tupleIJPjSI_NS0_16reverse_iteratorISI_EEEEENSH_IJSG_SG_SG_EEES9_SI_JZNS1_25segmented_radix_sort_implINS0_14default_configELb1EPKdPdPKlPlN2at6native12_GLOBAL__N_18offset_tEEE10hipError_tPvRmT1_PNSt15iterator_traitsIS12_E10value_typeET2_T3_PNS13_IS18_E10value_typeET4_jRbjT5_S1E_jjP12ihipStream_tbEUljE_ZNSN_ISO_Lb1ESQ_SR_ST_SU_SY_EESZ_S10_S11_S12_S16_S17_S18_S1B_S1C_jS1D_jS1E_S1E_jjS1G_bEUljE0_EEESZ_S10_S11_S18_S1C_S1E_T6_T7_T9_mT8_S1G_bDpT10_ENKUlT_T0_E_clISt17integral_constantIbLb1EES1T_IbLb0EEEEDaS1P_S1Q_EUlS1P_E_NS1_11comp_targetILNS1_3genE10ELNS1_11target_archE1200ELNS1_3gpuE4ELNS1_3repE0EEENS1_30default_config_static_selectorELNS0_4arch9wavefront6targetE1EEEvS12_,"axG",@progbits,_ZN7rocprim17ROCPRIM_400000_NS6detail17trampoline_kernelINS0_13select_configILj256ELj13ELNS0_17block_load_methodE3ELS4_3ELS4_3ELNS0_20block_scan_algorithmE0ELj4294967295EEENS1_25partition_config_selectorILNS1_17partition_subalgoE4EjNS0_10empty_typeEbEEZZNS1_14partition_implILS8_4ELb0ES6_15HIP_vector_typeIjLj2EENS0_17counting_iteratorIjlEEPS9_SG_NS0_5tupleIJPjSI_NS0_16reverse_iteratorISI_EEEEENSH_IJSG_SG_SG_EEES9_SI_JZNS1_25segmented_radix_sort_implINS0_14default_configELb1EPKdPdPKlPlN2at6native12_GLOBAL__N_18offset_tEEE10hipError_tPvRmT1_PNSt15iterator_traitsIS12_E10value_typeET2_T3_PNS13_IS18_E10value_typeET4_jRbjT5_S1E_jjP12ihipStream_tbEUljE_ZNSN_ISO_Lb1ESQ_SR_ST_SU_SY_EESZ_S10_S11_S12_S16_S17_S18_S1B_S1C_jS1D_jS1E_S1E_jjS1G_bEUljE0_EEESZ_S10_S11_S18_S1C_S1E_T6_T7_T9_mT8_S1G_bDpT10_ENKUlT_T0_E_clISt17integral_constantIbLb1EES1T_IbLb0EEEEDaS1P_S1Q_EUlS1P_E_NS1_11comp_targetILNS1_3genE10ELNS1_11target_archE1200ELNS1_3gpuE4ELNS1_3repE0EEENS1_30default_config_static_selectorELNS0_4arch9wavefront6targetE1EEEvS12_,comdat
	.globl	_ZN7rocprim17ROCPRIM_400000_NS6detail17trampoline_kernelINS0_13select_configILj256ELj13ELNS0_17block_load_methodE3ELS4_3ELS4_3ELNS0_20block_scan_algorithmE0ELj4294967295EEENS1_25partition_config_selectorILNS1_17partition_subalgoE4EjNS0_10empty_typeEbEEZZNS1_14partition_implILS8_4ELb0ES6_15HIP_vector_typeIjLj2EENS0_17counting_iteratorIjlEEPS9_SG_NS0_5tupleIJPjSI_NS0_16reverse_iteratorISI_EEEEENSH_IJSG_SG_SG_EEES9_SI_JZNS1_25segmented_radix_sort_implINS0_14default_configELb1EPKdPdPKlPlN2at6native12_GLOBAL__N_18offset_tEEE10hipError_tPvRmT1_PNSt15iterator_traitsIS12_E10value_typeET2_T3_PNS13_IS18_E10value_typeET4_jRbjT5_S1E_jjP12ihipStream_tbEUljE_ZNSN_ISO_Lb1ESQ_SR_ST_SU_SY_EESZ_S10_S11_S12_S16_S17_S18_S1B_S1C_jS1D_jS1E_S1E_jjS1G_bEUljE0_EEESZ_S10_S11_S18_S1C_S1E_T6_T7_T9_mT8_S1G_bDpT10_ENKUlT_T0_E_clISt17integral_constantIbLb1EES1T_IbLb0EEEEDaS1P_S1Q_EUlS1P_E_NS1_11comp_targetILNS1_3genE10ELNS1_11target_archE1200ELNS1_3gpuE4ELNS1_3repE0EEENS1_30default_config_static_selectorELNS0_4arch9wavefront6targetE1EEEvS12_ ; -- Begin function _ZN7rocprim17ROCPRIM_400000_NS6detail17trampoline_kernelINS0_13select_configILj256ELj13ELNS0_17block_load_methodE3ELS4_3ELS4_3ELNS0_20block_scan_algorithmE0ELj4294967295EEENS1_25partition_config_selectorILNS1_17partition_subalgoE4EjNS0_10empty_typeEbEEZZNS1_14partition_implILS8_4ELb0ES6_15HIP_vector_typeIjLj2EENS0_17counting_iteratorIjlEEPS9_SG_NS0_5tupleIJPjSI_NS0_16reverse_iteratorISI_EEEEENSH_IJSG_SG_SG_EEES9_SI_JZNS1_25segmented_radix_sort_implINS0_14default_configELb1EPKdPdPKlPlN2at6native12_GLOBAL__N_18offset_tEEE10hipError_tPvRmT1_PNSt15iterator_traitsIS12_E10value_typeET2_T3_PNS13_IS18_E10value_typeET4_jRbjT5_S1E_jjP12ihipStream_tbEUljE_ZNSN_ISO_Lb1ESQ_SR_ST_SU_SY_EESZ_S10_S11_S12_S16_S17_S18_S1B_S1C_jS1D_jS1E_S1E_jjS1G_bEUljE0_EEESZ_S10_S11_S18_S1C_S1E_T6_T7_T9_mT8_S1G_bDpT10_ENKUlT_T0_E_clISt17integral_constantIbLb1EES1T_IbLb0EEEEDaS1P_S1Q_EUlS1P_E_NS1_11comp_targetILNS1_3genE10ELNS1_11target_archE1200ELNS1_3gpuE4ELNS1_3repE0EEENS1_30default_config_static_selectorELNS0_4arch9wavefront6targetE1EEEvS12_
	.p2align	8
	.type	_ZN7rocprim17ROCPRIM_400000_NS6detail17trampoline_kernelINS0_13select_configILj256ELj13ELNS0_17block_load_methodE3ELS4_3ELS4_3ELNS0_20block_scan_algorithmE0ELj4294967295EEENS1_25partition_config_selectorILNS1_17partition_subalgoE4EjNS0_10empty_typeEbEEZZNS1_14partition_implILS8_4ELb0ES6_15HIP_vector_typeIjLj2EENS0_17counting_iteratorIjlEEPS9_SG_NS0_5tupleIJPjSI_NS0_16reverse_iteratorISI_EEEEENSH_IJSG_SG_SG_EEES9_SI_JZNS1_25segmented_radix_sort_implINS0_14default_configELb1EPKdPdPKlPlN2at6native12_GLOBAL__N_18offset_tEEE10hipError_tPvRmT1_PNSt15iterator_traitsIS12_E10value_typeET2_T3_PNS13_IS18_E10value_typeET4_jRbjT5_S1E_jjP12ihipStream_tbEUljE_ZNSN_ISO_Lb1ESQ_SR_ST_SU_SY_EESZ_S10_S11_S12_S16_S17_S18_S1B_S1C_jS1D_jS1E_S1E_jjS1G_bEUljE0_EEESZ_S10_S11_S18_S1C_S1E_T6_T7_T9_mT8_S1G_bDpT10_ENKUlT_T0_E_clISt17integral_constantIbLb1EES1T_IbLb0EEEEDaS1P_S1Q_EUlS1P_E_NS1_11comp_targetILNS1_3genE10ELNS1_11target_archE1200ELNS1_3gpuE4ELNS1_3repE0EEENS1_30default_config_static_selectorELNS0_4arch9wavefront6targetE1EEEvS12_,@function
_ZN7rocprim17ROCPRIM_400000_NS6detail17trampoline_kernelINS0_13select_configILj256ELj13ELNS0_17block_load_methodE3ELS4_3ELS4_3ELNS0_20block_scan_algorithmE0ELj4294967295EEENS1_25partition_config_selectorILNS1_17partition_subalgoE4EjNS0_10empty_typeEbEEZZNS1_14partition_implILS8_4ELb0ES6_15HIP_vector_typeIjLj2EENS0_17counting_iteratorIjlEEPS9_SG_NS0_5tupleIJPjSI_NS0_16reverse_iteratorISI_EEEEENSH_IJSG_SG_SG_EEES9_SI_JZNS1_25segmented_radix_sort_implINS0_14default_configELb1EPKdPdPKlPlN2at6native12_GLOBAL__N_18offset_tEEE10hipError_tPvRmT1_PNSt15iterator_traitsIS12_E10value_typeET2_T3_PNS13_IS18_E10value_typeET4_jRbjT5_S1E_jjP12ihipStream_tbEUljE_ZNSN_ISO_Lb1ESQ_SR_ST_SU_SY_EESZ_S10_S11_S12_S16_S17_S18_S1B_S1C_jS1D_jS1E_S1E_jjS1G_bEUljE0_EEESZ_S10_S11_S18_S1C_S1E_T6_T7_T9_mT8_S1G_bDpT10_ENKUlT_T0_E_clISt17integral_constantIbLb1EES1T_IbLb0EEEEDaS1P_S1Q_EUlS1P_E_NS1_11comp_targetILNS1_3genE10ELNS1_11target_archE1200ELNS1_3gpuE4ELNS1_3repE0EEENS1_30default_config_static_selectorELNS0_4arch9wavefront6targetE1EEEvS12_: ; @_ZN7rocprim17ROCPRIM_400000_NS6detail17trampoline_kernelINS0_13select_configILj256ELj13ELNS0_17block_load_methodE3ELS4_3ELS4_3ELNS0_20block_scan_algorithmE0ELj4294967295EEENS1_25partition_config_selectorILNS1_17partition_subalgoE4EjNS0_10empty_typeEbEEZZNS1_14partition_implILS8_4ELb0ES6_15HIP_vector_typeIjLj2EENS0_17counting_iteratorIjlEEPS9_SG_NS0_5tupleIJPjSI_NS0_16reverse_iteratorISI_EEEEENSH_IJSG_SG_SG_EEES9_SI_JZNS1_25segmented_radix_sort_implINS0_14default_configELb1EPKdPdPKlPlN2at6native12_GLOBAL__N_18offset_tEEE10hipError_tPvRmT1_PNSt15iterator_traitsIS12_E10value_typeET2_T3_PNS13_IS18_E10value_typeET4_jRbjT5_S1E_jjP12ihipStream_tbEUljE_ZNSN_ISO_Lb1ESQ_SR_ST_SU_SY_EESZ_S10_S11_S12_S16_S17_S18_S1B_S1C_jS1D_jS1E_S1E_jjS1G_bEUljE0_EEESZ_S10_S11_S18_S1C_S1E_T6_T7_T9_mT8_S1G_bDpT10_ENKUlT_T0_E_clISt17integral_constantIbLb1EES1T_IbLb0EEEEDaS1P_S1Q_EUlS1P_E_NS1_11comp_targetILNS1_3genE10ELNS1_11target_archE1200ELNS1_3gpuE4ELNS1_3repE0EEENS1_30default_config_static_selectorELNS0_4arch9wavefront6targetE1EEEvS12_
; %bb.0:
	.section	.rodata,"a",@progbits
	.p2align	6, 0x0
	.amdhsa_kernel _ZN7rocprim17ROCPRIM_400000_NS6detail17trampoline_kernelINS0_13select_configILj256ELj13ELNS0_17block_load_methodE3ELS4_3ELS4_3ELNS0_20block_scan_algorithmE0ELj4294967295EEENS1_25partition_config_selectorILNS1_17partition_subalgoE4EjNS0_10empty_typeEbEEZZNS1_14partition_implILS8_4ELb0ES6_15HIP_vector_typeIjLj2EENS0_17counting_iteratorIjlEEPS9_SG_NS0_5tupleIJPjSI_NS0_16reverse_iteratorISI_EEEEENSH_IJSG_SG_SG_EEES9_SI_JZNS1_25segmented_radix_sort_implINS0_14default_configELb1EPKdPdPKlPlN2at6native12_GLOBAL__N_18offset_tEEE10hipError_tPvRmT1_PNSt15iterator_traitsIS12_E10value_typeET2_T3_PNS13_IS18_E10value_typeET4_jRbjT5_S1E_jjP12ihipStream_tbEUljE_ZNSN_ISO_Lb1ESQ_SR_ST_SU_SY_EESZ_S10_S11_S12_S16_S17_S18_S1B_S1C_jS1D_jS1E_S1E_jjS1G_bEUljE0_EEESZ_S10_S11_S18_S1C_S1E_T6_T7_T9_mT8_S1G_bDpT10_ENKUlT_T0_E_clISt17integral_constantIbLb1EES1T_IbLb0EEEEDaS1P_S1Q_EUlS1P_E_NS1_11comp_targetILNS1_3genE10ELNS1_11target_archE1200ELNS1_3gpuE4ELNS1_3repE0EEENS1_30default_config_static_selectorELNS0_4arch9wavefront6targetE1EEEvS12_
		.amdhsa_group_segment_fixed_size 0
		.amdhsa_private_segment_fixed_size 0
		.amdhsa_kernarg_size 176
		.amdhsa_user_sgpr_count 6
		.amdhsa_user_sgpr_private_segment_buffer 1
		.amdhsa_user_sgpr_dispatch_ptr 0
		.amdhsa_user_sgpr_queue_ptr 0
		.amdhsa_user_sgpr_kernarg_segment_ptr 1
		.amdhsa_user_sgpr_dispatch_id 0
		.amdhsa_user_sgpr_flat_scratch_init 0
		.amdhsa_user_sgpr_private_segment_size 0
		.amdhsa_uses_dynamic_stack 0
		.amdhsa_system_sgpr_private_segment_wavefront_offset 0
		.amdhsa_system_sgpr_workgroup_id_x 1
		.amdhsa_system_sgpr_workgroup_id_y 0
		.amdhsa_system_sgpr_workgroup_id_z 0
		.amdhsa_system_sgpr_workgroup_info 0
		.amdhsa_system_vgpr_workitem_id 0
		.amdhsa_next_free_vgpr 1
		.amdhsa_next_free_sgpr 0
		.amdhsa_reserve_vcc 0
		.amdhsa_reserve_flat_scratch 0
		.amdhsa_float_round_mode_32 0
		.amdhsa_float_round_mode_16_64 0
		.amdhsa_float_denorm_mode_32 3
		.amdhsa_float_denorm_mode_16_64 3
		.amdhsa_dx10_clamp 1
		.amdhsa_ieee_mode 1
		.amdhsa_fp16_overflow 0
		.amdhsa_exception_fp_ieee_invalid_op 0
		.amdhsa_exception_fp_denorm_src 0
		.amdhsa_exception_fp_ieee_div_zero 0
		.amdhsa_exception_fp_ieee_overflow 0
		.amdhsa_exception_fp_ieee_underflow 0
		.amdhsa_exception_fp_ieee_inexact 0
		.amdhsa_exception_int_div_zero 0
	.end_amdhsa_kernel
	.section	.text._ZN7rocprim17ROCPRIM_400000_NS6detail17trampoline_kernelINS0_13select_configILj256ELj13ELNS0_17block_load_methodE3ELS4_3ELS4_3ELNS0_20block_scan_algorithmE0ELj4294967295EEENS1_25partition_config_selectorILNS1_17partition_subalgoE4EjNS0_10empty_typeEbEEZZNS1_14partition_implILS8_4ELb0ES6_15HIP_vector_typeIjLj2EENS0_17counting_iteratorIjlEEPS9_SG_NS0_5tupleIJPjSI_NS0_16reverse_iteratorISI_EEEEENSH_IJSG_SG_SG_EEES9_SI_JZNS1_25segmented_radix_sort_implINS0_14default_configELb1EPKdPdPKlPlN2at6native12_GLOBAL__N_18offset_tEEE10hipError_tPvRmT1_PNSt15iterator_traitsIS12_E10value_typeET2_T3_PNS13_IS18_E10value_typeET4_jRbjT5_S1E_jjP12ihipStream_tbEUljE_ZNSN_ISO_Lb1ESQ_SR_ST_SU_SY_EESZ_S10_S11_S12_S16_S17_S18_S1B_S1C_jS1D_jS1E_S1E_jjS1G_bEUljE0_EEESZ_S10_S11_S18_S1C_S1E_T6_T7_T9_mT8_S1G_bDpT10_ENKUlT_T0_E_clISt17integral_constantIbLb1EES1T_IbLb0EEEEDaS1P_S1Q_EUlS1P_E_NS1_11comp_targetILNS1_3genE10ELNS1_11target_archE1200ELNS1_3gpuE4ELNS1_3repE0EEENS1_30default_config_static_selectorELNS0_4arch9wavefront6targetE1EEEvS12_,"axG",@progbits,_ZN7rocprim17ROCPRIM_400000_NS6detail17trampoline_kernelINS0_13select_configILj256ELj13ELNS0_17block_load_methodE3ELS4_3ELS4_3ELNS0_20block_scan_algorithmE0ELj4294967295EEENS1_25partition_config_selectorILNS1_17partition_subalgoE4EjNS0_10empty_typeEbEEZZNS1_14partition_implILS8_4ELb0ES6_15HIP_vector_typeIjLj2EENS0_17counting_iteratorIjlEEPS9_SG_NS0_5tupleIJPjSI_NS0_16reverse_iteratorISI_EEEEENSH_IJSG_SG_SG_EEES9_SI_JZNS1_25segmented_radix_sort_implINS0_14default_configELb1EPKdPdPKlPlN2at6native12_GLOBAL__N_18offset_tEEE10hipError_tPvRmT1_PNSt15iterator_traitsIS12_E10value_typeET2_T3_PNS13_IS18_E10value_typeET4_jRbjT5_S1E_jjP12ihipStream_tbEUljE_ZNSN_ISO_Lb1ESQ_SR_ST_SU_SY_EESZ_S10_S11_S12_S16_S17_S18_S1B_S1C_jS1D_jS1E_S1E_jjS1G_bEUljE0_EEESZ_S10_S11_S18_S1C_S1E_T6_T7_T9_mT8_S1G_bDpT10_ENKUlT_T0_E_clISt17integral_constantIbLb1EES1T_IbLb0EEEEDaS1P_S1Q_EUlS1P_E_NS1_11comp_targetILNS1_3genE10ELNS1_11target_archE1200ELNS1_3gpuE4ELNS1_3repE0EEENS1_30default_config_static_selectorELNS0_4arch9wavefront6targetE1EEEvS12_,comdat
.Lfunc_end1075:
	.size	_ZN7rocprim17ROCPRIM_400000_NS6detail17trampoline_kernelINS0_13select_configILj256ELj13ELNS0_17block_load_methodE3ELS4_3ELS4_3ELNS0_20block_scan_algorithmE0ELj4294967295EEENS1_25partition_config_selectorILNS1_17partition_subalgoE4EjNS0_10empty_typeEbEEZZNS1_14partition_implILS8_4ELb0ES6_15HIP_vector_typeIjLj2EENS0_17counting_iteratorIjlEEPS9_SG_NS0_5tupleIJPjSI_NS0_16reverse_iteratorISI_EEEEENSH_IJSG_SG_SG_EEES9_SI_JZNS1_25segmented_radix_sort_implINS0_14default_configELb1EPKdPdPKlPlN2at6native12_GLOBAL__N_18offset_tEEE10hipError_tPvRmT1_PNSt15iterator_traitsIS12_E10value_typeET2_T3_PNS13_IS18_E10value_typeET4_jRbjT5_S1E_jjP12ihipStream_tbEUljE_ZNSN_ISO_Lb1ESQ_SR_ST_SU_SY_EESZ_S10_S11_S12_S16_S17_S18_S1B_S1C_jS1D_jS1E_S1E_jjS1G_bEUljE0_EEESZ_S10_S11_S18_S1C_S1E_T6_T7_T9_mT8_S1G_bDpT10_ENKUlT_T0_E_clISt17integral_constantIbLb1EES1T_IbLb0EEEEDaS1P_S1Q_EUlS1P_E_NS1_11comp_targetILNS1_3genE10ELNS1_11target_archE1200ELNS1_3gpuE4ELNS1_3repE0EEENS1_30default_config_static_selectorELNS0_4arch9wavefront6targetE1EEEvS12_, .Lfunc_end1075-_ZN7rocprim17ROCPRIM_400000_NS6detail17trampoline_kernelINS0_13select_configILj256ELj13ELNS0_17block_load_methodE3ELS4_3ELS4_3ELNS0_20block_scan_algorithmE0ELj4294967295EEENS1_25partition_config_selectorILNS1_17partition_subalgoE4EjNS0_10empty_typeEbEEZZNS1_14partition_implILS8_4ELb0ES6_15HIP_vector_typeIjLj2EENS0_17counting_iteratorIjlEEPS9_SG_NS0_5tupleIJPjSI_NS0_16reverse_iteratorISI_EEEEENSH_IJSG_SG_SG_EEES9_SI_JZNS1_25segmented_radix_sort_implINS0_14default_configELb1EPKdPdPKlPlN2at6native12_GLOBAL__N_18offset_tEEE10hipError_tPvRmT1_PNSt15iterator_traitsIS12_E10value_typeET2_T3_PNS13_IS18_E10value_typeET4_jRbjT5_S1E_jjP12ihipStream_tbEUljE_ZNSN_ISO_Lb1ESQ_SR_ST_SU_SY_EESZ_S10_S11_S12_S16_S17_S18_S1B_S1C_jS1D_jS1E_S1E_jjS1G_bEUljE0_EEESZ_S10_S11_S18_S1C_S1E_T6_T7_T9_mT8_S1G_bDpT10_ENKUlT_T0_E_clISt17integral_constantIbLb1EES1T_IbLb0EEEEDaS1P_S1Q_EUlS1P_E_NS1_11comp_targetILNS1_3genE10ELNS1_11target_archE1200ELNS1_3gpuE4ELNS1_3repE0EEENS1_30default_config_static_selectorELNS0_4arch9wavefront6targetE1EEEvS12_
                                        ; -- End function
	.set _ZN7rocprim17ROCPRIM_400000_NS6detail17trampoline_kernelINS0_13select_configILj256ELj13ELNS0_17block_load_methodE3ELS4_3ELS4_3ELNS0_20block_scan_algorithmE0ELj4294967295EEENS1_25partition_config_selectorILNS1_17partition_subalgoE4EjNS0_10empty_typeEbEEZZNS1_14partition_implILS8_4ELb0ES6_15HIP_vector_typeIjLj2EENS0_17counting_iteratorIjlEEPS9_SG_NS0_5tupleIJPjSI_NS0_16reverse_iteratorISI_EEEEENSH_IJSG_SG_SG_EEES9_SI_JZNS1_25segmented_radix_sort_implINS0_14default_configELb1EPKdPdPKlPlN2at6native12_GLOBAL__N_18offset_tEEE10hipError_tPvRmT1_PNSt15iterator_traitsIS12_E10value_typeET2_T3_PNS13_IS18_E10value_typeET4_jRbjT5_S1E_jjP12ihipStream_tbEUljE_ZNSN_ISO_Lb1ESQ_SR_ST_SU_SY_EESZ_S10_S11_S12_S16_S17_S18_S1B_S1C_jS1D_jS1E_S1E_jjS1G_bEUljE0_EEESZ_S10_S11_S18_S1C_S1E_T6_T7_T9_mT8_S1G_bDpT10_ENKUlT_T0_E_clISt17integral_constantIbLb1EES1T_IbLb0EEEEDaS1P_S1Q_EUlS1P_E_NS1_11comp_targetILNS1_3genE10ELNS1_11target_archE1200ELNS1_3gpuE4ELNS1_3repE0EEENS1_30default_config_static_selectorELNS0_4arch9wavefront6targetE1EEEvS12_.num_vgpr, 0
	.set _ZN7rocprim17ROCPRIM_400000_NS6detail17trampoline_kernelINS0_13select_configILj256ELj13ELNS0_17block_load_methodE3ELS4_3ELS4_3ELNS0_20block_scan_algorithmE0ELj4294967295EEENS1_25partition_config_selectorILNS1_17partition_subalgoE4EjNS0_10empty_typeEbEEZZNS1_14partition_implILS8_4ELb0ES6_15HIP_vector_typeIjLj2EENS0_17counting_iteratorIjlEEPS9_SG_NS0_5tupleIJPjSI_NS0_16reverse_iteratorISI_EEEEENSH_IJSG_SG_SG_EEES9_SI_JZNS1_25segmented_radix_sort_implINS0_14default_configELb1EPKdPdPKlPlN2at6native12_GLOBAL__N_18offset_tEEE10hipError_tPvRmT1_PNSt15iterator_traitsIS12_E10value_typeET2_T3_PNS13_IS18_E10value_typeET4_jRbjT5_S1E_jjP12ihipStream_tbEUljE_ZNSN_ISO_Lb1ESQ_SR_ST_SU_SY_EESZ_S10_S11_S12_S16_S17_S18_S1B_S1C_jS1D_jS1E_S1E_jjS1G_bEUljE0_EEESZ_S10_S11_S18_S1C_S1E_T6_T7_T9_mT8_S1G_bDpT10_ENKUlT_T0_E_clISt17integral_constantIbLb1EES1T_IbLb0EEEEDaS1P_S1Q_EUlS1P_E_NS1_11comp_targetILNS1_3genE10ELNS1_11target_archE1200ELNS1_3gpuE4ELNS1_3repE0EEENS1_30default_config_static_selectorELNS0_4arch9wavefront6targetE1EEEvS12_.num_agpr, 0
	.set _ZN7rocprim17ROCPRIM_400000_NS6detail17trampoline_kernelINS0_13select_configILj256ELj13ELNS0_17block_load_methodE3ELS4_3ELS4_3ELNS0_20block_scan_algorithmE0ELj4294967295EEENS1_25partition_config_selectorILNS1_17partition_subalgoE4EjNS0_10empty_typeEbEEZZNS1_14partition_implILS8_4ELb0ES6_15HIP_vector_typeIjLj2EENS0_17counting_iteratorIjlEEPS9_SG_NS0_5tupleIJPjSI_NS0_16reverse_iteratorISI_EEEEENSH_IJSG_SG_SG_EEES9_SI_JZNS1_25segmented_radix_sort_implINS0_14default_configELb1EPKdPdPKlPlN2at6native12_GLOBAL__N_18offset_tEEE10hipError_tPvRmT1_PNSt15iterator_traitsIS12_E10value_typeET2_T3_PNS13_IS18_E10value_typeET4_jRbjT5_S1E_jjP12ihipStream_tbEUljE_ZNSN_ISO_Lb1ESQ_SR_ST_SU_SY_EESZ_S10_S11_S12_S16_S17_S18_S1B_S1C_jS1D_jS1E_S1E_jjS1G_bEUljE0_EEESZ_S10_S11_S18_S1C_S1E_T6_T7_T9_mT8_S1G_bDpT10_ENKUlT_T0_E_clISt17integral_constantIbLb1EES1T_IbLb0EEEEDaS1P_S1Q_EUlS1P_E_NS1_11comp_targetILNS1_3genE10ELNS1_11target_archE1200ELNS1_3gpuE4ELNS1_3repE0EEENS1_30default_config_static_selectorELNS0_4arch9wavefront6targetE1EEEvS12_.numbered_sgpr, 0
	.set _ZN7rocprim17ROCPRIM_400000_NS6detail17trampoline_kernelINS0_13select_configILj256ELj13ELNS0_17block_load_methodE3ELS4_3ELS4_3ELNS0_20block_scan_algorithmE0ELj4294967295EEENS1_25partition_config_selectorILNS1_17partition_subalgoE4EjNS0_10empty_typeEbEEZZNS1_14partition_implILS8_4ELb0ES6_15HIP_vector_typeIjLj2EENS0_17counting_iteratorIjlEEPS9_SG_NS0_5tupleIJPjSI_NS0_16reverse_iteratorISI_EEEEENSH_IJSG_SG_SG_EEES9_SI_JZNS1_25segmented_radix_sort_implINS0_14default_configELb1EPKdPdPKlPlN2at6native12_GLOBAL__N_18offset_tEEE10hipError_tPvRmT1_PNSt15iterator_traitsIS12_E10value_typeET2_T3_PNS13_IS18_E10value_typeET4_jRbjT5_S1E_jjP12ihipStream_tbEUljE_ZNSN_ISO_Lb1ESQ_SR_ST_SU_SY_EESZ_S10_S11_S12_S16_S17_S18_S1B_S1C_jS1D_jS1E_S1E_jjS1G_bEUljE0_EEESZ_S10_S11_S18_S1C_S1E_T6_T7_T9_mT8_S1G_bDpT10_ENKUlT_T0_E_clISt17integral_constantIbLb1EES1T_IbLb0EEEEDaS1P_S1Q_EUlS1P_E_NS1_11comp_targetILNS1_3genE10ELNS1_11target_archE1200ELNS1_3gpuE4ELNS1_3repE0EEENS1_30default_config_static_selectorELNS0_4arch9wavefront6targetE1EEEvS12_.num_named_barrier, 0
	.set _ZN7rocprim17ROCPRIM_400000_NS6detail17trampoline_kernelINS0_13select_configILj256ELj13ELNS0_17block_load_methodE3ELS4_3ELS4_3ELNS0_20block_scan_algorithmE0ELj4294967295EEENS1_25partition_config_selectorILNS1_17partition_subalgoE4EjNS0_10empty_typeEbEEZZNS1_14partition_implILS8_4ELb0ES6_15HIP_vector_typeIjLj2EENS0_17counting_iteratorIjlEEPS9_SG_NS0_5tupleIJPjSI_NS0_16reverse_iteratorISI_EEEEENSH_IJSG_SG_SG_EEES9_SI_JZNS1_25segmented_radix_sort_implINS0_14default_configELb1EPKdPdPKlPlN2at6native12_GLOBAL__N_18offset_tEEE10hipError_tPvRmT1_PNSt15iterator_traitsIS12_E10value_typeET2_T3_PNS13_IS18_E10value_typeET4_jRbjT5_S1E_jjP12ihipStream_tbEUljE_ZNSN_ISO_Lb1ESQ_SR_ST_SU_SY_EESZ_S10_S11_S12_S16_S17_S18_S1B_S1C_jS1D_jS1E_S1E_jjS1G_bEUljE0_EEESZ_S10_S11_S18_S1C_S1E_T6_T7_T9_mT8_S1G_bDpT10_ENKUlT_T0_E_clISt17integral_constantIbLb1EES1T_IbLb0EEEEDaS1P_S1Q_EUlS1P_E_NS1_11comp_targetILNS1_3genE10ELNS1_11target_archE1200ELNS1_3gpuE4ELNS1_3repE0EEENS1_30default_config_static_selectorELNS0_4arch9wavefront6targetE1EEEvS12_.private_seg_size, 0
	.set _ZN7rocprim17ROCPRIM_400000_NS6detail17trampoline_kernelINS0_13select_configILj256ELj13ELNS0_17block_load_methodE3ELS4_3ELS4_3ELNS0_20block_scan_algorithmE0ELj4294967295EEENS1_25partition_config_selectorILNS1_17partition_subalgoE4EjNS0_10empty_typeEbEEZZNS1_14partition_implILS8_4ELb0ES6_15HIP_vector_typeIjLj2EENS0_17counting_iteratorIjlEEPS9_SG_NS0_5tupleIJPjSI_NS0_16reverse_iteratorISI_EEEEENSH_IJSG_SG_SG_EEES9_SI_JZNS1_25segmented_radix_sort_implINS0_14default_configELb1EPKdPdPKlPlN2at6native12_GLOBAL__N_18offset_tEEE10hipError_tPvRmT1_PNSt15iterator_traitsIS12_E10value_typeET2_T3_PNS13_IS18_E10value_typeET4_jRbjT5_S1E_jjP12ihipStream_tbEUljE_ZNSN_ISO_Lb1ESQ_SR_ST_SU_SY_EESZ_S10_S11_S12_S16_S17_S18_S1B_S1C_jS1D_jS1E_S1E_jjS1G_bEUljE0_EEESZ_S10_S11_S18_S1C_S1E_T6_T7_T9_mT8_S1G_bDpT10_ENKUlT_T0_E_clISt17integral_constantIbLb1EES1T_IbLb0EEEEDaS1P_S1Q_EUlS1P_E_NS1_11comp_targetILNS1_3genE10ELNS1_11target_archE1200ELNS1_3gpuE4ELNS1_3repE0EEENS1_30default_config_static_selectorELNS0_4arch9wavefront6targetE1EEEvS12_.uses_vcc, 0
	.set _ZN7rocprim17ROCPRIM_400000_NS6detail17trampoline_kernelINS0_13select_configILj256ELj13ELNS0_17block_load_methodE3ELS4_3ELS4_3ELNS0_20block_scan_algorithmE0ELj4294967295EEENS1_25partition_config_selectorILNS1_17partition_subalgoE4EjNS0_10empty_typeEbEEZZNS1_14partition_implILS8_4ELb0ES6_15HIP_vector_typeIjLj2EENS0_17counting_iteratorIjlEEPS9_SG_NS0_5tupleIJPjSI_NS0_16reverse_iteratorISI_EEEEENSH_IJSG_SG_SG_EEES9_SI_JZNS1_25segmented_radix_sort_implINS0_14default_configELb1EPKdPdPKlPlN2at6native12_GLOBAL__N_18offset_tEEE10hipError_tPvRmT1_PNSt15iterator_traitsIS12_E10value_typeET2_T3_PNS13_IS18_E10value_typeET4_jRbjT5_S1E_jjP12ihipStream_tbEUljE_ZNSN_ISO_Lb1ESQ_SR_ST_SU_SY_EESZ_S10_S11_S12_S16_S17_S18_S1B_S1C_jS1D_jS1E_S1E_jjS1G_bEUljE0_EEESZ_S10_S11_S18_S1C_S1E_T6_T7_T9_mT8_S1G_bDpT10_ENKUlT_T0_E_clISt17integral_constantIbLb1EES1T_IbLb0EEEEDaS1P_S1Q_EUlS1P_E_NS1_11comp_targetILNS1_3genE10ELNS1_11target_archE1200ELNS1_3gpuE4ELNS1_3repE0EEENS1_30default_config_static_selectorELNS0_4arch9wavefront6targetE1EEEvS12_.uses_flat_scratch, 0
	.set _ZN7rocprim17ROCPRIM_400000_NS6detail17trampoline_kernelINS0_13select_configILj256ELj13ELNS0_17block_load_methodE3ELS4_3ELS4_3ELNS0_20block_scan_algorithmE0ELj4294967295EEENS1_25partition_config_selectorILNS1_17partition_subalgoE4EjNS0_10empty_typeEbEEZZNS1_14partition_implILS8_4ELb0ES6_15HIP_vector_typeIjLj2EENS0_17counting_iteratorIjlEEPS9_SG_NS0_5tupleIJPjSI_NS0_16reverse_iteratorISI_EEEEENSH_IJSG_SG_SG_EEES9_SI_JZNS1_25segmented_radix_sort_implINS0_14default_configELb1EPKdPdPKlPlN2at6native12_GLOBAL__N_18offset_tEEE10hipError_tPvRmT1_PNSt15iterator_traitsIS12_E10value_typeET2_T3_PNS13_IS18_E10value_typeET4_jRbjT5_S1E_jjP12ihipStream_tbEUljE_ZNSN_ISO_Lb1ESQ_SR_ST_SU_SY_EESZ_S10_S11_S12_S16_S17_S18_S1B_S1C_jS1D_jS1E_S1E_jjS1G_bEUljE0_EEESZ_S10_S11_S18_S1C_S1E_T6_T7_T9_mT8_S1G_bDpT10_ENKUlT_T0_E_clISt17integral_constantIbLb1EES1T_IbLb0EEEEDaS1P_S1Q_EUlS1P_E_NS1_11comp_targetILNS1_3genE10ELNS1_11target_archE1200ELNS1_3gpuE4ELNS1_3repE0EEENS1_30default_config_static_selectorELNS0_4arch9wavefront6targetE1EEEvS12_.has_dyn_sized_stack, 0
	.set _ZN7rocprim17ROCPRIM_400000_NS6detail17trampoline_kernelINS0_13select_configILj256ELj13ELNS0_17block_load_methodE3ELS4_3ELS4_3ELNS0_20block_scan_algorithmE0ELj4294967295EEENS1_25partition_config_selectorILNS1_17partition_subalgoE4EjNS0_10empty_typeEbEEZZNS1_14partition_implILS8_4ELb0ES6_15HIP_vector_typeIjLj2EENS0_17counting_iteratorIjlEEPS9_SG_NS0_5tupleIJPjSI_NS0_16reverse_iteratorISI_EEEEENSH_IJSG_SG_SG_EEES9_SI_JZNS1_25segmented_radix_sort_implINS0_14default_configELb1EPKdPdPKlPlN2at6native12_GLOBAL__N_18offset_tEEE10hipError_tPvRmT1_PNSt15iterator_traitsIS12_E10value_typeET2_T3_PNS13_IS18_E10value_typeET4_jRbjT5_S1E_jjP12ihipStream_tbEUljE_ZNSN_ISO_Lb1ESQ_SR_ST_SU_SY_EESZ_S10_S11_S12_S16_S17_S18_S1B_S1C_jS1D_jS1E_S1E_jjS1G_bEUljE0_EEESZ_S10_S11_S18_S1C_S1E_T6_T7_T9_mT8_S1G_bDpT10_ENKUlT_T0_E_clISt17integral_constantIbLb1EES1T_IbLb0EEEEDaS1P_S1Q_EUlS1P_E_NS1_11comp_targetILNS1_3genE10ELNS1_11target_archE1200ELNS1_3gpuE4ELNS1_3repE0EEENS1_30default_config_static_selectorELNS0_4arch9wavefront6targetE1EEEvS12_.has_recursion, 0
	.set _ZN7rocprim17ROCPRIM_400000_NS6detail17trampoline_kernelINS0_13select_configILj256ELj13ELNS0_17block_load_methodE3ELS4_3ELS4_3ELNS0_20block_scan_algorithmE0ELj4294967295EEENS1_25partition_config_selectorILNS1_17partition_subalgoE4EjNS0_10empty_typeEbEEZZNS1_14partition_implILS8_4ELb0ES6_15HIP_vector_typeIjLj2EENS0_17counting_iteratorIjlEEPS9_SG_NS0_5tupleIJPjSI_NS0_16reverse_iteratorISI_EEEEENSH_IJSG_SG_SG_EEES9_SI_JZNS1_25segmented_radix_sort_implINS0_14default_configELb1EPKdPdPKlPlN2at6native12_GLOBAL__N_18offset_tEEE10hipError_tPvRmT1_PNSt15iterator_traitsIS12_E10value_typeET2_T3_PNS13_IS18_E10value_typeET4_jRbjT5_S1E_jjP12ihipStream_tbEUljE_ZNSN_ISO_Lb1ESQ_SR_ST_SU_SY_EESZ_S10_S11_S12_S16_S17_S18_S1B_S1C_jS1D_jS1E_S1E_jjS1G_bEUljE0_EEESZ_S10_S11_S18_S1C_S1E_T6_T7_T9_mT8_S1G_bDpT10_ENKUlT_T0_E_clISt17integral_constantIbLb1EES1T_IbLb0EEEEDaS1P_S1Q_EUlS1P_E_NS1_11comp_targetILNS1_3genE10ELNS1_11target_archE1200ELNS1_3gpuE4ELNS1_3repE0EEENS1_30default_config_static_selectorELNS0_4arch9wavefront6targetE1EEEvS12_.has_indirect_call, 0
	.section	.AMDGPU.csdata,"",@progbits
; Kernel info:
; codeLenInByte = 0
; TotalNumSgprs: 4
; NumVgprs: 0
; ScratchSize: 0
; MemoryBound: 0
; FloatMode: 240
; IeeeMode: 1
; LDSByteSize: 0 bytes/workgroup (compile time only)
; SGPRBlocks: 0
; VGPRBlocks: 0
; NumSGPRsForWavesPerEU: 4
; NumVGPRsForWavesPerEU: 1
; Occupancy: 10
; WaveLimiterHint : 0
; COMPUTE_PGM_RSRC2:SCRATCH_EN: 0
; COMPUTE_PGM_RSRC2:USER_SGPR: 6
; COMPUTE_PGM_RSRC2:TRAP_HANDLER: 0
; COMPUTE_PGM_RSRC2:TGID_X_EN: 1
; COMPUTE_PGM_RSRC2:TGID_Y_EN: 0
; COMPUTE_PGM_RSRC2:TGID_Z_EN: 0
; COMPUTE_PGM_RSRC2:TIDIG_COMP_CNT: 0
	.section	.text._ZN7rocprim17ROCPRIM_400000_NS6detail17trampoline_kernelINS0_13select_configILj256ELj13ELNS0_17block_load_methodE3ELS4_3ELS4_3ELNS0_20block_scan_algorithmE0ELj4294967295EEENS1_25partition_config_selectorILNS1_17partition_subalgoE4EjNS0_10empty_typeEbEEZZNS1_14partition_implILS8_4ELb0ES6_15HIP_vector_typeIjLj2EENS0_17counting_iteratorIjlEEPS9_SG_NS0_5tupleIJPjSI_NS0_16reverse_iteratorISI_EEEEENSH_IJSG_SG_SG_EEES9_SI_JZNS1_25segmented_radix_sort_implINS0_14default_configELb1EPKdPdPKlPlN2at6native12_GLOBAL__N_18offset_tEEE10hipError_tPvRmT1_PNSt15iterator_traitsIS12_E10value_typeET2_T3_PNS13_IS18_E10value_typeET4_jRbjT5_S1E_jjP12ihipStream_tbEUljE_ZNSN_ISO_Lb1ESQ_SR_ST_SU_SY_EESZ_S10_S11_S12_S16_S17_S18_S1B_S1C_jS1D_jS1E_S1E_jjS1G_bEUljE0_EEESZ_S10_S11_S18_S1C_S1E_T6_T7_T9_mT8_S1G_bDpT10_ENKUlT_T0_E_clISt17integral_constantIbLb1EES1T_IbLb0EEEEDaS1P_S1Q_EUlS1P_E_NS1_11comp_targetILNS1_3genE9ELNS1_11target_archE1100ELNS1_3gpuE3ELNS1_3repE0EEENS1_30default_config_static_selectorELNS0_4arch9wavefront6targetE1EEEvS12_,"axG",@progbits,_ZN7rocprim17ROCPRIM_400000_NS6detail17trampoline_kernelINS0_13select_configILj256ELj13ELNS0_17block_load_methodE3ELS4_3ELS4_3ELNS0_20block_scan_algorithmE0ELj4294967295EEENS1_25partition_config_selectorILNS1_17partition_subalgoE4EjNS0_10empty_typeEbEEZZNS1_14partition_implILS8_4ELb0ES6_15HIP_vector_typeIjLj2EENS0_17counting_iteratorIjlEEPS9_SG_NS0_5tupleIJPjSI_NS0_16reverse_iteratorISI_EEEEENSH_IJSG_SG_SG_EEES9_SI_JZNS1_25segmented_radix_sort_implINS0_14default_configELb1EPKdPdPKlPlN2at6native12_GLOBAL__N_18offset_tEEE10hipError_tPvRmT1_PNSt15iterator_traitsIS12_E10value_typeET2_T3_PNS13_IS18_E10value_typeET4_jRbjT5_S1E_jjP12ihipStream_tbEUljE_ZNSN_ISO_Lb1ESQ_SR_ST_SU_SY_EESZ_S10_S11_S12_S16_S17_S18_S1B_S1C_jS1D_jS1E_S1E_jjS1G_bEUljE0_EEESZ_S10_S11_S18_S1C_S1E_T6_T7_T9_mT8_S1G_bDpT10_ENKUlT_T0_E_clISt17integral_constantIbLb1EES1T_IbLb0EEEEDaS1P_S1Q_EUlS1P_E_NS1_11comp_targetILNS1_3genE9ELNS1_11target_archE1100ELNS1_3gpuE3ELNS1_3repE0EEENS1_30default_config_static_selectorELNS0_4arch9wavefront6targetE1EEEvS12_,comdat
	.globl	_ZN7rocprim17ROCPRIM_400000_NS6detail17trampoline_kernelINS0_13select_configILj256ELj13ELNS0_17block_load_methodE3ELS4_3ELS4_3ELNS0_20block_scan_algorithmE0ELj4294967295EEENS1_25partition_config_selectorILNS1_17partition_subalgoE4EjNS0_10empty_typeEbEEZZNS1_14partition_implILS8_4ELb0ES6_15HIP_vector_typeIjLj2EENS0_17counting_iteratorIjlEEPS9_SG_NS0_5tupleIJPjSI_NS0_16reverse_iteratorISI_EEEEENSH_IJSG_SG_SG_EEES9_SI_JZNS1_25segmented_radix_sort_implINS0_14default_configELb1EPKdPdPKlPlN2at6native12_GLOBAL__N_18offset_tEEE10hipError_tPvRmT1_PNSt15iterator_traitsIS12_E10value_typeET2_T3_PNS13_IS18_E10value_typeET4_jRbjT5_S1E_jjP12ihipStream_tbEUljE_ZNSN_ISO_Lb1ESQ_SR_ST_SU_SY_EESZ_S10_S11_S12_S16_S17_S18_S1B_S1C_jS1D_jS1E_S1E_jjS1G_bEUljE0_EEESZ_S10_S11_S18_S1C_S1E_T6_T7_T9_mT8_S1G_bDpT10_ENKUlT_T0_E_clISt17integral_constantIbLb1EES1T_IbLb0EEEEDaS1P_S1Q_EUlS1P_E_NS1_11comp_targetILNS1_3genE9ELNS1_11target_archE1100ELNS1_3gpuE3ELNS1_3repE0EEENS1_30default_config_static_selectorELNS0_4arch9wavefront6targetE1EEEvS12_ ; -- Begin function _ZN7rocprim17ROCPRIM_400000_NS6detail17trampoline_kernelINS0_13select_configILj256ELj13ELNS0_17block_load_methodE3ELS4_3ELS4_3ELNS0_20block_scan_algorithmE0ELj4294967295EEENS1_25partition_config_selectorILNS1_17partition_subalgoE4EjNS0_10empty_typeEbEEZZNS1_14partition_implILS8_4ELb0ES6_15HIP_vector_typeIjLj2EENS0_17counting_iteratorIjlEEPS9_SG_NS0_5tupleIJPjSI_NS0_16reverse_iteratorISI_EEEEENSH_IJSG_SG_SG_EEES9_SI_JZNS1_25segmented_radix_sort_implINS0_14default_configELb1EPKdPdPKlPlN2at6native12_GLOBAL__N_18offset_tEEE10hipError_tPvRmT1_PNSt15iterator_traitsIS12_E10value_typeET2_T3_PNS13_IS18_E10value_typeET4_jRbjT5_S1E_jjP12ihipStream_tbEUljE_ZNSN_ISO_Lb1ESQ_SR_ST_SU_SY_EESZ_S10_S11_S12_S16_S17_S18_S1B_S1C_jS1D_jS1E_S1E_jjS1G_bEUljE0_EEESZ_S10_S11_S18_S1C_S1E_T6_T7_T9_mT8_S1G_bDpT10_ENKUlT_T0_E_clISt17integral_constantIbLb1EES1T_IbLb0EEEEDaS1P_S1Q_EUlS1P_E_NS1_11comp_targetILNS1_3genE9ELNS1_11target_archE1100ELNS1_3gpuE3ELNS1_3repE0EEENS1_30default_config_static_selectorELNS0_4arch9wavefront6targetE1EEEvS12_
	.p2align	8
	.type	_ZN7rocprim17ROCPRIM_400000_NS6detail17trampoline_kernelINS0_13select_configILj256ELj13ELNS0_17block_load_methodE3ELS4_3ELS4_3ELNS0_20block_scan_algorithmE0ELj4294967295EEENS1_25partition_config_selectorILNS1_17partition_subalgoE4EjNS0_10empty_typeEbEEZZNS1_14partition_implILS8_4ELb0ES6_15HIP_vector_typeIjLj2EENS0_17counting_iteratorIjlEEPS9_SG_NS0_5tupleIJPjSI_NS0_16reverse_iteratorISI_EEEEENSH_IJSG_SG_SG_EEES9_SI_JZNS1_25segmented_radix_sort_implINS0_14default_configELb1EPKdPdPKlPlN2at6native12_GLOBAL__N_18offset_tEEE10hipError_tPvRmT1_PNSt15iterator_traitsIS12_E10value_typeET2_T3_PNS13_IS18_E10value_typeET4_jRbjT5_S1E_jjP12ihipStream_tbEUljE_ZNSN_ISO_Lb1ESQ_SR_ST_SU_SY_EESZ_S10_S11_S12_S16_S17_S18_S1B_S1C_jS1D_jS1E_S1E_jjS1G_bEUljE0_EEESZ_S10_S11_S18_S1C_S1E_T6_T7_T9_mT8_S1G_bDpT10_ENKUlT_T0_E_clISt17integral_constantIbLb1EES1T_IbLb0EEEEDaS1P_S1Q_EUlS1P_E_NS1_11comp_targetILNS1_3genE9ELNS1_11target_archE1100ELNS1_3gpuE3ELNS1_3repE0EEENS1_30default_config_static_selectorELNS0_4arch9wavefront6targetE1EEEvS12_,@function
_ZN7rocprim17ROCPRIM_400000_NS6detail17trampoline_kernelINS0_13select_configILj256ELj13ELNS0_17block_load_methodE3ELS4_3ELS4_3ELNS0_20block_scan_algorithmE0ELj4294967295EEENS1_25partition_config_selectorILNS1_17partition_subalgoE4EjNS0_10empty_typeEbEEZZNS1_14partition_implILS8_4ELb0ES6_15HIP_vector_typeIjLj2EENS0_17counting_iteratorIjlEEPS9_SG_NS0_5tupleIJPjSI_NS0_16reverse_iteratorISI_EEEEENSH_IJSG_SG_SG_EEES9_SI_JZNS1_25segmented_radix_sort_implINS0_14default_configELb1EPKdPdPKlPlN2at6native12_GLOBAL__N_18offset_tEEE10hipError_tPvRmT1_PNSt15iterator_traitsIS12_E10value_typeET2_T3_PNS13_IS18_E10value_typeET4_jRbjT5_S1E_jjP12ihipStream_tbEUljE_ZNSN_ISO_Lb1ESQ_SR_ST_SU_SY_EESZ_S10_S11_S12_S16_S17_S18_S1B_S1C_jS1D_jS1E_S1E_jjS1G_bEUljE0_EEESZ_S10_S11_S18_S1C_S1E_T6_T7_T9_mT8_S1G_bDpT10_ENKUlT_T0_E_clISt17integral_constantIbLb1EES1T_IbLb0EEEEDaS1P_S1Q_EUlS1P_E_NS1_11comp_targetILNS1_3genE9ELNS1_11target_archE1100ELNS1_3gpuE3ELNS1_3repE0EEENS1_30default_config_static_selectorELNS0_4arch9wavefront6targetE1EEEvS12_: ; @_ZN7rocprim17ROCPRIM_400000_NS6detail17trampoline_kernelINS0_13select_configILj256ELj13ELNS0_17block_load_methodE3ELS4_3ELS4_3ELNS0_20block_scan_algorithmE0ELj4294967295EEENS1_25partition_config_selectorILNS1_17partition_subalgoE4EjNS0_10empty_typeEbEEZZNS1_14partition_implILS8_4ELb0ES6_15HIP_vector_typeIjLj2EENS0_17counting_iteratorIjlEEPS9_SG_NS0_5tupleIJPjSI_NS0_16reverse_iteratorISI_EEEEENSH_IJSG_SG_SG_EEES9_SI_JZNS1_25segmented_radix_sort_implINS0_14default_configELb1EPKdPdPKlPlN2at6native12_GLOBAL__N_18offset_tEEE10hipError_tPvRmT1_PNSt15iterator_traitsIS12_E10value_typeET2_T3_PNS13_IS18_E10value_typeET4_jRbjT5_S1E_jjP12ihipStream_tbEUljE_ZNSN_ISO_Lb1ESQ_SR_ST_SU_SY_EESZ_S10_S11_S12_S16_S17_S18_S1B_S1C_jS1D_jS1E_S1E_jjS1G_bEUljE0_EEESZ_S10_S11_S18_S1C_S1E_T6_T7_T9_mT8_S1G_bDpT10_ENKUlT_T0_E_clISt17integral_constantIbLb1EES1T_IbLb0EEEEDaS1P_S1Q_EUlS1P_E_NS1_11comp_targetILNS1_3genE9ELNS1_11target_archE1100ELNS1_3gpuE3ELNS1_3repE0EEENS1_30default_config_static_selectorELNS0_4arch9wavefront6targetE1EEEvS12_
; %bb.0:
	.section	.rodata,"a",@progbits
	.p2align	6, 0x0
	.amdhsa_kernel _ZN7rocprim17ROCPRIM_400000_NS6detail17trampoline_kernelINS0_13select_configILj256ELj13ELNS0_17block_load_methodE3ELS4_3ELS4_3ELNS0_20block_scan_algorithmE0ELj4294967295EEENS1_25partition_config_selectorILNS1_17partition_subalgoE4EjNS0_10empty_typeEbEEZZNS1_14partition_implILS8_4ELb0ES6_15HIP_vector_typeIjLj2EENS0_17counting_iteratorIjlEEPS9_SG_NS0_5tupleIJPjSI_NS0_16reverse_iteratorISI_EEEEENSH_IJSG_SG_SG_EEES9_SI_JZNS1_25segmented_radix_sort_implINS0_14default_configELb1EPKdPdPKlPlN2at6native12_GLOBAL__N_18offset_tEEE10hipError_tPvRmT1_PNSt15iterator_traitsIS12_E10value_typeET2_T3_PNS13_IS18_E10value_typeET4_jRbjT5_S1E_jjP12ihipStream_tbEUljE_ZNSN_ISO_Lb1ESQ_SR_ST_SU_SY_EESZ_S10_S11_S12_S16_S17_S18_S1B_S1C_jS1D_jS1E_S1E_jjS1G_bEUljE0_EEESZ_S10_S11_S18_S1C_S1E_T6_T7_T9_mT8_S1G_bDpT10_ENKUlT_T0_E_clISt17integral_constantIbLb1EES1T_IbLb0EEEEDaS1P_S1Q_EUlS1P_E_NS1_11comp_targetILNS1_3genE9ELNS1_11target_archE1100ELNS1_3gpuE3ELNS1_3repE0EEENS1_30default_config_static_selectorELNS0_4arch9wavefront6targetE1EEEvS12_
		.amdhsa_group_segment_fixed_size 0
		.amdhsa_private_segment_fixed_size 0
		.amdhsa_kernarg_size 176
		.amdhsa_user_sgpr_count 6
		.amdhsa_user_sgpr_private_segment_buffer 1
		.amdhsa_user_sgpr_dispatch_ptr 0
		.amdhsa_user_sgpr_queue_ptr 0
		.amdhsa_user_sgpr_kernarg_segment_ptr 1
		.amdhsa_user_sgpr_dispatch_id 0
		.amdhsa_user_sgpr_flat_scratch_init 0
		.amdhsa_user_sgpr_private_segment_size 0
		.amdhsa_uses_dynamic_stack 0
		.amdhsa_system_sgpr_private_segment_wavefront_offset 0
		.amdhsa_system_sgpr_workgroup_id_x 1
		.amdhsa_system_sgpr_workgroup_id_y 0
		.amdhsa_system_sgpr_workgroup_id_z 0
		.amdhsa_system_sgpr_workgroup_info 0
		.amdhsa_system_vgpr_workitem_id 0
		.amdhsa_next_free_vgpr 1
		.amdhsa_next_free_sgpr 0
		.amdhsa_reserve_vcc 0
		.amdhsa_reserve_flat_scratch 0
		.amdhsa_float_round_mode_32 0
		.amdhsa_float_round_mode_16_64 0
		.amdhsa_float_denorm_mode_32 3
		.amdhsa_float_denorm_mode_16_64 3
		.amdhsa_dx10_clamp 1
		.amdhsa_ieee_mode 1
		.amdhsa_fp16_overflow 0
		.amdhsa_exception_fp_ieee_invalid_op 0
		.amdhsa_exception_fp_denorm_src 0
		.amdhsa_exception_fp_ieee_div_zero 0
		.amdhsa_exception_fp_ieee_overflow 0
		.amdhsa_exception_fp_ieee_underflow 0
		.amdhsa_exception_fp_ieee_inexact 0
		.amdhsa_exception_int_div_zero 0
	.end_amdhsa_kernel
	.section	.text._ZN7rocprim17ROCPRIM_400000_NS6detail17trampoline_kernelINS0_13select_configILj256ELj13ELNS0_17block_load_methodE3ELS4_3ELS4_3ELNS0_20block_scan_algorithmE0ELj4294967295EEENS1_25partition_config_selectorILNS1_17partition_subalgoE4EjNS0_10empty_typeEbEEZZNS1_14partition_implILS8_4ELb0ES6_15HIP_vector_typeIjLj2EENS0_17counting_iteratorIjlEEPS9_SG_NS0_5tupleIJPjSI_NS0_16reverse_iteratorISI_EEEEENSH_IJSG_SG_SG_EEES9_SI_JZNS1_25segmented_radix_sort_implINS0_14default_configELb1EPKdPdPKlPlN2at6native12_GLOBAL__N_18offset_tEEE10hipError_tPvRmT1_PNSt15iterator_traitsIS12_E10value_typeET2_T3_PNS13_IS18_E10value_typeET4_jRbjT5_S1E_jjP12ihipStream_tbEUljE_ZNSN_ISO_Lb1ESQ_SR_ST_SU_SY_EESZ_S10_S11_S12_S16_S17_S18_S1B_S1C_jS1D_jS1E_S1E_jjS1G_bEUljE0_EEESZ_S10_S11_S18_S1C_S1E_T6_T7_T9_mT8_S1G_bDpT10_ENKUlT_T0_E_clISt17integral_constantIbLb1EES1T_IbLb0EEEEDaS1P_S1Q_EUlS1P_E_NS1_11comp_targetILNS1_3genE9ELNS1_11target_archE1100ELNS1_3gpuE3ELNS1_3repE0EEENS1_30default_config_static_selectorELNS0_4arch9wavefront6targetE1EEEvS12_,"axG",@progbits,_ZN7rocprim17ROCPRIM_400000_NS6detail17trampoline_kernelINS0_13select_configILj256ELj13ELNS0_17block_load_methodE3ELS4_3ELS4_3ELNS0_20block_scan_algorithmE0ELj4294967295EEENS1_25partition_config_selectorILNS1_17partition_subalgoE4EjNS0_10empty_typeEbEEZZNS1_14partition_implILS8_4ELb0ES6_15HIP_vector_typeIjLj2EENS0_17counting_iteratorIjlEEPS9_SG_NS0_5tupleIJPjSI_NS0_16reverse_iteratorISI_EEEEENSH_IJSG_SG_SG_EEES9_SI_JZNS1_25segmented_radix_sort_implINS0_14default_configELb1EPKdPdPKlPlN2at6native12_GLOBAL__N_18offset_tEEE10hipError_tPvRmT1_PNSt15iterator_traitsIS12_E10value_typeET2_T3_PNS13_IS18_E10value_typeET4_jRbjT5_S1E_jjP12ihipStream_tbEUljE_ZNSN_ISO_Lb1ESQ_SR_ST_SU_SY_EESZ_S10_S11_S12_S16_S17_S18_S1B_S1C_jS1D_jS1E_S1E_jjS1G_bEUljE0_EEESZ_S10_S11_S18_S1C_S1E_T6_T7_T9_mT8_S1G_bDpT10_ENKUlT_T0_E_clISt17integral_constantIbLb1EES1T_IbLb0EEEEDaS1P_S1Q_EUlS1P_E_NS1_11comp_targetILNS1_3genE9ELNS1_11target_archE1100ELNS1_3gpuE3ELNS1_3repE0EEENS1_30default_config_static_selectorELNS0_4arch9wavefront6targetE1EEEvS12_,comdat
.Lfunc_end1076:
	.size	_ZN7rocprim17ROCPRIM_400000_NS6detail17trampoline_kernelINS0_13select_configILj256ELj13ELNS0_17block_load_methodE3ELS4_3ELS4_3ELNS0_20block_scan_algorithmE0ELj4294967295EEENS1_25partition_config_selectorILNS1_17partition_subalgoE4EjNS0_10empty_typeEbEEZZNS1_14partition_implILS8_4ELb0ES6_15HIP_vector_typeIjLj2EENS0_17counting_iteratorIjlEEPS9_SG_NS0_5tupleIJPjSI_NS0_16reverse_iteratorISI_EEEEENSH_IJSG_SG_SG_EEES9_SI_JZNS1_25segmented_radix_sort_implINS0_14default_configELb1EPKdPdPKlPlN2at6native12_GLOBAL__N_18offset_tEEE10hipError_tPvRmT1_PNSt15iterator_traitsIS12_E10value_typeET2_T3_PNS13_IS18_E10value_typeET4_jRbjT5_S1E_jjP12ihipStream_tbEUljE_ZNSN_ISO_Lb1ESQ_SR_ST_SU_SY_EESZ_S10_S11_S12_S16_S17_S18_S1B_S1C_jS1D_jS1E_S1E_jjS1G_bEUljE0_EEESZ_S10_S11_S18_S1C_S1E_T6_T7_T9_mT8_S1G_bDpT10_ENKUlT_T0_E_clISt17integral_constantIbLb1EES1T_IbLb0EEEEDaS1P_S1Q_EUlS1P_E_NS1_11comp_targetILNS1_3genE9ELNS1_11target_archE1100ELNS1_3gpuE3ELNS1_3repE0EEENS1_30default_config_static_selectorELNS0_4arch9wavefront6targetE1EEEvS12_, .Lfunc_end1076-_ZN7rocprim17ROCPRIM_400000_NS6detail17trampoline_kernelINS0_13select_configILj256ELj13ELNS0_17block_load_methodE3ELS4_3ELS4_3ELNS0_20block_scan_algorithmE0ELj4294967295EEENS1_25partition_config_selectorILNS1_17partition_subalgoE4EjNS0_10empty_typeEbEEZZNS1_14partition_implILS8_4ELb0ES6_15HIP_vector_typeIjLj2EENS0_17counting_iteratorIjlEEPS9_SG_NS0_5tupleIJPjSI_NS0_16reverse_iteratorISI_EEEEENSH_IJSG_SG_SG_EEES9_SI_JZNS1_25segmented_radix_sort_implINS0_14default_configELb1EPKdPdPKlPlN2at6native12_GLOBAL__N_18offset_tEEE10hipError_tPvRmT1_PNSt15iterator_traitsIS12_E10value_typeET2_T3_PNS13_IS18_E10value_typeET4_jRbjT5_S1E_jjP12ihipStream_tbEUljE_ZNSN_ISO_Lb1ESQ_SR_ST_SU_SY_EESZ_S10_S11_S12_S16_S17_S18_S1B_S1C_jS1D_jS1E_S1E_jjS1G_bEUljE0_EEESZ_S10_S11_S18_S1C_S1E_T6_T7_T9_mT8_S1G_bDpT10_ENKUlT_T0_E_clISt17integral_constantIbLb1EES1T_IbLb0EEEEDaS1P_S1Q_EUlS1P_E_NS1_11comp_targetILNS1_3genE9ELNS1_11target_archE1100ELNS1_3gpuE3ELNS1_3repE0EEENS1_30default_config_static_selectorELNS0_4arch9wavefront6targetE1EEEvS12_
                                        ; -- End function
	.set _ZN7rocprim17ROCPRIM_400000_NS6detail17trampoline_kernelINS0_13select_configILj256ELj13ELNS0_17block_load_methodE3ELS4_3ELS4_3ELNS0_20block_scan_algorithmE0ELj4294967295EEENS1_25partition_config_selectorILNS1_17partition_subalgoE4EjNS0_10empty_typeEbEEZZNS1_14partition_implILS8_4ELb0ES6_15HIP_vector_typeIjLj2EENS0_17counting_iteratorIjlEEPS9_SG_NS0_5tupleIJPjSI_NS0_16reverse_iteratorISI_EEEEENSH_IJSG_SG_SG_EEES9_SI_JZNS1_25segmented_radix_sort_implINS0_14default_configELb1EPKdPdPKlPlN2at6native12_GLOBAL__N_18offset_tEEE10hipError_tPvRmT1_PNSt15iterator_traitsIS12_E10value_typeET2_T3_PNS13_IS18_E10value_typeET4_jRbjT5_S1E_jjP12ihipStream_tbEUljE_ZNSN_ISO_Lb1ESQ_SR_ST_SU_SY_EESZ_S10_S11_S12_S16_S17_S18_S1B_S1C_jS1D_jS1E_S1E_jjS1G_bEUljE0_EEESZ_S10_S11_S18_S1C_S1E_T6_T7_T9_mT8_S1G_bDpT10_ENKUlT_T0_E_clISt17integral_constantIbLb1EES1T_IbLb0EEEEDaS1P_S1Q_EUlS1P_E_NS1_11comp_targetILNS1_3genE9ELNS1_11target_archE1100ELNS1_3gpuE3ELNS1_3repE0EEENS1_30default_config_static_selectorELNS0_4arch9wavefront6targetE1EEEvS12_.num_vgpr, 0
	.set _ZN7rocprim17ROCPRIM_400000_NS6detail17trampoline_kernelINS0_13select_configILj256ELj13ELNS0_17block_load_methodE3ELS4_3ELS4_3ELNS0_20block_scan_algorithmE0ELj4294967295EEENS1_25partition_config_selectorILNS1_17partition_subalgoE4EjNS0_10empty_typeEbEEZZNS1_14partition_implILS8_4ELb0ES6_15HIP_vector_typeIjLj2EENS0_17counting_iteratorIjlEEPS9_SG_NS0_5tupleIJPjSI_NS0_16reverse_iteratorISI_EEEEENSH_IJSG_SG_SG_EEES9_SI_JZNS1_25segmented_radix_sort_implINS0_14default_configELb1EPKdPdPKlPlN2at6native12_GLOBAL__N_18offset_tEEE10hipError_tPvRmT1_PNSt15iterator_traitsIS12_E10value_typeET2_T3_PNS13_IS18_E10value_typeET4_jRbjT5_S1E_jjP12ihipStream_tbEUljE_ZNSN_ISO_Lb1ESQ_SR_ST_SU_SY_EESZ_S10_S11_S12_S16_S17_S18_S1B_S1C_jS1D_jS1E_S1E_jjS1G_bEUljE0_EEESZ_S10_S11_S18_S1C_S1E_T6_T7_T9_mT8_S1G_bDpT10_ENKUlT_T0_E_clISt17integral_constantIbLb1EES1T_IbLb0EEEEDaS1P_S1Q_EUlS1P_E_NS1_11comp_targetILNS1_3genE9ELNS1_11target_archE1100ELNS1_3gpuE3ELNS1_3repE0EEENS1_30default_config_static_selectorELNS0_4arch9wavefront6targetE1EEEvS12_.num_agpr, 0
	.set _ZN7rocprim17ROCPRIM_400000_NS6detail17trampoline_kernelINS0_13select_configILj256ELj13ELNS0_17block_load_methodE3ELS4_3ELS4_3ELNS0_20block_scan_algorithmE0ELj4294967295EEENS1_25partition_config_selectorILNS1_17partition_subalgoE4EjNS0_10empty_typeEbEEZZNS1_14partition_implILS8_4ELb0ES6_15HIP_vector_typeIjLj2EENS0_17counting_iteratorIjlEEPS9_SG_NS0_5tupleIJPjSI_NS0_16reverse_iteratorISI_EEEEENSH_IJSG_SG_SG_EEES9_SI_JZNS1_25segmented_radix_sort_implINS0_14default_configELb1EPKdPdPKlPlN2at6native12_GLOBAL__N_18offset_tEEE10hipError_tPvRmT1_PNSt15iterator_traitsIS12_E10value_typeET2_T3_PNS13_IS18_E10value_typeET4_jRbjT5_S1E_jjP12ihipStream_tbEUljE_ZNSN_ISO_Lb1ESQ_SR_ST_SU_SY_EESZ_S10_S11_S12_S16_S17_S18_S1B_S1C_jS1D_jS1E_S1E_jjS1G_bEUljE0_EEESZ_S10_S11_S18_S1C_S1E_T6_T7_T9_mT8_S1G_bDpT10_ENKUlT_T0_E_clISt17integral_constantIbLb1EES1T_IbLb0EEEEDaS1P_S1Q_EUlS1P_E_NS1_11comp_targetILNS1_3genE9ELNS1_11target_archE1100ELNS1_3gpuE3ELNS1_3repE0EEENS1_30default_config_static_selectorELNS0_4arch9wavefront6targetE1EEEvS12_.numbered_sgpr, 0
	.set _ZN7rocprim17ROCPRIM_400000_NS6detail17trampoline_kernelINS0_13select_configILj256ELj13ELNS0_17block_load_methodE3ELS4_3ELS4_3ELNS0_20block_scan_algorithmE0ELj4294967295EEENS1_25partition_config_selectorILNS1_17partition_subalgoE4EjNS0_10empty_typeEbEEZZNS1_14partition_implILS8_4ELb0ES6_15HIP_vector_typeIjLj2EENS0_17counting_iteratorIjlEEPS9_SG_NS0_5tupleIJPjSI_NS0_16reverse_iteratorISI_EEEEENSH_IJSG_SG_SG_EEES9_SI_JZNS1_25segmented_radix_sort_implINS0_14default_configELb1EPKdPdPKlPlN2at6native12_GLOBAL__N_18offset_tEEE10hipError_tPvRmT1_PNSt15iterator_traitsIS12_E10value_typeET2_T3_PNS13_IS18_E10value_typeET4_jRbjT5_S1E_jjP12ihipStream_tbEUljE_ZNSN_ISO_Lb1ESQ_SR_ST_SU_SY_EESZ_S10_S11_S12_S16_S17_S18_S1B_S1C_jS1D_jS1E_S1E_jjS1G_bEUljE0_EEESZ_S10_S11_S18_S1C_S1E_T6_T7_T9_mT8_S1G_bDpT10_ENKUlT_T0_E_clISt17integral_constantIbLb1EES1T_IbLb0EEEEDaS1P_S1Q_EUlS1P_E_NS1_11comp_targetILNS1_3genE9ELNS1_11target_archE1100ELNS1_3gpuE3ELNS1_3repE0EEENS1_30default_config_static_selectorELNS0_4arch9wavefront6targetE1EEEvS12_.num_named_barrier, 0
	.set _ZN7rocprim17ROCPRIM_400000_NS6detail17trampoline_kernelINS0_13select_configILj256ELj13ELNS0_17block_load_methodE3ELS4_3ELS4_3ELNS0_20block_scan_algorithmE0ELj4294967295EEENS1_25partition_config_selectorILNS1_17partition_subalgoE4EjNS0_10empty_typeEbEEZZNS1_14partition_implILS8_4ELb0ES6_15HIP_vector_typeIjLj2EENS0_17counting_iteratorIjlEEPS9_SG_NS0_5tupleIJPjSI_NS0_16reverse_iteratorISI_EEEEENSH_IJSG_SG_SG_EEES9_SI_JZNS1_25segmented_radix_sort_implINS0_14default_configELb1EPKdPdPKlPlN2at6native12_GLOBAL__N_18offset_tEEE10hipError_tPvRmT1_PNSt15iterator_traitsIS12_E10value_typeET2_T3_PNS13_IS18_E10value_typeET4_jRbjT5_S1E_jjP12ihipStream_tbEUljE_ZNSN_ISO_Lb1ESQ_SR_ST_SU_SY_EESZ_S10_S11_S12_S16_S17_S18_S1B_S1C_jS1D_jS1E_S1E_jjS1G_bEUljE0_EEESZ_S10_S11_S18_S1C_S1E_T6_T7_T9_mT8_S1G_bDpT10_ENKUlT_T0_E_clISt17integral_constantIbLb1EES1T_IbLb0EEEEDaS1P_S1Q_EUlS1P_E_NS1_11comp_targetILNS1_3genE9ELNS1_11target_archE1100ELNS1_3gpuE3ELNS1_3repE0EEENS1_30default_config_static_selectorELNS0_4arch9wavefront6targetE1EEEvS12_.private_seg_size, 0
	.set _ZN7rocprim17ROCPRIM_400000_NS6detail17trampoline_kernelINS0_13select_configILj256ELj13ELNS0_17block_load_methodE3ELS4_3ELS4_3ELNS0_20block_scan_algorithmE0ELj4294967295EEENS1_25partition_config_selectorILNS1_17partition_subalgoE4EjNS0_10empty_typeEbEEZZNS1_14partition_implILS8_4ELb0ES6_15HIP_vector_typeIjLj2EENS0_17counting_iteratorIjlEEPS9_SG_NS0_5tupleIJPjSI_NS0_16reverse_iteratorISI_EEEEENSH_IJSG_SG_SG_EEES9_SI_JZNS1_25segmented_radix_sort_implINS0_14default_configELb1EPKdPdPKlPlN2at6native12_GLOBAL__N_18offset_tEEE10hipError_tPvRmT1_PNSt15iterator_traitsIS12_E10value_typeET2_T3_PNS13_IS18_E10value_typeET4_jRbjT5_S1E_jjP12ihipStream_tbEUljE_ZNSN_ISO_Lb1ESQ_SR_ST_SU_SY_EESZ_S10_S11_S12_S16_S17_S18_S1B_S1C_jS1D_jS1E_S1E_jjS1G_bEUljE0_EEESZ_S10_S11_S18_S1C_S1E_T6_T7_T9_mT8_S1G_bDpT10_ENKUlT_T0_E_clISt17integral_constantIbLb1EES1T_IbLb0EEEEDaS1P_S1Q_EUlS1P_E_NS1_11comp_targetILNS1_3genE9ELNS1_11target_archE1100ELNS1_3gpuE3ELNS1_3repE0EEENS1_30default_config_static_selectorELNS0_4arch9wavefront6targetE1EEEvS12_.uses_vcc, 0
	.set _ZN7rocprim17ROCPRIM_400000_NS6detail17trampoline_kernelINS0_13select_configILj256ELj13ELNS0_17block_load_methodE3ELS4_3ELS4_3ELNS0_20block_scan_algorithmE0ELj4294967295EEENS1_25partition_config_selectorILNS1_17partition_subalgoE4EjNS0_10empty_typeEbEEZZNS1_14partition_implILS8_4ELb0ES6_15HIP_vector_typeIjLj2EENS0_17counting_iteratorIjlEEPS9_SG_NS0_5tupleIJPjSI_NS0_16reverse_iteratorISI_EEEEENSH_IJSG_SG_SG_EEES9_SI_JZNS1_25segmented_radix_sort_implINS0_14default_configELb1EPKdPdPKlPlN2at6native12_GLOBAL__N_18offset_tEEE10hipError_tPvRmT1_PNSt15iterator_traitsIS12_E10value_typeET2_T3_PNS13_IS18_E10value_typeET4_jRbjT5_S1E_jjP12ihipStream_tbEUljE_ZNSN_ISO_Lb1ESQ_SR_ST_SU_SY_EESZ_S10_S11_S12_S16_S17_S18_S1B_S1C_jS1D_jS1E_S1E_jjS1G_bEUljE0_EEESZ_S10_S11_S18_S1C_S1E_T6_T7_T9_mT8_S1G_bDpT10_ENKUlT_T0_E_clISt17integral_constantIbLb1EES1T_IbLb0EEEEDaS1P_S1Q_EUlS1P_E_NS1_11comp_targetILNS1_3genE9ELNS1_11target_archE1100ELNS1_3gpuE3ELNS1_3repE0EEENS1_30default_config_static_selectorELNS0_4arch9wavefront6targetE1EEEvS12_.uses_flat_scratch, 0
	.set _ZN7rocprim17ROCPRIM_400000_NS6detail17trampoline_kernelINS0_13select_configILj256ELj13ELNS0_17block_load_methodE3ELS4_3ELS4_3ELNS0_20block_scan_algorithmE0ELj4294967295EEENS1_25partition_config_selectorILNS1_17partition_subalgoE4EjNS0_10empty_typeEbEEZZNS1_14partition_implILS8_4ELb0ES6_15HIP_vector_typeIjLj2EENS0_17counting_iteratorIjlEEPS9_SG_NS0_5tupleIJPjSI_NS0_16reverse_iteratorISI_EEEEENSH_IJSG_SG_SG_EEES9_SI_JZNS1_25segmented_radix_sort_implINS0_14default_configELb1EPKdPdPKlPlN2at6native12_GLOBAL__N_18offset_tEEE10hipError_tPvRmT1_PNSt15iterator_traitsIS12_E10value_typeET2_T3_PNS13_IS18_E10value_typeET4_jRbjT5_S1E_jjP12ihipStream_tbEUljE_ZNSN_ISO_Lb1ESQ_SR_ST_SU_SY_EESZ_S10_S11_S12_S16_S17_S18_S1B_S1C_jS1D_jS1E_S1E_jjS1G_bEUljE0_EEESZ_S10_S11_S18_S1C_S1E_T6_T7_T9_mT8_S1G_bDpT10_ENKUlT_T0_E_clISt17integral_constantIbLb1EES1T_IbLb0EEEEDaS1P_S1Q_EUlS1P_E_NS1_11comp_targetILNS1_3genE9ELNS1_11target_archE1100ELNS1_3gpuE3ELNS1_3repE0EEENS1_30default_config_static_selectorELNS0_4arch9wavefront6targetE1EEEvS12_.has_dyn_sized_stack, 0
	.set _ZN7rocprim17ROCPRIM_400000_NS6detail17trampoline_kernelINS0_13select_configILj256ELj13ELNS0_17block_load_methodE3ELS4_3ELS4_3ELNS0_20block_scan_algorithmE0ELj4294967295EEENS1_25partition_config_selectorILNS1_17partition_subalgoE4EjNS0_10empty_typeEbEEZZNS1_14partition_implILS8_4ELb0ES6_15HIP_vector_typeIjLj2EENS0_17counting_iteratorIjlEEPS9_SG_NS0_5tupleIJPjSI_NS0_16reverse_iteratorISI_EEEEENSH_IJSG_SG_SG_EEES9_SI_JZNS1_25segmented_radix_sort_implINS0_14default_configELb1EPKdPdPKlPlN2at6native12_GLOBAL__N_18offset_tEEE10hipError_tPvRmT1_PNSt15iterator_traitsIS12_E10value_typeET2_T3_PNS13_IS18_E10value_typeET4_jRbjT5_S1E_jjP12ihipStream_tbEUljE_ZNSN_ISO_Lb1ESQ_SR_ST_SU_SY_EESZ_S10_S11_S12_S16_S17_S18_S1B_S1C_jS1D_jS1E_S1E_jjS1G_bEUljE0_EEESZ_S10_S11_S18_S1C_S1E_T6_T7_T9_mT8_S1G_bDpT10_ENKUlT_T0_E_clISt17integral_constantIbLb1EES1T_IbLb0EEEEDaS1P_S1Q_EUlS1P_E_NS1_11comp_targetILNS1_3genE9ELNS1_11target_archE1100ELNS1_3gpuE3ELNS1_3repE0EEENS1_30default_config_static_selectorELNS0_4arch9wavefront6targetE1EEEvS12_.has_recursion, 0
	.set _ZN7rocprim17ROCPRIM_400000_NS6detail17trampoline_kernelINS0_13select_configILj256ELj13ELNS0_17block_load_methodE3ELS4_3ELS4_3ELNS0_20block_scan_algorithmE0ELj4294967295EEENS1_25partition_config_selectorILNS1_17partition_subalgoE4EjNS0_10empty_typeEbEEZZNS1_14partition_implILS8_4ELb0ES6_15HIP_vector_typeIjLj2EENS0_17counting_iteratorIjlEEPS9_SG_NS0_5tupleIJPjSI_NS0_16reverse_iteratorISI_EEEEENSH_IJSG_SG_SG_EEES9_SI_JZNS1_25segmented_radix_sort_implINS0_14default_configELb1EPKdPdPKlPlN2at6native12_GLOBAL__N_18offset_tEEE10hipError_tPvRmT1_PNSt15iterator_traitsIS12_E10value_typeET2_T3_PNS13_IS18_E10value_typeET4_jRbjT5_S1E_jjP12ihipStream_tbEUljE_ZNSN_ISO_Lb1ESQ_SR_ST_SU_SY_EESZ_S10_S11_S12_S16_S17_S18_S1B_S1C_jS1D_jS1E_S1E_jjS1G_bEUljE0_EEESZ_S10_S11_S18_S1C_S1E_T6_T7_T9_mT8_S1G_bDpT10_ENKUlT_T0_E_clISt17integral_constantIbLb1EES1T_IbLb0EEEEDaS1P_S1Q_EUlS1P_E_NS1_11comp_targetILNS1_3genE9ELNS1_11target_archE1100ELNS1_3gpuE3ELNS1_3repE0EEENS1_30default_config_static_selectorELNS0_4arch9wavefront6targetE1EEEvS12_.has_indirect_call, 0
	.section	.AMDGPU.csdata,"",@progbits
; Kernel info:
; codeLenInByte = 0
; TotalNumSgprs: 4
; NumVgprs: 0
; ScratchSize: 0
; MemoryBound: 0
; FloatMode: 240
; IeeeMode: 1
; LDSByteSize: 0 bytes/workgroup (compile time only)
; SGPRBlocks: 0
; VGPRBlocks: 0
; NumSGPRsForWavesPerEU: 4
; NumVGPRsForWavesPerEU: 1
; Occupancy: 10
; WaveLimiterHint : 0
; COMPUTE_PGM_RSRC2:SCRATCH_EN: 0
; COMPUTE_PGM_RSRC2:USER_SGPR: 6
; COMPUTE_PGM_RSRC2:TRAP_HANDLER: 0
; COMPUTE_PGM_RSRC2:TGID_X_EN: 1
; COMPUTE_PGM_RSRC2:TGID_Y_EN: 0
; COMPUTE_PGM_RSRC2:TGID_Z_EN: 0
; COMPUTE_PGM_RSRC2:TIDIG_COMP_CNT: 0
	.section	.text._ZN7rocprim17ROCPRIM_400000_NS6detail17trampoline_kernelINS0_13select_configILj256ELj13ELNS0_17block_load_methodE3ELS4_3ELS4_3ELNS0_20block_scan_algorithmE0ELj4294967295EEENS1_25partition_config_selectorILNS1_17partition_subalgoE4EjNS0_10empty_typeEbEEZZNS1_14partition_implILS8_4ELb0ES6_15HIP_vector_typeIjLj2EENS0_17counting_iteratorIjlEEPS9_SG_NS0_5tupleIJPjSI_NS0_16reverse_iteratorISI_EEEEENSH_IJSG_SG_SG_EEES9_SI_JZNS1_25segmented_radix_sort_implINS0_14default_configELb1EPKdPdPKlPlN2at6native12_GLOBAL__N_18offset_tEEE10hipError_tPvRmT1_PNSt15iterator_traitsIS12_E10value_typeET2_T3_PNS13_IS18_E10value_typeET4_jRbjT5_S1E_jjP12ihipStream_tbEUljE_ZNSN_ISO_Lb1ESQ_SR_ST_SU_SY_EESZ_S10_S11_S12_S16_S17_S18_S1B_S1C_jS1D_jS1E_S1E_jjS1G_bEUljE0_EEESZ_S10_S11_S18_S1C_S1E_T6_T7_T9_mT8_S1G_bDpT10_ENKUlT_T0_E_clISt17integral_constantIbLb1EES1T_IbLb0EEEEDaS1P_S1Q_EUlS1P_E_NS1_11comp_targetILNS1_3genE8ELNS1_11target_archE1030ELNS1_3gpuE2ELNS1_3repE0EEENS1_30default_config_static_selectorELNS0_4arch9wavefront6targetE1EEEvS12_,"axG",@progbits,_ZN7rocprim17ROCPRIM_400000_NS6detail17trampoline_kernelINS0_13select_configILj256ELj13ELNS0_17block_load_methodE3ELS4_3ELS4_3ELNS0_20block_scan_algorithmE0ELj4294967295EEENS1_25partition_config_selectorILNS1_17partition_subalgoE4EjNS0_10empty_typeEbEEZZNS1_14partition_implILS8_4ELb0ES6_15HIP_vector_typeIjLj2EENS0_17counting_iteratorIjlEEPS9_SG_NS0_5tupleIJPjSI_NS0_16reverse_iteratorISI_EEEEENSH_IJSG_SG_SG_EEES9_SI_JZNS1_25segmented_radix_sort_implINS0_14default_configELb1EPKdPdPKlPlN2at6native12_GLOBAL__N_18offset_tEEE10hipError_tPvRmT1_PNSt15iterator_traitsIS12_E10value_typeET2_T3_PNS13_IS18_E10value_typeET4_jRbjT5_S1E_jjP12ihipStream_tbEUljE_ZNSN_ISO_Lb1ESQ_SR_ST_SU_SY_EESZ_S10_S11_S12_S16_S17_S18_S1B_S1C_jS1D_jS1E_S1E_jjS1G_bEUljE0_EEESZ_S10_S11_S18_S1C_S1E_T6_T7_T9_mT8_S1G_bDpT10_ENKUlT_T0_E_clISt17integral_constantIbLb1EES1T_IbLb0EEEEDaS1P_S1Q_EUlS1P_E_NS1_11comp_targetILNS1_3genE8ELNS1_11target_archE1030ELNS1_3gpuE2ELNS1_3repE0EEENS1_30default_config_static_selectorELNS0_4arch9wavefront6targetE1EEEvS12_,comdat
	.globl	_ZN7rocprim17ROCPRIM_400000_NS6detail17trampoline_kernelINS0_13select_configILj256ELj13ELNS0_17block_load_methodE3ELS4_3ELS4_3ELNS0_20block_scan_algorithmE0ELj4294967295EEENS1_25partition_config_selectorILNS1_17partition_subalgoE4EjNS0_10empty_typeEbEEZZNS1_14partition_implILS8_4ELb0ES6_15HIP_vector_typeIjLj2EENS0_17counting_iteratorIjlEEPS9_SG_NS0_5tupleIJPjSI_NS0_16reverse_iteratorISI_EEEEENSH_IJSG_SG_SG_EEES9_SI_JZNS1_25segmented_radix_sort_implINS0_14default_configELb1EPKdPdPKlPlN2at6native12_GLOBAL__N_18offset_tEEE10hipError_tPvRmT1_PNSt15iterator_traitsIS12_E10value_typeET2_T3_PNS13_IS18_E10value_typeET4_jRbjT5_S1E_jjP12ihipStream_tbEUljE_ZNSN_ISO_Lb1ESQ_SR_ST_SU_SY_EESZ_S10_S11_S12_S16_S17_S18_S1B_S1C_jS1D_jS1E_S1E_jjS1G_bEUljE0_EEESZ_S10_S11_S18_S1C_S1E_T6_T7_T9_mT8_S1G_bDpT10_ENKUlT_T0_E_clISt17integral_constantIbLb1EES1T_IbLb0EEEEDaS1P_S1Q_EUlS1P_E_NS1_11comp_targetILNS1_3genE8ELNS1_11target_archE1030ELNS1_3gpuE2ELNS1_3repE0EEENS1_30default_config_static_selectorELNS0_4arch9wavefront6targetE1EEEvS12_ ; -- Begin function _ZN7rocprim17ROCPRIM_400000_NS6detail17trampoline_kernelINS0_13select_configILj256ELj13ELNS0_17block_load_methodE3ELS4_3ELS4_3ELNS0_20block_scan_algorithmE0ELj4294967295EEENS1_25partition_config_selectorILNS1_17partition_subalgoE4EjNS0_10empty_typeEbEEZZNS1_14partition_implILS8_4ELb0ES6_15HIP_vector_typeIjLj2EENS0_17counting_iteratorIjlEEPS9_SG_NS0_5tupleIJPjSI_NS0_16reverse_iteratorISI_EEEEENSH_IJSG_SG_SG_EEES9_SI_JZNS1_25segmented_radix_sort_implINS0_14default_configELb1EPKdPdPKlPlN2at6native12_GLOBAL__N_18offset_tEEE10hipError_tPvRmT1_PNSt15iterator_traitsIS12_E10value_typeET2_T3_PNS13_IS18_E10value_typeET4_jRbjT5_S1E_jjP12ihipStream_tbEUljE_ZNSN_ISO_Lb1ESQ_SR_ST_SU_SY_EESZ_S10_S11_S12_S16_S17_S18_S1B_S1C_jS1D_jS1E_S1E_jjS1G_bEUljE0_EEESZ_S10_S11_S18_S1C_S1E_T6_T7_T9_mT8_S1G_bDpT10_ENKUlT_T0_E_clISt17integral_constantIbLb1EES1T_IbLb0EEEEDaS1P_S1Q_EUlS1P_E_NS1_11comp_targetILNS1_3genE8ELNS1_11target_archE1030ELNS1_3gpuE2ELNS1_3repE0EEENS1_30default_config_static_selectorELNS0_4arch9wavefront6targetE1EEEvS12_
	.p2align	8
	.type	_ZN7rocprim17ROCPRIM_400000_NS6detail17trampoline_kernelINS0_13select_configILj256ELj13ELNS0_17block_load_methodE3ELS4_3ELS4_3ELNS0_20block_scan_algorithmE0ELj4294967295EEENS1_25partition_config_selectorILNS1_17partition_subalgoE4EjNS0_10empty_typeEbEEZZNS1_14partition_implILS8_4ELb0ES6_15HIP_vector_typeIjLj2EENS0_17counting_iteratorIjlEEPS9_SG_NS0_5tupleIJPjSI_NS0_16reverse_iteratorISI_EEEEENSH_IJSG_SG_SG_EEES9_SI_JZNS1_25segmented_radix_sort_implINS0_14default_configELb1EPKdPdPKlPlN2at6native12_GLOBAL__N_18offset_tEEE10hipError_tPvRmT1_PNSt15iterator_traitsIS12_E10value_typeET2_T3_PNS13_IS18_E10value_typeET4_jRbjT5_S1E_jjP12ihipStream_tbEUljE_ZNSN_ISO_Lb1ESQ_SR_ST_SU_SY_EESZ_S10_S11_S12_S16_S17_S18_S1B_S1C_jS1D_jS1E_S1E_jjS1G_bEUljE0_EEESZ_S10_S11_S18_S1C_S1E_T6_T7_T9_mT8_S1G_bDpT10_ENKUlT_T0_E_clISt17integral_constantIbLb1EES1T_IbLb0EEEEDaS1P_S1Q_EUlS1P_E_NS1_11comp_targetILNS1_3genE8ELNS1_11target_archE1030ELNS1_3gpuE2ELNS1_3repE0EEENS1_30default_config_static_selectorELNS0_4arch9wavefront6targetE1EEEvS12_,@function
_ZN7rocprim17ROCPRIM_400000_NS6detail17trampoline_kernelINS0_13select_configILj256ELj13ELNS0_17block_load_methodE3ELS4_3ELS4_3ELNS0_20block_scan_algorithmE0ELj4294967295EEENS1_25partition_config_selectorILNS1_17partition_subalgoE4EjNS0_10empty_typeEbEEZZNS1_14partition_implILS8_4ELb0ES6_15HIP_vector_typeIjLj2EENS0_17counting_iteratorIjlEEPS9_SG_NS0_5tupleIJPjSI_NS0_16reverse_iteratorISI_EEEEENSH_IJSG_SG_SG_EEES9_SI_JZNS1_25segmented_radix_sort_implINS0_14default_configELb1EPKdPdPKlPlN2at6native12_GLOBAL__N_18offset_tEEE10hipError_tPvRmT1_PNSt15iterator_traitsIS12_E10value_typeET2_T3_PNS13_IS18_E10value_typeET4_jRbjT5_S1E_jjP12ihipStream_tbEUljE_ZNSN_ISO_Lb1ESQ_SR_ST_SU_SY_EESZ_S10_S11_S12_S16_S17_S18_S1B_S1C_jS1D_jS1E_S1E_jjS1G_bEUljE0_EEESZ_S10_S11_S18_S1C_S1E_T6_T7_T9_mT8_S1G_bDpT10_ENKUlT_T0_E_clISt17integral_constantIbLb1EES1T_IbLb0EEEEDaS1P_S1Q_EUlS1P_E_NS1_11comp_targetILNS1_3genE8ELNS1_11target_archE1030ELNS1_3gpuE2ELNS1_3repE0EEENS1_30default_config_static_selectorELNS0_4arch9wavefront6targetE1EEEvS12_: ; @_ZN7rocprim17ROCPRIM_400000_NS6detail17trampoline_kernelINS0_13select_configILj256ELj13ELNS0_17block_load_methodE3ELS4_3ELS4_3ELNS0_20block_scan_algorithmE0ELj4294967295EEENS1_25partition_config_selectorILNS1_17partition_subalgoE4EjNS0_10empty_typeEbEEZZNS1_14partition_implILS8_4ELb0ES6_15HIP_vector_typeIjLj2EENS0_17counting_iteratorIjlEEPS9_SG_NS0_5tupleIJPjSI_NS0_16reverse_iteratorISI_EEEEENSH_IJSG_SG_SG_EEES9_SI_JZNS1_25segmented_radix_sort_implINS0_14default_configELb1EPKdPdPKlPlN2at6native12_GLOBAL__N_18offset_tEEE10hipError_tPvRmT1_PNSt15iterator_traitsIS12_E10value_typeET2_T3_PNS13_IS18_E10value_typeET4_jRbjT5_S1E_jjP12ihipStream_tbEUljE_ZNSN_ISO_Lb1ESQ_SR_ST_SU_SY_EESZ_S10_S11_S12_S16_S17_S18_S1B_S1C_jS1D_jS1E_S1E_jjS1G_bEUljE0_EEESZ_S10_S11_S18_S1C_S1E_T6_T7_T9_mT8_S1G_bDpT10_ENKUlT_T0_E_clISt17integral_constantIbLb1EES1T_IbLb0EEEEDaS1P_S1Q_EUlS1P_E_NS1_11comp_targetILNS1_3genE8ELNS1_11target_archE1030ELNS1_3gpuE2ELNS1_3repE0EEENS1_30default_config_static_selectorELNS0_4arch9wavefront6targetE1EEEvS12_
; %bb.0:
	.section	.rodata,"a",@progbits
	.p2align	6, 0x0
	.amdhsa_kernel _ZN7rocprim17ROCPRIM_400000_NS6detail17trampoline_kernelINS0_13select_configILj256ELj13ELNS0_17block_load_methodE3ELS4_3ELS4_3ELNS0_20block_scan_algorithmE0ELj4294967295EEENS1_25partition_config_selectorILNS1_17partition_subalgoE4EjNS0_10empty_typeEbEEZZNS1_14partition_implILS8_4ELb0ES6_15HIP_vector_typeIjLj2EENS0_17counting_iteratorIjlEEPS9_SG_NS0_5tupleIJPjSI_NS0_16reverse_iteratorISI_EEEEENSH_IJSG_SG_SG_EEES9_SI_JZNS1_25segmented_radix_sort_implINS0_14default_configELb1EPKdPdPKlPlN2at6native12_GLOBAL__N_18offset_tEEE10hipError_tPvRmT1_PNSt15iterator_traitsIS12_E10value_typeET2_T3_PNS13_IS18_E10value_typeET4_jRbjT5_S1E_jjP12ihipStream_tbEUljE_ZNSN_ISO_Lb1ESQ_SR_ST_SU_SY_EESZ_S10_S11_S12_S16_S17_S18_S1B_S1C_jS1D_jS1E_S1E_jjS1G_bEUljE0_EEESZ_S10_S11_S18_S1C_S1E_T6_T7_T9_mT8_S1G_bDpT10_ENKUlT_T0_E_clISt17integral_constantIbLb1EES1T_IbLb0EEEEDaS1P_S1Q_EUlS1P_E_NS1_11comp_targetILNS1_3genE8ELNS1_11target_archE1030ELNS1_3gpuE2ELNS1_3repE0EEENS1_30default_config_static_selectorELNS0_4arch9wavefront6targetE1EEEvS12_
		.amdhsa_group_segment_fixed_size 0
		.amdhsa_private_segment_fixed_size 0
		.amdhsa_kernarg_size 176
		.amdhsa_user_sgpr_count 6
		.amdhsa_user_sgpr_private_segment_buffer 1
		.amdhsa_user_sgpr_dispatch_ptr 0
		.amdhsa_user_sgpr_queue_ptr 0
		.amdhsa_user_sgpr_kernarg_segment_ptr 1
		.amdhsa_user_sgpr_dispatch_id 0
		.amdhsa_user_sgpr_flat_scratch_init 0
		.amdhsa_user_sgpr_private_segment_size 0
		.amdhsa_uses_dynamic_stack 0
		.amdhsa_system_sgpr_private_segment_wavefront_offset 0
		.amdhsa_system_sgpr_workgroup_id_x 1
		.amdhsa_system_sgpr_workgroup_id_y 0
		.amdhsa_system_sgpr_workgroup_id_z 0
		.amdhsa_system_sgpr_workgroup_info 0
		.amdhsa_system_vgpr_workitem_id 0
		.amdhsa_next_free_vgpr 1
		.amdhsa_next_free_sgpr 0
		.amdhsa_reserve_vcc 0
		.amdhsa_reserve_flat_scratch 0
		.amdhsa_float_round_mode_32 0
		.amdhsa_float_round_mode_16_64 0
		.amdhsa_float_denorm_mode_32 3
		.amdhsa_float_denorm_mode_16_64 3
		.amdhsa_dx10_clamp 1
		.amdhsa_ieee_mode 1
		.amdhsa_fp16_overflow 0
		.amdhsa_exception_fp_ieee_invalid_op 0
		.amdhsa_exception_fp_denorm_src 0
		.amdhsa_exception_fp_ieee_div_zero 0
		.amdhsa_exception_fp_ieee_overflow 0
		.amdhsa_exception_fp_ieee_underflow 0
		.amdhsa_exception_fp_ieee_inexact 0
		.amdhsa_exception_int_div_zero 0
	.end_amdhsa_kernel
	.section	.text._ZN7rocprim17ROCPRIM_400000_NS6detail17trampoline_kernelINS0_13select_configILj256ELj13ELNS0_17block_load_methodE3ELS4_3ELS4_3ELNS0_20block_scan_algorithmE0ELj4294967295EEENS1_25partition_config_selectorILNS1_17partition_subalgoE4EjNS0_10empty_typeEbEEZZNS1_14partition_implILS8_4ELb0ES6_15HIP_vector_typeIjLj2EENS0_17counting_iteratorIjlEEPS9_SG_NS0_5tupleIJPjSI_NS0_16reverse_iteratorISI_EEEEENSH_IJSG_SG_SG_EEES9_SI_JZNS1_25segmented_radix_sort_implINS0_14default_configELb1EPKdPdPKlPlN2at6native12_GLOBAL__N_18offset_tEEE10hipError_tPvRmT1_PNSt15iterator_traitsIS12_E10value_typeET2_T3_PNS13_IS18_E10value_typeET4_jRbjT5_S1E_jjP12ihipStream_tbEUljE_ZNSN_ISO_Lb1ESQ_SR_ST_SU_SY_EESZ_S10_S11_S12_S16_S17_S18_S1B_S1C_jS1D_jS1E_S1E_jjS1G_bEUljE0_EEESZ_S10_S11_S18_S1C_S1E_T6_T7_T9_mT8_S1G_bDpT10_ENKUlT_T0_E_clISt17integral_constantIbLb1EES1T_IbLb0EEEEDaS1P_S1Q_EUlS1P_E_NS1_11comp_targetILNS1_3genE8ELNS1_11target_archE1030ELNS1_3gpuE2ELNS1_3repE0EEENS1_30default_config_static_selectorELNS0_4arch9wavefront6targetE1EEEvS12_,"axG",@progbits,_ZN7rocprim17ROCPRIM_400000_NS6detail17trampoline_kernelINS0_13select_configILj256ELj13ELNS0_17block_load_methodE3ELS4_3ELS4_3ELNS0_20block_scan_algorithmE0ELj4294967295EEENS1_25partition_config_selectorILNS1_17partition_subalgoE4EjNS0_10empty_typeEbEEZZNS1_14partition_implILS8_4ELb0ES6_15HIP_vector_typeIjLj2EENS0_17counting_iteratorIjlEEPS9_SG_NS0_5tupleIJPjSI_NS0_16reverse_iteratorISI_EEEEENSH_IJSG_SG_SG_EEES9_SI_JZNS1_25segmented_radix_sort_implINS0_14default_configELb1EPKdPdPKlPlN2at6native12_GLOBAL__N_18offset_tEEE10hipError_tPvRmT1_PNSt15iterator_traitsIS12_E10value_typeET2_T3_PNS13_IS18_E10value_typeET4_jRbjT5_S1E_jjP12ihipStream_tbEUljE_ZNSN_ISO_Lb1ESQ_SR_ST_SU_SY_EESZ_S10_S11_S12_S16_S17_S18_S1B_S1C_jS1D_jS1E_S1E_jjS1G_bEUljE0_EEESZ_S10_S11_S18_S1C_S1E_T6_T7_T9_mT8_S1G_bDpT10_ENKUlT_T0_E_clISt17integral_constantIbLb1EES1T_IbLb0EEEEDaS1P_S1Q_EUlS1P_E_NS1_11comp_targetILNS1_3genE8ELNS1_11target_archE1030ELNS1_3gpuE2ELNS1_3repE0EEENS1_30default_config_static_selectorELNS0_4arch9wavefront6targetE1EEEvS12_,comdat
.Lfunc_end1077:
	.size	_ZN7rocprim17ROCPRIM_400000_NS6detail17trampoline_kernelINS0_13select_configILj256ELj13ELNS0_17block_load_methodE3ELS4_3ELS4_3ELNS0_20block_scan_algorithmE0ELj4294967295EEENS1_25partition_config_selectorILNS1_17partition_subalgoE4EjNS0_10empty_typeEbEEZZNS1_14partition_implILS8_4ELb0ES6_15HIP_vector_typeIjLj2EENS0_17counting_iteratorIjlEEPS9_SG_NS0_5tupleIJPjSI_NS0_16reverse_iteratorISI_EEEEENSH_IJSG_SG_SG_EEES9_SI_JZNS1_25segmented_radix_sort_implINS0_14default_configELb1EPKdPdPKlPlN2at6native12_GLOBAL__N_18offset_tEEE10hipError_tPvRmT1_PNSt15iterator_traitsIS12_E10value_typeET2_T3_PNS13_IS18_E10value_typeET4_jRbjT5_S1E_jjP12ihipStream_tbEUljE_ZNSN_ISO_Lb1ESQ_SR_ST_SU_SY_EESZ_S10_S11_S12_S16_S17_S18_S1B_S1C_jS1D_jS1E_S1E_jjS1G_bEUljE0_EEESZ_S10_S11_S18_S1C_S1E_T6_T7_T9_mT8_S1G_bDpT10_ENKUlT_T0_E_clISt17integral_constantIbLb1EES1T_IbLb0EEEEDaS1P_S1Q_EUlS1P_E_NS1_11comp_targetILNS1_3genE8ELNS1_11target_archE1030ELNS1_3gpuE2ELNS1_3repE0EEENS1_30default_config_static_selectorELNS0_4arch9wavefront6targetE1EEEvS12_, .Lfunc_end1077-_ZN7rocprim17ROCPRIM_400000_NS6detail17trampoline_kernelINS0_13select_configILj256ELj13ELNS0_17block_load_methodE3ELS4_3ELS4_3ELNS0_20block_scan_algorithmE0ELj4294967295EEENS1_25partition_config_selectorILNS1_17partition_subalgoE4EjNS0_10empty_typeEbEEZZNS1_14partition_implILS8_4ELb0ES6_15HIP_vector_typeIjLj2EENS0_17counting_iteratorIjlEEPS9_SG_NS0_5tupleIJPjSI_NS0_16reverse_iteratorISI_EEEEENSH_IJSG_SG_SG_EEES9_SI_JZNS1_25segmented_radix_sort_implINS0_14default_configELb1EPKdPdPKlPlN2at6native12_GLOBAL__N_18offset_tEEE10hipError_tPvRmT1_PNSt15iterator_traitsIS12_E10value_typeET2_T3_PNS13_IS18_E10value_typeET4_jRbjT5_S1E_jjP12ihipStream_tbEUljE_ZNSN_ISO_Lb1ESQ_SR_ST_SU_SY_EESZ_S10_S11_S12_S16_S17_S18_S1B_S1C_jS1D_jS1E_S1E_jjS1G_bEUljE0_EEESZ_S10_S11_S18_S1C_S1E_T6_T7_T9_mT8_S1G_bDpT10_ENKUlT_T0_E_clISt17integral_constantIbLb1EES1T_IbLb0EEEEDaS1P_S1Q_EUlS1P_E_NS1_11comp_targetILNS1_3genE8ELNS1_11target_archE1030ELNS1_3gpuE2ELNS1_3repE0EEENS1_30default_config_static_selectorELNS0_4arch9wavefront6targetE1EEEvS12_
                                        ; -- End function
	.set _ZN7rocprim17ROCPRIM_400000_NS6detail17trampoline_kernelINS0_13select_configILj256ELj13ELNS0_17block_load_methodE3ELS4_3ELS4_3ELNS0_20block_scan_algorithmE0ELj4294967295EEENS1_25partition_config_selectorILNS1_17partition_subalgoE4EjNS0_10empty_typeEbEEZZNS1_14partition_implILS8_4ELb0ES6_15HIP_vector_typeIjLj2EENS0_17counting_iteratorIjlEEPS9_SG_NS0_5tupleIJPjSI_NS0_16reverse_iteratorISI_EEEEENSH_IJSG_SG_SG_EEES9_SI_JZNS1_25segmented_radix_sort_implINS0_14default_configELb1EPKdPdPKlPlN2at6native12_GLOBAL__N_18offset_tEEE10hipError_tPvRmT1_PNSt15iterator_traitsIS12_E10value_typeET2_T3_PNS13_IS18_E10value_typeET4_jRbjT5_S1E_jjP12ihipStream_tbEUljE_ZNSN_ISO_Lb1ESQ_SR_ST_SU_SY_EESZ_S10_S11_S12_S16_S17_S18_S1B_S1C_jS1D_jS1E_S1E_jjS1G_bEUljE0_EEESZ_S10_S11_S18_S1C_S1E_T6_T7_T9_mT8_S1G_bDpT10_ENKUlT_T0_E_clISt17integral_constantIbLb1EES1T_IbLb0EEEEDaS1P_S1Q_EUlS1P_E_NS1_11comp_targetILNS1_3genE8ELNS1_11target_archE1030ELNS1_3gpuE2ELNS1_3repE0EEENS1_30default_config_static_selectorELNS0_4arch9wavefront6targetE1EEEvS12_.num_vgpr, 0
	.set _ZN7rocprim17ROCPRIM_400000_NS6detail17trampoline_kernelINS0_13select_configILj256ELj13ELNS0_17block_load_methodE3ELS4_3ELS4_3ELNS0_20block_scan_algorithmE0ELj4294967295EEENS1_25partition_config_selectorILNS1_17partition_subalgoE4EjNS0_10empty_typeEbEEZZNS1_14partition_implILS8_4ELb0ES6_15HIP_vector_typeIjLj2EENS0_17counting_iteratorIjlEEPS9_SG_NS0_5tupleIJPjSI_NS0_16reverse_iteratorISI_EEEEENSH_IJSG_SG_SG_EEES9_SI_JZNS1_25segmented_radix_sort_implINS0_14default_configELb1EPKdPdPKlPlN2at6native12_GLOBAL__N_18offset_tEEE10hipError_tPvRmT1_PNSt15iterator_traitsIS12_E10value_typeET2_T3_PNS13_IS18_E10value_typeET4_jRbjT5_S1E_jjP12ihipStream_tbEUljE_ZNSN_ISO_Lb1ESQ_SR_ST_SU_SY_EESZ_S10_S11_S12_S16_S17_S18_S1B_S1C_jS1D_jS1E_S1E_jjS1G_bEUljE0_EEESZ_S10_S11_S18_S1C_S1E_T6_T7_T9_mT8_S1G_bDpT10_ENKUlT_T0_E_clISt17integral_constantIbLb1EES1T_IbLb0EEEEDaS1P_S1Q_EUlS1P_E_NS1_11comp_targetILNS1_3genE8ELNS1_11target_archE1030ELNS1_3gpuE2ELNS1_3repE0EEENS1_30default_config_static_selectorELNS0_4arch9wavefront6targetE1EEEvS12_.num_agpr, 0
	.set _ZN7rocprim17ROCPRIM_400000_NS6detail17trampoline_kernelINS0_13select_configILj256ELj13ELNS0_17block_load_methodE3ELS4_3ELS4_3ELNS0_20block_scan_algorithmE0ELj4294967295EEENS1_25partition_config_selectorILNS1_17partition_subalgoE4EjNS0_10empty_typeEbEEZZNS1_14partition_implILS8_4ELb0ES6_15HIP_vector_typeIjLj2EENS0_17counting_iteratorIjlEEPS9_SG_NS0_5tupleIJPjSI_NS0_16reverse_iteratorISI_EEEEENSH_IJSG_SG_SG_EEES9_SI_JZNS1_25segmented_radix_sort_implINS0_14default_configELb1EPKdPdPKlPlN2at6native12_GLOBAL__N_18offset_tEEE10hipError_tPvRmT1_PNSt15iterator_traitsIS12_E10value_typeET2_T3_PNS13_IS18_E10value_typeET4_jRbjT5_S1E_jjP12ihipStream_tbEUljE_ZNSN_ISO_Lb1ESQ_SR_ST_SU_SY_EESZ_S10_S11_S12_S16_S17_S18_S1B_S1C_jS1D_jS1E_S1E_jjS1G_bEUljE0_EEESZ_S10_S11_S18_S1C_S1E_T6_T7_T9_mT8_S1G_bDpT10_ENKUlT_T0_E_clISt17integral_constantIbLb1EES1T_IbLb0EEEEDaS1P_S1Q_EUlS1P_E_NS1_11comp_targetILNS1_3genE8ELNS1_11target_archE1030ELNS1_3gpuE2ELNS1_3repE0EEENS1_30default_config_static_selectorELNS0_4arch9wavefront6targetE1EEEvS12_.numbered_sgpr, 0
	.set _ZN7rocprim17ROCPRIM_400000_NS6detail17trampoline_kernelINS0_13select_configILj256ELj13ELNS0_17block_load_methodE3ELS4_3ELS4_3ELNS0_20block_scan_algorithmE0ELj4294967295EEENS1_25partition_config_selectorILNS1_17partition_subalgoE4EjNS0_10empty_typeEbEEZZNS1_14partition_implILS8_4ELb0ES6_15HIP_vector_typeIjLj2EENS0_17counting_iteratorIjlEEPS9_SG_NS0_5tupleIJPjSI_NS0_16reverse_iteratorISI_EEEEENSH_IJSG_SG_SG_EEES9_SI_JZNS1_25segmented_radix_sort_implINS0_14default_configELb1EPKdPdPKlPlN2at6native12_GLOBAL__N_18offset_tEEE10hipError_tPvRmT1_PNSt15iterator_traitsIS12_E10value_typeET2_T3_PNS13_IS18_E10value_typeET4_jRbjT5_S1E_jjP12ihipStream_tbEUljE_ZNSN_ISO_Lb1ESQ_SR_ST_SU_SY_EESZ_S10_S11_S12_S16_S17_S18_S1B_S1C_jS1D_jS1E_S1E_jjS1G_bEUljE0_EEESZ_S10_S11_S18_S1C_S1E_T6_T7_T9_mT8_S1G_bDpT10_ENKUlT_T0_E_clISt17integral_constantIbLb1EES1T_IbLb0EEEEDaS1P_S1Q_EUlS1P_E_NS1_11comp_targetILNS1_3genE8ELNS1_11target_archE1030ELNS1_3gpuE2ELNS1_3repE0EEENS1_30default_config_static_selectorELNS0_4arch9wavefront6targetE1EEEvS12_.num_named_barrier, 0
	.set _ZN7rocprim17ROCPRIM_400000_NS6detail17trampoline_kernelINS0_13select_configILj256ELj13ELNS0_17block_load_methodE3ELS4_3ELS4_3ELNS0_20block_scan_algorithmE0ELj4294967295EEENS1_25partition_config_selectorILNS1_17partition_subalgoE4EjNS0_10empty_typeEbEEZZNS1_14partition_implILS8_4ELb0ES6_15HIP_vector_typeIjLj2EENS0_17counting_iteratorIjlEEPS9_SG_NS0_5tupleIJPjSI_NS0_16reverse_iteratorISI_EEEEENSH_IJSG_SG_SG_EEES9_SI_JZNS1_25segmented_radix_sort_implINS0_14default_configELb1EPKdPdPKlPlN2at6native12_GLOBAL__N_18offset_tEEE10hipError_tPvRmT1_PNSt15iterator_traitsIS12_E10value_typeET2_T3_PNS13_IS18_E10value_typeET4_jRbjT5_S1E_jjP12ihipStream_tbEUljE_ZNSN_ISO_Lb1ESQ_SR_ST_SU_SY_EESZ_S10_S11_S12_S16_S17_S18_S1B_S1C_jS1D_jS1E_S1E_jjS1G_bEUljE0_EEESZ_S10_S11_S18_S1C_S1E_T6_T7_T9_mT8_S1G_bDpT10_ENKUlT_T0_E_clISt17integral_constantIbLb1EES1T_IbLb0EEEEDaS1P_S1Q_EUlS1P_E_NS1_11comp_targetILNS1_3genE8ELNS1_11target_archE1030ELNS1_3gpuE2ELNS1_3repE0EEENS1_30default_config_static_selectorELNS0_4arch9wavefront6targetE1EEEvS12_.private_seg_size, 0
	.set _ZN7rocprim17ROCPRIM_400000_NS6detail17trampoline_kernelINS0_13select_configILj256ELj13ELNS0_17block_load_methodE3ELS4_3ELS4_3ELNS0_20block_scan_algorithmE0ELj4294967295EEENS1_25partition_config_selectorILNS1_17partition_subalgoE4EjNS0_10empty_typeEbEEZZNS1_14partition_implILS8_4ELb0ES6_15HIP_vector_typeIjLj2EENS0_17counting_iteratorIjlEEPS9_SG_NS0_5tupleIJPjSI_NS0_16reverse_iteratorISI_EEEEENSH_IJSG_SG_SG_EEES9_SI_JZNS1_25segmented_radix_sort_implINS0_14default_configELb1EPKdPdPKlPlN2at6native12_GLOBAL__N_18offset_tEEE10hipError_tPvRmT1_PNSt15iterator_traitsIS12_E10value_typeET2_T3_PNS13_IS18_E10value_typeET4_jRbjT5_S1E_jjP12ihipStream_tbEUljE_ZNSN_ISO_Lb1ESQ_SR_ST_SU_SY_EESZ_S10_S11_S12_S16_S17_S18_S1B_S1C_jS1D_jS1E_S1E_jjS1G_bEUljE0_EEESZ_S10_S11_S18_S1C_S1E_T6_T7_T9_mT8_S1G_bDpT10_ENKUlT_T0_E_clISt17integral_constantIbLb1EES1T_IbLb0EEEEDaS1P_S1Q_EUlS1P_E_NS1_11comp_targetILNS1_3genE8ELNS1_11target_archE1030ELNS1_3gpuE2ELNS1_3repE0EEENS1_30default_config_static_selectorELNS0_4arch9wavefront6targetE1EEEvS12_.uses_vcc, 0
	.set _ZN7rocprim17ROCPRIM_400000_NS6detail17trampoline_kernelINS0_13select_configILj256ELj13ELNS0_17block_load_methodE3ELS4_3ELS4_3ELNS0_20block_scan_algorithmE0ELj4294967295EEENS1_25partition_config_selectorILNS1_17partition_subalgoE4EjNS0_10empty_typeEbEEZZNS1_14partition_implILS8_4ELb0ES6_15HIP_vector_typeIjLj2EENS0_17counting_iteratorIjlEEPS9_SG_NS0_5tupleIJPjSI_NS0_16reverse_iteratorISI_EEEEENSH_IJSG_SG_SG_EEES9_SI_JZNS1_25segmented_radix_sort_implINS0_14default_configELb1EPKdPdPKlPlN2at6native12_GLOBAL__N_18offset_tEEE10hipError_tPvRmT1_PNSt15iterator_traitsIS12_E10value_typeET2_T3_PNS13_IS18_E10value_typeET4_jRbjT5_S1E_jjP12ihipStream_tbEUljE_ZNSN_ISO_Lb1ESQ_SR_ST_SU_SY_EESZ_S10_S11_S12_S16_S17_S18_S1B_S1C_jS1D_jS1E_S1E_jjS1G_bEUljE0_EEESZ_S10_S11_S18_S1C_S1E_T6_T7_T9_mT8_S1G_bDpT10_ENKUlT_T0_E_clISt17integral_constantIbLb1EES1T_IbLb0EEEEDaS1P_S1Q_EUlS1P_E_NS1_11comp_targetILNS1_3genE8ELNS1_11target_archE1030ELNS1_3gpuE2ELNS1_3repE0EEENS1_30default_config_static_selectorELNS0_4arch9wavefront6targetE1EEEvS12_.uses_flat_scratch, 0
	.set _ZN7rocprim17ROCPRIM_400000_NS6detail17trampoline_kernelINS0_13select_configILj256ELj13ELNS0_17block_load_methodE3ELS4_3ELS4_3ELNS0_20block_scan_algorithmE0ELj4294967295EEENS1_25partition_config_selectorILNS1_17partition_subalgoE4EjNS0_10empty_typeEbEEZZNS1_14partition_implILS8_4ELb0ES6_15HIP_vector_typeIjLj2EENS0_17counting_iteratorIjlEEPS9_SG_NS0_5tupleIJPjSI_NS0_16reverse_iteratorISI_EEEEENSH_IJSG_SG_SG_EEES9_SI_JZNS1_25segmented_radix_sort_implINS0_14default_configELb1EPKdPdPKlPlN2at6native12_GLOBAL__N_18offset_tEEE10hipError_tPvRmT1_PNSt15iterator_traitsIS12_E10value_typeET2_T3_PNS13_IS18_E10value_typeET4_jRbjT5_S1E_jjP12ihipStream_tbEUljE_ZNSN_ISO_Lb1ESQ_SR_ST_SU_SY_EESZ_S10_S11_S12_S16_S17_S18_S1B_S1C_jS1D_jS1E_S1E_jjS1G_bEUljE0_EEESZ_S10_S11_S18_S1C_S1E_T6_T7_T9_mT8_S1G_bDpT10_ENKUlT_T0_E_clISt17integral_constantIbLb1EES1T_IbLb0EEEEDaS1P_S1Q_EUlS1P_E_NS1_11comp_targetILNS1_3genE8ELNS1_11target_archE1030ELNS1_3gpuE2ELNS1_3repE0EEENS1_30default_config_static_selectorELNS0_4arch9wavefront6targetE1EEEvS12_.has_dyn_sized_stack, 0
	.set _ZN7rocprim17ROCPRIM_400000_NS6detail17trampoline_kernelINS0_13select_configILj256ELj13ELNS0_17block_load_methodE3ELS4_3ELS4_3ELNS0_20block_scan_algorithmE0ELj4294967295EEENS1_25partition_config_selectorILNS1_17partition_subalgoE4EjNS0_10empty_typeEbEEZZNS1_14partition_implILS8_4ELb0ES6_15HIP_vector_typeIjLj2EENS0_17counting_iteratorIjlEEPS9_SG_NS0_5tupleIJPjSI_NS0_16reverse_iteratorISI_EEEEENSH_IJSG_SG_SG_EEES9_SI_JZNS1_25segmented_radix_sort_implINS0_14default_configELb1EPKdPdPKlPlN2at6native12_GLOBAL__N_18offset_tEEE10hipError_tPvRmT1_PNSt15iterator_traitsIS12_E10value_typeET2_T3_PNS13_IS18_E10value_typeET4_jRbjT5_S1E_jjP12ihipStream_tbEUljE_ZNSN_ISO_Lb1ESQ_SR_ST_SU_SY_EESZ_S10_S11_S12_S16_S17_S18_S1B_S1C_jS1D_jS1E_S1E_jjS1G_bEUljE0_EEESZ_S10_S11_S18_S1C_S1E_T6_T7_T9_mT8_S1G_bDpT10_ENKUlT_T0_E_clISt17integral_constantIbLb1EES1T_IbLb0EEEEDaS1P_S1Q_EUlS1P_E_NS1_11comp_targetILNS1_3genE8ELNS1_11target_archE1030ELNS1_3gpuE2ELNS1_3repE0EEENS1_30default_config_static_selectorELNS0_4arch9wavefront6targetE1EEEvS12_.has_recursion, 0
	.set _ZN7rocprim17ROCPRIM_400000_NS6detail17trampoline_kernelINS0_13select_configILj256ELj13ELNS0_17block_load_methodE3ELS4_3ELS4_3ELNS0_20block_scan_algorithmE0ELj4294967295EEENS1_25partition_config_selectorILNS1_17partition_subalgoE4EjNS0_10empty_typeEbEEZZNS1_14partition_implILS8_4ELb0ES6_15HIP_vector_typeIjLj2EENS0_17counting_iteratorIjlEEPS9_SG_NS0_5tupleIJPjSI_NS0_16reverse_iteratorISI_EEEEENSH_IJSG_SG_SG_EEES9_SI_JZNS1_25segmented_radix_sort_implINS0_14default_configELb1EPKdPdPKlPlN2at6native12_GLOBAL__N_18offset_tEEE10hipError_tPvRmT1_PNSt15iterator_traitsIS12_E10value_typeET2_T3_PNS13_IS18_E10value_typeET4_jRbjT5_S1E_jjP12ihipStream_tbEUljE_ZNSN_ISO_Lb1ESQ_SR_ST_SU_SY_EESZ_S10_S11_S12_S16_S17_S18_S1B_S1C_jS1D_jS1E_S1E_jjS1G_bEUljE0_EEESZ_S10_S11_S18_S1C_S1E_T6_T7_T9_mT8_S1G_bDpT10_ENKUlT_T0_E_clISt17integral_constantIbLb1EES1T_IbLb0EEEEDaS1P_S1Q_EUlS1P_E_NS1_11comp_targetILNS1_3genE8ELNS1_11target_archE1030ELNS1_3gpuE2ELNS1_3repE0EEENS1_30default_config_static_selectorELNS0_4arch9wavefront6targetE1EEEvS12_.has_indirect_call, 0
	.section	.AMDGPU.csdata,"",@progbits
; Kernel info:
; codeLenInByte = 0
; TotalNumSgprs: 4
; NumVgprs: 0
; ScratchSize: 0
; MemoryBound: 0
; FloatMode: 240
; IeeeMode: 1
; LDSByteSize: 0 bytes/workgroup (compile time only)
; SGPRBlocks: 0
; VGPRBlocks: 0
; NumSGPRsForWavesPerEU: 4
; NumVGPRsForWavesPerEU: 1
; Occupancy: 10
; WaveLimiterHint : 0
; COMPUTE_PGM_RSRC2:SCRATCH_EN: 0
; COMPUTE_PGM_RSRC2:USER_SGPR: 6
; COMPUTE_PGM_RSRC2:TRAP_HANDLER: 0
; COMPUTE_PGM_RSRC2:TGID_X_EN: 1
; COMPUTE_PGM_RSRC2:TGID_Y_EN: 0
; COMPUTE_PGM_RSRC2:TGID_Z_EN: 0
; COMPUTE_PGM_RSRC2:TIDIG_COMP_CNT: 0
	.section	.text._ZN7rocprim17ROCPRIM_400000_NS6detail17trampoline_kernelINS0_13select_configILj256ELj13ELNS0_17block_load_methodE3ELS4_3ELS4_3ELNS0_20block_scan_algorithmE0ELj4294967295EEENS1_25partition_config_selectorILNS1_17partition_subalgoE4EjNS0_10empty_typeEbEEZZNS1_14partition_implILS8_4ELb0ES6_15HIP_vector_typeIjLj2EENS0_17counting_iteratorIjlEEPS9_SG_NS0_5tupleIJPjSI_NS0_16reverse_iteratorISI_EEEEENSH_IJSG_SG_SG_EEES9_SI_JZNS1_25segmented_radix_sort_implINS0_14default_configELb1EPKdPdPKlPlN2at6native12_GLOBAL__N_18offset_tEEE10hipError_tPvRmT1_PNSt15iterator_traitsIS12_E10value_typeET2_T3_PNS13_IS18_E10value_typeET4_jRbjT5_S1E_jjP12ihipStream_tbEUljE_ZNSN_ISO_Lb1ESQ_SR_ST_SU_SY_EESZ_S10_S11_S12_S16_S17_S18_S1B_S1C_jS1D_jS1E_S1E_jjS1G_bEUljE0_EEESZ_S10_S11_S18_S1C_S1E_T6_T7_T9_mT8_S1G_bDpT10_ENKUlT_T0_E_clISt17integral_constantIbLb0EES1T_IbLb1EEEEDaS1P_S1Q_EUlS1P_E_NS1_11comp_targetILNS1_3genE0ELNS1_11target_archE4294967295ELNS1_3gpuE0ELNS1_3repE0EEENS1_30default_config_static_selectorELNS0_4arch9wavefront6targetE1EEEvS12_,"axG",@progbits,_ZN7rocprim17ROCPRIM_400000_NS6detail17trampoline_kernelINS0_13select_configILj256ELj13ELNS0_17block_load_methodE3ELS4_3ELS4_3ELNS0_20block_scan_algorithmE0ELj4294967295EEENS1_25partition_config_selectorILNS1_17partition_subalgoE4EjNS0_10empty_typeEbEEZZNS1_14partition_implILS8_4ELb0ES6_15HIP_vector_typeIjLj2EENS0_17counting_iteratorIjlEEPS9_SG_NS0_5tupleIJPjSI_NS0_16reverse_iteratorISI_EEEEENSH_IJSG_SG_SG_EEES9_SI_JZNS1_25segmented_radix_sort_implINS0_14default_configELb1EPKdPdPKlPlN2at6native12_GLOBAL__N_18offset_tEEE10hipError_tPvRmT1_PNSt15iterator_traitsIS12_E10value_typeET2_T3_PNS13_IS18_E10value_typeET4_jRbjT5_S1E_jjP12ihipStream_tbEUljE_ZNSN_ISO_Lb1ESQ_SR_ST_SU_SY_EESZ_S10_S11_S12_S16_S17_S18_S1B_S1C_jS1D_jS1E_S1E_jjS1G_bEUljE0_EEESZ_S10_S11_S18_S1C_S1E_T6_T7_T9_mT8_S1G_bDpT10_ENKUlT_T0_E_clISt17integral_constantIbLb0EES1T_IbLb1EEEEDaS1P_S1Q_EUlS1P_E_NS1_11comp_targetILNS1_3genE0ELNS1_11target_archE4294967295ELNS1_3gpuE0ELNS1_3repE0EEENS1_30default_config_static_selectorELNS0_4arch9wavefront6targetE1EEEvS12_,comdat
	.globl	_ZN7rocprim17ROCPRIM_400000_NS6detail17trampoline_kernelINS0_13select_configILj256ELj13ELNS0_17block_load_methodE3ELS4_3ELS4_3ELNS0_20block_scan_algorithmE0ELj4294967295EEENS1_25partition_config_selectorILNS1_17partition_subalgoE4EjNS0_10empty_typeEbEEZZNS1_14partition_implILS8_4ELb0ES6_15HIP_vector_typeIjLj2EENS0_17counting_iteratorIjlEEPS9_SG_NS0_5tupleIJPjSI_NS0_16reverse_iteratorISI_EEEEENSH_IJSG_SG_SG_EEES9_SI_JZNS1_25segmented_radix_sort_implINS0_14default_configELb1EPKdPdPKlPlN2at6native12_GLOBAL__N_18offset_tEEE10hipError_tPvRmT1_PNSt15iterator_traitsIS12_E10value_typeET2_T3_PNS13_IS18_E10value_typeET4_jRbjT5_S1E_jjP12ihipStream_tbEUljE_ZNSN_ISO_Lb1ESQ_SR_ST_SU_SY_EESZ_S10_S11_S12_S16_S17_S18_S1B_S1C_jS1D_jS1E_S1E_jjS1G_bEUljE0_EEESZ_S10_S11_S18_S1C_S1E_T6_T7_T9_mT8_S1G_bDpT10_ENKUlT_T0_E_clISt17integral_constantIbLb0EES1T_IbLb1EEEEDaS1P_S1Q_EUlS1P_E_NS1_11comp_targetILNS1_3genE0ELNS1_11target_archE4294967295ELNS1_3gpuE0ELNS1_3repE0EEENS1_30default_config_static_selectorELNS0_4arch9wavefront6targetE1EEEvS12_ ; -- Begin function _ZN7rocprim17ROCPRIM_400000_NS6detail17trampoline_kernelINS0_13select_configILj256ELj13ELNS0_17block_load_methodE3ELS4_3ELS4_3ELNS0_20block_scan_algorithmE0ELj4294967295EEENS1_25partition_config_selectorILNS1_17partition_subalgoE4EjNS0_10empty_typeEbEEZZNS1_14partition_implILS8_4ELb0ES6_15HIP_vector_typeIjLj2EENS0_17counting_iteratorIjlEEPS9_SG_NS0_5tupleIJPjSI_NS0_16reverse_iteratorISI_EEEEENSH_IJSG_SG_SG_EEES9_SI_JZNS1_25segmented_radix_sort_implINS0_14default_configELb1EPKdPdPKlPlN2at6native12_GLOBAL__N_18offset_tEEE10hipError_tPvRmT1_PNSt15iterator_traitsIS12_E10value_typeET2_T3_PNS13_IS18_E10value_typeET4_jRbjT5_S1E_jjP12ihipStream_tbEUljE_ZNSN_ISO_Lb1ESQ_SR_ST_SU_SY_EESZ_S10_S11_S12_S16_S17_S18_S1B_S1C_jS1D_jS1E_S1E_jjS1G_bEUljE0_EEESZ_S10_S11_S18_S1C_S1E_T6_T7_T9_mT8_S1G_bDpT10_ENKUlT_T0_E_clISt17integral_constantIbLb0EES1T_IbLb1EEEEDaS1P_S1Q_EUlS1P_E_NS1_11comp_targetILNS1_3genE0ELNS1_11target_archE4294967295ELNS1_3gpuE0ELNS1_3repE0EEENS1_30default_config_static_selectorELNS0_4arch9wavefront6targetE1EEEvS12_
	.p2align	8
	.type	_ZN7rocprim17ROCPRIM_400000_NS6detail17trampoline_kernelINS0_13select_configILj256ELj13ELNS0_17block_load_methodE3ELS4_3ELS4_3ELNS0_20block_scan_algorithmE0ELj4294967295EEENS1_25partition_config_selectorILNS1_17partition_subalgoE4EjNS0_10empty_typeEbEEZZNS1_14partition_implILS8_4ELb0ES6_15HIP_vector_typeIjLj2EENS0_17counting_iteratorIjlEEPS9_SG_NS0_5tupleIJPjSI_NS0_16reverse_iteratorISI_EEEEENSH_IJSG_SG_SG_EEES9_SI_JZNS1_25segmented_radix_sort_implINS0_14default_configELb1EPKdPdPKlPlN2at6native12_GLOBAL__N_18offset_tEEE10hipError_tPvRmT1_PNSt15iterator_traitsIS12_E10value_typeET2_T3_PNS13_IS18_E10value_typeET4_jRbjT5_S1E_jjP12ihipStream_tbEUljE_ZNSN_ISO_Lb1ESQ_SR_ST_SU_SY_EESZ_S10_S11_S12_S16_S17_S18_S1B_S1C_jS1D_jS1E_S1E_jjS1G_bEUljE0_EEESZ_S10_S11_S18_S1C_S1E_T6_T7_T9_mT8_S1G_bDpT10_ENKUlT_T0_E_clISt17integral_constantIbLb0EES1T_IbLb1EEEEDaS1P_S1Q_EUlS1P_E_NS1_11comp_targetILNS1_3genE0ELNS1_11target_archE4294967295ELNS1_3gpuE0ELNS1_3repE0EEENS1_30default_config_static_selectorELNS0_4arch9wavefront6targetE1EEEvS12_,@function
_ZN7rocprim17ROCPRIM_400000_NS6detail17trampoline_kernelINS0_13select_configILj256ELj13ELNS0_17block_load_methodE3ELS4_3ELS4_3ELNS0_20block_scan_algorithmE0ELj4294967295EEENS1_25partition_config_selectorILNS1_17partition_subalgoE4EjNS0_10empty_typeEbEEZZNS1_14partition_implILS8_4ELb0ES6_15HIP_vector_typeIjLj2EENS0_17counting_iteratorIjlEEPS9_SG_NS0_5tupleIJPjSI_NS0_16reverse_iteratorISI_EEEEENSH_IJSG_SG_SG_EEES9_SI_JZNS1_25segmented_radix_sort_implINS0_14default_configELb1EPKdPdPKlPlN2at6native12_GLOBAL__N_18offset_tEEE10hipError_tPvRmT1_PNSt15iterator_traitsIS12_E10value_typeET2_T3_PNS13_IS18_E10value_typeET4_jRbjT5_S1E_jjP12ihipStream_tbEUljE_ZNSN_ISO_Lb1ESQ_SR_ST_SU_SY_EESZ_S10_S11_S12_S16_S17_S18_S1B_S1C_jS1D_jS1E_S1E_jjS1G_bEUljE0_EEESZ_S10_S11_S18_S1C_S1E_T6_T7_T9_mT8_S1G_bDpT10_ENKUlT_T0_E_clISt17integral_constantIbLb0EES1T_IbLb1EEEEDaS1P_S1Q_EUlS1P_E_NS1_11comp_targetILNS1_3genE0ELNS1_11target_archE4294967295ELNS1_3gpuE0ELNS1_3repE0EEENS1_30default_config_static_selectorELNS0_4arch9wavefront6targetE1EEEvS12_: ; @_ZN7rocprim17ROCPRIM_400000_NS6detail17trampoline_kernelINS0_13select_configILj256ELj13ELNS0_17block_load_methodE3ELS4_3ELS4_3ELNS0_20block_scan_algorithmE0ELj4294967295EEENS1_25partition_config_selectorILNS1_17partition_subalgoE4EjNS0_10empty_typeEbEEZZNS1_14partition_implILS8_4ELb0ES6_15HIP_vector_typeIjLj2EENS0_17counting_iteratorIjlEEPS9_SG_NS0_5tupleIJPjSI_NS0_16reverse_iteratorISI_EEEEENSH_IJSG_SG_SG_EEES9_SI_JZNS1_25segmented_radix_sort_implINS0_14default_configELb1EPKdPdPKlPlN2at6native12_GLOBAL__N_18offset_tEEE10hipError_tPvRmT1_PNSt15iterator_traitsIS12_E10value_typeET2_T3_PNS13_IS18_E10value_typeET4_jRbjT5_S1E_jjP12ihipStream_tbEUljE_ZNSN_ISO_Lb1ESQ_SR_ST_SU_SY_EESZ_S10_S11_S12_S16_S17_S18_S1B_S1C_jS1D_jS1E_S1E_jjS1G_bEUljE0_EEESZ_S10_S11_S18_S1C_S1E_T6_T7_T9_mT8_S1G_bDpT10_ENKUlT_T0_E_clISt17integral_constantIbLb0EES1T_IbLb1EEEEDaS1P_S1Q_EUlS1P_E_NS1_11comp_targetILNS1_3genE0ELNS1_11target_archE4294967295ELNS1_3gpuE0ELNS1_3repE0EEENS1_30default_config_static_selectorELNS0_4arch9wavefront6targetE1EEEvS12_
; %bb.0:
	.section	.rodata,"a",@progbits
	.p2align	6, 0x0
	.amdhsa_kernel _ZN7rocprim17ROCPRIM_400000_NS6detail17trampoline_kernelINS0_13select_configILj256ELj13ELNS0_17block_load_methodE3ELS4_3ELS4_3ELNS0_20block_scan_algorithmE0ELj4294967295EEENS1_25partition_config_selectorILNS1_17partition_subalgoE4EjNS0_10empty_typeEbEEZZNS1_14partition_implILS8_4ELb0ES6_15HIP_vector_typeIjLj2EENS0_17counting_iteratorIjlEEPS9_SG_NS0_5tupleIJPjSI_NS0_16reverse_iteratorISI_EEEEENSH_IJSG_SG_SG_EEES9_SI_JZNS1_25segmented_radix_sort_implINS0_14default_configELb1EPKdPdPKlPlN2at6native12_GLOBAL__N_18offset_tEEE10hipError_tPvRmT1_PNSt15iterator_traitsIS12_E10value_typeET2_T3_PNS13_IS18_E10value_typeET4_jRbjT5_S1E_jjP12ihipStream_tbEUljE_ZNSN_ISO_Lb1ESQ_SR_ST_SU_SY_EESZ_S10_S11_S12_S16_S17_S18_S1B_S1C_jS1D_jS1E_S1E_jjS1G_bEUljE0_EEESZ_S10_S11_S18_S1C_S1E_T6_T7_T9_mT8_S1G_bDpT10_ENKUlT_T0_E_clISt17integral_constantIbLb0EES1T_IbLb1EEEEDaS1P_S1Q_EUlS1P_E_NS1_11comp_targetILNS1_3genE0ELNS1_11target_archE4294967295ELNS1_3gpuE0ELNS1_3repE0EEENS1_30default_config_static_selectorELNS0_4arch9wavefront6targetE1EEEvS12_
		.amdhsa_group_segment_fixed_size 0
		.amdhsa_private_segment_fixed_size 0
		.amdhsa_kernarg_size 184
		.amdhsa_user_sgpr_count 6
		.amdhsa_user_sgpr_private_segment_buffer 1
		.amdhsa_user_sgpr_dispatch_ptr 0
		.amdhsa_user_sgpr_queue_ptr 0
		.amdhsa_user_sgpr_kernarg_segment_ptr 1
		.amdhsa_user_sgpr_dispatch_id 0
		.amdhsa_user_sgpr_flat_scratch_init 0
		.amdhsa_user_sgpr_private_segment_size 0
		.amdhsa_uses_dynamic_stack 0
		.amdhsa_system_sgpr_private_segment_wavefront_offset 0
		.amdhsa_system_sgpr_workgroup_id_x 1
		.amdhsa_system_sgpr_workgroup_id_y 0
		.amdhsa_system_sgpr_workgroup_id_z 0
		.amdhsa_system_sgpr_workgroup_info 0
		.amdhsa_system_vgpr_workitem_id 0
		.amdhsa_next_free_vgpr 1
		.amdhsa_next_free_sgpr 0
		.amdhsa_reserve_vcc 0
		.amdhsa_reserve_flat_scratch 0
		.amdhsa_float_round_mode_32 0
		.amdhsa_float_round_mode_16_64 0
		.amdhsa_float_denorm_mode_32 3
		.amdhsa_float_denorm_mode_16_64 3
		.amdhsa_dx10_clamp 1
		.amdhsa_ieee_mode 1
		.amdhsa_fp16_overflow 0
		.amdhsa_exception_fp_ieee_invalid_op 0
		.amdhsa_exception_fp_denorm_src 0
		.amdhsa_exception_fp_ieee_div_zero 0
		.amdhsa_exception_fp_ieee_overflow 0
		.amdhsa_exception_fp_ieee_underflow 0
		.amdhsa_exception_fp_ieee_inexact 0
		.amdhsa_exception_int_div_zero 0
	.end_amdhsa_kernel
	.section	.text._ZN7rocprim17ROCPRIM_400000_NS6detail17trampoline_kernelINS0_13select_configILj256ELj13ELNS0_17block_load_methodE3ELS4_3ELS4_3ELNS0_20block_scan_algorithmE0ELj4294967295EEENS1_25partition_config_selectorILNS1_17partition_subalgoE4EjNS0_10empty_typeEbEEZZNS1_14partition_implILS8_4ELb0ES6_15HIP_vector_typeIjLj2EENS0_17counting_iteratorIjlEEPS9_SG_NS0_5tupleIJPjSI_NS0_16reverse_iteratorISI_EEEEENSH_IJSG_SG_SG_EEES9_SI_JZNS1_25segmented_radix_sort_implINS0_14default_configELb1EPKdPdPKlPlN2at6native12_GLOBAL__N_18offset_tEEE10hipError_tPvRmT1_PNSt15iterator_traitsIS12_E10value_typeET2_T3_PNS13_IS18_E10value_typeET4_jRbjT5_S1E_jjP12ihipStream_tbEUljE_ZNSN_ISO_Lb1ESQ_SR_ST_SU_SY_EESZ_S10_S11_S12_S16_S17_S18_S1B_S1C_jS1D_jS1E_S1E_jjS1G_bEUljE0_EEESZ_S10_S11_S18_S1C_S1E_T6_T7_T9_mT8_S1G_bDpT10_ENKUlT_T0_E_clISt17integral_constantIbLb0EES1T_IbLb1EEEEDaS1P_S1Q_EUlS1P_E_NS1_11comp_targetILNS1_3genE0ELNS1_11target_archE4294967295ELNS1_3gpuE0ELNS1_3repE0EEENS1_30default_config_static_selectorELNS0_4arch9wavefront6targetE1EEEvS12_,"axG",@progbits,_ZN7rocprim17ROCPRIM_400000_NS6detail17trampoline_kernelINS0_13select_configILj256ELj13ELNS0_17block_load_methodE3ELS4_3ELS4_3ELNS0_20block_scan_algorithmE0ELj4294967295EEENS1_25partition_config_selectorILNS1_17partition_subalgoE4EjNS0_10empty_typeEbEEZZNS1_14partition_implILS8_4ELb0ES6_15HIP_vector_typeIjLj2EENS0_17counting_iteratorIjlEEPS9_SG_NS0_5tupleIJPjSI_NS0_16reverse_iteratorISI_EEEEENSH_IJSG_SG_SG_EEES9_SI_JZNS1_25segmented_radix_sort_implINS0_14default_configELb1EPKdPdPKlPlN2at6native12_GLOBAL__N_18offset_tEEE10hipError_tPvRmT1_PNSt15iterator_traitsIS12_E10value_typeET2_T3_PNS13_IS18_E10value_typeET4_jRbjT5_S1E_jjP12ihipStream_tbEUljE_ZNSN_ISO_Lb1ESQ_SR_ST_SU_SY_EESZ_S10_S11_S12_S16_S17_S18_S1B_S1C_jS1D_jS1E_S1E_jjS1G_bEUljE0_EEESZ_S10_S11_S18_S1C_S1E_T6_T7_T9_mT8_S1G_bDpT10_ENKUlT_T0_E_clISt17integral_constantIbLb0EES1T_IbLb1EEEEDaS1P_S1Q_EUlS1P_E_NS1_11comp_targetILNS1_3genE0ELNS1_11target_archE4294967295ELNS1_3gpuE0ELNS1_3repE0EEENS1_30default_config_static_selectorELNS0_4arch9wavefront6targetE1EEEvS12_,comdat
.Lfunc_end1078:
	.size	_ZN7rocprim17ROCPRIM_400000_NS6detail17trampoline_kernelINS0_13select_configILj256ELj13ELNS0_17block_load_methodE3ELS4_3ELS4_3ELNS0_20block_scan_algorithmE0ELj4294967295EEENS1_25partition_config_selectorILNS1_17partition_subalgoE4EjNS0_10empty_typeEbEEZZNS1_14partition_implILS8_4ELb0ES6_15HIP_vector_typeIjLj2EENS0_17counting_iteratorIjlEEPS9_SG_NS0_5tupleIJPjSI_NS0_16reverse_iteratorISI_EEEEENSH_IJSG_SG_SG_EEES9_SI_JZNS1_25segmented_radix_sort_implINS0_14default_configELb1EPKdPdPKlPlN2at6native12_GLOBAL__N_18offset_tEEE10hipError_tPvRmT1_PNSt15iterator_traitsIS12_E10value_typeET2_T3_PNS13_IS18_E10value_typeET4_jRbjT5_S1E_jjP12ihipStream_tbEUljE_ZNSN_ISO_Lb1ESQ_SR_ST_SU_SY_EESZ_S10_S11_S12_S16_S17_S18_S1B_S1C_jS1D_jS1E_S1E_jjS1G_bEUljE0_EEESZ_S10_S11_S18_S1C_S1E_T6_T7_T9_mT8_S1G_bDpT10_ENKUlT_T0_E_clISt17integral_constantIbLb0EES1T_IbLb1EEEEDaS1P_S1Q_EUlS1P_E_NS1_11comp_targetILNS1_3genE0ELNS1_11target_archE4294967295ELNS1_3gpuE0ELNS1_3repE0EEENS1_30default_config_static_selectorELNS0_4arch9wavefront6targetE1EEEvS12_, .Lfunc_end1078-_ZN7rocprim17ROCPRIM_400000_NS6detail17trampoline_kernelINS0_13select_configILj256ELj13ELNS0_17block_load_methodE3ELS4_3ELS4_3ELNS0_20block_scan_algorithmE0ELj4294967295EEENS1_25partition_config_selectorILNS1_17partition_subalgoE4EjNS0_10empty_typeEbEEZZNS1_14partition_implILS8_4ELb0ES6_15HIP_vector_typeIjLj2EENS0_17counting_iteratorIjlEEPS9_SG_NS0_5tupleIJPjSI_NS0_16reverse_iteratorISI_EEEEENSH_IJSG_SG_SG_EEES9_SI_JZNS1_25segmented_radix_sort_implINS0_14default_configELb1EPKdPdPKlPlN2at6native12_GLOBAL__N_18offset_tEEE10hipError_tPvRmT1_PNSt15iterator_traitsIS12_E10value_typeET2_T3_PNS13_IS18_E10value_typeET4_jRbjT5_S1E_jjP12ihipStream_tbEUljE_ZNSN_ISO_Lb1ESQ_SR_ST_SU_SY_EESZ_S10_S11_S12_S16_S17_S18_S1B_S1C_jS1D_jS1E_S1E_jjS1G_bEUljE0_EEESZ_S10_S11_S18_S1C_S1E_T6_T7_T9_mT8_S1G_bDpT10_ENKUlT_T0_E_clISt17integral_constantIbLb0EES1T_IbLb1EEEEDaS1P_S1Q_EUlS1P_E_NS1_11comp_targetILNS1_3genE0ELNS1_11target_archE4294967295ELNS1_3gpuE0ELNS1_3repE0EEENS1_30default_config_static_selectorELNS0_4arch9wavefront6targetE1EEEvS12_
                                        ; -- End function
	.set _ZN7rocprim17ROCPRIM_400000_NS6detail17trampoline_kernelINS0_13select_configILj256ELj13ELNS0_17block_load_methodE3ELS4_3ELS4_3ELNS0_20block_scan_algorithmE0ELj4294967295EEENS1_25partition_config_selectorILNS1_17partition_subalgoE4EjNS0_10empty_typeEbEEZZNS1_14partition_implILS8_4ELb0ES6_15HIP_vector_typeIjLj2EENS0_17counting_iteratorIjlEEPS9_SG_NS0_5tupleIJPjSI_NS0_16reverse_iteratorISI_EEEEENSH_IJSG_SG_SG_EEES9_SI_JZNS1_25segmented_radix_sort_implINS0_14default_configELb1EPKdPdPKlPlN2at6native12_GLOBAL__N_18offset_tEEE10hipError_tPvRmT1_PNSt15iterator_traitsIS12_E10value_typeET2_T3_PNS13_IS18_E10value_typeET4_jRbjT5_S1E_jjP12ihipStream_tbEUljE_ZNSN_ISO_Lb1ESQ_SR_ST_SU_SY_EESZ_S10_S11_S12_S16_S17_S18_S1B_S1C_jS1D_jS1E_S1E_jjS1G_bEUljE0_EEESZ_S10_S11_S18_S1C_S1E_T6_T7_T9_mT8_S1G_bDpT10_ENKUlT_T0_E_clISt17integral_constantIbLb0EES1T_IbLb1EEEEDaS1P_S1Q_EUlS1P_E_NS1_11comp_targetILNS1_3genE0ELNS1_11target_archE4294967295ELNS1_3gpuE0ELNS1_3repE0EEENS1_30default_config_static_selectorELNS0_4arch9wavefront6targetE1EEEvS12_.num_vgpr, 0
	.set _ZN7rocprim17ROCPRIM_400000_NS6detail17trampoline_kernelINS0_13select_configILj256ELj13ELNS0_17block_load_methodE3ELS4_3ELS4_3ELNS0_20block_scan_algorithmE0ELj4294967295EEENS1_25partition_config_selectorILNS1_17partition_subalgoE4EjNS0_10empty_typeEbEEZZNS1_14partition_implILS8_4ELb0ES6_15HIP_vector_typeIjLj2EENS0_17counting_iteratorIjlEEPS9_SG_NS0_5tupleIJPjSI_NS0_16reverse_iteratorISI_EEEEENSH_IJSG_SG_SG_EEES9_SI_JZNS1_25segmented_radix_sort_implINS0_14default_configELb1EPKdPdPKlPlN2at6native12_GLOBAL__N_18offset_tEEE10hipError_tPvRmT1_PNSt15iterator_traitsIS12_E10value_typeET2_T3_PNS13_IS18_E10value_typeET4_jRbjT5_S1E_jjP12ihipStream_tbEUljE_ZNSN_ISO_Lb1ESQ_SR_ST_SU_SY_EESZ_S10_S11_S12_S16_S17_S18_S1B_S1C_jS1D_jS1E_S1E_jjS1G_bEUljE0_EEESZ_S10_S11_S18_S1C_S1E_T6_T7_T9_mT8_S1G_bDpT10_ENKUlT_T0_E_clISt17integral_constantIbLb0EES1T_IbLb1EEEEDaS1P_S1Q_EUlS1P_E_NS1_11comp_targetILNS1_3genE0ELNS1_11target_archE4294967295ELNS1_3gpuE0ELNS1_3repE0EEENS1_30default_config_static_selectorELNS0_4arch9wavefront6targetE1EEEvS12_.num_agpr, 0
	.set _ZN7rocprim17ROCPRIM_400000_NS6detail17trampoline_kernelINS0_13select_configILj256ELj13ELNS0_17block_load_methodE3ELS4_3ELS4_3ELNS0_20block_scan_algorithmE0ELj4294967295EEENS1_25partition_config_selectorILNS1_17partition_subalgoE4EjNS0_10empty_typeEbEEZZNS1_14partition_implILS8_4ELb0ES6_15HIP_vector_typeIjLj2EENS0_17counting_iteratorIjlEEPS9_SG_NS0_5tupleIJPjSI_NS0_16reverse_iteratorISI_EEEEENSH_IJSG_SG_SG_EEES9_SI_JZNS1_25segmented_radix_sort_implINS0_14default_configELb1EPKdPdPKlPlN2at6native12_GLOBAL__N_18offset_tEEE10hipError_tPvRmT1_PNSt15iterator_traitsIS12_E10value_typeET2_T3_PNS13_IS18_E10value_typeET4_jRbjT5_S1E_jjP12ihipStream_tbEUljE_ZNSN_ISO_Lb1ESQ_SR_ST_SU_SY_EESZ_S10_S11_S12_S16_S17_S18_S1B_S1C_jS1D_jS1E_S1E_jjS1G_bEUljE0_EEESZ_S10_S11_S18_S1C_S1E_T6_T7_T9_mT8_S1G_bDpT10_ENKUlT_T0_E_clISt17integral_constantIbLb0EES1T_IbLb1EEEEDaS1P_S1Q_EUlS1P_E_NS1_11comp_targetILNS1_3genE0ELNS1_11target_archE4294967295ELNS1_3gpuE0ELNS1_3repE0EEENS1_30default_config_static_selectorELNS0_4arch9wavefront6targetE1EEEvS12_.numbered_sgpr, 0
	.set _ZN7rocprim17ROCPRIM_400000_NS6detail17trampoline_kernelINS0_13select_configILj256ELj13ELNS0_17block_load_methodE3ELS4_3ELS4_3ELNS0_20block_scan_algorithmE0ELj4294967295EEENS1_25partition_config_selectorILNS1_17partition_subalgoE4EjNS0_10empty_typeEbEEZZNS1_14partition_implILS8_4ELb0ES6_15HIP_vector_typeIjLj2EENS0_17counting_iteratorIjlEEPS9_SG_NS0_5tupleIJPjSI_NS0_16reverse_iteratorISI_EEEEENSH_IJSG_SG_SG_EEES9_SI_JZNS1_25segmented_radix_sort_implINS0_14default_configELb1EPKdPdPKlPlN2at6native12_GLOBAL__N_18offset_tEEE10hipError_tPvRmT1_PNSt15iterator_traitsIS12_E10value_typeET2_T3_PNS13_IS18_E10value_typeET4_jRbjT5_S1E_jjP12ihipStream_tbEUljE_ZNSN_ISO_Lb1ESQ_SR_ST_SU_SY_EESZ_S10_S11_S12_S16_S17_S18_S1B_S1C_jS1D_jS1E_S1E_jjS1G_bEUljE0_EEESZ_S10_S11_S18_S1C_S1E_T6_T7_T9_mT8_S1G_bDpT10_ENKUlT_T0_E_clISt17integral_constantIbLb0EES1T_IbLb1EEEEDaS1P_S1Q_EUlS1P_E_NS1_11comp_targetILNS1_3genE0ELNS1_11target_archE4294967295ELNS1_3gpuE0ELNS1_3repE0EEENS1_30default_config_static_selectorELNS0_4arch9wavefront6targetE1EEEvS12_.num_named_barrier, 0
	.set _ZN7rocprim17ROCPRIM_400000_NS6detail17trampoline_kernelINS0_13select_configILj256ELj13ELNS0_17block_load_methodE3ELS4_3ELS4_3ELNS0_20block_scan_algorithmE0ELj4294967295EEENS1_25partition_config_selectorILNS1_17partition_subalgoE4EjNS0_10empty_typeEbEEZZNS1_14partition_implILS8_4ELb0ES6_15HIP_vector_typeIjLj2EENS0_17counting_iteratorIjlEEPS9_SG_NS0_5tupleIJPjSI_NS0_16reverse_iteratorISI_EEEEENSH_IJSG_SG_SG_EEES9_SI_JZNS1_25segmented_radix_sort_implINS0_14default_configELb1EPKdPdPKlPlN2at6native12_GLOBAL__N_18offset_tEEE10hipError_tPvRmT1_PNSt15iterator_traitsIS12_E10value_typeET2_T3_PNS13_IS18_E10value_typeET4_jRbjT5_S1E_jjP12ihipStream_tbEUljE_ZNSN_ISO_Lb1ESQ_SR_ST_SU_SY_EESZ_S10_S11_S12_S16_S17_S18_S1B_S1C_jS1D_jS1E_S1E_jjS1G_bEUljE0_EEESZ_S10_S11_S18_S1C_S1E_T6_T7_T9_mT8_S1G_bDpT10_ENKUlT_T0_E_clISt17integral_constantIbLb0EES1T_IbLb1EEEEDaS1P_S1Q_EUlS1P_E_NS1_11comp_targetILNS1_3genE0ELNS1_11target_archE4294967295ELNS1_3gpuE0ELNS1_3repE0EEENS1_30default_config_static_selectorELNS0_4arch9wavefront6targetE1EEEvS12_.private_seg_size, 0
	.set _ZN7rocprim17ROCPRIM_400000_NS6detail17trampoline_kernelINS0_13select_configILj256ELj13ELNS0_17block_load_methodE3ELS4_3ELS4_3ELNS0_20block_scan_algorithmE0ELj4294967295EEENS1_25partition_config_selectorILNS1_17partition_subalgoE4EjNS0_10empty_typeEbEEZZNS1_14partition_implILS8_4ELb0ES6_15HIP_vector_typeIjLj2EENS0_17counting_iteratorIjlEEPS9_SG_NS0_5tupleIJPjSI_NS0_16reverse_iteratorISI_EEEEENSH_IJSG_SG_SG_EEES9_SI_JZNS1_25segmented_radix_sort_implINS0_14default_configELb1EPKdPdPKlPlN2at6native12_GLOBAL__N_18offset_tEEE10hipError_tPvRmT1_PNSt15iterator_traitsIS12_E10value_typeET2_T3_PNS13_IS18_E10value_typeET4_jRbjT5_S1E_jjP12ihipStream_tbEUljE_ZNSN_ISO_Lb1ESQ_SR_ST_SU_SY_EESZ_S10_S11_S12_S16_S17_S18_S1B_S1C_jS1D_jS1E_S1E_jjS1G_bEUljE0_EEESZ_S10_S11_S18_S1C_S1E_T6_T7_T9_mT8_S1G_bDpT10_ENKUlT_T0_E_clISt17integral_constantIbLb0EES1T_IbLb1EEEEDaS1P_S1Q_EUlS1P_E_NS1_11comp_targetILNS1_3genE0ELNS1_11target_archE4294967295ELNS1_3gpuE0ELNS1_3repE0EEENS1_30default_config_static_selectorELNS0_4arch9wavefront6targetE1EEEvS12_.uses_vcc, 0
	.set _ZN7rocprim17ROCPRIM_400000_NS6detail17trampoline_kernelINS0_13select_configILj256ELj13ELNS0_17block_load_methodE3ELS4_3ELS4_3ELNS0_20block_scan_algorithmE0ELj4294967295EEENS1_25partition_config_selectorILNS1_17partition_subalgoE4EjNS0_10empty_typeEbEEZZNS1_14partition_implILS8_4ELb0ES6_15HIP_vector_typeIjLj2EENS0_17counting_iteratorIjlEEPS9_SG_NS0_5tupleIJPjSI_NS0_16reverse_iteratorISI_EEEEENSH_IJSG_SG_SG_EEES9_SI_JZNS1_25segmented_radix_sort_implINS0_14default_configELb1EPKdPdPKlPlN2at6native12_GLOBAL__N_18offset_tEEE10hipError_tPvRmT1_PNSt15iterator_traitsIS12_E10value_typeET2_T3_PNS13_IS18_E10value_typeET4_jRbjT5_S1E_jjP12ihipStream_tbEUljE_ZNSN_ISO_Lb1ESQ_SR_ST_SU_SY_EESZ_S10_S11_S12_S16_S17_S18_S1B_S1C_jS1D_jS1E_S1E_jjS1G_bEUljE0_EEESZ_S10_S11_S18_S1C_S1E_T6_T7_T9_mT8_S1G_bDpT10_ENKUlT_T0_E_clISt17integral_constantIbLb0EES1T_IbLb1EEEEDaS1P_S1Q_EUlS1P_E_NS1_11comp_targetILNS1_3genE0ELNS1_11target_archE4294967295ELNS1_3gpuE0ELNS1_3repE0EEENS1_30default_config_static_selectorELNS0_4arch9wavefront6targetE1EEEvS12_.uses_flat_scratch, 0
	.set _ZN7rocprim17ROCPRIM_400000_NS6detail17trampoline_kernelINS0_13select_configILj256ELj13ELNS0_17block_load_methodE3ELS4_3ELS4_3ELNS0_20block_scan_algorithmE0ELj4294967295EEENS1_25partition_config_selectorILNS1_17partition_subalgoE4EjNS0_10empty_typeEbEEZZNS1_14partition_implILS8_4ELb0ES6_15HIP_vector_typeIjLj2EENS0_17counting_iteratorIjlEEPS9_SG_NS0_5tupleIJPjSI_NS0_16reverse_iteratorISI_EEEEENSH_IJSG_SG_SG_EEES9_SI_JZNS1_25segmented_radix_sort_implINS0_14default_configELb1EPKdPdPKlPlN2at6native12_GLOBAL__N_18offset_tEEE10hipError_tPvRmT1_PNSt15iterator_traitsIS12_E10value_typeET2_T3_PNS13_IS18_E10value_typeET4_jRbjT5_S1E_jjP12ihipStream_tbEUljE_ZNSN_ISO_Lb1ESQ_SR_ST_SU_SY_EESZ_S10_S11_S12_S16_S17_S18_S1B_S1C_jS1D_jS1E_S1E_jjS1G_bEUljE0_EEESZ_S10_S11_S18_S1C_S1E_T6_T7_T9_mT8_S1G_bDpT10_ENKUlT_T0_E_clISt17integral_constantIbLb0EES1T_IbLb1EEEEDaS1P_S1Q_EUlS1P_E_NS1_11comp_targetILNS1_3genE0ELNS1_11target_archE4294967295ELNS1_3gpuE0ELNS1_3repE0EEENS1_30default_config_static_selectorELNS0_4arch9wavefront6targetE1EEEvS12_.has_dyn_sized_stack, 0
	.set _ZN7rocprim17ROCPRIM_400000_NS6detail17trampoline_kernelINS0_13select_configILj256ELj13ELNS0_17block_load_methodE3ELS4_3ELS4_3ELNS0_20block_scan_algorithmE0ELj4294967295EEENS1_25partition_config_selectorILNS1_17partition_subalgoE4EjNS0_10empty_typeEbEEZZNS1_14partition_implILS8_4ELb0ES6_15HIP_vector_typeIjLj2EENS0_17counting_iteratorIjlEEPS9_SG_NS0_5tupleIJPjSI_NS0_16reverse_iteratorISI_EEEEENSH_IJSG_SG_SG_EEES9_SI_JZNS1_25segmented_radix_sort_implINS0_14default_configELb1EPKdPdPKlPlN2at6native12_GLOBAL__N_18offset_tEEE10hipError_tPvRmT1_PNSt15iterator_traitsIS12_E10value_typeET2_T3_PNS13_IS18_E10value_typeET4_jRbjT5_S1E_jjP12ihipStream_tbEUljE_ZNSN_ISO_Lb1ESQ_SR_ST_SU_SY_EESZ_S10_S11_S12_S16_S17_S18_S1B_S1C_jS1D_jS1E_S1E_jjS1G_bEUljE0_EEESZ_S10_S11_S18_S1C_S1E_T6_T7_T9_mT8_S1G_bDpT10_ENKUlT_T0_E_clISt17integral_constantIbLb0EES1T_IbLb1EEEEDaS1P_S1Q_EUlS1P_E_NS1_11comp_targetILNS1_3genE0ELNS1_11target_archE4294967295ELNS1_3gpuE0ELNS1_3repE0EEENS1_30default_config_static_selectorELNS0_4arch9wavefront6targetE1EEEvS12_.has_recursion, 0
	.set _ZN7rocprim17ROCPRIM_400000_NS6detail17trampoline_kernelINS0_13select_configILj256ELj13ELNS0_17block_load_methodE3ELS4_3ELS4_3ELNS0_20block_scan_algorithmE0ELj4294967295EEENS1_25partition_config_selectorILNS1_17partition_subalgoE4EjNS0_10empty_typeEbEEZZNS1_14partition_implILS8_4ELb0ES6_15HIP_vector_typeIjLj2EENS0_17counting_iteratorIjlEEPS9_SG_NS0_5tupleIJPjSI_NS0_16reverse_iteratorISI_EEEEENSH_IJSG_SG_SG_EEES9_SI_JZNS1_25segmented_radix_sort_implINS0_14default_configELb1EPKdPdPKlPlN2at6native12_GLOBAL__N_18offset_tEEE10hipError_tPvRmT1_PNSt15iterator_traitsIS12_E10value_typeET2_T3_PNS13_IS18_E10value_typeET4_jRbjT5_S1E_jjP12ihipStream_tbEUljE_ZNSN_ISO_Lb1ESQ_SR_ST_SU_SY_EESZ_S10_S11_S12_S16_S17_S18_S1B_S1C_jS1D_jS1E_S1E_jjS1G_bEUljE0_EEESZ_S10_S11_S18_S1C_S1E_T6_T7_T9_mT8_S1G_bDpT10_ENKUlT_T0_E_clISt17integral_constantIbLb0EES1T_IbLb1EEEEDaS1P_S1Q_EUlS1P_E_NS1_11comp_targetILNS1_3genE0ELNS1_11target_archE4294967295ELNS1_3gpuE0ELNS1_3repE0EEENS1_30default_config_static_selectorELNS0_4arch9wavefront6targetE1EEEvS12_.has_indirect_call, 0
	.section	.AMDGPU.csdata,"",@progbits
; Kernel info:
; codeLenInByte = 0
; TotalNumSgprs: 4
; NumVgprs: 0
; ScratchSize: 0
; MemoryBound: 0
; FloatMode: 240
; IeeeMode: 1
; LDSByteSize: 0 bytes/workgroup (compile time only)
; SGPRBlocks: 0
; VGPRBlocks: 0
; NumSGPRsForWavesPerEU: 4
; NumVGPRsForWavesPerEU: 1
; Occupancy: 10
; WaveLimiterHint : 0
; COMPUTE_PGM_RSRC2:SCRATCH_EN: 0
; COMPUTE_PGM_RSRC2:USER_SGPR: 6
; COMPUTE_PGM_RSRC2:TRAP_HANDLER: 0
; COMPUTE_PGM_RSRC2:TGID_X_EN: 1
; COMPUTE_PGM_RSRC2:TGID_Y_EN: 0
; COMPUTE_PGM_RSRC2:TGID_Z_EN: 0
; COMPUTE_PGM_RSRC2:TIDIG_COMP_CNT: 0
	.section	.text._ZN7rocprim17ROCPRIM_400000_NS6detail17trampoline_kernelINS0_13select_configILj256ELj13ELNS0_17block_load_methodE3ELS4_3ELS4_3ELNS0_20block_scan_algorithmE0ELj4294967295EEENS1_25partition_config_selectorILNS1_17partition_subalgoE4EjNS0_10empty_typeEbEEZZNS1_14partition_implILS8_4ELb0ES6_15HIP_vector_typeIjLj2EENS0_17counting_iteratorIjlEEPS9_SG_NS0_5tupleIJPjSI_NS0_16reverse_iteratorISI_EEEEENSH_IJSG_SG_SG_EEES9_SI_JZNS1_25segmented_radix_sort_implINS0_14default_configELb1EPKdPdPKlPlN2at6native12_GLOBAL__N_18offset_tEEE10hipError_tPvRmT1_PNSt15iterator_traitsIS12_E10value_typeET2_T3_PNS13_IS18_E10value_typeET4_jRbjT5_S1E_jjP12ihipStream_tbEUljE_ZNSN_ISO_Lb1ESQ_SR_ST_SU_SY_EESZ_S10_S11_S12_S16_S17_S18_S1B_S1C_jS1D_jS1E_S1E_jjS1G_bEUljE0_EEESZ_S10_S11_S18_S1C_S1E_T6_T7_T9_mT8_S1G_bDpT10_ENKUlT_T0_E_clISt17integral_constantIbLb0EES1T_IbLb1EEEEDaS1P_S1Q_EUlS1P_E_NS1_11comp_targetILNS1_3genE5ELNS1_11target_archE942ELNS1_3gpuE9ELNS1_3repE0EEENS1_30default_config_static_selectorELNS0_4arch9wavefront6targetE1EEEvS12_,"axG",@progbits,_ZN7rocprim17ROCPRIM_400000_NS6detail17trampoline_kernelINS0_13select_configILj256ELj13ELNS0_17block_load_methodE3ELS4_3ELS4_3ELNS0_20block_scan_algorithmE0ELj4294967295EEENS1_25partition_config_selectorILNS1_17partition_subalgoE4EjNS0_10empty_typeEbEEZZNS1_14partition_implILS8_4ELb0ES6_15HIP_vector_typeIjLj2EENS0_17counting_iteratorIjlEEPS9_SG_NS0_5tupleIJPjSI_NS0_16reverse_iteratorISI_EEEEENSH_IJSG_SG_SG_EEES9_SI_JZNS1_25segmented_radix_sort_implINS0_14default_configELb1EPKdPdPKlPlN2at6native12_GLOBAL__N_18offset_tEEE10hipError_tPvRmT1_PNSt15iterator_traitsIS12_E10value_typeET2_T3_PNS13_IS18_E10value_typeET4_jRbjT5_S1E_jjP12ihipStream_tbEUljE_ZNSN_ISO_Lb1ESQ_SR_ST_SU_SY_EESZ_S10_S11_S12_S16_S17_S18_S1B_S1C_jS1D_jS1E_S1E_jjS1G_bEUljE0_EEESZ_S10_S11_S18_S1C_S1E_T6_T7_T9_mT8_S1G_bDpT10_ENKUlT_T0_E_clISt17integral_constantIbLb0EES1T_IbLb1EEEEDaS1P_S1Q_EUlS1P_E_NS1_11comp_targetILNS1_3genE5ELNS1_11target_archE942ELNS1_3gpuE9ELNS1_3repE0EEENS1_30default_config_static_selectorELNS0_4arch9wavefront6targetE1EEEvS12_,comdat
	.globl	_ZN7rocprim17ROCPRIM_400000_NS6detail17trampoline_kernelINS0_13select_configILj256ELj13ELNS0_17block_load_methodE3ELS4_3ELS4_3ELNS0_20block_scan_algorithmE0ELj4294967295EEENS1_25partition_config_selectorILNS1_17partition_subalgoE4EjNS0_10empty_typeEbEEZZNS1_14partition_implILS8_4ELb0ES6_15HIP_vector_typeIjLj2EENS0_17counting_iteratorIjlEEPS9_SG_NS0_5tupleIJPjSI_NS0_16reverse_iteratorISI_EEEEENSH_IJSG_SG_SG_EEES9_SI_JZNS1_25segmented_radix_sort_implINS0_14default_configELb1EPKdPdPKlPlN2at6native12_GLOBAL__N_18offset_tEEE10hipError_tPvRmT1_PNSt15iterator_traitsIS12_E10value_typeET2_T3_PNS13_IS18_E10value_typeET4_jRbjT5_S1E_jjP12ihipStream_tbEUljE_ZNSN_ISO_Lb1ESQ_SR_ST_SU_SY_EESZ_S10_S11_S12_S16_S17_S18_S1B_S1C_jS1D_jS1E_S1E_jjS1G_bEUljE0_EEESZ_S10_S11_S18_S1C_S1E_T6_T7_T9_mT8_S1G_bDpT10_ENKUlT_T0_E_clISt17integral_constantIbLb0EES1T_IbLb1EEEEDaS1P_S1Q_EUlS1P_E_NS1_11comp_targetILNS1_3genE5ELNS1_11target_archE942ELNS1_3gpuE9ELNS1_3repE0EEENS1_30default_config_static_selectorELNS0_4arch9wavefront6targetE1EEEvS12_ ; -- Begin function _ZN7rocprim17ROCPRIM_400000_NS6detail17trampoline_kernelINS0_13select_configILj256ELj13ELNS0_17block_load_methodE3ELS4_3ELS4_3ELNS0_20block_scan_algorithmE0ELj4294967295EEENS1_25partition_config_selectorILNS1_17partition_subalgoE4EjNS0_10empty_typeEbEEZZNS1_14partition_implILS8_4ELb0ES6_15HIP_vector_typeIjLj2EENS0_17counting_iteratorIjlEEPS9_SG_NS0_5tupleIJPjSI_NS0_16reverse_iteratorISI_EEEEENSH_IJSG_SG_SG_EEES9_SI_JZNS1_25segmented_radix_sort_implINS0_14default_configELb1EPKdPdPKlPlN2at6native12_GLOBAL__N_18offset_tEEE10hipError_tPvRmT1_PNSt15iterator_traitsIS12_E10value_typeET2_T3_PNS13_IS18_E10value_typeET4_jRbjT5_S1E_jjP12ihipStream_tbEUljE_ZNSN_ISO_Lb1ESQ_SR_ST_SU_SY_EESZ_S10_S11_S12_S16_S17_S18_S1B_S1C_jS1D_jS1E_S1E_jjS1G_bEUljE0_EEESZ_S10_S11_S18_S1C_S1E_T6_T7_T9_mT8_S1G_bDpT10_ENKUlT_T0_E_clISt17integral_constantIbLb0EES1T_IbLb1EEEEDaS1P_S1Q_EUlS1P_E_NS1_11comp_targetILNS1_3genE5ELNS1_11target_archE942ELNS1_3gpuE9ELNS1_3repE0EEENS1_30default_config_static_selectorELNS0_4arch9wavefront6targetE1EEEvS12_
	.p2align	8
	.type	_ZN7rocprim17ROCPRIM_400000_NS6detail17trampoline_kernelINS0_13select_configILj256ELj13ELNS0_17block_load_methodE3ELS4_3ELS4_3ELNS0_20block_scan_algorithmE0ELj4294967295EEENS1_25partition_config_selectorILNS1_17partition_subalgoE4EjNS0_10empty_typeEbEEZZNS1_14partition_implILS8_4ELb0ES6_15HIP_vector_typeIjLj2EENS0_17counting_iteratorIjlEEPS9_SG_NS0_5tupleIJPjSI_NS0_16reverse_iteratorISI_EEEEENSH_IJSG_SG_SG_EEES9_SI_JZNS1_25segmented_radix_sort_implINS0_14default_configELb1EPKdPdPKlPlN2at6native12_GLOBAL__N_18offset_tEEE10hipError_tPvRmT1_PNSt15iterator_traitsIS12_E10value_typeET2_T3_PNS13_IS18_E10value_typeET4_jRbjT5_S1E_jjP12ihipStream_tbEUljE_ZNSN_ISO_Lb1ESQ_SR_ST_SU_SY_EESZ_S10_S11_S12_S16_S17_S18_S1B_S1C_jS1D_jS1E_S1E_jjS1G_bEUljE0_EEESZ_S10_S11_S18_S1C_S1E_T6_T7_T9_mT8_S1G_bDpT10_ENKUlT_T0_E_clISt17integral_constantIbLb0EES1T_IbLb1EEEEDaS1P_S1Q_EUlS1P_E_NS1_11comp_targetILNS1_3genE5ELNS1_11target_archE942ELNS1_3gpuE9ELNS1_3repE0EEENS1_30default_config_static_selectorELNS0_4arch9wavefront6targetE1EEEvS12_,@function
_ZN7rocprim17ROCPRIM_400000_NS6detail17trampoline_kernelINS0_13select_configILj256ELj13ELNS0_17block_load_methodE3ELS4_3ELS4_3ELNS0_20block_scan_algorithmE0ELj4294967295EEENS1_25partition_config_selectorILNS1_17partition_subalgoE4EjNS0_10empty_typeEbEEZZNS1_14partition_implILS8_4ELb0ES6_15HIP_vector_typeIjLj2EENS0_17counting_iteratorIjlEEPS9_SG_NS0_5tupleIJPjSI_NS0_16reverse_iteratorISI_EEEEENSH_IJSG_SG_SG_EEES9_SI_JZNS1_25segmented_radix_sort_implINS0_14default_configELb1EPKdPdPKlPlN2at6native12_GLOBAL__N_18offset_tEEE10hipError_tPvRmT1_PNSt15iterator_traitsIS12_E10value_typeET2_T3_PNS13_IS18_E10value_typeET4_jRbjT5_S1E_jjP12ihipStream_tbEUljE_ZNSN_ISO_Lb1ESQ_SR_ST_SU_SY_EESZ_S10_S11_S12_S16_S17_S18_S1B_S1C_jS1D_jS1E_S1E_jjS1G_bEUljE0_EEESZ_S10_S11_S18_S1C_S1E_T6_T7_T9_mT8_S1G_bDpT10_ENKUlT_T0_E_clISt17integral_constantIbLb0EES1T_IbLb1EEEEDaS1P_S1Q_EUlS1P_E_NS1_11comp_targetILNS1_3genE5ELNS1_11target_archE942ELNS1_3gpuE9ELNS1_3repE0EEENS1_30default_config_static_selectorELNS0_4arch9wavefront6targetE1EEEvS12_: ; @_ZN7rocprim17ROCPRIM_400000_NS6detail17trampoline_kernelINS0_13select_configILj256ELj13ELNS0_17block_load_methodE3ELS4_3ELS4_3ELNS0_20block_scan_algorithmE0ELj4294967295EEENS1_25partition_config_selectorILNS1_17partition_subalgoE4EjNS0_10empty_typeEbEEZZNS1_14partition_implILS8_4ELb0ES6_15HIP_vector_typeIjLj2EENS0_17counting_iteratorIjlEEPS9_SG_NS0_5tupleIJPjSI_NS0_16reverse_iteratorISI_EEEEENSH_IJSG_SG_SG_EEES9_SI_JZNS1_25segmented_radix_sort_implINS0_14default_configELb1EPKdPdPKlPlN2at6native12_GLOBAL__N_18offset_tEEE10hipError_tPvRmT1_PNSt15iterator_traitsIS12_E10value_typeET2_T3_PNS13_IS18_E10value_typeET4_jRbjT5_S1E_jjP12ihipStream_tbEUljE_ZNSN_ISO_Lb1ESQ_SR_ST_SU_SY_EESZ_S10_S11_S12_S16_S17_S18_S1B_S1C_jS1D_jS1E_S1E_jjS1G_bEUljE0_EEESZ_S10_S11_S18_S1C_S1E_T6_T7_T9_mT8_S1G_bDpT10_ENKUlT_T0_E_clISt17integral_constantIbLb0EES1T_IbLb1EEEEDaS1P_S1Q_EUlS1P_E_NS1_11comp_targetILNS1_3genE5ELNS1_11target_archE942ELNS1_3gpuE9ELNS1_3repE0EEENS1_30default_config_static_selectorELNS0_4arch9wavefront6targetE1EEEvS12_
; %bb.0:
	.section	.rodata,"a",@progbits
	.p2align	6, 0x0
	.amdhsa_kernel _ZN7rocprim17ROCPRIM_400000_NS6detail17trampoline_kernelINS0_13select_configILj256ELj13ELNS0_17block_load_methodE3ELS4_3ELS4_3ELNS0_20block_scan_algorithmE0ELj4294967295EEENS1_25partition_config_selectorILNS1_17partition_subalgoE4EjNS0_10empty_typeEbEEZZNS1_14partition_implILS8_4ELb0ES6_15HIP_vector_typeIjLj2EENS0_17counting_iteratorIjlEEPS9_SG_NS0_5tupleIJPjSI_NS0_16reverse_iteratorISI_EEEEENSH_IJSG_SG_SG_EEES9_SI_JZNS1_25segmented_radix_sort_implINS0_14default_configELb1EPKdPdPKlPlN2at6native12_GLOBAL__N_18offset_tEEE10hipError_tPvRmT1_PNSt15iterator_traitsIS12_E10value_typeET2_T3_PNS13_IS18_E10value_typeET4_jRbjT5_S1E_jjP12ihipStream_tbEUljE_ZNSN_ISO_Lb1ESQ_SR_ST_SU_SY_EESZ_S10_S11_S12_S16_S17_S18_S1B_S1C_jS1D_jS1E_S1E_jjS1G_bEUljE0_EEESZ_S10_S11_S18_S1C_S1E_T6_T7_T9_mT8_S1G_bDpT10_ENKUlT_T0_E_clISt17integral_constantIbLb0EES1T_IbLb1EEEEDaS1P_S1Q_EUlS1P_E_NS1_11comp_targetILNS1_3genE5ELNS1_11target_archE942ELNS1_3gpuE9ELNS1_3repE0EEENS1_30default_config_static_selectorELNS0_4arch9wavefront6targetE1EEEvS12_
		.amdhsa_group_segment_fixed_size 0
		.amdhsa_private_segment_fixed_size 0
		.amdhsa_kernarg_size 184
		.amdhsa_user_sgpr_count 6
		.amdhsa_user_sgpr_private_segment_buffer 1
		.amdhsa_user_sgpr_dispatch_ptr 0
		.amdhsa_user_sgpr_queue_ptr 0
		.amdhsa_user_sgpr_kernarg_segment_ptr 1
		.amdhsa_user_sgpr_dispatch_id 0
		.amdhsa_user_sgpr_flat_scratch_init 0
		.amdhsa_user_sgpr_private_segment_size 0
		.amdhsa_uses_dynamic_stack 0
		.amdhsa_system_sgpr_private_segment_wavefront_offset 0
		.amdhsa_system_sgpr_workgroup_id_x 1
		.amdhsa_system_sgpr_workgroup_id_y 0
		.amdhsa_system_sgpr_workgroup_id_z 0
		.amdhsa_system_sgpr_workgroup_info 0
		.amdhsa_system_vgpr_workitem_id 0
		.amdhsa_next_free_vgpr 1
		.amdhsa_next_free_sgpr 0
		.amdhsa_reserve_vcc 0
		.amdhsa_reserve_flat_scratch 0
		.amdhsa_float_round_mode_32 0
		.amdhsa_float_round_mode_16_64 0
		.amdhsa_float_denorm_mode_32 3
		.amdhsa_float_denorm_mode_16_64 3
		.amdhsa_dx10_clamp 1
		.amdhsa_ieee_mode 1
		.amdhsa_fp16_overflow 0
		.amdhsa_exception_fp_ieee_invalid_op 0
		.amdhsa_exception_fp_denorm_src 0
		.amdhsa_exception_fp_ieee_div_zero 0
		.amdhsa_exception_fp_ieee_overflow 0
		.amdhsa_exception_fp_ieee_underflow 0
		.amdhsa_exception_fp_ieee_inexact 0
		.amdhsa_exception_int_div_zero 0
	.end_amdhsa_kernel
	.section	.text._ZN7rocprim17ROCPRIM_400000_NS6detail17trampoline_kernelINS0_13select_configILj256ELj13ELNS0_17block_load_methodE3ELS4_3ELS4_3ELNS0_20block_scan_algorithmE0ELj4294967295EEENS1_25partition_config_selectorILNS1_17partition_subalgoE4EjNS0_10empty_typeEbEEZZNS1_14partition_implILS8_4ELb0ES6_15HIP_vector_typeIjLj2EENS0_17counting_iteratorIjlEEPS9_SG_NS0_5tupleIJPjSI_NS0_16reverse_iteratorISI_EEEEENSH_IJSG_SG_SG_EEES9_SI_JZNS1_25segmented_radix_sort_implINS0_14default_configELb1EPKdPdPKlPlN2at6native12_GLOBAL__N_18offset_tEEE10hipError_tPvRmT1_PNSt15iterator_traitsIS12_E10value_typeET2_T3_PNS13_IS18_E10value_typeET4_jRbjT5_S1E_jjP12ihipStream_tbEUljE_ZNSN_ISO_Lb1ESQ_SR_ST_SU_SY_EESZ_S10_S11_S12_S16_S17_S18_S1B_S1C_jS1D_jS1E_S1E_jjS1G_bEUljE0_EEESZ_S10_S11_S18_S1C_S1E_T6_T7_T9_mT8_S1G_bDpT10_ENKUlT_T0_E_clISt17integral_constantIbLb0EES1T_IbLb1EEEEDaS1P_S1Q_EUlS1P_E_NS1_11comp_targetILNS1_3genE5ELNS1_11target_archE942ELNS1_3gpuE9ELNS1_3repE0EEENS1_30default_config_static_selectorELNS0_4arch9wavefront6targetE1EEEvS12_,"axG",@progbits,_ZN7rocprim17ROCPRIM_400000_NS6detail17trampoline_kernelINS0_13select_configILj256ELj13ELNS0_17block_load_methodE3ELS4_3ELS4_3ELNS0_20block_scan_algorithmE0ELj4294967295EEENS1_25partition_config_selectorILNS1_17partition_subalgoE4EjNS0_10empty_typeEbEEZZNS1_14partition_implILS8_4ELb0ES6_15HIP_vector_typeIjLj2EENS0_17counting_iteratorIjlEEPS9_SG_NS0_5tupleIJPjSI_NS0_16reverse_iteratorISI_EEEEENSH_IJSG_SG_SG_EEES9_SI_JZNS1_25segmented_radix_sort_implINS0_14default_configELb1EPKdPdPKlPlN2at6native12_GLOBAL__N_18offset_tEEE10hipError_tPvRmT1_PNSt15iterator_traitsIS12_E10value_typeET2_T3_PNS13_IS18_E10value_typeET4_jRbjT5_S1E_jjP12ihipStream_tbEUljE_ZNSN_ISO_Lb1ESQ_SR_ST_SU_SY_EESZ_S10_S11_S12_S16_S17_S18_S1B_S1C_jS1D_jS1E_S1E_jjS1G_bEUljE0_EEESZ_S10_S11_S18_S1C_S1E_T6_T7_T9_mT8_S1G_bDpT10_ENKUlT_T0_E_clISt17integral_constantIbLb0EES1T_IbLb1EEEEDaS1P_S1Q_EUlS1P_E_NS1_11comp_targetILNS1_3genE5ELNS1_11target_archE942ELNS1_3gpuE9ELNS1_3repE0EEENS1_30default_config_static_selectorELNS0_4arch9wavefront6targetE1EEEvS12_,comdat
.Lfunc_end1079:
	.size	_ZN7rocprim17ROCPRIM_400000_NS6detail17trampoline_kernelINS0_13select_configILj256ELj13ELNS0_17block_load_methodE3ELS4_3ELS4_3ELNS0_20block_scan_algorithmE0ELj4294967295EEENS1_25partition_config_selectorILNS1_17partition_subalgoE4EjNS0_10empty_typeEbEEZZNS1_14partition_implILS8_4ELb0ES6_15HIP_vector_typeIjLj2EENS0_17counting_iteratorIjlEEPS9_SG_NS0_5tupleIJPjSI_NS0_16reverse_iteratorISI_EEEEENSH_IJSG_SG_SG_EEES9_SI_JZNS1_25segmented_radix_sort_implINS0_14default_configELb1EPKdPdPKlPlN2at6native12_GLOBAL__N_18offset_tEEE10hipError_tPvRmT1_PNSt15iterator_traitsIS12_E10value_typeET2_T3_PNS13_IS18_E10value_typeET4_jRbjT5_S1E_jjP12ihipStream_tbEUljE_ZNSN_ISO_Lb1ESQ_SR_ST_SU_SY_EESZ_S10_S11_S12_S16_S17_S18_S1B_S1C_jS1D_jS1E_S1E_jjS1G_bEUljE0_EEESZ_S10_S11_S18_S1C_S1E_T6_T7_T9_mT8_S1G_bDpT10_ENKUlT_T0_E_clISt17integral_constantIbLb0EES1T_IbLb1EEEEDaS1P_S1Q_EUlS1P_E_NS1_11comp_targetILNS1_3genE5ELNS1_11target_archE942ELNS1_3gpuE9ELNS1_3repE0EEENS1_30default_config_static_selectorELNS0_4arch9wavefront6targetE1EEEvS12_, .Lfunc_end1079-_ZN7rocprim17ROCPRIM_400000_NS6detail17trampoline_kernelINS0_13select_configILj256ELj13ELNS0_17block_load_methodE3ELS4_3ELS4_3ELNS0_20block_scan_algorithmE0ELj4294967295EEENS1_25partition_config_selectorILNS1_17partition_subalgoE4EjNS0_10empty_typeEbEEZZNS1_14partition_implILS8_4ELb0ES6_15HIP_vector_typeIjLj2EENS0_17counting_iteratorIjlEEPS9_SG_NS0_5tupleIJPjSI_NS0_16reverse_iteratorISI_EEEEENSH_IJSG_SG_SG_EEES9_SI_JZNS1_25segmented_radix_sort_implINS0_14default_configELb1EPKdPdPKlPlN2at6native12_GLOBAL__N_18offset_tEEE10hipError_tPvRmT1_PNSt15iterator_traitsIS12_E10value_typeET2_T3_PNS13_IS18_E10value_typeET4_jRbjT5_S1E_jjP12ihipStream_tbEUljE_ZNSN_ISO_Lb1ESQ_SR_ST_SU_SY_EESZ_S10_S11_S12_S16_S17_S18_S1B_S1C_jS1D_jS1E_S1E_jjS1G_bEUljE0_EEESZ_S10_S11_S18_S1C_S1E_T6_T7_T9_mT8_S1G_bDpT10_ENKUlT_T0_E_clISt17integral_constantIbLb0EES1T_IbLb1EEEEDaS1P_S1Q_EUlS1P_E_NS1_11comp_targetILNS1_3genE5ELNS1_11target_archE942ELNS1_3gpuE9ELNS1_3repE0EEENS1_30default_config_static_selectorELNS0_4arch9wavefront6targetE1EEEvS12_
                                        ; -- End function
	.set _ZN7rocprim17ROCPRIM_400000_NS6detail17trampoline_kernelINS0_13select_configILj256ELj13ELNS0_17block_load_methodE3ELS4_3ELS4_3ELNS0_20block_scan_algorithmE0ELj4294967295EEENS1_25partition_config_selectorILNS1_17partition_subalgoE4EjNS0_10empty_typeEbEEZZNS1_14partition_implILS8_4ELb0ES6_15HIP_vector_typeIjLj2EENS0_17counting_iteratorIjlEEPS9_SG_NS0_5tupleIJPjSI_NS0_16reverse_iteratorISI_EEEEENSH_IJSG_SG_SG_EEES9_SI_JZNS1_25segmented_radix_sort_implINS0_14default_configELb1EPKdPdPKlPlN2at6native12_GLOBAL__N_18offset_tEEE10hipError_tPvRmT1_PNSt15iterator_traitsIS12_E10value_typeET2_T3_PNS13_IS18_E10value_typeET4_jRbjT5_S1E_jjP12ihipStream_tbEUljE_ZNSN_ISO_Lb1ESQ_SR_ST_SU_SY_EESZ_S10_S11_S12_S16_S17_S18_S1B_S1C_jS1D_jS1E_S1E_jjS1G_bEUljE0_EEESZ_S10_S11_S18_S1C_S1E_T6_T7_T9_mT8_S1G_bDpT10_ENKUlT_T0_E_clISt17integral_constantIbLb0EES1T_IbLb1EEEEDaS1P_S1Q_EUlS1P_E_NS1_11comp_targetILNS1_3genE5ELNS1_11target_archE942ELNS1_3gpuE9ELNS1_3repE0EEENS1_30default_config_static_selectorELNS0_4arch9wavefront6targetE1EEEvS12_.num_vgpr, 0
	.set _ZN7rocprim17ROCPRIM_400000_NS6detail17trampoline_kernelINS0_13select_configILj256ELj13ELNS0_17block_load_methodE3ELS4_3ELS4_3ELNS0_20block_scan_algorithmE0ELj4294967295EEENS1_25partition_config_selectorILNS1_17partition_subalgoE4EjNS0_10empty_typeEbEEZZNS1_14partition_implILS8_4ELb0ES6_15HIP_vector_typeIjLj2EENS0_17counting_iteratorIjlEEPS9_SG_NS0_5tupleIJPjSI_NS0_16reverse_iteratorISI_EEEEENSH_IJSG_SG_SG_EEES9_SI_JZNS1_25segmented_radix_sort_implINS0_14default_configELb1EPKdPdPKlPlN2at6native12_GLOBAL__N_18offset_tEEE10hipError_tPvRmT1_PNSt15iterator_traitsIS12_E10value_typeET2_T3_PNS13_IS18_E10value_typeET4_jRbjT5_S1E_jjP12ihipStream_tbEUljE_ZNSN_ISO_Lb1ESQ_SR_ST_SU_SY_EESZ_S10_S11_S12_S16_S17_S18_S1B_S1C_jS1D_jS1E_S1E_jjS1G_bEUljE0_EEESZ_S10_S11_S18_S1C_S1E_T6_T7_T9_mT8_S1G_bDpT10_ENKUlT_T0_E_clISt17integral_constantIbLb0EES1T_IbLb1EEEEDaS1P_S1Q_EUlS1P_E_NS1_11comp_targetILNS1_3genE5ELNS1_11target_archE942ELNS1_3gpuE9ELNS1_3repE0EEENS1_30default_config_static_selectorELNS0_4arch9wavefront6targetE1EEEvS12_.num_agpr, 0
	.set _ZN7rocprim17ROCPRIM_400000_NS6detail17trampoline_kernelINS0_13select_configILj256ELj13ELNS0_17block_load_methodE3ELS4_3ELS4_3ELNS0_20block_scan_algorithmE0ELj4294967295EEENS1_25partition_config_selectorILNS1_17partition_subalgoE4EjNS0_10empty_typeEbEEZZNS1_14partition_implILS8_4ELb0ES6_15HIP_vector_typeIjLj2EENS0_17counting_iteratorIjlEEPS9_SG_NS0_5tupleIJPjSI_NS0_16reverse_iteratorISI_EEEEENSH_IJSG_SG_SG_EEES9_SI_JZNS1_25segmented_radix_sort_implINS0_14default_configELb1EPKdPdPKlPlN2at6native12_GLOBAL__N_18offset_tEEE10hipError_tPvRmT1_PNSt15iterator_traitsIS12_E10value_typeET2_T3_PNS13_IS18_E10value_typeET4_jRbjT5_S1E_jjP12ihipStream_tbEUljE_ZNSN_ISO_Lb1ESQ_SR_ST_SU_SY_EESZ_S10_S11_S12_S16_S17_S18_S1B_S1C_jS1D_jS1E_S1E_jjS1G_bEUljE0_EEESZ_S10_S11_S18_S1C_S1E_T6_T7_T9_mT8_S1G_bDpT10_ENKUlT_T0_E_clISt17integral_constantIbLb0EES1T_IbLb1EEEEDaS1P_S1Q_EUlS1P_E_NS1_11comp_targetILNS1_3genE5ELNS1_11target_archE942ELNS1_3gpuE9ELNS1_3repE0EEENS1_30default_config_static_selectorELNS0_4arch9wavefront6targetE1EEEvS12_.numbered_sgpr, 0
	.set _ZN7rocprim17ROCPRIM_400000_NS6detail17trampoline_kernelINS0_13select_configILj256ELj13ELNS0_17block_load_methodE3ELS4_3ELS4_3ELNS0_20block_scan_algorithmE0ELj4294967295EEENS1_25partition_config_selectorILNS1_17partition_subalgoE4EjNS0_10empty_typeEbEEZZNS1_14partition_implILS8_4ELb0ES6_15HIP_vector_typeIjLj2EENS0_17counting_iteratorIjlEEPS9_SG_NS0_5tupleIJPjSI_NS0_16reverse_iteratorISI_EEEEENSH_IJSG_SG_SG_EEES9_SI_JZNS1_25segmented_radix_sort_implINS0_14default_configELb1EPKdPdPKlPlN2at6native12_GLOBAL__N_18offset_tEEE10hipError_tPvRmT1_PNSt15iterator_traitsIS12_E10value_typeET2_T3_PNS13_IS18_E10value_typeET4_jRbjT5_S1E_jjP12ihipStream_tbEUljE_ZNSN_ISO_Lb1ESQ_SR_ST_SU_SY_EESZ_S10_S11_S12_S16_S17_S18_S1B_S1C_jS1D_jS1E_S1E_jjS1G_bEUljE0_EEESZ_S10_S11_S18_S1C_S1E_T6_T7_T9_mT8_S1G_bDpT10_ENKUlT_T0_E_clISt17integral_constantIbLb0EES1T_IbLb1EEEEDaS1P_S1Q_EUlS1P_E_NS1_11comp_targetILNS1_3genE5ELNS1_11target_archE942ELNS1_3gpuE9ELNS1_3repE0EEENS1_30default_config_static_selectorELNS0_4arch9wavefront6targetE1EEEvS12_.num_named_barrier, 0
	.set _ZN7rocprim17ROCPRIM_400000_NS6detail17trampoline_kernelINS0_13select_configILj256ELj13ELNS0_17block_load_methodE3ELS4_3ELS4_3ELNS0_20block_scan_algorithmE0ELj4294967295EEENS1_25partition_config_selectorILNS1_17partition_subalgoE4EjNS0_10empty_typeEbEEZZNS1_14partition_implILS8_4ELb0ES6_15HIP_vector_typeIjLj2EENS0_17counting_iteratorIjlEEPS9_SG_NS0_5tupleIJPjSI_NS0_16reverse_iteratorISI_EEEEENSH_IJSG_SG_SG_EEES9_SI_JZNS1_25segmented_radix_sort_implINS0_14default_configELb1EPKdPdPKlPlN2at6native12_GLOBAL__N_18offset_tEEE10hipError_tPvRmT1_PNSt15iterator_traitsIS12_E10value_typeET2_T3_PNS13_IS18_E10value_typeET4_jRbjT5_S1E_jjP12ihipStream_tbEUljE_ZNSN_ISO_Lb1ESQ_SR_ST_SU_SY_EESZ_S10_S11_S12_S16_S17_S18_S1B_S1C_jS1D_jS1E_S1E_jjS1G_bEUljE0_EEESZ_S10_S11_S18_S1C_S1E_T6_T7_T9_mT8_S1G_bDpT10_ENKUlT_T0_E_clISt17integral_constantIbLb0EES1T_IbLb1EEEEDaS1P_S1Q_EUlS1P_E_NS1_11comp_targetILNS1_3genE5ELNS1_11target_archE942ELNS1_3gpuE9ELNS1_3repE0EEENS1_30default_config_static_selectorELNS0_4arch9wavefront6targetE1EEEvS12_.private_seg_size, 0
	.set _ZN7rocprim17ROCPRIM_400000_NS6detail17trampoline_kernelINS0_13select_configILj256ELj13ELNS0_17block_load_methodE3ELS4_3ELS4_3ELNS0_20block_scan_algorithmE0ELj4294967295EEENS1_25partition_config_selectorILNS1_17partition_subalgoE4EjNS0_10empty_typeEbEEZZNS1_14partition_implILS8_4ELb0ES6_15HIP_vector_typeIjLj2EENS0_17counting_iteratorIjlEEPS9_SG_NS0_5tupleIJPjSI_NS0_16reverse_iteratorISI_EEEEENSH_IJSG_SG_SG_EEES9_SI_JZNS1_25segmented_radix_sort_implINS0_14default_configELb1EPKdPdPKlPlN2at6native12_GLOBAL__N_18offset_tEEE10hipError_tPvRmT1_PNSt15iterator_traitsIS12_E10value_typeET2_T3_PNS13_IS18_E10value_typeET4_jRbjT5_S1E_jjP12ihipStream_tbEUljE_ZNSN_ISO_Lb1ESQ_SR_ST_SU_SY_EESZ_S10_S11_S12_S16_S17_S18_S1B_S1C_jS1D_jS1E_S1E_jjS1G_bEUljE0_EEESZ_S10_S11_S18_S1C_S1E_T6_T7_T9_mT8_S1G_bDpT10_ENKUlT_T0_E_clISt17integral_constantIbLb0EES1T_IbLb1EEEEDaS1P_S1Q_EUlS1P_E_NS1_11comp_targetILNS1_3genE5ELNS1_11target_archE942ELNS1_3gpuE9ELNS1_3repE0EEENS1_30default_config_static_selectorELNS0_4arch9wavefront6targetE1EEEvS12_.uses_vcc, 0
	.set _ZN7rocprim17ROCPRIM_400000_NS6detail17trampoline_kernelINS0_13select_configILj256ELj13ELNS0_17block_load_methodE3ELS4_3ELS4_3ELNS0_20block_scan_algorithmE0ELj4294967295EEENS1_25partition_config_selectorILNS1_17partition_subalgoE4EjNS0_10empty_typeEbEEZZNS1_14partition_implILS8_4ELb0ES6_15HIP_vector_typeIjLj2EENS0_17counting_iteratorIjlEEPS9_SG_NS0_5tupleIJPjSI_NS0_16reverse_iteratorISI_EEEEENSH_IJSG_SG_SG_EEES9_SI_JZNS1_25segmented_radix_sort_implINS0_14default_configELb1EPKdPdPKlPlN2at6native12_GLOBAL__N_18offset_tEEE10hipError_tPvRmT1_PNSt15iterator_traitsIS12_E10value_typeET2_T3_PNS13_IS18_E10value_typeET4_jRbjT5_S1E_jjP12ihipStream_tbEUljE_ZNSN_ISO_Lb1ESQ_SR_ST_SU_SY_EESZ_S10_S11_S12_S16_S17_S18_S1B_S1C_jS1D_jS1E_S1E_jjS1G_bEUljE0_EEESZ_S10_S11_S18_S1C_S1E_T6_T7_T9_mT8_S1G_bDpT10_ENKUlT_T0_E_clISt17integral_constantIbLb0EES1T_IbLb1EEEEDaS1P_S1Q_EUlS1P_E_NS1_11comp_targetILNS1_3genE5ELNS1_11target_archE942ELNS1_3gpuE9ELNS1_3repE0EEENS1_30default_config_static_selectorELNS0_4arch9wavefront6targetE1EEEvS12_.uses_flat_scratch, 0
	.set _ZN7rocprim17ROCPRIM_400000_NS6detail17trampoline_kernelINS0_13select_configILj256ELj13ELNS0_17block_load_methodE3ELS4_3ELS4_3ELNS0_20block_scan_algorithmE0ELj4294967295EEENS1_25partition_config_selectorILNS1_17partition_subalgoE4EjNS0_10empty_typeEbEEZZNS1_14partition_implILS8_4ELb0ES6_15HIP_vector_typeIjLj2EENS0_17counting_iteratorIjlEEPS9_SG_NS0_5tupleIJPjSI_NS0_16reverse_iteratorISI_EEEEENSH_IJSG_SG_SG_EEES9_SI_JZNS1_25segmented_radix_sort_implINS0_14default_configELb1EPKdPdPKlPlN2at6native12_GLOBAL__N_18offset_tEEE10hipError_tPvRmT1_PNSt15iterator_traitsIS12_E10value_typeET2_T3_PNS13_IS18_E10value_typeET4_jRbjT5_S1E_jjP12ihipStream_tbEUljE_ZNSN_ISO_Lb1ESQ_SR_ST_SU_SY_EESZ_S10_S11_S12_S16_S17_S18_S1B_S1C_jS1D_jS1E_S1E_jjS1G_bEUljE0_EEESZ_S10_S11_S18_S1C_S1E_T6_T7_T9_mT8_S1G_bDpT10_ENKUlT_T0_E_clISt17integral_constantIbLb0EES1T_IbLb1EEEEDaS1P_S1Q_EUlS1P_E_NS1_11comp_targetILNS1_3genE5ELNS1_11target_archE942ELNS1_3gpuE9ELNS1_3repE0EEENS1_30default_config_static_selectorELNS0_4arch9wavefront6targetE1EEEvS12_.has_dyn_sized_stack, 0
	.set _ZN7rocprim17ROCPRIM_400000_NS6detail17trampoline_kernelINS0_13select_configILj256ELj13ELNS0_17block_load_methodE3ELS4_3ELS4_3ELNS0_20block_scan_algorithmE0ELj4294967295EEENS1_25partition_config_selectorILNS1_17partition_subalgoE4EjNS0_10empty_typeEbEEZZNS1_14partition_implILS8_4ELb0ES6_15HIP_vector_typeIjLj2EENS0_17counting_iteratorIjlEEPS9_SG_NS0_5tupleIJPjSI_NS0_16reverse_iteratorISI_EEEEENSH_IJSG_SG_SG_EEES9_SI_JZNS1_25segmented_radix_sort_implINS0_14default_configELb1EPKdPdPKlPlN2at6native12_GLOBAL__N_18offset_tEEE10hipError_tPvRmT1_PNSt15iterator_traitsIS12_E10value_typeET2_T3_PNS13_IS18_E10value_typeET4_jRbjT5_S1E_jjP12ihipStream_tbEUljE_ZNSN_ISO_Lb1ESQ_SR_ST_SU_SY_EESZ_S10_S11_S12_S16_S17_S18_S1B_S1C_jS1D_jS1E_S1E_jjS1G_bEUljE0_EEESZ_S10_S11_S18_S1C_S1E_T6_T7_T9_mT8_S1G_bDpT10_ENKUlT_T0_E_clISt17integral_constantIbLb0EES1T_IbLb1EEEEDaS1P_S1Q_EUlS1P_E_NS1_11comp_targetILNS1_3genE5ELNS1_11target_archE942ELNS1_3gpuE9ELNS1_3repE0EEENS1_30default_config_static_selectorELNS0_4arch9wavefront6targetE1EEEvS12_.has_recursion, 0
	.set _ZN7rocprim17ROCPRIM_400000_NS6detail17trampoline_kernelINS0_13select_configILj256ELj13ELNS0_17block_load_methodE3ELS4_3ELS4_3ELNS0_20block_scan_algorithmE0ELj4294967295EEENS1_25partition_config_selectorILNS1_17partition_subalgoE4EjNS0_10empty_typeEbEEZZNS1_14partition_implILS8_4ELb0ES6_15HIP_vector_typeIjLj2EENS0_17counting_iteratorIjlEEPS9_SG_NS0_5tupleIJPjSI_NS0_16reverse_iteratorISI_EEEEENSH_IJSG_SG_SG_EEES9_SI_JZNS1_25segmented_radix_sort_implINS0_14default_configELb1EPKdPdPKlPlN2at6native12_GLOBAL__N_18offset_tEEE10hipError_tPvRmT1_PNSt15iterator_traitsIS12_E10value_typeET2_T3_PNS13_IS18_E10value_typeET4_jRbjT5_S1E_jjP12ihipStream_tbEUljE_ZNSN_ISO_Lb1ESQ_SR_ST_SU_SY_EESZ_S10_S11_S12_S16_S17_S18_S1B_S1C_jS1D_jS1E_S1E_jjS1G_bEUljE0_EEESZ_S10_S11_S18_S1C_S1E_T6_T7_T9_mT8_S1G_bDpT10_ENKUlT_T0_E_clISt17integral_constantIbLb0EES1T_IbLb1EEEEDaS1P_S1Q_EUlS1P_E_NS1_11comp_targetILNS1_3genE5ELNS1_11target_archE942ELNS1_3gpuE9ELNS1_3repE0EEENS1_30default_config_static_selectorELNS0_4arch9wavefront6targetE1EEEvS12_.has_indirect_call, 0
	.section	.AMDGPU.csdata,"",@progbits
; Kernel info:
; codeLenInByte = 0
; TotalNumSgprs: 4
; NumVgprs: 0
; ScratchSize: 0
; MemoryBound: 0
; FloatMode: 240
; IeeeMode: 1
; LDSByteSize: 0 bytes/workgroup (compile time only)
; SGPRBlocks: 0
; VGPRBlocks: 0
; NumSGPRsForWavesPerEU: 4
; NumVGPRsForWavesPerEU: 1
; Occupancy: 10
; WaveLimiterHint : 0
; COMPUTE_PGM_RSRC2:SCRATCH_EN: 0
; COMPUTE_PGM_RSRC2:USER_SGPR: 6
; COMPUTE_PGM_RSRC2:TRAP_HANDLER: 0
; COMPUTE_PGM_RSRC2:TGID_X_EN: 1
; COMPUTE_PGM_RSRC2:TGID_Y_EN: 0
; COMPUTE_PGM_RSRC2:TGID_Z_EN: 0
; COMPUTE_PGM_RSRC2:TIDIG_COMP_CNT: 0
	.section	.text._ZN7rocprim17ROCPRIM_400000_NS6detail17trampoline_kernelINS0_13select_configILj256ELj13ELNS0_17block_load_methodE3ELS4_3ELS4_3ELNS0_20block_scan_algorithmE0ELj4294967295EEENS1_25partition_config_selectorILNS1_17partition_subalgoE4EjNS0_10empty_typeEbEEZZNS1_14partition_implILS8_4ELb0ES6_15HIP_vector_typeIjLj2EENS0_17counting_iteratorIjlEEPS9_SG_NS0_5tupleIJPjSI_NS0_16reverse_iteratorISI_EEEEENSH_IJSG_SG_SG_EEES9_SI_JZNS1_25segmented_radix_sort_implINS0_14default_configELb1EPKdPdPKlPlN2at6native12_GLOBAL__N_18offset_tEEE10hipError_tPvRmT1_PNSt15iterator_traitsIS12_E10value_typeET2_T3_PNS13_IS18_E10value_typeET4_jRbjT5_S1E_jjP12ihipStream_tbEUljE_ZNSN_ISO_Lb1ESQ_SR_ST_SU_SY_EESZ_S10_S11_S12_S16_S17_S18_S1B_S1C_jS1D_jS1E_S1E_jjS1G_bEUljE0_EEESZ_S10_S11_S18_S1C_S1E_T6_T7_T9_mT8_S1G_bDpT10_ENKUlT_T0_E_clISt17integral_constantIbLb0EES1T_IbLb1EEEEDaS1P_S1Q_EUlS1P_E_NS1_11comp_targetILNS1_3genE4ELNS1_11target_archE910ELNS1_3gpuE8ELNS1_3repE0EEENS1_30default_config_static_selectorELNS0_4arch9wavefront6targetE1EEEvS12_,"axG",@progbits,_ZN7rocprim17ROCPRIM_400000_NS6detail17trampoline_kernelINS0_13select_configILj256ELj13ELNS0_17block_load_methodE3ELS4_3ELS4_3ELNS0_20block_scan_algorithmE0ELj4294967295EEENS1_25partition_config_selectorILNS1_17partition_subalgoE4EjNS0_10empty_typeEbEEZZNS1_14partition_implILS8_4ELb0ES6_15HIP_vector_typeIjLj2EENS0_17counting_iteratorIjlEEPS9_SG_NS0_5tupleIJPjSI_NS0_16reverse_iteratorISI_EEEEENSH_IJSG_SG_SG_EEES9_SI_JZNS1_25segmented_radix_sort_implINS0_14default_configELb1EPKdPdPKlPlN2at6native12_GLOBAL__N_18offset_tEEE10hipError_tPvRmT1_PNSt15iterator_traitsIS12_E10value_typeET2_T3_PNS13_IS18_E10value_typeET4_jRbjT5_S1E_jjP12ihipStream_tbEUljE_ZNSN_ISO_Lb1ESQ_SR_ST_SU_SY_EESZ_S10_S11_S12_S16_S17_S18_S1B_S1C_jS1D_jS1E_S1E_jjS1G_bEUljE0_EEESZ_S10_S11_S18_S1C_S1E_T6_T7_T9_mT8_S1G_bDpT10_ENKUlT_T0_E_clISt17integral_constantIbLb0EES1T_IbLb1EEEEDaS1P_S1Q_EUlS1P_E_NS1_11comp_targetILNS1_3genE4ELNS1_11target_archE910ELNS1_3gpuE8ELNS1_3repE0EEENS1_30default_config_static_selectorELNS0_4arch9wavefront6targetE1EEEvS12_,comdat
	.globl	_ZN7rocprim17ROCPRIM_400000_NS6detail17trampoline_kernelINS0_13select_configILj256ELj13ELNS0_17block_load_methodE3ELS4_3ELS4_3ELNS0_20block_scan_algorithmE0ELj4294967295EEENS1_25partition_config_selectorILNS1_17partition_subalgoE4EjNS0_10empty_typeEbEEZZNS1_14partition_implILS8_4ELb0ES6_15HIP_vector_typeIjLj2EENS0_17counting_iteratorIjlEEPS9_SG_NS0_5tupleIJPjSI_NS0_16reverse_iteratorISI_EEEEENSH_IJSG_SG_SG_EEES9_SI_JZNS1_25segmented_radix_sort_implINS0_14default_configELb1EPKdPdPKlPlN2at6native12_GLOBAL__N_18offset_tEEE10hipError_tPvRmT1_PNSt15iterator_traitsIS12_E10value_typeET2_T3_PNS13_IS18_E10value_typeET4_jRbjT5_S1E_jjP12ihipStream_tbEUljE_ZNSN_ISO_Lb1ESQ_SR_ST_SU_SY_EESZ_S10_S11_S12_S16_S17_S18_S1B_S1C_jS1D_jS1E_S1E_jjS1G_bEUljE0_EEESZ_S10_S11_S18_S1C_S1E_T6_T7_T9_mT8_S1G_bDpT10_ENKUlT_T0_E_clISt17integral_constantIbLb0EES1T_IbLb1EEEEDaS1P_S1Q_EUlS1P_E_NS1_11comp_targetILNS1_3genE4ELNS1_11target_archE910ELNS1_3gpuE8ELNS1_3repE0EEENS1_30default_config_static_selectorELNS0_4arch9wavefront6targetE1EEEvS12_ ; -- Begin function _ZN7rocprim17ROCPRIM_400000_NS6detail17trampoline_kernelINS0_13select_configILj256ELj13ELNS0_17block_load_methodE3ELS4_3ELS4_3ELNS0_20block_scan_algorithmE0ELj4294967295EEENS1_25partition_config_selectorILNS1_17partition_subalgoE4EjNS0_10empty_typeEbEEZZNS1_14partition_implILS8_4ELb0ES6_15HIP_vector_typeIjLj2EENS0_17counting_iteratorIjlEEPS9_SG_NS0_5tupleIJPjSI_NS0_16reverse_iteratorISI_EEEEENSH_IJSG_SG_SG_EEES9_SI_JZNS1_25segmented_radix_sort_implINS0_14default_configELb1EPKdPdPKlPlN2at6native12_GLOBAL__N_18offset_tEEE10hipError_tPvRmT1_PNSt15iterator_traitsIS12_E10value_typeET2_T3_PNS13_IS18_E10value_typeET4_jRbjT5_S1E_jjP12ihipStream_tbEUljE_ZNSN_ISO_Lb1ESQ_SR_ST_SU_SY_EESZ_S10_S11_S12_S16_S17_S18_S1B_S1C_jS1D_jS1E_S1E_jjS1G_bEUljE0_EEESZ_S10_S11_S18_S1C_S1E_T6_T7_T9_mT8_S1G_bDpT10_ENKUlT_T0_E_clISt17integral_constantIbLb0EES1T_IbLb1EEEEDaS1P_S1Q_EUlS1P_E_NS1_11comp_targetILNS1_3genE4ELNS1_11target_archE910ELNS1_3gpuE8ELNS1_3repE0EEENS1_30default_config_static_selectorELNS0_4arch9wavefront6targetE1EEEvS12_
	.p2align	8
	.type	_ZN7rocprim17ROCPRIM_400000_NS6detail17trampoline_kernelINS0_13select_configILj256ELj13ELNS0_17block_load_methodE3ELS4_3ELS4_3ELNS0_20block_scan_algorithmE0ELj4294967295EEENS1_25partition_config_selectorILNS1_17partition_subalgoE4EjNS0_10empty_typeEbEEZZNS1_14partition_implILS8_4ELb0ES6_15HIP_vector_typeIjLj2EENS0_17counting_iteratorIjlEEPS9_SG_NS0_5tupleIJPjSI_NS0_16reverse_iteratorISI_EEEEENSH_IJSG_SG_SG_EEES9_SI_JZNS1_25segmented_radix_sort_implINS0_14default_configELb1EPKdPdPKlPlN2at6native12_GLOBAL__N_18offset_tEEE10hipError_tPvRmT1_PNSt15iterator_traitsIS12_E10value_typeET2_T3_PNS13_IS18_E10value_typeET4_jRbjT5_S1E_jjP12ihipStream_tbEUljE_ZNSN_ISO_Lb1ESQ_SR_ST_SU_SY_EESZ_S10_S11_S12_S16_S17_S18_S1B_S1C_jS1D_jS1E_S1E_jjS1G_bEUljE0_EEESZ_S10_S11_S18_S1C_S1E_T6_T7_T9_mT8_S1G_bDpT10_ENKUlT_T0_E_clISt17integral_constantIbLb0EES1T_IbLb1EEEEDaS1P_S1Q_EUlS1P_E_NS1_11comp_targetILNS1_3genE4ELNS1_11target_archE910ELNS1_3gpuE8ELNS1_3repE0EEENS1_30default_config_static_selectorELNS0_4arch9wavefront6targetE1EEEvS12_,@function
_ZN7rocprim17ROCPRIM_400000_NS6detail17trampoline_kernelINS0_13select_configILj256ELj13ELNS0_17block_load_methodE3ELS4_3ELS4_3ELNS0_20block_scan_algorithmE0ELj4294967295EEENS1_25partition_config_selectorILNS1_17partition_subalgoE4EjNS0_10empty_typeEbEEZZNS1_14partition_implILS8_4ELb0ES6_15HIP_vector_typeIjLj2EENS0_17counting_iteratorIjlEEPS9_SG_NS0_5tupleIJPjSI_NS0_16reverse_iteratorISI_EEEEENSH_IJSG_SG_SG_EEES9_SI_JZNS1_25segmented_radix_sort_implINS0_14default_configELb1EPKdPdPKlPlN2at6native12_GLOBAL__N_18offset_tEEE10hipError_tPvRmT1_PNSt15iterator_traitsIS12_E10value_typeET2_T3_PNS13_IS18_E10value_typeET4_jRbjT5_S1E_jjP12ihipStream_tbEUljE_ZNSN_ISO_Lb1ESQ_SR_ST_SU_SY_EESZ_S10_S11_S12_S16_S17_S18_S1B_S1C_jS1D_jS1E_S1E_jjS1G_bEUljE0_EEESZ_S10_S11_S18_S1C_S1E_T6_T7_T9_mT8_S1G_bDpT10_ENKUlT_T0_E_clISt17integral_constantIbLb0EES1T_IbLb1EEEEDaS1P_S1Q_EUlS1P_E_NS1_11comp_targetILNS1_3genE4ELNS1_11target_archE910ELNS1_3gpuE8ELNS1_3repE0EEENS1_30default_config_static_selectorELNS0_4arch9wavefront6targetE1EEEvS12_: ; @_ZN7rocprim17ROCPRIM_400000_NS6detail17trampoline_kernelINS0_13select_configILj256ELj13ELNS0_17block_load_methodE3ELS4_3ELS4_3ELNS0_20block_scan_algorithmE0ELj4294967295EEENS1_25partition_config_selectorILNS1_17partition_subalgoE4EjNS0_10empty_typeEbEEZZNS1_14partition_implILS8_4ELb0ES6_15HIP_vector_typeIjLj2EENS0_17counting_iteratorIjlEEPS9_SG_NS0_5tupleIJPjSI_NS0_16reverse_iteratorISI_EEEEENSH_IJSG_SG_SG_EEES9_SI_JZNS1_25segmented_radix_sort_implINS0_14default_configELb1EPKdPdPKlPlN2at6native12_GLOBAL__N_18offset_tEEE10hipError_tPvRmT1_PNSt15iterator_traitsIS12_E10value_typeET2_T3_PNS13_IS18_E10value_typeET4_jRbjT5_S1E_jjP12ihipStream_tbEUljE_ZNSN_ISO_Lb1ESQ_SR_ST_SU_SY_EESZ_S10_S11_S12_S16_S17_S18_S1B_S1C_jS1D_jS1E_S1E_jjS1G_bEUljE0_EEESZ_S10_S11_S18_S1C_S1E_T6_T7_T9_mT8_S1G_bDpT10_ENKUlT_T0_E_clISt17integral_constantIbLb0EES1T_IbLb1EEEEDaS1P_S1Q_EUlS1P_E_NS1_11comp_targetILNS1_3genE4ELNS1_11target_archE910ELNS1_3gpuE8ELNS1_3repE0EEENS1_30default_config_static_selectorELNS0_4arch9wavefront6targetE1EEEvS12_
; %bb.0:
	.section	.rodata,"a",@progbits
	.p2align	6, 0x0
	.amdhsa_kernel _ZN7rocprim17ROCPRIM_400000_NS6detail17trampoline_kernelINS0_13select_configILj256ELj13ELNS0_17block_load_methodE3ELS4_3ELS4_3ELNS0_20block_scan_algorithmE0ELj4294967295EEENS1_25partition_config_selectorILNS1_17partition_subalgoE4EjNS0_10empty_typeEbEEZZNS1_14partition_implILS8_4ELb0ES6_15HIP_vector_typeIjLj2EENS0_17counting_iteratorIjlEEPS9_SG_NS0_5tupleIJPjSI_NS0_16reverse_iteratorISI_EEEEENSH_IJSG_SG_SG_EEES9_SI_JZNS1_25segmented_radix_sort_implINS0_14default_configELb1EPKdPdPKlPlN2at6native12_GLOBAL__N_18offset_tEEE10hipError_tPvRmT1_PNSt15iterator_traitsIS12_E10value_typeET2_T3_PNS13_IS18_E10value_typeET4_jRbjT5_S1E_jjP12ihipStream_tbEUljE_ZNSN_ISO_Lb1ESQ_SR_ST_SU_SY_EESZ_S10_S11_S12_S16_S17_S18_S1B_S1C_jS1D_jS1E_S1E_jjS1G_bEUljE0_EEESZ_S10_S11_S18_S1C_S1E_T6_T7_T9_mT8_S1G_bDpT10_ENKUlT_T0_E_clISt17integral_constantIbLb0EES1T_IbLb1EEEEDaS1P_S1Q_EUlS1P_E_NS1_11comp_targetILNS1_3genE4ELNS1_11target_archE910ELNS1_3gpuE8ELNS1_3repE0EEENS1_30default_config_static_selectorELNS0_4arch9wavefront6targetE1EEEvS12_
		.amdhsa_group_segment_fixed_size 0
		.amdhsa_private_segment_fixed_size 0
		.amdhsa_kernarg_size 184
		.amdhsa_user_sgpr_count 6
		.amdhsa_user_sgpr_private_segment_buffer 1
		.amdhsa_user_sgpr_dispatch_ptr 0
		.amdhsa_user_sgpr_queue_ptr 0
		.amdhsa_user_sgpr_kernarg_segment_ptr 1
		.amdhsa_user_sgpr_dispatch_id 0
		.amdhsa_user_sgpr_flat_scratch_init 0
		.amdhsa_user_sgpr_private_segment_size 0
		.amdhsa_uses_dynamic_stack 0
		.amdhsa_system_sgpr_private_segment_wavefront_offset 0
		.amdhsa_system_sgpr_workgroup_id_x 1
		.amdhsa_system_sgpr_workgroup_id_y 0
		.amdhsa_system_sgpr_workgroup_id_z 0
		.amdhsa_system_sgpr_workgroup_info 0
		.amdhsa_system_vgpr_workitem_id 0
		.amdhsa_next_free_vgpr 1
		.amdhsa_next_free_sgpr 0
		.amdhsa_reserve_vcc 0
		.amdhsa_reserve_flat_scratch 0
		.amdhsa_float_round_mode_32 0
		.amdhsa_float_round_mode_16_64 0
		.amdhsa_float_denorm_mode_32 3
		.amdhsa_float_denorm_mode_16_64 3
		.amdhsa_dx10_clamp 1
		.amdhsa_ieee_mode 1
		.amdhsa_fp16_overflow 0
		.amdhsa_exception_fp_ieee_invalid_op 0
		.amdhsa_exception_fp_denorm_src 0
		.amdhsa_exception_fp_ieee_div_zero 0
		.amdhsa_exception_fp_ieee_overflow 0
		.amdhsa_exception_fp_ieee_underflow 0
		.amdhsa_exception_fp_ieee_inexact 0
		.amdhsa_exception_int_div_zero 0
	.end_amdhsa_kernel
	.section	.text._ZN7rocprim17ROCPRIM_400000_NS6detail17trampoline_kernelINS0_13select_configILj256ELj13ELNS0_17block_load_methodE3ELS4_3ELS4_3ELNS0_20block_scan_algorithmE0ELj4294967295EEENS1_25partition_config_selectorILNS1_17partition_subalgoE4EjNS0_10empty_typeEbEEZZNS1_14partition_implILS8_4ELb0ES6_15HIP_vector_typeIjLj2EENS0_17counting_iteratorIjlEEPS9_SG_NS0_5tupleIJPjSI_NS0_16reverse_iteratorISI_EEEEENSH_IJSG_SG_SG_EEES9_SI_JZNS1_25segmented_radix_sort_implINS0_14default_configELb1EPKdPdPKlPlN2at6native12_GLOBAL__N_18offset_tEEE10hipError_tPvRmT1_PNSt15iterator_traitsIS12_E10value_typeET2_T3_PNS13_IS18_E10value_typeET4_jRbjT5_S1E_jjP12ihipStream_tbEUljE_ZNSN_ISO_Lb1ESQ_SR_ST_SU_SY_EESZ_S10_S11_S12_S16_S17_S18_S1B_S1C_jS1D_jS1E_S1E_jjS1G_bEUljE0_EEESZ_S10_S11_S18_S1C_S1E_T6_T7_T9_mT8_S1G_bDpT10_ENKUlT_T0_E_clISt17integral_constantIbLb0EES1T_IbLb1EEEEDaS1P_S1Q_EUlS1P_E_NS1_11comp_targetILNS1_3genE4ELNS1_11target_archE910ELNS1_3gpuE8ELNS1_3repE0EEENS1_30default_config_static_selectorELNS0_4arch9wavefront6targetE1EEEvS12_,"axG",@progbits,_ZN7rocprim17ROCPRIM_400000_NS6detail17trampoline_kernelINS0_13select_configILj256ELj13ELNS0_17block_load_methodE3ELS4_3ELS4_3ELNS0_20block_scan_algorithmE0ELj4294967295EEENS1_25partition_config_selectorILNS1_17partition_subalgoE4EjNS0_10empty_typeEbEEZZNS1_14partition_implILS8_4ELb0ES6_15HIP_vector_typeIjLj2EENS0_17counting_iteratorIjlEEPS9_SG_NS0_5tupleIJPjSI_NS0_16reverse_iteratorISI_EEEEENSH_IJSG_SG_SG_EEES9_SI_JZNS1_25segmented_radix_sort_implINS0_14default_configELb1EPKdPdPKlPlN2at6native12_GLOBAL__N_18offset_tEEE10hipError_tPvRmT1_PNSt15iterator_traitsIS12_E10value_typeET2_T3_PNS13_IS18_E10value_typeET4_jRbjT5_S1E_jjP12ihipStream_tbEUljE_ZNSN_ISO_Lb1ESQ_SR_ST_SU_SY_EESZ_S10_S11_S12_S16_S17_S18_S1B_S1C_jS1D_jS1E_S1E_jjS1G_bEUljE0_EEESZ_S10_S11_S18_S1C_S1E_T6_T7_T9_mT8_S1G_bDpT10_ENKUlT_T0_E_clISt17integral_constantIbLb0EES1T_IbLb1EEEEDaS1P_S1Q_EUlS1P_E_NS1_11comp_targetILNS1_3genE4ELNS1_11target_archE910ELNS1_3gpuE8ELNS1_3repE0EEENS1_30default_config_static_selectorELNS0_4arch9wavefront6targetE1EEEvS12_,comdat
.Lfunc_end1080:
	.size	_ZN7rocprim17ROCPRIM_400000_NS6detail17trampoline_kernelINS0_13select_configILj256ELj13ELNS0_17block_load_methodE3ELS4_3ELS4_3ELNS0_20block_scan_algorithmE0ELj4294967295EEENS1_25partition_config_selectorILNS1_17partition_subalgoE4EjNS0_10empty_typeEbEEZZNS1_14partition_implILS8_4ELb0ES6_15HIP_vector_typeIjLj2EENS0_17counting_iteratorIjlEEPS9_SG_NS0_5tupleIJPjSI_NS0_16reverse_iteratorISI_EEEEENSH_IJSG_SG_SG_EEES9_SI_JZNS1_25segmented_radix_sort_implINS0_14default_configELb1EPKdPdPKlPlN2at6native12_GLOBAL__N_18offset_tEEE10hipError_tPvRmT1_PNSt15iterator_traitsIS12_E10value_typeET2_T3_PNS13_IS18_E10value_typeET4_jRbjT5_S1E_jjP12ihipStream_tbEUljE_ZNSN_ISO_Lb1ESQ_SR_ST_SU_SY_EESZ_S10_S11_S12_S16_S17_S18_S1B_S1C_jS1D_jS1E_S1E_jjS1G_bEUljE0_EEESZ_S10_S11_S18_S1C_S1E_T6_T7_T9_mT8_S1G_bDpT10_ENKUlT_T0_E_clISt17integral_constantIbLb0EES1T_IbLb1EEEEDaS1P_S1Q_EUlS1P_E_NS1_11comp_targetILNS1_3genE4ELNS1_11target_archE910ELNS1_3gpuE8ELNS1_3repE0EEENS1_30default_config_static_selectorELNS0_4arch9wavefront6targetE1EEEvS12_, .Lfunc_end1080-_ZN7rocprim17ROCPRIM_400000_NS6detail17trampoline_kernelINS0_13select_configILj256ELj13ELNS0_17block_load_methodE3ELS4_3ELS4_3ELNS0_20block_scan_algorithmE0ELj4294967295EEENS1_25partition_config_selectorILNS1_17partition_subalgoE4EjNS0_10empty_typeEbEEZZNS1_14partition_implILS8_4ELb0ES6_15HIP_vector_typeIjLj2EENS0_17counting_iteratorIjlEEPS9_SG_NS0_5tupleIJPjSI_NS0_16reverse_iteratorISI_EEEEENSH_IJSG_SG_SG_EEES9_SI_JZNS1_25segmented_radix_sort_implINS0_14default_configELb1EPKdPdPKlPlN2at6native12_GLOBAL__N_18offset_tEEE10hipError_tPvRmT1_PNSt15iterator_traitsIS12_E10value_typeET2_T3_PNS13_IS18_E10value_typeET4_jRbjT5_S1E_jjP12ihipStream_tbEUljE_ZNSN_ISO_Lb1ESQ_SR_ST_SU_SY_EESZ_S10_S11_S12_S16_S17_S18_S1B_S1C_jS1D_jS1E_S1E_jjS1G_bEUljE0_EEESZ_S10_S11_S18_S1C_S1E_T6_T7_T9_mT8_S1G_bDpT10_ENKUlT_T0_E_clISt17integral_constantIbLb0EES1T_IbLb1EEEEDaS1P_S1Q_EUlS1P_E_NS1_11comp_targetILNS1_3genE4ELNS1_11target_archE910ELNS1_3gpuE8ELNS1_3repE0EEENS1_30default_config_static_selectorELNS0_4arch9wavefront6targetE1EEEvS12_
                                        ; -- End function
	.set _ZN7rocprim17ROCPRIM_400000_NS6detail17trampoline_kernelINS0_13select_configILj256ELj13ELNS0_17block_load_methodE3ELS4_3ELS4_3ELNS0_20block_scan_algorithmE0ELj4294967295EEENS1_25partition_config_selectorILNS1_17partition_subalgoE4EjNS0_10empty_typeEbEEZZNS1_14partition_implILS8_4ELb0ES6_15HIP_vector_typeIjLj2EENS0_17counting_iteratorIjlEEPS9_SG_NS0_5tupleIJPjSI_NS0_16reverse_iteratorISI_EEEEENSH_IJSG_SG_SG_EEES9_SI_JZNS1_25segmented_radix_sort_implINS0_14default_configELb1EPKdPdPKlPlN2at6native12_GLOBAL__N_18offset_tEEE10hipError_tPvRmT1_PNSt15iterator_traitsIS12_E10value_typeET2_T3_PNS13_IS18_E10value_typeET4_jRbjT5_S1E_jjP12ihipStream_tbEUljE_ZNSN_ISO_Lb1ESQ_SR_ST_SU_SY_EESZ_S10_S11_S12_S16_S17_S18_S1B_S1C_jS1D_jS1E_S1E_jjS1G_bEUljE0_EEESZ_S10_S11_S18_S1C_S1E_T6_T7_T9_mT8_S1G_bDpT10_ENKUlT_T0_E_clISt17integral_constantIbLb0EES1T_IbLb1EEEEDaS1P_S1Q_EUlS1P_E_NS1_11comp_targetILNS1_3genE4ELNS1_11target_archE910ELNS1_3gpuE8ELNS1_3repE0EEENS1_30default_config_static_selectorELNS0_4arch9wavefront6targetE1EEEvS12_.num_vgpr, 0
	.set _ZN7rocprim17ROCPRIM_400000_NS6detail17trampoline_kernelINS0_13select_configILj256ELj13ELNS0_17block_load_methodE3ELS4_3ELS4_3ELNS0_20block_scan_algorithmE0ELj4294967295EEENS1_25partition_config_selectorILNS1_17partition_subalgoE4EjNS0_10empty_typeEbEEZZNS1_14partition_implILS8_4ELb0ES6_15HIP_vector_typeIjLj2EENS0_17counting_iteratorIjlEEPS9_SG_NS0_5tupleIJPjSI_NS0_16reverse_iteratorISI_EEEEENSH_IJSG_SG_SG_EEES9_SI_JZNS1_25segmented_radix_sort_implINS0_14default_configELb1EPKdPdPKlPlN2at6native12_GLOBAL__N_18offset_tEEE10hipError_tPvRmT1_PNSt15iterator_traitsIS12_E10value_typeET2_T3_PNS13_IS18_E10value_typeET4_jRbjT5_S1E_jjP12ihipStream_tbEUljE_ZNSN_ISO_Lb1ESQ_SR_ST_SU_SY_EESZ_S10_S11_S12_S16_S17_S18_S1B_S1C_jS1D_jS1E_S1E_jjS1G_bEUljE0_EEESZ_S10_S11_S18_S1C_S1E_T6_T7_T9_mT8_S1G_bDpT10_ENKUlT_T0_E_clISt17integral_constantIbLb0EES1T_IbLb1EEEEDaS1P_S1Q_EUlS1P_E_NS1_11comp_targetILNS1_3genE4ELNS1_11target_archE910ELNS1_3gpuE8ELNS1_3repE0EEENS1_30default_config_static_selectorELNS0_4arch9wavefront6targetE1EEEvS12_.num_agpr, 0
	.set _ZN7rocprim17ROCPRIM_400000_NS6detail17trampoline_kernelINS0_13select_configILj256ELj13ELNS0_17block_load_methodE3ELS4_3ELS4_3ELNS0_20block_scan_algorithmE0ELj4294967295EEENS1_25partition_config_selectorILNS1_17partition_subalgoE4EjNS0_10empty_typeEbEEZZNS1_14partition_implILS8_4ELb0ES6_15HIP_vector_typeIjLj2EENS0_17counting_iteratorIjlEEPS9_SG_NS0_5tupleIJPjSI_NS0_16reverse_iteratorISI_EEEEENSH_IJSG_SG_SG_EEES9_SI_JZNS1_25segmented_radix_sort_implINS0_14default_configELb1EPKdPdPKlPlN2at6native12_GLOBAL__N_18offset_tEEE10hipError_tPvRmT1_PNSt15iterator_traitsIS12_E10value_typeET2_T3_PNS13_IS18_E10value_typeET4_jRbjT5_S1E_jjP12ihipStream_tbEUljE_ZNSN_ISO_Lb1ESQ_SR_ST_SU_SY_EESZ_S10_S11_S12_S16_S17_S18_S1B_S1C_jS1D_jS1E_S1E_jjS1G_bEUljE0_EEESZ_S10_S11_S18_S1C_S1E_T6_T7_T9_mT8_S1G_bDpT10_ENKUlT_T0_E_clISt17integral_constantIbLb0EES1T_IbLb1EEEEDaS1P_S1Q_EUlS1P_E_NS1_11comp_targetILNS1_3genE4ELNS1_11target_archE910ELNS1_3gpuE8ELNS1_3repE0EEENS1_30default_config_static_selectorELNS0_4arch9wavefront6targetE1EEEvS12_.numbered_sgpr, 0
	.set _ZN7rocprim17ROCPRIM_400000_NS6detail17trampoline_kernelINS0_13select_configILj256ELj13ELNS0_17block_load_methodE3ELS4_3ELS4_3ELNS0_20block_scan_algorithmE0ELj4294967295EEENS1_25partition_config_selectorILNS1_17partition_subalgoE4EjNS0_10empty_typeEbEEZZNS1_14partition_implILS8_4ELb0ES6_15HIP_vector_typeIjLj2EENS0_17counting_iteratorIjlEEPS9_SG_NS0_5tupleIJPjSI_NS0_16reverse_iteratorISI_EEEEENSH_IJSG_SG_SG_EEES9_SI_JZNS1_25segmented_radix_sort_implINS0_14default_configELb1EPKdPdPKlPlN2at6native12_GLOBAL__N_18offset_tEEE10hipError_tPvRmT1_PNSt15iterator_traitsIS12_E10value_typeET2_T3_PNS13_IS18_E10value_typeET4_jRbjT5_S1E_jjP12ihipStream_tbEUljE_ZNSN_ISO_Lb1ESQ_SR_ST_SU_SY_EESZ_S10_S11_S12_S16_S17_S18_S1B_S1C_jS1D_jS1E_S1E_jjS1G_bEUljE0_EEESZ_S10_S11_S18_S1C_S1E_T6_T7_T9_mT8_S1G_bDpT10_ENKUlT_T0_E_clISt17integral_constantIbLb0EES1T_IbLb1EEEEDaS1P_S1Q_EUlS1P_E_NS1_11comp_targetILNS1_3genE4ELNS1_11target_archE910ELNS1_3gpuE8ELNS1_3repE0EEENS1_30default_config_static_selectorELNS0_4arch9wavefront6targetE1EEEvS12_.num_named_barrier, 0
	.set _ZN7rocprim17ROCPRIM_400000_NS6detail17trampoline_kernelINS0_13select_configILj256ELj13ELNS0_17block_load_methodE3ELS4_3ELS4_3ELNS0_20block_scan_algorithmE0ELj4294967295EEENS1_25partition_config_selectorILNS1_17partition_subalgoE4EjNS0_10empty_typeEbEEZZNS1_14partition_implILS8_4ELb0ES6_15HIP_vector_typeIjLj2EENS0_17counting_iteratorIjlEEPS9_SG_NS0_5tupleIJPjSI_NS0_16reverse_iteratorISI_EEEEENSH_IJSG_SG_SG_EEES9_SI_JZNS1_25segmented_radix_sort_implINS0_14default_configELb1EPKdPdPKlPlN2at6native12_GLOBAL__N_18offset_tEEE10hipError_tPvRmT1_PNSt15iterator_traitsIS12_E10value_typeET2_T3_PNS13_IS18_E10value_typeET4_jRbjT5_S1E_jjP12ihipStream_tbEUljE_ZNSN_ISO_Lb1ESQ_SR_ST_SU_SY_EESZ_S10_S11_S12_S16_S17_S18_S1B_S1C_jS1D_jS1E_S1E_jjS1G_bEUljE0_EEESZ_S10_S11_S18_S1C_S1E_T6_T7_T9_mT8_S1G_bDpT10_ENKUlT_T0_E_clISt17integral_constantIbLb0EES1T_IbLb1EEEEDaS1P_S1Q_EUlS1P_E_NS1_11comp_targetILNS1_3genE4ELNS1_11target_archE910ELNS1_3gpuE8ELNS1_3repE0EEENS1_30default_config_static_selectorELNS0_4arch9wavefront6targetE1EEEvS12_.private_seg_size, 0
	.set _ZN7rocprim17ROCPRIM_400000_NS6detail17trampoline_kernelINS0_13select_configILj256ELj13ELNS0_17block_load_methodE3ELS4_3ELS4_3ELNS0_20block_scan_algorithmE0ELj4294967295EEENS1_25partition_config_selectorILNS1_17partition_subalgoE4EjNS0_10empty_typeEbEEZZNS1_14partition_implILS8_4ELb0ES6_15HIP_vector_typeIjLj2EENS0_17counting_iteratorIjlEEPS9_SG_NS0_5tupleIJPjSI_NS0_16reverse_iteratorISI_EEEEENSH_IJSG_SG_SG_EEES9_SI_JZNS1_25segmented_radix_sort_implINS0_14default_configELb1EPKdPdPKlPlN2at6native12_GLOBAL__N_18offset_tEEE10hipError_tPvRmT1_PNSt15iterator_traitsIS12_E10value_typeET2_T3_PNS13_IS18_E10value_typeET4_jRbjT5_S1E_jjP12ihipStream_tbEUljE_ZNSN_ISO_Lb1ESQ_SR_ST_SU_SY_EESZ_S10_S11_S12_S16_S17_S18_S1B_S1C_jS1D_jS1E_S1E_jjS1G_bEUljE0_EEESZ_S10_S11_S18_S1C_S1E_T6_T7_T9_mT8_S1G_bDpT10_ENKUlT_T0_E_clISt17integral_constantIbLb0EES1T_IbLb1EEEEDaS1P_S1Q_EUlS1P_E_NS1_11comp_targetILNS1_3genE4ELNS1_11target_archE910ELNS1_3gpuE8ELNS1_3repE0EEENS1_30default_config_static_selectorELNS0_4arch9wavefront6targetE1EEEvS12_.uses_vcc, 0
	.set _ZN7rocprim17ROCPRIM_400000_NS6detail17trampoline_kernelINS0_13select_configILj256ELj13ELNS0_17block_load_methodE3ELS4_3ELS4_3ELNS0_20block_scan_algorithmE0ELj4294967295EEENS1_25partition_config_selectorILNS1_17partition_subalgoE4EjNS0_10empty_typeEbEEZZNS1_14partition_implILS8_4ELb0ES6_15HIP_vector_typeIjLj2EENS0_17counting_iteratorIjlEEPS9_SG_NS0_5tupleIJPjSI_NS0_16reverse_iteratorISI_EEEEENSH_IJSG_SG_SG_EEES9_SI_JZNS1_25segmented_radix_sort_implINS0_14default_configELb1EPKdPdPKlPlN2at6native12_GLOBAL__N_18offset_tEEE10hipError_tPvRmT1_PNSt15iterator_traitsIS12_E10value_typeET2_T3_PNS13_IS18_E10value_typeET4_jRbjT5_S1E_jjP12ihipStream_tbEUljE_ZNSN_ISO_Lb1ESQ_SR_ST_SU_SY_EESZ_S10_S11_S12_S16_S17_S18_S1B_S1C_jS1D_jS1E_S1E_jjS1G_bEUljE0_EEESZ_S10_S11_S18_S1C_S1E_T6_T7_T9_mT8_S1G_bDpT10_ENKUlT_T0_E_clISt17integral_constantIbLb0EES1T_IbLb1EEEEDaS1P_S1Q_EUlS1P_E_NS1_11comp_targetILNS1_3genE4ELNS1_11target_archE910ELNS1_3gpuE8ELNS1_3repE0EEENS1_30default_config_static_selectorELNS0_4arch9wavefront6targetE1EEEvS12_.uses_flat_scratch, 0
	.set _ZN7rocprim17ROCPRIM_400000_NS6detail17trampoline_kernelINS0_13select_configILj256ELj13ELNS0_17block_load_methodE3ELS4_3ELS4_3ELNS0_20block_scan_algorithmE0ELj4294967295EEENS1_25partition_config_selectorILNS1_17partition_subalgoE4EjNS0_10empty_typeEbEEZZNS1_14partition_implILS8_4ELb0ES6_15HIP_vector_typeIjLj2EENS0_17counting_iteratorIjlEEPS9_SG_NS0_5tupleIJPjSI_NS0_16reverse_iteratorISI_EEEEENSH_IJSG_SG_SG_EEES9_SI_JZNS1_25segmented_radix_sort_implINS0_14default_configELb1EPKdPdPKlPlN2at6native12_GLOBAL__N_18offset_tEEE10hipError_tPvRmT1_PNSt15iterator_traitsIS12_E10value_typeET2_T3_PNS13_IS18_E10value_typeET4_jRbjT5_S1E_jjP12ihipStream_tbEUljE_ZNSN_ISO_Lb1ESQ_SR_ST_SU_SY_EESZ_S10_S11_S12_S16_S17_S18_S1B_S1C_jS1D_jS1E_S1E_jjS1G_bEUljE0_EEESZ_S10_S11_S18_S1C_S1E_T6_T7_T9_mT8_S1G_bDpT10_ENKUlT_T0_E_clISt17integral_constantIbLb0EES1T_IbLb1EEEEDaS1P_S1Q_EUlS1P_E_NS1_11comp_targetILNS1_3genE4ELNS1_11target_archE910ELNS1_3gpuE8ELNS1_3repE0EEENS1_30default_config_static_selectorELNS0_4arch9wavefront6targetE1EEEvS12_.has_dyn_sized_stack, 0
	.set _ZN7rocprim17ROCPRIM_400000_NS6detail17trampoline_kernelINS0_13select_configILj256ELj13ELNS0_17block_load_methodE3ELS4_3ELS4_3ELNS0_20block_scan_algorithmE0ELj4294967295EEENS1_25partition_config_selectorILNS1_17partition_subalgoE4EjNS0_10empty_typeEbEEZZNS1_14partition_implILS8_4ELb0ES6_15HIP_vector_typeIjLj2EENS0_17counting_iteratorIjlEEPS9_SG_NS0_5tupleIJPjSI_NS0_16reverse_iteratorISI_EEEEENSH_IJSG_SG_SG_EEES9_SI_JZNS1_25segmented_radix_sort_implINS0_14default_configELb1EPKdPdPKlPlN2at6native12_GLOBAL__N_18offset_tEEE10hipError_tPvRmT1_PNSt15iterator_traitsIS12_E10value_typeET2_T3_PNS13_IS18_E10value_typeET4_jRbjT5_S1E_jjP12ihipStream_tbEUljE_ZNSN_ISO_Lb1ESQ_SR_ST_SU_SY_EESZ_S10_S11_S12_S16_S17_S18_S1B_S1C_jS1D_jS1E_S1E_jjS1G_bEUljE0_EEESZ_S10_S11_S18_S1C_S1E_T6_T7_T9_mT8_S1G_bDpT10_ENKUlT_T0_E_clISt17integral_constantIbLb0EES1T_IbLb1EEEEDaS1P_S1Q_EUlS1P_E_NS1_11comp_targetILNS1_3genE4ELNS1_11target_archE910ELNS1_3gpuE8ELNS1_3repE0EEENS1_30default_config_static_selectorELNS0_4arch9wavefront6targetE1EEEvS12_.has_recursion, 0
	.set _ZN7rocprim17ROCPRIM_400000_NS6detail17trampoline_kernelINS0_13select_configILj256ELj13ELNS0_17block_load_methodE3ELS4_3ELS4_3ELNS0_20block_scan_algorithmE0ELj4294967295EEENS1_25partition_config_selectorILNS1_17partition_subalgoE4EjNS0_10empty_typeEbEEZZNS1_14partition_implILS8_4ELb0ES6_15HIP_vector_typeIjLj2EENS0_17counting_iteratorIjlEEPS9_SG_NS0_5tupleIJPjSI_NS0_16reverse_iteratorISI_EEEEENSH_IJSG_SG_SG_EEES9_SI_JZNS1_25segmented_radix_sort_implINS0_14default_configELb1EPKdPdPKlPlN2at6native12_GLOBAL__N_18offset_tEEE10hipError_tPvRmT1_PNSt15iterator_traitsIS12_E10value_typeET2_T3_PNS13_IS18_E10value_typeET4_jRbjT5_S1E_jjP12ihipStream_tbEUljE_ZNSN_ISO_Lb1ESQ_SR_ST_SU_SY_EESZ_S10_S11_S12_S16_S17_S18_S1B_S1C_jS1D_jS1E_S1E_jjS1G_bEUljE0_EEESZ_S10_S11_S18_S1C_S1E_T6_T7_T9_mT8_S1G_bDpT10_ENKUlT_T0_E_clISt17integral_constantIbLb0EES1T_IbLb1EEEEDaS1P_S1Q_EUlS1P_E_NS1_11comp_targetILNS1_3genE4ELNS1_11target_archE910ELNS1_3gpuE8ELNS1_3repE0EEENS1_30default_config_static_selectorELNS0_4arch9wavefront6targetE1EEEvS12_.has_indirect_call, 0
	.section	.AMDGPU.csdata,"",@progbits
; Kernel info:
; codeLenInByte = 0
; TotalNumSgprs: 4
; NumVgprs: 0
; ScratchSize: 0
; MemoryBound: 0
; FloatMode: 240
; IeeeMode: 1
; LDSByteSize: 0 bytes/workgroup (compile time only)
; SGPRBlocks: 0
; VGPRBlocks: 0
; NumSGPRsForWavesPerEU: 4
; NumVGPRsForWavesPerEU: 1
; Occupancy: 10
; WaveLimiterHint : 0
; COMPUTE_PGM_RSRC2:SCRATCH_EN: 0
; COMPUTE_PGM_RSRC2:USER_SGPR: 6
; COMPUTE_PGM_RSRC2:TRAP_HANDLER: 0
; COMPUTE_PGM_RSRC2:TGID_X_EN: 1
; COMPUTE_PGM_RSRC2:TGID_Y_EN: 0
; COMPUTE_PGM_RSRC2:TGID_Z_EN: 0
; COMPUTE_PGM_RSRC2:TIDIG_COMP_CNT: 0
	.section	.text._ZN7rocprim17ROCPRIM_400000_NS6detail17trampoline_kernelINS0_13select_configILj256ELj13ELNS0_17block_load_methodE3ELS4_3ELS4_3ELNS0_20block_scan_algorithmE0ELj4294967295EEENS1_25partition_config_selectorILNS1_17partition_subalgoE4EjNS0_10empty_typeEbEEZZNS1_14partition_implILS8_4ELb0ES6_15HIP_vector_typeIjLj2EENS0_17counting_iteratorIjlEEPS9_SG_NS0_5tupleIJPjSI_NS0_16reverse_iteratorISI_EEEEENSH_IJSG_SG_SG_EEES9_SI_JZNS1_25segmented_radix_sort_implINS0_14default_configELb1EPKdPdPKlPlN2at6native12_GLOBAL__N_18offset_tEEE10hipError_tPvRmT1_PNSt15iterator_traitsIS12_E10value_typeET2_T3_PNS13_IS18_E10value_typeET4_jRbjT5_S1E_jjP12ihipStream_tbEUljE_ZNSN_ISO_Lb1ESQ_SR_ST_SU_SY_EESZ_S10_S11_S12_S16_S17_S18_S1B_S1C_jS1D_jS1E_S1E_jjS1G_bEUljE0_EEESZ_S10_S11_S18_S1C_S1E_T6_T7_T9_mT8_S1G_bDpT10_ENKUlT_T0_E_clISt17integral_constantIbLb0EES1T_IbLb1EEEEDaS1P_S1Q_EUlS1P_E_NS1_11comp_targetILNS1_3genE3ELNS1_11target_archE908ELNS1_3gpuE7ELNS1_3repE0EEENS1_30default_config_static_selectorELNS0_4arch9wavefront6targetE1EEEvS12_,"axG",@progbits,_ZN7rocprim17ROCPRIM_400000_NS6detail17trampoline_kernelINS0_13select_configILj256ELj13ELNS0_17block_load_methodE3ELS4_3ELS4_3ELNS0_20block_scan_algorithmE0ELj4294967295EEENS1_25partition_config_selectorILNS1_17partition_subalgoE4EjNS0_10empty_typeEbEEZZNS1_14partition_implILS8_4ELb0ES6_15HIP_vector_typeIjLj2EENS0_17counting_iteratorIjlEEPS9_SG_NS0_5tupleIJPjSI_NS0_16reverse_iteratorISI_EEEEENSH_IJSG_SG_SG_EEES9_SI_JZNS1_25segmented_radix_sort_implINS0_14default_configELb1EPKdPdPKlPlN2at6native12_GLOBAL__N_18offset_tEEE10hipError_tPvRmT1_PNSt15iterator_traitsIS12_E10value_typeET2_T3_PNS13_IS18_E10value_typeET4_jRbjT5_S1E_jjP12ihipStream_tbEUljE_ZNSN_ISO_Lb1ESQ_SR_ST_SU_SY_EESZ_S10_S11_S12_S16_S17_S18_S1B_S1C_jS1D_jS1E_S1E_jjS1G_bEUljE0_EEESZ_S10_S11_S18_S1C_S1E_T6_T7_T9_mT8_S1G_bDpT10_ENKUlT_T0_E_clISt17integral_constantIbLb0EES1T_IbLb1EEEEDaS1P_S1Q_EUlS1P_E_NS1_11comp_targetILNS1_3genE3ELNS1_11target_archE908ELNS1_3gpuE7ELNS1_3repE0EEENS1_30default_config_static_selectorELNS0_4arch9wavefront6targetE1EEEvS12_,comdat
	.globl	_ZN7rocprim17ROCPRIM_400000_NS6detail17trampoline_kernelINS0_13select_configILj256ELj13ELNS0_17block_load_methodE3ELS4_3ELS4_3ELNS0_20block_scan_algorithmE0ELj4294967295EEENS1_25partition_config_selectorILNS1_17partition_subalgoE4EjNS0_10empty_typeEbEEZZNS1_14partition_implILS8_4ELb0ES6_15HIP_vector_typeIjLj2EENS0_17counting_iteratorIjlEEPS9_SG_NS0_5tupleIJPjSI_NS0_16reverse_iteratorISI_EEEEENSH_IJSG_SG_SG_EEES9_SI_JZNS1_25segmented_radix_sort_implINS0_14default_configELb1EPKdPdPKlPlN2at6native12_GLOBAL__N_18offset_tEEE10hipError_tPvRmT1_PNSt15iterator_traitsIS12_E10value_typeET2_T3_PNS13_IS18_E10value_typeET4_jRbjT5_S1E_jjP12ihipStream_tbEUljE_ZNSN_ISO_Lb1ESQ_SR_ST_SU_SY_EESZ_S10_S11_S12_S16_S17_S18_S1B_S1C_jS1D_jS1E_S1E_jjS1G_bEUljE0_EEESZ_S10_S11_S18_S1C_S1E_T6_T7_T9_mT8_S1G_bDpT10_ENKUlT_T0_E_clISt17integral_constantIbLb0EES1T_IbLb1EEEEDaS1P_S1Q_EUlS1P_E_NS1_11comp_targetILNS1_3genE3ELNS1_11target_archE908ELNS1_3gpuE7ELNS1_3repE0EEENS1_30default_config_static_selectorELNS0_4arch9wavefront6targetE1EEEvS12_ ; -- Begin function _ZN7rocprim17ROCPRIM_400000_NS6detail17trampoline_kernelINS0_13select_configILj256ELj13ELNS0_17block_load_methodE3ELS4_3ELS4_3ELNS0_20block_scan_algorithmE0ELj4294967295EEENS1_25partition_config_selectorILNS1_17partition_subalgoE4EjNS0_10empty_typeEbEEZZNS1_14partition_implILS8_4ELb0ES6_15HIP_vector_typeIjLj2EENS0_17counting_iteratorIjlEEPS9_SG_NS0_5tupleIJPjSI_NS0_16reverse_iteratorISI_EEEEENSH_IJSG_SG_SG_EEES9_SI_JZNS1_25segmented_radix_sort_implINS0_14default_configELb1EPKdPdPKlPlN2at6native12_GLOBAL__N_18offset_tEEE10hipError_tPvRmT1_PNSt15iterator_traitsIS12_E10value_typeET2_T3_PNS13_IS18_E10value_typeET4_jRbjT5_S1E_jjP12ihipStream_tbEUljE_ZNSN_ISO_Lb1ESQ_SR_ST_SU_SY_EESZ_S10_S11_S12_S16_S17_S18_S1B_S1C_jS1D_jS1E_S1E_jjS1G_bEUljE0_EEESZ_S10_S11_S18_S1C_S1E_T6_T7_T9_mT8_S1G_bDpT10_ENKUlT_T0_E_clISt17integral_constantIbLb0EES1T_IbLb1EEEEDaS1P_S1Q_EUlS1P_E_NS1_11comp_targetILNS1_3genE3ELNS1_11target_archE908ELNS1_3gpuE7ELNS1_3repE0EEENS1_30default_config_static_selectorELNS0_4arch9wavefront6targetE1EEEvS12_
	.p2align	8
	.type	_ZN7rocprim17ROCPRIM_400000_NS6detail17trampoline_kernelINS0_13select_configILj256ELj13ELNS0_17block_load_methodE3ELS4_3ELS4_3ELNS0_20block_scan_algorithmE0ELj4294967295EEENS1_25partition_config_selectorILNS1_17partition_subalgoE4EjNS0_10empty_typeEbEEZZNS1_14partition_implILS8_4ELb0ES6_15HIP_vector_typeIjLj2EENS0_17counting_iteratorIjlEEPS9_SG_NS0_5tupleIJPjSI_NS0_16reverse_iteratorISI_EEEEENSH_IJSG_SG_SG_EEES9_SI_JZNS1_25segmented_radix_sort_implINS0_14default_configELb1EPKdPdPKlPlN2at6native12_GLOBAL__N_18offset_tEEE10hipError_tPvRmT1_PNSt15iterator_traitsIS12_E10value_typeET2_T3_PNS13_IS18_E10value_typeET4_jRbjT5_S1E_jjP12ihipStream_tbEUljE_ZNSN_ISO_Lb1ESQ_SR_ST_SU_SY_EESZ_S10_S11_S12_S16_S17_S18_S1B_S1C_jS1D_jS1E_S1E_jjS1G_bEUljE0_EEESZ_S10_S11_S18_S1C_S1E_T6_T7_T9_mT8_S1G_bDpT10_ENKUlT_T0_E_clISt17integral_constantIbLb0EES1T_IbLb1EEEEDaS1P_S1Q_EUlS1P_E_NS1_11comp_targetILNS1_3genE3ELNS1_11target_archE908ELNS1_3gpuE7ELNS1_3repE0EEENS1_30default_config_static_selectorELNS0_4arch9wavefront6targetE1EEEvS12_,@function
_ZN7rocprim17ROCPRIM_400000_NS6detail17trampoline_kernelINS0_13select_configILj256ELj13ELNS0_17block_load_methodE3ELS4_3ELS4_3ELNS0_20block_scan_algorithmE0ELj4294967295EEENS1_25partition_config_selectorILNS1_17partition_subalgoE4EjNS0_10empty_typeEbEEZZNS1_14partition_implILS8_4ELb0ES6_15HIP_vector_typeIjLj2EENS0_17counting_iteratorIjlEEPS9_SG_NS0_5tupleIJPjSI_NS0_16reverse_iteratorISI_EEEEENSH_IJSG_SG_SG_EEES9_SI_JZNS1_25segmented_radix_sort_implINS0_14default_configELb1EPKdPdPKlPlN2at6native12_GLOBAL__N_18offset_tEEE10hipError_tPvRmT1_PNSt15iterator_traitsIS12_E10value_typeET2_T3_PNS13_IS18_E10value_typeET4_jRbjT5_S1E_jjP12ihipStream_tbEUljE_ZNSN_ISO_Lb1ESQ_SR_ST_SU_SY_EESZ_S10_S11_S12_S16_S17_S18_S1B_S1C_jS1D_jS1E_S1E_jjS1G_bEUljE0_EEESZ_S10_S11_S18_S1C_S1E_T6_T7_T9_mT8_S1G_bDpT10_ENKUlT_T0_E_clISt17integral_constantIbLb0EES1T_IbLb1EEEEDaS1P_S1Q_EUlS1P_E_NS1_11comp_targetILNS1_3genE3ELNS1_11target_archE908ELNS1_3gpuE7ELNS1_3repE0EEENS1_30default_config_static_selectorELNS0_4arch9wavefront6targetE1EEEvS12_: ; @_ZN7rocprim17ROCPRIM_400000_NS6detail17trampoline_kernelINS0_13select_configILj256ELj13ELNS0_17block_load_methodE3ELS4_3ELS4_3ELNS0_20block_scan_algorithmE0ELj4294967295EEENS1_25partition_config_selectorILNS1_17partition_subalgoE4EjNS0_10empty_typeEbEEZZNS1_14partition_implILS8_4ELb0ES6_15HIP_vector_typeIjLj2EENS0_17counting_iteratorIjlEEPS9_SG_NS0_5tupleIJPjSI_NS0_16reverse_iteratorISI_EEEEENSH_IJSG_SG_SG_EEES9_SI_JZNS1_25segmented_radix_sort_implINS0_14default_configELb1EPKdPdPKlPlN2at6native12_GLOBAL__N_18offset_tEEE10hipError_tPvRmT1_PNSt15iterator_traitsIS12_E10value_typeET2_T3_PNS13_IS18_E10value_typeET4_jRbjT5_S1E_jjP12ihipStream_tbEUljE_ZNSN_ISO_Lb1ESQ_SR_ST_SU_SY_EESZ_S10_S11_S12_S16_S17_S18_S1B_S1C_jS1D_jS1E_S1E_jjS1G_bEUljE0_EEESZ_S10_S11_S18_S1C_S1E_T6_T7_T9_mT8_S1G_bDpT10_ENKUlT_T0_E_clISt17integral_constantIbLb0EES1T_IbLb1EEEEDaS1P_S1Q_EUlS1P_E_NS1_11comp_targetILNS1_3genE3ELNS1_11target_archE908ELNS1_3gpuE7ELNS1_3repE0EEENS1_30default_config_static_selectorELNS0_4arch9wavefront6targetE1EEEvS12_
; %bb.0:
	.section	.rodata,"a",@progbits
	.p2align	6, 0x0
	.amdhsa_kernel _ZN7rocprim17ROCPRIM_400000_NS6detail17trampoline_kernelINS0_13select_configILj256ELj13ELNS0_17block_load_methodE3ELS4_3ELS4_3ELNS0_20block_scan_algorithmE0ELj4294967295EEENS1_25partition_config_selectorILNS1_17partition_subalgoE4EjNS0_10empty_typeEbEEZZNS1_14partition_implILS8_4ELb0ES6_15HIP_vector_typeIjLj2EENS0_17counting_iteratorIjlEEPS9_SG_NS0_5tupleIJPjSI_NS0_16reverse_iteratorISI_EEEEENSH_IJSG_SG_SG_EEES9_SI_JZNS1_25segmented_radix_sort_implINS0_14default_configELb1EPKdPdPKlPlN2at6native12_GLOBAL__N_18offset_tEEE10hipError_tPvRmT1_PNSt15iterator_traitsIS12_E10value_typeET2_T3_PNS13_IS18_E10value_typeET4_jRbjT5_S1E_jjP12ihipStream_tbEUljE_ZNSN_ISO_Lb1ESQ_SR_ST_SU_SY_EESZ_S10_S11_S12_S16_S17_S18_S1B_S1C_jS1D_jS1E_S1E_jjS1G_bEUljE0_EEESZ_S10_S11_S18_S1C_S1E_T6_T7_T9_mT8_S1G_bDpT10_ENKUlT_T0_E_clISt17integral_constantIbLb0EES1T_IbLb1EEEEDaS1P_S1Q_EUlS1P_E_NS1_11comp_targetILNS1_3genE3ELNS1_11target_archE908ELNS1_3gpuE7ELNS1_3repE0EEENS1_30default_config_static_selectorELNS0_4arch9wavefront6targetE1EEEvS12_
		.amdhsa_group_segment_fixed_size 0
		.amdhsa_private_segment_fixed_size 0
		.amdhsa_kernarg_size 184
		.amdhsa_user_sgpr_count 6
		.amdhsa_user_sgpr_private_segment_buffer 1
		.amdhsa_user_sgpr_dispatch_ptr 0
		.amdhsa_user_sgpr_queue_ptr 0
		.amdhsa_user_sgpr_kernarg_segment_ptr 1
		.amdhsa_user_sgpr_dispatch_id 0
		.amdhsa_user_sgpr_flat_scratch_init 0
		.amdhsa_user_sgpr_private_segment_size 0
		.amdhsa_uses_dynamic_stack 0
		.amdhsa_system_sgpr_private_segment_wavefront_offset 0
		.amdhsa_system_sgpr_workgroup_id_x 1
		.amdhsa_system_sgpr_workgroup_id_y 0
		.amdhsa_system_sgpr_workgroup_id_z 0
		.amdhsa_system_sgpr_workgroup_info 0
		.amdhsa_system_vgpr_workitem_id 0
		.amdhsa_next_free_vgpr 1
		.amdhsa_next_free_sgpr 0
		.amdhsa_reserve_vcc 0
		.amdhsa_reserve_flat_scratch 0
		.amdhsa_float_round_mode_32 0
		.amdhsa_float_round_mode_16_64 0
		.amdhsa_float_denorm_mode_32 3
		.amdhsa_float_denorm_mode_16_64 3
		.amdhsa_dx10_clamp 1
		.amdhsa_ieee_mode 1
		.amdhsa_fp16_overflow 0
		.amdhsa_exception_fp_ieee_invalid_op 0
		.amdhsa_exception_fp_denorm_src 0
		.amdhsa_exception_fp_ieee_div_zero 0
		.amdhsa_exception_fp_ieee_overflow 0
		.amdhsa_exception_fp_ieee_underflow 0
		.amdhsa_exception_fp_ieee_inexact 0
		.amdhsa_exception_int_div_zero 0
	.end_amdhsa_kernel
	.section	.text._ZN7rocprim17ROCPRIM_400000_NS6detail17trampoline_kernelINS0_13select_configILj256ELj13ELNS0_17block_load_methodE3ELS4_3ELS4_3ELNS0_20block_scan_algorithmE0ELj4294967295EEENS1_25partition_config_selectorILNS1_17partition_subalgoE4EjNS0_10empty_typeEbEEZZNS1_14partition_implILS8_4ELb0ES6_15HIP_vector_typeIjLj2EENS0_17counting_iteratorIjlEEPS9_SG_NS0_5tupleIJPjSI_NS0_16reverse_iteratorISI_EEEEENSH_IJSG_SG_SG_EEES9_SI_JZNS1_25segmented_radix_sort_implINS0_14default_configELb1EPKdPdPKlPlN2at6native12_GLOBAL__N_18offset_tEEE10hipError_tPvRmT1_PNSt15iterator_traitsIS12_E10value_typeET2_T3_PNS13_IS18_E10value_typeET4_jRbjT5_S1E_jjP12ihipStream_tbEUljE_ZNSN_ISO_Lb1ESQ_SR_ST_SU_SY_EESZ_S10_S11_S12_S16_S17_S18_S1B_S1C_jS1D_jS1E_S1E_jjS1G_bEUljE0_EEESZ_S10_S11_S18_S1C_S1E_T6_T7_T9_mT8_S1G_bDpT10_ENKUlT_T0_E_clISt17integral_constantIbLb0EES1T_IbLb1EEEEDaS1P_S1Q_EUlS1P_E_NS1_11comp_targetILNS1_3genE3ELNS1_11target_archE908ELNS1_3gpuE7ELNS1_3repE0EEENS1_30default_config_static_selectorELNS0_4arch9wavefront6targetE1EEEvS12_,"axG",@progbits,_ZN7rocprim17ROCPRIM_400000_NS6detail17trampoline_kernelINS0_13select_configILj256ELj13ELNS0_17block_load_methodE3ELS4_3ELS4_3ELNS0_20block_scan_algorithmE0ELj4294967295EEENS1_25partition_config_selectorILNS1_17partition_subalgoE4EjNS0_10empty_typeEbEEZZNS1_14partition_implILS8_4ELb0ES6_15HIP_vector_typeIjLj2EENS0_17counting_iteratorIjlEEPS9_SG_NS0_5tupleIJPjSI_NS0_16reverse_iteratorISI_EEEEENSH_IJSG_SG_SG_EEES9_SI_JZNS1_25segmented_radix_sort_implINS0_14default_configELb1EPKdPdPKlPlN2at6native12_GLOBAL__N_18offset_tEEE10hipError_tPvRmT1_PNSt15iterator_traitsIS12_E10value_typeET2_T3_PNS13_IS18_E10value_typeET4_jRbjT5_S1E_jjP12ihipStream_tbEUljE_ZNSN_ISO_Lb1ESQ_SR_ST_SU_SY_EESZ_S10_S11_S12_S16_S17_S18_S1B_S1C_jS1D_jS1E_S1E_jjS1G_bEUljE0_EEESZ_S10_S11_S18_S1C_S1E_T6_T7_T9_mT8_S1G_bDpT10_ENKUlT_T0_E_clISt17integral_constantIbLb0EES1T_IbLb1EEEEDaS1P_S1Q_EUlS1P_E_NS1_11comp_targetILNS1_3genE3ELNS1_11target_archE908ELNS1_3gpuE7ELNS1_3repE0EEENS1_30default_config_static_selectorELNS0_4arch9wavefront6targetE1EEEvS12_,comdat
.Lfunc_end1081:
	.size	_ZN7rocprim17ROCPRIM_400000_NS6detail17trampoline_kernelINS0_13select_configILj256ELj13ELNS0_17block_load_methodE3ELS4_3ELS4_3ELNS0_20block_scan_algorithmE0ELj4294967295EEENS1_25partition_config_selectorILNS1_17partition_subalgoE4EjNS0_10empty_typeEbEEZZNS1_14partition_implILS8_4ELb0ES6_15HIP_vector_typeIjLj2EENS0_17counting_iteratorIjlEEPS9_SG_NS0_5tupleIJPjSI_NS0_16reverse_iteratorISI_EEEEENSH_IJSG_SG_SG_EEES9_SI_JZNS1_25segmented_radix_sort_implINS0_14default_configELb1EPKdPdPKlPlN2at6native12_GLOBAL__N_18offset_tEEE10hipError_tPvRmT1_PNSt15iterator_traitsIS12_E10value_typeET2_T3_PNS13_IS18_E10value_typeET4_jRbjT5_S1E_jjP12ihipStream_tbEUljE_ZNSN_ISO_Lb1ESQ_SR_ST_SU_SY_EESZ_S10_S11_S12_S16_S17_S18_S1B_S1C_jS1D_jS1E_S1E_jjS1G_bEUljE0_EEESZ_S10_S11_S18_S1C_S1E_T6_T7_T9_mT8_S1G_bDpT10_ENKUlT_T0_E_clISt17integral_constantIbLb0EES1T_IbLb1EEEEDaS1P_S1Q_EUlS1P_E_NS1_11comp_targetILNS1_3genE3ELNS1_11target_archE908ELNS1_3gpuE7ELNS1_3repE0EEENS1_30default_config_static_selectorELNS0_4arch9wavefront6targetE1EEEvS12_, .Lfunc_end1081-_ZN7rocprim17ROCPRIM_400000_NS6detail17trampoline_kernelINS0_13select_configILj256ELj13ELNS0_17block_load_methodE3ELS4_3ELS4_3ELNS0_20block_scan_algorithmE0ELj4294967295EEENS1_25partition_config_selectorILNS1_17partition_subalgoE4EjNS0_10empty_typeEbEEZZNS1_14partition_implILS8_4ELb0ES6_15HIP_vector_typeIjLj2EENS0_17counting_iteratorIjlEEPS9_SG_NS0_5tupleIJPjSI_NS0_16reverse_iteratorISI_EEEEENSH_IJSG_SG_SG_EEES9_SI_JZNS1_25segmented_radix_sort_implINS0_14default_configELb1EPKdPdPKlPlN2at6native12_GLOBAL__N_18offset_tEEE10hipError_tPvRmT1_PNSt15iterator_traitsIS12_E10value_typeET2_T3_PNS13_IS18_E10value_typeET4_jRbjT5_S1E_jjP12ihipStream_tbEUljE_ZNSN_ISO_Lb1ESQ_SR_ST_SU_SY_EESZ_S10_S11_S12_S16_S17_S18_S1B_S1C_jS1D_jS1E_S1E_jjS1G_bEUljE0_EEESZ_S10_S11_S18_S1C_S1E_T6_T7_T9_mT8_S1G_bDpT10_ENKUlT_T0_E_clISt17integral_constantIbLb0EES1T_IbLb1EEEEDaS1P_S1Q_EUlS1P_E_NS1_11comp_targetILNS1_3genE3ELNS1_11target_archE908ELNS1_3gpuE7ELNS1_3repE0EEENS1_30default_config_static_selectorELNS0_4arch9wavefront6targetE1EEEvS12_
                                        ; -- End function
	.set _ZN7rocprim17ROCPRIM_400000_NS6detail17trampoline_kernelINS0_13select_configILj256ELj13ELNS0_17block_load_methodE3ELS4_3ELS4_3ELNS0_20block_scan_algorithmE0ELj4294967295EEENS1_25partition_config_selectorILNS1_17partition_subalgoE4EjNS0_10empty_typeEbEEZZNS1_14partition_implILS8_4ELb0ES6_15HIP_vector_typeIjLj2EENS0_17counting_iteratorIjlEEPS9_SG_NS0_5tupleIJPjSI_NS0_16reverse_iteratorISI_EEEEENSH_IJSG_SG_SG_EEES9_SI_JZNS1_25segmented_radix_sort_implINS0_14default_configELb1EPKdPdPKlPlN2at6native12_GLOBAL__N_18offset_tEEE10hipError_tPvRmT1_PNSt15iterator_traitsIS12_E10value_typeET2_T3_PNS13_IS18_E10value_typeET4_jRbjT5_S1E_jjP12ihipStream_tbEUljE_ZNSN_ISO_Lb1ESQ_SR_ST_SU_SY_EESZ_S10_S11_S12_S16_S17_S18_S1B_S1C_jS1D_jS1E_S1E_jjS1G_bEUljE0_EEESZ_S10_S11_S18_S1C_S1E_T6_T7_T9_mT8_S1G_bDpT10_ENKUlT_T0_E_clISt17integral_constantIbLb0EES1T_IbLb1EEEEDaS1P_S1Q_EUlS1P_E_NS1_11comp_targetILNS1_3genE3ELNS1_11target_archE908ELNS1_3gpuE7ELNS1_3repE0EEENS1_30default_config_static_selectorELNS0_4arch9wavefront6targetE1EEEvS12_.num_vgpr, 0
	.set _ZN7rocprim17ROCPRIM_400000_NS6detail17trampoline_kernelINS0_13select_configILj256ELj13ELNS0_17block_load_methodE3ELS4_3ELS4_3ELNS0_20block_scan_algorithmE0ELj4294967295EEENS1_25partition_config_selectorILNS1_17partition_subalgoE4EjNS0_10empty_typeEbEEZZNS1_14partition_implILS8_4ELb0ES6_15HIP_vector_typeIjLj2EENS0_17counting_iteratorIjlEEPS9_SG_NS0_5tupleIJPjSI_NS0_16reverse_iteratorISI_EEEEENSH_IJSG_SG_SG_EEES9_SI_JZNS1_25segmented_radix_sort_implINS0_14default_configELb1EPKdPdPKlPlN2at6native12_GLOBAL__N_18offset_tEEE10hipError_tPvRmT1_PNSt15iterator_traitsIS12_E10value_typeET2_T3_PNS13_IS18_E10value_typeET4_jRbjT5_S1E_jjP12ihipStream_tbEUljE_ZNSN_ISO_Lb1ESQ_SR_ST_SU_SY_EESZ_S10_S11_S12_S16_S17_S18_S1B_S1C_jS1D_jS1E_S1E_jjS1G_bEUljE0_EEESZ_S10_S11_S18_S1C_S1E_T6_T7_T9_mT8_S1G_bDpT10_ENKUlT_T0_E_clISt17integral_constantIbLb0EES1T_IbLb1EEEEDaS1P_S1Q_EUlS1P_E_NS1_11comp_targetILNS1_3genE3ELNS1_11target_archE908ELNS1_3gpuE7ELNS1_3repE0EEENS1_30default_config_static_selectorELNS0_4arch9wavefront6targetE1EEEvS12_.num_agpr, 0
	.set _ZN7rocprim17ROCPRIM_400000_NS6detail17trampoline_kernelINS0_13select_configILj256ELj13ELNS0_17block_load_methodE3ELS4_3ELS4_3ELNS0_20block_scan_algorithmE0ELj4294967295EEENS1_25partition_config_selectorILNS1_17partition_subalgoE4EjNS0_10empty_typeEbEEZZNS1_14partition_implILS8_4ELb0ES6_15HIP_vector_typeIjLj2EENS0_17counting_iteratorIjlEEPS9_SG_NS0_5tupleIJPjSI_NS0_16reverse_iteratorISI_EEEEENSH_IJSG_SG_SG_EEES9_SI_JZNS1_25segmented_radix_sort_implINS0_14default_configELb1EPKdPdPKlPlN2at6native12_GLOBAL__N_18offset_tEEE10hipError_tPvRmT1_PNSt15iterator_traitsIS12_E10value_typeET2_T3_PNS13_IS18_E10value_typeET4_jRbjT5_S1E_jjP12ihipStream_tbEUljE_ZNSN_ISO_Lb1ESQ_SR_ST_SU_SY_EESZ_S10_S11_S12_S16_S17_S18_S1B_S1C_jS1D_jS1E_S1E_jjS1G_bEUljE0_EEESZ_S10_S11_S18_S1C_S1E_T6_T7_T9_mT8_S1G_bDpT10_ENKUlT_T0_E_clISt17integral_constantIbLb0EES1T_IbLb1EEEEDaS1P_S1Q_EUlS1P_E_NS1_11comp_targetILNS1_3genE3ELNS1_11target_archE908ELNS1_3gpuE7ELNS1_3repE0EEENS1_30default_config_static_selectorELNS0_4arch9wavefront6targetE1EEEvS12_.numbered_sgpr, 0
	.set _ZN7rocprim17ROCPRIM_400000_NS6detail17trampoline_kernelINS0_13select_configILj256ELj13ELNS0_17block_load_methodE3ELS4_3ELS4_3ELNS0_20block_scan_algorithmE0ELj4294967295EEENS1_25partition_config_selectorILNS1_17partition_subalgoE4EjNS0_10empty_typeEbEEZZNS1_14partition_implILS8_4ELb0ES6_15HIP_vector_typeIjLj2EENS0_17counting_iteratorIjlEEPS9_SG_NS0_5tupleIJPjSI_NS0_16reverse_iteratorISI_EEEEENSH_IJSG_SG_SG_EEES9_SI_JZNS1_25segmented_radix_sort_implINS0_14default_configELb1EPKdPdPKlPlN2at6native12_GLOBAL__N_18offset_tEEE10hipError_tPvRmT1_PNSt15iterator_traitsIS12_E10value_typeET2_T3_PNS13_IS18_E10value_typeET4_jRbjT5_S1E_jjP12ihipStream_tbEUljE_ZNSN_ISO_Lb1ESQ_SR_ST_SU_SY_EESZ_S10_S11_S12_S16_S17_S18_S1B_S1C_jS1D_jS1E_S1E_jjS1G_bEUljE0_EEESZ_S10_S11_S18_S1C_S1E_T6_T7_T9_mT8_S1G_bDpT10_ENKUlT_T0_E_clISt17integral_constantIbLb0EES1T_IbLb1EEEEDaS1P_S1Q_EUlS1P_E_NS1_11comp_targetILNS1_3genE3ELNS1_11target_archE908ELNS1_3gpuE7ELNS1_3repE0EEENS1_30default_config_static_selectorELNS0_4arch9wavefront6targetE1EEEvS12_.num_named_barrier, 0
	.set _ZN7rocprim17ROCPRIM_400000_NS6detail17trampoline_kernelINS0_13select_configILj256ELj13ELNS0_17block_load_methodE3ELS4_3ELS4_3ELNS0_20block_scan_algorithmE0ELj4294967295EEENS1_25partition_config_selectorILNS1_17partition_subalgoE4EjNS0_10empty_typeEbEEZZNS1_14partition_implILS8_4ELb0ES6_15HIP_vector_typeIjLj2EENS0_17counting_iteratorIjlEEPS9_SG_NS0_5tupleIJPjSI_NS0_16reverse_iteratorISI_EEEEENSH_IJSG_SG_SG_EEES9_SI_JZNS1_25segmented_radix_sort_implINS0_14default_configELb1EPKdPdPKlPlN2at6native12_GLOBAL__N_18offset_tEEE10hipError_tPvRmT1_PNSt15iterator_traitsIS12_E10value_typeET2_T3_PNS13_IS18_E10value_typeET4_jRbjT5_S1E_jjP12ihipStream_tbEUljE_ZNSN_ISO_Lb1ESQ_SR_ST_SU_SY_EESZ_S10_S11_S12_S16_S17_S18_S1B_S1C_jS1D_jS1E_S1E_jjS1G_bEUljE0_EEESZ_S10_S11_S18_S1C_S1E_T6_T7_T9_mT8_S1G_bDpT10_ENKUlT_T0_E_clISt17integral_constantIbLb0EES1T_IbLb1EEEEDaS1P_S1Q_EUlS1P_E_NS1_11comp_targetILNS1_3genE3ELNS1_11target_archE908ELNS1_3gpuE7ELNS1_3repE0EEENS1_30default_config_static_selectorELNS0_4arch9wavefront6targetE1EEEvS12_.private_seg_size, 0
	.set _ZN7rocprim17ROCPRIM_400000_NS6detail17trampoline_kernelINS0_13select_configILj256ELj13ELNS0_17block_load_methodE3ELS4_3ELS4_3ELNS0_20block_scan_algorithmE0ELj4294967295EEENS1_25partition_config_selectorILNS1_17partition_subalgoE4EjNS0_10empty_typeEbEEZZNS1_14partition_implILS8_4ELb0ES6_15HIP_vector_typeIjLj2EENS0_17counting_iteratorIjlEEPS9_SG_NS0_5tupleIJPjSI_NS0_16reverse_iteratorISI_EEEEENSH_IJSG_SG_SG_EEES9_SI_JZNS1_25segmented_radix_sort_implINS0_14default_configELb1EPKdPdPKlPlN2at6native12_GLOBAL__N_18offset_tEEE10hipError_tPvRmT1_PNSt15iterator_traitsIS12_E10value_typeET2_T3_PNS13_IS18_E10value_typeET4_jRbjT5_S1E_jjP12ihipStream_tbEUljE_ZNSN_ISO_Lb1ESQ_SR_ST_SU_SY_EESZ_S10_S11_S12_S16_S17_S18_S1B_S1C_jS1D_jS1E_S1E_jjS1G_bEUljE0_EEESZ_S10_S11_S18_S1C_S1E_T6_T7_T9_mT8_S1G_bDpT10_ENKUlT_T0_E_clISt17integral_constantIbLb0EES1T_IbLb1EEEEDaS1P_S1Q_EUlS1P_E_NS1_11comp_targetILNS1_3genE3ELNS1_11target_archE908ELNS1_3gpuE7ELNS1_3repE0EEENS1_30default_config_static_selectorELNS0_4arch9wavefront6targetE1EEEvS12_.uses_vcc, 0
	.set _ZN7rocprim17ROCPRIM_400000_NS6detail17trampoline_kernelINS0_13select_configILj256ELj13ELNS0_17block_load_methodE3ELS4_3ELS4_3ELNS0_20block_scan_algorithmE0ELj4294967295EEENS1_25partition_config_selectorILNS1_17partition_subalgoE4EjNS0_10empty_typeEbEEZZNS1_14partition_implILS8_4ELb0ES6_15HIP_vector_typeIjLj2EENS0_17counting_iteratorIjlEEPS9_SG_NS0_5tupleIJPjSI_NS0_16reverse_iteratorISI_EEEEENSH_IJSG_SG_SG_EEES9_SI_JZNS1_25segmented_radix_sort_implINS0_14default_configELb1EPKdPdPKlPlN2at6native12_GLOBAL__N_18offset_tEEE10hipError_tPvRmT1_PNSt15iterator_traitsIS12_E10value_typeET2_T3_PNS13_IS18_E10value_typeET4_jRbjT5_S1E_jjP12ihipStream_tbEUljE_ZNSN_ISO_Lb1ESQ_SR_ST_SU_SY_EESZ_S10_S11_S12_S16_S17_S18_S1B_S1C_jS1D_jS1E_S1E_jjS1G_bEUljE0_EEESZ_S10_S11_S18_S1C_S1E_T6_T7_T9_mT8_S1G_bDpT10_ENKUlT_T0_E_clISt17integral_constantIbLb0EES1T_IbLb1EEEEDaS1P_S1Q_EUlS1P_E_NS1_11comp_targetILNS1_3genE3ELNS1_11target_archE908ELNS1_3gpuE7ELNS1_3repE0EEENS1_30default_config_static_selectorELNS0_4arch9wavefront6targetE1EEEvS12_.uses_flat_scratch, 0
	.set _ZN7rocprim17ROCPRIM_400000_NS6detail17trampoline_kernelINS0_13select_configILj256ELj13ELNS0_17block_load_methodE3ELS4_3ELS4_3ELNS0_20block_scan_algorithmE0ELj4294967295EEENS1_25partition_config_selectorILNS1_17partition_subalgoE4EjNS0_10empty_typeEbEEZZNS1_14partition_implILS8_4ELb0ES6_15HIP_vector_typeIjLj2EENS0_17counting_iteratorIjlEEPS9_SG_NS0_5tupleIJPjSI_NS0_16reverse_iteratorISI_EEEEENSH_IJSG_SG_SG_EEES9_SI_JZNS1_25segmented_radix_sort_implINS0_14default_configELb1EPKdPdPKlPlN2at6native12_GLOBAL__N_18offset_tEEE10hipError_tPvRmT1_PNSt15iterator_traitsIS12_E10value_typeET2_T3_PNS13_IS18_E10value_typeET4_jRbjT5_S1E_jjP12ihipStream_tbEUljE_ZNSN_ISO_Lb1ESQ_SR_ST_SU_SY_EESZ_S10_S11_S12_S16_S17_S18_S1B_S1C_jS1D_jS1E_S1E_jjS1G_bEUljE0_EEESZ_S10_S11_S18_S1C_S1E_T6_T7_T9_mT8_S1G_bDpT10_ENKUlT_T0_E_clISt17integral_constantIbLb0EES1T_IbLb1EEEEDaS1P_S1Q_EUlS1P_E_NS1_11comp_targetILNS1_3genE3ELNS1_11target_archE908ELNS1_3gpuE7ELNS1_3repE0EEENS1_30default_config_static_selectorELNS0_4arch9wavefront6targetE1EEEvS12_.has_dyn_sized_stack, 0
	.set _ZN7rocprim17ROCPRIM_400000_NS6detail17trampoline_kernelINS0_13select_configILj256ELj13ELNS0_17block_load_methodE3ELS4_3ELS4_3ELNS0_20block_scan_algorithmE0ELj4294967295EEENS1_25partition_config_selectorILNS1_17partition_subalgoE4EjNS0_10empty_typeEbEEZZNS1_14partition_implILS8_4ELb0ES6_15HIP_vector_typeIjLj2EENS0_17counting_iteratorIjlEEPS9_SG_NS0_5tupleIJPjSI_NS0_16reverse_iteratorISI_EEEEENSH_IJSG_SG_SG_EEES9_SI_JZNS1_25segmented_radix_sort_implINS0_14default_configELb1EPKdPdPKlPlN2at6native12_GLOBAL__N_18offset_tEEE10hipError_tPvRmT1_PNSt15iterator_traitsIS12_E10value_typeET2_T3_PNS13_IS18_E10value_typeET4_jRbjT5_S1E_jjP12ihipStream_tbEUljE_ZNSN_ISO_Lb1ESQ_SR_ST_SU_SY_EESZ_S10_S11_S12_S16_S17_S18_S1B_S1C_jS1D_jS1E_S1E_jjS1G_bEUljE0_EEESZ_S10_S11_S18_S1C_S1E_T6_T7_T9_mT8_S1G_bDpT10_ENKUlT_T0_E_clISt17integral_constantIbLb0EES1T_IbLb1EEEEDaS1P_S1Q_EUlS1P_E_NS1_11comp_targetILNS1_3genE3ELNS1_11target_archE908ELNS1_3gpuE7ELNS1_3repE0EEENS1_30default_config_static_selectorELNS0_4arch9wavefront6targetE1EEEvS12_.has_recursion, 0
	.set _ZN7rocprim17ROCPRIM_400000_NS6detail17trampoline_kernelINS0_13select_configILj256ELj13ELNS0_17block_load_methodE3ELS4_3ELS4_3ELNS0_20block_scan_algorithmE0ELj4294967295EEENS1_25partition_config_selectorILNS1_17partition_subalgoE4EjNS0_10empty_typeEbEEZZNS1_14partition_implILS8_4ELb0ES6_15HIP_vector_typeIjLj2EENS0_17counting_iteratorIjlEEPS9_SG_NS0_5tupleIJPjSI_NS0_16reverse_iteratorISI_EEEEENSH_IJSG_SG_SG_EEES9_SI_JZNS1_25segmented_radix_sort_implINS0_14default_configELb1EPKdPdPKlPlN2at6native12_GLOBAL__N_18offset_tEEE10hipError_tPvRmT1_PNSt15iterator_traitsIS12_E10value_typeET2_T3_PNS13_IS18_E10value_typeET4_jRbjT5_S1E_jjP12ihipStream_tbEUljE_ZNSN_ISO_Lb1ESQ_SR_ST_SU_SY_EESZ_S10_S11_S12_S16_S17_S18_S1B_S1C_jS1D_jS1E_S1E_jjS1G_bEUljE0_EEESZ_S10_S11_S18_S1C_S1E_T6_T7_T9_mT8_S1G_bDpT10_ENKUlT_T0_E_clISt17integral_constantIbLb0EES1T_IbLb1EEEEDaS1P_S1Q_EUlS1P_E_NS1_11comp_targetILNS1_3genE3ELNS1_11target_archE908ELNS1_3gpuE7ELNS1_3repE0EEENS1_30default_config_static_selectorELNS0_4arch9wavefront6targetE1EEEvS12_.has_indirect_call, 0
	.section	.AMDGPU.csdata,"",@progbits
; Kernel info:
; codeLenInByte = 0
; TotalNumSgprs: 4
; NumVgprs: 0
; ScratchSize: 0
; MemoryBound: 0
; FloatMode: 240
; IeeeMode: 1
; LDSByteSize: 0 bytes/workgroup (compile time only)
; SGPRBlocks: 0
; VGPRBlocks: 0
; NumSGPRsForWavesPerEU: 4
; NumVGPRsForWavesPerEU: 1
; Occupancy: 10
; WaveLimiterHint : 0
; COMPUTE_PGM_RSRC2:SCRATCH_EN: 0
; COMPUTE_PGM_RSRC2:USER_SGPR: 6
; COMPUTE_PGM_RSRC2:TRAP_HANDLER: 0
; COMPUTE_PGM_RSRC2:TGID_X_EN: 1
; COMPUTE_PGM_RSRC2:TGID_Y_EN: 0
; COMPUTE_PGM_RSRC2:TGID_Z_EN: 0
; COMPUTE_PGM_RSRC2:TIDIG_COMP_CNT: 0
	.section	.text._ZN7rocprim17ROCPRIM_400000_NS6detail17trampoline_kernelINS0_13select_configILj256ELj13ELNS0_17block_load_methodE3ELS4_3ELS4_3ELNS0_20block_scan_algorithmE0ELj4294967295EEENS1_25partition_config_selectorILNS1_17partition_subalgoE4EjNS0_10empty_typeEbEEZZNS1_14partition_implILS8_4ELb0ES6_15HIP_vector_typeIjLj2EENS0_17counting_iteratorIjlEEPS9_SG_NS0_5tupleIJPjSI_NS0_16reverse_iteratorISI_EEEEENSH_IJSG_SG_SG_EEES9_SI_JZNS1_25segmented_radix_sort_implINS0_14default_configELb1EPKdPdPKlPlN2at6native12_GLOBAL__N_18offset_tEEE10hipError_tPvRmT1_PNSt15iterator_traitsIS12_E10value_typeET2_T3_PNS13_IS18_E10value_typeET4_jRbjT5_S1E_jjP12ihipStream_tbEUljE_ZNSN_ISO_Lb1ESQ_SR_ST_SU_SY_EESZ_S10_S11_S12_S16_S17_S18_S1B_S1C_jS1D_jS1E_S1E_jjS1G_bEUljE0_EEESZ_S10_S11_S18_S1C_S1E_T6_T7_T9_mT8_S1G_bDpT10_ENKUlT_T0_E_clISt17integral_constantIbLb0EES1T_IbLb1EEEEDaS1P_S1Q_EUlS1P_E_NS1_11comp_targetILNS1_3genE2ELNS1_11target_archE906ELNS1_3gpuE6ELNS1_3repE0EEENS1_30default_config_static_selectorELNS0_4arch9wavefront6targetE1EEEvS12_,"axG",@progbits,_ZN7rocprim17ROCPRIM_400000_NS6detail17trampoline_kernelINS0_13select_configILj256ELj13ELNS0_17block_load_methodE3ELS4_3ELS4_3ELNS0_20block_scan_algorithmE0ELj4294967295EEENS1_25partition_config_selectorILNS1_17partition_subalgoE4EjNS0_10empty_typeEbEEZZNS1_14partition_implILS8_4ELb0ES6_15HIP_vector_typeIjLj2EENS0_17counting_iteratorIjlEEPS9_SG_NS0_5tupleIJPjSI_NS0_16reverse_iteratorISI_EEEEENSH_IJSG_SG_SG_EEES9_SI_JZNS1_25segmented_radix_sort_implINS0_14default_configELb1EPKdPdPKlPlN2at6native12_GLOBAL__N_18offset_tEEE10hipError_tPvRmT1_PNSt15iterator_traitsIS12_E10value_typeET2_T3_PNS13_IS18_E10value_typeET4_jRbjT5_S1E_jjP12ihipStream_tbEUljE_ZNSN_ISO_Lb1ESQ_SR_ST_SU_SY_EESZ_S10_S11_S12_S16_S17_S18_S1B_S1C_jS1D_jS1E_S1E_jjS1G_bEUljE0_EEESZ_S10_S11_S18_S1C_S1E_T6_T7_T9_mT8_S1G_bDpT10_ENKUlT_T0_E_clISt17integral_constantIbLb0EES1T_IbLb1EEEEDaS1P_S1Q_EUlS1P_E_NS1_11comp_targetILNS1_3genE2ELNS1_11target_archE906ELNS1_3gpuE6ELNS1_3repE0EEENS1_30default_config_static_selectorELNS0_4arch9wavefront6targetE1EEEvS12_,comdat
	.globl	_ZN7rocprim17ROCPRIM_400000_NS6detail17trampoline_kernelINS0_13select_configILj256ELj13ELNS0_17block_load_methodE3ELS4_3ELS4_3ELNS0_20block_scan_algorithmE0ELj4294967295EEENS1_25partition_config_selectorILNS1_17partition_subalgoE4EjNS0_10empty_typeEbEEZZNS1_14partition_implILS8_4ELb0ES6_15HIP_vector_typeIjLj2EENS0_17counting_iteratorIjlEEPS9_SG_NS0_5tupleIJPjSI_NS0_16reverse_iteratorISI_EEEEENSH_IJSG_SG_SG_EEES9_SI_JZNS1_25segmented_radix_sort_implINS0_14default_configELb1EPKdPdPKlPlN2at6native12_GLOBAL__N_18offset_tEEE10hipError_tPvRmT1_PNSt15iterator_traitsIS12_E10value_typeET2_T3_PNS13_IS18_E10value_typeET4_jRbjT5_S1E_jjP12ihipStream_tbEUljE_ZNSN_ISO_Lb1ESQ_SR_ST_SU_SY_EESZ_S10_S11_S12_S16_S17_S18_S1B_S1C_jS1D_jS1E_S1E_jjS1G_bEUljE0_EEESZ_S10_S11_S18_S1C_S1E_T6_T7_T9_mT8_S1G_bDpT10_ENKUlT_T0_E_clISt17integral_constantIbLb0EES1T_IbLb1EEEEDaS1P_S1Q_EUlS1P_E_NS1_11comp_targetILNS1_3genE2ELNS1_11target_archE906ELNS1_3gpuE6ELNS1_3repE0EEENS1_30default_config_static_selectorELNS0_4arch9wavefront6targetE1EEEvS12_ ; -- Begin function _ZN7rocprim17ROCPRIM_400000_NS6detail17trampoline_kernelINS0_13select_configILj256ELj13ELNS0_17block_load_methodE3ELS4_3ELS4_3ELNS0_20block_scan_algorithmE0ELj4294967295EEENS1_25partition_config_selectorILNS1_17partition_subalgoE4EjNS0_10empty_typeEbEEZZNS1_14partition_implILS8_4ELb0ES6_15HIP_vector_typeIjLj2EENS0_17counting_iteratorIjlEEPS9_SG_NS0_5tupleIJPjSI_NS0_16reverse_iteratorISI_EEEEENSH_IJSG_SG_SG_EEES9_SI_JZNS1_25segmented_radix_sort_implINS0_14default_configELb1EPKdPdPKlPlN2at6native12_GLOBAL__N_18offset_tEEE10hipError_tPvRmT1_PNSt15iterator_traitsIS12_E10value_typeET2_T3_PNS13_IS18_E10value_typeET4_jRbjT5_S1E_jjP12ihipStream_tbEUljE_ZNSN_ISO_Lb1ESQ_SR_ST_SU_SY_EESZ_S10_S11_S12_S16_S17_S18_S1B_S1C_jS1D_jS1E_S1E_jjS1G_bEUljE0_EEESZ_S10_S11_S18_S1C_S1E_T6_T7_T9_mT8_S1G_bDpT10_ENKUlT_T0_E_clISt17integral_constantIbLb0EES1T_IbLb1EEEEDaS1P_S1Q_EUlS1P_E_NS1_11comp_targetILNS1_3genE2ELNS1_11target_archE906ELNS1_3gpuE6ELNS1_3repE0EEENS1_30default_config_static_selectorELNS0_4arch9wavefront6targetE1EEEvS12_
	.p2align	8
	.type	_ZN7rocprim17ROCPRIM_400000_NS6detail17trampoline_kernelINS0_13select_configILj256ELj13ELNS0_17block_load_methodE3ELS4_3ELS4_3ELNS0_20block_scan_algorithmE0ELj4294967295EEENS1_25partition_config_selectorILNS1_17partition_subalgoE4EjNS0_10empty_typeEbEEZZNS1_14partition_implILS8_4ELb0ES6_15HIP_vector_typeIjLj2EENS0_17counting_iteratorIjlEEPS9_SG_NS0_5tupleIJPjSI_NS0_16reverse_iteratorISI_EEEEENSH_IJSG_SG_SG_EEES9_SI_JZNS1_25segmented_radix_sort_implINS0_14default_configELb1EPKdPdPKlPlN2at6native12_GLOBAL__N_18offset_tEEE10hipError_tPvRmT1_PNSt15iterator_traitsIS12_E10value_typeET2_T3_PNS13_IS18_E10value_typeET4_jRbjT5_S1E_jjP12ihipStream_tbEUljE_ZNSN_ISO_Lb1ESQ_SR_ST_SU_SY_EESZ_S10_S11_S12_S16_S17_S18_S1B_S1C_jS1D_jS1E_S1E_jjS1G_bEUljE0_EEESZ_S10_S11_S18_S1C_S1E_T6_T7_T9_mT8_S1G_bDpT10_ENKUlT_T0_E_clISt17integral_constantIbLb0EES1T_IbLb1EEEEDaS1P_S1Q_EUlS1P_E_NS1_11comp_targetILNS1_3genE2ELNS1_11target_archE906ELNS1_3gpuE6ELNS1_3repE0EEENS1_30default_config_static_selectorELNS0_4arch9wavefront6targetE1EEEvS12_,@function
_ZN7rocprim17ROCPRIM_400000_NS6detail17trampoline_kernelINS0_13select_configILj256ELj13ELNS0_17block_load_methodE3ELS4_3ELS4_3ELNS0_20block_scan_algorithmE0ELj4294967295EEENS1_25partition_config_selectorILNS1_17partition_subalgoE4EjNS0_10empty_typeEbEEZZNS1_14partition_implILS8_4ELb0ES6_15HIP_vector_typeIjLj2EENS0_17counting_iteratorIjlEEPS9_SG_NS0_5tupleIJPjSI_NS0_16reverse_iteratorISI_EEEEENSH_IJSG_SG_SG_EEES9_SI_JZNS1_25segmented_radix_sort_implINS0_14default_configELb1EPKdPdPKlPlN2at6native12_GLOBAL__N_18offset_tEEE10hipError_tPvRmT1_PNSt15iterator_traitsIS12_E10value_typeET2_T3_PNS13_IS18_E10value_typeET4_jRbjT5_S1E_jjP12ihipStream_tbEUljE_ZNSN_ISO_Lb1ESQ_SR_ST_SU_SY_EESZ_S10_S11_S12_S16_S17_S18_S1B_S1C_jS1D_jS1E_S1E_jjS1G_bEUljE0_EEESZ_S10_S11_S18_S1C_S1E_T6_T7_T9_mT8_S1G_bDpT10_ENKUlT_T0_E_clISt17integral_constantIbLb0EES1T_IbLb1EEEEDaS1P_S1Q_EUlS1P_E_NS1_11comp_targetILNS1_3genE2ELNS1_11target_archE906ELNS1_3gpuE6ELNS1_3repE0EEENS1_30default_config_static_selectorELNS0_4arch9wavefront6targetE1EEEvS12_: ; @_ZN7rocprim17ROCPRIM_400000_NS6detail17trampoline_kernelINS0_13select_configILj256ELj13ELNS0_17block_load_methodE3ELS4_3ELS4_3ELNS0_20block_scan_algorithmE0ELj4294967295EEENS1_25partition_config_selectorILNS1_17partition_subalgoE4EjNS0_10empty_typeEbEEZZNS1_14partition_implILS8_4ELb0ES6_15HIP_vector_typeIjLj2EENS0_17counting_iteratorIjlEEPS9_SG_NS0_5tupleIJPjSI_NS0_16reverse_iteratorISI_EEEEENSH_IJSG_SG_SG_EEES9_SI_JZNS1_25segmented_radix_sort_implINS0_14default_configELb1EPKdPdPKlPlN2at6native12_GLOBAL__N_18offset_tEEE10hipError_tPvRmT1_PNSt15iterator_traitsIS12_E10value_typeET2_T3_PNS13_IS18_E10value_typeET4_jRbjT5_S1E_jjP12ihipStream_tbEUljE_ZNSN_ISO_Lb1ESQ_SR_ST_SU_SY_EESZ_S10_S11_S12_S16_S17_S18_S1B_S1C_jS1D_jS1E_S1E_jjS1G_bEUljE0_EEESZ_S10_S11_S18_S1C_S1E_T6_T7_T9_mT8_S1G_bDpT10_ENKUlT_T0_E_clISt17integral_constantIbLb0EES1T_IbLb1EEEEDaS1P_S1Q_EUlS1P_E_NS1_11comp_targetILNS1_3genE2ELNS1_11target_archE906ELNS1_3gpuE6ELNS1_3repE0EEENS1_30default_config_static_selectorELNS0_4arch9wavefront6targetE1EEEvS12_
; %bb.0:
	s_load_dwordx2 s[52:53], s[4:5], 0x10
	s_load_dwordx4 s[48:51], s[4:5], 0x28
	s_load_dwordx2 s[30:31], s[4:5], 0x38
	s_load_dwordx4 s[44:47], s[4:5], 0x58
	s_load_dwordx2 s[6:7], s[4:5], 0x68
	s_load_dwordx2 s[54:55], s[4:5], 0x78
	;; [unrolled: 1-line block ×3, first 2 shown]
	s_load_dwordx8 s[36:43], s[4:5], 0x90
	v_cmp_eq_u32_e64 s[0:1], 0, v0
	s_and_saveexec_b64 s[2:3], s[0:1]
	s_cbranch_execz .LBB1082_4
; %bb.1:
	s_mov_b64 s[10:11], exec
	v_mbcnt_lo_u32_b32 v1, s10, 0
	v_mbcnt_hi_u32_b32 v1, s11, v1
	v_cmp_eq_u32_e32 vcc, 0, v1
                                        ; implicit-def: $vgpr2
	s_and_saveexec_b64 s[8:9], vcc
	s_cbranch_execz .LBB1082_3
; %bb.2:
	s_load_dwordx2 s[12:13], s[4:5], 0x88
	s_bcnt1_i32_b64 s10, s[10:11]
	v_mov_b32_e32 v2, 0
	v_mov_b32_e32 v3, s10
	s_waitcnt lgkmcnt(0)
	global_atomic_add v2, v2, v3, s[12:13] glc
.LBB1082_3:
	s_or_b64 exec, exec, s[8:9]
	s_waitcnt vmcnt(0)
	v_readfirstlane_b32 s8, v2
	v_add_u32_e32 v1, s8, v1
	v_mov_b32_e32 v2, 0
	ds_write_b32 v2, v1
.LBB1082_4:
	s_or_b64 exec, exec, s[2:3]
	v_mov_b32_e32 v1, 0
	s_load_dword s2, s[4:5], 0x8
	s_load_dword s8, s[4:5], 0x80
	s_waitcnt lgkmcnt(0)
	s_barrier
	ds_read_b32 v7, v1
	s_waitcnt lgkmcnt(0)
	s_barrier
	global_load_dwordx4 v[1:4], v1, s[46:47]
	s_add_i32 s9, s2, s52
	s_movk_i32 s2, 0xd00
	s_add_i32 s4, s8, -1
	s_mulk_i32 s8, 0xd00
	v_mul_lo_u32 v33, v7, s2
	s_add_u32 s2, s52, s8
	s_addc_u32 s3, s53, 0
	v_mov_b32_e32 v6, s3
	v_mov_b32_e32 v5, s2
	v_readfirstlane_b32 s33, v7
	v_cmp_gt_u64_e32 vcc, s[6:7], v[5:6]
	s_cmp_eq_u32 s33, s4
	v_cmp_ne_u32_e64 s[2:3], s4, v7
	s_cselect_b64 s[34:35], -1, 0
	s_or_b64 s[4:5], vcc, s[2:3]
	v_add_u32_e32 v5, s9, v33
	s_mov_b64 s[2:3], -1
	s_and_b64 vcc, exec, s[4:5]
	v_add_u32_e32 v5, v5, v0
	s_cbranch_vccz .LBB1082_6
; %bb.5:
	v_add_u32_e32 v6, 0x100, v5
	v_lshlrev_b32_e32 v18, 2, v0
	v_add_u32_e32 v7, 0x200, v5
	v_add_u32_e32 v8, 0x300, v5
	;; [unrolled: 1-line block ×11, first 2 shown]
	ds_write2st64_b32 v18, v5, v6 offset1:4
	ds_write2st64_b32 v18, v7, v8 offset0:8 offset1:12
	ds_write2st64_b32 v18, v9, v10 offset0:16 offset1:20
	;; [unrolled: 1-line block ×5, first 2 shown]
	ds_write_b32 v18, v17 offset:12288
	s_waitcnt vmcnt(0) lgkmcnt(0)
	s_barrier
	s_mov_b64 s[2:3], 0
.LBB1082_6:
	s_andn2_b64 vcc, exec, s[2:3]
	s_add_i32 s8, s8, s52
	s_cbranch_vccnz .LBB1082_8
; %bb.7:
	v_add_u32_e32 v6, 0x100, v5
	v_lshlrev_b32_e32 v18, 2, v0
	v_add_u32_e32 v7, 0x200, v5
	v_add_u32_e32 v8, 0x300, v5
	;; [unrolled: 1-line block ×11, first 2 shown]
	ds_write2st64_b32 v18, v5, v6 offset1:4
	ds_write2st64_b32 v18, v7, v8 offset0:8 offset1:12
	ds_write2st64_b32 v18, v9, v10 offset0:16 offset1:20
	;; [unrolled: 1-line block ×5, first 2 shown]
	ds_write_b32 v18, v17 offset:12288
	s_waitcnt vmcnt(0) lgkmcnt(0)
	s_barrier
.LBB1082_8:
	v_mul_u32_u24_e32 v35, 13, v0
	v_lshlrev_b32_e32 v5, 2, v35
	ds_read_b32 v34, v5 offset:48
	ds_read2_b32 v[13:14], v5 offset0:10 offset1:11
	ds_read2_b32 v[15:16], v5 offset0:8 offset1:9
	;; [unrolled: 1-line block ×4, first 2 shown]
	ds_read2_b32 v[23:24], v5 offset1:1
	ds_read2_b32 v[21:22], v5 offset0:2 offset1:3
	v_cndmask_b32_e64 v5, 0, 1, s[4:5]
	s_sub_i32 s86, s6, s8
	v_cmp_ne_u32_e64 s[2:3], 1, v5
	s_andn2_b64 vcc, exec, s[4:5]
	s_waitcnt vmcnt(0) lgkmcnt(0)
	s_barrier
	s_cbranch_vccnz .LBB1082_36
; %bb.9:
	v_add_u32_e32 v5, s37, v23
	v_add_u32_e32 v6, s39, v23
	v_mul_lo_u32 v5, v5, s36
	v_mul_lo_u32 v6, v6, s38
	s_mov_b64 s[58:59], 0
	s_mov_b64 s[46:47], 0
	v_sub_u32_e32 v5, v5, v6
	v_cmp_lt_u32_e32 vcc, s40, v5
	v_cmp_ge_u32_e64 s[4:5], s40, v5
	s_and_saveexec_b64 s[6:7], s[4:5]
	s_cbranch_execz .LBB1082_11
; %bb.10:
	v_add_u32_e32 v5, s42, v23
	v_add_u32_e32 v6, s56, v23
	v_mul_lo_u32 v5, v5, s41
	v_mul_lo_u32 v6, v6, s43
	v_sub_u32_e32 v5, v5, v6
	v_cmp_lt_u32_e64 s[4:5], s57, v5
	s_and_b64 s[46:47], s[4:5], exec
.LBB1082_11:
	s_or_b64 exec, exec, s[6:7]
	v_add_u32_e32 v5, s37, v24
	v_add_u32_e32 v6, s39, v24
	v_mul_lo_u32 v5, v5, s36
	v_mul_lo_u32 v6, v6, s38
	v_sub_u32_e32 v5, v5, v6
	v_cmp_lt_u32_e64 s[4:5], s40, v5
	v_cmp_ge_u32_e64 s[6:7], s40, v5
	s_and_saveexec_b64 s[8:9], s[6:7]
	s_cbranch_execz .LBB1082_13
; %bb.12:
	v_add_u32_e32 v5, s42, v24
	v_add_u32_e32 v6, s56, v24
	v_mul_lo_u32 v5, v5, s41
	v_mul_lo_u32 v6, v6, s43
	v_sub_u32_e32 v5, v5, v6
	v_cmp_lt_u32_e64 s[6:7], s57, v5
	s_and_b64 s[58:59], s[6:7], exec
.LBB1082_13:
	s_or_b64 exec, exec, s[8:9]
	v_add_u32_e32 v5, s37, v21
	v_add_u32_e32 v6, s39, v21
	v_mul_lo_u32 v5, v5, s36
	v_mul_lo_u32 v6, v6, s38
	s_mov_b64 s[62:63], 0
	s_mov_b64 s[60:61], 0
	v_sub_u32_e32 v5, v5, v6
	v_cmp_lt_u32_e64 s[6:7], s40, v5
	v_cmp_ge_u32_e64 s[8:9], s40, v5
	s_and_saveexec_b64 s[10:11], s[8:9]
	s_cbranch_execz .LBB1082_15
; %bb.14:
	v_add_u32_e32 v5, s42, v21
	v_add_u32_e32 v6, s56, v21
	v_mul_lo_u32 v5, v5, s41
	v_mul_lo_u32 v6, v6, s43
	v_sub_u32_e32 v5, v5, v6
	v_cmp_lt_u32_e64 s[8:9], s57, v5
	s_and_b64 s[60:61], s[8:9], exec
.LBB1082_15:
	s_or_b64 exec, exec, s[10:11]
	v_add_u32_e32 v5, s37, v22
	v_add_u32_e32 v6, s39, v22
	v_mul_lo_u32 v5, v5, s36
	v_mul_lo_u32 v6, v6, s38
	v_sub_u32_e32 v5, v5, v6
	v_cmp_lt_u32_e64 s[8:9], s40, v5
	v_cmp_ge_u32_e64 s[10:11], s40, v5
	s_and_saveexec_b64 s[12:13], s[10:11]
	s_cbranch_execz .LBB1082_17
; %bb.16:
	v_add_u32_e32 v5, s42, v22
	v_add_u32_e32 v6, s56, v22
	v_mul_lo_u32 v5, v5, s41
	v_mul_lo_u32 v6, v6, s43
	v_sub_u32_e32 v5, v5, v6
	v_cmp_lt_u32_e64 s[10:11], s57, v5
	s_and_b64 s[62:63], s[10:11], exec
.LBB1082_17:
	s_or_b64 exec, exec, s[12:13]
	v_add_u32_e32 v5, s37, v19
	v_add_u32_e32 v6, s39, v19
	v_mul_lo_u32 v5, v5, s36
	v_mul_lo_u32 v6, v6, s38
	s_mov_b64 s[66:67], 0
	s_mov_b64 s[64:65], 0
	v_sub_u32_e32 v5, v5, v6
	v_cmp_lt_u32_e64 s[10:11], s40, v5
	;; [unrolled: 40-line block ×6, first 2 shown]
	v_cmp_ge_u32_e64 s[28:29], s40, v5
	s_and_saveexec_b64 s[84:85], s[28:29]
	s_cbranch_execz .LBB1082_35
; %bb.34:
	v_add_u32_e32 v5, s42, v34
	v_add_u32_e32 v6, s56, v34
	v_mul_lo_u32 v5, v5, s41
	v_mul_lo_u32 v6, v6, s43
	v_sub_u32_e32 v5, v5, v6
	v_cmp_lt_u32_e64 s[28:29], s57, v5
	s_and_b64 s[82:83], s[28:29], exec
.LBB1082_35:
	s_or_b64 exec, exec, s[84:85]
	v_cndmask_b32_e64 v6, 0, 1, s[4:5]
	v_cndmask_b32_e64 v5, 0, 1, vcc
	v_cndmask_b32_e64 v8, 0, 1, s[8:9]
	v_lshlrev_b16_e32 v6, 8, v6
	v_cndmask_b32_e64 v7, 0, 1, s[6:7]
	v_or_b32_e32 v5, v5, v6
	v_lshlrev_b16_e32 v6, 8, v8
	v_cndmask_b32_e64 v10, 0, 1, s[12:13]
	v_cndmask_b32_e64 v12, 0, 1, s[16:17]
	v_or_b32_sdwa v6, v7, v6 dst_sel:WORD_1 dst_unused:UNUSED_PAD src0_sel:DWORD src1_sel:DWORD
	v_cndmask_b32_e64 v9, 0, 1, s[10:11]
	v_cndmask_b32_e64 v11, 0, 1, s[14:15]
	v_or_b32_sdwa v36, v5, v6 dst_sel:DWORD dst_unused:UNUSED_PAD src0_sel:WORD_0 src1_sel:DWORD
	v_lshlrev_b16_e32 v5, 8, v10
	v_lshlrev_b16_e32 v6, 8, v12
	v_cndmask_b32_e64 v26, 0, 1, s[20:21]
	v_cndmask_b32_e64 v29, 0, 1, s[24:25]
	v_or_b32_e32 v5, v9, v5
	v_or_b32_sdwa v6, v11, v6 dst_sel:WORD_1 dst_unused:UNUSED_PAD src0_sel:DWORD src1_sel:DWORD
	v_cndmask_b32_e64 v25, 0, 1, s[18:19]
	v_cndmask_b32_e64 v27, 0, 1, s[22:23]
	v_or_b32_sdwa v38, v5, v6 dst_sel:DWORD dst_unused:UNUSED_PAD src0_sel:WORD_0 src1_sel:DWORD
	v_lshlrev_b16_e32 v5, 8, v26
	v_lshlrev_b16_e32 v6, 8, v29
	v_cndmask_b32_e64 v42, 0, 1, s[60:61]
	v_cndmask_b32_e64 v47, 0, 1, s[46:47]
	v_or_b32_e32 v5, v25, v5
	;; [unrolled: 9-line block ×4, first 2 shown]
	v_or_b32_sdwa v6, v39, v6 dst_sel:WORD_1 dst_unused:UNUSED_PAD src0_sel:DWORD src1_sel:DWORD
	v_cndmask_b32_e64 v30, 0, 1, s[74:75]
	v_cndmask_b32_e64 v32, 0, 1, s[70:71]
	v_or_b32_sdwa v37, v5, v6 dst_sel:DWORD dst_unused:UNUSED_PAD src0_sel:WORD_0 src1_sel:DWORD
	v_lshlrev_b16_e32 v5, 8, v31
	v_lshlrev_b16_e32 v6, 8, v28
	v_or_b32_e32 v5, v32, v5
	v_or_b32_sdwa v6, v30, v6 dst_sel:WORD_1 dst_unused:UNUSED_PAD src0_sel:DWORD src1_sel:DWORD
	v_cndmask_b32_e64 v40, 0, 1, s[78:79]
	v_cndmask_b32_e64 v43, 0, 1, s[82:83]
	v_or_b32_sdwa v39, v5, v6 dst_sel:DWORD dst_unused:UNUSED_PAD src0_sel:WORD_0 src1_sel:DWORD
	s_add_i32 s16, s86, 0xd00
	s_and_b64 vcc, exec, s[76:77]
	s_cbranch_vccnz .LBB1082_37
	s_branch .LBB1082_114
.LBB1082_36:
                                        ; implicit-def: $vgpr43
                                        ; implicit-def: $vgpr40
                                        ; implicit-def: $vgpr39
                                        ; implicit-def: $vgpr37
                                        ; implicit-def: $vgpr42
                                        ; implicit-def: $vgpr41
                                        ; implicit-def: $vgpr38
                                        ; implicit-def: $vgpr36
	s_add_i32 s16, s86, 0xd00
	s_cbranch_execz .LBB1082_114
.LBB1082_37:
	v_cmp_gt_u32_e32 vcc, s16, v35
	v_mov_b32_e32 v6, 0
	v_mov_b32_e32 v5, 0
	s_and_saveexec_b64 s[6:7], vcc
	s_cbranch_execz .LBB1082_41
; %bb.38:
	v_add_u32_e32 v5, s37, v23
	v_add_u32_e32 v6, s39, v23
	v_mul_lo_u32 v5, v5, s36
	v_mul_lo_u32 v6, v6, s38
	s_mov_b64 s[10:11], 0
	v_sub_u32_e32 v5, v5, v6
	v_cmp_lt_u32_e32 vcc, s40, v5
	v_cmp_ge_u32_e64 s[4:5], s40, v5
	s_and_saveexec_b64 s[8:9], s[4:5]
	s_cbranch_execz .LBB1082_40
; %bb.39:
	v_add_u32_e32 v5, s42, v23
	v_add_u32_e32 v6, s56, v23
	v_mul_lo_u32 v5, v5, s41
	v_mul_lo_u32 v6, v6, s43
	v_sub_u32_e32 v5, v5, v6
	v_cmp_lt_u32_e64 s[4:5], s57, v5
	s_and_b64 s[10:11], s[4:5], exec
.LBB1082_40:
	s_or_b64 exec, exec, s[8:9]
	v_cndmask_b32_e64 v6, 0, 1, s[10:11]
	v_cndmask_b32_e64 v5, 0, 1, vcc
.LBB1082_41:
	s_or_b64 exec, exec, s[6:7]
	v_lshlrev_b16_e32 v11, 8, v6
	v_add_u32_e32 v6, 1, v35
	v_cmp_le_u32_e32 vcc, s16, v6
	v_lshlrev_b16_e64 v8, 8, 0
                                        ; implicit-def: $vgpr7
                                        ; implicit-def: $vgpr9
                                        ; implicit-def: $vgpr10
                                        ; implicit-def: $vgpr6
                                        ; implicit-def: $vgpr12
	s_and_saveexec_b64 s[4:5], vcc
	s_xor_b64 s[4:5], exec, s[4:5]
; %bb.42:
	v_mov_b32_e32 v6, 8
	v_lshrrev_b32_sdwa v7, v6, v11 dst_sel:BYTE_1 dst_unused:UNUSED_PAD src0_sel:DWORD src1_sel:DWORD
	v_and_b32_e32 v12, 0xff, v5
	v_or_b32_sdwa v5, v11, v7 dst_sel:DWORD dst_unused:UNUSED_PAD src0_sel:BYTE_0 src1_sel:DWORD
	v_mov_b32_e32 v9, 0
	v_lshlrev_b16_e64 v8, 8, 0
	v_lshlrev_b16_e64 v6, 8, 0
	v_and_b32_e32 v10, 0xffff, v5
	v_lshlrev_b16_e64 v7, 8, 0
                                        ; implicit-def: $vgpr5
                                        ; implicit-def: $vgpr11
; %bb.43:
	s_andn2_saveexec_b64 s[6:7], s[4:5]
	s_cbranch_execz .LBB1082_47
; %bb.44:
	v_add_u32_e32 v6, s37, v24
	v_add_u32_e32 v7, s39, v24
	v_mul_lo_u32 v6, v6, s36
	v_mul_lo_u32 v7, v7, s38
	s_mov_b64 s[8:9], 0
	v_sub_u32_e32 v6, v6, v7
	v_cmp_lt_u32_e32 vcc, s40, v6
	v_cmp_ge_u32_e64 s[4:5], s40, v6
	s_and_saveexec_b64 s[10:11], s[4:5]
	s_cbranch_execz .LBB1082_46
; %bb.45:
	v_add_u32_e32 v6, s42, v24
	v_add_u32_e32 v7, s56, v24
	v_mul_lo_u32 v6, v6, s41
	v_mul_lo_u32 v7, v7, s43
	v_sub_u32_e32 v6, v6, v7
	v_cmp_lt_u32_e64 s[4:5], s57, v6
	s_and_b64 s[8:9], s[4:5], exec
.LBB1082_46:
	s_or_b64 exec, exec, s[10:11]
	v_cndmask_b32_e64 v7, 0, 1, vcc
	v_lshlrev_b16_e32 v7, 8, v7
	v_or_b32_sdwa v5, v5, v7 dst_sel:DWORD dst_unused:UNUSED_PAD src0_sel:BYTE_0 src1_sel:DWORD
	v_and_b32_e32 v12, 0xffff, v5
	v_mov_b32_e32 v5, 8
	v_lshrrev_b32_sdwa v5, v5, v11 dst_sel:BYTE_1 dst_unused:UNUSED_PAD src0_sel:DWORD src1_sel:DWORD
	v_or_b32_sdwa v5, v11, v5 dst_sel:DWORD dst_unused:UNUSED_PAD src0_sel:BYTE_0 src1_sel:DWORD
	v_and_b32_e32 v5, 0xffff, v5
	v_cndmask_b32_e64 v7, 0, 1, s[8:9]
	v_mov_b32_e32 v6, 0
	v_mov_b32_e32 v9, 0
	v_lshl_or_b32 v10, v7, 16, v5
	v_lshlrev_b16_e64 v7, 8, 0
.LBB1082_47:
	s_or_b64 exec, exec, s[6:7]
	v_add_u32_e32 v5, 2, v35
	v_cmp_le_u32_e32 vcc, s16, v5
	v_lshrrev_b32_e32 v25, 24, v12
                                        ; implicit-def: $vgpr5
                                        ; implicit-def: $vgpr11
	s_and_saveexec_b64 s[4:5], vcc
	s_xor_b64 s[4:5], exec, s[4:5]
	s_cbranch_execz .LBB1082_49
; %bb.48:
	s_mov_b32 s6, 0x40c0100
	v_perm_b32 v11, v25, v12, s6
	v_mov_b32_e32 v12, 8
	v_lshrrev_b32_sdwa v12, v12, v11 dst_sel:BYTE_1 dst_unused:UNUSED_PAD src0_sel:DWORD src1_sel:DWORD
	v_or_b32_sdwa v12, v11, v12 dst_sel:DWORD dst_unused:UNUSED_PAD src0_sel:BYTE_0 src1_sel:DWORD
	v_and_b32_e32 v12, 0xffff, v12
	s_mov_b32 s6, 0xff000000
	v_and_or_b32 v11, v11, s6, v12
	s_mov_b32 s6, 0x3060504
	v_and_b32_e32 v5, 0xff0000, v10
	v_perm_b32 v8, v8, v8, s6
	s_mov_b32 s6, 0x3020504
	v_perm_b32 v5, v10, v5, s6
                                        ; implicit-def: $vgpr12
                                        ; implicit-def: $vgpr25
                                        ; implicit-def: $vgpr10
.LBB1082_49:
	s_andn2_saveexec_b64 s[6:7], s[4:5]
	s_cbranch_execz .LBB1082_53
; %bb.50:
	v_add_u32_e32 v5, s37, v21
	v_add_u32_e32 v11, s39, v21
	v_mul_lo_u32 v5, v5, s36
	v_mul_lo_u32 v11, v11, s38
	s_mov_b64 s[8:9], 0
	v_sub_u32_e32 v5, v5, v11
	v_cmp_lt_u32_e32 vcc, s40, v5
	v_cmp_ge_u32_e64 s[4:5], s40, v5
	s_and_saveexec_b64 s[10:11], s[4:5]
	s_cbranch_execz .LBB1082_52
; %bb.51:
	v_add_u32_e32 v5, s42, v21
	v_add_u32_e32 v11, s56, v21
	v_mul_lo_u32 v5, v5, s41
	v_mul_lo_u32 v11, v11, s43
	v_sub_u32_e32 v5, v5, v11
	v_cmp_lt_u32_e64 s[4:5], s57, v5
	s_and_b64 s[8:9], s[4:5], exec
.LBB1082_52:
	s_or_b64 exec, exec, s[10:11]
	v_mov_b32_e32 v27, 8
	v_lshrrev_b32_sdwa v11, v27, v12 dst_sel:BYTE_1 dst_unused:UNUSED_PAD src0_sel:DWORD src1_sel:DWORD
	v_cndmask_b32_e64 v5, 0, 1, vcc
	v_or_b32_sdwa v11, v12, v11 dst_sel:DWORD dst_unused:UNUSED_PAD src0_sel:BYTE_0 src1_sel:DWORD
	v_lshlrev_b16_e32 v12, 8, v25
	v_or_b32_sdwa v5, v5, v12 dst_sel:WORD_1 dst_unused:UNUSED_PAD src0_sel:DWORD src1_sel:DWORD
	v_cndmask_b32_e64 v26, 0, 1, s[8:9]
	s_movk_i32 s4, 0xff
	v_or_b32_sdwa v11, v11, v5 dst_sel:DWORD dst_unused:UNUSED_PAD src0_sel:WORD_0 src1_sel:DWORD
	v_lshrrev_b32_sdwa v5, v27, v10 dst_sel:BYTE_1 dst_unused:UNUSED_PAD src0_sel:DWORD src1_sel:DWORD
	v_or_b32_sdwa v5, v10, v5 dst_sel:DWORD dst_unused:UNUSED_PAD src0_sel:BYTE_0 src1_sel:DWORD
	v_lshlrev_b16_e32 v12, 8, v26
	v_and_b32_sdwa v10, v10, s4 dst_sel:DWORD dst_unused:UNUSED_PAD src0_sel:WORD_1 src1_sel:DWORD
	v_or_b32_sdwa v10, v10, v12 dst_sel:WORD_1 dst_unused:UNUSED_PAD src0_sel:DWORD src1_sel:DWORD
	v_or_b32_sdwa v5, v5, v10 dst_sel:DWORD dst_unused:UNUSED_PAD src0_sel:WORD_0 src1_sel:DWORD
.LBB1082_53:
	s_or_b64 exec, exec, s[6:7]
	v_add_u32_e32 v10, 3, v35
	v_cmp_le_u32_e32 vcc, s16, v10
	v_lshrrev_b32_e32 v12, 24, v9
                                        ; implicit-def: $vgpr10
                                        ; implicit-def: $vgpr36
	s_and_saveexec_b64 s[4:5], vcc
	s_xor_b64 s[4:5], exec, s[4:5]
	s_cbranch_execz .LBB1082_55
; %bb.54:
	v_and_b32_e32 v10, 0xff0000, v11
	s_mov_b32 s6, 0x3020504
	s_movk_i32 s7, 0xff
	v_perm_b32 v36, v11, v10, s6
	v_lshlrev_b16_e32 v10, 8, v12
	v_and_b32_sdwa v11, v9, s7 dst_sel:DWORD dst_unused:UNUSED_PAD src0_sel:WORD_1 src1_sel:DWORD
	s_mov_b32 s6, 0x3060504
	v_or_b32_sdwa v10, v11, v10 dst_sel:WORD_1 dst_unused:UNUSED_PAD src0_sel:DWORD src1_sel:DWORD
	v_mov_b32_e32 v11, 8
	v_perm_b32 v8, v8, v8, s6
	v_lshrrev_b32_sdwa v10, v11, v9 dst_sel:BYTE_1 dst_unused:UNUSED_PRESERVE src0_sel:DWORD src1_sel:DWORD
	v_perm_b32 v7, v7, v7, s6
                                        ; implicit-def: $vgpr11
                                        ; implicit-def: $vgpr12
                                        ; implicit-def: $vgpr9
.LBB1082_55:
	s_andn2_saveexec_b64 s[6:7], s[4:5]
	s_cbranch_execz .LBB1082_59
; %bb.56:
	v_add_u32_e32 v10, s37, v22
	v_add_u32_e32 v25, s39, v22
	v_mul_lo_u32 v10, v10, s36
	v_mul_lo_u32 v25, v25, s38
	s_mov_b64 s[8:9], 0
	v_sub_u32_e32 v10, v10, v25
	v_cmp_lt_u32_e32 vcc, s40, v10
	v_cmp_ge_u32_e64 s[4:5], s40, v10
	s_and_saveexec_b64 s[10:11], s[4:5]
	s_cbranch_execz .LBB1082_58
; %bb.57:
	v_add_u32_e32 v10, s42, v22
	v_add_u32_e32 v25, s56, v22
	v_mul_lo_u32 v10, v10, s41
	v_mul_lo_u32 v25, v25, s43
	v_sub_u32_e32 v10, v10, v25
	v_cmp_lt_u32_e64 s[4:5], s57, v10
	s_and_b64 s[8:9], s[4:5], exec
.LBB1082_58:
	s_or_b64 exec, exec, s[10:11]
	v_mov_b32_e32 v26, 8
	v_cndmask_b32_e64 v10, 0, 1, vcc
	s_movk_i32 s4, 0xff
	v_lshrrev_b32_sdwa v27, v26, v11 dst_sel:BYTE_1 dst_unused:UNUSED_PAD src0_sel:DWORD src1_sel:DWORD
	v_or_b32_sdwa v27, v11, v27 dst_sel:DWORD dst_unused:UNUSED_PAD src0_sel:BYTE_0 src1_sel:DWORD
	v_lshlrev_b16_e32 v10, 8, v10
	v_and_b32_sdwa v11, v11, s4 dst_sel:DWORD dst_unused:UNUSED_PAD src0_sel:WORD_1 src1_sel:DWORD
	v_or_b32_sdwa v10, v11, v10 dst_sel:WORD_1 dst_unused:UNUSED_PAD src0_sel:DWORD src1_sel:DWORD
	v_cndmask_b32_e64 v25, 0, 1, s[8:9]
	v_or_b32_sdwa v36, v27, v10 dst_sel:DWORD dst_unused:UNUSED_PAD src0_sel:WORD_0 src1_sel:DWORD
	v_lshlrev_b16_e32 v10, 8, v12
	v_and_b32_sdwa v11, v9, s4 dst_sel:DWORD dst_unused:UNUSED_PAD src0_sel:WORD_1 src1_sel:DWORD
	v_lshrrev_b32_sdwa v9, v26, v9 dst_sel:BYTE_1 dst_unused:UNUSED_PAD src0_sel:DWORD src1_sel:DWORD
	v_or_b32_sdwa v10, v11, v10 dst_sel:WORD_1 dst_unused:UNUSED_PAD src0_sel:DWORD src1_sel:DWORD
	v_or_b32_e32 v9, v25, v9
	v_or_b32_sdwa v10, v9, v10 dst_sel:DWORD dst_unused:UNUSED_PAD src0_sel:WORD_0 src1_sel:DWORD
.LBB1082_59:
	s_or_b64 exec, exec, s[6:7]
	v_add_u32_e32 v9, 4, v35
	v_cmp_le_u32_e32 vcc, s16, v9
	v_lshrrev_b32_e32 v25, 24, v8
	v_lshrrev_b32_e32 v12, 24, v10
                                        ; implicit-def: $vgpr11
                                        ; implicit-def: $vgpr9
	s_and_saveexec_b64 s[4:5], vcc
	s_xor_b64 s[4:5], exec, s[4:5]
	s_cbranch_execz .LBB1082_61
; %bb.60:
	s_movk_i32 s6, 0xff
	v_lshlrev_b16_e32 v9, 8, v25
	v_and_b32_sdwa v25, v8, s6 dst_sel:DWORD dst_unused:UNUSED_PAD src0_sel:WORD_1 src1_sel:DWORD
	v_mov_b32_e32 v11, 8
	v_or_b32_sdwa v9, v25, v9 dst_sel:WORD_1 dst_unused:UNUSED_PAD src0_sel:DWORD src1_sel:DWORD
	v_lshrrev_b32_sdwa v9, v11, v8 dst_sel:BYTE_1 dst_unused:UNUSED_PRESERVE src0_sel:DWORD src1_sel:DWORD
	v_lshlrev_b16_e32 v8, 8, v12
	v_and_b32_sdwa v11, v10, s6 dst_sel:DWORD dst_unused:UNUSED_PAD src0_sel:WORD_1 src1_sel:DWORD
	v_or_b32_e32 v8, v11, v8
	s_mov_b32 s6, 0x5040c00
	v_perm_b32 v11, v8, v10, s6
	s_mov_b32 s6, 0x3060504
	v_perm_b32 v7, v7, v7, s6
                                        ; implicit-def: $vgpr25
                                        ; implicit-def: $vgpr8
                                        ; implicit-def: $vgpr10
                                        ; implicit-def: $vgpr12
.LBB1082_61:
	s_andn2_saveexec_b64 s[6:7], s[4:5]
	s_cbranch_execz .LBB1082_65
; %bb.62:
	v_add_u32_e32 v9, s37, v19
	v_add_u32_e32 v11, s39, v19
	v_mul_lo_u32 v9, v9, s36
	v_mul_lo_u32 v11, v11, s38
	s_mov_b64 s[8:9], 0
	v_sub_u32_e32 v9, v9, v11
	v_cmp_lt_u32_e32 vcc, s40, v9
	v_cmp_ge_u32_e64 s[4:5], s40, v9
	s_and_saveexec_b64 s[10:11], s[4:5]
	s_cbranch_execz .LBB1082_64
; %bb.63:
	v_add_u32_e32 v9, s42, v19
	v_add_u32_e32 v11, s56, v19
	v_mul_lo_u32 v9, v9, s41
	v_mul_lo_u32 v11, v11, s43
	v_sub_u32_e32 v9, v9, v11
	v_cmp_lt_u32_e64 s[4:5], s57, v9
	s_and_b64 s[8:9], s[4:5], exec
.LBB1082_64:
	s_or_b64 exec, exec, s[10:11]
	s_movk_i32 s4, 0xff
	v_lshlrev_b16_e32 v25, 8, v25
	v_and_b32_sdwa v26, v8, s4 dst_sel:DWORD dst_unused:UNUSED_PAD src0_sel:WORD_1 src1_sel:DWORD
	v_or_b32_sdwa v25, v26, v25 dst_sel:WORD_1 dst_unused:UNUSED_PAD src0_sel:DWORD src1_sel:DWORD
	v_mov_b32_e32 v26, 8
	v_cndmask_b32_e64 v9, 0, 1, vcc
	v_lshrrev_b32_sdwa v8, v26, v8 dst_sel:BYTE_1 dst_unused:UNUSED_PAD src0_sel:DWORD src1_sel:DWORD
	v_cndmask_b32_e64 v11, 0, 1, s[8:9]
	v_or_b32_e32 v8, v9, v8
	v_or_b32_sdwa v9, v8, v25 dst_sel:DWORD dst_unused:UNUSED_PAD src0_sel:WORD_0 src1_sel:DWORD
	v_lshlrev_b16_e32 v8, 8, v11
	v_or_b32_sdwa v8, v10, v8 dst_sel:DWORD dst_unused:UNUSED_PAD src0_sel:BYTE_0 src1_sel:DWORD
	v_lshlrev_b16_e32 v11, 8, v12
	v_and_b32_sdwa v10, v10, s4 dst_sel:DWORD dst_unused:UNUSED_PAD src0_sel:WORD_1 src1_sel:DWORD
	v_or_b32_sdwa v10, v10, v11 dst_sel:WORD_1 dst_unused:UNUSED_PAD src0_sel:DWORD src1_sel:DWORD
	v_or_b32_sdwa v11, v8, v10 dst_sel:DWORD dst_unused:UNUSED_PAD src0_sel:WORD_0 src1_sel:DWORD
.LBB1082_65:
	s_or_b64 exec, exec, s[6:7]
	v_add_u32_e32 v8, 5, v35
	v_cmp_le_u32_e32 vcc, s16, v8
	v_lshrrev_b32_e32 v12, 24, v11
	v_lshrrev_b32_e32 v25, 24, v9
                                        ; implicit-def: $vgpr8
                                        ; implicit-def: $vgpr10
	s_and_saveexec_b64 s[4:5], vcc
	s_xor_b64 s[4:5], exec, s[4:5]
	s_cbranch_execz .LBB1082_67
; %bb.66:
	s_mov_b32 s6, 0x40c0100
	v_perm_b32 v8, v12, v11, s6
	s_movk_i32 s6, 0xff
	v_lshlrev_b16_e32 v10, 8, v25
	v_and_b32_sdwa v11, v9, s6 dst_sel:DWORD dst_unused:UNUSED_PAD src0_sel:WORD_1 src1_sel:DWORD
	v_or_b32_e32 v10, v11, v10
	s_mov_b32 s6, 0x5040c00
	v_perm_b32 v10, v10, v9, s6
	v_mov_b32_e32 v9, 8
	v_lshrrev_b32_sdwa v9, v9, v8 dst_sel:BYTE_1 dst_unused:UNUSED_PAD src0_sel:DWORD src1_sel:DWORD
	v_or_b32_sdwa v9, v8, v9 dst_sel:DWORD dst_unused:UNUSED_PAD src0_sel:BYTE_0 src1_sel:DWORD
	v_and_b32_e32 v9, 0xffff, v9
	s_mov_b32 s6, 0xff000000
	v_and_or_b32 v8, v8, s6, v9
	s_mov_b32 s6, 0x3060504
	v_perm_b32 v7, v7, v7, s6
                                        ; implicit-def: $vgpr9
                                        ; implicit-def: $vgpr25
                                        ; implicit-def: $vgpr11
                                        ; implicit-def: $vgpr12
.LBB1082_67:
	s_andn2_saveexec_b64 s[6:7], s[4:5]
	s_cbranch_execz .LBB1082_71
; %bb.68:
	v_add_u32_e32 v8, s37, v20
	v_add_u32_e32 v10, s39, v20
	v_mul_lo_u32 v8, v8, s36
	v_mul_lo_u32 v10, v10, s38
	s_mov_b64 s[8:9], 0
	v_sub_u32_e32 v8, v8, v10
	v_cmp_lt_u32_e32 vcc, s40, v8
	v_cmp_ge_u32_e64 s[4:5], s40, v8
	s_and_saveexec_b64 s[10:11], s[4:5]
	s_cbranch_execz .LBB1082_70
; %bb.69:
	v_add_u32_e32 v8, s42, v20
	v_add_u32_e32 v10, s56, v20
	v_mul_lo_u32 v8, v8, s41
	v_mul_lo_u32 v10, v10, s43
	v_sub_u32_e32 v8, v8, v10
	v_cmp_lt_u32_e64 s[4:5], s57, v8
	s_and_b64 s[8:9], s[4:5], exec
.LBB1082_70:
	s_or_b64 exec, exec, s[10:11]
	v_cndmask_b32_e64 v8, 0, 1, vcc
	v_lshlrev_b16_e32 v8, 8, v8
	s_movk_i32 s4, 0xff
	v_or_b32_sdwa v8, v9, v8 dst_sel:DWORD dst_unused:UNUSED_PAD src0_sel:BYTE_0 src1_sel:DWORD
	v_lshlrev_b16_e32 v10, 8, v25
	v_and_b32_sdwa v9, v9, s4 dst_sel:DWORD dst_unused:UNUSED_PAD src0_sel:WORD_1 src1_sel:DWORD
	v_or_b32_sdwa v9, v9, v10 dst_sel:WORD_1 dst_unused:UNUSED_PAD src0_sel:DWORD src1_sel:DWORD
	v_or_b32_sdwa v10, v8, v9 dst_sel:DWORD dst_unused:UNUSED_PAD src0_sel:WORD_0 src1_sel:DWORD
	v_mov_b32_e32 v8, 8
	v_cndmask_b32_e64 v26, 0, 1, s[8:9]
	v_lshrrev_b32_sdwa v8, v8, v11 dst_sel:BYTE_1 dst_unused:UNUSED_PAD src0_sel:DWORD src1_sel:DWORD
	v_lshlrev_b16_e32 v9, 8, v12
	v_or_b32_sdwa v8, v11, v8 dst_sel:DWORD dst_unused:UNUSED_PAD src0_sel:BYTE_0 src1_sel:DWORD
	v_or_b32_sdwa v9, v26, v9 dst_sel:WORD_1 dst_unused:UNUSED_PAD src0_sel:DWORD src1_sel:DWORD
	v_or_b32_sdwa v8, v8, v9 dst_sel:DWORD dst_unused:UNUSED_PAD src0_sel:WORD_0 src1_sel:DWORD
.LBB1082_71:
	s_or_b64 exec, exec, s[6:7]
	v_add_u32_e32 v9, 6, v35
	v_cmp_le_u32_e32 vcc, s16, v9
	v_lshrrev_b32_e32 v11, 24, v10
                                        ; implicit-def: $vgpr37
                                        ; implicit-def: $vgpr9
	s_and_saveexec_b64 s[4:5], vcc
	s_xor_b64 s[4:5], exec, s[4:5]
	s_cbranch_execz .LBB1082_73
; %bb.72:
	s_mov_b32 s6, 0x40c0100
	v_perm_b32 v9, v11, v10, s6
	v_mov_b32_e32 v10, 8
	v_lshrrev_b32_sdwa v10, v10, v9 dst_sel:BYTE_1 dst_unused:UNUSED_PAD src0_sel:DWORD src1_sel:DWORD
	v_or_b32_sdwa v10, v9, v10 dst_sel:DWORD dst_unused:UNUSED_PAD src0_sel:BYTE_0 src1_sel:DWORD
	v_and_b32_e32 v10, 0xffff, v10
	s_mov_b32 s6, 0xff000000
	v_and_b32_e32 v12, 0xff0000, v8
	v_and_or_b32 v9, v9, s6, v10
	s_mov_b32 s6, 0x3020504
	v_perm_b32 v37, v8, v12, s6
	s_mov_b32 s6, 0x3060504
	v_perm_b32 v7, v7, v7, s6
                                        ; implicit-def: $vgpr10
                                        ; implicit-def: $vgpr11
                                        ; implicit-def: $vgpr8
.LBB1082_73:
	s_andn2_saveexec_b64 s[6:7], s[4:5]
	s_cbranch_execz .LBB1082_77
; %bb.74:
	v_add_u32_e32 v9, s37, v17
	v_add_u32_e32 v12, s39, v17
	v_mul_lo_u32 v9, v9, s36
	v_mul_lo_u32 v12, v12, s38
	s_mov_b64 s[8:9], 0
	v_sub_u32_e32 v9, v9, v12
	v_cmp_lt_u32_e32 vcc, s40, v9
	v_cmp_ge_u32_e64 s[4:5], s40, v9
	s_and_saveexec_b64 s[10:11], s[4:5]
	s_cbranch_execz .LBB1082_76
; %bb.75:
	v_add_u32_e32 v9, s42, v17
	v_add_u32_e32 v12, s56, v17
	v_mul_lo_u32 v9, v9, s41
	v_mul_lo_u32 v12, v12, s43
	v_sub_u32_e32 v9, v9, v12
	v_cmp_lt_u32_e64 s[4:5], s57, v9
	s_and_b64 s[8:9], s[4:5], exec
.LBB1082_76:
	s_or_b64 exec, exec, s[10:11]
	v_mov_b32_e32 v25, 8
	v_cndmask_b32_e64 v9, 0, 1, vcc
	v_lshrrev_b32_sdwa v26, v25, v10 dst_sel:BYTE_1 dst_unused:UNUSED_PAD src0_sel:DWORD src1_sel:DWORD
	v_lshlrev_b16_e32 v11, 8, v11
	v_or_b32_sdwa v10, v10, v26 dst_sel:DWORD dst_unused:UNUSED_PAD src0_sel:BYTE_0 src1_sel:DWORD
	v_or_b32_sdwa v9, v9, v11 dst_sel:WORD_1 dst_unused:UNUSED_PAD src0_sel:DWORD src1_sel:DWORD
	v_cndmask_b32_e64 v12, 0, 1, s[8:9]
	s_movk_i32 s4, 0xff
	v_or_b32_sdwa v9, v10, v9 dst_sel:DWORD dst_unused:UNUSED_PAD src0_sel:WORD_0 src1_sel:DWORD
	v_lshrrev_b32_sdwa v10, v25, v8 dst_sel:BYTE_1 dst_unused:UNUSED_PAD src0_sel:DWORD src1_sel:DWORD
	v_or_b32_sdwa v10, v8, v10 dst_sel:DWORD dst_unused:UNUSED_PAD src0_sel:BYTE_0 src1_sel:DWORD
	v_lshlrev_b16_e32 v11, 8, v12
	v_and_b32_sdwa v8, v8, s4 dst_sel:DWORD dst_unused:UNUSED_PAD src0_sel:WORD_1 src1_sel:DWORD
	v_or_b32_sdwa v8, v8, v11 dst_sel:WORD_1 dst_unused:UNUSED_PAD src0_sel:DWORD src1_sel:DWORD
	v_or_b32_sdwa v37, v10, v8 dst_sel:DWORD dst_unused:UNUSED_PAD src0_sel:WORD_0 src1_sel:DWORD
.LBB1082_77:
	s_or_b64 exec, exec, s[6:7]
	v_add_u32_e32 v8, 7, v35
	v_cmp_le_u32_e32 vcc, s16, v8
	v_lshrrev_b32_e32 v10, 24, v7
                                        ; implicit-def: $vgpr8
                                        ; implicit-def: $vgpr38
	s_and_saveexec_b64 s[4:5], vcc
	s_xor_b64 s[4:5], exec, s[4:5]
; %bb.78:
	v_and_b32_e32 v8, 0xff0000, v9
	s_mov_b32 s6, 0x3020504
	v_perm_b32 v38, v9, v8, s6
	s_movk_i32 s6, 0xff
	v_lshlrev_b16_e32 v8, 8, v10
	v_and_b32_sdwa v9, v7, s6 dst_sel:DWORD dst_unused:UNUSED_PAD src0_sel:WORD_1 src1_sel:DWORD
	v_mov_b32_e32 v11, 8
	v_or_b32_sdwa v8, v9, v8 dst_sel:WORD_1 dst_unused:UNUSED_PAD src0_sel:DWORD src1_sel:DWORD
	v_lshrrev_b32_sdwa v8, v11, v7 dst_sel:BYTE_1 dst_unused:UNUSED_PRESERVE src0_sel:DWORD src1_sel:DWORD
                                        ; implicit-def: $vgpr9
                                        ; implicit-def: $vgpr10
                                        ; implicit-def: $vgpr7
; %bb.79:
	s_andn2_saveexec_b64 s[6:7], s[4:5]
	s_cbranch_execz .LBB1082_83
; %bb.80:
	v_add_u32_e32 v8, s37, v18
	v_add_u32_e32 v11, s39, v18
	v_mul_lo_u32 v8, v8, s36
	v_mul_lo_u32 v11, v11, s38
	s_mov_b64 s[8:9], 0
	v_sub_u32_e32 v8, v8, v11
	v_cmp_lt_u32_e32 vcc, s40, v8
	v_cmp_ge_u32_e64 s[4:5], s40, v8
	s_and_saveexec_b64 s[10:11], s[4:5]
	s_cbranch_execz .LBB1082_82
; %bb.81:
	v_add_u32_e32 v8, s42, v18
	v_add_u32_e32 v11, s56, v18
	v_mul_lo_u32 v8, v8, s41
	v_mul_lo_u32 v11, v11, s43
	v_sub_u32_e32 v8, v8, v11
	v_cmp_lt_u32_e64 s[4:5], s57, v8
	s_and_b64 s[8:9], s[4:5], exec
.LBB1082_82:
	s_or_b64 exec, exec, s[10:11]
	v_mov_b32_e32 v12, 8
	v_cndmask_b32_e64 v8, 0, 1, vcc
	s_movk_i32 s4, 0xff
	v_lshrrev_b32_sdwa v25, v12, v9 dst_sel:BYTE_1 dst_unused:UNUSED_PAD src0_sel:DWORD src1_sel:DWORD
	v_or_b32_sdwa v25, v9, v25 dst_sel:DWORD dst_unused:UNUSED_PAD src0_sel:BYTE_0 src1_sel:DWORD
	v_lshlrev_b16_e32 v8, 8, v8
	v_and_b32_sdwa v9, v9, s4 dst_sel:DWORD dst_unused:UNUSED_PAD src0_sel:WORD_1 src1_sel:DWORD
	v_or_b32_sdwa v8, v9, v8 dst_sel:WORD_1 dst_unused:UNUSED_PAD src0_sel:DWORD src1_sel:DWORD
	v_cndmask_b32_e64 v11, 0, 1, s[8:9]
	v_or_b32_sdwa v38, v25, v8 dst_sel:DWORD dst_unused:UNUSED_PAD src0_sel:WORD_0 src1_sel:DWORD
	v_lshlrev_b16_e32 v8, 8, v10
	v_and_b32_sdwa v9, v7, s4 dst_sel:DWORD dst_unused:UNUSED_PAD src0_sel:WORD_1 src1_sel:DWORD
	v_lshrrev_b32_sdwa v7, v12, v7 dst_sel:BYTE_1 dst_unused:UNUSED_PAD src0_sel:DWORD src1_sel:DWORD
	v_or_b32_sdwa v8, v9, v8 dst_sel:WORD_1 dst_unused:UNUSED_PAD src0_sel:DWORD src1_sel:DWORD
	v_or_b32_e32 v7, v11, v7
	v_or_b32_sdwa v8, v7, v8 dst_sel:DWORD dst_unused:UNUSED_PAD src0_sel:WORD_0 src1_sel:DWORD
.LBB1082_83:
	s_or_b64 exec, exec, s[6:7]
	v_add_u32_e32 v7, 8, v35
	v_cmp_le_u32_e32 vcc, s16, v7
	v_lshrrev_b32_e32 v10, 24, v8
	v_lshrrev_b32_e32 v11, 24, v6
                                        ; implicit-def: $vgpr9
                                        ; implicit-def: $vgpr7
	s_and_saveexec_b64 s[4:5], vcc
	s_xor_b64 s[4:5], exec, s[4:5]
	s_cbranch_execz .LBB1082_85
; %bb.84:
	s_movk_i32 s6, 0xff
	v_lshlrev_b16_e32 v7, 8, v11
	v_and_b32_sdwa v9, v6, s6 dst_sel:DWORD dst_unused:UNUSED_PAD src0_sel:WORD_1 src1_sel:DWORD
	v_or_b32_sdwa v7, v9, v7 dst_sel:WORD_1 dst_unused:UNUSED_PAD src0_sel:DWORD src1_sel:DWORD
	v_mov_b32_e32 v9, 8
	v_lshrrev_b32_sdwa v7, v9, v6 dst_sel:BYTE_1 dst_unused:UNUSED_PRESERVE src0_sel:DWORD src1_sel:DWORD
	v_lshlrev_b16_e32 v6, 8, v10
	v_and_b32_sdwa v9, v8, s6 dst_sel:DWORD dst_unused:UNUSED_PAD src0_sel:WORD_1 src1_sel:DWORD
	s_mov_b32 s7, 0x3060504
	v_or_b32_e32 v6, v9, v6
	s_mov_b32 s6, 0x5040c00
	v_perm_b32 v5, v5, v5, s7
	v_perm_b32 v9, v6, v8, s6
                                        ; implicit-def: $vgpr11
                                        ; implicit-def: $vgpr6
                                        ; implicit-def: $vgpr8
                                        ; implicit-def: $vgpr10
.LBB1082_85:
	s_andn2_saveexec_b64 s[6:7], s[4:5]
	s_cbranch_execz .LBB1082_89
; %bb.86:
	v_add_u32_e32 v7, s37, v15
	v_add_u32_e32 v9, s39, v15
	v_mul_lo_u32 v7, v7, s36
	v_mul_lo_u32 v9, v9, s38
	s_mov_b64 s[8:9], 0
	v_sub_u32_e32 v7, v7, v9
	v_cmp_lt_u32_e32 vcc, s40, v7
	v_cmp_ge_u32_e64 s[4:5], s40, v7
	s_and_saveexec_b64 s[10:11], s[4:5]
	s_cbranch_execz .LBB1082_88
; %bb.87:
	v_add_u32_e32 v7, s42, v15
	v_add_u32_e32 v9, s56, v15
	v_mul_lo_u32 v7, v7, s41
	v_mul_lo_u32 v9, v9, s43
	v_sub_u32_e32 v7, v7, v9
	v_cmp_lt_u32_e64 s[4:5], s57, v7
	s_and_b64 s[8:9], s[4:5], exec
.LBB1082_88:
	s_or_b64 exec, exec, s[10:11]
	s_movk_i32 s4, 0xff
	v_lshlrev_b16_e32 v11, 8, v11
	v_and_b32_sdwa v12, v6, s4 dst_sel:DWORD dst_unused:UNUSED_PAD src0_sel:WORD_1 src1_sel:DWORD
	v_or_b32_sdwa v11, v12, v11 dst_sel:WORD_1 dst_unused:UNUSED_PAD src0_sel:DWORD src1_sel:DWORD
	v_mov_b32_e32 v12, 8
	v_cndmask_b32_e64 v7, 0, 1, vcc
	v_lshrrev_b32_sdwa v6, v12, v6 dst_sel:BYTE_1 dst_unused:UNUSED_PAD src0_sel:DWORD src1_sel:DWORD
	v_cndmask_b32_e64 v9, 0, 1, s[8:9]
	v_or_b32_e32 v6, v7, v6
	v_or_b32_sdwa v7, v6, v11 dst_sel:DWORD dst_unused:UNUSED_PAD src0_sel:WORD_0 src1_sel:DWORD
	v_lshlrev_b16_e32 v6, 8, v9
	v_or_b32_sdwa v6, v8, v6 dst_sel:DWORD dst_unused:UNUSED_PAD src0_sel:BYTE_0 src1_sel:DWORD
	v_lshlrev_b16_e32 v9, 8, v10
	v_and_b32_sdwa v8, v8, s4 dst_sel:DWORD dst_unused:UNUSED_PAD src0_sel:WORD_1 src1_sel:DWORD
	v_or_b32_sdwa v8, v8, v9 dst_sel:WORD_1 dst_unused:UNUSED_PAD src0_sel:DWORD src1_sel:DWORD
	v_or_b32_sdwa v9, v6, v8 dst_sel:DWORD dst_unused:UNUSED_PAD src0_sel:WORD_0 src1_sel:DWORD
.LBB1082_89:
	s_or_b64 exec, exec, s[6:7]
	v_add_u32_e32 v6, 9, v35
	v_cmp_le_u32_e32 vcc, s16, v6
	v_lshrrev_b32_e32 v10, 24, v9
	v_lshrrev_b32_e32 v11, 24, v7
                                        ; implicit-def: $vgpr6
                                        ; implicit-def: $vgpr8
	s_and_saveexec_b64 s[4:5], vcc
	s_xor_b64 s[4:5], exec, s[4:5]
	s_cbranch_execz .LBB1082_91
; %bb.90:
	s_mov_b32 s6, 0x40c0100
	v_perm_b32 v6, v10, v9, s6
	v_mov_b32_e32 v8, 8
	s_movk_i32 s6, 0xff
	v_lshrrev_b32_sdwa v9, v8, v6 dst_sel:BYTE_1 dst_unused:UNUSED_PAD src0_sel:DWORD src1_sel:DWORD
	v_lshlrev_b16_e32 v8, 8, v11
	v_and_b32_sdwa v10, v7, s6 dst_sel:DWORD dst_unused:UNUSED_PAD src0_sel:WORD_1 src1_sel:DWORD
	v_or_b32_e32 v8, v10, v8
	s_mov_b32 s6, 0x5040c00
	v_perm_b32 v8, v8, v7, s6
	s_mov_b32 s6, 0x3060504
	v_or_b32_sdwa v7, v6, v9 dst_sel:DWORD dst_unused:UNUSED_PAD src0_sel:BYTE_0 src1_sel:DWORD
	v_perm_b32 v5, v5, v5, s6
	v_and_b32_e32 v7, 0xffff, v7
	s_mov_b32 s6, 0xff000000
	v_and_or_b32 v6, v6, s6, v7
                                        ; implicit-def: $vgpr7
                                        ; implicit-def: $vgpr11
                                        ; implicit-def: $vgpr9
                                        ; implicit-def: $vgpr10
.LBB1082_91:
	s_andn2_saveexec_b64 s[6:7], s[4:5]
	s_cbranch_execz .LBB1082_95
; %bb.92:
	v_add_u32_e32 v6, s37, v16
	v_add_u32_e32 v8, s39, v16
	v_mul_lo_u32 v6, v6, s36
	v_mul_lo_u32 v8, v8, s38
	s_mov_b64 s[8:9], 0
	v_sub_u32_e32 v6, v6, v8
	v_cmp_lt_u32_e32 vcc, s40, v6
	v_cmp_ge_u32_e64 s[4:5], s40, v6
	s_and_saveexec_b64 s[10:11], s[4:5]
	s_cbranch_execz .LBB1082_94
; %bb.93:
	v_add_u32_e32 v6, s42, v16
	v_add_u32_e32 v8, s56, v16
	v_mul_lo_u32 v6, v6, s41
	v_mul_lo_u32 v8, v8, s43
	v_sub_u32_e32 v6, v6, v8
	v_cmp_lt_u32_e64 s[4:5], s57, v6
	s_and_b64 s[8:9], s[4:5], exec
.LBB1082_94:
	s_or_b64 exec, exec, s[10:11]
	v_cndmask_b32_e64 v6, 0, 1, vcc
	v_lshlrev_b16_e32 v6, 8, v6
	s_movk_i32 s4, 0xff
	v_or_b32_sdwa v6, v7, v6 dst_sel:DWORD dst_unused:UNUSED_PAD src0_sel:BYTE_0 src1_sel:DWORD
	v_lshlrev_b16_e32 v8, 8, v11
	v_and_b32_sdwa v7, v7, s4 dst_sel:DWORD dst_unused:UNUSED_PAD src0_sel:WORD_1 src1_sel:DWORD
	v_or_b32_sdwa v7, v7, v8 dst_sel:WORD_1 dst_unused:UNUSED_PAD src0_sel:DWORD src1_sel:DWORD
	v_or_b32_sdwa v8, v6, v7 dst_sel:DWORD dst_unused:UNUSED_PAD src0_sel:WORD_0 src1_sel:DWORD
	v_mov_b32_e32 v6, 8
	v_cndmask_b32_e64 v12, 0, 1, s[8:9]
	v_lshrrev_b32_sdwa v6, v6, v9 dst_sel:BYTE_1 dst_unused:UNUSED_PAD src0_sel:DWORD src1_sel:DWORD
	v_lshlrev_b16_e32 v7, 8, v10
	v_or_b32_sdwa v6, v9, v6 dst_sel:DWORD dst_unused:UNUSED_PAD src0_sel:BYTE_0 src1_sel:DWORD
	v_or_b32_sdwa v7, v12, v7 dst_sel:WORD_1 dst_unused:UNUSED_PAD src0_sel:DWORD src1_sel:DWORD
	v_or_b32_sdwa v6, v6, v7 dst_sel:DWORD dst_unused:UNUSED_PAD src0_sel:WORD_0 src1_sel:DWORD
.LBB1082_95:
	s_or_b64 exec, exec, s[6:7]
	v_add_u32_e32 v7, 10, v35
	v_cmp_le_u32_e32 vcc, s16, v7
	v_lshrrev_b32_e32 v9, 24, v8
                                        ; implicit-def: $vgpr39
                                        ; implicit-def: $vgpr7
	s_and_saveexec_b64 s[4:5], vcc
	s_xor_b64 s[4:5], exec, s[4:5]
	s_cbranch_execz .LBB1082_97
; %bb.96:
	s_mov_b32 s6, 0x40c0100
	v_perm_b32 v7, v9, v8, s6
	v_mov_b32_e32 v8, 8
	v_lshrrev_b32_sdwa v8, v8, v7 dst_sel:BYTE_1 dst_unused:UNUSED_PAD src0_sel:DWORD src1_sel:DWORD
	v_or_b32_sdwa v8, v7, v8 dst_sel:DWORD dst_unused:UNUSED_PAD src0_sel:BYTE_0 src1_sel:DWORD
	v_and_b32_e32 v8, 0xffff, v8
	s_mov_b32 s6, 0xff000000
	v_and_or_b32 v7, v7, s6, v8
	s_mov_b32 s6, 0x3060504
	v_and_b32_e32 v10, 0xff0000, v6
	v_perm_b32 v5, v5, v5, s6
	s_mov_b32 s6, 0x3020504
	v_perm_b32 v39, v6, v10, s6
                                        ; implicit-def: $vgpr8
                                        ; implicit-def: $vgpr9
                                        ; implicit-def: $vgpr6
.LBB1082_97:
	s_andn2_saveexec_b64 s[6:7], s[4:5]
	s_cbranch_execz .LBB1082_101
; %bb.98:
	v_add_u32_e32 v7, s37, v13
	v_add_u32_e32 v10, s39, v13
	v_mul_lo_u32 v7, v7, s36
	v_mul_lo_u32 v10, v10, s38
	s_mov_b64 s[8:9], 0
	v_sub_u32_e32 v7, v7, v10
	v_cmp_lt_u32_e32 vcc, s40, v7
	v_cmp_ge_u32_e64 s[4:5], s40, v7
	s_and_saveexec_b64 s[10:11], s[4:5]
	s_cbranch_execz .LBB1082_100
; %bb.99:
	v_add_u32_e32 v7, s42, v13
	v_add_u32_e32 v10, s56, v13
	v_mul_lo_u32 v7, v7, s41
	v_mul_lo_u32 v10, v10, s43
	v_sub_u32_e32 v7, v7, v10
	v_cmp_lt_u32_e64 s[4:5], s57, v7
	s_and_b64 s[8:9], s[4:5], exec
.LBB1082_100:
	s_or_b64 exec, exec, s[10:11]
	v_mov_b32_e32 v11, 8
	v_cndmask_b32_e64 v7, 0, 1, vcc
	v_lshrrev_b32_sdwa v12, v11, v8 dst_sel:BYTE_1 dst_unused:UNUSED_PAD src0_sel:DWORD src1_sel:DWORD
	v_lshlrev_b16_e32 v9, 8, v9
	v_or_b32_sdwa v8, v8, v12 dst_sel:DWORD dst_unused:UNUSED_PAD src0_sel:BYTE_0 src1_sel:DWORD
	v_or_b32_sdwa v7, v7, v9 dst_sel:WORD_1 dst_unused:UNUSED_PAD src0_sel:DWORD src1_sel:DWORD
	v_cndmask_b32_e64 v10, 0, 1, s[8:9]
	s_movk_i32 s4, 0xff
	v_or_b32_sdwa v7, v8, v7 dst_sel:DWORD dst_unused:UNUSED_PAD src0_sel:WORD_0 src1_sel:DWORD
	v_lshrrev_b32_sdwa v8, v11, v6 dst_sel:BYTE_1 dst_unused:UNUSED_PAD src0_sel:DWORD src1_sel:DWORD
	v_or_b32_sdwa v8, v6, v8 dst_sel:DWORD dst_unused:UNUSED_PAD src0_sel:BYTE_0 src1_sel:DWORD
	v_lshlrev_b16_e32 v9, 8, v10
	v_and_b32_sdwa v6, v6, s4 dst_sel:DWORD dst_unused:UNUSED_PAD src0_sel:WORD_1 src1_sel:DWORD
	v_or_b32_sdwa v6, v6, v9 dst_sel:WORD_1 dst_unused:UNUSED_PAD src0_sel:DWORD src1_sel:DWORD
	v_or_b32_sdwa v39, v8, v6 dst_sel:DWORD dst_unused:UNUSED_PAD src0_sel:WORD_0 src1_sel:DWORD
.LBB1082_101:
	s_or_b64 exec, exec, s[6:7]
	v_add_u32_e32 v6, 11, v35
	v_mov_b32_e32 v40, 0
	v_cmp_le_u32_e32 vcc, s16, v6
                                        ; implicit-def: $vgpr41
	s_and_saveexec_b64 s[4:5], vcc
	s_xor_b64 s[4:5], exec, s[4:5]
; %bb.102:
	v_and_b32_e32 v6, 0xff0000, v7
	s_mov_b32 s6, 0x3020504
	v_perm_b32 v41, v7, v6, s6
	s_mov_b32 s6, 0x3060504
	v_perm_b32 v5, v5, v5, s6
                                        ; implicit-def: $vgpr7
; %bb.103:
	s_andn2_saveexec_b64 s[6:7], s[4:5]
	s_cbranch_execz .LBB1082_107
; %bb.104:
	v_add_u32_e32 v6, s37, v14
	v_add_u32_e32 v8, s39, v14
	v_mul_lo_u32 v6, v6, s36
	v_mul_lo_u32 v8, v8, s38
	s_mov_b64 s[8:9], 0
	v_sub_u32_e32 v6, v6, v8
	v_cmp_lt_u32_e32 vcc, s40, v6
	v_cmp_ge_u32_e64 s[4:5], s40, v6
	s_and_saveexec_b64 s[10:11], s[4:5]
	s_cbranch_execz .LBB1082_106
; %bb.105:
	v_add_u32_e32 v6, s42, v14
	v_add_u32_e32 v8, s56, v14
	v_mul_lo_u32 v6, v6, s41
	v_mul_lo_u32 v8, v8, s43
	v_sub_u32_e32 v6, v6, v8
	v_cmp_lt_u32_e64 s[4:5], s57, v6
	s_and_b64 s[8:9], s[4:5], exec
.LBB1082_106:
	s_or_b64 exec, exec, s[10:11]
	v_mov_b32_e32 v8, 8
	v_cndmask_b32_e64 v6, 0, 1, vcc
	s_movk_i32 s4, 0xff
	v_lshrrev_b32_sdwa v8, v8, v7 dst_sel:BYTE_1 dst_unused:UNUSED_PAD src0_sel:DWORD src1_sel:DWORD
	v_or_b32_sdwa v8, v7, v8 dst_sel:DWORD dst_unused:UNUSED_PAD src0_sel:BYTE_0 src1_sel:DWORD
	v_lshlrev_b16_e32 v6, 8, v6
	v_and_b32_sdwa v7, v7, s4 dst_sel:DWORD dst_unused:UNUSED_PAD src0_sel:WORD_1 src1_sel:DWORD
	v_or_b32_sdwa v6, v7, v6 dst_sel:WORD_1 dst_unused:UNUSED_PAD src0_sel:DWORD src1_sel:DWORD
	v_cndmask_b32_e64 v40, 0, 1, s[8:9]
	v_or_b32_sdwa v41, v8, v6 dst_sel:DWORD dst_unused:UNUSED_PAD src0_sel:WORD_0 src1_sel:DWORD
.LBB1082_107:
	s_or_b64 exec, exec, s[6:7]
	v_add_u32_e32 v6, 12, v35
	v_cmp_le_u32_e32 vcc, s16, v6
	v_lshrrev_b32_e32 v6, 24, v5
                                        ; implicit-def: $vgpr42
	s_and_saveexec_b64 s[4:5], vcc
	s_xor_b64 s[4:5], exec, s[4:5]
; %bb.108:
	s_movk_i32 s6, 0xff
	v_lshlrev_b16_e32 v6, 8, v6
	v_and_b32_sdwa v8, v5, s6 dst_sel:DWORD dst_unused:UNUSED_PAD src0_sel:WORD_1 src1_sel:DWORD
	v_mov_b32_e32 v7, 8
	v_or_b32_sdwa v42, v8, v6 dst_sel:WORD_1 dst_unused:UNUSED_PAD src0_sel:DWORD src1_sel:DWORD
	v_lshrrev_b32_sdwa v42, v7, v5 dst_sel:BYTE_1 dst_unused:UNUSED_PRESERVE src0_sel:DWORD src1_sel:DWORD
                                        ; implicit-def: $vgpr6
                                        ; implicit-def: $vgpr5
; %bb.109:
	s_or_saveexec_b64 s[6:7], s[4:5]
	v_mov_b32_e32 v43, 0
	s_xor_b64 exec, exec, s[6:7]
	s_cbranch_execz .LBB1082_113
; %bb.110:
	v_add_u32_e32 v7, s37, v34
	v_add_u32_e32 v8, s39, v34
	v_mul_lo_u32 v7, v7, s36
	v_mul_lo_u32 v8, v8, s38
	s_mov_b64 s[8:9], 0
	v_sub_u32_e32 v7, v7, v8
	v_cmp_lt_u32_e32 vcc, s40, v7
	v_cmp_ge_u32_e64 s[4:5], s40, v7
	s_and_saveexec_b64 s[10:11], s[4:5]
	s_cbranch_execz .LBB1082_112
; %bb.111:
	v_add_u32_e32 v7, s42, v34
	v_add_u32_e32 v8, s56, v34
	v_mul_lo_u32 v7, v7, s41
	v_mul_lo_u32 v8, v8, s43
	v_sub_u32_e32 v7, v7, v8
	v_cmp_lt_u32_e64 s[4:5], s57, v7
	s_and_b64 s[8:9], s[4:5], exec
.LBB1082_112:
	s_or_b64 exec, exec, s[10:11]
	s_movk_i32 s4, 0xff
	v_lshlrev_b16_e32 v6, 8, v6
	v_and_b32_sdwa v8, v5, s4 dst_sel:DWORD dst_unused:UNUSED_PAD src0_sel:WORD_1 src1_sel:DWORD
	v_or_b32_sdwa v6, v8, v6 dst_sel:WORD_1 dst_unused:UNUSED_PAD src0_sel:DWORD src1_sel:DWORD
	v_mov_b32_e32 v8, 8
	v_cndmask_b32_e64 v7, 0, 1, vcc
	v_lshrrev_b32_sdwa v5, v8, v5 dst_sel:BYTE_1 dst_unused:UNUSED_PAD src0_sel:DWORD src1_sel:DWORD
	v_or_b32_e32 v5, v7, v5
	v_cndmask_b32_e64 v43, 0, 1, s[8:9]
	v_or_b32_sdwa v42, v5, v6 dst_sel:DWORD dst_unused:UNUSED_PAD src0_sel:WORD_0 src1_sel:DWORD
.LBB1082_113:
	s_or_b64 exec, exec, s[6:7]
.LBB1082_114:
	v_and_b32_e32 v53, 0xff, v36
	v_bfe_u32 v50, v36, 8, 8
	v_bfe_u32 v55, v36, 16, 8
	v_lshrrev_b32_e32 v48, 24, v36
	v_and_b32_e32 v56, 0xff, v38
	v_add3_u32 v8, v50, v53, v55
	v_bfe_u32 v51, v38, 8, 8
	v_bfe_u32 v58, v38, 16, 8
	v_add3_u32 v8, v8, v48, v56
	v_bfe_u32 v54, v42, 8, 8
	v_bfe_u32 v62, v42, 16, 8
	v_lshrrev_b32_e32 v49, 24, v42
	v_lshrrev_b32_e32 v46, 24, v38
	v_and_b32_e32 v59, 0xff, v41
	v_add3_u32 v8, v8, v51, v58
	v_and_b32_e32 v63, 0xff, v37
	v_bfe_u32 v57, v37, 8, 8
	v_bfe_u32 v52, v41, 8, 8
	;; [unrolled: 1-line block ×3, first 2 shown]
	v_add3_u32 v7, v62, v54, v49
	v_add3_u32 v8, v8, v46, v59
	v_bfe_u32 v64, v37, 16, 8
	v_lshrrev_b32_e32 v47, 24, v37
	v_lshrrev_b32_e32 v44, 24, v41
	v_and_b32_e32 v5, 0xff, v42
	v_add3_u32 v7, v7, v63, v57
	v_add3_u32 v8, v8, v52, v61
	v_and_b32_e32 v65, 0xff, v39
	v_bfe_u32 v60, v39, 8, 8
	v_add3_u32 v7, v7, v64, v47
	v_add3_u32 v73, v8, v44, v5
	v_mbcnt_lo_u32_b32 v5, -1, 0
	v_bfe_u32 v66, v39, 16, 8
	v_lshrrev_b32_e32 v45, 24, v39
	v_add3_u32 v7, v7, v65, v60
	v_mbcnt_hi_u32_b32 v68, -1, v5
	v_and_b32_e32 v67, 0xff, v40
	v_and_b32_e32 v6, 0xff, v43
	v_add3_u32 v7, v7, v66, v45
	v_and_b32_e32 v72, 15, v68
	s_cmp_lg_u32 s33, 0
	v_add3_u32 v74, v7, v67, v6
	v_cmp_eq_u32_e64 s[6:7], 0, v72
	v_cmp_lt_u32_e64 s[4:5], 1, v72
	v_cmp_lt_u32_e64 s[10:11], 3, v72
	;; [unrolled: 1-line block ×3, first 2 shown]
	v_and_b32_e32 v71, 16, v68
	v_cmp_lt_u32_e32 vcc, 31, v68
	v_lshrrev_b32_e32 v69, 6, v0
	v_or_b32_e32 v70, 63, v0
	s_cbranch_scc0 .LBB1082_136
; %bb.115:
	v_mov_b32_dpp v5, v73 row_shr:1 row_mask:0xf bank_mask:0xf
	v_mov_b32_dpp v6, v74 row_shr:1 row_mask:0xf bank_mask:0xf
	v_add_u32_e32 v5, v5, v73
	v_add_u32_e32 v6, v6, v74
	v_cndmask_b32_e64 v6, v6, v74, s[6:7]
	v_cndmask_b32_e64 v5, v5, v73, s[6:7]
	s_nop 0
	v_mov_b32_dpp v8, v6 row_shr:2 row_mask:0xf bank_mask:0xf
	v_mov_b32_dpp v7, v5 row_shr:2 row_mask:0xf bank_mask:0xf
	v_add_u32_e32 v7, v5, v7
	v_add_u32_e32 v8, v6, v8
	v_cndmask_b32_e64 v6, v6, v8, s[4:5]
	v_cndmask_b32_e64 v5, v5, v7, s[4:5]
	s_nop 0
	;; [unrolled: 7-line block ×3, first 2 shown]
	v_mov_b32_dpp v8, v6 row_shr:8 row_mask:0xf bank_mask:0xf
	v_mov_b32_dpp v7, v5 row_shr:8 row_mask:0xf bank_mask:0xf
	v_add_u32_e32 v7, v5, v7
	v_add_u32_e32 v8, v6, v8
	v_cndmask_b32_e64 v6, v6, v8, s[8:9]
	v_cndmask_b32_e64 v7, v5, v7, s[8:9]
	v_cmp_eq_u32_e64 s[8:9], 0, v71
	v_mov_b32_dpp v8, v6 row_bcast:15 row_mask:0xf bank_mask:0xf
	v_mov_b32_dpp v5, v7 row_bcast:15 row_mask:0xf bank_mask:0xf
	v_add_u32_e32 v9, v7, v5
	v_add_u32_e32 v5, v6, v8
	v_cndmask_b32_e64 v5, v5, v6, s[8:9]
	v_cndmask_b32_e64 v6, v9, v7, s[8:9]
	v_cmp_eq_u32_e64 s[8:9], v0, v70
	v_mov_b32_dpp v7, v5 row_bcast:31 row_mask:0xf bank_mask:0xf
	v_mov_b32_dpp v8, v6 row_bcast:31 row_mask:0xf bank_mask:0xf
	v_add_u32_e32 v7, v5, v7
	v_add_u32_e32 v8, v6, v8
	s_and_saveexec_b64 s[10:11], s[8:9]
; %bb.116:
	v_lshlrev_b32_e32 v11, 3, v69
	v_cndmask_b32_e32 v10, v5, v7, vcc
	v_cndmask_b32_e32 v9, v6, v8, vcc
	ds_write_b64 v11, v[9:10]
; %bb.117:
	s_or_b64 exec, exec, s[10:11]
	v_cmp_gt_u32_e64 s[8:9], 4, v0
	s_waitcnt lgkmcnt(0)
	s_barrier
	s_and_saveexec_b64 s[10:11], s[8:9]
	s_cbranch_execz .LBB1082_119
; %bb.118:
	v_lshlrev_b32_e32 v11, 3, v0
	ds_read_b64 v[9:10], v11
	v_and_b32_e32 v12, 3, v68
	v_cmp_eq_u32_e64 s[8:9], 0, v12
	s_waitcnt lgkmcnt(0)
	v_mov_b32_dpp v25, v9 row_shr:1 row_mask:0xf bank_mask:0xf
	v_mov_b32_dpp v26, v10 row_shr:1 row_mask:0xf bank_mask:0xf
	v_add_u32_e32 v25, v25, v9
	v_add_u32_e32 v26, v26, v10
	v_cndmask_b32_e64 v10, v26, v10, s[8:9]
	v_cndmask_b32_e64 v9, v25, v9, s[8:9]
	v_cmp_lt_u32_e64 s[8:9], 1, v12
	v_mov_b32_dpp v26, v10 row_shr:2 row_mask:0xf bank_mask:0xf
	v_mov_b32_dpp v25, v9 row_shr:2 row_mask:0xf bank_mask:0xf
	v_cndmask_b32_e64 v12, 0, v25, s[8:9]
	v_cndmask_b32_e64 v25, 0, v26, s[8:9]
	v_add_u32_e32 v10, v25, v10
	v_add_u32_e32 v9, v12, v9
	ds_write_b64 v11, v[9:10]
.LBB1082_119:
	s_or_b64 exec, exec, s[10:11]
	v_cndmask_b32_e32 v5, v5, v7, vcc
	v_cndmask_b32_e32 v6, v6, v8, vcc
	v_cmp_gt_u32_e32 vcc, 64, v0
	v_cmp_lt_u32_e64 s[8:9], 63, v0
	s_waitcnt lgkmcnt(0)
	s_barrier
                                        ; implicit-def: $vgpr25
	s_and_saveexec_b64 s[10:11], s[8:9]
	s_cbranch_execz .LBB1082_121
; %bb.120:
	v_lshl_add_u32 v7, v69, 3, -8
	ds_read_b64 v[25:26], v7
	s_waitcnt lgkmcnt(0)
	v_add_u32_e32 v5, v26, v5
	v_add_u32_e32 v6, v25, v6
.LBB1082_121:
	s_or_b64 exec, exec, s[10:11]
	v_subrev_co_u32_e64 v7, s[8:9], 1, v68
	v_and_b32_e32 v8, 64, v68
	v_cmp_lt_i32_e64 s[10:11], v7, v8
	v_cndmask_b32_e64 v7, v7, v68, s[10:11]
	v_lshlrev_b32_e32 v7, 2, v7
	ds_bpermute_b32 v75, v7, v6
	ds_bpermute_b32 v76, v7, v5
	s_and_saveexec_b64 s[10:11], vcc
	s_cbranch_execz .LBB1082_141
; %bb.122:
	v_mov_b32_e32 v8, 0
	ds_read_b64 v[5:6], v8 offset:24
	s_and_saveexec_b64 s[12:13], s[8:9]
	s_cbranch_execz .LBB1082_124
; %bb.123:
	s_add_i32 s14, s33, 64
	s_mov_b32 s15, 0
	s_lshl_b64 s[14:15], s[14:15], 4
	s_add_u32 s14, s54, s14
	s_addc_u32 s15, s55, s15
	v_mov_b32_e32 v9, s14
	v_mov_b32_e32 v7, 1
	;; [unrolled: 1-line block ×3, first 2 shown]
	s_waitcnt lgkmcnt(0)
	;;#ASMSTART
	global_store_dwordx4 v[9:10], v[5:8] off	
s_waitcnt vmcnt(0)
	;;#ASMEND
.LBB1082_124:
	s_or_b64 exec, exec, s[12:13]
	v_xad_u32 v27, v68, -1, s33
	v_add_u32_e32 v7, 64, v27
	v_lshlrev_b64 v[9:10], 4, v[7:8]
	v_mov_b32_e32 v7, s55
	v_add_co_u32_e32 v28, vcc, s54, v9
	v_addc_co_u32_e32 v29, vcc, v7, v10, vcc
	;;#ASMSTART
	global_load_dwordx4 v[9:12], v[28:29] off glc	
s_waitcnt vmcnt(0)
	;;#ASMEND
	v_cmp_eq_u16_sdwa s[14:15], v11, v8 src0_sel:BYTE_0 src1_sel:DWORD
	s_and_saveexec_b64 s[12:13], s[14:15]
	s_cbranch_execz .LBB1082_128
; %bb.125:
	s_mov_b64 s[14:15], 0
	v_mov_b32_e32 v7, 0
.LBB1082_126:                           ; =>This Inner Loop Header: Depth=1
	;;#ASMSTART
	global_load_dwordx4 v[9:12], v[28:29] off glc	
s_waitcnt vmcnt(0)
	;;#ASMEND
	v_cmp_ne_u16_sdwa s[18:19], v11, v7 src0_sel:BYTE_0 src1_sel:DWORD
	s_or_b64 s[14:15], s[18:19], s[14:15]
	s_andn2_b64 exec, exec, s[14:15]
	s_cbranch_execnz .LBB1082_126
; %bb.127:
	s_or_b64 exec, exec, s[14:15]
.LBB1082_128:
	s_or_b64 exec, exec, s[12:13]
	v_and_b32_e32 v78, 63, v68
	v_cmp_ne_u32_e32 vcc, 63, v78
	v_mov_b32_e32 v77, 2
	v_lshlrev_b64 v[29:30], v68, -1
	v_addc_co_u32_e32 v12, vcc, 0, v68, vcc
	v_cmp_eq_u16_sdwa s[12:13], v11, v77 src0_sel:BYTE_0 src1_sel:DWORD
	v_lshlrev_b32_e32 v79, 2, v12
	v_and_b32_e32 v7, s13, v30
	ds_bpermute_b32 v12, v79, v9
	ds_bpermute_b32 v28, v79, v10
	v_or_b32_e32 v7, 0x80000000, v7
	v_and_b32_e32 v8, s12, v29
	v_ffbl_b32_e32 v7, v7
	v_add_u32_e32 v7, 32, v7
	v_ffbl_b32_e32 v8, v8
	v_min_u32_e32 v7, v8, v7
	s_waitcnt lgkmcnt(1)
	v_add_u32_e32 v8, v12, v9
	s_waitcnt lgkmcnt(0)
	v_add_u32_e32 v12, v28, v10
	v_cmp_lt_u32_e32 vcc, v78, v7
	v_cndmask_b32_e32 v10, v10, v12, vcc
	v_cndmask_b32_e32 v8, v9, v8, vcc
	v_cmp_gt_u32_e32 vcc, 62, v78
	v_cndmask_b32_e64 v9, 0, 2, vcc
	v_add_lshl_u32 v80, v9, v68, 2
	ds_bpermute_b32 v9, v80, v8
	ds_bpermute_b32 v12, v80, v10
	v_add_u32_e32 v81, 2, v78
	v_cmp_gt_u32_e32 vcc, v81, v7
	v_add_u32_e32 v83, 4, v78
	s_waitcnt lgkmcnt(1)
	v_add_u32_e32 v9, v8, v9
	s_waitcnt lgkmcnt(0)
	v_add_u32_e32 v12, v10, v12
	v_cndmask_b32_e32 v10, v12, v10, vcc
	v_cndmask_b32_e32 v8, v9, v8, vcc
	v_cmp_gt_u32_e32 vcc, 60, v78
	v_cndmask_b32_e64 v9, 0, 4, vcc
	v_add_lshl_u32 v82, v9, v68, 2
	ds_bpermute_b32 v9, v82, v8
	ds_bpermute_b32 v12, v82, v10
	v_cmp_gt_u32_e32 vcc, v83, v7
	v_add_u32_e32 v85, 8, v78
	v_add_u32_e32 v87, 16, v78
	s_waitcnt lgkmcnt(1)
	v_add_u32_e32 v9, v8, v9
	s_waitcnt lgkmcnt(0)
	v_add_u32_e32 v12, v10, v12
	v_cndmask_b32_e32 v10, v12, v10, vcc
	v_cndmask_b32_e32 v8, v9, v8, vcc
	v_cmp_gt_u32_e32 vcc, 56, v78
	v_cndmask_b32_e64 v9, 0, 8, vcc
	v_add_lshl_u32 v84, v9, v68, 2
	ds_bpermute_b32 v9, v84, v8
	ds_bpermute_b32 v12, v84, v10
	v_cmp_gt_u32_e32 vcc, v85, v7
	v_add_u32_e32 v89, 32, v78
	v_mov_b32_e32 v28, 0
	s_waitcnt lgkmcnt(1)
	v_add_u32_e32 v9, v8, v9
	s_waitcnt lgkmcnt(0)
	v_add_u32_e32 v12, v10, v12
	v_cndmask_b32_e32 v10, v12, v10, vcc
	v_cndmask_b32_e32 v8, v9, v8, vcc
	v_cmp_gt_u32_e32 vcc, 48, v78
	v_cndmask_b32_e64 v9, 0, 16, vcc
	v_add_lshl_u32 v86, v9, v68, 2
	ds_bpermute_b32 v9, v86, v8
	ds_bpermute_b32 v12, v86, v10
	v_cmp_gt_u32_e32 vcc, v87, v7
	s_waitcnt lgkmcnt(1)
	v_add_u32_e32 v9, v8, v9
	s_waitcnt lgkmcnt(0)
	v_add_u32_e32 v12, v10, v12
	v_cndmask_b32_e32 v8, v9, v8, vcc
	v_mov_b32_e32 v9, 0x80
	v_cndmask_b32_e32 v10, v12, v10, vcc
	v_lshl_or_b32 v88, v68, 2, v9
	ds_bpermute_b32 v9, v88, v8
	ds_bpermute_b32 v12, v88, v10
	v_cmp_le_u32_e32 vcc, v89, v7
	s_waitcnt lgkmcnt(1)
	v_cndmask_b32_e32 v7, 0, v9, vcc
	s_waitcnt lgkmcnt(0)
	v_cndmask_b32_e32 v9, 0, v12, vcc
	v_add_u32_e32 v10, v10, v9
	v_add_u32_e32 v9, v8, v7
	s_branch .LBB1082_132
.LBB1082_129:                           ;   in Loop: Header=BB1082_132 Depth=1
	s_or_b64 exec, exec, s[14:15]
.LBB1082_130:                           ;   in Loop: Header=BB1082_132 Depth=1
	s_or_b64 exec, exec, s[12:13]
	v_cmp_eq_u16_sdwa s[12:13], v11, v77 src0_sel:BYTE_0 src1_sel:DWORD
	v_and_b32_e32 v12, s13, v30
	ds_bpermute_b32 v32, v79, v9
	ds_bpermute_b32 v90, v79, v10
	v_or_b32_e32 v12, 0x80000000, v12
	v_and_b32_e32 v31, s12, v29
	v_ffbl_b32_e32 v12, v12
	v_add_u32_e32 v12, 32, v12
	v_ffbl_b32_e32 v31, v31
	v_min_u32_e32 v12, v31, v12
	s_waitcnt lgkmcnt(1)
	v_add_u32_e32 v31, v32, v9
	s_waitcnt lgkmcnt(0)
	v_add_u32_e32 v32, v90, v10
	v_cmp_lt_u32_e32 vcc, v78, v12
	v_cndmask_b32_e32 v10, v10, v32, vcc
	v_cndmask_b32_e32 v9, v9, v31, vcc
	ds_bpermute_b32 v31, v80, v9
	ds_bpermute_b32 v32, v80, v10
	v_cmp_gt_u32_e32 vcc, v81, v12
	v_subrev_u32_e32 v27, 64, v27
	s_mov_b64 s[12:13], 0
	s_waitcnt lgkmcnt(1)
	v_add_u32_e32 v31, v9, v31
	s_waitcnt lgkmcnt(0)
	v_add_u32_e32 v32, v10, v32
	v_cndmask_b32_e32 v10, v32, v10, vcc
	v_cndmask_b32_e32 v9, v31, v9, vcc
	ds_bpermute_b32 v31, v82, v9
	ds_bpermute_b32 v32, v82, v10
	v_cmp_gt_u32_e32 vcc, v83, v12
	s_waitcnt lgkmcnt(1)
	v_add_u32_e32 v31, v9, v31
	s_waitcnt lgkmcnt(0)
	v_add_u32_e32 v32, v10, v32
	v_cndmask_b32_e32 v10, v32, v10, vcc
	v_cndmask_b32_e32 v9, v31, v9, vcc
	ds_bpermute_b32 v31, v84, v9
	ds_bpermute_b32 v32, v84, v10
	v_cmp_gt_u32_e32 vcc, v85, v12
	;; [unrolled: 9-line block ×3, first 2 shown]
	s_waitcnt lgkmcnt(1)
	v_add_u32_e32 v31, v9, v31
	s_waitcnt lgkmcnt(0)
	v_add_u32_e32 v32, v10, v32
	v_cndmask_b32_e32 v10, v32, v10, vcc
	v_cndmask_b32_e32 v9, v31, v9, vcc
	ds_bpermute_b32 v31, v88, v9
	ds_bpermute_b32 v32, v88, v10
	v_cmp_le_u32_e32 vcc, v89, v12
	s_waitcnt lgkmcnt(1)
	v_cndmask_b32_e32 v12, 0, v31, vcc
	s_waitcnt lgkmcnt(0)
	v_cndmask_b32_e32 v31, 0, v32, vcc
	v_add3_u32 v10, v31, v8, v10
	v_add3_u32 v9, v12, v7, v9
.LBB1082_131:                           ;   in Loop: Header=BB1082_132 Depth=1
	s_and_b64 vcc, exec, s[12:13]
	s_cbranch_vccnz .LBB1082_137
.LBB1082_132:                           ; =>This Loop Header: Depth=1
                                        ;     Child Loop BB1082_135 Depth 2
	v_mov_b32_e32 v7, v9
	v_cmp_ne_u16_sdwa s[12:13], v11, v77 src0_sel:BYTE_0 src1_sel:DWORD
	v_mov_b32_e32 v8, v10
	s_cmp_lg_u64 s[12:13], exec
	s_mov_b64 s[12:13], -1
                                        ; implicit-def: $vgpr11
                                        ; implicit-def: $vgpr9_vgpr10
	s_cbranch_scc1 .LBB1082_131
; %bb.133:                              ;   in Loop: Header=BB1082_132 Depth=1
	v_lshlrev_b64 v[9:10], 4, v[27:28]
	v_mov_b32_e32 v11, s55
	v_add_co_u32_e32 v31, vcc, s54, v9
	v_addc_co_u32_e32 v32, vcc, v11, v10, vcc
	;;#ASMSTART
	global_load_dwordx4 v[9:12], v[31:32] off glc	
s_waitcnt vmcnt(0)
	;;#ASMEND
	v_cmp_eq_u16_sdwa s[14:15], v11, v28 src0_sel:BYTE_0 src1_sel:DWORD
	s_and_saveexec_b64 s[12:13], s[14:15]
	s_cbranch_execz .LBB1082_130
; %bb.134:                              ;   in Loop: Header=BB1082_132 Depth=1
	s_mov_b64 s[14:15], 0
.LBB1082_135:                           ;   Parent Loop BB1082_132 Depth=1
                                        ; =>  This Inner Loop Header: Depth=2
	;;#ASMSTART
	global_load_dwordx4 v[9:12], v[31:32] off glc	
s_waitcnt vmcnt(0)
	;;#ASMEND
	v_cmp_ne_u16_sdwa s[18:19], v11, v28 src0_sel:BYTE_0 src1_sel:DWORD
	s_or_b64 s[14:15], s[18:19], s[14:15]
	s_andn2_b64 exec, exec, s[14:15]
	s_cbranch_execnz .LBB1082_135
	s_branch .LBB1082_129
.LBB1082_136:
                                        ; implicit-def: $vgpr12
                                        ; implicit-def: $vgpr7
                                        ; implicit-def: $vgpr25
	s_cbranch_execnz .LBB1082_142
	s_branch .LBB1082_151
.LBB1082_137:
	s_and_saveexec_b64 s[12:13], s[8:9]
	s_cbranch_execnz .LBB1082_379
; %bb.138:
	s_or_b64 exec, exec, s[12:13]
	s_and_saveexec_b64 s[12:13], s[8:9]
	s_cbranch_execnz .LBB1082_380
.LBB1082_139:
	s_or_b64 exec, exec, s[12:13]
	s_and_b64 exec, exec, s[0:1]
.LBB1082_140:
	v_mov_b32_e32 v5, 0
	ds_write_b64 v5, v[7:8] offset:24
.LBB1082_141:
	s_or_b64 exec, exec, s[10:11]
	v_mov_b32_e32 v5, 0
	s_waitcnt lgkmcnt(0)
	s_barrier
	ds_read_b64 v[9:10], v5 offset:24
	v_cndmask_b32_e64 v6, v75, v25, s[8:9]
	s_waitcnt lgkmcnt(0)
	s_barrier
	v_add_u32_e32 v25, v9, v6
	ds_read_b128 v[5:8], v5 offset:13312
	v_cndmask_b32_e64 v11, v76, v26, s[8:9]
	v_add_u32_e32 v11, v10, v11
	v_cndmask_b32_e64 v12, v11, v10, s[0:1]
	v_cndmask_b32_e64 v25, v25, v9, s[0:1]
	s_branch .LBB1082_151
.LBB1082_142:
	s_waitcnt lgkmcnt(0)
	v_mov_b32_dpp v5, v73 row_shr:1 row_mask:0xf bank_mask:0xf
	v_mov_b32_dpp v6, v74 row_shr:1 row_mask:0xf bank_mask:0xf
	v_add_u32_e32 v5, v5, v73
	v_add_u32_e32 v6, v6, v74
	v_cndmask_b32_e64 v6, v6, v74, s[6:7]
	v_cndmask_b32_e64 v5, v5, v73, s[6:7]
	v_cmp_lt_u32_e32 vcc, 3, v72
	v_mov_b32_dpp v8, v6 row_shr:2 row_mask:0xf bank_mask:0xf
	v_mov_b32_dpp v7, v5 row_shr:2 row_mask:0xf bank_mask:0xf
	v_add_u32_e32 v7, v5, v7
	v_add_u32_e32 v8, v6, v8
	v_cndmask_b32_e64 v6, v6, v8, s[4:5]
	v_cndmask_b32_e64 v5, v5, v7, s[4:5]
	v_cmp_eq_u32_e64 s[4:5], v0, v70
	v_mov_b32_dpp v8, v6 row_shr:4 row_mask:0xf bank_mask:0xf
	v_mov_b32_dpp v7, v5 row_shr:4 row_mask:0xf bank_mask:0xf
	v_add_u32_e32 v7, v5, v7
	v_add_u32_e32 v8, v6, v8
	v_cndmask_b32_e32 v6, v6, v8, vcc
	v_cndmask_b32_e32 v5, v5, v7, vcc
	v_cmp_lt_u32_e32 vcc, 7, v72
	v_mov_b32_dpp v8, v6 row_shr:8 row_mask:0xf bank_mask:0xf
	v_mov_b32_dpp v7, v5 row_shr:8 row_mask:0xf bank_mask:0xf
	v_add_u32_e32 v7, v5, v7
	v_add_u32_e32 v8, v6, v8
	v_cndmask_b32_e32 v6, v6, v8, vcc
	v_cndmask_b32_e32 v7, v5, v7, vcc
	v_cmp_eq_u32_e32 vcc, 0, v71
	v_mov_b32_dpp v8, v6 row_bcast:15 row_mask:0xf bank_mask:0xf
	v_mov_b32_dpp v5, v7 row_bcast:15 row_mask:0xf bank_mask:0xf
	v_add_u32_e32 v9, v7, v5
	v_add_u32_e32 v5, v6, v8
	v_cndmask_b32_e32 v5, v5, v6, vcc
	v_cndmask_b32_e32 v6, v9, v7, vcc
	v_cmp_lt_u32_e32 vcc, 31, v68
	v_mov_b32_dpp v7, v5 row_bcast:31 row_mask:0xf bank_mask:0xf
	v_mov_b32_dpp v8, v6 row_bcast:31 row_mask:0xf bank_mask:0xf
	v_add_u32_e32 v7, v5, v7
	v_add_u32_e32 v8, v6, v8
	s_and_saveexec_b64 s[6:7], s[4:5]
; %bb.143:
	v_cndmask_b32_e32 v9, v6, v8, vcc
	v_cndmask_b32_e32 v10, v5, v7, vcc
	v_lshlrev_b32_e32 v11, 3, v69
	ds_write_b64 v11, v[9:10]
; %bb.144:
	s_or_b64 exec, exec, s[6:7]
	v_cmp_gt_u32_e64 s[4:5], 4, v0
	s_waitcnt lgkmcnt(0)
	s_barrier
	s_and_saveexec_b64 s[6:7], s[4:5]
	s_cbranch_execz .LBB1082_146
; %bb.145:
	v_lshlrev_b32_e32 v11, 3, v0
	ds_read_b64 v[9:10], v11
	v_and_b32_e32 v12, 3, v68
	v_cmp_eq_u32_e64 s[4:5], 0, v12
	s_waitcnt lgkmcnt(0)
	v_mov_b32_dpp v25, v9 row_shr:1 row_mask:0xf bank_mask:0xf
	v_mov_b32_dpp v26, v10 row_shr:1 row_mask:0xf bank_mask:0xf
	v_add_u32_e32 v25, v25, v9
	v_add_u32_e32 v26, v26, v10
	v_cndmask_b32_e64 v10, v26, v10, s[4:5]
	v_cndmask_b32_e64 v9, v25, v9, s[4:5]
	v_cmp_lt_u32_e64 s[4:5], 1, v12
	v_mov_b32_dpp v26, v10 row_shr:2 row_mask:0xf bank_mask:0xf
	v_mov_b32_dpp v25, v9 row_shr:2 row_mask:0xf bank_mask:0xf
	v_cndmask_b32_e64 v12, 0, v25, s[4:5]
	v_cndmask_b32_e64 v25, 0, v26, s[4:5]
	v_add_u32_e32 v10, v25, v10
	v_add_u32_e32 v9, v12, v9
	ds_write_b64 v11, v[9:10]
.LBB1082_146:
	s_or_b64 exec, exec, s[6:7]
	v_cmp_lt_u32_e64 s[4:5], 63, v0
	v_mov_b32_e32 v11, 0
	v_mov_b32_e32 v9, 0
	;; [unrolled: 1-line block ×3, first 2 shown]
	s_waitcnt lgkmcnt(0)
	s_barrier
	s_and_saveexec_b64 s[6:7], s[4:5]
; %bb.147:
	v_lshl_add_u32 v9, v69, 3, -8
	ds_read_b64 v[9:10], v9
; %bb.148:
	s_or_b64 exec, exec, s[6:7]
	v_cndmask_b32_e32 v6, v6, v8, vcc
	v_cndmask_b32_e32 v5, v5, v7, vcc
	v_subrev_co_u32_e32 v7, vcc, 1, v68
	v_and_b32_e32 v8, 64, v68
	v_cmp_lt_i32_e64 s[4:5], v7, v8
	v_cndmask_b32_e64 v7, v7, v68, s[4:5]
	s_waitcnt lgkmcnt(0)
	v_add_u32_e32 v5, v10, v5
	v_add_u32_e32 v6, v9, v6
	v_lshlrev_b32_e32 v7, 2, v7
	ds_bpermute_b32 v12, v7, v6
	ds_bpermute_b32 v25, v7, v5
	ds_read_b64 v[5:6], v11 offset:24
	s_and_saveexec_b64 s[4:5], s[0:1]
	s_cbranch_execz .LBB1082_150
; %bb.149:
	s_add_u32 s6, s54, 0x400
	s_addc_u32 s7, s55, 0
	v_mov_b32_e32 v27, s7
	v_mov_b32_e32 v7, 2
	;; [unrolled: 1-line block ×4, first 2 shown]
	s_waitcnt lgkmcnt(0)
	;;#ASMSTART
	global_store_dwordx4 v[26:27], v[5:8] off	
s_waitcnt vmcnt(0)
	;;#ASMEND
.LBB1082_150:
	s_or_b64 exec, exec, s[4:5]
	s_waitcnt lgkmcnt(2)
	v_cndmask_b32_e32 v7, v12, v9, vcc
	s_waitcnt lgkmcnt(1)
	v_cndmask_b32_e32 v8, v25, v10, vcc
	v_cndmask_b32_e64 v12, v8, 0, s[0:1]
	v_cndmask_b32_e64 v25, v7, 0, s[0:1]
	v_mov_b32_e32 v8, 0
	v_mov_b32_e32 v7, 0
	s_waitcnt lgkmcnt(0)
	s_barrier
.LBB1082_151:
	s_waitcnt lgkmcnt(0)
	v_add_co_u32_e32 v1, vcc, v1, v7
	v_addc_co_u32_e32 v2, vcc, 0, v2, vcc
	v_sub_co_u32_e32 v29, vcc, v3, v5
	v_add_u32_e32 v32, v12, v54
	v_subbrev_co_u32_e32 v30, vcc, 0, v4, vcc
	v_lshlrev_b32_e32 v72, 1, v5
	v_sub_u32_e32 v12, v12, v8
	v_lshrrev_b32_e32 v28, 8, v42
	v_add_u32_e32 v31, v25, v53
	v_add_co_u32_e32 v29, vcc, v29, v8
	v_add_u32_e32 v73, v72, v6
	v_sub_u32_e32 v25, v25, v7
	v_add_u32_e32 v12, v12, v5
	v_addc_co_u32_e32 v30, vcc, 0, v30, vcc
	v_add_u32_e32 v35, v73, v35
	v_and_b32_e32 v28, 1, v28
	v_add_u32_e32 v74, v25, v12
	v_and_b32_e32 v73, 1, v36
	v_sub_u32_e32 v74, v35, v74
	v_cmp_eq_u32_e32 vcc, 1, v28
	v_cndmask_b32_e32 v12, v74, v12, vcc
	v_cmp_eq_u32_e32 vcc, 1, v73
	v_cndmask_b32_e32 v12, v12, v25, vcc
	v_lshlrev_b32_e32 v12, 2, v12
	v_sub_u32_e32 v25, v32, v8
	v_lshrrev_b32_e32 v27, 8, v36
	ds_write_b32 v12, v23
	v_sub_u32_e32 v12, v31, v7
	v_add_u32_e32 v25, v25, v5
	v_add_u32_e32 v50, v31, v50
	v_and_b32_e32 v23, 1, v27
	v_mov_b32_e32 v27, 1
	v_add_u32_e32 v31, v25, v12
	v_and_b32_sdwa v28, v27, v42 dst_sel:DWORD dst_unused:UNUSED_PAD src0_sel:DWORD src1_sel:WORD_1
	v_sub_u32_e32 v31, v35, v31
	v_add_u32_e32 v31, 1, v31
	v_cmp_eq_u32_e32 vcc, 1, v28
	v_cndmask_b32_e32 v25, v31, v25, vcc
	v_cmp_eq_u32_e32 vcc, 1, v23
	v_cndmask_b32_e32 v12, v25, v12, vcc
	v_add_u32_e32 v53, v32, v62
	v_lshlrev_b32_e32 v12, 2, v12
	ds_write_b32 v12, v24
	v_sub_u32_e32 v24, v53, v8
	v_sub_u32_e32 v12, v50, v7
	v_add_u32_e32 v24, v24, v5
	v_add_u32_e32 v28, v24, v12
	v_and_b32_e32 v25, 1, v49
	v_sub_u32_e32 v28, v35, v28
	v_and_b32_sdwa v23, v27, v36 dst_sel:DWORD dst_unused:UNUSED_PAD src0_sel:DWORD src1_sel:WORD_1
	v_add_u32_e32 v28, 2, v28
	v_cmp_eq_u32_e32 vcc, 1, v25
	v_cndmask_b32_e32 v24, v28, v24, vcc
	v_cmp_eq_u32_e32 vcc, 1, v23
	v_add_u32_e32 v54, v50, v55
	v_add_u32_e32 v55, v53, v49
	v_cndmask_b32_e32 v12, v24, v12, vcc
	v_lshlrev_b32_e32 v12, 2, v12
	v_sub_u32_e32 v23, v55, v8
	ds_write_b32 v12, v21
	v_sub_u32_e32 v12, v54, v7
	v_add_u32_e32 v23, v23, v5
	v_add_u32_e32 v25, v12, v23
	v_and_b32_e32 v24, 1, v37
	v_sub_u32_e32 v25, v35, v25
	v_and_b32_e32 v21, 1, v48
	v_add_u32_e32 v25, 3, v25
	v_cmp_eq_u32_e32 vcc, 1, v24
	v_cndmask_b32_e32 v23, v25, v23, vcc
	v_cmp_eq_u32_e32 vcc, 1, v21
	v_cndmask_b32_e32 v12, v23, v12, vcc
	v_add_u32_e32 v62, v55, v63
	v_lshlrev_b32_e32 v12, 2, v12
	v_add_u32_e32 v63, v54, v48
	ds_write_b32 v12, v22
	v_sub_u32_e32 v22, v62, v8
	v_sub_u32_e32 v12, v63, v7
	v_add_u32_e32 v22, v22, v5
	v_lshrrev_b32_e32 v26, 8, v37
	v_add_u32_e32 v24, v12, v22
	v_and_b32_e32 v23, 1, v26
	v_sub_u32_e32 v24, v35, v24
	v_and_b32_e32 v21, 1, v38
	v_add_u32_e32 v24, 4, v24
	v_cmp_eq_u32_e32 vcc, 1, v23
	v_cndmask_b32_e32 v22, v24, v22, vcc
	v_cmp_eq_u32_e32 vcc, 1, v21
	v_cndmask_b32_e32 v12, v22, v12, vcc
	v_add_u32_e32 v57, v62, v57
	v_lshlrev_b32_e32 v12, 2, v12
	v_add_u32_e32 v56, v63, v56
	ds_write_b32 v12, v19
	v_sub_u32_e32 v19, v57, v8
	v_sub_u32_e32 v12, v56, v7
	v_add_u32_e32 v19, v19, v5
	v_add_u32_e32 v22, v12, v19
	v_lshrrev_b32_e32 v11, 8, v38
	v_and_b32_sdwa v21, v27, v37 dst_sel:DWORD dst_unused:UNUSED_PAD src0_sel:DWORD src1_sel:WORD_1
	v_sub_u32_e32 v22, v35, v22
	v_and_b32_e32 v11, 1, v11
	v_add_u32_e32 v22, 5, v22
	v_cmp_eq_u32_e32 vcc, 1, v21
	v_cndmask_b32_e32 v19, v22, v19, vcc
	v_cmp_eq_u32_e32 vcc, 1, v11
	v_add_u32_e32 v64, v57, v64
	v_cndmask_b32_e32 v11, v19, v12, vcc
	v_add_u32_e32 v51, v56, v51
	v_lshlrev_b32_e32 v11, 2, v11
	v_sub_u32_e32 v19, v64, v8
	ds_write_b32 v11, v20
	v_sub_u32_e32 v11, v51, v7
	v_add_u32_e32 v19, v19, v5
	v_add_u32_e32 v21, v11, v19
	v_and_b32_e32 v20, 1, v47
	v_sub_u32_e32 v21, v35, v21
	v_and_b32_sdwa v12, v27, v38 dst_sel:DWORD dst_unused:UNUSED_PAD src0_sel:DWORD src1_sel:WORD_1
	v_add_u32_e32 v21, 6, v21
	v_cmp_eq_u32_e32 vcc, 1, v20
	v_cndmask_b32_e32 v19, v21, v19, vcc
	v_cmp_eq_u32_e32 vcc, 1, v12
	v_cndmask_b32_e32 v11, v19, v11, vcc
	v_add_u32_e32 v68, v64, v47
	v_lshlrev_b32_e32 v11, 2, v11
	v_add_u32_e32 v58, v51, v58
	ds_write_b32 v11, v17
	v_sub_u32_e32 v17, v68, v8
	v_sub_u32_e32 v11, v58, v7
	v_add_u32_e32 v17, v17, v5
	v_add_u32_e32 v20, v11, v17
	v_and_b32_e32 v19, 1, v39
	v_sub_u32_e32 v20, v35, v20
	v_and_b32_e32 v12, 1, v46
	v_add_u32_e32 v20, 7, v20
	v_cmp_eq_u32_e32 vcc, 1, v19
	v_cndmask_b32_e32 v17, v20, v17, vcc
	v_cmp_eq_u32_e32 vcc, 1, v12
	v_add_u32_e32 v65, v68, v65
	v_cndmask_b32_e32 v11, v17, v11, vcc
	v_add_u32_e32 v69, v58, v46
	v_lshlrev_b32_e32 v11, 2, v11
	v_sub_u32_e32 v17, v65, v8
	ds_write_b32 v11, v18
	v_sub_u32_e32 v11, v69, v7
	v_add_u32_e32 v17, v17, v5
	v_lshrrev_b32_e32 v10, 8, v39
	v_add_u32_e32 v18, v11, v17
	v_and_b32_e32 v10, 1, v10
	v_sub_u32_e32 v18, v35, v18
	v_and_b32_e32 v12, 1, v41
	v_add_u32_e32 v18, 8, v18
	v_cmp_eq_u32_e32 vcc, 1, v10
	v_cndmask_b32_e32 v10, v18, v17, vcc
	v_cmp_eq_u32_e32 vcc, 1, v12
	v_add_u32_e32 v60, v65, v60
	v_cndmask_b32_e32 v10, v10, v11, vcc
	v_add_u32_e32 v59, v69, v59
	v_lshlrev_b32_e32 v10, 2, v10
	v_sub_u32_e32 v11, v60, v8
	ds_write_b32 v10, v15
	v_sub_u32_e32 v10, v59, v7
	v_add_u32_e32 v11, v11, v5
	v_add_u32_e32 v15, v10, v11
	v_lshrrev_b32_e32 v9, 8, v41
	v_and_b32_sdwa v12, v27, v39 dst_sel:DWORD dst_unused:UNUSED_PAD src0_sel:DWORD src1_sel:WORD_1
	v_sub_u32_e32 v15, v35, v15
	v_and_b32_e32 v9, 1, v9
	v_add_u32_e32 v15, 9, v15
	v_cmp_eq_u32_e32 vcc, 1, v12
	v_cndmask_b32_e32 v11, v15, v11, vcc
	v_cmp_eq_u32_e32 vcc, 1, v9
	v_add_u32_e32 v66, v60, v66
	v_cndmask_b32_e32 v9, v11, v10, vcc
	v_add_u32_e32 v52, v59, v52
	v_lshlrev_b32_e32 v9, 2, v9
	v_sub_u32_e32 v11, v66, v8
	ds_write_b32 v9, v16
	v_sub_u32_e32 v9, v52, v7
	v_add_u32_e32 v11, v11, v5
	v_add_u32_e32 v15, v9, v11
	v_and_b32_e32 v12, 1, v45
	v_sub_u32_e32 v15, v35, v15
	v_and_b32_sdwa v10, v27, v41 dst_sel:DWORD dst_unused:UNUSED_PAD src0_sel:DWORD src1_sel:WORD_1
	v_add_u32_e32 v15, 10, v15
	v_cmp_eq_u32_e32 vcc, 1, v12
	v_cndmask_b32_e32 v11, v15, v11, vcc
	v_cmp_eq_u32_e32 vcc, 1, v10
	v_add_u32_e32 v70, v66, v45
	v_cndmask_b32_e32 v9, v11, v9, vcc
	v_add_u32_e32 v61, v52, v61
	v_lshlrev_b32_e32 v9, 2, v9
	v_sub_u32_e32 v11, v70, v8
	ds_write_b32 v9, v13
	v_sub_u32_e32 v9, v61, v7
	v_add_u32_e32 v11, v11, v5
	v_add_u32_e32 v13, v9, v11
	v_and_b32_e32 v12, 1, v40
	v_sub_u32_e32 v13, v35, v13
	v_add_u32_e32 v67, v70, v67
	v_and_b32_e32 v10, 1, v44
	v_add_u32_e32 v13, 11, v13
	v_cmp_eq_u32_e32 vcc, 1, v12
	v_add_u32_e32 v71, v61, v44
	v_cndmask_b32_e32 v11, v13, v11, vcc
	v_cmp_eq_u32_e32 vcc, 1, v10
	v_sub_u32_e32 v10, v67, v8
	v_sub_u32_e32 v7, v71, v7
	v_add_u32_e32 v10, v10, v5
	v_cndmask_b32_e32 v9, v11, v9, vcc
	v_add_u32_e32 v12, v7, v10
	v_lshlrev_b32_e32 v9, 2, v9
	v_and_b32_e32 v11, 1, v43
	v_sub_u32_e32 v12, v35, v12
	ds_write_b32 v9, v14
	v_and_b32_e32 v9, 1, v42
	v_add_u32_e32 v12, 12, v12
	v_cmp_eq_u32_e32 vcc, 1, v11
	v_cndmask_b32_e32 v10, v12, v10, vcc
	v_cmp_eq_u32_e32 vcc, 1, v9
	v_cndmask_b32_e32 v7, v10, v7, vcc
	v_lshlrev_b32_e32 v7, 2, v7
	ds_write_b32 v7, v34
	v_mov_b32_e32 v7, s53
	v_add_co_u32_e32 v9, vcc, s52, v33
	v_addc_co_u32_e32 v10, vcc, 0, v7, vcc
	v_add_co_u32_e32 v7, vcc, v6, v72
	v_addc_co_u32_e64 v11, s[4:5], 0, 0, vcc
	v_add_co_u32_e32 v7, vcc, v7, v29
	v_addc_co_u32_e32 v11, vcc, v11, v30, vcc
	v_add_co_u32_e32 v7, vcc, v7, v1
	v_addc_co_u32_e32 v11, vcc, v11, v2, vcc
	v_sub_co_u32_e32 v7, vcc, v9, v7
	v_subb_co_u32_e32 v13, vcc, v10, v11, vcc
	v_lshlrev_b64 v[9:10], 2, v[29:30]
	v_mov_b32_e32 v11, s51
	v_add_co_u32_e32 v9, vcc, s50, v9
	v_addc_co_u32_e32 v10, vcc, v11, v10, vcc
	v_lshlrev_b64 v[11:12], 2, v[1:2]
	v_mov_b32_e32 v15, s49
	v_add_co_u32_e32 v11, vcc, s48, v11
	v_addc_co_u32_e32 v12, vcc, v15, v12, vcc
	v_add_u32_e32 v14, v5, v6
	s_and_b64 vcc, exec, s[2:3]
	s_mov_b64 s[2:3], -1
	s_waitcnt lgkmcnt(0)
	s_barrier
	s_cbranch_vccz .LBB1082_155
; %bb.152:
	s_and_b64 vcc, exec, s[2:3]
	s_cbranch_vccnz .LBB1082_260
.LBB1082_153:
	s_and_b64 s[0:1], s[0:1], s[34:35]
	s_and_saveexec_b64 s[2:3], s[0:1]
	s_cbranch_execnz .LBB1082_378
.LBB1082_154:
	s_endpgm
.LBB1082_155:
	v_cmp_ge_u32_e32 vcc, v0, v5
	s_and_saveexec_b64 s[2:3], vcc
	s_xor_b64 s[2:3], exec, s[2:3]
	s_cbranch_execz .LBB1082_161
; %bb.156:
	v_cmp_ge_u32_e32 vcc, v0, v14
	s_and_saveexec_b64 s[4:5], vcc
	s_xor_b64 s[4:5], exec, s[4:5]
	s_cbranch_execz .LBB1082_158
; %bb.157:
	v_add_co_u32_e32 v15, vcc, v7, v0
	v_lshlrev_b32_e32 v17, 2, v0
	v_addc_co_u32_e32 v16, vcc, 0, v13, vcc
	ds_read_b32 v17, v17
	v_lshlrev_b64 v[15:16], 2, v[15:16]
	v_mov_b32_e32 v18, s31
	v_sub_co_u32_e32 v15, vcc, s30, v15
	v_subb_co_u32_e32 v16, vcc, v18, v16, vcc
	s_waitcnt lgkmcnt(0)
	global_store_dword v[15:16], v17, off offset:-4
.LBB1082_158:
	s_andn2_saveexec_b64 s[4:5], s[4:5]
	s_cbranch_execz .LBB1082_160
; %bb.159:
	v_lshlrev_b32_e32 v15, 2, v0
	ds_read_b32 v16, v15
	v_readfirstlane_b32 s6, v9
	v_readfirstlane_b32 s7, v10
	s_waitcnt lgkmcnt(0)
	s_nop 3
	global_store_dword v15, v16, s[6:7]
.LBB1082_160:
	s_or_b64 exec, exec, s[4:5]
.LBB1082_161:
	s_andn2_saveexec_b64 s[2:3], s[2:3]
	s_cbranch_execz .LBB1082_163
; %bb.162:
	v_lshlrev_b32_e32 v15, 2, v0
	ds_read_b32 v16, v15
	v_readfirstlane_b32 s4, v11
	v_readfirstlane_b32 s5, v12
	s_waitcnt lgkmcnt(0)
	s_nop 3
	global_store_dword v15, v16, s[4:5]
.LBB1082_163:
	s_or_b64 exec, exec, s[2:3]
	v_or_b32_e32 v15, 0x100, v0
	v_cmp_ge_u32_e32 vcc, v15, v5
	s_and_saveexec_b64 s[2:3], vcc
	s_xor_b64 s[2:3], exec, s[2:3]
	s_cbranch_execz .LBB1082_169
; %bb.164:
	v_cmp_ge_u32_e32 vcc, v15, v14
	s_and_saveexec_b64 s[4:5], vcc
	s_xor_b64 s[4:5], exec, s[4:5]
	s_cbranch_execz .LBB1082_166
; %bb.165:
	v_lshlrev_b32_e32 v15, 2, v0
	ds_read_b32 v17, v15 offset:1024
	v_add_co_u32_e32 v15, vcc, v7, v0
	v_addc_co_u32_e32 v16, vcc, 0, v13, vcc
	v_lshlrev_b64 v[15:16], 2, v[15:16]
	v_mov_b32_e32 v18, s31
	v_sub_co_u32_e32 v15, vcc, s30, v15
	v_subb_co_u32_e32 v16, vcc, v18, v16, vcc
	s_waitcnt lgkmcnt(0)
	global_store_dword v[15:16], v17, off offset:-1028
.LBB1082_166:
	s_andn2_saveexec_b64 s[4:5], s[4:5]
	s_cbranch_execz .LBB1082_168
; %bb.167:
	v_lshlrev_b32_e32 v15, 2, v0
	ds_read_b32 v16, v15 offset:1024
	v_readfirstlane_b32 s6, v9
	v_readfirstlane_b32 s7, v10
	s_waitcnt lgkmcnt(0)
	s_nop 3
	global_store_dword v15, v16, s[6:7] offset:1024
.LBB1082_168:
	s_or_b64 exec, exec, s[4:5]
.LBB1082_169:
	s_andn2_saveexec_b64 s[2:3], s[2:3]
	s_cbranch_execz .LBB1082_171
; %bb.170:
	v_lshlrev_b32_e32 v15, 2, v0
	ds_read_b32 v16, v15 offset:1024
	v_readfirstlane_b32 s4, v11
	v_readfirstlane_b32 s5, v12
	s_waitcnt lgkmcnt(0)
	s_nop 3
	global_store_dword v15, v16, s[4:5] offset:1024
.LBB1082_171:
	s_or_b64 exec, exec, s[2:3]
	v_or_b32_e32 v15, 0x200, v0
	v_cmp_ge_u32_e32 vcc, v15, v5
	s_and_saveexec_b64 s[2:3], vcc
	s_xor_b64 s[2:3], exec, s[2:3]
	s_cbranch_execz .LBB1082_177
; %bb.172:
	v_cmp_ge_u32_e32 vcc, v15, v14
	s_and_saveexec_b64 s[4:5], vcc
	s_xor_b64 s[4:5], exec, s[4:5]
	s_cbranch_execz .LBB1082_174
; %bb.173:
	v_lshlrev_b32_e32 v15, 2, v0
	ds_read_b32 v17, v15 offset:2048
	v_add_co_u32_e32 v15, vcc, v7, v0
	v_addc_co_u32_e32 v16, vcc, 0, v13, vcc
	v_lshlrev_b64 v[15:16], 2, v[15:16]
	v_mov_b32_e32 v18, s31
	v_sub_co_u32_e32 v15, vcc, s30, v15
	v_subb_co_u32_e32 v16, vcc, v18, v16, vcc
	s_waitcnt lgkmcnt(0)
	global_store_dword v[15:16], v17, off offset:-2052
.LBB1082_174:
	s_andn2_saveexec_b64 s[4:5], s[4:5]
	s_cbranch_execz .LBB1082_176
; %bb.175:
	v_lshlrev_b32_e32 v15, 2, v0
	ds_read_b32 v16, v15 offset:2048
	v_readfirstlane_b32 s6, v9
	v_readfirstlane_b32 s7, v10
	s_waitcnt lgkmcnt(0)
	s_nop 3
	global_store_dword v15, v16, s[6:7] offset:2048
.LBB1082_176:
	s_or_b64 exec, exec, s[4:5]
.LBB1082_177:
	s_andn2_saveexec_b64 s[2:3], s[2:3]
	s_cbranch_execz .LBB1082_179
; %bb.178:
	v_lshlrev_b32_e32 v15, 2, v0
	ds_read_b32 v16, v15 offset:2048
	v_readfirstlane_b32 s4, v11
	v_readfirstlane_b32 s5, v12
	s_waitcnt lgkmcnt(0)
	s_nop 3
	global_store_dword v15, v16, s[4:5] offset:2048
.LBB1082_179:
	;; [unrolled: 47-line block ×3, first 2 shown]
	s_or_b64 exec, exec, s[2:3]
	v_or_b32_e32 v15, 0x400, v0
	v_cmp_ge_u32_e32 vcc, v15, v5
	s_and_saveexec_b64 s[2:3], vcc
	s_xor_b64 s[2:3], exec, s[2:3]
	s_cbranch_execz .LBB1082_193
; %bb.188:
	v_cmp_ge_u32_e32 vcc, v15, v14
	s_and_saveexec_b64 s[4:5], vcc
	s_xor_b64 s[4:5], exec, s[4:5]
	s_cbranch_execz .LBB1082_190
; %bb.189:
	v_lshlrev_b32_e32 v15, 2, v0
	ds_read_b32 v17, v15 offset:4096
	v_add_co_u32_e32 v15, vcc, v7, v0
	v_addc_co_u32_e32 v16, vcc, 0, v13, vcc
	v_lshlrev_b64 v[15:16], 2, v[15:16]
	v_mov_b32_e32 v18, s31
	v_sub_co_u32_e32 v15, vcc, s30, v15
	v_subb_co_u32_e32 v16, vcc, v18, v16, vcc
	v_add_co_u32_e32 v15, vcc, 0xfffff000, v15
	v_addc_co_u32_e32 v16, vcc, -1, v16, vcc
	s_waitcnt lgkmcnt(0)
	global_store_dword v[15:16], v17, off offset:-4
                                        ; implicit-def: $vgpr15
.LBB1082_190:
	s_andn2_saveexec_b64 s[4:5], s[4:5]
	s_cbranch_execz .LBB1082_192
; %bb.191:
	v_lshlrev_b32_e32 v16, 2, v0
	ds_read_b32 v16, v16 offset:4096
	v_lshlrev_b32_e32 v15, 2, v15
	v_readfirstlane_b32 s6, v9
	v_readfirstlane_b32 s7, v10
	s_waitcnt lgkmcnt(0)
	s_nop 3
	global_store_dword v15, v16, s[6:7]
.LBB1082_192:
	s_or_b64 exec, exec, s[4:5]
                                        ; implicit-def: $vgpr15
.LBB1082_193:
	s_andn2_saveexec_b64 s[2:3], s[2:3]
	s_cbranch_execz .LBB1082_195
; %bb.194:
	v_lshlrev_b32_e32 v16, 2, v0
	ds_read_b32 v16, v16 offset:4096
	v_lshlrev_b32_e32 v15, 2, v15
	v_readfirstlane_b32 s4, v11
	v_readfirstlane_b32 s5, v12
	s_waitcnt lgkmcnt(0)
	s_nop 3
	global_store_dword v15, v16, s[4:5]
.LBB1082_195:
	s_or_b64 exec, exec, s[2:3]
	v_or_b32_e32 v15, 0x500, v0
	v_cmp_ge_u32_e32 vcc, v15, v5
	s_and_saveexec_b64 s[2:3], vcc
	s_xor_b64 s[2:3], exec, s[2:3]
	s_cbranch_execz .LBB1082_201
; %bb.196:
	v_cmp_ge_u32_e32 vcc, v15, v14
	s_and_saveexec_b64 s[4:5], vcc
	s_xor_b64 s[4:5], exec, s[4:5]
	s_cbranch_execz .LBB1082_198
; %bb.197:
	v_add_co_u32_e32 v15, vcc, v7, v15
	v_lshlrev_b32_e32 v17, 2, v0
	v_addc_co_u32_e32 v16, vcc, 0, v13, vcc
	ds_read_b32 v17, v17 offset:5120
	v_lshlrev_b64 v[15:16], 2, v[15:16]
	v_mov_b32_e32 v18, s31
	v_sub_co_u32_e32 v15, vcc, s30, v15
	v_subb_co_u32_e32 v16, vcc, v18, v16, vcc
	s_waitcnt lgkmcnt(0)
	global_store_dword v[15:16], v17, off offset:-4
                                        ; implicit-def: $vgpr15
.LBB1082_198:
	s_andn2_saveexec_b64 s[4:5], s[4:5]
	s_cbranch_execz .LBB1082_200
; %bb.199:
	v_lshlrev_b32_e32 v16, 2, v0
	ds_read_b32 v16, v16 offset:5120
	v_lshlrev_b32_e32 v15, 2, v15
	v_readfirstlane_b32 s6, v9
	v_readfirstlane_b32 s7, v10
	s_waitcnt lgkmcnt(0)
	s_nop 3
	global_store_dword v15, v16, s[6:7]
.LBB1082_200:
	s_or_b64 exec, exec, s[4:5]
                                        ; implicit-def: $vgpr15
.LBB1082_201:
	s_andn2_saveexec_b64 s[2:3], s[2:3]
	s_cbranch_execz .LBB1082_203
; %bb.202:
	v_lshlrev_b32_e32 v16, 2, v0
	ds_read_b32 v16, v16 offset:5120
	v_lshlrev_b32_e32 v15, 2, v15
	v_readfirstlane_b32 s4, v11
	v_readfirstlane_b32 s5, v12
	s_waitcnt lgkmcnt(0)
	s_nop 3
	global_store_dword v15, v16, s[4:5]
.LBB1082_203:
	s_or_b64 exec, exec, s[2:3]
	v_or_b32_e32 v15, 0x600, v0
	v_cmp_ge_u32_e32 vcc, v15, v5
	s_and_saveexec_b64 s[2:3], vcc
	s_xor_b64 s[2:3], exec, s[2:3]
	s_cbranch_execz .LBB1082_209
; %bb.204:
	v_cmp_ge_u32_e32 vcc, v15, v14
	s_and_saveexec_b64 s[4:5], vcc
	s_xor_b64 s[4:5], exec, s[4:5]
	s_cbranch_execz .LBB1082_206
; %bb.205:
	v_add_co_u32_e32 v15, vcc, v7, v15
	v_lshlrev_b32_e32 v17, 2, v0
	v_addc_co_u32_e32 v16, vcc, 0, v13, vcc
	ds_read_b32 v17, v17 offset:6144
	v_lshlrev_b64 v[15:16], 2, v[15:16]
	v_mov_b32_e32 v18, s31
	v_sub_co_u32_e32 v15, vcc, s30, v15
	v_subb_co_u32_e32 v16, vcc, v18, v16, vcc
	s_waitcnt lgkmcnt(0)
	global_store_dword v[15:16], v17, off offset:-4
                                        ; implicit-def: $vgpr15
.LBB1082_206:
	s_andn2_saveexec_b64 s[4:5], s[4:5]
	s_cbranch_execz .LBB1082_208
; %bb.207:
	v_lshlrev_b32_e32 v16, 2, v0
	ds_read_b32 v16, v16 offset:6144
	v_lshlrev_b32_e32 v15, 2, v15
	v_readfirstlane_b32 s6, v9
	v_readfirstlane_b32 s7, v10
	s_waitcnt lgkmcnt(0)
	s_nop 3
	global_store_dword v15, v16, s[6:7]
.LBB1082_208:
	s_or_b64 exec, exec, s[4:5]
                                        ; implicit-def: $vgpr15
.LBB1082_209:
	s_andn2_saveexec_b64 s[2:3], s[2:3]
	s_cbranch_execz .LBB1082_211
; %bb.210:
	v_lshlrev_b32_e32 v16, 2, v0
	ds_read_b32 v16, v16 offset:6144
	v_lshlrev_b32_e32 v15, 2, v15
	v_readfirstlane_b32 s4, v11
	v_readfirstlane_b32 s5, v12
	s_waitcnt lgkmcnt(0)
	s_nop 3
	global_store_dword v15, v16, s[4:5]
.LBB1082_211:
	s_or_b64 exec, exec, s[2:3]
	v_or_b32_e32 v15, 0x700, v0
	v_cmp_ge_u32_e32 vcc, v15, v5
	s_and_saveexec_b64 s[2:3], vcc
	s_xor_b64 s[2:3], exec, s[2:3]
	s_cbranch_execz .LBB1082_217
; %bb.212:
	v_cmp_ge_u32_e32 vcc, v15, v14
	s_and_saveexec_b64 s[4:5], vcc
	s_xor_b64 s[4:5], exec, s[4:5]
	s_cbranch_execz .LBB1082_214
; %bb.213:
	v_add_co_u32_e32 v15, vcc, v7, v15
	v_lshlrev_b32_e32 v17, 2, v0
	v_addc_co_u32_e32 v16, vcc, 0, v13, vcc
	ds_read_b32 v17, v17 offset:7168
	v_lshlrev_b64 v[15:16], 2, v[15:16]
	v_mov_b32_e32 v18, s31
	v_sub_co_u32_e32 v15, vcc, s30, v15
	v_subb_co_u32_e32 v16, vcc, v18, v16, vcc
	s_waitcnt lgkmcnt(0)
	global_store_dword v[15:16], v17, off offset:-4
                                        ; implicit-def: $vgpr15
.LBB1082_214:
	s_andn2_saveexec_b64 s[4:5], s[4:5]
	s_cbranch_execz .LBB1082_216
; %bb.215:
	v_lshlrev_b32_e32 v16, 2, v0
	ds_read_b32 v16, v16 offset:7168
	v_lshlrev_b32_e32 v15, 2, v15
	v_readfirstlane_b32 s6, v9
	v_readfirstlane_b32 s7, v10
	s_waitcnt lgkmcnt(0)
	s_nop 3
	global_store_dword v15, v16, s[6:7]
.LBB1082_216:
	s_or_b64 exec, exec, s[4:5]
                                        ; implicit-def: $vgpr15
.LBB1082_217:
	s_andn2_saveexec_b64 s[2:3], s[2:3]
	s_cbranch_execz .LBB1082_219
; %bb.218:
	v_lshlrev_b32_e32 v16, 2, v0
	ds_read_b32 v16, v16 offset:7168
	v_lshlrev_b32_e32 v15, 2, v15
	v_readfirstlane_b32 s4, v11
	v_readfirstlane_b32 s5, v12
	s_waitcnt lgkmcnt(0)
	s_nop 3
	global_store_dword v15, v16, s[4:5]
.LBB1082_219:
	s_or_b64 exec, exec, s[2:3]
	v_or_b32_e32 v15, 0x800, v0
	v_cmp_ge_u32_e32 vcc, v15, v5
	s_and_saveexec_b64 s[2:3], vcc
	s_xor_b64 s[2:3], exec, s[2:3]
	s_cbranch_execz .LBB1082_225
; %bb.220:
	v_cmp_ge_u32_e32 vcc, v15, v14
	s_and_saveexec_b64 s[4:5], vcc
	s_xor_b64 s[4:5], exec, s[4:5]
	s_cbranch_execz .LBB1082_222
; %bb.221:
	v_add_co_u32_e32 v15, vcc, v7, v15
	v_lshlrev_b32_e32 v17, 2, v0
	v_addc_co_u32_e32 v16, vcc, 0, v13, vcc
	ds_read_b32 v17, v17 offset:8192
	v_lshlrev_b64 v[15:16], 2, v[15:16]
	v_mov_b32_e32 v18, s31
	v_sub_co_u32_e32 v15, vcc, s30, v15
	v_subb_co_u32_e32 v16, vcc, v18, v16, vcc
	s_waitcnt lgkmcnt(0)
	global_store_dword v[15:16], v17, off offset:-4
                                        ; implicit-def: $vgpr15
.LBB1082_222:
	s_andn2_saveexec_b64 s[4:5], s[4:5]
	s_cbranch_execz .LBB1082_224
; %bb.223:
	v_lshlrev_b32_e32 v16, 2, v0
	ds_read_b32 v16, v16 offset:8192
	v_lshlrev_b32_e32 v15, 2, v15
	v_readfirstlane_b32 s6, v9
	v_readfirstlane_b32 s7, v10
	s_waitcnt lgkmcnt(0)
	s_nop 3
	global_store_dword v15, v16, s[6:7]
.LBB1082_224:
	s_or_b64 exec, exec, s[4:5]
                                        ; implicit-def: $vgpr15
.LBB1082_225:
	s_andn2_saveexec_b64 s[2:3], s[2:3]
	s_cbranch_execz .LBB1082_227
; %bb.226:
	v_lshlrev_b32_e32 v16, 2, v0
	ds_read_b32 v16, v16 offset:8192
	v_lshlrev_b32_e32 v15, 2, v15
	v_readfirstlane_b32 s4, v11
	v_readfirstlane_b32 s5, v12
	s_waitcnt lgkmcnt(0)
	s_nop 3
	global_store_dword v15, v16, s[4:5]
.LBB1082_227:
	s_or_b64 exec, exec, s[2:3]
	v_or_b32_e32 v15, 0x900, v0
	v_cmp_ge_u32_e32 vcc, v15, v5
	s_and_saveexec_b64 s[2:3], vcc
	s_xor_b64 s[2:3], exec, s[2:3]
	s_cbranch_execz .LBB1082_233
; %bb.228:
	v_cmp_ge_u32_e32 vcc, v15, v14
	s_and_saveexec_b64 s[4:5], vcc
	s_xor_b64 s[4:5], exec, s[4:5]
	s_cbranch_execz .LBB1082_230
; %bb.229:
	v_add_co_u32_e32 v15, vcc, v7, v15
	v_lshlrev_b32_e32 v17, 2, v0
	v_addc_co_u32_e32 v16, vcc, 0, v13, vcc
	ds_read_b32 v17, v17 offset:9216
	v_lshlrev_b64 v[15:16], 2, v[15:16]
	v_mov_b32_e32 v18, s31
	v_sub_co_u32_e32 v15, vcc, s30, v15
	v_subb_co_u32_e32 v16, vcc, v18, v16, vcc
	s_waitcnt lgkmcnt(0)
	global_store_dword v[15:16], v17, off offset:-4
                                        ; implicit-def: $vgpr15
.LBB1082_230:
	s_andn2_saveexec_b64 s[4:5], s[4:5]
	s_cbranch_execz .LBB1082_232
; %bb.231:
	v_lshlrev_b32_e32 v16, 2, v0
	ds_read_b32 v16, v16 offset:9216
	v_lshlrev_b32_e32 v15, 2, v15
	v_readfirstlane_b32 s6, v9
	v_readfirstlane_b32 s7, v10
	s_waitcnt lgkmcnt(0)
	s_nop 3
	global_store_dword v15, v16, s[6:7]
.LBB1082_232:
	s_or_b64 exec, exec, s[4:5]
                                        ; implicit-def: $vgpr15
.LBB1082_233:
	s_andn2_saveexec_b64 s[2:3], s[2:3]
	s_cbranch_execz .LBB1082_235
; %bb.234:
	v_lshlrev_b32_e32 v16, 2, v0
	ds_read_b32 v16, v16 offset:9216
	v_lshlrev_b32_e32 v15, 2, v15
	v_readfirstlane_b32 s4, v11
	v_readfirstlane_b32 s5, v12
	s_waitcnt lgkmcnt(0)
	s_nop 3
	global_store_dword v15, v16, s[4:5]
.LBB1082_235:
	s_or_b64 exec, exec, s[2:3]
	v_or_b32_e32 v15, 0xa00, v0
	v_cmp_ge_u32_e32 vcc, v15, v5
	s_and_saveexec_b64 s[2:3], vcc
	s_xor_b64 s[2:3], exec, s[2:3]
	s_cbranch_execz .LBB1082_241
; %bb.236:
	v_cmp_ge_u32_e32 vcc, v15, v14
	s_and_saveexec_b64 s[4:5], vcc
	s_xor_b64 s[4:5], exec, s[4:5]
	s_cbranch_execz .LBB1082_238
; %bb.237:
	v_add_co_u32_e32 v15, vcc, v7, v15
	v_lshlrev_b32_e32 v17, 2, v0
	v_addc_co_u32_e32 v16, vcc, 0, v13, vcc
	ds_read_b32 v17, v17 offset:10240
	v_lshlrev_b64 v[15:16], 2, v[15:16]
	v_mov_b32_e32 v18, s31
	v_sub_co_u32_e32 v15, vcc, s30, v15
	v_subb_co_u32_e32 v16, vcc, v18, v16, vcc
	s_waitcnt lgkmcnt(0)
	global_store_dword v[15:16], v17, off offset:-4
                                        ; implicit-def: $vgpr15
.LBB1082_238:
	s_andn2_saveexec_b64 s[4:5], s[4:5]
	s_cbranch_execz .LBB1082_240
; %bb.239:
	v_lshlrev_b32_e32 v16, 2, v0
	ds_read_b32 v16, v16 offset:10240
	v_lshlrev_b32_e32 v15, 2, v15
	v_readfirstlane_b32 s6, v9
	v_readfirstlane_b32 s7, v10
	s_waitcnt lgkmcnt(0)
	s_nop 3
	global_store_dword v15, v16, s[6:7]
.LBB1082_240:
	s_or_b64 exec, exec, s[4:5]
                                        ; implicit-def: $vgpr15
.LBB1082_241:
	s_andn2_saveexec_b64 s[2:3], s[2:3]
	s_cbranch_execz .LBB1082_243
; %bb.242:
	v_lshlrev_b32_e32 v16, 2, v0
	ds_read_b32 v16, v16 offset:10240
	v_lshlrev_b32_e32 v15, 2, v15
	v_readfirstlane_b32 s4, v11
	v_readfirstlane_b32 s5, v12
	s_waitcnt lgkmcnt(0)
	s_nop 3
	global_store_dword v15, v16, s[4:5]
.LBB1082_243:
	s_or_b64 exec, exec, s[2:3]
	v_or_b32_e32 v15, 0xb00, v0
	v_cmp_ge_u32_e32 vcc, v15, v5
	s_and_saveexec_b64 s[2:3], vcc
	s_xor_b64 s[2:3], exec, s[2:3]
	s_cbranch_execz .LBB1082_249
; %bb.244:
	v_cmp_ge_u32_e32 vcc, v15, v14
	s_and_saveexec_b64 s[4:5], vcc
	s_xor_b64 s[4:5], exec, s[4:5]
	s_cbranch_execz .LBB1082_246
; %bb.245:
	v_add_co_u32_e32 v15, vcc, v7, v15
	v_lshlrev_b32_e32 v17, 2, v0
	v_addc_co_u32_e32 v16, vcc, 0, v13, vcc
	ds_read_b32 v17, v17 offset:11264
	v_lshlrev_b64 v[15:16], 2, v[15:16]
	v_mov_b32_e32 v18, s31
	v_sub_co_u32_e32 v15, vcc, s30, v15
	v_subb_co_u32_e32 v16, vcc, v18, v16, vcc
	s_waitcnt lgkmcnt(0)
	global_store_dword v[15:16], v17, off offset:-4
                                        ; implicit-def: $vgpr15
.LBB1082_246:
	s_andn2_saveexec_b64 s[4:5], s[4:5]
	s_cbranch_execz .LBB1082_248
; %bb.247:
	v_lshlrev_b32_e32 v16, 2, v0
	ds_read_b32 v16, v16 offset:11264
	v_lshlrev_b32_e32 v15, 2, v15
	v_readfirstlane_b32 s6, v9
	v_readfirstlane_b32 s7, v10
	s_waitcnt lgkmcnt(0)
	s_nop 3
	global_store_dword v15, v16, s[6:7]
.LBB1082_248:
	s_or_b64 exec, exec, s[4:5]
                                        ; implicit-def: $vgpr15
.LBB1082_249:
	s_andn2_saveexec_b64 s[2:3], s[2:3]
	s_cbranch_execz .LBB1082_251
; %bb.250:
	v_lshlrev_b32_e32 v16, 2, v0
	ds_read_b32 v16, v16 offset:11264
	v_lshlrev_b32_e32 v15, 2, v15
	v_readfirstlane_b32 s4, v11
	v_readfirstlane_b32 s5, v12
	s_waitcnt lgkmcnt(0)
	s_nop 3
	global_store_dword v15, v16, s[4:5]
.LBB1082_251:
	s_or_b64 exec, exec, s[2:3]
	v_or_b32_e32 v15, 0xc00, v0
	v_cmp_ge_u32_e32 vcc, v15, v5
	s_and_saveexec_b64 s[2:3], vcc
	s_xor_b64 s[2:3], exec, s[2:3]
	s_cbranch_execz .LBB1082_257
; %bb.252:
	v_cmp_ge_u32_e32 vcc, v15, v14
	s_and_saveexec_b64 s[4:5], vcc
	s_xor_b64 s[4:5], exec, s[4:5]
	s_cbranch_execz .LBB1082_254
; %bb.253:
	v_add_co_u32_e32 v15, vcc, v7, v15
	v_lshlrev_b32_e32 v17, 2, v0
	v_addc_co_u32_e32 v16, vcc, 0, v13, vcc
	ds_read_b32 v17, v17 offset:12288
	v_lshlrev_b64 v[15:16], 2, v[15:16]
	v_mov_b32_e32 v18, s31
	v_sub_co_u32_e32 v15, vcc, s30, v15
	v_subb_co_u32_e32 v16, vcc, v18, v16, vcc
	s_waitcnt lgkmcnt(0)
	global_store_dword v[15:16], v17, off offset:-4
                                        ; implicit-def: $vgpr15
.LBB1082_254:
	s_andn2_saveexec_b64 s[4:5], s[4:5]
	s_cbranch_execz .LBB1082_256
; %bb.255:
	v_lshlrev_b32_e32 v16, 2, v0
	ds_read_b32 v16, v16 offset:12288
	v_lshlrev_b32_e32 v15, 2, v15
	v_readfirstlane_b32 s6, v9
	v_readfirstlane_b32 s7, v10
	s_waitcnt lgkmcnt(0)
	s_nop 3
	global_store_dword v15, v16, s[6:7]
.LBB1082_256:
	s_or_b64 exec, exec, s[4:5]
                                        ; implicit-def: $vgpr15
.LBB1082_257:
	s_andn2_saveexec_b64 s[2:3], s[2:3]
	s_cbranch_execz .LBB1082_259
; %bb.258:
	v_lshlrev_b32_e32 v16, 2, v0
	ds_read_b32 v16, v16 offset:12288
	v_lshlrev_b32_e32 v15, 2, v15
	v_readfirstlane_b32 s4, v11
	v_readfirstlane_b32 s5, v12
	s_waitcnt lgkmcnt(0)
	s_nop 3
	global_store_dword v15, v16, s[4:5]
.LBB1082_259:
	s_or_b64 exec, exec, s[2:3]
	s_branch .LBB1082_153
.LBB1082_260:
	v_cmp_gt_u32_e32 vcc, s16, v0
	s_and_saveexec_b64 s[2:3], vcc
	s_cbranch_execz .LBB1082_269
; %bb.261:
	v_cmp_ge_u32_e32 vcc, v0, v5
	s_and_saveexec_b64 s[4:5], vcc
	s_xor_b64 s[4:5], exec, s[4:5]
	s_cbranch_execz .LBB1082_267
; %bb.262:
	v_cmp_ge_u32_e32 vcc, v0, v14
	s_and_saveexec_b64 s[6:7], vcc
	s_xor_b64 s[6:7], exec, s[6:7]
	s_cbranch_execz .LBB1082_264
; %bb.263:
	v_add_co_u32_e32 v15, vcc, v7, v0
	v_lshlrev_b32_e32 v17, 2, v0
	v_addc_co_u32_e32 v16, vcc, 0, v13, vcc
	ds_read_b32 v17, v17
	v_lshlrev_b64 v[15:16], 2, v[15:16]
	v_mov_b32_e32 v18, s31
	v_sub_co_u32_e32 v15, vcc, s30, v15
	v_subb_co_u32_e32 v16, vcc, v18, v16, vcc
	s_waitcnt lgkmcnt(0)
	global_store_dword v[15:16], v17, off offset:-4
.LBB1082_264:
	s_andn2_saveexec_b64 s[6:7], s[6:7]
	s_cbranch_execz .LBB1082_266
; %bb.265:
	v_lshlrev_b32_e32 v15, 2, v0
	ds_read_b32 v16, v15
	v_readfirstlane_b32 s8, v9
	v_readfirstlane_b32 s9, v10
	s_waitcnt lgkmcnt(0)
	s_nop 3
	global_store_dword v15, v16, s[8:9]
.LBB1082_266:
	s_or_b64 exec, exec, s[6:7]
.LBB1082_267:
	s_andn2_saveexec_b64 s[4:5], s[4:5]
	s_cbranch_execz .LBB1082_269
; %bb.268:
	v_lshlrev_b32_e32 v15, 2, v0
	ds_read_b32 v16, v15
	v_readfirstlane_b32 s4, v11
	v_readfirstlane_b32 s5, v12
	s_waitcnt lgkmcnt(0)
	s_nop 3
	global_store_dword v15, v16, s[4:5]
.LBB1082_269:
	s_or_b64 exec, exec, s[2:3]
	v_or_b32_e32 v15, 0x100, v0
	v_cmp_gt_u32_e32 vcc, s16, v15
	s_and_saveexec_b64 s[2:3], vcc
	s_cbranch_execz .LBB1082_278
; %bb.270:
	v_cmp_ge_u32_e32 vcc, v15, v5
	s_and_saveexec_b64 s[4:5], vcc
	s_xor_b64 s[4:5], exec, s[4:5]
	s_cbranch_execz .LBB1082_276
; %bb.271:
	v_cmp_ge_u32_e32 vcc, v15, v14
	s_and_saveexec_b64 s[6:7], vcc
	s_xor_b64 s[6:7], exec, s[6:7]
	s_cbranch_execz .LBB1082_273
; %bb.272:
	v_lshlrev_b32_e32 v15, 2, v0
	ds_read_b32 v17, v15 offset:1024
	v_add_co_u32_e32 v15, vcc, v7, v0
	v_addc_co_u32_e32 v16, vcc, 0, v13, vcc
	v_lshlrev_b64 v[15:16], 2, v[15:16]
	v_mov_b32_e32 v18, s31
	v_sub_co_u32_e32 v15, vcc, s30, v15
	v_subb_co_u32_e32 v16, vcc, v18, v16, vcc
	s_waitcnt lgkmcnt(0)
	global_store_dword v[15:16], v17, off offset:-1028
.LBB1082_273:
	s_andn2_saveexec_b64 s[6:7], s[6:7]
	s_cbranch_execz .LBB1082_275
; %bb.274:
	v_lshlrev_b32_e32 v15, 2, v0
	ds_read_b32 v16, v15 offset:1024
	v_readfirstlane_b32 s8, v9
	v_readfirstlane_b32 s9, v10
	s_waitcnt lgkmcnt(0)
	s_nop 3
	global_store_dword v15, v16, s[8:9] offset:1024
.LBB1082_275:
	s_or_b64 exec, exec, s[6:7]
.LBB1082_276:
	s_andn2_saveexec_b64 s[4:5], s[4:5]
	s_cbranch_execz .LBB1082_278
; %bb.277:
	v_lshlrev_b32_e32 v15, 2, v0
	ds_read_b32 v16, v15 offset:1024
	v_readfirstlane_b32 s4, v11
	v_readfirstlane_b32 s5, v12
	s_waitcnt lgkmcnt(0)
	s_nop 3
	global_store_dword v15, v16, s[4:5] offset:1024
.LBB1082_278:
	s_or_b64 exec, exec, s[2:3]
	v_or_b32_e32 v15, 0x200, v0
	v_cmp_gt_u32_e32 vcc, s16, v15
	s_and_saveexec_b64 s[2:3], vcc
	s_cbranch_execz .LBB1082_287
; %bb.279:
	v_cmp_ge_u32_e32 vcc, v15, v5
	s_and_saveexec_b64 s[4:5], vcc
	s_xor_b64 s[4:5], exec, s[4:5]
	s_cbranch_execz .LBB1082_285
; %bb.280:
	v_cmp_ge_u32_e32 vcc, v15, v14
	s_and_saveexec_b64 s[6:7], vcc
	s_xor_b64 s[6:7], exec, s[6:7]
	s_cbranch_execz .LBB1082_282
; %bb.281:
	v_lshlrev_b32_e32 v15, 2, v0
	ds_read_b32 v17, v15 offset:2048
	v_add_co_u32_e32 v15, vcc, v7, v0
	v_addc_co_u32_e32 v16, vcc, 0, v13, vcc
	v_lshlrev_b64 v[15:16], 2, v[15:16]
	v_mov_b32_e32 v18, s31
	v_sub_co_u32_e32 v15, vcc, s30, v15
	v_subb_co_u32_e32 v16, vcc, v18, v16, vcc
	s_waitcnt lgkmcnt(0)
	global_store_dword v[15:16], v17, off offset:-2052
.LBB1082_282:
	s_andn2_saveexec_b64 s[6:7], s[6:7]
	s_cbranch_execz .LBB1082_284
; %bb.283:
	v_lshlrev_b32_e32 v15, 2, v0
	ds_read_b32 v16, v15 offset:2048
	v_readfirstlane_b32 s8, v9
	v_readfirstlane_b32 s9, v10
	s_waitcnt lgkmcnt(0)
	s_nop 3
	global_store_dword v15, v16, s[8:9] offset:2048
.LBB1082_284:
	s_or_b64 exec, exec, s[6:7]
.LBB1082_285:
	s_andn2_saveexec_b64 s[4:5], s[4:5]
	s_cbranch_execz .LBB1082_287
; %bb.286:
	v_lshlrev_b32_e32 v15, 2, v0
	ds_read_b32 v16, v15 offset:2048
	v_readfirstlane_b32 s4, v11
	v_readfirstlane_b32 s5, v12
	s_waitcnt lgkmcnt(0)
	s_nop 3
	global_store_dword v15, v16, s[4:5] offset:2048
.LBB1082_287:
	s_or_b64 exec, exec, s[2:3]
	v_or_b32_e32 v15, 0x300, v0
	v_cmp_gt_u32_e32 vcc, s16, v15
	s_and_saveexec_b64 s[2:3], vcc
	s_cbranch_execz .LBB1082_296
; %bb.288:
	v_cmp_ge_u32_e32 vcc, v15, v5
	s_and_saveexec_b64 s[4:5], vcc
	s_xor_b64 s[4:5], exec, s[4:5]
	s_cbranch_execz .LBB1082_294
; %bb.289:
	v_cmp_ge_u32_e32 vcc, v15, v14
	s_and_saveexec_b64 s[6:7], vcc
	s_xor_b64 s[6:7], exec, s[6:7]
	s_cbranch_execz .LBB1082_291
; %bb.290:
	v_lshlrev_b32_e32 v15, 2, v0
	ds_read_b32 v17, v15 offset:3072
	v_add_co_u32_e32 v15, vcc, v7, v0
	v_addc_co_u32_e32 v16, vcc, 0, v13, vcc
	v_lshlrev_b64 v[15:16], 2, v[15:16]
	v_mov_b32_e32 v18, s31
	v_sub_co_u32_e32 v15, vcc, s30, v15
	v_subb_co_u32_e32 v16, vcc, v18, v16, vcc
	s_waitcnt lgkmcnt(0)
	global_store_dword v[15:16], v17, off offset:-3076
.LBB1082_291:
	s_andn2_saveexec_b64 s[6:7], s[6:7]
	s_cbranch_execz .LBB1082_293
; %bb.292:
	v_lshlrev_b32_e32 v15, 2, v0
	ds_read_b32 v16, v15 offset:3072
	v_readfirstlane_b32 s8, v9
	v_readfirstlane_b32 s9, v10
	s_waitcnt lgkmcnt(0)
	s_nop 3
	global_store_dword v15, v16, s[8:9] offset:3072
.LBB1082_293:
	s_or_b64 exec, exec, s[6:7]
.LBB1082_294:
	s_andn2_saveexec_b64 s[4:5], s[4:5]
	s_cbranch_execz .LBB1082_296
; %bb.295:
	v_lshlrev_b32_e32 v15, 2, v0
	ds_read_b32 v16, v15 offset:3072
	v_readfirstlane_b32 s4, v11
	v_readfirstlane_b32 s5, v12
	s_waitcnt lgkmcnt(0)
	s_nop 3
	global_store_dword v15, v16, s[4:5] offset:3072
.LBB1082_296:
	s_or_b64 exec, exec, s[2:3]
	v_or_b32_e32 v15, 0x400, v0
	v_cmp_gt_u32_e32 vcc, s16, v15
	s_and_saveexec_b64 s[2:3], vcc
	s_cbranch_execz .LBB1082_305
; %bb.297:
	v_cmp_ge_u32_e32 vcc, v15, v5
	s_and_saveexec_b64 s[4:5], vcc
	s_xor_b64 s[4:5], exec, s[4:5]
	s_cbranch_execz .LBB1082_303
; %bb.298:
	v_cmp_ge_u32_e32 vcc, v15, v14
	s_and_saveexec_b64 s[6:7], vcc
	s_xor_b64 s[6:7], exec, s[6:7]
	s_cbranch_execz .LBB1082_300
; %bb.299:
	v_lshlrev_b32_e32 v15, 2, v0
	ds_read_b32 v17, v15 offset:4096
	v_add_co_u32_e32 v15, vcc, v7, v0
	v_addc_co_u32_e32 v16, vcc, 0, v13, vcc
	v_lshlrev_b64 v[15:16], 2, v[15:16]
	v_mov_b32_e32 v18, s31
	v_sub_co_u32_e32 v15, vcc, s30, v15
	v_subb_co_u32_e32 v16, vcc, v18, v16, vcc
	v_add_co_u32_e32 v15, vcc, 0xfffff000, v15
	v_addc_co_u32_e32 v16, vcc, -1, v16, vcc
	s_waitcnt lgkmcnt(0)
	global_store_dword v[15:16], v17, off offset:-4
                                        ; implicit-def: $vgpr15
.LBB1082_300:
	s_andn2_saveexec_b64 s[6:7], s[6:7]
	s_cbranch_execz .LBB1082_302
; %bb.301:
	v_lshlrev_b32_e32 v16, 2, v0
	ds_read_b32 v16, v16 offset:4096
	v_lshlrev_b32_e32 v15, 2, v15
	v_readfirstlane_b32 s8, v9
	v_readfirstlane_b32 s9, v10
	s_waitcnt lgkmcnt(0)
	s_nop 3
	global_store_dword v15, v16, s[8:9]
.LBB1082_302:
	s_or_b64 exec, exec, s[6:7]
                                        ; implicit-def: $vgpr15
.LBB1082_303:
	s_andn2_saveexec_b64 s[4:5], s[4:5]
	s_cbranch_execz .LBB1082_305
; %bb.304:
	v_lshlrev_b32_e32 v16, 2, v0
	ds_read_b32 v16, v16 offset:4096
	v_lshlrev_b32_e32 v15, 2, v15
	v_readfirstlane_b32 s4, v11
	v_readfirstlane_b32 s5, v12
	s_waitcnt lgkmcnt(0)
	s_nop 3
	global_store_dword v15, v16, s[4:5]
.LBB1082_305:
	s_or_b64 exec, exec, s[2:3]
	v_or_b32_e32 v15, 0x500, v0
	v_cmp_gt_u32_e32 vcc, s16, v15
	s_and_saveexec_b64 s[2:3], vcc
	s_cbranch_execz .LBB1082_314
; %bb.306:
	v_cmp_ge_u32_e32 vcc, v15, v5
	s_and_saveexec_b64 s[4:5], vcc
	s_xor_b64 s[4:5], exec, s[4:5]
	s_cbranch_execz .LBB1082_312
; %bb.307:
	v_cmp_ge_u32_e32 vcc, v15, v14
	s_and_saveexec_b64 s[6:7], vcc
	s_xor_b64 s[6:7], exec, s[6:7]
	s_cbranch_execz .LBB1082_309
; %bb.308:
	v_add_co_u32_e32 v15, vcc, v7, v15
	v_lshlrev_b32_e32 v17, 2, v0
	v_addc_co_u32_e32 v16, vcc, 0, v13, vcc
	ds_read_b32 v17, v17 offset:5120
	v_lshlrev_b64 v[15:16], 2, v[15:16]
	v_mov_b32_e32 v18, s31
	v_sub_co_u32_e32 v15, vcc, s30, v15
	v_subb_co_u32_e32 v16, vcc, v18, v16, vcc
	s_waitcnt lgkmcnt(0)
	global_store_dword v[15:16], v17, off offset:-4
                                        ; implicit-def: $vgpr15
.LBB1082_309:
	s_andn2_saveexec_b64 s[6:7], s[6:7]
	s_cbranch_execz .LBB1082_311
; %bb.310:
	v_lshlrev_b32_e32 v16, 2, v0
	ds_read_b32 v16, v16 offset:5120
	v_lshlrev_b32_e32 v15, 2, v15
	v_readfirstlane_b32 s8, v9
	v_readfirstlane_b32 s9, v10
	s_waitcnt lgkmcnt(0)
	s_nop 3
	global_store_dword v15, v16, s[8:9]
.LBB1082_311:
	s_or_b64 exec, exec, s[6:7]
                                        ; implicit-def: $vgpr15
.LBB1082_312:
	s_andn2_saveexec_b64 s[4:5], s[4:5]
	s_cbranch_execz .LBB1082_314
; %bb.313:
	v_lshlrev_b32_e32 v16, 2, v0
	ds_read_b32 v16, v16 offset:5120
	v_lshlrev_b32_e32 v15, 2, v15
	v_readfirstlane_b32 s4, v11
	v_readfirstlane_b32 s5, v12
	s_waitcnt lgkmcnt(0)
	s_nop 3
	global_store_dword v15, v16, s[4:5]
.LBB1082_314:
	s_or_b64 exec, exec, s[2:3]
	v_or_b32_e32 v15, 0x600, v0
	v_cmp_gt_u32_e32 vcc, s16, v15
	s_and_saveexec_b64 s[2:3], vcc
	s_cbranch_execz .LBB1082_323
; %bb.315:
	v_cmp_ge_u32_e32 vcc, v15, v5
	s_and_saveexec_b64 s[4:5], vcc
	s_xor_b64 s[4:5], exec, s[4:5]
	s_cbranch_execz .LBB1082_321
; %bb.316:
	v_cmp_ge_u32_e32 vcc, v15, v14
	s_and_saveexec_b64 s[6:7], vcc
	s_xor_b64 s[6:7], exec, s[6:7]
	s_cbranch_execz .LBB1082_318
; %bb.317:
	v_add_co_u32_e32 v15, vcc, v7, v15
	v_lshlrev_b32_e32 v17, 2, v0
	v_addc_co_u32_e32 v16, vcc, 0, v13, vcc
	ds_read_b32 v17, v17 offset:6144
	v_lshlrev_b64 v[15:16], 2, v[15:16]
	v_mov_b32_e32 v18, s31
	v_sub_co_u32_e32 v15, vcc, s30, v15
	v_subb_co_u32_e32 v16, vcc, v18, v16, vcc
	s_waitcnt lgkmcnt(0)
	global_store_dword v[15:16], v17, off offset:-4
                                        ; implicit-def: $vgpr15
.LBB1082_318:
	s_andn2_saveexec_b64 s[6:7], s[6:7]
	s_cbranch_execz .LBB1082_320
; %bb.319:
	v_lshlrev_b32_e32 v16, 2, v0
	ds_read_b32 v16, v16 offset:6144
	v_lshlrev_b32_e32 v15, 2, v15
	v_readfirstlane_b32 s8, v9
	v_readfirstlane_b32 s9, v10
	s_waitcnt lgkmcnt(0)
	s_nop 3
	global_store_dword v15, v16, s[8:9]
.LBB1082_320:
	s_or_b64 exec, exec, s[6:7]
                                        ; implicit-def: $vgpr15
.LBB1082_321:
	s_andn2_saveexec_b64 s[4:5], s[4:5]
	s_cbranch_execz .LBB1082_323
; %bb.322:
	v_lshlrev_b32_e32 v16, 2, v0
	ds_read_b32 v16, v16 offset:6144
	v_lshlrev_b32_e32 v15, 2, v15
	v_readfirstlane_b32 s4, v11
	v_readfirstlane_b32 s5, v12
	s_waitcnt lgkmcnt(0)
	s_nop 3
	global_store_dword v15, v16, s[4:5]
.LBB1082_323:
	;; [unrolled: 55-line block ×7, first 2 shown]
	s_or_b64 exec, exec, s[2:3]
	v_or_b32_e32 v15, 0xc00, v0
	v_cmp_gt_u32_e32 vcc, s16, v15
	s_and_saveexec_b64 s[2:3], vcc
	s_cbranch_execz .LBB1082_377
; %bb.369:
	v_cmp_ge_u32_e32 vcc, v15, v5
	s_and_saveexec_b64 s[4:5], vcc
	s_xor_b64 s[4:5], exec, s[4:5]
	s_cbranch_execz .LBB1082_375
; %bb.370:
	v_cmp_ge_u32_e32 vcc, v15, v14
	s_and_saveexec_b64 s[6:7], vcc
	s_xor_b64 s[6:7], exec, s[6:7]
	s_cbranch_execz .LBB1082_372
; %bb.371:
	v_add_co_u32_e32 v9, vcc, v7, v15
	v_lshlrev_b32_e32 v0, 2, v0
	v_addc_co_u32_e32 v10, vcc, 0, v13, vcc
	ds_read_b32 v0, v0 offset:12288
	v_lshlrev_b64 v[9:10], 2, v[9:10]
	v_mov_b32_e32 v7, s31
	v_sub_co_u32_e32 v9, vcc, s30, v9
	v_subb_co_u32_e32 v10, vcc, v7, v10, vcc
	s_waitcnt lgkmcnt(0)
	global_store_dword v[9:10], v0, off offset:-4
                                        ; implicit-def: $vgpr0
                                        ; implicit-def: $vgpr15
                                        ; implicit-def: $vgpr9_vgpr10
.LBB1082_372:
	s_andn2_saveexec_b64 s[6:7], s[6:7]
	s_cbranch_execz .LBB1082_374
; %bb.373:
	v_lshlrev_b32_e32 v0, 2, v0
	ds_read_b32 v0, v0 offset:12288
	v_lshlrev_b32_e32 v7, 2, v15
	v_readfirstlane_b32 s8, v9
	v_readfirstlane_b32 s9, v10
	s_waitcnt lgkmcnt(0)
	s_nop 3
	global_store_dword v7, v0, s[8:9]
.LBB1082_374:
	s_or_b64 exec, exec, s[6:7]
                                        ; implicit-def: $vgpr0
                                        ; implicit-def: $vgpr15
                                        ; implicit-def: $vgpr11_vgpr12
.LBB1082_375:
	s_andn2_saveexec_b64 s[4:5], s[4:5]
	s_cbranch_execz .LBB1082_377
; %bb.376:
	v_lshlrev_b32_e32 v0, 2, v0
	ds_read_b32 v0, v0 offset:12288
	v_lshlrev_b32_e32 v7, 2, v15
	v_readfirstlane_b32 s4, v11
	v_readfirstlane_b32 s5, v12
	s_waitcnt lgkmcnt(0)
	s_nop 3
	global_store_dword v7, v0, s[4:5]
.LBB1082_377:
	s_or_b64 exec, exec, s[2:3]
	s_and_b64 s[0:1], s[0:1], s[34:35]
	s_and_saveexec_b64 s[2:3], s[0:1]
	s_cbranch_execz .LBB1082_154
.LBB1082_378:
	v_add_co_u32_e32 v3, vcc, v3, v6
	v_addc_co_u32_e32 v4, vcc, 0, v4, vcc
	v_add_co_u32_e32 v3, vcc, v3, v8
	v_addc_co_u32_e32 v4, vcc, 0, v4, vcc
	v_add_co_u32_e32 v1, vcc, v1, v5
	v_mov_b32_e32 v0, 0
	v_addc_co_u32_e32 v2, vcc, 0, v2, vcc
	global_store_dwordx4 v0, v[1:4], s[44:45]
	s_endpgm
.LBB1082_379:
	s_add_i32 s14, s33, 64
	s_mov_b32 s15, 0
	s_lshl_b64 s[14:15], s[14:15], 4
	s_add_u32 s14, s54, s14
	s_addc_u32 s15, s55, s15
	v_mov_b32_e32 v28, s15
	v_add_u32_e32 v10, v8, v6
	v_add_u32_e32 v9, v7, v5
	v_mov_b32_e32 v11, 2
	v_mov_b32_e32 v12, 0
	v_mov_b32_e32 v27, s14
	;;#ASMSTART
	global_store_dwordx4 v[27:28], v[9:12] off	
s_waitcnt vmcnt(0)
	;;#ASMEND
	s_or_b64 exec, exec, s[12:13]
	s_and_saveexec_b64 s[12:13], s[8:9]
	s_cbranch_execz .LBB1082_139
.LBB1082_380:
	v_mov_b32_e32 v9, 0
	ds_write_b128 v9, v[5:8] offset:13312
	s_or_b64 exec, exec, s[12:13]
	s_and_b64 exec, exec, s[0:1]
	s_cbranch_execnz .LBB1082_140
	s_branch .LBB1082_141
	.section	.rodata,"a",@progbits
	.p2align	6, 0x0
	.amdhsa_kernel _ZN7rocprim17ROCPRIM_400000_NS6detail17trampoline_kernelINS0_13select_configILj256ELj13ELNS0_17block_load_methodE3ELS4_3ELS4_3ELNS0_20block_scan_algorithmE0ELj4294967295EEENS1_25partition_config_selectorILNS1_17partition_subalgoE4EjNS0_10empty_typeEbEEZZNS1_14partition_implILS8_4ELb0ES6_15HIP_vector_typeIjLj2EENS0_17counting_iteratorIjlEEPS9_SG_NS0_5tupleIJPjSI_NS0_16reverse_iteratorISI_EEEEENSH_IJSG_SG_SG_EEES9_SI_JZNS1_25segmented_radix_sort_implINS0_14default_configELb1EPKdPdPKlPlN2at6native12_GLOBAL__N_18offset_tEEE10hipError_tPvRmT1_PNSt15iterator_traitsIS12_E10value_typeET2_T3_PNS13_IS18_E10value_typeET4_jRbjT5_S1E_jjP12ihipStream_tbEUljE_ZNSN_ISO_Lb1ESQ_SR_ST_SU_SY_EESZ_S10_S11_S12_S16_S17_S18_S1B_S1C_jS1D_jS1E_S1E_jjS1G_bEUljE0_EEESZ_S10_S11_S18_S1C_S1E_T6_T7_T9_mT8_S1G_bDpT10_ENKUlT_T0_E_clISt17integral_constantIbLb0EES1T_IbLb1EEEEDaS1P_S1Q_EUlS1P_E_NS1_11comp_targetILNS1_3genE2ELNS1_11target_archE906ELNS1_3gpuE6ELNS1_3repE0EEENS1_30default_config_static_selectorELNS0_4arch9wavefront6targetE1EEEvS12_
		.amdhsa_group_segment_fixed_size 13328
		.amdhsa_private_segment_fixed_size 0
		.amdhsa_kernarg_size 184
		.amdhsa_user_sgpr_count 6
		.amdhsa_user_sgpr_private_segment_buffer 1
		.amdhsa_user_sgpr_dispatch_ptr 0
		.amdhsa_user_sgpr_queue_ptr 0
		.amdhsa_user_sgpr_kernarg_segment_ptr 1
		.amdhsa_user_sgpr_dispatch_id 0
		.amdhsa_user_sgpr_flat_scratch_init 0
		.amdhsa_user_sgpr_private_segment_size 0
		.amdhsa_uses_dynamic_stack 0
		.amdhsa_system_sgpr_private_segment_wavefront_offset 0
		.amdhsa_system_sgpr_workgroup_id_x 1
		.amdhsa_system_sgpr_workgroup_id_y 0
		.amdhsa_system_sgpr_workgroup_id_z 0
		.amdhsa_system_sgpr_workgroup_info 0
		.amdhsa_system_vgpr_workitem_id 0
		.amdhsa_next_free_vgpr 91
		.amdhsa_next_free_sgpr 98
		.amdhsa_reserve_vcc 1
		.amdhsa_reserve_flat_scratch 0
		.amdhsa_float_round_mode_32 0
		.amdhsa_float_round_mode_16_64 0
		.amdhsa_float_denorm_mode_32 3
		.amdhsa_float_denorm_mode_16_64 3
		.amdhsa_dx10_clamp 1
		.amdhsa_ieee_mode 1
		.amdhsa_fp16_overflow 0
		.amdhsa_exception_fp_ieee_invalid_op 0
		.amdhsa_exception_fp_denorm_src 0
		.amdhsa_exception_fp_ieee_div_zero 0
		.amdhsa_exception_fp_ieee_overflow 0
		.amdhsa_exception_fp_ieee_underflow 0
		.amdhsa_exception_fp_ieee_inexact 0
		.amdhsa_exception_int_div_zero 0
	.end_amdhsa_kernel
	.section	.text._ZN7rocprim17ROCPRIM_400000_NS6detail17trampoline_kernelINS0_13select_configILj256ELj13ELNS0_17block_load_methodE3ELS4_3ELS4_3ELNS0_20block_scan_algorithmE0ELj4294967295EEENS1_25partition_config_selectorILNS1_17partition_subalgoE4EjNS0_10empty_typeEbEEZZNS1_14partition_implILS8_4ELb0ES6_15HIP_vector_typeIjLj2EENS0_17counting_iteratorIjlEEPS9_SG_NS0_5tupleIJPjSI_NS0_16reverse_iteratorISI_EEEEENSH_IJSG_SG_SG_EEES9_SI_JZNS1_25segmented_radix_sort_implINS0_14default_configELb1EPKdPdPKlPlN2at6native12_GLOBAL__N_18offset_tEEE10hipError_tPvRmT1_PNSt15iterator_traitsIS12_E10value_typeET2_T3_PNS13_IS18_E10value_typeET4_jRbjT5_S1E_jjP12ihipStream_tbEUljE_ZNSN_ISO_Lb1ESQ_SR_ST_SU_SY_EESZ_S10_S11_S12_S16_S17_S18_S1B_S1C_jS1D_jS1E_S1E_jjS1G_bEUljE0_EEESZ_S10_S11_S18_S1C_S1E_T6_T7_T9_mT8_S1G_bDpT10_ENKUlT_T0_E_clISt17integral_constantIbLb0EES1T_IbLb1EEEEDaS1P_S1Q_EUlS1P_E_NS1_11comp_targetILNS1_3genE2ELNS1_11target_archE906ELNS1_3gpuE6ELNS1_3repE0EEENS1_30default_config_static_selectorELNS0_4arch9wavefront6targetE1EEEvS12_,"axG",@progbits,_ZN7rocprim17ROCPRIM_400000_NS6detail17trampoline_kernelINS0_13select_configILj256ELj13ELNS0_17block_load_methodE3ELS4_3ELS4_3ELNS0_20block_scan_algorithmE0ELj4294967295EEENS1_25partition_config_selectorILNS1_17partition_subalgoE4EjNS0_10empty_typeEbEEZZNS1_14partition_implILS8_4ELb0ES6_15HIP_vector_typeIjLj2EENS0_17counting_iteratorIjlEEPS9_SG_NS0_5tupleIJPjSI_NS0_16reverse_iteratorISI_EEEEENSH_IJSG_SG_SG_EEES9_SI_JZNS1_25segmented_radix_sort_implINS0_14default_configELb1EPKdPdPKlPlN2at6native12_GLOBAL__N_18offset_tEEE10hipError_tPvRmT1_PNSt15iterator_traitsIS12_E10value_typeET2_T3_PNS13_IS18_E10value_typeET4_jRbjT5_S1E_jjP12ihipStream_tbEUljE_ZNSN_ISO_Lb1ESQ_SR_ST_SU_SY_EESZ_S10_S11_S12_S16_S17_S18_S1B_S1C_jS1D_jS1E_S1E_jjS1G_bEUljE0_EEESZ_S10_S11_S18_S1C_S1E_T6_T7_T9_mT8_S1G_bDpT10_ENKUlT_T0_E_clISt17integral_constantIbLb0EES1T_IbLb1EEEEDaS1P_S1Q_EUlS1P_E_NS1_11comp_targetILNS1_3genE2ELNS1_11target_archE906ELNS1_3gpuE6ELNS1_3repE0EEENS1_30default_config_static_selectorELNS0_4arch9wavefront6targetE1EEEvS12_,comdat
.Lfunc_end1082:
	.size	_ZN7rocprim17ROCPRIM_400000_NS6detail17trampoline_kernelINS0_13select_configILj256ELj13ELNS0_17block_load_methodE3ELS4_3ELS4_3ELNS0_20block_scan_algorithmE0ELj4294967295EEENS1_25partition_config_selectorILNS1_17partition_subalgoE4EjNS0_10empty_typeEbEEZZNS1_14partition_implILS8_4ELb0ES6_15HIP_vector_typeIjLj2EENS0_17counting_iteratorIjlEEPS9_SG_NS0_5tupleIJPjSI_NS0_16reverse_iteratorISI_EEEEENSH_IJSG_SG_SG_EEES9_SI_JZNS1_25segmented_radix_sort_implINS0_14default_configELb1EPKdPdPKlPlN2at6native12_GLOBAL__N_18offset_tEEE10hipError_tPvRmT1_PNSt15iterator_traitsIS12_E10value_typeET2_T3_PNS13_IS18_E10value_typeET4_jRbjT5_S1E_jjP12ihipStream_tbEUljE_ZNSN_ISO_Lb1ESQ_SR_ST_SU_SY_EESZ_S10_S11_S12_S16_S17_S18_S1B_S1C_jS1D_jS1E_S1E_jjS1G_bEUljE0_EEESZ_S10_S11_S18_S1C_S1E_T6_T7_T9_mT8_S1G_bDpT10_ENKUlT_T0_E_clISt17integral_constantIbLb0EES1T_IbLb1EEEEDaS1P_S1Q_EUlS1P_E_NS1_11comp_targetILNS1_3genE2ELNS1_11target_archE906ELNS1_3gpuE6ELNS1_3repE0EEENS1_30default_config_static_selectorELNS0_4arch9wavefront6targetE1EEEvS12_, .Lfunc_end1082-_ZN7rocprim17ROCPRIM_400000_NS6detail17trampoline_kernelINS0_13select_configILj256ELj13ELNS0_17block_load_methodE3ELS4_3ELS4_3ELNS0_20block_scan_algorithmE0ELj4294967295EEENS1_25partition_config_selectorILNS1_17partition_subalgoE4EjNS0_10empty_typeEbEEZZNS1_14partition_implILS8_4ELb0ES6_15HIP_vector_typeIjLj2EENS0_17counting_iteratorIjlEEPS9_SG_NS0_5tupleIJPjSI_NS0_16reverse_iteratorISI_EEEEENSH_IJSG_SG_SG_EEES9_SI_JZNS1_25segmented_radix_sort_implINS0_14default_configELb1EPKdPdPKlPlN2at6native12_GLOBAL__N_18offset_tEEE10hipError_tPvRmT1_PNSt15iterator_traitsIS12_E10value_typeET2_T3_PNS13_IS18_E10value_typeET4_jRbjT5_S1E_jjP12ihipStream_tbEUljE_ZNSN_ISO_Lb1ESQ_SR_ST_SU_SY_EESZ_S10_S11_S12_S16_S17_S18_S1B_S1C_jS1D_jS1E_S1E_jjS1G_bEUljE0_EEESZ_S10_S11_S18_S1C_S1E_T6_T7_T9_mT8_S1G_bDpT10_ENKUlT_T0_E_clISt17integral_constantIbLb0EES1T_IbLb1EEEEDaS1P_S1Q_EUlS1P_E_NS1_11comp_targetILNS1_3genE2ELNS1_11target_archE906ELNS1_3gpuE6ELNS1_3repE0EEENS1_30default_config_static_selectorELNS0_4arch9wavefront6targetE1EEEvS12_
                                        ; -- End function
	.set _ZN7rocprim17ROCPRIM_400000_NS6detail17trampoline_kernelINS0_13select_configILj256ELj13ELNS0_17block_load_methodE3ELS4_3ELS4_3ELNS0_20block_scan_algorithmE0ELj4294967295EEENS1_25partition_config_selectorILNS1_17partition_subalgoE4EjNS0_10empty_typeEbEEZZNS1_14partition_implILS8_4ELb0ES6_15HIP_vector_typeIjLj2EENS0_17counting_iteratorIjlEEPS9_SG_NS0_5tupleIJPjSI_NS0_16reverse_iteratorISI_EEEEENSH_IJSG_SG_SG_EEES9_SI_JZNS1_25segmented_radix_sort_implINS0_14default_configELb1EPKdPdPKlPlN2at6native12_GLOBAL__N_18offset_tEEE10hipError_tPvRmT1_PNSt15iterator_traitsIS12_E10value_typeET2_T3_PNS13_IS18_E10value_typeET4_jRbjT5_S1E_jjP12ihipStream_tbEUljE_ZNSN_ISO_Lb1ESQ_SR_ST_SU_SY_EESZ_S10_S11_S12_S16_S17_S18_S1B_S1C_jS1D_jS1E_S1E_jjS1G_bEUljE0_EEESZ_S10_S11_S18_S1C_S1E_T6_T7_T9_mT8_S1G_bDpT10_ENKUlT_T0_E_clISt17integral_constantIbLb0EES1T_IbLb1EEEEDaS1P_S1Q_EUlS1P_E_NS1_11comp_targetILNS1_3genE2ELNS1_11target_archE906ELNS1_3gpuE6ELNS1_3repE0EEENS1_30default_config_static_selectorELNS0_4arch9wavefront6targetE1EEEvS12_.num_vgpr, 91
	.set _ZN7rocprim17ROCPRIM_400000_NS6detail17trampoline_kernelINS0_13select_configILj256ELj13ELNS0_17block_load_methodE3ELS4_3ELS4_3ELNS0_20block_scan_algorithmE0ELj4294967295EEENS1_25partition_config_selectorILNS1_17partition_subalgoE4EjNS0_10empty_typeEbEEZZNS1_14partition_implILS8_4ELb0ES6_15HIP_vector_typeIjLj2EENS0_17counting_iteratorIjlEEPS9_SG_NS0_5tupleIJPjSI_NS0_16reverse_iteratorISI_EEEEENSH_IJSG_SG_SG_EEES9_SI_JZNS1_25segmented_radix_sort_implINS0_14default_configELb1EPKdPdPKlPlN2at6native12_GLOBAL__N_18offset_tEEE10hipError_tPvRmT1_PNSt15iterator_traitsIS12_E10value_typeET2_T3_PNS13_IS18_E10value_typeET4_jRbjT5_S1E_jjP12ihipStream_tbEUljE_ZNSN_ISO_Lb1ESQ_SR_ST_SU_SY_EESZ_S10_S11_S12_S16_S17_S18_S1B_S1C_jS1D_jS1E_S1E_jjS1G_bEUljE0_EEESZ_S10_S11_S18_S1C_S1E_T6_T7_T9_mT8_S1G_bDpT10_ENKUlT_T0_E_clISt17integral_constantIbLb0EES1T_IbLb1EEEEDaS1P_S1Q_EUlS1P_E_NS1_11comp_targetILNS1_3genE2ELNS1_11target_archE906ELNS1_3gpuE6ELNS1_3repE0EEENS1_30default_config_static_selectorELNS0_4arch9wavefront6targetE1EEEvS12_.num_agpr, 0
	.set _ZN7rocprim17ROCPRIM_400000_NS6detail17trampoline_kernelINS0_13select_configILj256ELj13ELNS0_17block_load_methodE3ELS4_3ELS4_3ELNS0_20block_scan_algorithmE0ELj4294967295EEENS1_25partition_config_selectorILNS1_17partition_subalgoE4EjNS0_10empty_typeEbEEZZNS1_14partition_implILS8_4ELb0ES6_15HIP_vector_typeIjLj2EENS0_17counting_iteratorIjlEEPS9_SG_NS0_5tupleIJPjSI_NS0_16reverse_iteratorISI_EEEEENSH_IJSG_SG_SG_EEES9_SI_JZNS1_25segmented_radix_sort_implINS0_14default_configELb1EPKdPdPKlPlN2at6native12_GLOBAL__N_18offset_tEEE10hipError_tPvRmT1_PNSt15iterator_traitsIS12_E10value_typeET2_T3_PNS13_IS18_E10value_typeET4_jRbjT5_S1E_jjP12ihipStream_tbEUljE_ZNSN_ISO_Lb1ESQ_SR_ST_SU_SY_EESZ_S10_S11_S12_S16_S17_S18_S1B_S1C_jS1D_jS1E_S1E_jjS1G_bEUljE0_EEESZ_S10_S11_S18_S1C_S1E_T6_T7_T9_mT8_S1G_bDpT10_ENKUlT_T0_E_clISt17integral_constantIbLb0EES1T_IbLb1EEEEDaS1P_S1Q_EUlS1P_E_NS1_11comp_targetILNS1_3genE2ELNS1_11target_archE906ELNS1_3gpuE6ELNS1_3repE0EEENS1_30default_config_static_selectorELNS0_4arch9wavefront6targetE1EEEvS12_.numbered_sgpr, 87
	.set _ZN7rocprim17ROCPRIM_400000_NS6detail17trampoline_kernelINS0_13select_configILj256ELj13ELNS0_17block_load_methodE3ELS4_3ELS4_3ELNS0_20block_scan_algorithmE0ELj4294967295EEENS1_25partition_config_selectorILNS1_17partition_subalgoE4EjNS0_10empty_typeEbEEZZNS1_14partition_implILS8_4ELb0ES6_15HIP_vector_typeIjLj2EENS0_17counting_iteratorIjlEEPS9_SG_NS0_5tupleIJPjSI_NS0_16reverse_iteratorISI_EEEEENSH_IJSG_SG_SG_EEES9_SI_JZNS1_25segmented_radix_sort_implINS0_14default_configELb1EPKdPdPKlPlN2at6native12_GLOBAL__N_18offset_tEEE10hipError_tPvRmT1_PNSt15iterator_traitsIS12_E10value_typeET2_T3_PNS13_IS18_E10value_typeET4_jRbjT5_S1E_jjP12ihipStream_tbEUljE_ZNSN_ISO_Lb1ESQ_SR_ST_SU_SY_EESZ_S10_S11_S12_S16_S17_S18_S1B_S1C_jS1D_jS1E_S1E_jjS1G_bEUljE0_EEESZ_S10_S11_S18_S1C_S1E_T6_T7_T9_mT8_S1G_bDpT10_ENKUlT_T0_E_clISt17integral_constantIbLb0EES1T_IbLb1EEEEDaS1P_S1Q_EUlS1P_E_NS1_11comp_targetILNS1_3genE2ELNS1_11target_archE906ELNS1_3gpuE6ELNS1_3repE0EEENS1_30default_config_static_selectorELNS0_4arch9wavefront6targetE1EEEvS12_.num_named_barrier, 0
	.set _ZN7rocprim17ROCPRIM_400000_NS6detail17trampoline_kernelINS0_13select_configILj256ELj13ELNS0_17block_load_methodE3ELS4_3ELS4_3ELNS0_20block_scan_algorithmE0ELj4294967295EEENS1_25partition_config_selectorILNS1_17partition_subalgoE4EjNS0_10empty_typeEbEEZZNS1_14partition_implILS8_4ELb0ES6_15HIP_vector_typeIjLj2EENS0_17counting_iteratorIjlEEPS9_SG_NS0_5tupleIJPjSI_NS0_16reverse_iteratorISI_EEEEENSH_IJSG_SG_SG_EEES9_SI_JZNS1_25segmented_radix_sort_implINS0_14default_configELb1EPKdPdPKlPlN2at6native12_GLOBAL__N_18offset_tEEE10hipError_tPvRmT1_PNSt15iterator_traitsIS12_E10value_typeET2_T3_PNS13_IS18_E10value_typeET4_jRbjT5_S1E_jjP12ihipStream_tbEUljE_ZNSN_ISO_Lb1ESQ_SR_ST_SU_SY_EESZ_S10_S11_S12_S16_S17_S18_S1B_S1C_jS1D_jS1E_S1E_jjS1G_bEUljE0_EEESZ_S10_S11_S18_S1C_S1E_T6_T7_T9_mT8_S1G_bDpT10_ENKUlT_T0_E_clISt17integral_constantIbLb0EES1T_IbLb1EEEEDaS1P_S1Q_EUlS1P_E_NS1_11comp_targetILNS1_3genE2ELNS1_11target_archE906ELNS1_3gpuE6ELNS1_3repE0EEENS1_30default_config_static_selectorELNS0_4arch9wavefront6targetE1EEEvS12_.private_seg_size, 0
	.set _ZN7rocprim17ROCPRIM_400000_NS6detail17trampoline_kernelINS0_13select_configILj256ELj13ELNS0_17block_load_methodE3ELS4_3ELS4_3ELNS0_20block_scan_algorithmE0ELj4294967295EEENS1_25partition_config_selectorILNS1_17partition_subalgoE4EjNS0_10empty_typeEbEEZZNS1_14partition_implILS8_4ELb0ES6_15HIP_vector_typeIjLj2EENS0_17counting_iteratorIjlEEPS9_SG_NS0_5tupleIJPjSI_NS0_16reverse_iteratorISI_EEEEENSH_IJSG_SG_SG_EEES9_SI_JZNS1_25segmented_radix_sort_implINS0_14default_configELb1EPKdPdPKlPlN2at6native12_GLOBAL__N_18offset_tEEE10hipError_tPvRmT1_PNSt15iterator_traitsIS12_E10value_typeET2_T3_PNS13_IS18_E10value_typeET4_jRbjT5_S1E_jjP12ihipStream_tbEUljE_ZNSN_ISO_Lb1ESQ_SR_ST_SU_SY_EESZ_S10_S11_S12_S16_S17_S18_S1B_S1C_jS1D_jS1E_S1E_jjS1G_bEUljE0_EEESZ_S10_S11_S18_S1C_S1E_T6_T7_T9_mT8_S1G_bDpT10_ENKUlT_T0_E_clISt17integral_constantIbLb0EES1T_IbLb1EEEEDaS1P_S1Q_EUlS1P_E_NS1_11comp_targetILNS1_3genE2ELNS1_11target_archE906ELNS1_3gpuE6ELNS1_3repE0EEENS1_30default_config_static_selectorELNS0_4arch9wavefront6targetE1EEEvS12_.uses_vcc, 1
	.set _ZN7rocprim17ROCPRIM_400000_NS6detail17trampoline_kernelINS0_13select_configILj256ELj13ELNS0_17block_load_methodE3ELS4_3ELS4_3ELNS0_20block_scan_algorithmE0ELj4294967295EEENS1_25partition_config_selectorILNS1_17partition_subalgoE4EjNS0_10empty_typeEbEEZZNS1_14partition_implILS8_4ELb0ES6_15HIP_vector_typeIjLj2EENS0_17counting_iteratorIjlEEPS9_SG_NS0_5tupleIJPjSI_NS0_16reverse_iteratorISI_EEEEENSH_IJSG_SG_SG_EEES9_SI_JZNS1_25segmented_radix_sort_implINS0_14default_configELb1EPKdPdPKlPlN2at6native12_GLOBAL__N_18offset_tEEE10hipError_tPvRmT1_PNSt15iterator_traitsIS12_E10value_typeET2_T3_PNS13_IS18_E10value_typeET4_jRbjT5_S1E_jjP12ihipStream_tbEUljE_ZNSN_ISO_Lb1ESQ_SR_ST_SU_SY_EESZ_S10_S11_S12_S16_S17_S18_S1B_S1C_jS1D_jS1E_S1E_jjS1G_bEUljE0_EEESZ_S10_S11_S18_S1C_S1E_T6_T7_T9_mT8_S1G_bDpT10_ENKUlT_T0_E_clISt17integral_constantIbLb0EES1T_IbLb1EEEEDaS1P_S1Q_EUlS1P_E_NS1_11comp_targetILNS1_3genE2ELNS1_11target_archE906ELNS1_3gpuE6ELNS1_3repE0EEENS1_30default_config_static_selectorELNS0_4arch9wavefront6targetE1EEEvS12_.uses_flat_scratch, 0
	.set _ZN7rocprim17ROCPRIM_400000_NS6detail17trampoline_kernelINS0_13select_configILj256ELj13ELNS0_17block_load_methodE3ELS4_3ELS4_3ELNS0_20block_scan_algorithmE0ELj4294967295EEENS1_25partition_config_selectorILNS1_17partition_subalgoE4EjNS0_10empty_typeEbEEZZNS1_14partition_implILS8_4ELb0ES6_15HIP_vector_typeIjLj2EENS0_17counting_iteratorIjlEEPS9_SG_NS0_5tupleIJPjSI_NS0_16reverse_iteratorISI_EEEEENSH_IJSG_SG_SG_EEES9_SI_JZNS1_25segmented_radix_sort_implINS0_14default_configELb1EPKdPdPKlPlN2at6native12_GLOBAL__N_18offset_tEEE10hipError_tPvRmT1_PNSt15iterator_traitsIS12_E10value_typeET2_T3_PNS13_IS18_E10value_typeET4_jRbjT5_S1E_jjP12ihipStream_tbEUljE_ZNSN_ISO_Lb1ESQ_SR_ST_SU_SY_EESZ_S10_S11_S12_S16_S17_S18_S1B_S1C_jS1D_jS1E_S1E_jjS1G_bEUljE0_EEESZ_S10_S11_S18_S1C_S1E_T6_T7_T9_mT8_S1G_bDpT10_ENKUlT_T0_E_clISt17integral_constantIbLb0EES1T_IbLb1EEEEDaS1P_S1Q_EUlS1P_E_NS1_11comp_targetILNS1_3genE2ELNS1_11target_archE906ELNS1_3gpuE6ELNS1_3repE0EEENS1_30default_config_static_selectorELNS0_4arch9wavefront6targetE1EEEvS12_.has_dyn_sized_stack, 0
	.set _ZN7rocprim17ROCPRIM_400000_NS6detail17trampoline_kernelINS0_13select_configILj256ELj13ELNS0_17block_load_methodE3ELS4_3ELS4_3ELNS0_20block_scan_algorithmE0ELj4294967295EEENS1_25partition_config_selectorILNS1_17partition_subalgoE4EjNS0_10empty_typeEbEEZZNS1_14partition_implILS8_4ELb0ES6_15HIP_vector_typeIjLj2EENS0_17counting_iteratorIjlEEPS9_SG_NS0_5tupleIJPjSI_NS0_16reverse_iteratorISI_EEEEENSH_IJSG_SG_SG_EEES9_SI_JZNS1_25segmented_radix_sort_implINS0_14default_configELb1EPKdPdPKlPlN2at6native12_GLOBAL__N_18offset_tEEE10hipError_tPvRmT1_PNSt15iterator_traitsIS12_E10value_typeET2_T3_PNS13_IS18_E10value_typeET4_jRbjT5_S1E_jjP12ihipStream_tbEUljE_ZNSN_ISO_Lb1ESQ_SR_ST_SU_SY_EESZ_S10_S11_S12_S16_S17_S18_S1B_S1C_jS1D_jS1E_S1E_jjS1G_bEUljE0_EEESZ_S10_S11_S18_S1C_S1E_T6_T7_T9_mT8_S1G_bDpT10_ENKUlT_T0_E_clISt17integral_constantIbLb0EES1T_IbLb1EEEEDaS1P_S1Q_EUlS1P_E_NS1_11comp_targetILNS1_3genE2ELNS1_11target_archE906ELNS1_3gpuE6ELNS1_3repE0EEENS1_30default_config_static_selectorELNS0_4arch9wavefront6targetE1EEEvS12_.has_recursion, 0
	.set _ZN7rocprim17ROCPRIM_400000_NS6detail17trampoline_kernelINS0_13select_configILj256ELj13ELNS0_17block_load_methodE3ELS4_3ELS4_3ELNS0_20block_scan_algorithmE0ELj4294967295EEENS1_25partition_config_selectorILNS1_17partition_subalgoE4EjNS0_10empty_typeEbEEZZNS1_14partition_implILS8_4ELb0ES6_15HIP_vector_typeIjLj2EENS0_17counting_iteratorIjlEEPS9_SG_NS0_5tupleIJPjSI_NS0_16reverse_iteratorISI_EEEEENSH_IJSG_SG_SG_EEES9_SI_JZNS1_25segmented_radix_sort_implINS0_14default_configELb1EPKdPdPKlPlN2at6native12_GLOBAL__N_18offset_tEEE10hipError_tPvRmT1_PNSt15iterator_traitsIS12_E10value_typeET2_T3_PNS13_IS18_E10value_typeET4_jRbjT5_S1E_jjP12ihipStream_tbEUljE_ZNSN_ISO_Lb1ESQ_SR_ST_SU_SY_EESZ_S10_S11_S12_S16_S17_S18_S1B_S1C_jS1D_jS1E_S1E_jjS1G_bEUljE0_EEESZ_S10_S11_S18_S1C_S1E_T6_T7_T9_mT8_S1G_bDpT10_ENKUlT_T0_E_clISt17integral_constantIbLb0EES1T_IbLb1EEEEDaS1P_S1Q_EUlS1P_E_NS1_11comp_targetILNS1_3genE2ELNS1_11target_archE906ELNS1_3gpuE6ELNS1_3repE0EEENS1_30default_config_static_selectorELNS0_4arch9wavefront6targetE1EEEvS12_.has_indirect_call, 0
	.section	.AMDGPU.csdata,"",@progbits
; Kernel info:
; codeLenInByte = 15580
; TotalNumSgprs: 91
; NumVgprs: 91
; ScratchSize: 0
; MemoryBound: 0
; FloatMode: 240
; IeeeMode: 1
; LDSByteSize: 13328 bytes/workgroup (compile time only)
; SGPRBlocks: 12
; VGPRBlocks: 22
; NumSGPRsForWavesPerEU: 102
; NumVGPRsForWavesPerEU: 91
; Occupancy: 2
; WaveLimiterHint : 1
; COMPUTE_PGM_RSRC2:SCRATCH_EN: 0
; COMPUTE_PGM_RSRC2:USER_SGPR: 6
; COMPUTE_PGM_RSRC2:TRAP_HANDLER: 0
; COMPUTE_PGM_RSRC2:TGID_X_EN: 1
; COMPUTE_PGM_RSRC2:TGID_Y_EN: 0
; COMPUTE_PGM_RSRC2:TGID_Z_EN: 0
; COMPUTE_PGM_RSRC2:TIDIG_COMP_CNT: 0
	.section	.text._ZN7rocprim17ROCPRIM_400000_NS6detail17trampoline_kernelINS0_13select_configILj256ELj13ELNS0_17block_load_methodE3ELS4_3ELS4_3ELNS0_20block_scan_algorithmE0ELj4294967295EEENS1_25partition_config_selectorILNS1_17partition_subalgoE4EjNS0_10empty_typeEbEEZZNS1_14partition_implILS8_4ELb0ES6_15HIP_vector_typeIjLj2EENS0_17counting_iteratorIjlEEPS9_SG_NS0_5tupleIJPjSI_NS0_16reverse_iteratorISI_EEEEENSH_IJSG_SG_SG_EEES9_SI_JZNS1_25segmented_radix_sort_implINS0_14default_configELb1EPKdPdPKlPlN2at6native12_GLOBAL__N_18offset_tEEE10hipError_tPvRmT1_PNSt15iterator_traitsIS12_E10value_typeET2_T3_PNS13_IS18_E10value_typeET4_jRbjT5_S1E_jjP12ihipStream_tbEUljE_ZNSN_ISO_Lb1ESQ_SR_ST_SU_SY_EESZ_S10_S11_S12_S16_S17_S18_S1B_S1C_jS1D_jS1E_S1E_jjS1G_bEUljE0_EEESZ_S10_S11_S18_S1C_S1E_T6_T7_T9_mT8_S1G_bDpT10_ENKUlT_T0_E_clISt17integral_constantIbLb0EES1T_IbLb1EEEEDaS1P_S1Q_EUlS1P_E_NS1_11comp_targetILNS1_3genE10ELNS1_11target_archE1200ELNS1_3gpuE4ELNS1_3repE0EEENS1_30default_config_static_selectorELNS0_4arch9wavefront6targetE1EEEvS12_,"axG",@progbits,_ZN7rocprim17ROCPRIM_400000_NS6detail17trampoline_kernelINS0_13select_configILj256ELj13ELNS0_17block_load_methodE3ELS4_3ELS4_3ELNS0_20block_scan_algorithmE0ELj4294967295EEENS1_25partition_config_selectorILNS1_17partition_subalgoE4EjNS0_10empty_typeEbEEZZNS1_14partition_implILS8_4ELb0ES6_15HIP_vector_typeIjLj2EENS0_17counting_iteratorIjlEEPS9_SG_NS0_5tupleIJPjSI_NS0_16reverse_iteratorISI_EEEEENSH_IJSG_SG_SG_EEES9_SI_JZNS1_25segmented_radix_sort_implINS0_14default_configELb1EPKdPdPKlPlN2at6native12_GLOBAL__N_18offset_tEEE10hipError_tPvRmT1_PNSt15iterator_traitsIS12_E10value_typeET2_T3_PNS13_IS18_E10value_typeET4_jRbjT5_S1E_jjP12ihipStream_tbEUljE_ZNSN_ISO_Lb1ESQ_SR_ST_SU_SY_EESZ_S10_S11_S12_S16_S17_S18_S1B_S1C_jS1D_jS1E_S1E_jjS1G_bEUljE0_EEESZ_S10_S11_S18_S1C_S1E_T6_T7_T9_mT8_S1G_bDpT10_ENKUlT_T0_E_clISt17integral_constantIbLb0EES1T_IbLb1EEEEDaS1P_S1Q_EUlS1P_E_NS1_11comp_targetILNS1_3genE10ELNS1_11target_archE1200ELNS1_3gpuE4ELNS1_3repE0EEENS1_30default_config_static_selectorELNS0_4arch9wavefront6targetE1EEEvS12_,comdat
	.globl	_ZN7rocprim17ROCPRIM_400000_NS6detail17trampoline_kernelINS0_13select_configILj256ELj13ELNS0_17block_load_methodE3ELS4_3ELS4_3ELNS0_20block_scan_algorithmE0ELj4294967295EEENS1_25partition_config_selectorILNS1_17partition_subalgoE4EjNS0_10empty_typeEbEEZZNS1_14partition_implILS8_4ELb0ES6_15HIP_vector_typeIjLj2EENS0_17counting_iteratorIjlEEPS9_SG_NS0_5tupleIJPjSI_NS0_16reverse_iteratorISI_EEEEENSH_IJSG_SG_SG_EEES9_SI_JZNS1_25segmented_radix_sort_implINS0_14default_configELb1EPKdPdPKlPlN2at6native12_GLOBAL__N_18offset_tEEE10hipError_tPvRmT1_PNSt15iterator_traitsIS12_E10value_typeET2_T3_PNS13_IS18_E10value_typeET4_jRbjT5_S1E_jjP12ihipStream_tbEUljE_ZNSN_ISO_Lb1ESQ_SR_ST_SU_SY_EESZ_S10_S11_S12_S16_S17_S18_S1B_S1C_jS1D_jS1E_S1E_jjS1G_bEUljE0_EEESZ_S10_S11_S18_S1C_S1E_T6_T7_T9_mT8_S1G_bDpT10_ENKUlT_T0_E_clISt17integral_constantIbLb0EES1T_IbLb1EEEEDaS1P_S1Q_EUlS1P_E_NS1_11comp_targetILNS1_3genE10ELNS1_11target_archE1200ELNS1_3gpuE4ELNS1_3repE0EEENS1_30default_config_static_selectorELNS0_4arch9wavefront6targetE1EEEvS12_ ; -- Begin function _ZN7rocprim17ROCPRIM_400000_NS6detail17trampoline_kernelINS0_13select_configILj256ELj13ELNS0_17block_load_methodE3ELS4_3ELS4_3ELNS0_20block_scan_algorithmE0ELj4294967295EEENS1_25partition_config_selectorILNS1_17partition_subalgoE4EjNS0_10empty_typeEbEEZZNS1_14partition_implILS8_4ELb0ES6_15HIP_vector_typeIjLj2EENS0_17counting_iteratorIjlEEPS9_SG_NS0_5tupleIJPjSI_NS0_16reverse_iteratorISI_EEEEENSH_IJSG_SG_SG_EEES9_SI_JZNS1_25segmented_radix_sort_implINS0_14default_configELb1EPKdPdPKlPlN2at6native12_GLOBAL__N_18offset_tEEE10hipError_tPvRmT1_PNSt15iterator_traitsIS12_E10value_typeET2_T3_PNS13_IS18_E10value_typeET4_jRbjT5_S1E_jjP12ihipStream_tbEUljE_ZNSN_ISO_Lb1ESQ_SR_ST_SU_SY_EESZ_S10_S11_S12_S16_S17_S18_S1B_S1C_jS1D_jS1E_S1E_jjS1G_bEUljE0_EEESZ_S10_S11_S18_S1C_S1E_T6_T7_T9_mT8_S1G_bDpT10_ENKUlT_T0_E_clISt17integral_constantIbLb0EES1T_IbLb1EEEEDaS1P_S1Q_EUlS1P_E_NS1_11comp_targetILNS1_3genE10ELNS1_11target_archE1200ELNS1_3gpuE4ELNS1_3repE0EEENS1_30default_config_static_selectorELNS0_4arch9wavefront6targetE1EEEvS12_
	.p2align	8
	.type	_ZN7rocprim17ROCPRIM_400000_NS6detail17trampoline_kernelINS0_13select_configILj256ELj13ELNS0_17block_load_methodE3ELS4_3ELS4_3ELNS0_20block_scan_algorithmE0ELj4294967295EEENS1_25partition_config_selectorILNS1_17partition_subalgoE4EjNS0_10empty_typeEbEEZZNS1_14partition_implILS8_4ELb0ES6_15HIP_vector_typeIjLj2EENS0_17counting_iteratorIjlEEPS9_SG_NS0_5tupleIJPjSI_NS0_16reverse_iteratorISI_EEEEENSH_IJSG_SG_SG_EEES9_SI_JZNS1_25segmented_radix_sort_implINS0_14default_configELb1EPKdPdPKlPlN2at6native12_GLOBAL__N_18offset_tEEE10hipError_tPvRmT1_PNSt15iterator_traitsIS12_E10value_typeET2_T3_PNS13_IS18_E10value_typeET4_jRbjT5_S1E_jjP12ihipStream_tbEUljE_ZNSN_ISO_Lb1ESQ_SR_ST_SU_SY_EESZ_S10_S11_S12_S16_S17_S18_S1B_S1C_jS1D_jS1E_S1E_jjS1G_bEUljE0_EEESZ_S10_S11_S18_S1C_S1E_T6_T7_T9_mT8_S1G_bDpT10_ENKUlT_T0_E_clISt17integral_constantIbLb0EES1T_IbLb1EEEEDaS1P_S1Q_EUlS1P_E_NS1_11comp_targetILNS1_3genE10ELNS1_11target_archE1200ELNS1_3gpuE4ELNS1_3repE0EEENS1_30default_config_static_selectorELNS0_4arch9wavefront6targetE1EEEvS12_,@function
_ZN7rocprim17ROCPRIM_400000_NS6detail17trampoline_kernelINS0_13select_configILj256ELj13ELNS0_17block_load_methodE3ELS4_3ELS4_3ELNS0_20block_scan_algorithmE0ELj4294967295EEENS1_25partition_config_selectorILNS1_17partition_subalgoE4EjNS0_10empty_typeEbEEZZNS1_14partition_implILS8_4ELb0ES6_15HIP_vector_typeIjLj2EENS0_17counting_iteratorIjlEEPS9_SG_NS0_5tupleIJPjSI_NS0_16reverse_iteratorISI_EEEEENSH_IJSG_SG_SG_EEES9_SI_JZNS1_25segmented_radix_sort_implINS0_14default_configELb1EPKdPdPKlPlN2at6native12_GLOBAL__N_18offset_tEEE10hipError_tPvRmT1_PNSt15iterator_traitsIS12_E10value_typeET2_T3_PNS13_IS18_E10value_typeET4_jRbjT5_S1E_jjP12ihipStream_tbEUljE_ZNSN_ISO_Lb1ESQ_SR_ST_SU_SY_EESZ_S10_S11_S12_S16_S17_S18_S1B_S1C_jS1D_jS1E_S1E_jjS1G_bEUljE0_EEESZ_S10_S11_S18_S1C_S1E_T6_T7_T9_mT8_S1G_bDpT10_ENKUlT_T0_E_clISt17integral_constantIbLb0EES1T_IbLb1EEEEDaS1P_S1Q_EUlS1P_E_NS1_11comp_targetILNS1_3genE10ELNS1_11target_archE1200ELNS1_3gpuE4ELNS1_3repE0EEENS1_30default_config_static_selectorELNS0_4arch9wavefront6targetE1EEEvS12_: ; @_ZN7rocprim17ROCPRIM_400000_NS6detail17trampoline_kernelINS0_13select_configILj256ELj13ELNS0_17block_load_methodE3ELS4_3ELS4_3ELNS0_20block_scan_algorithmE0ELj4294967295EEENS1_25partition_config_selectorILNS1_17partition_subalgoE4EjNS0_10empty_typeEbEEZZNS1_14partition_implILS8_4ELb0ES6_15HIP_vector_typeIjLj2EENS0_17counting_iteratorIjlEEPS9_SG_NS0_5tupleIJPjSI_NS0_16reverse_iteratorISI_EEEEENSH_IJSG_SG_SG_EEES9_SI_JZNS1_25segmented_radix_sort_implINS0_14default_configELb1EPKdPdPKlPlN2at6native12_GLOBAL__N_18offset_tEEE10hipError_tPvRmT1_PNSt15iterator_traitsIS12_E10value_typeET2_T3_PNS13_IS18_E10value_typeET4_jRbjT5_S1E_jjP12ihipStream_tbEUljE_ZNSN_ISO_Lb1ESQ_SR_ST_SU_SY_EESZ_S10_S11_S12_S16_S17_S18_S1B_S1C_jS1D_jS1E_S1E_jjS1G_bEUljE0_EEESZ_S10_S11_S18_S1C_S1E_T6_T7_T9_mT8_S1G_bDpT10_ENKUlT_T0_E_clISt17integral_constantIbLb0EES1T_IbLb1EEEEDaS1P_S1Q_EUlS1P_E_NS1_11comp_targetILNS1_3genE10ELNS1_11target_archE1200ELNS1_3gpuE4ELNS1_3repE0EEENS1_30default_config_static_selectorELNS0_4arch9wavefront6targetE1EEEvS12_
; %bb.0:
	.section	.rodata,"a",@progbits
	.p2align	6, 0x0
	.amdhsa_kernel _ZN7rocprim17ROCPRIM_400000_NS6detail17trampoline_kernelINS0_13select_configILj256ELj13ELNS0_17block_load_methodE3ELS4_3ELS4_3ELNS0_20block_scan_algorithmE0ELj4294967295EEENS1_25partition_config_selectorILNS1_17partition_subalgoE4EjNS0_10empty_typeEbEEZZNS1_14partition_implILS8_4ELb0ES6_15HIP_vector_typeIjLj2EENS0_17counting_iteratorIjlEEPS9_SG_NS0_5tupleIJPjSI_NS0_16reverse_iteratorISI_EEEEENSH_IJSG_SG_SG_EEES9_SI_JZNS1_25segmented_radix_sort_implINS0_14default_configELb1EPKdPdPKlPlN2at6native12_GLOBAL__N_18offset_tEEE10hipError_tPvRmT1_PNSt15iterator_traitsIS12_E10value_typeET2_T3_PNS13_IS18_E10value_typeET4_jRbjT5_S1E_jjP12ihipStream_tbEUljE_ZNSN_ISO_Lb1ESQ_SR_ST_SU_SY_EESZ_S10_S11_S12_S16_S17_S18_S1B_S1C_jS1D_jS1E_S1E_jjS1G_bEUljE0_EEESZ_S10_S11_S18_S1C_S1E_T6_T7_T9_mT8_S1G_bDpT10_ENKUlT_T0_E_clISt17integral_constantIbLb0EES1T_IbLb1EEEEDaS1P_S1Q_EUlS1P_E_NS1_11comp_targetILNS1_3genE10ELNS1_11target_archE1200ELNS1_3gpuE4ELNS1_3repE0EEENS1_30default_config_static_selectorELNS0_4arch9wavefront6targetE1EEEvS12_
		.amdhsa_group_segment_fixed_size 0
		.amdhsa_private_segment_fixed_size 0
		.amdhsa_kernarg_size 184
		.amdhsa_user_sgpr_count 6
		.amdhsa_user_sgpr_private_segment_buffer 1
		.amdhsa_user_sgpr_dispatch_ptr 0
		.amdhsa_user_sgpr_queue_ptr 0
		.amdhsa_user_sgpr_kernarg_segment_ptr 1
		.amdhsa_user_sgpr_dispatch_id 0
		.amdhsa_user_sgpr_flat_scratch_init 0
		.amdhsa_user_sgpr_private_segment_size 0
		.amdhsa_uses_dynamic_stack 0
		.amdhsa_system_sgpr_private_segment_wavefront_offset 0
		.amdhsa_system_sgpr_workgroup_id_x 1
		.amdhsa_system_sgpr_workgroup_id_y 0
		.amdhsa_system_sgpr_workgroup_id_z 0
		.amdhsa_system_sgpr_workgroup_info 0
		.amdhsa_system_vgpr_workitem_id 0
		.amdhsa_next_free_vgpr 1
		.amdhsa_next_free_sgpr 0
		.amdhsa_reserve_vcc 0
		.amdhsa_reserve_flat_scratch 0
		.amdhsa_float_round_mode_32 0
		.amdhsa_float_round_mode_16_64 0
		.amdhsa_float_denorm_mode_32 3
		.amdhsa_float_denorm_mode_16_64 3
		.amdhsa_dx10_clamp 1
		.amdhsa_ieee_mode 1
		.amdhsa_fp16_overflow 0
		.amdhsa_exception_fp_ieee_invalid_op 0
		.amdhsa_exception_fp_denorm_src 0
		.amdhsa_exception_fp_ieee_div_zero 0
		.amdhsa_exception_fp_ieee_overflow 0
		.amdhsa_exception_fp_ieee_underflow 0
		.amdhsa_exception_fp_ieee_inexact 0
		.amdhsa_exception_int_div_zero 0
	.end_amdhsa_kernel
	.section	.text._ZN7rocprim17ROCPRIM_400000_NS6detail17trampoline_kernelINS0_13select_configILj256ELj13ELNS0_17block_load_methodE3ELS4_3ELS4_3ELNS0_20block_scan_algorithmE0ELj4294967295EEENS1_25partition_config_selectorILNS1_17partition_subalgoE4EjNS0_10empty_typeEbEEZZNS1_14partition_implILS8_4ELb0ES6_15HIP_vector_typeIjLj2EENS0_17counting_iteratorIjlEEPS9_SG_NS0_5tupleIJPjSI_NS0_16reverse_iteratorISI_EEEEENSH_IJSG_SG_SG_EEES9_SI_JZNS1_25segmented_radix_sort_implINS0_14default_configELb1EPKdPdPKlPlN2at6native12_GLOBAL__N_18offset_tEEE10hipError_tPvRmT1_PNSt15iterator_traitsIS12_E10value_typeET2_T3_PNS13_IS18_E10value_typeET4_jRbjT5_S1E_jjP12ihipStream_tbEUljE_ZNSN_ISO_Lb1ESQ_SR_ST_SU_SY_EESZ_S10_S11_S12_S16_S17_S18_S1B_S1C_jS1D_jS1E_S1E_jjS1G_bEUljE0_EEESZ_S10_S11_S18_S1C_S1E_T6_T7_T9_mT8_S1G_bDpT10_ENKUlT_T0_E_clISt17integral_constantIbLb0EES1T_IbLb1EEEEDaS1P_S1Q_EUlS1P_E_NS1_11comp_targetILNS1_3genE10ELNS1_11target_archE1200ELNS1_3gpuE4ELNS1_3repE0EEENS1_30default_config_static_selectorELNS0_4arch9wavefront6targetE1EEEvS12_,"axG",@progbits,_ZN7rocprim17ROCPRIM_400000_NS6detail17trampoline_kernelINS0_13select_configILj256ELj13ELNS0_17block_load_methodE3ELS4_3ELS4_3ELNS0_20block_scan_algorithmE0ELj4294967295EEENS1_25partition_config_selectorILNS1_17partition_subalgoE4EjNS0_10empty_typeEbEEZZNS1_14partition_implILS8_4ELb0ES6_15HIP_vector_typeIjLj2EENS0_17counting_iteratorIjlEEPS9_SG_NS0_5tupleIJPjSI_NS0_16reverse_iteratorISI_EEEEENSH_IJSG_SG_SG_EEES9_SI_JZNS1_25segmented_radix_sort_implINS0_14default_configELb1EPKdPdPKlPlN2at6native12_GLOBAL__N_18offset_tEEE10hipError_tPvRmT1_PNSt15iterator_traitsIS12_E10value_typeET2_T3_PNS13_IS18_E10value_typeET4_jRbjT5_S1E_jjP12ihipStream_tbEUljE_ZNSN_ISO_Lb1ESQ_SR_ST_SU_SY_EESZ_S10_S11_S12_S16_S17_S18_S1B_S1C_jS1D_jS1E_S1E_jjS1G_bEUljE0_EEESZ_S10_S11_S18_S1C_S1E_T6_T7_T9_mT8_S1G_bDpT10_ENKUlT_T0_E_clISt17integral_constantIbLb0EES1T_IbLb1EEEEDaS1P_S1Q_EUlS1P_E_NS1_11comp_targetILNS1_3genE10ELNS1_11target_archE1200ELNS1_3gpuE4ELNS1_3repE0EEENS1_30default_config_static_selectorELNS0_4arch9wavefront6targetE1EEEvS12_,comdat
.Lfunc_end1083:
	.size	_ZN7rocprim17ROCPRIM_400000_NS6detail17trampoline_kernelINS0_13select_configILj256ELj13ELNS0_17block_load_methodE3ELS4_3ELS4_3ELNS0_20block_scan_algorithmE0ELj4294967295EEENS1_25partition_config_selectorILNS1_17partition_subalgoE4EjNS0_10empty_typeEbEEZZNS1_14partition_implILS8_4ELb0ES6_15HIP_vector_typeIjLj2EENS0_17counting_iteratorIjlEEPS9_SG_NS0_5tupleIJPjSI_NS0_16reverse_iteratorISI_EEEEENSH_IJSG_SG_SG_EEES9_SI_JZNS1_25segmented_radix_sort_implINS0_14default_configELb1EPKdPdPKlPlN2at6native12_GLOBAL__N_18offset_tEEE10hipError_tPvRmT1_PNSt15iterator_traitsIS12_E10value_typeET2_T3_PNS13_IS18_E10value_typeET4_jRbjT5_S1E_jjP12ihipStream_tbEUljE_ZNSN_ISO_Lb1ESQ_SR_ST_SU_SY_EESZ_S10_S11_S12_S16_S17_S18_S1B_S1C_jS1D_jS1E_S1E_jjS1G_bEUljE0_EEESZ_S10_S11_S18_S1C_S1E_T6_T7_T9_mT8_S1G_bDpT10_ENKUlT_T0_E_clISt17integral_constantIbLb0EES1T_IbLb1EEEEDaS1P_S1Q_EUlS1P_E_NS1_11comp_targetILNS1_3genE10ELNS1_11target_archE1200ELNS1_3gpuE4ELNS1_3repE0EEENS1_30default_config_static_selectorELNS0_4arch9wavefront6targetE1EEEvS12_, .Lfunc_end1083-_ZN7rocprim17ROCPRIM_400000_NS6detail17trampoline_kernelINS0_13select_configILj256ELj13ELNS0_17block_load_methodE3ELS4_3ELS4_3ELNS0_20block_scan_algorithmE0ELj4294967295EEENS1_25partition_config_selectorILNS1_17partition_subalgoE4EjNS0_10empty_typeEbEEZZNS1_14partition_implILS8_4ELb0ES6_15HIP_vector_typeIjLj2EENS0_17counting_iteratorIjlEEPS9_SG_NS0_5tupleIJPjSI_NS0_16reverse_iteratorISI_EEEEENSH_IJSG_SG_SG_EEES9_SI_JZNS1_25segmented_radix_sort_implINS0_14default_configELb1EPKdPdPKlPlN2at6native12_GLOBAL__N_18offset_tEEE10hipError_tPvRmT1_PNSt15iterator_traitsIS12_E10value_typeET2_T3_PNS13_IS18_E10value_typeET4_jRbjT5_S1E_jjP12ihipStream_tbEUljE_ZNSN_ISO_Lb1ESQ_SR_ST_SU_SY_EESZ_S10_S11_S12_S16_S17_S18_S1B_S1C_jS1D_jS1E_S1E_jjS1G_bEUljE0_EEESZ_S10_S11_S18_S1C_S1E_T6_T7_T9_mT8_S1G_bDpT10_ENKUlT_T0_E_clISt17integral_constantIbLb0EES1T_IbLb1EEEEDaS1P_S1Q_EUlS1P_E_NS1_11comp_targetILNS1_3genE10ELNS1_11target_archE1200ELNS1_3gpuE4ELNS1_3repE0EEENS1_30default_config_static_selectorELNS0_4arch9wavefront6targetE1EEEvS12_
                                        ; -- End function
	.set _ZN7rocprim17ROCPRIM_400000_NS6detail17trampoline_kernelINS0_13select_configILj256ELj13ELNS0_17block_load_methodE3ELS4_3ELS4_3ELNS0_20block_scan_algorithmE0ELj4294967295EEENS1_25partition_config_selectorILNS1_17partition_subalgoE4EjNS0_10empty_typeEbEEZZNS1_14partition_implILS8_4ELb0ES6_15HIP_vector_typeIjLj2EENS0_17counting_iteratorIjlEEPS9_SG_NS0_5tupleIJPjSI_NS0_16reverse_iteratorISI_EEEEENSH_IJSG_SG_SG_EEES9_SI_JZNS1_25segmented_radix_sort_implINS0_14default_configELb1EPKdPdPKlPlN2at6native12_GLOBAL__N_18offset_tEEE10hipError_tPvRmT1_PNSt15iterator_traitsIS12_E10value_typeET2_T3_PNS13_IS18_E10value_typeET4_jRbjT5_S1E_jjP12ihipStream_tbEUljE_ZNSN_ISO_Lb1ESQ_SR_ST_SU_SY_EESZ_S10_S11_S12_S16_S17_S18_S1B_S1C_jS1D_jS1E_S1E_jjS1G_bEUljE0_EEESZ_S10_S11_S18_S1C_S1E_T6_T7_T9_mT8_S1G_bDpT10_ENKUlT_T0_E_clISt17integral_constantIbLb0EES1T_IbLb1EEEEDaS1P_S1Q_EUlS1P_E_NS1_11comp_targetILNS1_3genE10ELNS1_11target_archE1200ELNS1_3gpuE4ELNS1_3repE0EEENS1_30default_config_static_selectorELNS0_4arch9wavefront6targetE1EEEvS12_.num_vgpr, 0
	.set _ZN7rocprim17ROCPRIM_400000_NS6detail17trampoline_kernelINS0_13select_configILj256ELj13ELNS0_17block_load_methodE3ELS4_3ELS4_3ELNS0_20block_scan_algorithmE0ELj4294967295EEENS1_25partition_config_selectorILNS1_17partition_subalgoE4EjNS0_10empty_typeEbEEZZNS1_14partition_implILS8_4ELb0ES6_15HIP_vector_typeIjLj2EENS0_17counting_iteratorIjlEEPS9_SG_NS0_5tupleIJPjSI_NS0_16reverse_iteratorISI_EEEEENSH_IJSG_SG_SG_EEES9_SI_JZNS1_25segmented_radix_sort_implINS0_14default_configELb1EPKdPdPKlPlN2at6native12_GLOBAL__N_18offset_tEEE10hipError_tPvRmT1_PNSt15iterator_traitsIS12_E10value_typeET2_T3_PNS13_IS18_E10value_typeET4_jRbjT5_S1E_jjP12ihipStream_tbEUljE_ZNSN_ISO_Lb1ESQ_SR_ST_SU_SY_EESZ_S10_S11_S12_S16_S17_S18_S1B_S1C_jS1D_jS1E_S1E_jjS1G_bEUljE0_EEESZ_S10_S11_S18_S1C_S1E_T6_T7_T9_mT8_S1G_bDpT10_ENKUlT_T0_E_clISt17integral_constantIbLb0EES1T_IbLb1EEEEDaS1P_S1Q_EUlS1P_E_NS1_11comp_targetILNS1_3genE10ELNS1_11target_archE1200ELNS1_3gpuE4ELNS1_3repE0EEENS1_30default_config_static_selectorELNS0_4arch9wavefront6targetE1EEEvS12_.num_agpr, 0
	.set _ZN7rocprim17ROCPRIM_400000_NS6detail17trampoline_kernelINS0_13select_configILj256ELj13ELNS0_17block_load_methodE3ELS4_3ELS4_3ELNS0_20block_scan_algorithmE0ELj4294967295EEENS1_25partition_config_selectorILNS1_17partition_subalgoE4EjNS0_10empty_typeEbEEZZNS1_14partition_implILS8_4ELb0ES6_15HIP_vector_typeIjLj2EENS0_17counting_iteratorIjlEEPS9_SG_NS0_5tupleIJPjSI_NS0_16reverse_iteratorISI_EEEEENSH_IJSG_SG_SG_EEES9_SI_JZNS1_25segmented_radix_sort_implINS0_14default_configELb1EPKdPdPKlPlN2at6native12_GLOBAL__N_18offset_tEEE10hipError_tPvRmT1_PNSt15iterator_traitsIS12_E10value_typeET2_T3_PNS13_IS18_E10value_typeET4_jRbjT5_S1E_jjP12ihipStream_tbEUljE_ZNSN_ISO_Lb1ESQ_SR_ST_SU_SY_EESZ_S10_S11_S12_S16_S17_S18_S1B_S1C_jS1D_jS1E_S1E_jjS1G_bEUljE0_EEESZ_S10_S11_S18_S1C_S1E_T6_T7_T9_mT8_S1G_bDpT10_ENKUlT_T0_E_clISt17integral_constantIbLb0EES1T_IbLb1EEEEDaS1P_S1Q_EUlS1P_E_NS1_11comp_targetILNS1_3genE10ELNS1_11target_archE1200ELNS1_3gpuE4ELNS1_3repE0EEENS1_30default_config_static_selectorELNS0_4arch9wavefront6targetE1EEEvS12_.numbered_sgpr, 0
	.set _ZN7rocprim17ROCPRIM_400000_NS6detail17trampoline_kernelINS0_13select_configILj256ELj13ELNS0_17block_load_methodE3ELS4_3ELS4_3ELNS0_20block_scan_algorithmE0ELj4294967295EEENS1_25partition_config_selectorILNS1_17partition_subalgoE4EjNS0_10empty_typeEbEEZZNS1_14partition_implILS8_4ELb0ES6_15HIP_vector_typeIjLj2EENS0_17counting_iteratorIjlEEPS9_SG_NS0_5tupleIJPjSI_NS0_16reverse_iteratorISI_EEEEENSH_IJSG_SG_SG_EEES9_SI_JZNS1_25segmented_radix_sort_implINS0_14default_configELb1EPKdPdPKlPlN2at6native12_GLOBAL__N_18offset_tEEE10hipError_tPvRmT1_PNSt15iterator_traitsIS12_E10value_typeET2_T3_PNS13_IS18_E10value_typeET4_jRbjT5_S1E_jjP12ihipStream_tbEUljE_ZNSN_ISO_Lb1ESQ_SR_ST_SU_SY_EESZ_S10_S11_S12_S16_S17_S18_S1B_S1C_jS1D_jS1E_S1E_jjS1G_bEUljE0_EEESZ_S10_S11_S18_S1C_S1E_T6_T7_T9_mT8_S1G_bDpT10_ENKUlT_T0_E_clISt17integral_constantIbLb0EES1T_IbLb1EEEEDaS1P_S1Q_EUlS1P_E_NS1_11comp_targetILNS1_3genE10ELNS1_11target_archE1200ELNS1_3gpuE4ELNS1_3repE0EEENS1_30default_config_static_selectorELNS0_4arch9wavefront6targetE1EEEvS12_.num_named_barrier, 0
	.set _ZN7rocprim17ROCPRIM_400000_NS6detail17trampoline_kernelINS0_13select_configILj256ELj13ELNS0_17block_load_methodE3ELS4_3ELS4_3ELNS0_20block_scan_algorithmE0ELj4294967295EEENS1_25partition_config_selectorILNS1_17partition_subalgoE4EjNS0_10empty_typeEbEEZZNS1_14partition_implILS8_4ELb0ES6_15HIP_vector_typeIjLj2EENS0_17counting_iteratorIjlEEPS9_SG_NS0_5tupleIJPjSI_NS0_16reverse_iteratorISI_EEEEENSH_IJSG_SG_SG_EEES9_SI_JZNS1_25segmented_radix_sort_implINS0_14default_configELb1EPKdPdPKlPlN2at6native12_GLOBAL__N_18offset_tEEE10hipError_tPvRmT1_PNSt15iterator_traitsIS12_E10value_typeET2_T3_PNS13_IS18_E10value_typeET4_jRbjT5_S1E_jjP12ihipStream_tbEUljE_ZNSN_ISO_Lb1ESQ_SR_ST_SU_SY_EESZ_S10_S11_S12_S16_S17_S18_S1B_S1C_jS1D_jS1E_S1E_jjS1G_bEUljE0_EEESZ_S10_S11_S18_S1C_S1E_T6_T7_T9_mT8_S1G_bDpT10_ENKUlT_T0_E_clISt17integral_constantIbLb0EES1T_IbLb1EEEEDaS1P_S1Q_EUlS1P_E_NS1_11comp_targetILNS1_3genE10ELNS1_11target_archE1200ELNS1_3gpuE4ELNS1_3repE0EEENS1_30default_config_static_selectorELNS0_4arch9wavefront6targetE1EEEvS12_.private_seg_size, 0
	.set _ZN7rocprim17ROCPRIM_400000_NS6detail17trampoline_kernelINS0_13select_configILj256ELj13ELNS0_17block_load_methodE3ELS4_3ELS4_3ELNS0_20block_scan_algorithmE0ELj4294967295EEENS1_25partition_config_selectorILNS1_17partition_subalgoE4EjNS0_10empty_typeEbEEZZNS1_14partition_implILS8_4ELb0ES6_15HIP_vector_typeIjLj2EENS0_17counting_iteratorIjlEEPS9_SG_NS0_5tupleIJPjSI_NS0_16reverse_iteratorISI_EEEEENSH_IJSG_SG_SG_EEES9_SI_JZNS1_25segmented_radix_sort_implINS0_14default_configELb1EPKdPdPKlPlN2at6native12_GLOBAL__N_18offset_tEEE10hipError_tPvRmT1_PNSt15iterator_traitsIS12_E10value_typeET2_T3_PNS13_IS18_E10value_typeET4_jRbjT5_S1E_jjP12ihipStream_tbEUljE_ZNSN_ISO_Lb1ESQ_SR_ST_SU_SY_EESZ_S10_S11_S12_S16_S17_S18_S1B_S1C_jS1D_jS1E_S1E_jjS1G_bEUljE0_EEESZ_S10_S11_S18_S1C_S1E_T6_T7_T9_mT8_S1G_bDpT10_ENKUlT_T0_E_clISt17integral_constantIbLb0EES1T_IbLb1EEEEDaS1P_S1Q_EUlS1P_E_NS1_11comp_targetILNS1_3genE10ELNS1_11target_archE1200ELNS1_3gpuE4ELNS1_3repE0EEENS1_30default_config_static_selectorELNS0_4arch9wavefront6targetE1EEEvS12_.uses_vcc, 0
	.set _ZN7rocprim17ROCPRIM_400000_NS6detail17trampoline_kernelINS0_13select_configILj256ELj13ELNS0_17block_load_methodE3ELS4_3ELS4_3ELNS0_20block_scan_algorithmE0ELj4294967295EEENS1_25partition_config_selectorILNS1_17partition_subalgoE4EjNS0_10empty_typeEbEEZZNS1_14partition_implILS8_4ELb0ES6_15HIP_vector_typeIjLj2EENS0_17counting_iteratorIjlEEPS9_SG_NS0_5tupleIJPjSI_NS0_16reverse_iteratorISI_EEEEENSH_IJSG_SG_SG_EEES9_SI_JZNS1_25segmented_radix_sort_implINS0_14default_configELb1EPKdPdPKlPlN2at6native12_GLOBAL__N_18offset_tEEE10hipError_tPvRmT1_PNSt15iterator_traitsIS12_E10value_typeET2_T3_PNS13_IS18_E10value_typeET4_jRbjT5_S1E_jjP12ihipStream_tbEUljE_ZNSN_ISO_Lb1ESQ_SR_ST_SU_SY_EESZ_S10_S11_S12_S16_S17_S18_S1B_S1C_jS1D_jS1E_S1E_jjS1G_bEUljE0_EEESZ_S10_S11_S18_S1C_S1E_T6_T7_T9_mT8_S1G_bDpT10_ENKUlT_T0_E_clISt17integral_constantIbLb0EES1T_IbLb1EEEEDaS1P_S1Q_EUlS1P_E_NS1_11comp_targetILNS1_3genE10ELNS1_11target_archE1200ELNS1_3gpuE4ELNS1_3repE0EEENS1_30default_config_static_selectorELNS0_4arch9wavefront6targetE1EEEvS12_.uses_flat_scratch, 0
	.set _ZN7rocprim17ROCPRIM_400000_NS6detail17trampoline_kernelINS0_13select_configILj256ELj13ELNS0_17block_load_methodE3ELS4_3ELS4_3ELNS0_20block_scan_algorithmE0ELj4294967295EEENS1_25partition_config_selectorILNS1_17partition_subalgoE4EjNS0_10empty_typeEbEEZZNS1_14partition_implILS8_4ELb0ES6_15HIP_vector_typeIjLj2EENS0_17counting_iteratorIjlEEPS9_SG_NS0_5tupleIJPjSI_NS0_16reverse_iteratorISI_EEEEENSH_IJSG_SG_SG_EEES9_SI_JZNS1_25segmented_radix_sort_implINS0_14default_configELb1EPKdPdPKlPlN2at6native12_GLOBAL__N_18offset_tEEE10hipError_tPvRmT1_PNSt15iterator_traitsIS12_E10value_typeET2_T3_PNS13_IS18_E10value_typeET4_jRbjT5_S1E_jjP12ihipStream_tbEUljE_ZNSN_ISO_Lb1ESQ_SR_ST_SU_SY_EESZ_S10_S11_S12_S16_S17_S18_S1B_S1C_jS1D_jS1E_S1E_jjS1G_bEUljE0_EEESZ_S10_S11_S18_S1C_S1E_T6_T7_T9_mT8_S1G_bDpT10_ENKUlT_T0_E_clISt17integral_constantIbLb0EES1T_IbLb1EEEEDaS1P_S1Q_EUlS1P_E_NS1_11comp_targetILNS1_3genE10ELNS1_11target_archE1200ELNS1_3gpuE4ELNS1_3repE0EEENS1_30default_config_static_selectorELNS0_4arch9wavefront6targetE1EEEvS12_.has_dyn_sized_stack, 0
	.set _ZN7rocprim17ROCPRIM_400000_NS6detail17trampoline_kernelINS0_13select_configILj256ELj13ELNS0_17block_load_methodE3ELS4_3ELS4_3ELNS0_20block_scan_algorithmE0ELj4294967295EEENS1_25partition_config_selectorILNS1_17partition_subalgoE4EjNS0_10empty_typeEbEEZZNS1_14partition_implILS8_4ELb0ES6_15HIP_vector_typeIjLj2EENS0_17counting_iteratorIjlEEPS9_SG_NS0_5tupleIJPjSI_NS0_16reverse_iteratorISI_EEEEENSH_IJSG_SG_SG_EEES9_SI_JZNS1_25segmented_radix_sort_implINS0_14default_configELb1EPKdPdPKlPlN2at6native12_GLOBAL__N_18offset_tEEE10hipError_tPvRmT1_PNSt15iterator_traitsIS12_E10value_typeET2_T3_PNS13_IS18_E10value_typeET4_jRbjT5_S1E_jjP12ihipStream_tbEUljE_ZNSN_ISO_Lb1ESQ_SR_ST_SU_SY_EESZ_S10_S11_S12_S16_S17_S18_S1B_S1C_jS1D_jS1E_S1E_jjS1G_bEUljE0_EEESZ_S10_S11_S18_S1C_S1E_T6_T7_T9_mT8_S1G_bDpT10_ENKUlT_T0_E_clISt17integral_constantIbLb0EES1T_IbLb1EEEEDaS1P_S1Q_EUlS1P_E_NS1_11comp_targetILNS1_3genE10ELNS1_11target_archE1200ELNS1_3gpuE4ELNS1_3repE0EEENS1_30default_config_static_selectorELNS0_4arch9wavefront6targetE1EEEvS12_.has_recursion, 0
	.set _ZN7rocprim17ROCPRIM_400000_NS6detail17trampoline_kernelINS0_13select_configILj256ELj13ELNS0_17block_load_methodE3ELS4_3ELS4_3ELNS0_20block_scan_algorithmE0ELj4294967295EEENS1_25partition_config_selectorILNS1_17partition_subalgoE4EjNS0_10empty_typeEbEEZZNS1_14partition_implILS8_4ELb0ES6_15HIP_vector_typeIjLj2EENS0_17counting_iteratorIjlEEPS9_SG_NS0_5tupleIJPjSI_NS0_16reverse_iteratorISI_EEEEENSH_IJSG_SG_SG_EEES9_SI_JZNS1_25segmented_radix_sort_implINS0_14default_configELb1EPKdPdPKlPlN2at6native12_GLOBAL__N_18offset_tEEE10hipError_tPvRmT1_PNSt15iterator_traitsIS12_E10value_typeET2_T3_PNS13_IS18_E10value_typeET4_jRbjT5_S1E_jjP12ihipStream_tbEUljE_ZNSN_ISO_Lb1ESQ_SR_ST_SU_SY_EESZ_S10_S11_S12_S16_S17_S18_S1B_S1C_jS1D_jS1E_S1E_jjS1G_bEUljE0_EEESZ_S10_S11_S18_S1C_S1E_T6_T7_T9_mT8_S1G_bDpT10_ENKUlT_T0_E_clISt17integral_constantIbLb0EES1T_IbLb1EEEEDaS1P_S1Q_EUlS1P_E_NS1_11comp_targetILNS1_3genE10ELNS1_11target_archE1200ELNS1_3gpuE4ELNS1_3repE0EEENS1_30default_config_static_selectorELNS0_4arch9wavefront6targetE1EEEvS12_.has_indirect_call, 0
	.section	.AMDGPU.csdata,"",@progbits
; Kernel info:
; codeLenInByte = 0
; TotalNumSgprs: 4
; NumVgprs: 0
; ScratchSize: 0
; MemoryBound: 0
; FloatMode: 240
; IeeeMode: 1
; LDSByteSize: 0 bytes/workgroup (compile time only)
; SGPRBlocks: 0
; VGPRBlocks: 0
; NumSGPRsForWavesPerEU: 4
; NumVGPRsForWavesPerEU: 1
; Occupancy: 10
; WaveLimiterHint : 0
; COMPUTE_PGM_RSRC2:SCRATCH_EN: 0
; COMPUTE_PGM_RSRC2:USER_SGPR: 6
; COMPUTE_PGM_RSRC2:TRAP_HANDLER: 0
; COMPUTE_PGM_RSRC2:TGID_X_EN: 1
; COMPUTE_PGM_RSRC2:TGID_Y_EN: 0
; COMPUTE_PGM_RSRC2:TGID_Z_EN: 0
; COMPUTE_PGM_RSRC2:TIDIG_COMP_CNT: 0
	.section	.text._ZN7rocprim17ROCPRIM_400000_NS6detail17trampoline_kernelINS0_13select_configILj256ELj13ELNS0_17block_load_methodE3ELS4_3ELS4_3ELNS0_20block_scan_algorithmE0ELj4294967295EEENS1_25partition_config_selectorILNS1_17partition_subalgoE4EjNS0_10empty_typeEbEEZZNS1_14partition_implILS8_4ELb0ES6_15HIP_vector_typeIjLj2EENS0_17counting_iteratorIjlEEPS9_SG_NS0_5tupleIJPjSI_NS0_16reverse_iteratorISI_EEEEENSH_IJSG_SG_SG_EEES9_SI_JZNS1_25segmented_radix_sort_implINS0_14default_configELb1EPKdPdPKlPlN2at6native12_GLOBAL__N_18offset_tEEE10hipError_tPvRmT1_PNSt15iterator_traitsIS12_E10value_typeET2_T3_PNS13_IS18_E10value_typeET4_jRbjT5_S1E_jjP12ihipStream_tbEUljE_ZNSN_ISO_Lb1ESQ_SR_ST_SU_SY_EESZ_S10_S11_S12_S16_S17_S18_S1B_S1C_jS1D_jS1E_S1E_jjS1G_bEUljE0_EEESZ_S10_S11_S18_S1C_S1E_T6_T7_T9_mT8_S1G_bDpT10_ENKUlT_T0_E_clISt17integral_constantIbLb0EES1T_IbLb1EEEEDaS1P_S1Q_EUlS1P_E_NS1_11comp_targetILNS1_3genE9ELNS1_11target_archE1100ELNS1_3gpuE3ELNS1_3repE0EEENS1_30default_config_static_selectorELNS0_4arch9wavefront6targetE1EEEvS12_,"axG",@progbits,_ZN7rocprim17ROCPRIM_400000_NS6detail17trampoline_kernelINS0_13select_configILj256ELj13ELNS0_17block_load_methodE3ELS4_3ELS4_3ELNS0_20block_scan_algorithmE0ELj4294967295EEENS1_25partition_config_selectorILNS1_17partition_subalgoE4EjNS0_10empty_typeEbEEZZNS1_14partition_implILS8_4ELb0ES6_15HIP_vector_typeIjLj2EENS0_17counting_iteratorIjlEEPS9_SG_NS0_5tupleIJPjSI_NS0_16reverse_iteratorISI_EEEEENSH_IJSG_SG_SG_EEES9_SI_JZNS1_25segmented_radix_sort_implINS0_14default_configELb1EPKdPdPKlPlN2at6native12_GLOBAL__N_18offset_tEEE10hipError_tPvRmT1_PNSt15iterator_traitsIS12_E10value_typeET2_T3_PNS13_IS18_E10value_typeET4_jRbjT5_S1E_jjP12ihipStream_tbEUljE_ZNSN_ISO_Lb1ESQ_SR_ST_SU_SY_EESZ_S10_S11_S12_S16_S17_S18_S1B_S1C_jS1D_jS1E_S1E_jjS1G_bEUljE0_EEESZ_S10_S11_S18_S1C_S1E_T6_T7_T9_mT8_S1G_bDpT10_ENKUlT_T0_E_clISt17integral_constantIbLb0EES1T_IbLb1EEEEDaS1P_S1Q_EUlS1P_E_NS1_11comp_targetILNS1_3genE9ELNS1_11target_archE1100ELNS1_3gpuE3ELNS1_3repE0EEENS1_30default_config_static_selectorELNS0_4arch9wavefront6targetE1EEEvS12_,comdat
	.globl	_ZN7rocprim17ROCPRIM_400000_NS6detail17trampoline_kernelINS0_13select_configILj256ELj13ELNS0_17block_load_methodE3ELS4_3ELS4_3ELNS0_20block_scan_algorithmE0ELj4294967295EEENS1_25partition_config_selectorILNS1_17partition_subalgoE4EjNS0_10empty_typeEbEEZZNS1_14partition_implILS8_4ELb0ES6_15HIP_vector_typeIjLj2EENS0_17counting_iteratorIjlEEPS9_SG_NS0_5tupleIJPjSI_NS0_16reverse_iteratorISI_EEEEENSH_IJSG_SG_SG_EEES9_SI_JZNS1_25segmented_radix_sort_implINS0_14default_configELb1EPKdPdPKlPlN2at6native12_GLOBAL__N_18offset_tEEE10hipError_tPvRmT1_PNSt15iterator_traitsIS12_E10value_typeET2_T3_PNS13_IS18_E10value_typeET4_jRbjT5_S1E_jjP12ihipStream_tbEUljE_ZNSN_ISO_Lb1ESQ_SR_ST_SU_SY_EESZ_S10_S11_S12_S16_S17_S18_S1B_S1C_jS1D_jS1E_S1E_jjS1G_bEUljE0_EEESZ_S10_S11_S18_S1C_S1E_T6_T7_T9_mT8_S1G_bDpT10_ENKUlT_T0_E_clISt17integral_constantIbLb0EES1T_IbLb1EEEEDaS1P_S1Q_EUlS1P_E_NS1_11comp_targetILNS1_3genE9ELNS1_11target_archE1100ELNS1_3gpuE3ELNS1_3repE0EEENS1_30default_config_static_selectorELNS0_4arch9wavefront6targetE1EEEvS12_ ; -- Begin function _ZN7rocprim17ROCPRIM_400000_NS6detail17trampoline_kernelINS0_13select_configILj256ELj13ELNS0_17block_load_methodE3ELS4_3ELS4_3ELNS0_20block_scan_algorithmE0ELj4294967295EEENS1_25partition_config_selectorILNS1_17partition_subalgoE4EjNS0_10empty_typeEbEEZZNS1_14partition_implILS8_4ELb0ES6_15HIP_vector_typeIjLj2EENS0_17counting_iteratorIjlEEPS9_SG_NS0_5tupleIJPjSI_NS0_16reverse_iteratorISI_EEEEENSH_IJSG_SG_SG_EEES9_SI_JZNS1_25segmented_radix_sort_implINS0_14default_configELb1EPKdPdPKlPlN2at6native12_GLOBAL__N_18offset_tEEE10hipError_tPvRmT1_PNSt15iterator_traitsIS12_E10value_typeET2_T3_PNS13_IS18_E10value_typeET4_jRbjT5_S1E_jjP12ihipStream_tbEUljE_ZNSN_ISO_Lb1ESQ_SR_ST_SU_SY_EESZ_S10_S11_S12_S16_S17_S18_S1B_S1C_jS1D_jS1E_S1E_jjS1G_bEUljE0_EEESZ_S10_S11_S18_S1C_S1E_T6_T7_T9_mT8_S1G_bDpT10_ENKUlT_T0_E_clISt17integral_constantIbLb0EES1T_IbLb1EEEEDaS1P_S1Q_EUlS1P_E_NS1_11comp_targetILNS1_3genE9ELNS1_11target_archE1100ELNS1_3gpuE3ELNS1_3repE0EEENS1_30default_config_static_selectorELNS0_4arch9wavefront6targetE1EEEvS12_
	.p2align	8
	.type	_ZN7rocprim17ROCPRIM_400000_NS6detail17trampoline_kernelINS0_13select_configILj256ELj13ELNS0_17block_load_methodE3ELS4_3ELS4_3ELNS0_20block_scan_algorithmE0ELj4294967295EEENS1_25partition_config_selectorILNS1_17partition_subalgoE4EjNS0_10empty_typeEbEEZZNS1_14partition_implILS8_4ELb0ES6_15HIP_vector_typeIjLj2EENS0_17counting_iteratorIjlEEPS9_SG_NS0_5tupleIJPjSI_NS0_16reverse_iteratorISI_EEEEENSH_IJSG_SG_SG_EEES9_SI_JZNS1_25segmented_radix_sort_implINS0_14default_configELb1EPKdPdPKlPlN2at6native12_GLOBAL__N_18offset_tEEE10hipError_tPvRmT1_PNSt15iterator_traitsIS12_E10value_typeET2_T3_PNS13_IS18_E10value_typeET4_jRbjT5_S1E_jjP12ihipStream_tbEUljE_ZNSN_ISO_Lb1ESQ_SR_ST_SU_SY_EESZ_S10_S11_S12_S16_S17_S18_S1B_S1C_jS1D_jS1E_S1E_jjS1G_bEUljE0_EEESZ_S10_S11_S18_S1C_S1E_T6_T7_T9_mT8_S1G_bDpT10_ENKUlT_T0_E_clISt17integral_constantIbLb0EES1T_IbLb1EEEEDaS1P_S1Q_EUlS1P_E_NS1_11comp_targetILNS1_3genE9ELNS1_11target_archE1100ELNS1_3gpuE3ELNS1_3repE0EEENS1_30default_config_static_selectorELNS0_4arch9wavefront6targetE1EEEvS12_,@function
_ZN7rocprim17ROCPRIM_400000_NS6detail17trampoline_kernelINS0_13select_configILj256ELj13ELNS0_17block_load_methodE3ELS4_3ELS4_3ELNS0_20block_scan_algorithmE0ELj4294967295EEENS1_25partition_config_selectorILNS1_17partition_subalgoE4EjNS0_10empty_typeEbEEZZNS1_14partition_implILS8_4ELb0ES6_15HIP_vector_typeIjLj2EENS0_17counting_iteratorIjlEEPS9_SG_NS0_5tupleIJPjSI_NS0_16reverse_iteratorISI_EEEEENSH_IJSG_SG_SG_EEES9_SI_JZNS1_25segmented_radix_sort_implINS0_14default_configELb1EPKdPdPKlPlN2at6native12_GLOBAL__N_18offset_tEEE10hipError_tPvRmT1_PNSt15iterator_traitsIS12_E10value_typeET2_T3_PNS13_IS18_E10value_typeET4_jRbjT5_S1E_jjP12ihipStream_tbEUljE_ZNSN_ISO_Lb1ESQ_SR_ST_SU_SY_EESZ_S10_S11_S12_S16_S17_S18_S1B_S1C_jS1D_jS1E_S1E_jjS1G_bEUljE0_EEESZ_S10_S11_S18_S1C_S1E_T6_T7_T9_mT8_S1G_bDpT10_ENKUlT_T0_E_clISt17integral_constantIbLb0EES1T_IbLb1EEEEDaS1P_S1Q_EUlS1P_E_NS1_11comp_targetILNS1_3genE9ELNS1_11target_archE1100ELNS1_3gpuE3ELNS1_3repE0EEENS1_30default_config_static_selectorELNS0_4arch9wavefront6targetE1EEEvS12_: ; @_ZN7rocprim17ROCPRIM_400000_NS6detail17trampoline_kernelINS0_13select_configILj256ELj13ELNS0_17block_load_methodE3ELS4_3ELS4_3ELNS0_20block_scan_algorithmE0ELj4294967295EEENS1_25partition_config_selectorILNS1_17partition_subalgoE4EjNS0_10empty_typeEbEEZZNS1_14partition_implILS8_4ELb0ES6_15HIP_vector_typeIjLj2EENS0_17counting_iteratorIjlEEPS9_SG_NS0_5tupleIJPjSI_NS0_16reverse_iteratorISI_EEEEENSH_IJSG_SG_SG_EEES9_SI_JZNS1_25segmented_radix_sort_implINS0_14default_configELb1EPKdPdPKlPlN2at6native12_GLOBAL__N_18offset_tEEE10hipError_tPvRmT1_PNSt15iterator_traitsIS12_E10value_typeET2_T3_PNS13_IS18_E10value_typeET4_jRbjT5_S1E_jjP12ihipStream_tbEUljE_ZNSN_ISO_Lb1ESQ_SR_ST_SU_SY_EESZ_S10_S11_S12_S16_S17_S18_S1B_S1C_jS1D_jS1E_S1E_jjS1G_bEUljE0_EEESZ_S10_S11_S18_S1C_S1E_T6_T7_T9_mT8_S1G_bDpT10_ENKUlT_T0_E_clISt17integral_constantIbLb0EES1T_IbLb1EEEEDaS1P_S1Q_EUlS1P_E_NS1_11comp_targetILNS1_3genE9ELNS1_11target_archE1100ELNS1_3gpuE3ELNS1_3repE0EEENS1_30default_config_static_selectorELNS0_4arch9wavefront6targetE1EEEvS12_
; %bb.0:
	.section	.rodata,"a",@progbits
	.p2align	6, 0x0
	.amdhsa_kernel _ZN7rocprim17ROCPRIM_400000_NS6detail17trampoline_kernelINS0_13select_configILj256ELj13ELNS0_17block_load_methodE3ELS4_3ELS4_3ELNS0_20block_scan_algorithmE0ELj4294967295EEENS1_25partition_config_selectorILNS1_17partition_subalgoE4EjNS0_10empty_typeEbEEZZNS1_14partition_implILS8_4ELb0ES6_15HIP_vector_typeIjLj2EENS0_17counting_iteratorIjlEEPS9_SG_NS0_5tupleIJPjSI_NS0_16reverse_iteratorISI_EEEEENSH_IJSG_SG_SG_EEES9_SI_JZNS1_25segmented_radix_sort_implINS0_14default_configELb1EPKdPdPKlPlN2at6native12_GLOBAL__N_18offset_tEEE10hipError_tPvRmT1_PNSt15iterator_traitsIS12_E10value_typeET2_T3_PNS13_IS18_E10value_typeET4_jRbjT5_S1E_jjP12ihipStream_tbEUljE_ZNSN_ISO_Lb1ESQ_SR_ST_SU_SY_EESZ_S10_S11_S12_S16_S17_S18_S1B_S1C_jS1D_jS1E_S1E_jjS1G_bEUljE0_EEESZ_S10_S11_S18_S1C_S1E_T6_T7_T9_mT8_S1G_bDpT10_ENKUlT_T0_E_clISt17integral_constantIbLb0EES1T_IbLb1EEEEDaS1P_S1Q_EUlS1P_E_NS1_11comp_targetILNS1_3genE9ELNS1_11target_archE1100ELNS1_3gpuE3ELNS1_3repE0EEENS1_30default_config_static_selectorELNS0_4arch9wavefront6targetE1EEEvS12_
		.amdhsa_group_segment_fixed_size 0
		.amdhsa_private_segment_fixed_size 0
		.amdhsa_kernarg_size 184
		.amdhsa_user_sgpr_count 6
		.amdhsa_user_sgpr_private_segment_buffer 1
		.amdhsa_user_sgpr_dispatch_ptr 0
		.amdhsa_user_sgpr_queue_ptr 0
		.amdhsa_user_sgpr_kernarg_segment_ptr 1
		.amdhsa_user_sgpr_dispatch_id 0
		.amdhsa_user_sgpr_flat_scratch_init 0
		.amdhsa_user_sgpr_private_segment_size 0
		.amdhsa_uses_dynamic_stack 0
		.amdhsa_system_sgpr_private_segment_wavefront_offset 0
		.amdhsa_system_sgpr_workgroup_id_x 1
		.amdhsa_system_sgpr_workgroup_id_y 0
		.amdhsa_system_sgpr_workgroup_id_z 0
		.amdhsa_system_sgpr_workgroup_info 0
		.amdhsa_system_vgpr_workitem_id 0
		.amdhsa_next_free_vgpr 1
		.amdhsa_next_free_sgpr 0
		.amdhsa_reserve_vcc 0
		.amdhsa_reserve_flat_scratch 0
		.amdhsa_float_round_mode_32 0
		.amdhsa_float_round_mode_16_64 0
		.amdhsa_float_denorm_mode_32 3
		.amdhsa_float_denorm_mode_16_64 3
		.amdhsa_dx10_clamp 1
		.amdhsa_ieee_mode 1
		.amdhsa_fp16_overflow 0
		.amdhsa_exception_fp_ieee_invalid_op 0
		.amdhsa_exception_fp_denorm_src 0
		.amdhsa_exception_fp_ieee_div_zero 0
		.amdhsa_exception_fp_ieee_overflow 0
		.amdhsa_exception_fp_ieee_underflow 0
		.amdhsa_exception_fp_ieee_inexact 0
		.amdhsa_exception_int_div_zero 0
	.end_amdhsa_kernel
	.section	.text._ZN7rocprim17ROCPRIM_400000_NS6detail17trampoline_kernelINS0_13select_configILj256ELj13ELNS0_17block_load_methodE3ELS4_3ELS4_3ELNS0_20block_scan_algorithmE0ELj4294967295EEENS1_25partition_config_selectorILNS1_17partition_subalgoE4EjNS0_10empty_typeEbEEZZNS1_14partition_implILS8_4ELb0ES6_15HIP_vector_typeIjLj2EENS0_17counting_iteratorIjlEEPS9_SG_NS0_5tupleIJPjSI_NS0_16reverse_iteratorISI_EEEEENSH_IJSG_SG_SG_EEES9_SI_JZNS1_25segmented_radix_sort_implINS0_14default_configELb1EPKdPdPKlPlN2at6native12_GLOBAL__N_18offset_tEEE10hipError_tPvRmT1_PNSt15iterator_traitsIS12_E10value_typeET2_T3_PNS13_IS18_E10value_typeET4_jRbjT5_S1E_jjP12ihipStream_tbEUljE_ZNSN_ISO_Lb1ESQ_SR_ST_SU_SY_EESZ_S10_S11_S12_S16_S17_S18_S1B_S1C_jS1D_jS1E_S1E_jjS1G_bEUljE0_EEESZ_S10_S11_S18_S1C_S1E_T6_T7_T9_mT8_S1G_bDpT10_ENKUlT_T0_E_clISt17integral_constantIbLb0EES1T_IbLb1EEEEDaS1P_S1Q_EUlS1P_E_NS1_11comp_targetILNS1_3genE9ELNS1_11target_archE1100ELNS1_3gpuE3ELNS1_3repE0EEENS1_30default_config_static_selectorELNS0_4arch9wavefront6targetE1EEEvS12_,"axG",@progbits,_ZN7rocprim17ROCPRIM_400000_NS6detail17trampoline_kernelINS0_13select_configILj256ELj13ELNS0_17block_load_methodE3ELS4_3ELS4_3ELNS0_20block_scan_algorithmE0ELj4294967295EEENS1_25partition_config_selectorILNS1_17partition_subalgoE4EjNS0_10empty_typeEbEEZZNS1_14partition_implILS8_4ELb0ES6_15HIP_vector_typeIjLj2EENS0_17counting_iteratorIjlEEPS9_SG_NS0_5tupleIJPjSI_NS0_16reverse_iteratorISI_EEEEENSH_IJSG_SG_SG_EEES9_SI_JZNS1_25segmented_radix_sort_implINS0_14default_configELb1EPKdPdPKlPlN2at6native12_GLOBAL__N_18offset_tEEE10hipError_tPvRmT1_PNSt15iterator_traitsIS12_E10value_typeET2_T3_PNS13_IS18_E10value_typeET4_jRbjT5_S1E_jjP12ihipStream_tbEUljE_ZNSN_ISO_Lb1ESQ_SR_ST_SU_SY_EESZ_S10_S11_S12_S16_S17_S18_S1B_S1C_jS1D_jS1E_S1E_jjS1G_bEUljE0_EEESZ_S10_S11_S18_S1C_S1E_T6_T7_T9_mT8_S1G_bDpT10_ENKUlT_T0_E_clISt17integral_constantIbLb0EES1T_IbLb1EEEEDaS1P_S1Q_EUlS1P_E_NS1_11comp_targetILNS1_3genE9ELNS1_11target_archE1100ELNS1_3gpuE3ELNS1_3repE0EEENS1_30default_config_static_selectorELNS0_4arch9wavefront6targetE1EEEvS12_,comdat
.Lfunc_end1084:
	.size	_ZN7rocprim17ROCPRIM_400000_NS6detail17trampoline_kernelINS0_13select_configILj256ELj13ELNS0_17block_load_methodE3ELS4_3ELS4_3ELNS0_20block_scan_algorithmE0ELj4294967295EEENS1_25partition_config_selectorILNS1_17partition_subalgoE4EjNS0_10empty_typeEbEEZZNS1_14partition_implILS8_4ELb0ES6_15HIP_vector_typeIjLj2EENS0_17counting_iteratorIjlEEPS9_SG_NS0_5tupleIJPjSI_NS0_16reverse_iteratorISI_EEEEENSH_IJSG_SG_SG_EEES9_SI_JZNS1_25segmented_radix_sort_implINS0_14default_configELb1EPKdPdPKlPlN2at6native12_GLOBAL__N_18offset_tEEE10hipError_tPvRmT1_PNSt15iterator_traitsIS12_E10value_typeET2_T3_PNS13_IS18_E10value_typeET4_jRbjT5_S1E_jjP12ihipStream_tbEUljE_ZNSN_ISO_Lb1ESQ_SR_ST_SU_SY_EESZ_S10_S11_S12_S16_S17_S18_S1B_S1C_jS1D_jS1E_S1E_jjS1G_bEUljE0_EEESZ_S10_S11_S18_S1C_S1E_T6_T7_T9_mT8_S1G_bDpT10_ENKUlT_T0_E_clISt17integral_constantIbLb0EES1T_IbLb1EEEEDaS1P_S1Q_EUlS1P_E_NS1_11comp_targetILNS1_3genE9ELNS1_11target_archE1100ELNS1_3gpuE3ELNS1_3repE0EEENS1_30default_config_static_selectorELNS0_4arch9wavefront6targetE1EEEvS12_, .Lfunc_end1084-_ZN7rocprim17ROCPRIM_400000_NS6detail17trampoline_kernelINS0_13select_configILj256ELj13ELNS0_17block_load_methodE3ELS4_3ELS4_3ELNS0_20block_scan_algorithmE0ELj4294967295EEENS1_25partition_config_selectorILNS1_17partition_subalgoE4EjNS0_10empty_typeEbEEZZNS1_14partition_implILS8_4ELb0ES6_15HIP_vector_typeIjLj2EENS0_17counting_iteratorIjlEEPS9_SG_NS0_5tupleIJPjSI_NS0_16reverse_iteratorISI_EEEEENSH_IJSG_SG_SG_EEES9_SI_JZNS1_25segmented_radix_sort_implINS0_14default_configELb1EPKdPdPKlPlN2at6native12_GLOBAL__N_18offset_tEEE10hipError_tPvRmT1_PNSt15iterator_traitsIS12_E10value_typeET2_T3_PNS13_IS18_E10value_typeET4_jRbjT5_S1E_jjP12ihipStream_tbEUljE_ZNSN_ISO_Lb1ESQ_SR_ST_SU_SY_EESZ_S10_S11_S12_S16_S17_S18_S1B_S1C_jS1D_jS1E_S1E_jjS1G_bEUljE0_EEESZ_S10_S11_S18_S1C_S1E_T6_T7_T9_mT8_S1G_bDpT10_ENKUlT_T0_E_clISt17integral_constantIbLb0EES1T_IbLb1EEEEDaS1P_S1Q_EUlS1P_E_NS1_11comp_targetILNS1_3genE9ELNS1_11target_archE1100ELNS1_3gpuE3ELNS1_3repE0EEENS1_30default_config_static_selectorELNS0_4arch9wavefront6targetE1EEEvS12_
                                        ; -- End function
	.set _ZN7rocprim17ROCPRIM_400000_NS6detail17trampoline_kernelINS0_13select_configILj256ELj13ELNS0_17block_load_methodE3ELS4_3ELS4_3ELNS0_20block_scan_algorithmE0ELj4294967295EEENS1_25partition_config_selectorILNS1_17partition_subalgoE4EjNS0_10empty_typeEbEEZZNS1_14partition_implILS8_4ELb0ES6_15HIP_vector_typeIjLj2EENS0_17counting_iteratorIjlEEPS9_SG_NS0_5tupleIJPjSI_NS0_16reverse_iteratorISI_EEEEENSH_IJSG_SG_SG_EEES9_SI_JZNS1_25segmented_radix_sort_implINS0_14default_configELb1EPKdPdPKlPlN2at6native12_GLOBAL__N_18offset_tEEE10hipError_tPvRmT1_PNSt15iterator_traitsIS12_E10value_typeET2_T3_PNS13_IS18_E10value_typeET4_jRbjT5_S1E_jjP12ihipStream_tbEUljE_ZNSN_ISO_Lb1ESQ_SR_ST_SU_SY_EESZ_S10_S11_S12_S16_S17_S18_S1B_S1C_jS1D_jS1E_S1E_jjS1G_bEUljE0_EEESZ_S10_S11_S18_S1C_S1E_T6_T7_T9_mT8_S1G_bDpT10_ENKUlT_T0_E_clISt17integral_constantIbLb0EES1T_IbLb1EEEEDaS1P_S1Q_EUlS1P_E_NS1_11comp_targetILNS1_3genE9ELNS1_11target_archE1100ELNS1_3gpuE3ELNS1_3repE0EEENS1_30default_config_static_selectorELNS0_4arch9wavefront6targetE1EEEvS12_.num_vgpr, 0
	.set _ZN7rocprim17ROCPRIM_400000_NS6detail17trampoline_kernelINS0_13select_configILj256ELj13ELNS0_17block_load_methodE3ELS4_3ELS4_3ELNS0_20block_scan_algorithmE0ELj4294967295EEENS1_25partition_config_selectorILNS1_17partition_subalgoE4EjNS0_10empty_typeEbEEZZNS1_14partition_implILS8_4ELb0ES6_15HIP_vector_typeIjLj2EENS0_17counting_iteratorIjlEEPS9_SG_NS0_5tupleIJPjSI_NS0_16reverse_iteratorISI_EEEEENSH_IJSG_SG_SG_EEES9_SI_JZNS1_25segmented_radix_sort_implINS0_14default_configELb1EPKdPdPKlPlN2at6native12_GLOBAL__N_18offset_tEEE10hipError_tPvRmT1_PNSt15iterator_traitsIS12_E10value_typeET2_T3_PNS13_IS18_E10value_typeET4_jRbjT5_S1E_jjP12ihipStream_tbEUljE_ZNSN_ISO_Lb1ESQ_SR_ST_SU_SY_EESZ_S10_S11_S12_S16_S17_S18_S1B_S1C_jS1D_jS1E_S1E_jjS1G_bEUljE0_EEESZ_S10_S11_S18_S1C_S1E_T6_T7_T9_mT8_S1G_bDpT10_ENKUlT_T0_E_clISt17integral_constantIbLb0EES1T_IbLb1EEEEDaS1P_S1Q_EUlS1P_E_NS1_11comp_targetILNS1_3genE9ELNS1_11target_archE1100ELNS1_3gpuE3ELNS1_3repE0EEENS1_30default_config_static_selectorELNS0_4arch9wavefront6targetE1EEEvS12_.num_agpr, 0
	.set _ZN7rocprim17ROCPRIM_400000_NS6detail17trampoline_kernelINS0_13select_configILj256ELj13ELNS0_17block_load_methodE3ELS4_3ELS4_3ELNS0_20block_scan_algorithmE0ELj4294967295EEENS1_25partition_config_selectorILNS1_17partition_subalgoE4EjNS0_10empty_typeEbEEZZNS1_14partition_implILS8_4ELb0ES6_15HIP_vector_typeIjLj2EENS0_17counting_iteratorIjlEEPS9_SG_NS0_5tupleIJPjSI_NS0_16reverse_iteratorISI_EEEEENSH_IJSG_SG_SG_EEES9_SI_JZNS1_25segmented_radix_sort_implINS0_14default_configELb1EPKdPdPKlPlN2at6native12_GLOBAL__N_18offset_tEEE10hipError_tPvRmT1_PNSt15iterator_traitsIS12_E10value_typeET2_T3_PNS13_IS18_E10value_typeET4_jRbjT5_S1E_jjP12ihipStream_tbEUljE_ZNSN_ISO_Lb1ESQ_SR_ST_SU_SY_EESZ_S10_S11_S12_S16_S17_S18_S1B_S1C_jS1D_jS1E_S1E_jjS1G_bEUljE0_EEESZ_S10_S11_S18_S1C_S1E_T6_T7_T9_mT8_S1G_bDpT10_ENKUlT_T0_E_clISt17integral_constantIbLb0EES1T_IbLb1EEEEDaS1P_S1Q_EUlS1P_E_NS1_11comp_targetILNS1_3genE9ELNS1_11target_archE1100ELNS1_3gpuE3ELNS1_3repE0EEENS1_30default_config_static_selectorELNS0_4arch9wavefront6targetE1EEEvS12_.numbered_sgpr, 0
	.set _ZN7rocprim17ROCPRIM_400000_NS6detail17trampoline_kernelINS0_13select_configILj256ELj13ELNS0_17block_load_methodE3ELS4_3ELS4_3ELNS0_20block_scan_algorithmE0ELj4294967295EEENS1_25partition_config_selectorILNS1_17partition_subalgoE4EjNS0_10empty_typeEbEEZZNS1_14partition_implILS8_4ELb0ES6_15HIP_vector_typeIjLj2EENS0_17counting_iteratorIjlEEPS9_SG_NS0_5tupleIJPjSI_NS0_16reverse_iteratorISI_EEEEENSH_IJSG_SG_SG_EEES9_SI_JZNS1_25segmented_radix_sort_implINS0_14default_configELb1EPKdPdPKlPlN2at6native12_GLOBAL__N_18offset_tEEE10hipError_tPvRmT1_PNSt15iterator_traitsIS12_E10value_typeET2_T3_PNS13_IS18_E10value_typeET4_jRbjT5_S1E_jjP12ihipStream_tbEUljE_ZNSN_ISO_Lb1ESQ_SR_ST_SU_SY_EESZ_S10_S11_S12_S16_S17_S18_S1B_S1C_jS1D_jS1E_S1E_jjS1G_bEUljE0_EEESZ_S10_S11_S18_S1C_S1E_T6_T7_T9_mT8_S1G_bDpT10_ENKUlT_T0_E_clISt17integral_constantIbLb0EES1T_IbLb1EEEEDaS1P_S1Q_EUlS1P_E_NS1_11comp_targetILNS1_3genE9ELNS1_11target_archE1100ELNS1_3gpuE3ELNS1_3repE0EEENS1_30default_config_static_selectorELNS0_4arch9wavefront6targetE1EEEvS12_.num_named_barrier, 0
	.set _ZN7rocprim17ROCPRIM_400000_NS6detail17trampoline_kernelINS0_13select_configILj256ELj13ELNS0_17block_load_methodE3ELS4_3ELS4_3ELNS0_20block_scan_algorithmE0ELj4294967295EEENS1_25partition_config_selectorILNS1_17partition_subalgoE4EjNS0_10empty_typeEbEEZZNS1_14partition_implILS8_4ELb0ES6_15HIP_vector_typeIjLj2EENS0_17counting_iteratorIjlEEPS9_SG_NS0_5tupleIJPjSI_NS0_16reverse_iteratorISI_EEEEENSH_IJSG_SG_SG_EEES9_SI_JZNS1_25segmented_radix_sort_implINS0_14default_configELb1EPKdPdPKlPlN2at6native12_GLOBAL__N_18offset_tEEE10hipError_tPvRmT1_PNSt15iterator_traitsIS12_E10value_typeET2_T3_PNS13_IS18_E10value_typeET4_jRbjT5_S1E_jjP12ihipStream_tbEUljE_ZNSN_ISO_Lb1ESQ_SR_ST_SU_SY_EESZ_S10_S11_S12_S16_S17_S18_S1B_S1C_jS1D_jS1E_S1E_jjS1G_bEUljE0_EEESZ_S10_S11_S18_S1C_S1E_T6_T7_T9_mT8_S1G_bDpT10_ENKUlT_T0_E_clISt17integral_constantIbLb0EES1T_IbLb1EEEEDaS1P_S1Q_EUlS1P_E_NS1_11comp_targetILNS1_3genE9ELNS1_11target_archE1100ELNS1_3gpuE3ELNS1_3repE0EEENS1_30default_config_static_selectorELNS0_4arch9wavefront6targetE1EEEvS12_.private_seg_size, 0
	.set _ZN7rocprim17ROCPRIM_400000_NS6detail17trampoline_kernelINS0_13select_configILj256ELj13ELNS0_17block_load_methodE3ELS4_3ELS4_3ELNS0_20block_scan_algorithmE0ELj4294967295EEENS1_25partition_config_selectorILNS1_17partition_subalgoE4EjNS0_10empty_typeEbEEZZNS1_14partition_implILS8_4ELb0ES6_15HIP_vector_typeIjLj2EENS0_17counting_iteratorIjlEEPS9_SG_NS0_5tupleIJPjSI_NS0_16reverse_iteratorISI_EEEEENSH_IJSG_SG_SG_EEES9_SI_JZNS1_25segmented_radix_sort_implINS0_14default_configELb1EPKdPdPKlPlN2at6native12_GLOBAL__N_18offset_tEEE10hipError_tPvRmT1_PNSt15iterator_traitsIS12_E10value_typeET2_T3_PNS13_IS18_E10value_typeET4_jRbjT5_S1E_jjP12ihipStream_tbEUljE_ZNSN_ISO_Lb1ESQ_SR_ST_SU_SY_EESZ_S10_S11_S12_S16_S17_S18_S1B_S1C_jS1D_jS1E_S1E_jjS1G_bEUljE0_EEESZ_S10_S11_S18_S1C_S1E_T6_T7_T9_mT8_S1G_bDpT10_ENKUlT_T0_E_clISt17integral_constantIbLb0EES1T_IbLb1EEEEDaS1P_S1Q_EUlS1P_E_NS1_11comp_targetILNS1_3genE9ELNS1_11target_archE1100ELNS1_3gpuE3ELNS1_3repE0EEENS1_30default_config_static_selectorELNS0_4arch9wavefront6targetE1EEEvS12_.uses_vcc, 0
	.set _ZN7rocprim17ROCPRIM_400000_NS6detail17trampoline_kernelINS0_13select_configILj256ELj13ELNS0_17block_load_methodE3ELS4_3ELS4_3ELNS0_20block_scan_algorithmE0ELj4294967295EEENS1_25partition_config_selectorILNS1_17partition_subalgoE4EjNS0_10empty_typeEbEEZZNS1_14partition_implILS8_4ELb0ES6_15HIP_vector_typeIjLj2EENS0_17counting_iteratorIjlEEPS9_SG_NS0_5tupleIJPjSI_NS0_16reverse_iteratorISI_EEEEENSH_IJSG_SG_SG_EEES9_SI_JZNS1_25segmented_radix_sort_implINS0_14default_configELb1EPKdPdPKlPlN2at6native12_GLOBAL__N_18offset_tEEE10hipError_tPvRmT1_PNSt15iterator_traitsIS12_E10value_typeET2_T3_PNS13_IS18_E10value_typeET4_jRbjT5_S1E_jjP12ihipStream_tbEUljE_ZNSN_ISO_Lb1ESQ_SR_ST_SU_SY_EESZ_S10_S11_S12_S16_S17_S18_S1B_S1C_jS1D_jS1E_S1E_jjS1G_bEUljE0_EEESZ_S10_S11_S18_S1C_S1E_T6_T7_T9_mT8_S1G_bDpT10_ENKUlT_T0_E_clISt17integral_constantIbLb0EES1T_IbLb1EEEEDaS1P_S1Q_EUlS1P_E_NS1_11comp_targetILNS1_3genE9ELNS1_11target_archE1100ELNS1_3gpuE3ELNS1_3repE0EEENS1_30default_config_static_selectorELNS0_4arch9wavefront6targetE1EEEvS12_.uses_flat_scratch, 0
	.set _ZN7rocprim17ROCPRIM_400000_NS6detail17trampoline_kernelINS0_13select_configILj256ELj13ELNS0_17block_load_methodE3ELS4_3ELS4_3ELNS0_20block_scan_algorithmE0ELj4294967295EEENS1_25partition_config_selectorILNS1_17partition_subalgoE4EjNS0_10empty_typeEbEEZZNS1_14partition_implILS8_4ELb0ES6_15HIP_vector_typeIjLj2EENS0_17counting_iteratorIjlEEPS9_SG_NS0_5tupleIJPjSI_NS0_16reverse_iteratorISI_EEEEENSH_IJSG_SG_SG_EEES9_SI_JZNS1_25segmented_radix_sort_implINS0_14default_configELb1EPKdPdPKlPlN2at6native12_GLOBAL__N_18offset_tEEE10hipError_tPvRmT1_PNSt15iterator_traitsIS12_E10value_typeET2_T3_PNS13_IS18_E10value_typeET4_jRbjT5_S1E_jjP12ihipStream_tbEUljE_ZNSN_ISO_Lb1ESQ_SR_ST_SU_SY_EESZ_S10_S11_S12_S16_S17_S18_S1B_S1C_jS1D_jS1E_S1E_jjS1G_bEUljE0_EEESZ_S10_S11_S18_S1C_S1E_T6_T7_T9_mT8_S1G_bDpT10_ENKUlT_T0_E_clISt17integral_constantIbLb0EES1T_IbLb1EEEEDaS1P_S1Q_EUlS1P_E_NS1_11comp_targetILNS1_3genE9ELNS1_11target_archE1100ELNS1_3gpuE3ELNS1_3repE0EEENS1_30default_config_static_selectorELNS0_4arch9wavefront6targetE1EEEvS12_.has_dyn_sized_stack, 0
	.set _ZN7rocprim17ROCPRIM_400000_NS6detail17trampoline_kernelINS0_13select_configILj256ELj13ELNS0_17block_load_methodE3ELS4_3ELS4_3ELNS0_20block_scan_algorithmE0ELj4294967295EEENS1_25partition_config_selectorILNS1_17partition_subalgoE4EjNS0_10empty_typeEbEEZZNS1_14partition_implILS8_4ELb0ES6_15HIP_vector_typeIjLj2EENS0_17counting_iteratorIjlEEPS9_SG_NS0_5tupleIJPjSI_NS0_16reverse_iteratorISI_EEEEENSH_IJSG_SG_SG_EEES9_SI_JZNS1_25segmented_radix_sort_implINS0_14default_configELb1EPKdPdPKlPlN2at6native12_GLOBAL__N_18offset_tEEE10hipError_tPvRmT1_PNSt15iterator_traitsIS12_E10value_typeET2_T3_PNS13_IS18_E10value_typeET4_jRbjT5_S1E_jjP12ihipStream_tbEUljE_ZNSN_ISO_Lb1ESQ_SR_ST_SU_SY_EESZ_S10_S11_S12_S16_S17_S18_S1B_S1C_jS1D_jS1E_S1E_jjS1G_bEUljE0_EEESZ_S10_S11_S18_S1C_S1E_T6_T7_T9_mT8_S1G_bDpT10_ENKUlT_T0_E_clISt17integral_constantIbLb0EES1T_IbLb1EEEEDaS1P_S1Q_EUlS1P_E_NS1_11comp_targetILNS1_3genE9ELNS1_11target_archE1100ELNS1_3gpuE3ELNS1_3repE0EEENS1_30default_config_static_selectorELNS0_4arch9wavefront6targetE1EEEvS12_.has_recursion, 0
	.set _ZN7rocprim17ROCPRIM_400000_NS6detail17trampoline_kernelINS0_13select_configILj256ELj13ELNS0_17block_load_methodE3ELS4_3ELS4_3ELNS0_20block_scan_algorithmE0ELj4294967295EEENS1_25partition_config_selectorILNS1_17partition_subalgoE4EjNS0_10empty_typeEbEEZZNS1_14partition_implILS8_4ELb0ES6_15HIP_vector_typeIjLj2EENS0_17counting_iteratorIjlEEPS9_SG_NS0_5tupleIJPjSI_NS0_16reverse_iteratorISI_EEEEENSH_IJSG_SG_SG_EEES9_SI_JZNS1_25segmented_radix_sort_implINS0_14default_configELb1EPKdPdPKlPlN2at6native12_GLOBAL__N_18offset_tEEE10hipError_tPvRmT1_PNSt15iterator_traitsIS12_E10value_typeET2_T3_PNS13_IS18_E10value_typeET4_jRbjT5_S1E_jjP12ihipStream_tbEUljE_ZNSN_ISO_Lb1ESQ_SR_ST_SU_SY_EESZ_S10_S11_S12_S16_S17_S18_S1B_S1C_jS1D_jS1E_S1E_jjS1G_bEUljE0_EEESZ_S10_S11_S18_S1C_S1E_T6_T7_T9_mT8_S1G_bDpT10_ENKUlT_T0_E_clISt17integral_constantIbLb0EES1T_IbLb1EEEEDaS1P_S1Q_EUlS1P_E_NS1_11comp_targetILNS1_3genE9ELNS1_11target_archE1100ELNS1_3gpuE3ELNS1_3repE0EEENS1_30default_config_static_selectorELNS0_4arch9wavefront6targetE1EEEvS12_.has_indirect_call, 0
	.section	.AMDGPU.csdata,"",@progbits
; Kernel info:
; codeLenInByte = 0
; TotalNumSgprs: 4
; NumVgprs: 0
; ScratchSize: 0
; MemoryBound: 0
; FloatMode: 240
; IeeeMode: 1
; LDSByteSize: 0 bytes/workgroup (compile time only)
; SGPRBlocks: 0
; VGPRBlocks: 0
; NumSGPRsForWavesPerEU: 4
; NumVGPRsForWavesPerEU: 1
; Occupancy: 10
; WaveLimiterHint : 0
; COMPUTE_PGM_RSRC2:SCRATCH_EN: 0
; COMPUTE_PGM_RSRC2:USER_SGPR: 6
; COMPUTE_PGM_RSRC2:TRAP_HANDLER: 0
; COMPUTE_PGM_RSRC2:TGID_X_EN: 1
; COMPUTE_PGM_RSRC2:TGID_Y_EN: 0
; COMPUTE_PGM_RSRC2:TGID_Z_EN: 0
; COMPUTE_PGM_RSRC2:TIDIG_COMP_CNT: 0
	.section	.text._ZN7rocprim17ROCPRIM_400000_NS6detail17trampoline_kernelINS0_13select_configILj256ELj13ELNS0_17block_load_methodE3ELS4_3ELS4_3ELNS0_20block_scan_algorithmE0ELj4294967295EEENS1_25partition_config_selectorILNS1_17partition_subalgoE4EjNS0_10empty_typeEbEEZZNS1_14partition_implILS8_4ELb0ES6_15HIP_vector_typeIjLj2EENS0_17counting_iteratorIjlEEPS9_SG_NS0_5tupleIJPjSI_NS0_16reverse_iteratorISI_EEEEENSH_IJSG_SG_SG_EEES9_SI_JZNS1_25segmented_radix_sort_implINS0_14default_configELb1EPKdPdPKlPlN2at6native12_GLOBAL__N_18offset_tEEE10hipError_tPvRmT1_PNSt15iterator_traitsIS12_E10value_typeET2_T3_PNS13_IS18_E10value_typeET4_jRbjT5_S1E_jjP12ihipStream_tbEUljE_ZNSN_ISO_Lb1ESQ_SR_ST_SU_SY_EESZ_S10_S11_S12_S16_S17_S18_S1B_S1C_jS1D_jS1E_S1E_jjS1G_bEUljE0_EEESZ_S10_S11_S18_S1C_S1E_T6_T7_T9_mT8_S1G_bDpT10_ENKUlT_T0_E_clISt17integral_constantIbLb0EES1T_IbLb1EEEEDaS1P_S1Q_EUlS1P_E_NS1_11comp_targetILNS1_3genE8ELNS1_11target_archE1030ELNS1_3gpuE2ELNS1_3repE0EEENS1_30default_config_static_selectorELNS0_4arch9wavefront6targetE1EEEvS12_,"axG",@progbits,_ZN7rocprim17ROCPRIM_400000_NS6detail17trampoline_kernelINS0_13select_configILj256ELj13ELNS0_17block_load_methodE3ELS4_3ELS4_3ELNS0_20block_scan_algorithmE0ELj4294967295EEENS1_25partition_config_selectorILNS1_17partition_subalgoE4EjNS0_10empty_typeEbEEZZNS1_14partition_implILS8_4ELb0ES6_15HIP_vector_typeIjLj2EENS0_17counting_iteratorIjlEEPS9_SG_NS0_5tupleIJPjSI_NS0_16reverse_iteratorISI_EEEEENSH_IJSG_SG_SG_EEES9_SI_JZNS1_25segmented_radix_sort_implINS0_14default_configELb1EPKdPdPKlPlN2at6native12_GLOBAL__N_18offset_tEEE10hipError_tPvRmT1_PNSt15iterator_traitsIS12_E10value_typeET2_T3_PNS13_IS18_E10value_typeET4_jRbjT5_S1E_jjP12ihipStream_tbEUljE_ZNSN_ISO_Lb1ESQ_SR_ST_SU_SY_EESZ_S10_S11_S12_S16_S17_S18_S1B_S1C_jS1D_jS1E_S1E_jjS1G_bEUljE0_EEESZ_S10_S11_S18_S1C_S1E_T6_T7_T9_mT8_S1G_bDpT10_ENKUlT_T0_E_clISt17integral_constantIbLb0EES1T_IbLb1EEEEDaS1P_S1Q_EUlS1P_E_NS1_11comp_targetILNS1_3genE8ELNS1_11target_archE1030ELNS1_3gpuE2ELNS1_3repE0EEENS1_30default_config_static_selectorELNS0_4arch9wavefront6targetE1EEEvS12_,comdat
	.globl	_ZN7rocprim17ROCPRIM_400000_NS6detail17trampoline_kernelINS0_13select_configILj256ELj13ELNS0_17block_load_methodE3ELS4_3ELS4_3ELNS0_20block_scan_algorithmE0ELj4294967295EEENS1_25partition_config_selectorILNS1_17partition_subalgoE4EjNS0_10empty_typeEbEEZZNS1_14partition_implILS8_4ELb0ES6_15HIP_vector_typeIjLj2EENS0_17counting_iteratorIjlEEPS9_SG_NS0_5tupleIJPjSI_NS0_16reverse_iteratorISI_EEEEENSH_IJSG_SG_SG_EEES9_SI_JZNS1_25segmented_radix_sort_implINS0_14default_configELb1EPKdPdPKlPlN2at6native12_GLOBAL__N_18offset_tEEE10hipError_tPvRmT1_PNSt15iterator_traitsIS12_E10value_typeET2_T3_PNS13_IS18_E10value_typeET4_jRbjT5_S1E_jjP12ihipStream_tbEUljE_ZNSN_ISO_Lb1ESQ_SR_ST_SU_SY_EESZ_S10_S11_S12_S16_S17_S18_S1B_S1C_jS1D_jS1E_S1E_jjS1G_bEUljE0_EEESZ_S10_S11_S18_S1C_S1E_T6_T7_T9_mT8_S1G_bDpT10_ENKUlT_T0_E_clISt17integral_constantIbLb0EES1T_IbLb1EEEEDaS1P_S1Q_EUlS1P_E_NS1_11comp_targetILNS1_3genE8ELNS1_11target_archE1030ELNS1_3gpuE2ELNS1_3repE0EEENS1_30default_config_static_selectorELNS0_4arch9wavefront6targetE1EEEvS12_ ; -- Begin function _ZN7rocprim17ROCPRIM_400000_NS6detail17trampoline_kernelINS0_13select_configILj256ELj13ELNS0_17block_load_methodE3ELS4_3ELS4_3ELNS0_20block_scan_algorithmE0ELj4294967295EEENS1_25partition_config_selectorILNS1_17partition_subalgoE4EjNS0_10empty_typeEbEEZZNS1_14partition_implILS8_4ELb0ES6_15HIP_vector_typeIjLj2EENS0_17counting_iteratorIjlEEPS9_SG_NS0_5tupleIJPjSI_NS0_16reverse_iteratorISI_EEEEENSH_IJSG_SG_SG_EEES9_SI_JZNS1_25segmented_radix_sort_implINS0_14default_configELb1EPKdPdPKlPlN2at6native12_GLOBAL__N_18offset_tEEE10hipError_tPvRmT1_PNSt15iterator_traitsIS12_E10value_typeET2_T3_PNS13_IS18_E10value_typeET4_jRbjT5_S1E_jjP12ihipStream_tbEUljE_ZNSN_ISO_Lb1ESQ_SR_ST_SU_SY_EESZ_S10_S11_S12_S16_S17_S18_S1B_S1C_jS1D_jS1E_S1E_jjS1G_bEUljE0_EEESZ_S10_S11_S18_S1C_S1E_T6_T7_T9_mT8_S1G_bDpT10_ENKUlT_T0_E_clISt17integral_constantIbLb0EES1T_IbLb1EEEEDaS1P_S1Q_EUlS1P_E_NS1_11comp_targetILNS1_3genE8ELNS1_11target_archE1030ELNS1_3gpuE2ELNS1_3repE0EEENS1_30default_config_static_selectorELNS0_4arch9wavefront6targetE1EEEvS12_
	.p2align	8
	.type	_ZN7rocprim17ROCPRIM_400000_NS6detail17trampoline_kernelINS0_13select_configILj256ELj13ELNS0_17block_load_methodE3ELS4_3ELS4_3ELNS0_20block_scan_algorithmE0ELj4294967295EEENS1_25partition_config_selectorILNS1_17partition_subalgoE4EjNS0_10empty_typeEbEEZZNS1_14partition_implILS8_4ELb0ES6_15HIP_vector_typeIjLj2EENS0_17counting_iteratorIjlEEPS9_SG_NS0_5tupleIJPjSI_NS0_16reverse_iteratorISI_EEEEENSH_IJSG_SG_SG_EEES9_SI_JZNS1_25segmented_radix_sort_implINS0_14default_configELb1EPKdPdPKlPlN2at6native12_GLOBAL__N_18offset_tEEE10hipError_tPvRmT1_PNSt15iterator_traitsIS12_E10value_typeET2_T3_PNS13_IS18_E10value_typeET4_jRbjT5_S1E_jjP12ihipStream_tbEUljE_ZNSN_ISO_Lb1ESQ_SR_ST_SU_SY_EESZ_S10_S11_S12_S16_S17_S18_S1B_S1C_jS1D_jS1E_S1E_jjS1G_bEUljE0_EEESZ_S10_S11_S18_S1C_S1E_T6_T7_T9_mT8_S1G_bDpT10_ENKUlT_T0_E_clISt17integral_constantIbLb0EES1T_IbLb1EEEEDaS1P_S1Q_EUlS1P_E_NS1_11comp_targetILNS1_3genE8ELNS1_11target_archE1030ELNS1_3gpuE2ELNS1_3repE0EEENS1_30default_config_static_selectorELNS0_4arch9wavefront6targetE1EEEvS12_,@function
_ZN7rocprim17ROCPRIM_400000_NS6detail17trampoline_kernelINS0_13select_configILj256ELj13ELNS0_17block_load_methodE3ELS4_3ELS4_3ELNS0_20block_scan_algorithmE0ELj4294967295EEENS1_25partition_config_selectorILNS1_17partition_subalgoE4EjNS0_10empty_typeEbEEZZNS1_14partition_implILS8_4ELb0ES6_15HIP_vector_typeIjLj2EENS0_17counting_iteratorIjlEEPS9_SG_NS0_5tupleIJPjSI_NS0_16reverse_iteratorISI_EEEEENSH_IJSG_SG_SG_EEES9_SI_JZNS1_25segmented_radix_sort_implINS0_14default_configELb1EPKdPdPKlPlN2at6native12_GLOBAL__N_18offset_tEEE10hipError_tPvRmT1_PNSt15iterator_traitsIS12_E10value_typeET2_T3_PNS13_IS18_E10value_typeET4_jRbjT5_S1E_jjP12ihipStream_tbEUljE_ZNSN_ISO_Lb1ESQ_SR_ST_SU_SY_EESZ_S10_S11_S12_S16_S17_S18_S1B_S1C_jS1D_jS1E_S1E_jjS1G_bEUljE0_EEESZ_S10_S11_S18_S1C_S1E_T6_T7_T9_mT8_S1G_bDpT10_ENKUlT_T0_E_clISt17integral_constantIbLb0EES1T_IbLb1EEEEDaS1P_S1Q_EUlS1P_E_NS1_11comp_targetILNS1_3genE8ELNS1_11target_archE1030ELNS1_3gpuE2ELNS1_3repE0EEENS1_30default_config_static_selectorELNS0_4arch9wavefront6targetE1EEEvS12_: ; @_ZN7rocprim17ROCPRIM_400000_NS6detail17trampoline_kernelINS0_13select_configILj256ELj13ELNS0_17block_load_methodE3ELS4_3ELS4_3ELNS0_20block_scan_algorithmE0ELj4294967295EEENS1_25partition_config_selectorILNS1_17partition_subalgoE4EjNS0_10empty_typeEbEEZZNS1_14partition_implILS8_4ELb0ES6_15HIP_vector_typeIjLj2EENS0_17counting_iteratorIjlEEPS9_SG_NS0_5tupleIJPjSI_NS0_16reverse_iteratorISI_EEEEENSH_IJSG_SG_SG_EEES9_SI_JZNS1_25segmented_radix_sort_implINS0_14default_configELb1EPKdPdPKlPlN2at6native12_GLOBAL__N_18offset_tEEE10hipError_tPvRmT1_PNSt15iterator_traitsIS12_E10value_typeET2_T3_PNS13_IS18_E10value_typeET4_jRbjT5_S1E_jjP12ihipStream_tbEUljE_ZNSN_ISO_Lb1ESQ_SR_ST_SU_SY_EESZ_S10_S11_S12_S16_S17_S18_S1B_S1C_jS1D_jS1E_S1E_jjS1G_bEUljE0_EEESZ_S10_S11_S18_S1C_S1E_T6_T7_T9_mT8_S1G_bDpT10_ENKUlT_T0_E_clISt17integral_constantIbLb0EES1T_IbLb1EEEEDaS1P_S1Q_EUlS1P_E_NS1_11comp_targetILNS1_3genE8ELNS1_11target_archE1030ELNS1_3gpuE2ELNS1_3repE0EEENS1_30default_config_static_selectorELNS0_4arch9wavefront6targetE1EEEvS12_
; %bb.0:
	.section	.rodata,"a",@progbits
	.p2align	6, 0x0
	.amdhsa_kernel _ZN7rocprim17ROCPRIM_400000_NS6detail17trampoline_kernelINS0_13select_configILj256ELj13ELNS0_17block_load_methodE3ELS4_3ELS4_3ELNS0_20block_scan_algorithmE0ELj4294967295EEENS1_25partition_config_selectorILNS1_17partition_subalgoE4EjNS0_10empty_typeEbEEZZNS1_14partition_implILS8_4ELb0ES6_15HIP_vector_typeIjLj2EENS0_17counting_iteratorIjlEEPS9_SG_NS0_5tupleIJPjSI_NS0_16reverse_iteratorISI_EEEEENSH_IJSG_SG_SG_EEES9_SI_JZNS1_25segmented_radix_sort_implINS0_14default_configELb1EPKdPdPKlPlN2at6native12_GLOBAL__N_18offset_tEEE10hipError_tPvRmT1_PNSt15iterator_traitsIS12_E10value_typeET2_T3_PNS13_IS18_E10value_typeET4_jRbjT5_S1E_jjP12ihipStream_tbEUljE_ZNSN_ISO_Lb1ESQ_SR_ST_SU_SY_EESZ_S10_S11_S12_S16_S17_S18_S1B_S1C_jS1D_jS1E_S1E_jjS1G_bEUljE0_EEESZ_S10_S11_S18_S1C_S1E_T6_T7_T9_mT8_S1G_bDpT10_ENKUlT_T0_E_clISt17integral_constantIbLb0EES1T_IbLb1EEEEDaS1P_S1Q_EUlS1P_E_NS1_11comp_targetILNS1_3genE8ELNS1_11target_archE1030ELNS1_3gpuE2ELNS1_3repE0EEENS1_30default_config_static_selectorELNS0_4arch9wavefront6targetE1EEEvS12_
		.amdhsa_group_segment_fixed_size 0
		.amdhsa_private_segment_fixed_size 0
		.amdhsa_kernarg_size 184
		.amdhsa_user_sgpr_count 6
		.amdhsa_user_sgpr_private_segment_buffer 1
		.amdhsa_user_sgpr_dispatch_ptr 0
		.amdhsa_user_sgpr_queue_ptr 0
		.amdhsa_user_sgpr_kernarg_segment_ptr 1
		.amdhsa_user_sgpr_dispatch_id 0
		.amdhsa_user_sgpr_flat_scratch_init 0
		.amdhsa_user_sgpr_private_segment_size 0
		.amdhsa_uses_dynamic_stack 0
		.amdhsa_system_sgpr_private_segment_wavefront_offset 0
		.amdhsa_system_sgpr_workgroup_id_x 1
		.amdhsa_system_sgpr_workgroup_id_y 0
		.amdhsa_system_sgpr_workgroup_id_z 0
		.amdhsa_system_sgpr_workgroup_info 0
		.amdhsa_system_vgpr_workitem_id 0
		.amdhsa_next_free_vgpr 1
		.amdhsa_next_free_sgpr 0
		.amdhsa_reserve_vcc 0
		.amdhsa_reserve_flat_scratch 0
		.amdhsa_float_round_mode_32 0
		.amdhsa_float_round_mode_16_64 0
		.amdhsa_float_denorm_mode_32 3
		.amdhsa_float_denorm_mode_16_64 3
		.amdhsa_dx10_clamp 1
		.amdhsa_ieee_mode 1
		.amdhsa_fp16_overflow 0
		.amdhsa_exception_fp_ieee_invalid_op 0
		.amdhsa_exception_fp_denorm_src 0
		.amdhsa_exception_fp_ieee_div_zero 0
		.amdhsa_exception_fp_ieee_overflow 0
		.amdhsa_exception_fp_ieee_underflow 0
		.amdhsa_exception_fp_ieee_inexact 0
		.amdhsa_exception_int_div_zero 0
	.end_amdhsa_kernel
	.section	.text._ZN7rocprim17ROCPRIM_400000_NS6detail17trampoline_kernelINS0_13select_configILj256ELj13ELNS0_17block_load_methodE3ELS4_3ELS4_3ELNS0_20block_scan_algorithmE0ELj4294967295EEENS1_25partition_config_selectorILNS1_17partition_subalgoE4EjNS0_10empty_typeEbEEZZNS1_14partition_implILS8_4ELb0ES6_15HIP_vector_typeIjLj2EENS0_17counting_iteratorIjlEEPS9_SG_NS0_5tupleIJPjSI_NS0_16reverse_iteratorISI_EEEEENSH_IJSG_SG_SG_EEES9_SI_JZNS1_25segmented_radix_sort_implINS0_14default_configELb1EPKdPdPKlPlN2at6native12_GLOBAL__N_18offset_tEEE10hipError_tPvRmT1_PNSt15iterator_traitsIS12_E10value_typeET2_T3_PNS13_IS18_E10value_typeET4_jRbjT5_S1E_jjP12ihipStream_tbEUljE_ZNSN_ISO_Lb1ESQ_SR_ST_SU_SY_EESZ_S10_S11_S12_S16_S17_S18_S1B_S1C_jS1D_jS1E_S1E_jjS1G_bEUljE0_EEESZ_S10_S11_S18_S1C_S1E_T6_T7_T9_mT8_S1G_bDpT10_ENKUlT_T0_E_clISt17integral_constantIbLb0EES1T_IbLb1EEEEDaS1P_S1Q_EUlS1P_E_NS1_11comp_targetILNS1_3genE8ELNS1_11target_archE1030ELNS1_3gpuE2ELNS1_3repE0EEENS1_30default_config_static_selectorELNS0_4arch9wavefront6targetE1EEEvS12_,"axG",@progbits,_ZN7rocprim17ROCPRIM_400000_NS6detail17trampoline_kernelINS0_13select_configILj256ELj13ELNS0_17block_load_methodE3ELS4_3ELS4_3ELNS0_20block_scan_algorithmE0ELj4294967295EEENS1_25partition_config_selectorILNS1_17partition_subalgoE4EjNS0_10empty_typeEbEEZZNS1_14partition_implILS8_4ELb0ES6_15HIP_vector_typeIjLj2EENS0_17counting_iteratorIjlEEPS9_SG_NS0_5tupleIJPjSI_NS0_16reverse_iteratorISI_EEEEENSH_IJSG_SG_SG_EEES9_SI_JZNS1_25segmented_radix_sort_implINS0_14default_configELb1EPKdPdPKlPlN2at6native12_GLOBAL__N_18offset_tEEE10hipError_tPvRmT1_PNSt15iterator_traitsIS12_E10value_typeET2_T3_PNS13_IS18_E10value_typeET4_jRbjT5_S1E_jjP12ihipStream_tbEUljE_ZNSN_ISO_Lb1ESQ_SR_ST_SU_SY_EESZ_S10_S11_S12_S16_S17_S18_S1B_S1C_jS1D_jS1E_S1E_jjS1G_bEUljE0_EEESZ_S10_S11_S18_S1C_S1E_T6_T7_T9_mT8_S1G_bDpT10_ENKUlT_T0_E_clISt17integral_constantIbLb0EES1T_IbLb1EEEEDaS1P_S1Q_EUlS1P_E_NS1_11comp_targetILNS1_3genE8ELNS1_11target_archE1030ELNS1_3gpuE2ELNS1_3repE0EEENS1_30default_config_static_selectorELNS0_4arch9wavefront6targetE1EEEvS12_,comdat
.Lfunc_end1085:
	.size	_ZN7rocprim17ROCPRIM_400000_NS6detail17trampoline_kernelINS0_13select_configILj256ELj13ELNS0_17block_load_methodE3ELS4_3ELS4_3ELNS0_20block_scan_algorithmE0ELj4294967295EEENS1_25partition_config_selectorILNS1_17partition_subalgoE4EjNS0_10empty_typeEbEEZZNS1_14partition_implILS8_4ELb0ES6_15HIP_vector_typeIjLj2EENS0_17counting_iteratorIjlEEPS9_SG_NS0_5tupleIJPjSI_NS0_16reverse_iteratorISI_EEEEENSH_IJSG_SG_SG_EEES9_SI_JZNS1_25segmented_radix_sort_implINS0_14default_configELb1EPKdPdPKlPlN2at6native12_GLOBAL__N_18offset_tEEE10hipError_tPvRmT1_PNSt15iterator_traitsIS12_E10value_typeET2_T3_PNS13_IS18_E10value_typeET4_jRbjT5_S1E_jjP12ihipStream_tbEUljE_ZNSN_ISO_Lb1ESQ_SR_ST_SU_SY_EESZ_S10_S11_S12_S16_S17_S18_S1B_S1C_jS1D_jS1E_S1E_jjS1G_bEUljE0_EEESZ_S10_S11_S18_S1C_S1E_T6_T7_T9_mT8_S1G_bDpT10_ENKUlT_T0_E_clISt17integral_constantIbLb0EES1T_IbLb1EEEEDaS1P_S1Q_EUlS1P_E_NS1_11comp_targetILNS1_3genE8ELNS1_11target_archE1030ELNS1_3gpuE2ELNS1_3repE0EEENS1_30default_config_static_selectorELNS0_4arch9wavefront6targetE1EEEvS12_, .Lfunc_end1085-_ZN7rocprim17ROCPRIM_400000_NS6detail17trampoline_kernelINS0_13select_configILj256ELj13ELNS0_17block_load_methodE3ELS4_3ELS4_3ELNS0_20block_scan_algorithmE0ELj4294967295EEENS1_25partition_config_selectorILNS1_17partition_subalgoE4EjNS0_10empty_typeEbEEZZNS1_14partition_implILS8_4ELb0ES6_15HIP_vector_typeIjLj2EENS0_17counting_iteratorIjlEEPS9_SG_NS0_5tupleIJPjSI_NS0_16reverse_iteratorISI_EEEEENSH_IJSG_SG_SG_EEES9_SI_JZNS1_25segmented_radix_sort_implINS0_14default_configELb1EPKdPdPKlPlN2at6native12_GLOBAL__N_18offset_tEEE10hipError_tPvRmT1_PNSt15iterator_traitsIS12_E10value_typeET2_T3_PNS13_IS18_E10value_typeET4_jRbjT5_S1E_jjP12ihipStream_tbEUljE_ZNSN_ISO_Lb1ESQ_SR_ST_SU_SY_EESZ_S10_S11_S12_S16_S17_S18_S1B_S1C_jS1D_jS1E_S1E_jjS1G_bEUljE0_EEESZ_S10_S11_S18_S1C_S1E_T6_T7_T9_mT8_S1G_bDpT10_ENKUlT_T0_E_clISt17integral_constantIbLb0EES1T_IbLb1EEEEDaS1P_S1Q_EUlS1P_E_NS1_11comp_targetILNS1_3genE8ELNS1_11target_archE1030ELNS1_3gpuE2ELNS1_3repE0EEENS1_30default_config_static_selectorELNS0_4arch9wavefront6targetE1EEEvS12_
                                        ; -- End function
	.set _ZN7rocprim17ROCPRIM_400000_NS6detail17trampoline_kernelINS0_13select_configILj256ELj13ELNS0_17block_load_methodE3ELS4_3ELS4_3ELNS0_20block_scan_algorithmE0ELj4294967295EEENS1_25partition_config_selectorILNS1_17partition_subalgoE4EjNS0_10empty_typeEbEEZZNS1_14partition_implILS8_4ELb0ES6_15HIP_vector_typeIjLj2EENS0_17counting_iteratorIjlEEPS9_SG_NS0_5tupleIJPjSI_NS0_16reverse_iteratorISI_EEEEENSH_IJSG_SG_SG_EEES9_SI_JZNS1_25segmented_radix_sort_implINS0_14default_configELb1EPKdPdPKlPlN2at6native12_GLOBAL__N_18offset_tEEE10hipError_tPvRmT1_PNSt15iterator_traitsIS12_E10value_typeET2_T3_PNS13_IS18_E10value_typeET4_jRbjT5_S1E_jjP12ihipStream_tbEUljE_ZNSN_ISO_Lb1ESQ_SR_ST_SU_SY_EESZ_S10_S11_S12_S16_S17_S18_S1B_S1C_jS1D_jS1E_S1E_jjS1G_bEUljE0_EEESZ_S10_S11_S18_S1C_S1E_T6_T7_T9_mT8_S1G_bDpT10_ENKUlT_T0_E_clISt17integral_constantIbLb0EES1T_IbLb1EEEEDaS1P_S1Q_EUlS1P_E_NS1_11comp_targetILNS1_3genE8ELNS1_11target_archE1030ELNS1_3gpuE2ELNS1_3repE0EEENS1_30default_config_static_selectorELNS0_4arch9wavefront6targetE1EEEvS12_.num_vgpr, 0
	.set _ZN7rocprim17ROCPRIM_400000_NS6detail17trampoline_kernelINS0_13select_configILj256ELj13ELNS0_17block_load_methodE3ELS4_3ELS4_3ELNS0_20block_scan_algorithmE0ELj4294967295EEENS1_25partition_config_selectorILNS1_17partition_subalgoE4EjNS0_10empty_typeEbEEZZNS1_14partition_implILS8_4ELb0ES6_15HIP_vector_typeIjLj2EENS0_17counting_iteratorIjlEEPS9_SG_NS0_5tupleIJPjSI_NS0_16reverse_iteratorISI_EEEEENSH_IJSG_SG_SG_EEES9_SI_JZNS1_25segmented_radix_sort_implINS0_14default_configELb1EPKdPdPKlPlN2at6native12_GLOBAL__N_18offset_tEEE10hipError_tPvRmT1_PNSt15iterator_traitsIS12_E10value_typeET2_T3_PNS13_IS18_E10value_typeET4_jRbjT5_S1E_jjP12ihipStream_tbEUljE_ZNSN_ISO_Lb1ESQ_SR_ST_SU_SY_EESZ_S10_S11_S12_S16_S17_S18_S1B_S1C_jS1D_jS1E_S1E_jjS1G_bEUljE0_EEESZ_S10_S11_S18_S1C_S1E_T6_T7_T9_mT8_S1G_bDpT10_ENKUlT_T0_E_clISt17integral_constantIbLb0EES1T_IbLb1EEEEDaS1P_S1Q_EUlS1P_E_NS1_11comp_targetILNS1_3genE8ELNS1_11target_archE1030ELNS1_3gpuE2ELNS1_3repE0EEENS1_30default_config_static_selectorELNS0_4arch9wavefront6targetE1EEEvS12_.num_agpr, 0
	.set _ZN7rocprim17ROCPRIM_400000_NS6detail17trampoline_kernelINS0_13select_configILj256ELj13ELNS0_17block_load_methodE3ELS4_3ELS4_3ELNS0_20block_scan_algorithmE0ELj4294967295EEENS1_25partition_config_selectorILNS1_17partition_subalgoE4EjNS0_10empty_typeEbEEZZNS1_14partition_implILS8_4ELb0ES6_15HIP_vector_typeIjLj2EENS0_17counting_iteratorIjlEEPS9_SG_NS0_5tupleIJPjSI_NS0_16reverse_iteratorISI_EEEEENSH_IJSG_SG_SG_EEES9_SI_JZNS1_25segmented_radix_sort_implINS0_14default_configELb1EPKdPdPKlPlN2at6native12_GLOBAL__N_18offset_tEEE10hipError_tPvRmT1_PNSt15iterator_traitsIS12_E10value_typeET2_T3_PNS13_IS18_E10value_typeET4_jRbjT5_S1E_jjP12ihipStream_tbEUljE_ZNSN_ISO_Lb1ESQ_SR_ST_SU_SY_EESZ_S10_S11_S12_S16_S17_S18_S1B_S1C_jS1D_jS1E_S1E_jjS1G_bEUljE0_EEESZ_S10_S11_S18_S1C_S1E_T6_T7_T9_mT8_S1G_bDpT10_ENKUlT_T0_E_clISt17integral_constantIbLb0EES1T_IbLb1EEEEDaS1P_S1Q_EUlS1P_E_NS1_11comp_targetILNS1_3genE8ELNS1_11target_archE1030ELNS1_3gpuE2ELNS1_3repE0EEENS1_30default_config_static_selectorELNS0_4arch9wavefront6targetE1EEEvS12_.numbered_sgpr, 0
	.set _ZN7rocprim17ROCPRIM_400000_NS6detail17trampoline_kernelINS0_13select_configILj256ELj13ELNS0_17block_load_methodE3ELS4_3ELS4_3ELNS0_20block_scan_algorithmE0ELj4294967295EEENS1_25partition_config_selectorILNS1_17partition_subalgoE4EjNS0_10empty_typeEbEEZZNS1_14partition_implILS8_4ELb0ES6_15HIP_vector_typeIjLj2EENS0_17counting_iteratorIjlEEPS9_SG_NS0_5tupleIJPjSI_NS0_16reverse_iteratorISI_EEEEENSH_IJSG_SG_SG_EEES9_SI_JZNS1_25segmented_radix_sort_implINS0_14default_configELb1EPKdPdPKlPlN2at6native12_GLOBAL__N_18offset_tEEE10hipError_tPvRmT1_PNSt15iterator_traitsIS12_E10value_typeET2_T3_PNS13_IS18_E10value_typeET4_jRbjT5_S1E_jjP12ihipStream_tbEUljE_ZNSN_ISO_Lb1ESQ_SR_ST_SU_SY_EESZ_S10_S11_S12_S16_S17_S18_S1B_S1C_jS1D_jS1E_S1E_jjS1G_bEUljE0_EEESZ_S10_S11_S18_S1C_S1E_T6_T7_T9_mT8_S1G_bDpT10_ENKUlT_T0_E_clISt17integral_constantIbLb0EES1T_IbLb1EEEEDaS1P_S1Q_EUlS1P_E_NS1_11comp_targetILNS1_3genE8ELNS1_11target_archE1030ELNS1_3gpuE2ELNS1_3repE0EEENS1_30default_config_static_selectorELNS0_4arch9wavefront6targetE1EEEvS12_.num_named_barrier, 0
	.set _ZN7rocprim17ROCPRIM_400000_NS6detail17trampoline_kernelINS0_13select_configILj256ELj13ELNS0_17block_load_methodE3ELS4_3ELS4_3ELNS0_20block_scan_algorithmE0ELj4294967295EEENS1_25partition_config_selectorILNS1_17partition_subalgoE4EjNS0_10empty_typeEbEEZZNS1_14partition_implILS8_4ELb0ES6_15HIP_vector_typeIjLj2EENS0_17counting_iteratorIjlEEPS9_SG_NS0_5tupleIJPjSI_NS0_16reverse_iteratorISI_EEEEENSH_IJSG_SG_SG_EEES9_SI_JZNS1_25segmented_radix_sort_implINS0_14default_configELb1EPKdPdPKlPlN2at6native12_GLOBAL__N_18offset_tEEE10hipError_tPvRmT1_PNSt15iterator_traitsIS12_E10value_typeET2_T3_PNS13_IS18_E10value_typeET4_jRbjT5_S1E_jjP12ihipStream_tbEUljE_ZNSN_ISO_Lb1ESQ_SR_ST_SU_SY_EESZ_S10_S11_S12_S16_S17_S18_S1B_S1C_jS1D_jS1E_S1E_jjS1G_bEUljE0_EEESZ_S10_S11_S18_S1C_S1E_T6_T7_T9_mT8_S1G_bDpT10_ENKUlT_T0_E_clISt17integral_constantIbLb0EES1T_IbLb1EEEEDaS1P_S1Q_EUlS1P_E_NS1_11comp_targetILNS1_3genE8ELNS1_11target_archE1030ELNS1_3gpuE2ELNS1_3repE0EEENS1_30default_config_static_selectorELNS0_4arch9wavefront6targetE1EEEvS12_.private_seg_size, 0
	.set _ZN7rocprim17ROCPRIM_400000_NS6detail17trampoline_kernelINS0_13select_configILj256ELj13ELNS0_17block_load_methodE3ELS4_3ELS4_3ELNS0_20block_scan_algorithmE0ELj4294967295EEENS1_25partition_config_selectorILNS1_17partition_subalgoE4EjNS0_10empty_typeEbEEZZNS1_14partition_implILS8_4ELb0ES6_15HIP_vector_typeIjLj2EENS0_17counting_iteratorIjlEEPS9_SG_NS0_5tupleIJPjSI_NS0_16reverse_iteratorISI_EEEEENSH_IJSG_SG_SG_EEES9_SI_JZNS1_25segmented_radix_sort_implINS0_14default_configELb1EPKdPdPKlPlN2at6native12_GLOBAL__N_18offset_tEEE10hipError_tPvRmT1_PNSt15iterator_traitsIS12_E10value_typeET2_T3_PNS13_IS18_E10value_typeET4_jRbjT5_S1E_jjP12ihipStream_tbEUljE_ZNSN_ISO_Lb1ESQ_SR_ST_SU_SY_EESZ_S10_S11_S12_S16_S17_S18_S1B_S1C_jS1D_jS1E_S1E_jjS1G_bEUljE0_EEESZ_S10_S11_S18_S1C_S1E_T6_T7_T9_mT8_S1G_bDpT10_ENKUlT_T0_E_clISt17integral_constantIbLb0EES1T_IbLb1EEEEDaS1P_S1Q_EUlS1P_E_NS1_11comp_targetILNS1_3genE8ELNS1_11target_archE1030ELNS1_3gpuE2ELNS1_3repE0EEENS1_30default_config_static_selectorELNS0_4arch9wavefront6targetE1EEEvS12_.uses_vcc, 0
	.set _ZN7rocprim17ROCPRIM_400000_NS6detail17trampoline_kernelINS0_13select_configILj256ELj13ELNS0_17block_load_methodE3ELS4_3ELS4_3ELNS0_20block_scan_algorithmE0ELj4294967295EEENS1_25partition_config_selectorILNS1_17partition_subalgoE4EjNS0_10empty_typeEbEEZZNS1_14partition_implILS8_4ELb0ES6_15HIP_vector_typeIjLj2EENS0_17counting_iteratorIjlEEPS9_SG_NS0_5tupleIJPjSI_NS0_16reverse_iteratorISI_EEEEENSH_IJSG_SG_SG_EEES9_SI_JZNS1_25segmented_radix_sort_implINS0_14default_configELb1EPKdPdPKlPlN2at6native12_GLOBAL__N_18offset_tEEE10hipError_tPvRmT1_PNSt15iterator_traitsIS12_E10value_typeET2_T3_PNS13_IS18_E10value_typeET4_jRbjT5_S1E_jjP12ihipStream_tbEUljE_ZNSN_ISO_Lb1ESQ_SR_ST_SU_SY_EESZ_S10_S11_S12_S16_S17_S18_S1B_S1C_jS1D_jS1E_S1E_jjS1G_bEUljE0_EEESZ_S10_S11_S18_S1C_S1E_T6_T7_T9_mT8_S1G_bDpT10_ENKUlT_T0_E_clISt17integral_constantIbLb0EES1T_IbLb1EEEEDaS1P_S1Q_EUlS1P_E_NS1_11comp_targetILNS1_3genE8ELNS1_11target_archE1030ELNS1_3gpuE2ELNS1_3repE0EEENS1_30default_config_static_selectorELNS0_4arch9wavefront6targetE1EEEvS12_.uses_flat_scratch, 0
	.set _ZN7rocprim17ROCPRIM_400000_NS6detail17trampoline_kernelINS0_13select_configILj256ELj13ELNS0_17block_load_methodE3ELS4_3ELS4_3ELNS0_20block_scan_algorithmE0ELj4294967295EEENS1_25partition_config_selectorILNS1_17partition_subalgoE4EjNS0_10empty_typeEbEEZZNS1_14partition_implILS8_4ELb0ES6_15HIP_vector_typeIjLj2EENS0_17counting_iteratorIjlEEPS9_SG_NS0_5tupleIJPjSI_NS0_16reverse_iteratorISI_EEEEENSH_IJSG_SG_SG_EEES9_SI_JZNS1_25segmented_radix_sort_implINS0_14default_configELb1EPKdPdPKlPlN2at6native12_GLOBAL__N_18offset_tEEE10hipError_tPvRmT1_PNSt15iterator_traitsIS12_E10value_typeET2_T3_PNS13_IS18_E10value_typeET4_jRbjT5_S1E_jjP12ihipStream_tbEUljE_ZNSN_ISO_Lb1ESQ_SR_ST_SU_SY_EESZ_S10_S11_S12_S16_S17_S18_S1B_S1C_jS1D_jS1E_S1E_jjS1G_bEUljE0_EEESZ_S10_S11_S18_S1C_S1E_T6_T7_T9_mT8_S1G_bDpT10_ENKUlT_T0_E_clISt17integral_constantIbLb0EES1T_IbLb1EEEEDaS1P_S1Q_EUlS1P_E_NS1_11comp_targetILNS1_3genE8ELNS1_11target_archE1030ELNS1_3gpuE2ELNS1_3repE0EEENS1_30default_config_static_selectorELNS0_4arch9wavefront6targetE1EEEvS12_.has_dyn_sized_stack, 0
	.set _ZN7rocprim17ROCPRIM_400000_NS6detail17trampoline_kernelINS0_13select_configILj256ELj13ELNS0_17block_load_methodE3ELS4_3ELS4_3ELNS0_20block_scan_algorithmE0ELj4294967295EEENS1_25partition_config_selectorILNS1_17partition_subalgoE4EjNS0_10empty_typeEbEEZZNS1_14partition_implILS8_4ELb0ES6_15HIP_vector_typeIjLj2EENS0_17counting_iteratorIjlEEPS9_SG_NS0_5tupleIJPjSI_NS0_16reverse_iteratorISI_EEEEENSH_IJSG_SG_SG_EEES9_SI_JZNS1_25segmented_radix_sort_implINS0_14default_configELb1EPKdPdPKlPlN2at6native12_GLOBAL__N_18offset_tEEE10hipError_tPvRmT1_PNSt15iterator_traitsIS12_E10value_typeET2_T3_PNS13_IS18_E10value_typeET4_jRbjT5_S1E_jjP12ihipStream_tbEUljE_ZNSN_ISO_Lb1ESQ_SR_ST_SU_SY_EESZ_S10_S11_S12_S16_S17_S18_S1B_S1C_jS1D_jS1E_S1E_jjS1G_bEUljE0_EEESZ_S10_S11_S18_S1C_S1E_T6_T7_T9_mT8_S1G_bDpT10_ENKUlT_T0_E_clISt17integral_constantIbLb0EES1T_IbLb1EEEEDaS1P_S1Q_EUlS1P_E_NS1_11comp_targetILNS1_3genE8ELNS1_11target_archE1030ELNS1_3gpuE2ELNS1_3repE0EEENS1_30default_config_static_selectorELNS0_4arch9wavefront6targetE1EEEvS12_.has_recursion, 0
	.set _ZN7rocprim17ROCPRIM_400000_NS6detail17trampoline_kernelINS0_13select_configILj256ELj13ELNS0_17block_load_methodE3ELS4_3ELS4_3ELNS0_20block_scan_algorithmE0ELj4294967295EEENS1_25partition_config_selectorILNS1_17partition_subalgoE4EjNS0_10empty_typeEbEEZZNS1_14partition_implILS8_4ELb0ES6_15HIP_vector_typeIjLj2EENS0_17counting_iteratorIjlEEPS9_SG_NS0_5tupleIJPjSI_NS0_16reverse_iteratorISI_EEEEENSH_IJSG_SG_SG_EEES9_SI_JZNS1_25segmented_radix_sort_implINS0_14default_configELb1EPKdPdPKlPlN2at6native12_GLOBAL__N_18offset_tEEE10hipError_tPvRmT1_PNSt15iterator_traitsIS12_E10value_typeET2_T3_PNS13_IS18_E10value_typeET4_jRbjT5_S1E_jjP12ihipStream_tbEUljE_ZNSN_ISO_Lb1ESQ_SR_ST_SU_SY_EESZ_S10_S11_S12_S16_S17_S18_S1B_S1C_jS1D_jS1E_S1E_jjS1G_bEUljE0_EEESZ_S10_S11_S18_S1C_S1E_T6_T7_T9_mT8_S1G_bDpT10_ENKUlT_T0_E_clISt17integral_constantIbLb0EES1T_IbLb1EEEEDaS1P_S1Q_EUlS1P_E_NS1_11comp_targetILNS1_3genE8ELNS1_11target_archE1030ELNS1_3gpuE2ELNS1_3repE0EEENS1_30default_config_static_selectorELNS0_4arch9wavefront6targetE1EEEvS12_.has_indirect_call, 0
	.section	.AMDGPU.csdata,"",@progbits
; Kernel info:
; codeLenInByte = 0
; TotalNumSgprs: 4
; NumVgprs: 0
; ScratchSize: 0
; MemoryBound: 0
; FloatMode: 240
; IeeeMode: 1
; LDSByteSize: 0 bytes/workgroup (compile time only)
; SGPRBlocks: 0
; VGPRBlocks: 0
; NumSGPRsForWavesPerEU: 4
; NumVGPRsForWavesPerEU: 1
; Occupancy: 10
; WaveLimiterHint : 0
; COMPUTE_PGM_RSRC2:SCRATCH_EN: 0
; COMPUTE_PGM_RSRC2:USER_SGPR: 6
; COMPUTE_PGM_RSRC2:TRAP_HANDLER: 0
; COMPUTE_PGM_RSRC2:TGID_X_EN: 1
; COMPUTE_PGM_RSRC2:TGID_Y_EN: 0
; COMPUTE_PGM_RSRC2:TGID_Z_EN: 0
; COMPUTE_PGM_RSRC2:TIDIG_COMP_CNT: 0
	.section	.text._ZN7rocprim17ROCPRIM_400000_NS6detail17trampoline_kernelINS0_13select_configILj256ELj13ELNS0_17block_load_methodE3ELS4_3ELS4_3ELNS0_20block_scan_algorithmE0ELj4294967295EEENS1_25partition_config_selectorILNS1_17partition_subalgoE3EjNS0_10empty_typeEbEEZZNS1_14partition_implILS8_3ELb0ES6_jNS0_17counting_iteratorIjlEEPS9_SE_NS0_5tupleIJPjSE_EEENSF_IJSE_SE_EEES9_SG_JZNS1_25segmented_radix_sort_implINS0_14default_configELb1EPKdPdPKlPlN2at6native12_GLOBAL__N_18offset_tEEE10hipError_tPvRmT1_PNSt15iterator_traitsISY_E10value_typeET2_T3_PNSZ_IS14_E10value_typeET4_jRbjT5_S1A_jjP12ihipStream_tbEUljE_EEESV_SW_SX_S14_S18_S1A_T6_T7_T9_mT8_S1C_bDpT10_ENKUlT_T0_E_clISt17integral_constantIbLb0EES1P_EEDaS1K_S1L_EUlS1K_E_NS1_11comp_targetILNS1_3genE0ELNS1_11target_archE4294967295ELNS1_3gpuE0ELNS1_3repE0EEENS1_30default_config_static_selectorELNS0_4arch9wavefront6targetE1EEEvSY_,"axG",@progbits,_ZN7rocprim17ROCPRIM_400000_NS6detail17trampoline_kernelINS0_13select_configILj256ELj13ELNS0_17block_load_methodE3ELS4_3ELS4_3ELNS0_20block_scan_algorithmE0ELj4294967295EEENS1_25partition_config_selectorILNS1_17partition_subalgoE3EjNS0_10empty_typeEbEEZZNS1_14partition_implILS8_3ELb0ES6_jNS0_17counting_iteratorIjlEEPS9_SE_NS0_5tupleIJPjSE_EEENSF_IJSE_SE_EEES9_SG_JZNS1_25segmented_radix_sort_implINS0_14default_configELb1EPKdPdPKlPlN2at6native12_GLOBAL__N_18offset_tEEE10hipError_tPvRmT1_PNSt15iterator_traitsISY_E10value_typeET2_T3_PNSZ_IS14_E10value_typeET4_jRbjT5_S1A_jjP12ihipStream_tbEUljE_EEESV_SW_SX_S14_S18_S1A_T6_T7_T9_mT8_S1C_bDpT10_ENKUlT_T0_E_clISt17integral_constantIbLb0EES1P_EEDaS1K_S1L_EUlS1K_E_NS1_11comp_targetILNS1_3genE0ELNS1_11target_archE4294967295ELNS1_3gpuE0ELNS1_3repE0EEENS1_30default_config_static_selectorELNS0_4arch9wavefront6targetE1EEEvSY_,comdat
	.globl	_ZN7rocprim17ROCPRIM_400000_NS6detail17trampoline_kernelINS0_13select_configILj256ELj13ELNS0_17block_load_methodE3ELS4_3ELS4_3ELNS0_20block_scan_algorithmE0ELj4294967295EEENS1_25partition_config_selectorILNS1_17partition_subalgoE3EjNS0_10empty_typeEbEEZZNS1_14partition_implILS8_3ELb0ES6_jNS0_17counting_iteratorIjlEEPS9_SE_NS0_5tupleIJPjSE_EEENSF_IJSE_SE_EEES9_SG_JZNS1_25segmented_radix_sort_implINS0_14default_configELb1EPKdPdPKlPlN2at6native12_GLOBAL__N_18offset_tEEE10hipError_tPvRmT1_PNSt15iterator_traitsISY_E10value_typeET2_T3_PNSZ_IS14_E10value_typeET4_jRbjT5_S1A_jjP12ihipStream_tbEUljE_EEESV_SW_SX_S14_S18_S1A_T6_T7_T9_mT8_S1C_bDpT10_ENKUlT_T0_E_clISt17integral_constantIbLb0EES1P_EEDaS1K_S1L_EUlS1K_E_NS1_11comp_targetILNS1_3genE0ELNS1_11target_archE4294967295ELNS1_3gpuE0ELNS1_3repE0EEENS1_30default_config_static_selectorELNS0_4arch9wavefront6targetE1EEEvSY_ ; -- Begin function _ZN7rocprim17ROCPRIM_400000_NS6detail17trampoline_kernelINS0_13select_configILj256ELj13ELNS0_17block_load_methodE3ELS4_3ELS4_3ELNS0_20block_scan_algorithmE0ELj4294967295EEENS1_25partition_config_selectorILNS1_17partition_subalgoE3EjNS0_10empty_typeEbEEZZNS1_14partition_implILS8_3ELb0ES6_jNS0_17counting_iteratorIjlEEPS9_SE_NS0_5tupleIJPjSE_EEENSF_IJSE_SE_EEES9_SG_JZNS1_25segmented_radix_sort_implINS0_14default_configELb1EPKdPdPKlPlN2at6native12_GLOBAL__N_18offset_tEEE10hipError_tPvRmT1_PNSt15iterator_traitsISY_E10value_typeET2_T3_PNSZ_IS14_E10value_typeET4_jRbjT5_S1A_jjP12ihipStream_tbEUljE_EEESV_SW_SX_S14_S18_S1A_T6_T7_T9_mT8_S1C_bDpT10_ENKUlT_T0_E_clISt17integral_constantIbLb0EES1P_EEDaS1K_S1L_EUlS1K_E_NS1_11comp_targetILNS1_3genE0ELNS1_11target_archE4294967295ELNS1_3gpuE0ELNS1_3repE0EEENS1_30default_config_static_selectorELNS0_4arch9wavefront6targetE1EEEvSY_
	.p2align	8
	.type	_ZN7rocprim17ROCPRIM_400000_NS6detail17trampoline_kernelINS0_13select_configILj256ELj13ELNS0_17block_load_methodE3ELS4_3ELS4_3ELNS0_20block_scan_algorithmE0ELj4294967295EEENS1_25partition_config_selectorILNS1_17partition_subalgoE3EjNS0_10empty_typeEbEEZZNS1_14partition_implILS8_3ELb0ES6_jNS0_17counting_iteratorIjlEEPS9_SE_NS0_5tupleIJPjSE_EEENSF_IJSE_SE_EEES9_SG_JZNS1_25segmented_radix_sort_implINS0_14default_configELb1EPKdPdPKlPlN2at6native12_GLOBAL__N_18offset_tEEE10hipError_tPvRmT1_PNSt15iterator_traitsISY_E10value_typeET2_T3_PNSZ_IS14_E10value_typeET4_jRbjT5_S1A_jjP12ihipStream_tbEUljE_EEESV_SW_SX_S14_S18_S1A_T6_T7_T9_mT8_S1C_bDpT10_ENKUlT_T0_E_clISt17integral_constantIbLb0EES1P_EEDaS1K_S1L_EUlS1K_E_NS1_11comp_targetILNS1_3genE0ELNS1_11target_archE4294967295ELNS1_3gpuE0ELNS1_3repE0EEENS1_30default_config_static_selectorELNS0_4arch9wavefront6targetE1EEEvSY_,@function
_ZN7rocprim17ROCPRIM_400000_NS6detail17trampoline_kernelINS0_13select_configILj256ELj13ELNS0_17block_load_methodE3ELS4_3ELS4_3ELNS0_20block_scan_algorithmE0ELj4294967295EEENS1_25partition_config_selectorILNS1_17partition_subalgoE3EjNS0_10empty_typeEbEEZZNS1_14partition_implILS8_3ELb0ES6_jNS0_17counting_iteratorIjlEEPS9_SE_NS0_5tupleIJPjSE_EEENSF_IJSE_SE_EEES9_SG_JZNS1_25segmented_radix_sort_implINS0_14default_configELb1EPKdPdPKlPlN2at6native12_GLOBAL__N_18offset_tEEE10hipError_tPvRmT1_PNSt15iterator_traitsISY_E10value_typeET2_T3_PNSZ_IS14_E10value_typeET4_jRbjT5_S1A_jjP12ihipStream_tbEUljE_EEESV_SW_SX_S14_S18_S1A_T6_T7_T9_mT8_S1C_bDpT10_ENKUlT_T0_E_clISt17integral_constantIbLb0EES1P_EEDaS1K_S1L_EUlS1K_E_NS1_11comp_targetILNS1_3genE0ELNS1_11target_archE4294967295ELNS1_3gpuE0ELNS1_3repE0EEENS1_30default_config_static_selectorELNS0_4arch9wavefront6targetE1EEEvSY_: ; @_ZN7rocprim17ROCPRIM_400000_NS6detail17trampoline_kernelINS0_13select_configILj256ELj13ELNS0_17block_load_methodE3ELS4_3ELS4_3ELNS0_20block_scan_algorithmE0ELj4294967295EEENS1_25partition_config_selectorILNS1_17partition_subalgoE3EjNS0_10empty_typeEbEEZZNS1_14partition_implILS8_3ELb0ES6_jNS0_17counting_iteratorIjlEEPS9_SE_NS0_5tupleIJPjSE_EEENSF_IJSE_SE_EEES9_SG_JZNS1_25segmented_radix_sort_implINS0_14default_configELb1EPKdPdPKlPlN2at6native12_GLOBAL__N_18offset_tEEE10hipError_tPvRmT1_PNSt15iterator_traitsISY_E10value_typeET2_T3_PNSZ_IS14_E10value_typeET4_jRbjT5_S1A_jjP12ihipStream_tbEUljE_EEESV_SW_SX_S14_S18_S1A_T6_T7_T9_mT8_S1C_bDpT10_ENKUlT_T0_E_clISt17integral_constantIbLb0EES1P_EEDaS1K_S1L_EUlS1K_E_NS1_11comp_targetILNS1_3genE0ELNS1_11target_archE4294967295ELNS1_3gpuE0ELNS1_3repE0EEENS1_30default_config_static_selectorELNS0_4arch9wavefront6targetE1EEEvSY_
; %bb.0:
	.section	.rodata,"a",@progbits
	.p2align	6, 0x0
	.amdhsa_kernel _ZN7rocprim17ROCPRIM_400000_NS6detail17trampoline_kernelINS0_13select_configILj256ELj13ELNS0_17block_load_methodE3ELS4_3ELS4_3ELNS0_20block_scan_algorithmE0ELj4294967295EEENS1_25partition_config_selectorILNS1_17partition_subalgoE3EjNS0_10empty_typeEbEEZZNS1_14partition_implILS8_3ELb0ES6_jNS0_17counting_iteratorIjlEEPS9_SE_NS0_5tupleIJPjSE_EEENSF_IJSE_SE_EEES9_SG_JZNS1_25segmented_radix_sort_implINS0_14default_configELb1EPKdPdPKlPlN2at6native12_GLOBAL__N_18offset_tEEE10hipError_tPvRmT1_PNSt15iterator_traitsISY_E10value_typeET2_T3_PNSZ_IS14_E10value_typeET4_jRbjT5_S1A_jjP12ihipStream_tbEUljE_EEESV_SW_SX_S14_S18_S1A_T6_T7_T9_mT8_S1C_bDpT10_ENKUlT_T0_E_clISt17integral_constantIbLb0EES1P_EEDaS1K_S1L_EUlS1K_E_NS1_11comp_targetILNS1_3genE0ELNS1_11target_archE4294967295ELNS1_3gpuE0ELNS1_3repE0EEENS1_30default_config_static_selectorELNS0_4arch9wavefront6targetE1EEEvSY_
		.amdhsa_group_segment_fixed_size 0
		.amdhsa_private_segment_fixed_size 0
		.amdhsa_kernarg_size 144
		.amdhsa_user_sgpr_count 6
		.amdhsa_user_sgpr_private_segment_buffer 1
		.amdhsa_user_sgpr_dispatch_ptr 0
		.amdhsa_user_sgpr_queue_ptr 0
		.amdhsa_user_sgpr_kernarg_segment_ptr 1
		.amdhsa_user_sgpr_dispatch_id 0
		.amdhsa_user_sgpr_flat_scratch_init 0
		.amdhsa_user_sgpr_private_segment_size 0
		.amdhsa_uses_dynamic_stack 0
		.amdhsa_system_sgpr_private_segment_wavefront_offset 0
		.amdhsa_system_sgpr_workgroup_id_x 1
		.amdhsa_system_sgpr_workgroup_id_y 0
		.amdhsa_system_sgpr_workgroup_id_z 0
		.amdhsa_system_sgpr_workgroup_info 0
		.amdhsa_system_vgpr_workitem_id 0
		.amdhsa_next_free_vgpr 1
		.amdhsa_next_free_sgpr 0
		.amdhsa_reserve_vcc 0
		.amdhsa_reserve_flat_scratch 0
		.amdhsa_float_round_mode_32 0
		.amdhsa_float_round_mode_16_64 0
		.amdhsa_float_denorm_mode_32 3
		.amdhsa_float_denorm_mode_16_64 3
		.amdhsa_dx10_clamp 1
		.amdhsa_ieee_mode 1
		.amdhsa_fp16_overflow 0
		.amdhsa_exception_fp_ieee_invalid_op 0
		.amdhsa_exception_fp_denorm_src 0
		.amdhsa_exception_fp_ieee_div_zero 0
		.amdhsa_exception_fp_ieee_overflow 0
		.amdhsa_exception_fp_ieee_underflow 0
		.amdhsa_exception_fp_ieee_inexact 0
		.amdhsa_exception_int_div_zero 0
	.end_amdhsa_kernel
	.section	.text._ZN7rocprim17ROCPRIM_400000_NS6detail17trampoline_kernelINS0_13select_configILj256ELj13ELNS0_17block_load_methodE3ELS4_3ELS4_3ELNS0_20block_scan_algorithmE0ELj4294967295EEENS1_25partition_config_selectorILNS1_17partition_subalgoE3EjNS0_10empty_typeEbEEZZNS1_14partition_implILS8_3ELb0ES6_jNS0_17counting_iteratorIjlEEPS9_SE_NS0_5tupleIJPjSE_EEENSF_IJSE_SE_EEES9_SG_JZNS1_25segmented_radix_sort_implINS0_14default_configELb1EPKdPdPKlPlN2at6native12_GLOBAL__N_18offset_tEEE10hipError_tPvRmT1_PNSt15iterator_traitsISY_E10value_typeET2_T3_PNSZ_IS14_E10value_typeET4_jRbjT5_S1A_jjP12ihipStream_tbEUljE_EEESV_SW_SX_S14_S18_S1A_T6_T7_T9_mT8_S1C_bDpT10_ENKUlT_T0_E_clISt17integral_constantIbLb0EES1P_EEDaS1K_S1L_EUlS1K_E_NS1_11comp_targetILNS1_3genE0ELNS1_11target_archE4294967295ELNS1_3gpuE0ELNS1_3repE0EEENS1_30default_config_static_selectorELNS0_4arch9wavefront6targetE1EEEvSY_,"axG",@progbits,_ZN7rocprim17ROCPRIM_400000_NS6detail17trampoline_kernelINS0_13select_configILj256ELj13ELNS0_17block_load_methodE3ELS4_3ELS4_3ELNS0_20block_scan_algorithmE0ELj4294967295EEENS1_25partition_config_selectorILNS1_17partition_subalgoE3EjNS0_10empty_typeEbEEZZNS1_14partition_implILS8_3ELb0ES6_jNS0_17counting_iteratorIjlEEPS9_SE_NS0_5tupleIJPjSE_EEENSF_IJSE_SE_EEES9_SG_JZNS1_25segmented_radix_sort_implINS0_14default_configELb1EPKdPdPKlPlN2at6native12_GLOBAL__N_18offset_tEEE10hipError_tPvRmT1_PNSt15iterator_traitsISY_E10value_typeET2_T3_PNSZ_IS14_E10value_typeET4_jRbjT5_S1A_jjP12ihipStream_tbEUljE_EEESV_SW_SX_S14_S18_S1A_T6_T7_T9_mT8_S1C_bDpT10_ENKUlT_T0_E_clISt17integral_constantIbLb0EES1P_EEDaS1K_S1L_EUlS1K_E_NS1_11comp_targetILNS1_3genE0ELNS1_11target_archE4294967295ELNS1_3gpuE0ELNS1_3repE0EEENS1_30default_config_static_selectorELNS0_4arch9wavefront6targetE1EEEvSY_,comdat
.Lfunc_end1086:
	.size	_ZN7rocprim17ROCPRIM_400000_NS6detail17trampoline_kernelINS0_13select_configILj256ELj13ELNS0_17block_load_methodE3ELS4_3ELS4_3ELNS0_20block_scan_algorithmE0ELj4294967295EEENS1_25partition_config_selectorILNS1_17partition_subalgoE3EjNS0_10empty_typeEbEEZZNS1_14partition_implILS8_3ELb0ES6_jNS0_17counting_iteratorIjlEEPS9_SE_NS0_5tupleIJPjSE_EEENSF_IJSE_SE_EEES9_SG_JZNS1_25segmented_radix_sort_implINS0_14default_configELb1EPKdPdPKlPlN2at6native12_GLOBAL__N_18offset_tEEE10hipError_tPvRmT1_PNSt15iterator_traitsISY_E10value_typeET2_T3_PNSZ_IS14_E10value_typeET4_jRbjT5_S1A_jjP12ihipStream_tbEUljE_EEESV_SW_SX_S14_S18_S1A_T6_T7_T9_mT8_S1C_bDpT10_ENKUlT_T0_E_clISt17integral_constantIbLb0EES1P_EEDaS1K_S1L_EUlS1K_E_NS1_11comp_targetILNS1_3genE0ELNS1_11target_archE4294967295ELNS1_3gpuE0ELNS1_3repE0EEENS1_30default_config_static_selectorELNS0_4arch9wavefront6targetE1EEEvSY_, .Lfunc_end1086-_ZN7rocprim17ROCPRIM_400000_NS6detail17trampoline_kernelINS0_13select_configILj256ELj13ELNS0_17block_load_methodE3ELS4_3ELS4_3ELNS0_20block_scan_algorithmE0ELj4294967295EEENS1_25partition_config_selectorILNS1_17partition_subalgoE3EjNS0_10empty_typeEbEEZZNS1_14partition_implILS8_3ELb0ES6_jNS0_17counting_iteratorIjlEEPS9_SE_NS0_5tupleIJPjSE_EEENSF_IJSE_SE_EEES9_SG_JZNS1_25segmented_radix_sort_implINS0_14default_configELb1EPKdPdPKlPlN2at6native12_GLOBAL__N_18offset_tEEE10hipError_tPvRmT1_PNSt15iterator_traitsISY_E10value_typeET2_T3_PNSZ_IS14_E10value_typeET4_jRbjT5_S1A_jjP12ihipStream_tbEUljE_EEESV_SW_SX_S14_S18_S1A_T6_T7_T9_mT8_S1C_bDpT10_ENKUlT_T0_E_clISt17integral_constantIbLb0EES1P_EEDaS1K_S1L_EUlS1K_E_NS1_11comp_targetILNS1_3genE0ELNS1_11target_archE4294967295ELNS1_3gpuE0ELNS1_3repE0EEENS1_30default_config_static_selectorELNS0_4arch9wavefront6targetE1EEEvSY_
                                        ; -- End function
	.set _ZN7rocprim17ROCPRIM_400000_NS6detail17trampoline_kernelINS0_13select_configILj256ELj13ELNS0_17block_load_methodE3ELS4_3ELS4_3ELNS0_20block_scan_algorithmE0ELj4294967295EEENS1_25partition_config_selectorILNS1_17partition_subalgoE3EjNS0_10empty_typeEbEEZZNS1_14partition_implILS8_3ELb0ES6_jNS0_17counting_iteratorIjlEEPS9_SE_NS0_5tupleIJPjSE_EEENSF_IJSE_SE_EEES9_SG_JZNS1_25segmented_radix_sort_implINS0_14default_configELb1EPKdPdPKlPlN2at6native12_GLOBAL__N_18offset_tEEE10hipError_tPvRmT1_PNSt15iterator_traitsISY_E10value_typeET2_T3_PNSZ_IS14_E10value_typeET4_jRbjT5_S1A_jjP12ihipStream_tbEUljE_EEESV_SW_SX_S14_S18_S1A_T6_T7_T9_mT8_S1C_bDpT10_ENKUlT_T0_E_clISt17integral_constantIbLb0EES1P_EEDaS1K_S1L_EUlS1K_E_NS1_11comp_targetILNS1_3genE0ELNS1_11target_archE4294967295ELNS1_3gpuE0ELNS1_3repE0EEENS1_30default_config_static_selectorELNS0_4arch9wavefront6targetE1EEEvSY_.num_vgpr, 0
	.set _ZN7rocprim17ROCPRIM_400000_NS6detail17trampoline_kernelINS0_13select_configILj256ELj13ELNS0_17block_load_methodE3ELS4_3ELS4_3ELNS0_20block_scan_algorithmE0ELj4294967295EEENS1_25partition_config_selectorILNS1_17partition_subalgoE3EjNS0_10empty_typeEbEEZZNS1_14partition_implILS8_3ELb0ES6_jNS0_17counting_iteratorIjlEEPS9_SE_NS0_5tupleIJPjSE_EEENSF_IJSE_SE_EEES9_SG_JZNS1_25segmented_radix_sort_implINS0_14default_configELb1EPKdPdPKlPlN2at6native12_GLOBAL__N_18offset_tEEE10hipError_tPvRmT1_PNSt15iterator_traitsISY_E10value_typeET2_T3_PNSZ_IS14_E10value_typeET4_jRbjT5_S1A_jjP12ihipStream_tbEUljE_EEESV_SW_SX_S14_S18_S1A_T6_T7_T9_mT8_S1C_bDpT10_ENKUlT_T0_E_clISt17integral_constantIbLb0EES1P_EEDaS1K_S1L_EUlS1K_E_NS1_11comp_targetILNS1_3genE0ELNS1_11target_archE4294967295ELNS1_3gpuE0ELNS1_3repE0EEENS1_30default_config_static_selectorELNS0_4arch9wavefront6targetE1EEEvSY_.num_agpr, 0
	.set _ZN7rocprim17ROCPRIM_400000_NS6detail17trampoline_kernelINS0_13select_configILj256ELj13ELNS0_17block_load_methodE3ELS4_3ELS4_3ELNS0_20block_scan_algorithmE0ELj4294967295EEENS1_25partition_config_selectorILNS1_17partition_subalgoE3EjNS0_10empty_typeEbEEZZNS1_14partition_implILS8_3ELb0ES6_jNS0_17counting_iteratorIjlEEPS9_SE_NS0_5tupleIJPjSE_EEENSF_IJSE_SE_EEES9_SG_JZNS1_25segmented_radix_sort_implINS0_14default_configELb1EPKdPdPKlPlN2at6native12_GLOBAL__N_18offset_tEEE10hipError_tPvRmT1_PNSt15iterator_traitsISY_E10value_typeET2_T3_PNSZ_IS14_E10value_typeET4_jRbjT5_S1A_jjP12ihipStream_tbEUljE_EEESV_SW_SX_S14_S18_S1A_T6_T7_T9_mT8_S1C_bDpT10_ENKUlT_T0_E_clISt17integral_constantIbLb0EES1P_EEDaS1K_S1L_EUlS1K_E_NS1_11comp_targetILNS1_3genE0ELNS1_11target_archE4294967295ELNS1_3gpuE0ELNS1_3repE0EEENS1_30default_config_static_selectorELNS0_4arch9wavefront6targetE1EEEvSY_.numbered_sgpr, 0
	.set _ZN7rocprim17ROCPRIM_400000_NS6detail17trampoline_kernelINS0_13select_configILj256ELj13ELNS0_17block_load_methodE3ELS4_3ELS4_3ELNS0_20block_scan_algorithmE0ELj4294967295EEENS1_25partition_config_selectorILNS1_17partition_subalgoE3EjNS0_10empty_typeEbEEZZNS1_14partition_implILS8_3ELb0ES6_jNS0_17counting_iteratorIjlEEPS9_SE_NS0_5tupleIJPjSE_EEENSF_IJSE_SE_EEES9_SG_JZNS1_25segmented_radix_sort_implINS0_14default_configELb1EPKdPdPKlPlN2at6native12_GLOBAL__N_18offset_tEEE10hipError_tPvRmT1_PNSt15iterator_traitsISY_E10value_typeET2_T3_PNSZ_IS14_E10value_typeET4_jRbjT5_S1A_jjP12ihipStream_tbEUljE_EEESV_SW_SX_S14_S18_S1A_T6_T7_T9_mT8_S1C_bDpT10_ENKUlT_T0_E_clISt17integral_constantIbLb0EES1P_EEDaS1K_S1L_EUlS1K_E_NS1_11comp_targetILNS1_3genE0ELNS1_11target_archE4294967295ELNS1_3gpuE0ELNS1_3repE0EEENS1_30default_config_static_selectorELNS0_4arch9wavefront6targetE1EEEvSY_.num_named_barrier, 0
	.set _ZN7rocprim17ROCPRIM_400000_NS6detail17trampoline_kernelINS0_13select_configILj256ELj13ELNS0_17block_load_methodE3ELS4_3ELS4_3ELNS0_20block_scan_algorithmE0ELj4294967295EEENS1_25partition_config_selectorILNS1_17partition_subalgoE3EjNS0_10empty_typeEbEEZZNS1_14partition_implILS8_3ELb0ES6_jNS0_17counting_iteratorIjlEEPS9_SE_NS0_5tupleIJPjSE_EEENSF_IJSE_SE_EEES9_SG_JZNS1_25segmented_radix_sort_implINS0_14default_configELb1EPKdPdPKlPlN2at6native12_GLOBAL__N_18offset_tEEE10hipError_tPvRmT1_PNSt15iterator_traitsISY_E10value_typeET2_T3_PNSZ_IS14_E10value_typeET4_jRbjT5_S1A_jjP12ihipStream_tbEUljE_EEESV_SW_SX_S14_S18_S1A_T6_T7_T9_mT8_S1C_bDpT10_ENKUlT_T0_E_clISt17integral_constantIbLb0EES1P_EEDaS1K_S1L_EUlS1K_E_NS1_11comp_targetILNS1_3genE0ELNS1_11target_archE4294967295ELNS1_3gpuE0ELNS1_3repE0EEENS1_30default_config_static_selectorELNS0_4arch9wavefront6targetE1EEEvSY_.private_seg_size, 0
	.set _ZN7rocprim17ROCPRIM_400000_NS6detail17trampoline_kernelINS0_13select_configILj256ELj13ELNS0_17block_load_methodE3ELS4_3ELS4_3ELNS0_20block_scan_algorithmE0ELj4294967295EEENS1_25partition_config_selectorILNS1_17partition_subalgoE3EjNS0_10empty_typeEbEEZZNS1_14partition_implILS8_3ELb0ES6_jNS0_17counting_iteratorIjlEEPS9_SE_NS0_5tupleIJPjSE_EEENSF_IJSE_SE_EEES9_SG_JZNS1_25segmented_radix_sort_implINS0_14default_configELb1EPKdPdPKlPlN2at6native12_GLOBAL__N_18offset_tEEE10hipError_tPvRmT1_PNSt15iterator_traitsISY_E10value_typeET2_T3_PNSZ_IS14_E10value_typeET4_jRbjT5_S1A_jjP12ihipStream_tbEUljE_EEESV_SW_SX_S14_S18_S1A_T6_T7_T9_mT8_S1C_bDpT10_ENKUlT_T0_E_clISt17integral_constantIbLb0EES1P_EEDaS1K_S1L_EUlS1K_E_NS1_11comp_targetILNS1_3genE0ELNS1_11target_archE4294967295ELNS1_3gpuE0ELNS1_3repE0EEENS1_30default_config_static_selectorELNS0_4arch9wavefront6targetE1EEEvSY_.uses_vcc, 0
	.set _ZN7rocprim17ROCPRIM_400000_NS6detail17trampoline_kernelINS0_13select_configILj256ELj13ELNS0_17block_load_methodE3ELS4_3ELS4_3ELNS0_20block_scan_algorithmE0ELj4294967295EEENS1_25partition_config_selectorILNS1_17partition_subalgoE3EjNS0_10empty_typeEbEEZZNS1_14partition_implILS8_3ELb0ES6_jNS0_17counting_iteratorIjlEEPS9_SE_NS0_5tupleIJPjSE_EEENSF_IJSE_SE_EEES9_SG_JZNS1_25segmented_radix_sort_implINS0_14default_configELb1EPKdPdPKlPlN2at6native12_GLOBAL__N_18offset_tEEE10hipError_tPvRmT1_PNSt15iterator_traitsISY_E10value_typeET2_T3_PNSZ_IS14_E10value_typeET4_jRbjT5_S1A_jjP12ihipStream_tbEUljE_EEESV_SW_SX_S14_S18_S1A_T6_T7_T9_mT8_S1C_bDpT10_ENKUlT_T0_E_clISt17integral_constantIbLb0EES1P_EEDaS1K_S1L_EUlS1K_E_NS1_11comp_targetILNS1_3genE0ELNS1_11target_archE4294967295ELNS1_3gpuE0ELNS1_3repE0EEENS1_30default_config_static_selectorELNS0_4arch9wavefront6targetE1EEEvSY_.uses_flat_scratch, 0
	.set _ZN7rocprim17ROCPRIM_400000_NS6detail17trampoline_kernelINS0_13select_configILj256ELj13ELNS0_17block_load_methodE3ELS4_3ELS4_3ELNS0_20block_scan_algorithmE0ELj4294967295EEENS1_25partition_config_selectorILNS1_17partition_subalgoE3EjNS0_10empty_typeEbEEZZNS1_14partition_implILS8_3ELb0ES6_jNS0_17counting_iteratorIjlEEPS9_SE_NS0_5tupleIJPjSE_EEENSF_IJSE_SE_EEES9_SG_JZNS1_25segmented_radix_sort_implINS0_14default_configELb1EPKdPdPKlPlN2at6native12_GLOBAL__N_18offset_tEEE10hipError_tPvRmT1_PNSt15iterator_traitsISY_E10value_typeET2_T3_PNSZ_IS14_E10value_typeET4_jRbjT5_S1A_jjP12ihipStream_tbEUljE_EEESV_SW_SX_S14_S18_S1A_T6_T7_T9_mT8_S1C_bDpT10_ENKUlT_T0_E_clISt17integral_constantIbLb0EES1P_EEDaS1K_S1L_EUlS1K_E_NS1_11comp_targetILNS1_3genE0ELNS1_11target_archE4294967295ELNS1_3gpuE0ELNS1_3repE0EEENS1_30default_config_static_selectorELNS0_4arch9wavefront6targetE1EEEvSY_.has_dyn_sized_stack, 0
	.set _ZN7rocprim17ROCPRIM_400000_NS6detail17trampoline_kernelINS0_13select_configILj256ELj13ELNS0_17block_load_methodE3ELS4_3ELS4_3ELNS0_20block_scan_algorithmE0ELj4294967295EEENS1_25partition_config_selectorILNS1_17partition_subalgoE3EjNS0_10empty_typeEbEEZZNS1_14partition_implILS8_3ELb0ES6_jNS0_17counting_iteratorIjlEEPS9_SE_NS0_5tupleIJPjSE_EEENSF_IJSE_SE_EEES9_SG_JZNS1_25segmented_radix_sort_implINS0_14default_configELb1EPKdPdPKlPlN2at6native12_GLOBAL__N_18offset_tEEE10hipError_tPvRmT1_PNSt15iterator_traitsISY_E10value_typeET2_T3_PNSZ_IS14_E10value_typeET4_jRbjT5_S1A_jjP12ihipStream_tbEUljE_EEESV_SW_SX_S14_S18_S1A_T6_T7_T9_mT8_S1C_bDpT10_ENKUlT_T0_E_clISt17integral_constantIbLb0EES1P_EEDaS1K_S1L_EUlS1K_E_NS1_11comp_targetILNS1_3genE0ELNS1_11target_archE4294967295ELNS1_3gpuE0ELNS1_3repE0EEENS1_30default_config_static_selectorELNS0_4arch9wavefront6targetE1EEEvSY_.has_recursion, 0
	.set _ZN7rocprim17ROCPRIM_400000_NS6detail17trampoline_kernelINS0_13select_configILj256ELj13ELNS0_17block_load_methodE3ELS4_3ELS4_3ELNS0_20block_scan_algorithmE0ELj4294967295EEENS1_25partition_config_selectorILNS1_17partition_subalgoE3EjNS0_10empty_typeEbEEZZNS1_14partition_implILS8_3ELb0ES6_jNS0_17counting_iteratorIjlEEPS9_SE_NS0_5tupleIJPjSE_EEENSF_IJSE_SE_EEES9_SG_JZNS1_25segmented_radix_sort_implINS0_14default_configELb1EPKdPdPKlPlN2at6native12_GLOBAL__N_18offset_tEEE10hipError_tPvRmT1_PNSt15iterator_traitsISY_E10value_typeET2_T3_PNSZ_IS14_E10value_typeET4_jRbjT5_S1A_jjP12ihipStream_tbEUljE_EEESV_SW_SX_S14_S18_S1A_T6_T7_T9_mT8_S1C_bDpT10_ENKUlT_T0_E_clISt17integral_constantIbLb0EES1P_EEDaS1K_S1L_EUlS1K_E_NS1_11comp_targetILNS1_3genE0ELNS1_11target_archE4294967295ELNS1_3gpuE0ELNS1_3repE0EEENS1_30default_config_static_selectorELNS0_4arch9wavefront6targetE1EEEvSY_.has_indirect_call, 0
	.section	.AMDGPU.csdata,"",@progbits
; Kernel info:
; codeLenInByte = 0
; TotalNumSgprs: 4
; NumVgprs: 0
; ScratchSize: 0
; MemoryBound: 0
; FloatMode: 240
; IeeeMode: 1
; LDSByteSize: 0 bytes/workgroup (compile time only)
; SGPRBlocks: 0
; VGPRBlocks: 0
; NumSGPRsForWavesPerEU: 4
; NumVGPRsForWavesPerEU: 1
; Occupancy: 10
; WaveLimiterHint : 0
; COMPUTE_PGM_RSRC2:SCRATCH_EN: 0
; COMPUTE_PGM_RSRC2:USER_SGPR: 6
; COMPUTE_PGM_RSRC2:TRAP_HANDLER: 0
; COMPUTE_PGM_RSRC2:TGID_X_EN: 1
; COMPUTE_PGM_RSRC2:TGID_Y_EN: 0
; COMPUTE_PGM_RSRC2:TGID_Z_EN: 0
; COMPUTE_PGM_RSRC2:TIDIG_COMP_CNT: 0
	.section	.text._ZN7rocprim17ROCPRIM_400000_NS6detail17trampoline_kernelINS0_13select_configILj256ELj13ELNS0_17block_load_methodE3ELS4_3ELS4_3ELNS0_20block_scan_algorithmE0ELj4294967295EEENS1_25partition_config_selectorILNS1_17partition_subalgoE3EjNS0_10empty_typeEbEEZZNS1_14partition_implILS8_3ELb0ES6_jNS0_17counting_iteratorIjlEEPS9_SE_NS0_5tupleIJPjSE_EEENSF_IJSE_SE_EEES9_SG_JZNS1_25segmented_radix_sort_implINS0_14default_configELb1EPKdPdPKlPlN2at6native12_GLOBAL__N_18offset_tEEE10hipError_tPvRmT1_PNSt15iterator_traitsISY_E10value_typeET2_T3_PNSZ_IS14_E10value_typeET4_jRbjT5_S1A_jjP12ihipStream_tbEUljE_EEESV_SW_SX_S14_S18_S1A_T6_T7_T9_mT8_S1C_bDpT10_ENKUlT_T0_E_clISt17integral_constantIbLb0EES1P_EEDaS1K_S1L_EUlS1K_E_NS1_11comp_targetILNS1_3genE5ELNS1_11target_archE942ELNS1_3gpuE9ELNS1_3repE0EEENS1_30default_config_static_selectorELNS0_4arch9wavefront6targetE1EEEvSY_,"axG",@progbits,_ZN7rocprim17ROCPRIM_400000_NS6detail17trampoline_kernelINS0_13select_configILj256ELj13ELNS0_17block_load_methodE3ELS4_3ELS4_3ELNS0_20block_scan_algorithmE0ELj4294967295EEENS1_25partition_config_selectorILNS1_17partition_subalgoE3EjNS0_10empty_typeEbEEZZNS1_14partition_implILS8_3ELb0ES6_jNS0_17counting_iteratorIjlEEPS9_SE_NS0_5tupleIJPjSE_EEENSF_IJSE_SE_EEES9_SG_JZNS1_25segmented_radix_sort_implINS0_14default_configELb1EPKdPdPKlPlN2at6native12_GLOBAL__N_18offset_tEEE10hipError_tPvRmT1_PNSt15iterator_traitsISY_E10value_typeET2_T3_PNSZ_IS14_E10value_typeET4_jRbjT5_S1A_jjP12ihipStream_tbEUljE_EEESV_SW_SX_S14_S18_S1A_T6_T7_T9_mT8_S1C_bDpT10_ENKUlT_T0_E_clISt17integral_constantIbLb0EES1P_EEDaS1K_S1L_EUlS1K_E_NS1_11comp_targetILNS1_3genE5ELNS1_11target_archE942ELNS1_3gpuE9ELNS1_3repE0EEENS1_30default_config_static_selectorELNS0_4arch9wavefront6targetE1EEEvSY_,comdat
	.globl	_ZN7rocprim17ROCPRIM_400000_NS6detail17trampoline_kernelINS0_13select_configILj256ELj13ELNS0_17block_load_methodE3ELS4_3ELS4_3ELNS0_20block_scan_algorithmE0ELj4294967295EEENS1_25partition_config_selectorILNS1_17partition_subalgoE3EjNS0_10empty_typeEbEEZZNS1_14partition_implILS8_3ELb0ES6_jNS0_17counting_iteratorIjlEEPS9_SE_NS0_5tupleIJPjSE_EEENSF_IJSE_SE_EEES9_SG_JZNS1_25segmented_radix_sort_implINS0_14default_configELb1EPKdPdPKlPlN2at6native12_GLOBAL__N_18offset_tEEE10hipError_tPvRmT1_PNSt15iterator_traitsISY_E10value_typeET2_T3_PNSZ_IS14_E10value_typeET4_jRbjT5_S1A_jjP12ihipStream_tbEUljE_EEESV_SW_SX_S14_S18_S1A_T6_T7_T9_mT8_S1C_bDpT10_ENKUlT_T0_E_clISt17integral_constantIbLb0EES1P_EEDaS1K_S1L_EUlS1K_E_NS1_11comp_targetILNS1_3genE5ELNS1_11target_archE942ELNS1_3gpuE9ELNS1_3repE0EEENS1_30default_config_static_selectorELNS0_4arch9wavefront6targetE1EEEvSY_ ; -- Begin function _ZN7rocprim17ROCPRIM_400000_NS6detail17trampoline_kernelINS0_13select_configILj256ELj13ELNS0_17block_load_methodE3ELS4_3ELS4_3ELNS0_20block_scan_algorithmE0ELj4294967295EEENS1_25partition_config_selectorILNS1_17partition_subalgoE3EjNS0_10empty_typeEbEEZZNS1_14partition_implILS8_3ELb0ES6_jNS0_17counting_iteratorIjlEEPS9_SE_NS0_5tupleIJPjSE_EEENSF_IJSE_SE_EEES9_SG_JZNS1_25segmented_radix_sort_implINS0_14default_configELb1EPKdPdPKlPlN2at6native12_GLOBAL__N_18offset_tEEE10hipError_tPvRmT1_PNSt15iterator_traitsISY_E10value_typeET2_T3_PNSZ_IS14_E10value_typeET4_jRbjT5_S1A_jjP12ihipStream_tbEUljE_EEESV_SW_SX_S14_S18_S1A_T6_T7_T9_mT8_S1C_bDpT10_ENKUlT_T0_E_clISt17integral_constantIbLb0EES1P_EEDaS1K_S1L_EUlS1K_E_NS1_11comp_targetILNS1_3genE5ELNS1_11target_archE942ELNS1_3gpuE9ELNS1_3repE0EEENS1_30default_config_static_selectorELNS0_4arch9wavefront6targetE1EEEvSY_
	.p2align	8
	.type	_ZN7rocprim17ROCPRIM_400000_NS6detail17trampoline_kernelINS0_13select_configILj256ELj13ELNS0_17block_load_methodE3ELS4_3ELS4_3ELNS0_20block_scan_algorithmE0ELj4294967295EEENS1_25partition_config_selectorILNS1_17partition_subalgoE3EjNS0_10empty_typeEbEEZZNS1_14partition_implILS8_3ELb0ES6_jNS0_17counting_iteratorIjlEEPS9_SE_NS0_5tupleIJPjSE_EEENSF_IJSE_SE_EEES9_SG_JZNS1_25segmented_radix_sort_implINS0_14default_configELb1EPKdPdPKlPlN2at6native12_GLOBAL__N_18offset_tEEE10hipError_tPvRmT1_PNSt15iterator_traitsISY_E10value_typeET2_T3_PNSZ_IS14_E10value_typeET4_jRbjT5_S1A_jjP12ihipStream_tbEUljE_EEESV_SW_SX_S14_S18_S1A_T6_T7_T9_mT8_S1C_bDpT10_ENKUlT_T0_E_clISt17integral_constantIbLb0EES1P_EEDaS1K_S1L_EUlS1K_E_NS1_11comp_targetILNS1_3genE5ELNS1_11target_archE942ELNS1_3gpuE9ELNS1_3repE0EEENS1_30default_config_static_selectorELNS0_4arch9wavefront6targetE1EEEvSY_,@function
_ZN7rocprim17ROCPRIM_400000_NS6detail17trampoline_kernelINS0_13select_configILj256ELj13ELNS0_17block_load_methodE3ELS4_3ELS4_3ELNS0_20block_scan_algorithmE0ELj4294967295EEENS1_25partition_config_selectorILNS1_17partition_subalgoE3EjNS0_10empty_typeEbEEZZNS1_14partition_implILS8_3ELb0ES6_jNS0_17counting_iteratorIjlEEPS9_SE_NS0_5tupleIJPjSE_EEENSF_IJSE_SE_EEES9_SG_JZNS1_25segmented_radix_sort_implINS0_14default_configELb1EPKdPdPKlPlN2at6native12_GLOBAL__N_18offset_tEEE10hipError_tPvRmT1_PNSt15iterator_traitsISY_E10value_typeET2_T3_PNSZ_IS14_E10value_typeET4_jRbjT5_S1A_jjP12ihipStream_tbEUljE_EEESV_SW_SX_S14_S18_S1A_T6_T7_T9_mT8_S1C_bDpT10_ENKUlT_T0_E_clISt17integral_constantIbLb0EES1P_EEDaS1K_S1L_EUlS1K_E_NS1_11comp_targetILNS1_3genE5ELNS1_11target_archE942ELNS1_3gpuE9ELNS1_3repE0EEENS1_30default_config_static_selectorELNS0_4arch9wavefront6targetE1EEEvSY_: ; @_ZN7rocprim17ROCPRIM_400000_NS6detail17trampoline_kernelINS0_13select_configILj256ELj13ELNS0_17block_load_methodE3ELS4_3ELS4_3ELNS0_20block_scan_algorithmE0ELj4294967295EEENS1_25partition_config_selectorILNS1_17partition_subalgoE3EjNS0_10empty_typeEbEEZZNS1_14partition_implILS8_3ELb0ES6_jNS0_17counting_iteratorIjlEEPS9_SE_NS0_5tupleIJPjSE_EEENSF_IJSE_SE_EEES9_SG_JZNS1_25segmented_radix_sort_implINS0_14default_configELb1EPKdPdPKlPlN2at6native12_GLOBAL__N_18offset_tEEE10hipError_tPvRmT1_PNSt15iterator_traitsISY_E10value_typeET2_T3_PNSZ_IS14_E10value_typeET4_jRbjT5_S1A_jjP12ihipStream_tbEUljE_EEESV_SW_SX_S14_S18_S1A_T6_T7_T9_mT8_S1C_bDpT10_ENKUlT_T0_E_clISt17integral_constantIbLb0EES1P_EEDaS1K_S1L_EUlS1K_E_NS1_11comp_targetILNS1_3genE5ELNS1_11target_archE942ELNS1_3gpuE9ELNS1_3repE0EEENS1_30default_config_static_selectorELNS0_4arch9wavefront6targetE1EEEvSY_
; %bb.0:
	.section	.rodata,"a",@progbits
	.p2align	6, 0x0
	.amdhsa_kernel _ZN7rocprim17ROCPRIM_400000_NS6detail17trampoline_kernelINS0_13select_configILj256ELj13ELNS0_17block_load_methodE3ELS4_3ELS4_3ELNS0_20block_scan_algorithmE0ELj4294967295EEENS1_25partition_config_selectorILNS1_17partition_subalgoE3EjNS0_10empty_typeEbEEZZNS1_14partition_implILS8_3ELb0ES6_jNS0_17counting_iteratorIjlEEPS9_SE_NS0_5tupleIJPjSE_EEENSF_IJSE_SE_EEES9_SG_JZNS1_25segmented_radix_sort_implINS0_14default_configELb1EPKdPdPKlPlN2at6native12_GLOBAL__N_18offset_tEEE10hipError_tPvRmT1_PNSt15iterator_traitsISY_E10value_typeET2_T3_PNSZ_IS14_E10value_typeET4_jRbjT5_S1A_jjP12ihipStream_tbEUljE_EEESV_SW_SX_S14_S18_S1A_T6_T7_T9_mT8_S1C_bDpT10_ENKUlT_T0_E_clISt17integral_constantIbLb0EES1P_EEDaS1K_S1L_EUlS1K_E_NS1_11comp_targetILNS1_3genE5ELNS1_11target_archE942ELNS1_3gpuE9ELNS1_3repE0EEENS1_30default_config_static_selectorELNS0_4arch9wavefront6targetE1EEEvSY_
		.amdhsa_group_segment_fixed_size 0
		.amdhsa_private_segment_fixed_size 0
		.amdhsa_kernarg_size 144
		.amdhsa_user_sgpr_count 6
		.amdhsa_user_sgpr_private_segment_buffer 1
		.amdhsa_user_sgpr_dispatch_ptr 0
		.amdhsa_user_sgpr_queue_ptr 0
		.amdhsa_user_sgpr_kernarg_segment_ptr 1
		.amdhsa_user_sgpr_dispatch_id 0
		.amdhsa_user_sgpr_flat_scratch_init 0
		.amdhsa_user_sgpr_private_segment_size 0
		.amdhsa_uses_dynamic_stack 0
		.amdhsa_system_sgpr_private_segment_wavefront_offset 0
		.amdhsa_system_sgpr_workgroup_id_x 1
		.amdhsa_system_sgpr_workgroup_id_y 0
		.amdhsa_system_sgpr_workgroup_id_z 0
		.amdhsa_system_sgpr_workgroup_info 0
		.amdhsa_system_vgpr_workitem_id 0
		.amdhsa_next_free_vgpr 1
		.amdhsa_next_free_sgpr 0
		.amdhsa_reserve_vcc 0
		.amdhsa_reserve_flat_scratch 0
		.amdhsa_float_round_mode_32 0
		.amdhsa_float_round_mode_16_64 0
		.amdhsa_float_denorm_mode_32 3
		.amdhsa_float_denorm_mode_16_64 3
		.amdhsa_dx10_clamp 1
		.amdhsa_ieee_mode 1
		.amdhsa_fp16_overflow 0
		.amdhsa_exception_fp_ieee_invalid_op 0
		.amdhsa_exception_fp_denorm_src 0
		.amdhsa_exception_fp_ieee_div_zero 0
		.amdhsa_exception_fp_ieee_overflow 0
		.amdhsa_exception_fp_ieee_underflow 0
		.amdhsa_exception_fp_ieee_inexact 0
		.amdhsa_exception_int_div_zero 0
	.end_amdhsa_kernel
	.section	.text._ZN7rocprim17ROCPRIM_400000_NS6detail17trampoline_kernelINS0_13select_configILj256ELj13ELNS0_17block_load_methodE3ELS4_3ELS4_3ELNS0_20block_scan_algorithmE0ELj4294967295EEENS1_25partition_config_selectorILNS1_17partition_subalgoE3EjNS0_10empty_typeEbEEZZNS1_14partition_implILS8_3ELb0ES6_jNS0_17counting_iteratorIjlEEPS9_SE_NS0_5tupleIJPjSE_EEENSF_IJSE_SE_EEES9_SG_JZNS1_25segmented_radix_sort_implINS0_14default_configELb1EPKdPdPKlPlN2at6native12_GLOBAL__N_18offset_tEEE10hipError_tPvRmT1_PNSt15iterator_traitsISY_E10value_typeET2_T3_PNSZ_IS14_E10value_typeET4_jRbjT5_S1A_jjP12ihipStream_tbEUljE_EEESV_SW_SX_S14_S18_S1A_T6_T7_T9_mT8_S1C_bDpT10_ENKUlT_T0_E_clISt17integral_constantIbLb0EES1P_EEDaS1K_S1L_EUlS1K_E_NS1_11comp_targetILNS1_3genE5ELNS1_11target_archE942ELNS1_3gpuE9ELNS1_3repE0EEENS1_30default_config_static_selectorELNS0_4arch9wavefront6targetE1EEEvSY_,"axG",@progbits,_ZN7rocprim17ROCPRIM_400000_NS6detail17trampoline_kernelINS0_13select_configILj256ELj13ELNS0_17block_load_methodE3ELS4_3ELS4_3ELNS0_20block_scan_algorithmE0ELj4294967295EEENS1_25partition_config_selectorILNS1_17partition_subalgoE3EjNS0_10empty_typeEbEEZZNS1_14partition_implILS8_3ELb0ES6_jNS0_17counting_iteratorIjlEEPS9_SE_NS0_5tupleIJPjSE_EEENSF_IJSE_SE_EEES9_SG_JZNS1_25segmented_radix_sort_implINS0_14default_configELb1EPKdPdPKlPlN2at6native12_GLOBAL__N_18offset_tEEE10hipError_tPvRmT1_PNSt15iterator_traitsISY_E10value_typeET2_T3_PNSZ_IS14_E10value_typeET4_jRbjT5_S1A_jjP12ihipStream_tbEUljE_EEESV_SW_SX_S14_S18_S1A_T6_T7_T9_mT8_S1C_bDpT10_ENKUlT_T0_E_clISt17integral_constantIbLb0EES1P_EEDaS1K_S1L_EUlS1K_E_NS1_11comp_targetILNS1_3genE5ELNS1_11target_archE942ELNS1_3gpuE9ELNS1_3repE0EEENS1_30default_config_static_selectorELNS0_4arch9wavefront6targetE1EEEvSY_,comdat
.Lfunc_end1087:
	.size	_ZN7rocprim17ROCPRIM_400000_NS6detail17trampoline_kernelINS0_13select_configILj256ELj13ELNS0_17block_load_methodE3ELS4_3ELS4_3ELNS0_20block_scan_algorithmE0ELj4294967295EEENS1_25partition_config_selectorILNS1_17partition_subalgoE3EjNS0_10empty_typeEbEEZZNS1_14partition_implILS8_3ELb0ES6_jNS0_17counting_iteratorIjlEEPS9_SE_NS0_5tupleIJPjSE_EEENSF_IJSE_SE_EEES9_SG_JZNS1_25segmented_radix_sort_implINS0_14default_configELb1EPKdPdPKlPlN2at6native12_GLOBAL__N_18offset_tEEE10hipError_tPvRmT1_PNSt15iterator_traitsISY_E10value_typeET2_T3_PNSZ_IS14_E10value_typeET4_jRbjT5_S1A_jjP12ihipStream_tbEUljE_EEESV_SW_SX_S14_S18_S1A_T6_T7_T9_mT8_S1C_bDpT10_ENKUlT_T0_E_clISt17integral_constantIbLb0EES1P_EEDaS1K_S1L_EUlS1K_E_NS1_11comp_targetILNS1_3genE5ELNS1_11target_archE942ELNS1_3gpuE9ELNS1_3repE0EEENS1_30default_config_static_selectorELNS0_4arch9wavefront6targetE1EEEvSY_, .Lfunc_end1087-_ZN7rocprim17ROCPRIM_400000_NS6detail17trampoline_kernelINS0_13select_configILj256ELj13ELNS0_17block_load_methodE3ELS4_3ELS4_3ELNS0_20block_scan_algorithmE0ELj4294967295EEENS1_25partition_config_selectorILNS1_17partition_subalgoE3EjNS0_10empty_typeEbEEZZNS1_14partition_implILS8_3ELb0ES6_jNS0_17counting_iteratorIjlEEPS9_SE_NS0_5tupleIJPjSE_EEENSF_IJSE_SE_EEES9_SG_JZNS1_25segmented_radix_sort_implINS0_14default_configELb1EPKdPdPKlPlN2at6native12_GLOBAL__N_18offset_tEEE10hipError_tPvRmT1_PNSt15iterator_traitsISY_E10value_typeET2_T3_PNSZ_IS14_E10value_typeET4_jRbjT5_S1A_jjP12ihipStream_tbEUljE_EEESV_SW_SX_S14_S18_S1A_T6_T7_T9_mT8_S1C_bDpT10_ENKUlT_T0_E_clISt17integral_constantIbLb0EES1P_EEDaS1K_S1L_EUlS1K_E_NS1_11comp_targetILNS1_3genE5ELNS1_11target_archE942ELNS1_3gpuE9ELNS1_3repE0EEENS1_30default_config_static_selectorELNS0_4arch9wavefront6targetE1EEEvSY_
                                        ; -- End function
	.set _ZN7rocprim17ROCPRIM_400000_NS6detail17trampoline_kernelINS0_13select_configILj256ELj13ELNS0_17block_load_methodE3ELS4_3ELS4_3ELNS0_20block_scan_algorithmE0ELj4294967295EEENS1_25partition_config_selectorILNS1_17partition_subalgoE3EjNS0_10empty_typeEbEEZZNS1_14partition_implILS8_3ELb0ES6_jNS0_17counting_iteratorIjlEEPS9_SE_NS0_5tupleIJPjSE_EEENSF_IJSE_SE_EEES9_SG_JZNS1_25segmented_radix_sort_implINS0_14default_configELb1EPKdPdPKlPlN2at6native12_GLOBAL__N_18offset_tEEE10hipError_tPvRmT1_PNSt15iterator_traitsISY_E10value_typeET2_T3_PNSZ_IS14_E10value_typeET4_jRbjT5_S1A_jjP12ihipStream_tbEUljE_EEESV_SW_SX_S14_S18_S1A_T6_T7_T9_mT8_S1C_bDpT10_ENKUlT_T0_E_clISt17integral_constantIbLb0EES1P_EEDaS1K_S1L_EUlS1K_E_NS1_11comp_targetILNS1_3genE5ELNS1_11target_archE942ELNS1_3gpuE9ELNS1_3repE0EEENS1_30default_config_static_selectorELNS0_4arch9wavefront6targetE1EEEvSY_.num_vgpr, 0
	.set _ZN7rocprim17ROCPRIM_400000_NS6detail17trampoline_kernelINS0_13select_configILj256ELj13ELNS0_17block_load_methodE3ELS4_3ELS4_3ELNS0_20block_scan_algorithmE0ELj4294967295EEENS1_25partition_config_selectorILNS1_17partition_subalgoE3EjNS0_10empty_typeEbEEZZNS1_14partition_implILS8_3ELb0ES6_jNS0_17counting_iteratorIjlEEPS9_SE_NS0_5tupleIJPjSE_EEENSF_IJSE_SE_EEES9_SG_JZNS1_25segmented_radix_sort_implINS0_14default_configELb1EPKdPdPKlPlN2at6native12_GLOBAL__N_18offset_tEEE10hipError_tPvRmT1_PNSt15iterator_traitsISY_E10value_typeET2_T3_PNSZ_IS14_E10value_typeET4_jRbjT5_S1A_jjP12ihipStream_tbEUljE_EEESV_SW_SX_S14_S18_S1A_T6_T7_T9_mT8_S1C_bDpT10_ENKUlT_T0_E_clISt17integral_constantIbLb0EES1P_EEDaS1K_S1L_EUlS1K_E_NS1_11comp_targetILNS1_3genE5ELNS1_11target_archE942ELNS1_3gpuE9ELNS1_3repE0EEENS1_30default_config_static_selectorELNS0_4arch9wavefront6targetE1EEEvSY_.num_agpr, 0
	.set _ZN7rocprim17ROCPRIM_400000_NS6detail17trampoline_kernelINS0_13select_configILj256ELj13ELNS0_17block_load_methodE3ELS4_3ELS4_3ELNS0_20block_scan_algorithmE0ELj4294967295EEENS1_25partition_config_selectorILNS1_17partition_subalgoE3EjNS0_10empty_typeEbEEZZNS1_14partition_implILS8_3ELb0ES6_jNS0_17counting_iteratorIjlEEPS9_SE_NS0_5tupleIJPjSE_EEENSF_IJSE_SE_EEES9_SG_JZNS1_25segmented_radix_sort_implINS0_14default_configELb1EPKdPdPKlPlN2at6native12_GLOBAL__N_18offset_tEEE10hipError_tPvRmT1_PNSt15iterator_traitsISY_E10value_typeET2_T3_PNSZ_IS14_E10value_typeET4_jRbjT5_S1A_jjP12ihipStream_tbEUljE_EEESV_SW_SX_S14_S18_S1A_T6_T7_T9_mT8_S1C_bDpT10_ENKUlT_T0_E_clISt17integral_constantIbLb0EES1P_EEDaS1K_S1L_EUlS1K_E_NS1_11comp_targetILNS1_3genE5ELNS1_11target_archE942ELNS1_3gpuE9ELNS1_3repE0EEENS1_30default_config_static_selectorELNS0_4arch9wavefront6targetE1EEEvSY_.numbered_sgpr, 0
	.set _ZN7rocprim17ROCPRIM_400000_NS6detail17trampoline_kernelINS0_13select_configILj256ELj13ELNS0_17block_load_methodE3ELS4_3ELS4_3ELNS0_20block_scan_algorithmE0ELj4294967295EEENS1_25partition_config_selectorILNS1_17partition_subalgoE3EjNS0_10empty_typeEbEEZZNS1_14partition_implILS8_3ELb0ES6_jNS0_17counting_iteratorIjlEEPS9_SE_NS0_5tupleIJPjSE_EEENSF_IJSE_SE_EEES9_SG_JZNS1_25segmented_radix_sort_implINS0_14default_configELb1EPKdPdPKlPlN2at6native12_GLOBAL__N_18offset_tEEE10hipError_tPvRmT1_PNSt15iterator_traitsISY_E10value_typeET2_T3_PNSZ_IS14_E10value_typeET4_jRbjT5_S1A_jjP12ihipStream_tbEUljE_EEESV_SW_SX_S14_S18_S1A_T6_T7_T9_mT8_S1C_bDpT10_ENKUlT_T0_E_clISt17integral_constantIbLb0EES1P_EEDaS1K_S1L_EUlS1K_E_NS1_11comp_targetILNS1_3genE5ELNS1_11target_archE942ELNS1_3gpuE9ELNS1_3repE0EEENS1_30default_config_static_selectorELNS0_4arch9wavefront6targetE1EEEvSY_.num_named_barrier, 0
	.set _ZN7rocprim17ROCPRIM_400000_NS6detail17trampoline_kernelINS0_13select_configILj256ELj13ELNS0_17block_load_methodE3ELS4_3ELS4_3ELNS0_20block_scan_algorithmE0ELj4294967295EEENS1_25partition_config_selectorILNS1_17partition_subalgoE3EjNS0_10empty_typeEbEEZZNS1_14partition_implILS8_3ELb0ES6_jNS0_17counting_iteratorIjlEEPS9_SE_NS0_5tupleIJPjSE_EEENSF_IJSE_SE_EEES9_SG_JZNS1_25segmented_radix_sort_implINS0_14default_configELb1EPKdPdPKlPlN2at6native12_GLOBAL__N_18offset_tEEE10hipError_tPvRmT1_PNSt15iterator_traitsISY_E10value_typeET2_T3_PNSZ_IS14_E10value_typeET4_jRbjT5_S1A_jjP12ihipStream_tbEUljE_EEESV_SW_SX_S14_S18_S1A_T6_T7_T9_mT8_S1C_bDpT10_ENKUlT_T0_E_clISt17integral_constantIbLb0EES1P_EEDaS1K_S1L_EUlS1K_E_NS1_11comp_targetILNS1_3genE5ELNS1_11target_archE942ELNS1_3gpuE9ELNS1_3repE0EEENS1_30default_config_static_selectorELNS0_4arch9wavefront6targetE1EEEvSY_.private_seg_size, 0
	.set _ZN7rocprim17ROCPRIM_400000_NS6detail17trampoline_kernelINS0_13select_configILj256ELj13ELNS0_17block_load_methodE3ELS4_3ELS4_3ELNS0_20block_scan_algorithmE0ELj4294967295EEENS1_25partition_config_selectorILNS1_17partition_subalgoE3EjNS0_10empty_typeEbEEZZNS1_14partition_implILS8_3ELb0ES6_jNS0_17counting_iteratorIjlEEPS9_SE_NS0_5tupleIJPjSE_EEENSF_IJSE_SE_EEES9_SG_JZNS1_25segmented_radix_sort_implINS0_14default_configELb1EPKdPdPKlPlN2at6native12_GLOBAL__N_18offset_tEEE10hipError_tPvRmT1_PNSt15iterator_traitsISY_E10value_typeET2_T3_PNSZ_IS14_E10value_typeET4_jRbjT5_S1A_jjP12ihipStream_tbEUljE_EEESV_SW_SX_S14_S18_S1A_T6_T7_T9_mT8_S1C_bDpT10_ENKUlT_T0_E_clISt17integral_constantIbLb0EES1P_EEDaS1K_S1L_EUlS1K_E_NS1_11comp_targetILNS1_3genE5ELNS1_11target_archE942ELNS1_3gpuE9ELNS1_3repE0EEENS1_30default_config_static_selectorELNS0_4arch9wavefront6targetE1EEEvSY_.uses_vcc, 0
	.set _ZN7rocprim17ROCPRIM_400000_NS6detail17trampoline_kernelINS0_13select_configILj256ELj13ELNS0_17block_load_methodE3ELS4_3ELS4_3ELNS0_20block_scan_algorithmE0ELj4294967295EEENS1_25partition_config_selectorILNS1_17partition_subalgoE3EjNS0_10empty_typeEbEEZZNS1_14partition_implILS8_3ELb0ES6_jNS0_17counting_iteratorIjlEEPS9_SE_NS0_5tupleIJPjSE_EEENSF_IJSE_SE_EEES9_SG_JZNS1_25segmented_radix_sort_implINS0_14default_configELb1EPKdPdPKlPlN2at6native12_GLOBAL__N_18offset_tEEE10hipError_tPvRmT1_PNSt15iterator_traitsISY_E10value_typeET2_T3_PNSZ_IS14_E10value_typeET4_jRbjT5_S1A_jjP12ihipStream_tbEUljE_EEESV_SW_SX_S14_S18_S1A_T6_T7_T9_mT8_S1C_bDpT10_ENKUlT_T0_E_clISt17integral_constantIbLb0EES1P_EEDaS1K_S1L_EUlS1K_E_NS1_11comp_targetILNS1_3genE5ELNS1_11target_archE942ELNS1_3gpuE9ELNS1_3repE0EEENS1_30default_config_static_selectorELNS0_4arch9wavefront6targetE1EEEvSY_.uses_flat_scratch, 0
	.set _ZN7rocprim17ROCPRIM_400000_NS6detail17trampoline_kernelINS0_13select_configILj256ELj13ELNS0_17block_load_methodE3ELS4_3ELS4_3ELNS0_20block_scan_algorithmE0ELj4294967295EEENS1_25partition_config_selectorILNS1_17partition_subalgoE3EjNS0_10empty_typeEbEEZZNS1_14partition_implILS8_3ELb0ES6_jNS0_17counting_iteratorIjlEEPS9_SE_NS0_5tupleIJPjSE_EEENSF_IJSE_SE_EEES9_SG_JZNS1_25segmented_radix_sort_implINS0_14default_configELb1EPKdPdPKlPlN2at6native12_GLOBAL__N_18offset_tEEE10hipError_tPvRmT1_PNSt15iterator_traitsISY_E10value_typeET2_T3_PNSZ_IS14_E10value_typeET4_jRbjT5_S1A_jjP12ihipStream_tbEUljE_EEESV_SW_SX_S14_S18_S1A_T6_T7_T9_mT8_S1C_bDpT10_ENKUlT_T0_E_clISt17integral_constantIbLb0EES1P_EEDaS1K_S1L_EUlS1K_E_NS1_11comp_targetILNS1_3genE5ELNS1_11target_archE942ELNS1_3gpuE9ELNS1_3repE0EEENS1_30default_config_static_selectorELNS0_4arch9wavefront6targetE1EEEvSY_.has_dyn_sized_stack, 0
	.set _ZN7rocprim17ROCPRIM_400000_NS6detail17trampoline_kernelINS0_13select_configILj256ELj13ELNS0_17block_load_methodE3ELS4_3ELS4_3ELNS0_20block_scan_algorithmE0ELj4294967295EEENS1_25partition_config_selectorILNS1_17partition_subalgoE3EjNS0_10empty_typeEbEEZZNS1_14partition_implILS8_3ELb0ES6_jNS0_17counting_iteratorIjlEEPS9_SE_NS0_5tupleIJPjSE_EEENSF_IJSE_SE_EEES9_SG_JZNS1_25segmented_radix_sort_implINS0_14default_configELb1EPKdPdPKlPlN2at6native12_GLOBAL__N_18offset_tEEE10hipError_tPvRmT1_PNSt15iterator_traitsISY_E10value_typeET2_T3_PNSZ_IS14_E10value_typeET4_jRbjT5_S1A_jjP12ihipStream_tbEUljE_EEESV_SW_SX_S14_S18_S1A_T6_T7_T9_mT8_S1C_bDpT10_ENKUlT_T0_E_clISt17integral_constantIbLb0EES1P_EEDaS1K_S1L_EUlS1K_E_NS1_11comp_targetILNS1_3genE5ELNS1_11target_archE942ELNS1_3gpuE9ELNS1_3repE0EEENS1_30default_config_static_selectorELNS0_4arch9wavefront6targetE1EEEvSY_.has_recursion, 0
	.set _ZN7rocprim17ROCPRIM_400000_NS6detail17trampoline_kernelINS0_13select_configILj256ELj13ELNS0_17block_load_methodE3ELS4_3ELS4_3ELNS0_20block_scan_algorithmE0ELj4294967295EEENS1_25partition_config_selectorILNS1_17partition_subalgoE3EjNS0_10empty_typeEbEEZZNS1_14partition_implILS8_3ELb0ES6_jNS0_17counting_iteratorIjlEEPS9_SE_NS0_5tupleIJPjSE_EEENSF_IJSE_SE_EEES9_SG_JZNS1_25segmented_radix_sort_implINS0_14default_configELb1EPKdPdPKlPlN2at6native12_GLOBAL__N_18offset_tEEE10hipError_tPvRmT1_PNSt15iterator_traitsISY_E10value_typeET2_T3_PNSZ_IS14_E10value_typeET4_jRbjT5_S1A_jjP12ihipStream_tbEUljE_EEESV_SW_SX_S14_S18_S1A_T6_T7_T9_mT8_S1C_bDpT10_ENKUlT_T0_E_clISt17integral_constantIbLb0EES1P_EEDaS1K_S1L_EUlS1K_E_NS1_11comp_targetILNS1_3genE5ELNS1_11target_archE942ELNS1_3gpuE9ELNS1_3repE0EEENS1_30default_config_static_selectorELNS0_4arch9wavefront6targetE1EEEvSY_.has_indirect_call, 0
	.section	.AMDGPU.csdata,"",@progbits
; Kernel info:
; codeLenInByte = 0
; TotalNumSgprs: 4
; NumVgprs: 0
; ScratchSize: 0
; MemoryBound: 0
; FloatMode: 240
; IeeeMode: 1
; LDSByteSize: 0 bytes/workgroup (compile time only)
; SGPRBlocks: 0
; VGPRBlocks: 0
; NumSGPRsForWavesPerEU: 4
; NumVGPRsForWavesPerEU: 1
; Occupancy: 10
; WaveLimiterHint : 0
; COMPUTE_PGM_RSRC2:SCRATCH_EN: 0
; COMPUTE_PGM_RSRC2:USER_SGPR: 6
; COMPUTE_PGM_RSRC2:TRAP_HANDLER: 0
; COMPUTE_PGM_RSRC2:TGID_X_EN: 1
; COMPUTE_PGM_RSRC2:TGID_Y_EN: 0
; COMPUTE_PGM_RSRC2:TGID_Z_EN: 0
; COMPUTE_PGM_RSRC2:TIDIG_COMP_CNT: 0
	.section	.text._ZN7rocprim17ROCPRIM_400000_NS6detail17trampoline_kernelINS0_13select_configILj256ELj13ELNS0_17block_load_methodE3ELS4_3ELS4_3ELNS0_20block_scan_algorithmE0ELj4294967295EEENS1_25partition_config_selectorILNS1_17partition_subalgoE3EjNS0_10empty_typeEbEEZZNS1_14partition_implILS8_3ELb0ES6_jNS0_17counting_iteratorIjlEEPS9_SE_NS0_5tupleIJPjSE_EEENSF_IJSE_SE_EEES9_SG_JZNS1_25segmented_radix_sort_implINS0_14default_configELb1EPKdPdPKlPlN2at6native12_GLOBAL__N_18offset_tEEE10hipError_tPvRmT1_PNSt15iterator_traitsISY_E10value_typeET2_T3_PNSZ_IS14_E10value_typeET4_jRbjT5_S1A_jjP12ihipStream_tbEUljE_EEESV_SW_SX_S14_S18_S1A_T6_T7_T9_mT8_S1C_bDpT10_ENKUlT_T0_E_clISt17integral_constantIbLb0EES1P_EEDaS1K_S1L_EUlS1K_E_NS1_11comp_targetILNS1_3genE4ELNS1_11target_archE910ELNS1_3gpuE8ELNS1_3repE0EEENS1_30default_config_static_selectorELNS0_4arch9wavefront6targetE1EEEvSY_,"axG",@progbits,_ZN7rocprim17ROCPRIM_400000_NS6detail17trampoline_kernelINS0_13select_configILj256ELj13ELNS0_17block_load_methodE3ELS4_3ELS4_3ELNS0_20block_scan_algorithmE0ELj4294967295EEENS1_25partition_config_selectorILNS1_17partition_subalgoE3EjNS0_10empty_typeEbEEZZNS1_14partition_implILS8_3ELb0ES6_jNS0_17counting_iteratorIjlEEPS9_SE_NS0_5tupleIJPjSE_EEENSF_IJSE_SE_EEES9_SG_JZNS1_25segmented_radix_sort_implINS0_14default_configELb1EPKdPdPKlPlN2at6native12_GLOBAL__N_18offset_tEEE10hipError_tPvRmT1_PNSt15iterator_traitsISY_E10value_typeET2_T3_PNSZ_IS14_E10value_typeET4_jRbjT5_S1A_jjP12ihipStream_tbEUljE_EEESV_SW_SX_S14_S18_S1A_T6_T7_T9_mT8_S1C_bDpT10_ENKUlT_T0_E_clISt17integral_constantIbLb0EES1P_EEDaS1K_S1L_EUlS1K_E_NS1_11comp_targetILNS1_3genE4ELNS1_11target_archE910ELNS1_3gpuE8ELNS1_3repE0EEENS1_30default_config_static_selectorELNS0_4arch9wavefront6targetE1EEEvSY_,comdat
	.globl	_ZN7rocprim17ROCPRIM_400000_NS6detail17trampoline_kernelINS0_13select_configILj256ELj13ELNS0_17block_load_methodE3ELS4_3ELS4_3ELNS0_20block_scan_algorithmE0ELj4294967295EEENS1_25partition_config_selectorILNS1_17partition_subalgoE3EjNS0_10empty_typeEbEEZZNS1_14partition_implILS8_3ELb0ES6_jNS0_17counting_iteratorIjlEEPS9_SE_NS0_5tupleIJPjSE_EEENSF_IJSE_SE_EEES9_SG_JZNS1_25segmented_radix_sort_implINS0_14default_configELb1EPKdPdPKlPlN2at6native12_GLOBAL__N_18offset_tEEE10hipError_tPvRmT1_PNSt15iterator_traitsISY_E10value_typeET2_T3_PNSZ_IS14_E10value_typeET4_jRbjT5_S1A_jjP12ihipStream_tbEUljE_EEESV_SW_SX_S14_S18_S1A_T6_T7_T9_mT8_S1C_bDpT10_ENKUlT_T0_E_clISt17integral_constantIbLb0EES1P_EEDaS1K_S1L_EUlS1K_E_NS1_11comp_targetILNS1_3genE4ELNS1_11target_archE910ELNS1_3gpuE8ELNS1_3repE0EEENS1_30default_config_static_selectorELNS0_4arch9wavefront6targetE1EEEvSY_ ; -- Begin function _ZN7rocprim17ROCPRIM_400000_NS6detail17trampoline_kernelINS0_13select_configILj256ELj13ELNS0_17block_load_methodE3ELS4_3ELS4_3ELNS0_20block_scan_algorithmE0ELj4294967295EEENS1_25partition_config_selectorILNS1_17partition_subalgoE3EjNS0_10empty_typeEbEEZZNS1_14partition_implILS8_3ELb0ES6_jNS0_17counting_iteratorIjlEEPS9_SE_NS0_5tupleIJPjSE_EEENSF_IJSE_SE_EEES9_SG_JZNS1_25segmented_radix_sort_implINS0_14default_configELb1EPKdPdPKlPlN2at6native12_GLOBAL__N_18offset_tEEE10hipError_tPvRmT1_PNSt15iterator_traitsISY_E10value_typeET2_T3_PNSZ_IS14_E10value_typeET4_jRbjT5_S1A_jjP12ihipStream_tbEUljE_EEESV_SW_SX_S14_S18_S1A_T6_T7_T9_mT8_S1C_bDpT10_ENKUlT_T0_E_clISt17integral_constantIbLb0EES1P_EEDaS1K_S1L_EUlS1K_E_NS1_11comp_targetILNS1_3genE4ELNS1_11target_archE910ELNS1_3gpuE8ELNS1_3repE0EEENS1_30default_config_static_selectorELNS0_4arch9wavefront6targetE1EEEvSY_
	.p2align	8
	.type	_ZN7rocprim17ROCPRIM_400000_NS6detail17trampoline_kernelINS0_13select_configILj256ELj13ELNS0_17block_load_methodE3ELS4_3ELS4_3ELNS0_20block_scan_algorithmE0ELj4294967295EEENS1_25partition_config_selectorILNS1_17partition_subalgoE3EjNS0_10empty_typeEbEEZZNS1_14partition_implILS8_3ELb0ES6_jNS0_17counting_iteratorIjlEEPS9_SE_NS0_5tupleIJPjSE_EEENSF_IJSE_SE_EEES9_SG_JZNS1_25segmented_radix_sort_implINS0_14default_configELb1EPKdPdPKlPlN2at6native12_GLOBAL__N_18offset_tEEE10hipError_tPvRmT1_PNSt15iterator_traitsISY_E10value_typeET2_T3_PNSZ_IS14_E10value_typeET4_jRbjT5_S1A_jjP12ihipStream_tbEUljE_EEESV_SW_SX_S14_S18_S1A_T6_T7_T9_mT8_S1C_bDpT10_ENKUlT_T0_E_clISt17integral_constantIbLb0EES1P_EEDaS1K_S1L_EUlS1K_E_NS1_11comp_targetILNS1_3genE4ELNS1_11target_archE910ELNS1_3gpuE8ELNS1_3repE0EEENS1_30default_config_static_selectorELNS0_4arch9wavefront6targetE1EEEvSY_,@function
_ZN7rocprim17ROCPRIM_400000_NS6detail17trampoline_kernelINS0_13select_configILj256ELj13ELNS0_17block_load_methodE3ELS4_3ELS4_3ELNS0_20block_scan_algorithmE0ELj4294967295EEENS1_25partition_config_selectorILNS1_17partition_subalgoE3EjNS0_10empty_typeEbEEZZNS1_14partition_implILS8_3ELb0ES6_jNS0_17counting_iteratorIjlEEPS9_SE_NS0_5tupleIJPjSE_EEENSF_IJSE_SE_EEES9_SG_JZNS1_25segmented_radix_sort_implINS0_14default_configELb1EPKdPdPKlPlN2at6native12_GLOBAL__N_18offset_tEEE10hipError_tPvRmT1_PNSt15iterator_traitsISY_E10value_typeET2_T3_PNSZ_IS14_E10value_typeET4_jRbjT5_S1A_jjP12ihipStream_tbEUljE_EEESV_SW_SX_S14_S18_S1A_T6_T7_T9_mT8_S1C_bDpT10_ENKUlT_T0_E_clISt17integral_constantIbLb0EES1P_EEDaS1K_S1L_EUlS1K_E_NS1_11comp_targetILNS1_3genE4ELNS1_11target_archE910ELNS1_3gpuE8ELNS1_3repE0EEENS1_30default_config_static_selectorELNS0_4arch9wavefront6targetE1EEEvSY_: ; @_ZN7rocprim17ROCPRIM_400000_NS6detail17trampoline_kernelINS0_13select_configILj256ELj13ELNS0_17block_load_methodE3ELS4_3ELS4_3ELNS0_20block_scan_algorithmE0ELj4294967295EEENS1_25partition_config_selectorILNS1_17partition_subalgoE3EjNS0_10empty_typeEbEEZZNS1_14partition_implILS8_3ELb0ES6_jNS0_17counting_iteratorIjlEEPS9_SE_NS0_5tupleIJPjSE_EEENSF_IJSE_SE_EEES9_SG_JZNS1_25segmented_radix_sort_implINS0_14default_configELb1EPKdPdPKlPlN2at6native12_GLOBAL__N_18offset_tEEE10hipError_tPvRmT1_PNSt15iterator_traitsISY_E10value_typeET2_T3_PNSZ_IS14_E10value_typeET4_jRbjT5_S1A_jjP12ihipStream_tbEUljE_EEESV_SW_SX_S14_S18_S1A_T6_T7_T9_mT8_S1C_bDpT10_ENKUlT_T0_E_clISt17integral_constantIbLb0EES1P_EEDaS1K_S1L_EUlS1K_E_NS1_11comp_targetILNS1_3genE4ELNS1_11target_archE910ELNS1_3gpuE8ELNS1_3repE0EEENS1_30default_config_static_selectorELNS0_4arch9wavefront6targetE1EEEvSY_
; %bb.0:
	.section	.rodata,"a",@progbits
	.p2align	6, 0x0
	.amdhsa_kernel _ZN7rocprim17ROCPRIM_400000_NS6detail17trampoline_kernelINS0_13select_configILj256ELj13ELNS0_17block_load_methodE3ELS4_3ELS4_3ELNS0_20block_scan_algorithmE0ELj4294967295EEENS1_25partition_config_selectorILNS1_17partition_subalgoE3EjNS0_10empty_typeEbEEZZNS1_14partition_implILS8_3ELb0ES6_jNS0_17counting_iteratorIjlEEPS9_SE_NS0_5tupleIJPjSE_EEENSF_IJSE_SE_EEES9_SG_JZNS1_25segmented_radix_sort_implINS0_14default_configELb1EPKdPdPKlPlN2at6native12_GLOBAL__N_18offset_tEEE10hipError_tPvRmT1_PNSt15iterator_traitsISY_E10value_typeET2_T3_PNSZ_IS14_E10value_typeET4_jRbjT5_S1A_jjP12ihipStream_tbEUljE_EEESV_SW_SX_S14_S18_S1A_T6_T7_T9_mT8_S1C_bDpT10_ENKUlT_T0_E_clISt17integral_constantIbLb0EES1P_EEDaS1K_S1L_EUlS1K_E_NS1_11comp_targetILNS1_3genE4ELNS1_11target_archE910ELNS1_3gpuE8ELNS1_3repE0EEENS1_30default_config_static_selectorELNS0_4arch9wavefront6targetE1EEEvSY_
		.amdhsa_group_segment_fixed_size 0
		.amdhsa_private_segment_fixed_size 0
		.amdhsa_kernarg_size 144
		.amdhsa_user_sgpr_count 6
		.amdhsa_user_sgpr_private_segment_buffer 1
		.amdhsa_user_sgpr_dispatch_ptr 0
		.amdhsa_user_sgpr_queue_ptr 0
		.amdhsa_user_sgpr_kernarg_segment_ptr 1
		.amdhsa_user_sgpr_dispatch_id 0
		.amdhsa_user_sgpr_flat_scratch_init 0
		.amdhsa_user_sgpr_private_segment_size 0
		.amdhsa_uses_dynamic_stack 0
		.amdhsa_system_sgpr_private_segment_wavefront_offset 0
		.amdhsa_system_sgpr_workgroup_id_x 1
		.amdhsa_system_sgpr_workgroup_id_y 0
		.amdhsa_system_sgpr_workgroup_id_z 0
		.amdhsa_system_sgpr_workgroup_info 0
		.amdhsa_system_vgpr_workitem_id 0
		.amdhsa_next_free_vgpr 1
		.amdhsa_next_free_sgpr 0
		.amdhsa_reserve_vcc 0
		.amdhsa_reserve_flat_scratch 0
		.amdhsa_float_round_mode_32 0
		.amdhsa_float_round_mode_16_64 0
		.amdhsa_float_denorm_mode_32 3
		.amdhsa_float_denorm_mode_16_64 3
		.amdhsa_dx10_clamp 1
		.amdhsa_ieee_mode 1
		.amdhsa_fp16_overflow 0
		.amdhsa_exception_fp_ieee_invalid_op 0
		.amdhsa_exception_fp_denorm_src 0
		.amdhsa_exception_fp_ieee_div_zero 0
		.amdhsa_exception_fp_ieee_overflow 0
		.amdhsa_exception_fp_ieee_underflow 0
		.amdhsa_exception_fp_ieee_inexact 0
		.amdhsa_exception_int_div_zero 0
	.end_amdhsa_kernel
	.section	.text._ZN7rocprim17ROCPRIM_400000_NS6detail17trampoline_kernelINS0_13select_configILj256ELj13ELNS0_17block_load_methodE3ELS4_3ELS4_3ELNS0_20block_scan_algorithmE0ELj4294967295EEENS1_25partition_config_selectorILNS1_17partition_subalgoE3EjNS0_10empty_typeEbEEZZNS1_14partition_implILS8_3ELb0ES6_jNS0_17counting_iteratorIjlEEPS9_SE_NS0_5tupleIJPjSE_EEENSF_IJSE_SE_EEES9_SG_JZNS1_25segmented_radix_sort_implINS0_14default_configELb1EPKdPdPKlPlN2at6native12_GLOBAL__N_18offset_tEEE10hipError_tPvRmT1_PNSt15iterator_traitsISY_E10value_typeET2_T3_PNSZ_IS14_E10value_typeET4_jRbjT5_S1A_jjP12ihipStream_tbEUljE_EEESV_SW_SX_S14_S18_S1A_T6_T7_T9_mT8_S1C_bDpT10_ENKUlT_T0_E_clISt17integral_constantIbLb0EES1P_EEDaS1K_S1L_EUlS1K_E_NS1_11comp_targetILNS1_3genE4ELNS1_11target_archE910ELNS1_3gpuE8ELNS1_3repE0EEENS1_30default_config_static_selectorELNS0_4arch9wavefront6targetE1EEEvSY_,"axG",@progbits,_ZN7rocprim17ROCPRIM_400000_NS6detail17trampoline_kernelINS0_13select_configILj256ELj13ELNS0_17block_load_methodE3ELS4_3ELS4_3ELNS0_20block_scan_algorithmE0ELj4294967295EEENS1_25partition_config_selectorILNS1_17partition_subalgoE3EjNS0_10empty_typeEbEEZZNS1_14partition_implILS8_3ELb0ES6_jNS0_17counting_iteratorIjlEEPS9_SE_NS0_5tupleIJPjSE_EEENSF_IJSE_SE_EEES9_SG_JZNS1_25segmented_radix_sort_implINS0_14default_configELb1EPKdPdPKlPlN2at6native12_GLOBAL__N_18offset_tEEE10hipError_tPvRmT1_PNSt15iterator_traitsISY_E10value_typeET2_T3_PNSZ_IS14_E10value_typeET4_jRbjT5_S1A_jjP12ihipStream_tbEUljE_EEESV_SW_SX_S14_S18_S1A_T6_T7_T9_mT8_S1C_bDpT10_ENKUlT_T0_E_clISt17integral_constantIbLb0EES1P_EEDaS1K_S1L_EUlS1K_E_NS1_11comp_targetILNS1_3genE4ELNS1_11target_archE910ELNS1_3gpuE8ELNS1_3repE0EEENS1_30default_config_static_selectorELNS0_4arch9wavefront6targetE1EEEvSY_,comdat
.Lfunc_end1088:
	.size	_ZN7rocprim17ROCPRIM_400000_NS6detail17trampoline_kernelINS0_13select_configILj256ELj13ELNS0_17block_load_methodE3ELS4_3ELS4_3ELNS0_20block_scan_algorithmE0ELj4294967295EEENS1_25partition_config_selectorILNS1_17partition_subalgoE3EjNS0_10empty_typeEbEEZZNS1_14partition_implILS8_3ELb0ES6_jNS0_17counting_iteratorIjlEEPS9_SE_NS0_5tupleIJPjSE_EEENSF_IJSE_SE_EEES9_SG_JZNS1_25segmented_radix_sort_implINS0_14default_configELb1EPKdPdPKlPlN2at6native12_GLOBAL__N_18offset_tEEE10hipError_tPvRmT1_PNSt15iterator_traitsISY_E10value_typeET2_T3_PNSZ_IS14_E10value_typeET4_jRbjT5_S1A_jjP12ihipStream_tbEUljE_EEESV_SW_SX_S14_S18_S1A_T6_T7_T9_mT8_S1C_bDpT10_ENKUlT_T0_E_clISt17integral_constantIbLb0EES1P_EEDaS1K_S1L_EUlS1K_E_NS1_11comp_targetILNS1_3genE4ELNS1_11target_archE910ELNS1_3gpuE8ELNS1_3repE0EEENS1_30default_config_static_selectorELNS0_4arch9wavefront6targetE1EEEvSY_, .Lfunc_end1088-_ZN7rocprim17ROCPRIM_400000_NS6detail17trampoline_kernelINS0_13select_configILj256ELj13ELNS0_17block_load_methodE3ELS4_3ELS4_3ELNS0_20block_scan_algorithmE0ELj4294967295EEENS1_25partition_config_selectorILNS1_17partition_subalgoE3EjNS0_10empty_typeEbEEZZNS1_14partition_implILS8_3ELb0ES6_jNS0_17counting_iteratorIjlEEPS9_SE_NS0_5tupleIJPjSE_EEENSF_IJSE_SE_EEES9_SG_JZNS1_25segmented_radix_sort_implINS0_14default_configELb1EPKdPdPKlPlN2at6native12_GLOBAL__N_18offset_tEEE10hipError_tPvRmT1_PNSt15iterator_traitsISY_E10value_typeET2_T3_PNSZ_IS14_E10value_typeET4_jRbjT5_S1A_jjP12ihipStream_tbEUljE_EEESV_SW_SX_S14_S18_S1A_T6_T7_T9_mT8_S1C_bDpT10_ENKUlT_T0_E_clISt17integral_constantIbLb0EES1P_EEDaS1K_S1L_EUlS1K_E_NS1_11comp_targetILNS1_3genE4ELNS1_11target_archE910ELNS1_3gpuE8ELNS1_3repE0EEENS1_30default_config_static_selectorELNS0_4arch9wavefront6targetE1EEEvSY_
                                        ; -- End function
	.set _ZN7rocprim17ROCPRIM_400000_NS6detail17trampoline_kernelINS0_13select_configILj256ELj13ELNS0_17block_load_methodE3ELS4_3ELS4_3ELNS0_20block_scan_algorithmE0ELj4294967295EEENS1_25partition_config_selectorILNS1_17partition_subalgoE3EjNS0_10empty_typeEbEEZZNS1_14partition_implILS8_3ELb0ES6_jNS0_17counting_iteratorIjlEEPS9_SE_NS0_5tupleIJPjSE_EEENSF_IJSE_SE_EEES9_SG_JZNS1_25segmented_radix_sort_implINS0_14default_configELb1EPKdPdPKlPlN2at6native12_GLOBAL__N_18offset_tEEE10hipError_tPvRmT1_PNSt15iterator_traitsISY_E10value_typeET2_T3_PNSZ_IS14_E10value_typeET4_jRbjT5_S1A_jjP12ihipStream_tbEUljE_EEESV_SW_SX_S14_S18_S1A_T6_T7_T9_mT8_S1C_bDpT10_ENKUlT_T0_E_clISt17integral_constantIbLb0EES1P_EEDaS1K_S1L_EUlS1K_E_NS1_11comp_targetILNS1_3genE4ELNS1_11target_archE910ELNS1_3gpuE8ELNS1_3repE0EEENS1_30default_config_static_selectorELNS0_4arch9wavefront6targetE1EEEvSY_.num_vgpr, 0
	.set _ZN7rocprim17ROCPRIM_400000_NS6detail17trampoline_kernelINS0_13select_configILj256ELj13ELNS0_17block_load_methodE3ELS4_3ELS4_3ELNS0_20block_scan_algorithmE0ELj4294967295EEENS1_25partition_config_selectorILNS1_17partition_subalgoE3EjNS0_10empty_typeEbEEZZNS1_14partition_implILS8_3ELb0ES6_jNS0_17counting_iteratorIjlEEPS9_SE_NS0_5tupleIJPjSE_EEENSF_IJSE_SE_EEES9_SG_JZNS1_25segmented_radix_sort_implINS0_14default_configELb1EPKdPdPKlPlN2at6native12_GLOBAL__N_18offset_tEEE10hipError_tPvRmT1_PNSt15iterator_traitsISY_E10value_typeET2_T3_PNSZ_IS14_E10value_typeET4_jRbjT5_S1A_jjP12ihipStream_tbEUljE_EEESV_SW_SX_S14_S18_S1A_T6_T7_T9_mT8_S1C_bDpT10_ENKUlT_T0_E_clISt17integral_constantIbLb0EES1P_EEDaS1K_S1L_EUlS1K_E_NS1_11comp_targetILNS1_3genE4ELNS1_11target_archE910ELNS1_3gpuE8ELNS1_3repE0EEENS1_30default_config_static_selectorELNS0_4arch9wavefront6targetE1EEEvSY_.num_agpr, 0
	.set _ZN7rocprim17ROCPRIM_400000_NS6detail17trampoline_kernelINS0_13select_configILj256ELj13ELNS0_17block_load_methodE3ELS4_3ELS4_3ELNS0_20block_scan_algorithmE0ELj4294967295EEENS1_25partition_config_selectorILNS1_17partition_subalgoE3EjNS0_10empty_typeEbEEZZNS1_14partition_implILS8_3ELb0ES6_jNS0_17counting_iteratorIjlEEPS9_SE_NS0_5tupleIJPjSE_EEENSF_IJSE_SE_EEES9_SG_JZNS1_25segmented_radix_sort_implINS0_14default_configELb1EPKdPdPKlPlN2at6native12_GLOBAL__N_18offset_tEEE10hipError_tPvRmT1_PNSt15iterator_traitsISY_E10value_typeET2_T3_PNSZ_IS14_E10value_typeET4_jRbjT5_S1A_jjP12ihipStream_tbEUljE_EEESV_SW_SX_S14_S18_S1A_T6_T7_T9_mT8_S1C_bDpT10_ENKUlT_T0_E_clISt17integral_constantIbLb0EES1P_EEDaS1K_S1L_EUlS1K_E_NS1_11comp_targetILNS1_3genE4ELNS1_11target_archE910ELNS1_3gpuE8ELNS1_3repE0EEENS1_30default_config_static_selectorELNS0_4arch9wavefront6targetE1EEEvSY_.numbered_sgpr, 0
	.set _ZN7rocprim17ROCPRIM_400000_NS6detail17trampoline_kernelINS0_13select_configILj256ELj13ELNS0_17block_load_methodE3ELS4_3ELS4_3ELNS0_20block_scan_algorithmE0ELj4294967295EEENS1_25partition_config_selectorILNS1_17partition_subalgoE3EjNS0_10empty_typeEbEEZZNS1_14partition_implILS8_3ELb0ES6_jNS0_17counting_iteratorIjlEEPS9_SE_NS0_5tupleIJPjSE_EEENSF_IJSE_SE_EEES9_SG_JZNS1_25segmented_radix_sort_implINS0_14default_configELb1EPKdPdPKlPlN2at6native12_GLOBAL__N_18offset_tEEE10hipError_tPvRmT1_PNSt15iterator_traitsISY_E10value_typeET2_T3_PNSZ_IS14_E10value_typeET4_jRbjT5_S1A_jjP12ihipStream_tbEUljE_EEESV_SW_SX_S14_S18_S1A_T6_T7_T9_mT8_S1C_bDpT10_ENKUlT_T0_E_clISt17integral_constantIbLb0EES1P_EEDaS1K_S1L_EUlS1K_E_NS1_11comp_targetILNS1_3genE4ELNS1_11target_archE910ELNS1_3gpuE8ELNS1_3repE0EEENS1_30default_config_static_selectorELNS0_4arch9wavefront6targetE1EEEvSY_.num_named_barrier, 0
	.set _ZN7rocprim17ROCPRIM_400000_NS6detail17trampoline_kernelINS0_13select_configILj256ELj13ELNS0_17block_load_methodE3ELS4_3ELS4_3ELNS0_20block_scan_algorithmE0ELj4294967295EEENS1_25partition_config_selectorILNS1_17partition_subalgoE3EjNS0_10empty_typeEbEEZZNS1_14partition_implILS8_3ELb0ES6_jNS0_17counting_iteratorIjlEEPS9_SE_NS0_5tupleIJPjSE_EEENSF_IJSE_SE_EEES9_SG_JZNS1_25segmented_radix_sort_implINS0_14default_configELb1EPKdPdPKlPlN2at6native12_GLOBAL__N_18offset_tEEE10hipError_tPvRmT1_PNSt15iterator_traitsISY_E10value_typeET2_T3_PNSZ_IS14_E10value_typeET4_jRbjT5_S1A_jjP12ihipStream_tbEUljE_EEESV_SW_SX_S14_S18_S1A_T6_T7_T9_mT8_S1C_bDpT10_ENKUlT_T0_E_clISt17integral_constantIbLb0EES1P_EEDaS1K_S1L_EUlS1K_E_NS1_11comp_targetILNS1_3genE4ELNS1_11target_archE910ELNS1_3gpuE8ELNS1_3repE0EEENS1_30default_config_static_selectorELNS0_4arch9wavefront6targetE1EEEvSY_.private_seg_size, 0
	.set _ZN7rocprim17ROCPRIM_400000_NS6detail17trampoline_kernelINS0_13select_configILj256ELj13ELNS0_17block_load_methodE3ELS4_3ELS4_3ELNS0_20block_scan_algorithmE0ELj4294967295EEENS1_25partition_config_selectorILNS1_17partition_subalgoE3EjNS0_10empty_typeEbEEZZNS1_14partition_implILS8_3ELb0ES6_jNS0_17counting_iteratorIjlEEPS9_SE_NS0_5tupleIJPjSE_EEENSF_IJSE_SE_EEES9_SG_JZNS1_25segmented_radix_sort_implINS0_14default_configELb1EPKdPdPKlPlN2at6native12_GLOBAL__N_18offset_tEEE10hipError_tPvRmT1_PNSt15iterator_traitsISY_E10value_typeET2_T3_PNSZ_IS14_E10value_typeET4_jRbjT5_S1A_jjP12ihipStream_tbEUljE_EEESV_SW_SX_S14_S18_S1A_T6_T7_T9_mT8_S1C_bDpT10_ENKUlT_T0_E_clISt17integral_constantIbLb0EES1P_EEDaS1K_S1L_EUlS1K_E_NS1_11comp_targetILNS1_3genE4ELNS1_11target_archE910ELNS1_3gpuE8ELNS1_3repE0EEENS1_30default_config_static_selectorELNS0_4arch9wavefront6targetE1EEEvSY_.uses_vcc, 0
	.set _ZN7rocprim17ROCPRIM_400000_NS6detail17trampoline_kernelINS0_13select_configILj256ELj13ELNS0_17block_load_methodE3ELS4_3ELS4_3ELNS0_20block_scan_algorithmE0ELj4294967295EEENS1_25partition_config_selectorILNS1_17partition_subalgoE3EjNS0_10empty_typeEbEEZZNS1_14partition_implILS8_3ELb0ES6_jNS0_17counting_iteratorIjlEEPS9_SE_NS0_5tupleIJPjSE_EEENSF_IJSE_SE_EEES9_SG_JZNS1_25segmented_radix_sort_implINS0_14default_configELb1EPKdPdPKlPlN2at6native12_GLOBAL__N_18offset_tEEE10hipError_tPvRmT1_PNSt15iterator_traitsISY_E10value_typeET2_T3_PNSZ_IS14_E10value_typeET4_jRbjT5_S1A_jjP12ihipStream_tbEUljE_EEESV_SW_SX_S14_S18_S1A_T6_T7_T9_mT8_S1C_bDpT10_ENKUlT_T0_E_clISt17integral_constantIbLb0EES1P_EEDaS1K_S1L_EUlS1K_E_NS1_11comp_targetILNS1_3genE4ELNS1_11target_archE910ELNS1_3gpuE8ELNS1_3repE0EEENS1_30default_config_static_selectorELNS0_4arch9wavefront6targetE1EEEvSY_.uses_flat_scratch, 0
	.set _ZN7rocprim17ROCPRIM_400000_NS6detail17trampoline_kernelINS0_13select_configILj256ELj13ELNS0_17block_load_methodE3ELS4_3ELS4_3ELNS0_20block_scan_algorithmE0ELj4294967295EEENS1_25partition_config_selectorILNS1_17partition_subalgoE3EjNS0_10empty_typeEbEEZZNS1_14partition_implILS8_3ELb0ES6_jNS0_17counting_iteratorIjlEEPS9_SE_NS0_5tupleIJPjSE_EEENSF_IJSE_SE_EEES9_SG_JZNS1_25segmented_radix_sort_implINS0_14default_configELb1EPKdPdPKlPlN2at6native12_GLOBAL__N_18offset_tEEE10hipError_tPvRmT1_PNSt15iterator_traitsISY_E10value_typeET2_T3_PNSZ_IS14_E10value_typeET4_jRbjT5_S1A_jjP12ihipStream_tbEUljE_EEESV_SW_SX_S14_S18_S1A_T6_T7_T9_mT8_S1C_bDpT10_ENKUlT_T0_E_clISt17integral_constantIbLb0EES1P_EEDaS1K_S1L_EUlS1K_E_NS1_11comp_targetILNS1_3genE4ELNS1_11target_archE910ELNS1_3gpuE8ELNS1_3repE0EEENS1_30default_config_static_selectorELNS0_4arch9wavefront6targetE1EEEvSY_.has_dyn_sized_stack, 0
	.set _ZN7rocprim17ROCPRIM_400000_NS6detail17trampoline_kernelINS0_13select_configILj256ELj13ELNS0_17block_load_methodE3ELS4_3ELS4_3ELNS0_20block_scan_algorithmE0ELj4294967295EEENS1_25partition_config_selectorILNS1_17partition_subalgoE3EjNS0_10empty_typeEbEEZZNS1_14partition_implILS8_3ELb0ES6_jNS0_17counting_iteratorIjlEEPS9_SE_NS0_5tupleIJPjSE_EEENSF_IJSE_SE_EEES9_SG_JZNS1_25segmented_radix_sort_implINS0_14default_configELb1EPKdPdPKlPlN2at6native12_GLOBAL__N_18offset_tEEE10hipError_tPvRmT1_PNSt15iterator_traitsISY_E10value_typeET2_T3_PNSZ_IS14_E10value_typeET4_jRbjT5_S1A_jjP12ihipStream_tbEUljE_EEESV_SW_SX_S14_S18_S1A_T6_T7_T9_mT8_S1C_bDpT10_ENKUlT_T0_E_clISt17integral_constantIbLb0EES1P_EEDaS1K_S1L_EUlS1K_E_NS1_11comp_targetILNS1_3genE4ELNS1_11target_archE910ELNS1_3gpuE8ELNS1_3repE0EEENS1_30default_config_static_selectorELNS0_4arch9wavefront6targetE1EEEvSY_.has_recursion, 0
	.set _ZN7rocprim17ROCPRIM_400000_NS6detail17trampoline_kernelINS0_13select_configILj256ELj13ELNS0_17block_load_methodE3ELS4_3ELS4_3ELNS0_20block_scan_algorithmE0ELj4294967295EEENS1_25partition_config_selectorILNS1_17partition_subalgoE3EjNS0_10empty_typeEbEEZZNS1_14partition_implILS8_3ELb0ES6_jNS0_17counting_iteratorIjlEEPS9_SE_NS0_5tupleIJPjSE_EEENSF_IJSE_SE_EEES9_SG_JZNS1_25segmented_radix_sort_implINS0_14default_configELb1EPKdPdPKlPlN2at6native12_GLOBAL__N_18offset_tEEE10hipError_tPvRmT1_PNSt15iterator_traitsISY_E10value_typeET2_T3_PNSZ_IS14_E10value_typeET4_jRbjT5_S1A_jjP12ihipStream_tbEUljE_EEESV_SW_SX_S14_S18_S1A_T6_T7_T9_mT8_S1C_bDpT10_ENKUlT_T0_E_clISt17integral_constantIbLb0EES1P_EEDaS1K_S1L_EUlS1K_E_NS1_11comp_targetILNS1_3genE4ELNS1_11target_archE910ELNS1_3gpuE8ELNS1_3repE0EEENS1_30default_config_static_selectorELNS0_4arch9wavefront6targetE1EEEvSY_.has_indirect_call, 0
	.section	.AMDGPU.csdata,"",@progbits
; Kernel info:
; codeLenInByte = 0
; TotalNumSgprs: 4
; NumVgprs: 0
; ScratchSize: 0
; MemoryBound: 0
; FloatMode: 240
; IeeeMode: 1
; LDSByteSize: 0 bytes/workgroup (compile time only)
; SGPRBlocks: 0
; VGPRBlocks: 0
; NumSGPRsForWavesPerEU: 4
; NumVGPRsForWavesPerEU: 1
; Occupancy: 10
; WaveLimiterHint : 0
; COMPUTE_PGM_RSRC2:SCRATCH_EN: 0
; COMPUTE_PGM_RSRC2:USER_SGPR: 6
; COMPUTE_PGM_RSRC2:TRAP_HANDLER: 0
; COMPUTE_PGM_RSRC2:TGID_X_EN: 1
; COMPUTE_PGM_RSRC2:TGID_Y_EN: 0
; COMPUTE_PGM_RSRC2:TGID_Z_EN: 0
; COMPUTE_PGM_RSRC2:TIDIG_COMP_CNT: 0
	.section	.text._ZN7rocprim17ROCPRIM_400000_NS6detail17trampoline_kernelINS0_13select_configILj256ELj13ELNS0_17block_load_methodE3ELS4_3ELS4_3ELNS0_20block_scan_algorithmE0ELj4294967295EEENS1_25partition_config_selectorILNS1_17partition_subalgoE3EjNS0_10empty_typeEbEEZZNS1_14partition_implILS8_3ELb0ES6_jNS0_17counting_iteratorIjlEEPS9_SE_NS0_5tupleIJPjSE_EEENSF_IJSE_SE_EEES9_SG_JZNS1_25segmented_radix_sort_implINS0_14default_configELb1EPKdPdPKlPlN2at6native12_GLOBAL__N_18offset_tEEE10hipError_tPvRmT1_PNSt15iterator_traitsISY_E10value_typeET2_T3_PNSZ_IS14_E10value_typeET4_jRbjT5_S1A_jjP12ihipStream_tbEUljE_EEESV_SW_SX_S14_S18_S1A_T6_T7_T9_mT8_S1C_bDpT10_ENKUlT_T0_E_clISt17integral_constantIbLb0EES1P_EEDaS1K_S1L_EUlS1K_E_NS1_11comp_targetILNS1_3genE3ELNS1_11target_archE908ELNS1_3gpuE7ELNS1_3repE0EEENS1_30default_config_static_selectorELNS0_4arch9wavefront6targetE1EEEvSY_,"axG",@progbits,_ZN7rocprim17ROCPRIM_400000_NS6detail17trampoline_kernelINS0_13select_configILj256ELj13ELNS0_17block_load_methodE3ELS4_3ELS4_3ELNS0_20block_scan_algorithmE0ELj4294967295EEENS1_25partition_config_selectorILNS1_17partition_subalgoE3EjNS0_10empty_typeEbEEZZNS1_14partition_implILS8_3ELb0ES6_jNS0_17counting_iteratorIjlEEPS9_SE_NS0_5tupleIJPjSE_EEENSF_IJSE_SE_EEES9_SG_JZNS1_25segmented_radix_sort_implINS0_14default_configELb1EPKdPdPKlPlN2at6native12_GLOBAL__N_18offset_tEEE10hipError_tPvRmT1_PNSt15iterator_traitsISY_E10value_typeET2_T3_PNSZ_IS14_E10value_typeET4_jRbjT5_S1A_jjP12ihipStream_tbEUljE_EEESV_SW_SX_S14_S18_S1A_T6_T7_T9_mT8_S1C_bDpT10_ENKUlT_T0_E_clISt17integral_constantIbLb0EES1P_EEDaS1K_S1L_EUlS1K_E_NS1_11comp_targetILNS1_3genE3ELNS1_11target_archE908ELNS1_3gpuE7ELNS1_3repE0EEENS1_30default_config_static_selectorELNS0_4arch9wavefront6targetE1EEEvSY_,comdat
	.globl	_ZN7rocprim17ROCPRIM_400000_NS6detail17trampoline_kernelINS0_13select_configILj256ELj13ELNS0_17block_load_methodE3ELS4_3ELS4_3ELNS0_20block_scan_algorithmE0ELj4294967295EEENS1_25partition_config_selectorILNS1_17partition_subalgoE3EjNS0_10empty_typeEbEEZZNS1_14partition_implILS8_3ELb0ES6_jNS0_17counting_iteratorIjlEEPS9_SE_NS0_5tupleIJPjSE_EEENSF_IJSE_SE_EEES9_SG_JZNS1_25segmented_radix_sort_implINS0_14default_configELb1EPKdPdPKlPlN2at6native12_GLOBAL__N_18offset_tEEE10hipError_tPvRmT1_PNSt15iterator_traitsISY_E10value_typeET2_T3_PNSZ_IS14_E10value_typeET4_jRbjT5_S1A_jjP12ihipStream_tbEUljE_EEESV_SW_SX_S14_S18_S1A_T6_T7_T9_mT8_S1C_bDpT10_ENKUlT_T0_E_clISt17integral_constantIbLb0EES1P_EEDaS1K_S1L_EUlS1K_E_NS1_11comp_targetILNS1_3genE3ELNS1_11target_archE908ELNS1_3gpuE7ELNS1_3repE0EEENS1_30default_config_static_selectorELNS0_4arch9wavefront6targetE1EEEvSY_ ; -- Begin function _ZN7rocprim17ROCPRIM_400000_NS6detail17trampoline_kernelINS0_13select_configILj256ELj13ELNS0_17block_load_methodE3ELS4_3ELS4_3ELNS0_20block_scan_algorithmE0ELj4294967295EEENS1_25partition_config_selectorILNS1_17partition_subalgoE3EjNS0_10empty_typeEbEEZZNS1_14partition_implILS8_3ELb0ES6_jNS0_17counting_iteratorIjlEEPS9_SE_NS0_5tupleIJPjSE_EEENSF_IJSE_SE_EEES9_SG_JZNS1_25segmented_radix_sort_implINS0_14default_configELb1EPKdPdPKlPlN2at6native12_GLOBAL__N_18offset_tEEE10hipError_tPvRmT1_PNSt15iterator_traitsISY_E10value_typeET2_T3_PNSZ_IS14_E10value_typeET4_jRbjT5_S1A_jjP12ihipStream_tbEUljE_EEESV_SW_SX_S14_S18_S1A_T6_T7_T9_mT8_S1C_bDpT10_ENKUlT_T0_E_clISt17integral_constantIbLb0EES1P_EEDaS1K_S1L_EUlS1K_E_NS1_11comp_targetILNS1_3genE3ELNS1_11target_archE908ELNS1_3gpuE7ELNS1_3repE0EEENS1_30default_config_static_selectorELNS0_4arch9wavefront6targetE1EEEvSY_
	.p2align	8
	.type	_ZN7rocprim17ROCPRIM_400000_NS6detail17trampoline_kernelINS0_13select_configILj256ELj13ELNS0_17block_load_methodE3ELS4_3ELS4_3ELNS0_20block_scan_algorithmE0ELj4294967295EEENS1_25partition_config_selectorILNS1_17partition_subalgoE3EjNS0_10empty_typeEbEEZZNS1_14partition_implILS8_3ELb0ES6_jNS0_17counting_iteratorIjlEEPS9_SE_NS0_5tupleIJPjSE_EEENSF_IJSE_SE_EEES9_SG_JZNS1_25segmented_radix_sort_implINS0_14default_configELb1EPKdPdPKlPlN2at6native12_GLOBAL__N_18offset_tEEE10hipError_tPvRmT1_PNSt15iterator_traitsISY_E10value_typeET2_T3_PNSZ_IS14_E10value_typeET4_jRbjT5_S1A_jjP12ihipStream_tbEUljE_EEESV_SW_SX_S14_S18_S1A_T6_T7_T9_mT8_S1C_bDpT10_ENKUlT_T0_E_clISt17integral_constantIbLb0EES1P_EEDaS1K_S1L_EUlS1K_E_NS1_11comp_targetILNS1_3genE3ELNS1_11target_archE908ELNS1_3gpuE7ELNS1_3repE0EEENS1_30default_config_static_selectorELNS0_4arch9wavefront6targetE1EEEvSY_,@function
_ZN7rocprim17ROCPRIM_400000_NS6detail17trampoline_kernelINS0_13select_configILj256ELj13ELNS0_17block_load_methodE3ELS4_3ELS4_3ELNS0_20block_scan_algorithmE0ELj4294967295EEENS1_25partition_config_selectorILNS1_17partition_subalgoE3EjNS0_10empty_typeEbEEZZNS1_14partition_implILS8_3ELb0ES6_jNS0_17counting_iteratorIjlEEPS9_SE_NS0_5tupleIJPjSE_EEENSF_IJSE_SE_EEES9_SG_JZNS1_25segmented_radix_sort_implINS0_14default_configELb1EPKdPdPKlPlN2at6native12_GLOBAL__N_18offset_tEEE10hipError_tPvRmT1_PNSt15iterator_traitsISY_E10value_typeET2_T3_PNSZ_IS14_E10value_typeET4_jRbjT5_S1A_jjP12ihipStream_tbEUljE_EEESV_SW_SX_S14_S18_S1A_T6_T7_T9_mT8_S1C_bDpT10_ENKUlT_T0_E_clISt17integral_constantIbLb0EES1P_EEDaS1K_S1L_EUlS1K_E_NS1_11comp_targetILNS1_3genE3ELNS1_11target_archE908ELNS1_3gpuE7ELNS1_3repE0EEENS1_30default_config_static_selectorELNS0_4arch9wavefront6targetE1EEEvSY_: ; @_ZN7rocprim17ROCPRIM_400000_NS6detail17trampoline_kernelINS0_13select_configILj256ELj13ELNS0_17block_load_methodE3ELS4_3ELS4_3ELNS0_20block_scan_algorithmE0ELj4294967295EEENS1_25partition_config_selectorILNS1_17partition_subalgoE3EjNS0_10empty_typeEbEEZZNS1_14partition_implILS8_3ELb0ES6_jNS0_17counting_iteratorIjlEEPS9_SE_NS0_5tupleIJPjSE_EEENSF_IJSE_SE_EEES9_SG_JZNS1_25segmented_radix_sort_implINS0_14default_configELb1EPKdPdPKlPlN2at6native12_GLOBAL__N_18offset_tEEE10hipError_tPvRmT1_PNSt15iterator_traitsISY_E10value_typeET2_T3_PNSZ_IS14_E10value_typeET4_jRbjT5_S1A_jjP12ihipStream_tbEUljE_EEESV_SW_SX_S14_S18_S1A_T6_T7_T9_mT8_S1C_bDpT10_ENKUlT_T0_E_clISt17integral_constantIbLb0EES1P_EEDaS1K_S1L_EUlS1K_E_NS1_11comp_targetILNS1_3genE3ELNS1_11target_archE908ELNS1_3gpuE7ELNS1_3repE0EEENS1_30default_config_static_selectorELNS0_4arch9wavefront6targetE1EEEvSY_
; %bb.0:
	.section	.rodata,"a",@progbits
	.p2align	6, 0x0
	.amdhsa_kernel _ZN7rocprim17ROCPRIM_400000_NS6detail17trampoline_kernelINS0_13select_configILj256ELj13ELNS0_17block_load_methodE3ELS4_3ELS4_3ELNS0_20block_scan_algorithmE0ELj4294967295EEENS1_25partition_config_selectorILNS1_17partition_subalgoE3EjNS0_10empty_typeEbEEZZNS1_14partition_implILS8_3ELb0ES6_jNS0_17counting_iteratorIjlEEPS9_SE_NS0_5tupleIJPjSE_EEENSF_IJSE_SE_EEES9_SG_JZNS1_25segmented_radix_sort_implINS0_14default_configELb1EPKdPdPKlPlN2at6native12_GLOBAL__N_18offset_tEEE10hipError_tPvRmT1_PNSt15iterator_traitsISY_E10value_typeET2_T3_PNSZ_IS14_E10value_typeET4_jRbjT5_S1A_jjP12ihipStream_tbEUljE_EEESV_SW_SX_S14_S18_S1A_T6_T7_T9_mT8_S1C_bDpT10_ENKUlT_T0_E_clISt17integral_constantIbLb0EES1P_EEDaS1K_S1L_EUlS1K_E_NS1_11comp_targetILNS1_3genE3ELNS1_11target_archE908ELNS1_3gpuE7ELNS1_3repE0EEENS1_30default_config_static_selectorELNS0_4arch9wavefront6targetE1EEEvSY_
		.amdhsa_group_segment_fixed_size 0
		.amdhsa_private_segment_fixed_size 0
		.amdhsa_kernarg_size 144
		.amdhsa_user_sgpr_count 6
		.amdhsa_user_sgpr_private_segment_buffer 1
		.amdhsa_user_sgpr_dispatch_ptr 0
		.amdhsa_user_sgpr_queue_ptr 0
		.amdhsa_user_sgpr_kernarg_segment_ptr 1
		.amdhsa_user_sgpr_dispatch_id 0
		.amdhsa_user_sgpr_flat_scratch_init 0
		.amdhsa_user_sgpr_private_segment_size 0
		.amdhsa_uses_dynamic_stack 0
		.amdhsa_system_sgpr_private_segment_wavefront_offset 0
		.amdhsa_system_sgpr_workgroup_id_x 1
		.amdhsa_system_sgpr_workgroup_id_y 0
		.amdhsa_system_sgpr_workgroup_id_z 0
		.amdhsa_system_sgpr_workgroup_info 0
		.amdhsa_system_vgpr_workitem_id 0
		.amdhsa_next_free_vgpr 1
		.amdhsa_next_free_sgpr 0
		.amdhsa_reserve_vcc 0
		.amdhsa_reserve_flat_scratch 0
		.amdhsa_float_round_mode_32 0
		.amdhsa_float_round_mode_16_64 0
		.amdhsa_float_denorm_mode_32 3
		.amdhsa_float_denorm_mode_16_64 3
		.amdhsa_dx10_clamp 1
		.amdhsa_ieee_mode 1
		.amdhsa_fp16_overflow 0
		.amdhsa_exception_fp_ieee_invalid_op 0
		.amdhsa_exception_fp_denorm_src 0
		.amdhsa_exception_fp_ieee_div_zero 0
		.amdhsa_exception_fp_ieee_overflow 0
		.amdhsa_exception_fp_ieee_underflow 0
		.amdhsa_exception_fp_ieee_inexact 0
		.amdhsa_exception_int_div_zero 0
	.end_amdhsa_kernel
	.section	.text._ZN7rocprim17ROCPRIM_400000_NS6detail17trampoline_kernelINS0_13select_configILj256ELj13ELNS0_17block_load_methodE3ELS4_3ELS4_3ELNS0_20block_scan_algorithmE0ELj4294967295EEENS1_25partition_config_selectorILNS1_17partition_subalgoE3EjNS0_10empty_typeEbEEZZNS1_14partition_implILS8_3ELb0ES6_jNS0_17counting_iteratorIjlEEPS9_SE_NS0_5tupleIJPjSE_EEENSF_IJSE_SE_EEES9_SG_JZNS1_25segmented_radix_sort_implINS0_14default_configELb1EPKdPdPKlPlN2at6native12_GLOBAL__N_18offset_tEEE10hipError_tPvRmT1_PNSt15iterator_traitsISY_E10value_typeET2_T3_PNSZ_IS14_E10value_typeET4_jRbjT5_S1A_jjP12ihipStream_tbEUljE_EEESV_SW_SX_S14_S18_S1A_T6_T7_T9_mT8_S1C_bDpT10_ENKUlT_T0_E_clISt17integral_constantIbLb0EES1P_EEDaS1K_S1L_EUlS1K_E_NS1_11comp_targetILNS1_3genE3ELNS1_11target_archE908ELNS1_3gpuE7ELNS1_3repE0EEENS1_30default_config_static_selectorELNS0_4arch9wavefront6targetE1EEEvSY_,"axG",@progbits,_ZN7rocprim17ROCPRIM_400000_NS6detail17trampoline_kernelINS0_13select_configILj256ELj13ELNS0_17block_load_methodE3ELS4_3ELS4_3ELNS0_20block_scan_algorithmE0ELj4294967295EEENS1_25partition_config_selectorILNS1_17partition_subalgoE3EjNS0_10empty_typeEbEEZZNS1_14partition_implILS8_3ELb0ES6_jNS0_17counting_iteratorIjlEEPS9_SE_NS0_5tupleIJPjSE_EEENSF_IJSE_SE_EEES9_SG_JZNS1_25segmented_radix_sort_implINS0_14default_configELb1EPKdPdPKlPlN2at6native12_GLOBAL__N_18offset_tEEE10hipError_tPvRmT1_PNSt15iterator_traitsISY_E10value_typeET2_T3_PNSZ_IS14_E10value_typeET4_jRbjT5_S1A_jjP12ihipStream_tbEUljE_EEESV_SW_SX_S14_S18_S1A_T6_T7_T9_mT8_S1C_bDpT10_ENKUlT_T0_E_clISt17integral_constantIbLb0EES1P_EEDaS1K_S1L_EUlS1K_E_NS1_11comp_targetILNS1_3genE3ELNS1_11target_archE908ELNS1_3gpuE7ELNS1_3repE0EEENS1_30default_config_static_selectorELNS0_4arch9wavefront6targetE1EEEvSY_,comdat
.Lfunc_end1089:
	.size	_ZN7rocprim17ROCPRIM_400000_NS6detail17trampoline_kernelINS0_13select_configILj256ELj13ELNS0_17block_load_methodE3ELS4_3ELS4_3ELNS0_20block_scan_algorithmE0ELj4294967295EEENS1_25partition_config_selectorILNS1_17partition_subalgoE3EjNS0_10empty_typeEbEEZZNS1_14partition_implILS8_3ELb0ES6_jNS0_17counting_iteratorIjlEEPS9_SE_NS0_5tupleIJPjSE_EEENSF_IJSE_SE_EEES9_SG_JZNS1_25segmented_radix_sort_implINS0_14default_configELb1EPKdPdPKlPlN2at6native12_GLOBAL__N_18offset_tEEE10hipError_tPvRmT1_PNSt15iterator_traitsISY_E10value_typeET2_T3_PNSZ_IS14_E10value_typeET4_jRbjT5_S1A_jjP12ihipStream_tbEUljE_EEESV_SW_SX_S14_S18_S1A_T6_T7_T9_mT8_S1C_bDpT10_ENKUlT_T0_E_clISt17integral_constantIbLb0EES1P_EEDaS1K_S1L_EUlS1K_E_NS1_11comp_targetILNS1_3genE3ELNS1_11target_archE908ELNS1_3gpuE7ELNS1_3repE0EEENS1_30default_config_static_selectorELNS0_4arch9wavefront6targetE1EEEvSY_, .Lfunc_end1089-_ZN7rocprim17ROCPRIM_400000_NS6detail17trampoline_kernelINS0_13select_configILj256ELj13ELNS0_17block_load_methodE3ELS4_3ELS4_3ELNS0_20block_scan_algorithmE0ELj4294967295EEENS1_25partition_config_selectorILNS1_17partition_subalgoE3EjNS0_10empty_typeEbEEZZNS1_14partition_implILS8_3ELb0ES6_jNS0_17counting_iteratorIjlEEPS9_SE_NS0_5tupleIJPjSE_EEENSF_IJSE_SE_EEES9_SG_JZNS1_25segmented_radix_sort_implINS0_14default_configELb1EPKdPdPKlPlN2at6native12_GLOBAL__N_18offset_tEEE10hipError_tPvRmT1_PNSt15iterator_traitsISY_E10value_typeET2_T3_PNSZ_IS14_E10value_typeET4_jRbjT5_S1A_jjP12ihipStream_tbEUljE_EEESV_SW_SX_S14_S18_S1A_T6_T7_T9_mT8_S1C_bDpT10_ENKUlT_T0_E_clISt17integral_constantIbLb0EES1P_EEDaS1K_S1L_EUlS1K_E_NS1_11comp_targetILNS1_3genE3ELNS1_11target_archE908ELNS1_3gpuE7ELNS1_3repE0EEENS1_30default_config_static_selectorELNS0_4arch9wavefront6targetE1EEEvSY_
                                        ; -- End function
	.set _ZN7rocprim17ROCPRIM_400000_NS6detail17trampoline_kernelINS0_13select_configILj256ELj13ELNS0_17block_load_methodE3ELS4_3ELS4_3ELNS0_20block_scan_algorithmE0ELj4294967295EEENS1_25partition_config_selectorILNS1_17partition_subalgoE3EjNS0_10empty_typeEbEEZZNS1_14partition_implILS8_3ELb0ES6_jNS0_17counting_iteratorIjlEEPS9_SE_NS0_5tupleIJPjSE_EEENSF_IJSE_SE_EEES9_SG_JZNS1_25segmented_radix_sort_implINS0_14default_configELb1EPKdPdPKlPlN2at6native12_GLOBAL__N_18offset_tEEE10hipError_tPvRmT1_PNSt15iterator_traitsISY_E10value_typeET2_T3_PNSZ_IS14_E10value_typeET4_jRbjT5_S1A_jjP12ihipStream_tbEUljE_EEESV_SW_SX_S14_S18_S1A_T6_T7_T9_mT8_S1C_bDpT10_ENKUlT_T0_E_clISt17integral_constantIbLb0EES1P_EEDaS1K_S1L_EUlS1K_E_NS1_11comp_targetILNS1_3genE3ELNS1_11target_archE908ELNS1_3gpuE7ELNS1_3repE0EEENS1_30default_config_static_selectorELNS0_4arch9wavefront6targetE1EEEvSY_.num_vgpr, 0
	.set _ZN7rocprim17ROCPRIM_400000_NS6detail17trampoline_kernelINS0_13select_configILj256ELj13ELNS0_17block_load_methodE3ELS4_3ELS4_3ELNS0_20block_scan_algorithmE0ELj4294967295EEENS1_25partition_config_selectorILNS1_17partition_subalgoE3EjNS0_10empty_typeEbEEZZNS1_14partition_implILS8_3ELb0ES6_jNS0_17counting_iteratorIjlEEPS9_SE_NS0_5tupleIJPjSE_EEENSF_IJSE_SE_EEES9_SG_JZNS1_25segmented_radix_sort_implINS0_14default_configELb1EPKdPdPKlPlN2at6native12_GLOBAL__N_18offset_tEEE10hipError_tPvRmT1_PNSt15iterator_traitsISY_E10value_typeET2_T3_PNSZ_IS14_E10value_typeET4_jRbjT5_S1A_jjP12ihipStream_tbEUljE_EEESV_SW_SX_S14_S18_S1A_T6_T7_T9_mT8_S1C_bDpT10_ENKUlT_T0_E_clISt17integral_constantIbLb0EES1P_EEDaS1K_S1L_EUlS1K_E_NS1_11comp_targetILNS1_3genE3ELNS1_11target_archE908ELNS1_3gpuE7ELNS1_3repE0EEENS1_30default_config_static_selectorELNS0_4arch9wavefront6targetE1EEEvSY_.num_agpr, 0
	.set _ZN7rocprim17ROCPRIM_400000_NS6detail17trampoline_kernelINS0_13select_configILj256ELj13ELNS0_17block_load_methodE3ELS4_3ELS4_3ELNS0_20block_scan_algorithmE0ELj4294967295EEENS1_25partition_config_selectorILNS1_17partition_subalgoE3EjNS0_10empty_typeEbEEZZNS1_14partition_implILS8_3ELb0ES6_jNS0_17counting_iteratorIjlEEPS9_SE_NS0_5tupleIJPjSE_EEENSF_IJSE_SE_EEES9_SG_JZNS1_25segmented_radix_sort_implINS0_14default_configELb1EPKdPdPKlPlN2at6native12_GLOBAL__N_18offset_tEEE10hipError_tPvRmT1_PNSt15iterator_traitsISY_E10value_typeET2_T3_PNSZ_IS14_E10value_typeET4_jRbjT5_S1A_jjP12ihipStream_tbEUljE_EEESV_SW_SX_S14_S18_S1A_T6_T7_T9_mT8_S1C_bDpT10_ENKUlT_T0_E_clISt17integral_constantIbLb0EES1P_EEDaS1K_S1L_EUlS1K_E_NS1_11comp_targetILNS1_3genE3ELNS1_11target_archE908ELNS1_3gpuE7ELNS1_3repE0EEENS1_30default_config_static_selectorELNS0_4arch9wavefront6targetE1EEEvSY_.numbered_sgpr, 0
	.set _ZN7rocprim17ROCPRIM_400000_NS6detail17trampoline_kernelINS0_13select_configILj256ELj13ELNS0_17block_load_methodE3ELS4_3ELS4_3ELNS0_20block_scan_algorithmE0ELj4294967295EEENS1_25partition_config_selectorILNS1_17partition_subalgoE3EjNS0_10empty_typeEbEEZZNS1_14partition_implILS8_3ELb0ES6_jNS0_17counting_iteratorIjlEEPS9_SE_NS0_5tupleIJPjSE_EEENSF_IJSE_SE_EEES9_SG_JZNS1_25segmented_radix_sort_implINS0_14default_configELb1EPKdPdPKlPlN2at6native12_GLOBAL__N_18offset_tEEE10hipError_tPvRmT1_PNSt15iterator_traitsISY_E10value_typeET2_T3_PNSZ_IS14_E10value_typeET4_jRbjT5_S1A_jjP12ihipStream_tbEUljE_EEESV_SW_SX_S14_S18_S1A_T6_T7_T9_mT8_S1C_bDpT10_ENKUlT_T0_E_clISt17integral_constantIbLb0EES1P_EEDaS1K_S1L_EUlS1K_E_NS1_11comp_targetILNS1_3genE3ELNS1_11target_archE908ELNS1_3gpuE7ELNS1_3repE0EEENS1_30default_config_static_selectorELNS0_4arch9wavefront6targetE1EEEvSY_.num_named_barrier, 0
	.set _ZN7rocprim17ROCPRIM_400000_NS6detail17trampoline_kernelINS0_13select_configILj256ELj13ELNS0_17block_load_methodE3ELS4_3ELS4_3ELNS0_20block_scan_algorithmE0ELj4294967295EEENS1_25partition_config_selectorILNS1_17partition_subalgoE3EjNS0_10empty_typeEbEEZZNS1_14partition_implILS8_3ELb0ES6_jNS0_17counting_iteratorIjlEEPS9_SE_NS0_5tupleIJPjSE_EEENSF_IJSE_SE_EEES9_SG_JZNS1_25segmented_radix_sort_implINS0_14default_configELb1EPKdPdPKlPlN2at6native12_GLOBAL__N_18offset_tEEE10hipError_tPvRmT1_PNSt15iterator_traitsISY_E10value_typeET2_T3_PNSZ_IS14_E10value_typeET4_jRbjT5_S1A_jjP12ihipStream_tbEUljE_EEESV_SW_SX_S14_S18_S1A_T6_T7_T9_mT8_S1C_bDpT10_ENKUlT_T0_E_clISt17integral_constantIbLb0EES1P_EEDaS1K_S1L_EUlS1K_E_NS1_11comp_targetILNS1_3genE3ELNS1_11target_archE908ELNS1_3gpuE7ELNS1_3repE0EEENS1_30default_config_static_selectorELNS0_4arch9wavefront6targetE1EEEvSY_.private_seg_size, 0
	.set _ZN7rocprim17ROCPRIM_400000_NS6detail17trampoline_kernelINS0_13select_configILj256ELj13ELNS0_17block_load_methodE3ELS4_3ELS4_3ELNS0_20block_scan_algorithmE0ELj4294967295EEENS1_25partition_config_selectorILNS1_17partition_subalgoE3EjNS0_10empty_typeEbEEZZNS1_14partition_implILS8_3ELb0ES6_jNS0_17counting_iteratorIjlEEPS9_SE_NS0_5tupleIJPjSE_EEENSF_IJSE_SE_EEES9_SG_JZNS1_25segmented_radix_sort_implINS0_14default_configELb1EPKdPdPKlPlN2at6native12_GLOBAL__N_18offset_tEEE10hipError_tPvRmT1_PNSt15iterator_traitsISY_E10value_typeET2_T3_PNSZ_IS14_E10value_typeET4_jRbjT5_S1A_jjP12ihipStream_tbEUljE_EEESV_SW_SX_S14_S18_S1A_T6_T7_T9_mT8_S1C_bDpT10_ENKUlT_T0_E_clISt17integral_constantIbLb0EES1P_EEDaS1K_S1L_EUlS1K_E_NS1_11comp_targetILNS1_3genE3ELNS1_11target_archE908ELNS1_3gpuE7ELNS1_3repE0EEENS1_30default_config_static_selectorELNS0_4arch9wavefront6targetE1EEEvSY_.uses_vcc, 0
	.set _ZN7rocprim17ROCPRIM_400000_NS6detail17trampoline_kernelINS0_13select_configILj256ELj13ELNS0_17block_load_methodE3ELS4_3ELS4_3ELNS0_20block_scan_algorithmE0ELj4294967295EEENS1_25partition_config_selectorILNS1_17partition_subalgoE3EjNS0_10empty_typeEbEEZZNS1_14partition_implILS8_3ELb0ES6_jNS0_17counting_iteratorIjlEEPS9_SE_NS0_5tupleIJPjSE_EEENSF_IJSE_SE_EEES9_SG_JZNS1_25segmented_radix_sort_implINS0_14default_configELb1EPKdPdPKlPlN2at6native12_GLOBAL__N_18offset_tEEE10hipError_tPvRmT1_PNSt15iterator_traitsISY_E10value_typeET2_T3_PNSZ_IS14_E10value_typeET4_jRbjT5_S1A_jjP12ihipStream_tbEUljE_EEESV_SW_SX_S14_S18_S1A_T6_T7_T9_mT8_S1C_bDpT10_ENKUlT_T0_E_clISt17integral_constantIbLb0EES1P_EEDaS1K_S1L_EUlS1K_E_NS1_11comp_targetILNS1_3genE3ELNS1_11target_archE908ELNS1_3gpuE7ELNS1_3repE0EEENS1_30default_config_static_selectorELNS0_4arch9wavefront6targetE1EEEvSY_.uses_flat_scratch, 0
	.set _ZN7rocprim17ROCPRIM_400000_NS6detail17trampoline_kernelINS0_13select_configILj256ELj13ELNS0_17block_load_methodE3ELS4_3ELS4_3ELNS0_20block_scan_algorithmE0ELj4294967295EEENS1_25partition_config_selectorILNS1_17partition_subalgoE3EjNS0_10empty_typeEbEEZZNS1_14partition_implILS8_3ELb0ES6_jNS0_17counting_iteratorIjlEEPS9_SE_NS0_5tupleIJPjSE_EEENSF_IJSE_SE_EEES9_SG_JZNS1_25segmented_radix_sort_implINS0_14default_configELb1EPKdPdPKlPlN2at6native12_GLOBAL__N_18offset_tEEE10hipError_tPvRmT1_PNSt15iterator_traitsISY_E10value_typeET2_T3_PNSZ_IS14_E10value_typeET4_jRbjT5_S1A_jjP12ihipStream_tbEUljE_EEESV_SW_SX_S14_S18_S1A_T6_T7_T9_mT8_S1C_bDpT10_ENKUlT_T0_E_clISt17integral_constantIbLb0EES1P_EEDaS1K_S1L_EUlS1K_E_NS1_11comp_targetILNS1_3genE3ELNS1_11target_archE908ELNS1_3gpuE7ELNS1_3repE0EEENS1_30default_config_static_selectorELNS0_4arch9wavefront6targetE1EEEvSY_.has_dyn_sized_stack, 0
	.set _ZN7rocprim17ROCPRIM_400000_NS6detail17trampoline_kernelINS0_13select_configILj256ELj13ELNS0_17block_load_methodE3ELS4_3ELS4_3ELNS0_20block_scan_algorithmE0ELj4294967295EEENS1_25partition_config_selectorILNS1_17partition_subalgoE3EjNS0_10empty_typeEbEEZZNS1_14partition_implILS8_3ELb0ES6_jNS0_17counting_iteratorIjlEEPS9_SE_NS0_5tupleIJPjSE_EEENSF_IJSE_SE_EEES9_SG_JZNS1_25segmented_radix_sort_implINS0_14default_configELb1EPKdPdPKlPlN2at6native12_GLOBAL__N_18offset_tEEE10hipError_tPvRmT1_PNSt15iterator_traitsISY_E10value_typeET2_T3_PNSZ_IS14_E10value_typeET4_jRbjT5_S1A_jjP12ihipStream_tbEUljE_EEESV_SW_SX_S14_S18_S1A_T6_T7_T9_mT8_S1C_bDpT10_ENKUlT_T0_E_clISt17integral_constantIbLb0EES1P_EEDaS1K_S1L_EUlS1K_E_NS1_11comp_targetILNS1_3genE3ELNS1_11target_archE908ELNS1_3gpuE7ELNS1_3repE0EEENS1_30default_config_static_selectorELNS0_4arch9wavefront6targetE1EEEvSY_.has_recursion, 0
	.set _ZN7rocprim17ROCPRIM_400000_NS6detail17trampoline_kernelINS0_13select_configILj256ELj13ELNS0_17block_load_methodE3ELS4_3ELS4_3ELNS0_20block_scan_algorithmE0ELj4294967295EEENS1_25partition_config_selectorILNS1_17partition_subalgoE3EjNS0_10empty_typeEbEEZZNS1_14partition_implILS8_3ELb0ES6_jNS0_17counting_iteratorIjlEEPS9_SE_NS0_5tupleIJPjSE_EEENSF_IJSE_SE_EEES9_SG_JZNS1_25segmented_radix_sort_implINS0_14default_configELb1EPKdPdPKlPlN2at6native12_GLOBAL__N_18offset_tEEE10hipError_tPvRmT1_PNSt15iterator_traitsISY_E10value_typeET2_T3_PNSZ_IS14_E10value_typeET4_jRbjT5_S1A_jjP12ihipStream_tbEUljE_EEESV_SW_SX_S14_S18_S1A_T6_T7_T9_mT8_S1C_bDpT10_ENKUlT_T0_E_clISt17integral_constantIbLb0EES1P_EEDaS1K_S1L_EUlS1K_E_NS1_11comp_targetILNS1_3genE3ELNS1_11target_archE908ELNS1_3gpuE7ELNS1_3repE0EEENS1_30default_config_static_selectorELNS0_4arch9wavefront6targetE1EEEvSY_.has_indirect_call, 0
	.section	.AMDGPU.csdata,"",@progbits
; Kernel info:
; codeLenInByte = 0
; TotalNumSgprs: 4
; NumVgprs: 0
; ScratchSize: 0
; MemoryBound: 0
; FloatMode: 240
; IeeeMode: 1
; LDSByteSize: 0 bytes/workgroup (compile time only)
; SGPRBlocks: 0
; VGPRBlocks: 0
; NumSGPRsForWavesPerEU: 4
; NumVGPRsForWavesPerEU: 1
; Occupancy: 10
; WaveLimiterHint : 0
; COMPUTE_PGM_RSRC2:SCRATCH_EN: 0
; COMPUTE_PGM_RSRC2:USER_SGPR: 6
; COMPUTE_PGM_RSRC2:TRAP_HANDLER: 0
; COMPUTE_PGM_RSRC2:TGID_X_EN: 1
; COMPUTE_PGM_RSRC2:TGID_Y_EN: 0
; COMPUTE_PGM_RSRC2:TGID_Z_EN: 0
; COMPUTE_PGM_RSRC2:TIDIG_COMP_CNT: 0
	.section	.text._ZN7rocprim17ROCPRIM_400000_NS6detail17trampoline_kernelINS0_13select_configILj256ELj13ELNS0_17block_load_methodE3ELS4_3ELS4_3ELNS0_20block_scan_algorithmE0ELj4294967295EEENS1_25partition_config_selectorILNS1_17partition_subalgoE3EjNS0_10empty_typeEbEEZZNS1_14partition_implILS8_3ELb0ES6_jNS0_17counting_iteratorIjlEEPS9_SE_NS0_5tupleIJPjSE_EEENSF_IJSE_SE_EEES9_SG_JZNS1_25segmented_radix_sort_implINS0_14default_configELb1EPKdPdPKlPlN2at6native12_GLOBAL__N_18offset_tEEE10hipError_tPvRmT1_PNSt15iterator_traitsISY_E10value_typeET2_T3_PNSZ_IS14_E10value_typeET4_jRbjT5_S1A_jjP12ihipStream_tbEUljE_EEESV_SW_SX_S14_S18_S1A_T6_T7_T9_mT8_S1C_bDpT10_ENKUlT_T0_E_clISt17integral_constantIbLb0EES1P_EEDaS1K_S1L_EUlS1K_E_NS1_11comp_targetILNS1_3genE2ELNS1_11target_archE906ELNS1_3gpuE6ELNS1_3repE0EEENS1_30default_config_static_selectorELNS0_4arch9wavefront6targetE1EEEvSY_,"axG",@progbits,_ZN7rocprim17ROCPRIM_400000_NS6detail17trampoline_kernelINS0_13select_configILj256ELj13ELNS0_17block_load_methodE3ELS4_3ELS4_3ELNS0_20block_scan_algorithmE0ELj4294967295EEENS1_25partition_config_selectorILNS1_17partition_subalgoE3EjNS0_10empty_typeEbEEZZNS1_14partition_implILS8_3ELb0ES6_jNS0_17counting_iteratorIjlEEPS9_SE_NS0_5tupleIJPjSE_EEENSF_IJSE_SE_EEES9_SG_JZNS1_25segmented_radix_sort_implINS0_14default_configELb1EPKdPdPKlPlN2at6native12_GLOBAL__N_18offset_tEEE10hipError_tPvRmT1_PNSt15iterator_traitsISY_E10value_typeET2_T3_PNSZ_IS14_E10value_typeET4_jRbjT5_S1A_jjP12ihipStream_tbEUljE_EEESV_SW_SX_S14_S18_S1A_T6_T7_T9_mT8_S1C_bDpT10_ENKUlT_T0_E_clISt17integral_constantIbLb0EES1P_EEDaS1K_S1L_EUlS1K_E_NS1_11comp_targetILNS1_3genE2ELNS1_11target_archE906ELNS1_3gpuE6ELNS1_3repE0EEENS1_30default_config_static_selectorELNS0_4arch9wavefront6targetE1EEEvSY_,comdat
	.globl	_ZN7rocprim17ROCPRIM_400000_NS6detail17trampoline_kernelINS0_13select_configILj256ELj13ELNS0_17block_load_methodE3ELS4_3ELS4_3ELNS0_20block_scan_algorithmE0ELj4294967295EEENS1_25partition_config_selectorILNS1_17partition_subalgoE3EjNS0_10empty_typeEbEEZZNS1_14partition_implILS8_3ELb0ES6_jNS0_17counting_iteratorIjlEEPS9_SE_NS0_5tupleIJPjSE_EEENSF_IJSE_SE_EEES9_SG_JZNS1_25segmented_radix_sort_implINS0_14default_configELb1EPKdPdPKlPlN2at6native12_GLOBAL__N_18offset_tEEE10hipError_tPvRmT1_PNSt15iterator_traitsISY_E10value_typeET2_T3_PNSZ_IS14_E10value_typeET4_jRbjT5_S1A_jjP12ihipStream_tbEUljE_EEESV_SW_SX_S14_S18_S1A_T6_T7_T9_mT8_S1C_bDpT10_ENKUlT_T0_E_clISt17integral_constantIbLb0EES1P_EEDaS1K_S1L_EUlS1K_E_NS1_11comp_targetILNS1_3genE2ELNS1_11target_archE906ELNS1_3gpuE6ELNS1_3repE0EEENS1_30default_config_static_selectorELNS0_4arch9wavefront6targetE1EEEvSY_ ; -- Begin function _ZN7rocprim17ROCPRIM_400000_NS6detail17trampoline_kernelINS0_13select_configILj256ELj13ELNS0_17block_load_methodE3ELS4_3ELS4_3ELNS0_20block_scan_algorithmE0ELj4294967295EEENS1_25partition_config_selectorILNS1_17partition_subalgoE3EjNS0_10empty_typeEbEEZZNS1_14partition_implILS8_3ELb0ES6_jNS0_17counting_iteratorIjlEEPS9_SE_NS0_5tupleIJPjSE_EEENSF_IJSE_SE_EEES9_SG_JZNS1_25segmented_radix_sort_implINS0_14default_configELb1EPKdPdPKlPlN2at6native12_GLOBAL__N_18offset_tEEE10hipError_tPvRmT1_PNSt15iterator_traitsISY_E10value_typeET2_T3_PNSZ_IS14_E10value_typeET4_jRbjT5_S1A_jjP12ihipStream_tbEUljE_EEESV_SW_SX_S14_S18_S1A_T6_T7_T9_mT8_S1C_bDpT10_ENKUlT_T0_E_clISt17integral_constantIbLb0EES1P_EEDaS1K_S1L_EUlS1K_E_NS1_11comp_targetILNS1_3genE2ELNS1_11target_archE906ELNS1_3gpuE6ELNS1_3repE0EEENS1_30default_config_static_selectorELNS0_4arch9wavefront6targetE1EEEvSY_
	.p2align	8
	.type	_ZN7rocprim17ROCPRIM_400000_NS6detail17trampoline_kernelINS0_13select_configILj256ELj13ELNS0_17block_load_methodE3ELS4_3ELS4_3ELNS0_20block_scan_algorithmE0ELj4294967295EEENS1_25partition_config_selectorILNS1_17partition_subalgoE3EjNS0_10empty_typeEbEEZZNS1_14partition_implILS8_3ELb0ES6_jNS0_17counting_iteratorIjlEEPS9_SE_NS0_5tupleIJPjSE_EEENSF_IJSE_SE_EEES9_SG_JZNS1_25segmented_radix_sort_implINS0_14default_configELb1EPKdPdPKlPlN2at6native12_GLOBAL__N_18offset_tEEE10hipError_tPvRmT1_PNSt15iterator_traitsISY_E10value_typeET2_T3_PNSZ_IS14_E10value_typeET4_jRbjT5_S1A_jjP12ihipStream_tbEUljE_EEESV_SW_SX_S14_S18_S1A_T6_T7_T9_mT8_S1C_bDpT10_ENKUlT_T0_E_clISt17integral_constantIbLb0EES1P_EEDaS1K_S1L_EUlS1K_E_NS1_11comp_targetILNS1_3genE2ELNS1_11target_archE906ELNS1_3gpuE6ELNS1_3repE0EEENS1_30default_config_static_selectorELNS0_4arch9wavefront6targetE1EEEvSY_,@function
_ZN7rocprim17ROCPRIM_400000_NS6detail17trampoline_kernelINS0_13select_configILj256ELj13ELNS0_17block_load_methodE3ELS4_3ELS4_3ELNS0_20block_scan_algorithmE0ELj4294967295EEENS1_25partition_config_selectorILNS1_17partition_subalgoE3EjNS0_10empty_typeEbEEZZNS1_14partition_implILS8_3ELb0ES6_jNS0_17counting_iteratorIjlEEPS9_SE_NS0_5tupleIJPjSE_EEENSF_IJSE_SE_EEES9_SG_JZNS1_25segmented_radix_sort_implINS0_14default_configELb1EPKdPdPKlPlN2at6native12_GLOBAL__N_18offset_tEEE10hipError_tPvRmT1_PNSt15iterator_traitsISY_E10value_typeET2_T3_PNSZ_IS14_E10value_typeET4_jRbjT5_S1A_jjP12ihipStream_tbEUljE_EEESV_SW_SX_S14_S18_S1A_T6_T7_T9_mT8_S1C_bDpT10_ENKUlT_T0_E_clISt17integral_constantIbLb0EES1P_EEDaS1K_S1L_EUlS1K_E_NS1_11comp_targetILNS1_3genE2ELNS1_11target_archE906ELNS1_3gpuE6ELNS1_3repE0EEENS1_30default_config_static_selectorELNS0_4arch9wavefront6targetE1EEEvSY_: ; @_ZN7rocprim17ROCPRIM_400000_NS6detail17trampoline_kernelINS0_13select_configILj256ELj13ELNS0_17block_load_methodE3ELS4_3ELS4_3ELNS0_20block_scan_algorithmE0ELj4294967295EEENS1_25partition_config_selectorILNS1_17partition_subalgoE3EjNS0_10empty_typeEbEEZZNS1_14partition_implILS8_3ELb0ES6_jNS0_17counting_iteratorIjlEEPS9_SE_NS0_5tupleIJPjSE_EEENSF_IJSE_SE_EEES9_SG_JZNS1_25segmented_radix_sort_implINS0_14default_configELb1EPKdPdPKlPlN2at6native12_GLOBAL__N_18offset_tEEE10hipError_tPvRmT1_PNSt15iterator_traitsISY_E10value_typeET2_T3_PNSZ_IS14_E10value_typeET4_jRbjT5_S1A_jjP12ihipStream_tbEUljE_EEESV_SW_SX_S14_S18_S1A_T6_T7_T9_mT8_S1C_bDpT10_ENKUlT_T0_E_clISt17integral_constantIbLb0EES1P_EEDaS1K_S1L_EUlS1K_E_NS1_11comp_targetILNS1_3genE2ELNS1_11target_archE906ELNS1_3gpuE6ELNS1_3repE0EEENS1_30default_config_static_selectorELNS0_4arch9wavefront6targetE1EEEvSY_
; %bb.0:
	s_load_dwordx2 s[28:29], s[4:5], 0x58
	s_load_dwordx4 s[24:27], s[4:5], 0x48
	s_load_dword s12, s[4:5], 0x8
	s_load_dwordx2 s[30:31], s[4:5], 0x10
	s_load_dword s0, s[4:5], 0x70
	s_load_dword s7, s[4:5], 0x88
	s_load_dwordx4 s[8:11], s[4:5], 0x78
	s_waitcnt lgkmcnt(0)
	s_load_dwordx2 s[34:35], s[26:27], 0x0
	s_mul_i32 s44, s6, 0xd00
	s_add_i32 s2, s0, -1
	s_mulk_i32 s0, 0xd00
	s_add_i32 s1, s0, s30
	s_sub_i32 s33, s28, s1
	s_addk_i32 s33, 0xd00
	s_add_u32 s0, s30, s0
	s_addc_u32 s1, s31, 0
	v_mov_b32_e32 v2, s1
	v_mov_b32_e32 v1, s0
	s_cmp_eq_u32 s6, s2
	v_cmp_gt_u64_e32 vcc, s[28:29], v[1:2]
	s_cselect_b64 s[22:23], -1, 0
	s_cmp_lg_u32 s6, s2
	s_cselect_b64 s[0:1], -1, 0
	s_add_i32 s12, s12, s44
	s_or_b64 s[2:3], s[0:1], vcc
	s_add_i32 s12, s12, s30
	s_mov_b64 s[0:1], -1
	s_and_b64 vcc, exec, s[2:3]
	v_add_u32_e32 v1, s12, v0
	v_lshlrev_b32_e32 v23, 2, v0
	s_cbranch_vccz .LBB1090_2
; %bb.1:
	v_add_u32_e32 v2, 0x100, v1
	v_add_u32_e32 v3, 0x200, v1
	v_add_u32_e32 v4, 0x300, v1
	v_add_u32_e32 v5, 0x400, v1
	v_add_u32_e32 v6, 0x500, v1
	v_add_u32_e32 v7, 0x600, v1
	v_add_u32_e32 v8, 0x700, v1
	v_add_u32_e32 v9, 0x800, v1
	v_add_u32_e32 v10, 0x900, v1
	v_add_u32_e32 v11, 0xa00, v1
	v_add_u32_e32 v12, 0xb00, v1
	v_add_u32_e32 v13, 0xc00, v1
	ds_write2st64_b32 v23, v1, v2 offset1:4
	ds_write2st64_b32 v23, v3, v4 offset0:8 offset1:12
	ds_write2st64_b32 v23, v5, v6 offset0:16 offset1:20
	;; [unrolled: 1-line block ×5, first 2 shown]
	ds_write_b32 v23, v13 offset:12288
	s_waitcnt lgkmcnt(0)
	s_barrier
	s_mov_b64 s[0:1], 0
.LBB1090_2:
	s_andn2_b64 vcc, exec, s[0:1]
	v_cmp_gt_u32_e64 s[0:1], s33, v0
	s_cbranch_vccnz .LBB1090_4
; %bb.3:
	v_or_b32_e32 v2, 0x100, v0
	v_add_u32_e32 v3, s12, v2
	v_cmp_gt_u32_e32 vcc, s33, v2
	v_cndmask_b32_e32 v2, 0, v3, vcc
	v_or_b32_e32 v3, 0x200, v0
	v_add_u32_e32 v4, s12, v3
	v_cmp_gt_u32_e32 vcc, s33, v3
	v_cndmask_b32_e32 v3, 0, v4, vcc
	v_or_b32_e32 v4, 0x300, v0
	v_add_u32_e32 v5, s12, v4
	v_cmp_gt_u32_e32 vcc, s33, v4
	v_cndmask_b32_e32 v4, 0, v5, vcc
	v_or_b32_e32 v5, 0x400, v0
	v_add_u32_e32 v6, s12, v5
	v_cmp_gt_u32_e32 vcc, s33, v5
	v_cndmask_b32_e32 v5, 0, v6, vcc
	v_or_b32_e32 v6, 0x500, v0
	v_add_u32_e32 v7, s12, v6
	v_cmp_gt_u32_e32 vcc, s33, v6
	v_cndmask_b32_e32 v6, 0, v7, vcc
	v_or_b32_e32 v7, 0x600, v0
	v_add_u32_e32 v8, s12, v7
	v_cmp_gt_u32_e32 vcc, s33, v7
	v_cndmask_b32_e32 v7, 0, v8, vcc
	v_or_b32_e32 v8, 0x700, v0
	v_add_u32_e32 v9, s12, v8
	v_cmp_gt_u32_e32 vcc, s33, v8
	v_cndmask_b32_e32 v8, 0, v9, vcc
	v_or_b32_e32 v9, 0x800, v0
	v_add_u32_e32 v10, s12, v9
	v_cmp_gt_u32_e32 vcc, s33, v9
	v_cndmask_b32_e32 v9, 0, v10, vcc
	v_or_b32_e32 v10, 0x900, v0
	v_add_u32_e32 v11, s12, v10
	v_cmp_gt_u32_e32 vcc, s33, v10
	v_cndmask_b32_e32 v10, 0, v11, vcc
	v_or_b32_e32 v11, 0xa00, v0
	v_add_u32_e32 v12, s12, v11
	v_cmp_gt_u32_e32 vcc, s33, v11
	v_cndmask_b32_e32 v11, 0, v12, vcc
	v_or_b32_e32 v12, 0xb00, v0
	v_add_u32_e32 v13, s12, v12
	v_cmp_gt_u32_e32 vcc, s33, v12
	v_cndmask_b32_e32 v12, 0, v13, vcc
	v_or_b32_e32 v13, 0xc00, v0
	v_cndmask_b32_e64 v1, 0, v1, s[0:1]
	v_add_u32_e32 v14, s12, v13
	v_cmp_gt_u32_e32 vcc, s33, v13
	v_cndmask_b32_e32 v13, 0, v14, vcc
	ds_write2st64_b32 v23, v1, v2 offset1:4
	ds_write2st64_b32 v23, v3, v4 offset0:8 offset1:12
	ds_write2st64_b32 v23, v5, v6 offset0:16 offset1:20
	;; [unrolled: 1-line block ×5, first 2 shown]
	ds_write_b32 v23, v13 offset:12288
	s_waitcnt lgkmcnt(0)
	s_barrier
.LBB1090_4:
	v_mul_u32_u24_e32 v25, 13, v0
	v_lshlrev_b32_e32 v1, 2, v25
	s_waitcnt lgkmcnt(0)
	ds_read2_b32 v[13:14], v1 offset1:1
	ds_read2_b32 v[11:12], v1 offset0:2 offset1:3
	ds_read2_b32 v[9:10], v1 offset0:4 offset1:5
	;; [unrolled: 1-line block ×5, first 2 shown]
	ds_read_b32 v24, v1 offset:48
	v_cndmask_b32_e64 v1, 0, 1, s[2:3]
	v_cmp_ne_u32_e64 s[0:1], 1, v1
	s_andn2_b64 vcc, exec, s[2:3]
	s_waitcnt lgkmcnt(0)
	s_barrier
	s_cbranch_vccnz .LBB1090_6
; %bb.5:
	v_add_u32_e32 v1, s9, v13
	v_add_u32_e32 v2, s11, v13
	v_mul_lo_u32 v1, v1, s8
	v_mul_lo_u32 v2, v2, s10
	v_add_u32_e32 v15, s9, v11
	v_add_u32_e32 v16, s11, v11
	v_mul_lo_u32 v15, v15, s8
	v_sub_u32_e32 v1, v1, v2
	v_cmp_lt_u32_e32 vcc, s7, v1
	v_add_u32_e32 v1, s9, v14
	v_add_u32_e32 v2, s11, v14
	v_mul_lo_u32 v1, v1, s8
	v_mul_lo_u32 v2, v2, s10
	;; [unrolled: 1-line block ×3, first 2 shown]
	v_cndmask_b32_e64 v26, 0, 1, vcc
	v_sub_u32_e32 v1, v1, v2
	v_cmp_lt_u32_e32 vcc, s7, v1
	v_sub_u32_e32 v1, v15, v16
	v_cndmask_b32_e64 v27, 0, 1, vcc
	v_cmp_lt_u32_e32 vcc, s7, v1
	v_add_u32_e32 v1, s9, v12
	v_add_u32_e32 v2, s11, v12
	v_mul_lo_u32 v1, v1, s8
	v_mul_lo_u32 v2, v2, s10
	v_add_u32_e32 v15, s9, v9
	v_add_u32_e32 v16, s11, v9
	v_mul_lo_u32 v15, v15, s8
	v_mul_lo_u32 v16, v16, s10
	v_sub_u32_e32 v1, v1, v2
	v_cndmask_b32_e64 v28, 0, 1, vcc
	v_cmp_lt_u32_e32 vcc, s7, v1
	v_sub_u32_e32 v1, v15, v16
	v_cndmask_b32_e64 v29, 0, 1, vcc
	v_cmp_lt_u32_e32 vcc, s7, v1
	v_add_u32_e32 v1, s9, v10
	v_add_u32_e32 v2, s11, v10
	v_mul_lo_u32 v1, v1, s8
	v_mul_lo_u32 v2, v2, s10
	v_add_u32_e32 v15, s9, v7
	v_add_u32_e32 v16, s11, v7
	v_mul_lo_u32 v15, v15, s8
	v_mul_lo_u32 v16, v16, s10
	v_sub_u32_e32 v1, v1, v2
	v_cndmask_b32_e64 v30, 0, 1, vcc
	;; [unrolled: 14-line block ×5, first 2 shown]
	v_cmp_lt_u32_e32 vcc, s7, v1
	v_sub_u32_e32 v1, v15, v16
	v_cndmask_b32_e64 v37, 0, 1, vcc
	v_cmp_lt_u32_e64 s[38:39], s7, v1
	s_load_dwordx2 s[26:27], s[4:5], 0x28
	s_load_dwordx2 s[36:37], s[4:5], 0x68
	s_cbranch_execz .LBB1090_7
	s_branch .LBB1090_34
.LBB1090_6:
                                        ; implicit-def: $sgpr38_sgpr39
                                        ; implicit-def: $vgpr37
                                        ; implicit-def: $vgpr36
                                        ; implicit-def: $vgpr35
                                        ; implicit-def: $vgpr34
                                        ; implicit-def: $vgpr33
                                        ; implicit-def: $vgpr32
                                        ; implicit-def: $vgpr31
                                        ; implicit-def: $vgpr30
                                        ; implicit-def: $vgpr26
                                        ; implicit-def: $vgpr27
                                        ; implicit-def: $vgpr28
                                        ; implicit-def: $vgpr29
	s_load_dwordx2 s[26:27], s[4:5], 0x28
	s_load_dwordx2 s[36:37], s[4:5], 0x68
.LBB1090_7:
	v_cmp_gt_u32_e32 vcc, s33, v25
	v_mov_b32_e32 v27, 0
	v_mov_b32_e32 v26, 0
	s_and_saveexec_b64 s[2:3], vcc
	s_cbranch_execz .LBB1090_9
; %bb.8:
	v_add_u32_e32 v1, s9, v13
	v_add_u32_e32 v2, s11, v13
	v_mul_lo_u32 v1, v1, s8
	v_mul_lo_u32 v2, v2, s10
	v_sub_u32_e32 v1, v1, v2
	v_cmp_lt_u32_e32 vcc, s7, v1
	v_cndmask_b32_e64 v26, 0, 1, vcc
.LBB1090_9:
	s_or_b64 exec, exec, s[2:3]
	v_add_u32_e32 v1, 1, v25
	v_cmp_gt_u32_e32 vcc, s33, v1
	s_and_saveexec_b64 s[2:3], vcc
	s_cbranch_execz .LBB1090_11
; %bb.10:
	v_add_u32_e32 v1, s9, v14
	v_add_u32_e32 v2, s11, v14
	v_mul_lo_u32 v1, v1, s8
	v_mul_lo_u32 v2, v2, s10
	v_sub_u32_e32 v1, v1, v2
	v_cmp_lt_u32_e32 vcc, s7, v1
	v_cndmask_b32_e64 v27, 0, 1, vcc
.LBB1090_11:
	s_or_b64 exec, exec, s[2:3]
	v_add_u32_e32 v1, 2, v25
	v_cmp_gt_u32_e32 vcc, s33, v1
	v_mov_b32_e32 v29, 0
	v_mov_b32_e32 v28, 0
	s_and_saveexec_b64 s[2:3], vcc
	s_cbranch_execz .LBB1090_13
; %bb.12:
	v_add_u32_e32 v1, s9, v11
	v_add_u32_e32 v2, s11, v11
	v_mul_lo_u32 v1, v1, s8
	v_mul_lo_u32 v2, v2, s10
	v_sub_u32_e32 v1, v1, v2
	v_cmp_lt_u32_e32 vcc, s7, v1
	v_cndmask_b32_e64 v28, 0, 1, vcc
.LBB1090_13:
	s_or_b64 exec, exec, s[2:3]
	v_add_u32_e32 v1, 3, v25
	v_cmp_gt_u32_e32 vcc, s33, v1
	s_and_saveexec_b64 s[2:3], vcc
	s_cbranch_execz .LBB1090_15
; %bb.14:
	v_add_u32_e32 v1, s9, v12
	v_add_u32_e32 v2, s11, v12
	v_mul_lo_u32 v1, v1, s8
	v_mul_lo_u32 v2, v2, s10
	v_sub_u32_e32 v1, v1, v2
	v_cmp_lt_u32_e32 vcc, s7, v1
	v_cndmask_b32_e64 v29, 0, 1, vcc
.LBB1090_15:
	s_or_b64 exec, exec, s[2:3]
	v_add_u32_e32 v1, 4, v25
	;; [unrolled: 30-line block ×6, first 2 shown]
	v_cmp_gt_u32_e32 vcc, s33, v1
	s_mov_b64 s[38:39], 0
	s_and_saveexec_b64 s[2:3], vcc
	s_cbranch_execz .LBB1090_33
; %bb.32:
	v_add_u32_e32 v1, s9, v24
	v_add_u32_e32 v2, s11, v24
	v_mul_lo_u32 v1, v1, s8
	v_mul_lo_u32 v2, v2, s10
	v_sub_u32_e32 v1, v1, v2
	v_cmp_lt_u32_e32 vcc, s7, v1
	s_and_b64 s[38:39], vcc, exec
.LBB1090_33:
	s_or_b64 exec, exec, s[2:3]
.LBB1090_34:
	v_and_b32_e32 v40, 0xff, v27
	v_and_b32_e32 v41, 0xff, v28
	;; [unrolled: 1-line block ×5, first 2 shown]
	v_add3_u32 v2, v41, v42, v40
	v_and_b32_e32 v44, 0xff, v31
	v_and_b32_e32 v45, 0xff, v32
	v_add3_u32 v2, v2, v39, v43
	v_and_b32_e32 v46, 0xff, v33
	v_and_b32_e32 v47, 0xff, v34
	;; [unrolled: 3-line block ×3, first 2 shown]
	v_add3_u32 v2, v2, v46, v47
	v_and_b32_e32 v38, 0xff, v37
	v_cndmask_b32_e64 v1, 0, 1, s[38:39]
	v_add3_u32 v2, v2, v48, v49
	v_add3_u32 v52, v2, v38, v1
	v_mbcnt_lo_u32_b32 v1, -1, 0
	v_mbcnt_hi_u32_b32 v50, -1, v1
	v_and_b32_e32 v1, 15, v50
	v_cmp_eq_u32_e64 s[14:15], 0, v1
	v_cmp_lt_u32_e64 s[12:13], 1, v1
	v_cmp_lt_u32_e64 s[10:11], 3, v1
	;; [unrolled: 1-line block ×3, first 2 shown]
	v_and_b32_e32 v1, 16, v50
	v_cmp_eq_u32_e64 s[18:19], 0, v1
	v_or_b32_e32 v1, 63, v0
	s_cmp_lg_u32 s6, 0
	v_cmp_lt_u32_e64 s[2:3], 31, v50
	v_lshrrev_b32_e32 v51, 6, v0
	v_cmp_eq_u32_e64 s[4:5], v0, v1
	s_cbranch_scc0 .LBB1090_56
; %bb.35:
	v_mov_b32_dpp v1, v52 row_shr:1 row_mask:0xf bank_mask:0xf
	v_cndmask_b32_e64 v1, v1, 0, s[14:15]
	v_add_u32_e32 v1, v1, v52
	s_nop 1
	v_mov_b32_dpp v2, v1 row_shr:2 row_mask:0xf bank_mask:0xf
	v_cndmask_b32_e64 v2, 0, v2, s[12:13]
	v_add_u32_e32 v1, v1, v2
	s_nop 1
	;; [unrolled: 4-line block ×4, first 2 shown]
	v_mov_b32_dpp v2, v1 row_bcast:15 row_mask:0xf bank_mask:0xf
	v_cndmask_b32_e64 v2, v2, 0, s[18:19]
	v_add_u32_e32 v1, v1, v2
	s_nop 1
	v_mov_b32_dpp v2, v1 row_bcast:31 row_mask:0xf bank_mask:0xf
	v_cndmask_b32_e64 v2, 0, v2, s[2:3]
	v_add_u32_e32 v1, v1, v2
	s_and_saveexec_b64 s[16:17], s[4:5]
; %bb.36:
	v_lshlrev_b32_e32 v2, 2, v51
	ds_write_b32 v2, v1
; %bb.37:
	s_or_b64 exec, exec, s[16:17]
	v_cmp_gt_u32_e32 vcc, 4, v0
	s_waitcnt lgkmcnt(0)
	s_barrier
	s_and_saveexec_b64 s[16:17], vcc
	s_cbranch_execz .LBB1090_39
; %bb.38:
	ds_read_b32 v2, v23
	v_and_b32_e32 v15, 3, v50
	v_cmp_ne_u32_e32 vcc, 0, v15
	s_waitcnt lgkmcnt(0)
	v_mov_b32_dpp v16, v2 row_shr:1 row_mask:0xf bank_mask:0xf
	v_cndmask_b32_e32 v16, 0, v16, vcc
	v_add_u32_e32 v2, v16, v2
	v_cmp_lt_u32_e32 vcc, 1, v15
	s_nop 0
	v_mov_b32_dpp v16, v2 row_shr:2 row_mask:0xf bank_mask:0xf
	v_cndmask_b32_e32 v15, 0, v16, vcc
	v_add_u32_e32 v2, v2, v15
	ds_write_b32 v23, v2
.LBB1090_39:
	s_or_b64 exec, exec, s[16:17]
	v_cmp_gt_u32_e32 vcc, 64, v0
	v_cmp_lt_u32_e64 s[16:17], 63, v0
	s_waitcnt lgkmcnt(0)
	s_barrier
                                        ; implicit-def: $vgpr53
	s_and_saveexec_b64 s[20:21], s[16:17]
	s_cbranch_execz .LBB1090_41
; %bb.40:
	v_lshl_add_u32 v2, v51, 2, -4
	ds_read_b32 v53, v2
	s_waitcnt lgkmcnt(0)
	v_add_u32_e32 v1, v53, v1
.LBB1090_41:
	s_or_b64 exec, exec, s[20:21]
	v_subrev_co_u32_e64 v2, s[16:17], 1, v50
	v_and_b32_e32 v15, 64, v50
	v_cmp_lt_i32_e64 s[20:21], v2, v15
	v_cndmask_b32_e64 v2, v2, v50, s[20:21]
	v_lshlrev_b32_e32 v2, 2, v2
	ds_bpermute_b32 v54, v2, v1
	s_and_saveexec_b64 s[20:21], vcc
	s_cbranch_execz .LBB1090_61
; %bb.42:
	v_mov_b32_e32 v19, 0
	ds_read_b32 v1, v19 offset:12
	s_and_saveexec_b64 s[40:41], s[16:17]
	s_cbranch_execz .LBB1090_44
; %bb.43:
	s_add_i32 s42, s6, 64
	s_mov_b32 s43, 0
	s_lshl_b64 s[42:43], s[42:43], 3
	s_add_u32 s42, s36, s42
	v_mov_b32_e32 v2, 1
	s_addc_u32 s43, s37, s43
	s_waitcnt lgkmcnt(0)
	global_store_dwordx2 v19, v[1:2], s[42:43]
.LBB1090_44:
	s_or_b64 exec, exec, s[40:41]
	v_xad_u32 v15, v50, -1, s6
	v_add_u32_e32 v18, 64, v15
	v_lshlrev_b64 v[16:17], 3, v[18:19]
	v_mov_b32_e32 v2, s37
	v_add_co_u32_e32 v20, vcc, s36, v16
	v_addc_co_u32_e32 v21, vcc, v2, v17, vcc
	global_load_dwordx2 v[17:18], v[20:21], off glc
	s_waitcnt vmcnt(0)
	v_cmp_eq_u16_sdwa s[42:43], v18, v19 src0_sel:BYTE_0 src1_sel:DWORD
	s_and_saveexec_b64 s[40:41], s[42:43]
	s_cbranch_execz .LBB1090_48
; %bb.45:
	s_mov_b64 s[42:43], 0
	v_mov_b32_e32 v2, 0
.LBB1090_46:                            ; =>This Inner Loop Header: Depth=1
	global_load_dwordx2 v[17:18], v[20:21], off glc
	s_waitcnt vmcnt(0)
	v_cmp_ne_u16_sdwa s[46:47], v18, v2 src0_sel:BYTE_0 src1_sel:DWORD
	s_or_b64 s[42:43], s[46:47], s[42:43]
	s_andn2_b64 exec, exec, s[42:43]
	s_cbranch_execnz .LBB1090_46
; %bb.47:
	s_or_b64 exec, exec, s[42:43]
.LBB1090_48:
	s_or_b64 exec, exec, s[40:41]
	v_and_b32_e32 v56, 63, v50
	v_mov_b32_e32 v55, 2
	v_lshlrev_b64 v[19:20], v50, -1
	v_cmp_ne_u32_e32 vcc, 63, v56
	v_cmp_eq_u16_sdwa s[40:41], v18, v55 src0_sel:BYTE_0 src1_sel:DWORD
	v_addc_co_u32_e32 v21, vcc, 0, v50, vcc
	v_and_b32_e32 v2, s41, v20
	v_lshlrev_b32_e32 v57, 2, v21
	v_or_b32_e32 v2, 0x80000000, v2
	ds_bpermute_b32 v21, v57, v17
	v_and_b32_e32 v16, s40, v19
	v_ffbl_b32_e32 v2, v2
	v_add_u32_e32 v2, 32, v2
	v_ffbl_b32_e32 v16, v16
	v_min_u32_e32 v2, v16, v2
	v_cmp_lt_u32_e32 vcc, v56, v2
	s_waitcnt lgkmcnt(0)
	v_cndmask_b32_e32 v16, 0, v21, vcc
	v_cmp_gt_u32_e32 vcc, 62, v56
	v_add_u32_e32 v16, v16, v17
	v_cndmask_b32_e64 v17, 0, 2, vcc
	v_add_lshl_u32 v58, v17, v50, 2
	ds_bpermute_b32 v17, v58, v16
	v_add_u32_e32 v59, 2, v56
	v_cmp_le_u32_e32 vcc, v59, v2
	v_add_u32_e32 v61, 4, v56
	v_add_u32_e32 v63, 8, v56
	s_waitcnt lgkmcnt(0)
	v_cndmask_b32_e32 v17, 0, v17, vcc
	v_cmp_gt_u32_e32 vcc, 60, v56
	v_add_u32_e32 v16, v16, v17
	v_cndmask_b32_e64 v17, 0, 4, vcc
	v_add_lshl_u32 v60, v17, v50, 2
	ds_bpermute_b32 v17, v60, v16
	v_cmp_le_u32_e32 vcc, v61, v2
	v_add_u32_e32 v65, 16, v56
	v_add_u32_e32 v67, 32, v56
	s_waitcnt lgkmcnt(0)
	v_cndmask_b32_e32 v17, 0, v17, vcc
	v_cmp_gt_u32_e32 vcc, 56, v56
	v_add_u32_e32 v16, v16, v17
	v_cndmask_b32_e64 v17, 0, 8, vcc
	v_add_lshl_u32 v62, v17, v50, 2
	ds_bpermute_b32 v17, v62, v16
	v_cmp_le_u32_e32 vcc, v63, v2
	s_waitcnt lgkmcnt(0)
	v_cndmask_b32_e32 v17, 0, v17, vcc
	v_cmp_gt_u32_e32 vcc, 48, v56
	v_add_u32_e32 v16, v16, v17
	v_cndmask_b32_e64 v17, 0, 16, vcc
	v_add_lshl_u32 v64, v17, v50, 2
	ds_bpermute_b32 v17, v64, v16
	v_cmp_le_u32_e32 vcc, v65, v2
	s_waitcnt lgkmcnt(0)
	v_cndmask_b32_e32 v17, 0, v17, vcc
	v_add_u32_e32 v16, v16, v17
	v_mov_b32_e32 v17, 0x80
	v_lshl_or_b32 v66, v50, 2, v17
	ds_bpermute_b32 v17, v66, v16
	v_cmp_le_u32_e32 vcc, v67, v2
	s_waitcnt lgkmcnt(0)
	v_cndmask_b32_e32 v2, 0, v17, vcc
	v_add_u32_e32 v17, v16, v2
	v_mov_b32_e32 v16, 0
	s_branch .LBB1090_52
.LBB1090_49:                            ;   in Loop: Header=BB1090_52 Depth=1
	s_or_b64 exec, exec, s[42:43]
.LBB1090_50:                            ;   in Loop: Header=BB1090_52 Depth=1
	s_or_b64 exec, exec, s[40:41]
	v_cmp_eq_u16_sdwa s[40:41], v18, v55 src0_sel:BYTE_0 src1_sel:DWORD
	v_and_b32_e32 v21, s41, v20
	v_or_b32_e32 v21, 0x80000000, v21
	ds_bpermute_b32 v68, v57, v17
	v_and_b32_e32 v22, s40, v19
	v_ffbl_b32_e32 v21, v21
	v_add_u32_e32 v21, 32, v21
	v_ffbl_b32_e32 v22, v22
	v_min_u32_e32 v21, v22, v21
	v_cmp_lt_u32_e32 vcc, v56, v21
	s_waitcnt lgkmcnt(0)
	v_cndmask_b32_e32 v22, 0, v68, vcc
	v_add_u32_e32 v17, v22, v17
	ds_bpermute_b32 v22, v58, v17
	v_cmp_le_u32_e32 vcc, v59, v21
	v_subrev_u32_e32 v15, 64, v15
	s_mov_b64 s[40:41], 0
	s_waitcnt lgkmcnt(0)
	v_cndmask_b32_e32 v22, 0, v22, vcc
	v_add_u32_e32 v17, v17, v22
	ds_bpermute_b32 v22, v60, v17
	v_cmp_le_u32_e32 vcc, v61, v21
	s_waitcnt lgkmcnt(0)
	v_cndmask_b32_e32 v22, 0, v22, vcc
	v_add_u32_e32 v17, v17, v22
	ds_bpermute_b32 v22, v62, v17
	v_cmp_le_u32_e32 vcc, v63, v21
	s_waitcnt lgkmcnt(0)
	v_cndmask_b32_e32 v22, 0, v22, vcc
	v_add_u32_e32 v17, v17, v22
	ds_bpermute_b32 v22, v64, v17
	v_cmp_le_u32_e32 vcc, v65, v21
	s_waitcnt lgkmcnt(0)
	v_cndmask_b32_e32 v22, 0, v22, vcc
	v_add_u32_e32 v17, v17, v22
	ds_bpermute_b32 v22, v66, v17
	v_cmp_le_u32_e32 vcc, v67, v21
	s_waitcnt lgkmcnt(0)
	v_cndmask_b32_e32 v21, 0, v22, vcc
	v_add3_u32 v17, v21, v2, v17
.LBB1090_51:                            ;   in Loop: Header=BB1090_52 Depth=1
	s_and_b64 vcc, exec, s[40:41]
	s_cbranch_vccnz .LBB1090_57
.LBB1090_52:                            ; =>This Loop Header: Depth=1
                                        ;     Child Loop BB1090_55 Depth 2
	v_cmp_ne_u16_sdwa s[40:41], v18, v55 src0_sel:BYTE_0 src1_sel:DWORD
	v_mov_b32_e32 v2, v17
	s_cmp_lg_u64 s[40:41], exec
	s_mov_b64 s[40:41], -1
                                        ; implicit-def: $vgpr17
                                        ; implicit-def: $vgpr18
	s_cbranch_scc1 .LBB1090_51
; %bb.53:                               ;   in Loop: Header=BB1090_52 Depth=1
	v_lshlrev_b64 v[17:18], 3, v[15:16]
	v_mov_b32_e32 v22, s37
	v_add_co_u32_e32 v21, vcc, s36, v17
	v_addc_co_u32_e32 v22, vcc, v22, v18, vcc
	global_load_dwordx2 v[17:18], v[21:22], off glc
	s_waitcnt vmcnt(0)
	v_cmp_eq_u16_sdwa s[42:43], v18, v16 src0_sel:BYTE_0 src1_sel:DWORD
	s_and_saveexec_b64 s[40:41], s[42:43]
	s_cbranch_execz .LBB1090_50
; %bb.54:                               ;   in Loop: Header=BB1090_52 Depth=1
	s_mov_b64 s[42:43], 0
.LBB1090_55:                            ;   Parent Loop BB1090_52 Depth=1
                                        ; =>  This Inner Loop Header: Depth=2
	global_load_dwordx2 v[17:18], v[21:22], off glc
	s_waitcnt vmcnt(0)
	v_cmp_ne_u16_sdwa s[46:47], v18, v16 src0_sel:BYTE_0 src1_sel:DWORD
	s_or_b64 s[42:43], s[46:47], s[42:43]
	s_andn2_b64 exec, exec, s[42:43]
	s_cbranch_execnz .LBB1090_55
	s_branch .LBB1090_49
.LBB1090_56:
                                        ; implicit-def: $vgpr2
                                        ; implicit-def: $vgpr15
	s_cbranch_execnz .LBB1090_62
	s_branch .LBB1090_71
.LBB1090_57:
	s_and_saveexec_b64 s[40:41], s[16:17]
	s_cbranch_execz .LBB1090_59
; %bb.58:
	s_add_i32 s6, s6, 64
	s_mov_b32 s7, 0
	s_lshl_b64 s[6:7], s[6:7], 3
	s_add_u32 s6, s36, s6
	v_add_u32_e32 v15, v2, v1
	v_mov_b32_e32 v16, 2
	s_addc_u32 s7, s37, s7
	v_mov_b32_e32 v17, 0
	global_store_dwordx2 v17, v[15:16], s[6:7]
	ds_write_b64 v17, v[1:2] offset:13312
.LBB1090_59:
	s_or_b64 exec, exec, s[40:41]
	v_cmp_eq_u32_e32 vcc, 0, v0
	s_and_b64 exec, exec, vcc
; %bb.60:
	v_mov_b32_e32 v1, 0
	ds_write_b32 v1, v2 offset:12
.LBB1090_61:
	s_or_b64 exec, exec, s[20:21]
	v_mov_b32_e32 v1, 0
	s_waitcnt vmcnt(0) lgkmcnt(0)
	s_barrier
	ds_read_b32 v16, v1 offset:12
	s_waitcnt lgkmcnt(0)
	s_barrier
	ds_read_b64 v[1:2], v1 offset:13312
	v_cndmask_b32_e64 v15, v54, v53, s[16:17]
	v_cmp_ne_u32_e32 vcc, 0, v0
	v_cndmask_b32_e32 v15, 0, v15, vcc
	v_add_u32_e32 v15, v16, v15
	s_branch .LBB1090_71
.LBB1090_62:
	s_waitcnt lgkmcnt(0)
	v_mov_b32_dpp v1, v52 row_shr:1 row_mask:0xf bank_mask:0xf
	v_cndmask_b32_e64 v1, v1, 0, s[14:15]
	v_add_u32_e32 v1, v1, v52
	s_nop 1
	v_mov_b32_dpp v2, v1 row_shr:2 row_mask:0xf bank_mask:0xf
	v_cndmask_b32_e64 v2, 0, v2, s[12:13]
	v_add_u32_e32 v1, v1, v2
	s_nop 1
	;; [unrolled: 4-line block ×4, first 2 shown]
	v_mov_b32_dpp v2, v1 row_bcast:15 row_mask:0xf bank_mask:0xf
	v_cndmask_b32_e64 v2, v2, 0, s[18:19]
	v_add_u32_e32 v1, v1, v2
	s_nop 1
	v_mov_b32_dpp v2, v1 row_bcast:31 row_mask:0xf bank_mask:0xf
	v_cndmask_b32_e64 v2, 0, v2, s[2:3]
	v_add_u32_e32 v1, v1, v2
	s_and_saveexec_b64 s[2:3], s[4:5]
; %bb.63:
	v_lshlrev_b32_e32 v2, 2, v51
	ds_write_b32 v2, v1
; %bb.64:
	s_or_b64 exec, exec, s[2:3]
	v_cmp_gt_u32_e32 vcc, 4, v0
	s_waitcnt lgkmcnt(0)
	s_barrier
	s_and_saveexec_b64 s[2:3], vcc
	s_cbranch_execz .LBB1090_66
; %bb.65:
	ds_read_b32 v2, v23
	v_and_b32_e32 v15, 3, v50
	v_cmp_ne_u32_e32 vcc, 0, v15
	s_waitcnt lgkmcnt(0)
	v_mov_b32_dpp v16, v2 row_shr:1 row_mask:0xf bank_mask:0xf
	v_cndmask_b32_e32 v16, 0, v16, vcc
	v_add_u32_e32 v2, v16, v2
	v_cmp_lt_u32_e32 vcc, 1, v15
	s_nop 0
	v_mov_b32_dpp v16, v2 row_shr:2 row_mask:0xf bank_mask:0xf
	v_cndmask_b32_e32 v15, 0, v16, vcc
	v_add_u32_e32 v2, v2, v15
	ds_write_b32 v23, v2
.LBB1090_66:
	s_or_b64 exec, exec, s[2:3]
	v_cmp_lt_u32_e32 vcc, 63, v0
	v_mov_b32_e32 v2, 0
	v_mov_b32_e32 v15, 0
	s_waitcnt lgkmcnt(0)
	s_barrier
	s_and_saveexec_b64 s[2:3], vcc
; %bb.67:
	v_lshl_add_u32 v15, v51, 2, -4
	ds_read_b32 v15, v15
; %bb.68:
	s_or_b64 exec, exec, s[2:3]
	v_subrev_co_u32_e32 v16, vcc, 1, v50
	v_and_b32_e32 v17, 64, v50
	v_cmp_lt_i32_e64 s[2:3], v16, v17
	v_cndmask_b32_e64 v16, v16, v50, s[2:3]
	s_waitcnt lgkmcnt(0)
	v_add_u32_e32 v1, v15, v1
	v_lshlrev_b32_e32 v16, 2, v16
	ds_bpermute_b32 v16, v16, v1
	ds_read_b32 v1, v2 offset:12
	v_cmp_eq_u32_e64 s[2:3], 0, v0
	s_and_saveexec_b64 s[4:5], s[2:3]
	s_cbranch_execz .LBB1090_70
; %bb.69:
	v_mov_b32_e32 v17, 0
	v_mov_b32_e32 v2, 2
	s_waitcnt lgkmcnt(0)
	global_store_dwordx2 v17, v[1:2], s[36:37] offset:512
.LBB1090_70:
	s_or_b64 exec, exec, s[4:5]
	s_waitcnt lgkmcnt(1)
	v_cndmask_b32_e32 v2, v16, v15, vcc
	v_cndmask_b32_e64 v15, v2, 0, s[2:3]
	s_waitcnt vmcnt(0) lgkmcnt(0)
	s_barrier
	v_mov_b32_e32 v2, 0
.LBB1090_71:
	v_add_u32_e32 v16, v15, v39
	v_add_u32_e32 v17, v16, v40
	;; [unrolled: 1-line block ×4, first 2 shown]
	s_waitcnt lgkmcnt(0)
	v_add_u32_e32 v25, v1, v25
	v_sub_u32_e32 v15, v15, v2
	v_and_b32_e32 v26, 1, v26
	v_add_u32_e32 v20, v19, v43
	v_sub_u32_e32 v43, v25, v15
	v_cmp_eq_u32_e32 vcc, 1, v26
	v_cndmask_b32_e32 v15, v43, v15, vcc
	v_lshlrev_b32_e32 v15, 2, v15
	ds_write_b32 v15, v13
	v_sub_u32_e32 v13, v16, v2
	v_sub_u32_e32 v15, v25, v13
	v_and_b32_e32 v16, 1, v27
	v_add_u32_e32 v15, 1, v15
	v_cmp_eq_u32_e32 vcc, 1, v16
	v_cndmask_b32_e32 v13, v15, v13, vcc
	v_lshlrev_b32_e32 v13, 2, v13
	ds_write_b32 v13, v14
	v_sub_u32_e32 v13, v17, v2
	v_sub_u32_e32 v14, v25, v13
	v_and_b32_e32 v15, 1, v28
	v_add_u32_e32 v14, 2, v14
	;; [unrolled: 8-line block ×5, first 2 shown]
	v_cmp_eq_u32_e32 vcc, 1, v12
	v_cndmask_b32_e32 v9, v11, v9, vcc
	v_add_u32_e32 v21, v20, v44
	v_lshlrev_b32_e32 v9, 2, v9
	ds_write_b32 v9, v10
	v_sub_u32_e32 v9, v21, v2
	v_sub_u32_e32 v10, v25, v9
	v_and_b32_e32 v11, 1, v32
	v_add_u32_e32 v10, 6, v10
	v_cmp_eq_u32_e32 vcc, 1, v11
	v_cndmask_b32_e32 v9, v10, v9, vcc
	v_add_u32_e32 v22, v21, v45
	v_lshlrev_b32_e32 v9, 2, v9
	ds_write_b32 v9, v7
	v_sub_u32_e32 v7, v22, v2
	v_sub_u32_e32 v9, v25, v7
	v_and_b32_e32 v10, 1, v33
	v_add_u32_e32 v9, 7, v9
	;; [unrolled: 9-line block ×6, first 2 shown]
	v_cmp_eq_u32_e32 vcc, 1, v6
	v_cndmask_b32_e32 v3, v5, v3, vcc
	v_lshlrev_b32_e32 v3, 2, v3
	ds_write_b32 v3, v4
	v_sub_u32_e32 v3, v38, v2
	v_add_u32_e32 v3, v42, v3
	v_sub_u32_e32 v4, v25, v3
	v_add_u32_e32 v4, 12, v4
	v_cndmask_b32_e64 v3, v4, v3, s[38:39]
	v_lshlrev_b32_e32 v3, 2, v3
	ds_write_b32 v3, v24
	s_waitcnt lgkmcnt(0)
	s_barrier
	ds_read2st64_b32 v[13:14], v23 offset1:4
	ds_read2st64_b32 v[11:12], v23 offset0:8 offset1:12
	ds_read2st64_b32 v[9:10], v23 offset0:16 offset1:20
	;; [unrolled: 1-line block ×5, first 2 shown]
	ds_read_b32 v19, v23 offset:12288
	v_mov_b32_e32 v15, s35
	s_and_b64 vcc, exec, s[0:1]
	v_add_co_u32_e64 v17, s[0:1], s34, v2
	v_or_b32_e32 v33, 0x100, v0
	v_or_b32_e32 v31, 0x200, v0
	v_or_b32_e32 v30, 0x300, v0
	v_or_b32_e32 v29, 0x400, v0
	v_or_b32_e32 v28, 0x500, v0
	v_or_b32_e32 v27, 0x600, v0
	v_or_b32_e32 v26, 0x700, v0
	v_or_b32_e32 v25, 0x800, v0
	v_or_b32_e32 v24, 0x900, v0
	v_or_b32_e32 v22, 0xa00, v0
	v_or_b32_e32 v21, 0xb00, v0
	v_or_b32_e32 v20, 0xc00, v0
	v_addc_co_u32_e64 v18, s[0:1], 0, v15, s[0:1]
	s_cbranch_vccnz .LBB1090_125
; %bb.72:
	v_mov_b32_e32 v2, s31
	v_subrev_co_u32_e32 v15, vcc, s30, v17
	s_sub_u32 s0, s28, s44
	v_subb_co_u32_e32 v16, vcc, v18, v2, vcc
	s_subb_u32 s1, s29, 0
	v_mov_b32_e32 v2, s1
	v_add_co_u32_e32 v23, vcc, s0, v1
	v_addc_co_u32_e32 v32, vcc, 0, v2, vcc
	v_add_co_u32_e32 v2, vcc, v23, v15
	v_addc_co_u32_e32 v23, vcc, v32, v16, vcc
	v_cmp_ge_u32_e32 vcc, v0, v1
                                        ; implicit-def: $vgpr15_vgpr16
	s_and_saveexec_b64 s[0:1], vcc
	s_xor_b64 s[0:1], exec, s[0:1]
; %bb.73:
	v_not_b32_e32 v15, v0
	v_ashrrev_i32_e32 v16, 31, v15
	v_add_co_u32_e32 v15, vcc, v2, v15
	v_addc_co_u32_e32 v16, vcc, v23, v16, vcc
; %bb.74:
	s_andn2_saveexec_b64 s[0:1], s[0:1]
; %bb.75:
	v_add_co_u32_e32 v15, vcc, v17, v0
	v_addc_co_u32_e32 v16, vcc, 0, v18, vcc
; %bb.76:
	s_or_b64 exec, exec, s[0:1]
	v_lshlrev_b64 v[15:16], 2, v[15:16]
	v_mov_b32_e32 v32, s27
	v_add_co_u32_e32 v15, vcc, s26, v15
	v_addc_co_u32_e32 v16, vcc, v32, v16, vcc
	v_cmp_ge_u32_e32 vcc, v33, v1
	s_waitcnt lgkmcnt(6)
	global_store_dword v[15:16], v13, off
                                        ; implicit-def: $vgpr15_vgpr16
	s_and_saveexec_b64 s[0:1], vcc
	s_xor_b64 s[0:1], exec, s[0:1]
; %bb.77:
	v_xor_b32_e32 v15, 0xfffffeff, v0
	v_ashrrev_i32_e32 v16, 31, v15
	v_add_co_u32_e32 v15, vcc, v2, v15
	v_addc_co_u32_e32 v16, vcc, v23, v16, vcc
; %bb.78:
	s_andn2_saveexec_b64 s[0:1], s[0:1]
; %bb.79:
	v_add_co_u32_e32 v15, vcc, v17, v33
	v_addc_co_u32_e32 v16, vcc, 0, v18, vcc
; %bb.80:
	s_or_b64 exec, exec, s[0:1]
	v_lshlrev_b64 v[15:16], 2, v[15:16]
	v_mov_b32_e32 v32, s27
	v_add_co_u32_e32 v15, vcc, s26, v15
	v_addc_co_u32_e32 v16, vcc, v32, v16, vcc
	v_cmp_ge_u32_e32 vcc, v31, v1
	global_store_dword v[15:16], v14, off
                                        ; implicit-def: $vgpr15_vgpr16
	s_and_saveexec_b64 s[0:1], vcc
	s_xor_b64 s[0:1], exec, s[0:1]
; %bb.81:
	v_xor_b32_e32 v15, 0xfffffdff, v0
	v_ashrrev_i32_e32 v16, 31, v15
	v_add_co_u32_e32 v15, vcc, v2, v15
	v_addc_co_u32_e32 v16, vcc, v23, v16, vcc
; %bb.82:
	s_andn2_saveexec_b64 s[0:1], s[0:1]
; %bb.83:
	v_add_co_u32_e32 v15, vcc, v17, v31
	v_addc_co_u32_e32 v16, vcc, 0, v18, vcc
; %bb.84:
	s_or_b64 exec, exec, s[0:1]
	v_lshlrev_b64 v[15:16], 2, v[15:16]
	v_mov_b32_e32 v32, s27
	v_add_co_u32_e32 v15, vcc, s26, v15
	v_addc_co_u32_e32 v16, vcc, v32, v16, vcc
	v_cmp_ge_u32_e32 vcc, v30, v1
	s_waitcnt lgkmcnt(5)
	global_store_dword v[15:16], v11, off
                                        ; implicit-def: $vgpr15_vgpr16
	s_and_saveexec_b64 s[0:1], vcc
	s_xor_b64 s[0:1], exec, s[0:1]
; %bb.85:
	v_xor_b32_e32 v15, 0xfffffcff, v0
	v_ashrrev_i32_e32 v16, 31, v15
	v_add_co_u32_e32 v15, vcc, v2, v15
	v_addc_co_u32_e32 v16, vcc, v23, v16, vcc
; %bb.86:
	s_andn2_saveexec_b64 s[0:1], s[0:1]
; %bb.87:
	v_add_co_u32_e32 v15, vcc, v17, v30
	v_addc_co_u32_e32 v16, vcc, 0, v18, vcc
; %bb.88:
	s_or_b64 exec, exec, s[0:1]
	v_lshlrev_b64 v[15:16], 2, v[15:16]
	v_mov_b32_e32 v32, s27
	v_add_co_u32_e32 v15, vcc, s26, v15
	v_addc_co_u32_e32 v16, vcc, v32, v16, vcc
	v_cmp_ge_u32_e32 vcc, v29, v1
	global_store_dword v[15:16], v12, off
                                        ; implicit-def: $vgpr15_vgpr16
	s_and_saveexec_b64 s[0:1], vcc
	s_xor_b64 s[0:1], exec, s[0:1]
; %bb.89:
	v_xor_b32_e32 v15, 0xfffffbff, v0
	;; [unrolled: 43-line block ×6, first 2 shown]
	v_ashrrev_i32_e32 v16, 31, v15
	v_add_co_u32_e32 v15, vcc, v2, v15
	v_addc_co_u32_e32 v16, vcc, v23, v16, vcc
; %bb.122:
	s_andn2_saveexec_b64 s[0:1], s[0:1]
; %bb.123:
	v_add_co_u32_e32 v15, vcc, v17, v20
	v_addc_co_u32_e32 v16, vcc, 0, v18, vcc
; %bb.124:
	s_or_b64 exec, exec, s[0:1]
	s_mov_b64 s[0:1], -1
	s_branch .LBB1090_205
.LBB1090_125:
	s_mov_b64 s[0:1], 0
                                        ; implicit-def: $vgpr15_vgpr16
	s_cbranch_execz .LBB1090_205
; %bb.126:
	s_add_u32 s2, s30, s44
	s_addc_u32 s3, s31, 0
	s_sub_u32 s2, s28, s2
	s_subb_u32 s3, s29, s3
	v_mov_b32_e32 v2, s3
	v_add_co_u32_e32 v15, vcc, s2, v1
	v_addc_co_u32_e32 v2, vcc, 0, v2, vcc
	v_add_co_u32_e32 v23, vcc, v15, v17
	v_addc_co_u32_e32 v32, vcc, v2, v18, vcc
	v_cmp_gt_u32_e32 vcc, s33, v0
	s_and_saveexec_b64 s[2:3], vcc
	s_cbranch_execz .LBB1090_162
; %bb.127:
	v_cmp_ge_u32_e32 vcc, v0, v1
                                        ; implicit-def: $vgpr15_vgpr16
	s_and_saveexec_b64 s[4:5], vcc
	s_xor_b64 s[4:5], exec, s[4:5]
; %bb.128:
	v_not_b32_e32 v2, v0
	v_ashrrev_i32_e32 v16, 31, v2
	v_add_co_u32_e32 v15, vcc, v23, v2
	v_addc_co_u32_e32 v16, vcc, v32, v16, vcc
; %bb.129:
	s_andn2_saveexec_b64 s[4:5], s[4:5]
; %bb.130:
	v_add_co_u32_e32 v15, vcc, v17, v0
	v_addc_co_u32_e32 v16, vcc, 0, v18, vcc
; %bb.131:
	s_or_b64 exec, exec, s[4:5]
	v_lshlrev_b64 v[15:16], 2, v[15:16]
	v_mov_b32_e32 v2, s27
	v_add_co_u32_e32 v15, vcc, s26, v15
	v_addc_co_u32_e32 v16, vcc, v2, v16, vcc
	s_waitcnt lgkmcnt(6)
	global_store_dword v[15:16], v13, off
	s_or_b64 exec, exec, s[2:3]
	v_cmp_gt_u32_e32 vcc, s33, v33
	s_and_saveexec_b64 s[2:3], vcc
	s_cbranch_execnz .LBB1090_163
.LBB1090_132:
	s_or_b64 exec, exec, s[2:3]
	v_cmp_gt_u32_e32 vcc, s33, v31
	s_and_saveexec_b64 s[2:3], vcc
	s_cbranch_execz .LBB1090_168
.LBB1090_133:
	v_cmp_ge_u32_e32 vcc, v31, v1
                                        ; implicit-def: $vgpr13_vgpr14
	s_and_saveexec_b64 s[4:5], vcc
	s_xor_b64 s[4:5], exec, s[4:5]
	s_cbranch_execz .LBB1090_135
; %bb.134:
	v_xor_b32_e32 v2, 0xfffffdff, v0
	s_waitcnt lgkmcnt(6)
	v_ashrrev_i32_e32 v14, 31, v2
	v_add_co_u32_e32 v13, vcc, v23, v2
	v_addc_co_u32_e32 v14, vcc, v32, v14, vcc
                                        ; implicit-def: $vgpr31
.LBB1090_135:
	s_andn2_saveexec_b64 s[4:5], s[4:5]
	s_cbranch_execz .LBB1090_137
; %bb.136:
	s_waitcnt lgkmcnt(6)
	v_add_co_u32_e32 v13, vcc, v17, v31
	v_addc_co_u32_e32 v14, vcc, 0, v18, vcc
.LBB1090_137:
	s_or_b64 exec, exec, s[4:5]
	s_waitcnt lgkmcnt(6)
	v_lshlrev_b64 v[13:14], 2, v[13:14]
	v_mov_b32_e32 v2, s27
	v_add_co_u32_e32 v13, vcc, s26, v13
	v_addc_co_u32_e32 v14, vcc, v2, v14, vcc
	s_waitcnt lgkmcnt(5)
	global_store_dword v[13:14], v11, off
	s_or_b64 exec, exec, s[2:3]
	v_cmp_gt_u32_e32 vcc, s33, v30
	s_and_saveexec_b64 s[2:3], vcc
	s_cbranch_execnz .LBB1090_169
.LBB1090_138:
	s_or_b64 exec, exec, s[2:3]
	v_cmp_gt_u32_e32 vcc, s33, v29
	s_and_saveexec_b64 s[2:3], vcc
	s_cbranch_execz .LBB1090_174
.LBB1090_139:
	v_cmp_ge_u32_e32 vcc, v29, v1
                                        ; implicit-def: $vgpr11_vgpr12
	s_and_saveexec_b64 s[4:5], vcc
	s_xor_b64 s[4:5], exec, s[4:5]
	s_cbranch_execz .LBB1090_141
; %bb.140:
	v_xor_b32_e32 v2, 0xfffffbff, v0
	s_waitcnt lgkmcnt(5)
	v_ashrrev_i32_e32 v12, 31, v2
	v_add_co_u32_e32 v11, vcc, v23, v2
	v_addc_co_u32_e32 v12, vcc, v32, v12, vcc
                                        ; implicit-def: $vgpr29
.LBB1090_141:
	s_andn2_saveexec_b64 s[4:5], s[4:5]
	s_cbranch_execz .LBB1090_143
; %bb.142:
	s_waitcnt lgkmcnt(5)
	v_add_co_u32_e32 v11, vcc, v17, v29
	v_addc_co_u32_e32 v12, vcc, 0, v18, vcc
.LBB1090_143:
	s_or_b64 exec, exec, s[4:5]
	s_waitcnt lgkmcnt(5)
	v_lshlrev_b64 v[11:12], 2, v[11:12]
	v_mov_b32_e32 v2, s27
	v_add_co_u32_e32 v11, vcc, s26, v11
	v_addc_co_u32_e32 v12, vcc, v2, v12, vcc
	s_waitcnt lgkmcnt(4)
	global_store_dword v[11:12], v9, off
	s_or_b64 exec, exec, s[2:3]
	v_cmp_gt_u32_e32 vcc, s33, v28
	s_and_saveexec_b64 s[2:3], vcc
	s_cbranch_execnz .LBB1090_175
.LBB1090_144:
	s_or_b64 exec, exec, s[2:3]
	v_cmp_gt_u32_e32 vcc, s33, v27
	s_and_saveexec_b64 s[2:3], vcc
	s_cbranch_execz .LBB1090_180
.LBB1090_145:
	v_cmp_ge_u32_e32 vcc, v27, v1
                                        ; implicit-def: $vgpr9_vgpr10
	s_and_saveexec_b64 s[4:5], vcc
	s_xor_b64 s[4:5], exec, s[4:5]
	s_cbranch_execz .LBB1090_147
; %bb.146:
	v_xor_b32_e32 v2, 0xfffff9ff, v0
	s_waitcnt lgkmcnt(4)
	v_ashrrev_i32_e32 v10, 31, v2
	v_add_co_u32_e32 v9, vcc, v23, v2
	v_addc_co_u32_e32 v10, vcc, v32, v10, vcc
                                        ; implicit-def: $vgpr27
.LBB1090_147:
	s_andn2_saveexec_b64 s[4:5], s[4:5]
	s_cbranch_execz .LBB1090_149
; %bb.148:
	s_waitcnt lgkmcnt(4)
	v_add_co_u32_e32 v9, vcc, v17, v27
	v_addc_co_u32_e32 v10, vcc, 0, v18, vcc
.LBB1090_149:
	s_or_b64 exec, exec, s[4:5]
	s_waitcnt lgkmcnt(4)
	v_lshlrev_b64 v[9:10], 2, v[9:10]
	v_mov_b32_e32 v2, s27
	v_add_co_u32_e32 v9, vcc, s26, v9
	v_addc_co_u32_e32 v10, vcc, v2, v10, vcc
	s_waitcnt lgkmcnt(3)
	global_store_dword v[9:10], v7, off
	s_or_b64 exec, exec, s[2:3]
	v_cmp_gt_u32_e32 vcc, s33, v26
	s_and_saveexec_b64 s[2:3], vcc
	s_cbranch_execnz .LBB1090_181
.LBB1090_150:
	s_or_b64 exec, exec, s[2:3]
	v_cmp_gt_u32_e32 vcc, s33, v25
	s_and_saveexec_b64 s[2:3], vcc
	s_cbranch_execz .LBB1090_186
.LBB1090_151:
	v_cmp_ge_u32_e32 vcc, v25, v1
                                        ; implicit-def: $vgpr7_vgpr8
	s_and_saveexec_b64 s[4:5], vcc
	s_xor_b64 s[4:5], exec, s[4:5]
	s_cbranch_execz .LBB1090_153
; %bb.152:
	v_xor_b32_e32 v2, 0xfffff7ff, v0
	s_waitcnt lgkmcnt(3)
	v_ashrrev_i32_e32 v8, 31, v2
	v_add_co_u32_e32 v7, vcc, v23, v2
	v_addc_co_u32_e32 v8, vcc, v32, v8, vcc
                                        ; implicit-def: $vgpr25
.LBB1090_153:
	s_andn2_saveexec_b64 s[4:5], s[4:5]
	s_cbranch_execz .LBB1090_155
; %bb.154:
	s_waitcnt lgkmcnt(3)
	v_add_co_u32_e32 v7, vcc, v17, v25
	v_addc_co_u32_e32 v8, vcc, 0, v18, vcc
.LBB1090_155:
	s_or_b64 exec, exec, s[4:5]
	s_waitcnt lgkmcnt(3)
	v_lshlrev_b64 v[7:8], 2, v[7:8]
	v_mov_b32_e32 v2, s27
	v_add_co_u32_e32 v7, vcc, s26, v7
	v_addc_co_u32_e32 v8, vcc, v2, v8, vcc
	s_waitcnt lgkmcnt(2)
	global_store_dword v[7:8], v5, off
	s_or_b64 exec, exec, s[2:3]
	v_cmp_gt_u32_e32 vcc, s33, v24
	s_and_saveexec_b64 s[2:3], vcc
	s_cbranch_execnz .LBB1090_187
.LBB1090_156:
	s_or_b64 exec, exec, s[2:3]
	v_cmp_gt_u32_e32 vcc, s33, v22
	s_and_saveexec_b64 s[2:3], vcc
	s_cbranch_execz .LBB1090_192
.LBB1090_157:
	v_cmp_ge_u32_e32 vcc, v22, v1
                                        ; implicit-def: $vgpr5_vgpr6
	s_and_saveexec_b64 s[4:5], vcc
	s_xor_b64 s[4:5], exec, s[4:5]
	s_cbranch_execz .LBB1090_159
; %bb.158:
	v_xor_b32_e32 v2, 0xfffff5ff, v0
	s_waitcnt lgkmcnt(2)
	v_ashrrev_i32_e32 v6, 31, v2
	v_add_co_u32_e32 v5, vcc, v23, v2
	v_addc_co_u32_e32 v6, vcc, v32, v6, vcc
                                        ; implicit-def: $vgpr22
.LBB1090_159:
	s_andn2_saveexec_b64 s[4:5], s[4:5]
	s_cbranch_execz .LBB1090_161
; %bb.160:
	s_waitcnt lgkmcnt(2)
	v_add_co_u32_e32 v5, vcc, v17, v22
	v_addc_co_u32_e32 v6, vcc, 0, v18, vcc
.LBB1090_161:
	s_or_b64 exec, exec, s[4:5]
	s_waitcnt lgkmcnt(2)
	v_lshlrev_b64 v[5:6], 2, v[5:6]
	v_mov_b32_e32 v2, s27
	v_add_co_u32_e32 v5, vcc, s26, v5
	v_addc_co_u32_e32 v6, vcc, v2, v6, vcc
	s_waitcnt lgkmcnt(1)
	global_store_dword v[5:6], v3, off
	s_or_b64 exec, exec, s[2:3]
	v_cmp_gt_u32_e32 vcc, s33, v21
	s_and_saveexec_b64 s[2:3], vcc
	s_cbranch_execz .LBB1090_198
	s_branch .LBB1090_193
.LBB1090_162:
	s_or_b64 exec, exec, s[2:3]
	v_cmp_gt_u32_e32 vcc, s33, v33
	s_and_saveexec_b64 s[2:3], vcc
	s_cbranch_execz .LBB1090_132
.LBB1090_163:
	v_cmp_ge_u32_e32 vcc, v33, v1
                                        ; implicit-def: $vgpr15_vgpr16
	s_and_saveexec_b64 s[4:5], vcc
	s_xor_b64 s[4:5], exec, s[4:5]
	s_cbranch_execz .LBB1090_165
; %bb.164:
	v_xor_b32_e32 v2, 0xfffffeff, v0
	s_waitcnt lgkmcnt(6)
	v_ashrrev_i32_e32 v13, 31, v2
	v_add_co_u32_e32 v15, vcc, v23, v2
	v_addc_co_u32_e32 v16, vcc, v32, v13, vcc
                                        ; implicit-def: $vgpr33
.LBB1090_165:
	s_andn2_saveexec_b64 s[4:5], s[4:5]
; %bb.166:
	v_add_co_u32_e32 v15, vcc, v17, v33
	v_addc_co_u32_e32 v16, vcc, 0, v18, vcc
; %bb.167:
	s_or_b64 exec, exec, s[4:5]
	v_lshlrev_b64 v[15:16], 2, v[15:16]
	v_mov_b32_e32 v2, s27
	v_add_co_u32_e32 v15, vcc, s26, v15
	v_addc_co_u32_e32 v16, vcc, v2, v16, vcc
	s_waitcnt lgkmcnt(6)
	global_store_dword v[15:16], v14, off
	s_or_b64 exec, exec, s[2:3]
	v_cmp_gt_u32_e32 vcc, s33, v31
	s_and_saveexec_b64 s[2:3], vcc
	s_cbranch_execnz .LBB1090_133
.LBB1090_168:
	s_or_b64 exec, exec, s[2:3]
	v_cmp_gt_u32_e32 vcc, s33, v30
	s_and_saveexec_b64 s[2:3], vcc
	s_cbranch_execz .LBB1090_138
.LBB1090_169:
	v_cmp_ge_u32_e32 vcc, v30, v1
                                        ; implicit-def: $vgpr13_vgpr14
	s_and_saveexec_b64 s[4:5], vcc
	s_xor_b64 s[4:5], exec, s[4:5]
	s_cbranch_execz .LBB1090_171
; %bb.170:
	v_xor_b32_e32 v2, 0xfffffcff, v0
	s_waitcnt lgkmcnt(5)
	v_ashrrev_i32_e32 v11, 31, v2
	v_add_co_u32_e32 v13, vcc, v23, v2
	v_addc_co_u32_e32 v14, vcc, v32, v11, vcc
                                        ; implicit-def: $vgpr30
.LBB1090_171:
	s_andn2_saveexec_b64 s[4:5], s[4:5]
	s_cbranch_execz .LBB1090_173
; %bb.172:
	s_waitcnt lgkmcnt(6)
	v_add_co_u32_e32 v13, vcc, v17, v30
	v_addc_co_u32_e32 v14, vcc, 0, v18, vcc
.LBB1090_173:
	s_or_b64 exec, exec, s[4:5]
	s_waitcnt lgkmcnt(6)
	v_lshlrev_b64 v[13:14], 2, v[13:14]
	v_mov_b32_e32 v2, s27
	v_add_co_u32_e32 v13, vcc, s26, v13
	v_addc_co_u32_e32 v14, vcc, v2, v14, vcc
	s_waitcnt lgkmcnt(5)
	global_store_dword v[13:14], v12, off
	s_or_b64 exec, exec, s[2:3]
	v_cmp_gt_u32_e32 vcc, s33, v29
	s_and_saveexec_b64 s[2:3], vcc
	s_cbranch_execnz .LBB1090_139
.LBB1090_174:
	s_or_b64 exec, exec, s[2:3]
	v_cmp_gt_u32_e32 vcc, s33, v28
	s_and_saveexec_b64 s[2:3], vcc
	s_cbranch_execz .LBB1090_144
.LBB1090_175:
	v_cmp_ge_u32_e32 vcc, v28, v1
                                        ; implicit-def: $vgpr11_vgpr12
	s_and_saveexec_b64 s[4:5], vcc
	s_xor_b64 s[4:5], exec, s[4:5]
	s_cbranch_execz .LBB1090_177
; %bb.176:
	v_xor_b32_e32 v2, 0xfffffaff, v0
	s_waitcnt lgkmcnt(4)
	v_ashrrev_i32_e32 v9, 31, v2
	v_add_co_u32_e32 v11, vcc, v23, v2
	v_addc_co_u32_e32 v12, vcc, v32, v9, vcc
                                        ; implicit-def: $vgpr28
.LBB1090_177:
	s_andn2_saveexec_b64 s[4:5], s[4:5]
	s_cbranch_execz .LBB1090_179
; %bb.178:
	s_waitcnt lgkmcnt(5)
	v_add_co_u32_e32 v11, vcc, v17, v28
	v_addc_co_u32_e32 v12, vcc, 0, v18, vcc
.LBB1090_179:
	s_or_b64 exec, exec, s[4:5]
	s_waitcnt lgkmcnt(5)
	v_lshlrev_b64 v[11:12], 2, v[11:12]
	v_mov_b32_e32 v2, s27
	v_add_co_u32_e32 v11, vcc, s26, v11
	v_addc_co_u32_e32 v12, vcc, v2, v12, vcc
	s_waitcnt lgkmcnt(4)
	global_store_dword v[11:12], v10, off
	s_or_b64 exec, exec, s[2:3]
	v_cmp_gt_u32_e32 vcc, s33, v27
	s_and_saveexec_b64 s[2:3], vcc
	s_cbranch_execnz .LBB1090_145
.LBB1090_180:
	s_or_b64 exec, exec, s[2:3]
	v_cmp_gt_u32_e32 vcc, s33, v26
	s_and_saveexec_b64 s[2:3], vcc
	s_cbranch_execz .LBB1090_150
.LBB1090_181:
	v_cmp_ge_u32_e32 vcc, v26, v1
                                        ; implicit-def: $vgpr9_vgpr10
	s_and_saveexec_b64 s[4:5], vcc
	s_xor_b64 s[4:5], exec, s[4:5]
	s_cbranch_execz .LBB1090_183
; %bb.182:
	v_xor_b32_e32 v2, 0xfffff8ff, v0
	s_waitcnt lgkmcnt(3)
	v_ashrrev_i32_e32 v7, 31, v2
	v_add_co_u32_e32 v9, vcc, v23, v2
	v_addc_co_u32_e32 v10, vcc, v32, v7, vcc
                                        ; implicit-def: $vgpr26
.LBB1090_183:
	s_andn2_saveexec_b64 s[4:5], s[4:5]
	s_cbranch_execz .LBB1090_185
; %bb.184:
	s_waitcnt lgkmcnt(4)
	v_add_co_u32_e32 v9, vcc, v17, v26
	v_addc_co_u32_e32 v10, vcc, 0, v18, vcc
.LBB1090_185:
	s_or_b64 exec, exec, s[4:5]
	s_waitcnt lgkmcnt(4)
	v_lshlrev_b64 v[9:10], 2, v[9:10]
	v_mov_b32_e32 v2, s27
	v_add_co_u32_e32 v9, vcc, s26, v9
	v_addc_co_u32_e32 v10, vcc, v2, v10, vcc
	s_waitcnt lgkmcnt(3)
	global_store_dword v[9:10], v8, off
	s_or_b64 exec, exec, s[2:3]
	v_cmp_gt_u32_e32 vcc, s33, v25
	s_and_saveexec_b64 s[2:3], vcc
	s_cbranch_execnz .LBB1090_151
.LBB1090_186:
	s_or_b64 exec, exec, s[2:3]
	v_cmp_gt_u32_e32 vcc, s33, v24
	s_and_saveexec_b64 s[2:3], vcc
	s_cbranch_execz .LBB1090_156
.LBB1090_187:
	v_cmp_ge_u32_e32 vcc, v24, v1
                                        ; implicit-def: $vgpr7_vgpr8
	s_and_saveexec_b64 s[4:5], vcc
	s_xor_b64 s[4:5], exec, s[4:5]
	s_cbranch_execz .LBB1090_189
; %bb.188:
	v_xor_b32_e32 v2, 0xfffff6ff, v0
	s_waitcnt lgkmcnt(2)
	v_ashrrev_i32_e32 v5, 31, v2
	v_add_co_u32_e32 v7, vcc, v23, v2
	v_addc_co_u32_e32 v8, vcc, v32, v5, vcc
                                        ; implicit-def: $vgpr24
.LBB1090_189:
	s_andn2_saveexec_b64 s[4:5], s[4:5]
	s_cbranch_execz .LBB1090_191
; %bb.190:
	s_waitcnt lgkmcnt(3)
	v_add_co_u32_e32 v7, vcc, v17, v24
	v_addc_co_u32_e32 v8, vcc, 0, v18, vcc
.LBB1090_191:
	s_or_b64 exec, exec, s[4:5]
	s_waitcnt lgkmcnt(3)
	v_lshlrev_b64 v[7:8], 2, v[7:8]
	v_mov_b32_e32 v2, s27
	v_add_co_u32_e32 v7, vcc, s26, v7
	v_addc_co_u32_e32 v8, vcc, v2, v8, vcc
	s_waitcnt lgkmcnt(2)
	global_store_dword v[7:8], v6, off
	s_or_b64 exec, exec, s[2:3]
	v_cmp_gt_u32_e32 vcc, s33, v22
	s_and_saveexec_b64 s[2:3], vcc
	s_cbranch_execnz .LBB1090_157
.LBB1090_192:
	s_or_b64 exec, exec, s[2:3]
	v_cmp_gt_u32_e32 vcc, s33, v21
	s_and_saveexec_b64 s[2:3], vcc
	s_cbranch_execz .LBB1090_198
.LBB1090_193:
	v_cmp_ge_u32_e32 vcc, v21, v1
                                        ; implicit-def: $vgpr2_vgpr3
	s_and_saveexec_b64 s[4:5], vcc
	s_xor_b64 s[4:5], exec, s[4:5]
	s_cbranch_execz .LBB1090_195
; %bb.194:
	v_xor_b32_e32 v2, 0xfffff4ff, v0
	s_waitcnt lgkmcnt(1)
	v_ashrrev_i32_e32 v3, 31, v2
	v_add_co_u32_e32 v2, vcc, v23, v2
	v_addc_co_u32_e32 v3, vcc, v32, v3, vcc
                                        ; implicit-def: $vgpr21
.LBB1090_195:
	s_andn2_saveexec_b64 s[4:5], s[4:5]
	s_cbranch_execz .LBB1090_197
; %bb.196:
	v_add_co_u32_e32 v2, vcc, v17, v21
	s_waitcnt lgkmcnt(1)
	v_addc_co_u32_e32 v3, vcc, 0, v18, vcc
.LBB1090_197:
	s_or_b64 exec, exec, s[4:5]
	s_waitcnt lgkmcnt(1)
	v_lshlrev_b64 v[2:3], 2, v[2:3]
	v_mov_b32_e32 v5, s27
	v_add_co_u32_e32 v2, vcc, s26, v2
	v_addc_co_u32_e32 v3, vcc, v5, v3, vcc
	global_store_dword v[2:3], v4, off
.LBB1090_198:
	s_or_b64 exec, exec, s[2:3]
	v_cmp_gt_u32_e32 vcc, s33, v20
                                        ; implicit-def: $vgpr15_vgpr16
	s_and_saveexec_b64 s[2:3], vcc
	s_cbranch_execz .LBB1090_204
; %bb.199:
	v_cmp_ge_u32_e32 vcc, v20, v1
                                        ; implicit-def: $vgpr15_vgpr16
	s_and_saveexec_b64 s[4:5], vcc
	s_xor_b64 s[4:5], exec, s[4:5]
	s_cbranch_execz .LBB1090_201
; %bb.200:
	v_xor_b32_e32 v2, 0xfffff3ff, v0
	s_waitcnt lgkmcnt(1)
	v_ashrrev_i32_e32 v3, 31, v2
	v_add_co_u32_e32 v15, vcc, v23, v2
	v_addc_co_u32_e32 v16, vcc, v32, v3, vcc
                                        ; implicit-def: $vgpr20
.LBB1090_201:
	s_andn2_saveexec_b64 s[4:5], s[4:5]
; %bb.202:
	v_add_co_u32_e32 v15, vcc, v17, v20
	v_addc_co_u32_e32 v16, vcc, 0, v18, vcc
; %bb.203:
	s_or_b64 exec, exec, s[4:5]
	s_or_b64 s[0:1], s[0:1], exec
.LBB1090_204:
	s_or_b64 exec, exec, s[2:3]
.LBB1090_205:
	s_and_saveexec_b64 s[2:3], s[0:1]
	s_cbranch_execz .LBB1090_207
; %bb.206:
	s_waitcnt lgkmcnt(1)
	v_lshlrev_b64 v[2:3], 2, v[15:16]
	v_mov_b32_e32 v4, s27
	v_add_co_u32_e32 v2, vcc, s26, v2
	v_addc_co_u32_e32 v3, vcc, v4, v3, vcc
	s_waitcnt lgkmcnt(0)
	global_store_dword v[2:3], v19, off
.LBB1090_207:
	s_or_b64 exec, exec, s[2:3]
	v_cmp_eq_u32_e32 vcc, 0, v0
	s_and_b64 s[0:1], vcc, s[22:23]
	s_and_saveexec_b64 s[2:3], s[0:1]
	s_cbranch_execz .LBB1090_209
; %bb.208:
	v_add_co_u32_e32 v0, vcc, v17, v1
	v_mov_b32_e32 v2, 0
	v_addc_co_u32_e32 v1, vcc, 0, v18, vcc
	global_store_dwordx2 v2, v[0:1], s[24:25]
.LBB1090_209:
	s_endpgm
	.section	.rodata,"a",@progbits
	.p2align	6, 0x0
	.amdhsa_kernel _ZN7rocprim17ROCPRIM_400000_NS6detail17trampoline_kernelINS0_13select_configILj256ELj13ELNS0_17block_load_methodE3ELS4_3ELS4_3ELNS0_20block_scan_algorithmE0ELj4294967295EEENS1_25partition_config_selectorILNS1_17partition_subalgoE3EjNS0_10empty_typeEbEEZZNS1_14partition_implILS8_3ELb0ES6_jNS0_17counting_iteratorIjlEEPS9_SE_NS0_5tupleIJPjSE_EEENSF_IJSE_SE_EEES9_SG_JZNS1_25segmented_radix_sort_implINS0_14default_configELb1EPKdPdPKlPlN2at6native12_GLOBAL__N_18offset_tEEE10hipError_tPvRmT1_PNSt15iterator_traitsISY_E10value_typeET2_T3_PNSZ_IS14_E10value_typeET4_jRbjT5_S1A_jjP12ihipStream_tbEUljE_EEESV_SW_SX_S14_S18_S1A_T6_T7_T9_mT8_S1C_bDpT10_ENKUlT_T0_E_clISt17integral_constantIbLb0EES1P_EEDaS1K_S1L_EUlS1K_E_NS1_11comp_targetILNS1_3genE2ELNS1_11target_archE906ELNS1_3gpuE6ELNS1_3repE0EEENS1_30default_config_static_selectorELNS0_4arch9wavefront6targetE1EEEvSY_
		.amdhsa_group_segment_fixed_size 13320
		.amdhsa_private_segment_fixed_size 0
		.amdhsa_kernarg_size 144
		.amdhsa_user_sgpr_count 6
		.amdhsa_user_sgpr_private_segment_buffer 1
		.amdhsa_user_sgpr_dispatch_ptr 0
		.amdhsa_user_sgpr_queue_ptr 0
		.amdhsa_user_sgpr_kernarg_segment_ptr 1
		.amdhsa_user_sgpr_dispatch_id 0
		.amdhsa_user_sgpr_flat_scratch_init 0
		.amdhsa_user_sgpr_private_segment_size 0
		.amdhsa_uses_dynamic_stack 0
		.amdhsa_system_sgpr_private_segment_wavefront_offset 0
		.amdhsa_system_sgpr_workgroup_id_x 1
		.amdhsa_system_sgpr_workgroup_id_y 0
		.amdhsa_system_sgpr_workgroup_id_z 0
		.amdhsa_system_sgpr_workgroup_info 0
		.amdhsa_system_vgpr_workitem_id 0
		.amdhsa_next_free_vgpr 69
		.amdhsa_next_free_sgpr 98
		.amdhsa_reserve_vcc 1
		.amdhsa_reserve_flat_scratch 0
		.amdhsa_float_round_mode_32 0
		.amdhsa_float_round_mode_16_64 0
		.amdhsa_float_denorm_mode_32 3
		.amdhsa_float_denorm_mode_16_64 3
		.amdhsa_dx10_clamp 1
		.amdhsa_ieee_mode 1
		.amdhsa_fp16_overflow 0
		.amdhsa_exception_fp_ieee_invalid_op 0
		.amdhsa_exception_fp_denorm_src 0
		.amdhsa_exception_fp_ieee_div_zero 0
		.amdhsa_exception_fp_ieee_overflow 0
		.amdhsa_exception_fp_ieee_underflow 0
		.amdhsa_exception_fp_ieee_inexact 0
		.amdhsa_exception_int_div_zero 0
	.end_amdhsa_kernel
	.section	.text._ZN7rocprim17ROCPRIM_400000_NS6detail17trampoline_kernelINS0_13select_configILj256ELj13ELNS0_17block_load_methodE3ELS4_3ELS4_3ELNS0_20block_scan_algorithmE0ELj4294967295EEENS1_25partition_config_selectorILNS1_17partition_subalgoE3EjNS0_10empty_typeEbEEZZNS1_14partition_implILS8_3ELb0ES6_jNS0_17counting_iteratorIjlEEPS9_SE_NS0_5tupleIJPjSE_EEENSF_IJSE_SE_EEES9_SG_JZNS1_25segmented_radix_sort_implINS0_14default_configELb1EPKdPdPKlPlN2at6native12_GLOBAL__N_18offset_tEEE10hipError_tPvRmT1_PNSt15iterator_traitsISY_E10value_typeET2_T3_PNSZ_IS14_E10value_typeET4_jRbjT5_S1A_jjP12ihipStream_tbEUljE_EEESV_SW_SX_S14_S18_S1A_T6_T7_T9_mT8_S1C_bDpT10_ENKUlT_T0_E_clISt17integral_constantIbLb0EES1P_EEDaS1K_S1L_EUlS1K_E_NS1_11comp_targetILNS1_3genE2ELNS1_11target_archE906ELNS1_3gpuE6ELNS1_3repE0EEENS1_30default_config_static_selectorELNS0_4arch9wavefront6targetE1EEEvSY_,"axG",@progbits,_ZN7rocprim17ROCPRIM_400000_NS6detail17trampoline_kernelINS0_13select_configILj256ELj13ELNS0_17block_load_methodE3ELS4_3ELS4_3ELNS0_20block_scan_algorithmE0ELj4294967295EEENS1_25partition_config_selectorILNS1_17partition_subalgoE3EjNS0_10empty_typeEbEEZZNS1_14partition_implILS8_3ELb0ES6_jNS0_17counting_iteratorIjlEEPS9_SE_NS0_5tupleIJPjSE_EEENSF_IJSE_SE_EEES9_SG_JZNS1_25segmented_radix_sort_implINS0_14default_configELb1EPKdPdPKlPlN2at6native12_GLOBAL__N_18offset_tEEE10hipError_tPvRmT1_PNSt15iterator_traitsISY_E10value_typeET2_T3_PNSZ_IS14_E10value_typeET4_jRbjT5_S1A_jjP12ihipStream_tbEUljE_EEESV_SW_SX_S14_S18_S1A_T6_T7_T9_mT8_S1C_bDpT10_ENKUlT_T0_E_clISt17integral_constantIbLb0EES1P_EEDaS1K_S1L_EUlS1K_E_NS1_11comp_targetILNS1_3genE2ELNS1_11target_archE906ELNS1_3gpuE6ELNS1_3repE0EEENS1_30default_config_static_selectorELNS0_4arch9wavefront6targetE1EEEvSY_,comdat
.Lfunc_end1090:
	.size	_ZN7rocprim17ROCPRIM_400000_NS6detail17trampoline_kernelINS0_13select_configILj256ELj13ELNS0_17block_load_methodE3ELS4_3ELS4_3ELNS0_20block_scan_algorithmE0ELj4294967295EEENS1_25partition_config_selectorILNS1_17partition_subalgoE3EjNS0_10empty_typeEbEEZZNS1_14partition_implILS8_3ELb0ES6_jNS0_17counting_iteratorIjlEEPS9_SE_NS0_5tupleIJPjSE_EEENSF_IJSE_SE_EEES9_SG_JZNS1_25segmented_radix_sort_implINS0_14default_configELb1EPKdPdPKlPlN2at6native12_GLOBAL__N_18offset_tEEE10hipError_tPvRmT1_PNSt15iterator_traitsISY_E10value_typeET2_T3_PNSZ_IS14_E10value_typeET4_jRbjT5_S1A_jjP12ihipStream_tbEUljE_EEESV_SW_SX_S14_S18_S1A_T6_T7_T9_mT8_S1C_bDpT10_ENKUlT_T0_E_clISt17integral_constantIbLb0EES1P_EEDaS1K_S1L_EUlS1K_E_NS1_11comp_targetILNS1_3genE2ELNS1_11target_archE906ELNS1_3gpuE6ELNS1_3repE0EEENS1_30default_config_static_selectorELNS0_4arch9wavefront6targetE1EEEvSY_, .Lfunc_end1090-_ZN7rocprim17ROCPRIM_400000_NS6detail17trampoline_kernelINS0_13select_configILj256ELj13ELNS0_17block_load_methodE3ELS4_3ELS4_3ELNS0_20block_scan_algorithmE0ELj4294967295EEENS1_25partition_config_selectorILNS1_17partition_subalgoE3EjNS0_10empty_typeEbEEZZNS1_14partition_implILS8_3ELb0ES6_jNS0_17counting_iteratorIjlEEPS9_SE_NS0_5tupleIJPjSE_EEENSF_IJSE_SE_EEES9_SG_JZNS1_25segmented_radix_sort_implINS0_14default_configELb1EPKdPdPKlPlN2at6native12_GLOBAL__N_18offset_tEEE10hipError_tPvRmT1_PNSt15iterator_traitsISY_E10value_typeET2_T3_PNSZ_IS14_E10value_typeET4_jRbjT5_S1A_jjP12ihipStream_tbEUljE_EEESV_SW_SX_S14_S18_S1A_T6_T7_T9_mT8_S1C_bDpT10_ENKUlT_T0_E_clISt17integral_constantIbLb0EES1P_EEDaS1K_S1L_EUlS1K_E_NS1_11comp_targetILNS1_3genE2ELNS1_11target_archE906ELNS1_3gpuE6ELNS1_3repE0EEENS1_30default_config_static_selectorELNS0_4arch9wavefront6targetE1EEEvSY_
                                        ; -- End function
	.set _ZN7rocprim17ROCPRIM_400000_NS6detail17trampoline_kernelINS0_13select_configILj256ELj13ELNS0_17block_load_methodE3ELS4_3ELS4_3ELNS0_20block_scan_algorithmE0ELj4294967295EEENS1_25partition_config_selectorILNS1_17partition_subalgoE3EjNS0_10empty_typeEbEEZZNS1_14partition_implILS8_3ELb0ES6_jNS0_17counting_iteratorIjlEEPS9_SE_NS0_5tupleIJPjSE_EEENSF_IJSE_SE_EEES9_SG_JZNS1_25segmented_radix_sort_implINS0_14default_configELb1EPKdPdPKlPlN2at6native12_GLOBAL__N_18offset_tEEE10hipError_tPvRmT1_PNSt15iterator_traitsISY_E10value_typeET2_T3_PNSZ_IS14_E10value_typeET4_jRbjT5_S1A_jjP12ihipStream_tbEUljE_EEESV_SW_SX_S14_S18_S1A_T6_T7_T9_mT8_S1C_bDpT10_ENKUlT_T0_E_clISt17integral_constantIbLb0EES1P_EEDaS1K_S1L_EUlS1K_E_NS1_11comp_targetILNS1_3genE2ELNS1_11target_archE906ELNS1_3gpuE6ELNS1_3repE0EEENS1_30default_config_static_selectorELNS0_4arch9wavefront6targetE1EEEvSY_.num_vgpr, 69
	.set _ZN7rocprim17ROCPRIM_400000_NS6detail17trampoline_kernelINS0_13select_configILj256ELj13ELNS0_17block_load_methodE3ELS4_3ELS4_3ELNS0_20block_scan_algorithmE0ELj4294967295EEENS1_25partition_config_selectorILNS1_17partition_subalgoE3EjNS0_10empty_typeEbEEZZNS1_14partition_implILS8_3ELb0ES6_jNS0_17counting_iteratorIjlEEPS9_SE_NS0_5tupleIJPjSE_EEENSF_IJSE_SE_EEES9_SG_JZNS1_25segmented_radix_sort_implINS0_14default_configELb1EPKdPdPKlPlN2at6native12_GLOBAL__N_18offset_tEEE10hipError_tPvRmT1_PNSt15iterator_traitsISY_E10value_typeET2_T3_PNSZ_IS14_E10value_typeET4_jRbjT5_S1A_jjP12ihipStream_tbEUljE_EEESV_SW_SX_S14_S18_S1A_T6_T7_T9_mT8_S1C_bDpT10_ENKUlT_T0_E_clISt17integral_constantIbLb0EES1P_EEDaS1K_S1L_EUlS1K_E_NS1_11comp_targetILNS1_3genE2ELNS1_11target_archE906ELNS1_3gpuE6ELNS1_3repE0EEENS1_30default_config_static_selectorELNS0_4arch9wavefront6targetE1EEEvSY_.num_agpr, 0
	.set _ZN7rocprim17ROCPRIM_400000_NS6detail17trampoline_kernelINS0_13select_configILj256ELj13ELNS0_17block_load_methodE3ELS4_3ELS4_3ELNS0_20block_scan_algorithmE0ELj4294967295EEENS1_25partition_config_selectorILNS1_17partition_subalgoE3EjNS0_10empty_typeEbEEZZNS1_14partition_implILS8_3ELb0ES6_jNS0_17counting_iteratorIjlEEPS9_SE_NS0_5tupleIJPjSE_EEENSF_IJSE_SE_EEES9_SG_JZNS1_25segmented_radix_sort_implINS0_14default_configELb1EPKdPdPKlPlN2at6native12_GLOBAL__N_18offset_tEEE10hipError_tPvRmT1_PNSt15iterator_traitsISY_E10value_typeET2_T3_PNSZ_IS14_E10value_typeET4_jRbjT5_S1A_jjP12ihipStream_tbEUljE_EEESV_SW_SX_S14_S18_S1A_T6_T7_T9_mT8_S1C_bDpT10_ENKUlT_T0_E_clISt17integral_constantIbLb0EES1P_EEDaS1K_S1L_EUlS1K_E_NS1_11comp_targetILNS1_3genE2ELNS1_11target_archE906ELNS1_3gpuE6ELNS1_3repE0EEENS1_30default_config_static_selectorELNS0_4arch9wavefront6targetE1EEEvSY_.numbered_sgpr, 48
	.set _ZN7rocprim17ROCPRIM_400000_NS6detail17trampoline_kernelINS0_13select_configILj256ELj13ELNS0_17block_load_methodE3ELS4_3ELS4_3ELNS0_20block_scan_algorithmE0ELj4294967295EEENS1_25partition_config_selectorILNS1_17partition_subalgoE3EjNS0_10empty_typeEbEEZZNS1_14partition_implILS8_3ELb0ES6_jNS0_17counting_iteratorIjlEEPS9_SE_NS0_5tupleIJPjSE_EEENSF_IJSE_SE_EEES9_SG_JZNS1_25segmented_radix_sort_implINS0_14default_configELb1EPKdPdPKlPlN2at6native12_GLOBAL__N_18offset_tEEE10hipError_tPvRmT1_PNSt15iterator_traitsISY_E10value_typeET2_T3_PNSZ_IS14_E10value_typeET4_jRbjT5_S1A_jjP12ihipStream_tbEUljE_EEESV_SW_SX_S14_S18_S1A_T6_T7_T9_mT8_S1C_bDpT10_ENKUlT_T0_E_clISt17integral_constantIbLb0EES1P_EEDaS1K_S1L_EUlS1K_E_NS1_11comp_targetILNS1_3genE2ELNS1_11target_archE906ELNS1_3gpuE6ELNS1_3repE0EEENS1_30default_config_static_selectorELNS0_4arch9wavefront6targetE1EEEvSY_.num_named_barrier, 0
	.set _ZN7rocprim17ROCPRIM_400000_NS6detail17trampoline_kernelINS0_13select_configILj256ELj13ELNS0_17block_load_methodE3ELS4_3ELS4_3ELNS0_20block_scan_algorithmE0ELj4294967295EEENS1_25partition_config_selectorILNS1_17partition_subalgoE3EjNS0_10empty_typeEbEEZZNS1_14partition_implILS8_3ELb0ES6_jNS0_17counting_iteratorIjlEEPS9_SE_NS0_5tupleIJPjSE_EEENSF_IJSE_SE_EEES9_SG_JZNS1_25segmented_radix_sort_implINS0_14default_configELb1EPKdPdPKlPlN2at6native12_GLOBAL__N_18offset_tEEE10hipError_tPvRmT1_PNSt15iterator_traitsISY_E10value_typeET2_T3_PNSZ_IS14_E10value_typeET4_jRbjT5_S1A_jjP12ihipStream_tbEUljE_EEESV_SW_SX_S14_S18_S1A_T6_T7_T9_mT8_S1C_bDpT10_ENKUlT_T0_E_clISt17integral_constantIbLb0EES1P_EEDaS1K_S1L_EUlS1K_E_NS1_11comp_targetILNS1_3genE2ELNS1_11target_archE906ELNS1_3gpuE6ELNS1_3repE0EEENS1_30default_config_static_selectorELNS0_4arch9wavefront6targetE1EEEvSY_.private_seg_size, 0
	.set _ZN7rocprim17ROCPRIM_400000_NS6detail17trampoline_kernelINS0_13select_configILj256ELj13ELNS0_17block_load_methodE3ELS4_3ELS4_3ELNS0_20block_scan_algorithmE0ELj4294967295EEENS1_25partition_config_selectorILNS1_17partition_subalgoE3EjNS0_10empty_typeEbEEZZNS1_14partition_implILS8_3ELb0ES6_jNS0_17counting_iteratorIjlEEPS9_SE_NS0_5tupleIJPjSE_EEENSF_IJSE_SE_EEES9_SG_JZNS1_25segmented_radix_sort_implINS0_14default_configELb1EPKdPdPKlPlN2at6native12_GLOBAL__N_18offset_tEEE10hipError_tPvRmT1_PNSt15iterator_traitsISY_E10value_typeET2_T3_PNSZ_IS14_E10value_typeET4_jRbjT5_S1A_jjP12ihipStream_tbEUljE_EEESV_SW_SX_S14_S18_S1A_T6_T7_T9_mT8_S1C_bDpT10_ENKUlT_T0_E_clISt17integral_constantIbLb0EES1P_EEDaS1K_S1L_EUlS1K_E_NS1_11comp_targetILNS1_3genE2ELNS1_11target_archE906ELNS1_3gpuE6ELNS1_3repE0EEENS1_30default_config_static_selectorELNS0_4arch9wavefront6targetE1EEEvSY_.uses_vcc, 1
	.set _ZN7rocprim17ROCPRIM_400000_NS6detail17trampoline_kernelINS0_13select_configILj256ELj13ELNS0_17block_load_methodE3ELS4_3ELS4_3ELNS0_20block_scan_algorithmE0ELj4294967295EEENS1_25partition_config_selectorILNS1_17partition_subalgoE3EjNS0_10empty_typeEbEEZZNS1_14partition_implILS8_3ELb0ES6_jNS0_17counting_iteratorIjlEEPS9_SE_NS0_5tupleIJPjSE_EEENSF_IJSE_SE_EEES9_SG_JZNS1_25segmented_radix_sort_implINS0_14default_configELb1EPKdPdPKlPlN2at6native12_GLOBAL__N_18offset_tEEE10hipError_tPvRmT1_PNSt15iterator_traitsISY_E10value_typeET2_T3_PNSZ_IS14_E10value_typeET4_jRbjT5_S1A_jjP12ihipStream_tbEUljE_EEESV_SW_SX_S14_S18_S1A_T6_T7_T9_mT8_S1C_bDpT10_ENKUlT_T0_E_clISt17integral_constantIbLb0EES1P_EEDaS1K_S1L_EUlS1K_E_NS1_11comp_targetILNS1_3genE2ELNS1_11target_archE906ELNS1_3gpuE6ELNS1_3repE0EEENS1_30default_config_static_selectorELNS0_4arch9wavefront6targetE1EEEvSY_.uses_flat_scratch, 0
	.set _ZN7rocprim17ROCPRIM_400000_NS6detail17trampoline_kernelINS0_13select_configILj256ELj13ELNS0_17block_load_methodE3ELS4_3ELS4_3ELNS0_20block_scan_algorithmE0ELj4294967295EEENS1_25partition_config_selectorILNS1_17partition_subalgoE3EjNS0_10empty_typeEbEEZZNS1_14partition_implILS8_3ELb0ES6_jNS0_17counting_iteratorIjlEEPS9_SE_NS0_5tupleIJPjSE_EEENSF_IJSE_SE_EEES9_SG_JZNS1_25segmented_radix_sort_implINS0_14default_configELb1EPKdPdPKlPlN2at6native12_GLOBAL__N_18offset_tEEE10hipError_tPvRmT1_PNSt15iterator_traitsISY_E10value_typeET2_T3_PNSZ_IS14_E10value_typeET4_jRbjT5_S1A_jjP12ihipStream_tbEUljE_EEESV_SW_SX_S14_S18_S1A_T6_T7_T9_mT8_S1C_bDpT10_ENKUlT_T0_E_clISt17integral_constantIbLb0EES1P_EEDaS1K_S1L_EUlS1K_E_NS1_11comp_targetILNS1_3genE2ELNS1_11target_archE906ELNS1_3gpuE6ELNS1_3repE0EEENS1_30default_config_static_selectorELNS0_4arch9wavefront6targetE1EEEvSY_.has_dyn_sized_stack, 0
	.set _ZN7rocprim17ROCPRIM_400000_NS6detail17trampoline_kernelINS0_13select_configILj256ELj13ELNS0_17block_load_methodE3ELS4_3ELS4_3ELNS0_20block_scan_algorithmE0ELj4294967295EEENS1_25partition_config_selectorILNS1_17partition_subalgoE3EjNS0_10empty_typeEbEEZZNS1_14partition_implILS8_3ELb0ES6_jNS0_17counting_iteratorIjlEEPS9_SE_NS0_5tupleIJPjSE_EEENSF_IJSE_SE_EEES9_SG_JZNS1_25segmented_radix_sort_implINS0_14default_configELb1EPKdPdPKlPlN2at6native12_GLOBAL__N_18offset_tEEE10hipError_tPvRmT1_PNSt15iterator_traitsISY_E10value_typeET2_T3_PNSZ_IS14_E10value_typeET4_jRbjT5_S1A_jjP12ihipStream_tbEUljE_EEESV_SW_SX_S14_S18_S1A_T6_T7_T9_mT8_S1C_bDpT10_ENKUlT_T0_E_clISt17integral_constantIbLb0EES1P_EEDaS1K_S1L_EUlS1K_E_NS1_11comp_targetILNS1_3genE2ELNS1_11target_archE906ELNS1_3gpuE6ELNS1_3repE0EEENS1_30default_config_static_selectorELNS0_4arch9wavefront6targetE1EEEvSY_.has_recursion, 0
	.set _ZN7rocprim17ROCPRIM_400000_NS6detail17trampoline_kernelINS0_13select_configILj256ELj13ELNS0_17block_load_methodE3ELS4_3ELS4_3ELNS0_20block_scan_algorithmE0ELj4294967295EEENS1_25partition_config_selectorILNS1_17partition_subalgoE3EjNS0_10empty_typeEbEEZZNS1_14partition_implILS8_3ELb0ES6_jNS0_17counting_iteratorIjlEEPS9_SE_NS0_5tupleIJPjSE_EEENSF_IJSE_SE_EEES9_SG_JZNS1_25segmented_radix_sort_implINS0_14default_configELb1EPKdPdPKlPlN2at6native12_GLOBAL__N_18offset_tEEE10hipError_tPvRmT1_PNSt15iterator_traitsISY_E10value_typeET2_T3_PNSZ_IS14_E10value_typeET4_jRbjT5_S1A_jjP12ihipStream_tbEUljE_EEESV_SW_SX_S14_S18_S1A_T6_T7_T9_mT8_S1C_bDpT10_ENKUlT_T0_E_clISt17integral_constantIbLb0EES1P_EEDaS1K_S1L_EUlS1K_E_NS1_11comp_targetILNS1_3genE2ELNS1_11target_archE906ELNS1_3gpuE6ELNS1_3repE0EEENS1_30default_config_static_selectorELNS0_4arch9wavefront6targetE1EEEvSY_.has_indirect_call, 0
	.section	.AMDGPU.csdata,"",@progbits
; Kernel info:
; codeLenInByte = 7612
; TotalNumSgprs: 52
; NumVgprs: 69
; ScratchSize: 0
; MemoryBound: 0
; FloatMode: 240
; IeeeMode: 1
; LDSByteSize: 13320 bytes/workgroup (compile time only)
; SGPRBlocks: 12
; VGPRBlocks: 17
; NumSGPRsForWavesPerEU: 102
; NumVGPRsForWavesPerEU: 69
; Occupancy: 3
; WaveLimiterHint : 0
; COMPUTE_PGM_RSRC2:SCRATCH_EN: 0
; COMPUTE_PGM_RSRC2:USER_SGPR: 6
; COMPUTE_PGM_RSRC2:TRAP_HANDLER: 0
; COMPUTE_PGM_RSRC2:TGID_X_EN: 1
; COMPUTE_PGM_RSRC2:TGID_Y_EN: 0
; COMPUTE_PGM_RSRC2:TGID_Z_EN: 0
; COMPUTE_PGM_RSRC2:TIDIG_COMP_CNT: 0
	.section	.text._ZN7rocprim17ROCPRIM_400000_NS6detail17trampoline_kernelINS0_13select_configILj256ELj13ELNS0_17block_load_methodE3ELS4_3ELS4_3ELNS0_20block_scan_algorithmE0ELj4294967295EEENS1_25partition_config_selectorILNS1_17partition_subalgoE3EjNS0_10empty_typeEbEEZZNS1_14partition_implILS8_3ELb0ES6_jNS0_17counting_iteratorIjlEEPS9_SE_NS0_5tupleIJPjSE_EEENSF_IJSE_SE_EEES9_SG_JZNS1_25segmented_radix_sort_implINS0_14default_configELb1EPKdPdPKlPlN2at6native12_GLOBAL__N_18offset_tEEE10hipError_tPvRmT1_PNSt15iterator_traitsISY_E10value_typeET2_T3_PNSZ_IS14_E10value_typeET4_jRbjT5_S1A_jjP12ihipStream_tbEUljE_EEESV_SW_SX_S14_S18_S1A_T6_T7_T9_mT8_S1C_bDpT10_ENKUlT_T0_E_clISt17integral_constantIbLb0EES1P_EEDaS1K_S1L_EUlS1K_E_NS1_11comp_targetILNS1_3genE10ELNS1_11target_archE1200ELNS1_3gpuE4ELNS1_3repE0EEENS1_30default_config_static_selectorELNS0_4arch9wavefront6targetE1EEEvSY_,"axG",@progbits,_ZN7rocprim17ROCPRIM_400000_NS6detail17trampoline_kernelINS0_13select_configILj256ELj13ELNS0_17block_load_methodE3ELS4_3ELS4_3ELNS0_20block_scan_algorithmE0ELj4294967295EEENS1_25partition_config_selectorILNS1_17partition_subalgoE3EjNS0_10empty_typeEbEEZZNS1_14partition_implILS8_3ELb0ES6_jNS0_17counting_iteratorIjlEEPS9_SE_NS0_5tupleIJPjSE_EEENSF_IJSE_SE_EEES9_SG_JZNS1_25segmented_radix_sort_implINS0_14default_configELb1EPKdPdPKlPlN2at6native12_GLOBAL__N_18offset_tEEE10hipError_tPvRmT1_PNSt15iterator_traitsISY_E10value_typeET2_T3_PNSZ_IS14_E10value_typeET4_jRbjT5_S1A_jjP12ihipStream_tbEUljE_EEESV_SW_SX_S14_S18_S1A_T6_T7_T9_mT8_S1C_bDpT10_ENKUlT_T0_E_clISt17integral_constantIbLb0EES1P_EEDaS1K_S1L_EUlS1K_E_NS1_11comp_targetILNS1_3genE10ELNS1_11target_archE1200ELNS1_3gpuE4ELNS1_3repE0EEENS1_30default_config_static_selectorELNS0_4arch9wavefront6targetE1EEEvSY_,comdat
	.globl	_ZN7rocprim17ROCPRIM_400000_NS6detail17trampoline_kernelINS0_13select_configILj256ELj13ELNS0_17block_load_methodE3ELS4_3ELS4_3ELNS0_20block_scan_algorithmE0ELj4294967295EEENS1_25partition_config_selectorILNS1_17partition_subalgoE3EjNS0_10empty_typeEbEEZZNS1_14partition_implILS8_3ELb0ES6_jNS0_17counting_iteratorIjlEEPS9_SE_NS0_5tupleIJPjSE_EEENSF_IJSE_SE_EEES9_SG_JZNS1_25segmented_radix_sort_implINS0_14default_configELb1EPKdPdPKlPlN2at6native12_GLOBAL__N_18offset_tEEE10hipError_tPvRmT1_PNSt15iterator_traitsISY_E10value_typeET2_T3_PNSZ_IS14_E10value_typeET4_jRbjT5_S1A_jjP12ihipStream_tbEUljE_EEESV_SW_SX_S14_S18_S1A_T6_T7_T9_mT8_S1C_bDpT10_ENKUlT_T0_E_clISt17integral_constantIbLb0EES1P_EEDaS1K_S1L_EUlS1K_E_NS1_11comp_targetILNS1_3genE10ELNS1_11target_archE1200ELNS1_3gpuE4ELNS1_3repE0EEENS1_30default_config_static_selectorELNS0_4arch9wavefront6targetE1EEEvSY_ ; -- Begin function _ZN7rocprim17ROCPRIM_400000_NS6detail17trampoline_kernelINS0_13select_configILj256ELj13ELNS0_17block_load_methodE3ELS4_3ELS4_3ELNS0_20block_scan_algorithmE0ELj4294967295EEENS1_25partition_config_selectorILNS1_17partition_subalgoE3EjNS0_10empty_typeEbEEZZNS1_14partition_implILS8_3ELb0ES6_jNS0_17counting_iteratorIjlEEPS9_SE_NS0_5tupleIJPjSE_EEENSF_IJSE_SE_EEES9_SG_JZNS1_25segmented_radix_sort_implINS0_14default_configELb1EPKdPdPKlPlN2at6native12_GLOBAL__N_18offset_tEEE10hipError_tPvRmT1_PNSt15iterator_traitsISY_E10value_typeET2_T3_PNSZ_IS14_E10value_typeET4_jRbjT5_S1A_jjP12ihipStream_tbEUljE_EEESV_SW_SX_S14_S18_S1A_T6_T7_T9_mT8_S1C_bDpT10_ENKUlT_T0_E_clISt17integral_constantIbLb0EES1P_EEDaS1K_S1L_EUlS1K_E_NS1_11comp_targetILNS1_3genE10ELNS1_11target_archE1200ELNS1_3gpuE4ELNS1_3repE0EEENS1_30default_config_static_selectorELNS0_4arch9wavefront6targetE1EEEvSY_
	.p2align	8
	.type	_ZN7rocprim17ROCPRIM_400000_NS6detail17trampoline_kernelINS0_13select_configILj256ELj13ELNS0_17block_load_methodE3ELS4_3ELS4_3ELNS0_20block_scan_algorithmE0ELj4294967295EEENS1_25partition_config_selectorILNS1_17partition_subalgoE3EjNS0_10empty_typeEbEEZZNS1_14partition_implILS8_3ELb0ES6_jNS0_17counting_iteratorIjlEEPS9_SE_NS0_5tupleIJPjSE_EEENSF_IJSE_SE_EEES9_SG_JZNS1_25segmented_radix_sort_implINS0_14default_configELb1EPKdPdPKlPlN2at6native12_GLOBAL__N_18offset_tEEE10hipError_tPvRmT1_PNSt15iterator_traitsISY_E10value_typeET2_T3_PNSZ_IS14_E10value_typeET4_jRbjT5_S1A_jjP12ihipStream_tbEUljE_EEESV_SW_SX_S14_S18_S1A_T6_T7_T9_mT8_S1C_bDpT10_ENKUlT_T0_E_clISt17integral_constantIbLb0EES1P_EEDaS1K_S1L_EUlS1K_E_NS1_11comp_targetILNS1_3genE10ELNS1_11target_archE1200ELNS1_3gpuE4ELNS1_3repE0EEENS1_30default_config_static_selectorELNS0_4arch9wavefront6targetE1EEEvSY_,@function
_ZN7rocprim17ROCPRIM_400000_NS6detail17trampoline_kernelINS0_13select_configILj256ELj13ELNS0_17block_load_methodE3ELS4_3ELS4_3ELNS0_20block_scan_algorithmE0ELj4294967295EEENS1_25partition_config_selectorILNS1_17partition_subalgoE3EjNS0_10empty_typeEbEEZZNS1_14partition_implILS8_3ELb0ES6_jNS0_17counting_iteratorIjlEEPS9_SE_NS0_5tupleIJPjSE_EEENSF_IJSE_SE_EEES9_SG_JZNS1_25segmented_radix_sort_implINS0_14default_configELb1EPKdPdPKlPlN2at6native12_GLOBAL__N_18offset_tEEE10hipError_tPvRmT1_PNSt15iterator_traitsISY_E10value_typeET2_T3_PNSZ_IS14_E10value_typeET4_jRbjT5_S1A_jjP12ihipStream_tbEUljE_EEESV_SW_SX_S14_S18_S1A_T6_T7_T9_mT8_S1C_bDpT10_ENKUlT_T0_E_clISt17integral_constantIbLb0EES1P_EEDaS1K_S1L_EUlS1K_E_NS1_11comp_targetILNS1_3genE10ELNS1_11target_archE1200ELNS1_3gpuE4ELNS1_3repE0EEENS1_30default_config_static_selectorELNS0_4arch9wavefront6targetE1EEEvSY_: ; @_ZN7rocprim17ROCPRIM_400000_NS6detail17trampoline_kernelINS0_13select_configILj256ELj13ELNS0_17block_load_methodE3ELS4_3ELS4_3ELNS0_20block_scan_algorithmE0ELj4294967295EEENS1_25partition_config_selectorILNS1_17partition_subalgoE3EjNS0_10empty_typeEbEEZZNS1_14partition_implILS8_3ELb0ES6_jNS0_17counting_iteratorIjlEEPS9_SE_NS0_5tupleIJPjSE_EEENSF_IJSE_SE_EEES9_SG_JZNS1_25segmented_radix_sort_implINS0_14default_configELb1EPKdPdPKlPlN2at6native12_GLOBAL__N_18offset_tEEE10hipError_tPvRmT1_PNSt15iterator_traitsISY_E10value_typeET2_T3_PNSZ_IS14_E10value_typeET4_jRbjT5_S1A_jjP12ihipStream_tbEUljE_EEESV_SW_SX_S14_S18_S1A_T6_T7_T9_mT8_S1C_bDpT10_ENKUlT_T0_E_clISt17integral_constantIbLb0EES1P_EEDaS1K_S1L_EUlS1K_E_NS1_11comp_targetILNS1_3genE10ELNS1_11target_archE1200ELNS1_3gpuE4ELNS1_3repE0EEENS1_30default_config_static_selectorELNS0_4arch9wavefront6targetE1EEEvSY_
; %bb.0:
	.section	.rodata,"a",@progbits
	.p2align	6, 0x0
	.amdhsa_kernel _ZN7rocprim17ROCPRIM_400000_NS6detail17trampoline_kernelINS0_13select_configILj256ELj13ELNS0_17block_load_methodE3ELS4_3ELS4_3ELNS0_20block_scan_algorithmE0ELj4294967295EEENS1_25partition_config_selectorILNS1_17partition_subalgoE3EjNS0_10empty_typeEbEEZZNS1_14partition_implILS8_3ELb0ES6_jNS0_17counting_iteratorIjlEEPS9_SE_NS0_5tupleIJPjSE_EEENSF_IJSE_SE_EEES9_SG_JZNS1_25segmented_radix_sort_implINS0_14default_configELb1EPKdPdPKlPlN2at6native12_GLOBAL__N_18offset_tEEE10hipError_tPvRmT1_PNSt15iterator_traitsISY_E10value_typeET2_T3_PNSZ_IS14_E10value_typeET4_jRbjT5_S1A_jjP12ihipStream_tbEUljE_EEESV_SW_SX_S14_S18_S1A_T6_T7_T9_mT8_S1C_bDpT10_ENKUlT_T0_E_clISt17integral_constantIbLb0EES1P_EEDaS1K_S1L_EUlS1K_E_NS1_11comp_targetILNS1_3genE10ELNS1_11target_archE1200ELNS1_3gpuE4ELNS1_3repE0EEENS1_30default_config_static_selectorELNS0_4arch9wavefront6targetE1EEEvSY_
		.amdhsa_group_segment_fixed_size 0
		.amdhsa_private_segment_fixed_size 0
		.amdhsa_kernarg_size 144
		.amdhsa_user_sgpr_count 6
		.amdhsa_user_sgpr_private_segment_buffer 1
		.amdhsa_user_sgpr_dispatch_ptr 0
		.amdhsa_user_sgpr_queue_ptr 0
		.amdhsa_user_sgpr_kernarg_segment_ptr 1
		.amdhsa_user_sgpr_dispatch_id 0
		.amdhsa_user_sgpr_flat_scratch_init 0
		.amdhsa_user_sgpr_private_segment_size 0
		.amdhsa_uses_dynamic_stack 0
		.amdhsa_system_sgpr_private_segment_wavefront_offset 0
		.amdhsa_system_sgpr_workgroup_id_x 1
		.amdhsa_system_sgpr_workgroup_id_y 0
		.amdhsa_system_sgpr_workgroup_id_z 0
		.amdhsa_system_sgpr_workgroup_info 0
		.amdhsa_system_vgpr_workitem_id 0
		.amdhsa_next_free_vgpr 1
		.amdhsa_next_free_sgpr 0
		.amdhsa_reserve_vcc 0
		.amdhsa_reserve_flat_scratch 0
		.amdhsa_float_round_mode_32 0
		.amdhsa_float_round_mode_16_64 0
		.amdhsa_float_denorm_mode_32 3
		.amdhsa_float_denorm_mode_16_64 3
		.amdhsa_dx10_clamp 1
		.amdhsa_ieee_mode 1
		.amdhsa_fp16_overflow 0
		.amdhsa_exception_fp_ieee_invalid_op 0
		.amdhsa_exception_fp_denorm_src 0
		.amdhsa_exception_fp_ieee_div_zero 0
		.amdhsa_exception_fp_ieee_overflow 0
		.amdhsa_exception_fp_ieee_underflow 0
		.amdhsa_exception_fp_ieee_inexact 0
		.amdhsa_exception_int_div_zero 0
	.end_amdhsa_kernel
	.section	.text._ZN7rocprim17ROCPRIM_400000_NS6detail17trampoline_kernelINS0_13select_configILj256ELj13ELNS0_17block_load_methodE3ELS4_3ELS4_3ELNS0_20block_scan_algorithmE0ELj4294967295EEENS1_25partition_config_selectorILNS1_17partition_subalgoE3EjNS0_10empty_typeEbEEZZNS1_14partition_implILS8_3ELb0ES6_jNS0_17counting_iteratorIjlEEPS9_SE_NS0_5tupleIJPjSE_EEENSF_IJSE_SE_EEES9_SG_JZNS1_25segmented_radix_sort_implINS0_14default_configELb1EPKdPdPKlPlN2at6native12_GLOBAL__N_18offset_tEEE10hipError_tPvRmT1_PNSt15iterator_traitsISY_E10value_typeET2_T3_PNSZ_IS14_E10value_typeET4_jRbjT5_S1A_jjP12ihipStream_tbEUljE_EEESV_SW_SX_S14_S18_S1A_T6_T7_T9_mT8_S1C_bDpT10_ENKUlT_T0_E_clISt17integral_constantIbLb0EES1P_EEDaS1K_S1L_EUlS1K_E_NS1_11comp_targetILNS1_3genE10ELNS1_11target_archE1200ELNS1_3gpuE4ELNS1_3repE0EEENS1_30default_config_static_selectorELNS0_4arch9wavefront6targetE1EEEvSY_,"axG",@progbits,_ZN7rocprim17ROCPRIM_400000_NS6detail17trampoline_kernelINS0_13select_configILj256ELj13ELNS0_17block_load_methodE3ELS4_3ELS4_3ELNS0_20block_scan_algorithmE0ELj4294967295EEENS1_25partition_config_selectorILNS1_17partition_subalgoE3EjNS0_10empty_typeEbEEZZNS1_14partition_implILS8_3ELb0ES6_jNS0_17counting_iteratorIjlEEPS9_SE_NS0_5tupleIJPjSE_EEENSF_IJSE_SE_EEES9_SG_JZNS1_25segmented_radix_sort_implINS0_14default_configELb1EPKdPdPKlPlN2at6native12_GLOBAL__N_18offset_tEEE10hipError_tPvRmT1_PNSt15iterator_traitsISY_E10value_typeET2_T3_PNSZ_IS14_E10value_typeET4_jRbjT5_S1A_jjP12ihipStream_tbEUljE_EEESV_SW_SX_S14_S18_S1A_T6_T7_T9_mT8_S1C_bDpT10_ENKUlT_T0_E_clISt17integral_constantIbLb0EES1P_EEDaS1K_S1L_EUlS1K_E_NS1_11comp_targetILNS1_3genE10ELNS1_11target_archE1200ELNS1_3gpuE4ELNS1_3repE0EEENS1_30default_config_static_selectorELNS0_4arch9wavefront6targetE1EEEvSY_,comdat
.Lfunc_end1091:
	.size	_ZN7rocprim17ROCPRIM_400000_NS6detail17trampoline_kernelINS0_13select_configILj256ELj13ELNS0_17block_load_methodE3ELS4_3ELS4_3ELNS0_20block_scan_algorithmE0ELj4294967295EEENS1_25partition_config_selectorILNS1_17partition_subalgoE3EjNS0_10empty_typeEbEEZZNS1_14partition_implILS8_3ELb0ES6_jNS0_17counting_iteratorIjlEEPS9_SE_NS0_5tupleIJPjSE_EEENSF_IJSE_SE_EEES9_SG_JZNS1_25segmented_radix_sort_implINS0_14default_configELb1EPKdPdPKlPlN2at6native12_GLOBAL__N_18offset_tEEE10hipError_tPvRmT1_PNSt15iterator_traitsISY_E10value_typeET2_T3_PNSZ_IS14_E10value_typeET4_jRbjT5_S1A_jjP12ihipStream_tbEUljE_EEESV_SW_SX_S14_S18_S1A_T6_T7_T9_mT8_S1C_bDpT10_ENKUlT_T0_E_clISt17integral_constantIbLb0EES1P_EEDaS1K_S1L_EUlS1K_E_NS1_11comp_targetILNS1_3genE10ELNS1_11target_archE1200ELNS1_3gpuE4ELNS1_3repE0EEENS1_30default_config_static_selectorELNS0_4arch9wavefront6targetE1EEEvSY_, .Lfunc_end1091-_ZN7rocprim17ROCPRIM_400000_NS6detail17trampoline_kernelINS0_13select_configILj256ELj13ELNS0_17block_load_methodE3ELS4_3ELS4_3ELNS0_20block_scan_algorithmE0ELj4294967295EEENS1_25partition_config_selectorILNS1_17partition_subalgoE3EjNS0_10empty_typeEbEEZZNS1_14partition_implILS8_3ELb0ES6_jNS0_17counting_iteratorIjlEEPS9_SE_NS0_5tupleIJPjSE_EEENSF_IJSE_SE_EEES9_SG_JZNS1_25segmented_radix_sort_implINS0_14default_configELb1EPKdPdPKlPlN2at6native12_GLOBAL__N_18offset_tEEE10hipError_tPvRmT1_PNSt15iterator_traitsISY_E10value_typeET2_T3_PNSZ_IS14_E10value_typeET4_jRbjT5_S1A_jjP12ihipStream_tbEUljE_EEESV_SW_SX_S14_S18_S1A_T6_T7_T9_mT8_S1C_bDpT10_ENKUlT_T0_E_clISt17integral_constantIbLb0EES1P_EEDaS1K_S1L_EUlS1K_E_NS1_11comp_targetILNS1_3genE10ELNS1_11target_archE1200ELNS1_3gpuE4ELNS1_3repE0EEENS1_30default_config_static_selectorELNS0_4arch9wavefront6targetE1EEEvSY_
                                        ; -- End function
	.set _ZN7rocprim17ROCPRIM_400000_NS6detail17trampoline_kernelINS0_13select_configILj256ELj13ELNS0_17block_load_methodE3ELS4_3ELS4_3ELNS0_20block_scan_algorithmE0ELj4294967295EEENS1_25partition_config_selectorILNS1_17partition_subalgoE3EjNS0_10empty_typeEbEEZZNS1_14partition_implILS8_3ELb0ES6_jNS0_17counting_iteratorIjlEEPS9_SE_NS0_5tupleIJPjSE_EEENSF_IJSE_SE_EEES9_SG_JZNS1_25segmented_radix_sort_implINS0_14default_configELb1EPKdPdPKlPlN2at6native12_GLOBAL__N_18offset_tEEE10hipError_tPvRmT1_PNSt15iterator_traitsISY_E10value_typeET2_T3_PNSZ_IS14_E10value_typeET4_jRbjT5_S1A_jjP12ihipStream_tbEUljE_EEESV_SW_SX_S14_S18_S1A_T6_T7_T9_mT8_S1C_bDpT10_ENKUlT_T0_E_clISt17integral_constantIbLb0EES1P_EEDaS1K_S1L_EUlS1K_E_NS1_11comp_targetILNS1_3genE10ELNS1_11target_archE1200ELNS1_3gpuE4ELNS1_3repE0EEENS1_30default_config_static_selectorELNS0_4arch9wavefront6targetE1EEEvSY_.num_vgpr, 0
	.set _ZN7rocprim17ROCPRIM_400000_NS6detail17trampoline_kernelINS0_13select_configILj256ELj13ELNS0_17block_load_methodE3ELS4_3ELS4_3ELNS0_20block_scan_algorithmE0ELj4294967295EEENS1_25partition_config_selectorILNS1_17partition_subalgoE3EjNS0_10empty_typeEbEEZZNS1_14partition_implILS8_3ELb0ES6_jNS0_17counting_iteratorIjlEEPS9_SE_NS0_5tupleIJPjSE_EEENSF_IJSE_SE_EEES9_SG_JZNS1_25segmented_radix_sort_implINS0_14default_configELb1EPKdPdPKlPlN2at6native12_GLOBAL__N_18offset_tEEE10hipError_tPvRmT1_PNSt15iterator_traitsISY_E10value_typeET2_T3_PNSZ_IS14_E10value_typeET4_jRbjT5_S1A_jjP12ihipStream_tbEUljE_EEESV_SW_SX_S14_S18_S1A_T6_T7_T9_mT8_S1C_bDpT10_ENKUlT_T0_E_clISt17integral_constantIbLb0EES1P_EEDaS1K_S1L_EUlS1K_E_NS1_11comp_targetILNS1_3genE10ELNS1_11target_archE1200ELNS1_3gpuE4ELNS1_3repE0EEENS1_30default_config_static_selectorELNS0_4arch9wavefront6targetE1EEEvSY_.num_agpr, 0
	.set _ZN7rocprim17ROCPRIM_400000_NS6detail17trampoline_kernelINS0_13select_configILj256ELj13ELNS0_17block_load_methodE3ELS4_3ELS4_3ELNS0_20block_scan_algorithmE0ELj4294967295EEENS1_25partition_config_selectorILNS1_17partition_subalgoE3EjNS0_10empty_typeEbEEZZNS1_14partition_implILS8_3ELb0ES6_jNS0_17counting_iteratorIjlEEPS9_SE_NS0_5tupleIJPjSE_EEENSF_IJSE_SE_EEES9_SG_JZNS1_25segmented_radix_sort_implINS0_14default_configELb1EPKdPdPKlPlN2at6native12_GLOBAL__N_18offset_tEEE10hipError_tPvRmT1_PNSt15iterator_traitsISY_E10value_typeET2_T3_PNSZ_IS14_E10value_typeET4_jRbjT5_S1A_jjP12ihipStream_tbEUljE_EEESV_SW_SX_S14_S18_S1A_T6_T7_T9_mT8_S1C_bDpT10_ENKUlT_T0_E_clISt17integral_constantIbLb0EES1P_EEDaS1K_S1L_EUlS1K_E_NS1_11comp_targetILNS1_3genE10ELNS1_11target_archE1200ELNS1_3gpuE4ELNS1_3repE0EEENS1_30default_config_static_selectorELNS0_4arch9wavefront6targetE1EEEvSY_.numbered_sgpr, 0
	.set _ZN7rocprim17ROCPRIM_400000_NS6detail17trampoline_kernelINS0_13select_configILj256ELj13ELNS0_17block_load_methodE3ELS4_3ELS4_3ELNS0_20block_scan_algorithmE0ELj4294967295EEENS1_25partition_config_selectorILNS1_17partition_subalgoE3EjNS0_10empty_typeEbEEZZNS1_14partition_implILS8_3ELb0ES6_jNS0_17counting_iteratorIjlEEPS9_SE_NS0_5tupleIJPjSE_EEENSF_IJSE_SE_EEES9_SG_JZNS1_25segmented_radix_sort_implINS0_14default_configELb1EPKdPdPKlPlN2at6native12_GLOBAL__N_18offset_tEEE10hipError_tPvRmT1_PNSt15iterator_traitsISY_E10value_typeET2_T3_PNSZ_IS14_E10value_typeET4_jRbjT5_S1A_jjP12ihipStream_tbEUljE_EEESV_SW_SX_S14_S18_S1A_T6_T7_T9_mT8_S1C_bDpT10_ENKUlT_T0_E_clISt17integral_constantIbLb0EES1P_EEDaS1K_S1L_EUlS1K_E_NS1_11comp_targetILNS1_3genE10ELNS1_11target_archE1200ELNS1_3gpuE4ELNS1_3repE0EEENS1_30default_config_static_selectorELNS0_4arch9wavefront6targetE1EEEvSY_.num_named_barrier, 0
	.set _ZN7rocprim17ROCPRIM_400000_NS6detail17trampoline_kernelINS0_13select_configILj256ELj13ELNS0_17block_load_methodE3ELS4_3ELS4_3ELNS0_20block_scan_algorithmE0ELj4294967295EEENS1_25partition_config_selectorILNS1_17partition_subalgoE3EjNS0_10empty_typeEbEEZZNS1_14partition_implILS8_3ELb0ES6_jNS0_17counting_iteratorIjlEEPS9_SE_NS0_5tupleIJPjSE_EEENSF_IJSE_SE_EEES9_SG_JZNS1_25segmented_radix_sort_implINS0_14default_configELb1EPKdPdPKlPlN2at6native12_GLOBAL__N_18offset_tEEE10hipError_tPvRmT1_PNSt15iterator_traitsISY_E10value_typeET2_T3_PNSZ_IS14_E10value_typeET4_jRbjT5_S1A_jjP12ihipStream_tbEUljE_EEESV_SW_SX_S14_S18_S1A_T6_T7_T9_mT8_S1C_bDpT10_ENKUlT_T0_E_clISt17integral_constantIbLb0EES1P_EEDaS1K_S1L_EUlS1K_E_NS1_11comp_targetILNS1_3genE10ELNS1_11target_archE1200ELNS1_3gpuE4ELNS1_3repE0EEENS1_30default_config_static_selectorELNS0_4arch9wavefront6targetE1EEEvSY_.private_seg_size, 0
	.set _ZN7rocprim17ROCPRIM_400000_NS6detail17trampoline_kernelINS0_13select_configILj256ELj13ELNS0_17block_load_methodE3ELS4_3ELS4_3ELNS0_20block_scan_algorithmE0ELj4294967295EEENS1_25partition_config_selectorILNS1_17partition_subalgoE3EjNS0_10empty_typeEbEEZZNS1_14partition_implILS8_3ELb0ES6_jNS0_17counting_iteratorIjlEEPS9_SE_NS0_5tupleIJPjSE_EEENSF_IJSE_SE_EEES9_SG_JZNS1_25segmented_radix_sort_implINS0_14default_configELb1EPKdPdPKlPlN2at6native12_GLOBAL__N_18offset_tEEE10hipError_tPvRmT1_PNSt15iterator_traitsISY_E10value_typeET2_T3_PNSZ_IS14_E10value_typeET4_jRbjT5_S1A_jjP12ihipStream_tbEUljE_EEESV_SW_SX_S14_S18_S1A_T6_T7_T9_mT8_S1C_bDpT10_ENKUlT_T0_E_clISt17integral_constantIbLb0EES1P_EEDaS1K_S1L_EUlS1K_E_NS1_11comp_targetILNS1_3genE10ELNS1_11target_archE1200ELNS1_3gpuE4ELNS1_3repE0EEENS1_30default_config_static_selectorELNS0_4arch9wavefront6targetE1EEEvSY_.uses_vcc, 0
	.set _ZN7rocprim17ROCPRIM_400000_NS6detail17trampoline_kernelINS0_13select_configILj256ELj13ELNS0_17block_load_methodE3ELS4_3ELS4_3ELNS0_20block_scan_algorithmE0ELj4294967295EEENS1_25partition_config_selectorILNS1_17partition_subalgoE3EjNS0_10empty_typeEbEEZZNS1_14partition_implILS8_3ELb0ES6_jNS0_17counting_iteratorIjlEEPS9_SE_NS0_5tupleIJPjSE_EEENSF_IJSE_SE_EEES9_SG_JZNS1_25segmented_radix_sort_implINS0_14default_configELb1EPKdPdPKlPlN2at6native12_GLOBAL__N_18offset_tEEE10hipError_tPvRmT1_PNSt15iterator_traitsISY_E10value_typeET2_T3_PNSZ_IS14_E10value_typeET4_jRbjT5_S1A_jjP12ihipStream_tbEUljE_EEESV_SW_SX_S14_S18_S1A_T6_T7_T9_mT8_S1C_bDpT10_ENKUlT_T0_E_clISt17integral_constantIbLb0EES1P_EEDaS1K_S1L_EUlS1K_E_NS1_11comp_targetILNS1_3genE10ELNS1_11target_archE1200ELNS1_3gpuE4ELNS1_3repE0EEENS1_30default_config_static_selectorELNS0_4arch9wavefront6targetE1EEEvSY_.uses_flat_scratch, 0
	.set _ZN7rocprim17ROCPRIM_400000_NS6detail17trampoline_kernelINS0_13select_configILj256ELj13ELNS0_17block_load_methodE3ELS4_3ELS4_3ELNS0_20block_scan_algorithmE0ELj4294967295EEENS1_25partition_config_selectorILNS1_17partition_subalgoE3EjNS0_10empty_typeEbEEZZNS1_14partition_implILS8_3ELb0ES6_jNS0_17counting_iteratorIjlEEPS9_SE_NS0_5tupleIJPjSE_EEENSF_IJSE_SE_EEES9_SG_JZNS1_25segmented_radix_sort_implINS0_14default_configELb1EPKdPdPKlPlN2at6native12_GLOBAL__N_18offset_tEEE10hipError_tPvRmT1_PNSt15iterator_traitsISY_E10value_typeET2_T3_PNSZ_IS14_E10value_typeET4_jRbjT5_S1A_jjP12ihipStream_tbEUljE_EEESV_SW_SX_S14_S18_S1A_T6_T7_T9_mT8_S1C_bDpT10_ENKUlT_T0_E_clISt17integral_constantIbLb0EES1P_EEDaS1K_S1L_EUlS1K_E_NS1_11comp_targetILNS1_3genE10ELNS1_11target_archE1200ELNS1_3gpuE4ELNS1_3repE0EEENS1_30default_config_static_selectorELNS0_4arch9wavefront6targetE1EEEvSY_.has_dyn_sized_stack, 0
	.set _ZN7rocprim17ROCPRIM_400000_NS6detail17trampoline_kernelINS0_13select_configILj256ELj13ELNS0_17block_load_methodE3ELS4_3ELS4_3ELNS0_20block_scan_algorithmE0ELj4294967295EEENS1_25partition_config_selectorILNS1_17partition_subalgoE3EjNS0_10empty_typeEbEEZZNS1_14partition_implILS8_3ELb0ES6_jNS0_17counting_iteratorIjlEEPS9_SE_NS0_5tupleIJPjSE_EEENSF_IJSE_SE_EEES9_SG_JZNS1_25segmented_radix_sort_implINS0_14default_configELb1EPKdPdPKlPlN2at6native12_GLOBAL__N_18offset_tEEE10hipError_tPvRmT1_PNSt15iterator_traitsISY_E10value_typeET2_T3_PNSZ_IS14_E10value_typeET4_jRbjT5_S1A_jjP12ihipStream_tbEUljE_EEESV_SW_SX_S14_S18_S1A_T6_T7_T9_mT8_S1C_bDpT10_ENKUlT_T0_E_clISt17integral_constantIbLb0EES1P_EEDaS1K_S1L_EUlS1K_E_NS1_11comp_targetILNS1_3genE10ELNS1_11target_archE1200ELNS1_3gpuE4ELNS1_3repE0EEENS1_30default_config_static_selectorELNS0_4arch9wavefront6targetE1EEEvSY_.has_recursion, 0
	.set _ZN7rocprim17ROCPRIM_400000_NS6detail17trampoline_kernelINS0_13select_configILj256ELj13ELNS0_17block_load_methodE3ELS4_3ELS4_3ELNS0_20block_scan_algorithmE0ELj4294967295EEENS1_25partition_config_selectorILNS1_17partition_subalgoE3EjNS0_10empty_typeEbEEZZNS1_14partition_implILS8_3ELb0ES6_jNS0_17counting_iteratorIjlEEPS9_SE_NS0_5tupleIJPjSE_EEENSF_IJSE_SE_EEES9_SG_JZNS1_25segmented_radix_sort_implINS0_14default_configELb1EPKdPdPKlPlN2at6native12_GLOBAL__N_18offset_tEEE10hipError_tPvRmT1_PNSt15iterator_traitsISY_E10value_typeET2_T3_PNSZ_IS14_E10value_typeET4_jRbjT5_S1A_jjP12ihipStream_tbEUljE_EEESV_SW_SX_S14_S18_S1A_T6_T7_T9_mT8_S1C_bDpT10_ENKUlT_T0_E_clISt17integral_constantIbLb0EES1P_EEDaS1K_S1L_EUlS1K_E_NS1_11comp_targetILNS1_3genE10ELNS1_11target_archE1200ELNS1_3gpuE4ELNS1_3repE0EEENS1_30default_config_static_selectorELNS0_4arch9wavefront6targetE1EEEvSY_.has_indirect_call, 0
	.section	.AMDGPU.csdata,"",@progbits
; Kernel info:
; codeLenInByte = 0
; TotalNumSgprs: 4
; NumVgprs: 0
; ScratchSize: 0
; MemoryBound: 0
; FloatMode: 240
; IeeeMode: 1
; LDSByteSize: 0 bytes/workgroup (compile time only)
; SGPRBlocks: 0
; VGPRBlocks: 0
; NumSGPRsForWavesPerEU: 4
; NumVGPRsForWavesPerEU: 1
; Occupancy: 10
; WaveLimiterHint : 0
; COMPUTE_PGM_RSRC2:SCRATCH_EN: 0
; COMPUTE_PGM_RSRC2:USER_SGPR: 6
; COMPUTE_PGM_RSRC2:TRAP_HANDLER: 0
; COMPUTE_PGM_RSRC2:TGID_X_EN: 1
; COMPUTE_PGM_RSRC2:TGID_Y_EN: 0
; COMPUTE_PGM_RSRC2:TGID_Z_EN: 0
; COMPUTE_PGM_RSRC2:TIDIG_COMP_CNT: 0
	.section	.text._ZN7rocprim17ROCPRIM_400000_NS6detail17trampoline_kernelINS0_13select_configILj256ELj13ELNS0_17block_load_methodE3ELS4_3ELS4_3ELNS0_20block_scan_algorithmE0ELj4294967295EEENS1_25partition_config_selectorILNS1_17partition_subalgoE3EjNS0_10empty_typeEbEEZZNS1_14partition_implILS8_3ELb0ES6_jNS0_17counting_iteratorIjlEEPS9_SE_NS0_5tupleIJPjSE_EEENSF_IJSE_SE_EEES9_SG_JZNS1_25segmented_radix_sort_implINS0_14default_configELb1EPKdPdPKlPlN2at6native12_GLOBAL__N_18offset_tEEE10hipError_tPvRmT1_PNSt15iterator_traitsISY_E10value_typeET2_T3_PNSZ_IS14_E10value_typeET4_jRbjT5_S1A_jjP12ihipStream_tbEUljE_EEESV_SW_SX_S14_S18_S1A_T6_T7_T9_mT8_S1C_bDpT10_ENKUlT_T0_E_clISt17integral_constantIbLb0EES1P_EEDaS1K_S1L_EUlS1K_E_NS1_11comp_targetILNS1_3genE9ELNS1_11target_archE1100ELNS1_3gpuE3ELNS1_3repE0EEENS1_30default_config_static_selectorELNS0_4arch9wavefront6targetE1EEEvSY_,"axG",@progbits,_ZN7rocprim17ROCPRIM_400000_NS6detail17trampoline_kernelINS0_13select_configILj256ELj13ELNS0_17block_load_methodE3ELS4_3ELS4_3ELNS0_20block_scan_algorithmE0ELj4294967295EEENS1_25partition_config_selectorILNS1_17partition_subalgoE3EjNS0_10empty_typeEbEEZZNS1_14partition_implILS8_3ELb0ES6_jNS0_17counting_iteratorIjlEEPS9_SE_NS0_5tupleIJPjSE_EEENSF_IJSE_SE_EEES9_SG_JZNS1_25segmented_radix_sort_implINS0_14default_configELb1EPKdPdPKlPlN2at6native12_GLOBAL__N_18offset_tEEE10hipError_tPvRmT1_PNSt15iterator_traitsISY_E10value_typeET2_T3_PNSZ_IS14_E10value_typeET4_jRbjT5_S1A_jjP12ihipStream_tbEUljE_EEESV_SW_SX_S14_S18_S1A_T6_T7_T9_mT8_S1C_bDpT10_ENKUlT_T0_E_clISt17integral_constantIbLb0EES1P_EEDaS1K_S1L_EUlS1K_E_NS1_11comp_targetILNS1_3genE9ELNS1_11target_archE1100ELNS1_3gpuE3ELNS1_3repE0EEENS1_30default_config_static_selectorELNS0_4arch9wavefront6targetE1EEEvSY_,comdat
	.globl	_ZN7rocprim17ROCPRIM_400000_NS6detail17trampoline_kernelINS0_13select_configILj256ELj13ELNS0_17block_load_methodE3ELS4_3ELS4_3ELNS0_20block_scan_algorithmE0ELj4294967295EEENS1_25partition_config_selectorILNS1_17partition_subalgoE3EjNS0_10empty_typeEbEEZZNS1_14partition_implILS8_3ELb0ES6_jNS0_17counting_iteratorIjlEEPS9_SE_NS0_5tupleIJPjSE_EEENSF_IJSE_SE_EEES9_SG_JZNS1_25segmented_radix_sort_implINS0_14default_configELb1EPKdPdPKlPlN2at6native12_GLOBAL__N_18offset_tEEE10hipError_tPvRmT1_PNSt15iterator_traitsISY_E10value_typeET2_T3_PNSZ_IS14_E10value_typeET4_jRbjT5_S1A_jjP12ihipStream_tbEUljE_EEESV_SW_SX_S14_S18_S1A_T6_T7_T9_mT8_S1C_bDpT10_ENKUlT_T0_E_clISt17integral_constantIbLb0EES1P_EEDaS1K_S1L_EUlS1K_E_NS1_11comp_targetILNS1_3genE9ELNS1_11target_archE1100ELNS1_3gpuE3ELNS1_3repE0EEENS1_30default_config_static_selectorELNS0_4arch9wavefront6targetE1EEEvSY_ ; -- Begin function _ZN7rocprim17ROCPRIM_400000_NS6detail17trampoline_kernelINS0_13select_configILj256ELj13ELNS0_17block_load_methodE3ELS4_3ELS4_3ELNS0_20block_scan_algorithmE0ELj4294967295EEENS1_25partition_config_selectorILNS1_17partition_subalgoE3EjNS0_10empty_typeEbEEZZNS1_14partition_implILS8_3ELb0ES6_jNS0_17counting_iteratorIjlEEPS9_SE_NS0_5tupleIJPjSE_EEENSF_IJSE_SE_EEES9_SG_JZNS1_25segmented_radix_sort_implINS0_14default_configELb1EPKdPdPKlPlN2at6native12_GLOBAL__N_18offset_tEEE10hipError_tPvRmT1_PNSt15iterator_traitsISY_E10value_typeET2_T3_PNSZ_IS14_E10value_typeET4_jRbjT5_S1A_jjP12ihipStream_tbEUljE_EEESV_SW_SX_S14_S18_S1A_T6_T7_T9_mT8_S1C_bDpT10_ENKUlT_T0_E_clISt17integral_constantIbLb0EES1P_EEDaS1K_S1L_EUlS1K_E_NS1_11comp_targetILNS1_3genE9ELNS1_11target_archE1100ELNS1_3gpuE3ELNS1_3repE0EEENS1_30default_config_static_selectorELNS0_4arch9wavefront6targetE1EEEvSY_
	.p2align	8
	.type	_ZN7rocprim17ROCPRIM_400000_NS6detail17trampoline_kernelINS0_13select_configILj256ELj13ELNS0_17block_load_methodE3ELS4_3ELS4_3ELNS0_20block_scan_algorithmE0ELj4294967295EEENS1_25partition_config_selectorILNS1_17partition_subalgoE3EjNS0_10empty_typeEbEEZZNS1_14partition_implILS8_3ELb0ES6_jNS0_17counting_iteratorIjlEEPS9_SE_NS0_5tupleIJPjSE_EEENSF_IJSE_SE_EEES9_SG_JZNS1_25segmented_radix_sort_implINS0_14default_configELb1EPKdPdPKlPlN2at6native12_GLOBAL__N_18offset_tEEE10hipError_tPvRmT1_PNSt15iterator_traitsISY_E10value_typeET2_T3_PNSZ_IS14_E10value_typeET4_jRbjT5_S1A_jjP12ihipStream_tbEUljE_EEESV_SW_SX_S14_S18_S1A_T6_T7_T9_mT8_S1C_bDpT10_ENKUlT_T0_E_clISt17integral_constantIbLb0EES1P_EEDaS1K_S1L_EUlS1K_E_NS1_11comp_targetILNS1_3genE9ELNS1_11target_archE1100ELNS1_3gpuE3ELNS1_3repE0EEENS1_30default_config_static_selectorELNS0_4arch9wavefront6targetE1EEEvSY_,@function
_ZN7rocprim17ROCPRIM_400000_NS6detail17trampoline_kernelINS0_13select_configILj256ELj13ELNS0_17block_load_methodE3ELS4_3ELS4_3ELNS0_20block_scan_algorithmE0ELj4294967295EEENS1_25partition_config_selectorILNS1_17partition_subalgoE3EjNS0_10empty_typeEbEEZZNS1_14partition_implILS8_3ELb0ES6_jNS0_17counting_iteratorIjlEEPS9_SE_NS0_5tupleIJPjSE_EEENSF_IJSE_SE_EEES9_SG_JZNS1_25segmented_radix_sort_implINS0_14default_configELb1EPKdPdPKlPlN2at6native12_GLOBAL__N_18offset_tEEE10hipError_tPvRmT1_PNSt15iterator_traitsISY_E10value_typeET2_T3_PNSZ_IS14_E10value_typeET4_jRbjT5_S1A_jjP12ihipStream_tbEUljE_EEESV_SW_SX_S14_S18_S1A_T6_T7_T9_mT8_S1C_bDpT10_ENKUlT_T0_E_clISt17integral_constantIbLb0EES1P_EEDaS1K_S1L_EUlS1K_E_NS1_11comp_targetILNS1_3genE9ELNS1_11target_archE1100ELNS1_3gpuE3ELNS1_3repE0EEENS1_30default_config_static_selectorELNS0_4arch9wavefront6targetE1EEEvSY_: ; @_ZN7rocprim17ROCPRIM_400000_NS6detail17trampoline_kernelINS0_13select_configILj256ELj13ELNS0_17block_load_methodE3ELS4_3ELS4_3ELNS0_20block_scan_algorithmE0ELj4294967295EEENS1_25partition_config_selectorILNS1_17partition_subalgoE3EjNS0_10empty_typeEbEEZZNS1_14partition_implILS8_3ELb0ES6_jNS0_17counting_iteratorIjlEEPS9_SE_NS0_5tupleIJPjSE_EEENSF_IJSE_SE_EEES9_SG_JZNS1_25segmented_radix_sort_implINS0_14default_configELb1EPKdPdPKlPlN2at6native12_GLOBAL__N_18offset_tEEE10hipError_tPvRmT1_PNSt15iterator_traitsISY_E10value_typeET2_T3_PNSZ_IS14_E10value_typeET4_jRbjT5_S1A_jjP12ihipStream_tbEUljE_EEESV_SW_SX_S14_S18_S1A_T6_T7_T9_mT8_S1C_bDpT10_ENKUlT_T0_E_clISt17integral_constantIbLb0EES1P_EEDaS1K_S1L_EUlS1K_E_NS1_11comp_targetILNS1_3genE9ELNS1_11target_archE1100ELNS1_3gpuE3ELNS1_3repE0EEENS1_30default_config_static_selectorELNS0_4arch9wavefront6targetE1EEEvSY_
; %bb.0:
	.section	.rodata,"a",@progbits
	.p2align	6, 0x0
	.amdhsa_kernel _ZN7rocprim17ROCPRIM_400000_NS6detail17trampoline_kernelINS0_13select_configILj256ELj13ELNS0_17block_load_methodE3ELS4_3ELS4_3ELNS0_20block_scan_algorithmE0ELj4294967295EEENS1_25partition_config_selectorILNS1_17partition_subalgoE3EjNS0_10empty_typeEbEEZZNS1_14partition_implILS8_3ELb0ES6_jNS0_17counting_iteratorIjlEEPS9_SE_NS0_5tupleIJPjSE_EEENSF_IJSE_SE_EEES9_SG_JZNS1_25segmented_radix_sort_implINS0_14default_configELb1EPKdPdPKlPlN2at6native12_GLOBAL__N_18offset_tEEE10hipError_tPvRmT1_PNSt15iterator_traitsISY_E10value_typeET2_T3_PNSZ_IS14_E10value_typeET4_jRbjT5_S1A_jjP12ihipStream_tbEUljE_EEESV_SW_SX_S14_S18_S1A_T6_T7_T9_mT8_S1C_bDpT10_ENKUlT_T0_E_clISt17integral_constantIbLb0EES1P_EEDaS1K_S1L_EUlS1K_E_NS1_11comp_targetILNS1_3genE9ELNS1_11target_archE1100ELNS1_3gpuE3ELNS1_3repE0EEENS1_30default_config_static_selectorELNS0_4arch9wavefront6targetE1EEEvSY_
		.amdhsa_group_segment_fixed_size 0
		.amdhsa_private_segment_fixed_size 0
		.amdhsa_kernarg_size 144
		.amdhsa_user_sgpr_count 6
		.amdhsa_user_sgpr_private_segment_buffer 1
		.amdhsa_user_sgpr_dispatch_ptr 0
		.amdhsa_user_sgpr_queue_ptr 0
		.amdhsa_user_sgpr_kernarg_segment_ptr 1
		.amdhsa_user_sgpr_dispatch_id 0
		.amdhsa_user_sgpr_flat_scratch_init 0
		.amdhsa_user_sgpr_private_segment_size 0
		.amdhsa_uses_dynamic_stack 0
		.amdhsa_system_sgpr_private_segment_wavefront_offset 0
		.amdhsa_system_sgpr_workgroup_id_x 1
		.amdhsa_system_sgpr_workgroup_id_y 0
		.amdhsa_system_sgpr_workgroup_id_z 0
		.amdhsa_system_sgpr_workgroup_info 0
		.amdhsa_system_vgpr_workitem_id 0
		.amdhsa_next_free_vgpr 1
		.amdhsa_next_free_sgpr 0
		.amdhsa_reserve_vcc 0
		.amdhsa_reserve_flat_scratch 0
		.amdhsa_float_round_mode_32 0
		.amdhsa_float_round_mode_16_64 0
		.amdhsa_float_denorm_mode_32 3
		.amdhsa_float_denorm_mode_16_64 3
		.amdhsa_dx10_clamp 1
		.amdhsa_ieee_mode 1
		.amdhsa_fp16_overflow 0
		.amdhsa_exception_fp_ieee_invalid_op 0
		.amdhsa_exception_fp_denorm_src 0
		.amdhsa_exception_fp_ieee_div_zero 0
		.amdhsa_exception_fp_ieee_overflow 0
		.amdhsa_exception_fp_ieee_underflow 0
		.amdhsa_exception_fp_ieee_inexact 0
		.amdhsa_exception_int_div_zero 0
	.end_amdhsa_kernel
	.section	.text._ZN7rocprim17ROCPRIM_400000_NS6detail17trampoline_kernelINS0_13select_configILj256ELj13ELNS0_17block_load_methodE3ELS4_3ELS4_3ELNS0_20block_scan_algorithmE0ELj4294967295EEENS1_25partition_config_selectorILNS1_17partition_subalgoE3EjNS0_10empty_typeEbEEZZNS1_14partition_implILS8_3ELb0ES6_jNS0_17counting_iteratorIjlEEPS9_SE_NS0_5tupleIJPjSE_EEENSF_IJSE_SE_EEES9_SG_JZNS1_25segmented_radix_sort_implINS0_14default_configELb1EPKdPdPKlPlN2at6native12_GLOBAL__N_18offset_tEEE10hipError_tPvRmT1_PNSt15iterator_traitsISY_E10value_typeET2_T3_PNSZ_IS14_E10value_typeET4_jRbjT5_S1A_jjP12ihipStream_tbEUljE_EEESV_SW_SX_S14_S18_S1A_T6_T7_T9_mT8_S1C_bDpT10_ENKUlT_T0_E_clISt17integral_constantIbLb0EES1P_EEDaS1K_S1L_EUlS1K_E_NS1_11comp_targetILNS1_3genE9ELNS1_11target_archE1100ELNS1_3gpuE3ELNS1_3repE0EEENS1_30default_config_static_selectorELNS0_4arch9wavefront6targetE1EEEvSY_,"axG",@progbits,_ZN7rocprim17ROCPRIM_400000_NS6detail17trampoline_kernelINS0_13select_configILj256ELj13ELNS0_17block_load_methodE3ELS4_3ELS4_3ELNS0_20block_scan_algorithmE0ELj4294967295EEENS1_25partition_config_selectorILNS1_17partition_subalgoE3EjNS0_10empty_typeEbEEZZNS1_14partition_implILS8_3ELb0ES6_jNS0_17counting_iteratorIjlEEPS9_SE_NS0_5tupleIJPjSE_EEENSF_IJSE_SE_EEES9_SG_JZNS1_25segmented_radix_sort_implINS0_14default_configELb1EPKdPdPKlPlN2at6native12_GLOBAL__N_18offset_tEEE10hipError_tPvRmT1_PNSt15iterator_traitsISY_E10value_typeET2_T3_PNSZ_IS14_E10value_typeET4_jRbjT5_S1A_jjP12ihipStream_tbEUljE_EEESV_SW_SX_S14_S18_S1A_T6_T7_T9_mT8_S1C_bDpT10_ENKUlT_T0_E_clISt17integral_constantIbLb0EES1P_EEDaS1K_S1L_EUlS1K_E_NS1_11comp_targetILNS1_3genE9ELNS1_11target_archE1100ELNS1_3gpuE3ELNS1_3repE0EEENS1_30default_config_static_selectorELNS0_4arch9wavefront6targetE1EEEvSY_,comdat
.Lfunc_end1092:
	.size	_ZN7rocprim17ROCPRIM_400000_NS6detail17trampoline_kernelINS0_13select_configILj256ELj13ELNS0_17block_load_methodE3ELS4_3ELS4_3ELNS0_20block_scan_algorithmE0ELj4294967295EEENS1_25partition_config_selectorILNS1_17partition_subalgoE3EjNS0_10empty_typeEbEEZZNS1_14partition_implILS8_3ELb0ES6_jNS0_17counting_iteratorIjlEEPS9_SE_NS0_5tupleIJPjSE_EEENSF_IJSE_SE_EEES9_SG_JZNS1_25segmented_radix_sort_implINS0_14default_configELb1EPKdPdPKlPlN2at6native12_GLOBAL__N_18offset_tEEE10hipError_tPvRmT1_PNSt15iterator_traitsISY_E10value_typeET2_T3_PNSZ_IS14_E10value_typeET4_jRbjT5_S1A_jjP12ihipStream_tbEUljE_EEESV_SW_SX_S14_S18_S1A_T6_T7_T9_mT8_S1C_bDpT10_ENKUlT_T0_E_clISt17integral_constantIbLb0EES1P_EEDaS1K_S1L_EUlS1K_E_NS1_11comp_targetILNS1_3genE9ELNS1_11target_archE1100ELNS1_3gpuE3ELNS1_3repE0EEENS1_30default_config_static_selectorELNS0_4arch9wavefront6targetE1EEEvSY_, .Lfunc_end1092-_ZN7rocprim17ROCPRIM_400000_NS6detail17trampoline_kernelINS0_13select_configILj256ELj13ELNS0_17block_load_methodE3ELS4_3ELS4_3ELNS0_20block_scan_algorithmE0ELj4294967295EEENS1_25partition_config_selectorILNS1_17partition_subalgoE3EjNS0_10empty_typeEbEEZZNS1_14partition_implILS8_3ELb0ES6_jNS0_17counting_iteratorIjlEEPS9_SE_NS0_5tupleIJPjSE_EEENSF_IJSE_SE_EEES9_SG_JZNS1_25segmented_radix_sort_implINS0_14default_configELb1EPKdPdPKlPlN2at6native12_GLOBAL__N_18offset_tEEE10hipError_tPvRmT1_PNSt15iterator_traitsISY_E10value_typeET2_T3_PNSZ_IS14_E10value_typeET4_jRbjT5_S1A_jjP12ihipStream_tbEUljE_EEESV_SW_SX_S14_S18_S1A_T6_T7_T9_mT8_S1C_bDpT10_ENKUlT_T0_E_clISt17integral_constantIbLb0EES1P_EEDaS1K_S1L_EUlS1K_E_NS1_11comp_targetILNS1_3genE9ELNS1_11target_archE1100ELNS1_3gpuE3ELNS1_3repE0EEENS1_30default_config_static_selectorELNS0_4arch9wavefront6targetE1EEEvSY_
                                        ; -- End function
	.set _ZN7rocprim17ROCPRIM_400000_NS6detail17trampoline_kernelINS0_13select_configILj256ELj13ELNS0_17block_load_methodE3ELS4_3ELS4_3ELNS0_20block_scan_algorithmE0ELj4294967295EEENS1_25partition_config_selectorILNS1_17partition_subalgoE3EjNS0_10empty_typeEbEEZZNS1_14partition_implILS8_3ELb0ES6_jNS0_17counting_iteratorIjlEEPS9_SE_NS0_5tupleIJPjSE_EEENSF_IJSE_SE_EEES9_SG_JZNS1_25segmented_radix_sort_implINS0_14default_configELb1EPKdPdPKlPlN2at6native12_GLOBAL__N_18offset_tEEE10hipError_tPvRmT1_PNSt15iterator_traitsISY_E10value_typeET2_T3_PNSZ_IS14_E10value_typeET4_jRbjT5_S1A_jjP12ihipStream_tbEUljE_EEESV_SW_SX_S14_S18_S1A_T6_T7_T9_mT8_S1C_bDpT10_ENKUlT_T0_E_clISt17integral_constantIbLb0EES1P_EEDaS1K_S1L_EUlS1K_E_NS1_11comp_targetILNS1_3genE9ELNS1_11target_archE1100ELNS1_3gpuE3ELNS1_3repE0EEENS1_30default_config_static_selectorELNS0_4arch9wavefront6targetE1EEEvSY_.num_vgpr, 0
	.set _ZN7rocprim17ROCPRIM_400000_NS6detail17trampoline_kernelINS0_13select_configILj256ELj13ELNS0_17block_load_methodE3ELS4_3ELS4_3ELNS0_20block_scan_algorithmE0ELj4294967295EEENS1_25partition_config_selectorILNS1_17partition_subalgoE3EjNS0_10empty_typeEbEEZZNS1_14partition_implILS8_3ELb0ES6_jNS0_17counting_iteratorIjlEEPS9_SE_NS0_5tupleIJPjSE_EEENSF_IJSE_SE_EEES9_SG_JZNS1_25segmented_radix_sort_implINS0_14default_configELb1EPKdPdPKlPlN2at6native12_GLOBAL__N_18offset_tEEE10hipError_tPvRmT1_PNSt15iterator_traitsISY_E10value_typeET2_T3_PNSZ_IS14_E10value_typeET4_jRbjT5_S1A_jjP12ihipStream_tbEUljE_EEESV_SW_SX_S14_S18_S1A_T6_T7_T9_mT8_S1C_bDpT10_ENKUlT_T0_E_clISt17integral_constantIbLb0EES1P_EEDaS1K_S1L_EUlS1K_E_NS1_11comp_targetILNS1_3genE9ELNS1_11target_archE1100ELNS1_3gpuE3ELNS1_3repE0EEENS1_30default_config_static_selectorELNS0_4arch9wavefront6targetE1EEEvSY_.num_agpr, 0
	.set _ZN7rocprim17ROCPRIM_400000_NS6detail17trampoline_kernelINS0_13select_configILj256ELj13ELNS0_17block_load_methodE3ELS4_3ELS4_3ELNS0_20block_scan_algorithmE0ELj4294967295EEENS1_25partition_config_selectorILNS1_17partition_subalgoE3EjNS0_10empty_typeEbEEZZNS1_14partition_implILS8_3ELb0ES6_jNS0_17counting_iteratorIjlEEPS9_SE_NS0_5tupleIJPjSE_EEENSF_IJSE_SE_EEES9_SG_JZNS1_25segmented_radix_sort_implINS0_14default_configELb1EPKdPdPKlPlN2at6native12_GLOBAL__N_18offset_tEEE10hipError_tPvRmT1_PNSt15iterator_traitsISY_E10value_typeET2_T3_PNSZ_IS14_E10value_typeET4_jRbjT5_S1A_jjP12ihipStream_tbEUljE_EEESV_SW_SX_S14_S18_S1A_T6_T7_T9_mT8_S1C_bDpT10_ENKUlT_T0_E_clISt17integral_constantIbLb0EES1P_EEDaS1K_S1L_EUlS1K_E_NS1_11comp_targetILNS1_3genE9ELNS1_11target_archE1100ELNS1_3gpuE3ELNS1_3repE0EEENS1_30default_config_static_selectorELNS0_4arch9wavefront6targetE1EEEvSY_.numbered_sgpr, 0
	.set _ZN7rocprim17ROCPRIM_400000_NS6detail17trampoline_kernelINS0_13select_configILj256ELj13ELNS0_17block_load_methodE3ELS4_3ELS4_3ELNS0_20block_scan_algorithmE0ELj4294967295EEENS1_25partition_config_selectorILNS1_17partition_subalgoE3EjNS0_10empty_typeEbEEZZNS1_14partition_implILS8_3ELb0ES6_jNS0_17counting_iteratorIjlEEPS9_SE_NS0_5tupleIJPjSE_EEENSF_IJSE_SE_EEES9_SG_JZNS1_25segmented_radix_sort_implINS0_14default_configELb1EPKdPdPKlPlN2at6native12_GLOBAL__N_18offset_tEEE10hipError_tPvRmT1_PNSt15iterator_traitsISY_E10value_typeET2_T3_PNSZ_IS14_E10value_typeET4_jRbjT5_S1A_jjP12ihipStream_tbEUljE_EEESV_SW_SX_S14_S18_S1A_T6_T7_T9_mT8_S1C_bDpT10_ENKUlT_T0_E_clISt17integral_constantIbLb0EES1P_EEDaS1K_S1L_EUlS1K_E_NS1_11comp_targetILNS1_3genE9ELNS1_11target_archE1100ELNS1_3gpuE3ELNS1_3repE0EEENS1_30default_config_static_selectorELNS0_4arch9wavefront6targetE1EEEvSY_.num_named_barrier, 0
	.set _ZN7rocprim17ROCPRIM_400000_NS6detail17trampoline_kernelINS0_13select_configILj256ELj13ELNS0_17block_load_methodE3ELS4_3ELS4_3ELNS0_20block_scan_algorithmE0ELj4294967295EEENS1_25partition_config_selectorILNS1_17partition_subalgoE3EjNS0_10empty_typeEbEEZZNS1_14partition_implILS8_3ELb0ES6_jNS0_17counting_iteratorIjlEEPS9_SE_NS0_5tupleIJPjSE_EEENSF_IJSE_SE_EEES9_SG_JZNS1_25segmented_radix_sort_implINS0_14default_configELb1EPKdPdPKlPlN2at6native12_GLOBAL__N_18offset_tEEE10hipError_tPvRmT1_PNSt15iterator_traitsISY_E10value_typeET2_T3_PNSZ_IS14_E10value_typeET4_jRbjT5_S1A_jjP12ihipStream_tbEUljE_EEESV_SW_SX_S14_S18_S1A_T6_T7_T9_mT8_S1C_bDpT10_ENKUlT_T0_E_clISt17integral_constantIbLb0EES1P_EEDaS1K_S1L_EUlS1K_E_NS1_11comp_targetILNS1_3genE9ELNS1_11target_archE1100ELNS1_3gpuE3ELNS1_3repE0EEENS1_30default_config_static_selectorELNS0_4arch9wavefront6targetE1EEEvSY_.private_seg_size, 0
	.set _ZN7rocprim17ROCPRIM_400000_NS6detail17trampoline_kernelINS0_13select_configILj256ELj13ELNS0_17block_load_methodE3ELS4_3ELS4_3ELNS0_20block_scan_algorithmE0ELj4294967295EEENS1_25partition_config_selectorILNS1_17partition_subalgoE3EjNS0_10empty_typeEbEEZZNS1_14partition_implILS8_3ELb0ES6_jNS0_17counting_iteratorIjlEEPS9_SE_NS0_5tupleIJPjSE_EEENSF_IJSE_SE_EEES9_SG_JZNS1_25segmented_radix_sort_implINS0_14default_configELb1EPKdPdPKlPlN2at6native12_GLOBAL__N_18offset_tEEE10hipError_tPvRmT1_PNSt15iterator_traitsISY_E10value_typeET2_T3_PNSZ_IS14_E10value_typeET4_jRbjT5_S1A_jjP12ihipStream_tbEUljE_EEESV_SW_SX_S14_S18_S1A_T6_T7_T9_mT8_S1C_bDpT10_ENKUlT_T0_E_clISt17integral_constantIbLb0EES1P_EEDaS1K_S1L_EUlS1K_E_NS1_11comp_targetILNS1_3genE9ELNS1_11target_archE1100ELNS1_3gpuE3ELNS1_3repE0EEENS1_30default_config_static_selectorELNS0_4arch9wavefront6targetE1EEEvSY_.uses_vcc, 0
	.set _ZN7rocprim17ROCPRIM_400000_NS6detail17trampoline_kernelINS0_13select_configILj256ELj13ELNS0_17block_load_methodE3ELS4_3ELS4_3ELNS0_20block_scan_algorithmE0ELj4294967295EEENS1_25partition_config_selectorILNS1_17partition_subalgoE3EjNS0_10empty_typeEbEEZZNS1_14partition_implILS8_3ELb0ES6_jNS0_17counting_iteratorIjlEEPS9_SE_NS0_5tupleIJPjSE_EEENSF_IJSE_SE_EEES9_SG_JZNS1_25segmented_radix_sort_implINS0_14default_configELb1EPKdPdPKlPlN2at6native12_GLOBAL__N_18offset_tEEE10hipError_tPvRmT1_PNSt15iterator_traitsISY_E10value_typeET2_T3_PNSZ_IS14_E10value_typeET4_jRbjT5_S1A_jjP12ihipStream_tbEUljE_EEESV_SW_SX_S14_S18_S1A_T6_T7_T9_mT8_S1C_bDpT10_ENKUlT_T0_E_clISt17integral_constantIbLb0EES1P_EEDaS1K_S1L_EUlS1K_E_NS1_11comp_targetILNS1_3genE9ELNS1_11target_archE1100ELNS1_3gpuE3ELNS1_3repE0EEENS1_30default_config_static_selectorELNS0_4arch9wavefront6targetE1EEEvSY_.uses_flat_scratch, 0
	.set _ZN7rocprim17ROCPRIM_400000_NS6detail17trampoline_kernelINS0_13select_configILj256ELj13ELNS0_17block_load_methodE3ELS4_3ELS4_3ELNS0_20block_scan_algorithmE0ELj4294967295EEENS1_25partition_config_selectorILNS1_17partition_subalgoE3EjNS0_10empty_typeEbEEZZNS1_14partition_implILS8_3ELb0ES6_jNS0_17counting_iteratorIjlEEPS9_SE_NS0_5tupleIJPjSE_EEENSF_IJSE_SE_EEES9_SG_JZNS1_25segmented_radix_sort_implINS0_14default_configELb1EPKdPdPKlPlN2at6native12_GLOBAL__N_18offset_tEEE10hipError_tPvRmT1_PNSt15iterator_traitsISY_E10value_typeET2_T3_PNSZ_IS14_E10value_typeET4_jRbjT5_S1A_jjP12ihipStream_tbEUljE_EEESV_SW_SX_S14_S18_S1A_T6_T7_T9_mT8_S1C_bDpT10_ENKUlT_T0_E_clISt17integral_constantIbLb0EES1P_EEDaS1K_S1L_EUlS1K_E_NS1_11comp_targetILNS1_3genE9ELNS1_11target_archE1100ELNS1_3gpuE3ELNS1_3repE0EEENS1_30default_config_static_selectorELNS0_4arch9wavefront6targetE1EEEvSY_.has_dyn_sized_stack, 0
	.set _ZN7rocprim17ROCPRIM_400000_NS6detail17trampoline_kernelINS0_13select_configILj256ELj13ELNS0_17block_load_methodE3ELS4_3ELS4_3ELNS0_20block_scan_algorithmE0ELj4294967295EEENS1_25partition_config_selectorILNS1_17partition_subalgoE3EjNS0_10empty_typeEbEEZZNS1_14partition_implILS8_3ELb0ES6_jNS0_17counting_iteratorIjlEEPS9_SE_NS0_5tupleIJPjSE_EEENSF_IJSE_SE_EEES9_SG_JZNS1_25segmented_radix_sort_implINS0_14default_configELb1EPKdPdPKlPlN2at6native12_GLOBAL__N_18offset_tEEE10hipError_tPvRmT1_PNSt15iterator_traitsISY_E10value_typeET2_T3_PNSZ_IS14_E10value_typeET4_jRbjT5_S1A_jjP12ihipStream_tbEUljE_EEESV_SW_SX_S14_S18_S1A_T6_T7_T9_mT8_S1C_bDpT10_ENKUlT_T0_E_clISt17integral_constantIbLb0EES1P_EEDaS1K_S1L_EUlS1K_E_NS1_11comp_targetILNS1_3genE9ELNS1_11target_archE1100ELNS1_3gpuE3ELNS1_3repE0EEENS1_30default_config_static_selectorELNS0_4arch9wavefront6targetE1EEEvSY_.has_recursion, 0
	.set _ZN7rocprim17ROCPRIM_400000_NS6detail17trampoline_kernelINS0_13select_configILj256ELj13ELNS0_17block_load_methodE3ELS4_3ELS4_3ELNS0_20block_scan_algorithmE0ELj4294967295EEENS1_25partition_config_selectorILNS1_17partition_subalgoE3EjNS0_10empty_typeEbEEZZNS1_14partition_implILS8_3ELb0ES6_jNS0_17counting_iteratorIjlEEPS9_SE_NS0_5tupleIJPjSE_EEENSF_IJSE_SE_EEES9_SG_JZNS1_25segmented_radix_sort_implINS0_14default_configELb1EPKdPdPKlPlN2at6native12_GLOBAL__N_18offset_tEEE10hipError_tPvRmT1_PNSt15iterator_traitsISY_E10value_typeET2_T3_PNSZ_IS14_E10value_typeET4_jRbjT5_S1A_jjP12ihipStream_tbEUljE_EEESV_SW_SX_S14_S18_S1A_T6_T7_T9_mT8_S1C_bDpT10_ENKUlT_T0_E_clISt17integral_constantIbLb0EES1P_EEDaS1K_S1L_EUlS1K_E_NS1_11comp_targetILNS1_3genE9ELNS1_11target_archE1100ELNS1_3gpuE3ELNS1_3repE0EEENS1_30default_config_static_selectorELNS0_4arch9wavefront6targetE1EEEvSY_.has_indirect_call, 0
	.section	.AMDGPU.csdata,"",@progbits
; Kernel info:
; codeLenInByte = 0
; TotalNumSgprs: 4
; NumVgprs: 0
; ScratchSize: 0
; MemoryBound: 0
; FloatMode: 240
; IeeeMode: 1
; LDSByteSize: 0 bytes/workgroup (compile time only)
; SGPRBlocks: 0
; VGPRBlocks: 0
; NumSGPRsForWavesPerEU: 4
; NumVGPRsForWavesPerEU: 1
; Occupancy: 10
; WaveLimiterHint : 0
; COMPUTE_PGM_RSRC2:SCRATCH_EN: 0
; COMPUTE_PGM_RSRC2:USER_SGPR: 6
; COMPUTE_PGM_RSRC2:TRAP_HANDLER: 0
; COMPUTE_PGM_RSRC2:TGID_X_EN: 1
; COMPUTE_PGM_RSRC2:TGID_Y_EN: 0
; COMPUTE_PGM_RSRC2:TGID_Z_EN: 0
; COMPUTE_PGM_RSRC2:TIDIG_COMP_CNT: 0
	.section	.text._ZN7rocprim17ROCPRIM_400000_NS6detail17trampoline_kernelINS0_13select_configILj256ELj13ELNS0_17block_load_methodE3ELS4_3ELS4_3ELNS0_20block_scan_algorithmE0ELj4294967295EEENS1_25partition_config_selectorILNS1_17partition_subalgoE3EjNS0_10empty_typeEbEEZZNS1_14partition_implILS8_3ELb0ES6_jNS0_17counting_iteratorIjlEEPS9_SE_NS0_5tupleIJPjSE_EEENSF_IJSE_SE_EEES9_SG_JZNS1_25segmented_radix_sort_implINS0_14default_configELb1EPKdPdPKlPlN2at6native12_GLOBAL__N_18offset_tEEE10hipError_tPvRmT1_PNSt15iterator_traitsISY_E10value_typeET2_T3_PNSZ_IS14_E10value_typeET4_jRbjT5_S1A_jjP12ihipStream_tbEUljE_EEESV_SW_SX_S14_S18_S1A_T6_T7_T9_mT8_S1C_bDpT10_ENKUlT_T0_E_clISt17integral_constantIbLb0EES1P_EEDaS1K_S1L_EUlS1K_E_NS1_11comp_targetILNS1_3genE8ELNS1_11target_archE1030ELNS1_3gpuE2ELNS1_3repE0EEENS1_30default_config_static_selectorELNS0_4arch9wavefront6targetE1EEEvSY_,"axG",@progbits,_ZN7rocprim17ROCPRIM_400000_NS6detail17trampoline_kernelINS0_13select_configILj256ELj13ELNS0_17block_load_methodE3ELS4_3ELS4_3ELNS0_20block_scan_algorithmE0ELj4294967295EEENS1_25partition_config_selectorILNS1_17partition_subalgoE3EjNS0_10empty_typeEbEEZZNS1_14partition_implILS8_3ELb0ES6_jNS0_17counting_iteratorIjlEEPS9_SE_NS0_5tupleIJPjSE_EEENSF_IJSE_SE_EEES9_SG_JZNS1_25segmented_radix_sort_implINS0_14default_configELb1EPKdPdPKlPlN2at6native12_GLOBAL__N_18offset_tEEE10hipError_tPvRmT1_PNSt15iterator_traitsISY_E10value_typeET2_T3_PNSZ_IS14_E10value_typeET4_jRbjT5_S1A_jjP12ihipStream_tbEUljE_EEESV_SW_SX_S14_S18_S1A_T6_T7_T9_mT8_S1C_bDpT10_ENKUlT_T0_E_clISt17integral_constantIbLb0EES1P_EEDaS1K_S1L_EUlS1K_E_NS1_11comp_targetILNS1_3genE8ELNS1_11target_archE1030ELNS1_3gpuE2ELNS1_3repE0EEENS1_30default_config_static_selectorELNS0_4arch9wavefront6targetE1EEEvSY_,comdat
	.globl	_ZN7rocprim17ROCPRIM_400000_NS6detail17trampoline_kernelINS0_13select_configILj256ELj13ELNS0_17block_load_methodE3ELS4_3ELS4_3ELNS0_20block_scan_algorithmE0ELj4294967295EEENS1_25partition_config_selectorILNS1_17partition_subalgoE3EjNS0_10empty_typeEbEEZZNS1_14partition_implILS8_3ELb0ES6_jNS0_17counting_iteratorIjlEEPS9_SE_NS0_5tupleIJPjSE_EEENSF_IJSE_SE_EEES9_SG_JZNS1_25segmented_radix_sort_implINS0_14default_configELb1EPKdPdPKlPlN2at6native12_GLOBAL__N_18offset_tEEE10hipError_tPvRmT1_PNSt15iterator_traitsISY_E10value_typeET2_T3_PNSZ_IS14_E10value_typeET4_jRbjT5_S1A_jjP12ihipStream_tbEUljE_EEESV_SW_SX_S14_S18_S1A_T6_T7_T9_mT8_S1C_bDpT10_ENKUlT_T0_E_clISt17integral_constantIbLb0EES1P_EEDaS1K_S1L_EUlS1K_E_NS1_11comp_targetILNS1_3genE8ELNS1_11target_archE1030ELNS1_3gpuE2ELNS1_3repE0EEENS1_30default_config_static_selectorELNS0_4arch9wavefront6targetE1EEEvSY_ ; -- Begin function _ZN7rocprim17ROCPRIM_400000_NS6detail17trampoline_kernelINS0_13select_configILj256ELj13ELNS0_17block_load_methodE3ELS4_3ELS4_3ELNS0_20block_scan_algorithmE0ELj4294967295EEENS1_25partition_config_selectorILNS1_17partition_subalgoE3EjNS0_10empty_typeEbEEZZNS1_14partition_implILS8_3ELb0ES6_jNS0_17counting_iteratorIjlEEPS9_SE_NS0_5tupleIJPjSE_EEENSF_IJSE_SE_EEES9_SG_JZNS1_25segmented_radix_sort_implINS0_14default_configELb1EPKdPdPKlPlN2at6native12_GLOBAL__N_18offset_tEEE10hipError_tPvRmT1_PNSt15iterator_traitsISY_E10value_typeET2_T3_PNSZ_IS14_E10value_typeET4_jRbjT5_S1A_jjP12ihipStream_tbEUljE_EEESV_SW_SX_S14_S18_S1A_T6_T7_T9_mT8_S1C_bDpT10_ENKUlT_T0_E_clISt17integral_constantIbLb0EES1P_EEDaS1K_S1L_EUlS1K_E_NS1_11comp_targetILNS1_3genE8ELNS1_11target_archE1030ELNS1_3gpuE2ELNS1_3repE0EEENS1_30default_config_static_selectorELNS0_4arch9wavefront6targetE1EEEvSY_
	.p2align	8
	.type	_ZN7rocprim17ROCPRIM_400000_NS6detail17trampoline_kernelINS0_13select_configILj256ELj13ELNS0_17block_load_methodE3ELS4_3ELS4_3ELNS0_20block_scan_algorithmE0ELj4294967295EEENS1_25partition_config_selectorILNS1_17partition_subalgoE3EjNS0_10empty_typeEbEEZZNS1_14partition_implILS8_3ELb0ES6_jNS0_17counting_iteratorIjlEEPS9_SE_NS0_5tupleIJPjSE_EEENSF_IJSE_SE_EEES9_SG_JZNS1_25segmented_radix_sort_implINS0_14default_configELb1EPKdPdPKlPlN2at6native12_GLOBAL__N_18offset_tEEE10hipError_tPvRmT1_PNSt15iterator_traitsISY_E10value_typeET2_T3_PNSZ_IS14_E10value_typeET4_jRbjT5_S1A_jjP12ihipStream_tbEUljE_EEESV_SW_SX_S14_S18_S1A_T6_T7_T9_mT8_S1C_bDpT10_ENKUlT_T0_E_clISt17integral_constantIbLb0EES1P_EEDaS1K_S1L_EUlS1K_E_NS1_11comp_targetILNS1_3genE8ELNS1_11target_archE1030ELNS1_3gpuE2ELNS1_3repE0EEENS1_30default_config_static_selectorELNS0_4arch9wavefront6targetE1EEEvSY_,@function
_ZN7rocprim17ROCPRIM_400000_NS6detail17trampoline_kernelINS0_13select_configILj256ELj13ELNS0_17block_load_methodE3ELS4_3ELS4_3ELNS0_20block_scan_algorithmE0ELj4294967295EEENS1_25partition_config_selectorILNS1_17partition_subalgoE3EjNS0_10empty_typeEbEEZZNS1_14partition_implILS8_3ELb0ES6_jNS0_17counting_iteratorIjlEEPS9_SE_NS0_5tupleIJPjSE_EEENSF_IJSE_SE_EEES9_SG_JZNS1_25segmented_radix_sort_implINS0_14default_configELb1EPKdPdPKlPlN2at6native12_GLOBAL__N_18offset_tEEE10hipError_tPvRmT1_PNSt15iterator_traitsISY_E10value_typeET2_T3_PNSZ_IS14_E10value_typeET4_jRbjT5_S1A_jjP12ihipStream_tbEUljE_EEESV_SW_SX_S14_S18_S1A_T6_T7_T9_mT8_S1C_bDpT10_ENKUlT_T0_E_clISt17integral_constantIbLb0EES1P_EEDaS1K_S1L_EUlS1K_E_NS1_11comp_targetILNS1_3genE8ELNS1_11target_archE1030ELNS1_3gpuE2ELNS1_3repE0EEENS1_30default_config_static_selectorELNS0_4arch9wavefront6targetE1EEEvSY_: ; @_ZN7rocprim17ROCPRIM_400000_NS6detail17trampoline_kernelINS0_13select_configILj256ELj13ELNS0_17block_load_methodE3ELS4_3ELS4_3ELNS0_20block_scan_algorithmE0ELj4294967295EEENS1_25partition_config_selectorILNS1_17partition_subalgoE3EjNS0_10empty_typeEbEEZZNS1_14partition_implILS8_3ELb0ES6_jNS0_17counting_iteratorIjlEEPS9_SE_NS0_5tupleIJPjSE_EEENSF_IJSE_SE_EEES9_SG_JZNS1_25segmented_radix_sort_implINS0_14default_configELb1EPKdPdPKlPlN2at6native12_GLOBAL__N_18offset_tEEE10hipError_tPvRmT1_PNSt15iterator_traitsISY_E10value_typeET2_T3_PNSZ_IS14_E10value_typeET4_jRbjT5_S1A_jjP12ihipStream_tbEUljE_EEESV_SW_SX_S14_S18_S1A_T6_T7_T9_mT8_S1C_bDpT10_ENKUlT_T0_E_clISt17integral_constantIbLb0EES1P_EEDaS1K_S1L_EUlS1K_E_NS1_11comp_targetILNS1_3genE8ELNS1_11target_archE1030ELNS1_3gpuE2ELNS1_3repE0EEENS1_30default_config_static_selectorELNS0_4arch9wavefront6targetE1EEEvSY_
; %bb.0:
	.section	.rodata,"a",@progbits
	.p2align	6, 0x0
	.amdhsa_kernel _ZN7rocprim17ROCPRIM_400000_NS6detail17trampoline_kernelINS0_13select_configILj256ELj13ELNS0_17block_load_methodE3ELS4_3ELS4_3ELNS0_20block_scan_algorithmE0ELj4294967295EEENS1_25partition_config_selectorILNS1_17partition_subalgoE3EjNS0_10empty_typeEbEEZZNS1_14partition_implILS8_3ELb0ES6_jNS0_17counting_iteratorIjlEEPS9_SE_NS0_5tupleIJPjSE_EEENSF_IJSE_SE_EEES9_SG_JZNS1_25segmented_radix_sort_implINS0_14default_configELb1EPKdPdPKlPlN2at6native12_GLOBAL__N_18offset_tEEE10hipError_tPvRmT1_PNSt15iterator_traitsISY_E10value_typeET2_T3_PNSZ_IS14_E10value_typeET4_jRbjT5_S1A_jjP12ihipStream_tbEUljE_EEESV_SW_SX_S14_S18_S1A_T6_T7_T9_mT8_S1C_bDpT10_ENKUlT_T0_E_clISt17integral_constantIbLb0EES1P_EEDaS1K_S1L_EUlS1K_E_NS1_11comp_targetILNS1_3genE8ELNS1_11target_archE1030ELNS1_3gpuE2ELNS1_3repE0EEENS1_30default_config_static_selectorELNS0_4arch9wavefront6targetE1EEEvSY_
		.amdhsa_group_segment_fixed_size 0
		.amdhsa_private_segment_fixed_size 0
		.amdhsa_kernarg_size 144
		.amdhsa_user_sgpr_count 6
		.amdhsa_user_sgpr_private_segment_buffer 1
		.amdhsa_user_sgpr_dispatch_ptr 0
		.amdhsa_user_sgpr_queue_ptr 0
		.amdhsa_user_sgpr_kernarg_segment_ptr 1
		.amdhsa_user_sgpr_dispatch_id 0
		.amdhsa_user_sgpr_flat_scratch_init 0
		.amdhsa_user_sgpr_private_segment_size 0
		.amdhsa_uses_dynamic_stack 0
		.amdhsa_system_sgpr_private_segment_wavefront_offset 0
		.amdhsa_system_sgpr_workgroup_id_x 1
		.amdhsa_system_sgpr_workgroup_id_y 0
		.amdhsa_system_sgpr_workgroup_id_z 0
		.amdhsa_system_sgpr_workgroup_info 0
		.amdhsa_system_vgpr_workitem_id 0
		.amdhsa_next_free_vgpr 1
		.amdhsa_next_free_sgpr 0
		.amdhsa_reserve_vcc 0
		.amdhsa_reserve_flat_scratch 0
		.amdhsa_float_round_mode_32 0
		.amdhsa_float_round_mode_16_64 0
		.amdhsa_float_denorm_mode_32 3
		.amdhsa_float_denorm_mode_16_64 3
		.amdhsa_dx10_clamp 1
		.amdhsa_ieee_mode 1
		.amdhsa_fp16_overflow 0
		.amdhsa_exception_fp_ieee_invalid_op 0
		.amdhsa_exception_fp_denorm_src 0
		.amdhsa_exception_fp_ieee_div_zero 0
		.amdhsa_exception_fp_ieee_overflow 0
		.amdhsa_exception_fp_ieee_underflow 0
		.amdhsa_exception_fp_ieee_inexact 0
		.amdhsa_exception_int_div_zero 0
	.end_amdhsa_kernel
	.section	.text._ZN7rocprim17ROCPRIM_400000_NS6detail17trampoline_kernelINS0_13select_configILj256ELj13ELNS0_17block_load_methodE3ELS4_3ELS4_3ELNS0_20block_scan_algorithmE0ELj4294967295EEENS1_25partition_config_selectorILNS1_17partition_subalgoE3EjNS0_10empty_typeEbEEZZNS1_14partition_implILS8_3ELb0ES6_jNS0_17counting_iteratorIjlEEPS9_SE_NS0_5tupleIJPjSE_EEENSF_IJSE_SE_EEES9_SG_JZNS1_25segmented_radix_sort_implINS0_14default_configELb1EPKdPdPKlPlN2at6native12_GLOBAL__N_18offset_tEEE10hipError_tPvRmT1_PNSt15iterator_traitsISY_E10value_typeET2_T3_PNSZ_IS14_E10value_typeET4_jRbjT5_S1A_jjP12ihipStream_tbEUljE_EEESV_SW_SX_S14_S18_S1A_T6_T7_T9_mT8_S1C_bDpT10_ENKUlT_T0_E_clISt17integral_constantIbLb0EES1P_EEDaS1K_S1L_EUlS1K_E_NS1_11comp_targetILNS1_3genE8ELNS1_11target_archE1030ELNS1_3gpuE2ELNS1_3repE0EEENS1_30default_config_static_selectorELNS0_4arch9wavefront6targetE1EEEvSY_,"axG",@progbits,_ZN7rocprim17ROCPRIM_400000_NS6detail17trampoline_kernelINS0_13select_configILj256ELj13ELNS0_17block_load_methodE3ELS4_3ELS4_3ELNS0_20block_scan_algorithmE0ELj4294967295EEENS1_25partition_config_selectorILNS1_17partition_subalgoE3EjNS0_10empty_typeEbEEZZNS1_14partition_implILS8_3ELb0ES6_jNS0_17counting_iteratorIjlEEPS9_SE_NS0_5tupleIJPjSE_EEENSF_IJSE_SE_EEES9_SG_JZNS1_25segmented_radix_sort_implINS0_14default_configELb1EPKdPdPKlPlN2at6native12_GLOBAL__N_18offset_tEEE10hipError_tPvRmT1_PNSt15iterator_traitsISY_E10value_typeET2_T3_PNSZ_IS14_E10value_typeET4_jRbjT5_S1A_jjP12ihipStream_tbEUljE_EEESV_SW_SX_S14_S18_S1A_T6_T7_T9_mT8_S1C_bDpT10_ENKUlT_T0_E_clISt17integral_constantIbLb0EES1P_EEDaS1K_S1L_EUlS1K_E_NS1_11comp_targetILNS1_3genE8ELNS1_11target_archE1030ELNS1_3gpuE2ELNS1_3repE0EEENS1_30default_config_static_selectorELNS0_4arch9wavefront6targetE1EEEvSY_,comdat
.Lfunc_end1093:
	.size	_ZN7rocprim17ROCPRIM_400000_NS6detail17trampoline_kernelINS0_13select_configILj256ELj13ELNS0_17block_load_methodE3ELS4_3ELS4_3ELNS0_20block_scan_algorithmE0ELj4294967295EEENS1_25partition_config_selectorILNS1_17partition_subalgoE3EjNS0_10empty_typeEbEEZZNS1_14partition_implILS8_3ELb0ES6_jNS0_17counting_iteratorIjlEEPS9_SE_NS0_5tupleIJPjSE_EEENSF_IJSE_SE_EEES9_SG_JZNS1_25segmented_radix_sort_implINS0_14default_configELb1EPKdPdPKlPlN2at6native12_GLOBAL__N_18offset_tEEE10hipError_tPvRmT1_PNSt15iterator_traitsISY_E10value_typeET2_T3_PNSZ_IS14_E10value_typeET4_jRbjT5_S1A_jjP12ihipStream_tbEUljE_EEESV_SW_SX_S14_S18_S1A_T6_T7_T9_mT8_S1C_bDpT10_ENKUlT_T0_E_clISt17integral_constantIbLb0EES1P_EEDaS1K_S1L_EUlS1K_E_NS1_11comp_targetILNS1_3genE8ELNS1_11target_archE1030ELNS1_3gpuE2ELNS1_3repE0EEENS1_30default_config_static_selectorELNS0_4arch9wavefront6targetE1EEEvSY_, .Lfunc_end1093-_ZN7rocprim17ROCPRIM_400000_NS6detail17trampoline_kernelINS0_13select_configILj256ELj13ELNS0_17block_load_methodE3ELS4_3ELS4_3ELNS0_20block_scan_algorithmE0ELj4294967295EEENS1_25partition_config_selectorILNS1_17partition_subalgoE3EjNS0_10empty_typeEbEEZZNS1_14partition_implILS8_3ELb0ES6_jNS0_17counting_iteratorIjlEEPS9_SE_NS0_5tupleIJPjSE_EEENSF_IJSE_SE_EEES9_SG_JZNS1_25segmented_radix_sort_implINS0_14default_configELb1EPKdPdPKlPlN2at6native12_GLOBAL__N_18offset_tEEE10hipError_tPvRmT1_PNSt15iterator_traitsISY_E10value_typeET2_T3_PNSZ_IS14_E10value_typeET4_jRbjT5_S1A_jjP12ihipStream_tbEUljE_EEESV_SW_SX_S14_S18_S1A_T6_T7_T9_mT8_S1C_bDpT10_ENKUlT_T0_E_clISt17integral_constantIbLb0EES1P_EEDaS1K_S1L_EUlS1K_E_NS1_11comp_targetILNS1_3genE8ELNS1_11target_archE1030ELNS1_3gpuE2ELNS1_3repE0EEENS1_30default_config_static_selectorELNS0_4arch9wavefront6targetE1EEEvSY_
                                        ; -- End function
	.set _ZN7rocprim17ROCPRIM_400000_NS6detail17trampoline_kernelINS0_13select_configILj256ELj13ELNS0_17block_load_methodE3ELS4_3ELS4_3ELNS0_20block_scan_algorithmE0ELj4294967295EEENS1_25partition_config_selectorILNS1_17partition_subalgoE3EjNS0_10empty_typeEbEEZZNS1_14partition_implILS8_3ELb0ES6_jNS0_17counting_iteratorIjlEEPS9_SE_NS0_5tupleIJPjSE_EEENSF_IJSE_SE_EEES9_SG_JZNS1_25segmented_radix_sort_implINS0_14default_configELb1EPKdPdPKlPlN2at6native12_GLOBAL__N_18offset_tEEE10hipError_tPvRmT1_PNSt15iterator_traitsISY_E10value_typeET2_T3_PNSZ_IS14_E10value_typeET4_jRbjT5_S1A_jjP12ihipStream_tbEUljE_EEESV_SW_SX_S14_S18_S1A_T6_T7_T9_mT8_S1C_bDpT10_ENKUlT_T0_E_clISt17integral_constantIbLb0EES1P_EEDaS1K_S1L_EUlS1K_E_NS1_11comp_targetILNS1_3genE8ELNS1_11target_archE1030ELNS1_3gpuE2ELNS1_3repE0EEENS1_30default_config_static_selectorELNS0_4arch9wavefront6targetE1EEEvSY_.num_vgpr, 0
	.set _ZN7rocprim17ROCPRIM_400000_NS6detail17trampoline_kernelINS0_13select_configILj256ELj13ELNS0_17block_load_methodE3ELS4_3ELS4_3ELNS0_20block_scan_algorithmE0ELj4294967295EEENS1_25partition_config_selectorILNS1_17partition_subalgoE3EjNS0_10empty_typeEbEEZZNS1_14partition_implILS8_3ELb0ES6_jNS0_17counting_iteratorIjlEEPS9_SE_NS0_5tupleIJPjSE_EEENSF_IJSE_SE_EEES9_SG_JZNS1_25segmented_radix_sort_implINS0_14default_configELb1EPKdPdPKlPlN2at6native12_GLOBAL__N_18offset_tEEE10hipError_tPvRmT1_PNSt15iterator_traitsISY_E10value_typeET2_T3_PNSZ_IS14_E10value_typeET4_jRbjT5_S1A_jjP12ihipStream_tbEUljE_EEESV_SW_SX_S14_S18_S1A_T6_T7_T9_mT8_S1C_bDpT10_ENKUlT_T0_E_clISt17integral_constantIbLb0EES1P_EEDaS1K_S1L_EUlS1K_E_NS1_11comp_targetILNS1_3genE8ELNS1_11target_archE1030ELNS1_3gpuE2ELNS1_3repE0EEENS1_30default_config_static_selectorELNS0_4arch9wavefront6targetE1EEEvSY_.num_agpr, 0
	.set _ZN7rocprim17ROCPRIM_400000_NS6detail17trampoline_kernelINS0_13select_configILj256ELj13ELNS0_17block_load_methodE3ELS4_3ELS4_3ELNS0_20block_scan_algorithmE0ELj4294967295EEENS1_25partition_config_selectorILNS1_17partition_subalgoE3EjNS0_10empty_typeEbEEZZNS1_14partition_implILS8_3ELb0ES6_jNS0_17counting_iteratorIjlEEPS9_SE_NS0_5tupleIJPjSE_EEENSF_IJSE_SE_EEES9_SG_JZNS1_25segmented_radix_sort_implINS0_14default_configELb1EPKdPdPKlPlN2at6native12_GLOBAL__N_18offset_tEEE10hipError_tPvRmT1_PNSt15iterator_traitsISY_E10value_typeET2_T3_PNSZ_IS14_E10value_typeET4_jRbjT5_S1A_jjP12ihipStream_tbEUljE_EEESV_SW_SX_S14_S18_S1A_T6_T7_T9_mT8_S1C_bDpT10_ENKUlT_T0_E_clISt17integral_constantIbLb0EES1P_EEDaS1K_S1L_EUlS1K_E_NS1_11comp_targetILNS1_3genE8ELNS1_11target_archE1030ELNS1_3gpuE2ELNS1_3repE0EEENS1_30default_config_static_selectorELNS0_4arch9wavefront6targetE1EEEvSY_.numbered_sgpr, 0
	.set _ZN7rocprim17ROCPRIM_400000_NS6detail17trampoline_kernelINS0_13select_configILj256ELj13ELNS0_17block_load_methodE3ELS4_3ELS4_3ELNS0_20block_scan_algorithmE0ELj4294967295EEENS1_25partition_config_selectorILNS1_17partition_subalgoE3EjNS0_10empty_typeEbEEZZNS1_14partition_implILS8_3ELb0ES6_jNS0_17counting_iteratorIjlEEPS9_SE_NS0_5tupleIJPjSE_EEENSF_IJSE_SE_EEES9_SG_JZNS1_25segmented_radix_sort_implINS0_14default_configELb1EPKdPdPKlPlN2at6native12_GLOBAL__N_18offset_tEEE10hipError_tPvRmT1_PNSt15iterator_traitsISY_E10value_typeET2_T3_PNSZ_IS14_E10value_typeET4_jRbjT5_S1A_jjP12ihipStream_tbEUljE_EEESV_SW_SX_S14_S18_S1A_T6_T7_T9_mT8_S1C_bDpT10_ENKUlT_T0_E_clISt17integral_constantIbLb0EES1P_EEDaS1K_S1L_EUlS1K_E_NS1_11comp_targetILNS1_3genE8ELNS1_11target_archE1030ELNS1_3gpuE2ELNS1_3repE0EEENS1_30default_config_static_selectorELNS0_4arch9wavefront6targetE1EEEvSY_.num_named_barrier, 0
	.set _ZN7rocprim17ROCPRIM_400000_NS6detail17trampoline_kernelINS0_13select_configILj256ELj13ELNS0_17block_load_methodE3ELS4_3ELS4_3ELNS0_20block_scan_algorithmE0ELj4294967295EEENS1_25partition_config_selectorILNS1_17partition_subalgoE3EjNS0_10empty_typeEbEEZZNS1_14partition_implILS8_3ELb0ES6_jNS0_17counting_iteratorIjlEEPS9_SE_NS0_5tupleIJPjSE_EEENSF_IJSE_SE_EEES9_SG_JZNS1_25segmented_radix_sort_implINS0_14default_configELb1EPKdPdPKlPlN2at6native12_GLOBAL__N_18offset_tEEE10hipError_tPvRmT1_PNSt15iterator_traitsISY_E10value_typeET2_T3_PNSZ_IS14_E10value_typeET4_jRbjT5_S1A_jjP12ihipStream_tbEUljE_EEESV_SW_SX_S14_S18_S1A_T6_T7_T9_mT8_S1C_bDpT10_ENKUlT_T0_E_clISt17integral_constantIbLb0EES1P_EEDaS1K_S1L_EUlS1K_E_NS1_11comp_targetILNS1_3genE8ELNS1_11target_archE1030ELNS1_3gpuE2ELNS1_3repE0EEENS1_30default_config_static_selectorELNS0_4arch9wavefront6targetE1EEEvSY_.private_seg_size, 0
	.set _ZN7rocprim17ROCPRIM_400000_NS6detail17trampoline_kernelINS0_13select_configILj256ELj13ELNS0_17block_load_methodE3ELS4_3ELS4_3ELNS0_20block_scan_algorithmE0ELj4294967295EEENS1_25partition_config_selectorILNS1_17partition_subalgoE3EjNS0_10empty_typeEbEEZZNS1_14partition_implILS8_3ELb0ES6_jNS0_17counting_iteratorIjlEEPS9_SE_NS0_5tupleIJPjSE_EEENSF_IJSE_SE_EEES9_SG_JZNS1_25segmented_radix_sort_implINS0_14default_configELb1EPKdPdPKlPlN2at6native12_GLOBAL__N_18offset_tEEE10hipError_tPvRmT1_PNSt15iterator_traitsISY_E10value_typeET2_T3_PNSZ_IS14_E10value_typeET4_jRbjT5_S1A_jjP12ihipStream_tbEUljE_EEESV_SW_SX_S14_S18_S1A_T6_T7_T9_mT8_S1C_bDpT10_ENKUlT_T0_E_clISt17integral_constantIbLb0EES1P_EEDaS1K_S1L_EUlS1K_E_NS1_11comp_targetILNS1_3genE8ELNS1_11target_archE1030ELNS1_3gpuE2ELNS1_3repE0EEENS1_30default_config_static_selectorELNS0_4arch9wavefront6targetE1EEEvSY_.uses_vcc, 0
	.set _ZN7rocprim17ROCPRIM_400000_NS6detail17trampoline_kernelINS0_13select_configILj256ELj13ELNS0_17block_load_methodE3ELS4_3ELS4_3ELNS0_20block_scan_algorithmE0ELj4294967295EEENS1_25partition_config_selectorILNS1_17partition_subalgoE3EjNS0_10empty_typeEbEEZZNS1_14partition_implILS8_3ELb0ES6_jNS0_17counting_iteratorIjlEEPS9_SE_NS0_5tupleIJPjSE_EEENSF_IJSE_SE_EEES9_SG_JZNS1_25segmented_radix_sort_implINS0_14default_configELb1EPKdPdPKlPlN2at6native12_GLOBAL__N_18offset_tEEE10hipError_tPvRmT1_PNSt15iterator_traitsISY_E10value_typeET2_T3_PNSZ_IS14_E10value_typeET4_jRbjT5_S1A_jjP12ihipStream_tbEUljE_EEESV_SW_SX_S14_S18_S1A_T6_T7_T9_mT8_S1C_bDpT10_ENKUlT_T0_E_clISt17integral_constantIbLb0EES1P_EEDaS1K_S1L_EUlS1K_E_NS1_11comp_targetILNS1_3genE8ELNS1_11target_archE1030ELNS1_3gpuE2ELNS1_3repE0EEENS1_30default_config_static_selectorELNS0_4arch9wavefront6targetE1EEEvSY_.uses_flat_scratch, 0
	.set _ZN7rocprim17ROCPRIM_400000_NS6detail17trampoline_kernelINS0_13select_configILj256ELj13ELNS0_17block_load_methodE3ELS4_3ELS4_3ELNS0_20block_scan_algorithmE0ELj4294967295EEENS1_25partition_config_selectorILNS1_17partition_subalgoE3EjNS0_10empty_typeEbEEZZNS1_14partition_implILS8_3ELb0ES6_jNS0_17counting_iteratorIjlEEPS9_SE_NS0_5tupleIJPjSE_EEENSF_IJSE_SE_EEES9_SG_JZNS1_25segmented_radix_sort_implINS0_14default_configELb1EPKdPdPKlPlN2at6native12_GLOBAL__N_18offset_tEEE10hipError_tPvRmT1_PNSt15iterator_traitsISY_E10value_typeET2_T3_PNSZ_IS14_E10value_typeET4_jRbjT5_S1A_jjP12ihipStream_tbEUljE_EEESV_SW_SX_S14_S18_S1A_T6_T7_T9_mT8_S1C_bDpT10_ENKUlT_T0_E_clISt17integral_constantIbLb0EES1P_EEDaS1K_S1L_EUlS1K_E_NS1_11comp_targetILNS1_3genE8ELNS1_11target_archE1030ELNS1_3gpuE2ELNS1_3repE0EEENS1_30default_config_static_selectorELNS0_4arch9wavefront6targetE1EEEvSY_.has_dyn_sized_stack, 0
	.set _ZN7rocprim17ROCPRIM_400000_NS6detail17trampoline_kernelINS0_13select_configILj256ELj13ELNS0_17block_load_methodE3ELS4_3ELS4_3ELNS0_20block_scan_algorithmE0ELj4294967295EEENS1_25partition_config_selectorILNS1_17partition_subalgoE3EjNS0_10empty_typeEbEEZZNS1_14partition_implILS8_3ELb0ES6_jNS0_17counting_iteratorIjlEEPS9_SE_NS0_5tupleIJPjSE_EEENSF_IJSE_SE_EEES9_SG_JZNS1_25segmented_radix_sort_implINS0_14default_configELb1EPKdPdPKlPlN2at6native12_GLOBAL__N_18offset_tEEE10hipError_tPvRmT1_PNSt15iterator_traitsISY_E10value_typeET2_T3_PNSZ_IS14_E10value_typeET4_jRbjT5_S1A_jjP12ihipStream_tbEUljE_EEESV_SW_SX_S14_S18_S1A_T6_T7_T9_mT8_S1C_bDpT10_ENKUlT_T0_E_clISt17integral_constantIbLb0EES1P_EEDaS1K_S1L_EUlS1K_E_NS1_11comp_targetILNS1_3genE8ELNS1_11target_archE1030ELNS1_3gpuE2ELNS1_3repE0EEENS1_30default_config_static_selectorELNS0_4arch9wavefront6targetE1EEEvSY_.has_recursion, 0
	.set _ZN7rocprim17ROCPRIM_400000_NS6detail17trampoline_kernelINS0_13select_configILj256ELj13ELNS0_17block_load_methodE3ELS4_3ELS4_3ELNS0_20block_scan_algorithmE0ELj4294967295EEENS1_25partition_config_selectorILNS1_17partition_subalgoE3EjNS0_10empty_typeEbEEZZNS1_14partition_implILS8_3ELb0ES6_jNS0_17counting_iteratorIjlEEPS9_SE_NS0_5tupleIJPjSE_EEENSF_IJSE_SE_EEES9_SG_JZNS1_25segmented_radix_sort_implINS0_14default_configELb1EPKdPdPKlPlN2at6native12_GLOBAL__N_18offset_tEEE10hipError_tPvRmT1_PNSt15iterator_traitsISY_E10value_typeET2_T3_PNSZ_IS14_E10value_typeET4_jRbjT5_S1A_jjP12ihipStream_tbEUljE_EEESV_SW_SX_S14_S18_S1A_T6_T7_T9_mT8_S1C_bDpT10_ENKUlT_T0_E_clISt17integral_constantIbLb0EES1P_EEDaS1K_S1L_EUlS1K_E_NS1_11comp_targetILNS1_3genE8ELNS1_11target_archE1030ELNS1_3gpuE2ELNS1_3repE0EEENS1_30default_config_static_selectorELNS0_4arch9wavefront6targetE1EEEvSY_.has_indirect_call, 0
	.section	.AMDGPU.csdata,"",@progbits
; Kernel info:
; codeLenInByte = 0
; TotalNumSgprs: 4
; NumVgprs: 0
; ScratchSize: 0
; MemoryBound: 0
; FloatMode: 240
; IeeeMode: 1
; LDSByteSize: 0 bytes/workgroup (compile time only)
; SGPRBlocks: 0
; VGPRBlocks: 0
; NumSGPRsForWavesPerEU: 4
; NumVGPRsForWavesPerEU: 1
; Occupancy: 10
; WaveLimiterHint : 0
; COMPUTE_PGM_RSRC2:SCRATCH_EN: 0
; COMPUTE_PGM_RSRC2:USER_SGPR: 6
; COMPUTE_PGM_RSRC2:TRAP_HANDLER: 0
; COMPUTE_PGM_RSRC2:TGID_X_EN: 1
; COMPUTE_PGM_RSRC2:TGID_Y_EN: 0
; COMPUTE_PGM_RSRC2:TGID_Z_EN: 0
; COMPUTE_PGM_RSRC2:TIDIG_COMP_CNT: 0
	.section	.text._ZN7rocprim17ROCPRIM_400000_NS6detail17trampoline_kernelINS0_13select_configILj256ELj13ELNS0_17block_load_methodE3ELS4_3ELS4_3ELNS0_20block_scan_algorithmE0ELj4294967295EEENS1_25partition_config_selectorILNS1_17partition_subalgoE3EjNS0_10empty_typeEbEEZZNS1_14partition_implILS8_3ELb0ES6_jNS0_17counting_iteratorIjlEEPS9_SE_NS0_5tupleIJPjSE_EEENSF_IJSE_SE_EEES9_SG_JZNS1_25segmented_radix_sort_implINS0_14default_configELb1EPKdPdPKlPlN2at6native12_GLOBAL__N_18offset_tEEE10hipError_tPvRmT1_PNSt15iterator_traitsISY_E10value_typeET2_T3_PNSZ_IS14_E10value_typeET4_jRbjT5_S1A_jjP12ihipStream_tbEUljE_EEESV_SW_SX_S14_S18_S1A_T6_T7_T9_mT8_S1C_bDpT10_ENKUlT_T0_E_clISt17integral_constantIbLb1EES1P_EEDaS1K_S1L_EUlS1K_E_NS1_11comp_targetILNS1_3genE0ELNS1_11target_archE4294967295ELNS1_3gpuE0ELNS1_3repE0EEENS1_30default_config_static_selectorELNS0_4arch9wavefront6targetE1EEEvSY_,"axG",@progbits,_ZN7rocprim17ROCPRIM_400000_NS6detail17trampoline_kernelINS0_13select_configILj256ELj13ELNS0_17block_load_methodE3ELS4_3ELS4_3ELNS0_20block_scan_algorithmE0ELj4294967295EEENS1_25partition_config_selectorILNS1_17partition_subalgoE3EjNS0_10empty_typeEbEEZZNS1_14partition_implILS8_3ELb0ES6_jNS0_17counting_iteratorIjlEEPS9_SE_NS0_5tupleIJPjSE_EEENSF_IJSE_SE_EEES9_SG_JZNS1_25segmented_radix_sort_implINS0_14default_configELb1EPKdPdPKlPlN2at6native12_GLOBAL__N_18offset_tEEE10hipError_tPvRmT1_PNSt15iterator_traitsISY_E10value_typeET2_T3_PNSZ_IS14_E10value_typeET4_jRbjT5_S1A_jjP12ihipStream_tbEUljE_EEESV_SW_SX_S14_S18_S1A_T6_T7_T9_mT8_S1C_bDpT10_ENKUlT_T0_E_clISt17integral_constantIbLb1EES1P_EEDaS1K_S1L_EUlS1K_E_NS1_11comp_targetILNS1_3genE0ELNS1_11target_archE4294967295ELNS1_3gpuE0ELNS1_3repE0EEENS1_30default_config_static_selectorELNS0_4arch9wavefront6targetE1EEEvSY_,comdat
	.globl	_ZN7rocprim17ROCPRIM_400000_NS6detail17trampoline_kernelINS0_13select_configILj256ELj13ELNS0_17block_load_methodE3ELS4_3ELS4_3ELNS0_20block_scan_algorithmE0ELj4294967295EEENS1_25partition_config_selectorILNS1_17partition_subalgoE3EjNS0_10empty_typeEbEEZZNS1_14partition_implILS8_3ELb0ES6_jNS0_17counting_iteratorIjlEEPS9_SE_NS0_5tupleIJPjSE_EEENSF_IJSE_SE_EEES9_SG_JZNS1_25segmented_radix_sort_implINS0_14default_configELb1EPKdPdPKlPlN2at6native12_GLOBAL__N_18offset_tEEE10hipError_tPvRmT1_PNSt15iterator_traitsISY_E10value_typeET2_T3_PNSZ_IS14_E10value_typeET4_jRbjT5_S1A_jjP12ihipStream_tbEUljE_EEESV_SW_SX_S14_S18_S1A_T6_T7_T9_mT8_S1C_bDpT10_ENKUlT_T0_E_clISt17integral_constantIbLb1EES1P_EEDaS1K_S1L_EUlS1K_E_NS1_11comp_targetILNS1_3genE0ELNS1_11target_archE4294967295ELNS1_3gpuE0ELNS1_3repE0EEENS1_30default_config_static_selectorELNS0_4arch9wavefront6targetE1EEEvSY_ ; -- Begin function _ZN7rocprim17ROCPRIM_400000_NS6detail17trampoline_kernelINS0_13select_configILj256ELj13ELNS0_17block_load_methodE3ELS4_3ELS4_3ELNS0_20block_scan_algorithmE0ELj4294967295EEENS1_25partition_config_selectorILNS1_17partition_subalgoE3EjNS0_10empty_typeEbEEZZNS1_14partition_implILS8_3ELb0ES6_jNS0_17counting_iteratorIjlEEPS9_SE_NS0_5tupleIJPjSE_EEENSF_IJSE_SE_EEES9_SG_JZNS1_25segmented_radix_sort_implINS0_14default_configELb1EPKdPdPKlPlN2at6native12_GLOBAL__N_18offset_tEEE10hipError_tPvRmT1_PNSt15iterator_traitsISY_E10value_typeET2_T3_PNSZ_IS14_E10value_typeET4_jRbjT5_S1A_jjP12ihipStream_tbEUljE_EEESV_SW_SX_S14_S18_S1A_T6_T7_T9_mT8_S1C_bDpT10_ENKUlT_T0_E_clISt17integral_constantIbLb1EES1P_EEDaS1K_S1L_EUlS1K_E_NS1_11comp_targetILNS1_3genE0ELNS1_11target_archE4294967295ELNS1_3gpuE0ELNS1_3repE0EEENS1_30default_config_static_selectorELNS0_4arch9wavefront6targetE1EEEvSY_
	.p2align	8
	.type	_ZN7rocprim17ROCPRIM_400000_NS6detail17trampoline_kernelINS0_13select_configILj256ELj13ELNS0_17block_load_methodE3ELS4_3ELS4_3ELNS0_20block_scan_algorithmE0ELj4294967295EEENS1_25partition_config_selectorILNS1_17partition_subalgoE3EjNS0_10empty_typeEbEEZZNS1_14partition_implILS8_3ELb0ES6_jNS0_17counting_iteratorIjlEEPS9_SE_NS0_5tupleIJPjSE_EEENSF_IJSE_SE_EEES9_SG_JZNS1_25segmented_radix_sort_implINS0_14default_configELb1EPKdPdPKlPlN2at6native12_GLOBAL__N_18offset_tEEE10hipError_tPvRmT1_PNSt15iterator_traitsISY_E10value_typeET2_T3_PNSZ_IS14_E10value_typeET4_jRbjT5_S1A_jjP12ihipStream_tbEUljE_EEESV_SW_SX_S14_S18_S1A_T6_T7_T9_mT8_S1C_bDpT10_ENKUlT_T0_E_clISt17integral_constantIbLb1EES1P_EEDaS1K_S1L_EUlS1K_E_NS1_11comp_targetILNS1_3genE0ELNS1_11target_archE4294967295ELNS1_3gpuE0ELNS1_3repE0EEENS1_30default_config_static_selectorELNS0_4arch9wavefront6targetE1EEEvSY_,@function
_ZN7rocprim17ROCPRIM_400000_NS6detail17trampoline_kernelINS0_13select_configILj256ELj13ELNS0_17block_load_methodE3ELS4_3ELS4_3ELNS0_20block_scan_algorithmE0ELj4294967295EEENS1_25partition_config_selectorILNS1_17partition_subalgoE3EjNS0_10empty_typeEbEEZZNS1_14partition_implILS8_3ELb0ES6_jNS0_17counting_iteratorIjlEEPS9_SE_NS0_5tupleIJPjSE_EEENSF_IJSE_SE_EEES9_SG_JZNS1_25segmented_radix_sort_implINS0_14default_configELb1EPKdPdPKlPlN2at6native12_GLOBAL__N_18offset_tEEE10hipError_tPvRmT1_PNSt15iterator_traitsISY_E10value_typeET2_T3_PNSZ_IS14_E10value_typeET4_jRbjT5_S1A_jjP12ihipStream_tbEUljE_EEESV_SW_SX_S14_S18_S1A_T6_T7_T9_mT8_S1C_bDpT10_ENKUlT_T0_E_clISt17integral_constantIbLb1EES1P_EEDaS1K_S1L_EUlS1K_E_NS1_11comp_targetILNS1_3genE0ELNS1_11target_archE4294967295ELNS1_3gpuE0ELNS1_3repE0EEENS1_30default_config_static_selectorELNS0_4arch9wavefront6targetE1EEEvSY_: ; @_ZN7rocprim17ROCPRIM_400000_NS6detail17trampoline_kernelINS0_13select_configILj256ELj13ELNS0_17block_load_methodE3ELS4_3ELS4_3ELNS0_20block_scan_algorithmE0ELj4294967295EEENS1_25partition_config_selectorILNS1_17partition_subalgoE3EjNS0_10empty_typeEbEEZZNS1_14partition_implILS8_3ELb0ES6_jNS0_17counting_iteratorIjlEEPS9_SE_NS0_5tupleIJPjSE_EEENSF_IJSE_SE_EEES9_SG_JZNS1_25segmented_radix_sort_implINS0_14default_configELb1EPKdPdPKlPlN2at6native12_GLOBAL__N_18offset_tEEE10hipError_tPvRmT1_PNSt15iterator_traitsISY_E10value_typeET2_T3_PNSZ_IS14_E10value_typeET4_jRbjT5_S1A_jjP12ihipStream_tbEUljE_EEESV_SW_SX_S14_S18_S1A_T6_T7_T9_mT8_S1C_bDpT10_ENKUlT_T0_E_clISt17integral_constantIbLb1EES1P_EEDaS1K_S1L_EUlS1K_E_NS1_11comp_targetILNS1_3genE0ELNS1_11target_archE4294967295ELNS1_3gpuE0ELNS1_3repE0EEENS1_30default_config_static_selectorELNS0_4arch9wavefront6targetE1EEEvSY_
; %bb.0:
	.section	.rodata,"a",@progbits
	.p2align	6, 0x0
	.amdhsa_kernel _ZN7rocprim17ROCPRIM_400000_NS6detail17trampoline_kernelINS0_13select_configILj256ELj13ELNS0_17block_load_methodE3ELS4_3ELS4_3ELNS0_20block_scan_algorithmE0ELj4294967295EEENS1_25partition_config_selectorILNS1_17partition_subalgoE3EjNS0_10empty_typeEbEEZZNS1_14partition_implILS8_3ELb0ES6_jNS0_17counting_iteratorIjlEEPS9_SE_NS0_5tupleIJPjSE_EEENSF_IJSE_SE_EEES9_SG_JZNS1_25segmented_radix_sort_implINS0_14default_configELb1EPKdPdPKlPlN2at6native12_GLOBAL__N_18offset_tEEE10hipError_tPvRmT1_PNSt15iterator_traitsISY_E10value_typeET2_T3_PNSZ_IS14_E10value_typeET4_jRbjT5_S1A_jjP12ihipStream_tbEUljE_EEESV_SW_SX_S14_S18_S1A_T6_T7_T9_mT8_S1C_bDpT10_ENKUlT_T0_E_clISt17integral_constantIbLb1EES1P_EEDaS1K_S1L_EUlS1K_E_NS1_11comp_targetILNS1_3genE0ELNS1_11target_archE4294967295ELNS1_3gpuE0ELNS1_3repE0EEENS1_30default_config_static_selectorELNS0_4arch9wavefront6targetE1EEEvSY_
		.amdhsa_group_segment_fixed_size 0
		.amdhsa_private_segment_fixed_size 0
		.amdhsa_kernarg_size 152
		.amdhsa_user_sgpr_count 6
		.amdhsa_user_sgpr_private_segment_buffer 1
		.amdhsa_user_sgpr_dispatch_ptr 0
		.amdhsa_user_sgpr_queue_ptr 0
		.amdhsa_user_sgpr_kernarg_segment_ptr 1
		.amdhsa_user_sgpr_dispatch_id 0
		.amdhsa_user_sgpr_flat_scratch_init 0
		.amdhsa_user_sgpr_private_segment_size 0
		.amdhsa_uses_dynamic_stack 0
		.amdhsa_system_sgpr_private_segment_wavefront_offset 0
		.amdhsa_system_sgpr_workgroup_id_x 1
		.amdhsa_system_sgpr_workgroup_id_y 0
		.amdhsa_system_sgpr_workgroup_id_z 0
		.amdhsa_system_sgpr_workgroup_info 0
		.amdhsa_system_vgpr_workitem_id 0
		.amdhsa_next_free_vgpr 1
		.amdhsa_next_free_sgpr 0
		.amdhsa_reserve_vcc 0
		.amdhsa_reserve_flat_scratch 0
		.amdhsa_float_round_mode_32 0
		.amdhsa_float_round_mode_16_64 0
		.amdhsa_float_denorm_mode_32 3
		.amdhsa_float_denorm_mode_16_64 3
		.amdhsa_dx10_clamp 1
		.amdhsa_ieee_mode 1
		.amdhsa_fp16_overflow 0
		.amdhsa_exception_fp_ieee_invalid_op 0
		.amdhsa_exception_fp_denorm_src 0
		.amdhsa_exception_fp_ieee_div_zero 0
		.amdhsa_exception_fp_ieee_overflow 0
		.amdhsa_exception_fp_ieee_underflow 0
		.amdhsa_exception_fp_ieee_inexact 0
		.amdhsa_exception_int_div_zero 0
	.end_amdhsa_kernel
	.section	.text._ZN7rocprim17ROCPRIM_400000_NS6detail17trampoline_kernelINS0_13select_configILj256ELj13ELNS0_17block_load_methodE3ELS4_3ELS4_3ELNS0_20block_scan_algorithmE0ELj4294967295EEENS1_25partition_config_selectorILNS1_17partition_subalgoE3EjNS0_10empty_typeEbEEZZNS1_14partition_implILS8_3ELb0ES6_jNS0_17counting_iteratorIjlEEPS9_SE_NS0_5tupleIJPjSE_EEENSF_IJSE_SE_EEES9_SG_JZNS1_25segmented_radix_sort_implINS0_14default_configELb1EPKdPdPKlPlN2at6native12_GLOBAL__N_18offset_tEEE10hipError_tPvRmT1_PNSt15iterator_traitsISY_E10value_typeET2_T3_PNSZ_IS14_E10value_typeET4_jRbjT5_S1A_jjP12ihipStream_tbEUljE_EEESV_SW_SX_S14_S18_S1A_T6_T7_T9_mT8_S1C_bDpT10_ENKUlT_T0_E_clISt17integral_constantIbLb1EES1P_EEDaS1K_S1L_EUlS1K_E_NS1_11comp_targetILNS1_3genE0ELNS1_11target_archE4294967295ELNS1_3gpuE0ELNS1_3repE0EEENS1_30default_config_static_selectorELNS0_4arch9wavefront6targetE1EEEvSY_,"axG",@progbits,_ZN7rocprim17ROCPRIM_400000_NS6detail17trampoline_kernelINS0_13select_configILj256ELj13ELNS0_17block_load_methodE3ELS4_3ELS4_3ELNS0_20block_scan_algorithmE0ELj4294967295EEENS1_25partition_config_selectorILNS1_17partition_subalgoE3EjNS0_10empty_typeEbEEZZNS1_14partition_implILS8_3ELb0ES6_jNS0_17counting_iteratorIjlEEPS9_SE_NS0_5tupleIJPjSE_EEENSF_IJSE_SE_EEES9_SG_JZNS1_25segmented_radix_sort_implINS0_14default_configELb1EPKdPdPKlPlN2at6native12_GLOBAL__N_18offset_tEEE10hipError_tPvRmT1_PNSt15iterator_traitsISY_E10value_typeET2_T3_PNSZ_IS14_E10value_typeET4_jRbjT5_S1A_jjP12ihipStream_tbEUljE_EEESV_SW_SX_S14_S18_S1A_T6_T7_T9_mT8_S1C_bDpT10_ENKUlT_T0_E_clISt17integral_constantIbLb1EES1P_EEDaS1K_S1L_EUlS1K_E_NS1_11comp_targetILNS1_3genE0ELNS1_11target_archE4294967295ELNS1_3gpuE0ELNS1_3repE0EEENS1_30default_config_static_selectorELNS0_4arch9wavefront6targetE1EEEvSY_,comdat
.Lfunc_end1094:
	.size	_ZN7rocprim17ROCPRIM_400000_NS6detail17trampoline_kernelINS0_13select_configILj256ELj13ELNS0_17block_load_methodE3ELS4_3ELS4_3ELNS0_20block_scan_algorithmE0ELj4294967295EEENS1_25partition_config_selectorILNS1_17partition_subalgoE3EjNS0_10empty_typeEbEEZZNS1_14partition_implILS8_3ELb0ES6_jNS0_17counting_iteratorIjlEEPS9_SE_NS0_5tupleIJPjSE_EEENSF_IJSE_SE_EEES9_SG_JZNS1_25segmented_radix_sort_implINS0_14default_configELb1EPKdPdPKlPlN2at6native12_GLOBAL__N_18offset_tEEE10hipError_tPvRmT1_PNSt15iterator_traitsISY_E10value_typeET2_T3_PNSZ_IS14_E10value_typeET4_jRbjT5_S1A_jjP12ihipStream_tbEUljE_EEESV_SW_SX_S14_S18_S1A_T6_T7_T9_mT8_S1C_bDpT10_ENKUlT_T0_E_clISt17integral_constantIbLb1EES1P_EEDaS1K_S1L_EUlS1K_E_NS1_11comp_targetILNS1_3genE0ELNS1_11target_archE4294967295ELNS1_3gpuE0ELNS1_3repE0EEENS1_30default_config_static_selectorELNS0_4arch9wavefront6targetE1EEEvSY_, .Lfunc_end1094-_ZN7rocprim17ROCPRIM_400000_NS6detail17trampoline_kernelINS0_13select_configILj256ELj13ELNS0_17block_load_methodE3ELS4_3ELS4_3ELNS0_20block_scan_algorithmE0ELj4294967295EEENS1_25partition_config_selectorILNS1_17partition_subalgoE3EjNS0_10empty_typeEbEEZZNS1_14partition_implILS8_3ELb0ES6_jNS0_17counting_iteratorIjlEEPS9_SE_NS0_5tupleIJPjSE_EEENSF_IJSE_SE_EEES9_SG_JZNS1_25segmented_radix_sort_implINS0_14default_configELb1EPKdPdPKlPlN2at6native12_GLOBAL__N_18offset_tEEE10hipError_tPvRmT1_PNSt15iterator_traitsISY_E10value_typeET2_T3_PNSZ_IS14_E10value_typeET4_jRbjT5_S1A_jjP12ihipStream_tbEUljE_EEESV_SW_SX_S14_S18_S1A_T6_T7_T9_mT8_S1C_bDpT10_ENKUlT_T0_E_clISt17integral_constantIbLb1EES1P_EEDaS1K_S1L_EUlS1K_E_NS1_11comp_targetILNS1_3genE0ELNS1_11target_archE4294967295ELNS1_3gpuE0ELNS1_3repE0EEENS1_30default_config_static_selectorELNS0_4arch9wavefront6targetE1EEEvSY_
                                        ; -- End function
	.set _ZN7rocprim17ROCPRIM_400000_NS6detail17trampoline_kernelINS0_13select_configILj256ELj13ELNS0_17block_load_methodE3ELS4_3ELS4_3ELNS0_20block_scan_algorithmE0ELj4294967295EEENS1_25partition_config_selectorILNS1_17partition_subalgoE3EjNS0_10empty_typeEbEEZZNS1_14partition_implILS8_3ELb0ES6_jNS0_17counting_iteratorIjlEEPS9_SE_NS0_5tupleIJPjSE_EEENSF_IJSE_SE_EEES9_SG_JZNS1_25segmented_radix_sort_implINS0_14default_configELb1EPKdPdPKlPlN2at6native12_GLOBAL__N_18offset_tEEE10hipError_tPvRmT1_PNSt15iterator_traitsISY_E10value_typeET2_T3_PNSZ_IS14_E10value_typeET4_jRbjT5_S1A_jjP12ihipStream_tbEUljE_EEESV_SW_SX_S14_S18_S1A_T6_T7_T9_mT8_S1C_bDpT10_ENKUlT_T0_E_clISt17integral_constantIbLb1EES1P_EEDaS1K_S1L_EUlS1K_E_NS1_11comp_targetILNS1_3genE0ELNS1_11target_archE4294967295ELNS1_3gpuE0ELNS1_3repE0EEENS1_30default_config_static_selectorELNS0_4arch9wavefront6targetE1EEEvSY_.num_vgpr, 0
	.set _ZN7rocprim17ROCPRIM_400000_NS6detail17trampoline_kernelINS0_13select_configILj256ELj13ELNS0_17block_load_methodE3ELS4_3ELS4_3ELNS0_20block_scan_algorithmE0ELj4294967295EEENS1_25partition_config_selectorILNS1_17partition_subalgoE3EjNS0_10empty_typeEbEEZZNS1_14partition_implILS8_3ELb0ES6_jNS0_17counting_iteratorIjlEEPS9_SE_NS0_5tupleIJPjSE_EEENSF_IJSE_SE_EEES9_SG_JZNS1_25segmented_radix_sort_implINS0_14default_configELb1EPKdPdPKlPlN2at6native12_GLOBAL__N_18offset_tEEE10hipError_tPvRmT1_PNSt15iterator_traitsISY_E10value_typeET2_T3_PNSZ_IS14_E10value_typeET4_jRbjT5_S1A_jjP12ihipStream_tbEUljE_EEESV_SW_SX_S14_S18_S1A_T6_T7_T9_mT8_S1C_bDpT10_ENKUlT_T0_E_clISt17integral_constantIbLb1EES1P_EEDaS1K_S1L_EUlS1K_E_NS1_11comp_targetILNS1_3genE0ELNS1_11target_archE4294967295ELNS1_3gpuE0ELNS1_3repE0EEENS1_30default_config_static_selectorELNS0_4arch9wavefront6targetE1EEEvSY_.num_agpr, 0
	.set _ZN7rocprim17ROCPRIM_400000_NS6detail17trampoline_kernelINS0_13select_configILj256ELj13ELNS0_17block_load_methodE3ELS4_3ELS4_3ELNS0_20block_scan_algorithmE0ELj4294967295EEENS1_25partition_config_selectorILNS1_17partition_subalgoE3EjNS0_10empty_typeEbEEZZNS1_14partition_implILS8_3ELb0ES6_jNS0_17counting_iteratorIjlEEPS9_SE_NS0_5tupleIJPjSE_EEENSF_IJSE_SE_EEES9_SG_JZNS1_25segmented_radix_sort_implINS0_14default_configELb1EPKdPdPKlPlN2at6native12_GLOBAL__N_18offset_tEEE10hipError_tPvRmT1_PNSt15iterator_traitsISY_E10value_typeET2_T3_PNSZ_IS14_E10value_typeET4_jRbjT5_S1A_jjP12ihipStream_tbEUljE_EEESV_SW_SX_S14_S18_S1A_T6_T7_T9_mT8_S1C_bDpT10_ENKUlT_T0_E_clISt17integral_constantIbLb1EES1P_EEDaS1K_S1L_EUlS1K_E_NS1_11comp_targetILNS1_3genE0ELNS1_11target_archE4294967295ELNS1_3gpuE0ELNS1_3repE0EEENS1_30default_config_static_selectorELNS0_4arch9wavefront6targetE1EEEvSY_.numbered_sgpr, 0
	.set _ZN7rocprim17ROCPRIM_400000_NS6detail17trampoline_kernelINS0_13select_configILj256ELj13ELNS0_17block_load_methodE3ELS4_3ELS4_3ELNS0_20block_scan_algorithmE0ELj4294967295EEENS1_25partition_config_selectorILNS1_17partition_subalgoE3EjNS0_10empty_typeEbEEZZNS1_14partition_implILS8_3ELb0ES6_jNS0_17counting_iteratorIjlEEPS9_SE_NS0_5tupleIJPjSE_EEENSF_IJSE_SE_EEES9_SG_JZNS1_25segmented_radix_sort_implINS0_14default_configELb1EPKdPdPKlPlN2at6native12_GLOBAL__N_18offset_tEEE10hipError_tPvRmT1_PNSt15iterator_traitsISY_E10value_typeET2_T3_PNSZ_IS14_E10value_typeET4_jRbjT5_S1A_jjP12ihipStream_tbEUljE_EEESV_SW_SX_S14_S18_S1A_T6_T7_T9_mT8_S1C_bDpT10_ENKUlT_T0_E_clISt17integral_constantIbLb1EES1P_EEDaS1K_S1L_EUlS1K_E_NS1_11comp_targetILNS1_3genE0ELNS1_11target_archE4294967295ELNS1_3gpuE0ELNS1_3repE0EEENS1_30default_config_static_selectorELNS0_4arch9wavefront6targetE1EEEvSY_.num_named_barrier, 0
	.set _ZN7rocprim17ROCPRIM_400000_NS6detail17trampoline_kernelINS0_13select_configILj256ELj13ELNS0_17block_load_methodE3ELS4_3ELS4_3ELNS0_20block_scan_algorithmE0ELj4294967295EEENS1_25partition_config_selectorILNS1_17partition_subalgoE3EjNS0_10empty_typeEbEEZZNS1_14partition_implILS8_3ELb0ES6_jNS0_17counting_iteratorIjlEEPS9_SE_NS0_5tupleIJPjSE_EEENSF_IJSE_SE_EEES9_SG_JZNS1_25segmented_radix_sort_implINS0_14default_configELb1EPKdPdPKlPlN2at6native12_GLOBAL__N_18offset_tEEE10hipError_tPvRmT1_PNSt15iterator_traitsISY_E10value_typeET2_T3_PNSZ_IS14_E10value_typeET4_jRbjT5_S1A_jjP12ihipStream_tbEUljE_EEESV_SW_SX_S14_S18_S1A_T6_T7_T9_mT8_S1C_bDpT10_ENKUlT_T0_E_clISt17integral_constantIbLb1EES1P_EEDaS1K_S1L_EUlS1K_E_NS1_11comp_targetILNS1_3genE0ELNS1_11target_archE4294967295ELNS1_3gpuE0ELNS1_3repE0EEENS1_30default_config_static_selectorELNS0_4arch9wavefront6targetE1EEEvSY_.private_seg_size, 0
	.set _ZN7rocprim17ROCPRIM_400000_NS6detail17trampoline_kernelINS0_13select_configILj256ELj13ELNS0_17block_load_methodE3ELS4_3ELS4_3ELNS0_20block_scan_algorithmE0ELj4294967295EEENS1_25partition_config_selectorILNS1_17partition_subalgoE3EjNS0_10empty_typeEbEEZZNS1_14partition_implILS8_3ELb0ES6_jNS0_17counting_iteratorIjlEEPS9_SE_NS0_5tupleIJPjSE_EEENSF_IJSE_SE_EEES9_SG_JZNS1_25segmented_radix_sort_implINS0_14default_configELb1EPKdPdPKlPlN2at6native12_GLOBAL__N_18offset_tEEE10hipError_tPvRmT1_PNSt15iterator_traitsISY_E10value_typeET2_T3_PNSZ_IS14_E10value_typeET4_jRbjT5_S1A_jjP12ihipStream_tbEUljE_EEESV_SW_SX_S14_S18_S1A_T6_T7_T9_mT8_S1C_bDpT10_ENKUlT_T0_E_clISt17integral_constantIbLb1EES1P_EEDaS1K_S1L_EUlS1K_E_NS1_11comp_targetILNS1_3genE0ELNS1_11target_archE4294967295ELNS1_3gpuE0ELNS1_3repE0EEENS1_30default_config_static_selectorELNS0_4arch9wavefront6targetE1EEEvSY_.uses_vcc, 0
	.set _ZN7rocprim17ROCPRIM_400000_NS6detail17trampoline_kernelINS0_13select_configILj256ELj13ELNS0_17block_load_methodE3ELS4_3ELS4_3ELNS0_20block_scan_algorithmE0ELj4294967295EEENS1_25partition_config_selectorILNS1_17partition_subalgoE3EjNS0_10empty_typeEbEEZZNS1_14partition_implILS8_3ELb0ES6_jNS0_17counting_iteratorIjlEEPS9_SE_NS0_5tupleIJPjSE_EEENSF_IJSE_SE_EEES9_SG_JZNS1_25segmented_radix_sort_implINS0_14default_configELb1EPKdPdPKlPlN2at6native12_GLOBAL__N_18offset_tEEE10hipError_tPvRmT1_PNSt15iterator_traitsISY_E10value_typeET2_T3_PNSZ_IS14_E10value_typeET4_jRbjT5_S1A_jjP12ihipStream_tbEUljE_EEESV_SW_SX_S14_S18_S1A_T6_T7_T9_mT8_S1C_bDpT10_ENKUlT_T0_E_clISt17integral_constantIbLb1EES1P_EEDaS1K_S1L_EUlS1K_E_NS1_11comp_targetILNS1_3genE0ELNS1_11target_archE4294967295ELNS1_3gpuE0ELNS1_3repE0EEENS1_30default_config_static_selectorELNS0_4arch9wavefront6targetE1EEEvSY_.uses_flat_scratch, 0
	.set _ZN7rocprim17ROCPRIM_400000_NS6detail17trampoline_kernelINS0_13select_configILj256ELj13ELNS0_17block_load_methodE3ELS4_3ELS4_3ELNS0_20block_scan_algorithmE0ELj4294967295EEENS1_25partition_config_selectorILNS1_17partition_subalgoE3EjNS0_10empty_typeEbEEZZNS1_14partition_implILS8_3ELb0ES6_jNS0_17counting_iteratorIjlEEPS9_SE_NS0_5tupleIJPjSE_EEENSF_IJSE_SE_EEES9_SG_JZNS1_25segmented_radix_sort_implINS0_14default_configELb1EPKdPdPKlPlN2at6native12_GLOBAL__N_18offset_tEEE10hipError_tPvRmT1_PNSt15iterator_traitsISY_E10value_typeET2_T3_PNSZ_IS14_E10value_typeET4_jRbjT5_S1A_jjP12ihipStream_tbEUljE_EEESV_SW_SX_S14_S18_S1A_T6_T7_T9_mT8_S1C_bDpT10_ENKUlT_T0_E_clISt17integral_constantIbLb1EES1P_EEDaS1K_S1L_EUlS1K_E_NS1_11comp_targetILNS1_3genE0ELNS1_11target_archE4294967295ELNS1_3gpuE0ELNS1_3repE0EEENS1_30default_config_static_selectorELNS0_4arch9wavefront6targetE1EEEvSY_.has_dyn_sized_stack, 0
	.set _ZN7rocprim17ROCPRIM_400000_NS6detail17trampoline_kernelINS0_13select_configILj256ELj13ELNS0_17block_load_methodE3ELS4_3ELS4_3ELNS0_20block_scan_algorithmE0ELj4294967295EEENS1_25partition_config_selectorILNS1_17partition_subalgoE3EjNS0_10empty_typeEbEEZZNS1_14partition_implILS8_3ELb0ES6_jNS0_17counting_iteratorIjlEEPS9_SE_NS0_5tupleIJPjSE_EEENSF_IJSE_SE_EEES9_SG_JZNS1_25segmented_radix_sort_implINS0_14default_configELb1EPKdPdPKlPlN2at6native12_GLOBAL__N_18offset_tEEE10hipError_tPvRmT1_PNSt15iterator_traitsISY_E10value_typeET2_T3_PNSZ_IS14_E10value_typeET4_jRbjT5_S1A_jjP12ihipStream_tbEUljE_EEESV_SW_SX_S14_S18_S1A_T6_T7_T9_mT8_S1C_bDpT10_ENKUlT_T0_E_clISt17integral_constantIbLb1EES1P_EEDaS1K_S1L_EUlS1K_E_NS1_11comp_targetILNS1_3genE0ELNS1_11target_archE4294967295ELNS1_3gpuE0ELNS1_3repE0EEENS1_30default_config_static_selectorELNS0_4arch9wavefront6targetE1EEEvSY_.has_recursion, 0
	.set _ZN7rocprim17ROCPRIM_400000_NS6detail17trampoline_kernelINS0_13select_configILj256ELj13ELNS0_17block_load_methodE3ELS4_3ELS4_3ELNS0_20block_scan_algorithmE0ELj4294967295EEENS1_25partition_config_selectorILNS1_17partition_subalgoE3EjNS0_10empty_typeEbEEZZNS1_14partition_implILS8_3ELb0ES6_jNS0_17counting_iteratorIjlEEPS9_SE_NS0_5tupleIJPjSE_EEENSF_IJSE_SE_EEES9_SG_JZNS1_25segmented_radix_sort_implINS0_14default_configELb1EPKdPdPKlPlN2at6native12_GLOBAL__N_18offset_tEEE10hipError_tPvRmT1_PNSt15iterator_traitsISY_E10value_typeET2_T3_PNSZ_IS14_E10value_typeET4_jRbjT5_S1A_jjP12ihipStream_tbEUljE_EEESV_SW_SX_S14_S18_S1A_T6_T7_T9_mT8_S1C_bDpT10_ENKUlT_T0_E_clISt17integral_constantIbLb1EES1P_EEDaS1K_S1L_EUlS1K_E_NS1_11comp_targetILNS1_3genE0ELNS1_11target_archE4294967295ELNS1_3gpuE0ELNS1_3repE0EEENS1_30default_config_static_selectorELNS0_4arch9wavefront6targetE1EEEvSY_.has_indirect_call, 0
	.section	.AMDGPU.csdata,"",@progbits
; Kernel info:
; codeLenInByte = 0
; TotalNumSgprs: 4
; NumVgprs: 0
; ScratchSize: 0
; MemoryBound: 0
; FloatMode: 240
; IeeeMode: 1
; LDSByteSize: 0 bytes/workgroup (compile time only)
; SGPRBlocks: 0
; VGPRBlocks: 0
; NumSGPRsForWavesPerEU: 4
; NumVGPRsForWavesPerEU: 1
; Occupancy: 10
; WaveLimiterHint : 0
; COMPUTE_PGM_RSRC2:SCRATCH_EN: 0
; COMPUTE_PGM_RSRC2:USER_SGPR: 6
; COMPUTE_PGM_RSRC2:TRAP_HANDLER: 0
; COMPUTE_PGM_RSRC2:TGID_X_EN: 1
; COMPUTE_PGM_RSRC2:TGID_Y_EN: 0
; COMPUTE_PGM_RSRC2:TGID_Z_EN: 0
; COMPUTE_PGM_RSRC2:TIDIG_COMP_CNT: 0
	.section	.text._ZN7rocprim17ROCPRIM_400000_NS6detail17trampoline_kernelINS0_13select_configILj256ELj13ELNS0_17block_load_methodE3ELS4_3ELS4_3ELNS0_20block_scan_algorithmE0ELj4294967295EEENS1_25partition_config_selectorILNS1_17partition_subalgoE3EjNS0_10empty_typeEbEEZZNS1_14partition_implILS8_3ELb0ES6_jNS0_17counting_iteratorIjlEEPS9_SE_NS0_5tupleIJPjSE_EEENSF_IJSE_SE_EEES9_SG_JZNS1_25segmented_radix_sort_implINS0_14default_configELb1EPKdPdPKlPlN2at6native12_GLOBAL__N_18offset_tEEE10hipError_tPvRmT1_PNSt15iterator_traitsISY_E10value_typeET2_T3_PNSZ_IS14_E10value_typeET4_jRbjT5_S1A_jjP12ihipStream_tbEUljE_EEESV_SW_SX_S14_S18_S1A_T6_T7_T9_mT8_S1C_bDpT10_ENKUlT_T0_E_clISt17integral_constantIbLb1EES1P_EEDaS1K_S1L_EUlS1K_E_NS1_11comp_targetILNS1_3genE5ELNS1_11target_archE942ELNS1_3gpuE9ELNS1_3repE0EEENS1_30default_config_static_selectorELNS0_4arch9wavefront6targetE1EEEvSY_,"axG",@progbits,_ZN7rocprim17ROCPRIM_400000_NS6detail17trampoline_kernelINS0_13select_configILj256ELj13ELNS0_17block_load_methodE3ELS4_3ELS4_3ELNS0_20block_scan_algorithmE0ELj4294967295EEENS1_25partition_config_selectorILNS1_17partition_subalgoE3EjNS0_10empty_typeEbEEZZNS1_14partition_implILS8_3ELb0ES6_jNS0_17counting_iteratorIjlEEPS9_SE_NS0_5tupleIJPjSE_EEENSF_IJSE_SE_EEES9_SG_JZNS1_25segmented_radix_sort_implINS0_14default_configELb1EPKdPdPKlPlN2at6native12_GLOBAL__N_18offset_tEEE10hipError_tPvRmT1_PNSt15iterator_traitsISY_E10value_typeET2_T3_PNSZ_IS14_E10value_typeET4_jRbjT5_S1A_jjP12ihipStream_tbEUljE_EEESV_SW_SX_S14_S18_S1A_T6_T7_T9_mT8_S1C_bDpT10_ENKUlT_T0_E_clISt17integral_constantIbLb1EES1P_EEDaS1K_S1L_EUlS1K_E_NS1_11comp_targetILNS1_3genE5ELNS1_11target_archE942ELNS1_3gpuE9ELNS1_3repE0EEENS1_30default_config_static_selectorELNS0_4arch9wavefront6targetE1EEEvSY_,comdat
	.globl	_ZN7rocprim17ROCPRIM_400000_NS6detail17trampoline_kernelINS0_13select_configILj256ELj13ELNS0_17block_load_methodE3ELS4_3ELS4_3ELNS0_20block_scan_algorithmE0ELj4294967295EEENS1_25partition_config_selectorILNS1_17partition_subalgoE3EjNS0_10empty_typeEbEEZZNS1_14partition_implILS8_3ELb0ES6_jNS0_17counting_iteratorIjlEEPS9_SE_NS0_5tupleIJPjSE_EEENSF_IJSE_SE_EEES9_SG_JZNS1_25segmented_radix_sort_implINS0_14default_configELb1EPKdPdPKlPlN2at6native12_GLOBAL__N_18offset_tEEE10hipError_tPvRmT1_PNSt15iterator_traitsISY_E10value_typeET2_T3_PNSZ_IS14_E10value_typeET4_jRbjT5_S1A_jjP12ihipStream_tbEUljE_EEESV_SW_SX_S14_S18_S1A_T6_T7_T9_mT8_S1C_bDpT10_ENKUlT_T0_E_clISt17integral_constantIbLb1EES1P_EEDaS1K_S1L_EUlS1K_E_NS1_11comp_targetILNS1_3genE5ELNS1_11target_archE942ELNS1_3gpuE9ELNS1_3repE0EEENS1_30default_config_static_selectorELNS0_4arch9wavefront6targetE1EEEvSY_ ; -- Begin function _ZN7rocprim17ROCPRIM_400000_NS6detail17trampoline_kernelINS0_13select_configILj256ELj13ELNS0_17block_load_methodE3ELS4_3ELS4_3ELNS0_20block_scan_algorithmE0ELj4294967295EEENS1_25partition_config_selectorILNS1_17partition_subalgoE3EjNS0_10empty_typeEbEEZZNS1_14partition_implILS8_3ELb0ES6_jNS0_17counting_iteratorIjlEEPS9_SE_NS0_5tupleIJPjSE_EEENSF_IJSE_SE_EEES9_SG_JZNS1_25segmented_radix_sort_implINS0_14default_configELb1EPKdPdPKlPlN2at6native12_GLOBAL__N_18offset_tEEE10hipError_tPvRmT1_PNSt15iterator_traitsISY_E10value_typeET2_T3_PNSZ_IS14_E10value_typeET4_jRbjT5_S1A_jjP12ihipStream_tbEUljE_EEESV_SW_SX_S14_S18_S1A_T6_T7_T9_mT8_S1C_bDpT10_ENKUlT_T0_E_clISt17integral_constantIbLb1EES1P_EEDaS1K_S1L_EUlS1K_E_NS1_11comp_targetILNS1_3genE5ELNS1_11target_archE942ELNS1_3gpuE9ELNS1_3repE0EEENS1_30default_config_static_selectorELNS0_4arch9wavefront6targetE1EEEvSY_
	.p2align	8
	.type	_ZN7rocprim17ROCPRIM_400000_NS6detail17trampoline_kernelINS0_13select_configILj256ELj13ELNS0_17block_load_methodE3ELS4_3ELS4_3ELNS0_20block_scan_algorithmE0ELj4294967295EEENS1_25partition_config_selectorILNS1_17partition_subalgoE3EjNS0_10empty_typeEbEEZZNS1_14partition_implILS8_3ELb0ES6_jNS0_17counting_iteratorIjlEEPS9_SE_NS0_5tupleIJPjSE_EEENSF_IJSE_SE_EEES9_SG_JZNS1_25segmented_radix_sort_implINS0_14default_configELb1EPKdPdPKlPlN2at6native12_GLOBAL__N_18offset_tEEE10hipError_tPvRmT1_PNSt15iterator_traitsISY_E10value_typeET2_T3_PNSZ_IS14_E10value_typeET4_jRbjT5_S1A_jjP12ihipStream_tbEUljE_EEESV_SW_SX_S14_S18_S1A_T6_T7_T9_mT8_S1C_bDpT10_ENKUlT_T0_E_clISt17integral_constantIbLb1EES1P_EEDaS1K_S1L_EUlS1K_E_NS1_11comp_targetILNS1_3genE5ELNS1_11target_archE942ELNS1_3gpuE9ELNS1_3repE0EEENS1_30default_config_static_selectorELNS0_4arch9wavefront6targetE1EEEvSY_,@function
_ZN7rocprim17ROCPRIM_400000_NS6detail17trampoline_kernelINS0_13select_configILj256ELj13ELNS0_17block_load_methodE3ELS4_3ELS4_3ELNS0_20block_scan_algorithmE0ELj4294967295EEENS1_25partition_config_selectorILNS1_17partition_subalgoE3EjNS0_10empty_typeEbEEZZNS1_14partition_implILS8_3ELb0ES6_jNS0_17counting_iteratorIjlEEPS9_SE_NS0_5tupleIJPjSE_EEENSF_IJSE_SE_EEES9_SG_JZNS1_25segmented_radix_sort_implINS0_14default_configELb1EPKdPdPKlPlN2at6native12_GLOBAL__N_18offset_tEEE10hipError_tPvRmT1_PNSt15iterator_traitsISY_E10value_typeET2_T3_PNSZ_IS14_E10value_typeET4_jRbjT5_S1A_jjP12ihipStream_tbEUljE_EEESV_SW_SX_S14_S18_S1A_T6_T7_T9_mT8_S1C_bDpT10_ENKUlT_T0_E_clISt17integral_constantIbLb1EES1P_EEDaS1K_S1L_EUlS1K_E_NS1_11comp_targetILNS1_3genE5ELNS1_11target_archE942ELNS1_3gpuE9ELNS1_3repE0EEENS1_30default_config_static_selectorELNS0_4arch9wavefront6targetE1EEEvSY_: ; @_ZN7rocprim17ROCPRIM_400000_NS6detail17trampoline_kernelINS0_13select_configILj256ELj13ELNS0_17block_load_methodE3ELS4_3ELS4_3ELNS0_20block_scan_algorithmE0ELj4294967295EEENS1_25partition_config_selectorILNS1_17partition_subalgoE3EjNS0_10empty_typeEbEEZZNS1_14partition_implILS8_3ELb0ES6_jNS0_17counting_iteratorIjlEEPS9_SE_NS0_5tupleIJPjSE_EEENSF_IJSE_SE_EEES9_SG_JZNS1_25segmented_radix_sort_implINS0_14default_configELb1EPKdPdPKlPlN2at6native12_GLOBAL__N_18offset_tEEE10hipError_tPvRmT1_PNSt15iterator_traitsISY_E10value_typeET2_T3_PNSZ_IS14_E10value_typeET4_jRbjT5_S1A_jjP12ihipStream_tbEUljE_EEESV_SW_SX_S14_S18_S1A_T6_T7_T9_mT8_S1C_bDpT10_ENKUlT_T0_E_clISt17integral_constantIbLb1EES1P_EEDaS1K_S1L_EUlS1K_E_NS1_11comp_targetILNS1_3genE5ELNS1_11target_archE942ELNS1_3gpuE9ELNS1_3repE0EEENS1_30default_config_static_selectorELNS0_4arch9wavefront6targetE1EEEvSY_
; %bb.0:
	.section	.rodata,"a",@progbits
	.p2align	6, 0x0
	.amdhsa_kernel _ZN7rocprim17ROCPRIM_400000_NS6detail17trampoline_kernelINS0_13select_configILj256ELj13ELNS0_17block_load_methodE3ELS4_3ELS4_3ELNS0_20block_scan_algorithmE0ELj4294967295EEENS1_25partition_config_selectorILNS1_17partition_subalgoE3EjNS0_10empty_typeEbEEZZNS1_14partition_implILS8_3ELb0ES6_jNS0_17counting_iteratorIjlEEPS9_SE_NS0_5tupleIJPjSE_EEENSF_IJSE_SE_EEES9_SG_JZNS1_25segmented_radix_sort_implINS0_14default_configELb1EPKdPdPKlPlN2at6native12_GLOBAL__N_18offset_tEEE10hipError_tPvRmT1_PNSt15iterator_traitsISY_E10value_typeET2_T3_PNSZ_IS14_E10value_typeET4_jRbjT5_S1A_jjP12ihipStream_tbEUljE_EEESV_SW_SX_S14_S18_S1A_T6_T7_T9_mT8_S1C_bDpT10_ENKUlT_T0_E_clISt17integral_constantIbLb1EES1P_EEDaS1K_S1L_EUlS1K_E_NS1_11comp_targetILNS1_3genE5ELNS1_11target_archE942ELNS1_3gpuE9ELNS1_3repE0EEENS1_30default_config_static_selectorELNS0_4arch9wavefront6targetE1EEEvSY_
		.amdhsa_group_segment_fixed_size 0
		.amdhsa_private_segment_fixed_size 0
		.amdhsa_kernarg_size 152
		.amdhsa_user_sgpr_count 6
		.amdhsa_user_sgpr_private_segment_buffer 1
		.amdhsa_user_sgpr_dispatch_ptr 0
		.amdhsa_user_sgpr_queue_ptr 0
		.amdhsa_user_sgpr_kernarg_segment_ptr 1
		.amdhsa_user_sgpr_dispatch_id 0
		.amdhsa_user_sgpr_flat_scratch_init 0
		.amdhsa_user_sgpr_private_segment_size 0
		.amdhsa_uses_dynamic_stack 0
		.amdhsa_system_sgpr_private_segment_wavefront_offset 0
		.amdhsa_system_sgpr_workgroup_id_x 1
		.amdhsa_system_sgpr_workgroup_id_y 0
		.amdhsa_system_sgpr_workgroup_id_z 0
		.amdhsa_system_sgpr_workgroup_info 0
		.amdhsa_system_vgpr_workitem_id 0
		.amdhsa_next_free_vgpr 1
		.amdhsa_next_free_sgpr 0
		.amdhsa_reserve_vcc 0
		.amdhsa_reserve_flat_scratch 0
		.amdhsa_float_round_mode_32 0
		.amdhsa_float_round_mode_16_64 0
		.amdhsa_float_denorm_mode_32 3
		.amdhsa_float_denorm_mode_16_64 3
		.amdhsa_dx10_clamp 1
		.amdhsa_ieee_mode 1
		.amdhsa_fp16_overflow 0
		.amdhsa_exception_fp_ieee_invalid_op 0
		.amdhsa_exception_fp_denorm_src 0
		.amdhsa_exception_fp_ieee_div_zero 0
		.amdhsa_exception_fp_ieee_overflow 0
		.amdhsa_exception_fp_ieee_underflow 0
		.amdhsa_exception_fp_ieee_inexact 0
		.amdhsa_exception_int_div_zero 0
	.end_amdhsa_kernel
	.section	.text._ZN7rocprim17ROCPRIM_400000_NS6detail17trampoline_kernelINS0_13select_configILj256ELj13ELNS0_17block_load_methodE3ELS4_3ELS4_3ELNS0_20block_scan_algorithmE0ELj4294967295EEENS1_25partition_config_selectorILNS1_17partition_subalgoE3EjNS0_10empty_typeEbEEZZNS1_14partition_implILS8_3ELb0ES6_jNS0_17counting_iteratorIjlEEPS9_SE_NS0_5tupleIJPjSE_EEENSF_IJSE_SE_EEES9_SG_JZNS1_25segmented_radix_sort_implINS0_14default_configELb1EPKdPdPKlPlN2at6native12_GLOBAL__N_18offset_tEEE10hipError_tPvRmT1_PNSt15iterator_traitsISY_E10value_typeET2_T3_PNSZ_IS14_E10value_typeET4_jRbjT5_S1A_jjP12ihipStream_tbEUljE_EEESV_SW_SX_S14_S18_S1A_T6_T7_T9_mT8_S1C_bDpT10_ENKUlT_T0_E_clISt17integral_constantIbLb1EES1P_EEDaS1K_S1L_EUlS1K_E_NS1_11comp_targetILNS1_3genE5ELNS1_11target_archE942ELNS1_3gpuE9ELNS1_3repE0EEENS1_30default_config_static_selectorELNS0_4arch9wavefront6targetE1EEEvSY_,"axG",@progbits,_ZN7rocprim17ROCPRIM_400000_NS6detail17trampoline_kernelINS0_13select_configILj256ELj13ELNS0_17block_load_methodE3ELS4_3ELS4_3ELNS0_20block_scan_algorithmE0ELj4294967295EEENS1_25partition_config_selectorILNS1_17partition_subalgoE3EjNS0_10empty_typeEbEEZZNS1_14partition_implILS8_3ELb0ES6_jNS0_17counting_iteratorIjlEEPS9_SE_NS0_5tupleIJPjSE_EEENSF_IJSE_SE_EEES9_SG_JZNS1_25segmented_radix_sort_implINS0_14default_configELb1EPKdPdPKlPlN2at6native12_GLOBAL__N_18offset_tEEE10hipError_tPvRmT1_PNSt15iterator_traitsISY_E10value_typeET2_T3_PNSZ_IS14_E10value_typeET4_jRbjT5_S1A_jjP12ihipStream_tbEUljE_EEESV_SW_SX_S14_S18_S1A_T6_T7_T9_mT8_S1C_bDpT10_ENKUlT_T0_E_clISt17integral_constantIbLb1EES1P_EEDaS1K_S1L_EUlS1K_E_NS1_11comp_targetILNS1_3genE5ELNS1_11target_archE942ELNS1_3gpuE9ELNS1_3repE0EEENS1_30default_config_static_selectorELNS0_4arch9wavefront6targetE1EEEvSY_,comdat
.Lfunc_end1095:
	.size	_ZN7rocprim17ROCPRIM_400000_NS6detail17trampoline_kernelINS0_13select_configILj256ELj13ELNS0_17block_load_methodE3ELS4_3ELS4_3ELNS0_20block_scan_algorithmE0ELj4294967295EEENS1_25partition_config_selectorILNS1_17partition_subalgoE3EjNS0_10empty_typeEbEEZZNS1_14partition_implILS8_3ELb0ES6_jNS0_17counting_iteratorIjlEEPS9_SE_NS0_5tupleIJPjSE_EEENSF_IJSE_SE_EEES9_SG_JZNS1_25segmented_radix_sort_implINS0_14default_configELb1EPKdPdPKlPlN2at6native12_GLOBAL__N_18offset_tEEE10hipError_tPvRmT1_PNSt15iterator_traitsISY_E10value_typeET2_T3_PNSZ_IS14_E10value_typeET4_jRbjT5_S1A_jjP12ihipStream_tbEUljE_EEESV_SW_SX_S14_S18_S1A_T6_T7_T9_mT8_S1C_bDpT10_ENKUlT_T0_E_clISt17integral_constantIbLb1EES1P_EEDaS1K_S1L_EUlS1K_E_NS1_11comp_targetILNS1_3genE5ELNS1_11target_archE942ELNS1_3gpuE9ELNS1_3repE0EEENS1_30default_config_static_selectorELNS0_4arch9wavefront6targetE1EEEvSY_, .Lfunc_end1095-_ZN7rocprim17ROCPRIM_400000_NS6detail17trampoline_kernelINS0_13select_configILj256ELj13ELNS0_17block_load_methodE3ELS4_3ELS4_3ELNS0_20block_scan_algorithmE0ELj4294967295EEENS1_25partition_config_selectorILNS1_17partition_subalgoE3EjNS0_10empty_typeEbEEZZNS1_14partition_implILS8_3ELb0ES6_jNS0_17counting_iteratorIjlEEPS9_SE_NS0_5tupleIJPjSE_EEENSF_IJSE_SE_EEES9_SG_JZNS1_25segmented_radix_sort_implINS0_14default_configELb1EPKdPdPKlPlN2at6native12_GLOBAL__N_18offset_tEEE10hipError_tPvRmT1_PNSt15iterator_traitsISY_E10value_typeET2_T3_PNSZ_IS14_E10value_typeET4_jRbjT5_S1A_jjP12ihipStream_tbEUljE_EEESV_SW_SX_S14_S18_S1A_T6_T7_T9_mT8_S1C_bDpT10_ENKUlT_T0_E_clISt17integral_constantIbLb1EES1P_EEDaS1K_S1L_EUlS1K_E_NS1_11comp_targetILNS1_3genE5ELNS1_11target_archE942ELNS1_3gpuE9ELNS1_3repE0EEENS1_30default_config_static_selectorELNS0_4arch9wavefront6targetE1EEEvSY_
                                        ; -- End function
	.set _ZN7rocprim17ROCPRIM_400000_NS6detail17trampoline_kernelINS0_13select_configILj256ELj13ELNS0_17block_load_methodE3ELS4_3ELS4_3ELNS0_20block_scan_algorithmE0ELj4294967295EEENS1_25partition_config_selectorILNS1_17partition_subalgoE3EjNS0_10empty_typeEbEEZZNS1_14partition_implILS8_3ELb0ES6_jNS0_17counting_iteratorIjlEEPS9_SE_NS0_5tupleIJPjSE_EEENSF_IJSE_SE_EEES9_SG_JZNS1_25segmented_radix_sort_implINS0_14default_configELb1EPKdPdPKlPlN2at6native12_GLOBAL__N_18offset_tEEE10hipError_tPvRmT1_PNSt15iterator_traitsISY_E10value_typeET2_T3_PNSZ_IS14_E10value_typeET4_jRbjT5_S1A_jjP12ihipStream_tbEUljE_EEESV_SW_SX_S14_S18_S1A_T6_T7_T9_mT8_S1C_bDpT10_ENKUlT_T0_E_clISt17integral_constantIbLb1EES1P_EEDaS1K_S1L_EUlS1K_E_NS1_11comp_targetILNS1_3genE5ELNS1_11target_archE942ELNS1_3gpuE9ELNS1_3repE0EEENS1_30default_config_static_selectorELNS0_4arch9wavefront6targetE1EEEvSY_.num_vgpr, 0
	.set _ZN7rocprim17ROCPRIM_400000_NS6detail17trampoline_kernelINS0_13select_configILj256ELj13ELNS0_17block_load_methodE3ELS4_3ELS4_3ELNS0_20block_scan_algorithmE0ELj4294967295EEENS1_25partition_config_selectorILNS1_17partition_subalgoE3EjNS0_10empty_typeEbEEZZNS1_14partition_implILS8_3ELb0ES6_jNS0_17counting_iteratorIjlEEPS9_SE_NS0_5tupleIJPjSE_EEENSF_IJSE_SE_EEES9_SG_JZNS1_25segmented_radix_sort_implINS0_14default_configELb1EPKdPdPKlPlN2at6native12_GLOBAL__N_18offset_tEEE10hipError_tPvRmT1_PNSt15iterator_traitsISY_E10value_typeET2_T3_PNSZ_IS14_E10value_typeET4_jRbjT5_S1A_jjP12ihipStream_tbEUljE_EEESV_SW_SX_S14_S18_S1A_T6_T7_T9_mT8_S1C_bDpT10_ENKUlT_T0_E_clISt17integral_constantIbLb1EES1P_EEDaS1K_S1L_EUlS1K_E_NS1_11comp_targetILNS1_3genE5ELNS1_11target_archE942ELNS1_3gpuE9ELNS1_3repE0EEENS1_30default_config_static_selectorELNS0_4arch9wavefront6targetE1EEEvSY_.num_agpr, 0
	.set _ZN7rocprim17ROCPRIM_400000_NS6detail17trampoline_kernelINS0_13select_configILj256ELj13ELNS0_17block_load_methodE3ELS4_3ELS4_3ELNS0_20block_scan_algorithmE0ELj4294967295EEENS1_25partition_config_selectorILNS1_17partition_subalgoE3EjNS0_10empty_typeEbEEZZNS1_14partition_implILS8_3ELb0ES6_jNS0_17counting_iteratorIjlEEPS9_SE_NS0_5tupleIJPjSE_EEENSF_IJSE_SE_EEES9_SG_JZNS1_25segmented_radix_sort_implINS0_14default_configELb1EPKdPdPKlPlN2at6native12_GLOBAL__N_18offset_tEEE10hipError_tPvRmT1_PNSt15iterator_traitsISY_E10value_typeET2_T3_PNSZ_IS14_E10value_typeET4_jRbjT5_S1A_jjP12ihipStream_tbEUljE_EEESV_SW_SX_S14_S18_S1A_T6_T7_T9_mT8_S1C_bDpT10_ENKUlT_T0_E_clISt17integral_constantIbLb1EES1P_EEDaS1K_S1L_EUlS1K_E_NS1_11comp_targetILNS1_3genE5ELNS1_11target_archE942ELNS1_3gpuE9ELNS1_3repE0EEENS1_30default_config_static_selectorELNS0_4arch9wavefront6targetE1EEEvSY_.numbered_sgpr, 0
	.set _ZN7rocprim17ROCPRIM_400000_NS6detail17trampoline_kernelINS0_13select_configILj256ELj13ELNS0_17block_load_methodE3ELS4_3ELS4_3ELNS0_20block_scan_algorithmE0ELj4294967295EEENS1_25partition_config_selectorILNS1_17partition_subalgoE3EjNS0_10empty_typeEbEEZZNS1_14partition_implILS8_3ELb0ES6_jNS0_17counting_iteratorIjlEEPS9_SE_NS0_5tupleIJPjSE_EEENSF_IJSE_SE_EEES9_SG_JZNS1_25segmented_radix_sort_implINS0_14default_configELb1EPKdPdPKlPlN2at6native12_GLOBAL__N_18offset_tEEE10hipError_tPvRmT1_PNSt15iterator_traitsISY_E10value_typeET2_T3_PNSZ_IS14_E10value_typeET4_jRbjT5_S1A_jjP12ihipStream_tbEUljE_EEESV_SW_SX_S14_S18_S1A_T6_T7_T9_mT8_S1C_bDpT10_ENKUlT_T0_E_clISt17integral_constantIbLb1EES1P_EEDaS1K_S1L_EUlS1K_E_NS1_11comp_targetILNS1_3genE5ELNS1_11target_archE942ELNS1_3gpuE9ELNS1_3repE0EEENS1_30default_config_static_selectorELNS0_4arch9wavefront6targetE1EEEvSY_.num_named_barrier, 0
	.set _ZN7rocprim17ROCPRIM_400000_NS6detail17trampoline_kernelINS0_13select_configILj256ELj13ELNS0_17block_load_methodE3ELS4_3ELS4_3ELNS0_20block_scan_algorithmE0ELj4294967295EEENS1_25partition_config_selectorILNS1_17partition_subalgoE3EjNS0_10empty_typeEbEEZZNS1_14partition_implILS8_3ELb0ES6_jNS0_17counting_iteratorIjlEEPS9_SE_NS0_5tupleIJPjSE_EEENSF_IJSE_SE_EEES9_SG_JZNS1_25segmented_radix_sort_implINS0_14default_configELb1EPKdPdPKlPlN2at6native12_GLOBAL__N_18offset_tEEE10hipError_tPvRmT1_PNSt15iterator_traitsISY_E10value_typeET2_T3_PNSZ_IS14_E10value_typeET4_jRbjT5_S1A_jjP12ihipStream_tbEUljE_EEESV_SW_SX_S14_S18_S1A_T6_T7_T9_mT8_S1C_bDpT10_ENKUlT_T0_E_clISt17integral_constantIbLb1EES1P_EEDaS1K_S1L_EUlS1K_E_NS1_11comp_targetILNS1_3genE5ELNS1_11target_archE942ELNS1_3gpuE9ELNS1_3repE0EEENS1_30default_config_static_selectorELNS0_4arch9wavefront6targetE1EEEvSY_.private_seg_size, 0
	.set _ZN7rocprim17ROCPRIM_400000_NS6detail17trampoline_kernelINS0_13select_configILj256ELj13ELNS0_17block_load_methodE3ELS4_3ELS4_3ELNS0_20block_scan_algorithmE0ELj4294967295EEENS1_25partition_config_selectorILNS1_17partition_subalgoE3EjNS0_10empty_typeEbEEZZNS1_14partition_implILS8_3ELb0ES6_jNS0_17counting_iteratorIjlEEPS9_SE_NS0_5tupleIJPjSE_EEENSF_IJSE_SE_EEES9_SG_JZNS1_25segmented_radix_sort_implINS0_14default_configELb1EPKdPdPKlPlN2at6native12_GLOBAL__N_18offset_tEEE10hipError_tPvRmT1_PNSt15iterator_traitsISY_E10value_typeET2_T3_PNSZ_IS14_E10value_typeET4_jRbjT5_S1A_jjP12ihipStream_tbEUljE_EEESV_SW_SX_S14_S18_S1A_T6_T7_T9_mT8_S1C_bDpT10_ENKUlT_T0_E_clISt17integral_constantIbLb1EES1P_EEDaS1K_S1L_EUlS1K_E_NS1_11comp_targetILNS1_3genE5ELNS1_11target_archE942ELNS1_3gpuE9ELNS1_3repE0EEENS1_30default_config_static_selectorELNS0_4arch9wavefront6targetE1EEEvSY_.uses_vcc, 0
	.set _ZN7rocprim17ROCPRIM_400000_NS6detail17trampoline_kernelINS0_13select_configILj256ELj13ELNS0_17block_load_methodE3ELS4_3ELS4_3ELNS0_20block_scan_algorithmE0ELj4294967295EEENS1_25partition_config_selectorILNS1_17partition_subalgoE3EjNS0_10empty_typeEbEEZZNS1_14partition_implILS8_3ELb0ES6_jNS0_17counting_iteratorIjlEEPS9_SE_NS0_5tupleIJPjSE_EEENSF_IJSE_SE_EEES9_SG_JZNS1_25segmented_radix_sort_implINS0_14default_configELb1EPKdPdPKlPlN2at6native12_GLOBAL__N_18offset_tEEE10hipError_tPvRmT1_PNSt15iterator_traitsISY_E10value_typeET2_T3_PNSZ_IS14_E10value_typeET4_jRbjT5_S1A_jjP12ihipStream_tbEUljE_EEESV_SW_SX_S14_S18_S1A_T6_T7_T9_mT8_S1C_bDpT10_ENKUlT_T0_E_clISt17integral_constantIbLb1EES1P_EEDaS1K_S1L_EUlS1K_E_NS1_11comp_targetILNS1_3genE5ELNS1_11target_archE942ELNS1_3gpuE9ELNS1_3repE0EEENS1_30default_config_static_selectorELNS0_4arch9wavefront6targetE1EEEvSY_.uses_flat_scratch, 0
	.set _ZN7rocprim17ROCPRIM_400000_NS6detail17trampoline_kernelINS0_13select_configILj256ELj13ELNS0_17block_load_methodE3ELS4_3ELS4_3ELNS0_20block_scan_algorithmE0ELj4294967295EEENS1_25partition_config_selectorILNS1_17partition_subalgoE3EjNS0_10empty_typeEbEEZZNS1_14partition_implILS8_3ELb0ES6_jNS0_17counting_iteratorIjlEEPS9_SE_NS0_5tupleIJPjSE_EEENSF_IJSE_SE_EEES9_SG_JZNS1_25segmented_radix_sort_implINS0_14default_configELb1EPKdPdPKlPlN2at6native12_GLOBAL__N_18offset_tEEE10hipError_tPvRmT1_PNSt15iterator_traitsISY_E10value_typeET2_T3_PNSZ_IS14_E10value_typeET4_jRbjT5_S1A_jjP12ihipStream_tbEUljE_EEESV_SW_SX_S14_S18_S1A_T6_T7_T9_mT8_S1C_bDpT10_ENKUlT_T0_E_clISt17integral_constantIbLb1EES1P_EEDaS1K_S1L_EUlS1K_E_NS1_11comp_targetILNS1_3genE5ELNS1_11target_archE942ELNS1_3gpuE9ELNS1_3repE0EEENS1_30default_config_static_selectorELNS0_4arch9wavefront6targetE1EEEvSY_.has_dyn_sized_stack, 0
	.set _ZN7rocprim17ROCPRIM_400000_NS6detail17trampoline_kernelINS0_13select_configILj256ELj13ELNS0_17block_load_methodE3ELS4_3ELS4_3ELNS0_20block_scan_algorithmE0ELj4294967295EEENS1_25partition_config_selectorILNS1_17partition_subalgoE3EjNS0_10empty_typeEbEEZZNS1_14partition_implILS8_3ELb0ES6_jNS0_17counting_iteratorIjlEEPS9_SE_NS0_5tupleIJPjSE_EEENSF_IJSE_SE_EEES9_SG_JZNS1_25segmented_radix_sort_implINS0_14default_configELb1EPKdPdPKlPlN2at6native12_GLOBAL__N_18offset_tEEE10hipError_tPvRmT1_PNSt15iterator_traitsISY_E10value_typeET2_T3_PNSZ_IS14_E10value_typeET4_jRbjT5_S1A_jjP12ihipStream_tbEUljE_EEESV_SW_SX_S14_S18_S1A_T6_T7_T9_mT8_S1C_bDpT10_ENKUlT_T0_E_clISt17integral_constantIbLb1EES1P_EEDaS1K_S1L_EUlS1K_E_NS1_11comp_targetILNS1_3genE5ELNS1_11target_archE942ELNS1_3gpuE9ELNS1_3repE0EEENS1_30default_config_static_selectorELNS0_4arch9wavefront6targetE1EEEvSY_.has_recursion, 0
	.set _ZN7rocprim17ROCPRIM_400000_NS6detail17trampoline_kernelINS0_13select_configILj256ELj13ELNS0_17block_load_methodE3ELS4_3ELS4_3ELNS0_20block_scan_algorithmE0ELj4294967295EEENS1_25partition_config_selectorILNS1_17partition_subalgoE3EjNS0_10empty_typeEbEEZZNS1_14partition_implILS8_3ELb0ES6_jNS0_17counting_iteratorIjlEEPS9_SE_NS0_5tupleIJPjSE_EEENSF_IJSE_SE_EEES9_SG_JZNS1_25segmented_radix_sort_implINS0_14default_configELb1EPKdPdPKlPlN2at6native12_GLOBAL__N_18offset_tEEE10hipError_tPvRmT1_PNSt15iterator_traitsISY_E10value_typeET2_T3_PNSZ_IS14_E10value_typeET4_jRbjT5_S1A_jjP12ihipStream_tbEUljE_EEESV_SW_SX_S14_S18_S1A_T6_T7_T9_mT8_S1C_bDpT10_ENKUlT_T0_E_clISt17integral_constantIbLb1EES1P_EEDaS1K_S1L_EUlS1K_E_NS1_11comp_targetILNS1_3genE5ELNS1_11target_archE942ELNS1_3gpuE9ELNS1_3repE0EEENS1_30default_config_static_selectorELNS0_4arch9wavefront6targetE1EEEvSY_.has_indirect_call, 0
	.section	.AMDGPU.csdata,"",@progbits
; Kernel info:
; codeLenInByte = 0
; TotalNumSgprs: 4
; NumVgprs: 0
; ScratchSize: 0
; MemoryBound: 0
; FloatMode: 240
; IeeeMode: 1
; LDSByteSize: 0 bytes/workgroup (compile time only)
; SGPRBlocks: 0
; VGPRBlocks: 0
; NumSGPRsForWavesPerEU: 4
; NumVGPRsForWavesPerEU: 1
; Occupancy: 10
; WaveLimiterHint : 0
; COMPUTE_PGM_RSRC2:SCRATCH_EN: 0
; COMPUTE_PGM_RSRC2:USER_SGPR: 6
; COMPUTE_PGM_RSRC2:TRAP_HANDLER: 0
; COMPUTE_PGM_RSRC2:TGID_X_EN: 1
; COMPUTE_PGM_RSRC2:TGID_Y_EN: 0
; COMPUTE_PGM_RSRC2:TGID_Z_EN: 0
; COMPUTE_PGM_RSRC2:TIDIG_COMP_CNT: 0
	.section	.text._ZN7rocprim17ROCPRIM_400000_NS6detail17trampoline_kernelINS0_13select_configILj256ELj13ELNS0_17block_load_methodE3ELS4_3ELS4_3ELNS0_20block_scan_algorithmE0ELj4294967295EEENS1_25partition_config_selectorILNS1_17partition_subalgoE3EjNS0_10empty_typeEbEEZZNS1_14partition_implILS8_3ELb0ES6_jNS0_17counting_iteratorIjlEEPS9_SE_NS0_5tupleIJPjSE_EEENSF_IJSE_SE_EEES9_SG_JZNS1_25segmented_radix_sort_implINS0_14default_configELb1EPKdPdPKlPlN2at6native12_GLOBAL__N_18offset_tEEE10hipError_tPvRmT1_PNSt15iterator_traitsISY_E10value_typeET2_T3_PNSZ_IS14_E10value_typeET4_jRbjT5_S1A_jjP12ihipStream_tbEUljE_EEESV_SW_SX_S14_S18_S1A_T6_T7_T9_mT8_S1C_bDpT10_ENKUlT_T0_E_clISt17integral_constantIbLb1EES1P_EEDaS1K_S1L_EUlS1K_E_NS1_11comp_targetILNS1_3genE4ELNS1_11target_archE910ELNS1_3gpuE8ELNS1_3repE0EEENS1_30default_config_static_selectorELNS0_4arch9wavefront6targetE1EEEvSY_,"axG",@progbits,_ZN7rocprim17ROCPRIM_400000_NS6detail17trampoline_kernelINS0_13select_configILj256ELj13ELNS0_17block_load_methodE3ELS4_3ELS4_3ELNS0_20block_scan_algorithmE0ELj4294967295EEENS1_25partition_config_selectorILNS1_17partition_subalgoE3EjNS0_10empty_typeEbEEZZNS1_14partition_implILS8_3ELb0ES6_jNS0_17counting_iteratorIjlEEPS9_SE_NS0_5tupleIJPjSE_EEENSF_IJSE_SE_EEES9_SG_JZNS1_25segmented_radix_sort_implINS0_14default_configELb1EPKdPdPKlPlN2at6native12_GLOBAL__N_18offset_tEEE10hipError_tPvRmT1_PNSt15iterator_traitsISY_E10value_typeET2_T3_PNSZ_IS14_E10value_typeET4_jRbjT5_S1A_jjP12ihipStream_tbEUljE_EEESV_SW_SX_S14_S18_S1A_T6_T7_T9_mT8_S1C_bDpT10_ENKUlT_T0_E_clISt17integral_constantIbLb1EES1P_EEDaS1K_S1L_EUlS1K_E_NS1_11comp_targetILNS1_3genE4ELNS1_11target_archE910ELNS1_3gpuE8ELNS1_3repE0EEENS1_30default_config_static_selectorELNS0_4arch9wavefront6targetE1EEEvSY_,comdat
	.globl	_ZN7rocprim17ROCPRIM_400000_NS6detail17trampoline_kernelINS0_13select_configILj256ELj13ELNS0_17block_load_methodE3ELS4_3ELS4_3ELNS0_20block_scan_algorithmE0ELj4294967295EEENS1_25partition_config_selectorILNS1_17partition_subalgoE3EjNS0_10empty_typeEbEEZZNS1_14partition_implILS8_3ELb0ES6_jNS0_17counting_iteratorIjlEEPS9_SE_NS0_5tupleIJPjSE_EEENSF_IJSE_SE_EEES9_SG_JZNS1_25segmented_radix_sort_implINS0_14default_configELb1EPKdPdPKlPlN2at6native12_GLOBAL__N_18offset_tEEE10hipError_tPvRmT1_PNSt15iterator_traitsISY_E10value_typeET2_T3_PNSZ_IS14_E10value_typeET4_jRbjT5_S1A_jjP12ihipStream_tbEUljE_EEESV_SW_SX_S14_S18_S1A_T6_T7_T9_mT8_S1C_bDpT10_ENKUlT_T0_E_clISt17integral_constantIbLb1EES1P_EEDaS1K_S1L_EUlS1K_E_NS1_11comp_targetILNS1_3genE4ELNS1_11target_archE910ELNS1_3gpuE8ELNS1_3repE0EEENS1_30default_config_static_selectorELNS0_4arch9wavefront6targetE1EEEvSY_ ; -- Begin function _ZN7rocprim17ROCPRIM_400000_NS6detail17trampoline_kernelINS0_13select_configILj256ELj13ELNS0_17block_load_methodE3ELS4_3ELS4_3ELNS0_20block_scan_algorithmE0ELj4294967295EEENS1_25partition_config_selectorILNS1_17partition_subalgoE3EjNS0_10empty_typeEbEEZZNS1_14partition_implILS8_3ELb0ES6_jNS0_17counting_iteratorIjlEEPS9_SE_NS0_5tupleIJPjSE_EEENSF_IJSE_SE_EEES9_SG_JZNS1_25segmented_radix_sort_implINS0_14default_configELb1EPKdPdPKlPlN2at6native12_GLOBAL__N_18offset_tEEE10hipError_tPvRmT1_PNSt15iterator_traitsISY_E10value_typeET2_T3_PNSZ_IS14_E10value_typeET4_jRbjT5_S1A_jjP12ihipStream_tbEUljE_EEESV_SW_SX_S14_S18_S1A_T6_T7_T9_mT8_S1C_bDpT10_ENKUlT_T0_E_clISt17integral_constantIbLb1EES1P_EEDaS1K_S1L_EUlS1K_E_NS1_11comp_targetILNS1_3genE4ELNS1_11target_archE910ELNS1_3gpuE8ELNS1_3repE0EEENS1_30default_config_static_selectorELNS0_4arch9wavefront6targetE1EEEvSY_
	.p2align	8
	.type	_ZN7rocprim17ROCPRIM_400000_NS6detail17trampoline_kernelINS0_13select_configILj256ELj13ELNS0_17block_load_methodE3ELS4_3ELS4_3ELNS0_20block_scan_algorithmE0ELj4294967295EEENS1_25partition_config_selectorILNS1_17partition_subalgoE3EjNS0_10empty_typeEbEEZZNS1_14partition_implILS8_3ELb0ES6_jNS0_17counting_iteratorIjlEEPS9_SE_NS0_5tupleIJPjSE_EEENSF_IJSE_SE_EEES9_SG_JZNS1_25segmented_radix_sort_implINS0_14default_configELb1EPKdPdPKlPlN2at6native12_GLOBAL__N_18offset_tEEE10hipError_tPvRmT1_PNSt15iterator_traitsISY_E10value_typeET2_T3_PNSZ_IS14_E10value_typeET4_jRbjT5_S1A_jjP12ihipStream_tbEUljE_EEESV_SW_SX_S14_S18_S1A_T6_T7_T9_mT8_S1C_bDpT10_ENKUlT_T0_E_clISt17integral_constantIbLb1EES1P_EEDaS1K_S1L_EUlS1K_E_NS1_11comp_targetILNS1_3genE4ELNS1_11target_archE910ELNS1_3gpuE8ELNS1_3repE0EEENS1_30default_config_static_selectorELNS0_4arch9wavefront6targetE1EEEvSY_,@function
_ZN7rocprim17ROCPRIM_400000_NS6detail17trampoline_kernelINS0_13select_configILj256ELj13ELNS0_17block_load_methodE3ELS4_3ELS4_3ELNS0_20block_scan_algorithmE0ELj4294967295EEENS1_25partition_config_selectorILNS1_17partition_subalgoE3EjNS0_10empty_typeEbEEZZNS1_14partition_implILS8_3ELb0ES6_jNS0_17counting_iteratorIjlEEPS9_SE_NS0_5tupleIJPjSE_EEENSF_IJSE_SE_EEES9_SG_JZNS1_25segmented_radix_sort_implINS0_14default_configELb1EPKdPdPKlPlN2at6native12_GLOBAL__N_18offset_tEEE10hipError_tPvRmT1_PNSt15iterator_traitsISY_E10value_typeET2_T3_PNSZ_IS14_E10value_typeET4_jRbjT5_S1A_jjP12ihipStream_tbEUljE_EEESV_SW_SX_S14_S18_S1A_T6_T7_T9_mT8_S1C_bDpT10_ENKUlT_T0_E_clISt17integral_constantIbLb1EES1P_EEDaS1K_S1L_EUlS1K_E_NS1_11comp_targetILNS1_3genE4ELNS1_11target_archE910ELNS1_3gpuE8ELNS1_3repE0EEENS1_30default_config_static_selectorELNS0_4arch9wavefront6targetE1EEEvSY_: ; @_ZN7rocprim17ROCPRIM_400000_NS6detail17trampoline_kernelINS0_13select_configILj256ELj13ELNS0_17block_load_methodE3ELS4_3ELS4_3ELNS0_20block_scan_algorithmE0ELj4294967295EEENS1_25partition_config_selectorILNS1_17partition_subalgoE3EjNS0_10empty_typeEbEEZZNS1_14partition_implILS8_3ELb0ES6_jNS0_17counting_iteratorIjlEEPS9_SE_NS0_5tupleIJPjSE_EEENSF_IJSE_SE_EEES9_SG_JZNS1_25segmented_radix_sort_implINS0_14default_configELb1EPKdPdPKlPlN2at6native12_GLOBAL__N_18offset_tEEE10hipError_tPvRmT1_PNSt15iterator_traitsISY_E10value_typeET2_T3_PNSZ_IS14_E10value_typeET4_jRbjT5_S1A_jjP12ihipStream_tbEUljE_EEESV_SW_SX_S14_S18_S1A_T6_T7_T9_mT8_S1C_bDpT10_ENKUlT_T0_E_clISt17integral_constantIbLb1EES1P_EEDaS1K_S1L_EUlS1K_E_NS1_11comp_targetILNS1_3genE4ELNS1_11target_archE910ELNS1_3gpuE8ELNS1_3repE0EEENS1_30default_config_static_selectorELNS0_4arch9wavefront6targetE1EEEvSY_
; %bb.0:
	.section	.rodata,"a",@progbits
	.p2align	6, 0x0
	.amdhsa_kernel _ZN7rocprim17ROCPRIM_400000_NS6detail17trampoline_kernelINS0_13select_configILj256ELj13ELNS0_17block_load_methodE3ELS4_3ELS4_3ELNS0_20block_scan_algorithmE0ELj4294967295EEENS1_25partition_config_selectorILNS1_17partition_subalgoE3EjNS0_10empty_typeEbEEZZNS1_14partition_implILS8_3ELb0ES6_jNS0_17counting_iteratorIjlEEPS9_SE_NS0_5tupleIJPjSE_EEENSF_IJSE_SE_EEES9_SG_JZNS1_25segmented_radix_sort_implINS0_14default_configELb1EPKdPdPKlPlN2at6native12_GLOBAL__N_18offset_tEEE10hipError_tPvRmT1_PNSt15iterator_traitsISY_E10value_typeET2_T3_PNSZ_IS14_E10value_typeET4_jRbjT5_S1A_jjP12ihipStream_tbEUljE_EEESV_SW_SX_S14_S18_S1A_T6_T7_T9_mT8_S1C_bDpT10_ENKUlT_T0_E_clISt17integral_constantIbLb1EES1P_EEDaS1K_S1L_EUlS1K_E_NS1_11comp_targetILNS1_3genE4ELNS1_11target_archE910ELNS1_3gpuE8ELNS1_3repE0EEENS1_30default_config_static_selectorELNS0_4arch9wavefront6targetE1EEEvSY_
		.amdhsa_group_segment_fixed_size 0
		.amdhsa_private_segment_fixed_size 0
		.amdhsa_kernarg_size 152
		.amdhsa_user_sgpr_count 6
		.amdhsa_user_sgpr_private_segment_buffer 1
		.amdhsa_user_sgpr_dispatch_ptr 0
		.amdhsa_user_sgpr_queue_ptr 0
		.amdhsa_user_sgpr_kernarg_segment_ptr 1
		.amdhsa_user_sgpr_dispatch_id 0
		.amdhsa_user_sgpr_flat_scratch_init 0
		.amdhsa_user_sgpr_private_segment_size 0
		.amdhsa_uses_dynamic_stack 0
		.amdhsa_system_sgpr_private_segment_wavefront_offset 0
		.amdhsa_system_sgpr_workgroup_id_x 1
		.amdhsa_system_sgpr_workgroup_id_y 0
		.amdhsa_system_sgpr_workgroup_id_z 0
		.amdhsa_system_sgpr_workgroup_info 0
		.amdhsa_system_vgpr_workitem_id 0
		.amdhsa_next_free_vgpr 1
		.amdhsa_next_free_sgpr 0
		.amdhsa_reserve_vcc 0
		.amdhsa_reserve_flat_scratch 0
		.amdhsa_float_round_mode_32 0
		.amdhsa_float_round_mode_16_64 0
		.amdhsa_float_denorm_mode_32 3
		.amdhsa_float_denorm_mode_16_64 3
		.amdhsa_dx10_clamp 1
		.amdhsa_ieee_mode 1
		.amdhsa_fp16_overflow 0
		.amdhsa_exception_fp_ieee_invalid_op 0
		.amdhsa_exception_fp_denorm_src 0
		.amdhsa_exception_fp_ieee_div_zero 0
		.amdhsa_exception_fp_ieee_overflow 0
		.amdhsa_exception_fp_ieee_underflow 0
		.amdhsa_exception_fp_ieee_inexact 0
		.amdhsa_exception_int_div_zero 0
	.end_amdhsa_kernel
	.section	.text._ZN7rocprim17ROCPRIM_400000_NS6detail17trampoline_kernelINS0_13select_configILj256ELj13ELNS0_17block_load_methodE3ELS4_3ELS4_3ELNS0_20block_scan_algorithmE0ELj4294967295EEENS1_25partition_config_selectorILNS1_17partition_subalgoE3EjNS0_10empty_typeEbEEZZNS1_14partition_implILS8_3ELb0ES6_jNS0_17counting_iteratorIjlEEPS9_SE_NS0_5tupleIJPjSE_EEENSF_IJSE_SE_EEES9_SG_JZNS1_25segmented_radix_sort_implINS0_14default_configELb1EPKdPdPKlPlN2at6native12_GLOBAL__N_18offset_tEEE10hipError_tPvRmT1_PNSt15iterator_traitsISY_E10value_typeET2_T3_PNSZ_IS14_E10value_typeET4_jRbjT5_S1A_jjP12ihipStream_tbEUljE_EEESV_SW_SX_S14_S18_S1A_T6_T7_T9_mT8_S1C_bDpT10_ENKUlT_T0_E_clISt17integral_constantIbLb1EES1P_EEDaS1K_S1L_EUlS1K_E_NS1_11comp_targetILNS1_3genE4ELNS1_11target_archE910ELNS1_3gpuE8ELNS1_3repE0EEENS1_30default_config_static_selectorELNS0_4arch9wavefront6targetE1EEEvSY_,"axG",@progbits,_ZN7rocprim17ROCPRIM_400000_NS6detail17trampoline_kernelINS0_13select_configILj256ELj13ELNS0_17block_load_methodE3ELS4_3ELS4_3ELNS0_20block_scan_algorithmE0ELj4294967295EEENS1_25partition_config_selectorILNS1_17partition_subalgoE3EjNS0_10empty_typeEbEEZZNS1_14partition_implILS8_3ELb0ES6_jNS0_17counting_iteratorIjlEEPS9_SE_NS0_5tupleIJPjSE_EEENSF_IJSE_SE_EEES9_SG_JZNS1_25segmented_radix_sort_implINS0_14default_configELb1EPKdPdPKlPlN2at6native12_GLOBAL__N_18offset_tEEE10hipError_tPvRmT1_PNSt15iterator_traitsISY_E10value_typeET2_T3_PNSZ_IS14_E10value_typeET4_jRbjT5_S1A_jjP12ihipStream_tbEUljE_EEESV_SW_SX_S14_S18_S1A_T6_T7_T9_mT8_S1C_bDpT10_ENKUlT_T0_E_clISt17integral_constantIbLb1EES1P_EEDaS1K_S1L_EUlS1K_E_NS1_11comp_targetILNS1_3genE4ELNS1_11target_archE910ELNS1_3gpuE8ELNS1_3repE0EEENS1_30default_config_static_selectorELNS0_4arch9wavefront6targetE1EEEvSY_,comdat
.Lfunc_end1096:
	.size	_ZN7rocprim17ROCPRIM_400000_NS6detail17trampoline_kernelINS0_13select_configILj256ELj13ELNS0_17block_load_methodE3ELS4_3ELS4_3ELNS0_20block_scan_algorithmE0ELj4294967295EEENS1_25partition_config_selectorILNS1_17partition_subalgoE3EjNS0_10empty_typeEbEEZZNS1_14partition_implILS8_3ELb0ES6_jNS0_17counting_iteratorIjlEEPS9_SE_NS0_5tupleIJPjSE_EEENSF_IJSE_SE_EEES9_SG_JZNS1_25segmented_radix_sort_implINS0_14default_configELb1EPKdPdPKlPlN2at6native12_GLOBAL__N_18offset_tEEE10hipError_tPvRmT1_PNSt15iterator_traitsISY_E10value_typeET2_T3_PNSZ_IS14_E10value_typeET4_jRbjT5_S1A_jjP12ihipStream_tbEUljE_EEESV_SW_SX_S14_S18_S1A_T6_T7_T9_mT8_S1C_bDpT10_ENKUlT_T0_E_clISt17integral_constantIbLb1EES1P_EEDaS1K_S1L_EUlS1K_E_NS1_11comp_targetILNS1_3genE4ELNS1_11target_archE910ELNS1_3gpuE8ELNS1_3repE0EEENS1_30default_config_static_selectorELNS0_4arch9wavefront6targetE1EEEvSY_, .Lfunc_end1096-_ZN7rocprim17ROCPRIM_400000_NS6detail17trampoline_kernelINS0_13select_configILj256ELj13ELNS0_17block_load_methodE3ELS4_3ELS4_3ELNS0_20block_scan_algorithmE0ELj4294967295EEENS1_25partition_config_selectorILNS1_17partition_subalgoE3EjNS0_10empty_typeEbEEZZNS1_14partition_implILS8_3ELb0ES6_jNS0_17counting_iteratorIjlEEPS9_SE_NS0_5tupleIJPjSE_EEENSF_IJSE_SE_EEES9_SG_JZNS1_25segmented_radix_sort_implINS0_14default_configELb1EPKdPdPKlPlN2at6native12_GLOBAL__N_18offset_tEEE10hipError_tPvRmT1_PNSt15iterator_traitsISY_E10value_typeET2_T3_PNSZ_IS14_E10value_typeET4_jRbjT5_S1A_jjP12ihipStream_tbEUljE_EEESV_SW_SX_S14_S18_S1A_T6_T7_T9_mT8_S1C_bDpT10_ENKUlT_T0_E_clISt17integral_constantIbLb1EES1P_EEDaS1K_S1L_EUlS1K_E_NS1_11comp_targetILNS1_3genE4ELNS1_11target_archE910ELNS1_3gpuE8ELNS1_3repE0EEENS1_30default_config_static_selectorELNS0_4arch9wavefront6targetE1EEEvSY_
                                        ; -- End function
	.set _ZN7rocprim17ROCPRIM_400000_NS6detail17trampoline_kernelINS0_13select_configILj256ELj13ELNS0_17block_load_methodE3ELS4_3ELS4_3ELNS0_20block_scan_algorithmE0ELj4294967295EEENS1_25partition_config_selectorILNS1_17partition_subalgoE3EjNS0_10empty_typeEbEEZZNS1_14partition_implILS8_3ELb0ES6_jNS0_17counting_iteratorIjlEEPS9_SE_NS0_5tupleIJPjSE_EEENSF_IJSE_SE_EEES9_SG_JZNS1_25segmented_radix_sort_implINS0_14default_configELb1EPKdPdPKlPlN2at6native12_GLOBAL__N_18offset_tEEE10hipError_tPvRmT1_PNSt15iterator_traitsISY_E10value_typeET2_T3_PNSZ_IS14_E10value_typeET4_jRbjT5_S1A_jjP12ihipStream_tbEUljE_EEESV_SW_SX_S14_S18_S1A_T6_T7_T9_mT8_S1C_bDpT10_ENKUlT_T0_E_clISt17integral_constantIbLb1EES1P_EEDaS1K_S1L_EUlS1K_E_NS1_11comp_targetILNS1_3genE4ELNS1_11target_archE910ELNS1_3gpuE8ELNS1_3repE0EEENS1_30default_config_static_selectorELNS0_4arch9wavefront6targetE1EEEvSY_.num_vgpr, 0
	.set _ZN7rocprim17ROCPRIM_400000_NS6detail17trampoline_kernelINS0_13select_configILj256ELj13ELNS0_17block_load_methodE3ELS4_3ELS4_3ELNS0_20block_scan_algorithmE0ELj4294967295EEENS1_25partition_config_selectorILNS1_17partition_subalgoE3EjNS0_10empty_typeEbEEZZNS1_14partition_implILS8_3ELb0ES6_jNS0_17counting_iteratorIjlEEPS9_SE_NS0_5tupleIJPjSE_EEENSF_IJSE_SE_EEES9_SG_JZNS1_25segmented_radix_sort_implINS0_14default_configELb1EPKdPdPKlPlN2at6native12_GLOBAL__N_18offset_tEEE10hipError_tPvRmT1_PNSt15iterator_traitsISY_E10value_typeET2_T3_PNSZ_IS14_E10value_typeET4_jRbjT5_S1A_jjP12ihipStream_tbEUljE_EEESV_SW_SX_S14_S18_S1A_T6_T7_T9_mT8_S1C_bDpT10_ENKUlT_T0_E_clISt17integral_constantIbLb1EES1P_EEDaS1K_S1L_EUlS1K_E_NS1_11comp_targetILNS1_3genE4ELNS1_11target_archE910ELNS1_3gpuE8ELNS1_3repE0EEENS1_30default_config_static_selectorELNS0_4arch9wavefront6targetE1EEEvSY_.num_agpr, 0
	.set _ZN7rocprim17ROCPRIM_400000_NS6detail17trampoline_kernelINS0_13select_configILj256ELj13ELNS0_17block_load_methodE3ELS4_3ELS4_3ELNS0_20block_scan_algorithmE0ELj4294967295EEENS1_25partition_config_selectorILNS1_17partition_subalgoE3EjNS0_10empty_typeEbEEZZNS1_14partition_implILS8_3ELb0ES6_jNS0_17counting_iteratorIjlEEPS9_SE_NS0_5tupleIJPjSE_EEENSF_IJSE_SE_EEES9_SG_JZNS1_25segmented_radix_sort_implINS0_14default_configELb1EPKdPdPKlPlN2at6native12_GLOBAL__N_18offset_tEEE10hipError_tPvRmT1_PNSt15iterator_traitsISY_E10value_typeET2_T3_PNSZ_IS14_E10value_typeET4_jRbjT5_S1A_jjP12ihipStream_tbEUljE_EEESV_SW_SX_S14_S18_S1A_T6_T7_T9_mT8_S1C_bDpT10_ENKUlT_T0_E_clISt17integral_constantIbLb1EES1P_EEDaS1K_S1L_EUlS1K_E_NS1_11comp_targetILNS1_3genE4ELNS1_11target_archE910ELNS1_3gpuE8ELNS1_3repE0EEENS1_30default_config_static_selectorELNS0_4arch9wavefront6targetE1EEEvSY_.numbered_sgpr, 0
	.set _ZN7rocprim17ROCPRIM_400000_NS6detail17trampoline_kernelINS0_13select_configILj256ELj13ELNS0_17block_load_methodE3ELS4_3ELS4_3ELNS0_20block_scan_algorithmE0ELj4294967295EEENS1_25partition_config_selectorILNS1_17partition_subalgoE3EjNS0_10empty_typeEbEEZZNS1_14partition_implILS8_3ELb0ES6_jNS0_17counting_iteratorIjlEEPS9_SE_NS0_5tupleIJPjSE_EEENSF_IJSE_SE_EEES9_SG_JZNS1_25segmented_radix_sort_implINS0_14default_configELb1EPKdPdPKlPlN2at6native12_GLOBAL__N_18offset_tEEE10hipError_tPvRmT1_PNSt15iterator_traitsISY_E10value_typeET2_T3_PNSZ_IS14_E10value_typeET4_jRbjT5_S1A_jjP12ihipStream_tbEUljE_EEESV_SW_SX_S14_S18_S1A_T6_T7_T9_mT8_S1C_bDpT10_ENKUlT_T0_E_clISt17integral_constantIbLb1EES1P_EEDaS1K_S1L_EUlS1K_E_NS1_11comp_targetILNS1_3genE4ELNS1_11target_archE910ELNS1_3gpuE8ELNS1_3repE0EEENS1_30default_config_static_selectorELNS0_4arch9wavefront6targetE1EEEvSY_.num_named_barrier, 0
	.set _ZN7rocprim17ROCPRIM_400000_NS6detail17trampoline_kernelINS0_13select_configILj256ELj13ELNS0_17block_load_methodE3ELS4_3ELS4_3ELNS0_20block_scan_algorithmE0ELj4294967295EEENS1_25partition_config_selectorILNS1_17partition_subalgoE3EjNS0_10empty_typeEbEEZZNS1_14partition_implILS8_3ELb0ES6_jNS0_17counting_iteratorIjlEEPS9_SE_NS0_5tupleIJPjSE_EEENSF_IJSE_SE_EEES9_SG_JZNS1_25segmented_radix_sort_implINS0_14default_configELb1EPKdPdPKlPlN2at6native12_GLOBAL__N_18offset_tEEE10hipError_tPvRmT1_PNSt15iterator_traitsISY_E10value_typeET2_T3_PNSZ_IS14_E10value_typeET4_jRbjT5_S1A_jjP12ihipStream_tbEUljE_EEESV_SW_SX_S14_S18_S1A_T6_T7_T9_mT8_S1C_bDpT10_ENKUlT_T0_E_clISt17integral_constantIbLb1EES1P_EEDaS1K_S1L_EUlS1K_E_NS1_11comp_targetILNS1_3genE4ELNS1_11target_archE910ELNS1_3gpuE8ELNS1_3repE0EEENS1_30default_config_static_selectorELNS0_4arch9wavefront6targetE1EEEvSY_.private_seg_size, 0
	.set _ZN7rocprim17ROCPRIM_400000_NS6detail17trampoline_kernelINS0_13select_configILj256ELj13ELNS0_17block_load_methodE3ELS4_3ELS4_3ELNS0_20block_scan_algorithmE0ELj4294967295EEENS1_25partition_config_selectorILNS1_17partition_subalgoE3EjNS0_10empty_typeEbEEZZNS1_14partition_implILS8_3ELb0ES6_jNS0_17counting_iteratorIjlEEPS9_SE_NS0_5tupleIJPjSE_EEENSF_IJSE_SE_EEES9_SG_JZNS1_25segmented_radix_sort_implINS0_14default_configELb1EPKdPdPKlPlN2at6native12_GLOBAL__N_18offset_tEEE10hipError_tPvRmT1_PNSt15iterator_traitsISY_E10value_typeET2_T3_PNSZ_IS14_E10value_typeET4_jRbjT5_S1A_jjP12ihipStream_tbEUljE_EEESV_SW_SX_S14_S18_S1A_T6_T7_T9_mT8_S1C_bDpT10_ENKUlT_T0_E_clISt17integral_constantIbLb1EES1P_EEDaS1K_S1L_EUlS1K_E_NS1_11comp_targetILNS1_3genE4ELNS1_11target_archE910ELNS1_3gpuE8ELNS1_3repE0EEENS1_30default_config_static_selectorELNS0_4arch9wavefront6targetE1EEEvSY_.uses_vcc, 0
	.set _ZN7rocprim17ROCPRIM_400000_NS6detail17trampoline_kernelINS0_13select_configILj256ELj13ELNS0_17block_load_methodE3ELS4_3ELS4_3ELNS0_20block_scan_algorithmE0ELj4294967295EEENS1_25partition_config_selectorILNS1_17partition_subalgoE3EjNS0_10empty_typeEbEEZZNS1_14partition_implILS8_3ELb0ES6_jNS0_17counting_iteratorIjlEEPS9_SE_NS0_5tupleIJPjSE_EEENSF_IJSE_SE_EEES9_SG_JZNS1_25segmented_radix_sort_implINS0_14default_configELb1EPKdPdPKlPlN2at6native12_GLOBAL__N_18offset_tEEE10hipError_tPvRmT1_PNSt15iterator_traitsISY_E10value_typeET2_T3_PNSZ_IS14_E10value_typeET4_jRbjT5_S1A_jjP12ihipStream_tbEUljE_EEESV_SW_SX_S14_S18_S1A_T6_T7_T9_mT8_S1C_bDpT10_ENKUlT_T0_E_clISt17integral_constantIbLb1EES1P_EEDaS1K_S1L_EUlS1K_E_NS1_11comp_targetILNS1_3genE4ELNS1_11target_archE910ELNS1_3gpuE8ELNS1_3repE0EEENS1_30default_config_static_selectorELNS0_4arch9wavefront6targetE1EEEvSY_.uses_flat_scratch, 0
	.set _ZN7rocprim17ROCPRIM_400000_NS6detail17trampoline_kernelINS0_13select_configILj256ELj13ELNS0_17block_load_methodE3ELS4_3ELS4_3ELNS0_20block_scan_algorithmE0ELj4294967295EEENS1_25partition_config_selectorILNS1_17partition_subalgoE3EjNS0_10empty_typeEbEEZZNS1_14partition_implILS8_3ELb0ES6_jNS0_17counting_iteratorIjlEEPS9_SE_NS0_5tupleIJPjSE_EEENSF_IJSE_SE_EEES9_SG_JZNS1_25segmented_radix_sort_implINS0_14default_configELb1EPKdPdPKlPlN2at6native12_GLOBAL__N_18offset_tEEE10hipError_tPvRmT1_PNSt15iterator_traitsISY_E10value_typeET2_T3_PNSZ_IS14_E10value_typeET4_jRbjT5_S1A_jjP12ihipStream_tbEUljE_EEESV_SW_SX_S14_S18_S1A_T6_T7_T9_mT8_S1C_bDpT10_ENKUlT_T0_E_clISt17integral_constantIbLb1EES1P_EEDaS1K_S1L_EUlS1K_E_NS1_11comp_targetILNS1_3genE4ELNS1_11target_archE910ELNS1_3gpuE8ELNS1_3repE0EEENS1_30default_config_static_selectorELNS0_4arch9wavefront6targetE1EEEvSY_.has_dyn_sized_stack, 0
	.set _ZN7rocprim17ROCPRIM_400000_NS6detail17trampoline_kernelINS0_13select_configILj256ELj13ELNS0_17block_load_methodE3ELS4_3ELS4_3ELNS0_20block_scan_algorithmE0ELj4294967295EEENS1_25partition_config_selectorILNS1_17partition_subalgoE3EjNS0_10empty_typeEbEEZZNS1_14partition_implILS8_3ELb0ES6_jNS0_17counting_iteratorIjlEEPS9_SE_NS0_5tupleIJPjSE_EEENSF_IJSE_SE_EEES9_SG_JZNS1_25segmented_radix_sort_implINS0_14default_configELb1EPKdPdPKlPlN2at6native12_GLOBAL__N_18offset_tEEE10hipError_tPvRmT1_PNSt15iterator_traitsISY_E10value_typeET2_T3_PNSZ_IS14_E10value_typeET4_jRbjT5_S1A_jjP12ihipStream_tbEUljE_EEESV_SW_SX_S14_S18_S1A_T6_T7_T9_mT8_S1C_bDpT10_ENKUlT_T0_E_clISt17integral_constantIbLb1EES1P_EEDaS1K_S1L_EUlS1K_E_NS1_11comp_targetILNS1_3genE4ELNS1_11target_archE910ELNS1_3gpuE8ELNS1_3repE0EEENS1_30default_config_static_selectorELNS0_4arch9wavefront6targetE1EEEvSY_.has_recursion, 0
	.set _ZN7rocprim17ROCPRIM_400000_NS6detail17trampoline_kernelINS0_13select_configILj256ELj13ELNS0_17block_load_methodE3ELS4_3ELS4_3ELNS0_20block_scan_algorithmE0ELj4294967295EEENS1_25partition_config_selectorILNS1_17partition_subalgoE3EjNS0_10empty_typeEbEEZZNS1_14partition_implILS8_3ELb0ES6_jNS0_17counting_iteratorIjlEEPS9_SE_NS0_5tupleIJPjSE_EEENSF_IJSE_SE_EEES9_SG_JZNS1_25segmented_radix_sort_implINS0_14default_configELb1EPKdPdPKlPlN2at6native12_GLOBAL__N_18offset_tEEE10hipError_tPvRmT1_PNSt15iterator_traitsISY_E10value_typeET2_T3_PNSZ_IS14_E10value_typeET4_jRbjT5_S1A_jjP12ihipStream_tbEUljE_EEESV_SW_SX_S14_S18_S1A_T6_T7_T9_mT8_S1C_bDpT10_ENKUlT_T0_E_clISt17integral_constantIbLb1EES1P_EEDaS1K_S1L_EUlS1K_E_NS1_11comp_targetILNS1_3genE4ELNS1_11target_archE910ELNS1_3gpuE8ELNS1_3repE0EEENS1_30default_config_static_selectorELNS0_4arch9wavefront6targetE1EEEvSY_.has_indirect_call, 0
	.section	.AMDGPU.csdata,"",@progbits
; Kernel info:
; codeLenInByte = 0
; TotalNumSgprs: 4
; NumVgprs: 0
; ScratchSize: 0
; MemoryBound: 0
; FloatMode: 240
; IeeeMode: 1
; LDSByteSize: 0 bytes/workgroup (compile time only)
; SGPRBlocks: 0
; VGPRBlocks: 0
; NumSGPRsForWavesPerEU: 4
; NumVGPRsForWavesPerEU: 1
; Occupancy: 10
; WaveLimiterHint : 0
; COMPUTE_PGM_RSRC2:SCRATCH_EN: 0
; COMPUTE_PGM_RSRC2:USER_SGPR: 6
; COMPUTE_PGM_RSRC2:TRAP_HANDLER: 0
; COMPUTE_PGM_RSRC2:TGID_X_EN: 1
; COMPUTE_PGM_RSRC2:TGID_Y_EN: 0
; COMPUTE_PGM_RSRC2:TGID_Z_EN: 0
; COMPUTE_PGM_RSRC2:TIDIG_COMP_CNT: 0
	.section	.text._ZN7rocprim17ROCPRIM_400000_NS6detail17trampoline_kernelINS0_13select_configILj256ELj13ELNS0_17block_load_methodE3ELS4_3ELS4_3ELNS0_20block_scan_algorithmE0ELj4294967295EEENS1_25partition_config_selectorILNS1_17partition_subalgoE3EjNS0_10empty_typeEbEEZZNS1_14partition_implILS8_3ELb0ES6_jNS0_17counting_iteratorIjlEEPS9_SE_NS0_5tupleIJPjSE_EEENSF_IJSE_SE_EEES9_SG_JZNS1_25segmented_radix_sort_implINS0_14default_configELb1EPKdPdPKlPlN2at6native12_GLOBAL__N_18offset_tEEE10hipError_tPvRmT1_PNSt15iterator_traitsISY_E10value_typeET2_T3_PNSZ_IS14_E10value_typeET4_jRbjT5_S1A_jjP12ihipStream_tbEUljE_EEESV_SW_SX_S14_S18_S1A_T6_T7_T9_mT8_S1C_bDpT10_ENKUlT_T0_E_clISt17integral_constantIbLb1EES1P_EEDaS1K_S1L_EUlS1K_E_NS1_11comp_targetILNS1_3genE3ELNS1_11target_archE908ELNS1_3gpuE7ELNS1_3repE0EEENS1_30default_config_static_selectorELNS0_4arch9wavefront6targetE1EEEvSY_,"axG",@progbits,_ZN7rocprim17ROCPRIM_400000_NS6detail17trampoline_kernelINS0_13select_configILj256ELj13ELNS0_17block_load_methodE3ELS4_3ELS4_3ELNS0_20block_scan_algorithmE0ELj4294967295EEENS1_25partition_config_selectorILNS1_17partition_subalgoE3EjNS0_10empty_typeEbEEZZNS1_14partition_implILS8_3ELb0ES6_jNS0_17counting_iteratorIjlEEPS9_SE_NS0_5tupleIJPjSE_EEENSF_IJSE_SE_EEES9_SG_JZNS1_25segmented_radix_sort_implINS0_14default_configELb1EPKdPdPKlPlN2at6native12_GLOBAL__N_18offset_tEEE10hipError_tPvRmT1_PNSt15iterator_traitsISY_E10value_typeET2_T3_PNSZ_IS14_E10value_typeET4_jRbjT5_S1A_jjP12ihipStream_tbEUljE_EEESV_SW_SX_S14_S18_S1A_T6_T7_T9_mT8_S1C_bDpT10_ENKUlT_T0_E_clISt17integral_constantIbLb1EES1P_EEDaS1K_S1L_EUlS1K_E_NS1_11comp_targetILNS1_3genE3ELNS1_11target_archE908ELNS1_3gpuE7ELNS1_3repE0EEENS1_30default_config_static_selectorELNS0_4arch9wavefront6targetE1EEEvSY_,comdat
	.globl	_ZN7rocprim17ROCPRIM_400000_NS6detail17trampoline_kernelINS0_13select_configILj256ELj13ELNS0_17block_load_methodE3ELS4_3ELS4_3ELNS0_20block_scan_algorithmE0ELj4294967295EEENS1_25partition_config_selectorILNS1_17partition_subalgoE3EjNS0_10empty_typeEbEEZZNS1_14partition_implILS8_3ELb0ES6_jNS0_17counting_iteratorIjlEEPS9_SE_NS0_5tupleIJPjSE_EEENSF_IJSE_SE_EEES9_SG_JZNS1_25segmented_radix_sort_implINS0_14default_configELb1EPKdPdPKlPlN2at6native12_GLOBAL__N_18offset_tEEE10hipError_tPvRmT1_PNSt15iterator_traitsISY_E10value_typeET2_T3_PNSZ_IS14_E10value_typeET4_jRbjT5_S1A_jjP12ihipStream_tbEUljE_EEESV_SW_SX_S14_S18_S1A_T6_T7_T9_mT8_S1C_bDpT10_ENKUlT_T0_E_clISt17integral_constantIbLb1EES1P_EEDaS1K_S1L_EUlS1K_E_NS1_11comp_targetILNS1_3genE3ELNS1_11target_archE908ELNS1_3gpuE7ELNS1_3repE0EEENS1_30default_config_static_selectorELNS0_4arch9wavefront6targetE1EEEvSY_ ; -- Begin function _ZN7rocprim17ROCPRIM_400000_NS6detail17trampoline_kernelINS0_13select_configILj256ELj13ELNS0_17block_load_methodE3ELS4_3ELS4_3ELNS0_20block_scan_algorithmE0ELj4294967295EEENS1_25partition_config_selectorILNS1_17partition_subalgoE3EjNS0_10empty_typeEbEEZZNS1_14partition_implILS8_3ELb0ES6_jNS0_17counting_iteratorIjlEEPS9_SE_NS0_5tupleIJPjSE_EEENSF_IJSE_SE_EEES9_SG_JZNS1_25segmented_radix_sort_implINS0_14default_configELb1EPKdPdPKlPlN2at6native12_GLOBAL__N_18offset_tEEE10hipError_tPvRmT1_PNSt15iterator_traitsISY_E10value_typeET2_T3_PNSZ_IS14_E10value_typeET4_jRbjT5_S1A_jjP12ihipStream_tbEUljE_EEESV_SW_SX_S14_S18_S1A_T6_T7_T9_mT8_S1C_bDpT10_ENKUlT_T0_E_clISt17integral_constantIbLb1EES1P_EEDaS1K_S1L_EUlS1K_E_NS1_11comp_targetILNS1_3genE3ELNS1_11target_archE908ELNS1_3gpuE7ELNS1_3repE0EEENS1_30default_config_static_selectorELNS0_4arch9wavefront6targetE1EEEvSY_
	.p2align	8
	.type	_ZN7rocprim17ROCPRIM_400000_NS6detail17trampoline_kernelINS0_13select_configILj256ELj13ELNS0_17block_load_methodE3ELS4_3ELS4_3ELNS0_20block_scan_algorithmE0ELj4294967295EEENS1_25partition_config_selectorILNS1_17partition_subalgoE3EjNS0_10empty_typeEbEEZZNS1_14partition_implILS8_3ELb0ES6_jNS0_17counting_iteratorIjlEEPS9_SE_NS0_5tupleIJPjSE_EEENSF_IJSE_SE_EEES9_SG_JZNS1_25segmented_radix_sort_implINS0_14default_configELb1EPKdPdPKlPlN2at6native12_GLOBAL__N_18offset_tEEE10hipError_tPvRmT1_PNSt15iterator_traitsISY_E10value_typeET2_T3_PNSZ_IS14_E10value_typeET4_jRbjT5_S1A_jjP12ihipStream_tbEUljE_EEESV_SW_SX_S14_S18_S1A_T6_T7_T9_mT8_S1C_bDpT10_ENKUlT_T0_E_clISt17integral_constantIbLb1EES1P_EEDaS1K_S1L_EUlS1K_E_NS1_11comp_targetILNS1_3genE3ELNS1_11target_archE908ELNS1_3gpuE7ELNS1_3repE0EEENS1_30default_config_static_selectorELNS0_4arch9wavefront6targetE1EEEvSY_,@function
_ZN7rocprim17ROCPRIM_400000_NS6detail17trampoline_kernelINS0_13select_configILj256ELj13ELNS0_17block_load_methodE3ELS4_3ELS4_3ELNS0_20block_scan_algorithmE0ELj4294967295EEENS1_25partition_config_selectorILNS1_17partition_subalgoE3EjNS0_10empty_typeEbEEZZNS1_14partition_implILS8_3ELb0ES6_jNS0_17counting_iteratorIjlEEPS9_SE_NS0_5tupleIJPjSE_EEENSF_IJSE_SE_EEES9_SG_JZNS1_25segmented_radix_sort_implINS0_14default_configELb1EPKdPdPKlPlN2at6native12_GLOBAL__N_18offset_tEEE10hipError_tPvRmT1_PNSt15iterator_traitsISY_E10value_typeET2_T3_PNSZ_IS14_E10value_typeET4_jRbjT5_S1A_jjP12ihipStream_tbEUljE_EEESV_SW_SX_S14_S18_S1A_T6_T7_T9_mT8_S1C_bDpT10_ENKUlT_T0_E_clISt17integral_constantIbLb1EES1P_EEDaS1K_S1L_EUlS1K_E_NS1_11comp_targetILNS1_3genE3ELNS1_11target_archE908ELNS1_3gpuE7ELNS1_3repE0EEENS1_30default_config_static_selectorELNS0_4arch9wavefront6targetE1EEEvSY_: ; @_ZN7rocprim17ROCPRIM_400000_NS6detail17trampoline_kernelINS0_13select_configILj256ELj13ELNS0_17block_load_methodE3ELS4_3ELS4_3ELNS0_20block_scan_algorithmE0ELj4294967295EEENS1_25partition_config_selectorILNS1_17partition_subalgoE3EjNS0_10empty_typeEbEEZZNS1_14partition_implILS8_3ELb0ES6_jNS0_17counting_iteratorIjlEEPS9_SE_NS0_5tupleIJPjSE_EEENSF_IJSE_SE_EEES9_SG_JZNS1_25segmented_radix_sort_implINS0_14default_configELb1EPKdPdPKlPlN2at6native12_GLOBAL__N_18offset_tEEE10hipError_tPvRmT1_PNSt15iterator_traitsISY_E10value_typeET2_T3_PNSZ_IS14_E10value_typeET4_jRbjT5_S1A_jjP12ihipStream_tbEUljE_EEESV_SW_SX_S14_S18_S1A_T6_T7_T9_mT8_S1C_bDpT10_ENKUlT_T0_E_clISt17integral_constantIbLb1EES1P_EEDaS1K_S1L_EUlS1K_E_NS1_11comp_targetILNS1_3genE3ELNS1_11target_archE908ELNS1_3gpuE7ELNS1_3repE0EEENS1_30default_config_static_selectorELNS0_4arch9wavefront6targetE1EEEvSY_
; %bb.0:
	.section	.rodata,"a",@progbits
	.p2align	6, 0x0
	.amdhsa_kernel _ZN7rocprim17ROCPRIM_400000_NS6detail17trampoline_kernelINS0_13select_configILj256ELj13ELNS0_17block_load_methodE3ELS4_3ELS4_3ELNS0_20block_scan_algorithmE0ELj4294967295EEENS1_25partition_config_selectorILNS1_17partition_subalgoE3EjNS0_10empty_typeEbEEZZNS1_14partition_implILS8_3ELb0ES6_jNS0_17counting_iteratorIjlEEPS9_SE_NS0_5tupleIJPjSE_EEENSF_IJSE_SE_EEES9_SG_JZNS1_25segmented_radix_sort_implINS0_14default_configELb1EPKdPdPKlPlN2at6native12_GLOBAL__N_18offset_tEEE10hipError_tPvRmT1_PNSt15iterator_traitsISY_E10value_typeET2_T3_PNSZ_IS14_E10value_typeET4_jRbjT5_S1A_jjP12ihipStream_tbEUljE_EEESV_SW_SX_S14_S18_S1A_T6_T7_T9_mT8_S1C_bDpT10_ENKUlT_T0_E_clISt17integral_constantIbLb1EES1P_EEDaS1K_S1L_EUlS1K_E_NS1_11comp_targetILNS1_3genE3ELNS1_11target_archE908ELNS1_3gpuE7ELNS1_3repE0EEENS1_30default_config_static_selectorELNS0_4arch9wavefront6targetE1EEEvSY_
		.amdhsa_group_segment_fixed_size 0
		.amdhsa_private_segment_fixed_size 0
		.amdhsa_kernarg_size 152
		.amdhsa_user_sgpr_count 6
		.amdhsa_user_sgpr_private_segment_buffer 1
		.amdhsa_user_sgpr_dispatch_ptr 0
		.amdhsa_user_sgpr_queue_ptr 0
		.amdhsa_user_sgpr_kernarg_segment_ptr 1
		.amdhsa_user_sgpr_dispatch_id 0
		.amdhsa_user_sgpr_flat_scratch_init 0
		.amdhsa_user_sgpr_private_segment_size 0
		.amdhsa_uses_dynamic_stack 0
		.amdhsa_system_sgpr_private_segment_wavefront_offset 0
		.amdhsa_system_sgpr_workgroup_id_x 1
		.amdhsa_system_sgpr_workgroup_id_y 0
		.amdhsa_system_sgpr_workgroup_id_z 0
		.amdhsa_system_sgpr_workgroup_info 0
		.amdhsa_system_vgpr_workitem_id 0
		.amdhsa_next_free_vgpr 1
		.amdhsa_next_free_sgpr 0
		.amdhsa_reserve_vcc 0
		.amdhsa_reserve_flat_scratch 0
		.amdhsa_float_round_mode_32 0
		.amdhsa_float_round_mode_16_64 0
		.amdhsa_float_denorm_mode_32 3
		.amdhsa_float_denorm_mode_16_64 3
		.amdhsa_dx10_clamp 1
		.amdhsa_ieee_mode 1
		.amdhsa_fp16_overflow 0
		.amdhsa_exception_fp_ieee_invalid_op 0
		.amdhsa_exception_fp_denorm_src 0
		.amdhsa_exception_fp_ieee_div_zero 0
		.amdhsa_exception_fp_ieee_overflow 0
		.amdhsa_exception_fp_ieee_underflow 0
		.amdhsa_exception_fp_ieee_inexact 0
		.amdhsa_exception_int_div_zero 0
	.end_amdhsa_kernel
	.section	.text._ZN7rocprim17ROCPRIM_400000_NS6detail17trampoline_kernelINS0_13select_configILj256ELj13ELNS0_17block_load_methodE3ELS4_3ELS4_3ELNS0_20block_scan_algorithmE0ELj4294967295EEENS1_25partition_config_selectorILNS1_17partition_subalgoE3EjNS0_10empty_typeEbEEZZNS1_14partition_implILS8_3ELb0ES6_jNS0_17counting_iteratorIjlEEPS9_SE_NS0_5tupleIJPjSE_EEENSF_IJSE_SE_EEES9_SG_JZNS1_25segmented_radix_sort_implINS0_14default_configELb1EPKdPdPKlPlN2at6native12_GLOBAL__N_18offset_tEEE10hipError_tPvRmT1_PNSt15iterator_traitsISY_E10value_typeET2_T3_PNSZ_IS14_E10value_typeET4_jRbjT5_S1A_jjP12ihipStream_tbEUljE_EEESV_SW_SX_S14_S18_S1A_T6_T7_T9_mT8_S1C_bDpT10_ENKUlT_T0_E_clISt17integral_constantIbLb1EES1P_EEDaS1K_S1L_EUlS1K_E_NS1_11comp_targetILNS1_3genE3ELNS1_11target_archE908ELNS1_3gpuE7ELNS1_3repE0EEENS1_30default_config_static_selectorELNS0_4arch9wavefront6targetE1EEEvSY_,"axG",@progbits,_ZN7rocprim17ROCPRIM_400000_NS6detail17trampoline_kernelINS0_13select_configILj256ELj13ELNS0_17block_load_methodE3ELS4_3ELS4_3ELNS0_20block_scan_algorithmE0ELj4294967295EEENS1_25partition_config_selectorILNS1_17partition_subalgoE3EjNS0_10empty_typeEbEEZZNS1_14partition_implILS8_3ELb0ES6_jNS0_17counting_iteratorIjlEEPS9_SE_NS0_5tupleIJPjSE_EEENSF_IJSE_SE_EEES9_SG_JZNS1_25segmented_radix_sort_implINS0_14default_configELb1EPKdPdPKlPlN2at6native12_GLOBAL__N_18offset_tEEE10hipError_tPvRmT1_PNSt15iterator_traitsISY_E10value_typeET2_T3_PNSZ_IS14_E10value_typeET4_jRbjT5_S1A_jjP12ihipStream_tbEUljE_EEESV_SW_SX_S14_S18_S1A_T6_T7_T9_mT8_S1C_bDpT10_ENKUlT_T0_E_clISt17integral_constantIbLb1EES1P_EEDaS1K_S1L_EUlS1K_E_NS1_11comp_targetILNS1_3genE3ELNS1_11target_archE908ELNS1_3gpuE7ELNS1_3repE0EEENS1_30default_config_static_selectorELNS0_4arch9wavefront6targetE1EEEvSY_,comdat
.Lfunc_end1097:
	.size	_ZN7rocprim17ROCPRIM_400000_NS6detail17trampoline_kernelINS0_13select_configILj256ELj13ELNS0_17block_load_methodE3ELS4_3ELS4_3ELNS0_20block_scan_algorithmE0ELj4294967295EEENS1_25partition_config_selectorILNS1_17partition_subalgoE3EjNS0_10empty_typeEbEEZZNS1_14partition_implILS8_3ELb0ES6_jNS0_17counting_iteratorIjlEEPS9_SE_NS0_5tupleIJPjSE_EEENSF_IJSE_SE_EEES9_SG_JZNS1_25segmented_radix_sort_implINS0_14default_configELb1EPKdPdPKlPlN2at6native12_GLOBAL__N_18offset_tEEE10hipError_tPvRmT1_PNSt15iterator_traitsISY_E10value_typeET2_T3_PNSZ_IS14_E10value_typeET4_jRbjT5_S1A_jjP12ihipStream_tbEUljE_EEESV_SW_SX_S14_S18_S1A_T6_T7_T9_mT8_S1C_bDpT10_ENKUlT_T0_E_clISt17integral_constantIbLb1EES1P_EEDaS1K_S1L_EUlS1K_E_NS1_11comp_targetILNS1_3genE3ELNS1_11target_archE908ELNS1_3gpuE7ELNS1_3repE0EEENS1_30default_config_static_selectorELNS0_4arch9wavefront6targetE1EEEvSY_, .Lfunc_end1097-_ZN7rocprim17ROCPRIM_400000_NS6detail17trampoline_kernelINS0_13select_configILj256ELj13ELNS0_17block_load_methodE3ELS4_3ELS4_3ELNS0_20block_scan_algorithmE0ELj4294967295EEENS1_25partition_config_selectorILNS1_17partition_subalgoE3EjNS0_10empty_typeEbEEZZNS1_14partition_implILS8_3ELb0ES6_jNS0_17counting_iteratorIjlEEPS9_SE_NS0_5tupleIJPjSE_EEENSF_IJSE_SE_EEES9_SG_JZNS1_25segmented_radix_sort_implINS0_14default_configELb1EPKdPdPKlPlN2at6native12_GLOBAL__N_18offset_tEEE10hipError_tPvRmT1_PNSt15iterator_traitsISY_E10value_typeET2_T3_PNSZ_IS14_E10value_typeET4_jRbjT5_S1A_jjP12ihipStream_tbEUljE_EEESV_SW_SX_S14_S18_S1A_T6_T7_T9_mT8_S1C_bDpT10_ENKUlT_T0_E_clISt17integral_constantIbLb1EES1P_EEDaS1K_S1L_EUlS1K_E_NS1_11comp_targetILNS1_3genE3ELNS1_11target_archE908ELNS1_3gpuE7ELNS1_3repE0EEENS1_30default_config_static_selectorELNS0_4arch9wavefront6targetE1EEEvSY_
                                        ; -- End function
	.set _ZN7rocprim17ROCPRIM_400000_NS6detail17trampoline_kernelINS0_13select_configILj256ELj13ELNS0_17block_load_methodE3ELS4_3ELS4_3ELNS0_20block_scan_algorithmE0ELj4294967295EEENS1_25partition_config_selectorILNS1_17partition_subalgoE3EjNS0_10empty_typeEbEEZZNS1_14partition_implILS8_3ELb0ES6_jNS0_17counting_iteratorIjlEEPS9_SE_NS0_5tupleIJPjSE_EEENSF_IJSE_SE_EEES9_SG_JZNS1_25segmented_radix_sort_implINS0_14default_configELb1EPKdPdPKlPlN2at6native12_GLOBAL__N_18offset_tEEE10hipError_tPvRmT1_PNSt15iterator_traitsISY_E10value_typeET2_T3_PNSZ_IS14_E10value_typeET4_jRbjT5_S1A_jjP12ihipStream_tbEUljE_EEESV_SW_SX_S14_S18_S1A_T6_T7_T9_mT8_S1C_bDpT10_ENKUlT_T0_E_clISt17integral_constantIbLb1EES1P_EEDaS1K_S1L_EUlS1K_E_NS1_11comp_targetILNS1_3genE3ELNS1_11target_archE908ELNS1_3gpuE7ELNS1_3repE0EEENS1_30default_config_static_selectorELNS0_4arch9wavefront6targetE1EEEvSY_.num_vgpr, 0
	.set _ZN7rocprim17ROCPRIM_400000_NS6detail17trampoline_kernelINS0_13select_configILj256ELj13ELNS0_17block_load_methodE3ELS4_3ELS4_3ELNS0_20block_scan_algorithmE0ELj4294967295EEENS1_25partition_config_selectorILNS1_17partition_subalgoE3EjNS0_10empty_typeEbEEZZNS1_14partition_implILS8_3ELb0ES6_jNS0_17counting_iteratorIjlEEPS9_SE_NS0_5tupleIJPjSE_EEENSF_IJSE_SE_EEES9_SG_JZNS1_25segmented_radix_sort_implINS0_14default_configELb1EPKdPdPKlPlN2at6native12_GLOBAL__N_18offset_tEEE10hipError_tPvRmT1_PNSt15iterator_traitsISY_E10value_typeET2_T3_PNSZ_IS14_E10value_typeET4_jRbjT5_S1A_jjP12ihipStream_tbEUljE_EEESV_SW_SX_S14_S18_S1A_T6_T7_T9_mT8_S1C_bDpT10_ENKUlT_T0_E_clISt17integral_constantIbLb1EES1P_EEDaS1K_S1L_EUlS1K_E_NS1_11comp_targetILNS1_3genE3ELNS1_11target_archE908ELNS1_3gpuE7ELNS1_3repE0EEENS1_30default_config_static_selectorELNS0_4arch9wavefront6targetE1EEEvSY_.num_agpr, 0
	.set _ZN7rocprim17ROCPRIM_400000_NS6detail17trampoline_kernelINS0_13select_configILj256ELj13ELNS0_17block_load_methodE3ELS4_3ELS4_3ELNS0_20block_scan_algorithmE0ELj4294967295EEENS1_25partition_config_selectorILNS1_17partition_subalgoE3EjNS0_10empty_typeEbEEZZNS1_14partition_implILS8_3ELb0ES6_jNS0_17counting_iteratorIjlEEPS9_SE_NS0_5tupleIJPjSE_EEENSF_IJSE_SE_EEES9_SG_JZNS1_25segmented_radix_sort_implINS0_14default_configELb1EPKdPdPKlPlN2at6native12_GLOBAL__N_18offset_tEEE10hipError_tPvRmT1_PNSt15iterator_traitsISY_E10value_typeET2_T3_PNSZ_IS14_E10value_typeET4_jRbjT5_S1A_jjP12ihipStream_tbEUljE_EEESV_SW_SX_S14_S18_S1A_T6_T7_T9_mT8_S1C_bDpT10_ENKUlT_T0_E_clISt17integral_constantIbLb1EES1P_EEDaS1K_S1L_EUlS1K_E_NS1_11comp_targetILNS1_3genE3ELNS1_11target_archE908ELNS1_3gpuE7ELNS1_3repE0EEENS1_30default_config_static_selectorELNS0_4arch9wavefront6targetE1EEEvSY_.numbered_sgpr, 0
	.set _ZN7rocprim17ROCPRIM_400000_NS6detail17trampoline_kernelINS0_13select_configILj256ELj13ELNS0_17block_load_methodE3ELS4_3ELS4_3ELNS0_20block_scan_algorithmE0ELj4294967295EEENS1_25partition_config_selectorILNS1_17partition_subalgoE3EjNS0_10empty_typeEbEEZZNS1_14partition_implILS8_3ELb0ES6_jNS0_17counting_iteratorIjlEEPS9_SE_NS0_5tupleIJPjSE_EEENSF_IJSE_SE_EEES9_SG_JZNS1_25segmented_radix_sort_implINS0_14default_configELb1EPKdPdPKlPlN2at6native12_GLOBAL__N_18offset_tEEE10hipError_tPvRmT1_PNSt15iterator_traitsISY_E10value_typeET2_T3_PNSZ_IS14_E10value_typeET4_jRbjT5_S1A_jjP12ihipStream_tbEUljE_EEESV_SW_SX_S14_S18_S1A_T6_T7_T9_mT8_S1C_bDpT10_ENKUlT_T0_E_clISt17integral_constantIbLb1EES1P_EEDaS1K_S1L_EUlS1K_E_NS1_11comp_targetILNS1_3genE3ELNS1_11target_archE908ELNS1_3gpuE7ELNS1_3repE0EEENS1_30default_config_static_selectorELNS0_4arch9wavefront6targetE1EEEvSY_.num_named_barrier, 0
	.set _ZN7rocprim17ROCPRIM_400000_NS6detail17trampoline_kernelINS0_13select_configILj256ELj13ELNS0_17block_load_methodE3ELS4_3ELS4_3ELNS0_20block_scan_algorithmE0ELj4294967295EEENS1_25partition_config_selectorILNS1_17partition_subalgoE3EjNS0_10empty_typeEbEEZZNS1_14partition_implILS8_3ELb0ES6_jNS0_17counting_iteratorIjlEEPS9_SE_NS0_5tupleIJPjSE_EEENSF_IJSE_SE_EEES9_SG_JZNS1_25segmented_radix_sort_implINS0_14default_configELb1EPKdPdPKlPlN2at6native12_GLOBAL__N_18offset_tEEE10hipError_tPvRmT1_PNSt15iterator_traitsISY_E10value_typeET2_T3_PNSZ_IS14_E10value_typeET4_jRbjT5_S1A_jjP12ihipStream_tbEUljE_EEESV_SW_SX_S14_S18_S1A_T6_T7_T9_mT8_S1C_bDpT10_ENKUlT_T0_E_clISt17integral_constantIbLb1EES1P_EEDaS1K_S1L_EUlS1K_E_NS1_11comp_targetILNS1_3genE3ELNS1_11target_archE908ELNS1_3gpuE7ELNS1_3repE0EEENS1_30default_config_static_selectorELNS0_4arch9wavefront6targetE1EEEvSY_.private_seg_size, 0
	.set _ZN7rocprim17ROCPRIM_400000_NS6detail17trampoline_kernelINS0_13select_configILj256ELj13ELNS0_17block_load_methodE3ELS4_3ELS4_3ELNS0_20block_scan_algorithmE0ELj4294967295EEENS1_25partition_config_selectorILNS1_17partition_subalgoE3EjNS0_10empty_typeEbEEZZNS1_14partition_implILS8_3ELb0ES6_jNS0_17counting_iteratorIjlEEPS9_SE_NS0_5tupleIJPjSE_EEENSF_IJSE_SE_EEES9_SG_JZNS1_25segmented_radix_sort_implINS0_14default_configELb1EPKdPdPKlPlN2at6native12_GLOBAL__N_18offset_tEEE10hipError_tPvRmT1_PNSt15iterator_traitsISY_E10value_typeET2_T3_PNSZ_IS14_E10value_typeET4_jRbjT5_S1A_jjP12ihipStream_tbEUljE_EEESV_SW_SX_S14_S18_S1A_T6_T7_T9_mT8_S1C_bDpT10_ENKUlT_T0_E_clISt17integral_constantIbLb1EES1P_EEDaS1K_S1L_EUlS1K_E_NS1_11comp_targetILNS1_3genE3ELNS1_11target_archE908ELNS1_3gpuE7ELNS1_3repE0EEENS1_30default_config_static_selectorELNS0_4arch9wavefront6targetE1EEEvSY_.uses_vcc, 0
	.set _ZN7rocprim17ROCPRIM_400000_NS6detail17trampoline_kernelINS0_13select_configILj256ELj13ELNS0_17block_load_methodE3ELS4_3ELS4_3ELNS0_20block_scan_algorithmE0ELj4294967295EEENS1_25partition_config_selectorILNS1_17partition_subalgoE3EjNS0_10empty_typeEbEEZZNS1_14partition_implILS8_3ELb0ES6_jNS0_17counting_iteratorIjlEEPS9_SE_NS0_5tupleIJPjSE_EEENSF_IJSE_SE_EEES9_SG_JZNS1_25segmented_radix_sort_implINS0_14default_configELb1EPKdPdPKlPlN2at6native12_GLOBAL__N_18offset_tEEE10hipError_tPvRmT1_PNSt15iterator_traitsISY_E10value_typeET2_T3_PNSZ_IS14_E10value_typeET4_jRbjT5_S1A_jjP12ihipStream_tbEUljE_EEESV_SW_SX_S14_S18_S1A_T6_T7_T9_mT8_S1C_bDpT10_ENKUlT_T0_E_clISt17integral_constantIbLb1EES1P_EEDaS1K_S1L_EUlS1K_E_NS1_11comp_targetILNS1_3genE3ELNS1_11target_archE908ELNS1_3gpuE7ELNS1_3repE0EEENS1_30default_config_static_selectorELNS0_4arch9wavefront6targetE1EEEvSY_.uses_flat_scratch, 0
	.set _ZN7rocprim17ROCPRIM_400000_NS6detail17trampoline_kernelINS0_13select_configILj256ELj13ELNS0_17block_load_methodE3ELS4_3ELS4_3ELNS0_20block_scan_algorithmE0ELj4294967295EEENS1_25partition_config_selectorILNS1_17partition_subalgoE3EjNS0_10empty_typeEbEEZZNS1_14partition_implILS8_3ELb0ES6_jNS0_17counting_iteratorIjlEEPS9_SE_NS0_5tupleIJPjSE_EEENSF_IJSE_SE_EEES9_SG_JZNS1_25segmented_radix_sort_implINS0_14default_configELb1EPKdPdPKlPlN2at6native12_GLOBAL__N_18offset_tEEE10hipError_tPvRmT1_PNSt15iterator_traitsISY_E10value_typeET2_T3_PNSZ_IS14_E10value_typeET4_jRbjT5_S1A_jjP12ihipStream_tbEUljE_EEESV_SW_SX_S14_S18_S1A_T6_T7_T9_mT8_S1C_bDpT10_ENKUlT_T0_E_clISt17integral_constantIbLb1EES1P_EEDaS1K_S1L_EUlS1K_E_NS1_11comp_targetILNS1_3genE3ELNS1_11target_archE908ELNS1_3gpuE7ELNS1_3repE0EEENS1_30default_config_static_selectorELNS0_4arch9wavefront6targetE1EEEvSY_.has_dyn_sized_stack, 0
	.set _ZN7rocprim17ROCPRIM_400000_NS6detail17trampoline_kernelINS0_13select_configILj256ELj13ELNS0_17block_load_methodE3ELS4_3ELS4_3ELNS0_20block_scan_algorithmE0ELj4294967295EEENS1_25partition_config_selectorILNS1_17partition_subalgoE3EjNS0_10empty_typeEbEEZZNS1_14partition_implILS8_3ELb0ES6_jNS0_17counting_iteratorIjlEEPS9_SE_NS0_5tupleIJPjSE_EEENSF_IJSE_SE_EEES9_SG_JZNS1_25segmented_radix_sort_implINS0_14default_configELb1EPKdPdPKlPlN2at6native12_GLOBAL__N_18offset_tEEE10hipError_tPvRmT1_PNSt15iterator_traitsISY_E10value_typeET2_T3_PNSZ_IS14_E10value_typeET4_jRbjT5_S1A_jjP12ihipStream_tbEUljE_EEESV_SW_SX_S14_S18_S1A_T6_T7_T9_mT8_S1C_bDpT10_ENKUlT_T0_E_clISt17integral_constantIbLb1EES1P_EEDaS1K_S1L_EUlS1K_E_NS1_11comp_targetILNS1_3genE3ELNS1_11target_archE908ELNS1_3gpuE7ELNS1_3repE0EEENS1_30default_config_static_selectorELNS0_4arch9wavefront6targetE1EEEvSY_.has_recursion, 0
	.set _ZN7rocprim17ROCPRIM_400000_NS6detail17trampoline_kernelINS0_13select_configILj256ELj13ELNS0_17block_load_methodE3ELS4_3ELS4_3ELNS0_20block_scan_algorithmE0ELj4294967295EEENS1_25partition_config_selectorILNS1_17partition_subalgoE3EjNS0_10empty_typeEbEEZZNS1_14partition_implILS8_3ELb0ES6_jNS0_17counting_iteratorIjlEEPS9_SE_NS0_5tupleIJPjSE_EEENSF_IJSE_SE_EEES9_SG_JZNS1_25segmented_radix_sort_implINS0_14default_configELb1EPKdPdPKlPlN2at6native12_GLOBAL__N_18offset_tEEE10hipError_tPvRmT1_PNSt15iterator_traitsISY_E10value_typeET2_T3_PNSZ_IS14_E10value_typeET4_jRbjT5_S1A_jjP12ihipStream_tbEUljE_EEESV_SW_SX_S14_S18_S1A_T6_T7_T9_mT8_S1C_bDpT10_ENKUlT_T0_E_clISt17integral_constantIbLb1EES1P_EEDaS1K_S1L_EUlS1K_E_NS1_11comp_targetILNS1_3genE3ELNS1_11target_archE908ELNS1_3gpuE7ELNS1_3repE0EEENS1_30default_config_static_selectorELNS0_4arch9wavefront6targetE1EEEvSY_.has_indirect_call, 0
	.section	.AMDGPU.csdata,"",@progbits
; Kernel info:
; codeLenInByte = 0
; TotalNumSgprs: 4
; NumVgprs: 0
; ScratchSize: 0
; MemoryBound: 0
; FloatMode: 240
; IeeeMode: 1
; LDSByteSize: 0 bytes/workgroup (compile time only)
; SGPRBlocks: 0
; VGPRBlocks: 0
; NumSGPRsForWavesPerEU: 4
; NumVGPRsForWavesPerEU: 1
; Occupancy: 10
; WaveLimiterHint : 0
; COMPUTE_PGM_RSRC2:SCRATCH_EN: 0
; COMPUTE_PGM_RSRC2:USER_SGPR: 6
; COMPUTE_PGM_RSRC2:TRAP_HANDLER: 0
; COMPUTE_PGM_RSRC2:TGID_X_EN: 1
; COMPUTE_PGM_RSRC2:TGID_Y_EN: 0
; COMPUTE_PGM_RSRC2:TGID_Z_EN: 0
; COMPUTE_PGM_RSRC2:TIDIG_COMP_CNT: 0
	.section	.text._ZN7rocprim17ROCPRIM_400000_NS6detail17trampoline_kernelINS0_13select_configILj256ELj13ELNS0_17block_load_methodE3ELS4_3ELS4_3ELNS0_20block_scan_algorithmE0ELj4294967295EEENS1_25partition_config_selectorILNS1_17partition_subalgoE3EjNS0_10empty_typeEbEEZZNS1_14partition_implILS8_3ELb0ES6_jNS0_17counting_iteratorIjlEEPS9_SE_NS0_5tupleIJPjSE_EEENSF_IJSE_SE_EEES9_SG_JZNS1_25segmented_radix_sort_implINS0_14default_configELb1EPKdPdPKlPlN2at6native12_GLOBAL__N_18offset_tEEE10hipError_tPvRmT1_PNSt15iterator_traitsISY_E10value_typeET2_T3_PNSZ_IS14_E10value_typeET4_jRbjT5_S1A_jjP12ihipStream_tbEUljE_EEESV_SW_SX_S14_S18_S1A_T6_T7_T9_mT8_S1C_bDpT10_ENKUlT_T0_E_clISt17integral_constantIbLb1EES1P_EEDaS1K_S1L_EUlS1K_E_NS1_11comp_targetILNS1_3genE2ELNS1_11target_archE906ELNS1_3gpuE6ELNS1_3repE0EEENS1_30default_config_static_selectorELNS0_4arch9wavefront6targetE1EEEvSY_,"axG",@progbits,_ZN7rocprim17ROCPRIM_400000_NS6detail17trampoline_kernelINS0_13select_configILj256ELj13ELNS0_17block_load_methodE3ELS4_3ELS4_3ELNS0_20block_scan_algorithmE0ELj4294967295EEENS1_25partition_config_selectorILNS1_17partition_subalgoE3EjNS0_10empty_typeEbEEZZNS1_14partition_implILS8_3ELb0ES6_jNS0_17counting_iteratorIjlEEPS9_SE_NS0_5tupleIJPjSE_EEENSF_IJSE_SE_EEES9_SG_JZNS1_25segmented_radix_sort_implINS0_14default_configELb1EPKdPdPKlPlN2at6native12_GLOBAL__N_18offset_tEEE10hipError_tPvRmT1_PNSt15iterator_traitsISY_E10value_typeET2_T3_PNSZ_IS14_E10value_typeET4_jRbjT5_S1A_jjP12ihipStream_tbEUljE_EEESV_SW_SX_S14_S18_S1A_T6_T7_T9_mT8_S1C_bDpT10_ENKUlT_T0_E_clISt17integral_constantIbLb1EES1P_EEDaS1K_S1L_EUlS1K_E_NS1_11comp_targetILNS1_3genE2ELNS1_11target_archE906ELNS1_3gpuE6ELNS1_3repE0EEENS1_30default_config_static_selectorELNS0_4arch9wavefront6targetE1EEEvSY_,comdat
	.globl	_ZN7rocprim17ROCPRIM_400000_NS6detail17trampoline_kernelINS0_13select_configILj256ELj13ELNS0_17block_load_methodE3ELS4_3ELS4_3ELNS0_20block_scan_algorithmE0ELj4294967295EEENS1_25partition_config_selectorILNS1_17partition_subalgoE3EjNS0_10empty_typeEbEEZZNS1_14partition_implILS8_3ELb0ES6_jNS0_17counting_iteratorIjlEEPS9_SE_NS0_5tupleIJPjSE_EEENSF_IJSE_SE_EEES9_SG_JZNS1_25segmented_radix_sort_implINS0_14default_configELb1EPKdPdPKlPlN2at6native12_GLOBAL__N_18offset_tEEE10hipError_tPvRmT1_PNSt15iterator_traitsISY_E10value_typeET2_T3_PNSZ_IS14_E10value_typeET4_jRbjT5_S1A_jjP12ihipStream_tbEUljE_EEESV_SW_SX_S14_S18_S1A_T6_T7_T9_mT8_S1C_bDpT10_ENKUlT_T0_E_clISt17integral_constantIbLb1EES1P_EEDaS1K_S1L_EUlS1K_E_NS1_11comp_targetILNS1_3genE2ELNS1_11target_archE906ELNS1_3gpuE6ELNS1_3repE0EEENS1_30default_config_static_selectorELNS0_4arch9wavefront6targetE1EEEvSY_ ; -- Begin function _ZN7rocprim17ROCPRIM_400000_NS6detail17trampoline_kernelINS0_13select_configILj256ELj13ELNS0_17block_load_methodE3ELS4_3ELS4_3ELNS0_20block_scan_algorithmE0ELj4294967295EEENS1_25partition_config_selectorILNS1_17partition_subalgoE3EjNS0_10empty_typeEbEEZZNS1_14partition_implILS8_3ELb0ES6_jNS0_17counting_iteratorIjlEEPS9_SE_NS0_5tupleIJPjSE_EEENSF_IJSE_SE_EEES9_SG_JZNS1_25segmented_radix_sort_implINS0_14default_configELb1EPKdPdPKlPlN2at6native12_GLOBAL__N_18offset_tEEE10hipError_tPvRmT1_PNSt15iterator_traitsISY_E10value_typeET2_T3_PNSZ_IS14_E10value_typeET4_jRbjT5_S1A_jjP12ihipStream_tbEUljE_EEESV_SW_SX_S14_S18_S1A_T6_T7_T9_mT8_S1C_bDpT10_ENKUlT_T0_E_clISt17integral_constantIbLb1EES1P_EEDaS1K_S1L_EUlS1K_E_NS1_11comp_targetILNS1_3genE2ELNS1_11target_archE906ELNS1_3gpuE6ELNS1_3repE0EEENS1_30default_config_static_selectorELNS0_4arch9wavefront6targetE1EEEvSY_
	.p2align	8
	.type	_ZN7rocprim17ROCPRIM_400000_NS6detail17trampoline_kernelINS0_13select_configILj256ELj13ELNS0_17block_load_methodE3ELS4_3ELS4_3ELNS0_20block_scan_algorithmE0ELj4294967295EEENS1_25partition_config_selectorILNS1_17partition_subalgoE3EjNS0_10empty_typeEbEEZZNS1_14partition_implILS8_3ELb0ES6_jNS0_17counting_iteratorIjlEEPS9_SE_NS0_5tupleIJPjSE_EEENSF_IJSE_SE_EEES9_SG_JZNS1_25segmented_radix_sort_implINS0_14default_configELb1EPKdPdPKlPlN2at6native12_GLOBAL__N_18offset_tEEE10hipError_tPvRmT1_PNSt15iterator_traitsISY_E10value_typeET2_T3_PNSZ_IS14_E10value_typeET4_jRbjT5_S1A_jjP12ihipStream_tbEUljE_EEESV_SW_SX_S14_S18_S1A_T6_T7_T9_mT8_S1C_bDpT10_ENKUlT_T0_E_clISt17integral_constantIbLb1EES1P_EEDaS1K_S1L_EUlS1K_E_NS1_11comp_targetILNS1_3genE2ELNS1_11target_archE906ELNS1_3gpuE6ELNS1_3repE0EEENS1_30default_config_static_selectorELNS0_4arch9wavefront6targetE1EEEvSY_,@function
_ZN7rocprim17ROCPRIM_400000_NS6detail17trampoline_kernelINS0_13select_configILj256ELj13ELNS0_17block_load_methodE3ELS4_3ELS4_3ELNS0_20block_scan_algorithmE0ELj4294967295EEENS1_25partition_config_selectorILNS1_17partition_subalgoE3EjNS0_10empty_typeEbEEZZNS1_14partition_implILS8_3ELb0ES6_jNS0_17counting_iteratorIjlEEPS9_SE_NS0_5tupleIJPjSE_EEENSF_IJSE_SE_EEES9_SG_JZNS1_25segmented_radix_sort_implINS0_14default_configELb1EPKdPdPKlPlN2at6native12_GLOBAL__N_18offset_tEEE10hipError_tPvRmT1_PNSt15iterator_traitsISY_E10value_typeET2_T3_PNSZ_IS14_E10value_typeET4_jRbjT5_S1A_jjP12ihipStream_tbEUljE_EEESV_SW_SX_S14_S18_S1A_T6_T7_T9_mT8_S1C_bDpT10_ENKUlT_T0_E_clISt17integral_constantIbLb1EES1P_EEDaS1K_S1L_EUlS1K_E_NS1_11comp_targetILNS1_3genE2ELNS1_11target_archE906ELNS1_3gpuE6ELNS1_3repE0EEENS1_30default_config_static_selectorELNS0_4arch9wavefront6targetE1EEEvSY_: ; @_ZN7rocprim17ROCPRIM_400000_NS6detail17trampoline_kernelINS0_13select_configILj256ELj13ELNS0_17block_load_methodE3ELS4_3ELS4_3ELNS0_20block_scan_algorithmE0ELj4294967295EEENS1_25partition_config_selectorILNS1_17partition_subalgoE3EjNS0_10empty_typeEbEEZZNS1_14partition_implILS8_3ELb0ES6_jNS0_17counting_iteratorIjlEEPS9_SE_NS0_5tupleIJPjSE_EEENSF_IJSE_SE_EEES9_SG_JZNS1_25segmented_radix_sort_implINS0_14default_configELb1EPKdPdPKlPlN2at6native12_GLOBAL__N_18offset_tEEE10hipError_tPvRmT1_PNSt15iterator_traitsISY_E10value_typeET2_T3_PNSZ_IS14_E10value_typeET4_jRbjT5_S1A_jjP12ihipStream_tbEUljE_EEESV_SW_SX_S14_S18_S1A_T6_T7_T9_mT8_S1C_bDpT10_ENKUlT_T0_E_clISt17integral_constantIbLb1EES1P_EEDaS1K_S1L_EUlS1K_E_NS1_11comp_targetILNS1_3genE2ELNS1_11target_archE906ELNS1_3gpuE6ELNS1_3repE0EEENS1_30default_config_static_selectorELNS0_4arch9wavefront6targetE1EEEvSY_
; %bb.0:
	s_endpgm
	.section	.rodata,"a",@progbits
	.p2align	6, 0x0
	.amdhsa_kernel _ZN7rocprim17ROCPRIM_400000_NS6detail17trampoline_kernelINS0_13select_configILj256ELj13ELNS0_17block_load_methodE3ELS4_3ELS4_3ELNS0_20block_scan_algorithmE0ELj4294967295EEENS1_25partition_config_selectorILNS1_17partition_subalgoE3EjNS0_10empty_typeEbEEZZNS1_14partition_implILS8_3ELb0ES6_jNS0_17counting_iteratorIjlEEPS9_SE_NS0_5tupleIJPjSE_EEENSF_IJSE_SE_EEES9_SG_JZNS1_25segmented_radix_sort_implINS0_14default_configELb1EPKdPdPKlPlN2at6native12_GLOBAL__N_18offset_tEEE10hipError_tPvRmT1_PNSt15iterator_traitsISY_E10value_typeET2_T3_PNSZ_IS14_E10value_typeET4_jRbjT5_S1A_jjP12ihipStream_tbEUljE_EEESV_SW_SX_S14_S18_S1A_T6_T7_T9_mT8_S1C_bDpT10_ENKUlT_T0_E_clISt17integral_constantIbLb1EES1P_EEDaS1K_S1L_EUlS1K_E_NS1_11comp_targetILNS1_3genE2ELNS1_11target_archE906ELNS1_3gpuE6ELNS1_3repE0EEENS1_30default_config_static_selectorELNS0_4arch9wavefront6targetE1EEEvSY_
		.amdhsa_group_segment_fixed_size 0
		.amdhsa_private_segment_fixed_size 0
		.amdhsa_kernarg_size 152
		.amdhsa_user_sgpr_count 6
		.amdhsa_user_sgpr_private_segment_buffer 1
		.amdhsa_user_sgpr_dispatch_ptr 0
		.amdhsa_user_sgpr_queue_ptr 0
		.amdhsa_user_sgpr_kernarg_segment_ptr 1
		.amdhsa_user_sgpr_dispatch_id 0
		.amdhsa_user_sgpr_flat_scratch_init 0
		.amdhsa_user_sgpr_private_segment_size 0
		.amdhsa_uses_dynamic_stack 0
		.amdhsa_system_sgpr_private_segment_wavefront_offset 0
		.amdhsa_system_sgpr_workgroup_id_x 1
		.amdhsa_system_sgpr_workgroup_id_y 0
		.amdhsa_system_sgpr_workgroup_id_z 0
		.amdhsa_system_sgpr_workgroup_info 0
		.amdhsa_system_vgpr_workitem_id 0
		.amdhsa_next_free_vgpr 1
		.amdhsa_next_free_sgpr 0
		.amdhsa_reserve_vcc 0
		.amdhsa_reserve_flat_scratch 0
		.amdhsa_float_round_mode_32 0
		.amdhsa_float_round_mode_16_64 0
		.amdhsa_float_denorm_mode_32 3
		.amdhsa_float_denorm_mode_16_64 3
		.amdhsa_dx10_clamp 1
		.amdhsa_ieee_mode 1
		.amdhsa_fp16_overflow 0
		.amdhsa_exception_fp_ieee_invalid_op 0
		.amdhsa_exception_fp_denorm_src 0
		.amdhsa_exception_fp_ieee_div_zero 0
		.amdhsa_exception_fp_ieee_overflow 0
		.amdhsa_exception_fp_ieee_underflow 0
		.amdhsa_exception_fp_ieee_inexact 0
		.amdhsa_exception_int_div_zero 0
	.end_amdhsa_kernel
	.section	.text._ZN7rocprim17ROCPRIM_400000_NS6detail17trampoline_kernelINS0_13select_configILj256ELj13ELNS0_17block_load_methodE3ELS4_3ELS4_3ELNS0_20block_scan_algorithmE0ELj4294967295EEENS1_25partition_config_selectorILNS1_17partition_subalgoE3EjNS0_10empty_typeEbEEZZNS1_14partition_implILS8_3ELb0ES6_jNS0_17counting_iteratorIjlEEPS9_SE_NS0_5tupleIJPjSE_EEENSF_IJSE_SE_EEES9_SG_JZNS1_25segmented_radix_sort_implINS0_14default_configELb1EPKdPdPKlPlN2at6native12_GLOBAL__N_18offset_tEEE10hipError_tPvRmT1_PNSt15iterator_traitsISY_E10value_typeET2_T3_PNSZ_IS14_E10value_typeET4_jRbjT5_S1A_jjP12ihipStream_tbEUljE_EEESV_SW_SX_S14_S18_S1A_T6_T7_T9_mT8_S1C_bDpT10_ENKUlT_T0_E_clISt17integral_constantIbLb1EES1P_EEDaS1K_S1L_EUlS1K_E_NS1_11comp_targetILNS1_3genE2ELNS1_11target_archE906ELNS1_3gpuE6ELNS1_3repE0EEENS1_30default_config_static_selectorELNS0_4arch9wavefront6targetE1EEEvSY_,"axG",@progbits,_ZN7rocprim17ROCPRIM_400000_NS6detail17trampoline_kernelINS0_13select_configILj256ELj13ELNS0_17block_load_methodE3ELS4_3ELS4_3ELNS0_20block_scan_algorithmE0ELj4294967295EEENS1_25partition_config_selectorILNS1_17partition_subalgoE3EjNS0_10empty_typeEbEEZZNS1_14partition_implILS8_3ELb0ES6_jNS0_17counting_iteratorIjlEEPS9_SE_NS0_5tupleIJPjSE_EEENSF_IJSE_SE_EEES9_SG_JZNS1_25segmented_radix_sort_implINS0_14default_configELb1EPKdPdPKlPlN2at6native12_GLOBAL__N_18offset_tEEE10hipError_tPvRmT1_PNSt15iterator_traitsISY_E10value_typeET2_T3_PNSZ_IS14_E10value_typeET4_jRbjT5_S1A_jjP12ihipStream_tbEUljE_EEESV_SW_SX_S14_S18_S1A_T6_T7_T9_mT8_S1C_bDpT10_ENKUlT_T0_E_clISt17integral_constantIbLb1EES1P_EEDaS1K_S1L_EUlS1K_E_NS1_11comp_targetILNS1_3genE2ELNS1_11target_archE906ELNS1_3gpuE6ELNS1_3repE0EEENS1_30default_config_static_selectorELNS0_4arch9wavefront6targetE1EEEvSY_,comdat
.Lfunc_end1098:
	.size	_ZN7rocprim17ROCPRIM_400000_NS6detail17trampoline_kernelINS0_13select_configILj256ELj13ELNS0_17block_load_methodE3ELS4_3ELS4_3ELNS0_20block_scan_algorithmE0ELj4294967295EEENS1_25partition_config_selectorILNS1_17partition_subalgoE3EjNS0_10empty_typeEbEEZZNS1_14partition_implILS8_3ELb0ES6_jNS0_17counting_iteratorIjlEEPS9_SE_NS0_5tupleIJPjSE_EEENSF_IJSE_SE_EEES9_SG_JZNS1_25segmented_radix_sort_implINS0_14default_configELb1EPKdPdPKlPlN2at6native12_GLOBAL__N_18offset_tEEE10hipError_tPvRmT1_PNSt15iterator_traitsISY_E10value_typeET2_T3_PNSZ_IS14_E10value_typeET4_jRbjT5_S1A_jjP12ihipStream_tbEUljE_EEESV_SW_SX_S14_S18_S1A_T6_T7_T9_mT8_S1C_bDpT10_ENKUlT_T0_E_clISt17integral_constantIbLb1EES1P_EEDaS1K_S1L_EUlS1K_E_NS1_11comp_targetILNS1_3genE2ELNS1_11target_archE906ELNS1_3gpuE6ELNS1_3repE0EEENS1_30default_config_static_selectorELNS0_4arch9wavefront6targetE1EEEvSY_, .Lfunc_end1098-_ZN7rocprim17ROCPRIM_400000_NS6detail17trampoline_kernelINS0_13select_configILj256ELj13ELNS0_17block_load_methodE3ELS4_3ELS4_3ELNS0_20block_scan_algorithmE0ELj4294967295EEENS1_25partition_config_selectorILNS1_17partition_subalgoE3EjNS0_10empty_typeEbEEZZNS1_14partition_implILS8_3ELb0ES6_jNS0_17counting_iteratorIjlEEPS9_SE_NS0_5tupleIJPjSE_EEENSF_IJSE_SE_EEES9_SG_JZNS1_25segmented_radix_sort_implINS0_14default_configELb1EPKdPdPKlPlN2at6native12_GLOBAL__N_18offset_tEEE10hipError_tPvRmT1_PNSt15iterator_traitsISY_E10value_typeET2_T3_PNSZ_IS14_E10value_typeET4_jRbjT5_S1A_jjP12ihipStream_tbEUljE_EEESV_SW_SX_S14_S18_S1A_T6_T7_T9_mT8_S1C_bDpT10_ENKUlT_T0_E_clISt17integral_constantIbLb1EES1P_EEDaS1K_S1L_EUlS1K_E_NS1_11comp_targetILNS1_3genE2ELNS1_11target_archE906ELNS1_3gpuE6ELNS1_3repE0EEENS1_30default_config_static_selectorELNS0_4arch9wavefront6targetE1EEEvSY_
                                        ; -- End function
	.set _ZN7rocprim17ROCPRIM_400000_NS6detail17trampoline_kernelINS0_13select_configILj256ELj13ELNS0_17block_load_methodE3ELS4_3ELS4_3ELNS0_20block_scan_algorithmE0ELj4294967295EEENS1_25partition_config_selectorILNS1_17partition_subalgoE3EjNS0_10empty_typeEbEEZZNS1_14partition_implILS8_3ELb0ES6_jNS0_17counting_iteratorIjlEEPS9_SE_NS0_5tupleIJPjSE_EEENSF_IJSE_SE_EEES9_SG_JZNS1_25segmented_radix_sort_implINS0_14default_configELb1EPKdPdPKlPlN2at6native12_GLOBAL__N_18offset_tEEE10hipError_tPvRmT1_PNSt15iterator_traitsISY_E10value_typeET2_T3_PNSZ_IS14_E10value_typeET4_jRbjT5_S1A_jjP12ihipStream_tbEUljE_EEESV_SW_SX_S14_S18_S1A_T6_T7_T9_mT8_S1C_bDpT10_ENKUlT_T0_E_clISt17integral_constantIbLb1EES1P_EEDaS1K_S1L_EUlS1K_E_NS1_11comp_targetILNS1_3genE2ELNS1_11target_archE906ELNS1_3gpuE6ELNS1_3repE0EEENS1_30default_config_static_selectorELNS0_4arch9wavefront6targetE1EEEvSY_.num_vgpr, 0
	.set _ZN7rocprim17ROCPRIM_400000_NS6detail17trampoline_kernelINS0_13select_configILj256ELj13ELNS0_17block_load_methodE3ELS4_3ELS4_3ELNS0_20block_scan_algorithmE0ELj4294967295EEENS1_25partition_config_selectorILNS1_17partition_subalgoE3EjNS0_10empty_typeEbEEZZNS1_14partition_implILS8_3ELb0ES6_jNS0_17counting_iteratorIjlEEPS9_SE_NS0_5tupleIJPjSE_EEENSF_IJSE_SE_EEES9_SG_JZNS1_25segmented_radix_sort_implINS0_14default_configELb1EPKdPdPKlPlN2at6native12_GLOBAL__N_18offset_tEEE10hipError_tPvRmT1_PNSt15iterator_traitsISY_E10value_typeET2_T3_PNSZ_IS14_E10value_typeET4_jRbjT5_S1A_jjP12ihipStream_tbEUljE_EEESV_SW_SX_S14_S18_S1A_T6_T7_T9_mT8_S1C_bDpT10_ENKUlT_T0_E_clISt17integral_constantIbLb1EES1P_EEDaS1K_S1L_EUlS1K_E_NS1_11comp_targetILNS1_3genE2ELNS1_11target_archE906ELNS1_3gpuE6ELNS1_3repE0EEENS1_30default_config_static_selectorELNS0_4arch9wavefront6targetE1EEEvSY_.num_agpr, 0
	.set _ZN7rocprim17ROCPRIM_400000_NS6detail17trampoline_kernelINS0_13select_configILj256ELj13ELNS0_17block_load_methodE3ELS4_3ELS4_3ELNS0_20block_scan_algorithmE0ELj4294967295EEENS1_25partition_config_selectorILNS1_17partition_subalgoE3EjNS0_10empty_typeEbEEZZNS1_14partition_implILS8_3ELb0ES6_jNS0_17counting_iteratorIjlEEPS9_SE_NS0_5tupleIJPjSE_EEENSF_IJSE_SE_EEES9_SG_JZNS1_25segmented_radix_sort_implINS0_14default_configELb1EPKdPdPKlPlN2at6native12_GLOBAL__N_18offset_tEEE10hipError_tPvRmT1_PNSt15iterator_traitsISY_E10value_typeET2_T3_PNSZ_IS14_E10value_typeET4_jRbjT5_S1A_jjP12ihipStream_tbEUljE_EEESV_SW_SX_S14_S18_S1A_T6_T7_T9_mT8_S1C_bDpT10_ENKUlT_T0_E_clISt17integral_constantIbLb1EES1P_EEDaS1K_S1L_EUlS1K_E_NS1_11comp_targetILNS1_3genE2ELNS1_11target_archE906ELNS1_3gpuE6ELNS1_3repE0EEENS1_30default_config_static_selectorELNS0_4arch9wavefront6targetE1EEEvSY_.numbered_sgpr, 0
	.set _ZN7rocprim17ROCPRIM_400000_NS6detail17trampoline_kernelINS0_13select_configILj256ELj13ELNS0_17block_load_methodE3ELS4_3ELS4_3ELNS0_20block_scan_algorithmE0ELj4294967295EEENS1_25partition_config_selectorILNS1_17partition_subalgoE3EjNS0_10empty_typeEbEEZZNS1_14partition_implILS8_3ELb0ES6_jNS0_17counting_iteratorIjlEEPS9_SE_NS0_5tupleIJPjSE_EEENSF_IJSE_SE_EEES9_SG_JZNS1_25segmented_radix_sort_implINS0_14default_configELb1EPKdPdPKlPlN2at6native12_GLOBAL__N_18offset_tEEE10hipError_tPvRmT1_PNSt15iterator_traitsISY_E10value_typeET2_T3_PNSZ_IS14_E10value_typeET4_jRbjT5_S1A_jjP12ihipStream_tbEUljE_EEESV_SW_SX_S14_S18_S1A_T6_T7_T9_mT8_S1C_bDpT10_ENKUlT_T0_E_clISt17integral_constantIbLb1EES1P_EEDaS1K_S1L_EUlS1K_E_NS1_11comp_targetILNS1_3genE2ELNS1_11target_archE906ELNS1_3gpuE6ELNS1_3repE0EEENS1_30default_config_static_selectorELNS0_4arch9wavefront6targetE1EEEvSY_.num_named_barrier, 0
	.set _ZN7rocprim17ROCPRIM_400000_NS6detail17trampoline_kernelINS0_13select_configILj256ELj13ELNS0_17block_load_methodE3ELS4_3ELS4_3ELNS0_20block_scan_algorithmE0ELj4294967295EEENS1_25partition_config_selectorILNS1_17partition_subalgoE3EjNS0_10empty_typeEbEEZZNS1_14partition_implILS8_3ELb0ES6_jNS0_17counting_iteratorIjlEEPS9_SE_NS0_5tupleIJPjSE_EEENSF_IJSE_SE_EEES9_SG_JZNS1_25segmented_radix_sort_implINS0_14default_configELb1EPKdPdPKlPlN2at6native12_GLOBAL__N_18offset_tEEE10hipError_tPvRmT1_PNSt15iterator_traitsISY_E10value_typeET2_T3_PNSZ_IS14_E10value_typeET4_jRbjT5_S1A_jjP12ihipStream_tbEUljE_EEESV_SW_SX_S14_S18_S1A_T6_T7_T9_mT8_S1C_bDpT10_ENKUlT_T0_E_clISt17integral_constantIbLb1EES1P_EEDaS1K_S1L_EUlS1K_E_NS1_11comp_targetILNS1_3genE2ELNS1_11target_archE906ELNS1_3gpuE6ELNS1_3repE0EEENS1_30default_config_static_selectorELNS0_4arch9wavefront6targetE1EEEvSY_.private_seg_size, 0
	.set _ZN7rocprim17ROCPRIM_400000_NS6detail17trampoline_kernelINS0_13select_configILj256ELj13ELNS0_17block_load_methodE3ELS4_3ELS4_3ELNS0_20block_scan_algorithmE0ELj4294967295EEENS1_25partition_config_selectorILNS1_17partition_subalgoE3EjNS0_10empty_typeEbEEZZNS1_14partition_implILS8_3ELb0ES6_jNS0_17counting_iteratorIjlEEPS9_SE_NS0_5tupleIJPjSE_EEENSF_IJSE_SE_EEES9_SG_JZNS1_25segmented_radix_sort_implINS0_14default_configELb1EPKdPdPKlPlN2at6native12_GLOBAL__N_18offset_tEEE10hipError_tPvRmT1_PNSt15iterator_traitsISY_E10value_typeET2_T3_PNSZ_IS14_E10value_typeET4_jRbjT5_S1A_jjP12ihipStream_tbEUljE_EEESV_SW_SX_S14_S18_S1A_T6_T7_T9_mT8_S1C_bDpT10_ENKUlT_T0_E_clISt17integral_constantIbLb1EES1P_EEDaS1K_S1L_EUlS1K_E_NS1_11comp_targetILNS1_3genE2ELNS1_11target_archE906ELNS1_3gpuE6ELNS1_3repE0EEENS1_30default_config_static_selectorELNS0_4arch9wavefront6targetE1EEEvSY_.uses_vcc, 0
	.set _ZN7rocprim17ROCPRIM_400000_NS6detail17trampoline_kernelINS0_13select_configILj256ELj13ELNS0_17block_load_methodE3ELS4_3ELS4_3ELNS0_20block_scan_algorithmE0ELj4294967295EEENS1_25partition_config_selectorILNS1_17partition_subalgoE3EjNS0_10empty_typeEbEEZZNS1_14partition_implILS8_3ELb0ES6_jNS0_17counting_iteratorIjlEEPS9_SE_NS0_5tupleIJPjSE_EEENSF_IJSE_SE_EEES9_SG_JZNS1_25segmented_radix_sort_implINS0_14default_configELb1EPKdPdPKlPlN2at6native12_GLOBAL__N_18offset_tEEE10hipError_tPvRmT1_PNSt15iterator_traitsISY_E10value_typeET2_T3_PNSZ_IS14_E10value_typeET4_jRbjT5_S1A_jjP12ihipStream_tbEUljE_EEESV_SW_SX_S14_S18_S1A_T6_T7_T9_mT8_S1C_bDpT10_ENKUlT_T0_E_clISt17integral_constantIbLb1EES1P_EEDaS1K_S1L_EUlS1K_E_NS1_11comp_targetILNS1_3genE2ELNS1_11target_archE906ELNS1_3gpuE6ELNS1_3repE0EEENS1_30default_config_static_selectorELNS0_4arch9wavefront6targetE1EEEvSY_.uses_flat_scratch, 0
	.set _ZN7rocprim17ROCPRIM_400000_NS6detail17trampoline_kernelINS0_13select_configILj256ELj13ELNS0_17block_load_methodE3ELS4_3ELS4_3ELNS0_20block_scan_algorithmE0ELj4294967295EEENS1_25partition_config_selectorILNS1_17partition_subalgoE3EjNS0_10empty_typeEbEEZZNS1_14partition_implILS8_3ELb0ES6_jNS0_17counting_iteratorIjlEEPS9_SE_NS0_5tupleIJPjSE_EEENSF_IJSE_SE_EEES9_SG_JZNS1_25segmented_radix_sort_implINS0_14default_configELb1EPKdPdPKlPlN2at6native12_GLOBAL__N_18offset_tEEE10hipError_tPvRmT1_PNSt15iterator_traitsISY_E10value_typeET2_T3_PNSZ_IS14_E10value_typeET4_jRbjT5_S1A_jjP12ihipStream_tbEUljE_EEESV_SW_SX_S14_S18_S1A_T6_T7_T9_mT8_S1C_bDpT10_ENKUlT_T0_E_clISt17integral_constantIbLb1EES1P_EEDaS1K_S1L_EUlS1K_E_NS1_11comp_targetILNS1_3genE2ELNS1_11target_archE906ELNS1_3gpuE6ELNS1_3repE0EEENS1_30default_config_static_selectorELNS0_4arch9wavefront6targetE1EEEvSY_.has_dyn_sized_stack, 0
	.set _ZN7rocprim17ROCPRIM_400000_NS6detail17trampoline_kernelINS0_13select_configILj256ELj13ELNS0_17block_load_methodE3ELS4_3ELS4_3ELNS0_20block_scan_algorithmE0ELj4294967295EEENS1_25partition_config_selectorILNS1_17partition_subalgoE3EjNS0_10empty_typeEbEEZZNS1_14partition_implILS8_3ELb0ES6_jNS0_17counting_iteratorIjlEEPS9_SE_NS0_5tupleIJPjSE_EEENSF_IJSE_SE_EEES9_SG_JZNS1_25segmented_radix_sort_implINS0_14default_configELb1EPKdPdPKlPlN2at6native12_GLOBAL__N_18offset_tEEE10hipError_tPvRmT1_PNSt15iterator_traitsISY_E10value_typeET2_T3_PNSZ_IS14_E10value_typeET4_jRbjT5_S1A_jjP12ihipStream_tbEUljE_EEESV_SW_SX_S14_S18_S1A_T6_T7_T9_mT8_S1C_bDpT10_ENKUlT_T0_E_clISt17integral_constantIbLb1EES1P_EEDaS1K_S1L_EUlS1K_E_NS1_11comp_targetILNS1_3genE2ELNS1_11target_archE906ELNS1_3gpuE6ELNS1_3repE0EEENS1_30default_config_static_selectorELNS0_4arch9wavefront6targetE1EEEvSY_.has_recursion, 0
	.set _ZN7rocprim17ROCPRIM_400000_NS6detail17trampoline_kernelINS0_13select_configILj256ELj13ELNS0_17block_load_methodE3ELS4_3ELS4_3ELNS0_20block_scan_algorithmE0ELj4294967295EEENS1_25partition_config_selectorILNS1_17partition_subalgoE3EjNS0_10empty_typeEbEEZZNS1_14partition_implILS8_3ELb0ES6_jNS0_17counting_iteratorIjlEEPS9_SE_NS0_5tupleIJPjSE_EEENSF_IJSE_SE_EEES9_SG_JZNS1_25segmented_radix_sort_implINS0_14default_configELb1EPKdPdPKlPlN2at6native12_GLOBAL__N_18offset_tEEE10hipError_tPvRmT1_PNSt15iterator_traitsISY_E10value_typeET2_T3_PNSZ_IS14_E10value_typeET4_jRbjT5_S1A_jjP12ihipStream_tbEUljE_EEESV_SW_SX_S14_S18_S1A_T6_T7_T9_mT8_S1C_bDpT10_ENKUlT_T0_E_clISt17integral_constantIbLb1EES1P_EEDaS1K_S1L_EUlS1K_E_NS1_11comp_targetILNS1_3genE2ELNS1_11target_archE906ELNS1_3gpuE6ELNS1_3repE0EEENS1_30default_config_static_selectorELNS0_4arch9wavefront6targetE1EEEvSY_.has_indirect_call, 0
	.section	.AMDGPU.csdata,"",@progbits
; Kernel info:
; codeLenInByte = 4
; TotalNumSgprs: 4
; NumVgprs: 0
; ScratchSize: 0
; MemoryBound: 0
; FloatMode: 240
; IeeeMode: 1
; LDSByteSize: 0 bytes/workgroup (compile time only)
; SGPRBlocks: 0
; VGPRBlocks: 0
; NumSGPRsForWavesPerEU: 4
; NumVGPRsForWavesPerEU: 1
; Occupancy: 10
; WaveLimiterHint : 0
; COMPUTE_PGM_RSRC2:SCRATCH_EN: 0
; COMPUTE_PGM_RSRC2:USER_SGPR: 6
; COMPUTE_PGM_RSRC2:TRAP_HANDLER: 0
; COMPUTE_PGM_RSRC2:TGID_X_EN: 1
; COMPUTE_PGM_RSRC2:TGID_Y_EN: 0
; COMPUTE_PGM_RSRC2:TGID_Z_EN: 0
; COMPUTE_PGM_RSRC2:TIDIG_COMP_CNT: 0
	.section	.text._ZN7rocprim17ROCPRIM_400000_NS6detail17trampoline_kernelINS0_13select_configILj256ELj13ELNS0_17block_load_methodE3ELS4_3ELS4_3ELNS0_20block_scan_algorithmE0ELj4294967295EEENS1_25partition_config_selectorILNS1_17partition_subalgoE3EjNS0_10empty_typeEbEEZZNS1_14partition_implILS8_3ELb0ES6_jNS0_17counting_iteratorIjlEEPS9_SE_NS0_5tupleIJPjSE_EEENSF_IJSE_SE_EEES9_SG_JZNS1_25segmented_radix_sort_implINS0_14default_configELb1EPKdPdPKlPlN2at6native12_GLOBAL__N_18offset_tEEE10hipError_tPvRmT1_PNSt15iterator_traitsISY_E10value_typeET2_T3_PNSZ_IS14_E10value_typeET4_jRbjT5_S1A_jjP12ihipStream_tbEUljE_EEESV_SW_SX_S14_S18_S1A_T6_T7_T9_mT8_S1C_bDpT10_ENKUlT_T0_E_clISt17integral_constantIbLb1EES1P_EEDaS1K_S1L_EUlS1K_E_NS1_11comp_targetILNS1_3genE10ELNS1_11target_archE1200ELNS1_3gpuE4ELNS1_3repE0EEENS1_30default_config_static_selectorELNS0_4arch9wavefront6targetE1EEEvSY_,"axG",@progbits,_ZN7rocprim17ROCPRIM_400000_NS6detail17trampoline_kernelINS0_13select_configILj256ELj13ELNS0_17block_load_methodE3ELS4_3ELS4_3ELNS0_20block_scan_algorithmE0ELj4294967295EEENS1_25partition_config_selectorILNS1_17partition_subalgoE3EjNS0_10empty_typeEbEEZZNS1_14partition_implILS8_3ELb0ES6_jNS0_17counting_iteratorIjlEEPS9_SE_NS0_5tupleIJPjSE_EEENSF_IJSE_SE_EEES9_SG_JZNS1_25segmented_radix_sort_implINS0_14default_configELb1EPKdPdPKlPlN2at6native12_GLOBAL__N_18offset_tEEE10hipError_tPvRmT1_PNSt15iterator_traitsISY_E10value_typeET2_T3_PNSZ_IS14_E10value_typeET4_jRbjT5_S1A_jjP12ihipStream_tbEUljE_EEESV_SW_SX_S14_S18_S1A_T6_T7_T9_mT8_S1C_bDpT10_ENKUlT_T0_E_clISt17integral_constantIbLb1EES1P_EEDaS1K_S1L_EUlS1K_E_NS1_11comp_targetILNS1_3genE10ELNS1_11target_archE1200ELNS1_3gpuE4ELNS1_3repE0EEENS1_30default_config_static_selectorELNS0_4arch9wavefront6targetE1EEEvSY_,comdat
	.globl	_ZN7rocprim17ROCPRIM_400000_NS6detail17trampoline_kernelINS0_13select_configILj256ELj13ELNS0_17block_load_methodE3ELS4_3ELS4_3ELNS0_20block_scan_algorithmE0ELj4294967295EEENS1_25partition_config_selectorILNS1_17partition_subalgoE3EjNS0_10empty_typeEbEEZZNS1_14partition_implILS8_3ELb0ES6_jNS0_17counting_iteratorIjlEEPS9_SE_NS0_5tupleIJPjSE_EEENSF_IJSE_SE_EEES9_SG_JZNS1_25segmented_radix_sort_implINS0_14default_configELb1EPKdPdPKlPlN2at6native12_GLOBAL__N_18offset_tEEE10hipError_tPvRmT1_PNSt15iterator_traitsISY_E10value_typeET2_T3_PNSZ_IS14_E10value_typeET4_jRbjT5_S1A_jjP12ihipStream_tbEUljE_EEESV_SW_SX_S14_S18_S1A_T6_T7_T9_mT8_S1C_bDpT10_ENKUlT_T0_E_clISt17integral_constantIbLb1EES1P_EEDaS1K_S1L_EUlS1K_E_NS1_11comp_targetILNS1_3genE10ELNS1_11target_archE1200ELNS1_3gpuE4ELNS1_3repE0EEENS1_30default_config_static_selectorELNS0_4arch9wavefront6targetE1EEEvSY_ ; -- Begin function _ZN7rocprim17ROCPRIM_400000_NS6detail17trampoline_kernelINS0_13select_configILj256ELj13ELNS0_17block_load_methodE3ELS4_3ELS4_3ELNS0_20block_scan_algorithmE0ELj4294967295EEENS1_25partition_config_selectorILNS1_17partition_subalgoE3EjNS0_10empty_typeEbEEZZNS1_14partition_implILS8_3ELb0ES6_jNS0_17counting_iteratorIjlEEPS9_SE_NS0_5tupleIJPjSE_EEENSF_IJSE_SE_EEES9_SG_JZNS1_25segmented_radix_sort_implINS0_14default_configELb1EPKdPdPKlPlN2at6native12_GLOBAL__N_18offset_tEEE10hipError_tPvRmT1_PNSt15iterator_traitsISY_E10value_typeET2_T3_PNSZ_IS14_E10value_typeET4_jRbjT5_S1A_jjP12ihipStream_tbEUljE_EEESV_SW_SX_S14_S18_S1A_T6_T7_T9_mT8_S1C_bDpT10_ENKUlT_T0_E_clISt17integral_constantIbLb1EES1P_EEDaS1K_S1L_EUlS1K_E_NS1_11comp_targetILNS1_3genE10ELNS1_11target_archE1200ELNS1_3gpuE4ELNS1_3repE0EEENS1_30default_config_static_selectorELNS0_4arch9wavefront6targetE1EEEvSY_
	.p2align	8
	.type	_ZN7rocprim17ROCPRIM_400000_NS6detail17trampoline_kernelINS0_13select_configILj256ELj13ELNS0_17block_load_methodE3ELS4_3ELS4_3ELNS0_20block_scan_algorithmE0ELj4294967295EEENS1_25partition_config_selectorILNS1_17partition_subalgoE3EjNS0_10empty_typeEbEEZZNS1_14partition_implILS8_3ELb0ES6_jNS0_17counting_iteratorIjlEEPS9_SE_NS0_5tupleIJPjSE_EEENSF_IJSE_SE_EEES9_SG_JZNS1_25segmented_radix_sort_implINS0_14default_configELb1EPKdPdPKlPlN2at6native12_GLOBAL__N_18offset_tEEE10hipError_tPvRmT1_PNSt15iterator_traitsISY_E10value_typeET2_T3_PNSZ_IS14_E10value_typeET4_jRbjT5_S1A_jjP12ihipStream_tbEUljE_EEESV_SW_SX_S14_S18_S1A_T6_T7_T9_mT8_S1C_bDpT10_ENKUlT_T0_E_clISt17integral_constantIbLb1EES1P_EEDaS1K_S1L_EUlS1K_E_NS1_11comp_targetILNS1_3genE10ELNS1_11target_archE1200ELNS1_3gpuE4ELNS1_3repE0EEENS1_30default_config_static_selectorELNS0_4arch9wavefront6targetE1EEEvSY_,@function
_ZN7rocprim17ROCPRIM_400000_NS6detail17trampoline_kernelINS0_13select_configILj256ELj13ELNS0_17block_load_methodE3ELS4_3ELS4_3ELNS0_20block_scan_algorithmE0ELj4294967295EEENS1_25partition_config_selectorILNS1_17partition_subalgoE3EjNS0_10empty_typeEbEEZZNS1_14partition_implILS8_3ELb0ES6_jNS0_17counting_iteratorIjlEEPS9_SE_NS0_5tupleIJPjSE_EEENSF_IJSE_SE_EEES9_SG_JZNS1_25segmented_radix_sort_implINS0_14default_configELb1EPKdPdPKlPlN2at6native12_GLOBAL__N_18offset_tEEE10hipError_tPvRmT1_PNSt15iterator_traitsISY_E10value_typeET2_T3_PNSZ_IS14_E10value_typeET4_jRbjT5_S1A_jjP12ihipStream_tbEUljE_EEESV_SW_SX_S14_S18_S1A_T6_T7_T9_mT8_S1C_bDpT10_ENKUlT_T0_E_clISt17integral_constantIbLb1EES1P_EEDaS1K_S1L_EUlS1K_E_NS1_11comp_targetILNS1_3genE10ELNS1_11target_archE1200ELNS1_3gpuE4ELNS1_3repE0EEENS1_30default_config_static_selectorELNS0_4arch9wavefront6targetE1EEEvSY_: ; @_ZN7rocprim17ROCPRIM_400000_NS6detail17trampoline_kernelINS0_13select_configILj256ELj13ELNS0_17block_load_methodE3ELS4_3ELS4_3ELNS0_20block_scan_algorithmE0ELj4294967295EEENS1_25partition_config_selectorILNS1_17partition_subalgoE3EjNS0_10empty_typeEbEEZZNS1_14partition_implILS8_3ELb0ES6_jNS0_17counting_iteratorIjlEEPS9_SE_NS0_5tupleIJPjSE_EEENSF_IJSE_SE_EEES9_SG_JZNS1_25segmented_radix_sort_implINS0_14default_configELb1EPKdPdPKlPlN2at6native12_GLOBAL__N_18offset_tEEE10hipError_tPvRmT1_PNSt15iterator_traitsISY_E10value_typeET2_T3_PNSZ_IS14_E10value_typeET4_jRbjT5_S1A_jjP12ihipStream_tbEUljE_EEESV_SW_SX_S14_S18_S1A_T6_T7_T9_mT8_S1C_bDpT10_ENKUlT_T0_E_clISt17integral_constantIbLb1EES1P_EEDaS1K_S1L_EUlS1K_E_NS1_11comp_targetILNS1_3genE10ELNS1_11target_archE1200ELNS1_3gpuE4ELNS1_3repE0EEENS1_30default_config_static_selectorELNS0_4arch9wavefront6targetE1EEEvSY_
; %bb.0:
	.section	.rodata,"a",@progbits
	.p2align	6, 0x0
	.amdhsa_kernel _ZN7rocprim17ROCPRIM_400000_NS6detail17trampoline_kernelINS0_13select_configILj256ELj13ELNS0_17block_load_methodE3ELS4_3ELS4_3ELNS0_20block_scan_algorithmE0ELj4294967295EEENS1_25partition_config_selectorILNS1_17partition_subalgoE3EjNS0_10empty_typeEbEEZZNS1_14partition_implILS8_3ELb0ES6_jNS0_17counting_iteratorIjlEEPS9_SE_NS0_5tupleIJPjSE_EEENSF_IJSE_SE_EEES9_SG_JZNS1_25segmented_radix_sort_implINS0_14default_configELb1EPKdPdPKlPlN2at6native12_GLOBAL__N_18offset_tEEE10hipError_tPvRmT1_PNSt15iterator_traitsISY_E10value_typeET2_T3_PNSZ_IS14_E10value_typeET4_jRbjT5_S1A_jjP12ihipStream_tbEUljE_EEESV_SW_SX_S14_S18_S1A_T6_T7_T9_mT8_S1C_bDpT10_ENKUlT_T0_E_clISt17integral_constantIbLb1EES1P_EEDaS1K_S1L_EUlS1K_E_NS1_11comp_targetILNS1_3genE10ELNS1_11target_archE1200ELNS1_3gpuE4ELNS1_3repE0EEENS1_30default_config_static_selectorELNS0_4arch9wavefront6targetE1EEEvSY_
		.amdhsa_group_segment_fixed_size 0
		.amdhsa_private_segment_fixed_size 0
		.amdhsa_kernarg_size 152
		.amdhsa_user_sgpr_count 6
		.amdhsa_user_sgpr_private_segment_buffer 1
		.amdhsa_user_sgpr_dispatch_ptr 0
		.amdhsa_user_sgpr_queue_ptr 0
		.amdhsa_user_sgpr_kernarg_segment_ptr 1
		.amdhsa_user_sgpr_dispatch_id 0
		.amdhsa_user_sgpr_flat_scratch_init 0
		.amdhsa_user_sgpr_private_segment_size 0
		.amdhsa_uses_dynamic_stack 0
		.amdhsa_system_sgpr_private_segment_wavefront_offset 0
		.amdhsa_system_sgpr_workgroup_id_x 1
		.amdhsa_system_sgpr_workgroup_id_y 0
		.amdhsa_system_sgpr_workgroup_id_z 0
		.amdhsa_system_sgpr_workgroup_info 0
		.amdhsa_system_vgpr_workitem_id 0
		.amdhsa_next_free_vgpr 1
		.amdhsa_next_free_sgpr 0
		.amdhsa_reserve_vcc 0
		.amdhsa_reserve_flat_scratch 0
		.amdhsa_float_round_mode_32 0
		.amdhsa_float_round_mode_16_64 0
		.amdhsa_float_denorm_mode_32 3
		.amdhsa_float_denorm_mode_16_64 3
		.amdhsa_dx10_clamp 1
		.amdhsa_ieee_mode 1
		.amdhsa_fp16_overflow 0
		.amdhsa_exception_fp_ieee_invalid_op 0
		.amdhsa_exception_fp_denorm_src 0
		.amdhsa_exception_fp_ieee_div_zero 0
		.amdhsa_exception_fp_ieee_overflow 0
		.amdhsa_exception_fp_ieee_underflow 0
		.amdhsa_exception_fp_ieee_inexact 0
		.amdhsa_exception_int_div_zero 0
	.end_amdhsa_kernel
	.section	.text._ZN7rocprim17ROCPRIM_400000_NS6detail17trampoline_kernelINS0_13select_configILj256ELj13ELNS0_17block_load_methodE3ELS4_3ELS4_3ELNS0_20block_scan_algorithmE0ELj4294967295EEENS1_25partition_config_selectorILNS1_17partition_subalgoE3EjNS0_10empty_typeEbEEZZNS1_14partition_implILS8_3ELb0ES6_jNS0_17counting_iteratorIjlEEPS9_SE_NS0_5tupleIJPjSE_EEENSF_IJSE_SE_EEES9_SG_JZNS1_25segmented_radix_sort_implINS0_14default_configELb1EPKdPdPKlPlN2at6native12_GLOBAL__N_18offset_tEEE10hipError_tPvRmT1_PNSt15iterator_traitsISY_E10value_typeET2_T3_PNSZ_IS14_E10value_typeET4_jRbjT5_S1A_jjP12ihipStream_tbEUljE_EEESV_SW_SX_S14_S18_S1A_T6_T7_T9_mT8_S1C_bDpT10_ENKUlT_T0_E_clISt17integral_constantIbLb1EES1P_EEDaS1K_S1L_EUlS1K_E_NS1_11comp_targetILNS1_3genE10ELNS1_11target_archE1200ELNS1_3gpuE4ELNS1_3repE0EEENS1_30default_config_static_selectorELNS0_4arch9wavefront6targetE1EEEvSY_,"axG",@progbits,_ZN7rocprim17ROCPRIM_400000_NS6detail17trampoline_kernelINS0_13select_configILj256ELj13ELNS0_17block_load_methodE3ELS4_3ELS4_3ELNS0_20block_scan_algorithmE0ELj4294967295EEENS1_25partition_config_selectorILNS1_17partition_subalgoE3EjNS0_10empty_typeEbEEZZNS1_14partition_implILS8_3ELb0ES6_jNS0_17counting_iteratorIjlEEPS9_SE_NS0_5tupleIJPjSE_EEENSF_IJSE_SE_EEES9_SG_JZNS1_25segmented_radix_sort_implINS0_14default_configELb1EPKdPdPKlPlN2at6native12_GLOBAL__N_18offset_tEEE10hipError_tPvRmT1_PNSt15iterator_traitsISY_E10value_typeET2_T3_PNSZ_IS14_E10value_typeET4_jRbjT5_S1A_jjP12ihipStream_tbEUljE_EEESV_SW_SX_S14_S18_S1A_T6_T7_T9_mT8_S1C_bDpT10_ENKUlT_T0_E_clISt17integral_constantIbLb1EES1P_EEDaS1K_S1L_EUlS1K_E_NS1_11comp_targetILNS1_3genE10ELNS1_11target_archE1200ELNS1_3gpuE4ELNS1_3repE0EEENS1_30default_config_static_selectorELNS0_4arch9wavefront6targetE1EEEvSY_,comdat
.Lfunc_end1099:
	.size	_ZN7rocprim17ROCPRIM_400000_NS6detail17trampoline_kernelINS0_13select_configILj256ELj13ELNS0_17block_load_methodE3ELS4_3ELS4_3ELNS0_20block_scan_algorithmE0ELj4294967295EEENS1_25partition_config_selectorILNS1_17partition_subalgoE3EjNS0_10empty_typeEbEEZZNS1_14partition_implILS8_3ELb0ES6_jNS0_17counting_iteratorIjlEEPS9_SE_NS0_5tupleIJPjSE_EEENSF_IJSE_SE_EEES9_SG_JZNS1_25segmented_radix_sort_implINS0_14default_configELb1EPKdPdPKlPlN2at6native12_GLOBAL__N_18offset_tEEE10hipError_tPvRmT1_PNSt15iterator_traitsISY_E10value_typeET2_T3_PNSZ_IS14_E10value_typeET4_jRbjT5_S1A_jjP12ihipStream_tbEUljE_EEESV_SW_SX_S14_S18_S1A_T6_T7_T9_mT8_S1C_bDpT10_ENKUlT_T0_E_clISt17integral_constantIbLb1EES1P_EEDaS1K_S1L_EUlS1K_E_NS1_11comp_targetILNS1_3genE10ELNS1_11target_archE1200ELNS1_3gpuE4ELNS1_3repE0EEENS1_30default_config_static_selectorELNS0_4arch9wavefront6targetE1EEEvSY_, .Lfunc_end1099-_ZN7rocprim17ROCPRIM_400000_NS6detail17trampoline_kernelINS0_13select_configILj256ELj13ELNS0_17block_load_methodE3ELS4_3ELS4_3ELNS0_20block_scan_algorithmE0ELj4294967295EEENS1_25partition_config_selectorILNS1_17partition_subalgoE3EjNS0_10empty_typeEbEEZZNS1_14partition_implILS8_3ELb0ES6_jNS0_17counting_iteratorIjlEEPS9_SE_NS0_5tupleIJPjSE_EEENSF_IJSE_SE_EEES9_SG_JZNS1_25segmented_radix_sort_implINS0_14default_configELb1EPKdPdPKlPlN2at6native12_GLOBAL__N_18offset_tEEE10hipError_tPvRmT1_PNSt15iterator_traitsISY_E10value_typeET2_T3_PNSZ_IS14_E10value_typeET4_jRbjT5_S1A_jjP12ihipStream_tbEUljE_EEESV_SW_SX_S14_S18_S1A_T6_T7_T9_mT8_S1C_bDpT10_ENKUlT_T0_E_clISt17integral_constantIbLb1EES1P_EEDaS1K_S1L_EUlS1K_E_NS1_11comp_targetILNS1_3genE10ELNS1_11target_archE1200ELNS1_3gpuE4ELNS1_3repE0EEENS1_30default_config_static_selectorELNS0_4arch9wavefront6targetE1EEEvSY_
                                        ; -- End function
	.set _ZN7rocprim17ROCPRIM_400000_NS6detail17trampoline_kernelINS0_13select_configILj256ELj13ELNS0_17block_load_methodE3ELS4_3ELS4_3ELNS0_20block_scan_algorithmE0ELj4294967295EEENS1_25partition_config_selectorILNS1_17partition_subalgoE3EjNS0_10empty_typeEbEEZZNS1_14partition_implILS8_3ELb0ES6_jNS0_17counting_iteratorIjlEEPS9_SE_NS0_5tupleIJPjSE_EEENSF_IJSE_SE_EEES9_SG_JZNS1_25segmented_radix_sort_implINS0_14default_configELb1EPKdPdPKlPlN2at6native12_GLOBAL__N_18offset_tEEE10hipError_tPvRmT1_PNSt15iterator_traitsISY_E10value_typeET2_T3_PNSZ_IS14_E10value_typeET4_jRbjT5_S1A_jjP12ihipStream_tbEUljE_EEESV_SW_SX_S14_S18_S1A_T6_T7_T9_mT8_S1C_bDpT10_ENKUlT_T0_E_clISt17integral_constantIbLb1EES1P_EEDaS1K_S1L_EUlS1K_E_NS1_11comp_targetILNS1_3genE10ELNS1_11target_archE1200ELNS1_3gpuE4ELNS1_3repE0EEENS1_30default_config_static_selectorELNS0_4arch9wavefront6targetE1EEEvSY_.num_vgpr, 0
	.set _ZN7rocprim17ROCPRIM_400000_NS6detail17trampoline_kernelINS0_13select_configILj256ELj13ELNS0_17block_load_methodE3ELS4_3ELS4_3ELNS0_20block_scan_algorithmE0ELj4294967295EEENS1_25partition_config_selectorILNS1_17partition_subalgoE3EjNS0_10empty_typeEbEEZZNS1_14partition_implILS8_3ELb0ES6_jNS0_17counting_iteratorIjlEEPS9_SE_NS0_5tupleIJPjSE_EEENSF_IJSE_SE_EEES9_SG_JZNS1_25segmented_radix_sort_implINS0_14default_configELb1EPKdPdPKlPlN2at6native12_GLOBAL__N_18offset_tEEE10hipError_tPvRmT1_PNSt15iterator_traitsISY_E10value_typeET2_T3_PNSZ_IS14_E10value_typeET4_jRbjT5_S1A_jjP12ihipStream_tbEUljE_EEESV_SW_SX_S14_S18_S1A_T6_T7_T9_mT8_S1C_bDpT10_ENKUlT_T0_E_clISt17integral_constantIbLb1EES1P_EEDaS1K_S1L_EUlS1K_E_NS1_11comp_targetILNS1_3genE10ELNS1_11target_archE1200ELNS1_3gpuE4ELNS1_3repE0EEENS1_30default_config_static_selectorELNS0_4arch9wavefront6targetE1EEEvSY_.num_agpr, 0
	.set _ZN7rocprim17ROCPRIM_400000_NS6detail17trampoline_kernelINS0_13select_configILj256ELj13ELNS0_17block_load_methodE3ELS4_3ELS4_3ELNS0_20block_scan_algorithmE0ELj4294967295EEENS1_25partition_config_selectorILNS1_17partition_subalgoE3EjNS0_10empty_typeEbEEZZNS1_14partition_implILS8_3ELb0ES6_jNS0_17counting_iteratorIjlEEPS9_SE_NS0_5tupleIJPjSE_EEENSF_IJSE_SE_EEES9_SG_JZNS1_25segmented_radix_sort_implINS0_14default_configELb1EPKdPdPKlPlN2at6native12_GLOBAL__N_18offset_tEEE10hipError_tPvRmT1_PNSt15iterator_traitsISY_E10value_typeET2_T3_PNSZ_IS14_E10value_typeET4_jRbjT5_S1A_jjP12ihipStream_tbEUljE_EEESV_SW_SX_S14_S18_S1A_T6_T7_T9_mT8_S1C_bDpT10_ENKUlT_T0_E_clISt17integral_constantIbLb1EES1P_EEDaS1K_S1L_EUlS1K_E_NS1_11comp_targetILNS1_3genE10ELNS1_11target_archE1200ELNS1_3gpuE4ELNS1_3repE0EEENS1_30default_config_static_selectorELNS0_4arch9wavefront6targetE1EEEvSY_.numbered_sgpr, 0
	.set _ZN7rocprim17ROCPRIM_400000_NS6detail17trampoline_kernelINS0_13select_configILj256ELj13ELNS0_17block_load_methodE3ELS4_3ELS4_3ELNS0_20block_scan_algorithmE0ELj4294967295EEENS1_25partition_config_selectorILNS1_17partition_subalgoE3EjNS0_10empty_typeEbEEZZNS1_14partition_implILS8_3ELb0ES6_jNS0_17counting_iteratorIjlEEPS9_SE_NS0_5tupleIJPjSE_EEENSF_IJSE_SE_EEES9_SG_JZNS1_25segmented_radix_sort_implINS0_14default_configELb1EPKdPdPKlPlN2at6native12_GLOBAL__N_18offset_tEEE10hipError_tPvRmT1_PNSt15iterator_traitsISY_E10value_typeET2_T3_PNSZ_IS14_E10value_typeET4_jRbjT5_S1A_jjP12ihipStream_tbEUljE_EEESV_SW_SX_S14_S18_S1A_T6_T7_T9_mT8_S1C_bDpT10_ENKUlT_T0_E_clISt17integral_constantIbLb1EES1P_EEDaS1K_S1L_EUlS1K_E_NS1_11comp_targetILNS1_3genE10ELNS1_11target_archE1200ELNS1_3gpuE4ELNS1_3repE0EEENS1_30default_config_static_selectorELNS0_4arch9wavefront6targetE1EEEvSY_.num_named_barrier, 0
	.set _ZN7rocprim17ROCPRIM_400000_NS6detail17trampoline_kernelINS0_13select_configILj256ELj13ELNS0_17block_load_methodE3ELS4_3ELS4_3ELNS0_20block_scan_algorithmE0ELj4294967295EEENS1_25partition_config_selectorILNS1_17partition_subalgoE3EjNS0_10empty_typeEbEEZZNS1_14partition_implILS8_3ELb0ES6_jNS0_17counting_iteratorIjlEEPS9_SE_NS0_5tupleIJPjSE_EEENSF_IJSE_SE_EEES9_SG_JZNS1_25segmented_radix_sort_implINS0_14default_configELb1EPKdPdPKlPlN2at6native12_GLOBAL__N_18offset_tEEE10hipError_tPvRmT1_PNSt15iterator_traitsISY_E10value_typeET2_T3_PNSZ_IS14_E10value_typeET4_jRbjT5_S1A_jjP12ihipStream_tbEUljE_EEESV_SW_SX_S14_S18_S1A_T6_T7_T9_mT8_S1C_bDpT10_ENKUlT_T0_E_clISt17integral_constantIbLb1EES1P_EEDaS1K_S1L_EUlS1K_E_NS1_11comp_targetILNS1_3genE10ELNS1_11target_archE1200ELNS1_3gpuE4ELNS1_3repE0EEENS1_30default_config_static_selectorELNS0_4arch9wavefront6targetE1EEEvSY_.private_seg_size, 0
	.set _ZN7rocprim17ROCPRIM_400000_NS6detail17trampoline_kernelINS0_13select_configILj256ELj13ELNS0_17block_load_methodE3ELS4_3ELS4_3ELNS0_20block_scan_algorithmE0ELj4294967295EEENS1_25partition_config_selectorILNS1_17partition_subalgoE3EjNS0_10empty_typeEbEEZZNS1_14partition_implILS8_3ELb0ES6_jNS0_17counting_iteratorIjlEEPS9_SE_NS0_5tupleIJPjSE_EEENSF_IJSE_SE_EEES9_SG_JZNS1_25segmented_radix_sort_implINS0_14default_configELb1EPKdPdPKlPlN2at6native12_GLOBAL__N_18offset_tEEE10hipError_tPvRmT1_PNSt15iterator_traitsISY_E10value_typeET2_T3_PNSZ_IS14_E10value_typeET4_jRbjT5_S1A_jjP12ihipStream_tbEUljE_EEESV_SW_SX_S14_S18_S1A_T6_T7_T9_mT8_S1C_bDpT10_ENKUlT_T0_E_clISt17integral_constantIbLb1EES1P_EEDaS1K_S1L_EUlS1K_E_NS1_11comp_targetILNS1_3genE10ELNS1_11target_archE1200ELNS1_3gpuE4ELNS1_3repE0EEENS1_30default_config_static_selectorELNS0_4arch9wavefront6targetE1EEEvSY_.uses_vcc, 0
	.set _ZN7rocprim17ROCPRIM_400000_NS6detail17trampoline_kernelINS0_13select_configILj256ELj13ELNS0_17block_load_methodE3ELS4_3ELS4_3ELNS0_20block_scan_algorithmE0ELj4294967295EEENS1_25partition_config_selectorILNS1_17partition_subalgoE3EjNS0_10empty_typeEbEEZZNS1_14partition_implILS8_3ELb0ES6_jNS0_17counting_iteratorIjlEEPS9_SE_NS0_5tupleIJPjSE_EEENSF_IJSE_SE_EEES9_SG_JZNS1_25segmented_radix_sort_implINS0_14default_configELb1EPKdPdPKlPlN2at6native12_GLOBAL__N_18offset_tEEE10hipError_tPvRmT1_PNSt15iterator_traitsISY_E10value_typeET2_T3_PNSZ_IS14_E10value_typeET4_jRbjT5_S1A_jjP12ihipStream_tbEUljE_EEESV_SW_SX_S14_S18_S1A_T6_T7_T9_mT8_S1C_bDpT10_ENKUlT_T0_E_clISt17integral_constantIbLb1EES1P_EEDaS1K_S1L_EUlS1K_E_NS1_11comp_targetILNS1_3genE10ELNS1_11target_archE1200ELNS1_3gpuE4ELNS1_3repE0EEENS1_30default_config_static_selectorELNS0_4arch9wavefront6targetE1EEEvSY_.uses_flat_scratch, 0
	.set _ZN7rocprim17ROCPRIM_400000_NS6detail17trampoline_kernelINS0_13select_configILj256ELj13ELNS0_17block_load_methodE3ELS4_3ELS4_3ELNS0_20block_scan_algorithmE0ELj4294967295EEENS1_25partition_config_selectorILNS1_17partition_subalgoE3EjNS0_10empty_typeEbEEZZNS1_14partition_implILS8_3ELb0ES6_jNS0_17counting_iteratorIjlEEPS9_SE_NS0_5tupleIJPjSE_EEENSF_IJSE_SE_EEES9_SG_JZNS1_25segmented_radix_sort_implINS0_14default_configELb1EPKdPdPKlPlN2at6native12_GLOBAL__N_18offset_tEEE10hipError_tPvRmT1_PNSt15iterator_traitsISY_E10value_typeET2_T3_PNSZ_IS14_E10value_typeET4_jRbjT5_S1A_jjP12ihipStream_tbEUljE_EEESV_SW_SX_S14_S18_S1A_T6_T7_T9_mT8_S1C_bDpT10_ENKUlT_T0_E_clISt17integral_constantIbLb1EES1P_EEDaS1K_S1L_EUlS1K_E_NS1_11comp_targetILNS1_3genE10ELNS1_11target_archE1200ELNS1_3gpuE4ELNS1_3repE0EEENS1_30default_config_static_selectorELNS0_4arch9wavefront6targetE1EEEvSY_.has_dyn_sized_stack, 0
	.set _ZN7rocprim17ROCPRIM_400000_NS6detail17trampoline_kernelINS0_13select_configILj256ELj13ELNS0_17block_load_methodE3ELS4_3ELS4_3ELNS0_20block_scan_algorithmE0ELj4294967295EEENS1_25partition_config_selectorILNS1_17partition_subalgoE3EjNS0_10empty_typeEbEEZZNS1_14partition_implILS8_3ELb0ES6_jNS0_17counting_iteratorIjlEEPS9_SE_NS0_5tupleIJPjSE_EEENSF_IJSE_SE_EEES9_SG_JZNS1_25segmented_radix_sort_implINS0_14default_configELb1EPKdPdPKlPlN2at6native12_GLOBAL__N_18offset_tEEE10hipError_tPvRmT1_PNSt15iterator_traitsISY_E10value_typeET2_T3_PNSZ_IS14_E10value_typeET4_jRbjT5_S1A_jjP12ihipStream_tbEUljE_EEESV_SW_SX_S14_S18_S1A_T6_T7_T9_mT8_S1C_bDpT10_ENKUlT_T0_E_clISt17integral_constantIbLb1EES1P_EEDaS1K_S1L_EUlS1K_E_NS1_11comp_targetILNS1_3genE10ELNS1_11target_archE1200ELNS1_3gpuE4ELNS1_3repE0EEENS1_30default_config_static_selectorELNS0_4arch9wavefront6targetE1EEEvSY_.has_recursion, 0
	.set _ZN7rocprim17ROCPRIM_400000_NS6detail17trampoline_kernelINS0_13select_configILj256ELj13ELNS0_17block_load_methodE3ELS4_3ELS4_3ELNS0_20block_scan_algorithmE0ELj4294967295EEENS1_25partition_config_selectorILNS1_17partition_subalgoE3EjNS0_10empty_typeEbEEZZNS1_14partition_implILS8_3ELb0ES6_jNS0_17counting_iteratorIjlEEPS9_SE_NS0_5tupleIJPjSE_EEENSF_IJSE_SE_EEES9_SG_JZNS1_25segmented_radix_sort_implINS0_14default_configELb1EPKdPdPKlPlN2at6native12_GLOBAL__N_18offset_tEEE10hipError_tPvRmT1_PNSt15iterator_traitsISY_E10value_typeET2_T3_PNSZ_IS14_E10value_typeET4_jRbjT5_S1A_jjP12ihipStream_tbEUljE_EEESV_SW_SX_S14_S18_S1A_T6_T7_T9_mT8_S1C_bDpT10_ENKUlT_T0_E_clISt17integral_constantIbLb1EES1P_EEDaS1K_S1L_EUlS1K_E_NS1_11comp_targetILNS1_3genE10ELNS1_11target_archE1200ELNS1_3gpuE4ELNS1_3repE0EEENS1_30default_config_static_selectorELNS0_4arch9wavefront6targetE1EEEvSY_.has_indirect_call, 0
	.section	.AMDGPU.csdata,"",@progbits
; Kernel info:
; codeLenInByte = 0
; TotalNumSgprs: 4
; NumVgprs: 0
; ScratchSize: 0
; MemoryBound: 0
; FloatMode: 240
; IeeeMode: 1
; LDSByteSize: 0 bytes/workgroup (compile time only)
; SGPRBlocks: 0
; VGPRBlocks: 0
; NumSGPRsForWavesPerEU: 4
; NumVGPRsForWavesPerEU: 1
; Occupancy: 10
; WaveLimiterHint : 0
; COMPUTE_PGM_RSRC2:SCRATCH_EN: 0
; COMPUTE_PGM_RSRC2:USER_SGPR: 6
; COMPUTE_PGM_RSRC2:TRAP_HANDLER: 0
; COMPUTE_PGM_RSRC2:TGID_X_EN: 1
; COMPUTE_PGM_RSRC2:TGID_Y_EN: 0
; COMPUTE_PGM_RSRC2:TGID_Z_EN: 0
; COMPUTE_PGM_RSRC2:TIDIG_COMP_CNT: 0
	.section	.text._ZN7rocprim17ROCPRIM_400000_NS6detail17trampoline_kernelINS0_13select_configILj256ELj13ELNS0_17block_load_methodE3ELS4_3ELS4_3ELNS0_20block_scan_algorithmE0ELj4294967295EEENS1_25partition_config_selectorILNS1_17partition_subalgoE3EjNS0_10empty_typeEbEEZZNS1_14partition_implILS8_3ELb0ES6_jNS0_17counting_iteratorIjlEEPS9_SE_NS0_5tupleIJPjSE_EEENSF_IJSE_SE_EEES9_SG_JZNS1_25segmented_radix_sort_implINS0_14default_configELb1EPKdPdPKlPlN2at6native12_GLOBAL__N_18offset_tEEE10hipError_tPvRmT1_PNSt15iterator_traitsISY_E10value_typeET2_T3_PNSZ_IS14_E10value_typeET4_jRbjT5_S1A_jjP12ihipStream_tbEUljE_EEESV_SW_SX_S14_S18_S1A_T6_T7_T9_mT8_S1C_bDpT10_ENKUlT_T0_E_clISt17integral_constantIbLb1EES1P_EEDaS1K_S1L_EUlS1K_E_NS1_11comp_targetILNS1_3genE9ELNS1_11target_archE1100ELNS1_3gpuE3ELNS1_3repE0EEENS1_30default_config_static_selectorELNS0_4arch9wavefront6targetE1EEEvSY_,"axG",@progbits,_ZN7rocprim17ROCPRIM_400000_NS6detail17trampoline_kernelINS0_13select_configILj256ELj13ELNS0_17block_load_methodE3ELS4_3ELS4_3ELNS0_20block_scan_algorithmE0ELj4294967295EEENS1_25partition_config_selectorILNS1_17partition_subalgoE3EjNS0_10empty_typeEbEEZZNS1_14partition_implILS8_3ELb0ES6_jNS0_17counting_iteratorIjlEEPS9_SE_NS0_5tupleIJPjSE_EEENSF_IJSE_SE_EEES9_SG_JZNS1_25segmented_radix_sort_implINS0_14default_configELb1EPKdPdPKlPlN2at6native12_GLOBAL__N_18offset_tEEE10hipError_tPvRmT1_PNSt15iterator_traitsISY_E10value_typeET2_T3_PNSZ_IS14_E10value_typeET4_jRbjT5_S1A_jjP12ihipStream_tbEUljE_EEESV_SW_SX_S14_S18_S1A_T6_T7_T9_mT8_S1C_bDpT10_ENKUlT_T0_E_clISt17integral_constantIbLb1EES1P_EEDaS1K_S1L_EUlS1K_E_NS1_11comp_targetILNS1_3genE9ELNS1_11target_archE1100ELNS1_3gpuE3ELNS1_3repE0EEENS1_30default_config_static_selectorELNS0_4arch9wavefront6targetE1EEEvSY_,comdat
	.globl	_ZN7rocprim17ROCPRIM_400000_NS6detail17trampoline_kernelINS0_13select_configILj256ELj13ELNS0_17block_load_methodE3ELS4_3ELS4_3ELNS0_20block_scan_algorithmE0ELj4294967295EEENS1_25partition_config_selectorILNS1_17partition_subalgoE3EjNS0_10empty_typeEbEEZZNS1_14partition_implILS8_3ELb0ES6_jNS0_17counting_iteratorIjlEEPS9_SE_NS0_5tupleIJPjSE_EEENSF_IJSE_SE_EEES9_SG_JZNS1_25segmented_radix_sort_implINS0_14default_configELb1EPKdPdPKlPlN2at6native12_GLOBAL__N_18offset_tEEE10hipError_tPvRmT1_PNSt15iterator_traitsISY_E10value_typeET2_T3_PNSZ_IS14_E10value_typeET4_jRbjT5_S1A_jjP12ihipStream_tbEUljE_EEESV_SW_SX_S14_S18_S1A_T6_T7_T9_mT8_S1C_bDpT10_ENKUlT_T0_E_clISt17integral_constantIbLb1EES1P_EEDaS1K_S1L_EUlS1K_E_NS1_11comp_targetILNS1_3genE9ELNS1_11target_archE1100ELNS1_3gpuE3ELNS1_3repE0EEENS1_30default_config_static_selectorELNS0_4arch9wavefront6targetE1EEEvSY_ ; -- Begin function _ZN7rocprim17ROCPRIM_400000_NS6detail17trampoline_kernelINS0_13select_configILj256ELj13ELNS0_17block_load_methodE3ELS4_3ELS4_3ELNS0_20block_scan_algorithmE0ELj4294967295EEENS1_25partition_config_selectorILNS1_17partition_subalgoE3EjNS0_10empty_typeEbEEZZNS1_14partition_implILS8_3ELb0ES6_jNS0_17counting_iteratorIjlEEPS9_SE_NS0_5tupleIJPjSE_EEENSF_IJSE_SE_EEES9_SG_JZNS1_25segmented_radix_sort_implINS0_14default_configELb1EPKdPdPKlPlN2at6native12_GLOBAL__N_18offset_tEEE10hipError_tPvRmT1_PNSt15iterator_traitsISY_E10value_typeET2_T3_PNSZ_IS14_E10value_typeET4_jRbjT5_S1A_jjP12ihipStream_tbEUljE_EEESV_SW_SX_S14_S18_S1A_T6_T7_T9_mT8_S1C_bDpT10_ENKUlT_T0_E_clISt17integral_constantIbLb1EES1P_EEDaS1K_S1L_EUlS1K_E_NS1_11comp_targetILNS1_3genE9ELNS1_11target_archE1100ELNS1_3gpuE3ELNS1_3repE0EEENS1_30default_config_static_selectorELNS0_4arch9wavefront6targetE1EEEvSY_
	.p2align	8
	.type	_ZN7rocprim17ROCPRIM_400000_NS6detail17trampoline_kernelINS0_13select_configILj256ELj13ELNS0_17block_load_methodE3ELS4_3ELS4_3ELNS0_20block_scan_algorithmE0ELj4294967295EEENS1_25partition_config_selectorILNS1_17partition_subalgoE3EjNS0_10empty_typeEbEEZZNS1_14partition_implILS8_3ELb0ES6_jNS0_17counting_iteratorIjlEEPS9_SE_NS0_5tupleIJPjSE_EEENSF_IJSE_SE_EEES9_SG_JZNS1_25segmented_radix_sort_implINS0_14default_configELb1EPKdPdPKlPlN2at6native12_GLOBAL__N_18offset_tEEE10hipError_tPvRmT1_PNSt15iterator_traitsISY_E10value_typeET2_T3_PNSZ_IS14_E10value_typeET4_jRbjT5_S1A_jjP12ihipStream_tbEUljE_EEESV_SW_SX_S14_S18_S1A_T6_T7_T9_mT8_S1C_bDpT10_ENKUlT_T0_E_clISt17integral_constantIbLb1EES1P_EEDaS1K_S1L_EUlS1K_E_NS1_11comp_targetILNS1_3genE9ELNS1_11target_archE1100ELNS1_3gpuE3ELNS1_3repE0EEENS1_30default_config_static_selectorELNS0_4arch9wavefront6targetE1EEEvSY_,@function
_ZN7rocprim17ROCPRIM_400000_NS6detail17trampoline_kernelINS0_13select_configILj256ELj13ELNS0_17block_load_methodE3ELS4_3ELS4_3ELNS0_20block_scan_algorithmE0ELj4294967295EEENS1_25partition_config_selectorILNS1_17partition_subalgoE3EjNS0_10empty_typeEbEEZZNS1_14partition_implILS8_3ELb0ES6_jNS0_17counting_iteratorIjlEEPS9_SE_NS0_5tupleIJPjSE_EEENSF_IJSE_SE_EEES9_SG_JZNS1_25segmented_radix_sort_implINS0_14default_configELb1EPKdPdPKlPlN2at6native12_GLOBAL__N_18offset_tEEE10hipError_tPvRmT1_PNSt15iterator_traitsISY_E10value_typeET2_T3_PNSZ_IS14_E10value_typeET4_jRbjT5_S1A_jjP12ihipStream_tbEUljE_EEESV_SW_SX_S14_S18_S1A_T6_T7_T9_mT8_S1C_bDpT10_ENKUlT_T0_E_clISt17integral_constantIbLb1EES1P_EEDaS1K_S1L_EUlS1K_E_NS1_11comp_targetILNS1_3genE9ELNS1_11target_archE1100ELNS1_3gpuE3ELNS1_3repE0EEENS1_30default_config_static_selectorELNS0_4arch9wavefront6targetE1EEEvSY_: ; @_ZN7rocprim17ROCPRIM_400000_NS6detail17trampoline_kernelINS0_13select_configILj256ELj13ELNS0_17block_load_methodE3ELS4_3ELS4_3ELNS0_20block_scan_algorithmE0ELj4294967295EEENS1_25partition_config_selectorILNS1_17partition_subalgoE3EjNS0_10empty_typeEbEEZZNS1_14partition_implILS8_3ELb0ES6_jNS0_17counting_iteratorIjlEEPS9_SE_NS0_5tupleIJPjSE_EEENSF_IJSE_SE_EEES9_SG_JZNS1_25segmented_radix_sort_implINS0_14default_configELb1EPKdPdPKlPlN2at6native12_GLOBAL__N_18offset_tEEE10hipError_tPvRmT1_PNSt15iterator_traitsISY_E10value_typeET2_T3_PNSZ_IS14_E10value_typeET4_jRbjT5_S1A_jjP12ihipStream_tbEUljE_EEESV_SW_SX_S14_S18_S1A_T6_T7_T9_mT8_S1C_bDpT10_ENKUlT_T0_E_clISt17integral_constantIbLb1EES1P_EEDaS1K_S1L_EUlS1K_E_NS1_11comp_targetILNS1_3genE9ELNS1_11target_archE1100ELNS1_3gpuE3ELNS1_3repE0EEENS1_30default_config_static_selectorELNS0_4arch9wavefront6targetE1EEEvSY_
; %bb.0:
	.section	.rodata,"a",@progbits
	.p2align	6, 0x0
	.amdhsa_kernel _ZN7rocprim17ROCPRIM_400000_NS6detail17trampoline_kernelINS0_13select_configILj256ELj13ELNS0_17block_load_methodE3ELS4_3ELS4_3ELNS0_20block_scan_algorithmE0ELj4294967295EEENS1_25partition_config_selectorILNS1_17partition_subalgoE3EjNS0_10empty_typeEbEEZZNS1_14partition_implILS8_3ELb0ES6_jNS0_17counting_iteratorIjlEEPS9_SE_NS0_5tupleIJPjSE_EEENSF_IJSE_SE_EEES9_SG_JZNS1_25segmented_radix_sort_implINS0_14default_configELb1EPKdPdPKlPlN2at6native12_GLOBAL__N_18offset_tEEE10hipError_tPvRmT1_PNSt15iterator_traitsISY_E10value_typeET2_T3_PNSZ_IS14_E10value_typeET4_jRbjT5_S1A_jjP12ihipStream_tbEUljE_EEESV_SW_SX_S14_S18_S1A_T6_T7_T9_mT8_S1C_bDpT10_ENKUlT_T0_E_clISt17integral_constantIbLb1EES1P_EEDaS1K_S1L_EUlS1K_E_NS1_11comp_targetILNS1_3genE9ELNS1_11target_archE1100ELNS1_3gpuE3ELNS1_3repE0EEENS1_30default_config_static_selectorELNS0_4arch9wavefront6targetE1EEEvSY_
		.amdhsa_group_segment_fixed_size 0
		.amdhsa_private_segment_fixed_size 0
		.amdhsa_kernarg_size 152
		.amdhsa_user_sgpr_count 6
		.amdhsa_user_sgpr_private_segment_buffer 1
		.amdhsa_user_sgpr_dispatch_ptr 0
		.amdhsa_user_sgpr_queue_ptr 0
		.amdhsa_user_sgpr_kernarg_segment_ptr 1
		.amdhsa_user_sgpr_dispatch_id 0
		.amdhsa_user_sgpr_flat_scratch_init 0
		.amdhsa_user_sgpr_private_segment_size 0
		.amdhsa_uses_dynamic_stack 0
		.amdhsa_system_sgpr_private_segment_wavefront_offset 0
		.amdhsa_system_sgpr_workgroup_id_x 1
		.amdhsa_system_sgpr_workgroup_id_y 0
		.amdhsa_system_sgpr_workgroup_id_z 0
		.amdhsa_system_sgpr_workgroup_info 0
		.amdhsa_system_vgpr_workitem_id 0
		.amdhsa_next_free_vgpr 1
		.amdhsa_next_free_sgpr 0
		.amdhsa_reserve_vcc 0
		.amdhsa_reserve_flat_scratch 0
		.amdhsa_float_round_mode_32 0
		.amdhsa_float_round_mode_16_64 0
		.amdhsa_float_denorm_mode_32 3
		.amdhsa_float_denorm_mode_16_64 3
		.amdhsa_dx10_clamp 1
		.amdhsa_ieee_mode 1
		.amdhsa_fp16_overflow 0
		.amdhsa_exception_fp_ieee_invalid_op 0
		.amdhsa_exception_fp_denorm_src 0
		.amdhsa_exception_fp_ieee_div_zero 0
		.amdhsa_exception_fp_ieee_overflow 0
		.amdhsa_exception_fp_ieee_underflow 0
		.amdhsa_exception_fp_ieee_inexact 0
		.amdhsa_exception_int_div_zero 0
	.end_amdhsa_kernel
	.section	.text._ZN7rocprim17ROCPRIM_400000_NS6detail17trampoline_kernelINS0_13select_configILj256ELj13ELNS0_17block_load_methodE3ELS4_3ELS4_3ELNS0_20block_scan_algorithmE0ELj4294967295EEENS1_25partition_config_selectorILNS1_17partition_subalgoE3EjNS0_10empty_typeEbEEZZNS1_14partition_implILS8_3ELb0ES6_jNS0_17counting_iteratorIjlEEPS9_SE_NS0_5tupleIJPjSE_EEENSF_IJSE_SE_EEES9_SG_JZNS1_25segmented_radix_sort_implINS0_14default_configELb1EPKdPdPKlPlN2at6native12_GLOBAL__N_18offset_tEEE10hipError_tPvRmT1_PNSt15iterator_traitsISY_E10value_typeET2_T3_PNSZ_IS14_E10value_typeET4_jRbjT5_S1A_jjP12ihipStream_tbEUljE_EEESV_SW_SX_S14_S18_S1A_T6_T7_T9_mT8_S1C_bDpT10_ENKUlT_T0_E_clISt17integral_constantIbLb1EES1P_EEDaS1K_S1L_EUlS1K_E_NS1_11comp_targetILNS1_3genE9ELNS1_11target_archE1100ELNS1_3gpuE3ELNS1_3repE0EEENS1_30default_config_static_selectorELNS0_4arch9wavefront6targetE1EEEvSY_,"axG",@progbits,_ZN7rocprim17ROCPRIM_400000_NS6detail17trampoline_kernelINS0_13select_configILj256ELj13ELNS0_17block_load_methodE3ELS4_3ELS4_3ELNS0_20block_scan_algorithmE0ELj4294967295EEENS1_25partition_config_selectorILNS1_17partition_subalgoE3EjNS0_10empty_typeEbEEZZNS1_14partition_implILS8_3ELb0ES6_jNS0_17counting_iteratorIjlEEPS9_SE_NS0_5tupleIJPjSE_EEENSF_IJSE_SE_EEES9_SG_JZNS1_25segmented_radix_sort_implINS0_14default_configELb1EPKdPdPKlPlN2at6native12_GLOBAL__N_18offset_tEEE10hipError_tPvRmT1_PNSt15iterator_traitsISY_E10value_typeET2_T3_PNSZ_IS14_E10value_typeET4_jRbjT5_S1A_jjP12ihipStream_tbEUljE_EEESV_SW_SX_S14_S18_S1A_T6_T7_T9_mT8_S1C_bDpT10_ENKUlT_T0_E_clISt17integral_constantIbLb1EES1P_EEDaS1K_S1L_EUlS1K_E_NS1_11comp_targetILNS1_3genE9ELNS1_11target_archE1100ELNS1_3gpuE3ELNS1_3repE0EEENS1_30default_config_static_selectorELNS0_4arch9wavefront6targetE1EEEvSY_,comdat
.Lfunc_end1100:
	.size	_ZN7rocprim17ROCPRIM_400000_NS6detail17trampoline_kernelINS0_13select_configILj256ELj13ELNS0_17block_load_methodE3ELS4_3ELS4_3ELNS0_20block_scan_algorithmE0ELj4294967295EEENS1_25partition_config_selectorILNS1_17partition_subalgoE3EjNS0_10empty_typeEbEEZZNS1_14partition_implILS8_3ELb0ES6_jNS0_17counting_iteratorIjlEEPS9_SE_NS0_5tupleIJPjSE_EEENSF_IJSE_SE_EEES9_SG_JZNS1_25segmented_radix_sort_implINS0_14default_configELb1EPKdPdPKlPlN2at6native12_GLOBAL__N_18offset_tEEE10hipError_tPvRmT1_PNSt15iterator_traitsISY_E10value_typeET2_T3_PNSZ_IS14_E10value_typeET4_jRbjT5_S1A_jjP12ihipStream_tbEUljE_EEESV_SW_SX_S14_S18_S1A_T6_T7_T9_mT8_S1C_bDpT10_ENKUlT_T0_E_clISt17integral_constantIbLb1EES1P_EEDaS1K_S1L_EUlS1K_E_NS1_11comp_targetILNS1_3genE9ELNS1_11target_archE1100ELNS1_3gpuE3ELNS1_3repE0EEENS1_30default_config_static_selectorELNS0_4arch9wavefront6targetE1EEEvSY_, .Lfunc_end1100-_ZN7rocprim17ROCPRIM_400000_NS6detail17trampoline_kernelINS0_13select_configILj256ELj13ELNS0_17block_load_methodE3ELS4_3ELS4_3ELNS0_20block_scan_algorithmE0ELj4294967295EEENS1_25partition_config_selectorILNS1_17partition_subalgoE3EjNS0_10empty_typeEbEEZZNS1_14partition_implILS8_3ELb0ES6_jNS0_17counting_iteratorIjlEEPS9_SE_NS0_5tupleIJPjSE_EEENSF_IJSE_SE_EEES9_SG_JZNS1_25segmented_radix_sort_implINS0_14default_configELb1EPKdPdPKlPlN2at6native12_GLOBAL__N_18offset_tEEE10hipError_tPvRmT1_PNSt15iterator_traitsISY_E10value_typeET2_T3_PNSZ_IS14_E10value_typeET4_jRbjT5_S1A_jjP12ihipStream_tbEUljE_EEESV_SW_SX_S14_S18_S1A_T6_T7_T9_mT8_S1C_bDpT10_ENKUlT_T0_E_clISt17integral_constantIbLb1EES1P_EEDaS1K_S1L_EUlS1K_E_NS1_11comp_targetILNS1_3genE9ELNS1_11target_archE1100ELNS1_3gpuE3ELNS1_3repE0EEENS1_30default_config_static_selectorELNS0_4arch9wavefront6targetE1EEEvSY_
                                        ; -- End function
	.set _ZN7rocprim17ROCPRIM_400000_NS6detail17trampoline_kernelINS0_13select_configILj256ELj13ELNS0_17block_load_methodE3ELS4_3ELS4_3ELNS0_20block_scan_algorithmE0ELj4294967295EEENS1_25partition_config_selectorILNS1_17partition_subalgoE3EjNS0_10empty_typeEbEEZZNS1_14partition_implILS8_3ELb0ES6_jNS0_17counting_iteratorIjlEEPS9_SE_NS0_5tupleIJPjSE_EEENSF_IJSE_SE_EEES9_SG_JZNS1_25segmented_radix_sort_implINS0_14default_configELb1EPKdPdPKlPlN2at6native12_GLOBAL__N_18offset_tEEE10hipError_tPvRmT1_PNSt15iterator_traitsISY_E10value_typeET2_T3_PNSZ_IS14_E10value_typeET4_jRbjT5_S1A_jjP12ihipStream_tbEUljE_EEESV_SW_SX_S14_S18_S1A_T6_T7_T9_mT8_S1C_bDpT10_ENKUlT_T0_E_clISt17integral_constantIbLb1EES1P_EEDaS1K_S1L_EUlS1K_E_NS1_11comp_targetILNS1_3genE9ELNS1_11target_archE1100ELNS1_3gpuE3ELNS1_3repE0EEENS1_30default_config_static_selectorELNS0_4arch9wavefront6targetE1EEEvSY_.num_vgpr, 0
	.set _ZN7rocprim17ROCPRIM_400000_NS6detail17trampoline_kernelINS0_13select_configILj256ELj13ELNS0_17block_load_methodE3ELS4_3ELS4_3ELNS0_20block_scan_algorithmE0ELj4294967295EEENS1_25partition_config_selectorILNS1_17partition_subalgoE3EjNS0_10empty_typeEbEEZZNS1_14partition_implILS8_3ELb0ES6_jNS0_17counting_iteratorIjlEEPS9_SE_NS0_5tupleIJPjSE_EEENSF_IJSE_SE_EEES9_SG_JZNS1_25segmented_radix_sort_implINS0_14default_configELb1EPKdPdPKlPlN2at6native12_GLOBAL__N_18offset_tEEE10hipError_tPvRmT1_PNSt15iterator_traitsISY_E10value_typeET2_T3_PNSZ_IS14_E10value_typeET4_jRbjT5_S1A_jjP12ihipStream_tbEUljE_EEESV_SW_SX_S14_S18_S1A_T6_T7_T9_mT8_S1C_bDpT10_ENKUlT_T0_E_clISt17integral_constantIbLb1EES1P_EEDaS1K_S1L_EUlS1K_E_NS1_11comp_targetILNS1_3genE9ELNS1_11target_archE1100ELNS1_3gpuE3ELNS1_3repE0EEENS1_30default_config_static_selectorELNS0_4arch9wavefront6targetE1EEEvSY_.num_agpr, 0
	.set _ZN7rocprim17ROCPRIM_400000_NS6detail17trampoline_kernelINS0_13select_configILj256ELj13ELNS0_17block_load_methodE3ELS4_3ELS4_3ELNS0_20block_scan_algorithmE0ELj4294967295EEENS1_25partition_config_selectorILNS1_17partition_subalgoE3EjNS0_10empty_typeEbEEZZNS1_14partition_implILS8_3ELb0ES6_jNS0_17counting_iteratorIjlEEPS9_SE_NS0_5tupleIJPjSE_EEENSF_IJSE_SE_EEES9_SG_JZNS1_25segmented_radix_sort_implINS0_14default_configELb1EPKdPdPKlPlN2at6native12_GLOBAL__N_18offset_tEEE10hipError_tPvRmT1_PNSt15iterator_traitsISY_E10value_typeET2_T3_PNSZ_IS14_E10value_typeET4_jRbjT5_S1A_jjP12ihipStream_tbEUljE_EEESV_SW_SX_S14_S18_S1A_T6_T7_T9_mT8_S1C_bDpT10_ENKUlT_T0_E_clISt17integral_constantIbLb1EES1P_EEDaS1K_S1L_EUlS1K_E_NS1_11comp_targetILNS1_3genE9ELNS1_11target_archE1100ELNS1_3gpuE3ELNS1_3repE0EEENS1_30default_config_static_selectorELNS0_4arch9wavefront6targetE1EEEvSY_.numbered_sgpr, 0
	.set _ZN7rocprim17ROCPRIM_400000_NS6detail17trampoline_kernelINS0_13select_configILj256ELj13ELNS0_17block_load_methodE3ELS4_3ELS4_3ELNS0_20block_scan_algorithmE0ELj4294967295EEENS1_25partition_config_selectorILNS1_17partition_subalgoE3EjNS0_10empty_typeEbEEZZNS1_14partition_implILS8_3ELb0ES6_jNS0_17counting_iteratorIjlEEPS9_SE_NS0_5tupleIJPjSE_EEENSF_IJSE_SE_EEES9_SG_JZNS1_25segmented_radix_sort_implINS0_14default_configELb1EPKdPdPKlPlN2at6native12_GLOBAL__N_18offset_tEEE10hipError_tPvRmT1_PNSt15iterator_traitsISY_E10value_typeET2_T3_PNSZ_IS14_E10value_typeET4_jRbjT5_S1A_jjP12ihipStream_tbEUljE_EEESV_SW_SX_S14_S18_S1A_T6_T7_T9_mT8_S1C_bDpT10_ENKUlT_T0_E_clISt17integral_constantIbLb1EES1P_EEDaS1K_S1L_EUlS1K_E_NS1_11comp_targetILNS1_3genE9ELNS1_11target_archE1100ELNS1_3gpuE3ELNS1_3repE0EEENS1_30default_config_static_selectorELNS0_4arch9wavefront6targetE1EEEvSY_.num_named_barrier, 0
	.set _ZN7rocprim17ROCPRIM_400000_NS6detail17trampoline_kernelINS0_13select_configILj256ELj13ELNS0_17block_load_methodE3ELS4_3ELS4_3ELNS0_20block_scan_algorithmE0ELj4294967295EEENS1_25partition_config_selectorILNS1_17partition_subalgoE3EjNS0_10empty_typeEbEEZZNS1_14partition_implILS8_3ELb0ES6_jNS0_17counting_iteratorIjlEEPS9_SE_NS0_5tupleIJPjSE_EEENSF_IJSE_SE_EEES9_SG_JZNS1_25segmented_radix_sort_implINS0_14default_configELb1EPKdPdPKlPlN2at6native12_GLOBAL__N_18offset_tEEE10hipError_tPvRmT1_PNSt15iterator_traitsISY_E10value_typeET2_T3_PNSZ_IS14_E10value_typeET4_jRbjT5_S1A_jjP12ihipStream_tbEUljE_EEESV_SW_SX_S14_S18_S1A_T6_T7_T9_mT8_S1C_bDpT10_ENKUlT_T0_E_clISt17integral_constantIbLb1EES1P_EEDaS1K_S1L_EUlS1K_E_NS1_11comp_targetILNS1_3genE9ELNS1_11target_archE1100ELNS1_3gpuE3ELNS1_3repE0EEENS1_30default_config_static_selectorELNS0_4arch9wavefront6targetE1EEEvSY_.private_seg_size, 0
	.set _ZN7rocprim17ROCPRIM_400000_NS6detail17trampoline_kernelINS0_13select_configILj256ELj13ELNS0_17block_load_methodE3ELS4_3ELS4_3ELNS0_20block_scan_algorithmE0ELj4294967295EEENS1_25partition_config_selectorILNS1_17partition_subalgoE3EjNS0_10empty_typeEbEEZZNS1_14partition_implILS8_3ELb0ES6_jNS0_17counting_iteratorIjlEEPS9_SE_NS0_5tupleIJPjSE_EEENSF_IJSE_SE_EEES9_SG_JZNS1_25segmented_radix_sort_implINS0_14default_configELb1EPKdPdPKlPlN2at6native12_GLOBAL__N_18offset_tEEE10hipError_tPvRmT1_PNSt15iterator_traitsISY_E10value_typeET2_T3_PNSZ_IS14_E10value_typeET4_jRbjT5_S1A_jjP12ihipStream_tbEUljE_EEESV_SW_SX_S14_S18_S1A_T6_T7_T9_mT8_S1C_bDpT10_ENKUlT_T0_E_clISt17integral_constantIbLb1EES1P_EEDaS1K_S1L_EUlS1K_E_NS1_11comp_targetILNS1_3genE9ELNS1_11target_archE1100ELNS1_3gpuE3ELNS1_3repE0EEENS1_30default_config_static_selectorELNS0_4arch9wavefront6targetE1EEEvSY_.uses_vcc, 0
	.set _ZN7rocprim17ROCPRIM_400000_NS6detail17trampoline_kernelINS0_13select_configILj256ELj13ELNS0_17block_load_methodE3ELS4_3ELS4_3ELNS0_20block_scan_algorithmE0ELj4294967295EEENS1_25partition_config_selectorILNS1_17partition_subalgoE3EjNS0_10empty_typeEbEEZZNS1_14partition_implILS8_3ELb0ES6_jNS0_17counting_iteratorIjlEEPS9_SE_NS0_5tupleIJPjSE_EEENSF_IJSE_SE_EEES9_SG_JZNS1_25segmented_radix_sort_implINS0_14default_configELb1EPKdPdPKlPlN2at6native12_GLOBAL__N_18offset_tEEE10hipError_tPvRmT1_PNSt15iterator_traitsISY_E10value_typeET2_T3_PNSZ_IS14_E10value_typeET4_jRbjT5_S1A_jjP12ihipStream_tbEUljE_EEESV_SW_SX_S14_S18_S1A_T6_T7_T9_mT8_S1C_bDpT10_ENKUlT_T0_E_clISt17integral_constantIbLb1EES1P_EEDaS1K_S1L_EUlS1K_E_NS1_11comp_targetILNS1_3genE9ELNS1_11target_archE1100ELNS1_3gpuE3ELNS1_3repE0EEENS1_30default_config_static_selectorELNS0_4arch9wavefront6targetE1EEEvSY_.uses_flat_scratch, 0
	.set _ZN7rocprim17ROCPRIM_400000_NS6detail17trampoline_kernelINS0_13select_configILj256ELj13ELNS0_17block_load_methodE3ELS4_3ELS4_3ELNS0_20block_scan_algorithmE0ELj4294967295EEENS1_25partition_config_selectorILNS1_17partition_subalgoE3EjNS0_10empty_typeEbEEZZNS1_14partition_implILS8_3ELb0ES6_jNS0_17counting_iteratorIjlEEPS9_SE_NS0_5tupleIJPjSE_EEENSF_IJSE_SE_EEES9_SG_JZNS1_25segmented_radix_sort_implINS0_14default_configELb1EPKdPdPKlPlN2at6native12_GLOBAL__N_18offset_tEEE10hipError_tPvRmT1_PNSt15iterator_traitsISY_E10value_typeET2_T3_PNSZ_IS14_E10value_typeET4_jRbjT5_S1A_jjP12ihipStream_tbEUljE_EEESV_SW_SX_S14_S18_S1A_T6_T7_T9_mT8_S1C_bDpT10_ENKUlT_T0_E_clISt17integral_constantIbLb1EES1P_EEDaS1K_S1L_EUlS1K_E_NS1_11comp_targetILNS1_3genE9ELNS1_11target_archE1100ELNS1_3gpuE3ELNS1_3repE0EEENS1_30default_config_static_selectorELNS0_4arch9wavefront6targetE1EEEvSY_.has_dyn_sized_stack, 0
	.set _ZN7rocprim17ROCPRIM_400000_NS6detail17trampoline_kernelINS0_13select_configILj256ELj13ELNS0_17block_load_methodE3ELS4_3ELS4_3ELNS0_20block_scan_algorithmE0ELj4294967295EEENS1_25partition_config_selectorILNS1_17partition_subalgoE3EjNS0_10empty_typeEbEEZZNS1_14partition_implILS8_3ELb0ES6_jNS0_17counting_iteratorIjlEEPS9_SE_NS0_5tupleIJPjSE_EEENSF_IJSE_SE_EEES9_SG_JZNS1_25segmented_radix_sort_implINS0_14default_configELb1EPKdPdPKlPlN2at6native12_GLOBAL__N_18offset_tEEE10hipError_tPvRmT1_PNSt15iterator_traitsISY_E10value_typeET2_T3_PNSZ_IS14_E10value_typeET4_jRbjT5_S1A_jjP12ihipStream_tbEUljE_EEESV_SW_SX_S14_S18_S1A_T6_T7_T9_mT8_S1C_bDpT10_ENKUlT_T0_E_clISt17integral_constantIbLb1EES1P_EEDaS1K_S1L_EUlS1K_E_NS1_11comp_targetILNS1_3genE9ELNS1_11target_archE1100ELNS1_3gpuE3ELNS1_3repE0EEENS1_30default_config_static_selectorELNS0_4arch9wavefront6targetE1EEEvSY_.has_recursion, 0
	.set _ZN7rocprim17ROCPRIM_400000_NS6detail17trampoline_kernelINS0_13select_configILj256ELj13ELNS0_17block_load_methodE3ELS4_3ELS4_3ELNS0_20block_scan_algorithmE0ELj4294967295EEENS1_25partition_config_selectorILNS1_17partition_subalgoE3EjNS0_10empty_typeEbEEZZNS1_14partition_implILS8_3ELb0ES6_jNS0_17counting_iteratorIjlEEPS9_SE_NS0_5tupleIJPjSE_EEENSF_IJSE_SE_EEES9_SG_JZNS1_25segmented_radix_sort_implINS0_14default_configELb1EPKdPdPKlPlN2at6native12_GLOBAL__N_18offset_tEEE10hipError_tPvRmT1_PNSt15iterator_traitsISY_E10value_typeET2_T3_PNSZ_IS14_E10value_typeET4_jRbjT5_S1A_jjP12ihipStream_tbEUljE_EEESV_SW_SX_S14_S18_S1A_T6_T7_T9_mT8_S1C_bDpT10_ENKUlT_T0_E_clISt17integral_constantIbLb1EES1P_EEDaS1K_S1L_EUlS1K_E_NS1_11comp_targetILNS1_3genE9ELNS1_11target_archE1100ELNS1_3gpuE3ELNS1_3repE0EEENS1_30default_config_static_selectorELNS0_4arch9wavefront6targetE1EEEvSY_.has_indirect_call, 0
	.section	.AMDGPU.csdata,"",@progbits
; Kernel info:
; codeLenInByte = 0
; TotalNumSgprs: 4
; NumVgprs: 0
; ScratchSize: 0
; MemoryBound: 0
; FloatMode: 240
; IeeeMode: 1
; LDSByteSize: 0 bytes/workgroup (compile time only)
; SGPRBlocks: 0
; VGPRBlocks: 0
; NumSGPRsForWavesPerEU: 4
; NumVGPRsForWavesPerEU: 1
; Occupancy: 10
; WaveLimiterHint : 0
; COMPUTE_PGM_RSRC2:SCRATCH_EN: 0
; COMPUTE_PGM_RSRC2:USER_SGPR: 6
; COMPUTE_PGM_RSRC2:TRAP_HANDLER: 0
; COMPUTE_PGM_RSRC2:TGID_X_EN: 1
; COMPUTE_PGM_RSRC2:TGID_Y_EN: 0
; COMPUTE_PGM_RSRC2:TGID_Z_EN: 0
; COMPUTE_PGM_RSRC2:TIDIG_COMP_CNT: 0
	.section	.text._ZN7rocprim17ROCPRIM_400000_NS6detail17trampoline_kernelINS0_13select_configILj256ELj13ELNS0_17block_load_methodE3ELS4_3ELS4_3ELNS0_20block_scan_algorithmE0ELj4294967295EEENS1_25partition_config_selectorILNS1_17partition_subalgoE3EjNS0_10empty_typeEbEEZZNS1_14partition_implILS8_3ELb0ES6_jNS0_17counting_iteratorIjlEEPS9_SE_NS0_5tupleIJPjSE_EEENSF_IJSE_SE_EEES9_SG_JZNS1_25segmented_radix_sort_implINS0_14default_configELb1EPKdPdPKlPlN2at6native12_GLOBAL__N_18offset_tEEE10hipError_tPvRmT1_PNSt15iterator_traitsISY_E10value_typeET2_T3_PNSZ_IS14_E10value_typeET4_jRbjT5_S1A_jjP12ihipStream_tbEUljE_EEESV_SW_SX_S14_S18_S1A_T6_T7_T9_mT8_S1C_bDpT10_ENKUlT_T0_E_clISt17integral_constantIbLb1EES1P_EEDaS1K_S1L_EUlS1K_E_NS1_11comp_targetILNS1_3genE8ELNS1_11target_archE1030ELNS1_3gpuE2ELNS1_3repE0EEENS1_30default_config_static_selectorELNS0_4arch9wavefront6targetE1EEEvSY_,"axG",@progbits,_ZN7rocprim17ROCPRIM_400000_NS6detail17trampoline_kernelINS0_13select_configILj256ELj13ELNS0_17block_load_methodE3ELS4_3ELS4_3ELNS0_20block_scan_algorithmE0ELj4294967295EEENS1_25partition_config_selectorILNS1_17partition_subalgoE3EjNS0_10empty_typeEbEEZZNS1_14partition_implILS8_3ELb0ES6_jNS0_17counting_iteratorIjlEEPS9_SE_NS0_5tupleIJPjSE_EEENSF_IJSE_SE_EEES9_SG_JZNS1_25segmented_radix_sort_implINS0_14default_configELb1EPKdPdPKlPlN2at6native12_GLOBAL__N_18offset_tEEE10hipError_tPvRmT1_PNSt15iterator_traitsISY_E10value_typeET2_T3_PNSZ_IS14_E10value_typeET4_jRbjT5_S1A_jjP12ihipStream_tbEUljE_EEESV_SW_SX_S14_S18_S1A_T6_T7_T9_mT8_S1C_bDpT10_ENKUlT_T0_E_clISt17integral_constantIbLb1EES1P_EEDaS1K_S1L_EUlS1K_E_NS1_11comp_targetILNS1_3genE8ELNS1_11target_archE1030ELNS1_3gpuE2ELNS1_3repE0EEENS1_30default_config_static_selectorELNS0_4arch9wavefront6targetE1EEEvSY_,comdat
	.globl	_ZN7rocprim17ROCPRIM_400000_NS6detail17trampoline_kernelINS0_13select_configILj256ELj13ELNS0_17block_load_methodE3ELS4_3ELS4_3ELNS0_20block_scan_algorithmE0ELj4294967295EEENS1_25partition_config_selectorILNS1_17partition_subalgoE3EjNS0_10empty_typeEbEEZZNS1_14partition_implILS8_3ELb0ES6_jNS0_17counting_iteratorIjlEEPS9_SE_NS0_5tupleIJPjSE_EEENSF_IJSE_SE_EEES9_SG_JZNS1_25segmented_radix_sort_implINS0_14default_configELb1EPKdPdPKlPlN2at6native12_GLOBAL__N_18offset_tEEE10hipError_tPvRmT1_PNSt15iterator_traitsISY_E10value_typeET2_T3_PNSZ_IS14_E10value_typeET4_jRbjT5_S1A_jjP12ihipStream_tbEUljE_EEESV_SW_SX_S14_S18_S1A_T6_T7_T9_mT8_S1C_bDpT10_ENKUlT_T0_E_clISt17integral_constantIbLb1EES1P_EEDaS1K_S1L_EUlS1K_E_NS1_11comp_targetILNS1_3genE8ELNS1_11target_archE1030ELNS1_3gpuE2ELNS1_3repE0EEENS1_30default_config_static_selectorELNS0_4arch9wavefront6targetE1EEEvSY_ ; -- Begin function _ZN7rocprim17ROCPRIM_400000_NS6detail17trampoline_kernelINS0_13select_configILj256ELj13ELNS0_17block_load_methodE3ELS4_3ELS4_3ELNS0_20block_scan_algorithmE0ELj4294967295EEENS1_25partition_config_selectorILNS1_17partition_subalgoE3EjNS0_10empty_typeEbEEZZNS1_14partition_implILS8_3ELb0ES6_jNS0_17counting_iteratorIjlEEPS9_SE_NS0_5tupleIJPjSE_EEENSF_IJSE_SE_EEES9_SG_JZNS1_25segmented_radix_sort_implINS0_14default_configELb1EPKdPdPKlPlN2at6native12_GLOBAL__N_18offset_tEEE10hipError_tPvRmT1_PNSt15iterator_traitsISY_E10value_typeET2_T3_PNSZ_IS14_E10value_typeET4_jRbjT5_S1A_jjP12ihipStream_tbEUljE_EEESV_SW_SX_S14_S18_S1A_T6_T7_T9_mT8_S1C_bDpT10_ENKUlT_T0_E_clISt17integral_constantIbLb1EES1P_EEDaS1K_S1L_EUlS1K_E_NS1_11comp_targetILNS1_3genE8ELNS1_11target_archE1030ELNS1_3gpuE2ELNS1_3repE0EEENS1_30default_config_static_selectorELNS0_4arch9wavefront6targetE1EEEvSY_
	.p2align	8
	.type	_ZN7rocprim17ROCPRIM_400000_NS6detail17trampoline_kernelINS0_13select_configILj256ELj13ELNS0_17block_load_methodE3ELS4_3ELS4_3ELNS0_20block_scan_algorithmE0ELj4294967295EEENS1_25partition_config_selectorILNS1_17partition_subalgoE3EjNS0_10empty_typeEbEEZZNS1_14partition_implILS8_3ELb0ES6_jNS0_17counting_iteratorIjlEEPS9_SE_NS0_5tupleIJPjSE_EEENSF_IJSE_SE_EEES9_SG_JZNS1_25segmented_radix_sort_implINS0_14default_configELb1EPKdPdPKlPlN2at6native12_GLOBAL__N_18offset_tEEE10hipError_tPvRmT1_PNSt15iterator_traitsISY_E10value_typeET2_T3_PNSZ_IS14_E10value_typeET4_jRbjT5_S1A_jjP12ihipStream_tbEUljE_EEESV_SW_SX_S14_S18_S1A_T6_T7_T9_mT8_S1C_bDpT10_ENKUlT_T0_E_clISt17integral_constantIbLb1EES1P_EEDaS1K_S1L_EUlS1K_E_NS1_11comp_targetILNS1_3genE8ELNS1_11target_archE1030ELNS1_3gpuE2ELNS1_3repE0EEENS1_30default_config_static_selectorELNS0_4arch9wavefront6targetE1EEEvSY_,@function
_ZN7rocprim17ROCPRIM_400000_NS6detail17trampoline_kernelINS0_13select_configILj256ELj13ELNS0_17block_load_methodE3ELS4_3ELS4_3ELNS0_20block_scan_algorithmE0ELj4294967295EEENS1_25partition_config_selectorILNS1_17partition_subalgoE3EjNS0_10empty_typeEbEEZZNS1_14partition_implILS8_3ELb0ES6_jNS0_17counting_iteratorIjlEEPS9_SE_NS0_5tupleIJPjSE_EEENSF_IJSE_SE_EEES9_SG_JZNS1_25segmented_radix_sort_implINS0_14default_configELb1EPKdPdPKlPlN2at6native12_GLOBAL__N_18offset_tEEE10hipError_tPvRmT1_PNSt15iterator_traitsISY_E10value_typeET2_T3_PNSZ_IS14_E10value_typeET4_jRbjT5_S1A_jjP12ihipStream_tbEUljE_EEESV_SW_SX_S14_S18_S1A_T6_T7_T9_mT8_S1C_bDpT10_ENKUlT_T0_E_clISt17integral_constantIbLb1EES1P_EEDaS1K_S1L_EUlS1K_E_NS1_11comp_targetILNS1_3genE8ELNS1_11target_archE1030ELNS1_3gpuE2ELNS1_3repE0EEENS1_30default_config_static_selectorELNS0_4arch9wavefront6targetE1EEEvSY_: ; @_ZN7rocprim17ROCPRIM_400000_NS6detail17trampoline_kernelINS0_13select_configILj256ELj13ELNS0_17block_load_methodE3ELS4_3ELS4_3ELNS0_20block_scan_algorithmE0ELj4294967295EEENS1_25partition_config_selectorILNS1_17partition_subalgoE3EjNS0_10empty_typeEbEEZZNS1_14partition_implILS8_3ELb0ES6_jNS0_17counting_iteratorIjlEEPS9_SE_NS0_5tupleIJPjSE_EEENSF_IJSE_SE_EEES9_SG_JZNS1_25segmented_radix_sort_implINS0_14default_configELb1EPKdPdPKlPlN2at6native12_GLOBAL__N_18offset_tEEE10hipError_tPvRmT1_PNSt15iterator_traitsISY_E10value_typeET2_T3_PNSZ_IS14_E10value_typeET4_jRbjT5_S1A_jjP12ihipStream_tbEUljE_EEESV_SW_SX_S14_S18_S1A_T6_T7_T9_mT8_S1C_bDpT10_ENKUlT_T0_E_clISt17integral_constantIbLb1EES1P_EEDaS1K_S1L_EUlS1K_E_NS1_11comp_targetILNS1_3genE8ELNS1_11target_archE1030ELNS1_3gpuE2ELNS1_3repE0EEENS1_30default_config_static_selectorELNS0_4arch9wavefront6targetE1EEEvSY_
; %bb.0:
	.section	.rodata,"a",@progbits
	.p2align	6, 0x0
	.amdhsa_kernel _ZN7rocprim17ROCPRIM_400000_NS6detail17trampoline_kernelINS0_13select_configILj256ELj13ELNS0_17block_load_methodE3ELS4_3ELS4_3ELNS0_20block_scan_algorithmE0ELj4294967295EEENS1_25partition_config_selectorILNS1_17partition_subalgoE3EjNS0_10empty_typeEbEEZZNS1_14partition_implILS8_3ELb0ES6_jNS0_17counting_iteratorIjlEEPS9_SE_NS0_5tupleIJPjSE_EEENSF_IJSE_SE_EEES9_SG_JZNS1_25segmented_radix_sort_implINS0_14default_configELb1EPKdPdPKlPlN2at6native12_GLOBAL__N_18offset_tEEE10hipError_tPvRmT1_PNSt15iterator_traitsISY_E10value_typeET2_T3_PNSZ_IS14_E10value_typeET4_jRbjT5_S1A_jjP12ihipStream_tbEUljE_EEESV_SW_SX_S14_S18_S1A_T6_T7_T9_mT8_S1C_bDpT10_ENKUlT_T0_E_clISt17integral_constantIbLb1EES1P_EEDaS1K_S1L_EUlS1K_E_NS1_11comp_targetILNS1_3genE8ELNS1_11target_archE1030ELNS1_3gpuE2ELNS1_3repE0EEENS1_30default_config_static_selectorELNS0_4arch9wavefront6targetE1EEEvSY_
		.amdhsa_group_segment_fixed_size 0
		.amdhsa_private_segment_fixed_size 0
		.amdhsa_kernarg_size 152
		.amdhsa_user_sgpr_count 6
		.amdhsa_user_sgpr_private_segment_buffer 1
		.amdhsa_user_sgpr_dispatch_ptr 0
		.amdhsa_user_sgpr_queue_ptr 0
		.amdhsa_user_sgpr_kernarg_segment_ptr 1
		.amdhsa_user_sgpr_dispatch_id 0
		.amdhsa_user_sgpr_flat_scratch_init 0
		.amdhsa_user_sgpr_private_segment_size 0
		.amdhsa_uses_dynamic_stack 0
		.amdhsa_system_sgpr_private_segment_wavefront_offset 0
		.amdhsa_system_sgpr_workgroup_id_x 1
		.amdhsa_system_sgpr_workgroup_id_y 0
		.amdhsa_system_sgpr_workgroup_id_z 0
		.amdhsa_system_sgpr_workgroup_info 0
		.amdhsa_system_vgpr_workitem_id 0
		.amdhsa_next_free_vgpr 1
		.amdhsa_next_free_sgpr 0
		.amdhsa_reserve_vcc 0
		.amdhsa_reserve_flat_scratch 0
		.amdhsa_float_round_mode_32 0
		.amdhsa_float_round_mode_16_64 0
		.amdhsa_float_denorm_mode_32 3
		.amdhsa_float_denorm_mode_16_64 3
		.amdhsa_dx10_clamp 1
		.amdhsa_ieee_mode 1
		.amdhsa_fp16_overflow 0
		.amdhsa_exception_fp_ieee_invalid_op 0
		.amdhsa_exception_fp_denorm_src 0
		.amdhsa_exception_fp_ieee_div_zero 0
		.amdhsa_exception_fp_ieee_overflow 0
		.amdhsa_exception_fp_ieee_underflow 0
		.amdhsa_exception_fp_ieee_inexact 0
		.amdhsa_exception_int_div_zero 0
	.end_amdhsa_kernel
	.section	.text._ZN7rocprim17ROCPRIM_400000_NS6detail17trampoline_kernelINS0_13select_configILj256ELj13ELNS0_17block_load_methodE3ELS4_3ELS4_3ELNS0_20block_scan_algorithmE0ELj4294967295EEENS1_25partition_config_selectorILNS1_17partition_subalgoE3EjNS0_10empty_typeEbEEZZNS1_14partition_implILS8_3ELb0ES6_jNS0_17counting_iteratorIjlEEPS9_SE_NS0_5tupleIJPjSE_EEENSF_IJSE_SE_EEES9_SG_JZNS1_25segmented_radix_sort_implINS0_14default_configELb1EPKdPdPKlPlN2at6native12_GLOBAL__N_18offset_tEEE10hipError_tPvRmT1_PNSt15iterator_traitsISY_E10value_typeET2_T3_PNSZ_IS14_E10value_typeET4_jRbjT5_S1A_jjP12ihipStream_tbEUljE_EEESV_SW_SX_S14_S18_S1A_T6_T7_T9_mT8_S1C_bDpT10_ENKUlT_T0_E_clISt17integral_constantIbLb1EES1P_EEDaS1K_S1L_EUlS1K_E_NS1_11comp_targetILNS1_3genE8ELNS1_11target_archE1030ELNS1_3gpuE2ELNS1_3repE0EEENS1_30default_config_static_selectorELNS0_4arch9wavefront6targetE1EEEvSY_,"axG",@progbits,_ZN7rocprim17ROCPRIM_400000_NS6detail17trampoline_kernelINS0_13select_configILj256ELj13ELNS0_17block_load_methodE3ELS4_3ELS4_3ELNS0_20block_scan_algorithmE0ELj4294967295EEENS1_25partition_config_selectorILNS1_17partition_subalgoE3EjNS0_10empty_typeEbEEZZNS1_14partition_implILS8_3ELb0ES6_jNS0_17counting_iteratorIjlEEPS9_SE_NS0_5tupleIJPjSE_EEENSF_IJSE_SE_EEES9_SG_JZNS1_25segmented_radix_sort_implINS0_14default_configELb1EPKdPdPKlPlN2at6native12_GLOBAL__N_18offset_tEEE10hipError_tPvRmT1_PNSt15iterator_traitsISY_E10value_typeET2_T3_PNSZ_IS14_E10value_typeET4_jRbjT5_S1A_jjP12ihipStream_tbEUljE_EEESV_SW_SX_S14_S18_S1A_T6_T7_T9_mT8_S1C_bDpT10_ENKUlT_T0_E_clISt17integral_constantIbLb1EES1P_EEDaS1K_S1L_EUlS1K_E_NS1_11comp_targetILNS1_3genE8ELNS1_11target_archE1030ELNS1_3gpuE2ELNS1_3repE0EEENS1_30default_config_static_selectorELNS0_4arch9wavefront6targetE1EEEvSY_,comdat
.Lfunc_end1101:
	.size	_ZN7rocprim17ROCPRIM_400000_NS6detail17trampoline_kernelINS0_13select_configILj256ELj13ELNS0_17block_load_methodE3ELS4_3ELS4_3ELNS0_20block_scan_algorithmE0ELj4294967295EEENS1_25partition_config_selectorILNS1_17partition_subalgoE3EjNS0_10empty_typeEbEEZZNS1_14partition_implILS8_3ELb0ES6_jNS0_17counting_iteratorIjlEEPS9_SE_NS0_5tupleIJPjSE_EEENSF_IJSE_SE_EEES9_SG_JZNS1_25segmented_radix_sort_implINS0_14default_configELb1EPKdPdPKlPlN2at6native12_GLOBAL__N_18offset_tEEE10hipError_tPvRmT1_PNSt15iterator_traitsISY_E10value_typeET2_T3_PNSZ_IS14_E10value_typeET4_jRbjT5_S1A_jjP12ihipStream_tbEUljE_EEESV_SW_SX_S14_S18_S1A_T6_T7_T9_mT8_S1C_bDpT10_ENKUlT_T0_E_clISt17integral_constantIbLb1EES1P_EEDaS1K_S1L_EUlS1K_E_NS1_11comp_targetILNS1_3genE8ELNS1_11target_archE1030ELNS1_3gpuE2ELNS1_3repE0EEENS1_30default_config_static_selectorELNS0_4arch9wavefront6targetE1EEEvSY_, .Lfunc_end1101-_ZN7rocprim17ROCPRIM_400000_NS6detail17trampoline_kernelINS0_13select_configILj256ELj13ELNS0_17block_load_methodE3ELS4_3ELS4_3ELNS0_20block_scan_algorithmE0ELj4294967295EEENS1_25partition_config_selectorILNS1_17partition_subalgoE3EjNS0_10empty_typeEbEEZZNS1_14partition_implILS8_3ELb0ES6_jNS0_17counting_iteratorIjlEEPS9_SE_NS0_5tupleIJPjSE_EEENSF_IJSE_SE_EEES9_SG_JZNS1_25segmented_radix_sort_implINS0_14default_configELb1EPKdPdPKlPlN2at6native12_GLOBAL__N_18offset_tEEE10hipError_tPvRmT1_PNSt15iterator_traitsISY_E10value_typeET2_T3_PNSZ_IS14_E10value_typeET4_jRbjT5_S1A_jjP12ihipStream_tbEUljE_EEESV_SW_SX_S14_S18_S1A_T6_T7_T9_mT8_S1C_bDpT10_ENKUlT_T0_E_clISt17integral_constantIbLb1EES1P_EEDaS1K_S1L_EUlS1K_E_NS1_11comp_targetILNS1_3genE8ELNS1_11target_archE1030ELNS1_3gpuE2ELNS1_3repE0EEENS1_30default_config_static_selectorELNS0_4arch9wavefront6targetE1EEEvSY_
                                        ; -- End function
	.set _ZN7rocprim17ROCPRIM_400000_NS6detail17trampoline_kernelINS0_13select_configILj256ELj13ELNS0_17block_load_methodE3ELS4_3ELS4_3ELNS0_20block_scan_algorithmE0ELj4294967295EEENS1_25partition_config_selectorILNS1_17partition_subalgoE3EjNS0_10empty_typeEbEEZZNS1_14partition_implILS8_3ELb0ES6_jNS0_17counting_iteratorIjlEEPS9_SE_NS0_5tupleIJPjSE_EEENSF_IJSE_SE_EEES9_SG_JZNS1_25segmented_radix_sort_implINS0_14default_configELb1EPKdPdPKlPlN2at6native12_GLOBAL__N_18offset_tEEE10hipError_tPvRmT1_PNSt15iterator_traitsISY_E10value_typeET2_T3_PNSZ_IS14_E10value_typeET4_jRbjT5_S1A_jjP12ihipStream_tbEUljE_EEESV_SW_SX_S14_S18_S1A_T6_T7_T9_mT8_S1C_bDpT10_ENKUlT_T0_E_clISt17integral_constantIbLb1EES1P_EEDaS1K_S1L_EUlS1K_E_NS1_11comp_targetILNS1_3genE8ELNS1_11target_archE1030ELNS1_3gpuE2ELNS1_3repE0EEENS1_30default_config_static_selectorELNS0_4arch9wavefront6targetE1EEEvSY_.num_vgpr, 0
	.set _ZN7rocprim17ROCPRIM_400000_NS6detail17trampoline_kernelINS0_13select_configILj256ELj13ELNS0_17block_load_methodE3ELS4_3ELS4_3ELNS0_20block_scan_algorithmE0ELj4294967295EEENS1_25partition_config_selectorILNS1_17partition_subalgoE3EjNS0_10empty_typeEbEEZZNS1_14partition_implILS8_3ELb0ES6_jNS0_17counting_iteratorIjlEEPS9_SE_NS0_5tupleIJPjSE_EEENSF_IJSE_SE_EEES9_SG_JZNS1_25segmented_radix_sort_implINS0_14default_configELb1EPKdPdPKlPlN2at6native12_GLOBAL__N_18offset_tEEE10hipError_tPvRmT1_PNSt15iterator_traitsISY_E10value_typeET2_T3_PNSZ_IS14_E10value_typeET4_jRbjT5_S1A_jjP12ihipStream_tbEUljE_EEESV_SW_SX_S14_S18_S1A_T6_T7_T9_mT8_S1C_bDpT10_ENKUlT_T0_E_clISt17integral_constantIbLb1EES1P_EEDaS1K_S1L_EUlS1K_E_NS1_11comp_targetILNS1_3genE8ELNS1_11target_archE1030ELNS1_3gpuE2ELNS1_3repE0EEENS1_30default_config_static_selectorELNS0_4arch9wavefront6targetE1EEEvSY_.num_agpr, 0
	.set _ZN7rocprim17ROCPRIM_400000_NS6detail17trampoline_kernelINS0_13select_configILj256ELj13ELNS0_17block_load_methodE3ELS4_3ELS4_3ELNS0_20block_scan_algorithmE0ELj4294967295EEENS1_25partition_config_selectorILNS1_17partition_subalgoE3EjNS0_10empty_typeEbEEZZNS1_14partition_implILS8_3ELb0ES6_jNS0_17counting_iteratorIjlEEPS9_SE_NS0_5tupleIJPjSE_EEENSF_IJSE_SE_EEES9_SG_JZNS1_25segmented_radix_sort_implINS0_14default_configELb1EPKdPdPKlPlN2at6native12_GLOBAL__N_18offset_tEEE10hipError_tPvRmT1_PNSt15iterator_traitsISY_E10value_typeET2_T3_PNSZ_IS14_E10value_typeET4_jRbjT5_S1A_jjP12ihipStream_tbEUljE_EEESV_SW_SX_S14_S18_S1A_T6_T7_T9_mT8_S1C_bDpT10_ENKUlT_T0_E_clISt17integral_constantIbLb1EES1P_EEDaS1K_S1L_EUlS1K_E_NS1_11comp_targetILNS1_3genE8ELNS1_11target_archE1030ELNS1_3gpuE2ELNS1_3repE0EEENS1_30default_config_static_selectorELNS0_4arch9wavefront6targetE1EEEvSY_.numbered_sgpr, 0
	.set _ZN7rocprim17ROCPRIM_400000_NS6detail17trampoline_kernelINS0_13select_configILj256ELj13ELNS0_17block_load_methodE3ELS4_3ELS4_3ELNS0_20block_scan_algorithmE0ELj4294967295EEENS1_25partition_config_selectorILNS1_17partition_subalgoE3EjNS0_10empty_typeEbEEZZNS1_14partition_implILS8_3ELb0ES6_jNS0_17counting_iteratorIjlEEPS9_SE_NS0_5tupleIJPjSE_EEENSF_IJSE_SE_EEES9_SG_JZNS1_25segmented_radix_sort_implINS0_14default_configELb1EPKdPdPKlPlN2at6native12_GLOBAL__N_18offset_tEEE10hipError_tPvRmT1_PNSt15iterator_traitsISY_E10value_typeET2_T3_PNSZ_IS14_E10value_typeET4_jRbjT5_S1A_jjP12ihipStream_tbEUljE_EEESV_SW_SX_S14_S18_S1A_T6_T7_T9_mT8_S1C_bDpT10_ENKUlT_T0_E_clISt17integral_constantIbLb1EES1P_EEDaS1K_S1L_EUlS1K_E_NS1_11comp_targetILNS1_3genE8ELNS1_11target_archE1030ELNS1_3gpuE2ELNS1_3repE0EEENS1_30default_config_static_selectorELNS0_4arch9wavefront6targetE1EEEvSY_.num_named_barrier, 0
	.set _ZN7rocprim17ROCPRIM_400000_NS6detail17trampoline_kernelINS0_13select_configILj256ELj13ELNS0_17block_load_methodE3ELS4_3ELS4_3ELNS0_20block_scan_algorithmE0ELj4294967295EEENS1_25partition_config_selectorILNS1_17partition_subalgoE3EjNS0_10empty_typeEbEEZZNS1_14partition_implILS8_3ELb0ES6_jNS0_17counting_iteratorIjlEEPS9_SE_NS0_5tupleIJPjSE_EEENSF_IJSE_SE_EEES9_SG_JZNS1_25segmented_radix_sort_implINS0_14default_configELb1EPKdPdPKlPlN2at6native12_GLOBAL__N_18offset_tEEE10hipError_tPvRmT1_PNSt15iterator_traitsISY_E10value_typeET2_T3_PNSZ_IS14_E10value_typeET4_jRbjT5_S1A_jjP12ihipStream_tbEUljE_EEESV_SW_SX_S14_S18_S1A_T6_T7_T9_mT8_S1C_bDpT10_ENKUlT_T0_E_clISt17integral_constantIbLb1EES1P_EEDaS1K_S1L_EUlS1K_E_NS1_11comp_targetILNS1_3genE8ELNS1_11target_archE1030ELNS1_3gpuE2ELNS1_3repE0EEENS1_30default_config_static_selectorELNS0_4arch9wavefront6targetE1EEEvSY_.private_seg_size, 0
	.set _ZN7rocprim17ROCPRIM_400000_NS6detail17trampoline_kernelINS0_13select_configILj256ELj13ELNS0_17block_load_methodE3ELS4_3ELS4_3ELNS0_20block_scan_algorithmE0ELj4294967295EEENS1_25partition_config_selectorILNS1_17partition_subalgoE3EjNS0_10empty_typeEbEEZZNS1_14partition_implILS8_3ELb0ES6_jNS0_17counting_iteratorIjlEEPS9_SE_NS0_5tupleIJPjSE_EEENSF_IJSE_SE_EEES9_SG_JZNS1_25segmented_radix_sort_implINS0_14default_configELb1EPKdPdPKlPlN2at6native12_GLOBAL__N_18offset_tEEE10hipError_tPvRmT1_PNSt15iterator_traitsISY_E10value_typeET2_T3_PNSZ_IS14_E10value_typeET4_jRbjT5_S1A_jjP12ihipStream_tbEUljE_EEESV_SW_SX_S14_S18_S1A_T6_T7_T9_mT8_S1C_bDpT10_ENKUlT_T0_E_clISt17integral_constantIbLb1EES1P_EEDaS1K_S1L_EUlS1K_E_NS1_11comp_targetILNS1_3genE8ELNS1_11target_archE1030ELNS1_3gpuE2ELNS1_3repE0EEENS1_30default_config_static_selectorELNS0_4arch9wavefront6targetE1EEEvSY_.uses_vcc, 0
	.set _ZN7rocprim17ROCPRIM_400000_NS6detail17trampoline_kernelINS0_13select_configILj256ELj13ELNS0_17block_load_methodE3ELS4_3ELS4_3ELNS0_20block_scan_algorithmE0ELj4294967295EEENS1_25partition_config_selectorILNS1_17partition_subalgoE3EjNS0_10empty_typeEbEEZZNS1_14partition_implILS8_3ELb0ES6_jNS0_17counting_iteratorIjlEEPS9_SE_NS0_5tupleIJPjSE_EEENSF_IJSE_SE_EEES9_SG_JZNS1_25segmented_radix_sort_implINS0_14default_configELb1EPKdPdPKlPlN2at6native12_GLOBAL__N_18offset_tEEE10hipError_tPvRmT1_PNSt15iterator_traitsISY_E10value_typeET2_T3_PNSZ_IS14_E10value_typeET4_jRbjT5_S1A_jjP12ihipStream_tbEUljE_EEESV_SW_SX_S14_S18_S1A_T6_T7_T9_mT8_S1C_bDpT10_ENKUlT_T0_E_clISt17integral_constantIbLb1EES1P_EEDaS1K_S1L_EUlS1K_E_NS1_11comp_targetILNS1_3genE8ELNS1_11target_archE1030ELNS1_3gpuE2ELNS1_3repE0EEENS1_30default_config_static_selectorELNS0_4arch9wavefront6targetE1EEEvSY_.uses_flat_scratch, 0
	.set _ZN7rocprim17ROCPRIM_400000_NS6detail17trampoline_kernelINS0_13select_configILj256ELj13ELNS0_17block_load_methodE3ELS4_3ELS4_3ELNS0_20block_scan_algorithmE0ELj4294967295EEENS1_25partition_config_selectorILNS1_17partition_subalgoE3EjNS0_10empty_typeEbEEZZNS1_14partition_implILS8_3ELb0ES6_jNS0_17counting_iteratorIjlEEPS9_SE_NS0_5tupleIJPjSE_EEENSF_IJSE_SE_EEES9_SG_JZNS1_25segmented_radix_sort_implINS0_14default_configELb1EPKdPdPKlPlN2at6native12_GLOBAL__N_18offset_tEEE10hipError_tPvRmT1_PNSt15iterator_traitsISY_E10value_typeET2_T3_PNSZ_IS14_E10value_typeET4_jRbjT5_S1A_jjP12ihipStream_tbEUljE_EEESV_SW_SX_S14_S18_S1A_T6_T7_T9_mT8_S1C_bDpT10_ENKUlT_T0_E_clISt17integral_constantIbLb1EES1P_EEDaS1K_S1L_EUlS1K_E_NS1_11comp_targetILNS1_3genE8ELNS1_11target_archE1030ELNS1_3gpuE2ELNS1_3repE0EEENS1_30default_config_static_selectorELNS0_4arch9wavefront6targetE1EEEvSY_.has_dyn_sized_stack, 0
	.set _ZN7rocprim17ROCPRIM_400000_NS6detail17trampoline_kernelINS0_13select_configILj256ELj13ELNS0_17block_load_methodE3ELS4_3ELS4_3ELNS0_20block_scan_algorithmE0ELj4294967295EEENS1_25partition_config_selectorILNS1_17partition_subalgoE3EjNS0_10empty_typeEbEEZZNS1_14partition_implILS8_3ELb0ES6_jNS0_17counting_iteratorIjlEEPS9_SE_NS0_5tupleIJPjSE_EEENSF_IJSE_SE_EEES9_SG_JZNS1_25segmented_radix_sort_implINS0_14default_configELb1EPKdPdPKlPlN2at6native12_GLOBAL__N_18offset_tEEE10hipError_tPvRmT1_PNSt15iterator_traitsISY_E10value_typeET2_T3_PNSZ_IS14_E10value_typeET4_jRbjT5_S1A_jjP12ihipStream_tbEUljE_EEESV_SW_SX_S14_S18_S1A_T6_T7_T9_mT8_S1C_bDpT10_ENKUlT_T0_E_clISt17integral_constantIbLb1EES1P_EEDaS1K_S1L_EUlS1K_E_NS1_11comp_targetILNS1_3genE8ELNS1_11target_archE1030ELNS1_3gpuE2ELNS1_3repE0EEENS1_30default_config_static_selectorELNS0_4arch9wavefront6targetE1EEEvSY_.has_recursion, 0
	.set _ZN7rocprim17ROCPRIM_400000_NS6detail17trampoline_kernelINS0_13select_configILj256ELj13ELNS0_17block_load_methodE3ELS4_3ELS4_3ELNS0_20block_scan_algorithmE0ELj4294967295EEENS1_25partition_config_selectorILNS1_17partition_subalgoE3EjNS0_10empty_typeEbEEZZNS1_14partition_implILS8_3ELb0ES6_jNS0_17counting_iteratorIjlEEPS9_SE_NS0_5tupleIJPjSE_EEENSF_IJSE_SE_EEES9_SG_JZNS1_25segmented_radix_sort_implINS0_14default_configELb1EPKdPdPKlPlN2at6native12_GLOBAL__N_18offset_tEEE10hipError_tPvRmT1_PNSt15iterator_traitsISY_E10value_typeET2_T3_PNSZ_IS14_E10value_typeET4_jRbjT5_S1A_jjP12ihipStream_tbEUljE_EEESV_SW_SX_S14_S18_S1A_T6_T7_T9_mT8_S1C_bDpT10_ENKUlT_T0_E_clISt17integral_constantIbLb1EES1P_EEDaS1K_S1L_EUlS1K_E_NS1_11comp_targetILNS1_3genE8ELNS1_11target_archE1030ELNS1_3gpuE2ELNS1_3repE0EEENS1_30default_config_static_selectorELNS0_4arch9wavefront6targetE1EEEvSY_.has_indirect_call, 0
	.section	.AMDGPU.csdata,"",@progbits
; Kernel info:
; codeLenInByte = 0
; TotalNumSgprs: 4
; NumVgprs: 0
; ScratchSize: 0
; MemoryBound: 0
; FloatMode: 240
; IeeeMode: 1
; LDSByteSize: 0 bytes/workgroup (compile time only)
; SGPRBlocks: 0
; VGPRBlocks: 0
; NumSGPRsForWavesPerEU: 4
; NumVGPRsForWavesPerEU: 1
; Occupancy: 10
; WaveLimiterHint : 0
; COMPUTE_PGM_RSRC2:SCRATCH_EN: 0
; COMPUTE_PGM_RSRC2:USER_SGPR: 6
; COMPUTE_PGM_RSRC2:TRAP_HANDLER: 0
; COMPUTE_PGM_RSRC2:TGID_X_EN: 1
; COMPUTE_PGM_RSRC2:TGID_Y_EN: 0
; COMPUTE_PGM_RSRC2:TGID_Z_EN: 0
; COMPUTE_PGM_RSRC2:TIDIG_COMP_CNT: 0
	.section	.text._ZN7rocprim17ROCPRIM_400000_NS6detail17trampoline_kernelINS0_13select_configILj256ELj13ELNS0_17block_load_methodE3ELS4_3ELS4_3ELNS0_20block_scan_algorithmE0ELj4294967295EEENS1_25partition_config_selectorILNS1_17partition_subalgoE3EjNS0_10empty_typeEbEEZZNS1_14partition_implILS8_3ELb0ES6_jNS0_17counting_iteratorIjlEEPS9_SE_NS0_5tupleIJPjSE_EEENSF_IJSE_SE_EEES9_SG_JZNS1_25segmented_radix_sort_implINS0_14default_configELb1EPKdPdPKlPlN2at6native12_GLOBAL__N_18offset_tEEE10hipError_tPvRmT1_PNSt15iterator_traitsISY_E10value_typeET2_T3_PNSZ_IS14_E10value_typeET4_jRbjT5_S1A_jjP12ihipStream_tbEUljE_EEESV_SW_SX_S14_S18_S1A_T6_T7_T9_mT8_S1C_bDpT10_ENKUlT_T0_E_clISt17integral_constantIbLb1EES1O_IbLb0EEEEDaS1K_S1L_EUlS1K_E_NS1_11comp_targetILNS1_3genE0ELNS1_11target_archE4294967295ELNS1_3gpuE0ELNS1_3repE0EEENS1_30default_config_static_selectorELNS0_4arch9wavefront6targetE1EEEvSY_,"axG",@progbits,_ZN7rocprim17ROCPRIM_400000_NS6detail17trampoline_kernelINS0_13select_configILj256ELj13ELNS0_17block_load_methodE3ELS4_3ELS4_3ELNS0_20block_scan_algorithmE0ELj4294967295EEENS1_25partition_config_selectorILNS1_17partition_subalgoE3EjNS0_10empty_typeEbEEZZNS1_14partition_implILS8_3ELb0ES6_jNS0_17counting_iteratorIjlEEPS9_SE_NS0_5tupleIJPjSE_EEENSF_IJSE_SE_EEES9_SG_JZNS1_25segmented_radix_sort_implINS0_14default_configELb1EPKdPdPKlPlN2at6native12_GLOBAL__N_18offset_tEEE10hipError_tPvRmT1_PNSt15iterator_traitsISY_E10value_typeET2_T3_PNSZ_IS14_E10value_typeET4_jRbjT5_S1A_jjP12ihipStream_tbEUljE_EEESV_SW_SX_S14_S18_S1A_T6_T7_T9_mT8_S1C_bDpT10_ENKUlT_T0_E_clISt17integral_constantIbLb1EES1O_IbLb0EEEEDaS1K_S1L_EUlS1K_E_NS1_11comp_targetILNS1_3genE0ELNS1_11target_archE4294967295ELNS1_3gpuE0ELNS1_3repE0EEENS1_30default_config_static_selectorELNS0_4arch9wavefront6targetE1EEEvSY_,comdat
	.globl	_ZN7rocprim17ROCPRIM_400000_NS6detail17trampoline_kernelINS0_13select_configILj256ELj13ELNS0_17block_load_methodE3ELS4_3ELS4_3ELNS0_20block_scan_algorithmE0ELj4294967295EEENS1_25partition_config_selectorILNS1_17partition_subalgoE3EjNS0_10empty_typeEbEEZZNS1_14partition_implILS8_3ELb0ES6_jNS0_17counting_iteratorIjlEEPS9_SE_NS0_5tupleIJPjSE_EEENSF_IJSE_SE_EEES9_SG_JZNS1_25segmented_radix_sort_implINS0_14default_configELb1EPKdPdPKlPlN2at6native12_GLOBAL__N_18offset_tEEE10hipError_tPvRmT1_PNSt15iterator_traitsISY_E10value_typeET2_T3_PNSZ_IS14_E10value_typeET4_jRbjT5_S1A_jjP12ihipStream_tbEUljE_EEESV_SW_SX_S14_S18_S1A_T6_T7_T9_mT8_S1C_bDpT10_ENKUlT_T0_E_clISt17integral_constantIbLb1EES1O_IbLb0EEEEDaS1K_S1L_EUlS1K_E_NS1_11comp_targetILNS1_3genE0ELNS1_11target_archE4294967295ELNS1_3gpuE0ELNS1_3repE0EEENS1_30default_config_static_selectorELNS0_4arch9wavefront6targetE1EEEvSY_ ; -- Begin function _ZN7rocprim17ROCPRIM_400000_NS6detail17trampoline_kernelINS0_13select_configILj256ELj13ELNS0_17block_load_methodE3ELS4_3ELS4_3ELNS0_20block_scan_algorithmE0ELj4294967295EEENS1_25partition_config_selectorILNS1_17partition_subalgoE3EjNS0_10empty_typeEbEEZZNS1_14partition_implILS8_3ELb0ES6_jNS0_17counting_iteratorIjlEEPS9_SE_NS0_5tupleIJPjSE_EEENSF_IJSE_SE_EEES9_SG_JZNS1_25segmented_radix_sort_implINS0_14default_configELb1EPKdPdPKlPlN2at6native12_GLOBAL__N_18offset_tEEE10hipError_tPvRmT1_PNSt15iterator_traitsISY_E10value_typeET2_T3_PNSZ_IS14_E10value_typeET4_jRbjT5_S1A_jjP12ihipStream_tbEUljE_EEESV_SW_SX_S14_S18_S1A_T6_T7_T9_mT8_S1C_bDpT10_ENKUlT_T0_E_clISt17integral_constantIbLb1EES1O_IbLb0EEEEDaS1K_S1L_EUlS1K_E_NS1_11comp_targetILNS1_3genE0ELNS1_11target_archE4294967295ELNS1_3gpuE0ELNS1_3repE0EEENS1_30default_config_static_selectorELNS0_4arch9wavefront6targetE1EEEvSY_
	.p2align	8
	.type	_ZN7rocprim17ROCPRIM_400000_NS6detail17trampoline_kernelINS0_13select_configILj256ELj13ELNS0_17block_load_methodE3ELS4_3ELS4_3ELNS0_20block_scan_algorithmE0ELj4294967295EEENS1_25partition_config_selectorILNS1_17partition_subalgoE3EjNS0_10empty_typeEbEEZZNS1_14partition_implILS8_3ELb0ES6_jNS0_17counting_iteratorIjlEEPS9_SE_NS0_5tupleIJPjSE_EEENSF_IJSE_SE_EEES9_SG_JZNS1_25segmented_radix_sort_implINS0_14default_configELb1EPKdPdPKlPlN2at6native12_GLOBAL__N_18offset_tEEE10hipError_tPvRmT1_PNSt15iterator_traitsISY_E10value_typeET2_T3_PNSZ_IS14_E10value_typeET4_jRbjT5_S1A_jjP12ihipStream_tbEUljE_EEESV_SW_SX_S14_S18_S1A_T6_T7_T9_mT8_S1C_bDpT10_ENKUlT_T0_E_clISt17integral_constantIbLb1EES1O_IbLb0EEEEDaS1K_S1L_EUlS1K_E_NS1_11comp_targetILNS1_3genE0ELNS1_11target_archE4294967295ELNS1_3gpuE0ELNS1_3repE0EEENS1_30default_config_static_selectorELNS0_4arch9wavefront6targetE1EEEvSY_,@function
_ZN7rocprim17ROCPRIM_400000_NS6detail17trampoline_kernelINS0_13select_configILj256ELj13ELNS0_17block_load_methodE3ELS4_3ELS4_3ELNS0_20block_scan_algorithmE0ELj4294967295EEENS1_25partition_config_selectorILNS1_17partition_subalgoE3EjNS0_10empty_typeEbEEZZNS1_14partition_implILS8_3ELb0ES6_jNS0_17counting_iteratorIjlEEPS9_SE_NS0_5tupleIJPjSE_EEENSF_IJSE_SE_EEES9_SG_JZNS1_25segmented_radix_sort_implINS0_14default_configELb1EPKdPdPKlPlN2at6native12_GLOBAL__N_18offset_tEEE10hipError_tPvRmT1_PNSt15iterator_traitsISY_E10value_typeET2_T3_PNSZ_IS14_E10value_typeET4_jRbjT5_S1A_jjP12ihipStream_tbEUljE_EEESV_SW_SX_S14_S18_S1A_T6_T7_T9_mT8_S1C_bDpT10_ENKUlT_T0_E_clISt17integral_constantIbLb1EES1O_IbLb0EEEEDaS1K_S1L_EUlS1K_E_NS1_11comp_targetILNS1_3genE0ELNS1_11target_archE4294967295ELNS1_3gpuE0ELNS1_3repE0EEENS1_30default_config_static_selectorELNS0_4arch9wavefront6targetE1EEEvSY_: ; @_ZN7rocprim17ROCPRIM_400000_NS6detail17trampoline_kernelINS0_13select_configILj256ELj13ELNS0_17block_load_methodE3ELS4_3ELS4_3ELNS0_20block_scan_algorithmE0ELj4294967295EEENS1_25partition_config_selectorILNS1_17partition_subalgoE3EjNS0_10empty_typeEbEEZZNS1_14partition_implILS8_3ELb0ES6_jNS0_17counting_iteratorIjlEEPS9_SE_NS0_5tupleIJPjSE_EEENSF_IJSE_SE_EEES9_SG_JZNS1_25segmented_radix_sort_implINS0_14default_configELb1EPKdPdPKlPlN2at6native12_GLOBAL__N_18offset_tEEE10hipError_tPvRmT1_PNSt15iterator_traitsISY_E10value_typeET2_T3_PNSZ_IS14_E10value_typeET4_jRbjT5_S1A_jjP12ihipStream_tbEUljE_EEESV_SW_SX_S14_S18_S1A_T6_T7_T9_mT8_S1C_bDpT10_ENKUlT_T0_E_clISt17integral_constantIbLb1EES1O_IbLb0EEEEDaS1K_S1L_EUlS1K_E_NS1_11comp_targetILNS1_3genE0ELNS1_11target_archE4294967295ELNS1_3gpuE0ELNS1_3repE0EEENS1_30default_config_static_selectorELNS0_4arch9wavefront6targetE1EEEvSY_
; %bb.0:
	.section	.rodata,"a",@progbits
	.p2align	6, 0x0
	.amdhsa_kernel _ZN7rocprim17ROCPRIM_400000_NS6detail17trampoline_kernelINS0_13select_configILj256ELj13ELNS0_17block_load_methodE3ELS4_3ELS4_3ELNS0_20block_scan_algorithmE0ELj4294967295EEENS1_25partition_config_selectorILNS1_17partition_subalgoE3EjNS0_10empty_typeEbEEZZNS1_14partition_implILS8_3ELb0ES6_jNS0_17counting_iteratorIjlEEPS9_SE_NS0_5tupleIJPjSE_EEENSF_IJSE_SE_EEES9_SG_JZNS1_25segmented_radix_sort_implINS0_14default_configELb1EPKdPdPKlPlN2at6native12_GLOBAL__N_18offset_tEEE10hipError_tPvRmT1_PNSt15iterator_traitsISY_E10value_typeET2_T3_PNSZ_IS14_E10value_typeET4_jRbjT5_S1A_jjP12ihipStream_tbEUljE_EEESV_SW_SX_S14_S18_S1A_T6_T7_T9_mT8_S1C_bDpT10_ENKUlT_T0_E_clISt17integral_constantIbLb1EES1O_IbLb0EEEEDaS1K_S1L_EUlS1K_E_NS1_11comp_targetILNS1_3genE0ELNS1_11target_archE4294967295ELNS1_3gpuE0ELNS1_3repE0EEENS1_30default_config_static_selectorELNS0_4arch9wavefront6targetE1EEEvSY_
		.amdhsa_group_segment_fixed_size 0
		.amdhsa_private_segment_fixed_size 0
		.amdhsa_kernarg_size 144
		.amdhsa_user_sgpr_count 6
		.amdhsa_user_sgpr_private_segment_buffer 1
		.amdhsa_user_sgpr_dispatch_ptr 0
		.amdhsa_user_sgpr_queue_ptr 0
		.amdhsa_user_sgpr_kernarg_segment_ptr 1
		.amdhsa_user_sgpr_dispatch_id 0
		.amdhsa_user_sgpr_flat_scratch_init 0
		.amdhsa_user_sgpr_private_segment_size 0
		.amdhsa_uses_dynamic_stack 0
		.amdhsa_system_sgpr_private_segment_wavefront_offset 0
		.amdhsa_system_sgpr_workgroup_id_x 1
		.amdhsa_system_sgpr_workgroup_id_y 0
		.amdhsa_system_sgpr_workgroup_id_z 0
		.amdhsa_system_sgpr_workgroup_info 0
		.amdhsa_system_vgpr_workitem_id 0
		.amdhsa_next_free_vgpr 1
		.amdhsa_next_free_sgpr 0
		.amdhsa_reserve_vcc 0
		.amdhsa_reserve_flat_scratch 0
		.amdhsa_float_round_mode_32 0
		.amdhsa_float_round_mode_16_64 0
		.amdhsa_float_denorm_mode_32 3
		.amdhsa_float_denorm_mode_16_64 3
		.amdhsa_dx10_clamp 1
		.amdhsa_ieee_mode 1
		.amdhsa_fp16_overflow 0
		.amdhsa_exception_fp_ieee_invalid_op 0
		.amdhsa_exception_fp_denorm_src 0
		.amdhsa_exception_fp_ieee_div_zero 0
		.amdhsa_exception_fp_ieee_overflow 0
		.amdhsa_exception_fp_ieee_underflow 0
		.amdhsa_exception_fp_ieee_inexact 0
		.amdhsa_exception_int_div_zero 0
	.end_amdhsa_kernel
	.section	.text._ZN7rocprim17ROCPRIM_400000_NS6detail17trampoline_kernelINS0_13select_configILj256ELj13ELNS0_17block_load_methodE3ELS4_3ELS4_3ELNS0_20block_scan_algorithmE0ELj4294967295EEENS1_25partition_config_selectorILNS1_17partition_subalgoE3EjNS0_10empty_typeEbEEZZNS1_14partition_implILS8_3ELb0ES6_jNS0_17counting_iteratorIjlEEPS9_SE_NS0_5tupleIJPjSE_EEENSF_IJSE_SE_EEES9_SG_JZNS1_25segmented_radix_sort_implINS0_14default_configELb1EPKdPdPKlPlN2at6native12_GLOBAL__N_18offset_tEEE10hipError_tPvRmT1_PNSt15iterator_traitsISY_E10value_typeET2_T3_PNSZ_IS14_E10value_typeET4_jRbjT5_S1A_jjP12ihipStream_tbEUljE_EEESV_SW_SX_S14_S18_S1A_T6_T7_T9_mT8_S1C_bDpT10_ENKUlT_T0_E_clISt17integral_constantIbLb1EES1O_IbLb0EEEEDaS1K_S1L_EUlS1K_E_NS1_11comp_targetILNS1_3genE0ELNS1_11target_archE4294967295ELNS1_3gpuE0ELNS1_3repE0EEENS1_30default_config_static_selectorELNS0_4arch9wavefront6targetE1EEEvSY_,"axG",@progbits,_ZN7rocprim17ROCPRIM_400000_NS6detail17trampoline_kernelINS0_13select_configILj256ELj13ELNS0_17block_load_methodE3ELS4_3ELS4_3ELNS0_20block_scan_algorithmE0ELj4294967295EEENS1_25partition_config_selectorILNS1_17partition_subalgoE3EjNS0_10empty_typeEbEEZZNS1_14partition_implILS8_3ELb0ES6_jNS0_17counting_iteratorIjlEEPS9_SE_NS0_5tupleIJPjSE_EEENSF_IJSE_SE_EEES9_SG_JZNS1_25segmented_radix_sort_implINS0_14default_configELb1EPKdPdPKlPlN2at6native12_GLOBAL__N_18offset_tEEE10hipError_tPvRmT1_PNSt15iterator_traitsISY_E10value_typeET2_T3_PNSZ_IS14_E10value_typeET4_jRbjT5_S1A_jjP12ihipStream_tbEUljE_EEESV_SW_SX_S14_S18_S1A_T6_T7_T9_mT8_S1C_bDpT10_ENKUlT_T0_E_clISt17integral_constantIbLb1EES1O_IbLb0EEEEDaS1K_S1L_EUlS1K_E_NS1_11comp_targetILNS1_3genE0ELNS1_11target_archE4294967295ELNS1_3gpuE0ELNS1_3repE0EEENS1_30default_config_static_selectorELNS0_4arch9wavefront6targetE1EEEvSY_,comdat
.Lfunc_end1102:
	.size	_ZN7rocprim17ROCPRIM_400000_NS6detail17trampoline_kernelINS0_13select_configILj256ELj13ELNS0_17block_load_methodE3ELS4_3ELS4_3ELNS0_20block_scan_algorithmE0ELj4294967295EEENS1_25partition_config_selectorILNS1_17partition_subalgoE3EjNS0_10empty_typeEbEEZZNS1_14partition_implILS8_3ELb0ES6_jNS0_17counting_iteratorIjlEEPS9_SE_NS0_5tupleIJPjSE_EEENSF_IJSE_SE_EEES9_SG_JZNS1_25segmented_radix_sort_implINS0_14default_configELb1EPKdPdPKlPlN2at6native12_GLOBAL__N_18offset_tEEE10hipError_tPvRmT1_PNSt15iterator_traitsISY_E10value_typeET2_T3_PNSZ_IS14_E10value_typeET4_jRbjT5_S1A_jjP12ihipStream_tbEUljE_EEESV_SW_SX_S14_S18_S1A_T6_T7_T9_mT8_S1C_bDpT10_ENKUlT_T0_E_clISt17integral_constantIbLb1EES1O_IbLb0EEEEDaS1K_S1L_EUlS1K_E_NS1_11comp_targetILNS1_3genE0ELNS1_11target_archE4294967295ELNS1_3gpuE0ELNS1_3repE0EEENS1_30default_config_static_selectorELNS0_4arch9wavefront6targetE1EEEvSY_, .Lfunc_end1102-_ZN7rocprim17ROCPRIM_400000_NS6detail17trampoline_kernelINS0_13select_configILj256ELj13ELNS0_17block_load_methodE3ELS4_3ELS4_3ELNS0_20block_scan_algorithmE0ELj4294967295EEENS1_25partition_config_selectorILNS1_17partition_subalgoE3EjNS0_10empty_typeEbEEZZNS1_14partition_implILS8_3ELb0ES6_jNS0_17counting_iteratorIjlEEPS9_SE_NS0_5tupleIJPjSE_EEENSF_IJSE_SE_EEES9_SG_JZNS1_25segmented_radix_sort_implINS0_14default_configELb1EPKdPdPKlPlN2at6native12_GLOBAL__N_18offset_tEEE10hipError_tPvRmT1_PNSt15iterator_traitsISY_E10value_typeET2_T3_PNSZ_IS14_E10value_typeET4_jRbjT5_S1A_jjP12ihipStream_tbEUljE_EEESV_SW_SX_S14_S18_S1A_T6_T7_T9_mT8_S1C_bDpT10_ENKUlT_T0_E_clISt17integral_constantIbLb1EES1O_IbLb0EEEEDaS1K_S1L_EUlS1K_E_NS1_11comp_targetILNS1_3genE0ELNS1_11target_archE4294967295ELNS1_3gpuE0ELNS1_3repE0EEENS1_30default_config_static_selectorELNS0_4arch9wavefront6targetE1EEEvSY_
                                        ; -- End function
	.set _ZN7rocprim17ROCPRIM_400000_NS6detail17trampoline_kernelINS0_13select_configILj256ELj13ELNS0_17block_load_methodE3ELS4_3ELS4_3ELNS0_20block_scan_algorithmE0ELj4294967295EEENS1_25partition_config_selectorILNS1_17partition_subalgoE3EjNS0_10empty_typeEbEEZZNS1_14partition_implILS8_3ELb0ES6_jNS0_17counting_iteratorIjlEEPS9_SE_NS0_5tupleIJPjSE_EEENSF_IJSE_SE_EEES9_SG_JZNS1_25segmented_radix_sort_implINS0_14default_configELb1EPKdPdPKlPlN2at6native12_GLOBAL__N_18offset_tEEE10hipError_tPvRmT1_PNSt15iterator_traitsISY_E10value_typeET2_T3_PNSZ_IS14_E10value_typeET4_jRbjT5_S1A_jjP12ihipStream_tbEUljE_EEESV_SW_SX_S14_S18_S1A_T6_T7_T9_mT8_S1C_bDpT10_ENKUlT_T0_E_clISt17integral_constantIbLb1EES1O_IbLb0EEEEDaS1K_S1L_EUlS1K_E_NS1_11comp_targetILNS1_3genE0ELNS1_11target_archE4294967295ELNS1_3gpuE0ELNS1_3repE0EEENS1_30default_config_static_selectorELNS0_4arch9wavefront6targetE1EEEvSY_.num_vgpr, 0
	.set _ZN7rocprim17ROCPRIM_400000_NS6detail17trampoline_kernelINS0_13select_configILj256ELj13ELNS0_17block_load_methodE3ELS4_3ELS4_3ELNS0_20block_scan_algorithmE0ELj4294967295EEENS1_25partition_config_selectorILNS1_17partition_subalgoE3EjNS0_10empty_typeEbEEZZNS1_14partition_implILS8_3ELb0ES6_jNS0_17counting_iteratorIjlEEPS9_SE_NS0_5tupleIJPjSE_EEENSF_IJSE_SE_EEES9_SG_JZNS1_25segmented_radix_sort_implINS0_14default_configELb1EPKdPdPKlPlN2at6native12_GLOBAL__N_18offset_tEEE10hipError_tPvRmT1_PNSt15iterator_traitsISY_E10value_typeET2_T3_PNSZ_IS14_E10value_typeET4_jRbjT5_S1A_jjP12ihipStream_tbEUljE_EEESV_SW_SX_S14_S18_S1A_T6_T7_T9_mT8_S1C_bDpT10_ENKUlT_T0_E_clISt17integral_constantIbLb1EES1O_IbLb0EEEEDaS1K_S1L_EUlS1K_E_NS1_11comp_targetILNS1_3genE0ELNS1_11target_archE4294967295ELNS1_3gpuE0ELNS1_3repE0EEENS1_30default_config_static_selectorELNS0_4arch9wavefront6targetE1EEEvSY_.num_agpr, 0
	.set _ZN7rocprim17ROCPRIM_400000_NS6detail17trampoline_kernelINS0_13select_configILj256ELj13ELNS0_17block_load_methodE3ELS4_3ELS4_3ELNS0_20block_scan_algorithmE0ELj4294967295EEENS1_25partition_config_selectorILNS1_17partition_subalgoE3EjNS0_10empty_typeEbEEZZNS1_14partition_implILS8_3ELb0ES6_jNS0_17counting_iteratorIjlEEPS9_SE_NS0_5tupleIJPjSE_EEENSF_IJSE_SE_EEES9_SG_JZNS1_25segmented_radix_sort_implINS0_14default_configELb1EPKdPdPKlPlN2at6native12_GLOBAL__N_18offset_tEEE10hipError_tPvRmT1_PNSt15iterator_traitsISY_E10value_typeET2_T3_PNSZ_IS14_E10value_typeET4_jRbjT5_S1A_jjP12ihipStream_tbEUljE_EEESV_SW_SX_S14_S18_S1A_T6_T7_T9_mT8_S1C_bDpT10_ENKUlT_T0_E_clISt17integral_constantIbLb1EES1O_IbLb0EEEEDaS1K_S1L_EUlS1K_E_NS1_11comp_targetILNS1_3genE0ELNS1_11target_archE4294967295ELNS1_3gpuE0ELNS1_3repE0EEENS1_30default_config_static_selectorELNS0_4arch9wavefront6targetE1EEEvSY_.numbered_sgpr, 0
	.set _ZN7rocprim17ROCPRIM_400000_NS6detail17trampoline_kernelINS0_13select_configILj256ELj13ELNS0_17block_load_methodE3ELS4_3ELS4_3ELNS0_20block_scan_algorithmE0ELj4294967295EEENS1_25partition_config_selectorILNS1_17partition_subalgoE3EjNS0_10empty_typeEbEEZZNS1_14partition_implILS8_3ELb0ES6_jNS0_17counting_iteratorIjlEEPS9_SE_NS0_5tupleIJPjSE_EEENSF_IJSE_SE_EEES9_SG_JZNS1_25segmented_radix_sort_implINS0_14default_configELb1EPKdPdPKlPlN2at6native12_GLOBAL__N_18offset_tEEE10hipError_tPvRmT1_PNSt15iterator_traitsISY_E10value_typeET2_T3_PNSZ_IS14_E10value_typeET4_jRbjT5_S1A_jjP12ihipStream_tbEUljE_EEESV_SW_SX_S14_S18_S1A_T6_T7_T9_mT8_S1C_bDpT10_ENKUlT_T0_E_clISt17integral_constantIbLb1EES1O_IbLb0EEEEDaS1K_S1L_EUlS1K_E_NS1_11comp_targetILNS1_3genE0ELNS1_11target_archE4294967295ELNS1_3gpuE0ELNS1_3repE0EEENS1_30default_config_static_selectorELNS0_4arch9wavefront6targetE1EEEvSY_.num_named_barrier, 0
	.set _ZN7rocprim17ROCPRIM_400000_NS6detail17trampoline_kernelINS0_13select_configILj256ELj13ELNS0_17block_load_methodE3ELS4_3ELS4_3ELNS0_20block_scan_algorithmE0ELj4294967295EEENS1_25partition_config_selectorILNS1_17partition_subalgoE3EjNS0_10empty_typeEbEEZZNS1_14partition_implILS8_3ELb0ES6_jNS0_17counting_iteratorIjlEEPS9_SE_NS0_5tupleIJPjSE_EEENSF_IJSE_SE_EEES9_SG_JZNS1_25segmented_radix_sort_implINS0_14default_configELb1EPKdPdPKlPlN2at6native12_GLOBAL__N_18offset_tEEE10hipError_tPvRmT1_PNSt15iterator_traitsISY_E10value_typeET2_T3_PNSZ_IS14_E10value_typeET4_jRbjT5_S1A_jjP12ihipStream_tbEUljE_EEESV_SW_SX_S14_S18_S1A_T6_T7_T9_mT8_S1C_bDpT10_ENKUlT_T0_E_clISt17integral_constantIbLb1EES1O_IbLb0EEEEDaS1K_S1L_EUlS1K_E_NS1_11comp_targetILNS1_3genE0ELNS1_11target_archE4294967295ELNS1_3gpuE0ELNS1_3repE0EEENS1_30default_config_static_selectorELNS0_4arch9wavefront6targetE1EEEvSY_.private_seg_size, 0
	.set _ZN7rocprim17ROCPRIM_400000_NS6detail17trampoline_kernelINS0_13select_configILj256ELj13ELNS0_17block_load_methodE3ELS4_3ELS4_3ELNS0_20block_scan_algorithmE0ELj4294967295EEENS1_25partition_config_selectorILNS1_17partition_subalgoE3EjNS0_10empty_typeEbEEZZNS1_14partition_implILS8_3ELb0ES6_jNS0_17counting_iteratorIjlEEPS9_SE_NS0_5tupleIJPjSE_EEENSF_IJSE_SE_EEES9_SG_JZNS1_25segmented_radix_sort_implINS0_14default_configELb1EPKdPdPKlPlN2at6native12_GLOBAL__N_18offset_tEEE10hipError_tPvRmT1_PNSt15iterator_traitsISY_E10value_typeET2_T3_PNSZ_IS14_E10value_typeET4_jRbjT5_S1A_jjP12ihipStream_tbEUljE_EEESV_SW_SX_S14_S18_S1A_T6_T7_T9_mT8_S1C_bDpT10_ENKUlT_T0_E_clISt17integral_constantIbLb1EES1O_IbLb0EEEEDaS1K_S1L_EUlS1K_E_NS1_11comp_targetILNS1_3genE0ELNS1_11target_archE4294967295ELNS1_3gpuE0ELNS1_3repE0EEENS1_30default_config_static_selectorELNS0_4arch9wavefront6targetE1EEEvSY_.uses_vcc, 0
	.set _ZN7rocprim17ROCPRIM_400000_NS6detail17trampoline_kernelINS0_13select_configILj256ELj13ELNS0_17block_load_methodE3ELS4_3ELS4_3ELNS0_20block_scan_algorithmE0ELj4294967295EEENS1_25partition_config_selectorILNS1_17partition_subalgoE3EjNS0_10empty_typeEbEEZZNS1_14partition_implILS8_3ELb0ES6_jNS0_17counting_iteratorIjlEEPS9_SE_NS0_5tupleIJPjSE_EEENSF_IJSE_SE_EEES9_SG_JZNS1_25segmented_radix_sort_implINS0_14default_configELb1EPKdPdPKlPlN2at6native12_GLOBAL__N_18offset_tEEE10hipError_tPvRmT1_PNSt15iterator_traitsISY_E10value_typeET2_T3_PNSZ_IS14_E10value_typeET4_jRbjT5_S1A_jjP12ihipStream_tbEUljE_EEESV_SW_SX_S14_S18_S1A_T6_T7_T9_mT8_S1C_bDpT10_ENKUlT_T0_E_clISt17integral_constantIbLb1EES1O_IbLb0EEEEDaS1K_S1L_EUlS1K_E_NS1_11comp_targetILNS1_3genE0ELNS1_11target_archE4294967295ELNS1_3gpuE0ELNS1_3repE0EEENS1_30default_config_static_selectorELNS0_4arch9wavefront6targetE1EEEvSY_.uses_flat_scratch, 0
	.set _ZN7rocprim17ROCPRIM_400000_NS6detail17trampoline_kernelINS0_13select_configILj256ELj13ELNS0_17block_load_methodE3ELS4_3ELS4_3ELNS0_20block_scan_algorithmE0ELj4294967295EEENS1_25partition_config_selectorILNS1_17partition_subalgoE3EjNS0_10empty_typeEbEEZZNS1_14partition_implILS8_3ELb0ES6_jNS0_17counting_iteratorIjlEEPS9_SE_NS0_5tupleIJPjSE_EEENSF_IJSE_SE_EEES9_SG_JZNS1_25segmented_radix_sort_implINS0_14default_configELb1EPKdPdPKlPlN2at6native12_GLOBAL__N_18offset_tEEE10hipError_tPvRmT1_PNSt15iterator_traitsISY_E10value_typeET2_T3_PNSZ_IS14_E10value_typeET4_jRbjT5_S1A_jjP12ihipStream_tbEUljE_EEESV_SW_SX_S14_S18_S1A_T6_T7_T9_mT8_S1C_bDpT10_ENKUlT_T0_E_clISt17integral_constantIbLb1EES1O_IbLb0EEEEDaS1K_S1L_EUlS1K_E_NS1_11comp_targetILNS1_3genE0ELNS1_11target_archE4294967295ELNS1_3gpuE0ELNS1_3repE0EEENS1_30default_config_static_selectorELNS0_4arch9wavefront6targetE1EEEvSY_.has_dyn_sized_stack, 0
	.set _ZN7rocprim17ROCPRIM_400000_NS6detail17trampoline_kernelINS0_13select_configILj256ELj13ELNS0_17block_load_methodE3ELS4_3ELS4_3ELNS0_20block_scan_algorithmE0ELj4294967295EEENS1_25partition_config_selectorILNS1_17partition_subalgoE3EjNS0_10empty_typeEbEEZZNS1_14partition_implILS8_3ELb0ES6_jNS0_17counting_iteratorIjlEEPS9_SE_NS0_5tupleIJPjSE_EEENSF_IJSE_SE_EEES9_SG_JZNS1_25segmented_radix_sort_implINS0_14default_configELb1EPKdPdPKlPlN2at6native12_GLOBAL__N_18offset_tEEE10hipError_tPvRmT1_PNSt15iterator_traitsISY_E10value_typeET2_T3_PNSZ_IS14_E10value_typeET4_jRbjT5_S1A_jjP12ihipStream_tbEUljE_EEESV_SW_SX_S14_S18_S1A_T6_T7_T9_mT8_S1C_bDpT10_ENKUlT_T0_E_clISt17integral_constantIbLb1EES1O_IbLb0EEEEDaS1K_S1L_EUlS1K_E_NS1_11comp_targetILNS1_3genE0ELNS1_11target_archE4294967295ELNS1_3gpuE0ELNS1_3repE0EEENS1_30default_config_static_selectorELNS0_4arch9wavefront6targetE1EEEvSY_.has_recursion, 0
	.set _ZN7rocprim17ROCPRIM_400000_NS6detail17trampoline_kernelINS0_13select_configILj256ELj13ELNS0_17block_load_methodE3ELS4_3ELS4_3ELNS0_20block_scan_algorithmE0ELj4294967295EEENS1_25partition_config_selectorILNS1_17partition_subalgoE3EjNS0_10empty_typeEbEEZZNS1_14partition_implILS8_3ELb0ES6_jNS0_17counting_iteratorIjlEEPS9_SE_NS0_5tupleIJPjSE_EEENSF_IJSE_SE_EEES9_SG_JZNS1_25segmented_radix_sort_implINS0_14default_configELb1EPKdPdPKlPlN2at6native12_GLOBAL__N_18offset_tEEE10hipError_tPvRmT1_PNSt15iterator_traitsISY_E10value_typeET2_T3_PNSZ_IS14_E10value_typeET4_jRbjT5_S1A_jjP12ihipStream_tbEUljE_EEESV_SW_SX_S14_S18_S1A_T6_T7_T9_mT8_S1C_bDpT10_ENKUlT_T0_E_clISt17integral_constantIbLb1EES1O_IbLb0EEEEDaS1K_S1L_EUlS1K_E_NS1_11comp_targetILNS1_3genE0ELNS1_11target_archE4294967295ELNS1_3gpuE0ELNS1_3repE0EEENS1_30default_config_static_selectorELNS0_4arch9wavefront6targetE1EEEvSY_.has_indirect_call, 0
	.section	.AMDGPU.csdata,"",@progbits
; Kernel info:
; codeLenInByte = 0
; TotalNumSgprs: 4
; NumVgprs: 0
; ScratchSize: 0
; MemoryBound: 0
; FloatMode: 240
; IeeeMode: 1
; LDSByteSize: 0 bytes/workgroup (compile time only)
; SGPRBlocks: 0
; VGPRBlocks: 0
; NumSGPRsForWavesPerEU: 4
; NumVGPRsForWavesPerEU: 1
; Occupancy: 10
; WaveLimiterHint : 0
; COMPUTE_PGM_RSRC2:SCRATCH_EN: 0
; COMPUTE_PGM_RSRC2:USER_SGPR: 6
; COMPUTE_PGM_RSRC2:TRAP_HANDLER: 0
; COMPUTE_PGM_RSRC2:TGID_X_EN: 1
; COMPUTE_PGM_RSRC2:TGID_Y_EN: 0
; COMPUTE_PGM_RSRC2:TGID_Z_EN: 0
; COMPUTE_PGM_RSRC2:TIDIG_COMP_CNT: 0
	.section	.text._ZN7rocprim17ROCPRIM_400000_NS6detail17trampoline_kernelINS0_13select_configILj256ELj13ELNS0_17block_load_methodE3ELS4_3ELS4_3ELNS0_20block_scan_algorithmE0ELj4294967295EEENS1_25partition_config_selectorILNS1_17partition_subalgoE3EjNS0_10empty_typeEbEEZZNS1_14partition_implILS8_3ELb0ES6_jNS0_17counting_iteratorIjlEEPS9_SE_NS0_5tupleIJPjSE_EEENSF_IJSE_SE_EEES9_SG_JZNS1_25segmented_radix_sort_implINS0_14default_configELb1EPKdPdPKlPlN2at6native12_GLOBAL__N_18offset_tEEE10hipError_tPvRmT1_PNSt15iterator_traitsISY_E10value_typeET2_T3_PNSZ_IS14_E10value_typeET4_jRbjT5_S1A_jjP12ihipStream_tbEUljE_EEESV_SW_SX_S14_S18_S1A_T6_T7_T9_mT8_S1C_bDpT10_ENKUlT_T0_E_clISt17integral_constantIbLb1EES1O_IbLb0EEEEDaS1K_S1L_EUlS1K_E_NS1_11comp_targetILNS1_3genE5ELNS1_11target_archE942ELNS1_3gpuE9ELNS1_3repE0EEENS1_30default_config_static_selectorELNS0_4arch9wavefront6targetE1EEEvSY_,"axG",@progbits,_ZN7rocprim17ROCPRIM_400000_NS6detail17trampoline_kernelINS0_13select_configILj256ELj13ELNS0_17block_load_methodE3ELS4_3ELS4_3ELNS0_20block_scan_algorithmE0ELj4294967295EEENS1_25partition_config_selectorILNS1_17partition_subalgoE3EjNS0_10empty_typeEbEEZZNS1_14partition_implILS8_3ELb0ES6_jNS0_17counting_iteratorIjlEEPS9_SE_NS0_5tupleIJPjSE_EEENSF_IJSE_SE_EEES9_SG_JZNS1_25segmented_radix_sort_implINS0_14default_configELb1EPKdPdPKlPlN2at6native12_GLOBAL__N_18offset_tEEE10hipError_tPvRmT1_PNSt15iterator_traitsISY_E10value_typeET2_T3_PNSZ_IS14_E10value_typeET4_jRbjT5_S1A_jjP12ihipStream_tbEUljE_EEESV_SW_SX_S14_S18_S1A_T6_T7_T9_mT8_S1C_bDpT10_ENKUlT_T0_E_clISt17integral_constantIbLb1EES1O_IbLb0EEEEDaS1K_S1L_EUlS1K_E_NS1_11comp_targetILNS1_3genE5ELNS1_11target_archE942ELNS1_3gpuE9ELNS1_3repE0EEENS1_30default_config_static_selectorELNS0_4arch9wavefront6targetE1EEEvSY_,comdat
	.globl	_ZN7rocprim17ROCPRIM_400000_NS6detail17trampoline_kernelINS0_13select_configILj256ELj13ELNS0_17block_load_methodE3ELS4_3ELS4_3ELNS0_20block_scan_algorithmE0ELj4294967295EEENS1_25partition_config_selectorILNS1_17partition_subalgoE3EjNS0_10empty_typeEbEEZZNS1_14partition_implILS8_3ELb0ES6_jNS0_17counting_iteratorIjlEEPS9_SE_NS0_5tupleIJPjSE_EEENSF_IJSE_SE_EEES9_SG_JZNS1_25segmented_radix_sort_implINS0_14default_configELb1EPKdPdPKlPlN2at6native12_GLOBAL__N_18offset_tEEE10hipError_tPvRmT1_PNSt15iterator_traitsISY_E10value_typeET2_T3_PNSZ_IS14_E10value_typeET4_jRbjT5_S1A_jjP12ihipStream_tbEUljE_EEESV_SW_SX_S14_S18_S1A_T6_T7_T9_mT8_S1C_bDpT10_ENKUlT_T0_E_clISt17integral_constantIbLb1EES1O_IbLb0EEEEDaS1K_S1L_EUlS1K_E_NS1_11comp_targetILNS1_3genE5ELNS1_11target_archE942ELNS1_3gpuE9ELNS1_3repE0EEENS1_30default_config_static_selectorELNS0_4arch9wavefront6targetE1EEEvSY_ ; -- Begin function _ZN7rocprim17ROCPRIM_400000_NS6detail17trampoline_kernelINS0_13select_configILj256ELj13ELNS0_17block_load_methodE3ELS4_3ELS4_3ELNS0_20block_scan_algorithmE0ELj4294967295EEENS1_25partition_config_selectorILNS1_17partition_subalgoE3EjNS0_10empty_typeEbEEZZNS1_14partition_implILS8_3ELb0ES6_jNS0_17counting_iteratorIjlEEPS9_SE_NS0_5tupleIJPjSE_EEENSF_IJSE_SE_EEES9_SG_JZNS1_25segmented_radix_sort_implINS0_14default_configELb1EPKdPdPKlPlN2at6native12_GLOBAL__N_18offset_tEEE10hipError_tPvRmT1_PNSt15iterator_traitsISY_E10value_typeET2_T3_PNSZ_IS14_E10value_typeET4_jRbjT5_S1A_jjP12ihipStream_tbEUljE_EEESV_SW_SX_S14_S18_S1A_T6_T7_T9_mT8_S1C_bDpT10_ENKUlT_T0_E_clISt17integral_constantIbLb1EES1O_IbLb0EEEEDaS1K_S1L_EUlS1K_E_NS1_11comp_targetILNS1_3genE5ELNS1_11target_archE942ELNS1_3gpuE9ELNS1_3repE0EEENS1_30default_config_static_selectorELNS0_4arch9wavefront6targetE1EEEvSY_
	.p2align	8
	.type	_ZN7rocprim17ROCPRIM_400000_NS6detail17trampoline_kernelINS0_13select_configILj256ELj13ELNS0_17block_load_methodE3ELS4_3ELS4_3ELNS0_20block_scan_algorithmE0ELj4294967295EEENS1_25partition_config_selectorILNS1_17partition_subalgoE3EjNS0_10empty_typeEbEEZZNS1_14partition_implILS8_3ELb0ES6_jNS0_17counting_iteratorIjlEEPS9_SE_NS0_5tupleIJPjSE_EEENSF_IJSE_SE_EEES9_SG_JZNS1_25segmented_radix_sort_implINS0_14default_configELb1EPKdPdPKlPlN2at6native12_GLOBAL__N_18offset_tEEE10hipError_tPvRmT1_PNSt15iterator_traitsISY_E10value_typeET2_T3_PNSZ_IS14_E10value_typeET4_jRbjT5_S1A_jjP12ihipStream_tbEUljE_EEESV_SW_SX_S14_S18_S1A_T6_T7_T9_mT8_S1C_bDpT10_ENKUlT_T0_E_clISt17integral_constantIbLb1EES1O_IbLb0EEEEDaS1K_S1L_EUlS1K_E_NS1_11comp_targetILNS1_3genE5ELNS1_11target_archE942ELNS1_3gpuE9ELNS1_3repE0EEENS1_30default_config_static_selectorELNS0_4arch9wavefront6targetE1EEEvSY_,@function
_ZN7rocprim17ROCPRIM_400000_NS6detail17trampoline_kernelINS0_13select_configILj256ELj13ELNS0_17block_load_methodE3ELS4_3ELS4_3ELNS0_20block_scan_algorithmE0ELj4294967295EEENS1_25partition_config_selectorILNS1_17partition_subalgoE3EjNS0_10empty_typeEbEEZZNS1_14partition_implILS8_3ELb0ES6_jNS0_17counting_iteratorIjlEEPS9_SE_NS0_5tupleIJPjSE_EEENSF_IJSE_SE_EEES9_SG_JZNS1_25segmented_radix_sort_implINS0_14default_configELb1EPKdPdPKlPlN2at6native12_GLOBAL__N_18offset_tEEE10hipError_tPvRmT1_PNSt15iterator_traitsISY_E10value_typeET2_T3_PNSZ_IS14_E10value_typeET4_jRbjT5_S1A_jjP12ihipStream_tbEUljE_EEESV_SW_SX_S14_S18_S1A_T6_T7_T9_mT8_S1C_bDpT10_ENKUlT_T0_E_clISt17integral_constantIbLb1EES1O_IbLb0EEEEDaS1K_S1L_EUlS1K_E_NS1_11comp_targetILNS1_3genE5ELNS1_11target_archE942ELNS1_3gpuE9ELNS1_3repE0EEENS1_30default_config_static_selectorELNS0_4arch9wavefront6targetE1EEEvSY_: ; @_ZN7rocprim17ROCPRIM_400000_NS6detail17trampoline_kernelINS0_13select_configILj256ELj13ELNS0_17block_load_methodE3ELS4_3ELS4_3ELNS0_20block_scan_algorithmE0ELj4294967295EEENS1_25partition_config_selectorILNS1_17partition_subalgoE3EjNS0_10empty_typeEbEEZZNS1_14partition_implILS8_3ELb0ES6_jNS0_17counting_iteratorIjlEEPS9_SE_NS0_5tupleIJPjSE_EEENSF_IJSE_SE_EEES9_SG_JZNS1_25segmented_radix_sort_implINS0_14default_configELb1EPKdPdPKlPlN2at6native12_GLOBAL__N_18offset_tEEE10hipError_tPvRmT1_PNSt15iterator_traitsISY_E10value_typeET2_T3_PNSZ_IS14_E10value_typeET4_jRbjT5_S1A_jjP12ihipStream_tbEUljE_EEESV_SW_SX_S14_S18_S1A_T6_T7_T9_mT8_S1C_bDpT10_ENKUlT_T0_E_clISt17integral_constantIbLb1EES1O_IbLb0EEEEDaS1K_S1L_EUlS1K_E_NS1_11comp_targetILNS1_3genE5ELNS1_11target_archE942ELNS1_3gpuE9ELNS1_3repE0EEENS1_30default_config_static_selectorELNS0_4arch9wavefront6targetE1EEEvSY_
; %bb.0:
	.section	.rodata,"a",@progbits
	.p2align	6, 0x0
	.amdhsa_kernel _ZN7rocprim17ROCPRIM_400000_NS6detail17trampoline_kernelINS0_13select_configILj256ELj13ELNS0_17block_load_methodE3ELS4_3ELS4_3ELNS0_20block_scan_algorithmE0ELj4294967295EEENS1_25partition_config_selectorILNS1_17partition_subalgoE3EjNS0_10empty_typeEbEEZZNS1_14partition_implILS8_3ELb0ES6_jNS0_17counting_iteratorIjlEEPS9_SE_NS0_5tupleIJPjSE_EEENSF_IJSE_SE_EEES9_SG_JZNS1_25segmented_radix_sort_implINS0_14default_configELb1EPKdPdPKlPlN2at6native12_GLOBAL__N_18offset_tEEE10hipError_tPvRmT1_PNSt15iterator_traitsISY_E10value_typeET2_T3_PNSZ_IS14_E10value_typeET4_jRbjT5_S1A_jjP12ihipStream_tbEUljE_EEESV_SW_SX_S14_S18_S1A_T6_T7_T9_mT8_S1C_bDpT10_ENKUlT_T0_E_clISt17integral_constantIbLb1EES1O_IbLb0EEEEDaS1K_S1L_EUlS1K_E_NS1_11comp_targetILNS1_3genE5ELNS1_11target_archE942ELNS1_3gpuE9ELNS1_3repE0EEENS1_30default_config_static_selectorELNS0_4arch9wavefront6targetE1EEEvSY_
		.amdhsa_group_segment_fixed_size 0
		.amdhsa_private_segment_fixed_size 0
		.amdhsa_kernarg_size 144
		.amdhsa_user_sgpr_count 6
		.amdhsa_user_sgpr_private_segment_buffer 1
		.amdhsa_user_sgpr_dispatch_ptr 0
		.amdhsa_user_sgpr_queue_ptr 0
		.amdhsa_user_sgpr_kernarg_segment_ptr 1
		.amdhsa_user_sgpr_dispatch_id 0
		.amdhsa_user_sgpr_flat_scratch_init 0
		.amdhsa_user_sgpr_private_segment_size 0
		.amdhsa_uses_dynamic_stack 0
		.amdhsa_system_sgpr_private_segment_wavefront_offset 0
		.amdhsa_system_sgpr_workgroup_id_x 1
		.amdhsa_system_sgpr_workgroup_id_y 0
		.amdhsa_system_sgpr_workgroup_id_z 0
		.amdhsa_system_sgpr_workgroup_info 0
		.amdhsa_system_vgpr_workitem_id 0
		.amdhsa_next_free_vgpr 1
		.amdhsa_next_free_sgpr 0
		.amdhsa_reserve_vcc 0
		.amdhsa_reserve_flat_scratch 0
		.amdhsa_float_round_mode_32 0
		.amdhsa_float_round_mode_16_64 0
		.amdhsa_float_denorm_mode_32 3
		.amdhsa_float_denorm_mode_16_64 3
		.amdhsa_dx10_clamp 1
		.amdhsa_ieee_mode 1
		.amdhsa_fp16_overflow 0
		.amdhsa_exception_fp_ieee_invalid_op 0
		.amdhsa_exception_fp_denorm_src 0
		.amdhsa_exception_fp_ieee_div_zero 0
		.amdhsa_exception_fp_ieee_overflow 0
		.amdhsa_exception_fp_ieee_underflow 0
		.amdhsa_exception_fp_ieee_inexact 0
		.amdhsa_exception_int_div_zero 0
	.end_amdhsa_kernel
	.section	.text._ZN7rocprim17ROCPRIM_400000_NS6detail17trampoline_kernelINS0_13select_configILj256ELj13ELNS0_17block_load_methodE3ELS4_3ELS4_3ELNS0_20block_scan_algorithmE0ELj4294967295EEENS1_25partition_config_selectorILNS1_17partition_subalgoE3EjNS0_10empty_typeEbEEZZNS1_14partition_implILS8_3ELb0ES6_jNS0_17counting_iteratorIjlEEPS9_SE_NS0_5tupleIJPjSE_EEENSF_IJSE_SE_EEES9_SG_JZNS1_25segmented_radix_sort_implINS0_14default_configELb1EPKdPdPKlPlN2at6native12_GLOBAL__N_18offset_tEEE10hipError_tPvRmT1_PNSt15iterator_traitsISY_E10value_typeET2_T3_PNSZ_IS14_E10value_typeET4_jRbjT5_S1A_jjP12ihipStream_tbEUljE_EEESV_SW_SX_S14_S18_S1A_T6_T7_T9_mT8_S1C_bDpT10_ENKUlT_T0_E_clISt17integral_constantIbLb1EES1O_IbLb0EEEEDaS1K_S1L_EUlS1K_E_NS1_11comp_targetILNS1_3genE5ELNS1_11target_archE942ELNS1_3gpuE9ELNS1_3repE0EEENS1_30default_config_static_selectorELNS0_4arch9wavefront6targetE1EEEvSY_,"axG",@progbits,_ZN7rocprim17ROCPRIM_400000_NS6detail17trampoline_kernelINS0_13select_configILj256ELj13ELNS0_17block_load_methodE3ELS4_3ELS4_3ELNS0_20block_scan_algorithmE0ELj4294967295EEENS1_25partition_config_selectorILNS1_17partition_subalgoE3EjNS0_10empty_typeEbEEZZNS1_14partition_implILS8_3ELb0ES6_jNS0_17counting_iteratorIjlEEPS9_SE_NS0_5tupleIJPjSE_EEENSF_IJSE_SE_EEES9_SG_JZNS1_25segmented_radix_sort_implINS0_14default_configELb1EPKdPdPKlPlN2at6native12_GLOBAL__N_18offset_tEEE10hipError_tPvRmT1_PNSt15iterator_traitsISY_E10value_typeET2_T3_PNSZ_IS14_E10value_typeET4_jRbjT5_S1A_jjP12ihipStream_tbEUljE_EEESV_SW_SX_S14_S18_S1A_T6_T7_T9_mT8_S1C_bDpT10_ENKUlT_T0_E_clISt17integral_constantIbLb1EES1O_IbLb0EEEEDaS1K_S1L_EUlS1K_E_NS1_11comp_targetILNS1_3genE5ELNS1_11target_archE942ELNS1_3gpuE9ELNS1_3repE0EEENS1_30default_config_static_selectorELNS0_4arch9wavefront6targetE1EEEvSY_,comdat
.Lfunc_end1103:
	.size	_ZN7rocprim17ROCPRIM_400000_NS6detail17trampoline_kernelINS0_13select_configILj256ELj13ELNS0_17block_load_methodE3ELS4_3ELS4_3ELNS0_20block_scan_algorithmE0ELj4294967295EEENS1_25partition_config_selectorILNS1_17partition_subalgoE3EjNS0_10empty_typeEbEEZZNS1_14partition_implILS8_3ELb0ES6_jNS0_17counting_iteratorIjlEEPS9_SE_NS0_5tupleIJPjSE_EEENSF_IJSE_SE_EEES9_SG_JZNS1_25segmented_radix_sort_implINS0_14default_configELb1EPKdPdPKlPlN2at6native12_GLOBAL__N_18offset_tEEE10hipError_tPvRmT1_PNSt15iterator_traitsISY_E10value_typeET2_T3_PNSZ_IS14_E10value_typeET4_jRbjT5_S1A_jjP12ihipStream_tbEUljE_EEESV_SW_SX_S14_S18_S1A_T6_T7_T9_mT8_S1C_bDpT10_ENKUlT_T0_E_clISt17integral_constantIbLb1EES1O_IbLb0EEEEDaS1K_S1L_EUlS1K_E_NS1_11comp_targetILNS1_3genE5ELNS1_11target_archE942ELNS1_3gpuE9ELNS1_3repE0EEENS1_30default_config_static_selectorELNS0_4arch9wavefront6targetE1EEEvSY_, .Lfunc_end1103-_ZN7rocprim17ROCPRIM_400000_NS6detail17trampoline_kernelINS0_13select_configILj256ELj13ELNS0_17block_load_methodE3ELS4_3ELS4_3ELNS0_20block_scan_algorithmE0ELj4294967295EEENS1_25partition_config_selectorILNS1_17partition_subalgoE3EjNS0_10empty_typeEbEEZZNS1_14partition_implILS8_3ELb0ES6_jNS0_17counting_iteratorIjlEEPS9_SE_NS0_5tupleIJPjSE_EEENSF_IJSE_SE_EEES9_SG_JZNS1_25segmented_radix_sort_implINS0_14default_configELb1EPKdPdPKlPlN2at6native12_GLOBAL__N_18offset_tEEE10hipError_tPvRmT1_PNSt15iterator_traitsISY_E10value_typeET2_T3_PNSZ_IS14_E10value_typeET4_jRbjT5_S1A_jjP12ihipStream_tbEUljE_EEESV_SW_SX_S14_S18_S1A_T6_T7_T9_mT8_S1C_bDpT10_ENKUlT_T0_E_clISt17integral_constantIbLb1EES1O_IbLb0EEEEDaS1K_S1L_EUlS1K_E_NS1_11comp_targetILNS1_3genE5ELNS1_11target_archE942ELNS1_3gpuE9ELNS1_3repE0EEENS1_30default_config_static_selectorELNS0_4arch9wavefront6targetE1EEEvSY_
                                        ; -- End function
	.set _ZN7rocprim17ROCPRIM_400000_NS6detail17trampoline_kernelINS0_13select_configILj256ELj13ELNS0_17block_load_methodE3ELS4_3ELS4_3ELNS0_20block_scan_algorithmE0ELj4294967295EEENS1_25partition_config_selectorILNS1_17partition_subalgoE3EjNS0_10empty_typeEbEEZZNS1_14partition_implILS8_3ELb0ES6_jNS0_17counting_iteratorIjlEEPS9_SE_NS0_5tupleIJPjSE_EEENSF_IJSE_SE_EEES9_SG_JZNS1_25segmented_radix_sort_implINS0_14default_configELb1EPKdPdPKlPlN2at6native12_GLOBAL__N_18offset_tEEE10hipError_tPvRmT1_PNSt15iterator_traitsISY_E10value_typeET2_T3_PNSZ_IS14_E10value_typeET4_jRbjT5_S1A_jjP12ihipStream_tbEUljE_EEESV_SW_SX_S14_S18_S1A_T6_T7_T9_mT8_S1C_bDpT10_ENKUlT_T0_E_clISt17integral_constantIbLb1EES1O_IbLb0EEEEDaS1K_S1L_EUlS1K_E_NS1_11comp_targetILNS1_3genE5ELNS1_11target_archE942ELNS1_3gpuE9ELNS1_3repE0EEENS1_30default_config_static_selectorELNS0_4arch9wavefront6targetE1EEEvSY_.num_vgpr, 0
	.set _ZN7rocprim17ROCPRIM_400000_NS6detail17trampoline_kernelINS0_13select_configILj256ELj13ELNS0_17block_load_methodE3ELS4_3ELS4_3ELNS0_20block_scan_algorithmE0ELj4294967295EEENS1_25partition_config_selectorILNS1_17partition_subalgoE3EjNS0_10empty_typeEbEEZZNS1_14partition_implILS8_3ELb0ES6_jNS0_17counting_iteratorIjlEEPS9_SE_NS0_5tupleIJPjSE_EEENSF_IJSE_SE_EEES9_SG_JZNS1_25segmented_radix_sort_implINS0_14default_configELb1EPKdPdPKlPlN2at6native12_GLOBAL__N_18offset_tEEE10hipError_tPvRmT1_PNSt15iterator_traitsISY_E10value_typeET2_T3_PNSZ_IS14_E10value_typeET4_jRbjT5_S1A_jjP12ihipStream_tbEUljE_EEESV_SW_SX_S14_S18_S1A_T6_T7_T9_mT8_S1C_bDpT10_ENKUlT_T0_E_clISt17integral_constantIbLb1EES1O_IbLb0EEEEDaS1K_S1L_EUlS1K_E_NS1_11comp_targetILNS1_3genE5ELNS1_11target_archE942ELNS1_3gpuE9ELNS1_3repE0EEENS1_30default_config_static_selectorELNS0_4arch9wavefront6targetE1EEEvSY_.num_agpr, 0
	.set _ZN7rocprim17ROCPRIM_400000_NS6detail17trampoline_kernelINS0_13select_configILj256ELj13ELNS0_17block_load_methodE3ELS4_3ELS4_3ELNS0_20block_scan_algorithmE0ELj4294967295EEENS1_25partition_config_selectorILNS1_17partition_subalgoE3EjNS0_10empty_typeEbEEZZNS1_14partition_implILS8_3ELb0ES6_jNS0_17counting_iteratorIjlEEPS9_SE_NS0_5tupleIJPjSE_EEENSF_IJSE_SE_EEES9_SG_JZNS1_25segmented_radix_sort_implINS0_14default_configELb1EPKdPdPKlPlN2at6native12_GLOBAL__N_18offset_tEEE10hipError_tPvRmT1_PNSt15iterator_traitsISY_E10value_typeET2_T3_PNSZ_IS14_E10value_typeET4_jRbjT5_S1A_jjP12ihipStream_tbEUljE_EEESV_SW_SX_S14_S18_S1A_T6_T7_T9_mT8_S1C_bDpT10_ENKUlT_T0_E_clISt17integral_constantIbLb1EES1O_IbLb0EEEEDaS1K_S1L_EUlS1K_E_NS1_11comp_targetILNS1_3genE5ELNS1_11target_archE942ELNS1_3gpuE9ELNS1_3repE0EEENS1_30default_config_static_selectorELNS0_4arch9wavefront6targetE1EEEvSY_.numbered_sgpr, 0
	.set _ZN7rocprim17ROCPRIM_400000_NS6detail17trampoline_kernelINS0_13select_configILj256ELj13ELNS0_17block_load_methodE3ELS4_3ELS4_3ELNS0_20block_scan_algorithmE0ELj4294967295EEENS1_25partition_config_selectorILNS1_17partition_subalgoE3EjNS0_10empty_typeEbEEZZNS1_14partition_implILS8_3ELb0ES6_jNS0_17counting_iteratorIjlEEPS9_SE_NS0_5tupleIJPjSE_EEENSF_IJSE_SE_EEES9_SG_JZNS1_25segmented_radix_sort_implINS0_14default_configELb1EPKdPdPKlPlN2at6native12_GLOBAL__N_18offset_tEEE10hipError_tPvRmT1_PNSt15iterator_traitsISY_E10value_typeET2_T3_PNSZ_IS14_E10value_typeET4_jRbjT5_S1A_jjP12ihipStream_tbEUljE_EEESV_SW_SX_S14_S18_S1A_T6_T7_T9_mT8_S1C_bDpT10_ENKUlT_T0_E_clISt17integral_constantIbLb1EES1O_IbLb0EEEEDaS1K_S1L_EUlS1K_E_NS1_11comp_targetILNS1_3genE5ELNS1_11target_archE942ELNS1_3gpuE9ELNS1_3repE0EEENS1_30default_config_static_selectorELNS0_4arch9wavefront6targetE1EEEvSY_.num_named_barrier, 0
	.set _ZN7rocprim17ROCPRIM_400000_NS6detail17trampoline_kernelINS0_13select_configILj256ELj13ELNS0_17block_load_methodE3ELS4_3ELS4_3ELNS0_20block_scan_algorithmE0ELj4294967295EEENS1_25partition_config_selectorILNS1_17partition_subalgoE3EjNS0_10empty_typeEbEEZZNS1_14partition_implILS8_3ELb0ES6_jNS0_17counting_iteratorIjlEEPS9_SE_NS0_5tupleIJPjSE_EEENSF_IJSE_SE_EEES9_SG_JZNS1_25segmented_radix_sort_implINS0_14default_configELb1EPKdPdPKlPlN2at6native12_GLOBAL__N_18offset_tEEE10hipError_tPvRmT1_PNSt15iterator_traitsISY_E10value_typeET2_T3_PNSZ_IS14_E10value_typeET4_jRbjT5_S1A_jjP12ihipStream_tbEUljE_EEESV_SW_SX_S14_S18_S1A_T6_T7_T9_mT8_S1C_bDpT10_ENKUlT_T0_E_clISt17integral_constantIbLb1EES1O_IbLb0EEEEDaS1K_S1L_EUlS1K_E_NS1_11comp_targetILNS1_3genE5ELNS1_11target_archE942ELNS1_3gpuE9ELNS1_3repE0EEENS1_30default_config_static_selectorELNS0_4arch9wavefront6targetE1EEEvSY_.private_seg_size, 0
	.set _ZN7rocprim17ROCPRIM_400000_NS6detail17trampoline_kernelINS0_13select_configILj256ELj13ELNS0_17block_load_methodE3ELS4_3ELS4_3ELNS0_20block_scan_algorithmE0ELj4294967295EEENS1_25partition_config_selectorILNS1_17partition_subalgoE3EjNS0_10empty_typeEbEEZZNS1_14partition_implILS8_3ELb0ES6_jNS0_17counting_iteratorIjlEEPS9_SE_NS0_5tupleIJPjSE_EEENSF_IJSE_SE_EEES9_SG_JZNS1_25segmented_radix_sort_implINS0_14default_configELb1EPKdPdPKlPlN2at6native12_GLOBAL__N_18offset_tEEE10hipError_tPvRmT1_PNSt15iterator_traitsISY_E10value_typeET2_T3_PNSZ_IS14_E10value_typeET4_jRbjT5_S1A_jjP12ihipStream_tbEUljE_EEESV_SW_SX_S14_S18_S1A_T6_T7_T9_mT8_S1C_bDpT10_ENKUlT_T0_E_clISt17integral_constantIbLb1EES1O_IbLb0EEEEDaS1K_S1L_EUlS1K_E_NS1_11comp_targetILNS1_3genE5ELNS1_11target_archE942ELNS1_3gpuE9ELNS1_3repE0EEENS1_30default_config_static_selectorELNS0_4arch9wavefront6targetE1EEEvSY_.uses_vcc, 0
	.set _ZN7rocprim17ROCPRIM_400000_NS6detail17trampoline_kernelINS0_13select_configILj256ELj13ELNS0_17block_load_methodE3ELS4_3ELS4_3ELNS0_20block_scan_algorithmE0ELj4294967295EEENS1_25partition_config_selectorILNS1_17partition_subalgoE3EjNS0_10empty_typeEbEEZZNS1_14partition_implILS8_3ELb0ES6_jNS0_17counting_iteratorIjlEEPS9_SE_NS0_5tupleIJPjSE_EEENSF_IJSE_SE_EEES9_SG_JZNS1_25segmented_radix_sort_implINS0_14default_configELb1EPKdPdPKlPlN2at6native12_GLOBAL__N_18offset_tEEE10hipError_tPvRmT1_PNSt15iterator_traitsISY_E10value_typeET2_T3_PNSZ_IS14_E10value_typeET4_jRbjT5_S1A_jjP12ihipStream_tbEUljE_EEESV_SW_SX_S14_S18_S1A_T6_T7_T9_mT8_S1C_bDpT10_ENKUlT_T0_E_clISt17integral_constantIbLb1EES1O_IbLb0EEEEDaS1K_S1L_EUlS1K_E_NS1_11comp_targetILNS1_3genE5ELNS1_11target_archE942ELNS1_3gpuE9ELNS1_3repE0EEENS1_30default_config_static_selectorELNS0_4arch9wavefront6targetE1EEEvSY_.uses_flat_scratch, 0
	.set _ZN7rocprim17ROCPRIM_400000_NS6detail17trampoline_kernelINS0_13select_configILj256ELj13ELNS0_17block_load_methodE3ELS4_3ELS4_3ELNS0_20block_scan_algorithmE0ELj4294967295EEENS1_25partition_config_selectorILNS1_17partition_subalgoE3EjNS0_10empty_typeEbEEZZNS1_14partition_implILS8_3ELb0ES6_jNS0_17counting_iteratorIjlEEPS9_SE_NS0_5tupleIJPjSE_EEENSF_IJSE_SE_EEES9_SG_JZNS1_25segmented_radix_sort_implINS0_14default_configELb1EPKdPdPKlPlN2at6native12_GLOBAL__N_18offset_tEEE10hipError_tPvRmT1_PNSt15iterator_traitsISY_E10value_typeET2_T3_PNSZ_IS14_E10value_typeET4_jRbjT5_S1A_jjP12ihipStream_tbEUljE_EEESV_SW_SX_S14_S18_S1A_T6_T7_T9_mT8_S1C_bDpT10_ENKUlT_T0_E_clISt17integral_constantIbLb1EES1O_IbLb0EEEEDaS1K_S1L_EUlS1K_E_NS1_11comp_targetILNS1_3genE5ELNS1_11target_archE942ELNS1_3gpuE9ELNS1_3repE0EEENS1_30default_config_static_selectorELNS0_4arch9wavefront6targetE1EEEvSY_.has_dyn_sized_stack, 0
	.set _ZN7rocprim17ROCPRIM_400000_NS6detail17trampoline_kernelINS0_13select_configILj256ELj13ELNS0_17block_load_methodE3ELS4_3ELS4_3ELNS0_20block_scan_algorithmE0ELj4294967295EEENS1_25partition_config_selectorILNS1_17partition_subalgoE3EjNS0_10empty_typeEbEEZZNS1_14partition_implILS8_3ELb0ES6_jNS0_17counting_iteratorIjlEEPS9_SE_NS0_5tupleIJPjSE_EEENSF_IJSE_SE_EEES9_SG_JZNS1_25segmented_radix_sort_implINS0_14default_configELb1EPKdPdPKlPlN2at6native12_GLOBAL__N_18offset_tEEE10hipError_tPvRmT1_PNSt15iterator_traitsISY_E10value_typeET2_T3_PNSZ_IS14_E10value_typeET4_jRbjT5_S1A_jjP12ihipStream_tbEUljE_EEESV_SW_SX_S14_S18_S1A_T6_T7_T9_mT8_S1C_bDpT10_ENKUlT_T0_E_clISt17integral_constantIbLb1EES1O_IbLb0EEEEDaS1K_S1L_EUlS1K_E_NS1_11comp_targetILNS1_3genE5ELNS1_11target_archE942ELNS1_3gpuE9ELNS1_3repE0EEENS1_30default_config_static_selectorELNS0_4arch9wavefront6targetE1EEEvSY_.has_recursion, 0
	.set _ZN7rocprim17ROCPRIM_400000_NS6detail17trampoline_kernelINS0_13select_configILj256ELj13ELNS0_17block_load_methodE3ELS4_3ELS4_3ELNS0_20block_scan_algorithmE0ELj4294967295EEENS1_25partition_config_selectorILNS1_17partition_subalgoE3EjNS0_10empty_typeEbEEZZNS1_14partition_implILS8_3ELb0ES6_jNS0_17counting_iteratorIjlEEPS9_SE_NS0_5tupleIJPjSE_EEENSF_IJSE_SE_EEES9_SG_JZNS1_25segmented_radix_sort_implINS0_14default_configELb1EPKdPdPKlPlN2at6native12_GLOBAL__N_18offset_tEEE10hipError_tPvRmT1_PNSt15iterator_traitsISY_E10value_typeET2_T3_PNSZ_IS14_E10value_typeET4_jRbjT5_S1A_jjP12ihipStream_tbEUljE_EEESV_SW_SX_S14_S18_S1A_T6_T7_T9_mT8_S1C_bDpT10_ENKUlT_T0_E_clISt17integral_constantIbLb1EES1O_IbLb0EEEEDaS1K_S1L_EUlS1K_E_NS1_11comp_targetILNS1_3genE5ELNS1_11target_archE942ELNS1_3gpuE9ELNS1_3repE0EEENS1_30default_config_static_selectorELNS0_4arch9wavefront6targetE1EEEvSY_.has_indirect_call, 0
	.section	.AMDGPU.csdata,"",@progbits
; Kernel info:
; codeLenInByte = 0
; TotalNumSgprs: 4
; NumVgprs: 0
; ScratchSize: 0
; MemoryBound: 0
; FloatMode: 240
; IeeeMode: 1
; LDSByteSize: 0 bytes/workgroup (compile time only)
; SGPRBlocks: 0
; VGPRBlocks: 0
; NumSGPRsForWavesPerEU: 4
; NumVGPRsForWavesPerEU: 1
; Occupancy: 10
; WaveLimiterHint : 0
; COMPUTE_PGM_RSRC2:SCRATCH_EN: 0
; COMPUTE_PGM_RSRC2:USER_SGPR: 6
; COMPUTE_PGM_RSRC2:TRAP_HANDLER: 0
; COMPUTE_PGM_RSRC2:TGID_X_EN: 1
; COMPUTE_PGM_RSRC2:TGID_Y_EN: 0
; COMPUTE_PGM_RSRC2:TGID_Z_EN: 0
; COMPUTE_PGM_RSRC2:TIDIG_COMP_CNT: 0
	.section	.text._ZN7rocprim17ROCPRIM_400000_NS6detail17trampoline_kernelINS0_13select_configILj256ELj13ELNS0_17block_load_methodE3ELS4_3ELS4_3ELNS0_20block_scan_algorithmE0ELj4294967295EEENS1_25partition_config_selectorILNS1_17partition_subalgoE3EjNS0_10empty_typeEbEEZZNS1_14partition_implILS8_3ELb0ES6_jNS0_17counting_iteratorIjlEEPS9_SE_NS0_5tupleIJPjSE_EEENSF_IJSE_SE_EEES9_SG_JZNS1_25segmented_radix_sort_implINS0_14default_configELb1EPKdPdPKlPlN2at6native12_GLOBAL__N_18offset_tEEE10hipError_tPvRmT1_PNSt15iterator_traitsISY_E10value_typeET2_T3_PNSZ_IS14_E10value_typeET4_jRbjT5_S1A_jjP12ihipStream_tbEUljE_EEESV_SW_SX_S14_S18_S1A_T6_T7_T9_mT8_S1C_bDpT10_ENKUlT_T0_E_clISt17integral_constantIbLb1EES1O_IbLb0EEEEDaS1K_S1L_EUlS1K_E_NS1_11comp_targetILNS1_3genE4ELNS1_11target_archE910ELNS1_3gpuE8ELNS1_3repE0EEENS1_30default_config_static_selectorELNS0_4arch9wavefront6targetE1EEEvSY_,"axG",@progbits,_ZN7rocprim17ROCPRIM_400000_NS6detail17trampoline_kernelINS0_13select_configILj256ELj13ELNS0_17block_load_methodE3ELS4_3ELS4_3ELNS0_20block_scan_algorithmE0ELj4294967295EEENS1_25partition_config_selectorILNS1_17partition_subalgoE3EjNS0_10empty_typeEbEEZZNS1_14partition_implILS8_3ELb0ES6_jNS0_17counting_iteratorIjlEEPS9_SE_NS0_5tupleIJPjSE_EEENSF_IJSE_SE_EEES9_SG_JZNS1_25segmented_radix_sort_implINS0_14default_configELb1EPKdPdPKlPlN2at6native12_GLOBAL__N_18offset_tEEE10hipError_tPvRmT1_PNSt15iterator_traitsISY_E10value_typeET2_T3_PNSZ_IS14_E10value_typeET4_jRbjT5_S1A_jjP12ihipStream_tbEUljE_EEESV_SW_SX_S14_S18_S1A_T6_T7_T9_mT8_S1C_bDpT10_ENKUlT_T0_E_clISt17integral_constantIbLb1EES1O_IbLb0EEEEDaS1K_S1L_EUlS1K_E_NS1_11comp_targetILNS1_3genE4ELNS1_11target_archE910ELNS1_3gpuE8ELNS1_3repE0EEENS1_30default_config_static_selectorELNS0_4arch9wavefront6targetE1EEEvSY_,comdat
	.globl	_ZN7rocprim17ROCPRIM_400000_NS6detail17trampoline_kernelINS0_13select_configILj256ELj13ELNS0_17block_load_methodE3ELS4_3ELS4_3ELNS0_20block_scan_algorithmE0ELj4294967295EEENS1_25partition_config_selectorILNS1_17partition_subalgoE3EjNS0_10empty_typeEbEEZZNS1_14partition_implILS8_3ELb0ES6_jNS0_17counting_iteratorIjlEEPS9_SE_NS0_5tupleIJPjSE_EEENSF_IJSE_SE_EEES9_SG_JZNS1_25segmented_radix_sort_implINS0_14default_configELb1EPKdPdPKlPlN2at6native12_GLOBAL__N_18offset_tEEE10hipError_tPvRmT1_PNSt15iterator_traitsISY_E10value_typeET2_T3_PNSZ_IS14_E10value_typeET4_jRbjT5_S1A_jjP12ihipStream_tbEUljE_EEESV_SW_SX_S14_S18_S1A_T6_T7_T9_mT8_S1C_bDpT10_ENKUlT_T0_E_clISt17integral_constantIbLb1EES1O_IbLb0EEEEDaS1K_S1L_EUlS1K_E_NS1_11comp_targetILNS1_3genE4ELNS1_11target_archE910ELNS1_3gpuE8ELNS1_3repE0EEENS1_30default_config_static_selectorELNS0_4arch9wavefront6targetE1EEEvSY_ ; -- Begin function _ZN7rocprim17ROCPRIM_400000_NS6detail17trampoline_kernelINS0_13select_configILj256ELj13ELNS0_17block_load_methodE3ELS4_3ELS4_3ELNS0_20block_scan_algorithmE0ELj4294967295EEENS1_25partition_config_selectorILNS1_17partition_subalgoE3EjNS0_10empty_typeEbEEZZNS1_14partition_implILS8_3ELb0ES6_jNS0_17counting_iteratorIjlEEPS9_SE_NS0_5tupleIJPjSE_EEENSF_IJSE_SE_EEES9_SG_JZNS1_25segmented_radix_sort_implINS0_14default_configELb1EPKdPdPKlPlN2at6native12_GLOBAL__N_18offset_tEEE10hipError_tPvRmT1_PNSt15iterator_traitsISY_E10value_typeET2_T3_PNSZ_IS14_E10value_typeET4_jRbjT5_S1A_jjP12ihipStream_tbEUljE_EEESV_SW_SX_S14_S18_S1A_T6_T7_T9_mT8_S1C_bDpT10_ENKUlT_T0_E_clISt17integral_constantIbLb1EES1O_IbLb0EEEEDaS1K_S1L_EUlS1K_E_NS1_11comp_targetILNS1_3genE4ELNS1_11target_archE910ELNS1_3gpuE8ELNS1_3repE0EEENS1_30default_config_static_selectorELNS0_4arch9wavefront6targetE1EEEvSY_
	.p2align	8
	.type	_ZN7rocprim17ROCPRIM_400000_NS6detail17trampoline_kernelINS0_13select_configILj256ELj13ELNS0_17block_load_methodE3ELS4_3ELS4_3ELNS0_20block_scan_algorithmE0ELj4294967295EEENS1_25partition_config_selectorILNS1_17partition_subalgoE3EjNS0_10empty_typeEbEEZZNS1_14partition_implILS8_3ELb0ES6_jNS0_17counting_iteratorIjlEEPS9_SE_NS0_5tupleIJPjSE_EEENSF_IJSE_SE_EEES9_SG_JZNS1_25segmented_radix_sort_implINS0_14default_configELb1EPKdPdPKlPlN2at6native12_GLOBAL__N_18offset_tEEE10hipError_tPvRmT1_PNSt15iterator_traitsISY_E10value_typeET2_T3_PNSZ_IS14_E10value_typeET4_jRbjT5_S1A_jjP12ihipStream_tbEUljE_EEESV_SW_SX_S14_S18_S1A_T6_T7_T9_mT8_S1C_bDpT10_ENKUlT_T0_E_clISt17integral_constantIbLb1EES1O_IbLb0EEEEDaS1K_S1L_EUlS1K_E_NS1_11comp_targetILNS1_3genE4ELNS1_11target_archE910ELNS1_3gpuE8ELNS1_3repE0EEENS1_30default_config_static_selectorELNS0_4arch9wavefront6targetE1EEEvSY_,@function
_ZN7rocprim17ROCPRIM_400000_NS6detail17trampoline_kernelINS0_13select_configILj256ELj13ELNS0_17block_load_methodE3ELS4_3ELS4_3ELNS0_20block_scan_algorithmE0ELj4294967295EEENS1_25partition_config_selectorILNS1_17partition_subalgoE3EjNS0_10empty_typeEbEEZZNS1_14partition_implILS8_3ELb0ES6_jNS0_17counting_iteratorIjlEEPS9_SE_NS0_5tupleIJPjSE_EEENSF_IJSE_SE_EEES9_SG_JZNS1_25segmented_radix_sort_implINS0_14default_configELb1EPKdPdPKlPlN2at6native12_GLOBAL__N_18offset_tEEE10hipError_tPvRmT1_PNSt15iterator_traitsISY_E10value_typeET2_T3_PNSZ_IS14_E10value_typeET4_jRbjT5_S1A_jjP12ihipStream_tbEUljE_EEESV_SW_SX_S14_S18_S1A_T6_T7_T9_mT8_S1C_bDpT10_ENKUlT_T0_E_clISt17integral_constantIbLb1EES1O_IbLb0EEEEDaS1K_S1L_EUlS1K_E_NS1_11comp_targetILNS1_3genE4ELNS1_11target_archE910ELNS1_3gpuE8ELNS1_3repE0EEENS1_30default_config_static_selectorELNS0_4arch9wavefront6targetE1EEEvSY_: ; @_ZN7rocprim17ROCPRIM_400000_NS6detail17trampoline_kernelINS0_13select_configILj256ELj13ELNS0_17block_load_methodE3ELS4_3ELS4_3ELNS0_20block_scan_algorithmE0ELj4294967295EEENS1_25partition_config_selectorILNS1_17partition_subalgoE3EjNS0_10empty_typeEbEEZZNS1_14partition_implILS8_3ELb0ES6_jNS0_17counting_iteratorIjlEEPS9_SE_NS0_5tupleIJPjSE_EEENSF_IJSE_SE_EEES9_SG_JZNS1_25segmented_radix_sort_implINS0_14default_configELb1EPKdPdPKlPlN2at6native12_GLOBAL__N_18offset_tEEE10hipError_tPvRmT1_PNSt15iterator_traitsISY_E10value_typeET2_T3_PNSZ_IS14_E10value_typeET4_jRbjT5_S1A_jjP12ihipStream_tbEUljE_EEESV_SW_SX_S14_S18_S1A_T6_T7_T9_mT8_S1C_bDpT10_ENKUlT_T0_E_clISt17integral_constantIbLb1EES1O_IbLb0EEEEDaS1K_S1L_EUlS1K_E_NS1_11comp_targetILNS1_3genE4ELNS1_11target_archE910ELNS1_3gpuE8ELNS1_3repE0EEENS1_30default_config_static_selectorELNS0_4arch9wavefront6targetE1EEEvSY_
; %bb.0:
	.section	.rodata,"a",@progbits
	.p2align	6, 0x0
	.amdhsa_kernel _ZN7rocprim17ROCPRIM_400000_NS6detail17trampoline_kernelINS0_13select_configILj256ELj13ELNS0_17block_load_methodE3ELS4_3ELS4_3ELNS0_20block_scan_algorithmE0ELj4294967295EEENS1_25partition_config_selectorILNS1_17partition_subalgoE3EjNS0_10empty_typeEbEEZZNS1_14partition_implILS8_3ELb0ES6_jNS0_17counting_iteratorIjlEEPS9_SE_NS0_5tupleIJPjSE_EEENSF_IJSE_SE_EEES9_SG_JZNS1_25segmented_radix_sort_implINS0_14default_configELb1EPKdPdPKlPlN2at6native12_GLOBAL__N_18offset_tEEE10hipError_tPvRmT1_PNSt15iterator_traitsISY_E10value_typeET2_T3_PNSZ_IS14_E10value_typeET4_jRbjT5_S1A_jjP12ihipStream_tbEUljE_EEESV_SW_SX_S14_S18_S1A_T6_T7_T9_mT8_S1C_bDpT10_ENKUlT_T0_E_clISt17integral_constantIbLb1EES1O_IbLb0EEEEDaS1K_S1L_EUlS1K_E_NS1_11comp_targetILNS1_3genE4ELNS1_11target_archE910ELNS1_3gpuE8ELNS1_3repE0EEENS1_30default_config_static_selectorELNS0_4arch9wavefront6targetE1EEEvSY_
		.amdhsa_group_segment_fixed_size 0
		.amdhsa_private_segment_fixed_size 0
		.amdhsa_kernarg_size 144
		.amdhsa_user_sgpr_count 6
		.amdhsa_user_sgpr_private_segment_buffer 1
		.amdhsa_user_sgpr_dispatch_ptr 0
		.amdhsa_user_sgpr_queue_ptr 0
		.amdhsa_user_sgpr_kernarg_segment_ptr 1
		.amdhsa_user_sgpr_dispatch_id 0
		.amdhsa_user_sgpr_flat_scratch_init 0
		.amdhsa_user_sgpr_private_segment_size 0
		.amdhsa_uses_dynamic_stack 0
		.amdhsa_system_sgpr_private_segment_wavefront_offset 0
		.amdhsa_system_sgpr_workgroup_id_x 1
		.amdhsa_system_sgpr_workgroup_id_y 0
		.amdhsa_system_sgpr_workgroup_id_z 0
		.amdhsa_system_sgpr_workgroup_info 0
		.amdhsa_system_vgpr_workitem_id 0
		.amdhsa_next_free_vgpr 1
		.amdhsa_next_free_sgpr 0
		.amdhsa_reserve_vcc 0
		.amdhsa_reserve_flat_scratch 0
		.amdhsa_float_round_mode_32 0
		.amdhsa_float_round_mode_16_64 0
		.amdhsa_float_denorm_mode_32 3
		.amdhsa_float_denorm_mode_16_64 3
		.amdhsa_dx10_clamp 1
		.amdhsa_ieee_mode 1
		.amdhsa_fp16_overflow 0
		.amdhsa_exception_fp_ieee_invalid_op 0
		.amdhsa_exception_fp_denorm_src 0
		.amdhsa_exception_fp_ieee_div_zero 0
		.amdhsa_exception_fp_ieee_overflow 0
		.amdhsa_exception_fp_ieee_underflow 0
		.amdhsa_exception_fp_ieee_inexact 0
		.amdhsa_exception_int_div_zero 0
	.end_amdhsa_kernel
	.section	.text._ZN7rocprim17ROCPRIM_400000_NS6detail17trampoline_kernelINS0_13select_configILj256ELj13ELNS0_17block_load_methodE3ELS4_3ELS4_3ELNS0_20block_scan_algorithmE0ELj4294967295EEENS1_25partition_config_selectorILNS1_17partition_subalgoE3EjNS0_10empty_typeEbEEZZNS1_14partition_implILS8_3ELb0ES6_jNS0_17counting_iteratorIjlEEPS9_SE_NS0_5tupleIJPjSE_EEENSF_IJSE_SE_EEES9_SG_JZNS1_25segmented_radix_sort_implINS0_14default_configELb1EPKdPdPKlPlN2at6native12_GLOBAL__N_18offset_tEEE10hipError_tPvRmT1_PNSt15iterator_traitsISY_E10value_typeET2_T3_PNSZ_IS14_E10value_typeET4_jRbjT5_S1A_jjP12ihipStream_tbEUljE_EEESV_SW_SX_S14_S18_S1A_T6_T7_T9_mT8_S1C_bDpT10_ENKUlT_T0_E_clISt17integral_constantIbLb1EES1O_IbLb0EEEEDaS1K_S1L_EUlS1K_E_NS1_11comp_targetILNS1_3genE4ELNS1_11target_archE910ELNS1_3gpuE8ELNS1_3repE0EEENS1_30default_config_static_selectorELNS0_4arch9wavefront6targetE1EEEvSY_,"axG",@progbits,_ZN7rocprim17ROCPRIM_400000_NS6detail17trampoline_kernelINS0_13select_configILj256ELj13ELNS0_17block_load_methodE3ELS4_3ELS4_3ELNS0_20block_scan_algorithmE0ELj4294967295EEENS1_25partition_config_selectorILNS1_17partition_subalgoE3EjNS0_10empty_typeEbEEZZNS1_14partition_implILS8_3ELb0ES6_jNS0_17counting_iteratorIjlEEPS9_SE_NS0_5tupleIJPjSE_EEENSF_IJSE_SE_EEES9_SG_JZNS1_25segmented_radix_sort_implINS0_14default_configELb1EPKdPdPKlPlN2at6native12_GLOBAL__N_18offset_tEEE10hipError_tPvRmT1_PNSt15iterator_traitsISY_E10value_typeET2_T3_PNSZ_IS14_E10value_typeET4_jRbjT5_S1A_jjP12ihipStream_tbEUljE_EEESV_SW_SX_S14_S18_S1A_T6_T7_T9_mT8_S1C_bDpT10_ENKUlT_T0_E_clISt17integral_constantIbLb1EES1O_IbLb0EEEEDaS1K_S1L_EUlS1K_E_NS1_11comp_targetILNS1_3genE4ELNS1_11target_archE910ELNS1_3gpuE8ELNS1_3repE0EEENS1_30default_config_static_selectorELNS0_4arch9wavefront6targetE1EEEvSY_,comdat
.Lfunc_end1104:
	.size	_ZN7rocprim17ROCPRIM_400000_NS6detail17trampoline_kernelINS0_13select_configILj256ELj13ELNS0_17block_load_methodE3ELS4_3ELS4_3ELNS0_20block_scan_algorithmE0ELj4294967295EEENS1_25partition_config_selectorILNS1_17partition_subalgoE3EjNS0_10empty_typeEbEEZZNS1_14partition_implILS8_3ELb0ES6_jNS0_17counting_iteratorIjlEEPS9_SE_NS0_5tupleIJPjSE_EEENSF_IJSE_SE_EEES9_SG_JZNS1_25segmented_radix_sort_implINS0_14default_configELb1EPKdPdPKlPlN2at6native12_GLOBAL__N_18offset_tEEE10hipError_tPvRmT1_PNSt15iterator_traitsISY_E10value_typeET2_T3_PNSZ_IS14_E10value_typeET4_jRbjT5_S1A_jjP12ihipStream_tbEUljE_EEESV_SW_SX_S14_S18_S1A_T6_T7_T9_mT8_S1C_bDpT10_ENKUlT_T0_E_clISt17integral_constantIbLb1EES1O_IbLb0EEEEDaS1K_S1L_EUlS1K_E_NS1_11comp_targetILNS1_3genE4ELNS1_11target_archE910ELNS1_3gpuE8ELNS1_3repE0EEENS1_30default_config_static_selectorELNS0_4arch9wavefront6targetE1EEEvSY_, .Lfunc_end1104-_ZN7rocprim17ROCPRIM_400000_NS6detail17trampoline_kernelINS0_13select_configILj256ELj13ELNS0_17block_load_methodE3ELS4_3ELS4_3ELNS0_20block_scan_algorithmE0ELj4294967295EEENS1_25partition_config_selectorILNS1_17partition_subalgoE3EjNS0_10empty_typeEbEEZZNS1_14partition_implILS8_3ELb0ES6_jNS0_17counting_iteratorIjlEEPS9_SE_NS0_5tupleIJPjSE_EEENSF_IJSE_SE_EEES9_SG_JZNS1_25segmented_radix_sort_implINS0_14default_configELb1EPKdPdPKlPlN2at6native12_GLOBAL__N_18offset_tEEE10hipError_tPvRmT1_PNSt15iterator_traitsISY_E10value_typeET2_T3_PNSZ_IS14_E10value_typeET4_jRbjT5_S1A_jjP12ihipStream_tbEUljE_EEESV_SW_SX_S14_S18_S1A_T6_T7_T9_mT8_S1C_bDpT10_ENKUlT_T0_E_clISt17integral_constantIbLb1EES1O_IbLb0EEEEDaS1K_S1L_EUlS1K_E_NS1_11comp_targetILNS1_3genE4ELNS1_11target_archE910ELNS1_3gpuE8ELNS1_3repE0EEENS1_30default_config_static_selectorELNS0_4arch9wavefront6targetE1EEEvSY_
                                        ; -- End function
	.set _ZN7rocprim17ROCPRIM_400000_NS6detail17trampoline_kernelINS0_13select_configILj256ELj13ELNS0_17block_load_methodE3ELS4_3ELS4_3ELNS0_20block_scan_algorithmE0ELj4294967295EEENS1_25partition_config_selectorILNS1_17partition_subalgoE3EjNS0_10empty_typeEbEEZZNS1_14partition_implILS8_3ELb0ES6_jNS0_17counting_iteratorIjlEEPS9_SE_NS0_5tupleIJPjSE_EEENSF_IJSE_SE_EEES9_SG_JZNS1_25segmented_radix_sort_implINS0_14default_configELb1EPKdPdPKlPlN2at6native12_GLOBAL__N_18offset_tEEE10hipError_tPvRmT1_PNSt15iterator_traitsISY_E10value_typeET2_T3_PNSZ_IS14_E10value_typeET4_jRbjT5_S1A_jjP12ihipStream_tbEUljE_EEESV_SW_SX_S14_S18_S1A_T6_T7_T9_mT8_S1C_bDpT10_ENKUlT_T0_E_clISt17integral_constantIbLb1EES1O_IbLb0EEEEDaS1K_S1L_EUlS1K_E_NS1_11comp_targetILNS1_3genE4ELNS1_11target_archE910ELNS1_3gpuE8ELNS1_3repE0EEENS1_30default_config_static_selectorELNS0_4arch9wavefront6targetE1EEEvSY_.num_vgpr, 0
	.set _ZN7rocprim17ROCPRIM_400000_NS6detail17trampoline_kernelINS0_13select_configILj256ELj13ELNS0_17block_load_methodE3ELS4_3ELS4_3ELNS0_20block_scan_algorithmE0ELj4294967295EEENS1_25partition_config_selectorILNS1_17partition_subalgoE3EjNS0_10empty_typeEbEEZZNS1_14partition_implILS8_3ELb0ES6_jNS0_17counting_iteratorIjlEEPS9_SE_NS0_5tupleIJPjSE_EEENSF_IJSE_SE_EEES9_SG_JZNS1_25segmented_radix_sort_implINS0_14default_configELb1EPKdPdPKlPlN2at6native12_GLOBAL__N_18offset_tEEE10hipError_tPvRmT1_PNSt15iterator_traitsISY_E10value_typeET2_T3_PNSZ_IS14_E10value_typeET4_jRbjT5_S1A_jjP12ihipStream_tbEUljE_EEESV_SW_SX_S14_S18_S1A_T6_T7_T9_mT8_S1C_bDpT10_ENKUlT_T0_E_clISt17integral_constantIbLb1EES1O_IbLb0EEEEDaS1K_S1L_EUlS1K_E_NS1_11comp_targetILNS1_3genE4ELNS1_11target_archE910ELNS1_3gpuE8ELNS1_3repE0EEENS1_30default_config_static_selectorELNS0_4arch9wavefront6targetE1EEEvSY_.num_agpr, 0
	.set _ZN7rocprim17ROCPRIM_400000_NS6detail17trampoline_kernelINS0_13select_configILj256ELj13ELNS0_17block_load_methodE3ELS4_3ELS4_3ELNS0_20block_scan_algorithmE0ELj4294967295EEENS1_25partition_config_selectorILNS1_17partition_subalgoE3EjNS0_10empty_typeEbEEZZNS1_14partition_implILS8_3ELb0ES6_jNS0_17counting_iteratorIjlEEPS9_SE_NS0_5tupleIJPjSE_EEENSF_IJSE_SE_EEES9_SG_JZNS1_25segmented_radix_sort_implINS0_14default_configELb1EPKdPdPKlPlN2at6native12_GLOBAL__N_18offset_tEEE10hipError_tPvRmT1_PNSt15iterator_traitsISY_E10value_typeET2_T3_PNSZ_IS14_E10value_typeET4_jRbjT5_S1A_jjP12ihipStream_tbEUljE_EEESV_SW_SX_S14_S18_S1A_T6_T7_T9_mT8_S1C_bDpT10_ENKUlT_T0_E_clISt17integral_constantIbLb1EES1O_IbLb0EEEEDaS1K_S1L_EUlS1K_E_NS1_11comp_targetILNS1_3genE4ELNS1_11target_archE910ELNS1_3gpuE8ELNS1_3repE0EEENS1_30default_config_static_selectorELNS0_4arch9wavefront6targetE1EEEvSY_.numbered_sgpr, 0
	.set _ZN7rocprim17ROCPRIM_400000_NS6detail17trampoline_kernelINS0_13select_configILj256ELj13ELNS0_17block_load_methodE3ELS4_3ELS4_3ELNS0_20block_scan_algorithmE0ELj4294967295EEENS1_25partition_config_selectorILNS1_17partition_subalgoE3EjNS0_10empty_typeEbEEZZNS1_14partition_implILS8_3ELb0ES6_jNS0_17counting_iteratorIjlEEPS9_SE_NS0_5tupleIJPjSE_EEENSF_IJSE_SE_EEES9_SG_JZNS1_25segmented_radix_sort_implINS0_14default_configELb1EPKdPdPKlPlN2at6native12_GLOBAL__N_18offset_tEEE10hipError_tPvRmT1_PNSt15iterator_traitsISY_E10value_typeET2_T3_PNSZ_IS14_E10value_typeET4_jRbjT5_S1A_jjP12ihipStream_tbEUljE_EEESV_SW_SX_S14_S18_S1A_T6_T7_T9_mT8_S1C_bDpT10_ENKUlT_T0_E_clISt17integral_constantIbLb1EES1O_IbLb0EEEEDaS1K_S1L_EUlS1K_E_NS1_11comp_targetILNS1_3genE4ELNS1_11target_archE910ELNS1_3gpuE8ELNS1_3repE0EEENS1_30default_config_static_selectorELNS0_4arch9wavefront6targetE1EEEvSY_.num_named_barrier, 0
	.set _ZN7rocprim17ROCPRIM_400000_NS6detail17trampoline_kernelINS0_13select_configILj256ELj13ELNS0_17block_load_methodE3ELS4_3ELS4_3ELNS0_20block_scan_algorithmE0ELj4294967295EEENS1_25partition_config_selectorILNS1_17partition_subalgoE3EjNS0_10empty_typeEbEEZZNS1_14partition_implILS8_3ELb0ES6_jNS0_17counting_iteratorIjlEEPS9_SE_NS0_5tupleIJPjSE_EEENSF_IJSE_SE_EEES9_SG_JZNS1_25segmented_radix_sort_implINS0_14default_configELb1EPKdPdPKlPlN2at6native12_GLOBAL__N_18offset_tEEE10hipError_tPvRmT1_PNSt15iterator_traitsISY_E10value_typeET2_T3_PNSZ_IS14_E10value_typeET4_jRbjT5_S1A_jjP12ihipStream_tbEUljE_EEESV_SW_SX_S14_S18_S1A_T6_T7_T9_mT8_S1C_bDpT10_ENKUlT_T0_E_clISt17integral_constantIbLb1EES1O_IbLb0EEEEDaS1K_S1L_EUlS1K_E_NS1_11comp_targetILNS1_3genE4ELNS1_11target_archE910ELNS1_3gpuE8ELNS1_3repE0EEENS1_30default_config_static_selectorELNS0_4arch9wavefront6targetE1EEEvSY_.private_seg_size, 0
	.set _ZN7rocprim17ROCPRIM_400000_NS6detail17trampoline_kernelINS0_13select_configILj256ELj13ELNS0_17block_load_methodE3ELS4_3ELS4_3ELNS0_20block_scan_algorithmE0ELj4294967295EEENS1_25partition_config_selectorILNS1_17partition_subalgoE3EjNS0_10empty_typeEbEEZZNS1_14partition_implILS8_3ELb0ES6_jNS0_17counting_iteratorIjlEEPS9_SE_NS0_5tupleIJPjSE_EEENSF_IJSE_SE_EEES9_SG_JZNS1_25segmented_radix_sort_implINS0_14default_configELb1EPKdPdPKlPlN2at6native12_GLOBAL__N_18offset_tEEE10hipError_tPvRmT1_PNSt15iterator_traitsISY_E10value_typeET2_T3_PNSZ_IS14_E10value_typeET4_jRbjT5_S1A_jjP12ihipStream_tbEUljE_EEESV_SW_SX_S14_S18_S1A_T6_T7_T9_mT8_S1C_bDpT10_ENKUlT_T0_E_clISt17integral_constantIbLb1EES1O_IbLb0EEEEDaS1K_S1L_EUlS1K_E_NS1_11comp_targetILNS1_3genE4ELNS1_11target_archE910ELNS1_3gpuE8ELNS1_3repE0EEENS1_30default_config_static_selectorELNS0_4arch9wavefront6targetE1EEEvSY_.uses_vcc, 0
	.set _ZN7rocprim17ROCPRIM_400000_NS6detail17trampoline_kernelINS0_13select_configILj256ELj13ELNS0_17block_load_methodE3ELS4_3ELS4_3ELNS0_20block_scan_algorithmE0ELj4294967295EEENS1_25partition_config_selectorILNS1_17partition_subalgoE3EjNS0_10empty_typeEbEEZZNS1_14partition_implILS8_3ELb0ES6_jNS0_17counting_iteratorIjlEEPS9_SE_NS0_5tupleIJPjSE_EEENSF_IJSE_SE_EEES9_SG_JZNS1_25segmented_radix_sort_implINS0_14default_configELb1EPKdPdPKlPlN2at6native12_GLOBAL__N_18offset_tEEE10hipError_tPvRmT1_PNSt15iterator_traitsISY_E10value_typeET2_T3_PNSZ_IS14_E10value_typeET4_jRbjT5_S1A_jjP12ihipStream_tbEUljE_EEESV_SW_SX_S14_S18_S1A_T6_T7_T9_mT8_S1C_bDpT10_ENKUlT_T0_E_clISt17integral_constantIbLb1EES1O_IbLb0EEEEDaS1K_S1L_EUlS1K_E_NS1_11comp_targetILNS1_3genE4ELNS1_11target_archE910ELNS1_3gpuE8ELNS1_3repE0EEENS1_30default_config_static_selectorELNS0_4arch9wavefront6targetE1EEEvSY_.uses_flat_scratch, 0
	.set _ZN7rocprim17ROCPRIM_400000_NS6detail17trampoline_kernelINS0_13select_configILj256ELj13ELNS0_17block_load_methodE3ELS4_3ELS4_3ELNS0_20block_scan_algorithmE0ELj4294967295EEENS1_25partition_config_selectorILNS1_17partition_subalgoE3EjNS0_10empty_typeEbEEZZNS1_14partition_implILS8_3ELb0ES6_jNS0_17counting_iteratorIjlEEPS9_SE_NS0_5tupleIJPjSE_EEENSF_IJSE_SE_EEES9_SG_JZNS1_25segmented_radix_sort_implINS0_14default_configELb1EPKdPdPKlPlN2at6native12_GLOBAL__N_18offset_tEEE10hipError_tPvRmT1_PNSt15iterator_traitsISY_E10value_typeET2_T3_PNSZ_IS14_E10value_typeET4_jRbjT5_S1A_jjP12ihipStream_tbEUljE_EEESV_SW_SX_S14_S18_S1A_T6_T7_T9_mT8_S1C_bDpT10_ENKUlT_T0_E_clISt17integral_constantIbLb1EES1O_IbLb0EEEEDaS1K_S1L_EUlS1K_E_NS1_11comp_targetILNS1_3genE4ELNS1_11target_archE910ELNS1_3gpuE8ELNS1_3repE0EEENS1_30default_config_static_selectorELNS0_4arch9wavefront6targetE1EEEvSY_.has_dyn_sized_stack, 0
	.set _ZN7rocprim17ROCPRIM_400000_NS6detail17trampoline_kernelINS0_13select_configILj256ELj13ELNS0_17block_load_methodE3ELS4_3ELS4_3ELNS0_20block_scan_algorithmE0ELj4294967295EEENS1_25partition_config_selectorILNS1_17partition_subalgoE3EjNS0_10empty_typeEbEEZZNS1_14partition_implILS8_3ELb0ES6_jNS0_17counting_iteratorIjlEEPS9_SE_NS0_5tupleIJPjSE_EEENSF_IJSE_SE_EEES9_SG_JZNS1_25segmented_radix_sort_implINS0_14default_configELb1EPKdPdPKlPlN2at6native12_GLOBAL__N_18offset_tEEE10hipError_tPvRmT1_PNSt15iterator_traitsISY_E10value_typeET2_T3_PNSZ_IS14_E10value_typeET4_jRbjT5_S1A_jjP12ihipStream_tbEUljE_EEESV_SW_SX_S14_S18_S1A_T6_T7_T9_mT8_S1C_bDpT10_ENKUlT_T0_E_clISt17integral_constantIbLb1EES1O_IbLb0EEEEDaS1K_S1L_EUlS1K_E_NS1_11comp_targetILNS1_3genE4ELNS1_11target_archE910ELNS1_3gpuE8ELNS1_3repE0EEENS1_30default_config_static_selectorELNS0_4arch9wavefront6targetE1EEEvSY_.has_recursion, 0
	.set _ZN7rocprim17ROCPRIM_400000_NS6detail17trampoline_kernelINS0_13select_configILj256ELj13ELNS0_17block_load_methodE3ELS4_3ELS4_3ELNS0_20block_scan_algorithmE0ELj4294967295EEENS1_25partition_config_selectorILNS1_17partition_subalgoE3EjNS0_10empty_typeEbEEZZNS1_14partition_implILS8_3ELb0ES6_jNS0_17counting_iteratorIjlEEPS9_SE_NS0_5tupleIJPjSE_EEENSF_IJSE_SE_EEES9_SG_JZNS1_25segmented_radix_sort_implINS0_14default_configELb1EPKdPdPKlPlN2at6native12_GLOBAL__N_18offset_tEEE10hipError_tPvRmT1_PNSt15iterator_traitsISY_E10value_typeET2_T3_PNSZ_IS14_E10value_typeET4_jRbjT5_S1A_jjP12ihipStream_tbEUljE_EEESV_SW_SX_S14_S18_S1A_T6_T7_T9_mT8_S1C_bDpT10_ENKUlT_T0_E_clISt17integral_constantIbLb1EES1O_IbLb0EEEEDaS1K_S1L_EUlS1K_E_NS1_11comp_targetILNS1_3genE4ELNS1_11target_archE910ELNS1_3gpuE8ELNS1_3repE0EEENS1_30default_config_static_selectorELNS0_4arch9wavefront6targetE1EEEvSY_.has_indirect_call, 0
	.section	.AMDGPU.csdata,"",@progbits
; Kernel info:
; codeLenInByte = 0
; TotalNumSgprs: 4
; NumVgprs: 0
; ScratchSize: 0
; MemoryBound: 0
; FloatMode: 240
; IeeeMode: 1
; LDSByteSize: 0 bytes/workgroup (compile time only)
; SGPRBlocks: 0
; VGPRBlocks: 0
; NumSGPRsForWavesPerEU: 4
; NumVGPRsForWavesPerEU: 1
; Occupancy: 10
; WaveLimiterHint : 0
; COMPUTE_PGM_RSRC2:SCRATCH_EN: 0
; COMPUTE_PGM_RSRC2:USER_SGPR: 6
; COMPUTE_PGM_RSRC2:TRAP_HANDLER: 0
; COMPUTE_PGM_RSRC2:TGID_X_EN: 1
; COMPUTE_PGM_RSRC2:TGID_Y_EN: 0
; COMPUTE_PGM_RSRC2:TGID_Z_EN: 0
; COMPUTE_PGM_RSRC2:TIDIG_COMP_CNT: 0
	.section	.text._ZN7rocprim17ROCPRIM_400000_NS6detail17trampoline_kernelINS0_13select_configILj256ELj13ELNS0_17block_load_methodE3ELS4_3ELS4_3ELNS0_20block_scan_algorithmE0ELj4294967295EEENS1_25partition_config_selectorILNS1_17partition_subalgoE3EjNS0_10empty_typeEbEEZZNS1_14partition_implILS8_3ELb0ES6_jNS0_17counting_iteratorIjlEEPS9_SE_NS0_5tupleIJPjSE_EEENSF_IJSE_SE_EEES9_SG_JZNS1_25segmented_radix_sort_implINS0_14default_configELb1EPKdPdPKlPlN2at6native12_GLOBAL__N_18offset_tEEE10hipError_tPvRmT1_PNSt15iterator_traitsISY_E10value_typeET2_T3_PNSZ_IS14_E10value_typeET4_jRbjT5_S1A_jjP12ihipStream_tbEUljE_EEESV_SW_SX_S14_S18_S1A_T6_T7_T9_mT8_S1C_bDpT10_ENKUlT_T0_E_clISt17integral_constantIbLb1EES1O_IbLb0EEEEDaS1K_S1L_EUlS1K_E_NS1_11comp_targetILNS1_3genE3ELNS1_11target_archE908ELNS1_3gpuE7ELNS1_3repE0EEENS1_30default_config_static_selectorELNS0_4arch9wavefront6targetE1EEEvSY_,"axG",@progbits,_ZN7rocprim17ROCPRIM_400000_NS6detail17trampoline_kernelINS0_13select_configILj256ELj13ELNS0_17block_load_methodE3ELS4_3ELS4_3ELNS0_20block_scan_algorithmE0ELj4294967295EEENS1_25partition_config_selectorILNS1_17partition_subalgoE3EjNS0_10empty_typeEbEEZZNS1_14partition_implILS8_3ELb0ES6_jNS0_17counting_iteratorIjlEEPS9_SE_NS0_5tupleIJPjSE_EEENSF_IJSE_SE_EEES9_SG_JZNS1_25segmented_radix_sort_implINS0_14default_configELb1EPKdPdPKlPlN2at6native12_GLOBAL__N_18offset_tEEE10hipError_tPvRmT1_PNSt15iterator_traitsISY_E10value_typeET2_T3_PNSZ_IS14_E10value_typeET4_jRbjT5_S1A_jjP12ihipStream_tbEUljE_EEESV_SW_SX_S14_S18_S1A_T6_T7_T9_mT8_S1C_bDpT10_ENKUlT_T0_E_clISt17integral_constantIbLb1EES1O_IbLb0EEEEDaS1K_S1L_EUlS1K_E_NS1_11comp_targetILNS1_3genE3ELNS1_11target_archE908ELNS1_3gpuE7ELNS1_3repE0EEENS1_30default_config_static_selectorELNS0_4arch9wavefront6targetE1EEEvSY_,comdat
	.globl	_ZN7rocprim17ROCPRIM_400000_NS6detail17trampoline_kernelINS0_13select_configILj256ELj13ELNS0_17block_load_methodE3ELS4_3ELS4_3ELNS0_20block_scan_algorithmE0ELj4294967295EEENS1_25partition_config_selectorILNS1_17partition_subalgoE3EjNS0_10empty_typeEbEEZZNS1_14partition_implILS8_3ELb0ES6_jNS0_17counting_iteratorIjlEEPS9_SE_NS0_5tupleIJPjSE_EEENSF_IJSE_SE_EEES9_SG_JZNS1_25segmented_radix_sort_implINS0_14default_configELb1EPKdPdPKlPlN2at6native12_GLOBAL__N_18offset_tEEE10hipError_tPvRmT1_PNSt15iterator_traitsISY_E10value_typeET2_T3_PNSZ_IS14_E10value_typeET4_jRbjT5_S1A_jjP12ihipStream_tbEUljE_EEESV_SW_SX_S14_S18_S1A_T6_T7_T9_mT8_S1C_bDpT10_ENKUlT_T0_E_clISt17integral_constantIbLb1EES1O_IbLb0EEEEDaS1K_S1L_EUlS1K_E_NS1_11comp_targetILNS1_3genE3ELNS1_11target_archE908ELNS1_3gpuE7ELNS1_3repE0EEENS1_30default_config_static_selectorELNS0_4arch9wavefront6targetE1EEEvSY_ ; -- Begin function _ZN7rocprim17ROCPRIM_400000_NS6detail17trampoline_kernelINS0_13select_configILj256ELj13ELNS0_17block_load_methodE3ELS4_3ELS4_3ELNS0_20block_scan_algorithmE0ELj4294967295EEENS1_25partition_config_selectorILNS1_17partition_subalgoE3EjNS0_10empty_typeEbEEZZNS1_14partition_implILS8_3ELb0ES6_jNS0_17counting_iteratorIjlEEPS9_SE_NS0_5tupleIJPjSE_EEENSF_IJSE_SE_EEES9_SG_JZNS1_25segmented_radix_sort_implINS0_14default_configELb1EPKdPdPKlPlN2at6native12_GLOBAL__N_18offset_tEEE10hipError_tPvRmT1_PNSt15iterator_traitsISY_E10value_typeET2_T3_PNSZ_IS14_E10value_typeET4_jRbjT5_S1A_jjP12ihipStream_tbEUljE_EEESV_SW_SX_S14_S18_S1A_T6_T7_T9_mT8_S1C_bDpT10_ENKUlT_T0_E_clISt17integral_constantIbLb1EES1O_IbLb0EEEEDaS1K_S1L_EUlS1K_E_NS1_11comp_targetILNS1_3genE3ELNS1_11target_archE908ELNS1_3gpuE7ELNS1_3repE0EEENS1_30default_config_static_selectorELNS0_4arch9wavefront6targetE1EEEvSY_
	.p2align	8
	.type	_ZN7rocprim17ROCPRIM_400000_NS6detail17trampoline_kernelINS0_13select_configILj256ELj13ELNS0_17block_load_methodE3ELS4_3ELS4_3ELNS0_20block_scan_algorithmE0ELj4294967295EEENS1_25partition_config_selectorILNS1_17partition_subalgoE3EjNS0_10empty_typeEbEEZZNS1_14partition_implILS8_3ELb0ES6_jNS0_17counting_iteratorIjlEEPS9_SE_NS0_5tupleIJPjSE_EEENSF_IJSE_SE_EEES9_SG_JZNS1_25segmented_radix_sort_implINS0_14default_configELb1EPKdPdPKlPlN2at6native12_GLOBAL__N_18offset_tEEE10hipError_tPvRmT1_PNSt15iterator_traitsISY_E10value_typeET2_T3_PNSZ_IS14_E10value_typeET4_jRbjT5_S1A_jjP12ihipStream_tbEUljE_EEESV_SW_SX_S14_S18_S1A_T6_T7_T9_mT8_S1C_bDpT10_ENKUlT_T0_E_clISt17integral_constantIbLb1EES1O_IbLb0EEEEDaS1K_S1L_EUlS1K_E_NS1_11comp_targetILNS1_3genE3ELNS1_11target_archE908ELNS1_3gpuE7ELNS1_3repE0EEENS1_30default_config_static_selectorELNS0_4arch9wavefront6targetE1EEEvSY_,@function
_ZN7rocprim17ROCPRIM_400000_NS6detail17trampoline_kernelINS0_13select_configILj256ELj13ELNS0_17block_load_methodE3ELS4_3ELS4_3ELNS0_20block_scan_algorithmE0ELj4294967295EEENS1_25partition_config_selectorILNS1_17partition_subalgoE3EjNS0_10empty_typeEbEEZZNS1_14partition_implILS8_3ELb0ES6_jNS0_17counting_iteratorIjlEEPS9_SE_NS0_5tupleIJPjSE_EEENSF_IJSE_SE_EEES9_SG_JZNS1_25segmented_radix_sort_implINS0_14default_configELb1EPKdPdPKlPlN2at6native12_GLOBAL__N_18offset_tEEE10hipError_tPvRmT1_PNSt15iterator_traitsISY_E10value_typeET2_T3_PNSZ_IS14_E10value_typeET4_jRbjT5_S1A_jjP12ihipStream_tbEUljE_EEESV_SW_SX_S14_S18_S1A_T6_T7_T9_mT8_S1C_bDpT10_ENKUlT_T0_E_clISt17integral_constantIbLb1EES1O_IbLb0EEEEDaS1K_S1L_EUlS1K_E_NS1_11comp_targetILNS1_3genE3ELNS1_11target_archE908ELNS1_3gpuE7ELNS1_3repE0EEENS1_30default_config_static_selectorELNS0_4arch9wavefront6targetE1EEEvSY_: ; @_ZN7rocprim17ROCPRIM_400000_NS6detail17trampoline_kernelINS0_13select_configILj256ELj13ELNS0_17block_load_methodE3ELS4_3ELS4_3ELNS0_20block_scan_algorithmE0ELj4294967295EEENS1_25partition_config_selectorILNS1_17partition_subalgoE3EjNS0_10empty_typeEbEEZZNS1_14partition_implILS8_3ELb0ES6_jNS0_17counting_iteratorIjlEEPS9_SE_NS0_5tupleIJPjSE_EEENSF_IJSE_SE_EEES9_SG_JZNS1_25segmented_radix_sort_implINS0_14default_configELb1EPKdPdPKlPlN2at6native12_GLOBAL__N_18offset_tEEE10hipError_tPvRmT1_PNSt15iterator_traitsISY_E10value_typeET2_T3_PNSZ_IS14_E10value_typeET4_jRbjT5_S1A_jjP12ihipStream_tbEUljE_EEESV_SW_SX_S14_S18_S1A_T6_T7_T9_mT8_S1C_bDpT10_ENKUlT_T0_E_clISt17integral_constantIbLb1EES1O_IbLb0EEEEDaS1K_S1L_EUlS1K_E_NS1_11comp_targetILNS1_3genE3ELNS1_11target_archE908ELNS1_3gpuE7ELNS1_3repE0EEENS1_30default_config_static_selectorELNS0_4arch9wavefront6targetE1EEEvSY_
; %bb.0:
	.section	.rodata,"a",@progbits
	.p2align	6, 0x0
	.amdhsa_kernel _ZN7rocprim17ROCPRIM_400000_NS6detail17trampoline_kernelINS0_13select_configILj256ELj13ELNS0_17block_load_methodE3ELS4_3ELS4_3ELNS0_20block_scan_algorithmE0ELj4294967295EEENS1_25partition_config_selectorILNS1_17partition_subalgoE3EjNS0_10empty_typeEbEEZZNS1_14partition_implILS8_3ELb0ES6_jNS0_17counting_iteratorIjlEEPS9_SE_NS0_5tupleIJPjSE_EEENSF_IJSE_SE_EEES9_SG_JZNS1_25segmented_radix_sort_implINS0_14default_configELb1EPKdPdPKlPlN2at6native12_GLOBAL__N_18offset_tEEE10hipError_tPvRmT1_PNSt15iterator_traitsISY_E10value_typeET2_T3_PNSZ_IS14_E10value_typeET4_jRbjT5_S1A_jjP12ihipStream_tbEUljE_EEESV_SW_SX_S14_S18_S1A_T6_T7_T9_mT8_S1C_bDpT10_ENKUlT_T0_E_clISt17integral_constantIbLb1EES1O_IbLb0EEEEDaS1K_S1L_EUlS1K_E_NS1_11comp_targetILNS1_3genE3ELNS1_11target_archE908ELNS1_3gpuE7ELNS1_3repE0EEENS1_30default_config_static_selectorELNS0_4arch9wavefront6targetE1EEEvSY_
		.amdhsa_group_segment_fixed_size 0
		.amdhsa_private_segment_fixed_size 0
		.amdhsa_kernarg_size 144
		.amdhsa_user_sgpr_count 6
		.amdhsa_user_sgpr_private_segment_buffer 1
		.amdhsa_user_sgpr_dispatch_ptr 0
		.amdhsa_user_sgpr_queue_ptr 0
		.amdhsa_user_sgpr_kernarg_segment_ptr 1
		.amdhsa_user_sgpr_dispatch_id 0
		.amdhsa_user_sgpr_flat_scratch_init 0
		.amdhsa_user_sgpr_private_segment_size 0
		.amdhsa_uses_dynamic_stack 0
		.amdhsa_system_sgpr_private_segment_wavefront_offset 0
		.amdhsa_system_sgpr_workgroup_id_x 1
		.amdhsa_system_sgpr_workgroup_id_y 0
		.amdhsa_system_sgpr_workgroup_id_z 0
		.amdhsa_system_sgpr_workgroup_info 0
		.amdhsa_system_vgpr_workitem_id 0
		.amdhsa_next_free_vgpr 1
		.amdhsa_next_free_sgpr 0
		.amdhsa_reserve_vcc 0
		.amdhsa_reserve_flat_scratch 0
		.amdhsa_float_round_mode_32 0
		.amdhsa_float_round_mode_16_64 0
		.amdhsa_float_denorm_mode_32 3
		.amdhsa_float_denorm_mode_16_64 3
		.amdhsa_dx10_clamp 1
		.amdhsa_ieee_mode 1
		.amdhsa_fp16_overflow 0
		.amdhsa_exception_fp_ieee_invalid_op 0
		.amdhsa_exception_fp_denorm_src 0
		.amdhsa_exception_fp_ieee_div_zero 0
		.amdhsa_exception_fp_ieee_overflow 0
		.amdhsa_exception_fp_ieee_underflow 0
		.amdhsa_exception_fp_ieee_inexact 0
		.amdhsa_exception_int_div_zero 0
	.end_amdhsa_kernel
	.section	.text._ZN7rocprim17ROCPRIM_400000_NS6detail17trampoline_kernelINS0_13select_configILj256ELj13ELNS0_17block_load_methodE3ELS4_3ELS4_3ELNS0_20block_scan_algorithmE0ELj4294967295EEENS1_25partition_config_selectorILNS1_17partition_subalgoE3EjNS0_10empty_typeEbEEZZNS1_14partition_implILS8_3ELb0ES6_jNS0_17counting_iteratorIjlEEPS9_SE_NS0_5tupleIJPjSE_EEENSF_IJSE_SE_EEES9_SG_JZNS1_25segmented_radix_sort_implINS0_14default_configELb1EPKdPdPKlPlN2at6native12_GLOBAL__N_18offset_tEEE10hipError_tPvRmT1_PNSt15iterator_traitsISY_E10value_typeET2_T3_PNSZ_IS14_E10value_typeET4_jRbjT5_S1A_jjP12ihipStream_tbEUljE_EEESV_SW_SX_S14_S18_S1A_T6_T7_T9_mT8_S1C_bDpT10_ENKUlT_T0_E_clISt17integral_constantIbLb1EES1O_IbLb0EEEEDaS1K_S1L_EUlS1K_E_NS1_11comp_targetILNS1_3genE3ELNS1_11target_archE908ELNS1_3gpuE7ELNS1_3repE0EEENS1_30default_config_static_selectorELNS0_4arch9wavefront6targetE1EEEvSY_,"axG",@progbits,_ZN7rocprim17ROCPRIM_400000_NS6detail17trampoline_kernelINS0_13select_configILj256ELj13ELNS0_17block_load_methodE3ELS4_3ELS4_3ELNS0_20block_scan_algorithmE0ELj4294967295EEENS1_25partition_config_selectorILNS1_17partition_subalgoE3EjNS0_10empty_typeEbEEZZNS1_14partition_implILS8_3ELb0ES6_jNS0_17counting_iteratorIjlEEPS9_SE_NS0_5tupleIJPjSE_EEENSF_IJSE_SE_EEES9_SG_JZNS1_25segmented_radix_sort_implINS0_14default_configELb1EPKdPdPKlPlN2at6native12_GLOBAL__N_18offset_tEEE10hipError_tPvRmT1_PNSt15iterator_traitsISY_E10value_typeET2_T3_PNSZ_IS14_E10value_typeET4_jRbjT5_S1A_jjP12ihipStream_tbEUljE_EEESV_SW_SX_S14_S18_S1A_T6_T7_T9_mT8_S1C_bDpT10_ENKUlT_T0_E_clISt17integral_constantIbLb1EES1O_IbLb0EEEEDaS1K_S1L_EUlS1K_E_NS1_11comp_targetILNS1_3genE3ELNS1_11target_archE908ELNS1_3gpuE7ELNS1_3repE0EEENS1_30default_config_static_selectorELNS0_4arch9wavefront6targetE1EEEvSY_,comdat
.Lfunc_end1105:
	.size	_ZN7rocprim17ROCPRIM_400000_NS6detail17trampoline_kernelINS0_13select_configILj256ELj13ELNS0_17block_load_methodE3ELS4_3ELS4_3ELNS0_20block_scan_algorithmE0ELj4294967295EEENS1_25partition_config_selectorILNS1_17partition_subalgoE3EjNS0_10empty_typeEbEEZZNS1_14partition_implILS8_3ELb0ES6_jNS0_17counting_iteratorIjlEEPS9_SE_NS0_5tupleIJPjSE_EEENSF_IJSE_SE_EEES9_SG_JZNS1_25segmented_radix_sort_implINS0_14default_configELb1EPKdPdPKlPlN2at6native12_GLOBAL__N_18offset_tEEE10hipError_tPvRmT1_PNSt15iterator_traitsISY_E10value_typeET2_T3_PNSZ_IS14_E10value_typeET4_jRbjT5_S1A_jjP12ihipStream_tbEUljE_EEESV_SW_SX_S14_S18_S1A_T6_T7_T9_mT8_S1C_bDpT10_ENKUlT_T0_E_clISt17integral_constantIbLb1EES1O_IbLb0EEEEDaS1K_S1L_EUlS1K_E_NS1_11comp_targetILNS1_3genE3ELNS1_11target_archE908ELNS1_3gpuE7ELNS1_3repE0EEENS1_30default_config_static_selectorELNS0_4arch9wavefront6targetE1EEEvSY_, .Lfunc_end1105-_ZN7rocprim17ROCPRIM_400000_NS6detail17trampoline_kernelINS0_13select_configILj256ELj13ELNS0_17block_load_methodE3ELS4_3ELS4_3ELNS0_20block_scan_algorithmE0ELj4294967295EEENS1_25partition_config_selectorILNS1_17partition_subalgoE3EjNS0_10empty_typeEbEEZZNS1_14partition_implILS8_3ELb0ES6_jNS0_17counting_iteratorIjlEEPS9_SE_NS0_5tupleIJPjSE_EEENSF_IJSE_SE_EEES9_SG_JZNS1_25segmented_radix_sort_implINS0_14default_configELb1EPKdPdPKlPlN2at6native12_GLOBAL__N_18offset_tEEE10hipError_tPvRmT1_PNSt15iterator_traitsISY_E10value_typeET2_T3_PNSZ_IS14_E10value_typeET4_jRbjT5_S1A_jjP12ihipStream_tbEUljE_EEESV_SW_SX_S14_S18_S1A_T6_T7_T9_mT8_S1C_bDpT10_ENKUlT_T0_E_clISt17integral_constantIbLb1EES1O_IbLb0EEEEDaS1K_S1L_EUlS1K_E_NS1_11comp_targetILNS1_3genE3ELNS1_11target_archE908ELNS1_3gpuE7ELNS1_3repE0EEENS1_30default_config_static_selectorELNS0_4arch9wavefront6targetE1EEEvSY_
                                        ; -- End function
	.set _ZN7rocprim17ROCPRIM_400000_NS6detail17trampoline_kernelINS0_13select_configILj256ELj13ELNS0_17block_load_methodE3ELS4_3ELS4_3ELNS0_20block_scan_algorithmE0ELj4294967295EEENS1_25partition_config_selectorILNS1_17partition_subalgoE3EjNS0_10empty_typeEbEEZZNS1_14partition_implILS8_3ELb0ES6_jNS0_17counting_iteratorIjlEEPS9_SE_NS0_5tupleIJPjSE_EEENSF_IJSE_SE_EEES9_SG_JZNS1_25segmented_radix_sort_implINS0_14default_configELb1EPKdPdPKlPlN2at6native12_GLOBAL__N_18offset_tEEE10hipError_tPvRmT1_PNSt15iterator_traitsISY_E10value_typeET2_T3_PNSZ_IS14_E10value_typeET4_jRbjT5_S1A_jjP12ihipStream_tbEUljE_EEESV_SW_SX_S14_S18_S1A_T6_T7_T9_mT8_S1C_bDpT10_ENKUlT_T0_E_clISt17integral_constantIbLb1EES1O_IbLb0EEEEDaS1K_S1L_EUlS1K_E_NS1_11comp_targetILNS1_3genE3ELNS1_11target_archE908ELNS1_3gpuE7ELNS1_3repE0EEENS1_30default_config_static_selectorELNS0_4arch9wavefront6targetE1EEEvSY_.num_vgpr, 0
	.set _ZN7rocprim17ROCPRIM_400000_NS6detail17trampoline_kernelINS0_13select_configILj256ELj13ELNS0_17block_load_methodE3ELS4_3ELS4_3ELNS0_20block_scan_algorithmE0ELj4294967295EEENS1_25partition_config_selectorILNS1_17partition_subalgoE3EjNS0_10empty_typeEbEEZZNS1_14partition_implILS8_3ELb0ES6_jNS0_17counting_iteratorIjlEEPS9_SE_NS0_5tupleIJPjSE_EEENSF_IJSE_SE_EEES9_SG_JZNS1_25segmented_radix_sort_implINS0_14default_configELb1EPKdPdPKlPlN2at6native12_GLOBAL__N_18offset_tEEE10hipError_tPvRmT1_PNSt15iterator_traitsISY_E10value_typeET2_T3_PNSZ_IS14_E10value_typeET4_jRbjT5_S1A_jjP12ihipStream_tbEUljE_EEESV_SW_SX_S14_S18_S1A_T6_T7_T9_mT8_S1C_bDpT10_ENKUlT_T0_E_clISt17integral_constantIbLb1EES1O_IbLb0EEEEDaS1K_S1L_EUlS1K_E_NS1_11comp_targetILNS1_3genE3ELNS1_11target_archE908ELNS1_3gpuE7ELNS1_3repE0EEENS1_30default_config_static_selectorELNS0_4arch9wavefront6targetE1EEEvSY_.num_agpr, 0
	.set _ZN7rocprim17ROCPRIM_400000_NS6detail17trampoline_kernelINS0_13select_configILj256ELj13ELNS0_17block_load_methodE3ELS4_3ELS4_3ELNS0_20block_scan_algorithmE0ELj4294967295EEENS1_25partition_config_selectorILNS1_17partition_subalgoE3EjNS0_10empty_typeEbEEZZNS1_14partition_implILS8_3ELb0ES6_jNS0_17counting_iteratorIjlEEPS9_SE_NS0_5tupleIJPjSE_EEENSF_IJSE_SE_EEES9_SG_JZNS1_25segmented_radix_sort_implINS0_14default_configELb1EPKdPdPKlPlN2at6native12_GLOBAL__N_18offset_tEEE10hipError_tPvRmT1_PNSt15iterator_traitsISY_E10value_typeET2_T3_PNSZ_IS14_E10value_typeET4_jRbjT5_S1A_jjP12ihipStream_tbEUljE_EEESV_SW_SX_S14_S18_S1A_T6_T7_T9_mT8_S1C_bDpT10_ENKUlT_T0_E_clISt17integral_constantIbLb1EES1O_IbLb0EEEEDaS1K_S1L_EUlS1K_E_NS1_11comp_targetILNS1_3genE3ELNS1_11target_archE908ELNS1_3gpuE7ELNS1_3repE0EEENS1_30default_config_static_selectorELNS0_4arch9wavefront6targetE1EEEvSY_.numbered_sgpr, 0
	.set _ZN7rocprim17ROCPRIM_400000_NS6detail17trampoline_kernelINS0_13select_configILj256ELj13ELNS0_17block_load_methodE3ELS4_3ELS4_3ELNS0_20block_scan_algorithmE0ELj4294967295EEENS1_25partition_config_selectorILNS1_17partition_subalgoE3EjNS0_10empty_typeEbEEZZNS1_14partition_implILS8_3ELb0ES6_jNS0_17counting_iteratorIjlEEPS9_SE_NS0_5tupleIJPjSE_EEENSF_IJSE_SE_EEES9_SG_JZNS1_25segmented_radix_sort_implINS0_14default_configELb1EPKdPdPKlPlN2at6native12_GLOBAL__N_18offset_tEEE10hipError_tPvRmT1_PNSt15iterator_traitsISY_E10value_typeET2_T3_PNSZ_IS14_E10value_typeET4_jRbjT5_S1A_jjP12ihipStream_tbEUljE_EEESV_SW_SX_S14_S18_S1A_T6_T7_T9_mT8_S1C_bDpT10_ENKUlT_T0_E_clISt17integral_constantIbLb1EES1O_IbLb0EEEEDaS1K_S1L_EUlS1K_E_NS1_11comp_targetILNS1_3genE3ELNS1_11target_archE908ELNS1_3gpuE7ELNS1_3repE0EEENS1_30default_config_static_selectorELNS0_4arch9wavefront6targetE1EEEvSY_.num_named_barrier, 0
	.set _ZN7rocprim17ROCPRIM_400000_NS6detail17trampoline_kernelINS0_13select_configILj256ELj13ELNS0_17block_load_methodE3ELS4_3ELS4_3ELNS0_20block_scan_algorithmE0ELj4294967295EEENS1_25partition_config_selectorILNS1_17partition_subalgoE3EjNS0_10empty_typeEbEEZZNS1_14partition_implILS8_3ELb0ES6_jNS0_17counting_iteratorIjlEEPS9_SE_NS0_5tupleIJPjSE_EEENSF_IJSE_SE_EEES9_SG_JZNS1_25segmented_radix_sort_implINS0_14default_configELb1EPKdPdPKlPlN2at6native12_GLOBAL__N_18offset_tEEE10hipError_tPvRmT1_PNSt15iterator_traitsISY_E10value_typeET2_T3_PNSZ_IS14_E10value_typeET4_jRbjT5_S1A_jjP12ihipStream_tbEUljE_EEESV_SW_SX_S14_S18_S1A_T6_T7_T9_mT8_S1C_bDpT10_ENKUlT_T0_E_clISt17integral_constantIbLb1EES1O_IbLb0EEEEDaS1K_S1L_EUlS1K_E_NS1_11comp_targetILNS1_3genE3ELNS1_11target_archE908ELNS1_3gpuE7ELNS1_3repE0EEENS1_30default_config_static_selectorELNS0_4arch9wavefront6targetE1EEEvSY_.private_seg_size, 0
	.set _ZN7rocprim17ROCPRIM_400000_NS6detail17trampoline_kernelINS0_13select_configILj256ELj13ELNS0_17block_load_methodE3ELS4_3ELS4_3ELNS0_20block_scan_algorithmE0ELj4294967295EEENS1_25partition_config_selectorILNS1_17partition_subalgoE3EjNS0_10empty_typeEbEEZZNS1_14partition_implILS8_3ELb0ES6_jNS0_17counting_iteratorIjlEEPS9_SE_NS0_5tupleIJPjSE_EEENSF_IJSE_SE_EEES9_SG_JZNS1_25segmented_radix_sort_implINS0_14default_configELb1EPKdPdPKlPlN2at6native12_GLOBAL__N_18offset_tEEE10hipError_tPvRmT1_PNSt15iterator_traitsISY_E10value_typeET2_T3_PNSZ_IS14_E10value_typeET4_jRbjT5_S1A_jjP12ihipStream_tbEUljE_EEESV_SW_SX_S14_S18_S1A_T6_T7_T9_mT8_S1C_bDpT10_ENKUlT_T0_E_clISt17integral_constantIbLb1EES1O_IbLb0EEEEDaS1K_S1L_EUlS1K_E_NS1_11comp_targetILNS1_3genE3ELNS1_11target_archE908ELNS1_3gpuE7ELNS1_3repE0EEENS1_30default_config_static_selectorELNS0_4arch9wavefront6targetE1EEEvSY_.uses_vcc, 0
	.set _ZN7rocprim17ROCPRIM_400000_NS6detail17trampoline_kernelINS0_13select_configILj256ELj13ELNS0_17block_load_methodE3ELS4_3ELS4_3ELNS0_20block_scan_algorithmE0ELj4294967295EEENS1_25partition_config_selectorILNS1_17partition_subalgoE3EjNS0_10empty_typeEbEEZZNS1_14partition_implILS8_3ELb0ES6_jNS0_17counting_iteratorIjlEEPS9_SE_NS0_5tupleIJPjSE_EEENSF_IJSE_SE_EEES9_SG_JZNS1_25segmented_radix_sort_implINS0_14default_configELb1EPKdPdPKlPlN2at6native12_GLOBAL__N_18offset_tEEE10hipError_tPvRmT1_PNSt15iterator_traitsISY_E10value_typeET2_T3_PNSZ_IS14_E10value_typeET4_jRbjT5_S1A_jjP12ihipStream_tbEUljE_EEESV_SW_SX_S14_S18_S1A_T6_T7_T9_mT8_S1C_bDpT10_ENKUlT_T0_E_clISt17integral_constantIbLb1EES1O_IbLb0EEEEDaS1K_S1L_EUlS1K_E_NS1_11comp_targetILNS1_3genE3ELNS1_11target_archE908ELNS1_3gpuE7ELNS1_3repE0EEENS1_30default_config_static_selectorELNS0_4arch9wavefront6targetE1EEEvSY_.uses_flat_scratch, 0
	.set _ZN7rocprim17ROCPRIM_400000_NS6detail17trampoline_kernelINS0_13select_configILj256ELj13ELNS0_17block_load_methodE3ELS4_3ELS4_3ELNS0_20block_scan_algorithmE0ELj4294967295EEENS1_25partition_config_selectorILNS1_17partition_subalgoE3EjNS0_10empty_typeEbEEZZNS1_14partition_implILS8_3ELb0ES6_jNS0_17counting_iteratorIjlEEPS9_SE_NS0_5tupleIJPjSE_EEENSF_IJSE_SE_EEES9_SG_JZNS1_25segmented_radix_sort_implINS0_14default_configELb1EPKdPdPKlPlN2at6native12_GLOBAL__N_18offset_tEEE10hipError_tPvRmT1_PNSt15iterator_traitsISY_E10value_typeET2_T3_PNSZ_IS14_E10value_typeET4_jRbjT5_S1A_jjP12ihipStream_tbEUljE_EEESV_SW_SX_S14_S18_S1A_T6_T7_T9_mT8_S1C_bDpT10_ENKUlT_T0_E_clISt17integral_constantIbLb1EES1O_IbLb0EEEEDaS1K_S1L_EUlS1K_E_NS1_11comp_targetILNS1_3genE3ELNS1_11target_archE908ELNS1_3gpuE7ELNS1_3repE0EEENS1_30default_config_static_selectorELNS0_4arch9wavefront6targetE1EEEvSY_.has_dyn_sized_stack, 0
	.set _ZN7rocprim17ROCPRIM_400000_NS6detail17trampoline_kernelINS0_13select_configILj256ELj13ELNS0_17block_load_methodE3ELS4_3ELS4_3ELNS0_20block_scan_algorithmE0ELj4294967295EEENS1_25partition_config_selectorILNS1_17partition_subalgoE3EjNS0_10empty_typeEbEEZZNS1_14partition_implILS8_3ELb0ES6_jNS0_17counting_iteratorIjlEEPS9_SE_NS0_5tupleIJPjSE_EEENSF_IJSE_SE_EEES9_SG_JZNS1_25segmented_radix_sort_implINS0_14default_configELb1EPKdPdPKlPlN2at6native12_GLOBAL__N_18offset_tEEE10hipError_tPvRmT1_PNSt15iterator_traitsISY_E10value_typeET2_T3_PNSZ_IS14_E10value_typeET4_jRbjT5_S1A_jjP12ihipStream_tbEUljE_EEESV_SW_SX_S14_S18_S1A_T6_T7_T9_mT8_S1C_bDpT10_ENKUlT_T0_E_clISt17integral_constantIbLb1EES1O_IbLb0EEEEDaS1K_S1L_EUlS1K_E_NS1_11comp_targetILNS1_3genE3ELNS1_11target_archE908ELNS1_3gpuE7ELNS1_3repE0EEENS1_30default_config_static_selectorELNS0_4arch9wavefront6targetE1EEEvSY_.has_recursion, 0
	.set _ZN7rocprim17ROCPRIM_400000_NS6detail17trampoline_kernelINS0_13select_configILj256ELj13ELNS0_17block_load_methodE3ELS4_3ELS4_3ELNS0_20block_scan_algorithmE0ELj4294967295EEENS1_25partition_config_selectorILNS1_17partition_subalgoE3EjNS0_10empty_typeEbEEZZNS1_14partition_implILS8_3ELb0ES6_jNS0_17counting_iteratorIjlEEPS9_SE_NS0_5tupleIJPjSE_EEENSF_IJSE_SE_EEES9_SG_JZNS1_25segmented_radix_sort_implINS0_14default_configELb1EPKdPdPKlPlN2at6native12_GLOBAL__N_18offset_tEEE10hipError_tPvRmT1_PNSt15iterator_traitsISY_E10value_typeET2_T3_PNSZ_IS14_E10value_typeET4_jRbjT5_S1A_jjP12ihipStream_tbEUljE_EEESV_SW_SX_S14_S18_S1A_T6_T7_T9_mT8_S1C_bDpT10_ENKUlT_T0_E_clISt17integral_constantIbLb1EES1O_IbLb0EEEEDaS1K_S1L_EUlS1K_E_NS1_11comp_targetILNS1_3genE3ELNS1_11target_archE908ELNS1_3gpuE7ELNS1_3repE0EEENS1_30default_config_static_selectorELNS0_4arch9wavefront6targetE1EEEvSY_.has_indirect_call, 0
	.section	.AMDGPU.csdata,"",@progbits
; Kernel info:
; codeLenInByte = 0
; TotalNumSgprs: 4
; NumVgprs: 0
; ScratchSize: 0
; MemoryBound: 0
; FloatMode: 240
; IeeeMode: 1
; LDSByteSize: 0 bytes/workgroup (compile time only)
; SGPRBlocks: 0
; VGPRBlocks: 0
; NumSGPRsForWavesPerEU: 4
; NumVGPRsForWavesPerEU: 1
; Occupancy: 10
; WaveLimiterHint : 0
; COMPUTE_PGM_RSRC2:SCRATCH_EN: 0
; COMPUTE_PGM_RSRC2:USER_SGPR: 6
; COMPUTE_PGM_RSRC2:TRAP_HANDLER: 0
; COMPUTE_PGM_RSRC2:TGID_X_EN: 1
; COMPUTE_PGM_RSRC2:TGID_Y_EN: 0
; COMPUTE_PGM_RSRC2:TGID_Z_EN: 0
; COMPUTE_PGM_RSRC2:TIDIG_COMP_CNT: 0
	.section	.text._ZN7rocprim17ROCPRIM_400000_NS6detail17trampoline_kernelINS0_13select_configILj256ELj13ELNS0_17block_load_methodE3ELS4_3ELS4_3ELNS0_20block_scan_algorithmE0ELj4294967295EEENS1_25partition_config_selectorILNS1_17partition_subalgoE3EjNS0_10empty_typeEbEEZZNS1_14partition_implILS8_3ELb0ES6_jNS0_17counting_iteratorIjlEEPS9_SE_NS0_5tupleIJPjSE_EEENSF_IJSE_SE_EEES9_SG_JZNS1_25segmented_radix_sort_implINS0_14default_configELb1EPKdPdPKlPlN2at6native12_GLOBAL__N_18offset_tEEE10hipError_tPvRmT1_PNSt15iterator_traitsISY_E10value_typeET2_T3_PNSZ_IS14_E10value_typeET4_jRbjT5_S1A_jjP12ihipStream_tbEUljE_EEESV_SW_SX_S14_S18_S1A_T6_T7_T9_mT8_S1C_bDpT10_ENKUlT_T0_E_clISt17integral_constantIbLb1EES1O_IbLb0EEEEDaS1K_S1L_EUlS1K_E_NS1_11comp_targetILNS1_3genE2ELNS1_11target_archE906ELNS1_3gpuE6ELNS1_3repE0EEENS1_30default_config_static_selectorELNS0_4arch9wavefront6targetE1EEEvSY_,"axG",@progbits,_ZN7rocprim17ROCPRIM_400000_NS6detail17trampoline_kernelINS0_13select_configILj256ELj13ELNS0_17block_load_methodE3ELS4_3ELS4_3ELNS0_20block_scan_algorithmE0ELj4294967295EEENS1_25partition_config_selectorILNS1_17partition_subalgoE3EjNS0_10empty_typeEbEEZZNS1_14partition_implILS8_3ELb0ES6_jNS0_17counting_iteratorIjlEEPS9_SE_NS0_5tupleIJPjSE_EEENSF_IJSE_SE_EEES9_SG_JZNS1_25segmented_radix_sort_implINS0_14default_configELb1EPKdPdPKlPlN2at6native12_GLOBAL__N_18offset_tEEE10hipError_tPvRmT1_PNSt15iterator_traitsISY_E10value_typeET2_T3_PNSZ_IS14_E10value_typeET4_jRbjT5_S1A_jjP12ihipStream_tbEUljE_EEESV_SW_SX_S14_S18_S1A_T6_T7_T9_mT8_S1C_bDpT10_ENKUlT_T0_E_clISt17integral_constantIbLb1EES1O_IbLb0EEEEDaS1K_S1L_EUlS1K_E_NS1_11comp_targetILNS1_3genE2ELNS1_11target_archE906ELNS1_3gpuE6ELNS1_3repE0EEENS1_30default_config_static_selectorELNS0_4arch9wavefront6targetE1EEEvSY_,comdat
	.globl	_ZN7rocprim17ROCPRIM_400000_NS6detail17trampoline_kernelINS0_13select_configILj256ELj13ELNS0_17block_load_methodE3ELS4_3ELS4_3ELNS0_20block_scan_algorithmE0ELj4294967295EEENS1_25partition_config_selectorILNS1_17partition_subalgoE3EjNS0_10empty_typeEbEEZZNS1_14partition_implILS8_3ELb0ES6_jNS0_17counting_iteratorIjlEEPS9_SE_NS0_5tupleIJPjSE_EEENSF_IJSE_SE_EEES9_SG_JZNS1_25segmented_radix_sort_implINS0_14default_configELb1EPKdPdPKlPlN2at6native12_GLOBAL__N_18offset_tEEE10hipError_tPvRmT1_PNSt15iterator_traitsISY_E10value_typeET2_T3_PNSZ_IS14_E10value_typeET4_jRbjT5_S1A_jjP12ihipStream_tbEUljE_EEESV_SW_SX_S14_S18_S1A_T6_T7_T9_mT8_S1C_bDpT10_ENKUlT_T0_E_clISt17integral_constantIbLb1EES1O_IbLb0EEEEDaS1K_S1L_EUlS1K_E_NS1_11comp_targetILNS1_3genE2ELNS1_11target_archE906ELNS1_3gpuE6ELNS1_3repE0EEENS1_30default_config_static_selectorELNS0_4arch9wavefront6targetE1EEEvSY_ ; -- Begin function _ZN7rocprim17ROCPRIM_400000_NS6detail17trampoline_kernelINS0_13select_configILj256ELj13ELNS0_17block_load_methodE3ELS4_3ELS4_3ELNS0_20block_scan_algorithmE0ELj4294967295EEENS1_25partition_config_selectorILNS1_17partition_subalgoE3EjNS0_10empty_typeEbEEZZNS1_14partition_implILS8_3ELb0ES6_jNS0_17counting_iteratorIjlEEPS9_SE_NS0_5tupleIJPjSE_EEENSF_IJSE_SE_EEES9_SG_JZNS1_25segmented_radix_sort_implINS0_14default_configELb1EPKdPdPKlPlN2at6native12_GLOBAL__N_18offset_tEEE10hipError_tPvRmT1_PNSt15iterator_traitsISY_E10value_typeET2_T3_PNSZ_IS14_E10value_typeET4_jRbjT5_S1A_jjP12ihipStream_tbEUljE_EEESV_SW_SX_S14_S18_S1A_T6_T7_T9_mT8_S1C_bDpT10_ENKUlT_T0_E_clISt17integral_constantIbLb1EES1O_IbLb0EEEEDaS1K_S1L_EUlS1K_E_NS1_11comp_targetILNS1_3genE2ELNS1_11target_archE906ELNS1_3gpuE6ELNS1_3repE0EEENS1_30default_config_static_selectorELNS0_4arch9wavefront6targetE1EEEvSY_
	.p2align	8
	.type	_ZN7rocprim17ROCPRIM_400000_NS6detail17trampoline_kernelINS0_13select_configILj256ELj13ELNS0_17block_load_methodE3ELS4_3ELS4_3ELNS0_20block_scan_algorithmE0ELj4294967295EEENS1_25partition_config_selectorILNS1_17partition_subalgoE3EjNS0_10empty_typeEbEEZZNS1_14partition_implILS8_3ELb0ES6_jNS0_17counting_iteratorIjlEEPS9_SE_NS0_5tupleIJPjSE_EEENSF_IJSE_SE_EEES9_SG_JZNS1_25segmented_radix_sort_implINS0_14default_configELb1EPKdPdPKlPlN2at6native12_GLOBAL__N_18offset_tEEE10hipError_tPvRmT1_PNSt15iterator_traitsISY_E10value_typeET2_T3_PNSZ_IS14_E10value_typeET4_jRbjT5_S1A_jjP12ihipStream_tbEUljE_EEESV_SW_SX_S14_S18_S1A_T6_T7_T9_mT8_S1C_bDpT10_ENKUlT_T0_E_clISt17integral_constantIbLb1EES1O_IbLb0EEEEDaS1K_S1L_EUlS1K_E_NS1_11comp_targetILNS1_3genE2ELNS1_11target_archE906ELNS1_3gpuE6ELNS1_3repE0EEENS1_30default_config_static_selectorELNS0_4arch9wavefront6targetE1EEEvSY_,@function
_ZN7rocprim17ROCPRIM_400000_NS6detail17trampoline_kernelINS0_13select_configILj256ELj13ELNS0_17block_load_methodE3ELS4_3ELS4_3ELNS0_20block_scan_algorithmE0ELj4294967295EEENS1_25partition_config_selectorILNS1_17partition_subalgoE3EjNS0_10empty_typeEbEEZZNS1_14partition_implILS8_3ELb0ES6_jNS0_17counting_iteratorIjlEEPS9_SE_NS0_5tupleIJPjSE_EEENSF_IJSE_SE_EEES9_SG_JZNS1_25segmented_radix_sort_implINS0_14default_configELb1EPKdPdPKlPlN2at6native12_GLOBAL__N_18offset_tEEE10hipError_tPvRmT1_PNSt15iterator_traitsISY_E10value_typeET2_T3_PNSZ_IS14_E10value_typeET4_jRbjT5_S1A_jjP12ihipStream_tbEUljE_EEESV_SW_SX_S14_S18_S1A_T6_T7_T9_mT8_S1C_bDpT10_ENKUlT_T0_E_clISt17integral_constantIbLb1EES1O_IbLb0EEEEDaS1K_S1L_EUlS1K_E_NS1_11comp_targetILNS1_3genE2ELNS1_11target_archE906ELNS1_3gpuE6ELNS1_3repE0EEENS1_30default_config_static_selectorELNS0_4arch9wavefront6targetE1EEEvSY_: ; @_ZN7rocprim17ROCPRIM_400000_NS6detail17trampoline_kernelINS0_13select_configILj256ELj13ELNS0_17block_load_methodE3ELS4_3ELS4_3ELNS0_20block_scan_algorithmE0ELj4294967295EEENS1_25partition_config_selectorILNS1_17partition_subalgoE3EjNS0_10empty_typeEbEEZZNS1_14partition_implILS8_3ELb0ES6_jNS0_17counting_iteratorIjlEEPS9_SE_NS0_5tupleIJPjSE_EEENSF_IJSE_SE_EEES9_SG_JZNS1_25segmented_radix_sort_implINS0_14default_configELb1EPKdPdPKlPlN2at6native12_GLOBAL__N_18offset_tEEE10hipError_tPvRmT1_PNSt15iterator_traitsISY_E10value_typeET2_T3_PNSZ_IS14_E10value_typeET4_jRbjT5_S1A_jjP12ihipStream_tbEUljE_EEESV_SW_SX_S14_S18_S1A_T6_T7_T9_mT8_S1C_bDpT10_ENKUlT_T0_E_clISt17integral_constantIbLb1EES1O_IbLb0EEEEDaS1K_S1L_EUlS1K_E_NS1_11comp_targetILNS1_3genE2ELNS1_11target_archE906ELNS1_3gpuE6ELNS1_3repE0EEENS1_30default_config_static_selectorELNS0_4arch9wavefront6targetE1EEEvSY_
; %bb.0:
	s_endpgm
	.section	.rodata,"a",@progbits
	.p2align	6, 0x0
	.amdhsa_kernel _ZN7rocprim17ROCPRIM_400000_NS6detail17trampoline_kernelINS0_13select_configILj256ELj13ELNS0_17block_load_methodE3ELS4_3ELS4_3ELNS0_20block_scan_algorithmE0ELj4294967295EEENS1_25partition_config_selectorILNS1_17partition_subalgoE3EjNS0_10empty_typeEbEEZZNS1_14partition_implILS8_3ELb0ES6_jNS0_17counting_iteratorIjlEEPS9_SE_NS0_5tupleIJPjSE_EEENSF_IJSE_SE_EEES9_SG_JZNS1_25segmented_radix_sort_implINS0_14default_configELb1EPKdPdPKlPlN2at6native12_GLOBAL__N_18offset_tEEE10hipError_tPvRmT1_PNSt15iterator_traitsISY_E10value_typeET2_T3_PNSZ_IS14_E10value_typeET4_jRbjT5_S1A_jjP12ihipStream_tbEUljE_EEESV_SW_SX_S14_S18_S1A_T6_T7_T9_mT8_S1C_bDpT10_ENKUlT_T0_E_clISt17integral_constantIbLb1EES1O_IbLb0EEEEDaS1K_S1L_EUlS1K_E_NS1_11comp_targetILNS1_3genE2ELNS1_11target_archE906ELNS1_3gpuE6ELNS1_3repE0EEENS1_30default_config_static_selectorELNS0_4arch9wavefront6targetE1EEEvSY_
		.amdhsa_group_segment_fixed_size 0
		.amdhsa_private_segment_fixed_size 0
		.amdhsa_kernarg_size 144
		.amdhsa_user_sgpr_count 6
		.amdhsa_user_sgpr_private_segment_buffer 1
		.amdhsa_user_sgpr_dispatch_ptr 0
		.amdhsa_user_sgpr_queue_ptr 0
		.amdhsa_user_sgpr_kernarg_segment_ptr 1
		.amdhsa_user_sgpr_dispatch_id 0
		.amdhsa_user_sgpr_flat_scratch_init 0
		.amdhsa_user_sgpr_private_segment_size 0
		.amdhsa_uses_dynamic_stack 0
		.amdhsa_system_sgpr_private_segment_wavefront_offset 0
		.amdhsa_system_sgpr_workgroup_id_x 1
		.amdhsa_system_sgpr_workgroup_id_y 0
		.amdhsa_system_sgpr_workgroup_id_z 0
		.amdhsa_system_sgpr_workgroup_info 0
		.amdhsa_system_vgpr_workitem_id 0
		.amdhsa_next_free_vgpr 1
		.amdhsa_next_free_sgpr 0
		.amdhsa_reserve_vcc 0
		.amdhsa_reserve_flat_scratch 0
		.amdhsa_float_round_mode_32 0
		.amdhsa_float_round_mode_16_64 0
		.amdhsa_float_denorm_mode_32 3
		.amdhsa_float_denorm_mode_16_64 3
		.amdhsa_dx10_clamp 1
		.amdhsa_ieee_mode 1
		.amdhsa_fp16_overflow 0
		.amdhsa_exception_fp_ieee_invalid_op 0
		.amdhsa_exception_fp_denorm_src 0
		.amdhsa_exception_fp_ieee_div_zero 0
		.amdhsa_exception_fp_ieee_overflow 0
		.amdhsa_exception_fp_ieee_underflow 0
		.amdhsa_exception_fp_ieee_inexact 0
		.amdhsa_exception_int_div_zero 0
	.end_amdhsa_kernel
	.section	.text._ZN7rocprim17ROCPRIM_400000_NS6detail17trampoline_kernelINS0_13select_configILj256ELj13ELNS0_17block_load_methodE3ELS4_3ELS4_3ELNS0_20block_scan_algorithmE0ELj4294967295EEENS1_25partition_config_selectorILNS1_17partition_subalgoE3EjNS0_10empty_typeEbEEZZNS1_14partition_implILS8_3ELb0ES6_jNS0_17counting_iteratorIjlEEPS9_SE_NS0_5tupleIJPjSE_EEENSF_IJSE_SE_EEES9_SG_JZNS1_25segmented_radix_sort_implINS0_14default_configELb1EPKdPdPKlPlN2at6native12_GLOBAL__N_18offset_tEEE10hipError_tPvRmT1_PNSt15iterator_traitsISY_E10value_typeET2_T3_PNSZ_IS14_E10value_typeET4_jRbjT5_S1A_jjP12ihipStream_tbEUljE_EEESV_SW_SX_S14_S18_S1A_T6_T7_T9_mT8_S1C_bDpT10_ENKUlT_T0_E_clISt17integral_constantIbLb1EES1O_IbLb0EEEEDaS1K_S1L_EUlS1K_E_NS1_11comp_targetILNS1_3genE2ELNS1_11target_archE906ELNS1_3gpuE6ELNS1_3repE0EEENS1_30default_config_static_selectorELNS0_4arch9wavefront6targetE1EEEvSY_,"axG",@progbits,_ZN7rocprim17ROCPRIM_400000_NS6detail17trampoline_kernelINS0_13select_configILj256ELj13ELNS0_17block_load_methodE3ELS4_3ELS4_3ELNS0_20block_scan_algorithmE0ELj4294967295EEENS1_25partition_config_selectorILNS1_17partition_subalgoE3EjNS0_10empty_typeEbEEZZNS1_14partition_implILS8_3ELb0ES6_jNS0_17counting_iteratorIjlEEPS9_SE_NS0_5tupleIJPjSE_EEENSF_IJSE_SE_EEES9_SG_JZNS1_25segmented_radix_sort_implINS0_14default_configELb1EPKdPdPKlPlN2at6native12_GLOBAL__N_18offset_tEEE10hipError_tPvRmT1_PNSt15iterator_traitsISY_E10value_typeET2_T3_PNSZ_IS14_E10value_typeET4_jRbjT5_S1A_jjP12ihipStream_tbEUljE_EEESV_SW_SX_S14_S18_S1A_T6_T7_T9_mT8_S1C_bDpT10_ENKUlT_T0_E_clISt17integral_constantIbLb1EES1O_IbLb0EEEEDaS1K_S1L_EUlS1K_E_NS1_11comp_targetILNS1_3genE2ELNS1_11target_archE906ELNS1_3gpuE6ELNS1_3repE0EEENS1_30default_config_static_selectorELNS0_4arch9wavefront6targetE1EEEvSY_,comdat
.Lfunc_end1106:
	.size	_ZN7rocprim17ROCPRIM_400000_NS6detail17trampoline_kernelINS0_13select_configILj256ELj13ELNS0_17block_load_methodE3ELS4_3ELS4_3ELNS0_20block_scan_algorithmE0ELj4294967295EEENS1_25partition_config_selectorILNS1_17partition_subalgoE3EjNS0_10empty_typeEbEEZZNS1_14partition_implILS8_3ELb0ES6_jNS0_17counting_iteratorIjlEEPS9_SE_NS0_5tupleIJPjSE_EEENSF_IJSE_SE_EEES9_SG_JZNS1_25segmented_radix_sort_implINS0_14default_configELb1EPKdPdPKlPlN2at6native12_GLOBAL__N_18offset_tEEE10hipError_tPvRmT1_PNSt15iterator_traitsISY_E10value_typeET2_T3_PNSZ_IS14_E10value_typeET4_jRbjT5_S1A_jjP12ihipStream_tbEUljE_EEESV_SW_SX_S14_S18_S1A_T6_T7_T9_mT8_S1C_bDpT10_ENKUlT_T0_E_clISt17integral_constantIbLb1EES1O_IbLb0EEEEDaS1K_S1L_EUlS1K_E_NS1_11comp_targetILNS1_3genE2ELNS1_11target_archE906ELNS1_3gpuE6ELNS1_3repE0EEENS1_30default_config_static_selectorELNS0_4arch9wavefront6targetE1EEEvSY_, .Lfunc_end1106-_ZN7rocprim17ROCPRIM_400000_NS6detail17trampoline_kernelINS0_13select_configILj256ELj13ELNS0_17block_load_methodE3ELS4_3ELS4_3ELNS0_20block_scan_algorithmE0ELj4294967295EEENS1_25partition_config_selectorILNS1_17partition_subalgoE3EjNS0_10empty_typeEbEEZZNS1_14partition_implILS8_3ELb0ES6_jNS0_17counting_iteratorIjlEEPS9_SE_NS0_5tupleIJPjSE_EEENSF_IJSE_SE_EEES9_SG_JZNS1_25segmented_radix_sort_implINS0_14default_configELb1EPKdPdPKlPlN2at6native12_GLOBAL__N_18offset_tEEE10hipError_tPvRmT1_PNSt15iterator_traitsISY_E10value_typeET2_T3_PNSZ_IS14_E10value_typeET4_jRbjT5_S1A_jjP12ihipStream_tbEUljE_EEESV_SW_SX_S14_S18_S1A_T6_T7_T9_mT8_S1C_bDpT10_ENKUlT_T0_E_clISt17integral_constantIbLb1EES1O_IbLb0EEEEDaS1K_S1L_EUlS1K_E_NS1_11comp_targetILNS1_3genE2ELNS1_11target_archE906ELNS1_3gpuE6ELNS1_3repE0EEENS1_30default_config_static_selectorELNS0_4arch9wavefront6targetE1EEEvSY_
                                        ; -- End function
	.set _ZN7rocprim17ROCPRIM_400000_NS6detail17trampoline_kernelINS0_13select_configILj256ELj13ELNS0_17block_load_methodE3ELS4_3ELS4_3ELNS0_20block_scan_algorithmE0ELj4294967295EEENS1_25partition_config_selectorILNS1_17partition_subalgoE3EjNS0_10empty_typeEbEEZZNS1_14partition_implILS8_3ELb0ES6_jNS0_17counting_iteratorIjlEEPS9_SE_NS0_5tupleIJPjSE_EEENSF_IJSE_SE_EEES9_SG_JZNS1_25segmented_radix_sort_implINS0_14default_configELb1EPKdPdPKlPlN2at6native12_GLOBAL__N_18offset_tEEE10hipError_tPvRmT1_PNSt15iterator_traitsISY_E10value_typeET2_T3_PNSZ_IS14_E10value_typeET4_jRbjT5_S1A_jjP12ihipStream_tbEUljE_EEESV_SW_SX_S14_S18_S1A_T6_T7_T9_mT8_S1C_bDpT10_ENKUlT_T0_E_clISt17integral_constantIbLb1EES1O_IbLb0EEEEDaS1K_S1L_EUlS1K_E_NS1_11comp_targetILNS1_3genE2ELNS1_11target_archE906ELNS1_3gpuE6ELNS1_3repE0EEENS1_30default_config_static_selectorELNS0_4arch9wavefront6targetE1EEEvSY_.num_vgpr, 0
	.set _ZN7rocprim17ROCPRIM_400000_NS6detail17trampoline_kernelINS0_13select_configILj256ELj13ELNS0_17block_load_methodE3ELS4_3ELS4_3ELNS0_20block_scan_algorithmE0ELj4294967295EEENS1_25partition_config_selectorILNS1_17partition_subalgoE3EjNS0_10empty_typeEbEEZZNS1_14partition_implILS8_3ELb0ES6_jNS0_17counting_iteratorIjlEEPS9_SE_NS0_5tupleIJPjSE_EEENSF_IJSE_SE_EEES9_SG_JZNS1_25segmented_radix_sort_implINS0_14default_configELb1EPKdPdPKlPlN2at6native12_GLOBAL__N_18offset_tEEE10hipError_tPvRmT1_PNSt15iterator_traitsISY_E10value_typeET2_T3_PNSZ_IS14_E10value_typeET4_jRbjT5_S1A_jjP12ihipStream_tbEUljE_EEESV_SW_SX_S14_S18_S1A_T6_T7_T9_mT8_S1C_bDpT10_ENKUlT_T0_E_clISt17integral_constantIbLb1EES1O_IbLb0EEEEDaS1K_S1L_EUlS1K_E_NS1_11comp_targetILNS1_3genE2ELNS1_11target_archE906ELNS1_3gpuE6ELNS1_3repE0EEENS1_30default_config_static_selectorELNS0_4arch9wavefront6targetE1EEEvSY_.num_agpr, 0
	.set _ZN7rocprim17ROCPRIM_400000_NS6detail17trampoline_kernelINS0_13select_configILj256ELj13ELNS0_17block_load_methodE3ELS4_3ELS4_3ELNS0_20block_scan_algorithmE0ELj4294967295EEENS1_25partition_config_selectorILNS1_17partition_subalgoE3EjNS0_10empty_typeEbEEZZNS1_14partition_implILS8_3ELb0ES6_jNS0_17counting_iteratorIjlEEPS9_SE_NS0_5tupleIJPjSE_EEENSF_IJSE_SE_EEES9_SG_JZNS1_25segmented_radix_sort_implINS0_14default_configELb1EPKdPdPKlPlN2at6native12_GLOBAL__N_18offset_tEEE10hipError_tPvRmT1_PNSt15iterator_traitsISY_E10value_typeET2_T3_PNSZ_IS14_E10value_typeET4_jRbjT5_S1A_jjP12ihipStream_tbEUljE_EEESV_SW_SX_S14_S18_S1A_T6_T7_T9_mT8_S1C_bDpT10_ENKUlT_T0_E_clISt17integral_constantIbLb1EES1O_IbLb0EEEEDaS1K_S1L_EUlS1K_E_NS1_11comp_targetILNS1_3genE2ELNS1_11target_archE906ELNS1_3gpuE6ELNS1_3repE0EEENS1_30default_config_static_selectorELNS0_4arch9wavefront6targetE1EEEvSY_.numbered_sgpr, 0
	.set _ZN7rocprim17ROCPRIM_400000_NS6detail17trampoline_kernelINS0_13select_configILj256ELj13ELNS0_17block_load_methodE3ELS4_3ELS4_3ELNS0_20block_scan_algorithmE0ELj4294967295EEENS1_25partition_config_selectorILNS1_17partition_subalgoE3EjNS0_10empty_typeEbEEZZNS1_14partition_implILS8_3ELb0ES6_jNS0_17counting_iteratorIjlEEPS9_SE_NS0_5tupleIJPjSE_EEENSF_IJSE_SE_EEES9_SG_JZNS1_25segmented_radix_sort_implINS0_14default_configELb1EPKdPdPKlPlN2at6native12_GLOBAL__N_18offset_tEEE10hipError_tPvRmT1_PNSt15iterator_traitsISY_E10value_typeET2_T3_PNSZ_IS14_E10value_typeET4_jRbjT5_S1A_jjP12ihipStream_tbEUljE_EEESV_SW_SX_S14_S18_S1A_T6_T7_T9_mT8_S1C_bDpT10_ENKUlT_T0_E_clISt17integral_constantIbLb1EES1O_IbLb0EEEEDaS1K_S1L_EUlS1K_E_NS1_11comp_targetILNS1_3genE2ELNS1_11target_archE906ELNS1_3gpuE6ELNS1_3repE0EEENS1_30default_config_static_selectorELNS0_4arch9wavefront6targetE1EEEvSY_.num_named_barrier, 0
	.set _ZN7rocprim17ROCPRIM_400000_NS6detail17trampoline_kernelINS0_13select_configILj256ELj13ELNS0_17block_load_methodE3ELS4_3ELS4_3ELNS0_20block_scan_algorithmE0ELj4294967295EEENS1_25partition_config_selectorILNS1_17partition_subalgoE3EjNS0_10empty_typeEbEEZZNS1_14partition_implILS8_3ELb0ES6_jNS0_17counting_iteratorIjlEEPS9_SE_NS0_5tupleIJPjSE_EEENSF_IJSE_SE_EEES9_SG_JZNS1_25segmented_radix_sort_implINS0_14default_configELb1EPKdPdPKlPlN2at6native12_GLOBAL__N_18offset_tEEE10hipError_tPvRmT1_PNSt15iterator_traitsISY_E10value_typeET2_T3_PNSZ_IS14_E10value_typeET4_jRbjT5_S1A_jjP12ihipStream_tbEUljE_EEESV_SW_SX_S14_S18_S1A_T6_T7_T9_mT8_S1C_bDpT10_ENKUlT_T0_E_clISt17integral_constantIbLb1EES1O_IbLb0EEEEDaS1K_S1L_EUlS1K_E_NS1_11comp_targetILNS1_3genE2ELNS1_11target_archE906ELNS1_3gpuE6ELNS1_3repE0EEENS1_30default_config_static_selectorELNS0_4arch9wavefront6targetE1EEEvSY_.private_seg_size, 0
	.set _ZN7rocprim17ROCPRIM_400000_NS6detail17trampoline_kernelINS0_13select_configILj256ELj13ELNS0_17block_load_methodE3ELS4_3ELS4_3ELNS0_20block_scan_algorithmE0ELj4294967295EEENS1_25partition_config_selectorILNS1_17partition_subalgoE3EjNS0_10empty_typeEbEEZZNS1_14partition_implILS8_3ELb0ES6_jNS0_17counting_iteratorIjlEEPS9_SE_NS0_5tupleIJPjSE_EEENSF_IJSE_SE_EEES9_SG_JZNS1_25segmented_radix_sort_implINS0_14default_configELb1EPKdPdPKlPlN2at6native12_GLOBAL__N_18offset_tEEE10hipError_tPvRmT1_PNSt15iterator_traitsISY_E10value_typeET2_T3_PNSZ_IS14_E10value_typeET4_jRbjT5_S1A_jjP12ihipStream_tbEUljE_EEESV_SW_SX_S14_S18_S1A_T6_T7_T9_mT8_S1C_bDpT10_ENKUlT_T0_E_clISt17integral_constantIbLb1EES1O_IbLb0EEEEDaS1K_S1L_EUlS1K_E_NS1_11comp_targetILNS1_3genE2ELNS1_11target_archE906ELNS1_3gpuE6ELNS1_3repE0EEENS1_30default_config_static_selectorELNS0_4arch9wavefront6targetE1EEEvSY_.uses_vcc, 0
	.set _ZN7rocprim17ROCPRIM_400000_NS6detail17trampoline_kernelINS0_13select_configILj256ELj13ELNS0_17block_load_methodE3ELS4_3ELS4_3ELNS0_20block_scan_algorithmE0ELj4294967295EEENS1_25partition_config_selectorILNS1_17partition_subalgoE3EjNS0_10empty_typeEbEEZZNS1_14partition_implILS8_3ELb0ES6_jNS0_17counting_iteratorIjlEEPS9_SE_NS0_5tupleIJPjSE_EEENSF_IJSE_SE_EEES9_SG_JZNS1_25segmented_radix_sort_implINS0_14default_configELb1EPKdPdPKlPlN2at6native12_GLOBAL__N_18offset_tEEE10hipError_tPvRmT1_PNSt15iterator_traitsISY_E10value_typeET2_T3_PNSZ_IS14_E10value_typeET4_jRbjT5_S1A_jjP12ihipStream_tbEUljE_EEESV_SW_SX_S14_S18_S1A_T6_T7_T9_mT8_S1C_bDpT10_ENKUlT_T0_E_clISt17integral_constantIbLb1EES1O_IbLb0EEEEDaS1K_S1L_EUlS1K_E_NS1_11comp_targetILNS1_3genE2ELNS1_11target_archE906ELNS1_3gpuE6ELNS1_3repE0EEENS1_30default_config_static_selectorELNS0_4arch9wavefront6targetE1EEEvSY_.uses_flat_scratch, 0
	.set _ZN7rocprim17ROCPRIM_400000_NS6detail17trampoline_kernelINS0_13select_configILj256ELj13ELNS0_17block_load_methodE3ELS4_3ELS4_3ELNS0_20block_scan_algorithmE0ELj4294967295EEENS1_25partition_config_selectorILNS1_17partition_subalgoE3EjNS0_10empty_typeEbEEZZNS1_14partition_implILS8_3ELb0ES6_jNS0_17counting_iteratorIjlEEPS9_SE_NS0_5tupleIJPjSE_EEENSF_IJSE_SE_EEES9_SG_JZNS1_25segmented_radix_sort_implINS0_14default_configELb1EPKdPdPKlPlN2at6native12_GLOBAL__N_18offset_tEEE10hipError_tPvRmT1_PNSt15iterator_traitsISY_E10value_typeET2_T3_PNSZ_IS14_E10value_typeET4_jRbjT5_S1A_jjP12ihipStream_tbEUljE_EEESV_SW_SX_S14_S18_S1A_T6_T7_T9_mT8_S1C_bDpT10_ENKUlT_T0_E_clISt17integral_constantIbLb1EES1O_IbLb0EEEEDaS1K_S1L_EUlS1K_E_NS1_11comp_targetILNS1_3genE2ELNS1_11target_archE906ELNS1_3gpuE6ELNS1_3repE0EEENS1_30default_config_static_selectorELNS0_4arch9wavefront6targetE1EEEvSY_.has_dyn_sized_stack, 0
	.set _ZN7rocprim17ROCPRIM_400000_NS6detail17trampoline_kernelINS0_13select_configILj256ELj13ELNS0_17block_load_methodE3ELS4_3ELS4_3ELNS0_20block_scan_algorithmE0ELj4294967295EEENS1_25partition_config_selectorILNS1_17partition_subalgoE3EjNS0_10empty_typeEbEEZZNS1_14partition_implILS8_3ELb0ES6_jNS0_17counting_iteratorIjlEEPS9_SE_NS0_5tupleIJPjSE_EEENSF_IJSE_SE_EEES9_SG_JZNS1_25segmented_radix_sort_implINS0_14default_configELb1EPKdPdPKlPlN2at6native12_GLOBAL__N_18offset_tEEE10hipError_tPvRmT1_PNSt15iterator_traitsISY_E10value_typeET2_T3_PNSZ_IS14_E10value_typeET4_jRbjT5_S1A_jjP12ihipStream_tbEUljE_EEESV_SW_SX_S14_S18_S1A_T6_T7_T9_mT8_S1C_bDpT10_ENKUlT_T0_E_clISt17integral_constantIbLb1EES1O_IbLb0EEEEDaS1K_S1L_EUlS1K_E_NS1_11comp_targetILNS1_3genE2ELNS1_11target_archE906ELNS1_3gpuE6ELNS1_3repE0EEENS1_30default_config_static_selectorELNS0_4arch9wavefront6targetE1EEEvSY_.has_recursion, 0
	.set _ZN7rocprim17ROCPRIM_400000_NS6detail17trampoline_kernelINS0_13select_configILj256ELj13ELNS0_17block_load_methodE3ELS4_3ELS4_3ELNS0_20block_scan_algorithmE0ELj4294967295EEENS1_25partition_config_selectorILNS1_17partition_subalgoE3EjNS0_10empty_typeEbEEZZNS1_14partition_implILS8_3ELb0ES6_jNS0_17counting_iteratorIjlEEPS9_SE_NS0_5tupleIJPjSE_EEENSF_IJSE_SE_EEES9_SG_JZNS1_25segmented_radix_sort_implINS0_14default_configELb1EPKdPdPKlPlN2at6native12_GLOBAL__N_18offset_tEEE10hipError_tPvRmT1_PNSt15iterator_traitsISY_E10value_typeET2_T3_PNSZ_IS14_E10value_typeET4_jRbjT5_S1A_jjP12ihipStream_tbEUljE_EEESV_SW_SX_S14_S18_S1A_T6_T7_T9_mT8_S1C_bDpT10_ENKUlT_T0_E_clISt17integral_constantIbLb1EES1O_IbLb0EEEEDaS1K_S1L_EUlS1K_E_NS1_11comp_targetILNS1_3genE2ELNS1_11target_archE906ELNS1_3gpuE6ELNS1_3repE0EEENS1_30default_config_static_selectorELNS0_4arch9wavefront6targetE1EEEvSY_.has_indirect_call, 0
	.section	.AMDGPU.csdata,"",@progbits
; Kernel info:
; codeLenInByte = 4
; TotalNumSgprs: 4
; NumVgprs: 0
; ScratchSize: 0
; MemoryBound: 0
; FloatMode: 240
; IeeeMode: 1
; LDSByteSize: 0 bytes/workgroup (compile time only)
; SGPRBlocks: 0
; VGPRBlocks: 0
; NumSGPRsForWavesPerEU: 4
; NumVGPRsForWavesPerEU: 1
; Occupancy: 10
; WaveLimiterHint : 0
; COMPUTE_PGM_RSRC2:SCRATCH_EN: 0
; COMPUTE_PGM_RSRC2:USER_SGPR: 6
; COMPUTE_PGM_RSRC2:TRAP_HANDLER: 0
; COMPUTE_PGM_RSRC2:TGID_X_EN: 1
; COMPUTE_PGM_RSRC2:TGID_Y_EN: 0
; COMPUTE_PGM_RSRC2:TGID_Z_EN: 0
; COMPUTE_PGM_RSRC2:TIDIG_COMP_CNT: 0
	.section	.text._ZN7rocprim17ROCPRIM_400000_NS6detail17trampoline_kernelINS0_13select_configILj256ELj13ELNS0_17block_load_methodE3ELS4_3ELS4_3ELNS0_20block_scan_algorithmE0ELj4294967295EEENS1_25partition_config_selectorILNS1_17partition_subalgoE3EjNS0_10empty_typeEbEEZZNS1_14partition_implILS8_3ELb0ES6_jNS0_17counting_iteratorIjlEEPS9_SE_NS0_5tupleIJPjSE_EEENSF_IJSE_SE_EEES9_SG_JZNS1_25segmented_radix_sort_implINS0_14default_configELb1EPKdPdPKlPlN2at6native12_GLOBAL__N_18offset_tEEE10hipError_tPvRmT1_PNSt15iterator_traitsISY_E10value_typeET2_T3_PNSZ_IS14_E10value_typeET4_jRbjT5_S1A_jjP12ihipStream_tbEUljE_EEESV_SW_SX_S14_S18_S1A_T6_T7_T9_mT8_S1C_bDpT10_ENKUlT_T0_E_clISt17integral_constantIbLb1EES1O_IbLb0EEEEDaS1K_S1L_EUlS1K_E_NS1_11comp_targetILNS1_3genE10ELNS1_11target_archE1200ELNS1_3gpuE4ELNS1_3repE0EEENS1_30default_config_static_selectorELNS0_4arch9wavefront6targetE1EEEvSY_,"axG",@progbits,_ZN7rocprim17ROCPRIM_400000_NS6detail17trampoline_kernelINS0_13select_configILj256ELj13ELNS0_17block_load_methodE3ELS4_3ELS4_3ELNS0_20block_scan_algorithmE0ELj4294967295EEENS1_25partition_config_selectorILNS1_17partition_subalgoE3EjNS0_10empty_typeEbEEZZNS1_14partition_implILS8_3ELb0ES6_jNS0_17counting_iteratorIjlEEPS9_SE_NS0_5tupleIJPjSE_EEENSF_IJSE_SE_EEES9_SG_JZNS1_25segmented_radix_sort_implINS0_14default_configELb1EPKdPdPKlPlN2at6native12_GLOBAL__N_18offset_tEEE10hipError_tPvRmT1_PNSt15iterator_traitsISY_E10value_typeET2_T3_PNSZ_IS14_E10value_typeET4_jRbjT5_S1A_jjP12ihipStream_tbEUljE_EEESV_SW_SX_S14_S18_S1A_T6_T7_T9_mT8_S1C_bDpT10_ENKUlT_T0_E_clISt17integral_constantIbLb1EES1O_IbLb0EEEEDaS1K_S1L_EUlS1K_E_NS1_11comp_targetILNS1_3genE10ELNS1_11target_archE1200ELNS1_3gpuE4ELNS1_3repE0EEENS1_30default_config_static_selectorELNS0_4arch9wavefront6targetE1EEEvSY_,comdat
	.globl	_ZN7rocprim17ROCPRIM_400000_NS6detail17trampoline_kernelINS0_13select_configILj256ELj13ELNS0_17block_load_methodE3ELS4_3ELS4_3ELNS0_20block_scan_algorithmE0ELj4294967295EEENS1_25partition_config_selectorILNS1_17partition_subalgoE3EjNS0_10empty_typeEbEEZZNS1_14partition_implILS8_3ELb0ES6_jNS0_17counting_iteratorIjlEEPS9_SE_NS0_5tupleIJPjSE_EEENSF_IJSE_SE_EEES9_SG_JZNS1_25segmented_radix_sort_implINS0_14default_configELb1EPKdPdPKlPlN2at6native12_GLOBAL__N_18offset_tEEE10hipError_tPvRmT1_PNSt15iterator_traitsISY_E10value_typeET2_T3_PNSZ_IS14_E10value_typeET4_jRbjT5_S1A_jjP12ihipStream_tbEUljE_EEESV_SW_SX_S14_S18_S1A_T6_T7_T9_mT8_S1C_bDpT10_ENKUlT_T0_E_clISt17integral_constantIbLb1EES1O_IbLb0EEEEDaS1K_S1L_EUlS1K_E_NS1_11comp_targetILNS1_3genE10ELNS1_11target_archE1200ELNS1_3gpuE4ELNS1_3repE0EEENS1_30default_config_static_selectorELNS0_4arch9wavefront6targetE1EEEvSY_ ; -- Begin function _ZN7rocprim17ROCPRIM_400000_NS6detail17trampoline_kernelINS0_13select_configILj256ELj13ELNS0_17block_load_methodE3ELS4_3ELS4_3ELNS0_20block_scan_algorithmE0ELj4294967295EEENS1_25partition_config_selectorILNS1_17partition_subalgoE3EjNS0_10empty_typeEbEEZZNS1_14partition_implILS8_3ELb0ES6_jNS0_17counting_iteratorIjlEEPS9_SE_NS0_5tupleIJPjSE_EEENSF_IJSE_SE_EEES9_SG_JZNS1_25segmented_radix_sort_implINS0_14default_configELb1EPKdPdPKlPlN2at6native12_GLOBAL__N_18offset_tEEE10hipError_tPvRmT1_PNSt15iterator_traitsISY_E10value_typeET2_T3_PNSZ_IS14_E10value_typeET4_jRbjT5_S1A_jjP12ihipStream_tbEUljE_EEESV_SW_SX_S14_S18_S1A_T6_T7_T9_mT8_S1C_bDpT10_ENKUlT_T0_E_clISt17integral_constantIbLb1EES1O_IbLb0EEEEDaS1K_S1L_EUlS1K_E_NS1_11comp_targetILNS1_3genE10ELNS1_11target_archE1200ELNS1_3gpuE4ELNS1_3repE0EEENS1_30default_config_static_selectorELNS0_4arch9wavefront6targetE1EEEvSY_
	.p2align	8
	.type	_ZN7rocprim17ROCPRIM_400000_NS6detail17trampoline_kernelINS0_13select_configILj256ELj13ELNS0_17block_load_methodE3ELS4_3ELS4_3ELNS0_20block_scan_algorithmE0ELj4294967295EEENS1_25partition_config_selectorILNS1_17partition_subalgoE3EjNS0_10empty_typeEbEEZZNS1_14partition_implILS8_3ELb0ES6_jNS0_17counting_iteratorIjlEEPS9_SE_NS0_5tupleIJPjSE_EEENSF_IJSE_SE_EEES9_SG_JZNS1_25segmented_radix_sort_implINS0_14default_configELb1EPKdPdPKlPlN2at6native12_GLOBAL__N_18offset_tEEE10hipError_tPvRmT1_PNSt15iterator_traitsISY_E10value_typeET2_T3_PNSZ_IS14_E10value_typeET4_jRbjT5_S1A_jjP12ihipStream_tbEUljE_EEESV_SW_SX_S14_S18_S1A_T6_T7_T9_mT8_S1C_bDpT10_ENKUlT_T0_E_clISt17integral_constantIbLb1EES1O_IbLb0EEEEDaS1K_S1L_EUlS1K_E_NS1_11comp_targetILNS1_3genE10ELNS1_11target_archE1200ELNS1_3gpuE4ELNS1_3repE0EEENS1_30default_config_static_selectorELNS0_4arch9wavefront6targetE1EEEvSY_,@function
_ZN7rocprim17ROCPRIM_400000_NS6detail17trampoline_kernelINS0_13select_configILj256ELj13ELNS0_17block_load_methodE3ELS4_3ELS4_3ELNS0_20block_scan_algorithmE0ELj4294967295EEENS1_25partition_config_selectorILNS1_17partition_subalgoE3EjNS0_10empty_typeEbEEZZNS1_14partition_implILS8_3ELb0ES6_jNS0_17counting_iteratorIjlEEPS9_SE_NS0_5tupleIJPjSE_EEENSF_IJSE_SE_EEES9_SG_JZNS1_25segmented_radix_sort_implINS0_14default_configELb1EPKdPdPKlPlN2at6native12_GLOBAL__N_18offset_tEEE10hipError_tPvRmT1_PNSt15iterator_traitsISY_E10value_typeET2_T3_PNSZ_IS14_E10value_typeET4_jRbjT5_S1A_jjP12ihipStream_tbEUljE_EEESV_SW_SX_S14_S18_S1A_T6_T7_T9_mT8_S1C_bDpT10_ENKUlT_T0_E_clISt17integral_constantIbLb1EES1O_IbLb0EEEEDaS1K_S1L_EUlS1K_E_NS1_11comp_targetILNS1_3genE10ELNS1_11target_archE1200ELNS1_3gpuE4ELNS1_3repE0EEENS1_30default_config_static_selectorELNS0_4arch9wavefront6targetE1EEEvSY_: ; @_ZN7rocprim17ROCPRIM_400000_NS6detail17trampoline_kernelINS0_13select_configILj256ELj13ELNS0_17block_load_methodE3ELS4_3ELS4_3ELNS0_20block_scan_algorithmE0ELj4294967295EEENS1_25partition_config_selectorILNS1_17partition_subalgoE3EjNS0_10empty_typeEbEEZZNS1_14partition_implILS8_3ELb0ES6_jNS0_17counting_iteratorIjlEEPS9_SE_NS0_5tupleIJPjSE_EEENSF_IJSE_SE_EEES9_SG_JZNS1_25segmented_radix_sort_implINS0_14default_configELb1EPKdPdPKlPlN2at6native12_GLOBAL__N_18offset_tEEE10hipError_tPvRmT1_PNSt15iterator_traitsISY_E10value_typeET2_T3_PNSZ_IS14_E10value_typeET4_jRbjT5_S1A_jjP12ihipStream_tbEUljE_EEESV_SW_SX_S14_S18_S1A_T6_T7_T9_mT8_S1C_bDpT10_ENKUlT_T0_E_clISt17integral_constantIbLb1EES1O_IbLb0EEEEDaS1K_S1L_EUlS1K_E_NS1_11comp_targetILNS1_3genE10ELNS1_11target_archE1200ELNS1_3gpuE4ELNS1_3repE0EEENS1_30default_config_static_selectorELNS0_4arch9wavefront6targetE1EEEvSY_
; %bb.0:
	.section	.rodata,"a",@progbits
	.p2align	6, 0x0
	.amdhsa_kernel _ZN7rocprim17ROCPRIM_400000_NS6detail17trampoline_kernelINS0_13select_configILj256ELj13ELNS0_17block_load_methodE3ELS4_3ELS4_3ELNS0_20block_scan_algorithmE0ELj4294967295EEENS1_25partition_config_selectorILNS1_17partition_subalgoE3EjNS0_10empty_typeEbEEZZNS1_14partition_implILS8_3ELb0ES6_jNS0_17counting_iteratorIjlEEPS9_SE_NS0_5tupleIJPjSE_EEENSF_IJSE_SE_EEES9_SG_JZNS1_25segmented_radix_sort_implINS0_14default_configELb1EPKdPdPKlPlN2at6native12_GLOBAL__N_18offset_tEEE10hipError_tPvRmT1_PNSt15iterator_traitsISY_E10value_typeET2_T3_PNSZ_IS14_E10value_typeET4_jRbjT5_S1A_jjP12ihipStream_tbEUljE_EEESV_SW_SX_S14_S18_S1A_T6_T7_T9_mT8_S1C_bDpT10_ENKUlT_T0_E_clISt17integral_constantIbLb1EES1O_IbLb0EEEEDaS1K_S1L_EUlS1K_E_NS1_11comp_targetILNS1_3genE10ELNS1_11target_archE1200ELNS1_3gpuE4ELNS1_3repE0EEENS1_30default_config_static_selectorELNS0_4arch9wavefront6targetE1EEEvSY_
		.amdhsa_group_segment_fixed_size 0
		.amdhsa_private_segment_fixed_size 0
		.amdhsa_kernarg_size 144
		.amdhsa_user_sgpr_count 6
		.amdhsa_user_sgpr_private_segment_buffer 1
		.amdhsa_user_sgpr_dispatch_ptr 0
		.amdhsa_user_sgpr_queue_ptr 0
		.amdhsa_user_sgpr_kernarg_segment_ptr 1
		.amdhsa_user_sgpr_dispatch_id 0
		.amdhsa_user_sgpr_flat_scratch_init 0
		.amdhsa_user_sgpr_private_segment_size 0
		.amdhsa_uses_dynamic_stack 0
		.amdhsa_system_sgpr_private_segment_wavefront_offset 0
		.amdhsa_system_sgpr_workgroup_id_x 1
		.amdhsa_system_sgpr_workgroup_id_y 0
		.amdhsa_system_sgpr_workgroup_id_z 0
		.amdhsa_system_sgpr_workgroup_info 0
		.amdhsa_system_vgpr_workitem_id 0
		.amdhsa_next_free_vgpr 1
		.amdhsa_next_free_sgpr 0
		.amdhsa_reserve_vcc 0
		.amdhsa_reserve_flat_scratch 0
		.amdhsa_float_round_mode_32 0
		.amdhsa_float_round_mode_16_64 0
		.amdhsa_float_denorm_mode_32 3
		.amdhsa_float_denorm_mode_16_64 3
		.amdhsa_dx10_clamp 1
		.amdhsa_ieee_mode 1
		.amdhsa_fp16_overflow 0
		.amdhsa_exception_fp_ieee_invalid_op 0
		.amdhsa_exception_fp_denorm_src 0
		.amdhsa_exception_fp_ieee_div_zero 0
		.amdhsa_exception_fp_ieee_overflow 0
		.amdhsa_exception_fp_ieee_underflow 0
		.amdhsa_exception_fp_ieee_inexact 0
		.amdhsa_exception_int_div_zero 0
	.end_amdhsa_kernel
	.section	.text._ZN7rocprim17ROCPRIM_400000_NS6detail17trampoline_kernelINS0_13select_configILj256ELj13ELNS0_17block_load_methodE3ELS4_3ELS4_3ELNS0_20block_scan_algorithmE0ELj4294967295EEENS1_25partition_config_selectorILNS1_17partition_subalgoE3EjNS0_10empty_typeEbEEZZNS1_14partition_implILS8_3ELb0ES6_jNS0_17counting_iteratorIjlEEPS9_SE_NS0_5tupleIJPjSE_EEENSF_IJSE_SE_EEES9_SG_JZNS1_25segmented_radix_sort_implINS0_14default_configELb1EPKdPdPKlPlN2at6native12_GLOBAL__N_18offset_tEEE10hipError_tPvRmT1_PNSt15iterator_traitsISY_E10value_typeET2_T3_PNSZ_IS14_E10value_typeET4_jRbjT5_S1A_jjP12ihipStream_tbEUljE_EEESV_SW_SX_S14_S18_S1A_T6_T7_T9_mT8_S1C_bDpT10_ENKUlT_T0_E_clISt17integral_constantIbLb1EES1O_IbLb0EEEEDaS1K_S1L_EUlS1K_E_NS1_11comp_targetILNS1_3genE10ELNS1_11target_archE1200ELNS1_3gpuE4ELNS1_3repE0EEENS1_30default_config_static_selectorELNS0_4arch9wavefront6targetE1EEEvSY_,"axG",@progbits,_ZN7rocprim17ROCPRIM_400000_NS6detail17trampoline_kernelINS0_13select_configILj256ELj13ELNS0_17block_load_methodE3ELS4_3ELS4_3ELNS0_20block_scan_algorithmE0ELj4294967295EEENS1_25partition_config_selectorILNS1_17partition_subalgoE3EjNS0_10empty_typeEbEEZZNS1_14partition_implILS8_3ELb0ES6_jNS0_17counting_iteratorIjlEEPS9_SE_NS0_5tupleIJPjSE_EEENSF_IJSE_SE_EEES9_SG_JZNS1_25segmented_radix_sort_implINS0_14default_configELb1EPKdPdPKlPlN2at6native12_GLOBAL__N_18offset_tEEE10hipError_tPvRmT1_PNSt15iterator_traitsISY_E10value_typeET2_T3_PNSZ_IS14_E10value_typeET4_jRbjT5_S1A_jjP12ihipStream_tbEUljE_EEESV_SW_SX_S14_S18_S1A_T6_T7_T9_mT8_S1C_bDpT10_ENKUlT_T0_E_clISt17integral_constantIbLb1EES1O_IbLb0EEEEDaS1K_S1L_EUlS1K_E_NS1_11comp_targetILNS1_3genE10ELNS1_11target_archE1200ELNS1_3gpuE4ELNS1_3repE0EEENS1_30default_config_static_selectorELNS0_4arch9wavefront6targetE1EEEvSY_,comdat
.Lfunc_end1107:
	.size	_ZN7rocprim17ROCPRIM_400000_NS6detail17trampoline_kernelINS0_13select_configILj256ELj13ELNS0_17block_load_methodE3ELS4_3ELS4_3ELNS0_20block_scan_algorithmE0ELj4294967295EEENS1_25partition_config_selectorILNS1_17partition_subalgoE3EjNS0_10empty_typeEbEEZZNS1_14partition_implILS8_3ELb0ES6_jNS0_17counting_iteratorIjlEEPS9_SE_NS0_5tupleIJPjSE_EEENSF_IJSE_SE_EEES9_SG_JZNS1_25segmented_radix_sort_implINS0_14default_configELb1EPKdPdPKlPlN2at6native12_GLOBAL__N_18offset_tEEE10hipError_tPvRmT1_PNSt15iterator_traitsISY_E10value_typeET2_T3_PNSZ_IS14_E10value_typeET4_jRbjT5_S1A_jjP12ihipStream_tbEUljE_EEESV_SW_SX_S14_S18_S1A_T6_T7_T9_mT8_S1C_bDpT10_ENKUlT_T0_E_clISt17integral_constantIbLb1EES1O_IbLb0EEEEDaS1K_S1L_EUlS1K_E_NS1_11comp_targetILNS1_3genE10ELNS1_11target_archE1200ELNS1_3gpuE4ELNS1_3repE0EEENS1_30default_config_static_selectorELNS0_4arch9wavefront6targetE1EEEvSY_, .Lfunc_end1107-_ZN7rocprim17ROCPRIM_400000_NS6detail17trampoline_kernelINS0_13select_configILj256ELj13ELNS0_17block_load_methodE3ELS4_3ELS4_3ELNS0_20block_scan_algorithmE0ELj4294967295EEENS1_25partition_config_selectorILNS1_17partition_subalgoE3EjNS0_10empty_typeEbEEZZNS1_14partition_implILS8_3ELb0ES6_jNS0_17counting_iteratorIjlEEPS9_SE_NS0_5tupleIJPjSE_EEENSF_IJSE_SE_EEES9_SG_JZNS1_25segmented_radix_sort_implINS0_14default_configELb1EPKdPdPKlPlN2at6native12_GLOBAL__N_18offset_tEEE10hipError_tPvRmT1_PNSt15iterator_traitsISY_E10value_typeET2_T3_PNSZ_IS14_E10value_typeET4_jRbjT5_S1A_jjP12ihipStream_tbEUljE_EEESV_SW_SX_S14_S18_S1A_T6_T7_T9_mT8_S1C_bDpT10_ENKUlT_T0_E_clISt17integral_constantIbLb1EES1O_IbLb0EEEEDaS1K_S1L_EUlS1K_E_NS1_11comp_targetILNS1_3genE10ELNS1_11target_archE1200ELNS1_3gpuE4ELNS1_3repE0EEENS1_30default_config_static_selectorELNS0_4arch9wavefront6targetE1EEEvSY_
                                        ; -- End function
	.set _ZN7rocprim17ROCPRIM_400000_NS6detail17trampoline_kernelINS0_13select_configILj256ELj13ELNS0_17block_load_methodE3ELS4_3ELS4_3ELNS0_20block_scan_algorithmE0ELj4294967295EEENS1_25partition_config_selectorILNS1_17partition_subalgoE3EjNS0_10empty_typeEbEEZZNS1_14partition_implILS8_3ELb0ES6_jNS0_17counting_iteratorIjlEEPS9_SE_NS0_5tupleIJPjSE_EEENSF_IJSE_SE_EEES9_SG_JZNS1_25segmented_radix_sort_implINS0_14default_configELb1EPKdPdPKlPlN2at6native12_GLOBAL__N_18offset_tEEE10hipError_tPvRmT1_PNSt15iterator_traitsISY_E10value_typeET2_T3_PNSZ_IS14_E10value_typeET4_jRbjT5_S1A_jjP12ihipStream_tbEUljE_EEESV_SW_SX_S14_S18_S1A_T6_T7_T9_mT8_S1C_bDpT10_ENKUlT_T0_E_clISt17integral_constantIbLb1EES1O_IbLb0EEEEDaS1K_S1L_EUlS1K_E_NS1_11comp_targetILNS1_3genE10ELNS1_11target_archE1200ELNS1_3gpuE4ELNS1_3repE0EEENS1_30default_config_static_selectorELNS0_4arch9wavefront6targetE1EEEvSY_.num_vgpr, 0
	.set _ZN7rocprim17ROCPRIM_400000_NS6detail17trampoline_kernelINS0_13select_configILj256ELj13ELNS0_17block_load_methodE3ELS4_3ELS4_3ELNS0_20block_scan_algorithmE0ELj4294967295EEENS1_25partition_config_selectorILNS1_17partition_subalgoE3EjNS0_10empty_typeEbEEZZNS1_14partition_implILS8_3ELb0ES6_jNS0_17counting_iteratorIjlEEPS9_SE_NS0_5tupleIJPjSE_EEENSF_IJSE_SE_EEES9_SG_JZNS1_25segmented_radix_sort_implINS0_14default_configELb1EPKdPdPKlPlN2at6native12_GLOBAL__N_18offset_tEEE10hipError_tPvRmT1_PNSt15iterator_traitsISY_E10value_typeET2_T3_PNSZ_IS14_E10value_typeET4_jRbjT5_S1A_jjP12ihipStream_tbEUljE_EEESV_SW_SX_S14_S18_S1A_T6_T7_T9_mT8_S1C_bDpT10_ENKUlT_T0_E_clISt17integral_constantIbLb1EES1O_IbLb0EEEEDaS1K_S1L_EUlS1K_E_NS1_11comp_targetILNS1_3genE10ELNS1_11target_archE1200ELNS1_3gpuE4ELNS1_3repE0EEENS1_30default_config_static_selectorELNS0_4arch9wavefront6targetE1EEEvSY_.num_agpr, 0
	.set _ZN7rocprim17ROCPRIM_400000_NS6detail17trampoline_kernelINS0_13select_configILj256ELj13ELNS0_17block_load_methodE3ELS4_3ELS4_3ELNS0_20block_scan_algorithmE0ELj4294967295EEENS1_25partition_config_selectorILNS1_17partition_subalgoE3EjNS0_10empty_typeEbEEZZNS1_14partition_implILS8_3ELb0ES6_jNS0_17counting_iteratorIjlEEPS9_SE_NS0_5tupleIJPjSE_EEENSF_IJSE_SE_EEES9_SG_JZNS1_25segmented_radix_sort_implINS0_14default_configELb1EPKdPdPKlPlN2at6native12_GLOBAL__N_18offset_tEEE10hipError_tPvRmT1_PNSt15iterator_traitsISY_E10value_typeET2_T3_PNSZ_IS14_E10value_typeET4_jRbjT5_S1A_jjP12ihipStream_tbEUljE_EEESV_SW_SX_S14_S18_S1A_T6_T7_T9_mT8_S1C_bDpT10_ENKUlT_T0_E_clISt17integral_constantIbLb1EES1O_IbLb0EEEEDaS1K_S1L_EUlS1K_E_NS1_11comp_targetILNS1_3genE10ELNS1_11target_archE1200ELNS1_3gpuE4ELNS1_3repE0EEENS1_30default_config_static_selectorELNS0_4arch9wavefront6targetE1EEEvSY_.numbered_sgpr, 0
	.set _ZN7rocprim17ROCPRIM_400000_NS6detail17trampoline_kernelINS0_13select_configILj256ELj13ELNS0_17block_load_methodE3ELS4_3ELS4_3ELNS0_20block_scan_algorithmE0ELj4294967295EEENS1_25partition_config_selectorILNS1_17partition_subalgoE3EjNS0_10empty_typeEbEEZZNS1_14partition_implILS8_3ELb0ES6_jNS0_17counting_iteratorIjlEEPS9_SE_NS0_5tupleIJPjSE_EEENSF_IJSE_SE_EEES9_SG_JZNS1_25segmented_radix_sort_implINS0_14default_configELb1EPKdPdPKlPlN2at6native12_GLOBAL__N_18offset_tEEE10hipError_tPvRmT1_PNSt15iterator_traitsISY_E10value_typeET2_T3_PNSZ_IS14_E10value_typeET4_jRbjT5_S1A_jjP12ihipStream_tbEUljE_EEESV_SW_SX_S14_S18_S1A_T6_T7_T9_mT8_S1C_bDpT10_ENKUlT_T0_E_clISt17integral_constantIbLb1EES1O_IbLb0EEEEDaS1K_S1L_EUlS1K_E_NS1_11comp_targetILNS1_3genE10ELNS1_11target_archE1200ELNS1_3gpuE4ELNS1_3repE0EEENS1_30default_config_static_selectorELNS0_4arch9wavefront6targetE1EEEvSY_.num_named_barrier, 0
	.set _ZN7rocprim17ROCPRIM_400000_NS6detail17trampoline_kernelINS0_13select_configILj256ELj13ELNS0_17block_load_methodE3ELS4_3ELS4_3ELNS0_20block_scan_algorithmE0ELj4294967295EEENS1_25partition_config_selectorILNS1_17partition_subalgoE3EjNS0_10empty_typeEbEEZZNS1_14partition_implILS8_3ELb0ES6_jNS0_17counting_iteratorIjlEEPS9_SE_NS0_5tupleIJPjSE_EEENSF_IJSE_SE_EEES9_SG_JZNS1_25segmented_radix_sort_implINS0_14default_configELb1EPKdPdPKlPlN2at6native12_GLOBAL__N_18offset_tEEE10hipError_tPvRmT1_PNSt15iterator_traitsISY_E10value_typeET2_T3_PNSZ_IS14_E10value_typeET4_jRbjT5_S1A_jjP12ihipStream_tbEUljE_EEESV_SW_SX_S14_S18_S1A_T6_T7_T9_mT8_S1C_bDpT10_ENKUlT_T0_E_clISt17integral_constantIbLb1EES1O_IbLb0EEEEDaS1K_S1L_EUlS1K_E_NS1_11comp_targetILNS1_3genE10ELNS1_11target_archE1200ELNS1_3gpuE4ELNS1_3repE0EEENS1_30default_config_static_selectorELNS0_4arch9wavefront6targetE1EEEvSY_.private_seg_size, 0
	.set _ZN7rocprim17ROCPRIM_400000_NS6detail17trampoline_kernelINS0_13select_configILj256ELj13ELNS0_17block_load_methodE3ELS4_3ELS4_3ELNS0_20block_scan_algorithmE0ELj4294967295EEENS1_25partition_config_selectorILNS1_17partition_subalgoE3EjNS0_10empty_typeEbEEZZNS1_14partition_implILS8_3ELb0ES6_jNS0_17counting_iteratorIjlEEPS9_SE_NS0_5tupleIJPjSE_EEENSF_IJSE_SE_EEES9_SG_JZNS1_25segmented_radix_sort_implINS0_14default_configELb1EPKdPdPKlPlN2at6native12_GLOBAL__N_18offset_tEEE10hipError_tPvRmT1_PNSt15iterator_traitsISY_E10value_typeET2_T3_PNSZ_IS14_E10value_typeET4_jRbjT5_S1A_jjP12ihipStream_tbEUljE_EEESV_SW_SX_S14_S18_S1A_T6_T7_T9_mT8_S1C_bDpT10_ENKUlT_T0_E_clISt17integral_constantIbLb1EES1O_IbLb0EEEEDaS1K_S1L_EUlS1K_E_NS1_11comp_targetILNS1_3genE10ELNS1_11target_archE1200ELNS1_3gpuE4ELNS1_3repE0EEENS1_30default_config_static_selectorELNS0_4arch9wavefront6targetE1EEEvSY_.uses_vcc, 0
	.set _ZN7rocprim17ROCPRIM_400000_NS6detail17trampoline_kernelINS0_13select_configILj256ELj13ELNS0_17block_load_methodE3ELS4_3ELS4_3ELNS0_20block_scan_algorithmE0ELj4294967295EEENS1_25partition_config_selectorILNS1_17partition_subalgoE3EjNS0_10empty_typeEbEEZZNS1_14partition_implILS8_3ELb0ES6_jNS0_17counting_iteratorIjlEEPS9_SE_NS0_5tupleIJPjSE_EEENSF_IJSE_SE_EEES9_SG_JZNS1_25segmented_radix_sort_implINS0_14default_configELb1EPKdPdPKlPlN2at6native12_GLOBAL__N_18offset_tEEE10hipError_tPvRmT1_PNSt15iterator_traitsISY_E10value_typeET2_T3_PNSZ_IS14_E10value_typeET4_jRbjT5_S1A_jjP12ihipStream_tbEUljE_EEESV_SW_SX_S14_S18_S1A_T6_T7_T9_mT8_S1C_bDpT10_ENKUlT_T0_E_clISt17integral_constantIbLb1EES1O_IbLb0EEEEDaS1K_S1L_EUlS1K_E_NS1_11comp_targetILNS1_3genE10ELNS1_11target_archE1200ELNS1_3gpuE4ELNS1_3repE0EEENS1_30default_config_static_selectorELNS0_4arch9wavefront6targetE1EEEvSY_.uses_flat_scratch, 0
	.set _ZN7rocprim17ROCPRIM_400000_NS6detail17trampoline_kernelINS0_13select_configILj256ELj13ELNS0_17block_load_methodE3ELS4_3ELS4_3ELNS0_20block_scan_algorithmE0ELj4294967295EEENS1_25partition_config_selectorILNS1_17partition_subalgoE3EjNS0_10empty_typeEbEEZZNS1_14partition_implILS8_3ELb0ES6_jNS0_17counting_iteratorIjlEEPS9_SE_NS0_5tupleIJPjSE_EEENSF_IJSE_SE_EEES9_SG_JZNS1_25segmented_radix_sort_implINS0_14default_configELb1EPKdPdPKlPlN2at6native12_GLOBAL__N_18offset_tEEE10hipError_tPvRmT1_PNSt15iterator_traitsISY_E10value_typeET2_T3_PNSZ_IS14_E10value_typeET4_jRbjT5_S1A_jjP12ihipStream_tbEUljE_EEESV_SW_SX_S14_S18_S1A_T6_T7_T9_mT8_S1C_bDpT10_ENKUlT_T0_E_clISt17integral_constantIbLb1EES1O_IbLb0EEEEDaS1K_S1L_EUlS1K_E_NS1_11comp_targetILNS1_3genE10ELNS1_11target_archE1200ELNS1_3gpuE4ELNS1_3repE0EEENS1_30default_config_static_selectorELNS0_4arch9wavefront6targetE1EEEvSY_.has_dyn_sized_stack, 0
	.set _ZN7rocprim17ROCPRIM_400000_NS6detail17trampoline_kernelINS0_13select_configILj256ELj13ELNS0_17block_load_methodE3ELS4_3ELS4_3ELNS0_20block_scan_algorithmE0ELj4294967295EEENS1_25partition_config_selectorILNS1_17partition_subalgoE3EjNS0_10empty_typeEbEEZZNS1_14partition_implILS8_3ELb0ES6_jNS0_17counting_iteratorIjlEEPS9_SE_NS0_5tupleIJPjSE_EEENSF_IJSE_SE_EEES9_SG_JZNS1_25segmented_radix_sort_implINS0_14default_configELb1EPKdPdPKlPlN2at6native12_GLOBAL__N_18offset_tEEE10hipError_tPvRmT1_PNSt15iterator_traitsISY_E10value_typeET2_T3_PNSZ_IS14_E10value_typeET4_jRbjT5_S1A_jjP12ihipStream_tbEUljE_EEESV_SW_SX_S14_S18_S1A_T6_T7_T9_mT8_S1C_bDpT10_ENKUlT_T0_E_clISt17integral_constantIbLb1EES1O_IbLb0EEEEDaS1K_S1L_EUlS1K_E_NS1_11comp_targetILNS1_3genE10ELNS1_11target_archE1200ELNS1_3gpuE4ELNS1_3repE0EEENS1_30default_config_static_selectorELNS0_4arch9wavefront6targetE1EEEvSY_.has_recursion, 0
	.set _ZN7rocprim17ROCPRIM_400000_NS6detail17trampoline_kernelINS0_13select_configILj256ELj13ELNS0_17block_load_methodE3ELS4_3ELS4_3ELNS0_20block_scan_algorithmE0ELj4294967295EEENS1_25partition_config_selectorILNS1_17partition_subalgoE3EjNS0_10empty_typeEbEEZZNS1_14partition_implILS8_3ELb0ES6_jNS0_17counting_iteratorIjlEEPS9_SE_NS0_5tupleIJPjSE_EEENSF_IJSE_SE_EEES9_SG_JZNS1_25segmented_radix_sort_implINS0_14default_configELb1EPKdPdPKlPlN2at6native12_GLOBAL__N_18offset_tEEE10hipError_tPvRmT1_PNSt15iterator_traitsISY_E10value_typeET2_T3_PNSZ_IS14_E10value_typeET4_jRbjT5_S1A_jjP12ihipStream_tbEUljE_EEESV_SW_SX_S14_S18_S1A_T6_T7_T9_mT8_S1C_bDpT10_ENKUlT_T0_E_clISt17integral_constantIbLb1EES1O_IbLb0EEEEDaS1K_S1L_EUlS1K_E_NS1_11comp_targetILNS1_3genE10ELNS1_11target_archE1200ELNS1_3gpuE4ELNS1_3repE0EEENS1_30default_config_static_selectorELNS0_4arch9wavefront6targetE1EEEvSY_.has_indirect_call, 0
	.section	.AMDGPU.csdata,"",@progbits
; Kernel info:
; codeLenInByte = 0
; TotalNumSgprs: 4
; NumVgprs: 0
; ScratchSize: 0
; MemoryBound: 0
; FloatMode: 240
; IeeeMode: 1
; LDSByteSize: 0 bytes/workgroup (compile time only)
; SGPRBlocks: 0
; VGPRBlocks: 0
; NumSGPRsForWavesPerEU: 4
; NumVGPRsForWavesPerEU: 1
; Occupancy: 10
; WaveLimiterHint : 0
; COMPUTE_PGM_RSRC2:SCRATCH_EN: 0
; COMPUTE_PGM_RSRC2:USER_SGPR: 6
; COMPUTE_PGM_RSRC2:TRAP_HANDLER: 0
; COMPUTE_PGM_RSRC2:TGID_X_EN: 1
; COMPUTE_PGM_RSRC2:TGID_Y_EN: 0
; COMPUTE_PGM_RSRC2:TGID_Z_EN: 0
; COMPUTE_PGM_RSRC2:TIDIG_COMP_CNT: 0
	.section	.text._ZN7rocprim17ROCPRIM_400000_NS6detail17trampoline_kernelINS0_13select_configILj256ELj13ELNS0_17block_load_methodE3ELS4_3ELS4_3ELNS0_20block_scan_algorithmE0ELj4294967295EEENS1_25partition_config_selectorILNS1_17partition_subalgoE3EjNS0_10empty_typeEbEEZZNS1_14partition_implILS8_3ELb0ES6_jNS0_17counting_iteratorIjlEEPS9_SE_NS0_5tupleIJPjSE_EEENSF_IJSE_SE_EEES9_SG_JZNS1_25segmented_radix_sort_implINS0_14default_configELb1EPKdPdPKlPlN2at6native12_GLOBAL__N_18offset_tEEE10hipError_tPvRmT1_PNSt15iterator_traitsISY_E10value_typeET2_T3_PNSZ_IS14_E10value_typeET4_jRbjT5_S1A_jjP12ihipStream_tbEUljE_EEESV_SW_SX_S14_S18_S1A_T6_T7_T9_mT8_S1C_bDpT10_ENKUlT_T0_E_clISt17integral_constantIbLb1EES1O_IbLb0EEEEDaS1K_S1L_EUlS1K_E_NS1_11comp_targetILNS1_3genE9ELNS1_11target_archE1100ELNS1_3gpuE3ELNS1_3repE0EEENS1_30default_config_static_selectorELNS0_4arch9wavefront6targetE1EEEvSY_,"axG",@progbits,_ZN7rocprim17ROCPRIM_400000_NS6detail17trampoline_kernelINS0_13select_configILj256ELj13ELNS0_17block_load_methodE3ELS4_3ELS4_3ELNS0_20block_scan_algorithmE0ELj4294967295EEENS1_25partition_config_selectorILNS1_17partition_subalgoE3EjNS0_10empty_typeEbEEZZNS1_14partition_implILS8_3ELb0ES6_jNS0_17counting_iteratorIjlEEPS9_SE_NS0_5tupleIJPjSE_EEENSF_IJSE_SE_EEES9_SG_JZNS1_25segmented_radix_sort_implINS0_14default_configELb1EPKdPdPKlPlN2at6native12_GLOBAL__N_18offset_tEEE10hipError_tPvRmT1_PNSt15iterator_traitsISY_E10value_typeET2_T3_PNSZ_IS14_E10value_typeET4_jRbjT5_S1A_jjP12ihipStream_tbEUljE_EEESV_SW_SX_S14_S18_S1A_T6_T7_T9_mT8_S1C_bDpT10_ENKUlT_T0_E_clISt17integral_constantIbLb1EES1O_IbLb0EEEEDaS1K_S1L_EUlS1K_E_NS1_11comp_targetILNS1_3genE9ELNS1_11target_archE1100ELNS1_3gpuE3ELNS1_3repE0EEENS1_30default_config_static_selectorELNS0_4arch9wavefront6targetE1EEEvSY_,comdat
	.globl	_ZN7rocprim17ROCPRIM_400000_NS6detail17trampoline_kernelINS0_13select_configILj256ELj13ELNS0_17block_load_methodE3ELS4_3ELS4_3ELNS0_20block_scan_algorithmE0ELj4294967295EEENS1_25partition_config_selectorILNS1_17partition_subalgoE3EjNS0_10empty_typeEbEEZZNS1_14partition_implILS8_3ELb0ES6_jNS0_17counting_iteratorIjlEEPS9_SE_NS0_5tupleIJPjSE_EEENSF_IJSE_SE_EEES9_SG_JZNS1_25segmented_radix_sort_implINS0_14default_configELb1EPKdPdPKlPlN2at6native12_GLOBAL__N_18offset_tEEE10hipError_tPvRmT1_PNSt15iterator_traitsISY_E10value_typeET2_T3_PNSZ_IS14_E10value_typeET4_jRbjT5_S1A_jjP12ihipStream_tbEUljE_EEESV_SW_SX_S14_S18_S1A_T6_T7_T9_mT8_S1C_bDpT10_ENKUlT_T0_E_clISt17integral_constantIbLb1EES1O_IbLb0EEEEDaS1K_S1L_EUlS1K_E_NS1_11comp_targetILNS1_3genE9ELNS1_11target_archE1100ELNS1_3gpuE3ELNS1_3repE0EEENS1_30default_config_static_selectorELNS0_4arch9wavefront6targetE1EEEvSY_ ; -- Begin function _ZN7rocprim17ROCPRIM_400000_NS6detail17trampoline_kernelINS0_13select_configILj256ELj13ELNS0_17block_load_methodE3ELS4_3ELS4_3ELNS0_20block_scan_algorithmE0ELj4294967295EEENS1_25partition_config_selectorILNS1_17partition_subalgoE3EjNS0_10empty_typeEbEEZZNS1_14partition_implILS8_3ELb0ES6_jNS0_17counting_iteratorIjlEEPS9_SE_NS0_5tupleIJPjSE_EEENSF_IJSE_SE_EEES9_SG_JZNS1_25segmented_radix_sort_implINS0_14default_configELb1EPKdPdPKlPlN2at6native12_GLOBAL__N_18offset_tEEE10hipError_tPvRmT1_PNSt15iterator_traitsISY_E10value_typeET2_T3_PNSZ_IS14_E10value_typeET4_jRbjT5_S1A_jjP12ihipStream_tbEUljE_EEESV_SW_SX_S14_S18_S1A_T6_T7_T9_mT8_S1C_bDpT10_ENKUlT_T0_E_clISt17integral_constantIbLb1EES1O_IbLb0EEEEDaS1K_S1L_EUlS1K_E_NS1_11comp_targetILNS1_3genE9ELNS1_11target_archE1100ELNS1_3gpuE3ELNS1_3repE0EEENS1_30default_config_static_selectorELNS0_4arch9wavefront6targetE1EEEvSY_
	.p2align	8
	.type	_ZN7rocprim17ROCPRIM_400000_NS6detail17trampoline_kernelINS0_13select_configILj256ELj13ELNS0_17block_load_methodE3ELS4_3ELS4_3ELNS0_20block_scan_algorithmE0ELj4294967295EEENS1_25partition_config_selectorILNS1_17partition_subalgoE3EjNS0_10empty_typeEbEEZZNS1_14partition_implILS8_3ELb0ES6_jNS0_17counting_iteratorIjlEEPS9_SE_NS0_5tupleIJPjSE_EEENSF_IJSE_SE_EEES9_SG_JZNS1_25segmented_radix_sort_implINS0_14default_configELb1EPKdPdPKlPlN2at6native12_GLOBAL__N_18offset_tEEE10hipError_tPvRmT1_PNSt15iterator_traitsISY_E10value_typeET2_T3_PNSZ_IS14_E10value_typeET4_jRbjT5_S1A_jjP12ihipStream_tbEUljE_EEESV_SW_SX_S14_S18_S1A_T6_T7_T9_mT8_S1C_bDpT10_ENKUlT_T0_E_clISt17integral_constantIbLb1EES1O_IbLb0EEEEDaS1K_S1L_EUlS1K_E_NS1_11comp_targetILNS1_3genE9ELNS1_11target_archE1100ELNS1_3gpuE3ELNS1_3repE0EEENS1_30default_config_static_selectorELNS0_4arch9wavefront6targetE1EEEvSY_,@function
_ZN7rocprim17ROCPRIM_400000_NS6detail17trampoline_kernelINS0_13select_configILj256ELj13ELNS0_17block_load_methodE3ELS4_3ELS4_3ELNS0_20block_scan_algorithmE0ELj4294967295EEENS1_25partition_config_selectorILNS1_17partition_subalgoE3EjNS0_10empty_typeEbEEZZNS1_14partition_implILS8_3ELb0ES6_jNS0_17counting_iteratorIjlEEPS9_SE_NS0_5tupleIJPjSE_EEENSF_IJSE_SE_EEES9_SG_JZNS1_25segmented_radix_sort_implINS0_14default_configELb1EPKdPdPKlPlN2at6native12_GLOBAL__N_18offset_tEEE10hipError_tPvRmT1_PNSt15iterator_traitsISY_E10value_typeET2_T3_PNSZ_IS14_E10value_typeET4_jRbjT5_S1A_jjP12ihipStream_tbEUljE_EEESV_SW_SX_S14_S18_S1A_T6_T7_T9_mT8_S1C_bDpT10_ENKUlT_T0_E_clISt17integral_constantIbLb1EES1O_IbLb0EEEEDaS1K_S1L_EUlS1K_E_NS1_11comp_targetILNS1_3genE9ELNS1_11target_archE1100ELNS1_3gpuE3ELNS1_3repE0EEENS1_30default_config_static_selectorELNS0_4arch9wavefront6targetE1EEEvSY_: ; @_ZN7rocprim17ROCPRIM_400000_NS6detail17trampoline_kernelINS0_13select_configILj256ELj13ELNS0_17block_load_methodE3ELS4_3ELS4_3ELNS0_20block_scan_algorithmE0ELj4294967295EEENS1_25partition_config_selectorILNS1_17partition_subalgoE3EjNS0_10empty_typeEbEEZZNS1_14partition_implILS8_3ELb0ES6_jNS0_17counting_iteratorIjlEEPS9_SE_NS0_5tupleIJPjSE_EEENSF_IJSE_SE_EEES9_SG_JZNS1_25segmented_radix_sort_implINS0_14default_configELb1EPKdPdPKlPlN2at6native12_GLOBAL__N_18offset_tEEE10hipError_tPvRmT1_PNSt15iterator_traitsISY_E10value_typeET2_T3_PNSZ_IS14_E10value_typeET4_jRbjT5_S1A_jjP12ihipStream_tbEUljE_EEESV_SW_SX_S14_S18_S1A_T6_T7_T9_mT8_S1C_bDpT10_ENKUlT_T0_E_clISt17integral_constantIbLb1EES1O_IbLb0EEEEDaS1K_S1L_EUlS1K_E_NS1_11comp_targetILNS1_3genE9ELNS1_11target_archE1100ELNS1_3gpuE3ELNS1_3repE0EEENS1_30default_config_static_selectorELNS0_4arch9wavefront6targetE1EEEvSY_
; %bb.0:
	.section	.rodata,"a",@progbits
	.p2align	6, 0x0
	.amdhsa_kernel _ZN7rocprim17ROCPRIM_400000_NS6detail17trampoline_kernelINS0_13select_configILj256ELj13ELNS0_17block_load_methodE3ELS4_3ELS4_3ELNS0_20block_scan_algorithmE0ELj4294967295EEENS1_25partition_config_selectorILNS1_17partition_subalgoE3EjNS0_10empty_typeEbEEZZNS1_14partition_implILS8_3ELb0ES6_jNS0_17counting_iteratorIjlEEPS9_SE_NS0_5tupleIJPjSE_EEENSF_IJSE_SE_EEES9_SG_JZNS1_25segmented_radix_sort_implINS0_14default_configELb1EPKdPdPKlPlN2at6native12_GLOBAL__N_18offset_tEEE10hipError_tPvRmT1_PNSt15iterator_traitsISY_E10value_typeET2_T3_PNSZ_IS14_E10value_typeET4_jRbjT5_S1A_jjP12ihipStream_tbEUljE_EEESV_SW_SX_S14_S18_S1A_T6_T7_T9_mT8_S1C_bDpT10_ENKUlT_T0_E_clISt17integral_constantIbLb1EES1O_IbLb0EEEEDaS1K_S1L_EUlS1K_E_NS1_11comp_targetILNS1_3genE9ELNS1_11target_archE1100ELNS1_3gpuE3ELNS1_3repE0EEENS1_30default_config_static_selectorELNS0_4arch9wavefront6targetE1EEEvSY_
		.amdhsa_group_segment_fixed_size 0
		.amdhsa_private_segment_fixed_size 0
		.amdhsa_kernarg_size 144
		.amdhsa_user_sgpr_count 6
		.amdhsa_user_sgpr_private_segment_buffer 1
		.amdhsa_user_sgpr_dispatch_ptr 0
		.amdhsa_user_sgpr_queue_ptr 0
		.amdhsa_user_sgpr_kernarg_segment_ptr 1
		.amdhsa_user_sgpr_dispatch_id 0
		.amdhsa_user_sgpr_flat_scratch_init 0
		.amdhsa_user_sgpr_private_segment_size 0
		.amdhsa_uses_dynamic_stack 0
		.amdhsa_system_sgpr_private_segment_wavefront_offset 0
		.amdhsa_system_sgpr_workgroup_id_x 1
		.amdhsa_system_sgpr_workgroup_id_y 0
		.amdhsa_system_sgpr_workgroup_id_z 0
		.amdhsa_system_sgpr_workgroup_info 0
		.amdhsa_system_vgpr_workitem_id 0
		.amdhsa_next_free_vgpr 1
		.amdhsa_next_free_sgpr 0
		.amdhsa_reserve_vcc 0
		.amdhsa_reserve_flat_scratch 0
		.amdhsa_float_round_mode_32 0
		.amdhsa_float_round_mode_16_64 0
		.amdhsa_float_denorm_mode_32 3
		.amdhsa_float_denorm_mode_16_64 3
		.amdhsa_dx10_clamp 1
		.amdhsa_ieee_mode 1
		.amdhsa_fp16_overflow 0
		.amdhsa_exception_fp_ieee_invalid_op 0
		.amdhsa_exception_fp_denorm_src 0
		.amdhsa_exception_fp_ieee_div_zero 0
		.amdhsa_exception_fp_ieee_overflow 0
		.amdhsa_exception_fp_ieee_underflow 0
		.amdhsa_exception_fp_ieee_inexact 0
		.amdhsa_exception_int_div_zero 0
	.end_amdhsa_kernel
	.section	.text._ZN7rocprim17ROCPRIM_400000_NS6detail17trampoline_kernelINS0_13select_configILj256ELj13ELNS0_17block_load_methodE3ELS4_3ELS4_3ELNS0_20block_scan_algorithmE0ELj4294967295EEENS1_25partition_config_selectorILNS1_17partition_subalgoE3EjNS0_10empty_typeEbEEZZNS1_14partition_implILS8_3ELb0ES6_jNS0_17counting_iteratorIjlEEPS9_SE_NS0_5tupleIJPjSE_EEENSF_IJSE_SE_EEES9_SG_JZNS1_25segmented_radix_sort_implINS0_14default_configELb1EPKdPdPKlPlN2at6native12_GLOBAL__N_18offset_tEEE10hipError_tPvRmT1_PNSt15iterator_traitsISY_E10value_typeET2_T3_PNSZ_IS14_E10value_typeET4_jRbjT5_S1A_jjP12ihipStream_tbEUljE_EEESV_SW_SX_S14_S18_S1A_T6_T7_T9_mT8_S1C_bDpT10_ENKUlT_T0_E_clISt17integral_constantIbLb1EES1O_IbLb0EEEEDaS1K_S1L_EUlS1K_E_NS1_11comp_targetILNS1_3genE9ELNS1_11target_archE1100ELNS1_3gpuE3ELNS1_3repE0EEENS1_30default_config_static_selectorELNS0_4arch9wavefront6targetE1EEEvSY_,"axG",@progbits,_ZN7rocprim17ROCPRIM_400000_NS6detail17trampoline_kernelINS0_13select_configILj256ELj13ELNS0_17block_load_methodE3ELS4_3ELS4_3ELNS0_20block_scan_algorithmE0ELj4294967295EEENS1_25partition_config_selectorILNS1_17partition_subalgoE3EjNS0_10empty_typeEbEEZZNS1_14partition_implILS8_3ELb0ES6_jNS0_17counting_iteratorIjlEEPS9_SE_NS0_5tupleIJPjSE_EEENSF_IJSE_SE_EEES9_SG_JZNS1_25segmented_radix_sort_implINS0_14default_configELb1EPKdPdPKlPlN2at6native12_GLOBAL__N_18offset_tEEE10hipError_tPvRmT1_PNSt15iterator_traitsISY_E10value_typeET2_T3_PNSZ_IS14_E10value_typeET4_jRbjT5_S1A_jjP12ihipStream_tbEUljE_EEESV_SW_SX_S14_S18_S1A_T6_T7_T9_mT8_S1C_bDpT10_ENKUlT_T0_E_clISt17integral_constantIbLb1EES1O_IbLb0EEEEDaS1K_S1L_EUlS1K_E_NS1_11comp_targetILNS1_3genE9ELNS1_11target_archE1100ELNS1_3gpuE3ELNS1_3repE0EEENS1_30default_config_static_selectorELNS0_4arch9wavefront6targetE1EEEvSY_,comdat
.Lfunc_end1108:
	.size	_ZN7rocprim17ROCPRIM_400000_NS6detail17trampoline_kernelINS0_13select_configILj256ELj13ELNS0_17block_load_methodE3ELS4_3ELS4_3ELNS0_20block_scan_algorithmE0ELj4294967295EEENS1_25partition_config_selectorILNS1_17partition_subalgoE3EjNS0_10empty_typeEbEEZZNS1_14partition_implILS8_3ELb0ES6_jNS0_17counting_iteratorIjlEEPS9_SE_NS0_5tupleIJPjSE_EEENSF_IJSE_SE_EEES9_SG_JZNS1_25segmented_radix_sort_implINS0_14default_configELb1EPKdPdPKlPlN2at6native12_GLOBAL__N_18offset_tEEE10hipError_tPvRmT1_PNSt15iterator_traitsISY_E10value_typeET2_T3_PNSZ_IS14_E10value_typeET4_jRbjT5_S1A_jjP12ihipStream_tbEUljE_EEESV_SW_SX_S14_S18_S1A_T6_T7_T9_mT8_S1C_bDpT10_ENKUlT_T0_E_clISt17integral_constantIbLb1EES1O_IbLb0EEEEDaS1K_S1L_EUlS1K_E_NS1_11comp_targetILNS1_3genE9ELNS1_11target_archE1100ELNS1_3gpuE3ELNS1_3repE0EEENS1_30default_config_static_selectorELNS0_4arch9wavefront6targetE1EEEvSY_, .Lfunc_end1108-_ZN7rocprim17ROCPRIM_400000_NS6detail17trampoline_kernelINS0_13select_configILj256ELj13ELNS0_17block_load_methodE3ELS4_3ELS4_3ELNS0_20block_scan_algorithmE0ELj4294967295EEENS1_25partition_config_selectorILNS1_17partition_subalgoE3EjNS0_10empty_typeEbEEZZNS1_14partition_implILS8_3ELb0ES6_jNS0_17counting_iteratorIjlEEPS9_SE_NS0_5tupleIJPjSE_EEENSF_IJSE_SE_EEES9_SG_JZNS1_25segmented_radix_sort_implINS0_14default_configELb1EPKdPdPKlPlN2at6native12_GLOBAL__N_18offset_tEEE10hipError_tPvRmT1_PNSt15iterator_traitsISY_E10value_typeET2_T3_PNSZ_IS14_E10value_typeET4_jRbjT5_S1A_jjP12ihipStream_tbEUljE_EEESV_SW_SX_S14_S18_S1A_T6_T7_T9_mT8_S1C_bDpT10_ENKUlT_T0_E_clISt17integral_constantIbLb1EES1O_IbLb0EEEEDaS1K_S1L_EUlS1K_E_NS1_11comp_targetILNS1_3genE9ELNS1_11target_archE1100ELNS1_3gpuE3ELNS1_3repE0EEENS1_30default_config_static_selectorELNS0_4arch9wavefront6targetE1EEEvSY_
                                        ; -- End function
	.set _ZN7rocprim17ROCPRIM_400000_NS6detail17trampoline_kernelINS0_13select_configILj256ELj13ELNS0_17block_load_methodE3ELS4_3ELS4_3ELNS0_20block_scan_algorithmE0ELj4294967295EEENS1_25partition_config_selectorILNS1_17partition_subalgoE3EjNS0_10empty_typeEbEEZZNS1_14partition_implILS8_3ELb0ES6_jNS0_17counting_iteratorIjlEEPS9_SE_NS0_5tupleIJPjSE_EEENSF_IJSE_SE_EEES9_SG_JZNS1_25segmented_radix_sort_implINS0_14default_configELb1EPKdPdPKlPlN2at6native12_GLOBAL__N_18offset_tEEE10hipError_tPvRmT1_PNSt15iterator_traitsISY_E10value_typeET2_T3_PNSZ_IS14_E10value_typeET4_jRbjT5_S1A_jjP12ihipStream_tbEUljE_EEESV_SW_SX_S14_S18_S1A_T6_T7_T9_mT8_S1C_bDpT10_ENKUlT_T0_E_clISt17integral_constantIbLb1EES1O_IbLb0EEEEDaS1K_S1L_EUlS1K_E_NS1_11comp_targetILNS1_3genE9ELNS1_11target_archE1100ELNS1_3gpuE3ELNS1_3repE0EEENS1_30default_config_static_selectorELNS0_4arch9wavefront6targetE1EEEvSY_.num_vgpr, 0
	.set _ZN7rocprim17ROCPRIM_400000_NS6detail17trampoline_kernelINS0_13select_configILj256ELj13ELNS0_17block_load_methodE3ELS4_3ELS4_3ELNS0_20block_scan_algorithmE0ELj4294967295EEENS1_25partition_config_selectorILNS1_17partition_subalgoE3EjNS0_10empty_typeEbEEZZNS1_14partition_implILS8_3ELb0ES6_jNS0_17counting_iteratorIjlEEPS9_SE_NS0_5tupleIJPjSE_EEENSF_IJSE_SE_EEES9_SG_JZNS1_25segmented_radix_sort_implINS0_14default_configELb1EPKdPdPKlPlN2at6native12_GLOBAL__N_18offset_tEEE10hipError_tPvRmT1_PNSt15iterator_traitsISY_E10value_typeET2_T3_PNSZ_IS14_E10value_typeET4_jRbjT5_S1A_jjP12ihipStream_tbEUljE_EEESV_SW_SX_S14_S18_S1A_T6_T7_T9_mT8_S1C_bDpT10_ENKUlT_T0_E_clISt17integral_constantIbLb1EES1O_IbLb0EEEEDaS1K_S1L_EUlS1K_E_NS1_11comp_targetILNS1_3genE9ELNS1_11target_archE1100ELNS1_3gpuE3ELNS1_3repE0EEENS1_30default_config_static_selectorELNS0_4arch9wavefront6targetE1EEEvSY_.num_agpr, 0
	.set _ZN7rocprim17ROCPRIM_400000_NS6detail17trampoline_kernelINS0_13select_configILj256ELj13ELNS0_17block_load_methodE3ELS4_3ELS4_3ELNS0_20block_scan_algorithmE0ELj4294967295EEENS1_25partition_config_selectorILNS1_17partition_subalgoE3EjNS0_10empty_typeEbEEZZNS1_14partition_implILS8_3ELb0ES6_jNS0_17counting_iteratorIjlEEPS9_SE_NS0_5tupleIJPjSE_EEENSF_IJSE_SE_EEES9_SG_JZNS1_25segmented_radix_sort_implINS0_14default_configELb1EPKdPdPKlPlN2at6native12_GLOBAL__N_18offset_tEEE10hipError_tPvRmT1_PNSt15iterator_traitsISY_E10value_typeET2_T3_PNSZ_IS14_E10value_typeET4_jRbjT5_S1A_jjP12ihipStream_tbEUljE_EEESV_SW_SX_S14_S18_S1A_T6_T7_T9_mT8_S1C_bDpT10_ENKUlT_T0_E_clISt17integral_constantIbLb1EES1O_IbLb0EEEEDaS1K_S1L_EUlS1K_E_NS1_11comp_targetILNS1_3genE9ELNS1_11target_archE1100ELNS1_3gpuE3ELNS1_3repE0EEENS1_30default_config_static_selectorELNS0_4arch9wavefront6targetE1EEEvSY_.numbered_sgpr, 0
	.set _ZN7rocprim17ROCPRIM_400000_NS6detail17trampoline_kernelINS0_13select_configILj256ELj13ELNS0_17block_load_methodE3ELS4_3ELS4_3ELNS0_20block_scan_algorithmE0ELj4294967295EEENS1_25partition_config_selectorILNS1_17partition_subalgoE3EjNS0_10empty_typeEbEEZZNS1_14partition_implILS8_3ELb0ES6_jNS0_17counting_iteratorIjlEEPS9_SE_NS0_5tupleIJPjSE_EEENSF_IJSE_SE_EEES9_SG_JZNS1_25segmented_radix_sort_implINS0_14default_configELb1EPKdPdPKlPlN2at6native12_GLOBAL__N_18offset_tEEE10hipError_tPvRmT1_PNSt15iterator_traitsISY_E10value_typeET2_T3_PNSZ_IS14_E10value_typeET4_jRbjT5_S1A_jjP12ihipStream_tbEUljE_EEESV_SW_SX_S14_S18_S1A_T6_T7_T9_mT8_S1C_bDpT10_ENKUlT_T0_E_clISt17integral_constantIbLb1EES1O_IbLb0EEEEDaS1K_S1L_EUlS1K_E_NS1_11comp_targetILNS1_3genE9ELNS1_11target_archE1100ELNS1_3gpuE3ELNS1_3repE0EEENS1_30default_config_static_selectorELNS0_4arch9wavefront6targetE1EEEvSY_.num_named_barrier, 0
	.set _ZN7rocprim17ROCPRIM_400000_NS6detail17trampoline_kernelINS0_13select_configILj256ELj13ELNS0_17block_load_methodE3ELS4_3ELS4_3ELNS0_20block_scan_algorithmE0ELj4294967295EEENS1_25partition_config_selectorILNS1_17partition_subalgoE3EjNS0_10empty_typeEbEEZZNS1_14partition_implILS8_3ELb0ES6_jNS0_17counting_iteratorIjlEEPS9_SE_NS0_5tupleIJPjSE_EEENSF_IJSE_SE_EEES9_SG_JZNS1_25segmented_radix_sort_implINS0_14default_configELb1EPKdPdPKlPlN2at6native12_GLOBAL__N_18offset_tEEE10hipError_tPvRmT1_PNSt15iterator_traitsISY_E10value_typeET2_T3_PNSZ_IS14_E10value_typeET4_jRbjT5_S1A_jjP12ihipStream_tbEUljE_EEESV_SW_SX_S14_S18_S1A_T6_T7_T9_mT8_S1C_bDpT10_ENKUlT_T0_E_clISt17integral_constantIbLb1EES1O_IbLb0EEEEDaS1K_S1L_EUlS1K_E_NS1_11comp_targetILNS1_3genE9ELNS1_11target_archE1100ELNS1_3gpuE3ELNS1_3repE0EEENS1_30default_config_static_selectorELNS0_4arch9wavefront6targetE1EEEvSY_.private_seg_size, 0
	.set _ZN7rocprim17ROCPRIM_400000_NS6detail17trampoline_kernelINS0_13select_configILj256ELj13ELNS0_17block_load_methodE3ELS4_3ELS4_3ELNS0_20block_scan_algorithmE0ELj4294967295EEENS1_25partition_config_selectorILNS1_17partition_subalgoE3EjNS0_10empty_typeEbEEZZNS1_14partition_implILS8_3ELb0ES6_jNS0_17counting_iteratorIjlEEPS9_SE_NS0_5tupleIJPjSE_EEENSF_IJSE_SE_EEES9_SG_JZNS1_25segmented_radix_sort_implINS0_14default_configELb1EPKdPdPKlPlN2at6native12_GLOBAL__N_18offset_tEEE10hipError_tPvRmT1_PNSt15iterator_traitsISY_E10value_typeET2_T3_PNSZ_IS14_E10value_typeET4_jRbjT5_S1A_jjP12ihipStream_tbEUljE_EEESV_SW_SX_S14_S18_S1A_T6_T7_T9_mT8_S1C_bDpT10_ENKUlT_T0_E_clISt17integral_constantIbLb1EES1O_IbLb0EEEEDaS1K_S1L_EUlS1K_E_NS1_11comp_targetILNS1_3genE9ELNS1_11target_archE1100ELNS1_3gpuE3ELNS1_3repE0EEENS1_30default_config_static_selectorELNS0_4arch9wavefront6targetE1EEEvSY_.uses_vcc, 0
	.set _ZN7rocprim17ROCPRIM_400000_NS6detail17trampoline_kernelINS0_13select_configILj256ELj13ELNS0_17block_load_methodE3ELS4_3ELS4_3ELNS0_20block_scan_algorithmE0ELj4294967295EEENS1_25partition_config_selectorILNS1_17partition_subalgoE3EjNS0_10empty_typeEbEEZZNS1_14partition_implILS8_3ELb0ES6_jNS0_17counting_iteratorIjlEEPS9_SE_NS0_5tupleIJPjSE_EEENSF_IJSE_SE_EEES9_SG_JZNS1_25segmented_radix_sort_implINS0_14default_configELb1EPKdPdPKlPlN2at6native12_GLOBAL__N_18offset_tEEE10hipError_tPvRmT1_PNSt15iterator_traitsISY_E10value_typeET2_T3_PNSZ_IS14_E10value_typeET4_jRbjT5_S1A_jjP12ihipStream_tbEUljE_EEESV_SW_SX_S14_S18_S1A_T6_T7_T9_mT8_S1C_bDpT10_ENKUlT_T0_E_clISt17integral_constantIbLb1EES1O_IbLb0EEEEDaS1K_S1L_EUlS1K_E_NS1_11comp_targetILNS1_3genE9ELNS1_11target_archE1100ELNS1_3gpuE3ELNS1_3repE0EEENS1_30default_config_static_selectorELNS0_4arch9wavefront6targetE1EEEvSY_.uses_flat_scratch, 0
	.set _ZN7rocprim17ROCPRIM_400000_NS6detail17trampoline_kernelINS0_13select_configILj256ELj13ELNS0_17block_load_methodE3ELS4_3ELS4_3ELNS0_20block_scan_algorithmE0ELj4294967295EEENS1_25partition_config_selectorILNS1_17partition_subalgoE3EjNS0_10empty_typeEbEEZZNS1_14partition_implILS8_3ELb0ES6_jNS0_17counting_iteratorIjlEEPS9_SE_NS0_5tupleIJPjSE_EEENSF_IJSE_SE_EEES9_SG_JZNS1_25segmented_radix_sort_implINS0_14default_configELb1EPKdPdPKlPlN2at6native12_GLOBAL__N_18offset_tEEE10hipError_tPvRmT1_PNSt15iterator_traitsISY_E10value_typeET2_T3_PNSZ_IS14_E10value_typeET4_jRbjT5_S1A_jjP12ihipStream_tbEUljE_EEESV_SW_SX_S14_S18_S1A_T6_T7_T9_mT8_S1C_bDpT10_ENKUlT_T0_E_clISt17integral_constantIbLb1EES1O_IbLb0EEEEDaS1K_S1L_EUlS1K_E_NS1_11comp_targetILNS1_3genE9ELNS1_11target_archE1100ELNS1_3gpuE3ELNS1_3repE0EEENS1_30default_config_static_selectorELNS0_4arch9wavefront6targetE1EEEvSY_.has_dyn_sized_stack, 0
	.set _ZN7rocprim17ROCPRIM_400000_NS6detail17trampoline_kernelINS0_13select_configILj256ELj13ELNS0_17block_load_methodE3ELS4_3ELS4_3ELNS0_20block_scan_algorithmE0ELj4294967295EEENS1_25partition_config_selectorILNS1_17partition_subalgoE3EjNS0_10empty_typeEbEEZZNS1_14partition_implILS8_3ELb0ES6_jNS0_17counting_iteratorIjlEEPS9_SE_NS0_5tupleIJPjSE_EEENSF_IJSE_SE_EEES9_SG_JZNS1_25segmented_radix_sort_implINS0_14default_configELb1EPKdPdPKlPlN2at6native12_GLOBAL__N_18offset_tEEE10hipError_tPvRmT1_PNSt15iterator_traitsISY_E10value_typeET2_T3_PNSZ_IS14_E10value_typeET4_jRbjT5_S1A_jjP12ihipStream_tbEUljE_EEESV_SW_SX_S14_S18_S1A_T6_T7_T9_mT8_S1C_bDpT10_ENKUlT_T0_E_clISt17integral_constantIbLb1EES1O_IbLb0EEEEDaS1K_S1L_EUlS1K_E_NS1_11comp_targetILNS1_3genE9ELNS1_11target_archE1100ELNS1_3gpuE3ELNS1_3repE0EEENS1_30default_config_static_selectorELNS0_4arch9wavefront6targetE1EEEvSY_.has_recursion, 0
	.set _ZN7rocprim17ROCPRIM_400000_NS6detail17trampoline_kernelINS0_13select_configILj256ELj13ELNS0_17block_load_methodE3ELS4_3ELS4_3ELNS0_20block_scan_algorithmE0ELj4294967295EEENS1_25partition_config_selectorILNS1_17partition_subalgoE3EjNS0_10empty_typeEbEEZZNS1_14partition_implILS8_3ELb0ES6_jNS0_17counting_iteratorIjlEEPS9_SE_NS0_5tupleIJPjSE_EEENSF_IJSE_SE_EEES9_SG_JZNS1_25segmented_radix_sort_implINS0_14default_configELb1EPKdPdPKlPlN2at6native12_GLOBAL__N_18offset_tEEE10hipError_tPvRmT1_PNSt15iterator_traitsISY_E10value_typeET2_T3_PNSZ_IS14_E10value_typeET4_jRbjT5_S1A_jjP12ihipStream_tbEUljE_EEESV_SW_SX_S14_S18_S1A_T6_T7_T9_mT8_S1C_bDpT10_ENKUlT_T0_E_clISt17integral_constantIbLb1EES1O_IbLb0EEEEDaS1K_S1L_EUlS1K_E_NS1_11comp_targetILNS1_3genE9ELNS1_11target_archE1100ELNS1_3gpuE3ELNS1_3repE0EEENS1_30default_config_static_selectorELNS0_4arch9wavefront6targetE1EEEvSY_.has_indirect_call, 0
	.section	.AMDGPU.csdata,"",@progbits
; Kernel info:
; codeLenInByte = 0
; TotalNumSgprs: 4
; NumVgprs: 0
; ScratchSize: 0
; MemoryBound: 0
; FloatMode: 240
; IeeeMode: 1
; LDSByteSize: 0 bytes/workgroup (compile time only)
; SGPRBlocks: 0
; VGPRBlocks: 0
; NumSGPRsForWavesPerEU: 4
; NumVGPRsForWavesPerEU: 1
; Occupancy: 10
; WaveLimiterHint : 0
; COMPUTE_PGM_RSRC2:SCRATCH_EN: 0
; COMPUTE_PGM_RSRC2:USER_SGPR: 6
; COMPUTE_PGM_RSRC2:TRAP_HANDLER: 0
; COMPUTE_PGM_RSRC2:TGID_X_EN: 1
; COMPUTE_PGM_RSRC2:TGID_Y_EN: 0
; COMPUTE_PGM_RSRC2:TGID_Z_EN: 0
; COMPUTE_PGM_RSRC2:TIDIG_COMP_CNT: 0
	.section	.text._ZN7rocprim17ROCPRIM_400000_NS6detail17trampoline_kernelINS0_13select_configILj256ELj13ELNS0_17block_load_methodE3ELS4_3ELS4_3ELNS0_20block_scan_algorithmE0ELj4294967295EEENS1_25partition_config_selectorILNS1_17partition_subalgoE3EjNS0_10empty_typeEbEEZZNS1_14partition_implILS8_3ELb0ES6_jNS0_17counting_iteratorIjlEEPS9_SE_NS0_5tupleIJPjSE_EEENSF_IJSE_SE_EEES9_SG_JZNS1_25segmented_radix_sort_implINS0_14default_configELb1EPKdPdPKlPlN2at6native12_GLOBAL__N_18offset_tEEE10hipError_tPvRmT1_PNSt15iterator_traitsISY_E10value_typeET2_T3_PNSZ_IS14_E10value_typeET4_jRbjT5_S1A_jjP12ihipStream_tbEUljE_EEESV_SW_SX_S14_S18_S1A_T6_T7_T9_mT8_S1C_bDpT10_ENKUlT_T0_E_clISt17integral_constantIbLb1EES1O_IbLb0EEEEDaS1K_S1L_EUlS1K_E_NS1_11comp_targetILNS1_3genE8ELNS1_11target_archE1030ELNS1_3gpuE2ELNS1_3repE0EEENS1_30default_config_static_selectorELNS0_4arch9wavefront6targetE1EEEvSY_,"axG",@progbits,_ZN7rocprim17ROCPRIM_400000_NS6detail17trampoline_kernelINS0_13select_configILj256ELj13ELNS0_17block_load_methodE3ELS4_3ELS4_3ELNS0_20block_scan_algorithmE0ELj4294967295EEENS1_25partition_config_selectorILNS1_17partition_subalgoE3EjNS0_10empty_typeEbEEZZNS1_14partition_implILS8_3ELb0ES6_jNS0_17counting_iteratorIjlEEPS9_SE_NS0_5tupleIJPjSE_EEENSF_IJSE_SE_EEES9_SG_JZNS1_25segmented_radix_sort_implINS0_14default_configELb1EPKdPdPKlPlN2at6native12_GLOBAL__N_18offset_tEEE10hipError_tPvRmT1_PNSt15iterator_traitsISY_E10value_typeET2_T3_PNSZ_IS14_E10value_typeET4_jRbjT5_S1A_jjP12ihipStream_tbEUljE_EEESV_SW_SX_S14_S18_S1A_T6_T7_T9_mT8_S1C_bDpT10_ENKUlT_T0_E_clISt17integral_constantIbLb1EES1O_IbLb0EEEEDaS1K_S1L_EUlS1K_E_NS1_11comp_targetILNS1_3genE8ELNS1_11target_archE1030ELNS1_3gpuE2ELNS1_3repE0EEENS1_30default_config_static_selectorELNS0_4arch9wavefront6targetE1EEEvSY_,comdat
	.globl	_ZN7rocprim17ROCPRIM_400000_NS6detail17trampoline_kernelINS0_13select_configILj256ELj13ELNS0_17block_load_methodE3ELS4_3ELS4_3ELNS0_20block_scan_algorithmE0ELj4294967295EEENS1_25partition_config_selectorILNS1_17partition_subalgoE3EjNS0_10empty_typeEbEEZZNS1_14partition_implILS8_3ELb0ES6_jNS0_17counting_iteratorIjlEEPS9_SE_NS0_5tupleIJPjSE_EEENSF_IJSE_SE_EEES9_SG_JZNS1_25segmented_radix_sort_implINS0_14default_configELb1EPKdPdPKlPlN2at6native12_GLOBAL__N_18offset_tEEE10hipError_tPvRmT1_PNSt15iterator_traitsISY_E10value_typeET2_T3_PNSZ_IS14_E10value_typeET4_jRbjT5_S1A_jjP12ihipStream_tbEUljE_EEESV_SW_SX_S14_S18_S1A_T6_T7_T9_mT8_S1C_bDpT10_ENKUlT_T0_E_clISt17integral_constantIbLb1EES1O_IbLb0EEEEDaS1K_S1L_EUlS1K_E_NS1_11comp_targetILNS1_3genE8ELNS1_11target_archE1030ELNS1_3gpuE2ELNS1_3repE0EEENS1_30default_config_static_selectorELNS0_4arch9wavefront6targetE1EEEvSY_ ; -- Begin function _ZN7rocprim17ROCPRIM_400000_NS6detail17trampoline_kernelINS0_13select_configILj256ELj13ELNS0_17block_load_methodE3ELS4_3ELS4_3ELNS0_20block_scan_algorithmE0ELj4294967295EEENS1_25partition_config_selectorILNS1_17partition_subalgoE3EjNS0_10empty_typeEbEEZZNS1_14partition_implILS8_3ELb0ES6_jNS0_17counting_iteratorIjlEEPS9_SE_NS0_5tupleIJPjSE_EEENSF_IJSE_SE_EEES9_SG_JZNS1_25segmented_radix_sort_implINS0_14default_configELb1EPKdPdPKlPlN2at6native12_GLOBAL__N_18offset_tEEE10hipError_tPvRmT1_PNSt15iterator_traitsISY_E10value_typeET2_T3_PNSZ_IS14_E10value_typeET4_jRbjT5_S1A_jjP12ihipStream_tbEUljE_EEESV_SW_SX_S14_S18_S1A_T6_T7_T9_mT8_S1C_bDpT10_ENKUlT_T0_E_clISt17integral_constantIbLb1EES1O_IbLb0EEEEDaS1K_S1L_EUlS1K_E_NS1_11comp_targetILNS1_3genE8ELNS1_11target_archE1030ELNS1_3gpuE2ELNS1_3repE0EEENS1_30default_config_static_selectorELNS0_4arch9wavefront6targetE1EEEvSY_
	.p2align	8
	.type	_ZN7rocprim17ROCPRIM_400000_NS6detail17trampoline_kernelINS0_13select_configILj256ELj13ELNS0_17block_load_methodE3ELS4_3ELS4_3ELNS0_20block_scan_algorithmE0ELj4294967295EEENS1_25partition_config_selectorILNS1_17partition_subalgoE3EjNS0_10empty_typeEbEEZZNS1_14partition_implILS8_3ELb0ES6_jNS0_17counting_iteratorIjlEEPS9_SE_NS0_5tupleIJPjSE_EEENSF_IJSE_SE_EEES9_SG_JZNS1_25segmented_radix_sort_implINS0_14default_configELb1EPKdPdPKlPlN2at6native12_GLOBAL__N_18offset_tEEE10hipError_tPvRmT1_PNSt15iterator_traitsISY_E10value_typeET2_T3_PNSZ_IS14_E10value_typeET4_jRbjT5_S1A_jjP12ihipStream_tbEUljE_EEESV_SW_SX_S14_S18_S1A_T6_T7_T9_mT8_S1C_bDpT10_ENKUlT_T0_E_clISt17integral_constantIbLb1EES1O_IbLb0EEEEDaS1K_S1L_EUlS1K_E_NS1_11comp_targetILNS1_3genE8ELNS1_11target_archE1030ELNS1_3gpuE2ELNS1_3repE0EEENS1_30default_config_static_selectorELNS0_4arch9wavefront6targetE1EEEvSY_,@function
_ZN7rocprim17ROCPRIM_400000_NS6detail17trampoline_kernelINS0_13select_configILj256ELj13ELNS0_17block_load_methodE3ELS4_3ELS4_3ELNS0_20block_scan_algorithmE0ELj4294967295EEENS1_25partition_config_selectorILNS1_17partition_subalgoE3EjNS0_10empty_typeEbEEZZNS1_14partition_implILS8_3ELb0ES6_jNS0_17counting_iteratorIjlEEPS9_SE_NS0_5tupleIJPjSE_EEENSF_IJSE_SE_EEES9_SG_JZNS1_25segmented_radix_sort_implINS0_14default_configELb1EPKdPdPKlPlN2at6native12_GLOBAL__N_18offset_tEEE10hipError_tPvRmT1_PNSt15iterator_traitsISY_E10value_typeET2_T3_PNSZ_IS14_E10value_typeET4_jRbjT5_S1A_jjP12ihipStream_tbEUljE_EEESV_SW_SX_S14_S18_S1A_T6_T7_T9_mT8_S1C_bDpT10_ENKUlT_T0_E_clISt17integral_constantIbLb1EES1O_IbLb0EEEEDaS1K_S1L_EUlS1K_E_NS1_11comp_targetILNS1_3genE8ELNS1_11target_archE1030ELNS1_3gpuE2ELNS1_3repE0EEENS1_30default_config_static_selectorELNS0_4arch9wavefront6targetE1EEEvSY_: ; @_ZN7rocprim17ROCPRIM_400000_NS6detail17trampoline_kernelINS0_13select_configILj256ELj13ELNS0_17block_load_methodE3ELS4_3ELS4_3ELNS0_20block_scan_algorithmE0ELj4294967295EEENS1_25partition_config_selectorILNS1_17partition_subalgoE3EjNS0_10empty_typeEbEEZZNS1_14partition_implILS8_3ELb0ES6_jNS0_17counting_iteratorIjlEEPS9_SE_NS0_5tupleIJPjSE_EEENSF_IJSE_SE_EEES9_SG_JZNS1_25segmented_radix_sort_implINS0_14default_configELb1EPKdPdPKlPlN2at6native12_GLOBAL__N_18offset_tEEE10hipError_tPvRmT1_PNSt15iterator_traitsISY_E10value_typeET2_T3_PNSZ_IS14_E10value_typeET4_jRbjT5_S1A_jjP12ihipStream_tbEUljE_EEESV_SW_SX_S14_S18_S1A_T6_T7_T9_mT8_S1C_bDpT10_ENKUlT_T0_E_clISt17integral_constantIbLb1EES1O_IbLb0EEEEDaS1K_S1L_EUlS1K_E_NS1_11comp_targetILNS1_3genE8ELNS1_11target_archE1030ELNS1_3gpuE2ELNS1_3repE0EEENS1_30default_config_static_selectorELNS0_4arch9wavefront6targetE1EEEvSY_
; %bb.0:
	.section	.rodata,"a",@progbits
	.p2align	6, 0x0
	.amdhsa_kernel _ZN7rocprim17ROCPRIM_400000_NS6detail17trampoline_kernelINS0_13select_configILj256ELj13ELNS0_17block_load_methodE3ELS4_3ELS4_3ELNS0_20block_scan_algorithmE0ELj4294967295EEENS1_25partition_config_selectorILNS1_17partition_subalgoE3EjNS0_10empty_typeEbEEZZNS1_14partition_implILS8_3ELb0ES6_jNS0_17counting_iteratorIjlEEPS9_SE_NS0_5tupleIJPjSE_EEENSF_IJSE_SE_EEES9_SG_JZNS1_25segmented_radix_sort_implINS0_14default_configELb1EPKdPdPKlPlN2at6native12_GLOBAL__N_18offset_tEEE10hipError_tPvRmT1_PNSt15iterator_traitsISY_E10value_typeET2_T3_PNSZ_IS14_E10value_typeET4_jRbjT5_S1A_jjP12ihipStream_tbEUljE_EEESV_SW_SX_S14_S18_S1A_T6_T7_T9_mT8_S1C_bDpT10_ENKUlT_T0_E_clISt17integral_constantIbLb1EES1O_IbLb0EEEEDaS1K_S1L_EUlS1K_E_NS1_11comp_targetILNS1_3genE8ELNS1_11target_archE1030ELNS1_3gpuE2ELNS1_3repE0EEENS1_30default_config_static_selectorELNS0_4arch9wavefront6targetE1EEEvSY_
		.amdhsa_group_segment_fixed_size 0
		.amdhsa_private_segment_fixed_size 0
		.amdhsa_kernarg_size 144
		.amdhsa_user_sgpr_count 6
		.amdhsa_user_sgpr_private_segment_buffer 1
		.amdhsa_user_sgpr_dispatch_ptr 0
		.amdhsa_user_sgpr_queue_ptr 0
		.amdhsa_user_sgpr_kernarg_segment_ptr 1
		.amdhsa_user_sgpr_dispatch_id 0
		.amdhsa_user_sgpr_flat_scratch_init 0
		.amdhsa_user_sgpr_private_segment_size 0
		.amdhsa_uses_dynamic_stack 0
		.amdhsa_system_sgpr_private_segment_wavefront_offset 0
		.amdhsa_system_sgpr_workgroup_id_x 1
		.amdhsa_system_sgpr_workgroup_id_y 0
		.amdhsa_system_sgpr_workgroup_id_z 0
		.amdhsa_system_sgpr_workgroup_info 0
		.amdhsa_system_vgpr_workitem_id 0
		.amdhsa_next_free_vgpr 1
		.amdhsa_next_free_sgpr 0
		.amdhsa_reserve_vcc 0
		.amdhsa_reserve_flat_scratch 0
		.amdhsa_float_round_mode_32 0
		.amdhsa_float_round_mode_16_64 0
		.amdhsa_float_denorm_mode_32 3
		.amdhsa_float_denorm_mode_16_64 3
		.amdhsa_dx10_clamp 1
		.amdhsa_ieee_mode 1
		.amdhsa_fp16_overflow 0
		.amdhsa_exception_fp_ieee_invalid_op 0
		.amdhsa_exception_fp_denorm_src 0
		.amdhsa_exception_fp_ieee_div_zero 0
		.amdhsa_exception_fp_ieee_overflow 0
		.amdhsa_exception_fp_ieee_underflow 0
		.amdhsa_exception_fp_ieee_inexact 0
		.amdhsa_exception_int_div_zero 0
	.end_amdhsa_kernel
	.section	.text._ZN7rocprim17ROCPRIM_400000_NS6detail17trampoline_kernelINS0_13select_configILj256ELj13ELNS0_17block_load_methodE3ELS4_3ELS4_3ELNS0_20block_scan_algorithmE0ELj4294967295EEENS1_25partition_config_selectorILNS1_17partition_subalgoE3EjNS0_10empty_typeEbEEZZNS1_14partition_implILS8_3ELb0ES6_jNS0_17counting_iteratorIjlEEPS9_SE_NS0_5tupleIJPjSE_EEENSF_IJSE_SE_EEES9_SG_JZNS1_25segmented_radix_sort_implINS0_14default_configELb1EPKdPdPKlPlN2at6native12_GLOBAL__N_18offset_tEEE10hipError_tPvRmT1_PNSt15iterator_traitsISY_E10value_typeET2_T3_PNSZ_IS14_E10value_typeET4_jRbjT5_S1A_jjP12ihipStream_tbEUljE_EEESV_SW_SX_S14_S18_S1A_T6_T7_T9_mT8_S1C_bDpT10_ENKUlT_T0_E_clISt17integral_constantIbLb1EES1O_IbLb0EEEEDaS1K_S1L_EUlS1K_E_NS1_11comp_targetILNS1_3genE8ELNS1_11target_archE1030ELNS1_3gpuE2ELNS1_3repE0EEENS1_30default_config_static_selectorELNS0_4arch9wavefront6targetE1EEEvSY_,"axG",@progbits,_ZN7rocprim17ROCPRIM_400000_NS6detail17trampoline_kernelINS0_13select_configILj256ELj13ELNS0_17block_load_methodE3ELS4_3ELS4_3ELNS0_20block_scan_algorithmE0ELj4294967295EEENS1_25partition_config_selectorILNS1_17partition_subalgoE3EjNS0_10empty_typeEbEEZZNS1_14partition_implILS8_3ELb0ES6_jNS0_17counting_iteratorIjlEEPS9_SE_NS0_5tupleIJPjSE_EEENSF_IJSE_SE_EEES9_SG_JZNS1_25segmented_radix_sort_implINS0_14default_configELb1EPKdPdPKlPlN2at6native12_GLOBAL__N_18offset_tEEE10hipError_tPvRmT1_PNSt15iterator_traitsISY_E10value_typeET2_T3_PNSZ_IS14_E10value_typeET4_jRbjT5_S1A_jjP12ihipStream_tbEUljE_EEESV_SW_SX_S14_S18_S1A_T6_T7_T9_mT8_S1C_bDpT10_ENKUlT_T0_E_clISt17integral_constantIbLb1EES1O_IbLb0EEEEDaS1K_S1L_EUlS1K_E_NS1_11comp_targetILNS1_3genE8ELNS1_11target_archE1030ELNS1_3gpuE2ELNS1_3repE0EEENS1_30default_config_static_selectorELNS0_4arch9wavefront6targetE1EEEvSY_,comdat
.Lfunc_end1109:
	.size	_ZN7rocprim17ROCPRIM_400000_NS6detail17trampoline_kernelINS0_13select_configILj256ELj13ELNS0_17block_load_methodE3ELS4_3ELS4_3ELNS0_20block_scan_algorithmE0ELj4294967295EEENS1_25partition_config_selectorILNS1_17partition_subalgoE3EjNS0_10empty_typeEbEEZZNS1_14partition_implILS8_3ELb0ES6_jNS0_17counting_iteratorIjlEEPS9_SE_NS0_5tupleIJPjSE_EEENSF_IJSE_SE_EEES9_SG_JZNS1_25segmented_radix_sort_implINS0_14default_configELb1EPKdPdPKlPlN2at6native12_GLOBAL__N_18offset_tEEE10hipError_tPvRmT1_PNSt15iterator_traitsISY_E10value_typeET2_T3_PNSZ_IS14_E10value_typeET4_jRbjT5_S1A_jjP12ihipStream_tbEUljE_EEESV_SW_SX_S14_S18_S1A_T6_T7_T9_mT8_S1C_bDpT10_ENKUlT_T0_E_clISt17integral_constantIbLb1EES1O_IbLb0EEEEDaS1K_S1L_EUlS1K_E_NS1_11comp_targetILNS1_3genE8ELNS1_11target_archE1030ELNS1_3gpuE2ELNS1_3repE0EEENS1_30default_config_static_selectorELNS0_4arch9wavefront6targetE1EEEvSY_, .Lfunc_end1109-_ZN7rocprim17ROCPRIM_400000_NS6detail17trampoline_kernelINS0_13select_configILj256ELj13ELNS0_17block_load_methodE3ELS4_3ELS4_3ELNS0_20block_scan_algorithmE0ELj4294967295EEENS1_25partition_config_selectorILNS1_17partition_subalgoE3EjNS0_10empty_typeEbEEZZNS1_14partition_implILS8_3ELb0ES6_jNS0_17counting_iteratorIjlEEPS9_SE_NS0_5tupleIJPjSE_EEENSF_IJSE_SE_EEES9_SG_JZNS1_25segmented_radix_sort_implINS0_14default_configELb1EPKdPdPKlPlN2at6native12_GLOBAL__N_18offset_tEEE10hipError_tPvRmT1_PNSt15iterator_traitsISY_E10value_typeET2_T3_PNSZ_IS14_E10value_typeET4_jRbjT5_S1A_jjP12ihipStream_tbEUljE_EEESV_SW_SX_S14_S18_S1A_T6_T7_T9_mT8_S1C_bDpT10_ENKUlT_T0_E_clISt17integral_constantIbLb1EES1O_IbLb0EEEEDaS1K_S1L_EUlS1K_E_NS1_11comp_targetILNS1_3genE8ELNS1_11target_archE1030ELNS1_3gpuE2ELNS1_3repE0EEENS1_30default_config_static_selectorELNS0_4arch9wavefront6targetE1EEEvSY_
                                        ; -- End function
	.set _ZN7rocprim17ROCPRIM_400000_NS6detail17trampoline_kernelINS0_13select_configILj256ELj13ELNS0_17block_load_methodE3ELS4_3ELS4_3ELNS0_20block_scan_algorithmE0ELj4294967295EEENS1_25partition_config_selectorILNS1_17partition_subalgoE3EjNS0_10empty_typeEbEEZZNS1_14partition_implILS8_3ELb0ES6_jNS0_17counting_iteratorIjlEEPS9_SE_NS0_5tupleIJPjSE_EEENSF_IJSE_SE_EEES9_SG_JZNS1_25segmented_radix_sort_implINS0_14default_configELb1EPKdPdPKlPlN2at6native12_GLOBAL__N_18offset_tEEE10hipError_tPvRmT1_PNSt15iterator_traitsISY_E10value_typeET2_T3_PNSZ_IS14_E10value_typeET4_jRbjT5_S1A_jjP12ihipStream_tbEUljE_EEESV_SW_SX_S14_S18_S1A_T6_T7_T9_mT8_S1C_bDpT10_ENKUlT_T0_E_clISt17integral_constantIbLb1EES1O_IbLb0EEEEDaS1K_S1L_EUlS1K_E_NS1_11comp_targetILNS1_3genE8ELNS1_11target_archE1030ELNS1_3gpuE2ELNS1_3repE0EEENS1_30default_config_static_selectorELNS0_4arch9wavefront6targetE1EEEvSY_.num_vgpr, 0
	.set _ZN7rocprim17ROCPRIM_400000_NS6detail17trampoline_kernelINS0_13select_configILj256ELj13ELNS0_17block_load_methodE3ELS4_3ELS4_3ELNS0_20block_scan_algorithmE0ELj4294967295EEENS1_25partition_config_selectorILNS1_17partition_subalgoE3EjNS0_10empty_typeEbEEZZNS1_14partition_implILS8_3ELb0ES6_jNS0_17counting_iteratorIjlEEPS9_SE_NS0_5tupleIJPjSE_EEENSF_IJSE_SE_EEES9_SG_JZNS1_25segmented_radix_sort_implINS0_14default_configELb1EPKdPdPKlPlN2at6native12_GLOBAL__N_18offset_tEEE10hipError_tPvRmT1_PNSt15iterator_traitsISY_E10value_typeET2_T3_PNSZ_IS14_E10value_typeET4_jRbjT5_S1A_jjP12ihipStream_tbEUljE_EEESV_SW_SX_S14_S18_S1A_T6_T7_T9_mT8_S1C_bDpT10_ENKUlT_T0_E_clISt17integral_constantIbLb1EES1O_IbLb0EEEEDaS1K_S1L_EUlS1K_E_NS1_11comp_targetILNS1_3genE8ELNS1_11target_archE1030ELNS1_3gpuE2ELNS1_3repE0EEENS1_30default_config_static_selectorELNS0_4arch9wavefront6targetE1EEEvSY_.num_agpr, 0
	.set _ZN7rocprim17ROCPRIM_400000_NS6detail17trampoline_kernelINS0_13select_configILj256ELj13ELNS0_17block_load_methodE3ELS4_3ELS4_3ELNS0_20block_scan_algorithmE0ELj4294967295EEENS1_25partition_config_selectorILNS1_17partition_subalgoE3EjNS0_10empty_typeEbEEZZNS1_14partition_implILS8_3ELb0ES6_jNS0_17counting_iteratorIjlEEPS9_SE_NS0_5tupleIJPjSE_EEENSF_IJSE_SE_EEES9_SG_JZNS1_25segmented_radix_sort_implINS0_14default_configELb1EPKdPdPKlPlN2at6native12_GLOBAL__N_18offset_tEEE10hipError_tPvRmT1_PNSt15iterator_traitsISY_E10value_typeET2_T3_PNSZ_IS14_E10value_typeET4_jRbjT5_S1A_jjP12ihipStream_tbEUljE_EEESV_SW_SX_S14_S18_S1A_T6_T7_T9_mT8_S1C_bDpT10_ENKUlT_T0_E_clISt17integral_constantIbLb1EES1O_IbLb0EEEEDaS1K_S1L_EUlS1K_E_NS1_11comp_targetILNS1_3genE8ELNS1_11target_archE1030ELNS1_3gpuE2ELNS1_3repE0EEENS1_30default_config_static_selectorELNS0_4arch9wavefront6targetE1EEEvSY_.numbered_sgpr, 0
	.set _ZN7rocprim17ROCPRIM_400000_NS6detail17trampoline_kernelINS0_13select_configILj256ELj13ELNS0_17block_load_methodE3ELS4_3ELS4_3ELNS0_20block_scan_algorithmE0ELj4294967295EEENS1_25partition_config_selectorILNS1_17partition_subalgoE3EjNS0_10empty_typeEbEEZZNS1_14partition_implILS8_3ELb0ES6_jNS0_17counting_iteratorIjlEEPS9_SE_NS0_5tupleIJPjSE_EEENSF_IJSE_SE_EEES9_SG_JZNS1_25segmented_radix_sort_implINS0_14default_configELb1EPKdPdPKlPlN2at6native12_GLOBAL__N_18offset_tEEE10hipError_tPvRmT1_PNSt15iterator_traitsISY_E10value_typeET2_T3_PNSZ_IS14_E10value_typeET4_jRbjT5_S1A_jjP12ihipStream_tbEUljE_EEESV_SW_SX_S14_S18_S1A_T6_T7_T9_mT8_S1C_bDpT10_ENKUlT_T0_E_clISt17integral_constantIbLb1EES1O_IbLb0EEEEDaS1K_S1L_EUlS1K_E_NS1_11comp_targetILNS1_3genE8ELNS1_11target_archE1030ELNS1_3gpuE2ELNS1_3repE0EEENS1_30default_config_static_selectorELNS0_4arch9wavefront6targetE1EEEvSY_.num_named_barrier, 0
	.set _ZN7rocprim17ROCPRIM_400000_NS6detail17trampoline_kernelINS0_13select_configILj256ELj13ELNS0_17block_load_methodE3ELS4_3ELS4_3ELNS0_20block_scan_algorithmE0ELj4294967295EEENS1_25partition_config_selectorILNS1_17partition_subalgoE3EjNS0_10empty_typeEbEEZZNS1_14partition_implILS8_3ELb0ES6_jNS0_17counting_iteratorIjlEEPS9_SE_NS0_5tupleIJPjSE_EEENSF_IJSE_SE_EEES9_SG_JZNS1_25segmented_radix_sort_implINS0_14default_configELb1EPKdPdPKlPlN2at6native12_GLOBAL__N_18offset_tEEE10hipError_tPvRmT1_PNSt15iterator_traitsISY_E10value_typeET2_T3_PNSZ_IS14_E10value_typeET4_jRbjT5_S1A_jjP12ihipStream_tbEUljE_EEESV_SW_SX_S14_S18_S1A_T6_T7_T9_mT8_S1C_bDpT10_ENKUlT_T0_E_clISt17integral_constantIbLb1EES1O_IbLb0EEEEDaS1K_S1L_EUlS1K_E_NS1_11comp_targetILNS1_3genE8ELNS1_11target_archE1030ELNS1_3gpuE2ELNS1_3repE0EEENS1_30default_config_static_selectorELNS0_4arch9wavefront6targetE1EEEvSY_.private_seg_size, 0
	.set _ZN7rocprim17ROCPRIM_400000_NS6detail17trampoline_kernelINS0_13select_configILj256ELj13ELNS0_17block_load_methodE3ELS4_3ELS4_3ELNS0_20block_scan_algorithmE0ELj4294967295EEENS1_25partition_config_selectorILNS1_17partition_subalgoE3EjNS0_10empty_typeEbEEZZNS1_14partition_implILS8_3ELb0ES6_jNS0_17counting_iteratorIjlEEPS9_SE_NS0_5tupleIJPjSE_EEENSF_IJSE_SE_EEES9_SG_JZNS1_25segmented_radix_sort_implINS0_14default_configELb1EPKdPdPKlPlN2at6native12_GLOBAL__N_18offset_tEEE10hipError_tPvRmT1_PNSt15iterator_traitsISY_E10value_typeET2_T3_PNSZ_IS14_E10value_typeET4_jRbjT5_S1A_jjP12ihipStream_tbEUljE_EEESV_SW_SX_S14_S18_S1A_T6_T7_T9_mT8_S1C_bDpT10_ENKUlT_T0_E_clISt17integral_constantIbLb1EES1O_IbLb0EEEEDaS1K_S1L_EUlS1K_E_NS1_11comp_targetILNS1_3genE8ELNS1_11target_archE1030ELNS1_3gpuE2ELNS1_3repE0EEENS1_30default_config_static_selectorELNS0_4arch9wavefront6targetE1EEEvSY_.uses_vcc, 0
	.set _ZN7rocprim17ROCPRIM_400000_NS6detail17trampoline_kernelINS0_13select_configILj256ELj13ELNS0_17block_load_methodE3ELS4_3ELS4_3ELNS0_20block_scan_algorithmE0ELj4294967295EEENS1_25partition_config_selectorILNS1_17partition_subalgoE3EjNS0_10empty_typeEbEEZZNS1_14partition_implILS8_3ELb0ES6_jNS0_17counting_iteratorIjlEEPS9_SE_NS0_5tupleIJPjSE_EEENSF_IJSE_SE_EEES9_SG_JZNS1_25segmented_radix_sort_implINS0_14default_configELb1EPKdPdPKlPlN2at6native12_GLOBAL__N_18offset_tEEE10hipError_tPvRmT1_PNSt15iterator_traitsISY_E10value_typeET2_T3_PNSZ_IS14_E10value_typeET4_jRbjT5_S1A_jjP12ihipStream_tbEUljE_EEESV_SW_SX_S14_S18_S1A_T6_T7_T9_mT8_S1C_bDpT10_ENKUlT_T0_E_clISt17integral_constantIbLb1EES1O_IbLb0EEEEDaS1K_S1L_EUlS1K_E_NS1_11comp_targetILNS1_3genE8ELNS1_11target_archE1030ELNS1_3gpuE2ELNS1_3repE0EEENS1_30default_config_static_selectorELNS0_4arch9wavefront6targetE1EEEvSY_.uses_flat_scratch, 0
	.set _ZN7rocprim17ROCPRIM_400000_NS6detail17trampoline_kernelINS0_13select_configILj256ELj13ELNS0_17block_load_methodE3ELS4_3ELS4_3ELNS0_20block_scan_algorithmE0ELj4294967295EEENS1_25partition_config_selectorILNS1_17partition_subalgoE3EjNS0_10empty_typeEbEEZZNS1_14partition_implILS8_3ELb0ES6_jNS0_17counting_iteratorIjlEEPS9_SE_NS0_5tupleIJPjSE_EEENSF_IJSE_SE_EEES9_SG_JZNS1_25segmented_radix_sort_implINS0_14default_configELb1EPKdPdPKlPlN2at6native12_GLOBAL__N_18offset_tEEE10hipError_tPvRmT1_PNSt15iterator_traitsISY_E10value_typeET2_T3_PNSZ_IS14_E10value_typeET4_jRbjT5_S1A_jjP12ihipStream_tbEUljE_EEESV_SW_SX_S14_S18_S1A_T6_T7_T9_mT8_S1C_bDpT10_ENKUlT_T0_E_clISt17integral_constantIbLb1EES1O_IbLb0EEEEDaS1K_S1L_EUlS1K_E_NS1_11comp_targetILNS1_3genE8ELNS1_11target_archE1030ELNS1_3gpuE2ELNS1_3repE0EEENS1_30default_config_static_selectorELNS0_4arch9wavefront6targetE1EEEvSY_.has_dyn_sized_stack, 0
	.set _ZN7rocprim17ROCPRIM_400000_NS6detail17trampoline_kernelINS0_13select_configILj256ELj13ELNS0_17block_load_methodE3ELS4_3ELS4_3ELNS0_20block_scan_algorithmE0ELj4294967295EEENS1_25partition_config_selectorILNS1_17partition_subalgoE3EjNS0_10empty_typeEbEEZZNS1_14partition_implILS8_3ELb0ES6_jNS0_17counting_iteratorIjlEEPS9_SE_NS0_5tupleIJPjSE_EEENSF_IJSE_SE_EEES9_SG_JZNS1_25segmented_radix_sort_implINS0_14default_configELb1EPKdPdPKlPlN2at6native12_GLOBAL__N_18offset_tEEE10hipError_tPvRmT1_PNSt15iterator_traitsISY_E10value_typeET2_T3_PNSZ_IS14_E10value_typeET4_jRbjT5_S1A_jjP12ihipStream_tbEUljE_EEESV_SW_SX_S14_S18_S1A_T6_T7_T9_mT8_S1C_bDpT10_ENKUlT_T0_E_clISt17integral_constantIbLb1EES1O_IbLb0EEEEDaS1K_S1L_EUlS1K_E_NS1_11comp_targetILNS1_3genE8ELNS1_11target_archE1030ELNS1_3gpuE2ELNS1_3repE0EEENS1_30default_config_static_selectorELNS0_4arch9wavefront6targetE1EEEvSY_.has_recursion, 0
	.set _ZN7rocprim17ROCPRIM_400000_NS6detail17trampoline_kernelINS0_13select_configILj256ELj13ELNS0_17block_load_methodE3ELS4_3ELS4_3ELNS0_20block_scan_algorithmE0ELj4294967295EEENS1_25partition_config_selectorILNS1_17partition_subalgoE3EjNS0_10empty_typeEbEEZZNS1_14partition_implILS8_3ELb0ES6_jNS0_17counting_iteratorIjlEEPS9_SE_NS0_5tupleIJPjSE_EEENSF_IJSE_SE_EEES9_SG_JZNS1_25segmented_radix_sort_implINS0_14default_configELb1EPKdPdPKlPlN2at6native12_GLOBAL__N_18offset_tEEE10hipError_tPvRmT1_PNSt15iterator_traitsISY_E10value_typeET2_T3_PNSZ_IS14_E10value_typeET4_jRbjT5_S1A_jjP12ihipStream_tbEUljE_EEESV_SW_SX_S14_S18_S1A_T6_T7_T9_mT8_S1C_bDpT10_ENKUlT_T0_E_clISt17integral_constantIbLb1EES1O_IbLb0EEEEDaS1K_S1L_EUlS1K_E_NS1_11comp_targetILNS1_3genE8ELNS1_11target_archE1030ELNS1_3gpuE2ELNS1_3repE0EEENS1_30default_config_static_selectorELNS0_4arch9wavefront6targetE1EEEvSY_.has_indirect_call, 0
	.section	.AMDGPU.csdata,"",@progbits
; Kernel info:
; codeLenInByte = 0
; TotalNumSgprs: 4
; NumVgprs: 0
; ScratchSize: 0
; MemoryBound: 0
; FloatMode: 240
; IeeeMode: 1
; LDSByteSize: 0 bytes/workgroup (compile time only)
; SGPRBlocks: 0
; VGPRBlocks: 0
; NumSGPRsForWavesPerEU: 4
; NumVGPRsForWavesPerEU: 1
; Occupancy: 10
; WaveLimiterHint : 0
; COMPUTE_PGM_RSRC2:SCRATCH_EN: 0
; COMPUTE_PGM_RSRC2:USER_SGPR: 6
; COMPUTE_PGM_RSRC2:TRAP_HANDLER: 0
; COMPUTE_PGM_RSRC2:TGID_X_EN: 1
; COMPUTE_PGM_RSRC2:TGID_Y_EN: 0
; COMPUTE_PGM_RSRC2:TGID_Z_EN: 0
; COMPUTE_PGM_RSRC2:TIDIG_COMP_CNT: 0
	.section	.text._ZN7rocprim17ROCPRIM_400000_NS6detail17trampoline_kernelINS0_13select_configILj256ELj13ELNS0_17block_load_methodE3ELS4_3ELS4_3ELNS0_20block_scan_algorithmE0ELj4294967295EEENS1_25partition_config_selectorILNS1_17partition_subalgoE3EjNS0_10empty_typeEbEEZZNS1_14partition_implILS8_3ELb0ES6_jNS0_17counting_iteratorIjlEEPS9_SE_NS0_5tupleIJPjSE_EEENSF_IJSE_SE_EEES9_SG_JZNS1_25segmented_radix_sort_implINS0_14default_configELb1EPKdPdPKlPlN2at6native12_GLOBAL__N_18offset_tEEE10hipError_tPvRmT1_PNSt15iterator_traitsISY_E10value_typeET2_T3_PNSZ_IS14_E10value_typeET4_jRbjT5_S1A_jjP12ihipStream_tbEUljE_EEESV_SW_SX_S14_S18_S1A_T6_T7_T9_mT8_S1C_bDpT10_ENKUlT_T0_E_clISt17integral_constantIbLb0EES1O_IbLb1EEEEDaS1K_S1L_EUlS1K_E_NS1_11comp_targetILNS1_3genE0ELNS1_11target_archE4294967295ELNS1_3gpuE0ELNS1_3repE0EEENS1_30default_config_static_selectorELNS0_4arch9wavefront6targetE1EEEvSY_,"axG",@progbits,_ZN7rocprim17ROCPRIM_400000_NS6detail17trampoline_kernelINS0_13select_configILj256ELj13ELNS0_17block_load_methodE3ELS4_3ELS4_3ELNS0_20block_scan_algorithmE0ELj4294967295EEENS1_25partition_config_selectorILNS1_17partition_subalgoE3EjNS0_10empty_typeEbEEZZNS1_14partition_implILS8_3ELb0ES6_jNS0_17counting_iteratorIjlEEPS9_SE_NS0_5tupleIJPjSE_EEENSF_IJSE_SE_EEES9_SG_JZNS1_25segmented_radix_sort_implINS0_14default_configELb1EPKdPdPKlPlN2at6native12_GLOBAL__N_18offset_tEEE10hipError_tPvRmT1_PNSt15iterator_traitsISY_E10value_typeET2_T3_PNSZ_IS14_E10value_typeET4_jRbjT5_S1A_jjP12ihipStream_tbEUljE_EEESV_SW_SX_S14_S18_S1A_T6_T7_T9_mT8_S1C_bDpT10_ENKUlT_T0_E_clISt17integral_constantIbLb0EES1O_IbLb1EEEEDaS1K_S1L_EUlS1K_E_NS1_11comp_targetILNS1_3genE0ELNS1_11target_archE4294967295ELNS1_3gpuE0ELNS1_3repE0EEENS1_30default_config_static_selectorELNS0_4arch9wavefront6targetE1EEEvSY_,comdat
	.globl	_ZN7rocprim17ROCPRIM_400000_NS6detail17trampoline_kernelINS0_13select_configILj256ELj13ELNS0_17block_load_methodE3ELS4_3ELS4_3ELNS0_20block_scan_algorithmE0ELj4294967295EEENS1_25partition_config_selectorILNS1_17partition_subalgoE3EjNS0_10empty_typeEbEEZZNS1_14partition_implILS8_3ELb0ES6_jNS0_17counting_iteratorIjlEEPS9_SE_NS0_5tupleIJPjSE_EEENSF_IJSE_SE_EEES9_SG_JZNS1_25segmented_radix_sort_implINS0_14default_configELb1EPKdPdPKlPlN2at6native12_GLOBAL__N_18offset_tEEE10hipError_tPvRmT1_PNSt15iterator_traitsISY_E10value_typeET2_T3_PNSZ_IS14_E10value_typeET4_jRbjT5_S1A_jjP12ihipStream_tbEUljE_EEESV_SW_SX_S14_S18_S1A_T6_T7_T9_mT8_S1C_bDpT10_ENKUlT_T0_E_clISt17integral_constantIbLb0EES1O_IbLb1EEEEDaS1K_S1L_EUlS1K_E_NS1_11comp_targetILNS1_3genE0ELNS1_11target_archE4294967295ELNS1_3gpuE0ELNS1_3repE0EEENS1_30default_config_static_selectorELNS0_4arch9wavefront6targetE1EEEvSY_ ; -- Begin function _ZN7rocprim17ROCPRIM_400000_NS6detail17trampoline_kernelINS0_13select_configILj256ELj13ELNS0_17block_load_methodE3ELS4_3ELS4_3ELNS0_20block_scan_algorithmE0ELj4294967295EEENS1_25partition_config_selectorILNS1_17partition_subalgoE3EjNS0_10empty_typeEbEEZZNS1_14partition_implILS8_3ELb0ES6_jNS0_17counting_iteratorIjlEEPS9_SE_NS0_5tupleIJPjSE_EEENSF_IJSE_SE_EEES9_SG_JZNS1_25segmented_radix_sort_implINS0_14default_configELb1EPKdPdPKlPlN2at6native12_GLOBAL__N_18offset_tEEE10hipError_tPvRmT1_PNSt15iterator_traitsISY_E10value_typeET2_T3_PNSZ_IS14_E10value_typeET4_jRbjT5_S1A_jjP12ihipStream_tbEUljE_EEESV_SW_SX_S14_S18_S1A_T6_T7_T9_mT8_S1C_bDpT10_ENKUlT_T0_E_clISt17integral_constantIbLb0EES1O_IbLb1EEEEDaS1K_S1L_EUlS1K_E_NS1_11comp_targetILNS1_3genE0ELNS1_11target_archE4294967295ELNS1_3gpuE0ELNS1_3repE0EEENS1_30default_config_static_selectorELNS0_4arch9wavefront6targetE1EEEvSY_
	.p2align	8
	.type	_ZN7rocprim17ROCPRIM_400000_NS6detail17trampoline_kernelINS0_13select_configILj256ELj13ELNS0_17block_load_methodE3ELS4_3ELS4_3ELNS0_20block_scan_algorithmE0ELj4294967295EEENS1_25partition_config_selectorILNS1_17partition_subalgoE3EjNS0_10empty_typeEbEEZZNS1_14partition_implILS8_3ELb0ES6_jNS0_17counting_iteratorIjlEEPS9_SE_NS0_5tupleIJPjSE_EEENSF_IJSE_SE_EEES9_SG_JZNS1_25segmented_radix_sort_implINS0_14default_configELb1EPKdPdPKlPlN2at6native12_GLOBAL__N_18offset_tEEE10hipError_tPvRmT1_PNSt15iterator_traitsISY_E10value_typeET2_T3_PNSZ_IS14_E10value_typeET4_jRbjT5_S1A_jjP12ihipStream_tbEUljE_EEESV_SW_SX_S14_S18_S1A_T6_T7_T9_mT8_S1C_bDpT10_ENKUlT_T0_E_clISt17integral_constantIbLb0EES1O_IbLb1EEEEDaS1K_S1L_EUlS1K_E_NS1_11comp_targetILNS1_3genE0ELNS1_11target_archE4294967295ELNS1_3gpuE0ELNS1_3repE0EEENS1_30default_config_static_selectorELNS0_4arch9wavefront6targetE1EEEvSY_,@function
_ZN7rocprim17ROCPRIM_400000_NS6detail17trampoline_kernelINS0_13select_configILj256ELj13ELNS0_17block_load_methodE3ELS4_3ELS4_3ELNS0_20block_scan_algorithmE0ELj4294967295EEENS1_25partition_config_selectorILNS1_17partition_subalgoE3EjNS0_10empty_typeEbEEZZNS1_14partition_implILS8_3ELb0ES6_jNS0_17counting_iteratorIjlEEPS9_SE_NS0_5tupleIJPjSE_EEENSF_IJSE_SE_EEES9_SG_JZNS1_25segmented_radix_sort_implINS0_14default_configELb1EPKdPdPKlPlN2at6native12_GLOBAL__N_18offset_tEEE10hipError_tPvRmT1_PNSt15iterator_traitsISY_E10value_typeET2_T3_PNSZ_IS14_E10value_typeET4_jRbjT5_S1A_jjP12ihipStream_tbEUljE_EEESV_SW_SX_S14_S18_S1A_T6_T7_T9_mT8_S1C_bDpT10_ENKUlT_T0_E_clISt17integral_constantIbLb0EES1O_IbLb1EEEEDaS1K_S1L_EUlS1K_E_NS1_11comp_targetILNS1_3genE0ELNS1_11target_archE4294967295ELNS1_3gpuE0ELNS1_3repE0EEENS1_30default_config_static_selectorELNS0_4arch9wavefront6targetE1EEEvSY_: ; @_ZN7rocprim17ROCPRIM_400000_NS6detail17trampoline_kernelINS0_13select_configILj256ELj13ELNS0_17block_load_methodE3ELS4_3ELS4_3ELNS0_20block_scan_algorithmE0ELj4294967295EEENS1_25partition_config_selectorILNS1_17partition_subalgoE3EjNS0_10empty_typeEbEEZZNS1_14partition_implILS8_3ELb0ES6_jNS0_17counting_iteratorIjlEEPS9_SE_NS0_5tupleIJPjSE_EEENSF_IJSE_SE_EEES9_SG_JZNS1_25segmented_radix_sort_implINS0_14default_configELb1EPKdPdPKlPlN2at6native12_GLOBAL__N_18offset_tEEE10hipError_tPvRmT1_PNSt15iterator_traitsISY_E10value_typeET2_T3_PNSZ_IS14_E10value_typeET4_jRbjT5_S1A_jjP12ihipStream_tbEUljE_EEESV_SW_SX_S14_S18_S1A_T6_T7_T9_mT8_S1C_bDpT10_ENKUlT_T0_E_clISt17integral_constantIbLb0EES1O_IbLb1EEEEDaS1K_S1L_EUlS1K_E_NS1_11comp_targetILNS1_3genE0ELNS1_11target_archE4294967295ELNS1_3gpuE0ELNS1_3repE0EEENS1_30default_config_static_selectorELNS0_4arch9wavefront6targetE1EEEvSY_
; %bb.0:
	.section	.rodata,"a",@progbits
	.p2align	6, 0x0
	.amdhsa_kernel _ZN7rocprim17ROCPRIM_400000_NS6detail17trampoline_kernelINS0_13select_configILj256ELj13ELNS0_17block_load_methodE3ELS4_3ELS4_3ELNS0_20block_scan_algorithmE0ELj4294967295EEENS1_25partition_config_selectorILNS1_17partition_subalgoE3EjNS0_10empty_typeEbEEZZNS1_14partition_implILS8_3ELb0ES6_jNS0_17counting_iteratorIjlEEPS9_SE_NS0_5tupleIJPjSE_EEENSF_IJSE_SE_EEES9_SG_JZNS1_25segmented_radix_sort_implINS0_14default_configELb1EPKdPdPKlPlN2at6native12_GLOBAL__N_18offset_tEEE10hipError_tPvRmT1_PNSt15iterator_traitsISY_E10value_typeET2_T3_PNSZ_IS14_E10value_typeET4_jRbjT5_S1A_jjP12ihipStream_tbEUljE_EEESV_SW_SX_S14_S18_S1A_T6_T7_T9_mT8_S1C_bDpT10_ENKUlT_T0_E_clISt17integral_constantIbLb0EES1O_IbLb1EEEEDaS1K_S1L_EUlS1K_E_NS1_11comp_targetILNS1_3genE0ELNS1_11target_archE4294967295ELNS1_3gpuE0ELNS1_3repE0EEENS1_30default_config_static_selectorELNS0_4arch9wavefront6targetE1EEEvSY_
		.amdhsa_group_segment_fixed_size 0
		.amdhsa_private_segment_fixed_size 0
		.amdhsa_kernarg_size 152
		.amdhsa_user_sgpr_count 6
		.amdhsa_user_sgpr_private_segment_buffer 1
		.amdhsa_user_sgpr_dispatch_ptr 0
		.amdhsa_user_sgpr_queue_ptr 0
		.amdhsa_user_sgpr_kernarg_segment_ptr 1
		.amdhsa_user_sgpr_dispatch_id 0
		.amdhsa_user_sgpr_flat_scratch_init 0
		.amdhsa_user_sgpr_private_segment_size 0
		.amdhsa_uses_dynamic_stack 0
		.amdhsa_system_sgpr_private_segment_wavefront_offset 0
		.amdhsa_system_sgpr_workgroup_id_x 1
		.amdhsa_system_sgpr_workgroup_id_y 0
		.amdhsa_system_sgpr_workgroup_id_z 0
		.amdhsa_system_sgpr_workgroup_info 0
		.amdhsa_system_vgpr_workitem_id 0
		.amdhsa_next_free_vgpr 1
		.amdhsa_next_free_sgpr 0
		.amdhsa_reserve_vcc 0
		.amdhsa_reserve_flat_scratch 0
		.amdhsa_float_round_mode_32 0
		.amdhsa_float_round_mode_16_64 0
		.amdhsa_float_denorm_mode_32 3
		.amdhsa_float_denorm_mode_16_64 3
		.amdhsa_dx10_clamp 1
		.amdhsa_ieee_mode 1
		.amdhsa_fp16_overflow 0
		.amdhsa_exception_fp_ieee_invalid_op 0
		.amdhsa_exception_fp_denorm_src 0
		.amdhsa_exception_fp_ieee_div_zero 0
		.amdhsa_exception_fp_ieee_overflow 0
		.amdhsa_exception_fp_ieee_underflow 0
		.amdhsa_exception_fp_ieee_inexact 0
		.amdhsa_exception_int_div_zero 0
	.end_amdhsa_kernel
	.section	.text._ZN7rocprim17ROCPRIM_400000_NS6detail17trampoline_kernelINS0_13select_configILj256ELj13ELNS0_17block_load_methodE3ELS4_3ELS4_3ELNS0_20block_scan_algorithmE0ELj4294967295EEENS1_25partition_config_selectorILNS1_17partition_subalgoE3EjNS0_10empty_typeEbEEZZNS1_14partition_implILS8_3ELb0ES6_jNS0_17counting_iteratorIjlEEPS9_SE_NS0_5tupleIJPjSE_EEENSF_IJSE_SE_EEES9_SG_JZNS1_25segmented_radix_sort_implINS0_14default_configELb1EPKdPdPKlPlN2at6native12_GLOBAL__N_18offset_tEEE10hipError_tPvRmT1_PNSt15iterator_traitsISY_E10value_typeET2_T3_PNSZ_IS14_E10value_typeET4_jRbjT5_S1A_jjP12ihipStream_tbEUljE_EEESV_SW_SX_S14_S18_S1A_T6_T7_T9_mT8_S1C_bDpT10_ENKUlT_T0_E_clISt17integral_constantIbLb0EES1O_IbLb1EEEEDaS1K_S1L_EUlS1K_E_NS1_11comp_targetILNS1_3genE0ELNS1_11target_archE4294967295ELNS1_3gpuE0ELNS1_3repE0EEENS1_30default_config_static_selectorELNS0_4arch9wavefront6targetE1EEEvSY_,"axG",@progbits,_ZN7rocprim17ROCPRIM_400000_NS6detail17trampoline_kernelINS0_13select_configILj256ELj13ELNS0_17block_load_methodE3ELS4_3ELS4_3ELNS0_20block_scan_algorithmE0ELj4294967295EEENS1_25partition_config_selectorILNS1_17partition_subalgoE3EjNS0_10empty_typeEbEEZZNS1_14partition_implILS8_3ELb0ES6_jNS0_17counting_iteratorIjlEEPS9_SE_NS0_5tupleIJPjSE_EEENSF_IJSE_SE_EEES9_SG_JZNS1_25segmented_radix_sort_implINS0_14default_configELb1EPKdPdPKlPlN2at6native12_GLOBAL__N_18offset_tEEE10hipError_tPvRmT1_PNSt15iterator_traitsISY_E10value_typeET2_T3_PNSZ_IS14_E10value_typeET4_jRbjT5_S1A_jjP12ihipStream_tbEUljE_EEESV_SW_SX_S14_S18_S1A_T6_T7_T9_mT8_S1C_bDpT10_ENKUlT_T0_E_clISt17integral_constantIbLb0EES1O_IbLb1EEEEDaS1K_S1L_EUlS1K_E_NS1_11comp_targetILNS1_3genE0ELNS1_11target_archE4294967295ELNS1_3gpuE0ELNS1_3repE0EEENS1_30default_config_static_selectorELNS0_4arch9wavefront6targetE1EEEvSY_,comdat
.Lfunc_end1110:
	.size	_ZN7rocprim17ROCPRIM_400000_NS6detail17trampoline_kernelINS0_13select_configILj256ELj13ELNS0_17block_load_methodE3ELS4_3ELS4_3ELNS0_20block_scan_algorithmE0ELj4294967295EEENS1_25partition_config_selectorILNS1_17partition_subalgoE3EjNS0_10empty_typeEbEEZZNS1_14partition_implILS8_3ELb0ES6_jNS0_17counting_iteratorIjlEEPS9_SE_NS0_5tupleIJPjSE_EEENSF_IJSE_SE_EEES9_SG_JZNS1_25segmented_radix_sort_implINS0_14default_configELb1EPKdPdPKlPlN2at6native12_GLOBAL__N_18offset_tEEE10hipError_tPvRmT1_PNSt15iterator_traitsISY_E10value_typeET2_T3_PNSZ_IS14_E10value_typeET4_jRbjT5_S1A_jjP12ihipStream_tbEUljE_EEESV_SW_SX_S14_S18_S1A_T6_T7_T9_mT8_S1C_bDpT10_ENKUlT_T0_E_clISt17integral_constantIbLb0EES1O_IbLb1EEEEDaS1K_S1L_EUlS1K_E_NS1_11comp_targetILNS1_3genE0ELNS1_11target_archE4294967295ELNS1_3gpuE0ELNS1_3repE0EEENS1_30default_config_static_selectorELNS0_4arch9wavefront6targetE1EEEvSY_, .Lfunc_end1110-_ZN7rocprim17ROCPRIM_400000_NS6detail17trampoline_kernelINS0_13select_configILj256ELj13ELNS0_17block_load_methodE3ELS4_3ELS4_3ELNS0_20block_scan_algorithmE0ELj4294967295EEENS1_25partition_config_selectorILNS1_17partition_subalgoE3EjNS0_10empty_typeEbEEZZNS1_14partition_implILS8_3ELb0ES6_jNS0_17counting_iteratorIjlEEPS9_SE_NS0_5tupleIJPjSE_EEENSF_IJSE_SE_EEES9_SG_JZNS1_25segmented_radix_sort_implINS0_14default_configELb1EPKdPdPKlPlN2at6native12_GLOBAL__N_18offset_tEEE10hipError_tPvRmT1_PNSt15iterator_traitsISY_E10value_typeET2_T3_PNSZ_IS14_E10value_typeET4_jRbjT5_S1A_jjP12ihipStream_tbEUljE_EEESV_SW_SX_S14_S18_S1A_T6_T7_T9_mT8_S1C_bDpT10_ENKUlT_T0_E_clISt17integral_constantIbLb0EES1O_IbLb1EEEEDaS1K_S1L_EUlS1K_E_NS1_11comp_targetILNS1_3genE0ELNS1_11target_archE4294967295ELNS1_3gpuE0ELNS1_3repE0EEENS1_30default_config_static_selectorELNS0_4arch9wavefront6targetE1EEEvSY_
                                        ; -- End function
	.set _ZN7rocprim17ROCPRIM_400000_NS6detail17trampoline_kernelINS0_13select_configILj256ELj13ELNS0_17block_load_methodE3ELS4_3ELS4_3ELNS0_20block_scan_algorithmE0ELj4294967295EEENS1_25partition_config_selectorILNS1_17partition_subalgoE3EjNS0_10empty_typeEbEEZZNS1_14partition_implILS8_3ELb0ES6_jNS0_17counting_iteratorIjlEEPS9_SE_NS0_5tupleIJPjSE_EEENSF_IJSE_SE_EEES9_SG_JZNS1_25segmented_radix_sort_implINS0_14default_configELb1EPKdPdPKlPlN2at6native12_GLOBAL__N_18offset_tEEE10hipError_tPvRmT1_PNSt15iterator_traitsISY_E10value_typeET2_T3_PNSZ_IS14_E10value_typeET4_jRbjT5_S1A_jjP12ihipStream_tbEUljE_EEESV_SW_SX_S14_S18_S1A_T6_T7_T9_mT8_S1C_bDpT10_ENKUlT_T0_E_clISt17integral_constantIbLb0EES1O_IbLb1EEEEDaS1K_S1L_EUlS1K_E_NS1_11comp_targetILNS1_3genE0ELNS1_11target_archE4294967295ELNS1_3gpuE0ELNS1_3repE0EEENS1_30default_config_static_selectorELNS0_4arch9wavefront6targetE1EEEvSY_.num_vgpr, 0
	.set _ZN7rocprim17ROCPRIM_400000_NS6detail17trampoline_kernelINS0_13select_configILj256ELj13ELNS0_17block_load_methodE3ELS4_3ELS4_3ELNS0_20block_scan_algorithmE0ELj4294967295EEENS1_25partition_config_selectorILNS1_17partition_subalgoE3EjNS0_10empty_typeEbEEZZNS1_14partition_implILS8_3ELb0ES6_jNS0_17counting_iteratorIjlEEPS9_SE_NS0_5tupleIJPjSE_EEENSF_IJSE_SE_EEES9_SG_JZNS1_25segmented_radix_sort_implINS0_14default_configELb1EPKdPdPKlPlN2at6native12_GLOBAL__N_18offset_tEEE10hipError_tPvRmT1_PNSt15iterator_traitsISY_E10value_typeET2_T3_PNSZ_IS14_E10value_typeET4_jRbjT5_S1A_jjP12ihipStream_tbEUljE_EEESV_SW_SX_S14_S18_S1A_T6_T7_T9_mT8_S1C_bDpT10_ENKUlT_T0_E_clISt17integral_constantIbLb0EES1O_IbLb1EEEEDaS1K_S1L_EUlS1K_E_NS1_11comp_targetILNS1_3genE0ELNS1_11target_archE4294967295ELNS1_3gpuE0ELNS1_3repE0EEENS1_30default_config_static_selectorELNS0_4arch9wavefront6targetE1EEEvSY_.num_agpr, 0
	.set _ZN7rocprim17ROCPRIM_400000_NS6detail17trampoline_kernelINS0_13select_configILj256ELj13ELNS0_17block_load_methodE3ELS4_3ELS4_3ELNS0_20block_scan_algorithmE0ELj4294967295EEENS1_25partition_config_selectorILNS1_17partition_subalgoE3EjNS0_10empty_typeEbEEZZNS1_14partition_implILS8_3ELb0ES6_jNS0_17counting_iteratorIjlEEPS9_SE_NS0_5tupleIJPjSE_EEENSF_IJSE_SE_EEES9_SG_JZNS1_25segmented_radix_sort_implINS0_14default_configELb1EPKdPdPKlPlN2at6native12_GLOBAL__N_18offset_tEEE10hipError_tPvRmT1_PNSt15iterator_traitsISY_E10value_typeET2_T3_PNSZ_IS14_E10value_typeET4_jRbjT5_S1A_jjP12ihipStream_tbEUljE_EEESV_SW_SX_S14_S18_S1A_T6_T7_T9_mT8_S1C_bDpT10_ENKUlT_T0_E_clISt17integral_constantIbLb0EES1O_IbLb1EEEEDaS1K_S1L_EUlS1K_E_NS1_11comp_targetILNS1_3genE0ELNS1_11target_archE4294967295ELNS1_3gpuE0ELNS1_3repE0EEENS1_30default_config_static_selectorELNS0_4arch9wavefront6targetE1EEEvSY_.numbered_sgpr, 0
	.set _ZN7rocprim17ROCPRIM_400000_NS6detail17trampoline_kernelINS0_13select_configILj256ELj13ELNS0_17block_load_methodE3ELS4_3ELS4_3ELNS0_20block_scan_algorithmE0ELj4294967295EEENS1_25partition_config_selectorILNS1_17partition_subalgoE3EjNS0_10empty_typeEbEEZZNS1_14partition_implILS8_3ELb0ES6_jNS0_17counting_iteratorIjlEEPS9_SE_NS0_5tupleIJPjSE_EEENSF_IJSE_SE_EEES9_SG_JZNS1_25segmented_radix_sort_implINS0_14default_configELb1EPKdPdPKlPlN2at6native12_GLOBAL__N_18offset_tEEE10hipError_tPvRmT1_PNSt15iterator_traitsISY_E10value_typeET2_T3_PNSZ_IS14_E10value_typeET4_jRbjT5_S1A_jjP12ihipStream_tbEUljE_EEESV_SW_SX_S14_S18_S1A_T6_T7_T9_mT8_S1C_bDpT10_ENKUlT_T0_E_clISt17integral_constantIbLb0EES1O_IbLb1EEEEDaS1K_S1L_EUlS1K_E_NS1_11comp_targetILNS1_3genE0ELNS1_11target_archE4294967295ELNS1_3gpuE0ELNS1_3repE0EEENS1_30default_config_static_selectorELNS0_4arch9wavefront6targetE1EEEvSY_.num_named_barrier, 0
	.set _ZN7rocprim17ROCPRIM_400000_NS6detail17trampoline_kernelINS0_13select_configILj256ELj13ELNS0_17block_load_methodE3ELS4_3ELS4_3ELNS0_20block_scan_algorithmE0ELj4294967295EEENS1_25partition_config_selectorILNS1_17partition_subalgoE3EjNS0_10empty_typeEbEEZZNS1_14partition_implILS8_3ELb0ES6_jNS0_17counting_iteratorIjlEEPS9_SE_NS0_5tupleIJPjSE_EEENSF_IJSE_SE_EEES9_SG_JZNS1_25segmented_radix_sort_implINS0_14default_configELb1EPKdPdPKlPlN2at6native12_GLOBAL__N_18offset_tEEE10hipError_tPvRmT1_PNSt15iterator_traitsISY_E10value_typeET2_T3_PNSZ_IS14_E10value_typeET4_jRbjT5_S1A_jjP12ihipStream_tbEUljE_EEESV_SW_SX_S14_S18_S1A_T6_T7_T9_mT8_S1C_bDpT10_ENKUlT_T0_E_clISt17integral_constantIbLb0EES1O_IbLb1EEEEDaS1K_S1L_EUlS1K_E_NS1_11comp_targetILNS1_3genE0ELNS1_11target_archE4294967295ELNS1_3gpuE0ELNS1_3repE0EEENS1_30default_config_static_selectorELNS0_4arch9wavefront6targetE1EEEvSY_.private_seg_size, 0
	.set _ZN7rocprim17ROCPRIM_400000_NS6detail17trampoline_kernelINS0_13select_configILj256ELj13ELNS0_17block_load_methodE3ELS4_3ELS4_3ELNS0_20block_scan_algorithmE0ELj4294967295EEENS1_25partition_config_selectorILNS1_17partition_subalgoE3EjNS0_10empty_typeEbEEZZNS1_14partition_implILS8_3ELb0ES6_jNS0_17counting_iteratorIjlEEPS9_SE_NS0_5tupleIJPjSE_EEENSF_IJSE_SE_EEES9_SG_JZNS1_25segmented_radix_sort_implINS0_14default_configELb1EPKdPdPKlPlN2at6native12_GLOBAL__N_18offset_tEEE10hipError_tPvRmT1_PNSt15iterator_traitsISY_E10value_typeET2_T3_PNSZ_IS14_E10value_typeET4_jRbjT5_S1A_jjP12ihipStream_tbEUljE_EEESV_SW_SX_S14_S18_S1A_T6_T7_T9_mT8_S1C_bDpT10_ENKUlT_T0_E_clISt17integral_constantIbLb0EES1O_IbLb1EEEEDaS1K_S1L_EUlS1K_E_NS1_11comp_targetILNS1_3genE0ELNS1_11target_archE4294967295ELNS1_3gpuE0ELNS1_3repE0EEENS1_30default_config_static_selectorELNS0_4arch9wavefront6targetE1EEEvSY_.uses_vcc, 0
	.set _ZN7rocprim17ROCPRIM_400000_NS6detail17trampoline_kernelINS0_13select_configILj256ELj13ELNS0_17block_load_methodE3ELS4_3ELS4_3ELNS0_20block_scan_algorithmE0ELj4294967295EEENS1_25partition_config_selectorILNS1_17partition_subalgoE3EjNS0_10empty_typeEbEEZZNS1_14partition_implILS8_3ELb0ES6_jNS0_17counting_iteratorIjlEEPS9_SE_NS0_5tupleIJPjSE_EEENSF_IJSE_SE_EEES9_SG_JZNS1_25segmented_radix_sort_implINS0_14default_configELb1EPKdPdPKlPlN2at6native12_GLOBAL__N_18offset_tEEE10hipError_tPvRmT1_PNSt15iterator_traitsISY_E10value_typeET2_T3_PNSZ_IS14_E10value_typeET4_jRbjT5_S1A_jjP12ihipStream_tbEUljE_EEESV_SW_SX_S14_S18_S1A_T6_T7_T9_mT8_S1C_bDpT10_ENKUlT_T0_E_clISt17integral_constantIbLb0EES1O_IbLb1EEEEDaS1K_S1L_EUlS1K_E_NS1_11comp_targetILNS1_3genE0ELNS1_11target_archE4294967295ELNS1_3gpuE0ELNS1_3repE0EEENS1_30default_config_static_selectorELNS0_4arch9wavefront6targetE1EEEvSY_.uses_flat_scratch, 0
	.set _ZN7rocprim17ROCPRIM_400000_NS6detail17trampoline_kernelINS0_13select_configILj256ELj13ELNS0_17block_load_methodE3ELS4_3ELS4_3ELNS0_20block_scan_algorithmE0ELj4294967295EEENS1_25partition_config_selectorILNS1_17partition_subalgoE3EjNS0_10empty_typeEbEEZZNS1_14partition_implILS8_3ELb0ES6_jNS0_17counting_iteratorIjlEEPS9_SE_NS0_5tupleIJPjSE_EEENSF_IJSE_SE_EEES9_SG_JZNS1_25segmented_radix_sort_implINS0_14default_configELb1EPKdPdPKlPlN2at6native12_GLOBAL__N_18offset_tEEE10hipError_tPvRmT1_PNSt15iterator_traitsISY_E10value_typeET2_T3_PNSZ_IS14_E10value_typeET4_jRbjT5_S1A_jjP12ihipStream_tbEUljE_EEESV_SW_SX_S14_S18_S1A_T6_T7_T9_mT8_S1C_bDpT10_ENKUlT_T0_E_clISt17integral_constantIbLb0EES1O_IbLb1EEEEDaS1K_S1L_EUlS1K_E_NS1_11comp_targetILNS1_3genE0ELNS1_11target_archE4294967295ELNS1_3gpuE0ELNS1_3repE0EEENS1_30default_config_static_selectorELNS0_4arch9wavefront6targetE1EEEvSY_.has_dyn_sized_stack, 0
	.set _ZN7rocprim17ROCPRIM_400000_NS6detail17trampoline_kernelINS0_13select_configILj256ELj13ELNS0_17block_load_methodE3ELS4_3ELS4_3ELNS0_20block_scan_algorithmE0ELj4294967295EEENS1_25partition_config_selectorILNS1_17partition_subalgoE3EjNS0_10empty_typeEbEEZZNS1_14partition_implILS8_3ELb0ES6_jNS0_17counting_iteratorIjlEEPS9_SE_NS0_5tupleIJPjSE_EEENSF_IJSE_SE_EEES9_SG_JZNS1_25segmented_radix_sort_implINS0_14default_configELb1EPKdPdPKlPlN2at6native12_GLOBAL__N_18offset_tEEE10hipError_tPvRmT1_PNSt15iterator_traitsISY_E10value_typeET2_T3_PNSZ_IS14_E10value_typeET4_jRbjT5_S1A_jjP12ihipStream_tbEUljE_EEESV_SW_SX_S14_S18_S1A_T6_T7_T9_mT8_S1C_bDpT10_ENKUlT_T0_E_clISt17integral_constantIbLb0EES1O_IbLb1EEEEDaS1K_S1L_EUlS1K_E_NS1_11comp_targetILNS1_3genE0ELNS1_11target_archE4294967295ELNS1_3gpuE0ELNS1_3repE0EEENS1_30default_config_static_selectorELNS0_4arch9wavefront6targetE1EEEvSY_.has_recursion, 0
	.set _ZN7rocprim17ROCPRIM_400000_NS6detail17trampoline_kernelINS0_13select_configILj256ELj13ELNS0_17block_load_methodE3ELS4_3ELS4_3ELNS0_20block_scan_algorithmE0ELj4294967295EEENS1_25partition_config_selectorILNS1_17partition_subalgoE3EjNS0_10empty_typeEbEEZZNS1_14partition_implILS8_3ELb0ES6_jNS0_17counting_iteratorIjlEEPS9_SE_NS0_5tupleIJPjSE_EEENSF_IJSE_SE_EEES9_SG_JZNS1_25segmented_radix_sort_implINS0_14default_configELb1EPKdPdPKlPlN2at6native12_GLOBAL__N_18offset_tEEE10hipError_tPvRmT1_PNSt15iterator_traitsISY_E10value_typeET2_T3_PNSZ_IS14_E10value_typeET4_jRbjT5_S1A_jjP12ihipStream_tbEUljE_EEESV_SW_SX_S14_S18_S1A_T6_T7_T9_mT8_S1C_bDpT10_ENKUlT_T0_E_clISt17integral_constantIbLb0EES1O_IbLb1EEEEDaS1K_S1L_EUlS1K_E_NS1_11comp_targetILNS1_3genE0ELNS1_11target_archE4294967295ELNS1_3gpuE0ELNS1_3repE0EEENS1_30default_config_static_selectorELNS0_4arch9wavefront6targetE1EEEvSY_.has_indirect_call, 0
	.section	.AMDGPU.csdata,"",@progbits
; Kernel info:
; codeLenInByte = 0
; TotalNumSgprs: 4
; NumVgprs: 0
; ScratchSize: 0
; MemoryBound: 0
; FloatMode: 240
; IeeeMode: 1
; LDSByteSize: 0 bytes/workgroup (compile time only)
; SGPRBlocks: 0
; VGPRBlocks: 0
; NumSGPRsForWavesPerEU: 4
; NumVGPRsForWavesPerEU: 1
; Occupancy: 10
; WaveLimiterHint : 0
; COMPUTE_PGM_RSRC2:SCRATCH_EN: 0
; COMPUTE_PGM_RSRC2:USER_SGPR: 6
; COMPUTE_PGM_RSRC2:TRAP_HANDLER: 0
; COMPUTE_PGM_RSRC2:TGID_X_EN: 1
; COMPUTE_PGM_RSRC2:TGID_Y_EN: 0
; COMPUTE_PGM_RSRC2:TGID_Z_EN: 0
; COMPUTE_PGM_RSRC2:TIDIG_COMP_CNT: 0
	.section	.text._ZN7rocprim17ROCPRIM_400000_NS6detail17trampoline_kernelINS0_13select_configILj256ELj13ELNS0_17block_load_methodE3ELS4_3ELS4_3ELNS0_20block_scan_algorithmE0ELj4294967295EEENS1_25partition_config_selectorILNS1_17partition_subalgoE3EjNS0_10empty_typeEbEEZZNS1_14partition_implILS8_3ELb0ES6_jNS0_17counting_iteratorIjlEEPS9_SE_NS0_5tupleIJPjSE_EEENSF_IJSE_SE_EEES9_SG_JZNS1_25segmented_radix_sort_implINS0_14default_configELb1EPKdPdPKlPlN2at6native12_GLOBAL__N_18offset_tEEE10hipError_tPvRmT1_PNSt15iterator_traitsISY_E10value_typeET2_T3_PNSZ_IS14_E10value_typeET4_jRbjT5_S1A_jjP12ihipStream_tbEUljE_EEESV_SW_SX_S14_S18_S1A_T6_T7_T9_mT8_S1C_bDpT10_ENKUlT_T0_E_clISt17integral_constantIbLb0EES1O_IbLb1EEEEDaS1K_S1L_EUlS1K_E_NS1_11comp_targetILNS1_3genE5ELNS1_11target_archE942ELNS1_3gpuE9ELNS1_3repE0EEENS1_30default_config_static_selectorELNS0_4arch9wavefront6targetE1EEEvSY_,"axG",@progbits,_ZN7rocprim17ROCPRIM_400000_NS6detail17trampoline_kernelINS0_13select_configILj256ELj13ELNS0_17block_load_methodE3ELS4_3ELS4_3ELNS0_20block_scan_algorithmE0ELj4294967295EEENS1_25partition_config_selectorILNS1_17partition_subalgoE3EjNS0_10empty_typeEbEEZZNS1_14partition_implILS8_3ELb0ES6_jNS0_17counting_iteratorIjlEEPS9_SE_NS0_5tupleIJPjSE_EEENSF_IJSE_SE_EEES9_SG_JZNS1_25segmented_radix_sort_implINS0_14default_configELb1EPKdPdPKlPlN2at6native12_GLOBAL__N_18offset_tEEE10hipError_tPvRmT1_PNSt15iterator_traitsISY_E10value_typeET2_T3_PNSZ_IS14_E10value_typeET4_jRbjT5_S1A_jjP12ihipStream_tbEUljE_EEESV_SW_SX_S14_S18_S1A_T6_T7_T9_mT8_S1C_bDpT10_ENKUlT_T0_E_clISt17integral_constantIbLb0EES1O_IbLb1EEEEDaS1K_S1L_EUlS1K_E_NS1_11comp_targetILNS1_3genE5ELNS1_11target_archE942ELNS1_3gpuE9ELNS1_3repE0EEENS1_30default_config_static_selectorELNS0_4arch9wavefront6targetE1EEEvSY_,comdat
	.globl	_ZN7rocprim17ROCPRIM_400000_NS6detail17trampoline_kernelINS0_13select_configILj256ELj13ELNS0_17block_load_methodE3ELS4_3ELS4_3ELNS0_20block_scan_algorithmE0ELj4294967295EEENS1_25partition_config_selectorILNS1_17partition_subalgoE3EjNS0_10empty_typeEbEEZZNS1_14partition_implILS8_3ELb0ES6_jNS0_17counting_iteratorIjlEEPS9_SE_NS0_5tupleIJPjSE_EEENSF_IJSE_SE_EEES9_SG_JZNS1_25segmented_radix_sort_implINS0_14default_configELb1EPKdPdPKlPlN2at6native12_GLOBAL__N_18offset_tEEE10hipError_tPvRmT1_PNSt15iterator_traitsISY_E10value_typeET2_T3_PNSZ_IS14_E10value_typeET4_jRbjT5_S1A_jjP12ihipStream_tbEUljE_EEESV_SW_SX_S14_S18_S1A_T6_T7_T9_mT8_S1C_bDpT10_ENKUlT_T0_E_clISt17integral_constantIbLb0EES1O_IbLb1EEEEDaS1K_S1L_EUlS1K_E_NS1_11comp_targetILNS1_3genE5ELNS1_11target_archE942ELNS1_3gpuE9ELNS1_3repE0EEENS1_30default_config_static_selectorELNS0_4arch9wavefront6targetE1EEEvSY_ ; -- Begin function _ZN7rocprim17ROCPRIM_400000_NS6detail17trampoline_kernelINS0_13select_configILj256ELj13ELNS0_17block_load_methodE3ELS4_3ELS4_3ELNS0_20block_scan_algorithmE0ELj4294967295EEENS1_25partition_config_selectorILNS1_17partition_subalgoE3EjNS0_10empty_typeEbEEZZNS1_14partition_implILS8_3ELb0ES6_jNS0_17counting_iteratorIjlEEPS9_SE_NS0_5tupleIJPjSE_EEENSF_IJSE_SE_EEES9_SG_JZNS1_25segmented_radix_sort_implINS0_14default_configELb1EPKdPdPKlPlN2at6native12_GLOBAL__N_18offset_tEEE10hipError_tPvRmT1_PNSt15iterator_traitsISY_E10value_typeET2_T3_PNSZ_IS14_E10value_typeET4_jRbjT5_S1A_jjP12ihipStream_tbEUljE_EEESV_SW_SX_S14_S18_S1A_T6_T7_T9_mT8_S1C_bDpT10_ENKUlT_T0_E_clISt17integral_constantIbLb0EES1O_IbLb1EEEEDaS1K_S1L_EUlS1K_E_NS1_11comp_targetILNS1_3genE5ELNS1_11target_archE942ELNS1_3gpuE9ELNS1_3repE0EEENS1_30default_config_static_selectorELNS0_4arch9wavefront6targetE1EEEvSY_
	.p2align	8
	.type	_ZN7rocprim17ROCPRIM_400000_NS6detail17trampoline_kernelINS0_13select_configILj256ELj13ELNS0_17block_load_methodE3ELS4_3ELS4_3ELNS0_20block_scan_algorithmE0ELj4294967295EEENS1_25partition_config_selectorILNS1_17partition_subalgoE3EjNS0_10empty_typeEbEEZZNS1_14partition_implILS8_3ELb0ES6_jNS0_17counting_iteratorIjlEEPS9_SE_NS0_5tupleIJPjSE_EEENSF_IJSE_SE_EEES9_SG_JZNS1_25segmented_radix_sort_implINS0_14default_configELb1EPKdPdPKlPlN2at6native12_GLOBAL__N_18offset_tEEE10hipError_tPvRmT1_PNSt15iterator_traitsISY_E10value_typeET2_T3_PNSZ_IS14_E10value_typeET4_jRbjT5_S1A_jjP12ihipStream_tbEUljE_EEESV_SW_SX_S14_S18_S1A_T6_T7_T9_mT8_S1C_bDpT10_ENKUlT_T0_E_clISt17integral_constantIbLb0EES1O_IbLb1EEEEDaS1K_S1L_EUlS1K_E_NS1_11comp_targetILNS1_3genE5ELNS1_11target_archE942ELNS1_3gpuE9ELNS1_3repE0EEENS1_30default_config_static_selectorELNS0_4arch9wavefront6targetE1EEEvSY_,@function
_ZN7rocprim17ROCPRIM_400000_NS6detail17trampoline_kernelINS0_13select_configILj256ELj13ELNS0_17block_load_methodE3ELS4_3ELS4_3ELNS0_20block_scan_algorithmE0ELj4294967295EEENS1_25partition_config_selectorILNS1_17partition_subalgoE3EjNS0_10empty_typeEbEEZZNS1_14partition_implILS8_3ELb0ES6_jNS0_17counting_iteratorIjlEEPS9_SE_NS0_5tupleIJPjSE_EEENSF_IJSE_SE_EEES9_SG_JZNS1_25segmented_radix_sort_implINS0_14default_configELb1EPKdPdPKlPlN2at6native12_GLOBAL__N_18offset_tEEE10hipError_tPvRmT1_PNSt15iterator_traitsISY_E10value_typeET2_T3_PNSZ_IS14_E10value_typeET4_jRbjT5_S1A_jjP12ihipStream_tbEUljE_EEESV_SW_SX_S14_S18_S1A_T6_T7_T9_mT8_S1C_bDpT10_ENKUlT_T0_E_clISt17integral_constantIbLb0EES1O_IbLb1EEEEDaS1K_S1L_EUlS1K_E_NS1_11comp_targetILNS1_3genE5ELNS1_11target_archE942ELNS1_3gpuE9ELNS1_3repE0EEENS1_30default_config_static_selectorELNS0_4arch9wavefront6targetE1EEEvSY_: ; @_ZN7rocprim17ROCPRIM_400000_NS6detail17trampoline_kernelINS0_13select_configILj256ELj13ELNS0_17block_load_methodE3ELS4_3ELS4_3ELNS0_20block_scan_algorithmE0ELj4294967295EEENS1_25partition_config_selectorILNS1_17partition_subalgoE3EjNS0_10empty_typeEbEEZZNS1_14partition_implILS8_3ELb0ES6_jNS0_17counting_iteratorIjlEEPS9_SE_NS0_5tupleIJPjSE_EEENSF_IJSE_SE_EEES9_SG_JZNS1_25segmented_radix_sort_implINS0_14default_configELb1EPKdPdPKlPlN2at6native12_GLOBAL__N_18offset_tEEE10hipError_tPvRmT1_PNSt15iterator_traitsISY_E10value_typeET2_T3_PNSZ_IS14_E10value_typeET4_jRbjT5_S1A_jjP12ihipStream_tbEUljE_EEESV_SW_SX_S14_S18_S1A_T6_T7_T9_mT8_S1C_bDpT10_ENKUlT_T0_E_clISt17integral_constantIbLb0EES1O_IbLb1EEEEDaS1K_S1L_EUlS1K_E_NS1_11comp_targetILNS1_3genE5ELNS1_11target_archE942ELNS1_3gpuE9ELNS1_3repE0EEENS1_30default_config_static_selectorELNS0_4arch9wavefront6targetE1EEEvSY_
; %bb.0:
	.section	.rodata,"a",@progbits
	.p2align	6, 0x0
	.amdhsa_kernel _ZN7rocprim17ROCPRIM_400000_NS6detail17trampoline_kernelINS0_13select_configILj256ELj13ELNS0_17block_load_methodE3ELS4_3ELS4_3ELNS0_20block_scan_algorithmE0ELj4294967295EEENS1_25partition_config_selectorILNS1_17partition_subalgoE3EjNS0_10empty_typeEbEEZZNS1_14partition_implILS8_3ELb0ES6_jNS0_17counting_iteratorIjlEEPS9_SE_NS0_5tupleIJPjSE_EEENSF_IJSE_SE_EEES9_SG_JZNS1_25segmented_radix_sort_implINS0_14default_configELb1EPKdPdPKlPlN2at6native12_GLOBAL__N_18offset_tEEE10hipError_tPvRmT1_PNSt15iterator_traitsISY_E10value_typeET2_T3_PNSZ_IS14_E10value_typeET4_jRbjT5_S1A_jjP12ihipStream_tbEUljE_EEESV_SW_SX_S14_S18_S1A_T6_T7_T9_mT8_S1C_bDpT10_ENKUlT_T0_E_clISt17integral_constantIbLb0EES1O_IbLb1EEEEDaS1K_S1L_EUlS1K_E_NS1_11comp_targetILNS1_3genE5ELNS1_11target_archE942ELNS1_3gpuE9ELNS1_3repE0EEENS1_30default_config_static_selectorELNS0_4arch9wavefront6targetE1EEEvSY_
		.amdhsa_group_segment_fixed_size 0
		.amdhsa_private_segment_fixed_size 0
		.amdhsa_kernarg_size 152
		.amdhsa_user_sgpr_count 6
		.amdhsa_user_sgpr_private_segment_buffer 1
		.amdhsa_user_sgpr_dispatch_ptr 0
		.amdhsa_user_sgpr_queue_ptr 0
		.amdhsa_user_sgpr_kernarg_segment_ptr 1
		.amdhsa_user_sgpr_dispatch_id 0
		.amdhsa_user_sgpr_flat_scratch_init 0
		.amdhsa_user_sgpr_private_segment_size 0
		.amdhsa_uses_dynamic_stack 0
		.amdhsa_system_sgpr_private_segment_wavefront_offset 0
		.amdhsa_system_sgpr_workgroup_id_x 1
		.amdhsa_system_sgpr_workgroup_id_y 0
		.amdhsa_system_sgpr_workgroup_id_z 0
		.amdhsa_system_sgpr_workgroup_info 0
		.amdhsa_system_vgpr_workitem_id 0
		.amdhsa_next_free_vgpr 1
		.amdhsa_next_free_sgpr 0
		.amdhsa_reserve_vcc 0
		.amdhsa_reserve_flat_scratch 0
		.amdhsa_float_round_mode_32 0
		.amdhsa_float_round_mode_16_64 0
		.amdhsa_float_denorm_mode_32 3
		.amdhsa_float_denorm_mode_16_64 3
		.amdhsa_dx10_clamp 1
		.amdhsa_ieee_mode 1
		.amdhsa_fp16_overflow 0
		.amdhsa_exception_fp_ieee_invalid_op 0
		.amdhsa_exception_fp_denorm_src 0
		.amdhsa_exception_fp_ieee_div_zero 0
		.amdhsa_exception_fp_ieee_overflow 0
		.amdhsa_exception_fp_ieee_underflow 0
		.amdhsa_exception_fp_ieee_inexact 0
		.amdhsa_exception_int_div_zero 0
	.end_amdhsa_kernel
	.section	.text._ZN7rocprim17ROCPRIM_400000_NS6detail17trampoline_kernelINS0_13select_configILj256ELj13ELNS0_17block_load_methodE3ELS4_3ELS4_3ELNS0_20block_scan_algorithmE0ELj4294967295EEENS1_25partition_config_selectorILNS1_17partition_subalgoE3EjNS0_10empty_typeEbEEZZNS1_14partition_implILS8_3ELb0ES6_jNS0_17counting_iteratorIjlEEPS9_SE_NS0_5tupleIJPjSE_EEENSF_IJSE_SE_EEES9_SG_JZNS1_25segmented_radix_sort_implINS0_14default_configELb1EPKdPdPKlPlN2at6native12_GLOBAL__N_18offset_tEEE10hipError_tPvRmT1_PNSt15iterator_traitsISY_E10value_typeET2_T3_PNSZ_IS14_E10value_typeET4_jRbjT5_S1A_jjP12ihipStream_tbEUljE_EEESV_SW_SX_S14_S18_S1A_T6_T7_T9_mT8_S1C_bDpT10_ENKUlT_T0_E_clISt17integral_constantIbLb0EES1O_IbLb1EEEEDaS1K_S1L_EUlS1K_E_NS1_11comp_targetILNS1_3genE5ELNS1_11target_archE942ELNS1_3gpuE9ELNS1_3repE0EEENS1_30default_config_static_selectorELNS0_4arch9wavefront6targetE1EEEvSY_,"axG",@progbits,_ZN7rocprim17ROCPRIM_400000_NS6detail17trampoline_kernelINS0_13select_configILj256ELj13ELNS0_17block_load_methodE3ELS4_3ELS4_3ELNS0_20block_scan_algorithmE0ELj4294967295EEENS1_25partition_config_selectorILNS1_17partition_subalgoE3EjNS0_10empty_typeEbEEZZNS1_14partition_implILS8_3ELb0ES6_jNS0_17counting_iteratorIjlEEPS9_SE_NS0_5tupleIJPjSE_EEENSF_IJSE_SE_EEES9_SG_JZNS1_25segmented_radix_sort_implINS0_14default_configELb1EPKdPdPKlPlN2at6native12_GLOBAL__N_18offset_tEEE10hipError_tPvRmT1_PNSt15iterator_traitsISY_E10value_typeET2_T3_PNSZ_IS14_E10value_typeET4_jRbjT5_S1A_jjP12ihipStream_tbEUljE_EEESV_SW_SX_S14_S18_S1A_T6_T7_T9_mT8_S1C_bDpT10_ENKUlT_T0_E_clISt17integral_constantIbLb0EES1O_IbLb1EEEEDaS1K_S1L_EUlS1K_E_NS1_11comp_targetILNS1_3genE5ELNS1_11target_archE942ELNS1_3gpuE9ELNS1_3repE0EEENS1_30default_config_static_selectorELNS0_4arch9wavefront6targetE1EEEvSY_,comdat
.Lfunc_end1111:
	.size	_ZN7rocprim17ROCPRIM_400000_NS6detail17trampoline_kernelINS0_13select_configILj256ELj13ELNS0_17block_load_methodE3ELS4_3ELS4_3ELNS0_20block_scan_algorithmE0ELj4294967295EEENS1_25partition_config_selectorILNS1_17partition_subalgoE3EjNS0_10empty_typeEbEEZZNS1_14partition_implILS8_3ELb0ES6_jNS0_17counting_iteratorIjlEEPS9_SE_NS0_5tupleIJPjSE_EEENSF_IJSE_SE_EEES9_SG_JZNS1_25segmented_radix_sort_implINS0_14default_configELb1EPKdPdPKlPlN2at6native12_GLOBAL__N_18offset_tEEE10hipError_tPvRmT1_PNSt15iterator_traitsISY_E10value_typeET2_T3_PNSZ_IS14_E10value_typeET4_jRbjT5_S1A_jjP12ihipStream_tbEUljE_EEESV_SW_SX_S14_S18_S1A_T6_T7_T9_mT8_S1C_bDpT10_ENKUlT_T0_E_clISt17integral_constantIbLb0EES1O_IbLb1EEEEDaS1K_S1L_EUlS1K_E_NS1_11comp_targetILNS1_3genE5ELNS1_11target_archE942ELNS1_3gpuE9ELNS1_3repE0EEENS1_30default_config_static_selectorELNS0_4arch9wavefront6targetE1EEEvSY_, .Lfunc_end1111-_ZN7rocprim17ROCPRIM_400000_NS6detail17trampoline_kernelINS0_13select_configILj256ELj13ELNS0_17block_load_methodE3ELS4_3ELS4_3ELNS0_20block_scan_algorithmE0ELj4294967295EEENS1_25partition_config_selectorILNS1_17partition_subalgoE3EjNS0_10empty_typeEbEEZZNS1_14partition_implILS8_3ELb0ES6_jNS0_17counting_iteratorIjlEEPS9_SE_NS0_5tupleIJPjSE_EEENSF_IJSE_SE_EEES9_SG_JZNS1_25segmented_radix_sort_implINS0_14default_configELb1EPKdPdPKlPlN2at6native12_GLOBAL__N_18offset_tEEE10hipError_tPvRmT1_PNSt15iterator_traitsISY_E10value_typeET2_T3_PNSZ_IS14_E10value_typeET4_jRbjT5_S1A_jjP12ihipStream_tbEUljE_EEESV_SW_SX_S14_S18_S1A_T6_T7_T9_mT8_S1C_bDpT10_ENKUlT_T0_E_clISt17integral_constantIbLb0EES1O_IbLb1EEEEDaS1K_S1L_EUlS1K_E_NS1_11comp_targetILNS1_3genE5ELNS1_11target_archE942ELNS1_3gpuE9ELNS1_3repE0EEENS1_30default_config_static_selectorELNS0_4arch9wavefront6targetE1EEEvSY_
                                        ; -- End function
	.set _ZN7rocprim17ROCPRIM_400000_NS6detail17trampoline_kernelINS0_13select_configILj256ELj13ELNS0_17block_load_methodE3ELS4_3ELS4_3ELNS0_20block_scan_algorithmE0ELj4294967295EEENS1_25partition_config_selectorILNS1_17partition_subalgoE3EjNS0_10empty_typeEbEEZZNS1_14partition_implILS8_3ELb0ES6_jNS0_17counting_iteratorIjlEEPS9_SE_NS0_5tupleIJPjSE_EEENSF_IJSE_SE_EEES9_SG_JZNS1_25segmented_radix_sort_implINS0_14default_configELb1EPKdPdPKlPlN2at6native12_GLOBAL__N_18offset_tEEE10hipError_tPvRmT1_PNSt15iterator_traitsISY_E10value_typeET2_T3_PNSZ_IS14_E10value_typeET4_jRbjT5_S1A_jjP12ihipStream_tbEUljE_EEESV_SW_SX_S14_S18_S1A_T6_T7_T9_mT8_S1C_bDpT10_ENKUlT_T0_E_clISt17integral_constantIbLb0EES1O_IbLb1EEEEDaS1K_S1L_EUlS1K_E_NS1_11comp_targetILNS1_3genE5ELNS1_11target_archE942ELNS1_3gpuE9ELNS1_3repE0EEENS1_30default_config_static_selectorELNS0_4arch9wavefront6targetE1EEEvSY_.num_vgpr, 0
	.set _ZN7rocprim17ROCPRIM_400000_NS6detail17trampoline_kernelINS0_13select_configILj256ELj13ELNS0_17block_load_methodE3ELS4_3ELS4_3ELNS0_20block_scan_algorithmE0ELj4294967295EEENS1_25partition_config_selectorILNS1_17partition_subalgoE3EjNS0_10empty_typeEbEEZZNS1_14partition_implILS8_3ELb0ES6_jNS0_17counting_iteratorIjlEEPS9_SE_NS0_5tupleIJPjSE_EEENSF_IJSE_SE_EEES9_SG_JZNS1_25segmented_radix_sort_implINS0_14default_configELb1EPKdPdPKlPlN2at6native12_GLOBAL__N_18offset_tEEE10hipError_tPvRmT1_PNSt15iterator_traitsISY_E10value_typeET2_T3_PNSZ_IS14_E10value_typeET4_jRbjT5_S1A_jjP12ihipStream_tbEUljE_EEESV_SW_SX_S14_S18_S1A_T6_T7_T9_mT8_S1C_bDpT10_ENKUlT_T0_E_clISt17integral_constantIbLb0EES1O_IbLb1EEEEDaS1K_S1L_EUlS1K_E_NS1_11comp_targetILNS1_3genE5ELNS1_11target_archE942ELNS1_3gpuE9ELNS1_3repE0EEENS1_30default_config_static_selectorELNS0_4arch9wavefront6targetE1EEEvSY_.num_agpr, 0
	.set _ZN7rocprim17ROCPRIM_400000_NS6detail17trampoline_kernelINS0_13select_configILj256ELj13ELNS0_17block_load_methodE3ELS4_3ELS4_3ELNS0_20block_scan_algorithmE0ELj4294967295EEENS1_25partition_config_selectorILNS1_17partition_subalgoE3EjNS0_10empty_typeEbEEZZNS1_14partition_implILS8_3ELb0ES6_jNS0_17counting_iteratorIjlEEPS9_SE_NS0_5tupleIJPjSE_EEENSF_IJSE_SE_EEES9_SG_JZNS1_25segmented_radix_sort_implINS0_14default_configELb1EPKdPdPKlPlN2at6native12_GLOBAL__N_18offset_tEEE10hipError_tPvRmT1_PNSt15iterator_traitsISY_E10value_typeET2_T3_PNSZ_IS14_E10value_typeET4_jRbjT5_S1A_jjP12ihipStream_tbEUljE_EEESV_SW_SX_S14_S18_S1A_T6_T7_T9_mT8_S1C_bDpT10_ENKUlT_T0_E_clISt17integral_constantIbLb0EES1O_IbLb1EEEEDaS1K_S1L_EUlS1K_E_NS1_11comp_targetILNS1_3genE5ELNS1_11target_archE942ELNS1_3gpuE9ELNS1_3repE0EEENS1_30default_config_static_selectorELNS0_4arch9wavefront6targetE1EEEvSY_.numbered_sgpr, 0
	.set _ZN7rocprim17ROCPRIM_400000_NS6detail17trampoline_kernelINS0_13select_configILj256ELj13ELNS0_17block_load_methodE3ELS4_3ELS4_3ELNS0_20block_scan_algorithmE0ELj4294967295EEENS1_25partition_config_selectorILNS1_17partition_subalgoE3EjNS0_10empty_typeEbEEZZNS1_14partition_implILS8_3ELb0ES6_jNS0_17counting_iteratorIjlEEPS9_SE_NS0_5tupleIJPjSE_EEENSF_IJSE_SE_EEES9_SG_JZNS1_25segmented_radix_sort_implINS0_14default_configELb1EPKdPdPKlPlN2at6native12_GLOBAL__N_18offset_tEEE10hipError_tPvRmT1_PNSt15iterator_traitsISY_E10value_typeET2_T3_PNSZ_IS14_E10value_typeET4_jRbjT5_S1A_jjP12ihipStream_tbEUljE_EEESV_SW_SX_S14_S18_S1A_T6_T7_T9_mT8_S1C_bDpT10_ENKUlT_T0_E_clISt17integral_constantIbLb0EES1O_IbLb1EEEEDaS1K_S1L_EUlS1K_E_NS1_11comp_targetILNS1_3genE5ELNS1_11target_archE942ELNS1_3gpuE9ELNS1_3repE0EEENS1_30default_config_static_selectorELNS0_4arch9wavefront6targetE1EEEvSY_.num_named_barrier, 0
	.set _ZN7rocprim17ROCPRIM_400000_NS6detail17trampoline_kernelINS0_13select_configILj256ELj13ELNS0_17block_load_methodE3ELS4_3ELS4_3ELNS0_20block_scan_algorithmE0ELj4294967295EEENS1_25partition_config_selectorILNS1_17partition_subalgoE3EjNS0_10empty_typeEbEEZZNS1_14partition_implILS8_3ELb0ES6_jNS0_17counting_iteratorIjlEEPS9_SE_NS0_5tupleIJPjSE_EEENSF_IJSE_SE_EEES9_SG_JZNS1_25segmented_radix_sort_implINS0_14default_configELb1EPKdPdPKlPlN2at6native12_GLOBAL__N_18offset_tEEE10hipError_tPvRmT1_PNSt15iterator_traitsISY_E10value_typeET2_T3_PNSZ_IS14_E10value_typeET4_jRbjT5_S1A_jjP12ihipStream_tbEUljE_EEESV_SW_SX_S14_S18_S1A_T6_T7_T9_mT8_S1C_bDpT10_ENKUlT_T0_E_clISt17integral_constantIbLb0EES1O_IbLb1EEEEDaS1K_S1L_EUlS1K_E_NS1_11comp_targetILNS1_3genE5ELNS1_11target_archE942ELNS1_3gpuE9ELNS1_3repE0EEENS1_30default_config_static_selectorELNS0_4arch9wavefront6targetE1EEEvSY_.private_seg_size, 0
	.set _ZN7rocprim17ROCPRIM_400000_NS6detail17trampoline_kernelINS0_13select_configILj256ELj13ELNS0_17block_load_methodE3ELS4_3ELS4_3ELNS0_20block_scan_algorithmE0ELj4294967295EEENS1_25partition_config_selectorILNS1_17partition_subalgoE3EjNS0_10empty_typeEbEEZZNS1_14partition_implILS8_3ELb0ES6_jNS0_17counting_iteratorIjlEEPS9_SE_NS0_5tupleIJPjSE_EEENSF_IJSE_SE_EEES9_SG_JZNS1_25segmented_radix_sort_implINS0_14default_configELb1EPKdPdPKlPlN2at6native12_GLOBAL__N_18offset_tEEE10hipError_tPvRmT1_PNSt15iterator_traitsISY_E10value_typeET2_T3_PNSZ_IS14_E10value_typeET4_jRbjT5_S1A_jjP12ihipStream_tbEUljE_EEESV_SW_SX_S14_S18_S1A_T6_T7_T9_mT8_S1C_bDpT10_ENKUlT_T0_E_clISt17integral_constantIbLb0EES1O_IbLb1EEEEDaS1K_S1L_EUlS1K_E_NS1_11comp_targetILNS1_3genE5ELNS1_11target_archE942ELNS1_3gpuE9ELNS1_3repE0EEENS1_30default_config_static_selectorELNS0_4arch9wavefront6targetE1EEEvSY_.uses_vcc, 0
	.set _ZN7rocprim17ROCPRIM_400000_NS6detail17trampoline_kernelINS0_13select_configILj256ELj13ELNS0_17block_load_methodE3ELS4_3ELS4_3ELNS0_20block_scan_algorithmE0ELj4294967295EEENS1_25partition_config_selectorILNS1_17partition_subalgoE3EjNS0_10empty_typeEbEEZZNS1_14partition_implILS8_3ELb0ES6_jNS0_17counting_iteratorIjlEEPS9_SE_NS0_5tupleIJPjSE_EEENSF_IJSE_SE_EEES9_SG_JZNS1_25segmented_radix_sort_implINS0_14default_configELb1EPKdPdPKlPlN2at6native12_GLOBAL__N_18offset_tEEE10hipError_tPvRmT1_PNSt15iterator_traitsISY_E10value_typeET2_T3_PNSZ_IS14_E10value_typeET4_jRbjT5_S1A_jjP12ihipStream_tbEUljE_EEESV_SW_SX_S14_S18_S1A_T6_T7_T9_mT8_S1C_bDpT10_ENKUlT_T0_E_clISt17integral_constantIbLb0EES1O_IbLb1EEEEDaS1K_S1L_EUlS1K_E_NS1_11comp_targetILNS1_3genE5ELNS1_11target_archE942ELNS1_3gpuE9ELNS1_3repE0EEENS1_30default_config_static_selectorELNS0_4arch9wavefront6targetE1EEEvSY_.uses_flat_scratch, 0
	.set _ZN7rocprim17ROCPRIM_400000_NS6detail17trampoline_kernelINS0_13select_configILj256ELj13ELNS0_17block_load_methodE3ELS4_3ELS4_3ELNS0_20block_scan_algorithmE0ELj4294967295EEENS1_25partition_config_selectorILNS1_17partition_subalgoE3EjNS0_10empty_typeEbEEZZNS1_14partition_implILS8_3ELb0ES6_jNS0_17counting_iteratorIjlEEPS9_SE_NS0_5tupleIJPjSE_EEENSF_IJSE_SE_EEES9_SG_JZNS1_25segmented_radix_sort_implINS0_14default_configELb1EPKdPdPKlPlN2at6native12_GLOBAL__N_18offset_tEEE10hipError_tPvRmT1_PNSt15iterator_traitsISY_E10value_typeET2_T3_PNSZ_IS14_E10value_typeET4_jRbjT5_S1A_jjP12ihipStream_tbEUljE_EEESV_SW_SX_S14_S18_S1A_T6_T7_T9_mT8_S1C_bDpT10_ENKUlT_T0_E_clISt17integral_constantIbLb0EES1O_IbLb1EEEEDaS1K_S1L_EUlS1K_E_NS1_11comp_targetILNS1_3genE5ELNS1_11target_archE942ELNS1_3gpuE9ELNS1_3repE0EEENS1_30default_config_static_selectorELNS0_4arch9wavefront6targetE1EEEvSY_.has_dyn_sized_stack, 0
	.set _ZN7rocprim17ROCPRIM_400000_NS6detail17trampoline_kernelINS0_13select_configILj256ELj13ELNS0_17block_load_methodE3ELS4_3ELS4_3ELNS0_20block_scan_algorithmE0ELj4294967295EEENS1_25partition_config_selectorILNS1_17partition_subalgoE3EjNS0_10empty_typeEbEEZZNS1_14partition_implILS8_3ELb0ES6_jNS0_17counting_iteratorIjlEEPS9_SE_NS0_5tupleIJPjSE_EEENSF_IJSE_SE_EEES9_SG_JZNS1_25segmented_radix_sort_implINS0_14default_configELb1EPKdPdPKlPlN2at6native12_GLOBAL__N_18offset_tEEE10hipError_tPvRmT1_PNSt15iterator_traitsISY_E10value_typeET2_T3_PNSZ_IS14_E10value_typeET4_jRbjT5_S1A_jjP12ihipStream_tbEUljE_EEESV_SW_SX_S14_S18_S1A_T6_T7_T9_mT8_S1C_bDpT10_ENKUlT_T0_E_clISt17integral_constantIbLb0EES1O_IbLb1EEEEDaS1K_S1L_EUlS1K_E_NS1_11comp_targetILNS1_3genE5ELNS1_11target_archE942ELNS1_3gpuE9ELNS1_3repE0EEENS1_30default_config_static_selectorELNS0_4arch9wavefront6targetE1EEEvSY_.has_recursion, 0
	.set _ZN7rocprim17ROCPRIM_400000_NS6detail17trampoline_kernelINS0_13select_configILj256ELj13ELNS0_17block_load_methodE3ELS4_3ELS4_3ELNS0_20block_scan_algorithmE0ELj4294967295EEENS1_25partition_config_selectorILNS1_17partition_subalgoE3EjNS0_10empty_typeEbEEZZNS1_14partition_implILS8_3ELb0ES6_jNS0_17counting_iteratorIjlEEPS9_SE_NS0_5tupleIJPjSE_EEENSF_IJSE_SE_EEES9_SG_JZNS1_25segmented_radix_sort_implINS0_14default_configELb1EPKdPdPKlPlN2at6native12_GLOBAL__N_18offset_tEEE10hipError_tPvRmT1_PNSt15iterator_traitsISY_E10value_typeET2_T3_PNSZ_IS14_E10value_typeET4_jRbjT5_S1A_jjP12ihipStream_tbEUljE_EEESV_SW_SX_S14_S18_S1A_T6_T7_T9_mT8_S1C_bDpT10_ENKUlT_T0_E_clISt17integral_constantIbLb0EES1O_IbLb1EEEEDaS1K_S1L_EUlS1K_E_NS1_11comp_targetILNS1_3genE5ELNS1_11target_archE942ELNS1_3gpuE9ELNS1_3repE0EEENS1_30default_config_static_selectorELNS0_4arch9wavefront6targetE1EEEvSY_.has_indirect_call, 0
	.section	.AMDGPU.csdata,"",@progbits
; Kernel info:
; codeLenInByte = 0
; TotalNumSgprs: 4
; NumVgprs: 0
; ScratchSize: 0
; MemoryBound: 0
; FloatMode: 240
; IeeeMode: 1
; LDSByteSize: 0 bytes/workgroup (compile time only)
; SGPRBlocks: 0
; VGPRBlocks: 0
; NumSGPRsForWavesPerEU: 4
; NumVGPRsForWavesPerEU: 1
; Occupancy: 10
; WaveLimiterHint : 0
; COMPUTE_PGM_RSRC2:SCRATCH_EN: 0
; COMPUTE_PGM_RSRC2:USER_SGPR: 6
; COMPUTE_PGM_RSRC2:TRAP_HANDLER: 0
; COMPUTE_PGM_RSRC2:TGID_X_EN: 1
; COMPUTE_PGM_RSRC2:TGID_Y_EN: 0
; COMPUTE_PGM_RSRC2:TGID_Z_EN: 0
; COMPUTE_PGM_RSRC2:TIDIG_COMP_CNT: 0
	.section	.text._ZN7rocprim17ROCPRIM_400000_NS6detail17trampoline_kernelINS0_13select_configILj256ELj13ELNS0_17block_load_methodE3ELS4_3ELS4_3ELNS0_20block_scan_algorithmE0ELj4294967295EEENS1_25partition_config_selectorILNS1_17partition_subalgoE3EjNS0_10empty_typeEbEEZZNS1_14partition_implILS8_3ELb0ES6_jNS0_17counting_iteratorIjlEEPS9_SE_NS0_5tupleIJPjSE_EEENSF_IJSE_SE_EEES9_SG_JZNS1_25segmented_radix_sort_implINS0_14default_configELb1EPKdPdPKlPlN2at6native12_GLOBAL__N_18offset_tEEE10hipError_tPvRmT1_PNSt15iterator_traitsISY_E10value_typeET2_T3_PNSZ_IS14_E10value_typeET4_jRbjT5_S1A_jjP12ihipStream_tbEUljE_EEESV_SW_SX_S14_S18_S1A_T6_T7_T9_mT8_S1C_bDpT10_ENKUlT_T0_E_clISt17integral_constantIbLb0EES1O_IbLb1EEEEDaS1K_S1L_EUlS1K_E_NS1_11comp_targetILNS1_3genE4ELNS1_11target_archE910ELNS1_3gpuE8ELNS1_3repE0EEENS1_30default_config_static_selectorELNS0_4arch9wavefront6targetE1EEEvSY_,"axG",@progbits,_ZN7rocprim17ROCPRIM_400000_NS6detail17trampoline_kernelINS0_13select_configILj256ELj13ELNS0_17block_load_methodE3ELS4_3ELS4_3ELNS0_20block_scan_algorithmE0ELj4294967295EEENS1_25partition_config_selectorILNS1_17partition_subalgoE3EjNS0_10empty_typeEbEEZZNS1_14partition_implILS8_3ELb0ES6_jNS0_17counting_iteratorIjlEEPS9_SE_NS0_5tupleIJPjSE_EEENSF_IJSE_SE_EEES9_SG_JZNS1_25segmented_radix_sort_implINS0_14default_configELb1EPKdPdPKlPlN2at6native12_GLOBAL__N_18offset_tEEE10hipError_tPvRmT1_PNSt15iterator_traitsISY_E10value_typeET2_T3_PNSZ_IS14_E10value_typeET4_jRbjT5_S1A_jjP12ihipStream_tbEUljE_EEESV_SW_SX_S14_S18_S1A_T6_T7_T9_mT8_S1C_bDpT10_ENKUlT_T0_E_clISt17integral_constantIbLb0EES1O_IbLb1EEEEDaS1K_S1L_EUlS1K_E_NS1_11comp_targetILNS1_3genE4ELNS1_11target_archE910ELNS1_3gpuE8ELNS1_3repE0EEENS1_30default_config_static_selectorELNS0_4arch9wavefront6targetE1EEEvSY_,comdat
	.globl	_ZN7rocprim17ROCPRIM_400000_NS6detail17trampoline_kernelINS0_13select_configILj256ELj13ELNS0_17block_load_methodE3ELS4_3ELS4_3ELNS0_20block_scan_algorithmE0ELj4294967295EEENS1_25partition_config_selectorILNS1_17partition_subalgoE3EjNS0_10empty_typeEbEEZZNS1_14partition_implILS8_3ELb0ES6_jNS0_17counting_iteratorIjlEEPS9_SE_NS0_5tupleIJPjSE_EEENSF_IJSE_SE_EEES9_SG_JZNS1_25segmented_radix_sort_implINS0_14default_configELb1EPKdPdPKlPlN2at6native12_GLOBAL__N_18offset_tEEE10hipError_tPvRmT1_PNSt15iterator_traitsISY_E10value_typeET2_T3_PNSZ_IS14_E10value_typeET4_jRbjT5_S1A_jjP12ihipStream_tbEUljE_EEESV_SW_SX_S14_S18_S1A_T6_T7_T9_mT8_S1C_bDpT10_ENKUlT_T0_E_clISt17integral_constantIbLb0EES1O_IbLb1EEEEDaS1K_S1L_EUlS1K_E_NS1_11comp_targetILNS1_3genE4ELNS1_11target_archE910ELNS1_3gpuE8ELNS1_3repE0EEENS1_30default_config_static_selectorELNS0_4arch9wavefront6targetE1EEEvSY_ ; -- Begin function _ZN7rocprim17ROCPRIM_400000_NS6detail17trampoline_kernelINS0_13select_configILj256ELj13ELNS0_17block_load_methodE3ELS4_3ELS4_3ELNS0_20block_scan_algorithmE0ELj4294967295EEENS1_25partition_config_selectorILNS1_17partition_subalgoE3EjNS0_10empty_typeEbEEZZNS1_14partition_implILS8_3ELb0ES6_jNS0_17counting_iteratorIjlEEPS9_SE_NS0_5tupleIJPjSE_EEENSF_IJSE_SE_EEES9_SG_JZNS1_25segmented_radix_sort_implINS0_14default_configELb1EPKdPdPKlPlN2at6native12_GLOBAL__N_18offset_tEEE10hipError_tPvRmT1_PNSt15iterator_traitsISY_E10value_typeET2_T3_PNSZ_IS14_E10value_typeET4_jRbjT5_S1A_jjP12ihipStream_tbEUljE_EEESV_SW_SX_S14_S18_S1A_T6_T7_T9_mT8_S1C_bDpT10_ENKUlT_T0_E_clISt17integral_constantIbLb0EES1O_IbLb1EEEEDaS1K_S1L_EUlS1K_E_NS1_11comp_targetILNS1_3genE4ELNS1_11target_archE910ELNS1_3gpuE8ELNS1_3repE0EEENS1_30default_config_static_selectorELNS0_4arch9wavefront6targetE1EEEvSY_
	.p2align	8
	.type	_ZN7rocprim17ROCPRIM_400000_NS6detail17trampoline_kernelINS0_13select_configILj256ELj13ELNS0_17block_load_methodE3ELS4_3ELS4_3ELNS0_20block_scan_algorithmE0ELj4294967295EEENS1_25partition_config_selectorILNS1_17partition_subalgoE3EjNS0_10empty_typeEbEEZZNS1_14partition_implILS8_3ELb0ES6_jNS0_17counting_iteratorIjlEEPS9_SE_NS0_5tupleIJPjSE_EEENSF_IJSE_SE_EEES9_SG_JZNS1_25segmented_radix_sort_implINS0_14default_configELb1EPKdPdPKlPlN2at6native12_GLOBAL__N_18offset_tEEE10hipError_tPvRmT1_PNSt15iterator_traitsISY_E10value_typeET2_T3_PNSZ_IS14_E10value_typeET4_jRbjT5_S1A_jjP12ihipStream_tbEUljE_EEESV_SW_SX_S14_S18_S1A_T6_T7_T9_mT8_S1C_bDpT10_ENKUlT_T0_E_clISt17integral_constantIbLb0EES1O_IbLb1EEEEDaS1K_S1L_EUlS1K_E_NS1_11comp_targetILNS1_3genE4ELNS1_11target_archE910ELNS1_3gpuE8ELNS1_3repE0EEENS1_30default_config_static_selectorELNS0_4arch9wavefront6targetE1EEEvSY_,@function
_ZN7rocprim17ROCPRIM_400000_NS6detail17trampoline_kernelINS0_13select_configILj256ELj13ELNS0_17block_load_methodE3ELS4_3ELS4_3ELNS0_20block_scan_algorithmE0ELj4294967295EEENS1_25partition_config_selectorILNS1_17partition_subalgoE3EjNS0_10empty_typeEbEEZZNS1_14partition_implILS8_3ELb0ES6_jNS0_17counting_iteratorIjlEEPS9_SE_NS0_5tupleIJPjSE_EEENSF_IJSE_SE_EEES9_SG_JZNS1_25segmented_radix_sort_implINS0_14default_configELb1EPKdPdPKlPlN2at6native12_GLOBAL__N_18offset_tEEE10hipError_tPvRmT1_PNSt15iterator_traitsISY_E10value_typeET2_T3_PNSZ_IS14_E10value_typeET4_jRbjT5_S1A_jjP12ihipStream_tbEUljE_EEESV_SW_SX_S14_S18_S1A_T6_T7_T9_mT8_S1C_bDpT10_ENKUlT_T0_E_clISt17integral_constantIbLb0EES1O_IbLb1EEEEDaS1K_S1L_EUlS1K_E_NS1_11comp_targetILNS1_3genE4ELNS1_11target_archE910ELNS1_3gpuE8ELNS1_3repE0EEENS1_30default_config_static_selectorELNS0_4arch9wavefront6targetE1EEEvSY_: ; @_ZN7rocprim17ROCPRIM_400000_NS6detail17trampoline_kernelINS0_13select_configILj256ELj13ELNS0_17block_load_methodE3ELS4_3ELS4_3ELNS0_20block_scan_algorithmE0ELj4294967295EEENS1_25partition_config_selectorILNS1_17partition_subalgoE3EjNS0_10empty_typeEbEEZZNS1_14partition_implILS8_3ELb0ES6_jNS0_17counting_iteratorIjlEEPS9_SE_NS0_5tupleIJPjSE_EEENSF_IJSE_SE_EEES9_SG_JZNS1_25segmented_radix_sort_implINS0_14default_configELb1EPKdPdPKlPlN2at6native12_GLOBAL__N_18offset_tEEE10hipError_tPvRmT1_PNSt15iterator_traitsISY_E10value_typeET2_T3_PNSZ_IS14_E10value_typeET4_jRbjT5_S1A_jjP12ihipStream_tbEUljE_EEESV_SW_SX_S14_S18_S1A_T6_T7_T9_mT8_S1C_bDpT10_ENKUlT_T0_E_clISt17integral_constantIbLb0EES1O_IbLb1EEEEDaS1K_S1L_EUlS1K_E_NS1_11comp_targetILNS1_3genE4ELNS1_11target_archE910ELNS1_3gpuE8ELNS1_3repE0EEENS1_30default_config_static_selectorELNS0_4arch9wavefront6targetE1EEEvSY_
; %bb.0:
	.section	.rodata,"a",@progbits
	.p2align	6, 0x0
	.amdhsa_kernel _ZN7rocprim17ROCPRIM_400000_NS6detail17trampoline_kernelINS0_13select_configILj256ELj13ELNS0_17block_load_methodE3ELS4_3ELS4_3ELNS0_20block_scan_algorithmE0ELj4294967295EEENS1_25partition_config_selectorILNS1_17partition_subalgoE3EjNS0_10empty_typeEbEEZZNS1_14partition_implILS8_3ELb0ES6_jNS0_17counting_iteratorIjlEEPS9_SE_NS0_5tupleIJPjSE_EEENSF_IJSE_SE_EEES9_SG_JZNS1_25segmented_radix_sort_implINS0_14default_configELb1EPKdPdPKlPlN2at6native12_GLOBAL__N_18offset_tEEE10hipError_tPvRmT1_PNSt15iterator_traitsISY_E10value_typeET2_T3_PNSZ_IS14_E10value_typeET4_jRbjT5_S1A_jjP12ihipStream_tbEUljE_EEESV_SW_SX_S14_S18_S1A_T6_T7_T9_mT8_S1C_bDpT10_ENKUlT_T0_E_clISt17integral_constantIbLb0EES1O_IbLb1EEEEDaS1K_S1L_EUlS1K_E_NS1_11comp_targetILNS1_3genE4ELNS1_11target_archE910ELNS1_3gpuE8ELNS1_3repE0EEENS1_30default_config_static_selectorELNS0_4arch9wavefront6targetE1EEEvSY_
		.amdhsa_group_segment_fixed_size 0
		.amdhsa_private_segment_fixed_size 0
		.amdhsa_kernarg_size 152
		.amdhsa_user_sgpr_count 6
		.amdhsa_user_sgpr_private_segment_buffer 1
		.amdhsa_user_sgpr_dispatch_ptr 0
		.amdhsa_user_sgpr_queue_ptr 0
		.amdhsa_user_sgpr_kernarg_segment_ptr 1
		.amdhsa_user_sgpr_dispatch_id 0
		.amdhsa_user_sgpr_flat_scratch_init 0
		.amdhsa_user_sgpr_private_segment_size 0
		.amdhsa_uses_dynamic_stack 0
		.amdhsa_system_sgpr_private_segment_wavefront_offset 0
		.amdhsa_system_sgpr_workgroup_id_x 1
		.amdhsa_system_sgpr_workgroup_id_y 0
		.amdhsa_system_sgpr_workgroup_id_z 0
		.amdhsa_system_sgpr_workgroup_info 0
		.amdhsa_system_vgpr_workitem_id 0
		.amdhsa_next_free_vgpr 1
		.amdhsa_next_free_sgpr 0
		.amdhsa_reserve_vcc 0
		.amdhsa_reserve_flat_scratch 0
		.amdhsa_float_round_mode_32 0
		.amdhsa_float_round_mode_16_64 0
		.amdhsa_float_denorm_mode_32 3
		.amdhsa_float_denorm_mode_16_64 3
		.amdhsa_dx10_clamp 1
		.amdhsa_ieee_mode 1
		.amdhsa_fp16_overflow 0
		.amdhsa_exception_fp_ieee_invalid_op 0
		.amdhsa_exception_fp_denorm_src 0
		.amdhsa_exception_fp_ieee_div_zero 0
		.amdhsa_exception_fp_ieee_overflow 0
		.amdhsa_exception_fp_ieee_underflow 0
		.amdhsa_exception_fp_ieee_inexact 0
		.amdhsa_exception_int_div_zero 0
	.end_amdhsa_kernel
	.section	.text._ZN7rocprim17ROCPRIM_400000_NS6detail17trampoline_kernelINS0_13select_configILj256ELj13ELNS0_17block_load_methodE3ELS4_3ELS4_3ELNS0_20block_scan_algorithmE0ELj4294967295EEENS1_25partition_config_selectorILNS1_17partition_subalgoE3EjNS0_10empty_typeEbEEZZNS1_14partition_implILS8_3ELb0ES6_jNS0_17counting_iteratorIjlEEPS9_SE_NS0_5tupleIJPjSE_EEENSF_IJSE_SE_EEES9_SG_JZNS1_25segmented_radix_sort_implINS0_14default_configELb1EPKdPdPKlPlN2at6native12_GLOBAL__N_18offset_tEEE10hipError_tPvRmT1_PNSt15iterator_traitsISY_E10value_typeET2_T3_PNSZ_IS14_E10value_typeET4_jRbjT5_S1A_jjP12ihipStream_tbEUljE_EEESV_SW_SX_S14_S18_S1A_T6_T7_T9_mT8_S1C_bDpT10_ENKUlT_T0_E_clISt17integral_constantIbLb0EES1O_IbLb1EEEEDaS1K_S1L_EUlS1K_E_NS1_11comp_targetILNS1_3genE4ELNS1_11target_archE910ELNS1_3gpuE8ELNS1_3repE0EEENS1_30default_config_static_selectorELNS0_4arch9wavefront6targetE1EEEvSY_,"axG",@progbits,_ZN7rocprim17ROCPRIM_400000_NS6detail17trampoline_kernelINS0_13select_configILj256ELj13ELNS0_17block_load_methodE3ELS4_3ELS4_3ELNS0_20block_scan_algorithmE0ELj4294967295EEENS1_25partition_config_selectorILNS1_17partition_subalgoE3EjNS0_10empty_typeEbEEZZNS1_14partition_implILS8_3ELb0ES6_jNS0_17counting_iteratorIjlEEPS9_SE_NS0_5tupleIJPjSE_EEENSF_IJSE_SE_EEES9_SG_JZNS1_25segmented_radix_sort_implINS0_14default_configELb1EPKdPdPKlPlN2at6native12_GLOBAL__N_18offset_tEEE10hipError_tPvRmT1_PNSt15iterator_traitsISY_E10value_typeET2_T3_PNSZ_IS14_E10value_typeET4_jRbjT5_S1A_jjP12ihipStream_tbEUljE_EEESV_SW_SX_S14_S18_S1A_T6_T7_T9_mT8_S1C_bDpT10_ENKUlT_T0_E_clISt17integral_constantIbLb0EES1O_IbLb1EEEEDaS1K_S1L_EUlS1K_E_NS1_11comp_targetILNS1_3genE4ELNS1_11target_archE910ELNS1_3gpuE8ELNS1_3repE0EEENS1_30default_config_static_selectorELNS0_4arch9wavefront6targetE1EEEvSY_,comdat
.Lfunc_end1112:
	.size	_ZN7rocprim17ROCPRIM_400000_NS6detail17trampoline_kernelINS0_13select_configILj256ELj13ELNS0_17block_load_methodE3ELS4_3ELS4_3ELNS0_20block_scan_algorithmE0ELj4294967295EEENS1_25partition_config_selectorILNS1_17partition_subalgoE3EjNS0_10empty_typeEbEEZZNS1_14partition_implILS8_3ELb0ES6_jNS0_17counting_iteratorIjlEEPS9_SE_NS0_5tupleIJPjSE_EEENSF_IJSE_SE_EEES9_SG_JZNS1_25segmented_radix_sort_implINS0_14default_configELb1EPKdPdPKlPlN2at6native12_GLOBAL__N_18offset_tEEE10hipError_tPvRmT1_PNSt15iterator_traitsISY_E10value_typeET2_T3_PNSZ_IS14_E10value_typeET4_jRbjT5_S1A_jjP12ihipStream_tbEUljE_EEESV_SW_SX_S14_S18_S1A_T6_T7_T9_mT8_S1C_bDpT10_ENKUlT_T0_E_clISt17integral_constantIbLb0EES1O_IbLb1EEEEDaS1K_S1L_EUlS1K_E_NS1_11comp_targetILNS1_3genE4ELNS1_11target_archE910ELNS1_3gpuE8ELNS1_3repE0EEENS1_30default_config_static_selectorELNS0_4arch9wavefront6targetE1EEEvSY_, .Lfunc_end1112-_ZN7rocprim17ROCPRIM_400000_NS6detail17trampoline_kernelINS0_13select_configILj256ELj13ELNS0_17block_load_methodE3ELS4_3ELS4_3ELNS0_20block_scan_algorithmE0ELj4294967295EEENS1_25partition_config_selectorILNS1_17partition_subalgoE3EjNS0_10empty_typeEbEEZZNS1_14partition_implILS8_3ELb0ES6_jNS0_17counting_iteratorIjlEEPS9_SE_NS0_5tupleIJPjSE_EEENSF_IJSE_SE_EEES9_SG_JZNS1_25segmented_radix_sort_implINS0_14default_configELb1EPKdPdPKlPlN2at6native12_GLOBAL__N_18offset_tEEE10hipError_tPvRmT1_PNSt15iterator_traitsISY_E10value_typeET2_T3_PNSZ_IS14_E10value_typeET4_jRbjT5_S1A_jjP12ihipStream_tbEUljE_EEESV_SW_SX_S14_S18_S1A_T6_T7_T9_mT8_S1C_bDpT10_ENKUlT_T0_E_clISt17integral_constantIbLb0EES1O_IbLb1EEEEDaS1K_S1L_EUlS1K_E_NS1_11comp_targetILNS1_3genE4ELNS1_11target_archE910ELNS1_3gpuE8ELNS1_3repE0EEENS1_30default_config_static_selectorELNS0_4arch9wavefront6targetE1EEEvSY_
                                        ; -- End function
	.set _ZN7rocprim17ROCPRIM_400000_NS6detail17trampoline_kernelINS0_13select_configILj256ELj13ELNS0_17block_load_methodE3ELS4_3ELS4_3ELNS0_20block_scan_algorithmE0ELj4294967295EEENS1_25partition_config_selectorILNS1_17partition_subalgoE3EjNS0_10empty_typeEbEEZZNS1_14partition_implILS8_3ELb0ES6_jNS0_17counting_iteratorIjlEEPS9_SE_NS0_5tupleIJPjSE_EEENSF_IJSE_SE_EEES9_SG_JZNS1_25segmented_radix_sort_implINS0_14default_configELb1EPKdPdPKlPlN2at6native12_GLOBAL__N_18offset_tEEE10hipError_tPvRmT1_PNSt15iterator_traitsISY_E10value_typeET2_T3_PNSZ_IS14_E10value_typeET4_jRbjT5_S1A_jjP12ihipStream_tbEUljE_EEESV_SW_SX_S14_S18_S1A_T6_T7_T9_mT8_S1C_bDpT10_ENKUlT_T0_E_clISt17integral_constantIbLb0EES1O_IbLb1EEEEDaS1K_S1L_EUlS1K_E_NS1_11comp_targetILNS1_3genE4ELNS1_11target_archE910ELNS1_3gpuE8ELNS1_3repE0EEENS1_30default_config_static_selectorELNS0_4arch9wavefront6targetE1EEEvSY_.num_vgpr, 0
	.set _ZN7rocprim17ROCPRIM_400000_NS6detail17trampoline_kernelINS0_13select_configILj256ELj13ELNS0_17block_load_methodE3ELS4_3ELS4_3ELNS0_20block_scan_algorithmE0ELj4294967295EEENS1_25partition_config_selectorILNS1_17partition_subalgoE3EjNS0_10empty_typeEbEEZZNS1_14partition_implILS8_3ELb0ES6_jNS0_17counting_iteratorIjlEEPS9_SE_NS0_5tupleIJPjSE_EEENSF_IJSE_SE_EEES9_SG_JZNS1_25segmented_radix_sort_implINS0_14default_configELb1EPKdPdPKlPlN2at6native12_GLOBAL__N_18offset_tEEE10hipError_tPvRmT1_PNSt15iterator_traitsISY_E10value_typeET2_T3_PNSZ_IS14_E10value_typeET4_jRbjT5_S1A_jjP12ihipStream_tbEUljE_EEESV_SW_SX_S14_S18_S1A_T6_T7_T9_mT8_S1C_bDpT10_ENKUlT_T0_E_clISt17integral_constantIbLb0EES1O_IbLb1EEEEDaS1K_S1L_EUlS1K_E_NS1_11comp_targetILNS1_3genE4ELNS1_11target_archE910ELNS1_3gpuE8ELNS1_3repE0EEENS1_30default_config_static_selectorELNS0_4arch9wavefront6targetE1EEEvSY_.num_agpr, 0
	.set _ZN7rocprim17ROCPRIM_400000_NS6detail17trampoline_kernelINS0_13select_configILj256ELj13ELNS0_17block_load_methodE3ELS4_3ELS4_3ELNS0_20block_scan_algorithmE0ELj4294967295EEENS1_25partition_config_selectorILNS1_17partition_subalgoE3EjNS0_10empty_typeEbEEZZNS1_14partition_implILS8_3ELb0ES6_jNS0_17counting_iteratorIjlEEPS9_SE_NS0_5tupleIJPjSE_EEENSF_IJSE_SE_EEES9_SG_JZNS1_25segmented_radix_sort_implINS0_14default_configELb1EPKdPdPKlPlN2at6native12_GLOBAL__N_18offset_tEEE10hipError_tPvRmT1_PNSt15iterator_traitsISY_E10value_typeET2_T3_PNSZ_IS14_E10value_typeET4_jRbjT5_S1A_jjP12ihipStream_tbEUljE_EEESV_SW_SX_S14_S18_S1A_T6_T7_T9_mT8_S1C_bDpT10_ENKUlT_T0_E_clISt17integral_constantIbLb0EES1O_IbLb1EEEEDaS1K_S1L_EUlS1K_E_NS1_11comp_targetILNS1_3genE4ELNS1_11target_archE910ELNS1_3gpuE8ELNS1_3repE0EEENS1_30default_config_static_selectorELNS0_4arch9wavefront6targetE1EEEvSY_.numbered_sgpr, 0
	.set _ZN7rocprim17ROCPRIM_400000_NS6detail17trampoline_kernelINS0_13select_configILj256ELj13ELNS0_17block_load_methodE3ELS4_3ELS4_3ELNS0_20block_scan_algorithmE0ELj4294967295EEENS1_25partition_config_selectorILNS1_17partition_subalgoE3EjNS0_10empty_typeEbEEZZNS1_14partition_implILS8_3ELb0ES6_jNS0_17counting_iteratorIjlEEPS9_SE_NS0_5tupleIJPjSE_EEENSF_IJSE_SE_EEES9_SG_JZNS1_25segmented_radix_sort_implINS0_14default_configELb1EPKdPdPKlPlN2at6native12_GLOBAL__N_18offset_tEEE10hipError_tPvRmT1_PNSt15iterator_traitsISY_E10value_typeET2_T3_PNSZ_IS14_E10value_typeET4_jRbjT5_S1A_jjP12ihipStream_tbEUljE_EEESV_SW_SX_S14_S18_S1A_T6_T7_T9_mT8_S1C_bDpT10_ENKUlT_T0_E_clISt17integral_constantIbLb0EES1O_IbLb1EEEEDaS1K_S1L_EUlS1K_E_NS1_11comp_targetILNS1_3genE4ELNS1_11target_archE910ELNS1_3gpuE8ELNS1_3repE0EEENS1_30default_config_static_selectorELNS0_4arch9wavefront6targetE1EEEvSY_.num_named_barrier, 0
	.set _ZN7rocprim17ROCPRIM_400000_NS6detail17trampoline_kernelINS0_13select_configILj256ELj13ELNS0_17block_load_methodE3ELS4_3ELS4_3ELNS0_20block_scan_algorithmE0ELj4294967295EEENS1_25partition_config_selectorILNS1_17partition_subalgoE3EjNS0_10empty_typeEbEEZZNS1_14partition_implILS8_3ELb0ES6_jNS0_17counting_iteratorIjlEEPS9_SE_NS0_5tupleIJPjSE_EEENSF_IJSE_SE_EEES9_SG_JZNS1_25segmented_radix_sort_implINS0_14default_configELb1EPKdPdPKlPlN2at6native12_GLOBAL__N_18offset_tEEE10hipError_tPvRmT1_PNSt15iterator_traitsISY_E10value_typeET2_T3_PNSZ_IS14_E10value_typeET4_jRbjT5_S1A_jjP12ihipStream_tbEUljE_EEESV_SW_SX_S14_S18_S1A_T6_T7_T9_mT8_S1C_bDpT10_ENKUlT_T0_E_clISt17integral_constantIbLb0EES1O_IbLb1EEEEDaS1K_S1L_EUlS1K_E_NS1_11comp_targetILNS1_3genE4ELNS1_11target_archE910ELNS1_3gpuE8ELNS1_3repE0EEENS1_30default_config_static_selectorELNS0_4arch9wavefront6targetE1EEEvSY_.private_seg_size, 0
	.set _ZN7rocprim17ROCPRIM_400000_NS6detail17trampoline_kernelINS0_13select_configILj256ELj13ELNS0_17block_load_methodE3ELS4_3ELS4_3ELNS0_20block_scan_algorithmE0ELj4294967295EEENS1_25partition_config_selectorILNS1_17partition_subalgoE3EjNS0_10empty_typeEbEEZZNS1_14partition_implILS8_3ELb0ES6_jNS0_17counting_iteratorIjlEEPS9_SE_NS0_5tupleIJPjSE_EEENSF_IJSE_SE_EEES9_SG_JZNS1_25segmented_radix_sort_implINS0_14default_configELb1EPKdPdPKlPlN2at6native12_GLOBAL__N_18offset_tEEE10hipError_tPvRmT1_PNSt15iterator_traitsISY_E10value_typeET2_T3_PNSZ_IS14_E10value_typeET4_jRbjT5_S1A_jjP12ihipStream_tbEUljE_EEESV_SW_SX_S14_S18_S1A_T6_T7_T9_mT8_S1C_bDpT10_ENKUlT_T0_E_clISt17integral_constantIbLb0EES1O_IbLb1EEEEDaS1K_S1L_EUlS1K_E_NS1_11comp_targetILNS1_3genE4ELNS1_11target_archE910ELNS1_3gpuE8ELNS1_3repE0EEENS1_30default_config_static_selectorELNS0_4arch9wavefront6targetE1EEEvSY_.uses_vcc, 0
	.set _ZN7rocprim17ROCPRIM_400000_NS6detail17trampoline_kernelINS0_13select_configILj256ELj13ELNS0_17block_load_methodE3ELS4_3ELS4_3ELNS0_20block_scan_algorithmE0ELj4294967295EEENS1_25partition_config_selectorILNS1_17partition_subalgoE3EjNS0_10empty_typeEbEEZZNS1_14partition_implILS8_3ELb0ES6_jNS0_17counting_iteratorIjlEEPS9_SE_NS0_5tupleIJPjSE_EEENSF_IJSE_SE_EEES9_SG_JZNS1_25segmented_radix_sort_implINS0_14default_configELb1EPKdPdPKlPlN2at6native12_GLOBAL__N_18offset_tEEE10hipError_tPvRmT1_PNSt15iterator_traitsISY_E10value_typeET2_T3_PNSZ_IS14_E10value_typeET4_jRbjT5_S1A_jjP12ihipStream_tbEUljE_EEESV_SW_SX_S14_S18_S1A_T6_T7_T9_mT8_S1C_bDpT10_ENKUlT_T0_E_clISt17integral_constantIbLb0EES1O_IbLb1EEEEDaS1K_S1L_EUlS1K_E_NS1_11comp_targetILNS1_3genE4ELNS1_11target_archE910ELNS1_3gpuE8ELNS1_3repE0EEENS1_30default_config_static_selectorELNS0_4arch9wavefront6targetE1EEEvSY_.uses_flat_scratch, 0
	.set _ZN7rocprim17ROCPRIM_400000_NS6detail17trampoline_kernelINS0_13select_configILj256ELj13ELNS0_17block_load_methodE3ELS4_3ELS4_3ELNS0_20block_scan_algorithmE0ELj4294967295EEENS1_25partition_config_selectorILNS1_17partition_subalgoE3EjNS0_10empty_typeEbEEZZNS1_14partition_implILS8_3ELb0ES6_jNS0_17counting_iteratorIjlEEPS9_SE_NS0_5tupleIJPjSE_EEENSF_IJSE_SE_EEES9_SG_JZNS1_25segmented_radix_sort_implINS0_14default_configELb1EPKdPdPKlPlN2at6native12_GLOBAL__N_18offset_tEEE10hipError_tPvRmT1_PNSt15iterator_traitsISY_E10value_typeET2_T3_PNSZ_IS14_E10value_typeET4_jRbjT5_S1A_jjP12ihipStream_tbEUljE_EEESV_SW_SX_S14_S18_S1A_T6_T7_T9_mT8_S1C_bDpT10_ENKUlT_T0_E_clISt17integral_constantIbLb0EES1O_IbLb1EEEEDaS1K_S1L_EUlS1K_E_NS1_11comp_targetILNS1_3genE4ELNS1_11target_archE910ELNS1_3gpuE8ELNS1_3repE0EEENS1_30default_config_static_selectorELNS0_4arch9wavefront6targetE1EEEvSY_.has_dyn_sized_stack, 0
	.set _ZN7rocprim17ROCPRIM_400000_NS6detail17trampoline_kernelINS0_13select_configILj256ELj13ELNS0_17block_load_methodE3ELS4_3ELS4_3ELNS0_20block_scan_algorithmE0ELj4294967295EEENS1_25partition_config_selectorILNS1_17partition_subalgoE3EjNS0_10empty_typeEbEEZZNS1_14partition_implILS8_3ELb0ES6_jNS0_17counting_iteratorIjlEEPS9_SE_NS0_5tupleIJPjSE_EEENSF_IJSE_SE_EEES9_SG_JZNS1_25segmented_radix_sort_implINS0_14default_configELb1EPKdPdPKlPlN2at6native12_GLOBAL__N_18offset_tEEE10hipError_tPvRmT1_PNSt15iterator_traitsISY_E10value_typeET2_T3_PNSZ_IS14_E10value_typeET4_jRbjT5_S1A_jjP12ihipStream_tbEUljE_EEESV_SW_SX_S14_S18_S1A_T6_T7_T9_mT8_S1C_bDpT10_ENKUlT_T0_E_clISt17integral_constantIbLb0EES1O_IbLb1EEEEDaS1K_S1L_EUlS1K_E_NS1_11comp_targetILNS1_3genE4ELNS1_11target_archE910ELNS1_3gpuE8ELNS1_3repE0EEENS1_30default_config_static_selectorELNS0_4arch9wavefront6targetE1EEEvSY_.has_recursion, 0
	.set _ZN7rocprim17ROCPRIM_400000_NS6detail17trampoline_kernelINS0_13select_configILj256ELj13ELNS0_17block_load_methodE3ELS4_3ELS4_3ELNS0_20block_scan_algorithmE0ELj4294967295EEENS1_25partition_config_selectorILNS1_17partition_subalgoE3EjNS0_10empty_typeEbEEZZNS1_14partition_implILS8_3ELb0ES6_jNS0_17counting_iteratorIjlEEPS9_SE_NS0_5tupleIJPjSE_EEENSF_IJSE_SE_EEES9_SG_JZNS1_25segmented_radix_sort_implINS0_14default_configELb1EPKdPdPKlPlN2at6native12_GLOBAL__N_18offset_tEEE10hipError_tPvRmT1_PNSt15iterator_traitsISY_E10value_typeET2_T3_PNSZ_IS14_E10value_typeET4_jRbjT5_S1A_jjP12ihipStream_tbEUljE_EEESV_SW_SX_S14_S18_S1A_T6_T7_T9_mT8_S1C_bDpT10_ENKUlT_T0_E_clISt17integral_constantIbLb0EES1O_IbLb1EEEEDaS1K_S1L_EUlS1K_E_NS1_11comp_targetILNS1_3genE4ELNS1_11target_archE910ELNS1_3gpuE8ELNS1_3repE0EEENS1_30default_config_static_selectorELNS0_4arch9wavefront6targetE1EEEvSY_.has_indirect_call, 0
	.section	.AMDGPU.csdata,"",@progbits
; Kernel info:
; codeLenInByte = 0
; TotalNumSgprs: 4
; NumVgprs: 0
; ScratchSize: 0
; MemoryBound: 0
; FloatMode: 240
; IeeeMode: 1
; LDSByteSize: 0 bytes/workgroup (compile time only)
; SGPRBlocks: 0
; VGPRBlocks: 0
; NumSGPRsForWavesPerEU: 4
; NumVGPRsForWavesPerEU: 1
; Occupancy: 10
; WaveLimiterHint : 0
; COMPUTE_PGM_RSRC2:SCRATCH_EN: 0
; COMPUTE_PGM_RSRC2:USER_SGPR: 6
; COMPUTE_PGM_RSRC2:TRAP_HANDLER: 0
; COMPUTE_PGM_RSRC2:TGID_X_EN: 1
; COMPUTE_PGM_RSRC2:TGID_Y_EN: 0
; COMPUTE_PGM_RSRC2:TGID_Z_EN: 0
; COMPUTE_PGM_RSRC2:TIDIG_COMP_CNT: 0
	.section	.text._ZN7rocprim17ROCPRIM_400000_NS6detail17trampoline_kernelINS0_13select_configILj256ELj13ELNS0_17block_load_methodE3ELS4_3ELS4_3ELNS0_20block_scan_algorithmE0ELj4294967295EEENS1_25partition_config_selectorILNS1_17partition_subalgoE3EjNS0_10empty_typeEbEEZZNS1_14partition_implILS8_3ELb0ES6_jNS0_17counting_iteratorIjlEEPS9_SE_NS0_5tupleIJPjSE_EEENSF_IJSE_SE_EEES9_SG_JZNS1_25segmented_radix_sort_implINS0_14default_configELb1EPKdPdPKlPlN2at6native12_GLOBAL__N_18offset_tEEE10hipError_tPvRmT1_PNSt15iterator_traitsISY_E10value_typeET2_T3_PNSZ_IS14_E10value_typeET4_jRbjT5_S1A_jjP12ihipStream_tbEUljE_EEESV_SW_SX_S14_S18_S1A_T6_T7_T9_mT8_S1C_bDpT10_ENKUlT_T0_E_clISt17integral_constantIbLb0EES1O_IbLb1EEEEDaS1K_S1L_EUlS1K_E_NS1_11comp_targetILNS1_3genE3ELNS1_11target_archE908ELNS1_3gpuE7ELNS1_3repE0EEENS1_30default_config_static_selectorELNS0_4arch9wavefront6targetE1EEEvSY_,"axG",@progbits,_ZN7rocprim17ROCPRIM_400000_NS6detail17trampoline_kernelINS0_13select_configILj256ELj13ELNS0_17block_load_methodE3ELS4_3ELS4_3ELNS0_20block_scan_algorithmE0ELj4294967295EEENS1_25partition_config_selectorILNS1_17partition_subalgoE3EjNS0_10empty_typeEbEEZZNS1_14partition_implILS8_3ELb0ES6_jNS0_17counting_iteratorIjlEEPS9_SE_NS0_5tupleIJPjSE_EEENSF_IJSE_SE_EEES9_SG_JZNS1_25segmented_radix_sort_implINS0_14default_configELb1EPKdPdPKlPlN2at6native12_GLOBAL__N_18offset_tEEE10hipError_tPvRmT1_PNSt15iterator_traitsISY_E10value_typeET2_T3_PNSZ_IS14_E10value_typeET4_jRbjT5_S1A_jjP12ihipStream_tbEUljE_EEESV_SW_SX_S14_S18_S1A_T6_T7_T9_mT8_S1C_bDpT10_ENKUlT_T0_E_clISt17integral_constantIbLb0EES1O_IbLb1EEEEDaS1K_S1L_EUlS1K_E_NS1_11comp_targetILNS1_3genE3ELNS1_11target_archE908ELNS1_3gpuE7ELNS1_3repE0EEENS1_30default_config_static_selectorELNS0_4arch9wavefront6targetE1EEEvSY_,comdat
	.globl	_ZN7rocprim17ROCPRIM_400000_NS6detail17trampoline_kernelINS0_13select_configILj256ELj13ELNS0_17block_load_methodE3ELS4_3ELS4_3ELNS0_20block_scan_algorithmE0ELj4294967295EEENS1_25partition_config_selectorILNS1_17partition_subalgoE3EjNS0_10empty_typeEbEEZZNS1_14partition_implILS8_3ELb0ES6_jNS0_17counting_iteratorIjlEEPS9_SE_NS0_5tupleIJPjSE_EEENSF_IJSE_SE_EEES9_SG_JZNS1_25segmented_radix_sort_implINS0_14default_configELb1EPKdPdPKlPlN2at6native12_GLOBAL__N_18offset_tEEE10hipError_tPvRmT1_PNSt15iterator_traitsISY_E10value_typeET2_T3_PNSZ_IS14_E10value_typeET4_jRbjT5_S1A_jjP12ihipStream_tbEUljE_EEESV_SW_SX_S14_S18_S1A_T6_T7_T9_mT8_S1C_bDpT10_ENKUlT_T0_E_clISt17integral_constantIbLb0EES1O_IbLb1EEEEDaS1K_S1L_EUlS1K_E_NS1_11comp_targetILNS1_3genE3ELNS1_11target_archE908ELNS1_3gpuE7ELNS1_3repE0EEENS1_30default_config_static_selectorELNS0_4arch9wavefront6targetE1EEEvSY_ ; -- Begin function _ZN7rocprim17ROCPRIM_400000_NS6detail17trampoline_kernelINS0_13select_configILj256ELj13ELNS0_17block_load_methodE3ELS4_3ELS4_3ELNS0_20block_scan_algorithmE0ELj4294967295EEENS1_25partition_config_selectorILNS1_17partition_subalgoE3EjNS0_10empty_typeEbEEZZNS1_14partition_implILS8_3ELb0ES6_jNS0_17counting_iteratorIjlEEPS9_SE_NS0_5tupleIJPjSE_EEENSF_IJSE_SE_EEES9_SG_JZNS1_25segmented_radix_sort_implINS0_14default_configELb1EPKdPdPKlPlN2at6native12_GLOBAL__N_18offset_tEEE10hipError_tPvRmT1_PNSt15iterator_traitsISY_E10value_typeET2_T3_PNSZ_IS14_E10value_typeET4_jRbjT5_S1A_jjP12ihipStream_tbEUljE_EEESV_SW_SX_S14_S18_S1A_T6_T7_T9_mT8_S1C_bDpT10_ENKUlT_T0_E_clISt17integral_constantIbLb0EES1O_IbLb1EEEEDaS1K_S1L_EUlS1K_E_NS1_11comp_targetILNS1_3genE3ELNS1_11target_archE908ELNS1_3gpuE7ELNS1_3repE0EEENS1_30default_config_static_selectorELNS0_4arch9wavefront6targetE1EEEvSY_
	.p2align	8
	.type	_ZN7rocprim17ROCPRIM_400000_NS6detail17trampoline_kernelINS0_13select_configILj256ELj13ELNS0_17block_load_methodE3ELS4_3ELS4_3ELNS0_20block_scan_algorithmE0ELj4294967295EEENS1_25partition_config_selectorILNS1_17partition_subalgoE3EjNS0_10empty_typeEbEEZZNS1_14partition_implILS8_3ELb0ES6_jNS0_17counting_iteratorIjlEEPS9_SE_NS0_5tupleIJPjSE_EEENSF_IJSE_SE_EEES9_SG_JZNS1_25segmented_radix_sort_implINS0_14default_configELb1EPKdPdPKlPlN2at6native12_GLOBAL__N_18offset_tEEE10hipError_tPvRmT1_PNSt15iterator_traitsISY_E10value_typeET2_T3_PNSZ_IS14_E10value_typeET4_jRbjT5_S1A_jjP12ihipStream_tbEUljE_EEESV_SW_SX_S14_S18_S1A_T6_T7_T9_mT8_S1C_bDpT10_ENKUlT_T0_E_clISt17integral_constantIbLb0EES1O_IbLb1EEEEDaS1K_S1L_EUlS1K_E_NS1_11comp_targetILNS1_3genE3ELNS1_11target_archE908ELNS1_3gpuE7ELNS1_3repE0EEENS1_30default_config_static_selectorELNS0_4arch9wavefront6targetE1EEEvSY_,@function
_ZN7rocprim17ROCPRIM_400000_NS6detail17trampoline_kernelINS0_13select_configILj256ELj13ELNS0_17block_load_methodE3ELS4_3ELS4_3ELNS0_20block_scan_algorithmE0ELj4294967295EEENS1_25partition_config_selectorILNS1_17partition_subalgoE3EjNS0_10empty_typeEbEEZZNS1_14partition_implILS8_3ELb0ES6_jNS0_17counting_iteratorIjlEEPS9_SE_NS0_5tupleIJPjSE_EEENSF_IJSE_SE_EEES9_SG_JZNS1_25segmented_radix_sort_implINS0_14default_configELb1EPKdPdPKlPlN2at6native12_GLOBAL__N_18offset_tEEE10hipError_tPvRmT1_PNSt15iterator_traitsISY_E10value_typeET2_T3_PNSZ_IS14_E10value_typeET4_jRbjT5_S1A_jjP12ihipStream_tbEUljE_EEESV_SW_SX_S14_S18_S1A_T6_T7_T9_mT8_S1C_bDpT10_ENKUlT_T0_E_clISt17integral_constantIbLb0EES1O_IbLb1EEEEDaS1K_S1L_EUlS1K_E_NS1_11comp_targetILNS1_3genE3ELNS1_11target_archE908ELNS1_3gpuE7ELNS1_3repE0EEENS1_30default_config_static_selectorELNS0_4arch9wavefront6targetE1EEEvSY_: ; @_ZN7rocprim17ROCPRIM_400000_NS6detail17trampoline_kernelINS0_13select_configILj256ELj13ELNS0_17block_load_methodE3ELS4_3ELS4_3ELNS0_20block_scan_algorithmE0ELj4294967295EEENS1_25partition_config_selectorILNS1_17partition_subalgoE3EjNS0_10empty_typeEbEEZZNS1_14partition_implILS8_3ELb0ES6_jNS0_17counting_iteratorIjlEEPS9_SE_NS0_5tupleIJPjSE_EEENSF_IJSE_SE_EEES9_SG_JZNS1_25segmented_radix_sort_implINS0_14default_configELb1EPKdPdPKlPlN2at6native12_GLOBAL__N_18offset_tEEE10hipError_tPvRmT1_PNSt15iterator_traitsISY_E10value_typeET2_T3_PNSZ_IS14_E10value_typeET4_jRbjT5_S1A_jjP12ihipStream_tbEUljE_EEESV_SW_SX_S14_S18_S1A_T6_T7_T9_mT8_S1C_bDpT10_ENKUlT_T0_E_clISt17integral_constantIbLb0EES1O_IbLb1EEEEDaS1K_S1L_EUlS1K_E_NS1_11comp_targetILNS1_3genE3ELNS1_11target_archE908ELNS1_3gpuE7ELNS1_3repE0EEENS1_30default_config_static_selectorELNS0_4arch9wavefront6targetE1EEEvSY_
; %bb.0:
	.section	.rodata,"a",@progbits
	.p2align	6, 0x0
	.amdhsa_kernel _ZN7rocprim17ROCPRIM_400000_NS6detail17trampoline_kernelINS0_13select_configILj256ELj13ELNS0_17block_load_methodE3ELS4_3ELS4_3ELNS0_20block_scan_algorithmE0ELj4294967295EEENS1_25partition_config_selectorILNS1_17partition_subalgoE3EjNS0_10empty_typeEbEEZZNS1_14partition_implILS8_3ELb0ES6_jNS0_17counting_iteratorIjlEEPS9_SE_NS0_5tupleIJPjSE_EEENSF_IJSE_SE_EEES9_SG_JZNS1_25segmented_radix_sort_implINS0_14default_configELb1EPKdPdPKlPlN2at6native12_GLOBAL__N_18offset_tEEE10hipError_tPvRmT1_PNSt15iterator_traitsISY_E10value_typeET2_T3_PNSZ_IS14_E10value_typeET4_jRbjT5_S1A_jjP12ihipStream_tbEUljE_EEESV_SW_SX_S14_S18_S1A_T6_T7_T9_mT8_S1C_bDpT10_ENKUlT_T0_E_clISt17integral_constantIbLb0EES1O_IbLb1EEEEDaS1K_S1L_EUlS1K_E_NS1_11comp_targetILNS1_3genE3ELNS1_11target_archE908ELNS1_3gpuE7ELNS1_3repE0EEENS1_30default_config_static_selectorELNS0_4arch9wavefront6targetE1EEEvSY_
		.amdhsa_group_segment_fixed_size 0
		.amdhsa_private_segment_fixed_size 0
		.amdhsa_kernarg_size 152
		.amdhsa_user_sgpr_count 6
		.amdhsa_user_sgpr_private_segment_buffer 1
		.amdhsa_user_sgpr_dispatch_ptr 0
		.amdhsa_user_sgpr_queue_ptr 0
		.amdhsa_user_sgpr_kernarg_segment_ptr 1
		.amdhsa_user_sgpr_dispatch_id 0
		.amdhsa_user_sgpr_flat_scratch_init 0
		.amdhsa_user_sgpr_private_segment_size 0
		.amdhsa_uses_dynamic_stack 0
		.amdhsa_system_sgpr_private_segment_wavefront_offset 0
		.amdhsa_system_sgpr_workgroup_id_x 1
		.amdhsa_system_sgpr_workgroup_id_y 0
		.amdhsa_system_sgpr_workgroup_id_z 0
		.amdhsa_system_sgpr_workgroup_info 0
		.amdhsa_system_vgpr_workitem_id 0
		.amdhsa_next_free_vgpr 1
		.amdhsa_next_free_sgpr 0
		.amdhsa_reserve_vcc 0
		.amdhsa_reserve_flat_scratch 0
		.amdhsa_float_round_mode_32 0
		.amdhsa_float_round_mode_16_64 0
		.amdhsa_float_denorm_mode_32 3
		.amdhsa_float_denorm_mode_16_64 3
		.amdhsa_dx10_clamp 1
		.amdhsa_ieee_mode 1
		.amdhsa_fp16_overflow 0
		.amdhsa_exception_fp_ieee_invalid_op 0
		.amdhsa_exception_fp_denorm_src 0
		.amdhsa_exception_fp_ieee_div_zero 0
		.amdhsa_exception_fp_ieee_overflow 0
		.amdhsa_exception_fp_ieee_underflow 0
		.amdhsa_exception_fp_ieee_inexact 0
		.amdhsa_exception_int_div_zero 0
	.end_amdhsa_kernel
	.section	.text._ZN7rocprim17ROCPRIM_400000_NS6detail17trampoline_kernelINS0_13select_configILj256ELj13ELNS0_17block_load_methodE3ELS4_3ELS4_3ELNS0_20block_scan_algorithmE0ELj4294967295EEENS1_25partition_config_selectorILNS1_17partition_subalgoE3EjNS0_10empty_typeEbEEZZNS1_14partition_implILS8_3ELb0ES6_jNS0_17counting_iteratorIjlEEPS9_SE_NS0_5tupleIJPjSE_EEENSF_IJSE_SE_EEES9_SG_JZNS1_25segmented_radix_sort_implINS0_14default_configELb1EPKdPdPKlPlN2at6native12_GLOBAL__N_18offset_tEEE10hipError_tPvRmT1_PNSt15iterator_traitsISY_E10value_typeET2_T3_PNSZ_IS14_E10value_typeET4_jRbjT5_S1A_jjP12ihipStream_tbEUljE_EEESV_SW_SX_S14_S18_S1A_T6_T7_T9_mT8_S1C_bDpT10_ENKUlT_T0_E_clISt17integral_constantIbLb0EES1O_IbLb1EEEEDaS1K_S1L_EUlS1K_E_NS1_11comp_targetILNS1_3genE3ELNS1_11target_archE908ELNS1_3gpuE7ELNS1_3repE0EEENS1_30default_config_static_selectorELNS0_4arch9wavefront6targetE1EEEvSY_,"axG",@progbits,_ZN7rocprim17ROCPRIM_400000_NS6detail17trampoline_kernelINS0_13select_configILj256ELj13ELNS0_17block_load_methodE3ELS4_3ELS4_3ELNS0_20block_scan_algorithmE0ELj4294967295EEENS1_25partition_config_selectorILNS1_17partition_subalgoE3EjNS0_10empty_typeEbEEZZNS1_14partition_implILS8_3ELb0ES6_jNS0_17counting_iteratorIjlEEPS9_SE_NS0_5tupleIJPjSE_EEENSF_IJSE_SE_EEES9_SG_JZNS1_25segmented_radix_sort_implINS0_14default_configELb1EPKdPdPKlPlN2at6native12_GLOBAL__N_18offset_tEEE10hipError_tPvRmT1_PNSt15iterator_traitsISY_E10value_typeET2_T3_PNSZ_IS14_E10value_typeET4_jRbjT5_S1A_jjP12ihipStream_tbEUljE_EEESV_SW_SX_S14_S18_S1A_T6_T7_T9_mT8_S1C_bDpT10_ENKUlT_T0_E_clISt17integral_constantIbLb0EES1O_IbLb1EEEEDaS1K_S1L_EUlS1K_E_NS1_11comp_targetILNS1_3genE3ELNS1_11target_archE908ELNS1_3gpuE7ELNS1_3repE0EEENS1_30default_config_static_selectorELNS0_4arch9wavefront6targetE1EEEvSY_,comdat
.Lfunc_end1113:
	.size	_ZN7rocprim17ROCPRIM_400000_NS6detail17trampoline_kernelINS0_13select_configILj256ELj13ELNS0_17block_load_methodE3ELS4_3ELS4_3ELNS0_20block_scan_algorithmE0ELj4294967295EEENS1_25partition_config_selectorILNS1_17partition_subalgoE3EjNS0_10empty_typeEbEEZZNS1_14partition_implILS8_3ELb0ES6_jNS0_17counting_iteratorIjlEEPS9_SE_NS0_5tupleIJPjSE_EEENSF_IJSE_SE_EEES9_SG_JZNS1_25segmented_radix_sort_implINS0_14default_configELb1EPKdPdPKlPlN2at6native12_GLOBAL__N_18offset_tEEE10hipError_tPvRmT1_PNSt15iterator_traitsISY_E10value_typeET2_T3_PNSZ_IS14_E10value_typeET4_jRbjT5_S1A_jjP12ihipStream_tbEUljE_EEESV_SW_SX_S14_S18_S1A_T6_T7_T9_mT8_S1C_bDpT10_ENKUlT_T0_E_clISt17integral_constantIbLb0EES1O_IbLb1EEEEDaS1K_S1L_EUlS1K_E_NS1_11comp_targetILNS1_3genE3ELNS1_11target_archE908ELNS1_3gpuE7ELNS1_3repE0EEENS1_30default_config_static_selectorELNS0_4arch9wavefront6targetE1EEEvSY_, .Lfunc_end1113-_ZN7rocprim17ROCPRIM_400000_NS6detail17trampoline_kernelINS0_13select_configILj256ELj13ELNS0_17block_load_methodE3ELS4_3ELS4_3ELNS0_20block_scan_algorithmE0ELj4294967295EEENS1_25partition_config_selectorILNS1_17partition_subalgoE3EjNS0_10empty_typeEbEEZZNS1_14partition_implILS8_3ELb0ES6_jNS0_17counting_iteratorIjlEEPS9_SE_NS0_5tupleIJPjSE_EEENSF_IJSE_SE_EEES9_SG_JZNS1_25segmented_radix_sort_implINS0_14default_configELb1EPKdPdPKlPlN2at6native12_GLOBAL__N_18offset_tEEE10hipError_tPvRmT1_PNSt15iterator_traitsISY_E10value_typeET2_T3_PNSZ_IS14_E10value_typeET4_jRbjT5_S1A_jjP12ihipStream_tbEUljE_EEESV_SW_SX_S14_S18_S1A_T6_T7_T9_mT8_S1C_bDpT10_ENKUlT_T0_E_clISt17integral_constantIbLb0EES1O_IbLb1EEEEDaS1K_S1L_EUlS1K_E_NS1_11comp_targetILNS1_3genE3ELNS1_11target_archE908ELNS1_3gpuE7ELNS1_3repE0EEENS1_30default_config_static_selectorELNS0_4arch9wavefront6targetE1EEEvSY_
                                        ; -- End function
	.set _ZN7rocprim17ROCPRIM_400000_NS6detail17trampoline_kernelINS0_13select_configILj256ELj13ELNS0_17block_load_methodE3ELS4_3ELS4_3ELNS0_20block_scan_algorithmE0ELj4294967295EEENS1_25partition_config_selectorILNS1_17partition_subalgoE3EjNS0_10empty_typeEbEEZZNS1_14partition_implILS8_3ELb0ES6_jNS0_17counting_iteratorIjlEEPS9_SE_NS0_5tupleIJPjSE_EEENSF_IJSE_SE_EEES9_SG_JZNS1_25segmented_radix_sort_implINS0_14default_configELb1EPKdPdPKlPlN2at6native12_GLOBAL__N_18offset_tEEE10hipError_tPvRmT1_PNSt15iterator_traitsISY_E10value_typeET2_T3_PNSZ_IS14_E10value_typeET4_jRbjT5_S1A_jjP12ihipStream_tbEUljE_EEESV_SW_SX_S14_S18_S1A_T6_T7_T9_mT8_S1C_bDpT10_ENKUlT_T0_E_clISt17integral_constantIbLb0EES1O_IbLb1EEEEDaS1K_S1L_EUlS1K_E_NS1_11comp_targetILNS1_3genE3ELNS1_11target_archE908ELNS1_3gpuE7ELNS1_3repE0EEENS1_30default_config_static_selectorELNS0_4arch9wavefront6targetE1EEEvSY_.num_vgpr, 0
	.set _ZN7rocprim17ROCPRIM_400000_NS6detail17trampoline_kernelINS0_13select_configILj256ELj13ELNS0_17block_load_methodE3ELS4_3ELS4_3ELNS0_20block_scan_algorithmE0ELj4294967295EEENS1_25partition_config_selectorILNS1_17partition_subalgoE3EjNS0_10empty_typeEbEEZZNS1_14partition_implILS8_3ELb0ES6_jNS0_17counting_iteratorIjlEEPS9_SE_NS0_5tupleIJPjSE_EEENSF_IJSE_SE_EEES9_SG_JZNS1_25segmented_radix_sort_implINS0_14default_configELb1EPKdPdPKlPlN2at6native12_GLOBAL__N_18offset_tEEE10hipError_tPvRmT1_PNSt15iterator_traitsISY_E10value_typeET2_T3_PNSZ_IS14_E10value_typeET4_jRbjT5_S1A_jjP12ihipStream_tbEUljE_EEESV_SW_SX_S14_S18_S1A_T6_T7_T9_mT8_S1C_bDpT10_ENKUlT_T0_E_clISt17integral_constantIbLb0EES1O_IbLb1EEEEDaS1K_S1L_EUlS1K_E_NS1_11comp_targetILNS1_3genE3ELNS1_11target_archE908ELNS1_3gpuE7ELNS1_3repE0EEENS1_30default_config_static_selectorELNS0_4arch9wavefront6targetE1EEEvSY_.num_agpr, 0
	.set _ZN7rocprim17ROCPRIM_400000_NS6detail17trampoline_kernelINS0_13select_configILj256ELj13ELNS0_17block_load_methodE3ELS4_3ELS4_3ELNS0_20block_scan_algorithmE0ELj4294967295EEENS1_25partition_config_selectorILNS1_17partition_subalgoE3EjNS0_10empty_typeEbEEZZNS1_14partition_implILS8_3ELb0ES6_jNS0_17counting_iteratorIjlEEPS9_SE_NS0_5tupleIJPjSE_EEENSF_IJSE_SE_EEES9_SG_JZNS1_25segmented_radix_sort_implINS0_14default_configELb1EPKdPdPKlPlN2at6native12_GLOBAL__N_18offset_tEEE10hipError_tPvRmT1_PNSt15iterator_traitsISY_E10value_typeET2_T3_PNSZ_IS14_E10value_typeET4_jRbjT5_S1A_jjP12ihipStream_tbEUljE_EEESV_SW_SX_S14_S18_S1A_T6_T7_T9_mT8_S1C_bDpT10_ENKUlT_T0_E_clISt17integral_constantIbLb0EES1O_IbLb1EEEEDaS1K_S1L_EUlS1K_E_NS1_11comp_targetILNS1_3genE3ELNS1_11target_archE908ELNS1_3gpuE7ELNS1_3repE0EEENS1_30default_config_static_selectorELNS0_4arch9wavefront6targetE1EEEvSY_.numbered_sgpr, 0
	.set _ZN7rocprim17ROCPRIM_400000_NS6detail17trampoline_kernelINS0_13select_configILj256ELj13ELNS0_17block_load_methodE3ELS4_3ELS4_3ELNS0_20block_scan_algorithmE0ELj4294967295EEENS1_25partition_config_selectorILNS1_17partition_subalgoE3EjNS0_10empty_typeEbEEZZNS1_14partition_implILS8_3ELb0ES6_jNS0_17counting_iteratorIjlEEPS9_SE_NS0_5tupleIJPjSE_EEENSF_IJSE_SE_EEES9_SG_JZNS1_25segmented_radix_sort_implINS0_14default_configELb1EPKdPdPKlPlN2at6native12_GLOBAL__N_18offset_tEEE10hipError_tPvRmT1_PNSt15iterator_traitsISY_E10value_typeET2_T3_PNSZ_IS14_E10value_typeET4_jRbjT5_S1A_jjP12ihipStream_tbEUljE_EEESV_SW_SX_S14_S18_S1A_T6_T7_T9_mT8_S1C_bDpT10_ENKUlT_T0_E_clISt17integral_constantIbLb0EES1O_IbLb1EEEEDaS1K_S1L_EUlS1K_E_NS1_11comp_targetILNS1_3genE3ELNS1_11target_archE908ELNS1_3gpuE7ELNS1_3repE0EEENS1_30default_config_static_selectorELNS0_4arch9wavefront6targetE1EEEvSY_.num_named_barrier, 0
	.set _ZN7rocprim17ROCPRIM_400000_NS6detail17trampoline_kernelINS0_13select_configILj256ELj13ELNS0_17block_load_methodE3ELS4_3ELS4_3ELNS0_20block_scan_algorithmE0ELj4294967295EEENS1_25partition_config_selectorILNS1_17partition_subalgoE3EjNS0_10empty_typeEbEEZZNS1_14partition_implILS8_3ELb0ES6_jNS0_17counting_iteratorIjlEEPS9_SE_NS0_5tupleIJPjSE_EEENSF_IJSE_SE_EEES9_SG_JZNS1_25segmented_radix_sort_implINS0_14default_configELb1EPKdPdPKlPlN2at6native12_GLOBAL__N_18offset_tEEE10hipError_tPvRmT1_PNSt15iterator_traitsISY_E10value_typeET2_T3_PNSZ_IS14_E10value_typeET4_jRbjT5_S1A_jjP12ihipStream_tbEUljE_EEESV_SW_SX_S14_S18_S1A_T6_T7_T9_mT8_S1C_bDpT10_ENKUlT_T0_E_clISt17integral_constantIbLb0EES1O_IbLb1EEEEDaS1K_S1L_EUlS1K_E_NS1_11comp_targetILNS1_3genE3ELNS1_11target_archE908ELNS1_3gpuE7ELNS1_3repE0EEENS1_30default_config_static_selectorELNS0_4arch9wavefront6targetE1EEEvSY_.private_seg_size, 0
	.set _ZN7rocprim17ROCPRIM_400000_NS6detail17trampoline_kernelINS0_13select_configILj256ELj13ELNS0_17block_load_methodE3ELS4_3ELS4_3ELNS0_20block_scan_algorithmE0ELj4294967295EEENS1_25partition_config_selectorILNS1_17partition_subalgoE3EjNS0_10empty_typeEbEEZZNS1_14partition_implILS8_3ELb0ES6_jNS0_17counting_iteratorIjlEEPS9_SE_NS0_5tupleIJPjSE_EEENSF_IJSE_SE_EEES9_SG_JZNS1_25segmented_radix_sort_implINS0_14default_configELb1EPKdPdPKlPlN2at6native12_GLOBAL__N_18offset_tEEE10hipError_tPvRmT1_PNSt15iterator_traitsISY_E10value_typeET2_T3_PNSZ_IS14_E10value_typeET4_jRbjT5_S1A_jjP12ihipStream_tbEUljE_EEESV_SW_SX_S14_S18_S1A_T6_T7_T9_mT8_S1C_bDpT10_ENKUlT_T0_E_clISt17integral_constantIbLb0EES1O_IbLb1EEEEDaS1K_S1L_EUlS1K_E_NS1_11comp_targetILNS1_3genE3ELNS1_11target_archE908ELNS1_3gpuE7ELNS1_3repE0EEENS1_30default_config_static_selectorELNS0_4arch9wavefront6targetE1EEEvSY_.uses_vcc, 0
	.set _ZN7rocprim17ROCPRIM_400000_NS6detail17trampoline_kernelINS0_13select_configILj256ELj13ELNS0_17block_load_methodE3ELS4_3ELS4_3ELNS0_20block_scan_algorithmE0ELj4294967295EEENS1_25partition_config_selectorILNS1_17partition_subalgoE3EjNS0_10empty_typeEbEEZZNS1_14partition_implILS8_3ELb0ES6_jNS0_17counting_iteratorIjlEEPS9_SE_NS0_5tupleIJPjSE_EEENSF_IJSE_SE_EEES9_SG_JZNS1_25segmented_radix_sort_implINS0_14default_configELb1EPKdPdPKlPlN2at6native12_GLOBAL__N_18offset_tEEE10hipError_tPvRmT1_PNSt15iterator_traitsISY_E10value_typeET2_T3_PNSZ_IS14_E10value_typeET4_jRbjT5_S1A_jjP12ihipStream_tbEUljE_EEESV_SW_SX_S14_S18_S1A_T6_T7_T9_mT8_S1C_bDpT10_ENKUlT_T0_E_clISt17integral_constantIbLb0EES1O_IbLb1EEEEDaS1K_S1L_EUlS1K_E_NS1_11comp_targetILNS1_3genE3ELNS1_11target_archE908ELNS1_3gpuE7ELNS1_3repE0EEENS1_30default_config_static_selectorELNS0_4arch9wavefront6targetE1EEEvSY_.uses_flat_scratch, 0
	.set _ZN7rocprim17ROCPRIM_400000_NS6detail17trampoline_kernelINS0_13select_configILj256ELj13ELNS0_17block_load_methodE3ELS4_3ELS4_3ELNS0_20block_scan_algorithmE0ELj4294967295EEENS1_25partition_config_selectorILNS1_17partition_subalgoE3EjNS0_10empty_typeEbEEZZNS1_14partition_implILS8_3ELb0ES6_jNS0_17counting_iteratorIjlEEPS9_SE_NS0_5tupleIJPjSE_EEENSF_IJSE_SE_EEES9_SG_JZNS1_25segmented_radix_sort_implINS0_14default_configELb1EPKdPdPKlPlN2at6native12_GLOBAL__N_18offset_tEEE10hipError_tPvRmT1_PNSt15iterator_traitsISY_E10value_typeET2_T3_PNSZ_IS14_E10value_typeET4_jRbjT5_S1A_jjP12ihipStream_tbEUljE_EEESV_SW_SX_S14_S18_S1A_T6_T7_T9_mT8_S1C_bDpT10_ENKUlT_T0_E_clISt17integral_constantIbLb0EES1O_IbLb1EEEEDaS1K_S1L_EUlS1K_E_NS1_11comp_targetILNS1_3genE3ELNS1_11target_archE908ELNS1_3gpuE7ELNS1_3repE0EEENS1_30default_config_static_selectorELNS0_4arch9wavefront6targetE1EEEvSY_.has_dyn_sized_stack, 0
	.set _ZN7rocprim17ROCPRIM_400000_NS6detail17trampoline_kernelINS0_13select_configILj256ELj13ELNS0_17block_load_methodE3ELS4_3ELS4_3ELNS0_20block_scan_algorithmE0ELj4294967295EEENS1_25partition_config_selectorILNS1_17partition_subalgoE3EjNS0_10empty_typeEbEEZZNS1_14partition_implILS8_3ELb0ES6_jNS0_17counting_iteratorIjlEEPS9_SE_NS0_5tupleIJPjSE_EEENSF_IJSE_SE_EEES9_SG_JZNS1_25segmented_radix_sort_implINS0_14default_configELb1EPKdPdPKlPlN2at6native12_GLOBAL__N_18offset_tEEE10hipError_tPvRmT1_PNSt15iterator_traitsISY_E10value_typeET2_T3_PNSZ_IS14_E10value_typeET4_jRbjT5_S1A_jjP12ihipStream_tbEUljE_EEESV_SW_SX_S14_S18_S1A_T6_T7_T9_mT8_S1C_bDpT10_ENKUlT_T0_E_clISt17integral_constantIbLb0EES1O_IbLb1EEEEDaS1K_S1L_EUlS1K_E_NS1_11comp_targetILNS1_3genE3ELNS1_11target_archE908ELNS1_3gpuE7ELNS1_3repE0EEENS1_30default_config_static_selectorELNS0_4arch9wavefront6targetE1EEEvSY_.has_recursion, 0
	.set _ZN7rocprim17ROCPRIM_400000_NS6detail17trampoline_kernelINS0_13select_configILj256ELj13ELNS0_17block_load_methodE3ELS4_3ELS4_3ELNS0_20block_scan_algorithmE0ELj4294967295EEENS1_25partition_config_selectorILNS1_17partition_subalgoE3EjNS0_10empty_typeEbEEZZNS1_14partition_implILS8_3ELb0ES6_jNS0_17counting_iteratorIjlEEPS9_SE_NS0_5tupleIJPjSE_EEENSF_IJSE_SE_EEES9_SG_JZNS1_25segmented_radix_sort_implINS0_14default_configELb1EPKdPdPKlPlN2at6native12_GLOBAL__N_18offset_tEEE10hipError_tPvRmT1_PNSt15iterator_traitsISY_E10value_typeET2_T3_PNSZ_IS14_E10value_typeET4_jRbjT5_S1A_jjP12ihipStream_tbEUljE_EEESV_SW_SX_S14_S18_S1A_T6_T7_T9_mT8_S1C_bDpT10_ENKUlT_T0_E_clISt17integral_constantIbLb0EES1O_IbLb1EEEEDaS1K_S1L_EUlS1K_E_NS1_11comp_targetILNS1_3genE3ELNS1_11target_archE908ELNS1_3gpuE7ELNS1_3repE0EEENS1_30default_config_static_selectorELNS0_4arch9wavefront6targetE1EEEvSY_.has_indirect_call, 0
	.section	.AMDGPU.csdata,"",@progbits
; Kernel info:
; codeLenInByte = 0
; TotalNumSgprs: 4
; NumVgprs: 0
; ScratchSize: 0
; MemoryBound: 0
; FloatMode: 240
; IeeeMode: 1
; LDSByteSize: 0 bytes/workgroup (compile time only)
; SGPRBlocks: 0
; VGPRBlocks: 0
; NumSGPRsForWavesPerEU: 4
; NumVGPRsForWavesPerEU: 1
; Occupancy: 10
; WaveLimiterHint : 0
; COMPUTE_PGM_RSRC2:SCRATCH_EN: 0
; COMPUTE_PGM_RSRC2:USER_SGPR: 6
; COMPUTE_PGM_RSRC2:TRAP_HANDLER: 0
; COMPUTE_PGM_RSRC2:TGID_X_EN: 1
; COMPUTE_PGM_RSRC2:TGID_Y_EN: 0
; COMPUTE_PGM_RSRC2:TGID_Z_EN: 0
; COMPUTE_PGM_RSRC2:TIDIG_COMP_CNT: 0
	.section	.text._ZN7rocprim17ROCPRIM_400000_NS6detail17trampoline_kernelINS0_13select_configILj256ELj13ELNS0_17block_load_methodE3ELS4_3ELS4_3ELNS0_20block_scan_algorithmE0ELj4294967295EEENS1_25partition_config_selectorILNS1_17partition_subalgoE3EjNS0_10empty_typeEbEEZZNS1_14partition_implILS8_3ELb0ES6_jNS0_17counting_iteratorIjlEEPS9_SE_NS0_5tupleIJPjSE_EEENSF_IJSE_SE_EEES9_SG_JZNS1_25segmented_radix_sort_implINS0_14default_configELb1EPKdPdPKlPlN2at6native12_GLOBAL__N_18offset_tEEE10hipError_tPvRmT1_PNSt15iterator_traitsISY_E10value_typeET2_T3_PNSZ_IS14_E10value_typeET4_jRbjT5_S1A_jjP12ihipStream_tbEUljE_EEESV_SW_SX_S14_S18_S1A_T6_T7_T9_mT8_S1C_bDpT10_ENKUlT_T0_E_clISt17integral_constantIbLb0EES1O_IbLb1EEEEDaS1K_S1L_EUlS1K_E_NS1_11comp_targetILNS1_3genE2ELNS1_11target_archE906ELNS1_3gpuE6ELNS1_3repE0EEENS1_30default_config_static_selectorELNS0_4arch9wavefront6targetE1EEEvSY_,"axG",@progbits,_ZN7rocprim17ROCPRIM_400000_NS6detail17trampoline_kernelINS0_13select_configILj256ELj13ELNS0_17block_load_methodE3ELS4_3ELS4_3ELNS0_20block_scan_algorithmE0ELj4294967295EEENS1_25partition_config_selectorILNS1_17partition_subalgoE3EjNS0_10empty_typeEbEEZZNS1_14partition_implILS8_3ELb0ES6_jNS0_17counting_iteratorIjlEEPS9_SE_NS0_5tupleIJPjSE_EEENSF_IJSE_SE_EEES9_SG_JZNS1_25segmented_radix_sort_implINS0_14default_configELb1EPKdPdPKlPlN2at6native12_GLOBAL__N_18offset_tEEE10hipError_tPvRmT1_PNSt15iterator_traitsISY_E10value_typeET2_T3_PNSZ_IS14_E10value_typeET4_jRbjT5_S1A_jjP12ihipStream_tbEUljE_EEESV_SW_SX_S14_S18_S1A_T6_T7_T9_mT8_S1C_bDpT10_ENKUlT_T0_E_clISt17integral_constantIbLb0EES1O_IbLb1EEEEDaS1K_S1L_EUlS1K_E_NS1_11comp_targetILNS1_3genE2ELNS1_11target_archE906ELNS1_3gpuE6ELNS1_3repE0EEENS1_30default_config_static_selectorELNS0_4arch9wavefront6targetE1EEEvSY_,comdat
	.globl	_ZN7rocprim17ROCPRIM_400000_NS6detail17trampoline_kernelINS0_13select_configILj256ELj13ELNS0_17block_load_methodE3ELS4_3ELS4_3ELNS0_20block_scan_algorithmE0ELj4294967295EEENS1_25partition_config_selectorILNS1_17partition_subalgoE3EjNS0_10empty_typeEbEEZZNS1_14partition_implILS8_3ELb0ES6_jNS0_17counting_iteratorIjlEEPS9_SE_NS0_5tupleIJPjSE_EEENSF_IJSE_SE_EEES9_SG_JZNS1_25segmented_radix_sort_implINS0_14default_configELb1EPKdPdPKlPlN2at6native12_GLOBAL__N_18offset_tEEE10hipError_tPvRmT1_PNSt15iterator_traitsISY_E10value_typeET2_T3_PNSZ_IS14_E10value_typeET4_jRbjT5_S1A_jjP12ihipStream_tbEUljE_EEESV_SW_SX_S14_S18_S1A_T6_T7_T9_mT8_S1C_bDpT10_ENKUlT_T0_E_clISt17integral_constantIbLb0EES1O_IbLb1EEEEDaS1K_S1L_EUlS1K_E_NS1_11comp_targetILNS1_3genE2ELNS1_11target_archE906ELNS1_3gpuE6ELNS1_3repE0EEENS1_30default_config_static_selectorELNS0_4arch9wavefront6targetE1EEEvSY_ ; -- Begin function _ZN7rocprim17ROCPRIM_400000_NS6detail17trampoline_kernelINS0_13select_configILj256ELj13ELNS0_17block_load_methodE3ELS4_3ELS4_3ELNS0_20block_scan_algorithmE0ELj4294967295EEENS1_25partition_config_selectorILNS1_17partition_subalgoE3EjNS0_10empty_typeEbEEZZNS1_14partition_implILS8_3ELb0ES6_jNS0_17counting_iteratorIjlEEPS9_SE_NS0_5tupleIJPjSE_EEENSF_IJSE_SE_EEES9_SG_JZNS1_25segmented_radix_sort_implINS0_14default_configELb1EPKdPdPKlPlN2at6native12_GLOBAL__N_18offset_tEEE10hipError_tPvRmT1_PNSt15iterator_traitsISY_E10value_typeET2_T3_PNSZ_IS14_E10value_typeET4_jRbjT5_S1A_jjP12ihipStream_tbEUljE_EEESV_SW_SX_S14_S18_S1A_T6_T7_T9_mT8_S1C_bDpT10_ENKUlT_T0_E_clISt17integral_constantIbLb0EES1O_IbLb1EEEEDaS1K_S1L_EUlS1K_E_NS1_11comp_targetILNS1_3genE2ELNS1_11target_archE906ELNS1_3gpuE6ELNS1_3repE0EEENS1_30default_config_static_selectorELNS0_4arch9wavefront6targetE1EEEvSY_
	.p2align	8
	.type	_ZN7rocprim17ROCPRIM_400000_NS6detail17trampoline_kernelINS0_13select_configILj256ELj13ELNS0_17block_load_methodE3ELS4_3ELS4_3ELNS0_20block_scan_algorithmE0ELj4294967295EEENS1_25partition_config_selectorILNS1_17partition_subalgoE3EjNS0_10empty_typeEbEEZZNS1_14partition_implILS8_3ELb0ES6_jNS0_17counting_iteratorIjlEEPS9_SE_NS0_5tupleIJPjSE_EEENSF_IJSE_SE_EEES9_SG_JZNS1_25segmented_radix_sort_implINS0_14default_configELb1EPKdPdPKlPlN2at6native12_GLOBAL__N_18offset_tEEE10hipError_tPvRmT1_PNSt15iterator_traitsISY_E10value_typeET2_T3_PNSZ_IS14_E10value_typeET4_jRbjT5_S1A_jjP12ihipStream_tbEUljE_EEESV_SW_SX_S14_S18_S1A_T6_T7_T9_mT8_S1C_bDpT10_ENKUlT_T0_E_clISt17integral_constantIbLb0EES1O_IbLb1EEEEDaS1K_S1L_EUlS1K_E_NS1_11comp_targetILNS1_3genE2ELNS1_11target_archE906ELNS1_3gpuE6ELNS1_3repE0EEENS1_30default_config_static_selectorELNS0_4arch9wavefront6targetE1EEEvSY_,@function
_ZN7rocprim17ROCPRIM_400000_NS6detail17trampoline_kernelINS0_13select_configILj256ELj13ELNS0_17block_load_methodE3ELS4_3ELS4_3ELNS0_20block_scan_algorithmE0ELj4294967295EEENS1_25partition_config_selectorILNS1_17partition_subalgoE3EjNS0_10empty_typeEbEEZZNS1_14partition_implILS8_3ELb0ES6_jNS0_17counting_iteratorIjlEEPS9_SE_NS0_5tupleIJPjSE_EEENSF_IJSE_SE_EEES9_SG_JZNS1_25segmented_radix_sort_implINS0_14default_configELb1EPKdPdPKlPlN2at6native12_GLOBAL__N_18offset_tEEE10hipError_tPvRmT1_PNSt15iterator_traitsISY_E10value_typeET2_T3_PNSZ_IS14_E10value_typeET4_jRbjT5_S1A_jjP12ihipStream_tbEUljE_EEESV_SW_SX_S14_S18_S1A_T6_T7_T9_mT8_S1C_bDpT10_ENKUlT_T0_E_clISt17integral_constantIbLb0EES1O_IbLb1EEEEDaS1K_S1L_EUlS1K_E_NS1_11comp_targetILNS1_3genE2ELNS1_11target_archE906ELNS1_3gpuE6ELNS1_3repE0EEENS1_30default_config_static_selectorELNS0_4arch9wavefront6targetE1EEEvSY_: ; @_ZN7rocprim17ROCPRIM_400000_NS6detail17trampoline_kernelINS0_13select_configILj256ELj13ELNS0_17block_load_methodE3ELS4_3ELS4_3ELNS0_20block_scan_algorithmE0ELj4294967295EEENS1_25partition_config_selectorILNS1_17partition_subalgoE3EjNS0_10empty_typeEbEEZZNS1_14partition_implILS8_3ELb0ES6_jNS0_17counting_iteratorIjlEEPS9_SE_NS0_5tupleIJPjSE_EEENSF_IJSE_SE_EEES9_SG_JZNS1_25segmented_radix_sort_implINS0_14default_configELb1EPKdPdPKlPlN2at6native12_GLOBAL__N_18offset_tEEE10hipError_tPvRmT1_PNSt15iterator_traitsISY_E10value_typeET2_T3_PNSZ_IS14_E10value_typeET4_jRbjT5_S1A_jjP12ihipStream_tbEUljE_EEESV_SW_SX_S14_S18_S1A_T6_T7_T9_mT8_S1C_bDpT10_ENKUlT_T0_E_clISt17integral_constantIbLb0EES1O_IbLb1EEEEDaS1K_S1L_EUlS1K_E_NS1_11comp_targetILNS1_3genE2ELNS1_11target_archE906ELNS1_3gpuE6ELNS1_3repE0EEENS1_30default_config_static_selectorELNS0_4arch9wavefront6targetE1EEEvSY_
; %bb.0:
	s_load_dwordx2 s[28:29], s[4:5], 0x10
	s_load_dwordx2 s[22:23], s[4:5], 0x28
	;; [unrolled: 1-line block ×3, first 2 shown]
	s_load_dwordx4 s[24:27], s[4:5], 0x48
	s_load_dword s14, s[4:5], 0x90
	s_load_dwordx2 s[34:35], s[4:5], 0x68
	s_load_dwordx4 s[8:11], s[4:5], 0x80
	v_cmp_eq_u32_e64 s[0:1], 0, v0
	s_and_saveexec_b64 s[2:3], s[0:1]
	s_cbranch_execz .LBB1114_4
; %bb.1:
	s_mov_b64 s[12:13], exec
	v_mbcnt_lo_u32_b32 v1, s12, 0
	v_mbcnt_hi_u32_b32 v1, s13, v1
	v_cmp_eq_u32_e32 vcc, 0, v1
                                        ; implicit-def: $vgpr2
	s_and_saveexec_b64 s[6:7], vcc
	s_cbranch_execz .LBB1114_3
; %bb.2:
	s_load_dwordx2 s[16:17], s[4:5], 0x78
	s_bcnt1_i32_b64 s12, s[12:13]
	v_mov_b32_e32 v2, 0
	v_mov_b32_e32 v3, s12
	s_waitcnt lgkmcnt(0)
	global_atomic_add v2, v2, v3, s[16:17] glc
.LBB1114_3:
	s_or_b64 exec, exec, s[6:7]
	s_waitcnt vmcnt(0)
	v_readfirstlane_b32 s6, v2
	v_add_u32_e32 v1, s6, v1
	v_mov_b32_e32 v2, 0
	ds_write_b32 v2, v1
.LBB1114_4:
	s_or_b64 exec, exec, s[2:3]
	v_mov_b32_e32 v1, 0
	s_load_dword s6, s[4:5], 0x8
	s_load_dword s2, s[4:5], 0x70
	s_waitcnt lgkmcnt(0)
	s_barrier
	ds_read_b32 v5, v1
	s_waitcnt lgkmcnt(0)
	s_barrier
	global_load_dwordx2 v[3:4], v1, s[26:27]
	s_add_i32 s4, s2, -1
	s_mulk_i32 s2, 0xd00
	s_add_i32 s3, s2, s28
	s_sub_i32 s33, s30, s3
	s_add_i32 s6, s6, s28
	s_addk_i32 s33, 0xd00
	s_add_u32 s2, s28, s2
	s_addc_u32 s3, s29, 0
	v_mov_b32_e32 v1, s2
	v_mov_b32_e32 v2, s3
	v_readfirstlane_b32 s43, v5
	v_cmp_gt_u64_e32 vcc, s[30:31], v[1:2]
	s_cmp_eq_u32 s43, s4
	v_cmp_ne_u32_e64 s[2:3], s4, v5
	s_cselect_b64 s[26:27], -1, 0
	s_or_b64 s[4:5], vcc, s[2:3]
	s_mul_i32 s42, s43, 0xd00
	s_mov_b64 s[2:3], -1
	s_and_b64 vcc, exec, s[4:5]
	v_lshlrev_b32_e32 v25, 2, v0
	s_cbranch_vccz .LBB1114_6
; %bb.5:
	s_add_i32 s2, s42, s6
	v_add_u32_e32 v1, s2, v0
	v_add_u32_e32 v2, 0x100, v1
	;; [unrolled: 1-line block ×13, first 2 shown]
	ds_write2st64_b32 v25, v1, v2 offset1:4
	ds_write2st64_b32 v25, v5, v6 offset0:8 offset1:12
	ds_write2st64_b32 v25, v7, v8 offset0:16 offset1:20
	ds_write2st64_b32 v25, v9, v10 offset0:24 offset1:28
	ds_write2st64_b32 v25, v11, v12 offset0:32 offset1:36
	ds_write2st64_b32 v25, v13, v14 offset0:40 offset1:44
	ds_write_b32 v25, v15 offset:12288
	s_waitcnt vmcnt(0) lgkmcnt(0)
	s_barrier
	s_mov_b64 s[2:3], 0
.LBB1114_6:
	s_andn2_b64 vcc, exec, s[2:3]
	v_cmp_gt_u32_e64 s[2:3], s33, v0
	s_cbranch_vccnz .LBB1114_8
; %bb.7:
	s_add_i32 s6, s42, s6
	v_or_b32_e32 v2, 0x100, v0
	v_add_u32_e32 v5, s6, v2
	v_cmp_gt_u32_e32 vcc, s33, v2
	v_cndmask_b32_e32 v2, 0, v5, vcc
	v_or_b32_e32 v5, 0x200, v0
	v_add_u32_e32 v6, s6, v5
	v_cmp_gt_u32_e32 vcc, s33, v5
	v_cndmask_b32_e32 v5, 0, v6, vcc
	;; [unrolled: 4-line block ×10, first 2 shown]
	v_or_b32_e32 v14, 0xb00, v0
	v_add_u32_e32 v15, s6, v14
	v_cmp_gt_u32_e32 vcc, s33, v14
	v_add_u32_e32 v1, s6, v0
	v_cndmask_b32_e32 v14, 0, v15, vcc
	v_or_b32_e32 v15, 0xc00, v0
	v_cndmask_b32_e64 v1, 0, v1, s[2:3]
	v_add_u32_e32 v16, s6, v15
	v_cmp_gt_u32_e32 vcc, s33, v15
	v_cndmask_b32_e32 v15, 0, v16, vcc
	ds_write2st64_b32 v25, v1, v2 offset1:4
	ds_write2st64_b32 v25, v5, v6 offset0:8 offset1:12
	ds_write2st64_b32 v25, v7, v8 offset0:16 offset1:20
	;; [unrolled: 1-line block ×5, first 2 shown]
	ds_write_b32 v25, v15 offset:12288
	s_waitcnt vmcnt(0) lgkmcnt(0)
	s_barrier
.LBB1114_8:
	v_mul_u32_u24_e32 v27, 13, v0
	v_lshlrev_b32_e32 v1, 2, v27
	ds_read2_b32 v[15:16], v1 offset1:1
	ds_read2_b32 v[13:14], v1 offset0:2 offset1:3
	ds_read2_b32 v[11:12], v1 offset0:4 offset1:5
	;; [unrolled: 1-line block ×5, first 2 shown]
	ds_read_b32 v26, v1 offset:48
	v_cndmask_b32_e64 v1, 0, 1, s[4:5]
	v_cmp_ne_u32_e64 s[2:3], 1, v1
	s_andn2_b64 vcc, exec, s[4:5]
	s_waitcnt vmcnt(0) lgkmcnt(0)
	s_barrier
	s_cbranch_vccnz .LBB1114_10
; %bb.9:
	v_add_u32_e32 v1, s9, v15
	v_add_u32_e32 v2, s11, v15
	v_mul_lo_u32 v1, v1, s8
	v_mul_lo_u32 v2, v2, s10
	v_add_u32_e32 v17, s9, v13
	v_add_u32_e32 v18, s11, v13
	v_mul_lo_u32 v17, v17, s8
	v_sub_u32_e32 v1, v1, v2
	v_cmp_lt_u32_e32 vcc, s14, v1
	v_add_u32_e32 v1, s9, v16
	v_add_u32_e32 v2, s11, v16
	v_mul_lo_u32 v1, v1, s8
	v_mul_lo_u32 v2, v2, s10
	;; [unrolled: 1-line block ×3, first 2 shown]
	v_cndmask_b32_e64 v28, 0, 1, vcc
	v_sub_u32_e32 v1, v1, v2
	v_cmp_lt_u32_e32 vcc, s14, v1
	v_sub_u32_e32 v1, v17, v18
	v_cndmask_b32_e64 v29, 0, 1, vcc
	v_cmp_lt_u32_e32 vcc, s14, v1
	v_add_u32_e32 v1, s9, v14
	v_add_u32_e32 v2, s11, v14
	v_mul_lo_u32 v1, v1, s8
	v_mul_lo_u32 v2, v2, s10
	v_add_u32_e32 v17, s9, v11
	v_add_u32_e32 v18, s11, v11
	v_mul_lo_u32 v17, v17, s8
	v_mul_lo_u32 v18, v18, s10
	v_sub_u32_e32 v1, v1, v2
	v_cndmask_b32_e64 v30, 0, 1, vcc
	v_cmp_lt_u32_e32 vcc, s14, v1
	v_sub_u32_e32 v1, v17, v18
	v_cndmask_b32_e64 v31, 0, 1, vcc
	v_cmp_lt_u32_e32 vcc, s14, v1
	v_add_u32_e32 v1, s9, v12
	v_add_u32_e32 v2, s11, v12
	v_mul_lo_u32 v1, v1, s8
	v_mul_lo_u32 v2, v2, s10
	v_add_u32_e32 v17, s9, v9
	v_add_u32_e32 v18, s11, v9
	v_mul_lo_u32 v17, v17, s8
	v_mul_lo_u32 v18, v18, s10
	v_sub_u32_e32 v1, v1, v2
	v_cndmask_b32_e64 v32, 0, 1, vcc
	;; [unrolled: 14-line block ×5, first 2 shown]
	v_cmp_lt_u32_e32 vcc, s14, v1
	v_sub_u32_e32 v1, v17, v18
	v_cndmask_b32_e64 v39, 0, 1, vcc
	v_cmp_lt_u32_e64 s[36:37], s14, v1
	s_cbranch_execz .LBB1114_11
	s_branch .LBB1114_38
.LBB1114_10:
                                        ; implicit-def: $sgpr36_sgpr37
                                        ; implicit-def: $vgpr39
                                        ; implicit-def: $vgpr38
                                        ; implicit-def: $vgpr37
                                        ; implicit-def: $vgpr36
                                        ; implicit-def: $vgpr35
                                        ; implicit-def: $vgpr34
                                        ; implicit-def: $vgpr33
                                        ; implicit-def: $vgpr32
                                        ; implicit-def: $vgpr28
                                        ; implicit-def: $vgpr29
                                        ; implicit-def: $vgpr30
                                        ; implicit-def: $vgpr31
.LBB1114_11:
	v_cmp_gt_u32_e32 vcc, s33, v27
	v_mov_b32_e32 v29, 0
	v_mov_b32_e32 v28, 0
	s_and_saveexec_b64 s[4:5], vcc
	s_cbranch_execz .LBB1114_13
; %bb.12:
	v_add_u32_e32 v1, s9, v15
	v_add_u32_e32 v2, s11, v15
	v_mul_lo_u32 v1, v1, s8
	v_mul_lo_u32 v2, v2, s10
	v_sub_u32_e32 v1, v1, v2
	v_cmp_lt_u32_e32 vcc, s14, v1
	v_cndmask_b32_e64 v28, 0, 1, vcc
.LBB1114_13:
	s_or_b64 exec, exec, s[4:5]
	v_add_u32_e32 v1, 1, v27
	v_cmp_gt_u32_e32 vcc, s33, v1
	s_and_saveexec_b64 s[4:5], vcc
	s_cbranch_execz .LBB1114_15
; %bb.14:
	v_add_u32_e32 v1, s9, v16
	v_add_u32_e32 v2, s11, v16
	v_mul_lo_u32 v1, v1, s8
	v_mul_lo_u32 v2, v2, s10
	v_sub_u32_e32 v1, v1, v2
	v_cmp_lt_u32_e32 vcc, s14, v1
	v_cndmask_b32_e64 v29, 0, 1, vcc
.LBB1114_15:
	s_or_b64 exec, exec, s[4:5]
	v_add_u32_e32 v1, 2, v27
	v_cmp_gt_u32_e32 vcc, s33, v1
	v_mov_b32_e32 v31, 0
	v_mov_b32_e32 v30, 0
	s_and_saveexec_b64 s[4:5], vcc
	s_cbranch_execz .LBB1114_17
; %bb.16:
	v_add_u32_e32 v1, s9, v13
	v_add_u32_e32 v2, s11, v13
	v_mul_lo_u32 v1, v1, s8
	v_mul_lo_u32 v2, v2, s10
	v_sub_u32_e32 v1, v1, v2
	v_cmp_lt_u32_e32 vcc, s14, v1
	v_cndmask_b32_e64 v30, 0, 1, vcc
.LBB1114_17:
	s_or_b64 exec, exec, s[4:5]
	v_add_u32_e32 v1, 3, v27
	v_cmp_gt_u32_e32 vcc, s33, v1
	s_and_saveexec_b64 s[4:5], vcc
	s_cbranch_execz .LBB1114_19
; %bb.18:
	v_add_u32_e32 v1, s9, v14
	v_add_u32_e32 v2, s11, v14
	v_mul_lo_u32 v1, v1, s8
	v_mul_lo_u32 v2, v2, s10
	v_sub_u32_e32 v1, v1, v2
	v_cmp_lt_u32_e32 vcc, s14, v1
	v_cndmask_b32_e64 v31, 0, 1, vcc
.LBB1114_19:
	s_or_b64 exec, exec, s[4:5]
	v_add_u32_e32 v1, 4, v27
	v_cmp_gt_u32_e32 vcc, s33, v1
	v_mov_b32_e32 v33, 0
	v_mov_b32_e32 v32, 0
	s_and_saveexec_b64 s[4:5], vcc
	s_cbranch_execz .LBB1114_21
; %bb.20:
	v_add_u32_e32 v1, s9, v11
	v_add_u32_e32 v2, s11, v11
	v_mul_lo_u32 v1, v1, s8
	v_mul_lo_u32 v2, v2, s10
	v_sub_u32_e32 v1, v1, v2
	v_cmp_lt_u32_e32 vcc, s14, v1
	v_cndmask_b32_e64 v32, 0, 1, vcc
.LBB1114_21:
	s_or_b64 exec, exec, s[4:5]
	v_add_u32_e32 v1, 5, v27
	v_cmp_gt_u32_e32 vcc, s33, v1
	s_and_saveexec_b64 s[4:5], vcc
	s_cbranch_execz .LBB1114_23
; %bb.22:
	v_add_u32_e32 v1, s9, v12
	v_add_u32_e32 v2, s11, v12
	v_mul_lo_u32 v1, v1, s8
	v_mul_lo_u32 v2, v2, s10
	v_sub_u32_e32 v1, v1, v2
	v_cmp_lt_u32_e32 vcc, s14, v1
	v_cndmask_b32_e64 v33, 0, 1, vcc
.LBB1114_23:
	s_or_b64 exec, exec, s[4:5]
	v_add_u32_e32 v1, 6, v27
	v_cmp_gt_u32_e32 vcc, s33, v1
	v_mov_b32_e32 v35, 0
	v_mov_b32_e32 v34, 0
	s_and_saveexec_b64 s[4:5], vcc
	s_cbranch_execz .LBB1114_25
; %bb.24:
	v_add_u32_e32 v1, s9, v9
	v_add_u32_e32 v2, s11, v9
	v_mul_lo_u32 v1, v1, s8
	v_mul_lo_u32 v2, v2, s10
	v_sub_u32_e32 v1, v1, v2
	v_cmp_lt_u32_e32 vcc, s14, v1
	v_cndmask_b32_e64 v34, 0, 1, vcc
.LBB1114_25:
	s_or_b64 exec, exec, s[4:5]
	v_add_u32_e32 v1, 7, v27
	v_cmp_gt_u32_e32 vcc, s33, v1
	s_and_saveexec_b64 s[4:5], vcc
	s_cbranch_execz .LBB1114_27
; %bb.26:
	v_add_u32_e32 v1, s9, v10
	v_add_u32_e32 v2, s11, v10
	v_mul_lo_u32 v1, v1, s8
	v_mul_lo_u32 v2, v2, s10
	v_sub_u32_e32 v1, v1, v2
	v_cmp_lt_u32_e32 vcc, s14, v1
	v_cndmask_b32_e64 v35, 0, 1, vcc
.LBB1114_27:
	s_or_b64 exec, exec, s[4:5]
	v_add_u32_e32 v1, 8, v27
	v_cmp_gt_u32_e32 vcc, s33, v1
	v_mov_b32_e32 v37, 0
	v_mov_b32_e32 v36, 0
	s_and_saveexec_b64 s[4:5], vcc
	s_cbranch_execz .LBB1114_29
; %bb.28:
	v_add_u32_e32 v1, s9, v7
	v_add_u32_e32 v2, s11, v7
	v_mul_lo_u32 v1, v1, s8
	v_mul_lo_u32 v2, v2, s10
	v_sub_u32_e32 v1, v1, v2
	v_cmp_lt_u32_e32 vcc, s14, v1
	v_cndmask_b32_e64 v36, 0, 1, vcc
.LBB1114_29:
	s_or_b64 exec, exec, s[4:5]
	v_add_u32_e32 v1, 9, v27
	v_cmp_gt_u32_e32 vcc, s33, v1
	s_and_saveexec_b64 s[4:5], vcc
	s_cbranch_execz .LBB1114_31
; %bb.30:
	v_add_u32_e32 v1, s9, v8
	v_add_u32_e32 v2, s11, v8
	v_mul_lo_u32 v1, v1, s8
	v_mul_lo_u32 v2, v2, s10
	v_sub_u32_e32 v1, v1, v2
	v_cmp_lt_u32_e32 vcc, s14, v1
	v_cndmask_b32_e64 v37, 0, 1, vcc
.LBB1114_31:
	s_or_b64 exec, exec, s[4:5]
	v_add_u32_e32 v1, 10, v27
	v_cmp_gt_u32_e32 vcc, s33, v1
	v_mov_b32_e32 v39, 0
	v_mov_b32_e32 v38, 0
	s_and_saveexec_b64 s[4:5], vcc
	s_cbranch_execz .LBB1114_33
; %bb.32:
	v_add_u32_e32 v1, s9, v5
	v_add_u32_e32 v2, s11, v5
	v_mul_lo_u32 v1, v1, s8
	v_mul_lo_u32 v2, v2, s10
	v_sub_u32_e32 v1, v1, v2
	v_cmp_lt_u32_e32 vcc, s14, v1
	v_cndmask_b32_e64 v38, 0, 1, vcc
.LBB1114_33:
	s_or_b64 exec, exec, s[4:5]
	v_add_u32_e32 v1, 11, v27
	v_cmp_gt_u32_e32 vcc, s33, v1
	s_and_saveexec_b64 s[4:5], vcc
	s_cbranch_execz .LBB1114_35
; %bb.34:
	v_add_u32_e32 v1, s9, v6
	v_add_u32_e32 v2, s11, v6
	v_mul_lo_u32 v2, v2, s10
	v_mul_lo_u32 v1, v1, s8
	v_sub_u32_e32 v1, v1, v2
	v_cmp_lt_u32_e32 vcc, s14, v1
	v_cndmask_b32_e64 v39, 0, 1, vcc
.LBB1114_35:
	s_or_b64 exec, exec, s[4:5]
	v_add_u32_e32 v1, 12, v27
	v_cmp_gt_u32_e32 vcc, s33, v1
	s_mov_b64 s[36:37], 0
	s_and_saveexec_b64 s[4:5], vcc
	s_cbranch_execz .LBB1114_37
; %bb.36:
	v_add_u32_e32 v1, s9, v26
	v_add_u32_e32 v2, s11, v26
	v_mul_lo_u32 v1, v1, s8
	v_mul_lo_u32 v2, v2, s10
	v_sub_u32_e32 v1, v1, v2
	v_cmp_lt_u32_e32 vcc, s14, v1
	s_and_b64 s[36:37], vcc, exec
.LBB1114_37:
	s_or_b64 exec, exec, s[4:5]
.LBB1114_38:
	v_and_b32_e32 v42, 0xff, v29
	v_and_b32_e32 v43, 0xff, v30
	;; [unrolled: 1-line block ×5, first 2 shown]
	v_add3_u32 v2, v43, v44, v42
	v_and_b32_e32 v46, 0xff, v33
	v_and_b32_e32 v47, 0xff, v34
	v_add3_u32 v2, v2, v41, v45
	v_and_b32_e32 v48, 0xff, v35
	v_and_b32_e32 v49, 0xff, v36
	;; [unrolled: 3-line block ×3, first 2 shown]
	v_add3_u32 v2, v2, v48, v49
	v_and_b32_e32 v40, 0xff, v39
	v_cndmask_b32_e64 v1, 0, 1, s[36:37]
	v_add3_u32 v2, v2, v50, v51
	v_add3_u32 v54, v2, v40, v1
	v_mbcnt_lo_u32_b32 v1, -1, 0
	v_mbcnt_hi_u32_b32 v52, -1, v1
	v_and_b32_e32 v1, 15, v52
	v_cmp_eq_u32_e64 s[16:17], 0, v1
	v_cmp_lt_u32_e64 s[14:15], 1, v1
	v_cmp_lt_u32_e64 s[12:13], 3, v1
	;; [unrolled: 1-line block ×3, first 2 shown]
	v_and_b32_e32 v1, 16, v52
	v_cmp_eq_u32_e64 s[8:9], 0, v1
	v_or_b32_e32 v1, 63, v0
	s_cmp_lg_u32 s43, 0
	v_cmp_lt_u32_e64 s[4:5], 31, v52
	v_lshrrev_b32_e32 v53, 6, v0
	v_cmp_eq_u32_e64 s[6:7], v0, v1
	s_cbranch_scc0 .LBB1114_60
; %bb.39:
	v_mov_b32_dpp v1, v54 row_shr:1 row_mask:0xf bank_mask:0xf
	v_cndmask_b32_e64 v1, v1, 0, s[16:17]
	v_add_u32_e32 v1, v1, v54
	s_nop 1
	v_mov_b32_dpp v2, v1 row_shr:2 row_mask:0xf bank_mask:0xf
	v_cndmask_b32_e64 v2, 0, v2, s[14:15]
	v_add_u32_e32 v1, v1, v2
	s_nop 1
	;; [unrolled: 4-line block ×4, first 2 shown]
	v_mov_b32_dpp v2, v1 row_bcast:15 row_mask:0xf bank_mask:0xf
	v_cndmask_b32_e64 v2, v2, 0, s[8:9]
	v_add_u32_e32 v1, v1, v2
	s_nop 1
	v_mov_b32_dpp v2, v1 row_bcast:31 row_mask:0xf bank_mask:0xf
	v_cndmask_b32_e64 v2, 0, v2, s[4:5]
	v_add_u32_e32 v1, v1, v2
	s_and_saveexec_b64 s[18:19], s[6:7]
; %bb.40:
	v_lshlrev_b32_e32 v2, 2, v53
	ds_write_b32 v2, v1
; %bb.41:
	s_or_b64 exec, exec, s[18:19]
	v_cmp_gt_u32_e32 vcc, 4, v0
	s_waitcnt lgkmcnt(0)
	s_barrier
	s_and_saveexec_b64 s[18:19], vcc
	s_cbranch_execz .LBB1114_43
; %bb.42:
	ds_read_b32 v2, v25
	v_and_b32_e32 v17, 3, v52
	v_cmp_ne_u32_e32 vcc, 0, v17
	s_waitcnt lgkmcnt(0)
	v_mov_b32_dpp v18, v2 row_shr:1 row_mask:0xf bank_mask:0xf
	v_cndmask_b32_e32 v18, 0, v18, vcc
	v_add_u32_e32 v2, v18, v2
	v_cmp_lt_u32_e32 vcc, 1, v17
	s_nop 0
	v_mov_b32_dpp v18, v2 row_shr:2 row_mask:0xf bank_mask:0xf
	v_cndmask_b32_e32 v17, 0, v18, vcc
	v_add_u32_e32 v2, v2, v17
	ds_write_b32 v25, v2
.LBB1114_43:
	s_or_b64 exec, exec, s[18:19]
	v_cmp_gt_u32_e32 vcc, 64, v0
	v_cmp_lt_u32_e64 s[18:19], 63, v0
	s_waitcnt lgkmcnt(0)
	s_barrier
                                        ; implicit-def: $vgpr55
	s_and_saveexec_b64 s[20:21], s[18:19]
	s_cbranch_execz .LBB1114_45
; %bb.44:
	v_lshl_add_u32 v2, v53, 2, -4
	ds_read_b32 v55, v2
	s_waitcnt lgkmcnt(0)
	v_add_u32_e32 v1, v55, v1
.LBB1114_45:
	s_or_b64 exec, exec, s[20:21]
	v_subrev_co_u32_e64 v2, s[18:19], 1, v52
	v_and_b32_e32 v17, 64, v52
	v_cmp_lt_i32_e64 s[20:21], v2, v17
	v_cndmask_b32_e64 v2, v2, v52, s[20:21]
	v_lshlrev_b32_e32 v2, 2, v2
	ds_bpermute_b32 v56, v2, v1
	s_and_saveexec_b64 s[20:21], vcc
	s_cbranch_execz .LBB1114_65
; %bb.46:
	v_mov_b32_e32 v21, 0
	ds_read_b32 v1, v21 offset:12
	s_and_saveexec_b64 s[38:39], s[18:19]
	s_cbranch_execz .LBB1114_48
; %bb.47:
	s_add_i32 s40, s43, 64
	s_mov_b32 s41, 0
	s_lshl_b64 s[40:41], s[40:41], 3
	s_add_u32 s40, s34, s40
	v_mov_b32_e32 v2, 1
	s_addc_u32 s41, s35, s41
	s_waitcnt lgkmcnt(0)
	global_store_dwordx2 v21, v[1:2], s[40:41]
.LBB1114_48:
	s_or_b64 exec, exec, s[38:39]
	v_xad_u32 v17, v52, -1, s43
	v_add_u32_e32 v20, 64, v17
	v_lshlrev_b64 v[18:19], 3, v[20:21]
	v_mov_b32_e32 v2, s35
	v_add_co_u32_e32 v22, vcc, s34, v18
	v_addc_co_u32_e32 v23, vcc, v2, v19, vcc
	global_load_dwordx2 v[19:20], v[22:23], off glc
	s_waitcnt vmcnt(0)
	v_cmp_eq_u16_sdwa s[40:41], v20, v21 src0_sel:BYTE_0 src1_sel:DWORD
	s_and_saveexec_b64 s[38:39], s[40:41]
	s_cbranch_execz .LBB1114_52
; %bb.49:
	s_mov_b64 s[40:41], 0
	v_mov_b32_e32 v2, 0
.LBB1114_50:                            ; =>This Inner Loop Header: Depth=1
	global_load_dwordx2 v[19:20], v[22:23], off glc
	s_waitcnt vmcnt(0)
	v_cmp_ne_u16_sdwa s[44:45], v20, v2 src0_sel:BYTE_0 src1_sel:DWORD
	s_or_b64 s[40:41], s[44:45], s[40:41]
	s_andn2_b64 exec, exec, s[40:41]
	s_cbranch_execnz .LBB1114_50
; %bb.51:
	s_or_b64 exec, exec, s[40:41]
.LBB1114_52:
	s_or_b64 exec, exec, s[38:39]
	v_and_b32_e32 v58, 63, v52
	v_mov_b32_e32 v57, 2
	v_lshlrev_b64 v[21:22], v52, -1
	v_cmp_ne_u32_e32 vcc, 63, v58
	v_cmp_eq_u16_sdwa s[38:39], v20, v57 src0_sel:BYTE_0 src1_sel:DWORD
	v_addc_co_u32_e32 v23, vcc, 0, v52, vcc
	v_and_b32_e32 v2, s39, v22
	v_lshlrev_b32_e32 v59, 2, v23
	v_or_b32_e32 v2, 0x80000000, v2
	ds_bpermute_b32 v23, v59, v19
	v_and_b32_e32 v18, s38, v21
	v_ffbl_b32_e32 v2, v2
	v_add_u32_e32 v2, 32, v2
	v_ffbl_b32_e32 v18, v18
	v_min_u32_e32 v2, v18, v2
	v_cmp_lt_u32_e32 vcc, v58, v2
	s_waitcnt lgkmcnt(0)
	v_cndmask_b32_e32 v18, 0, v23, vcc
	v_cmp_gt_u32_e32 vcc, 62, v58
	v_add_u32_e32 v18, v18, v19
	v_cndmask_b32_e64 v19, 0, 2, vcc
	v_add_lshl_u32 v60, v19, v52, 2
	ds_bpermute_b32 v19, v60, v18
	v_add_u32_e32 v61, 2, v58
	v_cmp_le_u32_e32 vcc, v61, v2
	v_add_u32_e32 v63, 4, v58
	v_add_u32_e32 v65, 8, v58
	s_waitcnt lgkmcnt(0)
	v_cndmask_b32_e32 v19, 0, v19, vcc
	v_cmp_gt_u32_e32 vcc, 60, v58
	v_add_u32_e32 v18, v18, v19
	v_cndmask_b32_e64 v19, 0, 4, vcc
	v_add_lshl_u32 v62, v19, v52, 2
	ds_bpermute_b32 v19, v62, v18
	v_cmp_le_u32_e32 vcc, v63, v2
	v_add_u32_e32 v67, 16, v58
	v_add_u32_e32 v69, 32, v58
	s_waitcnt lgkmcnt(0)
	v_cndmask_b32_e32 v19, 0, v19, vcc
	v_cmp_gt_u32_e32 vcc, 56, v58
	v_add_u32_e32 v18, v18, v19
	v_cndmask_b32_e64 v19, 0, 8, vcc
	v_add_lshl_u32 v64, v19, v52, 2
	ds_bpermute_b32 v19, v64, v18
	v_cmp_le_u32_e32 vcc, v65, v2
	s_waitcnt lgkmcnt(0)
	v_cndmask_b32_e32 v19, 0, v19, vcc
	v_cmp_gt_u32_e32 vcc, 48, v58
	v_add_u32_e32 v18, v18, v19
	v_cndmask_b32_e64 v19, 0, 16, vcc
	v_add_lshl_u32 v66, v19, v52, 2
	ds_bpermute_b32 v19, v66, v18
	v_cmp_le_u32_e32 vcc, v67, v2
	s_waitcnt lgkmcnt(0)
	v_cndmask_b32_e32 v19, 0, v19, vcc
	v_add_u32_e32 v18, v18, v19
	v_mov_b32_e32 v19, 0x80
	v_lshl_or_b32 v68, v52, 2, v19
	ds_bpermute_b32 v19, v68, v18
	v_cmp_le_u32_e32 vcc, v69, v2
	s_waitcnt lgkmcnt(0)
	v_cndmask_b32_e32 v2, 0, v19, vcc
	v_add_u32_e32 v19, v18, v2
	v_mov_b32_e32 v18, 0
	s_branch .LBB1114_56
.LBB1114_53:                            ;   in Loop: Header=BB1114_56 Depth=1
	s_or_b64 exec, exec, s[40:41]
.LBB1114_54:                            ;   in Loop: Header=BB1114_56 Depth=1
	s_or_b64 exec, exec, s[38:39]
	v_cmp_eq_u16_sdwa s[38:39], v20, v57 src0_sel:BYTE_0 src1_sel:DWORD
	v_and_b32_e32 v23, s39, v22
	v_or_b32_e32 v23, 0x80000000, v23
	ds_bpermute_b32 v70, v59, v19
	v_and_b32_e32 v24, s38, v21
	v_ffbl_b32_e32 v23, v23
	v_add_u32_e32 v23, 32, v23
	v_ffbl_b32_e32 v24, v24
	v_min_u32_e32 v23, v24, v23
	v_cmp_lt_u32_e32 vcc, v58, v23
	s_waitcnt lgkmcnt(0)
	v_cndmask_b32_e32 v24, 0, v70, vcc
	v_add_u32_e32 v19, v24, v19
	ds_bpermute_b32 v24, v60, v19
	v_cmp_le_u32_e32 vcc, v61, v23
	v_subrev_u32_e32 v17, 64, v17
	s_mov_b64 s[38:39], 0
	s_waitcnt lgkmcnt(0)
	v_cndmask_b32_e32 v24, 0, v24, vcc
	v_add_u32_e32 v19, v19, v24
	ds_bpermute_b32 v24, v62, v19
	v_cmp_le_u32_e32 vcc, v63, v23
	s_waitcnt lgkmcnt(0)
	v_cndmask_b32_e32 v24, 0, v24, vcc
	v_add_u32_e32 v19, v19, v24
	ds_bpermute_b32 v24, v64, v19
	v_cmp_le_u32_e32 vcc, v65, v23
	;; [unrolled: 5-line block ×4, first 2 shown]
	s_waitcnt lgkmcnt(0)
	v_cndmask_b32_e32 v23, 0, v24, vcc
	v_add3_u32 v19, v23, v2, v19
.LBB1114_55:                            ;   in Loop: Header=BB1114_56 Depth=1
	s_and_b64 vcc, exec, s[38:39]
	s_cbranch_vccnz .LBB1114_61
.LBB1114_56:                            ; =>This Loop Header: Depth=1
                                        ;     Child Loop BB1114_59 Depth 2
	v_cmp_ne_u16_sdwa s[38:39], v20, v57 src0_sel:BYTE_0 src1_sel:DWORD
	v_mov_b32_e32 v2, v19
	s_cmp_lg_u64 s[38:39], exec
	s_mov_b64 s[38:39], -1
                                        ; implicit-def: $vgpr19
                                        ; implicit-def: $vgpr20
	s_cbranch_scc1 .LBB1114_55
; %bb.57:                               ;   in Loop: Header=BB1114_56 Depth=1
	v_lshlrev_b64 v[19:20], 3, v[17:18]
	v_mov_b32_e32 v24, s35
	v_add_co_u32_e32 v23, vcc, s34, v19
	v_addc_co_u32_e32 v24, vcc, v24, v20, vcc
	global_load_dwordx2 v[19:20], v[23:24], off glc
	s_waitcnt vmcnt(0)
	v_cmp_eq_u16_sdwa s[40:41], v20, v18 src0_sel:BYTE_0 src1_sel:DWORD
	s_and_saveexec_b64 s[38:39], s[40:41]
	s_cbranch_execz .LBB1114_54
; %bb.58:                               ;   in Loop: Header=BB1114_56 Depth=1
	s_mov_b64 s[40:41], 0
.LBB1114_59:                            ;   Parent Loop BB1114_56 Depth=1
                                        ; =>  This Inner Loop Header: Depth=2
	global_load_dwordx2 v[19:20], v[23:24], off glc
	s_waitcnt vmcnt(0)
	v_cmp_ne_u16_sdwa s[44:45], v20, v18 src0_sel:BYTE_0 src1_sel:DWORD
	s_or_b64 s[40:41], s[44:45], s[40:41]
	s_andn2_b64 exec, exec, s[40:41]
	s_cbranch_execnz .LBB1114_59
	s_branch .LBB1114_53
.LBB1114_60:
                                        ; implicit-def: $vgpr2
                                        ; implicit-def: $vgpr17
	s_cbranch_execnz .LBB1114_66
	s_branch .LBB1114_75
.LBB1114_61:
	s_and_saveexec_b64 s[38:39], s[18:19]
	s_cbranch_execz .LBB1114_63
; %bb.62:
	s_add_i32 s40, s43, 64
	s_mov_b32 s41, 0
	s_lshl_b64 s[40:41], s[40:41], 3
	s_add_u32 s40, s34, s40
	v_add_u32_e32 v17, v2, v1
	v_mov_b32_e32 v18, 2
	s_addc_u32 s41, s35, s41
	v_mov_b32_e32 v19, 0
	global_store_dwordx2 v19, v[17:18], s[40:41]
	ds_write_b64 v19, v[1:2] offset:13312
.LBB1114_63:
	s_or_b64 exec, exec, s[38:39]
	s_and_b64 exec, exec, s[0:1]
; %bb.64:
	v_mov_b32_e32 v1, 0
	ds_write_b32 v1, v2 offset:12
.LBB1114_65:
	s_or_b64 exec, exec, s[20:21]
	v_mov_b32_e32 v1, 0
	s_waitcnt vmcnt(0) lgkmcnt(0)
	s_barrier
	ds_read_b32 v17, v1 offset:12
	s_waitcnt lgkmcnt(0)
	s_barrier
	ds_read_b64 v[1:2], v1 offset:13312
	v_cndmask_b32_e64 v18, v56, v55, s[18:19]
	v_cndmask_b32_e64 v18, v18, 0, s[0:1]
	v_add_u32_e32 v17, v17, v18
	s_branch .LBB1114_75
.LBB1114_66:
	s_waitcnt lgkmcnt(0)
	v_mov_b32_dpp v1, v54 row_shr:1 row_mask:0xf bank_mask:0xf
	v_cndmask_b32_e64 v1, v1, 0, s[16:17]
	v_add_u32_e32 v1, v1, v54
	s_nop 1
	v_mov_b32_dpp v2, v1 row_shr:2 row_mask:0xf bank_mask:0xf
	v_cndmask_b32_e64 v2, 0, v2, s[14:15]
	v_add_u32_e32 v1, v1, v2
	s_nop 1
	;; [unrolled: 4-line block ×4, first 2 shown]
	v_mov_b32_dpp v2, v1 row_bcast:15 row_mask:0xf bank_mask:0xf
	v_cndmask_b32_e64 v2, v2, 0, s[8:9]
	v_add_u32_e32 v1, v1, v2
	s_nop 1
	v_mov_b32_dpp v2, v1 row_bcast:31 row_mask:0xf bank_mask:0xf
	v_cndmask_b32_e64 v2, 0, v2, s[4:5]
	v_add_u32_e32 v1, v1, v2
	s_and_saveexec_b64 s[4:5], s[6:7]
; %bb.67:
	v_lshlrev_b32_e32 v2, 2, v53
	ds_write_b32 v2, v1
; %bb.68:
	s_or_b64 exec, exec, s[4:5]
	v_cmp_gt_u32_e32 vcc, 4, v0
	s_waitcnt lgkmcnt(0)
	s_barrier
	s_and_saveexec_b64 s[4:5], vcc
	s_cbranch_execz .LBB1114_70
; %bb.69:
	ds_read_b32 v2, v25
	v_and_b32_e32 v17, 3, v52
	v_cmp_ne_u32_e32 vcc, 0, v17
	s_waitcnt lgkmcnt(0)
	v_mov_b32_dpp v18, v2 row_shr:1 row_mask:0xf bank_mask:0xf
	v_cndmask_b32_e32 v18, 0, v18, vcc
	v_add_u32_e32 v2, v18, v2
	v_cmp_lt_u32_e32 vcc, 1, v17
	s_nop 0
	v_mov_b32_dpp v18, v2 row_shr:2 row_mask:0xf bank_mask:0xf
	v_cndmask_b32_e32 v17, 0, v18, vcc
	v_add_u32_e32 v2, v2, v17
	ds_write_b32 v25, v2
.LBB1114_70:
	s_or_b64 exec, exec, s[4:5]
	v_cmp_lt_u32_e32 vcc, 63, v0
	v_mov_b32_e32 v2, 0
	v_mov_b32_e32 v17, 0
	s_waitcnt lgkmcnt(0)
	s_barrier
	s_and_saveexec_b64 s[4:5], vcc
; %bb.71:
	v_lshl_add_u32 v17, v53, 2, -4
	ds_read_b32 v17, v17
; %bb.72:
	s_or_b64 exec, exec, s[4:5]
	v_subrev_co_u32_e32 v18, vcc, 1, v52
	v_and_b32_e32 v19, 64, v52
	v_cmp_lt_i32_e64 s[4:5], v18, v19
	v_cndmask_b32_e64 v18, v18, v52, s[4:5]
	s_waitcnt lgkmcnt(0)
	v_add_u32_e32 v1, v17, v1
	v_lshlrev_b32_e32 v18, 2, v18
	ds_bpermute_b32 v18, v18, v1
	ds_read_b32 v1, v2 offset:12
	s_and_saveexec_b64 s[4:5], s[0:1]
	s_cbranch_execz .LBB1114_74
; %bb.73:
	v_mov_b32_e32 v19, 0
	v_mov_b32_e32 v2, 2
	s_waitcnt lgkmcnt(0)
	global_store_dwordx2 v19, v[1:2], s[34:35] offset:512
.LBB1114_74:
	s_or_b64 exec, exec, s[4:5]
	s_waitcnt lgkmcnt(1)
	v_cndmask_b32_e32 v2, v18, v17, vcc
	v_cndmask_b32_e64 v17, v2, 0, s[0:1]
	s_waitcnt vmcnt(0) lgkmcnt(0)
	s_barrier
	v_mov_b32_e32 v2, 0
.LBB1114_75:
	v_add_u32_e32 v18, v17, v41
	v_add_u32_e32 v19, v18, v42
	;; [unrolled: 1-line block ×4, first 2 shown]
	s_waitcnt lgkmcnt(0)
	v_add_u32_e32 v27, v1, v27
	v_sub_u32_e32 v17, v17, v2
	v_and_b32_e32 v28, 1, v28
	v_add_u32_e32 v22, v21, v45
	v_sub_u32_e32 v45, v27, v17
	v_cmp_eq_u32_e32 vcc, 1, v28
	v_cndmask_b32_e32 v17, v45, v17, vcc
	v_lshlrev_b32_e32 v17, 2, v17
	ds_write_b32 v17, v15
	v_sub_u32_e32 v15, v18, v2
	v_sub_u32_e32 v17, v27, v15
	v_and_b32_e32 v18, 1, v29
	v_add_u32_e32 v17, 1, v17
	v_cmp_eq_u32_e32 vcc, 1, v18
	v_cndmask_b32_e32 v15, v17, v15, vcc
	v_lshlrev_b32_e32 v15, 2, v15
	ds_write_b32 v15, v16
	v_sub_u32_e32 v15, v19, v2
	v_sub_u32_e32 v16, v27, v15
	v_and_b32_e32 v17, 1, v30
	v_add_u32_e32 v16, 2, v16
	;; [unrolled: 8-line block ×5, first 2 shown]
	v_cmp_eq_u32_e32 vcc, 1, v14
	v_cndmask_b32_e32 v11, v13, v11, vcc
	v_add_u32_e32 v23, v22, v46
	v_lshlrev_b32_e32 v11, 2, v11
	ds_write_b32 v11, v12
	v_sub_u32_e32 v11, v23, v2
	v_sub_u32_e32 v12, v27, v11
	v_and_b32_e32 v13, 1, v34
	v_add_u32_e32 v12, 6, v12
	v_cmp_eq_u32_e32 vcc, 1, v13
	v_cndmask_b32_e32 v11, v12, v11, vcc
	v_add_u32_e32 v24, v23, v47
	v_lshlrev_b32_e32 v11, 2, v11
	ds_write_b32 v11, v9
	v_sub_u32_e32 v9, v24, v2
	v_sub_u32_e32 v11, v27, v9
	v_and_b32_e32 v12, 1, v35
	v_add_u32_e32 v11, 7, v11
	;; [unrolled: 9-line block ×6, first 2 shown]
	v_cmp_eq_u32_e32 vcc, 1, v8
	v_cndmask_b32_e32 v5, v7, v5, vcc
	v_lshlrev_b32_e32 v5, 2, v5
	ds_write_b32 v5, v6
	v_sub_u32_e32 v5, v40, v2
	v_add_u32_e32 v5, v44, v5
	v_sub_u32_e32 v6, v27, v5
	v_add_u32_e32 v6, 12, v6
	v_cndmask_b32_e64 v5, v6, v5, s[36:37]
	v_lshlrev_b32_e32 v5, 2, v5
	ds_write_b32 v5, v26
	s_waitcnt lgkmcnt(0)
	s_barrier
	ds_read2st64_b32 v[15:16], v25 offset1:4
	ds_read2st64_b32 v[13:14], v25 offset0:8 offset1:12
	ds_read2st64_b32 v[11:12], v25 offset0:16 offset1:20
	;; [unrolled: 1-line block ×5, first 2 shown]
	ds_read_b32 v18, v25 offset:12288
	s_and_b64 vcc, exec, s[2:3]
	v_add_co_u32_e64 v17, s[2:3], v3, v2
	v_or_b32_e32 v32, 0x100, v0
	v_or_b32_e32 v30, 0x200, v0
	;; [unrolled: 1-line block ×12, first 2 shown]
	v_addc_co_u32_e64 v4, s[2:3], 0, v4, s[2:3]
	s_cbranch_vccnz .LBB1114_132
; %bb.76:
	v_mov_b32_e32 v2, s29
	v_subrev_co_u32_e32 v3, vcc, s28, v17
	s_sub_u32 s2, s30, s42
	v_subb_co_u32_e32 v2, vcc, v4, v2, vcc
	s_subb_u32 s3, s31, 0
	v_mov_b32_e32 v25, s3
	v_add_co_u32_e32 v31, vcc, s2, v1
	v_addc_co_u32_e32 v33, vcc, 0, v25, vcc
	v_add_co_u32_e32 v25, vcc, v31, v3
	v_addc_co_u32_e32 v31, vcc, v33, v2, vcc
	v_cmp_ge_u32_e32 vcc, v0, v1
                                        ; implicit-def: $vgpr2_vgpr3
	s_and_saveexec_b64 s[2:3], vcc
	s_xor_b64 s[2:3], exec, s[2:3]
; %bb.77:
	v_not_b32_e32 v2, v0
	v_ashrrev_i32_e32 v3, 31, v2
	v_add_co_u32_e32 v2, vcc, v25, v2
	v_addc_co_u32_e32 v3, vcc, v31, v3, vcc
; %bb.78:
	s_andn2_saveexec_b64 s[2:3], s[2:3]
; %bb.79:
	v_add_co_u32_e32 v2, vcc, v17, v0
	v_addc_co_u32_e32 v3, vcc, 0, v4, vcc
; %bb.80:
	s_or_b64 exec, exec, s[2:3]
	v_lshlrev_b64 v[2:3], 2, v[2:3]
	v_mov_b32_e32 v33, s23
	v_add_co_u32_e32 v2, vcc, s22, v2
	v_addc_co_u32_e32 v3, vcc, v33, v3, vcc
	v_cmp_ge_u32_e32 vcc, v32, v1
	s_waitcnt lgkmcnt(6)
	global_store_dword v[2:3], v15, off
                                        ; implicit-def: $vgpr2_vgpr3
	s_and_saveexec_b64 s[2:3], vcc
	s_xor_b64 s[2:3], exec, s[2:3]
; %bb.81:
	v_xor_b32_e32 v2, 0xfffffeff, v0
	v_ashrrev_i32_e32 v3, 31, v2
	v_add_co_u32_e32 v2, vcc, v25, v2
	v_addc_co_u32_e32 v3, vcc, v31, v3, vcc
; %bb.82:
	s_andn2_saveexec_b64 s[2:3], s[2:3]
; %bb.83:
	v_add_co_u32_e32 v2, vcc, v17, v32
	v_addc_co_u32_e32 v3, vcc, 0, v4, vcc
; %bb.84:
	s_or_b64 exec, exec, s[2:3]
	v_lshlrev_b64 v[2:3], 2, v[2:3]
	v_mov_b32_e32 v33, s23
	v_add_co_u32_e32 v2, vcc, s22, v2
	v_addc_co_u32_e32 v3, vcc, v33, v3, vcc
	v_cmp_ge_u32_e32 vcc, v30, v1
	global_store_dword v[2:3], v16, off
                                        ; implicit-def: $vgpr2_vgpr3
	s_and_saveexec_b64 s[2:3], vcc
	s_xor_b64 s[2:3], exec, s[2:3]
; %bb.85:
	v_xor_b32_e32 v2, 0xfffffdff, v0
	v_ashrrev_i32_e32 v3, 31, v2
	v_add_co_u32_e32 v2, vcc, v25, v2
	v_addc_co_u32_e32 v3, vcc, v31, v3, vcc
; %bb.86:
	s_andn2_saveexec_b64 s[2:3], s[2:3]
; %bb.87:
	v_add_co_u32_e32 v2, vcc, v17, v30
	v_addc_co_u32_e32 v3, vcc, 0, v4, vcc
; %bb.88:
	s_or_b64 exec, exec, s[2:3]
	v_lshlrev_b64 v[2:3], 2, v[2:3]
	v_mov_b32_e32 v33, s23
	v_add_co_u32_e32 v2, vcc, s22, v2
	v_addc_co_u32_e32 v3, vcc, v33, v3, vcc
	v_cmp_ge_u32_e32 vcc, v29, v1
	s_waitcnt lgkmcnt(5)
	global_store_dword v[2:3], v13, off
                                        ; implicit-def: $vgpr2_vgpr3
	s_and_saveexec_b64 s[2:3], vcc
	s_xor_b64 s[2:3], exec, s[2:3]
; %bb.89:
	v_xor_b32_e32 v2, 0xfffffcff, v0
	v_ashrrev_i32_e32 v3, 31, v2
	v_add_co_u32_e32 v2, vcc, v25, v2
	v_addc_co_u32_e32 v3, vcc, v31, v3, vcc
; %bb.90:
	s_andn2_saveexec_b64 s[2:3], s[2:3]
; %bb.91:
	v_add_co_u32_e32 v2, vcc, v17, v29
	v_addc_co_u32_e32 v3, vcc, 0, v4, vcc
; %bb.92:
	s_or_b64 exec, exec, s[2:3]
	v_lshlrev_b64 v[2:3], 2, v[2:3]
	v_mov_b32_e32 v33, s23
	v_add_co_u32_e32 v2, vcc, s22, v2
	v_addc_co_u32_e32 v3, vcc, v33, v3, vcc
	v_cmp_ge_u32_e32 vcc, v28, v1
	global_store_dword v[2:3], v14, off
                                        ; implicit-def: $vgpr2_vgpr3
	s_and_saveexec_b64 s[2:3], vcc
	s_xor_b64 s[2:3], exec, s[2:3]
; %bb.93:
	v_xor_b32_e32 v2, 0xfffffbff, v0
	;; [unrolled: 43-line block ×6, first 2 shown]
	v_ashrrev_i32_e32 v3, 31, v2
	v_add_co_u32_e32 v2, vcc, v25, v2
	v_addc_co_u32_e32 v3, vcc, v31, v3, vcc
; %bb.126:
	s_andn2_saveexec_b64 s[2:3], s[2:3]
; %bb.127:
	v_add_co_u32_e32 v2, vcc, v17, v19
	v_addc_co_u32_e32 v3, vcc, 0, v4, vcc
; %bb.128:
	s_or_b64 exec, exec, s[2:3]
	s_mov_b64 s[2:3], -1
.LBB1114_129:
	s_and_saveexec_b64 s[4:5], s[2:3]
	s_cbranch_execz .LBB1114_212
.LBB1114_130:
	v_lshlrev_b64 v[2:3], 2, v[2:3]
	v_mov_b32_e32 v0, s23
	v_add_co_u32_e32 v2, vcc, s22, v2
	v_addc_co_u32_e32 v3, vcc, v0, v3, vcc
	s_waitcnt lgkmcnt(0)
	global_store_dword v[2:3], v18, off
	s_or_b64 exec, exec, s[4:5]
	s_and_b64 s[0:1], s[0:1], s[26:27]
	s_and_saveexec_b64 s[2:3], s[0:1]
	s_cbranch_execnz .LBB1114_213
.LBB1114_131:
	s_endpgm
.LBB1114_132:
	s_mov_b64 s[2:3], 0
                                        ; implicit-def: $vgpr2_vgpr3
	s_cbranch_execz .LBB1114_129
; %bb.133:
	s_add_u32 s4, s28, s42
	s_addc_u32 s5, s29, 0
	s_sub_u32 s4, s30, s4
	s_subb_u32 s5, s31, s5
	v_mov_b32_e32 v2, s5
	v_add_co_u32_e32 v3, vcc, s4, v1
	v_addc_co_u32_e32 v2, vcc, 0, v2, vcc
	v_add_co_u32_e32 v25, vcc, v3, v17
	v_addc_co_u32_e32 v31, vcc, v2, v4, vcc
	v_cmp_gt_u32_e32 vcc, s33, v0
	s_and_saveexec_b64 s[4:5], vcc
	s_cbranch_execz .LBB1114_169
; %bb.134:
	v_cmp_ge_u32_e32 vcc, v0, v1
                                        ; implicit-def: $vgpr2_vgpr3
	s_and_saveexec_b64 s[6:7], vcc
	s_xor_b64 s[6:7], exec, s[6:7]
; %bb.135:
	v_not_b32_e32 v2, v0
	v_ashrrev_i32_e32 v3, 31, v2
	v_add_co_u32_e32 v2, vcc, v25, v2
	v_addc_co_u32_e32 v3, vcc, v31, v3, vcc
; %bb.136:
	s_andn2_saveexec_b64 s[6:7], s[6:7]
; %bb.137:
	v_add_co_u32_e32 v2, vcc, v17, v0
	v_addc_co_u32_e32 v3, vcc, 0, v4, vcc
; %bb.138:
	s_or_b64 exec, exec, s[6:7]
	v_lshlrev_b64 v[2:3], 2, v[2:3]
	v_mov_b32_e32 v33, s23
	v_add_co_u32_e32 v2, vcc, s22, v2
	v_addc_co_u32_e32 v3, vcc, v33, v3, vcc
	s_waitcnt lgkmcnt(6)
	global_store_dword v[2:3], v15, off
	s_or_b64 exec, exec, s[4:5]
	v_cmp_gt_u32_e32 vcc, s33, v32
	s_and_saveexec_b64 s[4:5], vcc
	s_cbranch_execnz .LBB1114_170
.LBB1114_139:
	s_or_b64 exec, exec, s[4:5]
	v_cmp_gt_u32_e32 vcc, s33, v30
	s_and_saveexec_b64 s[4:5], vcc
	s_cbranch_execz .LBB1114_175
.LBB1114_140:
	v_cmp_ge_u32_e32 vcc, v30, v1
                                        ; implicit-def: $vgpr2_vgpr3
	s_and_saveexec_b64 s[6:7], vcc
	s_xor_b64 s[6:7], exec, s[6:7]
; %bb.141:
	v_xor_b32_e32 v2, 0xfffffdff, v0
	v_ashrrev_i32_e32 v3, 31, v2
	v_add_co_u32_e32 v2, vcc, v25, v2
	v_addc_co_u32_e32 v3, vcc, v31, v3, vcc
                                        ; implicit-def: $vgpr30
; %bb.142:
	s_andn2_saveexec_b64 s[6:7], s[6:7]
; %bb.143:
	v_add_co_u32_e32 v2, vcc, v17, v30
	v_addc_co_u32_e32 v3, vcc, 0, v4, vcc
; %bb.144:
	s_or_b64 exec, exec, s[6:7]
	v_lshlrev_b64 v[2:3], 2, v[2:3]
	s_waitcnt lgkmcnt(6)
	v_mov_b32_e32 v15, s23
	v_add_co_u32_e32 v2, vcc, s22, v2
	v_addc_co_u32_e32 v3, vcc, v15, v3, vcc
	s_waitcnt lgkmcnt(5)
	global_store_dword v[2:3], v13, off
	s_or_b64 exec, exec, s[4:5]
	v_cmp_gt_u32_e32 vcc, s33, v29
	s_and_saveexec_b64 s[4:5], vcc
	s_cbranch_execnz .LBB1114_176
.LBB1114_145:
	s_or_b64 exec, exec, s[4:5]
	v_cmp_gt_u32_e32 vcc, s33, v28
	s_and_saveexec_b64 s[4:5], vcc
	s_cbranch_execz .LBB1114_181
.LBB1114_146:
	v_cmp_ge_u32_e32 vcc, v28, v1
                                        ; implicit-def: $vgpr2_vgpr3
	s_and_saveexec_b64 s[6:7], vcc
	s_xor_b64 s[6:7], exec, s[6:7]
; %bb.147:
	v_xor_b32_e32 v2, 0xfffffbff, v0
	v_ashrrev_i32_e32 v3, 31, v2
	v_add_co_u32_e32 v2, vcc, v25, v2
	v_addc_co_u32_e32 v3, vcc, v31, v3, vcc
                                        ; implicit-def: $vgpr28
; %bb.148:
	s_andn2_saveexec_b64 s[6:7], s[6:7]
; %bb.149:
	v_add_co_u32_e32 v2, vcc, v17, v28
	v_addc_co_u32_e32 v3, vcc, 0, v4, vcc
; %bb.150:
	s_or_b64 exec, exec, s[6:7]
	v_lshlrev_b64 v[2:3], 2, v[2:3]
	s_waitcnt lgkmcnt(5)
	v_mov_b32_e32 v13, s23
	v_add_co_u32_e32 v2, vcc, s22, v2
	v_addc_co_u32_e32 v3, vcc, v13, v3, vcc
	s_waitcnt lgkmcnt(4)
	global_store_dword v[2:3], v11, off
	s_or_b64 exec, exec, s[4:5]
	v_cmp_gt_u32_e32 vcc, s33, v27
	s_and_saveexec_b64 s[4:5], vcc
	s_cbranch_execnz .LBB1114_182
.LBB1114_151:
	s_or_b64 exec, exec, s[4:5]
	v_cmp_gt_u32_e32 vcc, s33, v26
	s_and_saveexec_b64 s[4:5], vcc
	s_cbranch_execz .LBB1114_187
.LBB1114_152:
	v_cmp_ge_u32_e32 vcc, v26, v1
                                        ; implicit-def: $vgpr2_vgpr3
	s_and_saveexec_b64 s[6:7], vcc
	s_xor_b64 s[6:7], exec, s[6:7]
; %bb.153:
	v_xor_b32_e32 v2, 0xfffff9ff, v0
	v_ashrrev_i32_e32 v3, 31, v2
	v_add_co_u32_e32 v2, vcc, v25, v2
	v_addc_co_u32_e32 v3, vcc, v31, v3, vcc
                                        ; implicit-def: $vgpr26
; %bb.154:
	s_andn2_saveexec_b64 s[6:7], s[6:7]
; %bb.155:
	v_add_co_u32_e32 v2, vcc, v17, v26
	v_addc_co_u32_e32 v3, vcc, 0, v4, vcc
; %bb.156:
	s_or_b64 exec, exec, s[6:7]
	v_lshlrev_b64 v[2:3], 2, v[2:3]
	s_waitcnt lgkmcnt(4)
	v_mov_b32_e32 v11, s23
	v_add_co_u32_e32 v2, vcc, s22, v2
	v_addc_co_u32_e32 v3, vcc, v11, v3, vcc
	s_waitcnt lgkmcnt(3)
	global_store_dword v[2:3], v9, off
	s_or_b64 exec, exec, s[4:5]
	v_cmp_gt_u32_e32 vcc, s33, v24
	s_and_saveexec_b64 s[4:5], vcc
	s_cbranch_execnz .LBB1114_188
.LBB1114_157:
	s_or_b64 exec, exec, s[4:5]
	v_cmp_gt_u32_e32 vcc, s33, v23
	s_and_saveexec_b64 s[4:5], vcc
	s_cbranch_execz .LBB1114_193
.LBB1114_158:
	v_cmp_ge_u32_e32 vcc, v23, v1
                                        ; implicit-def: $vgpr2_vgpr3
	s_and_saveexec_b64 s[6:7], vcc
	s_xor_b64 s[6:7], exec, s[6:7]
; %bb.159:
	v_xor_b32_e32 v2, 0xfffff7ff, v0
	v_ashrrev_i32_e32 v3, 31, v2
	v_add_co_u32_e32 v2, vcc, v25, v2
	v_addc_co_u32_e32 v3, vcc, v31, v3, vcc
                                        ; implicit-def: $vgpr23
; %bb.160:
	s_andn2_saveexec_b64 s[6:7], s[6:7]
; %bb.161:
	v_add_co_u32_e32 v2, vcc, v17, v23
	v_addc_co_u32_e32 v3, vcc, 0, v4, vcc
; %bb.162:
	s_or_b64 exec, exec, s[6:7]
	v_lshlrev_b64 v[2:3], 2, v[2:3]
	s_waitcnt lgkmcnt(3)
	v_mov_b32_e32 v9, s23
	v_add_co_u32_e32 v2, vcc, s22, v2
	v_addc_co_u32_e32 v3, vcc, v9, v3, vcc
	s_waitcnt lgkmcnt(2)
	global_store_dword v[2:3], v7, off
	s_or_b64 exec, exec, s[4:5]
	v_cmp_gt_u32_e32 vcc, s33, v22
	s_and_saveexec_b64 s[4:5], vcc
	s_cbranch_execnz .LBB1114_194
.LBB1114_163:
	s_or_b64 exec, exec, s[4:5]
	v_cmp_gt_u32_e32 vcc, s33, v21
	s_and_saveexec_b64 s[4:5], vcc
	s_cbranch_execz .LBB1114_199
.LBB1114_164:
	v_cmp_ge_u32_e32 vcc, v21, v1
                                        ; implicit-def: $vgpr2_vgpr3
	s_and_saveexec_b64 s[6:7], vcc
	s_xor_b64 s[6:7], exec, s[6:7]
; %bb.165:
	v_xor_b32_e32 v2, 0xfffff5ff, v0
	v_ashrrev_i32_e32 v3, 31, v2
	v_add_co_u32_e32 v2, vcc, v25, v2
	v_addc_co_u32_e32 v3, vcc, v31, v3, vcc
                                        ; implicit-def: $vgpr21
; %bb.166:
	s_andn2_saveexec_b64 s[6:7], s[6:7]
; %bb.167:
	v_add_co_u32_e32 v2, vcc, v17, v21
	v_addc_co_u32_e32 v3, vcc, 0, v4, vcc
; %bb.168:
	s_or_b64 exec, exec, s[6:7]
	v_lshlrev_b64 v[2:3], 2, v[2:3]
	s_waitcnt lgkmcnt(2)
	v_mov_b32_e32 v7, s23
	v_add_co_u32_e32 v2, vcc, s22, v2
	v_addc_co_u32_e32 v3, vcc, v7, v3, vcc
	s_waitcnt lgkmcnt(1)
	global_store_dword v[2:3], v5, off
	s_or_b64 exec, exec, s[4:5]
	v_cmp_gt_u32_e32 vcc, s33, v20
	s_and_saveexec_b64 s[4:5], vcc
	s_cbranch_execz .LBB1114_205
	s_branch .LBB1114_200
.LBB1114_169:
	s_or_b64 exec, exec, s[4:5]
	v_cmp_gt_u32_e32 vcc, s33, v32
	s_and_saveexec_b64 s[4:5], vcc
	s_cbranch_execz .LBB1114_139
.LBB1114_170:
	v_cmp_ge_u32_e32 vcc, v32, v1
                                        ; implicit-def: $vgpr2_vgpr3
	s_and_saveexec_b64 s[6:7], vcc
	s_xor_b64 s[6:7], exec, s[6:7]
; %bb.171:
	v_xor_b32_e32 v2, 0xfffffeff, v0
	v_ashrrev_i32_e32 v3, 31, v2
	v_add_co_u32_e32 v2, vcc, v25, v2
	v_addc_co_u32_e32 v3, vcc, v31, v3, vcc
                                        ; implicit-def: $vgpr32
; %bb.172:
	s_andn2_saveexec_b64 s[6:7], s[6:7]
; %bb.173:
	v_add_co_u32_e32 v2, vcc, v17, v32
	v_addc_co_u32_e32 v3, vcc, 0, v4, vcc
; %bb.174:
	s_or_b64 exec, exec, s[6:7]
	v_lshlrev_b64 v[2:3], 2, v[2:3]
	s_waitcnt lgkmcnt(6)
	v_mov_b32_e32 v15, s23
	v_add_co_u32_e32 v2, vcc, s22, v2
	v_addc_co_u32_e32 v3, vcc, v15, v3, vcc
	global_store_dword v[2:3], v16, off
	s_or_b64 exec, exec, s[4:5]
	v_cmp_gt_u32_e32 vcc, s33, v30
	s_and_saveexec_b64 s[4:5], vcc
	s_cbranch_execnz .LBB1114_140
.LBB1114_175:
	s_or_b64 exec, exec, s[4:5]
	v_cmp_gt_u32_e32 vcc, s33, v29
	s_and_saveexec_b64 s[4:5], vcc
	s_cbranch_execz .LBB1114_145
.LBB1114_176:
	v_cmp_ge_u32_e32 vcc, v29, v1
                                        ; implicit-def: $vgpr2_vgpr3
	s_and_saveexec_b64 s[6:7], vcc
	s_xor_b64 s[6:7], exec, s[6:7]
; %bb.177:
	v_xor_b32_e32 v2, 0xfffffcff, v0
	v_ashrrev_i32_e32 v3, 31, v2
	v_add_co_u32_e32 v2, vcc, v25, v2
	v_addc_co_u32_e32 v3, vcc, v31, v3, vcc
                                        ; implicit-def: $vgpr29
; %bb.178:
	s_andn2_saveexec_b64 s[6:7], s[6:7]
; %bb.179:
	v_add_co_u32_e32 v2, vcc, v17, v29
	v_addc_co_u32_e32 v3, vcc, 0, v4, vcc
; %bb.180:
	s_or_b64 exec, exec, s[6:7]
	v_lshlrev_b64 v[2:3], 2, v[2:3]
	s_waitcnt lgkmcnt(5)
	v_mov_b32_e32 v13, s23
	v_add_co_u32_e32 v2, vcc, s22, v2
	v_addc_co_u32_e32 v3, vcc, v13, v3, vcc
	global_store_dword v[2:3], v14, off
	s_or_b64 exec, exec, s[4:5]
	v_cmp_gt_u32_e32 vcc, s33, v28
	s_and_saveexec_b64 s[4:5], vcc
	s_cbranch_execnz .LBB1114_146
.LBB1114_181:
	s_or_b64 exec, exec, s[4:5]
	v_cmp_gt_u32_e32 vcc, s33, v27
	s_and_saveexec_b64 s[4:5], vcc
	s_cbranch_execz .LBB1114_151
.LBB1114_182:
	v_cmp_ge_u32_e32 vcc, v27, v1
                                        ; implicit-def: $vgpr2_vgpr3
	s_and_saveexec_b64 s[6:7], vcc
	s_xor_b64 s[6:7], exec, s[6:7]
; %bb.183:
	v_xor_b32_e32 v2, 0xfffffaff, v0
	v_ashrrev_i32_e32 v3, 31, v2
	v_add_co_u32_e32 v2, vcc, v25, v2
	v_addc_co_u32_e32 v3, vcc, v31, v3, vcc
                                        ; implicit-def: $vgpr27
; %bb.184:
	s_andn2_saveexec_b64 s[6:7], s[6:7]
; %bb.185:
	v_add_co_u32_e32 v2, vcc, v17, v27
	v_addc_co_u32_e32 v3, vcc, 0, v4, vcc
; %bb.186:
	s_or_b64 exec, exec, s[6:7]
	v_lshlrev_b64 v[2:3], 2, v[2:3]
	s_waitcnt lgkmcnt(4)
	v_mov_b32_e32 v11, s23
	v_add_co_u32_e32 v2, vcc, s22, v2
	v_addc_co_u32_e32 v3, vcc, v11, v3, vcc
	global_store_dword v[2:3], v12, off
	s_or_b64 exec, exec, s[4:5]
	v_cmp_gt_u32_e32 vcc, s33, v26
	s_and_saveexec_b64 s[4:5], vcc
	s_cbranch_execnz .LBB1114_152
.LBB1114_187:
	s_or_b64 exec, exec, s[4:5]
	v_cmp_gt_u32_e32 vcc, s33, v24
	s_and_saveexec_b64 s[4:5], vcc
	s_cbranch_execz .LBB1114_157
.LBB1114_188:
	v_cmp_ge_u32_e32 vcc, v24, v1
                                        ; implicit-def: $vgpr2_vgpr3
	s_and_saveexec_b64 s[6:7], vcc
	s_xor_b64 s[6:7], exec, s[6:7]
; %bb.189:
	v_xor_b32_e32 v2, 0xfffff8ff, v0
	v_ashrrev_i32_e32 v3, 31, v2
	v_add_co_u32_e32 v2, vcc, v25, v2
	v_addc_co_u32_e32 v3, vcc, v31, v3, vcc
                                        ; implicit-def: $vgpr24
; %bb.190:
	s_andn2_saveexec_b64 s[6:7], s[6:7]
; %bb.191:
	v_add_co_u32_e32 v2, vcc, v17, v24
	v_addc_co_u32_e32 v3, vcc, 0, v4, vcc
; %bb.192:
	s_or_b64 exec, exec, s[6:7]
	v_lshlrev_b64 v[2:3], 2, v[2:3]
	s_waitcnt lgkmcnt(3)
	v_mov_b32_e32 v9, s23
	v_add_co_u32_e32 v2, vcc, s22, v2
	v_addc_co_u32_e32 v3, vcc, v9, v3, vcc
	global_store_dword v[2:3], v10, off
	s_or_b64 exec, exec, s[4:5]
	v_cmp_gt_u32_e32 vcc, s33, v23
	s_and_saveexec_b64 s[4:5], vcc
	s_cbranch_execnz .LBB1114_158
.LBB1114_193:
	s_or_b64 exec, exec, s[4:5]
	v_cmp_gt_u32_e32 vcc, s33, v22
	s_and_saveexec_b64 s[4:5], vcc
	s_cbranch_execz .LBB1114_163
.LBB1114_194:
	v_cmp_ge_u32_e32 vcc, v22, v1
                                        ; implicit-def: $vgpr2_vgpr3
	s_and_saveexec_b64 s[6:7], vcc
	s_xor_b64 s[6:7], exec, s[6:7]
; %bb.195:
	v_xor_b32_e32 v2, 0xfffff6ff, v0
	v_ashrrev_i32_e32 v3, 31, v2
	v_add_co_u32_e32 v2, vcc, v25, v2
	v_addc_co_u32_e32 v3, vcc, v31, v3, vcc
                                        ; implicit-def: $vgpr22
; %bb.196:
	s_andn2_saveexec_b64 s[6:7], s[6:7]
; %bb.197:
	v_add_co_u32_e32 v2, vcc, v17, v22
	v_addc_co_u32_e32 v3, vcc, 0, v4, vcc
; %bb.198:
	s_or_b64 exec, exec, s[6:7]
	v_lshlrev_b64 v[2:3], 2, v[2:3]
	s_waitcnt lgkmcnt(2)
	v_mov_b32_e32 v7, s23
	v_add_co_u32_e32 v2, vcc, s22, v2
	v_addc_co_u32_e32 v3, vcc, v7, v3, vcc
	global_store_dword v[2:3], v8, off
	s_or_b64 exec, exec, s[4:5]
	v_cmp_gt_u32_e32 vcc, s33, v21
	s_and_saveexec_b64 s[4:5], vcc
	s_cbranch_execnz .LBB1114_164
.LBB1114_199:
	s_or_b64 exec, exec, s[4:5]
	v_cmp_gt_u32_e32 vcc, s33, v20
	s_and_saveexec_b64 s[4:5], vcc
	s_cbranch_execz .LBB1114_205
.LBB1114_200:
	v_cmp_ge_u32_e32 vcc, v20, v1
                                        ; implicit-def: $vgpr2_vgpr3
	s_and_saveexec_b64 s[6:7], vcc
	s_xor_b64 s[6:7], exec, s[6:7]
; %bb.201:
	v_xor_b32_e32 v2, 0xfffff4ff, v0
	v_ashrrev_i32_e32 v3, 31, v2
	v_add_co_u32_e32 v2, vcc, v25, v2
	v_addc_co_u32_e32 v3, vcc, v31, v3, vcc
                                        ; implicit-def: $vgpr20
; %bb.202:
	s_andn2_saveexec_b64 s[6:7], s[6:7]
; %bb.203:
	v_add_co_u32_e32 v2, vcc, v17, v20
	v_addc_co_u32_e32 v3, vcc, 0, v4, vcc
; %bb.204:
	s_or_b64 exec, exec, s[6:7]
	v_lshlrev_b64 v[2:3], 2, v[2:3]
	s_waitcnt lgkmcnt(1)
	v_mov_b32_e32 v5, s23
	v_add_co_u32_e32 v2, vcc, s22, v2
	v_addc_co_u32_e32 v3, vcc, v5, v3, vcc
	global_store_dword v[2:3], v6, off
.LBB1114_205:
	s_or_b64 exec, exec, s[4:5]
	v_cmp_gt_u32_e32 vcc, s33, v19
                                        ; implicit-def: $vgpr2_vgpr3
	s_and_saveexec_b64 s[4:5], vcc
	s_cbranch_execz .LBB1114_211
; %bb.206:
	v_cmp_ge_u32_e32 vcc, v19, v1
                                        ; implicit-def: $vgpr2_vgpr3
	s_and_saveexec_b64 s[6:7], vcc
	s_xor_b64 s[6:7], exec, s[6:7]
; %bb.207:
	v_xor_b32_e32 v0, 0xfffff3ff, v0
	v_ashrrev_i32_e32 v3, 31, v0
	v_add_co_u32_e32 v2, vcc, v25, v0
	v_addc_co_u32_e32 v3, vcc, v31, v3, vcc
                                        ; implicit-def: $vgpr19
; %bb.208:
	s_andn2_saveexec_b64 s[6:7], s[6:7]
; %bb.209:
	v_add_co_u32_e32 v2, vcc, v17, v19
	v_addc_co_u32_e32 v3, vcc, 0, v4, vcc
; %bb.210:
	s_or_b64 exec, exec, s[6:7]
	s_or_b64 s[2:3], s[2:3], exec
.LBB1114_211:
	s_or_b64 exec, exec, s[4:5]
	s_and_saveexec_b64 s[4:5], s[2:3]
	s_cbranch_execnz .LBB1114_130
.LBB1114_212:
	s_or_b64 exec, exec, s[4:5]
	s_and_b64 s[0:1], s[0:1], s[26:27]
	s_and_saveexec_b64 s[2:3], s[0:1]
	s_cbranch_execz .LBB1114_131
.LBB1114_213:
	v_add_co_u32_e32 v0, vcc, v17, v1
	v_mov_b32_e32 v2, 0
	v_addc_co_u32_e32 v1, vcc, 0, v4, vcc
	global_store_dwordx2 v2, v[0:1], s[24:25]
	s_endpgm
	.section	.rodata,"a",@progbits
	.p2align	6, 0x0
	.amdhsa_kernel _ZN7rocprim17ROCPRIM_400000_NS6detail17trampoline_kernelINS0_13select_configILj256ELj13ELNS0_17block_load_methodE3ELS4_3ELS4_3ELNS0_20block_scan_algorithmE0ELj4294967295EEENS1_25partition_config_selectorILNS1_17partition_subalgoE3EjNS0_10empty_typeEbEEZZNS1_14partition_implILS8_3ELb0ES6_jNS0_17counting_iteratorIjlEEPS9_SE_NS0_5tupleIJPjSE_EEENSF_IJSE_SE_EEES9_SG_JZNS1_25segmented_radix_sort_implINS0_14default_configELb1EPKdPdPKlPlN2at6native12_GLOBAL__N_18offset_tEEE10hipError_tPvRmT1_PNSt15iterator_traitsISY_E10value_typeET2_T3_PNSZ_IS14_E10value_typeET4_jRbjT5_S1A_jjP12ihipStream_tbEUljE_EEESV_SW_SX_S14_S18_S1A_T6_T7_T9_mT8_S1C_bDpT10_ENKUlT_T0_E_clISt17integral_constantIbLb0EES1O_IbLb1EEEEDaS1K_S1L_EUlS1K_E_NS1_11comp_targetILNS1_3genE2ELNS1_11target_archE906ELNS1_3gpuE6ELNS1_3repE0EEENS1_30default_config_static_selectorELNS0_4arch9wavefront6targetE1EEEvSY_
		.amdhsa_group_segment_fixed_size 13320
		.amdhsa_private_segment_fixed_size 0
		.amdhsa_kernarg_size 152
		.amdhsa_user_sgpr_count 6
		.amdhsa_user_sgpr_private_segment_buffer 1
		.amdhsa_user_sgpr_dispatch_ptr 0
		.amdhsa_user_sgpr_queue_ptr 0
		.amdhsa_user_sgpr_kernarg_segment_ptr 1
		.amdhsa_user_sgpr_dispatch_id 0
		.amdhsa_user_sgpr_flat_scratch_init 0
		.amdhsa_user_sgpr_private_segment_size 0
		.amdhsa_uses_dynamic_stack 0
		.amdhsa_system_sgpr_private_segment_wavefront_offset 0
		.amdhsa_system_sgpr_workgroup_id_x 1
		.amdhsa_system_sgpr_workgroup_id_y 0
		.amdhsa_system_sgpr_workgroup_id_z 0
		.amdhsa_system_sgpr_workgroup_info 0
		.amdhsa_system_vgpr_workitem_id 0
		.amdhsa_next_free_vgpr 71
		.amdhsa_next_free_sgpr 98
		.amdhsa_reserve_vcc 1
		.amdhsa_reserve_flat_scratch 0
		.amdhsa_float_round_mode_32 0
		.amdhsa_float_round_mode_16_64 0
		.amdhsa_float_denorm_mode_32 3
		.amdhsa_float_denorm_mode_16_64 3
		.amdhsa_dx10_clamp 1
		.amdhsa_ieee_mode 1
		.amdhsa_fp16_overflow 0
		.amdhsa_exception_fp_ieee_invalid_op 0
		.amdhsa_exception_fp_denorm_src 0
		.amdhsa_exception_fp_ieee_div_zero 0
		.amdhsa_exception_fp_ieee_overflow 0
		.amdhsa_exception_fp_ieee_underflow 0
		.amdhsa_exception_fp_ieee_inexact 0
		.amdhsa_exception_int_div_zero 0
	.end_amdhsa_kernel
	.section	.text._ZN7rocprim17ROCPRIM_400000_NS6detail17trampoline_kernelINS0_13select_configILj256ELj13ELNS0_17block_load_methodE3ELS4_3ELS4_3ELNS0_20block_scan_algorithmE0ELj4294967295EEENS1_25partition_config_selectorILNS1_17partition_subalgoE3EjNS0_10empty_typeEbEEZZNS1_14partition_implILS8_3ELb0ES6_jNS0_17counting_iteratorIjlEEPS9_SE_NS0_5tupleIJPjSE_EEENSF_IJSE_SE_EEES9_SG_JZNS1_25segmented_radix_sort_implINS0_14default_configELb1EPKdPdPKlPlN2at6native12_GLOBAL__N_18offset_tEEE10hipError_tPvRmT1_PNSt15iterator_traitsISY_E10value_typeET2_T3_PNSZ_IS14_E10value_typeET4_jRbjT5_S1A_jjP12ihipStream_tbEUljE_EEESV_SW_SX_S14_S18_S1A_T6_T7_T9_mT8_S1C_bDpT10_ENKUlT_T0_E_clISt17integral_constantIbLb0EES1O_IbLb1EEEEDaS1K_S1L_EUlS1K_E_NS1_11comp_targetILNS1_3genE2ELNS1_11target_archE906ELNS1_3gpuE6ELNS1_3repE0EEENS1_30default_config_static_selectorELNS0_4arch9wavefront6targetE1EEEvSY_,"axG",@progbits,_ZN7rocprim17ROCPRIM_400000_NS6detail17trampoline_kernelINS0_13select_configILj256ELj13ELNS0_17block_load_methodE3ELS4_3ELS4_3ELNS0_20block_scan_algorithmE0ELj4294967295EEENS1_25partition_config_selectorILNS1_17partition_subalgoE3EjNS0_10empty_typeEbEEZZNS1_14partition_implILS8_3ELb0ES6_jNS0_17counting_iteratorIjlEEPS9_SE_NS0_5tupleIJPjSE_EEENSF_IJSE_SE_EEES9_SG_JZNS1_25segmented_radix_sort_implINS0_14default_configELb1EPKdPdPKlPlN2at6native12_GLOBAL__N_18offset_tEEE10hipError_tPvRmT1_PNSt15iterator_traitsISY_E10value_typeET2_T3_PNSZ_IS14_E10value_typeET4_jRbjT5_S1A_jjP12ihipStream_tbEUljE_EEESV_SW_SX_S14_S18_S1A_T6_T7_T9_mT8_S1C_bDpT10_ENKUlT_T0_E_clISt17integral_constantIbLb0EES1O_IbLb1EEEEDaS1K_S1L_EUlS1K_E_NS1_11comp_targetILNS1_3genE2ELNS1_11target_archE906ELNS1_3gpuE6ELNS1_3repE0EEENS1_30default_config_static_selectorELNS0_4arch9wavefront6targetE1EEEvSY_,comdat
.Lfunc_end1114:
	.size	_ZN7rocprim17ROCPRIM_400000_NS6detail17trampoline_kernelINS0_13select_configILj256ELj13ELNS0_17block_load_methodE3ELS4_3ELS4_3ELNS0_20block_scan_algorithmE0ELj4294967295EEENS1_25partition_config_selectorILNS1_17partition_subalgoE3EjNS0_10empty_typeEbEEZZNS1_14partition_implILS8_3ELb0ES6_jNS0_17counting_iteratorIjlEEPS9_SE_NS0_5tupleIJPjSE_EEENSF_IJSE_SE_EEES9_SG_JZNS1_25segmented_radix_sort_implINS0_14default_configELb1EPKdPdPKlPlN2at6native12_GLOBAL__N_18offset_tEEE10hipError_tPvRmT1_PNSt15iterator_traitsISY_E10value_typeET2_T3_PNSZ_IS14_E10value_typeET4_jRbjT5_S1A_jjP12ihipStream_tbEUljE_EEESV_SW_SX_S14_S18_S1A_T6_T7_T9_mT8_S1C_bDpT10_ENKUlT_T0_E_clISt17integral_constantIbLb0EES1O_IbLb1EEEEDaS1K_S1L_EUlS1K_E_NS1_11comp_targetILNS1_3genE2ELNS1_11target_archE906ELNS1_3gpuE6ELNS1_3repE0EEENS1_30default_config_static_selectorELNS0_4arch9wavefront6targetE1EEEvSY_, .Lfunc_end1114-_ZN7rocprim17ROCPRIM_400000_NS6detail17trampoline_kernelINS0_13select_configILj256ELj13ELNS0_17block_load_methodE3ELS4_3ELS4_3ELNS0_20block_scan_algorithmE0ELj4294967295EEENS1_25partition_config_selectorILNS1_17partition_subalgoE3EjNS0_10empty_typeEbEEZZNS1_14partition_implILS8_3ELb0ES6_jNS0_17counting_iteratorIjlEEPS9_SE_NS0_5tupleIJPjSE_EEENSF_IJSE_SE_EEES9_SG_JZNS1_25segmented_radix_sort_implINS0_14default_configELb1EPKdPdPKlPlN2at6native12_GLOBAL__N_18offset_tEEE10hipError_tPvRmT1_PNSt15iterator_traitsISY_E10value_typeET2_T3_PNSZ_IS14_E10value_typeET4_jRbjT5_S1A_jjP12ihipStream_tbEUljE_EEESV_SW_SX_S14_S18_S1A_T6_T7_T9_mT8_S1C_bDpT10_ENKUlT_T0_E_clISt17integral_constantIbLb0EES1O_IbLb1EEEEDaS1K_S1L_EUlS1K_E_NS1_11comp_targetILNS1_3genE2ELNS1_11target_archE906ELNS1_3gpuE6ELNS1_3repE0EEENS1_30default_config_static_selectorELNS0_4arch9wavefront6targetE1EEEvSY_
                                        ; -- End function
	.set _ZN7rocprim17ROCPRIM_400000_NS6detail17trampoline_kernelINS0_13select_configILj256ELj13ELNS0_17block_load_methodE3ELS4_3ELS4_3ELNS0_20block_scan_algorithmE0ELj4294967295EEENS1_25partition_config_selectorILNS1_17partition_subalgoE3EjNS0_10empty_typeEbEEZZNS1_14partition_implILS8_3ELb0ES6_jNS0_17counting_iteratorIjlEEPS9_SE_NS0_5tupleIJPjSE_EEENSF_IJSE_SE_EEES9_SG_JZNS1_25segmented_radix_sort_implINS0_14default_configELb1EPKdPdPKlPlN2at6native12_GLOBAL__N_18offset_tEEE10hipError_tPvRmT1_PNSt15iterator_traitsISY_E10value_typeET2_T3_PNSZ_IS14_E10value_typeET4_jRbjT5_S1A_jjP12ihipStream_tbEUljE_EEESV_SW_SX_S14_S18_S1A_T6_T7_T9_mT8_S1C_bDpT10_ENKUlT_T0_E_clISt17integral_constantIbLb0EES1O_IbLb1EEEEDaS1K_S1L_EUlS1K_E_NS1_11comp_targetILNS1_3genE2ELNS1_11target_archE906ELNS1_3gpuE6ELNS1_3repE0EEENS1_30default_config_static_selectorELNS0_4arch9wavefront6targetE1EEEvSY_.num_vgpr, 71
	.set _ZN7rocprim17ROCPRIM_400000_NS6detail17trampoline_kernelINS0_13select_configILj256ELj13ELNS0_17block_load_methodE3ELS4_3ELS4_3ELNS0_20block_scan_algorithmE0ELj4294967295EEENS1_25partition_config_selectorILNS1_17partition_subalgoE3EjNS0_10empty_typeEbEEZZNS1_14partition_implILS8_3ELb0ES6_jNS0_17counting_iteratorIjlEEPS9_SE_NS0_5tupleIJPjSE_EEENSF_IJSE_SE_EEES9_SG_JZNS1_25segmented_radix_sort_implINS0_14default_configELb1EPKdPdPKlPlN2at6native12_GLOBAL__N_18offset_tEEE10hipError_tPvRmT1_PNSt15iterator_traitsISY_E10value_typeET2_T3_PNSZ_IS14_E10value_typeET4_jRbjT5_S1A_jjP12ihipStream_tbEUljE_EEESV_SW_SX_S14_S18_S1A_T6_T7_T9_mT8_S1C_bDpT10_ENKUlT_T0_E_clISt17integral_constantIbLb0EES1O_IbLb1EEEEDaS1K_S1L_EUlS1K_E_NS1_11comp_targetILNS1_3genE2ELNS1_11target_archE906ELNS1_3gpuE6ELNS1_3repE0EEENS1_30default_config_static_selectorELNS0_4arch9wavefront6targetE1EEEvSY_.num_agpr, 0
	.set _ZN7rocprim17ROCPRIM_400000_NS6detail17trampoline_kernelINS0_13select_configILj256ELj13ELNS0_17block_load_methodE3ELS4_3ELS4_3ELNS0_20block_scan_algorithmE0ELj4294967295EEENS1_25partition_config_selectorILNS1_17partition_subalgoE3EjNS0_10empty_typeEbEEZZNS1_14partition_implILS8_3ELb0ES6_jNS0_17counting_iteratorIjlEEPS9_SE_NS0_5tupleIJPjSE_EEENSF_IJSE_SE_EEES9_SG_JZNS1_25segmented_radix_sort_implINS0_14default_configELb1EPKdPdPKlPlN2at6native12_GLOBAL__N_18offset_tEEE10hipError_tPvRmT1_PNSt15iterator_traitsISY_E10value_typeET2_T3_PNSZ_IS14_E10value_typeET4_jRbjT5_S1A_jjP12ihipStream_tbEUljE_EEESV_SW_SX_S14_S18_S1A_T6_T7_T9_mT8_S1C_bDpT10_ENKUlT_T0_E_clISt17integral_constantIbLb0EES1O_IbLb1EEEEDaS1K_S1L_EUlS1K_E_NS1_11comp_targetILNS1_3genE2ELNS1_11target_archE906ELNS1_3gpuE6ELNS1_3repE0EEENS1_30default_config_static_selectorELNS0_4arch9wavefront6targetE1EEEvSY_.numbered_sgpr, 46
	.set _ZN7rocprim17ROCPRIM_400000_NS6detail17trampoline_kernelINS0_13select_configILj256ELj13ELNS0_17block_load_methodE3ELS4_3ELS4_3ELNS0_20block_scan_algorithmE0ELj4294967295EEENS1_25partition_config_selectorILNS1_17partition_subalgoE3EjNS0_10empty_typeEbEEZZNS1_14partition_implILS8_3ELb0ES6_jNS0_17counting_iteratorIjlEEPS9_SE_NS0_5tupleIJPjSE_EEENSF_IJSE_SE_EEES9_SG_JZNS1_25segmented_radix_sort_implINS0_14default_configELb1EPKdPdPKlPlN2at6native12_GLOBAL__N_18offset_tEEE10hipError_tPvRmT1_PNSt15iterator_traitsISY_E10value_typeET2_T3_PNSZ_IS14_E10value_typeET4_jRbjT5_S1A_jjP12ihipStream_tbEUljE_EEESV_SW_SX_S14_S18_S1A_T6_T7_T9_mT8_S1C_bDpT10_ENKUlT_T0_E_clISt17integral_constantIbLb0EES1O_IbLb1EEEEDaS1K_S1L_EUlS1K_E_NS1_11comp_targetILNS1_3genE2ELNS1_11target_archE906ELNS1_3gpuE6ELNS1_3repE0EEENS1_30default_config_static_selectorELNS0_4arch9wavefront6targetE1EEEvSY_.num_named_barrier, 0
	.set _ZN7rocprim17ROCPRIM_400000_NS6detail17trampoline_kernelINS0_13select_configILj256ELj13ELNS0_17block_load_methodE3ELS4_3ELS4_3ELNS0_20block_scan_algorithmE0ELj4294967295EEENS1_25partition_config_selectorILNS1_17partition_subalgoE3EjNS0_10empty_typeEbEEZZNS1_14partition_implILS8_3ELb0ES6_jNS0_17counting_iteratorIjlEEPS9_SE_NS0_5tupleIJPjSE_EEENSF_IJSE_SE_EEES9_SG_JZNS1_25segmented_radix_sort_implINS0_14default_configELb1EPKdPdPKlPlN2at6native12_GLOBAL__N_18offset_tEEE10hipError_tPvRmT1_PNSt15iterator_traitsISY_E10value_typeET2_T3_PNSZ_IS14_E10value_typeET4_jRbjT5_S1A_jjP12ihipStream_tbEUljE_EEESV_SW_SX_S14_S18_S1A_T6_T7_T9_mT8_S1C_bDpT10_ENKUlT_T0_E_clISt17integral_constantIbLb0EES1O_IbLb1EEEEDaS1K_S1L_EUlS1K_E_NS1_11comp_targetILNS1_3genE2ELNS1_11target_archE906ELNS1_3gpuE6ELNS1_3repE0EEENS1_30default_config_static_selectorELNS0_4arch9wavefront6targetE1EEEvSY_.private_seg_size, 0
	.set _ZN7rocprim17ROCPRIM_400000_NS6detail17trampoline_kernelINS0_13select_configILj256ELj13ELNS0_17block_load_methodE3ELS4_3ELS4_3ELNS0_20block_scan_algorithmE0ELj4294967295EEENS1_25partition_config_selectorILNS1_17partition_subalgoE3EjNS0_10empty_typeEbEEZZNS1_14partition_implILS8_3ELb0ES6_jNS0_17counting_iteratorIjlEEPS9_SE_NS0_5tupleIJPjSE_EEENSF_IJSE_SE_EEES9_SG_JZNS1_25segmented_radix_sort_implINS0_14default_configELb1EPKdPdPKlPlN2at6native12_GLOBAL__N_18offset_tEEE10hipError_tPvRmT1_PNSt15iterator_traitsISY_E10value_typeET2_T3_PNSZ_IS14_E10value_typeET4_jRbjT5_S1A_jjP12ihipStream_tbEUljE_EEESV_SW_SX_S14_S18_S1A_T6_T7_T9_mT8_S1C_bDpT10_ENKUlT_T0_E_clISt17integral_constantIbLb0EES1O_IbLb1EEEEDaS1K_S1L_EUlS1K_E_NS1_11comp_targetILNS1_3genE2ELNS1_11target_archE906ELNS1_3gpuE6ELNS1_3repE0EEENS1_30default_config_static_selectorELNS0_4arch9wavefront6targetE1EEEvSY_.uses_vcc, 1
	.set _ZN7rocprim17ROCPRIM_400000_NS6detail17trampoline_kernelINS0_13select_configILj256ELj13ELNS0_17block_load_methodE3ELS4_3ELS4_3ELNS0_20block_scan_algorithmE0ELj4294967295EEENS1_25partition_config_selectorILNS1_17partition_subalgoE3EjNS0_10empty_typeEbEEZZNS1_14partition_implILS8_3ELb0ES6_jNS0_17counting_iteratorIjlEEPS9_SE_NS0_5tupleIJPjSE_EEENSF_IJSE_SE_EEES9_SG_JZNS1_25segmented_radix_sort_implINS0_14default_configELb1EPKdPdPKlPlN2at6native12_GLOBAL__N_18offset_tEEE10hipError_tPvRmT1_PNSt15iterator_traitsISY_E10value_typeET2_T3_PNSZ_IS14_E10value_typeET4_jRbjT5_S1A_jjP12ihipStream_tbEUljE_EEESV_SW_SX_S14_S18_S1A_T6_T7_T9_mT8_S1C_bDpT10_ENKUlT_T0_E_clISt17integral_constantIbLb0EES1O_IbLb1EEEEDaS1K_S1L_EUlS1K_E_NS1_11comp_targetILNS1_3genE2ELNS1_11target_archE906ELNS1_3gpuE6ELNS1_3repE0EEENS1_30default_config_static_selectorELNS0_4arch9wavefront6targetE1EEEvSY_.uses_flat_scratch, 0
	.set _ZN7rocprim17ROCPRIM_400000_NS6detail17trampoline_kernelINS0_13select_configILj256ELj13ELNS0_17block_load_methodE3ELS4_3ELS4_3ELNS0_20block_scan_algorithmE0ELj4294967295EEENS1_25partition_config_selectorILNS1_17partition_subalgoE3EjNS0_10empty_typeEbEEZZNS1_14partition_implILS8_3ELb0ES6_jNS0_17counting_iteratorIjlEEPS9_SE_NS0_5tupleIJPjSE_EEENSF_IJSE_SE_EEES9_SG_JZNS1_25segmented_radix_sort_implINS0_14default_configELb1EPKdPdPKlPlN2at6native12_GLOBAL__N_18offset_tEEE10hipError_tPvRmT1_PNSt15iterator_traitsISY_E10value_typeET2_T3_PNSZ_IS14_E10value_typeET4_jRbjT5_S1A_jjP12ihipStream_tbEUljE_EEESV_SW_SX_S14_S18_S1A_T6_T7_T9_mT8_S1C_bDpT10_ENKUlT_T0_E_clISt17integral_constantIbLb0EES1O_IbLb1EEEEDaS1K_S1L_EUlS1K_E_NS1_11comp_targetILNS1_3genE2ELNS1_11target_archE906ELNS1_3gpuE6ELNS1_3repE0EEENS1_30default_config_static_selectorELNS0_4arch9wavefront6targetE1EEEvSY_.has_dyn_sized_stack, 0
	.set _ZN7rocprim17ROCPRIM_400000_NS6detail17trampoline_kernelINS0_13select_configILj256ELj13ELNS0_17block_load_methodE3ELS4_3ELS4_3ELNS0_20block_scan_algorithmE0ELj4294967295EEENS1_25partition_config_selectorILNS1_17partition_subalgoE3EjNS0_10empty_typeEbEEZZNS1_14partition_implILS8_3ELb0ES6_jNS0_17counting_iteratorIjlEEPS9_SE_NS0_5tupleIJPjSE_EEENSF_IJSE_SE_EEES9_SG_JZNS1_25segmented_radix_sort_implINS0_14default_configELb1EPKdPdPKlPlN2at6native12_GLOBAL__N_18offset_tEEE10hipError_tPvRmT1_PNSt15iterator_traitsISY_E10value_typeET2_T3_PNSZ_IS14_E10value_typeET4_jRbjT5_S1A_jjP12ihipStream_tbEUljE_EEESV_SW_SX_S14_S18_S1A_T6_T7_T9_mT8_S1C_bDpT10_ENKUlT_T0_E_clISt17integral_constantIbLb0EES1O_IbLb1EEEEDaS1K_S1L_EUlS1K_E_NS1_11comp_targetILNS1_3genE2ELNS1_11target_archE906ELNS1_3gpuE6ELNS1_3repE0EEENS1_30default_config_static_selectorELNS0_4arch9wavefront6targetE1EEEvSY_.has_recursion, 0
	.set _ZN7rocprim17ROCPRIM_400000_NS6detail17trampoline_kernelINS0_13select_configILj256ELj13ELNS0_17block_load_methodE3ELS4_3ELS4_3ELNS0_20block_scan_algorithmE0ELj4294967295EEENS1_25partition_config_selectorILNS1_17partition_subalgoE3EjNS0_10empty_typeEbEEZZNS1_14partition_implILS8_3ELb0ES6_jNS0_17counting_iteratorIjlEEPS9_SE_NS0_5tupleIJPjSE_EEENSF_IJSE_SE_EEES9_SG_JZNS1_25segmented_radix_sort_implINS0_14default_configELb1EPKdPdPKlPlN2at6native12_GLOBAL__N_18offset_tEEE10hipError_tPvRmT1_PNSt15iterator_traitsISY_E10value_typeET2_T3_PNSZ_IS14_E10value_typeET4_jRbjT5_S1A_jjP12ihipStream_tbEUljE_EEESV_SW_SX_S14_S18_S1A_T6_T7_T9_mT8_S1C_bDpT10_ENKUlT_T0_E_clISt17integral_constantIbLb0EES1O_IbLb1EEEEDaS1K_S1L_EUlS1K_E_NS1_11comp_targetILNS1_3genE2ELNS1_11target_archE906ELNS1_3gpuE6ELNS1_3repE0EEENS1_30default_config_static_selectorELNS0_4arch9wavefront6targetE1EEEvSY_.has_indirect_call, 0
	.section	.AMDGPU.csdata,"",@progbits
; Kernel info:
; codeLenInByte = 7548
; TotalNumSgprs: 50
; NumVgprs: 71
; ScratchSize: 0
; MemoryBound: 0
; FloatMode: 240
; IeeeMode: 1
; LDSByteSize: 13320 bytes/workgroup (compile time only)
; SGPRBlocks: 12
; VGPRBlocks: 17
; NumSGPRsForWavesPerEU: 102
; NumVGPRsForWavesPerEU: 71
; Occupancy: 3
; WaveLimiterHint : 0
; COMPUTE_PGM_RSRC2:SCRATCH_EN: 0
; COMPUTE_PGM_RSRC2:USER_SGPR: 6
; COMPUTE_PGM_RSRC2:TRAP_HANDLER: 0
; COMPUTE_PGM_RSRC2:TGID_X_EN: 1
; COMPUTE_PGM_RSRC2:TGID_Y_EN: 0
; COMPUTE_PGM_RSRC2:TGID_Z_EN: 0
; COMPUTE_PGM_RSRC2:TIDIG_COMP_CNT: 0
	.section	.text._ZN7rocprim17ROCPRIM_400000_NS6detail17trampoline_kernelINS0_13select_configILj256ELj13ELNS0_17block_load_methodE3ELS4_3ELS4_3ELNS0_20block_scan_algorithmE0ELj4294967295EEENS1_25partition_config_selectorILNS1_17partition_subalgoE3EjNS0_10empty_typeEbEEZZNS1_14partition_implILS8_3ELb0ES6_jNS0_17counting_iteratorIjlEEPS9_SE_NS0_5tupleIJPjSE_EEENSF_IJSE_SE_EEES9_SG_JZNS1_25segmented_radix_sort_implINS0_14default_configELb1EPKdPdPKlPlN2at6native12_GLOBAL__N_18offset_tEEE10hipError_tPvRmT1_PNSt15iterator_traitsISY_E10value_typeET2_T3_PNSZ_IS14_E10value_typeET4_jRbjT5_S1A_jjP12ihipStream_tbEUljE_EEESV_SW_SX_S14_S18_S1A_T6_T7_T9_mT8_S1C_bDpT10_ENKUlT_T0_E_clISt17integral_constantIbLb0EES1O_IbLb1EEEEDaS1K_S1L_EUlS1K_E_NS1_11comp_targetILNS1_3genE10ELNS1_11target_archE1200ELNS1_3gpuE4ELNS1_3repE0EEENS1_30default_config_static_selectorELNS0_4arch9wavefront6targetE1EEEvSY_,"axG",@progbits,_ZN7rocprim17ROCPRIM_400000_NS6detail17trampoline_kernelINS0_13select_configILj256ELj13ELNS0_17block_load_methodE3ELS4_3ELS4_3ELNS0_20block_scan_algorithmE0ELj4294967295EEENS1_25partition_config_selectorILNS1_17partition_subalgoE3EjNS0_10empty_typeEbEEZZNS1_14partition_implILS8_3ELb0ES6_jNS0_17counting_iteratorIjlEEPS9_SE_NS0_5tupleIJPjSE_EEENSF_IJSE_SE_EEES9_SG_JZNS1_25segmented_radix_sort_implINS0_14default_configELb1EPKdPdPKlPlN2at6native12_GLOBAL__N_18offset_tEEE10hipError_tPvRmT1_PNSt15iterator_traitsISY_E10value_typeET2_T3_PNSZ_IS14_E10value_typeET4_jRbjT5_S1A_jjP12ihipStream_tbEUljE_EEESV_SW_SX_S14_S18_S1A_T6_T7_T9_mT8_S1C_bDpT10_ENKUlT_T0_E_clISt17integral_constantIbLb0EES1O_IbLb1EEEEDaS1K_S1L_EUlS1K_E_NS1_11comp_targetILNS1_3genE10ELNS1_11target_archE1200ELNS1_3gpuE4ELNS1_3repE0EEENS1_30default_config_static_selectorELNS0_4arch9wavefront6targetE1EEEvSY_,comdat
	.globl	_ZN7rocprim17ROCPRIM_400000_NS6detail17trampoline_kernelINS0_13select_configILj256ELj13ELNS0_17block_load_methodE3ELS4_3ELS4_3ELNS0_20block_scan_algorithmE0ELj4294967295EEENS1_25partition_config_selectorILNS1_17partition_subalgoE3EjNS0_10empty_typeEbEEZZNS1_14partition_implILS8_3ELb0ES6_jNS0_17counting_iteratorIjlEEPS9_SE_NS0_5tupleIJPjSE_EEENSF_IJSE_SE_EEES9_SG_JZNS1_25segmented_radix_sort_implINS0_14default_configELb1EPKdPdPKlPlN2at6native12_GLOBAL__N_18offset_tEEE10hipError_tPvRmT1_PNSt15iterator_traitsISY_E10value_typeET2_T3_PNSZ_IS14_E10value_typeET4_jRbjT5_S1A_jjP12ihipStream_tbEUljE_EEESV_SW_SX_S14_S18_S1A_T6_T7_T9_mT8_S1C_bDpT10_ENKUlT_T0_E_clISt17integral_constantIbLb0EES1O_IbLb1EEEEDaS1K_S1L_EUlS1K_E_NS1_11comp_targetILNS1_3genE10ELNS1_11target_archE1200ELNS1_3gpuE4ELNS1_3repE0EEENS1_30default_config_static_selectorELNS0_4arch9wavefront6targetE1EEEvSY_ ; -- Begin function _ZN7rocprim17ROCPRIM_400000_NS6detail17trampoline_kernelINS0_13select_configILj256ELj13ELNS0_17block_load_methodE3ELS4_3ELS4_3ELNS0_20block_scan_algorithmE0ELj4294967295EEENS1_25partition_config_selectorILNS1_17partition_subalgoE3EjNS0_10empty_typeEbEEZZNS1_14partition_implILS8_3ELb0ES6_jNS0_17counting_iteratorIjlEEPS9_SE_NS0_5tupleIJPjSE_EEENSF_IJSE_SE_EEES9_SG_JZNS1_25segmented_radix_sort_implINS0_14default_configELb1EPKdPdPKlPlN2at6native12_GLOBAL__N_18offset_tEEE10hipError_tPvRmT1_PNSt15iterator_traitsISY_E10value_typeET2_T3_PNSZ_IS14_E10value_typeET4_jRbjT5_S1A_jjP12ihipStream_tbEUljE_EEESV_SW_SX_S14_S18_S1A_T6_T7_T9_mT8_S1C_bDpT10_ENKUlT_T0_E_clISt17integral_constantIbLb0EES1O_IbLb1EEEEDaS1K_S1L_EUlS1K_E_NS1_11comp_targetILNS1_3genE10ELNS1_11target_archE1200ELNS1_3gpuE4ELNS1_3repE0EEENS1_30default_config_static_selectorELNS0_4arch9wavefront6targetE1EEEvSY_
	.p2align	8
	.type	_ZN7rocprim17ROCPRIM_400000_NS6detail17trampoline_kernelINS0_13select_configILj256ELj13ELNS0_17block_load_methodE3ELS4_3ELS4_3ELNS0_20block_scan_algorithmE0ELj4294967295EEENS1_25partition_config_selectorILNS1_17partition_subalgoE3EjNS0_10empty_typeEbEEZZNS1_14partition_implILS8_3ELb0ES6_jNS0_17counting_iteratorIjlEEPS9_SE_NS0_5tupleIJPjSE_EEENSF_IJSE_SE_EEES9_SG_JZNS1_25segmented_radix_sort_implINS0_14default_configELb1EPKdPdPKlPlN2at6native12_GLOBAL__N_18offset_tEEE10hipError_tPvRmT1_PNSt15iterator_traitsISY_E10value_typeET2_T3_PNSZ_IS14_E10value_typeET4_jRbjT5_S1A_jjP12ihipStream_tbEUljE_EEESV_SW_SX_S14_S18_S1A_T6_T7_T9_mT8_S1C_bDpT10_ENKUlT_T0_E_clISt17integral_constantIbLb0EES1O_IbLb1EEEEDaS1K_S1L_EUlS1K_E_NS1_11comp_targetILNS1_3genE10ELNS1_11target_archE1200ELNS1_3gpuE4ELNS1_3repE0EEENS1_30default_config_static_selectorELNS0_4arch9wavefront6targetE1EEEvSY_,@function
_ZN7rocprim17ROCPRIM_400000_NS6detail17trampoline_kernelINS0_13select_configILj256ELj13ELNS0_17block_load_methodE3ELS4_3ELS4_3ELNS0_20block_scan_algorithmE0ELj4294967295EEENS1_25partition_config_selectorILNS1_17partition_subalgoE3EjNS0_10empty_typeEbEEZZNS1_14partition_implILS8_3ELb0ES6_jNS0_17counting_iteratorIjlEEPS9_SE_NS0_5tupleIJPjSE_EEENSF_IJSE_SE_EEES9_SG_JZNS1_25segmented_radix_sort_implINS0_14default_configELb1EPKdPdPKlPlN2at6native12_GLOBAL__N_18offset_tEEE10hipError_tPvRmT1_PNSt15iterator_traitsISY_E10value_typeET2_T3_PNSZ_IS14_E10value_typeET4_jRbjT5_S1A_jjP12ihipStream_tbEUljE_EEESV_SW_SX_S14_S18_S1A_T6_T7_T9_mT8_S1C_bDpT10_ENKUlT_T0_E_clISt17integral_constantIbLb0EES1O_IbLb1EEEEDaS1K_S1L_EUlS1K_E_NS1_11comp_targetILNS1_3genE10ELNS1_11target_archE1200ELNS1_3gpuE4ELNS1_3repE0EEENS1_30default_config_static_selectorELNS0_4arch9wavefront6targetE1EEEvSY_: ; @_ZN7rocprim17ROCPRIM_400000_NS6detail17trampoline_kernelINS0_13select_configILj256ELj13ELNS0_17block_load_methodE3ELS4_3ELS4_3ELNS0_20block_scan_algorithmE0ELj4294967295EEENS1_25partition_config_selectorILNS1_17partition_subalgoE3EjNS0_10empty_typeEbEEZZNS1_14partition_implILS8_3ELb0ES6_jNS0_17counting_iteratorIjlEEPS9_SE_NS0_5tupleIJPjSE_EEENSF_IJSE_SE_EEES9_SG_JZNS1_25segmented_radix_sort_implINS0_14default_configELb1EPKdPdPKlPlN2at6native12_GLOBAL__N_18offset_tEEE10hipError_tPvRmT1_PNSt15iterator_traitsISY_E10value_typeET2_T3_PNSZ_IS14_E10value_typeET4_jRbjT5_S1A_jjP12ihipStream_tbEUljE_EEESV_SW_SX_S14_S18_S1A_T6_T7_T9_mT8_S1C_bDpT10_ENKUlT_T0_E_clISt17integral_constantIbLb0EES1O_IbLb1EEEEDaS1K_S1L_EUlS1K_E_NS1_11comp_targetILNS1_3genE10ELNS1_11target_archE1200ELNS1_3gpuE4ELNS1_3repE0EEENS1_30default_config_static_selectorELNS0_4arch9wavefront6targetE1EEEvSY_
; %bb.0:
	.section	.rodata,"a",@progbits
	.p2align	6, 0x0
	.amdhsa_kernel _ZN7rocprim17ROCPRIM_400000_NS6detail17trampoline_kernelINS0_13select_configILj256ELj13ELNS0_17block_load_methodE3ELS4_3ELS4_3ELNS0_20block_scan_algorithmE0ELj4294967295EEENS1_25partition_config_selectorILNS1_17partition_subalgoE3EjNS0_10empty_typeEbEEZZNS1_14partition_implILS8_3ELb0ES6_jNS0_17counting_iteratorIjlEEPS9_SE_NS0_5tupleIJPjSE_EEENSF_IJSE_SE_EEES9_SG_JZNS1_25segmented_radix_sort_implINS0_14default_configELb1EPKdPdPKlPlN2at6native12_GLOBAL__N_18offset_tEEE10hipError_tPvRmT1_PNSt15iterator_traitsISY_E10value_typeET2_T3_PNSZ_IS14_E10value_typeET4_jRbjT5_S1A_jjP12ihipStream_tbEUljE_EEESV_SW_SX_S14_S18_S1A_T6_T7_T9_mT8_S1C_bDpT10_ENKUlT_T0_E_clISt17integral_constantIbLb0EES1O_IbLb1EEEEDaS1K_S1L_EUlS1K_E_NS1_11comp_targetILNS1_3genE10ELNS1_11target_archE1200ELNS1_3gpuE4ELNS1_3repE0EEENS1_30default_config_static_selectorELNS0_4arch9wavefront6targetE1EEEvSY_
		.amdhsa_group_segment_fixed_size 0
		.amdhsa_private_segment_fixed_size 0
		.amdhsa_kernarg_size 152
		.amdhsa_user_sgpr_count 6
		.amdhsa_user_sgpr_private_segment_buffer 1
		.amdhsa_user_sgpr_dispatch_ptr 0
		.amdhsa_user_sgpr_queue_ptr 0
		.amdhsa_user_sgpr_kernarg_segment_ptr 1
		.amdhsa_user_sgpr_dispatch_id 0
		.amdhsa_user_sgpr_flat_scratch_init 0
		.amdhsa_user_sgpr_private_segment_size 0
		.amdhsa_uses_dynamic_stack 0
		.amdhsa_system_sgpr_private_segment_wavefront_offset 0
		.amdhsa_system_sgpr_workgroup_id_x 1
		.amdhsa_system_sgpr_workgroup_id_y 0
		.amdhsa_system_sgpr_workgroup_id_z 0
		.amdhsa_system_sgpr_workgroup_info 0
		.amdhsa_system_vgpr_workitem_id 0
		.amdhsa_next_free_vgpr 1
		.amdhsa_next_free_sgpr 0
		.amdhsa_reserve_vcc 0
		.amdhsa_reserve_flat_scratch 0
		.amdhsa_float_round_mode_32 0
		.amdhsa_float_round_mode_16_64 0
		.amdhsa_float_denorm_mode_32 3
		.amdhsa_float_denorm_mode_16_64 3
		.amdhsa_dx10_clamp 1
		.amdhsa_ieee_mode 1
		.amdhsa_fp16_overflow 0
		.amdhsa_exception_fp_ieee_invalid_op 0
		.amdhsa_exception_fp_denorm_src 0
		.amdhsa_exception_fp_ieee_div_zero 0
		.amdhsa_exception_fp_ieee_overflow 0
		.amdhsa_exception_fp_ieee_underflow 0
		.amdhsa_exception_fp_ieee_inexact 0
		.amdhsa_exception_int_div_zero 0
	.end_amdhsa_kernel
	.section	.text._ZN7rocprim17ROCPRIM_400000_NS6detail17trampoline_kernelINS0_13select_configILj256ELj13ELNS0_17block_load_methodE3ELS4_3ELS4_3ELNS0_20block_scan_algorithmE0ELj4294967295EEENS1_25partition_config_selectorILNS1_17partition_subalgoE3EjNS0_10empty_typeEbEEZZNS1_14partition_implILS8_3ELb0ES6_jNS0_17counting_iteratorIjlEEPS9_SE_NS0_5tupleIJPjSE_EEENSF_IJSE_SE_EEES9_SG_JZNS1_25segmented_radix_sort_implINS0_14default_configELb1EPKdPdPKlPlN2at6native12_GLOBAL__N_18offset_tEEE10hipError_tPvRmT1_PNSt15iterator_traitsISY_E10value_typeET2_T3_PNSZ_IS14_E10value_typeET4_jRbjT5_S1A_jjP12ihipStream_tbEUljE_EEESV_SW_SX_S14_S18_S1A_T6_T7_T9_mT8_S1C_bDpT10_ENKUlT_T0_E_clISt17integral_constantIbLb0EES1O_IbLb1EEEEDaS1K_S1L_EUlS1K_E_NS1_11comp_targetILNS1_3genE10ELNS1_11target_archE1200ELNS1_3gpuE4ELNS1_3repE0EEENS1_30default_config_static_selectorELNS0_4arch9wavefront6targetE1EEEvSY_,"axG",@progbits,_ZN7rocprim17ROCPRIM_400000_NS6detail17trampoline_kernelINS0_13select_configILj256ELj13ELNS0_17block_load_methodE3ELS4_3ELS4_3ELNS0_20block_scan_algorithmE0ELj4294967295EEENS1_25partition_config_selectorILNS1_17partition_subalgoE3EjNS0_10empty_typeEbEEZZNS1_14partition_implILS8_3ELb0ES6_jNS0_17counting_iteratorIjlEEPS9_SE_NS0_5tupleIJPjSE_EEENSF_IJSE_SE_EEES9_SG_JZNS1_25segmented_radix_sort_implINS0_14default_configELb1EPKdPdPKlPlN2at6native12_GLOBAL__N_18offset_tEEE10hipError_tPvRmT1_PNSt15iterator_traitsISY_E10value_typeET2_T3_PNSZ_IS14_E10value_typeET4_jRbjT5_S1A_jjP12ihipStream_tbEUljE_EEESV_SW_SX_S14_S18_S1A_T6_T7_T9_mT8_S1C_bDpT10_ENKUlT_T0_E_clISt17integral_constantIbLb0EES1O_IbLb1EEEEDaS1K_S1L_EUlS1K_E_NS1_11comp_targetILNS1_3genE10ELNS1_11target_archE1200ELNS1_3gpuE4ELNS1_3repE0EEENS1_30default_config_static_selectorELNS0_4arch9wavefront6targetE1EEEvSY_,comdat
.Lfunc_end1115:
	.size	_ZN7rocprim17ROCPRIM_400000_NS6detail17trampoline_kernelINS0_13select_configILj256ELj13ELNS0_17block_load_methodE3ELS4_3ELS4_3ELNS0_20block_scan_algorithmE0ELj4294967295EEENS1_25partition_config_selectorILNS1_17partition_subalgoE3EjNS0_10empty_typeEbEEZZNS1_14partition_implILS8_3ELb0ES6_jNS0_17counting_iteratorIjlEEPS9_SE_NS0_5tupleIJPjSE_EEENSF_IJSE_SE_EEES9_SG_JZNS1_25segmented_radix_sort_implINS0_14default_configELb1EPKdPdPKlPlN2at6native12_GLOBAL__N_18offset_tEEE10hipError_tPvRmT1_PNSt15iterator_traitsISY_E10value_typeET2_T3_PNSZ_IS14_E10value_typeET4_jRbjT5_S1A_jjP12ihipStream_tbEUljE_EEESV_SW_SX_S14_S18_S1A_T6_T7_T9_mT8_S1C_bDpT10_ENKUlT_T0_E_clISt17integral_constantIbLb0EES1O_IbLb1EEEEDaS1K_S1L_EUlS1K_E_NS1_11comp_targetILNS1_3genE10ELNS1_11target_archE1200ELNS1_3gpuE4ELNS1_3repE0EEENS1_30default_config_static_selectorELNS0_4arch9wavefront6targetE1EEEvSY_, .Lfunc_end1115-_ZN7rocprim17ROCPRIM_400000_NS6detail17trampoline_kernelINS0_13select_configILj256ELj13ELNS0_17block_load_methodE3ELS4_3ELS4_3ELNS0_20block_scan_algorithmE0ELj4294967295EEENS1_25partition_config_selectorILNS1_17partition_subalgoE3EjNS0_10empty_typeEbEEZZNS1_14partition_implILS8_3ELb0ES6_jNS0_17counting_iteratorIjlEEPS9_SE_NS0_5tupleIJPjSE_EEENSF_IJSE_SE_EEES9_SG_JZNS1_25segmented_radix_sort_implINS0_14default_configELb1EPKdPdPKlPlN2at6native12_GLOBAL__N_18offset_tEEE10hipError_tPvRmT1_PNSt15iterator_traitsISY_E10value_typeET2_T3_PNSZ_IS14_E10value_typeET4_jRbjT5_S1A_jjP12ihipStream_tbEUljE_EEESV_SW_SX_S14_S18_S1A_T6_T7_T9_mT8_S1C_bDpT10_ENKUlT_T0_E_clISt17integral_constantIbLb0EES1O_IbLb1EEEEDaS1K_S1L_EUlS1K_E_NS1_11comp_targetILNS1_3genE10ELNS1_11target_archE1200ELNS1_3gpuE4ELNS1_3repE0EEENS1_30default_config_static_selectorELNS0_4arch9wavefront6targetE1EEEvSY_
                                        ; -- End function
	.set _ZN7rocprim17ROCPRIM_400000_NS6detail17trampoline_kernelINS0_13select_configILj256ELj13ELNS0_17block_load_methodE3ELS4_3ELS4_3ELNS0_20block_scan_algorithmE0ELj4294967295EEENS1_25partition_config_selectorILNS1_17partition_subalgoE3EjNS0_10empty_typeEbEEZZNS1_14partition_implILS8_3ELb0ES6_jNS0_17counting_iteratorIjlEEPS9_SE_NS0_5tupleIJPjSE_EEENSF_IJSE_SE_EEES9_SG_JZNS1_25segmented_radix_sort_implINS0_14default_configELb1EPKdPdPKlPlN2at6native12_GLOBAL__N_18offset_tEEE10hipError_tPvRmT1_PNSt15iterator_traitsISY_E10value_typeET2_T3_PNSZ_IS14_E10value_typeET4_jRbjT5_S1A_jjP12ihipStream_tbEUljE_EEESV_SW_SX_S14_S18_S1A_T6_T7_T9_mT8_S1C_bDpT10_ENKUlT_T0_E_clISt17integral_constantIbLb0EES1O_IbLb1EEEEDaS1K_S1L_EUlS1K_E_NS1_11comp_targetILNS1_3genE10ELNS1_11target_archE1200ELNS1_3gpuE4ELNS1_3repE0EEENS1_30default_config_static_selectorELNS0_4arch9wavefront6targetE1EEEvSY_.num_vgpr, 0
	.set _ZN7rocprim17ROCPRIM_400000_NS6detail17trampoline_kernelINS0_13select_configILj256ELj13ELNS0_17block_load_methodE3ELS4_3ELS4_3ELNS0_20block_scan_algorithmE0ELj4294967295EEENS1_25partition_config_selectorILNS1_17partition_subalgoE3EjNS0_10empty_typeEbEEZZNS1_14partition_implILS8_3ELb0ES6_jNS0_17counting_iteratorIjlEEPS9_SE_NS0_5tupleIJPjSE_EEENSF_IJSE_SE_EEES9_SG_JZNS1_25segmented_radix_sort_implINS0_14default_configELb1EPKdPdPKlPlN2at6native12_GLOBAL__N_18offset_tEEE10hipError_tPvRmT1_PNSt15iterator_traitsISY_E10value_typeET2_T3_PNSZ_IS14_E10value_typeET4_jRbjT5_S1A_jjP12ihipStream_tbEUljE_EEESV_SW_SX_S14_S18_S1A_T6_T7_T9_mT8_S1C_bDpT10_ENKUlT_T0_E_clISt17integral_constantIbLb0EES1O_IbLb1EEEEDaS1K_S1L_EUlS1K_E_NS1_11comp_targetILNS1_3genE10ELNS1_11target_archE1200ELNS1_3gpuE4ELNS1_3repE0EEENS1_30default_config_static_selectorELNS0_4arch9wavefront6targetE1EEEvSY_.num_agpr, 0
	.set _ZN7rocprim17ROCPRIM_400000_NS6detail17trampoline_kernelINS0_13select_configILj256ELj13ELNS0_17block_load_methodE3ELS4_3ELS4_3ELNS0_20block_scan_algorithmE0ELj4294967295EEENS1_25partition_config_selectorILNS1_17partition_subalgoE3EjNS0_10empty_typeEbEEZZNS1_14partition_implILS8_3ELb0ES6_jNS0_17counting_iteratorIjlEEPS9_SE_NS0_5tupleIJPjSE_EEENSF_IJSE_SE_EEES9_SG_JZNS1_25segmented_radix_sort_implINS0_14default_configELb1EPKdPdPKlPlN2at6native12_GLOBAL__N_18offset_tEEE10hipError_tPvRmT1_PNSt15iterator_traitsISY_E10value_typeET2_T3_PNSZ_IS14_E10value_typeET4_jRbjT5_S1A_jjP12ihipStream_tbEUljE_EEESV_SW_SX_S14_S18_S1A_T6_T7_T9_mT8_S1C_bDpT10_ENKUlT_T0_E_clISt17integral_constantIbLb0EES1O_IbLb1EEEEDaS1K_S1L_EUlS1K_E_NS1_11comp_targetILNS1_3genE10ELNS1_11target_archE1200ELNS1_3gpuE4ELNS1_3repE0EEENS1_30default_config_static_selectorELNS0_4arch9wavefront6targetE1EEEvSY_.numbered_sgpr, 0
	.set _ZN7rocprim17ROCPRIM_400000_NS6detail17trampoline_kernelINS0_13select_configILj256ELj13ELNS0_17block_load_methodE3ELS4_3ELS4_3ELNS0_20block_scan_algorithmE0ELj4294967295EEENS1_25partition_config_selectorILNS1_17partition_subalgoE3EjNS0_10empty_typeEbEEZZNS1_14partition_implILS8_3ELb0ES6_jNS0_17counting_iteratorIjlEEPS9_SE_NS0_5tupleIJPjSE_EEENSF_IJSE_SE_EEES9_SG_JZNS1_25segmented_radix_sort_implINS0_14default_configELb1EPKdPdPKlPlN2at6native12_GLOBAL__N_18offset_tEEE10hipError_tPvRmT1_PNSt15iterator_traitsISY_E10value_typeET2_T3_PNSZ_IS14_E10value_typeET4_jRbjT5_S1A_jjP12ihipStream_tbEUljE_EEESV_SW_SX_S14_S18_S1A_T6_T7_T9_mT8_S1C_bDpT10_ENKUlT_T0_E_clISt17integral_constantIbLb0EES1O_IbLb1EEEEDaS1K_S1L_EUlS1K_E_NS1_11comp_targetILNS1_3genE10ELNS1_11target_archE1200ELNS1_3gpuE4ELNS1_3repE0EEENS1_30default_config_static_selectorELNS0_4arch9wavefront6targetE1EEEvSY_.num_named_barrier, 0
	.set _ZN7rocprim17ROCPRIM_400000_NS6detail17trampoline_kernelINS0_13select_configILj256ELj13ELNS0_17block_load_methodE3ELS4_3ELS4_3ELNS0_20block_scan_algorithmE0ELj4294967295EEENS1_25partition_config_selectorILNS1_17partition_subalgoE3EjNS0_10empty_typeEbEEZZNS1_14partition_implILS8_3ELb0ES6_jNS0_17counting_iteratorIjlEEPS9_SE_NS0_5tupleIJPjSE_EEENSF_IJSE_SE_EEES9_SG_JZNS1_25segmented_radix_sort_implINS0_14default_configELb1EPKdPdPKlPlN2at6native12_GLOBAL__N_18offset_tEEE10hipError_tPvRmT1_PNSt15iterator_traitsISY_E10value_typeET2_T3_PNSZ_IS14_E10value_typeET4_jRbjT5_S1A_jjP12ihipStream_tbEUljE_EEESV_SW_SX_S14_S18_S1A_T6_T7_T9_mT8_S1C_bDpT10_ENKUlT_T0_E_clISt17integral_constantIbLb0EES1O_IbLb1EEEEDaS1K_S1L_EUlS1K_E_NS1_11comp_targetILNS1_3genE10ELNS1_11target_archE1200ELNS1_3gpuE4ELNS1_3repE0EEENS1_30default_config_static_selectorELNS0_4arch9wavefront6targetE1EEEvSY_.private_seg_size, 0
	.set _ZN7rocprim17ROCPRIM_400000_NS6detail17trampoline_kernelINS0_13select_configILj256ELj13ELNS0_17block_load_methodE3ELS4_3ELS4_3ELNS0_20block_scan_algorithmE0ELj4294967295EEENS1_25partition_config_selectorILNS1_17partition_subalgoE3EjNS0_10empty_typeEbEEZZNS1_14partition_implILS8_3ELb0ES6_jNS0_17counting_iteratorIjlEEPS9_SE_NS0_5tupleIJPjSE_EEENSF_IJSE_SE_EEES9_SG_JZNS1_25segmented_radix_sort_implINS0_14default_configELb1EPKdPdPKlPlN2at6native12_GLOBAL__N_18offset_tEEE10hipError_tPvRmT1_PNSt15iterator_traitsISY_E10value_typeET2_T3_PNSZ_IS14_E10value_typeET4_jRbjT5_S1A_jjP12ihipStream_tbEUljE_EEESV_SW_SX_S14_S18_S1A_T6_T7_T9_mT8_S1C_bDpT10_ENKUlT_T0_E_clISt17integral_constantIbLb0EES1O_IbLb1EEEEDaS1K_S1L_EUlS1K_E_NS1_11comp_targetILNS1_3genE10ELNS1_11target_archE1200ELNS1_3gpuE4ELNS1_3repE0EEENS1_30default_config_static_selectorELNS0_4arch9wavefront6targetE1EEEvSY_.uses_vcc, 0
	.set _ZN7rocprim17ROCPRIM_400000_NS6detail17trampoline_kernelINS0_13select_configILj256ELj13ELNS0_17block_load_methodE3ELS4_3ELS4_3ELNS0_20block_scan_algorithmE0ELj4294967295EEENS1_25partition_config_selectorILNS1_17partition_subalgoE3EjNS0_10empty_typeEbEEZZNS1_14partition_implILS8_3ELb0ES6_jNS0_17counting_iteratorIjlEEPS9_SE_NS0_5tupleIJPjSE_EEENSF_IJSE_SE_EEES9_SG_JZNS1_25segmented_radix_sort_implINS0_14default_configELb1EPKdPdPKlPlN2at6native12_GLOBAL__N_18offset_tEEE10hipError_tPvRmT1_PNSt15iterator_traitsISY_E10value_typeET2_T3_PNSZ_IS14_E10value_typeET4_jRbjT5_S1A_jjP12ihipStream_tbEUljE_EEESV_SW_SX_S14_S18_S1A_T6_T7_T9_mT8_S1C_bDpT10_ENKUlT_T0_E_clISt17integral_constantIbLb0EES1O_IbLb1EEEEDaS1K_S1L_EUlS1K_E_NS1_11comp_targetILNS1_3genE10ELNS1_11target_archE1200ELNS1_3gpuE4ELNS1_3repE0EEENS1_30default_config_static_selectorELNS0_4arch9wavefront6targetE1EEEvSY_.uses_flat_scratch, 0
	.set _ZN7rocprim17ROCPRIM_400000_NS6detail17trampoline_kernelINS0_13select_configILj256ELj13ELNS0_17block_load_methodE3ELS4_3ELS4_3ELNS0_20block_scan_algorithmE0ELj4294967295EEENS1_25partition_config_selectorILNS1_17partition_subalgoE3EjNS0_10empty_typeEbEEZZNS1_14partition_implILS8_3ELb0ES6_jNS0_17counting_iteratorIjlEEPS9_SE_NS0_5tupleIJPjSE_EEENSF_IJSE_SE_EEES9_SG_JZNS1_25segmented_radix_sort_implINS0_14default_configELb1EPKdPdPKlPlN2at6native12_GLOBAL__N_18offset_tEEE10hipError_tPvRmT1_PNSt15iterator_traitsISY_E10value_typeET2_T3_PNSZ_IS14_E10value_typeET4_jRbjT5_S1A_jjP12ihipStream_tbEUljE_EEESV_SW_SX_S14_S18_S1A_T6_T7_T9_mT8_S1C_bDpT10_ENKUlT_T0_E_clISt17integral_constantIbLb0EES1O_IbLb1EEEEDaS1K_S1L_EUlS1K_E_NS1_11comp_targetILNS1_3genE10ELNS1_11target_archE1200ELNS1_3gpuE4ELNS1_3repE0EEENS1_30default_config_static_selectorELNS0_4arch9wavefront6targetE1EEEvSY_.has_dyn_sized_stack, 0
	.set _ZN7rocprim17ROCPRIM_400000_NS6detail17trampoline_kernelINS0_13select_configILj256ELj13ELNS0_17block_load_methodE3ELS4_3ELS4_3ELNS0_20block_scan_algorithmE0ELj4294967295EEENS1_25partition_config_selectorILNS1_17partition_subalgoE3EjNS0_10empty_typeEbEEZZNS1_14partition_implILS8_3ELb0ES6_jNS0_17counting_iteratorIjlEEPS9_SE_NS0_5tupleIJPjSE_EEENSF_IJSE_SE_EEES9_SG_JZNS1_25segmented_radix_sort_implINS0_14default_configELb1EPKdPdPKlPlN2at6native12_GLOBAL__N_18offset_tEEE10hipError_tPvRmT1_PNSt15iterator_traitsISY_E10value_typeET2_T3_PNSZ_IS14_E10value_typeET4_jRbjT5_S1A_jjP12ihipStream_tbEUljE_EEESV_SW_SX_S14_S18_S1A_T6_T7_T9_mT8_S1C_bDpT10_ENKUlT_T0_E_clISt17integral_constantIbLb0EES1O_IbLb1EEEEDaS1K_S1L_EUlS1K_E_NS1_11comp_targetILNS1_3genE10ELNS1_11target_archE1200ELNS1_3gpuE4ELNS1_3repE0EEENS1_30default_config_static_selectorELNS0_4arch9wavefront6targetE1EEEvSY_.has_recursion, 0
	.set _ZN7rocprim17ROCPRIM_400000_NS6detail17trampoline_kernelINS0_13select_configILj256ELj13ELNS0_17block_load_methodE3ELS4_3ELS4_3ELNS0_20block_scan_algorithmE0ELj4294967295EEENS1_25partition_config_selectorILNS1_17partition_subalgoE3EjNS0_10empty_typeEbEEZZNS1_14partition_implILS8_3ELb0ES6_jNS0_17counting_iteratorIjlEEPS9_SE_NS0_5tupleIJPjSE_EEENSF_IJSE_SE_EEES9_SG_JZNS1_25segmented_radix_sort_implINS0_14default_configELb1EPKdPdPKlPlN2at6native12_GLOBAL__N_18offset_tEEE10hipError_tPvRmT1_PNSt15iterator_traitsISY_E10value_typeET2_T3_PNSZ_IS14_E10value_typeET4_jRbjT5_S1A_jjP12ihipStream_tbEUljE_EEESV_SW_SX_S14_S18_S1A_T6_T7_T9_mT8_S1C_bDpT10_ENKUlT_T0_E_clISt17integral_constantIbLb0EES1O_IbLb1EEEEDaS1K_S1L_EUlS1K_E_NS1_11comp_targetILNS1_3genE10ELNS1_11target_archE1200ELNS1_3gpuE4ELNS1_3repE0EEENS1_30default_config_static_selectorELNS0_4arch9wavefront6targetE1EEEvSY_.has_indirect_call, 0
	.section	.AMDGPU.csdata,"",@progbits
; Kernel info:
; codeLenInByte = 0
; TotalNumSgprs: 4
; NumVgprs: 0
; ScratchSize: 0
; MemoryBound: 0
; FloatMode: 240
; IeeeMode: 1
; LDSByteSize: 0 bytes/workgroup (compile time only)
; SGPRBlocks: 0
; VGPRBlocks: 0
; NumSGPRsForWavesPerEU: 4
; NumVGPRsForWavesPerEU: 1
; Occupancy: 10
; WaveLimiterHint : 0
; COMPUTE_PGM_RSRC2:SCRATCH_EN: 0
; COMPUTE_PGM_RSRC2:USER_SGPR: 6
; COMPUTE_PGM_RSRC2:TRAP_HANDLER: 0
; COMPUTE_PGM_RSRC2:TGID_X_EN: 1
; COMPUTE_PGM_RSRC2:TGID_Y_EN: 0
; COMPUTE_PGM_RSRC2:TGID_Z_EN: 0
; COMPUTE_PGM_RSRC2:TIDIG_COMP_CNT: 0
	.section	.text._ZN7rocprim17ROCPRIM_400000_NS6detail17trampoline_kernelINS0_13select_configILj256ELj13ELNS0_17block_load_methodE3ELS4_3ELS4_3ELNS0_20block_scan_algorithmE0ELj4294967295EEENS1_25partition_config_selectorILNS1_17partition_subalgoE3EjNS0_10empty_typeEbEEZZNS1_14partition_implILS8_3ELb0ES6_jNS0_17counting_iteratorIjlEEPS9_SE_NS0_5tupleIJPjSE_EEENSF_IJSE_SE_EEES9_SG_JZNS1_25segmented_radix_sort_implINS0_14default_configELb1EPKdPdPKlPlN2at6native12_GLOBAL__N_18offset_tEEE10hipError_tPvRmT1_PNSt15iterator_traitsISY_E10value_typeET2_T3_PNSZ_IS14_E10value_typeET4_jRbjT5_S1A_jjP12ihipStream_tbEUljE_EEESV_SW_SX_S14_S18_S1A_T6_T7_T9_mT8_S1C_bDpT10_ENKUlT_T0_E_clISt17integral_constantIbLb0EES1O_IbLb1EEEEDaS1K_S1L_EUlS1K_E_NS1_11comp_targetILNS1_3genE9ELNS1_11target_archE1100ELNS1_3gpuE3ELNS1_3repE0EEENS1_30default_config_static_selectorELNS0_4arch9wavefront6targetE1EEEvSY_,"axG",@progbits,_ZN7rocprim17ROCPRIM_400000_NS6detail17trampoline_kernelINS0_13select_configILj256ELj13ELNS0_17block_load_methodE3ELS4_3ELS4_3ELNS0_20block_scan_algorithmE0ELj4294967295EEENS1_25partition_config_selectorILNS1_17partition_subalgoE3EjNS0_10empty_typeEbEEZZNS1_14partition_implILS8_3ELb0ES6_jNS0_17counting_iteratorIjlEEPS9_SE_NS0_5tupleIJPjSE_EEENSF_IJSE_SE_EEES9_SG_JZNS1_25segmented_radix_sort_implINS0_14default_configELb1EPKdPdPKlPlN2at6native12_GLOBAL__N_18offset_tEEE10hipError_tPvRmT1_PNSt15iterator_traitsISY_E10value_typeET2_T3_PNSZ_IS14_E10value_typeET4_jRbjT5_S1A_jjP12ihipStream_tbEUljE_EEESV_SW_SX_S14_S18_S1A_T6_T7_T9_mT8_S1C_bDpT10_ENKUlT_T0_E_clISt17integral_constantIbLb0EES1O_IbLb1EEEEDaS1K_S1L_EUlS1K_E_NS1_11comp_targetILNS1_3genE9ELNS1_11target_archE1100ELNS1_3gpuE3ELNS1_3repE0EEENS1_30default_config_static_selectorELNS0_4arch9wavefront6targetE1EEEvSY_,comdat
	.globl	_ZN7rocprim17ROCPRIM_400000_NS6detail17trampoline_kernelINS0_13select_configILj256ELj13ELNS0_17block_load_methodE3ELS4_3ELS4_3ELNS0_20block_scan_algorithmE0ELj4294967295EEENS1_25partition_config_selectorILNS1_17partition_subalgoE3EjNS0_10empty_typeEbEEZZNS1_14partition_implILS8_3ELb0ES6_jNS0_17counting_iteratorIjlEEPS9_SE_NS0_5tupleIJPjSE_EEENSF_IJSE_SE_EEES9_SG_JZNS1_25segmented_radix_sort_implINS0_14default_configELb1EPKdPdPKlPlN2at6native12_GLOBAL__N_18offset_tEEE10hipError_tPvRmT1_PNSt15iterator_traitsISY_E10value_typeET2_T3_PNSZ_IS14_E10value_typeET4_jRbjT5_S1A_jjP12ihipStream_tbEUljE_EEESV_SW_SX_S14_S18_S1A_T6_T7_T9_mT8_S1C_bDpT10_ENKUlT_T0_E_clISt17integral_constantIbLb0EES1O_IbLb1EEEEDaS1K_S1L_EUlS1K_E_NS1_11comp_targetILNS1_3genE9ELNS1_11target_archE1100ELNS1_3gpuE3ELNS1_3repE0EEENS1_30default_config_static_selectorELNS0_4arch9wavefront6targetE1EEEvSY_ ; -- Begin function _ZN7rocprim17ROCPRIM_400000_NS6detail17trampoline_kernelINS0_13select_configILj256ELj13ELNS0_17block_load_methodE3ELS4_3ELS4_3ELNS0_20block_scan_algorithmE0ELj4294967295EEENS1_25partition_config_selectorILNS1_17partition_subalgoE3EjNS0_10empty_typeEbEEZZNS1_14partition_implILS8_3ELb0ES6_jNS0_17counting_iteratorIjlEEPS9_SE_NS0_5tupleIJPjSE_EEENSF_IJSE_SE_EEES9_SG_JZNS1_25segmented_radix_sort_implINS0_14default_configELb1EPKdPdPKlPlN2at6native12_GLOBAL__N_18offset_tEEE10hipError_tPvRmT1_PNSt15iterator_traitsISY_E10value_typeET2_T3_PNSZ_IS14_E10value_typeET4_jRbjT5_S1A_jjP12ihipStream_tbEUljE_EEESV_SW_SX_S14_S18_S1A_T6_T7_T9_mT8_S1C_bDpT10_ENKUlT_T0_E_clISt17integral_constantIbLb0EES1O_IbLb1EEEEDaS1K_S1L_EUlS1K_E_NS1_11comp_targetILNS1_3genE9ELNS1_11target_archE1100ELNS1_3gpuE3ELNS1_3repE0EEENS1_30default_config_static_selectorELNS0_4arch9wavefront6targetE1EEEvSY_
	.p2align	8
	.type	_ZN7rocprim17ROCPRIM_400000_NS6detail17trampoline_kernelINS0_13select_configILj256ELj13ELNS0_17block_load_methodE3ELS4_3ELS4_3ELNS0_20block_scan_algorithmE0ELj4294967295EEENS1_25partition_config_selectorILNS1_17partition_subalgoE3EjNS0_10empty_typeEbEEZZNS1_14partition_implILS8_3ELb0ES6_jNS0_17counting_iteratorIjlEEPS9_SE_NS0_5tupleIJPjSE_EEENSF_IJSE_SE_EEES9_SG_JZNS1_25segmented_radix_sort_implINS0_14default_configELb1EPKdPdPKlPlN2at6native12_GLOBAL__N_18offset_tEEE10hipError_tPvRmT1_PNSt15iterator_traitsISY_E10value_typeET2_T3_PNSZ_IS14_E10value_typeET4_jRbjT5_S1A_jjP12ihipStream_tbEUljE_EEESV_SW_SX_S14_S18_S1A_T6_T7_T9_mT8_S1C_bDpT10_ENKUlT_T0_E_clISt17integral_constantIbLb0EES1O_IbLb1EEEEDaS1K_S1L_EUlS1K_E_NS1_11comp_targetILNS1_3genE9ELNS1_11target_archE1100ELNS1_3gpuE3ELNS1_3repE0EEENS1_30default_config_static_selectorELNS0_4arch9wavefront6targetE1EEEvSY_,@function
_ZN7rocprim17ROCPRIM_400000_NS6detail17trampoline_kernelINS0_13select_configILj256ELj13ELNS0_17block_load_methodE3ELS4_3ELS4_3ELNS0_20block_scan_algorithmE0ELj4294967295EEENS1_25partition_config_selectorILNS1_17partition_subalgoE3EjNS0_10empty_typeEbEEZZNS1_14partition_implILS8_3ELb0ES6_jNS0_17counting_iteratorIjlEEPS9_SE_NS0_5tupleIJPjSE_EEENSF_IJSE_SE_EEES9_SG_JZNS1_25segmented_radix_sort_implINS0_14default_configELb1EPKdPdPKlPlN2at6native12_GLOBAL__N_18offset_tEEE10hipError_tPvRmT1_PNSt15iterator_traitsISY_E10value_typeET2_T3_PNSZ_IS14_E10value_typeET4_jRbjT5_S1A_jjP12ihipStream_tbEUljE_EEESV_SW_SX_S14_S18_S1A_T6_T7_T9_mT8_S1C_bDpT10_ENKUlT_T0_E_clISt17integral_constantIbLb0EES1O_IbLb1EEEEDaS1K_S1L_EUlS1K_E_NS1_11comp_targetILNS1_3genE9ELNS1_11target_archE1100ELNS1_3gpuE3ELNS1_3repE0EEENS1_30default_config_static_selectorELNS0_4arch9wavefront6targetE1EEEvSY_: ; @_ZN7rocprim17ROCPRIM_400000_NS6detail17trampoline_kernelINS0_13select_configILj256ELj13ELNS0_17block_load_methodE3ELS4_3ELS4_3ELNS0_20block_scan_algorithmE0ELj4294967295EEENS1_25partition_config_selectorILNS1_17partition_subalgoE3EjNS0_10empty_typeEbEEZZNS1_14partition_implILS8_3ELb0ES6_jNS0_17counting_iteratorIjlEEPS9_SE_NS0_5tupleIJPjSE_EEENSF_IJSE_SE_EEES9_SG_JZNS1_25segmented_radix_sort_implINS0_14default_configELb1EPKdPdPKlPlN2at6native12_GLOBAL__N_18offset_tEEE10hipError_tPvRmT1_PNSt15iterator_traitsISY_E10value_typeET2_T3_PNSZ_IS14_E10value_typeET4_jRbjT5_S1A_jjP12ihipStream_tbEUljE_EEESV_SW_SX_S14_S18_S1A_T6_T7_T9_mT8_S1C_bDpT10_ENKUlT_T0_E_clISt17integral_constantIbLb0EES1O_IbLb1EEEEDaS1K_S1L_EUlS1K_E_NS1_11comp_targetILNS1_3genE9ELNS1_11target_archE1100ELNS1_3gpuE3ELNS1_3repE0EEENS1_30default_config_static_selectorELNS0_4arch9wavefront6targetE1EEEvSY_
; %bb.0:
	.section	.rodata,"a",@progbits
	.p2align	6, 0x0
	.amdhsa_kernel _ZN7rocprim17ROCPRIM_400000_NS6detail17trampoline_kernelINS0_13select_configILj256ELj13ELNS0_17block_load_methodE3ELS4_3ELS4_3ELNS0_20block_scan_algorithmE0ELj4294967295EEENS1_25partition_config_selectorILNS1_17partition_subalgoE3EjNS0_10empty_typeEbEEZZNS1_14partition_implILS8_3ELb0ES6_jNS0_17counting_iteratorIjlEEPS9_SE_NS0_5tupleIJPjSE_EEENSF_IJSE_SE_EEES9_SG_JZNS1_25segmented_radix_sort_implINS0_14default_configELb1EPKdPdPKlPlN2at6native12_GLOBAL__N_18offset_tEEE10hipError_tPvRmT1_PNSt15iterator_traitsISY_E10value_typeET2_T3_PNSZ_IS14_E10value_typeET4_jRbjT5_S1A_jjP12ihipStream_tbEUljE_EEESV_SW_SX_S14_S18_S1A_T6_T7_T9_mT8_S1C_bDpT10_ENKUlT_T0_E_clISt17integral_constantIbLb0EES1O_IbLb1EEEEDaS1K_S1L_EUlS1K_E_NS1_11comp_targetILNS1_3genE9ELNS1_11target_archE1100ELNS1_3gpuE3ELNS1_3repE0EEENS1_30default_config_static_selectorELNS0_4arch9wavefront6targetE1EEEvSY_
		.amdhsa_group_segment_fixed_size 0
		.amdhsa_private_segment_fixed_size 0
		.amdhsa_kernarg_size 152
		.amdhsa_user_sgpr_count 6
		.amdhsa_user_sgpr_private_segment_buffer 1
		.amdhsa_user_sgpr_dispatch_ptr 0
		.amdhsa_user_sgpr_queue_ptr 0
		.amdhsa_user_sgpr_kernarg_segment_ptr 1
		.amdhsa_user_sgpr_dispatch_id 0
		.amdhsa_user_sgpr_flat_scratch_init 0
		.amdhsa_user_sgpr_private_segment_size 0
		.amdhsa_uses_dynamic_stack 0
		.amdhsa_system_sgpr_private_segment_wavefront_offset 0
		.amdhsa_system_sgpr_workgroup_id_x 1
		.amdhsa_system_sgpr_workgroup_id_y 0
		.amdhsa_system_sgpr_workgroup_id_z 0
		.amdhsa_system_sgpr_workgroup_info 0
		.amdhsa_system_vgpr_workitem_id 0
		.amdhsa_next_free_vgpr 1
		.amdhsa_next_free_sgpr 0
		.amdhsa_reserve_vcc 0
		.amdhsa_reserve_flat_scratch 0
		.amdhsa_float_round_mode_32 0
		.amdhsa_float_round_mode_16_64 0
		.amdhsa_float_denorm_mode_32 3
		.amdhsa_float_denorm_mode_16_64 3
		.amdhsa_dx10_clamp 1
		.amdhsa_ieee_mode 1
		.amdhsa_fp16_overflow 0
		.amdhsa_exception_fp_ieee_invalid_op 0
		.amdhsa_exception_fp_denorm_src 0
		.amdhsa_exception_fp_ieee_div_zero 0
		.amdhsa_exception_fp_ieee_overflow 0
		.amdhsa_exception_fp_ieee_underflow 0
		.amdhsa_exception_fp_ieee_inexact 0
		.amdhsa_exception_int_div_zero 0
	.end_amdhsa_kernel
	.section	.text._ZN7rocprim17ROCPRIM_400000_NS6detail17trampoline_kernelINS0_13select_configILj256ELj13ELNS0_17block_load_methodE3ELS4_3ELS4_3ELNS0_20block_scan_algorithmE0ELj4294967295EEENS1_25partition_config_selectorILNS1_17partition_subalgoE3EjNS0_10empty_typeEbEEZZNS1_14partition_implILS8_3ELb0ES6_jNS0_17counting_iteratorIjlEEPS9_SE_NS0_5tupleIJPjSE_EEENSF_IJSE_SE_EEES9_SG_JZNS1_25segmented_radix_sort_implINS0_14default_configELb1EPKdPdPKlPlN2at6native12_GLOBAL__N_18offset_tEEE10hipError_tPvRmT1_PNSt15iterator_traitsISY_E10value_typeET2_T3_PNSZ_IS14_E10value_typeET4_jRbjT5_S1A_jjP12ihipStream_tbEUljE_EEESV_SW_SX_S14_S18_S1A_T6_T7_T9_mT8_S1C_bDpT10_ENKUlT_T0_E_clISt17integral_constantIbLb0EES1O_IbLb1EEEEDaS1K_S1L_EUlS1K_E_NS1_11comp_targetILNS1_3genE9ELNS1_11target_archE1100ELNS1_3gpuE3ELNS1_3repE0EEENS1_30default_config_static_selectorELNS0_4arch9wavefront6targetE1EEEvSY_,"axG",@progbits,_ZN7rocprim17ROCPRIM_400000_NS6detail17trampoline_kernelINS0_13select_configILj256ELj13ELNS0_17block_load_methodE3ELS4_3ELS4_3ELNS0_20block_scan_algorithmE0ELj4294967295EEENS1_25partition_config_selectorILNS1_17partition_subalgoE3EjNS0_10empty_typeEbEEZZNS1_14partition_implILS8_3ELb0ES6_jNS0_17counting_iteratorIjlEEPS9_SE_NS0_5tupleIJPjSE_EEENSF_IJSE_SE_EEES9_SG_JZNS1_25segmented_radix_sort_implINS0_14default_configELb1EPKdPdPKlPlN2at6native12_GLOBAL__N_18offset_tEEE10hipError_tPvRmT1_PNSt15iterator_traitsISY_E10value_typeET2_T3_PNSZ_IS14_E10value_typeET4_jRbjT5_S1A_jjP12ihipStream_tbEUljE_EEESV_SW_SX_S14_S18_S1A_T6_T7_T9_mT8_S1C_bDpT10_ENKUlT_T0_E_clISt17integral_constantIbLb0EES1O_IbLb1EEEEDaS1K_S1L_EUlS1K_E_NS1_11comp_targetILNS1_3genE9ELNS1_11target_archE1100ELNS1_3gpuE3ELNS1_3repE0EEENS1_30default_config_static_selectorELNS0_4arch9wavefront6targetE1EEEvSY_,comdat
.Lfunc_end1116:
	.size	_ZN7rocprim17ROCPRIM_400000_NS6detail17trampoline_kernelINS0_13select_configILj256ELj13ELNS0_17block_load_methodE3ELS4_3ELS4_3ELNS0_20block_scan_algorithmE0ELj4294967295EEENS1_25partition_config_selectorILNS1_17partition_subalgoE3EjNS0_10empty_typeEbEEZZNS1_14partition_implILS8_3ELb0ES6_jNS0_17counting_iteratorIjlEEPS9_SE_NS0_5tupleIJPjSE_EEENSF_IJSE_SE_EEES9_SG_JZNS1_25segmented_radix_sort_implINS0_14default_configELb1EPKdPdPKlPlN2at6native12_GLOBAL__N_18offset_tEEE10hipError_tPvRmT1_PNSt15iterator_traitsISY_E10value_typeET2_T3_PNSZ_IS14_E10value_typeET4_jRbjT5_S1A_jjP12ihipStream_tbEUljE_EEESV_SW_SX_S14_S18_S1A_T6_T7_T9_mT8_S1C_bDpT10_ENKUlT_T0_E_clISt17integral_constantIbLb0EES1O_IbLb1EEEEDaS1K_S1L_EUlS1K_E_NS1_11comp_targetILNS1_3genE9ELNS1_11target_archE1100ELNS1_3gpuE3ELNS1_3repE0EEENS1_30default_config_static_selectorELNS0_4arch9wavefront6targetE1EEEvSY_, .Lfunc_end1116-_ZN7rocprim17ROCPRIM_400000_NS6detail17trampoline_kernelINS0_13select_configILj256ELj13ELNS0_17block_load_methodE3ELS4_3ELS4_3ELNS0_20block_scan_algorithmE0ELj4294967295EEENS1_25partition_config_selectorILNS1_17partition_subalgoE3EjNS0_10empty_typeEbEEZZNS1_14partition_implILS8_3ELb0ES6_jNS0_17counting_iteratorIjlEEPS9_SE_NS0_5tupleIJPjSE_EEENSF_IJSE_SE_EEES9_SG_JZNS1_25segmented_radix_sort_implINS0_14default_configELb1EPKdPdPKlPlN2at6native12_GLOBAL__N_18offset_tEEE10hipError_tPvRmT1_PNSt15iterator_traitsISY_E10value_typeET2_T3_PNSZ_IS14_E10value_typeET4_jRbjT5_S1A_jjP12ihipStream_tbEUljE_EEESV_SW_SX_S14_S18_S1A_T6_T7_T9_mT8_S1C_bDpT10_ENKUlT_T0_E_clISt17integral_constantIbLb0EES1O_IbLb1EEEEDaS1K_S1L_EUlS1K_E_NS1_11comp_targetILNS1_3genE9ELNS1_11target_archE1100ELNS1_3gpuE3ELNS1_3repE0EEENS1_30default_config_static_selectorELNS0_4arch9wavefront6targetE1EEEvSY_
                                        ; -- End function
	.set _ZN7rocprim17ROCPRIM_400000_NS6detail17trampoline_kernelINS0_13select_configILj256ELj13ELNS0_17block_load_methodE3ELS4_3ELS4_3ELNS0_20block_scan_algorithmE0ELj4294967295EEENS1_25partition_config_selectorILNS1_17partition_subalgoE3EjNS0_10empty_typeEbEEZZNS1_14partition_implILS8_3ELb0ES6_jNS0_17counting_iteratorIjlEEPS9_SE_NS0_5tupleIJPjSE_EEENSF_IJSE_SE_EEES9_SG_JZNS1_25segmented_radix_sort_implINS0_14default_configELb1EPKdPdPKlPlN2at6native12_GLOBAL__N_18offset_tEEE10hipError_tPvRmT1_PNSt15iterator_traitsISY_E10value_typeET2_T3_PNSZ_IS14_E10value_typeET4_jRbjT5_S1A_jjP12ihipStream_tbEUljE_EEESV_SW_SX_S14_S18_S1A_T6_T7_T9_mT8_S1C_bDpT10_ENKUlT_T0_E_clISt17integral_constantIbLb0EES1O_IbLb1EEEEDaS1K_S1L_EUlS1K_E_NS1_11comp_targetILNS1_3genE9ELNS1_11target_archE1100ELNS1_3gpuE3ELNS1_3repE0EEENS1_30default_config_static_selectorELNS0_4arch9wavefront6targetE1EEEvSY_.num_vgpr, 0
	.set _ZN7rocprim17ROCPRIM_400000_NS6detail17trampoline_kernelINS0_13select_configILj256ELj13ELNS0_17block_load_methodE3ELS4_3ELS4_3ELNS0_20block_scan_algorithmE0ELj4294967295EEENS1_25partition_config_selectorILNS1_17partition_subalgoE3EjNS0_10empty_typeEbEEZZNS1_14partition_implILS8_3ELb0ES6_jNS0_17counting_iteratorIjlEEPS9_SE_NS0_5tupleIJPjSE_EEENSF_IJSE_SE_EEES9_SG_JZNS1_25segmented_radix_sort_implINS0_14default_configELb1EPKdPdPKlPlN2at6native12_GLOBAL__N_18offset_tEEE10hipError_tPvRmT1_PNSt15iterator_traitsISY_E10value_typeET2_T3_PNSZ_IS14_E10value_typeET4_jRbjT5_S1A_jjP12ihipStream_tbEUljE_EEESV_SW_SX_S14_S18_S1A_T6_T7_T9_mT8_S1C_bDpT10_ENKUlT_T0_E_clISt17integral_constantIbLb0EES1O_IbLb1EEEEDaS1K_S1L_EUlS1K_E_NS1_11comp_targetILNS1_3genE9ELNS1_11target_archE1100ELNS1_3gpuE3ELNS1_3repE0EEENS1_30default_config_static_selectorELNS0_4arch9wavefront6targetE1EEEvSY_.num_agpr, 0
	.set _ZN7rocprim17ROCPRIM_400000_NS6detail17trampoline_kernelINS0_13select_configILj256ELj13ELNS0_17block_load_methodE3ELS4_3ELS4_3ELNS0_20block_scan_algorithmE0ELj4294967295EEENS1_25partition_config_selectorILNS1_17partition_subalgoE3EjNS0_10empty_typeEbEEZZNS1_14partition_implILS8_3ELb0ES6_jNS0_17counting_iteratorIjlEEPS9_SE_NS0_5tupleIJPjSE_EEENSF_IJSE_SE_EEES9_SG_JZNS1_25segmented_radix_sort_implINS0_14default_configELb1EPKdPdPKlPlN2at6native12_GLOBAL__N_18offset_tEEE10hipError_tPvRmT1_PNSt15iterator_traitsISY_E10value_typeET2_T3_PNSZ_IS14_E10value_typeET4_jRbjT5_S1A_jjP12ihipStream_tbEUljE_EEESV_SW_SX_S14_S18_S1A_T6_T7_T9_mT8_S1C_bDpT10_ENKUlT_T0_E_clISt17integral_constantIbLb0EES1O_IbLb1EEEEDaS1K_S1L_EUlS1K_E_NS1_11comp_targetILNS1_3genE9ELNS1_11target_archE1100ELNS1_3gpuE3ELNS1_3repE0EEENS1_30default_config_static_selectorELNS0_4arch9wavefront6targetE1EEEvSY_.numbered_sgpr, 0
	.set _ZN7rocprim17ROCPRIM_400000_NS6detail17trampoline_kernelINS0_13select_configILj256ELj13ELNS0_17block_load_methodE3ELS4_3ELS4_3ELNS0_20block_scan_algorithmE0ELj4294967295EEENS1_25partition_config_selectorILNS1_17partition_subalgoE3EjNS0_10empty_typeEbEEZZNS1_14partition_implILS8_3ELb0ES6_jNS0_17counting_iteratorIjlEEPS9_SE_NS0_5tupleIJPjSE_EEENSF_IJSE_SE_EEES9_SG_JZNS1_25segmented_radix_sort_implINS0_14default_configELb1EPKdPdPKlPlN2at6native12_GLOBAL__N_18offset_tEEE10hipError_tPvRmT1_PNSt15iterator_traitsISY_E10value_typeET2_T3_PNSZ_IS14_E10value_typeET4_jRbjT5_S1A_jjP12ihipStream_tbEUljE_EEESV_SW_SX_S14_S18_S1A_T6_T7_T9_mT8_S1C_bDpT10_ENKUlT_T0_E_clISt17integral_constantIbLb0EES1O_IbLb1EEEEDaS1K_S1L_EUlS1K_E_NS1_11comp_targetILNS1_3genE9ELNS1_11target_archE1100ELNS1_3gpuE3ELNS1_3repE0EEENS1_30default_config_static_selectorELNS0_4arch9wavefront6targetE1EEEvSY_.num_named_barrier, 0
	.set _ZN7rocprim17ROCPRIM_400000_NS6detail17trampoline_kernelINS0_13select_configILj256ELj13ELNS0_17block_load_methodE3ELS4_3ELS4_3ELNS0_20block_scan_algorithmE0ELj4294967295EEENS1_25partition_config_selectorILNS1_17partition_subalgoE3EjNS0_10empty_typeEbEEZZNS1_14partition_implILS8_3ELb0ES6_jNS0_17counting_iteratorIjlEEPS9_SE_NS0_5tupleIJPjSE_EEENSF_IJSE_SE_EEES9_SG_JZNS1_25segmented_radix_sort_implINS0_14default_configELb1EPKdPdPKlPlN2at6native12_GLOBAL__N_18offset_tEEE10hipError_tPvRmT1_PNSt15iterator_traitsISY_E10value_typeET2_T3_PNSZ_IS14_E10value_typeET4_jRbjT5_S1A_jjP12ihipStream_tbEUljE_EEESV_SW_SX_S14_S18_S1A_T6_T7_T9_mT8_S1C_bDpT10_ENKUlT_T0_E_clISt17integral_constantIbLb0EES1O_IbLb1EEEEDaS1K_S1L_EUlS1K_E_NS1_11comp_targetILNS1_3genE9ELNS1_11target_archE1100ELNS1_3gpuE3ELNS1_3repE0EEENS1_30default_config_static_selectorELNS0_4arch9wavefront6targetE1EEEvSY_.private_seg_size, 0
	.set _ZN7rocprim17ROCPRIM_400000_NS6detail17trampoline_kernelINS0_13select_configILj256ELj13ELNS0_17block_load_methodE3ELS4_3ELS4_3ELNS0_20block_scan_algorithmE0ELj4294967295EEENS1_25partition_config_selectorILNS1_17partition_subalgoE3EjNS0_10empty_typeEbEEZZNS1_14partition_implILS8_3ELb0ES6_jNS0_17counting_iteratorIjlEEPS9_SE_NS0_5tupleIJPjSE_EEENSF_IJSE_SE_EEES9_SG_JZNS1_25segmented_radix_sort_implINS0_14default_configELb1EPKdPdPKlPlN2at6native12_GLOBAL__N_18offset_tEEE10hipError_tPvRmT1_PNSt15iterator_traitsISY_E10value_typeET2_T3_PNSZ_IS14_E10value_typeET4_jRbjT5_S1A_jjP12ihipStream_tbEUljE_EEESV_SW_SX_S14_S18_S1A_T6_T7_T9_mT8_S1C_bDpT10_ENKUlT_T0_E_clISt17integral_constantIbLb0EES1O_IbLb1EEEEDaS1K_S1L_EUlS1K_E_NS1_11comp_targetILNS1_3genE9ELNS1_11target_archE1100ELNS1_3gpuE3ELNS1_3repE0EEENS1_30default_config_static_selectorELNS0_4arch9wavefront6targetE1EEEvSY_.uses_vcc, 0
	.set _ZN7rocprim17ROCPRIM_400000_NS6detail17trampoline_kernelINS0_13select_configILj256ELj13ELNS0_17block_load_methodE3ELS4_3ELS4_3ELNS0_20block_scan_algorithmE0ELj4294967295EEENS1_25partition_config_selectorILNS1_17partition_subalgoE3EjNS0_10empty_typeEbEEZZNS1_14partition_implILS8_3ELb0ES6_jNS0_17counting_iteratorIjlEEPS9_SE_NS0_5tupleIJPjSE_EEENSF_IJSE_SE_EEES9_SG_JZNS1_25segmented_radix_sort_implINS0_14default_configELb1EPKdPdPKlPlN2at6native12_GLOBAL__N_18offset_tEEE10hipError_tPvRmT1_PNSt15iterator_traitsISY_E10value_typeET2_T3_PNSZ_IS14_E10value_typeET4_jRbjT5_S1A_jjP12ihipStream_tbEUljE_EEESV_SW_SX_S14_S18_S1A_T6_T7_T9_mT8_S1C_bDpT10_ENKUlT_T0_E_clISt17integral_constantIbLb0EES1O_IbLb1EEEEDaS1K_S1L_EUlS1K_E_NS1_11comp_targetILNS1_3genE9ELNS1_11target_archE1100ELNS1_3gpuE3ELNS1_3repE0EEENS1_30default_config_static_selectorELNS0_4arch9wavefront6targetE1EEEvSY_.uses_flat_scratch, 0
	.set _ZN7rocprim17ROCPRIM_400000_NS6detail17trampoline_kernelINS0_13select_configILj256ELj13ELNS0_17block_load_methodE3ELS4_3ELS4_3ELNS0_20block_scan_algorithmE0ELj4294967295EEENS1_25partition_config_selectorILNS1_17partition_subalgoE3EjNS0_10empty_typeEbEEZZNS1_14partition_implILS8_3ELb0ES6_jNS0_17counting_iteratorIjlEEPS9_SE_NS0_5tupleIJPjSE_EEENSF_IJSE_SE_EEES9_SG_JZNS1_25segmented_radix_sort_implINS0_14default_configELb1EPKdPdPKlPlN2at6native12_GLOBAL__N_18offset_tEEE10hipError_tPvRmT1_PNSt15iterator_traitsISY_E10value_typeET2_T3_PNSZ_IS14_E10value_typeET4_jRbjT5_S1A_jjP12ihipStream_tbEUljE_EEESV_SW_SX_S14_S18_S1A_T6_T7_T9_mT8_S1C_bDpT10_ENKUlT_T0_E_clISt17integral_constantIbLb0EES1O_IbLb1EEEEDaS1K_S1L_EUlS1K_E_NS1_11comp_targetILNS1_3genE9ELNS1_11target_archE1100ELNS1_3gpuE3ELNS1_3repE0EEENS1_30default_config_static_selectorELNS0_4arch9wavefront6targetE1EEEvSY_.has_dyn_sized_stack, 0
	.set _ZN7rocprim17ROCPRIM_400000_NS6detail17trampoline_kernelINS0_13select_configILj256ELj13ELNS0_17block_load_methodE3ELS4_3ELS4_3ELNS0_20block_scan_algorithmE0ELj4294967295EEENS1_25partition_config_selectorILNS1_17partition_subalgoE3EjNS0_10empty_typeEbEEZZNS1_14partition_implILS8_3ELb0ES6_jNS0_17counting_iteratorIjlEEPS9_SE_NS0_5tupleIJPjSE_EEENSF_IJSE_SE_EEES9_SG_JZNS1_25segmented_radix_sort_implINS0_14default_configELb1EPKdPdPKlPlN2at6native12_GLOBAL__N_18offset_tEEE10hipError_tPvRmT1_PNSt15iterator_traitsISY_E10value_typeET2_T3_PNSZ_IS14_E10value_typeET4_jRbjT5_S1A_jjP12ihipStream_tbEUljE_EEESV_SW_SX_S14_S18_S1A_T6_T7_T9_mT8_S1C_bDpT10_ENKUlT_T0_E_clISt17integral_constantIbLb0EES1O_IbLb1EEEEDaS1K_S1L_EUlS1K_E_NS1_11comp_targetILNS1_3genE9ELNS1_11target_archE1100ELNS1_3gpuE3ELNS1_3repE0EEENS1_30default_config_static_selectorELNS0_4arch9wavefront6targetE1EEEvSY_.has_recursion, 0
	.set _ZN7rocprim17ROCPRIM_400000_NS6detail17trampoline_kernelINS0_13select_configILj256ELj13ELNS0_17block_load_methodE3ELS4_3ELS4_3ELNS0_20block_scan_algorithmE0ELj4294967295EEENS1_25partition_config_selectorILNS1_17partition_subalgoE3EjNS0_10empty_typeEbEEZZNS1_14partition_implILS8_3ELb0ES6_jNS0_17counting_iteratorIjlEEPS9_SE_NS0_5tupleIJPjSE_EEENSF_IJSE_SE_EEES9_SG_JZNS1_25segmented_radix_sort_implINS0_14default_configELb1EPKdPdPKlPlN2at6native12_GLOBAL__N_18offset_tEEE10hipError_tPvRmT1_PNSt15iterator_traitsISY_E10value_typeET2_T3_PNSZ_IS14_E10value_typeET4_jRbjT5_S1A_jjP12ihipStream_tbEUljE_EEESV_SW_SX_S14_S18_S1A_T6_T7_T9_mT8_S1C_bDpT10_ENKUlT_T0_E_clISt17integral_constantIbLb0EES1O_IbLb1EEEEDaS1K_S1L_EUlS1K_E_NS1_11comp_targetILNS1_3genE9ELNS1_11target_archE1100ELNS1_3gpuE3ELNS1_3repE0EEENS1_30default_config_static_selectorELNS0_4arch9wavefront6targetE1EEEvSY_.has_indirect_call, 0
	.section	.AMDGPU.csdata,"",@progbits
; Kernel info:
; codeLenInByte = 0
; TotalNumSgprs: 4
; NumVgprs: 0
; ScratchSize: 0
; MemoryBound: 0
; FloatMode: 240
; IeeeMode: 1
; LDSByteSize: 0 bytes/workgroup (compile time only)
; SGPRBlocks: 0
; VGPRBlocks: 0
; NumSGPRsForWavesPerEU: 4
; NumVGPRsForWavesPerEU: 1
; Occupancy: 10
; WaveLimiterHint : 0
; COMPUTE_PGM_RSRC2:SCRATCH_EN: 0
; COMPUTE_PGM_RSRC2:USER_SGPR: 6
; COMPUTE_PGM_RSRC2:TRAP_HANDLER: 0
; COMPUTE_PGM_RSRC2:TGID_X_EN: 1
; COMPUTE_PGM_RSRC2:TGID_Y_EN: 0
; COMPUTE_PGM_RSRC2:TGID_Z_EN: 0
; COMPUTE_PGM_RSRC2:TIDIG_COMP_CNT: 0
	.section	.text._ZN7rocprim17ROCPRIM_400000_NS6detail17trampoline_kernelINS0_13select_configILj256ELj13ELNS0_17block_load_methodE3ELS4_3ELS4_3ELNS0_20block_scan_algorithmE0ELj4294967295EEENS1_25partition_config_selectorILNS1_17partition_subalgoE3EjNS0_10empty_typeEbEEZZNS1_14partition_implILS8_3ELb0ES6_jNS0_17counting_iteratorIjlEEPS9_SE_NS0_5tupleIJPjSE_EEENSF_IJSE_SE_EEES9_SG_JZNS1_25segmented_radix_sort_implINS0_14default_configELb1EPKdPdPKlPlN2at6native12_GLOBAL__N_18offset_tEEE10hipError_tPvRmT1_PNSt15iterator_traitsISY_E10value_typeET2_T3_PNSZ_IS14_E10value_typeET4_jRbjT5_S1A_jjP12ihipStream_tbEUljE_EEESV_SW_SX_S14_S18_S1A_T6_T7_T9_mT8_S1C_bDpT10_ENKUlT_T0_E_clISt17integral_constantIbLb0EES1O_IbLb1EEEEDaS1K_S1L_EUlS1K_E_NS1_11comp_targetILNS1_3genE8ELNS1_11target_archE1030ELNS1_3gpuE2ELNS1_3repE0EEENS1_30default_config_static_selectorELNS0_4arch9wavefront6targetE1EEEvSY_,"axG",@progbits,_ZN7rocprim17ROCPRIM_400000_NS6detail17trampoline_kernelINS0_13select_configILj256ELj13ELNS0_17block_load_methodE3ELS4_3ELS4_3ELNS0_20block_scan_algorithmE0ELj4294967295EEENS1_25partition_config_selectorILNS1_17partition_subalgoE3EjNS0_10empty_typeEbEEZZNS1_14partition_implILS8_3ELb0ES6_jNS0_17counting_iteratorIjlEEPS9_SE_NS0_5tupleIJPjSE_EEENSF_IJSE_SE_EEES9_SG_JZNS1_25segmented_radix_sort_implINS0_14default_configELb1EPKdPdPKlPlN2at6native12_GLOBAL__N_18offset_tEEE10hipError_tPvRmT1_PNSt15iterator_traitsISY_E10value_typeET2_T3_PNSZ_IS14_E10value_typeET4_jRbjT5_S1A_jjP12ihipStream_tbEUljE_EEESV_SW_SX_S14_S18_S1A_T6_T7_T9_mT8_S1C_bDpT10_ENKUlT_T0_E_clISt17integral_constantIbLb0EES1O_IbLb1EEEEDaS1K_S1L_EUlS1K_E_NS1_11comp_targetILNS1_3genE8ELNS1_11target_archE1030ELNS1_3gpuE2ELNS1_3repE0EEENS1_30default_config_static_selectorELNS0_4arch9wavefront6targetE1EEEvSY_,comdat
	.globl	_ZN7rocprim17ROCPRIM_400000_NS6detail17trampoline_kernelINS0_13select_configILj256ELj13ELNS0_17block_load_methodE3ELS4_3ELS4_3ELNS0_20block_scan_algorithmE0ELj4294967295EEENS1_25partition_config_selectorILNS1_17partition_subalgoE3EjNS0_10empty_typeEbEEZZNS1_14partition_implILS8_3ELb0ES6_jNS0_17counting_iteratorIjlEEPS9_SE_NS0_5tupleIJPjSE_EEENSF_IJSE_SE_EEES9_SG_JZNS1_25segmented_radix_sort_implINS0_14default_configELb1EPKdPdPKlPlN2at6native12_GLOBAL__N_18offset_tEEE10hipError_tPvRmT1_PNSt15iterator_traitsISY_E10value_typeET2_T3_PNSZ_IS14_E10value_typeET4_jRbjT5_S1A_jjP12ihipStream_tbEUljE_EEESV_SW_SX_S14_S18_S1A_T6_T7_T9_mT8_S1C_bDpT10_ENKUlT_T0_E_clISt17integral_constantIbLb0EES1O_IbLb1EEEEDaS1K_S1L_EUlS1K_E_NS1_11comp_targetILNS1_3genE8ELNS1_11target_archE1030ELNS1_3gpuE2ELNS1_3repE0EEENS1_30default_config_static_selectorELNS0_4arch9wavefront6targetE1EEEvSY_ ; -- Begin function _ZN7rocprim17ROCPRIM_400000_NS6detail17trampoline_kernelINS0_13select_configILj256ELj13ELNS0_17block_load_methodE3ELS4_3ELS4_3ELNS0_20block_scan_algorithmE0ELj4294967295EEENS1_25partition_config_selectorILNS1_17partition_subalgoE3EjNS0_10empty_typeEbEEZZNS1_14partition_implILS8_3ELb0ES6_jNS0_17counting_iteratorIjlEEPS9_SE_NS0_5tupleIJPjSE_EEENSF_IJSE_SE_EEES9_SG_JZNS1_25segmented_radix_sort_implINS0_14default_configELb1EPKdPdPKlPlN2at6native12_GLOBAL__N_18offset_tEEE10hipError_tPvRmT1_PNSt15iterator_traitsISY_E10value_typeET2_T3_PNSZ_IS14_E10value_typeET4_jRbjT5_S1A_jjP12ihipStream_tbEUljE_EEESV_SW_SX_S14_S18_S1A_T6_T7_T9_mT8_S1C_bDpT10_ENKUlT_T0_E_clISt17integral_constantIbLb0EES1O_IbLb1EEEEDaS1K_S1L_EUlS1K_E_NS1_11comp_targetILNS1_3genE8ELNS1_11target_archE1030ELNS1_3gpuE2ELNS1_3repE0EEENS1_30default_config_static_selectorELNS0_4arch9wavefront6targetE1EEEvSY_
	.p2align	8
	.type	_ZN7rocprim17ROCPRIM_400000_NS6detail17trampoline_kernelINS0_13select_configILj256ELj13ELNS0_17block_load_methodE3ELS4_3ELS4_3ELNS0_20block_scan_algorithmE0ELj4294967295EEENS1_25partition_config_selectorILNS1_17partition_subalgoE3EjNS0_10empty_typeEbEEZZNS1_14partition_implILS8_3ELb0ES6_jNS0_17counting_iteratorIjlEEPS9_SE_NS0_5tupleIJPjSE_EEENSF_IJSE_SE_EEES9_SG_JZNS1_25segmented_radix_sort_implINS0_14default_configELb1EPKdPdPKlPlN2at6native12_GLOBAL__N_18offset_tEEE10hipError_tPvRmT1_PNSt15iterator_traitsISY_E10value_typeET2_T3_PNSZ_IS14_E10value_typeET4_jRbjT5_S1A_jjP12ihipStream_tbEUljE_EEESV_SW_SX_S14_S18_S1A_T6_T7_T9_mT8_S1C_bDpT10_ENKUlT_T0_E_clISt17integral_constantIbLb0EES1O_IbLb1EEEEDaS1K_S1L_EUlS1K_E_NS1_11comp_targetILNS1_3genE8ELNS1_11target_archE1030ELNS1_3gpuE2ELNS1_3repE0EEENS1_30default_config_static_selectorELNS0_4arch9wavefront6targetE1EEEvSY_,@function
_ZN7rocprim17ROCPRIM_400000_NS6detail17trampoline_kernelINS0_13select_configILj256ELj13ELNS0_17block_load_methodE3ELS4_3ELS4_3ELNS0_20block_scan_algorithmE0ELj4294967295EEENS1_25partition_config_selectorILNS1_17partition_subalgoE3EjNS0_10empty_typeEbEEZZNS1_14partition_implILS8_3ELb0ES6_jNS0_17counting_iteratorIjlEEPS9_SE_NS0_5tupleIJPjSE_EEENSF_IJSE_SE_EEES9_SG_JZNS1_25segmented_radix_sort_implINS0_14default_configELb1EPKdPdPKlPlN2at6native12_GLOBAL__N_18offset_tEEE10hipError_tPvRmT1_PNSt15iterator_traitsISY_E10value_typeET2_T3_PNSZ_IS14_E10value_typeET4_jRbjT5_S1A_jjP12ihipStream_tbEUljE_EEESV_SW_SX_S14_S18_S1A_T6_T7_T9_mT8_S1C_bDpT10_ENKUlT_T0_E_clISt17integral_constantIbLb0EES1O_IbLb1EEEEDaS1K_S1L_EUlS1K_E_NS1_11comp_targetILNS1_3genE8ELNS1_11target_archE1030ELNS1_3gpuE2ELNS1_3repE0EEENS1_30default_config_static_selectorELNS0_4arch9wavefront6targetE1EEEvSY_: ; @_ZN7rocprim17ROCPRIM_400000_NS6detail17trampoline_kernelINS0_13select_configILj256ELj13ELNS0_17block_load_methodE3ELS4_3ELS4_3ELNS0_20block_scan_algorithmE0ELj4294967295EEENS1_25partition_config_selectorILNS1_17partition_subalgoE3EjNS0_10empty_typeEbEEZZNS1_14partition_implILS8_3ELb0ES6_jNS0_17counting_iteratorIjlEEPS9_SE_NS0_5tupleIJPjSE_EEENSF_IJSE_SE_EEES9_SG_JZNS1_25segmented_radix_sort_implINS0_14default_configELb1EPKdPdPKlPlN2at6native12_GLOBAL__N_18offset_tEEE10hipError_tPvRmT1_PNSt15iterator_traitsISY_E10value_typeET2_T3_PNSZ_IS14_E10value_typeET4_jRbjT5_S1A_jjP12ihipStream_tbEUljE_EEESV_SW_SX_S14_S18_S1A_T6_T7_T9_mT8_S1C_bDpT10_ENKUlT_T0_E_clISt17integral_constantIbLb0EES1O_IbLb1EEEEDaS1K_S1L_EUlS1K_E_NS1_11comp_targetILNS1_3genE8ELNS1_11target_archE1030ELNS1_3gpuE2ELNS1_3repE0EEENS1_30default_config_static_selectorELNS0_4arch9wavefront6targetE1EEEvSY_
; %bb.0:
	.section	.rodata,"a",@progbits
	.p2align	6, 0x0
	.amdhsa_kernel _ZN7rocprim17ROCPRIM_400000_NS6detail17trampoline_kernelINS0_13select_configILj256ELj13ELNS0_17block_load_methodE3ELS4_3ELS4_3ELNS0_20block_scan_algorithmE0ELj4294967295EEENS1_25partition_config_selectorILNS1_17partition_subalgoE3EjNS0_10empty_typeEbEEZZNS1_14partition_implILS8_3ELb0ES6_jNS0_17counting_iteratorIjlEEPS9_SE_NS0_5tupleIJPjSE_EEENSF_IJSE_SE_EEES9_SG_JZNS1_25segmented_radix_sort_implINS0_14default_configELb1EPKdPdPKlPlN2at6native12_GLOBAL__N_18offset_tEEE10hipError_tPvRmT1_PNSt15iterator_traitsISY_E10value_typeET2_T3_PNSZ_IS14_E10value_typeET4_jRbjT5_S1A_jjP12ihipStream_tbEUljE_EEESV_SW_SX_S14_S18_S1A_T6_T7_T9_mT8_S1C_bDpT10_ENKUlT_T0_E_clISt17integral_constantIbLb0EES1O_IbLb1EEEEDaS1K_S1L_EUlS1K_E_NS1_11comp_targetILNS1_3genE8ELNS1_11target_archE1030ELNS1_3gpuE2ELNS1_3repE0EEENS1_30default_config_static_selectorELNS0_4arch9wavefront6targetE1EEEvSY_
		.amdhsa_group_segment_fixed_size 0
		.amdhsa_private_segment_fixed_size 0
		.amdhsa_kernarg_size 152
		.amdhsa_user_sgpr_count 6
		.amdhsa_user_sgpr_private_segment_buffer 1
		.amdhsa_user_sgpr_dispatch_ptr 0
		.amdhsa_user_sgpr_queue_ptr 0
		.amdhsa_user_sgpr_kernarg_segment_ptr 1
		.amdhsa_user_sgpr_dispatch_id 0
		.amdhsa_user_sgpr_flat_scratch_init 0
		.amdhsa_user_sgpr_private_segment_size 0
		.amdhsa_uses_dynamic_stack 0
		.amdhsa_system_sgpr_private_segment_wavefront_offset 0
		.amdhsa_system_sgpr_workgroup_id_x 1
		.amdhsa_system_sgpr_workgroup_id_y 0
		.amdhsa_system_sgpr_workgroup_id_z 0
		.amdhsa_system_sgpr_workgroup_info 0
		.amdhsa_system_vgpr_workitem_id 0
		.amdhsa_next_free_vgpr 1
		.amdhsa_next_free_sgpr 0
		.amdhsa_reserve_vcc 0
		.amdhsa_reserve_flat_scratch 0
		.amdhsa_float_round_mode_32 0
		.amdhsa_float_round_mode_16_64 0
		.amdhsa_float_denorm_mode_32 3
		.amdhsa_float_denorm_mode_16_64 3
		.amdhsa_dx10_clamp 1
		.amdhsa_ieee_mode 1
		.amdhsa_fp16_overflow 0
		.amdhsa_exception_fp_ieee_invalid_op 0
		.amdhsa_exception_fp_denorm_src 0
		.amdhsa_exception_fp_ieee_div_zero 0
		.amdhsa_exception_fp_ieee_overflow 0
		.amdhsa_exception_fp_ieee_underflow 0
		.amdhsa_exception_fp_ieee_inexact 0
		.amdhsa_exception_int_div_zero 0
	.end_amdhsa_kernel
	.section	.text._ZN7rocprim17ROCPRIM_400000_NS6detail17trampoline_kernelINS0_13select_configILj256ELj13ELNS0_17block_load_methodE3ELS4_3ELS4_3ELNS0_20block_scan_algorithmE0ELj4294967295EEENS1_25partition_config_selectorILNS1_17partition_subalgoE3EjNS0_10empty_typeEbEEZZNS1_14partition_implILS8_3ELb0ES6_jNS0_17counting_iteratorIjlEEPS9_SE_NS0_5tupleIJPjSE_EEENSF_IJSE_SE_EEES9_SG_JZNS1_25segmented_radix_sort_implINS0_14default_configELb1EPKdPdPKlPlN2at6native12_GLOBAL__N_18offset_tEEE10hipError_tPvRmT1_PNSt15iterator_traitsISY_E10value_typeET2_T3_PNSZ_IS14_E10value_typeET4_jRbjT5_S1A_jjP12ihipStream_tbEUljE_EEESV_SW_SX_S14_S18_S1A_T6_T7_T9_mT8_S1C_bDpT10_ENKUlT_T0_E_clISt17integral_constantIbLb0EES1O_IbLb1EEEEDaS1K_S1L_EUlS1K_E_NS1_11comp_targetILNS1_3genE8ELNS1_11target_archE1030ELNS1_3gpuE2ELNS1_3repE0EEENS1_30default_config_static_selectorELNS0_4arch9wavefront6targetE1EEEvSY_,"axG",@progbits,_ZN7rocprim17ROCPRIM_400000_NS6detail17trampoline_kernelINS0_13select_configILj256ELj13ELNS0_17block_load_methodE3ELS4_3ELS4_3ELNS0_20block_scan_algorithmE0ELj4294967295EEENS1_25partition_config_selectorILNS1_17partition_subalgoE3EjNS0_10empty_typeEbEEZZNS1_14partition_implILS8_3ELb0ES6_jNS0_17counting_iteratorIjlEEPS9_SE_NS0_5tupleIJPjSE_EEENSF_IJSE_SE_EEES9_SG_JZNS1_25segmented_radix_sort_implINS0_14default_configELb1EPKdPdPKlPlN2at6native12_GLOBAL__N_18offset_tEEE10hipError_tPvRmT1_PNSt15iterator_traitsISY_E10value_typeET2_T3_PNSZ_IS14_E10value_typeET4_jRbjT5_S1A_jjP12ihipStream_tbEUljE_EEESV_SW_SX_S14_S18_S1A_T6_T7_T9_mT8_S1C_bDpT10_ENKUlT_T0_E_clISt17integral_constantIbLb0EES1O_IbLb1EEEEDaS1K_S1L_EUlS1K_E_NS1_11comp_targetILNS1_3genE8ELNS1_11target_archE1030ELNS1_3gpuE2ELNS1_3repE0EEENS1_30default_config_static_selectorELNS0_4arch9wavefront6targetE1EEEvSY_,comdat
.Lfunc_end1117:
	.size	_ZN7rocprim17ROCPRIM_400000_NS6detail17trampoline_kernelINS0_13select_configILj256ELj13ELNS0_17block_load_methodE3ELS4_3ELS4_3ELNS0_20block_scan_algorithmE0ELj4294967295EEENS1_25partition_config_selectorILNS1_17partition_subalgoE3EjNS0_10empty_typeEbEEZZNS1_14partition_implILS8_3ELb0ES6_jNS0_17counting_iteratorIjlEEPS9_SE_NS0_5tupleIJPjSE_EEENSF_IJSE_SE_EEES9_SG_JZNS1_25segmented_radix_sort_implINS0_14default_configELb1EPKdPdPKlPlN2at6native12_GLOBAL__N_18offset_tEEE10hipError_tPvRmT1_PNSt15iterator_traitsISY_E10value_typeET2_T3_PNSZ_IS14_E10value_typeET4_jRbjT5_S1A_jjP12ihipStream_tbEUljE_EEESV_SW_SX_S14_S18_S1A_T6_T7_T9_mT8_S1C_bDpT10_ENKUlT_T0_E_clISt17integral_constantIbLb0EES1O_IbLb1EEEEDaS1K_S1L_EUlS1K_E_NS1_11comp_targetILNS1_3genE8ELNS1_11target_archE1030ELNS1_3gpuE2ELNS1_3repE0EEENS1_30default_config_static_selectorELNS0_4arch9wavefront6targetE1EEEvSY_, .Lfunc_end1117-_ZN7rocprim17ROCPRIM_400000_NS6detail17trampoline_kernelINS0_13select_configILj256ELj13ELNS0_17block_load_methodE3ELS4_3ELS4_3ELNS0_20block_scan_algorithmE0ELj4294967295EEENS1_25partition_config_selectorILNS1_17partition_subalgoE3EjNS0_10empty_typeEbEEZZNS1_14partition_implILS8_3ELb0ES6_jNS0_17counting_iteratorIjlEEPS9_SE_NS0_5tupleIJPjSE_EEENSF_IJSE_SE_EEES9_SG_JZNS1_25segmented_radix_sort_implINS0_14default_configELb1EPKdPdPKlPlN2at6native12_GLOBAL__N_18offset_tEEE10hipError_tPvRmT1_PNSt15iterator_traitsISY_E10value_typeET2_T3_PNSZ_IS14_E10value_typeET4_jRbjT5_S1A_jjP12ihipStream_tbEUljE_EEESV_SW_SX_S14_S18_S1A_T6_T7_T9_mT8_S1C_bDpT10_ENKUlT_T0_E_clISt17integral_constantIbLb0EES1O_IbLb1EEEEDaS1K_S1L_EUlS1K_E_NS1_11comp_targetILNS1_3genE8ELNS1_11target_archE1030ELNS1_3gpuE2ELNS1_3repE0EEENS1_30default_config_static_selectorELNS0_4arch9wavefront6targetE1EEEvSY_
                                        ; -- End function
	.set _ZN7rocprim17ROCPRIM_400000_NS6detail17trampoline_kernelINS0_13select_configILj256ELj13ELNS0_17block_load_methodE3ELS4_3ELS4_3ELNS0_20block_scan_algorithmE0ELj4294967295EEENS1_25partition_config_selectorILNS1_17partition_subalgoE3EjNS0_10empty_typeEbEEZZNS1_14partition_implILS8_3ELb0ES6_jNS0_17counting_iteratorIjlEEPS9_SE_NS0_5tupleIJPjSE_EEENSF_IJSE_SE_EEES9_SG_JZNS1_25segmented_radix_sort_implINS0_14default_configELb1EPKdPdPKlPlN2at6native12_GLOBAL__N_18offset_tEEE10hipError_tPvRmT1_PNSt15iterator_traitsISY_E10value_typeET2_T3_PNSZ_IS14_E10value_typeET4_jRbjT5_S1A_jjP12ihipStream_tbEUljE_EEESV_SW_SX_S14_S18_S1A_T6_T7_T9_mT8_S1C_bDpT10_ENKUlT_T0_E_clISt17integral_constantIbLb0EES1O_IbLb1EEEEDaS1K_S1L_EUlS1K_E_NS1_11comp_targetILNS1_3genE8ELNS1_11target_archE1030ELNS1_3gpuE2ELNS1_3repE0EEENS1_30default_config_static_selectorELNS0_4arch9wavefront6targetE1EEEvSY_.num_vgpr, 0
	.set _ZN7rocprim17ROCPRIM_400000_NS6detail17trampoline_kernelINS0_13select_configILj256ELj13ELNS0_17block_load_methodE3ELS4_3ELS4_3ELNS0_20block_scan_algorithmE0ELj4294967295EEENS1_25partition_config_selectorILNS1_17partition_subalgoE3EjNS0_10empty_typeEbEEZZNS1_14partition_implILS8_3ELb0ES6_jNS0_17counting_iteratorIjlEEPS9_SE_NS0_5tupleIJPjSE_EEENSF_IJSE_SE_EEES9_SG_JZNS1_25segmented_radix_sort_implINS0_14default_configELb1EPKdPdPKlPlN2at6native12_GLOBAL__N_18offset_tEEE10hipError_tPvRmT1_PNSt15iterator_traitsISY_E10value_typeET2_T3_PNSZ_IS14_E10value_typeET4_jRbjT5_S1A_jjP12ihipStream_tbEUljE_EEESV_SW_SX_S14_S18_S1A_T6_T7_T9_mT8_S1C_bDpT10_ENKUlT_T0_E_clISt17integral_constantIbLb0EES1O_IbLb1EEEEDaS1K_S1L_EUlS1K_E_NS1_11comp_targetILNS1_3genE8ELNS1_11target_archE1030ELNS1_3gpuE2ELNS1_3repE0EEENS1_30default_config_static_selectorELNS0_4arch9wavefront6targetE1EEEvSY_.num_agpr, 0
	.set _ZN7rocprim17ROCPRIM_400000_NS6detail17trampoline_kernelINS0_13select_configILj256ELj13ELNS0_17block_load_methodE3ELS4_3ELS4_3ELNS0_20block_scan_algorithmE0ELj4294967295EEENS1_25partition_config_selectorILNS1_17partition_subalgoE3EjNS0_10empty_typeEbEEZZNS1_14partition_implILS8_3ELb0ES6_jNS0_17counting_iteratorIjlEEPS9_SE_NS0_5tupleIJPjSE_EEENSF_IJSE_SE_EEES9_SG_JZNS1_25segmented_radix_sort_implINS0_14default_configELb1EPKdPdPKlPlN2at6native12_GLOBAL__N_18offset_tEEE10hipError_tPvRmT1_PNSt15iterator_traitsISY_E10value_typeET2_T3_PNSZ_IS14_E10value_typeET4_jRbjT5_S1A_jjP12ihipStream_tbEUljE_EEESV_SW_SX_S14_S18_S1A_T6_T7_T9_mT8_S1C_bDpT10_ENKUlT_T0_E_clISt17integral_constantIbLb0EES1O_IbLb1EEEEDaS1K_S1L_EUlS1K_E_NS1_11comp_targetILNS1_3genE8ELNS1_11target_archE1030ELNS1_3gpuE2ELNS1_3repE0EEENS1_30default_config_static_selectorELNS0_4arch9wavefront6targetE1EEEvSY_.numbered_sgpr, 0
	.set _ZN7rocprim17ROCPRIM_400000_NS6detail17trampoline_kernelINS0_13select_configILj256ELj13ELNS0_17block_load_methodE3ELS4_3ELS4_3ELNS0_20block_scan_algorithmE0ELj4294967295EEENS1_25partition_config_selectorILNS1_17partition_subalgoE3EjNS0_10empty_typeEbEEZZNS1_14partition_implILS8_3ELb0ES6_jNS0_17counting_iteratorIjlEEPS9_SE_NS0_5tupleIJPjSE_EEENSF_IJSE_SE_EEES9_SG_JZNS1_25segmented_radix_sort_implINS0_14default_configELb1EPKdPdPKlPlN2at6native12_GLOBAL__N_18offset_tEEE10hipError_tPvRmT1_PNSt15iterator_traitsISY_E10value_typeET2_T3_PNSZ_IS14_E10value_typeET4_jRbjT5_S1A_jjP12ihipStream_tbEUljE_EEESV_SW_SX_S14_S18_S1A_T6_T7_T9_mT8_S1C_bDpT10_ENKUlT_T0_E_clISt17integral_constantIbLb0EES1O_IbLb1EEEEDaS1K_S1L_EUlS1K_E_NS1_11comp_targetILNS1_3genE8ELNS1_11target_archE1030ELNS1_3gpuE2ELNS1_3repE0EEENS1_30default_config_static_selectorELNS0_4arch9wavefront6targetE1EEEvSY_.num_named_barrier, 0
	.set _ZN7rocprim17ROCPRIM_400000_NS6detail17trampoline_kernelINS0_13select_configILj256ELj13ELNS0_17block_load_methodE3ELS4_3ELS4_3ELNS0_20block_scan_algorithmE0ELj4294967295EEENS1_25partition_config_selectorILNS1_17partition_subalgoE3EjNS0_10empty_typeEbEEZZNS1_14partition_implILS8_3ELb0ES6_jNS0_17counting_iteratorIjlEEPS9_SE_NS0_5tupleIJPjSE_EEENSF_IJSE_SE_EEES9_SG_JZNS1_25segmented_radix_sort_implINS0_14default_configELb1EPKdPdPKlPlN2at6native12_GLOBAL__N_18offset_tEEE10hipError_tPvRmT1_PNSt15iterator_traitsISY_E10value_typeET2_T3_PNSZ_IS14_E10value_typeET4_jRbjT5_S1A_jjP12ihipStream_tbEUljE_EEESV_SW_SX_S14_S18_S1A_T6_T7_T9_mT8_S1C_bDpT10_ENKUlT_T0_E_clISt17integral_constantIbLb0EES1O_IbLb1EEEEDaS1K_S1L_EUlS1K_E_NS1_11comp_targetILNS1_3genE8ELNS1_11target_archE1030ELNS1_3gpuE2ELNS1_3repE0EEENS1_30default_config_static_selectorELNS0_4arch9wavefront6targetE1EEEvSY_.private_seg_size, 0
	.set _ZN7rocprim17ROCPRIM_400000_NS6detail17trampoline_kernelINS0_13select_configILj256ELj13ELNS0_17block_load_methodE3ELS4_3ELS4_3ELNS0_20block_scan_algorithmE0ELj4294967295EEENS1_25partition_config_selectorILNS1_17partition_subalgoE3EjNS0_10empty_typeEbEEZZNS1_14partition_implILS8_3ELb0ES6_jNS0_17counting_iteratorIjlEEPS9_SE_NS0_5tupleIJPjSE_EEENSF_IJSE_SE_EEES9_SG_JZNS1_25segmented_radix_sort_implINS0_14default_configELb1EPKdPdPKlPlN2at6native12_GLOBAL__N_18offset_tEEE10hipError_tPvRmT1_PNSt15iterator_traitsISY_E10value_typeET2_T3_PNSZ_IS14_E10value_typeET4_jRbjT5_S1A_jjP12ihipStream_tbEUljE_EEESV_SW_SX_S14_S18_S1A_T6_T7_T9_mT8_S1C_bDpT10_ENKUlT_T0_E_clISt17integral_constantIbLb0EES1O_IbLb1EEEEDaS1K_S1L_EUlS1K_E_NS1_11comp_targetILNS1_3genE8ELNS1_11target_archE1030ELNS1_3gpuE2ELNS1_3repE0EEENS1_30default_config_static_selectorELNS0_4arch9wavefront6targetE1EEEvSY_.uses_vcc, 0
	.set _ZN7rocprim17ROCPRIM_400000_NS6detail17trampoline_kernelINS0_13select_configILj256ELj13ELNS0_17block_load_methodE3ELS4_3ELS4_3ELNS0_20block_scan_algorithmE0ELj4294967295EEENS1_25partition_config_selectorILNS1_17partition_subalgoE3EjNS0_10empty_typeEbEEZZNS1_14partition_implILS8_3ELb0ES6_jNS0_17counting_iteratorIjlEEPS9_SE_NS0_5tupleIJPjSE_EEENSF_IJSE_SE_EEES9_SG_JZNS1_25segmented_radix_sort_implINS0_14default_configELb1EPKdPdPKlPlN2at6native12_GLOBAL__N_18offset_tEEE10hipError_tPvRmT1_PNSt15iterator_traitsISY_E10value_typeET2_T3_PNSZ_IS14_E10value_typeET4_jRbjT5_S1A_jjP12ihipStream_tbEUljE_EEESV_SW_SX_S14_S18_S1A_T6_T7_T9_mT8_S1C_bDpT10_ENKUlT_T0_E_clISt17integral_constantIbLb0EES1O_IbLb1EEEEDaS1K_S1L_EUlS1K_E_NS1_11comp_targetILNS1_3genE8ELNS1_11target_archE1030ELNS1_3gpuE2ELNS1_3repE0EEENS1_30default_config_static_selectorELNS0_4arch9wavefront6targetE1EEEvSY_.uses_flat_scratch, 0
	.set _ZN7rocprim17ROCPRIM_400000_NS6detail17trampoline_kernelINS0_13select_configILj256ELj13ELNS0_17block_load_methodE3ELS4_3ELS4_3ELNS0_20block_scan_algorithmE0ELj4294967295EEENS1_25partition_config_selectorILNS1_17partition_subalgoE3EjNS0_10empty_typeEbEEZZNS1_14partition_implILS8_3ELb0ES6_jNS0_17counting_iteratorIjlEEPS9_SE_NS0_5tupleIJPjSE_EEENSF_IJSE_SE_EEES9_SG_JZNS1_25segmented_radix_sort_implINS0_14default_configELb1EPKdPdPKlPlN2at6native12_GLOBAL__N_18offset_tEEE10hipError_tPvRmT1_PNSt15iterator_traitsISY_E10value_typeET2_T3_PNSZ_IS14_E10value_typeET4_jRbjT5_S1A_jjP12ihipStream_tbEUljE_EEESV_SW_SX_S14_S18_S1A_T6_T7_T9_mT8_S1C_bDpT10_ENKUlT_T0_E_clISt17integral_constantIbLb0EES1O_IbLb1EEEEDaS1K_S1L_EUlS1K_E_NS1_11comp_targetILNS1_3genE8ELNS1_11target_archE1030ELNS1_3gpuE2ELNS1_3repE0EEENS1_30default_config_static_selectorELNS0_4arch9wavefront6targetE1EEEvSY_.has_dyn_sized_stack, 0
	.set _ZN7rocprim17ROCPRIM_400000_NS6detail17trampoline_kernelINS0_13select_configILj256ELj13ELNS0_17block_load_methodE3ELS4_3ELS4_3ELNS0_20block_scan_algorithmE0ELj4294967295EEENS1_25partition_config_selectorILNS1_17partition_subalgoE3EjNS0_10empty_typeEbEEZZNS1_14partition_implILS8_3ELb0ES6_jNS0_17counting_iteratorIjlEEPS9_SE_NS0_5tupleIJPjSE_EEENSF_IJSE_SE_EEES9_SG_JZNS1_25segmented_radix_sort_implINS0_14default_configELb1EPKdPdPKlPlN2at6native12_GLOBAL__N_18offset_tEEE10hipError_tPvRmT1_PNSt15iterator_traitsISY_E10value_typeET2_T3_PNSZ_IS14_E10value_typeET4_jRbjT5_S1A_jjP12ihipStream_tbEUljE_EEESV_SW_SX_S14_S18_S1A_T6_T7_T9_mT8_S1C_bDpT10_ENKUlT_T0_E_clISt17integral_constantIbLb0EES1O_IbLb1EEEEDaS1K_S1L_EUlS1K_E_NS1_11comp_targetILNS1_3genE8ELNS1_11target_archE1030ELNS1_3gpuE2ELNS1_3repE0EEENS1_30default_config_static_selectorELNS0_4arch9wavefront6targetE1EEEvSY_.has_recursion, 0
	.set _ZN7rocprim17ROCPRIM_400000_NS6detail17trampoline_kernelINS0_13select_configILj256ELj13ELNS0_17block_load_methodE3ELS4_3ELS4_3ELNS0_20block_scan_algorithmE0ELj4294967295EEENS1_25partition_config_selectorILNS1_17partition_subalgoE3EjNS0_10empty_typeEbEEZZNS1_14partition_implILS8_3ELb0ES6_jNS0_17counting_iteratorIjlEEPS9_SE_NS0_5tupleIJPjSE_EEENSF_IJSE_SE_EEES9_SG_JZNS1_25segmented_radix_sort_implINS0_14default_configELb1EPKdPdPKlPlN2at6native12_GLOBAL__N_18offset_tEEE10hipError_tPvRmT1_PNSt15iterator_traitsISY_E10value_typeET2_T3_PNSZ_IS14_E10value_typeET4_jRbjT5_S1A_jjP12ihipStream_tbEUljE_EEESV_SW_SX_S14_S18_S1A_T6_T7_T9_mT8_S1C_bDpT10_ENKUlT_T0_E_clISt17integral_constantIbLb0EES1O_IbLb1EEEEDaS1K_S1L_EUlS1K_E_NS1_11comp_targetILNS1_3genE8ELNS1_11target_archE1030ELNS1_3gpuE2ELNS1_3repE0EEENS1_30default_config_static_selectorELNS0_4arch9wavefront6targetE1EEEvSY_.has_indirect_call, 0
	.section	.AMDGPU.csdata,"",@progbits
; Kernel info:
; codeLenInByte = 0
; TotalNumSgprs: 4
; NumVgprs: 0
; ScratchSize: 0
; MemoryBound: 0
; FloatMode: 240
; IeeeMode: 1
; LDSByteSize: 0 bytes/workgroup (compile time only)
; SGPRBlocks: 0
; VGPRBlocks: 0
; NumSGPRsForWavesPerEU: 4
; NumVGPRsForWavesPerEU: 1
; Occupancy: 10
; WaveLimiterHint : 0
; COMPUTE_PGM_RSRC2:SCRATCH_EN: 0
; COMPUTE_PGM_RSRC2:USER_SGPR: 6
; COMPUTE_PGM_RSRC2:TRAP_HANDLER: 0
; COMPUTE_PGM_RSRC2:TGID_X_EN: 1
; COMPUTE_PGM_RSRC2:TGID_Y_EN: 0
; COMPUTE_PGM_RSRC2:TGID_Z_EN: 0
; COMPUTE_PGM_RSRC2:TIDIG_COMP_CNT: 0
	.section	.text._ZN7rocprim17ROCPRIM_400000_NS6detail17trampoline_kernelINS0_14default_configENS1_36segmented_radix_sort_config_selectorIdlEEZNS1_25segmented_radix_sort_implIS3_Lb1EPKdPdPKlPlN2at6native12_GLOBAL__N_18offset_tEEE10hipError_tPvRmT1_PNSt15iterator_traitsISK_E10value_typeET2_T3_PNSL_ISQ_E10value_typeET4_jRbjT5_SW_jjP12ihipStream_tbEUlT_E_NS1_11comp_targetILNS1_3genE0ELNS1_11target_archE4294967295ELNS1_3gpuE0ELNS1_3repE0EEENS1_30default_config_static_selectorELNS0_4arch9wavefront6targetE1EEEvSK_,"axG",@progbits,_ZN7rocprim17ROCPRIM_400000_NS6detail17trampoline_kernelINS0_14default_configENS1_36segmented_radix_sort_config_selectorIdlEEZNS1_25segmented_radix_sort_implIS3_Lb1EPKdPdPKlPlN2at6native12_GLOBAL__N_18offset_tEEE10hipError_tPvRmT1_PNSt15iterator_traitsISK_E10value_typeET2_T3_PNSL_ISQ_E10value_typeET4_jRbjT5_SW_jjP12ihipStream_tbEUlT_E_NS1_11comp_targetILNS1_3genE0ELNS1_11target_archE4294967295ELNS1_3gpuE0ELNS1_3repE0EEENS1_30default_config_static_selectorELNS0_4arch9wavefront6targetE1EEEvSK_,comdat
	.globl	_ZN7rocprim17ROCPRIM_400000_NS6detail17trampoline_kernelINS0_14default_configENS1_36segmented_radix_sort_config_selectorIdlEEZNS1_25segmented_radix_sort_implIS3_Lb1EPKdPdPKlPlN2at6native12_GLOBAL__N_18offset_tEEE10hipError_tPvRmT1_PNSt15iterator_traitsISK_E10value_typeET2_T3_PNSL_ISQ_E10value_typeET4_jRbjT5_SW_jjP12ihipStream_tbEUlT_E_NS1_11comp_targetILNS1_3genE0ELNS1_11target_archE4294967295ELNS1_3gpuE0ELNS1_3repE0EEENS1_30default_config_static_selectorELNS0_4arch9wavefront6targetE1EEEvSK_ ; -- Begin function _ZN7rocprim17ROCPRIM_400000_NS6detail17trampoline_kernelINS0_14default_configENS1_36segmented_radix_sort_config_selectorIdlEEZNS1_25segmented_radix_sort_implIS3_Lb1EPKdPdPKlPlN2at6native12_GLOBAL__N_18offset_tEEE10hipError_tPvRmT1_PNSt15iterator_traitsISK_E10value_typeET2_T3_PNSL_ISQ_E10value_typeET4_jRbjT5_SW_jjP12ihipStream_tbEUlT_E_NS1_11comp_targetILNS1_3genE0ELNS1_11target_archE4294967295ELNS1_3gpuE0ELNS1_3repE0EEENS1_30default_config_static_selectorELNS0_4arch9wavefront6targetE1EEEvSK_
	.p2align	8
	.type	_ZN7rocprim17ROCPRIM_400000_NS6detail17trampoline_kernelINS0_14default_configENS1_36segmented_radix_sort_config_selectorIdlEEZNS1_25segmented_radix_sort_implIS3_Lb1EPKdPdPKlPlN2at6native12_GLOBAL__N_18offset_tEEE10hipError_tPvRmT1_PNSt15iterator_traitsISK_E10value_typeET2_T3_PNSL_ISQ_E10value_typeET4_jRbjT5_SW_jjP12ihipStream_tbEUlT_E_NS1_11comp_targetILNS1_3genE0ELNS1_11target_archE4294967295ELNS1_3gpuE0ELNS1_3repE0EEENS1_30default_config_static_selectorELNS0_4arch9wavefront6targetE1EEEvSK_,@function
_ZN7rocprim17ROCPRIM_400000_NS6detail17trampoline_kernelINS0_14default_configENS1_36segmented_radix_sort_config_selectorIdlEEZNS1_25segmented_radix_sort_implIS3_Lb1EPKdPdPKlPlN2at6native12_GLOBAL__N_18offset_tEEE10hipError_tPvRmT1_PNSt15iterator_traitsISK_E10value_typeET2_T3_PNSL_ISQ_E10value_typeET4_jRbjT5_SW_jjP12ihipStream_tbEUlT_E_NS1_11comp_targetILNS1_3genE0ELNS1_11target_archE4294967295ELNS1_3gpuE0ELNS1_3repE0EEENS1_30default_config_static_selectorELNS0_4arch9wavefront6targetE1EEEvSK_: ; @_ZN7rocprim17ROCPRIM_400000_NS6detail17trampoline_kernelINS0_14default_configENS1_36segmented_radix_sort_config_selectorIdlEEZNS1_25segmented_radix_sort_implIS3_Lb1EPKdPdPKlPlN2at6native12_GLOBAL__N_18offset_tEEE10hipError_tPvRmT1_PNSt15iterator_traitsISK_E10value_typeET2_T3_PNSL_ISQ_E10value_typeET4_jRbjT5_SW_jjP12ihipStream_tbEUlT_E_NS1_11comp_targetILNS1_3genE0ELNS1_11target_archE4294967295ELNS1_3gpuE0ELNS1_3repE0EEENS1_30default_config_static_selectorELNS0_4arch9wavefront6targetE1EEEvSK_
; %bb.0:
	.section	.rodata,"a",@progbits
	.p2align	6, 0x0
	.amdhsa_kernel _ZN7rocprim17ROCPRIM_400000_NS6detail17trampoline_kernelINS0_14default_configENS1_36segmented_radix_sort_config_selectorIdlEEZNS1_25segmented_radix_sort_implIS3_Lb1EPKdPdPKlPlN2at6native12_GLOBAL__N_18offset_tEEE10hipError_tPvRmT1_PNSt15iterator_traitsISK_E10value_typeET2_T3_PNSL_ISQ_E10value_typeET4_jRbjT5_SW_jjP12ihipStream_tbEUlT_E_NS1_11comp_targetILNS1_3genE0ELNS1_11target_archE4294967295ELNS1_3gpuE0ELNS1_3repE0EEENS1_30default_config_static_selectorELNS0_4arch9wavefront6targetE1EEEvSK_
		.amdhsa_group_segment_fixed_size 0
		.amdhsa_private_segment_fixed_size 0
		.amdhsa_kernarg_size 96
		.amdhsa_user_sgpr_count 6
		.amdhsa_user_sgpr_private_segment_buffer 1
		.amdhsa_user_sgpr_dispatch_ptr 0
		.amdhsa_user_sgpr_queue_ptr 0
		.amdhsa_user_sgpr_kernarg_segment_ptr 1
		.amdhsa_user_sgpr_dispatch_id 0
		.amdhsa_user_sgpr_flat_scratch_init 0
		.amdhsa_user_sgpr_private_segment_size 0
		.amdhsa_uses_dynamic_stack 0
		.amdhsa_system_sgpr_private_segment_wavefront_offset 0
		.amdhsa_system_sgpr_workgroup_id_x 1
		.amdhsa_system_sgpr_workgroup_id_y 0
		.amdhsa_system_sgpr_workgroup_id_z 0
		.amdhsa_system_sgpr_workgroup_info 0
		.amdhsa_system_vgpr_workitem_id 0
		.amdhsa_next_free_vgpr 1
		.amdhsa_next_free_sgpr 0
		.amdhsa_reserve_vcc 0
		.amdhsa_reserve_flat_scratch 0
		.amdhsa_float_round_mode_32 0
		.amdhsa_float_round_mode_16_64 0
		.amdhsa_float_denorm_mode_32 3
		.amdhsa_float_denorm_mode_16_64 3
		.amdhsa_dx10_clamp 1
		.amdhsa_ieee_mode 1
		.amdhsa_fp16_overflow 0
		.amdhsa_exception_fp_ieee_invalid_op 0
		.amdhsa_exception_fp_denorm_src 0
		.amdhsa_exception_fp_ieee_div_zero 0
		.amdhsa_exception_fp_ieee_overflow 0
		.amdhsa_exception_fp_ieee_underflow 0
		.amdhsa_exception_fp_ieee_inexact 0
		.amdhsa_exception_int_div_zero 0
	.end_amdhsa_kernel
	.section	.text._ZN7rocprim17ROCPRIM_400000_NS6detail17trampoline_kernelINS0_14default_configENS1_36segmented_radix_sort_config_selectorIdlEEZNS1_25segmented_radix_sort_implIS3_Lb1EPKdPdPKlPlN2at6native12_GLOBAL__N_18offset_tEEE10hipError_tPvRmT1_PNSt15iterator_traitsISK_E10value_typeET2_T3_PNSL_ISQ_E10value_typeET4_jRbjT5_SW_jjP12ihipStream_tbEUlT_E_NS1_11comp_targetILNS1_3genE0ELNS1_11target_archE4294967295ELNS1_3gpuE0ELNS1_3repE0EEENS1_30default_config_static_selectorELNS0_4arch9wavefront6targetE1EEEvSK_,"axG",@progbits,_ZN7rocprim17ROCPRIM_400000_NS6detail17trampoline_kernelINS0_14default_configENS1_36segmented_radix_sort_config_selectorIdlEEZNS1_25segmented_radix_sort_implIS3_Lb1EPKdPdPKlPlN2at6native12_GLOBAL__N_18offset_tEEE10hipError_tPvRmT1_PNSt15iterator_traitsISK_E10value_typeET2_T3_PNSL_ISQ_E10value_typeET4_jRbjT5_SW_jjP12ihipStream_tbEUlT_E_NS1_11comp_targetILNS1_3genE0ELNS1_11target_archE4294967295ELNS1_3gpuE0ELNS1_3repE0EEENS1_30default_config_static_selectorELNS0_4arch9wavefront6targetE1EEEvSK_,comdat
.Lfunc_end1118:
	.size	_ZN7rocprim17ROCPRIM_400000_NS6detail17trampoline_kernelINS0_14default_configENS1_36segmented_radix_sort_config_selectorIdlEEZNS1_25segmented_radix_sort_implIS3_Lb1EPKdPdPKlPlN2at6native12_GLOBAL__N_18offset_tEEE10hipError_tPvRmT1_PNSt15iterator_traitsISK_E10value_typeET2_T3_PNSL_ISQ_E10value_typeET4_jRbjT5_SW_jjP12ihipStream_tbEUlT_E_NS1_11comp_targetILNS1_3genE0ELNS1_11target_archE4294967295ELNS1_3gpuE0ELNS1_3repE0EEENS1_30default_config_static_selectorELNS0_4arch9wavefront6targetE1EEEvSK_, .Lfunc_end1118-_ZN7rocprim17ROCPRIM_400000_NS6detail17trampoline_kernelINS0_14default_configENS1_36segmented_radix_sort_config_selectorIdlEEZNS1_25segmented_radix_sort_implIS3_Lb1EPKdPdPKlPlN2at6native12_GLOBAL__N_18offset_tEEE10hipError_tPvRmT1_PNSt15iterator_traitsISK_E10value_typeET2_T3_PNSL_ISQ_E10value_typeET4_jRbjT5_SW_jjP12ihipStream_tbEUlT_E_NS1_11comp_targetILNS1_3genE0ELNS1_11target_archE4294967295ELNS1_3gpuE0ELNS1_3repE0EEENS1_30default_config_static_selectorELNS0_4arch9wavefront6targetE1EEEvSK_
                                        ; -- End function
	.set _ZN7rocprim17ROCPRIM_400000_NS6detail17trampoline_kernelINS0_14default_configENS1_36segmented_radix_sort_config_selectorIdlEEZNS1_25segmented_radix_sort_implIS3_Lb1EPKdPdPKlPlN2at6native12_GLOBAL__N_18offset_tEEE10hipError_tPvRmT1_PNSt15iterator_traitsISK_E10value_typeET2_T3_PNSL_ISQ_E10value_typeET4_jRbjT5_SW_jjP12ihipStream_tbEUlT_E_NS1_11comp_targetILNS1_3genE0ELNS1_11target_archE4294967295ELNS1_3gpuE0ELNS1_3repE0EEENS1_30default_config_static_selectorELNS0_4arch9wavefront6targetE1EEEvSK_.num_vgpr, 0
	.set _ZN7rocprim17ROCPRIM_400000_NS6detail17trampoline_kernelINS0_14default_configENS1_36segmented_radix_sort_config_selectorIdlEEZNS1_25segmented_radix_sort_implIS3_Lb1EPKdPdPKlPlN2at6native12_GLOBAL__N_18offset_tEEE10hipError_tPvRmT1_PNSt15iterator_traitsISK_E10value_typeET2_T3_PNSL_ISQ_E10value_typeET4_jRbjT5_SW_jjP12ihipStream_tbEUlT_E_NS1_11comp_targetILNS1_3genE0ELNS1_11target_archE4294967295ELNS1_3gpuE0ELNS1_3repE0EEENS1_30default_config_static_selectorELNS0_4arch9wavefront6targetE1EEEvSK_.num_agpr, 0
	.set _ZN7rocprim17ROCPRIM_400000_NS6detail17trampoline_kernelINS0_14default_configENS1_36segmented_radix_sort_config_selectorIdlEEZNS1_25segmented_radix_sort_implIS3_Lb1EPKdPdPKlPlN2at6native12_GLOBAL__N_18offset_tEEE10hipError_tPvRmT1_PNSt15iterator_traitsISK_E10value_typeET2_T3_PNSL_ISQ_E10value_typeET4_jRbjT5_SW_jjP12ihipStream_tbEUlT_E_NS1_11comp_targetILNS1_3genE0ELNS1_11target_archE4294967295ELNS1_3gpuE0ELNS1_3repE0EEENS1_30default_config_static_selectorELNS0_4arch9wavefront6targetE1EEEvSK_.numbered_sgpr, 0
	.set _ZN7rocprim17ROCPRIM_400000_NS6detail17trampoline_kernelINS0_14default_configENS1_36segmented_radix_sort_config_selectorIdlEEZNS1_25segmented_radix_sort_implIS3_Lb1EPKdPdPKlPlN2at6native12_GLOBAL__N_18offset_tEEE10hipError_tPvRmT1_PNSt15iterator_traitsISK_E10value_typeET2_T3_PNSL_ISQ_E10value_typeET4_jRbjT5_SW_jjP12ihipStream_tbEUlT_E_NS1_11comp_targetILNS1_3genE0ELNS1_11target_archE4294967295ELNS1_3gpuE0ELNS1_3repE0EEENS1_30default_config_static_selectorELNS0_4arch9wavefront6targetE1EEEvSK_.num_named_barrier, 0
	.set _ZN7rocprim17ROCPRIM_400000_NS6detail17trampoline_kernelINS0_14default_configENS1_36segmented_radix_sort_config_selectorIdlEEZNS1_25segmented_radix_sort_implIS3_Lb1EPKdPdPKlPlN2at6native12_GLOBAL__N_18offset_tEEE10hipError_tPvRmT1_PNSt15iterator_traitsISK_E10value_typeET2_T3_PNSL_ISQ_E10value_typeET4_jRbjT5_SW_jjP12ihipStream_tbEUlT_E_NS1_11comp_targetILNS1_3genE0ELNS1_11target_archE4294967295ELNS1_3gpuE0ELNS1_3repE0EEENS1_30default_config_static_selectorELNS0_4arch9wavefront6targetE1EEEvSK_.private_seg_size, 0
	.set _ZN7rocprim17ROCPRIM_400000_NS6detail17trampoline_kernelINS0_14default_configENS1_36segmented_radix_sort_config_selectorIdlEEZNS1_25segmented_radix_sort_implIS3_Lb1EPKdPdPKlPlN2at6native12_GLOBAL__N_18offset_tEEE10hipError_tPvRmT1_PNSt15iterator_traitsISK_E10value_typeET2_T3_PNSL_ISQ_E10value_typeET4_jRbjT5_SW_jjP12ihipStream_tbEUlT_E_NS1_11comp_targetILNS1_3genE0ELNS1_11target_archE4294967295ELNS1_3gpuE0ELNS1_3repE0EEENS1_30default_config_static_selectorELNS0_4arch9wavefront6targetE1EEEvSK_.uses_vcc, 0
	.set _ZN7rocprim17ROCPRIM_400000_NS6detail17trampoline_kernelINS0_14default_configENS1_36segmented_radix_sort_config_selectorIdlEEZNS1_25segmented_radix_sort_implIS3_Lb1EPKdPdPKlPlN2at6native12_GLOBAL__N_18offset_tEEE10hipError_tPvRmT1_PNSt15iterator_traitsISK_E10value_typeET2_T3_PNSL_ISQ_E10value_typeET4_jRbjT5_SW_jjP12ihipStream_tbEUlT_E_NS1_11comp_targetILNS1_3genE0ELNS1_11target_archE4294967295ELNS1_3gpuE0ELNS1_3repE0EEENS1_30default_config_static_selectorELNS0_4arch9wavefront6targetE1EEEvSK_.uses_flat_scratch, 0
	.set _ZN7rocprim17ROCPRIM_400000_NS6detail17trampoline_kernelINS0_14default_configENS1_36segmented_radix_sort_config_selectorIdlEEZNS1_25segmented_radix_sort_implIS3_Lb1EPKdPdPKlPlN2at6native12_GLOBAL__N_18offset_tEEE10hipError_tPvRmT1_PNSt15iterator_traitsISK_E10value_typeET2_T3_PNSL_ISQ_E10value_typeET4_jRbjT5_SW_jjP12ihipStream_tbEUlT_E_NS1_11comp_targetILNS1_3genE0ELNS1_11target_archE4294967295ELNS1_3gpuE0ELNS1_3repE0EEENS1_30default_config_static_selectorELNS0_4arch9wavefront6targetE1EEEvSK_.has_dyn_sized_stack, 0
	.set _ZN7rocprim17ROCPRIM_400000_NS6detail17trampoline_kernelINS0_14default_configENS1_36segmented_radix_sort_config_selectorIdlEEZNS1_25segmented_radix_sort_implIS3_Lb1EPKdPdPKlPlN2at6native12_GLOBAL__N_18offset_tEEE10hipError_tPvRmT1_PNSt15iterator_traitsISK_E10value_typeET2_T3_PNSL_ISQ_E10value_typeET4_jRbjT5_SW_jjP12ihipStream_tbEUlT_E_NS1_11comp_targetILNS1_3genE0ELNS1_11target_archE4294967295ELNS1_3gpuE0ELNS1_3repE0EEENS1_30default_config_static_selectorELNS0_4arch9wavefront6targetE1EEEvSK_.has_recursion, 0
	.set _ZN7rocprim17ROCPRIM_400000_NS6detail17trampoline_kernelINS0_14default_configENS1_36segmented_radix_sort_config_selectorIdlEEZNS1_25segmented_radix_sort_implIS3_Lb1EPKdPdPKlPlN2at6native12_GLOBAL__N_18offset_tEEE10hipError_tPvRmT1_PNSt15iterator_traitsISK_E10value_typeET2_T3_PNSL_ISQ_E10value_typeET4_jRbjT5_SW_jjP12ihipStream_tbEUlT_E_NS1_11comp_targetILNS1_3genE0ELNS1_11target_archE4294967295ELNS1_3gpuE0ELNS1_3repE0EEENS1_30default_config_static_selectorELNS0_4arch9wavefront6targetE1EEEvSK_.has_indirect_call, 0
	.section	.AMDGPU.csdata,"",@progbits
; Kernel info:
; codeLenInByte = 0
; TotalNumSgprs: 4
; NumVgprs: 0
; ScratchSize: 0
; MemoryBound: 0
; FloatMode: 240
; IeeeMode: 1
; LDSByteSize: 0 bytes/workgroup (compile time only)
; SGPRBlocks: 0
; VGPRBlocks: 0
; NumSGPRsForWavesPerEU: 4
; NumVGPRsForWavesPerEU: 1
; Occupancy: 10
; WaveLimiterHint : 0
; COMPUTE_PGM_RSRC2:SCRATCH_EN: 0
; COMPUTE_PGM_RSRC2:USER_SGPR: 6
; COMPUTE_PGM_RSRC2:TRAP_HANDLER: 0
; COMPUTE_PGM_RSRC2:TGID_X_EN: 1
; COMPUTE_PGM_RSRC2:TGID_Y_EN: 0
; COMPUTE_PGM_RSRC2:TGID_Z_EN: 0
; COMPUTE_PGM_RSRC2:TIDIG_COMP_CNT: 0
	.section	.text._ZN7rocprim17ROCPRIM_400000_NS6detail17trampoline_kernelINS0_14default_configENS1_36segmented_radix_sort_config_selectorIdlEEZNS1_25segmented_radix_sort_implIS3_Lb1EPKdPdPKlPlN2at6native12_GLOBAL__N_18offset_tEEE10hipError_tPvRmT1_PNSt15iterator_traitsISK_E10value_typeET2_T3_PNSL_ISQ_E10value_typeET4_jRbjT5_SW_jjP12ihipStream_tbEUlT_E_NS1_11comp_targetILNS1_3genE5ELNS1_11target_archE942ELNS1_3gpuE9ELNS1_3repE0EEENS1_30default_config_static_selectorELNS0_4arch9wavefront6targetE1EEEvSK_,"axG",@progbits,_ZN7rocprim17ROCPRIM_400000_NS6detail17trampoline_kernelINS0_14default_configENS1_36segmented_radix_sort_config_selectorIdlEEZNS1_25segmented_radix_sort_implIS3_Lb1EPKdPdPKlPlN2at6native12_GLOBAL__N_18offset_tEEE10hipError_tPvRmT1_PNSt15iterator_traitsISK_E10value_typeET2_T3_PNSL_ISQ_E10value_typeET4_jRbjT5_SW_jjP12ihipStream_tbEUlT_E_NS1_11comp_targetILNS1_3genE5ELNS1_11target_archE942ELNS1_3gpuE9ELNS1_3repE0EEENS1_30default_config_static_selectorELNS0_4arch9wavefront6targetE1EEEvSK_,comdat
	.globl	_ZN7rocprim17ROCPRIM_400000_NS6detail17trampoline_kernelINS0_14default_configENS1_36segmented_radix_sort_config_selectorIdlEEZNS1_25segmented_radix_sort_implIS3_Lb1EPKdPdPKlPlN2at6native12_GLOBAL__N_18offset_tEEE10hipError_tPvRmT1_PNSt15iterator_traitsISK_E10value_typeET2_T3_PNSL_ISQ_E10value_typeET4_jRbjT5_SW_jjP12ihipStream_tbEUlT_E_NS1_11comp_targetILNS1_3genE5ELNS1_11target_archE942ELNS1_3gpuE9ELNS1_3repE0EEENS1_30default_config_static_selectorELNS0_4arch9wavefront6targetE1EEEvSK_ ; -- Begin function _ZN7rocprim17ROCPRIM_400000_NS6detail17trampoline_kernelINS0_14default_configENS1_36segmented_radix_sort_config_selectorIdlEEZNS1_25segmented_radix_sort_implIS3_Lb1EPKdPdPKlPlN2at6native12_GLOBAL__N_18offset_tEEE10hipError_tPvRmT1_PNSt15iterator_traitsISK_E10value_typeET2_T3_PNSL_ISQ_E10value_typeET4_jRbjT5_SW_jjP12ihipStream_tbEUlT_E_NS1_11comp_targetILNS1_3genE5ELNS1_11target_archE942ELNS1_3gpuE9ELNS1_3repE0EEENS1_30default_config_static_selectorELNS0_4arch9wavefront6targetE1EEEvSK_
	.p2align	8
	.type	_ZN7rocprim17ROCPRIM_400000_NS6detail17trampoline_kernelINS0_14default_configENS1_36segmented_radix_sort_config_selectorIdlEEZNS1_25segmented_radix_sort_implIS3_Lb1EPKdPdPKlPlN2at6native12_GLOBAL__N_18offset_tEEE10hipError_tPvRmT1_PNSt15iterator_traitsISK_E10value_typeET2_T3_PNSL_ISQ_E10value_typeET4_jRbjT5_SW_jjP12ihipStream_tbEUlT_E_NS1_11comp_targetILNS1_3genE5ELNS1_11target_archE942ELNS1_3gpuE9ELNS1_3repE0EEENS1_30default_config_static_selectorELNS0_4arch9wavefront6targetE1EEEvSK_,@function
_ZN7rocprim17ROCPRIM_400000_NS6detail17trampoline_kernelINS0_14default_configENS1_36segmented_radix_sort_config_selectorIdlEEZNS1_25segmented_radix_sort_implIS3_Lb1EPKdPdPKlPlN2at6native12_GLOBAL__N_18offset_tEEE10hipError_tPvRmT1_PNSt15iterator_traitsISK_E10value_typeET2_T3_PNSL_ISQ_E10value_typeET4_jRbjT5_SW_jjP12ihipStream_tbEUlT_E_NS1_11comp_targetILNS1_3genE5ELNS1_11target_archE942ELNS1_3gpuE9ELNS1_3repE0EEENS1_30default_config_static_selectorELNS0_4arch9wavefront6targetE1EEEvSK_: ; @_ZN7rocprim17ROCPRIM_400000_NS6detail17trampoline_kernelINS0_14default_configENS1_36segmented_radix_sort_config_selectorIdlEEZNS1_25segmented_radix_sort_implIS3_Lb1EPKdPdPKlPlN2at6native12_GLOBAL__N_18offset_tEEE10hipError_tPvRmT1_PNSt15iterator_traitsISK_E10value_typeET2_T3_PNSL_ISQ_E10value_typeET4_jRbjT5_SW_jjP12ihipStream_tbEUlT_E_NS1_11comp_targetILNS1_3genE5ELNS1_11target_archE942ELNS1_3gpuE9ELNS1_3repE0EEENS1_30default_config_static_selectorELNS0_4arch9wavefront6targetE1EEEvSK_
; %bb.0:
	.section	.rodata,"a",@progbits
	.p2align	6, 0x0
	.amdhsa_kernel _ZN7rocprim17ROCPRIM_400000_NS6detail17trampoline_kernelINS0_14default_configENS1_36segmented_radix_sort_config_selectorIdlEEZNS1_25segmented_radix_sort_implIS3_Lb1EPKdPdPKlPlN2at6native12_GLOBAL__N_18offset_tEEE10hipError_tPvRmT1_PNSt15iterator_traitsISK_E10value_typeET2_T3_PNSL_ISQ_E10value_typeET4_jRbjT5_SW_jjP12ihipStream_tbEUlT_E_NS1_11comp_targetILNS1_3genE5ELNS1_11target_archE942ELNS1_3gpuE9ELNS1_3repE0EEENS1_30default_config_static_selectorELNS0_4arch9wavefront6targetE1EEEvSK_
		.amdhsa_group_segment_fixed_size 0
		.amdhsa_private_segment_fixed_size 0
		.amdhsa_kernarg_size 96
		.amdhsa_user_sgpr_count 6
		.amdhsa_user_sgpr_private_segment_buffer 1
		.amdhsa_user_sgpr_dispatch_ptr 0
		.amdhsa_user_sgpr_queue_ptr 0
		.amdhsa_user_sgpr_kernarg_segment_ptr 1
		.amdhsa_user_sgpr_dispatch_id 0
		.amdhsa_user_sgpr_flat_scratch_init 0
		.amdhsa_user_sgpr_private_segment_size 0
		.amdhsa_uses_dynamic_stack 0
		.amdhsa_system_sgpr_private_segment_wavefront_offset 0
		.amdhsa_system_sgpr_workgroup_id_x 1
		.amdhsa_system_sgpr_workgroup_id_y 0
		.amdhsa_system_sgpr_workgroup_id_z 0
		.amdhsa_system_sgpr_workgroup_info 0
		.amdhsa_system_vgpr_workitem_id 0
		.amdhsa_next_free_vgpr 1
		.amdhsa_next_free_sgpr 0
		.amdhsa_reserve_vcc 0
		.amdhsa_reserve_flat_scratch 0
		.amdhsa_float_round_mode_32 0
		.amdhsa_float_round_mode_16_64 0
		.amdhsa_float_denorm_mode_32 3
		.amdhsa_float_denorm_mode_16_64 3
		.amdhsa_dx10_clamp 1
		.amdhsa_ieee_mode 1
		.amdhsa_fp16_overflow 0
		.amdhsa_exception_fp_ieee_invalid_op 0
		.amdhsa_exception_fp_denorm_src 0
		.amdhsa_exception_fp_ieee_div_zero 0
		.amdhsa_exception_fp_ieee_overflow 0
		.amdhsa_exception_fp_ieee_underflow 0
		.amdhsa_exception_fp_ieee_inexact 0
		.amdhsa_exception_int_div_zero 0
	.end_amdhsa_kernel
	.section	.text._ZN7rocprim17ROCPRIM_400000_NS6detail17trampoline_kernelINS0_14default_configENS1_36segmented_radix_sort_config_selectorIdlEEZNS1_25segmented_radix_sort_implIS3_Lb1EPKdPdPKlPlN2at6native12_GLOBAL__N_18offset_tEEE10hipError_tPvRmT1_PNSt15iterator_traitsISK_E10value_typeET2_T3_PNSL_ISQ_E10value_typeET4_jRbjT5_SW_jjP12ihipStream_tbEUlT_E_NS1_11comp_targetILNS1_3genE5ELNS1_11target_archE942ELNS1_3gpuE9ELNS1_3repE0EEENS1_30default_config_static_selectorELNS0_4arch9wavefront6targetE1EEEvSK_,"axG",@progbits,_ZN7rocprim17ROCPRIM_400000_NS6detail17trampoline_kernelINS0_14default_configENS1_36segmented_radix_sort_config_selectorIdlEEZNS1_25segmented_radix_sort_implIS3_Lb1EPKdPdPKlPlN2at6native12_GLOBAL__N_18offset_tEEE10hipError_tPvRmT1_PNSt15iterator_traitsISK_E10value_typeET2_T3_PNSL_ISQ_E10value_typeET4_jRbjT5_SW_jjP12ihipStream_tbEUlT_E_NS1_11comp_targetILNS1_3genE5ELNS1_11target_archE942ELNS1_3gpuE9ELNS1_3repE0EEENS1_30default_config_static_selectorELNS0_4arch9wavefront6targetE1EEEvSK_,comdat
.Lfunc_end1119:
	.size	_ZN7rocprim17ROCPRIM_400000_NS6detail17trampoline_kernelINS0_14default_configENS1_36segmented_radix_sort_config_selectorIdlEEZNS1_25segmented_radix_sort_implIS3_Lb1EPKdPdPKlPlN2at6native12_GLOBAL__N_18offset_tEEE10hipError_tPvRmT1_PNSt15iterator_traitsISK_E10value_typeET2_T3_PNSL_ISQ_E10value_typeET4_jRbjT5_SW_jjP12ihipStream_tbEUlT_E_NS1_11comp_targetILNS1_3genE5ELNS1_11target_archE942ELNS1_3gpuE9ELNS1_3repE0EEENS1_30default_config_static_selectorELNS0_4arch9wavefront6targetE1EEEvSK_, .Lfunc_end1119-_ZN7rocprim17ROCPRIM_400000_NS6detail17trampoline_kernelINS0_14default_configENS1_36segmented_radix_sort_config_selectorIdlEEZNS1_25segmented_radix_sort_implIS3_Lb1EPKdPdPKlPlN2at6native12_GLOBAL__N_18offset_tEEE10hipError_tPvRmT1_PNSt15iterator_traitsISK_E10value_typeET2_T3_PNSL_ISQ_E10value_typeET4_jRbjT5_SW_jjP12ihipStream_tbEUlT_E_NS1_11comp_targetILNS1_3genE5ELNS1_11target_archE942ELNS1_3gpuE9ELNS1_3repE0EEENS1_30default_config_static_selectorELNS0_4arch9wavefront6targetE1EEEvSK_
                                        ; -- End function
	.set _ZN7rocprim17ROCPRIM_400000_NS6detail17trampoline_kernelINS0_14default_configENS1_36segmented_radix_sort_config_selectorIdlEEZNS1_25segmented_radix_sort_implIS3_Lb1EPKdPdPKlPlN2at6native12_GLOBAL__N_18offset_tEEE10hipError_tPvRmT1_PNSt15iterator_traitsISK_E10value_typeET2_T3_PNSL_ISQ_E10value_typeET4_jRbjT5_SW_jjP12ihipStream_tbEUlT_E_NS1_11comp_targetILNS1_3genE5ELNS1_11target_archE942ELNS1_3gpuE9ELNS1_3repE0EEENS1_30default_config_static_selectorELNS0_4arch9wavefront6targetE1EEEvSK_.num_vgpr, 0
	.set _ZN7rocprim17ROCPRIM_400000_NS6detail17trampoline_kernelINS0_14default_configENS1_36segmented_radix_sort_config_selectorIdlEEZNS1_25segmented_radix_sort_implIS3_Lb1EPKdPdPKlPlN2at6native12_GLOBAL__N_18offset_tEEE10hipError_tPvRmT1_PNSt15iterator_traitsISK_E10value_typeET2_T3_PNSL_ISQ_E10value_typeET4_jRbjT5_SW_jjP12ihipStream_tbEUlT_E_NS1_11comp_targetILNS1_3genE5ELNS1_11target_archE942ELNS1_3gpuE9ELNS1_3repE0EEENS1_30default_config_static_selectorELNS0_4arch9wavefront6targetE1EEEvSK_.num_agpr, 0
	.set _ZN7rocprim17ROCPRIM_400000_NS6detail17trampoline_kernelINS0_14default_configENS1_36segmented_radix_sort_config_selectorIdlEEZNS1_25segmented_radix_sort_implIS3_Lb1EPKdPdPKlPlN2at6native12_GLOBAL__N_18offset_tEEE10hipError_tPvRmT1_PNSt15iterator_traitsISK_E10value_typeET2_T3_PNSL_ISQ_E10value_typeET4_jRbjT5_SW_jjP12ihipStream_tbEUlT_E_NS1_11comp_targetILNS1_3genE5ELNS1_11target_archE942ELNS1_3gpuE9ELNS1_3repE0EEENS1_30default_config_static_selectorELNS0_4arch9wavefront6targetE1EEEvSK_.numbered_sgpr, 0
	.set _ZN7rocprim17ROCPRIM_400000_NS6detail17trampoline_kernelINS0_14default_configENS1_36segmented_radix_sort_config_selectorIdlEEZNS1_25segmented_radix_sort_implIS3_Lb1EPKdPdPKlPlN2at6native12_GLOBAL__N_18offset_tEEE10hipError_tPvRmT1_PNSt15iterator_traitsISK_E10value_typeET2_T3_PNSL_ISQ_E10value_typeET4_jRbjT5_SW_jjP12ihipStream_tbEUlT_E_NS1_11comp_targetILNS1_3genE5ELNS1_11target_archE942ELNS1_3gpuE9ELNS1_3repE0EEENS1_30default_config_static_selectorELNS0_4arch9wavefront6targetE1EEEvSK_.num_named_barrier, 0
	.set _ZN7rocprim17ROCPRIM_400000_NS6detail17trampoline_kernelINS0_14default_configENS1_36segmented_radix_sort_config_selectorIdlEEZNS1_25segmented_radix_sort_implIS3_Lb1EPKdPdPKlPlN2at6native12_GLOBAL__N_18offset_tEEE10hipError_tPvRmT1_PNSt15iterator_traitsISK_E10value_typeET2_T3_PNSL_ISQ_E10value_typeET4_jRbjT5_SW_jjP12ihipStream_tbEUlT_E_NS1_11comp_targetILNS1_3genE5ELNS1_11target_archE942ELNS1_3gpuE9ELNS1_3repE0EEENS1_30default_config_static_selectorELNS0_4arch9wavefront6targetE1EEEvSK_.private_seg_size, 0
	.set _ZN7rocprim17ROCPRIM_400000_NS6detail17trampoline_kernelINS0_14default_configENS1_36segmented_radix_sort_config_selectorIdlEEZNS1_25segmented_radix_sort_implIS3_Lb1EPKdPdPKlPlN2at6native12_GLOBAL__N_18offset_tEEE10hipError_tPvRmT1_PNSt15iterator_traitsISK_E10value_typeET2_T3_PNSL_ISQ_E10value_typeET4_jRbjT5_SW_jjP12ihipStream_tbEUlT_E_NS1_11comp_targetILNS1_3genE5ELNS1_11target_archE942ELNS1_3gpuE9ELNS1_3repE0EEENS1_30default_config_static_selectorELNS0_4arch9wavefront6targetE1EEEvSK_.uses_vcc, 0
	.set _ZN7rocprim17ROCPRIM_400000_NS6detail17trampoline_kernelINS0_14default_configENS1_36segmented_radix_sort_config_selectorIdlEEZNS1_25segmented_radix_sort_implIS3_Lb1EPKdPdPKlPlN2at6native12_GLOBAL__N_18offset_tEEE10hipError_tPvRmT1_PNSt15iterator_traitsISK_E10value_typeET2_T3_PNSL_ISQ_E10value_typeET4_jRbjT5_SW_jjP12ihipStream_tbEUlT_E_NS1_11comp_targetILNS1_3genE5ELNS1_11target_archE942ELNS1_3gpuE9ELNS1_3repE0EEENS1_30default_config_static_selectorELNS0_4arch9wavefront6targetE1EEEvSK_.uses_flat_scratch, 0
	.set _ZN7rocprim17ROCPRIM_400000_NS6detail17trampoline_kernelINS0_14default_configENS1_36segmented_radix_sort_config_selectorIdlEEZNS1_25segmented_radix_sort_implIS3_Lb1EPKdPdPKlPlN2at6native12_GLOBAL__N_18offset_tEEE10hipError_tPvRmT1_PNSt15iterator_traitsISK_E10value_typeET2_T3_PNSL_ISQ_E10value_typeET4_jRbjT5_SW_jjP12ihipStream_tbEUlT_E_NS1_11comp_targetILNS1_3genE5ELNS1_11target_archE942ELNS1_3gpuE9ELNS1_3repE0EEENS1_30default_config_static_selectorELNS0_4arch9wavefront6targetE1EEEvSK_.has_dyn_sized_stack, 0
	.set _ZN7rocprim17ROCPRIM_400000_NS6detail17trampoline_kernelINS0_14default_configENS1_36segmented_radix_sort_config_selectorIdlEEZNS1_25segmented_radix_sort_implIS3_Lb1EPKdPdPKlPlN2at6native12_GLOBAL__N_18offset_tEEE10hipError_tPvRmT1_PNSt15iterator_traitsISK_E10value_typeET2_T3_PNSL_ISQ_E10value_typeET4_jRbjT5_SW_jjP12ihipStream_tbEUlT_E_NS1_11comp_targetILNS1_3genE5ELNS1_11target_archE942ELNS1_3gpuE9ELNS1_3repE0EEENS1_30default_config_static_selectorELNS0_4arch9wavefront6targetE1EEEvSK_.has_recursion, 0
	.set _ZN7rocprim17ROCPRIM_400000_NS6detail17trampoline_kernelINS0_14default_configENS1_36segmented_radix_sort_config_selectorIdlEEZNS1_25segmented_radix_sort_implIS3_Lb1EPKdPdPKlPlN2at6native12_GLOBAL__N_18offset_tEEE10hipError_tPvRmT1_PNSt15iterator_traitsISK_E10value_typeET2_T3_PNSL_ISQ_E10value_typeET4_jRbjT5_SW_jjP12ihipStream_tbEUlT_E_NS1_11comp_targetILNS1_3genE5ELNS1_11target_archE942ELNS1_3gpuE9ELNS1_3repE0EEENS1_30default_config_static_selectorELNS0_4arch9wavefront6targetE1EEEvSK_.has_indirect_call, 0
	.section	.AMDGPU.csdata,"",@progbits
; Kernel info:
; codeLenInByte = 0
; TotalNumSgprs: 4
; NumVgprs: 0
; ScratchSize: 0
; MemoryBound: 0
; FloatMode: 240
; IeeeMode: 1
; LDSByteSize: 0 bytes/workgroup (compile time only)
; SGPRBlocks: 0
; VGPRBlocks: 0
; NumSGPRsForWavesPerEU: 4
; NumVGPRsForWavesPerEU: 1
; Occupancy: 10
; WaveLimiterHint : 0
; COMPUTE_PGM_RSRC2:SCRATCH_EN: 0
; COMPUTE_PGM_RSRC2:USER_SGPR: 6
; COMPUTE_PGM_RSRC2:TRAP_HANDLER: 0
; COMPUTE_PGM_RSRC2:TGID_X_EN: 1
; COMPUTE_PGM_RSRC2:TGID_Y_EN: 0
; COMPUTE_PGM_RSRC2:TGID_Z_EN: 0
; COMPUTE_PGM_RSRC2:TIDIG_COMP_CNT: 0
	.section	.text._ZN7rocprim17ROCPRIM_400000_NS6detail17trampoline_kernelINS0_14default_configENS1_36segmented_radix_sort_config_selectorIdlEEZNS1_25segmented_radix_sort_implIS3_Lb1EPKdPdPKlPlN2at6native12_GLOBAL__N_18offset_tEEE10hipError_tPvRmT1_PNSt15iterator_traitsISK_E10value_typeET2_T3_PNSL_ISQ_E10value_typeET4_jRbjT5_SW_jjP12ihipStream_tbEUlT_E_NS1_11comp_targetILNS1_3genE4ELNS1_11target_archE910ELNS1_3gpuE8ELNS1_3repE0EEENS1_30default_config_static_selectorELNS0_4arch9wavefront6targetE1EEEvSK_,"axG",@progbits,_ZN7rocprim17ROCPRIM_400000_NS6detail17trampoline_kernelINS0_14default_configENS1_36segmented_radix_sort_config_selectorIdlEEZNS1_25segmented_radix_sort_implIS3_Lb1EPKdPdPKlPlN2at6native12_GLOBAL__N_18offset_tEEE10hipError_tPvRmT1_PNSt15iterator_traitsISK_E10value_typeET2_T3_PNSL_ISQ_E10value_typeET4_jRbjT5_SW_jjP12ihipStream_tbEUlT_E_NS1_11comp_targetILNS1_3genE4ELNS1_11target_archE910ELNS1_3gpuE8ELNS1_3repE0EEENS1_30default_config_static_selectorELNS0_4arch9wavefront6targetE1EEEvSK_,comdat
	.globl	_ZN7rocprim17ROCPRIM_400000_NS6detail17trampoline_kernelINS0_14default_configENS1_36segmented_radix_sort_config_selectorIdlEEZNS1_25segmented_radix_sort_implIS3_Lb1EPKdPdPKlPlN2at6native12_GLOBAL__N_18offset_tEEE10hipError_tPvRmT1_PNSt15iterator_traitsISK_E10value_typeET2_T3_PNSL_ISQ_E10value_typeET4_jRbjT5_SW_jjP12ihipStream_tbEUlT_E_NS1_11comp_targetILNS1_3genE4ELNS1_11target_archE910ELNS1_3gpuE8ELNS1_3repE0EEENS1_30default_config_static_selectorELNS0_4arch9wavefront6targetE1EEEvSK_ ; -- Begin function _ZN7rocprim17ROCPRIM_400000_NS6detail17trampoline_kernelINS0_14default_configENS1_36segmented_radix_sort_config_selectorIdlEEZNS1_25segmented_radix_sort_implIS3_Lb1EPKdPdPKlPlN2at6native12_GLOBAL__N_18offset_tEEE10hipError_tPvRmT1_PNSt15iterator_traitsISK_E10value_typeET2_T3_PNSL_ISQ_E10value_typeET4_jRbjT5_SW_jjP12ihipStream_tbEUlT_E_NS1_11comp_targetILNS1_3genE4ELNS1_11target_archE910ELNS1_3gpuE8ELNS1_3repE0EEENS1_30default_config_static_selectorELNS0_4arch9wavefront6targetE1EEEvSK_
	.p2align	8
	.type	_ZN7rocprim17ROCPRIM_400000_NS6detail17trampoline_kernelINS0_14default_configENS1_36segmented_radix_sort_config_selectorIdlEEZNS1_25segmented_radix_sort_implIS3_Lb1EPKdPdPKlPlN2at6native12_GLOBAL__N_18offset_tEEE10hipError_tPvRmT1_PNSt15iterator_traitsISK_E10value_typeET2_T3_PNSL_ISQ_E10value_typeET4_jRbjT5_SW_jjP12ihipStream_tbEUlT_E_NS1_11comp_targetILNS1_3genE4ELNS1_11target_archE910ELNS1_3gpuE8ELNS1_3repE0EEENS1_30default_config_static_selectorELNS0_4arch9wavefront6targetE1EEEvSK_,@function
_ZN7rocprim17ROCPRIM_400000_NS6detail17trampoline_kernelINS0_14default_configENS1_36segmented_radix_sort_config_selectorIdlEEZNS1_25segmented_radix_sort_implIS3_Lb1EPKdPdPKlPlN2at6native12_GLOBAL__N_18offset_tEEE10hipError_tPvRmT1_PNSt15iterator_traitsISK_E10value_typeET2_T3_PNSL_ISQ_E10value_typeET4_jRbjT5_SW_jjP12ihipStream_tbEUlT_E_NS1_11comp_targetILNS1_3genE4ELNS1_11target_archE910ELNS1_3gpuE8ELNS1_3repE0EEENS1_30default_config_static_selectorELNS0_4arch9wavefront6targetE1EEEvSK_: ; @_ZN7rocprim17ROCPRIM_400000_NS6detail17trampoline_kernelINS0_14default_configENS1_36segmented_radix_sort_config_selectorIdlEEZNS1_25segmented_radix_sort_implIS3_Lb1EPKdPdPKlPlN2at6native12_GLOBAL__N_18offset_tEEE10hipError_tPvRmT1_PNSt15iterator_traitsISK_E10value_typeET2_T3_PNSL_ISQ_E10value_typeET4_jRbjT5_SW_jjP12ihipStream_tbEUlT_E_NS1_11comp_targetILNS1_3genE4ELNS1_11target_archE910ELNS1_3gpuE8ELNS1_3repE0EEENS1_30default_config_static_selectorELNS0_4arch9wavefront6targetE1EEEvSK_
; %bb.0:
	.section	.rodata,"a",@progbits
	.p2align	6, 0x0
	.amdhsa_kernel _ZN7rocprim17ROCPRIM_400000_NS6detail17trampoline_kernelINS0_14default_configENS1_36segmented_radix_sort_config_selectorIdlEEZNS1_25segmented_radix_sort_implIS3_Lb1EPKdPdPKlPlN2at6native12_GLOBAL__N_18offset_tEEE10hipError_tPvRmT1_PNSt15iterator_traitsISK_E10value_typeET2_T3_PNSL_ISQ_E10value_typeET4_jRbjT5_SW_jjP12ihipStream_tbEUlT_E_NS1_11comp_targetILNS1_3genE4ELNS1_11target_archE910ELNS1_3gpuE8ELNS1_3repE0EEENS1_30default_config_static_selectorELNS0_4arch9wavefront6targetE1EEEvSK_
		.amdhsa_group_segment_fixed_size 0
		.amdhsa_private_segment_fixed_size 0
		.amdhsa_kernarg_size 96
		.amdhsa_user_sgpr_count 6
		.amdhsa_user_sgpr_private_segment_buffer 1
		.amdhsa_user_sgpr_dispatch_ptr 0
		.amdhsa_user_sgpr_queue_ptr 0
		.amdhsa_user_sgpr_kernarg_segment_ptr 1
		.amdhsa_user_sgpr_dispatch_id 0
		.amdhsa_user_sgpr_flat_scratch_init 0
		.amdhsa_user_sgpr_private_segment_size 0
		.amdhsa_uses_dynamic_stack 0
		.amdhsa_system_sgpr_private_segment_wavefront_offset 0
		.amdhsa_system_sgpr_workgroup_id_x 1
		.amdhsa_system_sgpr_workgroup_id_y 0
		.amdhsa_system_sgpr_workgroup_id_z 0
		.amdhsa_system_sgpr_workgroup_info 0
		.amdhsa_system_vgpr_workitem_id 0
		.amdhsa_next_free_vgpr 1
		.amdhsa_next_free_sgpr 0
		.amdhsa_reserve_vcc 0
		.amdhsa_reserve_flat_scratch 0
		.amdhsa_float_round_mode_32 0
		.amdhsa_float_round_mode_16_64 0
		.amdhsa_float_denorm_mode_32 3
		.amdhsa_float_denorm_mode_16_64 3
		.amdhsa_dx10_clamp 1
		.amdhsa_ieee_mode 1
		.amdhsa_fp16_overflow 0
		.amdhsa_exception_fp_ieee_invalid_op 0
		.amdhsa_exception_fp_denorm_src 0
		.amdhsa_exception_fp_ieee_div_zero 0
		.amdhsa_exception_fp_ieee_overflow 0
		.amdhsa_exception_fp_ieee_underflow 0
		.amdhsa_exception_fp_ieee_inexact 0
		.amdhsa_exception_int_div_zero 0
	.end_amdhsa_kernel
	.section	.text._ZN7rocprim17ROCPRIM_400000_NS6detail17trampoline_kernelINS0_14default_configENS1_36segmented_radix_sort_config_selectorIdlEEZNS1_25segmented_radix_sort_implIS3_Lb1EPKdPdPKlPlN2at6native12_GLOBAL__N_18offset_tEEE10hipError_tPvRmT1_PNSt15iterator_traitsISK_E10value_typeET2_T3_PNSL_ISQ_E10value_typeET4_jRbjT5_SW_jjP12ihipStream_tbEUlT_E_NS1_11comp_targetILNS1_3genE4ELNS1_11target_archE910ELNS1_3gpuE8ELNS1_3repE0EEENS1_30default_config_static_selectorELNS0_4arch9wavefront6targetE1EEEvSK_,"axG",@progbits,_ZN7rocprim17ROCPRIM_400000_NS6detail17trampoline_kernelINS0_14default_configENS1_36segmented_radix_sort_config_selectorIdlEEZNS1_25segmented_radix_sort_implIS3_Lb1EPKdPdPKlPlN2at6native12_GLOBAL__N_18offset_tEEE10hipError_tPvRmT1_PNSt15iterator_traitsISK_E10value_typeET2_T3_PNSL_ISQ_E10value_typeET4_jRbjT5_SW_jjP12ihipStream_tbEUlT_E_NS1_11comp_targetILNS1_3genE4ELNS1_11target_archE910ELNS1_3gpuE8ELNS1_3repE0EEENS1_30default_config_static_selectorELNS0_4arch9wavefront6targetE1EEEvSK_,comdat
.Lfunc_end1120:
	.size	_ZN7rocprim17ROCPRIM_400000_NS6detail17trampoline_kernelINS0_14default_configENS1_36segmented_radix_sort_config_selectorIdlEEZNS1_25segmented_radix_sort_implIS3_Lb1EPKdPdPKlPlN2at6native12_GLOBAL__N_18offset_tEEE10hipError_tPvRmT1_PNSt15iterator_traitsISK_E10value_typeET2_T3_PNSL_ISQ_E10value_typeET4_jRbjT5_SW_jjP12ihipStream_tbEUlT_E_NS1_11comp_targetILNS1_3genE4ELNS1_11target_archE910ELNS1_3gpuE8ELNS1_3repE0EEENS1_30default_config_static_selectorELNS0_4arch9wavefront6targetE1EEEvSK_, .Lfunc_end1120-_ZN7rocprim17ROCPRIM_400000_NS6detail17trampoline_kernelINS0_14default_configENS1_36segmented_radix_sort_config_selectorIdlEEZNS1_25segmented_radix_sort_implIS3_Lb1EPKdPdPKlPlN2at6native12_GLOBAL__N_18offset_tEEE10hipError_tPvRmT1_PNSt15iterator_traitsISK_E10value_typeET2_T3_PNSL_ISQ_E10value_typeET4_jRbjT5_SW_jjP12ihipStream_tbEUlT_E_NS1_11comp_targetILNS1_3genE4ELNS1_11target_archE910ELNS1_3gpuE8ELNS1_3repE0EEENS1_30default_config_static_selectorELNS0_4arch9wavefront6targetE1EEEvSK_
                                        ; -- End function
	.set _ZN7rocprim17ROCPRIM_400000_NS6detail17trampoline_kernelINS0_14default_configENS1_36segmented_radix_sort_config_selectorIdlEEZNS1_25segmented_radix_sort_implIS3_Lb1EPKdPdPKlPlN2at6native12_GLOBAL__N_18offset_tEEE10hipError_tPvRmT1_PNSt15iterator_traitsISK_E10value_typeET2_T3_PNSL_ISQ_E10value_typeET4_jRbjT5_SW_jjP12ihipStream_tbEUlT_E_NS1_11comp_targetILNS1_3genE4ELNS1_11target_archE910ELNS1_3gpuE8ELNS1_3repE0EEENS1_30default_config_static_selectorELNS0_4arch9wavefront6targetE1EEEvSK_.num_vgpr, 0
	.set _ZN7rocprim17ROCPRIM_400000_NS6detail17trampoline_kernelINS0_14default_configENS1_36segmented_radix_sort_config_selectorIdlEEZNS1_25segmented_radix_sort_implIS3_Lb1EPKdPdPKlPlN2at6native12_GLOBAL__N_18offset_tEEE10hipError_tPvRmT1_PNSt15iterator_traitsISK_E10value_typeET2_T3_PNSL_ISQ_E10value_typeET4_jRbjT5_SW_jjP12ihipStream_tbEUlT_E_NS1_11comp_targetILNS1_3genE4ELNS1_11target_archE910ELNS1_3gpuE8ELNS1_3repE0EEENS1_30default_config_static_selectorELNS0_4arch9wavefront6targetE1EEEvSK_.num_agpr, 0
	.set _ZN7rocprim17ROCPRIM_400000_NS6detail17trampoline_kernelINS0_14default_configENS1_36segmented_radix_sort_config_selectorIdlEEZNS1_25segmented_radix_sort_implIS3_Lb1EPKdPdPKlPlN2at6native12_GLOBAL__N_18offset_tEEE10hipError_tPvRmT1_PNSt15iterator_traitsISK_E10value_typeET2_T3_PNSL_ISQ_E10value_typeET4_jRbjT5_SW_jjP12ihipStream_tbEUlT_E_NS1_11comp_targetILNS1_3genE4ELNS1_11target_archE910ELNS1_3gpuE8ELNS1_3repE0EEENS1_30default_config_static_selectorELNS0_4arch9wavefront6targetE1EEEvSK_.numbered_sgpr, 0
	.set _ZN7rocprim17ROCPRIM_400000_NS6detail17trampoline_kernelINS0_14default_configENS1_36segmented_radix_sort_config_selectorIdlEEZNS1_25segmented_radix_sort_implIS3_Lb1EPKdPdPKlPlN2at6native12_GLOBAL__N_18offset_tEEE10hipError_tPvRmT1_PNSt15iterator_traitsISK_E10value_typeET2_T3_PNSL_ISQ_E10value_typeET4_jRbjT5_SW_jjP12ihipStream_tbEUlT_E_NS1_11comp_targetILNS1_3genE4ELNS1_11target_archE910ELNS1_3gpuE8ELNS1_3repE0EEENS1_30default_config_static_selectorELNS0_4arch9wavefront6targetE1EEEvSK_.num_named_barrier, 0
	.set _ZN7rocprim17ROCPRIM_400000_NS6detail17trampoline_kernelINS0_14default_configENS1_36segmented_radix_sort_config_selectorIdlEEZNS1_25segmented_radix_sort_implIS3_Lb1EPKdPdPKlPlN2at6native12_GLOBAL__N_18offset_tEEE10hipError_tPvRmT1_PNSt15iterator_traitsISK_E10value_typeET2_T3_PNSL_ISQ_E10value_typeET4_jRbjT5_SW_jjP12ihipStream_tbEUlT_E_NS1_11comp_targetILNS1_3genE4ELNS1_11target_archE910ELNS1_3gpuE8ELNS1_3repE0EEENS1_30default_config_static_selectorELNS0_4arch9wavefront6targetE1EEEvSK_.private_seg_size, 0
	.set _ZN7rocprim17ROCPRIM_400000_NS6detail17trampoline_kernelINS0_14default_configENS1_36segmented_radix_sort_config_selectorIdlEEZNS1_25segmented_radix_sort_implIS3_Lb1EPKdPdPKlPlN2at6native12_GLOBAL__N_18offset_tEEE10hipError_tPvRmT1_PNSt15iterator_traitsISK_E10value_typeET2_T3_PNSL_ISQ_E10value_typeET4_jRbjT5_SW_jjP12ihipStream_tbEUlT_E_NS1_11comp_targetILNS1_3genE4ELNS1_11target_archE910ELNS1_3gpuE8ELNS1_3repE0EEENS1_30default_config_static_selectorELNS0_4arch9wavefront6targetE1EEEvSK_.uses_vcc, 0
	.set _ZN7rocprim17ROCPRIM_400000_NS6detail17trampoline_kernelINS0_14default_configENS1_36segmented_radix_sort_config_selectorIdlEEZNS1_25segmented_radix_sort_implIS3_Lb1EPKdPdPKlPlN2at6native12_GLOBAL__N_18offset_tEEE10hipError_tPvRmT1_PNSt15iterator_traitsISK_E10value_typeET2_T3_PNSL_ISQ_E10value_typeET4_jRbjT5_SW_jjP12ihipStream_tbEUlT_E_NS1_11comp_targetILNS1_3genE4ELNS1_11target_archE910ELNS1_3gpuE8ELNS1_3repE0EEENS1_30default_config_static_selectorELNS0_4arch9wavefront6targetE1EEEvSK_.uses_flat_scratch, 0
	.set _ZN7rocprim17ROCPRIM_400000_NS6detail17trampoline_kernelINS0_14default_configENS1_36segmented_radix_sort_config_selectorIdlEEZNS1_25segmented_radix_sort_implIS3_Lb1EPKdPdPKlPlN2at6native12_GLOBAL__N_18offset_tEEE10hipError_tPvRmT1_PNSt15iterator_traitsISK_E10value_typeET2_T3_PNSL_ISQ_E10value_typeET4_jRbjT5_SW_jjP12ihipStream_tbEUlT_E_NS1_11comp_targetILNS1_3genE4ELNS1_11target_archE910ELNS1_3gpuE8ELNS1_3repE0EEENS1_30default_config_static_selectorELNS0_4arch9wavefront6targetE1EEEvSK_.has_dyn_sized_stack, 0
	.set _ZN7rocprim17ROCPRIM_400000_NS6detail17trampoline_kernelINS0_14default_configENS1_36segmented_radix_sort_config_selectorIdlEEZNS1_25segmented_radix_sort_implIS3_Lb1EPKdPdPKlPlN2at6native12_GLOBAL__N_18offset_tEEE10hipError_tPvRmT1_PNSt15iterator_traitsISK_E10value_typeET2_T3_PNSL_ISQ_E10value_typeET4_jRbjT5_SW_jjP12ihipStream_tbEUlT_E_NS1_11comp_targetILNS1_3genE4ELNS1_11target_archE910ELNS1_3gpuE8ELNS1_3repE0EEENS1_30default_config_static_selectorELNS0_4arch9wavefront6targetE1EEEvSK_.has_recursion, 0
	.set _ZN7rocprim17ROCPRIM_400000_NS6detail17trampoline_kernelINS0_14default_configENS1_36segmented_radix_sort_config_selectorIdlEEZNS1_25segmented_radix_sort_implIS3_Lb1EPKdPdPKlPlN2at6native12_GLOBAL__N_18offset_tEEE10hipError_tPvRmT1_PNSt15iterator_traitsISK_E10value_typeET2_T3_PNSL_ISQ_E10value_typeET4_jRbjT5_SW_jjP12ihipStream_tbEUlT_E_NS1_11comp_targetILNS1_3genE4ELNS1_11target_archE910ELNS1_3gpuE8ELNS1_3repE0EEENS1_30default_config_static_selectorELNS0_4arch9wavefront6targetE1EEEvSK_.has_indirect_call, 0
	.section	.AMDGPU.csdata,"",@progbits
; Kernel info:
; codeLenInByte = 0
; TotalNumSgprs: 4
; NumVgprs: 0
; ScratchSize: 0
; MemoryBound: 0
; FloatMode: 240
; IeeeMode: 1
; LDSByteSize: 0 bytes/workgroup (compile time only)
; SGPRBlocks: 0
; VGPRBlocks: 0
; NumSGPRsForWavesPerEU: 4
; NumVGPRsForWavesPerEU: 1
; Occupancy: 10
; WaveLimiterHint : 0
; COMPUTE_PGM_RSRC2:SCRATCH_EN: 0
; COMPUTE_PGM_RSRC2:USER_SGPR: 6
; COMPUTE_PGM_RSRC2:TRAP_HANDLER: 0
; COMPUTE_PGM_RSRC2:TGID_X_EN: 1
; COMPUTE_PGM_RSRC2:TGID_Y_EN: 0
; COMPUTE_PGM_RSRC2:TGID_Z_EN: 0
; COMPUTE_PGM_RSRC2:TIDIG_COMP_CNT: 0
	.section	.text._ZN7rocprim17ROCPRIM_400000_NS6detail17trampoline_kernelINS0_14default_configENS1_36segmented_radix_sort_config_selectorIdlEEZNS1_25segmented_radix_sort_implIS3_Lb1EPKdPdPKlPlN2at6native12_GLOBAL__N_18offset_tEEE10hipError_tPvRmT1_PNSt15iterator_traitsISK_E10value_typeET2_T3_PNSL_ISQ_E10value_typeET4_jRbjT5_SW_jjP12ihipStream_tbEUlT_E_NS1_11comp_targetILNS1_3genE3ELNS1_11target_archE908ELNS1_3gpuE7ELNS1_3repE0EEENS1_30default_config_static_selectorELNS0_4arch9wavefront6targetE1EEEvSK_,"axG",@progbits,_ZN7rocprim17ROCPRIM_400000_NS6detail17trampoline_kernelINS0_14default_configENS1_36segmented_radix_sort_config_selectorIdlEEZNS1_25segmented_radix_sort_implIS3_Lb1EPKdPdPKlPlN2at6native12_GLOBAL__N_18offset_tEEE10hipError_tPvRmT1_PNSt15iterator_traitsISK_E10value_typeET2_T3_PNSL_ISQ_E10value_typeET4_jRbjT5_SW_jjP12ihipStream_tbEUlT_E_NS1_11comp_targetILNS1_3genE3ELNS1_11target_archE908ELNS1_3gpuE7ELNS1_3repE0EEENS1_30default_config_static_selectorELNS0_4arch9wavefront6targetE1EEEvSK_,comdat
	.globl	_ZN7rocprim17ROCPRIM_400000_NS6detail17trampoline_kernelINS0_14default_configENS1_36segmented_radix_sort_config_selectorIdlEEZNS1_25segmented_radix_sort_implIS3_Lb1EPKdPdPKlPlN2at6native12_GLOBAL__N_18offset_tEEE10hipError_tPvRmT1_PNSt15iterator_traitsISK_E10value_typeET2_T3_PNSL_ISQ_E10value_typeET4_jRbjT5_SW_jjP12ihipStream_tbEUlT_E_NS1_11comp_targetILNS1_3genE3ELNS1_11target_archE908ELNS1_3gpuE7ELNS1_3repE0EEENS1_30default_config_static_selectorELNS0_4arch9wavefront6targetE1EEEvSK_ ; -- Begin function _ZN7rocprim17ROCPRIM_400000_NS6detail17trampoline_kernelINS0_14default_configENS1_36segmented_radix_sort_config_selectorIdlEEZNS1_25segmented_radix_sort_implIS3_Lb1EPKdPdPKlPlN2at6native12_GLOBAL__N_18offset_tEEE10hipError_tPvRmT1_PNSt15iterator_traitsISK_E10value_typeET2_T3_PNSL_ISQ_E10value_typeET4_jRbjT5_SW_jjP12ihipStream_tbEUlT_E_NS1_11comp_targetILNS1_3genE3ELNS1_11target_archE908ELNS1_3gpuE7ELNS1_3repE0EEENS1_30default_config_static_selectorELNS0_4arch9wavefront6targetE1EEEvSK_
	.p2align	8
	.type	_ZN7rocprim17ROCPRIM_400000_NS6detail17trampoline_kernelINS0_14default_configENS1_36segmented_radix_sort_config_selectorIdlEEZNS1_25segmented_radix_sort_implIS3_Lb1EPKdPdPKlPlN2at6native12_GLOBAL__N_18offset_tEEE10hipError_tPvRmT1_PNSt15iterator_traitsISK_E10value_typeET2_T3_PNSL_ISQ_E10value_typeET4_jRbjT5_SW_jjP12ihipStream_tbEUlT_E_NS1_11comp_targetILNS1_3genE3ELNS1_11target_archE908ELNS1_3gpuE7ELNS1_3repE0EEENS1_30default_config_static_selectorELNS0_4arch9wavefront6targetE1EEEvSK_,@function
_ZN7rocprim17ROCPRIM_400000_NS6detail17trampoline_kernelINS0_14default_configENS1_36segmented_radix_sort_config_selectorIdlEEZNS1_25segmented_radix_sort_implIS3_Lb1EPKdPdPKlPlN2at6native12_GLOBAL__N_18offset_tEEE10hipError_tPvRmT1_PNSt15iterator_traitsISK_E10value_typeET2_T3_PNSL_ISQ_E10value_typeET4_jRbjT5_SW_jjP12ihipStream_tbEUlT_E_NS1_11comp_targetILNS1_3genE3ELNS1_11target_archE908ELNS1_3gpuE7ELNS1_3repE0EEENS1_30default_config_static_selectorELNS0_4arch9wavefront6targetE1EEEvSK_: ; @_ZN7rocprim17ROCPRIM_400000_NS6detail17trampoline_kernelINS0_14default_configENS1_36segmented_radix_sort_config_selectorIdlEEZNS1_25segmented_radix_sort_implIS3_Lb1EPKdPdPKlPlN2at6native12_GLOBAL__N_18offset_tEEE10hipError_tPvRmT1_PNSt15iterator_traitsISK_E10value_typeET2_T3_PNSL_ISQ_E10value_typeET4_jRbjT5_SW_jjP12ihipStream_tbEUlT_E_NS1_11comp_targetILNS1_3genE3ELNS1_11target_archE908ELNS1_3gpuE7ELNS1_3repE0EEENS1_30default_config_static_selectorELNS0_4arch9wavefront6targetE1EEEvSK_
; %bb.0:
	.section	.rodata,"a",@progbits
	.p2align	6, 0x0
	.amdhsa_kernel _ZN7rocprim17ROCPRIM_400000_NS6detail17trampoline_kernelINS0_14default_configENS1_36segmented_radix_sort_config_selectorIdlEEZNS1_25segmented_radix_sort_implIS3_Lb1EPKdPdPKlPlN2at6native12_GLOBAL__N_18offset_tEEE10hipError_tPvRmT1_PNSt15iterator_traitsISK_E10value_typeET2_T3_PNSL_ISQ_E10value_typeET4_jRbjT5_SW_jjP12ihipStream_tbEUlT_E_NS1_11comp_targetILNS1_3genE3ELNS1_11target_archE908ELNS1_3gpuE7ELNS1_3repE0EEENS1_30default_config_static_selectorELNS0_4arch9wavefront6targetE1EEEvSK_
		.amdhsa_group_segment_fixed_size 0
		.amdhsa_private_segment_fixed_size 0
		.amdhsa_kernarg_size 96
		.amdhsa_user_sgpr_count 6
		.amdhsa_user_sgpr_private_segment_buffer 1
		.amdhsa_user_sgpr_dispatch_ptr 0
		.amdhsa_user_sgpr_queue_ptr 0
		.amdhsa_user_sgpr_kernarg_segment_ptr 1
		.amdhsa_user_sgpr_dispatch_id 0
		.amdhsa_user_sgpr_flat_scratch_init 0
		.amdhsa_user_sgpr_private_segment_size 0
		.amdhsa_uses_dynamic_stack 0
		.amdhsa_system_sgpr_private_segment_wavefront_offset 0
		.amdhsa_system_sgpr_workgroup_id_x 1
		.amdhsa_system_sgpr_workgroup_id_y 0
		.amdhsa_system_sgpr_workgroup_id_z 0
		.amdhsa_system_sgpr_workgroup_info 0
		.amdhsa_system_vgpr_workitem_id 0
		.amdhsa_next_free_vgpr 1
		.amdhsa_next_free_sgpr 0
		.amdhsa_reserve_vcc 0
		.amdhsa_reserve_flat_scratch 0
		.amdhsa_float_round_mode_32 0
		.amdhsa_float_round_mode_16_64 0
		.amdhsa_float_denorm_mode_32 3
		.amdhsa_float_denorm_mode_16_64 3
		.amdhsa_dx10_clamp 1
		.amdhsa_ieee_mode 1
		.amdhsa_fp16_overflow 0
		.amdhsa_exception_fp_ieee_invalid_op 0
		.amdhsa_exception_fp_denorm_src 0
		.amdhsa_exception_fp_ieee_div_zero 0
		.amdhsa_exception_fp_ieee_overflow 0
		.amdhsa_exception_fp_ieee_underflow 0
		.amdhsa_exception_fp_ieee_inexact 0
		.amdhsa_exception_int_div_zero 0
	.end_amdhsa_kernel
	.section	.text._ZN7rocprim17ROCPRIM_400000_NS6detail17trampoline_kernelINS0_14default_configENS1_36segmented_radix_sort_config_selectorIdlEEZNS1_25segmented_radix_sort_implIS3_Lb1EPKdPdPKlPlN2at6native12_GLOBAL__N_18offset_tEEE10hipError_tPvRmT1_PNSt15iterator_traitsISK_E10value_typeET2_T3_PNSL_ISQ_E10value_typeET4_jRbjT5_SW_jjP12ihipStream_tbEUlT_E_NS1_11comp_targetILNS1_3genE3ELNS1_11target_archE908ELNS1_3gpuE7ELNS1_3repE0EEENS1_30default_config_static_selectorELNS0_4arch9wavefront6targetE1EEEvSK_,"axG",@progbits,_ZN7rocprim17ROCPRIM_400000_NS6detail17trampoline_kernelINS0_14default_configENS1_36segmented_radix_sort_config_selectorIdlEEZNS1_25segmented_radix_sort_implIS3_Lb1EPKdPdPKlPlN2at6native12_GLOBAL__N_18offset_tEEE10hipError_tPvRmT1_PNSt15iterator_traitsISK_E10value_typeET2_T3_PNSL_ISQ_E10value_typeET4_jRbjT5_SW_jjP12ihipStream_tbEUlT_E_NS1_11comp_targetILNS1_3genE3ELNS1_11target_archE908ELNS1_3gpuE7ELNS1_3repE0EEENS1_30default_config_static_selectorELNS0_4arch9wavefront6targetE1EEEvSK_,comdat
.Lfunc_end1121:
	.size	_ZN7rocprim17ROCPRIM_400000_NS6detail17trampoline_kernelINS0_14default_configENS1_36segmented_radix_sort_config_selectorIdlEEZNS1_25segmented_radix_sort_implIS3_Lb1EPKdPdPKlPlN2at6native12_GLOBAL__N_18offset_tEEE10hipError_tPvRmT1_PNSt15iterator_traitsISK_E10value_typeET2_T3_PNSL_ISQ_E10value_typeET4_jRbjT5_SW_jjP12ihipStream_tbEUlT_E_NS1_11comp_targetILNS1_3genE3ELNS1_11target_archE908ELNS1_3gpuE7ELNS1_3repE0EEENS1_30default_config_static_selectorELNS0_4arch9wavefront6targetE1EEEvSK_, .Lfunc_end1121-_ZN7rocprim17ROCPRIM_400000_NS6detail17trampoline_kernelINS0_14default_configENS1_36segmented_radix_sort_config_selectorIdlEEZNS1_25segmented_radix_sort_implIS3_Lb1EPKdPdPKlPlN2at6native12_GLOBAL__N_18offset_tEEE10hipError_tPvRmT1_PNSt15iterator_traitsISK_E10value_typeET2_T3_PNSL_ISQ_E10value_typeET4_jRbjT5_SW_jjP12ihipStream_tbEUlT_E_NS1_11comp_targetILNS1_3genE3ELNS1_11target_archE908ELNS1_3gpuE7ELNS1_3repE0EEENS1_30default_config_static_selectorELNS0_4arch9wavefront6targetE1EEEvSK_
                                        ; -- End function
	.set _ZN7rocprim17ROCPRIM_400000_NS6detail17trampoline_kernelINS0_14default_configENS1_36segmented_radix_sort_config_selectorIdlEEZNS1_25segmented_radix_sort_implIS3_Lb1EPKdPdPKlPlN2at6native12_GLOBAL__N_18offset_tEEE10hipError_tPvRmT1_PNSt15iterator_traitsISK_E10value_typeET2_T3_PNSL_ISQ_E10value_typeET4_jRbjT5_SW_jjP12ihipStream_tbEUlT_E_NS1_11comp_targetILNS1_3genE3ELNS1_11target_archE908ELNS1_3gpuE7ELNS1_3repE0EEENS1_30default_config_static_selectorELNS0_4arch9wavefront6targetE1EEEvSK_.num_vgpr, 0
	.set _ZN7rocprim17ROCPRIM_400000_NS6detail17trampoline_kernelINS0_14default_configENS1_36segmented_radix_sort_config_selectorIdlEEZNS1_25segmented_radix_sort_implIS3_Lb1EPKdPdPKlPlN2at6native12_GLOBAL__N_18offset_tEEE10hipError_tPvRmT1_PNSt15iterator_traitsISK_E10value_typeET2_T3_PNSL_ISQ_E10value_typeET4_jRbjT5_SW_jjP12ihipStream_tbEUlT_E_NS1_11comp_targetILNS1_3genE3ELNS1_11target_archE908ELNS1_3gpuE7ELNS1_3repE0EEENS1_30default_config_static_selectorELNS0_4arch9wavefront6targetE1EEEvSK_.num_agpr, 0
	.set _ZN7rocprim17ROCPRIM_400000_NS6detail17trampoline_kernelINS0_14default_configENS1_36segmented_radix_sort_config_selectorIdlEEZNS1_25segmented_radix_sort_implIS3_Lb1EPKdPdPKlPlN2at6native12_GLOBAL__N_18offset_tEEE10hipError_tPvRmT1_PNSt15iterator_traitsISK_E10value_typeET2_T3_PNSL_ISQ_E10value_typeET4_jRbjT5_SW_jjP12ihipStream_tbEUlT_E_NS1_11comp_targetILNS1_3genE3ELNS1_11target_archE908ELNS1_3gpuE7ELNS1_3repE0EEENS1_30default_config_static_selectorELNS0_4arch9wavefront6targetE1EEEvSK_.numbered_sgpr, 0
	.set _ZN7rocprim17ROCPRIM_400000_NS6detail17trampoline_kernelINS0_14default_configENS1_36segmented_radix_sort_config_selectorIdlEEZNS1_25segmented_radix_sort_implIS3_Lb1EPKdPdPKlPlN2at6native12_GLOBAL__N_18offset_tEEE10hipError_tPvRmT1_PNSt15iterator_traitsISK_E10value_typeET2_T3_PNSL_ISQ_E10value_typeET4_jRbjT5_SW_jjP12ihipStream_tbEUlT_E_NS1_11comp_targetILNS1_3genE3ELNS1_11target_archE908ELNS1_3gpuE7ELNS1_3repE0EEENS1_30default_config_static_selectorELNS0_4arch9wavefront6targetE1EEEvSK_.num_named_barrier, 0
	.set _ZN7rocprim17ROCPRIM_400000_NS6detail17trampoline_kernelINS0_14default_configENS1_36segmented_radix_sort_config_selectorIdlEEZNS1_25segmented_radix_sort_implIS3_Lb1EPKdPdPKlPlN2at6native12_GLOBAL__N_18offset_tEEE10hipError_tPvRmT1_PNSt15iterator_traitsISK_E10value_typeET2_T3_PNSL_ISQ_E10value_typeET4_jRbjT5_SW_jjP12ihipStream_tbEUlT_E_NS1_11comp_targetILNS1_3genE3ELNS1_11target_archE908ELNS1_3gpuE7ELNS1_3repE0EEENS1_30default_config_static_selectorELNS0_4arch9wavefront6targetE1EEEvSK_.private_seg_size, 0
	.set _ZN7rocprim17ROCPRIM_400000_NS6detail17trampoline_kernelINS0_14default_configENS1_36segmented_radix_sort_config_selectorIdlEEZNS1_25segmented_radix_sort_implIS3_Lb1EPKdPdPKlPlN2at6native12_GLOBAL__N_18offset_tEEE10hipError_tPvRmT1_PNSt15iterator_traitsISK_E10value_typeET2_T3_PNSL_ISQ_E10value_typeET4_jRbjT5_SW_jjP12ihipStream_tbEUlT_E_NS1_11comp_targetILNS1_3genE3ELNS1_11target_archE908ELNS1_3gpuE7ELNS1_3repE0EEENS1_30default_config_static_selectorELNS0_4arch9wavefront6targetE1EEEvSK_.uses_vcc, 0
	.set _ZN7rocprim17ROCPRIM_400000_NS6detail17trampoline_kernelINS0_14default_configENS1_36segmented_radix_sort_config_selectorIdlEEZNS1_25segmented_radix_sort_implIS3_Lb1EPKdPdPKlPlN2at6native12_GLOBAL__N_18offset_tEEE10hipError_tPvRmT1_PNSt15iterator_traitsISK_E10value_typeET2_T3_PNSL_ISQ_E10value_typeET4_jRbjT5_SW_jjP12ihipStream_tbEUlT_E_NS1_11comp_targetILNS1_3genE3ELNS1_11target_archE908ELNS1_3gpuE7ELNS1_3repE0EEENS1_30default_config_static_selectorELNS0_4arch9wavefront6targetE1EEEvSK_.uses_flat_scratch, 0
	.set _ZN7rocprim17ROCPRIM_400000_NS6detail17trampoline_kernelINS0_14default_configENS1_36segmented_radix_sort_config_selectorIdlEEZNS1_25segmented_radix_sort_implIS3_Lb1EPKdPdPKlPlN2at6native12_GLOBAL__N_18offset_tEEE10hipError_tPvRmT1_PNSt15iterator_traitsISK_E10value_typeET2_T3_PNSL_ISQ_E10value_typeET4_jRbjT5_SW_jjP12ihipStream_tbEUlT_E_NS1_11comp_targetILNS1_3genE3ELNS1_11target_archE908ELNS1_3gpuE7ELNS1_3repE0EEENS1_30default_config_static_selectorELNS0_4arch9wavefront6targetE1EEEvSK_.has_dyn_sized_stack, 0
	.set _ZN7rocprim17ROCPRIM_400000_NS6detail17trampoline_kernelINS0_14default_configENS1_36segmented_radix_sort_config_selectorIdlEEZNS1_25segmented_radix_sort_implIS3_Lb1EPKdPdPKlPlN2at6native12_GLOBAL__N_18offset_tEEE10hipError_tPvRmT1_PNSt15iterator_traitsISK_E10value_typeET2_T3_PNSL_ISQ_E10value_typeET4_jRbjT5_SW_jjP12ihipStream_tbEUlT_E_NS1_11comp_targetILNS1_3genE3ELNS1_11target_archE908ELNS1_3gpuE7ELNS1_3repE0EEENS1_30default_config_static_selectorELNS0_4arch9wavefront6targetE1EEEvSK_.has_recursion, 0
	.set _ZN7rocprim17ROCPRIM_400000_NS6detail17trampoline_kernelINS0_14default_configENS1_36segmented_radix_sort_config_selectorIdlEEZNS1_25segmented_radix_sort_implIS3_Lb1EPKdPdPKlPlN2at6native12_GLOBAL__N_18offset_tEEE10hipError_tPvRmT1_PNSt15iterator_traitsISK_E10value_typeET2_T3_PNSL_ISQ_E10value_typeET4_jRbjT5_SW_jjP12ihipStream_tbEUlT_E_NS1_11comp_targetILNS1_3genE3ELNS1_11target_archE908ELNS1_3gpuE7ELNS1_3repE0EEENS1_30default_config_static_selectorELNS0_4arch9wavefront6targetE1EEEvSK_.has_indirect_call, 0
	.section	.AMDGPU.csdata,"",@progbits
; Kernel info:
; codeLenInByte = 0
; TotalNumSgprs: 4
; NumVgprs: 0
; ScratchSize: 0
; MemoryBound: 0
; FloatMode: 240
; IeeeMode: 1
; LDSByteSize: 0 bytes/workgroup (compile time only)
; SGPRBlocks: 0
; VGPRBlocks: 0
; NumSGPRsForWavesPerEU: 4
; NumVGPRsForWavesPerEU: 1
; Occupancy: 10
; WaveLimiterHint : 0
; COMPUTE_PGM_RSRC2:SCRATCH_EN: 0
; COMPUTE_PGM_RSRC2:USER_SGPR: 6
; COMPUTE_PGM_RSRC2:TRAP_HANDLER: 0
; COMPUTE_PGM_RSRC2:TGID_X_EN: 1
; COMPUTE_PGM_RSRC2:TGID_Y_EN: 0
; COMPUTE_PGM_RSRC2:TGID_Z_EN: 0
; COMPUTE_PGM_RSRC2:TIDIG_COMP_CNT: 0
	.text
	.p2align	2                               ; -- Begin function _ZN7rocprim17ROCPRIM_400000_NS6detail40segmented_radix_sort_single_block_helperIdlLj256ELj16ELb1EE4sortIPKdPdPKlPlEEbT_T0_T1_T2_jjjjRNS3_12storage_typeE
	.type	_ZN7rocprim17ROCPRIM_400000_NS6detail40segmented_radix_sort_single_block_helperIdlLj256ELj16ELb1EE4sortIPKdPdPKlPlEEbT_T0_T1_T2_jjjjRNS3_12storage_typeE,@function
_ZN7rocprim17ROCPRIM_400000_NS6detail40segmented_radix_sort_single_block_helperIdlLj256ELj16ELb1EE4sortIPKdPdPKlPlEEbT_T0_T1_T2_jjjjRNS3_12storage_typeE: ; @_ZN7rocprim17ROCPRIM_400000_NS6detail40segmented_radix_sort_single_block_helperIdlLj256ELj16ELb1EE4sortIPKdPdPKlPlEEbT_T0_T1_T2_jjjjRNS3_12storage_typeE
; %bb.0:
	s_waitcnt vmcnt(0) expcnt(0) lgkmcnt(0)
	buffer_store_dword v40, off, s[0:3], s32 offset:156 ; 4-byte Folded Spill
	buffer_store_dword v41, off, s[0:3], s32 offset:152 ; 4-byte Folded Spill
	;; [unrolled: 1-line block ×39, first 2 shown]
	buffer_store_dword v111, off, s[0:3], s32 ; 4-byte Folded Spill
	v_sub_u32_e32 v246, v9, v8
	s_movk_i32 s4, 0x1001
	v_cmp_gt_u32_e32 vcc, s4, v246
	s_and_saveexec_b64 s[58:59], vcc
	s_cbranch_execz .LBB1122_372
; %bb.1:
	s_movk_i32 s4, 0x800
	v_cmp_lt_u32_e32 vcc, s4, v246
	v_bfe_u32 v20, v31, 10, 10
	v_bfe_u32 v22, v31, 20, 10
	v_mbcnt_lo_u32_b32 v14, -1, 0
	s_and_saveexec_b64 s[4:5], vcc
	s_xor_b64 s[60:61], exec, s[4:5]
	s_cbranch_execz .LBB1122_143
; %bb.2:
	s_load_dwordx2 s[4:5], s[8:9], 0x0
	v_mov_b32_e32 v9, 0
	v_lshlrev_b64 v[112:113], 3, v[8:9]
	v_and_b32_e32 v13, 0x3ff, v31
	v_mbcnt_hi_u32_b32 v64, -1, v14
	s_waitcnt lgkmcnt(0)
	s_cmp_lt_u32 s13, s5
	s_cselect_b32 s5, 14, 20
	s_add_u32 s6, s8, s5
	s_addc_u32 s7, s9, 0
	s_cmp_lt_u32 s12, s4
	s_cselect_b32 s4, 12, 18
	s_add_u32 s4, s8, s4
	global_load_ushort v18, v9, s[6:7]
	s_addc_u32 s5, s9, 0
	global_load_ushort v19, v9, s[4:5]
	v_mov_b32_e32 v14, -1
	v_add_co_u32_e32 v8, vcc, v0, v112
	v_mov_b32_e32 v15, -1
	v_addc_co_u32_e32 v21, vcc, v1, v113, vcc
	v_and_b32_e32 v65, 63, v64
	v_lshlrev_b32_e32 v66, 3, v65
	v_mov_b32_e32 v16, -1
	v_mov_b32_e32 v17, -1
	s_waitcnt vmcnt(1)
	v_mad_u32_u24 v0, v22, v18, v20
	v_add_co_u32_e32 v18, vcc, v8, v66
	s_waitcnt vmcnt(0)
	v_mad_u64_u32 v[0:1], s[4:5], v0, v19, v[13:14]
	v_addc_co_u32_e32 v19, vcc, 0, v21, vcc
	v_lshlrev_b32_e32 v1, 4, v0
	v_and_b32_e32 v8, 0xfffffc00, v1
	v_lshlrev_b64 v[52:53], 3, v[8:9]
	v_or_b32_e32 v1, v8, v65
	v_add_co_u32_e32 v54, vcc, v18, v52
	v_addc_co_u32_e32 v55, vcc, v19, v53, vcc
	v_cmp_lt_u32_e64 s[4:5], v1, v246
	s_and_saveexec_b64 s[6:7], s[4:5]
	s_cbranch_execz .LBB1122_4
; %bb.3:
	flat_load_dwordx2 v[16:17], v[54:55]
.LBB1122_4:
	s_or_b64 exec, exec, s[6:7]
	v_or_b32_e32 v8, 64, v1
	v_cmp_lt_u32_e64 s[6:7], v8, v246
	s_and_saveexec_b64 s[10:11], s[6:7]
	s_cbranch_execz .LBB1122_6
; %bb.5:
	flat_load_dwordx2 v[14:15], v[54:55] offset:512
.LBB1122_6:
	s_or_b64 exec, exec, s[10:11]
	v_or_b32_e32 v20, 0x80, v1
	v_mov_b32_e32 v8, -1
	v_mov_b32_e32 v18, -1
	v_mov_b32_e32 v9, -1
	v_mov_b32_e32 v19, -1
	v_cmp_lt_u32_e64 s[10:11], v20, v246
	s_and_saveexec_b64 s[14:15], s[10:11]
	s_cbranch_execz .LBB1122_8
; %bb.7:
	flat_load_dwordx2 v[18:19], v[54:55] offset:1024
.LBB1122_8:
	s_or_b64 exec, exec, s[14:15]
	v_or_b32_e32 v20, 0xc0, v1
	v_cmp_lt_u32_e64 s[56:57], v20, v246
	s_and_saveexec_b64 s[14:15], s[56:57]
	s_cbranch_execz .LBB1122_10
; %bb.9:
	flat_load_dwordx2 v[8:9], v[54:55] offset:1536
.LBB1122_10:
	s_or_b64 exec, exec, s[14:15]
	v_or_b32_e32 v24, 0x100, v1
	v_mov_b32_e32 v20, -1
	v_mov_b32_e32 v22, -1
	v_mov_b32_e32 v21, -1
	v_mov_b32_e32 v23, -1
	v_cmp_lt_u32_e64 s[14:15], v24, v246
	s_and_saveexec_b64 s[16:17], s[14:15]
	s_cbranch_execz .LBB1122_12
; %bb.11:
	flat_load_dwordx2 v[22:23], v[54:55] offset:2048
.LBB1122_12:
	;; [unrolled: 20-line block ×3, first 2 shown]
	s_or_b64 exec, exec, s[20:21]
	v_or_b32_e32 v28, 0x1c0, v1
	v_cmp_lt_u32_e64 s[20:21], v28, v246
	s_and_saveexec_b64 s[22:23], s[20:21]
	s_cbranch_execz .LBB1122_18
; %bb.17:
	flat_load_dwordx2 v[24:25], v[54:55] offset:3584
.LBB1122_18:
	s_or_b64 exec, exec, s[22:23]
	v_or_b32_e32 v32, 0x200, v1
	v_mov_b32_e32 v28, -1
	v_mov_b32_e32 v30, -1
	;; [unrolled: 1-line block ×4, first 2 shown]
	v_cmp_lt_u32_e64 s[22:23], v32, v246
	s_and_saveexec_b64 s[24:25], s[22:23]
	s_cbranch_execz .LBB1122_20
; %bb.19:
	v_add_co_u32_e32 v30, vcc, 0x1000, v54
	v_addc_co_u32_e32 v31, vcc, 0, v55, vcc
	flat_load_dwordx2 v[30:31], v[30:31]
.LBB1122_20:
	s_or_b64 exec, exec, s[24:25]
	v_or_b32_e32 v32, 0x240, v1
	v_cmp_lt_u32_e64 s[24:25], v32, v246
	s_and_saveexec_b64 s[26:27], s[24:25]
	s_cbranch_execz .LBB1122_22
; %bb.21:
	v_add_co_u32_e32 v28, vcc, 0x1000, v54
	v_addc_co_u32_e32 v29, vcc, 0, v55, vcc
	flat_load_dwordx2 v[28:29], v[28:29] offset:512
.LBB1122_22:
	s_or_b64 exec, exec, s[26:27]
	v_or_b32_e32 v36, 0x280, v1
	v_mov_b32_e32 v32, -1
	v_mov_b32_e32 v34, -1
	v_mov_b32_e32 v33, -1
	v_mov_b32_e32 v35, -1
	v_cmp_lt_u32_e64 s[26:27], v36, v246
	s_and_saveexec_b64 s[28:29], s[26:27]
	s_cbranch_execz .LBB1122_24
; %bb.23:
	v_add_co_u32_e32 v34, vcc, 0x1000, v54
	v_addc_co_u32_e32 v35, vcc, 0, v55, vcc
	flat_load_dwordx2 v[34:35], v[34:35] offset:1024
.LBB1122_24:
	s_or_b64 exec, exec, s[28:29]
	v_or_b32_e32 v36, 0x2c0, v1
	v_cmp_lt_u32_e64 s[28:29], v36, v246
	s_and_saveexec_b64 s[40:41], s[28:29]
	s_cbranch_execz .LBB1122_26
; %bb.25:
	v_add_co_u32_e32 v32, vcc, 0x1000, v54
	v_addc_co_u32_e32 v33, vcc, 0, v55, vcc
	flat_load_dwordx2 v[32:33], v[32:33] offset:1536
.LBB1122_26:
	s_or_b64 exec, exec, s[40:41]
	v_or_b32_e32 v48, 0x300, v1
	v_mov_b32_e32 v36, -1
	v_mov_b32_e32 v38, -1
	v_mov_b32_e32 v37, -1
	v_mov_b32_e32 v39, -1
	v_cmp_lt_u32_e64 s[40:41], v48, v246
	s_and_saveexec_b64 s[42:43], s[40:41]
	s_cbranch_execz .LBB1122_28
; %bb.27:
	v_add_co_u32_e32 v38, vcc, 0x1000, v54
	v_addc_co_u32_e32 v39, vcc, 0, v55, vcc
	flat_load_dwordx2 v[38:39], v[38:39] offset:2048
.LBB1122_28:
	;; [unrolled: 24-line block ×3, first 2 shown]
	s_or_b64 exec, exec, s[46:47]
	v_or_b32_e32 v1, 0x3c0, v1
	v_cmp_lt_u32_e64 s[46:47], v1, v246
	s_and_saveexec_b64 s[62:63], s[46:47]
	s_cbranch_execz .LBB1122_34
; %bb.33:
	v_add_co_u32_e32 v48, vcc, 0x1000, v54
	v_addc_co_u32_e32 v49, vcc, 0, v55, vcc
	flat_load_dwordx2 v[48:49], v[48:49] offset:3584
.LBB1122_34:
	s_or_b64 exec, exec, s[62:63]
	v_add_co_u32_e32 v1, vcc, v4, v112
	v_addc_co_u32_e32 v4, vcc, v5, v113, vcc
	v_add_co_u32_e32 v1, vcc, v1, v66
	v_addc_co_u32_e32 v5, vcc, 0, v4, vcc
	;; [unrolled: 2-line block ×3, first 2 shown]
                                        ; implicit-def: $vgpr118_vgpr119
	s_and_saveexec_b64 s[62:63], s[4:5]
	s_cbranch_execnz .LBB1122_196
; %bb.35:
	s_or_b64 exec, exec, s[62:63]
                                        ; implicit-def: $vgpr128_vgpr129
	s_and_saveexec_b64 s[4:5], s[6:7]
	s_cbranch_execnz .LBB1122_197
.LBB1122_36:
	s_or_b64 exec, exec, s[4:5]
                                        ; implicit-def: $vgpr130_vgpr131
	s_and_saveexec_b64 s[4:5], s[10:11]
	s_cbranch_execnz .LBB1122_198
.LBB1122_37:
	s_or_b64 exec, exec, s[4:5]
                                        ; implicit-def: $vgpr132_vgpr133
	s_and_saveexec_b64 s[4:5], s[56:57]
	s_cbranch_execnz .LBB1122_199
.LBB1122_38:
	s_or_b64 exec, exec, s[4:5]
                                        ; implicit-def: $vgpr134_vgpr135
	s_and_saveexec_b64 s[4:5], s[14:15]
	s_cbranch_execnz .LBB1122_200
.LBB1122_39:
	s_or_b64 exec, exec, s[4:5]
                                        ; implicit-def: $vgpr144_vgpr145
	s_and_saveexec_b64 s[4:5], s[16:17]
	s_cbranch_execnz .LBB1122_201
.LBB1122_40:
	s_or_b64 exec, exec, s[4:5]
                                        ; implicit-def: $vgpr146_vgpr147
	s_and_saveexec_b64 s[4:5], s[18:19]
	s_cbranch_execnz .LBB1122_202
.LBB1122_41:
	s_or_b64 exec, exec, s[4:5]
                                        ; implicit-def: $vgpr148_vgpr149
	s_and_saveexec_b64 s[4:5], s[20:21]
	s_cbranch_execnz .LBB1122_203
.LBB1122_42:
	s_or_b64 exec, exec, s[4:5]
                                        ; implicit-def: $vgpr150_vgpr151
	s_and_saveexec_b64 s[4:5], s[22:23]
	s_cbranch_execnz .LBB1122_204
.LBB1122_43:
	s_or_b64 exec, exec, s[4:5]
                                        ; implicit-def: $vgpr160_vgpr161
	s_and_saveexec_b64 s[4:5], s[24:25]
	s_cbranch_execnz .LBB1122_205
.LBB1122_44:
	s_or_b64 exec, exec, s[4:5]
                                        ; implicit-def: $vgpr162_vgpr163
	s_and_saveexec_b64 s[4:5], s[26:27]
	s_cbranch_execnz .LBB1122_206
.LBB1122_45:
	s_or_b64 exec, exec, s[4:5]
                                        ; implicit-def: $vgpr164_vgpr165
	s_and_saveexec_b64 s[4:5], s[28:29]
	s_cbranch_execnz .LBB1122_207
.LBB1122_46:
	s_or_b64 exec, exec, s[4:5]
                                        ; implicit-def: $vgpr166_vgpr167
	s_and_saveexec_b64 s[4:5], s[40:41]
	s_cbranch_execnz .LBB1122_208
.LBB1122_47:
	s_or_b64 exec, exec, s[4:5]
                                        ; implicit-def: $vgpr176_vgpr177
	s_and_saveexec_b64 s[4:5], s[42:43]
	s_cbranch_execnz .LBB1122_209
.LBB1122_48:
	s_or_b64 exec, exec, s[4:5]
                                        ; implicit-def: $vgpr182_vgpr183
	s_and_saveexec_b64 s[4:5], s[44:45]
	s_cbranch_execnz .LBB1122_210
.LBB1122_49:
	s_or_b64 exec, exec, s[4:5]
                                        ; implicit-def: $vgpr196_vgpr197
	s_and_saveexec_b64 s[4:5], s[46:47]
	s_cbranch_execz .LBB1122_51
.LBB1122_50:
	v_add_co_u32_e32 v4, vcc, 0x1000, v4
	v_addc_co_u32_e32 v5, vcc, 0, v5, vcc
	flat_load_dwordx2 v[196:197], v[4:5] offset:3584
.LBB1122_51:
	s_or_b64 exec, exec, s[4:5]
	s_waitcnt vmcnt(0) lgkmcnt(0)
	v_cmp_gt_i64_e32 vcc, 0, v[16:17]
	v_bfrev_b32_e32 v1, -2
	v_cndmask_b32_e64 v4, v1, 0, vcc
	v_ashrrev_i32_e32 v5, 31, v17
	v_cmp_gt_i64_e32 vcc, 0, v[14:15]
	v_not_b32_e32 v5, v5
	v_xor_b32_e32 v179, v4, v17
	v_xor_b32_e32 v178, v5, v16
	v_cndmask_b32_e64 v4, v1, 0, vcc
	v_ashrrev_i32_e32 v5, 31, v15
	v_cmp_gt_i64_e32 vcc, 0, v[18:19]
	v_not_b32_e32 v5, v5
	v_xor_b32_e32 v181, v4, v15
	v_xor_b32_e32 v180, v5, v14
	;; [unrolled: 6-line block ×15, first 2 shown]
	v_cndmask_b32_e64 v4, v1, 0, vcc
	v_ashrrev_i32_e32 v5, 31, v49
	v_not_b32_e32 v5, v5
	v_xor_b32_e32 v245, v4, v49
	v_lshlrev_b32_e32 v4, 4, v13
	v_xor_b32_e32 v244, v5, v48
	v_add_u32_e32 v5, v12, v4
	s_getpc_b64 s[4:5]
	s_add_u32 s4, s4, _ZN7rocprim17ROCPRIM_400000_NS16block_radix_sortIdLj256ELj16ElLj1ELj1ELj8ELNS0_26block_radix_rank_algorithmE2ELNS0_18block_padding_hintE2ELNS0_4arch9wavefront6targetE1EE19radix_bits_per_passE@rel32@lo+4
	s_addc_u32 s5, s5, _ZN7rocprim17ROCPRIM_400000_NS16block_radix_sortIdLj256ELj16ElLj1ELj1ELj8ELNS0_26block_radix_rank_algorithmE2ELNS0_18block_padding_hintE2ELNS0_4arch9wavefront6targetE1EE19radix_bits_per_passE@rel32@hi+12
	v_add_u32_e32 v247, 16, v5
	v_add_u32_e32 v40, 20, v5
	;; [unrolled: 1-line block ×4, first 2 shown]
	v_and_b32_e32 v5, 15, v64
	s_load_dword s72, s[4:5], 0x0
	v_cmp_eq_u32_e32 vcc, 0, v5
	v_cmp_lt_u32_e64 s[4:5], 1, v5
	v_cmp_lt_u32_e64 s[6:7], 3, v5
	;; [unrolled: 1-line block ×3, first 2 shown]
	v_and_b32_e32 v5, 16, v64
	v_cmp_eq_u32_e64 s[42:43], 0, v5
	v_and_b32_e32 v5, 0x3c0, v13
	v_min_u32_e32 v5, 0xc0, v5
	v_or_b32_e32 v5, 63, v5
	v_cmp_eq_u32_e64 s[16:17], v13, v5
	v_subrev_co_u32_e64 v5, s[22:23], 1, v64
	v_and_b32_e32 v8, 64, v64
	v_cmp_lt_i32_e64 s[24:25], v5, v8
	v_cndmask_b32_e64 v5, v5, v64, s[24:25]
	v_lshlrev_b32_e32 v44, 2, v5
	v_lshrrev_b32_e32 v5, 4, v13
	s_movk_i32 s40, 0x3c00
	v_and_b32_e32 v5, 60, v5
	v_and_or_b32 v4, v4, s40, v65
	s_mov_b32 s56, 0
	v_add_u32_e32 v45, v12, v5
	v_and_b32_e32 v8, 3, v64
	v_lshl_add_u32 v56, v4, 3, v12
	s_mov_b64 s[46:47], 0
	s_brev_b32 s57, 1
	v_lshrrev_b32_e32 v43, 6, v0
	v_cmp_lt_u32_e64 s[14:15], 31, v64
	v_cmp_gt_u32_e64 s[18:19], 4, v13
	v_cmp_lt_u32_e64 s[20:21], 63, v13
	v_cmp_eq_u32_e64 s[24:25], 0, v13
	v_mov_b32_e32 v5, 0
	v_lshl_add_u32 v46, v13, 2, v12
	v_cmp_eq_u32_e64 s[26:27], 0, v8
	v_cmp_lt_u32_e64 s[28:29], 1, v8
	v_add_u32_e32 v47, -4, v45
	v_add_u32_e32 v57, 0x200, v56
	v_add_u32_e32 v58, 0x400, v56
	;; [unrolled: 1-line block ×15, first 2 shown]
	v_sub_u32_e32 v88, v11, v10
	s_waitcnt lgkmcnt(0)
	s_barrier
	s_branch .LBB1122_53
.LBB1122_52:                            ;   in Loop: Header=BB1122_53 Depth=1
	s_or_b64 exec, exec, s[44:45]
	s_and_b64 s[40:41], exec, s[62:63]
	s_or_b64 s[46:47], s[40:41], s[46:47]
	s_andn2_b64 exec, exec, s[46:47]
	s_cbranch_execz .LBB1122_93
.LBB1122_53:                            ; =>This Inner Loop Header: Depth=1
	v_mov_b32_e32 v102, v178
	v_mov_b32_e32 v103, v179
	v_cmp_ne_u64_e64 s[40:41], s[56:57], v[102:103]
	v_mov_b32_e32 v116, v118
	v_mov_b32_e32 v117, v119
	v_min_u32_e32 v4, s72, v88
	v_cndmask_b32_e64 v119, v1, v103, s[40:41]
	v_cndmask_b32_e64 v118, -1, v102, s[40:41]
	v_mov_b32_e32 v38, v130
	v_lshlrev_b32_e64 v4, v4, -1
	v_lshrrev_b64 v[118:119], v10, v[118:119]
	v_mov_b32_e32 v114, v128
	v_mov_b32_e32 v39, v131
	v_not_b32_e32 v131, v4
	v_mov_b32_e32 v115, v129
	v_and_b32_e32 v128, v118, v131
	v_lshl_add_u32 v4, v128, 2, v43
	v_lshlrev_b64 v[118:119], 2, v[4:5]
	v_mov_b32_e32 v36, v132
	v_add_co_u32_e64 v4, s[40:41], v12, v118
	v_add_co_u32_e64 v4, s[40:41], 16, v4
	v_and_b32_e32 v118, 1, v128
	v_add_co_u32_e64 v119, s[40:41], -1, v118
	v_addc_co_u32_e64 v129, s[40:41], 0, -1, s[40:41]
	v_cmp_ne_u32_e64 s[40:41], 0, v118
	v_xor_b32_e32 v118, s41, v129
	v_xor_b32_e32 v119, s40, v119
	v_and_b32_e32 v129, exec_hi, v118
	v_and_b32_e32 v130, exec_lo, v119
	v_lshlrev_b32_e32 v119, 30, v128
	v_mov_b32_e32 v118, v5
	v_cmp_gt_i64_e64 s[40:41], 0, v[118:119]
	v_not_b32_e32 v118, v119
	v_ashrrev_i32_e32 v118, 31, v118
	v_xor_b32_e32 v119, s41, v118
	v_xor_b32_e32 v118, s40, v118
	v_and_b32_e32 v129, v129, v119
	v_and_b32_e32 v130, v130, v118
	v_lshlrev_b32_e32 v119, 29, v128
	v_mov_b32_e32 v118, v5
	v_cmp_gt_i64_e64 s[40:41], 0, v[118:119]
	v_not_b32_e32 v118, v119
	v_ashrrev_i32_e32 v118, 31, v118
	v_xor_b32_e32 v119, s41, v118
	v_xor_b32_e32 v118, s40, v118
	v_and_b32_e32 v129, v129, v119
	v_and_b32_e32 v130, v130, v118
	;; [unrolled: 9-line block ×7, first 2 shown]
	v_mbcnt_lo_u32_b32 v128, v118, 0
	v_mbcnt_hi_u32_b32 v128, v119, v128
	v_cmp_ne_u64_e64 s[40:41], 0, v[118:119]
	v_mov_b32_e32 v34, v134
	v_mov_b32_e32 v32, v144
	;; [unrolled: 1-line block ×27, first 2 shown]
	v_cmp_eq_u32_e64 s[44:45], 0, v128
	v_mov_b32_e32 v37, v133
	v_mov_b32_e32 v35, v135
	;; [unrolled: 1-line block ×28, first 2 shown]
	s_and_b64 s[44:45], s[40:41], s[44:45]
	ds_write_b32 v247, v5
	ds_write_b32 v40, v5
	;; [unrolled: 1-line block ×4, first 2 shown]
	s_waitcnt lgkmcnt(0)
	s_barrier
	; wave barrier
	s_and_saveexec_b64 s[40:41], s[44:45]
; %bb.54:                               ;   in Loop: Header=BB1122_53 Depth=1
	v_bcnt_u32_b32 v118, v118, 0
	v_bcnt_u32_b32 v118, v119, v118
	ds_write_b32 v4, v118
; %bb.55:                               ;   in Loop: Header=BB1122_53 Depth=1
	s_or_b64 exec, exec, s[40:41]
	v_cmp_ne_u64_e64 s[40:41], s[56:57], v[100:101]
	v_cndmask_b32_e64 v119, v1, v101, s[40:41]
	v_cndmask_b32_e64 v118, -1, v100, s[40:41]
	v_lshrrev_b64 v[118:119], v10, v[118:119]
	; wave barrier
	v_and_b32_e32 v132, v118, v131
	v_lshl_add_u32 v118, v132, 2, v43
	v_lshl_add_u32 v118, v118, 2, v12
	v_add_u32_e32 v130, 16, v118
	ds_read_b32 v129, v118 offset:16
	v_and_b32_e32 v118, 1, v132
	v_add_co_u32_e64 v119, s[40:41], -1, v118
	v_addc_co_u32_e64 v133, s[40:41], 0, -1, s[40:41]
	v_cmp_ne_u32_e64 s[40:41], 0, v118
	v_xor_b32_e32 v118, s41, v133
	v_xor_b32_e32 v119, s40, v119
	v_and_b32_e32 v133, exec_hi, v118
	v_and_b32_e32 v134, exec_lo, v119
	v_lshlrev_b32_e32 v119, 30, v132
	v_mov_b32_e32 v118, v5
	v_cmp_gt_i64_e64 s[40:41], 0, v[118:119]
	v_not_b32_e32 v118, v119
	v_ashrrev_i32_e32 v118, 31, v118
	v_xor_b32_e32 v119, s41, v118
	v_xor_b32_e32 v118, s40, v118
	v_and_b32_e32 v133, v133, v119
	v_and_b32_e32 v134, v134, v118
	v_lshlrev_b32_e32 v119, 29, v132
	v_mov_b32_e32 v118, v5
	v_cmp_gt_i64_e64 s[40:41], 0, v[118:119]
	v_not_b32_e32 v118, v119
	v_ashrrev_i32_e32 v118, 31, v118
	v_xor_b32_e32 v119, s41, v118
	v_xor_b32_e32 v118, s40, v118
	v_and_b32_e32 v133, v133, v119
	v_and_b32_e32 v134, v134, v118
	;; [unrolled: 9-line block ×7, first 2 shown]
	v_mbcnt_lo_u32_b32 v132, v118, 0
	v_mbcnt_hi_u32_b32 v132, v119, v132
	v_cmp_ne_u64_e64 s[40:41], 0, v[118:119]
	v_cmp_eq_u32_e64 s[44:45], 0, v132
	s_and_b64 s[44:45], s[40:41], s[44:45]
	; wave barrier
	s_and_saveexec_b64 s[40:41], s[44:45]
	s_cbranch_execz .LBB1122_57
; %bb.56:                               ;   in Loop: Header=BB1122_53 Depth=1
	v_bcnt_u32_b32 v118, v118, 0
	v_bcnt_u32_b32 v118, v119, v118
	s_waitcnt lgkmcnt(0)
	v_add_u32_e32 v118, v129, v118
	ds_write_b32 v130, v118
.LBB1122_57:                            ;   in Loop: Header=BB1122_53 Depth=1
	s_or_b64 exec, exec, s[40:41]
	v_cmp_ne_u64_e64 s[40:41], s[56:57], v[98:99]
	v_cndmask_b32_e64 v119, v1, v99, s[40:41]
	v_cndmask_b32_e64 v118, -1, v98, s[40:41]
	v_lshrrev_b64 v[118:119], v10, v[118:119]
	; wave barrier
	v_and_b32_e32 v135, v118, v131
	v_lshl_add_u32 v118, v135, 2, v43
	v_lshl_add_u32 v118, v118, 2, v12
	v_add_u32_e32 v134, 16, v118
	ds_read_b32 v133, v118 offset:16
	v_and_b32_e32 v118, 1, v135
	v_add_co_u32_e64 v119, s[40:41], -1, v118
	v_addc_co_u32_e64 v144, s[40:41], 0, -1, s[40:41]
	v_cmp_ne_u32_e64 s[40:41], 0, v118
	v_xor_b32_e32 v118, s41, v144
	v_xor_b32_e32 v119, s40, v119
	v_and_b32_e32 v144, exec_hi, v118
	v_and_b32_e32 v145, exec_lo, v119
	v_lshlrev_b32_e32 v119, 30, v135
	v_mov_b32_e32 v118, v5
	v_cmp_gt_i64_e64 s[40:41], 0, v[118:119]
	v_not_b32_e32 v118, v119
	v_ashrrev_i32_e32 v118, 31, v118
	v_xor_b32_e32 v119, s41, v118
	v_xor_b32_e32 v118, s40, v118
	v_and_b32_e32 v144, v144, v119
	v_and_b32_e32 v145, v145, v118
	v_lshlrev_b32_e32 v119, 29, v135
	v_mov_b32_e32 v118, v5
	v_cmp_gt_i64_e64 s[40:41], 0, v[118:119]
	v_not_b32_e32 v118, v119
	v_ashrrev_i32_e32 v118, 31, v118
	v_xor_b32_e32 v119, s41, v118
	v_xor_b32_e32 v118, s40, v118
	v_and_b32_e32 v144, v144, v119
	v_and_b32_e32 v145, v145, v118
	;; [unrolled: 9-line block ×7, first 2 shown]
	v_mbcnt_lo_u32_b32 v135, v118, 0
	v_mbcnt_hi_u32_b32 v135, v119, v135
	v_cmp_ne_u64_e64 s[40:41], 0, v[118:119]
	v_cmp_eq_u32_e64 s[44:45], 0, v135
	s_and_b64 s[44:45], s[40:41], s[44:45]
	; wave barrier
	s_and_saveexec_b64 s[40:41], s[44:45]
	s_cbranch_execz .LBB1122_59
; %bb.58:                               ;   in Loop: Header=BB1122_53 Depth=1
	v_bcnt_u32_b32 v118, v118, 0
	v_bcnt_u32_b32 v118, v119, v118
	s_waitcnt lgkmcnt(0)
	v_add_u32_e32 v118, v133, v118
	ds_write_b32 v134, v118
.LBB1122_59:                            ;   in Loop: Header=BB1122_53 Depth=1
	s_or_b64 exec, exec, s[40:41]
	v_cmp_ne_u64_e64 s[40:41], s[56:57], v[96:97]
	v_cndmask_b32_e64 v119, v1, v97, s[40:41]
	v_cndmask_b32_e64 v118, -1, v96, s[40:41]
	v_lshrrev_b64 v[118:119], v10, v[118:119]
	; wave barrier
	v_and_b32_e32 v146, v118, v131
	v_lshl_add_u32 v118, v146, 2, v43
	v_lshl_add_u32 v118, v118, 2, v12
	v_add_u32_e32 v145, 16, v118
	ds_read_b32 v144, v118 offset:16
	v_and_b32_e32 v118, 1, v146
	v_add_co_u32_e64 v119, s[40:41], -1, v118
	v_addc_co_u32_e64 v147, s[40:41], 0, -1, s[40:41]
	v_cmp_ne_u32_e64 s[40:41], 0, v118
	v_xor_b32_e32 v118, s41, v147
	v_xor_b32_e32 v119, s40, v119
	v_and_b32_e32 v147, exec_hi, v118
	v_and_b32_e32 v148, exec_lo, v119
	v_lshlrev_b32_e32 v119, 30, v146
	v_mov_b32_e32 v118, v5
	v_cmp_gt_i64_e64 s[40:41], 0, v[118:119]
	v_not_b32_e32 v118, v119
	v_ashrrev_i32_e32 v118, 31, v118
	v_xor_b32_e32 v119, s41, v118
	v_xor_b32_e32 v118, s40, v118
	v_and_b32_e32 v147, v147, v119
	v_and_b32_e32 v148, v148, v118
	v_lshlrev_b32_e32 v119, 29, v146
	v_mov_b32_e32 v118, v5
	v_cmp_gt_i64_e64 s[40:41], 0, v[118:119]
	v_not_b32_e32 v118, v119
	v_ashrrev_i32_e32 v118, 31, v118
	v_xor_b32_e32 v119, s41, v118
	v_xor_b32_e32 v118, s40, v118
	v_and_b32_e32 v147, v147, v119
	v_and_b32_e32 v148, v148, v118
	;; [unrolled: 9-line block ×7, first 2 shown]
	v_mbcnt_lo_u32_b32 v146, v118, 0
	v_mbcnt_hi_u32_b32 v146, v119, v146
	v_cmp_ne_u64_e64 s[40:41], 0, v[118:119]
	v_cmp_eq_u32_e64 s[44:45], 0, v146
	s_and_b64 s[44:45], s[40:41], s[44:45]
	; wave barrier
	s_and_saveexec_b64 s[40:41], s[44:45]
	s_cbranch_execz .LBB1122_61
; %bb.60:                               ;   in Loop: Header=BB1122_53 Depth=1
	v_bcnt_u32_b32 v118, v118, 0
	v_bcnt_u32_b32 v118, v119, v118
	s_waitcnt lgkmcnt(0)
	v_add_u32_e32 v118, v144, v118
	ds_write_b32 v145, v118
.LBB1122_61:                            ;   in Loop: Header=BB1122_53 Depth=1
	s_or_b64 exec, exec, s[40:41]
	v_cmp_ne_u64_e64 s[40:41], s[56:57], v[86:87]
	v_cndmask_b32_e64 v119, v1, v87, s[40:41]
	v_cndmask_b32_e64 v118, -1, v86, s[40:41]
	v_lshrrev_b64 v[118:119], v10, v[118:119]
	; wave barrier
	v_and_b32_e32 v149, v118, v131
	v_lshl_add_u32 v118, v149, 2, v43
	v_lshl_add_u32 v118, v118, 2, v12
	v_add_u32_e32 v148, 16, v118
	ds_read_b32 v147, v118 offset:16
	v_and_b32_e32 v118, 1, v149
	v_add_co_u32_e64 v119, s[40:41], -1, v118
	v_addc_co_u32_e64 v150, s[40:41], 0, -1, s[40:41]
	v_cmp_ne_u32_e64 s[40:41], 0, v118
	v_xor_b32_e32 v118, s41, v150
	v_xor_b32_e32 v119, s40, v119
	v_and_b32_e32 v150, exec_hi, v118
	v_and_b32_e32 v151, exec_lo, v119
	v_lshlrev_b32_e32 v119, 30, v149
	v_mov_b32_e32 v118, v5
	v_cmp_gt_i64_e64 s[40:41], 0, v[118:119]
	v_not_b32_e32 v118, v119
	v_ashrrev_i32_e32 v118, 31, v118
	v_xor_b32_e32 v119, s41, v118
	v_xor_b32_e32 v118, s40, v118
	v_and_b32_e32 v150, v150, v119
	v_and_b32_e32 v151, v151, v118
	v_lshlrev_b32_e32 v119, 29, v149
	v_mov_b32_e32 v118, v5
	v_cmp_gt_i64_e64 s[40:41], 0, v[118:119]
	v_not_b32_e32 v118, v119
	v_ashrrev_i32_e32 v118, 31, v118
	v_xor_b32_e32 v119, s41, v118
	v_xor_b32_e32 v118, s40, v118
	v_and_b32_e32 v150, v150, v119
	v_and_b32_e32 v151, v151, v118
	;; [unrolled: 9-line block ×7, first 2 shown]
	v_mbcnt_lo_u32_b32 v149, v118, 0
	v_mbcnt_hi_u32_b32 v149, v119, v149
	v_cmp_ne_u64_e64 s[40:41], 0, v[118:119]
	v_cmp_eq_u32_e64 s[44:45], 0, v149
	s_and_b64 s[44:45], s[40:41], s[44:45]
	; wave barrier
	s_and_saveexec_b64 s[40:41], s[44:45]
	s_cbranch_execz .LBB1122_63
; %bb.62:                               ;   in Loop: Header=BB1122_53 Depth=1
	v_bcnt_u32_b32 v118, v118, 0
	v_bcnt_u32_b32 v118, v119, v118
	s_waitcnt lgkmcnt(0)
	v_add_u32_e32 v118, v147, v118
	ds_write_b32 v148, v118
.LBB1122_63:                            ;   in Loop: Header=BB1122_53 Depth=1
	s_or_b64 exec, exec, s[40:41]
	v_cmp_ne_u64_e64 s[40:41], s[56:57], v[84:85]
	v_cndmask_b32_e64 v119, v1, v85, s[40:41]
	v_cndmask_b32_e64 v118, -1, v84, s[40:41]
	v_lshrrev_b64 v[118:119], v10, v[118:119]
	; wave barrier
	v_and_b32_e32 v160, v118, v131
	v_lshl_add_u32 v118, v160, 2, v43
	v_lshl_add_u32 v118, v118, 2, v12
	v_add_u32_e32 v151, 16, v118
	ds_read_b32 v150, v118 offset:16
	v_and_b32_e32 v118, 1, v160
	v_add_co_u32_e64 v119, s[40:41], -1, v118
	v_addc_co_u32_e64 v161, s[40:41], 0, -1, s[40:41]
	v_cmp_ne_u32_e64 s[40:41], 0, v118
	v_xor_b32_e32 v118, s41, v161
	v_xor_b32_e32 v119, s40, v119
	v_and_b32_e32 v161, exec_hi, v118
	v_and_b32_e32 v162, exec_lo, v119
	v_lshlrev_b32_e32 v119, 30, v160
	v_mov_b32_e32 v118, v5
	v_cmp_gt_i64_e64 s[40:41], 0, v[118:119]
	v_not_b32_e32 v118, v119
	v_ashrrev_i32_e32 v118, 31, v118
	v_xor_b32_e32 v119, s41, v118
	v_xor_b32_e32 v118, s40, v118
	v_and_b32_e32 v161, v161, v119
	v_and_b32_e32 v162, v162, v118
	v_lshlrev_b32_e32 v119, 29, v160
	v_mov_b32_e32 v118, v5
	v_cmp_gt_i64_e64 s[40:41], 0, v[118:119]
	v_not_b32_e32 v118, v119
	v_ashrrev_i32_e32 v118, 31, v118
	v_xor_b32_e32 v119, s41, v118
	v_xor_b32_e32 v118, s40, v118
	v_and_b32_e32 v161, v161, v119
	v_and_b32_e32 v162, v162, v118
	;; [unrolled: 9-line block ×7, first 2 shown]
	v_mbcnt_lo_u32_b32 v160, v118, 0
	v_mbcnt_hi_u32_b32 v160, v119, v160
	v_cmp_ne_u64_e64 s[40:41], 0, v[118:119]
	v_cmp_eq_u32_e64 s[44:45], 0, v160
	s_and_b64 s[44:45], s[40:41], s[44:45]
	; wave barrier
	s_and_saveexec_b64 s[40:41], s[44:45]
	s_cbranch_execz .LBB1122_65
; %bb.64:                               ;   in Loop: Header=BB1122_53 Depth=1
	v_bcnt_u32_b32 v118, v118, 0
	v_bcnt_u32_b32 v118, v119, v118
	s_waitcnt lgkmcnt(0)
	v_add_u32_e32 v118, v150, v118
	ds_write_b32 v151, v118
.LBB1122_65:                            ;   in Loop: Header=BB1122_53 Depth=1
	s_or_b64 exec, exec, s[40:41]
	v_cmp_ne_u64_e64 s[40:41], s[56:57], v[82:83]
	v_cndmask_b32_e64 v119, v1, v83, s[40:41]
	v_cndmask_b32_e64 v118, -1, v82, s[40:41]
	v_lshrrev_b64 v[118:119], v10, v[118:119]
	; wave barrier
	v_and_b32_e32 v163, v118, v131
	v_lshl_add_u32 v118, v163, 2, v43
	v_lshl_add_u32 v118, v118, 2, v12
	v_add_u32_e32 v162, 16, v118
	ds_read_b32 v161, v118 offset:16
	v_and_b32_e32 v118, 1, v163
	v_add_co_u32_e64 v119, s[40:41], -1, v118
	v_addc_co_u32_e64 v164, s[40:41], 0, -1, s[40:41]
	v_cmp_ne_u32_e64 s[40:41], 0, v118
	v_xor_b32_e32 v118, s41, v164
	v_xor_b32_e32 v119, s40, v119
	v_and_b32_e32 v164, exec_hi, v118
	v_and_b32_e32 v165, exec_lo, v119
	v_lshlrev_b32_e32 v119, 30, v163
	v_mov_b32_e32 v118, v5
	v_cmp_gt_i64_e64 s[40:41], 0, v[118:119]
	v_not_b32_e32 v118, v119
	v_ashrrev_i32_e32 v118, 31, v118
	v_xor_b32_e32 v119, s41, v118
	v_xor_b32_e32 v118, s40, v118
	v_and_b32_e32 v164, v164, v119
	v_and_b32_e32 v165, v165, v118
	v_lshlrev_b32_e32 v119, 29, v163
	v_mov_b32_e32 v118, v5
	v_cmp_gt_i64_e64 s[40:41], 0, v[118:119]
	v_not_b32_e32 v118, v119
	v_ashrrev_i32_e32 v118, 31, v118
	v_xor_b32_e32 v119, s41, v118
	v_xor_b32_e32 v118, s40, v118
	v_and_b32_e32 v164, v164, v119
	v_and_b32_e32 v165, v165, v118
	;; [unrolled: 9-line block ×7, first 2 shown]
	v_mbcnt_lo_u32_b32 v163, v118, 0
	v_mbcnt_hi_u32_b32 v163, v119, v163
	v_cmp_ne_u64_e64 s[40:41], 0, v[118:119]
	v_cmp_eq_u32_e64 s[44:45], 0, v163
	s_and_b64 s[44:45], s[40:41], s[44:45]
	; wave barrier
	s_and_saveexec_b64 s[40:41], s[44:45]
	s_cbranch_execz .LBB1122_67
; %bb.66:                               ;   in Loop: Header=BB1122_53 Depth=1
	v_bcnt_u32_b32 v118, v118, 0
	v_bcnt_u32_b32 v118, v119, v118
	s_waitcnt lgkmcnt(0)
	v_add_u32_e32 v118, v161, v118
	ds_write_b32 v162, v118
.LBB1122_67:                            ;   in Loop: Header=BB1122_53 Depth=1
	s_or_b64 exec, exec, s[40:41]
	v_cmp_ne_u64_e64 s[40:41], s[56:57], v[80:81]
	v_cndmask_b32_e64 v119, v1, v81, s[40:41]
	v_cndmask_b32_e64 v118, -1, v80, s[40:41]
	v_lshrrev_b64 v[118:119], v10, v[118:119]
	; wave barrier
	v_and_b32_e32 v166, v118, v131
	v_lshl_add_u32 v118, v166, 2, v43
	v_lshl_add_u32 v118, v118, 2, v12
	v_add_u32_e32 v165, 16, v118
	ds_read_b32 v164, v118 offset:16
	v_and_b32_e32 v118, 1, v166
	v_add_co_u32_e64 v119, s[40:41], -1, v118
	v_addc_co_u32_e64 v167, s[40:41], 0, -1, s[40:41]
	v_cmp_ne_u32_e64 s[40:41], 0, v118
	v_xor_b32_e32 v118, s41, v167
	v_xor_b32_e32 v119, s40, v119
	v_and_b32_e32 v167, exec_hi, v118
	v_and_b32_e32 v176, exec_lo, v119
	v_lshlrev_b32_e32 v119, 30, v166
	v_mov_b32_e32 v118, v5
	v_cmp_gt_i64_e64 s[40:41], 0, v[118:119]
	v_not_b32_e32 v118, v119
	v_ashrrev_i32_e32 v118, 31, v118
	v_xor_b32_e32 v119, s41, v118
	v_xor_b32_e32 v118, s40, v118
	v_and_b32_e32 v167, v167, v119
	v_and_b32_e32 v176, v176, v118
	v_lshlrev_b32_e32 v119, 29, v166
	v_mov_b32_e32 v118, v5
	v_cmp_gt_i64_e64 s[40:41], 0, v[118:119]
	v_not_b32_e32 v118, v119
	v_ashrrev_i32_e32 v118, 31, v118
	v_xor_b32_e32 v119, s41, v118
	v_xor_b32_e32 v118, s40, v118
	v_and_b32_e32 v167, v167, v119
	v_and_b32_e32 v176, v176, v118
	;; [unrolled: 9-line block ×7, first 2 shown]
	v_mbcnt_lo_u32_b32 v166, v118, 0
	v_mbcnt_hi_u32_b32 v166, v119, v166
	v_cmp_ne_u64_e64 s[40:41], 0, v[118:119]
	v_cmp_eq_u32_e64 s[44:45], 0, v166
	s_and_b64 s[44:45], s[40:41], s[44:45]
	; wave barrier
	s_and_saveexec_b64 s[40:41], s[44:45]
	s_cbranch_execz .LBB1122_69
; %bb.68:                               ;   in Loop: Header=BB1122_53 Depth=1
	v_bcnt_u32_b32 v118, v118, 0
	v_bcnt_u32_b32 v118, v119, v118
	s_waitcnt lgkmcnt(0)
	v_add_u32_e32 v118, v164, v118
	ds_write_b32 v165, v118
.LBB1122_69:                            ;   in Loop: Header=BB1122_53 Depth=1
	s_or_b64 exec, exec, s[40:41]
	v_cmp_ne_u64_e64 s[40:41], s[56:57], v[70:71]
	v_cndmask_b32_e64 v119, v1, v71, s[40:41]
	v_cndmask_b32_e64 v118, -1, v70, s[40:41]
	v_lshrrev_b64 v[118:119], v10, v[118:119]
	; wave barrier
	v_and_b32_e32 v177, v118, v131
	v_lshl_add_u32 v118, v177, 2, v43
	v_lshl_add_u32 v118, v118, 2, v12
	v_add_u32_e32 v176, 16, v118
	ds_read_b32 v167, v118 offset:16
	v_and_b32_e32 v118, 1, v177
	v_add_co_u32_e64 v119, s[40:41], -1, v118
	v_addc_co_u32_e64 v178, s[40:41], 0, -1, s[40:41]
	v_cmp_ne_u32_e64 s[40:41], 0, v118
	v_xor_b32_e32 v118, s41, v178
	v_xor_b32_e32 v119, s40, v119
	v_and_b32_e32 v178, exec_hi, v118
	v_and_b32_e32 v179, exec_lo, v119
	v_lshlrev_b32_e32 v119, 30, v177
	v_mov_b32_e32 v118, v5
	v_cmp_gt_i64_e64 s[40:41], 0, v[118:119]
	v_not_b32_e32 v118, v119
	v_ashrrev_i32_e32 v118, 31, v118
	v_xor_b32_e32 v119, s41, v118
	v_xor_b32_e32 v118, s40, v118
	v_and_b32_e32 v178, v178, v119
	v_and_b32_e32 v179, v179, v118
	v_lshlrev_b32_e32 v119, 29, v177
	v_mov_b32_e32 v118, v5
	v_cmp_gt_i64_e64 s[40:41], 0, v[118:119]
	v_not_b32_e32 v118, v119
	v_ashrrev_i32_e32 v118, 31, v118
	v_xor_b32_e32 v119, s41, v118
	v_xor_b32_e32 v118, s40, v118
	v_and_b32_e32 v178, v178, v119
	v_and_b32_e32 v179, v179, v118
	;; [unrolled: 9-line block ×7, first 2 shown]
	v_mbcnt_lo_u32_b32 v177, v118, 0
	v_mbcnt_hi_u32_b32 v177, v119, v177
	v_cmp_ne_u64_e64 s[40:41], 0, v[118:119]
	v_cmp_eq_u32_e64 s[44:45], 0, v177
	s_and_b64 s[44:45], s[40:41], s[44:45]
	; wave barrier
	s_and_saveexec_b64 s[40:41], s[44:45]
	s_cbranch_execz .LBB1122_71
; %bb.70:                               ;   in Loop: Header=BB1122_53 Depth=1
	v_bcnt_u32_b32 v118, v118, 0
	v_bcnt_u32_b32 v118, v119, v118
	s_waitcnt lgkmcnt(0)
	v_add_u32_e32 v118, v167, v118
	ds_write_b32 v176, v118
.LBB1122_71:                            ;   in Loop: Header=BB1122_53 Depth=1
	s_or_b64 exec, exec, s[40:41]
	v_cmp_ne_u64_e64 s[40:41], s[56:57], v[68:69]
	v_cndmask_b32_e64 v119, v1, v69, s[40:41]
	v_cndmask_b32_e64 v118, -1, v68, s[40:41]
	v_lshrrev_b64 v[118:119], v10, v[118:119]
	; wave barrier
	v_and_b32_e32 v180, v118, v131
	v_lshl_add_u32 v118, v180, 2, v43
	v_lshl_add_u32 v118, v118, 2, v12
	v_add_u32_e32 v179, 16, v118
	ds_read_b32 v178, v118 offset:16
	v_and_b32_e32 v118, 1, v180
	v_add_co_u32_e64 v119, s[40:41], -1, v118
	v_addc_co_u32_e64 v181, s[40:41], 0, -1, s[40:41]
	v_cmp_ne_u32_e64 s[40:41], 0, v118
	v_xor_b32_e32 v118, s41, v181
	v_xor_b32_e32 v119, s40, v119
	v_and_b32_e32 v181, exec_hi, v118
	v_and_b32_e32 v182, exec_lo, v119
	v_lshlrev_b32_e32 v119, 30, v180
	v_mov_b32_e32 v118, v5
	v_cmp_gt_i64_e64 s[40:41], 0, v[118:119]
	v_not_b32_e32 v118, v119
	v_ashrrev_i32_e32 v118, 31, v118
	v_xor_b32_e32 v119, s41, v118
	v_xor_b32_e32 v118, s40, v118
	v_and_b32_e32 v181, v181, v119
	v_and_b32_e32 v182, v182, v118
	v_lshlrev_b32_e32 v119, 29, v180
	v_mov_b32_e32 v118, v5
	v_cmp_gt_i64_e64 s[40:41], 0, v[118:119]
	v_not_b32_e32 v118, v119
	v_ashrrev_i32_e32 v118, 31, v118
	v_xor_b32_e32 v119, s41, v118
	v_xor_b32_e32 v118, s40, v118
	v_and_b32_e32 v181, v181, v119
	v_and_b32_e32 v182, v182, v118
	;; [unrolled: 9-line block ×7, first 2 shown]
	v_mbcnt_lo_u32_b32 v180, v118, 0
	v_mbcnt_hi_u32_b32 v180, v119, v180
	v_cmp_ne_u64_e64 s[40:41], 0, v[118:119]
	v_cmp_eq_u32_e64 s[44:45], 0, v180
	s_and_b64 s[44:45], s[40:41], s[44:45]
	; wave barrier
	s_and_saveexec_b64 s[40:41], s[44:45]
	s_cbranch_execz .LBB1122_73
; %bb.72:                               ;   in Loop: Header=BB1122_53 Depth=1
	v_bcnt_u32_b32 v118, v118, 0
	v_bcnt_u32_b32 v118, v119, v118
	s_waitcnt lgkmcnt(0)
	v_add_u32_e32 v118, v178, v118
	ds_write_b32 v179, v118
.LBB1122_73:                            ;   in Loop: Header=BB1122_53 Depth=1
	s_or_b64 exec, exec, s[40:41]
	v_cmp_ne_u64_e64 s[40:41], s[56:57], v[66:67]
	v_cndmask_b32_e64 v119, v1, v67, s[40:41]
	v_cndmask_b32_e64 v118, -1, v66, s[40:41]
	v_lshrrev_b64 v[118:119], v10, v[118:119]
	; wave barrier
	v_and_b32_e32 v183, v118, v131
	v_lshl_add_u32 v118, v183, 2, v43
	v_lshl_add_u32 v118, v118, 2, v12
	v_add_u32_e32 v182, 16, v118
	ds_read_b32 v181, v118 offset:16
	v_and_b32_e32 v118, 1, v183
	v_add_co_u32_e64 v119, s[40:41], -1, v118
	v_addc_co_u32_e64 v192, s[40:41], 0, -1, s[40:41]
	v_cmp_ne_u32_e64 s[40:41], 0, v118
	v_xor_b32_e32 v118, s41, v192
	v_xor_b32_e32 v119, s40, v119
	v_and_b32_e32 v192, exec_hi, v118
	v_and_b32_e32 v193, exec_lo, v119
	v_lshlrev_b32_e32 v119, 30, v183
	v_mov_b32_e32 v118, v5
	v_cmp_gt_i64_e64 s[40:41], 0, v[118:119]
	v_not_b32_e32 v118, v119
	v_ashrrev_i32_e32 v118, 31, v118
	v_xor_b32_e32 v119, s41, v118
	v_xor_b32_e32 v118, s40, v118
	v_and_b32_e32 v192, v192, v119
	v_and_b32_e32 v193, v193, v118
	v_lshlrev_b32_e32 v119, 29, v183
	v_mov_b32_e32 v118, v5
	v_cmp_gt_i64_e64 s[40:41], 0, v[118:119]
	v_not_b32_e32 v118, v119
	v_ashrrev_i32_e32 v118, 31, v118
	v_xor_b32_e32 v119, s41, v118
	v_xor_b32_e32 v118, s40, v118
	v_and_b32_e32 v192, v192, v119
	v_and_b32_e32 v193, v193, v118
	;; [unrolled: 9-line block ×7, first 2 shown]
	v_mbcnt_lo_u32_b32 v183, v118, 0
	v_mbcnt_hi_u32_b32 v183, v119, v183
	v_cmp_ne_u64_e64 s[40:41], 0, v[118:119]
	v_cmp_eq_u32_e64 s[44:45], 0, v183
	s_and_b64 s[44:45], s[40:41], s[44:45]
	; wave barrier
	s_and_saveexec_b64 s[40:41], s[44:45]
	s_cbranch_execz .LBB1122_75
; %bb.74:                               ;   in Loop: Header=BB1122_53 Depth=1
	v_bcnt_u32_b32 v118, v118, 0
	v_bcnt_u32_b32 v118, v119, v118
	s_waitcnt lgkmcnt(0)
	v_add_u32_e32 v118, v181, v118
	ds_write_b32 v182, v118
.LBB1122_75:                            ;   in Loop: Header=BB1122_53 Depth=1
	s_or_b64 exec, exec, s[40:41]
	v_cmp_ne_u64_e64 s[40:41], s[56:57], v[64:65]
	v_cndmask_b32_e64 v119, v1, v65, s[40:41]
	v_cndmask_b32_e64 v118, -1, v64, s[40:41]
	v_lshrrev_b64 v[118:119], v10, v[118:119]
	; wave barrier
	v_and_b32_e32 v194, v118, v131
	v_lshl_add_u32 v118, v194, 2, v43
	v_lshl_add_u32 v118, v118, 2, v12
	v_add_u32_e32 v193, 16, v118
	ds_read_b32 v192, v118 offset:16
	v_and_b32_e32 v118, 1, v194
	v_add_co_u32_e64 v119, s[40:41], -1, v118
	v_addc_co_u32_e64 v195, s[40:41], 0, -1, s[40:41]
	v_cmp_ne_u32_e64 s[40:41], 0, v118
	v_xor_b32_e32 v118, s41, v195
	v_xor_b32_e32 v119, s40, v119
	v_and_b32_e32 v195, exec_hi, v118
	v_and_b32_e32 v196, exec_lo, v119
	v_lshlrev_b32_e32 v119, 30, v194
	v_mov_b32_e32 v118, v5
	v_cmp_gt_i64_e64 s[40:41], 0, v[118:119]
	v_not_b32_e32 v118, v119
	v_ashrrev_i32_e32 v118, 31, v118
	v_xor_b32_e32 v119, s41, v118
	v_xor_b32_e32 v118, s40, v118
	v_and_b32_e32 v195, v195, v119
	v_and_b32_e32 v196, v196, v118
	v_lshlrev_b32_e32 v119, 29, v194
	v_mov_b32_e32 v118, v5
	v_cmp_gt_i64_e64 s[40:41], 0, v[118:119]
	v_not_b32_e32 v118, v119
	v_ashrrev_i32_e32 v118, 31, v118
	v_xor_b32_e32 v119, s41, v118
	v_xor_b32_e32 v118, s40, v118
	v_and_b32_e32 v195, v195, v119
	v_and_b32_e32 v196, v196, v118
	;; [unrolled: 9-line block ×7, first 2 shown]
	v_mbcnt_lo_u32_b32 v194, v118, 0
	v_mbcnt_hi_u32_b32 v194, v119, v194
	v_cmp_ne_u64_e64 s[40:41], 0, v[118:119]
	v_cmp_eq_u32_e64 s[44:45], 0, v194
	s_and_b64 s[44:45], s[40:41], s[44:45]
	; wave barrier
	s_and_saveexec_b64 s[40:41], s[44:45]
	s_cbranch_execz .LBB1122_77
; %bb.76:                               ;   in Loop: Header=BB1122_53 Depth=1
	v_bcnt_u32_b32 v118, v118, 0
	v_bcnt_u32_b32 v118, v119, v118
	s_waitcnt lgkmcnt(0)
	v_add_u32_e32 v118, v192, v118
	ds_write_b32 v193, v118
.LBB1122_77:                            ;   in Loop: Header=BB1122_53 Depth=1
	s_or_b64 exec, exec, s[40:41]
	v_cmp_ne_u64_e64 s[40:41], s[56:57], v[54:55]
	v_cndmask_b32_e64 v119, v1, v55, s[40:41]
	v_cndmask_b32_e64 v118, -1, v54, s[40:41]
	v_lshrrev_b64 v[118:119], v10, v[118:119]
	; wave barrier
	v_and_b32_e32 v197, v118, v131
	v_lshl_add_u32 v118, v197, 2, v43
	v_lshl_add_u32 v118, v118, 2, v12
	v_add_u32_e32 v196, 16, v118
	ds_read_b32 v195, v118 offset:16
	v_and_b32_e32 v118, 1, v197
	v_add_co_u32_e64 v119, s[40:41], -1, v118
	v_addc_co_u32_e64 v198, s[40:41], 0, -1, s[40:41]
	v_cmp_ne_u32_e64 s[40:41], 0, v118
	v_xor_b32_e32 v118, s41, v198
	v_xor_b32_e32 v119, s40, v119
	v_and_b32_e32 v198, exec_hi, v118
	v_and_b32_e32 v199, exec_lo, v119
	v_lshlrev_b32_e32 v119, 30, v197
	v_mov_b32_e32 v118, v5
	v_cmp_gt_i64_e64 s[40:41], 0, v[118:119]
	v_not_b32_e32 v118, v119
	v_ashrrev_i32_e32 v118, 31, v118
	v_xor_b32_e32 v119, s41, v118
	v_xor_b32_e32 v118, s40, v118
	v_and_b32_e32 v198, v198, v119
	v_and_b32_e32 v199, v199, v118
	v_lshlrev_b32_e32 v119, 29, v197
	v_mov_b32_e32 v118, v5
	v_cmp_gt_i64_e64 s[40:41], 0, v[118:119]
	v_not_b32_e32 v118, v119
	v_ashrrev_i32_e32 v118, 31, v118
	v_xor_b32_e32 v119, s41, v118
	v_xor_b32_e32 v118, s40, v118
	v_and_b32_e32 v198, v198, v119
	v_and_b32_e32 v199, v199, v118
	;; [unrolled: 9-line block ×7, first 2 shown]
	v_mbcnt_lo_u32_b32 v197, v118, 0
	v_mbcnt_hi_u32_b32 v197, v119, v197
	v_cmp_ne_u64_e64 s[40:41], 0, v[118:119]
	v_cmp_eq_u32_e64 s[44:45], 0, v197
	s_and_b64 s[44:45], s[40:41], s[44:45]
	; wave barrier
	s_and_saveexec_b64 s[40:41], s[44:45]
	s_cbranch_execz .LBB1122_79
; %bb.78:                               ;   in Loop: Header=BB1122_53 Depth=1
	v_bcnt_u32_b32 v118, v118, 0
	v_bcnt_u32_b32 v118, v119, v118
	s_waitcnt lgkmcnt(0)
	v_add_u32_e32 v118, v195, v118
	ds_write_b32 v196, v118
.LBB1122_79:                            ;   in Loop: Header=BB1122_53 Depth=1
	s_or_b64 exec, exec, s[40:41]
	v_cmp_ne_u64_e64 s[40:41], s[56:57], v[52:53]
	v_cndmask_b32_e64 v119, v1, v53, s[40:41]
	v_cndmask_b32_e64 v118, -1, v52, s[40:41]
	v_lshrrev_b64 v[118:119], v10, v[118:119]
	; wave barrier
	v_and_b32_e32 v208, v118, v131
	v_lshl_add_u32 v118, v208, 2, v43
	v_lshl_add_u32 v118, v118, 2, v12
	v_add_u32_e32 v199, 16, v118
	ds_read_b32 v198, v118 offset:16
	v_and_b32_e32 v118, 1, v208
	v_add_co_u32_e64 v119, s[40:41], -1, v118
	v_addc_co_u32_e64 v209, s[40:41], 0, -1, s[40:41]
	v_cmp_ne_u32_e64 s[40:41], 0, v118
	v_xor_b32_e32 v118, s41, v209
	v_xor_b32_e32 v119, s40, v119
	v_and_b32_e32 v209, exec_hi, v118
	v_and_b32_e32 v210, exec_lo, v119
	v_lshlrev_b32_e32 v119, 30, v208
	v_mov_b32_e32 v118, v5
	v_cmp_gt_i64_e64 s[40:41], 0, v[118:119]
	v_not_b32_e32 v118, v119
	v_ashrrev_i32_e32 v118, 31, v118
	v_xor_b32_e32 v119, s41, v118
	v_xor_b32_e32 v118, s40, v118
	v_and_b32_e32 v209, v209, v119
	v_and_b32_e32 v210, v210, v118
	v_lshlrev_b32_e32 v119, 29, v208
	v_mov_b32_e32 v118, v5
	v_cmp_gt_i64_e64 s[40:41], 0, v[118:119]
	v_not_b32_e32 v118, v119
	v_ashrrev_i32_e32 v118, 31, v118
	v_xor_b32_e32 v119, s41, v118
	v_xor_b32_e32 v118, s40, v118
	v_and_b32_e32 v209, v209, v119
	v_and_b32_e32 v210, v210, v118
	v_lshlrev_b32_e32 v119, 28, v208
	v_mov_b32_e32 v118, v5
	v_cmp_gt_i64_e64 s[40:41], 0, v[118:119]
	v_not_b32_e32 v118, v119
	v_ashrrev_i32_e32 v118, 31, v118
	v_xor_b32_e32 v119, s41, v118
	v_xor_b32_e32 v118, s40, v118
	v_and_b32_e32 v209, v209, v119
	v_and_b32_e32 v210, v210, v118
	v_lshlrev_b32_e32 v119, 27, v208
	v_mov_b32_e32 v118, v5
	v_cmp_gt_i64_e64 s[40:41], 0, v[118:119]
	v_not_b32_e32 v118, v119
	v_ashrrev_i32_e32 v118, 31, v118
	v_xor_b32_e32 v119, s41, v118
	v_xor_b32_e32 v118, s40, v118
	v_and_b32_e32 v209, v209, v119
	v_and_b32_e32 v210, v210, v118
	v_lshlrev_b32_e32 v119, 26, v208
	v_mov_b32_e32 v118, v5
	v_cmp_gt_i64_e64 s[40:41], 0, v[118:119]
	v_not_b32_e32 v118, v119
	v_ashrrev_i32_e32 v118, 31, v118
	v_xor_b32_e32 v119, s41, v118
	v_xor_b32_e32 v118, s40, v118
	v_and_b32_e32 v209, v209, v119
	v_and_b32_e32 v210, v210, v118
	v_lshlrev_b32_e32 v119, 25, v208
	v_mov_b32_e32 v118, v5
	v_cmp_gt_i64_e64 s[40:41], 0, v[118:119]
	v_not_b32_e32 v118, v119
	v_ashrrev_i32_e32 v118, 31, v118
	v_xor_b32_e32 v119, s41, v118
	v_xor_b32_e32 v118, s40, v118
	v_and_b32_e32 v209, v209, v119
	v_and_b32_e32 v210, v210, v118
	v_lshlrev_b32_e32 v119, 24, v208
	v_mov_b32_e32 v118, v5
	v_cmp_gt_i64_e64 s[40:41], 0, v[118:119]
	v_not_b32_e32 v118, v119
	v_ashrrev_i32_e32 v118, 31, v118
	v_xor_b32_e32 v119, s41, v118
	v_xor_b32_e32 v118, s40, v118
	v_and_b32_e32 v118, v210, v118
	v_and_b32_e32 v119, v209, v119
	v_mbcnt_lo_u32_b32 v208, v118, 0
	v_mbcnt_hi_u32_b32 v208, v119, v208
	v_cmp_ne_u64_e64 s[40:41], 0, v[118:119]
	v_cmp_eq_u32_e64 s[44:45], 0, v208
	s_and_b64 s[44:45], s[40:41], s[44:45]
	; wave barrier
	s_and_saveexec_b64 s[40:41], s[44:45]
	s_cbranch_execz .LBB1122_81
; %bb.80:                               ;   in Loop: Header=BB1122_53 Depth=1
	v_bcnt_u32_b32 v118, v118, 0
	v_bcnt_u32_b32 v118, v119, v118
	s_waitcnt lgkmcnt(0)
	v_add_u32_e32 v118, v198, v118
	ds_write_b32 v199, v118
.LBB1122_81:                            ;   in Loop: Header=BB1122_53 Depth=1
	s_or_b64 exec, exec, s[40:41]
	v_cmp_ne_u64_e64 s[40:41], s[56:57], v[50:51]
	v_cndmask_b32_e64 v119, v1, v51, s[40:41]
	v_cndmask_b32_e64 v118, -1, v50, s[40:41]
	v_lshrrev_b64 v[118:119], v10, v[118:119]
	; wave barrier
	v_and_b32_e32 v211, v118, v131
	v_lshl_add_u32 v118, v211, 2, v43
	v_lshl_add_u32 v118, v118, 2, v12
	v_add_u32_e32 v210, 16, v118
	ds_read_b32 v209, v118 offset:16
	v_and_b32_e32 v118, 1, v211
	v_add_co_u32_e64 v119, s[40:41], -1, v118
	v_addc_co_u32_e64 v212, s[40:41], 0, -1, s[40:41]
	v_cmp_ne_u32_e64 s[40:41], 0, v118
	v_xor_b32_e32 v118, s41, v212
	v_xor_b32_e32 v119, s40, v119
	v_and_b32_e32 v212, exec_hi, v118
	v_and_b32_e32 v213, exec_lo, v119
	v_lshlrev_b32_e32 v119, 30, v211
	v_mov_b32_e32 v118, v5
	v_cmp_gt_i64_e64 s[40:41], 0, v[118:119]
	v_not_b32_e32 v118, v119
	v_ashrrev_i32_e32 v118, 31, v118
	v_xor_b32_e32 v119, s41, v118
	v_xor_b32_e32 v118, s40, v118
	v_and_b32_e32 v212, v212, v119
	v_and_b32_e32 v213, v213, v118
	v_lshlrev_b32_e32 v119, 29, v211
	v_mov_b32_e32 v118, v5
	v_cmp_gt_i64_e64 s[40:41], 0, v[118:119]
	v_not_b32_e32 v118, v119
	v_ashrrev_i32_e32 v118, 31, v118
	v_xor_b32_e32 v119, s41, v118
	v_xor_b32_e32 v118, s40, v118
	v_and_b32_e32 v212, v212, v119
	v_and_b32_e32 v213, v213, v118
	;; [unrolled: 9-line block ×7, first 2 shown]
	v_mbcnt_lo_u32_b32 v211, v118, 0
	v_mbcnt_hi_u32_b32 v211, v119, v211
	v_cmp_ne_u64_e64 s[40:41], 0, v[118:119]
	v_cmp_eq_u32_e64 s[44:45], 0, v211
	s_and_b64 s[44:45], s[40:41], s[44:45]
	; wave barrier
	s_and_saveexec_b64 s[40:41], s[44:45]
	s_cbranch_execz .LBB1122_83
; %bb.82:                               ;   in Loop: Header=BB1122_53 Depth=1
	v_bcnt_u32_b32 v118, v118, 0
	v_bcnt_u32_b32 v118, v119, v118
	s_waitcnt lgkmcnt(0)
	v_add_u32_e32 v118, v209, v118
	ds_write_b32 v210, v118
.LBB1122_83:                            ;   in Loop: Header=BB1122_53 Depth=1
	s_or_b64 exec, exec, s[40:41]
	v_cmp_ne_u64_e64 s[40:41], s[56:57], v[48:49]
	v_cndmask_b32_e64 v119, v1, v49, s[40:41]
	v_cndmask_b32_e64 v118, -1, v48, s[40:41]
	v_lshrrev_b64 v[118:119], v10, v[118:119]
	; wave barrier
	v_and_b32_e32 v213, v118, v131
	v_lshl_add_u32 v118, v213, 2, v43
	v_lshl_add_u32 v118, v118, 2, v12
	v_add_u32_e32 v212, 16, v118
	ds_read_b32 v131, v118 offset:16
	v_and_b32_e32 v118, 1, v213
	v_add_co_u32_e64 v119, s[40:41], -1, v118
	v_addc_co_u32_e64 v214, s[40:41], 0, -1, s[40:41]
	v_cmp_ne_u32_e64 s[40:41], 0, v118
	v_xor_b32_e32 v118, s41, v214
	v_xor_b32_e32 v119, s40, v119
	v_and_b32_e32 v214, exec_hi, v118
	v_and_b32_e32 v215, exec_lo, v119
	v_lshlrev_b32_e32 v119, 30, v213
	v_mov_b32_e32 v118, v5
	v_cmp_gt_i64_e64 s[40:41], 0, v[118:119]
	v_not_b32_e32 v118, v119
	v_ashrrev_i32_e32 v118, 31, v118
	v_xor_b32_e32 v119, s41, v118
	v_xor_b32_e32 v118, s40, v118
	v_and_b32_e32 v214, v214, v119
	v_and_b32_e32 v215, v215, v118
	v_lshlrev_b32_e32 v119, 29, v213
	v_mov_b32_e32 v118, v5
	v_cmp_gt_i64_e64 s[40:41], 0, v[118:119]
	v_not_b32_e32 v118, v119
	v_ashrrev_i32_e32 v118, 31, v118
	v_xor_b32_e32 v119, s41, v118
	v_xor_b32_e32 v118, s40, v118
	v_and_b32_e32 v214, v214, v119
	v_and_b32_e32 v215, v215, v118
	;; [unrolled: 9-line block ×7, first 2 shown]
	v_mbcnt_lo_u32_b32 v213, v118, 0
	v_mbcnt_hi_u32_b32 v213, v119, v213
	v_cmp_ne_u64_e64 s[40:41], 0, v[118:119]
	v_cmp_eq_u32_e64 s[44:45], 0, v213
	s_and_b64 s[44:45], s[40:41], s[44:45]
	; wave barrier
	s_and_saveexec_b64 s[40:41], s[44:45]
	s_cbranch_execz .LBB1122_85
; %bb.84:                               ;   in Loop: Header=BB1122_53 Depth=1
	v_bcnt_u32_b32 v118, v118, 0
	v_bcnt_u32_b32 v118, v119, v118
	s_waitcnt lgkmcnt(0)
	v_add_u32_e32 v118, v131, v118
	ds_write_b32 v212, v118
.LBB1122_85:                            ;   in Loop: Header=BB1122_53 Depth=1
	s_or_b64 exec, exec, s[40:41]
	; wave barrier
	s_waitcnt lgkmcnt(0)
	s_barrier
	ds_read_b32 v214, v247
	ds_read_b32 v119, v40
	ds_read_b32 v118, v41
	ds_read_b32 v215, v42
	s_waitcnt lgkmcnt(2)
	v_add_u32_e32 v224, v119, v214
	s_waitcnt lgkmcnt(0)
	v_add3_u32 v215, v224, v118, v215
	s_nop 1
	v_mov_b32_dpp v224, v215 row_shr:1 row_mask:0xf bank_mask:0xf
	v_cndmask_b32_e64 v224, v224, 0, vcc
	v_add_u32_e32 v215, v224, v215
	s_nop 1
	v_mov_b32_dpp v224, v215 row_shr:2 row_mask:0xf bank_mask:0xf
	v_cndmask_b32_e64 v224, 0, v224, s[4:5]
	v_add_u32_e32 v215, v215, v224
	s_nop 1
	v_mov_b32_dpp v224, v215 row_shr:4 row_mask:0xf bank_mask:0xf
	v_cndmask_b32_e64 v224, 0, v224, s[6:7]
	;; [unrolled: 4-line block ×3, first 2 shown]
	v_add_u32_e32 v215, v215, v224
	s_nop 1
	v_mov_b32_dpp v224, v215 row_bcast:15 row_mask:0xf bank_mask:0xf
	v_cndmask_b32_e64 v224, v224, 0, s[42:43]
	v_add_u32_e32 v215, v215, v224
	s_nop 1
	v_mov_b32_dpp v224, v215 row_bcast:31 row_mask:0xf bank_mask:0xf
	v_cndmask_b32_e64 v224, 0, v224, s[14:15]
	v_add_u32_e32 v215, v215, v224
	s_and_saveexec_b64 s[40:41], s[16:17]
; %bb.86:                               ;   in Loop: Header=BB1122_53 Depth=1
	ds_write_b32 v45, v215
; %bb.87:                               ;   in Loop: Header=BB1122_53 Depth=1
	s_or_b64 exec, exec, s[40:41]
	s_waitcnt lgkmcnt(0)
	s_barrier
	s_and_saveexec_b64 s[40:41], s[18:19]
	s_cbranch_execz .LBB1122_89
; %bb.88:                               ;   in Loop: Header=BB1122_53 Depth=1
	ds_read_b32 v224, v46
	s_waitcnt lgkmcnt(0)
	s_nop 0
	v_mov_b32_dpp v225, v224 row_shr:1 row_mask:0xf bank_mask:0xf
	v_cndmask_b32_e64 v225, v225, 0, s[26:27]
	v_add_u32_e32 v224, v225, v224
	s_nop 1
	v_mov_b32_dpp v225, v224 row_shr:2 row_mask:0xf bank_mask:0xf
	v_cndmask_b32_e64 v225, 0, v225, s[28:29]
	v_add_u32_e32 v224, v224, v225
	ds_write_b32 v46, v224
.LBB1122_89:                            ;   in Loop: Header=BB1122_53 Depth=1
	s_or_b64 exec, exec, s[40:41]
	v_mov_b32_e32 v224, 0
	s_waitcnt lgkmcnt(0)
	s_barrier
	s_and_saveexec_b64 s[40:41], s[20:21]
; %bb.90:                               ;   in Loop: Header=BB1122_53 Depth=1
	ds_read_b32 v224, v47
; %bb.91:                               ;   in Loop: Header=BB1122_53 Depth=1
	s_or_b64 exec, exec, s[40:41]
	s_waitcnt lgkmcnt(0)
	v_add_u32_e32 v215, v224, v215
	ds_bpermute_b32 v215, v44, v215
	v_add_u32_e32 v10, 8, v10
	v_cmp_lt_u32_e64 s[40:41], v10, v11
	s_mov_b64 s[62:63], -1
                                        ; implicit-def: $vgpr226_vgpr227
                                        ; implicit-def: $vgpr228_vgpr229
                                        ; implicit-def: $vgpr230_vgpr231
                                        ; implicit-def: $vgpr240_vgpr241
                                        ; implicit-def: $vgpr242_vgpr243
                                        ; implicit-def: $vgpr244_vgpr245
	s_waitcnt lgkmcnt(0)
	v_cndmask_b32_e64 v215, v215, v224, s[22:23]
	v_cndmask_b32_e64 v215, v215, 0, s[24:25]
	v_add_u32_e32 v214, v215, v214
	v_add_u32_e32 v119, v214, v119
	;; [unrolled: 1-line block ×3, first 2 shown]
	ds_write_b32 v247, v215
	ds_write_b32 v40, v214
	;; [unrolled: 1-line block ×4, first 2 shown]
	s_waitcnt lgkmcnt(0)
	s_barrier
	ds_read_b32 v4, v4
	ds_read_b32 v118, v130
	;; [unrolled: 1-line block ×6, first 2 shown]
	v_mov_b32_e32 v151, v5
                                        ; implicit-def: $vgpr214_vgpr215
                                        ; implicit-def: $vgpr224_vgpr225
	s_waitcnt lgkmcnt(5)
	v_add_u32_e32 v4, v4, v128
	s_waitcnt lgkmcnt(4)
	v_add3_u32 v118, v132, v129, v118
	s_waitcnt lgkmcnt(3)
	v_add3_u32 v128, v135, v133, v119
	;; [unrolled: 2-line block ×4, first 2 shown]
	ds_read_b32 v119, v162
	ds_read_b32 v129, v165
	;; [unrolled: 1-line block ×5, first 2 shown]
	v_add3_u32 v130, v146, v144, v130
	s_waitcnt lgkmcnt(4)
	v_add3_u32 v144, v163, v161, v119
	s_waitcnt lgkmcnt(3)
	;; [unrolled: 2-line block ×5, first 2 shown]
	v_add3_u32 v160, v183, v181, v145
	ds_read_b32 v119, v193
	ds_read_b32 v129, v196
	;; [unrolled: 1-line block ×5, first 2 shown]
	s_waitcnt lgkmcnt(4)
	v_add3_u32 v162, v194, v192, v119
	v_mov_b32_e32 v119, v5
	v_lshlrev_b64 v[118:119], 3, v[118:119]
	s_waitcnt lgkmcnt(3)
	v_add3_u32 v164, v197, v195, v129
	v_mov_b32_e32 v129, v5
	v_add_co_u32_e64 v89, s[44:45], v12, v118
	v_lshlrev_b64 v[118:119], 3, v[128:129]
	s_waitcnt lgkmcnt(0)
	v_add3_u32 v178, v213, v131, v145
	v_mov_b32_e32 v131, v5
	v_add_co_u32_e64 v90, s[44:45], v12, v118
	v_lshlrev_b64 v[118:119], 3, v[130:131]
	v_add3_u32 v166, v208, v198, v133
	v_mov_b32_e32 v133, v5
	v_add_co_u32_e64 v91, s[44:45], v12, v118
	v_lshlrev_b64 v[118:119], 3, v[132:133]
	;; [unrolled: 4-line block ×3, first 2 shown]
	v_mov_b32_e32 v145, v5
	v_add_co_u32_e64 v93, s[44:45], v12, v118
	v_lshlrev_b64 v[118:119], 3, v[144:145]
	v_mov_b32_e32 v147, v5
	v_add_co_u32_e64 v94, s[44:45], v12, v118
	v_lshlrev_b64 v[118:119], 3, v[146:147]
	;; [unrolled: 3-line block ×7, first 2 shown]
	v_lshlrev_b64 v[179:180], 3, v[4:5]
	v_add_co_u32_e64 v108, s[44:45], v12, v118
	v_lshlrev_b64 v[118:119], 3, v[166:167]
	v_mov_b32_e32 v177, v5
	v_add_co_u32_e64 v109, s[44:45], v12, v118
	v_lshlrev_b64 v[118:119], 3, v[176:177]
	v_add_co_u32_e64 v4, s[44:45], v12, v179
	v_mov_b32_e32 v179, v5
	v_add_co_u32_e64 v110, s[44:45], v12, v118
	v_lshlrev_b64 v[118:119], 3, v[178:179]
	v_add_co_u32_e64 v111, s[44:45], v12, v118
                                        ; implicit-def: $vgpr118_vgpr119
                                        ; implicit-def: $vgpr128_vgpr129
                                        ; implicit-def: $vgpr130_vgpr131
                                        ; implicit-def: $vgpr132_vgpr133
                                        ; implicit-def: $vgpr134_vgpr135
                                        ; implicit-def: $vgpr144_vgpr145
                                        ; implicit-def: $vgpr146_vgpr147
                                        ; implicit-def: $vgpr148_vgpr149
                                        ; implicit-def: $vgpr150_vgpr151
                                        ; implicit-def: $vgpr160_vgpr161
                                        ; implicit-def: $vgpr162_vgpr163
                                        ; implicit-def: $vgpr164_vgpr165
                                        ; implicit-def: $vgpr166_vgpr167
                                        ; implicit-def: $vgpr176_vgpr177
                                        ; implicit-def: $vgpr182_vgpr183
                                        ; implicit-def: $vgpr196_vgpr197
                                        ; implicit-def: $vgpr178_vgpr179
                                        ; implicit-def: $vgpr180_vgpr181
                                        ; implicit-def: $vgpr192_vgpr193
                                        ; implicit-def: $vgpr194_vgpr195
                                        ; implicit-def: $vgpr198_vgpr199
                                        ; implicit-def: $vgpr208_vgpr209
                                        ; implicit-def: $vgpr210_vgpr211
                                        ; implicit-def: $vgpr212_vgpr213
	s_and_saveexec_b64 s[44:45], s[40:41]
	s_cbranch_execz .LBB1122_52
; %bb.92:                               ;   in Loop: Header=BB1122_53 Depth=1
	s_barrier
	ds_write_b64 v4, v[102:103]
	ds_write_b64 v89, v[100:101]
	;; [unrolled: 1-line block ×16, first 2 shown]
	s_waitcnt lgkmcnt(0)
	s_barrier
	ds_read_b64 v[178:179], v56
	ds_read_b64 v[180:181], v57
	;; [unrolled: 1-line block ×16, first 2 shown]
	s_waitcnt lgkmcnt(0)
	s_barrier
	ds_write_b64 v4, v[116:117]
	ds_write_b64 v89, v[114:115]
	;; [unrolled: 1-line block ×16, first 2 shown]
	s_waitcnt lgkmcnt(0)
	s_barrier
	ds_read_b64 v[118:119], v56
	ds_read_b64 v[128:129], v57
	;; [unrolled: 1-line block ×16, first 2 shown]
	v_add_u32_e32 v88, -8, v88
	s_xor_b64 s[62:63], exec, -1
	s_waitcnt lgkmcnt(0)
	s_barrier
	s_branch .LBB1122_52
.LBB1122_93:
	s_or_b64 exec, exec, s[46:47]
	v_lshl_add_u32 v1, v13, 3, v12
	s_barrier
	ds_write_b64 v4, v[102:103]
	ds_write_b64 v89, v[100:101]
	;; [unrolled: 1-line block ×16, first 2 shown]
	s_waitcnt lgkmcnt(0)
	s_barrier
	ds_read2st64_b64 v[100:103], v1 offset1:4
	ds_read2st64_b64 v[96:99], v1 offset0:8 offset1:12
	ds_read2st64_b64 v[84:87], v1 offset0:16 offset1:20
	;; [unrolled: 1-line block ×7, first 2 shown]
	s_waitcnt lgkmcnt(0)
	s_barrier
	ds_write_b64 v4, v[116:117]
	ds_write_b64 v89, v[114:115]
	;; [unrolled: 1-line block ×16, first 2 shown]
	s_waitcnt lgkmcnt(0)
	s_barrier
	ds_read2st64_b64 v[36:39], v1 offset1:4
	ds_read2st64_b64 v[32:35], v1 offset0:8 offset1:12
	ds_read2st64_b64 v[28:31], v1 offset0:16 offset1:20
	;; [unrolled: 1-line block ×7, first 2 shown]
	v_mov_b32_e32 v1, 0
	v_add_co_u32_e32 v4, vcc, v2, v112
	v_lshlrev_b64 v[1:2], 3, v[0:1]
	v_addc_co_u32_e32 v5, vcc, v3, v113, vcc
	v_add_co_u32_e32 v3, vcc, v4, v1
	v_addc_co_u32_e32 v4, vcc, v5, v2, vcc
	v_cmp_lt_u32_e64 s[4:5], v0, v246
	s_waitcnt lgkmcnt(0)
	s_barrier
	s_and_saveexec_b64 s[6:7], s[4:5]
	s_cbranch_execz .LBB1122_95
; %bb.94:
	v_cmp_gt_i64_e32 vcc, 0, v[100:101]
	v_bfrev_b32_e32 v5, -2
	v_ashrrev_i32_e32 v114, 31, v101
	v_cndmask_b32_e64 v5, v5, 0, vcc
	v_not_b32_e32 v114, v114
	v_xor_b32_e32 v101, v5, v101
	v_xor_b32_e32 v100, v114, v100
	flat_store_dwordx2 v[3:4], v[100:101]
.LBB1122_95:
	s_or_b64 exec, exec, s[6:7]
	v_add_u32_e32 v5, 0x100, v0
	v_cmp_lt_u32_e64 s[6:7], v5, v246
	s_and_saveexec_b64 s[10:11], s[6:7]
	s_cbranch_execz .LBB1122_97
; %bb.96:
	v_cmp_gt_i64_e32 vcc, 0, v[102:103]
	v_bfrev_b32_e32 v5, -2
	v_ashrrev_i32_e32 v100, 31, v103
	v_cndmask_b32_e64 v5, v5, 0, vcc
	v_not_b32_e32 v100, v100
	v_xor_b32_e32 v101, v5, v103
	v_xor_b32_e32 v100, v100, v102
	flat_store_dwordx2 v[3:4], v[100:101] offset:2048
.LBB1122_97:
	s_or_b64 exec, exec, s[10:11]
	v_add_u32_e32 v5, 0x200, v0
	v_cmp_lt_u32_e64 s[10:11], v5, v246
	s_and_saveexec_b64 s[14:15], s[10:11]
	s_cbranch_execz .LBB1122_99
; %bb.98:
	v_cmp_gt_i64_e32 vcc, 0, v[96:97]
	v_ashrrev_i32_e32 v100, 31, v97
	v_bfrev_b32_e32 v5, -2
	v_not_b32_e32 v100, v100
	v_cndmask_b32_e64 v5, v5, 0, vcc
	v_xor_b32_e32 v96, v100, v96
	v_add_co_u32_e32 v100, vcc, 0x1000, v3
	v_xor_b32_e32 v97, v5, v97
	v_addc_co_u32_e32 v101, vcc, 0, v4, vcc
	flat_store_dwordx2 v[100:101], v[96:97]
.LBB1122_99:
	s_or_b64 exec, exec, s[14:15]
	v_add_u32_e32 v5, 0x300, v0
	v_cmp_lt_u32_e64 s[56:57], v5, v246
	s_and_saveexec_b64 s[14:15], s[56:57]
	s_cbranch_execz .LBB1122_101
; %bb.100:
	v_cmp_gt_i64_e32 vcc, 0, v[98:99]
	v_ashrrev_i32_e32 v96, 31, v99
	v_bfrev_b32_e32 v5, -2
	v_not_b32_e32 v96, v96
	v_cndmask_b32_e64 v5, v5, 0, vcc
	v_xor_b32_e32 v96, v96, v98
	v_add_co_u32_e32 v98, vcc, 0x1000, v3
	v_xor_b32_e32 v97, v5, v99
	v_addc_co_u32_e32 v99, vcc, 0, v4, vcc
	flat_store_dwordx2 v[98:99], v[96:97] offset:2048
.LBB1122_101:
	s_or_b64 exec, exec, s[14:15]
	v_add_u32_e32 v5, 0x400, v0
	v_cmp_lt_u32_e64 s[14:15], v5, v246
	s_and_saveexec_b64 s[16:17], s[14:15]
	s_cbranch_execz .LBB1122_103
; %bb.102:
	v_cmp_gt_i64_e32 vcc, 0, v[84:85]
	v_ashrrev_i32_e32 v96, 31, v85
	v_bfrev_b32_e32 v5, -2
	v_not_b32_e32 v96, v96
	v_cndmask_b32_e64 v5, v5, 0, vcc
	v_xor_b32_e32 v84, v96, v84
	v_add_co_u32_e32 v96, vcc, 0x2000, v3
	v_xor_b32_e32 v85, v5, v85
	v_addc_co_u32_e32 v97, vcc, 0, v4, vcc
	flat_store_dwordx2 v[96:97], v[84:85]
.LBB1122_103:
	s_or_b64 exec, exec, s[16:17]
	v_add_u32_e32 v5, 0x500, v0
	v_cmp_lt_u32_e64 s[16:17], v5, v246
	s_and_saveexec_b64 s[18:19], s[16:17]
	s_cbranch_execz .LBB1122_105
; %bb.104:
	v_cmp_gt_i64_e32 vcc, 0, v[86:87]
	v_ashrrev_i32_e32 v84, 31, v87
	v_bfrev_b32_e32 v5, -2
	v_not_b32_e32 v84, v84
	v_cndmask_b32_e64 v5, v5, 0, vcc
	v_xor_b32_e32 v84, v84, v86
	v_add_co_u32_e32 v86, vcc, 0x2000, v3
	v_xor_b32_e32 v85, v5, v87
	v_addc_co_u32_e32 v87, vcc, 0, v4, vcc
	flat_store_dwordx2 v[86:87], v[84:85] offset:2048
.LBB1122_105:
	;; [unrolled: 34-line block ×6, first 2 shown]
	s_or_b64 exec, exec, s[44:45]
	v_add_u32_e32 v5, 0xe00, v0
	v_cmp_lt_u32_e64 s[44:45], v5, v246
	s_and_saveexec_b64 s[46:47], s[44:45]
	s_cbranch_execz .LBB1122_123
; %bb.122:
	v_cmp_gt_i64_e32 vcc, 0, v[48:49]
	v_ashrrev_i32_e32 v52, 31, v49
	v_bfrev_b32_e32 v5, -2
	v_not_b32_e32 v52, v52
	v_cndmask_b32_e64 v5, v5, 0, vcc
	v_xor_b32_e32 v48, v52, v48
	v_add_co_u32_e32 v52, vcc, 0x7000, v3
	v_xor_b32_e32 v49, v5, v49
	v_addc_co_u32_e32 v53, vcc, 0, v4, vcc
	flat_store_dwordx2 v[52:53], v[48:49]
.LBB1122_123:
	s_or_b64 exec, exec, s[46:47]
	v_add_u32_e32 v0, 0xf00, v0
	v_cmp_lt_u32_e64 s[46:47], v0, v246
	s_and_saveexec_b64 s[62:63], s[46:47]
	s_cbranch_execz .LBB1122_125
; %bb.124:
	v_cmp_gt_i64_e32 vcc, 0, v[50:51]
	v_bfrev_b32_e32 v0, -2
	v_ashrrev_i32_e32 v5, 31, v51
	v_cndmask_b32_e64 v0, v0, 0, vcc
	v_not_b32_e32 v5, v5
	v_add_co_u32_e32 v3, vcc, 0x7000, v3
	v_xor_b32_e32 v49, v0, v51
	v_xor_b32_e32 v48, v5, v50
	v_addc_co_u32_e32 v4, vcc, 0, v4, vcc
	flat_store_dwordx2 v[3:4], v[48:49] offset:2048
.LBB1122_125:
	s_or_b64 exec, exec, s[62:63]
	v_add_co_u32_e32 v0, vcc, v6, v112
	v_addc_co_u32_e32 v3, vcc, v7, v113, vcc
	v_add_co_u32_e32 v0, vcc, v0, v1
	v_addc_co_u32_e32 v1, vcc, v3, v2, vcc
	s_and_saveexec_b64 s[62:63], s[4:5]
	s_cbranch_execnz .LBB1122_211
; %bb.126:
	s_or_b64 exec, exec, s[62:63]
	s_and_saveexec_b64 s[4:5], s[6:7]
	s_cbranch_execnz .LBB1122_212
.LBB1122_127:
	s_or_b64 exec, exec, s[4:5]
	s_and_saveexec_b64 s[4:5], s[10:11]
	s_cbranch_execnz .LBB1122_213
.LBB1122_128:
	s_or_b64 exec, exec, s[4:5]
	s_and_saveexec_b64 s[4:5], s[56:57]
	s_cbranch_execnz .LBB1122_214
.LBB1122_129:
	s_or_b64 exec, exec, s[4:5]
	s_and_saveexec_b64 s[4:5], s[14:15]
	s_cbranch_execnz .LBB1122_215
.LBB1122_130:
	s_or_b64 exec, exec, s[4:5]
	s_and_saveexec_b64 s[4:5], s[16:17]
	s_cbranch_execnz .LBB1122_216
.LBB1122_131:
	s_or_b64 exec, exec, s[4:5]
	s_and_saveexec_b64 s[4:5], s[18:19]
	s_cbranch_execnz .LBB1122_217
.LBB1122_132:
	s_or_b64 exec, exec, s[4:5]
	s_and_saveexec_b64 s[4:5], s[20:21]
	s_cbranch_execnz .LBB1122_218
.LBB1122_133:
	s_or_b64 exec, exec, s[4:5]
	s_and_saveexec_b64 s[4:5], s[22:23]
	s_cbranch_execnz .LBB1122_219
.LBB1122_134:
	s_or_b64 exec, exec, s[4:5]
	s_and_saveexec_b64 s[4:5], s[24:25]
	s_cbranch_execnz .LBB1122_220
.LBB1122_135:
	s_or_b64 exec, exec, s[4:5]
	s_and_saveexec_b64 s[4:5], s[26:27]
	s_cbranch_execnz .LBB1122_221
.LBB1122_136:
	s_or_b64 exec, exec, s[4:5]
	s_and_saveexec_b64 s[4:5], s[28:29]
	s_cbranch_execnz .LBB1122_222
.LBB1122_137:
	s_or_b64 exec, exec, s[4:5]
	s_and_saveexec_b64 s[4:5], s[40:41]
	s_cbranch_execnz .LBB1122_223
.LBB1122_138:
	s_or_b64 exec, exec, s[4:5]
	s_and_saveexec_b64 s[4:5], s[42:43]
	s_cbranch_execnz .LBB1122_224
.LBB1122_139:
	s_or_b64 exec, exec, s[4:5]
	s_and_saveexec_b64 s[4:5], s[44:45]
	s_cbranch_execnz .LBB1122_225
.LBB1122_140:
	s_or_b64 exec, exec, s[4:5]
	s_and_saveexec_b64 s[4:5], s[46:47]
	s_cbranch_execz .LBB1122_142
.LBB1122_141:
	v_add_co_u32_e32 v0, vcc, 0x7000, v0
	v_addc_co_u32_e32 v1, vcc, 0, v1, vcc
	flat_store_dwordx2 v[0:1], v[10:11] offset:2048
.LBB1122_142:
	s_or_b64 exec, exec, s[4:5]
                                        ; implicit-def: $vgpr246
                                        ; implicit-def: $vgpr0
                                        ; implicit-def: $vgpr1
                                        ; implicit-def: $vgpr2
                                        ; implicit-def: $vgpr3
                                        ; implicit-def: $vgpr4
                                        ; implicit-def: $vgpr5
                                        ; implicit-def: $vgpr6
                                        ; implicit-def: $vgpr7
                                        ; implicit-def: $vgpr8
                                        ; implicit-def: $vgpr10
                                        ; implicit-def: $vgpr11
                                        ; implicit-def: $vgpr12
                                        ; implicit-def: $vgpr31
                                        ; implicit-def: $vgpr20
                                        ; implicit-def: $vgpr22
                                        ; implicit-def: $vgpr14
.LBB1122_143:
	s_andn2_saveexec_b64 s[4:5], s[60:61]
	s_cbranch_execz .LBB1122_372
; %bb.144:
	s_movk_i32 s4, 0x400
	v_cmp_lt_u32_e32 vcc, s4, v246
	s_and_saveexec_b64 s[4:5], vcc
	s_xor_b64 s[46:47], exec, s[4:5]
	s_cbranch_execz .LBB1122_252
; %bb.145:
	s_load_dwordx2 s[4:5], s[8:9], 0x0
	v_mov_b32_e32 v9, 0
	v_lshlrev_b64 v[48:49], 3, v[8:9]
	v_and_b32_e32 v13, 0x3ff, v31
	v_mbcnt_hi_u32_b32 v32, -1, v14
	s_waitcnt lgkmcnt(0)
	s_cmp_lt_u32 s13, s5
	s_cselect_b32 s5, 14, 20
	s_add_u32 s6, s8, s5
	s_addc_u32 s7, s9, 0
	s_cmp_lt_u32 s12, s4
	s_cselect_b32 s4, 12, 18
	s_add_u32 s4, s8, s4
	global_load_ushort v18, v9, s[6:7]
	s_addc_u32 s5, s9, 0
	global_load_ushort v19, v9, s[4:5]
	v_mov_b32_e32 v14, -1
	v_add_co_u32_e32 v8, vcc, v0, v48
	v_mov_b32_e32 v15, -1
	v_addc_co_u32_e32 v21, vcc, v1, v49, vcc
	v_and_b32_e32 v33, 63, v32
	v_lshlrev_b32_e32 v34, 3, v33
	v_mov_b32_e32 v16, -1
	v_mov_b32_e32 v17, -1
	s_waitcnt vmcnt(0)
	v_mad_u32_u24 v0, v22, v18, v20
	v_add_co_u32_e32 v18, vcc, v8, v34
	v_mad_u64_u32 v[0:1], s[4:5], v0, v19, v[13:14]
	v_addc_co_u32_e32 v19, vcc, 0, v21, vcc
	v_lshlrev_b32_e32 v1, 3, v0
	v_and_b32_e32 v8, 0xfffffe00, v1
	v_lshlrev_b64 v[28:29], 3, v[8:9]
	v_or_b32_e32 v1, v8, v33
	v_add_co_u32_e32 v30, vcc, v18, v28
	v_addc_co_u32_e32 v31, vcc, v19, v29, vcc
	v_cmp_lt_u32_e32 vcc, v1, v246
	s_and_saveexec_b64 s[4:5], vcc
	s_cbranch_execz .LBB1122_147
; %bb.146:
	flat_load_dwordx2 v[16:17], v[30:31]
.LBB1122_147:
	s_or_b64 exec, exec, s[4:5]
	v_or_b32_e32 v8, 64, v1
	v_cmp_lt_u32_e64 s[4:5], v8, v246
	s_and_saveexec_b64 s[6:7], s[4:5]
	s_cbranch_execz .LBB1122_149
; %bb.148:
	flat_load_dwordx2 v[14:15], v[30:31] offset:512
.LBB1122_149:
	s_or_b64 exec, exec, s[6:7]
	v_or_b32_e32 v20, 0x80, v1
	v_mov_b32_e32 v8, -1
	v_mov_b32_e32 v18, -1
	v_mov_b32_e32 v9, -1
	v_mov_b32_e32 v19, -1
	v_cmp_lt_u32_e64 s[6:7], v20, v246
	s_and_saveexec_b64 s[10:11], s[6:7]
	s_cbranch_execz .LBB1122_151
; %bb.150:
	flat_load_dwordx2 v[18:19], v[30:31] offset:1024
.LBB1122_151:
	s_or_b64 exec, exec, s[10:11]
	v_or_b32_e32 v20, 0xc0, v1
	v_cmp_lt_u32_e64 s[10:11], v20, v246
	s_and_saveexec_b64 s[14:15], s[10:11]
	s_cbranch_execz .LBB1122_153
; %bb.152:
	flat_load_dwordx2 v[8:9], v[30:31] offset:1536
.LBB1122_153:
	s_or_b64 exec, exec, s[14:15]
	v_or_b32_e32 v24, 0x100, v1
	v_mov_b32_e32 v20, -1
	v_mov_b32_e32 v22, -1
	v_mov_b32_e32 v21, -1
	v_mov_b32_e32 v23, -1
	v_cmp_lt_u32_e64 s[20:21], v24, v246
	s_and_saveexec_b64 s[14:15], s[20:21]
	s_cbranch_execz .LBB1122_155
; %bb.154:
	flat_load_dwordx2 v[22:23], v[30:31] offset:2048
.LBB1122_155:
	;; [unrolled: 20-line block ×3, first 2 shown]
	s_or_b64 exec, exec, s[18:19]
	v_or_b32_e32 v1, 0x1c0, v1
	v_cmp_lt_u32_e64 s[18:19], v1, v246
	s_and_saveexec_b64 s[22:23], s[18:19]
	s_cbranch_execz .LBB1122_161
; %bb.160:
	flat_load_dwordx2 v[24:25], v[30:31] offset:3584
.LBB1122_161:
	s_or_b64 exec, exec, s[22:23]
	v_add_co_u32_e64 v1, s[22:23], v4, v48
	v_addc_co_u32_e64 v4, s[22:23], v5, v49, s[22:23]
	v_add_co_u32_e64 v1, s[22:23], v1, v34
	v_addc_co_u32_e64 v5, s[22:23], 0, v4, s[22:23]
	;; [unrolled: 2-line block ×3, first 2 shown]
                                        ; implicit-def: $vgpr54_vgpr55
	s_and_saveexec_b64 s[22:23], vcc
	s_cbranch_execnz .LBB1122_285
; %bb.162:
	s_or_b64 exec, exec, s[22:23]
                                        ; implicit-def: $vgpr64_vgpr65
	s_and_saveexec_b64 s[22:23], s[4:5]
	s_cbranch_execnz .LBB1122_286
.LBB1122_163:
	s_or_b64 exec, exec, s[22:23]
                                        ; implicit-def: $vgpr66_vgpr67
	s_and_saveexec_b64 s[4:5], s[6:7]
	s_cbranch_execnz .LBB1122_287
.LBB1122_164:
	s_or_b64 exec, exec, s[4:5]
                                        ; implicit-def: $vgpr68_vgpr69
	s_and_saveexec_b64 s[4:5], s[10:11]
	s_cbranch_execnz .LBB1122_288
.LBB1122_165:
	s_or_b64 exec, exec, s[4:5]
                                        ; implicit-def: $vgpr70_vgpr71
	s_and_saveexec_b64 s[4:5], s[20:21]
	s_cbranch_execnz .LBB1122_289
.LBB1122_166:
	s_or_b64 exec, exec, s[4:5]
                                        ; implicit-def: $vgpr80_vgpr81
	s_and_saveexec_b64 s[4:5], s[14:15]
	s_cbranch_execnz .LBB1122_290
.LBB1122_167:
	s_or_b64 exec, exec, s[4:5]
                                        ; implicit-def: $vgpr82_vgpr83
	s_and_saveexec_b64 s[4:5], s[16:17]
	s_cbranch_execnz .LBB1122_291
.LBB1122_168:
	s_or_b64 exec, exec, s[4:5]
                                        ; implicit-def: $vgpr86_vgpr87
	s_and_saveexec_b64 s[4:5], s[18:19]
	s_cbranch_execz .LBB1122_170
.LBB1122_169:
	flat_load_dwordx2 v[86:87], v[4:5] offset:3584
.LBB1122_170:
	s_or_b64 exec, exec, s[4:5]
	s_waitcnt vmcnt(0) lgkmcnt(0)
	v_cmp_gt_i64_e32 vcc, 0, v[16:17]
	v_bfrev_b32_e32 v1, -2
	v_cndmask_b32_e64 v4, v1, 0, vcc
	v_cmp_gt_i64_e32 vcc, 0, v[14:15]
	v_xor_b32_e32 v85, v4, v17
	v_cndmask_b32_e64 v4, v1, 0, vcc
	v_cmp_gt_i64_e32 vcc, 0, v[18:19]
	v_xor_b32_e32 v97, v4, v15
	v_cndmask_b32_e64 v4, v1, 0, vcc
	v_cmp_gt_i64_e32 vcc, 0, v[8:9]
	v_ashrrev_i32_e32 v5, 31, v17
	v_not_b32_e32 v5, v5
	v_xor_b32_e32 v99, v4, v19
	v_cndmask_b32_e64 v4, v1, 0, vcc
	v_cmp_gt_i64_e32 vcc, 0, v[22:23]
	v_xor_b32_e32 v84, v5, v16
	v_ashrrev_i32_e32 v5, 31, v15
	v_not_b32_e32 v5, v5
	v_xor_b32_e32 v101, v4, v9
	v_cndmask_b32_e64 v4, v1, 0, vcc
	v_cmp_gt_i64_e32 vcc, 0, v[20:21]
	v_xor_b32_e32 v96, v5, v14
	;; [unrolled: 6-line block ×4, first 2 shown]
	v_ashrrev_i32_e32 v5, 31, v23
	v_not_b32_e32 v5, v5
	v_xor_b32_e32 v115, v4, v27
	v_cndmask_b32_e64 v4, v1, 0, vcc
	v_xor_b32_e32 v102, v5, v22
	v_ashrrev_i32_e32 v5, 31, v21
	v_xor_b32_e32 v117, v4, v25
	v_lshl_add_u32 v4, v13, 4, v12
	v_not_b32_e32 v5, v5
	s_getpc_b64 s[4:5]
	s_add_u32 s4, s4, _ZN7rocprim17ROCPRIM_400000_NS16block_radix_sortIdLj256ELj8ElLj1ELj1ELj8ELNS0_26block_radix_rank_algorithmE2ELNS0_18block_padding_hintE2ELNS0_4arch9wavefront6targetE1EE19radix_bits_per_passE@rel32@lo+4
	s_addc_u32 s5, s5, _ZN7rocprim17ROCPRIM_400000_NS16block_radix_sortIdLj256ELj8ElLj1ELj1ELj8ELNS0_26block_radix_rank_algorithmE2ELNS0_18block_padding_hintE2ELNS0_4arch9wavefront6targetE1EE19radix_bits_per_passE@rel32@hi+12
	v_add_u32_e32 v118, 16, v4
	v_add_u32_e32 v119, 20, v4
	;; [unrolled: 1-line block ×4, first 2 shown]
	v_and_b32_e32 v4, 15, v32
	v_xor_b32_e32 v112, v5, v20
	v_ashrrev_i32_e32 v5, 31, v27
	s_load_dword s72, s[4:5], 0x0
	v_cmp_eq_u32_e32 vcc, 0, v4
	v_cmp_lt_u32_e64 s[4:5], 1, v4
	v_cmp_lt_u32_e64 s[6:7], 3, v4
	;; [unrolled: 1-line block ×3, first 2 shown]
	v_and_b32_e32 v4, 16, v32
	v_not_b32_e32 v5, v5
	v_cmp_eq_u32_e64 s[40:41], 0, v4
	v_and_b32_e32 v4, 0x3c0, v13
	v_xor_b32_e32 v114, v5, v26
	v_ashrrev_i32_e32 v5, 31, v25
	v_min_u32_e32 v4, 0xc0, v4
	v_not_b32_e32 v5, v5
	v_or_b32_e32 v4, 63, v4
	v_xor_b32_e32 v116, v5, v24
	v_cmp_eq_u32_e64 s[16:17], v13, v4
	v_subrev_co_u32_e64 v4, s[22:23], 1, v32
	v_and_b32_e32 v5, 64, v32
	v_cmp_lt_i32_e64 s[24:25], v4, v5
	v_cndmask_b32_e64 v4, v4, v32, s[24:25]
	v_lshlrev_b32_e32 v131, 2, v4
	v_lshrrev_b32_e32 v4, 4, v13
	v_and_b32_e32 v4, 60, v4
	v_add_u32_e32 v132, v12, v4
	v_and_b32_e32 v4, 3, v32
	v_cmp_eq_u32_e64 s[26:27], 0, v4
	v_cmp_lt_u32_e64 s[28:29], 1, v4
	v_lshlrev_b32_e32 v4, 3, v13
	s_movk_i32 s42, 0x1e00
	v_and_or_b32 v4, v4, s42, v33
	s_mov_b32 s60, 0
	v_lshl_add_u32 v135, v4, 3, v12
	s_mov_b64 s[56:57], 0
	s_brev_b32 s61, 1
	v_lshrrev_b32_e32 v130, 6, v0
	v_cmp_lt_u32_e64 s[14:15], 31, v32
	v_cmp_gt_u32_e64 s[18:19], 4, v13
	v_cmp_lt_u32_e64 s[20:21], 63, v13
	v_cmp_eq_u32_e64 s[24:25], 0, v13
	v_mov_b32_e32 v5, 0
	v_lshl_add_u32 v133, v13, 2, v12
	v_add_u32_e32 v134, -4, v132
	v_add_u32_e32 v144, 0x200, v135
	v_add_u32_e32 v145, 0x400, v135
	;; [unrolled: 1-line block ×7, first 2 shown]
	v_sub_u32_e32 v151, v11, v10
	s_waitcnt lgkmcnt(0)
	s_barrier
	s_branch .LBB1122_172
.LBB1122_171:                           ;   in Loop: Header=BB1122_172 Depth=1
	s_or_b64 exec, exec, s[44:45]
	s_and_b64 s[42:43], exec, s[62:63]
	s_or_b64 s[56:57], s[42:43], s[56:57]
	s_andn2_b64 exec, exec, s[56:57]
	s_cbranch_execz .LBB1122_226
.LBB1122_172:                           ; =>This Inner Loop Header: Depth=1
	v_mov_b32_e32 v38, v84
	v_mov_b32_e32 v39, v85
	v_cmp_ne_u64_e64 s[42:43], s[60:61], v[38:39]
	v_mov_b32_e32 v52, v54
	v_mov_b32_e32 v53, v55
	v_min_u32_e32 v4, s72, v151
	v_cndmask_b32_e64 v55, v1, v39, s[42:43]
	v_cndmask_b32_e64 v54, -1, v38, s[42:43]
	v_mov_b32_e32 v22, v66
	v_lshlrev_b32_e64 v4, v4, -1
	v_lshrrev_b64 v[54:55], v10, v[54:55]
	v_mov_b32_e32 v50, v64
	v_mov_b32_e32 v23, v67
	v_not_b32_e32 v67, v4
	v_mov_b32_e32 v51, v65
	v_and_b32_e32 v64, v54, v67
	v_lshl_add_u32 v4, v64, 2, v130
	v_lshlrev_b64 v[54:55], 2, v[4:5]
	v_mov_b32_e32 v20, v68
	v_add_co_u32_e64 v4, s[42:43], v12, v54
	v_add_co_u32_e64 v4, s[42:43], 16, v4
	v_and_b32_e32 v54, 1, v64
	v_add_co_u32_e64 v55, s[42:43], -1, v54
	v_addc_co_u32_e64 v65, s[42:43], 0, -1, s[42:43]
	v_cmp_ne_u32_e64 s[42:43], 0, v54
	v_xor_b32_e32 v54, s43, v65
	v_xor_b32_e32 v55, s42, v55
	v_and_b32_e32 v65, exec_hi, v54
	v_and_b32_e32 v66, exec_lo, v55
	v_lshlrev_b32_e32 v55, 30, v64
	v_mov_b32_e32 v54, v5
	v_cmp_gt_i64_e64 s[42:43], 0, v[54:55]
	v_not_b32_e32 v54, v55
	v_ashrrev_i32_e32 v54, 31, v54
	v_xor_b32_e32 v55, s43, v54
	v_xor_b32_e32 v54, s42, v54
	v_and_b32_e32 v65, v65, v55
	v_and_b32_e32 v66, v66, v54
	v_lshlrev_b32_e32 v55, 29, v64
	v_mov_b32_e32 v54, v5
	v_cmp_gt_i64_e64 s[42:43], 0, v[54:55]
	v_not_b32_e32 v54, v55
	v_ashrrev_i32_e32 v54, 31, v54
	v_xor_b32_e32 v55, s43, v54
	v_xor_b32_e32 v54, s42, v54
	v_and_b32_e32 v65, v65, v55
	v_and_b32_e32 v66, v66, v54
	;; [unrolled: 9-line block ×7, first 2 shown]
	v_mbcnt_lo_u32_b32 v64, v54, 0
	v_mbcnt_hi_u32_b32 v64, v55, v64
	v_cmp_ne_u64_e64 s[42:43], 0, v[54:55]
	v_mov_b32_e32 v18, v70
	v_mov_b32_e32 v16, v80
	;; [unrolled: 1-line block ×11, first 2 shown]
	v_cmp_eq_u32_e64 s[44:45], 0, v64
	v_mov_b32_e32 v21, v69
	v_mov_b32_e32 v19, v71
	;; [unrolled: 1-line block ×12, first 2 shown]
	s_and_b64 s[44:45], s[42:43], s[44:45]
	ds_write_b32 v118, v5
	ds_write_b32 v119, v5
	ds_write_b32 v128, v5
	ds_write_b32 v129, v5
	s_waitcnt lgkmcnt(0)
	s_barrier
	; wave barrier
	s_and_saveexec_b64 s[42:43], s[44:45]
; %bb.173:                              ;   in Loop: Header=BB1122_172 Depth=1
	v_bcnt_u32_b32 v54, v54, 0
	v_bcnt_u32_b32 v54, v55, v54
	ds_write_b32 v4, v54
; %bb.174:                              ;   in Loop: Header=BB1122_172 Depth=1
	s_or_b64 exec, exec, s[42:43]
	v_cmp_ne_u64_e64 s[42:43], s[60:61], v[36:37]
	v_cndmask_b32_e64 v55, v1, v37, s[42:43]
	v_cndmask_b32_e64 v54, -1, v36, s[42:43]
	v_lshrrev_b64 v[54:55], v10, v[54:55]
	; wave barrier
	v_and_b32_e32 v68, v54, v67
	v_lshl_add_u32 v54, v68, 2, v130
	v_lshl_add_u32 v54, v54, 2, v12
	v_add_u32_e32 v66, 16, v54
	ds_read_b32 v65, v54 offset:16
	v_and_b32_e32 v54, 1, v68
	v_add_co_u32_e64 v55, s[42:43], -1, v54
	v_addc_co_u32_e64 v69, s[42:43], 0, -1, s[42:43]
	v_cmp_ne_u32_e64 s[42:43], 0, v54
	v_xor_b32_e32 v54, s43, v69
	v_xor_b32_e32 v55, s42, v55
	v_and_b32_e32 v69, exec_hi, v54
	v_and_b32_e32 v70, exec_lo, v55
	v_lshlrev_b32_e32 v55, 30, v68
	v_mov_b32_e32 v54, v5
	v_cmp_gt_i64_e64 s[42:43], 0, v[54:55]
	v_not_b32_e32 v54, v55
	v_ashrrev_i32_e32 v54, 31, v54
	v_xor_b32_e32 v55, s43, v54
	v_xor_b32_e32 v54, s42, v54
	v_and_b32_e32 v69, v69, v55
	v_and_b32_e32 v70, v70, v54
	v_lshlrev_b32_e32 v55, 29, v68
	v_mov_b32_e32 v54, v5
	v_cmp_gt_i64_e64 s[42:43], 0, v[54:55]
	v_not_b32_e32 v54, v55
	v_ashrrev_i32_e32 v54, 31, v54
	v_xor_b32_e32 v55, s43, v54
	v_xor_b32_e32 v54, s42, v54
	v_and_b32_e32 v69, v69, v55
	v_and_b32_e32 v70, v70, v54
	;; [unrolled: 9-line block ×7, first 2 shown]
	v_mbcnt_lo_u32_b32 v68, v54, 0
	v_mbcnt_hi_u32_b32 v68, v55, v68
	v_cmp_ne_u64_e64 s[42:43], 0, v[54:55]
	v_cmp_eq_u32_e64 s[44:45], 0, v68
	s_and_b64 s[44:45], s[42:43], s[44:45]
	; wave barrier
	s_and_saveexec_b64 s[42:43], s[44:45]
	s_cbranch_execz .LBB1122_176
; %bb.175:                              ;   in Loop: Header=BB1122_172 Depth=1
	v_bcnt_u32_b32 v54, v54, 0
	v_bcnt_u32_b32 v54, v55, v54
	s_waitcnt lgkmcnt(0)
	v_add_u32_e32 v54, v65, v54
	ds_write_b32 v66, v54
.LBB1122_176:                           ;   in Loop: Header=BB1122_172 Depth=1
	s_or_b64 exec, exec, s[42:43]
	v_cmp_ne_u64_e64 s[42:43], s[60:61], v[34:35]
	v_cndmask_b32_e64 v55, v1, v35, s[42:43]
	v_cndmask_b32_e64 v54, -1, v34, s[42:43]
	v_lshrrev_b64 v[54:55], v10, v[54:55]
	; wave barrier
	v_and_b32_e32 v71, v54, v67
	v_lshl_add_u32 v54, v71, 2, v130
	v_lshl_add_u32 v54, v54, 2, v12
	v_add_u32_e32 v70, 16, v54
	ds_read_b32 v69, v54 offset:16
	v_and_b32_e32 v54, 1, v71
	v_add_co_u32_e64 v55, s[42:43], -1, v54
	v_addc_co_u32_e64 v80, s[42:43], 0, -1, s[42:43]
	v_cmp_ne_u32_e64 s[42:43], 0, v54
	v_xor_b32_e32 v54, s43, v80
	v_xor_b32_e32 v55, s42, v55
	v_and_b32_e32 v80, exec_hi, v54
	v_and_b32_e32 v81, exec_lo, v55
	v_lshlrev_b32_e32 v55, 30, v71
	v_mov_b32_e32 v54, v5
	v_cmp_gt_i64_e64 s[42:43], 0, v[54:55]
	v_not_b32_e32 v54, v55
	v_ashrrev_i32_e32 v54, 31, v54
	v_xor_b32_e32 v55, s43, v54
	v_xor_b32_e32 v54, s42, v54
	v_and_b32_e32 v80, v80, v55
	v_and_b32_e32 v81, v81, v54
	v_lshlrev_b32_e32 v55, 29, v71
	v_mov_b32_e32 v54, v5
	v_cmp_gt_i64_e64 s[42:43], 0, v[54:55]
	v_not_b32_e32 v54, v55
	v_ashrrev_i32_e32 v54, 31, v54
	v_xor_b32_e32 v55, s43, v54
	v_xor_b32_e32 v54, s42, v54
	v_and_b32_e32 v80, v80, v55
	v_and_b32_e32 v81, v81, v54
	;; [unrolled: 9-line block ×7, first 2 shown]
	v_mbcnt_lo_u32_b32 v71, v54, 0
	v_mbcnt_hi_u32_b32 v71, v55, v71
	v_cmp_ne_u64_e64 s[42:43], 0, v[54:55]
	v_cmp_eq_u32_e64 s[44:45], 0, v71
	s_and_b64 s[44:45], s[42:43], s[44:45]
	; wave barrier
	s_and_saveexec_b64 s[42:43], s[44:45]
	s_cbranch_execz .LBB1122_178
; %bb.177:                              ;   in Loop: Header=BB1122_172 Depth=1
	v_bcnt_u32_b32 v54, v54, 0
	v_bcnt_u32_b32 v54, v55, v54
	s_waitcnt lgkmcnt(0)
	v_add_u32_e32 v54, v69, v54
	ds_write_b32 v70, v54
.LBB1122_178:                           ;   in Loop: Header=BB1122_172 Depth=1
	s_or_b64 exec, exec, s[42:43]
	v_cmp_ne_u64_e64 s[42:43], s[60:61], v[32:33]
	v_cndmask_b32_e64 v55, v1, v33, s[42:43]
	v_cndmask_b32_e64 v54, -1, v32, s[42:43]
	v_lshrrev_b64 v[54:55], v10, v[54:55]
	; wave barrier
	v_and_b32_e32 v82, v54, v67
	v_lshl_add_u32 v54, v82, 2, v130
	v_lshl_add_u32 v54, v54, 2, v12
	v_add_u32_e32 v81, 16, v54
	ds_read_b32 v80, v54 offset:16
	v_and_b32_e32 v54, 1, v82
	v_add_co_u32_e64 v55, s[42:43], -1, v54
	v_addc_co_u32_e64 v83, s[42:43], 0, -1, s[42:43]
	v_cmp_ne_u32_e64 s[42:43], 0, v54
	v_xor_b32_e32 v54, s43, v83
	v_xor_b32_e32 v55, s42, v55
	v_and_b32_e32 v83, exec_hi, v54
	v_and_b32_e32 v84, exec_lo, v55
	v_lshlrev_b32_e32 v55, 30, v82
	v_mov_b32_e32 v54, v5
	v_cmp_gt_i64_e64 s[42:43], 0, v[54:55]
	v_not_b32_e32 v54, v55
	v_ashrrev_i32_e32 v54, 31, v54
	v_xor_b32_e32 v55, s43, v54
	v_xor_b32_e32 v54, s42, v54
	v_and_b32_e32 v83, v83, v55
	v_and_b32_e32 v84, v84, v54
	v_lshlrev_b32_e32 v55, 29, v82
	v_mov_b32_e32 v54, v5
	v_cmp_gt_i64_e64 s[42:43], 0, v[54:55]
	v_not_b32_e32 v54, v55
	v_ashrrev_i32_e32 v54, 31, v54
	v_xor_b32_e32 v55, s43, v54
	v_xor_b32_e32 v54, s42, v54
	v_and_b32_e32 v83, v83, v55
	v_and_b32_e32 v84, v84, v54
	;; [unrolled: 9-line block ×7, first 2 shown]
	v_mbcnt_lo_u32_b32 v82, v54, 0
	v_mbcnt_hi_u32_b32 v82, v55, v82
	v_cmp_ne_u64_e64 s[42:43], 0, v[54:55]
	v_cmp_eq_u32_e64 s[44:45], 0, v82
	s_and_b64 s[44:45], s[42:43], s[44:45]
	; wave barrier
	s_and_saveexec_b64 s[42:43], s[44:45]
	s_cbranch_execz .LBB1122_180
; %bb.179:                              ;   in Loop: Header=BB1122_172 Depth=1
	v_bcnt_u32_b32 v54, v54, 0
	v_bcnt_u32_b32 v54, v55, v54
	s_waitcnt lgkmcnt(0)
	v_add_u32_e32 v54, v80, v54
	ds_write_b32 v81, v54
.LBB1122_180:                           ;   in Loop: Header=BB1122_172 Depth=1
	s_or_b64 exec, exec, s[42:43]
	v_cmp_ne_u64_e64 s[42:43], s[60:61], v[30:31]
	v_cndmask_b32_e64 v55, v1, v31, s[42:43]
	v_cndmask_b32_e64 v54, -1, v30, s[42:43]
	v_lshrrev_b64 v[54:55], v10, v[54:55]
	; wave barrier
	v_and_b32_e32 v85, v54, v67
	v_lshl_add_u32 v54, v85, 2, v130
	v_lshl_add_u32 v54, v54, 2, v12
	v_add_u32_e32 v84, 16, v54
	ds_read_b32 v83, v54 offset:16
	v_and_b32_e32 v54, 1, v85
	v_add_co_u32_e64 v55, s[42:43], -1, v54
	v_addc_co_u32_e64 v86, s[42:43], 0, -1, s[42:43]
	v_cmp_ne_u32_e64 s[42:43], 0, v54
	v_xor_b32_e32 v54, s43, v86
	v_xor_b32_e32 v55, s42, v55
	v_and_b32_e32 v86, exec_hi, v54
	v_and_b32_e32 v87, exec_lo, v55
	v_lshlrev_b32_e32 v55, 30, v85
	v_mov_b32_e32 v54, v5
	v_cmp_gt_i64_e64 s[42:43], 0, v[54:55]
	v_not_b32_e32 v54, v55
	v_ashrrev_i32_e32 v54, 31, v54
	v_xor_b32_e32 v55, s43, v54
	v_xor_b32_e32 v54, s42, v54
	v_and_b32_e32 v86, v86, v55
	v_and_b32_e32 v87, v87, v54
	v_lshlrev_b32_e32 v55, 29, v85
	v_mov_b32_e32 v54, v5
	v_cmp_gt_i64_e64 s[42:43], 0, v[54:55]
	v_not_b32_e32 v54, v55
	v_ashrrev_i32_e32 v54, 31, v54
	v_xor_b32_e32 v55, s43, v54
	v_xor_b32_e32 v54, s42, v54
	v_and_b32_e32 v86, v86, v55
	v_and_b32_e32 v87, v87, v54
	;; [unrolled: 9-line block ×7, first 2 shown]
	v_mbcnt_lo_u32_b32 v85, v54, 0
	v_mbcnt_hi_u32_b32 v85, v55, v85
	v_cmp_ne_u64_e64 s[42:43], 0, v[54:55]
	v_cmp_eq_u32_e64 s[44:45], 0, v85
	s_and_b64 s[44:45], s[42:43], s[44:45]
	; wave barrier
	s_and_saveexec_b64 s[42:43], s[44:45]
	s_cbranch_execz .LBB1122_182
; %bb.181:                              ;   in Loop: Header=BB1122_172 Depth=1
	v_bcnt_u32_b32 v54, v54, 0
	v_bcnt_u32_b32 v54, v55, v54
	s_waitcnt lgkmcnt(0)
	v_add_u32_e32 v54, v83, v54
	ds_write_b32 v84, v54
.LBB1122_182:                           ;   in Loop: Header=BB1122_172 Depth=1
	s_or_b64 exec, exec, s[42:43]
	v_cmp_ne_u64_e64 s[42:43], s[60:61], v[28:29]
	v_cndmask_b32_e64 v55, v1, v29, s[42:43]
	v_cndmask_b32_e64 v54, -1, v28, s[42:43]
	v_lshrrev_b64 v[54:55], v10, v[54:55]
	; wave barrier
	v_and_b32_e32 v96, v54, v67
	v_lshl_add_u32 v54, v96, 2, v130
	v_lshl_add_u32 v54, v54, 2, v12
	v_add_u32_e32 v87, 16, v54
	ds_read_b32 v86, v54 offset:16
	v_and_b32_e32 v54, 1, v96
	v_add_co_u32_e64 v55, s[42:43], -1, v54
	v_addc_co_u32_e64 v97, s[42:43], 0, -1, s[42:43]
	v_cmp_ne_u32_e64 s[42:43], 0, v54
	v_xor_b32_e32 v54, s43, v97
	v_xor_b32_e32 v55, s42, v55
	v_and_b32_e32 v97, exec_hi, v54
	v_and_b32_e32 v98, exec_lo, v55
	v_lshlrev_b32_e32 v55, 30, v96
	v_mov_b32_e32 v54, v5
	v_cmp_gt_i64_e64 s[42:43], 0, v[54:55]
	v_not_b32_e32 v54, v55
	v_ashrrev_i32_e32 v54, 31, v54
	v_xor_b32_e32 v55, s43, v54
	v_xor_b32_e32 v54, s42, v54
	v_and_b32_e32 v97, v97, v55
	v_and_b32_e32 v98, v98, v54
	v_lshlrev_b32_e32 v55, 29, v96
	v_mov_b32_e32 v54, v5
	v_cmp_gt_i64_e64 s[42:43], 0, v[54:55]
	v_not_b32_e32 v54, v55
	v_ashrrev_i32_e32 v54, 31, v54
	v_xor_b32_e32 v55, s43, v54
	v_xor_b32_e32 v54, s42, v54
	v_and_b32_e32 v97, v97, v55
	v_and_b32_e32 v98, v98, v54
	;; [unrolled: 9-line block ×7, first 2 shown]
	v_mbcnt_lo_u32_b32 v96, v54, 0
	v_mbcnt_hi_u32_b32 v96, v55, v96
	v_cmp_ne_u64_e64 s[42:43], 0, v[54:55]
	v_cmp_eq_u32_e64 s[44:45], 0, v96
	s_and_b64 s[44:45], s[42:43], s[44:45]
	; wave barrier
	s_and_saveexec_b64 s[42:43], s[44:45]
	s_cbranch_execz .LBB1122_184
; %bb.183:                              ;   in Loop: Header=BB1122_172 Depth=1
	v_bcnt_u32_b32 v54, v54, 0
	v_bcnt_u32_b32 v54, v55, v54
	s_waitcnt lgkmcnt(0)
	v_add_u32_e32 v54, v86, v54
	ds_write_b32 v87, v54
.LBB1122_184:                           ;   in Loop: Header=BB1122_172 Depth=1
	s_or_b64 exec, exec, s[42:43]
	v_cmp_ne_u64_e64 s[42:43], s[60:61], v[26:27]
	v_cndmask_b32_e64 v55, v1, v27, s[42:43]
	v_cndmask_b32_e64 v54, -1, v26, s[42:43]
	v_lshrrev_b64 v[54:55], v10, v[54:55]
	; wave barrier
	v_and_b32_e32 v99, v54, v67
	v_lshl_add_u32 v54, v99, 2, v130
	v_lshl_add_u32 v54, v54, 2, v12
	v_add_u32_e32 v98, 16, v54
	ds_read_b32 v97, v54 offset:16
	v_and_b32_e32 v54, 1, v99
	v_add_co_u32_e64 v55, s[42:43], -1, v54
	v_addc_co_u32_e64 v100, s[42:43], 0, -1, s[42:43]
	v_cmp_ne_u32_e64 s[42:43], 0, v54
	v_xor_b32_e32 v54, s43, v100
	v_xor_b32_e32 v55, s42, v55
	v_and_b32_e32 v100, exec_hi, v54
	v_and_b32_e32 v101, exec_lo, v55
	v_lshlrev_b32_e32 v55, 30, v99
	v_mov_b32_e32 v54, v5
	v_cmp_gt_i64_e64 s[42:43], 0, v[54:55]
	v_not_b32_e32 v54, v55
	v_ashrrev_i32_e32 v54, 31, v54
	v_xor_b32_e32 v55, s43, v54
	v_xor_b32_e32 v54, s42, v54
	v_and_b32_e32 v100, v100, v55
	v_and_b32_e32 v101, v101, v54
	v_lshlrev_b32_e32 v55, 29, v99
	v_mov_b32_e32 v54, v5
	v_cmp_gt_i64_e64 s[42:43], 0, v[54:55]
	v_not_b32_e32 v54, v55
	v_ashrrev_i32_e32 v54, 31, v54
	v_xor_b32_e32 v55, s43, v54
	v_xor_b32_e32 v54, s42, v54
	v_and_b32_e32 v100, v100, v55
	v_and_b32_e32 v101, v101, v54
	;; [unrolled: 9-line block ×7, first 2 shown]
	v_mbcnt_lo_u32_b32 v99, v54, 0
	v_mbcnt_hi_u32_b32 v99, v55, v99
	v_cmp_ne_u64_e64 s[42:43], 0, v[54:55]
	v_cmp_eq_u32_e64 s[44:45], 0, v99
	s_and_b64 s[44:45], s[42:43], s[44:45]
	; wave barrier
	s_and_saveexec_b64 s[42:43], s[44:45]
	s_cbranch_execz .LBB1122_186
; %bb.185:                              ;   in Loop: Header=BB1122_172 Depth=1
	v_bcnt_u32_b32 v54, v54, 0
	v_bcnt_u32_b32 v54, v55, v54
	s_waitcnt lgkmcnt(0)
	v_add_u32_e32 v54, v97, v54
	ds_write_b32 v98, v54
.LBB1122_186:                           ;   in Loop: Header=BB1122_172 Depth=1
	s_or_b64 exec, exec, s[42:43]
	v_cmp_ne_u64_e64 s[42:43], s[60:61], v[24:25]
	v_cndmask_b32_e64 v55, v1, v25, s[42:43]
	v_cndmask_b32_e64 v54, -1, v24, s[42:43]
	v_lshrrev_b64 v[54:55], v10, v[54:55]
	; wave barrier
	v_and_b32_e32 v101, v54, v67
	v_lshl_add_u32 v54, v101, 2, v130
	v_lshl_add_u32 v54, v54, 2, v12
	v_add_u32_e32 v100, 16, v54
	ds_read_b32 v67, v54 offset:16
	v_and_b32_e32 v54, 1, v101
	v_add_co_u32_e64 v55, s[42:43], -1, v54
	v_addc_co_u32_e64 v102, s[42:43], 0, -1, s[42:43]
	v_cmp_ne_u32_e64 s[42:43], 0, v54
	v_xor_b32_e32 v54, s43, v102
	v_xor_b32_e32 v55, s42, v55
	v_and_b32_e32 v102, exec_hi, v54
	v_and_b32_e32 v103, exec_lo, v55
	v_lshlrev_b32_e32 v55, 30, v101
	v_mov_b32_e32 v54, v5
	v_cmp_gt_i64_e64 s[42:43], 0, v[54:55]
	v_not_b32_e32 v54, v55
	v_ashrrev_i32_e32 v54, 31, v54
	v_xor_b32_e32 v55, s43, v54
	v_xor_b32_e32 v54, s42, v54
	v_and_b32_e32 v102, v102, v55
	v_and_b32_e32 v103, v103, v54
	v_lshlrev_b32_e32 v55, 29, v101
	v_mov_b32_e32 v54, v5
	v_cmp_gt_i64_e64 s[42:43], 0, v[54:55]
	v_not_b32_e32 v54, v55
	v_ashrrev_i32_e32 v54, 31, v54
	v_xor_b32_e32 v55, s43, v54
	v_xor_b32_e32 v54, s42, v54
	v_and_b32_e32 v102, v102, v55
	v_and_b32_e32 v103, v103, v54
	;; [unrolled: 9-line block ×7, first 2 shown]
	v_mbcnt_lo_u32_b32 v101, v54, 0
	v_mbcnt_hi_u32_b32 v101, v55, v101
	v_cmp_ne_u64_e64 s[42:43], 0, v[54:55]
	v_cmp_eq_u32_e64 s[44:45], 0, v101
	s_and_b64 s[44:45], s[42:43], s[44:45]
	; wave barrier
	s_and_saveexec_b64 s[42:43], s[44:45]
	s_cbranch_execz .LBB1122_188
; %bb.187:                              ;   in Loop: Header=BB1122_172 Depth=1
	v_bcnt_u32_b32 v54, v54, 0
	v_bcnt_u32_b32 v54, v55, v54
	s_waitcnt lgkmcnt(0)
	v_add_u32_e32 v54, v67, v54
	ds_write_b32 v100, v54
.LBB1122_188:                           ;   in Loop: Header=BB1122_172 Depth=1
	s_or_b64 exec, exec, s[42:43]
	; wave barrier
	s_waitcnt lgkmcnt(0)
	s_barrier
	ds_read_b32 v102, v118
	ds_read_b32 v55, v119
	;; [unrolled: 1-line block ×4, first 2 shown]
	s_waitcnt lgkmcnt(2)
	v_add_u32_e32 v112, v55, v102
	s_waitcnt lgkmcnt(0)
	v_add3_u32 v103, v112, v54, v103
	s_nop 1
	v_mov_b32_dpp v112, v103 row_shr:1 row_mask:0xf bank_mask:0xf
	v_cndmask_b32_e64 v112, v112, 0, vcc
	v_add_u32_e32 v103, v112, v103
	s_nop 1
	v_mov_b32_dpp v112, v103 row_shr:2 row_mask:0xf bank_mask:0xf
	v_cndmask_b32_e64 v112, 0, v112, s[4:5]
	v_add_u32_e32 v103, v103, v112
	s_nop 1
	v_mov_b32_dpp v112, v103 row_shr:4 row_mask:0xf bank_mask:0xf
	v_cndmask_b32_e64 v112, 0, v112, s[6:7]
	;; [unrolled: 4-line block ×3, first 2 shown]
	v_add_u32_e32 v103, v103, v112
	s_nop 1
	v_mov_b32_dpp v112, v103 row_bcast:15 row_mask:0xf bank_mask:0xf
	v_cndmask_b32_e64 v112, v112, 0, s[40:41]
	v_add_u32_e32 v103, v103, v112
	s_nop 1
	v_mov_b32_dpp v112, v103 row_bcast:31 row_mask:0xf bank_mask:0xf
	v_cndmask_b32_e64 v112, 0, v112, s[14:15]
	v_add_u32_e32 v103, v103, v112
	s_and_saveexec_b64 s[42:43], s[16:17]
; %bb.189:                              ;   in Loop: Header=BB1122_172 Depth=1
	ds_write_b32 v132, v103
; %bb.190:                              ;   in Loop: Header=BB1122_172 Depth=1
	s_or_b64 exec, exec, s[42:43]
	s_waitcnt lgkmcnt(0)
	s_barrier
	s_and_saveexec_b64 s[42:43], s[18:19]
	s_cbranch_execz .LBB1122_192
; %bb.191:                              ;   in Loop: Header=BB1122_172 Depth=1
	ds_read_b32 v112, v133
	s_waitcnt lgkmcnt(0)
	s_nop 0
	v_mov_b32_dpp v113, v112 row_shr:1 row_mask:0xf bank_mask:0xf
	v_cndmask_b32_e64 v113, v113, 0, s[26:27]
	v_add_u32_e32 v112, v113, v112
	s_nop 1
	v_mov_b32_dpp v113, v112 row_shr:2 row_mask:0xf bank_mask:0xf
	v_cndmask_b32_e64 v113, 0, v113, s[28:29]
	v_add_u32_e32 v112, v112, v113
	ds_write_b32 v133, v112
.LBB1122_192:                           ;   in Loop: Header=BB1122_172 Depth=1
	s_or_b64 exec, exec, s[42:43]
	v_mov_b32_e32 v112, 0
	s_waitcnt lgkmcnt(0)
	s_barrier
	s_and_saveexec_b64 s[42:43], s[20:21]
; %bb.193:                              ;   in Loop: Header=BB1122_172 Depth=1
	ds_read_b32 v112, v134
; %bb.194:                              ;   in Loop: Header=BB1122_172 Depth=1
	s_or_b64 exec, exec, s[42:43]
	s_waitcnt lgkmcnt(0)
	v_add_u32_e32 v103, v112, v103
	ds_bpermute_b32 v103, v131, v103
	v_add_u32_e32 v10, 8, v10
	v_cmp_lt_u32_e64 s[42:43], v10, v11
	s_mov_b64 s[62:63], -1
                                        ; implicit-def: $vgpr114_vgpr115
                                        ; implicit-def: $vgpr116_vgpr117
	s_waitcnt lgkmcnt(0)
	v_cndmask_b32_e64 v103, v103, v112, s[22:23]
	v_cndmask_b32_e64 v103, v103, 0, s[24:25]
	v_add_u32_e32 v102, v103, v102
	v_add_u32_e32 v55, v102, v55
	;; [unrolled: 1-line block ×3, first 2 shown]
	ds_write_b32 v118, v103
	ds_write_b32 v119, v102
	;; [unrolled: 1-line block ×4, first 2 shown]
	s_waitcnt lgkmcnt(0)
	s_barrier
	ds_read_b32 v4, v4
	ds_read_b32 v54, v66
	ds_read_b32 v55, v70
                                        ; implicit-def: $vgpr102_vgpr103
                                        ; implicit-def: $vgpr112_vgpr113
	s_waitcnt lgkmcnt(2)
	v_add_u32_e32 v4, v4, v64
	s_waitcnt lgkmcnt(1)
	v_add3_u32 v54, v68, v65, v54
	s_waitcnt lgkmcnt(0)
	v_add3_u32 v64, v71, v69, v55
	ds_read_b32 v55, v81
	ds_read_b32 v65, v84
	;; [unrolled: 1-line block ×5, first 2 shown]
	s_waitcnt lgkmcnt(4)
	v_add3_u32 v66, v82, v80, v55
	v_mov_b32_e32 v55, v5
	v_lshlrev_b64 v[54:55], 3, v[54:55]
	s_waitcnt lgkmcnt(3)
	v_add3_u32 v68, v85, v83, v65
	v_mov_b32_e32 v65, v5
	v_add_co_u32_e64 v160, s[44:45], v12, v54
	v_lshlrev_b64 v[54:55], 3, v[64:65]
	s_waitcnt lgkmcnt(0)
	v_add3_u32 v82, v101, v67, v81
	v_mov_b32_e32 v67, v5
	v_add_co_u32_e64 v161, s[44:45], v12, v54
	v_lshlrev_b64 v[54:55], 3, v[66:67]
	v_add3_u32 v70, v96, v86, v69
	v_mov_b32_e32 v69, v5
	v_add_co_u32_e64 v162, s[44:45], v12, v54
	v_lshlrev_b64 v[54:55], 3, v[68:69]
	;; [unrolled: 4-line block ×3, first 2 shown]
	v_lshlrev_b64 v[83:84], 3, v[4:5]
	v_mov_b32_e32 v81, v5
	v_add_co_u32_e64 v164, s[44:45], v12, v54
	v_lshlrev_b64 v[54:55], 3, v[80:81]
	v_add_co_u32_e64 v4, s[44:45], v12, v83
	v_mov_b32_e32 v83, v5
	v_add_co_u32_e64 v165, s[44:45], v12, v54
	v_lshlrev_b64 v[54:55], 3, v[82:83]
	v_add_co_u32_e64 v166, s[44:45], v12, v54
                                        ; implicit-def: $vgpr54_vgpr55
                                        ; implicit-def: $vgpr64_vgpr65
                                        ; implicit-def: $vgpr66_vgpr67
                                        ; implicit-def: $vgpr68_vgpr69
                                        ; implicit-def: $vgpr70_vgpr71
                                        ; implicit-def: $vgpr80_vgpr81
                                        ; implicit-def: $vgpr82_vgpr83
                                        ; implicit-def: $vgpr86_vgpr87
                                        ; implicit-def: $vgpr84_vgpr85
                                        ; implicit-def: $vgpr96_vgpr97
                                        ; implicit-def: $vgpr98_vgpr99
                                        ; implicit-def: $vgpr100_vgpr101
	s_and_saveexec_b64 s[44:45], s[42:43]
	s_cbranch_execz .LBB1122_171
; %bb.195:                              ;   in Loop: Header=BB1122_172 Depth=1
	s_barrier
	ds_write_b64 v4, v[38:39]
	ds_write_b64 v160, v[36:37]
	;; [unrolled: 1-line block ×8, first 2 shown]
	s_waitcnt lgkmcnt(0)
	s_barrier
	ds_read_b64 v[84:85], v135
	ds_read_b64 v[96:97], v144
	;; [unrolled: 1-line block ×8, first 2 shown]
	s_waitcnt lgkmcnt(0)
	s_barrier
	ds_write_b64 v4, v[52:53]
	ds_write_b64 v160, v[50:51]
	;; [unrolled: 1-line block ×8, first 2 shown]
	s_waitcnt lgkmcnt(0)
	s_barrier
	ds_read_b64 v[54:55], v135
	ds_read_b64 v[64:65], v144
	ds_read_b64 v[66:67], v145
	ds_read_b64 v[68:69], v146
	ds_read_b64 v[70:71], v147
	ds_read_b64 v[80:81], v148
	ds_read_b64 v[82:83], v149
	ds_read_b64 v[86:87], v150
	v_add_u32_e32 v151, -8, v151
	s_xor_b64 s[62:63], exec, -1
	s_waitcnt lgkmcnt(0)
	s_barrier
	s_branch .LBB1122_171
.LBB1122_196:
	flat_load_dwordx2 v[118:119], v[4:5]
	s_or_b64 exec, exec, s[62:63]
                                        ; implicit-def: $vgpr128_vgpr129
	s_and_saveexec_b64 s[4:5], s[6:7]
	s_cbranch_execz .LBB1122_36
.LBB1122_197:
	flat_load_dwordx2 v[128:129], v[4:5] offset:512
	s_or_b64 exec, exec, s[4:5]
                                        ; implicit-def: $vgpr130_vgpr131
	s_and_saveexec_b64 s[4:5], s[10:11]
	s_cbranch_execz .LBB1122_37
.LBB1122_198:
	flat_load_dwordx2 v[130:131], v[4:5] offset:1024
	s_or_b64 exec, exec, s[4:5]
                                        ; implicit-def: $vgpr132_vgpr133
	s_and_saveexec_b64 s[4:5], s[56:57]
	s_cbranch_execz .LBB1122_38
.LBB1122_199:
	flat_load_dwordx2 v[132:133], v[4:5] offset:1536
	s_or_b64 exec, exec, s[4:5]
                                        ; implicit-def: $vgpr134_vgpr135
	s_and_saveexec_b64 s[4:5], s[14:15]
	s_cbranch_execz .LBB1122_39
.LBB1122_200:
	flat_load_dwordx2 v[134:135], v[4:5] offset:2048
	s_or_b64 exec, exec, s[4:5]
                                        ; implicit-def: $vgpr144_vgpr145
	s_and_saveexec_b64 s[4:5], s[16:17]
	s_cbranch_execz .LBB1122_40
.LBB1122_201:
	flat_load_dwordx2 v[144:145], v[4:5] offset:2560
	s_or_b64 exec, exec, s[4:5]
                                        ; implicit-def: $vgpr146_vgpr147
	s_and_saveexec_b64 s[4:5], s[18:19]
	s_cbranch_execz .LBB1122_41
.LBB1122_202:
	flat_load_dwordx2 v[146:147], v[4:5] offset:3072
	s_or_b64 exec, exec, s[4:5]
                                        ; implicit-def: $vgpr148_vgpr149
	s_and_saveexec_b64 s[4:5], s[20:21]
	s_cbranch_execz .LBB1122_42
.LBB1122_203:
	flat_load_dwordx2 v[148:149], v[4:5] offset:3584
	s_or_b64 exec, exec, s[4:5]
                                        ; implicit-def: $vgpr150_vgpr151
	s_and_saveexec_b64 s[4:5], s[22:23]
	s_cbranch_execz .LBB1122_43
.LBB1122_204:
	v_add_co_u32_e32 v52, vcc, 0x1000, v4
	v_addc_co_u32_e32 v53, vcc, 0, v5, vcc
	flat_load_dwordx2 v[150:151], v[52:53]
	s_or_b64 exec, exec, s[4:5]
                                        ; implicit-def: $vgpr160_vgpr161
	s_and_saveexec_b64 s[4:5], s[24:25]
	s_cbranch_execz .LBB1122_44
.LBB1122_205:
	v_add_co_u32_e32 v52, vcc, 0x1000, v4
	v_addc_co_u32_e32 v53, vcc, 0, v5, vcc
	flat_load_dwordx2 v[160:161], v[52:53] offset:512
	s_or_b64 exec, exec, s[4:5]
                                        ; implicit-def: $vgpr162_vgpr163
	s_and_saveexec_b64 s[4:5], s[26:27]
	s_cbranch_execz .LBB1122_45
.LBB1122_206:
	v_add_co_u32_e32 v52, vcc, 0x1000, v4
	v_addc_co_u32_e32 v53, vcc, 0, v5, vcc
	flat_load_dwordx2 v[162:163], v[52:53] offset:1024
	s_or_b64 exec, exec, s[4:5]
                                        ; implicit-def: $vgpr164_vgpr165
	s_and_saveexec_b64 s[4:5], s[28:29]
	s_cbranch_execz .LBB1122_46
.LBB1122_207:
	v_add_co_u32_e32 v52, vcc, 0x1000, v4
	v_addc_co_u32_e32 v53, vcc, 0, v5, vcc
	flat_load_dwordx2 v[164:165], v[52:53] offset:1536
	s_or_b64 exec, exec, s[4:5]
                                        ; implicit-def: $vgpr166_vgpr167
	s_and_saveexec_b64 s[4:5], s[40:41]
	s_cbranch_execz .LBB1122_47
.LBB1122_208:
	v_add_co_u32_e32 v52, vcc, 0x1000, v4
	v_addc_co_u32_e32 v53, vcc, 0, v5, vcc
	flat_load_dwordx2 v[166:167], v[52:53] offset:2048
	s_or_b64 exec, exec, s[4:5]
                                        ; implicit-def: $vgpr176_vgpr177
	s_and_saveexec_b64 s[4:5], s[42:43]
	s_cbranch_execz .LBB1122_48
.LBB1122_209:
	v_add_co_u32_e32 v52, vcc, 0x1000, v4
	v_addc_co_u32_e32 v53, vcc, 0, v5, vcc
	flat_load_dwordx2 v[176:177], v[52:53] offset:2560
	s_or_b64 exec, exec, s[4:5]
                                        ; implicit-def: $vgpr182_vgpr183
	s_and_saveexec_b64 s[4:5], s[44:45]
	s_cbranch_execz .LBB1122_49
.LBB1122_210:
	v_add_co_u32_e32 v52, vcc, 0x1000, v4
	v_addc_co_u32_e32 v53, vcc, 0, v5, vcc
	flat_load_dwordx2 v[182:183], v[52:53] offset:3072
	s_or_b64 exec, exec, s[4:5]
                                        ; implicit-def: $vgpr196_vgpr197
	s_and_saveexec_b64 s[4:5], s[46:47]
	s_cbranch_execnz .LBB1122_50
	s_branch .LBB1122_51
.LBB1122_211:
	flat_store_dwordx2 v[0:1], v[36:37]
	s_or_b64 exec, exec, s[62:63]
	s_and_saveexec_b64 s[4:5], s[6:7]
	s_cbranch_execz .LBB1122_127
.LBB1122_212:
	flat_store_dwordx2 v[0:1], v[38:39] offset:2048
	s_or_b64 exec, exec, s[4:5]
	s_and_saveexec_b64 s[4:5], s[10:11]
	s_cbranch_execz .LBB1122_128
.LBB1122_213:
	v_add_co_u32_e32 v2, vcc, 0x1000, v0
	v_addc_co_u32_e32 v3, vcc, 0, v1, vcc
	flat_store_dwordx2 v[2:3], v[32:33]
	s_or_b64 exec, exec, s[4:5]
	s_and_saveexec_b64 s[4:5], s[56:57]
	s_cbranch_execz .LBB1122_129
.LBB1122_214:
	v_add_co_u32_e32 v2, vcc, 0x1000, v0
	v_addc_co_u32_e32 v3, vcc, 0, v1, vcc
	flat_store_dwordx2 v[2:3], v[34:35] offset:2048
	s_or_b64 exec, exec, s[4:5]
	s_and_saveexec_b64 s[4:5], s[14:15]
	s_cbranch_execz .LBB1122_130
.LBB1122_215:
	v_add_co_u32_e32 v2, vcc, 0x2000, v0
	v_addc_co_u32_e32 v3, vcc, 0, v1, vcc
	flat_store_dwordx2 v[2:3], v[28:29]
	s_or_b64 exec, exec, s[4:5]
	s_and_saveexec_b64 s[4:5], s[16:17]
	s_cbranch_execz .LBB1122_131
.LBB1122_216:
	v_add_co_u32_e32 v2, vcc, 0x2000, v0
	v_addc_co_u32_e32 v3, vcc, 0, v1, vcc
	flat_store_dwordx2 v[2:3], v[30:31] offset:2048
	s_or_b64 exec, exec, s[4:5]
	s_and_saveexec_b64 s[4:5], s[18:19]
	s_cbranch_execz .LBB1122_132
.LBB1122_217:
	v_add_co_u32_e32 v2, vcc, 0x3000, v0
	v_addc_co_u32_e32 v3, vcc, 0, v1, vcc
	flat_store_dwordx2 v[2:3], v[24:25]
	s_or_b64 exec, exec, s[4:5]
	s_and_saveexec_b64 s[4:5], s[20:21]
	s_cbranch_execz .LBB1122_133
.LBB1122_218:
	v_add_co_u32_e32 v2, vcc, 0x3000, v0
	v_addc_co_u32_e32 v3, vcc, 0, v1, vcc
	flat_store_dwordx2 v[2:3], v[26:27] offset:2048
	s_or_b64 exec, exec, s[4:5]
	s_and_saveexec_b64 s[4:5], s[22:23]
	s_cbranch_execz .LBB1122_134
.LBB1122_219:
	v_add_co_u32_e32 v2, vcc, 0x4000, v0
	v_addc_co_u32_e32 v3, vcc, 0, v1, vcc
	flat_store_dwordx2 v[2:3], v[20:21]
	s_or_b64 exec, exec, s[4:5]
	s_and_saveexec_b64 s[4:5], s[24:25]
	s_cbranch_execz .LBB1122_135
.LBB1122_220:
	v_add_co_u32_e32 v2, vcc, 0x4000, v0
	v_addc_co_u32_e32 v3, vcc, 0, v1, vcc
	flat_store_dwordx2 v[2:3], v[22:23] offset:2048
	s_or_b64 exec, exec, s[4:5]
	s_and_saveexec_b64 s[4:5], s[26:27]
	s_cbranch_execz .LBB1122_136
.LBB1122_221:
	v_add_co_u32_e32 v2, vcc, 0x5000, v0
	v_addc_co_u32_e32 v3, vcc, 0, v1, vcc
	flat_store_dwordx2 v[2:3], v[16:17]
	s_or_b64 exec, exec, s[4:5]
	s_and_saveexec_b64 s[4:5], s[28:29]
	s_cbranch_execz .LBB1122_137
.LBB1122_222:
	v_add_co_u32_e32 v2, vcc, 0x5000, v0
	v_addc_co_u32_e32 v3, vcc, 0, v1, vcc
	flat_store_dwordx2 v[2:3], v[18:19] offset:2048
	s_or_b64 exec, exec, s[4:5]
	s_and_saveexec_b64 s[4:5], s[40:41]
	s_cbranch_execz .LBB1122_138
.LBB1122_223:
	v_add_co_u32_e32 v2, vcc, 0x6000, v0
	v_addc_co_u32_e32 v3, vcc, 0, v1, vcc
	flat_store_dwordx2 v[2:3], v[12:13]
	s_or_b64 exec, exec, s[4:5]
	s_and_saveexec_b64 s[4:5], s[42:43]
	s_cbranch_execz .LBB1122_139
.LBB1122_224:
	v_add_co_u32_e32 v2, vcc, 0x6000, v0
	v_addc_co_u32_e32 v3, vcc, 0, v1, vcc
	flat_store_dwordx2 v[2:3], v[14:15] offset:2048
	s_or_b64 exec, exec, s[4:5]
	s_and_saveexec_b64 s[4:5], s[44:45]
	s_cbranch_execz .LBB1122_140
.LBB1122_225:
	v_add_co_u32_e32 v2, vcc, 0x7000, v0
	v_addc_co_u32_e32 v3, vcc, 0, v1, vcc
	flat_store_dwordx2 v[2:3], v[8:9]
	s_or_b64 exec, exec, s[4:5]
	s_and_saveexec_b64 s[4:5], s[46:47]
	s_cbranch_execnz .LBB1122_141
	s_branch .LBB1122_142
.LBB1122_226:
	s_or_b64 exec, exec, s[56:57]
	v_lshl_add_u32 v1, v13, 3, v12
	s_barrier
	ds_write_b64 v4, v[38:39]
	ds_write_b64 v160, v[36:37]
	;; [unrolled: 1-line block ×8, first 2 shown]
	s_waitcnt lgkmcnt(0)
	s_barrier
	ds_read2st64_b64 v[36:39], v1 offset1:4
	ds_read2st64_b64 v[32:35], v1 offset0:8 offset1:12
	ds_read2st64_b64 v[28:31], v1 offset0:16 offset1:20
	;; [unrolled: 1-line block ×3, first 2 shown]
	s_waitcnt lgkmcnt(0)
	s_barrier
	ds_write_b64 v4, v[52:53]
	ds_write_b64 v160, v[50:51]
	;; [unrolled: 1-line block ×8, first 2 shown]
	s_waitcnt lgkmcnt(0)
	s_barrier
	ds_read2st64_b64 v[20:23], v1 offset1:4
	ds_read2st64_b64 v[16:19], v1 offset0:8 offset1:12
	ds_read2st64_b64 v[12:15], v1 offset0:16 offset1:20
	;; [unrolled: 1-line block ×3, first 2 shown]
	v_mov_b32_e32 v1, 0
	v_add_co_u32_e32 v4, vcc, v2, v48
	v_lshlrev_b64 v[1:2], 3, v[0:1]
	v_addc_co_u32_e32 v5, vcc, v3, v49, vcc
	v_add_co_u32_e32 v3, vcc, v4, v1
	v_addc_co_u32_e32 v4, vcc, v5, v2, vcc
	v_cmp_lt_u32_e64 s[4:5], v0, v246
	s_waitcnt lgkmcnt(0)
	s_barrier
	s_and_saveexec_b64 s[6:7], s[4:5]
	s_cbranch_execz .LBB1122_228
; %bb.227:
	v_cmp_gt_i64_e32 vcc, 0, v[36:37]
	v_bfrev_b32_e32 v5, -2
	v_ashrrev_i32_e32 v50, 31, v37
	v_cndmask_b32_e64 v5, v5, 0, vcc
	v_not_b32_e32 v50, v50
	v_xor_b32_e32 v37, v5, v37
	v_xor_b32_e32 v36, v50, v36
	flat_store_dwordx2 v[3:4], v[36:37]
.LBB1122_228:
	s_or_b64 exec, exec, s[6:7]
	v_add_u32_e32 v5, 0x100, v0
	v_cmp_lt_u32_e64 s[6:7], v5, v246
	s_and_saveexec_b64 s[10:11], s[6:7]
	s_cbranch_execz .LBB1122_230
; %bb.229:
	v_cmp_gt_i64_e32 vcc, 0, v[38:39]
	v_bfrev_b32_e32 v5, -2
	v_ashrrev_i32_e32 v36, 31, v39
	v_cndmask_b32_e64 v5, v5, 0, vcc
	v_not_b32_e32 v36, v36
	v_xor_b32_e32 v37, v5, v39
	v_xor_b32_e32 v36, v36, v38
	flat_store_dwordx2 v[3:4], v[36:37] offset:2048
.LBB1122_230:
	s_or_b64 exec, exec, s[10:11]
	v_add_u32_e32 v5, 0x200, v0
	v_cmp_lt_u32_e64 s[10:11], v5, v246
	s_and_saveexec_b64 s[14:15], s[10:11]
	s_cbranch_execz .LBB1122_232
; %bb.231:
	v_cmp_gt_i64_e32 vcc, 0, v[32:33]
	v_ashrrev_i32_e32 v36, 31, v33
	v_bfrev_b32_e32 v5, -2
	v_not_b32_e32 v36, v36
	v_cndmask_b32_e64 v5, v5, 0, vcc
	v_xor_b32_e32 v32, v36, v32
	v_add_co_u32_e32 v36, vcc, 0x1000, v3
	v_xor_b32_e32 v33, v5, v33
	v_addc_co_u32_e32 v37, vcc, 0, v4, vcc
	flat_store_dwordx2 v[36:37], v[32:33]
.LBB1122_232:
	s_or_b64 exec, exec, s[14:15]
	v_add_u32_e32 v5, 0x300, v0
	v_cmp_lt_u32_e64 s[22:23], v5, v246
	s_and_saveexec_b64 s[14:15], s[22:23]
	s_cbranch_execz .LBB1122_234
; %bb.233:
	v_cmp_gt_i64_e32 vcc, 0, v[34:35]
	v_ashrrev_i32_e32 v32, 31, v35
	v_bfrev_b32_e32 v5, -2
	v_not_b32_e32 v32, v32
	v_cndmask_b32_e64 v5, v5, 0, vcc
	v_xor_b32_e32 v32, v32, v34
	v_add_co_u32_e32 v34, vcc, 0x1000, v3
	v_xor_b32_e32 v33, v5, v35
	v_addc_co_u32_e32 v35, vcc, 0, v4, vcc
	flat_store_dwordx2 v[34:35], v[32:33] offset:2048
.LBB1122_234:
	s_or_b64 exec, exec, s[14:15]
	v_add_u32_e32 v5, 0x400, v0
	v_cmp_lt_u32_e64 s[14:15], v5, v246
	s_and_saveexec_b64 s[16:17], s[14:15]
	s_cbranch_execz .LBB1122_236
; %bb.235:
	v_cmp_gt_i64_e32 vcc, 0, v[28:29]
	v_ashrrev_i32_e32 v32, 31, v29
	v_bfrev_b32_e32 v5, -2
	v_not_b32_e32 v32, v32
	v_cndmask_b32_e64 v5, v5, 0, vcc
	v_xor_b32_e32 v28, v32, v28
	v_add_co_u32_e32 v32, vcc, 0x2000, v3
	v_xor_b32_e32 v29, v5, v29
	v_addc_co_u32_e32 v33, vcc, 0, v4, vcc
	flat_store_dwordx2 v[32:33], v[28:29]
.LBB1122_236:
	s_or_b64 exec, exec, s[16:17]
	v_add_u32_e32 v5, 0x500, v0
	v_cmp_lt_u32_e64 s[16:17], v5, v246
	s_and_saveexec_b64 s[18:19], s[16:17]
	s_cbranch_execz .LBB1122_238
; %bb.237:
	v_cmp_gt_i64_e32 vcc, 0, v[30:31]
	v_ashrrev_i32_e32 v28, 31, v31
	v_bfrev_b32_e32 v5, -2
	v_not_b32_e32 v28, v28
	v_cndmask_b32_e64 v5, v5, 0, vcc
	v_xor_b32_e32 v28, v28, v30
	v_add_co_u32_e32 v30, vcc, 0x2000, v3
	v_xor_b32_e32 v29, v5, v31
	v_addc_co_u32_e32 v31, vcc, 0, v4, vcc
	flat_store_dwordx2 v[30:31], v[28:29] offset:2048
.LBB1122_238:
	s_or_b64 exec, exec, s[18:19]
	v_add_u32_e32 v5, 0x600, v0
	v_cmp_lt_u32_e64 s[18:19], v5, v246
	s_and_saveexec_b64 s[20:21], s[18:19]
	s_cbranch_execz .LBB1122_240
; %bb.239:
	v_cmp_gt_i64_e32 vcc, 0, v[24:25]
	v_ashrrev_i32_e32 v28, 31, v25
	v_bfrev_b32_e32 v5, -2
	v_not_b32_e32 v28, v28
	v_cndmask_b32_e64 v5, v5, 0, vcc
	v_xor_b32_e32 v24, v28, v24
	v_add_co_u32_e32 v28, vcc, 0x3000, v3
	v_xor_b32_e32 v25, v5, v25
	v_addc_co_u32_e32 v29, vcc, 0, v4, vcc
	flat_store_dwordx2 v[28:29], v[24:25]
.LBB1122_240:
	s_or_b64 exec, exec, s[20:21]
	v_add_u32_e32 v0, 0x700, v0
	v_cmp_lt_u32_e64 s[20:21], v0, v246
	s_and_saveexec_b64 s[24:25], s[20:21]
	s_cbranch_execz .LBB1122_242
; %bb.241:
	v_cmp_gt_i64_e32 vcc, 0, v[26:27]
	v_bfrev_b32_e32 v0, -2
	v_ashrrev_i32_e32 v5, 31, v27
	v_cndmask_b32_e64 v0, v0, 0, vcc
	v_not_b32_e32 v5, v5
	v_add_co_u32_e32 v3, vcc, 0x3000, v3
	v_xor_b32_e32 v25, v0, v27
	v_xor_b32_e32 v24, v5, v26
	v_addc_co_u32_e32 v4, vcc, 0, v4, vcc
	flat_store_dwordx2 v[3:4], v[24:25] offset:2048
.LBB1122_242:
	s_or_b64 exec, exec, s[24:25]
	v_add_co_u32_e32 v0, vcc, v6, v48
	v_addc_co_u32_e32 v3, vcc, v7, v49, vcc
	v_add_co_u32_e32 v0, vcc, v0, v1
	v_addc_co_u32_e32 v1, vcc, v3, v2, vcc
	s_and_saveexec_b64 s[24:25], s[4:5]
	s_cbranch_execnz .LBB1122_292
; %bb.243:
	s_or_b64 exec, exec, s[24:25]
	s_and_saveexec_b64 s[4:5], s[6:7]
	s_cbranch_execnz .LBB1122_293
.LBB1122_244:
	s_or_b64 exec, exec, s[4:5]
	s_and_saveexec_b64 s[4:5], s[10:11]
	s_cbranch_execnz .LBB1122_294
.LBB1122_245:
	s_or_b64 exec, exec, s[4:5]
	s_and_saveexec_b64 s[4:5], s[22:23]
	s_cbranch_execnz .LBB1122_295
.LBB1122_246:
	s_or_b64 exec, exec, s[4:5]
	s_and_saveexec_b64 s[4:5], s[14:15]
	s_cbranch_execnz .LBB1122_296
.LBB1122_247:
	s_or_b64 exec, exec, s[4:5]
	s_and_saveexec_b64 s[4:5], s[16:17]
	s_cbranch_execnz .LBB1122_297
.LBB1122_248:
	s_or_b64 exec, exec, s[4:5]
	s_and_saveexec_b64 s[4:5], s[18:19]
	s_cbranch_execnz .LBB1122_298
.LBB1122_249:
	s_or_b64 exec, exec, s[4:5]
	s_and_saveexec_b64 s[4:5], s[20:21]
	s_cbranch_execz .LBB1122_251
.LBB1122_250:
	v_add_co_u32_e32 v0, vcc, 0x3000, v0
	v_addc_co_u32_e32 v1, vcc, 0, v1, vcc
	flat_store_dwordx2 v[0:1], v[10:11] offset:2048
.LBB1122_251:
	s_or_b64 exec, exec, s[4:5]
                                        ; implicit-def: $vgpr246
                                        ; implicit-def: $vgpr0
                                        ; implicit-def: $vgpr1
                                        ; implicit-def: $vgpr2
                                        ; implicit-def: $vgpr3
                                        ; implicit-def: $vgpr4
                                        ; implicit-def: $vgpr5
                                        ; implicit-def: $vgpr6
                                        ; implicit-def: $vgpr7
                                        ; implicit-def: $vgpr8
                                        ; implicit-def: $vgpr10
                                        ; implicit-def: $vgpr11
                                        ; implicit-def: $vgpr12
                                        ; implicit-def: $vgpr31
                                        ; implicit-def: $vgpr20
                                        ; implicit-def: $vgpr22
                                        ; implicit-def: $vgpr14
.LBB1122_252:
	s_andn2_saveexec_b64 s[4:5], s[46:47]
	s_cbranch_execz .LBB1122_372
; %bb.253:
	s_movk_i32 s4, 0x200
	v_cmp_lt_u32_e32 vcc, s4, v246
	s_and_saveexec_b64 s[4:5], vcc
	s_xor_b64 s[46:47], exec, s[4:5]
	s_cbranch_execz .LBB1122_313
; %bb.254:
	s_load_dwordx2 s[4:5], s[8:9], 0x0
	v_mov_b32_e32 v9, 0
	v_lshlrev_b64 v[24:25], 3, v[8:9]
	v_and_b32_e32 v21, 0x3ff, v31
	v_add_co_u32_e32 v8, vcc, v0, v24
	s_waitcnt lgkmcnt(0)
	s_cmp_lt_u32 s13, s5
	s_cselect_b32 s5, 14, 20
	s_add_u32 s6, s8, s5
	s_addc_u32 s7, s9, 0
	s_cmp_lt_u32 s12, s4
	s_cselect_b32 s4, 12, 18
	s_add_u32 s4, s8, s4
	global_load_ushort v23, v9, s[6:7]
	s_addc_u32 s5, s9, 0
	global_load_ushort v29, v9, s[4:5]
	v_addc_co_u32_e32 v30, vcc, v1, v25, vcc
	v_mbcnt_hi_u32_b32 v26, -1, v14
	v_and_b32_e32 v27, 63, v26
	v_lshlrev_b32_e32 v28, 3, v27
	v_mov_b32_e32 v13, -1
	v_mov_b32_e32 v14, v13
	v_mov_b32_e32 v15, v13
	;; [unrolled: 1-line block ×6, first 2 shown]
	s_waitcnt vmcnt(0)
	v_mad_u32_u24 v0, v22, v23, v20
	v_add_co_u32_e32 v20, vcc, v8, v28
	v_mad_u64_u32 v[0:1], s[4:5], v0, v29, v[21:22]
	v_addc_co_u32_e32 v29, vcc, 0, v30, vcc
	v_lshlrev_b32_e32 v1, 2, v0
	v_and_b32_e32 v8, 0xffffff00, v1
	v_lshlrev_b64 v[22:23], 3, v[8:9]
	v_or_b32_e32 v1, v8, v27
	v_add_co_u32_e64 v8, s[4:5], v20, v22
	v_cmp_lt_u32_e32 vcc, v1, v246
	v_addc_co_u32_e64 v9, s[4:5], v29, v23, s[4:5]
	v_mov_b32_e32 v20, v13
	s_and_saveexec_b64 s[4:5], vcc
	s_cbranch_execz .LBB1122_256
; %bb.255:
	flat_load_dwordx2 v[29:30], v[8:9]
	v_mov_b32_e32 v31, v13
	v_mov_b32_e32 v32, v13
	;; [unrolled: 1-line block ×6, first 2 shown]
	s_waitcnt vmcnt(0) lgkmcnt(0)
	v_mov_b32_e32 v13, v29
	v_mov_b32_e32 v14, v30
	;; [unrolled: 1-line block ×8, first 2 shown]
.LBB1122_256:
	s_or_b64 exec, exec, s[4:5]
	v_or_b32_e32 v29, 64, v1
	v_cmp_lt_u32_e64 s[4:5], v29, v246
	s_and_saveexec_b64 s[6:7], s[4:5]
	s_cbranch_execz .LBB1122_258
; %bb.257:
	flat_load_dwordx2 v[15:16], v[8:9] offset:512
.LBB1122_258:
	s_or_b64 exec, exec, s[6:7]
	v_or_b32_e32 v29, 0x80, v1
	v_cmp_lt_u32_e64 s[6:7], v29, v246
	s_and_saveexec_b64 s[10:11], s[6:7]
	s_cbranch_execz .LBB1122_260
; %bb.259:
	flat_load_dwordx2 v[17:18], v[8:9] offset:1024
.LBB1122_260:
	;; [unrolled: 8-line block ×3, first 2 shown]
	s_or_b64 exec, exec, s[14:15]
	v_add_co_u32_e64 v1, s[14:15], v4, v24
	v_addc_co_u32_e64 v4, s[14:15], v5, v25, s[14:15]
	v_add_co_u32_e64 v1, s[14:15], v1, v28
	v_addc_co_u32_e64 v5, s[14:15], 0, v4, s[14:15]
	;; [unrolled: 2-line block ×3, first 2 shown]
                                        ; implicit-def: $vgpr30_vgpr31
	s_and_saveexec_b64 s[14:15], vcc
	s_cbranch_execnz .LBB1122_337
; %bb.263:
	s_or_b64 exec, exec, s[14:15]
                                        ; implicit-def: $vgpr32_vgpr33
	s_and_saveexec_b64 s[14:15], s[4:5]
	s_cbranch_execnz .LBB1122_338
.LBB1122_264:
	s_or_b64 exec, exec, s[14:15]
                                        ; implicit-def: $vgpr34_vgpr35
	s_and_saveexec_b64 s[4:5], s[6:7]
	s_cbranch_execnz .LBB1122_339
.LBB1122_265:
	s_or_b64 exec, exec, s[4:5]
                                        ; implicit-def: $vgpr36_vgpr37
	s_and_saveexec_b64 s[4:5], s[10:11]
	s_cbranch_execz .LBB1122_267
.LBB1122_266:
	flat_load_dwordx2 v[36:37], v[4:5] offset:1536
.LBB1122_267:
	s_or_b64 exec, exec, s[4:5]
	v_ashrrev_i32_e32 v5, 31, v14
	v_not_b32_e32 v5, v5
	v_cmp_gt_i64_e32 vcc, 0, v[13:14]
	v_xor_b32_e32 v38, v5, v13
	s_waitcnt vmcnt(0) lgkmcnt(0)
	v_ashrrev_i32_e32 v5, 31, v16
	v_bfrev_b32_e32 v1, -2
	v_not_b32_e32 v5, v5
	v_cndmask_b32_e64 v4, v1, 0, vcc
	v_cmp_gt_i64_e32 vcc, 0, v[15:16]
	v_xor_b32_e32 v48, v5, v15
	v_ashrrev_i32_e32 v5, 31, v18
	v_not_b32_e32 v5, v5
	v_xor_b32_e32 v39, v4, v14
	v_cndmask_b32_e64 v4, v1, 0, vcc
	v_cmp_gt_i64_e32 vcc, 0, v[17:18]
	v_xor_b32_e32 v50, v5, v17
	v_ashrrev_i32_e32 v5, 31, v20
	v_not_b32_e32 v5, v5
	v_xor_b32_e32 v49, v4, v16
	v_cndmask_b32_e64 v4, v1, 0, vcc
	v_cmp_gt_i64_e32 vcc, 0, v[19:20]
	v_xor_b32_e32 v52, v5, v19
	v_lshl_add_u32 v5, v21, 4, v12
	s_getpc_b64 s[4:5]
	s_add_u32 s4, s4, _ZN7rocprim17ROCPRIM_400000_NS16block_radix_sortIdLj256ELj4ElLj1ELj1ELj8ELNS0_26block_radix_rank_algorithmE2ELNS0_18block_padding_hintE2ELNS0_4arch9wavefront6targetE1EE19radix_bits_per_passE@rel32@lo+4
	s_addc_u32 s5, s5, _ZN7rocprim17ROCPRIM_400000_NS16block_radix_sortIdLj256ELj4ElLj1ELj1ELj8ELNS0_26block_radix_rank_algorithmE2ELNS0_18block_padding_hintE2ELNS0_4arch9wavefront6targetE1EE19radix_bits_per_passE@rel32@hi+12
	v_add_u32_e32 v54, 16, v5
	v_add_u32_e32 v55, 20, v5
	;; [unrolled: 1-line block ×4, first 2 shown]
	v_and_b32_e32 v5, 15, v26
	v_xor_b32_e32 v51, v4, v18
	v_cndmask_b32_e64 v4, v1, 0, vcc
	s_load_dword s72, s[4:5], 0x0
	v_cmp_eq_u32_e32 vcc, 0, v5
	v_cmp_lt_u32_e64 s[4:5], 1, v5
	v_cmp_lt_u32_e64 s[6:7], 3, v5
	;; [unrolled: 1-line block ×3, first 2 shown]
	v_and_b32_e32 v5, 16, v26
	v_cmp_eq_u32_e64 s[40:41], 0, v5
	v_and_b32_e32 v5, 0x3c0, v21
	v_min_u32_e32 v5, 0xc0, v5
	v_or_b32_e32 v5, 63, v5
	v_cmp_eq_u32_e64 s[16:17], v21, v5
	v_subrev_co_u32_e64 v5, s[22:23], 1, v26
	v_and_b32_e32 v8, 64, v26
	v_cmp_lt_i32_e64 s[24:25], v5, v8
	v_cndmask_b32_e64 v5, v5, v26, s[24:25]
	v_xor_b32_e32 v53, v4, v20
	v_lshlrev_b32_e32 v4, 2, v21
	v_lshlrev_b32_e32 v67, 2, v5
	v_lshrrev_b32_e32 v5, 4, v21
	s_movk_i32 s42, 0xf00
	v_and_b32_e32 v5, 60, v5
	v_add_u32_e32 v69, v12, v4
	v_and_or_b32 v4, v4, s42, v27
	s_mov_b32 s60, 0
	v_add_u32_e32 v68, v12, v5
	v_and_b32_e32 v8, 3, v26
	v_lshl_add_u32 v71, v4, 3, v12
	s_mov_b64 s[56:57], 0
	s_brev_b32 s61, 1
	v_lshrrev_b32_e32 v66, 6, v0
	v_cmp_lt_u32_e64 s[14:15], 31, v26
	v_cmp_gt_u32_e64 s[18:19], 4, v21
	v_cmp_lt_u32_e64 s[20:21], 63, v21
	v_cmp_eq_u32_e64 s[24:25], 0, v21
	v_mov_b32_e32 v5, 0
	v_cmp_eq_u32_e64 s[26:27], 0, v8
	v_cmp_lt_u32_e64 s[28:29], 1, v8
	v_add_u32_e32 v70, -4, v68
	v_add_u32_e32 v80, 0x200, v71
	v_add_u32_e32 v81, 0x400, v71
	;; [unrolled: 1-line block ×3, first 2 shown]
	v_sub_u32_e32 v83, v11, v10
	s_waitcnt lgkmcnt(0)
	s_barrier
	s_branch .LBB1122_269
.LBB1122_268:                           ;   in Loop: Header=BB1122_269 Depth=1
	s_or_b64 exec, exec, s[44:45]
	s_and_b64 s[42:43], exec, s[62:63]
	s_or_b64 s[56:57], s[42:43], s[56:57]
	s_andn2_b64 exec, exec, s[56:57]
	s_cbranch_execz .LBB1122_299
.LBB1122_269:                           ; =>This Inner Loop Header: Depth=1
	v_mov_b32_e32 v22, v38
	v_mov_b32_e32 v23, v39
	v_cmp_ne_u64_e64 s[42:43], s[60:61], v[22:23]
	v_mov_b32_e32 v28, v30
	v_mov_b32_e32 v29, v31
	v_min_u32_e32 v4, s72, v83
	v_cndmask_b32_e64 v31, v1, v23, s[42:43]
	v_cndmask_b32_e64 v30, -1, v22, s[42:43]
	v_mov_b32_e32 v13, v34
	v_lshlrev_b32_e64 v4, v4, -1
	v_lshrrev_b64 v[30:31], v10, v[30:31]
	v_mov_b32_e32 v26, v32
	v_mov_b32_e32 v14, v35
	v_not_b32_e32 v35, v4
	v_mov_b32_e32 v27, v33
	v_and_b32_e32 v32, v30, v35
	v_lshl_add_u32 v4, v32, 2, v66
	v_lshlrev_b64 v[30:31], 2, v[4:5]
	v_mov_b32_e32 v15, v52
	v_add_co_u32_e64 v4, s[42:43], v12, v30
	v_add_co_u32_e64 v4, s[42:43], 16, v4
	v_and_b32_e32 v30, 1, v32
	v_add_co_u32_e64 v31, s[42:43], -1, v30
	v_addc_co_u32_e64 v33, s[42:43], 0, -1, s[42:43]
	v_cmp_ne_u32_e64 s[42:43], 0, v30
	v_xor_b32_e32 v30, s43, v33
	v_xor_b32_e32 v31, s42, v31
	v_and_b32_e32 v33, exec_hi, v30
	v_and_b32_e32 v34, exec_lo, v31
	v_lshlrev_b32_e32 v31, 30, v32
	v_mov_b32_e32 v30, v5
	v_cmp_gt_i64_e64 s[42:43], 0, v[30:31]
	v_not_b32_e32 v30, v31
	v_ashrrev_i32_e32 v30, 31, v30
	v_xor_b32_e32 v31, s43, v30
	v_xor_b32_e32 v30, s42, v30
	v_and_b32_e32 v33, v33, v31
	v_and_b32_e32 v34, v34, v30
	v_lshlrev_b32_e32 v31, 29, v32
	v_mov_b32_e32 v30, v5
	v_cmp_gt_i64_e64 s[42:43], 0, v[30:31]
	v_not_b32_e32 v30, v31
	v_ashrrev_i32_e32 v30, 31, v30
	v_xor_b32_e32 v31, s43, v30
	v_xor_b32_e32 v30, s42, v30
	v_and_b32_e32 v33, v33, v31
	v_and_b32_e32 v34, v34, v30
	;; [unrolled: 9-line block ×7, first 2 shown]
	v_mbcnt_lo_u32_b32 v32, v30, 0
	v_mbcnt_hi_u32_b32 v32, v31, v32
	v_cmp_ne_u64_e64 s[42:43], 0, v[30:31]
	v_mov_b32_e32 v17, v50
	v_mov_b32_e32 v19, v48
	;; [unrolled: 1-line block ×3, first 2 shown]
	v_cmp_eq_u32_e64 s[44:45], 0, v32
	v_mov_b32_e32 v16, v53
	v_mov_b32_e32 v18, v51
	;; [unrolled: 1-line block ×4, first 2 shown]
	s_and_b64 s[44:45], s[42:43], s[44:45]
	ds_write_b32 v54, v5
	ds_write_b32 v55, v5
	;; [unrolled: 1-line block ×4, first 2 shown]
	s_waitcnt lgkmcnt(0)
	s_barrier
	; wave barrier
	s_and_saveexec_b64 s[42:43], s[44:45]
; %bb.270:                              ;   in Loop: Header=BB1122_269 Depth=1
	v_bcnt_u32_b32 v30, v30, 0
	v_bcnt_u32_b32 v30, v31, v30
	ds_write_b32 v4, v30
; %bb.271:                              ;   in Loop: Header=BB1122_269 Depth=1
	s_or_b64 exec, exec, s[42:43]
	v_cmp_ne_u64_e64 s[42:43], s[60:61], v[19:20]
	v_cndmask_b32_e64 v31, v1, v20, s[42:43]
	v_cndmask_b32_e64 v30, -1, v19, s[42:43]
	v_lshrrev_b64 v[30:31], v10, v[30:31]
	; wave barrier
	v_and_b32_e32 v36, v30, v35
	v_lshl_add_u32 v30, v36, 2, v66
	v_lshl_add_u32 v30, v30, 2, v12
	v_add_u32_e32 v34, 16, v30
	ds_read_b32 v33, v30 offset:16
	v_and_b32_e32 v30, 1, v36
	v_add_co_u32_e64 v31, s[42:43], -1, v30
	v_addc_co_u32_e64 v37, s[42:43], 0, -1, s[42:43]
	v_cmp_ne_u32_e64 s[42:43], 0, v30
	v_xor_b32_e32 v30, s43, v37
	v_xor_b32_e32 v31, s42, v31
	v_and_b32_e32 v37, exec_hi, v30
	v_and_b32_e32 v38, exec_lo, v31
	v_lshlrev_b32_e32 v31, 30, v36
	v_mov_b32_e32 v30, v5
	v_cmp_gt_i64_e64 s[42:43], 0, v[30:31]
	v_not_b32_e32 v30, v31
	v_ashrrev_i32_e32 v30, 31, v30
	v_xor_b32_e32 v31, s43, v30
	v_xor_b32_e32 v30, s42, v30
	v_and_b32_e32 v37, v37, v31
	v_and_b32_e32 v38, v38, v30
	v_lshlrev_b32_e32 v31, 29, v36
	v_mov_b32_e32 v30, v5
	v_cmp_gt_i64_e64 s[42:43], 0, v[30:31]
	v_not_b32_e32 v30, v31
	v_ashrrev_i32_e32 v30, 31, v30
	v_xor_b32_e32 v31, s43, v30
	v_xor_b32_e32 v30, s42, v30
	v_and_b32_e32 v37, v37, v31
	v_and_b32_e32 v38, v38, v30
	;; [unrolled: 9-line block ×7, first 2 shown]
	v_mbcnt_lo_u32_b32 v36, v30, 0
	v_mbcnt_hi_u32_b32 v36, v31, v36
	v_cmp_ne_u64_e64 s[42:43], 0, v[30:31]
	v_cmp_eq_u32_e64 s[44:45], 0, v36
	s_and_b64 s[44:45], s[42:43], s[44:45]
	; wave barrier
	s_and_saveexec_b64 s[42:43], s[44:45]
	s_cbranch_execz .LBB1122_273
; %bb.272:                              ;   in Loop: Header=BB1122_269 Depth=1
	v_bcnt_u32_b32 v30, v30, 0
	v_bcnt_u32_b32 v30, v31, v30
	s_waitcnt lgkmcnt(0)
	v_add_u32_e32 v30, v33, v30
	ds_write_b32 v34, v30
.LBB1122_273:                           ;   in Loop: Header=BB1122_269 Depth=1
	s_or_b64 exec, exec, s[42:43]
	v_cmp_ne_u64_e64 s[42:43], s[60:61], v[17:18]
	v_cndmask_b32_e64 v31, v1, v18, s[42:43]
	v_cndmask_b32_e64 v30, -1, v17, s[42:43]
	v_lshrrev_b64 v[30:31], v10, v[30:31]
	; wave barrier
	v_and_b32_e32 v39, v30, v35
	v_lshl_add_u32 v30, v39, 2, v66
	v_lshl_add_u32 v30, v30, 2, v12
	v_add_u32_e32 v38, 16, v30
	ds_read_b32 v37, v30 offset:16
	v_and_b32_e32 v30, 1, v39
	v_add_co_u32_e64 v31, s[42:43], -1, v30
	v_addc_co_u32_e64 v48, s[42:43], 0, -1, s[42:43]
	v_cmp_ne_u32_e64 s[42:43], 0, v30
	v_xor_b32_e32 v30, s43, v48
	v_xor_b32_e32 v31, s42, v31
	v_and_b32_e32 v48, exec_hi, v30
	v_and_b32_e32 v49, exec_lo, v31
	v_lshlrev_b32_e32 v31, 30, v39
	v_mov_b32_e32 v30, v5
	v_cmp_gt_i64_e64 s[42:43], 0, v[30:31]
	v_not_b32_e32 v30, v31
	v_ashrrev_i32_e32 v30, 31, v30
	v_xor_b32_e32 v31, s43, v30
	v_xor_b32_e32 v30, s42, v30
	v_and_b32_e32 v48, v48, v31
	v_and_b32_e32 v49, v49, v30
	v_lshlrev_b32_e32 v31, 29, v39
	v_mov_b32_e32 v30, v5
	v_cmp_gt_i64_e64 s[42:43], 0, v[30:31]
	v_not_b32_e32 v30, v31
	v_ashrrev_i32_e32 v30, 31, v30
	v_xor_b32_e32 v31, s43, v30
	v_xor_b32_e32 v30, s42, v30
	v_and_b32_e32 v48, v48, v31
	v_and_b32_e32 v49, v49, v30
	;; [unrolled: 9-line block ×7, first 2 shown]
	v_mbcnt_lo_u32_b32 v39, v30, 0
	v_mbcnt_hi_u32_b32 v39, v31, v39
	v_cmp_ne_u64_e64 s[42:43], 0, v[30:31]
	v_cmp_eq_u32_e64 s[44:45], 0, v39
	s_and_b64 s[44:45], s[42:43], s[44:45]
	; wave barrier
	s_and_saveexec_b64 s[42:43], s[44:45]
	s_cbranch_execz .LBB1122_275
; %bb.274:                              ;   in Loop: Header=BB1122_269 Depth=1
	v_bcnt_u32_b32 v30, v30, 0
	v_bcnt_u32_b32 v30, v31, v30
	s_waitcnt lgkmcnt(0)
	v_add_u32_e32 v30, v37, v30
	ds_write_b32 v38, v30
.LBB1122_275:                           ;   in Loop: Header=BB1122_269 Depth=1
	s_or_b64 exec, exec, s[42:43]
	v_cmp_ne_u64_e64 s[42:43], s[60:61], v[15:16]
	v_cndmask_b32_e64 v31, v1, v16, s[42:43]
	v_cndmask_b32_e64 v30, -1, v15, s[42:43]
	v_lshrrev_b64 v[30:31], v10, v[30:31]
	; wave barrier
	v_and_b32_e32 v49, v30, v35
	v_lshl_add_u32 v30, v49, 2, v66
	v_lshl_add_u32 v30, v30, 2, v12
	v_add_u32_e32 v48, 16, v30
	ds_read_b32 v35, v30 offset:16
	v_and_b32_e32 v30, 1, v49
	v_add_co_u32_e64 v31, s[42:43], -1, v30
	v_addc_co_u32_e64 v50, s[42:43], 0, -1, s[42:43]
	v_cmp_ne_u32_e64 s[42:43], 0, v30
	v_xor_b32_e32 v30, s43, v50
	v_xor_b32_e32 v31, s42, v31
	v_and_b32_e32 v50, exec_hi, v30
	v_and_b32_e32 v51, exec_lo, v31
	v_lshlrev_b32_e32 v31, 30, v49
	v_mov_b32_e32 v30, v5
	v_cmp_gt_i64_e64 s[42:43], 0, v[30:31]
	v_not_b32_e32 v30, v31
	v_ashrrev_i32_e32 v30, 31, v30
	v_xor_b32_e32 v31, s43, v30
	v_xor_b32_e32 v30, s42, v30
	v_and_b32_e32 v50, v50, v31
	v_and_b32_e32 v51, v51, v30
	v_lshlrev_b32_e32 v31, 29, v49
	v_mov_b32_e32 v30, v5
	v_cmp_gt_i64_e64 s[42:43], 0, v[30:31]
	v_not_b32_e32 v30, v31
	v_ashrrev_i32_e32 v30, 31, v30
	v_xor_b32_e32 v31, s43, v30
	v_xor_b32_e32 v30, s42, v30
	v_and_b32_e32 v50, v50, v31
	v_and_b32_e32 v51, v51, v30
	;; [unrolled: 9-line block ×7, first 2 shown]
	v_mbcnt_lo_u32_b32 v49, v30, 0
	v_mbcnt_hi_u32_b32 v49, v31, v49
	v_cmp_ne_u64_e64 s[42:43], 0, v[30:31]
	v_cmp_eq_u32_e64 s[44:45], 0, v49
	s_and_b64 s[44:45], s[42:43], s[44:45]
	; wave barrier
	s_and_saveexec_b64 s[42:43], s[44:45]
	s_cbranch_execz .LBB1122_277
; %bb.276:                              ;   in Loop: Header=BB1122_269 Depth=1
	v_bcnt_u32_b32 v30, v30, 0
	v_bcnt_u32_b32 v30, v31, v30
	s_waitcnt lgkmcnt(0)
	v_add_u32_e32 v30, v35, v30
	ds_write_b32 v48, v30
.LBB1122_277:                           ;   in Loop: Header=BB1122_269 Depth=1
	s_or_b64 exec, exec, s[42:43]
	; wave barrier
	s_waitcnt lgkmcnt(0)
	s_barrier
	ds_read_b32 v50, v54
	ds_read_b32 v31, v55
	;; [unrolled: 1-line block ×4, first 2 shown]
	s_waitcnt lgkmcnt(2)
	v_add_u32_e32 v52, v31, v50
	s_waitcnt lgkmcnt(0)
	v_add3_u32 v51, v52, v30, v51
	s_nop 1
	v_mov_b32_dpp v52, v51 row_shr:1 row_mask:0xf bank_mask:0xf
	v_cndmask_b32_e64 v52, v52, 0, vcc
	v_add_u32_e32 v51, v52, v51
	s_nop 1
	v_mov_b32_dpp v52, v51 row_shr:2 row_mask:0xf bank_mask:0xf
	v_cndmask_b32_e64 v52, 0, v52, s[4:5]
	v_add_u32_e32 v51, v51, v52
	s_nop 1
	v_mov_b32_dpp v52, v51 row_shr:4 row_mask:0xf bank_mask:0xf
	v_cndmask_b32_e64 v52, 0, v52, s[6:7]
	v_add_u32_e32 v51, v51, v52
	s_nop 1
	v_mov_b32_dpp v52, v51 row_shr:8 row_mask:0xf bank_mask:0xf
	v_cndmask_b32_e64 v52, 0, v52, s[10:11]
	v_add_u32_e32 v51, v51, v52
	s_nop 1
	v_mov_b32_dpp v52, v51 row_bcast:15 row_mask:0xf bank_mask:0xf
	v_cndmask_b32_e64 v52, v52, 0, s[40:41]
	v_add_u32_e32 v51, v51, v52
	s_nop 1
	v_mov_b32_dpp v52, v51 row_bcast:31 row_mask:0xf bank_mask:0xf
	v_cndmask_b32_e64 v52, 0, v52, s[14:15]
	v_add_u32_e32 v51, v51, v52
	s_and_saveexec_b64 s[42:43], s[16:17]
; %bb.278:                              ;   in Loop: Header=BB1122_269 Depth=1
	ds_write_b32 v68, v51
; %bb.279:                              ;   in Loop: Header=BB1122_269 Depth=1
	s_or_b64 exec, exec, s[42:43]
	s_waitcnt lgkmcnt(0)
	s_barrier
	s_and_saveexec_b64 s[42:43], s[18:19]
	s_cbranch_execz .LBB1122_281
; %bb.280:                              ;   in Loop: Header=BB1122_269 Depth=1
	ds_read_b32 v52, v69
	s_waitcnt lgkmcnt(0)
	s_nop 0
	v_mov_b32_dpp v53, v52 row_shr:1 row_mask:0xf bank_mask:0xf
	v_cndmask_b32_e64 v53, v53, 0, s[26:27]
	v_add_u32_e32 v52, v53, v52
	s_nop 1
	v_mov_b32_dpp v53, v52 row_shr:2 row_mask:0xf bank_mask:0xf
	v_cndmask_b32_e64 v53, 0, v53, s[28:29]
	v_add_u32_e32 v52, v52, v53
	ds_write_b32 v69, v52
.LBB1122_281:                           ;   in Loop: Header=BB1122_269 Depth=1
	s_or_b64 exec, exec, s[42:43]
	v_mov_b32_e32 v52, 0
	s_waitcnt lgkmcnt(0)
	s_barrier
	s_and_saveexec_b64 s[42:43], s[20:21]
; %bb.282:                              ;   in Loop: Header=BB1122_269 Depth=1
	ds_read_b32 v52, v70
; %bb.283:                              ;   in Loop: Header=BB1122_269 Depth=1
	s_or_b64 exec, exec, s[42:43]
	s_waitcnt lgkmcnt(0)
	v_add_u32_e32 v51, v52, v51
	ds_bpermute_b32 v51, v67, v51
	v_add_u32_e32 v10, 8, v10
	v_cmp_lt_u32_e64 s[42:43], v10, v11
	s_mov_b64 s[62:63], -1
	s_waitcnt lgkmcnt(0)
	v_cndmask_b32_e64 v51, v51, v52, s[22:23]
	v_cndmask_b32_e64 v51, v51, 0, s[24:25]
	v_add_u32_e32 v50, v51, v50
	v_add_u32_e32 v31, v50, v31
	;; [unrolled: 1-line block ×3, first 2 shown]
	ds_write_b32 v54, v51
	ds_write_b32 v55, v50
	;; [unrolled: 1-line block ×4, first 2 shown]
	s_waitcnt lgkmcnt(0)
	s_barrier
	ds_read_b32 v4, v4
	ds_read_b32 v30, v34
	;; [unrolled: 1-line block ×4, first 2 shown]
	s_waitcnt lgkmcnt(0)
	v_add_u32_e32 v4, v4, v32
	v_add3_u32 v30, v36, v33, v30
	v_add3_u32 v32, v39, v37, v31
	v_mov_b32_e32 v31, v5
	v_lshlrev_b64 v[30:31], 3, v[30:31]
	v_add3_u32 v34, v49, v35, v34
	v_lshlrev_b64 v[35:36], 3, v[4:5]
	v_mov_b32_e32 v33, v5
	v_add_co_u32_e64 v84, s[44:45], v12, v30
	v_lshlrev_b64 v[30:31], 3, v[32:33]
	v_add_co_u32_e64 v4, s[44:45], v12, v35
	v_mov_b32_e32 v35, v5
	v_add_co_u32_e64 v85, s[44:45], v12, v30
	v_lshlrev_b64 v[30:31], 3, v[34:35]
                                        ; implicit-def: $vgpr52_vgpr53
                                        ; implicit-def: $vgpr50_vgpr51
                                        ; implicit-def: $vgpr48_vgpr49
                                        ; implicit-def: $vgpr38_vgpr39
                                        ; implicit-def: $vgpr32_vgpr33
                                        ; implicit-def: $vgpr34_vgpr35
                                        ; implicit-def: $vgpr36_vgpr37
	v_add_co_u32_e64 v86, s[44:45], v12, v30
                                        ; implicit-def: $vgpr30_vgpr31
	s_and_saveexec_b64 s[44:45], s[42:43]
	s_cbranch_execz .LBB1122_268
; %bb.284:                              ;   in Loop: Header=BB1122_269 Depth=1
	s_barrier
	ds_write_b64 v4, v[22:23]
	ds_write_b64 v84, v[19:20]
	;; [unrolled: 1-line block ×4, first 2 shown]
	s_waitcnt lgkmcnt(0)
	s_barrier
	ds_read_b64 v[38:39], v71
	ds_read_b64 v[48:49], v80
	;; [unrolled: 1-line block ×4, first 2 shown]
	s_waitcnt lgkmcnt(0)
	s_barrier
	ds_write_b64 v4, v[28:29]
	ds_write_b64 v84, v[26:27]
	;; [unrolled: 1-line block ×4, first 2 shown]
	s_waitcnt lgkmcnt(0)
	s_barrier
	ds_read_b64 v[30:31], v71
	ds_read_b64 v[32:33], v80
	;; [unrolled: 1-line block ×4, first 2 shown]
	v_add_u32_e32 v83, -8, v83
	s_xor_b64 s[62:63], exec, -1
	s_waitcnt lgkmcnt(0)
	s_barrier
	s_branch .LBB1122_268
.LBB1122_285:
	flat_load_dwordx2 v[54:55], v[4:5]
	s_or_b64 exec, exec, s[22:23]
                                        ; implicit-def: $vgpr64_vgpr65
	s_and_saveexec_b64 s[22:23], s[4:5]
	s_cbranch_execz .LBB1122_163
.LBB1122_286:
	flat_load_dwordx2 v[64:65], v[4:5] offset:512
	s_or_b64 exec, exec, s[22:23]
                                        ; implicit-def: $vgpr66_vgpr67
	s_and_saveexec_b64 s[4:5], s[6:7]
	s_cbranch_execz .LBB1122_164
.LBB1122_287:
	flat_load_dwordx2 v[66:67], v[4:5] offset:1024
	s_or_b64 exec, exec, s[4:5]
                                        ; implicit-def: $vgpr68_vgpr69
	s_and_saveexec_b64 s[4:5], s[10:11]
	s_cbranch_execz .LBB1122_165
.LBB1122_288:
	flat_load_dwordx2 v[68:69], v[4:5] offset:1536
	s_or_b64 exec, exec, s[4:5]
                                        ; implicit-def: $vgpr70_vgpr71
	s_and_saveexec_b64 s[4:5], s[20:21]
	s_cbranch_execz .LBB1122_166
.LBB1122_289:
	flat_load_dwordx2 v[70:71], v[4:5] offset:2048
	s_or_b64 exec, exec, s[4:5]
                                        ; implicit-def: $vgpr80_vgpr81
	s_and_saveexec_b64 s[4:5], s[14:15]
	s_cbranch_execz .LBB1122_167
.LBB1122_290:
	flat_load_dwordx2 v[80:81], v[4:5] offset:2560
	s_or_b64 exec, exec, s[4:5]
                                        ; implicit-def: $vgpr82_vgpr83
	s_and_saveexec_b64 s[4:5], s[16:17]
	s_cbranch_execz .LBB1122_168
.LBB1122_291:
	flat_load_dwordx2 v[82:83], v[4:5] offset:3072
	s_or_b64 exec, exec, s[4:5]
                                        ; implicit-def: $vgpr86_vgpr87
	s_and_saveexec_b64 s[4:5], s[18:19]
	s_cbranch_execnz .LBB1122_169
	s_branch .LBB1122_170
.LBB1122_292:
	flat_store_dwordx2 v[0:1], v[20:21]
	s_or_b64 exec, exec, s[24:25]
	s_and_saveexec_b64 s[4:5], s[6:7]
	s_cbranch_execz .LBB1122_244
.LBB1122_293:
	flat_store_dwordx2 v[0:1], v[22:23] offset:2048
	s_or_b64 exec, exec, s[4:5]
	s_and_saveexec_b64 s[4:5], s[10:11]
	s_cbranch_execz .LBB1122_245
.LBB1122_294:
	v_add_co_u32_e32 v2, vcc, 0x1000, v0
	v_addc_co_u32_e32 v3, vcc, 0, v1, vcc
	flat_store_dwordx2 v[2:3], v[16:17]
	s_or_b64 exec, exec, s[4:5]
	s_and_saveexec_b64 s[4:5], s[22:23]
	s_cbranch_execz .LBB1122_246
.LBB1122_295:
	v_add_co_u32_e32 v2, vcc, 0x1000, v0
	v_addc_co_u32_e32 v3, vcc, 0, v1, vcc
	flat_store_dwordx2 v[2:3], v[18:19] offset:2048
	s_or_b64 exec, exec, s[4:5]
	s_and_saveexec_b64 s[4:5], s[14:15]
	s_cbranch_execz .LBB1122_247
.LBB1122_296:
	v_add_co_u32_e32 v2, vcc, 0x2000, v0
	v_addc_co_u32_e32 v3, vcc, 0, v1, vcc
	flat_store_dwordx2 v[2:3], v[12:13]
	s_or_b64 exec, exec, s[4:5]
	s_and_saveexec_b64 s[4:5], s[16:17]
	s_cbranch_execz .LBB1122_248
.LBB1122_297:
	v_add_co_u32_e32 v2, vcc, 0x2000, v0
	v_addc_co_u32_e32 v3, vcc, 0, v1, vcc
	flat_store_dwordx2 v[2:3], v[14:15] offset:2048
	s_or_b64 exec, exec, s[4:5]
	s_and_saveexec_b64 s[4:5], s[18:19]
	s_cbranch_execz .LBB1122_249
.LBB1122_298:
	v_add_co_u32_e32 v2, vcc, 0x3000, v0
	v_addc_co_u32_e32 v3, vcc, 0, v1, vcc
	flat_store_dwordx2 v[2:3], v[8:9]
	s_or_b64 exec, exec, s[4:5]
	s_and_saveexec_b64 s[4:5], s[20:21]
	s_cbranch_execnz .LBB1122_250
	s_branch .LBB1122_251
.LBB1122_299:
	s_or_b64 exec, exec, s[56:57]
	v_lshl_add_u32 v1, v21, 3, v12
	s_barrier
	ds_write_b64 v4, v[22:23]
	ds_write_b64 v84, v[19:20]
	;; [unrolled: 1-line block ×4, first 2 shown]
	s_waitcnt lgkmcnt(0)
	s_barrier
	ds_read2st64_b64 v[20:23], v1 offset1:4
	ds_read2st64_b64 v[16:19], v1 offset0:8 offset1:12
	s_waitcnt lgkmcnt(0)
	s_barrier
	ds_write_b64 v4, v[28:29]
	ds_write_b64 v84, v[26:27]
	;; [unrolled: 1-line block ×4, first 2 shown]
	s_waitcnt lgkmcnt(0)
	s_barrier
	ds_read2st64_b64 v[12:15], v1 offset1:4
	ds_read2st64_b64 v[8:11], v1 offset0:8 offset1:12
	v_mov_b32_e32 v1, 0
	v_add_co_u32_e32 v4, vcc, v2, v24
	v_lshlrev_b64 v[1:2], 3, v[0:1]
	v_addc_co_u32_e32 v5, vcc, v3, v25, vcc
	v_add_co_u32_e32 v3, vcc, v4, v1
	v_addc_co_u32_e32 v4, vcc, v5, v2, vcc
	v_cmp_lt_u32_e64 s[4:5], v0, v246
	s_waitcnt lgkmcnt(0)
	s_barrier
	s_and_saveexec_b64 s[6:7], s[4:5]
	s_cbranch_execz .LBB1122_301
; %bb.300:
	v_cmp_gt_i64_e32 vcc, 0, v[20:21]
	v_bfrev_b32_e32 v5, -2
	v_ashrrev_i32_e32 v26, 31, v21
	v_cndmask_b32_e64 v5, v5, 0, vcc
	v_not_b32_e32 v26, v26
	v_xor_b32_e32 v21, v5, v21
	v_xor_b32_e32 v20, v26, v20
	flat_store_dwordx2 v[3:4], v[20:21]
.LBB1122_301:
	s_or_b64 exec, exec, s[6:7]
	v_add_u32_e32 v5, 0x100, v0
	v_cmp_lt_u32_e64 s[6:7], v5, v246
	s_and_saveexec_b64 s[10:11], s[6:7]
	s_cbranch_execz .LBB1122_303
; %bb.302:
	v_cmp_gt_i64_e32 vcc, 0, v[22:23]
	v_bfrev_b32_e32 v5, -2
	v_ashrrev_i32_e32 v20, 31, v23
	v_cndmask_b32_e64 v5, v5, 0, vcc
	v_not_b32_e32 v20, v20
	v_xor_b32_e32 v21, v5, v23
	v_xor_b32_e32 v20, v20, v22
	flat_store_dwordx2 v[3:4], v[20:21] offset:2048
.LBB1122_303:
	s_or_b64 exec, exec, s[10:11]
	v_add_u32_e32 v5, 0x200, v0
	v_cmp_lt_u32_e64 s[10:11], v5, v246
	s_and_saveexec_b64 s[14:15], s[10:11]
	s_cbranch_execz .LBB1122_305
; %bb.304:
	v_cmp_gt_i64_e32 vcc, 0, v[16:17]
	v_ashrrev_i32_e32 v20, 31, v17
	v_bfrev_b32_e32 v5, -2
	v_not_b32_e32 v20, v20
	v_cndmask_b32_e64 v5, v5, 0, vcc
	v_xor_b32_e32 v16, v20, v16
	v_add_co_u32_e32 v20, vcc, 0x1000, v3
	v_xor_b32_e32 v17, v5, v17
	v_addc_co_u32_e32 v21, vcc, 0, v4, vcc
	flat_store_dwordx2 v[20:21], v[16:17]
.LBB1122_305:
	s_or_b64 exec, exec, s[14:15]
	v_add_u32_e32 v0, 0x300, v0
	v_cmp_lt_u32_e64 s[14:15], v0, v246
	s_and_saveexec_b64 s[16:17], s[14:15]
	s_cbranch_execz .LBB1122_307
; %bb.306:
	v_cmp_gt_i64_e32 vcc, 0, v[18:19]
	v_bfrev_b32_e32 v0, -2
	v_ashrrev_i32_e32 v5, 31, v19
	v_cndmask_b32_e64 v0, v0, 0, vcc
	v_not_b32_e32 v5, v5
	v_add_co_u32_e32 v3, vcc, 0x1000, v3
	v_xor_b32_e32 v17, v0, v19
	v_xor_b32_e32 v16, v5, v18
	v_addc_co_u32_e32 v4, vcc, 0, v4, vcc
	flat_store_dwordx2 v[3:4], v[16:17] offset:2048
.LBB1122_307:
	s_or_b64 exec, exec, s[16:17]
	v_add_co_u32_e32 v0, vcc, v6, v24
	v_addc_co_u32_e32 v3, vcc, v7, v25, vcc
	v_add_co_u32_e32 v0, vcc, v0, v1
	v_addc_co_u32_e32 v1, vcc, v3, v2, vcc
	s_and_saveexec_b64 s[16:17], s[4:5]
	s_cbranch_execnz .LBB1122_340
; %bb.308:
	s_or_b64 exec, exec, s[16:17]
	s_and_saveexec_b64 s[4:5], s[6:7]
	s_cbranch_execnz .LBB1122_341
.LBB1122_309:
	s_or_b64 exec, exec, s[4:5]
	s_and_saveexec_b64 s[4:5], s[10:11]
	s_cbranch_execnz .LBB1122_342
.LBB1122_310:
	s_or_b64 exec, exec, s[4:5]
	s_and_saveexec_b64 s[4:5], s[14:15]
	s_cbranch_execz .LBB1122_312
.LBB1122_311:
	v_add_co_u32_e32 v0, vcc, 0x1000, v0
	v_addc_co_u32_e32 v1, vcc, 0, v1, vcc
	flat_store_dwordx2 v[0:1], v[10:11] offset:2048
.LBB1122_312:
	s_or_b64 exec, exec, s[4:5]
                                        ; implicit-def: $vgpr246
                                        ; implicit-def: $vgpr0
                                        ; implicit-def: $vgpr1
                                        ; implicit-def: $vgpr2
                                        ; implicit-def: $vgpr3
                                        ; implicit-def: $vgpr4
                                        ; implicit-def: $vgpr5
                                        ; implicit-def: $vgpr6
                                        ; implicit-def: $vgpr7
                                        ; implicit-def: $vgpr8
                                        ; implicit-def: $vgpr10
                                        ; implicit-def: $vgpr11
                                        ; implicit-def: $vgpr12
                                        ; implicit-def: $vgpr31
                                        ; implicit-def: $vgpr20
                                        ; implicit-def: $vgpr22
                                        ; implicit-def: $vgpr14
.LBB1122_313:
	s_andn2_saveexec_b64 s[4:5], s[46:47]
	s_cbranch_execz .LBB1122_372
; %bb.314:
	s_load_dwordx2 s[4:5], s[8:9], 0x0
	v_mov_b32_e32 v9, 0
	v_and_b32_e32 v21, 0x3ff, v31
	v_lshlrev_b64 v[17:18], 3, v[8:9]
	s_waitcnt lgkmcnt(0)
	s_cmp_lt_u32 s13, s5
	s_cselect_b32 s5, 14, 20
	s_add_u32 s6, s8, s5
	s_addc_u32 s7, s9, 0
	s_cmp_lt_u32 s12, s4
	s_cselect_b32 s4, 12, 18
	s_add_u32 s4, s8, s4
	global_load_ushort v13, v9, s[6:7]
	s_addc_u32 s5, s9, 0
	global_load_ushort v15, v9, s[4:5]
	s_waitcnt vmcnt(0)
	v_mad_u32_u24 v13, v22, v13, v20
	v_mad_u64_u32 v[19:20], s[4:5], v13, v15, v[21:22]
	s_movk_i32 s4, 0x100
	v_cmp_lt_u32_e32 vcc, s4, v246
	s_and_saveexec_b64 s[4:5], vcc
	s_xor_b64 s[42:43], exec, s[4:5]
	s_cbranch_execz .LBB1122_352
; %bb.315:
	v_mbcnt_hi_u32_b32 v38, -1, v14
	v_add_co_u32_e32 v0, vcc, v0, v17
	v_and_b32_e32 v39, 63, v38
	v_addc_co_u32_e32 v1, vcc, v1, v18, vcc
	v_lshlrev_b32_e32 v8, 1, v19
	v_lshlrev_b32_e32 v20, 3, v39
	v_and_b32_e32 v8, 0xffffff80, v8
	v_add_co_u32_e32 v13, vcc, v0, v20
	v_addc_co_u32_e32 v14, vcc, 0, v1, vcc
	v_lshlrev_b64 v[0:1], 3, v[8:9]
	v_or_b32_e32 v8, v39, v8
	v_add_co_u32_e32 v22, vcc, v13, v0
	v_addc_co_u32_e32 v23, vcc, v14, v1, vcc
	v_mov_b32_e32 v13, -1
	v_cmp_lt_u32_e32 vcc, v8, v246
	v_mov_b32_e32 v14, v13
	v_mov_b32_e32 v15, v13
	;; [unrolled: 1-line block ×3, first 2 shown]
	s_and_saveexec_b64 s[4:5], vcc
	s_cbranch_execz .LBB1122_317
; %bb.316:
	flat_load_dwordx2 v[24:25], v[22:23]
	v_mov_b32_e32 v26, v13
	v_mov_b32_e32 v27, v13
	s_waitcnt vmcnt(0) lgkmcnt(0)
	v_mov_b32_e32 v13, v24
	v_mov_b32_e32 v14, v25
	v_mov_b32_e32 v15, v26
	v_mov_b32_e32 v16, v27
.LBB1122_317:
	s_or_b64 exec, exec, s[4:5]
	v_or_b32_e32 v8, 64, v8
	v_cmp_lt_u32_e64 s[4:5], v8, v246
	s_and_saveexec_b64 s[6:7], s[4:5]
	s_cbranch_execz .LBB1122_319
; %bb.318:
	flat_load_dwordx2 v[15:16], v[22:23] offset:512
.LBB1122_319:
	s_or_b64 exec, exec, s[6:7]
	v_add_co_u32_e64 v4, s[6:7], v4, v17
	v_addc_co_u32_e64 v5, s[6:7], v5, v18, s[6:7]
	v_add_co_u32_e64 v4, s[6:7], v4, v20
	v_addc_co_u32_e64 v5, s[6:7], 0, v5, s[6:7]
	v_mov_b32_e32 v24, 0
	v_mov_b32_e32 v22, 0
	v_add_co_u32_e64 v0, s[6:7], v4, v0
	v_mov_b32_e32 v25, 0
	v_mov_b32_e32 v23, 0
	v_addc_co_u32_e64 v1, s[6:7], v5, v1, s[6:7]
	s_and_saveexec_b64 s[6:7], vcc
	s_cbranch_execz .LBB1122_321
; %bb.320:
	flat_load_dwordx2 v[22:23], v[0:1]
.LBB1122_321:
	s_or_b64 exec, exec, s[6:7]
	s_and_saveexec_b64 s[6:7], s[4:5]
	s_cbranch_execz .LBB1122_323
; %bb.322:
	flat_load_dwordx2 v[24:25], v[0:1] offset:512
.LBB1122_323:
	s_or_b64 exec, exec, s[6:7]
	v_cmp_gt_i64_e32 vcc, 0, v[13:14]
	v_bfrev_b32_e32 v20, -2
	v_cndmask_b32_e64 v0, v20, 0, vcc
	s_waitcnt vmcnt(0) lgkmcnt(0)
	v_cmp_gt_i64_e32 vcc, 0, v[15:16]
	v_xor_b32_e32 v27, v0, v14
	v_cndmask_b32_e64 v0, v20, 0, vcc
	v_xor_b32_e32 v29, v0, v16
	v_lshl_add_u32 v0, v21, 4, v12
	s_getpc_b64 s[4:5]
	s_add_u32 s4, s4, _ZN7rocprim17ROCPRIM_400000_NS16block_radix_sortIdLj256ELj2ElLj1ELj1ELj8ELNS0_26block_radix_rank_algorithmE2ELNS0_18block_padding_hintE2ELNS0_4arch9wavefront6targetE1EE19radix_bits_per_passE@rel32@lo+4
	s_addc_u32 s5, s5, _ZN7rocprim17ROCPRIM_400000_NS16block_radix_sortIdLj256ELj2ElLj1ELj1ELj8ELNS0_26block_radix_rank_algorithmE2ELNS0_18block_padding_hintE2ELNS0_4arch9wavefront6targetE1EE19radix_bits_per_passE@rel32@hi+12
	v_add_u32_e32 v30, 16, v0
	v_add_u32_e32 v31, 20, v0
	v_add_u32_e32 v32, 24, v0
	v_add_u32_e32 v33, 28, v0
	v_and_b32_e32 v0, 15, v38
	v_ashrrev_i32_e32 v1, 31, v14
	s_load_dword s60, s[4:5], 0x0
	v_cmp_eq_u32_e32 vcc, 0, v0
	v_cmp_lt_u32_e64 s[4:5], 1, v0
	v_cmp_lt_u32_e64 s[6:7], 3, v0
	;; [unrolled: 1-line block ×3, first 2 shown]
	v_and_b32_e32 v0, 16, v38
	v_not_b32_e32 v1, v1
	v_cmp_eq_u32_e64 s[10:11], 0, v0
	v_and_b32_e32 v0, 0x3c0, v21
	v_xor_b32_e32 v26, v1, v13
	v_ashrrev_i32_e32 v1, 31, v16
	v_min_u32_e32 v0, 0xc0, v0
	v_not_b32_e32 v1, v1
	v_or_b32_e32 v0, 63, v0
	v_xor_b32_e32 v28, v1, v15
	v_cmp_eq_u32_e64 s[14:15], v21, v0
	v_subrev_co_u32_e64 v0, s[20:21], 1, v38
	v_and_b32_e32 v1, 64, v38
	v_cmp_lt_i32_e64 s[22:23], v0, v1
	v_cndmask_b32_e64 v0, v0, v38, s[22:23]
	v_lshlrev_b32_e32 v35, 2, v0
	v_lshrrev_b32_e32 v0, 4, v21
	v_and_b32_e32 v0, 60, v0
	v_add_u32_e32 v36, v12, v0
	v_and_b32_e32 v0, 3, v38
	v_cmp_eq_u32_e64 s[24:25], 0, v0
	v_cmp_lt_u32_e64 s[26:27], 1, v0
	v_lshlrev_b32_e32 v0, 1, v21
	s_movk_i32 s28, 0x780
	v_and_or_b32 v0, v0, s28, v39
	s_mov_b32 s46, 0
	v_lshl_add_u32 v39, v0, 3, v12
	s_mov_b64 s[44:45], 0
	s_brev_b32 s47, 1
	v_lshrrev_b32_e32 v34, 6, v19
	v_cmp_lt_u32_e64 s[12:13], 31, v38
	v_cmp_gt_u32_e64 s[16:17], 4, v21
	v_cmp_lt_u32_e64 s[18:19], 63, v21
	v_cmp_eq_u32_e64 s[22:23], 0, v21
	v_mov_b32_e32 v1, 0
	v_lshl_add_u32 v37, v21, 2, v12
	v_add_u32_e32 v38, -4, v36
	v_add_u32_e32 v48, 0x200, v39
	v_sub_u32_e32 v49, v11, v10
	s_waitcnt lgkmcnt(0)
	s_barrier
	s_branch .LBB1122_325
.LBB1122_324:                           ;   in Loop: Header=BB1122_325 Depth=1
	s_or_b64 exec, exec, s[40:41]
	s_and_b64 s[28:29], exec, s[56:57]
	s_or_b64 s[44:45], s[28:29], s[44:45]
	s_andn2_b64 exec, exec, s[44:45]
	s_cbranch_execz .LBB1122_343
.LBB1122_325:                           ; =>This Inner Loop Header: Depth=1
	v_mov_b32_e32 v15, v26
	v_mov_b32_e32 v16, v27
	v_cmp_ne_u64_e64 s[28:29], s[46:47], v[15:16]
	v_mov_b32_e32 v8, v22
	v_mov_b32_e32 v9, v23
	v_min_u32_e32 v0, s60, v49
	v_cndmask_b32_e64 v23, v20, v16, s[28:29]
	v_cndmask_b32_e64 v22, -1, v15, s[28:29]
	v_mov_b32_e32 v4, v24
	v_lshlrev_b32_e64 v0, v0, -1
	v_lshrrev_b64 v[22:23], v10, v[22:23]
	v_mov_b32_e32 v5, v25
	v_not_b32_e32 v25, v0
	v_and_b32_e32 v24, v22, v25
	v_lshl_add_u32 v0, v24, 2, v34
	v_lshlrev_b64 v[22:23], 2, v[0:1]
	v_mov_b32_e32 v13, v28
	v_add_co_u32_e64 v0, s[28:29], v12, v22
	v_add_co_u32_e64 v0, s[28:29], 16, v0
	v_and_b32_e32 v22, 1, v24
	v_add_co_u32_e64 v23, s[28:29], -1, v22
	v_addc_co_u32_e64 v26, s[28:29], 0, -1, s[28:29]
	v_cmp_ne_u32_e64 s[28:29], 0, v22
	v_xor_b32_e32 v22, s29, v26
	v_xor_b32_e32 v23, s28, v23
	v_and_b32_e32 v26, exec_hi, v22
	v_and_b32_e32 v27, exec_lo, v23
	v_lshlrev_b32_e32 v23, 30, v24
	v_mov_b32_e32 v22, v1
	v_cmp_gt_i64_e64 s[28:29], 0, v[22:23]
	v_not_b32_e32 v22, v23
	v_ashrrev_i32_e32 v22, 31, v22
	v_xor_b32_e32 v23, s29, v22
	v_xor_b32_e32 v22, s28, v22
	v_and_b32_e32 v26, v26, v23
	v_and_b32_e32 v27, v27, v22
	v_lshlrev_b32_e32 v23, 29, v24
	v_mov_b32_e32 v22, v1
	v_cmp_gt_i64_e64 s[28:29], 0, v[22:23]
	v_not_b32_e32 v22, v23
	v_ashrrev_i32_e32 v22, 31, v22
	v_xor_b32_e32 v23, s29, v22
	v_xor_b32_e32 v22, s28, v22
	v_and_b32_e32 v26, v26, v23
	v_and_b32_e32 v27, v27, v22
	;; [unrolled: 9-line block ×7, first 2 shown]
	v_mbcnt_lo_u32_b32 v24, v22, 0
	v_mbcnt_hi_u32_b32 v24, v23, v24
	v_cmp_ne_u64_e64 s[28:29], 0, v[22:23]
	v_cmp_eq_u32_e64 s[40:41], 0, v24
	v_mov_b32_e32 v14, v29
	s_and_b64 s[40:41], s[28:29], s[40:41]
	ds_write_b32 v30, v1
	ds_write_b32 v31, v1
	;; [unrolled: 1-line block ×4, first 2 shown]
	s_waitcnt lgkmcnt(0)
	s_barrier
	; wave barrier
	s_and_saveexec_b64 s[28:29], s[40:41]
; %bb.326:                              ;   in Loop: Header=BB1122_325 Depth=1
	v_bcnt_u32_b32 v22, v22, 0
	v_bcnt_u32_b32 v22, v23, v22
	ds_write_b32 v0, v22
; %bb.327:                              ;   in Loop: Header=BB1122_325 Depth=1
	s_or_b64 exec, exec, s[28:29]
	v_cmp_ne_u64_e64 s[28:29], s[46:47], v[13:14]
	v_cndmask_b32_e64 v23, v20, v14, s[28:29]
	v_cndmask_b32_e64 v22, -1, v13, s[28:29]
	v_lshrrev_b64 v[22:23], v10, v[22:23]
	; wave barrier
	v_and_b32_e32 v27, v22, v25
	v_lshl_add_u32 v22, v27, 2, v34
	v_lshl_add_u32 v22, v22, 2, v12
	v_add_u32_e32 v26, 16, v22
	ds_read_b32 v25, v22 offset:16
	v_and_b32_e32 v22, 1, v27
	v_add_co_u32_e64 v23, s[28:29], -1, v22
	v_addc_co_u32_e64 v28, s[28:29], 0, -1, s[28:29]
	v_cmp_ne_u32_e64 s[28:29], 0, v22
	v_xor_b32_e32 v22, s29, v28
	v_xor_b32_e32 v23, s28, v23
	v_and_b32_e32 v28, exec_hi, v22
	v_and_b32_e32 v29, exec_lo, v23
	v_lshlrev_b32_e32 v23, 30, v27
	v_mov_b32_e32 v22, v1
	v_cmp_gt_i64_e64 s[28:29], 0, v[22:23]
	v_not_b32_e32 v22, v23
	v_ashrrev_i32_e32 v22, 31, v22
	v_xor_b32_e32 v23, s29, v22
	v_xor_b32_e32 v22, s28, v22
	v_and_b32_e32 v28, v28, v23
	v_and_b32_e32 v29, v29, v22
	v_lshlrev_b32_e32 v23, 29, v27
	v_mov_b32_e32 v22, v1
	v_cmp_gt_i64_e64 s[28:29], 0, v[22:23]
	v_not_b32_e32 v22, v23
	v_ashrrev_i32_e32 v22, 31, v22
	v_xor_b32_e32 v23, s29, v22
	v_xor_b32_e32 v22, s28, v22
	v_and_b32_e32 v28, v28, v23
	v_and_b32_e32 v29, v29, v22
	;; [unrolled: 9-line block ×7, first 2 shown]
	v_mbcnt_lo_u32_b32 v27, v22, 0
	v_mbcnt_hi_u32_b32 v27, v23, v27
	v_cmp_ne_u64_e64 s[28:29], 0, v[22:23]
	v_cmp_eq_u32_e64 s[40:41], 0, v27
	s_and_b64 s[40:41], s[28:29], s[40:41]
	; wave barrier
	s_and_saveexec_b64 s[28:29], s[40:41]
	s_cbranch_execz .LBB1122_329
; %bb.328:                              ;   in Loop: Header=BB1122_325 Depth=1
	v_bcnt_u32_b32 v22, v22, 0
	v_bcnt_u32_b32 v22, v23, v22
	s_waitcnt lgkmcnt(0)
	v_add_u32_e32 v22, v25, v22
	ds_write_b32 v26, v22
.LBB1122_329:                           ;   in Loop: Header=BB1122_325 Depth=1
	s_or_b64 exec, exec, s[28:29]
	; wave barrier
	s_waitcnt lgkmcnt(0)
	s_barrier
	ds_read_b32 v28, v30
	ds_read_b32 v23, v31
	;; [unrolled: 1-line block ×4, first 2 shown]
	s_waitcnt lgkmcnt(2)
	v_add_u32_e32 v50, v23, v28
	s_waitcnt lgkmcnt(0)
	v_add3_u32 v29, v50, v22, v29
	s_nop 1
	v_mov_b32_dpp v50, v29 row_shr:1 row_mask:0xf bank_mask:0xf
	v_cndmask_b32_e64 v50, v50, 0, vcc
	v_add_u32_e32 v29, v50, v29
	s_nop 1
	v_mov_b32_dpp v50, v29 row_shr:2 row_mask:0xf bank_mask:0xf
	v_cndmask_b32_e64 v50, 0, v50, s[4:5]
	v_add_u32_e32 v29, v29, v50
	s_nop 1
	v_mov_b32_dpp v50, v29 row_shr:4 row_mask:0xf bank_mask:0xf
	v_cndmask_b32_e64 v50, 0, v50, s[6:7]
	;; [unrolled: 4-line block ×3, first 2 shown]
	v_add_u32_e32 v29, v29, v50
	s_nop 1
	v_mov_b32_dpp v50, v29 row_bcast:15 row_mask:0xf bank_mask:0xf
	v_cndmask_b32_e64 v50, v50, 0, s[10:11]
	v_add_u32_e32 v29, v29, v50
	s_nop 1
	v_mov_b32_dpp v50, v29 row_bcast:31 row_mask:0xf bank_mask:0xf
	v_cndmask_b32_e64 v50, 0, v50, s[12:13]
	v_add_u32_e32 v29, v29, v50
	s_and_saveexec_b64 s[28:29], s[14:15]
; %bb.330:                              ;   in Loop: Header=BB1122_325 Depth=1
	ds_write_b32 v36, v29
; %bb.331:                              ;   in Loop: Header=BB1122_325 Depth=1
	s_or_b64 exec, exec, s[28:29]
	s_waitcnt lgkmcnt(0)
	s_barrier
	s_and_saveexec_b64 s[28:29], s[16:17]
	s_cbranch_execz .LBB1122_333
; %bb.332:                              ;   in Loop: Header=BB1122_325 Depth=1
	ds_read_b32 v50, v37
	s_waitcnt lgkmcnt(0)
	s_nop 0
	v_mov_b32_dpp v51, v50 row_shr:1 row_mask:0xf bank_mask:0xf
	v_cndmask_b32_e64 v51, v51, 0, s[24:25]
	v_add_u32_e32 v50, v51, v50
	s_nop 1
	v_mov_b32_dpp v51, v50 row_shr:2 row_mask:0xf bank_mask:0xf
	v_cndmask_b32_e64 v51, 0, v51, s[26:27]
	v_add_u32_e32 v50, v50, v51
	ds_write_b32 v37, v50
.LBB1122_333:                           ;   in Loop: Header=BB1122_325 Depth=1
	s_or_b64 exec, exec, s[28:29]
	v_mov_b32_e32 v50, 0
	s_waitcnt lgkmcnt(0)
	s_barrier
	s_and_saveexec_b64 s[28:29], s[18:19]
; %bb.334:                              ;   in Loop: Header=BB1122_325 Depth=1
	ds_read_b32 v50, v38
; %bb.335:                              ;   in Loop: Header=BB1122_325 Depth=1
	s_or_b64 exec, exec, s[28:29]
	s_waitcnt lgkmcnt(0)
	v_add_u32_e32 v29, v50, v29
	ds_bpermute_b32 v29, v35, v29
	v_add_u32_e32 v10, 8, v10
	v_cmp_lt_u32_e64 s[28:29], v10, v11
	s_mov_b64 s[56:57], -1
	s_waitcnt lgkmcnt(0)
	v_cndmask_b32_e64 v29, v29, v50, s[20:21]
	v_cndmask_b32_e64 v29, v29, 0, s[22:23]
	v_add_u32_e32 v28, v29, v28
	v_add_u32_e32 v23, v28, v23
	;; [unrolled: 1-line block ×3, first 2 shown]
	ds_write_b32 v30, v29
	ds_write_b32 v31, v28
	;; [unrolled: 1-line block ×4, first 2 shown]
	s_waitcnt lgkmcnt(0)
	s_barrier
	ds_read_b32 v0, v0
	ds_read_b32 v22, v26
	s_waitcnt lgkmcnt(0)
                                        ; implicit-def: $vgpr28_vgpr29
	v_add_u32_e32 v0, v0, v24
	v_lshlrev_b64 v[23:24], 3, v[0:1]
	v_add3_u32 v22, v27, v25, v22
	v_add_co_u32_e64 v0, s[40:41], v12, v23
	v_mov_b32_e32 v23, v1
	v_lshlrev_b64 v[22:23], 3, v[22:23]
                                        ; implicit-def: $vgpr26_vgpr27
                                        ; implicit-def: $vgpr24_vgpr25
	v_add_co_u32_e64 v50, s[40:41], v12, v22
                                        ; implicit-def: $vgpr22_vgpr23
	s_and_saveexec_b64 s[40:41], s[28:29]
	s_cbranch_execz .LBB1122_324
; %bb.336:                              ;   in Loop: Header=BB1122_325 Depth=1
	s_barrier
	ds_write_b64 v0, v[15:16]
	ds_write_b64 v50, v[13:14]
	s_waitcnt lgkmcnt(0)
	s_barrier
	ds_read_b64 v[26:27], v39
	ds_read_b64 v[28:29], v48
	s_waitcnt lgkmcnt(0)
	s_barrier
	ds_write_b64 v0, v[8:9]
	ds_write_b64 v50, v[4:5]
	s_waitcnt lgkmcnt(0)
	s_barrier
	ds_read_b64 v[22:23], v39
	ds_read_b64 v[24:25], v48
	v_add_u32_e32 v49, -8, v49
	s_xor_b64 s[56:57], exec, -1
	s_waitcnt lgkmcnt(0)
	s_barrier
	s_branch .LBB1122_324
.LBB1122_337:
	flat_load_dwordx2 v[30:31], v[4:5]
	s_or_b64 exec, exec, s[14:15]
                                        ; implicit-def: $vgpr32_vgpr33
	s_and_saveexec_b64 s[14:15], s[4:5]
	s_cbranch_execz .LBB1122_264
.LBB1122_338:
	flat_load_dwordx2 v[32:33], v[4:5] offset:512
	s_or_b64 exec, exec, s[14:15]
                                        ; implicit-def: $vgpr34_vgpr35
	s_and_saveexec_b64 s[4:5], s[6:7]
	s_cbranch_execz .LBB1122_265
.LBB1122_339:
	flat_load_dwordx2 v[34:35], v[4:5] offset:1024
	s_or_b64 exec, exec, s[4:5]
                                        ; implicit-def: $vgpr36_vgpr37
	s_and_saveexec_b64 s[4:5], s[10:11]
	s_cbranch_execnz .LBB1122_266
	s_branch .LBB1122_267
.LBB1122_340:
	flat_store_dwordx2 v[0:1], v[12:13]
	s_or_b64 exec, exec, s[16:17]
	s_and_saveexec_b64 s[4:5], s[6:7]
	s_cbranch_execz .LBB1122_309
.LBB1122_341:
	flat_store_dwordx2 v[0:1], v[14:15] offset:2048
	s_or_b64 exec, exec, s[4:5]
	s_and_saveexec_b64 s[4:5], s[10:11]
	s_cbranch_execz .LBB1122_310
.LBB1122_342:
	v_add_co_u32_e32 v2, vcc, 0x1000, v0
	v_addc_co_u32_e32 v3, vcc, 0, v1, vcc
	flat_store_dwordx2 v[2:3], v[8:9]
	s_or_b64 exec, exec, s[4:5]
	s_and_saveexec_b64 s[4:5], s[14:15]
	s_cbranch_execnz .LBB1122_311
	s_branch .LBB1122_312
.LBB1122_343:
	s_or_b64 exec, exec, s[44:45]
	v_lshl_add_u32 v1, v21, 3, v12
	v_mov_b32_e32 v20, 0
	s_barrier
	ds_write_b64 v0, v[15:16]
	ds_write_b64 v50, v[13:14]
	s_waitcnt lgkmcnt(0)
	s_barrier
	ds_read2st64_b64 v[12:15], v1 offset1:4
	s_waitcnt lgkmcnt(0)
	s_barrier
	ds_write_b64 v0, v[8:9]
	ds_write_b64 v50, v[4:5]
	s_waitcnt lgkmcnt(0)
	s_barrier
	ds_read2st64_b64 v[8:11], v1 offset1:4
	v_add_co_u32_e32 v2, vcc, v2, v17
	v_lshlrev_b64 v[0:1], 3, v[19:20]
	v_addc_co_u32_e32 v3, vcc, v3, v18, vcc
	v_add_co_u32_e32 v2, vcc, v2, v0
	v_addc_co_u32_e32 v3, vcc, v3, v1, vcc
	v_cmp_lt_u32_e32 vcc, v19, v246
	s_waitcnt lgkmcnt(0)
	s_barrier
	s_and_saveexec_b64 s[6:7], vcc
	s_cbranch_execz .LBB1122_345
; %bb.344:
	v_cmp_gt_i64_e64 s[4:5], 0, v[12:13]
	v_bfrev_b32_e32 v4, -2
	v_ashrrev_i32_e32 v5, 31, v13
	v_cndmask_b32_e64 v4, v4, 0, s[4:5]
	v_not_b32_e32 v16, v5
	v_xor_b32_e32 v5, v4, v13
	v_xor_b32_e32 v4, v16, v12
	flat_store_dwordx2 v[2:3], v[4:5]
.LBB1122_345:
	s_or_b64 exec, exec, s[6:7]
	v_add_u32_e32 v4, 0x100, v19
	v_cmp_lt_u32_e64 s[4:5], v4, v246
	s_and_saveexec_b64 s[8:9], s[4:5]
	s_cbranch_execz .LBB1122_347
; %bb.346:
	v_cmp_gt_i64_e64 s[6:7], 0, v[14:15]
	v_bfrev_b32_e32 v4, -2
	v_ashrrev_i32_e32 v5, 31, v15
	v_cndmask_b32_e64 v4, v4, 0, s[6:7]
	v_not_b32_e32 v12, v5
	v_xor_b32_e32 v5, v4, v15
	v_xor_b32_e32 v4, v12, v14
	flat_store_dwordx2 v[2:3], v[4:5] offset:2048
.LBB1122_347:
	s_or_b64 exec, exec, s[8:9]
	v_add_co_u32_e64 v2, s[6:7], v6, v17
	v_addc_co_u32_e64 v3, s[6:7], v7, v18, s[6:7]
	v_add_co_u32_e64 v0, s[6:7], v2, v0
	v_addc_co_u32_e64 v1, s[6:7], v3, v1, s[6:7]
	s_and_saveexec_b64 s[6:7], vcc
	s_cbranch_execz .LBB1122_349
; %bb.348:
	flat_store_dwordx2 v[0:1], v[8:9]
.LBB1122_349:
	s_or_b64 exec, exec, s[6:7]
	s_and_saveexec_b64 s[6:7], s[4:5]
	s_cbranch_execz .LBB1122_351
; %bb.350:
	flat_store_dwordx2 v[0:1], v[10:11] offset:2048
.LBB1122_351:
	s_or_b64 exec, exec, s[6:7]
                                        ; implicit-def: $vgpr21
                                        ; implicit-def: $vgpr19_vgpr20
                                        ; implicit-def: $vgpr17_vgpr18
                                        ; implicit-def: $vgpr246
                                        ; implicit-def: $vgpr0
                                        ; implicit-def: $vgpr1
                                        ; implicit-def: $vgpr2
                                        ; implicit-def: $vgpr3
                                        ; implicit-def: $vgpr4
                                        ; implicit-def: $vgpr5
                                        ; implicit-def: $vgpr6
                                        ; implicit-def: $vgpr7
                                        ; implicit-def: $vgpr10
                                        ; implicit-def: $vgpr11
                                        ; implicit-def: $vgpr12
                                        ; implicit-def: $vgpr14
.LBB1122_352:
	s_andn2_saveexec_b64 s[4:5], s[42:43]
	s_cbranch_execz .LBB1122_372
; %bb.353:
	v_mbcnt_hi_u32_b32 v28, -1, v14
	v_bfi_b32 v8, 63, v28, v19
	v_and_b32_e32 v30, 63, v28
	v_cmp_lt_u32_e32 vcc, v8, v246
	v_mov_b32_e32 v8, -1
	v_and_b32_e32 v15, 0xffffffc0, v19
	v_mov_b32_e32 v9, -1
	v_lshlrev_b32_e32 v20, 3, v30
	s_and_saveexec_b64 s[6:7], vcc
	s_cbranch_execz .LBB1122_355
; %bb.354:
	v_add_co_u32_e64 v0, s[4:5], v0, v17
	v_addc_co_u32_e64 v1, s[4:5], v1, v18, s[4:5]
	v_mov_b32_e32 v16, 0
	v_add_co_u32_e64 v8, s[4:5], v0, v20
	v_addc_co_u32_e64 v9, s[4:5], 0, v1, s[4:5]
	v_lshlrev_b64 v[0:1], 3, v[15:16]
	v_add_co_u32_e64 v0, s[4:5], v8, v0
	v_addc_co_u32_e64 v1, s[4:5], v9, v1, s[4:5]
	flat_load_dwordx2 v[8:9], v[0:1]
.LBB1122_355:
	s_or_b64 exec, exec, s[6:7]
                                        ; implicit-def: $vgpr13_vgpr14
	s_and_saveexec_b64 s[4:5], vcc
	s_cbranch_execz .LBB1122_357
; %bb.356:
	v_add_co_u32_e32 v0, vcc, v4, v17
	v_addc_co_u32_e32 v1, vcc, v5, v18, vcc
	v_mov_b32_e32 v16, 0
	v_add_co_u32_e32 v4, vcc, v0, v20
	v_addc_co_u32_e32 v5, vcc, 0, v1, vcc
	v_lshlrev_b64 v[0:1], 3, v[15:16]
	v_add_co_u32_e32 v0, vcc, v4, v0
	v_addc_co_u32_e32 v1, vcc, v5, v1, vcc
	flat_load_dwordx2 v[13:14], v[0:1]
.LBB1122_357:
	s_or_b64 exec, exec, s[4:5]
	s_waitcnt vmcnt(0) lgkmcnt(0)
	v_ashrrev_i32_e32 v1, 31, v9
	v_not_b32_e32 v1, v1
	v_cmp_gt_i64_e32 vcc, 0, v[8:9]
	v_xor_b32_e32 v15, v1, v8
	v_lshl_add_u32 v1, v21, 4, v12
	v_bfrev_b32_e32 v20, -2
	s_getpc_b64 s[4:5]
	s_add_u32 s4, s4, _ZN7rocprim17ROCPRIM_400000_NS16block_radix_sortIdLj256ELj1ElLj1ELj1ELj8ELNS0_26block_radix_rank_algorithmE2ELNS0_18block_padding_hintE2ELNS0_4arch9wavefront6targetE1EE19radix_bits_per_passE@rel32@lo+4
	s_addc_u32 s5, s5, _ZN7rocprim17ROCPRIM_400000_NS16block_radix_sortIdLj256ELj1ElLj1ELj1ELj8ELNS0_26block_radix_rank_algorithmE2ELNS0_18block_padding_hintE2ELNS0_4arch9wavefront6targetE1EE19radix_bits_per_passE@rel32@hi+12
	v_add_u32_e32 v22, 16, v1
	v_add_u32_e32 v23, 20, v1
	v_add_u32_e32 v24, 24, v1
	v_add_u32_e32 v25, 28, v1
	v_and_b32_e32 v1, 15, v28
	v_cndmask_b32_e64 v0, v20, 0, vcc
	s_load_dword s56, s[4:5], 0x0
	v_cmp_eq_u32_e32 vcc, 0, v1
	v_cmp_lt_u32_e64 s[4:5], 1, v1
	v_cmp_lt_u32_e64 s[6:7], 3, v1
	;; [unrolled: 1-line block ×3, first 2 shown]
	v_and_b32_e32 v1, 16, v28
	v_cmp_eq_u32_e64 s[10:11], 0, v1
	v_and_b32_e32 v1, 0x3c0, v21
	v_min_u32_e32 v4, 0xc0, v1
	v_or_b32_e32 v4, 63, v4
	v_cmp_eq_u32_e64 s[12:13], v21, v4
	v_subrev_co_u32_e64 v4, s[14:15], 1, v28
	v_and_b32_e32 v5, 64, v28
	v_cmp_lt_i32_e64 s[22:23], v4, v5
	v_cndmask_b32_e64 v4, v4, v28, s[22:23]
	v_lshlrev_b32_e32 v27, 2, v4
	v_and_b32_e32 v4, 3, v28
	v_cmp_eq_u32_e64 s[24:25], 0, v4
	v_cmp_lt_u32_e64 s[26:27], 1, v4
	v_lshrrev_b32_e32 v4, 4, v21
	v_xor_b32_e32 v16, v0, v9
	v_lshlrev_b32_e32 v0, 2, v21
	v_and_b32_e32 v4, 60, v4
	s_mov_b32 s44, 0
	v_cmp_lt_u32_e64 s[16:17], 31, v28
	v_add_u32_e32 v29, v12, v4
	v_add_co_u32_e64 v28, s[28:29], v12, v0
	v_or_b32_e32 v0, v30, v1
	s_mov_b64 s[42:43], 0
	s_brev_b32 s45, 1
	v_lshrrev_b32_e32 v26, 6, v19
	v_cmp_gt_u32_e64 s[18:19], 4, v21
	v_cmp_lt_u32_e64 s[20:21], 63, v21
	v_cmp_eq_u32_e64 s[22:23], 0, v21
	v_add_u32_e32 v30, -4, v29
	v_lshl_add_u32 v31, v0, 3, v12
	v_sub_u32_e32 v32, v11, v10
	v_mov_b32_e32 v5, 0
	s_waitcnt lgkmcnt(0)
	s_barrier
	s_branch .LBB1122_359
.LBB1122_358:                           ;   in Loop: Header=BB1122_359 Depth=1
	s_or_b64 exec, exec, s[40:41]
	s_and_b64 s[28:29], exec, s[46:47]
	s_or_b64 s[42:43], s[28:29], s[42:43]
	s_andn2_b64 exec, exec, s[42:43]
	s_cbranch_execz .LBB1122_369
.LBB1122_359:                           ; =>This Inner Loop Header: Depth=1
	v_mov_b32_e32 v8, v15
	v_mov_b32_e32 v9, v16
	v_cmp_ne_u64_e64 s[28:29], s[44:45], v[8:9]
	v_mov_b32_e32 v0, v13
	v_mov_b32_e32 v1, v14
	v_cndmask_b32_e64 v14, v20, v9, s[28:29]
	v_cndmask_b32_e64 v13, -1, v8, s[28:29]
	v_lshrrev_b64 v[13:14], v10, v[13:14]
	v_min_u32_e32 v4, s56, v32
	v_bfe_u32 v15, v13, 0, v4
	v_lshl_add_u32 v4, v15, 2, v26
	v_lshlrev_b64 v[13:14], 2, v[4:5]
	ds_write_b32 v22, v5
	ds_write_b32 v23, v5
	;; [unrolled: 1-line block ×4, first 2 shown]
	v_add_co_u32_e64 v4, s[28:29], v12, v13
	v_add_co_u32_e64 v4, s[28:29], 16, v4
	v_and_b32_e32 v13, 1, v15
	v_add_co_u32_e64 v14, s[28:29], -1, v13
	v_addc_co_u32_e64 v16, s[28:29], 0, -1, s[28:29]
	v_cmp_ne_u32_e64 s[28:29], 0, v13
	v_xor_b32_e32 v13, s29, v16
	v_xor_b32_e32 v14, s28, v14
	v_and_b32_e32 v16, exec_hi, v13
	v_and_b32_e32 v33, exec_lo, v14
	v_lshlrev_b32_e32 v14, 30, v15
	v_mov_b32_e32 v13, v5
	v_cmp_gt_i64_e64 s[28:29], 0, v[13:14]
	v_not_b32_e32 v13, v14
	v_ashrrev_i32_e32 v13, 31, v13
	v_xor_b32_e32 v14, s29, v13
	v_xor_b32_e32 v13, s28, v13
	v_and_b32_e32 v16, v16, v14
	v_and_b32_e32 v33, v33, v13
	v_lshlrev_b32_e32 v14, 29, v15
	v_mov_b32_e32 v13, v5
	v_cmp_gt_i64_e64 s[28:29], 0, v[13:14]
	v_not_b32_e32 v13, v14
	v_ashrrev_i32_e32 v13, 31, v13
	v_xor_b32_e32 v14, s29, v13
	v_xor_b32_e32 v13, s28, v13
	v_and_b32_e32 v16, v16, v14
	v_and_b32_e32 v33, v33, v13
	;; [unrolled: 9-line block ×7, first 2 shown]
	v_mbcnt_lo_u32_b32 v15, v13, 0
	v_mbcnt_hi_u32_b32 v15, v14, v15
	v_cmp_ne_u64_e64 s[28:29], 0, v[13:14]
	v_cmp_eq_u32_e64 s[40:41], 0, v15
	s_and_b64 s[40:41], s[28:29], s[40:41]
	s_waitcnt lgkmcnt(0)
	s_barrier
	; wave barrier
	s_and_saveexec_b64 s[28:29], s[40:41]
; %bb.360:                              ;   in Loop: Header=BB1122_359 Depth=1
	v_bcnt_u32_b32 v13, v13, 0
	v_bcnt_u32_b32 v13, v14, v13
	ds_write_b32 v4, v13
; %bb.361:                              ;   in Loop: Header=BB1122_359 Depth=1
	s_or_b64 exec, exec, s[28:29]
	; wave barrier
	s_waitcnt lgkmcnt(0)
	s_barrier
	ds_read_b32 v16, v22
	ds_read_b32 v14, v23
	;; [unrolled: 1-line block ×4, first 2 shown]
	s_waitcnt lgkmcnt(2)
	v_add_u32_e32 v34, v14, v16
	s_waitcnt lgkmcnt(0)
	v_add3_u32 v33, v34, v13, v33
	s_nop 1
	v_mov_b32_dpp v34, v33 row_shr:1 row_mask:0xf bank_mask:0xf
	v_cndmask_b32_e64 v34, v34, 0, vcc
	v_add_u32_e32 v33, v34, v33
	s_nop 1
	v_mov_b32_dpp v34, v33 row_shr:2 row_mask:0xf bank_mask:0xf
	v_cndmask_b32_e64 v34, 0, v34, s[4:5]
	v_add_u32_e32 v33, v33, v34
	s_nop 1
	v_mov_b32_dpp v34, v33 row_shr:4 row_mask:0xf bank_mask:0xf
	v_cndmask_b32_e64 v34, 0, v34, s[6:7]
	;; [unrolled: 4-line block ×3, first 2 shown]
	v_add_u32_e32 v33, v33, v34
	s_nop 1
	v_mov_b32_dpp v34, v33 row_bcast:15 row_mask:0xf bank_mask:0xf
	v_cndmask_b32_e64 v34, v34, 0, s[10:11]
	v_add_u32_e32 v33, v33, v34
	s_nop 1
	v_mov_b32_dpp v34, v33 row_bcast:31 row_mask:0xf bank_mask:0xf
	v_cndmask_b32_e64 v34, 0, v34, s[16:17]
	v_add_u32_e32 v33, v33, v34
	s_and_saveexec_b64 s[28:29], s[12:13]
; %bb.362:                              ;   in Loop: Header=BB1122_359 Depth=1
	ds_write_b32 v29, v33
; %bb.363:                              ;   in Loop: Header=BB1122_359 Depth=1
	s_or_b64 exec, exec, s[28:29]
	s_waitcnt lgkmcnt(0)
	s_barrier
	s_and_saveexec_b64 s[28:29], s[18:19]
	s_cbranch_execz .LBB1122_365
; %bb.364:                              ;   in Loop: Header=BB1122_359 Depth=1
	ds_read_b32 v34, v28
	s_waitcnt lgkmcnt(0)
	s_nop 0
	v_mov_b32_dpp v35, v34 row_shr:1 row_mask:0xf bank_mask:0xf
	v_cndmask_b32_e64 v35, v35, 0, s[24:25]
	v_add_u32_e32 v34, v35, v34
	s_nop 1
	v_mov_b32_dpp v35, v34 row_shr:2 row_mask:0xf bank_mask:0xf
	v_cndmask_b32_e64 v35, 0, v35, s[26:27]
	v_add_u32_e32 v34, v34, v35
	ds_write_b32 v28, v34
.LBB1122_365:                           ;   in Loop: Header=BB1122_359 Depth=1
	s_or_b64 exec, exec, s[28:29]
	v_mov_b32_e32 v34, 0
	s_waitcnt lgkmcnt(0)
	s_barrier
	s_and_saveexec_b64 s[28:29], s[20:21]
; %bb.366:                              ;   in Loop: Header=BB1122_359 Depth=1
	ds_read_b32 v34, v30
; %bb.367:                              ;   in Loop: Header=BB1122_359 Depth=1
	s_or_b64 exec, exec, s[28:29]
	s_waitcnt lgkmcnt(0)
	v_add_u32_e32 v33, v34, v33
	ds_bpermute_b32 v33, v27, v33
	v_add_u32_e32 v10, 8, v10
	v_cmp_lt_u32_e64 s[28:29], v10, v11
	s_mov_b64 s[46:47], -1
	s_waitcnt lgkmcnt(0)
	v_cndmask_b32_e64 v33, v33, v34, s[14:15]
	v_cndmask_b32_e64 v33, v33, 0, s[22:23]
	v_add_u32_e32 v16, v33, v16
	v_add_u32_e32 v14, v16, v14
	ds_write_b32 v22, v33
	ds_write_b32 v23, v16
	v_add_u32_e32 v13, v14, v13
	ds_write_b32 v24, v14
	ds_write_b32 v25, v13
	s_waitcnt lgkmcnt(0)
	s_barrier
	ds_read_b32 v4, v4
	s_waitcnt lgkmcnt(0)
	v_add_u32_e32 v4, v4, v15
	v_lshlrev_b64 v[13:14], 3, v[4:5]
                                        ; implicit-def: $vgpr15_vgpr16
	v_add_co_u32_e64 v33, s[40:41], v12, v13
                                        ; implicit-def: $vgpr13_vgpr14
	s_and_saveexec_b64 s[40:41], s[28:29]
	s_cbranch_execz .LBB1122_358
; %bb.368:                              ;   in Loop: Header=BB1122_359 Depth=1
	s_barrier
	ds_write_b64 v33, v[8:9]
	s_waitcnt lgkmcnt(0)
	s_barrier
	ds_read_b64 v[15:16], v31
	s_waitcnt lgkmcnt(0)
	s_barrier
	ds_write_b64 v33, v[0:1]
	s_waitcnt lgkmcnt(0)
	s_barrier
	ds_read_b64 v[13:14], v31
	v_add_u32_e32 v32, -8, v32
	s_xor_b64 s[46:47], exec, -1
	s_waitcnt lgkmcnt(0)
	s_barrier
	s_branch .LBB1122_358
.LBB1122_369:
	s_or_b64 exec, exec, s[42:43]
	s_barrier
	ds_write_b64 v33, v[8:9]
	v_lshl_add_u32 v8, v21, 2, v28
	s_waitcnt lgkmcnt(0)
	s_barrier
	ds_read_b64 v[4:5], v8
	s_waitcnt lgkmcnt(0)
	s_barrier
	ds_write_b64 v33, v[0:1]
	s_waitcnt lgkmcnt(0)
	s_barrier
	ds_read_b64 v[0:1], v8
	v_cmp_lt_u32_e32 vcc, v19, v246
	s_waitcnt lgkmcnt(0)
	s_barrier
	s_and_saveexec_b64 s[4:5], vcc
	s_cbranch_execz .LBB1122_371
; %bb.370:
	v_add_co_u32_e32 v8, vcc, v2, v17
	v_mov_b32_e32 v20, 0
	v_addc_co_u32_e32 v9, vcc, v3, v18, vcc
	v_lshlrev_b64 v[2:3], 3, v[19:20]
	v_bfrev_b32_e32 v10, -2
	v_add_co_u32_e32 v8, vcc, v8, v2
	v_addc_co_u32_e32 v9, vcc, v9, v3, vcc
	v_cmp_gt_i64_e32 vcc, 0, v[4:5]
	v_ashrrev_i32_e32 v11, 31, v5
	v_cndmask_b32_e64 v10, v10, 0, vcc
	v_not_b32_e32 v11, v11
	v_xor_b32_e32 v5, v10, v5
	v_xor_b32_e32 v4, v11, v4
	flat_store_dwordx2 v[8:9], v[4:5]
	v_add_co_u32_e32 v4, vcc, v6, v17
	v_addc_co_u32_e32 v5, vcc, v7, v18, vcc
	v_add_co_u32_e32 v2, vcc, v4, v2
	v_addc_co_u32_e32 v3, vcc, v5, v3, vcc
	flat_store_dwordx2 v[2:3], v[0:1]
.LBB1122_371:
	s_or_b64 exec, exec, s[4:5]
.LBB1122_372:
	s_or_b64 exec, exec, s[58:59]
	buffer_load_dword v111, off, s[0:3], s32 ; 4-byte Folded Reload
	buffer_load_dword v110, off, s[0:3], s32 offset:4 ; 4-byte Folded Reload
	buffer_load_dword v109, off, s[0:3], s32 offset:8 ; 4-byte Folded Reload
	;; [unrolled: 1-line block ×39, first 2 shown]
	s_waitcnt vmcnt(0) lgkmcnt(0)
	s_setpc_b64 s[30:31]
.Lfunc_end1122:
	.size	_ZN7rocprim17ROCPRIM_400000_NS6detail40segmented_radix_sort_single_block_helperIdlLj256ELj16ELb1EE4sortIPKdPdPKlPlEEbT_T0_T1_T2_jjjjRNS3_12storage_typeE, .Lfunc_end1122-_ZN7rocprim17ROCPRIM_400000_NS6detail40segmented_radix_sort_single_block_helperIdlLj256ELj16ELb1EE4sortIPKdPdPKlPlEEbT_T0_T1_T2_jjjjRNS3_12storage_typeE
                                        ; -- End function
	.set .L_ZN7rocprim17ROCPRIM_400000_NS6detail40segmented_radix_sort_single_block_helperIdlLj256ELj16ELb1EE4sortIPKdPdPKlPlEEbT_T0_T1_T2_jjjjRNS3_12storage_typeE.num_vgpr, 248
	.set .L_ZN7rocprim17ROCPRIM_400000_NS6detail40segmented_radix_sort_single_block_helperIdlLj256ELj16ELb1EE4sortIPKdPdPKlPlEEbT_T0_T1_T2_jjjjRNS3_12storage_typeE.num_agpr, 0
	.set .L_ZN7rocprim17ROCPRIM_400000_NS6detail40segmented_radix_sort_single_block_helperIdlLj256ELj16ELb1EE4sortIPKdPdPKlPlEEbT_T0_T1_T2_jjjjRNS3_12storage_typeE.numbered_sgpr, 73
	.set .L_ZN7rocprim17ROCPRIM_400000_NS6detail40segmented_radix_sort_single_block_helperIdlLj256ELj16ELb1EE4sortIPKdPdPKlPlEEbT_T0_T1_T2_jjjjRNS3_12storage_typeE.num_named_barrier, 0
	.set .L_ZN7rocprim17ROCPRIM_400000_NS6detail40segmented_radix_sort_single_block_helperIdlLj256ELj16ELb1EE4sortIPKdPdPKlPlEEbT_T0_T1_T2_jjjjRNS3_12storage_typeE.private_seg_size, 164
	.set .L_ZN7rocprim17ROCPRIM_400000_NS6detail40segmented_radix_sort_single_block_helperIdlLj256ELj16ELb1EE4sortIPKdPdPKlPlEEbT_T0_T1_T2_jjjjRNS3_12storage_typeE.uses_vcc, 1
	.set .L_ZN7rocprim17ROCPRIM_400000_NS6detail40segmented_radix_sort_single_block_helperIdlLj256ELj16ELb1EE4sortIPKdPdPKlPlEEbT_T0_T1_T2_jjjjRNS3_12storage_typeE.uses_flat_scratch, 0
	.set .L_ZN7rocprim17ROCPRIM_400000_NS6detail40segmented_radix_sort_single_block_helperIdlLj256ELj16ELb1EE4sortIPKdPdPKlPlEEbT_T0_T1_T2_jjjjRNS3_12storage_typeE.has_dyn_sized_stack, 0
	.set .L_ZN7rocprim17ROCPRIM_400000_NS6detail40segmented_radix_sort_single_block_helperIdlLj256ELj16ELb1EE4sortIPKdPdPKlPlEEbT_T0_T1_T2_jjjjRNS3_12storage_typeE.has_recursion, 0
	.set .L_ZN7rocprim17ROCPRIM_400000_NS6detail40segmented_radix_sort_single_block_helperIdlLj256ELj16ELb1EE4sortIPKdPdPKlPlEEbT_T0_T1_T2_jjjjRNS3_12storage_typeE.has_indirect_call, 0
	.section	.AMDGPU.csdata,"",@progbits
; Function info:
; codeLenInByte = 31572
; TotalNumSgprs: 77
; NumVgprs: 248
; ScratchSize: 164
; MemoryBound: 1
	.section	.text._ZN7rocprim17ROCPRIM_400000_NS6detail17trampoline_kernelINS0_14default_configENS1_36segmented_radix_sort_config_selectorIdlEEZNS1_25segmented_radix_sort_implIS3_Lb1EPKdPdPKlPlN2at6native12_GLOBAL__N_18offset_tEEE10hipError_tPvRmT1_PNSt15iterator_traitsISK_E10value_typeET2_T3_PNSL_ISQ_E10value_typeET4_jRbjT5_SW_jjP12ihipStream_tbEUlT_E_NS1_11comp_targetILNS1_3genE2ELNS1_11target_archE906ELNS1_3gpuE6ELNS1_3repE0EEENS1_30default_config_static_selectorELNS0_4arch9wavefront6targetE1EEEvSK_,"axG",@progbits,_ZN7rocprim17ROCPRIM_400000_NS6detail17trampoline_kernelINS0_14default_configENS1_36segmented_radix_sort_config_selectorIdlEEZNS1_25segmented_radix_sort_implIS3_Lb1EPKdPdPKlPlN2at6native12_GLOBAL__N_18offset_tEEE10hipError_tPvRmT1_PNSt15iterator_traitsISK_E10value_typeET2_T3_PNSL_ISQ_E10value_typeET4_jRbjT5_SW_jjP12ihipStream_tbEUlT_E_NS1_11comp_targetILNS1_3genE2ELNS1_11target_archE906ELNS1_3gpuE6ELNS1_3repE0EEENS1_30default_config_static_selectorELNS0_4arch9wavefront6targetE1EEEvSK_,comdat
	.globl	_ZN7rocprim17ROCPRIM_400000_NS6detail17trampoline_kernelINS0_14default_configENS1_36segmented_radix_sort_config_selectorIdlEEZNS1_25segmented_radix_sort_implIS3_Lb1EPKdPdPKlPlN2at6native12_GLOBAL__N_18offset_tEEE10hipError_tPvRmT1_PNSt15iterator_traitsISK_E10value_typeET2_T3_PNSL_ISQ_E10value_typeET4_jRbjT5_SW_jjP12ihipStream_tbEUlT_E_NS1_11comp_targetILNS1_3genE2ELNS1_11target_archE906ELNS1_3gpuE6ELNS1_3repE0EEENS1_30default_config_static_selectorELNS0_4arch9wavefront6targetE1EEEvSK_ ; -- Begin function _ZN7rocprim17ROCPRIM_400000_NS6detail17trampoline_kernelINS0_14default_configENS1_36segmented_radix_sort_config_selectorIdlEEZNS1_25segmented_radix_sort_implIS3_Lb1EPKdPdPKlPlN2at6native12_GLOBAL__N_18offset_tEEE10hipError_tPvRmT1_PNSt15iterator_traitsISK_E10value_typeET2_T3_PNSL_ISQ_E10value_typeET4_jRbjT5_SW_jjP12ihipStream_tbEUlT_E_NS1_11comp_targetILNS1_3genE2ELNS1_11target_archE906ELNS1_3gpuE6ELNS1_3repE0EEENS1_30default_config_static_selectorELNS0_4arch9wavefront6targetE1EEEvSK_
	.p2align	8
	.type	_ZN7rocprim17ROCPRIM_400000_NS6detail17trampoline_kernelINS0_14default_configENS1_36segmented_radix_sort_config_selectorIdlEEZNS1_25segmented_radix_sort_implIS3_Lb1EPKdPdPKlPlN2at6native12_GLOBAL__N_18offset_tEEE10hipError_tPvRmT1_PNSt15iterator_traitsISK_E10value_typeET2_T3_PNSL_ISQ_E10value_typeET4_jRbjT5_SW_jjP12ihipStream_tbEUlT_E_NS1_11comp_targetILNS1_3genE2ELNS1_11target_archE906ELNS1_3gpuE6ELNS1_3repE0EEENS1_30default_config_static_selectorELNS0_4arch9wavefront6targetE1EEEvSK_,@function
_ZN7rocprim17ROCPRIM_400000_NS6detail17trampoline_kernelINS0_14default_configENS1_36segmented_radix_sort_config_selectorIdlEEZNS1_25segmented_radix_sort_implIS3_Lb1EPKdPdPKlPlN2at6native12_GLOBAL__N_18offset_tEEE10hipError_tPvRmT1_PNSt15iterator_traitsISK_E10value_typeET2_T3_PNSL_ISQ_E10value_typeET4_jRbjT5_SW_jjP12ihipStream_tbEUlT_E_NS1_11comp_targetILNS1_3genE2ELNS1_11target_archE906ELNS1_3gpuE6ELNS1_3repE0EEENS1_30default_config_static_selectorELNS0_4arch9wavefront6targetE1EEEvSK_: ; @_ZN7rocprim17ROCPRIM_400000_NS6detail17trampoline_kernelINS0_14default_configENS1_36segmented_radix_sort_config_selectorIdlEEZNS1_25segmented_radix_sort_implIS3_Lb1EPKdPdPKlPlN2at6native12_GLOBAL__N_18offset_tEEE10hipError_tPvRmT1_PNSt15iterator_traitsISK_E10value_typeET2_T3_PNSL_ISQ_E10value_typeET4_jRbjT5_SW_jjP12ihipStream_tbEUlT_E_NS1_11comp_targetILNS1_3genE2ELNS1_11target_archE906ELNS1_3gpuE6ELNS1_3repE0EEENS1_30default_config_static_selectorELNS0_4arch9wavefront6targetE1EEEvSK_
; %bb.0:
	s_add_u32 s0, s0, s8
	s_mov_b64 s[34:35], s[4:5]
	s_load_dwordx2 s[4:5], s[4:5], 0x38
	s_nop 0
	s_load_dwordx4 s[8:11], s[34:35], 0x40
	s_mov_b32 s33, s7
	s_mov_b32 s7, 0
	s_addc_u32 s1, s1, 0
	s_lshl_b64 s[12:13], s[6:7], 2
	s_waitcnt lgkmcnt(0)
	s_add_u32 s4, s4, s12
	s_addc_u32 s5, s5, s13
	s_load_dword s4, s[4:5], 0x0
	s_mov_b32 s32, 0
	s_waitcnt lgkmcnt(0)
	s_add_i32 s94, s4, s9
	s_add_i32 s95, s4, s11
	s_mul_i32 s94, s94, s8
	s_mul_i32 s95, s95, s10
	s_cmp_le_u32 s95, s94
	s_cbranch_scc1 .LBB1123_1182
; %bb.1:
	s_load_dword s4, s[34:35], 0x30
	s_load_dwordx4 s[84:87], s[34:35], 0x20
	s_load_dwordx4 s[88:91], s[34:35], 0x50
	s_load_dwordx8 s[76:83], s[34:35], 0x0
	s_waitcnt lgkmcnt(0)
	s_bitcmp1_b32 s4, 0
	s_cselect_b64 s[70:71], -1, 0
	s_sub_i32 s91, s95, s94
	s_cmpk_lt_u32 s91, 0x1001
	s_mov_b64 s[4:5], -1
	s_cbranch_scc0 .LBB1123_7
; %bb.2:
	s_and_b32 s4, s88, 1
	v_cndmask_b32_e64 v3, 0, 1, s[70:71]
	v_cmp_ne_u32_e32 vcc, s4, v3
	s_mov_b64 s[4:5], -1
	v_lshlrev_b32_e32 v41, 20, v2
	v_lshlrev_b32_e32 v42, 10, v1
	s_cbranch_vccnz .LBB1123_4
; %bb.3:
	s_add_u32 s8, s34, 0x60
	s_mov_b64 s[4:5], src_shared_base
	s_addc_u32 s9, s35, 0
	s_getpc_b64 s[10:11]
	s_add_u32 s10, s10, _ZN7rocprim17ROCPRIM_400000_NS6detail40segmented_radix_sort_single_block_helperIdlLj256ELj16ELb1EE4sortIPKdPdPKlPlEEbT_T0_T1_T2_jjjjRNS3_12storage_typeE@rel32@lo+4
	s_addc_u32 s11, s11, _ZN7rocprim17ROCPRIM_400000_NS6detail40segmented_radix_sort_single_block_helperIdlLj256ELj16ELb1EE4sortIPKdPdPKlPlEEbT_T0_T1_T2_jjjjRNS3_12storage_typeE@rel32@hi+12
	v_or3_b32 v31, v0, v42, v41
	s_mov_b32 s12, s6
	s_mov_b32 s13, s33
	v_mov_b32_e32 v40, v0
	v_mov_b32_e32 v0, s76
	;; [unrolled: 1-line block ×17, first 2 shown]
	s_mov_b32 s36, s6
	s_swappc_b64 s[30:31], s[10:11]
	v_mov_b32_e32 v1, v43
	v_mov_b32_e32 v2, v44
	;; [unrolled: 1-line block ×3, first 2 shown]
	s_mov_b32 s6, s36
	s_mov_b64 s[4:5], 0
.LBB1123_4:
	s_andn2_b64 vcc, exec, s[4:5]
	s_cbranch_vccnz .LBB1123_6
; %bb.5:
	s_add_u32 s8, s34, 0x60
	s_mov_b64 s[4:5], src_shared_base
	s_addc_u32 s9, s35, 0
	s_getpc_b64 s[10:11]
	s_add_u32 s10, s10, _ZN7rocprim17ROCPRIM_400000_NS6detail40segmented_radix_sort_single_block_helperIdlLj256ELj16ELb1EE4sortIPKdPdPKlPlEEbT_T0_T1_T2_jjjjRNS3_12storage_typeE@rel32@lo+4
	s_addc_u32 s11, s11, _ZN7rocprim17ROCPRIM_400000_NS6detail40segmented_radix_sort_single_block_helperIdlLj256ELj16ELb1EE4sortIPKdPdPKlPlEEbT_T0_T1_T2_jjjjRNS3_12storage_typeE@rel32@hi+12
	v_or3_b32 v31, v0, v42, v41
	s_mov_b32 s12, s6
	s_mov_b32 s13, s33
	v_mov_b32_e32 v40, v0
	v_mov_b32_e32 v0, s76
	;; [unrolled: 1-line block ×17, first 2 shown]
	s_mov_b32 s36, s6
	s_swappc_b64 s[30:31], s[10:11]
	v_mov_b32_e32 v1, v41
	v_mov_b32_e32 v2, v42
	v_mov_b32_e32 v0, v40
	s_mov_b32 s6, s36
.LBB1123_6:
	s_mov_b64 s[4:5], 0
.LBB1123_7:
	s_andn2_b64 vcc, exec, s[4:5]
	s_cbranch_vccnz .LBB1123_1182
; %bb.8:
	s_cmp_ge_u32 s89, s90
	s_cbranch_scc1 .LBB1123_1182
; %bb.9:
	v_lshlrev_b32_e32 v73, 2, v0
	v_and_b32_e32 v4, 3, v0
	v_lshlrev_b32_e32 v5, 3, v0
	v_mov_b32_e32 v6, s81
	v_add_co_u32_e32 v77, vcc, s80, v5
	v_lshlrev_b32_e32 v91, 2, v4
	v_lshlrev_b32_e32 v4, 4, v0
	v_mad_u32_u24 v92, v0, 12, v73
	v_addc_co_u32_e32 v78, vcc, 0, v6, vcc
	v_or_b32_e32 v6, 63, v0
	v_and_b32_e32 v97, 0xc00, v4
	v_add_u32_e32 v98, v92, v73
	v_cmp_eq_u32_e64 s[8:9], v0, v6
	v_lshrrev_b32_e32 v6, 4, v0
	v_sub_u32_e32 v99, v98, v4
	v_lshlrev_b32_e32 v4, 3, v97
	v_and_b32_e32 v93, 12, v6
	v_mov_b32_e32 v6, s87
	v_add_co_u32_e32 v100, vcc, s86, v4
	v_addc_co_u32_e32 v101, vcc, 0, v6, vcc
	v_mov_b32_e32 v6, s81
	v_add_co_u32_e32 v102, vcc, s80, v4
	v_addc_co_u32_e32 v103, vcc, 0, v6, vcc
	;; [unrolled: 3-line block ×7, first 2 shown]
	s_mov_b32 s72, 0
	s_movk_i32 s4, 0x100
	v_or_b32_e32 v75, 0x200, v0
	v_or_b32_e32 v76, 0x300, v0
	;; [unrolled: 1-line block ×14, first 2 shown]
	s_add_u32 s74, s34, 0x60
	s_movk_i32 s7, 0xff
	v_mov_b32_e32 v5, s77
	v_add_co_u32_e32 v115, vcc, s76, v4
	v_mbcnt_lo_u32_b32 v4, -1, 0
	s_brev_b32 s73, 1
	v_mov_b32_e32 v3, 0
	v_or_b32_e32 v74, 0x100, v0
	v_cmp_gt_u32_e64 s[4:5], s4, v0
	v_or_b32_e32 v94, 0x8400, v93
	v_cmp_gt_u32_e64 s[10:11], 4, v0
	v_or_b32_e32 v95, 0x8400, v73
	v_cmp_lt_u32_e64 s[12:13], 63, v0
	v_add_u32_e32 v96, 0x83fc, v93
	s_addc_u32 s75, s35, 0
	v_cmp_eq_u32_e64 s[14:15], 0, v0
	v_cmp_ne_u32_e64 s[16:17], s7, v0
	v_add_u32_e32 v104, v99, v73
	v_addc_co_u32_e32 v116, vcc, 0, v5, vcc
	s_mov_b32 s7, s89
	v_mov_b32_e32 v117, 1
	v_lshlrev_b32_e32 v118, 3, v0
	v_lshlrev_b32_e32 v119, 3, v75
	;; [unrolled: 1-line block ×15, first 2 shown]
	v_bfrev_b32_e32 v133, -2
	v_mbcnt_hi_u32_b32 v134, -1, v4
	s_mov_b32 s88, s89
	s_branch .LBB1123_12
.LBB1123_10:                            ;   in Loop: Header=BB1123_12 Depth=1
	s_waitcnt lgkmcnt(0)
	s_barrier
.LBB1123_11:                            ;   in Loop: Header=BB1123_12 Depth=1
	s_add_i32 s88, s88, 8
	s_cmp_ge_u32 s88, s90
	s_cbranch_scc1 .LBB1123_1182
.LBB1123_12:                            ; =>This Loop Header: Depth=1
                                        ;     Child Loop BB1123_16 Depth 2
                                        ;     Child Loop BB1123_96 Depth 2
	;; [unrolled: 1-line block ×8, first 2 shown]
	s_sub_i32 s18, s90, s88
	s_xor_b64 s[70:71], s[70:71], -1
	s_min_u32 s96, s18, 8
	s_cmp_lg_u32 s88, s89
	s_mov_b64 s[18:19], -1
	ds_write2st64_b32 v73, v3, v3 offset1:4
	ds_write2st64_b32 v73, v3, v3 offset0:8 offset1:12
	s_waitcnt lgkmcnt(0)
	s_cbranch_scc0 .LBB1123_598
; %bb.13:                               ;   in Loop: Header=BB1123_12 Depth=1
	s_lshl_b32 s18, -1, s96
	s_not_b32 s97, s18
	s_mov_b64 s[18:19], -1
	s_and_b64 vcc, exec, s[70:71]
	s_cbranch_vccz .LBB1123_305
; %bb.14:                               ;   in Loop: Header=BB1123_12 Depth=1
	s_mov_b32 s22, s91
	s_mov_b32 s18, s94
	s_barrier
                                        ; implicit-def: $vgpr4_vgpr5
                                        ; implicit-def: $vgpr6_vgpr7
                                        ; implicit-def: $vgpr8_vgpr9
                                        ; implicit-def: $vgpr10_vgpr11
                                        ; implicit-def: $vgpr12_vgpr13
                                        ; implicit-def: $vgpr14_vgpr15
                                        ; implicit-def: $vgpr16_vgpr17
                                        ; implicit-def: $vgpr18_vgpr19
                                        ; implicit-def: $vgpr20_vgpr21
                                        ; implicit-def: $vgpr22_vgpr23
                                        ; implicit-def: $vgpr24_vgpr25
                                        ; implicit-def: $vgpr26_vgpr27
                                        ; implicit-def: $vgpr28_vgpr29
                                        ; implicit-def: $vgpr30_vgpr31
                                        ; implicit-def: $vgpr32_vgpr33
                                        ; implicit-def: $vgpr34_vgpr35
	s_branch .LBB1123_16
.LBB1123_15:                            ;   in Loop: Header=BB1123_16 Depth=2
	s_or_b64 exec, exec, s[18:19]
	s_addk_i32 s22, 0xf000
	s_cmp_ge_u32 s23, s95
	s_mov_b32 s18, s23
	s_cbranch_scc1 .LBB1123_84
.LBB1123_16:                            ;   Parent Loop BB1123_12 Depth=1
                                        ; =>  This Inner Loop Header: Depth=2
	s_add_i32 s23, s18, 0x1000
	s_cmp_gt_u32 s23, s95
	s_mov_b64 s[20:21], -1
                                        ; implicit-def: $vgpr36_vgpr37
                                        ; implicit-def: $vgpr38_vgpr39
                                        ; implicit-def: $vgpr40_vgpr41
                                        ; implicit-def: $vgpr42_vgpr43
                                        ; implicit-def: $vgpr44_vgpr45
                                        ; implicit-def: $vgpr46_vgpr47
                                        ; implicit-def: $vgpr48_vgpr49
                                        ; implicit-def: $vgpr50_vgpr51
                                        ; implicit-def: $vgpr52_vgpr53
                                        ; implicit-def: $vgpr54_vgpr55
                                        ; implicit-def: $vgpr56_vgpr57
                                        ; implicit-def: $vgpr58_vgpr59
                                        ; implicit-def: $vgpr60_vgpr61
                                        ; implicit-def: $vgpr62_vgpr63
                                        ; implicit-def: $vgpr64_vgpr65
                                        ; implicit-def: $vgpr66_vgpr67
	s_cbranch_scc1 .LBB1123_18
; %bb.17:                               ;   in Loop: Header=BB1123_16 Depth=2
	s_mov_b32 s19, s72
	s_lshl_b64 s[20:21], s[18:19], 3
	v_mov_b32_e32 v36, s21
	v_add_co_u32_e32 v60, vcc, s20, v77
	v_addc_co_u32_e32 v61, vcc, v78, v36, vcc
	v_add_co_u32_e32 v44, vcc, 0x1000, v60
	v_addc_co_u32_e32 v45, vcc, 0, v61, vcc
	;; [unrolled: 2-line block ×6, first 2 shown]
	global_load_dwordx2 v[36:37], v[60:61], off
	global_load_dwordx2 v[38:39], v[60:61], off offset:2048
	global_load_dwordx2 v[40:41], v[44:45], off
	global_load_dwordx2 v[42:43], v[44:45], off offset:2048
	s_nop 0
	global_load_dwordx2 v[44:45], v[52:53], off
	global_load_dwordx2 v[46:47], v[52:53], off offset:2048
	global_load_dwordx2 v[48:49], v[54:55], off
	global_load_dwordx2 v[50:51], v[54:55], off offset:2048
	s_nop 0
	global_load_dwordx2 v[52:53], v[62:63], off
	global_load_dwordx2 v[54:55], v[62:63], off offset:2048
	global_load_dwordx2 v[56:57], v[64:65], off
	global_load_dwordx2 v[58:59], v[64:65], off offset:2048
	v_add_co_u32_e32 v62, vcc, 0x6000, v60
	v_addc_co_u32_e32 v63, vcc, 0, v61, vcc
	v_add_co_u32_e32 v66, vcc, 0x7000, v60
	v_addc_co_u32_e32 v67, vcc, 0, v61, vcc
	global_load_dwordx2 v[60:61], v[62:63], off
	s_nop 0
	global_load_dwordx2 v[62:63], v[62:63], off offset:2048
	s_nop 0
	global_load_dwordx2 v[64:65], v[66:67], off
	s_nop 0
	global_load_dwordx2 v[66:67], v[66:67], off offset:2048
	s_mov_b64 s[20:21], 0
.LBB1123_18:                            ;   in Loop: Header=BB1123_16 Depth=2
	s_andn2_b64 vcc, exec, s[20:21]
	s_movk_i32 s20, 0x1000
	s_cbranch_vccnz .LBB1123_37
; %bb.19:                               ;   in Loop: Header=BB1123_16 Depth=2
	s_mov_b32 s19, s72
	s_lshl_b64 s[18:19], s[18:19], 3
	s_add_u32 s18, s80, s18
	s_addc_u32 s19, s81, s19
	v_cmp_gt_u32_e32 vcc, s22, v0
	s_and_saveexec_b64 s[20:21], vcc
	s_cbranch_execnz .LBB1123_69
; %bb.20:                               ;   in Loop: Header=BB1123_16 Depth=2
	s_or_b64 exec, exec, s[20:21]
	v_cmp_gt_u32_e32 vcc, s22, v74
	s_and_saveexec_b64 s[20:21], vcc
	s_cbranch_execnz .LBB1123_70
.LBB1123_21:                            ;   in Loop: Header=BB1123_16 Depth=2
	s_or_b64 exec, exec, s[20:21]
	v_cmp_gt_u32_e32 vcc, s22, v75
	s_and_saveexec_b64 s[20:21], vcc
	s_cbranch_execnz .LBB1123_71
.LBB1123_22:                            ;   in Loop: Header=BB1123_16 Depth=2
	s_or_b64 exec, exec, s[20:21]
	v_cmp_gt_u32_e32 vcc, s22, v76
	s_and_saveexec_b64 s[20:21], vcc
	s_cbranch_execnz .LBB1123_72
.LBB1123_23:                            ;   in Loop: Header=BB1123_16 Depth=2
	s_or_b64 exec, exec, s[20:21]
	v_cmp_gt_u32_e32 vcc, s22, v79
	s_and_saveexec_b64 s[20:21], vcc
	s_cbranch_execnz .LBB1123_73
.LBB1123_24:                            ;   in Loop: Header=BB1123_16 Depth=2
	s_or_b64 exec, exec, s[20:21]
	v_cmp_gt_u32_e32 vcc, s22, v80
	s_and_saveexec_b64 s[20:21], vcc
	s_cbranch_execnz .LBB1123_74
.LBB1123_25:                            ;   in Loop: Header=BB1123_16 Depth=2
	s_or_b64 exec, exec, s[20:21]
	v_cmp_gt_u32_e32 vcc, s22, v81
	s_and_saveexec_b64 s[20:21], vcc
	s_cbranch_execnz .LBB1123_75
.LBB1123_26:                            ;   in Loop: Header=BB1123_16 Depth=2
	s_or_b64 exec, exec, s[20:21]
	v_cmp_gt_u32_e32 vcc, s22, v82
	s_and_saveexec_b64 s[20:21], vcc
	s_cbranch_execnz .LBB1123_76
.LBB1123_27:                            ;   in Loop: Header=BB1123_16 Depth=2
	s_or_b64 exec, exec, s[20:21]
	v_cmp_gt_u32_e32 vcc, s22, v83
	s_and_saveexec_b64 s[20:21], vcc
	s_cbranch_execnz .LBB1123_77
.LBB1123_28:                            ;   in Loop: Header=BB1123_16 Depth=2
	s_or_b64 exec, exec, s[20:21]
	v_cmp_gt_u32_e32 vcc, s22, v84
	s_and_saveexec_b64 s[20:21], vcc
	s_cbranch_execnz .LBB1123_78
.LBB1123_29:                            ;   in Loop: Header=BB1123_16 Depth=2
	s_or_b64 exec, exec, s[20:21]
	v_cmp_gt_u32_e32 vcc, s22, v85
	s_and_saveexec_b64 s[20:21], vcc
	s_cbranch_execnz .LBB1123_79
.LBB1123_30:                            ;   in Loop: Header=BB1123_16 Depth=2
	s_or_b64 exec, exec, s[20:21]
	v_cmp_gt_u32_e32 vcc, s22, v86
	s_and_saveexec_b64 s[20:21], vcc
	s_cbranch_execnz .LBB1123_80
.LBB1123_31:                            ;   in Loop: Header=BB1123_16 Depth=2
	s_or_b64 exec, exec, s[20:21]
	v_cmp_gt_u32_e32 vcc, s22, v87
	s_and_saveexec_b64 s[20:21], vcc
	s_cbranch_execnz .LBB1123_81
.LBB1123_32:                            ;   in Loop: Header=BB1123_16 Depth=2
	s_or_b64 exec, exec, s[20:21]
	v_cmp_gt_u32_e32 vcc, s22, v88
	s_and_saveexec_b64 s[20:21], vcc
	s_cbranch_execnz .LBB1123_82
.LBB1123_33:                            ;   in Loop: Header=BB1123_16 Depth=2
	s_or_b64 exec, exec, s[20:21]
	v_cmp_gt_u32_e32 vcc, s22, v89
	s_and_saveexec_b64 s[20:21], vcc
	s_cbranch_execnz .LBB1123_83
.LBB1123_34:                            ;   in Loop: Header=BB1123_16 Depth=2
	s_or_b64 exec, exec, s[20:21]
	v_cmp_gt_u32_e32 vcc, s22, v90
	s_and_saveexec_b64 s[20:21], vcc
	s_cbranch_execz .LBB1123_36
.LBB1123_35:                            ;   in Loop: Header=BB1123_16 Depth=2
	global_load_dwordx2 v[4:5], v132, s[18:19]
.LBB1123_36:                            ;   in Loop: Header=BB1123_16 Depth=2
	s_or_b64 exec, exec, s[20:21]
	s_waitcnt vmcnt(0)
	v_mov_b32_e32 v37, v35
	v_mov_b32_e32 v39, v33
	;; [unrolled: 1-line block ×16, first 2 shown]
	s_mov_b32 s20, s22
	v_mov_b32_e32 v36, v34
	v_mov_b32_e32 v38, v32
	;; [unrolled: 1-line block ×16, first 2 shown]
.LBB1123_37:                            ;   in Loop: Header=BB1123_16 Depth=2
	s_waitcnt vmcnt(0)
	v_mov_b32_e32 v4, v66
	v_mov_b32_e32 v6, v64
	;; [unrolled: 1-line block ×32, first 2 shown]
	v_cmp_gt_u32_e32 vcc, s20, v0
	s_and_saveexec_b64 s[18:19], vcc
	s_cbranch_execnz .LBB1123_53
; %bb.38:                               ;   in Loop: Header=BB1123_16 Depth=2
	s_or_b64 exec, exec, s[18:19]
	v_cmp_gt_u32_e32 vcc, s20, v74
	s_and_saveexec_b64 s[18:19], vcc
	s_cbranch_execnz .LBB1123_54
.LBB1123_39:                            ;   in Loop: Header=BB1123_16 Depth=2
	s_or_b64 exec, exec, s[18:19]
	v_cmp_gt_u32_e32 vcc, s20, v75
	s_and_saveexec_b64 s[18:19], vcc
	s_cbranch_execnz .LBB1123_55
.LBB1123_40:                            ;   in Loop: Header=BB1123_16 Depth=2
	s_or_b64 exec, exec, s[18:19]
	v_cmp_gt_u32_e32 vcc, s20, v76
	s_and_saveexec_b64 s[18:19], vcc
	s_cbranch_execnz .LBB1123_56
.LBB1123_41:                            ;   in Loop: Header=BB1123_16 Depth=2
	s_or_b64 exec, exec, s[18:19]
	v_cmp_gt_u32_e32 vcc, s20, v79
	s_and_saveexec_b64 s[18:19], vcc
	s_cbranch_execnz .LBB1123_57
.LBB1123_42:                            ;   in Loop: Header=BB1123_16 Depth=2
	s_or_b64 exec, exec, s[18:19]
	v_cmp_gt_u32_e32 vcc, s20, v80
	s_and_saveexec_b64 s[18:19], vcc
	s_cbranch_execnz .LBB1123_58
.LBB1123_43:                            ;   in Loop: Header=BB1123_16 Depth=2
	s_or_b64 exec, exec, s[18:19]
	v_cmp_gt_u32_e32 vcc, s20, v81
	s_and_saveexec_b64 s[18:19], vcc
	s_cbranch_execnz .LBB1123_59
.LBB1123_44:                            ;   in Loop: Header=BB1123_16 Depth=2
	s_or_b64 exec, exec, s[18:19]
	v_cmp_gt_u32_e32 vcc, s20, v82
	s_and_saveexec_b64 s[18:19], vcc
	s_cbranch_execnz .LBB1123_60
.LBB1123_45:                            ;   in Loop: Header=BB1123_16 Depth=2
	s_or_b64 exec, exec, s[18:19]
	v_cmp_gt_u32_e32 vcc, s20, v83
	s_and_saveexec_b64 s[18:19], vcc
	s_cbranch_execnz .LBB1123_61
.LBB1123_46:                            ;   in Loop: Header=BB1123_16 Depth=2
	s_or_b64 exec, exec, s[18:19]
	v_cmp_gt_u32_e32 vcc, s20, v84
	s_and_saveexec_b64 s[18:19], vcc
	s_cbranch_execnz .LBB1123_62
.LBB1123_47:                            ;   in Loop: Header=BB1123_16 Depth=2
	s_or_b64 exec, exec, s[18:19]
	v_cmp_gt_u32_e32 vcc, s20, v85
	s_and_saveexec_b64 s[18:19], vcc
	s_cbranch_execnz .LBB1123_63
.LBB1123_48:                            ;   in Loop: Header=BB1123_16 Depth=2
	s_or_b64 exec, exec, s[18:19]
	v_cmp_gt_u32_e32 vcc, s20, v86
	s_and_saveexec_b64 s[18:19], vcc
	s_cbranch_execnz .LBB1123_64
.LBB1123_49:                            ;   in Loop: Header=BB1123_16 Depth=2
	s_or_b64 exec, exec, s[18:19]
	v_cmp_gt_u32_e32 vcc, s20, v87
	s_and_saveexec_b64 s[18:19], vcc
	s_cbranch_execnz .LBB1123_65
.LBB1123_50:                            ;   in Loop: Header=BB1123_16 Depth=2
	s_or_b64 exec, exec, s[18:19]
	v_cmp_gt_u32_e32 vcc, s20, v88
	s_and_saveexec_b64 s[18:19], vcc
	s_cbranch_execnz .LBB1123_66
.LBB1123_51:                            ;   in Loop: Header=BB1123_16 Depth=2
	s_or_b64 exec, exec, s[18:19]
	v_cmp_gt_u32_e32 vcc, s20, v89
	s_and_saveexec_b64 s[18:19], vcc
	s_cbranch_execnz .LBB1123_67
.LBB1123_52:                            ;   in Loop: Header=BB1123_16 Depth=2
	s_or_b64 exec, exec, s[18:19]
	v_cmp_gt_u32_e32 vcc, s20, v90
	s_and_saveexec_b64 s[18:19], vcc
	s_cbranch_execz .LBB1123_15
	s_branch .LBB1123_68
.LBB1123_53:                            ;   in Loop: Header=BB1123_16 Depth=2
	v_cmp_gt_i64_e32 vcc, 0, v[34:35]
	v_ashrrev_i32_e32 v37, 31, v35
	v_cndmask_b32_e64 v36, v133, 0, vcc
	v_not_b32_e32 v38, v37
	v_xor_b32_e32 v37, v36, v35
	v_xor_b32_e32 v36, v38, v34
	v_cmp_ne_u64_e32 vcc, s[72:73], v[36:37]
	v_cndmask_b32_e32 v37, v133, v37, vcc
	v_cndmask_b32_e32 v36, -1, v36, vcc
	v_lshrrev_b64 v[36:37], s88, v[36:37]
	v_and_b32_e32 v36, s97, v36
	v_lshl_or_b32 v36, v36, 4, v91
	ds_add_u32 v36, v117
	s_or_b64 exec, exec, s[18:19]
	v_cmp_gt_u32_e32 vcc, s20, v74
	s_and_saveexec_b64 s[18:19], vcc
	s_cbranch_execz .LBB1123_39
.LBB1123_54:                            ;   in Loop: Header=BB1123_16 Depth=2
	v_cmp_gt_i64_e32 vcc, 0, v[32:33]
	v_ashrrev_i32_e32 v37, 31, v33
	v_cndmask_b32_e64 v36, v133, 0, vcc
	v_not_b32_e32 v38, v37
	v_xor_b32_e32 v37, v36, v33
	v_xor_b32_e32 v36, v38, v32
	v_cmp_ne_u64_e32 vcc, s[72:73], v[36:37]
	v_cndmask_b32_e32 v37, v133, v37, vcc
	v_cndmask_b32_e32 v36, -1, v36, vcc
	v_lshrrev_b64 v[36:37], s88, v[36:37]
	v_and_b32_e32 v36, s97, v36
	v_lshl_or_b32 v36, v36, 4, v91
	ds_add_u32 v36, v117
	s_or_b64 exec, exec, s[18:19]
	v_cmp_gt_u32_e32 vcc, s20, v75
	s_and_saveexec_b64 s[18:19], vcc
	s_cbranch_execz .LBB1123_40
.LBB1123_55:                            ;   in Loop: Header=BB1123_16 Depth=2
	v_cmp_gt_i64_e32 vcc, 0, v[30:31]
	v_ashrrev_i32_e32 v37, 31, v31
	v_cndmask_b32_e64 v36, v133, 0, vcc
	v_not_b32_e32 v38, v37
	v_xor_b32_e32 v37, v36, v31
	v_xor_b32_e32 v36, v38, v30
	v_cmp_ne_u64_e32 vcc, s[72:73], v[36:37]
	v_cndmask_b32_e32 v37, v133, v37, vcc
	v_cndmask_b32_e32 v36, -1, v36, vcc
	v_lshrrev_b64 v[36:37], s88, v[36:37]
	v_and_b32_e32 v36, s97, v36
	v_lshl_or_b32 v36, v36, 4, v91
	ds_add_u32 v36, v117
	s_or_b64 exec, exec, s[18:19]
	v_cmp_gt_u32_e32 vcc, s20, v76
	s_and_saveexec_b64 s[18:19], vcc
	s_cbranch_execz .LBB1123_41
.LBB1123_56:                            ;   in Loop: Header=BB1123_16 Depth=2
	v_cmp_gt_i64_e32 vcc, 0, v[28:29]
	v_ashrrev_i32_e32 v37, 31, v29
	v_cndmask_b32_e64 v36, v133, 0, vcc
	v_not_b32_e32 v38, v37
	v_xor_b32_e32 v37, v36, v29
	v_xor_b32_e32 v36, v38, v28
	v_cmp_ne_u64_e32 vcc, s[72:73], v[36:37]
	v_cndmask_b32_e32 v37, v133, v37, vcc
	v_cndmask_b32_e32 v36, -1, v36, vcc
	v_lshrrev_b64 v[36:37], s88, v[36:37]
	v_and_b32_e32 v36, s97, v36
	v_lshl_or_b32 v36, v36, 4, v91
	ds_add_u32 v36, v117
	s_or_b64 exec, exec, s[18:19]
	v_cmp_gt_u32_e32 vcc, s20, v79
	s_and_saveexec_b64 s[18:19], vcc
	s_cbranch_execz .LBB1123_42
.LBB1123_57:                            ;   in Loop: Header=BB1123_16 Depth=2
	v_cmp_gt_i64_e32 vcc, 0, v[26:27]
	v_ashrrev_i32_e32 v37, 31, v27
	v_cndmask_b32_e64 v36, v133, 0, vcc
	v_not_b32_e32 v38, v37
	v_xor_b32_e32 v37, v36, v27
	v_xor_b32_e32 v36, v38, v26
	v_cmp_ne_u64_e32 vcc, s[72:73], v[36:37]
	v_cndmask_b32_e32 v37, v133, v37, vcc
	v_cndmask_b32_e32 v36, -1, v36, vcc
	v_lshrrev_b64 v[36:37], s88, v[36:37]
	v_and_b32_e32 v36, s97, v36
	v_lshl_or_b32 v36, v36, 4, v91
	ds_add_u32 v36, v117
	s_or_b64 exec, exec, s[18:19]
	v_cmp_gt_u32_e32 vcc, s20, v80
	s_and_saveexec_b64 s[18:19], vcc
	s_cbranch_execz .LBB1123_43
.LBB1123_58:                            ;   in Loop: Header=BB1123_16 Depth=2
	v_cmp_gt_i64_e32 vcc, 0, v[24:25]
	v_ashrrev_i32_e32 v37, 31, v25
	v_cndmask_b32_e64 v36, v133, 0, vcc
	v_not_b32_e32 v38, v37
	v_xor_b32_e32 v37, v36, v25
	v_xor_b32_e32 v36, v38, v24
	v_cmp_ne_u64_e32 vcc, s[72:73], v[36:37]
	v_cndmask_b32_e32 v37, v133, v37, vcc
	v_cndmask_b32_e32 v36, -1, v36, vcc
	v_lshrrev_b64 v[36:37], s88, v[36:37]
	v_and_b32_e32 v36, s97, v36
	v_lshl_or_b32 v36, v36, 4, v91
	ds_add_u32 v36, v117
	s_or_b64 exec, exec, s[18:19]
	v_cmp_gt_u32_e32 vcc, s20, v81
	s_and_saveexec_b64 s[18:19], vcc
	s_cbranch_execz .LBB1123_44
.LBB1123_59:                            ;   in Loop: Header=BB1123_16 Depth=2
	v_cmp_gt_i64_e32 vcc, 0, v[22:23]
	v_ashrrev_i32_e32 v37, 31, v23
	v_cndmask_b32_e64 v36, v133, 0, vcc
	v_not_b32_e32 v38, v37
	v_xor_b32_e32 v37, v36, v23
	v_xor_b32_e32 v36, v38, v22
	v_cmp_ne_u64_e32 vcc, s[72:73], v[36:37]
	v_cndmask_b32_e32 v37, v133, v37, vcc
	v_cndmask_b32_e32 v36, -1, v36, vcc
	v_lshrrev_b64 v[36:37], s88, v[36:37]
	v_and_b32_e32 v36, s97, v36
	v_lshl_or_b32 v36, v36, 4, v91
	ds_add_u32 v36, v117
	s_or_b64 exec, exec, s[18:19]
	v_cmp_gt_u32_e32 vcc, s20, v82
	s_and_saveexec_b64 s[18:19], vcc
	s_cbranch_execz .LBB1123_45
.LBB1123_60:                            ;   in Loop: Header=BB1123_16 Depth=2
	v_cmp_gt_i64_e32 vcc, 0, v[20:21]
	v_ashrrev_i32_e32 v37, 31, v21
	v_cndmask_b32_e64 v36, v133, 0, vcc
	v_not_b32_e32 v38, v37
	v_xor_b32_e32 v37, v36, v21
	v_xor_b32_e32 v36, v38, v20
	v_cmp_ne_u64_e32 vcc, s[72:73], v[36:37]
	v_cndmask_b32_e32 v37, v133, v37, vcc
	v_cndmask_b32_e32 v36, -1, v36, vcc
	v_lshrrev_b64 v[36:37], s88, v[36:37]
	v_and_b32_e32 v36, s97, v36
	v_lshl_or_b32 v36, v36, 4, v91
	ds_add_u32 v36, v117
	s_or_b64 exec, exec, s[18:19]
	v_cmp_gt_u32_e32 vcc, s20, v83
	s_and_saveexec_b64 s[18:19], vcc
	s_cbranch_execz .LBB1123_46
.LBB1123_61:                            ;   in Loop: Header=BB1123_16 Depth=2
	v_cmp_gt_i64_e32 vcc, 0, v[18:19]
	v_ashrrev_i32_e32 v37, 31, v19
	v_cndmask_b32_e64 v36, v133, 0, vcc
	v_not_b32_e32 v38, v37
	v_xor_b32_e32 v37, v36, v19
	v_xor_b32_e32 v36, v38, v18
	v_cmp_ne_u64_e32 vcc, s[72:73], v[36:37]
	v_cndmask_b32_e32 v37, v133, v37, vcc
	v_cndmask_b32_e32 v36, -1, v36, vcc
	v_lshrrev_b64 v[36:37], s88, v[36:37]
	v_and_b32_e32 v36, s97, v36
	v_lshl_or_b32 v36, v36, 4, v91
	ds_add_u32 v36, v117
	s_or_b64 exec, exec, s[18:19]
	v_cmp_gt_u32_e32 vcc, s20, v84
	s_and_saveexec_b64 s[18:19], vcc
	s_cbranch_execz .LBB1123_47
.LBB1123_62:                            ;   in Loop: Header=BB1123_16 Depth=2
	v_cmp_gt_i64_e32 vcc, 0, v[16:17]
	v_ashrrev_i32_e32 v37, 31, v17
	v_cndmask_b32_e64 v36, v133, 0, vcc
	v_not_b32_e32 v38, v37
	v_xor_b32_e32 v37, v36, v17
	v_xor_b32_e32 v36, v38, v16
	v_cmp_ne_u64_e32 vcc, s[72:73], v[36:37]
	v_cndmask_b32_e32 v37, v133, v37, vcc
	v_cndmask_b32_e32 v36, -1, v36, vcc
	v_lshrrev_b64 v[36:37], s88, v[36:37]
	v_and_b32_e32 v36, s97, v36
	v_lshl_or_b32 v36, v36, 4, v91
	ds_add_u32 v36, v117
	s_or_b64 exec, exec, s[18:19]
	v_cmp_gt_u32_e32 vcc, s20, v85
	s_and_saveexec_b64 s[18:19], vcc
	s_cbranch_execz .LBB1123_48
.LBB1123_63:                            ;   in Loop: Header=BB1123_16 Depth=2
	v_cmp_gt_i64_e32 vcc, 0, v[14:15]
	v_ashrrev_i32_e32 v37, 31, v15
	v_cndmask_b32_e64 v36, v133, 0, vcc
	v_not_b32_e32 v38, v37
	v_xor_b32_e32 v37, v36, v15
	v_xor_b32_e32 v36, v38, v14
	v_cmp_ne_u64_e32 vcc, s[72:73], v[36:37]
	v_cndmask_b32_e32 v37, v133, v37, vcc
	v_cndmask_b32_e32 v36, -1, v36, vcc
	v_lshrrev_b64 v[36:37], s88, v[36:37]
	v_and_b32_e32 v36, s97, v36
	v_lshl_or_b32 v36, v36, 4, v91
	ds_add_u32 v36, v117
	s_or_b64 exec, exec, s[18:19]
	v_cmp_gt_u32_e32 vcc, s20, v86
	s_and_saveexec_b64 s[18:19], vcc
	s_cbranch_execz .LBB1123_49
.LBB1123_64:                            ;   in Loop: Header=BB1123_16 Depth=2
	v_cmp_gt_i64_e32 vcc, 0, v[12:13]
	v_ashrrev_i32_e32 v37, 31, v13
	v_cndmask_b32_e64 v36, v133, 0, vcc
	v_not_b32_e32 v38, v37
	v_xor_b32_e32 v37, v36, v13
	v_xor_b32_e32 v36, v38, v12
	v_cmp_ne_u64_e32 vcc, s[72:73], v[36:37]
	v_cndmask_b32_e32 v37, v133, v37, vcc
	v_cndmask_b32_e32 v36, -1, v36, vcc
	v_lshrrev_b64 v[36:37], s88, v[36:37]
	v_and_b32_e32 v36, s97, v36
	v_lshl_or_b32 v36, v36, 4, v91
	ds_add_u32 v36, v117
	s_or_b64 exec, exec, s[18:19]
	v_cmp_gt_u32_e32 vcc, s20, v87
	s_and_saveexec_b64 s[18:19], vcc
	s_cbranch_execz .LBB1123_50
.LBB1123_65:                            ;   in Loop: Header=BB1123_16 Depth=2
	v_cmp_gt_i64_e32 vcc, 0, v[10:11]
	v_ashrrev_i32_e32 v37, 31, v11
	v_cndmask_b32_e64 v36, v133, 0, vcc
	v_not_b32_e32 v38, v37
	v_xor_b32_e32 v37, v36, v11
	v_xor_b32_e32 v36, v38, v10
	v_cmp_ne_u64_e32 vcc, s[72:73], v[36:37]
	v_cndmask_b32_e32 v37, v133, v37, vcc
	v_cndmask_b32_e32 v36, -1, v36, vcc
	v_lshrrev_b64 v[36:37], s88, v[36:37]
	v_and_b32_e32 v36, s97, v36
	v_lshl_or_b32 v36, v36, 4, v91
	ds_add_u32 v36, v117
	s_or_b64 exec, exec, s[18:19]
	v_cmp_gt_u32_e32 vcc, s20, v88
	s_and_saveexec_b64 s[18:19], vcc
	s_cbranch_execz .LBB1123_51
.LBB1123_66:                            ;   in Loop: Header=BB1123_16 Depth=2
	v_cmp_gt_i64_e32 vcc, 0, v[8:9]
	v_ashrrev_i32_e32 v37, 31, v9
	v_cndmask_b32_e64 v36, v133, 0, vcc
	v_not_b32_e32 v38, v37
	v_xor_b32_e32 v37, v36, v9
	v_xor_b32_e32 v36, v38, v8
	v_cmp_ne_u64_e32 vcc, s[72:73], v[36:37]
	v_cndmask_b32_e32 v37, v133, v37, vcc
	v_cndmask_b32_e32 v36, -1, v36, vcc
	v_lshrrev_b64 v[36:37], s88, v[36:37]
	v_and_b32_e32 v36, s97, v36
	v_lshl_or_b32 v36, v36, 4, v91
	ds_add_u32 v36, v117
	s_or_b64 exec, exec, s[18:19]
	v_cmp_gt_u32_e32 vcc, s20, v89
	s_and_saveexec_b64 s[18:19], vcc
	s_cbranch_execz .LBB1123_52
.LBB1123_67:                            ;   in Loop: Header=BB1123_16 Depth=2
	v_cmp_gt_i64_e32 vcc, 0, v[6:7]
	v_ashrrev_i32_e32 v37, 31, v7
	v_cndmask_b32_e64 v36, v133, 0, vcc
	v_not_b32_e32 v38, v37
	v_xor_b32_e32 v37, v36, v7
	v_xor_b32_e32 v36, v38, v6
	v_cmp_ne_u64_e32 vcc, s[72:73], v[36:37]
	v_cndmask_b32_e32 v37, v133, v37, vcc
	v_cndmask_b32_e32 v36, -1, v36, vcc
	v_lshrrev_b64 v[36:37], s88, v[36:37]
	v_and_b32_e32 v36, s97, v36
	v_lshl_or_b32 v36, v36, 4, v91
	ds_add_u32 v36, v117
	s_or_b64 exec, exec, s[18:19]
	v_cmp_gt_u32_e32 vcc, s20, v90
	s_and_saveexec_b64 s[18:19], vcc
	s_cbranch_execz .LBB1123_15
.LBB1123_68:                            ;   in Loop: Header=BB1123_16 Depth=2
	v_cmp_gt_i64_e32 vcc, 0, v[4:5]
	v_ashrrev_i32_e32 v37, 31, v5
	v_cndmask_b32_e64 v36, v133, 0, vcc
	v_not_b32_e32 v38, v37
	v_xor_b32_e32 v37, v36, v5
	v_xor_b32_e32 v36, v38, v4
	v_cmp_ne_u64_e32 vcc, s[72:73], v[36:37]
	v_cndmask_b32_e32 v37, v133, v37, vcc
	v_cndmask_b32_e32 v36, -1, v36, vcc
	v_lshrrev_b64 v[36:37], s88, v[36:37]
	v_and_b32_e32 v36, s97, v36
	v_lshl_or_b32 v36, v36, 4, v91
	ds_add_u32 v36, v117
	s_branch .LBB1123_15
.LBB1123_69:                            ;   in Loop: Header=BB1123_16 Depth=2
	global_load_dwordx2 v[34:35], v118, s[18:19]
	s_or_b64 exec, exec, s[20:21]
	v_cmp_gt_u32_e32 vcc, s22, v74
	s_and_saveexec_b64 s[20:21], vcc
	s_cbranch_execz .LBB1123_21
.LBB1123_70:                            ;   in Loop: Header=BB1123_16 Depth=2
	global_load_dwordx2 v[32:33], v118, s[18:19] offset:2048
	s_or_b64 exec, exec, s[20:21]
	v_cmp_gt_u32_e32 vcc, s22, v75
	s_and_saveexec_b64 s[20:21], vcc
	s_cbranch_execz .LBB1123_22
.LBB1123_71:                            ;   in Loop: Header=BB1123_16 Depth=2
	global_load_dwordx2 v[30:31], v119, s[18:19]
	s_or_b64 exec, exec, s[20:21]
	v_cmp_gt_u32_e32 vcc, s22, v76
	s_and_saveexec_b64 s[20:21], vcc
	s_cbranch_execz .LBB1123_23
.LBB1123_72:                            ;   in Loop: Header=BB1123_16 Depth=2
	global_load_dwordx2 v[28:29], v120, s[18:19]
	s_or_b64 exec, exec, s[20:21]
	v_cmp_gt_u32_e32 vcc, s22, v79
	s_and_saveexec_b64 s[20:21], vcc
	s_cbranch_execz .LBB1123_24
.LBB1123_73:                            ;   in Loop: Header=BB1123_16 Depth=2
	global_load_dwordx2 v[26:27], v121, s[18:19]
	s_or_b64 exec, exec, s[20:21]
	v_cmp_gt_u32_e32 vcc, s22, v80
	s_and_saveexec_b64 s[20:21], vcc
	s_cbranch_execz .LBB1123_25
.LBB1123_74:                            ;   in Loop: Header=BB1123_16 Depth=2
	global_load_dwordx2 v[24:25], v122, s[18:19]
	s_or_b64 exec, exec, s[20:21]
	v_cmp_gt_u32_e32 vcc, s22, v81
	s_and_saveexec_b64 s[20:21], vcc
	s_cbranch_execz .LBB1123_26
.LBB1123_75:                            ;   in Loop: Header=BB1123_16 Depth=2
	global_load_dwordx2 v[22:23], v123, s[18:19]
	s_or_b64 exec, exec, s[20:21]
	v_cmp_gt_u32_e32 vcc, s22, v82
	s_and_saveexec_b64 s[20:21], vcc
	s_cbranch_execz .LBB1123_27
.LBB1123_76:                            ;   in Loop: Header=BB1123_16 Depth=2
	global_load_dwordx2 v[20:21], v124, s[18:19]
	s_or_b64 exec, exec, s[20:21]
	v_cmp_gt_u32_e32 vcc, s22, v83
	s_and_saveexec_b64 s[20:21], vcc
	s_cbranch_execz .LBB1123_28
.LBB1123_77:                            ;   in Loop: Header=BB1123_16 Depth=2
	global_load_dwordx2 v[18:19], v125, s[18:19]
	s_or_b64 exec, exec, s[20:21]
	v_cmp_gt_u32_e32 vcc, s22, v84
	s_and_saveexec_b64 s[20:21], vcc
	s_cbranch_execz .LBB1123_29
.LBB1123_78:                            ;   in Loop: Header=BB1123_16 Depth=2
	global_load_dwordx2 v[16:17], v126, s[18:19]
	s_or_b64 exec, exec, s[20:21]
	v_cmp_gt_u32_e32 vcc, s22, v85
	s_and_saveexec_b64 s[20:21], vcc
	s_cbranch_execz .LBB1123_30
.LBB1123_79:                            ;   in Loop: Header=BB1123_16 Depth=2
	global_load_dwordx2 v[14:15], v127, s[18:19]
	s_or_b64 exec, exec, s[20:21]
	v_cmp_gt_u32_e32 vcc, s22, v86
	s_and_saveexec_b64 s[20:21], vcc
	s_cbranch_execz .LBB1123_31
.LBB1123_80:                            ;   in Loop: Header=BB1123_16 Depth=2
	global_load_dwordx2 v[12:13], v128, s[18:19]
	s_or_b64 exec, exec, s[20:21]
	v_cmp_gt_u32_e32 vcc, s22, v87
	s_and_saveexec_b64 s[20:21], vcc
	s_cbranch_execz .LBB1123_32
.LBB1123_81:                            ;   in Loop: Header=BB1123_16 Depth=2
	global_load_dwordx2 v[10:11], v129, s[18:19]
	s_or_b64 exec, exec, s[20:21]
	v_cmp_gt_u32_e32 vcc, s22, v88
	s_and_saveexec_b64 s[20:21], vcc
	s_cbranch_execz .LBB1123_33
.LBB1123_82:                            ;   in Loop: Header=BB1123_16 Depth=2
	global_load_dwordx2 v[8:9], v130, s[18:19]
	s_or_b64 exec, exec, s[20:21]
	v_cmp_gt_u32_e32 vcc, s22, v89
	s_and_saveexec_b64 s[20:21], vcc
	s_cbranch_execz .LBB1123_34
.LBB1123_83:                            ;   in Loop: Header=BB1123_16 Depth=2
	global_load_dwordx2 v[6:7], v131, s[18:19]
	s_or_b64 exec, exec, s[20:21]
	v_cmp_gt_u32_e32 vcc, s22, v90
	s_and_saveexec_b64 s[20:21], vcc
	s_cbranch_execnz .LBB1123_35
	s_branch .LBB1123_36
.LBB1123_84:                            ;   in Loop: Header=BB1123_12 Depth=1
	v_mov_b32_e32 v4, 0
	s_waitcnt lgkmcnt(0)
	s_barrier
	s_and_saveexec_b64 s[18:19], s[4:5]
	s_cbranch_execz .LBB1123_86
; %bb.85:                               ;   in Loop: Header=BB1123_12 Depth=1
	ds_read2_b64 v[4:7], v92 offset1:1
	s_waitcnt lgkmcnt(0)
	v_add_u32_e32 v4, v5, v4
	v_add3_u32 v4, v4, v6, v7
.LBB1123_86:                            ;   in Loop: Header=BB1123_12 Depth=1
	s_or_b64 exec, exec, s[18:19]
	v_and_b32_e32 v5, 15, v134
	v_mov_b32_dpp v6, v4 row_shr:1 row_mask:0xf bank_mask:0xf
	v_cmp_eq_u32_e64 s[18:19], 0, v5
	v_cndmask_b32_e64 v6, v6, 0, s[18:19]
	v_add_u32_e32 v4, v6, v4
	v_cmp_lt_u32_e64 s[20:21], 1, v5
	v_cmp_lt_u32_e64 s[22:23], 3, v5
	v_mov_b32_dpp v6, v4 row_shr:2 row_mask:0xf bank_mask:0xf
	v_cndmask_b32_e64 v6, 0, v6, s[20:21]
	v_add_u32_e32 v4, v4, v6
	v_cmp_lt_u32_e64 s[24:25], 7, v5
	v_cmp_lt_u32_e64 s[28:29], 31, v134
	v_mov_b32_dpp v6, v4 row_shr:4 row_mask:0xf bank_mask:0xf
	v_cndmask_b32_e64 v6, 0, v6, s[22:23]
	v_add_u32_e32 v4, v4, v6
	v_and_b32_e32 v7, 16, v134
	v_cmp_eq_u32_e64 s[26:27], 0, v7
	v_mov_b32_dpp v6, v4 row_shr:8 row_mask:0xf bank_mask:0xf
	v_cndmask_b32_e64 v5, 0, v6, s[24:25]
	v_add_u32_e32 v4, v4, v5
	v_bfe_i32 v6, v134, 4, 1
	s_nop 0
	v_mov_b32_dpp v5, v4 row_bcast:15 row_mask:0xf bank_mask:0xf
	v_and_b32_e32 v5, v6, v5
	v_add_u32_e32 v4, v4, v5
	s_nop 1
	v_mov_b32_dpp v5, v4 row_bcast:31 row_mask:0xf bank_mask:0xf
	v_cndmask_b32_e64 v5, 0, v5, s[28:29]
	v_add_u32_e32 v5, v4, v5
	s_and_saveexec_b64 s[30:31], s[8:9]
; %bb.87:                               ;   in Loop: Header=BB1123_12 Depth=1
	ds_write_b32 v94, v5
; %bb.88:                               ;   in Loop: Header=BB1123_12 Depth=1
	s_or_b64 exec, exec, s[30:31]
	v_and_b32_e32 v4, 3, v134
	s_waitcnt lgkmcnt(0)
	s_barrier
	s_and_saveexec_b64 s[30:31], s[10:11]
	s_cbranch_execz .LBB1123_90
; %bb.89:                               ;   in Loop: Header=BB1123_12 Depth=1
	ds_read_b32 v6, v95
	v_cmp_ne_u32_e32 vcc, 0, v4
	s_waitcnt lgkmcnt(0)
	v_mov_b32_dpp v7, v6 row_shr:1 row_mask:0xf bank_mask:0xf
	v_cndmask_b32_e32 v7, 0, v7, vcc
	v_add_u32_e32 v6, v7, v6
	v_cmp_lt_u32_e32 vcc, 1, v4
	s_nop 0
	v_mov_b32_dpp v7, v6 row_shr:2 row_mask:0xf bank_mask:0xf
	v_cndmask_b32_e32 v7, 0, v7, vcc
	v_add_u32_e32 v6, v6, v7
	ds_write_b32 v95, v6
.LBB1123_90:                            ;   in Loop: Header=BB1123_12 Depth=1
	s_or_b64 exec, exec, s[30:31]
	v_mov_b32_e32 v6, 0
	s_waitcnt lgkmcnt(0)
	s_barrier
	s_and_saveexec_b64 s[30:31], s[12:13]
; %bb.91:                               ;   in Loop: Header=BB1123_12 Depth=1
	ds_read_b32 v6, v96
; %bb.92:                               ;   in Loop: Header=BB1123_12 Depth=1
	s_or_b64 exec, exec, s[30:31]
	v_subrev_co_u32_e64 v7, s[30:31], 1, v134
	v_and_b32_e32 v8, 64, v134
	v_cmp_lt_i32_e32 vcc, v7, v8
	v_cndmask_b32_e32 v7, v7, v134, vcc
	s_waitcnt lgkmcnt(0)
	v_add_u32_e32 v5, v6, v5
	v_lshlrev_b32_e32 v135, 2, v7
	ds_bpermute_b32 v5, v135, v5
	s_waitcnt lgkmcnt(0)
	s_barrier
	s_and_saveexec_b64 s[34:35], s[4:5]
; %bb.93:                               ;   in Loop: Header=BB1123_12 Depth=1
	v_cndmask_b32_e64 v5, v5, v6, s[30:31]
	v_add_u32_e32 v5, s94, v5
	ds_write_b32 v73, v5
; %bb.94:                               ;   in Loop: Header=BB1123_12 Depth=1
	s_or_b64 exec, exec, s[34:35]
	s_load_dword s34, s[74:75], 0x4
	s_load_dword s38, s[74:75], 0xc
	v_cmp_lt_u32_e64 s[36:37], 1, v4
	s_mov_b32 s98, s91
	s_mov_b32 s82, s94
	s_waitcnt lgkmcnt(0)
	s_cmp_lt_u32 s33, s34
	s_cselect_b32 s34, 14, 20
	s_add_u32 s34, s74, s34
	s_addc_u32 s35, s75, 0
	global_load_ushort v37, v3, s[34:35]
	v_cmp_eq_u32_e64 s[34:35], 0, v4
	v_and_b32_e32 v4, 63, v134
	v_lshlrev_b32_e32 v39, 3, v4
	v_or_b32_e32 v143, v4, v97
	s_and_b32 s38, s38, 0xffff
	v_add_co_u32_e32 v145, vcc, v100, v39
	v_addc_co_u32_e32 v147, vcc, 0, v101, vcc
	v_add_co_u32_e32 v170, vcc, v102, v39
	v_or_b32_e32 v149, 64, v143
	v_or_b32_e32 v151, 0x80, v143
	;; [unrolled: 1-line block ×15, first 2 shown]
	v_addc_co_u32_e32 v171, vcc, 0, v103, vcc
                                        ; implicit-def: $vgpr5_vgpr6
                                        ; implicit-def: $vgpr7_vgpr8
                                        ; implicit-def: $vgpr9_vgpr10
                                        ; implicit-def: $vgpr13_vgpr14
                                        ; implicit-def: $vgpr17_vgpr18
                                        ; implicit-def: $vgpr21_vgpr22
                                        ; implicit-def: $vgpr25_vgpr26
                                        ; implicit-def: $vgpr29_vgpr30
                                        ; implicit-def: $vgpr11_vgpr12
                                        ; implicit-def: $vgpr15_vgpr16
                                        ; implicit-def: $vgpr19_vgpr20
                                        ; implicit-def: $vgpr23_vgpr24
                                        ; implicit-def: $vgpr27_vgpr28
                                        ; implicit-def: $vgpr31_vgpr32
                                        ; implicit-def: $vgpr33_vgpr34
                                        ; implicit-def: $vgpr35_vgpr36
                                        ; implicit-def: $vgpr136
                                        ; implicit-def: $vgpr137
                                        ; implicit-def: $vgpr138
                                        ; implicit-def: $vgpr139
                                        ; implicit-def: $vgpr140
                                        ; implicit-def: $vgpr141
                                        ; implicit-def: $vgpr142
                                        ; implicit-def: $vgpr144
                                        ; implicit-def: $vgpr146
                                        ; implicit-def: $vgpr148
                                        ; implicit-def: $vgpr150
                                        ; implicit-def: $vgpr152
                                        ; implicit-def: $vgpr154
                                        ; implicit-def: $vgpr156
                                        ; implicit-def: $vgpr158
                                        ; implicit-def: $vgpr160
	s_waitcnt vmcnt(0)
	v_mad_u32_u24 v4, v2, v37, v1
	v_mad_u64_u32 v[37:38], s[38:39], v4, s38, v[0:1]
	v_lshrrev_b32_e32 v4, 4, v37
	v_and_b32_e32 v172, 0xffffffc, v4
	s_branch .LBB1123_96
.LBB1123_95:                            ;   in Loop: Header=BB1123_96 Depth=2
	s_or_b64 exec, exec, s[38:39]
	s_addk_i32 s98, 0xf000
	s_cmp_lt_u32 s99, s95
	s_mov_b32 s82, s99
	s_cbranch_scc0 .LBB1123_304
.LBB1123_96:                            ;   Parent Loop BB1123_12 Depth=1
                                        ; =>  This Inner Loop Header: Depth=2
	s_add_i32 s99, s82, 0x1000
	s_cmp_gt_u32 s99, s95
	s_cbranch_scc1 .LBB1123_98
; %bb.97:                               ;   in Loop: Header=BB1123_96 Depth=2
	s_mov_b32 s83, s72
	s_lshl_b64 s[38:39], s[82:83], 3
	v_mov_b32_e32 v4, s39
	v_add_co_u32_e32 v41, vcc, s38, v170
	v_addc_co_u32_e32 v42, vcc, v171, v4, vcc
	global_load_dwordx2 v[37:38], v[41:42], off
	global_load_dwordx2 v[39:40], v[41:42], off offset:512
	global_load_dwordx2 v[45:46], v[41:42], off offset:1024
	;; [unrolled: 1-line block ×7, first 2 shown]
	v_add_co_u32_e32 v41, vcc, 0x1000, v41
	v_addc_co_u32_e32 v42, vcc, 0, v42, vcc
	global_load_dwordx2 v[67:68], v[41:42], off
	global_load_dwordx2 v[61:62], v[41:42], off offset:512
	global_load_dwordx2 v[59:60], v[41:42], off offset:1024
	;; [unrolled: 1-line block ×5, first 2 shown]
	s_nop 0
	global_load_dwordx2 v[41:42], v[41:42], off offset:3072
	s_mov_b64 s[38:39], -1
	s_movk_i32 s42, 0x1000
	s_cbranch_execz .LBB1123_99
	s_branch .LBB1123_130
.LBB1123_98:                            ;   in Loop: Header=BB1123_96 Depth=2
	s_mov_b64 s[38:39], 0
                                        ; implicit-def: $vgpr37_vgpr38
                                        ; implicit-def: $vgpr39_vgpr40
                                        ; implicit-def: $vgpr45_vgpr46
                                        ; implicit-def: $vgpr49_vgpr50
                                        ; implicit-def: $vgpr53_vgpr54
                                        ; implicit-def: $vgpr57_vgpr58
                                        ; implicit-def: $vgpr63_vgpr64
                                        ; implicit-def: $vgpr65_vgpr66
                                        ; implicit-def: $vgpr67_vgpr68
                                        ; implicit-def: $vgpr61_vgpr62
                                        ; implicit-def: $vgpr59_vgpr60
                                        ; implicit-def: $vgpr55_vgpr56
                                        ; implicit-def: $vgpr51_vgpr52
                                        ; implicit-def: $vgpr47_vgpr48
                                        ; implicit-def: $vgpr41_vgpr42
	s_movk_i32 s42, 0x1000
.LBB1123_99:                            ;   in Loop: Header=BB1123_96 Depth=2
	s_mov_b32 s83, s72
	s_lshl_b64 s[38:39], s[82:83], 3
	v_mov_b32_e32 v4, s39
	v_add_co_u32_e32 v43, vcc, s38, v170
	v_addc_co_u32_e32 v44, vcc, v171, v4, vcc
	s_waitcnt vmcnt(13)
	v_mov_b32_e32 v39, -1
	v_mov_b32_e32 v37, -1
	;; [unrolled: 1-line block ×4, first 2 shown]
	v_cmp_gt_u32_e32 vcc, s98, v143
	s_and_saveexec_b64 s[38:39], vcc
	s_cbranch_execz .LBB1123_101
; %bb.100:                              ;   in Loop: Header=BB1123_96 Depth=2
	global_load_dwordx2 v[37:38], v[43:44], off
.LBB1123_101:                           ;   in Loop: Header=BB1123_96 Depth=2
	s_or_b64 exec, exec, s[38:39]
	v_cmp_gt_u32_e32 vcc, s98, v149
	s_and_saveexec_b64 s[38:39], vcc
	s_cbranch_execz .LBB1123_103
; %bb.102:                              ;   in Loop: Header=BB1123_96 Depth=2
	global_load_dwordx2 v[39:40], v[43:44], off offset:512
.LBB1123_103:                           ;   in Loop: Header=BB1123_96 Depth=2
	s_or_b64 exec, exec, s[38:39]
	s_waitcnt vmcnt(11)
	v_mov_b32_e32 v49, -1
	v_mov_b32_e32 v45, -1
	v_mov_b32_e32 v50, -1
	v_mov_b32_e32 v46, -1
	v_cmp_gt_u32_e32 vcc, s98, v151
	s_and_saveexec_b64 s[38:39], vcc
	s_cbranch_execz .LBB1123_105
; %bb.104:                              ;   in Loop: Header=BB1123_96 Depth=2
	global_load_dwordx2 v[45:46], v[43:44], off offset:1024
.LBB1123_105:                           ;   in Loop: Header=BB1123_96 Depth=2
	s_or_b64 exec, exec, s[38:39]
	v_cmp_gt_u32_e32 vcc, s98, v153
	s_and_saveexec_b64 s[38:39], vcc
	s_cbranch_execz .LBB1123_107
; %bb.106:                              ;   in Loop: Header=BB1123_96 Depth=2
	global_load_dwordx2 v[49:50], v[43:44], off offset:1536
.LBB1123_107:                           ;   in Loop: Header=BB1123_96 Depth=2
	s_or_b64 exec, exec, s[38:39]
	s_waitcnt vmcnt(9)
	v_mov_b32_e32 v57, -1
	v_mov_b32_e32 v53, -1
	v_mov_b32_e32 v58, -1
	v_mov_b32_e32 v54, -1
	v_cmp_gt_u32_e32 vcc, s98, v155
	s_and_saveexec_b64 s[38:39], vcc
	s_cbranch_execz .LBB1123_109
; %bb.108:                              ;   in Loop: Header=BB1123_96 Depth=2
	global_load_dwordx2 v[53:54], v[43:44], off offset:2048
.LBB1123_109:                           ;   in Loop: Header=BB1123_96 Depth=2
	;; [unrolled: 19-line block ×3, first 2 shown]
	s_or_b64 exec, exec, s[38:39]
	v_cmp_gt_u32_e32 vcc, s98, v161
	s_and_saveexec_b64 s[38:39], vcc
	s_cbranch_execz .LBB1123_115
; %bb.114:                              ;   in Loop: Header=BB1123_96 Depth=2
	global_load_dwordx2 v[65:66], v[43:44], off offset:3584
.LBB1123_115:                           ;   in Loop: Header=BB1123_96 Depth=2
	s_or_b64 exec, exec, s[38:39]
	s_waitcnt vmcnt(5)
	v_mov_b32_e32 v61, -1
	v_mov_b32_e32 v67, -1
	v_mov_b32_e32 v62, -1
	v_mov_b32_e32 v68, -1
	v_cmp_gt_u32_e32 vcc, s98, v162
	s_and_saveexec_b64 s[38:39], vcc
	s_cbranch_execz .LBB1123_117
; %bb.116:                              ;   in Loop: Header=BB1123_96 Depth=2
	s_waitcnt vmcnt(0)
	v_add_co_u32_e32 v41, vcc, 0x1000, v43
	v_addc_co_u32_e32 v42, vcc, 0, v44, vcc
	global_load_dwordx2 v[67:68], v[41:42], off
.LBB1123_117:                           ;   in Loop: Header=BB1123_96 Depth=2
	s_or_b64 exec, exec, s[38:39]
	v_cmp_gt_u32_e32 vcc, s98, v163
	s_and_saveexec_b64 s[38:39], vcc
	s_cbranch_execz .LBB1123_119
; %bb.118:                              ;   in Loop: Header=BB1123_96 Depth=2
	s_waitcnt vmcnt(0)
	v_add_co_u32_e32 v41, vcc, 0x1000, v43
	v_addc_co_u32_e32 v42, vcc, 0, v44, vcc
	global_load_dwordx2 v[61:62], v[41:42], off offset:512
.LBB1123_119:                           ;   in Loop: Header=BB1123_96 Depth=2
	s_or_b64 exec, exec, s[38:39]
	s_waitcnt vmcnt(3)
	v_mov_b32_e32 v55, -1
	v_mov_b32_e32 v59, -1
	;; [unrolled: 1-line block ×4, first 2 shown]
	v_cmp_gt_u32_e32 vcc, s98, v164
	s_and_saveexec_b64 s[38:39], vcc
	s_cbranch_execz .LBB1123_121
; %bb.120:                              ;   in Loop: Header=BB1123_96 Depth=2
	s_waitcnt vmcnt(0)
	v_add_co_u32_e32 v41, vcc, 0x1000, v43
	v_addc_co_u32_e32 v42, vcc, 0, v44, vcc
	global_load_dwordx2 v[59:60], v[41:42], off offset:1024
.LBB1123_121:                           ;   in Loop: Header=BB1123_96 Depth=2
	s_or_b64 exec, exec, s[38:39]
	v_cmp_gt_u32_e32 vcc, s98, v165
	s_and_saveexec_b64 s[38:39], vcc
	s_cbranch_execz .LBB1123_123
; %bb.122:                              ;   in Loop: Header=BB1123_96 Depth=2
	s_waitcnt vmcnt(0)
	v_add_co_u32_e32 v41, vcc, 0x1000, v43
	v_addc_co_u32_e32 v42, vcc, 0, v44, vcc
	global_load_dwordx2 v[55:56], v[41:42], off offset:1536
.LBB1123_123:                           ;   in Loop: Header=BB1123_96 Depth=2
	s_or_b64 exec, exec, s[38:39]
	s_waitcnt vmcnt(1)
	v_mov_b32_e32 v47, -1
	v_mov_b32_e32 v51, -1
	;; [unrolled: 1-line block ×4, first 2 shown]
	v_cmp_gt_u32_e32 vcc, s98, v166
	s_and_saveexec_b64 s[38:39], vcc
	s_cbranch_execz .LBB1123_125
; %bb.124:                              ;   in Loop: Header=BB1123_96 Depth=2
	s_waitcnt vmcnt(0)
	v_add_co_u32_e32 v41, vcc, 0x1000, v43
	v_addc_co_u32_e32 v42, vcc, 0, v44, vcc
	global_load_dwordx2 v[51:52], v[41:42], off offset:2048
.LBB1123_125:                           ;   in Loop: Header=BB1123_96 Depth=2
	s_or_b64 exec, exec, s[38:39]
	v_cmp_gt_u32_e32 vcc, s98, v167
	s_and_saveexec_b64 s[38:39], vcc
	s_cbranch_execz .LBB1123_127
; %bb.126:                              ;   in Loop: Header=BB1123_96 Depth=2
	s_waitcnt vmcnt(0)
	v_add_co_u32_e32 v41, vcc, 0x1000, v43
	v_addc_co_u32_e32 v42, vcc, 0, v44, vcc
	global_load_dwordx2 v[47:48], v[41:42], off offset:2560
.LBB1123_127:                           ;   in Loop: Header=BB1123_96 Depth=2
	s_or_b64 exec, exec, s[38:39]
	s_waitcnt vmcnt(0)
	v_mov_b32_e32 v41, -1
	v_mov_b32_e32 v42, -1
	v_cmp_gt_u32_e32 vcc, s98, v168
	s_and_saveexec_b64 s[38:39], vcc
	s_cbranch_execz .LBB1123_129
; %bb.128:                              ;   in Loop: Header=BB1123_96 Depth=2
	v_add_co_u32_e32 v41, vcc, 0x1000, v43
	v_addc_co_u32_e32 v42, vcc, 0, v44, vcc
	global_load_dwordx2 v[41:42], v[41:42], off offset:3072
.LBB1123_129:                           ;   in Loop: Header=BB1123_96 Depth=2
	s_or_b64 exec, exec, s[38:39]
	s_sub_i32 s42, s95, s82
	v_cmp_gt_u32_e64 s[38:39], s98, v169
.LBB1123_130:                           ;   in Loop: Header=BB1123_96 Depth=2
	v_mov_b32_e32 v43, -1
	v_mov_b32_e32 v44, -1
	v_mov_b32_e32 v173, s98
	s_and_saveexec_b64 s[40:41], s[38:39]
	s_cbranch_execz .LBB1123_132
; %bb.131:                              ;   in Loop: Header=BB1123_96 Depth=2
	s_lshl_b64 s[38:39], s[82:83], 3
	v_mov_b32_e32 v4, s39
	v_add_co_u32_e32 v43, vcc, s38, v170
	v_addc_co_u32_e32 v4, vcc, v171, v4, vcc
	v_add_co_u32_e32 v43, vcc, 0x1000, v43
	v_addc_co_u32_e32 v44, vcc, 0, v4, vcc
	global_load_dwordx2 v[43:44], v[43:44], off offset:3584
	v_mov_b32_e32 v173, s42
.LBB1123_132:                           ;   in Loop: Header=BB1123_96 Depth=2
	s_or_b64 exec, exec, s[40:41]
	s_waitcnt vmcnt(14)
	v_cmp_gt_i64_e32 vcc, 0, v[37:38]
	v_ashrrev_i32_e32 v69, 31, v38
	v_cndmask_b32_e64 v4, v133, 0, vcc
	v_not_b32_e32 v69, v69
	v_xor_b32_e32 v38, v4, v38
	v_xor_b32_e32 v37, v69, v37
	v_cmp_ne_u64_e32 vcc, s[72:73], v[37:38]
	v_add_u32_e32 v175, 0x410, v98
	v_cndmask_b32_e32 v70, v133, v38, vcc
	v_cndmask_b32_e32 v69, -1, v37, vcc
	v_lshrrev_b64 v[69:70], s88, v[69:70]
	v_add_u32_e32 v174, 0x418, v98
	v_and_b32_e32 v69, s97, v69
	v_and_b32_e32 v4, 1, v69
	v_add_co_u32_e32 v70, vcc, -1, v4
	v_addc_co_u32_e64 v72, s[38:39], 0, -1, vcc
	v_cmp_ne_u32_e32 vcc, 0, v4
	v_xor_b32_e32 v4, vcc_hi, v72
	v_and_b32_e32 v72, exec_hi, v4
	v_lshlrev_b32_e32 v4, 30, v69
	v_xor_b32_e32 v70, vcc_lo, v70
	v_cmp_gt_i64_e32 vcc, 0, v[3:4]
	v_not_b32_e32 v4, v4
	v_ashrrev_i32_e32 v4, 31, v4
	v_and_b32_e32 v70, exec_lo, v70
	v_xor_b32_e32 v176, vcc_hi, v4
	v_xor_b32_e32 v4, vcc_lo, v4
	v_and_b32_e32 v70, v70, v4
	v_lshlrev_b32_e32 v4, 29, v69
	v_cmp_gt_i64_e32 vcc, 0, v[3:4]
	v_not_b32_e32 v4, v4
	v_ashrrev_i32_e32 v4, 31, v4
	v_and_b32_e32 v72, v72, v176
	v_xor_b32_e32 v176, vcc_hi, v4
	v_xor_b32_e32 v4, vcc_lo, v4
	v_and_b32_e32 v70, v70, v4
	v_lshlrev_b32_e32 v4, 28, v69
	v_cmp_gt_i64_e32 vcc, 0, v[3:4]
	v_not_b32_e32 v4, v4
	v_ashrrev_i32_e32 v4, 31, v4
	v_and_b32_e32 v72, v72, v176
	;; [unrolled: 8-line block ×5, first 2 shown]
	v_xor_b32_e32 v176, vcc_hi, v4
	v_xor_b32_e32 v4, vcc_lo, v4
	v_and_b32_e32 v72, v72, v176
	v_and_b32_e32 v176, v70, v4
	v_lshlrev_b32_e32 v4, 24, v69
	v_cmp_gt_i64_e32 vcc, 0, v[3:4]
	v_not_b32_e32 v4, v4
	v_ashrrev_i32_e32 v4, 31, v4
	v_mul_u32_u24_e32 v71, 20, v69
	v_xor_b32_e32 v69, vcc_hi, v4
	v_xor_b32_e32 v4, vcc_lo, v4
	v_and_b32_e32 v70, v72, v69
	v_and_b32_e32 v69, v176, v4
	v_mbcnt_lo_u32_b32 v4, v69, 0
	v_mbcnt_hi_u32_b32 v176, v70, v4
	v_cmp_ne_u64_e32 vcc, 0, v[69:70]
	v_cmp_eq_u32_e64 s[38:39], 0, v176
	s_and_b64 s[40:41], vcc, s[38:39]
	v_add_u32_e32 v178, v172, v71
	ds_write2_b32 v175, v3, v3 offset1:1
	ds_write2_b32 v174, v3, v3 offset1:1
	ds_write_b32 v98, v3 offset:1056
	s_waitcnt vmcnt(0) lgkmcnt(0)
	s_barrier
	; wave barrier
	s_and_saveexec_b64 s[38:39], s[40:41]
; %bb.133:                              ;   in Loop: Header=BB1123_96 Depth=2
	v_bcnt_u32_b32 v4, v69, 0
	v_bcnt_u32_b32 v4, v70, v4
	ds_write_b32 v178, v4 offset:1040
; %bb.134:                              ;   in Loop: Header=BB1123_96 Depth=2
	s_or_b64 exec, exec, s[38:39]
	v_cmp_gt_i64_e32 vcc, 0, v[39:40]
	v_ashrrev_i32_e32 v69, 31, v40
	v_cndmask_b32_e64 v4, v133, 0, vcc
	v_not_b32_e32 v69, v69
	v_xor_b32_e32 v40, v4, v40
	v_xor_b32_e32 v39, v69, v39
	v_cmp_ne_u64_e32 vcc, s[72:73], v[39:40]
	v_cndmask_b32_e32 v70, v133, v40, vcc
	v_cndmask_b32_e32 v69, -1, v39, vcc
	v_lshrrev_b64 v[69:70], s88, v[69:70]
	; wave barrier
	v_and_b32_e32 v69, s97, v69
	v_mad_u32_u24 v4, v69, 20, v172
	ds_read_b32 v177, v4 offset:1040
	v_and_b32_e32 v4, 1, v69
	v_add_co_u32_e32 v70, vcc, -1, v4
	v_addc_co_u32_e64 v72, s[38:39], 0, -1, vcc
	v_cmp_ne_u32_e32 vcc, 0, v4
	v_xor_b32_e32 v4, vcc_hi, v72
	v_and_b32_e32 v72, exec_hi, v4
	v_lshlrev_b32_e32 v4, 30, v69
	v_xor_b32_e32 v70, vcc_lo, v70
	v_cmp_gt_i64_e32 vcc, 0, v[3:4]
	v_not_b32_e32 v4, v4
	v_ashrrev_i32_e32 v4, 31, v4
	v_and_b32_e32 v70, exec_lo, v70
	v_xor_b32_e32 v179, vcc_hi, v4
	v_xor_b32_e32 v4, vcc_lo, v4
	v_and_b32_e32 v70, v70, v4
	v_lshlrev_b32_e32 v4, 29, v69
	v_cmp_gt_i64_e32 vcc, 0, v[3:4]
	v_not_b32_e32 v4, v4
	v_ashrrev_i32_e32 v4, 31, v4
	v_and_b32_e32 v72, v72, v179
	v_xor_b32_e32 v179, vcc_hi, v4
	v_xor_b32_e32 v4, vcc_lo, v4
	v_and_b32_e32 v70, v70, v4
	v_lshlrev_b32_e32 v4, 28, v69
	v_cmp_gt_i64_e32 vcc, 0, v[3:4]
	v_not_b32_e32 v4, v4
	v_ashrrev_i32_e32 v4, 31, v4
	v_and_b32_e32 v72, v72, v179
	;; [unrolled: 8-line block ×5, first 2 shown]
	v_xor_b32_e32 v179, vcc_hi, v4
	v_xor_b32_e32 v4, vcc_lo, v4
	v_and_b32_e32 v72, v72, v179
	v_and_b32_e32 v179, v70, v4
	v_lshlrev_b32_e32 v4, 24, v69
	v_cmp_gt_i64_e32 vcc, 0, v[3:4]
	v_not_b32_e32 v4, v4
	v_ashrrev_i32_e32 v4, 31, v4
	v_mul_u32_u24_e32 v71, 20, v69
	v_xor_b32_e32 v69, vcc_hi, v4
	v_xor_b32_e32 v4, vcc_lo, v4
	v_and_b32_e32 v70, v72, v69
	v_and_b32_e32 v69, v179, v4
	v_mbcnt_lo_u32_b32 v4, v69, 0
	v_mbcnt_hi_u32_b32 v179, v70, v4
	v_cmp_ne_u64_e32 vcc, 0, v[69:70]
	v_cmp_eq_u32_e64 s[38:39], 0, v179
	s_and_b64 s[40:41], vcc, s[38:39]
	v_add_u32_e32 v181, v172, v71
	; wave barrier
	s_and_saveexec_b64 s[38:39], s[40:41]
	s_cbranch_execz .LBB1123_136
; %bb.135:                              ;   in Loop: Header=BB1123_96 Depth=2
	v_bcnt_u32_b32 v4, v69, 0
	v_bcnt_u32_b32 v4, v70, v4
	s_waitcnt lgkmcnt(0)
	v_add_u32_e32 v4, v177, v4
	ds_write_b32 v181, v4 offset:1040
.LBB1123_136:                           ;   in Loop: Header=BB1123_96 Depth=2
	s_or_b64 exec, exec, s[38:39]
	v_cmp_gt_i64_e32 vcc, 0, v[45:46]
	v_ashrrev_i32_e32 v69, 31, v46
	v_cndmask_b32_e64 v4, v133, 0, vcc
	v_not_b32_e32 v69, v69
	v_xor_b32_e32 v46, v4, v46
	v_xor_b32_e32 v45, v69, v45
	v_cmp_ne_u64_e32 vcc, s[72:73], v[45:46]
	v_cndmask_b32_e32 v70, v133, v46, vcc
	v_cndmask_b32_e32 v69, -1, v45, vcc
	v_lshrrev_b64 v[69:70], s88, v[69:70]
	; wave barrier
	v_and_b32_e32 v69, s97, v69
	v_mad_u32_u24 v4, v69, 20, v172
	ds_read_b32 v180, v4 offset:1040
	v_and_b32_e32 v4, 1, v69
	v_add_co_u32_e32 v70, vcc, -1, v4
	v_addc_co_u32_e64 v72, s[38:39], 0, -1, vcc
	v_cmp_ne_u32_e32 vcc, 0, v4
	v_xor_b32_e32 v4, vcc_hi, v72
	v_and_b32_e32 v72, exec_hi, v4
	v_lshlrev_b32_e32 v4, 30, v69
	v_xor_b32_e32 v70, vcc_lo, v70
	v_cmp_gt_i64_e32 vcc, 0, v[3:4]
	v_not_b32_e32 v4, v4
	v_ashrrev_i32_e32 v4, 31, v4
	v_and_b32_e32 v70, exec_lo, v70
	v_xor_b32_e32 v182, vcc_hi, v4
	v_xor_b32_e32 v4, vcc_lo, v4
	v_and_b32_e32 v70, v70, v4
	v_lshlrev_b32_e32 v4, 29, v69
	v_cmp_gt_i64_e32 vcc, 0, v[3:4]
	v_not_b32_e32 v4, v4
	v_ashrrev_i32_e32 v4, 31, v4
	v_and_b32_e32 v72, v72, v182
	v_xor_b32_e32 v182, vcc_hi, v4
	v_xor_b32_e32 v4, vcc_lo, v4
	v_and_b32_e32 v70, v70, v4
	v_lshlrev_b32_e32 v4, 28, v69
	v_cmp_gt_i64_e32 vcc, 0, v[3:4]
	v_not_b32_e32 v4, v4
	v_ashrrev_i32_e32 v4, 31, v4
	v_and_b32_e32 v72, v72, v182
	;; [unrolled: 8-line block ×5, first 2 shown]
	v_xor_b32_e32 v182, vcc_hi, v4
	v_xor_b32_e32 v4, vcc_lo, v4
	v_and_b32_e32 v72, v72, v182
	v_and_b32_e32 v182, v70, v4
	v_lshlrev_b32_e32 v4, 24, v69
	v_cmp_gt_i64_e32 vcc, 0, v[3:4]
	v_not_b32_e32 v4, v4
	v_ashrrev_i32_e32 v4, 31, v4
	v_mul_u32_u24_e32 v71, 20, v69
	v_xor_b32_e32 v69, vcc_hi, v4
	v_xor_b32_e32 v4, vcc_lo, v4
	v_and_b32_e32 v70, v72, v69
	v_and_b32_e32 v69, v182, v4
	v_mbcnt_lo_u32_b32 v4, v69, 0
	v_mbcnt_hi_u32_b32 v182, v70, v4
	v_cmp_ne_u64_e32 vcc, 0, v[69:70]
	v_cmp_eq_u32_e64 s[38:39], 0, v182
	s_and_b64 s[40:41], vcc, s[38:39]
	v_add_u32_e32 v184, v172, v71
	; wave barrier
	s_and_saveexec_b64 s[38:39], s[40:41]
	s_cbranch_execz .LBB1123_138
; %bb.137:                              ;   in Loop: Header=BB1123_96 Depth=2
	v_bcnt_u32_b32 v4, v69, 0
	v_bcnt_u32_b32 v4, v70, v4
	s_waitcnt lgkmcnt(0)
	v_add_u32_e32 v4, v180, v4
	ds_write_b32 v184, v4 offset:1040
.LBB1123_138:                           ;   in Loop: Header=BB1123_96 Depth=2
	s_or_b64 exec, exec, s[38:39]
	v_cmp_gt_i64_e32 vcc, 0, v[49:50]
	v_ashrrev_i32_e32 v69, 31, v50
	v_cndmask_b32_e64 v4, v133, 0, vcc
	v_not_b32_e32 v69, v69
	v_xor_b32_e32 v50, v4, v50
	v_xor_b32_e32 v49, v69, v49
	v_cmp_ne_u64_e32 vcc, s[72:73], v[49:50]
	v_cndmask_b32_e32 v70, v133, v50, vcc
	v_cndmask_b32_e32 v69, -1, v49, vcc
	v_lshrrev_b64 v[69:70], s88, v[69:70]
	; wave barrier
	v_and_b32_e32 v69, s97, v69
	v_mad_u32_u24 v4, v69, 20, v172
	ds_read_b32 v183, v4 offset:1040
	v_and_b32_e32 v4, 1, v69
	v_add_co_u32_e32 v70, vcc, -1, v4
	v_addc_co_u32_e64 v72, s[38:39], 0, -1, vcc
	v_cmp_ne_u32_e32 vcc, 0, v4
	v_xor_b32_e32 v4, vcc_hi, v72
	v_and_b32_e32 v72, exec_hi, v4
	v_lshlrev_b32_e32 v4, 30, v69
	v_xor_b32_e32 v70, vcc_lo, v70
	v_cmp_gt_i64_e32 vcc, 0, v[3:4]
	v_not_b32_e32 v4, v4
	v_ashrrev_i32_e32 v4, 31, v4
	v_and_b32_e32 v70, exec_lo, v70
	v_xor_b32_e32 v185, vcc_hi, v4
	v_xor_b32_e32 v4, vcc_lo, v4
	v_and_b32_e32 v70, v70, v4
	v_lshlrev_b32_e32 v4, 29, v69
	v_cmp_gt_i64_e32 vcc, 0, v[3:4]
	v_not_b32_e32 v4, v4
	v_ashrrev_i32_e32 v4, 31, v4
	v_and_b32_e32 v72, v72, v185
	v_xor_b32_e32 v185, vcc_hi, v4
	v_xor_b32_e32 v4, vcc_lo, v4
	v_and_b32_e32 v70, v70, v4
	v_lshlrev_b32_e32 v4, 28, v69
	v_cmp_gt_i64_e32 vcc, 0, v[3:4]
	v_not_b32_e32 v4, v4
	v_ashrrev_i32_e32 v4, 31, v4
	v_and_b32_e32 v72, v72, v185
	;; [unrolled: 8-line block ×5, first 2 shown]
	v_xor_b32_e32 v185, vcc_hi, v4
	v_xor_b32_e32 v4, vcc_lo, v4
	v_and_b32_e32 v72, v72, v185
	v_and_b32_e32 v185, v70, v4
	v_lshlrev_b32_e32 v4, 24, v69
	v_cmp_gt_i64_e32 vcc, 0, v[3:4]
	v_not_b32_e32 v4, v4
	v_ashrrev_i32_e32 v4, 31, v4
	v_mul_u32_u24_e32 v71, 20, v69
	v_xor_b32_e32 v69, vcc_hi, v4
	v_xor_b32_e32 v4, vcc_lo, v4
	v_and_b32_e32 v70, v72, v69
	v_and_b32_e32 v69, v185, v4
	v_mbcnt_lo_u32_b32 v4, v69, 0
	v_mbcnt_hi_u32_b32 v185, v70, v4
	v_cmp_ne_u64_e32 vcc, 0, v[69:70]
	v_cmp_eq_u32_e64 s[38:39], 0, v185
	s_and_b64 s[40:41], vcc, s[38:39]
	v_add_u32_e32 v187, v172, v71
	; wave barrier
	s_and_saveexec_b64 s[38:39], s[40:41]
	s_cbranch_execz .LBB1123_140
; %bb.139:                              ;   in Loop: Header=BB1123_96 Depth=2
	v_bcnt_u32_b32 v4, v69, 0
	v_bcnt_u32_b32 v4, v70, v4
	s_waitcnt lgkmcnt(0)
	v_add_u32_e32 v4, v183, v4
	ds_write_b32 v187, v4 offset:1040
.LBB1123_140:                           ;   in Loop: Header=BB1123_96 Depth=2
	s_or_b64 exec, exec, s[38:39]
	v_cmp_gt_i64_e32 vcc, 0, v[53:54]
	v_ashrrev_i32_e32 v69, 31, v54
	v_cndmask_b32_e64 v4, v133, 0, vcc
	v_not_b32_e32 v69, v69
	v_xor_b32_e32 v54, v4, v54
	v_xor_b32_e32 v53, v69, v53
	v_cmp_ne_u64_e32 vcc, s[72:73], v[53:54]
	v_cndmask_b32_e32 v70, v133, v54, vcc
	v_cndmask_b32_e32 v69, -1, v53, vcc
	v_lshrrev_b64 v[69:70], s88, v[69:70]
	; wave barrier
	v_and_b32_e32 v69, s97, v69
	v_mad_u32_u24 v4, v69, 20, v172
	ds_read_b32 v186, v4 offset:1040
	v_and_b32_e32 v4, 1, v69
	v_add_co_u32_e32 v70, vcc, -1, v4
	v_addc_co_u32_e64 v72, s[38:39], 0, -1, vcc
	v_cmp_ne_u32_e32 vcc, 0, v4
	v_xor_b32_e32 v4, vcc_hi, v72
	v_and_b32_e32 v72, exec_hi, v4
	v_lshlrev_b32_e32 v4, 30, v69
	v_xor_b32_e32 v70, vcc_lo, v70
	v_cmp_gt_i64_e32 vcc, 0, v[3:4]
	v_not_b32_e32 v4, v4
	v_ashrrev_i32_e32 v4, 31, v4
	v_and_b32_e32 v70, exec_lo, v70
	v_xor_b32_e32 v188, vcc_hi, v4
	v_xor_b32_e32 v4, vcc_lo, v4
	v_and_b32_e32 v70, v70, v4
	v_lshlrev_b32_e32 v4, 29, v69
	v_cmp_gt_i64_e32 vcc, 0, v[3:4]
	v_not_b32_e32 v4, v4
	v_ashrrev_i32_e32 v4, 31, v4
	v_and_b32_e32 v72, v72, v188
	v_xor_b32_e32 v188, vcc_hi, v4
	v_xor_b32_e32 v4, vcc_lo, v4
	v_and_b32_e32 v70, v70, v4
	v_lshlrev_b32_e32 v4, 28, v69
	v_cmp_gt_i64_e32 vcc, 0, v[3:4]
	v_not_b32_e32 v4, v4
	v_ashrrev_i32_e32 v4, 31, v4
	v_and_b32_e32 v72, v72, v188
	;; [unrolled: 8-line block ×5, first 2 shown]
	v_xor_b32_e32 v188, vcc_hi, v4
	v_xor_b32_e32 v4, vcc_lo, v4
	v_and_b32_e32 v72, v72, v188
	v_and_b32_e32 v188, v70, v4
	v_lshlrev_b32_e32 v4, 24, v69
	v_cmp_gt_i64_e32 vcc, 0, v[3:4]
	v_not_b32_e32 v4, v4
	v_ashrrev_i32_e32 v4, 31, v4
	v_mul_u32_u24_e32 v71, 20, v69
	v_xor_b32_e32 v69, vcc_hi, v4
	v_xor_b32_e32 v4, vcc_lo, v4
	v_and_b32_e32 v70, v72, v69
	v_and_b32_e32 v69, v188, v4
	v_mbcnt_lo_u32_b32 v4, v69, 0
	v_mbcnt_hi_u32_b32 v188, v70, v4
	v_cmp_ne_u64_e32 vcc, 0, v[69:70]
	v_cmp_eq_u32_e64 s[38:39], 0, v188
	s_and_b64 s[40:41], vcc, s[38:39]
	v_add_u32_e32 v190, v172, v71
	; wave barrier
	s_and_saveexec_b64 s[38:39], s[40:41]
	s_cbranch_execz .LBB1123_142
; %bb.141:                              ;   in Loop: Header=BB1123_96 Depth=2
	v_bcnt_u32_b32 v4, v69, 0
	v_bcnt_u32_b32 v4, v70, v4
	s_waitcnt lgkmcnt(0)
	v_add_u32_e32 v4, v186, v4
	ds_write_b32 v190, v4 offset:1040
.LBB1123_142:                           ;   in Loop: Header=BB1123_96 Depth=2
	s_or_b64 exec, exec, s[38:39]
	v_cmp_gt_i64_e32 vcc, 0, v[57:58]
	v_ashrrev_i32_e32 v69, 31, v58
	v_cndmask_b32_e64 v4, v133, 0, vcc
	v_not_b32_e32 v69, v69
	v_xor_b32_e32 v58, v4, v58
	v_xor_b32_e32 v57, v69, v57
	v_cmp_ne_u64_e32 vcc, s[72:73], v[57:58]
	v_cndmask_b32_e32 v70, v133, v58, vcc
	v_cndmask_b32_e32 v69, -1, v57, vcc
	v_lshrrev_b64 v[69:70], s88, v[69:70]
	; wave barrier
	v_and_b32_e32 v69, s97, v69
	v_mad_u32_u24 v4, v69, 20, v172
	ds_read_b32 v189, v4 offset:1040
	v_and_b32_e32 v4, 1, v69
	v_add_co_u32_e32 v70, vcc, -1, v4
	v_addc_co_u32_e64 v72, s[38:39], 0, -1, vcc
	v_cmp_ne_u32_e32 vcc, 0, v4
	v_xor_b32_e32 v4, vcc_hi, v72
	v_and_b32_e32 v72, exec_hi, v4
	v_lshlrev_b32_e32 v4, 30, v69
	v_xor_b32_e32 v70, vcc_lo, v70
	v_cmp_gt_i64_e32 vcc, 0, v[3:4]
	v_not_b32_e32 v4, v4
	v_ashrrev_i32_e32 v4, 31, v4
	v_and_b32_e32 v70, exec_lo, v70
	v_xor_b32_e32 v191, vcc_hi, v4
	v_xor_b32_e32 v4, vcc_lo, v4
	v_and_b32_e32 v70, v70, v4
	v_lshlrev_b32_e32 v4, 29, v69
	v_cmp_gt_i64_e32 vcc, 0, v[3:4]
	v_not_b32_e32 v4, v4
	v_ashrrev_i32_e32 v4, 31, v4
	v_and_b32_e32 v72, v72, v191
	v_xor_b32_e32 v191, vcc_hi, v4
	v_xor_b32_e32 v4, vcc_lo, v4
	v_and_b32_e32 v70, v70, v4
	v_lshlrev_b32_e32 v4, 28, v69
	v_cmp_gt_i64_e32 vcc, 0, v[3:4]
	v_not_b32_e32 v4, v4
	v_ashrrev_i32_e32 v4, 31, v4
	v_and_b32_e32 v72, v72, v191
	;; [unrolled: 8-line block ×5, first 2 shown]
	v_xor_b32_e32 v191, vcc_hi, v4
	v_xor_b32_e32 v4, vcc_lo, v4
	v_and_b32_e32 v72, v72, v191
	v_and_b32_e32 v191, v70, v4
	v_lshlrev_b32_e32 v4, 24, v69
	v_cmp_gt_i64_e32 vcc, 0, v[3:4]
	v_not_b32_e32 v4, v4
	v_ashrrev_i32_e32 v4, 31, v4
	v_mul_u32_u24_e32 v71, 20, v69
	v_xor_b32_e32 v69, vcc_hi, v4
	v_xor_b32_e32 v4, vcc_lo, v4
	v_and_b32_e32 v70, v72, v69
	v_and_b32_e32 v69, v191, v4
	v_mbcnt_lo_u32_b32 v4, v69, 0
	v_mbcnt_hi_u32_b32 v191, v70, v4
	v_cmp_ne_u64_e32 vcc, 0, v[69:70]
	v_cmp_eq_u32_e64 s[38:39], 0, v191
	s_and_b64 s[40:41], vcc, s[38:39]
	v_add_u32_e32 v193, v172, v71
	; wave barrier
	s_and_saveexec_b64 s[38:39], s[40:41]
	s_cbranch_execz .LBB1123_144
; %bb.143:                              ;   in Loop: Header=BB1123_96 Depth=2
	v_bcnt_u32_b32 v4, v69, 0
	v_bcnt_u32_b32 v4, v70, v4
	s_waitcnt lgkmcnt(0)
	v_add_u32_e32 v4, v189, v4
	ds_write_b32 v193, v4 offset:1040
.LBB1123_144:                           ;   in Loop: Header=BB1123_96 Depth=2
	s_or_b64 exec, exec, s[38:39]
	v_cmp_gt_i64_e32 vcc, 0, v[63:64]
	v_ashrrev_i32_e32 v69, 31, v64
	v_cndmask_b32_e64 v4, v133, 0, vcc
	v_not_b32_e32 v69, v69
	v_xor_b32_e32 v64, v4, v64
	v_xor_b32_e32 v63, v69, v63
	v_cmp_ne_u64_e32 vcc, s[72:73], v[63:64]
	v_cndmask_b32_e32 v70, v133, v64, vcc
	v_cndmask_b32_e32 v69, -1, v63, vcc
	v_lshrrev_b64 v[69:70], s88, v[69:70]
	; wave barrier
	v_and_b32_e32 v69, s97, v69
	v_mad_u32_u24 v4, v69, 20, v172
	ds_read_b32 v192, v4 offset:1040
	v_and_b32_e32 v4, 1, v69
	v_add_co_u32_e32 v70, vcc, -1, v4
	v_addc_co_u32_e64 v72, s[38:39], 0, -1, vcc
	v_cmp_ne_u32_e32 vcc, 0, v4
	v_xor_b32_e32 v4, vcc_hi, v72
	v_and_b32_e32 v72, exec_hi, v4
	v_lshlrev_b32_e32 v4, 30, v69
	v_xor_b32_e32 v70, vcc_lo, v70
	v_cmp_gt_i64_e32 vcc, 0, v[3:4]
	v_not_b32_e32 v4, v4
	v_ashrrev_i32_e32 v4, 31, v4
	v_and_b32_e32 v70, exec_lo, v70
	v_xor_b32_e32 v194, vcc_hi, v4
	v_xor_b32_e32 v4, vcc_lo, v4
	v_and_b32_e32 v70, v70, v4
	v_lshlrev_b32_e32 v4, 29, v69
	v_cmp_gt_i64_e32 vcc, 0, v[3:4]
	v_not_b32_e32 v4, v4
	v_ashrrev_i32_e32 v4, 31, v4
	v_and_b32_e32 v72, v72, v194
	v_xor_b32_e32 v194, vcc_hi, v4
	v_xor_b32_e32 v4, vcc_lo, v4
	v_and_b32_e32 v70, v70, v4
	v_lshlrev_b32_e32 v4, 28, v69
	v_cmp_gt_i64_e32 vcc, 0, v[3:4]
	v_not_b32_e32 v4, v4
	v_ashrrev_i32_e32 v4, 31, v4
	v_and_b32_e32 v72, v72, v194
	;; [unrolled: 8-line block ×5, first 2 shown]
	v_xor_b32_e32 v194, vcc_hi, v4
	v_xor_b32_e32 v4, vcc_lo, v4
	v_and_b32_e32 v72, v72, v194
	v_and_b32_e32 v194, v70, v4
	v_lshlrev_b32_e32 v4, 24, v69
	v_cmp_gt_i64_e32 vcc, 0, v[3:4]
	v_not_b32_e32 v4, v4
	v_ashrrev_i32_e32 v4, 31, v4
	v_mul_u32_u24_e32 v71, 20, v69
	v_xor_b32_e32 v69, vcc_hi, v4
	v_xor_b32_e32 v4, vcc_lo, v4
	v_and_b32_e32 v70, v72, v69
	v_and_b32_e32 v69, v194, v4
	v_mbcnt_lo_u32_b32 v4, v69, 0
	v_mbcnt_hi_u32_b32 v194, v70, v4
	v_cmp_ne_u64_e32 vcc, 0, v[69:70]
	v_cmp_eq_u32_e64 s[38:39], 0, v194
	s_and_b64 s[40:41], vcc, s[38:39]
	v_add_u32_e32 v196, v172, v71
	; wave barrier
	s_and_saveexec_b64 s[38:39], s[40:41]
	s_cbranch_execz .LBB1123_146
; %bb.145:                              ;   in Loop: Header=BB1123_96 Depth=2
	v_bcnt_u32_b32 v4, v69, 0
	v_bcnt_u32_b32 v4, v70, v4
	s_waitcnt lgkmcnt(0)
	v_add_u32_e32 v4, v192, v4
	ds_write_b32 v196, v4 offset:1040
.LBB1123_146:                           ;   in Loop: Header=BB1123_96 Depth=2
	s_or_b64 exec, exec, s[38:39]
	v_cmp_gt_i64_e32 vcc, 0, v[65:66]
	v_ashrrev_i32_e32 v69, 31, v66
	v_cndmask_b32_e64 v4, v133, 0, vcc
	v_not_b32_e32 v69, v69
	v_xor_b32_e32 v66, v4, v66
	v_xor_b32_e32 v65, v69, v65
	v_cmp_ne_u64_e32 vcc, s[72:73], v[65:66]
	v_cndmask_b32_e32 v70, v133, v66, vcc
	v_cndmask_b32_e32 v69, -1, v65, vcc
	v_lshrrev_b64 v[69:70], s88, v[69:70]
	; wave barrier
	v_and_b32_e32 v69, s97, v69
	v_mad_u32_u24 v4, v69, 20, v172
	ds_read_b32 v195, v4 offset:1040
	v_and_b32_e32 v4, 1, v69
	v_add_co_u32_e32 v70, vcc, -1, v4
	v_addc_co_u32_e64 v72, s[38:39], 0, -1, vcc
	v_cmp_ne_u32_e32 vcc, 0, v4
	v_xor_b32_e32 v4, vcc_hi, v72
	v_and_b32_e32 v72, exec_hi, v4
	v_lshlrev_b32_e32 v4, 30, v69
	v_xor_b32_e32 v70, vcc_lo, v70
	v_cmp_gt_i64_e32 vcc, 0, v[3:4]
	v_not_b32_e32 v4, v4
	v_ashrrev_i32_e32 v4, 31, v4
	v_and_b32_e32 v70, exec_lo, v70
	v_xor_b32_e32 v197, vcc_hi, v4
	v_xor_b32_e32 v4, vcc_lo, v4
	v_and_b32_e32 v70, v70, v4
	v_lshlrev_b32_e32 v4, 29, v69
	v_cmp_gt_i64_e32 vcc, 0, v[3:4]
	v_not_b32_e32 v4, v4
	v_ashrrev_i32_e32 v4, 31, v4
	v_and_b32_e32 v72, v72, v197
	v_xor_b32_e32 v197, vcc_hi, v4
	v_xor_b32_e32 v4, vcc_lo, v4
	v_and_b32_e32 v70, v70, v4
	v_lshlrev_b32_e32 v4, 28, v69
	v_cmp_gt_i64_e32 vcc, 0, v[3:4]
	v_not_b32_e32 v4, v4
	v_ashrrev_i32_e32 v4, 31, v4
	v_and_b32_e32 v72, v72, v197
	;; [unrolled: 8-line block ×5, first 2 shown]
	v_xor_b32_e32 v197, vcc_hi, v4
	v_xor_b32_e32 v4, vcc_lo, v4
	v_and_b32_e32 v72, v72, v197
	v_and_b32_e32 v197, v70, v4
	v_lshlrev_b32_e32 v4, 24, v69
	v_cmp_gt_i64_e32 vcc, 0, v[3:4]
	v_not_b32_e32 v4, v4
	v_ashrrev_i32_e32 v4, 31, v4
	v_mul_u32_u24_e32 v71, 20, v69
	v_xor_b32_e32 v69, vcc_hi, v4
	v_xor_b32_e32 v4, vcc_lo, v4
	v_and_b32_e32 v70, v72, v69
	v_and_b32_e32 v69, v197, v4
	v_mbcnt_lo_u32_b32 v4, v69, 0
	v_mbcnt_hi_u32_b32 v197, v70, v4
	v_cmp_ne_u64_e32 vcc, 0, v[69:70]
	v_cmp_eq_u32_e64 s[38:39], 0, v197
	s_and_b64 s[40:41], vcc, s[38:39]
	v_add_u32_e32 v199, v172, v71
	; wave barrier
	s_and_saveexec_b64 s[38:39], s[40:41]
	s_cbranch_execz .LBB1123_148
; %bb.147:                              ;   in Loop: Header=BB1123_96 Depth=2
	v_bcnt_u32_b32 v4, v69, 0
	v_bcnt_u32_b32 v4, v70, v4
	s_waitcnt lgkmcnt(0)
	v_add_u32_e32 v4, v195, v4
	ds_write_b32 v199, v4 offset:1040
.LBB1123_148:                           ;   in Loop: Header=BB1123_96 Depth=2
	s_or_b64 exec, exec, s[38:39]
	v_cmp_gt_i64_e32 vcc, 0, v[67:68]
	v_ashrrev_i32_e32 v69, 31, v68
	v_cndmask_b32_e64 v4, v133, 0, vcc
	v_not_b32_e32 v69, v69
	v_xor_b32_e32 v68, v4, v68
	v_xor_b32_e32 v67, v69, v67
	v_cmp_ne_u64_e32 vcc, s[72:73], v[67:68]
	v_cndmask_b32_e32 v70, v133, v68, vcc
	v_cndmask_b32_e32 v69, -1, v67, vcc
	v_lshrrev_b64 v[69:70], s88, v[69:70]
	; wave barrier
	v_and_b32_e32 v69, s97, v69
	v_mad_u32_u24 v4, v69, 20, v172
	ds_read_b32 v198, v4 offset:1040
	v_and_b32_e32 v4, 1, v69
	v_add_co_u32_e32 v70, vcc, -1, v4
	v_addc_co_u32_e64 v72, s[38:39], 0, -1, vcc
	v_cmp_ne_u32_e32 vcc, 0, v4
	v_xor_b32_e32 v4, vcc_hi, v72
	v_and_b32_e32 v72, exec_hi, v4
	v_lshlrev_b32_e32 v4, 30, v69
	v_xor_b32_e32 v70, vcc_lo, v70
	v_cmp_gt_i64_e32 vcc, 0, v[3:4]
	v_not_b32_e32 v4, v4
	v_ashrrev_i32_e32 v4, 31, v4
	v_and_b32_e32 v70, exec_lo, v70
	v_xor_b32_e32 v200, vcc_hi, v4
	v_xor_b32_e32 v4, vcc_lo, v4
	v_and_b32_e32 v70, v70, v4
	v_lshlrev_b32_e32 v4, 29, v69
	v_cmp_gt_i64_e32 vcc, 0, v[3:4]
	v_not_b32_e32 v4, v4
	v_ashrrev_i32_e32 v4, 31, v4
	v_and_b32_e32 v72, v72, v200
	v_xor_b32_e32 v200, vcc_hi, v4
	v_xor_b32_e32 v4, vcc_lo, v4
	v_and_b32_e32 v70, v70, v4
	v_lshlrev_b32_e32 v4, 28, v69
	v_cmp_gt_i64_e32 vcc, 0, v[3:4]
	v_not_b32_e32 v4, v4
	v_ashrrev_i32_e32 v4, 31, v4
	v_and_b32_e32 v72, v72, v200
	;; [unrolled: 8-line block ×5, first 2 shown]
	v_xor_b32_e32 v200, vcc_hi, v4
	v_xor_b32_e32 v4, vcc_lo, v4
	v_and_b32_e32 v72, v72, v200
	v_and_b32_e32 v200, v70, v4
	v_lshlrev_b32_e32 v4, 24, v69
	v_cmp_gt_i64_e32 vcc, 0, v[3:4]
	v_not_b32_e32 v4, v4
	v_ashrrev_i32_e32 v4, 31, v4
	v_mul_u32_u24_e32 v71, 20, v69
	v_xor_b32_e32 v69, vcc_hi, v4
	v_xor_b32_e32 v4, vcc_lo, v4
	v_and_b32_e32 v70, v72, v69
	v_and_b32_e32 v69, v200, v4
	v_mbcnt_lo_u32_b32 v4, v69, 0
	v_mbcnt_hi_u32_b32 v200, v70, v4
	v_cmp_ne_u64_e32 vcc, 0, v[69:70]
	v_cmp_eq_u32_e64 s[38:39], 0, v200
	s_and_b64 s[40:41], vcc, s[38:39]
	v_add_u32_e32 v202, v172, v71
	; wave barrier
	s_and_saveexec_b64 s[38:39], s[40:41]
	s_cbranch_execz .LBB1123_150
; %bb.149:                              ;   in Loop: Header=BB1123_96 Depth=2
	v_bcnt_u32_b32 v4, v69, 0
	v_bcnt_u32_b32 v4, v70, v4
	s_waitcnt lgkmcnt(0)
	v_add_u32_e32 v4, v198, v4
	ds_write_b32 v202, v4 offset:1040
.LBB1123_150:                           ;   in Loop: Header=BB1123_96 Depth=2
	s_or_b64 exec, exec, s[38:39]
	v_cmp_gt_i64_e32 vcc, 0, v[61:62]
	v_ashrrev_i32_e32 v69, 31, v62
	v_cndmask_b32_e64 v4, v133, 0, vcc
	v_not_b32_e32 v69, v69
	v_xor_b32_e32 v62, v4, v62
	v_xor_b32_e32 v61, v69, v61
	v_cmp_ne_u64_e32 vcc, s[72:73], v[61:62]
	v_cndmask_b32_e32 v70, v133, v62, vcc
	v_cndmask_b32_e32 v69, -1, v61, vcc
	v_lshrrev_b64 v[69:70], s88, v[69:70]
	; wave barrier
	v_and_b32_e32 v69, s97, v69
	v_mad_u32_u24 v4, v69, 20, v172
	ds_read_b32 v201, v4 offset:1040
	v_and_b32_e32 v4, 1, v69
	v_add_co_u32_e32 v70, vcc, -1, v4
	v_addc_co_u32_e64 v72, s[38:39], 0, -1, vcc
	v_cmp_ne_u32_e32 vcc, 0, v4
	v_xor_b32_e32 v4, vcc_hi, v72
	v_and_b32_e32 v72, exec_hi, v4
	v_lshlrev_b32_e32 v4, 30, v69
	v_xor_b32_e32 v70, vcc_lo, v70
	v_cmp_gt_i64_e32 vcc, 0, v[3:4]
	v_not_b32_e32 v4, v4
	v_ashrrev_i32_e32 v4, 31, v4
	v_and_b32_e32 v70, exec_lo, v70
	v_xor_b32_e32 v203, vcc_hi, v4
	v_xor_b32_e32 v4, vcc_lo, v4
	v_and_b32_e32 v70, v70, v4
	v_lshlrev_b32_e32 v4, 29, v69
	v_cmp_gt_i64_e32 vcc, 0, v[3:4]
	v_not_b32_e32 v4, v4
	v_ashrrev_i32_e32 v4, 31, v4
	v_and_b32_e32 v72, v72, v203
	v_xor_b32_e32 v203, vcc_hi, v4
	v_xor_b32_e32 v4, vcc_lo, v4
	v_and_b32_e32 v70, v70, v4
	v_lshlrev_b32_e32 v4, 28, v69
	v_cmp_gt_i64_e32 vcc, 0, v[3:4]
	v_not_b32_e32 v4, v4
	v_ashrrev_i32_e32 v4, 31, v4
	v_and_b32_e32 v72, v72, v203
	;; [unrolled: 8-line block ×5, first 2 shown]
	v_xor_b32_e32 v203, vcc_hi, v4
	v_xor_b32_e32 v4, vcc_lo, v4
	v_and_b32_e32 v72, v72, v203
	v_and_b32_e32 v203, v70, v4
	v_lshlrev_b32_e32 v4, 24, v69
	v_cmp_gt_i64_e32 vcc, 0, v[3:4]
	v_not_b32_e32 v4, v4
	v_ashrrev_i32_e32 v4, 31, v4
	v_mul_u32_u24_e32 v71, 20, v69
	v_xor_b32_e32 v69, vcc_hi, v4
	v_xor_b32_e32 v4, vcc_lo, v4
	v_and_b32_e32 v70, v72, v69
	v_and_b32_e32 v69, v203, v4
	v_mbcnt_lo_u32_b32 v4, v69, 0
	v_mbcnt_hi_u32_b32 v203, v70, v4
	v_cmp_ne_u64_e32 vcc, 0, v[69:70]
	v_cmp_eq_u32_e64 s[38:39], 0, v203
	s_and_b64 s[40:41], vcc, s[38:39]
	v_add_u32_e32 v205, v172, v71
	; wave barrier
	s_and_saveexec_b64 s[38:39], s[40:41]
	s_cbranch_execz .LBB1123_152
; %bb.151:                              ;   in Loop: Header=BB1123_96 Depth=2
	v_bcnt_u32_b32 v4, v69, 0
	v_bcnt_u32_b32 v4, v70, v4
	s_waitcnt lgkmcnt(0)
	v_add_u32_e32 v4, v201, v4
	ds_write_b32 v205, v4 offset:1040
.LBB1123_152:                           ;   in Loop: Header=BB1123_96 Depth=2
	s_or_b64 exec, exec, s[38:39]
	v_cmp_gt_i64_e32 vcc, 0, v[59:60]
	v_ashrrev_i32_e32 v69, 31, v60
	v_cndmask_b32_e64 v4, v133, 0, vcc
	v_not_b32_e32 v69, v69
	v_xor_b32_e32 v60, v4, v60
	v_xor_b32_e32 v59, v69, v59
	v_cmp_ne_u64_e32 vcc, s[72:73], v[59:60]
	v_cndmask_b32_e32 v70, v133, v60, vcc
	v_cndmask_b32_e32 v69, -1, v59, vcc
	v_lshrrev_b64 v[69:70], s88, v[69:70]
	; wave barrier
	v_and_b32_e32 v69, s97, v69
	v_mad_u32_u24 v4, v69, 20, v172
	ds_read_b32 v204, v4 offset:1040
	v_and_b32_e32 v4, 1, v69
	v_add_co_u32_e32 v70, vcc, -1, v4
	v_addc_co_u32_e64 v72, s[38:39], 0, -1, vcc
	v_cmp_ne_u32_e32 vcc, 0, v4
	v_xor_b32_e32 v4, vcc_hi, v72
	v_and_b32_e32 v72, exec_hi, v4
	v_lshlrev_b32_e32 v4, 30, v69
	v_xor_b32_e32 v70, vcc_lo, v70
	v_cmp_gt_i64_e32 vcc, 0, v[3:4]
	v_not_b32_e32 v4, v4
	v_ashrrev_i32_e32 v4, 31, v4
	v_and_b32_e32 v70, exec_lo, v70
	v_xor_b32_e32 v206, vcc_hi, v4
	v_xor_b32_e32 v4, vcc_lo, v4
	v_and_b32_e32 v70, v70, v4
	v_lshlrev_b32_e32 v4, 29, v69
	v_cmp_gt_i64_e32 vcc, 0, v[3:4]
	v_not_b32_e32 v4, v4
	v_ashrrev_i32_e32 v4, 31, v4
	v_and_b32_e32 v72, v72, v206
	v_xor_b32_e32 v206, vcc_hi, v4
	v_xor_b32_e32 v4, vcc_lo, v4
	v_and_b32_e32 v70, v70, v4
	v_lshlrev_b32_e32 v4, 28, v69
	v_cmp_gt_i64_e32 vcc, 0, v[3:4]
	v_not_b32_e32 v4, v4
	v_ashrrev_i32_e32 v4, 31, v4
	v_and_b32_e32 v72, v72, v206
	v_xor_b32_e32 v206, vcc_hi, v4
	v_xor_b32_e32 v4, vcc_lo, v4
	v_and_b32_e32 v70, v70, v4
	v_lshlrev_b32_e32 v4, 27, v69
	v_cmp_gt_i64_e32 vcc, 0, v[3:4]
	v_not_b32_e32 v4, v4
	v_ashrrev_i32_e32 v4, 31, v4
	v_and_b32_e32 v72, v72, v206
	v_xor_b32_e32 v206, vcc_hi, v4
	v_xor_b32_e32 v4, vcc_lo, v4
	v_and_b32_e32 v70, v70, v4
	v_lshlrev_b32_e32 v4, 26, v69
	v_cmp_gt_i64_e32 vcc, 0, v[3:4]
	v_not_b32_e32 v4, v4
	v_ashrrev_i32_e32 v4, 31, v4
	v_and_b32_e32 v72, v72, v206
	v_xor_b32_e32 v206, vcc_hi, v4
	v_xor_b32_e32 v4, vcc_lo, v4
	v_and_b32_e32 v70, v70, v4
	v_lshlrev_b32_e32 v4, 25, v69
	v_cmp_gt_i64_e32 vcc, 0, v[3:4]
	v_not_b32_e32 v4, v4
	v_ashrrev_i32_e32 v4, 31, v4
	v_and_b32_e32 v72, v72, v206
	v_xor_b32_e32 v206, vcc_hi, v4
	v_xor_b32_e32 v4, vcc_lo, v4
	v_and_b32_e32 v72, v72, v206
	v_and_b32_e32 v206, v70, v4
	v_lshlrev_b32_e32 v4, 24, v69
	v_cmp_gt_i64_e32 vcc, 0, v[3:4]
	v_not_b32_e32 v4, v4
	v_ashrrev_i32_e32 v4, 31, v4
	v_mul_u32_u24_e32 v71, 20, v69
	v_xor_b32_e32 v69, vcc_hi, v4
	v_xor_b32_e32 v4, vcc_lo, v4
	v_and_b32_e32 v70, v72, v69
	v_and_b32_e32 v69, v206, v4
	v_mbcnt_lo_u32_b32 v4, v69, 0
	v_mbcnt_hi_u32_b32 v206, v70, v4
	v_cmp_ne_u64_e32 vcc, 0, v[69:70]
	v_cmp_eq_u32_e64 s[38:39], 0, v206
	s_and_b64 s[40:41], vcc, s[38:39]
	v_add_u32_e32 v208, v172, v71
	; wave barrier
	s_and_saveexec_b64 s[38:39], s[40:41]
	s_cbranch_execz .LBB1123_154
; %bb.153:                              ;   in Loop: Header=BB1123_96 Depth=2
	v_bcnt_u32_b32 v4, v69, 0
	v_bcnt_u32_b32 v4, v70, v4
	s_waitcnt lgkmcnt(0)
	v_add_u32_e32 v4, v204, v4
	ds_write_b32 v208, v4 offset:1040
.LBB1123_154:                           ;   in Loop: Header=BB1123_96 Depth=2
	s_or_b64 exec, exec, s[38:39]
	v_cmp_gt_i64_e32 vcc, 0, v[55:56]
	v_ashrrev_i32_e32 v69, 31, v56
	v_cndmask_b32_e64 v4, v133, 0, vcc
	v_not_b32_e32 v69, v69
	v_xor_b32_e32 v56, v4, v56
	v_xor_b32_e32 v55, v69, v55
	v_cmp_ne_u64_e32 vcc, s[72:73], v[55:56]
	v_cndmask_b32_e32 v70, v133, v56, vcc
	v_cndmask_b32_e32 v69, -1, v55, vcc
	v_lshrrev_b64 v[69:70], s88, v[69:70]
	; wave barrier
	v_and_b32_e32 v69, s97, v69
	v_mad_u32_u24 v4, v69, 20, v172
	ds_read_b32 v207, v4 offset:1040
	v_and_b32_e32 v4, 1, v69
	v_add_co_u32_e32 v70, vcc, -1, v4
	v_addc_co_u32_e64 v72, s[38:39], 0, -1, vcc
	v_cmp_ne_u32_e32 vcc, 0, v4
	v_xor_b32_e32 v4, vcc_hi, v72
	v_and_b32_e32 v72, exec_hi, v4
	v_lshlrev_b32_e32 v4, 30, v69
	v_xor_b32_e32 v70, vcc_lo, v70
	v_cmp_gt_i64_e32 vcc, 0, v[3:4]
	v_not_b32_e32 v4, v4
	v_ashrrev_i32_e32 v4, 31, v4
	v_and_b32_e32 v70, exec_lo, v70
	v_xor_b32_e32 v209, vcc_hi, v4
	v_xor_b32_e32 v4, vcc_lo, v4
	v_and_b32_e32 v70, v70, v4
	v_lshlrev_b32_e32 v4, 29, v69
	v_cmp_gt_i64_e32 vcc, 0, v[3:4]
	v_not_b32_e32 v4, v4
	v_ashrrev_i32_e32 v4, 31, v4
	v_and_b32_e32 v72, v72, v209
	v_xor_b32_e32 v209, vcc_hi, v4
	v_xor_b32_e32 v4, vcc_lo, v4
	v_and_b32_e32 v70, v70, v4
	v_lshlrev_b32_e32 v4, 28, v69
	v_cmp_gt_i64_e32 vcc, 0, v[3:4]
	v_not_b32_e32 v4, v4
	v_ashrrev_i32_e32 v4, 31, v4
	v_and_b32_e32 v72, v72, v209
	;; [unrolled: 8-line block ×5, first 2 shown]
	v_xor_b32_e32 v209, vcc_hi, v4
	v_xor_b32_e32 v4, vcc_lo, v4
	v_and_b32_e32 v72, v72, v209
	v_and_b32_e32 v209, v70, v4
	v_lshlrev_b32_e32 v4, 24, v69
	v_cmp_gt_i64_e32 vcc, 0, v[3:4]
	v_not_b32_e32 v4, v4
	v_ashrrev_i32_e32 v4, 31, v4
	v_mul_u32_u24_e32 v71, 20, v69
	v_xor_b32_e32 v69, vcc_hi, v4
	v_xor_b32_e32 v4, vcc_lo, v4
	v_and_b32_e32 v70, v72, v69
	v_and_b32_e32 v69, v209, v4
	v_mbcnt_lo_u32_b32 v4, v69, 0
	v_mbcnt_hi_u32_b32 v209, v70, v4
	v_cmp_ne_u64_e32 vcc, 0, v[69:70]
	v_cmp_eq_u32_e64 s[38:39], 0, v209
	s_and_b64 s[40:41], vcc, s[38:39]
	v_add_u32_e32 v211, v172, v71
	; wave barrier
	s_and_saveexec_b64 s[38:39], s[40:41]
	s_cbranch_execz .LBB1123_156
; %bb.155:                              ;   in Loop: Header=BB1123_96 Depth=2
	v_bcnt_u32_b32 v4, v69, 0
	v_bcnt_u32_b32 v4, v70, v4
	s_waitcnt lgkmcnt(0)
	v_add_u32_e32 v4, v207, v4
	ds_write_b32 v211, v4 offset:1040
.LBB1123_156:                           ;   in Loop: Header=BB1123_96 Depth=2
	s_or_b64 exec, exec, s[38:39]
	v_cmp_gt_i64_e32 vcc, 0, v[51:52]
	v_ashrrev_i32_e32 v69, 31, v52
	v_cndmask_b32_e64 v4, v133, 0, vcc
	v_not_b32_e32 v69, v69
	v_xor_b32_e32 v52, v4, v52
	v_xor_b32_e32 v51, v69, v51
	v_cmp_ne_u64_e32 vcc, s[72:73], v[51:52]
	v_cndmask_b32_e32 v70, v133, v52, vcc
	v_cndmask_b32_e32 v69, -1, v51, vcc
	v_lshrrev_b64 v[69:70], s88, v[69:70]
	; wave barrier
	v_and_b32_e32 v69, s97, v69
	v_mad_u32_u24 v4, v69, 20, v172
	ds_read_b32 v210, v4 offset:1040
	v_and_b32_e32 v4, 1, v69
	v_add_co_u32_e32 v70, vcc, -1, v4
	v_addc_co_u32_e64 v72, s[38:39], 0, -1, vcc
	v_cmp_ne_u32_e32 vcc, 0, v4
	v_xor_b32_e32 v4, vcc_hi, v72
	v_and_b32_e32 v72, exec_hi, v4
	v_lshlrev_b32_e32 v4, 30, v69
	v_xor_b32_e32 v70, vcc_lo, v70
	v_cmp_gt_i64_e32 vcc, 0, v[3:4]
	v_not_b32_e32 v4, v4
	v_ashrrev_i32_e32 v4, 31, v4
	v_and_b32_e32 v70, exec_lo, v70
	v_xor_b32_e32 v212, vcc_hi, v4
	v_xor_b32_e32 v4, vcc_lo, v4
	v_and_b32_e32 v70, v70, v4
	v_lshlrev_b32_e32 v4, 29, v69
	v_cmp_gt_i64_e32 vcc, 0, v[3:4]
	v_not_b32_e32 v4, v4
	v_ashrrev_i32_e32 v4, 31, v4
	v_and_b32_e32 v72, v72, v212
	v_xor_b32_e32 v212, vcc_hi, v4
	v_xor_b32_e32 v4, vcc_lo, v4
	v_and_b32_e32 v70, v70, v4
	v_lshlrev_b32_e32 v4, 28, v69
	v_cmp_gt_i64_e32 vcc, 0, v[3:4]
	v_not_b32_e32 v4, v4
	v_ashrrev_i32_e32 v4, 31, v4
	v_and_b32_e32 v72, v72, v212
	;; [unrolled: 8-line block ×5, first 2 shown]
	v_xor_b32_e32 v212, vcc_hi, v4
	v_xor_b32_e32 v4, vcc_lo, v4
	v_and_b32_e32 v72, v72, v212
	v_and_b32_e32 v212, v70, v4
	v_lshlrev_b32_e32 v4, 24, v69
	v_cmp_gt_i64_e32 vcc, 0, v[3:4]
	v_not_b32_e32 v4, v4
	v_ashrrev_i32_e32 v4, 31, v4
	v_mul_u32_u24_e32 v71, 20, v69
	v_xor_b32_e32 v69, vcc_hi, v4
	v_xor_b32_e32 v4, vcc_lo, v4
	v_and_b32_e32 v70, v72, v69
	v_and_b32_e32 v69, v212, v4
	v_mbcnt_lo_u32_b32 v4, v69, 0
	v_mbcnt_hi_u32_b32 v212, v70, v4
	v_cmp_ne_u64_e32 vcc, 0, v[69:70]
	v_cmp_eq_u32_e64 s[38:39], 0, v212
	s_and_b64 s[40:41], vcc, s[38:39]
	v_add_u32_e32 v214, v172, v71
	; wave barrier
	s_and_saveexec_b64 s[38:39], s[40:41]
	s_cbranch_execz .LBB1123_158
; %bb.157:                              ;   in Loop: Header=BB1123_96 Depth=2
	v_bcnt_u32_b32 v4, v69, 0
	v_bcnt_u32_b32 v4, v70, v4
	s_waitcnt lgkmcnt(0)
	v_add_u32_e32 v4, v210, v4
	ds_write_b32 v214, v4 offset:1040
.LBB1123_158:                           ;   in Loop: Header=BB1123_96 Depth=2
	s_or_b64 exec, exec, s[38:39]
	v_cmp_gt_i64_e32 vcc, 0, v[47:48]
	v_ashrrev_i32_e32 v69, 31, v48
	v_cndmask_b32_e64 v4, v133, 0, vcc
	v_not_b32_e32 v69, v69
	v_xor_b32_e32 v48, v4, v48
	v_xor_b32_e32 v47, v69, v47
	v_cmp_ne_u64_e32 vcc, s[72:73], v[47:48]
	v_cndmask_b32_e32 v70, v133, v48, vcc
	v_cndmask_b32_e32 v69, -1, v47, vcc
	v_lshrrev_b64 v[69:70], s88, v[69:70]
	; wave barrier
	v_and_b32_e32 v69, s97, v69
	v_mad_u32_u24 v4, v69, 20, v172
	ds_read_b32 v213, v4 offset:1040
	v_and_b32_e32 v4, 1, v69
	v_add_co_u32_e32 v70, vcc, -1, v4
	v_addc_co_u32_e64 v72, s[38:39], 0, -1, vcc
	v_cmp_ne_u32_e32 vcc, 0, v4
	v_xor_b32_e32 v4, vcc_hi, v72
	v_and_b32_e32 v72, exec_hi, v4
	v_lshlrev_b32_e32 v4, 30, v69
	v_xor_b32_e32 v70, vcc_lo, v70
	v_cmp_gt_i64_e32 vcc, 0, v[3:4]
	v_not_b32_e32 v4, v4
	v_ashrrev_i32_e32 v4, 31, v4
	v_and_b32_e32 v70, exec_lo, v70
	v_xor_b32_e32 v215, vcc_hi, v4
	v_xor_b32_e32 v4, vcc_lo, v4
	v_and_b32_e32 v70, v70, v4
	v_lshlrev_b32_e32 v4, 29, v69
	v_cmp_gt_i64_e32 vcc, 0, v[3:4]
	v_not_b32_e32 v4, v4
	v_ashrrev_i32_e32 v4, 31, v4
	v_and_b32_e32 v72, v72, v215
	v_xor_b32_e32 v215, vcc_hi, v4
	v_xor_b32_e32 v4, vcc_lo, v4
	v_and_b32_e32 v70, v70, v4
	v_lshlrev_b32_e32 v4, 28, v69
	v_cmp_gt_i64_e32 vcc, 0, v[3:4]
	v_not_b32_e32 v4, v4
	v_ashrrev_i32_e32 v4, 31, v4
	v_and_b32_e32 v72, v72, v215
	;; [unrolled: 8-line block ×5, first 2 shown]
	v_xor_b32_e32 v215, vcc_hi, v4
	v_xor_b32_e32 v4, vcc_lo, v4
	v_and_b32_e32 v72, v72, v215
	v_and_b32_e32 v215, v70, v4
	v_lshlrev_b32_e32 v4, 24, v69
	v_cmp_gt_i64_e32 vcc, 0, v[3:4]
	v_not_b32_e32 v4, v4
	v_ashrrev_i32_e32 v4, 31, v4
	v_mul_u32_u24_e32 v71, 20, v69
	v_xor_b32_e32 v69, vcc_hi, v4
	v_xor_b32_e32 v4, vcc_lo, v4
	v_and_b32_e32 v70, v72, v69
	v_and_b32_e32 v69, v215, v4
	v_mbcnt_lo_u32_b32 v4, v69, 0
	v_mbcnt_hi_u32_b32 v215, v70, v4
	v_cmp_ne_u64_e32 vcc, 0, v[69:70]
	v_cmp_eq_u32_e64 s[38:39], 0, v215
	s_and_b64 s[40:41], vcc, s[38:39]
	v_add_u32_e32 v217, v172, v71
	; wave barrier
	s_and_saveexec_b64 s[38:39], s[40:41]
	s_cbranch_execz .LBB1123_160
; %bb.159:                              ;   in Loop: Header=BB1123_96 Depth=2
	v_bcnt_u32_b32 v4, v69, 0
	v_bcnt_u32_b32 v4, v70, v4
	s_waitcnt lgkmcnt(0)
	v_add_u32_e32 v4, v213, v4
	ds_write_b32 v217, v4 offset:1040
.LBB1123_160:                           ;   in Loop: Header=BB1123_96 Depth=2
	s_or_b64 exec, exec, s[38:39]
	v_cmp_gt_i64_e32 vcc, 0, v[41:42]
	v_ashrrev_i32_e32 v69, 31, v42
	v_cndmask_b32_e64 v4, v133, 0, vcc
	v_not_b32_e32 v69, v69
	v_xor_b32_e32 v42, v4, v42
	v_xor_b32_e32 v41, v69, v41
	v_cmp_ne_u64_e32 vcc, s[72:73], v[41:42]
	v_cndmask_b32_e32 v70, v133, v42, vcc
	v_cndmask_b32_e32 v69, -1, v41, vcc
	v_lshrrev_b64 v[69:70], s88, v[69:70]
	; wave barrier
	v_and_b32_e32 v69, s97, v69
	v_mad_u32_u24 v4, v69, 20, v172
	ds_read_b32 v216, v4 offset:1040
	v_and_b32_e32 v4, 1, v69
	v_add_co_u32_e32 v70, vcc, -1, v4
	v_addc_co_u32_e64 v72, s[38:39], 0, -1, vcc
	v_cmp_ne_u32_e32 vcc, 0, v4
	v_xor_b32_e32 v4, vcc_hi, v72
	v_and_b32_e32 v72, exec_hi, v4
	v_lshlrev_b32_e32 v4, 30, v69
	v_xor_b32_e32 v70, vcc_lo, v70
	v_cmp_gt_i64_e32 vcc, 0, v[3:4]
	v_not_b32_e32 v4, v4
	v_ashrrev_i32_e32 v4, 31, v4
	v_and_b32_e32 v70, exec_lo, v70
	v_xor_b32_e32 v218, vcc_hi, v4
	v_xor_b32_e32 v4, vcc_lo, v4
	v_and_b32_e32 v70, v70, v4
	v_lshlrev_b32_e32 v4, 29, v69
	v_cmp_gt_i64_e32 vcc, 0, v[3:4]
	v_not_b32_e32 v4, v4
	v_ashrrev_i32_e32 v4, 31, v4
	v_and_b32_e32 v72, v72, v218
	v_xor_b32_e32 v218, vcc_hi, v4
	v_xor_b32_e32 v4, vcc_lo, v4
	v_and_b32_e32 v70, v70, v4
	v_lshlrev_b32_e32 v4, 28, v69
	v_cmp_gt_i64_e32 vcc, 0, v[3:4]
	v_not_b32_e32 v4, v4
	v_ashrrev_i32_e32 v4, 31, v4
	v_and_b32_e32 v72, v72, v218
	;; [unrolled: 8-line block ×5, first 2 shown]
	v_xor_b32_e32 v218, vcc_hi, v4
	v_xor_b32_e32 v4, vcc_lo, v4
	v_and_b32_e32 v72, v72, v218
	v_and_b32_e32 v218, v70, v4
	v_lshlrev_b32_e32 v4, 24, v69
	v_cmp_gt_i64_e32 vcc, 0, v[3:4]
	v_not_b32_e32 v4, v4
	v_ashrrev_i32_e32 v4, 31, v4
	v_mul_u32_u24_e32 v71, 20, v69
	v_xor_b32_e32 v69, vcc_hi, v4
	v_xor_b32_e32 v4, vcc_lo, v4
	v_and_b32_e32 v70, v72, v69
	v_and_b32_e32 v69, v218, v4
	v_mbcnt_lo_u32_b32 v4, v69, 0
	v_mbcnt_hi_u32_b32 v218, v70, v4
	v_cmp_ne_u64_e32 vcc, 0, v[69:70]
	v_cmp_eq_u32_e64 s[38:39], 0, v218
	s_and_b64 s[40:41], vcc, s[38:39]
	v_add_u32_e32 v220, v172, v71
	; wave barrier
	s_and_saveexec_b64 s[38:39], s[40:41]
	s_cbranch_execz .LBB1123_162
; %bb.161:                              ;   in Loop: Header=BB1123_96 Depth=2
	v_bcnt_u32_b32 v4, v69, 0
	v_bcnt_u32_b32 v4, v70, v4
	s_waitcnt lgkmcnt(0)
	v_add_u32_e32 v4, v216, v4
	ds_write_b32 v220, v4 offset:1040
.LBB1123_162:                           ;   in Loop: Header=BB1123_96 Depth=2
	s_or_b64 exec, exec, s[38:39]
	v_cmp_gt_i64_e32 vcc, 0, v[43:44]
	v_ashrrev_i32_e32 v69, 31, v44
	v_cndmask_b32_e64 v4, v133, 0, vcc
	v_not_b32_e32 v69, v69
	v_xor_b32_e32 v44, v4, v44
	v_xor_b32_e32 v43, v69, v43
	v_cmp_ne_u64_e32 vcc, s[72:73], v[43:44]
	v_cndmask_b32_e32 v70, v133, v44, vcc
	v_cndmask_b32_e32 v69, -1, v43, vcc
	v_lshrrev_b64 v[69:70], s88, v[69:70]
	; wave barrier
	v_and_b32_e32 v69, s97, v69
	v_mad_u32_u24 v4, v69, 20, v172
	ds_read_b32 v219, v4 offset:1040
	v_and_b32_e32 v4, 1, v69
	v_add_co_u32_e32 v70, vcc, -1, v4
	v_addc_co_u32_e64 v72, s[38:39], 0, -1, vcc
	v_cmp_ne_u32_e32 vcc, 0, v4
	v_xor_b32_e32 v4, vcc_hi, v72
	v_and_b32_e32 v72, exec_hi, v4
	v_lshlrev_b32_e32 v4, 30, v69
	v_xor_b32_e32 v70, vcc_lo, v70
	v_cmp_gt_i64_e32 vcc, 0, v[3:4]
	v_not_b32_e32 v4, v4
	v_ashrrev_i32_e32 v4, 31, v4
	v_and_b32_e32 v70, exec_lo, v70
	v_xor_b32_e32 v221, vcc_hi, v4
	v_xor_b32_e32 v4, vcc_lo, v4
	v_and_b32_e32 v70, v70, v4
	v_lshlrev_b32_e32 v4, 29, v69
	v_cmp_gt_i64_e32 vcc, 0, v[3:4]
	v_not_b32_e32 v4, v4
	v_ashrrev_i32_e32 v4, 31, v4
	v_and_b32_e32 v72, v72, v221
	v_xor_b32_e32 v221, vcc_hi, v4
	v_xor_b32_e32 v4, vcc_lo, v4
	v_and_b32_e32 v70, v70, v4
	v_lshlrev_b32_e32 v4, 28, v69
	v_cmp_gt_i64_e32 vcc, 0, v[3:4]
	v_not_b32_e32 v4, v4
	v_ashrrev_i32_e32 v4, 31, v4
	v_and_b32_e32 v72, v72, v221
	;; [unrolled: 8-line block ×5, first 2 shown]
	v_xor_b32_e32 v221, vcc_hi, v4
	v_xor_b32_e32 v4, vcc_lo, v4
	v_and_b32_e32 v72, v72, v221
	v_and_b32_e32 v221, v70, v4
	v_lshlrev_b32_e32 v4, 24, v69
	v_cmp_gt_i64_e32 vcc, 0, v[3:4]
	v_not_b32_e32 v4, v4
	v_ashrrev_i32_e32 v4, 31, v4
	v_mul_u32_u24_e32 v71, 20, v69
	v_xor_b32_e32 v69, vcc_hi, v4
	v_xor_b32_e32 v4, vcc_lo, v4
	v_and_b32_e32 v70, v72, v69
	v_and_b32_e32 v69, v221, v4
	v_mbcnt_lo_u32_b32 v4, v69, 0
	v_mbcnt_hi_u32_b32 v221, v70, v4
	v_cmp_ne_u64_e32 vcc, 0, v[69:70]
	v_cmp_eq_u32_e64 s[38:39], 0, v221
	s_and_b64 s[40:41], vcc, s[38:39]
	v_add_u32_e32 v4, v172, v71
	; wave barrier
	s_and_saveexec_b64 s[38:39], s[40:41]
	s_cbranch_execz .LBB1123_164
; %bb.163:                              ;   in Loop: Header=BB1123_96 Depth=2
	v_bcnt_u32_b32 v69, v69, 0
	v_bcnt_u32_b32 v69, v70, v69
	s_waitcnt lgkmcnt(0)
	v_add_u32_e32 v69, v219, v69
	ds_write_b32 v4, v69 offset:1040
.LBB1123_164:                           ;   in Loop: Header=BB1123_96 Depth=2
	s_or_b64 exec, exec, s[38:39]
	; wave barrier
	s_waitcnt lgkmcnt(0)
	s_barrier
	ds_read2_b32 v[71:72], v175 offset1:1
	ds_read2_b32 v[69:70], v174 offset1:1
	ds_read_b32 v222, v98 offset:1056
	s_waitcnt lgkmcnt(1)
	v_add3_u32 v223, v72, v71, v69
	s_waitcnt lgkmcnt(0)
	v_add3_u32 v222, v223, v70, v222
	s_nop 1
	v_mov_b32_dpp v223, v222 row_shr:1 row_mask:0xf bank_mask:0xf
	v_cndmask_b32_e64 v223, v223, 0, s[18:19]
	v_add_u32_e32 v222, v223, v222
	s_nop 1
	v_mov_b32_dpp v223, v222 row_shr:2 row_mask:0xf bank_mask:0xf
	v_cndmask_b32_e64 v223, 0, v223, s[20:21]
	v_add_u32_e32 v222, v222, v223
	;; [unrolled: 4-line block ×4, first 2 shown]
	s_nop 1
	v_mov_b32_dpp v223, v222 row_bcast:15 row_mask:0xf bank_mask:0xf
	v_cndmask_b32_e64 v223, v223, 0, s[26:27]
	v_add_u32_e32 v222, v222, v223
	s_nop 1
	v_mov_b32_dpp v223, v222 row_bcast:31 row_mask:0xf bank_mask:0xf
	v_cndmask_b32_e64 v223, 0, v223, s[28:29]
	v_add_u32_e32 v222, v222, v223
	s_and_saveexec_b64 s[38:39], s[8:9]
; %bb.165:                              ;   in Loop: Header=BB1123_96 Depth=2
	ds_write_b32 v93, v222 offset:1024
; %bb.166:                              ;   in Loop: Header=BB1123_96 Depth=2
	s_or_b64 exec, exec, s[38:39]
	s_waitcnt lgkmcnt(0)
	s_barrier
	s_and_saveexec_b64 s[38:39], s[10:11]
	s_cbranch_execz .LBB1123_168
; %bb.167:                              ;   in Loop: Header=BB1123_96 Depth=2
	ds_read_b32 v223, v99 offset:1024
	s_waitcnt lgkmcnt(0)
	s_nop 0
	v_mov_b32_dpp v224, v223 row_shr:1 row_mask:0xf bank_mask:0xf
	v_cndmask_b32_e64 v224, v224, 0, s[34:35]
	v_add_u32_e32 v223, v224, v223
	s_nop 1
	v_mov_b32_dpp v224, v223 row_shr:2 row_mask:0xf bank_mask:0xf
	v_cndmask_b32_e64 v224, 0, v224, s[36:37]
	v_add_u32_e32 v223, v223, v224
	ds_write_b32 v99, v223 offset:1024
.LBB1123_168:                           ;   in Loop: Header=BB1123_96 Depth=2
	s_or_b64 exec, exec, s[38:39]
	v_mov_b32_e32 v223, 0
	s_waitcnt lgkmcnt(0)
	s_barrier
	s_and_saveexec_b64 s[38:39], s[12:13]
; %bb.169:                              ;   in Loop: Header=BB1123_96 Depth=2
	ds_read_b32 v223, v93 offset:1020
; %bb.170:                              ;   in Loop: Header=BB1123_96 Depth=2
	s_or_b64 exec, exec, s[38:39]
	s_waitcnt lgkmcnt(0)
	v_add_u32_e32 v222, v223, v222
	ds_bpermute_b32 v222, v135, v222
	s_waitcnt lgkmcnt(0)
	v_cndmask_b32_e64 v222, v222, v223, s[30:31]
	v_cndmask_b32_e64 v222, v222, 0, s[14:15]
	v_add_u32_e32 v71, v222, v71
	v_add_u32_e32 v72, v71, v72
	;; [unrolled: 1-line block ×4, first 2 shown]
	ds_write2_b32 v175, v222, v71 offset1:1
	ds_write2_b32 v174, v72, v69 offset1:1
	ds_write_b32 v98, v70 offset:1056
	s_waitcnt lgkmcnt(0)
	s_barrier
	ds_read_b32 v69, v178 offset:1040
	ds_read_b32 v70, v181 offset:1040
	;; [unrolled: 1-line block ×17, first 2 shown]
	v_mov_b32_e32 v4, 0x1000
	s_and_saveexec_b64 s[38:39], s[16:17]
; %bb.171:                              ;   in Loop: Header=BB1123_96 Depth=2
	ds_read_b32 v4, v98 offset:1060
; %bb.172:                              ;   in Loop: Header=BB1123_96 Depth=2
	s_or_b64 exec, exec, s[38:39]
	s_waitcnt lgkmcnt(0)
	s_barrier
	s_and_saveexec_b64 s[38:39], s[4:5]
	s_cbranch_execz .LBB1123_174
; %bb.173:                              ;   in Loop: Header=BB1123_96 Depth=2
	ds_read_b32 v199, v73
	s_waitcnt lgkmcnt(0)
	v_sub_u32_e32 v196, v199, v196
	ds_write_b32 v73, v196
.LBB1123_174:                           ;   in Loop: Header=BB1123_96 Depth=2
	s_or_b64 exec, exec, s[38:39]
	v_lshlrev_b32_e32 v176, 3, v176
	v_lshl_add_u32 v69, v69, 3, v176
	ds_write_b64 v69, v[37:38] offset:1024
	v_lshlrev_b32_e32 v37, 3, v179
	v_lshlrev_b32_e32 v38, 3, v177
	;; [unrolled: 1-line block ×3, first 2 shown]
	v_add3_u32 v70, v37, v38, v70
	ds_write_b64 v70, v[39:40] offset:1024
	v_lshlrev_b32_e32 v37, 3, v182
	v_lshlrev_b32_e32 v38, 3, v180
	v_lshlrev_b32_e32 v39, 3, v225
	v_add3_u32 v39, v37, v38, v39
	v_lshlrev_b32_e32 v37, 3, v185
	v_lshlrev_b32_e32 v38, 3, v183
	v_lshlrev_b32_e32 v40, 3, v224
	ds_write_b64 v39, v[45:46] offset:1024
	v_add3_u32 v40, v37, v38, v40
	v_lshlrev_b32_e32 v37, 3, v188
	v_lshlrev_b32_e32 v38, 3, v186
	v_lshlrev_b32_e32 v45, 3, v223
	v_add3_u32 v45, v37, v38, v45
	v_lshlrev_b32_e32 v37, 3, v191
	v_lshlrev_b32_e32 v38, 3, v189
	v_lshlrev_b32_e32 v46, 3, v222
	ds_write_b64 v40, v[49:50] offset:1024
	v_add3_u32 v46, v37, v38, v46
	;; [unrolled: 9-line block ×4, first 2 shown]
	v_lshlrev_b32_e32 v37, 3, v206
	v_lshlrev_b32_e32 v38, 3, v204
	v_lshlrev_b32_e32 v57, 3, v181
	v_add3_u32 v57, v37, v38, v57
	v_lshlrev_b32_e32 v37, 3, v209
	v_lshlrev_b32_e32 v38, 3, v207
	;; [unrolled: 1-line block ×3, first 2 shown]
	v_add3_u32 v58, v37, v38, v58
	ds_write_b64 v49, v[63:64] offset:1024
	ds_write_b64 v50, v[65:66] offset:1024
	;; [unrolled: 1-line block ×6, first 2 shown]
	v_lshlrev_b32_e32 v37, 3, v212
	v_lshlrev_b32_e32 v38, 3, v210
	v_lshlrev_b32_e32 v55, 3, v175
	v_add3_u32 v55, v37, v38, v55
	ds_write_b64 v55, v[51:52] offset:1024
	v_lshlrev_b32_e32 v37, 3, v215
	v_lshlrev_b32_e32 v38, 3, v213
	v_lshlrev_b32_e32 v51, 3, v174
	v_add3_u32 v51, v37, v38, v51
	ds_write_b64 v51, v[47:48] offset:1024
	;; [unrolled: 5-line block ×3, first 2 shown]
	v_lshlrev_b32_e32 v37, 3, v221
	v_lshlrev_b32_e32 v38, 3, v219
	;; [unrolled: 1-line block ×3, first 2 shown]
	v_add3_u32 v41, v37, v38, v41
	v_cmp_lt_u32_e64 s[38:39], v0, v173
	ds_write_b64 v41, v[43:44] offset:1024
	s_waitcnt lgkmcnt(0)
	s_barrier
	s_and_saveexec_b64 s[40:41], s[38:39]
	s_cbranch_execnz .LBB1123_243
; %bb.175:                              ;   in Loop: Header=BB1123_96 Depth=2
	s_or_b64 exec, exec, s[40:41]
	v_cmp_lt_u32_e64 s[40:41], v74, v173
	s_and_saveexec_b64 s[42:43], s[40:41]
	s_cbranch_execnz .LBB1123_244
.LBB1123_176:                           ;   in Loop: Header=BB1123_96 Depth=2
	s_or_b64 exec, exec, s[42:43]
	v_cmp_lt_u32_e64 s[42:43], v75, v173
	s_and_saveexec_b64 s[44:45], s[42:43]
	s_cbranch_execnz .LBB1123_245
.LBB1123_177:                           ;   in Loop: Header=BB1123_96 Depth=2
	s_or_b64 exec, exec, s[44:45]
	v_cmp_lt_u32_e64 s[44:45], v76, v173
	s_and_saveexec_b64 s[46:47], s[44:45]
	s_cbranch_execnz .LBB1123_246
.LBB1123_178:                           ;   in Loop: Header=BB1123_96 Depth=2
	s_or_b64 exec, exec, s[46:47]
	v_cmp_lt_u32_e64 s[46:47], v79, v173
	s_and_saveexec_b64 s[48:49], s[46:47]
	s_cbranch_execnz .LBB1123_247
.LBB1123_179:                           ;   in Loop: Header=BB1123_96 Depth=2
	s_or_b64 exec, exec, s[48:49]
	v_cmp_lt_u32_e64 s[48:49], v80, v173
	s_and_saveexec_b64 s[50:51], s[48:49]
	s_cbranch_execnz .LBB1123_248
.LBB1123_180:                           ;   in Loop: Header=BB1123_96 Depth=2
	s_or_b64 exec, exec, s[50:51]
	v_cmp_lt_u32_e64 s[50:51], v81, v173
	s_and_saveexec_b64 s[52:53], s[50:51]
	s_cbranch_execnz .LBB1123_249
.LBB1123_181:                           ;   in Loop: Header=BB1123_96 Depth=2
	s_or_b64 exec, exec, s[52:53]
	v_cmp_lt_u32_e64 s[52:53], v82, v173
	s_and_saveexec_b64 s[54:55], s[52:53]
	s_cbranch_execnz .LBB1123_250
.LBB1123_182:                           ;   in Loop: Header=BB1123_96 Depth=2
	s_or_b64 exec, exec, s[54:55]
	v_cmp_lt_u32_e64 s[54:55], v83, v173
	s_and_saveexec_b64 s[56:57], s[54:55]
	s_cbranch_execnz .LBB1123_251
.LBB1123_183:                           ;   in Loop: Header=BB1123_96 Depth=2
	s_or_b64 exec, exec, s[56:57]
	v_cmp_lt_u32_e64 s[56:57], v84, v173
	s_and_saveexec_b64 s[58:59], s[56:57]
	s_cbranch_execnz .LBB1123_252
.LBB1123_184:                           ;   in Loop: Header=BB1123_96 Depth=2
	s_or_b64 exec, exec, s[58:59]
	v_cmp_lt_u32_e64 s[58:59], v85, v173
	s_and_saveexec_b64 s[60:61], s[58:59]
	s_cbranch_execnz .LBB1123_253
.LBB1123_185:                           ;   in Loop: Header=BB1123_96 Depth=2
	s_or_b64 exec, exec, s[60:61]
	v_cmp_lt_u32_e64 s[60:61], v86, v173
	s_and_saveexec_b64 s[62:63], s[60:61]
	s_cbranch_execnz .LBB1123_254
.LBB1123_186:                           ;   in Loop: Header=BB1123_96 Depth=2
	s_or_b64 exec, exec, s[62:63]
	v_cmp_lt_u32_e64 s[62:63], v87, v173
	s_and_saveexec_b64 s[64:65], s[62:63]
	s_cbranch_execnz .LBB1123_255
.LBB1123_187:                           ;   in Loop: Header=BB1123_96 Depth=2
	s_or_b64 exec, exec, s[64:65]
	v_cmp_lt_u32_e64 s[64:65], v88, v173
	s_and_saveexec_b64 s[66:67], s[64:65]
	s_cbranch_execnz .LBB1123_256
.LBB1123_188:                           ;   in Loop: Header=BB1123_96 Depth=2
	s_or_b64 exec, exec, s[66:67]
	v_cmp_lt_u32_e64 s[66:67], v89, v173
	s_and_saveexec_b64 s[68:69], s[66:67]
	s_cbranch_execnz .LBB1123_257
.LBB1123_189:                           ;   in Loop: Header=BB1123_96 Depth=2
	s_or_b64 exec, exec, s[68:69]
	v_cmp_lt_u32_e64 s[68:69], v90, v173
	s_and_saveexec_b64 s[92:93], s[68:69]
	s_cbranch_execz .LBB1123_191
.LBB1123_190:                           ;   in Loop: Header=BB1123_96 Depth=2
	ds_read_b64 v[37:38], v104 offset:31744
	v_mov_b32_e32 v43, v3
	v_mov_b32_e32 v44, s79
	s_waitcnt lgkmcnt(0)
	v_cmp_ne_u64_e32 vcc, s[72:73], v[37:38]
	v_ashrrev_i32_e32 v52, 31, v38
	v_cndmask_b32_e32 v60, v133, v38, vcc
	v_cndmask_b32_e32 v59, -1, v37, vcc
	v_lshrrev_b64 v[59:60], s88, v[59:60]
	v_cmp_gt_i64_e32 vcc, 0, v[37:38]
	v_and_b32_e32 v48, s97, v59
	v_lshlrev_b32_e32 v48, 2, v48
	ds_read_b32 v48, v48
	v_cndmask_b32_e64 v42, v133, 0, vcc
	v_xor_b32_e32 v38, v42, v38
	v_not_b32_e32 v52, v52
	v_xor_b32_e32 v37, v52, v37
	s_waitcnt lgkmcnt(0)
	v_add_u32_e32 v42, v48, v90
	v_lshlrev_b64 v[42:43], 3, v[42:43]
	v_add_co_u32_e32 v42, vcc, s78, v42
	v_addc_co_u32_e32 v43, vcc, v44, v43, vcc
	global_store_dwordx2 v[42:43], v[37:38], off
.LBB1123_191:                           ;   in Loop: Header=BB1123_96 Depth=2
	s_or_b64 exec, exec, s[92:93]
	s_mov_b32 s83, s72
	s_lshl_b64 s[82:83], s[82:83], 3
	v_mov_b32_e32 v38, s83
	v_add_co_u32_e32 v37, vcc, s82, v145
	v_addc_co_u32_e32 v38, vcc, v147, v38, vcc
	v_cmp_lt_u32_e32 vcc, v143, v173
	s_and_saveexec_b64 s[82:83], vcc
	s_xor_b64 s[82:83], exec, s[82:83]
	s_cbranch_execnz .LBB1123_258
; %bb.192:                              ;   in Loop: Header=BB1123_96 Depth=2
	s_or_b64 exec, exec, s[82:83]
	v_cmp_lt_u32_e32 vcc, v149, v173
	s_and_saveexec_b64 s[82:83], vcc
	s_cbranch_execnz .LBB1123_259
.LBB1123_193:                           ;   in Loop: Header=BB1123_96 Depth=2
	s_or_b64 exec, exec, s[82:83]
	v_cmp_lt_u32_e32 vcc, v151, v173
	s_and_saveexec_b64 s[82:83], vcc
	s_cbranch_execnz .LBB1123_260
.LBB1123_194:                           ;   in Loop: Header=BB1123_96 Depth=2
	s_or_b64 exec, exec, s[82:83]
	v_cmp_lt_u32_e32 vcc, v153, v173
	s_and_saveexec_b64 s[82:83], vcc
	s_cbranch_execnz .LBB1123_261
.LBB1123_195:                           ;   in Loop: Header=BB1123_96 Depth=2
	s_or_b64 exec, exec, s[82:83]
	v_cmp_lt_u32_e32 vcc, v155, v173
	s_and_saveexec_b64 s[82:83], vcc
	s_cbranch_execnz .LBB1123_262
.LBB1123_196:                           ;   in Loop: Header=BB1123_96 Depth=2
	s_or_b64 exec, exec, s[82:83]
	v_cmp_lt_u32_e32 vcc, v157, v173
	s_and_saveexec_b64 s[82:83], vcc
	s_cbranch_execnz .LBB1123_263
.LBB1123_197:                           ;   in Loop: Header=BB1123_96 Depth=2
	s_or_b64 exec, exec, s[82:83]
	v_cmp_lt_u32_e32 vcc, v159, v173
	s_and_saveexec_b64 s[82:83], vcc
	s_cbranch_execnz .LBB1123_264
.LBB1123_198:                           ;   in Loop: Header=BB1123_96 Depth=2
	s_or_b64 exec, exec, s[82:83]
	v_cmp_lt_u32_e32 vcc, v161, v173
	s_and_saveexec_b64 s[82:83], vcc
	s_cbranch_execnz .LBB1123_265
.LBB1123_199:                           ;   in Loop: Header=BB1123_96 Depth=2
	s_or_b64 exec, exec, s[82:83]
	v_cmp_lt_u32_e32 vcc, v162, v173
	s_and_saveexec_b64 s[82:83], vcc
	s_cbranch_execnz .LBB1123_266
.LBB1123_200:                           ;   in Loop: Header=BB1123_96 Depth=2
	s_or_b64 exec, exec, s[82:83]
	v_cmp_lt_u32_e32 vcc, v163, v173
	s_and_saveexec_b64 s[82:83], vcc
	s_cbranch_execnz .LBB1123_267
.LBB1123_201:                           ;   in Loop: Header=BB1123_96 Depth=2
	s_or_b64 exec, exec, s[82:83]
	v_cmp_lt_u32_e32 vcc, v164, v173
	s_and_saveexec_b64 s[82:83], vcc
	s_cbranch_execnz .LBB1123_268
.LBB1123_202:                           ;   in Loop: Header=BB1123_96 Depth=2
	s_or_b64 exec, exec, s[82:83]
	v_cmp_lt_u32_e32 vcc, v165, v173
	s_and_saveexec_b64 s[82:83], vcc
	s_cbranch_execnz .LBB1123_269
.LBB1123_203:                           ;   in Loop: Header=BB1123_96 Depth=2
	s_or_b64 exec, exec, s[82:83]
	v_cmp_lt_u32_e32 vcc, v166, v173
	s_and_saveexec_b64 s[82:83], vcc
	s_cbranch_execnz .LBB1123_270
.LBB1123_204:                           ;   in Loop: Header=BB1123_96 Depth=2
	s_or_b64 exec, exec, s[82:83]
	v_cmp_lt_u32_e32 vcc, v167, v173
	s_and_saveexec_b64 s[82:83], vcc
	s_cbranch_execnz .LBB1123_271
.LBB1123_205:                           ;   in Loop: Header=BB1123_96 Depth=2
	s_or_b64 exec, exec, s[82:83]
	v_cmp_lt_u32_e32 vcc, v168, v173
	s_and_saveexec_b64 s[82:83], vcc
	s_cbranch_execnz .LBB1123_272
.LBB1123_206:                           ;   in Loop: Header=BB1123_96 Depth=2
	s_or_b64 exec, exec, s[82:83]
	v_cmp_lt_u32_e32 vcc, v169, v173
	s_and_saveexec_b64 s[82:83], vcc
	s_cbranch_execnz .LBB1123_273
.LBB1123_207:                           ;   in Loop: Header=BB1123_96 Depth=2
	s_or_b64 exec, exec, s[82:83]
	s_and_saveexec_b64 s[82:83], s[38:39]
	s_cbranch_execnz .LBB1123_274
.LBB1123_208:                           ;   in Loop: Header=BB1123_96 Depth=2
	s_or_b64 exec, exec, s[82:83]
	s_and_saveexec_b64 s[82:83], s[40:41]
	s_cbranch_execnz .LBB1123_275
.LBB1123_209:                           ;   in Loop: Header=BB1123_96 Depth=2
	s_or_b64 exec, exec, s[82:83]
	s_and_saveexec_b64 s[82:83], s[42:43]
	s_cbranch_execnz .LBB1123_276
.LBB1123_210:                           ;   in Loop: Header=BB1123_96 Depth=2
	s_or_b64 exec, exec, s[82:83]
	s_and_saveexec_b64 s[82:83], s[44:45]
	s_cbranch_execnz .LBB1123_277
.LBB1123_211:                           ;   in Loop: Header=BB1123_96 Depth=2
	s_or_b64 exec, exec, s[82:83]
	s_and_saveexec_b64 s[82:83], s[46:47]
	s_cbranch_execnz .LBB1123_278
.LBB1123_212:                           ;   in Loop: Header=BB1123_96 Depth=2
	s_or_b64 exec, exec, s[82:83]
	s_and_saveexec_b64 s[82:83], s[48:49]
	s_cbranch_execnz .LBB1123_279
.LBB1123_213:                           ;   in Loop: Header=BB1123_96 Depth=2
	s_or_b64 exec, exec, s[82:83]
	s_and_saveexec_b64 s[82:83], s[50:51]
	s_cbranch_execnz .LBB1123_280
.LBB1123_214:                           ;   in Loop: Header=BB1123_96 Depth=2
	s_or_b64 exec, exec, s[82:83]
	s_and_saveexec_b64 s[82:83], s[52:53]
	s_cbranch_execnz .LBB1123_281
.LBB1123_215:                           ;   in Loop: Header=BB1123_96 Depth=2
	s_or_b64 exec, exec, s[82:83]
	s_and_saveexec_b64 s[82:83], s[54:55]
	s_cbranch_execnz .LBB1123_282
.LBB1123_216:                           ;   in Loop: Header=BB1123_96 Depth=2
	s_or_b64 exec, exec, s[82:83]
	s_and_saveexec_b64 s[82:83], s[56:57]
	s_cbranch_execnz .LBB1123_283
.LBB1123_217:                           ;   in Loop: Header=BB1123_96 Depth=2
	s_or_b64 exec, exec, s[82:83]
	s_and_saveexec_b64 s[82:83], s[58:59]
	s_cbranch_execnz .LBB1123_284
.LBB1123_218:                           ;   in Loop: Header=BB1123_96 Depth=2
	s_or_b64 exec, exec, s[82:83]
	s_and_saveexec_b64 s[82:83], s[60:61]
	s_cbranch_execnz .LBB1123_285
.LBB1123_219:                           ;   in Loop: Header=BB1123_96 Depth=2
	s_or_b64 exec, exec, s[82:83]
	s_and_saveexec_b64 s[82:83], s[62:63]
	s_cbranch_execnz .LBB1123_286
.LBB1123_220:                           ;   in Loop: Header=BB1123_96 Depth=2
	s_or_b64 exec, exec, s[82:83]
	s_and_saveexec_b64 s[82:83], s[64:65]
	s_cbranch_execnz .LBB1123_287
.LBB1123_221:                           ;   in Loop: Header=BB1123_96 Depth=2
	s_or_b64 exec, exec, s[82:83]
	s_and_saveexec_b64 s[82:83], s[66:67]
	s_cbranch_execnz .LBB1123_288
.LBB1123_222:                           ;   in Loop: Header=BB1123_96 Depth=2
	s_or_b64 exec, exec, s[82:83]
	s_and_saveexec_b64 s[82:83], s[68:69]
	s_cbranch_execz .LBB1123_224
.LBB1123_223:                           ;   in Loop: Header=BB1123_96 Depth=2
	ds_read_b64 v[37:38], v104 offset:31744
	s_waitcnt lgkmcnt(0)
	v_cmp_ne_u64_e32 vcc, s[72:73], v[37:38]
	v_cndmask_b32_e32 v38, v133, v38, vcc
	v_cndmask_b32_e32 v37, -1, v37, vcc
	v_lshrrev_b64 v[37:38], s88, v[37:38]
	v_and_b32_e32 v136, s97, v37
.LBB1123_224:                           ;   in Loop: Header=BB1123_96 Depth=2
	s_or_b64 exec, exec, s[82:83]
	s_waitcnt vmcnt(0)
	s_barrier
	ds_write_b64 v69, v[35:36] offset:1024
	ds_write_b64 v70, v[33:34] offset:1024
	ds_write_b64 v39, v[31:32] offset:1024
	ds_write_b64 v40, v[27:28] offset:1024
	ds_write_b64 v45, v[23:24] offset:1024
	ds_write_b64 v46, v[19:20] offset:1024
	ds_write_b64 v49, v[15:16] offset:1024
	ds_write_b64 v50, v[11:12] offset:1024
	ds_write_b64 v53, v[29:30] offset:1024
	ds_write_b64 v54, v[25:26] offset:1024
	ds_write_b64 v57, v[21:22] offset:1024
	ds_write_b64 v58, v[17:18] offset:1024
	ds_write_b64 v55, v[13:14] offset:1024
	ds_write_b64 v51, v[9:10] offset:1024
	ds_write_b64 v47, v[7:8] offset:1024
	ds_write_b64 v41, v[5:6] offset:1024
	s_waitcnt lgkmcnt(0)
	s_barrier
	s_and_saveexec_b64 s[82:83], s[38:39]
	s_cbranch_execnz .LBB1123_289
; %bb.225:                              ;   in Loop: Header=BB1123_96 Depth=2
	s_or_b64 exec, exec, s[82:83]
	s_and_saveexec_b64 s[38:39], s[40:41]
	s_cbranch_execnz .LBB1123_290
.LBB1123_226:                           ;   in Loop: Header=BB1123_96 Depth=2
	s_or_b64 exec, exec, s[38:39]
	s_and_saveexec_b64 s[38:39], s[42:43]
	s_cbranch_execnz .LBB1123_291
.LBB1123_227:                           ;   in Loop: Header=BB1123_96 Depth=2
	s_or_b64 exec, exec, s[38:39]
	s_and_saveexec_b64 s[38:39], s[44:45]
	s_cbranch_execnz .LBB1123_292
.LBB1123_228:                           ;   in Loop: Header=BB1123_96 Depth=2
	s_or_b64 exec, exec, s[38:39]
	s_and_saveexec_b64 s[38:39], s[46:47]
	s_cbranch_execnz .LBB1123_293
.LBB1123_229:                           ;   in Loop: Header=BB1123_96 Depth=2
	s_or_b64 exec, exec, s[38:39]
	s_and_saveexec_b64 s[38:39], s[48:49]
	s_cbranch_execnz .LBB1123_294
.LBB1123_230:                           ;   in Loop: Header=BB1123_96 Depth=2
	s_or_b64 exec, exec, s[38:39]
	s_and_saveexec_b64 s[38:39], s[50:51]
	s_cbranch_execnz .LBB1123_295
.LBB1123_231:                           ;   in Loop: Header=BB1123_96 Depth=2
	s_or_b64 exec, exec, s[38:39]
	s_and_saveexec_b64 s[38:39], s[52:53]
	s_cbranch_execnz .LBB1123_296
.LBB1123_232:                           ;   in Loop: Header=BB1123_96 Depth=2
	s_or_b64 exec, exec, s[38:39]
	s_and_saveexec_b64 s[38:39], s[54:55]
	s_cbranch_execnz .LBB1123_297
.LBB1123_233:                           ;   in Loop: Header=BB1123_96 Depth=2
	s_or_b64 exec, exec, s[38:39]
	s_and_saveexec_b64 s[38:39], s[56:57]
	s_cbranch_execnz .LBB1123_298
.LBB1123_234:                           ;   in Loop: Header=BB1123_96 Depth=2
	s_or_b64 exec, exec, s[38:39]
	s_and_saveexec_b64 s[38:39], s[58:59]
	s_cbranch_execnz .LBB1123_299
.LBB1123_235:                           ;   in Loop: Header=BB1123_96 Depth=2
	s_or_b64 exec, exec, s[38:39]
	s_and_saveexec_b64 s[38:39], s[60:61]
	s_cbranch_execnz .LBB1123_300
.LBB1123_236:                           ;   in Loop: Header=BB1123_96 Depth=2
	s_or_b64 exec, exec, s[38:39]
	s_and_saveexec_b64 s[38:39], s[62:63]
	s_cbranch_execnz .LBB1123_301
.LBB1123_237:                           ;   in Loop: Header=BB1123_96 Depth=2
	s_or_b64 exec, exec, s[38:39]
	s_and_saveexec_b64 s[38:39], s[64:65]
	s_cbranch_execnz .LBB1123_302
.LBB1123_238:                           ;   in Loop: Header=BB1123_96 Depth=2
	s_or_b64 exec, exec, s[38:39]
	s_and_saveexec_b64 s[38:39], s[66:67]
	s_cbranch_execnz .LBB1123_303
.LBB1123_239:                           ;   in Loop: Header=BB1123_96 Depth=2
	s_or_b64 exec, exec, s[38:39]
	s_and_saveexec_b64 s[38:39], s[68:69]
	s_cbranch_execz .LBB1123_241
.LBB1123_240:                           ;   in Loop: Header=BB1123_96 Depth=2
	v_lshlrev_b32_e32 v37, 2, v136
	ds_read_b32 v39, v37
	ds_read_b64 v[37:38], v104 offset:31744
	v_mov_b32_e32 v40, v3
	v_mov_b32_e32 v41, s85
	s_waitcnt lgkmcnt(1)
	v_add_u32_e32 v39, v39, v90
	v_lshlrev_b64 v[39:40], 3, v[39:40]
	v_add_co_u32_e32 v39, vcc, s84, v39
	v_addc_co_u32_e32 v40, vcc, v41, v40, vcc
	s_waitcnt lgkmcnt(0)
	global_store_dwordx2 v[39:40], v[37:38], off
.LBB1123_241:                           ;   in Loop: Header=BB1123_96 Depth=2
	s_or_b64 exec, exec, s[38:39]
	s_waitcnt vmcnt(0)
	s_barrier
	s_and_saveexec_b64 s[38:39], s[4:5]
	s_cbranch_execz .LBB1123_95
; %bb.242:                              ;   in Loop: Header=BB1123_96 Depth=2
	ds_read_b32 v37, v73
	s_waitcnt lgkmcnt(0)
	v_add_u32_e32 v4, v37, v4
	ds_write_b32 v73, v4
	s_branch .LBB1123_95
.LBB1123_243:                           ;   in Loop: Header=BB1123_96 Depth=2
	ds_read_b64 v[37:38], v104 offset:1024
	v_mov_b32_e32 v43, v3
	v_mov_b32_e32 v44, s79
	s_waitcnt lgkmcnt(0)
	v_cmp_ne_u64_e32 vcc, s[72:73], v[37:38]
	v_ashrrev_i32_e32 v52, 31, v38
	v_cndmask_b32_e32 v60, v133, v38, vcc
	v_cndmask_b32_e32 v59, -1, v37, vcc
	v_lshrrev_b64 v[59:60], s88, v[59:60]
	v_cmp_gt_i64_e32 vcc, 0, v[37:38]
	v_and_b32_e32 v48, s97, v59
	v_lshlrev_b32_e32 v48, 2, v48
	ds_read_b32 v48, v48
	v_cndmask_b32_e64 v42, v133, 0, vcc
	v_xor_b32_e32 v38, v42, v38
	v_not_b32_e32 v52, v52
	v_xor_b32_e32 v37, v52, v37
	s_waitcnt lgkmcnt(0)
	v_add_u32_e32 v42, v48, v0
	v_lshlrev_b64 v[42:43], 3, v[42:43]
	v_add_co_u32_e32 v42, vcc, s78, v42
	v_addc_co_u32_e32 v43, vcc, v44, v43, vcc
	global_store_dwordx2 v[42:43], v[37:38], off
	s_or_b64 exec, exec, s[40:41]
	v_cmp_lt_u32_e64 s[40:41], v74, v173
	s_and_saveexec_b64 s[42:43], s[40:41]
	s_cbranch_execz .LBB1123_176
.LBB1123_244:                           ;   in Loop: Header=BB1123_96 Depth=2
	ds_read_b64 v[37:38], v104 offset:3072
	v_mov_b32_e32 v43, v3
	v_mov_b32_e32 v44, s79
	s_waitcnt lgkmcnt(0)
	v_cmp_ne_u64_e32 vcc, s[72:73], v[37:38]
	v_ashrrev_i32_e32 v52, 31, v38
	v_cndmask_b32_e32 v60, v133, v38, vcc
	v_cndmask_b32_e32 v59, -1, v37, vcc
	v_lshrrev_b64 v[59:60], s88, v[59:60]
	v_cmp_gt_i64_e32 vcc, 0, v[37:38]
	v_and_b32_e32 v48, s97, v59
	v_lshlrev_b32_e32 v48, 2, v48
	ds_read_b32 v48, v48
	v_cndmask_b32_e64 v42, v133, 0, vcc
	v_xor_b32_e32 v38, v42, v38
	v_not_b32_e32 v52, v52
	v_xor_b32_e32 v37, v52, v37
	s_waitcnt lgkmcnt(0)
	v_add_u32_e32 v42, v48, v74
	v_lshlrev_b64 v[42:43], 3, v[42:43]
	v_add_co_u32_e32 v42, vcc, s78, v42
	v_addc_co_u32_e32 v43, vcc, v44, v43, vcc
	global_store_dwordx2 v[42:43], v[37:38], off
	s_or_b64 exec, exec, s[42:43]
	v_cmp_lt_u32_e64 s[42:43], v75, v173
	s_and_saveexec_b64 s[44:45], s[42:43]
	s_cbranch_execz .LBB1123_177
.LBB1123_245:                           ;   in Loop: Header=BB1123_96 Depth=2
	ds_read_b64 v[37:38], v104 offset:5120
	v_mov_b32_e32 v43, v3
	v_mov_b32_e32 v44, s79
	s_waitcnt lgkmcnt(0)
	v_cmp_ne_u64_e32 vcc, s[72:73], v[37:38]
	v_ashrrev_i32_e32 v52, 31, v38
	v_cndmask_b32_e32 v60, v133, v38, vcc
	v_cndmask_b32_e32 v59, -1, v37, vcc
	v_lshrrev_b64 v[59:60], s88, v[59:60]
	v_cmp_gt_i64_e32 vcc, 0, v[37:38]
	v_and_b32_e32 v48, s97, v59
	v_lshlrev_b32_e32 v48, 2, v48
	ds_read_b32 v48, v48
	v_cndmask_b32_e64 v42, v133, 0, vcc
	v_xor_b32_e32 v38, v42, v38
	v_not_b32_e32 v52, v52
	v_xor_b32_e32 v37, v52, v37
	s_waitcnt lgkmcnt(0)
	v_add_u32_e32 v42, v48, v75
	v_lshlrev_b64 v[42:43], 3, v[42:43]
	v_add_co_u32_e32 v42, vcc, s78, v42
	v_addc_co_u32_e32 v43, vcc, v44, v43, vcc
	global_store_dwordx2 v[42:43], v[37:38], off
	s_or_b64 exec, exec, s[44:45]
	v_cmp_lt_u32_e64 s[44:45], v76, v173
	s_and_saveexec_b64 s[46:47], s[44:45]
	s_cbranch_execz .LBB1123_178
.LBB1123_246:                           ;   in Loop: Header=BB1123_96 Depth=2
	ds_read_b64 v[37:38], v104 offset:7168
	v_mov_b32_e32 v43, v3
	v_mov_b32_e32 v44, s79
	s_waitcnt lgkmcnt(0)
	v_cmp_ne_u64_e32 vcc, s[72:73], v[37:38]
	v_ashrrev_i32_e32 v52, 31, v38
	v_cndmask_b32_e32 v60, v133, v38, vcc
	v_cndmask_b32_e32 v59, -1, v37, vcc
	v_lshrrev_b64 v[59:60], s88, v[59:60]
	v_cmp_gt_i64_e32 vcc, 0, v[37:38]
	v_and_b32_e32 v48, s97, v59
	v_lshlrev_b32_e32 v48, 2, v48
	ds_read_b32 v48, v48
	v_cndmask_b32_e64 v42, v133, 0, vcc
	v_xor_b32_e32 v38, v42, v38
	v_not_b32_e32 v52, v52
	v_xor_b32_e32 v37, v52, v37
	s_waitcnt lgkmcnt(0)
	v_add_u32_e32 v42, v48, v76
	v_lshlrev_b64 v[42:43], 3, v[42:43]
	v_add_co_u32_e32 v42, vcc, s78, v42
	v_addc_co_u32_e32 v43, vcc, v44, v43, vcc
	global_store_dwordx2 v[42:43], v[37:38], off
	s_or_b64 exec, exec, s[46:47]
	v_cmp_lt_u32_e64 s[46:47], v79, v173
	s_and_saveexec_b64 s[48:49], s[46:47]
	s_cbranch_execz .LBB1123_179
.LBB1123_247:                           ;   in Loop: Header=BB1123_96 Depth=2
	ds_read_b64 v[37:38], v104 offset:9216
	v_mov_b32_e32 v43, v3
	v_mov_b32_e32 v44, s79
	s_waitcnt lgkmcnt(0)
	v_cmp_ne_u64_e32 vcc, s[72:73], v[37:38]
	v_ashrrev_i32_e32 v52, 31, v38
	v_cndmask_b32_e32 v60, v133, v38, vcc
	v_cndmask_b32_e32 v59, -1, v37, vcc
	v_lshrrev_b64 v[59:60], s88, v[59:60]
	v_cmp_gt_i64_e32 vcc, 0, v[37:38]
	v_and_b32_e32 v48, s97, v59
	v_lshlrev_b32_e32 v48, 2, v48
	ds_read_b32 v48, v48
	v_cndmask_b32_e64 v42, v133, 0, vcc
	v_xor_b32_e32 v38, v42, v38
	v_not_b32_e32 v52, v52
	v_xor_b32_e32 v37, v52, v37
	s_waitcnt lgkmcnt(0)
	v_add_u32_e32 v42, v48, v79
	v_lshlrev_b64 v[42:43], 3, v[42:43]
	v_add_co_u32_e32 v42, vcc, s78, v42
	v_addc_co_u32_e32 v43, vcc, v44, v43, vcc
	global_store_dwordx2 v[42:43], v[37:38], off
	s_or_b64 exec, exec, s[48:49]
	v_cmp_lt_u32_e64 s[48:49], v80, v173
	s_and_saveexec_b64 s[50:51], s[48:49]
	s_cbranch_execz .LBB1123_180
.LBB1123_248:                           ;   in Loop: Header=BB1123_96 Depth=2
	ds_read_b64 v[37:38], v104 offset:11264
	v_mov_b32_e32 v43, v3
	v_mov_b32_e32 v44, s79
	s_waitcnt lgkmcnt(0)
	v_cmp_ne_u64_e32 vcc, s[72:73], v[37:38]
	v_ashrrev_i32_e32 v52, 31, v38
	v_cndmask_b32_e32 v60, v133, v38, vcc
	v_cndmask_b32_e32 v59, -1, v37, vcc
	v_lshrrev_b64 v[59:60], s88, v[59:60]
	v_cmp_gt_i64_e32 vcc, 0, v[37:38]
	v_and_b32_e32 v48, s97, v59
	v_lshlrev_b32_e32 v48, 2, v48
	ds_read_b32 v48, v48
	v_cndmask_b32_e64 v42, v133, 0, vcc
	v_xor_b32_e32 v38, v42, v38
	v_not_b32_e32 v52, v52
	v_xor_b32_e32 v37, v52, v37
	s_waitcnt lgkmcnt(0)
	v_add_u32_e32 v42, v48, v80
	v_lshlrev_b64 v[42:43], 3, v[42:43]
	v_add_co_u32_e32 v42, vcc, s78, v42
	v_addc_co_u32_e32 v43, vcc, v44, v43, vcc
	global_store_dwordx2 v[42:43], v[37:38], off
	s_or_b64 exec, exec, s[50:51]
	v_cmp_lt_u32_e64 s[50:51], v81, v173
	s_and_saveexec_b64 s[52:53], s[50:51]
	s_cbranch_execz .LBB1123_181
.LBB1123_249:                           ;   in Loop: Header=BB1123_96 Depth=2
	ds_read_b64 v[37:38], v104 offset:13312
	v_mov_b32_e32 v43, v3
	v_mov_b32_e32 v44, s79
	s_waitcnt lgkmcnt(0)
	v_cmp_ne_u64_e32 vcc, s[72:73], v[37:38]
	v_ashrrev_i32_e32 v52, 31, v38
	v_cndmask_b32_e32 v60, v133, v38, vcc
	v_cndmask_b32_e32 v59, -1, v37, vcc
	v_lshrrev_b64 v[59:60], s88, v[59:60]
	v_cmp_gt_i64_e32 vcc, 0, v[37:38]
	v_and_b32_e32 v48, s97, v59
	v_lshlrev_b32_e32 v48, 2, v48
	ds_read_b32 v48, v48
	v_cndmask_b32_e64 v42, v133, 0, vcc
	v_xor_b32_e32 v38, v42, v38
	v_not_b32_e32 v52, v52
	v_xor_b32_e32 v37, v52, v37
	s_waitcnt lgkmcnt(0)
	v_add_u32_e32 v42, v48, v81
	v_lshlrev_b64 v[42:43], 3, v[42:43]
	v_add_co_u32_e32 v42, vcc, s78, v42
	v_addc_co_u32_e32 v43, vcc, v44, v43, vcc
	global_store_dwordx2 v[42:43], v[37:38], off
	s_or_b64 exec, exec, s[52:53]
	v_cmp_lt_u32_e64 s[52:53], v82, v173
	s_and_saveexec_b64 s[54:55], s[52:53]
	s_cbranch_execz .LBB1123_182
.LBB1123_250:                           ;   in Loop: Header=BB1123_96 Depth=2
	ds_read_b64 v[37:38], v104 offset:15360
	v_mov_b32_e32 v43, v3
	v_mov_b32_e32 v44, s79
	s_waitcnt lgkmcnt(0)
	v_cmp_ne_u64_e32 vcc, s[72:73], v[37:38]
	v_ashrrev_i32_e32 v52, 31, v38
	v_cndmask_b32_e32 v60, v133, v38, vcc
	v_cndmask_b32_e32 v59, -1, v37, vcc
	v_lshrrev_b64 v[59:60], s88, v[59:60]
	v_cmp_gt_i64_e32 vcc, 0, v[37:38]
	v_and_b32_e32 v48, s97, v59
	v_lshlrev_b32_e32 v48, 2, v48
	ds_read_b32 v48, v48
	v_cndmask_b32_e64 v42, v133, 0, vcc
	v_xor_b32_e32 v38, v42, v38
	v_not_b32_e32 v52, v52
	v_xor_b32_e32 v37, v52, v37
	s_waitcnt lgkmcnt(0)
	v_add_u32_e32 v42, v48, v82
	v_lshlrev_b64 v[42:43], 3, v[42:43]
	v_add_co_u32_e32 v42, vcc, s78, v42
	v_addc_co_u32_e32 v43, vcc, v44, v43, vcc
	global_store_dwordx2 v[42:43], v[37:38], off
	s_or_b64 exec, exec, s[54:55]
	v_cmp_lt_u32_e64 s[54:55], v83, v173
	s_and_saveexec_b64 s[56:57], s[54:55]
	s_cbranch_execz .LBB1123_183
.LBB1123_251:                           ;   in Loop: Header=BB1123_96 Depth=2
	ds_read_b64 v[37:38], v104 offset:17408
	v_mov_b32_e32 v43, v3
	v_mov_b32_e32 v44, s79
	s_waitcnt lgkmcnt(0)
	v_cmp_ne_u64_e32 vcc, s[72:73], v[37:38]
	v_ashrrev_i32_e32 v52, 31, v38
	v_cndmask_b32_e32 v60, v133, v38, vcc
	v_cndmask_b32_e32 v59, -1, v37, vcc
	v_lshrrev_b64 v[59:60], s88, v[59:60]
	v_cmp_gt_i64_e32 vcc, 0, v[37:38]
	v_and_b32_e32 v48, s97, v59
	v_lshlrev_b32_e32 v48, 2, v48
	ds_read_b32 v48, v48
	v_cndmask_b32_e64 v42, v133, 0, vcc
	v_xor_b32_e32 v38, v42, v38
	v_not_b32_e32 v52, v52
	v_xor_b32_e32 v37, v52, v37
	s_waitcnt lgkmcnt(0)
	v_add_u32_e32 v42, v48, v83
	v_lshlrev_b64 v[42:43], 3, v[42:43]
	v_add_co_u32_e32 v42, vcc, s78, v42
	v_addc_co_u32_e32 v43, vcc, v44, v43, vcc
	global_store_dwordx2 v[42:43], v[37:38], off
	s_or_b64 exec, exec, s[56:57]
	v_cmp_lt_u32_e64 s[56:57], v84, v173
	s_and_saveexec_b64 s[58:59], s[56:57]
	s_cbranch_execz .LBB1123_184
.LBB1123_252:                           ;   in Loop: Header=BB1123_96 Depth=2
	ds_read_b64 v[37:38], v104 offset:19456
	v_mov_b32_e32 v43, v3
	v_mov_b32_e32 v44, s79
	s_waitcnt lgkmcnt(0)
	v_cmp_ne_u64_e32 vcc, s[72:73], v[37:38]
	v_ashrrev_i32_e32 v52, 31, v38
	v_cndmask_b32_e32 v60, v133, v38, vcc
	v_cndmask_b32_e32 v59, -1, v37, vcc
	v_lshrrev_b64 v[59:60], s88, v[59:60]
	v_cmp_gt_i64_e32 vcc, 0, v[37:38]
	v_and_b32_e32 v48, s97, v59
	v_lshlrev_b32_e32 v48, 2, v48
	ds_read_b32 v48, v48
	v_cndmask_b32_e64 v42, v133, 0, vcc
	v_xor_b32_e32 v38, v42, v38
	v_not_b32_e32 v52, v52
	v_xor_b32_e32 v37, v52, v37
	s_waitcnt lgkmcnt(0)
	v_add_u32_e32 v42, v48, v84
	v_lshlrev_b64 v[42:43], 3, v[42:43]
	v_add_co_u32_e32 v42, vcc, s78, v42
	v_addc_co_u32_e32 v43, vcc, v44, v43, vcc
	global_store_dwordx2 v[42:43], v[37:38], off
	s_or_b64 exec, exec, s[58:59]
	v_cmp_lt_u32_e64 s[58:59], v85, v173
	s_and_saveexec_b64 s[60:61], s[58:59]
	s_cbranch_execz .LBB1123_185
.LBB1123_253:                           ;   in Loop: Header=BB1123_96 Depth=2
	ds_read_b64 v[37:38], v104 offset:21504
	v_mov_b32_e32 v43, v3
	v_mov_b32_e32 v44, s79
	s_waitcnt lgkmcnt(0)
	v_cmp_ne_u64_e32 vcc, s[72:73], v[37:38]
	v_ashrrev_i32_e32 v52, 31, v38
	v_cndmask_b32_e32 v60, v133, v38, vcc
	v_cndmask_b32_e32 v59, -1, v37, vcc
	v_lshrrev_b64 v[59:60], s88, v[59:60]
	v_cmp_gt_i64_e32 vcc, 0, v[37:38]
	v_and_b32_e32 v48, s97, v59
	v_lshlrev_b32_e32 v48, 2, v48
	ds_read_b32 v48, v48
	v_cndmask_b32_e64 v42, v133, 0, vcc
	v_xor_b32_e32 v38, v42, v38
	v_not_b32_e32 v52, v52
	v_xor_b32_e32 v37, v52, v37
	s_waitcnt lgkmcnt(0)
	v_add_u32_e32 v42, v48, v85
	v_lshlrev_b64 v[42:43], 3, v[42:43]
	v_add_co_u32_e32 v42, vcc, s78, v42
	v_addc_co_u32_e32 v43, vcc, v44, v43, vcc
	global_store_dwordx2 v[42:43], v[37:38], off
	s_or_b64 exec, exec, s[60:61]
	v_cmp_lt_u32_e64 s[60:61], v86, v173
	s_and_saveexec_b64 s[62:63], s[60:61]
	s_cbranch_execz .LBB1123_186
.LBB1123_254:                           ;   in Loop: Header=BB1123_96 Depth=2
	ds_read_b64 v[37:38], v104 offset:23552
	v_mov_b32_e32 v43, v3
	v_mov_b32_e32 v44, s79
	s_waitcnt lgkmcnt(0)
	v_cmp_ne_u64_e32 vcc, s[72:73], v[37:38]
	v_ashrrev_i32_e32 v52, 31, v38
	v_cndmask_b32_e32 v60, v133, v38, vcc
	v_cndmask_b32_e32 v59, -1, v37, vcc
	v_lshrrev_b64 v[59:60], s88, v[59:60]
	v_cmp_gt_i64_e32 vcc, 0, v[37:38]
	v_and_b32_e32 v48, s97, v59
	v_lshlrev_b32_e32 v48, 2, v48
	ds_read_b32 v48, v48
	v_cndmask_b32_e64 v42, v133, 0, vcc
	v_xor_b32_e32 v38, v42, v38
	v_not_b32_e32 v52, v52
	v_xor_b32_e32 v37, v52, v37
	s_waitcnt lgkmcnt(0)
	v_add_u32_e32 v42, v48, v86
	v_lshlrev_b64 v[42:43], 3, v[42:43]
	v_add_co_u32_e32 v42, vcc, s78, v42
	v_addc_co_u32_e32 v43, vcc, v44, v43, vcc
	global_store_dwordx2 v[42:43], v[37:38], off
	s_or_b64 exec, exec, s[62:63]
	v_cmp_lt_u32_e64 s[62:63], v87, v173
	s_and_saveexec_b64 s[64:65], s[62:63]
	s_cbranch_execz .LBB1123_187
.LBB1123_255:                           ;   in Loop: Header=BB1123_96 Depth=2
	ds_read_b64 v[37:38], v104 offset:25600
	v_mov_b32_e32 v43, v3
	v_mov_b32_e32 v44, s79
	s_waitcnt lgkmcnt(0)
	v_cmp_ne_u64_e32 vcc, s[72:73], v[37:38]
	v_ashrrev_i32_e32 v52, 31, v38
	v_cndmask_b32_e32 v60, v133, v38, vcc
	v_cndmask_b32_e32 v59, -1, v37, vcc
	v_lshrrev_b64 v[59:60], s88, v[59:60]
	v_cmp_gt_i64_e32 vcc, 0, v[37:38]
	v_and_b32_e32 v48, s97, v59
	v_lshlrev_b32_e32 v48, 2, v48
	ds_read_b32 v48, v48
	v_cndmask_b32_e64 v42, v133, 0, vcc
	v_xor_b32_e32 v38, v42, v38
	v_not_b32_e32 v52, v52
	v_xor_b32_e32 v37, v52, v37
	s_waitcnt lgkmcnt(0)
	v_add_u32_e32 v42, v48, v87
	v_lshlrev_b64 v[42:43], 3, v[42:43]
	v_add_co_u32_e32 v42, vcc, s78, v42
	v_addc_co_u32_e32 v43, vcc, v44, v43, vcc
	global_store_dwordx2 v[42:43], v[37:38], off
	s_or_b64 exec, exec, s[64:65]
	v_cmp_lt_u32_e64 s[64:65], v88, v173
	s_and_saveexec_b64 s[66:67], s[64:65]
	s_cbranch_execz .LBB1123_188
.LBB1123_256:                           ;   in Loop: Header=BB1123_96 Depth=2
	ds_read_b64 v[37:38], v104 offset:27648
	v_mov_b32_e32 v43, v3
	v_mov_b32_e32 v44, s79
	s_waitcnt lgkmcnt(0)
	v_cmp_ne_u64_e32 vcc, s[72:73], v[37:38]
	v_ashrrev_i32_e32 v52, 31, v38
	v_cndmask_b32_e32 v60, v133, v38, vcc
	v_cndmask_b32_e32 v59, -1, v37, vcc
	v_lshrrev_b64 v[59:60], s88, v[59:60]
	v_cmp_gt_i64_e32 vcc, 0, v[37:38]
	v_and_b32_e32 v48, s97, v59
	v_lshlrev_b32_e32 v48, 2, v48
	ds_read_b32 v48, v48
	v_cndmask_b32_e64 v42, v133, 0, vcc
	v_xor_b32_e32 v38, v42, v38
	v_not_b32_e32 v52, v52
	v_xor_b32_e32 v37, v52, v37
	s_waitcnt lgkmcnt(0)
	v_add_u32_e32 v42, v48, v88
	v_lshlrev_b64 v[42:43], 3, v[42:43]
	v_add_co_u32_e32 v42, vcc, s78, v42
	v_addc_co_u32_e32 v43, vcc, v44, v43, vcc
	global_store_dwordx2 v[42:43], v[37:38], off
	s_or_b64 exec, exec, s[66:67]
	v_cmp_lt_u32_e64 s[66:67], v89, v173
	s_and_saveexec_b64 s[68:69], s[66:67]
	s_cbranch_execz .LBB1123_189
.LBB1123_257:                           ;   in Loop: Header=BB1123_96 Depth=2
	ds_read_b64 v[37:38], v104 offset:29696
	v_mov_b32_e32 v43, v3
	v_mov_b32_e32 v44, s79
	s_waitcnt lgkmcnt(0)
	v_cmp_ne_u64_e32 vcc, s[72:73], v[37:38]
	v_ashrrev_i32_e32 v52, 31, v38
	v_cndmask_b32_e32 v60, v133, v38, vcc
	v_cndmask_b32_e32 v59, -1, v37, vcc
	v_lshrrev_b64 v[59:60], s88, v[59:60]
	v_cmp_gt_i64_e32 vcc, 0, v[37:38]
	v_and_b32_e32 v48, s97, v59
	v_lshlrev_b32_e32 v48, 2, v48
	ds_read_b32 v48, v48
	v_cndmask_b32_e64 v42, v133, 0, vcc
	v_xor_b32_e32 v38, v42, v38
	v_not_b32_e32 v52, v52
	v_xor_b32_e32 v37, v52, v37
	s_waitcnt lgkmcnt(0)
	v_add_u32_e32 v42, v48, v89
	v_lshlrev_b64 v[42:43], 3, v[42:43]
	v_add_co_u32_e32 v42, vcc, s78, v42
	v_addc_co_u32_e32 v43, vcc, v44, v43, vcc
	global_store_dwordx2 v[42:43], v[37:38], off
	s_or_b64 exec, exec, s[68:69]
	v_cmp_lt_u32_e64 s[68:69], v90, v173
	s_and_saveexec_b64 s[92:93], s[68:69]
	s_cbranch_execnz .LBB1123_190
	s_branch .LBB1123_191
.LBB1123_258:                           ;   in Loop: Header=BB1123_96 Depth=2
	global_load_dwordx2 v[35:36], v[37:38], off
	s_or_b64 exec, exec, s[82:83]
	v_cmp_lt_u32_e32 vcc, v149, v173
	s_and_saveexec_b64 s[82:83], vcc
	s_cbranch_execz .LBB1123_193
.LBB1123_259:                           ;   in Loop: Header=BB1123_96 Depth=2
	global_load_dwordx2 v[33:34], v[37:38], off offset:512
	s_or_b64 exec, exec, s[82:83]
	v_cmp_lt_u32_e32 vcc, v151, v173
	s_and_saveexec_b64 s[82:83], vcc
	s_cbranch_execz .LBB1123_194
.LBB1123_260:                           ;   in Loop: Header=BB1123_96 Depth=2
	global_load_dwordx2 v[31:32], v[37:38], off offset:1024
	s_or_b64 exec, exec, s[82:83]
	v_cmp_lt_u32_e32 vcc, v153, v173
	s_and_saveexec_b64 s[82:83], vcc
	s_cbranch_execz .LBB1123_195
.LBB1123_261:                           ;   in Loop: Header=BB1123_96 Depth=2
	global_load_dwordx2 v[27:28], v[37:38], off offset:1536
	s_or_b64 exec, exec, s[82:83]
	v_cmp_lt_u32_e32 vcc, v155, v173
	s_and_saveexec_b64 s[82:83], vcc
	s_cbranch_execz .LBB1123_196
.LBB1123_262:                           ;   in Loop: Header=BB1123_96 Depth=2
	global_load_dwordx2 v[23:24], v[37:38], off offset:2048
	s_or_b64 exec, exec, s[82:83]
	v_cmp_lt_u32_e32 vcc, v157, v173
	s_and_saveexec_b64 s[82:83], vcc
	s_cbranch_execz .LBB1123_197
.LBB1123_263:                           ;   in Loop: Header=BB1123_96 Depth=2
	global_load_dwordx2 v[19:20], v[37:38], off offset:2560
	s_or_b64 exec, exec, s[82:83]
	v_cmp_lt_u32_e32 vcc, v159, v173
	s_and_saveexec_b64 s[82:83], vcc
	s_cbranch_execz .LBB1123_198
.LBB1123_264:                           ;   in Loop: Header=BB1123_96 Depth=2
	global_load_dwordx2 v[15:16], v[37:38], off offset:3072
	s_or_b64 exec, exec, s[82:83]
	v_cmp_lt_u32_e32 vcc, v161, v173
	s_and_saveexec_b64 s[82:83], vcc
	s_cbranch_execz .LBB1123_199
.LBB1123_265:                           ;   in Loop: Header=BB1123_96 Depth=2
	global_load_dwordx2 v[11:12], v[37:38], off offset:3584
	s_or_b64 exec, exec, s[82:83]
	v_cmp_lt_u32_e32 vcc, v162, v173
	s_and_saveexec_b64 s[82:83], vcc
	s_cbranch_execz .LBB1123_200
.LBB1123_266:                           ;   in Loop: Header=BB1123_96 Depth=2
	v_add_co_u32_e32 v29, vcc, 0x1000, v37
	v_addc_co_u32_e32 v30, vcc, 0, v38, vcc
	global_load_dwordx2 v[29:30], v[29:30], off
	s_or_b64 exec, exec, s[82:83]
	v_cmp_lt_u32_e32 vcc, v163, v173
	s_and_saveexec_b64 s[82:83], vcc
	s_cbranch_execz .LBB1123_201
.LBB1123_267:                           ;   in Loop: Header=BB1123_96 Depth=2
	v_add_co_u32_e32 v25, vcc, 0x1000, v37
	v_addc_co_u32_e32 v26, vcc, 0, v38, vcc
	global_load_dwordx2 v[25:26], v[25:26], off offset:512
	s_or_b64 exec, exec, s[82:83]
	v_cmp_lt_u32_e32 vcc, v164, v173
	s_and_saveexec_b64 s[82:83], vcc
	s_cbranch_execz .LBB1123_202
.LBB1123_268:                           ;   in Loop: Header=BB1123_96 Depth=2
	v_add_co_u32_e32 v21, vcc, 0x1000, v37
	v_addc_co_u32_e32 v22, vcc, 0, v38, vcc
	global_load_dwordx2 v[21:22], v[21:22], off offset:1024
	s_or_b64 exec, exec, s[82:83]
	v_cmp_lt_u32_e32 vcc, v165, v173
	s_and_saveexec_b64 s[82:83], vcc
	s_cbranch_execz .LBB1123_203
.LBB1123_269:                           ;   in Loop: Header=BB1123_96 Depth=2
	v_add_co_u32_e32 v17, vcc, 0x1000, v37
	v_addc_co_u32_e32 v18, vcc, 0, v38, vcc
	global_load_dwordx2 v[17:18], v[17:18], off offset:1536
	s_or_b64 exec, exec, s[82:83]
	v_cmp_lt_u32_e32 vcc, v166, v173
	s_and_saveexec_b64 s[82:83], vcc
	s_cbranch_execz .LBB1123_204
.LBB1123_270:                           ;   in Loop: Header=BB1123_96 Depth=2
	v_add_co_u32_e32 v13, vcc, 0x1000, v37
	v_addc_co_u32_e32 v14, vcc, 0, v38, vcc
	global_load_dwordx2 v[13:14], v[13:14], off offset:2048
	s_or_b64 exec, exec, s[82:83]
	v_cmp_lt_u32_e32 vcc, v167, v173
	s_and_saveexec_b64 s[82:83], vcc
	s_cbranch_execz .LBB1123_205
.LBB1123_271:                           ;   in Loop: Header=BB1123_96 Depth=2
	v_add_co_u32_e32 v9, vcc, 0x1000, v37
	v_addc_co_u32_e32 v10, vcc, 0, v38, vcc
	global_load_dwordx2 v[9:10], v[9:10], off offset:2560
	s_or_b64 exec, exec, s[82:83]
	v_cmp_lt_u32_e32 vcc, v168, v173
	s_and_saveexec_b64 s[82:83], vcc
	s_cbranch_execz .LBB1123_206
.LBB1123_272:                           ;   in Loop: Header=BB1123_96 Depth=2
	v_add_co_u32_e32 v7, vcc, 0x1000, v37
	v_addc_co_u32_e32 v8, vcc, 0, v38, vcc
	global_load_dwordx2 v[7:8], v[7:8], off offset:3072
	s_or_b64 exec, exec, s[82:83]
	v_cmp_lt_u32_e32 vcc, v169, v173
	s_and_saveexec_b64 s[82:83], vcc
	s_cbranch_execz .LBB1123_207
.LBB1123_273:                           ;   in Loop: Header=BB1123_96 Depth=2
	v_add_co_u32_e32 v5, vcc, 0x1000, v37
	v_addc_co_u32_e32 v6, vcc, 0, v38, vcc
	global_load_dwordx2 v[5:6], v[5:6], off offset:3584
	s_or_b64 exec, exec, s[82:83]
	s_and_saveexec_b64 s[82:83], s[38:39]
	s_cbranch_execz .LBB1123_208
.LBB1123_274:                           ;   in Loop: Header=BB1123_96 Depth=2
	ds_read_b64 v[37:38], v104 offset:1024
	s_waitcnt lgkmcnt(0)
	v_cmp_ne_u64_e32 vcc, s[72:73], v[37:38]
	v_cndmask_b32_e32 v38, v133, v38, vcc
	v_cndmask_b32_e32 v37, -1, v37, vcc
	v_lshrrev_b64 v[37:38], s88, v[37:38]
	v_and_b32_e32 v160, s97, v37
	s_or_b64 exec, exec, s[82:83]
	s_and_saveexec_b64 s[82:83], s[40:41]
	s_cbranch_execz .LBB1123_209
.LBB1123_275:                           ;   in Loop: Header=BB1123_96 Depth=2
	ds_read_b64 v[37:38], v104 offset:3072
	s_waitcnt lgkmcnt(0)
	v_cmp_ne_u64_e32 vcc, s[72:73], v[37:38]
	v_cndmask_b32_e32 v38, v133, v38, vcc
	v_cndmask_b32_e32 v37, -1, v37, vcc
	v_lshrrev_b64 v[37:38], s88, v[37:38]
	v_and_b32_e32 v158, s97, v37
	s_or_b64 exec, exec, s[82:83]
	s_and_saveexec_b64 s[82:83], s[42:43]
	s_cbranch_execz .LBB1123_210
.LBB1123_276:                           ;   in Loop: Header=BB1123_96 Depth=2
	ds_read_b64 v[37:38], v104 offset:5120
	s_waitcnt lgkmcnt(0)
	v_cmp_ne_u64_e32 vcc, s[72:73], v[37:38]
	v_cndmask_b32_e32 v38, v133, v38, vcc
	v_cndmask_b32_e32 v37, -1, v37, vcc
	v_lshrrev_b64 v[37:38], s88, v[37:38]
	v_and_b32_e32 v156, s97, v37
	s_or_b64 exec, exec, s[82:83]
	s_and_saveexec_b64 s[82:83], s[44:45]
	s_cbranch_execz .LBB1123_211
.LBB1123_277:                           ;   in Loop: Header=BB1123_96 Depth=2
	ds_read_b64 v[37:38], v104 offset:7168
	s_waitcnt lgkmcnt(0)
	v_cmp_ne_u64_e32 vcc, s[72:73], v[37:38]
	v_cndmask_b32_e32 v38, v133, v38, vcc
	v_cndmask_b32_e32 v37, -1, v37, vcc
	v_lshrrev_b64 v[37:38], s88, v[37:38]
	v_and_b32_e32 v154, s97, v37
	s_or_b64 exec, exec, s[82:83]
	s_and_saveexec_b64 s[82:83], s[46:47]
	s_cbranch_execz .LBB1123_212
.LBB1123_278:                           ;   in Loop: Header=BB1123_96 Depth=2
	ds_read_b64 v[37:38], v104 offset:9216
	s_waitcnt lgkmcnt(0)
	v_cmp_ne_u64_e32 vcc, s[72:73], v[37:38]
	v_cndmask_b32_e32 v38, v133, v38, vcc
	v_cndmask_b32_e32 v37, -1, v37, vcc
	v_lshrrev_b64 v[37:38], s88, v[37:38]
	v_and_b32_e32 v152, s97, v37
	s_or_b64 exec, exec, s[82:83]
	s_and_saveexec_b64 s[82:83], s[48:49]
	s_cbranch_execz .LBB1123_213
.LBB1123_279:                           ;   in Loop: Header=BB1123_96 Depth=2
	ds_read_b64 v[37:38], v104 offset:11264
	s_waitcnt lgkmcnt(0)
	v_cmp_ne_u64_e32 vcc, s[72:73], v[37:38]
	v_cndmask_b32_e32 v38, v133, v38, vcc
	v_cndmask_b32_e32 v37, -1, v37, vcc
	v_lshrrev_b64 v[37:38], s88, v[37:38]
	v_and_b32_e32 v150, s97, v37
	s_or_b64 exec, exec, s[82:83]
	s_and_saveexec_b64 s[82:83], s[50:51]
	s_cbranch_execz .LBB1123_214
.LBB1123_280:                           ;   in Loop: Header=BB1123_96 Depth=2
	ds_read_b64 v[37:38], v104 offset:13312
	s_waitcnt lgkmcnt(0)
	v_cmp_ne_u64_e32 vcc, s[72:73], v[37:38]
	v_cndmask_b32_e32 v38, v133, v38, vcc
	v_cndmask_b32_e32 v37, -1, v37, vcc
	v_lshrrev_b64 v[37:38], s88, v[37:38]
	v_and_b32_e32 v148, s97, v37
	s_or_b64 exec, exec, s[82:83]
	s_and_saveexec_b64 s[82:83], s[52:53]
	s_cbranch_execz .LBB1123_215
.LBB1123_281:                           ;   in Loop: Header=BB1123_96 Depth=2
	ds_read_b64 v[37:38], v104 offset:15360
	s_waitcnt lgkmcnt(0)
	v_cmp_ne_u64_e32 vcc, s[72:73], v[37:38]
	v_cndmask_b32_e32 v38, v133, v38, vcc
	v_cndmask_b32_e32 v37, -1, v37, vcc
	v_lshrrev_b64 v[37:38], s88, v[37:38]
	v_and_b32_e32 v146, s97, v37
	s_or_b64 exec, exec, s[82:83]
	s_and_saveexec_b64 s[82:83], s[54:55]
	s_cbranch_execz .LBB1123_216
.LBB1123_282:                           ;   in Loop: Header=BB1123_96 Depth=2
	ds_read_b64 v[37:38], v104 offset:17408
	s_waitcnt lgkmcnt(0)
	v_cmp_ne_u64_e32 vcc, s[72:73], v[37:38]
	v_cndmask_b32_e32 v38, v133, v38, vcc
	v_cndmask_b32_e32 v37, -1, v37, vcc
	v_lshrrev_b64 v[37:38], s88, v[37:38]
	v_and_b32_e32 v144, s97, v37
	s_or_b64 exec, exec, s[82:83]
	s_and_saveexec_b64 s[82:83], s[56:57]
	s_cbranch_execz .LBB1123_217
.LBB1123_283:                           ;   in Loop: Header=BB1123_96 Depth=2
	ds_read_b64 v[37:38], v104 offset:19456
	s_waitcnt lgkmcnt(0)
	v_cmp_ne_u64_e32 vcc, s[72:73], v[37:38]
	v_cndmask_b32_e32 v38, v133, v38, vcc
	v_cndmask_b32_e32 v37, -1, v37, vcc
	v_lshrrev_b64 v[37:38], s88, v[37:38]
	v_and_b32_e32 v142, s97, v37
	s_or_b64 exec, exec, s[82:83]
	s_and_saveexec_b64 s[82:83], s[58:59]
	s_cbranch_execz .LBB1123_218
.LBB1123_284:                           ;   in Loop: Header=BB1123_96 Depth=2
	ds_read_b64 v[37:38], v104 offset:21504
	s_waitcnt lgkmcnt(0)
	v_cmp_ne_u64_e32 vcc, s[72:73], v[37:38]
	v_cndmask_b32_e32 v38, v133, v38, vcc
	v_cndmask_b32_e32 v37, -1, v37, vcc
	v_lshrrev_b64 v[37:38], s88, v[37:38]
	v_and_b32_e32 v141, s97, v37
	s_or_b64 exec, exec, s[82:83]
	s_and_saveexec_b64 s[82:83], s[60:61]
	s_cbranch_execz .LBB1123_219
.LBB1123_285:                           ;   in Loop: Header=BB1123_96 Depth=2
	ds_read_b64 v[37:38], v104 offset:23552
	s_waitcnt lgkmcnt(0)
	v_cmp_ne_u64_e32 vcc, s[72:73], v[37:38]
	v_cndmask_b32_e32 v38, v133, v38, vcc
	v_cndmask_b32_e32 v37, -1, v37, vcc
	v_lshrrev_b64 v[37:38], s88, v[37:38]
	v_and_b32_e32 v140, s97, v37
	s_or_b64 exec, exec, s[82:83]
	s_and_saveexec_b64 s[82:83], s[62:63]
	s_cbranch_execz .LBB1123_220
.LBB1123_286:                           ;   in Loop: Header=BB1123_96 Depth=2
	ds_read_b64 v[37:38], v104 offset:25600
	s_waitcnt lgkmcnt(0)
	v_cmp_ne_u64_e32 vcc, s[72:73], v[37:38]
	v_cndmask_b32_e32 v38, v133, v38, vcc
	v_cndmask_b32_e32 v37, -1, v37, vcc
	v_lshrrev_b64 v[37:38], s88, v[37:38]
	v_and_b32_e32 v139, s97, v37
	s_or_b64 exec, exec, s[82:83]
	s_and_saveexec_b64 s[82:83], s[64:65]
	s_cbranch_execz .LBB1123_221
.LBB1123_287:                           ;   in Loop: Header=BB1123_96 Depth=2
	ds_read_b64 v[37:38], v104 offset:27648
	s_waitcnt lgkmcnt(0)
	v_cmp_ne_u64_e32 vcc, s[72:73], v[37:38]
	v_cndmask_b32_e32 v38, v133, v38, vcc
	v_cndmask_b32_e32 v37, -1, v37, vcc
	v_lshrrev_b64 v[37:38], s88, v[37:38]
	v_and_b32_e32 v138, s97, v37
	s_or_b64 exec, exec, s[82:83]
	s_and_saveexec_b64 s[82:83], s[66:67]
	s_cbranch_execz .LBB1123_222
.LBB1123_288:                           ;   in Loop: Header=BB1123_96 Depth=2
	ds_read_b64 v[37:38], v104 offset:29696
	s_waitcnt lgkmcnt(0)
	v_cmp_ne_u64_e32 vcc, s[72:73], v[37:38]
	v_cndmask_b32_e32 v38, v133, v38, vcc
	v_cndmask_b32_e32 v37, -1, v37, vcc
	v_lshrrev_b64 v[37:38], s88, v[37:38]
	v_and_b32_e32 v137, s97, v37
	s_or_b64 exec, exec, s[82:83]
	s_and_saveexec_b64 s[82:83], s[68:69]
	s_cbranch_execnz .LBB1123_223
	s_branch .LBB1123_224
.LBB1123_289:                           ;   in Loop: Header=BB1123_96 Depth=2
	v_lshlrev_b32_e32 v37, 2, v160
	ds_read_b32 v39, v37
	ds_read_b64 v[37:38], v104 offset:1024
	v_mov_b32_e32 v40, v3
	v_mov_b32_e32 v41, s85
	s_waitcnt lgkmcnt(1)
	v_add_u32_e32 v39, v39, v0
	v_lshlrev_b64 v[39:40], 3, v[39:40]
	v_add_co_u32_e32 v39, vcc, s84, v39
	v_addc_co_u32_e32 v40, vcc, v41, v40, vcc
	s_waitcnt lgkmcnt(0)
	global_store_dwordx2 v[39:40], v[37:38], off
	s_or_b64 exec, exec, s[82:83]
	s_and_saveexec_b64 s[38:39], s[40:41]
	s_cbranch_execz .LBB1123_226
.LBB1123_290:                           ;   in Loop: Header=BB1123_96 Depth=2
	v_lshlrev_b32_e32 v37, 2, v158
	ds_read_b32 v39, v37
	ds_read_b64 v[37:38], v104 offset:3072
	v_mov_b32_e32 v40, v3
	v_mov_b32_e32 v41, s85
	s_waitcnt lgkmcnt(1)
	v_add_u32_e32 v39, v39, v74
	v_lshlrev_b64 v[39:40], 3, v[39:40]
	v_add_co_u32_e32 v39, vcc, s84, v39
	v_addc_co_u32_e32 v40, vcc, v41, v40, vcc
	s_waitcnt lgkmcnt(0)
	global_store_dwordx2 v[39:40], v[37:38], off
	s_or_b64 exec, exec, s[38:39]
	s_and_saveexec_b64 s[38:39], s[42:43]
	s_cbranch_execz .LBB1123_227
.LBB1123_291:                           ;   in Loop: Header=BB1123_96 Depth=2
	v_lshlrev_b32_e32 v37, 2, v156
	ds_read_b32 v39, v37
	ds_read_b64 v[37:38], v104 offset:5120
	v_mov_b32_e32 v40, v3
	v_mov_b32_e32 v41, s85
	s_waitcnt lgkmcnt(1)
	v_add_u32_e32 v39, v39, v75
	v_lshlrev_b64 v[39:40], 3, v[39:40]
	v_add_co_u32_e32 v39, vcc, s84, v39
	v_addc_co_u32_e32 v40, vcc, v41, v40, vcc
	s_waitcnt lgkmcnt(0)
	global_store_dwordx2 v[39:40], v[37:38], off
	s_or_b64 exec, exec, s[38:39]
	s_and_saveexec_b64 s[38:39], s[44:45]
	s_cbranch_execz .LBB1123_228
.LBB1123_292:                           ;   in Loop: Header=BB1123_96 Depth=2
	v_lshlrev_b32_e32 v37, 2, v154
	ds_read_b32 v39, v37
	ds_read_b64 v[37:38], v104 offset:7168
	v_mov_b32_e32 v40, v3
	v_mov_b32_e32 v41, s85
	s_waitcnt lgkmcnt(1)
	v_add_u32_e32 v39, v39, v76
	v_lshlrev_b64 v[39:40], 3, v[39:40]
	v_add_co_u32_e32 v39, vcc, s84, v39
	v_addc_co_u32_e32 v40, vcc, v41, v40, vcc
	s_waitcnt lgkmcnt(0)
	global_store_dwordx2 v[39:40], v[37:38], off
	s_or_b64 exec, exec, s[38:39]
	s_and_saveexec_b64 s[38:39], s[46:47]
	s_cbranch_execz .LBB1123_229
.LBB1123_293:                           ;   in Loop: Header=BB1123_96 Depth=2
	v_lshlrev_b32_e32 v37, 2, v152
	ds_read_b32 v39, v37
	ds_read_b64 v[37:38], v104 offset:9216
	v_mov_b32_e32 v40, v3
	v_mov_b32_e32 v41, s85
	s_waitcnt lgkmcnt(1)
	v_add_u32_e32 v39, v39, v79
	v_lshlrev_b64 v[39:40], 3, v[39:40]
	v_add_co_u32_e32 v39, vcc, s84, v39
	v_addc_co_u32_e32 v40, vcc, v41, v40, vcc
	s_waitcnt lgkmcnt(0)
	global_store_dwordx2 v[39:40], v[37:38], off
	s_or_b64 exec, exec, s[38:39]
	s_and_saveexec_b64 s[38:39], s[48:49]
	s_cbranch_execz .LBB1123_230
.LBB1123_294:                           ;   in Loop: Header=BB1123_96 Depth=2
	v_lshlrev_b32_e32 v37, 2, v150
	ds_read_b32 v39, v37
	ds_read_b64 v[37:38], v104 offset:11264
	v_mov_b32_e32 v40, v3
	v_mov_b32_e32 v41, s85
	s_waitcnt lgkmcnt(1)
	v_add_u32_e32 v39, v39, v80
	v_lshlrev_b64 v[39:40], 3, v[39:40]
	v_add_co_u32_e32 v39, vcc, s84, v39
	v_addc_co_u32_e32 v40, vcc, v41, v40, vcc
	s_waitcnt lgkmcnt(0)
	global_store_dwordx2 v[39:40], v[37:38], off
	s_or_b64 exec, exec, s[38:39]
	s_and_saveexec_b64 s[38:39], s[50:51]
	s_cbranch_execz .LBB1123_231
.LBB1123_295:                           ;   in Loop: Header=BB1123_96 Depth=2
	v_lshlrev_b32_e32 v37, 2, v148
	ds_read_b32 v39, v37
	ds_read_b64 v[37:38], v104 offset:13312
	v_mov_b32_e32 v40, v3
	v_mov_b32_e32 v41, s85
	s_waitcnt lgkmcnt(1)
	v_add_u32_e32 v39, v39, v81
	v_lshlrev_b64 v[39:40], 3, v[39:40]
	v_add_co_u32_e32 v39, vcc, s84, v39
	v_addc_co_u32_e32 v40, vcc, v41, v40, vcc
	s_waitcnt lgkmcnt(0)
	global_store_dwordx2 v[39:40], v[37:38], off
	s_or_b64 exec, exec, s[38:39]
	s_and_saveexec_b64 s[38:39], s[52:53]
	s_cbranch_execz .LBB1123_232
.LBB1123_296:                           ;   in Loop: Header=BB1123_96 Depth=2
	v_lshlrev_b32_e32 v37, 2, v146
	ds_read_b32 v39, v37
	ds_read_b64 v[37:38], v104 offset:15360
	v_mov_b32_e32 v40, v3
	v_mov_b32_e32 v41, s85
	s_waitcnt lgkmcnt(1)
	v_add_u32_e32 v39, v39, v82
	v_lshlrev_b64 v[39:40], 3, v[39:40]
	v_add_co_u32_e32 v39, vcc, s84, v39
	v_addc_co_u32_e32 v40, vcc, v41, v40, vcc
	s_waitcnt lgkmcnt(0)
	global_store_dwordx2 v[39:40], v[37:38], off
	s_or_b64 exec, exec, s[38:39]
	s_and_saveexec_b64 s[38:39], s[54:55]
	s_cbranch_execz .LBB1123_233
.LBB1123_297:                           ;   in Loop: Header=BB1123_96 Depth=2
	v_lshlrev_b32_e32 v37, 2, v144
	ds_read_b32 v39, v37
	ds_read_b64 v[37:38], v104 offset:17408
	v_mov_b32_e32 v40, v3
	v_mov_b32_e32 v41, s85
	s_waitcnt lgkmcnt(1)
	v_add_u32_e32 v39, v39, v83
	v_lshlrev_b64 v[39:40], 3, v[39:40]
	v_add_co_u32_e32 v39, vcc, s84, v39
	v_addc_co_u32_e32 v40, vcc, v41, v40, vcc
	s_waitcnt lgkmcnt(0)
	global_store_dwordx2 v[39:40], v[37:38], off
	s_or_b64 exec, exec, s[38:39]
	s_and_saveexec_b64 s[38:39], s[56:57]
	s_cbranch_execz .LBB1123_234
.LBB1123_298:                           ;   in Loop: Header=BB1123_96 Depth=2
	v_lshlrev_b32_e32 v37, 2, v142
	ds_read_b32 v39, v37
	ds_read_b64 v[37:38], v104 offset:19456
	v_mov_b32_e32 v40, v3
	v_mov_b32_e32 v41, s85
	s_waitcnt lgkmcnt(1)
	v_add_u32_e32 v39, v39, v84
	v_lshlrev_b64 v[39:40], 3, v[39:40]
	v_add_co_u32_e32 v39, vcc, s84, v39
	v_addc_co_u32_e32 v40, vcc, v41, v40, vcc
	s_waitcnt lgkmcnt(0)
	global_store_dwordx2 v[39:40], v[37:38], off
	s_or_b64 exec, exec, s[38:39]
	s_and_saveexec_b64 s[38:39], s[58:59]
	s_cbranch_execz .LBB1123_235
.LBB1123_299:                           ;   in Loop: Header=BB1123_96 Depth=2
	v_lshlrev_b32_e32 v37, 2, v141
	ds_read_b32 v39, v37
	ds_read_b64 v[37:38], v104 offset:21504
	v_mov_b32_e32 v40, v3
	v_mov_b32_e32 v41, s85
	s_waitcnt lgkmcnt(1)
	v_add_u32_e32 v39, v39, v85
	v_lshlrev_b64 v[39:40], 3, v[39:40]
	v_add_co_u32_e32 v39, vcc, s84, v39
	v_addc_co_u32_e32 v40, vcc, v41, v40, vcc
	s_waitcnt lgkmcnt(0)
	global_store_dwordx2 v[39:40], v[37:38], off
	s_or_b64 exec, exec, s[38:39]
	s_and_saveexec_b64 s[38:39], s[60:61]
	s_cbranch_execz .LBB1123_236
.LBB1123_300:                           ;   in Loop: Header=BB1123_96 Depth=2
	v_lshlrev_b32_e32 v37, 2, v140
	ds_read_b32 v39, v37
	ds_read_b64 v[37:38], v104 offset:23552
	v_mov_b32_e32 v40, v3
	v_mov_b32_e32 v41, s85
	s_waitcnt lgkmcnt(1)
	v_add_u32_e32 v39, v39, v86
	v_lshlrev_b64 v[39:40], 3, v[39:40]
	v_add_co_u32_e32 v39, vcc, s84, v39
	v_addc_co_u32_e32 v40, vcc, v41, v40, vcc
	s_waitcnt lgkmcnt(0)
	global_store_dwordx2 v[39:40], v[37:38], off
	s_or_b64 exec, exec, s[38:39]
	s_and_saveexec_b64 s[38:39], s[62:63]
	s_cbranch_execz .LBB1123_237
.LBB1123_301:                           ;   in Loop: Header=BB1123_96 Depth=2
	v_lshlrev_b32_e32 v37, 2, v139
	ds_read_b32 v39, v37
	ds_read_b64 v[37:38], v104 offset:25600
	v_mov_b32_e32 v40, v3
	v_mov_b32_e32 v41, s85
	s_waitcnt lgkmcnt(1)
	v_add_u32_e32 v39, v39, v87
	v_lshlrev_b64 v[39:40], 3, v[39:40]
	v_add_co_u32_e32 v39, vcc, s84, v39
	v_addc_co_u32_e32 v40, vcc, v41, v40, vcc
	s_waitcnt lgkmcnt(0)
	global_store_dwordx2 v[39:40], v[37:38], off
	s_or_b64 exec, exec, s[38:39]
	s_and_saveexec_b64 s[38:39], s[64:65]
	s_cbranch_execz .LBB1123_238
.LBB1123_302:                           ;   in Loop: Header=BB1123_96 Depth=2
	v_lshlrev_b32_e32 v37, 2, v138
	ds_read_b32 v39, v37
	ds_read_b64 v[37:38], v104 offset:27648
	v_mov_b32_e32 v40, v3
	v_mov_b32_e32 v41, s85
	s_waitcnt lgkmcnt(1)
	v_add_u32_e32 v39, v39, v88
	v_lshlrev_b64 v[39:40], 3, v[39:40]
	v_add_co_u32_e32 v39, vcc, s84, v39
	v_addc_co_u32_e32 v40, vcc, v41, v40, vcc
	s_waitcnt lgkmcnt(0)
	global_store_dwordx2 v[39:40], v[37:38], off
	s_or_b64 exec, exec, s[38:39]
	s_and_saveexec_b64 s[38:39], s[66:67]
	s_cbranch_execz .LBB1123_239
.LBB1123_303:                           ;   in Loop: Header=BB1123_96 Depth=2
	v_lshlrev_b32_e32 v37, 2, v137
	ds_read_b32 v39, v37
	ds_read_b64 v[37:38], v104 offset:29696
	v_mov_b32_e32 v40, v3
	v_mov_b32_e32 v41, s85
	s_waitcnt lgkmcnt(1)
	v_add_u32_e32 v39, v39, v89
	v_lshlrev_b64 v[39:40], 3, v[39:40]
	v_add_co_u32_e32 v39, vcc, s84, v39
	v_addc_co_u32_e32 v40, vcc, v41, v40, vcc
	s_waitcnt lgkmcnt(0)
	global_store_dwordx2 v[39:40], v[37:38], off
	s_or_b64 exec, exec, s[38:39]
	s_and_saveexec_b64 s[38:39], s[68:69]
	s_cbranch_execnz .LBB1123_240
	s_branch .LBB1123_241
.LBB1123_304:                           ;   in Loop: Header=BB1123_12 Depth=1
	s_waitcnt lgkmcnt(0)
	s_barrier
	s_mov_b64 s[18:19], 0
.LBB1123_305:                           ;   in Loop: Header=BB1123_12 Depth=1
	s_and_b64 vcc, exec, s[18:19]
	s_cbranch_vccz .LBB1123_597
; %bb.306:                              ;   in Loop: Header=BB1123_12 Depth=1
	s_mov_b32 s22, s91
	s_mov_b32 s18, s94
	s_barrier
                                        ; implicit-def: $vgpr4_vgpr5
                                        ; implicit-def: $vgpr6_vgpr7
                                        ; implicit-def: $vgpr8_vgpr9
                                        ; implicit-def: $vgpr10_vgpr11
                                        ; implicit-def: $vgpr12_vgpr13
                                        ; implicit-def: $vgpr14_vgpr15
                                        ; implicit-def: $vgpr16_vgpr17
                                        ; implicit-def: $vgpr18_vgpr19
                                        ; implicit-def: $vgpr20_vgpr21
                                        ; implicit-def: $vgpr22_vgpr23
                                        ; implicit-def: $vgpr24_vgpr25
                                        ; implicit-def: $vgpr26_vgpr27
                                        ; implicit-def: $vgpr28_vgpr29
                                        ; implicit-def: $vgpr30_vgpr31
                                        ; implicit-def: $vgpr32_vgpr33
                                        ; implicit-def: $vgpr34_vgpr35
	s_branch .LBB1123_308
.LBB1123_307:                           ;   in Loop: Header=BB1123_308 Depth=2
	s_or_b64 exec, exec, s[18:19]
	s_addk_i32 s22, 0xf000
	s_cmp_ge_u32 s23, s95
	s_mov_b32 s18, s23
	s_cbranch_scc1 .LBB1123_376
.LBB1123_308:                           ;   Parent Loop BB1123_12 Depth=1
                                        ; =>  This Inner Loop Header: Depth=2
	s_add_i32 s23, s18, 0x1000
	s_cmp_gt_u32 s23, s95
	s_mov_b64 s[20:21], -1
                                        ; implicit-def: $vgpr36_vgpr37
                                        ; implicit-def: $vgpr38_vgpr39
                                        ; implicit-def: $vgpr40_vgpr41
                                        ; implicit-def: $vgpr42_vgpr43
                                        ; implicit-def: $vgpr44_vgpr45
                                        ; implicit-def: $vgpr46_vgpr47
                                        ; implicit-def: $vgpr48_vgpr49
                                        ; implicit-def: $vgpr50_vgpr51
                                        ; implicit-def: $vgpr52_vgpr53
                                        ; implicit-def: $vgpr54_vgpr55
                                        ; implicit-def: $vgpr56_vgpr57
                                        ; implicit-def: $vgpr58_vgpr59
                                        ; implicit-def: $vgpr60_vgpr61
                                        ; implicit-def: $vgpr62_vgpr63
                                        ; implicit-def: $vgpr64_vgpr65
                                        ; implicit-def: $vgpr66_vgpr67
	s_cbranch_scc1 .LBB1123_310
; %bb.309:                              ;   in Loop: Header=BB1123_308 Depth=2
	s_mov_b32 s19, s72
	s_lshl_b64 s[20:21], s[18:19], 3
	v_mov_b32_e32 v36, s21
	v_add_co_u32_e32 v60, vcc, s20, v105
	v_addc_co_u32_e32 v61, vcc, v106, v36, vcc
	v_add_co_u32_e32 v44, vcc, 0x1000, v60
	v_addc_co_u32_e32 v45, vcc, 0, v61, vcc
	;; [unrolled: 2-line block ×6, first 2 shown]
	global_load_dwordx2 v[36:37], v[60:61], off
	global_load_dwordx2 v[38:39], v[60:61], off offset:2048
	global_load_dwordx2 v[40:41], v[44:45], off
	global_load_dwordx2 v[42:43], v[44:45], off offset:2048
	s_nop 0
	global_load_dwordx2 v[44:45], v[52:53], off
	global_load_dwordx2 v[46:47], v[52:53], off offset:2048
	global_load_dwordx2 v[48:49], v[54:55], off
	global_load_dwordx2 v[50:51], v[54:55], off offset:2048
	s_nop 0
	global_load_dwordx2 v[52:53], v[62:63], off
	global_load_dwordx2 v[54:55], v[62:63], off offset:2048
	global_load_dwordx2 v[56:57], v[64:65], off
	global_load_dwordx2 v[58:59], v[64:65], off offset:2048
	v_add_co_u32_e32 v62, vcc, 0x6000, v60
	v_addc_co_u32_e32 v63, vcc, 0, v61, vcc
	v_add_co_u32_e32 v66, vcc, 0x7000, v60
	v_addc_co_u32_e32 v67, vcc, 0, v61, vcc
	global_load_dwordx2 v[60:61], v[62:63], off
	s_nop 0
	global_load_dwordx2 v[62:63], v[62:63], off offset:2048
	s_nop 0
	global_load_dwordx2 v[64:65], v[66:67], off
	s_nop 0
	global_load_dwordx2 v[66:67], v[66:67], off offset:2048
	s_mov_b64 s[20:21], 0
.LBB1123_310:                           ;   in Loop: Header=BB1123_308 Depth=2
	s_andn2_b64 vcc, exec, s[20:21]
	s_movk_i32 s20, 0x1000
	s_cbranch_vccnz .LBB1123_329
; %bb.311:                              ;   in Loop: Header=BB1123_308 Depth=2
	s_mov_b32 s19, s72
	s_lshl_b64 s[18:19], s[18:19], 3
	s_add_u32 s18, s78, s18
	s_addc_u32 s19, s79, s19
	v_cmp_gt_u32_e32 vcc, s22, v0
	s_and_saveexec_b64 s[20:21], vcc
	s_cbranch_execnz .LBB1123_361
; %bb.312:                              ;   in Loop: Header=BB1123_308 Depth=2
	s_or_b64 exec, exec, s[20:21]
	v_cmp_gt_u32_e32 vcc, s22, v74
	s_and_saveexec_b64 s[20:21], vcc
	s_cbranch_execnz .LBB1123_362
.LBB1123_313:                           ;   in Loop: Header=BB1123_308 Depth=2
	s_or_b64 exec, exec, s[20:21]
	v_cmp_gt_u32_e32 vcc, s22, v75
	s_and_saveexec_b64 s[20:21], vcc
	s_cbranch_execnz .LBB1123_363
.LBB1123_314:                           ;   in Loop: Header=BB1123_308 Depth=2
	s_or_b64 exec, exec, s[20:21]
	v_cmp_gt_u32_e32 vcc, s22, v76
	s_and_saveexec_b64 s[20:21], vcc
	s_cbranch_execnz .LBB1123_364
.LBB1123_315:                           ;   in Loop: Header=BB1123_308 Depth=2
	s_or_b64 exec, exec, s[20:21]
	v_cmp_gt_u32_e32 vcc, s22, v79
	s_and_saveexec_b64 s[20:21], vcc
	s_cbranch_execnz .LBB1123_365
.LBB1123_316:                           ;   in Loop: Header=BB1123_308 Depth=2
	s_or_b64 exec, exec, s[20:21]
	v_cmp_gt_u32_e32 vcc, s22, v80
	s_and_saveexec_b64 s[20:21], vcc
	s_cbranch_execnz .LBB1123_366
.LBB1123_317:                           ;   in Loop: Header=BB1123_308 Depth=2
	s_or_b64 exec, exec, s[20:21]
	v_cmp_gt_u32_e32 vcc, s22, v81
	s_and_saveexec_b64 s[20:21], vcc
	s_cbranch_execnz .LBB1123_367
.LBB1123_318:                           ;   in Loop: Header=BB1123_308 Depth=2
	s_or_b64 exec, exec, s[20:21]
	v_cmp_gt_u32_e32 vcc, s22, v82
	s_and_saveexec_b64 s[20:21], vcc
	s_cbranch_execnz .LBB1123_368
.LBB1123_319:                           ;   in Loop: Header=BB1123_308 Depth=2
	s_or_b64 exec, exec, s[20:21]
	v_cmp_gt_u32_e32 vcc, s22, v83
	s_and_saveexec_b64 s[20:21], vcc
	s_cbranch_execnz .LBB1123_369
.LBB1123_320:                           ;   in Loop: Header=BB1123_308 Depth=2
	s_or_b64 exec, exec, s[20:21]
	v_cmp_gt_u32_e32 vcc, s22, v84
	s_and_saveexec_b64 s[20:21], vcc
	s_cbranch_execnz .LBB1123_370
.LBB1123_321:                           ;   in Loop: Header=BB1123_308 Depth=2
	s_or_b64 exec, exec, s[20:21]
	v_cmp_gt_u32_e32 vcc, s22, v85
	s_and_saveexec_b64 s[20:21], vcc
	s_cbranch_execnz .LBB1123_371
.LBB1123_322:                           ;   in Loop: Header=BB1123_308 Depth=2
	s_or_b64 exec, exec, s[20:21]
	v_cmp_gt_u32_e32 vcc, s22, v86
	s_and_saveexec_b64 s[20:21], vcc
	s_cbranch_execnz .LBB1123_372
.LBB1123_323:                           ;   in Loop: Header=BB1123_308 Depth=2
	s_or_b64 exec, exec, s[20:21]
	v_cmp_gt_u32_e32 vcc, s22, v87
	s_and_saveexec_b64 s[20:21], vcc
	s_cbranch_execnz .LBB1123_373
.LBB1123_324:                           ;   in Loop: Header=BB1123_308 Depth=2
	s_or_b64 exec, exec, s[20:21]
	v_cmp_gt_u32_e32 vcc, s22, v88
	s_and_saveexec_b64 s[20:21], vcc
	s_cbranch_execnz .LBB1123_374
.LBB1123_325:                           ;   in Loop: Header=BB1123_308 Depth=2
	s_or_b64 exec, exec, s[20:21]
	v_cmp_gt_u32_e32 vcc, s22, v89
	s_and_saveexec_b64 s[20:21], vcc
	s_cbranch_execnz .LBB1123_375
.LBB1123_326:                           ;   in Loop: Header=BB1123_308 Depth=2
	s_or_b64 exec, exec, s[20:21]
	v_cmp_gt_u32_e32 vcc, s22, v90
	s_and_saveexec_b64 s[20:21], vcc
	s_cbranch_execz .LBB1123_328
.LBB1123_327:                           ;   in Loop: Header=BB1123_308 Depth=2
	global_load_dwordx2 v[4:5], v132, s[18:19]
.LBB1123_328:                           ;   in Loop: Header=BB1123_308 Depth=2
	s_or_b64 exec, exec, s[20:21]
	s_waitcnt vmcnt(0)
	v_mov_b32_e32 v37, v35
	v_mov_b32_e32 v39, v33
	;; [unrolled: 1-line block ×16, first 2 shown]
	s_mov_b32 s20, s22
	v_mov_b32_e32 v36, v34
	v_mov_b32_e32 v38, v32
	;; [unrolled: 1-line block ×16, first 2 shown]
.LBB1123_329:                           ;   in Loop: Header=BB1123_308 Depth=2
	s_waitcnt vmcnt(0)
	v_mov_b32_e32 v4, v66
	v_mov_b32_e32 v6, v64
	;; [unrolled: 1-line block ×32, first 2 shown]
	v_cmp_gt_u32_e32 vcc, s20, v0
	s_and_saveexec_b64 s[18:19], vcc
	s_cbranch_execnz .LBB1123_345
; %bb.330:                              ;   in Loop: Header=BB1123_308 Depth=2
	s_or_b64 exec, exec, s[18:19]
	v_cmp_gt_u32_e32 vcc, s20, v74
	s_and_saveexec_b64 s[18:19], vcc
	s_cbranch_execnz .LBB1123_346
.LBB1123_331:                           ;   in Loop: Header=BB1123_308 Depth=2
	s_or_b64 exec, exec, s[18:19]
	v_cmp_gt_u32_e32 vcc, s20, v75
	s_and_saveexec_b64 s[18:19], vcc
	s_cbranch_execnz .LBB1123_347
.LBB1123_332:                           ;   in Loop: Header=BB1123_308 Depth=2
	s_or_b64 exec, exec, s[18:19]
	v_cmp_gt_u32_e32 vcc, s20, v76
	s_and_saveexec_b64 s[18:19], vcc
	s_cbranch_execnz .LBB1123_348
.LBB1123_333:                           ;   in Loop: Header=BB1123_308 Depth=2
	s_or_b64 exec, exec, s[18:19]
	v_cmp_gt_u32_e32 vcc, s20, v79
	s_and_saveexec_b64 s[18:19], vcc
	s_cbranch_execnz .LBB1123_349
.LBB1123_334:                           ;   in Loop: Header=BB1123_308 Depth=2
	s_or_b64 exec, exec, s[18:19]
	v_cmp_gt_u32_e32 vcc, s20, v80
	s_and_saveexec_b64 s[18:19], vcc
	s_cbranch_execnz .LBB1123_350
.LBB1123_335:                           ;   in Loop: Header=BB1123_308 Depth=2
	s_or_b64 exec, exec, s[18:19]
	v_cmp_gt_u32_e32 vcc, s20, v81
	s_and_saveexec_b64 s[18:19], vcc
	s_cbranch_execnz .LBB1123_351
.LBB1123_336:                           ;   in Loop: Header=BB1123_308 Depth=2
	s_or_b64 exec, exec, s[18:19]
	v_cmp_gt_u32_e32 vcc, s20, v82
	s_and_saveexec_b64 s[18:19], vcc
	s_cbranch_execnz .LBB1123_352
.LBB1123_337:                           ;   in Loop: Header=BB1123_308 Depth=2
	s_or_b64 exec, exec, s[18:19]
	v_cmp_gt_u32_e32 vcc, s20, v83
	s_and_saveexec_b64 s[18:19], vcc
	s_cbranch_execnz .LBB1123_353
.LBB1123_338:                           ;   in Loop: Header=BB1123_308 Depth=2
	s_or_b64 exec, exec, s[18:19]
	v_cmp_gt_u32_e32 vcc, s20, v84
	s_and_saveexec_b64 s[18:19], vcc
	s_cbranch_execnz .LBB1123_354
.LBB1123_339:                           ;   in Loop: Header=BB1123_308 Depth=2
	s_or_b64 exec, exec, s[18:19]
	v_cmp_gt_u32_e32 vcc, s20, v85
	s_and_saveexec_b64 s[18:19], vcc
	s_cbranch_execnz .LBB1123_355
.LBB1123_340:                           ;   in Loop: Header=BB1123_308 Depth=2
	s_or_b64 exec, exec, s[18:19]
	v_cmp_gt_u32_e32 vcc, s20, v86
	s_and_saveexec_b64 s[18:19], vcc
	s_cbranch_execnz .LBB1123_356
.LBB1123_341:                           ;   in Loop: Header=BB1123_308 Depth=2
	s_or_b64 exec, exec, s[18:19]
	v_cmp_gt_u32_e32 vcc, s20, v87
	s_and_saveexec_b64 s[18:19], vcc
	s_cbranch_execnz .LBB1123_357
.LBB1123_342:                           ;   in Loop: Header=BB1123_308 Depth=2
	s_or_b64 exec, exec, s[18:19]
	v_cmp_gt_u32_e32 vcc, s20, v88
	s_and_saveexec_b64 s[18:19], vcc
	s_cbranch_execnz .LBB1123_358
.LBB1123_343:                           ;   in Loop: Header=BB1123_308 Depth=2
	s_or_b64 exec, exec, s[18:19]
	v_cmp_gt_u32_e32 vcc, s20, v89
	s_and_saveexec_b64 s[18:19], vcc
	s_cbranch_execnz .LBB1123_359
.LBB1123_344:                           ;   in Loop: Header=BB1123_308 Depth=2
	s_or_b64 exec, exec, s[18:19]
	v_cmp_gt_u32_e32 vcc, s20, v90
	s_and_saveexec_b64 s[18:19], vcc
	s_cbranch_execz .LBB1123_307
	s_branch .LBB1123_360
.LBB1123_345:                           ;   in Loop: Header=BB1123_308 Depth=2
	v_cmp_gt_i64_e32 vcc, 0, v[34:35]
	v_ashrrev_i32_e32 v37, 31, v35
	v_cndmask_b32_e64 v36, v133, 0, vcc
	v_not_b32_e32 v38, v37
	v_xor_b32_e32 v37, v36, v35
	v_xor_b32_e32 v36, v38, v34
	v_cmp_ne_u64_e32 vcc, s[72:73], v[36:37]
	v_cndmask_b32_e32 v37, v133, v37, vcc
	v_cndmask_b32_e32 v36, -1, v36, vcc
	v_lshrrev_b64 v[36:37], s88, v[36:37]
	v_and_b32_e32 v36, s97, v36
	v_lshl_or_b32 v36, v36, 4, v91
	ds_add_u32 v36, v117
	s_or_b64 exec, exec, s[18:19]
	v_cmp_gt_u32_e32 vcc, s20, v74
	s_and_saveexec_b64 s[18:19], vcc
	s_cbranch_execz .LBB1123_331
.LBB1123_346:                           ;   in Loop: Header=BB1123_308 Depth=2
	v_cmp_gt_i64_e32 vcc, 0, v[32:33]
	v_ashrrev_i32_e32 v37, 31, v33
	v_cndmask_b32_e64 v36, v133, 0, vcc
	v_not_b32_e32 v38, v37
	v_xor_b32_e32 v37, v36, v33
	v_xor_b32_e32 v36, v38, v32
	v_cmp_ne_u64_e32 vcc, s[72:73], v[36:37]
	v_cndmask_b32_e32 v37, v133, v37, vcc
	v_cndmask_b32_e32 v36, -1, v36, vcc
	v_lshrrev_b64 v[36:37], s88, v[36:37]
	v_and_b32_e32 v36, s97, v36
	v_lshl_or_b32 v36, v36, 4, v91
	ds_add_u32 v36, v117
	s_or_b64 exec, exec, s[18:19]
	v_cmp_gt_u32_e32 vcc, s20, v75
	s_and_saveexec_b64 s[18:19], vcc
	s_cbranch_execz .LBB1123_332
.LBB1123_347:                           ;   in Loop: Header=BB1123_308 Depth=2
	v_cmp_gt_i64_e32 vcc, 0, v[30:31]
	v_ashrrev_i32_e32 v37, 31, v31
	v_cndmask_b32_e64 v36, v133, 0, vcc
	v_not_b32_e32 v38, v37
	v_xor_b32_e32 v37, v36, v31
	v_xor_b32_e32 v36, v38, v30
	v_cmp_ne_u64_e32 vcc, s[72:73], v[36:37]
	v_cndmask_b32_e32 v37, v133, v37, vcc
	v_cndmask_b32_e32 v36, -1, v36, vcc
	v_lshrrev_b64 v[36:37], s88, v[36:37]
	v_and_b32_e32 v36, s97, v36
	v_lshl_or_b32 v36, v36, 4, v91
	ds_add_u32 v36, v117
	s_or_b64 exec, exec, s[18:19]
	v_cmp_gt_u32_e32 vcc, s20, v76
	s_and_saveexec_b64 s[18:19], vcc
	s_cbranch_execz .LBB1123_333
.LBB1123_348:                           ;   in Loop: Header=BB1123_308 Depth=2
	v_cmp_gt_i64_e32 vcc, 0, v[28:29]
	v_ashrrev_i32_e32 v37, 31, v29
	v_cndmask_b32_e64 v36, v133, 0, vcc
	v_not_b32_e32 v38, v37
	v_xor_b32_e32 v37, v36, v29
	v_xor_b32_e32 v36, v38, v28
	v_cmp_ne_u64_e32 vcc, s[72:73], v[36:37]
	v_cndmask_b32_e32 v37, v133, v37, vcc
	v_cndmask_b32_e32 v36, -1, v36, vcc
	v_lshrrev_b64 v[36:37], s88, v[36:37]
	v_and_b32_e32 v36, s97, v36
	v_lshl_or_b32 v36, v36, 4, v91
	ds_add_u32 v36, v117
	s_or_b64 exec, exec, s[18:19]
	v_cmp_gt_u32_e32 vcc, s20, v79
	s_and_saveexec_b64 s[18:19], vcc
	s_cbranch_execz .LBB1123_334
.LBB1123_349:                           ;   in Loop: Header=BB1123_308 Depth=2
	v_cmp_gt_i64_e32 vcc, 0, v[26:27]
	v_ashrrev_i32_e32 v37, 31, v27
	v_cndmask_b32_e64 v36, v133, 0, vcc
	v_not_b32_e32 v38, v37
	v_xor_b32_e32 v37, v36, v27
	v_xor_b32_e32 v36, v38, v26
	v_cmp_ne_u64_e32 vcc, s[72:73], v[36:37]
	v_cndmask_b32_e32 v37, v133, v37, vcc
	v_cndmask_b32_e32 v36, -1, v36, vcc
	v_lshrrev_b64 v[36:37], s88, v[36:37]
	v_and_b32_e32 v36, s97, v36
	v_lshl_or_b32 v36, v36, 4, v91
	ds_add_u32 v36, v117
	s_or_b64 exec, exec, s[18:19]
	v_cmp_gt_u32_e32 vcc, s20, v80
	s_and_saveexec_b64 s[18:19], vcc
	s_cbranch_execz .LBB1123_335
.LBB1123_350:                           ;   in Loop: Header=BB1123_308 Depth=2
	v_cmp_gt_i64_e32 vcc, 0, v[24:25]
	v_ashrrev_i32_e32 v37, 31, v25
	v_cndmask_b32_e64 v36, v133, 0, vcc
	v_not_b32_e32 v38, v37
	v_xor_b32_e32 v37, v36, v25
	v_xor_b32_e32 v36, v38, v24
	v_cmp_ne_u64_e32 vcc, s[72:73], v[36:37]
	v_cndmask_b32_e32 v37, v133, v37, vcc
	v_cndmask_b32_e32 v36, -1, v36, vcc
	v_lshrrev_b64 v[36:37], s88, v[36:37]
	v_and_b32_e32 v36, s97, v36
	v_lshl_or_b32 v36, v36, 4, v91
	ds_add_u32 v36, v117
	s_or_b64 exec, exec, s[18:19]
	v_cmp_gt_u32_e32 vcc, s20, v81
	s_and_saveexec_b64 s[18:19], vcc
	s_cbranch_execz .LBB1123_336
.LBB1123_351:                           ;   in Loop: Header=BB1123_308 Depth=2
	v_cmp_gt_i64_e32 vcc, 0, v[22:23]
	v_ashrrev_i32_e32 v37, 31, v23
	v_cndmask_b32_e64 v36, v133, 0, vcc
	v_not_b32_e32 v38, v37
	v_xor_b32_e32 v37, v36, v23
	v_xor_b32_e32 v36, v38, v22
	v_cmp_ne_u64_e32 vcc, s[72:73], v[36:37]
	v_cndmask_b32_e32 v37, v133, v37, vcc
	v_cndmask_b32_e32 v36, -1, v36, vcc
	v_lshrrev_b64 v[36:37], s88, v[36:37]
	v_and_b32_e32 v36, s97, v36
	v_lshl_or_b32 v36, v36, 4, v91
	ds_add_u32 v36, v117
	s_or_b64 exec, exec, s[18:19]
	v_cmp_gt_u32_e32 vcc, s20, v82
	s_and_saveexec_b64 s[18:19], vcc
	s_cbranch_execz .LBB1123_337
.LBB1123_352:                           ;   in Loop: Header=BB1123_308 Depth=2
	v_cmp_gt_i64_e32 vcc, 0, v[20:21]
	v_ashrrev_i32_e32 v37, 31, v21
	v_cndmask_b32_e64 v36, v133, 0, vcc
	v_not_b32_e32 v38, v37
	v_xor_b32_e32 v37, v36, v21
	v_xor_b32_e32 v36, v38, v20
	v_cmp_ne_u64_e32 vcc, s[72:73], v[36:37]
	v_cndmask_b32_e32 v37, v133, v37, vcc
	v_cndmask_b32_e32 v36, -1, v36, vcc
	v_lshrrev_b64 v[36:37], s88, v[36:37]
	v_and_b32_e32 v36, s97, v36
	v_lshl_or_b32 v36, v36, 4, v91
	ds_add_u32 v36, v117
	s_or_b64 exec, exec, s[18:19]
	v_cmp_gt_u32_e32 vcc, s20, v83
	s_and_saveexec_b64 s[18:19], vcc
	s_cbranch_execz .LBB1123_338
.LBB1123_353:                           ;   in Loop: Header=BB1123_308 Depth=2
	v_cmp_gt_i64_e32 vcc, 0, v[18:19]
	v_ashrrev_i32_e32 v37, 31, v19
	v_cndmask_b32_e64 v36, v133, 0, vcc
	v_not_b32_e32 v38, v37
	v_xor_b32_e32 v37, v36, v19
	v_xor_b32_e32 v36, v38, v18
	v_cmp_ne_u64_e32 vcc, s[72:73], v[36:37]
	v_cndmask_b32_e32 v37, v133, v37, vcc
	v_cndmask_b32_e32 v36, -1, v36, vcc
	v_lshrrev_b64 v[36:37], s88, v[36:37]
	v_and_b32_e32 v36, s97, v36
	v_lshl_or_b32 v36, v36, 4, v91
	ds_add_u32 v36, v117
	s_or_b64 exec, exec, s[18:19]
	v_cmp_gt_u32_e32 vcc, s20, v84
	s_and_saveexec_b64 s[18:19], vcc
	s_cbranch_execz .LBB1123_339
.LBB1123_354:                           ;   in Loop: Header=BB1123_308 Depth=2
	v_cmp_gt_i64_e32 vcc, 0, v[16:17]
	v_ashrrev_i32_e32 v37, 31, v17
	v_cndmask_b32_e64 v36, v133, 0, vcc
	v_not_b32_e32 v38, v37
	v_xor_b32_e32 v37, v36, v17
	v_xor_b32_e32 v36, v38, v16
	v_cmp_ne_u64_e32 vcc, s[72:73], v[36:37]
	v_cndmask_b32_e32 v37, v133, v37, vcc
	v_cndmask_b32_e32 v36, -1, v36, vcc
	v_lshrrev_b64 v[36:37], s88, v[36:37]
	v_and_b32_e32 v36, s97, v36
	v_lshl_or_b32 v36, v36, 4, v91
	ds_add_u32 v36, v117
	s_or_b64 exec, exec, s[18:19]
	v_cmp_gt_u32_e32 vcc, s20, v85
	s_and_saveexec_b64 s[18:19], vcc
	s_cbranch_execz .LBB1123_340
.LBB1123_355:                           ;   in Loop: Header=BB1123_308 Depth=2
	v_cmp_gt_i64_e32 vcc, 0, v[14:15]
	v_ashrrev_i32_e32 v37, 31, v15
	v_cndmask_b32_e64 v36, v133, 0, vcc
	v_not_b32_e32 v38, v37
	v_xor_b32_e32 v37, v36, v15
	v_xor_b32_e32 v36, v38, v14
	v_cmp_ne_u64_e32 vcc, s[72:73], v[36:37]
	v_cndmask_b32_e32 v37, v133, v37, vcc
	v_cndmask_b32_e32 v36, -1, v36, vcc
	v_lshrrev_b64 v[36:37], s88, v[36:37]
	v_and_b32_e32 v36, s97, v36
	v_lshl_or_b32 v36, v36, 4, v91
	ds_add_u32 v36, v117
	s_or_b64 exec, exec, s[18:19]
	v_cmp_gt_u32_e32 vcc, s20, v86
	s_and_saveexec_b64 s[18:19], vcc
	s_cbranch_execz .LBB1123_341
.LBB1123_356:                           ;   in Loop: Header=BB1123_308 Depth=2
	v_cmp_gt_i64_e32 vcc, 0, v[12:13]
	v_ashrrev_i32_e32 v37, 31, v13
	v_cndmask_b32_e64 v36, v133, 0, vcc
	v_not_b32_e32 v38, v37
	v_xor_b32_e32 v37, v36, v13
	v_xor_b32_e32 v36, v38, v12
	v_cmp_ne_u64_e32 vcc, s[72:73], v[36:37]
	v_cndmask_b32_e32 v37, v133, v37, vcc
	v_cndmask_b32_e32 v36, -1, v36, vcc
	v_lshrrev_b64 v[36:37], s88, v[36:37]
	v_and_b32_e32 v36, s97, v36
	v_lshl_or_b32 v36, v36, 4, v91
	ds_add_u32 v36, v117
	s_or_b64 exec, exec, s[18:19]
	v_cmp_gt_u32_e32 vcc, s20, v87
	s_and_saveexec_b64 s[18:19], vcc
	s_cbranch_execz .LBB1123_342
.LBB1123_357:                           ;   in Loop: Header=BB1123_308 Depth=2
	v_cmp_gt_i64_e32 vcc, 0, v[10:11]
	v_ashrrev_i32_e32 v37, 31, v11
	v_cndmask_b32_e64 v36, v133, 0, vcc
	v_not_b32_e32 v38, v37
	v_xor_b32_e32 v37, v36, v11
	v_xor_b32_e32 v36, v38, v10
	v_cmp_ne_u64_e32 vcc, s[72:73], v[36:37]
	v_cndmask_b32_e32 v37, v133, v37, vcc
	v_cndmask_b32_e32 v36, -1, v36, vcc
	v_lshrrev_b64 v[36:37], s88, v[36:37]
	v_and_b32_e32 v36, s97, v36
	v_lshl_or_b32 v36, v36, 4, v91
	ds_add_u32 v36, v117
	s_or_b64 exec, exec, s[18:19]
	v_cmp_gt_u32_e32 vcc, s20, v88
	s_and_saveexec_b64 s[18:19], vcc
	s_cbranch_execz .LBB1123_343
.LBB1123_358:                           ;   in Loop: Header=BB1123_308 Depth=2
	v_cmp_gt_i64_e32 vcc, 0, v[8:9]
	v_ashrrev_i32_e32 v37, 31, v9
	v_cndmask_b32_e64 v36, v133, 0, vcc
	v_not_b32_e32 v38, v37
	v_xor_b32_e32 v37, v36, v9
	v_xor_b32_e32 v36, v38, v8
	v_cmp_ne_u64_e32 vcc, s[72:73], v[36:37]
	v_cndmask_b32_e32 v37, v133, v37, vcc
	v_cndmask_b32_e32 v36, -1, v36, vcc
	v_lshrrev_b64 v[36:37], s88, v[36:37]
	v_and_b32_e32 v36, s97, v36
	v_lshl_or_b32 v36, v36, 4, v91
	ds_add_u32 v36, v117
	s_or_b64 exec, exec, s[18:19]
	v_cmp_gt_u32_e32 vcc, s20, v89
	s_and_saveexec_b64 s[18:19], vcc
	s_cbranch_execz .LBB1123_344
.LBB1123_359:                           ;   in Loop: Header=BB1123_308 Depth=2
	v_cmp_gt_i64_e32 vcc, 0, v[6:7]
	v_ashrrev_i32_e32 v37, 31, v7
	v_cndmask_b32_e64 v36, v133, 0, vcc
	v_not_b32_e32 v38, v37
	v_xor_b32_e32 v37, v36, v7
	v_xor_b32_e32 v36, v38, v6
	v_cmp_ne_u64_e32 vcc, s[72:73], v[36:37]
	v_cndmask_b32_e32 v37, v133, v37, vcc
	v_cndmask_b32_e32 v36, -1, v36, vcc
	v_lshrrev_b64 v[36:37], s88, v[36:37]
	v_and_b32_e32 v36, s97, v36
	v_lshl_or_b32 v36, v36, 4, v91
	ds_add_u32 v36, v117
	s_or_b64 exec, exec, s[18:19]
	v_cmp_gt_u32_e32 vcc, s20, v90
	s_and_saveexec_b64 s[18:19], vcc
	s_cbranch_execz .LBB1123_307
.LBB1123_360:                           ;   in Loop: Header=BB1123_308 Depth=2
	v_cmp_gt_i64_e32 vcc, 0, v[4:5]
	v_ashrrev_i32_e32 v37, 31, v5
	v_cndmask_b32_e64 v36, v133, 0, vcc
	v_not_b32_e32 v38, v37
	v_xor_b32_e32 v37, v36, v5
	v_xor_b32_e32 v36, v38, v4
	v_cmp_ne_u64_e32 vcc, s[72:73], v[36:37]
	v_cndmask_b32_e32 v37, v133, v37, vcc
	v_cndmask_b32_e32 v36, -1, v36, vcc
	v_lshrrev_b64 v[36:37], s88, v[36:37]
	v_and_b32_e32 v36, s97, v36
	v_lshl_or_b32 v36, v36, 4, v91
	ds_add_u32 v36, v117
	s_branch .LBB1123_307
.LBB1123_361:                           ;   in Loop: Header=BB1123_308 Depth=2
	global_load_dwordx2 v[34:35], v118, s[18:19]
	s_or_b64 exec, exec, s[20:21]
	v_cmp_gt_u32_e32 vcc, s22, v74
	s_and_saveexec_b64 s[20:21], vcc
	s_cbranch_execz .LBB1123_313
.LBB1123_362:                           ;   in Loop: Header=BB1123_308 Depth=2
	global_load_dwordx2 v[32:33], v118, s[18:19] offset:2048
	s_or_b64 exec, exec, s[20:21]
	v_cmp_gt_u32_e32 vcc, s22, v75
	s_and_saveexec_b64 s[20:21], vcc
	s_cbranch_execz .LBB1123_314
.LBB1123_363:                           ;   in Loop: Header=BB1123_308 Depth=2
	global_load_dwordx2 v[30:31], v119, s[18:19]
	s_or_b64 exec, exec, s[20:21]
	v_cmp_gt_u32_e32 vcc, s22, v76
	s_and_saveexec_b64 s[20:21], vcc
	s_cbranch_execz .LBB1123_315
.LBB1123_364:                           ;   in Loop: Header=BB1123_308 Depth=2
	global_load_dwordx2 v[28:29], v120, s[18:19]
	s_or_b64 exec, exec, s[20:21]
	v_cmp_gt_u32_e32 vcc, s22, v79
	s_and_saveexec_b64 s[20:21], vcc
	s_cbranch_execz .LBB1123_316
.LBB1123_365:                           ;   in Loop: Header=BB1123_308 Depth=2
	global_load_dwordx2 v[26:27], v121, s[18:19]
	s_or_b64 exec, exec, s[20:21]
	v_cmp_gt_u32_e32 vcc, s22, v80
	s_and_saveexec_b64 s[20:21], vcc
	s_cbranch_execz .LBB1123_317
.LBB1123_366:                           ;   in Loop: Header=BB1123_308 Depth=2
	global_load_dwordx2 v[24:25], v122, s[18:19]
	s_or_b64 exec, exec, s[20:21]
	v_cmp_gt_u32_e32 vcc, s22, v81
	s_and_saveexec_b64 s[20:21], vcc
	s_cbranch_execz .LBB1123_318
.LBB1123_367:                           ;   in Loop: Header=BB1123_308 Depth=2
	global_load_dwordx2 v[22:23], v123, s[18:19]
	s_or_b64 exec, exec, s[20:21]
	v_cmp_gt_u32_e32 vcc, s22, v82
	s_and_saveexec_b64 s[20:21], vcc
	s_cbranch_execz .LBB1123_319
.LBB1123_368:                           ;   in Loop: Header=BB1123_308 Depth=2
	global_load_dwordx2 v[20:21], v124, s[18:19]
	s_or_b64 exec, exec, s[20:21]
	v_cmp_gt_u32_e32 vcc, s22, v83
	s_and_saveexec_b64 s[20:21], vcc
	s_cbranch_execz .LBB1123_320
.LBB1123_369:                           ;   in Loop: Header=BB1123_308 Depth=2
	global_load_dwordx2 v[18:19], v125, s[18:19]
	s_or_b64 exec, exec, s[20:21]
	v_cmp_gt_u32_e32 vcc, s22, v84
	s_and_saveexec_b64 s[20:21], vcc
	s_cbranch_execz .LBB1123_321
.LBB1123_370:                           ;   in Loop: Header=BB1123_308 Depth=2
	global_load_dwordx2 v[16:17], v126, s[18:19]
	s_or_b64 exec, exec, s[20:21]
	v_cmp_gt_u32_e32 vcc, s22, v85
	s_and_saveexec_b64 s[20:21], vcc
	s_cbranch_execz .LBB1123_322
.LBB1123_371:                           ;   in Loop: Header=BB1123_308 Depth=2
	global_load_dwordx2 v[14:15], v127, s[18:19]
	s_or_b64 exec, exec, s[20:21]
	v_cmp_gt_u32_e32 vcc, s22, v86
	s_and_saveexec_b64 s[20:21], vcc
	s_cbranch_execz .LBB1123_323
.LBB1123_372:                           ;   in Loop: Header=BB1123_308 Depth=2
	global_load_dwordx2 v[12:13], v128, s[18:19]
	s_or_b64 exec, exec, s[20:21]
	v_cmp_gt_u32_e32 vcc, s22, v87
	s_and_saveexec_b64 s[20:21], vcc
	s_cbranch_execz .LBB1123_324
.LBB1123_373:                           ;   in Loop: Header=BB1123_308 Depth=2
	global_load_dwordx2 v[10:11], v129, s[18:19]
	s_or_b64 exec, exec, s[20:21]
	v_cmp_gt_u32_e32 vcc, s22, v88
	s_and_saveexec_b64 s[20:21], vcc
	s_cbranch_execz .LBB1123_325
.LBB1123_374:                           ;   in Loop: Header=BB1123_308 Depth=2
	global_load_dwordx2 v[8:9], v130, s[18:19]
	s_or_b64 exec, exec, s[20:21]
	v_cmp_gt_u32_e32 vcc, s22, v89
	s_and_saveexec_b64 s[20:21], vcc
	s_cbranch_execz .LBB1123_326
.LBB1123_375:                           ;   in Loop: Header=BB1123_308 Depth=2
	global_load_dwordx2 v[6:7], v131, s[18:19]
	s_or_b64 exec, exec, s[20:21]
	v_cmp_gt_u32_e32 vcc, s22, v90
	s_and_saveexec_b64 s[20:21], vcc
	s_cbranch_execnz .LBB1123_327
	s_branch .LBB1123_328
.LBB1123_376:                           ;   in Loop: Header=BB1123_12 Depth=1
	v_mov_b32_e32 v4, 0
	s_waitcnt lgkmcnt(0)
	s_barrier
	s_and_saveexec_b64 s[18:19], s[4:5]
	s_cbranch_execz .LBB1123_378
; %bb.377:                              ;   in Loop: Header=BB1123_12 Depth=1
	ds_read2_b64 v[4:7], v92 offset1:1
	s_waitcnt lgkmcnt(0)
	v_add_u32_e32 v4, v5, v4
	v_add3_u32 v4, v4, v6, v7
.LBB1123_378:                           ;   in Loop: Header=BB1123_12 Depth=1
	s_or_b64 exec, exec, s[18:19]
	v_and_b32_e32 v5, 15, v134
	v_mov_b32_dpp v6, v4 row_shr:1 row_mask:0xf bank_mask:0xf
	v_cmp_eq_u32_e64 s[18:19], 0, v5
	v_cndmask_b32_e64 v6, v6, 0, s[18:19]
	v_add_u32_e32 v4, v6, v4
	v_cmp_lt_u32_e64 s[20:21], 1, v5
	v_cmp_lt_u32_e64 s[22:23], 3, v5
	v_mov_b32_dpp v6, v4 row_shr:2 row_mask:0xf bank_mask:0xf
	v_cndmask_b32_e64 v6, 0, v6, s[20:21]
	v_add_u32_e32 v4, v4, v6
	v_cmp_lt_u32_e64 s[24:25], 7, v5
	v_cmp_lt_u32_e64 s[28:29], 31, v134
	v_mov_b32_dpp v6, v4 row_shr:4 row_mask:0xf bank_mask:0xf
	v_cndmask_b32_e64 v6, 0, v6, s[22:23]
	v_add_u32_e32 v4, v4, v6
	v_and_b32_e32 v7, 16, v134
	v_cmp_eq_u32_e64 s[26:27], 0, v7
	v_mov_b32_dpp v6, v4 row_shr:8 row_mask:0xf bank_mask:0xf
	v_cndmask_b32_e64 v5, 0, v6, s[24:25]
	v_add_u32_e32 v4, v4, v5
	v_bfe_i32 v6, v134, 4, 1
	s_nop 0
	v_mov_b32_dpp v5, v4 row_bcast:15 row_mask:0xf bank_mask:0xf
	v_and_b32_e32 v5, v6, v5
	v_add_u32_e32 v4, v4, v5
	s_nop 1
	v_mov_b32_dpp v5, v4 row_bcast:31 row_mask:0xf bank_mask:0xf
	v_cndmask_b32_e64 v5, 0, v5, s[28:29]
	v_add_u32_e32 v5, v4, v5
	s_and_saveexec_b64 s[30:31], s[8:9]
; %bb.379:                              ;   in Loop: Header=BB1123_12 Depth=1
	ds_write_b32 v94, v5
; %bb.380:                              ;   in Loop: Header=BB1123_12 Depth=1
	s_or_b64 exec, exec, s[30:31]
	v_and_b32_e32 v4, 3, v134
	s_waitcnt lgkmcnt(0)
	s_barrier
	s_and_saveexec_b64 s[30:31], s[10:11]
	s_cbranch_execz .LBB1123_382
; %bb.381:                              ;   in Loop: Header=BB1123_12 Depth=1
	ds_read_b32 v6, v95
	v_cmp_ne_u32_e32 vcc, 0, v4
	s_waitcnt lgkmcnt(0)
	v_mov_b32_dpp v7, v6 row_shr:1 row_mask:0xf bank_mask:0xf
	v_cndmask_b32_e32 v7, 0, v7, vcc
	v_add_u32_e32 v6, v7, v6
	v_cmp_lt_u32_e32 vcc, 1, v4
	s_nop 0
	v_mov_b32_dpp v7, v6 row_shr:2 row_mask:0xf bank_mask:0xf
	v_cndmask_b32_e32 v7, 0, v7, vcc
	v_add_u32_e32 v6, v6, v7
	ds_write_b32 v95, v6
.LBB1123_382:                           ;   in Loop: Header=BB1123_12 Depth=1
	s_or_b64 exec, exec, s[30:31]
	v_mov_b32_e32 v6, 0
	s_waitcnt lgkmcnt(0)
	s_barrier
	s_and_saveexec_b64 s[30:31], s[12:13]
; %bb.383:                              ;   in Loop: Header=BB1123_12 Depth=1
	ds_read_b32 v6, v96
; %bb.384:                              ;   in Loop: Header=BB1123_12 Depth=1
	s_or_b64 exec, exec, s[30:31]
	v_subrev_co_u32_e64 v7, s[30:31], 1, v134
	v_and_b32_e32 v8, 64, v134
	v_cmp_lt_i32_e32 vcc, v7, v8
	v_cndmask_b32_e32 v7, v7, v134, vcc
	s_waitcnt lgkmcnt(0)
	v_add_u32_e32 v5, v6, v5
	v_lshlrev_b32_e32 v135, 2, v7
	ds_bpermute_b32 v5, v135, v5
	s_waitcnt lgkmcnt(0)
	s_barrier
	s_and_saveexec_b64 s[34:35], s[4:5]
; %bb.385:                              ;   in Loop: Header=BB1123_12 Depth=1
	v_cndmask_b32_e64 v5, v5, v6, s[30:31]
	v_add_u32_e32 v5, s94, v5
	ds_write_b32 v73, v5
; %bb.386:                              ;   in Loop: Header=BB1123_12 Depth=1
	s_or_b64 exec, exec, s[34:35]
	s_load_dwordx2 s[34:35], s[74:75], 0x0
	s_mov_b32 s98, s91
	s_mov_b32 s82, s94
                                        ; implicit-def: $vgpr5_vgpr6
                                        ; implicit-def: $vgpr7_vgpr8
                                        ; implicit-def: $vgpr9_vgpr10
                                        ; implicit-def: $vgpr13_vgpr14
                                        ; implicit-def: $vgpr17_vgpr18
                                        ; implicit-def: $vgpr21_vgpr22
                                        ; implicit-def: $vgpr25_vgpr26
                                        ; implicit-def: $vgpr29_vgpr30
                                        ; implicit-def: $vgpr11_vgpr12
                                        ; implicit-def: $vgpr15_vgpr16
                                        ; implicit-def: $vgpr19_vgpr20
                                        ; implicit-def: $vgpr23_vgpr24
                                        ; implicit-def: $vgpr27_vgpr28
                                        ; implicit-def: $vgpr31_vgpr32
                                        ; implicit-def: $vgpr33_vgpr34
                                        ; implicit-def: $vgpr35_vgpr36
                                        ; implicit-def: $vgpr136
                                        ; implicit-def: $vgpr137
                                        ; implicit-def: $vgpr138
                                        ; implicit-def: $vgpr139
                                        ; implicit-def: $vgpr140
                                        ; implicit-def: $vgpr141
                                        ; implicit-def: $vgpr142
                                        ; implicit-def: $vgpr144
                                        ; implicit-def: $vgpr146
                                        ; implicit-def: $vgpr148
                                        ; implicit-def: $vgpr150
                                        ; implicit-def: $vgpr152
                                        ; implicit-def: $vgpr154
                                        ; implicit-def: $vgpr156
                                        ; implicit-def: $vgpr158
                                        ; implicit-def: $vgpr160
	s_waitcnt lgkmcnt(0)
	s_cmp_lt_u32 s33, s35
	s_cselect_b32 s35, 14, 20
	s_add_u32 s36, s74, s35
	s_addc_u32 s37, s75, 0
	s_cmp_lt_u32 s6, s34
	s_cselect_b32 s34, 12, 18
	s_add_u32 s34, s74, s34
	global_load_ushort v37, v3, s[36:37]
	s_addc_u32 s35, s75, 0
	global_load_ushort v38, v3, s[34:35]
	v_cmp_eq_u32_e64 s[34:35], 0, v4
	v_cmp_lt_u32_e64 s[36:37], 1, v4
	v_and_b32_e32 v4, 63, v134
	v_lshlrev_b32_e32 v39, 3, v4
	v_or_b32_e32 v143, v4, v97
	v_add_co_u32_e32 v145, vcc, v107, v39
	v_addc_co_u32_e32 v147, vcc, 0, v108, vcc
	v_add_co_u32_e32 v170, vcc, v109, v39
	v_or_b32_e32 v149, 64, v143
	v_or_b32_e32 v151, 0x80, v143
	;; [unrolled: 1-line block ×15, first 2 shown]
	v_addc_co_u32_e32 v171, vcc, 0, v110, vcc
	s_waitcnt vmcnt(1)
	v_mad_u32_u24 v4, v2, v37, v1
	s_waitcnt vmcnt(0)
	v_mad_u64_u32 v[37:38], s[38:39], v4, v38, v[0:1]
	v_lshrrev_b32_e32 v4, 4, v37
	v_and_b32_e32 v172, 0xffffffc, v4
	s_branch .LBB1123_388
.LBB1123_387:                           ;   in Loop: Header=BB1123_388 Depth=2
	s_or_b64 exec, exec, s[38:39]
	s_addk_i32 s98, 0xf000
	s_cmp_lt_u32 s99, s95
	s_mov_b32 s82, s99
	s_cbranch_scc0 .LBB1123_596
.LBB1123_388:                           ;   Parent Loop BB1123_12 Depth=1
                                        ; =>  This Inner Loop Header: Depth=2
	s_add_i32 s99, s82, 0x1000
	s_cmp_gt_u32 s99, s95
	s_cbranch_scc1 .LBB1123_390
; %bb.389:                              ;   in Loop: Header=BB1123_388 Depth=2
	s_mov_b32 s83, s72
	s_lshl_b64 s[38:39], s[82:83], 3
	v_mov_b32_e32 v4, s39
	v_add_co_u32_e32 v41, vcc, s38, v170
	v_addc_co_u32_e32 v42, vcc, v171, v4, vcc
	global_load_dwordx2 v[37:38], v[41:42], off
	global_load_dwordx2 v[39:40], v[41:42], off offset:512
	global_load_dwordx2 v[45:46], v[41:42], off offset:1024
	;; [unrolled: 1-line block ×7, first 2 shown]
	v_add_co_u32_e32 v41, vcc, 0x1000, v41
	v_addc_co_u32_e32 v42, vcc, 0, v42, vcc
	global_load_dwordx2 v[67:68], v[41:42], off
	global_load_dwordx2 v[61:62], v[41:42], off offset:512
	global_load_dwordx2 v[59:60], v[41:42], off offset:1024
	;; [unrolled: 1-line block ×5, first 2 shown]
	s_nop 0
	global_load_dwordx2 v[41:42], v[41:42], off offset:3072
	s_mov_b64 s[38:39], -1
	s_movk_i32 s42, 0x1000
	s_cbranch_execz .LBB1123_391
	s_branch .LBB1123_422
.LBB1123_390:                           ;   in Loop: Header=BB1123_388 Depth=2
	s_mov_b64 s[38:39], 0
                                        ; implicit-def: $vgpr37_vgpr38
                                        ; implicit-def: $vgpr39_vgpr40
                                        ; implicit-def: $vgpr45_vgpr46
                                        ; implicit-def: $vgpr49_vgpr50
                                        ; implicit-def: $vgpr53_vgpr54
                                        ; implicit-def: $vgpr57_vgpr58
                                        ; implicit-def: $vgpr63_vgpr64
                                        ; implicit-def: $vgpr65_vgpr66
                                        ; implicit-def: $vgpr67_vgpr68
                                        ; implicit-def: $vgpr61_vgpr62
                                        ; implicit-def: $vgpr59_vgpr60
                                        ; implicit-def: $vgpr55_vgpr56
                                        ; implicit-def: $vgpr51_vgpr52
                                        ; implicit-def: $vgpr47_vgpr48
                                        ; implicit-def: $vgpr41_vgpr42
	s_movk_i32 s42, 0x1000
.LBB1123_391:                           ;   in Loop: Header=BB1123_388 Depth=2
	s_mov_b32 s83, s72
	s_lshl_b64 s[38:39], s[82:83], 3
	v_mov_b32_e32 v4, s39
	v_add_co_u32_e32 v43, vcc, s38, v170
	v_addc_co_u32_e32 v44, vcc, v171, v4, vcc
	s_waitcnt vmcnt(13)
	v_mov_b32_e32 v39, -1
	v_mov_b32_e32 v37, -1
	;; [unrolled: 1-line block ×4, first 2 shown]
	v_cmp_gt_u32_e32 vcc, s98, v143
	s_and_saveexec_b64 s[38:39], vcc
	s_cbranch_execz .LBB1123_393
; %bb.392:                              ;   in Loop: Header=BB1123_388 Depth=2
	global_load_dwordx2 v[37:38], v[43:44], off
.LBB1123_393:                           ;   in Loop: Header=BB1123_388 Depth=2
	s_or_b64 exec, exec, s[38:39]
	v_cmp_gt_u32_e32 vcc, s98, v149
	s_and_saveexec_b64 s[38:39], vcc
	s_cbranch_execz .LBB1123_395
; %bb.394:                              ;   in Loop: Header=BB1123_388 Depth=2
	global_load_dwordx2 v[39:40], v[43:44], off offset:512
.LBB1123_395:                           ;   in Loop: Header=BB1123_388 Depth=2
	s_or_b64 exec, exec, s[38:39]
	s_waitcnt vmcnt(11)
	v_mov_b32_e32 v49, -1
	v_mov_b32_e32 v45, -1
	v_mov_b32_e32 v50, -1
	v_mov_b32_e32 v46, -1
	v_cmp_gt_u32_e32 vcc, s98, v151
	s_and_saveexec_b64 s[38:39], vcc
	s_cbranch_execz .LBB1123_397
; %bb.396:                              ;   in Loop: Header=BB1123_388 Depth=2
	global_load_dwordx2 v[45:46], v[43:44], off offset:1024
.LBB1123_397:                           ;   in Loop: Header=BB1123_388 Depth=2
	s_or_b64 exec, exec, s[38:39]
	v_cmp_gt_u32_e32 vcc, s98, v153
	s_and_saveexec_b64 s[38:39], vcc
	s_cbranch_execz .LBB1123_399
; %bb.398:                              ;   in Loop: Header=BB1123_388 Depth=2
	global_load_dwordx2 v[49:50], v[43:44], off offset:1536
.LBB1123_399:                           ;   in Loop: Header=BB1123_388 Depth=2
	s_or_b64 exec, exec, s[38:39]
	s_waitcnt vmcnt(9)
	v_mov_b32_e32 v57, -1
	v_mov_b32_e32 v53, -1
	v_mov_b32_e32 v58, -1
	v_mov_b32_e32 v54, -1
	v_cmp_gt_u32_e32 vcc, s98, v155
	s_and_saveexec_b64 s[38:39], vcc
	s_cbranch_execz .LBB1123_401
; %bb.400:                              ;   in Loop: Header=BB1123_388 Depth=2
	global_load_dwordx2 v[53:54], v[43:44], off offset:2048
.LBB1123_401:                           ;   in Loop: Header=BB1123_388 Depth=2
	;; [unrolled: 19-line block ×3, first 2 shown]
	s_or_b64 exec, exec, s[38:39]
	v_cmp_gt_u32_e32 vcc, s98, v161
	s_and_saveexec_b64 s[38:39], vcc
	s_cbranch_execz .LBB1123_407
; %bb.406:                              ;   in Loop: Header=BB1123_388 Depth=2
	global_load_dwordx2 v[65:66], v[43:44], off offset:3584
.LBB1123_407:                           ;   in Loop: Header=BB1123_388 Depth=2
	s_or_b64 exec, exec, s[38:39]
	s_waitcnt vmcnt(5)
	v_mov_b32_e32 v61, -1
	v_mov_b32_e32 v67, -1
	;; [unrolled: 1-line block ×4, first 2 shown]
	v_cmp_gt_u32_e32 vcc, s98, v162
	s_and_saveexec_b64 s[38:39], vcc
	s_cbranch_execz .LBB1123_409
; %bb.408:                              ;   in Loop: Header=BB1123_388 Depth=2
	s_waitcnt vmcnt(0)
	v_add_co_u32_e32 v41, vcc, 0x1000, v43
	v_addc_co_u32_e32 v42, vcc, 0, v44, vcc
	global_load_dwordx2 v[67:68], v[41:42], off
.LBB1123_409:                           ;   in Loop: Header=BB1123_388 Depth=2
	s_or_b64 exec, exec, s[38:39]
	v_cmp_gt_u32_e32 vcc, s98, v163
	s_and_saveexec_b64 s[38:39], vcc
	s_cbranch_execz .LBB1123_411
; %bb.410:                              ;   in Loop: Header=BB1123_388 Depth=2
	s_waitcnt vmcnt(0)
	v_add_co_u32_e32 v41, vcc, 0x1000, v43
	v_addc_co_u32_e32 v42, vcc, 0, v44, vcc
	global_load_dwordx2 v[61:62], v[41:42], off offset:512
.LBB1123_411:                           ;   in Loop: Header=BB1123_388 Depth=2
	s_or_b64 exec, exec, s[38:39]
	s_waitcnt vmcnt(3)
	v_mov_b32_e32 v55, -1
	v_mov_b32_e32 v59, -1
	v_mov_b32_e32 v56, -1
	v_mov_b32_e32 v60, -1
	v_cmp_gt_u32_e32 vcc, s98, v164
	s_and_saveexec_b64 s[38:39], vcc
	s_cbranch_execz .LBB1123_413
; %bb.412:                              ;   in Loop: Header=BB1123_388 Depth=2
	s_waitcnt vmcnt(0)
	v_add_co_u32_e32 v41, vcc, 0x1000, v43
	v_addc_co_u32_e32 v42, vcc, 0, v44, vcc
	global_load_dwordx2 v[59:60], v[41:42], off offset:1024
.LBB1123_413:                           ;   in Loop: Header=BB1123_388 Depth=2
	s_or_b64 exec, exec, s[38:39]
	v_cmp_gt_u32_e32 vcc, s98, v165
	s_and_saveexec_b64 s[38:39], vcc
	s_cbranch_execz .LBB1123_415
; %bb.414:                              ;   in Loop: Header=BB1123_388 Depth=2
	s_waitcnt vmcnt(0)
	v_add_co_u32_e32 v41, vcc, 0x1000, v43
	v_addc_co_u32_e32 v42, vcc, 0, v44, vcc
	global_load_dwordx2 v[55:56], v[41:42], off offset:1536
.LBB1123_415:                           ;   in Loop: Header=BB1123_388 Depth=2
	s_or_b64 exec, exec, s[38:39]
	s_waitcnt vmcnt(1)
	v_mov_b32_e32 v47, -1
	v_mov_b32_e32 v51, -1
	;; [unrolled: 1-line block ×4, first 2 shown]
	v_cmp_gt_u32_e32 vcc, s98, v166
	s_and_saveexec_b64 s[38:39], vcc
	s_cbranch_execz .LBB1123_417
; %bb.416:                              ;   in Loop: Header=BB1123_388 Depth=2
	s_waitcnt vmcnt(0)
	v_add_co_u32_e32 v41, vcc, 0x1000, v43
	v_addc_co_u32_e32 v42, vcc, 0, v44, vcc
	global_load_dwordx2 v[51:52], v[41:42], off offset:2048
.LBB1123_417:                           ;   in Loop: Header=BB1123_388 Depth=2
	s_or_b64 exec, exec, s[38:39]
	v_cmp_gt_u32_e32 vcc, s98, v167
	s_and_saveexec_b64 s[38:39], vcc
	s_cbranch_execz .LBB1123_419
; %bb.418:                              ;   in Loop: Header=BB1123_388 Depth=2
	s_waitcnt vmcnt(0)
	v_add_co_u32_e32 v41, vcc, 0x1000, v43
	v_addc_co_u32_e32 v42, vcc, 0, v44, vcc
	global_load_dwordx2 v[47:48], v[41:42], off offset:2560
.LBB1123_419:                           ;   in Loop: Header=BB1123_388 Depth=2
	s_or_b64 exec, exec, s[38:39]
	s_waitcnt vmcnt(0)
	v_mov_b32_e32 v41, -1
	v_mov_b32_e32 v42, -1
	v_cmp_gt_u32_e32 vcc, s98, v168
	s_and_saveexec_b64 s[38:39], vcc
	s_cbranch_execz .LBB1123_421
; %bb.420:                              ;   in Loop: Header=BB1123_388 Depth=2
	v_add_co_u32_e32 v41, vcc, 0x1000, v43
	v_addc_co_u32_e32 v42, vcc, 0, v44, vcc
	global_load_dwordx2 v[41:42], v[41:42], off offset:3072
.LBB1123_421:                           ;   in Loop: Header=BB1123_388 Depth=2
	s_or_b64 exec, exec, s[38:39]
	s_sub_i32 s42, s95, s82
	v_cmp_gt_u32_e64 s[38:39], s98, v169
.LBB1123_422:                           ;   in Loop: Header=BB1123_388 Depth=2
	v_mov_b32_e32 v43, -1
	v_mov_b32_e32 v44, -1
	v_mov_b32_e32 v173, s98
	s_and_saveexec_b64 s[40:41], s[38:39]
	s_cbranch_execz .LBB1123_424
; %bb.423:                              ;   in Loop: Header=BB1123_388 Depth=2
	s_lshl_b64 s[38:39], s[82:83], 3
	v_mov_b32_e32 v4, s39
	v_add_co_u32_e32 v43, vcc, s38, v170
	v_addc_co_u32_e32 v4, vcc, v171, v4, vcc
	v_add_co_u32_e32 v43, vcc, 0x1000, v43
	v_addc_co_u32_e32 v44, vcc, 0, v4, vcc
	global_load_dwordx2 v[43:44], v[43:44], off offset:3584
	v_mov_b32_e32 v173, s42
.LBB1123_424:                           ;   in Loop: Header=BB1123_388 Depth=2
	s_or_b64 exec, exec, s[40:41]
	s_waitcnt vmcnt(14)
	v_cmp_gt_i64_e32 vcc, 0, v[37:38]
	v_ashrrev_i32_e32 v69, 31, v38
	v_cndmask_b32_e64 v4, v133, 0, vcc
	v_not_b32_e32 v69, v69
	v_xor_b32_e32 v38, v4, v38
	v_xor_b32_e32 v37, v69, v37
	v_cmp_ne_u64_e32 vcc, s[72:73], v[37:38]
	v_add_u32_e32 v175, 0x410, v98
	v_cndmask_b32_e32 v70, v133, v38, vcc
	v_cndmask_b32_e32 v69, -1, v37, vcc
	v_lshrrev_b64 v[69:70], s88, v[69:70]
	v_add_u32_e32 v174, 0x418, v98
	v_and_b32_e32 v69, s97, v69
	v_and_b32_e32 v4, 1, v69
	v_add_co_u32_e32 v70, vcc, -1, v4
	v_addc_co_u32_e64 v72, s[38:39], 0, -1, vcc
	v_cmp_ne_u32_e32 vcc, 0, v4
	v_xor_b32_e32 v4, vcc_hi, v72
	v_and_b32_e32 v72, exec_hi, v4
	v_lshlrev_b32_e32 v4, 30, v69
	v_xor_b32_e32 v70, vcc_lo, v70
	v_cmp_gt_i64_e32 vcc, 0, v[3:4]
	v_not_b32_e32 v4, v4
	v_ashrrev_i32_e32 v4, 31, v4
	v_and_b32_e32 v70, exec_lo, v70
	v_xor_b32_e32 v176, vcc_hi, v4
	v_xor_b32_e32 v4, vcc_lo, v4
	v_and_b32_e32 v70, v70, v4
	v_lshlrev_b32_e32 v4, 29, v69
	v_cmp_gt_i64_e32 vcc, 0, v[3:4]
	v_not_b32_e32 v4, v4
	v_ashrrev_i32_e32 v4, 31, v4
	v_and_b32_e32 v72, v72, v176
	v_xor_b32_e32 v176, vcc_hi, v4
	v_xor_b32_e32 v4, vcc_lo, v4
	v_and_b32_e32 v70, v70, v4
	v_lshlrev_b32_e32 v4, 28, v69
	v_cmp_gt_i64_e32 vcc, 0, v[3:4]
	v_not_b32_e32 v4, v4
	v_ashrrev_i32_e32 v4, 31, v4
	v_and_b32_e32 v72, v72, v176
	;; [unrolled: 8-line block ×5, first 2 shown]
	v_xor_b32_e32 v176, vcc_hi, v4
	v_xor_b32_e32 v4, vcc_lo, v4
	v_and_b32_e32 v72, v72, v176
	v_and_b32_e32 v176, v70, v4
	v_lshlrev_b32_e32 v4, 24, v69
	v_cmp_gt_i64_e32 vcc, 0, v[3:4]
	v_not_b32_e32 v4, v4
	v_ashrrev_i32_e32 v4, 31, v4
	v_mul_u32_u24_e32 v71, 20, v69
	v_xor_b32_e32 v69, vcc_hi, v4
	v_xor_b32_e32 v4, vcc_lo, v4
	v_and_b32_e32 v70, v72, v69
	v_and_b32_e32 v69, v176, v4
	v_mbcnt_lo_u32_b32 v4, v69, 0
	v_mbcnt_hi_u32_b32 v176, v70, v4
	v_cmp_ne_u64_e32 vcc, 0, v[69:70]
	v_cmp_eq_u32_e64 s[38:39], 0, v176
	s_and_b64 s[40:41], vcc, s[38:39]
	v_add_u32_e32 v178, v172, v71
	ds_write2_b32 v175, v3, v3 offset1:1
	ds_write2_b32 v174, v3, v3 offset1:1
	ds_write_b32 v98, v3 offset:1056
	s_waitcnt vmcnt(0) lgkmcnt(0)
	s_barrier
	; wave barrier
	s_and_saveexec_b64 s[38:39], s[40:41]
; %bb.425:                              ;   in Loop: Header=BB1123_388 Depth=2
	v_bcnt_u32_b32 v4, v69, 0
	v_bcnt_u32_b32 v4, v70, v4
	ds_write_b32 v178, v4 offset:1040
; %bb.426:                              ;   in Loop: Header=BB1123_388 Depth=2
	s_or_b64 exec, exec, s[38:39]
	v_cmp_gt_i64_e32 vcc, 0, v[39:40]
	v_ashrrev_i32_e32 v69, 31, v40
	v_cndmask_b32_e64 v4, v133, 0, vcc
	v_not_b32_e32 v69, v69
	v_xor_b32_e32 v40, v4, v40
	v_xor_b32_e32 v39, v69, v39
	v_cmp_ne_u64_e32 vcc, s[72:73], v[39:40]
	v_cndmask_b32_e32 v70, v133, v40, vcc
	v_cndmask_b32_e32 v69, -1, v39, vcc
	v_lshrrev_b64 v[69:70], s88, v[69:70]
	; wave barrier
	v_and_b32_e32 v69, s97, v69
	v_mad_u32_u24 v4, v69, 20, v172
	ds_read_b32 v177, v4 offset:1040
	v_and_b32_e32 v4, 1, v69
	v_add_co_u32_e32 v70, vcc, -1, v4
	v_addc_co_u32_e64 v72, s[38:39], 0, -1, vcc
	v_cmp_ne_u32_e32 vcc, 0, v4
	v_xor_b32_e32 v4, vcc_hi, v72
	v_and_b32_e32 v72, exec_hi, v4
	v_lshlrev_b32_e32 v4, 30, v69
	v_xor_b32_e32 v70, vcc_lo, v70
	v_cmp_gt_i64_e32 vcc, 0, v[3:4]
	v_not_b32_e32 v4, v4
	v_ashrrev_i32_e32 v4, 31, v4
	v_and_b32_e32 v70, exec_lo, v70
	v_xor_b32_e32 v179, vcc_hi, v4
	v_xor_b32_e32 v4, vcc_lo, v4
	v_and_b32_e32 v70, v70, v4
	v_lshlrev_b32_e32 v4, 29, v69
	v_cmp_gt_i64_e32 vcc, 0, v[3:4]
	v_not_b32_e32 v4, v4
	v_ashrrev_i32_e32 v4, 31, v4
	v_and_b32_e32 v72, v72, v179
	v_xor_b32_e32 v179, vcc_hi, v4
	v_xor_b32_e32 v4, vcc_lo, v4
	v_and_b32_e32 v70, v70, v4
	v_lshlrev_b32_e32 v4, 28, v69
	v_cmp_gt_i64_e32 vcc, 0, v[3:4]
	v_not_b32_e32 v4, v4
	v_ashrrev_i32_e32 v4, 31, v4
	v_and_b32_e32 v72, v72, v179
	v_xor_b32_e32 v179, vcc_hi, v4
	v_xor_b32_e32 v4, vcc_lo, v4
	v_and_b32_e32 v70, v70, v4
	v_lshlrev_b32_e32 v4, 27, v69
	v_cmp_gt_i64_e32 vcc, 0, v[3:4]
	v_not_b32_e32 v4, v4
	v_ashrrev_i32_e32 v4, 31, v4
	v_and_b32_e32 v72, v72, v179
	v_xor_b32_e32 v179, vcc_hi, v4
	v_xor_b32_e32 v4, vcc_lo, v4
	v_and_b32_e32 v70, v70, v4
	v_lshlrev_b32_e32 v4, 26, v69
	v_cmp_gt_i64_e32 vcc, 0, v[3:4]
	v_not_b32_e32 v4, v4
	v_ashrrev_i32_e32 v4, 31, v4
	v_and_b32_e32 v72, v72, v179
	v_xor_b32_e32 v179, vcc_hi, v4
	v_xor_b32_e32 v4, vcc_lo, v4
	v_and_b32_e32 v70, v70, v4
	v_lshlrev_b32_e32 v4, 25, v69
	v_cmp_gt_i64_e32 vcc, 0, v[3:4]
	v_not_b32_e32 v4, v4
	v_ashrrev_i32_e32 v4, 31, v4
	v_and_b32_e32 v72, v72, v179
	v_xor_b32_e32 v179, vcc_hi, v4
	v_xor_b32_e32 v4, vcc_lo, v4
	v_and_b32_e32 v72, v72, v179
	v_and_b32_e32 v179, v70, v4
	v_lshlrev_b32_e32 v4, 24, v69
	v_cmp_gt_i64_e32 vcc, 0, v[3:4]
	v_not_b32_e32 v4, v4
	v_ashrrev_i32_e32 v4, 31, v4
	v_mul_u32_u24_e32 v71, 20, v69
	v_xor_b32_e32 v69, vcc_hi, v4
	v_xor_b32_e32 v4, vcc_lo, v4
	v_and_b32_e32 v70, v72, v69
	v_and_b32_e32 v69, v179, v4
	v_mbcnt_lo_u32_b32 v4, v69, 0
	v_mbcnt_hi_u32_b32 v179, v70, v4
	v_cmp_ne_u64_e32 vcc, 0, v[69:70]
	v_cmp_eq_u32_e64 s[38:39], 0, v179
	s_and_b64 s[40:41], vcc, s[38:39]
	v_add_u32_e32 v181, v172, v71
	; wave barrier
	s_and_saveexec_b64 s[38:39], s[40:41]
	s_cbranch_execz .LBB1123_428
; %bb.427:                              ;   in Loop: Header=BB1123_388 Depth=2
	v_bcnt_u32_b32 v4, v69, 0
	v_bcnt_u32_b32 v4, v70, v4
	s_waitcnt lgkmcnt(0)
	v_add_u32_e32 v4, v177, v4
	ds_write_b32 v181, v4 offset:1040
.LBB1123_428:                           ;   in Loop: Header=BB1123_388 Depth=2
	s_or_b64 exec, exec, s[38:39]
	v_cmp_gt_i64_e32 vcc, 0, v[45:46]
	v_ashrrev_i32_e32 v69, 31, v46
	v_cndmask_b32_e64 v4, v133, 0, vcc
	v_not_b32_e32 v69, v69
	v_xor_b32_e32 v46, v4, v46
	v_xor_b32_e32 v45, v69, v45
	v_cmp_ne_u64_e32 vcc, s[72:73], v[45:46]
	v_cndmask_b32_e32 v70, v133, v46, vcc
	v_cndmask_b32_e32 v69, -1, v45, vcc
	v_lshrrev_b64 v[69:70], s88, v[69:70]
	; wave barrier
	v_and_b32_e32 v69, s97, v69
	v_mad_u32_u24 v4, v69, 20, v172
	ds_read_b32 v180, v4 offset:1040
	v_and_b32_e32 v4, 1, v69
	v_add_co_u32_e32 v70, vcc, -1, v4
	v_addc_co_u32_e64 v72, s[38:39], 0, -1, vcc
	v_cmp_ne_u32_e32 vcc, 0, v4
	v_xor_b32_e32 v4, vcc_hi, v72
	v_and_b32_e32 v72, exec_hi, v4
	v_lshlrev_b32_e32 v4, 30, v69
	v_xor_b32_e32 v70, vcc_lo, v70
	v_cmp_gt_i64_e32 vcc, 0, v[3:4]
	v_not_b32_e32 v4, v4
	v_ashrrev_i32_e32 v4, 31, v4
	v_and_b32_e32 v70, exec_lo, v70
	v_xor_b32_e32 v182, vcc_hi, v4
	v_xor_b32_e32 v4, vcc_lo, v4
	v_and_b32_e32 v70, v70, v4
	v_lshlrev_b32_e32 v4, 29, v69
	v_cmp_gt_i64_e32 vcc, 0, v[3:4]
	v_not_b32_e32 v4, v4
	v_ashrrev_i32_e32 v4, 31, v4
	v_and_b32_e32 v72, v72, v182
	v_xor_b32_e32 v182, vcc_hi, v4
	v_xor_b32_e32 v4, vcc_lo, v4
	v_and_b32_e32 v70, v70, v4
	v_lshlrev_b32_e32 v4, 28, v69
	v_cmp_gt_i64_e32 vcc, 0, v[3:4]
	v_not_b32_e32 v4, v4
	v_ashrrev_i32_e32 v4, 31, v4
	v_and_b32_e32 v72, v72, v182
	;; [unrolled: 8-line block ×5, first 2 shown]
	v_xor_b32_e32 v182, vcc_hi, v4
	v_xor_b32_e32 v4, vcc_lo, v4
	v_and_b32_e32 v72, v72, v182
	v_and_b32_e32 v182, v70, v4
	v_lshlrev_b32_e32 v4, 24, v69
	v_cmp_gt_i64_e32 vcc, 0, v[3:4]
	v_not_b32_e32 v4, v4
	v_ashrrev_i32_e32 v4, 31, v4
	v_mul_u32_u24_e32 v71, 20, v69
	v_xor_b32_e32 v69, vcc_hi, v4
	v_xor_b32_e32 v4, vcc_lo, v4
	v_and_b32_e32 v70, v72, v69
	v_and_b32_e32 v69, v182, v4
	v_mbcnt_lo_u32_b32 v4, v69, 0
	v_mbcnt_hi_u32_b32 v182, v70, v4
	v_cmp_ne_u64_e32 vcc, 0, v[69:70]
	v_cmp_eq_u32_e64 s[38:39], 0, v182
	s_and_b64 s[40:41], vcc, s[38:39]
	v_add_u32_e32 v184, v172, v71
	; wave barrier
	s_and_saveexec_b64 s[38:39], s[40:41]
	s_cbranch_execz .LBB1123_430
; %bb.429:                              ;   in Loop: Header=BB1123_388 Depth=2
	v_bcnt_u32_b32 v4, v69, 0
	v_bcnt_u32_b32 v4, v70, v4
	s_waitcnt lgkmcnt(0)
	v_add_u32_e32 v4, v180, v4
	ds_write_b32 v184, v4 offset:1040
.LBB1123_430:                           ;   in Loop: Header=BB1123_388 Depth=2
	s_or_b64 exec, exec, s[38:39]
	v_cmp_gt_i64_e32 vcc, 0, v[49:50]
	v_ashrrev_i32_e32 v69, 31, v50
	v_cndmask_b32_e64 v4, v133, 0, vcc
	v_not_b32_e32 v69, v69
	v_xor_b32_e32 v50, v4, v50
	v_xor_b32_e32 v49, v69, v49
	v_cmp_ne_u64_e32 vcc, s[72:73], v[49:50]
	v_cndmask_b32_e32 v70, v133, v50, vcc
	v_cndmask_b32_e32 v69, -1, v49, vcc
	v_lshrrev_b64 v[69:70], s88, v[69:70]
	; wave barrier
	v_and_b32_e32 v69, s97, v69
	v_mad_u32_u24 v4, v69, 20, v172
	ds_read_b32 v183, v4 offset:1040
	v_and_b32_e32 v4, 1, v69
	v_add_co_u32_e32 v70, vcc, -1, v4
	v_addc_co_u32_e64 v72, s[38:39], 0, -1, vcc
	v_cmp_ne_u32_e32 vcc, 0, v4
	v_xor_b32_e32 v4, vcc_hi, v72
	v_and_b32_e32 v72, exec_hi, v4
	v_lshlrev_b32_e32 v4, 30, v69
	v_xor_b32_e32 v70, vcc_lo, v70
	v_cmp_gt_i64_e32 vcc, 0, v[3:4]
	v_not_b32_e32 v4, v4
	v_ashrrev_i32_e32 v4, 31, v4
	v_and_b32_e32 v70, exec_lo, v70
	v_xor_b32_e32 v185, vcc_hi, v4
	v_xor_b32_e32 v4, vcc_lo, v4
	v_and_b32_e32 v70, v70, v4
	v_lshlrev_b32_e32 v4, 29, v69
	v_cmp_gt_i64_e32 vcc, 0, v[3:4]
	v_not_b32_e32 v4, v4
	v_ashrrev_i32_e32 v4, 31, v4
	v_and_b32_e32 v72, v72, v185
	v_xor_b32_e32 v185, vcc_hi, v4
	v_xor_b32_e32 v4, vcc_lo, v4
	v_and_b32_e32 v70, v70, v4
	v_lshlrev_b32_e32 v4, 28, v69
	v_cmp_gt_i64_e32 vcc, 0, v[3:4]
	v_not_b32_e32 v4, v4
	v_ashrrev_i32_e32 v4, 31, v4
	v_and_b32_e32 v72, v72, v185
	;; [unrolled: 8-line block ×5, first 2 shown]
	v_xor_b32_e32 v185, vcc_hi, v4
	v_xor_b32_e32 v4, vcc_lo, v4
	v_and_b32_e32 v72, v72, v185
	v_and_b32_e32 v185, v70, v4
	v_lshlrev_b32_e32 v4, 24, v69
	v_cmp_gt_i64_e32 vcc, 0, v[3:4]
	v_not_b32_e32 v4, v4
	v_ashrrev_i32_e32 v4, 31, v4
	v_mul_u32_u24_e32 v71, 20, v69
	v_xor_b32_e32 v69, vcc_hi, v4
	v_xor_b32_e32 v4, vcc_lo, v4
	v_and_b32_e32 v70, v72, v69
	v_and_b32_e32 v69, v185, v4
	v_mbcnt_lo_u32_b32 v4, v69, 0
	v_mbcnt_hi_u32_b32 v185, v70, v4
	v_cmp_ne_u64_e32 vcc, 0, v[69:70]
	v_cmp_eq_u32_e64 s[38:39], 0, v185
	s_and_b64 s[40:41], vcc, s[38:39]
	v_add_u32_e32 v187, v172, v71
	; wave barrier
	s_and_saveexec_b64 s[38:39], s[40:41]
	s_cbranch_execz .LBB1123_432
; %bb.431:                              ;   in Loop: Header=BB1123_388 Depth=2
	v_bcnt_u32_b32 v4, v69, 0
	v_bcnt_u32_b32 v4, v70, v4
	s_waitcnt lgkmcnt(0)
	v_add_u32_e32 v4, v183, v4
	ds_write_b32 v187, v4 offset:1040
.LBB1123_432:                           ;   in Loop: Header=BB1123_388 Depth=2
	s_or_b64 exec, exec, s[38:39]
	v_cmp_gt_i64_e32 vcc, 0, v[53:54]
	v_ashrrev_i32_e32 v69, 31, v54
	v_cndmask_b32_e64 v4, v133, 0, vcc
	v_not_b32_e32 v69, v69
	v_xor_b32_e32 v54, v4, v54
	v_xor_b32_e32 v53, v69, v53
	v_cmp_ne_u64_e32 vcc, s[72:73], v[53:54]
	v_cndmask_b32_e32 v70, v133, v54, vcc
	v_cndmask_b32_e32 v69, -1, v53, vcc
	v_lshrrev_b64 v[69:70], s88, v[69:70]
	; wave barrier
	v_and_b32_e32 v69, s97, v69
	v_mad_u32_u24 v4, v69, 20, v172
	ds_read_b32 v186, v4 offset:1040
	v_and_b32_e32 v4, 1, v69
	v_add_co_u32_e32 v70, vcc, -1, v4
	v_addc_co_u32_e64 v72, s[38:39], 0, -1, vcc
	v_cmp_ne_u32_e32 vcc, 0, v4
	v_xor_b32_e32 v4, vcc_hi, v72
	v_and_b32_e32 v72, exec_hi, v4
	v_lshlrev_b32_e32 v4, 30, v69
	v_xor_b32_e32 v70, vcc_lo, v70
	v_cmp_gt_i64_e32 vcc, 0, v[3:4]
	v_not_b32_e32 v4, v4
	v_ashrrev_i32_e32 v4, 31, v4
	v_and_b32_e32 v70, exec_lo, v70
	v_xor_b32_e32 v188, vcc_hi, v4
	v_xor_b32_e32 v4, vcc_lo, v4
	v_and_b32_e32 v70, v70, v4
	v_lshlrev_b32_e32 v4, 29, v69
	v_cmp_gt_i64_e32 vcc, 0, v[3:4]
	v_not_b32_e32 v4, v4
	v_ashrrev_i32_e32 v4, 31, v4
	v_and_b32_e32 v72, v72, v188
	v_xor_b32_e32 v188, vcc_hi, v4
	v_xor_b32_e32 v4, vcc_lo, v4
	v_and_b32_e32 v70, v70, v4
	v_lshlrev_b32_e32 v4, 28, v69
	v_cmp_gt_i64_e32 vcc, 0, v[3:4]
	v_not_b32_e32 v4, v4
	v_ashrrev_i32_e32 v4, 31, v4
	v_and_b32_e32 v72, v72, v188
	;; [unrolled: 8-line block ×5, first 2 shown]
	v_xor_b32_e32 v188, vcc_hi, v4
	v_xor_b32_e32 v4, vcc_lo, v4
	v_and_b32_e32 v72, v72, v188
	v_and_b32_e32 v188, v70, v4
	v_lshlrev_b32_e32 v4, 24, v69
	v_cmp_gt_i64_e32 vcc, 0, v[3:4]
	v_not_b32_e32 v4, v4
	v_ashrrev_i32_e32 v4, 31, v4
	v_mul_u32_u24_e32 v71, 20, v69
	v_xor_b32_e32 v69, vcc_hi, v4
	v_xor_b32_e32 v4, vcc_lo, v4
	v_and_b32_e32 v70, v72, v69
	v_and_b32_e32 v69, v188, v4
	v_mbcnt_lo_u32_b32 v4, v69, 0
	v_mbcnt_hi_u32_b32 v188, v70, v4
	v_cmp_ne_u64_e32 vcc, 0, v[69:70]
	v_cmp_eq_u32_e64 s[38:39], 0, v188
	s_and_b64 s[40:41], vcc, s[38:39]
	v_add_u32_e32 v190, v172, v71
	; wave barrier
	s_and_saveexec_b64 s[38:39], s[40:41]
	s_cbranch_execz .LBB1123_434
; %bb.433:                              ;   in Loop: Header=BB1123_388 Depth=2
	v_bcnt_u32_b32 v4, v69, 0
	v_bcnt_u32_b32 v4, v70, v4
	s_waitcnt lgkmcnt(0)
	v_add_u32_e32 v4, v186, v4
	ds_write_b32 v190, v4 offset:1040
.LBB1123_434:                           ;   in Loop: Header=BB1123_388 Depth=2
	s_or_b64 exec, exec, s[38:39]
	v_cmp_gt_i64_e32 vcc, 0, v[57:58]
	v_ashrrev_i32_e32 v69, 31, v58
	v_cndmask_b32_e64 v4, v133, 0, vcc
	v_not_b32_e32 v69, v69
	v_xor_b32_e32 v58, v4, v58
	v_xor_b32_e32 v57, v69, v57
	v_cmp_ne_u64_e32 vcc, s[72:73], v[57:58]
	v_cndmask_b32_e32 v70, v133, v58, vcc
	v_cndmask_b32_e32 v69, -1, v57, vcc
	v_lshrrev_b64 v[69:70], s88, v[69:70]
	; wave barrier
	v_and_b32_e32 v69, s97, v69
	v_mad_u32_u24 v4, v69, 20, v172
	ds_read_b32 v189, v4 offset:1040
	v_and_b32_e32 v4, 1, v69
	v_add_co_u32_e32 v70, vcc, -1, v4
	v_addc_co_u32_e64 v72, s[38:39], 0, -1, vcc
	v_cmp_ne_u32_e32 vcc, 0, v4
	v_xor_b32_e32 v4, vcc_hi, v72
	v_and_b32_e32 v72, exec_hi, v4
	v_lshlrev_b32_e32 v4, 30, v69
	v_xor_b32_e32 v70, vcc_lo, v70
	v_cmp_gt_i64_e32 vcc, 0, v[3:4]
	v_not_b32_e32 v4, v4
	v_ashrrev_i32_e32 v4, 31, v4
	v_and_b32_e32 v70, exec_lo, v70
	v_xor_b32_e32 v191, vcc_hi, v4
	v_xor_b32_e32 v4, vcc_lo, v4
	v_and_b32_e32 v70, v70, v4
	v_lshlrev_b32_e32 v4, 29, v69
	v_cmp_gt_i64_e32 vcc, 0, v[3:4]
	v_not_b32_e32 v4, v4
	v_ashrrev_i32_e32 v4, 31, v4
	v_and_b32_e32 v72, v72, v191
	v_xor_b32_e32 v191, vcc_hi, v4
	v_xor_b32_e32 v4, vcc_lo, v4
	v_and_b32_e32 v70, v70, v4
	v_lshlrev_b32_e32 v4, 28, v69
	v_cmp_gt_i64_e32 vcc, 0, v[3:4]
	v_not_b32_e32 v4, v4
	v_ashrrev_i32_e32 v4, 31, v4
	v_and_b32_e32 v72, v72, v191
	v_xor_b32_e32 v191, vcc_hi, v4
	v_xor_b32_e32 v4, vcc_lo, v4
	v_and_b32_e32 v70, v70, v4
	v_lshlrev_b32_e32 v4, 27, v69
	v_cmp_gt_i64_e32 vcc, 0, v[3:4]
	v_not_b32_e32 v4, v4
	v_ashrrev_i32_e32 v4, 31, v4
	v_and_b32_e32 v72, v72, v191
	v_xor_b32_e32 v191, vcc_hi, v4
	v_xor_b32_e32 v4, vcc_lo, v4
	v_and_b32_e32 v70, v70, v4
	v_lshlrev_b32_e32 v4, 26, v69
	v_cmp_gt_i64_e32 vcc, 0, v[3:4]
	v_not_b32_e32 v4, v4
	v_ashrrev_i32_e32 v4, 31, v4
	v_and_b32_e32 v72, v72, v191
	v_xor_b32_e32 v191, vcc_hi, v4
	v_xor_b32_e32 v4, vcc_lo, v4
	v_and_b32_e32 v70, v70, v4
	v_lshlrev_b32_e32 v4, 25, v69
	v_cmp_gt_i64_e32 vcc, 0, v[3:4]
	v_not_b32_e32 v4, v4
	v_ashrrev_i32_e32 v4, 31, v4
	v_and_b32_e32 v72, v72, v191
	v_xor_b32_e32 v191, vcc_hi, v4
	v_xor_b32_e32 v4, vcc_lo, v4
	v_and_b32_e32 v72, v72, v191
	v_and_b32_e32 v191, v70, v4
	v_lshlrev_b32_e32 v4, 24, v69
	v_cmp_gt_i64_e32 vcc, 0, v[3:4]
	v_not_b32_e32 v4, v4
	v_ashrrev_i32_e32 v4, 31, v4
	v_mul_u32_u24_e32 v71, 20, v69
	v_xor_b32_e32 v69, vcc_hi, v4
	v_xor_b32_e32 v4, vcc_lo, v4
	v_and_b32_e32 v70, v72, v69
	v_and_b32_e32 v69, v191, v4
	v_mbcnt_lo_u32_b32 v4, v69, 0
	v_mbcnt_hi_u32_b32 v191, v70, v4
	v_cmp_ne_u64_e32 vcc, 0, v[69:70]
	v_cmp_eq_u32_e64 s[38:39], 0, v191
	s_and_b64 s[40:41], vcc, s[38:39]
	v_add_u32_e32 v193, v172, v71
	; wave barrier
	s_and_saveexec_b64 s[38:39], s[40:41]
	s_cbranch_execz .LBB1123_436
; %bb.435:                              ;   in Loop: Header=BB1123_388 Depth=2
	v_bcnt_u32_b32 v4, v69, 0
	v_bcnt_u32_b32 v4, v70, v4
	s_waitcnt lgkmcnt(0)
	v_add_u32_e32 v4, v189, v4
	ds_write_b32 v193, v4 offset:1040
.LBB1123_436:                           ;   in Loop: Header=BB1123_388 Depth=2
	s_or_b64 exec, exec, s[38:39]
	v_cmp_gt_i64_e32 vcc, 0, v[63:64]
	v_ashrrev_i32_e32 v69, 31, v64
	v_cndmask_b32_e64 v4, v133, 0, vcc
	v_not_b32_e32 v69, v69
	v_xor_b32_e32 v64, v4, v64
	v_xor_b32_e32 v63, v69, v63
	v_cmp_ne_u64_e32 vcc, s[72:73], v[63:64]
	v_cndmask_b32_e32 v70, v133, v64, vcc
	v_cndmask_b32_e32 v69, -1, v63, vcc
	v_lshrrev_b64 v[69:70], s88, v[69:70]
	; wave barrier
	v_and_b32_e32 v69, s97, v69
	v_mad_u32_u24 v4, v69, 20, v172
	ds_read_b32 v192, v4 offset:1040
	v_and_b32_e32 v4, 1, v69
	v_add_co_u32_e32 v70, vcc, -1, v4
	v_addc_co_u32_e64 v72, s[38:39], 0, -1, vcc
	v_cmp_ne_u32_e32 vcc, 0, v4
	v_xor_b32_e32 v4, vcc_hi, v72
	v_and_b32_e32 v72, exec_hi, v4
	v_lshlrev_b32_e32 v4, 30, v69
	v_xor_b32_e32 v70, vcc_lo, v70
	v_cmp_gt_i64_e32 vcc, 0, v[3:4]
	v_not_b32_e32 v4, v4
	v_ashrrev_i32_e32 v4, 31, v4
	v_and_b32_e32 v70, exec_lo, v70
	v_xor_b32_e32 v194, vcc_hi, v4
	v_xor_b32_e32 v4, vcc_lo, v4
	v_and_b32_e32 v70, v70, v4
	v_lshlrev_b32_e32 v4, 29, v69
	v_cmp_gt_i64_e32 vcc, 0, v[3:4]
	v_not_b32_e32 v4, v4
	v_ashrrev_i32_e32 v4, 31, v4
	v_and_b32_e32 v72, v72, v194
	v_xor_b32_e32 v194, vcc_hi, v4
	v_xor_b32_e32 v4, vcc_lo, v4
	v_and_b32_e32 v70, v70, v4
	v_lshlrev_b32_e32 v4, 28, v69
	v_cmp_gt_i64_e32 vcc, 0, v[3:4]
	v_not_b32_e32 v4, v4
	v_ashrrev_i32_e32 v4, 31, v4
	v_and_b32_e32 v72, v72, v194
	;; [unrolled: 8-line block ×5, first 2 shown]
	v_xor_b32_e32 v194, vcc_hi, v4
	v_xor_b32_e32 v4, vcc_lo, v4
	v_and_b32_e32 v72, v72, v194
	v_and_b32_e32 v194, v70, v4
	v_lshlrev_b32_e32 v4, 24, v69
	v_cmp_gt_i64_e32 vcc, 0, v[3:4]
	v_not_b32_e32 v4, v4
	v_ashrrev_i32_e32 v4, 31, v4
	v_mul_u32_u24_e32 v71, 20, v69
	v_xor_b32_e32 v69, vcc_hi, v4
	v_xor_b32_e32 v4, vcc_lo, v4
	v_and_b32_e32 v70, v72, v69
	v_and_b32_e32 v69, v194, v4
	v_mbcnt_lo_u32_b32 v4, v69, 0
	v_mbcnt_hi_u32_b32 v194, v70, v4
	v_cmp_ne_u64_e32 vcc, 0, v[69:70]
	v_cmp_eq_u32_e64 s[38:39], 0, v194
	s_and_b64 s[40:41], vcc, s[38:39]
	v_add_u32_e32 v196, v172, v71
	; wave barrier
	s_and_saveexec_b64 s[38:39], s[40:41]
	s_cbranch_execz .LBB1123_438
; %bb.437:                              ;   in Loop: Header=BB1123_388 Depth=2
	v_bcnt_u32_b32 v4, v69, 0
	v_bcnt_u32_b32 v4, v70, v4
	s_waitcnt lgkmcnt(0)
	v_add_u32_e32 v4, v192, v4
	ds_write_b32 v196, v4 offset:1040
.LBB1123_438:                           ;   in Loop: Header=BB1123_388 Depth=2
	s_or_b64 exec, exec, s[38:39]
	v_cmp_gt_i64_e32 vcc, 0, v[65:66]
	v_ashrrev_i32_e32 v69, 31, v66
	v_cndmask_b32_e64 v4, v133, 0, vcc
	v_not_b32_e32 v69, v69
	v_xor_b32_e32 v66, v4, v66
	v_xor_b32_e32 v65, v69, v65
	v_cmp_ne_u64_e32 vcc, s[72:73], v[65:66]
	v_cndmask_b32_e32 v70, v133, v66, vcc
	v_cndmask_b32_e32 v69, -1, v65, vcc
	v_lshrrev_b64 v[69:70], s88, v[69:70]
	; wave barrier
	v_and_b32_e32 v69, s97, v69
	v_mad_u32_u24 v4, v69, 20, v172
	ds_read_b32 v195, v4 offset:1040
	v_and_b32_e32 v4, 1, v69
	v_add_co_u32_e32 v70, vcc, -1, v4
	v_addc_co_u32_e64 v72, s[38:39], 0, -1, vcc
	v_cmp_ne_u32_e32 vcc, 0, v4
	v_xor_b32_e32 v4, vcc_hi, v72
	v_and_b32_e32 v72, exec_hi, v4
	v_lshlrev_b32_e32 v4, 30, v69
	v_xor_b32_e32 v70, vcc_lo, v70
	v_cmp_gt_i64_e32 vcc, 0, v[3:4]
	v_not_b32_e32 v4, v4
	v_ashrrev_i32_e32 v4, 31, v4
	v_and_b32_e32 v70, exec_lo, v70
	v_xor_b32_e32 v197, vcc_hi, v4
	v_xor_b32_e32 v4, vcc_lo, v4
	v_and_b32_e32 v70, v70, v4
	v_lshlrev_b32_e32 v4, 29, v69
	v_cmp_gt_i64_e32 vcc, 0, v[3:4]
	v_not_b32_e32 v4, v4
	v_ashrrev_i32_e32 v4, 31, v4
	v_and_b32_e32 v72, v72, v197
	v_xor_b32_e32 v197, vcc_hi, v4
	v_xor_b32_e32 v4, vcc_lo, v4
	v_and_b32_e32 v70, v70, v4
	v_lshlrev_b32_e32 v4, 28, v69
	v_cmp_gt_i64_e32 vcc, 0, v[3:4]
	v_not_b32_e32 v4, v4
	v_ashrrev_i32_e32 v4, 31, v4
	v_and_b32_e32 v72, v72, v197
	;; [unrolled: 8-line block ×5, first 2 shown]
	v_xor_b32_e32 v197, vcc_hi, v4
	v_xor_b32_e32 v4, vcc_lo, v4
	v_and_b32_e32 v72, v72, v197
	v_and_b32_e32 v197, v70, v4
	v_lshlrev_b32_e32 v4, 24, v69
	v_cmp_gt_i64_e32 vcc, 0, v[3:4]
	v_not_b32_e32 v4, v4
	v_ashrrev_i32_e32 v4, 31, v4
	v_mul_u32_u24_e32 v71, 20, v69
	v_xor_b32_e32 v69, vcc_hi, v4
	v_xor_b32_e32 v4, vcc_lo, v4
	v_and_b32_e32 v70, v72, v69
	v_and_b32_e32 v69, v197, v4
	v_mbcnt_lo_u32_b32 v4, v69, 0
	v_mbcnt_hi_u32_b32 v197, v70, v4
	v_cmp_ne_u64_e32 vcc, 0, v[69:70]
	v_cmp_eq_u32_e64 s[38:39], 0, v197
	s_and_b64 s[40:41], vcc, s[38:39]
	v_add_u32_e32 v199, v172, v71
	; wave barrier
	s_and_saveexec_b64 s[38:39], s[40:41]
	s_cbranch_execz .LBB1123_440
; %bb.439:                              ;   in Loop: Header=BB1123_388 Depth=2
	v_bcnt_u32_b32 v4, v69, 0
	v_bcnt_u32_b32 v4, v70, v4
	s_waitcnt lgkmcnt(0)
	v_add_u32_e32 v4, v195, v4
	ds_write_b32 v199, v4 offset:1040
.LBB1123_440:                           ;   in Loop: Header=BB1123_388 Depth=2
	s_or_b64 exec, exec, s[38:39]
	v_cmp_gt_i64_e32 vcc, 0, v[67:68]
	v_ashrrev_i32_e32 v69, 31, v68
	v_cndmask_b32_e64 v4, v133, 0, vcc
	v_not_b32_e32 v69, v69
	v_xor_b32_e32 v68, v4, v68
	v_xor_b32_e32 v67, v69, v67
	v_cmp_ne_u64_e32 vcc, s[72:73], v[67:68]
	v_cndmask_b32_e32 v70, v133, v68, vcc
	v_cndmask_b32_e32 v69, -1, v67, vcc
	v_lshrrev_b64 v[69:70], s88, v[69:70]
	; wave barrier
	v_and_b32_e32 v69, s97, v69
	v_mad_u32_u24 v4, v69, 20, v172
	ds_read_b32 v198, v4 offset:1040
	v_and_b32_e32 v4, 1, v69
	v_add_co_u32_e32 v70, vcc, -1, v4
	v_addc_co_u32_e64 v72, s[38:39], 0, -1, vcc
	v_cmp_ne_u32_e32 vcc, 0, v4
	v_xor_b32_e32 v4, vcc_hi, v72
	v_and_b32_e32 v72, exec_hi, v4
	v_lshlrev_b32_e32 v4, 30, v69
	v_xor_b32_e32 v70, vcc_lo, v70
	v_cmp_gt_i64_e32 vcc, 0, v[3:4]
	v_not_b32_e32 v4, v4
	v_ashrrev_i32_e32 v4, 31, v4
	v_and_b32_e32 v70, exec_lo, v70
	v_xor_b32_e32 v200, vcc_hi, v4
	v_xor_b32_e32 v4, vcc_lo, v4
	v_and_b32_e32 v70, v70, v4
	v_lshlrev_b32_e32 v4, 29, v69
	v_cmp_gt_i64_e32 vcc, 0, v[3:4]
	v_not_b32_e32 v4, v4
	v_ashrrev_i32_e32 v4, 31, v4
	v_and_b32_e32 v72, v72, v200
	v_xor_b32_e32 v200, vcc_hi, v4
	v_xor_b32_e32 v4, vcc_lo, v4
	v_and_b32_e32 v70, v70, v4
	v_lshlrev_b32_e32 v4, 28, v69
	v_cmp_gt_i64_e32 vcc, 0, v[3:4]
	v_not_b32_e32 v4, v4
	v_ashrrev_i32_e32 v4, 31, v4
	v_and_b32_e32 v72, v72, v200
	;; [unrolled: 8-line block ×5, first 2 shown]
	v_xor_b32_e32 v200, vcc_hi, v4
	v_xor_b32_e32 v4, vcc_lo, v4
	v_and_b32_e32 v72, v72, v200
	v_and_b32_e32 v200, v70, v4
	v_lshlrev_b32_e32 v4, 24, v69
	v_cmp_gt_i64_e32 vcc, 0, v[3:4]
	v_not_b32_e32 v4, v4
	v_ashrrev_i32_e32 v4, 31, v4
	v_mul_u32_u24_e32 v71, 20, v69
	v_xor_b32_e32 v69, vcc_hi, v4
	v_xor_b32_e32 v4, vcc_lo, v4
	v_and_b32_e32 v70, v72, v69
	v_and_b32_e32 v69, v200, v4
	v_mbcnt_lo_u32_b32 v4, v69, 0
	v_mbcnt_hi_u32_b32 v200, v70, v4
	v_cmp_ne_u64_e32 vcc, 0, v[69:70]
	v_cmp_eq_u32_e64 s[38:39], 0, v200
	s_and_b64 s[40:41], vcc, s[38:39]
	v_add_u32_e32 v202, v172, v71
	; wave barrier
	s_and_saveexec_b64 s[38:39], s[40:41]
	s_cbranch_execz .LBB1123_442
; %bb.441:                              ;   in Loop: Header=BB1123_388 Depth=2
	v_bcnt_u32_b32 v4, v69, 0
	v_bcnt_u32_b32 v4, v70, v4
	s_waitcnt lgkmcnt(0)
	v_add_u32_e32 v4, v198, v4
	ds_write_b32 v202, v4 offset:1040
.LBB1123_442:                           ;   in Loop: Header=BB1123_388 Depth=2
	s_or_b64 exec, exec, s[38:39]
	v_cmp_gt_i64_e32 vcc, 0, v[61:62]
	v_ashrrev_i32_e32 v69, 31, v62
	v_cndmask_b32_e64 v4, v133, 0, vcc
	v_not_b32_e32 v69, v69
	v_xor_b32_e32 v62, v4, v62
	v_xor_b32_e32 v61, v69, v61
	v_cmp_ne_u64_e32 vcc, s[72:73], v[61:62]
	v_cndmask_b32_e32 v70, v133, v62, vcc
	v_cndmask_b32_e32 v69, -1, v61, vcc
	v_lshrrev_b64 v[69:70], s88, v[69:70]
	; wave barrier
	v_and_b32_e32 v69, s97, v69
	v_mad_u32_u24 v4, v69, 20, v172
	ds_read_b32 v201, v4 offset:1040
	v_and_b32_e32 v4, 1, v69
	v_add_co_u32_e32 v70, vcc, -1, v4
	v_addc_co_u32_e64 v72, s[38:39], 0, -1, vcc
	v_cmp_ne_u32_e32 vcc, 0, v4
	v_xor_b32_e32 v4, vcc_hi, v72
	v_and_b32_e32 v72, exec_hi, v4
	v_lshlrev_b32_e32 v4, 30, v69
	v_xor_b32_e32 v70, vcc_lo, v70
	v_cmp_gt_i64_e32 vcc, 0, v[3:4]
	v_not_b32_e32 v4, v4
	v_ashrrev_i32_e32 v4, 31, v4
	v_and_b32_e32 v70, exec_lo, v70
	v_xor_b32_e32 v203, vcc_hi, v4
	v_xor_b32_e32 v4, vcc_lo, v4
	v_and_b32_e32 v70, v70, v4
	v_lshlrev_b32_e32 v4, 29, v69
	v_cmp_gt_i64_e32 vcc, 0, v[3:4]
	v_not_b32_e32 v4, v4
	v_ashrrev_i32_e32 v4, 31, v4
	v_and_b32_e32 v72, v72, v203
	v_xor_b32_e32 v203, vcc_hi, v4
	v_xor_b32_e32 v4, vcc_lo, v4
	v_and_b32_e32 v70, v70, v4
	v_lshlrev_b32_e32 v4, 28, v69
	v_cmp_gt_i64_e32 vcc, 0, v[3:4]
	v_not_b32_e32 v4, v4
	v_ashrrev_i32_e32 v4, 31, v4
	v_and_b32_e32 v72, v72, v203
	;; [unrolled: 8-line block ×5, first 2 shown]
	v_xor_b32_e32 v203, vcc_hi, v4
	v_xor_b32_e32 v4, vcc_lo, v4
	v_and_b32_e32 v72, v72, v203
	v_and_b32_e32 v203, v70, v4
	v_lshlrev_b32_e32 v4, 24, v69
	v_cmp_gt_i64_e32 vcc, 0, v[3:4]
	v_not_b32_e32 v4, v4
	v_ashrrev_i32_e32 v4, 31, v4
	v_mul_u32_u24_e32 v71, 20, v69
	v_xor_b32_e32 v69, vcc_hi, v4
	v_xor_b32_e32 v4, vcc_lo, v4
	v_and_b32_e32 v70, v72, v69
	v_and_b32_e32 v69, v203, v4
	v_mbcnt_lo_u32_b32 v4, v69, 0
	v_mbcnt_hi_u32_b32 v203, v70, v4
	v_cmp_ne_u64_e32 vcc, 0, v[69:70]
	v_cmp_eq_u32_e64 s[38:39], 0, v203
	s_and_b64 s[40:41], vcc, s[38:39]
	v_add_u32_e32 v205, v172, v71
	; wave barrier
	s_and_saveexec_b64 s[38:39], s[40:41]
	s_cbranch_execz .LBB1123_444
; %bb.443:                              ;   in Loop: Header=BB1123_388 Depth=2
	v_bcnt_u32_b32 v4, v69, 0
	v_bcnt_u32_b32 v4, v70, v4
	s_waitcnt lgkmcnt(0)
	v_add_u32_e32 v4, v201, v4
	ds_write_b32 v205, v4 offset:1040
.LBB1123_444:                           ;   in Loop: Header=BB1123_388 Depth=2
	s_or_b64 exec, exec, s[38:39]
	v_cmp_gt_i64_e32 vcc, 0, v[59:60]
	v_ashrrev_i32_e32 v69, 31, v60
	v_cndmask_b32_e64 v4, v133, 0, vcc
	v_not_b32_e32 v69, v69
	v_xor_b32_e32 v60, v4, v60
	v_xor_b32_e32 v59, v69, v59
	v_cmp_ne_u64_e32 vcc, s[72:73], v[59:60]
	v_cndmask_b32_e32 v70, v133, v60, vcc
	v_cndmask_b32_e32 v69, -1, v59, vcc
	v_lshrrev_b64 v[69:70], s88, v[69:70]
	; wave barrier
	v_and_b32_e32 v69, s97, v69
	v_mad_u32_u24 v4, v69, 20, v172
	ds_read_b32 v204, v4 offset:1040
	v_and_b32_e32 v4, 1, v69
	v_add_co_u32_e32 v70, vcc, -1, v4
	v_addc_co_u32_e64 v72, s[38:39], 0, -1, vcc
	v_cmp_ne_u32_e32 vcc, 0, v4
	v_xor_b32_e32 v4, vcc_hi, v72
	v_and_b32_e32 v72, exec_hi, v4
	v_lshlrev_b32_e32 v4, 30, v69
	v_xor_b32_e32 v70, vcc_lo, v70
	v_cmp_gt_i64_e32 vcc, 0, v[3:4]
	v_not_b32_e32 v4, v4
	v_ashrrev_i32_e32 v4, 31, v4
	v_and_b32_e32 v70, exec_lo, v70
	v_xor_b32_e32 v206, vcc_hi, v4
	v_xor_b32_e32 v4, vcc_lo, v4
	v_and_b32_e32 v70, v70, v4
	v_lshlrev_b32_e32 v4, 29, v69
	v_cmp_gt_i64_e32 vcc, 0, v[3:4]
	v_not_b32_e32 v4, v4
	v_ashrrev_i32_e32 v4, 31, v4
	v_and_b32_e32 v72, v72, v206
	v_xor_b32_e32 v206, vcc_hi, v4
	v_xor_b32_e32 v4, vcc_lo, v4
	v_and_b32_e32 v70, v70, v4
	v_lshlrev_b32_e32 v4, 28, v69
	v_cmp_gt_i64_e32 vcc, 0, v[3:4]
	v_not_b32_e32 v4, v4
	v_ashrrev_i32_e32 v4, 31, v4
	v_and_b32_e32 v72, v72, v206
	;; [unrolled: 8-line block ×5, first 2 shown]
	v_xor_b32_e32 v206, vcc_hi, v4
	v_xor_b32_e32 v4, vcc_lo, v4
	v_and_b32_e32 v72, v72, v206
	v_and_b32_e32 v206, v70, v4
	v_lshlrev_b32_e32 v4, 24, v69
	v_cmp_gt_i64_e32 vcc, 0, v[3:4]
	v_not_b32_e32 v4, v4
	v_ashrrev_i32_e32 v4, 31, v4
	v_mul_u32_u24_e32 v71, 20, v69
	v_xor_b32_e32 v69, vcc_hi, v4
	v_xor_b32_e32 v4, vcc_lo, v4
	v_and_b32_e32 v70, v72, v69
	v_and_b32_e32 v69, v206, v4
	v_mbcnt_lo_u32_b32 v4, v69, 0
	v_mbcnt_hi_u32_b32 v206, v70, v4
	v_cmp_ne_u64_e32 vcc, 0, v[69:70]
	v_cmp_eq_u32_e64 s[38:39], 0, v206
	s_and_b64 s[40:41], vcc, s[38:39]
	v_add_u32_e32 v208, v172, v71
	; wave barrier
	s_and_saveexec_b64 s[38:39], s[40:41]
	s_cbranch_execz .LBB1123_446
; %bb.445:                              ;   in Loop: Header=BB1123_388 Depth=2
	v_bcnt_u32_b32 v4, v69, 0
	v_bcnt_u32_b32 v4, v70, v4
	s_waitcnt lgkmcnt(0)
	v_add_u32_e32 v4, v204, v4
	ds_write_b32 v208, v4 offset:1040
.LBB1123_446:                           ;   in Loop: Header=BB1123_388 Depth=2
	s_or_b64 exec, exec, s[38:39]
	v_cmp_gt_i64_e32 vcc, 0, v[55:56]
	v_ashrrev_i32_e32 v69, 31, v56
	v_cndmask_b32_e64 v4, v133, 0, vcc
	v_not_b32_e32 v69, v69
	v_xor_b32_e32 v56, v4, v56
	v_xor_b32_e32 v55, v69, v55
	v_cmp_ne_u64_e32 vcc, s[72:73], v[55:56]
	v_cndmask_b32_e32 v70, v133, v56, vcc
	v_cndmask_b32_e32 v69, -1, v55, vcc
	v_lshrrev_b64 v[69:70], s88, v[69:70]
	; wave barrier
	v_and_b32_e32 v69, s97, v69
	v_mad_u32_u24 v4, v69, 20, v172
	ds_read_b32 v207, v4 offset:1040
	v_and_b32_e32 v4, 1, v69
	v_add_co_u32_e32 v70, vcc, -1, v4
	v_addc_co_u32_e64 v72, s[38:39], 0, -1, vcc
	v_cmp_ne_u32_e32 vcc, 0, v4
	v_xor_b32_e32 v4, vcc_hi, v72
	v_and_b32_e32 v72, exec_hi, v4
	v_lshlrev_b32_e32 v4, 30, v69
	v_xor_b32_e32 v70, vcc_lo, v70
	v_cmp_gt_i64_e32 vcc, 0, v[3:4]
	v_not_b32_e32 v4, v4
	v_ashrrev_i32_e32 v4, 31, v4
	v_and_b32_e32 v70, exec_lo, v70
	v_xor_b32_e32 v209, vcc_hi, v4
	v_xor_b32_e32 v4, vcc_lo, v4
	v_and_b32_e32 v70, v70, v4
	v_lshlrev_b32_e32 v4, 29, v69
	v_cmp_gt_i64_e32 vcc, 0, v[3:4]
	v_not_b32_e32 v4, v4
	v_ashrrev_i32_e32 v4, 31, v4
	v_and_b32_e32 v72, v72, v209
	v_xor_b32_e32 v209, vcc_hi, v4
	v_xor_b32_e32 v4, vcc_lo, v4
	v_and_b32_e32 v70, v70, v4
	v_lshlrev_b32_e32 v4, 28, v69
	v_cmp_gt_i64_e32 vcc, 0, v[3:4]
	v_not_b32_e32 v4, v4
	v_ashrrev_i32_e32 v4, 31, v4
	v_and_b32_e32 v72, v72, v209
	;; [unrolled: 8-line block ×5, first 2 shown]
	v_xor_b32_e32 v209, vcc_hi, v4
	v_xor_b32_e32 v4, vcc_lo, v4
	v_and_b32_e32 v72, v72, v209
	v_and_b32_e32 v209, v70, v4
	v_lshlrev_b32_e32 v4, 24, v69
	v_cmp_gt_i64_e32 vcc, 0, v[3:4]
	v_not_b32_e32 v4, v4
	v_ashrrev_i32_e32 v4, 31, v4
	v_mul_u32_u24_e32 v71, 20, v69
	v_xor_b32_e32 v69, vcc_hi, v4
	v_xor_b32_e32 v4, vcc_lo, v4
	v_and_b32_e32 v70, v72, v69
	v_and_b32_e32 v69, v209, v4
	v_mbcnt_lo_u32_b32 v4, v69, 0
	v_mbcnt_hi_u32_b32 v209, v70, v4
	v_cmp_ne_u64_e32 vcc, 0, v[69:70]
	v_cmp_eq_u32_e64 s[38:39], 0, v209
	s_and_b64 s[40:41], vcc, s[38:39]
	v_add_u32_e32 v211, v172, v71
	; wave barrier
	s_and_saveexec_b64 s[38:39], s[40:41]
	s_cbranch_execz .LBB1123_448
; %bb.447:                              ;   in Loop: Header=BB1123_388 Depth=2
	v_bcnt_u32_b32 v4, v69, 0
	v_bcnt_u32_b32 v4, v70, v4
	s_waitcnt lgkmcnt(0)
	v_add_u32_e32 v4, v207, v4
	ds_write_b32 v211, v4 offset:1040
.LBB1123_448:                           ;   in Loop: Header=BB1123_388 Depth=2
	s_or_b64 exec, exec, s[38:39]
	v_cmp_gt_i64_e32 vcc, 0, v[51:52]
	v_ashrrev_i32_e32 v69, 31, v52
	v_cndmask_b32_e64 v4, v133, 0, vcc
	v_not_b32_e32 v69, v69
	v_xor_b32_e32 v52, v4, v52
	v_xor_b32_e32 v51, v69, v51
	v_cmp_ne_u64_e32 vcc, s[72:73], v[51:52]
	v_cndmask_b32_e32 v70, v133, v52, vcc
	v_cndmask_b32_e32 v69, -1, v51, vcc
	v_lshrrev_b64 v[69:70], s88, v[69:70]
	; wave barrier
	v_and_b32_e32 v69, s97, v69
	v_mad_u32_u24 v4, v69, 20, v172
	ds_read_b32 v210, v4 offset:1040
	v_and_b32_e32 v4, 1, v69
	v_add_co_u32_e32 v70, vcc, -1, v4
	v_addc_co_u32_e64 v72, s[38:39], 0, -1, vcc
	v_cmp_ne_u32_e32 vcc, 0, v4
	v_xor_b32_e32 v4, vcc_hi, v72
	v_and_b32_e32 v72, exec_hi, v4
	v_lshlrev_b32_e32 v4, 30, v69
	v_xor_b32_e32 v70, vcc_lo, v70
	v_cmp_gt_i64_e32 vcc, 0, v[3:4]
	v_not_b32_e32 v4, v4
	v_ashrrev_i32_e32 v4, 31, v4
	v_and_b32_e32 v70, exec_lo, v70
	v_xor_b32_e32 v212, vcc_hi, v4
	v_xor_b32_e32 v4, vcc_lo, v4
	v_and_b32_e32 v70, v70, v4
	v_lshlrev_b32_e32 v4, 29, v69
	v_cmp_gt_i64_e32 vcc, 0, v[3:4]
	v_not_b32_e32 v4, v4
	v_ashrrev_i32_e32 v4, 31, v4
	v_and_b32_e32 v72, v72, v212
	v_xor_b32_e32 v212, vcc_hi, v4
	v_xor_b32_e32 v4, vcc_lo, v4
	v_and_b32_e32 v70, v70, v4
	v_lshlrev_b32_e32 v4, 28, v69
	v_cmp_gt_i64_e32 vcc, 0, v[3:4]
	v_not_b32_e32 v4, v4
	v_ashrrev_i32_e32 v4, 31, v4
	v_and_b32_e32 v72, v72, v212
	;; [unrolled: 8-line block ×5, first 2 shown]
	v_xor_b32_e32 v212, vcc_hi, v4
	v_xor_b32_e32 v4, vcc_lo, v4
	v_and_b32_e32 v72, v72, v212
	v_and_b32_e32 v212, v70, v4
	v_lshlrev_b32_e32 v4, 24, v69
	v_cmp_gt_i64_e32 vcc, 0, v[3:4]
	v_not_b32_e32 v4, v4
	v_ashrrev_i32_e32 v4, 31, v4
	v_mul_u32_u24_e32 v71, 20, v69
	v_xor_b32_e32 v69, vcc_hi, v4
	v_xor_b32_e32 v4, vcc_lo, v4
	v_and_b32_e32 v70, v72, v69
	v_and_b32_e32 v69, v212, v4
	v_mbcnt_lo_u32_b32 v4, v69, 0
	v_mbcnt_hi_u32_b32 v212, v70, v4
	v_cmp_ne_u64_e32 vcc, 0, v[69:70]
	v_cmp_eq_u32_e64 s[38:39], 0, v212
	s_and_b64 s[40:41], vcc, s[38:39]
	v_add_u32_e32 v214, v172, v71
	; wave barrier
	s_and_saveexec_b64 s[38:39], s[40:41]
	s_cbranch_execz .LBB1123_450
; %bb.449:                              ;   in Loop: Header=BB1123_388 Depth=2
	v_bcnt_u32_b32 v4, v69, 0
	v_bcnt_u32_b32 v4, v70, v4
	s_waitcnt lgkmcnt(0)
	v_add_u32_e32 v4, v210, v4
	ds_write_b32 v214, v4 offset:1040
.LBB1123_450:                           ;   in Loop: Header=BB1123_388 Depth=2
	s_or_b64 exec, exec, s[38:39]
	v_cmp_gt_i64_e32 vcc, 0, v[47:48]
	v_ashrrev_i32_e32 v69, 31, v48
	v_cndmask_b32_e64 v4, v133, 0, vcc
	v_not_b32_e32 v69, v69
	v_xor_b32_e32 v48, v4, v48
	v_xor_b32_e32 v47, v69, v47
	v_cmp_ne_u64_e32 vcc, s[72:73], v[47:48]
	v_cndmask_b32_e32 v70, v133, v48, vcc
	v_cndmask_b32_e32 v69, -1, v47, vcc
	v_lshrrev_b64 v[69:70], s88, v[69:70]
	; wave barrier
	v_and_b32_e32 v69, s97, v69
	v_mad_u32_u24 v4, v69, 20, v172
	ds_read_b32 v213, v4 offset:1040
	v_and_b32_e32 v4, 1, v69
	v_add_co_u32_e32 v70, vcc, -1, v4
	v_addc_co_u32_e64 v72, s[38:39], 0, -1, vcc
	v_cmp_ne_u32_e32 vcc, 0, v4
	v_xor_b32_e32 v4, vcc_hi, v72
	v_and_b32_e32 v72, exec_hi, v4
	v_lshlrev_b32_e32 v4, 30, v69
	v_xor_b32_e32 v70, vcc_lo, v70
	v_cmp_gt_i64_e32 vcc, 0, v[3:4]
	v_not_b32_e32 v4, v4
	v_ashrrev_i32_e32 v4, 31, v4
	v_and_b32_e32 v70, exec_lo, v70
	v_xor_b32_e32 v215, vcc_hi, v4
	v_xor_b32_e32 v4, vcc_lo, v4
	v_and_b32_e32 v70, v70, v4
	v_lshlrev_b32_e32 v4, 29, v69
	v_cmp_gt_i64_e32 vcc, 0, v[3:4]
	v_not_b32_e32 v4, v4
	v_ashrrev_i32_e32 v4, 31, v4
	v_and_b32_e32 v72, v72, v215
	v_xor_b32_e32 v215, vcc_hi, v4
	v_xor_b32_e32 v4, vcc_lo, v4
	v_and_b32_e32 v70, v70, v4
	v_lshlrev_b32_e32 v4, 28, v69
	v_cmp_gt_i64_e32 vcc, 0, v[3:4]
	v_not_b32_e32 v4, v4
	v_ashrrev_i32_e32 v4, 31, v4
	v_and_b32_e32 v72, v72, v215
	;; [unrolled: 8-line block ×5, first 2 shown]
	v_xor_b32_e32 v215, vcc_hi, v4
	v_xor_b32_e32 v4, vcc_lo, v4
	v_and_b32_e32 v72, v72, v215
	v_and_b32_e32 v215, v70, v4
	v_lshlrev_b32_e32 v4, 24, v69
	v_cmp_gt_i64_e32 vcc, 0, v[3:4]
	v_not_b32_e32 v4, v4
	v_ashrrev_i32_e32 v4, 31, v4
	v_mul_u32_u24_e32 v71, 20, v69
	v_xor_b32_e32 v69, vcc_hi, v4
	v_xor_b32_e32 v4, vcc_lo, v4
	v_and_b32_e32 v70, v72, v69
	v_and_b32_e32 v69, v215, v4
	v_mbcnt_lo_u32_b32 v4, v69, 0
	v_mbcnt_hi_u32_b32 v215, v70, v4
	v_cmp_ne_u64_e32 vcc, 0, v[69:70]
	v_cmp_eq_u32_e64 s[38:39], 0, v215
	s_and_b64 s[40:41], vcc, s[38:39]
	v_add_u32_e32 v217, v172, v71
	; wave barrier
	s_and_saveexec_b64 s[38:39], s[40:41]
	s_cbranch_execz .LBB1123_452
; %bb.451:                              ;   in Loop: Header=BB1123_388 Depth=2
	v_bcnt_u32_b32 v4, v69, 0
	v_bcnt_u32_b32 v4, v70, v4
	s_waitcnt lgkmcnt(0)
	v_add_u32_e32 v4, v213, v4
	ds_write_b32 v217, v4 offset:1040
.LBB1123_452:                           ;   in Loop: Header=BB1123_388 Depth=2
	s_or_b64 exec, exec, s[38:39]
	v_cmp_gt_i64_e32 vcc, 0, v[41:42]
	v_ashrrev_i32_e32 v69, 31, v42
	v_cndmask_b32_e64 v4, v133, 0, vcc
	v_not_b32_e32 v69, v69
	v_xor_b32_e32 v42, v4, v42
	v_xor_b32_e32 v41, v69, v41
	v_cmp_ne_u64_e32 vcc, s[72:73], v[41:42]
	v_cndmask_b32_e32 v70, v133, v42, vcc
	v_cndmask_b32_e32 v69, -1, v41, vcc
	v_lshrrev_b64 v[69:70], s88, v[69:70]
	; wave barrier
	v_and_b32_e32 v69, s97, v69
	v_mad_u32_u24 v4, v69, 20, v172
	ds_read_b32 v216, v4 offset:1040
	v_and_b32_e32 v4, 1, v69
	v_add_co_u32_e32 v70, vcc, -1, v4
	v_addc_co_u32_e64 v72, s[38:39], 0, -1, vcc
	v_cmp_ne_u32_e32 vcc, 0, v4
	v_xor_b32_e32 v4, vcc_hi, v72
	v_and_b32_e32 v72, exec_hi, v4
	v_lshlrev_b32_e32 v4, 30, v69
	v_xor_b32_e32 v70, vcc_lo, v70
	v_cmp_gt_i64_e32 vcc, 0, v[3:4]
	v_not_b32_e32 v4, v4
	v_ashrrev_i32_e32 v4, 31, v4
	v_and_b32_e32 v70, exec_lo, v70
	v_xor_b32_e32 v218, vcc_hi, v4
	v_xor_b32_e32 v4, vcc_lo, v4
	v_and_b32_e32 v70, v70, v4
	v_lshlrev_b32_e32 v4, 29, v69
	v_cmp_gt_i64_e32 vcc, 0, v[3:4]
	v_not_b32_e32 v4, v4
	v_ashrrev_i32_e32 v4, 31, v4
	v_and_b32_e32 v72, v72, v218
	v_xor_b32_e32 v218, vcc_hi, v4
	v_xor_b32_e32 v4, vcc_lo, v4
	v_and_b32_e32 v70, v70, v4
	v_lshlrev_b32_e32 v4, 28, v69
	v_cmp_gt_i64_e32 vcc, 0, v[3:4]
	v_not_b32_e32 v4, v4
	v_ashrrev_i32_e32 v4, 31, v4
	v_and_b32_e32 v72, v72, v218
	;; [unrolled: 8-line block ×5, first 2 shown]
	v_xor_b32_e32 v218, vcc_hi, v4
	v_xor_b32_e32 v4, vcc_lo, v4
	v_and_b32_e32 v72, v72, v218
	v_and_b32_e32 v218, v70, v4
	v_lshlrev_b32_e32 v4, 24, v69
	v_cmp_gt_i64_e32 vcc, 0, v[3:4]
	v_not_b32_e32 v4, v4
	v_ashrrev_i32_e32 v4, 31, v4
	v_mul_u32_u24_e32 v71, 20, v69
	v_xor_b32_e32 v69, vcc_hi, v4
	v_xor_b32_e32 v4, vcc_lo, v4
	v_and_b32_e32 v70, v72, v69
	v_and_b32_e32 v69, v218, v4
	v_mbcnt_lo_u32_b32 v4, v69, 0
	v_mbcnt_hi_u32_b32 v218, v70, v4
	v_cmp_ne_u64_e32 vcc, 0, v[69:70]
	v_cmp_eq_u32_e64 s[38:39], 0, v218
	s_and_b64 s[40:41], vcc, s[38:39]
	v_add_u32_e32 v220, v172, v71
	; wave barrier
	s_and_saveexec_b64 s[38:39], s[40:41]
	s_cbranch_execz .LBB1123_454
; %bb.453:                              ;   in Loop: Header=BB1123_388 Depth=2
	v_bcnt_u32_b32 v4, v69, 0
	v_bcnt_u32_b32 v4, v70, v4
	s_waitcnt lgkmcnt(0)
	v_add_u32_e32 v4, v216, v4
	ds_write_b32 v220, v4 offset:1040
.LBB1123_454:                           ;   in Loop: Header=BB1123_388 Depth=2
	s_or_b64 exec, exec, s[38:39]
	v_cmp_gt_i64_e32 vcc, 0, v[43:44]
	v_ashrrev_i32_e32 v69, 31, v44
	v_cndmask_b32_e64 v4, v133, 0, vcc
	v_not_b32_e32 v69, v69
	v_xor_b32_e32 v44, v4, v44
	v_xor_b32_e32 v43, v69, v43
	v_cmp_ne_u64_e32 vcc, s[72:73], v[43:44]
	v_cndmask_b32_e32 v70, v133, v44, vcc
	v_cndmask_b32_e32 v69, -1, v43, vcc
	v_lshrrev_b64 v[69:70], s88, v[69:70]
	; wave barrier
	v_and_b32_e32 v69, s97, v69
	v_mad_u32_u24 v4, v69, 20, v172
	ds_read_b32 v219, v4 offset:1040
	v_and_b32_e32 v4, 1, v69
	v_add_co_u32_e32 v70, vcc, -1, v4
	v_addc_co_u32_e64 v72, s[38:39], 0, -1, vcc
	v_cmp_ne_u32_e32 vcc, 0, v4
	v_xor_b32_e32 v4, vcc_hi, v72
	v_and_b32_e32 v72, exec_hi, v4
	v_lshlrev_b32_e32 v4, 30, v69
	v_xor_b32_e32 v70, vcc_lo, v70
	v_cmp_gt_i64_e32 vcc, 0, v[3:4]
	v_not_b32_e32 v4, v4
	v_ashrrev_i32_e32 v4, 31, v4
	v_and_b32_e32 v70, exec_lo, v70
	v_xor_b32_e32 v221, vcc_hi, v4
	v_xor_b32_e32 v4, vcc_lo, v4
	v_and_b32_e32 v70, v70, v4
	v_lshlrev_b32_e32 v4, 29, v69
	v_cmp_gt_i64_e32 vcc, 0, v[3:4]
	v_not_b32_e32 v4, v4
	v_ashrrev_i32_e32 v4, 31, v4
	v_and_b32_e32 v72, v72, v221
	v_xor_b32_e32 v221, vcc_hi, v4
	v_xor_b32_e32 v4, vcc_lo, v4
	v_and_b32_e32 v70, v70, v4
	v_lshlrev_b32_e32 v4, 28, v69
	v_cmp_gt_i64_e32 vcc, 0, v[3:4]
	v_not_b32_e32 v4, v4
	v_ashrrev_i32_e32 v4, 31, v4
	v_and_b32_e32 v72, v72, v221
	v_xor_b32_e32 v221, vcc_hi, v4
	v_xor_b32_e32 v4, vcc_lo, v4
	v_and_b32_e32 v70, v70, v4
	v_lshlrev_b32_e32 v4, 27, v69
	v_cmp_gt_i64_e32 vcc, 0, v[3:4]
	v_not_b32_e32 v4, v4
	v_ashrrev_i32_e32 v4, 31, v4
	v_and_b32_e32 v72, v72, v221
	v_xor_b32_e32 v221, vcc_hi, v4
	v_xor_b32_e32 v4, vcc_lo, v4
	v_and_b32_e32 v70, v70, v4
	v_lshlrev_b32_e32 v4, 26, v69
	v_cmp_gt_i64_e32 vcc, 0, v[3:4]
	v_not_b32_e32 v4, v4
	v_ashrrev_i32_e32 v4, 31, v4
	v_and_b32_e32 v72, v72, v221
	v_xor_b32_e32 v221, vcc_hi, v4
	v_xor_b32_e32 v4, vcc_lo, v4
	v_and_b32_e32 v70, v70, v4
	v_lshlrev_b32_e32 v4, 25, v69
	v_cmp_gt_i64_e32 vcc, 0, v[3:4]
	v_not_b32_e32 v4, v4
	v_ashrrev_i32_e32 v4, 31, v4
	v_and_b32_e32 v72, v72, v221
	v_xor_b32_e32 v221, vcc_hi, v4
	v_xor_b32_e32 v4, vcc_lo, v4
	v_and_b32_e32 v72, v72, v221
	v_and_b32_e32 v221, v70, v4
	v_lshlrev_b32_e32 v4, 24, v69
	v_cmp_gt_i64_e32 vcc, 0, v[3:4]
	v_not_b32_e32 v4, v4
	v_ashrrev_i32_e32 v4, 31, v4
	v_mul_u32_u24_e32 v71, 20, v69
	v_xor_b32_e32 v69, vcc_hi, v4
	v_xor_b32_e32 v4, vcc_lo, v4
	v_and_b32_e32 v70, v72, v69
	v_and_b32_e32 v69, v221, v4
	v_mbcnt_lo_u32_b32 v4, v69, 0
	v_mbcnt_hi_u32_b32 v221, v70, v4
	v_cmp_ne_u64_e32 vcc, 0, v[69:70]
	v_cmp_eq_u32_e64 s[38:39], 0, v221
	s_and_b64 s[40:41], vcc, s[38:39]
	v_add_u32_e32 v4, v172, v71
	; wave barrier
	s_and_saveexec_b64 s[38:39], s[40:41]
	s_cbranch_execz .LBB1123_456
; %bb.455:                              ;   in Loop: Header=BB1123_388 Depth=2
	v_bcnt_u32_b32 v69, v69, 0
	v_bcnt_u32_b32 v69, v70, v69
	s_waitcnt lgkmcnt(0)
	v_add_u32_e32 v69, v219, v69
	ds_write_b32 v4, v69 offset:1040
.LBB1123_456:                           ;   in Loop: Header=BB1123_388 Depth=2
	s_or_b64 exec, exec, s[38:39]
	; wave barrier
	s_waitcnt lgkmcnt(0)
	s_barrier
	ds_read2_b32 v[71:72], v175 offset1:1
	ds_read2_b32 v[69:70], v174 offset1:1
	ds_read_b32 v222, v98 offset:1056
	s_waitcnt lgkmcnt(1)
	v_add3_u32 v223, v72, v71, v69
	s_waitcnt lgkmcnt(0)
	v_add3_u32 v222, v223, v70, v222
	s_nop 1
	v_mov_b32_dpp v223, v222 row_shr:1 row_mask:0xf bank_mask:0xf
	v_cndmask_b32_e64 v223, v223, 0, s[18:19]
	v_add_u32_e32 v222, v223, v222
	s_nop 1
	v_mov_b32_dpp v223, v222 row_shr:2 row_mask:0xf bank_mask:0xf
	v_cndmask_b32_e64 v223, 0, v223, s[20:21]
	v_add_u32_e32 v222, v222, v223
	;; [unrolled: 4-line block ×4, first 2 shown]
	s_nop 1
	v_mov_b32_dpp v223, v222 row_bcast:15 row_mask:0xf bank_mask:0xf
	v_cndmask_b32_e64 v223, v223, 0, s[26:27]
	v_add_u32_e32 v222, v222, v223
	s_nop 1
	v_mov_b32_dpp v223, v222 row_bcast:31 row_mask:0xf bank_mask:0xf
	v_cndmask_b32_e64 v223, 0, v223, s[28:29]
	v_add_u32_e32 v222, v222, v223
	s_and_saveexec_b64 s[38:39], s[8:9]
; %bb.457:                              ;   in Loop: Header=BB1123_388 Depth=2
	ds_write_b32 v93, v222 offset:1024
; %bb.458:                              ;   in Loop: Header=BB1123_388 Depth=2
	s_or_b64 exec, exec, s[38:39]
	s_waitcnt lgkmcnt(0)
	s_barrier
	s_and_saveexec_b64 s[38:39], s[10:11]
	s_cbranch_execz .LBB1123_460
; %bb.459:                              ;   in Loop: Header=BB1123_388 Depth=2
	ds_read_b32 v223, v99 offset:1024
	s_waitcnt lgkmcnt(0)
	s_nop 0
	v_mov_b32_dpp v224, v223 row_shr:1 row_mask:0xf bank_mask:0xf
	v_cndmask_b32_e64 v224, v224, 0, s[34:35]
	v_add_u32_e32 v223, v224, v223
	s_nop 1
	v_mov_b32_dpp v224, v223 row_shr:2 row_mask:0xf bank_mask:0xf
	v_cndmask_b32_e64 v224, 0, v224, s[36:37]
	v_add_u32_e32 v223, v223, v224
	ds_write_b32 v99, v223 offset:1024
.LBB1123_460:                           ;   in Loop: Header=BB1123_388 Depth=2
	s_or_b64 exec, exec, s[38:39]
	v_mov_b32_e32 v223, 0
	s_waitcnt lgkmcnt(0)
	s_barrier
	s_and_saveexec_b64 s[38:39], s[12:13]
; %bb.461:                              ;   in Loop: Header=BB1123_388 Depth=2
	ds_read_b32 v223, v93 offset:1020
; %bb.462:                              ;   in Loop: Header=BB1123_388 Depth=2
	s_or_b64 exec, exec, s[38:39]
	s_waitcnt lgkmcnt(0)
	v_add_u32_e32 v222, v223, v222
	ds_bpermute_b32 v222, v135, v222
	s_waitcnt lgkmcnt(0)
	v_cndmask_b32_e64 v222, v222, v223, s[30:31]
	v_cndmask_b32_e64 v222, v222, 0, s[14:15]
	v_add_u32_e32 v71, v222, v71
	v_add_u32_e32 v72, v71, v72
	;; [unrolled: 1-line block ×4, first 2 shown]
	ds_write2_b32 v175, v222, v71 offset1:1
	ds_write2_b32 v174, v72, v69 offset1:1
	ds_write_b32 v98, v70 offset:1056
	s_waitcnt lgkmcnt(0)
	s_barrier
	ds_read_b32 v69, v178 offset:1040
	ds_read_b32 v70, v181 offset:1040
	;; [unrolled: 1-line block ×17, first 2 shown]
	v_mov_b32_e32 v4, 0x1000
	s_and_saveexec_b64 s[38:39], s[16:17]
; %bb.463:                              ;   in Loop: Header=BB1123_388 Depth=2
	ds_read_b32 v4, v98 offset:1060
; %bb.464:                              ;   in Loop: Header=BB1123_388 Depth=2
	s_or_b64 exec, exec, s[38:39]
	s_waitcnt lgkmcnt(0)
	s_barrier
	s_and_saveexec_b64 s[38:39], s[4:5]
	s_cbranch_execz .LBB1123_466
; %bb.465:                              ;   in Loop: Header=BB1123_388 Depth=2
	ds_read_b32 v199, v73
	s_waitcnt lgkmcnt(0)
	v_sub_u32_e32 v196, v199, v196
	ds_write_b32 v73, v196
.LBB1123_466:                           ;   in Loop: Header=BB1123_388 Depth=2
	s_or_b64 exec, exec, s[38:39]
	v_lshlrev_b32_e32 v176, 3, v176
	v_lshl_add_u32 v69, v69, 3, v176
	ds_write_b64 v69, v[37:38] offset:1024
	v_lshlrev_b32_e32 v37, 3, v179
	v_lshlrev_b32_e32 v38, 3, v177
	;; [unrolled: 1-line block ×3, first 2 shown]
	v_add3_u32 v70, v37, v38, v70
	ds_write_b64 v70, v[39:40] offset:1024
	v_lshlrev_b32_e32 v37, 3, v182
	v_lshlrev_b32_e32 v38, 3, v180
	v_lshlrev_b32_e32 v39, 3, v225
	v_add3_u32 v39, v37, v38, v39
	v_lshlrev_b32_e32 v37, 3, v185
	v_lshlrev_b32_e32 v38, 3, v183
	v_lshlrev_b32_e32 v40, 3, v224
	ds_write_b64 v39, v[45:46] offset:1024
	v_add3_u32 v40, v37, v38, v40
	v_lshlrev_b32_e32 v37, 3, v188
	v_lshlrev_b32_e32 v38, 3, v186
	v_lshlrev_b32_e32 v45, 3, v223
	v_add3_u32 v45, v37, v38, v45
	v_lshlrev_b32_e32 v37, 3, v191
	v_lshlrev_b32_e32 v38, 3, v189
	v_lshlrev_b32_e32 v46, 3, v222
	ds_write_b64 v40, v[49:50] offset:1024
	v_add3_u32 v46, v37, v38, v46
	;; [unrolled: 9-line block ×4, first 2 shown]
	v_lshlrev_b32_e32 v37, 3, v206
	v_lshlrev_b32_e32 v38, 3, v204
	;; [unrolled: 1-line block ×3, first 2 shown]
	v_add3_u32 v57, v37, v38, v57
	v_lshlrev_b32_e32 v37, 3, v209
	v_lshlrev_b32_e32 v38, 3, v207
	;; [unrolled: 1-line block ×3, first 2 shown]
	v_add3_u32 v58, v37, v38, v58
	ds_write_b64 v49, v[63:64] offset:1024
	ds_write_b64 v50, v[65:66] offset:1024
	;; [unrolled: 1-line block ×6, first 2 shown]
	v_lshlrev_b32_e32 v37, 3, v212
	v_lshlrev_b32_e32 v38, 3, v210
	v_lshlrev_b32_e32 v55, 3, v175
	v_add3_u32 v55, v37, v38, v55
	ds_write_b64 v55, v[51:52] offset:1024
	v_lshlrev_b32_e32 v37, 3, v215
	v_lshlrev_b32_e32 v38, 3, v213
	v_lshlrev_b32_e32 v51, 3, v174
	v_add3_u32 v51, v37, v38, v51
	ds_write_b64 v51, v[47:48] offset:1024
	;; [unrolled: 5-line block ×3, first 2 shown]
	v_lshlrev_b32_e32 v37, 3, v221
	v_lshlrev_b32_e32 v38, 3, v219
	;; [unrolled: 1-line block ×3, first 2 shown]
	v_add3_u32 v41, v37, v38, v41
	v_cmp_lt_u32_e64 s[38:39], v0, v173
	ds_write_b64 v41, v[43:44] offset:1024
	s_waitcnt lgkmcnt(0)
	s_barrier
	s_and_saveexec_b64 s[40:41], s[38:39]
	s_cbranch_execnz .LBB1123_535
; %bb.467:                              ;   in Loop: Header=BB1123_388 Depth=2
	s_or_b64 exec, exec, s[40:41]
	v_cmp_lt_u32_e64 s[40:41], v74, v173
	s_and_saveexec_b64 s[42:43], s[40:41]
	s_cbranch_execnz .LBB1123_536
.LBB1123_468:                           ;   in Loop: Header=BB1123_388 Depth=2
	s_or_b64 exec, exec, s[42:43]
	v_cmp_lt_u32_e64 s[42:43], v75, v173
	s_and_saveexec_b64 s[44:45], s[42:43]
	s_cbranch_execnz .LBB1123_537
.LBB1123_469:                           ;   in Loop: Header=BB1123_388 Depth=2
	s_or_b64 exec, exec, s[44:45]
	v_cmp_lt_u32_e64 s[44:45], v76, v173
	s_and_saveexec_b64 s[46:47], s[44:45]
	s_cbranch_execnz .LBB1123_538
.LBB1123_470:                           ;   in Loop: Header=BB1123_388 Depth=2
	s_or_b64 exec, exec, s[46:47]
	v_cmp_lt_u32_e64 s[46:47], v79, v173
	s_and_saveexec_b64 s[48:49], s[46:47]
	s_cbranch_execnz .LBB1123_539
.LBB1123_471:                           ;   in Loop: Header=BB1123_388 Depth=2
	s_or_b64 exec, exec, s[48:49]
	v_cmp_lt_u32_e64 s[48:49], v80, v173
	s_and_saveexec_b64 s[50:51], s[48:49]
	s_cbranch_execnz .LBB1123_540
.LBB1123_472:                           ;   in Loop: Header=BB1123_388 Depth=2
	s_or_b64 exec, exec, s[50:51]
	v_cmp_lt_u32_e64 s[50:51], v81, v173
	s_and_saveexec_b64 s[52:53], s[50:51]
	s_cbranch_execnz .LBB1123_541
.LBB1123_473:                           ;   in Loop: Header=BB1123_388 Depth=2
	s_or_b64 exec, exec, s[52:53]
	v_cmp_lt_u32_e64 s[52:53], v82, v173
	s_and_saveexec_b64 s[54:55], s[52:53]
	s_cbranch_execnz .LBB1123_542
.LBB1123_474:                           ;   in Loop: Header=BB1123_388 Depth=2
	s_or_b64 exec, exec, s[54:55]
	v_cmp_lt_u32_e64 s[54:55], v83, v173
	s_and_saveexec_b64 s[56:57], s[54:55]
	s_cbranch_execnz .LBB1123_543
.LBB1123_475:                           ;   in Loop: Header=BB1123_388 Depth=2
	s_or_b64 exec, exec, s[56:57]
	v_cmp_lt_u32_e64 s[56:57], v84, v173
	s_and_saveexec_b64 s[58:59], s[56:57]
	s_cbranch_execnz .LBB1123_544
.LBB1123_476:                           ;   in Loop: Header=BB1123_388 Depth=2
	s_or_b64 exec, exec, s[58:59]
	v_cmp_lt_u32_e64 s[58:59], v85, v173
	s_and_saveexec_b64 s[60:61], s[58:59]
	s_cbranch_execnz .LBB1123_545
.LBB1123_477:                           ;   in Loop: Header=BB1123_388 Depth=2
	s_or_b64 exec, exec, s[60:61]
	v_cmp_lt_u32_e64 s[60:61], v86, v173
	s_and_saveexec_b64 s[62:63], s[60:61]
	s_cbranch_execnz .LBB1123_546
.LBB1123_478:                           ;   in Loop: Header=BB1123_388 Depth=2
	s_or_b64 exec, exec, s[62:63]
	v_cmp_lt_u32_e64 s[62:63], v87, v173
	s_and_saveexec_b64 s[64:65], s[62:63]
	s_cbranch_execnz .LBB1123_547
.LBB1123_479:                           ;   in Loop: Header=BB1123_388 Depth=2
	s_or_b64 exec, exec, s[64:65]
	v_cmp_lt_u32_e64 s[64:65], v88, v173
	s_and_saveexec_b64 s[66:67], s[64:65]
	s_cbranch_execnz .LBB1123_548
.LBB1123_480:                           ;   in Loop: Header=BB1123_388 Depth=2
	s_or_b64 exec, exec, s[66:67]
	v_cmp_lt_u32_e64 s[66:67], v89, v173
	s_and_saveexec_b64 s[68:69], s[66:67]
	s_cbranch_execnz .LBB1123_549
.LBB1123_481:                           ;   in Loop: Header=BB1123_388 Depth=2
	s_or_b64 exec, exec, s[68:69]
	v_cmp_lt_u32_e64 s[68:69], v90, v173
	s_and_saveexec_b64 s[92:93], s[68:69]
	s_cbranch_execz .LBB1123_483
.LBB1123_482:                           ;   in Loop: Header=BB1123_388 Depth=2
	ds_read_b64 v[37:38], v104 offset:31744
	v_mov_b32_e32 v43, v3
	v_mov_b32_e32 v44, s81
	s_waitcnt lgkmcnt(0)
	v_cmp_ne_u64_e32 vcc, s[72:73], v[37:38]
	v_ashrrev_i32_e32 v52, 31, v38
	v_cndmask_b32_e32 v60, v133, v38, vcc
	v_cndmask_b32_e32 v59, -1, v37, vcc
	v_lshrrev_b64 v[59:60], s88, v[59:60]
	v_cmp_gt_i64_e32 vcc, 0, v[37:38]
	v_and_b32_e32 v48, s97, v59
	v_lshlrev_b32_e32 v48, 2, v48
	ds_read_b32 v48, v48
	v_cndmask_b32_e64 v42, v133, 0, vcc
	v_xor_b32_e32 v38, v42, v38
	v_not_b32_e32 v52, v52
	v_xor_b32_e32 v37, v52, v37
	s_waitcnt lgkmcnt(0)
	v_add_u32_e32 v42, v48, v90
	v_lshlrev_b64 v[42:43], 3, v[42:43]
	v_add_co_u32_e32 v42, vcc, s80, v42
	v_addc_co_u32_e32 v43, vcc, v44, v43, vcc
	global_store_dwordx2 v[42:43], v[37:38], off
.LBB1123_483:                           ;   in Loop: Header=BB1123_388 Depth=2
	s_or_b64 exec, exec, s[92:93]
	s_mov_b32 s83, s72
	s_lshl_b64 s[82:83], s[82:83], 3
	v_mov_b32_e32 v38, s83
	v_add_co_u32_e32 v37, vcc, s82, v145
	v_addc_co_u32_e32 v38, vcc, v147, v38, vcc
	v_cmp_lt_u32_e32 vcc, v143, v173
	s_and_saveexec_b64 s[82:83], vcc
	s_xor_b64 s[82:83], exec, s[82:83]
	s_cbranch_execnz .LBB1123_550
; %bb.484:                              ;   in Loop: Header=BB1123_388 Depth=2
	s_or_b64 exec, exec, s[82:83]
	v_cmp_lt_u32_e32 vcc, v149, v173
	s_and_saveexec_b64 s[82:83], vcc
	s_cbranch_execnz .LBB1123_551
.LBB1123_485:                           ;   in Loop: Header=BB1123_388 Depth=2
	s_or_b64 exec, exec, s[82:83]
	v_cmp_lt_u32_e32 vcc, v151, v173
	s_and_saveexec_b64 s[82:83], vcc
	s_cbranch_execnz .LBB1123_552
.LBB1123_486:                           ;   in Loop: Header=BB1123_388 Depth=2
	s_or_b64 exec, exec, s[82:83]
	v_cmp_lt_u32_e32 vcc, v153, v173
	s_and_saveexec_b64 s[82:83], vcc
	s_cbranch_execnz .LBB1123_553
.LBB1123_487:                           ;   in Loop: Header=BB1123_388 Depth=2
	s_or_b64 exec, exec, s[82:83]
	v_cmp_lt_u32_e32 vcc, v155, v173
	s_and_saveexec_b64 s[82:83], vcc
	s_cbranch_execnz .LBB1123_554
.LBB1123_488:                           ;   in Loop: Header=BB1123_388 Depth=2
	s_or_b64 exec, exec, s[82:83]
	v_cmp_lt_u32_e32 vcc, v157, v173
	s_and_saveexec_b64 s[82:83], vcc
	s_cbranch_execnz .LBB1123_555
.LBB1123_489:                           ;   in Loop: Header=BB1123_388 Depth=2
	s_or_b64 exec, exec, s[82:83]
	v_cmp_lt_u32_e32 vcc, v159, v173
	s_and_saveexec_b64 s[82:83], vcc
	s_cbranch_execnz .LBB1123_556
.LBB1123_490:                           ;   in Loop: Header=BB1123_388 Depth=2
	s_or_b64 exec, exec, s[82:83]
	v_cmp_lt_u32_e32 vcc, v161, v173
	s_and_saveexec_b64 s[82:83], vcc
	s_cbranch_execnz .LBB1123_557
.LBB1123_491:                           ;   in Loop: Header=BB1123_388 Depth=2
	s_or_b64 exec, exec, s[82:83]
	v_cmp_lt_u32_e32 vcc, v162, v173
	s_and_saveexec_b64 s[82:83], vcc
	s_cbranch_execnz .LBB1123_558
.LBB1123_492:                           ;   in Loop: Header=BB1123_388 Depth=2
	s_or_b64 exec, exec, s[82:83]
	v_cmp_lt_u32_e32 vcc, v163, v173
	s_and_saveexec_b64 s[82:83], vcc
	s_cbranch_execnz .LBB1123_559
.LBB1123_493:                           ;   in Loop: Header=BB1123_388 Depth=2
	s_or_b64 exec, exec, s[82:83]
	v_cmp_lt_u32_e32 vcc, v164, v173
	s_and_saveexec_b64 s[82:83], vcc
	s_cbranch_execnz .LBB1123_560
.LBB1123_494:                           ;   in Loop: Header=BB1123_388 Depth=2
	s_or_b64 exec, exec, s[82:83]
	v_cmp_lt_u32_e32 vcc, v165, v173
	s_and_saveexec_b64 s[82:83], vcc
	s_cbranch_execnz .LBB1123_561
.LBB1123_495:                           ;   in Loop: Header=BB1123_388 Depth=2
	s_or_b64 exec, exec, s[82:83]
	v_cmp_lt_u32_e32 vcc, v166, v173
	s_and_saveexec_b64 s[82:83], vcc
	s_cbranch_execnz .LBB1123_562
.LBB1123_496:                           ;   in Loop: Header=BB1123_388 Depth=2
	s_or_b64 exec, exec, s[82:83]
	v_cmp_lt_u32_e32 vcc, v167, v173
	s_and_saveexec_b64 s[82:83], vcc
	s_cbranch_execnz .LBB1123_563
.LBB1123_497:                           ;   in Loop: Header=BB1123_388 Depth=2
	s_or_b64 exec, exec, s[82:83]
	v_cmp_lt_u32_e32 vcc, v168, v173
	s_and_saveexec_b64 s[82:83], vcc
	s_cbranch_execnz .LBB1123_564
.LBB1123_498:                           ;   in Loop: Header=BB1123_388 Depth=2
	s_or_b64 exec, exec, s[82:83]
	v_cmp_lt_u32_e32 vcc, v169, v173
	s_and_saveexec_b64 s[82:83], vcc
	s_cbranch_execnz .LBB1123_565
.LBB1123_499:                           ;   in Loop: Header=BB1123_388 Depth=2
	s_or_b64 exec, exec, s[82:83]
	s_and_saveexec_b64 s[82:83], s[38:39]
	s_cbranch_execnz .LBB1123_566
.LBB1123_500:                           ;   in Loop: Header=BB1123_388 Depth=2
	s_or_b64 exec, exec, s[82:83]
	s_and_saveexec_b64 s[82:83], s[40:41]
	s_cbranch_execnz .LBB1123_567
.LBB1123_501:                           ;   in Loop: Header=BB1123_388 Depth=2
	s_or_b64 exec, exec, s[82:83]
	s_and_saveexec_b64 s[82:83], s[42:43]
	s_cbranch_execnz .LBB1123_568
.LBB1123_502:                           ;   in Loop: Header=BB1123_388 Depth=2
	s_or_b64 exec, exec, s[82:83]
	s_and_saveexec_b64 s[82:83], s[44:45]
	s_cbranch_execnz .LBB1123_569
.LBB1123_503:                           ;   in Loop: Header=BB1123_388 Depth=2
	s_or_b64 exec, exec, s[82:83]
	s_and_saveexec_b64 s[82:83], s[46:47]
	s_cbranch_execnz .LBB1123_570
.LBB1123_504:                           ;   in Loop: Header=BB1123_388 Depth=2
	s_or_b64 exec, exec, s[82:83]
	s_and_saveexec_b64 s[82:83], s[48:49]
	s_cbranch_execnz .LBB1123_571
.LBB1123_505:                           ;   in Loop: Header=BB1123_388 Depth=2
	s_or_b64 exec, exec, s[82:83]
	s_and_saveexec_b64 s[82:83], s[50:51]
	s_cbranch_execnz .LBB1123_572
.LBB1123_506:                           ;   in Loop: Header=BB1123_388 Depth=2
	s_or_b64 exec, exec, s[82:83]
	s_and_saveexec_b64 s[82:83], s[52:53]
	s_cbranch_execnz .LBB1123_573
.LBB1123_507:                           ;   in Loop: Header=BB1123_388 Depth=2
	s_or_b64 exec, exec, s[82:83]
	s_and_saveexec_b64 s[82:83], s[54:55]
	s_cbranch_execnz .LBB1123_574
.LBB1123_508:                           ;   in Loop: Header=BB1123_388 Depth=2
	s_or_b64 exec, exec, s[82:83]
	s_and_saveexec_b64 s[82:83], s[56:57]
	s_cbranch_execnz .LBB1123_575
.LBB1123_509:                           ;   in Loop: Header=BB1123_388 Depth=2
	s_or_b64 exec, exec, s[82:83]
	s_and_saveexec_b64 s[82:83], s[58:59]
	s_cbranch_execnz .LBB1123_576
.LBB1123_510:                           ;   in Loop: Header=BB1123_388 Depth=2
	s_or_b64 exec, exec, s[82:83]
	s_and_saveexec_b64 s[82:83], s[60:61]
	s_cbranch_execnz .LBB1123_577
.LBB1123_511:                           ;   in Loop: Header=BB1123_388 Depth=2
	s_or_b64 exec, exec, s[82:83]
	s_and_saveexec_b64 s[82:83], s[62:63]
	s_cbranch_execnz .LBB1123_578
.LBB1123_512:                           ;   in Loop: Header=BB1123_388 Depth=2
	s_or_b64 exec, exec, s[82:83]
	s_and_saveexec_b64 s[82:83], s[64:65]
	s_cbranch_execnz .LBB1123_579
.LBB1123_513:                           ;   in Loop: Header=BB1123_388 Depth=2
	s_or_b64 exec, exec, s[82:83]
	s_and_saveexec_b64 s[82:83], s[66:67]
	s_cbranch_execnz .LBB1123_580
.LBB1123_514:                           ;   in Loop: Header=BB1123_388 Depth=2
	s_or_b64 exec, exec, s[82:83]
	s_and_saveexec_b64 s[82:83], s[68:69]
	s_cbranch_execz .LBB1123_516
.LBB1123_515:                           ;   in Loop: Header=BB1123_388 Depth=2
	ds_read_b64 v[37:38], v104 offset:31744
	s_waitcnt lgkmcnt(0)
	v_cmp_ne_u64_e32 vcc, s[72:73], v[37:38]
	v_cndmask_b32_e32 v38, v133, v38, vcc
	v_cndmask_b32_e32 v37, -1, v37, vcc
	v_lshrrev_b64 v[37:38], s88, v[37:38]
	v_and_b32_e32 v136, s97, v37
.LBB1123_516:                           ;   in Loop: Header=BB1123_388 Depth=2
	s_or_b64 exec, exec, s[82:83]
	s_waitcnt vmcnt(0)
	s_barrier
	ds_write_b64 v69, v[35:36] offset:1024
	ds_write_b64 v70, v[33:34] offset:1024
	;; [unrolled: 1-line block ×16, first 2 shown]
	s_waitcnt lgkmcnt(0)
	s_barrier
	s_and_saveexec_b64 s[82:83], s[38:39]
	s_cbranch_execnz .LBB1123_581
; %bb.517:                              ;   in Loop: Header=BB1123_388 Depth=2
	s_or_b64 exec, exec, s[82:83]
	s_and_saveexec_b64 s[38:39], s[40:41]
	s_cbranch_execnz .LBB1123_582
.LBB1123_518:                           ;   in Loop: Header=BB1123_388 Depth=2
	s_or_b64 exec, exec, s[38:39]
	s_and_saveexec_b64 s[38:39], s[42:43]
	s_cbranch_execnz .LBB1123_583
.LBB1123_519:                           ;   in Loop: Header=BB1123_388 Depth=2
	s_or_b64 exec, exec, s[38:39]
	s_and_saveexec_b64 s[38:39], s[44:45]
	s_cbranch_execnz .LBB1123_584
.LBB1123_520:                           ;   in Loop: Header=BB1123_388 Depth=2
	s_or_b64 exec, exec, s[38:39]
	s_and_saveexec_b64 s[38:39], s[46:47]
	s_cbranch_execnz .LBB1123_585
.LBB1123_521:                           ;   in Loop: Header=BB1123_388 Depth=2
	s_or_b64 exec, exec, s[38:39]
	s_and_saveexec_b64 s[38:39], s[48:49]
	s_cbranch_execnz .LBB1123_586
.LBB1123_522:                           ;   in Loop: Header=BB1123_388 Depth=2
	s_or_b64 exec, exec, s[38:39]
	s_and_saveexec_b64 s[38:39], s[50:51]
	s_cbranch_execnz .LBB1123_587
.LBB1123_523:                           ;   in Loop: Header=BB1123_388 Depth=2
	s_or_b64 exec, exec, s[38:39]
	s_and_saveexec_b64 s[38:39], s[52:53]
	s_cbranch_execnz .LBB1123_588
.LBB1123_524:                           ;   in Loop: Header=BB1123_388 Depth=2
	s_or_b64 exec, exec, s[38:39]
	s_and_saveexec_b64 s[38:39], s[54:55]
	s_cbranch_execnz .LBB1123_589
.LBB1123_525:                           ;   in Loop: Header=BB1123_388 Depth=2
	s_or_b64 exec, exec, s[38:39]
	s_and_saveexec_b64 s[38:39], s[56:57]
	s_cbranch_execnz .LBB1123_590
.LBB1123_526:                           ;   in Loop: Header=BB1123_388 Depth=2
	s_or_b64 exec, exec, s[38:39]
	s_and_saveexec_b64 s[38:39], s[58:59]
	s_cbranch_execnz .LBB1123_591
.LBB1123_527:                           ;   in Loop: Header=BB1123_388 Depth=2
	s_or_b64 exec, exec, s[38:39]
	s_and_saveexec_b64 s[38:39], s[60:61]
	s_cbranch_execnz .LBB1123_592
.LBB1123_528:                           ;   in Loop: Header=BB1123_388 Depth=2
	s_or_b64 exec, exec, s[38:39]
	s_and_saveexec_b64 s[38:39], s[62:63]
	s_cbranch_execnz .LBB1123_593
.LBB1123_529:                           ;   in Loop: Header=BB1123_388 Depth=2
	s_or_b64 exec, exec, s[38:39]
	s_and_saveexec_b64 s[38:39], s[64:65]
	s_cbranch_execnz .LBB1123_594
.LBB1123_530:                           ;   in Loop: Header=BB1123_388 Depth=2
	s_or_b64 exec, exec, s[38:39]
	s_and_saveexec_b64 s[38:39], s[66:67]
	s_cbranch_execnz .LBB1123_595
.LBB1123_531:                           ;   in Loop: Header=BB1123_388 Depth=2
	s_or_b64 exec, exec, s[38:39]
	s_and_saveexec_b64 s[38:39], s[68:69]
	s_cbranch_execz .LBB1123_533
.LBB1123_532:                           ;   in Loop: Header=BB1123_388 Depth=2
	v_lshlrev_b32_e32 v37, 2, v136
	ds_read_b32 v39, v37
	ds_read_b64 v[37:38], v104 offset:31744
	v_mov_b32_e32 v40, v3
	v_mov_b32_e32 v41, s87
	s_waitcnt lgkmcnt(1)
	v_add_u32_e32 v39, v39, v90
	v_lshlrev_b64 v[39:40], 3, v[39:40]
	v_add_co_u32_e32 v39, vcc, s86, v39
	v_addc_co_u32_e32 v40, vcc, v41, v40, vcc
	s_waitcnt lgkmcnt(0)
	global_store_dwordx2 v[39:40], v[37:38], off
.LBB1123_533:                           ;   in Loop: Header=BB1123_388 Depth=2
	s_or_b64 exec, exec, s[38:39]
	s_waitcnt vmcnt(0)
	s_barrier
	s_and_saveexec_b64 s[38:39], s[4:5]
	s_cbranch_execz .LBB1123_387
; %bb.534:                              ;   in Loop: Header=BB1123_388 Depth=2
	ds_read_b32 v37, v73
	s_waitcnt lgkmcnt(0)
	v_add_u32_e32 v4, v37, v4
	ds_write_b32 v73, v4
	s_branch .LBB1123_387
.LBB1123_535:                           ;   in Loop: Header=BB1123_388 Depth=2
	ds_read_b64 v[37:38], v104 offset:1024
	v_mov_b32_e32 v43, v3
	v_mov_b32_e32 v44, s81
	s_waitcnt lgkmcnt(0)
	v_cmp_ne_u64_e32 vcc, s[72:73], v[37:38]
	v_ashrrev_i32_e32 v52, 31, v38
	v_cndmask_b32_e32 v60, v133, v38, vcc
	v_cndmask_b32_e32 v59, -1, v37, vcc
	v_lshrrev_b64 v[59:60], s88, v[59:60]
	v_cmp_gt_i64_e32 vcc, 0, v[37:38]
	v_and_b32_e32 v48, s97, v59
	v_lshlrev_b32_e32 v48, 2, v48
	ds_read_b32 v48, v48
	v_cndmask_b32_e64 v42, v133, 0, vcc
	v_xor_b32_e32 v38, v42, v38
	v_not_b32_e32 v52, v52
	v_xor_b32_e32 v37, v52, v37
	s_waitcnt lgkmcnt(0)
	v_add_u32_e32 v42, v48, v0
	v_lshlrev_b64 v[42:43], 3, v[42:43]
	v_add_co_u32_e32 v42, vcc, s80, v42
	v_addc_co_u32_e32 v43, vcc, v44, v43, vcc
	global_store_dwordx2 v[42:43], v[37:38], off
	s_or_b64 exec, exec, s[40:41]
	v_cmp_lt_u32_e64 s[40:41], v74, v173
	s_and_saveexec_b64 s[42:43], s[40:41]
	s_cbranch_execz .LBB1123_468
.LBB1123_536:                           ;   in Loop: Header=BB1123_388 Depth=2
	ds_read_b64 v[37:38], v104 offset:3072
	v_mov_b32_e32 v43, v3
	v_mov_b32_e32 v44, s81
	s_waitcnt lgkmcnt(0)
	v_cmp_ne_u64_e32 vcc, s[72:73], v[37:38]
	v_ashrrev_i32_e32 v52, 31, v38
	v_cndmask_b32_e32 v60, v133, v38, vcc
	v_cndmask_b32_e32 v59, -1, v37, vcc
	v_lshrrev_b64 v[59:60], s88, v[59:60]
	v_cmp_gt_i64_e32 vcc, 0, v[37:38]
	v_and_b32_e32 v48, s97, v59
	v_lshlrev_b32_e32 v48, 2, v48
	ds_read_b32 v48, v48
	v_cndmask_b32_e64 v42, v133, 0, vcc
	v_xor_b32_e32 v38, v42, v38
	v_not_b32_e32 v52, v52
	v_xor_b32_e32 v37, v52, v37
	s_waitcnt lgkmcnt(0)
	v_add_u32_e32 v42, v48, v74
	v_lshlrev_b64 v[42:43], 3, v[42:43]
	v_add_co_u32_e32 v42, vcc, s80, v42
	v_addc_co_u32_e32 v43, vcc, v44, v43, vcc
	global_store_dwordx2 v[42:43], v[37:38], off
	s_or_b64 exec, exec, s[42:43]
	v_cmp_lt_u32_e64 s[42:43], v75, v173
	s_and_saveexec_b64 s[44:45], s[42:43]
	s_cbranch_execz .LBB1123_469
.LBB1123_537:                           ;   in Loop: Header=BB1123_388 Depth=2
	ds_read_b64 v[37:38], v104 offset:5120
	v_mov_b32_e32 v43, v3
	v_mov_b32_e32 v44, s81
	s_waitcnt lgkmcnt(0)
	v_cmp_ne_u64_e32 vcc, s[72:73], v[37:38]
	v_ashrrev_i32_e32 v52, 31, v38
	v_cndmask_b32_e32 v60, v133, v38, vcc
	v_cndmask_b32_e32 v59, -1, v37, vcc
	v_lshrrev_b64 v[59:60], s88, v[59:60]
	v_cmp_gt_i64_e32 vcc, 0, v[37:38]
	v_and_b32_e32 v48, s97, v59
	v_lshlrev_b32_e32 v48, 2, v48
	ds_read_b32 v48, v48
	v_cndmask_b32_e64 v42, v133, 0, vcc
	v_xor_b32_e32 v38, v42, v38
	v_not_b32_e32 v52, v52
	v_xor_b32_e32 v37, v52, v37
	s_waitcnt lgkmcnt(0)
	v_add_u32_e32 v42, v48, v75
	v_lshlrev_b64 v[42:43], 3, v[42:43]
	v_add_co_u32_e32 v42, vcc, s80, v42
	v_addc_co_u32_e32 v43, vcc, v44, v43, vcc
	global_store_dwordx2 v[42:43], v[37:38], off
	s_or_b64 exec, exec, s[44:45]
	v_cmp_lt_u32_e64 s[44:45], v76, v173
	s_and_saveexec_b64 s[46:47], s[44:45]
	s_cbranch_execz .LBB1123_470
.LBB1123_538:                           ;   in Loop: Header=BB1123_388 Depth=2
	ds_read_b64 v[37:38], v104 offset:7168
	v_mov_b32_e32 v43, v3
	v_mov_b32_e32 v44, s81
	s_waitcnt lgkmcnt(0)
	v_cmp_ne_u64_e32 vcc, s[72:73], v[37:38]
	v_ashrrev_i32_e32 v52, 31, v38
	v_cndmask_b32_e32 v60, v133, v38, vcc
	v_cndmask_b32_e32 v59, -1, v37, vcc
	v_lshrrev_b64 v[59:60], s88, v[59:60]
	v_cmp_gt_i64_e32 vcc, 0, v[37:38]
	v_and_b32_e32 v48, s97, v59
	v_lshlrev_b32_e32 v48, 2, v48
	ds_read_b32 v48, v48
	v_cndmask_b32_e64 v42, v133, 0, vcc
	v_xor_b32_e32 v38, v42, v38
	v_not_b32_e32 v52, v52
	v_xor_b32_e32 v37, v52, v37
	s_waitcnt lgkmcnt(0)
	v_add_u32_e32 v42, v48, v76
	v_lshlrev_b64 v[42:43], 3, v[42:43]
	v_add_co_u32_e32 v42, vcc, s80, v42
	v_addc_co_u32_e32 v43, vcc, v44, v43, vcc
	global_store_dwordx2 v[42:43], v[37:38], off
	s_or_b64 exec, exec, s[46:47]
	v_cmp_lt_u32_e64 s[46:47], v79, v173
	s_and_saveexec_b64 s[48:49], s[46:47]
	s_cbranch_execz .LBB1123_471
.LBB1123_539:                           ;   in Loop: Header=BB1123_388 Depth=2
	ds_read_b64 v[37:38], v104 offset:9216
	v_mov_b32_e32 v43, v3
	v_mov_b32_e32 v44, s81
	s_waitcnt lgkmcnt(0)
	v_cmp_ne_u64_e32 vcc, s[72:73], v[37:38]
	v_ashrrev_i32_e32 v52, 31, v38
	v_cndmask_b32_e32 v60, v133, v38, vcc
	v_cndmask_b32_e32 v59, -1, v37, vcc
	v_lshrrev_b64 v[59:60], s88, v[59:60]
	v_cmp_gt_i64_e32 vcc, 0, v[37:38]
	v_and_b32_e32 v48, s97, v59
	v_lshlrev_b32_e32 v48, 2, v48
	ds_read_b32 v48, v48
	v_cndmask_b32_e64 v42, v133, 0, vcc
	v_xor_b32_e32 v38, v42, v38
	v_not_b32_e32 v52, v52
	v_xor_b32_e32 v37, v52, v37
	s_waitcnt lgkmcnt(0)
	v_add_u32_e32 v42, v48, v79
	v_lshlrev_b64 v[42:43], 3, v[42:43]
	v_add_co_u32_e32 v42, vcc, s80, v42
	v_addc_co_u32_e32 v43, vcc, v44, v43, vcc
	global_store_dwordx2 v[42:43], v[37:38], off
	s_or_b64 exec, exec, s[48:49]
	v_cmp_lt_u32_e64 s[48:49], v80, v173
	s_and_saveexec_b64 s[50:51], s[48:49]
	s_cbranch_execz .LBB1123_472
.LBB1123_540:                           ;   in Loop: Header=BB1123_388 Depth=2
	ds_read_b64 v[37:38], v104 offset:11264
	v_mov_b32_e32 v43, v3
	v_mov_b32_e32 v44, s81
	s_waitcnt lgkmcnt(0)
	v_cmp_ne_u64_e32 vcc, s[72:73], v[37:38]
	v_ashrrev_i32_e32 v52, 31, v38
	v_cndmask_b32_e32 v60, v133, v38, vcc
	v_cndmask_b32_e32 v59, -1, v37, vcc
	v_lshrrev_b64 v[59:60], s88, v[59:60]
	v_cmp_gt_i64_e32 vcc, 0, v[37:38]
	v_and_b32_e32 v48, s97, v59
	v_lshlrev_b32_e32 v48, 2, v48
	ds_read_b32 v48, v48
	v_cndmask_b32_e64 v42, v133, 0, vcc
	v_xor_b32_e32 v38, v42, v38
	v_not_b32_e32 v52, v52
	v_xor_b32_e32 v37, v52, v37
	s_waitcnt lgkmcnt(0)
	v_add_u32_e32 v42, v48, v80
	v_lshlrev_b64 v[42:43], 3, v[42:43]
	v_add_co_u32_e32 v42, vcc, s80, v42
	v_addc_co_u32_e32 v43, vcc, v44, v43, vcc
	global_store_dwordx2 v[42:43], v[37:38], off
	s_or_b64 exec, exec, s[50:51]
	v_cmp_lt_u32_e64 s[50:51], v81, v173
	s_and_saveexec_b64 s[52:53], s[50:51]
	s_cbranch_execz .LBB1123_473
.LBB1123_541:                           ;   in Loop: Header=BB1123_388 Depth=2
	ds_read_b64 v[37:38], v104 offset:13312
	v_mov_b32_e32 v43, v3
	v_mov_b32_e32 v44, s81
	s_waitcnt lgkmcnt(0)
	v_cmp_ne_u64_e32 vcc, s[72:73], v[37:38]
	v_ashrrev_i32_e32 v52, 31, v38
	v_cndmask_b32_e32 v60, v133, v38, vcc
	v_cndmask_b32_e32 v59, -1, v37, vcc
	v_lshrrev_b64 v[59:60], s88, v[59:60]
	v_cmp_gt_i64_e32 vcc, 0, v[37:38]
	v_and_b32_e32 v48, s97, v59
	v_lshlrev_b32_e32 v48, 2, v48
	ds_read_b32 v48, v48
	v_cndmask_b32_e64 v42, v133, 0, vcc
	v_xor_b32_e32 v38, v42, v38
	v_not_b32_e32 v52, v52
	v_xor_b32_e32 v37, v52, v37
	s_waitcnt lgkmcnt(0)
	v_add_u32_e32 v42, v48, v81
	v_lshlrev_b64 v[42:43], 3, v[42:43]
	v_add_co_u32_e32 v42, vcc, s80, v42
	v_addc_co_u32_e32 v43, vcc, v44, v43, vcc
	global_store_dwordx2 v[42:43], v[37:38], off
	s_or_b64 exec, exec, s[52:53]
	v_cmp_lt_u32_e64 s[52:53], v82, v173
	s_and_saveexec_b64 s[54:55], s[52:53]
	s_cbranch_execz .LBB1123_474
.LBB1123_542:                           ;   in Loop: Header=BB1123_388 Depth=2
	ds_read_b64 v[37:38], v104 offset:15360
	v_mov_b32_e32 v43, v3
	v_mov_b32_e32 v44, s81
	s_waitcnt lgkmcnt(0)
	v_cmp_ne_u64_e32 vcc, s[72:73], v[37:38]
	v_ashrrev_i32_e32 v52, 31, v38
	v_cndmask_b32_e32 v60, v133, v38, vcc
	v_cndmask_b32_e32 v59, -1, v37, vcc
	v_lshrrev_b64 v[59:60], s88, v[59:60]
	v_cmp_gt_i64_e32 vcc, 0, v[37:38]
	v_and_b32_e32 v48, s97, v59
	v_lshlrev_b32_e32 v48, 2, v48
	ds_read_b32 v48, v48
	v_cndmask_b32_e64 v42, v133, 0, vcc
	v_xor_b32_e32 v38, v42, v38
	v_not_b32_e32 v52, v52
	v_xor_b32_e32 v37, v52, v37
	s_waitcnt lgkmcnt(0)
	v_add_u32_e32 v42, v48, v82
	v_lshlrev_b64 v[42:43], 3, v[42:43]
	v_add_co_u32_e32 v42, vcc, s80, v42
	v_addc_co_u32_e32 v43, vcc, v44, v43, vcc
	global_store_dwordx2 v[42:43], v[37:38], off
	s_or_b64 exec, exec, s[54:55]
	v_cmp_lt_u32_e64 s[54:55], v83, v173
	s_and_saveexec_b64 s[56:57], s[54:55]
	s_cbranch_execz .LBB1123_475
.LBB1123_543:                           ;   in Loop: Header=BB1123_388 Depth=2
	ds_read_b64 v[37:38], v104 offset:17408
	v_mov_b32_e32 v43, v3
	v_mov_b32_e32 v44, s81
	s_waitcnt lgkmcnt(0)
	v_cmp_ne_u64_e32 vcc, s[72:73], v[37:38]
	v_ashrrev_i32_e32 v52, 31, v38
	v_cndmask_b32_e32 v60, v133, v38, vcc
	v_cndmask_b32_e32 v59, -1, v37, vcc
	v_lshrrev_b64 v[59:60], s88, v[59:60]
	v_cmp_gt_i64_e32 vcc, 0, v[37:38]
	v_and_b32_e32 v48, s97, v59
	v_lshlrev_b32_e32 v48, 2, v48
	ds_read_b32 v48, v48
	v_cndmask_b32_e64 v42, v133, 0, vcc
	v_xor_b32_e32 v38, v42, v38
	v_not_b32_e32 v52, v52
	v_xor_b32_e32 v37, v52, v37
	s_waitcnt lgkmcnt(0)
	v_add_u32_e32 v42, v48, v83
	v_lshlrev_b64 v[42:43], 3, v[42:43]
	v_add_co_u32_e32 v42, vcc, s80, v42
	v_addc_co_u32_e32 v43, vcc, v44, v43, vcc
	global_store_dwordx2 v[42:43], v[37:38], off
	s_or_b64 exec, exec, s[56:57]
	v_cmp_lt_u32_e64 s[56:57], v84, v173
	s_and_saveexec_b64 s[58:59], s[56:57]
	s_cbranch_execz .LBB1123_476
.LBB1123_544:                           ;   in Loop: Header=BB1123_388 Depth=2
	ds_read_b64 v[37:38], v104 offset:19456
	v_mov_b32_e32 v43, v3
	v_mov_b32_e32 v44, s81
	s_waitcnt lgkmcnt(0)
	v_cmp_ne_u64_e32 vcc, s[72:73], v[37:38]
	v_ashrrev_i32_e32 v52, 31, v38
	v_cndmask_b32_e32 v60, v133, v38, vcc
	v_cndmask_b32_e32 v59, -1, v37, vcc
	v_lshrrev_b64 v[59:60], s88, v[59:60]
	v_cmp_gt_i64_e32 vcc, 0, v[37:38]
	v_and_b32_e32 v48, s97, v59
	v_lshlrev_b32_e32 v48, 2, v48
	ds_read_b32 v48, v48
	v_cndmask_b32_e64 v42, v133, 0, vcc
	v_xor_b32_e32 v38, v42, v38
	v_not_b32_e32 v52, v52
	v_xor_b32_e32 v37, v52, v37
	s_waitcnt lgkmcnt(0)
	v_add_u32_e32 v42, v48, v84
	v_lshlrev_b64 v[42:43], 3, v[42:43]
	v_add_co_u32_e32 v42, vcc, s80, v42
	v_addc_co_u32_e32 v43, vcc, v44, v43, vcc
	global_store_dwordx2 v[42:43], v[37:38], off
	s_or_b64 exec, exec, s[58:59]
	v_cmp_lt_u32_e64 s[58:59], v85, v173
	s_and_saveexec_b64 s[60:61], s[58:59]
	s_cbranch_execz .LBB1123_477
.LBB1123_545:                           ;   in Loop: Header=BB1123_388 Depth=2
	ds_read_b64 v[37:38], v104 offset:21504
	v_mov_b32_e32 v43, v3
	v_mov_b32_e32 v44, s81
	s_waitcnt lgkmcnt(0)
	v_cmp_ne_u64_e32 vcc, s[72:73], v[37:38]
	v_ashrrev_i32_e32 v52, 31, v38
	v_cndmask_b32_e32 v60, v133, v38, vcc
	v_cndmask_b32_e32 v59, -1, v37, vcc
	v_lshrrev_b64 v[59:60], s88, v[59:60]
	v_cmp_gt_i64_e32 vcc, 0, v[37:38]
	v_and_b32_e32 v48, s97, v59
	v_lshlrev_b32_e32 v48, 2, v48
	ds_read_b32 v48, v48
	v_cndmask_b32_e64 v42, v133, 0, vcc
	v_xor_b32_e32 v38, v42, v38
	v_not_b32_e32 v52, v52
	v_xor_b32_e32 v37, v52, v37
	s_waitcnt lgkmcnt(0)
	v_add_u32_e32 v42, v48, v85
	v_lshlrev_b64 v[42:43], 3, v[42:43]
	v_add_co_u32_e32 v42, vcc, s80, v42
	v_addc_co_u32_e32 v43, vcc, v44, v43, vcc
	global_store_dwordx2 v[42:43], v[37:38], off
	s_or_b64 exec, exec, s[60:61]
	v_cmp_lt_u32_e64 s[60:61], v86, v173
	s_and_saveexec_b64 s[62:63], s[60:61]
	s_cbranch_execz .LBB1123_478
.LBB1123_546:                           ;   in Loop: Header=BB1123_388 Depth=2
	ds_read_b64 v[37:38], v104 offset:23552
	v_mov_b32_e32 v43, v3
	v_mov_b32_e32 v44, s81
	s_waitcnt lgkmcnt(0)
	v_cmp_ne_u64_e32 vcc, s[72:73], v[37:38]
	v_ashrrev_i32_e32 v52, 31, v38
	v_cndmask_b32_e32 v60, v133, v38, vcc
	v_cndmask_b32_e32 v59, -1, v37, vcc
	v_lshrrev_b64 v[59:60], s88, v[59:60]
	v_cmp_gt_i64_e32 vcc, 0, v[37:38]
	v_and_b32_e32 v48, s97, v59
	v_lshlrev_b32_e32 v48, 2, v48
	ds_read_b32 v48, v48
	v_cndmask_b32_e64 v42, v133, 0, vcc
	v_xor_b32_e32 v38, v42, v38
	v_not_b32_e32 v52, v52
	v_xor_b32_e32 v37, v52, v37
	s_waitcnt lgkmcnt(0)
	v_add_u32_e32 v42, v48, v86
	v_lshlrev_b64 v[42:43], 3, v[42:43]
	v_add_co_u32_e32 v42, vcc, s80, v42
	v_addc_co_u32_e32 v43, vcc, v44, v43, vcc
	global_store_dwordx2 v[42:43], v[37:38], off
	s_or_b64 exec, exec, s[62:63]
	v_cmp_lt_u32_e64 s[62:63], v87, v173
	s_and_saveexec_b64 s[64:65], s[62:63]
	s_cbranch_execz .LBB1123_479
.LBB1123_547:                           ;   in Loop: Header=BB1123_388 Depth=2
	ds_read_b64 v[37:38], v104 offset:25600
	v_mov_b32_e32 v43, v3
	v_mov_b32_e32 v44, s81
	s_waitcnt lgkmcnt(0)
	v_cmp_ne_u64_e32 vcc, s[72:73], v[37:38]
	v_ashrrev_i32_e32 v52, 31, v38
	v_cndmask_b32_e32 v60, v133, v38, vcc
	v_cndmask_b32_e32 v59, -1, v37, vcc
	v_lshrrev_b64 v[59:60], s88, v[59:60]
	v_cmp_gt_i64_e32 vcc, 0, v[37:38]
	v_and_b32_e32 v48, s97, v59
	v_lshlrev_b32_e32 v48, 2, v48
	ds_read_b32 v48, v48
	v_cndmask_b32_e64 v42, v133, 0, vcc
	v_xor_b32_e32 v38, v42, v38
	v_not_b32_e32 v52, v52
	v_xor_b32_e32 v37, v52, v37
	s_waitcnt lgkmcnt(0)
	v_add_u32_e32 v42, v48, v87
	v_lshlrev_b64 v[42:43], 3, v[42:43]
	v_add_co_u32_e32 v42, vcc, s80, v42
	v_addc_co_u32_e32 v43, vcc, v44, v43, vcc
	global_store_dwordx2 v[42:43], v[37:38], off
	s_or_b64 exec, exec, s[64:65]
	v_cmp_lt_u32_e64 s[64:65], v88, v173
	s_and_saveexec_b64 s[66:67], s[64:65]
	s_cbranch_execz .LBB1123_480
.LBB1123_548:                           ;   in Loop: Header=BB1123_388 Depth=2
	ds_read_b64 v[37:38], v104 offset:27648
	v_mov_b32_e32 v43, v3
	v_mov_b32_e32 v44, s81
	s_waitcnt lgkmcnt(0)
	v_cmp_ne_u64_e32 vcc, s[72:73], v[37:38]
	v_ashrrev_i32_e32 v52, 31, v38
	v_cndmask_b32_e32 v60, v133, v38, vcc
	v_cndmask_b32_e32 v59, -1, v37, vcc
	v_lshrrev_b64 v[59:60], s88, v[59:60]
	v_cmp_gt_i64_e32 vcc, 0, v[37:38]
	v_and_b32_e32 v48, s97, v59
	v_lshlrev_b32_e32 v48, 2, v48
	ds_read_b32 v48, v48
	v_cndmask_b32_e64 v42, v133, 0, vcc
	v_xor_b32_e32 v38, v42, v38
	v_not_b32_e32 v52, v52
	v_xor_b32_e32 v37, v52, v37
	s_waitcnt lgkmcnt(0)
	v_add_u32_e32 v42, v48, v88
	v_lshlrev_b64 v[42:43], 3, v[42:43]
	v_add_co_u32_e32 v42, vcc, s80, v42
	v_addc_co_u32_e32 v43, vcc, v44, v43, vcc
	global_store_dwordx2 v[42:43], v[37:38], off
	s_or_b64 exec, exec, s[66:67]
	v_cmp_lt_u32_e64 s[66:67], v89, v173
	s_and_saveexec_b64 s[68:69], s[66:67]
	s_cbranch_execz .LBB1123_481
.LBB1123_549:                           ;   in Loop: Header=BB1123_388 Depth=2
	ds_read_b64 v[37:38], v104 offset:29696
	v_mov_b32_e32 v43, v3
	v_mov_b32_e32 v44, s81
	s_waitcnt lgkmcnt(0)
	v_cmp_ne_u64_e32 vcc, s[72:73], v[37:38]
	v_ashrrev_i32_e32 v52, 31, v38
	v_cndmask_b32_e32 v60, v133, v38, vcc
	v_cndmask_b32_e32 v59, -1, v37, vcc
	v_lshrrev_b64 v[59:60], s88, v[59:60]
	v_cmp_gt_i64_e32 vcc, 0, v[37:38]
	v_and_b32_e32 v48, s97, v59
	v_lshlrev_b32_e32 v48, 2, v48
	ds_read_b32 v48, v48
	v_cndmask_b32_e64 v42, v133, 0, vcc
	v_xor_b32_e32 v38, v42, v38
	v_not_b32_e32 v52, v52
	v_xor_b32_e32 v37, v52, v37
	s_waitcnt lgkmcnt(0)
	v_add_u32_e32 v42, v48, v89
	v_lshlrev_b64 v[42:43], 3, v[42:43]
	v_add_co_u32_e32 v42, vcc, s80, v42
	v_addc_co_u32_e32 v43, vcc, v44, v43, vcc
	global_store_dwordx2 v[42:43], v[37:38], off
	s_or_b64 exec, exec, s[68:69]
	v_cmp_lt_u32_e64 s[68:69], v90, v173
	s_and_saveexec_b64 s[92:93], s[68:69]
	s_cbranch_execnz .LBB1123_482
	s_branch .LBB1123_483
.LBB1123_550:                           ;   in Loop: Header=BB1123_388 Depth=2
	global_load_dwordx2 v[35:36], v[37:38], off
	s_or_b64 exec, exec, s[82:83]
	v_cmp_lt_u32_e32 vcc, v149, v173
	s_and_saveexec_b64 s[82:83], vcc
	s_cbranch_execz .LBB1123_485
.LBB1123_551:                           ;   in Loop: Header=BB1123_388 Depth=2
	global_load_dwordx2 v[33:34], v[37:38], off offset:512
	s_or_b64 exec, exec, s[82:83]
	v_cmp_lt_u32_e32 vcc, v151, v173
	s_and_saveexec_b64 s[82:83], vcc
	s_cbranch_execz .LBB1123_486
.LBB1123_552:                           ;   in Loop: Header=BB1123_388 Depth=2
	global_load_dwordx2 v[31:32], v[37:38], off offset:1024
	s_or_b64 exec, exec, s[82:83]
	v_cmp_lt_u32_e32 vcc, v153, v173
	s_and_saveexec_b64 s[82:83], vcc
	s_cbranch_execz .LBB1123_487
.LBB1123_553:                           ;   in Loop: Header=BB1123_388 Depth=2
	global_load_dwordx2 v[27:28], v[37:38], off offset:1536
	s_or_b64 exec, exec, s[82:83]
	v_cmp_lt_u32_e32 vcc, v155, v173
	s_and_saveexec_b64 s[82:83], vcc
	s_cbranch_execz .LBB1123_488
.LBB1123_554:                           ;   in Loop: Header=BB1123_388 Depth=2
	global_load_dwordx2 v[23:24], v[37:38], off offset:2048
	s_or_b64 exec, exec, s[82:83]
	v_cmp_lt_u32_e32 vcc, v157, v173
	s_and_saveexec_b64 s[82:83], vcc
	s_cbranch_execz .LBB1123_489
.LBB1123_555:                           ;   in Loop: Header=BB1123_388 Depth=2
	global_load_dwordx2 v[19:20], v[37:38], off offset:2560
	s_or_b64 exec, exec, s[82:83]
	v_cmp_lt_u32_e32 vcc, v159, v173
	s_and_saveexec_b64 s[82:83], vcc
	s_cbranch_execz .LBB1123_490
.LBB1123_556:                           ;   in Loop: Header=BB1123_388 Depth=2
	global_load_dwordx2 v[15:16], v[37:38], off offset:3072
	s_or_b64 exec, exec, s[82:83]
	v_cmp_lt_u32_e32 vcc, v161, v173
	s_and_saveexec_b64 s[82:83], vcc
	s_cbranch_execz .LBB1123_491
.LBB1123_557:                           ;   in Loop: Header=BB1123_388 Depth=2
	global_load_dwordx2 v[11:12], v[37:38], off offset:3584
	s_or_b64 exec, exec, s[82:83]
	v_cmp_lt_u32_e32 vcc, v162, v173
	s_and_saveexec_b64 s[82:83], vcc
	s_cbranch_execz .LBB1123_492
.LBB1123_558:                           ;   in Loop: Header=BB1123_388 Depth=2
	v_add_co_u32_e32 v29, vcc, 0x1000, v37
	v_addc_co_u32_e32 v30, vcc, 0, v38, vcc
	global_load_dwordx2 v[29:30], v[29:30], off
	s_or_b64 exec, exec, s[82:83]
	v_cmp_lt_u32_e32 vcc, v163, v173
	s_and_saveexec_b64 s[82:83], vcc
	s_cbranch_execz .LBB1123_493
.LBB1123_559:                           ;   in Loop: Header=BB1123_388 Depth=2
	v_add_co_u32_e32 v25, vcc, 0x1000, v37
	v_addc_co_u32_e32 v26, vcc, 0, v38, vcc
	global_load_dwordx2 v[25:26], v[25:26], off offset:512
	s_or_b64 exec, exec, s[82:83]
	v_cmp_lt_u32_e32 vcc, v164, v173
	s_and_saveexec_b64 s[82:83], vcc
	s_cbranch_execz .LBB1123_494
.LBB1123_560:                           ;   in Loop: Header=BB1123_388 Depth=2
	v_add_co_u32_e32 v21, vcc, 0x1000, v37
	v_addc_co_u32_e32 v22, vcc, 0, v38, vcc
	global_load_dwordx2 v[21:22], v[21:22], off offset:1024
	s_or_b64 exec, exec, s[82:83]
	v_cmp_lt_u32_e32 vcc, v165, v173
	s_and_saveexec_b64 s[82:83], vcc
	s_cbranch_execz .LBB1123_495
.LBB1123_561:                           ;   in Loop: Header=BB1123_388 Depth=2
	v_add_co_u32_e32 v17, vcc, 0x1000, v37
	v_addc_co_u32_e32 v18, vcc, 0, v38, vcc
	global_load_dwordx2 v[17:18], v[17:18], off offset:1536
	s_or_b64 exec, exec, s[82:83]
	v_cmp_lt_u32_e32 vcc, v166, v173
	s_and_saveexec_b64 s[82:83], vcc
	s_cbranch_execz .LBB1123_496
.LBB1123_562:                           ;   in Loop: Header=BB1123_388 Depth=2
	v_add_co_u32_e32 v13, vcc, 0x1000, v37
	v_addc_co_u32_e32 v14, vcc, 0, v38, vcc
	global_load_dwordx2 v[13:14], v[13:14], off offset:2048
	s_or_b64 exec, exec, s[82:83]
	v_cmp_lt_u32_e32 vcc, v167, v173
	s_and_saveexec_b64 s[82:83], vcc
	s_cbranch_execz .LBB1123_497
.LBB1123_563:                           ;   in Loop: Header=BB1123_388 Depth=2
	v_add_co_u32_e32 v9, vcc, 0x1000, v37
	v_addc_co_u32_e32 v10, vcc, 0, v38, vcc
	global_load_dwordx2 v[9:10], v[9:10], off offset:2560
	s_or_b64 exec, exec, s[82:83]
	v_cmp_lt_u32_e32 vcc, v168, v173
	s_and_saveexec_b64 s[82:83], vcc
	s_cbranch_execz .LBB1123_498
.LBB1123_564:                           ;   in Loop: Header=BB1123_388 Depth=2
	v_add_co_u32_e32 v7, vcc, 0x1000, v37
	v_addc_co_u32_e32 v8, vcc, 0, v38, vcc
	global_load_dwordx2 v[7:8], v[7:8], off offset:3072
	s_or_b64 exec, exec, s[82:83]
	v_cmp_lt_u32_e32 vcc, v169, v173
	s_and_saveexec_b64 s[82:83], vcc
	s_cbranch_execz .LBB1123_499
.LBB1123_565:                           ;   in Loop: Header=BB1123_388 Depth=2
	v_add_co_u32_e32 v5, vcc, 0x1000, v37
	v_addc_co_u32_e32 v6, vcc, 0, v38, vcc
	global_load_dwordx2 v[5:6], v[5:6], off offset:3584
	s_or_b64 exec, exec, s[82:83]
	s_and_saveexec_b64 s[82:83], s[38:39]
	s_cbranch_execz .LBB1123_500
.LBB1123_566:                           ;   in Loop: Header=BB1123_388 Depth=2
	ds_read_b64 v[37:38], v104 offset:1024
	s_waitcnt lgkmcnt(0)
	v_cmp_ne_u64_e32 vcc, s[72:73], v[37:38]
	v_cndmask_b32_e32 v38, v133, v38, vcc
	v_cndmask_b32_e32 v37, -1, v37, vcc
	v_lshrrev_b64 v[37:38], s88, v[37:38]
	v_and_b32_e32 v160, s97, v37
	s_or_b64 exec, exec, s[82:83]
	s_and_saveexec_b64 s[82:83], s[40:41]
	s_cbranch_execz .LBB1123_501
.LBB1123_567:                           ;   in Loop: Header=BB1123_388 Depth=2
	ds_read_b64 v[37:38], v104 offset:3072
	s_waitcnt lgkmcnt(0)
	v_cmp_ne_u64_e32 vcc, s[72:73], v[37:38]
	v_cndmask_b32_e32 v38, v133, v38, vcc
	v_cndmask_b32_e32 v37, -1, v37, vcc
	v_lshrrev_b64 v[37:38], s88, v[37:38]
	v_and_b32_e32 v158, s97, v37
	s_or_b64 exec, exec, s[82:83]
	s_and_saveexec_b64 s[82:83], s[42:43]
	s_cbranch_execz .LBB1123_502
.LBB1123_568:                           ;   in Loop: Header=BB1123_388 Depth=2
	ds_read_b64 v[37:38], v104 offset:5120
	s_waitcnt lgkmcnt(0)
	v_cmp_ne_u64_e32 vcc, s[72:73], v[37:38]
	v_cndmask_b32_e32 v38, v133, v38, vcc
	v_cndmask_b32_e32 v37, -1, v37, vcc
	v_lshrrev_b64 v[37:38], s88, v[37:38]
	v_and_b32_e32 v156, s97, v37
	s_or_b64 exec, exec, s[82:83]
	s_and_saveexec_b64 s[82:83], s[44:45]
	s_cbranch_execz .LBB1123_503
.LBB1123_569:                           ;   in Loop: Header=BB1123_388 Depth=2
	ds_read_b64 v[37:38], v104 offset:7168
	s_waitcnt lgkmcnt(0)
	v_cmp_ne_u64_e32 vcc, s[72:73], v[37:38]
	v_cndmask_b32_e32 v38, v133, v38, vcc
	v_cndmask_b32_e32 v37, -1, v37, vcc
	v_lshrrev_b64 v[37:38], s88, v[37:38]
	v_and_b32_e32 v154, s97, v37
	s_or_b64 exec, exec, s[82:83]
	s_and_saveexec_b64 s[82:83], s[46:47]
	s_cbranch_execz .LBB1123_504
.LBB1123_570:                           ;   in Loop: Header=BB1123_388 Depth=2
	ds_read_b64 v[37:38], v104 offset:9216
	s_waitcnt lgkmcnt(0)
	v_cmp_ne_u64_e32 vcc, s[72:73], v[37:38]
	v_cndmask_b32_e32 v38, v133, v38, vcc
	v_cndmask_b32_e32 v37, -1, v37, vcc
	v_lshrrev_b64 v[37:38], s88, v[37:38]
	v_and_b32_e32 v152, s97, v37
	s_or_b64 exec, exec, s[82:83]
	s_and_saveexec_b64 s[82:83], s[48:49]
	s_cbranch_execz .LBB1123_505
.LBB1123_571:                           ;   in Loop: Header=BB1123_388 Depth=2
	ds_read_b64 v[37:38], v104 offset:11264
	s_waitcnt lgkmcnt(0)
	v_cmp_ne_u64_e32 vcc, s[72:73], v[37:38]
	v_cndmask_b32_e32 v38, v133, v38, vcc
	v_cndmask_b32_e32 v37, -1, v37, vcc
	v_lshrrev_b64 v[37:38], s88, v[37:38]
	v_and_b32_e32 v150, s97, v37
	s_or_b64 exec, exec, s[82:83]
	s_and_saveexec_b64 s[82:83], s[50:51]
	s_cbranch_execz .LBB1123_506
.LBB1123_572:                           ;   in Loop: Header=BB1123_388 Depth=2
	ds_read_b64 v[37:38], v104 offset:13312
	s_waitcnt lgkmcnt(0)
	v_cmp_ne_u64_e32 vcc, s[72:73], v[37:38]
	v_cndmask_b32_e32 v38, v133, v38, vcc
	v_cndmask_b32_e32 v37, -1, v37, vcc
	v_lshrrev_b64 v[37:38], s88, v[37:38]
	v_and_b32_e32 v148, s97, v37
	s_or_b64 exec, exec, s[82:83]
	s_and_saveexec_b64 s[82:83], s[52:53]
	s_cbranch_execz .LBB1123_507
.LBB1123_573:                           ;   in Loop: Header=BB1123_388 Depth=2
	ds_read_b64 v[37:38], v104 offset:15360
	s_waitcnt lgkmcnt(0)
	v_cmp_ne_u64_e32 vcc, s[72:73], v[37:38]
	v_cndmask_b32_e32 v38, v133, v38, vcc
	v_cndmask_b32_e32 v37, -1, v37, vcc
	v_lshrrev_b64 v[37:38], s88, v[37:38]
	v_and_b32_e32 v146, s97, v37
	s_or_b64 exec, exec, s[82:83]
	s_and_saveexec_b64 s[82:83], s[54:55]
	s_cbranch_execz .LBB1123_508
.LBB1123_574:                           ;   in Loop: Header=BB1123_388 Depth=2
	ds_read_b64 v[37:38], v104 offset:17408
	s_waitcnt lgkmcnt(0)
	v_cmp_ne_u64_e32 vcc, s[72:73], v[37:38]
	v_cndmask_b32_e32 v38, v133, v38, vcc
	v_cndmask_b32_e32 v37, -1, v37, vcc
	v_lshrrev_b64 v[37:38], s88, v[37:38]
	v_and_b32_e32 v144, s97, v37
	s_or_b64 exec, exec, s[82:83]
	s_and_saveexec_b64 s[82:83], s[56:57]
	s_cbranch_execz .LBB1123_509
.LBB1123_575:                           ;   in Loop: Header=BB1123_388 Depth=2
	ds_read_b64 v[37:38], v104 offset:19456
	s_waitcnt lgkmcnt(0)
	v_cmp_ne_u64_e32 vcc, s[72:73], v[37:38]
	v_cndmask_b32_e32 v38, v133, v38, vcc
	v_cndmask_b32_e32 v37, -1, v37, vcc
	v_lshrrev_b64 v[37:38], s88, v[37:38]
	v_and_b32_e32 v142, s97, v37
	s_or_b64 exec, exec, s[82:83]
	s_and_saveexec_b64 s[82:83], s[58:59]
	s_cbranch_execz .LBB1123_510
.LBB1123_576:                           ;   in Loop: Header=BB1123_388 Depth=2
	ds_read_b64 v[37:38], v104 offset:21504
	s_waitcnt lgkmcnt(0)
	v_cmp_ne_u64_e32 vcc, s[72:73], v[37:38]
	v_cndmask_b32_e32 v38, v133, v38, vcc
	v_cndmask_b32_e32 v37, -1, v37, vcc
	v_lshrrev_b64 v[37:38], s88, v[37:38]
	v_and_b32_e32 v141, s97, v37
	s_or_b64 exec, exec, s[82:83]
	s_and_saveexec_b64 s[82:83], s[60:61]
	s_cbranch_execz .LBB1123_511
.LBB1123_577:                           ;   in Loop: Header=BB1123_388 Depth=2
	ds_read_b64 v[37:38], v104 offset:23552
	s_waitcnt lgkmcnt(0)
	v_cmp_ne_u64_e32 vcc, s[72:73], v[37:38]
	v_cndmask_b32_e32 v38, v133, v38, vcc
	v_cndmask_b32_e32 v37, -1, v37, vcc
	v_lshrrev_b64 v[37:38], s88, v[37:38]
	v_and_b32_e32 v140, s97, v37
	s_or_b64 exec, exec, s[82:83]
	s_and_saveexec_b64 s[82:83], s[62:63]
	s_cbranch_execz .LBB1123_512
.LBB1123_578:                           ;   in Loop: Header=BB1123_388 Depth=2
	ds_read_b64 v[37:38], v104 offset:25600
	s_waitcnt lgkmcnt(0)
	v_cmp_ne_u64_e32 vcc, s[72:73], v[37:38]
	v_cndmask_b32_e32 v38, v133, v38, vcc
	v_cndmask_b32_e32 v37, -1, v37, vcc
	v_lshrrev_b64 v[37:38], s88, v[37:38]
	v_and_b32_e32 v139, s97, v37
	s_or_b64 exec, exec, s[82:83]
	s_and_saveexec_b64 s[82:83], s[64:65]
	s_cbranch_execz .LBB1123_513
.LBB1123_579:                           ;   in Loop: Header=BB1123_388 Depth=2
	ds_read_b64 v[37:38], v104 offset:27648
	s_waitcnt lgkmcnt(0)
	v_cmp_ne_u64_e32 vcc, s[72:73], v[37:38]
	v_cndmask_b32_e32 v38, v133, v38, vcc
	v_cndmask_b32_e32 v37, -1, v37, vcc
	v_lshrrev_b64 v[37:38], s88, v[37:38]
	v_and_b32_e32 v138, s97, v37
	s_or_b64 exec, exec, s[82:83]
	s_and_saveexec_b64 s[82:83], s[66:67]
	s_cbranch_execz .LBB1123_514
.LBB1123_580:                           ;   in Loop: Header=BB1123_388 Depth=2
	ds_read_b64 v[37:38], v104 offset:29696
	s_waitcnt lgkmcnt(0)
	v_cmp_ne_u64_e32 vcc, s[72:73], v[37:38]
	v_cndmask_b32_e32 v38, v133, v38, vcc
	v_cndmask_b32_e32 v37, -1, v37, vcc
	v_lshrrev_b64 v[37:38], s88, v[37:38]
	v_and_b32_e32 v137, s97, v37
	s_or_b64 exec, exec, s[82:83]
	s_and_saveexec_b64 s[82:83], s[68:69]
	s_cbranch_execnz .LBB1123_515
	s_branch .LBB1123_516
.LBB1123_581:                           ;   in Loop: Header=BB1123_388 Depth=2
	v_lshlrev_b32_e32 v37, 2, v160
	ds_read_b32 v39, v37
	ds_read_b64 v[37:38], v104 offset:1024
	v_mov_b32_e32 v40, v3
	v_mov_b32_e32 v41, s87
	s_waitcnt lgkmcnt(1)
	v_add_u32_e32 v39, v39, v0
	v_lshlrev_b64 v[39:40], 3, v[39:40]
	v_add_co_u32_e32 v39, vcc, s86, v39
	v_addc_co_u32_e32 v40, vcc, v41, v40, vcc
	s_waitcnt lgkmcnt(0)
	global_store_dwordx2 v[39:40], v[37:38], off
	s_or_b64 exec, exec, s[82:83]
	s_and_saveexec_b64 s[38:39], s[40:41]
	s_cbranch_execz .LBB1123_518
.LBB1123_582:                           ;   in Loop: Header=BB1123_388 Depth=2
	v_lshlrev_b32_e32 v37, 2, v158
	ds_read_b32 v39, v37
	ds_read_b64 v[37:38], v104 offset:3072
	v_mov_b32_e32 v40, v3
	v_mov_b32_e32 v41, s87
	s_waitcnt lgkmcnt(1)
	v_add_u32_e32 v39, v39, v74
	v_lshlrev_b64 v[39:40], 3, v[39:40]
	v_add_co_u32_e32 v39, vcc, s86, v39
	v_addc_co_u32_e32 v40, vcc, v41, v40, vcc
	s_waitcnt lgkmcnt(0)
	global_store_dwordx2 v[39:40], v[37:38], off
	s_or_b64 exec, exec, s[38:39]
	s_and_saveexec_b64 s[38:39], s[42:43]
	s_cbranch_execz .LBB1123_519
.LBB1123_583:                           ;   in Loop: Header=BB1123_388 Depth=2
	v_lshlrev_b32_e32 v37, 2, v156
	ds_read_b32 v39, v37
	ds_read_b64 v[37:38], v104 offset:5120
	v_mov_b32_e32 v40, v3
	v_mov_b32_e32 v41, s87
	s_waitcnt lgkmcnt(1)
	v_add_u32_e32 v39, v39, v75
	v_lshlrev_b64 v[39:40], 3, v[39:40]
	v_add_co_u32_e32 v39, vcc, s86, v39
	v_addc_co_u32_e32 v40, vcc, v41, v40, vcc
	s_waitcnt lgkmcnt(0)
	global_store_dwordx2 v[39:40], v[37:38], off
	s_or_b64 exec, exec, s[38:39]
	s_and_saveexec_b64 s[38:39], s[44:45]
	s_cbranch_execz .LBB1123_520
.LBB1123_584:                           ;   in Loop: Header=BB1123_388 Depth=2
	v_lshlrev_b32_e32 v37, 2, v154
	ds_read_b32 v39, v37
	ds_read_b64 v[37:38], v104 offset:7168
	v_mov_b32_e32 v40, v3
	v_mov_b32_e32 v41, s87
	s_waitcnt lgkmcnt(1)
	v_add_u32_e32 v39, v39, v76
	v_lshlrev_b64 v[39:40], 3, v[39:40]
	v_add_co_u32_e32 v39, vcc, s86, v39
	v_addc_co_u32_e32 v40, vcc, v41, v40, vcc
	s_waitcnt lgkmcnt(0)
	global_store_dwordx2 v[39:40], v[37:38], off
	s_or_b64 exec, exec, s[38:39]
	s_and_saveexec_b64 s[38:39], s[46:47]
	s_cbranch_execz .LBB1123_521
.LBB1123_585:                           ;   in Loop: Header=BB1123_388 Depth=2
	v_lshlrev_b32_e32 v37, 2, v152
	ds_read_b32 v39, v37
	ds_read_b64 v[37:38], v104 offset:9216
	v_mov_b32_e32 v40, v3
	v_mov_b32_e32 v41, s87
	s_waitcnt lgkmcnt(1)
	v_add_u32_e32 v39, v39, v79
	v_lshlrev_b64 v[39:40], 3, v[39:40]
	v_add_co_u32_e32 v39, vcc, s86, v39
	v_addc_co_u32_e32 v40, vcc, v41, v40, vcc
	s_waitcnt lgkmcnt(0)
	global_store_dwordx2 v[39:40], v[37:38], off
	s_or_b64 exec, exec, s[38:39]
	s_and_saveexec_b64 s[38:39], s[48:49]
	s_cbranch_execz .LBB1123_522
.LBB1123_586:                           ;   in Loop: Header=BB1123_388 Depth=2
	v_lshlrev_b32_e32 v37, 2, v150
	ds_read_b32 v39, v37
	ds_read_b64 v[37:38], v104 offset:11264
	v_mov_b32_e32 v40, v3
	v_mov_b32_e32 v41, s87
	s_waitcnt lgkmcnt(1)
	v_add_u32_e32 v39, v39, v80
	v_lshlrev_b64 v[39:40], 3, v[39:40]
	v_add_co_u32_e32 v39, vcc, s86, v39
	v_addc_co_u32_e32 v40, vcc, v41, v40, vcc
	s_waitcnt lgkmcnt(0)
	global_store_dwordx2 v[39:40], v[37:38], off
	s_or_b64 exec, exec, s[38:39]
	s_and_saveexec_b64 s[38:39], s[50:51]
	s_cbranch_execz .LBB1123_523
.LBB1123_587:                           ;   in Loop: Header=BB1123_388 Depth=2
	v_lshlrev_b32_e32 v37, 2, v148
	ds_read_b32 v39, v37
	ds_read_b64 v[37:38], v104 offset:13312
	v_mov_b32_e32 v40, v3
	v_mov_b32_e32 v41, s87
	s_waitcnt lgkmcnt(1)
	v_add_u32_e32 v39, v39, v81
	v_lshlrev_b64 v[39:40], 3, v[39:40]
	v_add_co_u32_e32 v39, vcc, s86, v39
	v_addc_co_u32_e32 v40, vcc, v41, v40, vcc
	s_waitcnt lgkmcnt(0)
	global_store_dwordx2 v[39:40], v[37:38], off
	s_or_b64 exec, exec, s[38:39]
	s_and_saveexec_b64 s[38:39], s[52:53]
	s_cbranch_execz .LBB1123_524
.LBB1123_588:                           ;   in Loop: Header=BB1123_388 Depth=2
	v_lshlrev_b32_e32 v37, 2, v146
	ds_read_b32 v39, v37
	ds_read_b64 v[37:38], v104 offset:15360
	v_mov_b32_e32 v40, v3
	v_mov_b32_e32 v41, s87
	s_waitcnt lgkmcnt(1)
	v_add_u32_e32 v39, v39, v82
	v_lshlrev_b64 v[39:40], 3, v[39:40]
	v_add_co_u32_e32 v39, vcc, s86, v39
	v_addc_co_u32_e32 v40, vcc, v41, v40, vcc
	s_waitcnt lgkmcnt(0)
	global_store_dwordx2 v[39:40], v[37:38], off
	s_or_b64 exec, exec, s[38:39]
	s_and_saveexec_b64 s[38:39], s[54:55]
	s_cbranch_execz .LBB1123_525
.LBB1123_589:                           ;   in Loop: Header=BB1123_388 Depth=2
	v_lshlrev_b32_e32 v37, 2, v144
	ds_read_b32 v39, v37
	ds_read_b64 v[37:38], v104 offset:17408
	v_mov_b32_e32 v40, v3
	v_mov_b32_e32 v41, s87
	s_waitcnt lgkmcnt(1)
	v_add_u32_e32 v39, v39, v83
	v_lshlrev_b64 v[39:40], 3, v[39:40]
	v_add_co_u32_e32 v39, vcc, s86, v39
	v_addc_co_u32_e32 v40, vcc, v41, v40, vcc
	s_waitcnt lgkmcnt(0)
	global_store_dwordx2 v[39:40], v[37:38], off
	s_or_b64 exec, exec, s[38:39]
	s_and_saveexec_b64 s[38:39], s[56:57]
	s_cbranch_execz .LBB1123_526
.LBB1123_590:                           ;   in Loop: Header=BB1123_388 Depth=2
	v_lshlrev_b32_e32 v37, 2, v142
	ds_read_b32 v39, v37
	ds_read_b64 v[37:38], v104 offset:19456
	v_mov_b32_e32 v40, v3
	v_mov_b32_e32 v41, s87
	s_waitcnt lgkmcnt(1)
	v_add_u32_e32 v39, v39, v84
	v_lshlrev_b64 v[39:40], 3, v[39:40]
	v_add_co_u32_e32 v39, vcc, s86, v39
	v_addc_co_u32_e32 v40, vcc, v41, v40, vcc
	s_waitcnt lgkmcnt(0)
	global_store_dwordx2 v[39:40], v[37:38], off
	s_or_b64 exec, exec, s[38:39]
	s_and_saveexec_b64 s[38:39], s[58:59]
	s_cbranch_execz .LBB1123_527
.LBB1123_591:                           ;   in Loop: Header=BB1123_388 Depth=2
	v_lshlrev_b32_e32 v37, 2, v141
	ds_read_b32 v39, v37
	ds_read_b64 v[37:38], v104 offset:21504
	v_mov_b32_e32 v40, v3
	v_mov_b32_e32 v41, s87
	s_waitcnt lgkmcnt(1)
	v_add_u32_e32 v39, v39, v85
	v_lshlrev_b64 v[39:40], 3, v[39:40]
	v_add_co_u32_e32 v39, vcc, s86, v39
	v_addc_co_u32_e32 v40, vcc, v41, v40, vcc
	s_waitcnt lgkmcnt(0)
	global_store_dwordx2 v[39:40], v[37:38], off
	s_or_b64 exec, exec, s[38:39]
	s_and_saveexec_b64 s[38:39], s[60:61]
	s_cbranch_execz .LBB1123_528
.LBB1123_592:                           ;   in Loop: Header=BB1123_388 Depth=2
	v_lshlrev_b32_e32 v37, 2, v140
	ds_read_b32 v39, v37
	ds_read_b64 v[37:38], v104 offset:23552
	v_mov_b32_e32 v40, v3
	v_mov_b32_e32 v41, s87
	s_waitcnt lgkmcnt(1)
	v_add_u32_e32 v39, v39, v86
	v_lshlrev_b64 v[39:40], 3, v[39:40]
	v_add_co_u32_e32 v39, vcc, s86, v39
	v_addc_co_u32_e32 v40, vcc, v41, v40, vcc
	s_waitcnt lgkmcnt(0)
	global_store_dwordx2 v[39:40], v[37:38], off
	s_or_b64 exec, exec, s[38:39]
	s_and_saveexec_b64 s[38:39], s[62:63]
	s_cbranch_execz .LBB1123_529
.LBB1123_593:                           ;   in Loop: Header=BB1123_388 Depth=2
	v_lshlrev_b32_e32 v37, 2, v139
	ds_read_b32 v39, v37
	ds_read_b64 v[37:38], v104 offset:25600
	v_mov_b32_e32 v40, v3
	v_mov_b32_e32 v41, s87
	s_waitcnt lgkmcnt(1)
	v_add_u32_e32 v39, v39, v87
	v_lshlrev_b64 v[39:40], 3, v[39:40]
	v_add_co_u32_e32 v39, vcc, s86, v39
	v_addc_co_u32_e32 v40, vcc, v41, v40, vcc
	s_waitcnt lgkmcnt(0)
	global_store_dwordx2 v[39:40], v[37:38], off
	s_or_b64 exec, exec, s[38:39]
	s_and_saveexec_b64 s[38:39], s[64:65]
	s_cbranch_execz .LBB1123_530
.LBB1123_594:                           ;   in Loop: Header=BB1123_388 Depth=2
	v_lshlrev_b32_e32 v37, 2, v138
	ds_read_b32 v39, v37
	ds_read_b64 v[37:38], v104 offset:27648
	v_mov_b32_e32 v40, v3
	v_mov_b32_e32 v41, s87
	s_waitcnt lgkmcnt(1)
	v_add_u32_e32 v39, v39, v88
	v_lshlrev_b64 v[39:40], 3, v[39:40]
	v_add_co_u32_e32 v39, vcc, s86, v39
	v_addc_co_u32_e32 v40, vcc, v41, v40, vcc
	s_waitcnt lgkmcnt(0)
	global_store_dwordx2 v[39:40], v[37:38], off
	s_or_b64 exec, exec, s[38:39]
	s_and_saveexec_b64 s[38:39], s[66:67]
	s_cbranch_execz .LBB1123_531
.LBB1123_595:                           ;   in Loop: Header=BB1123_388 Depth=2
	v_lshlrev_b32_e32 v37, 2, v137
	ds_read_b32 v39, v37
	ds_read_b64 v[37:38], v104 offset:29696
	v_mov_b32_e32 v40, v3
	v_mov_b32_e32 v41, s87
	s_waitcnt lgkmcnt(1)
	v_add_u32_e32 v39, v39, v89
	v_lshlrev_b64 v[39:40], 3, v[39:40]
	v_add_co_u32_e32 v39, vcc, s86, v39
	v_addc_co_u32_e32 v40, vcc, v41, v40, vcc
	s_waitcnt lgkmcnt(0)
	global_store_dwordx2 v[39:40], v[37:38], off
	s_or_b64 exec, exec, s[38:39]
	s_and_saveexec_b64 s[38:39], s[68:69]
	s_cbranch_execnz .LBB1123_532
	s_branch .LBB1123_533
.LBB1123_596:                           ;   in Loop: Header=BB1123_12 Depth=1
	s_waitcnt lgkmcnt(0)
	s_barrier
.LBB1123_597:                           ;   in Loop: Header=BB1123_12 Depth=1
	s_mov_b64 s[18:19], 0
.LBB1123_598:                           ;   in Loop: Header=BB1123_12 Depth=1
	s_andn2_b64 vcc, exec, s[18:19]
	s_cbranch_vccnz .LBB1123_11
; %bb.599:                              ;   in Loop: Header=BB1123_12 Depth=1
	s_lshl_b32 s18, -1, s96
	s_not_b32 s96, s18
	s_mov_b64 s[18:19], -1
	s_and_b64 vcc, exec, s[70:71]
	s_cbranch_vccz .LBB1123_891
; %bb.600:                              ;   in Loop: Header=BB1123_12 Depth=1
	s_mov_b32 s22, s91
	s_mov_b32 s18, s94
	s_barrier
                                        ; implicit-def: $vgpr4_vgpr5
                                        ; implicit-def: $vgpr6_vgpr7
                                        ; implicit-def: $vgpr8_vgpr9
                                        ; implicit-def: $vgpr10_vgpr11
                                        ; implicit-def: $vgpr12_vgpr13
                                        ; implicit-def: $vgpr14_vgpr15
                                        ; implicit-def: $vgpr16_vgpr17
                                        ; implicit-def: $vgpr18_vgpr19
                                        ; implicit-def: $vgpr20_vgpr21
                                        ; implicit-def: $vgpr22_vgpr23
                                        ; implicit-def: $vgpr24_vgpr25
                                        ; implicit-def: $vgpr26_vgpr27
                                        ; implicit-def: $vgpr28_vgpr29
                                        ; implicit-def: $vgpr30_vgpr31
                                        ; implicit-def: $vgpr32_vgpr33
                                        ; implicit-def: $vgpr34_vgpr35
	s_branch .LBB1123_602
.LBB1123_601:                           ;   in Loop: Header=BB1123_602 Depth=2
	s_or_b64 exec, exec, s[18:19]
	s_addk_i32 s22, 0xf000
	s_cmp_ge_u32 s23, s95
	s_mov_b32 s18, s23
	s_cbranch_scc1 .LBB1123_670
.LBB1123_602:                           ;   Parent Loop BB1123_12 Depth=1
                                        ; =>  This Inner Loop Header: Depth=2
	s_add_i32 s23, s18, 0x1000
	s_cmp_gt_u32 s23, s95
	s_mov_b64 s[20:21], -1
                                        ; implicit-def: $vgpr36_vgpr37
                                        ; implicit-def: $vgpr38_vgpr39
                                        ; implicit-def: $vgpr40_vgpr41
                                        ; implicit-def: $vgpr42_vgpr43
                                        ; implicit-def: $vgpr44_vgpr45
                                        ; implicit-def: $vgpr46_vgpr47
                                        ; implicit-def: $vgpr48_vgpr49
                                        ; implicit-def: $vgpr50_vgpr51
                                        ; implicit-def: $vgpr52_vgpr53
                                        ; implicit-def: $vgpr54_vgpr55
                                        ; implicit-def: $vgpr56_vgpr57
                                        ; implicit-def: $vgpr58_vgpr59
                                        ; implicit-def: $vgpr60_vgpr61
                                        ; implicit-def: $vgpr62_vgpr63
                                        ; implicit-def: $vgpr64_vgpr65
                                        ; implicit-def: $vgpr66_vgpr67
	s_cbranch_scc1 .LBB1123_604
; %bb.603:                              ;   in Loop: Header=BB1123_602 Depth=2
	s_mov_b32 s19, s72
	s_lshl_b64 s[20:21], s[18:19], 3
	v_mov_b32_e32 v36, s21
	v_add_co_u32_e32 v60, vcc, s20, v111
	v_addc_co_u32_e32 v61, vcc, v112, v36, vcc
	v_add_co_u32_e32 v44, vcc, 0x1000, v60
	v_addc_co_u32_e32 v45, vcc, 0, v61, vcc
	;; [unrolled: 2-line block ×6, first 2 shown]
	global_load_dwordx2 v[36:37], v[60:61], off
	global_load_dwordx2 v[38:39], v[60:61], off offset:2048
	global_load_dwordx2 v[40:41], v[44:45], off
	global_load_dwordx2 v[42:43], v[44:45], off offset:2048
	s_nop 0
	global_load_dwordx2 v[44:45], v[52:53], off
	global_load_dwordx2 v[46:47], v[52:53], off offset:2048
	global_load_dwordx2 v[48:49], v[54:55], off
	global_load_dwordx2 v[50:51], v[54:55], off offset:2048
	s_nop 0
	global_load_dwordx2 v[52:53], v[62:63], off
	global_load_dwordx2 v[54:55], v[62:63], off offset:2048
	global_load_dwordx2 v[56:57], v[64:65], off
	global_load_dwordx2 v[58:59], v[64:65], off offset:2048
	v_add_co_u32_e32 v62, vcc, 0x6000, v60
	v_addc_co_u32_e32 v63, vcc, 0, v61, vcc
	v_add_co_u32_e32 v66, vcc, 0x7000, v60
	v_addc_co_u32_e32 v67, vcc, 0, v61, vcc
	global_load_dwordx2 v[60:61], v[62:63], off
	s_nop 0
	global_load_dwordx2 v[62:63], v[62:63], off offset:2048
	s_nop 0
	global_load_dwordx2 v[64:65], v[66:67], off
	s_nop 0
	global_load_dwordx2 v[66:67], v[66:67], off offset:2048
	s_mov_b64 s[20:21], 0
.LBB1123_604:                           ;   in Loop: Header=BB1123_602 Depth=2
	s_andn2_b64 vcc, exec, s[20:21]
	s_movk_i32 s20, 0x1000
	s_cbranch_vccnz .LBB1123_623
; %bb.605:                              ;   in Loop: Header=BB1123_602 Depth=2
	s_mov_b32 s19, s72
	s_lshl_b64 s[18:19], s[18:19], 3
	s_add_u32 s18, s76, s18
	s_addc_u32 s19, s77, s19
	v_cmp_gt_u32_e32 vcc, s22, v0
	s_and_saveexec_b64 s[20:21], vcc
	s_cbranch_execnz .LBB1123_655
; %bb.606:                              ;   in Loop: Header=BB1123_602 Depth=2
	s_or_b64 exec, exec, s[20:21]
	v_cmp_gt_u32_e32 vcc, s22, v74
	s_and_saveexec_b64 s[20:21], vcc
	s_cbranch_execnz .LBB1123_656
.LBB1123_607:                           ;   in Loop: Header=BB1123_602 Depth=2
	s_or_b64 exec, exec, s[20:21]
	v_cmp_gt_u32_e32 vcc, s22, v75
	s_and_saveexec_b64 s[20:21], vcc
	s_cbranch_execnz .LBB1123_657
.LBB1123_608:                           ;   in Loop: Header=BB1123_602 Depth=2
	s_or_b64 exec, exec, s[20:21]
	v_cmp_gt_u32_e32 vcc, s22, v76
	s_and_saveexec_b64 s[20:21], vcc
	s_cbranch_execnz .LBB1123_658
.LBB1123_609:                           ;   in Loop: Header=BB1123_602 Depth=2
	s_or_b64 exec, exec, s[20:21]
	v_cmp_gt_u32_e32 vcc, s22, v79
	s_and_saveexec_b64 s[20:21], vcc
	s_cbranch_execnz .LBB1123_659
.LBB1123_610:                           ;   in Loop: Header=BB1123_602 Depth=2
	s_or_b64 exec, exec, s[20:21]
	v_cmp_gt_u32_e32 vcc, s22, v80
	s_and_saveexec_b64 s[20:21], vcc
	s_cbranch_execnz .LBB1123_660
.LBB1123_611:                           ;   in Loop: Header=BB1123_602 Depth=2
	s_or_b64 exec, exec, s[20:21]
	v_cmp_gt_u32_e32 vcc, s22, v81
	s_and_saveexec_b64 s[20:21], vcc
	s_cbranch_execnz .LBB1123_661
.LBB1123_612:                           ;   in Loop: Header=BB1123_602 Depth=2
	s_or_b64 exec, exec, s[20:21]
	v_cmp_gt_u32_e32 vcc, s22, v82
	s_and_saveexec_b64 s[20:21], vcc
	s_cbranch_execnz .LBB1123_662
.LBB1123_613:                           ;   in Loop: Header=BB1123_602 Depth=2
	s_or_b64 exec, exec, s[20:21]
	v_cmp_gt_u32_e32 vcc, s22, v83
	s_and_saveexec_b64 s[20:21], vcc
	s_cbranch_execnz .LBB1123_663
.LBB1123_614:                           ;   in Loop: Header=BB1123_602 Depth=2
	s_or_b64 exec, exec, s[20:21]
	v_cmp_gt_u32_e32 vcc, s22, v84
	s_and_saveexec_b64 s[20:21], vcc
	s_cbranch_execnz .LBB1123_664
.LBB1123_615:                           ;   in Loop: Header=BB1123_602 Depth=2
	s_or_b64 exec, exec, s[20:21]
	v_cmp_gt_u32_e32 vcc, s22, v85
	s_and_saveexec_b64 s[20:21], vcc
	s_cbranch_execnz .LBB1123_665
.LBB1123_616:                           ;   in Loop: Header=BB1123_602 Depth=2
	s_or_b64 exec, exec, s[20:21]
	v_cmp_gt_u32_e32 vcc, s22, v86
	s_and_saveexec_b64 s[20:21], vcc
	s_cbranch_execnz .LBB1123_666
.LBB1123_617:                           ;   in Loop: Header=BB1123_602 Depth=2
	s_or_b64 exec, exec, s[20:21]
	v_cmp_gt_u32_e32 vcc, s22, v87
	s_and_saveexec_b64 s[20:21], vcc
	s_cbranch_execnz .LBB1123_667
.LBB1123_618:                           ;   in Loop: Header=BB1123_602 Depth=2
	s_or_b64 exec, exec, s[20:21]
	v_cmp_gt_u32_e32 vcc, s22, v88
	s_and_saveexec_b64 s[20:21], vcc
	s_cbranch_execnz .LBB1123_668
.LBB1123_619:                           ;   in Loop: Header=BB1123_602 Depth=2
	s_or_b64 exec, exec, s[20:21]
	v_cmp_gt_u32_e32 vcc, s22, v89
	s_and_saveexec_b64 s[20:21], vcc
	s_cbranch_execnz .LBB1123_669
.LBB1123_620:                           ;   in Loop: Header=BB1123_602 Depth=2
	s_or_b64 exec, exec, s[20:21]
	v_cmp_gt_u32_e32 vcc, s22, v90
	s_and_saveexec_b64 s[20:21], vcc
	s_cbranch_execz .LBB1123_622
.LBB1123_621:                           ;   in Loop: Header=BB1123_602 Depth=2
	global_load_dwordx2 v[4:5], v132, s[18:19]
.LBB1123_622:                           ;   in Loop: Header=BB1123_602 Depth=2
	s_or_b64 exec, exec, s[20:21]
	s_waitcnt vmcnt(0)
	v_mov_b32_e32 v37, v35
	v_mov_b32_e32 v39, v33
	v_mov_b32_e32 v41, v31
	v_mov_b32_e32 v43, v29
	v_mov_b32_e32 v45, v27
	v_mov_b32_e32 v47, v25
	v_mov_b32_e32 v49, v23
	v_mov_b32_e32 v51, v21
	v_mov_b32_e32 v53, v19
	v_mov_b32_e32 v55, v17
	v_mov_b32_e32 v57, v15
	v_mov_b32_e32 v59, v13
	v_mov_b32_e32 v61, v11
	v_mov_b32_e32 v63, v9
	v_mov_b32_e32 v65, v7
	v_mov_b32_e32 v67, v5
	s_mov_b32 s20, s22
	v_mov_b32_e32 v36, v34
	v_mov_b32_e32 v38, v32
	;; [unrolled: 1-line block ×16, first 2 shown]
.LBB1123_623:                           ;   in Loop: Header=BB1123_602 Depth=2
	s_waitcnt vmcnt(0)
	v_mov_b32_e32 v4, v66
	v_mov_b32_e32 v6, v64
	;; [unrolled: 1-line block ×32, first 2 shown]
	v_cmp_gt_u32_e32 vcc, s20, v0
	s_and_saveexec_b64 s[18:19], vcc
	s_cbranch_execnz .LBB1123_639
; %bb.624:                              ;   in Loop: Header=BB1123_602 Depth=2
	s_or_b64 exec, exec, s[18:19]
	v_cmp_gt_u32_e32 vcc, s20, v74
	s_and_saveexec_b64 s[18:19], vcc
	s_cbranch_execnz .LBB1123_640
.LBB1123_625:                           ;   in Loop: Header=BB1123_602 Depth=2
	s_or_b64 exec, exec, s[18:19]
	v_cmp_gt_u32_e32 vcc, s20, v75
	s_and_saveexec_b64 s[18:19], vcc
	s_cbranch_execnz .LBB1123_641
.LBB1123_626:                           ;   in Loop: Header=BB1123_602 Depth=2
	s_or_b64 exec, exec, s[18:19]
	v_cmp_gt_u32_e32 vcc, s20, v76
	s_and_saveexec_b64 s[18:19], vcc
	s_cbranch_execnz .LBB1123_642
.LBB1123_627:                           ;   in Loop: Header=BB1123_602 Depth=2
	s_or_b64 exec, exec, s[18:19]
	v_cmp_gt_u32_e32 vcc, s20, v79
	s_and_saveexec_b64 s[18:19], vcc
	s_cbranch_execnz .LBB1123_643
.LBB1123_628:                           ;   in Loop: Header=BB1123_602 Depth=2
	s_or_b64 exec, exec, s[18:19]
	v_cmp_gt_u32_e32 vcc, s20, v80
	s_and_saveexec_b64 s[18:19], vcc
	s_cbranch_execnz .LBB1123_644
.LBB1123_629:                           ;   in Loop: Header=BB1123_602 Depth=2
	s_or_b64 exec, exec, s[18:19]
	v_cmp_gt_u32_e32 vcc, s20, v81
	s_and_saveexec_b64 s[18:19], vcc
	s_cbranch_execnz .LBB1123_645
.LBB1123_630:                           ;   in Loop: Header=BB1123_602 Depth=2
	s_or_b64 exec, exec, s[18:19]
	v_cmp_gt_u32_e32 vcc, s20, v82
	s_and_saveexec_b64 s[18:19], vcc
	s_cbranch_execnz .LBB1123_646
.LBB1123_631:                           ;   in Loop: Header=BB1123_602 Depth=2
	s_or_b64 exec, exec, s[18:19]
	v_cmp_gt_u32_e32 vcc, s20, v83
	s_and_saveexec_b64 s[18:19], vcc
	s_cbranch_execnz .LBB1123_647
.LBB1123_632:                           ;   in Loop: Header=BB1123_602 Depth=2
	s_or_b64 exec, exec, s[18:19]
	v_cmp_gt_u32_e32 vcc, s20, v84
	s_and_saveexec_b64 s[18:19], vcc
	s_cbranch_execnz .LBB1123_648
.LBB1123_633:                           ;   in Loop: Header=BB1123_602 Depth=2
	s_or_b64 exec, exec, s[18:19]
	v_cmp_gt_u32_e32 vcc, s20, v85
	s_and_saveexec_b64 s[18:19], vcc
	s_cbranch_execnz .LBB1123_649
.LBB1123_634:                           ;   in Loop: Header=BB1123_602 Depth=2
	s_or_b64 exec, exec, s[18:19]
	v_cmp_gt_u32_e32 vcc, s20, v86
	s_and_saveexec_b64 s[18:19], vcc
	s_cbranch_execnz .LBB1123_650
.LBB1123_635:                           ;   in Loop: Header=BB1123_602 Depth=2
	s_or_b64 exec, exec, s[18:19]
	v_cmp_gt_u32_e32 vcc, s20, v87
	s_and_saveexec_b64 s[18:19], vcc
	s_cbranch_execnz .LBB1123_651
.LBB1123_636:                           ;   in Loop: Header=BB1123_602 Depth=2
	s_or_b64 exec, exec, s[18:19]
	v_cmp_gt_u32_e32 vcc, s20, v88
	s_and_saveexec_b64 s[18:19], vcc
	s_cbranch_execnz .LBB1123_652
.LBB1123_637:                           ;   in Loop: Header=BB1123_602 Depth=2
	s_or_b64 exec, exec, s[18:19]
	v_cmp_gt_u32_e32 vcc, s20, v89
	s_and_saveexec_b64 s[18:19], vcc
	s_cbranch_execnz .LBB1123_653
.LBB1123_638:                           ;   in Loop: Header=BB1123_602 Depth=2
	s_or_b64 exec, exec, s[18:19]
	v_cmp_gt_u32_e32 vcc, s20, v90
	s_and_saveexec_b64 s[18:19], vcc
	s_cbranch_execz .LBB1123_601
	s_branch .LBB1123_654
.LBB1123_639:                           ;   in Loop: Header=BB1123_602 Depth=2
	v_cmp_gt_i64_e32 vcc, 0, v[34:35]
	v_ashrrev_i32_e32 v37, 31, v35
	v_cndmask_b32_e64 v36, v133, 0, vcc
	v_not_b32_e32 v38, v37
	v_xor_b32_e32 v37, v36, v35
	v_xor_b32_e32 v36, v38, v34
	v_cmp_ne_u64_e32 vcc, s[72:73], v[36:37]
	v_cndmask_b32_e32 v37, v133, v37, vcc
	v_cndmask_b32_e32 v36, -1, v36, vcc
	v_lshrrev_b64 v[36:37], s7, v[36:37]
	v_and_b32_e32 v36, s96, v36
	v_lshl_or_b32 v36, v36, 4, v91
	ds_add_u32 v36, v117
	s_or_b64 exec, exec, s[18:19]
	v_cmp_gt_u32_e32 vcc, s20, v74
	s_and_saveexec_b64 s[18:19], vcc
	s_cbranch_execz .LBB1123_625
.LBB1123_640:                           ;   in Loop: Header=BB1123_602 Depth=2
	v_cmp_gt_i64_e32 vcc, 0, v[32:33]
	v_ashrrev_i32_e32 v37, 31, v33
	v_cndmask_b32_e64 v36, v133, 0, vcc
	v_not_b32_e32 v38, v37
	v_xor_b32_e32 v37, v36, v33
	v_xor_b32_e32 v36, v38, v32
	v_cmp_ne_u64_e32 vcc, s[72:73], v[36:37]
	v_cndmask_b32_e32 v37, v133, v37, vcc
	v_cndmask_b32_e32 v36, -1, v36, vcc
	v_lshrrev_b64 v[36:37], s7, v[36:37]
	v_and_b32_e32 v36, s96, v36
	v_lshl_or_b32 v36, v36, 4, v91
	ds_add_u32 v36, v117
	s_or_b64 exec, exec, s[18:19]
	v_cmp_gt_u32_e32 vcc, s20, v75
	s_and_saveexec_b64 s[18:19], vcc
	s_cbranch_execz .LBB1123_626
.LBB1123_641:                           ;   in Loop: Header=BB1123_602 Depth=2
	v_cmp_gt_i64_e32 vcc, 0, v[30:31]
	v_ashrrev_i32_e32 v37, 31, v31
	v_cndmask_b32_e64 v36, v133, 0, vcc
	v_not_b32_e32 v38, v37
	v_xor_b32_e32 v37, v36, v31
	v_xor_b32_e32 v36, v38, v30
	v_cmp_ne_u64_e32 vcc, s[72:73], v[36:37]
	v_cndmask_b32_e32 v37, v133, v37, vcc
	v_cndmask_b32_e32 v36, -1, v36, vcc
	v_lshrrev_b64 v[36:37], s7, v[36:37]
	v_and_b32_e32 v36, s96, v36
	v_lshl_or_b32 v36, v36, 4, v91
	ds_add_u32 v36, v117
	s_or_b64 exec, exec, s[18:19]
	v_cmp_gt_u32_e32 vcc, s20, v76
	s_and_saveexec_b64 s[18:19], vcc
	s_cbranch_execz .LBB1123_627
.LBB1123_642:                           ;   in Loop: Header=BB1123_602 Depth=2
	v_cmp_gt_i64_e32 vcc, 0, v[28:29]
	v_ashrrev_i32_e32 v37, 31, v29
	v_cndmask_b32_e64 v36, v133, 0, vcc
	v_not_b32_e32 v38, v37
	v_xor_b32_e32 v37, v36, v29
	v_xor_b32_e32 v36, v38, v28
	v_cmp_ne_u64_e32 vcc, s[72:73], v[36:37]
	v_cndmask_b32_e32 v37, v133, v37, vcc
	v_cndmask_b32_e32 v36, -1, v36, vcc
	v_lshrrev_b64 v[36:37], s7, v[36:37]
	v_and_b32_e32 v36, s96, v36
	v_lshl_or_b32 v36, v36, 4, v91
	ds_add_u32 v36, v117
	s_or_b64 exec, exec, s[18:19]
	v_cmp_gt_u32_e32 vcc, s20, v79
	s_and_saveexec_b64 s[18:19], vcc
	s_cbranch_execz .LBB1123_628
.LBB1123_643:                           ;   in Loop: Header=BB1123_602 Depth=2
	v_cmp_gt_i64_e32 vcc, 0, v[26:27]
	v_ashrrev_i32_e32 v37, 31, v27
	v_cndmask_b32_e64 v36, v133, 0, vcc
	v_not_b32_e32 v38, v37
	v_xor_b32_e32 v37, v36, v27
	v_xor_b32_e32 v36, v38, v26
	v_cmp_ne_u64_e32 vcc, s[72:73], v[36:37]
	v_cndmask_b32_e32 v37, v133, v37, vcc
	v_cndmask_b32_e32 v36, -1, v36, vcc
	v_lshrrev_b64 v[36:37], s7, v[36:37]
	v_and_b32_e32 v36, s96, v36
	v_lshl_or_b32 v36, v36, 4, v91
	ds_add_u32 v36, v117
	s_or_b64 exec, exec, s[18:19]
	v_cmp_gt_u32_e32 vcc, s20, v80
	s_and_saveexec_b64 s[18:19], vcc
	s_cbranch_execz .LBB1123_629
.LBB1123_644:                           ;   in Loop: Header=BB1123_602 Depth=2
	v_cmp_gt_i64_e32 vcc, 0, v[24:25]
	v_ashrrev_i32_e32 v37, 31, v25
	v_cndmask_b32_e64 v36, v133, 0, vcc
	v_not_b32_e32 v38, v37
	v_xor_b32_e32 v37, v36, v25
	v_xor_b32_e32 v36, v38, v24
	v_cmp_ne_u64_e32 vcc, s[72:73], v[36:37]
	v_cndmask_b32_e32 v37, v133, v37, vcc
	v_cndmask_b32_e32 v36, -1, v36, vcc
	v_lshrrev_b64 v[36:37], s7, v[36:37]
	v_and_b32_e32 v36, s96, v36
	v_lshl_or_b32 v36, v36, 4, v91
	ds_add_u32 v36, v117
	s_or_b64 exec, exec, s[18:19]
	v_cmp_gt_u32_e32 vcc, s20, v81
	s_and_saveexec_b64 s[18:19], vcc
	s_cbranch_execz .LBB1123_630
.LBB1123_645:                           ;   in Loop: Header=BB1123_602 Depth=2
	v_cmp_gt_i64_e32 vcc, 0, v[22:23]
	v_ashrrev_i32_e32 v37, 31, v23
	v_cndmask_b32_e64 v36, v133, 0, vcc
	v_not_b32_e32 v38, v37
	v_xor_b32_e32 v37, v36, v23
	v_xor_b32_e32 v36, v38, v22
	v_cmp_ne_u64_e32 vcc, s[72:73], v[36:37]
	v_cndmask_b32_e32 v37, v133, v37, vcc
	v_cndmask_b32_e32 v36, -1, v36, vcc
	v_lshrrev_b64 v[36:37], s7, v[36:37]
	v_and_b32_e32 v36, s96, v36
	v_lshl_or_b32 v36, v36, 4, v91
	ds_add_u32 v36, v117
	s_or_b64 exec, exec, s[18:19]
	v_cmp_gt_u32_e32 vcc, s20, v82
	s_and_saveexec_b64 s[18:19], vcc
	s_cbranch_execz .LBB1123_631
.LBB1123_646:                           ;   in Loop: Header=BB1123_602 Depth=2
	v_cmp_gt_i64_e32 vcc, 0, v[20:21]
	v_ashrrev_i32_e32 v37, 31, v21
	v_cndmask_b32_e64 v36, v133, 0, vcc
	v_not_b32_e32 v38, v37
	v_xor_b32_e32 v37, v36, v21
	v_xor_b32_e32 v36, v38, v20
	v_cmp_ne_u64_e32 vcc, s[72:73], v[36:37]
	v_cndmask_b32_e32 v37, v133, v37, vcc
	v_cndmask_b32_e32 v36, -1, v36, vcc
	v_lshrrev_b64 v[36:37], s7, v[36:37]
	v_and_b32_e32 v36, s96, v36
	v_lshl_or_b32 v36, v36, 4, v91
	ds_add_u32 v36, v117
	s_or_b64 exec, exec, s[18:19]
	v_cmp_gt_u32_e32 vcc, s20, v83
	s_and_saveexec_b64 s[18:19], vcc
	s_cbranch_execz .LBB1123_632
.LBB1123_647:                           ;   in Loop: Header=BB1123_602 Depth=2
	v_cmp_gt_i64_e32 vcc, 0, v[18:19]
	v_ashrrev_i32_e32 v37, 31, v19
	v_cndmask_b32_e64 v36, v133, 0, vcc
	v_not_b32_e32 v38, v37
	v_xor_b32_e32 v37, v36, v19
	v_xor_b32_e32 v36, v38, v18
	v_cmp_ne_u64_e32 vcc, s[72:73], v[36:37]
	v_cndmask_b32_e32 v37, v133, v37, vcc
	v_cndmask_b32_e32 v36, -1, v36, vcc
	v_lshrrev_b64 v[36:37], s7, v[36:37]
	v_and_b32_e32 v36, s96, v36
	v_lshl_or_b32 v36, v36, 4, v91
	ds_add_u32 v36, v117
	s_or_b64 exec, exec, s[18:19]
	v_cmp_gt_u32_e32 vcc, s20, v84
	s_and_saveexec_b64 s[18:19], vcc
	s_cbranch_execz .LBB1123_633
.LBB1123_648:                           ;   in Loop: Header=BB1123_602 Depth=2
	v_cmp_gt_i64_e32 vcc, 0, v[16:17]
	v_ashrrev_i32_e32 v37, 31, v17
	v_cndmask_b32_e64 v36, v133, 0, vcc
	v_not_b32_e32 v38, v37
	v_xor_b32_e32 v37, v36, v17
	v_xor_b32_e32 v36, v38, v16
	v_cmp_ne_u64_e32 vcc, s[72:73], v[36:37]
	v_cndmask_b32_e32 v37, v133, v37, vcc
	v_cndmask_b32_e32 v36, -1, v36, vcc
	v_lshrrev_b64 v[36:37], s7, v[36:37]
	v_and_b32_e32 v36, s96, v36
	v_lshl_or_b32 v36, v36, 4, v91
	ds_add_u32 v36, v117
	s_or_b64 exec, exec, s[18:19]
	v_cmp_gt_u32_e32 vcc, s20, v85
	s_and_saveexec_b64 s[18:19], vcc
	s_cbranch_execz .LBB1123_634
.LBB1123_649:                           ;   in Loop: Header=BB1123_602 Depth=2
	v_cmp_gt_i64_e32 vcc, 0, v[14:15]
	v_ashrrev_i32_e32 v37, 31, v15
	v_cndmask_b32_e64 v36, v133, 0, vcc
	v_not_b32_e32 v38, v37
	v_xor_b32_e32 v37, v36, v15
	v_xor_b32_e32 v36, v38, v14
	v_cmp_ne_u64_e32 vcc, s[72:73], v[36:37]
	v_cndmask_b32_e32 v37, v133, v37, vcc
	v_cndmask_b32_e32 v36, -1, v36, vcc
	v_lshrrev_b64 v[36:37], s7, v[36:37]
	v_and_b32_e32 v36, s96, v36
	v_lshl_or_b32 v36, v36, 4, v91
	ds_add_u32 v36, v117
	s_or_b64 exec, exec, s[18:19]
	v_cmp_gt_u32_e32 vcc, s20, v86
	s_and_saveexec_b64 s[18:19], vcc
	s_cbranch_execz .LBB1123_635
.LBB1123_650:                           ;   in Loop: Header=BB1123_602 Depth=2
	v_cmp_gt_i64_e32 vcc, 0, v[12:13]
	v_ashrrev_i32_e32 v37, 31, v13
	v_cndmask_b32_e64 v36, v133, 0, vcc
	v_not_b32_e32 v38, v37
	v_xor_b32_e32 v37, v36, v13
	v_xor_b32_e32 v36, v38, v12
	v_cmp_ne_u64_e32 vcc, s[72:73], v[36:37]
	v_cndmask_b32_e32 v37, v133, v37, vcc
	v_cndmask_b32_e32 v36, -1, v36, vcc
	v_lshrrev_b64 v[36:37], s7, v[36:37]
	v_and_b32_e32 v36, s96, v36
	v_lshl_or_b32 v36, v36, 4, v91
	ds_add_u32 v36, v117
	s_or_b64 exec, exec, s[18:19]
	v_cmp_gt_u32_e32 vcc, s20, v87
	s_and_saveexec_b64 s[18:19], vcc
	s_cbranch_execz .LBB1123_636
.LBB1123_651:                           ;   in Loop: Header=BB1123_602 Depth=2
	v_cmp_gt_i64_e32 vcc, 0, v[10:11]
	v_ashrrev_i32_e32 v37, 31, v11
	v_cndmask_b32_e64 v36, v133, 0, vcc
	v_not_b32_e32 v38, v37
	v_xor_b32_e32 v37, v36, v11
	v_xor_b32_e32 v36, v38, v10
	v_cmp_ne_u64_e32 vcc, s[72:73], v[36:37]
	v_cndmask_b32_e32 v37, v133, v37, vcc
	v_cndmask_b32_e32 v36, -1, v36, vcc
	v_lshrrev_b64 v[36:37], s7, v[36:37]
	v_and_b32_e32 v36, s96, v36
	v_lshl_or_b32 v36, v36, 4, v91
	ds_add_u32 v36, v117
	s_or_b64 exec, exec, s[18:19]
	v_cmp_gt_u32_e32 vcc, s20, v88
	s_and_saveexec_b64 s[18:19], vcc
	s_cbranch_execz .LBB1123_637
.LBB1123_652:                           ;   in Loop: Header=BB1123_602 Depth=2
	v_cmp_gt_i64_e32 vcc, 0, v[8:9]
	v_ashrrev_i32_e32 v37, 31, v9
	v_cndmask_b32_e64 v36, v133, 0, vcc
	v_not_b32_e32 v38, v37
	v_xor_b32_e32 v37, v36, v9
	v_xor_b32_e32 v36, v38, v8
	v_cmp_ne_u64_e32 vcc, s[72:73], v[36:37]
	v_cndmask_b32_e32 v37, v133, v37, vcc
	v_cndmask_b32_e32 v36, -1, v36, vcc
	v_lshrrev_b64 v[36:37], s7, v[36:37]
	v_and_b32_e32 v36, s96, v36
	v_lshl_or_b32 v36, v36, 4, v91
	ds_add_u32 v36, v117
	s_or_b64 exec, exec, s[18:19]
	v_cmp_gt_u32_e32 vcc, s20, v89
	s_and_saveexec_b64 s[18:19], vcc
	s_cbranch_execz .LBB1123_638
.LBB1123_653:                           ;   in Loop: Header=BB1123_602 Depth=2
	v_cmp_gt_i64_e32 vcc, 0, v[6:7]
	v_ashrrev_i32_e32 v37, 31, v7
	v_cndmask_b32_e64 v36, v133, 0, vcc
	v_not_b32_e32 v38, v37
	v_xor_b32_e32 v37, v36, v7
	v_xor_b32_e32 v36, v38, v6
	v_cmp_ne_u64_e32 vcc, s[72:73], v[36:37]
	v_cndmask_b32_e32 v37, v133, v37, vcc
	v_cndmask_b32_e32 v36, -1, v36, vcc
	v_lshrrev_b64 v[36:37], s7, v[36:37]
	v_and_b32_e32 v36, s96, v36
	v_lshl_or_b32 v36, v36, 4, v91
	ds_add_u32 v36, v117
	s_or_b64 exec, exec, s[18:19]
	v_cmp_gt_u32_e32 vcc, s20, v90
	s_and_saveexec_b64 s[18:19], vcc
	s_cbranch_execz .LBB1123_601
.LBB1123_654:                           ;   in Loop: Header=BB1123_602 Depth=2
	v_cmp_gt_i64_e32 vcc, 0, v[4:5]
	v_ashrrev_i32_e32 v37, 31, v5
	v_cndmask_b32_e64 v36, v133, 0, vcc
	v_not_b32_e32 v38, v37
	v_xor_b32_e32 v37, v36, v5
	v_xor_b32_e32 v36, v38, v4
	v_cmp_ne_u64_e32 vcc, s[72:73], v[36:37]
	v_cndmask_b32_e32 v37, v133, v37, vcc
	v_cndmask_b32_e32 v36, -1, v36, vcc
	v_lshrrev_b64 v[36:37], s7, v[36:37]
	v_and_b32_e32 v36, s96, v36
	v_lshl_or_b32 v36, v36, 4, v91
	ds_add_u32 v36, v117
	s_branch .LBB1123_601
.LBB1123_655:                           ;   in Loop: Header=BB1123_602 Depth=2
	global_load_dwordx2 v[34:35], v118, s[18:19]
	s_or_b64 exec, exec, s[20:21]
	v_cmp_gt_u32_e32 vcc, s22, v74
	s_and_saveexec_b64 s[20:21], vcc
	s_cbranch_execz .LBB1123_607
.LBB1123_656:                           ;   in Loop: Header=BB1123_602 Depth=2
	global_load_dwordx2 v[32:33], v118, s[18:19] offset:2048
	s_or_b64 exec, exec, s[20:21]
	v_cmp_gt_u32_e32 vcc, s22, v75
	s_and_saveexec_b64 s[20:21], vcc
	s_cbranch_execz .LBB1123_608
.LBB1123_657:                           ;   in Loop: Header=BB1123_602 Depth=2
	global_load_dwordx2 v[30:31], v119, s[18:19]
	s_or_b64 exec, exec, s[20:21]
	v_cmp_gt_u32_e32 vcc, s22, v76
	s_and_saveexec_b64 s[20:21], vcc
	s_cbranch_execz .LBB1123_609
.LBB1123_658:                           ;   in Loop: Header=BB1123_602 Depth=2
	global_load_dwordx2 v[28:29], v120, s[18:19]
	s_or_b64 exec, exec, s[20:21]
	v_cmp_gt_u32_e32 vcc, s22, v79
	s_and_saveexec_b64 s[20:21], vcc
	s_cbranch_execz .LBB1123_610
.LBB1123_659:                           ;   in Loop: Header=BB1123_602 Depth=2
	global_load_dwordx2 v[26:27], v121, s[18:19]
	s_or_b64 exec, exec, s[20:21]
	v_cmp_gt_u32_e32 vcc, s22, v80
	s_and_saveexec_b64 s[20:21], vcc
	s_cbranch_execz .LBB1123_611
.LBB1123_660:                           ;   in Loop: Header=BB1123_602 Depth=2
	global_load_dwordx2 v[24:25], v122, s[18:19]
	s_or_b64 exec, exec, s[20:21]
	v_cmp_gt_u32_e32 vcc, s22, v81
	s_and_saveexec_b64 s[20:21], vcc
	s_cbranch_execz .LBB1123_612
.LBB1123_661:                           ;   in Loop: Header=BB1123_602 Depth=2
	global_load_dwordx2 v[22:23], v123, s[18:19]
	s_or_b64 exec, exec, s[20:21]
	v_cmp_gt_u32_e32 vcc, s22, v82
	s_and_saveexec_b64 s[20:21], vcc
	s_cbranch_execz .LBB1123_613
.LBB1123_662:                           ;   in Loop: Header=BB1123_602 Depth=2
	global_load_dwordx2 v[20:21], v124, s[18:19]
	s_or_b64 exec, exec, s[20:21]
	v_cmp_gt_u32_e32 vcc, s22, v83
	s_and_saveexec_b64 s[20:21], vcc
	s_cbranch_execz .LBB1123_614
.LBB1123_663:                           ;   in Loop: Header=BB1123_602 Depth=2
	global_load_dwordx2 v[18:19], v125, s[18:19]
	s_or_b64 exec, exec, s[20:21]
	v_cmp_gt_u32_e32 vcc, s22, v84
	s_and_saveexec_b64 s[20:21], vcc
	s_cbranch_execz .LBB1123_615
.LBB1123_664:                           ;   in Loop: Header=BB1123_602 Depth=2
	global_load_dwordx2 v[16:17], v126, s[18:19]
	s_or_b64 exec, exec, s[20:21]
	v_cmp_gt_u32_e32 vcc, s22, v85
	s_and_saveexec_b64 s[20:21], vcc
	s_cbranch_execz .LBB1123_616
.LBB1123_665:                           ;   in Loop: Header=BB1123_602 Depth=2
	global_load_dwordx2 v[14:15], v127, s[18:19]
	s_or_b64 exec, exec, s[20:21]
	v_cmp_gt_u32_e32 vcc, s22, v86
	s_and_saveexec_b64 s[20:21], vcc
	s_cbranch_execz .LBB1123_617
.LBB1123_666:                           ;   in Loop: Header=BB1123_602 Depth=2
	global_load_dwordx2 v[12:13], v128, s[18:19]
	s_or_b64 exec, exec, s[20:21]
	v_cmp_gt_u32_e32 vcc, s22, v87
	s_and_saveexec_b64 s[20:21], vcc
	s_cbranch_execz .LBB1123_618
.LBB1123_667:                           ;   in Loop: Header=BB1123_602 Depth=2
	global_load_dwordx2 v[10:11], v129, s[18:19]
	s_or_b64 exec, exec, s[20:21]
	v_cmp_gt_u32_e32 vcc, s22, v88
	s_and_saveexec_b64 s[20:21], vcc
	s_cbranch_execz .LBB1123_619
.LBB1123_668:                           ;   in Loop: Header=BB1123_602 Depth=2
	global_load_dwordx2 v[8:9], v130, s[18:19]
	s_or_b64 exec, exec, s[20:21]
	v_cmp_gt_u32_e32 vcc, s22, v89
	s_and_saveexec_b64 s[20:21], vcc
	s_cbranch_execz .LBB1123_620
.LBB1123_669:                           ;   in Loop: Header=BB1123_602 Depth=2
	global_load_dwordx2 v[6:7], v131, s[18:19]
	s_or_b64 exec, exec, s[20:21]
	v_cmp_gt_u32_e32 vcc, s22, v90
	s_and_saveexec_b64 s[20:21], vcc
	s_cbranch_execnz .LBB1123_621
	s_branch .LBB1123_622
.LBB1123_670:                           ;   in Loop: Header=BB1123_12 Depth=1
	v_mov_b32_e32 v4, 0
	s_waitcnt lgkmcnt(0)
	s_barrier
	s_and_saveexec_b64 s[18:19], s[4:5]
	s_cbranch_execz .LBB1123_672
; %bb.671:                              ;   in Loop: Header=BB1123_12 Depth=1
	ds_read2_b64 v[4:7], v92 offset1:1
	s_waitcnt lgkmcnt(0)
	v_add_u32_e32 v4, v5, v4
	v_add3_u32 v4, v4, v6, v7
.LBB1123_672:                           ;   in Loop: Header=BB1123_12 Depth=1
	s_or_b64 exec, exec, s[18:19]
	v_and_b32_e32 v5, 15, v134
	v_mov_b32_dpp v6, v4 row_shr:1 row_mask:0xf bank_mask:0xf
	v_cmp_eq_u32_e64 s[18:19], 0, v5
	v_cndmask_b32_e64 v6, v6, 0, s[18:19]
	v_add_u32_e32 v4, v6, v4
	v_cmp_lt_u32_e64 s[20:21], 1, v5
	v_cmp_lt_u32_e64 s[22:23], 3, v5
	v_mov_b32_dpp v6, v4 row_shr:2 row_mask:0xf bank_mask:0xf
	v_cndmask_b32_e64 v6, 0, v6, s[20:21]
	v_add_u32_e32 v4, v4, v6
	v_cmp_lt_u32_e64 s[24:25], 7, v5
	v_cmp_lt_u32_e64 s[28:29], 31, v134
	v_mov_b32_dpp v6, v4 row_shr:4 row_mask:0xf bank_mask:0xf
	v_cndmask_b32_e64 v6, 0, v6, s[22:23]
	v_add_u32_e32 v4, v4, v6
	v_and_b32_e32 v7, 16, v134
	v_cmp_eq_u32_e64 s[26:27], 0, v7
	v_mov_b32_dpp v6, v4 row_shr:8 row_mask:0xf bank_mask:0xf
	v_cndmask_b32_e64 v5, 0, v6, s[24:25]
	v_add_u32_e32 v4, v4, v5
	v_bfe_i32 v6, v134, 4, 1
	s_nop 0
	v_mov_b32_dpp v5, v4 row_bcast:15 row_mask:0xf bank_mask:0xf
	v_and_b32_e32 v5, v6, v5
	v_add_u32_e32 v4, v4, v5
	s_nop 1
	v_mov_b32_dpp v5, v4 row_bcast:31 row_mask:0xf bank_mask:0xf
	v_cndmask_b32_e64 v5, 0, v5, s[28:29]
	v_add_u32_e32 v5, v4, v5
	s_and_saveexec_b64 s[30:31], s[8:9]
; %bb.673:                              ;   in Loop: Header=BB1123_12 Depth=1
	ds_write_b32 v94, v5
; %bb.674:                              ;   in Loop: Header=BB1123_12 Depth=1
	s_or_b64 exec, exec, s[30:31]
	v_and_b32_e32 v4, 3, v134
	s_waitcnt lgkmcnt(0)
	s_barrier
	s_and_saveexec_b64 s[30:31], s[10:11]
	s_cbranch_execz .LBB1123_676
; %bb.675:                              ;   in Loop: Header=BB1123_12 Depth=1
	ds_read_b32 v6, v95
	v_cmp_ne_u32_e32 vcc, 0, v4
	s_waitcnt lgkmcnt(0)
	v_mov_b32_dpp v7, v6 row_shr:1 row_mask:0xf bank_mask:0xf
	v_cndmask_b32_e32 v7, 0, v7, vcc
	v_add_u32_e32 v6, v7, v6
	v_cmp_lt_u32_e32 vcc, 1, v4
	s_nop 0
	v_mov_b32_dpp v7, v6 row_shr:2 row_mask:0xf bank_mask:0xf
	v_cndmask_b32_e32 v7, 0, v7, vcc
	v_add_u32_e32 v6, v6, v7
	ds_write_b32 v95, v6
.LBB1123_676:                           ;   in Loop: Header=BB1123_12 Depth=1
	s_or_b64 exec, exec, s[30:31]
	v_mov_b32_e32 v6, 0
	s_waitcnt lgkmcnt(0)
	s_barrier
	s_and_saveexec_b64 s[30:31], s[12:13]
; %bb.677:                              ;   in Loop: Header=BB1123_12 Depth=1
	ds_read_b32 v6, v96
; %bb.678:                              ;   in Loop: Header=BB1123_12 Depth=1
	s_or_b64 exec, exec, s[30:31]
	v_subrev_co_u32_e64 v7, s[30:31], 1, v134
	v_and_b32_e32 v8, 64, v134
	v_cmp_lt_i32_e32 vcc, v7, v8
	v_cndmask_b32_e32 v7, v7, v134, vcc
	s_waitcnt lgkmcnt(0)
	v_add_u32_e32 v5, v6, v5
	v_lshlrev_b32_e32 v135, 2, v7
	ds_bpermute_b32 v5, v135, v5
	s_waitcnt lgkmcnt(0)
	s_barrier
	s_and_saveexec_b64 s[34:35], s[4:5]
; %bb.679:                              ;   in Loop: Header=BB1123_12 Depth=1
	v_cndmask_b32_e64 v5, v5, v6, s[30:31]
	v_add_u32_e32 v5, s94, v5
	ds_write_b32 v73, v5
; %bb.680:                              ;   in Loop: Header=BB1123_12 Depth=1
	s_or_b64 exec, exec, s[34:35]
	s_load_dwordx2 s[34:35], s[74:75], 0x0
	s_mov_b32 s97, s91
	s_mov_b32 s82, s94
                                        ; implicit-def: $vgpr5_vgpr6
                                        ; implicit-def: $vgpr7_vgpr8
                                        ; implicit-def: $vgpr9_vgpr10
                                        ; implicit-def: $vgpr13_vgpr14
                                        ; implicit-def: $vgpr17_vgpr18
                                        ; implicit-def: $vgpr21_vgpr22
                                        ; implicit-def: $vgpr25_vgpr26
                                        ; implicit-def: $vgpr29_vgpr30
                                        ; implicit-def: $vgpr11_vgpr12
                                        ; implicit-def: $vgpr15_vgpr16
                                        ; implicit-def: $vgpr19_vgpr20
                                        ; implicit-def: $vgpr23_vgpr24
                                        ; implicit-def: $vgpr27_vgpr28
                                        ; implicit-def: $vgpr31_vgpr32
                                        ; implicit-def: $vgpr33_vgpr34
                                        ; implicit-def: $vgpr35_vgpr36
                                        ; implicit-def: $vgpr136
                                        ; implicit-def: $vgpr137
                                        ; implicit-def: $vgpr138
                                        ; implicit-def: $vgpr139
                                        ; implicit-def: $vgpr140
                                        ; implicit-def: $vgpr141
                                        ; implicit-def: $vgpr142
                                        ; implicit-def: $vgpr144
                                        ; implicit-def: $vgpr146
                                        ; implicit-def: $vgpr148
                                        ; implicit-def: $vgpr150
                                        ; implicit-def: $vgpr152
                                        ; implicit-def: $vgpr154
                                        ; implicit-def: $vgpr156
                                        ; implicit-def: $vgpr158
                                        ; implicit-def: $vgpr160
	s_waitcnt lgkmcnt(0)
	s_cmp_lt_u32 s33, s35
	s_cselect_b32 s35, 14, 20
	s_add_u32 s36, s74, s35
	s_addc_u32 s37, s75, 0
	s_cmp_lt_u32 s6, s34
	s_cselect_b32 s34, 12, 18
	s_add_u32 s34, s74, s34
	global_load_ushort v37, v3, s[36:37]
	s_addc_u32 s35, s75, 0
	global_load_ushort v38, v3, s[34:35]
	v_cmp_eq_u32_e64 s[34:35], 0, v4
	v_cmp_lt_u32_e64 s[36:37], 1, v4
	v_and_b32_e32 v4, 63, v134
	v_lshlrev_b32_e32 v39, 3, v4
	v_or_b32_e32 v143, v4, v97
	v_add_co_u32_e32 v145, vcc, v113, v39
	v_addc_co_u32_e32 v147, vcc, 0, v114, vcc
	v_add_co_u32_e32 v170, vcc, v115, v39
	v_or_b32_e32 v149, 64, v143
	v_or_b32_e32 v151, 0x80, v143
	;; [unrolled: 1-line block ×15, first 2 shown]
	v_addc_co_u32_e32 v171, vcc, 0, v116, vcc
	s_waitcnt vmcnt(1)
	v_mad_u32_u24 v4, v2, v37, v1
	s_waitcnt vmcnt(0)
	v_mad_u64_u32 v[37:38], s[38:39], v4, v38, v[0:1]
	v_lshrrev_b32_e32 v4, 4, v37
	v_and_b32_e32 v172, 0xffffffc, v4
	s_branch .LBB1123_682
.LBB1123_681:                           ;   in Loop: Header=BB1123_682 Depth=2
	s_or_b64 exec, exec, s[38:39]
	s_addk_i32 s97, 0xf000
	s_cmp_lt_u32 s98, s95
	s_mov_b32 s82, s98
	s_cbranch_scc0 .LBB1123_890
.LBB1123_682:                           ;   Parent Loop BB1123_12 Depth=1
                                        ; =>  This Inner Loop Header: Depth=2
	s_add_i32 s98, s82, 0x1000
	s_cmp_gt_u32 s98, s95
	s_cbranch_scc1 .LBB1123_684
; %bb.683:                              ;   in Loop: Header=BB1123_682 Depth=2
	s_mov_b32 s83, s72
	s_lshl_b64 s[38:39], s[82:83], 3
	v_mov_b32_e32 v4, s39
	v_add_co_u32_e32 v41, vcc, s38, v170
	v_addc_co_u32_e32 v42, vcc, v171, v4, vcc
	global_load_dwordx2 v[37:38], v[41:42], off
	global_load_dwordx2 v[39:40], v[41:42], off offset:512
	global_load_dwordx2 v[45:46], v[41:42], off offset:1024
	;; [unrolled: 1-line block ×7, first 2 shown]
	v_add_co_u32_e32 v41, vcc, 0x1000, v41
	v_addc_co_u32_e32 v42, vcc, 0, v42, vcc
	global_load_dwordx2 v[67:68], v[41:42], off
	global_load_dwordx2 v[61:62], v[41:42], off offset:512
	global_load_dwordx2 v[59:60], v[41:42], off offset:1024
	;; [unrolled: 1-line block ×5, first 2 shown]
	s_nop 0
	global_load_dwordx2 v[41:42], v[41:42], off offset:3072
	s_mov_b64 s[38:39], -1
	s_movk_i32 s42, 0x1000
	s_cbranch_execz .LBB1123_685
	s_branch .LBB1123_716
.LBB1123_684:                           ;   in Loop: Header=BB1123_682 Depth=2
	s_mov_b64 s[38:39], 0
                                        ; implicit-def: $vgpr37_vgpr38
                                        ; implicit-def: $vgpr39_vgpr40
                                        ; implicit-def: $vgpr45_vgpr46
                                        ; implicit-def: $vgpr49_vgpr50
                                        ; implicit-def: $vgpr53_vgpr54
                                        ; implicit-def: $vgpr57_vgpr58
                                        ; implicit-def: $vgpr63_vgpr64
                                        ; implicit-def: $vgpr65_vgpr66
                                        ; implicit-def: $vgpr67_vgpr68
                                        ; implicit-def: $vgpr61_vgpr62
                                        ; implicit-def: $vgpr59_vgpr60
                                        ; implicit-def: $vgpr55_vgpr56
                                        ; implicit-def: $vgpr51_vgpr52
                                        ; implicit-def: $vgpr47_vgpr48
                                        ; implicit-def: $vgpr41_vgpr42
	s_movk_i32 s42, 0x1000
.LBB1123_685:                           ;   in Loop: Header=BB1123_682 Depth=2
	s_mov_b32 s83, s72
	s_lshl_b64 s[38:39], s[82:83], 3
	v_mov_b32_e32 v4, s39
	v_add_co_u32_e32 v43, vcc, s38, v170
	v_addc_co_u32_e32 v44, vcc, v171, v4, vcc
	s_waitcnt vmcnt(13)
	v_mov_b32_e32 v39, -1
	v_mov_b32_e32 v37, -1
	;; [unrolled: 1-line block ×4, first 2 shown]
	v_cmp_gt_u32_e32 vcc, s97, v143
	s_and_saveexec_b64 s[38:39], vcc
	s_cbranch_execz .LBB1123_687
; %bb.686:                              ;   in Loop: Header=BB1123_682 Depth=2
	global_load_dwordx2 v[37:38], v[43:44], off
.LBB1123_687:                           ;   in Loop: Header=BB1123_682 Depth=2
	s_or_b64 exec, exec, s[38:39]
	v_cmp_gt_u32_e32 vcc, s97, v149
	s_and_saveexec_b64 s[38:39], vcc
	s_cbranch_execz .LBB1123_689
; %bb.688:                              ;   in Loop: Header=BB1123_682 Depth=2
	global_load_dwordx2 v[39:40], v[43:44], off offset:512
.LBB1123_689:                           ;   in Loop: Header=BB1123_682 Depth=2
	s_or_b64 exec, exec, s[38:39]
	s_waitcnt vmcnt(11)
	v_mov_b32_e32 v49, -1
	v_mov_b32_e32 v45, -1
	v_mov_b32_e32 v50, -1
	v_mov_b32_e32 v46, -1
	v_cmp_gt_u32_e32 vcc, s97, v151
	s_and_saveexec_b64 s[38:39], vcc
	s_cbranch_execz .LBB1123_691
; %bb.690:                              ;   in Loop: Header=BB1123_682 Depth=2
	global_load_dwordx2 v[45:46], v[43:44], off offset:1024
.LBB1123_691:                           ;   in Loop: Header=BB1123_682 Depth=2
	s_or_b64 exec, exec, s[38:39]
	v_cmp_gt_u32_e32 vcc, s97, v153
	s_and_saveexec_b64 s[38:39], vcc
	s_cbranch_execz .LBB1123_693
; %bb.692:                              ;   in Loop: Header=BB1123_682 Depth=2
	global_load_dwordx2 v[49:50], v[43:44], off offset:1536
.LBB1123_693:                           ;   in Loop: Header=BB1123_682 Depth=2
	s_or_b64 exec, exec, s[38:39]
	s_waitcnt vmcnt(9)
	v_mov_b32_e32 v57, -1
	v_mov_b32_e32 v53, -1
	v_mov_b32_e32 v58, -1
	v_mov_b32_e32 v54, -1
	v_cmp_gt_u32_e32 vcc, s97, v155
	s_and_saveexec_b64 s[38:39], vcc
	s_cbranch_execz .LBB1123_695
; %bb.694:                              ;   in Loop: Header=BB1123_682 Depth=2
	global_load_dwordx2 v[53:54], v[43:44], off offset:2048
.LBB1123_695:                           ;   in Loop: Header=BB1123_682 Depth=2
	s_or_b64 exec, exec, s[38:39]
	v_cmp_gt_u32_e32 vcc, s97, v157
	s_and_saveexec_b64 s[38:39], vcc
	s_cbranch_execz .LBB1123_697
; %bb.696:                              ;   in Loop: Header=BB1123_682 Depth=2
	global_load_dwordx2 v[57:58], v[43:44], off offset:2560
.LBB1123_697:                           ;   in Loop: Header=BB1123_682 Depth=2
	s_or_b64 exec, exec, s[38:39]
	s_waitcnt vmcnt(7)
	v_mov_b32_e32 v65, -1
	v_mov_b32_e32 v63, -1
	v_mov_b32_e32 v66, -1
	v_mov_b32_e32 v64, -1
	v_cmp_gt_u32_e32 vcc, s97, v159
	s_and_saveexec_b64 s[38:39], vcc
	s_cbranch_execz .LBB1123_699
; %bb.698:                              ;   in Loop: Header=BB1123_682 Depth=2
	global_load_dwordx2 v[63:64], v[43:44], off offset:3072
.LBB1123_699:                           ;   in Loop: Header=BB1123_682 Depth=2
	s_or_b64 exec, exec, s[38:39]
	v_cmp_gt_u32_e32 vcc, s97, v161
	s_and_saveexec_b64 s[38:39], vcc
	s_cbranch_execz .LBB1123_701
; %bb.700:                              ;   in Loop: Header=BB1123_682 Depth=2
	global_load_dwordx2 v[65:66], v[43:44], off offset:3584
.LBB1123_701:                           ;   in Loop: Header=BB1123_682 Depth=2
	s_or_b64 exec, exec, s[38:39]
	s_waitcnt vmcnt(5)
	v_mov_b32_e32 v61, -1
	v_mov_b32_e32 v67, -1
	;; [unrolled: 1-line block ×4, first 2 shown]
	v_cmp_gt_u32_e32 vcc, s97, v162
	s_and_saveexec_b64 s[38:39], vcc
	s_cbranch_execz .LBB1123_703
; %bb.702:                              ;   in Loop: Header=BB1123_682 Depth=2
	s_waitcnt vmcnt(0)
	v_add_co_u32_e32 v41, vcc, 0x1000, v43
	v_addc_co_u32_e32 v42, vcc, 0, v44, vcc
	global_load_dwordx2 v[67:68], v[41:42], off
.LBB1123_703:                           ;   in Loop: Header=BB1123_682 Depth=2
	s_or_b64 exec, exec, s[38:39]
	v_cmp_gt_u32_e32 vcc, s97, v163
	s_and_saveexec_b64 s[38:39], vcc
	s_cbranch_execz .LBB1123_705
; %bb.704:                              ;   in Loop: Header=BB1123_682 Depth=2
	s_waitcnt vmcnt(0)
	v_add_co_u32_e32 v41, vcc, 0x1000, v43
	v_addc_co_u32_e32 v42, vcc, 0, v44, vcc
	global_load_dwordx2 v[61:62], v[41:42], off offset:512
.LBB1123_705:                           ;   in Loop: Header=BB1123_682 Depth=2
	s_or_b64 exec, exec, s[38:39]
	s_waitcnt vmcnt(3)
	v_mov_b32_e32 v55, -1
	v_mov_b32_e32 v59, -1
	;; [unrolled: 1-line block ×4, first 2 shown]
	v_cmp_gt_u32_e32 vcc, s97, v164
	s_and_saveexec_b64 s[38:39], vcc
	s_cbranch_execz .LBB1123_707
; %bb.706:                              ;   in Loop: Header=BB1123_682 Depth=2
	s_waitcnt vmcnt(0)
	v_add_co_u32_e32 v41, vcc, 0x1000, v43
	v_addc_co_u32_e32 v42, vcc, 0, v44, vcc
	global_load_dwordx2 v[59:60], v[41:42], off offset:1024
.LBB1123_707:                           ;   in Loop: Header=BB1123_682 Depth=2
	s_or_b64 exec, exec, s[38:39]
	v_cmp_gt_u32_e32 vcc, s97, v165
	s_and_saveexec_b64 s[38:39], vcc
	s_cbranch_execz .LBB1123_709
; %bb.708:                              ;   in Loop: Header=BB1123_682 Depth=2
	s_waitcnt vmcnt(0)
	v_add_co_u32_e32 v41, vcc, 0x1000, v43
	v_addc_co_u32_e32 v42, vcc, 0, v44, vcc
	global_load_dwordx2 v[55:56], v[41:42], off offset:1536
.LBB1123_709:                           ;   in Loop: Header=BB1123_682 Depth=2
	s_or_b64 exec, exec, s[38:39]
	s_waitcnt vmcnt(1)
	v_mov_b32_e32 v47, -1
	v_mov_b32_e32 v51, -1
	;; [unrolled: 1-line block ×4, first 2 shown]
	v_cmp_gt_u32_e32 vcc, s97, v166
	s_and_saveexec_b64 s[38:39], vcc
	s_cbranch_execz .LBB1123_711
; %bb.710:                              ;   in Loop: Header=BB1123_682 Depth=2
	s_waitcnt vmcnt(0)
	v_add_co_u32_e32 v41, vcc, 0x1000, v43
	v_addc_co_u32_e32 v42, vcc, 0, v44, vcc
	global_load_dwordx2 v[51:52], v[41:42], off offset:2048
.LBB1123_711:                           ;   in Loop: Header=BB1123_682 Depth=2
	s_or_b64 exec, exec, s[38:39]
	v_cmp_gt_u32_e32 vcc, s97, v167
	s_and_saveexec_b64 s[38:39], vcc
	s_cbranch_execz .LBB1123_713
; %bb.712:                              ;   in Loop: Header=BB1123_682 Depth=2
	s_waitcnt vmcnt(0)
	v_add_co_u32_e32 v41, vcc, 0x1000, v43
	v_addc_co_u32_e32 v42, vcc, 0, v44, vcc
	global_load_dwordx2 v[47:48], v[41:42], off offset:2560
.LBB1123_713:                           ;   in Loop: Header=BB1123_682 Depth=2
	s_or_b64 exec, exec, s[38:39]
	s_waitcnt vmcnt(0)
	v_mov_b32_e32 v41, -1
	v_mov_b32_e32 v42, -1
	v_cmp_gt_u32_e32 vcc, s97, v168
	s_and_saveexec_b64 s[38:39], vcc
	s_cbranch_execz .LBB1123_715
; %bb.714:                              ;   in Loop: Header=BB1123_682 Depth=2
	v_add_co_u32_e32 v41, vcc, 0x1000, v43
	v_addc_co_u32_e32 v42, vcc, 0, v44, vcc
	global_load_dwordx2 v[41:42], v[41:42], off offset:3072
.LBB1123_715:                           ;   in Loop: Header=BB1123_682 Depth=2
	s_or_b64 exec, exec, s[38:39]
	s_sub_i32 s42, s95, s82
	v_cmp_gt_u32_e64 s[38:39], s97, v169
.LBB1123_716:                           ;   in Loop: Header=BB1123_682 Depth=2
	v_mov_b32_e32 v43, -1
	v_mov_b32_e32 v44, -1
	v_mov_b32_e32 v173, s97
	s_and_saveexec_b64 s[40:41], s[38:39]
	s_cbranch_execz .LBB1123_718
; %bb.717:                              ;   in Loop: Header=BB1123_682 Depth=2
	s_lshl_b64 s[38:39], s[82:83], 3
	v_mov_b32_e32 v4, s39
	v_add_co_u32_e32 v43, vcc, s38, v170
	v_addc_co_u32_e32 v4, vcc, v171, v4, vcc
	v_add_co_u32_e32 v43, vcc, 0x1000, v43
	v_addc_co_u32_e32 v44, vcc, 0, v4, vcc
	global_load_dwordx2 v[43:44], v[43:44], off offset:3584
	v_mov_b32_e32 v173, s42
.LBB1123_718:                           ;   in Loop: Header=BB1123_682 Depth=2
	s_or_b64 exec, exec, s[40:41]
	s_waitcnt vmcnt(14)
	v_cmp_gt_i64_e32 vcc, 0, v[37:38]
	v_ashrrev_i32_e32 v69, 31, v38
	v_cndmask_b32_e64 v4, v133, 0, vcc
	v_not_b32_e32 v69, v69
	v_xor_b32_e32 v38, v4, v38
	v_xor_b32_e32 v37, v69, v37
	v_cmp_ne_u64_e32 vcc, s[72:73], v[37:38]
	v_add_u32_e32 v175, 0x410, v98
	v_cndmask_b32_e32 v70, v133, v38, vcc
	v_cndmask_b32_e32 v69, -1, v37, vcc
	v_lshrrev_b64 v[69:70], s7, v[69:70]
	v_add_u32_e32 v174, 0x418, v98
	v_and_b32_e32 v69, s96, v69
	v_and_b32_e32 v4, 1, v69
	v_add_co_u32_e32 v70, vcc, -1, v4
	v_addc_co_u32_e64 v72, s[38:39], 0, -1, vcc
	v_cmp_ne_u32_e32 vcc, 0, v4
	v_xor_b32_e32 v4, vcc_hi, v72
	v_and_b32_e32 v72, exec_hi, v4
	v_lshlrev_b32_e32 v4, 30, v69
	v_xor_b32_e32 v70, vcc_lo, v70
	v_cmp_gt_i64_e32 vcc, 0, v[3:4]
	v_not_b32_e32 v4, v4
	v_ashrrev_i32_e32 v4, 31, v4
	v_and_b32_e32 v70, exec_lo, v70
	v_xor_b32_e32 v176, vcc_hi, v4
	v_xor_b32_e32 v4, vcc_lo, v4
	v_and_b32_e32 v70, v70, v4
	v_lshlrev_b32_e32 v4, 29, v69
	v_cmp_gt_i64_e32 vcc, 0, v[3:4]
	v_not_b32_e32 v4, v4
	v_ashrrev_i32_e32 v4, 31, v4
	v_and_b32_e32 v72, v72, v176
	v_xor_b32_e32 v176, vcc_hi, v4
	v_xor_b32_e32 v4, vcc_lo, v4
	v_and_b32_e32 v70, v70, v4
	v_lshlrev_b32_e32 v4, 28, v69
	v_cmp_gt_i64_e32 vcc, 0, v[3:4]
	v_not_b32_e32 v4, v4
	v_ashrrev_i32_e32 v4, 31, v4
	v_and_b32_e32 v72, v72, v176
	;; [unrolled: 8-line block ×5, first 2 shown]
	v_xor_b32_e32 v176, vcc_hi, v4
	v_xor_b32_e32 v4, vcc_lo, v4
	v_and_b32_e32 v72, v72, v176
	v_and_b32_e32 v176, v70, v4
	v_lshlrev_b32_e32 v4, 24, v69
	v_cmp_gt_i64_e32 vcc, 0, v[3:4]
	v_not_b32_e32 v4, v4
	v_ashrrev_i32_e32 v4, 31, v4
	v_mul_u32_u24_e32 v71, 20, v69
	v_xor_b32_e32 v69, vcc_hi, v4
	v_xor_b32_e32 v4, vcc_lo, v4
	v_and_b32_e32 v70, v72, v69
	v_and_b32_e32 v69, v176, v4
	v_mbcnt_lo_u32_b32 v4, v69, 0
	v_mbcnt_hi_u32_b32 v176, v70, v4
	v_cmp_ne_u64_e32 vcc, 0, v[69:70]
	v_cmp_eq_u32_e64 s[38:39], 0, v176
	s_and_b64 s[40:41], vcc, s[38:39]
	v_add_u32_e32 v178, v172, v71
	ds_write2_b32 v175, v3, v3 offset1:1
	ds_write2_b32 v174, v3, v3 offset1:1
	ds_write_b32 v98, v3 offset:1056
	s_waitcnt vmcnt(0) lgkmcnt(0)
	s_barrier
	; wave barrier
	s_and_saveexec_b64 s[38:39], s[40:41]
; %bb.719:                              ;   in Loop: Header=BB1123_682 Depth=2
	v_bcnt_u32_b32 v4, v69, 0
	v_bcnt_u32_b32 v4, v70, v4
	ds_write_b32 v178, v4 offset:1040
; %bb.720:                              ;   in Loop: Header=BB1123_682 Depth=2
	s_or_b64 exec, exec, s[38:39]
	v_cmp_gt_i64_e32 vcc, 0, v[39:40]
	v_ashrrev_i32_e32 v69, 31, v40
	v_cndmask_b32_e64 v4, v133, 0, vcc
	v_not_b32_e32 v69, v69
	v_xor_b32_e32 v40, v4, v40
	v_xor_b32_e32 v39, v69, v39
	v_cmp_ne_u64_e32 vcc, s[72:73], v[39:40]
	v_cndmask_b32_e32 v70, v133, v40, vcc
	v_cndmask_b32_e32 v69, -1, v39, vcc
	v_lshrrev_b64 v[69:70], s7, v[69:70]
	; wave barrier
	v_and_b32_e32 v69, s96, v69
	v_mad_u32_u24 v4, v69, 20, v172
	ds_read_b32 v177, v4 offset:1040
	v_and_b32_e32 v4, 1, v69
	v_add_co_u32_e32 v70, vcc, -1, v4
	v_addc_co_u32_e64 v72, s[38:39], 0, -1, vcc
	v_cmp_ne_u32_e32 vcc, 0, v4
	v_xor_b32_e32 v4, vcc_hi, v72
	v_and_b32_e32 v72, exec_hi, v4
	v_lshlrev_b32_e32 v4, 30, v69
	v_xor_b32_e32 v70, vcc_lo, v70
	v_cmp_gt_i64_e32 vcc, 0, v[3:4]
	v_not_b32_e32 v4, v4
	v_ashrrev_i32_e32 v4, 31, v4
	v_and_b32_e32 v70, exec_lo, v70
	v_xor_b32_e32 v179, vcc_hi, v4
	v_xor_b32_e32 v4, vcc_lo, v4
	v_and_b32_e32 v70, v70, v4
	v_lshlrev_b32_e32 v4, 29, v69
	v_cmp_gt_i64_e32 vcc, 0, v[3:4]
	v_not_b32_e32 v4, v4
	v_ashrrev_i32_e32 v4, 31, v4
	v_and_b32_e32 v72, v72, v179
	v_xor_b32_e32 v179, vcc_hi, v4
	v_xor_b32_e32 v4, vcc_lo, v4
	v_and_b32_e32 v70, v70, v4
	v_lshlrev_b32_e32 v4, 28, v69
	v_cmp_gt_i64_e32 vcc, 0, v[3:4]
	v_not_b32_e32 v4, v4
	v_ashrrev_i32_e32 v4, 31, v4
	v_and_b32_e32 v72, v72, v179
	;; [unrolled: 8-line block ×5, first 2 shown]
	v_xor_b32_e32 v179, vcc_hi, v4
	v_xor_b32_e32 v4, vcc_lo, v4
	v_and_b32_e32 v72, v72, v179
	v_and_b32_e32 v179, v70, v4
	v_lshlrev_b32_e32 v4, 24, v69
	v_cmp_gt_i64_e32 vcc, 0, v[3:4]
	v_not_b32_e32 v4, v4
	v_ashrrev_i32_e32 v4, 31, v4
	v_mul_u32_u24_e32 v71, 20, v69
	v_xor_b32_e32 v69, vcc_hi, v4
	v_xor_b32_e32 v4, vcc_lo, v4
	v_and_b32_e32 v70, v72, v69
	v_and_b32_e32 v69, v179, v4
	v_mbcnt_lo_u32_b32 v4, v69, 0
	v_mbcnt_hi_u32_b32 v179, v70, v4
	v_cmp_ne_u64_e32 vcc, 0, v[69:70]
	v_cmp_eq_u32_e64 s[38:39], 0, v179
	s_and_b64 s[40:41], vcc, s[38:39]
	v_add_u32_e32 v181, v172, v71
	; wave barrier
	s_and_saveexec_b64 s[38:39], s[40:41]
	s_cbranch_execz .LBB1123_722
; %bb.721:                              ;   in Loop: Header=BB1123_682 Depth=2
	v_bcnt_u32_b32 v4, v69, 0
	v_bcnt_u32_b32 v4, v70, v4
	s_waitcnt lgkmcnt(0)
	v_add_u32_e32 v4, v177, v4
	ds_write_b32 v181, v4 offset:1040
.LBB1123_722:                           ;   in Loop: Header=BB1123_682 Depth=2
	s_or_b64 exec, exec, s[38:39]
	v_cmp_gt_i64_e32 vcc, 0, v[45:46]
	v_ashrrev_i32_e32 v69, 31, v46
	v_cndmask_b32_e64 v4, v133, 0, vcc
	v_not_b32_e32 v69, v69
	v_xor_b32_e32 v46, v4, v46
	v_xor_b32_e32 v45, v69, v45
	v_cmp_ne_u64_e32 vcc, s[72:73], v[45:46]
	v_cndmask_b32_e32 v70, v133, v46, vcc
	v_cndmask_b32_e32 v69, -1, v45, vcc
	v_lshrrev_b64 v[69:70], s7, v[69:70]
	; wave barrier
	v_and_b32_e32 v69, s96, v69
	v_mad_u32_u24 v4, v69, 20, v172
	ds_read_b32 v180, v4 offset:1040
	v_and_b32_e32 v4, 1, v69
	v_add_co_u32_e32 v70, vcc, -1, v4
	v_addc_co_u32_e64 v72, s[38:39], 0, -1, vcc
	v_cmp_ne_u32_e32 vcc, 0, v4
	v_xor_b32_e32 v4, vcc_hi, v72
	v_and_b32_e32 v72, exec_hi, v4
	v_lshlrev_b32_e32 v4, 30, v69
	v_xor_b32_e32 v70, vcc_lo, v70
	v_cmp_gt_i64_e32 vcc, 0, v[3:4]
	v_not_b32_e32 v4, v4
	v_ashrrev_i32_e32 v4, 31, v4
	v_and_b32_e32 v70, exec_lo, v70
	v_xor_b32_e32 v182, vcc_hi, v4
	v_xor_b32_e32 v4, vcc_lo, v4
	v_and_b32_e32 v70, v70, v4
	v_lshlrev_b32_e32 v4, 29, v69
	v_cmp_gt_i64_e32 vcc, 0, v[3:4]
	v_not_b32_e32 v4, v4
	v_ashrrev_i32_e32 v4, 31, v4
	v_and_b32_e32 v72, v72, v182
	v_xor_b32_e32 v182, vcc_hi, v4
	v_xor_b32_e32 v4, vcc_lo, v4
	v_and_b32_e32 v70, v70, v4
	v_lshlrev_b32_e32 v4, 28, v69
	v_cmp_gt_i64_e32 vcc, 0, v[3:4]
	v_not_b32_e32 v4, v4
	v_ashrrev_i32_e32 v4, 31, v4
	v_and_b32_e32 v72, v72, v182
	;; [unrolled: 8-line block ×5, first 2 shown]
	v_xor_b32_e32 v182, vcc_hi, v4
	v_xor_b32_e32 v4, vcc_lo, v4
	v_and_b32_e32 v72, v72, v182
	v_and_b32_e32 v182, v70, v4
	v_lshlrev_b32_e32 v4, 24, v69
	v_cmp_gt_i64_e32 vcc, 0, v[3:4]
	v_not_b32_e32 v4, v4
	v_ashrrev_i32_e32 v4, 31, v4
	v_mul_u32_u24_e32 v71, 20, v69
	v_xor_b32_e32 v69, vcc_hi, v4
	v_xor_b32_e32 v4, vcc_lo, v4
	v_and_b32_e32 v70, v72, v69
	v_and_b32_e32 v69, v182, v4
	v_mbcnt_lo_u32_b32 v4, v69, 0
	v_mbcnt_hi_u32_b32 v182, v70, v4
	v_cmp_ne_u64_e32 vcc, 0, v[69:70]
	v_cmp_eq_u32_e64 s[38:39], 0, v182
	s_and_b64 s[40:41], vcc, s[38:39]
	v_add_u32_e32 v184, v172, v71
	; wave barrier
	s_and_saveexec_b64 s[38:39], s[40:41]
	s_cbranch_execz .LBB1123_724
; %bb.723:                              ;   in Loop: Header=BB1123_682 Depth=2
	v_bcnt_u32_b32 v4, v69, 0
	v_bcnt_u32_b32 v4, v70, v4
	s_waitcnt lgkmcnt(0)
	v_add_u32_e32 v4, v180, v4
	ds_write_b32 v184, v4 offset:1040
.LBB1123_724:                           ;   in Loop: Header=BB1123_682 Depth=2
	s_or_b64 exec, exec, s[38:39]
	v_cmp_gt_i64_e32 vcc, 0, v[49:50]
	v_ashrrev_i32_e32 v69, 31, v50
	v_cndmask_b32_e64 v4, v133, 0, vcc
	v_not_b32_e32 v69, v69
	v_xor_b32_e32 v50, v4, v50
	v_xor_b32_e32 v49, v69, v49
	v_cmp_ne_u64_e32 vcc, s[72:73], v[49:50]
	v_cndmask_b32_e32 v70, v133, v50, vcc
	v_cndmask_b32_e32 v69, -1, v49, vcc
	v_lshrrev_b64 v[69:70], s7, v[69:70]
	; wave barrier
	v_and_b32_e32 v69, s96, v69
	v_mad_u32_u24 v4, v69, 20, v172
	ds_read_b32 v183, v4 offset:1040
	v_and_b32_e32 v4, 1, v69
	v_add_co_u32_e32 v70, vcc, -1, v4
	v_addc_co_u32_e64 v72, s[38:39], 0, -1, vcc
	v_cmp_ne_u32_e32 vcc, 0, v4
	v_xor_b32_e32 v4, vcc_hi, v72
	v_and_b32_e32 v72, exec_hi, v4
	v_lshlrev_b32_e32 v4, 30, v69
	v_xor_b32_e32 v70, vcc_lo, v70
	v_cmp_gt_i64_e32 vcc, 0, v[3:4]
	v_not_b32_e32 v4, v4
	v_ashrrev_i32_e32 v4, 31, v4
	v_and_b32_e32 v70, exec_lo, v70
	v_xor_b32_e32 v185, vcc_hi, v4
	v_xor_b32_e32 v4, vcc_lo, v4
	v_and_b32_e32 v70, v70, v4
	v_lshlrev_b32_e32 v4, 29, v69
	v_cmp_gt_i64_e32 vcc, 0, v[3:4]
	v_not_b32_e32 v4, v4
	v_ashrrev_i32_e32 v4, 31, v4
	v_and_b32_e32 v72, v72, v185
	v_xor_b32_e32 v185, vcc_hi, v4
	v_xor_b32_e32 v4, vcc_lo, v4
	v_and_b32_e32 v70, v70, v4
	v_lshlrev_b32_e32 v4, 28, v69
	v_cmp_gt_i64_e32 vcc, 0, v[3:4]
	v_not_b32_e32 v4, v4
	v_ashrrev_i32_e32 v4, 31, v4
	v_and_b32_e32 v72, v72, v185
	;; [unrolled: 8-line block ×5, first 2 shown]
	v_xor_b32_e32 v185, vcc_hi, v4
	v_xor_b32_e32 v4, vcc_lo, v4
	v_and_b32_e32 v72, v72, v185
	v_and_b32_e32 v185, v70, v4
	v_lshlrev_b32_e32 v4, 24, v69
	v_cmp_gt_i64_e32 vcc, 0, v[3:4]
	v_not_b32_e32 v4, v4
	v_ashrrev_i32_e32 v4, 31, v4
	v_mul_u32_u24_e32 v71, 20, v69
	v_xor_b32_e32 v69, vcc_hi, v4
	v_xor_b32_e32 v4, vcc_lo, v4
	v_and_b32_e32 v70, v72, v69
	v_and_b32_e32 v69, v185, v4
	v_mbcnt_lo_u32_b32 v4, v69, 0
	v_mbcnt_hi_u32_b32 v185, v70, v4
	v_cmp_ne_u64_e32 vcc, 0, v[69:70]
	v_cmp_eq_u32_e64 s[38:39], 0, v185
	s_and_b64 s[40:41], vcc, s[38:39]
	v_add_u32_e32 v187, v172, v71
	; wave barrier
	s_and_saveexec_b64 s[38:39], s[40:41]
	s_cbranch_execz .LBB1123_726
; %bb.725:                              ;   in Loop: Header=BB1123_682 Depth=2
	v_bcnt_u32_b32 v4, v69, 0
	v_bcnt_u32_b32 v4, v70, v4
	s_waitcnt lgkmcnt(0)
	v_add_u32_e32 v4, v183, v4
	ds_write_b32 v187, v4 offset:1040
.LBB1123_726:                           ;   in Loop: Header=BB1123_682 Depth=2
	s_or_b64 exec, exec, s[38:39]
	v_cmp_gt_i64_e32 vcc, 0, v[53:54]
	v_ashrrev_i32_e32 v69, 31, v54
	v_cndmask_b32_e64 v4, v133, 0, vcc
	v_not_b32_e32 v69, v69
	v_xor_b32_e32 v54, v4, v54
	v_xor_b32_e32 v53, v69, v53
	v_cmp_ne_u64_e32 vcc, s[72:73], v[53:54]
	v_cndmask_b32_e32 v70, v133, v54, vcc
	v_cndmask_b32_e32 v69, -1, v53, vcc
	v_lshrrev_b64 v[69:70], s7, v[69:70]
	; wave barrier
	v_and_b32_e32 v69, s96, v69
	v_mad_u32_u24 v4, v69, 20, v172
	ds_read_b32 v186, v4 offset:1040
	v_and_b32_e32 v4, 1, v69
	v_add_co_u32_e32 v70, vcc, -1, v4
	v_addc_co_u32_e64 v72, s[38:39], 0, -1, vcc
	v_cmp_ne_u32_e32 vcc, 0, v4
	v_xor_b32_e32 v4, vcc_hi, v72
	v_and_b32_e32 v72, exec_hi, v4
	v_lshlrev_b32_e32 v4, 30, v69
	v_xor_b32_e32 v70, vcc_lo, v70
	v_cmp_gt_i64_e32 vcc, 0, v[3:4]
	v_not_b32_e32 v4, v4
	v_ashrrev_i32_e32 v4, 31, v4
	v_and_b32_e32 v70, exec_lo, v70
	v_xor_b32_e32 v188, vcc_hi, v4
	v_xor_b32_e32 v4, vcc_lo, v4
	v_and_b32_e32 v70, v70, v4
	v_lshlrev_b32_e32 v4, 29, v69
	v_cmp_gt_i64_e32 vcc, 0, v[3:4]
	v_not_b32_e32 v4, v4
	v_ashrrev_i32_e32 v4, 31, v4
	v_and_b32_e32 v72, v72, v188
	v_xor_b32_e32 v188, vcc_hi, v4
	v_xor_b32_e32 v4, vcc_lo, v4
	v_and_b32_e32 v70, v70, v4
	v_lshlrev_b32_e32 v4, 28, v69
	v_cmp_gt_i64_e32 vcc, 0, v[3:4]
	v_not_b32_e32 v4, v4
	v_ashrrev_i32_e32 v4, 31, v4
	v_and_b32_e32 v72, v72, v188
	;; [unrolled: 8-line block ×5, first 2 shown]
	v_xor_b32_e32 v188, vcc_hi, v4
	v_xor_b32_e32 v4, vcc_lo, v4
	v_and_b32_e32 v72, v72, v188
	v_and_b32_e32 v188, v70, v4
	v_lshlrev_b32_e32 v4, 24, v69
	v_cmp_gt_i64_e32 vcc, 0, v[3:4]
	v_not_b32_e32 v4, v4
	v_ashrrev_i32_e32 v4, 31, v4
	v_mul_u32_u24_e32 v71, 20, v69
	v_xor_b32_e32 v69, vcc_hi, v4
	v_xor_b32_e32 v4, vcc_lo, v4
	v_and_b32_e32 v70, v72, v69
	v_and_b32_e32 v69, v188, v4
	v_mbcnt_lo_u32_b32 v4, v69, 0
	v_mbcnt_hi_u32_b32 v188, v70, v4
	v_cmp_ne_u64_e32 vcc, 0, v[69:70]
	v_cmp_eq_u32_e64 s[38:39], 0, v188
	s_and_b64 s[40:41], vcc, s[38:39]
	v_add_u32_e32 v190, v172, v71
	; wave barrier
	s_and_saveexec_b64 s[38:39], s[40:41]
	s_cbranch_execz .LBB1123_728
; %bb.727:                              ;   in Loop: Header=BB1123_682 Depth=2
	v_bcnt_u32_b32 v4, v69, 0
	v_bcnt_u32_b32 v4, v70, v4
	s_waitcnt lgkmcnt(0)
	v_add_u32_e32 v4, v186, v4
	ds_write_b32 v190, v4 offset:1040
.LBB1123_728:                           ;   in Loop: Header=BB1123_682 Depth=2
	s_or_b64 exec, exec, s[38:39]
	v_cmp_gt_i64_e32 vcc, 0, v[57:58]
	v_ashrrev_i32_e32 v69, 31, v58
	v_cndmask_b32_e64 v4, v133, 0, vcc
	v_not_b32_e32 v69, v69
	v_xor_b32_e32 v58, v4, v58
	v_xor_b32_e32 v57, v69, v57
	v_cmp_ne_u64_e32 vcc, s[72:73], v[57:58]
	v_cndmask_b32_e32 v70, v133, v58, vcc
	v_cndmask_b32_e32 v69, -1, v57, vcc
	v_lshrrev_b64 v[69:70], s7, v[69:70]
	; wave barrier
	v_and_b32_e32 v69, s96, v69
	v_mad_u32_u24 v4, v69, 20, v172
	ds_read_b32 v189, v4 offset:1040
	v_and_b32_e32 v4, 1, v69
	v_add_co_u32_e32 v70, vcc, -1, v4
	v_addc_co_u32_e64 v72, s[38:39], 0, -1, vcc
	v_cmp_ne_u32_e32 vcc, 0, v4
	v_xor_b32_e32 v4, vcc_hi, v72
	v_and_b32_e32 v72, exec_hi, v4
	v_lshlrev_b32_e32 v4, 30, v69
	v_xor_b32_e32 v70, vcc_lo, v70
	v_cmp_gt_i64_e32 vcc, 0, v[3:4]
	v_not_b32_e32 v4, v4
	v_ashrrev_i32_e32 v4, 31, v4
	v_and_b32_e32 v70, exec_lo, v70
	v_xor_b32_e32 v191, vcc_hi, v4
	v_xor_b32_e32 v4, vcc_lo, v4
	v_and_b32_e32 v70, v70, v4
	v_lshlrev_b32_e32 v4, 29, v69
	v_cmp_gt_i64_e32 vcc, 0, v[3:4]
	v_not_b32_e32 v4, v4
	v_ashrrev_i32_e32 v4, 31, v4
	v_and_b32_e32 v72, v72, v191
	v_xor_b32_e32 v191, vcc_hi, v4
	v_xor_b32_e32 v4, vcc_lo, v4
	v_and_b32_e32 v70, v70, v4
	v_lshlrev_b32_e32 v4, 28, v69
	v_cmp_gt_i64_e32 vcc, 0, v[3:4]
	v_not_b32_e32 v4, v4
	v_ashrrev_i32_e32 v4, 31, v4
	v_and_b32_e32 v72, v72, v191
	;; [unrolled: 8-line block ×5, first 2 shown]
	v_xor_b32_e32 v191, vcc_hi, v4
	v_xor_b32_e32 v4, vcc_lo, v4
	v_and_b32_e32 v72, v72, v191
	v_and_b32_e32 v191, v70, v4
	v_lshlrev_b32_e32 v4, 24, v69
	v_cmp_gt_i64_e32 vcc, 0, v[3:4]
	v_not_b32_e32 v4, v4
	v_ashrrev_i32_e32 v4, 31, v4
	v_mul_u32_u24_e32 v71, 20, v69
	v_xor_b32_e32 v69, vcc_hi, v4
	v_xor_b32_e32 v4, vcc_lo, v4
	v_and_b32_e32 v70, v72, v69
	v_and_b32_e32 v69, v191, v4
	v_mbcnt_lo_u32_b32 v4, v69, 0
	v_mbcnt_hi_u32_b32 v191, v70, v4
	v_cmp_ne_u64_e32 vcc, 0, v[69:70]
	v_cmp_eq_u32_e64 s[38:39], 0, v191
	s_and_b64 s[40:41], vcc, s[38:39]
	v_add_u32_e32 v193, v172, v71
	; wave barrier
	s_and_saveexec_b64 s[38:39], s[40:41]
	s_cbranch_execz .LBB1123_730
; %bb.729:                              ;   in Loop: Header=BB1123_682 Depth=2
	v_bcnt_u32_b32 v4, v69, 0
	v_bcnt_u32_b32 v4, v70, v4
	s_waitcnt lgkmcnt(0)
	v_add_u32_e32 v4, v189, v4
	ds_write_b32 v193, v4 offset:1040
.LBB1123_730:                           ;   in Loop: Header=BB1123_682 Depth=2
	s_or_b64 exec, exec, s[38:39]
	v_cmp_gt_i64_e32 vcc, 0, v[63:64]
	v_ashrrev_i32_e32 v69, 31, v64
	v_cndmask_b32_e64 v4, v133, 0, vcc
	v_not_b32_e32 v69, v69
	v_xor_b32_e32 v64, v4, v64
	v_xor_b32_e32 v63, v69, v63
	v_cmp_ne_u64_e32 vcc, s[72:73], v[63:64]
	v_cndmask_b32_e32 v70, v133, v64, vcc
	v_cndmask_b32_e32 v69, -1, v63, vcc
	v_lshrrev_b64 v[69:70], s7, v[69:70]
	; wave barrier
	v_and_b32_e32 v69, s96, v69
	v_mad_u32_u24 v4, v69, 20, v172
	ds_read_b32 v192, v4 offset:1040
	v_and_b32_e32 v4, 1, v69
	v_add_co_u32_e32 v70, vcc, -1, v4
	v_addc_co_u32_e64 v72, s[38:39], 0, -1, vcc
	v_cmp_ne_u32_e32 vcc, 0, v4
	v_xor_b32_e32 v4, vcc_hi, v72
	v_and_b32_e32 v72, exec_hi, v4
	v_lshlrev_b32_e32 v4, 30, v69
	v_xor_b32_e32 v70, vcc_lo, v70
	v_cmp_gt_i64_e32 vcc, 0, v[3:4]
	v_not_b32_e32 v4, v4
	v_ashrrev_i32_e32 v4, 31, v4
	v_and_b32_e32 v70, exec_lo, v70
	v_xor_b32_e32 v194, vcc_hi, v4
	v_xor_b32_e32 v4, vcc_lo, v4
	v_and_b32_e32 v70, v70, v4
	v_lshlrev_b32_e32 v4, 29, v69
	v_cmp_gt_i64_e32 vcc, 0, v[3:4]
	v_not_b32_e32 v4, v4
	v_ashrrev_i32_e32 v4, 31, v4
	v_and_b32_e32 v72, v72, v194
	v_xor_b32_e32 v194, vcc_hi, v4
	v_xor_b32_e32 v4, vcc_lo, v4
	v_and_b32_e32 v70, v70, v4
	v_lshlrev_b32_e32 v4, 28, v69
	v_cmp_gt_i64_e32 vcc, 0, v[3:4]
	v_not_b32_e32 v4, v4
	v_ashrrev_i32_e32 v4, 31, v4
	v_and_b32_e32 v72, v72, v194
	;; [unrolled: 8-line block ×5, first 2 shown]
	v_xor_b32_e32 v194, vcc_hi, v4
	v_xor_b32_e32 v4, vcc_lo, v4
	v_and_b32_e32 v72, v72, v194
	v_and_b32_e32 v194, v70, v4
	v_lshlrev_b32_e32 v4, 24, v69
	v_cmp_gt_i64_e32 vcc, 0, v[3:4]
	v_not_b32_e32 v4, v4
	v_ashrrev_i32_e32 v4, 31, v4
	v_mul_u32_u24_e32 v71, 20, v69
	v_xor_b32_e32 v69, vcc_hi, v4
	v_xor_b32_e32 v4, vcc_lo, v4
	v_and_b32_e32 v70, v72, v69
	v_and_b32_e32 v69, v194, v4
	v_mbcnt_lo_u32_b32 v4, v69, 0
	v_mbcnt_hi_u32_b32 v194, v70, v4
	v_cmp_ne_u64_e32 vcc, 0, v[69:70]
	v_cmp_eq_u32_e64 s[38:39], 0, v194
	s_and_b64 s[40:41], vcc, s[38:39]
	v_add_u32_e32 v196, v172, v71
	; wave barrier
	s_and_saveexec_b64 s[38:39], s[40:41]
	s_cbranch_execz .LBB1123_732
; %bb.731:                              ;   in Loop: Header=BB1123_682 Depth=2
	v_bcnt_u32_b32 v4, v69, 0
	v_bcnt_u32_b32 v4, v70, v4
	s_waitcnt lgkmcnt(0)
	v_add_u32_e32 v4, v192, v4
	ds_write_b32 v196, v4 offset:1040
.LBB1123_732:                           ;   in Loop: Header=BB1123_682 Depth=2
	s_or_b64 exec, exec, s[38:39]
	v_cmp_gt_i64_e32 vcc, 0, v[65:66]
	v_ashrrev_i32_e32 v69, 31, v66
	v_cndmask_b32_e64 v4, v133, 0, vcc
	v_not_b32_e32 v69, v69
	v_xor_b32_e32 v66, v4, v66
	v_xor_b32_e32 v65, v69, v65
	v_cmp_ne_u64_e32 vcc, s[72:73], v[65:66]
	v_cndmask_b32_e32 v70, v133, v66, vcc
	v_cndmask_b32_e32 v69, -1, v65, vcc
	v_lshrrev_b64 v[69:70], s7, v[69:70]
	; wave barrier
	v_and_b32_e32 v69, s96, v69
	v_mad_u32_u24 v4, v69, 20, v172
	ds_read_b32 v195, v4 offset:1040
	v_and_b32_e32 v4, 1, v69
	v_add_co_u32_e32 v70, vcc, -1, v4
	v_addc_co_u32_e64 v72, s[38:39], 0, -1, vcc
	v_cmp_ne_u32_e32 vcc, 0, v4
	v_xor_b32_e32 v4, vcc_hi, v72
	v_and_b32_e32 v72, exec_hi, v4
	v_lshlrev_b32_e32 v4, 30, v69
	v_xor_b32_e32 v70, vcc_lo, v70
	v_cmp_gt_i64_e32 vcc, 0, v[3:4]
	v_not_b32_e32 v4, v4
	v_ashrrev_i32_e32 v4, 31, v4
	v_and_b32_e32 v70, exec_lo, v70
	v_xor_b32_e32 v197, vcc_hi, v4
	v_xor_b32_e32 v4, vcc_lo, v4
	v_and_b32_e32 v70, v70, v4
	v_lshlrev_b32_e32 v4, 29, v69
	v_cmp_gt_i64_e32 vcc, 0, v[3:4]
	v_not_b32_e32 v4, v4
	v_ashrrev_i32_e32 v4, 31, v4
	v_and_b32_e32 v72, v72, v197
	v_xor_b32_e32 v197, vcc_hi, v4
	v_xor_b32_e32 v4, vcc_lo, v4
	v_and_b32_e32 v70, v70, v4
	v_lshlrev_b32_e32 v4, 28, v69
	v_cmp_gt_i64_e32 vcc, 0, v[3:4]
	v_not_b32_e32 v4, v4
	v_ashrrev_i32_e32 v4, 31, v4
	v_and_b32_e32 v72, v72, v197
	;; [unrolled: 8-line block ×5, first 2 shown]
	v_xor_b32_e32 v197, vcc_hi, v4
	v_xor_b32_e32 v4, vcc_lo, v4
	v_and_b32_e32 v72, v72, v197
	v_and_b32_e32 v197, v70, v4
	v_lshlrev_b32_e32 v4, 24, v69
	v_cmp_gt_i64_e32 vcc, 0, v[3:4]
	v_not_b32_e32 v4, v4
	v_ashrrev_i32_e32 v4, 31, v4
	v_mul_u32_u24_e32 v71, 20, v69
	v_xor_b32_e32 v69, vcc_hi, v4
	v_xor_b32_e32 v4, vcc_lo, v4
	v_and_b32_e32 v70, v72, v69
	v_and_b32_e32 v69, v197, v4
	v_mbcnt_lo_u32_b32 v4, v69, 0
	v_mbcnt_hi_u32_b32 v197, v70, v4
	v_cmp_ne_u64_e32 vcc, 0, v[69:70]
	v_cmp_eq_u32_e64 s[38:39], 0, v197
	s_and_b64 s[40:41], vcc, s[38:39]
	v_add_u32_e32 v199, v172, v71
	; wave barrier
	s_and_saveexec_b64 s[38:39], s[40:41]
	s_cbranch_execz .LBB1123_734
; %bb.733:                              ;   in Loop: Header=BB1123_682 Depth=2
	v_bcnt_u32_b32 v4, v69, 0
	v_bcnt_u32_b32 v4, v70, v4
	s_waitcnt lgkmcnt(0)
	v_add_u32_e32 v4, v195, v4
	ds_write_b32 v199, v4 offset:1040
.LBB1123_734:                           ;   in Loop: Header=BB1123_682 Depth=2
	s_or_b64 exec, exec, s[38:39]
	v_cmp_gt_i64_e32 vcc, 0, v[67:68]
	v_ashrrev_i32_e32 v69, 31, v68
	v_cndmask_b32_e64 v4, v133, 0, vcc
	v_not_b32_e32 v69, v69
	v_xor_b32_e32 v68, v4, v68
	v_xor_b32_e32 v67, v69, v67
	v_cmp_ne_u64_e32 vcc, s[72:73], v[67:68]
	v_cndmask_b32_e32 v70, v133, v68, vcc
	v_cndmask_b32_e32 v69, -1, v67, vcc
	v_lshrrev_b64 v[69:70], s7, v[69:70]
	; wave barrier
	v_and_b32_e32 v69, s96, v69
	v_mad_u32_u24 v4, v69, 20, v172
	ds_read_b32 v198, v4 offset:1040
	v_and_b32_e32 v4, 1, v69
	v_add_co_u32_e32 v70, vcc, -1, v4
	v_addc_co_u32_e64 v72, s[38:39], 0, -1, vcc
	v_cmp_ne_u32_e32 vcc, 0, v4
	v_xor_b32_e32 v4, vcc_hi, v72
	v_and_b32_e32 v72, exec_hi, v4
	v_lshlrev_b32_e32 v4, 30, v69
	v_xor_b32_e32 v70, vcc_lo, v70
	v_cmp_gt_i64_e32 vcc, 0, v[3:4]
	v_not_b32_e32 v4, v4
	v_ashrrev_i32_e32 v4, 31, v4
	v_and_b32_e32 v70, exec_lo, v70
	v_xor_b32_e32 v200, vcc_hi, v4
	v_xor_b32_e32 v4, vcc_lo, v4
	v_and_b32_e32 v70, v70, v4
	v_lshlrev_b32_e32 v4, 29, v69
	v_cmp_gt_i64_e32 vcc, 0, v[3:4]
	v_not_b32_e32 v4, v4
	v_ashrrev_i32_e32 v4, 31, v4
	v_and_b32_e32 v72, v72, v200
	v_xor_b32_e32 v200, vcc_hi, v4
	v_xor_b32_e32 v4, vcc_lo, v4
	v_and_b32_e32 v70, v70, v4
	v_lshlrev_b32_e32 v4, 28, v69
	v_cmp_gt_i64_e32 vcc, 0, v[3:4]
	v_not_b32_e32 v4, v4
	v_ashrrev_i32_e32 v4, 31, v4
	v_and_b32_e32 v72, v72, v200
	;; [unrolled: 8-line block ×5, first 2 shown]
	v_xor_b32_e32 v200, vcc_hi, v4
	v_xor_b32_e32 v4, vcc_lo, v4
	v_and_b32_e32 v72, v72, v200
	v_and_b32_e32 v200, v70, v4
	v_lshlrev_b32_e32 v4, 24, v69
	v_cmp_gt_i64_e32 vcc, 0, v[3:4]
	v_not_b32_e32 v4, v4
	v_ashrrev_i32_e32 v4, 31, v4
	v_mul_u32_u24_e32 v71, 20, v69
	v_xor_b32_e32 v69, vcc_hi, v4
	v_xor_b32_e32 v4, vcc_lo, v4
	v_and_b32_e32 v70, v72, v69
	v_and_b32_e32 v69, v200, v4
	v_mbcnt_lo_u32_b32 v4, v69, 0
	v_mbcnt_hi_u32_b32 v200, v70, v4
	v_cmp_ne_u64_e32 vcc, 0, v[69:70]
	v_cmp_eq_u32_e64 s[38:39], 0, v200
	s_and_b64 s[40:41], vcc, s[38:39]
	v_add_u32_e32 v202, v172, v71
	; wave barrier
	s_and_saveexec_b64 s[38:39], s[40:41]
	s_cbranch_execz .LBB1123_736
; %bb.735:                              ;   in Loop: Header=BB1123_682 Depth=2
	v_bcnt_u32_b32 v4, v69, 0
	v_bcnt_u32_b32 v4, v70, v4
	s_waitcnt lgkmcnt(0)
	v_add_u32_e32 v4, v198, v4
	ds_write_b32 v202, v4 offset:1040
.LBB1123_736:                           ;   in Loop: Header=BB1123_682 Depth=2
	s_or_b64 exec, exec, s[38:39]
	v_cmp_gt_i64_e32 vcc, 0, v[61:62]
	v_ashrrev_i32_e32 v69, 31, v62
	v_cndmask_b32_e64 v4, v133, 0, vcc
	v_not_b32_e32 v69, v69
	v_xor_b32_e32 v62, v4, v62
	v_xor_b32_e32 v61, v69, v61
	v_cmp_ne_u64_e32 vcc, s[72:73], v[61:62]
	v_cndmask_b32_e32 v70, v133, v62, vcc
	v_cndmask_b32_e32 v69, -1, v61, vcc
	v_lshrrev_b64 v[69:70], s7, v[69:70]
	; wave barrier
	v_and_b32_e32 v69, s96, v69
	v_mad_u32_u24 v4, v69, 20, v172
	ds_read_b32 v201, v4 offset:1040
	v_and_b32_e32 v4, 1, v69
	v_add_co_u32_e32 v70, vcc, -1, v4
	v_addc_co_u32_e64 v72, s[38:39], 0, -1, vcc
	v_cmp_ne_u32_e32 vcc, 0, v4
	v_xor_b32_e32 v4, vcc_hi, v72
	v_and_b32_e32 v72, exec_hi, v4
	v_lshlrev_b32_e32 v4, 30, v69
	v_xor_b32_e32 v70, vcc_lo, v70
	v_cmp_gt_i64_e32 vcc, 0, v[3:4]
	v_not_b32_e32 v4, v4
	v_ashrrev_i32_e32 v4, 31, v4
	v_and_b32_e32 v70, exec_lo, v70
	v_xor_b32_e32 v203, vcc_hi, v4
	v_xor_b32_e32 v4, vcc_lo, v4
	v_and_b32_e32 v70, v70, v4
	v_lshlrev_b32_e32 v4, 29, v69
	v_cmp_gt_i64_e32 vcc, 0, v[3:4]
	v_not_b32_e32 v4, v4
	v_ashrrev_i32_e32 v4, 31, v4
	v_and_b32_e32 v72, v72, v203
	v_xor_b32_e32 v203, vcc_hi, v4
	v_xor_b32_e32 v4, vcc_lo, v4
	v_and_b32_e32 v70, v70, v4
	v_lshlrev_b32_e32 v4, 28, v69
	v_cmp_gt_i64_e32 vcc, 0, v[3:4]
	v_not_b32_e32 v4, v4
	v_ashrrev_i32_e32 v4, 31, v4
	v_and_b32_e32 v72, v72, v203
	;; [unrolled: 8-line block ×5, first 2 shown]
	v_xor_b32_e32 v203, vcc_hi, v4
	v_xor_b32_e32 v4, vcc_lo, v4
	v_and_b32_e32 v72, v72, v203
	v_and_b32_e32 v203, v70, v4
	v_lshlrev_b32_e32 v4, 24, v69
	v_cmp_gt_i64_e32 vcc, 0, v[3:4]
	v_not_b32_e32 v4, v4
	v_ashrrev_i32_e32 v4, 31, v4
	v_mul_u32_u24_e32 v71, 20, v69
	v_xor_b32_e32 v69, vcc_hi, v4
	v_xor_b32_e32 v4, vcc_lo, v4
	v_and_b32_e32 v70, v72, v69
	v_and_b32_e32 v69, v203, v4
	v_mbcnt_lo_u32_b32 v4, v69, 0
	v_mbcnt_hi_u32_b32 v203, v70, v4
	v_cmp_ne_u64_e32 vcc, 0, v[69:70]
	v_cmp_eq_u32_e64 s[38:39], 0, v203
	s_and_b64 s[40:41], vcc, s[38:39]
	v_add_u32_e32 v205, v172, v71
	; wave barrier
	s_and_saveexec_b64 s[38:39], s[40:41]
	s_cbranch_execz .LBB1123_738
; %bb.737:                              ;   in Loop: Header=BB1123_682 Depth=2
	v_bcnt_u32_b32 v4, v69, 0
	v_bcnt_u32_b32 v4, v70, v4
	s_waitcnt lgkmcnt(0)
	v_add_u32_e32 v4, v201, v4
	ds_write_b32 v205, v4 offset:1040
.LBB1123_738:                           ;   in Loop: Header=BB1123_682 Depth=2
	s_or_b64 exec, exec, s[38:39]
	v_cmp_gt_i64_e32 vcc, 0, v[59:60]
	v_ashrrev_i32_e32 v69, 31, v60
	v_cndmask_b32_e64 v4, v133, 0, vcc
	v_not_b32_e32 v69, v69
	v_xor_b32_e32 v60, v4, v60
	v_xor_b32_e32 v59, v69, v59
	v_cmp_ne_u64_e32 vcc, s[72:73], v[59:60]
	v_cndmask_b32_e32 v70, v133, v60, vcc
	v_cndmask_b32_e32 v69, -1, v59, vcc
	v_lshrrev_b64 v[69:70], s7, v[69:70]
	; wave barrier
	v_and_b32_e32 v69, s96, v69
	v_mad_u32_u24 v4, v69, 20, v172
	ds_read_b32 v204, v4 offset:1040
	v_and_b32_e32 v4, 1, v69
	v_add_co_u32_e32 v70, vcc, -1, v4
	v_addc_co_u32_e64 v72, s[38:39], 0, -1, vcc
	v_cmp_ne_u32_e32 vcc, 0, v4
	v_xor_b32_e32 v4, vcc_hi, v72
	v_and_b32_e32 v72, exec_hi, v4
	v_lshlrev_b32_e32 v4, 30, v69
	v_xor_b32_e32 v70, vcc_lo, v70
	v_cmp_gt_i64_e32 vcc, 0, v[3:4]
	v_not_b32_e32 v4, v4
	v_ashrrev_i32_e32 v4, 31, v4
	v_and_b32_e32 v70, exec_lo, v70
	v_xor_b32_e32 v206, vcc_hi, v4
	v_xor_b32_e32 v4, vcc_lo, v4
	v_and_b32_e32 v70, v70, v4
	v_lshlrev_b32_e32 v4, 29, v69
	v_cmp_gt_i64_e32 vcc, 0, v[3:4]
	v_not_b32_e32 v4, v4
	v_ashrrev_i32_e32 v4, 31, v4
	v_and_b32_e32 v72, v72, v206
	v_xor_b32_e32 v206, vcc_hi, v4
	v_xor_b32_e32 v4, vcc_lo, v4
	v_and_b32_e32 v70, v70, v4
	v_lshlrev_b32_e32 v4, 28, v69
	v_cmp_gt_i64_e32 vcc, 0, v[3:4]
	v_not_b32_e32 v4, v4
	v_ashrrev_i32_e32 v4, 31, v4
	v_and_b32_e32 v72, v72, v206
	;; [unrolled: 8-line block ×5, first 2 shown]
	v_xor_b32_e32 v206, vcc_hi, v4
	v_xor_b32_e32 v4, vcc_lo, v4
	v_and_b32_e32 v72, v72, v206
	v_and_b32_e32 v206, v70, v4
	v_lshlrev_b32_e32 v4, 24, v69
	v_cmp_gt_i64_e32 vcc, 0, v[3:4]
	v_not_b32_e32 v4, v4
	v_ashrrev_i32_e32 v4, 31, v4
	v_mul_u32_u24_e32 v71, 20, v69
	v_xor_b32_e32 v69, vcc_hi, v4
	v_xor_b32_e32 v4, vcc_lo, v4
	v_and_b32_e32 v70, v72, v69
	v_and_b32_e32 v69, v206, v4
	v_mbcnt_lo_u32_b32 v4, v69, 0
	v_mbcnt_hi_u32_b32 v206, v70, v4
	v_cmp_ne_u64_e32 vcc, 0, v[69:70]
	v_cmp_eq_u32_e64 s[38:39], 0, v206
	s_and_b64 s[40:41], vcc, s[38:39]
	v_add_u32_e32 v208, v172, v71
	; wave barrier
	s_and_saveexec_b64 s[38:39], s[40:41]
	s_cbranch_execz .LBB1123_740
; %bb.739:                              ;   in Loop: Header=BB1123_682 Depth=2
	v_bcnt_u32_b32 v4, v69, 0
	v_bcnt_u32_b32 v4, v70, v4
	s_waitcnt lgkmcnt(0)
	v_add_u32_e32 v4, v204, v4
	ds_write_b32 v208, v4 offset:1040
.LBB1123_740:                           ;   in Loop: Header=BB1123_682 Depth=2
	s_or_b64 exec, exec, s[38:39]
	v_cmp_gt_i64_e32 vcc, 0, v[55:56]
	v_ashrrev_i32_e32 v69, 31, v56
	v_cndmask_b32_e64 v4, v133, 0, vcc
	v_not_b32_e32 v69, v69
	v_xor_b32_e32 v56, v4, v56
	v_xor_b32_e32 v55, v69, v55
	v_cmp_ne_u64_e32 vcc, s[72:73], v[55:56]
	v_cndmask_b32_e32 v70, v133, v56, vcc
	v_cndmask_b32_e32 v69, -1, v55, vcc
	v_lshrrev_b64 v[69:70], s7, v[69:70]
	; wave barrier
	v_and_b32_e32 v69, s96, v69
	v_mad_u32_u24 v4, v69, 20, v172
	ds_read_b32 v207, v4 offset:1040
	v_and_b32_e32 v4, 1, v69
	v_add_co_u32_e32 v70, vcc, -1, v4
	v_addc_co_u32_e64 v72, s[38:39], 0, -1, vcc
	v_cmp_ne_u32_e32 vcc, 0, v4
	v_xor_b32_e32 v4, vcc_hi, v72
	v_and_b32_e32 v72, exec_hi, v4
	v_lshlrev_b32_e32 v4, 30, v69
	v_xor_b32_e32 v70, vcc_lo, v70
	v_cmp_gt_i64_e32 vcc, 0, v[3:4]
	v_not_b32_e32 v4, v4
	v_ashrrev_i32_e32 v4, 31, v4
	v_and_b32_e32 v70, exec_lo, v70
	v_xor_b32_e32 v209, vcc_hi, v4
	v_xor_b32_e32 v4, vcc_lo, v4
	v_and_b32_e32 v70, v70, v4
	v_lshlrev_b32_e32 v4, 29, v69
	v_cmp_gt_i64_e32 vcc, 0, v[3:4]
	v_not_b32_e32 v4, v4
	v_ashrrev_i32_e32 v4, 31, v4
	v_and_b32_e32 v72, v72, v209
	v_xor_b32_e32 v209, vcc_hi, v4
	v_xor_b32_e32 v4, vcc_lo, v4
	v_and_b32_e32 v70, v70, v4
	v_lshlrev_b32_e32 v4, 28, v69
	v_cmp_gt_i64_e32 vcc, 0, v[3:4]
	v_not_b32_e32 v4, v4
	v_ashrrev_i32_e32 v4, 31, v4
	v_and_b32_e32 v72, v72, v209
	;; [unrolled: 8-line block ×5, first 2 shown]
	v_xor_b32_e32 v209, vcc_hi, v4
	v_xor_b32_e32 v4, vcc_lo, v4
	v_and_b32_e32 v72, v72, v209
	v_and_b32_e32 v209, v70, v4
	v_lshlrev_b32_e32 v4, 24, v69
	v_cmp_gt_i64_e32 vcc, 0, v[3:4]
	v_not_b32_e32 v4, v4
	v_ashrrev_i32_e32 v4, 31, v4
	v_mul_u32_u24_e32 v71, 20, v69
	v_xor_b32_e32 v69, vcc_hi, v4
	v_xor_b32_e32 v4, vcc_lo, v4
	v_and_b32_e32 v70, v72, v69
	v_and_b32_e32 v69, v209, v4
	v_mbcnt_lo_u32_b32 v4, v69, 0
	v_mbcnt_hi_u32_b32 v209, v70, v4
	v_cmp_ne_u64_e32 vcc, 0, v[69:70]
	v_cmp_eq_u32_e64 s[38:39], 0, v209
	s_and_b64 s[40:41], vcc, s[38:39]
	v_add_u32_e32 v211, v172, v71
	; wave barrier
	s_and_saveexec_b64 s[38:39], s[40:41]
	s_cbranch_execz .LBB1123_742
; %bb.741:                              ;   in Loop: Header=BB1123_682 Depth=2
	v_bcnt_u32_b32 v4, v69, 0
	v_bcnt_u32_b32 v4, v70, v4
	s_waitcnt lgkmcnt(0)
	v_add_u32_e32 v4, v207, v4
	ds_write_b32 v211, v4 offset:1040
.LBB1123_742:                           ;   in Loop: Header=BB1123_682 Depth=2
	s_or_b64 exec, exec, s[38:39]
	v_cmp_gt_i64_e32 vcc, 0, v[51:52]
	v_ashrrev_i32_e32 v69, 31, v52
	v_cndmask_b32_e64 v4, v133, 0, vcc
	v_not_b32_e32 v69, v69
	v_xor_b32_e32 v52, v4, v52
	v_xor_b32_e32 v51, v69, v51
	v_cmp_ne_u64_e32 vcc, s[72:73], v[51:52]
	v_cndmask_b32_e32 v70, v133, v52, vcc
	v_cndmask_b32_e32 v69, -1, v51, vcc
	v_lshrrev_b64 v[69:70], s7, v[69:70]
	; wave barrier
	v_and_b32_e32 v69, s96, v69
	v_mad_u32_u24 v4, v69, 20, v172
	ds_read_b32 v210, v4 offset:1040
	v_and_b32_e32 v4, 1, v69
	v_add_co_u32_e32 v70, vcc, -1, v4
	v_addc_co_u32_e64 v72, s[38:39], 0, -1, vcc
	v_cmp_ne_u32_e32 vcc, 0, v4
	v_xor_b32_e32 v4, vcc_hi, v72
	v_and_b32_e32 v72, exec_hi, v4
	v_lshlrev_b32_e32 v4, 30, v69
	v_xor_b32_e32 v70, vcc_lo, v70
	v_cmp_gt_i64_e32 vcc, 0, v[3:4]
	v_not_b32_e32 v4, v4
	v_ashrrev_i32_e32 v4, 31, v4
	v_and_b32_e32 v70, exec_lo, v70
	v_xor_b32_e32 v212, vcc_hi, v4
	v_xor_b32_e32 v4, vcc_lo, v4
	v_and_b32_e32 v70, v70, v4
	v_lshlrev_b32_e32 v4, 29, v69
	v_cmp_gt_i64_e32 vcc, 0, v[3:4]
	v_not_b32_e32 v4, v4
	v_ashrrev_i32_e32 v4, 31, v4
	v_and_b32_e32 v72, v72, v212
	v_xor_b32_e32 v212, vcc_hi, v4
	v_xor_b32_e32 v4, vcc_lo, v4
	v_and_b32_e32 v70, v70, v4
	v_lshlrev_b32_e32 v4, 28, v69
	v_cmp_gt_i64_e32 vcc, 0, v[3:4]
	v_not_b32_e32 v4, v4
	v_ashrrev_i32_e32 v4, 31, v4
	v_and_b32_e32 v72, v72, v212
	;; [unrolled: 8-line block ×5, first 2 shown]
	v_xor_b32_e32 v212, vcc_hi, v4
	v_xor_b32_e32 v4, vcc_lo, v4
	v_and_b32_e32 v72, v72, v212
	v_and_b32_e32 v212, v70, v4
	v_lshlrev_b32_e32 v4, 24, v69
	v_cmp_gt_i64_e32 vcc, 0, v[3:4]
	v_not_b32_e32 v4, v4
	v_ashrrev_i32_e32 v4, 31, v4
	v_mul_u32_u24_e32 v71, 20, v69
	v_xor_b32_e32 v69, vcc_hi, v4
	v_xor_b32_e32 v4, vcc_lo, v4
	v_and_b32_e32 v70, v72, v69
	v_and_b32_e32 v69, v212, v4
	v_mbcnt_lo_u32_b32 v4, v69, 0
	v_mbcnt_hi_u32_b32 v212, v70, v4
	v_cmp_ne_u64_e32 vcc, 0, v[69:70]
	v_cmp_eq_u32_e64 s[38:39], 0, v212
	s_and_b64 s[40:41], vcc, s[38:39]
	v_add_u32_e32 v214, v172, v71
	; wave barrier
	s_and_saveexec_b64 s[38:39], s[40:41]
	s_cbranch_execz .LBB1123_744
; %bb.743:                              ;   in Loop: Header=BB1123_682 Depth=2
	v_bcnt_u32_b32 v4, v69, 0
	v_bcnt_u32_b32 v4, v70, v4
	s_waitcnt lgkmcnt(0)
	v_add_u32_e32 v4, v210, v4
	ds_write_b32 v214, v4 offset:1040
.LBB1123_744:                           ;   in Loop: Header=BB1123_682 Depth=2
	s_or_b64 exec, exec, s[38:39]
	v_cmp_gt_i64_e32 vcc, 0, v[47:48]
	v_ashrrev_i32_e32 v69, 31, v48
	v_cndmask_b32_e64 v4, v133, 0, vcc
	v_not_b32_e32 v69, v69
	v_xor_b32_e32 v48, v4, v48
	v_xor_b32_e32 v47, v69, v47
	v_cmp_ne_u64_e32 vcc, s[72:73], v[47:48]
	v_cndmask_b32_e32 v70, v133, v48, vcc
	v_cndmask_b32_e32 v69, -1, v47, vcc
	v_lshrrev_b64 v[69:70], s7, v[69:70]
	; wave barrier
	v_and_b32_e32 v69, s96, v69
	v_mad_u32_u24 v4, v69, 20, v172
	ds_read_b32 v213, v4 offset:1040
	v_and_b32_e32 v4, 1, v69
	v_add_co_u32_e32 v70, vcc, -1, v4
	v_addc_co_u32_e64 v72, s[38:39], 0, -1, vcc
	v_cmp_ne_u32_e32 vcc, 0, v4
	v_xor_b32_e32 v4, vcc_hi, v72
	v_and_b32_e32 v72, exec_hi, v4
	v_lshlrev_b32_e32 v4, 30, v69
	v_xor_b32_e32 v70, vcc_lo, v70
	v_cmp_gt_i64_e32 vcc, 0, v[3:4]
	v_not_b32_e32 v4, v4
	v_ashrrev_i32_e32 v4, 31, v4
	v_and_b32_e32 v70, exec_lo, v70
	v_xor_b32_e32 v215, vcc_hi, v4
	v_xor_b32_e32 v4, vcc_lo, v4
	v_and_b32_e32 v70, v70, v4
	v_lshlrev_b32_e32 v4, 29, v69
	v_cmp_gt_i64_e32 vcc, 0, v[3:4]
	v_not_b32_e32 v4, v4
	v_ashrrev_i32_e32 v4, 31, v4
	v_and_b32_e32 v72, v72, v215
	v_xor_b32_e32 v215, vcc_hi, v4
	v_xor_b32_e32 v4, vcc_lo, v4
	v_and_b32_e32 v70, v70, v4
	v_lshlrev_b32_e32 v4, 28, v69
	v_cmp_gt_i64_e32 vcc, 0, v[3:4]
	v_not_b32_e32 v4, v4
	v_ashrrev_i32_e32 v4, 31, v4
	v_and_b32_e32 v72, v72, v215
	;; [unrolled: 8-line block ×5, first 2 shown]
	v_xor_b32_e32 v215, vcc_hi, v4
	v_xor_b32_e32 v4, vcc_lo, v4
	v_and_b32_e32 v72, v72, v215
	v_and_b32_e32 v215, v70, v4
	v_lshlrev_b32_e32 v4, 24, v69
	v_cmp_gt_i64_e32 vcc, 0, v[3:4]
	v_not_b32_e32 v4, v4
	v_ashrrev_i32_e32 v4, 31, v4
	v_mul_u32_u24_e32 v71, 20, v69
	v_xor_b32_e32 v69, vcc_hi, v4
	v_xor_b32_e32 v4, vcc_lo, v4
	v_and_b32_e32 v70, v72, v69
	v_and_b32_e32 v69, v215, v4
	v_mbcnt_lo_u32_b32 v4, v69, 0
	v_mbcnt_hi_u32_b32 v215, v70, v4
	v_cmp_ne_u64_e32 vcc, 0, v[69:70]
	v_cmp_eq_u32_e64 s[38:39], 0, v215
	s_and_b64 s[40:41], vcc, s[38:39]
	v_add_u32_e32 v217, v172, v71
	; wave barrier
	s_and_saveexec_b64 s[38:39], s[40:41]
	s_cbranch_execz .LBB1123_746
; %bb.745:                              ;   in Loop: Header=BB1123_682 Depth=2
	v_bcnt_u32_b32 v4, v69, 0
	v_bcnt_u32_b32 v4, v70, v4
	s_waitcnt lgkmcnt(0)
	v_add_u32_e32 v4, v213, v4
	ds_write_b32 v217, v4 offset:1040
.LBB1123_746:                           ;   in Loop: Header=BB1123_682 Depth=2
	s_or_b64 exec, exec, s[38:39]
	v_cmp_gt_i64_e32 vcc, 0, v[41:42]
	v_ashrrev_i32_e32 v69, 31, v42
	v_cndmask_b32_e64 v4, v133, 0, vcc
	v_not_b32_e32 v69, v69
	v_xor_b32_e32 v42, v4, v42
	v_xor_b32_e32 v41, v69, v41
	v_cmp_ne_u64_e32 vcc, s[72:73], v[41:42]
	v_cndmask_b32_e32 v70, v133, v42, vcc
	v_cndmask_b32_e32 v69, -1, v41, vcc
	v_lshrrev_b64 v[69:70], s7, v[69:70]
	; wave barrier
	v_and_b32_e32 v69, s96, v69
	v_mad_u32_u24 v4, v69, 20, v172
	ds_read_b32 v216, v4 offset:1040
	v_and_b32_e32 v4, 1, v69
	v_add_co_u32_e32 v70, vcc, -1, v4
	v_addc_co_u32_e64 v72, s[38:39], 0, -1, vcc
	v_cmp_ne_u32_e32 vcc, 0, v4
	v_xor_b32_e32 v4, vcc_hi, v72
	v_and_b32_e32 v72, exec_hi, v4
	v_lshlrev_b32_e32 v4, 30, v69
	v_xor_b32_e32 v70, vcc_lo, v70
	v_cmp_gt_i64_e32 vcc, 0, v[3:4]
	v_not_b32_e32 v4, v4
	v_ashrrev_i32_e32 v4, 31, v4
	v_and_b32_e32 v70, exec_lo, v70
	v_xor_b32_e32 v218, vcc_hi, v4
	v_xor_b32_e32 v4, vcc_lo, v4
	v_and_b32_e32 v70, v70, v4
	v_lshlrev_b32_e32 v4, 29, v69
	v_cmp_gt_i64_e32 vcc, 0, v[3:4]
	v_not_b32_e32 v4, v4
	v_ashrrev_i32_e32 v4, 31, v4
	v_and_b32_e32 v72, v72, v218
	v_xor_b32_e32 v218, vcc_hi, v4
	v_xor_b32_e32 v4, vcc_lo, v4
	v_and_b32_e32 v70, v70, v4
	v_lshlrev_b32_e32 v4, 28, v69
	v_cmp_gt_i64_e32 vcc, 0, v[3:4]
	v_not_b32_e32 v4, v4
	v_ashrrev_i32_e32 v4, 31, v4
	v_and_b32_e32 v72, v72, v218
	;; [unrolled: 8-line block ×5, first 2 shown]
	v_xor_b32_e32 v218, vcc_hi, v4
	v_xor_b32_e32 v4, vcc_lo, v4
	v_and_b32_e32 v72, v72, v218
	v_and_b32_e32 v218, v70, v4
	v_lshlrev_b32_e32 v4, 24, v69
	v_cmp_gt_i64_e32 vcc, 0, v[3:4]
	v_not_b32_e32 v4, v4
	v_ashrrev_i32_e32 v4, 31, v4
	v_mul_u32_u24_e32 v71, 20, v69
	v_xor_b32_e32 v69, vcc_hi, v4
	v_xor_b32_e32 v4, vcc_lo, v4
	v_and_b32_e32 v70, v72, v69
	v_and_b32_e32 v69, v218, v4
	v_mbcnt_lo_u32_b32 v4, v69, 0
	v_mbcnt_hi_u32_b32 v218, v70, v4
	v_cmp_ne_u64_e32 vcc, 0, v[69:70]
	v_cmp_eq_u32_e64 s[38:39], 0, v218
	s_and_b64 s[40:41], vcc, s[38:39]
	v_add_u32_e32 v220, v172, v71
	; wave barrier
	s_and_saveexec_b64 s[38:39], s[40:41]
	s_cbranch_execz .LBB1123_748
; %bb.747:                              ;   in Loop: Header=BB1123_682 Depth=2
	v_bcnt_u32_b32 v4, v69, 0
	v_bcnt_u32_b32 v4, v70, v4
	s_waitcnt lgkmcnt(0)
	v_add_u32_e32 v4, v216, v4
	ds_write_b32 v220, v4 offset:1040
.LBB1123_748:                           ;   in Loop: Header=BB1123_682 Depth=2
	s_or_b64 exec, exec, s[38:39]
	v_cmp_gt_i64_e32 vcc, 0, v[43:44]
	v_ashrrev_i32_e32 v69, 31, v44
	v_cndmask_b32_e64 v4, v133, 0, vcc
	v_not_b32_e32 v69, v69
	v_xor_b32_e32 v44, v4, v44
	v_xor_b32_e32 v43, v69, v43
	v_cmp_ne_u64_e32 vcc, s[72:73], v[43:44]
	v_cndmask_b32_e32 v70, v133, v44, vcc
	v_cndmask_b32_e32 v69, -1, v43, vcc
	v_lshrrev_b64 v[69:70], s7, v[69:70]
	; wave barrier
	v_and_b32_e32 v69, s96, v69
	v_mad_u32_u24 v4, v69, 20, v172
	ds_read_b32 v219, v4 offset:1040
	v_and_b32_e32 v4, 1, v69
	v_add_co_u32_e32 v70, vcc, -1, v4
	v_addc_co_u32_e64 v72, s[38:39], 0, -1, vcc
	v_cmp_ne_u32_e32 vcc, 0, v4
	v_xor_b32_e32 v4, vcc_hi, v72
	v_and_b32_e32 v72, exec_hi, v4
	v_lshlrev_b32_e32 v4, 30, v69
	v_xor_b32_e32 v70, vcc_lo, v70
	v_cmp_gt_i64_e32 vcc, 0, v[3:4]
	v_not_b32_e32 v4, v4
	v_ashrrev_i32_e32 v4, 31, v4
	v_and_b32_e32 v70, exec_lo, v70
	v_xor_b32_e32 v221, vcc_hi, v4
	v_xor_b32_e32 v4, vcc_lo, v4
	v_and_b32_e32 v70, v70, v4
	v_lshlrev_b32_e32 v4, 29, v69
	v_cmp_gt_i64_e32 vcc, 0, v[3:4]
	v_not_b32_e32 v4, v4
	v_ashrrev_i32_e32 v4, 31, v4
	v_and_b32_e32 v72, v72, v221
	v_xor_b32_e32 v221, vcc_hi, v4
	v_xor_b32_e32 v4, vcc_lo, v4
	v_and_b32_e32 v70, v70, v4
	v_lshlrev_b32_e32 v4, 28, v69
	v_cmp_gt_i64_e32 vcc, 0, v[3:4]
	v_not_b32_e32 v4, v4
	v_ashrrev_i32_e32 v4, 31, v4
	v_and_b32_e32 v72, v72, v221
	;; [unrolled: 8-line block ×5, first 2 shown]
	v_xor_b32_e32 v221, vcc_hi, v4
	v_xor_b32_e32 v4, vcc_lo, v4
	v_and_b32_e32 v72, v72, v221
	v_and_b32_e32 v221, v70, v4
	v_lshlrev_b32_e32 v4, 24, v69
	v_cmp_gt_i64_e32 vcc, 0, v[3:4]
	v_not_b32_e32 v4, v4
	v_ashrrev_i32_e32 v4, 31, v4
	v_mul_u32_u24_e32 v71, 20, v69
	v_xor_b32_e32 v69, vcc_hi, v4
	v_xor_b32_e32 v4, vcc_lo, v4
	v_and_b32_e32 v70, v72, v69
	v_and_b32_e32 v69, v221, v4
	v_mbcnt_lo_u32_b32 v4, v69, 0
	v_mbcnt_hi_u32_b32 v221, v70, v4
	v_cmp_ne_u64_e32 vcc, 0, v[69:70]
	v_cmp_eq_u32_e64 s[38:39], 0, v221
	s_and_b64 s[40:41], vcc, s[38:39]
	v_add_u32_e32 v4, v172, v71
	; wave barrier
	s_and_saveexec_b64 s[38:39], s[40:41]
	s_cbranch_execz .LBB1123_750
; %bb.749:                              ;   in Loop: Header=BB1123_682 Depth=2
	v_bcnt_u32_b32 v69, v69, 0
	v_bcnt_u32_b32 v69, v70, v69
	s_waitcnt lgkmcnt(0)
	v_add_u32_e32 v69, v219, v69
	ds_write_b32 v4, v69 offset:1040
.LBB1123_750:                           ;   in Loop: Header=BB1123_682 Depth=2
	s_or_b64 exec, exec, s[38:39]
	; wave barrier
	s_waitcnt lgkmcnt(0)
	s_barrier
	ds_read2_b32 v[71:72], v175 offset1:1
	ds_read2_b32 v[69:70], v174 offset1:1
	ds_read_b32 v222, v98 offset:1056
	s_waitcnt lgkmcnt(1)
	v_add3_u32 v223, v72, v71, v69
	s_waitcnt lgkmcnt(0)
	v_add3_u32 v222, v223, v70, v222
	s_nop 1
	v_mov_b32_dpp v223, v222 row_shr:1 row_mask:0xf bank_mask:0xf
	v_cndmask_b32_e64 v223, v223, 0, s[18:19]
	v_add_u32_e32 v222, v223, v222
	s_nop 1
	v_mov_b32_dpp v223, v222 row_shr:2 row_mask:0xf bank_mask:0xf
	v_cndmask_b32_e64 v223, 0, v223, s[20:21]
	v_add_u32_e32 v222, v222, v223
	;; [unrolled: 4-line block ×4, first 2 shown]
	s_nop 1
	v_mov_b32_dpp v223, v222 row_bcast:15 row_mask:0xf bank_mask:0xf
	v_cndmask_b32_e64 v223, v223, 0, s[26:27]
	v_add_u32_e32 v222, v222, v223
	s_nop 1
	v_mov_b32_dpp v223, v222 row_bcast:31 row_mask:0xf bank_mask:0xf
	v_cndmask_b32_e64 v223, 0, v223, s[28:29]
	v_add_u32_e32 v222, v222, v223
	s_and_saveexec_b64 s[38:39], s[8:9]
; %bb.751:                              ;   in Loop: Header=BB1123_682 Depth=2
	ds_write_b32 v93, v222 offset:1024
; %bb.752:                              ;   in Loop: Header=BB1123_682 Depth=2
	s_or_b64 exec, exec, s[38:39]
	s_waitcnt lgkmcnt(0)
	s_barrier
	s_and_saveexec_b64 s[38:39], s[10:11]
	s_cbranch_execz .LBB1123_754
; %bb.753:                              ;   in Loop: Header=BB1123_682 Depth=2
	ds_read_b32 v223, v99 offset:1024
	s_waitcnt lgkmcnt(0)
	s_nop 0
	v_mov_b32_dpp v224, v223 row_shr:1 row_mask:0xf bank_mask:0xf
	v_cndmask_b32_e64 v224, v224, 0, s[34:35]
	v_add_u32_e32 v223, v224, v223
	s_nop 1
	v_mov_b32_dpp v224, v223 row_shr:2 row_mask:0xf bank_mask:0xf
	v_cndmask_b32_e64 v224, 0, v224, s[36:37]
	v_add_u32_e32 v223, v223, v224
	ds_write_b32 v99, v223 offset:1024
.LBB1123_754:                           ;   in Loop: Header=BB1123_682 Depth=2
	s_or_b64 exec, exec, s[38:39]
	v_mov_b32_e32 v223, 0
	s_waitcnt lgkmcnt(0)
	s_barrier
	s_and_saveexec_b64 s[38:39], s[12:13]
; %bb.755:                              ;   in Loop: Header=BB1123_682 Depth=2
	ds_read_b32 v223, v93 offset:1020
; %bb.756:                              ;   in Loop: Header=BB1123_682 Depth=2
	s_or_b64 exec, exec, s[38:39]
	s_waitcnt lgkmcnt(0)
	v_add_u32_e32 v222, v223, v222
	ds_bpermute_b32 v222, v135, v222
	s_waitcnt lgkmcnt(0)
	v_cndmask_b32_e64 v222, v222, v223, s[30:31]
	v_cndmask_b32_e64 v222, v222, 0, s[14:15]
	v_add_u32_e32 v71, v222, v71
	v_add_u32_e32 v72, v71, v72
	;; [unrolled: 1-line block ×4, first 2 shown]
	ds_write2_b32 v175, v222, v71 offset1:1
	ds_write2_b32 v174, v72, v69 offset1:1
	ds_write_b32 v98, v70 offset:1056
	s_waitcnt lgkmcnt(0)
	s_barrier
	ds_read_b32 v69, v178 offset:1040
	ds_read_b32 v70, v181 offset:1040
	;; [unrolled: 1-line block ×17, first 2 shown]
	v_mov_b32_e32 v4, 0x1000
	s_and_saveexec_b64 s[38:39], s[16:17]
; %bb.757:                              ;   in Loop: Header=BB1123_682 Depth=2
	ds_read_b32 v4, v98 offset:1060
; %bb.758:                              ;   in Loop: Header=BB1123_682 Depth=2
	s_or_b64 exec, exec, s[38:39]
	s_waitcnt lgkmcnt(0)
	s_barrier
	s_and_saveexec_b64 s[38:39], s[4:5]
	s_cbranch_execz .LBB1123_760
; %bb.759:                              ;   in Loop: Header=BB1123_682 Depth=2
	ds_read_b32 v199, v73
	s_waitcnt lgkmcnt(0)
	v_sub_u32_e32 v196, v199, v196
	ds_write_b32 v73, v196
.LBB1123_760:                           ;   in Loop: Header=BB1123_682 Depth=2
	s_or_b64 exec, exec, s[38:39]
	v_lshlrev_b32_e32 v176, 3, v176
	v_lshl_add_u32 v69, v69, 3, v176
	ds_write_b64 v69, v[37:38] offset:1024
	v_lshlrev_b32_e32 v37, 3, v179
	v_lshlrev_b32_e32 v38, 3, v177
	;; [unrolled: 1-line block ×3, first 2 shown]
	v_add3_u32 v70, v37, v38, v70
	ds_write_b64 v70, v[39:40] offset:1024
	v_lshlrev_b32_e32 v37, 3, v182
	v_lshlrev_b32_e32 v38, 3, v180
	v_lshlrev_b32_e32 v39, 3, v225
	v_add3_u32 v39, v37, v38, v39
	v_lshlrev_b32_e32 v37, 3, v185
	v_lshlrev_b32_e32 v38, 3, v183
	v_lshlrev_b32_e32 v40, 3, v224
	ds_write_b64 v39, v[45:46] offset:1024
	v_add3_u32 v40, v37, v38, v40
	v_lshlrev_b32_e32 v37, 3, v188
	v_lshlrev_b32_e32 v38, 3, v186
	v_lshlrev_b32_e32 v45, 3, v223
	v_add3_u32 v45, v37, v38, v45
	v_lshlrev_b32_e32 v37, 3, v191
	v_lshlrev_b32_e32 v38, 3, v189
	v_lshlrev_b32_e32 v46, 3, v222
	ds_write_b64 v40, v[49:50] offset:1024
	v_add3_u32 v46, v37, v38, v46
	;; [unrolled: 9-line block ×4, first 2 shown]
	v_lshlrev_b32_e32 v37, 3, v206
	v_lshlrev_b32_e32 v38, 3, v204
	;; [unrolled: 1-line block ×3, first 2 shown]
	v_add3_u32 v57, v37, v38, v57
	v_lshlrev_b32_e32 v37, 3, v209
	v_lshlrev_b32_e32 v38, 3, v207
	;; [unrolled: 1-line block ×3, first 2 shown]
	v_add3_u32 v58, v37, v38, v58
	ds_write_b64 v49, v[63:64] offset:1024
	ds_write_b64 v50, v[65:66] offset:1024
	;; [unrolled: 1-line block ×6, first 2 shown]
	v_lshlrev_b32_e32 v37, 3, v212
	v_lshlrev_b32_e32 v38, 3, v210
	v_lshlrev_b32_e32 v55, 3, v175
	v_add3_u32 v55, v37, v38, v55
	ds_write_b64 v55, v[51:52] offset:1024
	v_lshlrev_b32_e32 v37, 3, v215
	v_lshlrev_b32_e32 v38, 3, v213
	v_lshlrev_b32_e32 v51, 3, v174
	v_add3_u32 v51, v37, v38, v51
	ds_write_b64 v51, v[47:48] offset:1024
	;; [unrolled: 5-line block ×3, first 2 shown]
	v_lshlrev_b32_e32 v37, 3, v221
	v_lshlrev_b32_e32 v38, 3, v219
	;; [unrolled: 1-line block ×3, first 2 shown]
	v_add3_u32 v41, v37, v38, v41
	v_cmp_lt_u32_e64 s[38:39], v0, v173
	ds_write_b64 v41, v[43:44] offset:1024
	s_waitcnt lgkmcnt(0)
	s_barrier
	s_and_saveexec_b64 s[40:41], s[38:39]
	s_cbranch_execnz .LBB1123_829
; %bb.761:                              ;   in Loop: Header=BB1123_682 Depth=2
	s_or_b64 exec, exec, s[40:41]
	v_cmp_lt_u32_e64 s[40:41], v74, v173
	s_and_saveexec_b64 s[42:43], s[40:41]
	s_cbranch_execnz .LBB1123_830
.LBB1123_762:                           ;   in Loop: Header=BB1123_682 Depth=2
	s_or_b64 exec, exec, s[42:43]
	v_cmp_lt_u32_e64 s[42:43], v75, v173
	s_and_saveexec_b64 s[44:45], s[42:43]
	s_cbranch_execnz .LBB1123_831
.LBB1123_763:                           ;   in Loop: Header=BB1123_682 Depth=2
	s_or_b64 exec, exec, s[44:45]
	v_cmp_lt_u32_e64 s[44:45], v76, v173
	s_and_saveexec_b64 s[46:47], s[44:45]
	s_cbranch_execnz .LBB1123_832
.LBB1123_764:                           ;   in Loop: Header=BB1123_682 Depth=2
	s_or_b64 exec, exec, s[46:47]
	v_cmp_lt_u32_e64 s[46:47], v79, v173
	s_and_saveexec_b64 s[48:49], s[46:47]
	s_cbranch_execnz .LBB1123_833
.LBB1123_765:                           ;   in Loop: Header=BB1123_682 Depth=2
	s_or_b64 exec, exec, s[48:49]
	v_cmp_lt_u32_e64 s[48:49], v80, v173
	s_and_saveexec_b64 s[50:51], s[48:49]
	s_cbranch_execnz .LBB1123_834
.LBB1123_766:                           ;   in Loop: Header=BB1123_682 Depth=2
	s_or_b64 exec, exec, s[50:51]
	v_cmp_lt_u32_e64 s[50:51], v81, v173
	s_and_saveexec_b64 s[52:53], s[50:51]
	s_cbranch_execnz .LBB1123_835
.LBB1123_767:                           ;   in Loop: Header=BB1123_682 Depth=2
	s_or_b64 exec, exec, s[52:53]
	v_cmp_lt_u32_e64 s[52:53], v82, v173
	s_and_saveexec_b64 s[54:55], s[52:53]
	s_cbranch_execnz .LBB1123_836
.LBB1123_768:                           ;   in Loop: Header=BB1123_682 Depth=2
	s_or_b64 exec, exec, s[54:55]
	v_cmp_lt_u32_e64 s[54:55], v83, v173
	s_and_saveexec_b64 s[56:57], s[54:55]
	s_cbranch_execnz .LBB1123_837
.LBB1123_769:                           ;   in Loop: Header=BB1123_682 Depth=2
	s_or_b64 exec, exec, s[56:57]
	v_cmp_lt_u32_e64 s[56:57], v84, v173
	s_and_saveexec_b64 s[58:59], s[56:57]
	s_cbranch_execnz .LBB1123_838
.LBB1123_770:                           ;   in Loop: Header=BB1123_682 Depth=2
	s_or_b64 exec, exec, s[58:59]
	v_cmp_lt_u32_e64 s[58:59], v85, v173
	s_and_saveexec_b64 s[60:61], s[58:59]
	s_cbranch_execnz .LBB1123_839
.LBB1123_771:                           ;   in Loop: Header=BB1123_682 Depth=2
	s_or_b64 exec, exec, s[60:61]
	v_cmp_lt_u32_e64 s[60:61], v86, v173
	s_and_saveexec_b64 s[62:63], s[60:61]
	s_cbranch_execnz .LBB1123_840
.LBB1123_772:                           ;   in Loop: Header=BB1123_682 Depth=2
	s_or_b64 exec, exec, s[62:63]
	v_cmp_lt_u32_e64 s[62:63], v87, v173
	s_and_saveexec_b64 s[64:65], s[62:63]
	s_cbranch_execnz .LBB1123_841
.LBB1123_773:                           ;   in Loop: Header=BB1123_682 Depth=2
	s_or_b64 exec, exec, s[64:65]
	v_cmp_lt_u32_e64 s[64:65], v88, v173
	s_and_saveexec_b64 s[66:67], s[64:65]
	s_cbranch_execnz .LBB1123_842
.LBB1123_774:                           ;   in Loop: Header=BB1123_682 Depth=2
	s_or_b64 exec, exec, s[66:67]
	v_cmp_lt_u32_e64 s[66:67], v89, v173
	s_and_saveexec_b64 s[68:69], s[66:67]
	s_cbranch_execnz .LBB1123_843
.LBB1123_775:                           ;   in Loop: Header=BB1123_682 Depth=2
	s_or_b64 exec, exec, s[68:69]
	v_cmp_lt_u32_e64 s[68:69], v90, v173
	s_and_saveexec_b64 s[92:93], s[68:69]
	s_cbranch_execz .LBB1123_777
.LBB1123_776:                           ;   in Loop: Header=BB1123_682 Depth=2
	ds_read_b64 v[37:38], v104 offset:31744
	v_mov_b32_e32 v43, v3
	v_mov_b32_e32 v44, s79
	s_waitcnt lgkmcnt(0)
	v_cmp_ne_u64_e32 vcc, s[72:73], v[37:38]
	v_ashrrev_i32_e32 v52, 31, v38
	v_cndmask_b32_e32 v60, v133, v38, vcc
	v_cndmask_b32_e32 v59, -1, v37, vcc
	v_lshrrev_b64 v[59:60], s7, v[59:60]
	v_cmp_gt_i64_e32 vcc, 0, v[37:38]
	v_and_b32_e32 v48, s96, v59
	v_lshlrev_b32_e32 v48, 2, v48
	ds_read_b32 v48, v48
	v_cndmask_b32_e64 v42, v133, 0, vcc
	v_xor_b32_e32 v38, v42, v38
	v_not_b32_e32 v52, v52
	v_xor_b32_e32 v37, v52, v37
	s_waitcnt lgkmcnt(0)
	v_add_u32_e32 v42, v48, v90
	v_lshlrev_b64 v[42:43], 3, v[42:43]
	v_add_co_u32_e32 v42, vcc, s78, v42
	v_addc_co_u32_e32 v43, vcc, v44, v43, vcc
	global_store_dwordx2 v[42:43], v[37:38], off
.LBB1123_777:                           ;   in Loop: Header=BB1123_682 Depth=2
	s_or_b64 exec, exec, s[92:93]
	s_mov_b32 s83, s72
	s_lshl_b64 s[82:83], s[82:83], 3
	v_mov_b32_e32 v38, s83
	v_add_co_u32_e32 v37, vcc, s82, v145
	v_addc_co_u32_e32 v38, vcc, v147, v38, vcc
	v_cmp_lt_u32_e32 vcc, v143, v173
	s_and_saveexec_b64 s[82:83], vcc
	s_xor_b64 s[82:83], exec, s[82:83]
	s_cbranch_execnz .LBB1123_844
; %bb.778:                              ;   in Loop: Header=BB1123_682 Depth=2
	s_or_b64 exec, exec, s[82:83]
	v_cmp_lt_u32_e32 vcc, v149, v173
	s_and_saveexec_b64 s[82:83], vcc
	s_cbranch_execnz .LBB1123_845
.LBB1123_779:                           ;   in Loop: Header=BB1123_682 Depth=2
	s_or_b64 exec, exec, s[82:83]
	v_cmp_lt_u32_e32 vcc, v151, v173
	s_and_saveexec_b64 s[82:83], vcc
	s_cbranch_execnz .LBB1123_846
.LBB1123_780:                           ;   in Loop: Header=BB1123_682 Depth=2
	s_or_b64 exec, exec, s[82:83]
	v_cmp_lt_u32_e32 vcc, v153, v173
	s_and_saveexec_b64 s[82:83], vcc
	s_cbranch_execnz .LBB1123_847
.LBB1123_781:                           ;   in Loop: Header=BB1123_682 Depth=2
	s_or_b64 exec, exec, s[82:83]
	v_cmp_lt_u32_e32 vcc, v155, v173
	s_and_saveexec_b64 s[82:83], vcc
	s_cbranch_execnz .LBB1123_848
.LBB1123_782:                           ;   in Loop: Header=BB1123_682 Depth=2
	s_or_b64 exec, exec, s[82:83]
	v_cmp_lt_u32_e32 vcc, v157, v173
	s_and_saveexec_b64 s[82:83], vcc
	s_cbranch_execnz .LBB1123_849
.LBB1123_783:                           ;   in Loop: Header=BB1123_682 Depth=2
	s_or_b64 exec, exec, s[82:83]
	v_cmp_lt_u32_e32 vcc, v159, v173
	s_and_saveexec_b64 s[82:83], vcc
	s_cbranch_execnz .LBB1123_850
.LBB1123_784:                           ;   in Loop: Header=BB1123_682 Depth=2
	s_or_b64 exec, exec, s[82:83]
	v_cmp_lt_u32_e32 vcc, v161, v173
	s_and_saveexec_b64 s[82:83], vcc
	s_cbranch_execnz .LBB1123_851
.LBB1123_785:                           ;   in Loop: Header=BB1123_682 Depth=2
	s_or_b64 exec, exec, s[82:83]
	v_cmp_lt_u32_e32 vcc, v162, v173
	s_and_saveexec_b64 s[82:83], vcc
	s_cbranch_execnz .LBB1123_852
.LBB1123_786:                           ;   in Loop: Header=BB1123_682 Depth=2
	s_or_b64 exec, exec, s[82:83]
	v_cmp_lt_u32_e32 vcc, v163, v173
	s_and_saveexec_b64 s[82:83], vcc
	s_cbranch_execnz .LBB1123_853
.LBB1123_787:                           ;   in Loop: Header=BB1123_682 Depth=2
	s_or_b64 exec, exec, s[82:83]
	v_cmp_lt_u32_e32 vcc, v164, v173
	s_and_saveexec_b64 s[82:83], vcc
	s_cbranch_execnz .LBB1123_854
.LBB1123_788:                           ;   in Loop: Header=BB1123_682 Depth=2
	s_or_b64 exec, exec, s[82:83]
	v_cmp_lt_u32_e32 vcc, v165, v173
	s_and_saveexec_b64 s[82:83], vcc
	s_cbranch_execnz .LBB1123_855
.LBB1123_789:                           ;   in Loop: Header=BB1123_682 Depth=2
	s_or_b64 exec, exec, s[82:83]
	v_cmp_lt_u32_e32 vcc, v166, v173
	s_and_saveexec_b64 s[82:83], vcc
	s_cbranch_execnz .LBB1123_856
.LBB1123_790:                           ;   in Loop: Header=BB1123_682 Depth=2
	s_or_b64 exec, exec, s[82:83]
	v_cmp_lt_u32_e32 vcc, v167, v173
	s_and_saveexec_b64 s[82:83], vcc
	s_cbranch_execnz .LBB1123_857
.LBB1123_791:                           ;   in Loop: Header=BB1123_682 Depth=2
	s_or_b64 exec, exec, s[82:83]
	v_cmp_lt_u32_e32 vcc, v168, v173
	s_and_saveexec_b64 s[82:83], vcc
	s_cbranch_execnz .LBB1123_858
.LBB1123_792:                           ;   in Loop: Header=BB1123_682 Depth=2
	s_or_b64 exec, exec, s[82:83]
	v_cmp_lt_u32_e32 vcc, v169, v173
	s_and_saveexec_b64 s[82:83], vcc
	s_cbranch_execnz .LBB1123_859
.LBB1123_793:                           ;   in Loop: Header=BB1123_682 Depth=2
	s_or_b64 exec, exec, s[82:83]
	s_and_saveexec_b64 s[82:83], s[38:39]
	s_cbranch_execnz .LBB1123_860
.LBB1123_794:                           ;   in Loop: Header=BB1123_682 Depth=2
	s_or_b64 exec, exec, s[82:83]
	s_and_saveexec_b64 s[82:83], s[40:41]
	s_cbranch_execnz .LBB1123_861
.LBB1123_795:                           ;   in Loop: Header=BB1123_682 Depth=2
	s_or_b64 exec, exec, s[82:83]
	s_and_saveexec_b64 s[82:83], s[42:43]
	s_cbranch_execnz .LBB1123_862
.LBB1123_796:                           ;   in Loop: Header=BB1123_682 Depth=2
	s_or_b64 exec, exec, s[82:83]
	s_and_saveexec_b64 s[82:83], s[44:45]
	s_cbranch_execnz .LBB1123_863
.LBB1123_797:                           ;   in Loop: Header=BB1123_682 Depth=2
	s_or_b64 exec, exec, s[82:83]
	s_and_saveexec_b64 s[82:83], s[46:47]
	s_cbranch_execnz .LBB1123_864
.LBB1123_798:                           ;   in Loop: Header=BB1123_682 Depth=2
	s_or_b64 exec, exec, s[82:83]
	s_and_saveexec_b64 s[82:83], s[48:49]
	s_cbranch_execnz .LBB1123_865
.LBB1123_799:                           ;   in Loop: Header=BB1123_682 Depth=2
	s_or_b64 exec, exec, s[82:83]
	s_and_saveexec_b64 s[82:83], s[50:51]
	s_cbranch_execnz .LBB1123_866
.LBB1123_800:                           ;   in Loop: Header=BB1123_682 Depth=2
	s_or_b64 exec, exec, s[82:83]
	s_and_saveexec_b64 s[82:83], s[52:53]
	s_cbranch_execnz .LBB1123_867
.LBB1123_801:                           ;   in Loop: Header=BB1123_682 Depth=2
	s_or_b64 exec, exec, s[82:83]
	s_and_saveexec_b64 s[82:83], s[54:55]
	s_cbranch_execnz .LBB1123_868
.LBB1123_802:                           ;   in Loop: Header=BB1123_682 Depth=2
	s_or_b64 exec, exec, s[82:83]
	s_and_saveexec_b64 s[82:83], s[56:57]
	s_cbranch_execnz .LBB1123_869
.LBB1123_803:                           ;   in Loop: Header=BB1123_682 Depth=2
	s_or_b64 exec, exec, s[82:83]
	s_and_saveexec_b64 s[82:83], s[58:59]
	s_cbranch_execnz .LBB1123_870
.LBB1123_804:                           ;   in Loop: Header=BB1123_682 Depth=2
	s_or_b64 exec, exec, s[82:83]
	s_and_saveexec_b64 s[82:83], s[60:61]
	s_cbranch_execnz .LBB1123_871
.LBB1123_805:                           ;   in Loop: Header=BB1123_682 Depth=2
	s_or_b64 exec, exec, s[82:83]
	s_and_saveexec_b64 s[82:83], s[62:63]
	s_cbranch_execnz .LBB1123_872
.LBB1123_806:                           ;   in Loop: Header=BB1123_682 Depth=2
	s_or_b64 exec, exec, s[82:83]
	s_and_saveexec_b64 s[82:83], s[64:65]
	s_cbranch_execnz .LBB1123_873
.LBB1123_807:                           ;   in Loop: Header=BB1123_682 Depth=2
	s_or_b64 exec, exec, s[82:83]
	s_and_saveexec_b64 s[82:83], s[66:67]
	s_cbranch_execnz .LBB1123_874
.LBB1123_808:                           ;   in Loop: Header=BB1123_682 Depth=2
	s_or_b64 exec, exec, s[82:83]
	s_and_saveexec_b64 s[82:83], s[68:69]
	s_cbranch_execz .LBB1123_810
.LBB1123_809:                           ;   in Loop: Header=BB1123_682 Depth=2
	ds_read_b64 v[37:38], v104 offset:31744
	s_waitcnt lgkmcnt(0)
	v_cmp_ne_u64_e32 vcc, s[72:73], v[37:38]
	v_cndmask_b32_e32 v38, v133, v38, vcc
	v_cndmask_b32_e32 v37, -1, v37, vcc
	v_lshrrev_b64 v[37:38], s7, v[37:38]
	v_and_b32_e32 v136, s96, v37
.LBB1123_810:                           ;   in Loop: Header=BB1123_682 Depth=2
	s_or_b64 exec, exec, s[82:83]
	s_waitcnt vmcnt(0)
	s_barrier
	ds_write_b64 v69, v[35:36] offset:1024
	ds_write_b64 v70, v[33:34] offset:1024
	;; [unrolled: 1-line block ×16, first 2 shown]
	s_waitcnt lgkmcnt(0)
	s_barrier
	s_and_saveexec_b64 s[82:83], s[38:39]
	s_cbranch_execnz .LBB1123_875
; %bb.811:                              ;   in Loop: Header=BB1123_682 Depth=2
	s_or_b64 exec, exec, s[82:83]
	s_and_saveexec_b64 s[38:39], s[40:41]
	s_cbranch_execnz .LBB1123_876
.LBB1123_812:                           ;   in Loop: Header=BB1123_682 Depth=2
	s_or_b64 exec, exec, s[38:39]
	s_and_saveexec_b64 s[38:39], s[42:43]
	s_cbranch_execnz .LBB1123_877
.LBB1123_813:                           ;   in Loop: Header=BB1123_682 Depth=2
	s_or_b64 exec, exec, s[38:39]
	s_and_saveexec_b64 s[38:39], s[44:45]
	s_cbranch_execnz .LBB1123_878
.LBB1123_814:                           ;   in Loop: Header=BB1123_682 Depth=2
	s_or_b64 exec, exec, s[38:39]
	s_and_saveexec_b64 s[38:39], s[46:47]
	s_cbranch_execnz .LBB1123_879
.LBB1123_815:                           ;   in Loop: Header=BB1123_682 Depth=2
	s_or_b64 exec, exec, s[38:39]
	s_and_saveexec_b64 s[38:39], s[48:49]
	s_cbranch_execnz .LBB1123_880
.LBB1123_816:                           ;   in Loop: Header=BB1123_682 Depth=2
	s_or_b64 exec, exec, s[38:39]
	s_and_saveexec_b64 s[38:39], s[50:51]
	s_cbranch_execnz .LBB1123_881
.LBB1123_817:                           ;   in Loop: Header=BB1123_682 Depth=2
	s_or_b64 exec, exec, s[38:39]
	s_and_saveexec_b64 s[38:39], s[52:53]
	s_cbranch_execnz .LBB1123_882
.LBB1123_818:                           ;   in Loop: Header=BB1123_682 Depth=2
	s_or_b64 exec, exec, s[38:39]
	s_and_saveexec_b64 s[38:39], s[54:55]
	s_cbranch_execnz .LBB1123_883
.LBB1123_819:                           ;   in Loop: Header=BB1123_682 Depth=2
	s_or_b64 exec, exec, s[38:39]
	s_and_saveexec_b64 s[38:39], s[56:57]
	s_cbranch_execnz .LBB1123_884
.LBB1123_820:                           ;   in Loop: Header=BB1123_682 Depth=2
	s_or_b64 exec, exec, s[38:39]
	s_and_saveexec_b64 s[38:39], s[58:59]
	s_cbranch_execnz .LBB1123_885
.LBB1123_821:                           ;   in Loop: Header=BB1123_682 Depth=2
	s_or_b64 exec, exec, s[38:39]
	s_and_saveexec_b64 s[38:39], s[60:61]
	s_cbranch_execnz .LBB1123_886
.LBB1123_822:                           ;   in Loop: Header=BB1123_682 Depth=2
	s_or_b64 exec, exec, s[38:39]
	s_and_saveexec_b64 s[38:39], s[62:63]
	s_cbranch_execnz .LBB1123_887
.LBB1123_823:                           ;   in Loop: Header=BB1123_682 Depth=2
	s_or_b64 exec, exec, s[38:39]
	s_and_saveexec_b64 s[38:39], s[64:65]
	s_cbranch_execnz .LBB1123_888
.LBB1123_824:                           ;   in Loop: Header=BB1123_682 Depth=2
	s_or_b64 exec, exec, s[38:39]
	s_and_saveexec_b64 s[38:39], s[66:67]
	s_cbranch_execnz .LBB1123_889
.LBB1123_825:                           ;   in Loop: Header=BB1123_682 Depth=2
	s_or_b64 exec, exec, s[38:39]
	s_and_saveexec_b64 s[38:39], s[68:69]
	s_cbranch_execz .LBB1123_827
.LBB1123_826:                           ;   in Loop: Header=BB1123_682 Depth=2
	v_lshlrev_b32_e32 v37, 2, v136
	ds_read_b32 v39, v37
	ds_read_b64 v[37:38], v104 offset:31744
	v_mov_b32_e32 v40, v3
	v_mov_b32_e32 v41, s85
	s_waitcnt lgkmcnt(1)
	v_add_u32_e32 v39, v39, v90
	v_lshlrev_b64 v[39:40], 3, v[39:40]
	v_add_co_u32_e32 v39, vcc, s84, v39
	v_addc_co_u32_e32 v40, vcc, v41, v40, vcc
	s_waitcnt lgkmcnt(0)
	global_store_dwordx2 v[39:40], v[37:38], off
.LBB1123_827:                           ;   in Loop: Header=BB1123_682 Depth=2
	s_or_b64 exec, exec, s[38:39]
	s_waitcnt vmcnt(0)
	s_barrier
	s_and_saveexec_b64 s[38:39], s[4:5]
	s_cbranch_execz .LBB1123_681
; %bb.828:                              ;   in Loop: Header=BB1123_682 Depth=2
	ds_read_b32 v37, v73
	s_waitcnt lgkmcnt(0)
	v_add_u32_e32 v4, v37, v4
	ds_write_b32 v73, v4
	s_branch .LBB1123_681
.LBB1123_829:                           ;   in Loop: Header=BB1123_682 Depth=2
	ds_read_b64 v[37:38], v104 offset:1024
	v_mov_b32_e32 v43, v3
	v_mov_b32_e32 v44, s79
	s_waitcnt lgkmcnt(0)
	v_cmp_ne_u64_e32 vcc, s[72:73], v[37:38]
	v_ashrrev_i32_e32 v52, 31, v38
	v_cndmask_b32_e32 v60, v133, v38, vcc
	v_cndmask_b32_e32 v59, -1, v37, vcc
	v_lshrrev_b64 v[59:60], s7, v[59:60]
	v_cmp_gt_i64_e32 vcc, 0, v[37:38]
	v_and_b32_e32 v48, s96, v59
	v_lshlrev_b32_e32 v48, 2, v48
	ds_read_b32 v48, v48
	v_cndmask_b32_e64 v42, v133, 0, vcc
	v_xor_b32_e32 v38, v42, v38
	v_not_b32_e32 v52, v52
	v_xor_b32_e32 v37, v52, v37
	s_waitcnt lgkmcnt(0)
	v_add_u32_e32 v42, v48, v0
	v_lshlrev_b64 v[42:43], 3, v[42:43]
	v_add_co_u32_e32 v42, vcc, s78, v42
	v_addc_co_u32_e32 v43, vcc, v44, v43, vcc
	global_store_dwordx2 v[42:43], v[37:38], off
	s_or_b64 exec, exec, s[40:41]
	v_cmp_lt_u32_e64 s[40:41], v74, v173
	s_and_saveexec_b64 s[42:43], s[40:41]
	s_cbranch_execz .LBB1123_762
.LBB1123_830:                           ;   in Loop: Header=BB1123_682 Depth=2
	ds_read_b64 v[37:38], v104 offset:3072
	v_mov_b32_e32 v43, v3
	v_mov_b32_e32 v44, s79
	s_waitcnt lgkmcnt(0)
	v_cmp_ne_u64_e32 vcc, s[72:73], v[37:38]
	v_ashrrev_i32_e32 v52, 31, v38
	v_cndmask_b32_e32 v60, v133, v38, vcc
	v_cndmask_b32_e32 v59, -1, v37, vcc
	v_lshrrev_b64 v[59:60], s7, v[59:60]
	v_cmp_gt_i64_e32 vcc, 0, v[37:38]
	v_and_b32_e32 v48, s96, v59
	v_lshlrev_b32_e32 v48, 2, v48
	ds_read_b32 v48, v48
	v_cndmask_b32_e64 v42, v133, 0, vcc
	v_xor_b32_e32 v38, v42, v38
	v_not_b32_e32 v52, v52
	v_xor_b32_e32 v37, v52, v37
	s_waitcnt lgkmcnt(0)
	v_add_u32_e32 v42, v48, v74
	v_lshlrev_b64 v[42:43], 3, v[42:43]
	v_add_co_u32_e32 v42, vcc, s78, v42
	v_addc_co_u32_e32 v43, vcc, v44, v43, vcc
	global_store_dwordx2 v[42:43], v[37:38], off
	s_or_b64 exec, exec, s[42:43]
	v_cmp_lt_u32_e64 s[42:43], v75, v173
	s_and_saveexec_b64 s[44:45], s[42:43]
	s_cbranch_execz .LBB1123_763
.LBB1123_831:                           ;   in Loop: Header=BB1123_682 Depth=2
	ds_read_b64 v[37:38], v104 offset:5120
	v_mov_b32_e32 v43, v3
	v_mov_b32_e32 v44, s79
	s_waitcnt lgkmcnt(0)
	v_cmp_ne_u64_e32 vcc, s[72:73], v[37:38]
	v_ashrrev_i32_e32 v52, 31, v38
	v_cndmask_b32_e32 v60, v133, v38, vcc
	v_cndmask_b32_e32 v59, -1, v37, vcc
	v_lshrrev_b64 v[59:60], s7, v[59:60]
	v_cmp_gt_i64_e32 vcc, 0, v[37:38]
	v_and_b32_e32 v48, s96, v59
	v_lshlrev_b32_e32 v48, 2, v48
	ds_read_b32 v48, v48
	v_cndmask_b32_e64 v42, v133, 0, vcc
	v_xor_b32_e32 v38, v42, v38
	v_not_b32_e32 v52, v52
	v_xor_b32_e32 v37, v52, v37
	s_waitcnt lgkmcnt(0)
	v_add_u32_e32 v42, v48, v75
	v_lshlrev_b64 v[42:43], 3, v[42:43]
	v_add_co_u32_e32 v42, vcc, s78, v42
	v_addc_co_u32_e32 v43, vcc, v44, v43, vcc
	global_store_dwordx2 v[42:43], v[37:38], off
	s_or_b64 exec, exec, s[44:45]
	v_cmp_lt_u32_e64 s[44:45], v76, v173
	s_and_saveexec_b64 s[46:47], s[44:45]
	s_cbranch_execz .LBB1123_764
.LBB1123_832:                           ;   in Loop: Header=BB1123_682 Depth=2
	ds_read_b64 v[37:38], v104 offset:7168
	v_mov_b32_e32 v43, v3
	v_mov_b32_e32 v44, s79
	s_waitcnt lgkmcnt(0)
	v_cmp_ne_u64_e32 vcc, s[72:73], v[37:38]
	v_ashrrev_i32_e32 v52, 31, v38
	v_cndmask_b32_e32 v60, v133, v38, vcc
	v_cndmask_b32_e32 v59, -1, v37, vcc
	v_lshrrev_b64 v[59:60], s7, v[59:60]
	v_cmp_gt_i64_e32 vcc, 0, v[37:38]
	v_and_b32_e32 v48, s96, v59
	v_lshlrev_b32_e32 v48, 2, v48
	ds_read_b32 v48, v48
	v_cndmask_b32_e64 v42, v133, 0, vcc
	v_xor_b32_e32 v38, v42, v38
	v_not_b32_e32 v52, v52
	v_xor_b32_e32 v37, v52, v37
	s_waitcnt lgkmcnt(0)
	v_add_u32_e32 v42, v48, v76
	v_lshlrev_b64 v[42:43], 3, v[42:43]
	v_add_co_u32_e32 v42, vcc, s78, v42
	v_addc_co_u32_e32 v43, vcc, v44, v43, vcc
	global_store_dwordx2 v[42:43], v[37:38], off
	s_or_b64 exec, exec, s[46:47]
	v_cmp_lt_u32_e64 s[46:47], v79, v173
	s_and_saveexec_b64 s[48:49], s[46:47]
	s_cbranch_execz .LBB1123_765
.LBB1123_833:                           ;   in Loop: Header=BB1123_682 Depth=2
	ds_read_b64 v[37:38], v104 offset:9216
	v_mov_b32_e32 v43, v3
	v_mov_b32_e32 v44, s79
	s_waitcnt lgkmcnt(0)
	v_cmp_ne_u64_e32 vcc, s[72:73], v[37:38]
	v_ashrrev_i32_e32 v52, 31, v38
	v_cndmask_b32_e32 v60, v133, v38, vcc
	v_cndmask_b32_e32 v59, -1, v37, vcc
	v_lshrrev_b64 v[59:60], s7, v[59:60]
	v_cmp_gt_i64_e32 vcc, 0, v[37:38]
	v_and_b32_e32 v48, s96, v59
	v_lshlrev_b32_e32 v48, 2, v48
	ds_read_b32 v48, v48
	v_cndmask_b32_e64 v42, v133, 0, vcc
	v_xor_b32_e32 v38, v42, v38
	v_not_b32_e32 v52, v52
	v_xor_b32_e32 v37, v52, v37
	s_waitcnt lgkmcnt(0)
	v_add_u32_e32 v42, v48, v79
	v_lshlrev_b64 v[42:43], 3, v[42:43]
	v_add_co_u32_e32 v42, vcc, s78, v42
	v_addc_co_u32_e32 v43, vcc, v44, v43, vcc
	global_store_dwordx2 v[42:43], v[37:38], off
	s_or_b64 exec, exec, s[48:49]
	v_cmp_lt_u32_e64 s[48:49], v80, v173
	s_and_saveexec_b64 s[50:51], s[48:49]
	s_cbranch_execz .LBB1123_766
.LBB1123_834:                           ;   in Loop: Header=BB1123_682 Depth=2
	ds_read_b64 v[37:38], v104 offset:11264
	v_mov_b32_e32 v43, v3
	v_mov_b32_e32 v44, s79
	s_waitcnt lgkmcnt(0)
	v_cmp_ne_u64_e32 vcc, s[72:73], v[37:38]
	v_ashrrev_i32_e32 v52, 31, v38
	v_cndmask_b32_e32 v60, v133, v38, vcc
	v_cndmask_b32_e32 v59, -1, v37, vcc
	v_lshrrev_b64 v[59:60], s7, v[59:60]
	v_cmp_gt_i64_e32 vcc, 0, v[37:38]
	v_and_b32_e32 v48, s96, v59
	v_lshlrev_b32_e32 v48, 2, v48
	ds_read_b32 v48, v48
	v_cndmask_b32_e64 v42, v133, 0, vcc
	v_xor_b32_e32 v38, v42, v38
	v_not_b32_e32 v52, v52
	v_xor_b32_e32 v37, v52, v37
	s_waitcnt lgkmcnt(0)
	v_add_u32_e32 v42, v48, v80
	v_lshlrev_b64 v[42:43], 3, v[42:43]
	v_add_co_u32_e32 v42, vcc, s78, v42
	v_addc_co_u32_e32 v43, vcc, v44, v43, vcc
	global_store_dwordx2 v[42:43], v[37:38], off
	s_or_b64 exec, exec, s[50:51]
	v_cmp_lt_u32_e64 s[50:51], v81, v173
	s_and_saveexec_b64 s[52:53], s[50:51]
	s_cbranch_execz .LBB1123_767
.LBB1123_835:                           ;   in Loop: Header=BB1123_682 Depth=2
	ds_read_b64 v[37:38], v104 offset:13312
	v_mov_b32_e32 v43, v3
	v_mov_b32_e32 v44, s79
	s_waitcnt lgkmcnt(0)
	v_cmp_ne_u64_e32 vcc, s[72:73], v[37:38]
	v_ashrrev_i32_e32 v52, 31, v38
	v_cndmask_b32_e32 v60, v133, v38, vcc
	v_cndmask_b32_e32 v59, -1, v37, vcc
	v_lshrrev_b64 v[59:60], s7, v[59:60]
	v_cmp_gt_i64_e32 vcc, 0, v[37:38]
	v_and_b32_e32 v48, s96, v59
	v_lshlrev_b32_e32 v48, 2, v48
	ds_read_b32 v48, v48
	v_cndmask_b32_e64 v42, v133, 0, vcc
	v_xor_b32_e32 v38, v42, v38
	v_not_b32_e32 v52, v52
	v_xor_b32_e32 v37, v52, v37
	s_waitcnt lgkmcnt(0)
	v_add_u32_e32 v42, v48, v81
	v_lshlrev_b64 v[42:43], 3, v[42:43]
	v_add_co_u32_e32 v42, vcc, s78, v42
	v_addc_co_u32_e32 v43, vcc, v44, v43, vcc
	global_store_dwordx2 v[42:43], v[37:38], off
	s_or_b64 exec, exec, s[52:53]
	v_cmp_lt_u32_e64 s[52:53], v82, v173
	s_and_saveexec_b64 s[54:55], s[52:53]
	s_cbranch_execz .LBB1123_768
.LBB1123_836:                           ;   in Loop: Header=BB1123_682 Depth=2
	ds_read_b64 v[37:38], v104 offset:15360
	v_mov_b32_e32 v43, v3
	v_mov_b32_e32 v44, s79
	s_waitcnt lgkmcnt(0)
	v_cmp_ne_u64_e32 vcc, s[72:73], v[37:38]
	v_ashrrev_i32_e32 v52, 31, v38
	v_cndmask_b32_e32 v60, v133, v38, vcc
	v_cndmask_b32_e32 v59, -1, v37, vcc
	v_lshrrev_b64 v[59:60], s7, v[59:60]
	v_cmp_gt_i64_e32 vcc, 0, v[37:38]
	v_and_b32_e32 v48, s96, v59
	v_lshlrev_b32_e32 v48, 2, v48
	ds_read_b32 v48, v48
	v_cndmask_b32_e64 v42, v133, 0, vcc
	v_xor_b32_e32 v38, v42, v38
	v_not_b32_e32 v52, v52
	v_xor_b32_e32 v37, v52, v37
	s_waitcnt lgkmcnt(0)
	v_add_u32_e32 v42, v48, v82
	v_lshlrev_b64 v[42:43], 3, v[42:43]
	v_add_co_u32_e32 v42, vcc, s78, v42
	v_addc_co_u32_e32 v43, vcc, v44, v43, vcc
	global_store_dwordx2 v[42:43], v[37:38], off
	s_or_b64 exec, exec, s[54:55]
	v_cmp_lt_u32_e64 s[54:55], v83, v173
	s_and_saveexec_b64 s[56:57], s[54:55]
	s_cbranch_execz .LBB1123_769
.LBB1123_837:                           ;   in Loop: Header=BB1123_682 Depth=2
	ds_read_b64 v[37:38], v104 offset:17408
	v_mov_b32_e32 v43, v3
	v_mov_b32_e32 v44, s79
	s_waitcnt lgkmcnt(0)
	v_cmp_ne_u64_e32 vcc, s[72:73], v[37:38]
	v_ashrrev_i32_e32 v52, 31, v38
	v_cndmask_b32_e32 v60, v133, v38, vcc
	v_cndmask_b32_e32 v59, -1, v37, vcc
	v_lshrrev_b64 v[59:60], s7, v[59:60]
	v_cmp_gt_i64_e32 vcc, 0, v[37:38]
	v_and_b32_e32 v48, s96, v59
	v_lshlrev_b32_e32 v48, 2, v48
	ds_read_b32 v48, v48
	v_cndmask_b32_e64 v42, v133, 0, vcc
	v_xor_b32_e32 v38, v42, v38
	v_not_b32_e32 v52, v52
	v_xor_b32_e32 v37, v52, v37
	s_waitcnt lgkmcnt(0)
	v_add_u32_e32 v42, v48, v83
	v_lshlrev_b64 v[42:43], 3, v[42:43]
	v_add_co_u32_e32 v42, vcc, s78, v42
	v_addc_co_u32_e32 v43, vcc, v44, v43, vcc
	global_store_dwordx2 v[42:43], v[37:38], off
	s_or_b64 exec, exec, s[56:57]
	v_cmp_lt_u32_e64 s[56:57], v84, v173
	s_and_saveexec_b64 s[58:59], s[56:57]
	s_cbranch_execz .LBB1123_770
.LBB1123_838:                           ;   in Loop: Header=BB1123_682 Depth=2
	ds_read_b64 v[37:38], v104 offset:19456
	v_mov_b32_e32 v43, v3
	v_mov_b32_e32 v44, s79
	s_waitcnt lgkmcnt(0)
	v_cmp_ne_u64_e32 vcc, s[72:73], v[37:38]
	v_ashrrev_i32_e32 v52, 31, v38
	v_cndmask_b32_e32 v60, v133, v38, vcc
	v_cndmask_b32_e32 v59, -1, v37, vcc
	v_lshrrev_b64 v[59:60], s7, v[59:60]
	v_cmp_gt_i64_e32 vcc, 0, v[37:38]
	v_and_b32_e32 v48, s96, v59
	v_lshlrev_b32_e32 v48, 2, v48
	ds_read_b32 v48, v48
	v_cndmask_b32_e64 v42, v133, 0, vcc
	v_xor_b32_e32 v38, v42, v38
	v_not_b32_e32 v52, v52
	v_xor_b32_e32 v37, v52, v37
	s_waitcnt lgkmcnt(0)
	v_add_u32_e32 v42, v48, v84
	v_lshlrev_b64 v[42:43], 3, v[42:43]
	v_add_co_u32_e32 v42, vcc, s78, v42
	v_addc_co_u32_e32 v43, vcc, v44, v43, vcc
	global_store_dwordx2 v[42:43], v[37:38], off
	s_or_b64 exec, exec, s[58:59]
	v_cmp_lt_u32_e64 s[58:59], v85, v173
	s_and_saveexec_b64 s[60:61], s[58:59]
	s_cbranch_execz .LBB1123_771
.LBB1123_839:                           ;   in Loop: Header=BB1123_682 Depth=2
	ds_read_b64 v[37:38], v104 offset:21504
	v_mov_b32_e32 v43, v3
	v_mov_b32_e32 v44, s79
	s_waitcnt lgkmcnt(0)
	v_cmp_ne_u64_e32 vcc, s[72:73], v[37:38]
	v_ashrrev_i32_e32 v52, 31, v38
	v_cndmask_b32_e32 v60, v133, v38, vcc
	v_cndmask_b32_e32 v59, -1, v37, vcc
	v_lshrrev_b64 v[59:60], s7, v[59:60]
	v_cmp_gt_i64_e32 vcc, 0, v[37:38]
	v_and_b32_e32 v48, s96, v59
	v_lshlrev_b32_e32 v48, 2, v48
	ds_read_b32 v48, v48
	v_cndmask_b32_e64 v42, v133, 0, vcc
	v_xor_b32_e32 v38, v42, v38
	v_not_b32_e32 v52, v52
	v_xor_b32_e32 v37, v52, v37
	s_waitcnt lgkmcnt(0)
	v_add_u32_e32 v42, v48, v85
	v_lshlrev_b64 v[42:43], 3, v[42:43]
	v_add_co_u32_e32 v42, vcc, s78, v42
	v_addc_co_u32_e32 v43, vcc, v44, v43, vcc
	global_store_dwordx2 v[42:43], v[37:38], off
	s_or_b64 exec, exec, s[60:61]
	v_cmp_lt_u32_e64 s[60:61], v86, v173
	s_and_saveexec_b64 s[62:63], s[60:61]
	s_cbranch_execz .LBB1123_772
.LBB1123_840:                           ;   in Loop: Header=BB1123_682 Depth=2
	ds_read_b64 v[37:38], v104 offset:23552
	v_mov_b32_e32 v43, v3
	v_mov_b32_e32 v44, s79
	s_waitcnt lgkmcnt(0)
	v_cmp_ne_u64_e32 vcc, s[72:73], v[37:38]
	v_ashrrev_i32_e32 v52, 31, v38
	v_cndmask_b32_e32 v60, v133, v38, vcc
	v_cndmask_b32_e32 v59, -1, v37, vcc
	v_lshrrev_b64 v[59:60], s7, v[59:60]
	v_cmp_gt_i64_e32 vcc, 0, v[37:38]
	v_and_b32_e32 v48, s96, v59
	v_lshlrev_b32_e32 v48, 2, v48
	ds_read_b32 v48, v48
	v_cndmask_b32_e64 v42, v133, 0, vcc
	v_xor_b32_e32 v38, v42, v38
	v_not_b32_e32 v52, v52
	v_xor_b32_e32 v37, v52, v37
	s_waitcnt lgkmcnt(0)
	v_add_u32_e32 v42, v48, v86
	v_lshlrev_b64 v[42:43], 3, v[42:43]
	v_add_co_u32_e32 v42, vcc, s78, v42
	v_addc_co_u32_e32 v43, vcc, v44, v43, vcc
	global_store_dwordx2 v[42:43], v[37:38], off
	s_or_b64 exec, exec, s[62:63]
	v_cmp_lt_u32_e64 s[62:63], v87, v173
	s_and_saveexec_b64 s[64:65], s[62:63]
	s_cbranch_execz .LBB1123_773
.LBB1123_841:                           ;   in Loop: Header=BB1123_682 Depth=2
	ds_read_b64 v[37:38], v104 offset:25600
	v_mov_b32_e32 v43, v3
	v_mov_b32_e32 v44, s79
	s_waitcnt lgkmcnt(0)
	v_cmp_ne_u64_e32 vcc, s[72:73], v[37:38]
	v_ashrrev_i32_e32 v52, 31, v38
	v_cndmask_b32_e32 v60, v133, v38, vcc
	v_cndmask_b32_e32 v59, -1, v37, vcc
	v_lshrrev_b64 v[59:60], s7, v[59:60]
	v_cmp_gt_i64_e32 vcc, 0, v[37:38]
	v_and_b32_e32 v48, s96, v59
	v_lshlrev_b32_e32 v48, 2, v48
	ds_read_b32 v48, v48
	v_cndmask_b32_e64 v42, v133, 0, vcc
	v_xor_b32_e32 v38, v42, v38
	v_not_b32_e32 v52, v52
	v_xor_b32_e32 v37, v52, v37
	s_waitcnt lgkmcnt(0)
	v_add_u32_e32 v42, v48, v87
	v_lshlrev_b64 v[42:43], 3, v[42:43]
	v_add_co_u32_e32 v42, vcc, s78, v42
	v_addc_co_u32_e32 v43, vcc, v44, v43, vcc
	global_store_dwordx2 v[42:43], v[37:38], off
	s_or_b64 exec, exec, s[64:65]
	v_cmp_lt_u32_e64 s[64:65], v88, v173
	s_and_saveexec_b64 s[66:67], s[64:65]
	s_cbranch_execz .LBB1123_774
.LBB1123_842:                           ;   in Loop: Header=BB1123_682 Depth=2
	ds_read_b64 v[37:38], v104 offset:27648
	v_mov_b32_e32 v43, v3
	v_mov_b32_e32 v44, s79
	s_waitcnt lgkmcnt(0)
	v_cmp_ne_u64_e32 vcc, s[72:73], v[37:38]
	v_ashrrev_i32_e32 v52, 31, v38
	v_cndmask_b32_e32 v60, v133, v38, vcc
	v_cndmask_b32_e32 v59, -1, v37, vcc
	v_lshrrev_b64 v[59:60], s7, v[59:60]
	v_cmp_gt_i64_e32 vcc, 0, v[37:38]
	v_and_b32_e32 v48, s96, v59
	v_lshlrev_b32_e32 v48, 2, v48
	ds_read_b32 v48, v48
	v_cndmask_b32_e64 v42, v133, 0, vcc
	v_xor_b32_e32 v38, v42, v38
	v_not_b32_e32 v52, v52
	v_xor_b32_e32 v37, v52, v37
	s_waitcnt lgkmcnt(0)
	v_add_u32_e32 v42, v48, v88
	v_lshlrev_b64 v[42:43], 3, v[42:43]
	v_add_co_u32_e32 v42, vcc, s78, v42
	v_addc_co_u32_e32 v43, vcc, v44, v43, vcc
	global_store_dwordx2 v[42:43], v[37:38], off
	s_or_b64 exec, exec, s[66:67]
	v_cmp_lt_u32_e64 s[66:67], v89, v173
	s_and_saveexec_b64 s[68:69], s[66:67]
	s_cbranch_execz .LBB1123_775
.LBB1123_843:                           ;   in Loop: Header=BB1123_682 Depth=2
	ds_read_b64 v[37:38], v104 offset:29696
	v_mov_b32_e32 v43, v3
	v_mov_b32_e32 v44, s79
	s_waitcnt lgkmcnt(0)
	v_cmp_ne_u64_e32 vcc, s[72:73], v[37:38]
	v_ashrrev_i32_e32 v52, 31, v38
	v_cndmask_b32_e32 v60, v133, v38, vcc
	v_cndmask_b32_e32 v59, -1, v37, vcc
	v_lshrrev_b64 v[59:60], s7, v[59:60]
	v_cmp_gt_i64_e32 vcc, 0, v[37:38]
	v_and_b32_e32 v48, s96, v59
	v_lshlrev_b32_e32 v48, 2, v48
	ds_read_b32 v48, v48
	v_cndmask_b32_e64 v42, v133, 0, vcc
	v_xor_b32_e32 v38, v42, v38
	v_not_b32_e32 v52, v52
	v_xor_b32_e32 v37, v52, v37
	s_waitcnt lgkmcnt(0)
	v_add_u32_e32 v42, v48, v89
	v_lshlrev_b64 v[42:43], 3, v[42:43]
	v_add_co_u32_e32 v42, vcc, s78, v42
	v_addc_co_u32_e32 v43, vcc, v44, v43, vcc
	global_store_dwordx2 v[42:43], v[37:38], off
	s_or_b64 exec, exec, s[68:69]
	v_cmp_lt_u32_e64 s[68:69], v90, v173
	s_and_saveexec_b64 s[92:93], s[68:69]
	s_cbranch_execnz .LBB1123_776
	s_branch .LBB1123_777
.LBB1123_844:                           ;   in Loop: Header=BB1123_682 Depth=2
	global_load_dwordx2 v[35:36], v[37:38], off
	s_or_b64 exec, exec, s[82:83]
	v_cmp_lt_u32_e32 vcc, v149, v173
	s_and_saveexec_b64 s[82:83], vcc
	s_cbranch_execz .LBB1123_779
.LBB1123_845:                           ;   in Loop: Header=BB1123_682 Depth=2
	global_load_dwordx2 v[33:34], v[37:38], off offset:512
	s_or_b64 exec, exec, s[82:83]
	v_cmp_lt_u32_e32 vcc, v151, v173
	s_and_saveexec_b64 s[82:83], vcc
	s_cbranch_execz .LBB1123_780
.LBB1123_846:                           ;   in Loop: Header=BB1123_682 Depth=2
	global_load_dwordx2 v[31:32], v[37:38], off offset:1024
	s_or_b64 exec, exec, s[82:83]
	v_cmp_lt_u32_e32 vcc, v153, v173
	s_and_saveexec_b64 s[82:83], vcc
	s_cbranch_execz .LBB1123_781
.LBB1123_847:                           ;   in Loop: Header=BB1123_682 Depth=2
	global_load_dwordx2 v[27:28], v[37:38], off offset:1536
	s_or_b64 exec, exec, s[82:83]
	v_cmp_lt_u32_e32 vcc, v155, v173
	s_and_saveexec_b64 s[82:83], vcc
	s_cbranch_execz .LBB1123_782
.LBB1123_848:                           ;   in Loop: Header=BB1123_682 Depth=2
	global_load_dwordx2 v[23:24], v[37:38], off offset:2048
	s_or_b64 exec, exec, s[82:83]
	v_cmp_lt_u32_e32 vcc, v157, v173
	s_and_saveexec_b64 s[82:83], vcc
	s_cbranch_execz .LBB1123_783
.LBB1123_849:                           ;   in Loop: Header=BB1123_682 Depth=2
	global_load_dwordx2 v[19:20], v[37:38], off offset:2560
	s_or_b64 exec, exec, s[82:83]
	v_cmp_lt_u32_e32 vcc, v159, v173
	s_and_saveexec_b64 s[82:83], vcc
	s_cbranch_execz .LBB1123_784
.LBB1123_850:                           ;   in Loop: Header=BB1123_682 Depth=2
	global_load_dwordx2 v[15:16], v[37:38], off offset:3072
	s_or_b64 exec, exec, s[82:83]
	v_cmp_lt_u32_e32 vcc, v161, v173
	s_and_saveexec_b64 s[82:83], vcc
	s_cbranch_execz .LBB1123_785
.LBB1123_851:                           ;   in Loop: Header=BB1123_682 Depth=2
	global_load_dwordx2 v[11:12], v[37:38], off offset:3584
	s_or_b64 exec, exec, s[82:83]
	v_cmp_lt_u32_e32 vcc, v162, v173
	s_and_saveexec_b64 s[82:83], vcc
	s_cbranch_execz .LBB1123_786
.LBB1123_852:                           ;   in Loop: Header=BB1123_682 Depth=2
	v_add_co_u32_e32 v29, vcc, 0x1000, v37
	v_addc_co_u32_e32 v30, vcc, 0, v38, vcc
	global_load_dwordx2 v[29:30], v[29:30], off
	s_or_b64 exec, exec, s[82:83]
	v_cmp_lt_u32_e32 vcc, v163, v173
	s_and_saveexec_b64 s[82:83], vcc
	s_cbranch_execz .LBB1123_787
.LBB1123_853:                           ;   in Loop: Header=BB1123_682 Depth=2
	v_add_co_u32_e32 v25, vcc, 0x1000, v37
	v_addc_co_u32_e32 v26, vcc, 0, v38, vcc
	global_load_dwordx2 v[25:26], v[25:26], off offset:512
	s_or_b64 exec, exec, s[82:83]
	v_cmp_lt_u32_e32 vcc, v164, v173
	s_and_saveexec_b64 s[82:83], vcc
	s_cbranch_execz .LBB1123_788
.LBB1123_854:                           ;   in Loop: Header=BB1123_682 Depth=2
	v_add_co_u32_e32 v21, vcc, 0x1000, v37
	v_addc_co_u32_e32 v22, vcc, 0, v38, vcc
	global_load_dwordx2 v[21:22], v[21:22], off offset:1024
	s_or_b64 exec, exec, s[82:83]
	v_cmp_lt_u32_e32 vcc, v165, v173
	s_and_saveexec_b64 s[82:83], vcc
	s_cbranch_execz .LBB1123_789
.LBB1123_855:                           ;   in Loop: Header=BB1123_682 Depth=2
	v_add_co_u32_e32 v17, vcc, 0x1000, v37
	v_addc_co_u32_e32 v18, vcc, 0, v38, vcc
	global_load_dwordx2 v[17:18], v[17:18], off offset:1536
	s_or_b64 exec, exec, s[82:83]
	v_cmp_lt_u32_e32 vcc, v166, v173
	s_and_saveexec_b64 s[82:83], vcc
	s_cbranch_execz .LBB1123_790
.LBB1123_856:                           ;   in Loop: Header=BB1123_682 Depth=2
	v_add_co_u32_e32 v13, vcc, 0x1000, v37
	v_addc_co_u32_e32 v14, vcc, 0, v38, vcc
	global_load_dwordx2 v[13:14], v[13:14], off offset:2048
	s_or_b64 exec, exec, s[82:83]
	v_cmp_lt_u32_e32 vcc, v167, v173
	s_and_saveexec_b64 s[82:83], vcc
	s_cbranch_execz .LBB1123_791
.LBB1123_857:                           ;   in Loop: Header=BB1123_682 Depth=2
	v_add_co_u32_e32 v9, vcc, 0x1000, v37
	v_addc_co_u32_e32 v10, vcc, 0, v38, vcc
	global_load_dwordx2 v[9:10], v[9:10], off offset:2560
	s_or_b64 exec, exec, s[82:83]
	v_cmp_lt_u32_e32 vcc, v168, v173
	s_and_saveexec_b64 s[82:83], vcc
	s_cbranch_execz .LBB1123_792
.LBB1123_858:                           ;   in Loop: Header=BB1123_682 Depth=2
	v_add_co_u32_e32 v7, vcc, 0x1000, v37
	v_addc_co_u32_e32 v8, vcc, 0, v38, vcc
	global_load_dwordx2 v[7:8], v[7:8], off offset:3072
	s_or_b64 exec, exec, s[82:83]
	v_cmp_lt_u32_e32 vcc, v169, v173
	s_and_saveexec_b64 s[82:83], vcc
	s_cbranch_execz .LBB1123_793
.LBB1123_859:                           ;   in Loop: Header=BB1123_682 Depth=2
	v_add_co_u32_e32 v5, vcc, 0x1000, v37
	v_addc_co_u32_e32 v6, vcc, 0, v38, vcc
	global_load_dwordx2 v[5:6], v[5:6], off offset:3584
	s_or_b64 exec, exec, s[82:83]
	s_and_saveexec_b64 s[82:83], s[38:39]
	s_cbranch_execz .LBB1123_794
.LBB1123_860:                           ;   in Loop: Header=BB1123_682 Depth=2
	ds_read_b64 v[37:38], v104 offset:1024
	s_waitcnt lgkmcnt(0)
	v_cmp_ne_u64_e32 vcc, s[72:73], v[37:38]
	v_cndmask_b32_e32 v38, v133, v38, vcc
	v_cndmask_b32_e32 v37, -1, v37, vcc
	v_lshrrev_b64 v[37:38], s7, v[37:38]
	v_and_b32_e32 v160, s96, v37
	s_or_b64 exec, exec, s[82:83]
	s_and_saveexec_b64 s[82:83], s[40:41]
	s_cbranch_execz .LBB1123_795
.LBB1123_861:                           ;   in Loop: Header=BB1123_682 Depth=2
	ds_read_b64 v[37:38], v104 offset:3072
	s_waitcnt lgkmcnt(0)
	v_cmp_ne_u64_e32 vcc, s[72:73], v[37:38]
	v_cndmask_b32_e32 v38, v133, v38, vcc
	v_cndmask_b32_e32 v37, -1, v37, vcc
	v_lshrrev_b64 v[37:38], s7, v[37:38]
	v_and_b32_e32 v158, s96, v37
	s_or_b64 exec, exec, s[82:83]
	s_and_saveexec_b64 s[82:83], s[42:43]
	s_cbranch_execz .LBB1123_796
.LBB1123_862:                           ;   in Loop: Header=BB1123_682 Depth=2
	ds_read_b64 v[37:38], v104 offset:5120
	s_waitcnt lgkmcnt(0)
	v_cmp_ne_u64_e32 vcc, s[72:73], v[37:38]
	v_cndmask_b32_e32 v38, v133, v38, vcc
	v_cndmask_b32_e32 v37, -1, v37, vcc
	v_lshrrev_b64 v[37:38], s7, v[37:38]
	v_and_b32_e32 v156, s96, v37
	s_or_b64 exec, exec, s[82:83]
	s_and_saveexec_b64 s[82:83], s[44:45]
	s_cbranch_execz .LBB1123_797
.LBB1123_863:                           ;   in Loop: Header=BB1123_682 Depth=2
	ds_read_b64 v[37:38], v104 offset:7168
	s_waitcnt lgkmcnt(0)
	v_cmp_ne_u64_e32 vcc, s[72:73], v[37:38]
	v_cndmask_b32_e32 v38, v133, v38, vcc
	v_cndmask_b32_e32 v37, -1, v37, vcc
	v_lshrrev_b64 v[37:38], s7, v[37:38]
	v_and_b32_e32 v154, s96, v37
	s_or_b64 exec, exec, s[82:83]
	s_and_saveexec_b64 s[82:83], s[46:47]
	s_cbranch_execz .LBB1123_798
.LBB1123_864:                           ;   in Loop: Header=BB1123_682 Depth=2
	ds_read_b64 v[37:38], v104 offset:9216
	s_waitcnt lgkmcnt(0)
	v_cmp_ne_u64_e32 vcc, s[72:73], v[37:38]
	v_cndmask_b32_e32 v38, v133, v38, vcc
	v_cndmask_b32_e32 v37, -1, v37, vcc
	v_lshrrev_b64 v[37:38], s7, v[37:38]
	v_and_b32_e32 v152, s96, v37
	s_or_b64 exec, exec, s[82:83]
	s_and_saveexec_b64 s[82:83], s[48:49]
	s_cbranch_execz .LBB1123_799
.LBB1123_865:                           ;   in Loop: Header=BB1123_682 Depth=2
	ds_read_b64 v[37:38], v104 offset:11264
	s_waitcnt lgkmcnt(0)
	v_cmp_ne_u64_e32 vcc, s[72:73], v[37:38]
	v_cndmask_b32_e32 v38, v133, v38, vcc
	v_cndmask_b32_e32 v37, -1, v37, vcc
	v_lshrrev_b64 v[37:38], s7, v[37:38]
	v_and_b32_e32 v150, s96, v37
	s_or_b64 exec, exec, s[82:83]
	s_and_saveexec_b64 s[82:83], s[50:51]
	s_cbranch_execz .LBB1123_800
.LBB1123_866:                           ;   in Loop: Header=BB1123_682 Depth=2
	ds_read_b64 v[37:38], v104 offset:13312
	s_waitcnt lgkmcnt(0)
	v_cmp_ne_u64_e32 vcc, s[72:73], v[37:38]
	v_cndmask_b32_e32 v38, v133, v38, vcc
	v_cndmask_b32_e32 v37, -1, v37, vcc
	v_lshrrev_b64 v[37:38], s7, v[37:38]
	v_and_b32_e32 v148, s96, v37
	s_or_b64 exec, exec, s[82:83]
	s_and_saveexec_b64 s[82:83], s[52:53]
	s_cbranch_execz .LBB1123_801
.LBB1123_867:                           ;   in Loop: Header=BB1123_682 Depth=2
	ds_read_b64 v[37:38], v104 offset:15360
	s_waitcnt lgkmcnt(0)
	v_cmp_ne_u64_e32 vcc, s[72:73], v[37:38]
	v_cndmask_b32_e32 v38, v133, v38, vcc
	v_cndmask_b32_e32 v37, -1, v37, vcc
	v_lshrrev_b64 v[37:38], s7, v[37:38]
	v_and_b32_e32 v146, s96, v37
	s_or_b64 exec, exec, s[82:83]
	s_and_saveexec_b64 s[82:83], s[54:55]
	s_cbranch_execz .LBB1123_802
.LBB1123_868:                           ;   in Loop: Header=BB1123_682 Depth=2
	ds_read_b64 v[37:38], v104 offset:17408
	s_waitcnt lgkmcnt(0)
	v_cmp_ne_u64_e32 vcc, s[72:73], v[37:38]
	v_cndmask_b32_e32 v38, v133, v38, vcc
	v_cndmask_b32_e32 v37, -1, v37, vcc
	v_lshrrev_b64 v[37:38], s7, v[37:38]
	v_and_b32_e32 v144, s96, v37
	s_or_b64 exec, exec, s[82:83]
	s_and_saveexec_b64 s[82:83], s[56:57]
	s_cbranch_execz .LBB1123_803
.LBB1123_869:                           ;   in Loop: Header=BB1123_682 Depth=2
	ds_read_b64 v[37:38], v104 offset:19456
	s_waitcnt lgkmcnt(0)
	v_cmp_ne_u64_e32 vcc, s[72:73], v[37:38]
	v_cndmask_b32_e32 v38, v133, v38, vcc
	v_cndmask_b32_e32 v37, -1, v37, vcc
	v_lshrrev_b64 v[37:38], s7, v[37:38]
	v_and_b32_e32 v142, s96, v37
	s_or_b64 exec, exec, s[82:83]
	s_and_saveexec_b64 s[82:83], s[58:59]
	s_cbranch_execz .LBB1123_804
.LBB1123_870:                           ;   in Loop: Header=BB1123_682 Depth=2
	ds_read_b64 v[37:38], v104 offset:21504
	s_waitcnt lgkmcnt(0)
	v_cmp_ne_u64_e32 vcc, s[72:73], v[37:38]
	v_cndmask_b32_e32 v38, v133, v38, vcc
	v_cndmask_b32_e32 v37, -1, v37, vcc
	v_lshrrev_b64 v[37:38], s7, v[37:38]
	v_and_b32_e32 v141, s96, v37
	s_or_b64 exec, exec, s[82:83]
	s_and_saveexec_b64 s[82:83], s[60:61]
	s_cbranch_execz .LBB1123_805
.LBB1123_871:                           ;   in Loop: Header=BB1123_682 Depth=2
	ds_read_b64 v[37:38], v104 offset:23552
	s_waitcnt lgkmcnt(0)
	v_cmp_ne_u64_e32 vcc, s[72:73], v[37:38]
	v_cndmask_b32_e32 v38, v133, v38, vcc
	v_cndmask_b32_e32 v37, -1, v37, vcc
	v_lshrrev_b64 v[37:38], s7, v[37:38]
	v_and_b32_e32 v140, s96, v37
	s_or_b64 exec, exec, s[82:83]
	s_and_saveexec_b64 s[82:83], s[62:63]
	s_cbranch_execz .LBB1123_806
.LBB1123_872:                           ;   in Loop: Header=BB1123_682 Depth=2
	ds_read_b64 v[37:38], v104 offset:25600
	s_waitcnt lgkmcnt(0)
	v_cmp_ne_u64_e32 vcc, s[72:73], v[37:38]
	v_cndmask_b32_e32 v38, v133, v38, vcc
	v_cndmask_b32_e32 v37, -1, v37, vcc
	v_lshrrev_b64 v[37:38], s7, v[37:38]
	v_and_b32_e32 v139, s96, v37
	s_or_b64 exec, exec, s[82:83]
	s_and_saveexec_b64 s[82:83], s[64:65]
	s_cbranch_execz .LBB1123_807
.LBB1123_873:                           ;   in Loop: Header=BB1123_682 Depth=2
	ds_read_b64 v[37:38], v104 offset:27648
	s_waitcnt lgkmcnt(0)
	v_cmp_ne_u64_e32 vcc, s[72:73], v[37:38]
	v_cndmask_b32_e32 v38, v133, v38, vcc
	v_cndmask_b32_e32 v37, -1, v37, vcc
	v_lshrrev_b64 v[37:38], s7, v[37:38]
	v_and_b32_e32 v138, s96, v37
	s_or_b64 exec, exec, s[82:83]
	s_and_saveexec_b64 s[82:83], s[66:67]
	s_cbranch_execz .LBB1123_808
.LBB1123_874:                           ;   in Loop: Header=BB1123_682 Depth=2
	ds_read_b64 v[37:38], v104 offset:29696
	s_waitcnt lgkmcnt(0)
	v_cmp_ne_u64_e32 vcc, s[72:73], v[37:38]
	v_cndmask_b32_e32 v38, v133, v38, vcc
	v_cndmask_b32_e32 v37, -1, v37, vcc
	v_lshrrev_b64 v[37:38], s7, v[37:38]
	v_and_b32_e32 v137, s96, v37
	s_or_b64 exec, exec, s[82:83]
	s_and_saveexec_b64 s[82:83], s[68:69]
	s_cbranch_execnz .LBB1123_809
	s_branch .LBB1123_810
.LBB1123_875:                           ;   in Loop: Header=BB1123_682 Depth=2
	v_lshlrev_b32_e32 v37, 2, v160
	ds_read_b32 v39, v37
	ds_read_b64 v[37:38], v104 offset:1024
	v_mov_b32_e32 v40, v3
	v_mov_b32_e32 v41, s85
	s_waitcnt lgkmcnt(1)
	v_add_u32_e32 v39, v39, v0
	v_lshlrev_b64 v[39:40], 3, v[39:40]
	v_add_co_u32_e32 v39, vcc, s84, v39
	v_addc_co_u32_e32 v40, vcc, v41, v40, vcc
	s_waitcnt lgkmcnt(0)
	global_store_dwordx2 v[39:40], v[37:38], off
	s_or_b64 exec, exec, s[82:83]
	s_and_saveexec_b64 s[38:39], s[40:41]
	s_cbranch_execz .LBB1123_812
.LBB1123_876:                           ;   in Loop: Header=BB1123_682 Depth=2
	v_lshlrev_b32_e32 v37, 2, v158
	ds_read_b32 v39, v37
	ds_read_b64 v[37:38], v104 offset:3072
	v_mov_b32_e32 v40, v3
	v_mov_b32_e32 v41, s85
	s_waitcnt lgkmcnt(1)
	v_add_u32_e32 v39, v39, v74
	v_lshlrev_b64 v[39:40], 3, v[39:40]
	v_add_co_u32_e32 v39, vcc, s84, v39
	v_addc_co_u32_e32 v40, vcc, v41, v40, vcc
	s_waitcnt lgkmcnt(0)
	global_store_dwordx2 v[39:40], v[37:38], off
	s_or_b64 exec, exec, s[38:39]
	s_and_saveexec_b64 s[38:39], s[42:43]
	s_cbranch_execz .LBB1123_813
.LBB1123_877:                           ;   in Loop: Header=BB1123_682 Depth=2
	v_lshlrev_b32_e32 v37, 2, v156
	ds_read_b32 v39, v37
	ds_read_b64 v[37:38], v104 offset:5120
	v_mov_b32_e32 v40, v3
	v_mov_b32_e32 v41, s85
	s_waitcnt lgkmcnt(1)
	v_add_u32_e32 v39, v39, v75
	v_lshlrev_b64 v[39:40], 3, v[39:40]
	v_add_co_u32_e32 v39, vcc, s84, v39
	v_addc_co_u32_e32 v40, vcc, v41, v40, vcc
	s_waitcnt lgkmcnt(0)
	global_store_dwordx2 v[39:40], v[37:38], off
	s_or_b64 exec, exec, s[38:39]
	s_and_saveexec_b64 s[38:39], s[44:45]
	s_cbranch_execz .LBB1123_814
.LBB1123_878:                           ;   in Loop: Header=BB1123_682 Depth=2
	v_lshlrev_b32_e32 v37, 2, v154
	ds_read_b32 v39, v37
	ds_read_b64 v[37:38], v104 offset:7168
	v_mov_b32_e32 v40, v3
	v_mov_b32_e32 v41, s85
	s_waitcnt lgkmcnt(1)
	v_add_u32_e32 v39, v39, v76
	v_lshlrev_b64 v[39:40], 3, v[39:40]
	v_add_co_u32_e32 v39, vcc, s84, v39
	v_addc_co_u32_e32 v40, vcc, v41, v40, vcc
	s_waitcnt lgkmcnt(0)
	global_store_dwordx2 v[39:40], v[37:38], off
	s_or_b64 exec, exec, s[38:39]
	s_and_saveexec_b64 s[38:39], s[46:47]
	s_cbranch_execz .LBB1123_815
.LBB1123_879:                           ;   in Loop: Header=BB1123_682 Depth=2
	v_lshlrev_b32_e32 v37, 2, v152
	ds_read_b32 v39, v37
	ds_read_b64 v[37:38], v104 offset:9216
	v_mov_b32_e32 v40, v3
	v_mov_b32_e32 v41, s85
	s_waitcnt lgkmcnt(1)
	v_add_u32_e32 v39, v39, v79
	v_lshlrev_b64 v[39:40], 3, v[39:40]
	v_add_co_u32_e32 v39, vcc, s84, v39
	v_addc_co_u32_e32 v40, vcc, v41, v40, vcc
	s_waitcnt lgkmcnt(0)
	global_store_dwordx2 v[39:40], v[37:38], off
	s_or_b64 exec, exec, s[38:39]
	s_and_saveexec_b64 s[38:39], s[48:49]
	s_cbranch_execz .LBB1123_816
.LBB1123_880:                           ;   in Loop: Header=BB1123_682 Depth=2
	v_lshlrev_b32_e32 v37, 2, v150
	ds_read_b32 v39, v37
	ds_read_b64 v[37:38], v104 offset:11264
	v_mov_b32_e32 v40, v3
	v_mov_b32_e32 v41, s85
	s_waitcnt lgkmcnt(1)
	v_add_u32_e32 v39, v39, v80
	v_lshlrev_b64 v[39:40], 3, v[39:40]
	v_add_co_u32_e32 v39, vcc, s84, v39
	v_addc_co_u32_e32 v40, vcc, v41, v40, vcc
	s_waitcnt lgkmcnt(0)
	global_store_dwordx2 v[39:40], v[37:38], off
	s_or_b64 exec, exec, s[38:39]
	s_and_saveexec_b64 s[38:39], s[50:51]
	s_cbranch_execz .LBB1123_817
.LBB1123_881:                           ;   in Loop: Header=BB1123_682 Depth=2
	v_lshlrev_b32_e32 v37, 2, v148
	ds_read_b32 v39, v37
	ds_read_b64 v[37:38], v104 offset:13312
	v_mov_b32_e32 v40, v3
	v_mov_b32_e32 v41, s85
	s_waitcnt lgkmcnt(1)
	v_add_u32_e32 v39, v39, v81
	v_lshlrev_b64 v[39:40], 3, v[39:40]
	v_add_co_u32_e32 v39, vcc, s84, v39
	v_addc_co_u32_e32 v40, vcc, v41, v40, vcc
	s_waitcnt lgkmcnt(0)
	global_store_dwordx2 v[39:40], v[37:38], off
	s_or_b64 exec, exec, s[38:39]
	s_and_saveexec_b64 s[38:39], s[52:53]
	s_cbranch_execz .LBB1123_818
.LBB1123_882:                           ;   in Loop: Header=BB1123_682 Depth=2
	v_lshlrev_b32_e32 v37, 2, v146
	ds_read_b32 v39, v37
	ds_read_b64 v[37:38], v104 offset:15360
	v_mov_b32_e32 v40, v3
	v_mov_b32_e32 v41, s85
	s_waitcnt lgkmcnt(1)
	v_add_u32_e32 v39, v39, v82
	v_lshlrev_b64 v[39:40], 3, v[39:40]
	v_add_co_u32_e32 v39, vcc, s84, v39
	v_addc_co_u32_e32 v40, vcc, v41, v40, vcc
	s_waitcnt lgkmcnt(0)
	global_store_dwordx2 v[39:40], v[37:38], off
	s_or_b64 exec, exec, s[38:39]
	s_and_saveexec_b64 s[38:39], s[54:55]
	s_cbranch_execz .LBB1123_819
.LBB1123_883:                           ;   in Loop: Header=BB1123_682 Depth=2
	v_lshlrev_b32_e32 v37, 2, v144
	ds_read_b32 v39, v37
	ds_read_b64 v[37:38], v104 offset:17408
	v_mov_b32_e32 v40, v3
	v_mov_b32_e32 v41, s85
	s_waitcnt lgkmcnt(1)
	v_add_u32_e32 v39, v39, v83
	v_lshlrev_b64 v[39:40], 3, v[39:40]
	v_add_co_u32_e32 v39, vcc, s84, v39
	v_addc_co_u32_e32 v40, vcc, v41, v40, vcc
	s_waitcnt lgkmcnt(0)
	global_store_dwordx2 v[39:40], v[37:38], off
	s_or_b64 exec, exec, s[38:39]
	s_and_saveexec_b64 s[38:39], s[56:57]
	s_cbranch_execz .LBB1123_820
.LBB1123_884:                           ;   in Loop: Header=BB1123_682 Depth=2
	v_lshlrev_b32_e32 v37, 2, v142
	ds_read_b32 v39, v37
	ds_read_b64 v[37:38], v104 offset:19456
	v_mov_b32_e32 v40, v3
	v_mov_b32_e32 v41, s85
	s_waitcnt lgkmcnt(1)
	v_add_u32_e32 v39, v39, v84
	v_lshlrev_b64 v[39:40], 3, v[39:40]
	v_add_co_u32_e32 v39, vcc, s84, v39
	v_addc_co_u32_e32 v40, vcc, v41, v40, vcc
	s_waitcnt lgkmcnt(0)
	global_store_dwordx2 v[39:40], v[37:38], off
	s_or_b64 exec, exec, s[38:39]
	s_and_saveexec_b64 s[38:39], s[58:59]
	s_cbranch_execz .LBB1123_821
.LBB1123_885:                           ;   in Loop: Header=BB1123_682 Depth=2
	v_lshlrev_b32_e32 v37, 2, v141
	ds_read_b32 v39, v37
	ds_read_b64 v[37:38], v104 offset:21504
	v_mov_b32_e32 v40, v3
	v_mov_b32_e32 v41, s85
	s_waitcnt lgkmcnt(1)
	v_add_u32_e32 v39, v39, v85
	v_lshlrev_b64 v[39:40], 3, v[39:40]
	v_add_co_u32_e32 v39, vcc, s84, v39
	v_addc_co_u32_e32 v40, vcc, v41, v40, vcc
	s_waitcnt lgkmcnt(0)
	global_store_dwordx2 v[39:40], v[37:38], off
	s_or_b64 exec, exec, s[38:39]
	s_and_saveexec_b64 s[38:39], s[60:61]
	s_cbranch_execz .LBB1123_822
.LBB1123_886:                           ;   in Loop: Header=BB1123_682 Depth=2
	v_lshlrev_b32_e32 v37, 2, v140
	ds_read_b32 v39, v37
	ds_read_b64 v[37:38], v104 offset:23552
	v_mov_b32_e32 v40, v3
	v_mov_b32_e32 v41, s85
	s_waitcnt lgkmcnt(1)
	v_add_u32_e32 v39, v39, v86
	v_lshlrev_b64 v[39:40], 3, v[39:40]
	v_add_co_u32_e32 v39, vcc, s84, v39
	v_addc_co_u32_e32 v40, vcc, v41, v40, vcc
	s_waitcnt lgkmcnt(0)
	global_store_dwordx2 v[39:40], v[37:38], off
	s_or_b64 exec, exec, s[38:39]
	s_and_saveexec_b64 s[38:39], s[62:63]
	s_cbranch_execz .LBB1123_823
.LBB1123_887:                           ;   in Loop: Header=BB1123_682 Depth=2
	v_lshlrev_b32_e32 v37, 2, v139
	ds_read_b32 v39, v37
	ds_read_b64 v[37:38], v104 offset:25600
	v_mov_b32_e32 v40, v3
	v_mov_b32_e32 v41, s85
	s_waitcnt lgkmcnt(1)
	v_add_u32_e32 v39, v39, v87
	v_lshlrev_b64 v[39:40], 3, v[39:40]
	v_add_co_u32_e32 v39, vcc, s84, v39
	v_addc_co_u32_e32 v40, vcc, v41, v40, vcc
	s_waitcnt lgkmcnt(0)
	global_store_dwordx2 v[39:40], v[37:38], off
	s_or_b64 exec, exec, s[38:39]
	s_and_saveexec_b64 s[38:39], s[64:65]
	s_cbranch_execz .LBB1123_824
.LBB1123_888:                           ;   in Loop: Header=BB1123_682 Depth=2
	v_lshlrev_b32_e32 v37, 2, v138
	ds_read_b32 v39, v37
	ds_read_b64 v[37:38], v104 offset:27648
	v_mov_b32_e32 v40, v3
	v_mov_b32_e32 v41, s85
	s_waitcnt lgkmcnt(1)
	v_add_u32_e32 v39, v39, v88
	v_lshlrev_b64 v[39:40], 3, v[39:40]
	v_add_co_u32_e32 v39, vcc, s84, v39
	v_addc_co_u32_e32 v40, vcc, v41, v40, vcc
	s_waitcnt lgkmcnt(0)
	global_store_dwordx2 v[39:40], v[37:38], off
	s_or_b64 exec, exec, s[38:39]
	s_and_saveexec_b64 s[38:39], s[66:67]
	s_cbranch_execz .LBB1123_825
.LBB1123_889:                           ;   in Loop: Header=BB1123_682 Depth=2
	v_lshlrev_b32_e32 v37, 2, v137
	ds_read_b32 v39, v37
	ds_read_b64 v[37:38], v104 offset:29696
	v_mov_b32_e32 v40, v3
	v_mov_b32_e32 v41, s85
	s_waitcnt lgkmcnt(1)
	v_add_u32_e32 v39, v39, v89
	v_lshlrev_b64 v[39:40], 3, v[39:40]
	v_add_co_u32_e32 v39, vcc, s84, v39
	v_addc_co_u32_e32 v40, vcc, v41, v40, vcc
	s_waitcnt lgkmcnt(0)
	global_store_dwordx2 v[39:40], v[37:38], off
	s_or_b64 exec, exec, s[38:39]
	s_and_saveexec_b64 s[38:39], s[68:69]
	s_cbranch_execnz .LBB1123_826
	s_branch .LBB1123_827
.LBB1123_890:                           ;   in Loop: Header=BB1123_12 Depth=1
	s_waitcnt lgkmcnt(0)
	s_barrier
	s_mov_b64 s[18:19], 0
.LBB1123_891:                           ;   in Loop: Header=BB1123_12 Depth=1
	s_and_b64 vcc, exec, s[18:19]
	s_cbranch_vccz .LBB1123_11
; %bb.892:                              ;   in Loop: Header=BB1123_12 Depth=1
	s_mov_b32 s22, s91
	s_mov_b32 s18, s94
	s_barrier
                                        ; implicit-def: $vgpr4_vgpr5
                                        ; implicit-def: $vgpr6_vgpr7
                                        ; implicit-def: $vgpr8_vgpr9
                                        ; implicit-def: $vgpr10_vgpr11
                                        ; implicit-def: $vgpr12_vgpr13
                                        ; implicit-def: $vgpr14_vgpr15
                                        ; implicit-def: $vgpr16_vgpr17
                                        ; implicit-def: $vgpr18_vgpr19
                                        ; implicit-def: $vgpr20_vgpr21
                                        ; implicit-def: $vgpr22_vgpr23
                                        ; implicit-def: $vgpr24_vgpr25
                                        ; implicit-def: $vgpr26_vgpr27
                                        ; implicit-def: $vgpr28_vgpr29
                                        ; implicit-def: $vgpr30_vgpr31
                                        ; implicit-def: $vgpr32_vgpr33
                                        ; implicit-def: $vgpr34_vgpr35
	s_branch .LBB1123_894
.LBB1123_893:                           ;   in Loop: Header=BB1123_894 Depth=2
	s_or_b64 exec, exec, s[18:19]
	s_addk_i32 s22, 0xf000
	s_cmp_ge_u32 s23, s95
	s_mov_b32 s18, s23
	s_cbranch_scc1 .LBB1123_962
.LBB1123_894:                           ;   Parent Loop BB1123_12 Depth=1
                                        ; =>  This Inner Loop Header: Depth=2
	s_add_i32 s23, s18, 0x1000
	s_cmp_gt_u32 s23, s95
	s_mov_b64 s[20:21], -1
                                        ; implicit-def: $vgpr36_vgpr37
                                        ; implicit-def: $vgpr38_vgpr39
                                        ; implicit-def: $vgpr40_vgpr41
                                        ; implicit-def: $vgpr42_vgpr43
                                        ; implicit-def: $vgpr44_vgpr45
                                        ; implicit-def: $vgpr46_vgpr47
                                        ; implicit-def: $vgpr48_vgpr49
                                        ; implicit-def: $vgpr50_vgpr51
                                        ; implicit-def: $vgpr52_vgpr53
                                        ; implicit-def: $vgpr54_vgpr55
                                        ; implicit-def: $vgpr56_vgpr57
                                        ; implicit-def: $vgpr58_vgpr59
                                        ; implicit-def: $vgpr60_vgpr61
                                        ; implicit-def: $vgpr62_vgpr63
                                        ; implicit-def: $vgpr64_vgpr65
                                        ; implicit-def: $vgpr66_vgpr67
	s_cbranch_scc1 .LBB1123_896
; %bb.895:                              ;   in Loop: Header=BB1123_894 Depth=2
	s_mov_b32 s19, s72
	s_lshl_b64 s[20:21], s[18:19], 3
	v_mov_b32_e32 v36, s21
	v_add_co_u32_e32 v60, vcc, s20, v111
	v_addc_co_u32_e32 v61, vcc, v112, v36, vcc
	v_add_co_u32_e32 v44, vcc, 0x1000, v60
	v_addc_co_u32_e32 v45, vcc, 0, v61, vcc
	;; [unrolled: 2-line block ×6, first 2 shown]
	global_load_dwordx2 v[36:37], v[60:61], off
	global_load_dwordx2 v[38:39], v[60:61], off offset:2048
	global_load_dwordx2 v[40:41], v[44:45], off
	global_load_dwordx2 v[42:43], v[44:45], off offset:2048
	s_nop 0
	global_load_dwordx2 v[44:45], v[52:53], off
	global_load_dwordx2 v[46:47], v[52:53], off offset:2048
	global_load_dwordx2 v[48:49], v[54:55], off
	global_load_dwordx2 v[50:51], v[54:55], off offset:2048
	s_nop 0
	global_load_dwordx2 v[52:53], v[62:63], off
	global_load_dwordx2 v[54:55], v[62:63], off offset:2048
	global_load_dwordx2 v[56:57], v[64:65], off
	global_load_dwordx2 v[58:59], v[64:65], off offset:2048
	v_add_co_u32_e32 v62, vcc, 0x6000, v60
	v_addc_co_u32_e32 v63, vcc, 0, v61, vcc
	v_add_co_u32_e32 v66, vcc, 0x7000, v60
	v_addc_co_u32_e32 v67, vcc, 0, v61, vcc
	global_load_dwordx2 v[60:61], v[62:63], off
	s_nop 0
	global_load_dwordx2 v[62:63], v[62:63], off offset:2048
	s_nop 0
	global_load_dwordx2 v[64:65], v[66:67], off
	s_nop 0
	global_load_dwordx2 v[66:67], v[66:67], off offset:2048
	s_mov_b64 s[20:21], 0
.LBB1123_896:                           ;   in Loop: Header=BB1123_894 Depth=2
	s_andn2_b64 vcc, exec, s[20:21]
	s_movk_i32 s20, 0x1000
	s_cbranch_vccnz .LBB1123_915
; %bb.897:                              ;   in Loop: Header=BB1123_894 Depth=2
	s_mov_b32 s19, s72
	s_lshl_b64 s[18:19], s[18:19], 3
	s_add_u32 s18, s76, s18
	s_addc_u32 s19, s77, s19
	v_cmp_gt_u32_e32 vcc, s22, v0
	s_and_saveexec_b64 s[20:21], vcc
	s_cbranch_execnz .LBB1123_947
; %bb.898:                              ;   in Loop: Header=BB1123_894 Depth=2
	s_or_b64 exec, exec, s[20:21]
	v_cmp_gt_u32_e32 vcc, s22, v74
	s_and_saveexec_b64 s[20:21], vcc
	s_cbranch_execnz .LBB1123_948
.LBB1123_899:                           ;   in Loop: Header=BB1123_894 Depth=2
	s_or_b64 exec, exec, s[20:21]
	v_cmp_gt_u32_e32 vcc, s22, v75
	s_and_saveexec_b64 s[20:21], vcc
	s_cbranch_execnz .LBB1123_949
.LBB1123_900:                           ;   in Loop: Header=BB1123_894 Depth=2
	s_or_b64 exec, exec, s[20:21]
	v_cmp_gt_u32_e32 vcc, s22, v76
	s_and_saveexec_b64 s[20:21], vcc
	s_cbranch_execnz .LBB1123_950
.LBB1123_901:                           ;   in Loop: Header=BB1123_894 Depth=2
	s_or_b64 exec, exec, s[20:21]
	v_cmp_gt_u32_e32 vcc, s22, v79
	s_and_saveexec_b64 s[20:21], vcc
	s_cbranch_execnz .LBB1123_951
.LBB1123_902:                           ;   in Loop: Header=BB1123_894 Depth=2
	s_or_b64 exec, exec, s[20:21]
	v_cmp_gt_u32_e32 vcc, s22, v80
	s_and_saveexec_b64 s[20:21], vcc
	s_cbranch_execnz .LBB1123_952
.LBB1123_903:                           ;   in Loop: Header=BB1123_894 Depth=2
	s_or_b64 exec, exec, s[20:21]
	v_cmp_gt_u32_e32 vcc, s22, v81
	s_and_saveexec_b64 s[20:21], vcc
	s_cbranch_execnz .LBB1123_953
.LBB1123_904:                           ;   in Loop: Header=BB1123_894 Depth=2
	s_or_b64 exec, exec, s[20:21]
	v_cmp_gt_u32_e32 vcc, s22, v82
	s_and_saveexec_b64 s[20:21], vcc
	s_cbranch_execnz .LBB1123_954
.LBB1123_905:                           ;   in Loop: Header=BB1123_894 Depth=2
	s_or_b64 exec, exec, s[20:21]
	v_cmp_gt_u32_e32 vcc, s22, v83
	s_and_saveexec_b64 s[20:21], vcc
	s_cbranch_execnz .LBB1123_955
.LBB1123_906:                           ;   in Loop: Header=BB1123_894 Depth=2
	s_or_b64 exec, exec, s[20:21]
	v_cmp_gt_u32_e32 vcc, s22, v84
	s_and_saveexec_b64 s[20:21], vcc
	s_cbranch_execnz .LBB1123_956
.LBB1123_907:                           ;   in Loop: Header=BB1123_894 Depth=2
	s_or_b64 exec, exec, s[20:21]
	v_cmp_gt_u32_e32 vcc, s22, v85
	s_and_saveexec_b64 s[20:21], vcc
	s_cbranch_execnz .LBB1123_957
.LBB1123_908:                           ;   in Loop: Header=BB1123_894 Depth=2
	s_or_b64 exec, exec, s[20:21]
	v_cmp_gt_u32_e32 vcc, s22, v86
	s_and_saveexec_b64 s[20:21], vcc
	s_cbranch_execnz .LBB1123_958
.LBB1123_909:                           ;   in Loop: Header=BB1123_894 Depth=2
	s_or_b64 exec, exec, s[20:21]
	v_cmp_gt_u32_e32 vcc, s22, v87
	s_and_saveexec_b64 s[20:21], vcc
	s_cbranch_execnz .LBB1123_959
.LBB1123_910:                           ;   in Loop: Header=BB1123_894 Depth=2
	s_or_b64 exec, exec, s[20:21]
	v_cmp_gt_u32_e32 vcc, s22, v88
	s_and_saveexec_b64 s[20:21], vcc
	s_cbranch_execnz .LBB1123_960
.LBB1123_911:                           ;   in Loop: Header=BB1123_894 Depth=2
	s_or_b64 exec, exec, s[20:21]
	v_cmp_gt_u32_e32 vcc, s22, v89
	s_and_saveexec_b64 s[20:21], vcc
	s_cbranch_execnz .LBB1123_961
.LBB1123_912:                           ;   in Loop: Header=BB1123_894 Depth=2
	s_or_b64 exec, exec, s[20:21]
	v_cmp_gt_u32_e32 vcc, s22, v90
	s_and_saveexec_b64 s[20:21], vcc
	s_cbranch_execz .LBB1123_914
.LBB1123_913:                           ;   in Loop: Header=BB1123_894 Depth=2
	global_load_dwordx2 v[4:5], v132, s[18:19]
.LBB1123_914:                           ;   in Loop: Header=BB1123_894 Depth=2
	s_or_b64 exec, exec, s[20:21]
	s_waitcnt vmcnt(0)
	v_mov_b32_e32 v37, v35
	v_mov_b32_e32 v39, v33
	;; [unrolled: 1-line block ×16, first 2 shown]
	s_mov_b32 s20, s22
	v_mov_b32_e32 v36, v34
	v_mov_b32_e32 v38, v32
	v_mov_b32_e32 v40, v30
	v_mov_b32_e32 v42, v28
	v_mov_b32_e32 v44, v26
	v_mov_b32_e32 v46, v24
	v_mov_b32_e32 v48, v22
	v_mov_b32_e32 v50, v20
	v_mov_b32_e32 v52, v18
	v_mov_b32_e32 v54, v16
	v_mov_b32_e32 v56, v14
	v_mov_b32_e32 v58, v12
	v_mov_b32_e32 v60, v10
	v_mov_b32_e32 v62, v8
	v_mov_b32_e32 v64, v6
	v_mov_b32_e32 v66, v4
.LBB1123_915:                           ;   in Loop: Header=BB1123_894 Depth=2
	s_waitcnt vmcnt(0)
	v_mov_b32_e32 v4, v66
	v_mov_b32_e32 v6, v64
	;; [unrolled: 1-line block ×32, first 2 shown]
	v_cmp_gt_u32_e32 vcc, s20, v0
	s_and_saveexec_b64 s[18:19], vcc
	s_cbranch_execnz .LBB1123_931
; %bb.916:                              ;   in Loop: Header=BB1123_894 Depth=2
	s_or_b64 exec, exec, s[18:19]
	v_cmp_gt_u32_e32 vcc, s20, v74
	s_and_saveexec_b64 s[18:19], vcc
	s_cbranch_execnz .LBB1123_932
.LBB1123_917:                           ;   in Loop: Header=BB1123_894 Depth=2
	s_or_b64 exec, exec, s[18:19]
	v_cmp_gt_u32_e32 vcc, s20, v75
	s_and_saveexec_b64 s[18:19], vcc
	s_cbranch_execnz .LBB1123_933
.LBB1123_918:                           ;   in Loop: Header=BB1123_894 Depth=2
	s_or_b64 exec, exec, s[18:19]
	v_cmp_gt_u32_e32 vcc, s20, v76
	s_and_saveexec_b64 s[18:19], vcc
	s_cbranch_execnz .LBB1123_934
.LBB1123_919:                           ;   in Loop: Header=BB1123_894 Depth=2
	s_or_b64 exec, exec, s[18:19]
	v_cmp_gt_u32_e32 vcc, s20, v79
	s_and_saveexec_b64 s[18:19], vcc
	s_cbranch_execnz .LBB1123_935
.LBB1123_920:                           ;   in Loop: Header=BB1123_894 Depth=2
	s_or_b64 exec, exec, s[18:19]
	v_cmp_gt_u32_e32 vcc, s20, v80
	s_and_saveexec_b64 s[18:19], vcc
	s_cbranch_execnz .LBB1123_936
.LBB1123_921:                           ;   in Loop: Header=BB1123_894 Depth=2
	s_or_b64 exec, exec, s[18:19]
	v_cmp_gt_u32_e32 vcc, s20, v81
	s_and_saveexec_b64 s[18:19], vcc
	s_cbranch_execnz .LBB1123_937
.LBB1123_922:                           ;   in Loop: Header=BB1123_894 Depth=2
	s_or_b64 exec, exec, s[18:19]
	v_cmp_gt_u32_e32 vcc, s20, v82
	s_and_saveexec_b64 s[18:19], vcc
	s_cbranch_execnz .LBB1123_938
.LBB1123_923:                           ;   in Loop: Header=BB1123_894 Depth=2
	s_or_b64 exec, exec, s[18:19]
	v_cmp_gt_u32_e32 vcc, s20, v83
	s_and_saveexec_b64 s[18:19], vcc
	s_cbranch_execnz .LBB1123_939
.LBB1123_924:                           ;   in Loop: Header=BB1123_894 Depth=2
	s_or_b64 exec, exec, s[18:19]
	v_cmp_gt_u32_e32 vcc, s20, v84
	s_and_saveexec_b64 s[18:19], vcc
	s_cbranch_execnz .LBB1123_940
.LBB1123_925:                           ;   in Loop: Header=BB1123_894 Depth=2
	s_or_b64 exec, exec, s[18:19]
	v_cmp_gt_u32_e32 vcc, s20, v85
	s_and_saveexec_b64 s[18:19], vcc
	s_cbranch_execnz .LBB1123_941
.LBB1123_926:                           ;   in Loop: Header=BB1123_894 Depth=2
	s_or_b64 exec, exec, s[18:19]
	v_cmp_gt_u32_e32 vcc, s20, v86
	s_and_saveexec_b64 s[18:19], vcc
	s_cbranch_execnz .LBB1123_942
.LBB1123_927:                           ;   in Loop: Header=BB1123_894 Depth=2
	s_or_b64 exec, exec, s[18:19]
	v_cmp_gt_u32_e32 vcc, s20, v87
	s_and_saveexec_b64 s[18:19], vcc
	s_cbranch_execnz .LBB1123_943
.LBB1123_928:                           ;   in Loop: Header=BB1123_894 Depth=2
	s_or_b64 exec, exec, s[18:19]
	v_cmp_gt_u32_e32 vcc, s20, v88
	s_and_saveexec_b64 s[18:19], vcc
	s_cbranch_execnz .LBB1123_944
.LBB1123_929:                           ;   in Loop: Header=BB1123_894 Depth=2
	s_or_b64 exec, exec, s[18:19]
	v_cmp_gt_u32_e32 vcc, s20, v89
	s_and_saveexec_b64 s[18:19], vcc
	s_cbranch_execnz .LBB1123_945
.LBB1123_930:                           ;   in Loop: Header=BB1123_894 Depth=2
	s_or_b64 exec, exec, s[18:19]
	v_cmp_gt_u32_e32 vcc, s20, v90
	s_and_saveexec_b64 s[18:19], vcc
	s_cbranch_execz .LBB1123_893
	s_branch .LBB1123_946
.LBB1123_931:                           ;   in Loop: Header=BB1123_894 Depth=2
	v_cmp_gt_i64_e32 vcc, 0, v[34:35]
	v_ashrrev_i32_e32 v37, 31, v35
	v_cndmask_b32_e64 v36, v133, 0, vcc
	v_not_b32_e32 v38, v37
	v_xor_b32_e32 v37, v36, v35
	v_xor_b32_e32 v36, v38, v34
	v_cmp_ne_u64_e32 vcc, s[72:73], v[36:37]
	v_cndmask_b32_e32 v37, v133, v37, vcc
	v_cndmask_b32_e32 v36, -1, v36, vcc
	v_lshrrev_b64 v[36:37], s7, v[36:37]
	v_and_b32_e32 v36, s96, v36
	v_lshl_or_b32 v36, v36, 4, v91
	ds_add_u32 v36, v117
	s_or_b64 exec, exec, s[18:19]
	v_cmp_gt_u32_e32 vcc, s20, v74
	s_and_saveexec_b64 s[18:19], vcc
	s_cbranch_execz .LBB1123_917
.LBB1123_932:                           ;   in Loop: Header=BB1123_894 Depth=2
	v_cmp_gt_i64_e32 vcc, 0, v[32:33]
	v_ashrrev_i32_e32 v37, 31, v33
	v_cndmask_b32_e64 v36, v133, 0, vcc
	v_not_b32_e32 v38, v37
	v_xor_b32_e32 v37, v36, v33
	v_xor_b32_e32 v36, v38, v32
	v_cmp_ne_u64_e32 vcc, s[72:73], v[36:37]
	v_cndmask_b32_e32 v37, v133, v37, vcc
	v_cndmask_b32_e32 v36, -1, v36, vcc
	v_lshrrev_b64 v[36:37], s7, v[36:37]
	v_and_b32_e32 v36, s96, v36
	v_lshl_or_b32 v36, v36, 4, v91
	ds_add_u32 v36, v117
	s_or_b64 exec, exec, s[18:19]
	v_cmp_gt_u32_e32 vcc, s20, v75
	s_and_saveexec_b64 s[18:19], vcc
	s_cbranch_execz .LBB1123_918
.LBB1123_933:                           ;   in Loop: Header=BB1123_894 Depth=2
	v_cmp_gt_i64_e32 vcc, 0, v[30:31]
	v_ashrrev_i32_e32 v37, 31, v31
	v_cndmask_b32_e64 v36, v133, 0, vcc
	v_not_b32_e32 v38, v37
	v_xor_b32_e32 v37, v36, v31
	v_xor_b32_e32 v36, v38, v30
	v_cmp_ne_u64_e32 vcc, s[72:73], v[36:37]
	v_cndmask_b32_e32 v37, v133, v37, vcc
	v_cndmask_b32_e32 v36, -1, v36, vcc
	v_lshrrev_b64 v[36:37], s7, v[36:37]
	v_and_b32_e32 v36, s96, v36
	v_lshl_or_b32 v36, v36, 4, v91
	ds_add_u32 v36, v117
	s_or_b64 exec, exec, s[18:19]
	v_cmp_gt_u32_e32 vcc, s20, v76
	s_and_saveexec_b64 s[18:19], vcc
	s_cbranch_execz .LBB1123_919
.LBB1123_934:                           ;   in Loop: Header=BB1123_894 Depth=2
	v_cmp_gt_i64_e32 vcc, 0, v[28:29]
	v_ashrrev_i32_e32 v37, 31, v29
	v_cndmask_b32_e64 v36, v133, 0, vcc
	v_not_b32_e32 v38, v37
	v_xor_b32_e32 v37, v36, v29
	v_xor_b32_e32 v36, v38, v28
	v_cmp_ne_u64_e32 vcc, s[72:73], v[36:37]
	v_cndmask_b32_e32 v37, v133, v37, vcc
	v_cndmask_b32_e32 v36, -1, v36, vcc
	v_lshrrev_b64 v[36:37], s7, v[36:37]
	v_and_b32_e32 v36, s96, v36
	v_lshl_or_b32 v36, v36, 4, v91
	ds_add_u32 v36, v117
	s_or_b64 exec, exec, s[18:19]
	v_cmp_gt_u32_e32 vcc, s20, v79
	s_and_saveexec_b64 s[18:19], vcc
	s_cbranch_execz .LBB1123_920
.LBB1123_935:                           ;   in Loop: Header=BB1123_894 Depth=2
	v_cmp_gt_i64_e32 vcc, 0, v[26:27]
	v_ashrrev_i32_e32 v37, 31, v27
	v_cndmask_b32_e64 v36, v133, 0, vcc
	v_not_b32_e32 v38, v37
	v_xor_b32_e32 v37, v36, v27
	v_xor_b32_e32 v36, v38, v26
	v_cmp_ne_u64_e32 vcc, s[72:73], v[36:37]
	v_cndmask_b32_e32 v37, v133, v37, vcc
	v_cndmask_b32_e32 v36, -1, v36, vcc
	v_lshrrev_b64 v[36:37], s7, v[36:37]
	v_and_b32_e32 v36, s96, v36
	v_lshl_or_b32 v36, v36, 4, v91
	ds_add_u32 v36, v117
	s_or_b64 exec, exec, s[18:19]
	v_cmp_gt_u32_e32 vcc, s20, v80
	s_and_saveexec_b64 s[18:19], vcc
	s_cbranch_execz .LBB1123_921
.LBB1123_936:                           ;   in Loop: Header=BB1123_894 Depth=2
	v_cmp_gt_i64_e32 vcc, 0, v[24:25]
	v_ashrrev_i32_e32 v37, 31, v25
	v_cndmask_b32_e64 v36, v133, 0, vcc
	v_not_b32_e32 v38, v37
	v_xor_b32_e32 v37, v36, v25
	v_xor_b32_e32 v36, v38, v24
	v_cmp_ne_u64_e32 vcc, s[72:73], v[36:37]
	v_cndmask_b32_e32 v37, v133, v37, vcc
	v_cndmask_b32_e32 v36, -1, v36, vcc
	v_lshrrev_b64 v[36:37], s7, v[36:37]
	v_and_b32_e32 v36, s96, v36
	v_lshl_or_b32 v36, v36, 4, v91
	ds_add_u32 v36, v117
	s_or_b64 exec, exec, s[18:19]
	v_cmp_gt_u32_e32 vcc, s20, v81
	s_and_saveexec_b64 s[18:19], vcc
	s_cbranch_execz .LBB1123_922
.LBB1123_937:                           ;   in Loop: Header=BB1123_894 Depth=2
	v_cmp_gt_i64_e32 vcc, 0, v[22:23]
	v_ashrrev_i32_e32 v37, 31, v23
	v_cndmask_b32_e64 v36, v133, 0, vcc
	v_not_b32_e32 v38, v37
	v_xor_b32_e32 v37, v36, v23
	v_xor_b32_e32 v36, v38, v22
	v_cmp_ne_u64_e32 vcc, s[72:73], v[36:37]
	v_cndmask_b32_e32 v37, v133, v37, vcc
	v_cndmask_b32_e32 v36, -1, v36, vcc
	v_lshrrev_b64 v[36:37], s7, v[36:37]
	v_and_b32_e32 v36, s96, v36
	v_lshl_or_b32 v36, v36, 4, v91
	ds_add_u32 v36, v117
	s_or_b64 exec, exec, s[18:19]
	v_cmp_gt_u32_e32 vcc, s20, v82
	s_and_saveexec_b64 s[18:19], vcc
	s_cbranch_execz .LBB1123_923
.LBB1123_938:                           ;   in Loop: Header=BB1123_894 Depth=2
	v_cmp_gt_i64_e32 vcc, 0, v[20:21]
	v_ashrrev_i32_e32 v37, 31, v21
	v_cndmask_b32_e64 v36, v133, 0, vcc
	v_not_b32_e32 v38, v37
	v_xor_b32_e32 v37, v36, v21
	v_xor_b32_e32 v36, v38, v20
	v_cmp_ne_u64_e32 vcc, s[72:73], v[36:37]
	v_cndmask_b32_e32 v37, v133, v37, vcc
	v_cndmask_b32_e32 v36, -1, v36, vcc
	v_lshrrev_b64 v[36:37], s7, v[36:37]
	v_and_b32_e32 v36, s96, v36
	v_lshl_or_b32 v36, v36, 4, v91
	ds_add_u32 v36, v117
	s_or_b64 exec, exec, s[18:19]
	v_cmp_gt_u32_e32 vcc, s20, v83
	s_and_saveexec_b64 s[18:19], vcc
	s_cbranch_execz .LBB1123_924
.LBB1123_939:                           ;   in Loop: Header=BB1123_894 Depth=2
	v_cmp_gt_i64_e32 vcc, 0, v[18:19]
	v_ashrrev_i32_e32 v37, 31, v19
	v_cndmask_b32_e64 v36, v133, 0, vcc
	v_not_b32_e32 v38, v37
	v_xor_b32_e32 v37, v36, v19
	v_xor_b32_e32 v36, v38, v18
	v_cmp_ne_u64_e32 vcc, s[72:73], v[36:37]
	v_cndmask_b32_e32 v37, v133, v37, vcc
	v_cndmask_b32_e32 v36, -1, v36, vcc
	v_lshrrev_b64 v[36:37], s7, v[36:37]
	v_and_b32_e32 v36, s96, v36
	v_lshl_or_b32 v36, v36, 4, v91
	ds_add_u32 v36, v117
	s_or_b64 exec, exec, s[18:19]
	v_cmp_gt_u32_e32 vcc, s20, v84
	s_and_saveexec_b64 s[18:19], vcc
	s_cbranch_execz .LBB1123_925
.LBB1123_940:                           ;   in Loop: Header=BB1123_894 Depth=2
	v_cmp_gt_i64_e32 vcc, 0, v[16:17]
	v_ashrrev_i32_e32 v37, 31, v17
	v_cndmask_b32_e64 v36, v133, 0, vcc
	v_not_b32_e32 v38, v37
	v_xor_b32_e32 v37, v36, v17
	v_xor_b32_e32 v36, v38, v16
	v_cmp_ne_u64_e32 vcc, s[72:73], v[36:37]
	v_cndmask_b32_e32 v37, v133, v37, vcc
	v_cndmask_b32_e32 v36, -1, v36, vcc
	v_lshrrev_b64 v[36:37], s7, v[36:37]
	v_and_b32_e32 v36, s96, v36
	v_lshl_or_b32 v36, v36, 4, v91
	ds_add_u32 v36, v117
	s_or_b64 exec, exec, s[18:19]
	v_cmp_gt_u32_e32 vcc, s20, v85
	s_and_saveexec_b64 s[18:19], vcc
	s_cbranch_execz .LBB1123_926
.LBB1123_941:                           ;   in Loop: Header=BB1123_894 Depth=2
	v_cmp_gt_i64_e32 vcc, 0, v[14:15]
	v_ashrrev_i32_e32 v37, 31, v15
	v_cndmask_b32_e64 v36, v133, 0, vcc
	v_not_b32_e32 v38, v37
	v_xor_b32_e32 v37, v36, v15
	v_xor_b32_e32 v36, v38, v14
	v_cmp_ne_u64_e32 vcc, s[72:73], v[36:37]
	v_cndmask_b32_e32 v37, v133, v37, vcc
	v_cndmask_b32_e32 v36, -1, v36, vcc
	v_lshrrev_b64 v[36:37], s7, v[36:37]
	v_and_b32_e32 v36, s96, v36
	v_lshl_or_b32 v36, v36, 4, v91
	ds_add_u32 v36, v117
	s_or_b64 exec, exec, s[18:19]
	v_cmp_gt_u32_e32 vcc, s20, v86
	s_and_saveexec_b64 s[18:19], vcc
	s_cbranch_execz .LBB1123_927
.LBB1123_942:                           ;   in Loop: Header=BB1123_894 Depth=2
	v_cmp_gt_i64_e32 vcc, 0, v[12:13]
	v_ashrrev_i32_e32 v37, 31, v13
	v_cndmask_b32_e64 v36, v133, 0, vcc
	v_not_b32_e32 v38, v37
	v_xor_b32_e32 v37, v36, v13
	v_xor_b32_e32 v36, v38, v12
	v_cmp_ne_u64_e32 vcc, s[72:73], v[36:37]
	v_cndmask_b32_e32 v37, v133, v37, vcc
	v_cndmask_b32_e32 v36, -1, v36, vcc
	v_lshrrev_b64 v[36:37], s7, v[36:37]
	v_and_b32_e32 v36, s96, v36
	v_lshl_or_b32 v36, v36, 4, v91
	ds_add_u32 v36, v117
	s_or_b64 exec, exec, s[18:19]
	v_cmp_gt_u32_e32 vcc, s20, v87
	s_and_saveexec_b64 s[18:19], vcc
	s_cbranch_execz .LBB1123_928
.LBB1123_943:                           ;   in Loop: Header=BB1123_894 Depth=2
	v_cmp_gt_i64_e32 vcc, 0, v[10:11]
	v_ashrrev_i32_e32 v37, 31, v11
	v_cndmask_b32_e64 v36, v133, 0, vcc
	v_not_b32_e32 v38, v37
	v_xor_b32_e32 v37, v36, v11
	v_xor_b32_e32 v36, v38, v10
	v_cmp_ne_u64_e32 vcc, s[72:73], v[36:37]
	v_cndmask_b32_e32 v37, v133, v37, vcc
	v_cndmask_b32_e32 v36, -1, v36, vcc
	v_lshrrev_b64 v[36:37], s7, v[36:37]
	v_and_b32_e32 v36, s96, v36
	v_lshl_or_b32 v36, v36, 4, v91
	ds_add_u32 v36, v117
	s_or_b64 exec, exec, s[18:19]
	v_cmp_gt_u32_e32 vcc, s20, v88
	s_and_saveexec_b64 s[18:19], vcc
	s_cbranch_execz .LBB1123_929
.LBB1123_944:                           ;   in Loop: Header=BB1123_894 Depth=2
	v_cmp_gt_i64_e32 vcc, 0, v[8:9]
	v_ashrrev_i32_e32 v37, 31, v9
	v_cndmask_b32_e64 v36, v133, 0, vcc
	v_not_b32_e32 v38, v37
	v_xor_b32_e32 v37, v36, v9
	v_xor_b32_e32 v36, v38, v8
	v_cmp_ne_u64_e32 vcc, s[72:73], v[36:37]
	v_cndmask_b32_e32 v37, v133, v37, vcc
	v_cndmask_b32_e32 v36, -1, v36, vcc
	v_lshrrev_b64 v[36:37], s7, v[36:37]
	v_and_b32_e32 v36, s96, v36
	v_lshl_or_b32 v36, v36, 4, v91
	ds_add_u32 v36, v117
	s_or_b64 exec, exec, s[18:19]
	v_cmp_gt_u32_e32 vcc, s20, v89
	s_and_saveexec_b64 s[18:19], vcc
	s_cbranch_execz .LBB1123_930
.LBB1123_945:                           ;   in Loop: Header=BB1123_894 Depth=2
	v_cmp_gt_i64_e32 vcc, 0, v[6:7]
	v_ashrrev_i32_e32 v37, 31, v7
	v_cndmask_b32_e64 v36, v133, 0, vcc
	v_not_b32_e32 v38, v37
	v_xor_b32_e32 v37, v36, v7
	v_xor_b32_e32 v36, v38, v6
	v_cmp_ne_u64_e32 vcc, s[72:73], v[36:37]
	v_cndmask_b32_e32 v37, v133, v37, vcc
	v_cndmask_b32_e32 v36, -1, v36, vcc
	v_lshrrev_b64 v[36:37], s7, v[36:37]
	v_and_b32_e32 v36, s96, v36
	v_lshl_or_b32 v36, v36, 4, v91
	ds_add_u32 v36, v117
	s_or_b64 exec, exec, s[18:19]
	v_cmp_gt_u32_e32 vcc, s20, v90
	s_and_saveexec_b64 s[18:19], vcc
	s_cbranch_execz .LBB1123_893
.LBB1123_946:                           ;   in Loop: Header=BB1123_894 Depth=2
	v_cmp_gt_i64_e32 vcc, 0, v[4:5]
	v_ashrrev_i32_e32 v37, 31, v5
	v_cndmask_b32_e64 v36, v133, 0, vcc
	v_not_b32_e32 v38, v37
	v_xor_b32_e32 v37, v36, v5
	v_xor_b32_e32 v36, v38, v4
	v_cmp_ne_u64_e32 vcc, s[72:73], v[36:37]
	v_cndmask_b32_e32 v37, v133, v37, vcc
	v_cndmask_b32_e32 v36, -1, v36, vcc
	v_lshrrev_b64 v[36:37], s7, v[36:37]
	v_and_b32_e32 v36, s96, v36
	v_lshl_or_b32 v36, v36, 4, v91
	ds_add_u32 v36, v117
	s_branch .LBB1123_893
.LBB1123_947:                           ;   in Loop: Header=BB1123_894 Depth=2
	global_load_dwordx2 v[34:35], v118, s[18:19]
	s_or_b64 exec, exec, s[20:21]
	v_cmp_gt_u32_e32 vcc, s22, v74
	s_and_saveexec_b64 s[20:21], vcc
	s_cbranch_execz .LBB1123_899
.LBB1123_948:                           ;   in Loop: Header=BB1123_894 Depth=2
	global_load_dwordx2 v[32:33], v118, s[18:19] offset:2048
	s_or_b64 exec, exec, s[20:21]
	v_cmp_gt_u32_e32 vcc, s22, v75
	s_and_saveexec_b64 s[20:21], vcc
	s_cbranch_execz .LBB1123_900
.LBB1123_949:                           ;   in Loop: Header=BB1123_894 Depth=2
	global_load_dwordx2 v[30:31], v119, s[18:19]
	s_or_b64 exec, exec, s[20:21]
	v_cmp_gt_u32_e32 vcc, s22, v76
	s_and_saveexec_b64 s[20:21], vcc
	s_cbranch_execz .LBB1123_901
.LBB1123_950:                           ;   in Loop: Header=BB1123_894 Depth=2
	global_load_dwordx2 v[28:29], v120, s[18:19]
	s_or_b64 exec, exec, s[20:21]
	v_cmp_gt_u32_e32 vcc, s22, v79
	s_and_saveexec_b64 s[20:21], vcc
	s_cbranch_execz .LBB1123_902
.LBB1123_951:                           ;   in Loop: Header=BB1123_894 Depth=2
	global_load_dwordx2 v[26:27], v121, s[18:19]
	s_or_b64 exec, exec, s[20:21]
	v_cmp_gt_u32_e32 vcc, s22, v80
	s_and_saveexec_b64 s[20:21], vcc
	s_cbranch_execz .LBB1123_903
.LBB1123_952:                           ;   in Loop: Header=BB1123_894 Depth=2
	global_load_dwordx2 v[24:25], v122, s[18:19]
	s_or_b64 exec, exec, s[20:21]
	v_cmp_gt_u32_e32 vcc, s22, v81
	s_and_saveexec_b64 s[20:21], vcc
	s_cbranch_execz .LBB1123_904
.LBB1123_953:                           ;   in Loop: Header=BB1123_894 Depth=2
	global_load_dwordx2 v[22:23], v123, s[18:19]
	s_or_b64 exec, exec, s[20:21]
	v_cmp_gt_u32_e32 vcc, s22, v82
	s_and_saveexec_b64 s[20:21], vcc
	s_cbranch_execz .LBB1123_905
.LBB1123_954:                           ;   in Loop: Header=BB1123_894 Depth=2
	global_load_dwordx2 v[20:21], v124, s[18:19]
	s_or_b64 exec, exec, s[20:21]
	v_cmp_gt_u32_e32 vcc, s22, v83
	s_and_saveexec_b64 s[20:21], vcc
	s_cbranch_execz .LBB1123_906
.LBB1123_955:                           ;   in Loop: Header=BB1123_894 Depth=2
	global_load_dwordx2 v[18:19], v125, s[18:19]
	s_or_b64 exec, exec, s[20:21]
	v_cmp_gt_u32_e32 vcc, s22, v84
	s_and_saveexec_b64 s[20:21], vcc
	s_cbranch_execz .LBB1123_907
.LBB1123_956:                           ;   in Loop: Header=BB1123_894 Depth=2
	global_load_dwordx2 v[16:17], v126, s[18:19]
	s_or_b64 exec, exec, s[20:21]
	v_cmp_gt_u32_e32 vcc, s22, v85
	s_and_saveexec_b64 s[20:21], vcc
	s_cbranch_execz .LBB1123_908
.LBB1123_957:                           ;   in Loop: Header=BB1123_894 Depth=2
	global_load_dwordx2 v[14:15], v127, s[18:19]
	s_or_b64 exec, exec, s[20:21]
	v_cmp_gt_u32_e32 vcc, s22, v86
	s_and_saveexec_b64 s[20:21], vcc
	s_cbranch_execz .LBB1123_909
.LBB1123_958:                           ;   in Loop: Header=BB1123_894 Depth=2
	global_load_dwordx2 v[12:13], v128, s[18:19]
	s_or_b64 exec, exec, s[20:21]
	v_cmp_gt_u32_e32 vcc, s22, v87
	s_and_saveexec_b64 s[20:21], vcc
	s_cbranch_execz .LBB1123_910
.LBB1123_959:                           ;   in Loop: Header=BB1123_894 Depth=2
	global_load_dwordx2 v[10:11], v129, s[18:19]
	s_or_b64 exec, exec, s[20:21]
	v_cmp_gt_u32_e32 vcc, s22, v88
	s_and_saveexec_b64 s[20:21], vcc
	s_cbranch_execz .LBB1123_911
.LBB1123_960:                           ;   in Loop: Header=BB1123_894 Depth=2
	global_load_dwordx2 v[8:9], v130, s[18:19]
	s_or_b64 exec, exec, s[20:21]
	v_cmp_gt_u32_e32 vcc, s22, v89
	s_and_saveexec_b64 s[20:21], vcc
	s_cbranch_execz .LBB1123_912
.LBB1123_961:                           ;   in Loop: Header=BB1123_894 Depth=2
	global_load_dwordx2 v[6:7], v131, s[18:19]
	s_or_b64 exec, exec, s[20:21]
	v_cmp_gt_u32_e32 vcc, s22, v90
	s_and_saveexec_b64 s[20:21], vcc
	s_cbranch_execnz .LBB1123_913
	s_branch .LBB1123_914
.LBB1123_962:                           ;   in Loop: Header=BB1123_12 Depth=1
	v_mov_b32_e32 v4, 0
	s_waitcnt lgkmcnt(0)
	s_barrier
	s_and_saveexec_b64 s[18:19], s[4:5]
	s_cbranch_execz .LBB1123_964
; %bb.963:                              ;   in Loop: Header=BB1123_12 Depth=1
	ds_read2_b64 v[4:7], v92 offset1:1
	s_waitcnt lgkmcnt(0)
	v_add_u32_e32 v4, v5, v4
	v_add3_u32 v4, v4, v6, v7
.LBB1123_964:                           ;   in Loop: Header=BB1123_12 Depth=1
	s_or_b64 exec, exec, s[18:19]
	v_and_b32_e32 v5, 15, v134
	v_mov_b32_dpp v6, v4 row_shr:1 row_mask:0xf bank_mask:0xf
	v_cmp_eq_u32_e64 s[18:19], 0, v5
	v_cndmask_b32_e64 v6, v6, 0, s[18:19]
	v_add_u32_e32 v4, v6, v4
	v_cmp_lt_u32_e64 s[20:21], 1, v5
	v_cmp_lt_u32_e64 s[22:23], 3, v5
	v_mov_b32_dpp v6, v4 row_shr:2 row_mask:0xf bank_mask:0xf
	v_cndmask_b32_e64 v6, 0, v6, s[20:21]
	v_add_u32_e32 v4, v4, v6
	v_cmp_lt_u32_e64 s[24:25], 7, v5
	v_cmp_lt_u32_e64 s[28:29], 31, v134
	v_mov_b32_dpp v6, v4 row_shr:4 row_mask:0xf bank_mask:0xf
	v_cndmask_b32_e64 v6, 0, v6, s[22:23]
	v_add_u32_e32 v4, v4, v6
	v_and_b32_e32 v7, 16, v134
	v_cmp_eq_u32_e64 s[26:27], 0, v7
	v_mov_b32_dpp v6, v4 row_shr:8 row_mask:0xf bank_mask:0xf
	v_cndmask_b32_e64 v5, 0, v6, s[24:25]
	v_add_u32_e32 v4, v4, v5
	v_bfe_i32 v6, v134, 4, 1
	s_nop 0
	v_mov_b32_dpp v5, v4 row_bcast:15 row_mask:0xf bank_mask:0xf
	v_and_b32_e32 v5, v6, v5
	v_add_u32_e32 v4, v4, v5
	s_nop 1
	v_mov_b32_dpp v5, v4 row_bcast:31 row_mask:0xf bank_mask:0xf
	v_cndmask_b32_e64 v5, 0, v5, s[28:29]
	v_add_u32_e32 v5, v4, v5
	s_and_saveexec_b64 s[30:31], s[8:9]
; %bb.965:                              ;   in Loop: Header=BB1123_12 Depth=1
	ds_write_b32 v94, v5
; %bb.966:                              ;   in Loop: Header=BB1123_12 Depth=1
	s_or_b64 exec, exec, s[30:31]
	v_and_b32_e32 v4, 3, v134
	s_waitcnt lgkmcnt(0)
	s_barrier
	s_and_saveexec_b64 s[30:31], s[10:11]
	s_cbranch_execz .LBB1123_968
; %bb.967:                              ;   in Loop: Header=BB1123_12 Depth=1
	ds_read_b32 v6, v95
	v_cmp_ne_u32_e32 vcc, 0, v4
	s_waitcnt lgkmcnt(0)
	v_mov_b32_dpp v7, v6 row_shr:1 row_mask:0xf bank_mask:0xf
	v_cndmask_b32_e32 v7, 0, v7, vcc
	v_add_u32_e32 v6, v7, v6
	v_cmp_lt_u32_e32 vcc, 1, v4
	s_nop 0
	v_mov_b32_dpp v7, v6 row_shr:2 row_mask:0xf bank_mask:0xf
	v_cndmask_b32_e32 v7, 0, v7, vcc
	v_add_u32_e32 v6, v6, v7
	ds_write_b32 v95, v6
.LBB1123_968:                           ;   in Loop: Header=BB1123_12 Depth=1
	s_or_b64 exec, exec, s[30:31]
	v_mov_b32_e32 v6, 0
	s_waitcnt lgkmcnt(0)
	s_barrier
	s_and_saveexec_b64 s[30:31], s[12:13]
; %bb.969:                              ;   in Loop: Header=BB1123_12 Depth=1
	ds_read_b32 v6, v96
; %bb.970:                              ;   in Loop: Header=BB1123_12 Depth=1
	s_or_b64 exec, exec, s[30:31]
	v_subrev_co_u32_e64 v7, s[30:31], 1, v134
	v_and_b32_e32 v8, 64, v134
	v_cmp_lt_i32_e32 vcc, v7, v8
	v_cndmask_b32_e32 v7, v7, v134, vcc
	s_waitcnt lgkmcnt(0)
	v_add_u32_e32 v5, v6, v5
	v_lshlrev_b32_e32 v135, 2, v7
	ds_bpermute_b32 v5, v135, v5
	s_waitcnt lgkmcnt(0)
	s_barrier
	s_and_saveexec_b64 s[34:35], s[4:5]
; %bb.971:                              ;   in Loop: Header=BB1123_12 Depth=1
	v_cndmask_b32_e64 v5, v5, v6, s[30:31]
	v_add_u32_e32 v5, s94, v5
	ds_write_b32 v73, v5
; %bb.972:                              ;   in Loop: Header=BB1123_12 Depth=1
	s_or_b64 exec, exec, s[34:35]
	s_load_dwordx2 s[34:35], s[74:75], 0x0
	s_mov_b32 s97, s91
	s_mov_b32 s82, s94
                                        ; implicit-def: $vgpr5_vgpr6
                                        ; implicit-def: $vgpr7_vgpr8
                                        ; implicit-def: $vgpr9_vgpr10
                                        ; implicit-def: $vgpr13_vgpr14
                                        ; implicit-def: $vgpr17_vgpr18
                                        ; implicit-def: $vgpr21_vgpr22
                                        ; implicit-def: $vgpr25_vgpr26
                                        ; implicit-def: $vgpr29_vgpr30
                                        ; implicit-def: $vgpr11_vgpr12
                                        ; implicit-def: $vgpr15_vgpr16
                                        ; implicit-def: $vgpr19_vgpr20
                                        ; implicit-def: $vgpr23_vgpr24
                                        ; implicit-def: $vgpr27_vgpr28
                                        ; implicit-def: $vgpr31_vgpr32
                                        ; implicit-def: $vgpr33_vgpr34
                                        ; implicit-def: $vgpr35_vgpr36
                                        ; implicit-def: $vgpr136
                                        ; implicit-def: $vgpr137
                                        ; implicit-def: $vgpr138
                                        ; implicit-def: $vgpr139
                                        ; implicit-def: $vgpr140
                                        ; implicit-def: $vgpr141
                                        ; implicit-def: $vgpr142
                                        ; implicit-def: $vgpr144
                                        ; implicit-def: $vgpr146
                                        ; implicit-def: $vgpr148
                                        ; implicit-def: $vgpr150
                                        ; implicit-def: $vgpr152
                                        ; implicit-def: $vgpr154
                                        ; implicit-def: $vgpr156
                                        ; implicit-def: $vgpr158
                                        ; implicit-def: $vgpr160
	s_waitcnt lgkmcnt(0)
	s_cmp_lt_u32 s33, s35
	s_cselect_b32 s35, 14, 20
	s_add_u32 s36, s74, s35
	s_addc_u32 s37, s75, 0
	s_cmp_lt_u32 s6, s34
	s_cselect_b32 s34, 12, 18
	s_add_u32 s34, s74, s34
	global_load_ushort v37, v3, s[36:37]
	s_addc_u32 s35, s75, 0
	global_load_ushort v38, v3, s[34:35]
	v_cmp_eq_u32_e64 s[34:35], 0, v4
	v_cmp_lt_u32_e64 s[36:37], 1, v4
	v_and_b32_e32 v4, 63, v134
	v_lshlrev_b32_e32 v39, 3, v4
	v_or_b32_e32 v143, v4, v97
	v_add_co_u32_e32 v145, vcc, v113, v39
	v_addc_co_u32_e32 v147, vcc, 0, v114, vcc
	v_add_co_u32_e32 v170, vcc, v115, v39
	v_or_b32_e32 v149, 64, v143
	v_or_b32_e32 v151, 0x80, v143
	;; [unrolled: 1-line block ×15, first 2 shown]
	v_addc_co_u32_e32 v171, vcc, 0, v116, vcc
	s_waitcnt vmcnt(1)
	v_mad_u32_u24 v4, v2, v37, v1
	s_waitcnt vmcnt(0)
	v_mad_u64_u32 v[37:38], s[38:39], v4, v38, v[0:1]
	v_lshrrev_b32_e32 v4, 4, v37
	v_and_b32_e32 v172, 0xffffffc, v4
	s_branch .LBB1123_974
.LBB1123_973:                           ;   in Loop: Header=BB1123_974 Depth=2
	s_or_b64 exec, exec, s[38:39]
	s_addk_i32 s97, 0xf000
	s_cmp_lt_u32 s98, s95
	s_mov_b32 s82, s98
	s_cbranch_scc0 .LBB1123_10
.LBB1123_974:                           ;   Parent Loop BB1123_12 Depth=1
                                        ; =>  This Inner Loop Header: Depth=2
	s_add_i32 s98, s82, 0x1000
	s_cmp_gt_u32 s98, s95
	s_cbranch_scc1 .LBB1123_976
; %bb.975:                              ;   in Loop: Header=BB1123_974 Depth=2
	s_mov_b32 s83, s72
	s_lshl_b64 s[38:39], s[82:83], 3
	v_mov_b32_e32 v4, s39
	v_add_co_u32_e32 v41, vcc, s38, v170
	v_addc_co_u32_e32 v42, vcc, v171, v4, vcc
	global_load_dwordx2 v[37:38], v[41:42], off
	global_load_dwordx2 v[39:40], v[41:42], off offset:512
	global_load_dwordx2 v[45:46], v[41:42], off offset:1024
	;; [unrolled: 1-line block ×7, first 2 shown]
	v_add_co_u32_e32 v41, vcc, 0x1000, v41
	v_addc_co_u32_e32 v42, vcc, 0, v42, vcc
	global_load_dwordx2 v[67:68], v[41:42], off
	global_load_dwordx2 v[61:62], v[41:42], off offset:512
	global_load_dwordx2 v[59:60], v[41:42], off offset:1024
	;; [unrolled: 1-line block ×5, first 2 shown]
	s_nop 0
	global_load_dwordx2 v[41:42], v[41:42], off offset:3072
	s_mov_b64 s[38:39], -1
	s_movk_i32 s42, 0x1000
	s_cbranch_execz .LBB1123_977
	s_branch .LBB1123_1008
.LBB1123_976:                           ;   in Loop: Header=BB1123_974 Depth=2
	s_mov_b64 s[38:39], 0
                                        ; implicit-def: $vgpr37_vgpr38
                                        ; implicit-def: $vgpr39_vgpr40
                                        ; implicit-def: $vgpr45_vgpr46
                                        ; implicit-def: $vgpr49_vgpr50
                                        ; implicit-def: $vgpr53_vgpr54
                                        ; implicit-def: $vgpr57_vgpr58
                                        ; implicit-def: $vgpr63_vgpr64
                                        ; implicit-def: $vgpr65_vgpr66
                                        ; implicit-def: $vgpr67_vgpr68
                                        ; implicit-def: $vgpr61_vgpr62
                                        ; implicit-def: $vgpr59_vgpr60
                                        ; implicit-def: $vgpr55_vgpr56
                                        ; implicit-def: $vgpr51_vgpr52
                                        ; implicit-def: $vgpr47_vgpr48
                                        ; implicit-def: $vgpr41_vgpr42
	s_movk_i32 s42, 0x1000
.LBB1123_977:                           ;   in Loop: Header=BB1123_974 Depth=2
	s_mov_b32 s83, s72
	s_lshl_b64 s[38:39], s[82:83], 3
	v_mov_b32_e32 v4, s39
	v_add_co_u32_e32 v43, vcc, s38, v170
	v_addc_co_u32_e32 v44, vcc, v171, v4, vcc
	s_waitcnt vmcnt(13)
	v_mov_b32_e32 v39, -1
	v_mov_b32_e32 v37, -1
	;; [unrolled: 1-line block ×4, first 2 shown]
	v_cmp_gt_u32_e32 vcc, s97, v143
	s_and_saveexec_b64 s[38:39], vcc
	s_cbranch_execz .LBB1123_979
; %bb.978:                              ;   in Loop: Header=BB1123_974 Depth=2
	global_load_dwordx2 v[37:38], v[43:44], off
.LBB1123_979:                           ;   in Loop: Header=BB1123_974 Depth=2
	s_or_b64 exec, exec, s[38:39]
	v_cmp_gt_u32_e32 vcc, s97, v149
	s_and_saveexec_b64 s[38:39], vcc
	s_cbranch_execz .LBB1123_981
; %bb.980:                              ;   in Loop: Header=BB1123_974 Depth=2
	global_load_dwordx2 v[39:40], v[43:44], off offset:512
.LBB1123_981:                           ;   in Loop: Header=BB1123_974 Depth=2
	s_or_b64 exec, exec, s[38:39]
	s_waitcnt vmcnt(11)
	v_mov_b32_e32 v49, -1
	v_mov_b32_e32 v45, -1
	v_mov_b32_e32 v50, -1
	v_mov_b32_e32 v46, -1
	v_cmp_gt_u32_e32 vcc, s97, v151
	s_and_saveexec_b64 s[38:39], vcc
	s_cbranch_execz .LBB1123_983
; %bb.982:                              ;   in Loop: Header=BB1123_974 Depth=2
	global_load_dwordx2 v[45:46], v[43:44], off offset:1024
.LBB1123_983:                           ;   in Loop: Header=BB1123_974 Depth=2
	s_or_b64 exec, exec, s[38:39]
	v_cmp_gt_u32_e32 vcc, s97, v153
	s_and_saveexec_b64 s[38:39], vcc
	s_cbranch_execz .LBB1123_985
; %bb.984:                              ;   in Loop: Header=BB1123_974 Depth=2
	global_load_dwordx2 v[49:50], v[43:44], off offset:1536
.LBB1123_985:                           ;   in Loop: Header=BB1123_974 Depth=2
	s_or_b64 exec, exec, s[38:39]
	s_waitcnt vmcnt(9)
	v_mov_b32_e32 v57, -1
	v_mov_b32_e32 v53, -1
	v_mov_b32_e32 v58, -1
	v_mov_b32_e32 v54, -1
	v_cmp_gt_u32_e32 vcc, s97, v155
	s_and_saveexec_b64 s[38:39], vcc
	s_cbranch_execz .LBB1123_987
; %bb.986:                              ;   in Loop: Header=BB1123_974 Depth=2
	global_load_dwordx2 v[53:54], v[43:44], off offset:2048
.LBB1123_987:                           ;   in Loop: Header=BB1123_974 Depth=2
	;; [unrolled: 19-line block ×3, first 2 shown]
	s_or_b64 exec, exec, s[38:39]
	v_cmp_gt_u32_e32 vcc, s97, v161
	s_and_saveexec_b64 s[38:39], vcc
	s_cbranch_execz .LBB1123_993
; %bb.992:                              ;   in Loop: Header=BB1123_974 Depth=2
	global_load_dwordx2 v[65:66], v[43:44], off offset:3584
.LBB1123_993:                           ;   in Loop: Header=BB1123_974 Depth=2
	s_or_b64 exec, exec, s[38:39]
	s_waitcnt vmcnt(5)
	v_mov_b32_e32 v61, -1
	v_mov_b32_e32 v67, -1
	v_mov_b32_e32 v62, -1
	v_mov_b32_e32 v68, -1
	v_cmp_gt_u32_e32 vcc, s97, v162
	s_and_saveexec_b64 s[38:39], vcc
	s_cbranch_execz .LBB1123_995
; %bb.994:                              ;   in Loop: Header=BB1123_974 Depth=2
	s_waitcnt vmcnt(0)
	v_add_co_u32_e32 v41, vcc, 0x1000, v43
	v_addc_co_u32_e32 v42, vcc, 0, v44, vcc
	global_load_dwordx2 v[67:68], v[41:42], off
.LBB1123_995:                           ;   in Loop: Header=BB1123_974 Depth=2
	s_or_b64 exec, exec, s[38:39]
	v_cmp_gt_u32_e32 vcc, s97, v163
	s_and_saveexec_b64 s[38:39], vcc
	s_cbranch_execz .LBB1123_997
; %bb.996:                              ;   in Loop: Header=BB1123_974 Depth=2
	s_waitcnt vmcnt(0)
	v_add_co_u32_e32 v41, vcc, 0x1000, v43
	v_addc_co_u32_e32 v42, vcc, 0, v44, vcc
	global_load_dwordx2 v[61:62], v[41:42], off offset:512
.LBB1123_997:                           ;   in Loop: Header=BB1123_974 Depth=2
	s_or_b64 exec, exec, s[38:39]
	s_waitcnt vmcnt(3)
	v_mov_b32_e32 v55, -1
	v_mov_b32_e32 v59, -1
	;; [unrolled: 1-line block ×4, first 2 shown]
	v_cmp_gt_u32_e32 vcc, s97, v164
	s_and_saveexec_b64 s[38:39], vcc
	s_cbranch_execz .LBB1123_999
; %bb.998:                              ;   in Loop: Header=BB1123_974 Depth=2
	s_waitcnt vmcnt(0)
	v_add_co_u32_e32 v41, vcc, 0x1000, v43
	v_addc_co_u32_e32 v42, vcc, 0, v44, vcc
	global_load_dwordx2 v[59:60], v[41:42], off offset:1024
.LBB1123_999:                           ;   in Loop: Header=BB1123_974 Depth=2
	s_or_b64 exec, exec, s[38:39]
	v_cmp_gt_u32_e32 vcc, s97, v165
	s_and_saveexec_b64 s[38:39], vcc
	s_cbranch_execz .LBB1123_1001
; %bb.1000:                             ;   in Loop: Header=BB1123_974 Depth=2
	s_waitcnt vmcnt(0)
	v_add_co_u32_e32 v41, vcc, 0x1000, v43
	v_addc_co_u32_e32 v42, vcc, 0, v44, vcc
	global_load_dwordx2 v[55:56], v[41:42], off offset:1536
.LBB1123_1001:                          ;   in Loop: Header=BB1123_974 Depth=2
	s_or_b64 exec, exec, s[38:39]
	s_waitcnt vmcnt(1)
	v_mov_b32_e32 v47, -1
	v_mov_b32_e32 v51, -1
	;; [unrolled: 1-line block ×4, first 2 shown]
	v_cmp_gt_u32_e32 vcc, s97, v166
	s_and_saveexec_b64 s[38:39], vcc
	s_cbranch_execz .LBB1123_1003
; %bb.1002:                             ;   in Loop: Header=BB1123_974 Depth=2
	s_waitcnt vmcnt(0)
	v_add_co_u32_e32 v41, vcc, 0x1000, v43
	v_addc_co_u32_e32 v42, vcc, 0, v44, vcc
	global_load_dwordx2 v[51:52], v[41:42], off offset:2048
.LBB1123_1003:                          ;   in Loop: Header=BB1123_974 Depth=2
	s_or_b64 exec, exec, s[38:39]
	v_cmp_gt_u32_e32 vcc, s97, v167
	s_and_saveexec_b64 s[38:39], vcc
	s_cbranch_execz .LBB1123_1005
; %bb.1004:                             ;   in Loop: Header=BB1123_974 Depth=2
	s_waitcnt vmcnt(0)
	v_add_co_u32_e32 v41, vcc, 0x1000, v43
	v_addc_co_u32_e32 v42, vcc, 0, v44, vcc
	global_load_dwordx2 v[47:48], v[41:42], off offset:2560
.LBB1123_1005:                          ;   in Loop: Header=BB1123_974 Depth=2
	s_or_b64 exec, exec, s[38:39]
	s_waitcnt vmcnt(0)
	v_mov_b32_e32 v41, -1
	v_mov_b32_e32 v42, -1
	v_cmp_gt_u32_e32 vcc, s97, v168
	s_and_saveexec_b64 s[38:39], vcc
	s_cbranch_execz .LBB1123_1007
; %bb.1006:                             ;   in Loop: Header=BB1123_974 Depth=2
	v_add_co_u32_e32 v41, vcc, 0x1000, v43
	v_addc_co_u32_e32 v42, vcc, 0, v44, vcc
	global_load_dwordx2 v[41:42], v[41:42], off offset:3072
.LBB1123_1007:                          ;   in Loop: Header=BB1123_974 Depth=2
	s_or_b64 exec, exec, s[38:39]
	s_sub_i32 s42, s95, s82
	v_cmp_gt_u32_e64 s[38:39], s97, v169
.LBB1123_1008:                          ;   in Loop: Header=BB1123_974 Depth=2
	v_mov_b32_e32 v43, -1
	v_mov_b32_e32 v44, -1
	v_mov_b32_e32 v173, s97
	s_and_saveexec_b64 s[40:41], s[38:39]
	s_cbranch_execz .LBB1123_1010
; %bb.1009:                             ;   in Loop: Header=BB1123_974 Depth=2
	s_lshl_b64 s[38:39], s[82:83], 3
	v_mov_b32_e32 v4, s39
	v_add_co_u32_e32 v43, vcc, s38, v170
	v_addc_co_u32_e32 v4, vcc, v171, v4, vcc
	v_add_co_u32_e32 v43, vcc, 0x1000, v43
	v_addc_co_u32_e32 v44, vcc, 0, v4, vcc
	global_load_dwordx2 v[43:44], v[43:44], off offset:3584
	v_mov_b32_e32 v173, s42
.LBB1123_1010:                          ;   in Loop: Header=BB1123_974 Depth=2
	s_or_b64 exec, exec, s[40:41]
	s_waitcnt vmcnt(14)
	v_cmp_gt_i64_e32 vcc, 0, v[37:38]
	v_ashrrev_i32_e32 v69, 31, v38
	v_cndmask_b32_e64 v4, v133, 0, vcc
	v_not_b32_e32 v69, v69
	v_xor_b32_e32 v38, v4, v38
	v_xor_b32_e32 v37, v69, v37
	v_cmp_ne_u64_e32 vcc, s[72:73], v[37:38]
	v_add_u32_e32 v175, 0x410, v98
	v_cndmask_b32_e32 v70, v133, v38, vcc
	v_cndmask_b32_e32 v69, -1, v37, vcc
	v_lshrrev_b64 v[69:70], s7, v[69:70]
	v_add_u32_e32 v174, 0x418, v98
	v_and_b32_e32 v69, s96, v69
	v_and_b32_e32 v4, 1, v69
	v_add_co_u32_e32 v70, vcc, -1, v4
	v_addc_co_u32_e64 v72, s[38:39], 0, -1, vcc
	v_cmp_ne_u32_e32 vcc, 0, v4
	v_xor_b32_e32 v4, vcc_hi, v72
	v_and_b32_e32 v72, exec_hi, v4
	v_lshlrev_b32_e32 v4, 30, v69
	v_xor_b32_e32 v70, vcc_lo, v70
	v_cmp_gt_i64_e32 vcc, 0, v[3:4]
	v_not_b32_e32 v4, v4
	v_ashrrev_i32_e32 v4, 31, v4
	v_and_b32_e32 v70, exec_lo, v70
	v_xor_b32_e32 v176, vcc_hi, v4
	v_xor_b32_e32 v4, vcc_lo, v4
	v_and_b32_e32 v70, v70, v4
	v_lshlrev_b32_e32 v4, 29, v69
	v_cmp_gt_i64_e32 vcc, 0, v[3:4]
	v_not_b32_e32 v4, v4
	v_ashrrev_i32_e32 v4, 31, v4
	v_and_b32_e32 v72, v72, v176
	v_xor_b32_e32 v176, vcc_hi, v4
	v_xor_b32_e32 v4, vcc_lo, v4
	v_and_b32_e32 v70, v70, v4
	v_lshlrev_b32_e32 v4, 28, v69
	v_cmp_gt_i64_e32 vcc, 0, v[3:4]
	v_not_b32_e32 v4, v4
	v_ashrrev_i32_e32 v4, 31, v4
	v_and_b32_e32 v72, v72, v176
	;; [unrolled: 8-line block ×5, first 2 shown]
	v_xor_b32_e32 v176, vcc_hi, v4
	v_xor_b32_e32 v4, vcc_lo, v4
	v_and_b32_e32 v72, v72, v176
	v_and_b32_e32 v176, v70, v4
	v_lshlrev_b32_e32 v4, 24, v69
	v_cmp_gt_i64_e32 vcc, 0, v[3:4]
	v_not_b32_e32 v4, v4
	v_ashrrev_i32_e32 v4, 31, v4
	v_mul_u32_u24_e32 v71, 20, v69
	v_xor_b32_e32 v69, vcc_hi, v4
	v_xor_b32_e32 v4, vcc_lo, v4
	v_and_b32_e32 v70, v72, v69
	v_and_b32_e32 v69, v176, v4
	v_mbcnt_lo_u32_b32 v4, v69, 0
	v_mbcnt_hi_u32_b32 v176, v70, v4
	v_cmp_ne_u64_e32 vcc, 0, v[69:70]
	v_cmp_eq_u32_e64 s[38:39], 0, v176
	s_and_b64 s[40:41], vcc, s[38:39]
	v_add_u32_e32 v178, v172, v71
	ds_write2_b32 v175, v3, v3 offset1:1
	ds_write2_b32 v174, v3, v3 offset1:1
	ds_write_b32 v98, v3 offset:1056
	s_waitcnt vmcnt(0) lgkmcnt(0)
	s_barrier
	; wave barrier
	s_and_saveexec_b64 s[38:39], s[40:41]
; %bb.1011:                             ;   in Loop: Header=BB1123_974 Depth=2
	v_bcnt_u32_b32 v4, v69, 0
	v_bcnt_u32_b32 v4, v70, v4
	ds_write_b32 v178, v4 offset:1040
; %bb.1012:                             ;   in Loop: Header=BB1123_974 Depth=2
	s_or_b64 exec, exec, s[38:39]
	v_cmp_gt_i64_e32 vcc, 0, v[39:40]
	v_ashrrev_i32_e32 v69, 31, v40
	v_cndmask_b32_e64 v4, v133, 0, vcc
	v_not_b32_e32 v69, v69
	v_xor_b32_e32 v40, v4, v40
	v_xor_b32_e32 v39, v69, v39
	v_cmp_ne_u64_e32 vcc, s[72:73], v[39:40]
	v_cndmask_b32_e32 v70, v133, v40, vcc
	v_cndmask_b32_e32 v69, -1, v39, vcc
	v_lshrrev_b64 v[69:70], s7, v[69:70]
	; wave barrier
	v_and_b32_e32 v69, s96, v69
	v_mad_u32_u24 v4, v69, 20, v172
	ds_read_b32 v177, v4 offset:1040
	v_and_b32_e32 v4, 1, v69
	v_add_co_u32_e32 v70, vcc, -1, v4
	v_addc_co_u32_e64 v72, s[38:39], 0, -1, vcc
	v_cmp_ne_u32_e32 vcc, 0, v4
	v_xor_b32_e32 v4, vcc_hi, v72
	v_and_b32_e32 v72, exec_hi, v4
	v_lshlrev_b32_e32 v4, 30, v69
	v_xor_b32_e32 v70, vcc_lo, v70
	v_cmp_gt_i64_e32 vcc, 0, v[3:4]
	v_not_b32_e32 v4, v4
	v_ashrrev_i32_e32 v4, 31, v4
	v_and_b32_e32 v70, exec_lo, v70
	v_xor_b32_e32 v179, vcc_hi, v4
	v_xor_b32_e32 v4, vcc_lo, v4
	v_and_b32_e32 v70, v70, v4
	v_lshlrev_b32_e32 v4, 29, v69
	v_cmp_gt_i64_e32 vcc, 0, v[3:4]
	v_not_b32_e32 v4, v4
	v_ashrrev_i32_e32 v4, 31, v4
	v_and_b32_e32 v72, v72, v179
	v_xor_b32_e32 v179, vcc_hi, v4
	v_xor_b32_e32 v4, vcc_lo, v4
	v_and_b32_e32 v70, v70, v4
	v_lshlrev_b32_e32 v4, 28, v69
	v_cmp_gt_i64_e32 vcc, 0, v[3:4]
	v_not_b32_e32 v4, v4
	v_ashrrev_i32_e32 v4, 31, v4
	v_and_b32_e32 v72, v72, v179
	;; [unrolled: 8-line block ×5, first 2 shown]
	v_xor_b32_e32 v179, vcc_hi, v4
	v_xor_b32_e32 v4, vcc_lo, v4
	v_and_b32_e32 v72, v72, v179
	v_and_b32_e32 v179, v70, v4
	v_lshlrev_b32_e32 v4, 24, v69
	v_cmp_gt_i64_e32 vcc, 0, v[3:4]
	v_not_b32_e32 v4, v4
	v_ashrrev_i32_e32 v4, 31, v4
	v_mul_u32_u24_e32 v71, 20, v69
	v_xor_b32_e32 v69, vcc_hi, v4
	v_xor_b32_e32 v4, vcc_lo, v4
	v_and_b32_e32 v70, v72, v69
	v_and_b32_e32 v69, v179, v4
	v_mbcnt_lo_u32_b32 v4, v69, 0
	v_mbcnt_hi_u32_b32 v179, v70, v4
	v_cmp_ne_u64_e32 vcc, 0, v[69:70]
	v_cmp_eq_u32_e64 s[38:39], 0, v179
	s_and_b64 s[40:41], vcc, s[38:39]
	v_add_u32_e32 v181, v172, v71
	; wave barrier
	s_and_saveexec_b64 s[38:39], s[40:41]
	s_cbranch_execz .LBB1123_1014
; %bb.1013:                             ;   in Loop: Header=BB1123_974 Depth=2
	v_bcnt_u32_b32 v4, v69, 0
	v_bcnt_u32_b32 v4, v70, v4
	s_waitcnt lgkmcnt(0)
	v_add_u32_e32 v4, v177, v4
	ds_write_b32 v181, v4 offset:1040
.LBB1123_1014:                          ;   in Loop: Header=BB1123_974 Depth=2
	s_or_b64 exec, exec, s[38:39]
	v_cmp_gt_i64_e32 vcc, 0, v[45:46]
	v_ashrrev_i32_e32 v69, 31, v46
	v_cndmask_b32_e64 v4, v133, 0, vcc
	v_not_b32_e32 v69, v69
	v_xor_b32_e32 v46, v4, v46
	v_xor_b32_e32 v45, v69, v45
	v_cmp_ne_u64_e32 vcc, s[72:73], v[45:46]
	v_cndmask_b32_e32 v70, v133, v46, vcc
	v_cndmask_b32_e32 v69, -1, v45, vcc
	v_lshrrev_b64 v[69:70], s7, v[69:70]
	; wave barrier
	v_and_b32_e32 v69, s96, v69
	v_mad_u32_u24 v4, v69, 20, v172
	ds_read_b32 v180, v4 offset:1040
	v_and_b32_e32 v4, 1, v69
	v_add_co_u32_e32 v70, vcc, -1, v4
	v_addc_co_u32_e64 v72, s[38:39], 0, -1, vcc
	v_cmp_ne_u32_e32 vcc, 0, v4
	v_xor_b32_e32 v4, vcc_hi, v72
	v_and_b32_e32 v72, exec_hi, v4
	v_lshlrev_b32_e32 v4, 30, v69
	v_xor_b32_e32 v70, vcc_lo, v70
	v_cmp_gt_i64_e32 vcc, 0, v[3:4]
	v_not_b32_e32 v4, v4
	v_ashrrev_i32_e32 v4, 31, v4
	v_and_b32_e32 v70, exec_lo, v70
	v_xor_b32_e32 v182, vcc_hi, v4
	v_xor_b32_e32 v4, vcc_lo, v4
	v_and_b32_e32 v70, v70, v4
	v_lshlrev_b32_e32 v4, 29, v69
	v_cmp_gt_i64_e32 vcc, 0, v[3:4]
	v_not_b32_e32 v4, v4
	v_ashrrev_i32_e32 v4, 31, v4
	v_and_b32_e32 v72, v72, v182
	v_xor_b32_e32 v182, vcc_hi, v4
	v_xor_b32_e32 v4, vcc_lo, v4
	v_and_b32_e32 v70, v70, v4
	v_lshlrev_b32_e32 v4, 28, v69
	v_cmp_gt_i64_e32 vcc, 0, v[3:4]
	v_not_b32_e32 v4, v4
	v_ashrrev_i32_e32 v4, 31, v4
	v_and_b32_e32 v72, v72, v182
	;; [unrolled: 8-line block ×5, first 2 shown]
	v_xor_b32_e32 v182, vcc_hi, v4
	v_xor_b32_e32 v4, vcc_lo, v4
	v_and_b32_e32 v72, v72, v182
	v_and_b32_e32 v182, v70, v4
	v_lshlrev_b32_e32 v4, 24, v69
	v_cmp_gt_i64_e32 vcc, 0, v[3:4]
	v_not_b32_e32 v4, v4
	v_ashrrev_i32_e32 v4, 31, v4
	v_mul_u32_u24_e32 v71, 20, v69
	v_xor_b32_e32 v69, vcc_hi, v4
	v_xor_b32_e32 v4, vcc_lo, v4
	v_and_b32_e32 v70, v72, v69
	v_and_b32_e32 v69, v182, v4
	v_mbcnt_lo_u32_b32 v4, v69, 0
	v_mbcnt_hi_u32_b32 v182, v70, v4
	v_cmp_ne_u64_e32 vcc, 0, v[69:70]
	v_cmp_eq_u32_e64 s[38:39], 0, v182
	s_and_b64 s[40:41], vcc, s[38:39]
	v_add_u32_e32 v184, v172, v71
	; wave barrier
	s_and_saveexec_b64 s[38:39], s[40:41]
	s_cbranch_execz .LBB1123_1016
; %bb.1015:                             ;   in Loop: Header=BB1123_974 Depth=2
	v_bcnt_u32_b32 v4, v69, 0
	v_bcnt_u32_b32 v4, v70, v4
	s_waitcnt lgkmcnt(0)
	v_add_u32_e32 v4, v180, v4
	ds_write_b32 v184, v4 offset:1040
.LBB1123_1016:                          ;   in Loop: Header=BB1123_974 Depth=2
	s_or_b64 exec, exec, s[38:39]
	v_cmp_gt_i64_e32 vcc, 0, v[49:50]
	v_ashrrev_i32_e32 v69, 31, v50
	v_cndmask_b32_e64 v4, v133, 0, vcc
	v_not_b32_e32 v69, v69
	v_xor_b32_e32 v50, v4, v50
	v_xor_b32_e32 v49, v69, v49
	v_cmp_ne_u64_e32 vcc, s[72:73], v[49:50]
	v_cndmask_b32_e32 v70, v133, v50, vcc
	v_cndmask_b32_e32 v69, -1, v49, vcc
	v_lshrrev_b64 v[69:70], s7, v[69:70]
	; wave barrier
	v_and_b32_e32 v69, s96, v69
	v_mad_u32_u24 v4, v69, 20, v172
	ds_read_b32 v183, v4 offset:1040
	v_and_b32_e32 v4, 1, v69
	v_add_co_u32_e32 v70, vcc, -1, v4
	v_addc_co_u32_e64 v72, s[38:39], 0, -1, vcc
	v_cmp_ne_u32_e32 vcc, 0, v4
	v_xor_b32_e32 v4, vcc_hi, v72
	v_and_b32_e32 v72, exec_hi, v4
	v_lshlrev_b32_e32 v4, 30, v69
	v_xor_b32_e32 v70, vcc_lo, v70
	v_cmp_gt_i64_e32 vcc, 0, v[3:4]
	v_not_b32_e32 v4, v4
	v_ashrrev_i32_e32 v4, 31, v4
	v_and_b32_e32 v70, exec_lo, v70
	v_xor_b32_e32 v185, vcc_hi, v4
	v_xor_b32_e32 v4, vcc_lo, v4
	v_and_b32_e32 v70, v70, v4
	v_lshlrev_b32_e32 v4, 29, v69
	v_cmp_gt_i64_e32 vcc, 0, v[3:4]
	v_not_b32_e32 v4, v4
	v_ashrrev_i32_e32 v4, 31, v4
	v_and_b32_e32 v72, v72, v185
	v_xor_b32_e32 v185, vcc_hi, v4
	v_xor_b32_e32 v4, vcc_lo, v4
	v_and_b32_e32 v70, v70, v4
	v_lshlrev_b32_e32 v4, 28, v69
	v_cmp_gt_i64_e32 vcc, 0, v[3:4]
	v_not_b32_e32 v4, v4
	v_ashrrev_i32_e32 v4, 31, v4
	v_and_b32_e32 v72, v72, v185
	;; [unrolled: 8-line block ×5, first 2 shown]
	v_xor_b32_e32 v185, vcc_hi, v4
	v_xor_b32_e32 v4, vcc_lo, v4
	v_and_b32_e32 v72, v72, v185
	v_and_b32_e32 v185, v70, v4
	v_lshlrev_b32_e32 v4, 24, v69
	v_cmp_gt_i64_e32 vcc, 0, v[3:4]
	v_not_b32_e32 v4, v4
	v_ashrrev_i32_e32 v4, 31, v4
	v_mul_u32_u24_e32 v71, 20, v69
	v_xor_b32_e32 v69, vcc_hi, v4
	v_xor_b32_e32 v4, vcc_lo, v4
	v_and_b32_e32 v70, v72, v69
	v_and_b32_e32 v69, v185, v4
	v_mbcnt_lo_u32_b32 v4, v69, 0
	v_mbcnt_hi_u32_b32 v185, v70, v4
	v_cmp_ne_u64_e32 vcc, 0, v[69:70]
	v_cmp_eq_u32_e64 s[38:39], 0, v185
	s_and_b64 s[40:41], vcc, s[38:39]
	v_add_u32_e32 v187, v172, v71
	; wave barrier
	s_and_saveexec_b64 s[38:39], s[40:41]
	s_cbranch_execz .LBB1123_1018
; %bb.1017:                             ;   in Loop: Header=BB1123_974 Depth=2
	v_bcnt_u32_b32 v4, v69, 0
	v_bcnt_u32_b32 v4, v70, v4
	s_waitcnt lgkmcnt(0)
	v_add_u32_e32 v4, v183, v4
	ds_write_b32 v187, v4 offset:1040
.LBB1123_1018:                          ;   in Loop: Header=BB1123_974 Depth=2
	s_or_b64 exec, exec, s[38:39]
	v_cmp_gt_i64_e32 vcc, 0, v[53:54]
	v_ashrrev_i32_e32 v69, 31, v54
	v_cndmask_b32_e64 v4, v133, 0, vcc
	v_not_b32_e32 v69, v69
	v_xor_b32_e32 v54, v4, v54
	v_xor_b32_e32 v53, v69, v53
	v_cmp_ne_u64_e32 vcc, s[72:73], v[53:54]
	v_cndmask_b32_e32 v70, v133, v54, vcc
	v_cndmask_b32_e32 v69, -1, v53, vcc
	v_lshrrev_b64 v[69:70], s7, v[69:70]
	; wave barrier
	v_and_b32_e32 v69, s96, v69
	v_mad_u32_u24 v4, v69, 20, v172
	ds_read_b32 v186, v4 offset:1040
	v_and_b32_e32 v4, 1, v69
	v_add_co_u32_e32 v70, vcc, -1, v4
	v_addc_co_u32_e64 v72, s[38:39], 0, -1, vcc
	v_cmp_ne_u32_e32 vcc, 0, v4
	v_xor_b32_e32 v4, vcc_hi, v72
	v_and_b32_e32 v72, exec_hi, v4
	v_lshlrev_b32_e32 v4, 30, v69
	v_xor_b32_e32 v70, vcc_lo, v70
	v_cmp_gt_i64_e32 vcc, 0, v[3:4]
	v_not_b32_e32 v4, v4
	v_ashrrev_i32_e32 v4, 31, v4
	v_and_b32_e32 v70, exec_lo, v70
	v_xor_b32_e32 v188, vcc_hi, v4
	v_xor_b32_e32 v4, vcc_lo, v4
	v_and_b32_e32 v70, v70, v4
	v_lshlrev_b32_e32 v4, 29, v69
	v_cmp_gt_i64_e32 vcc, 0, v[3:4]
	v_not_b32_e32 v4, v4
	v_ashrrev_i32_e32 v4, 31, v4
	v_and_b32_e32 v72, v72, v188
	v_xor_b32_e32 v188, vcc_hi, v4
	v_xor_b32_e32 v4, vcc_lo, v4
	v_and_b32_e32 v70, v70, v4
	v_lshlrev_b32_e32 v4, 28, v69
	v_cmp_gt_i64_e32 vcc, 0, v[3:4]
	v_not_b32_e32 v4, v4
	v_ashrrev_i32_e32 v4, 31, v4
	v_and_b32_e32 v72, v72, v188
	;; [unrolled: 8-line block ×5, first 2 shown]
	v_xor_b32_e32 v188, vcc_hi, v4
	v_xor_b32_e32 v4, vcc_lo, v4
	v_and_b32_e32 v72, v72, v188
	v_and_b32_e32 v188, v70, v4
	v_lshlrev_b32_e32 v4, 24, v69
	v_cmp_gt_i64_e32 vcc, 0, v[3:4]
	v_not_b32_e32 v4, v4
	v_ashrrev_i32_e32 v4, 31, v4
	v_mul_u32_u24_e32 v71, 20, v69
	v_xor_b32_e32 v69, vcc_hi, v4
	v_xor_b32_e32 v4, vcc_lo, v4
	v_and_b32_e32 v70, v72, v69
	v_and_b32_e32 v69, v188, v4
	v_mbcnt_lo_u32_b32 v4, v69, 0
	v_mbcnt_hi_u32_b32 v188, v70, v4
	v_cmp_ne_u64_e32 vcc, 0, v[69:70]
	v_cmp_eq_u32_e64 s[38:39], 0, v188
	s_and_b64 s[40:41], vcc, s[38:39]
	v_add_u32_e32 v190, v172, v71
	; wave barrier
	s_and_saveexec_b64 s[38:39], s[40:41]
	s_cbranch_execz .LBB1123_1020
; %bb.1019:                             ;   in Loop: Header=BB1123_974 Depth=2
	v_bcnt_u32_b32 v4, v69, 0
	v_bcnt_u32_b32 v4, v70, v4
	s_waitcnt lgkmcnt(0)
	v_add_u32_e32 v4, v186, v4
	ds_write_b32 v190, v4 offset:1040
.LBB1123_1020:                          ;   in Loop: Header=BB1123_974 Depth=2
	s_or_b64 exec, exec, s[38:39]
	v_cmp_gt_i64_e32 vcc, 0, v[57:58]
	v_ashrrev_i32_e32 v69, 31, v58
	v_cndmask_b32_e64 v4, v133, 0, vcc
	v_not_b32_e32 v69, v69
	v_xor_b32_e32 v58, v4, v58
	v_xor_b32_e32 v57, v69, v57
	v_cmp_ne_u64_e32 vcc, s[72:73], v[57:58]
	v_cndmask_b32_e32 v70, v133, v58, vcc
	v_cndmask_b32_e32 v69, -1, v57, vcc
	v_lshrrev_b64 v[69:70], s7, v[69:70]
	; wave barrier
	v_and_b32_e32 v69, s96, v69
	v_mad_u32_u24 v4, v69, 20, v172
	ds_read_b32 v189, v4 offset:1040
	v_and_b32_e32 v4, 1, v69
	v_add_co_u32_e32 v70, vcc, -1, v4
	v_addc_co_u32_e64 v72, s[38:39], 0, -1, vcc
	v_cmp_ne_u32_e32 vcc, 0, v4
	v_xor_b32_e32 v4, vcc_hi, v72
	v_and_b32_e32 v72, exec_hi, v4
	v_lshlrev_b32_e32 v4, 30, v69
	v_xor_b32_e32 v70, vcc_lo, v70
	v_cmp_gt_i64_e32 vcc, 0, v[3:4]
	v_not_b32_e32 v4, v4
	v_ashrrev_i32_e32 v4, 31, v4
	v_and_b32_e32 v70, exec_lo, v70
	v_xor_b32_e32 v191, vcc_hi, v4
	v_xor_b32_e32 v4, vcc_lo, v4
	v_and_b32_e32 v70, v70, v4
	v_lshlrev_b32_e32 v4, 29, v69
	v_cmp_gt_i64_e32 vcc, 0, v[3:4]
	v_not_b32_e32 v4, v4
	v_ashrrev_i32_e32 v4, 31, v4
	v_and_b32_e32 v72, v72, v191
	v_xor_b32_e32 v191, vcc_hi, v4
	v_xor_b32_e32 v4, vcc_lo, v4
	v_and_b32_e32 v70, v70, v4
	v_lshlrev_b32_e32 v4, 28, v69
	v_cmp_gt_i64_e32 vcc, 0, v[3:4]
	v_not_b32_e32 v4, v4
	v_ashrrev_i32_e32 v4, 31, v4
	v_and_b32_e32 v72, v72, v191
	;; [unrolled: 8-line block ×5, first 2 shown]
	v_xor_b32_e32 v191, vcc_hi, v4
	v_xor_b32_e32 v4, vcc_lo, v4
	v_and_b32_e32 v72, v72, v191
	v_and_b32_e32 v191, v70, v4
	v_lshlrev_b32_e32 v4, 24, v69
	v_cmp_gt_i64_e32 vcc, 0, v[3:4]
	v_not_b32_e32 v4, v4
	v_ashrrev_i32_e32 v4, 31, v4
	v_mul_u32_u24_e32 v71, 20, v69
	v_xor_b32_e32 v69, vcc_hi, v4
	v_xor_b32_e32 v4, vcc_lo, v4
	v_and_b32_e32 v70, v72, v69
	v_and_b32_e32 v69, v191, v4
	v_mbcnt_lo_u32_b32 v4, v69, 0
	v_mbcnt_hi_u32_b32 v191, v70, v4
	v_cmp_ne_u64_e32 vcc, 0, v[69:70]
	v_cmp_eq_u32_e64 s[38:39], 0, v191
	s_and_b64 s[40:41], vcc, s[38:39]
	v_add_u32_e32 v193, v172, v71
	; wave barrier
	s_and_saveexec_b64 s[38:39], s[40:41]
	s_cbranch_execz .LBB1123_1022
; %bb.1021:                             ;   in Loop: Header=BB1123_974 Depth=2
	v_bcnt_u32_b32 v4, v69, 0
	v_bcnt_u32_b32 v4, v70, v4
	s_waitcnt lgkmcnt(0)
	v_add_u32_e32 v4, v189, v4
	ds_write_b32 v193, v4 offset:1040
.LBB1123_1022:                          ;   in Loop: Header=BB1123_974 Depth=2
	s_or_b64 exec, exec, s[38:39]
	v_cmp_gt_i64_e32 vcc, 0, v[63:64]
	v_ashrrev_i32_e32 v69, 31, v64
	v_cndmask_b32_e64 v4, v133, 0, vcc
	v_not_b32_e32 v69, v69
	v_xor_b32_e32 v64, v4, v64
	v_xor_b32_e32 v63, v69, v63
	v_cmp_ne_u64_e32 vcc, s[72:73], v[63:64]
	v_cndmask_b32_e32 v70, v133, v64, vcc
	v_cndmask_b32_e32 v69, -1, v63, vcc
	v_lshrrev_b64 v[69:70], s7, v[69:70]
	; wave barrier
	v_and_b32_e32 v69, s96, v69
	v_mad_u32_u24 v4, v69, 20, v172
	ds_read_b32 v192, v4 offset:1040
	v_and_b32_e32 v4, 1, v69
	v_add_co_u32_e32 v70, vcc, -1, v4
	v_addc_co_u32_e64 v72, s[38:39], 0, -1, vcc
	v_cmp_ne_u32_e32 vcc, 0, v4
	v_xor_b32_e32 v4, vcc_hi, v72
	v_and_b32_e32 v72, exec_hi, v4
	v_lshlrev_b32_e32 v4, 30, v69
	v_xor_b32_e32 v70, vcc_lo, v70
	v_cmp_gt_i64_e32 vcc, 0, v[3:4]
	v_not_b32_e32 v4, v4
	v_ashrrev_i32_e32 v4, 31, v4
	v_and_b32_e32 v70, exec_lo, v70
	v_xor_b32_e32 v194, vcc_hi, v4
	v_xor_b32_e32 v4, vcc_lo, v4
	v_and_b32_e32 v70, v70, v4
	v_lshlrev_b32_e32 v4, 29, v69
	v_cmp_gt_i64_e32 vcc, 0, v[3:4]
	v_not_b32_e32 v4, v4
	v_ashrrev_i32_e32 v4, 31, v4
	v_and_b32_e32 v72, v72, v194
	v_xor_b32_e32 v194, vcc_hi, v4
	v_xor_b32_e32 v4, vcc_lo, v4
	v_and_b32_e32 v70, v70, v4
	v_lshlrev_b32_e32 v4, 28, v69
	v_cmp_gt_i64_e32 vcc, 0, v[3:4]
	v_not_b32_e32 v4, v4
	v_ashrrev_i32_e32 v4, 31, v4
	v_and_b32_e32 v72, v72, v194
	;; [unrolled: 8-line block ×5, first 2 shown]
	v_xor_b32_e32 v194, vcc_hi, v4
	v_xor_b32_e32 v4, vcc_lo, v4
	v_and_b32_e32 v72, v72, v194
	v_and_b32_e32 v194, v70, v4
	v_lshlrev_b32_e32 v4, 24, v69
	v_cmp_gt_i64_e32 vcc, 0, v[3:4]
	v_not_b32_e32 v4, v4
	v_ashrrev_i32_e32 v4, 31, v4
	v_mul_u32_u24_e32 v71, 20, v69
	v_xor_b32_e32 v69, vcc_hi, v4
	v_xor_b32_e32 v4, vcc_lo, v4
	v_and_b32_e32 v70, v72, v69
	v_and_b32_e32 v69, v194, v4
	v_mbcnt_lo_u32_b32 v4, v69, 0
	v_mbcnt_hi_u32_b32 v194, v70, v4
	v_cmp_ne_u64_e32 vcc, 0, v[69:70]
	v_cmp_eq_u32_e64 s[38:39], 0, v194
	s_and_b64 s[40:41], vcc, s[38:39]
	v_add_u32_e32 v196, v172, v71
	; wave barrier
	s_and_saveexec_b64 s[38:39], s[40:41]
	s_cbranch_execz .LBB1123_1024
; %bb.1023:                             ;   in Loop: Header=BB1123_974 Depth=2
	v_bcnt_u32_b32 v4, v69, 0
	v_bcnt_u32_b32 v4, v70, v4
	s_waitcnt lgkmcnt(0)
	v_add_u32_e32 v4, v192, v4
	ds_write_b32 v196, v4 offset:1040
.LBB1123_1024:                          ;   in Loop: Header=BB1123_974 Depth=2
	s_or_b64 exec, exec, s[38:39]
	v_cmp_gt_i64_e32 vcc, 0, v[65:66]
	v_ashrrev_i32_e32 v69, 31, v66
	v_cndmask_b32_e64 v4, v133, 0, vcc
	v_not_b32_e32 v69, v69
	v_xor_b32_e32 v66, v4, v66
	v_xor_b32_e32 v65, v69, v65
	v_cmp_ne_u64_e32 vcc, s[72:73], v[65:66]
	v_cndmask_b32_e32 v70, v133, v66, vcc
	v_cndmask_b32_e32 v69, -1, v65, vcc
	v_lshrrev_b64 v[69:70], s7, v[69:70]
	; wave barrier
	v_and_b32_e32 v69, s96, v69
	v_mad_u32_u24 v4, v69, 20, v172
	ds_read_b32 v195, v4 offset:1040
	v_and_b32_e32 v4, 1, v69
	v_add_co_u32_e32 v70, vcc, -1, v4
	v_addc_co_u32_e64 v72, s[38:39], 0, -1, vcc
	v_cmp_ne_u32_e32 vcc, 0, v4
	v_xor_b32_e32 v4, vcc_hi, v72
	v_and_b32_e32 v72, exec_hi, v4
	v_lshlrev_b32_e32 v4, 30, v69
	v_xor_b32_e32 v70, vcc_lo, v70
	v_cmp_gt_i64_e32 vcc, 0, v[3:4]
	v_not_b32_e32 v4, v4
	v_ashrrev_i32_e32 v4, 31, v4
	v_and_b32_e32 v70, exec_lo, v70
	v_xor_b32_e32 v197, vcc_hi, v4
	v_xor_b32_e32 v4, vcc_lo, v4
	v_and_b32_e32 v70, v70, v4
	v_lshlrev_b32_e32 v4, 29, v69
	v_cmp_gt_i64_e32 vcc, 0, v[3:4]
	v_not_b32_e32 v4, v4
	v_ashrrev_i32_e32 v4, 31, v4
	v_and_b32_e32 v72, v72, v197
	v_xor_b32_e32 v197, vcc_hi, v4
	v_xor_b32_e32 v4, vcc_lo, v4
	v_and_b32_e32 v70, v70, v4
	v_lshlrev_b32_e32 v4, 28, v69
	v_cmp_gt_i64_e32 vcc, 0, v[3:4]
	v_not_b32_e32 v4, v4
	v_ashrrev_i32_e32 v4, 31, v4
	v_and_b32_e32 v72, v72, v197
	;; [unrolled: 8-line block ×5, first 2 shown]
	v_xor_b32_e32 v197, vcc_hi, v4
	v_xor_b32_e32 v4, vcc_lo, v4
	v_and_b32_e32 v72, v72, v197
	v_and_b32_e32 v197, v70, v4
	v_lshlrev_b32_e32 v4, 24, v69
	v_cmp_gt_i64_e32 vcc, 0, v[3:4]
	v_not_b32_e32 v4, v4
	v_ashrrev_i32_e32 v4, 31, v4
	v_mul_u32_u24_e32 v71, 20, v69
	v_xor_b32_e32 v69, vcc_hi, v4
	v_xor_b32_e32 v4, vcc_lo, v4
	v_and_b32_e32 v70, v72, v69
	v_and_b32_e32 v69, v197, v4
	v_mbcnt_lo_u32_b32 v4, v69, 0
	v_mbcnt_hi_u32_b32 v197, v70, v4
	v_cmp_ne_u64_e32 vcc, 0, v[69:70]
	v_cmp_eq_u32_e64 s[38:39], 0, v197
	s_and_b64 s[40:41], vcc, s[38:39]
	v_add_u32_e32 v199, v172, v71
	; wave barrier
	s_and_saveexec_b64 s[38:39], s[40:41]
	s_cbranch_execz .LBB1123_1026
; %bb.1025:                             ;   in Loop: Header=BB1123_974 Depth=2
	v_bcnt_u32_b32 v4, v69, 0
	v_bcnt_u32_b32 v4, v70, v4
	s_waitcnt lgkmcnt(0)
	v_add_u32_e32 v4, v195, v4
	ds_write_b32 v199, v4 offset:1040
.LBB1123_1026:                          ;   in Loop: Header=BB1123_974 Depth=2
	s_or_b64 exec, exec, s[38:39]
	v_cmp_gt_i64_e32 vcc, 0, v[67:68]
	v_ashrrev_i32_e32 v69, 31, v68
	v_cndmask_b32_e64 v4, v133, 0, vcc
	v_not_b32_e32 v69, v69
	v_xor_b32_e32 v68, v4, v68
	v_xor_b32_e32 v67, v69, v67
	v_cmp_ne_u64_e32 vcc, s[72:73], v[67:68]
	v_cndmask_b32_e32 v70, v133, v68, vcc
	v_cndmask_b32_e32 v69, -1, v67, vcc
	v_lshrrev_b64 v[69:70], s7, v[69:70]
	; wave barrier
	v_and_b32_e32 v69, s96, v69
	v_mad_u32_u24 v4, v69, 20, v172
	ds_read_b32 v198, v4 offset:1040
	v_and_b32_e32 v4, 1, v69
	v_add_co_u32_e32 v70, vcc, -1, v4
	v_addc_co_u32_e64 v72, s[38:39], 0, -1, vcc
	v_cmp_ne_u32_e32 vcc, 0, v4
	v_xor_b32_e32 v4, vcc_hi, v72
	v_and_b32_e32 v72, exec_hi, v4
	v_lshlrev_b32_e32 v4, 30, v69
	v_xor_b32_e32 v70, vcc_lo, v70
	v_cmp_gt_i64_e32 vcc, 0, v[3:4]
	v_not_b32_e32 v4, v4
	v_ashrrev_i32_e32 v4, 31, v4
	v_and_b32_e32 v70, exec_lo, v70
	v_xor_b32_e32 v200, vcc_hi, v4
	v_xor_b32_e32 v4, vcc_lo, v4
	v_and_b32_e32 v70, v70, v4
	v_lshlrev_b32_e32 v4, 29, v69
	v_cmp_gt_i64_e32 vcc, 0, v[3:4]
	v_not_b32_e32 v4, v4
	v_ashrrev_i32_e32 v4, 31, v4
	v_and_b32_e32 v72, v72, v200
	v_xor_b32_e32 v200, vcc_hi, v4
	v_xor_b32_e32 v4, vcc_lo, v4
	v_and_b32_e32 v70, v70, v4
	v_lshlrev_b32_e32 v4, 28, v69
	v_cmp_gt_i64_e32 vcc, 0, v[3:4]
	v_not_b32_e32 v4, v4
	v_ashrrev_i32_e32 v4, 31, v4
	v_and_b32_e32 v72, v72, v200
	;; [unrolled: 8-line block ×5, first 2 shown]
	v_xor_b32_e32 v200, vcc_hi, v4
	v_xor_b32_e32 v4, vcc_lo, v4
	v_and_b32_e32 v72, v72, v200
	v_and_b32_e32 v200, v70, v4
	v_lshlrev_b32_e32 v4, 24, v69
	v_cmp_gt_i64_e32 vcc, 0, v[3:4]
	v_not_b32_e32 v4, v4
	v_ashrrev_i32_e32 v4, 31, v4
	v_mul_u32_u24_e32 v71, 20, v69
	v_xor_b32_e32 v69, vcc_hi, v4
	v_xor_b32_e32 v4, vcc_lo, v4
	v_and_b32_e32 v70, v72, v69
	v_and_b32_e32 v69, v200, v4
	v_mbcnt_lo_u32_b32 v4, v69, 0
	v_mbcnt_hi_u32_b32 v200, v70, v4
	v_cmp_ne_u64_e32 vcc, 0, v[69:70]
	v_cmp_eq_u32_e64 s[38:39], 0, v200
	s_and_b64 s[40:41], vcc, s[38:39]
	v_add_u32_e32 v202, v172, v71
	; wave barrier
	s_and_saveexec_b64 s[38:39], s[40:41]
	s_cbranch_execz .LBB1123_1028
; %bb.1027:                             ;   in Loop: Header=BB1123_974 Depth=2
	v_bcnt_u32_b32 v4, v69, 0
	v_bcnt_u32_b32 v4, v70, v4
	s_waitcnt lgkmcnt(0)
	v_add_u32_e32 v4, v198, v4
	ds_write_b32 v202, v4 offset:1040
.LBB1123_1028:                          ;   in Loop: Header=BB1123_974 Depth=2
	s_or_b64 exec, exec, s[38:39]
	v_cmp_gt_i64_e32 vcc, 0, v[61:62]
	v_ashrrev_i32_e32 v69, 31, v62
	v_cndmask_b32_e64 v4, v133, 0, vcc
	v_not_b32_e32 v69, v69
	v_xor_b32_e32 v62, v4, v62
	v_xor_b32_e32 v61, v69, v61
	v_cmp_ne_u64_e32 vcc, s[72:73], v[61:62]
	v_cndmask_b32_e32 v70, v133, v62, vcc
	v_cndmask_b32_e32 v69, -1, v61, vcc
	v_lshrrev_b64 v[69:70], s7, v[69:70]
	; wave barrier
	v_and_b32_e32 v69, s96, v69
	v_mad_u32_u24 v4, v69, 20, v172
	ds_read_b32 v201, v4 offset:1040
	v_and_b32_e32 v4, 1, v69
	v_add_co_u32_e32 v70, vcc, -1, v4
	v_addc_co_u32_e64 v72, s[38:39], 0, -1, vcc
	v_cmp_ne_u32_e32 vcc, 0, v4
	v_xor_b32_e32 v4, vcc_hi, v72
	v_and_b32_e32 v72, exec_hi, v4
	v_lshlrev_b32_e32 v4, 30, v69
	v_xor_b32_e32 v70, vcc_lo, v70
	v_cmp_gt_i64_e32 vcc, 0, v[3:4]
	v_not_b32_e32 v4, v4
	v_ashrrev_i32_e32 v4, 31, v4
	v_and_b32_e32 v70, exec_lo, v70
	v_xor_b32_e32 v203, vcc_hi, v4
	v_xor_b32_e32 v4, vcc_lo, v4
	v_and_b32_e32 v70, v70, v4
	v_lshlrev_b32_e32 v4, 29, v69
	v_cmp_gt_i64_e32 vcc, 0, v[3:4]
	v_not_b32_e32 v4, v4
	v_ashrrev_i32_e32 v4, 31, v4
	v_and_b32_e32 v72, v72, v203
	v_xor_b32_e32 v203, vcc_hi, v4
	v_xor_b32_e32 v4, vcc_lo, v4
	v_and_b32_e32 v70, v70, v4
	v_lshlrev_b32_e32 v4, 28, v69
	v_cmp_gt_i64_e32 vcc, 0, v[3:4]
	v_not_b32_e32 v4, v4
	v_ashrrev_i32_e32 v4, 31, v4
	v_and_b32_e32 v72, v72, v203
	;; [unrolled: 8-line block ×5, first 2 shown]
	v_xor_b32_e32 v203, vcc_hi, v4
	v_xor_b32_e32 v4, vcc_lo, v4
	v_and_b32_e32 v72, v72, v203
	v_and_b32_e32 v203, v70, v4
	v_lshlrev_b32_e32 v4, 24, v69
	v_cmp_gt_i64_e32 vcc, 0, v[3:4]
	v_not_b32_e32 v4, v4
	v_ashrrev_i32_e32 v4, 31, v4
	v_mul_u32_u24_e32 v71, 20, v69
	v_xor_b32_e32 v69, vcc_hi, v4
	v_xor_b32_e32 v4, vcc_lo, v4
	v_and_b32_e32 v70, v72, v69
	v_and_b32_e32 v69, v203, v4
	v_mbcnt_lo_u32_b32 v4, v69, 0
	v_mbcnt_hi_u32_b32 v203, v70, v4
	v_cmp_ne_u64_e32 vcc, 0, v[69:70]
	v_cmp_eq_u32_e64 s[38:39], 0, v203
	s_and_b64 s[40:41], vcc, s[38:39]
	v_add_u32_e32 v205, v172, v71
	; wave barrier
	s_and_saveexec_b64 s[38:39], s[40:41]
	s_cbranch_execz .LBB1123_1030
; %bb.1029:                             ;   in Loop: Header=BB1123_974 Depth=2
	v_bcnt_u32_b32 v4, v69, 0
	v_bcnt_u32_b32 v4, v70, v4
	s_waitcnt lgkmcnt(0)
	v_add_u32_e32 v4, v201, v4
	ds_write_b32 v205, v4 offset:1040
.LBB1123_1030:                          ;   in Loop: Header=BB1123_974 Depth=2
	s_or_b64 exec, exec, s[38:39]
	v_cmp_gt_i64_e32 vcc, 0, v[59:60]
	v_ashrrev_i32_e32 v69, 31, v60
	v_cndmask_b32_e64 v4, v133, 0, vcc
	v_not_b32_e32 v69, v69
	v_xor_b32_e32 v60, v4, v60
	v_xor_b32_e32 v59, v69, v59
	v_cmp_ne_u64_e32 vcc, s[72:73], v[59:60]
	v_cndmask_b32_e32 v70, v133, v60, vcc
	v_cndmask_b32_e32 v69, -1, v59, vcc
	v_lshrrev_b64 v[69:70], s7, v[69:70]
	; wave barrier
	v_and_b32_e32 v69, s96, v69
	v_mad_u32_u24 v4, v69, 20, v172
	ds_read_b32 v204, v4 offset:1040
	v_and_b32_e32 v4, 1, v69
	v_add_co_u32_e32 v70, vcc, -1, v4
	v_addc_co_u32_e64 v72, s[38:39], 0, -1, vcc
	v_cmp_ne_u32_e32 vcc, 0, v4
	v_xor_b32_e32 v4, vcc_hi, v72
	v_and_b32_e32 v72, exec_hi, v4
	v_lshlrev_b32_e32 v4, 30, v69
	v_xor_b32_e32 v70, vcc_lo, v70
	v_cmp_gt_i64_e32 vcc, 0, v[3:4]
	v_not_b32_e32 v4, v4
	v_ashrrev_i32_e32 v4, 31, v4
	v_and_b32_e32 v70, exec_lo, v70
	v_xor_b32_e32 v206, vcc_hi, v4
	v_xor_b32_e32 v4, vcc_lo, v4
	v_and_b32_e32 v70, v70, v4
	v_lshlrev_b32_e32 v4, 29, v69
	v_cmp_gt_i64_e32 vcc, 0, v[3:4]
	v_not_b32_e32 v4, v4
	v_ashrrev_i32_e32 v4, 31, v4
	v_and_b32_e32 v72, v72, v206
	v_xor_b32_e32 v206, vcc_hi, v4
	v_xor_b32_e32 v4, vcc_lo, v4
	v_and_b32_e32 v70, v70, v4
	v_lshlrev_b32_e32 v4, 28, v69
	v_cmp_gt_i64_e32 vcc, 0, v[3:4]
	v_not_b32_e32 v4, v4
	v_ashrrev_i32_e32 v4, 31, v4
	v_and_b32_e32 v72, v72, v206
	;; [unrolled: 8-line block ×5, first 2 shown]
	v_xor_b32_e32 v206, vcc_hi, v4
	v_xor_b32_e32 v4, vcc_lo, v4
	v_and_b32_e32 v72, v72, v206
	v_and_b32_e32 v206, v70, v4
	v_lshlrev_b32_e32 v4, 24, v69
	v_cmp_gt_i64_e32 vcc, 0, v[3:4]
	v_not_b32_e32 v4, v4
	v_ashrrev_i32_e32 v4, 31, v4
	v_mul_u32_u24_e32 v71, 20, v69
	v_xor_b32_e32 v69, vcc_hi, v4
	v_xor_b32_e32 v4, vcc_lo, v4
	v_and_b32_e32 v70, v72, v69
	v_and_b32_e32 v69, v206, v4
	v_mbcnt_lo_u32_b32 v4, v69, 0
	v_mbcnt_hi_u32_b32 v206, v70, v4
	v_cmp_ne_u64_e32 vcc, 0, v[69:70]
	v_cmp_eq_u32_e64 s[38:39], 0, v206
	s_and_b64 s[40:41], vcc, s[38:39]
	v_add_u32_e32 v208, v172, v71
	; wave barrier
	s_and_saveexec_b64 s[38:39], s[40:41]
	s_cbranch_execz .LBB1123_1032
; %bb.1031:                             ;   in Loop: Header=BB1123_974 Depth=2
	v_bcnt_u32_b32 v4, v69, 0
	v_bcnt_u32_b32 v4, v70, v4
	s_waitcnt lgkmcnt(0)
	v_add_u32_e32 v4, v204, v4
	ds_write_b32 v208, v4 offset:1040
.LBB1123_1032:                          ;   in Loop: Header=BB1123_974 Depth=2
	s_or_b64 exec, exec, s[38:39]
	v_cmp_gt_i64_e32 vcc, 0, v[55:56]
	v_ashrrev_i32_e32 v69, 31, v56
	v_cndmask_b32_e64 v4, v133, 0, vcc
	v_not_b32_e32 v69, v69
	v_xor_b32_e32 v56, v4, v56
	v_xor_b32_e32 v55, v69, v55
	v_cmp_ne_u64_e32 vcc, s[72:73], v[55:56]
	v_cndmask_b32_e32 v70, v133, v56, vcc
	v_cndmask_b32_e32 v69, -1, v55, vcc
	v_lshrrev_b64 v[69:70], s7, v[69:70]
	; wave barrier
	v_and_b32_e32 v69, s96, v69
	v_mad_u32_u24 v4, v69, 20, v172
	ds_read_b32 v207, v4 offset:1040
	v_and_b32_e32 v4, 1, v69
	v_add_co_u32_e32 v70, vcc, -1, v4
	v_addc_co_u32_e64 v72, s[38:39], 0, -1, vcc
	v_cmp_ne_u32_e32 vcc, 0, v4
	v_xor_b32_e32 v4, vcc_hi, v72
	v_and_b32_e32 v72, exec_hi, v4
	v_lshlrev_b32_e32 v4, 30, v69
	v_xor_b32_e32 v70, vcc_lo, v70
	v_cmp_gt_i64_e32 vcc, 0, v[3:4]
	v_not_b32_e32 v4, v4
	v_ashrrev_i32_e32 v4, 31, v4
	v_and_b32_e32 v70, exec_lo, v70
	v_xor_b32_e32 v209, vcc_hi, v4
	v_xor_b32_e32 v4, vcc_lo, v4
	v_and_b32_e32 v70, v70, v4
	v_lshlrev_b32_e32 v4, 29, v69
	v_cmp_gt_i64_e32 vcc, 0, v[3:4]
	v_not_b32_e32 v4, v4
	v_ashrrev_i32_e32 v4, 31, v4
	v_and_b32_e32 v72, v72, v209
	v_xor_b32_e32 v209, vcc_hi, v4
	v_xor_b32_e32 v4, vcc_lo, v4
	v_and_b32_e32 v70, v70, v4
	v_lshlrev_b32_e32 v4, 28, v69
	v_cmp_gt_i64_e32 vcc, 0, v[3:4]
	v_not_b32_e32 v4, v4
	v_ashrrev_i32_e32 v4, 31, v4
	v_and_b32_e32 v72, v72, v209
	v_xor_b32_e32 v209, vcc_hi, v4
	v_xor_b32_e32 v4, vcc_lo, v4
	v_and_b32_e32 v70, v70, v4
	v_lshlrev_b32_e32 v4, 27, v69
	v_cmp_gt_i64_e32 vcc, 0, v[3:4]
	v_not_b32_e32 v4, v4
	v_ashrrev_i32_e32 v4, 31, v4
	v_and_b32_e32 v72, v72, v209
	v_xor_b32_e32 v209, vcc_hi, v4
	v_xor_b32_e32 v4, vcc_lo, v4
	v_and_b32_e32 v70, v70, v4
	v_lshlrev_b32_e32 v4, 26, v69
	v_cmp_gt_i64_e32 vcc, 0, v[3:4]
	v_not_b32_e32 v4, v4
	v_ashrrev_i32_e32 v4, 31, v4
	v_and_b32_e32 v72, v72, v209
	v_xor_b32_e32 v209, vcc_hi, v4
	v_xor_b32_e32 v4, vcc_lo, v4
	v_and_b32_e32 v70, v70, v4
	v_lshlrev_b32_e32 v4, 25, v69
	v_cmp_gt_i64_e32 vcc, 0, v[3:4]
	v_not_b32_e32 v4, v4
	v_ashrrev_i32_e32 v4, 31, v4
	v_and_b32_e32 v72, v72, v209
	v_xor_b32_e32 v209, vcc_hi, v4
	v_xor_b32_e32 v4, vcc_lo, v4
	v_and_b32_e32 v72, v72, v209
	v_and_b32_e32 v209, v70, v4
	v_lshlrev_b32_e32 v4, 24, v69
	v_cmp_gt_i64_e32 vcc, 0, v[3:4]
	v_not_b32_e32 v4, v4
	v_ashrrev_i32_e32 v4, 31, v4
	v_mul_u32_u24_e32 v71, 20, v69
	v_xor_b32_e32 v69, vcc_hi, v4
	v_xor_b32_e32 v4, vcc_lo, v4
	v_and_b32_e32 v70, v72, v69
	v_and_b32_e32 v69, v209, v4
	v_mbcnt_lo_u32_b32 v4, v69, 0
	v_mbcnt_hi_u32_b32 v209, v70, v4
	v_cmp_ne_u64_e32 vcc, 0, v[69:70]
	v_cmp_eq_u32_e64 s[38:39], 0, v209
	s_and_b64 s[40:41], vcc, s[38:39]
	v_add_u32_e32 v211, v172, v71
	; wave barrier
	s_and_saveexec_b64 s[38:39], s[40:41]
	s_cbranch_execz .LBB1123_1034
; %bb.1033:                             ;   in Loop: Header=BB1123_974 Depth=2
	v_bcnt_u32_b32 v4, v69, 0
	v_bcnt_u32_b32 v4, v70, v4
	s_waitcnt lgkmcnt(0)
	v_add_u32_e32 v4, v207, v4
	ds_write_b32 v211, v4 offset:1040
.LBB1123_1034:                          ;   in Loop: Header=BB1123_974 Depth=2
	s_or_b64 exec, exec, s[38:39]
	v_cmp_gt_i64_e32 vcc, 0, v[51:52]
	v_ashrrev_i32_e32 v69, 31, v52
	v_cndmask_b32_e64 v4, v133, 0, vcc
	v_not_b32_e32 v69, v69
	v_xor_b32_e32 v52, v4, v52
	v_xor_b32_e32 v51, v69, v51
	v_cmp_ne_u64_e32 vcc, s[72:73], v[51:52]
	v_cndmask_b32_e32 v70, v133, v52, vcc
	v_cndmask_b32_e32 v69, -1, v51, vcc
	v_lshrrev_b64 v[69:70], s7, v[69:70]
	; wave barrier
	v_and_b32_e32 v69, s96, v69
	v_mad_u32_u24 v4, v69, 20, v172
	ds_read_b32 v210, v4 offset:1040
	v_and_b32_e32 v4, 1, v69
	v_add_co_u32_e32 v70, vcc, -1, v4
	v_addc_co_u32_e64 v72, s[38:39], 0, -1, vcc
	v_cmp_ne_u32_e32 vcc, 0, v4
	v_xor_b32_e32 v4, vcc_hi, v72
	v_and_b32_e32 v72, exec_hi, v4
	v_lshlrev_b32_e32 v4, 30, v69
	v_xor_b32_e32 v70, vcc_lo, v70
	v_cmp_gt_i64_e32 vcc, 0, v[3:4]
	v_not_b32_e32 v4, v4
	v_ashrrev_i32_e32 v4, 31, v4
	v_and_b32_e32 v70, exec_lo, v70
	v_xor_b32_e32 v212, vcc_hi, v4
	v_xor_b32_e32 v4, vcc_lo, v4
	v_and_b32_e32 v70, v70, v4
	v_lshlrev_b32_e32 v4, 29, v69
	v_cmp_gt_i64_e32 vcc, 0, v[3:4]
	v_not_b32_e32 v4, v4
	v_ashrrev_i32_e32 v4, 31, v4
	v_and_b32_e32 v72, v72, v212
	v_xor_b32_e32 v212, vcc_hi, v4
	v_xor_b32_e32 v4, vcc_lo, v4
	v_and_b32_e32 v70, v70, v4
	v_lshlrev_b32_e32 v4, 28, v69
	v_cmp_gt_i64_e32 vcc, 0, v[3:4]
	v_not_b32_e32 v4, v4
	v_ashrrev_i32_e32 v4, 31, v4
	v_and_b32_e32 v72, v72, v212
	v_xor_b32_e32 v212, vcc_hi, v4
	v_xor_b32_e32 v4, vcc_lo, v4
	v_and_b32_e32 v70, v70, v4
	v_lshlrev_b32_e32 v4, 27, v69
	v_cmp_gt_i64_e32 vcc, 0, v[3:4]
	v_not_b32_e32 v4, v4
	v_ashrrev_i32_e32 v4, 31, v4
	v_and_b32_e32 v72, v72, v212
	v_xor_b32_e32 v212, vcc_hi, v4
	v_xor_b32_e32 v4, vcc_lo, v4
	v_and_b32_e32 v70, v70, v4
	v_lshlrev_b32_e32 v4, 26, v69
	v_cmp_gt_i64_e32 vcc, 0, v[3:4]
	v_not_b32_e32 v4, v4
	v_ashrrev_i32_e32 v4, 31, v4
	v_and_b32_e32 v72, v72, v212
	v_xor_b32_e32 v212, vcc_hi, v4
	v_xor_b32_e32 v4, vcc_lo, v4
	v_and_b32_e32 v70, v70, v4
	v_lshlrev_b32_e32 v4, 25, v69
	v_cmp_gt_i64_e32 vcc, 0, v[3:4]
	v_not_b32_e32 v4, v4
	v_ashrrev_i32_e32 v4, 31, v4
	v_and_b32_e32 v72, v72, v212
	v_xor_b32_e32 v212, vcc_hi, v4
	v_xor_b32_e32 v4, vcc_lo, v4
	v_and_b32_e32 v72, v72, v212
	v_and_b32_e32 v212, v70, v4
	v_lshlrev_b32_e32 v4, 24, v69
	v_cmp_gt_i64_e32 vcc, 0, v[3:4]
	v_not_b32_e32 v4, v4
	v_ashrrev_i32_e32 v4, 31, v4
	v_mul_u32_u24_e32 v71, 20, v69
	v_xor_b32_e32 v69, vcc_hi, v4
	v_xor_b32_e32 v4, vcc_lo, v4
	v_and_b32_e32 v70, v72, v69
	v_and_b32_e32 v69, v212, v4
	v_mbcnt_lo_u32_b32 v4, v69, 0
	v_mbcnt_hi_u32_b32 v212, v70, v4
	v_cmp_ne_u64_e32 vcc, 0, v[69:70]
	v_cmp_eq_u32_e64 s[38:39], 0, v212
	s_and_b64 s[40:41], vcc, s[38:39]
	v_add_u32_e32 v214, v172, v71
	; wave barrier
	s_and_saveexec_b64 s[38:39], s[40:41]
	s_cbranch_execz .LBB1123_1036
; %bb.1035:                             ;   in Loop: Header=BB1123_974 Depth=2
	v_bcnt_u32_b32 v4, v69, 0
	v_bcnt_u32_b32 v4, v70, v4
	s_waitcnt lgkmcnt(0)
	v_add_u32_e32 v4, v210, v4
	ds_write_b32 v214, v4 offset:1040
.LBB1123_1036:                          ;   in Loop: Header=BB1123_974 Depth=2
	s_or_b64 exec, exec, s[38:39]
	v_cmp_gt_i64_e32 vcc, 0, v[47:48]
	v_ashrrev_i32_e32 v69, 31, v48
	v_cndmask_b32_e64 v4, v133, 0, vcc
	v_not_b32_e32 v69, v69
	v_xor_b32_e32 v48, v4, v48
	v_xor_b32_e32 v47, v69, v47
	v_cmp_ne_u64_e32 vcc, s[72:73], v[47:48]
	v_cndmask_b32_e32 v70, v133, v48, vcc
	v_cndmask_b32_e32 v69, -1, v47, vcc
	v_lshrrev_b64 v[69:70], s7, v[69:70]
	; wave barrier
	v_and_b32_e32 v69, s96, v69
	v_mad_u32_u24 v4, v69, 20, v172
	ds_read_b32 v213, v4 offset:1040
	v_and_b32_e32 v4, 1, v69
	v_add_co_u32_e32 v70, vcc, -1, v4
	v_addc_co_u32_e64 v72, s[38:39], 0, -1, vcc
	v_cmp_ne_u32_e32 vcc, 0, v4
	v_xor_b32_e32 v4, vcc_hi, v72
	v_and_b32_e32 v72, exec_hi, v4
	v_lshlrev_b32_e32 v4, 30, v69
	v_xor_b32_e32 v70, vcc_lo, v70
	v_cmp_gt_i64_e32 vcc, 0, v[3:4]
	v_not_b32_e32 v4, v4
	v_ashrrev_i32_e32 v4, 31, v4
	v_and_b32_e32 v70, exec_lo, v70
	v_xor_b32_e32 v215, vcc_hi, v4
	v_xor_b32_e32 v4, vcc_lo, v4
	v_and_b32_e32 v70, v70, v4
	v_lshlrev_b32_e32 v4, 29, v69
	v_cmp_gt_i64_e32 vcc, 0, v[3:4]
	v_not_b32_e32 v4, v4
	v_ashrrev_i32_e32 v4, 31, v4
	v_and_b32_e32 v72, v72, v215
	v_xor_b32_e32 v215, vcc_hi, v4
	v_xor_b32_e32 v4, vcc_lo, v4
	v_and_b32_e32 v70, v70, v4
	v_lshlrev_b32_e32 v4, 28, v69
	v_cmp_gt_i64_e32 vcc, 0, v[3:4]
	v_not_b32_e32 v4, v4
	v_ashrrev_i32_e32 v4, 31, v4
	v_and_b32_e32 v72, v72, v215
	;; [unrolled: 8-line block ×5, first 2 shown]
	v_xor_b32_e32 v215, vcc_hi, v4
	v_xor_b32_e32 v4, vcc_lo, v4
	v_and_b32_e32 v72, v72, v215
	v_and_b32_e32 v215, v70, v4
	v_lshlrev_b32_e32 v4, 24, v69
	v_cmp_gt_i64_e32 vcc, 0, v[3:4]
	v_not_b32_e32 v4, v4
	v_ashrrev_i32_e32 v4, 31, v4
	v_mul_u32_u24_e32 v71, 20, v69
	v_xor_b32_e32 v69, vcc_hi, v4
	v_xor_b32_e32 v4, vcc_lo, v4
	v_and_b32_e32 v70, v72, v69
	v_and_b32_e32 v69, v215, v4
	v_mbcnt_lo_u32_b32 v4, v69, 0
	v_mbcnt_hi_u32_b32 v215, v70, v4
	v_cmp_ne_u64_e32 vcc, 0, v[69:70]
	v_cmp_eq_u32_e64 s[38:39], 0, v215
	s_and_b64 s[40:41], vcc, s[38:39]
	v_add_u32_e32 v217, v172, v71
	; wave barrier
	s_and_saveexec_b64 s[38:39], s[40:41]
	s_cbranch_execz .LBB1123_1038
; %bb.1037:                             ;   in Loop: Header=BB1123_974 Depth=2
	v_bcnt_u32_b32 v4, v69, 0
	v_bcnt_u32_b32 v4, v70, v4
	s_waitcnt lgkmcnt(0)
	v_add_u32_e32 v4, v213, v4
	ds_write_b32 v217, v4 offset:1040
.LBB1123_1038:                          ;   in Loop: Header=BB1123_974 Depth=2
	s_or_b64 exec, exec, s[38:39]
	v_cmp_gt_i64_e32 vcc, 0, v[41:42]
	v_ashrrev_i32_e32 v69, 31, v42
	v_cndmask_b32_e64 v4, v133, 0, vcc
	v_not_b32_e32 v69, v69
	v_xor_b32_e32 v42, v4, v42
	v_xor_b32_e32 v41, v69, v41
	v_cmp_ne_u64_e32 vcc, s[72:73], v[41:42]
	v_cndmask_b32_e32 v70, v133, v42, vcc
	v_cndmask_b32_e32 v69, -1, v41, vcc
	v_lshrrev_b64 v[69:70], s7, v[69:70]
	; wave barrier
	v_and_b32_e32 v69, s96, v69
	v_mad_u32_u24 v4, v69, 20, v172
	ds_read_b32 v216, v4 offset:1040
	v_and_b32_e32 v4, 1, v69
	v_add_co_u32_e32 v70, vcc, -1, v4
	v_addc_co_u32_e64 v72, s[38:39], 0, -1, vcc
	v_cmp_ne_u32_e32 vcc, 0, v4
	v_xor_b32_e32 v4, vcc_hi, v72
	v_and_b32_e32 v72, exec_hi, v4
	v_lshlrev_b32_e32 v4, 30, v69
	v_xor_b32_e32 v70, vcc_lo, v70
	v_cmp_gt_i64_e32 vcc, 0, v[3:4]
	v_not_b32_e32 v4, v4
	v_ashrrev_i32_e32 v4, 31, v4
	v_and_b32_e32 v70, exec_lo, v70
	v_xor_b32_e32 v218, vcc_hi, v4
	v_xor_b32_e32 v4, vcc_lo, v4
	v_and_b32_e32 v70, v70, v4
	v_lshlrev_b32_e32 v4, 29, v69
	v_cmp_gt_i64_e32 vcc, 0, v[3:4]
	v_not_b32_e32 v4, v4
	v_ashrrev_i32_e32 v4, 31, v4
	v_and_b32_e32 v72, v72, v218
	v_xor_b32_e32 v218, vcc_hi, v4
	v_xor_b32_e32 v4, vcc_lo, v4
	v_and_b32_e32 v70, v70, v4
	v_lshlrev_b32_e32 v4, 28, v69
	v_cmp_gt_i64_e32 vcc, 0, v[3:4]
	v_not_b32_e32 v4, v4
	v_ashrrev_i32_e32 v4, 31, v4
	v_and_b32_e32 v72, v72, v218
	;; [unrolled: 8-line block ×5, first 2 shown]
	v_xor_b32_e32 v218, vcc_hi, v4
	v_xor_b32_e32 v4, vcc_lo, v4
	v_and_b32_e32 v72, v72, v218
	v_and_b32_e32 v218, v70, v4
	v_lshlrev_b32_e32 v4, 24, v69
	v_cmp_gt_i64_e32 vcc, 0, v[3:4]
	v_not_b32_e32 v4, v4
	v_ashrrev_i32_e32 v4, 31, v4
	v_mul_u32_u24_e32 v71, 20, v69
	v_xor_b32_e32 v69, vcc_hi, v4
	v_xor_b32_e32 v4, vcc_lo, v4
	v_and_b32_e32 v70, v72, v69
	v_and_b32_e32 v69, v218, v4
	v_mbcnt_lo_u32_b32 v4, v69, 0
	v_mbcnt_hi_u32_b32 v218, v70, v4
	v_cmp_ne_u64_e32 vcc, 0, v[69:70]
	v_cmp_eq_u32_e64 s[38:39], 0, v218
	s_and_b64 s[40:41], vcc, s[38:39]
	v_add_u32_e32 v220, v172, v71
	; wave barrier
	s_and_saveexec_b64 s[38:39], s[40:41]
	s_cbranch_execz .LBB1123_1040
; %bb.1039:                             ;   in Loop: Header=BB1123_974 Depth=2
	v_bcnt_u32_b32 v4, v69, 0
	v_bcnt_u32_b32 v4, v70, v4
	s_waitcnt lgkmcnt(0)
	v_add_u32_e32 v4, v216, v4
	ds_write_b32 v220, v4 offset:1040
.LBB1123_1040:                          ;   in Loop: Header=BB1123_974 Depth=2
	s_or_b64 exec, exec, s[38:39]
	v_cmp_gt_i64_e32 vcc, 0, v[43:44]
	v_ashrrev_i32_e32 v69, 31, v44
	v_cndmask_b32_e64 v4, v133, 0, vcc
	v_not_b32_e32 v69, v69
	v_xor_b32_e32 v44, v4, v44
	v_xor_b32_e32 v43, v69, v43
	v_cmp_ne_u64_e32 vcc, s[72:73], v[43:44]
	v_cndmask_b32_e32 v70, v133, v44, vcc
	v_cndmask_b32_e32 v69, -1, v43, vcc
	v_lshrrev_b64 v[69:70], s7, v[69:70]
	; wave barrier
	v_and_b32_e32 v69, s96, v69
	v_mad_u32_u24 v4, v69, 20, v172
	ds_read_b32 v219, v4 offset:1040
	v_and_b32_e32 v4, 1, v69
	v_add_co_u32_e32 v70, vcc, -1, v4
	v_addc_co_u32_e64 v72, s[38:39], 0, -1, vcc
	v_cmp_ne_u32_e32 vcc, 0, v4
	v_xor_b32_e32 v4, vcc_hi, v72
	v_and_b32_e32 v72, exec_hi, v4
	v_lshlrev_b32_e32 v4, 30, v69
	v_xor_b32_e32 v70, vcc_lo, v70
	v_cmp_gt_i64_e32 vcc, 0, v[3:4]
	v_not_b32_e32 v4, v4
	v_ashrrev_i32_e32 v4, 31, v4
	v_and_b32_e32 v70, exec_lo, v70
	v_xor_b32_e32 v221, vcc_hi, v4
	v_xor_b32_e32 v4, vcc_lo, v4
	v_and_b32_e32 v70, v70, v4
	v_lshlrev_b32_e32 v4, 29, v69
	v_cmp_gt_i64_e32 vcc, 0, v[3:4]
	v_not_b32_e32 v4, v4
	v_ashrrev_i32_e32 v4, 31, v4
	v_and_b32_e32 v72, v72, v221
	v_xor_b32_e32 v221, vcc_hi, v4
	v_xor_b32_e32 v4, vcc_lo, v4
	v_and_b32_e32 v70, v70, v4
	v_lshlrev_b32_e32 v4, 28, v69
	v_cmp_gt_i64_e32 vcc, 0, v[3:4]
	v_not_b32_e32 v4, v4
	v_ashrrev_i32_e32 v4, 31, v4
	v_and_b32_e32 v72, v72, v221
	;; [unrolled: 8-line block ×5, first 2 shown]
	v_xor_b32_e32 v221, vcc_hi, v4
	v_xor_b32_e32 v4, vcc_lo, v4
	v_and_b32_e32 v72, v72, v221
	v_and_b32_e32 v221, v70, v4
	v_lshlrev_b32_e32 v4, 24, v69
	v_cmp_gt_i64_e32 vcc, 0, v[3:4]
	v_not_b32_e32 v4, v4
	v_ashrrev_i32_e32 v4, 31, v4
	v_mul_u32_u24_e32 v71, 20, v69
	v_xor_b32_e32 v69, vcc_hi, v4
	v_xor_b32_e32 v4, vcc_lo, v4
	v_and_b32_e32 v70, v72, v69
	v_and_b32_e32 v69, v221, v4
	v_mbcnt_lo_u32_b32 v4, v69, 0
	v_mbcnt_hi_u32_b32 v221, v70, v4
	v_cmp_ne_u64_e32 vcc, 0, v[69:70]
	v_cmp_eq_u32_e64 s[38:39], 0, v221
	s_and_b64 s[40:41], vcc, s[38:39]
	v_add_u32_e32 v4, v172, v71
	; wave barrier
	s_and_saveexec_b64 s[38:39], s[40:41]
	s_cbranch_execz .LBB1123_1042
; %bb.1041:                             ;   in Loop: Header=BB1123_974 Depth=2
	v_bcnt_u32_b32 v69, v69, 0
	v_bcnt_u32_b32 v69, v70, v69
	s_waitcnt lgkmcnt(0)
	v_add_u32_e32 v69, v219, v69
	ds_write_b32 v4, v69 offset:1040
.LBB1123_1042:                          ;   in Loop: Header=BB1123_974 Depth=2
	s_or_b64 exec, exec, s[38:39]
	; wave barrier
	s_waitcnt lgkmcnt(0)
	s_barrier
	ds_read2_b32 v[71:72], v175 offset1:1
	ds_read2_b32 v[69:70], v174 offset1:1
	ds_read_b32 v222, v98 offset:1056
	s_waitcnt lgkmcnt(1)
	v_add3_u32 v223, v72, v71, v69
	s_waitcnt lgkmcnt(0)
	v_add3_u32 v222, v223, v70, v222
	s_nop 1
	v_mov_b32_dpp v223, v222 row_shr:1 row_mask:0xf bank_mask:0xf
	v_cndmask_b32_e64 v223, v223, 0, s[18:19]
	v_add_u32_e32 v222, v223, v222
	s_nop 1
	v_mov_b32_dpp v223, v222 row_shr:2 row_mask:0xf bank_mask:0xf
	v_cndmask_b32_e64 v223, 0, v223, s[20:21]
	v_add_u32_e32 v222, v222, v223
	;; [unrolled: 4-line block ×4, first 2 shown]
	s_nop 1
	v_mov_b32_dpp v223, v222 row_bcast:15 row_mask:0xf bank_mask:0xf
	v_cndmask_b32_e64 v223, v223, 0, s[26:27]
	v_add_u32_e32 v222, v222, v223
	s_nop 1
	v_mov_b32_dpp v223, v222 row_bcast:31 row_mask:0xf bank_mask:0xf
	v_cndmask_b32_e64 v223, 0, v223, s[28:29]
	v_add_u32_e32 v222, v222, v223
	s_and_saveexec_b64 s[38:39], s[8:9]
; %bb.1043:                             ;   in Loop: Header=BB1123_974 Depth=2
	ds_write_b32 v93, v222 offset:1024
; %bb.1044:                             ;   in Loop: Header=BB1123_974 Depth=2
	s_or_b64 exec, exec, s[38:39]
	s_waitcnt lgkmcnt(0)
	s_barrier
	s_and_saveexec_b64 s[38:39], s[10:11]
	s_cbranch_execz .LBB1123_1046
; %bb.1045:                             ;   in Loop: Header=BB1123_974 Depth=2
	ds_read_b32 v223, v99 offset:1024
	s_waitcnt lgkmcnt(0)
	s_nop 0
	v_mov_b32_dpp v224, v223 row_shr:1 row_mask:0xf bank_mask:0xf
	v_cndmask_b32_e64 v224, v224, 0, s[34:35]
	v_add_u32_e32 v223, v224, v223
	s_nop 1
	v_mov_b32_dpp v224, v223 row_shr:2 row_mask:0xf bank_mask:0xf
	v_cndmask_b32_e64 v224, 0, v224, s[36:37]
	v_add_u32_e32 v223, v223, v224
	ds_write_b32 v99, v223 offset:1024
.LBB1123_1046:                          ;   in Loop: Header=BB1123_974 Depth=2
	s_or_b64 exec, exec, s[38:39]
	v_mov_b32_e32 v223, 0
	s_waitcnt lgkmcnt(0)
	s_barrier
	s_and_saveexec_b64 s[38:39], s[12:13]
; %bb.1047:                             ;   in Loop: Header=BB1123_974 Depth=2
	ds_read_b32 v223, v93 offset:1020
; %bb.1048:                             ;   in Loop: Header=BB1123_974 Depth=2
	s_or_b64 exec, exec, s[38:39]
	s_waitcnt lgkmcnt(0)
	v_add_u32_e32 v222, v223, v222
	ds_bpermute_b32 v222, v135, v222
	s_waitcnt lgkmcnt(0)
	v_cndmask_b32_e64 v222, v222, v223, s[30:31]
	v_cndmask_b32_e64 v222, v222, 0, s[14:15]
	v_add_u32_e32 v71, v222, v71
	v_add_u32_e32 v72, v71, v72
	;; [unrolled: 1-line block ×4, first 2 shown]
	ds_write2_b32 v175, v222, v71 offset1:1
	ds_write2_b32 v174, v72, v69 offset1:1
	ds_write_b32 v98, v70 offset:1056
	s_waitcnt lgkmcnt(0)
	s_barrier
	ds_read_b32 v69, v178 offset:1040
	ds_read_b32 v70, v181 offset:1040
	;; [unrolled: 1-line block ×17, first 2 shown]
	v_mov_b32_e32 v4, 0x1000
	s_and_saveexec_b64 s[38:39], s[16:17]
; %bb.1049:                             ;   in Loop: Header=BB1123_974 Depth=2
	ds_read_b32 v4, v98 offset:1060
; %bb.1050:                             ;   in Loop: Header=BB1123_974 Depth=2
	s_or_b64 exec, exec, s[38:39]
	s_waitcnt lgkmcnt(0)
	s_barrier
	s_and_saveexec_b64 s[38:39], s[4:5]
	s_cbranch_execz .LBB1123_1052
; %bb.1051:                             ;   in Loop: Header=BB1123_974 Depth=2
	ds_read_b32 v199, v73
	s_waitcnt lgkmcnt(0)
	v_sub_u32_e32 v196, v199, v196
	ds_write_b32 v73, v196
.LBB1123_1052:                          ;   in Loop: Header=BB1123_974 Depth=2
	s_or_b64 exec, exec, s[38:39]
	v_lshlrev_b32_e32 v176, 3, v176
	v_lshl_add_u32 v69, v69, 3, v176
	ds_write_b64 v69, v[37:38] offset:1024
	v_lshlrev_b32_e32 v37, 3, v179
	v_lshlrev_b32_e32 v38, 3, v177
	;; [unrolled: 1-line block ×3, first 2 shown]
	v_add3_u32 v70, v37, v38, v70
	ds_write_b64 v70, v[39:40] offset:1024
	v_lshlrev_b32_e32 v37, 3, v182
	v_lshlrev_b32_e32 v38, 3, v180
	v_lshlrev_b32_e32 v39, 3, v225
	v_add3_u32 v39, v37, v38, v39
	v_lshlrev_b32_e32 v37, 3, v185
	v_lshlrev_b32_e32 v38, 3, v183
	v_lshlrev_b32_e32 v40, 3, v224
	ds_write_b64 v39, v[45:46] offset:1024
	v_add3_u32 v40, v37, v38, v40
	v_lshlrev_b32_e32 v37, 3, v188
	v_lshlrev_b32_e32 v38, 3, v186
	v_lshlrev_b32_e32 v45, 3, v223
	v_add3_u32 v45, v37, v38, v45
	v_lshlrev_b32_e32 v37, 3, v191
	v_lshlrev_b32_e32 v38, 3, v189
	v_lshlrev_b32_e32 v46, 3, v222
	ds_write_b64 v40, v[49:50] offset:1024
	v_add3_u32 v46, v37, v38, v46
	;; [unrolled: 9-line block ×4, first 2 shown]
	v_lshlrev_b32_e32 v37, 3, v206
	v_lshlrev_b32_e32 v38, 3, v204
	;; [unrolled: 1-line block ×3, first 2 shown]
	v_add3_u32 v57, v37, v38, v57
	v_lshlrev_b32_e32 v37, 3, v209
	v_lshlrev_b32_e32 v38, 3, v207
	;; [unrolled: 1-line block ×3, first 2 shown]
	v_add3_u32 v58, v37, v38, v58
	ds_write_b64 v49, v[63:64] offset:1024
	ds_write_b64 v50, v[65:66] offset:1024
	;; [unrolled: 1-line block ×6, first 2 shown]
	v_lshlrev_b32_e32 v37, 3, v212
	v_lshlrev_b32_e32 v38, 3, v210
	v_lshlrev_b32_e32 v55, 3, v175
	v_add3_u32 v55, v37, v38, v55
	ds_write_b64 v55, v[51:52] offset:1024
	v_lshlrev_b32_e32 v37, 3, v215
	v_lshlrev_b32_e32 v38, 3, v213
	v_lshlrev_b32_e32 v51, 3, v174
	v_add3_u32 v51, v37, v38, v51
	ds_write_b64 v51, v[47:48] offset:1024
	;; [unrolled: 5-line block ×3, first 2 shown]
	v_lshlrev_b32_e32 v37, 3, v221
	v_lshlrev_b32_e32 v38, 3, v219
	;; [unrolled: 1-line block ×3, first 2 shown]
	v_add3_u32 v41, v37, v38, v41
	v_cmp_lt_u32_e64 s[38:39], v0, v173
	ds_write_b64 v41, v[43:44] offset:1024
	s_waitcnt lgkmcnt(0)
	s_barrier
	s_and_saveexec_b64 s[40:41], s[38:39]
	s_cbranch_execnz .LBB1123_1121
; %bb.1053:                             ;   in Loop: Header=BB1123_974 Depth=2
	s_or_b64 exec, exec, s[40:41]
	v_cmp_lt_u32_e64 s[40:41], v74, v173
	s_and_saveexec_b64 s[42:43], s[40:41]
	s_cbranch_execnz .LBB1123_1122
.LBB1123_1054:                          ;   in Loop: Header=BB1123_974 Depth=2
	s_or_b64 exec, exec, s[42:43]
	v_cmp_lt_u32_e64 s[42:43], v75, v173
	s_and_saveexec_b64 s[44:45], s[42:43]
	s_cbranch_execnz .LBB1123_1123
.LBB1123_1055:                          ;   in Loop: Header=BB1123_974 Depth=2
	s_or_b64 exec, exec, s[44:45]
	v_cmp_lt_u32_e64 s[44:45], v76, v173
	s_and_saveexec_b64 s[46:47], s[44:45]
	s_cbranch_execnz .LBB1123_1124
.LBB1123_1056:                          ;   in Loop: Header=BB1123_974 Depth=2
	s_or_b64 exec, exec, s[46:47]
	v_cmp_lt_u32_e64 s[46:47], v79, v173
	s_and_saveexec_b64 s[48:49], s[46:47]
	s_cbranch_execnz .LBB1123_1125
.LBB1123_1057:                          ;   in Loop: Header=BB1123_974 Depth=2
	s_or_b64 exec, exec, s[48:49]
	v_cmp_lt_u32_e64 s[48:49], v80, v173
	s_and_saveexec_b64 s[50:51], s[48:49]
	s_cbranch_execnz .LBB1123_1126
.LBB1123_1058:                          ;   in Loop: Header=BB1123_974 Depth=2
	s_or_b64 exec, exec, s[50:51]
	v_cmp_lt_u32_e64 s[50:51], v81, v173
	s_and_saveexec_b64 s[52:53], s[50:51]
	s_cbranch_execnz .LBB1123_1127
.LBB1123_1059:                          ;   in Loop: Header=BB1123_974 Depth=2
	s_or_b64 exec, exec, s[52:53]
	v_cmp_lt_u32_e64 s[52:53], v82, v173
	s_and_saveexec_b64 s[54:55], s[52:53]
	s_cbranch_execnz .LBB1123_1128
.LBB1123_1060:                          ;   in Loop: Header=BB1123_974 Depth=2
	s_or_b64 exec, exec, s[54:55]
	v_cmp_lt_u32_e64 s[54:55], v83, v173
	s_and_saveexec_b64 s[56:57], s[54:55]
	s_cbranch_execnz .LBB1123_1129
.LBB1123_1061:                          ;   in Loop: Header=BB1123_974 Depth=2
	s_or_b64 exec, exec, s[56:57]
	v_cmp_lt_u32_e64 s[56:57], v84, v173
	s_and_saveexec_b64 s[58:59], s[56:57]
	s_cbranch_execnz .LBB1123_1130
.LBB1123_1062:                          ;   in Loop: Header=BB1123_974 Depth=2
	s_or_b64 exec, exec, s[58:59]
	v_cmp_lt_u32_e64 s[58:59], v85, v173
	s_and_saveexec_b64 s[60:61], s[58:59]
	s_cbranch_execnz .LBB1123_1131
.LBB1123_1063:                          ;   in Loop: Header=BB1123_974 Depth=2
	s_or_b64 exec, exec, s[60:61]
	v_cmp_lt_u32_e64 s[60:61], v86, v173
	s_and_saveexec_b64 s[62:63], s[60:61]
	s_cbranch_execnz .LBB1123_1132
.LBB1123_1064:                          ;   in Loop: Header=BB1123_974 Depth=2
	s_or_b64 exec, exec, s[62:63]
	v_cmp_lt_u32_e64 s[62:63], v87, v173
	s_and_saveexec_b64 s[64:65], s[62:63]
	s_cbranch_execnz .LBB1123_1133
.LBB1123_1065:                          ;   in Loop: Header=BB1123_974 Depth=2
	s_or_b64 exec, exec, s[64:65]
	v_cmp_lt_u32_e64 s[64:65], v88, v173
	s_and_saveexec_b64 s[66:67], s[64:65]
	s_cbranch_execnz .LBB1123_1134
.LBB1123_1066:                          ;   in Loop: Header=BB1123_974 Depth=2
	s_or_b64 exec, exec, s[66:67]
	v_cmp_lt_u32_e64 s[66:67], v89, v173
	s_and_saveexec_b64 s[68:69], s[66:67]
	s_cbranch_execnz .LBB1123_1135
.LBB1123_1067:                          ;   in Loop: Header=BB1123_974 Depth=2
	s_or_b64 exec, exec, s[68:69]
	v_cmp_lt_u32_e64 s[68:69], v90, v173
	s_and_saveexec_b64 s[92:93], s[68:69]
	s_cbranch_execz .LBB1123_1069
.LBB1123_1068:                          ;   in Loop: Header=BB1123_974 Depth=2
	ds_read_b64 v[37:38], v104 offset:31744
	v_mov_b32_e32 v43, v3
	v_mov_b32_e32 v44, s81
	s_waitcnt lgkmcnt(0)
	v_cmp_ne_u64_e32 vcc, s[72:73], v[37:38]
	v_ashrrev_i32_e32 v52, 31, v38
	v_cndmask_b32_e32 v60, v133, v38, vcc
	v_cndmask_b32_e32 v59, -1, v37, vcc
	v_lshrrev_b64 v[59:60], s7, v[59:60]
	v_cmp_gt_i64_e32 vcc, 0, v[37:38]
	v_and_b32_e32 v48, s96, v59
	v_lshlrev_b32_e32 v48, 2, v48
	ds_read_b32 v48, v48
	v_cndmask_b32_e64 v42, v133, 0, vcc
	v_xor_b32_e32 v38, v42, v38
	v_not_b32_e32 v52, v52
	v_xor_b32_e32 v37, v52, v37
	s_waitcnt lgkmcnt(0)
	v_add_u32_e32 v42, v48, v90
	v_lshlrev_b64 v[42:43], 3, v[42:43]
	v_add_co_u32_e32 v42, vcc, s80, v42
	v_addc_co_u32_e32 v43, vcc, v44, v43, vcc
	global_store_dwordx2 v[42:43], v[37:38], off
.LBB1123_1069:                          ;   in Loop: Header=BB1123_974 Depth=2
	s_or_b64 exec, exec, s[92:93]
	s_mov_b32 s83, s72
	s_lshl_b64 s[82:83], s[82:83], 3
	v_mov_b32_e32 v38, s83
	v_add_co_u32_e32 v37, vcc, s82, v145
	v_addc_co_u32_e32 v38, vcc, v147, v38, vcc
	v_cmp_lt_u32_e32 vcc, v143, v173
	s_and_saveexec_b64 s[82:83], vcc
	s_xor_b64 s[82:83], exec, s[82:83]
	s_cbranch_execnz .LBB1123_1136
; %bb.1070:                             ;   in Loop: Header=BB1123_974 Depth=2
	s_or_b64 exec, exec, s[82:83]
	v_cmp_lt_u32_e32 vcc, v149, v173
	s_and_saveexec_b64 s[82:83], vcc
	s_cbranch_execnz .LBB1123_1137
.LBB1123_1071:                          ;   in Loop: Header=BB1123_974 Depth=2
	s_or_b64 exec, exec, s[82:83]
	v_cmp_lt_u32_e32 vcc, v151, v173
	s_and_saveexec_b64 s[82:83], vcc
	s_cbranch_execnz .LBB1123_1138
.LBB1123_1072:                          ;   in Loop: Header=BB1123_974 Depth=2
	s_or_b64 exec, exec, s[82:83]
	v_cmp_lt_u32_e32 vcc, v153, v173
	s_and_saveexec_b64 s[82:83], vcc
	s_cbranch_execnz .LBB1123_1139
.LBB1123_1073:                          ;   in Loop: Header=BB1123_974 Depth=2
	s_or_b64 exec, exec, s[82:83]
	v_cmp_lt_u32_e32 vcc, v155, v173
	s_and_saveexec_b64 s[82:83], vcc
	s_cbranch_execnz .LBB1123_1140
.LBB1123_1074:                          ;   in Loop: Header=BB1123_974 Depth=2
	s_or_b64 exec, exec, s[82:83]
	v_cmp_lt_u32_e32 vcc, v157, v173
	s_and_saveexec_b64 s[82:83], vcc
	s_cbranch_execnz .LBB1123_1141
.LBB1123_1075:                          ;   in Loop: Header=BB1123_974 Depth=2
	s_or_b64 exec, exec, s[82:83]
	v_cmp_lt_u32_e32 vcc, v159, v173
	s_and_saveexec_b64 s[82:83], vcc
	s_cbranch_execnz .LBB1123_1142
.LBB1123_1076:                          ;   in Loop: Header=BB1123_974 Depth=2
	s_or_b64 exec, exec, s[82:83]
	v_cmp_lt_u32_e32 vcc, v161, v173
	s_and_saveexec_b64 s[82:83], vcc
	s_cbranch_execnz .LBB1123_1143
.LBB1123_1077:                          ;   in Loop: Header=BB1123_974 Depth=2
	s_or_b64 exec, exec, s[82:83]
	v_cmp_lt_u32_e32 vcc, v162, v173
	s_and_saveexec_b64 s[82:83], vcc
	s_cbranch_execnz .LBB1123_1144
.LBB1123_1078:                          ;   in Loop: Header=BB1123_974 Depth=2
	s_or_b64 exec, exec, s[82:83]
	v_cmp_lt_u32_e32 vcc, v163, v173
	s_and_saveexec_b64 s[82:83], vcc
	s_cbranch_execnz .LBB1123_1145
.LBB1123_1079:                          ;   in Loop: Header=BB1123_974 Depth=2
	s_or_b64 exec, exec, s[82:83]
	v_cmp_lt_u32_e32 vcc, v164, v173
	s_and_saveexec_b64 s[82:83], vcc
	s_cbranch_execnz .LBB1123_1146
.LBB1123_1080:                          ;   in Loop: Header=BB1123_974 Depth=2
	s_or_b64 exec, exec, s[82:83]
	v_cmp_lt_u32_e32 vcc, v165, v173
	s_and_saveexec_b64 s[82:83], vcc
	s_cbranch_execnz .LBB1123_1147
.LBB1123_1081:                          ;   in Loop: Header=BB1123_974 Depth=2
	s_or_b64 exec, exec, s[82:83]
	v_cmp_lt_u32_e32 vcc, v166, v173
	s_and_saveexec_b64 s[82:83], vcc
	s_cbranch_execnz .LBB1123_1148
.LBB1123_1082:                          ;   in Loop: Header=BB1123_974 Depth=2
	s_or_b64 exec, exec, s[82:83]
	v_cmp_lt_u32_e32 vcc, v167, v173
	s_and_saveexec_b64 s[82:83], vcc
	s_cbranch_execnz .LBB1123_1149
.LBB1123_1083:                          ;   in Loop: Header=BB1123_974 Depth=2
	s_or_b64 exec, exec, s[82:83]
	v_cmp_lt_u32_e32 vcc, v168, v173
	s_and_saveexec_b64 s[82:83], vcc
	s_cbranch_execnz .LBB1123_1150
.LBB1123_1084:                          ;   in Loop: Header=BB1123_974 Depth=2
	s_or_b64 exec, exec, s[82:83]
	v_cmp_lt_u32_e32 vcc, v169, v173
	s_and_saveexec_b64 s[82:83], vcc
	s_cbranch_execnz .LBB1123_1151
.LBB1123_1085:                          ;   in Loop: Header=BB1123_974 Depth=2
	s_or_b64 exec, exec, s[82:83]
	s_and_saveexec_b64 s[82:83], s[38:39]
	s_cbranch_execnz .LBB1123_1152
.LBB1123_1086:                          ;   in Loop: Header=BB1123_974 Depth=2
	s_or_b64 exec, exec, s[82:83]
	s_and_saveexec_b64 s[82:83], s[40:41]
	s_cbranch_execnz .LBB1123_1153
.LBB1123_1087:                          ;   in Loop: Header=BB1123_974 Depth=2
	s_or_b64 exec, exec, s[82:83]
	s_and_saveexec_b64 s[82:83], s[42:43]
	s_cbranch_execnz .LBB1123_1154
.LBB1123_1088:                          ;   in Loop: Header=BB1123_974 Depth=2
	s_or_b64 exec, exec, s[82:83]
	s_and_saveexec_b64 s[82:83], s[44:45]
	s_cbranch_execnz .LBB1123_1155
.LBB1123_1089:                          ;   in Loop: Header=BB1123_974 Depth=2
	s_or_b64 exec, exec, s[82:83]
	s_and_saveexec_b64 s[82:83], s[46:47]
	s_cbranch_execnz .LBB1123_1156
.LBB1123_1090:                          ;   in Loop: Header=BB1123_974 Depth=2
	s_or_b64 exec, exec, s[82:83]
	s_and_saveexec_b64 s[82:83], s[48:49]
	s_cbranch_execnz .LBB1123_1157
.LBB1123_1091:                          ;   in Loop: Header=BB1123_974 Depth=2
	s_or_b64 exec, exec, s[82:83]
	s_and_saveexec_b64 s[82:83], s[50:51]
	s_cbranch_execnz .LBB1123_1158
.LBB1123_1092:                          ;   in Loop: Header=BB1123_974 Depth=2
	s_or_b64 exec, exec, s[82:83]
	s_and_saveexec_b64 s[82:83], s[52:53]
	s_cbranch_execnz .LBB1123_1159
.LBB1123_1093:                          ;   in Loop: Header=BB1123_974 Depth=2
	s_or_b64 exec, exec, s[82:83]
	s_and_saveexec_b64 s[82:83], s[54:55]
	s_cbranch_execnz .LBB1123_1160
.LBB1123_1094:                          ;   in Loop: Header=BB1123_974 Depth=2
	s_or_b64 exec, exec, s[82:83]
	s_and_saveexec_b64 s[82:83], s[56:57]
	s_cbranch_execnz .LBB1123_1161
.LBB1123_1095:                          ;   in Loop: Header=BB1123_974 Depth=2
	s_or_b64 exec, exec, s[82:83]
	s_and_saveexec_b64 s[82:83], s[58:59]
	s_cbranch_execnz .LBB1123_1162
.LBB1123_1096:                          ;   in Loop: Header=BB1123_974 Depth=2
	s_or_b64 exec, exec, s[82:83]
	s_and_saveexec_b64 s[82:83], s[60:61]
	s_cbranch_execnz .LBB1123_1163
.LBB1123_1097:                          ;   in Loop: Header=BB1123_974 Depth=2
	s_or_b64 exec, exec, s[82:83]
	s_and_saveexec_b64 s[82:83], s[62:63]
	s_cbranch_execnz .LBB1123_1164
.LBB1123_1098:                          ;   in Loop: Header=BB1123_974 Depth=2
	s_or_b64 exec, exec, s[82:83]
	s_and_saveexec_b64 s[82:83], s[64:65]
	s_cbranch_execnz .LBB1123_1165
.LBB1123_1099:                          ;   in Loop: Header=BB1123_974 Depth=2
	s_or_b64 exec, exec, s[82:83]
	s_and_saveexec_b64 s[82:83], s[66:67]
	s_cbranch_execnz .LBB1123_1166
.LBB1123_1100:                          ;   in Loop: Header=BB1123_974 Depth=2
	s_or_b64 exec, exec, s[82:83]
	s_and_saveexec_b64 s[82:83], s[68:69]
	s_cbranch_execz .LBB1123_1102
.LBB1123_1101:                          ;   in Loop: Header=BB1123_974 Depth=2
	ds_read_b64 v[37:38], v104 offset:31744
	s_waitcnt lgkmcnt(0)
	v_cmp_ne_u64_e32 vcc, s[72:73], v[37:38]
	v_cndmask_b32_e32 v38, v133, v38, vcc
	v_cndmask_b32_e32 v37, -1, v37, vcc
	v_lshrrev_b64 v[37:38], s7, v[37:38]
	v_and_b32_e32 v136, s96, v37
.LBB1123_1102:                          ;   in Loop: Header=BB1123_974 Depth=2
	s_or_b64 exec, exec, s[82:83]
	s_waitcnt vmcnt(0)
	s_barrier
	ds_write_b64 v69, v[35:36] offset:1024
	ds_write_b64 v70, v[33:34] offset:1024
	;; [unrolled: 1-line block ×16, first 2 shown]
	s_waitcnt lgkmcnt(0)
	s_barrier
	s_and_saveexec_b64 s[82:83], s[38:39]
	s_cbranch_execnz .LBB1123_1167
; %bb.1103:                             ;   in Loop: Header=BB1123_974 Depth=2
	s_or_b64 exec, exec, s[82:83]
	s_and_saveexec_b64 s[38:39], s[40:41]
	s_cbranch_execnz .LBB1123_1168
.LBB1123_1104:                          ;   in Loop: Header=BB1123_974 Depth=2
	s_or_b64 exec, exec, s[38:39]
	s_and_saveexec_b64 s[38:39], s[42:43]
	s_cbranch_execnz .LBB1123_1169
.LBB1123_1105:                          ;   in Loop: Header=BB1123_974 Depth=2
	s_or_b64 exec, exec, s[38:39]
	s_and_saveexec_b64 s[38:39], s[44:45]
	s_cbranch_execnz .LBB1123_1170
.LBB1123_1106:                          ;   in Loop: Header=BB1123_974 Depth=2
	s_or_b64 exec, exec, s[38:39]
	s_and_saveexec_b64 s[38:39], s[46:47]
	s_cbranch_execnz .LBB1123_1171
.LBB1123_1107:                          ;   in Loop: Header=BB1123_974 Depth=2
	s_or_b64 exec, exec, s[38:39]
	s_and_saveexec_b64 s[38:39], s[48:49]
	s_cbranch_execnz .LBB1123_1172
.LBB1123_1108:                          ;   in Loop: Header=BB1123_974 Depth=2
	s_or_b64 exec, exec, s[38:39]
	s_and_saveexec_b64 s[38:39], s[50:51]
	s_cbranch_execnz .LBB1123_1173
.LBB1123_1109:                          ;   in Loop: Header=BB1123_974 Depth=2
	s_or_b64 exec, exec, s[38:39]
	s_and_saveexec_b64 s[38:39], s[52:53]
	s_cbranch_execnz .LBB1123_1174
.LBB1123_1110:                          ;   in Loop: Header=BB1123_974 Depth=2
	s_or_b64 exec, exec, s[38:39]
	s_and_saveexec_b64 s[38:39], s[54:55]
	s_cbranch_execnz .LBB1123_1175
.LBB1123_1111:                          ;   in Loop: Header=BB1123_974 Depth=2
	s_or_b64 exec, exec, s[38:39]
	s_and_saveexec_b64 s[38:39], s[56:57]
	s_cbranch_execnz .LBB1123_1176
.LBB1123_1112:                          ;   in Loop: Header=BB1123_974 Depth=2
	s_or_b64 exec, exec, s[38:39]
	s_and_saveexec_b64 s[38:39], s[58:59]
	s_cbranch_execnz .LBB1123_1177
.LBB1123_1113:                          ;   in Loop: Header=BB1123_974 Depth=2
	s_or_b64 exec, exec, s[38:39]
	s_and_saveexec_b64 s[38:39], s[60:61]
	s_cbranch_execnz .LBB1123_1178
.LBB1123_1114:                          ;   in Loop: Header=BB1123_974 Depth=2
	s_or_b64 exec, exec, s[38:39]
	s_and_saveexec_b64 s[38:39], s[62:63]
	s_cbranch_execnz .LBB1123_1179
.LBB1123_1115:                          ;   in Loop: Header=BB1123_974 Depth=2
	s_or_b64 exec, exec, s[38:39]
	s_and_saveexec_b64 s[38:39], s[64:65]
	s_cbranch_execnz .LBB1123_1180
.LBB1123_1116:                          ;   in Loop: Header=BB1123_974 Depth=2
	s_or_b64 exec, exec, s[38:39]
	s_and_saveexec_b64 s[38:39], s[66:67]
	s_cbranch_execnz .LBB1123_1181
.LBB1123_1117:                          ;   in Loop: Header=BB1123_974 Depth=2
	s_or_b64 exec, exec, s[38:39]
	s_and_saveexec_b64 s[38:39], s[68:69]
	s_cbranch_execz .LBB1123_1119
.LBB1123_1118:                          ;   in Loop: Header=BB1123_974 Depth=2
	v_lshlrev_b32_e32 v37, 2, v136
	ds_read_b32 v39, v37
	ds_read_b64 v[37:38], v104 offset:31744
	v_mov_b32_e32 v40, v3
	v_mov_b32_e32 v41, s87
	s_waitcnt lgkmcnt(1)
	v_add_u32_e32 v39, v39, v90
	v_lshlrev_b64 v[39:40], 3, v[39:40]
	v_add_co_u32_e32 v39, vcc, s86, v39
	v_addc_co_u32_e32 v40, vcc, v41, v40, vcc
	s_waitcnt lgkmcnt(0)
	global_store_dwordx2 v[39:40], v[37:38], off
.LBB1123_1119:                          ;   in Loop: Header=BB1123_974 Depth=2
	s_or_b64 exec, exec, s[38:39]
	s_waitcnt vmcnt(0)
	s_barrier
	s_and_saveexec_b64 s[38:39], s[4:5]
	s_cbranch_execz .LBB1123_973
; %bb.1120:                             ;   in Loop: Header=BB1123_974 Depth=2
	ds_read_b32 v37, v73
	s_waitcnt lgkmcnt(0)
	v_add_u32_e32 v4, v37, v4
	ds_write_b32 v73, v4
	s_branch .LBB1123_973
.LBB1123_1121:                          ;   in Loop: Header=BB1123_974 Depth=2
	ds_read_b64 v[37:38], v104 offset:1024
	v_mov_b32_e32 v43, v3
	v_mov_b32_e32 v44, s81
	s_waitcnt lgkmcnt(0)
	v_cmp_ne_u64_e32 vcc, s[72:73], v[37:38]
	v_ashrrev_i32_e32 v52, 31, v38
	v_cndmask_b32_e32 v60, v133, v38, vcc
	v_cndmask_b32_e32 v59, -1, v37, vcc
	v_lshrrev_b64 v[59:60], s7, v[59:60]
	v_cmp_gt_i64_e32 vcc, 0, v[37:38]
	v_and_b32_e32 v48, s96, v59
	v_lshlrev_b32_e32 v48, 2, v48
	ds_read_b32 v48, v48
	v_cndmask_b32_e64 v42, v133, 0, vcc
	v_xor_b32_e32 v38, v42, v38
	v_not_b32_e32 v52, v52
	v_xor_b32_e32 v37, v52, v37
	s_waitcnt lgkmcnt(0)
	v_add_u32_e32 v42, v48, v0
	v_lshlrev_b64 v[42:43], 3, v[42:43]
	v_add_co_u32_e32 v42, vcc, s80, v42
	v_addc_co_u32_e32 v43, vcc, v44, v43, vcc
	global_store_dwordx2 v[42:43], v[37:38], off
	s_or_b64 exec, exec, s[40:41]
	v_cmp_lt_u32_e64 s[40:41], v74, v173
	s_and_saveexec_b64 s[42:43], s[40:41]
	s_cbranch_execz .LBB1123_1054
.LBB1123_1122:                          ;   in Loop: Header=BB1123_974 Depth=2
	ds_read_b64 v[37:38], v104 offset:3072
	v_mov_b32_e32 v43, v3
	v_mov_b32_e32 v44, s81
	s_waitcnt lgkmcnt(0)
	v_cmp_ne_u64_e32 vcc, s[72:73], v[37:38]
	v_ashrrev_i32_e32 v52, 31, v38
	v_cndmask_b32_e32 v60, v133, v38, vcc
	v_cndmask_b32_e32 v59, -1, v37, vcc
	v_lshrrev_b64 v[59:60], s7, v[59:60]
	v_cmp_gt_i64_e32 vcc, 0, v[37:38]
	v_and_b32_e32 v48, s96, v59
	v_lshlrev_b32_e32 v48, 2, v48
	ds_read_b32 v48, v48
	v_cndmask_b32_e64 v42, v133, 0, vcc
	v_xor_b32_e32 v38, v42, v38
	v_not_b32_e32 v52, v52
	v_xor_b32_e32 v37, v52, v37
	s_waitcnt lgkmcnt(0)
	v_add_u32_e32 v42, v48, v74
	v_lshlrev_b64 v[42:43], 3, v[42:43]
	v_add_co_u32_e32 v42, vcc, s80, v42
	v_addc_co_u32_e32 v43, vcc, v44, v43, vcc
	global_store_dwordx2 v[42:43], v[37:38], off
	s_or_b64 exec, exec, s[42:43]
	v_cmp_lt_u32_e64 s[42:43], v75, v173
	s_and_saveexec_b64 s[44:45], s[42:43]
	s_cbranch_execz .LBB1123_1055
.LBB1123_1123:                          ;   in Loop: Header=BB1123_974 Depth=2
	ds_read_b64 v[37:38], v104 offset:5120
	v_mov_b32_e32 v43, v3
	v_mov_b32_e32 v44, s81
	s_waitcnt lgkmcnt(0)
	v_cmp_ne_u64_e32 vcc, s[72:73], v[37:38]
	v_ashrrev_i32_e32 v52, 31, v38
	v_cndmask_b32_e32 v60, v133, v38, vcc
	v_cndmask_b32_e32 v59, -1, v37, vcc
	v_lshrrev_b64 v[59:60], s7, v[59:60]
	v_cmp_gt_i64_e32 vcc, 0, v[37:38]
	v_and_b32_e32 v48, s96, v59
	v_lshlrev_b32_e32 v48, 2, v48
	ds_read_b32 v48, v48
	v_cndmask_b32_e64 v42, v133, 0, vcc
	v_xor_b32_e32 v38, v42, v38
	v_not_b32_e32 v52, v52
	v_xor_b32_e32 v37, v52, v37
	s_waitcnt lgkmcnt(0)
	v_add_u32_e32 v42, v48, v75
	v_lshlrev_b64 v[42:43], 3, v[42:43]
	v_add_co_u32_e32 v42, vcc, s80, v42
	v_addc_co_u32_e32 v43, vcc, v44, v43, vcc
	global_store_dwordx2 v[42:43], v[37:38], off
	s_or_b64 exec, exec, s[44:45]
	v_cmp_lt_u32_e64 s[44:45], v76, v173
	s_and_saveexec_b64 s[46:47], s[44:45]
	s_cbranch_execz .LBB1123_1056
.LBB1123_1124:                          ;   in Loop: Header=BB1123_974 Depth=2
	ds_read_b64 v[37:38], v104 offset:7168
	v_mov_b32_e32 v43, v3
	v_mov_b32_e32 v44, s81
	s_waitcnt lgkmcnt(0)
	v_cmp_ne_u64_e32 vcc, s[72:73], v[37:38]
	v_ashrrev_i32_e32 v52, 31, v38
	v_cndmask_b32_e32 v60, v133, v38, vcc
	v_cndmask_b32_e32 v59, -1, v37, vcc
	v_lshrrev_b64 v[59:60], s7, v[59:60]
	v_cmp_gt_i64_e32 vcc, 0, v[37:38]
	v_and_b32_e32 v48, s96, v59
	v_lshlrev_b32_e32 v48, 2, v48
	ds_read_b32 v48, v48
	v_cndmask_b32_e64 v42, v133, 0, vcc
	v_xor_b32_e32 v38, v42, v38
	v_not_b32_e32 v52, v52
	v_xor_b32_e32 v37, v52, v37
	s_waitcnt lgkmcnt(0)
	v_add_u32_e32 v42, v48, v76
	v_lshlrev_b64 v[42:43], 3, v[42:43]
	v_add_co_u32_e32 v42, vcc, s80, v42
	v_addc_co_u32_e32 v43, vcc, v44, v43, vcc
	global_store_dwordx2 v[42:43], v[37:38], off
	s_or_b64 exec, exec, s[46:47]
	v_cmp_lt_u32_e64 s[46:47], v79, v173
	s_and_saveexec_b64 s[48:49], s[46:47]
	s_cbranch_execz .LBB1123_1057
.LBB1123_1125:                          ;   in Loop: Header=BB1123_974 Depth=2
	ds_read_b64 v[37:38], v104 offset:9216
	v_mov_b32_e32 v43, v3
	v_mov_b32_e32 v44, s81
	s_waitcnt lgkmcnt(0)
	v_cmp_ne_u64_e32 vcc, s[72:73], v[37:38]
	v_ashrrev_i32_e32 v52, 31, v38
	v_cndmask_b32_e32 v60, v133, v38, vcc
	v_cndmask_b32_e32 v59, -1, v37, vcc
	v_lshrrev_b64 v[59:60], s7, v[59:60]
	v_cmp_gt_i64_e32 vcc, 0, v[37:38]
	v_and_b32_e32 v48, s96, v59
	v_lshlrev_b32_e32 v48, 2, v48
	ds_read_b32 v48, v48
	v_cndmask_b32_e64 v42, v133, 0, vcc
	v_xor_b32_e32 v38, v42, v38
	v_not_b32_e32 v52, v52
	v_xor_b32_e32 v37, v52, v37
	s_waitcnt lgkmcnt(0)
	v_add_u32_e32 v42, v48, v79
	v_lshlrev_b64 v[42:43], 3, v[42:43]
	v_add_co_u32_e32 v42, vcc, s80, v42
	v_addc_co_u32_e32 v43, vcc, v44, v43, vcc
	global_store_dwordx2 v[42:43], v[37:38], off
	s_or_b64 exec, exec, s[48:49]
	v_cmp_lt_u32_e64 s[48:49], v80, v173
	s_and_saveexec_b64 s[50:51], s[48:49]
	s_cbranch_execz .LBB1123_1058
.LBB1123_1126:                          ;   in Loop: Header=BB1123_974 Depth=2
	ds_read_b64 v[37:38], v104 offset:11264
	v_mov_b32_e32 v43, v3
	v_mov_b32_e32 v44, s81
	s_waitcnt lgkmcnt(0)
	v_cmp_ne_u64_e32 vcc, s[72:73], v[37:38]
	v_ashrrev_i32_e32 v52, 31, v38
	v_cndmask_b32_e32 v60, v133, v38, vcc
	v_cndmask_b32_e32 v59, -1, v37, vcc
	v_lshrrev_b64 v[59:60], s7, v[59:60]
	v_cmp_gt_i64_e32 vcc, 0, v[37:38]
	v_and_b32_e32 v48, s96, v59
	v_lshlrev_b32_e32 v48, 2, v48
	ds_read_b32 v48, v48
	v_cndmask_b32_e64 v42, v133, 0, vcc
	v_xor_b32_e32 v38, v42, v38
	v_not_b32_e32 v52, v52
	v_xor_b32_e32 v37, v52, v37
	s_waitcnt lgkmcnt(0)
	v_add_u32_e32 v42, v48, v80
	v_lshlrev_b64 v[42:43], 3, v[42:43]
	v_add_co_u32_e32 v42, vcc, s80, v42
	v_addc_co_u32_e32 v43, vcc, v44, v43, vcc
	global_store_dwordx2 v[42:43], v[37:38], off
	s_or_b64 exec, exec, s[50:51]
	v_cmp_lt_u32_e64 s[50:51], v81, v173
	s_and_saveexec_b64 s[52:53], s[50:51]
	s_cbranch_execz .LBB1123_1059
.LBB1123_1127:                          ;   in Loop: Header=BB1123_974 Depth=2
	ds_read_b64 v[37:38], v104 offset:13312
	v_mov_b32_e32 v43, v3
	v_mov_b32_e32 v44, s81
	s_waitcnt lgkmcnt(0)
	v_cmp_ne_u64_e32 vcc, s[72:73], v[37:38]
	v_ashrrev_i32_e32 v52, 31, v38
	v_cndmask_b32_e32 v60, v133, v38, vcc
	v_cndmask_b32_e32 v59, -1, v37, vcc
	v_lshrrev_b64 v[59:60], s7, v[59:60]
	v_cmp_gt_i64_e32 vcc, 0, v[37:38]
	v_and_b32_e32 v48, s96, v59
	v_lshlrev_b32_e32 v48, 2, v48
	ds_read_b32 v48, v48
	v_cndmask_b32_e64 v42, v133, 0, vcc
	v_xor_b32_e32 v38, v42, v38
	v_not_b32_e32 v52, v52
	v_xor_b32_e32 v37, v52, v37
	s_waitcnt lgkmcnt(0)
	v_add_u32_e32 v42, v48, v81
	v_lshlrev_b64 v[42:43], 3, v[42:43]
	v_add_co_u32_e32 v42, vcc, s80, v42
	v_addc_co_u32_e32 v43, vcc, v44, v43, vcc
	global_store_dwordx2 v[42:43], v[37:38], off
	s_or_b64 exec, exec, s[52:53]
	v_cmp_lt_u32_e64 s[52:53], v82, v173
	s_and_saveexec_b64 s[54:55], s[52:53]
	s_cbranch_execz .LBB1123_1060
.LBB1123_1128:                          ;   in Loop: Header=BB1123_974 Depth=2
	ds_read_b64 v[37:38], v104 offset:15360
	v_mov_b32_e32 v43, v3
	v_mov_b32_e32 v44, s81
	s_waitcnt lgkmcnt(0)
	v_cmp_ne_u64_e32 vcc, s[72:73], v[37:38]
	v_ashrrev_i32_e32 v52, 31, v38
	v_cndmask_b32_e32 v60, v133, v38, vcc
	v_cndmask_b32_e32 v59, -1, v37, vcc
	v_lshrrev_b64 v[59:60], s7, v[59:60]
	v_cmp_gt_i64_e32 vcc, 0, v[37:38]
	v_and_b32_e32 v48, s96, v59
	v_lshlrev_b32_e32 v48, 2, v48
	ds_read_b32 v48, v48
	v_cndmask_b32_e64 v42, v133, 0, vcc
	v_xor_b32_e32 v38, v42, v38
	v_not_b32_e32 v52, v52
	v_xor_b32_e32 v37, v52, v37
	s_waitcnt lgkmcnt(0)
	v_add_u32_e32 v42, v48, v82
	v_lshlrev_b64 v[42:43], 3, v[42:43]
	v_add_co_u32_e32 v42, vcc, s80, v42
	v_addc_co_u32_e32 v43, vcc, v44, v43, vcc
	global_store_dwordx2 v[42:43], v[37:38], off
	s_or_b64 exec, exec, s[54:55]
	v_cmp_lt_u32_e64 s[54:55], v83, v173
	s_and_saveexec_b64 s[56:57], s[54:55]
	s_cbranch_execz .LBB1123_1061
.LBB1123_1129:                          ;   in Loop: Header=BB1123_974 Depth=2
	ds_read_b64 v[37:38], v104 offset:17408
	v_mov_b32_e32 v43, v3
	v_mov_b32_e32 v44, s81
	s_waitcnt lgkmcnt(0)
	v_cmp_ne_u64_e32 vcc, s[72:73], v[37:38]
	v_ashrrev_i32_e32 v52, 31, v38
	v_cndmask_b32_e32 v60, v133, v38, vcc
	v_cndmask_b32_e32 v59, -1, v37, vcc
	v_lshrrev_b64 v[59:60], s7, v[59:60]
	v_cmp_gt_i64_e32 vcc, 0, v[37:38]
	v_and_b32_e32 v48, s96, v59
	v_lshlrev_b32_e32 v48, 2, v48
	ds_read_b32 v48, v48
	v_cndmask_b32_e64 v42, v133, 0, vcc
	v_xor_b32_e32 v38, v42, v38
	v_not_b32_e32 v52, v52
	v_xor_b32_e32 v37, v52, v37
	s_waitcnt lgkmcnt(0)
	v_add_u32_e32 v42, v48, v83
	v_lshlrev_b64 v[42:43], 3, v[42:43]
	v_add_co_u32_e32 v42, vcc, s80, v42
	v_addc_co_u32_e32 v43, vcc, v44, v43, vcc
	global_store_dwordx2 v[42:43], v[37:38], off
	s_or_b64 exec, exec, s[56:57]
	v_cmp_lt_u32_e64 s[56:57], v84, v173
	s_and_saveexec_b64 s[58:59], s[56:57]
	s_cbranch_execz .LBB1123_1062
.LBB1123_1130:                          ;   in Loop: Header=BB1123_974 Depth=2
	ds_read_b64 v[37:38], v104 offset:19456
	v_mov_b32_e32 v43, v3
	v_mov_b32_e32 v44, s81
	s_waitcnt lgkmcnt(0)
	v_cmp_ne_u64_e32 vcc, s[72:73], v[37:38]
	v_ashrrev_i32_e32 v52, 31, v38
	v_cndmask_b32_e32 v60, v133, v38, vcc
	v_cndmask_b32_e32 v59, -1, v37, vcc
	v_lshrrev_b64 v[59:60], s7, v[59:60]
	v_cmp_gt_i64_e32 vcc, 0, v[37:38]
	v_and_b32_e32 v48, s96, v59
	v_lshlrev_b32_e32 v48, 2, v48
	ds_read_b32 v48, v48
	v_cndmask_b32_e64 v42, v133, 0, vcc
	v_xor_b32_e32 v38, v42, v38
	v_not_b32_e32 v52, v52
	v_xor_b32_e32 v37, v52, v37
	s_waitcnt lgkmcnt(0)
	v_add_u32_e32 v42, v48, v84
	v_lshlrev_b64 v[42:43], 3, v[42:43]
	v_add_co_u32_e32 v42, vcc, s80, v42
	v_addc_co_u32_e32 v43, vcc, v44, v43, vcc
	global_store_dwordx2 v[42:43], v[37:38], off
	s_or_b64 exec, exec, s[58:59]
	v_cmp_lt_u32_e64 s[58:59], v85, v173
	s_and_saveexec_b64 s[60:61], s[58:59]
	s_cbranch_execz .LBB1123_1063
.LBB1123_1131:                          ;   in Loop: Header=BB1123_974 Depth=2
	ds_read_b64 v[37:38], v104 offset:21504
	v_mov_b32_e32 v43, v3
	v_mov_b32_e32 v44, s81
	s_waitcnt lgkmcnt(0)
	v_cmp_ne_u64_e32 vcc, s[72:73], v[37:38]
	v_ashrrev_i32_e32 v52, 31, v38
	v_cndmask_b32_e32 v60, v133, v38, vcc
	v_cndmask_b32_e32 v59, -1, v37, vcc
	v_lshrrev_b64 v[59:60], s7, v[59:60]
	v_cmp_gt_i64_e32 vcc, 0, v[37:38]
	v_and_b32_e32 v48, s96, v59
	v_lshlrev_b32_e32 v48, 2, v48
	ds_read_b32 v48, v48
	v_cndmask_b32_e64 v42, v133, 0, vcc
	v_xor_b32_e32 v38, v42, v38
	v_not_b32_e32 v52, v52
	v_xor_b32_e32 v37, v52, v37
	s_waitcnt lgkmcnt(0)
	v_add_u32_e32 v42, v48, v85
	v_lshlrev_b64 v[42:43], 3, v[42:43]
	v_add_co_u32_e32 v42, vcc, s80, v42
	v_addc_co_u32_e32 v43, vcc, v44, v43, vcc
	global_store_dwordx2 v[42:43], v[37:38], off
	s_or_b64 exec, exec, s[60:61]
	v_cmp_lt_u32_e64 s[60:61], v86, v173
	s_and_saveexec_b64 s[62:63], s[60:61]
	s_cbranch_execz .LBB1123_1064
.LBB1123_1132:                          ;   in Loop: Header=BB1123_974 Depth=2
	ds_read_b64 v[37:38], v104 offset:23552
	v_mov_b32_e32 v43, v3
	v_mov_b32_e32 v44, s81
	s_waitcnt lgkmcnt(0)
	v_cmp_ne_u64_e32 vcc, s[72:73], v[37:38]
	v_ashrrev_i32_e32 v52, 31, v38
	v_cndmask_b32_e32 v60, v133, v38, vcc
	v_cndmask_b32_e32 v59, -1, v37, vcc
	v_lshrrev_b64 v[59:60], s7, v[59:60]
	v_cmp_gt_i64_e32 vcc, 0, v[37:38]
	v_and_b32_e32 v48, s96, v59
	v_lshlrev_b32_e32 v48, 2, v48
	ds_read_b32 v48, v48
	v_cndmask_b32_e64 v42, v133, 0, vcc
	v_xor_b32_e32 v38, v42, v38
	v_not_b32_e32 v52, v52
	v_xor_b32_e32 v37, v52, v37
	s_waitcnt lgkmcnt(0)
	v_add_u32_e32 v42, v48, v86
	v_lshlrev_b64 v[42:43], 3, v[42:43]
	v_add_co_u32_e32 v42, vcc, s80, v42
	v_addc_co_u32_e32 v43, vcc, v44, v43, vcc
	global_store_dwordx2 v[42:43], v[37:38], off
	s_or_b64 exec, exec, s[62:63]
	v_cmp_lt_u32_e64 s[62:63], v87, v173
	s_and_saveexec_b64 s[64:65], s[62:63]
	s_cbranch_execz .LBB1123_1065
.LBB1123_1133:                          ;   in Loop: Header=BB1123_974 Depth=2
	ds_read_b64 v[37:38], v104 offset:25600
	v_mov_b32_e32 v43, v3
	v_mov_b32_e32 v44, s81
	s_waitcnt lgkmcnt(0)
	v_cmp_ne_u64_e32 vcc, s[72:73], v[37:38]
	v_ashrrev_i32_e32 v52, 31, v38
	v_cndmask_b32_e32 v60, v133, v38, vcc
	v_cndmask_b32_e32 v59, -1, v37, vcc
	v_lshrrev_b64 v[59:60], s7, v[59:60]
	v_cmp_gt_i64_e32 vcc, 0, v[37:38]
	v_and_b32_e32 v48, s96, v59
	v_lshlrev_b32_e32 v48, 2, v48
	ds_read_b32 v48, v48
	v_cndmask_b32_e64 v42, v133, 0, vcc
	v_xor_b32_e32 v38, v42, v38
	v_not_b32_e32 v52, v52
	v_xor_b32_e32 v37, v52, v37
	s_waitcnt lgkmcnt(0)
	v_add_u32_e32 v42, v48, v87
	v_lshlrev_b64 v[42:43], 3, v[42:43]
	v_add_co_u32_e32 v42, vcc, s80, v42
	v_addc_co_u32_e32 v43, vcc, v44, v43, vcc
	global_store_dwordx2 v[42:43], v[37:38], off
	s_or_b64 exec, exec, s[64:65]
	v_cmp_lt_u32_e64 s[64:65], v88, v173
	s_and_saveexec_b64 s[66:67], s[64:65]
	s_cbranch_execz .LBB1123_1066
.LBB1123_1134:                          ;   in Loop: Header=BB1123_974 Depth=2
	ds_read_b64 v[37:38], v104 offset:27648
	v_mov_b32_e32 v43, v3
	v_mov_b32_e32 v44, s81
	s_waitcnt lgkmcnt(0)
	v_cmp_ne_u64_e32 vcc, s[72:73], v[37:38]
	v_ashrrev_i32_e32 v52, 31, v38
	v_cndmask_b32_e32 v60, v133, v38, vcc
	v_cndmask_b32_e32 v59, -1, v37, vcc
	v_lshrrev_b64 v[59:60], s7, v[59:60]
	v_cmp_gt_i64_e32 vcc, 0, v[37:38]
	v_and_b32_e32 v48, s96, v59
	v_lshlrev_b32_e32 v48, 2, v48
	ds_read_b32 v48, v48
	v_cndmask_b32_e64 v42, v133, 0, vcc
	v_xor_b32_e32 v38, v42, v38
	v_not_b32_e32 v52, v52
	v_xor_b32_e32 v37, v52, v37
	s_waitcnt lgkmcnt(0)
	v_add_u32_e32 v42, v48, v88
	v_lshlrev_b64 v[42:43], 3, v[42:43]
	v_add_co_u32_e32 v42, vcc, s80, v42
	v_addc_co_u32_e32 v43, vcc, v44, v43, vcc
	global_store_dwordx2 v[42:43], v[37:38], off
	s_or_b64 exec, exec, s[66:67]
	v_cmp_lt_u32_e64 s[66:67], v89, v173
	s_and_saveexec_b64 s[68:69], s[66:67]
	s_cbranch_execz .LBB1123_1067
.LBB1123_1135:                          ;   in Loop: Header=BB1123_974 Depth=2
	ds_read_b64 v[37:38], v104 offset:29696
	v_mov_b32_e32 v43, v3
	v_mov_b32_e32 v44, s81
	s_waitcnt lgkmcnt(0)
	v_cmp_ne_u64_e32 vcc, s[72:73], v[37:38]
	v_ashrrev_i32_e32 v52, 31, v38
	v_cndmask_b32_e32 v60, v133, v38, vcc
	v_cndmask_b32_e32 v59, -1, v37, vcc
	v_lshrrev_b64 v[59:60], s7, v[59:60]
	v_cmp_gt_i64_e32 vcc, 0, v[37:38]
	v_and_b32_e32 v48, s96, v59
	v_lshlrev_b32_e32 v48, 2, v48
	ds_read_b32 v48, v48
	v_cndmask_b32_e64 v42, v133, 0, vcc
	v_xor_b32_e32 v38, v42, v38
	v_not_b32_e32 v52, v52
	v_xor_b32_e32 v37, v52, v37
	s_waitcnt lgkmcnt(0)
	v_add_u32_e32 v42, v48, v89
	v_lshlrev_b64 v[42:43], 3, v[42:43]
	v_add_co_u32_e32 v42, vcc, s80, v42
	v_addc_co_u32_e32 v43, vcc, v44, v43, vcc
	global_store_dwordx2 v[42:43], v[37:38], off
	s_or_b64 exec, exec, s[68:69]
	v_cmp_lt_u32_e64 s[68:69], v90, v173
	s_and_saveexec_b64 s[92:93], s[68:69]
	s_cbranch_execnz .LBB1123_1068
	s_branch .LBB1123_1069
.LBB1123_1136:                          ;   in Loop: Header=BB1123_974 Depth=2
	global_load_dwordx2 v[35:36], v[37:38], off
	s_or_b64 exec, exec, s[82:83]
	v_cmp_lt_u32_e32 vcc, v149, v173
	s_and_saveexec_b64 s[82:83], vcc
	s_cbranch_execz .LBB1123_1071
.LBB1123_1137:                          ;   in Loop: Header=BB1123_974 Depth=2
	global_load_dwordx2 v[33:34], v[37:38], off offset:512
	s_or_b64 exec, exec, s[82:83]
	v_cmp_lt_u32_e32 vcc, v151, v173
	s_and_saveexec_b64 s[82:83], vcc
	s_cbranch_execz .LBB1123_1072
.LBB1123_1138:                          ;   in Loop: Header=BB1123_974 Depth=2
	global_load_dwordx2 v[31:32], v[37:38], off offset:1024
	s_or_b64 exec, exec, s[82:83]
	v_cmp_lt_u32_e32 vcc, v153, v173
	s_and_saveexec_b64 s[82:83], vcc
	s_cbranch_execz .LBB1123_1073
.LBB1123_1139:                          ;   in Loop: Header=BB1123_974 Depth=2
	global_load_dwordx2 v[27:28], v[37:38], off offset:1536
	s_or_b64 exec, exec, s[82:83]
	v_cmp_lt_u32_e32 vcc, v155, v173
	s_and_saveexec_b64 s[82:83], vcc
	s_cbranch_execz .LBB1123_1074
.LBB1123_1140:                          ;   in Loop: Header=BB1123_974 Depth=2
	global_load_dwordx2 v[23:24], v[37:38], off offset:2048
	s_or_b64 exec, exec, s[82:83]
	v_cmp_lt_u32_e32 vcc, v157, v173
	s_and_saveexec_b64 s[82:83], vcc
	s_cbranch_execz .LBB1123_1075
.LBB1123_1141:                          ;   in Loop: Header=BB1123_974 Depth=2
	global_load_dwordx2 v[19:20], v[37:38], off offset:2560
	s_or_b64 exec, exec, s[82:83]
	v_cmp_lt_u32_e32 vcc, v159, v173
	s_and_saveexec_b64 s[82:83], vcc
	s_cbranch_execz .LBB1123_1076
.LBB1123_1142:                          ;   in Loop: Header=BB1123_974 Depth=2
	global_load_dwordx2 v[15:16], v[37:38], off offset:3072
	s_or_b64 exec, exec, s[82:83]
	v_cmp_lt_u32_e32 vcc, v161, v173
	s_and_saveexec_b64 s[82:83], vcc
	s_cbranch_execz .LBB1123_1077
.LBB1123_1143:                          ;   in Loop: Header=BB1123_974 Depth=2
	global_load_dwordx2 v[11:12], v[37:38], off offset:3584
	s_or_b64 exec, exec, s[82:83]
	v_cmp_lt_u32_e32 vcc, v162, v173
	s_and_saveexec_b64 s[82:83], vcc
	s_cbranch_execz .LBB1123_1078
.LBB1123_1144:                          ;   in Loop: Header=BB1123_974 Depth=2
	v_add_co_u32_e32 v29, vcc, 0x1000, v37
	v_addc_co_u32_e32 v30, vcc, 0, v38, vcc
	global_load_dwordx2 v[29:30], v[29:30], off
	s_or_b64 exec, exec, s[82:83]
	v_cmp_lt_u32_e32 vcc, v163, v173
	s_and_saveexec_b64 s[82:83], vcc
	s_cbranch_execz .LBB1123_1079
.LBB1123_1145:                          ;   in Loop: Header=BB1123_974 Depth=2
	v_add_co_u32_e32 v25, vcc, 0x1000, v37
	v_addc_co_u32_e32 v26, vcc, 0, v38, vcc
	global_load_dwordx2 v[25:26], v[25:26], off offset:512
	s_or_b64 exec, exec, s[82:83]
	v_cmp_lt_u32_e32 vcc, v164, v173
	s_and_saveexec_b64 s[82:83], vcc
	s_cbranch_execz .LBB1123_1080
.LBB1123_1146:                          ;   in Loop: Header=BB1123_974 Depth=2
	v_add_co_u32_e32 v21, vcc, 0x1000, v37
	v_addc_co_u32_e32 v22, vcc, 0, v38, vcc
	global_load_dwordx2 v[21:22], v[21:22], off offset:1024
	s_or_b64 exec, exec, s[82:83]
	v_cmp_lt_u32_e32 vcc, v165, v173
	s_and_saveexec_b64 s[82:83], vcc
	s_cbranch_execz .LBB1123_1081
.LBB1123_1147:                          ;   in Loop: Header=BB1123_974 Depth=2
	v_add_co_u32_e32 v17, vcc, 0x1000, v37
	v_addc_co_u32_e32 v18, vcc, 0, v38, vcc
	global_load_dwordx2 v[17:18], v[17:18], off offset:1536
	s_or_b64 exec, exec, s[82:83]
	v_cmp_lt_u32_e32 vcc, v166, v173
	s_and_saveexec_b64 s[82:83], vcc
	s_cbranch_execz .LBB1123_1082
.LBB1123_1148:                          ;   in Loop: Header=BB1123_974 Depth=2
	v_add_co_u32_e32 v13, vcc, 0x1000, v37
	v_addc_co_u32_e32 v14, vcc, 0, v38, vcc
	global_load_dwordx2 v[13:14], v[13:14], off offset:2048
	s_or_b64 exec, exec, s[82:83]
	v_cmp_lt_u32_e32 vcc, v167, v173
	s_and_saveexec_b64 s[82:83], vcc
	s_cbranch_execz .LBB1123_1083
.LBB1123_1149:                          ;   in Loop: Header=BB1123_974 Depth=2
	v_add_co_u32_e32 v9, vcc, 0x1000, v37
	v_addc_co_u32_e32 v10, vcc, 0, v38, vcc
	global_load_dwordx2 v[9:10], v[9:10], off offset:2560
	s_or_b64 exec, exec, s[82:83]
	v_cmp_lt_u32_e32 vcc, v168, v173
	s_and_saveexec_b64 s[82:83], vcc
	s_cbranch_execz .LBB1123_1084
.LBB1123_1150:                          ;   in Loop: Header=BB1123_974 Depth=2
	v_add_co_u32_e32 v7, vcc, 0x1000, v37
	v_addc_co_u32_e32 v8, vcc, 0, v38, vcc
	global_load_dwordx2 v[7:8], v[7:8], off offset:3072
	s_or_b64 exec, exec, s[82:83]
	v_cmp_lt_u32_e32 vcc, v169, v173
	s_and_saveexec_b64 s[82:83], vcc
	s_cbranch_execz .LBB1123_1085
.LBB1123_1151:                          ;   in Loop: Header=BB1123_974 Depth=2
	v_add_co_u32_e32 v5, vcc, 0x1000, v37
	v_addc_co_u32_e32 v6, vcc, 0, v38, vcc
	global_load_dwordx2 v[5:6], v[5:6], off offset:3584
	s_or_b64 exec, exec, s[82:83]
	s_and_saveexec_b64 s[82:83], s[38:39]
	s_cbranch_execz .LBB1123_1086
.LBB1123_1152:                          ;   in Loop: Header=BB1123_974 Depth=2
	ds_read_b64 v[37:38], v104 offset:1024
	s_waitcnt lgkmcnt(0)
	v_cmp_ne_u64_e32 vcc, s[72:73], v[37:38]
	v_cndmask_b32_e32 v38, v133, v38, vcc
	v_cndmask_b32_e32 v37, -1, v37, vcc
	v_lshrrev_b64 v[37:38], s7, v[37:38]
	v_and_b32_e32 v160, s96, v37
	s_or_b64 exec, exec, s[82:83]
	s_and_saveexec_b64 s[82:83], s[40:41]
	s_cbranch_execz .LBB1123_1087
.LBB1123_1153:                          ;   in Loop: Header=BB1123_974 Depth=2
	ds_read_b64 v[37:38], v104 offset:3072
	s_waitcnt lgkmcnt(0)
	v_cmp_ne_u64_e32 vcc, s[72:73], v[37:38]
	v_cndmask_b32_e32 v38, v133, v38, vcc
	v_cndmask_b32_e32 v37, -1, v37, vcc
	v_lshrrev_b64 v[37:38], s7, v[37:38]
	v_and_b32_e32 v158, s96, v37
	s_or_b64 exec, exec, s[82:83]
	s_and_saveexec_b64 s[82:83], s[42:43]
	s_cbranch_execz .LBB1123_1088
.LBB1123_1154:                          ;   in Loop: Header=BB1123_974 Depth=2
	ds_read_b64 v[37:38], v104 offset:5120
	s_waitcnt lgkmcnt(0)
	v_cmp_ne_u64_e32 vcc, s[72:73], v[37:38]
	v_cndmask_b32_e32 v38, v133, v38, vcc
	v_cndmask_b32_e32 v37, -1, v37, vcc
	v_lshrrev_b64 v[37:38], s7, v[37:38]
	v_and_b32_e32 v156, s96, v37
	s_or_b64 exec, exec, s[82:83]
	s_and_saveexec_b64 s[82:83], s[44:45]
	s_cbranch_execz .LBB1123_1089
.LBB1123_1155:                          ;   in Loop: Header=BB1123_974 Depth=2
	ds_read_b64 v[37:38], v104 offset:7168
	s_waitcnt lgkmcnt(0)
	v_cmp_ne_u64_e32 vcc, s[72:73], v[37:38]
	v_cndmask_b32_e32 v38, v133, v38, vcc
	v_cndmask_b32_e32 v37, -1, v37, vcc
	v_lshrrev_b64 v[37:38], s7, v[37:38]
	v_and_b32_e32 v154, s96, v37
	s_or_b64 exec, exec, s[82:83]
	s_and_saveexec_b64 s[82:83], s[46:47]
	s_cbranch_execz .LBB1123_1090
.LBB1123_1156:                          ;   in Loop: Header=BB1123_974 Depth=2
	ds_read_b64 v[37:38], v104 offset:9216
	s_waitcnt lgkmcnt(0)
	v_cmp_ne_u64_e32 vcc, s[72:73], v[37:38]
	v_cndmask_b32_e32 v38, v133, v38, vcc
	v_cndmask_b32_e32 v37, -1, v37, vcc
	v_lshrrev_b64 v[37:38], s7, v[37:38]
	v_and_b32_e32 v152, s96, v37
	s_or_b64 exec, exec, s[82:83]
	s_and_saveexec_b64 s[82:83], s[48:49]
	s_cbranch_execz .LBB1123_1091
.LBB1123_1157:                          ;   in Loop: Header=BB1123_974 Depth=2
	ds_read_b64 v[37:38], v104 offset:11264
	s_waitcnt lgkmcnt(0)
	v_cmp_ne_u64_e32 vcc, s[72:73], v[37:38]
	v_cndmask_b32_e32 v38, v133, v38, vcc
	v_cndmask_b32_e32 v37, -1, v37, vcc
	v_lshrrev_b64 v[37:38], s7, v[37:38]
	v_and_b32_e32 v150, s96, v37
	s_or_b64 exec, exec, s[82:83]
	s_and_saveexec_b64 s[82:83], s[50:51]
	s_cbranch_execz .LBB1123_1092
.LBB1123_1158:                          ;   in Loop: Header=BB1123_974 Depth=2
	ds_read_b64 v[37:38], v104 offset:13312
	s_waitcnt lgkmcnt(0)
	v_cmp_ne_u64_e32 vcc, s[72:73], v[37:38]
	v_cndmask_b32_e32 v38, v133, v38, vcc
	v_cndmask_b32_e32 v37, -1, v37, vcc
	v_lshrrev_b64 v[37:38], s7, v[37:38]
	v_and_b32_e32 v148, s96, v37
	s_or_b64 exec, exec, s[82:83]
	s_and_saveexec_b64 s[82:83], s[52:53]
	s_cbranch_execz .LBB1123_1093
.LBB1123_1159:                          ;   in Loop: Header=BB1123_974 Depth=2
	ds_read_b64 v[37:38], v104 offset:15360
	s_waitcnt lgkmcnt(0)
	v_cmp_ne_u64_e32 vcc, s[72:73], v[37:38]
	v_cndmask_b32_e32 v38, v133, v38, vcc
	v_cndmask_b32_e32 v37, -1, v37, vcc
	v_lshrrev_b64 v[37:38], s7, v[37:38]
	v_and_b32_e32 v146, s96, v37
	s_or_b64 exec, exec, s[82:83]
	s_and_saveexec_b64 s[82:83], s[54:55]
	s_cbranch_execz .LBB1123_1094
.LBB1123_1160:                          ;   in Loop: Header=BB1123_974 Depth=2
	ds_read_b64 v[37:38], v104 offset:17408
	s_waitcnt lgkmcnt(0)
	v_cmp_ne_u64_e32 vcc, s[72:73], v[37:38]
	v_cndmask_b32_e32 v38, v133, v38, vcc
	v_cndmask_b32_e32 v37, -1, v37, vcc
	v_lshrrev_b64 v[37:38], s7, v[37:38]
	v_and_b32_e32 v144, s96, v37
	s_or_b64 exec, exec, s[82:83]
	s_and_saveexec_b64 s[82:83], s[56:57]
	s_cbranch_execz .LBB1123_1095
.LBB1123_1161:                          ;   in Loop: Header=BB1123_974 Depth=2
	ds_read_b64 v[37:38], v104 offset:19456
	s_waitcnt lgkmcnt(0)
	v_cmp_ne_u64_e32 vcc, s[72:73], v[37:38]
	v_cndmask_b32_e32 v38, v133, v38, vcc
	v_cndmask_b32_e32 v37, -1, v37, vcc
	v_lshrrev_b64 v[37:38], s7, v[37:38]
	v_and_b32_e32 v142, s96, v37
	s_or_b64 exec, exec, s[82:83]
	s_and_saveexec_b64 s[82:83], s[58:59]
	s_cbranch_execz .LBB1123_1096
.LBB1123_1162:                          ;   in Loop: Header=BB1123_974 Depth=2
	ds_read_b64 v[37:38], v104 offset:21504
	s_waitcnt lgkmcnt(0)
	v_cmp_ne_u64_e32 vcc, s[72:73], v[37:38]
	v_cndmask_b32_e32 v38, v133, v38, vcc
	v_cndmask_b32_e32 v37, -1, v37, vcc
	v_lshrrev_b64 v[37:38], s7, v[37:38]
	v_and_b32_e32 v141, s96, v37
	s_or_b64 exec, exec, s[82:83]
	s_and_saveexec_b64 s[82:83], s[60:61]
	s_cbranch_execz .LBB1123_1097
.LBB1123_1163:                          ;   in Loop: Header=BB1123_974 Depth=2
	ds_read_b64 v[37:38], v104 offset:23552
	s_waitcnt lgkmcnt(0)
	v_cmp_ne_u64_e32 vcc, s[72:73], v[37:38]
	v_cndmask_b32_e32 v38, v133, v38, vcc
	v_cndmask_b32_e32 v37, -1, v37, vcc
	v_lshrrev_b64 v[37:38], s7, v[37:38]
	v_and_b32_e32 v140, s96, v37
	s_or_b64 exec, exec, s[82:83]
	s_and_saveexec_b64 s[82:83], s[62:63]
	s_cbranch_execz .LBB1123_1098
.LBB1123_1164:                          ;   in Loop: Header=BB1123_974 Depth=2
	ds_read_b64 v[37:38], v104 offset:25600
	s_waitcnt lgkmcnt(0)
	v_cmp_ne_u64_e32 vcc, s[72:73], v[37:38]
	v_cndmask_b32_e32 v38, v133, v38, vcc
	v_cndmask_b32_e32 v37, -1, v37, vcc
	v_lshrrev_b64 v[37:38], s7, v[37:38]
	v_and_b32_e32 v139, s96, v37
	s_or_b64 exec, exec, s[82:83]
	s_and_saveexec_b64 s[82:83], s[64:65]
	s_cbranch_execz .LBB1123_1099
.LBB1123_1165:                          ;   in Loop: Header=BB1123_974 Depth=2
	ds_read_b64 v[37:38], v104 offset:27648
	s_waitcnt lgkmcnt(0)
	v_cmp_ne_u64_e32 vcc, s[72:73], v[37:38]
	v_cndmask_b32_e32 v38, v133, v38, vcc
	v_cndmask_b32_e32 v37, -1, v37, vcc
	v_lshrrev_b64 v[37:38], s7, v[37:38]
	v_and_b32_e32 v138, s96, v37
	s_or_b64 exec, exec, s[82:83]
	s_and_saveexec_b64 s[82:83], s[66:67]
	s_cbranch_execz .LBB1123_1100
.LBB1123_1166:                          ;   in Loop: Header=BB1123_974 Depth=2
	ds_read_b64 v[37:38], v104 offset:29696
	s_waitcnt lgkmcnt(0)
	v_cmp_ne_u64_e32 vcc, s[72:73], v[37:38]
	v_cndmask_b32_e32 v38, v133, v38, vcc
	v_cndmask_b32_e32 v37, -1, v37, vcc
	v_lshrrev_b64 v[37:38], s7, v[37:38]
	v_and_b32_e32 v137, s96, v37
	s_or_b64 exec, exec, s[82:83]
	s_and_saveexec_b64 s[82:83], s[68:69]
	s_cbranch_execnz .LBB1123_1101
	s_branch .LBB1123_1102
.LBB1123_1167:                          ;   in Loop: Header=BB1123_974 Depth=2
	v_lshlrev_b32_e32 v37, 2, v160
	ds_read_b32 v39, v37
	ds_read_b64 v[37:38], v104 offset:1024
	v_mov_b32_e32 v40, v3
	v_mov_b32_e32 v41, s87
	s_waitcnt lgkmcnt(1)
	v_add_u32_e32 v39, v39, v0
	v_lshlrev_b64 v[39:40], 3, v[39:40]
	v_add_co_u32_e32 v39, vcc, s86, v39
	v_addc_co_u32_e32 v40, vcc, v41, v40, vcc
	s_waitcnt lgkmcnt(0)
	global_store_dwordx2 v[39:40], v[37:38], off
	s_or_b64 exec, exec, s[82:83]
	s_and_saveexec_b64 s[38:39], s[40:41]
	s_cbranch_execz .LBB1123_1104
.LBB1123_1168:                          ;   in Loop: Header=BB1123_974 Depth=2
	v_lshlrev_b32_e32 v37, 2, v158
	ds_read_b32 v39, v37
	ds_read_b64 v[37:38], v104 offset:3072
	v_mov_b32_e32 v40, v3
	v_mov_b32_e32 v41, s87
	s_waitcnt lgkmcnt(1)
	v_add_u32_e32 v39, v39, v74
	v_lshlrev_b64 v[39:40], 3, v[39:40]
	v_add_co_u32_e32 v39, vcc, s86, v39
	v_addc_co_u32_e32 v40, vcc, v41, v40, vcc
	s_waitcnt lgkmcnt(0)
	global_store_dwordx2 v[39:40], v[37:38], off
	s_or_b64 exec, exec, s[38:39]
	s_and_saveexec_b64 s[38:39], s[42:43]
	s_cbranch_execz .LBB1123_1105
.LBB1123_1169:                          ;   in Loop: Header=BB1123_974 Depth=2
	v_lshlrev_b32_e32 v37, 2, v156
	ds_read_b32 v39, v37
	ds_read_b64 v[37:38], v104 offset:5120
	v_mov_b32_e32 v40, v3
	v_mov_b32_e32 v41, s87
	s_waitcnt lgkmcnt(1)
	v_add_u32_e32 v39, v39, v75
	v_lshlrev_b64 v[39:40], 3, v[39:40]
	v_add_co_u32_e32 v39, vcc, s86, v39
	v_addc_co_u32_e32 v40, vcc, v41, v40, vcc
	s_waitcnt lgkmcnt(0)
	global_store_dwordx2 v[39:40], v[37:38], off
	s_or_b64 exec, exec, s[38:39]
	s_and_saveexec_b64 s[38:39], s[44:45]
	s_cbranch_execz .LBB1123_1106
.LBB1123_1170:                          ;   in Loop: Header=BB1123_974 Depth=2
	v_lshlrev_b32_e32 v37, 2, v154
	ds_read_b32 v39, v37
	ds_read_b64 v[37:38], v104 offset:7168
	v_mov_b32_e32 v40, v3
	v_mov_b32_e32 v41, s87
	s_waitcnt lgkmcnt(1)
	v_add_u32_e32 v39, v39, v76
	v_lshlrev_b64 v[39:40], 3, v[39:40]
	v_add_co_u32_e32 v39, vcc, s86, v39
	v_addc_co_u32_e32 v40, vcc, v41, v40, vcc
	s_waitcnt lgkmcnt(0)
	global_store_dwordx2 v[39:40], v[37:38], off
	s_or_b64 exec, exec, s[38:39]
	s_and_saveexec_b64 s[38:39], s[46:47]
	s_cbranch_execz .LBB1123_1107
.LBB1123_1171:                          ;   in Loop: Header=BB1123_974 Depth=2
	v_lshlrev_b32_e32 v37, 2, v152
	ds_read_b32 v39, v37
	ds_read_b64 v[37:38], v104 offset:9216
	v_mov_b32_e32 v40, v3
	v_mov_b32_e32 v41, s87
	s_waitcnt lgkmcnt(1)
	v_add_u32_e32 v39, v39, v79
	v_lshlrev_b64 v[39:40], 3, v[39:40]
	v_add_co_u32_e32 v39, vcc, s86, v39
	v_addc_co_u32_e32 v40, vcc, v41, v40, vcc
	s_waitcnt lgkmcnt(0)
	global_store_dwordx2 v[39:40], v[37:38], off
	s_or_b64 exec, exec, s[38:39]
	s_and_saveexec_b64 s[38:39], s[48:49]
	s_cbranch_execz .LBB1123_1108
.LBB1123_1172:                          ;   in Loop: Header=BB1123_974 Depth=2
	v_lshlrev_b32_e32 v37, 2, v150
	ds_read_b32 v39, v37
	ds_read_b64 v[37:38], v104 offset:11264
	v_mov_b32_e32 v40, v3
	v_mov_b32_e32 v41, s87
	s_waitcnt lgkmcnt(1)
	v_add_u32_e32 v39, v39, v80
	v_lshlrev_b64 v[39:40], 3, v[39:40]
	v_add_co_u32_e32 v39, vcc, s86, v39
	v_addc_co_u32_e32 v40, vcc, v41, v40, vcc
	s_waitcnt lgkmcnt(0)
	global_store_dwordx2 v[39:40], v[37:38], off
	s_or_b64 exec, exec, s[38:39]
	s_and_saveexec_b64 s[38:39], s[50:51]
	s_cbranch_execz .LBB1123_1109
.LBB1123_1173:                          ;   in Loop: Header=BB1123_974 Depth=2
	v_lshlrev_b32_e32 v37, 2, v148
	ds_read_b32 v39, v37
	ds_read_b64 v[37:38], v104 offset:13312
	v_mov_b32_e32 v40, v3
	v_mov_b32_e32 v41, s87
	s_waitcnt lgkmcnt(1)
	v_add_u32_e32 v39, v39, v81
	v_lshlrev_b64 v[39:40], 3, v[39:40]
	v_add_co_u32_e32 v39, vcc, s86, v39
	v_addc_co_u32_e32 v40, vcc, v41, v40, vcc
	s_waitcnt lgkmcnt(0)
	global_store_dwordx2 v[39:40], v[37:38], off
	s_or_b64 exec, exec, s[38:39]
	s_and_saveexec_b64 s[38:39], s[52:53]
	s_cbranch_execz .LBB1123_1110
.LBB1123_1174:                          ;   in Loop: Header=BB1123_974 Depth=2
	v_lshlrev_b32_e32 v37, 2, v146
	ds_read_b32 v39, v37
	ds_read_b64 v[37:38], v104 offset:15360
	v_mov_b32_e32 v40, v3
	v_mov_b32_e32 v41, s87
	s_waitcnt lgkmcnt(1)
	v_add_u32_e32 v39, v39, v82
	v_lshlrev_b64 v[39:40], 3, v[39:40]
	v_add_co_u32_e32 v39, vcc, s86, v39
	v_addc_co_u32_e32 v40, vcc, v41, v40, vcc
	s_waitcnt lgkmcnt(0)
	global_store_dwordx2 v[39:40], v[37:38], off
	s_or_b64 exec, exec, s[38:39]
	s_and_saveexec_b64 s[38:39], s[54:55]
	s_cbranch_execz .LBB1123_1111
.LBB1123_1175:                          ;   in Loop: Header=BB1123_974 Depth=2
	v_lshlrev_b32_e32 v37, 2, v144
	ds_read_b32 v39, v37
	ds_read_b64 v[37:38], v104 offset:17408
	v_mov_b32_e32 v40, v3
	v_mov_b32_e32 v41, s87
	s_waitcnt lgkmcnt(1)
	v_add_u32_e32 v39, v39, v83
	v_lshlrev_b64 v[39:40], 3, v[39:40]
	v_add_co_u32_e32 v39, vcc, s86, v39
	v_addc_co_u32_e32 v40, vcc, v41, v40, vcc
	s_waitcnt lgkmcnt(0)
	global_store_dwordx2 v[39:40], v[37:38], off
	s_or_b64 exec, exec, s[38:39]
	s_and_saveexec_b64 s[38:39], s[56:57]
	s_cbranch_execz .LBB1123_1112
.LBB1123_1176:                          ;   in Loop: Header=BB1123_974 Depth=2
	v_lshlrev_b32_e32 v37, 2, v142
	ds_read_b32 v39, v37
	ds_read_b64 v[37:38], v104 offset:19456
	v_mov_b32_e32 v40, v3
	v_mov_b32_e32 v41, s87
	s_waitcnt lgkmcnt(1)
	v_add_u32_e32 v39, v39, v84
	v_lshlrev_b64 v[39:40], 3, v[39:40]
	v_add_co_u32_e32 v39, vcc, s86, v39
	v_addc_co_u32_e32 v40, vcc, v41, v40, vcc
	s_waitcnt lgkmcnt(0)
	global_store_dwordx2 v[39:40], v[37:38], off
	s_or_b64 exec, exec, s[38:39]
	s_and_saveexec_b64 s[38:39], s[58:59]
	s_cbranch_execz .LBB1123_1113
.LBB1123_1177:                          ;   in Loop: Header=BB1123_974 Depth=2
	v_lshlrev_b32_e32 v37, 2, v141
	ds_read_b32 v39, v37
	ds_read_b64 v[37:38], v104 offset:21504
	v_mov_b32_e32 v40, v3
	v_mov_b32_e32 v41, s87
	s_waitcnt lgkmcnt(1)
	v_add_u32_e32 v39, v39, v85
	v_lshlrev_b64 v[39:40], 3, v[39:40]
	v_add_co_u32_e32 v39, vcc, s86, v39
	v_addc_co_u32_e32 v40, vcc, v41, v40, vcc
	s_waitcnt lgkmcnt(0)
	global_store_dwordx2 v[39:40], v[37:38], off
	s_or_b64 exec, exec, s[38:39]
	s_and_saveexec_b64 s[38:39], s[60:61]
	s_cbranch_execz .LBB1123_1114
.LBB1123_1178:                          ;   in Loop: Header=BB1123_974 Depth=2
	v_lshlrev_b32_e32 v37, 2, v140
	ds_read_b32 v39, v37
	ds_read_b64 v[37:38], v104 offset:23552
	v_mov_b32_e32 v40, v3
	v_mov_b32_e32 v41, s87
	s_waitcnt lgkmcnt(1)
	v_add_u32_e32 v39, v39, v86
	v_lshlrev_b64 v[39:40], 3, v[39:40]
	v_add_co_u32_e32 v39, vcc, s86, v39
	v_addc_co_u32_e32 v40, vcc, v41, v40, vcc
	s_waitcnt lgkmcnt(0)
	global_store_dwordx2 v[39:40], v[37:38], off
	s_or_b64 exec, exec, s[38:39]
	s_and_saveexec_b64 s[38:39], s[62:63]
	s_cbranch_execz .LBB1123_1115
.LBB1123_1179:                          ;   in Loop: Header=BB1123_974 Depth=2
	v_lshlrev_b32_e32 v37, 2, v139
	ds_read_b32 v39, v37
	ds_read_b64 v[37:38], v104 offset:25600
	v_mov_b32_e32 v40, v3
	v_mov_b32_e32 v41, s87
	s_waitcnt lgkmcnt(1)
	v_add_u32_e32 v39, v39, v87
	v_lshlrev_b64 v[39:40], 3, v[39:40]
	v_add_co_u32_e32 v39, vcc, s86, v39
	v_addc_co_u32_e32 v40, vcc, v41, v40, vcc
	s_waitcnt lgkmcnt(0)
	global_store_dwordx2 v[39:40], v[37:38], off
	s_or_b64 exec, exec, s[38:39]
	s_and_saveexec_b64 s[38:39], s[64:65]
	s_cbranch_execz .LBB1123_1116
.LBB1123_1180:                          ;   in Loop: Header=BB1123_974 Depth=2
	v_lshlrev_b32_e32 v37, 2, v138
	ds_read_b32 v39, v37
	ds_read_b64 v[37:38], v104 offset:27648
	v_mov_b32_e32 v40, v3
	v_mov_b32_e32 v41, s87
	s_waitcnt lgkmcnt(1)
	v_add_u32_e32 v39, v39, v88
	v_lshlrev_b64 v[39:40], 3, v[39:40]
	v_add_co_u32_e32 v39, vcc, s86, v39
	v_addc_co_u32_e32 v40, vcc, v41, v40, vcc
	s_waitcnt lgkmcnt(0)
	global_store_dwordx2 v[39:40], v[37:38], off
	s_or_b64 exec, exec, s[38:39]
	s_and_saveexec_b64 s[38:39], s[66:67]
	s_cbranch_execz .LBB1123_1117
.LBB1123_1181:                          ;   in Loop: Header=BB1123_974 Depth=2
	v_lshlrev_b32_e32 v37, 2, v137
	ds_read_b32 v39, v37
	ds_read_b64 v[37:38], v104 offset:29696
	v_mov_b32_e32 v40, v3
	v_mov_b32_e32 v41, s87
	s_waitcnt lgkmcnt(1)
	v_add_u32_e32 v39, v39, v89
	v_lshlrev_b64 v[39:40], 3, v[39:40]
	v_add_co_u32_e32 v39, vcc, s86, v39
	v_addc_co_u32_e32 v40, vcc, v41, v40, vcc
	s_waitcnt lgkmcnt(0)
	global_store_dwordx2 v[39:40], v[37:38], off
	s_or_b64 exec, exec, s[38:39]
	s_and_saveexec_b64 s[38:39], s[68:69]
	s_cbranch_execnz .LBB1123_1118
	s_branch .LBB1123_1119
.LBB1123_1182:
	s_endpgm
	.section	.rodata,"a",@progbits
	.p2align	6, 0x0
	.amdhsa_kernel _ZN7rocprim17ROCPRIM_400000_NS6detail17trampoline_kernelINS0_14default_configENS1_36segmented_radix_sort_config_selectorIdlEEZNS1_25segmented_radix_sort_implIS3_Lb1EPKdPdPKlPlN2at6native12_GLOBAL__N_18offset_tEEE10hipError_tPvRmT1_PNSt15iterator_traitsISK_E10value_typeET2_T3_PNSL_ISQ_E10value_typeET4_jRbjT5_SW_jjP12ihipStream_tbEUlT_E_NS1_11comp_targetILNS1_3genE2ELNS1_11target_archE906ELNS1_3gpuE6ELNS1_3repE0EEENS1_30default_config_static_selectorELNS0_4arch9wavefront6targetE1EEEvSK_
		.amdhsa_group_segment_fixed_size 33808
		.amdhsa_private_segment_fixed_size 164
		.amdhsa_kernarg_size 352
		.amdhsa_user_sgpr_count 6
		.amdhsa_user_sgpr_private_segment_buffer 1
		.amdhsa_user_sgpr_dispatch_ptr 0
		.amdhsa_user_sgpr_queue_ptr 0
		.amdhsa_user_sgpr_kernarg_segment_ptr 1
		.amdhsa_user_sgpr_dispatch_id 0
		.amdhsa_user_sgpr_flat_scratch_init 0
		.amdhsa_user_sgpr_private_segment_size 0
		.amdhsa_uses_dynamic_stack 0
		.amdhsa_system_sgpr_private_segment_wavefront_offset 1
		.amdhsa_system_sgpr_workgroup_id_x 1
		.amdhsa_system_sgpr_workgroup_id_y 1
		.amdhsa_system_sgpr_workgroup_id_z 0
		.amdhsa_system_sgpr_workgroup_info 0
		.amdhsa_system_vgpr_workitem_id 2
		.amdhsa_next_free_vgpr 248
		.amdhsa_next_free_sgpr 100
		.amdhsa_reserve_vcc 1
		.amdhsa_reserve_flat_scratch 0
		.amdhsa_float_round_mode_32 0
		.amdhsa_float_round_mode_16_64 0
		.amdhsa_float_denorm_mode_32 3
		.amdhsa_float_denorm_mode_16_64 3
		.amdhsa_dx10_clamp 1
		.amdhsa_ieee_mode 1
		.amdhsa_fp16_overflow 0
		.amdhsa_exception_fp_ieee_invalid_op 0
		.amdhsa_exception_fp_denorm_src 0
		.amdhsa_exception_fp_ieee_div_zero 0
		.amdhsa_exception_fp_ieee_overflow 0
		.amdhsa_exception_fp_ieee_underflow 0
		.amdhsa_exception_fp_ieee_inexact 0
		.amdhsa_exception_int_div_zero 0
	.end_amdhsa_kernel
	.section	.text._ZN7rocprim17ROCPRIM_400000_NS6detail17trampoline_kernelINS0_14default_configENS1_36segmented_radix_sort_config_selectorIdlEEZNS1_25segmented_radix_sort_implIS3_Lb1EPKdPdPKlPlN2at6native12_GLOBAL__N_18offset_tEEE10hipError_tPvRmT1_PNSt15iterator_traitsISK_E10value_typeET2_T3_PNSL_ISQ_E10value_typeET4_jRbjT5_SW_jjP12ihipStream_tbEUlT_E_NS1_11comp_targetILNS1_3genE2ELNS1_11target_archE906ELNS1_3gpuE6ELNS1_3repE0EEENS1_30default_config_static_selectorELNS0_4arch9wavefront6targetE1EEEvSK_,"axG",@progbits,_ZN7rocprim17ROCPRIM_400000_NS6detail17trampoline_kernelINS0_14default_configENS1_36segmented_radix_sort_config_selectorIdlEEZNS1_25segmented_radix_sort_implIS3_Lb1EPKdPdPKlPlN2at6native12_GLOBAL__N_18offset_tEEE10hipError_tPvRmT1_PNSt15iterator_traitsISK_E10value_typeET2_T3_PNSL_ISQ_E10value_typeET4_jRbjT5_SW_jjP12ihipStream_tbEUlT_E_NS1_11comp_targetILNS1_3genE2ELNS1_11target_archE906ELNS1_3gpuE6ELNS1_3repE0EEENS1_30default_config_static_selectorELNS0_4arch9wavefront6targetE1EEEvSK_,comdat
.Lfunc_end1123:
	.size	_ZN7rocprim17ROCPRIM_400000_NS6detail17trampoline_kernelINS0_14default_configENS1_36segmented_radix_sort_config_selectorIdlEEZNS1_25segmented_radix_sort_implIS3_Lb1EPKdPdPKlPlN2at6native12_GLOBAL__N_18offset_tEEE10hipError_tPvRmT1_PNSt15iterator_traitsISK_E10value_typeET2_T3_PNSL_ISQ_E10value_typeET4_jRbjT5_SW_jjP12ihipStream_tbEUlT_E_NS1_11comp_targetILNS1_3genE2ELNS1_11target_archE906ELNS1_3gpuE6ELNS1_3repE0EEENS1_30default_config_static_selectorELNS0_4arch9wavefront6targetE1EEEvSK_, .Lfunc_end1123-_ZN7rocprim17ROCPRIM_400000_NS6detail17trampoline_kernelINS0_14default_configENS1_36segmented_radix_sort_config_selectorIdlEEZNS1_25segmented_radix_sort_implIS3_Lb1EPKdPdPKlPlN2at6native12_GLOBAL__N_18offset_tEEE10hipError_tPvRmT1_PNSt15iterator_traitsISK_E10value_typeET2_T3_PNSL_ISQ_E10value_typeET4_jRbjT5_SW_jjP12ihipStream_tbEUlT_E_NS1_11comp_targetILNS1_3genE2ELNS1_11target_archE906ELNS1_3gpuE6ELNS1_3repE0EEENS1_30default_config_static_selectorELNS0_4arch9wavefront6targetE1EEEvSK_
                                        ; -- End function
	.set _ZN7rocprim17ROCPRIM_400000_NS6detail17trampoline_kernelINS0_14default_configENS1_36segmented_radix_sort_config_selectorIdlEEZNS1_25segmented_radix_sort_implIS3_Lb1EPKdPdPKlPlN2at6native12_GLOBAL__N_18offset_tEEE10hipError_tPvRmT1_PNSt15iterator_traitsISK_E10value_typeET2_T3_PNSL_ISQ_E10value_typeET4_jRbjT5_SW_jjP12ihipStream_tbEUlT_E_NS1_11comp_targetILNS1_3genE2ELNS1_11target_archE906ELNS1_3gpuE6ELNS1_3repE0EEENS1_30default_config_static_selectorELNS0_4arch9wavefront6targetE1EEEvSK_.num_vgpr, max(226, .L_ZN7rocprim17ROCPRIM_400000_NS6detail40segmented_radix_sort_single_block_helperIdlLj256ELj16ELb1EE4sortIPKdPdPKlPlEEbT_T0_T1_T2_jjjjRNS3_12storage_typeE.num_vgpr)
	.set _ZN7rocprim17ROCPRIM_400000_NS6detail17trampoline_kernelINS0_14default_configENS1_36segmented_radix_sort_config_selectorIdlEEZNS1_25segmented_radix_sort_implIS3_Lb1EPKdPdPKlPlN2at6native12_GLOBAL__N_18offset_tEEE10hipError_tPvRmT1_PNSt15iterator_traitsISK_E10value_typeET2_T3_PNSL_ISQ_E10value_typeET4_jRbjT5_SW_jjP12ihipStream_tbEUlT_E_NS1_11comp_targetILNS1_3genE2ELNS1_11target_archE906ELNS1_3gpuE6ELNS1_3repE0EEENS1_30default_config_static_selectorELNS0_4arch9wavefront6targetE1EEEvSK_.num_agpr, max(0, .L_ZN7rocprim17ROCPRIM_400000_NS6detail40segmented_radix_sort_single_block_helperIdlLj256ELj16ELb1EE4sortIPKdPdPKlPlEEbT_T0_T1_T2_jjjjRNS3_12storage_typeE.num_agpr)
	.set _ZN7rocprim17ROCPRIM_400000_NS6detail17trampoline_kernelINS0_14default_configENS1_36segmented_radix_sort_config_selectorIdlEEZNS1_25segmented_radix_sort_implIS3_Lb1EPKdPdPKlPlN2at6native12_GLOBAL__N_18offset_tEEE10hipError_tPvRmT1_PNSt15iterator_traitsISK_E10value_typeET2_T3_PNSL_ISQ_E10value_typeET4_jRbjT5_SW_jjP12ihipStream_tbEUlT_E_NS1_11comp_targetILNS1_3genE2ELNS1_11target_archE906ELNS1_3gpuE6ELNS1_3repE0EEENS1_30default_config_static_selectorELNS0_4arch9wavefront6targetE1EEEvSK_.numbered_sgpr, max(100, .L_ZN7rocprim17ROCPRIM_400000_NS6detail40segmented_radix_sort_single_block_helperIdlLj256ELj16ELb1EE4sortIPKdPdPKlPlEEbT_T0_T1_T2_jjjjRNS3_12storage_typeE.numbered_sgpr)
	.set _ZN7rocprim17ROCPRIM_400000_NS6detail17trampoline_kernelINS0_14default_configENS1_36segmented_radix_sort_config_selectorIdlEEZNS1_25segmented_radix_sort_implIS3_Lb1EPKdPdPKlPlN2at6native12_GLOBAL__N_18offset_tEEE10hipError_tPvRmT1_PNSt15iterator_traitsISK_E10value_typeET2_T3_PNSL_ISQ_E10value_typeET4_jRbjT5_SW_jjP12ihipStream_tbEUlT_E_NS1_11comp_targetILNS1_3genE2ELNS1_11target_archE906ELNS1_3gpuE6ELNS1_3repE0EEENS1_30default_config_static_selectorELNS0_4arch9wavefront6targetE1EEEvSK_.num_named_barrier, max(0, .L_ZN7rocprim17ROCPRIM_400000_NS6detail40segmented_radix_sort_single_block_helperIdlLj256ELj16ELb1EE4sortIPKdPdPKlPlEEbT_T0_T1_T2_jjjjRNS3_12storage_typeE.num_named_barrier)
	.set _ZN7rocprim17ROCPRIM_400000_NS6detail17trampoline_kernelINS0_14default_configENS1_36segmented_radix_sort_config_selectorIdlEEZNS1_25segmented_radix_sort_implIS3_Lb1EPKdPdPKlPlN2at6native12_GLOBAL__N_18offset_tEEE10hipError_tPvRmT1_PNSt15iterator_traitsISK_E10value_typeET2_T3_PNSL_ISQ_E10value_typeET4_jRbjT5_SW_jjP12ihipStream_tbEUlT_E_NS1_11comp_targetILNS1_3genE2ELNS1_11target_archE906ELNS1_3gpuE6ELNS1_3repE0EEENS1_30default_config_static_selectorELNS0_4arch9wavefront6targetE1EEEvSK_.private_seg_size, 0+max(.L_ZN7rocprim17ROCPRIM_400000_NS6detail40segmented_radix_sort_single_block_helperIdlLj256ELj16ELb1EE4sortIPKdPdPKlPlEEbT_T0_T1_T2_jjjjRNS3_12storage_typeE.private_seg_size)
	.set _ZN7rocprim17ROCPRIM_400000_NS6detail17trampoline_kernelINS0_14default_configENS1_36segmented_radix_sort_config_selectorIdlEEZNS1_25segmented_radix_sort_implIS3_Lb1EPKdPdPKlPlN2at6native12_GLOBAL__N_18offset_tEEE10hipError_tPvRmT1_PNSt15iterator_traitsISK_E10value_typeET2_T3_PNSL_ISQ_E10value_typeET4_jRbjT5_SW_jjP12ihipStream_tbEUlT_E_NS1_11comp_targetILNS1_3genE2ELNS1_11target_archE906ELNS1_3gpuE6ELNS1_3repE0EEENS1_30default_config_static_selectorELNS0_4arch9wavefront6targetE1EEEvSK_.uses_vcc, or(1, .L_ZN7rocprim17ROCPRIM_400000_NS6detail40segmented_radix_sort_single_block_helperIdlLj256ELj16ELb1EE4sortIPKdPdPKlPlEEbT_T0_T1_T2_jjjjRNS3_12storage_typeE.uses_vcc)
	.set _ZN7rocprim17ROCPRIM_400000_NS6detail17trampoline_kernelINS0_14default_configENS1_36segmented_radix_sort_config_selectorIdlEEZNS1_25segmented_radix_sort_implIS3_Lb1EPKdPdPKlPlN2at6native12_GLOBAL__N_18offset_tEEE10hipError_tPvRmT1_PNSt15iterator_traitsISK_E10value_typeET2_T3_PNSL_ISQ_E10value_typeET4_jRbjT5_SW_jjP12ihipStream_tbEUlT_E_NS1_11comp_targetILNS1_3genE2ELNS1_11target_archE906ELNS1_3gpuE6ELNS1_3repE0EEENS1_30default_config_static_selectorELNS0_4arch9wavefront6targetE1EEEvSK_.uses_flat_scratch, or(0, .L_ZN7rocprim17ROCPRIM_400000_NS6detail40segmented_radix_sort_single_block_helperIdlLj256ELj16ELb1EE4sortIPKdPdPKlPlEEbT_T0_T1_T2_jjjjRNS3_12storage_typeE.uses_flat_scratch)
	.set _ZN7rocprim17ROCPRIM_400000_NS6detail17trampoline_kernelINS0_14default_configENS1_36segmented_radix_sort_config_selectorIdlEEZNS1_25segmented_radix_sort_implIS3_Lb1EPKdPdPKlPlN2at6native12_GLOBAL__N_18offset_tEEE10hipError_tPvRmT1_PNSt15iterator_traitsISK_E10value_typeET2_T3_PNSL_ISQ_E10value_typeET4_jRbjT5_SW_jjP12ihipStream_tbEUlT_E_NS1_11comp_targetILNS1_3genE2ELNS1_11target_archE906ELNS1_3gpuE6ELNS1_3repE0EEENS1_30default_config_static_selectorELNS0_4arch9wavefront6targetE1EEEvSK_.has_dyn_sized_stack, or(0, .L_ZN7rocprim17ROCPRIM_400000_NS6detail40segmented_radix_sort_single_block_helperIdlLj256ELj16ELb1EE4sortIPKdPdPKlPlEEbT_T0_T1_T2_jjjjRNS3_12storage_typeE.has_dyn_sized_stack)
	.set _ZN7rocprim17ROCPRIM_400000_NS6detail17trampoline_kernelINS0_14default_configENS1_36segmented_radix_sort_config_selectorIdlEEZNS1_25segmented_radix_sort_implIS3_Lb1EPKdPdPKlPlN2at6native12_GLOBAL__N_18offset_tEEE10hipError_tPvRmT1_PNSt15iterator_traitsISK_E10value_typeET2_T3_PNSL_ISQ_E10value_typeET4_jRbjT5_SW_jjP12ihipStream_tbEUlT_E_NS1_11comp_targetILNS1_3genE2ELNS1_11target_archE906ELNS1_3gpuE6ELNS1_3repE0EEENS1_30default_config_static_selectorELNS0_4arch9wavefront6targetE1EEEvSK_.has_recursion, or(0, .L_ZN7rocprim17ROCPRIM_400000_NS6detail40segmented_radix_sort_single_block_helperIdlLj256ELj16ELb1EE4sortIPKdPdPKlPlEEbT_T0_T1_T2_jjjjRNS3_12storage_typeE.has_recursion)
	.set _ZN7rocprim17ROCPRIM_400000_NS6detail17trampoline_kernelINS0_14default_configENS1_36segmented_radix_sort_config_selectorIdlEEZNS1_25segmented_radix_sort_implIS3_Lb1EPKdPdPKlPlN2at6native12_GLOBAL__N_18offset_tEEE10hipError_tPvRmT1_PNSt15iterator_traitsISK_E10value_typeET2_T3_PNSL_ISQ_E10value_typeET4_jRbjT5_SW_jjP12ihipStream_tbEUlT_E_NS1_11comp_targetILNS1_3genE2ELNS1_11target_archE906ELNS1_3gpuE6ELNS1_3repE0EEENS1_30default_config_static_selectorELNS0_4arch9wavefront6targetE1EEEvSK_.has_indirect_call, or(0, .L_ZN7rocprim17ROCPRIM_400000_NS6detail40segmented_radix_sort_single_block_helperIdlLj256ELj16ELb1EE4sortIPKdPdPKlPlEEbT_T0_T1_T2_jjjjRNS3_12storage_typeE.has_indirect_call)
	.section	.AMDGPU.csdata,"",@progbits
; Kernel info:
; codeLenInByte = 72868
; TotalNumSgprs: 104
; NumVgprs: 248
; ScratchSize: 164
; MemoryBound: 0
; FloatMode: 240
; IeeeMode: 1
; LDSByteSize: 33808 bytes/workgroup (compile time only)
; SGPRBlocks: 12
; VGPRBlocks: 61
; NumSGPRsForWavesPerEU: 104
; NumVGPRsForWavesPerEU: 248
; Occupancy: 1
; WaveLimiterHint : 1
; COMPUTE_PGM_RSRC2:SCRATCH_EN: 1
; COMPUTE_PGM_RSRC2:USER_SGPR: 6
; COMPUTE_PGM_RSRC2:TRAP_HANDLER: 0
; COMPUTE_PGM_RSRC2:TGID_X_EN: 1
; COMPUTE_PGM_RSRC2:TGID_Y_EN: 1
; COMPUTE_PGM_RSRC2:TGID_Z_EN: 0
; COMPUTE_PGM_RSRC2:TIDIG_COMP_CNT: 2
	.section	.text._ZN7rocprim17ROCPRIM_400000_NS6detail17trampoline_kernelINS0_14default_configENS1_36segmented_radix_sort_config_selectorIdlEEZNS1_25segmented_radix_sort_implIS3_Lb1EPKdPdPKlPlN2at6native12_GLOBAL__N_18offset_tEEE10hipError_tPvRmT1_PNSt15iterator_traitsISK_E10value_typeET2_T3_PNSL_ISQ_E10value_typeET4_jRbjT5_SW_jjP12ihipStream_tbEUlT_E_NS1_11comp_targetILNS1_3genE10ELNS1_11target_archE1201ELNS1_3gpuE5ELNS1_3repE0EEENS1_30default_config_static_selectorELNS0_4arch9wavefront6targetE1EEEvSK_,"axG",@progbits,_ZN7rocprim17ROCPRIM_400000_NS6detail17trampoline_kernelINS0_14default_configENS1_36segmented_radix_sort_config_selectorIdlEEZNS1_25segmented_radix_sort_implIS3_Lb1EPKdPdPKlPlN2at6native12_GLOBAL__N_18offset_tEEE10hipError_tPvRmT1_PNSt15iterator_traitsISK_E10value_typeET2_T3_PNSL_ISQ_E10value_typeET4_jRbjT5_SW_jjP12ihipStream_tbEUlT_E_NS1_11comp_targetILNS1_3genE10ELNS1_11target_archE1201ELNS1_3gpuE5ELNS1_3repE0EEENS1_30default_config_static_selectorELNS0_4arch9wavefront6targetE1EEEvSK_,comdat
	.globl	_ZN7rocprim17ROCPRIM_400000_NS6detail17trampoline_kernelINS0_14default_configENS1_36segmented_radix_sort_config_selectorIdlEEZNS1_25segmented_radix_sort_implIS3_Lb1EPKdPdPKlPlN2at6native12_GLOBAL__N_18offset_tEEE10hipError_tPvRmT1_PNSt15iterator_traitsISK_E10value_typeET2_T3_PNSL_ISQ_E10value_typeET4_jRbjT5_SW_jjP12ihipStream_tbEUlT_E_NS1_11comp_targetILNS1_3genE10ELNS1_11target_archE1201ELNS1_3gpuE5ELNS1_3repE0EEENS1_30default_config_static_selectorELNS0_4arch9wavefront6targetE1EEEvSK_ ; -- Begin function _ZN7rocprim17ROCPRIM_400000_NS6detail17trampoline_kernelINS0_14default_configENS1_36segmented_radix_sort_config_selectorIdlEEZNS1_25segmented_radix_sort_implIS3_Lb1EPKdPdPKlPlN2at6native12_GLOBAL__N_18offset_tEEE10hipError_tPvRmT1_PNSt15iterator_traitsISK_E10value_typeET2_T3_PNSL_ISQ_E10value_typeET4_jRbjT5_SW_jjP12ihipStream_tbEUlT_E_NS1_11comp_targetILNS1_3genE10ELNS1_11target_archE1201ELNS1_3gpuE5ELNS1_3repE0EEENS1_30default_config_static_selectorELNS0_4arch9wavefront6targetE1EEEvSK_
	.p2align	8
	.type	_ZN7rocprim17ROCPRIM_400000_NS6detail17trampoline_kernelINS0_14default_configENS1_36segmented_radix_sort_config_selectorIdlEEZNS1_25segmented_radix_sort_implIS3_Lb1EPKdPdPKlPlN2at6native12_GLOBAL__N_18offset_tEEE10hipError_tPvRmT1_PNSt15iterator_traitsISK_E10value_typeET2_T3_PNSL_ISQ_E10value_typeET4_jRbjT5_SW_jjP12ihipStream_tbEUlT_E_NS1_11comp_targetILNS1_3genE10ELNS1_11target_archE1201ELNS1_3gpuE5ELNS1_3repE0EEENS1_30default_config_static_selectorELNS0_4arch9wavefront6targetE1EEEvSK_,@function
_ZN7rocprim17ROCPRIM_400000_NS6detail17trampoline_kernelINS0_14default_configENS1_36segmented_radix_sort_config_selectorIdlEEZNS1_25segmented_radix_sort_implIS3_Lb1EPKdPdPKlPlN2at6native12_GLOBAL__N_18offset_tEEE10hipError_tPvRmT1_PNSt15iterator_traitsISK_E10value_typeET2_T3_PNSL_ISQ_E10value_typeET4_jRbjT5_SW_jjP12ihipStream_tbEUlT_E_NS1_11comp_targetILNS1_3genE10ELNS1_11target_archE1201ELNS1_3gpuE5ELNS1_3repE0EEENS1_30default_config_static_selectorELNS0_4arch9wavefront6targetE1EEEvSK_: ; @_ZN7rocprim17ROCPRIM_400000_NS6detail17trampoline_kernelINS0_14default_configENS1_36segmented_radix_sort_config_selectorIdlEEZNS1_25segmented_radix_sort_implIS3_Lb1EPKdPdPKlPlN2at6native12_GLOBAL__N_18offset_tEEE10hipError_tPvRmT1_PNSt15iterator_traitsISK_E10value_typeET2_T3_PNSL_ISQ_E10value_typeET4_jRbjT5_SW_jjP12ihipStream_tbEUlT_E_NS1_11comp_targetILNS1_3genE10ELNS1_11target_archE1201ELNS1_3gpuE5ELNS1_3repE0EEENS1_30default_config_static_selectorELNS0_4arch9wavefront6targetE1EEEvSK_
; %bb.0:
	.section	.rodata,"a",@progbits
	.p2align	6, 0x0
	.amdhsa_kernel _ZN7rocprim17ROCPRIM_400000_NS6detail17trampoline_kernelINS0_14default_configENS1_36segmented_radix_sort_config_selectorIdlEEZNS1_25segmented_radix_sort_implIS3_Lb1EPKdPdPKlPlN2at6native12_GLOBAL__N_18offset_tEEE10hipError_tPvRmT1_PNSt15iterator_traitsISK_E10value_typeET2_T3_PNSL_ISQ_E10value_typeET4_jRbjT5_SW_jjP12ihipStream_tbEUlT_E_NS1_11comp_targetILNS1_3genE10ELNS1_11target_archE1201ELNS1_3gpuE5ELNS1_3repE0EEENS1_30default_config_static_selectorELNS0_4arch9wavefront6targetE1EEEvSK_
		.amdhsa_group_segment_fixed_size 0
		.amdhsa_private_segment_fixed_size 0
		.amdhsa_kernarg_size 96
		.amdhsa_user_sgpr_count 6
		.amdhsa_user_sgpr_private_segment_buffer 1
		.amdhsa_user_sgpr_dispatch_ptr 0
		.amdhsa_user_sgpr_queue_ptr 0
		.amdhsa_user_sgpr_kernarg_segment_ptr 1
		.amdhsa_user_sgpr_dispatch_id 0
		.amdhsa_user_sgpr_flat_scratch_init 0
		.amdhsa_user_sgpr_private_segment_size 0
		.amdhsa_uses_dynamic_stack 0
		.amdhsa_system_sgpr_private_segment_wavefront_offset 0
		.amdhsa_system_sgpr_workgroup_id_x 1
		.amdhsa_system_sgpr_workgroup_id_y 0
		.amdhsa_system_sgpr_workgroup_id_z 0
		.amdhsa_system_sgpr_workgroup_info 0
		.amdhsa_system_vgpr_workitem_id 0
		.amdhsa_next_free_vgpr 1
		.amdhsa_next_free_sgpr 0
		.amdhsa_reserve_vcc 0
		.amdhsa_reserve_flat_scratch 0
		.amdhsa_float_round_mode_32 0
		.amdhsa_float_round_mode_16_64 0
		.amdhsa_float_denorm_mode_32 3
		.amdhsa_float_denorm_mode_16_64 3
		.amdhsa_dx10_clamp 1
		.amdhsa_ieee_mode 1
		.amdhsa_fp16_overflow 0
		.amdhsa_exception_fp_ieee_invalid_op 0
		.amdhsa_exception_fp_denorm_src 0
		.amdhsa_exception_fp_ieee_div_zero 0
		.amdhsa_exception_fp_ieee_overflow 0
		.amdhsa_exception_fp_ieee_underflow 0
		.amdhsa_exception_fp_ieee_inexact 0
		.amdhsa_exception_int_div_zero 0
	.end_amdhsa_kernel
	.section	.text._ZN7rocprim17ROCPRIM_400000_NS6detail17trampoline_kernelINS0_14default_configENS1_36segmented_radix_sort_config_selectorIdlEEZNS1_25segmented_radix_sort_implIS3_Lb1EPKdPdPKlPlN2at6native12_GLOBAL__N_18offset_tEEE10hipError_tPvRmT1_PNSt15iterator_traitsISK_E10value_typeET2_T3_PNSL_ISQ_E10value_typeET4_jRbjT5_SW_jjP12ihipStream_tbEUlT_E_NS1_11comp_targetILNS1_3genE10ELNS1_11target_archE1201ELNS1_3gpuE5ELNS1_3repE0EEENS1_30default_config_static_selectorELNS0_4arch9wavefront6targetE1EEEvSK_,"axG",@progbits,_ZN7rocprim17ROCPRIM_400000_NS6detail17trampoline_kernelINS0_14default_configENS1_36segmented_radix_sort_config_selectorIdlEEZNS1_25segmented_radix_sort_implIS3_Lb1EPKdPdPKlPlN2at6native12_GLOBAL__N_18offset_tEEE10hipError_tPvRmT1_PNSt15iterator_traitsISK_E10value_typeET2_T3_PNSL_ISQ_E10value_typeET4_jRbjT5_SW_jjP12ihipStream_tbEUlT_E_NS1_11comp_targetILNS1_3genE10ELNS1_11target_archE1201ELNS1_3gpuE5ELNS1_3repE0EEENS1_30default_config_static_selectorELNS0_4arch9wavefront6targetE1EEEvSK_,comdat
.Lfunc_end1124:
	.size	_ZN7rocprim17ROCPRIM_400000_NS6detail17trampoline_kernelINS0_14default_configENS1_36segmented_radix_sort_config_selectorIdlEEZNS1_25segmented_radix_sort_implIS3_Lb1EPKdPdPKlPlN2at6native12_GLOBAL__N_18offset_tEEE10hipError_tPvRmT1_PNSt15iterator_traitsISK_E10value_typeET2_T3_PNSL_ISQ_E10value_typeET4_jRbjT5_SW_jjP12ihipStream_tbEUlT_E_NS1_11comp_targetILNS1_3genE10ELNS1_11target_archE1201ELNS1_3gpuE5ELNS1_3repE0EEENS1_30default_config_static_selectorELNS0_4arch9wavefront6targetE1EEEvSK_, .Lfunc_end1124-_ZN7rocprim17ROCPRIM_400000_NS6detail17trampoline_kernelINS0_14default_configENS1_36segmented_radix_sort_config_selectorIdlEEZNS1_25segmented_radix_sort_implIS3_Lb1EPKdPdPKlPlN2at6native12_GLOBAL__N_18offset_tEEE10hipError_tPvRmT1_PNSt15iterator_traitsISK_E10value_typeET2_T3_PNSL_ISQ_E10value_typeET4_jRbjT5_SW_jjP12ihipStream_tbEUlT_E_NS1_11comp_targetILNS1_3genE10ELNS1_11target_archE1201ELNS1_3gpuE5ELNS1_3repE0EEENS1_30default_config_static_selectorELNS0_4arch9wavefront6targetE1EEEvSK_
                                        ; -- End function
	.set _ZN7rocprim17ROCPRIM_400000_NS6detail17trampoline_kernelINS0_14default_configENS1_36segmented_radix_sort_config_selectorIdlEEZNS1_25segmented_radix_sort_implIS3_Lb1EPKdPdPKlPlN2at6native12_GLOBAL__N_18offset_tEEE10hipError_tPvRmT1_PNSt15iterator_traitsISK_E10value_typeET2_T3_PNSL_ISQ_E10value_typeET4_jRbjT5_SW_jjP12ihipStream_tbEUlT_E_NS1_11comp_targetILNS1_3genE10ELNS1_11target_archE1201ELNS1_3gpuE5ELNS1_3repE0EEENS1_30default_config_static_selectorELNS0_4arch9wavefront6targetE1EEEvSK_.num_vgpr, 0
	.set _ZN7rocprim17ROCPRIM_400000_NS6detail17trampoline_kernelINS0_14default_configENS1_36segmented_radix_sort_config_selectorIdlEEZNS1_25segmented_radix_sort_implIS3_Lb1EPKdPdPKlPlN2at6native12_GLOBAL__N_18offset_tEEE10hipError_tPvRmT1_PNSt15iterator_traitsISK_E10value_typeET2_T3_PNSL_ISQ_E10value_typeET4_jRbjT5_SW_jjP12ihipStream_tbEUlT_E_NS1_11comp_targetILNS1_3genE10ELNS1_11target_archE1201ELNS1_3gpuE5ELNS1_3repE0EEENS1_30default_config_static_selectorELNS0_4arch9wavefront6targetE1EEEvSK_.num_agpr, 0
	.set _ZN7rocprim17ROCPRIM_400000_NS6detail17trampoline_kernelINS0_14default_configENS1_36segmented_radix_sort_config_selectorIdlEEZNS1_25segmented_radix_sort_implIS3_Lb1EPKdPdPKlPlN2at6native12_GLOBAL__N_18offset_tEEE10hipError_tPvRmT1_PNSt15iterator_traitsISK_E10value_typeET2_T3_PNSL_ISQ_E10value_typeET4_jRbjT5_SW_jjP12ihipStream_tbEUlT_E_NS1_11comp_targetILNS1_3genE10ELNS1_11target_archE1201ELNS1_3gpuE5ELNS1_3repE0EEENS1_30default_config_static_selectorELNS0_4arch9wavefront6targetE1EEEvSK_.numbered_sgpr, 0
	.set _ZN7rocprim17ROCPRIM_400000_NS6detail17trampoline_kernelINS0_14default_configENS1_36segmented_radix_sort_config_selectorIdlEEZNS1_25segmented_radix_sort_implIS3_Lb1EPKdPdPKlPlN2at6native12_GLOBAL__N_18offset_tEEE10hipError_tPvRmT1_PNSt15iterator_traitsISK_E10value_typeET2_T3_PNSL_ISQ_E10value_typeET4_jRbjT5_SW_jjP12ihipStream_tbEUlT_E_NS1_11comp_targetILNS1_3genE10ELNS1_11target_archE1201ELNS1_3gpuE5ELNS1_3repE0EEENS1_30default_config_static_selectorELNS0_4arch9wavefront6targetE1EEEvSK_.num_named_barrier, 0
	.set _ZN7rocprim17ROCPRIM_400000_NS6detail17trampoline_kernelINS0_14default_configENS1_36segmented_radix_sort_config_selectorIdlEEZNS1_25segmented_radix_sort_implIS3_Lb1EPKdPdPKlPlN2at6native12_GLOBAL__N_18offset_tEEE10hipError_tPvRmT1_PNSt15iterator_traitsISK_E10value_typeET2_T3_PNSL_ISQ_E10value_typeET4_jRbjT5_SW_jjP12ihipStream_tbEUlT_E_NS1_11comp_targetILNS1_3genE10ELNS1_11target_archE1201ELNS1_3gpuE5ELNS1_3repE0EEENS1_30default_config_static_selectorELNS0_4arch9wavefront6targetE1EEEvSK_.private_seg_size, 0
	.set _ZN7rocprim17ROCPRIM_400000_NS6detail17trampoline_kernelINS0_14default_configENS1_36segmented_radix_sort_config_selectorIdlEEZNS1_25segmented_radix_sort_implIS3_Lb1EPKdPdPKlPlN2at6native12_GLOBAL__N_18offset_tEEE10hipError_tPvRmT1_PNSt15iterator_traitsISK_E10value_typeET2_T3_PNSL_ISQ_E10value_typeET4_jRbjT5_SW_jjP12ihipStream_tbEUlT_E_NS1_11comp_targetILNS1_3genE10ELNS1_11target_archE1201ELNS1_3gpuE5ELNS1_3repE0EEENS1_30default_config_static_selectorELNS0_4arch9wavefront6targetE1EEEvSK_.uses_vcc, 0
	.set _ZN7rocprim17ROCPRIM_400000_NS6detail17trampoline_kernelINS0_14default_configENS1_36segmented_radix_sort_config_selectorIdlEEZNS1_25segmented_radix_sort_implIS3_Lb1EPKdPdPKlPlN2at6native12_GLOBAL__N_18offset_tEEE10hipError_tPvRmT1_PNSt15iterator_traitsISK_E10value_typeET2_T3_PNSL_ISQ_E10value_typeET4_jRbjT5_SW_jjP12ihipStream_tbEUlT_E_NS1_11comp_targetILNS1_3genE10ELNS1_11target_archE1201ELNS1_3gpuE5ELNS1_3repE0EEENS1_30default_config_static_selectorELNS0_4arch9wavefront6targetE1EEEvSK_.uses_flat_scratch, 0
	.set _ZN7rocprim17ROCPRIM_400000_NS6detail17trampoline_kernelINS0_14default_configENS1_36segmented_radix_sort_config_selectorIdlEEZNS1_25segmented_radix_sort_implIS3_Lb1EPKdPdPKlPlN2at6native12_GLOBAL__N_18offset_tEEE10hipError_tPvRmT1_PNSt15iterator_traitsISK_E10value_typeET2_T3_PNSL_ISQ_E10value_typeET4_jRbjT5_SW_jjP12ihipStream_tbEUlT_E_NS1_11comp_targetILNS1_3genE10ELNS1_11target_archE1201ELNS1_3gpuE5ELNS1_3repE0EEENS1_30default_config_static_selectorELNS0_4arch9wavefront6targetE1EEEvSK_.has_dyn_sized_stack, 0
	.set _ZN7rocprim17ROCPRIM_400000_NS6detail17trampoline_kernelINS0_14default_configENS1_36segmented_radix_sort_config_selectorIdlEEZNS1_25segmented_radix_sort_implIS3_Lb1EPKdPdPKlPlN2at6native12_GLOBAL__N_18offset_tEEE10hipError_tPvRmT1_PNSt15iterator_traitsISK_E10value_typeET2_T3_PNSL_ISQ_E10value_typeET4_jRbjT5_SW_jjP12ihipStream_tbEUlT_E_NS1_11comp_targetILNS1_3genE10ELNS1_11target_archE1201ELNS1_3gpuE5ELNS1_3repE0EEENS1_30default_config_static_selectorELNS0_4arch9wavefront6targetE1EEEvSK_.has_recursion, 0
	.set _ZN7rocprim17ROCPRIM_400000_NS6detail17trampoline_kernelINS0_14default_configENS1_36segmented_radix_sort_config_selectorIdlEEZNS1_25segmented_radix_sort_implIS3_Lb1EPKdPdPKlPlN2at6native12_GLOBAL__N_18offset_tEEE10hipError_tPvRmT1_PNSt15iterator_traitsISK_E10value_typeET2_T3_PNSL_ISQ_E10value_typeET4_jRbjT5_SW_jjP12ihipStream_tbEUlT_E_NS1_11comp_targetILNS1_3genE10ELNS1_11target_archE1201ELNS1_3gpuE5ELNS1_3repE0EEENS1_30default_config_static_selectorELNS0_4arch9wavefront6targetE1EEEvSK_.has_indirect_call, 0
	.section	.AMDGPU.csdata,"",@progbits
; Kernel info:
; codeLenInByte = 0
; TotalNumSgprs: 4
; NumVgprs: 0
; ScratchSize: 0
; MemoryBound: 0
; FloatMode: 240
; IeeeMode: 1
; LDSByteSize: 0 bytes/workgroup (compile time only)
; SGPRBlocks: 0
; VGPRBlocks: 0
; NumSGPRsForWavesPerEU: 4
; NumVGPRsForWavesPerEU: 1
; Occupancy: 10
; WaveLimiterHint : 0
; COMPUTE_PGM_RSRC2:SCRATCH_EN: 0
; COMPUTE_PGM_RSRC2:USER_SGPR: 6
; COMPUTE_PGM_RSRC2:TRAP_HANDLER: 0
; COMPUTE_PGM_RSRC2:TGID_X_EN: 1
; COMPUTE_PGM_RSRC2:TGID_Y_EN: 0
; COMPUTE_PGM_RSRC2:TGID_Z_EN: 0
; COMPUTE_PGM_RSRC2:TIDIG_COMP_CNT: 0
	.section	.text._ZN7rocprim17ROCPRIM_400000_NS6detail17trampoline_kernelINS0_14default_configENS1_36segmented_radix_sort_config_selectorIdlEEZNS1_25segmented_radix_sort_implIS3_Lb1EPKdPdPKlPlN2at6native12_GLOBAL__N_18offset_tEEE10hipError_tPvRmT1_PNSt15iterator_traitsISK_E10value_typeET2_T3_PNSL_ISQ_E10value_typeET4_jRbjT5_SW_jjP12ihipStream_tbEUlT_E_NS1_11comp_targetILNS1_3genE10ELNS1_11target_archE1200ELNS1_3gpuE4ELNS1_3repE0EEENS1_30default_config_static_selectorELNS0_4arch9wavefront6targetE1EEEvSK_,"axG",@progbits,_ZN7rocprim17ROCPRIM_400000_NS6detail17trampoline_kernelINS0_14default_configENS1_36segmented_radix_sort_config_selectorIdlEEZNS1_25segmented_radix_sort_implIS3_Lb1EPKdPdPKlPlN2at6native12_GLOBAL__N_18offset_tEEE10hipError_tPvRmT1_PNSt15iterator_traitsISK_E10value_typeET2_T3_PNSL_ISQ_E10value_typeET4_jRbjT5_SW_jjP12ihipStream_tbEUlT_E_NS1_11comp_targetILNS1_3genE10ELNS1_11target_archE1200ELNS1_3gpuE4ELNS1_3repE0EEENS1_30default_config_static_selectorELNS0_4arch9wavefront6targetE1EEEvSK_,comdat
	.globl	_ZN7rocprim17ROCPRIM_400000_NS6detail17trampoline_kernelINS0_14default_configENS1_36segmented_radix_sort_config_selectorIdlEEZNS1_25segmented_radix_sort_implIS3_Lb1EPKdPdPKlPlN2at6native12_GLOBAL__N_18offset_tEEE10hipError_tPvRmT1_PNSt15iterator_traitsISK_E10value_typeET2_T3_PNSL_ISQ_E10value_typeET4_jRbjT5_SW_jjP12ihipStream_tbEUlT_E_NS1_11comp_targetILNS1_3genE10ELNS1_11target_archE1200ELNS1_3gpuE4ELNS1_3repE0EEENS1_30default_config_static_selectorELNS0_4arch9wavefront6targetE1EEEvSK_ ; -- Begin function _ZN7rocprim17ROCPRIM_400000_NS6detail17trampoline_kernelINS0_14default_configENS1_36segmented_radix_sort_config_selectorIdlEEZNS1_25segmented_radix_sort_implIS3_Lb1EPKdPdPKlPlN2at6native12_GLOBAL__N_18offset_tEEE10hipError_tPvRmT1_PNSt15iterator_traitsISK_E10value_typeET2_T3_PNSL_ISQ_E10value_typeET4_jRbjT5_SW_jjP12ihipStream_tbEUlT_E_NS1_11comp_targetILNS1_3genE10ELNS1_11target_archE1200ELNS1_3gpuE4ELNS1_3repE0EEENS1_30default_config_static_selectorELNS0_4arch9wavefront6targetE1EEEvSK_
	.p2align	8
	.type	_ZN7rocprim17ROCPRIM_400000_NS6detail17trampoline_kernelINS0_14default_configENS1_36segmented_radix_sort_config_selectorIdlEEZNS1_25segmented_radix_sort_implIS3_Lb1EPKdPdPKlPlN2at6native12_GLOBAL__N_18offset_tEEE10hipError_tPvRmT1_PNSt15iterator_traitsISK_E10value_typeET2_T3_PNSL_ISQ_E10value_typeET4_jRbjT5_SW_jjP12ihipStream_tbEUlT_E_NS1_11comp_targetILNS1_3genE10ELNS1_11target_archE1200ELNS1_3gpuE4ELNS1_3repE0EEENS1_30default_config_static_selectorELNS0_4arch9wavefront6targetE1EEEvSK_,@function
_ZN7rocprim17ROCPRIM_400000_NS6detail17trampoline_kernelINS0_14default_configENS1_36segmented_radix_sort_config_selectorIdlEEZNS1_25segmented_radix_sort_implIS3_Lb1EPKdPdPKlPlN2at6native12_GLOBAL__N_18offset_tEEE10hipError_tPvRmT1_PNSt15iterator_traitsISK_E10value_typeET2_T3_PNSL_ISQ_E10value_typeET4_jRbjT5_SW_jjP12ihipStream_tbEUlT_E_NS1_11comp_targetILNS1_3genE10ELNS1_11target_archE1200ELNS1_3gpuE4ELNS1_3repE0EEENS1_30default_config_static_selectorELNS0_4arch9wavefront6targetE1EEEvSK_: ; @_ZN7rocprim17ROCPRIM_400000_NS6detail17trampoline_kernelINS0_14default_configENS1_36segmented_radix_sort_config_selectorIdlEEZNS1_25segmented_radix_sort_implIS3_Lb1EPKdPdPKlPlN2at6native12_GLOBAL__N_18offset_tEEE10hipError_tPvRmT1_PNSt15iterator_traitsISK_E10value_typeET2_T3_PNSL_ISQ_E10value_typeET4_jRbjT5_SW_jjP12ihipStream_tbEUlT_E_NS1_11comp_targetILNS1_3genE10ELNS1_11target_archE1200ELNS1_3gpuE4ELNS1_3repE0EEENS1_30default_config_static_selectorELNS0_4arch9wavefront6targetE1EEEvSK_
; %bb.0:
	.section	.rodata,"a",@progbits
	.p2align	6, 0x0
	.amdhsa_kernel _ZN7rocprim17ROCPRIM_400000_NS6detail17trampoline_kernelINS0_14default_configENS1_36segmented_radix_sort_config_selectorIdlEEZNS1_25segmented_radix_sort_implIS3_Lb1EPKdPdPKlPlN2at6native12_GLOBAL__N_18offset_tEEE10hipError_tPvRmT1_PNSt15iterator_traitsISK_E10value_typeET2_T3_PNSL_ISQ_E10value_typeET4_jRbjT5_SW_jjP12ihipStream_tbEUlT_E_NS1_11comp_targetILNS1_3genE10ELNS1_11target_archE1200ELNS1_3gpuE4ELNS1_3repE0EEENS1_30default_config_static_selectorELNS0_4arch9wavefront6targetE1EEEvSK_
		.amdhsa_group_segment_fixed_size 0
		.amdhsa_private_segment_fixed_size 0
		.amdhsa_kernarg_size 96
		.amdhsa_user_sgpr_count 6
		.amdhsa_user_sgpr_private_segment_buffer 1
		.amdhsa_user_sgpr_dispatch_ptr 0
		.amdhsa_user_sgpr_queue_ptr 0
		.amdhsa_user_sgpr_kernarg_segment_ptr 1
		.amdhsa_user_sgpr_dispatch_id 0
		.amdhsa_user_sgpr_flat_scratch_init 0
		.amdhsa_user_sgpr_private_segment_size 0
		.amdhsa_uses_dynamic_stack 0
		.amdhsa_system_sgpr_private_segment_wavefront_offset 0
		.amdhsa_system_sgpr_workgroup_id_x 1
		.amdhsa_system_sgpr_workgroup_id_y 0
		.amdhsa_system_sgpr_workgroup_id_z 0
		.amdhsa_system_sgpr_workgroup_info 0
		.amdhsa_system_vgpr_workitem_id 0
		.amdhsa_next_free_vgpr 1
		.amdhsa_next_free_sgpr 0
		.amdhsa_reserve_vcc 0
		.amdhsa_reserve_flat_scratch 0
		.amdhsa_float_round_mode_32 0
		.amdhsa_float_round_mode_16_64 0
		.amdhsa_float_denorm_mode_32 3
		.amdhsa_float_denorm_mode_16_64 3
		.amdhsa_dx10_clamp 1
		.amdhsa_ieee_mode 1
		.amdhsa_fp16_overflow 0
		.amdhsa_exception_fp_ieee_invalid_op 0
		.amdhsa_exception_fp_denorm_src 0
		.amdhsa_exception_fp_ieee_div_zero 0
		.amdhsa_exception_fp_ieee_overflow 0
		.amdhsa_exception_fp_ieee_underflow 0
		.amdhsa_exception_fp_ieee_inexact 0
		.amdhsa_exception_int_div_zero 0
	.end_amdhsa_kernel
	.section	.text._ZN7rocprim17ROCPRIM_400000_NS6detail17trampoline_kernelINS0_14default_configENS1_36segmented_radix_sort_config_selectorIdlEEZNS1_25segmented_radix_sort_implIS3_Lb1EPKdPdPKlPlN2at6native12_GLOBAL__N_18offset_tEEE10hipError_tPvRmT1_PNSt15iterator_traitsISK_E10value_typeET2_T3_PNSL_ISQ_E10value_typeET4_jRbjT5_SW_jjP12ihipStream_tbEUlT_E_NS1_11comp_targetILNS1_3genE10ELNS1_11target_archE1200ELNS1_3gpuE4ELNS1_3repE0EEENS1_30default_config_static_selectorELNS0_4arch9wavefront6targetE1EEEvSK_,"axG",@progbits,_ZN7rocprim17ROCPRIM_400000_NS6detail17trampoline_kernelINS0_14default_configENS1_36segmented_radix_sort_config_selectorIdlEEZNS1_25segmented_radix_sort_implIS3_Lb1EPKdPdPKlPlN2at6native12_GLOBAL__N_18offset_tEEE10hipError_tPvRmT1_PNSt15iterator_traitsISK_E10value_typeET2_T3_PNSL_ISQ_E10value_typeET4_jRbjT5_SW_jjP12ihipStream_tbEUlT_E_NS1_11comp_targetILNS1_3genE10ELNS1_11target_archE1200ELNS1_3gpuE4ELNS1_3repE0EEENS1_30default_config_static_selectorELNS0_4arch9wavefront6targetE1EEEvSK_,comdat
.Lfunc_end1125:
	.size	_ZN7rocprim17ROCPRIM_400000_NS6detail17trampoline_kernelINS0_14default_configENS1_36segmented_radix_sort_config_selectorIdlEEZNS1_25segmented_radix_sort_implIS3_Lb1EPKdPdPKlPlN2at6native12_GLOBAL__N_18offset_tEEE10hipError_tPvRmT1_PNSt15iterator_traitsISK_E10value_typeET2_T3_PNSL_ISQ_E10value_typeET4_jRbjT5_SW_jjP12ihipStream_tbEUlT_E_NS1_11comp_targetILNS1_3genE10ELNS1_11target_archE1200ELNS1_3gpuE4ELNS1_3repE0EEENS1_30default_config_static_selectorELNS0_4arch9wavefront6targetE1EEEvSK_, .Lfunc_end1125-_ZN7rocprim17ROCPRIM_400000_NS6detail17trampoline_kernelINS0_14default_configENS1_36segmented_radix_sort_config_selectorIdlEEZNS1_25segmented_radix_sort_implIS3_Lb1EPKdPdPKlPlN2at6native12_GLOBAL__N_18offset_tEEE10hipError_tPvRmT1_PNSt15iterator_traitsISK_E10value_typeET2_T3_PNSL_ISQ_E10value_typeET4_jRbjT5_SW_jjP12ihipStream_tbEUlT_E_NS1_11comp_targetILNS1_3genE10ELNS1_11target_archE1200ELNS1_3gpuE4ELNS1_3repE0EEENS1_30default_config_static_selectorELNS0_4arch9wavefront6targetE1EEEvSK_
                                        ; -- End function
	.set _ZN7rocprim17ROCPRIM_400000_NS6detail17trampoline_kernelINS0_14default_configENS1_36segmented_radix_sort_config_selectorIdlEEZNS1_25segmented_radix_sort_implIS3_Lb1EPKdPdPKlPlN2at6native12_GLOBAL__N_18offset_tEEE10hipError_tPvRmT1_PNSt15iterator_traitsISK_E10value_typeET2_T3_PNSL_ISQ_E10value_typeET4_jRbjT5_SW_jjP12ihipStream_tbEUlT_E_NS1_11comp_targetILNS1_3genE10ELNS1_11target_archE1200ELNS1_3gpuE4ELNS1_3repE0EEENS1_30default_config_static_selectorELNS0_4arch9wavefront6targetE1EEEvSK_.num_vgpr, 0
	.set _ZN7rocprim17ROCPRIM_400000_NS6detail17trampoline_kernelINS0_14default_configENS1_36segmented_radix_sort_config_selectorIdlEEZNS1_25segmented_radix_sort_implIS3_Lb1EPKdPdPKlPlN2at6native12_GLOBAL__N_18offset_tEEE10hipError_tPvRmT1_PNSt15iterator_traitsISK_E10value_typeET2_T3_PNSL_ISQ_E10value_typeET4_jRbjT5_SW_jjP12ihipStream_tbEUlT_E_NS1_11comp_targetILNS1_3genE10ELNS1_11target_archE1200ELNS1_3gpuE4ELNS1_3repE0EEENS1_30default_config_static_selectorELNS0_4arch9wavefront6targetE1EEEvSK_.num_agpr, 0
	.set _ZN7rocprim17ROCPRIM_400000_NS6detail17trampoline_kernelINS0_14default_configENS1_36segmented_radix_sort_config_selectorIdlEEZNS1_25segmented_radix_sort_implIS3_Lb1EPKdPdPKlPlN2at6native12_GLOBAL__N_18offset_tEEE10hipError_tPvRmT1_PNSt15iterator_traitsISK_E10value_typeET2_T3_PNSL_ISQ_E10value_typeET4_jRbjT5_SW_jjP12ihipStream_tbEUlT_E_NS1_11comp_targetILNS1_3genE10ELNS1_11target_archE1200ELNS1_3gpuE4ELNS1_3repE0EEENS1_30default_config_static_selectorELNS0_4arch9wavefront6targetE1EEEvSK_.numbered_sgpr, 0
	.set _ZN7rocprim17ROCPRIM_400000_NS6detail17trampoline_kernelINS0_14default_configENS1_36segmented_radix_sort_config_selectorIdlEEZNS1_25segmented_radix_sort_implIS3_Lb1EPKdPdPKlPlN2at6native12_GLOBAL__N_18offset_tEEE10hipError_tPvRmT1_PNSt15iterator_traitsISK_E10value_typeET2_T3_PNSL_ISQ_E10value_typeET4_jRbjT5_SW_jjP12ihipStream_tbEUlT_E_NS1_11comp_targetILNS1_3genE10ELNS1_11target_archE1200ELNS1_3gpuE4ELNS1_3repE0EEENS1_30default_config_static_selectorELNS0_4arch9wavefront6targetE1EEEvSK_.num_named_barrier, 0
	.set _ZN7rocprim17ROCPRIM_400000_NS6detail17trampoline_kernelINS0_14default_configENS1_36segmented_radix_sort_config_selectorIdlEEZNS1_25segmented_radix_sort_implIS3_Lb1EPKdPdPKlPlN2at6native12_GLOBAL__N_18offset_tEEE10hipError_tPvRmT1_PNSt15iterator_traitsISK_E10value_typeET2_T3_PNSL_ISQ_E10value_typeET4_jRbjT5_SW_jjP12ihipStream_tbEUlT_E_NS1_11comp_targetILNS1_3genE10ELNS1_11target_archE1200ELNS1_3gpuE4ELNS1_3repE0EEENS1_30default_config_static_selectorELNS0_4arch9wavefront6targetE1EEEvSK_.private_seg_size, 0
	.set _ZN7rocprim17ROCPRIM_400000_NS6detail17trampoline_kernelINS0_14default_configENS1_36segmented_radix_sort_config_selectorIdlEEZNS1_25segmented_radix_sort_implIS3_Lb1EPKdPdPKlPlN2at6native12_GLOBAL__N_18offset_tEEE10hipError_tPvRmT1_PNSt15iterator_traitsISK_E10value_typeET2_T3_PNSL_ISQ_E10value_typeET4_jRbjT5_SW_jjP12ihipStream_tbEUlT_E_NS1_11comp_targetILNS1_3genE10ELNS1_11target_archE1200ELNS1_3gpuE4ELNS1_3repE0EEENS1_30default_config_static_selectorELNS0_4arch9wavefront6targetE1EEEvSK_.uses_vcc, 0
	.set _ZN7rocprim17ROCPRIM_400000_NS6detail17trampoline_kernelINS0_14default_configENS1_36segmented_radix_sort_config_selectorIdlEEZNS1_25segmented_radix_sort_implIS3_Lb1EPKdPdPKlPlN2at6native12_GLOBAL__N_18offset_tEEE10hipError_tPvRmT1_PNSt15iterator_traitsISK_E10value_typeET2_T3_PNSL_ISQ_E10value_typeET4_jRbjT5_SW_jjP12ihipStream_tbEUlT_E_NS1_11comp_targetILNS1_3genE10ELNS1_11target_archE1200ELNS1_3gpuE4ELNS1_3repE0EEENS1_30default_config_static_selectorELNS0_4arch9wavefront6targetE1EEEvSK_.uses_flat_scratch, 0
	.set _ZN7rocprim17ROCPRIM_400000_NS6detail17trampoline_kernelINS0_14default_configENS1_36segmented_radix_sort_config_selectorIdlEEZNS1_25segmented_radix_sort_implIS3_Lb1EPKdPdPKlPlN2at6native12_GLOBAL__N_18offset_tEEE10hipError_tPvRmT1_PNSt15iterator_traitsISK_E10value_typeET2_T3_PNSL_ISQ_E10value_typeET4_jRbjT5_SW_jjP12ihipStream_tbEUlT_E_NS1_11comp_targetILNS1_3genE10ELNS1_11target_archE1200ELNS1_3gpuE4ELNS1_3repE0EEENS1_30default_config_static_selectorELNS0_4arch9wavefront6targetE1EEEvSK_.has_dyn_sized_stack, 0
	.set _ZN7rocprim17ROCPRIM_400000_NS6detail17trampoline_kernelINS0_14default_configENS1_36segmented_radix_sort_config_selectorIdlEEZNS1_25segmented_radix_sort_implIS3_Lb1EPKdPdPKlPlN2at6native12_GLOBAL__N_18offset_tEEE10hipError_tPvRmT1_PNSt15iterator_traitsISK_E10value_typeET2_T3_PNSL_ISQ_E10value_typeET4_jRbjT5_SW_jjP12ihipStream_tbEUlT_E_NS1_11comp_targetILNS1_3genE10ELNS1_11target_archE1200ELNS1_3gpuE4ELNS1_3repE0EEENS1_30default_config_static_selectorELNS0_4arch9wavefront6targetE1EEEvSK_.has_recursion, 0
	.set _ZN7rocprim17ROCPRIM_400000_NS6detail17trampoline_kernelINS0_14default_configENS1_36segmented_radix_sort_config_selectorIdlEEZNS1_25segmented_radix_sort_implIS3_Lb1EPKdPdPKlPlN2at6native12_GLOBAL__N_18offset_tEEE10hipError_tPvRmT1_PNSt15iterator_traitsISK_E10value_typeET2_T3_PNSL_ISQ_E10value_typeET4_jRbjT5_SW_jjP12ihipStream_tbEUlT_E_NS1_11comp_targetILNS1_3genE10ELNS1_11target_archE1200ELNS1_3gpuE4ELNS1_3repE0EEENS1_30default_config_static_selectorELNS0_4arch9wavefront6targetE1EEEvSK_.has_indirect_call, 0
	.section	.AMDGPU.csdata,"",@progbits
; Kernel info:
; codeLenInByte = 0
; TotalNumSgprs: 4
; NumVgprs: 0
; ScratchSize: 0
; MemoryBound: 0
; FloatMode: 240
; IeeeMode: 1
; LDSByteSize: 0 bytes/workgroup (compile time only)
; SGPRBlocks: 0
; VGPRBlocks: 0
; NumSGPRsForWavesPerEU: 4
; NumVGPRsForWavesPerEU: 1
; Occupancy: 10
; WaveLimiterHint : 0
; COMPUTE_PGM_RSRC2:SCRATCH_EN: 0
; COMPUTE_PGM_RSRC2:USER_SGPR: 6
; COMPUTE_PGM_RSRC2:TRAP_HANDLER: 0
; COMPUTE_PGM_RSRC2:TGID_X_EN: 1
; COMPUTE_PGM_RSRC2:TGID_Y_EN: 0
; COMPUTE_PGM_RSRC2:TGID_Z_EN: 0
; COMPUTE_PGM_RSRC2:TIDIG_COMP_CNT: 0
	.section	.text._ZN7rocprim17ROCPRIM_400000_NS6detail17trampoline_kernelINS0_14default_configENS1_36segmented_radix_sort_config_selectorIdlEEZNS1_25segmented_radix_sort_implIS3_Lb1EPKdPdPKlPlN2at6native12_GLOBAL__N_18offset_tEEE10hipError_tPvRmT1_PNSt15iterator_traitsISK_E10value_typeET2_T3_PNSL_ISQ_E10value_typeET4_jRbjT5_SW_jjP12ihipStream_tbEUlT_E_NS1_11comp_targetILNS1_3genE9ELNS1_11target_archE1100ELNS1_3gpuE3ELNS1_3repE0EEENS1_30default_config_static_selectorELNS0_4arch9wavefront6targetE1EEEvSK_,"axG",@progbits,_ZN7rocprim17ROCPRIM_400000_NS6detail17trampoline_kernelINS0_14default_configENS1_36segmented_radix_sort_config_selectorIdlEEZNS1_25segmented_radix_sort_implIS3_Lb1EPKdPdPKlPlN2at6native12_GLOBAL__N_18offset_tEEE10hipError_tPvRmT1_PNSt15iterator_traitsISK_E10value_typeET2_T3_PNSL_ISQ_E10value_typeET4_jRbjT5_SW_jjP12ihipStream_tbEUlT_E_NS1_11comp_targetILNS1_3genE9ELNS1_11target_archE1100ELNS1_3gpuE3ELNS1_3repE0EEENS1_30default_config_static_selectorELNS0_4arch9wavefront6targetE1EEEvSK_,comdat
	.globl	_ZN7rocprim17ROCPRIM_400000_NS6detail17trampoline_kernelINS0_14default_configENS1_36segmented_radix_sort_config_selectorIdlEEZNS1_25segmented_radix_sort_implIS3_Lb1EPKdPdPKlPlN2at6native12_GLOBAL__N_18offset_tEEE10hipError_tPvRmT1_PNSt15iterator_traitsISK_E10value_typeET2_T3_PNSL_ISQ_E10value_typeET4_jRbjT5_SW_jjP12ihipStream_tbEUlT_E_NS1_11comp_targetILNS1_3genE9ELNS1_11target_archE1100ELNS1_3gpuE3ELNS1_3repE0EEENS1_30default_config_static_selectorELNS0_4arch9wavefront6targetE1EEEvSK_ ; -- Begin function _ZN7rocprim17ROCPRIM_400000_NS6detail17trampoline_kernelINS0_14default_configENS1_36segmented_radix_sort_config_selectorIdlEEZNS1_25segmented_radix_sort_implIS3_Lb1EPKdPdPKlPlN2at6native12_GLOBAL__N_18offset_tEEE10hipError_tPvRmT1_PNSt15iterator_traitsISK_E10value_typeET2_T3_PNSL_ISQ_E10value_typeET4_jRbjT5_SW_jjP12ihipStream_tbEUlT_E_NS1_11comp_targetILNS1_3genE9ELNS1_11target_archE1100ELNS1_3gpuE3ELNS1_3repE0EEENS1_30default_config_static_selectorELNS0_4arch9wavefront6targetE1EEEvSK_
	.p2align	8
	.type	_ZN7rocprim17ROCPRIM_400000_NS6detail17trampoline_kernelINS0_14default_configENS1_36segmented_radix_sort_config_selectorIdlEEZNS1_25segmented_radix_sort_implIS3_Lb1EPKdPdPKlPlN2at6native12_GLOBAL__N_18offset_tEEE10hipError_tPvRmT1_PNSt15iterator_traitsISK_E10value_typeET2_T3_PNSL_ISQ_E10value_typeET4_jRbjT5_SW_jjP12ihipStream_tbEUlT_E_NS1_11comp_targetILNS1_3genE9ELNS1_11target_archE1100ELNS1_3gpuE3ELNS1_3repE0EEENS1_30default_config_static_selectorELNS0_4arch9wavefront6targetE1EEEvSK_,@function
_ZN7rocprim17ROCPRIM_400000_NS6detail17trampoline_kernelINS0_14default_configENS1_36segmented_radix_sort_config_selectorIdlEEZNS1_25segmented_radix_sort_implIS3_Lb1EPKdPdPKlPlN2at6native12_GLOBAL__N_18offset_tEEE10hipError_tPvRmT1_PNSt15iterator_traitsISK_E10value_typeET2_T3_PNSL_ISQ_E10value_typeET4_jRbjT5_SW_jjP12ihipStream_tbEUlT_E_NS1_11comp_targetILNS1_3genE9ELNS1_11target_archE1100ELNS1_3gpuE3ELNS1_3repE0EEENS1_30default_config_static_selectorELNS0_4arch9wavefront6targetE1EEEvSK_: ; @_ZN7rocprim17ROCPRIM_400000_NS6detail17trampoline_kernelINS0_14default_configENS1_36segmented_radix_sort_config_selectorIdlEEZNS1_25segmented_radix_sort_implIS3_Lb1EPKdPdPKlPlN2at6native12_GLOBAL__N_18offset_tEEE10hipError_tPvRmT1_PNSt15iterator_traitsISK_E10value_typeET2_T3_PNSL_ISQ_E10value_typeET4_jRbjT5_SW_jjP12ihipStream_tbEUlT_E_NS1_11comp_targetILNS1_3genE9ELNS1_11target_archE1100ELNS1_3gpuE3ELNS1_3repE0EEENS1_30default_config_static_selectorELNS0_4arch9wavefront6targetE1EEEvSK_
; %bb.0:
	.section	.rodata,"a",@progbits
	.p2align	6, 0x0
	.amdhsa_kernel _ZN7rocprim17ROCPRIM_400000_NS6detail17trampoline_kernelINS0_14default_configENS1_36segmented_radix_sort_config_selectorIdlEEZNS1_25segmented_radix_sort_implIS3_Lb1EPKdPdPKlPlN2at6native12_GLOBAL__N_18offset_tEEE10hipError_tPvRmT1_PNSt15iterator_traitsISK_E10value_typeET2_T3_PNSL_ISQ_E10value_typeET4_jRbjT5_SW_jjP12ihipStream_tbEUlT_E_NS1_11comp_targetILNS1_3genE9ELNS1_11target_archE1100ELNS1_3gpuE3ELNS1_3repE0EEENS1_30default_config_static_selectorELNS0_4arch9wavefront6targetE1EEEvSK_
		.amdhsa_group_segment_fixed_size 0
		.amdhsa_private_segment_fixed_size 0
		.amdhsa_kernarg_size 96
		.amdhsa_user_sgpr_count 6
		.amdhsa_user_sgpr_private_segment_buffer 1
		.amdhsa_user_sgpr_dispatch_ptr 0
		.amdhsa_user_sgpr_queue_ptr 0
		.amdhsa_user_sgpr_kernarg_segment_ptr 1
		.amdhsa_user_sgpr_dispatch_id 0
		.amdhsa_user_sgpr_flat_scratch_init 0
		.amdhsa_user_sgpr_private_segment_size 0
		.amdhsa_uses_dynamic_stack 0
		.amdhsa_system_sgpr_private_segment_wavefront_offset 0
		.amdhsa_system_sgpr_workgroup_id_x 1
		.amdhsa_system_sgpr_workgroup_id_y 0
		.amdhsa_system_sgpr_workgroup_id_z 0
		.amdhsa_system_sgpr_workgroup_info 0
		.amdhsa_system_vgpr_workitem_id 0
		.amdhsa_next_free_vgpr 1
		.amdhsa_next_free_sgpr 0
		.amdhsa_reserve_vcc 0
		.amdhsa_reserve_flat_scratch 0
		.amdhsa_float_round_mode_32 0
		.amdhsa_float_round_mode_16_64 0
		.amdhsa_float_denorm_mode_32 3
		.amdhsa_float_denorm_mode_16_64 3
		.amdhsa_dx10_clamp 1
		.amdhsa_ieee_mode 1
		.amdhsa_fp16_overflow 0
		.amdhsa_exception_fp_ieee_invalid_op 0
		.amdhsa_exception_fp_denorm_src 0
		.amdhsa_exception_fp_ieee_div_zero 0
		.amdhsa_exception_fp_ieee_overflow 0
		.amdhsa_exception_fp_ieee_underflow 0
		.amdhsa_exception_fp_ieee_inexact 0
		.amdhsa_exception_int_div_zero 0
	.end_amdhsa_kernel
	.section	.text._ZN7rocprim17ROCPRIM_400000_NS6detail17trampoline_kernelINS0_14default_configENS1_36segmented_radix_sort_config_selectorIdlEEZNS1_25segmented_radix_sort_implIS3_Lb1EPKdPdPKlPlN2at6native12_GLOBAL__N_18offset_tEEE10hipError_tPvRmT1_PNSt15iterator_traitsISK_E10value_typeET2_T3_PNSL_ISQ_E10value_typeET4_jRbjT5_SW_jjP12ihipStream_tbEUlT_E_NS1_11comp_targetILNS1_3genE9ELNS1_11target_archE1100ELNS1_3gpuE3ELNS1_3repE0EEENS1_30default_config_static_selectorELNS0_4arch9wavefront6targetE1EEEvSK_,"axG",@progbits,_ZN7rocprim17ROCPRIM_400000_NS6detail17trampoline_kernelINS0_14default_configENS1_36segmented_radix_sort_config_selectorIdlEEZNS1_25segmented_radix_sort_implIS3_Lb1EPKdPdPKlPlN2at6native12_GLOBAL__N_18offset_tEEE10hipError_tPvRmT1_PNSt15iterator_traitsISK_E10value_typeET2_T3_PNSL_ISQ_E10value_typeET4_jRbjT5_SW_jjP12ihipStream_tbEUlT_E_NS1_11comp_targetILNS1_3genE9ELNS1_11target_archE1100ELNS1_3gpuE3ELNS1_3repE0EEENS1_30default_config_static_selectorELNS0_4arch9wavefront6targetE1EEEvSK_,comdat
.Lfunc_end1126:
	.size	_ZN7rocprim17ROCPRIM_400000_NS6detail17trampoline_kernelINS0_14default_configENS1_36segmented_radix_sort_config_selectorIdlEEZNS1_25segmented_radix_sort_implIS3_Lb1EPKdPdPKlPlN2at6native12_GLOBAL__N_18offset_tEEE10hipError_tPvRmT1_PNSt15iterator_traitsISK_E10value_typeET2_T3_PNSL_ISQ_E10value_typeET4_jRbjT5_SW_jjP12ihipStream_tbEUlT_E_NS1_11comp_targetILNS1_3genE9ELNS1_11target_archE1100ELNS1_3gpuE3ELNS1_3repE0EEENS1_30default_config_static_selectorELNS0_4arch9wavefront6targetE1EEEvSK_, .Lfunc_end1126-_ZN7rocprim17ROCPRIM_400000_NS6detail17trampoline_kernelINS0_14default_configENS1_36segmented_radix_sort_config_selectorIdlEEZNS1_25segmented_radix_sort_implIS3_Lb1EPKdPdPKlPlN2at6native12_GLOBAL__N_18offset_tEEE10hipError_tPvRmT1_PNSt15iterator_traitsISK_E10value_typeET2_T3_PNSL_ISQ_E10value_typeET4_jRbjT5_SW_jjP12ihipStream_tbEUlT_E_NS1_11comp_targetILNS1_3genE9ELNS1_11target_archE1100ELNS1_3gpuE3ELNS1_3repE0EEENS1_30default_config_static_selectorELNS0_4arch9wavefront6targetE1EEEvSK_
                                        ; -- End function
	.set _ZN7rocprim17ROCPRIM_400000_NS6detail17trampoline_kernelINS0_14default_configENS1_36segmented_radix_sort_config_selectorIdlEEZNS1_25segmented_radix_sort_implIS3_Lb1EPKdPdPKlPlN2at6native12_GLOBAL__N_18offset_tEEE10hipError_tPvRmT1_PNSt15iterator_traitsISK_E10value_typeET2_T3_PNSL_ISQ_E10value_typeET4_jRbjT5_SW_jjP12ihipStream_tbEUlT_E_NS1_11comp_targetILNS1_3genE9ELNS1_11target_archE1100ELNS1_3gpuE3ELNS1_3repE0EEENS1_30default_config_static_selectorELNS0_4arch9wavefront6targetE1EEEvSK_.num_vgpr, 0
	.set _ZN7rocprim17ROCPRIM_400000_NS6detail17trampoline_kernelINS0_14default_configENS1_36segmented_radix_sort_config_selectorIdlEEZNS1_25segmented_radix_sort_implIS3_Lb1EPKdPdPKlPlN2at6native12_GLOBAL__N_18offset_tEEE10hipError_tPvRmT1_PNSt15iterator_traitsISK_E10value_typeET2_T3_PNSL_ISQ_E10value_typeET4_jRbjT5_SW_jjP12ihipStream_tbEUlT_E_NS1_11comp_targetILNS1_3genE9ELNS1_11target_archE1100ELNS1_3gpuE3ELNS1_3repE0EEENS1_30default_config_static_selectorELNS0_4arch9wavefront6targetE1EEEvSK_.num_agpr, 0
	.set _ZN7rocprim17ROCPRIM_400000_NS6detail17trampoline_kernelINS0_14default_configENS1_36segmented_radix_sort_config_selectorIdlEEZNS1_25segmented_radix_sort_implIS3_Lb1EPKdPdPKlPlN2at6native12_GLOBAL__N_18offset_tEEE10hipError_tPvRmT1_PNSt15iterator_traitsISK_E10value_typeET2_T3_PNSL_ISQ_E10value_typeET4_jRbjT5_SW_jjP12ihipStream_tbEUlT_E_NS1_11comp_targetILNS1_3genE9ELNS1_11target_archE1100ELNS1_3gpuE3ELNS1_3repE0EEENS1_30default_config_static_selectorELNS0_4arch9wavefront6targetE1EEEvSK_.numbered_sgpr, 0
	.set _ZN7rocprim17ROCPRIM_400000_NS6detail17trampoline_kernelINS0_14default_configENS1_36segmented_radix_sort_config_selectorIdlEEZNS1_25segmented_radix_sort_implIS3_Lb1EPKdPdPKlPlN2at6native12_GLOBAL__N_18offset_tEEE10hipError_tPvRmT1_PNSt15iterator_traitsISK_E10value_typeET2_T3_PNSL_ISQ_E10value_typeET4_jRbjT5_SW_jjP12ihipStream_tbEUlT_E_NS1_11comp_targetILNS1_3genE9ELNS1_11target_archE1100ELNS1_3gpuE3ELNS1_3repE0EEENS1_30default_config_static_selectorELNS0_4arch9wavefront6targetE1EEEvSK_.num_named_barrier, 0
	.set _ZN7rocprim17ROCPRIM_400000_NS6detail17trampoline_kernelINS0_14default_configENS1_36segmented_radix_sort_config_selectorIdlEEZNS1_25segmented_radix_sort_implIS3_Lb1EPKdPdPKlPlN2at6native12_GLOBAL__N_18offset_tEEE10hipError_tPvRmT1_PNSt15iterator_traitsISK_E10value_typeET2_T3_PNSL_ISQ_E10value_typeET4_jRbjT5_SW_jjP12ihipStream_tbEUlT_E_NS1_11comp_targetILNS1_3genE9ELNS1_11target_archE1100ELNS1_3gpuE3ELNS1_3repE0EEENS1_30default_config_static_selectorELNS0_4arch9wavefront6targetE1EEEvSK_.private_seg_size, 0
	.set _ZN7rocprim17ROCPRIM_400000_NS6detail17trampoline_kernelINS0_14default_configENS1_36segmented_radix_sort_config_selectorIdlEEZNS1_25segmented_radix_sort_implIS3_Lb1EPKdPdPKlPlN2at6native12_GLOBAL__N_18offset_tEEE10hipError_tPvRmT1_PNSt15iterator_traitsISK_E10value_typeET2_T3_PNSL_ISQ_E10value_typeET4_jRbjT5_SW_jjP12ihipStream_tbEUlT_E_NS1_11comp_targetILNS1_3genE9ELNS1_11target_archE1100ELNS1_3gpuE3ELNS1_3repE0EEENS1_30default_config_static_selectorELNS0_4arch9wavefront6targetE1EEEvSK_.uses_vcc, 0
	.set _ZN7rocprim17ROCPRIM_400000_NS6detail17trampoline_kernelINS0_14default_configENS1_36segmented_radix_sort_config_selectorIdlEEZNS1_25segmented_radix_sort_implIS3_Lb1EPKdPdPKlPlN2at6native12_GLOBAL__N_18offset_tEEE10hipError_tPvRmT1_PNSt15iterator_traitsISK_E10value_typeET2_T3_PNSL_ISQ_E10value_typeET4_jRbjT5_SW_jjP12ihipStream_tbEUlT_E_NS1_11comp_targetILNS1_3genE9ELNS1_11target_archE1100ELNS1_3gpuE3ELNS1_3repE0EEENS1_30default_config_static_selectorELNS0_4arch9wavefront6targetE1EEEvSK_.uses_flat_scratch, 0
	.set _ZN7rocprim17ROCPRIM_400000_NS6detail17trampoline_kernelINS0_14default_configENS1_36segmented_radix_sort_config_selectorIdlEEZNS1_25segmented_radix_sort_implIS3_Lb1EPKdPdPKlPlN2at6native12_GLOBAL__N_18offset_tEEE10hipError_tPvRmT1_PNSt15iterator_traitsISK_E10value_typeET2_T3_PNSL_ISQ_E10value_typeET4_jRbjT5_SW_jjP12ihipStream_tbEUlT_E_NS1_11comp_targetILNS1_3genE9ELNS1_11target_archE1100ELNS1_3gpuE3ELNS1_3repE0EEENS1_30default_config_static_selectorELNS0_4arch9wavefront6targetE1EEEvSK_.has_dyn_sized_stack, 0
	.set _ZN7rocprim17ROCPRIM_400000_NS6detail17trampoline_kernelINS0_14default_configENS1_36segmented_radix_sort_config_selectorIdlEEZNS1_25segmented_radix_sort_implIS3_Lb1EPKdPdPKlPlN2at6native12_GLOBAL__N_18offset_tEEE10hipError_tPvRmT1_PNSt15iterator_traitsISK_E10value_typeET2_T3_PNSL_ISQ_E10value_typeET4_jRbjT5_SW_jjP12ihipStream_tbEUlT_E_NS1_11comp_targetILNS1_3genE9ELNS1_11target_archE1100ELNS1_3gpuE3ELNS1_3repE0EEENS1_30default_config_static_selectorELNS0_4arch9wavefront6targetE1EEEvSK_.has_recursion, 0
	.set _ZN7rocprim17ROCPRIM_400000_NS6detail17trampoline_kernelINS0_14default_configENS1_36segmented_radix_sort_config_selectorIdlEEZNS1_25segmented_radix_sort_implIS3_Lb1EPKdPdPKlPlN2at6native12_GLOBAL__N_18offset_tEEE10hipError_tPvRmT1_PNSt15iterator_traitsISK_E10value_typeET2_T3_PNSL_ISQ_E10value_typeET4_jRbjT5_SW_jjP12ihipStream_tbEUlT_E_NS1_11comp_targetILNS1_3genE9ELNS1_11target_archE1100ELNS1_3gpuE3ELNS1_3repE0EEENS1_30default_config_static_selectorELNS0_4arch9wavefront6targetE1EEEvSK_.has_indirect_call, 0
	.section	.AMDGPU.csdata,"",@progbits
; Kernel info:
; codeLenInByte = 0
; TotalNumSgprs: 4
; NumVgprs: 0
; ScratchSize: 0
; MemoryBound: 0
; FloatMode: 240
; IeeeMode: 1
; LDSByteSize: 0 bytes/workgroup (compile time only)
; SGPRBlocks: 0
; VGPRBlocks: 0
; NumSGPRsForWavesPerEU: 4
; NumVGPRsForWavesPerEU: 1
; Occupancy: 10
; WaveLimiterHint : 0
; COMPUTE_PGM_RSRC2:SCRATCH_EN: 0
; COMPUTE_PGM_RSRC2:USER_SGPR: 6
; COMPUTE_PGM_RSRC2:TRAP_HANDLER: 0
; COMPUTE_PGM_RSRC2:TGID_X_EN: 1
; COMPUTE_PGM_RSRC2:TGID_Y_EN: 0
; COMPUTE_PGM_RSRC2:TGID_Z_EN: 0
; COMPUTE_PGM_RSRC2:TIDIG_COMP_CNT: 0
	.section	.text._ZN7rocprim17ROCPRIM_400000_NS6detail17trampoline_kernelINS0_14default_configENS1_36segmented_radix_sort_config_selectorIdlEEZNS1_25segmented_radix_sort_implIS3_Lb1EPKdPdPKlPlN2at6native12_GLOBAL__N_18offset_tEEE10hipError_tPvRmT1_PNSt15iterator_traitsISK_E10value_typeET2_T3_PNSL_ISQ_E10value_typeET4_jRbjT5_SW_jjP12ihipStream_tbEUlT_E_NS1_11comp_targetILNS1_3genE8ELNS1_11target_archE1030ELNS1_3gpuE2ELNS1_3repE0EEENS1_30default_config_static_selectorELNS0_4arch9wavefront6targetE1EEEvSK_,"axG",@progbits,_ZN7rocprim17ROCPRIM_400000_NS6detail17trampoline_kernelINS0_14default_configENS1_36segmented_radix_sort_config_selectorIdlEEZNS1_25segmented_radix_sort_implIS3_Lb1EPKdPdPKlPlN2at6native12_GLOBAL__N_18offset_tEEE10hipError_tPvRmT1_PNSt15iterator_traitsISK_E10value_typeET2_T3_PNSL_ISQ_E10value_typeET4_jRbjT5_SW_jjP12ihipStream_tbEUlT_E_NS1_11comp_targetILNS1_3genE8ELNS1_11target_archE1030ELNS1_3gpuE2ELNS1_3repE0EEENS1_30default_config_static_selectorELNS0_4arch9wavefront6targetE1EEEvSK_,comdat
	.globl	_ZN7rocprim17ROCPRIM_400000_NS6detail17trampoline_kernelINS0_14default_configENS1_36segmented_radix_sort_config_selectorIdlEEZNS1_25segmented_radix_sort_implIS3_Lb1EPKdPdPKlPlN2at6native12_GLOBAL__N_18offset_tEEE10hipError_tPvRmT1_PNSt15iterator_traitsISK_E10value_typeET2_T3_PNSL_ISQ_E10value_typeET4_jRbjT5_SW_jjP12ihipStream_tbEUlT_E_NS1_11comp_targetILNS1_3genE8ELNS1_11target_archE1030ELNS1_3gpuE2ELNS1_3repE0EEENS1_30default_config_static_selectorELNS0_4arch9wavefront6targetE1EEEvSK_ ; -- Begin function _ZN7rocprim17ROCPRIM_400000_NS6detail17trampoline_kernelINS0_14default_configENS1_36segmented_radix_sort_config_selectorIdlEEZNS1_25segmented_radix_sort_implIS3_Lb1EPKdPdPKlPlN2at6native12_GLOBAL__N_18offset_tEEE10hipError_tPvRmT1_PNSt15iterator_traitsISK_E10value_typeET2_T3_PNSL_ISQ_E10value_typeET4_jRbjT5_SW_jjP12ihipStream_tbEUlT_E_NS1_11comp_targetILNS1_3genE8ELNS1_11target_archE1030ELNS1_3gpuE2ELNS1_3repE0EEENS1_30default_config_static_selectorELNS0_4arch9wavefront6targetE1EEEvSK_
	.p2align	8
	.type	_ZN7rocprim17ROCPRIM_400000_NS6detail17trampoline_kernelINS0_14default_configENS1_36segmented_radix_sort_config_selectorIdlEEZNS1_25segmented_radix_sort_implIS3_Lb1EPKdPdPKlPlN2at6native12_GLOBAL__N_18offset_tEEE10hipError_tPvRmT1_PNSt15iterator_traitsISK_E10value_typeET2_T3_PNSL_ISQ_E10value_typeET4_jRbjT5_SW_jjP12ihipStream_tbEUlT_E_NS1_11comp_targetILNS1_3genE8ELNS1_11target_archE1030ELNS1_3gpuE2ELNS1_3repE0EEENS1_30default_config_static_selectorELNS0_4arch9wavefront6targetE1EEEvSK_,@function
_ZN7rocprim17ROCPRIM_400000_NS6detail17trampoline_kernelINS0_14default_configENS1_36segmented_radix_sort_config_selectorIdlEEZNS1_25segmented_radix_sort_implIS3_Lb1EPKdPdPKlPlN2at6native12_GLOBAL__N_18offset_tEEE10hipError_tPvRmT1_PNSt15iterator_traitsISK_E10value_typeET2_T3_PNSL_ISQ_E10value_typeET4_jRbjT5_SW_jjP12ihipStream_tbEUlT_E_NS1_11comp_targetILNS1_3genE8ELNS1_11target_archE1030ELNS1_3gpuE2ELNS1_3repE0EEENS1_30default_config_static_selectorELNS0_4arch9wavefront6targetE1EEEvSK_: ; @_ZN7rocprim17ROCPRIM_400000_NS6detail17trampoline_kernelINS0_14default_configENS1_36segmented_radix_sort_config_selectorIdlEEZNS1_25segmented_radix_sort_implIS3_Lb1EPKdPdPKlPlN2at6native12_GLOBAL__N_18offset_tEEE10hipError_tPvRmT1_PNSt15iterator_traitsISK_E10value_typeET2_T3_PNSL_ISQ_E10value_typeET4_jRbjT5_SW_jjP12ihipStream_tbEUlT_E_NS1_11comp_targetILNS1_3genE8ELNS1_11target_archE1030ELNS1_3gpuE2ELNS1_3repE0EEENS1_30default_config_static_selectorELNS0_4arch9wavefront6targetE1EEEvSK_
; %bb.0:
	.section	.rodata,"a",@progbits
	.p2align	6, 0x0
	.amdhsa_kernel _ZN7rocprim17ROCPRIM_400000_NS6detail17trampoline_kernelINS0_14default_configENS1_36segmented_radix_sort_config_selectorIdlEEZNS1_25segmented_radix_sort_implIS3_Lb1EPKdPdPKlPlN2at6native12_GLOBAL__N_18offset_tEEE10hipError_tPvRmT1_PNSt15iterator_traitsISK_E10value_typeET2_T3_PNSL_ISQ_E10value_typeET4_jRbjT5_SW_jjP12ihipStream_tbEUlT_E_NS1_11comp_targetILNS1_3genE8ELNS1_11target_archE1030ELNS1_3gpuE2ELNS1_3repE0EEENS1_30default_config_static_selectorELNS0_4arch9wavefront6targetE1EEEvSK_
		.amdhsa_group_segment_fixed_size 0
		.amdhsa_private_segment_fixed_size 0
		.amdhsa_kernarg_size 96
		.amdhsa_user_sgpr_count 6
		.amdhsa_user_sgpr_private_segment_buffer 1
		.amdhsa_user_sgpr_dispatch_ptr 0
		.amdhsa_user_sgpr_queue_ptr 0
		.amdhsa_user_sgpr_kernarg_segment_ptr 1
		.amdhsa_user_sgpr_dispatch_id 0
		.amdhsa_user_sgpr_flat_scratch_init 0
		.amdhsa_user_sgpr_private_segment_size 0
		.amdhsa_uses_dynamic_stack 0
		.amdhsa_system_sgpr_private_segment_wavefront_offset 0
		.amdhsa_system_sgpr_workgroup_id_x 1
		.amdhsa_system_sgpr_workgroup_id_y 0
		.amdhsa_system_sgpr_workgroup_id_z 0
		.amdhsa_system_sgpr_workgroup_info 0
		.amdhsa_system_vgpr_workitem_id 0
		.amdhsa_next_free_vgpr 1
		.amdhsa_next_free_sgpr 0
		.amdhsa_reserve_vcc 0
		.amdhsa_reserve_flat_scratch 0
		.amdhsa_float_round_mode_32 0
		.amdhsa_float_round_mode_16_64 0
		.amdhsa_float_denorm_mode_32 3
		.amdhsa_float_denorm_mode_16_64 3
		.amdhsa_dx10_clamp 1
		.amdhsa_ieee_mode 1
		.amdhsa_fp16_overflow 0
		.amdhsa_exception_fp_ieee_invalid_op 0
		.amdhsa_exception_fp_denorm_src 0
		.amdhsa_exception_fp_ieee_div_zero 0
		.amdhsa_exception_fp_ieee_overflow 0
		.amdhsa_exception_fp_ieee_underflow 0
		.amdhsa_exception_fp_ieee_inexact 0
		.amdhsa_exception_int_div_zero 0
	.end_amdhsa_kernel
	.section	.text._ZN7rocprim17ROCPRIM_400000_NS6detail17trampoline_kernelINS0_14default_configENS1_36segmented_radix_sort_config_selectorIdlEEZNS1_25segmented_radix_sort_implIS3_Lb1EPKdPdPKlPlN2at6native12_GLOBAL__N_18offset_tEEE10hipError_tPvRmT1_PNSt15iterator_traitsISK_E10value_typeET2_T3_PNSL_ISQ_E10value_typeET4_jRbjT5_SW_jjP12ihipStream_tbEUlT_E_NS1_11comp_targetILNS1_3genE8ELNS1_11target_archE1030ELNS1_3gpuE2ELNS1_3repE0EEENS1_30default_config_static_selectorELNS0_4arch9wavefront6targetE1EEEvSK_,"axG",@progbits,_ZN7rocprim17ROCPRIM_400000_NS6detail17trampoline_kernelINS0_14default_configENS1_36segmented_radix_sort_config_selectorIdlEEZNS1_25segmented_radix_sort_implIS3_Lb1EPKdPdPKlPlN2at6native12_GLOBAL__N_18offset_tEEE10hipError_tPvRmT1_PNSt15iterator_traitsISK_E10value_typeET2_T3_PNSL_ISQ_E10value_typeET4_jRbjT5_SW_jjP12ihipStream_tbEUlT_E_NS1_11comp_targetILNS1_3genE8ELNS1_11target_archE1030ELNS1_3gpuE2ELNS1_3repE0EEENS1_30default_config_static_selectorELNS0_4arch9wavefront6targetE1EEEvSK_,comdat
.Lfunc_end1127:
	.size	_ZN7rocprim17ROCPRIM_400000_NS6detail17trampoline_kernelINS0_14default_configENS1_36segmented_radix_sort_config_selectorIdlEEZNS1_25segmented_radix_sort_implIS3_Lb1EPKdPdPKlPlN2at6native12_GLOBAL__N_18offset_tEEE10hipError_tPvRmT1_PNSt15iterator_traitsISK_E10value_typeET2_T3_PNSL_ISQ_E10value_typeET4_jRbjT5_SW_jjP12ihipStream_tbEUlT_E_NS1_11comp_targetILNS1_3genE8ELNS1_11target_archE1030ELNS1_3gpuE2ELNS1_3repE0EEENS1_30default_config_static_selectorELNS0_4arch9wavefront6targetE1EEEvSK_, .Lfunc_end1127-_ZN7rocprim17ROCPRIM_400000_NS6detail17trampoline_kernelINS0_14default_configENS1_36segmented_radix_sort_config_selectorIdlEEZNS1_25segmented_radix_sort_implIS3_Lb1EPKdPdPKlPlN2at6native12_GLOBAL__N_18offset_tEEE10hipError_tPvRmT1_PNSt15iterator_traitsISK_E10value_typeET2_T3_PNSL_ISQ_E10value_typeET4_jRbjT5_SW_jjP12ihipStream_tbEUlT_E_NS1_11comp_targetILNS1_3genE8ELNS1_11target_archE1030ELNS1_3gpuE2ELNS1_3repE0EEENS1_30default_config_static_selectorELNS0_4arch9wavefront6targetE1EEEvSK_
                                        ; -- End function
	.set _ZN7rocprim17ROCPRIM_400000_NS6detail17trampoline_kernelINS0_14default_configENS1_36segmented_radix_sort_config_selectorIdlEEZNS1_25segmented_radix_sort_implIS3_Lb1EPKdPdPKlPlN2at6native12_GLOBAL__N_18offset_tEEE10hipError_tPvRmT1_PNSt15iterator_traitsISK_E10value_typeET2_T3_PNSL_ISQ_E10value_typeET4_jRbjT5_SW_jjP12ihipStream_tbEUlT_E_NS1_11comp_targetILNS1_3genE8ELNS1_11target_archE1030ELNS1_3gpuE2ELNS1_3repE0EEENS1_30default_config_static_selectorELNS0_4arch9wavefront6targetE1EEEvSK_.num_vgpr, 0
	.set _ZN7rocprim17ROCPRIM_400000_NS6detail17trampoline_kernelINS0_14default_configENS1_36segmented_radix_sort_config_selectorIdlEEZNS1_25segmented_radix_sort_implIS3_Lb1EPKdPdPKlPlN2at6native12_GLOBAL__N_18offset_tEEE10hipError_tPvRmT1_PNSt15iterator_traitsISK_E10value_typeET2_T3_PNSL_ISQ_E10value_typeET4_jRbjT5_SW_jjP12ihipStream_tbEUlT_E_NS1_11comp_targetILNS1_3genE8ELNS1_11target_archE1030ELNS1_3gpuE2ELNS1_3repE0EEENS1_30default_config_static_selectorELNS0_4arch9wavefront6targetE1EEEvSK_.num_agpr, 0
	.set _ZN7rocprim17ROCPRIM_400000_NS6detail17trampoline_kernelINS0_14default_configENS1_36segmented_radix_sort_config_selectorIdlEEZNS1_25segmented_radix_sort_implIS3_Lb1EPKdPdPKlPlN2at6native12_GLOBAL__N_18offset_tEEE10hipError_tPvRmT1_PNSt15iterator_traitsISK_E10value_typeET2_T3_PNSL_ISQ_E10value_typeET4_jRbjT5_SW_jjP12ihipStream_tbEUlT_E_NS1_11comp_targetILNS1_3genE8ELNS1_11target_archE1030ELNS1_3gpuE2ELNS1_3repE0EEENS1_30default_config_static_selectorELNS0_4arch9wavefront6targetE1EEEvSK_.numbered_sgpr, 0
	.set _ZN7rocprim17ROCPRIM_400000_NS6detail17trampoline_kernelINS0_14default_configENS1_36segmented_radix_sort_config_selectorIdlEEZNS1_25segmented_radix_sort_implIS3_Lb1EPKdPdPKlPlN2at6native12_GLOBAL__N_18offset_tEEE10hipError_tPvRmT1_PNSt15iterator_traitsISK_E10value_typeET2_T3_PNSL_ISQ_E10value_typeET4_jRbjT5_SW_jjP12ihipStream_tbEUlT_E_NS1_11comp_targetILNS1_3genE8ELNS1_11target_archE1030ELNS1_3gpuE2ELNS1_3repE0EEENS1_30default_config_static_selectorELNS0_4arch9wavefront6targetE1EEEvSK_.num_named_barrier, 0
	.set _ZN7rocprim17ROCPRIM_400000_NS6detail17trampoline_kernelINS0_14default_configENS1_36segmented_radix_sort_config_selectorIdlEEZNS1_25segmented_radix_sort_implIS3_Lb1EPKdPdPKlPlN2at6native12_GLOBAL__N_18offset_tEEE10hipError_tPvRmT1_PNSt15iterator_traitsISK_E10value_typeET2_T3_PNSL_ISQ_E10value_typeET4_jRbjT5_SW_jjP12ihipStream_tbEUlT_E_NS1_11comp_targetILNS1_3genE8ELNS1_11target_archE1030ELNS1_3gpuE2ELNS1_3repE0EEENS1_30default_config_static_selectorELNS0_4arch9wavefront6targetE1EEEvSK_.private_seg_size, 0
	.set _ZN7rocprim17ROCPRIM_400000_NS6detail17trampoline_kernelINS0_14default_configENS1_36segmented_radix_sort_config_selectorIdlEEZNS1_25segmented_radix_sort_implIS3_Lb1EPKdPdPKlPlN2at6native12_GLOBAL__N_18offset_tEEE10hipError_tPvRmT1_PNSt15iterator_traitsISK_E10value_typeET2_T3_PNSL_ISQ_E10value_typeET4_jRbjT5_SW_jjP12ihipStream_tbEUlT_E_NS1_11comp_targetILNS1_3genE8ELNS1_11target_archE1030ELNS1_3gpuE2ELNS1_3repE0EEENS1_30default_config_static_selectorELNS0_4arch9wavefront6targetE1EEEvSK_.uses_vcc, 0
	.set _ZN7rocprim17ROCPRIM_400000_NS6detail17trampoline_kernelINS0_14default_configENS1_36segmented_radix_sort_config_selectorIdlEEZNS1_25segmented_radix_sort_implIS3_Lb1EPKdPdPKlPlN2at6native12_GLOBAL__N_18offset_tEEE10hipError_tPvRmT1_PNSt15iterator_traitsISK_E10value_typeET2_T3_PNSL_ISQ_E10value_typeET4_jRbjT5_SW_jjP12ihipStream_tbEUlT_E_NS1_11comp_targetILNS1_3genE8ELNS1_11target_archE1030ELNS1_3gpuE2ELNS1_3repE0EEENS1_30default_config_static_selectorELNS0_4arch9wavefront6targetE1EEEvSK_.uses_flat_scratch, 0
	.set _ZN7rocprim17ROCPRIM_400000_NS6detail17trampoline_kernelINS0_14default_configENS1_36segmented_radix_sort_config_selectorIdlEEZNS1_25segmented_radix_sort_implIS3_Lb1EPKdPdPKlPlN2at6native12_GLOBAL__N_18offset_tEEE10hipError_tPvRmT1_PNSt15iterator_traitsISK_E10value_typeET2_T3_PNSL_ISQ_E10value_typeET4_jRbjT5_SW_jjP12ihipStream_tbEUlT_E_NS1_11comp_targetILNS1_3genE8ELNS1_11target_archE1030ELNS1_3gpuE2ELNS1_3repE0EEENS1_30default_config_static_selectorELNS0_4arch9wavefront6targetE1EEEvSK_.has_dyn_sized_stack, 0
	.set _ZN7rocprim17ROCPRIM_400000_NS6detail17trampoline_kernelINS0_14default_configENS1_36segmented_radix_sort_config_selectorIdlEEZNS1_25segmented_radix_sort_implIS3_Lb1EPKdPdPKlPlN2at6native12_GLOBAL__N_18offset_tEEE10hipError_tPvRmT1_PNSt15iterator_traitsISK_E10value_typeET2_T3_PNSL_ISQ_E10value_typeET4_jRbjT5_SW_jjP12ihipStream_tbEUlT_E_NS1_11comp_targetILNS1_3genE8ELNS1_11target_archE1030ELNS1_3gpuE2ELNS1_3repE0EEENS1_30default_config_static_selectorELNS0_4arch9wavefront6targetE1EEEvSK_.has_recursion, 0
	.set _ZN7rocprim17ROCPRIM_400000_NS6detail17trampoline_kernelINS0_14default_configENS1_36segmented_radix_sort_config_selectorIdlEEZNS1_25segmented_radix_sort_implIS3_Lb1EPKdPdPKlPlN2at6native12_GLOBAL__N_18offset_tEEE10hipError_tPvRmT1_PNSt15iterator_traitsISK_E10value_typeET2_T3_PNSL_ISQ_E10value_typeET4_jRbjT5_SW_jjP12ihipStream_tbEUlT_E_NS1_11comp_targetILNS1_3genE8ELNS1_11target_archE1030ELNS1_3gpuE2ELNS1_3repE0EEENS1_30default_config_static_selectorELNS0_4arch9wavefront6targetE1EEEvSK_.has_indirect_call, 0
	.section	.AMDGPU.csdata,"",@progbits
; Kernel info:
; codeLenInByte = 0
; TotalNumSgprs: 4
; NumVgprs: 0
; ScratchSize: 0
; MemoryBound: 0
; FloatMode: 240
; IeeeMode: 1
; LDSByteSize: 0 bytes/workgroup (compile time only)
; SGPRBlocks: 0
; VGPRBlocks: 0
; NumSGPRsForWavesPerEU: 4
; NumVGPRsForWavesPerEU: 1
; Occupancy: 10
; WaveLimiterHint : 0
; COMPUTE_PGM_RSRC2:SCRATCH_EN: 0
; COMPUTE_PGM_RSRC2:USER_SGPR: 6
; COMPUTE_PGM_RSRC2:TRAP_HANDLER: 0
; COMPUTE_PGM_RSRC2:TGID_X_EN: 1
; COMPUTE_PGM_RSRC2:TGID_Y_EN: 0
; COMPUTE_PGM_RSRC2:TGID_Z_EN: 0
; COMPUTE_PGM_RSRC2:TIDIG_COMP_CNT: 0
	.section	.text._ZN7rocprim17ROCPRIM_400000_NS6detail17trampoline_kernelINS0_14default_configENS1_36segmented_radix_sort_config_selectorIdlEEZNS1_25segmented_radix_sort_implIS3_Lb1EPKdPdPKlPlN2at6native12_GLOBAL__N_18offset_tEEE10hipError_tPvRmT1_PNSt15iterator_traitsISK_E10value_typeET2_T3_PNSL_ISQ_E10value_typeET4_jRbjT5_SW_jjP12ihipStream_tbEUlT_E0_NS1_11comp_targetILNS1_3genE0ELNS1_11target_archE4294967295ELNS1_3gpuE0ELNS1_3repE0EEENS1_60segmented_radix_sort_warp_sort_medium_config_static_selectorELNS0_4arch9wavefront6targetE1EEEvSK_,"axG",@progbits,_ZN7rocprim17ROCPRIM_400000_NS6detail17trampoline_kernelINS0_14default_configENS1_36segmented_radix_sort_config_selectorIdlEEZNS1_25segmented_radix_sort_implIS3_Lb1EPKdPdPKlPlN2at6native12_GLOBAL__N_18offset_tEEE10hipError_tPvRmT1_PNSt15iterator_traitsISK_E10value_typeET2_T3_PNSL_ISQ_E10value_typeET4_jRbjT5_SW_jjP12ihipStream_tbEUlT_E0_NS1_11comp_targetILNS1_3genE0ELNS1_11target_archE4294967295ELNS1_3gpuE0ELNS1_3repE0EEENS1_60segmented_radix_sort_warp_sort_medium_config_static_selectorELNS0_4arch9wavefront6targetE1EEEvSK_,comdat
	.globl	_ZN7rocprim17ROCPRIM_400000_NS6detail17trampoline_kernelINS0_14default_configENS1_36segmented_radix_sort_config_selectorIdlEEZNS1_25segmented_radix_sort_implIS3_Lb1EPKdPdPKlPlN2at6native12_GLOBAL__N_18offset_tEEE10hipError_tPvRmT1_PNSt15iterator_traitsISK_E10value_typeET2_T3_PNSL_ISQ_E10value_typeET4_jRbjT5_SW_jjP12ihipStream_tbEUlT_E0_NS1_11comp_targetILNS1_3genE0ELNS1_11target_archE4294967295ELNS1_3gpuE0ELNS1_3repE0EEENS1_60segmented_radix_sort_warp_sort_medium_config_static_selectorELNS0_4arch9wavefront6targetE1EEEvSK_ ; -- Begin function _ZN7rocprim17ROCPRIM_400000_NS6detail17trampoline_kernelINS0_14default_configENS1_36segmented_radix_sort_config_selectorIdlEEZNS1_25segmented_radix_sort_implIS3_Lb1EPKdPdPKlPlN2at6native12_GLOBAL__N_18offset_tEEE10hipError_tPvRmT1_PNSt15iterator_traitsISK_E10value_typeET2_T3_PNSL_ISQ_E10value_typeET4_jRbjT5_SW_jjP12ihipStream_tbEUlT_E0_NS1_11comp_targetILNS1_3genE0ELNS1_11target_archE4294967295ELNS1_3gpuE0ELNS1_3repE0EEENS1_60segmented_radix_sort_warp_sort_medium_config_static_selectorELNS0_4arch9wavefront6targetE1EEEvSK_
	.p2align	8
	.type	_ZN7rocprim17ROCPRIM_400000_NS6detail17trampoline_kernelINS0_14default_configENS1_36segmented_radix_sort_config_selectorIdlEEZNS1_25segmented_radix_sort_implIS3_Lb1EPKdPdPKlPlN2at6native12_GLOBAL__N_18offset_tEEE10hipError_tPvRmT1_PNSt15iterator_traitsISK_E10value_typeET2_T3_PNSL_ISQ_E10value_typeET4_jRbjT5_SW_jjP12ihipStream_tbEUlT_E0_NS1_11comp_targetILNS1_3genE0ELNS1_11target_archE4294967295ELNS1_3gpuE0ELNS1_3repE0EEENS1_60segmented_radix_sort_warp_sort_medium_config_static_selectorELNS0_4arch9wavefront6targetE1EEEvSK_,@function
_ZN7rocprim17ROCPRIM_400000_NS6detail17trampoline_kernelINS0_14default_configENS1_36segmented_radix_sort_config_selectorIdlEEZNS1_25segmented_radix_sort_implIS3_Lb1EPKdPdPKlPlN2at6native12_GLOBAL__N_18offset_tEEE10hipError_tPvRmT1_PNSt15iterator_traitsISK_E10value_typeET2_T3_PNSL_ISQ_E10value_typeET4_jRbjT5_SW_jjP12ihipStream_tbEUlT_E0_NS1_11comp_targetILNS1_3genE0ELNS1_11target_archE4294967295ELNS1_3gpuE0ELNS1_3repE0EEENS1_60segmented_radix_sort_warp_sort_medium_config_static_selectorELNS0_4arch9wavefront6targetE1EEEvSK_: ; @_ZN7rocprim17ROCPRIM_400000_NS6detail17trampoline_kernelINS0_14default_configENS1_36segmented_radix_sort_config_selectorIdlEEZNS1_25segmented_radix_sort_implIS3_Lb1EPKdPdPKlPlN2at6native12_GLOBAL__N_18offset_tEEE10hipError_tPvRmT1_PNSt15iterator_traitsISK_E10value_typeET2_T3_PNSL_ISQ_E10value_typeET4_jRbjT5_SW_jjP12ihipStream_tbEUlT_E0_NS1_11comp_targetILNS1_3genE0ELNS1_11target_archE4294967295ELNS1_3gpuE0ELNS1_3repE0EEENS1_60segmented_radix_sort_warp_sort_medium_config_static_selectorELNS0_4arch9wavefront6targetE1EEEvSK_
; %bb.0:
	.section	.rodata,"a",@progbits
	.p2align	6, 0x0
	.amdhsa_kernel _ZN7rocprim17ROCPRIM_400000_NS6detail17trampoline_kernelINS0_14default_configENS1_36segmented_radix_sort_config_selectorIdlEEZNS1_25segmented_radix_sort_implIS3_Lb1EPKdPdPKlPlN2at6native12_GLOBAL__N_18offset_tEEE10hipError_tPvRmT1_PNSt15iterator_traitsISK_E10value_typeET2_T3_PNSL_ISQ_E10value_typeET4_jRbjT5_SW_jjP12ihipStream_tbEUlT_E0_NS1_11comp_targetILNS1_3genE0ELNS1_11target_archE4294967295ELNS1_3gpuE0ELNS1_3repE0EEENS1_60segmented_radix_sort_warp_sort_medium_config_static_selectorELNS0_4arch9wavefront6targetE1EEEvSK_
		.amdhsa_group_segment_fixed_size 0
		.amdhsa_private_segment_fixed_size 0
		.amdhsa_kernarg_size 88
		.amdhsa_user_sgpr_count 6
		.amdhsa_user_sgpr_private_segment_buffer 1
		.amdhsa_user_sgpr_dispatch_ptr 0
		.amdhsa_user_sgpr_queue_ptr 0
		.amdhsa_user_sgpr_kernarg_segment_ptr 1
		.amdhsa_user_sgpr_dispatch_id 0
		.amdhsa_user_sgpr_flat_scratch_init 0
		.amdhsa_user_sgpr_private_segment_size 0
		.amdhsa_uses_dynamic_stack 0
		.amdhsa_system_sgpr_private_segment_wavefront_offset 0
		.amdhsa_system_sgpr_workgroup_id_x 1
		.amdhsa_system_sgpr_workgroup_id_y 0
		.amdhsa_system_sgpr_workgroup_id_z 0
		.amdhsa_system_sgpr_workgroup_info 0
		.amdhsa_system_vgpr_workitem_id 0
		.amdhsa_next_free_vgpr 1
		.amdhsa_next_free_sgpr 0
		.amdhsa_reserve_vcc 0
		.amdhsa_reserve_flat_scratch 0
		.amdhsa_float_round_mode_32 0
		.amdhsa_float_round_mode_16_64 0
		.amdhsa_float_denorm_mode_32 3
		.amdhsa_float_denorm_mode_16_64 3
		.amdhsa_dx10_clamp 1
		.amdhsa_ieee_mode 1
		.amdhsa_fp16_overflow 0
		.amdhsa_exception_fp_ieee_invalid_op 0
		.amdhsa_exception_fp_denorm_src 0
		.amdhsa_exception_fp_ieee_div_zero 0
		.amdhsa_exception_fp_ieee_overflow 0
		.amdhsa_exception_fp_ieee_underflow 0
		.amdhsa_exception_fp_ieee_inexact 0
		.amdhsa_exception_int_div_zero 0
	.end_amdhsa_kernel
	.section	.text._ZN7rocprim17ROCPRIM_400000_NS6detail17trampoline_kernelINS0_14default_configENS1_36segmented_radix_sort_config_selectorIdlEEZNS1_25segmented_radix_sort_implIS3_Lb1EPKdPdPKlPlN2at6native12_GLOBAL__N_18offset_tEEE10hipError_tPvRmT1_PNSt15iterator_traitsISK_E10value_typeET2_T3_PNSL_ISQ_E10value_typeET4_jRbjT5_SW_jjP12ihipStream_tbEUlT_E0_NS1_11comp_targetILNS1_3genE0ELNS1_11target_archE4294967295ELNS1_3gpuE0ELNS1_3repE0EEENS1_60segmented_radix_sort_warp_sort_medium_config_static_selectorELNS0_4arch9wavefront6targetE1EEEvSK_,"axG",@progbits,_ZN7rocprim17ROCPRIM_400000_NS6detail17trampoline_kernelINS0_14default_configENS1_36segmented_radix_sort_config_selectorIdlEEZNS1_25segmented_radix_sort_implIS3_Lb1EPKdPdPKlPlN2at6native12_GLOBAL__N_18offset_tEEE10hipError_tPvRmT1_PNSt15iterator_traitsISK_E10value_typeET2_T3_PNSL_ISQ_E10value_typeET4_jRbjT5_SW_jjP12ihipStream_tbEUlT_E0_NS1_11comp_targetILNS1_3genE0ELNS1_11target_archE4294967295ELNS1_3gpuE0ELNS1_3repE0EEENS1_60segmented_radix_sort_warp_sort_medium_config_static_selectorELNS0_4arch9wavefront6targetE1EEEvSK_,comdat
.Lfunc_end1128:
	.size	_ZN7rocprim17ROCPRIM_400000_NS6detail17trampoline_kernelINS0_14default_configENS1_36segmented_radix_sort_config_selectorIdlEEZNS1_25segmented_radix_sort_implIS3_Lb1EPKdPdPKlPlN2at6native12_GLOBAL__N_18offset_tEEE10hipError_tPvRmT1_PNSt15iterator_traitsISK_E10value_typeET2_T3_PNSL_ISQ_E10value_typeET4_jRbjT5_SW_jjP12ihipStream_tbEUlT_E0_NS1_11comp_targetILNS1_3genE0ELNS1_11target_archE4294967295ELNS1_3gpuE0ELNS1_3repE0EEENS1_60segmented_radix_sort_warp_sort_medium_config_static_selectorELNS0_4arch9wavefront6targetE1EEEvSK_, .Lfunc_end1128-_ZN7rocprim17ROCPRIM_400000_NS6detail17trampoline_kernelINS0_14default_configENS1_36segmented_radix_sort_config_selectorIdlEEZNS1_25segmented_radix_sort_implIS3_Lb1EPKdPdPKlPlN2at6native12_GLOBAL__N_18offset_tEEE10hipError_tPvRmT1_PNSt15iterator_traitsISK_E10value_typeET2_T3_PNSL_ISQ_E10value_typeET4_jRbjT5_SW_jjP12ihipStream_tbEUlT_E0_NS1_11comp_targetILNS1_3genE0ELNS1_11target_archE4294967295ELNS1_3gpuE0ELNS1_3repE0EEENS1_60segmented_radix_sort_warp_sort_medium_config_static_selectorELNS0_4arch9wavefront6targetE1EEEvSK_
                                        ; -- End function
	.set _ZN7rocprim17ROCPRIM_400000_NS6detail17trampoline_kernelINS0_14default_configENS1_36segmented_radix_sort_config_selectorIdlEEZNS1_25segmented_radix_sort_implIS3_Lb1EPKdPdPKlPlN2at6native12_GLOBAL__N_18offset_tEEE10hipError_tPvRmT1_PNSt15iterator_traitsISK_E10value_typeET2_T3_PNSL_ISQ_E10value_typeET4_jRbjT5_SW_jjP12ihipStream_tbEUlT_E0_NS1_11comp_targetILNS1_3genE0ELNS1_11target_archE4294967295ELNS1_3gpuE0ELNS1_3repE0EEENS1_60segmented_radix_sort_warp_sort_medium_config_static_selectorELNS0_4arch9wavefront6targetE1EEEvSK_.num_vgpr, 0
	.set _ZN7rocprim17ROCPRIM_400000_NS6detail17trampoline_kernelINS0_14default_configENS1_36segmented_radix_sort_config_selectorIdlEEZNS1_25segmented_radix_sort_implIS3_Lb1EPKdPdPKlPlN2at6native12_GLOBAL__N_18offset_tEEE10hipError_tPvRmT1_PNSt15iterator_traitsISK_E10value_typeET2_T3_PNSL_ISQ_E10value_typeET4_jRbjT5_SW_jjP12ihipStream_tbEUlT_E0_NS1_11comp_targetILNS1_3genE0ELNS1_11target_archE4294967295ELNS1_3gpuE0ELNS1_3repE0EEENS1_60segmented_radix_sort_warp_sort_medium_config_static_selectorELNS0_4arch9wavefront6targetE1EEEvSK_.num_agpr, 0
	.set _ZN7rocprim17ROCPRIM_400000_NS6detail17trampoline_kernelINS0_14default_configENS1_36segmented_radix_sort_config_selectorIdlEEZNS1_25segmented_radix_sort_implIS3_Lb1EPKdPdPKlPlN2at6native12_GLOBAL__N_18offset_tEEE10hipError_tPvRmT1_PNSt15iterator_traitsISK_E10value_typeET2_T3_PNSL_ISQ_E10value_typeET4_jRbjT5_SW_jjP12ihipStream_tbEUlT_E0_NS1_11comp_targetILNS1_3genE0ELNS1_11target_archE4294967295ELNS1_3gpuE0ELNS1_3repE0EEENS1_60segmented_radix_sort_warp_sort_medium_config_static_selectorELNS0_4arch9wavefront6targetE1EEEvSK_.numbered_sgpr, 0
	.set _ZN7rocprim17ROCPRIM_400000_NS6detail17trampoline_kernelINS0_14default_configENS1_36segmented_radix_sort_config_selectorIdlEEZNS1_25segmented_radix_sort_implIS3_Lb1EPKdPdPKlPlN2at6native12_GLOBAL__N_18offset_tEEE10hipError_tPvRmT1_PNSt15iterator_traitsISK_E10value_typeET2_T3_PNSL_ISQ_E10value_typeET4_jRbjT5_SW_jjP12ihipStream_tbEUlT_E0_NS1_11comp_targetILNS1_3genE0ELNS1_11target_archE4294967295ELNS1_3gpuE0ELNS1_3repE0EEENS1_60segmented_radix_sort_warp_sort_medium_config_static_selectorELNS0_4arch9wavefront6targetE1EEEvSK_.num_named_barrier, 0
	.set _ZN7rocprim17ROCPRIM_400000_NS6detail17trampoline_kernelINS0_14default_configENS1_36segmented_radix_sort_config_selectorIdlEEZNS1_25segmented_radix_sort_implIS3_Lb1EPKdPdPKlPlN2at6native12_GLOBAL__N_18offset_tEEE10hipError_tPvRmT1_PNSt15iterator_traitsISK_E10value_typeET2_T3_PNSL_ISQ_E10value_typeET4_jRbjT5_SW_jjP12ihipStream_tbEUlT_E0_NS1_11comp_targetILNS1_3genE0ELNS1_11target_archE4294967295ELNS1_3gpuE0ELNS1_3repE0EEENS1_60segmented_radix_sort_warp_sort_medium_config_static_selectorELNS0_4arch9wavefront6targetE1EEEvSK_.private_seg_size, 0
	.set _ZN7rocprim17ROCPRIM_400000_NS6detail17trampoline_kernelINS0_14default_configENS1_36segmented_radix_sort_config_selectorIdlEEZNS1_25segmented_radix_sort_implIS3_Lb1EPKdPdPKlPlN2at6native12_GLOBAL__N_18offset_tEEE10hipError_tPvRmT1_PNSt15iterator_traitsISK_E10value_typeET2_T3_PNSL_ISQ_E10value_typeET4_jRbjT5_SW_jjP12ihipStream_tbEUlT_E0_NS1_11comp_targetILNS1_3genE0ELNS1_11target_archE4294967295ELNS1_3gpuE0ELNS1_3repE0EEENS1_60segmented_radix_sort_warp_sort_medium_config_static_selectorELNS0_4arch9wavefront6targetE1EEEvSK_.uses_vcc, 0
	.set _ZN7rocprim17ROCPRIM_400000_NS6detail17trampoline_kernelINS0_14default_configENS1_36segmented_radix_sort_config_selectorIdlEEZNS1_25segmented_radix_sort_implIS3_Lb1EPKdPdPKlPlN2at6native12_GLOBAL__N_18offset_tEEE10hipError_tPvRmT1_PNSt15iterator_traitsISK_E10value_typeET2_T3_PNSL_ISQ_E10value_typeET4_jRbjT5_SW_jjP12ihipStream_tbEUlT_E0_NS1_11comp_targetILNS1_3genE0ELNS1_11target_archE4294967295ELNS1_3gpuE0ELNS1_3repE0EEENS1_60segmented_radix_sort_warp_sort_medium_config_static_selectorELNS0_4arch9wavefront6targetE1EEEvSK_.uses_flat_scratch, 0
	.set _ZN7rocprim17ROCPRIM_400000_NS6detail17trampoline_kernelINS0_14default_configENS1_36segmented_radix_sort_config_selectorIdlEEZNS1_25segmented_radix_sort_implIS3_Lb1EPKdPdPKlPlN2at6native12_GLOBAL__N_18offset_tEEE10hipError_tPvRmT1_PNSt15iterator_traitsISK_E10value_typeET2_T3_PNSL_ISQ_E10value_typeET4_jRbjT5_SW_jjP12ihipStream_tbEUlT_E0_NS1_11comp_targetILNS1_3genE0ELNS1_11target_archE4294967295ELNS1_3gpuE0ELNS1_3repE0EEENS1_60segmented_radix_sort_warp_sort_medium_config_static_selectorELNS0_4arch9wavefront6targetE1EEEvSK_.has_dyn_sized_stack, 0
	.set _ZN7rocprim17ROCPRIM_400000_NS6detail17trampoline_kernelINS0_14default_configENS1_36segmented_radix_sort_config_selectorIdlEEZNS1_25segmented_radix_sort_implIS3_Lb1EPKdPdPKlPlN2at6native12_GLOBAL__N_18offset_tEEE10hipError_tPvRmT1_PNSt15iterator_traitsISK_E10value_typeET2_T3_PNSL_ISQ_E10value_typeET4_jRbjT5_SW_jjP12ihipStream_tbEUlT_E0_NS1_11comp_targetILNS1_3genE0ELNS1_11target_archE4294967295ELNS1_3gpuE0ELNS1_3repE0EEENS1_60segmented_radix_sort_warp_sort_medium_config_static_selectorELNS0_4arch9wavefront6targetE1EEEvSK_.has_recursion, 0
	.set _ZN7rocprim17ROCPRIM_400000_NS6detail17trampoline_kernelINS0_14default_configENS1_36segmented_radix_sort_config_selectorIdlEEZNS1_25segmented_radix_sort_implIS3_Lb1EPKdPdPKlPlN2at6native12_GLOBAL__N_18offset_tEEE10hipError_tPvRmT1_PNSt15iterator_traitsISK_E10value_typeET2_T3_PNSL_ISQ_E10value_typeET4_jRbjT5_SW_jjP12ihipStream_tbEUlT_E0_NS1_11comp_targetILNS1_3genE0ELNS1_11target_archE4294967295ELNS1_3gpuE0ELNS1_3repE0EEENS1_60segmented_radix_sort_warp_sort_medium_config_static_selectorELNS0_4arch9wavefront6targetE1EEEvSK_.has_indirect_call, 0
	.section	.AMDGPU.csdata,"",@progbits
; Kernel info:
; codeLenInByte = 0
; TotalNumSgprs: 4
; NumVgprs: 0
; ScratchSize: 0
; MemoryBound: 0
; FloatMode: 240
; IeeeMode: 1
; LDSByteSize: 0 bytes/workgroup (compile time only)
; SGPRBlocks: 0
; VGPRBlocks: 0
; NumSGPRsForWavesPerEU: 4
; NumVGPRsForWavesPerEU: 1
; Occupancy: 10
; WaveLimiterHint : 0
; COMPUTE_PGM_RSRC2:SCRATCH_EN: 0
; COMPUTE_PGM_RSRC2:USER_SGPR: 6
; COMPUTE_PGM_RSRC2:TRAP_HANDLER: 0
; COMPUTE_PGM_RSRC2:TGID_X_EN: 1
; COMPUTE_PGM_RSRC2:TGID_Y_EN: 0
; COMPUTE_PGM_RSRC2:TGID_Z_EN: 0
; COMPUTE_PGM_RSRC2:TIDIG_COMP_CNT: 0
	.section	.text._ZN7rocprim17ROCPRIM_400000_NS6detail17trampoline_kernelINS0_14default_configENS1_36segmented_radix_sort_config_selectorIdlEEZNS1_25segmented_radix_sort_implIS3_Lb1EPKdPdPKlPlN2at6native12_GLOBAL__N_18offset_tEEE10hipError_tPvRmT1_PNSt15iterator_traitsISK_E10value_typeET2_T3_PNSL_ISQ_E10value_typeET4_jRbjT5_SW_jjP12ihipStream_tbEUlT_E0_NS1_11comp_targetILNS1_3genE5ELNS1_11target_archE942ELNS1_3gpuE9ELNS1_3repE0EEENS1_60segmented_radix_sort_warp_sort_medium_config_static_selectorELNS0_4arch9wavefront6targetE1EEEvSK_,"axG",@progbits,_ZN7rocprim17ROCPRIM_400000_NS6detail17trampoline_kernelINS0_14default_configENS1_36segmented_radix_sort_config_selectorIdlEEZNS1_25segmented_radix_sort_implIS3_Lb1EPKdPdPKlPlN2at6native12_GLOBAL__N_18offset_tEEE10hipError_tPvRmT1_PNSt15iterator_traitsISK_E10value_typeET2_T3_PNSL_ISQ_E10value_typeET4_jRbjT5_SW_jjP12ihipStream_tbEUlT_E0_NS1_11comp_targetILNS1_3genE5ELNS1_11target_archE942ELNS1_3gpuE9ELNS1_3repE0EEENS1_60segmented_radix_sort_warp_sort_medium_config_static_selectorELNS0_4arch9wavefront6targetE1EEEvSK_,comdat
	.globl	_ZN7rocprim17ROCPRIM_400000_NS6detail17trampoline_kernelINS0_14default_configENS1_36segmented_radix_sort_config_selectorIdlEEZNS1_25segmented_radix_sort_implIS3_Lb1EPKdPdPKlPlN2at6native12_GLOBAL__N_18offset_tEEE10hipError_tPvRmT1_PNSt15iterator_traitsISK_E10value_typeET2_T3_PNSL_ISQ_E10value_typeET4_jRbjT5_SW_jjP12ihipStream_tbEUlT_E0_NS1_11comp_targetILNS1_3genE5ELNS1_11target_archE942ELNS1_3gpuE9ELNS1_3repE0EEENS1_60segmented_radix_sort_warp_sort_medium_config_static_selectorELNS0_4arch9wavefront6targetE1EEEvSK_ ; -- Begin function _ZN7rocprim17ROCPRIM_400000_NS6detail17trampoline_kernelINS0_14default_configENS1_36segmented_radix_sort_config_selectorIdlEEZNS1_25segmented_radix_sort_implIS3_Lb1EPKdPdPKlPlN2at6native12_GLOBAL__N_18offset_tEEE10hipError_tPvRmT1_PNSt15iterator_traitsISK_E10value_typeET2_T3_PNSL_ISQ_E10value_typeET4_jRbjT5_SW_jjP12ihipStream_tbEUlT_E0_NS1_11comp_targetILNS1_3genE5ELNS1_11target_archE942ELNS1_3gpuE9ELNS1_3repE0EEENS1_60segmented_radix_sort_warp_sort_medium_config_static_selectorELNS0_4arch9wavefront6targetE1EEEvSK_
	.p2align	8
	.type	_ZN7rocprim17ROCPRIM_400000_NS6detail17trampoline_kernelINS0_14default_configENS1_36segmented_radix_sort_config_selectorIdlEEZNS1_25segmented_radix_sort_implIS3_Lb1EPKdPdPKlPlN2at6native12_GLOBAL__N_18offset_tEEE10hipError_tPvRmT1_PNSt15iterator_traitsISK_E10value_typeET2_T3_PNSL_ISQ_E10value_typeET4_jRbjT5_SW_jjP12ihipStream_tbEUlT_E0_NS1_11comp_targetILNS1_3genE5ELNS1_11target_archE942ELNS1_3gpuE9ELNS1_3repE0EEENS1_60segmented_radix_sort_warp_sort_medium_config_static_selectorELNS0_4arch9wavefront6targetE1EEEvSK_,@function
_ZN7rocprim17ROCPRIM_400000_NS6detail17trampoline_kernelINS0_14default_configENS1_36segmented_radix_sort_config_selectorIdlEEZNS1_25segmented_radix_sort_implIS3_Lb1EPKdPdPKlPlN2at6native12_GLOBAL__N_18offset_tEEE10hipError_tPvRmT1_PNSt15iterator_traitsISK_E10value_typeET2_T3_PNSL_ISQ_E10value_typeET4_jRbjT5_SW_jjP12ihipStream_tbEUlT_E0_NS1_11comp_targetILNS1_3genE5ELNS1_11target_archE942ELNS1_3gpuE9ELNS1_3repE0EEENS1_60segmented_radix_sort_warp_sort_medium_config_static_selectorELNS0_4arch9wavefront6targetE1EEEvSK_: ; @_ZN7rocprim17ROCPRIM_400000_NS6detail17trampoline_kernelINS0_14default_configENS1_36segmented_radix_sort_config_selectorIdlEEZNS1_25segmented_radix_sort_implIS3_Lb1EPKdPdPKlPlN2at6native12_GLOBAL__N_18offset_tEEE10hipError_tPvRmT1_PNSt15iterator_traitsISK_E10value_typeET2_T3_PNSL_ISQ_E10value_typeET4_jRbjT5_SW_jjP12ihipStream_tbEUlT_E0_NS1_11comp_targetILNS1_3genE5ELNS1_11target_archE942ELNS1_3gpuE9ELNS1_3repE0EEENS1_60segmented_radix_sort_warp_sort_medium_config_static_selectorELNS0_4arch9wavefront6targetE1EEEvSK_
; %bb.0:
	.section	.rodata,"a",@progbits
	.p2align	6, 0x0
	.amdhsa_kernel _ZN7rocprim17ROCPRIM_400000_NS6detail17trampoline_kernelINS0_14default_configENS1_36segmented_radix_sort_config_selectorIdlEEZNS1_25segmented_radix_sort_implIS3_Lb1EPKdPdPKlPlN2at6native12_GLOBAL__N_18offset_tEEE10hipError_tPvRmT1_PNSt15iterator_traitsISK_E10value_typeET2_T3_PNSL_ISQ_E10value_typeET4_jRbjT5_SW_jjP12ihipStream_tbEUlT_E0_NS1_11comp_targetILNS1_3genE5ELNS1_11target_archE942ELNS1_3gpuE9ELNS1_3repE0EEENS1_60segmented_radix_sort_warp_sort_medium_config_static_selectorELNS0_4arch9wavefront6targetE1EEEvSK_
		.amdhsa_group_segment_fixed_size 0
		.amdhsa_private_segment_fixed_size 0
		.amdhsa_kernarg_size 88
		.amdhsa_user_sgpr_count 6
		.amdhsa_user_sgpr_private_segment_buffer 1
		.amdhsa_user_sgpr_dispatch_ptr 0
		.amdhsa_user_sgpr_queue_ptr 0
		.amdhsa_user_sgpr_kernarg_segment_ptr 1
		.amdhsa_user_sgpr_dispatch_id 0
		.amdhsa_user_sgpr_flat_scratch_init 0
		.amdhsa_user_sgpr_private_segment_size 0
		.amdhsa_uses_dynamic_stack 0
		.amdhsa_system_sgpr_private_segment_wavefront_offset 0
		.amdhsa_system_sgpr_workgroup_id_x 1
		.amdhsa_system_sgpr_workgroup_id_y 0
		.amdhsa_system_sgpr_workgroup_id_z 0
		.amdhsa_system_sgpr_workgroup_info 0
		.amdhsa_system_vgpr_workitem_id 0
		.amdhsa_next_free_vgpr 1
		.amdhsa_next_free_sgpr 0
		.amdhsa_reserve_vcc 0
		.amdhsa_reserve_flat_scratch 0
		.amdhsa_float_round_mode_32 0
		.amdhsa_float_round_mode_16_64 0
		.amdhsa_float_denorm_mode_32 3
		.amdhsa_float_denorm_mode_16_64 3
		.amdhsa_dx10_clamp 1
		.amdhsa_ieee_mode 1
		.amdhsa_fp16_overflow 0
		.amdhsa_exception_fp_ieee_invalid_op 0
		.amdhsa_exception_fp_denorm_src 0
		.amdhsa_exception_fp_ieee_div_zero 0
		.amdhsa_exception_fp_ieee_overflow 0
		.amdhsa_exception_fp_ieee_underflow 0
		.amdhsa_exception_fp_ieee_inexact 0
		.amdhsa_exception_int_div_zero 0
	.end_amdhsa_kernel
	.section	.text._ZN7rocprim17ROCPRIM_400000_NS6detail17trampoline_kernelINS0_14default_configENS1_36segmented_radix_sort_config_selectorIdlEEZNS1_25segmented_radix_sort_implIS3_Lb1EPKdPdPKlPlN2at6native12_GLOBAL__N_18offset_tEEE10hipError_tPvRmT1_PNSt15iterator_traitsISK_E10value_typeET2_T3_PNSL_ISQ_E10value_typeET4_jRbjT5_SW_jjP12ihipStream_tbEUlT_E0_NS1_11comp_targetILNS1_3genE5ELNS1_11target_archE942ELNS1_3gpuE9ELNS1_3repE0EEENS1_60segmented_radix_sort_warp_sort_medium_config_static_selectorELNS0_4arch9wavefront6targetE1EEEvSK_,"axG",@progbits,_ZN7rocprim17ROCPRIM_400000_NS6detail17trampoline_kernelINS0_14default_configENS1_36segmented_radix_sort_config_selectorIdlEEZNS1_25segmented_radix_sort_implIS3_Lb1EPKdPdPKlPlN2at6native12_GLOBAL__N_18offset_tEEE10hipError_tPvRmT1_PNSt15iterator_traitsISK_E10value_typeET2_T3_PNSL_ISQ_E10value_typeET4_jRbjT5_SW_jjP12ihipStream_tbEUlT_E0_NS1_11comp_targetILNS1_3genE5ELNS1_11target_archE942ELNS1_3gpuE9ELNS1_3repE0EEENS1_60segmented_radix_sort_warp_sort_medium_config_static_selectorELNS0_4arch9wavefront6targetE1EEEvSK_,comdat
.Lfunc_end1129:
	.size	_ZN7rocprim17ROCPRIM_400000_NS6detail17trampoline_kernelINS0_14default_configENS1_36segmented_radix_sort_config_selectorIdlEEZNS1_25segmented_radix_sort_implIS3_Lb1EPKdPdPKlPlN2at6native12_GLOBAL__N_18offset_tEEE10hipError_tPvRmT1_PNSt15iterator_traitsISK_E10value_typeET2_T3_PNSL_ISQ_E10value_typeET4_jRbjT5_SW_jjP12ihipStream_tbEUlT_E0_NS1_11comp_targetILNS1_3genE5ELNS1_11target_archE942ELNS1_3gpuE9ELNS1_3repE0EEENS1_60segmented_radix_sort_warp_sort_medium_config_static_selectorELNS0_4arch9wavefront6targetE1EEEvSK_, .Lfunc_end1129-_ZN7rocprim17ROCPRIM_400000_NS6detail17trampoline_kernelINS0_14default_configENS1_36segmented_radix_sort_config_selectorIdlEEZNS1_25segmented_radix_sort_implIS3_Lb1EPKdPdPKlPlN2at6native12_GLOBAL__N_18offset_tEEE10hipError_tPvRmT1_PNSt15iterator_traitsISK_E10value_typeET2_T3_PNSL_ISQ_E10value_typeET4_jRbjT5_SW_jjP12ihipStream_tbEUlT_E0_NS1_11comp_targetILNS1_3genE5ELNS1_11target_archE942ELNS1_3gpuE9ELNS1_3repE0EEENS1_60segmented_radix_sort_warp_sort_medium_config_static_selectorELNS0_4arch9wavefront6targetE1EEEvSK_
                                        ; -- End function
	.set _ZN7rocprim17ROCPRIM_400000_NS6detail17trampoline_kernelINS0_14default_configENS1_36segmented_radix_sort_config_selectorIdlEEZNS1_25segmented_radix_sort_implIS3_Lb1EPKdPdPKlPlN2at6native12_GLOBAL__N_18offset_tEEE10hipError_tPvRmT1_PNSt15iterator_traitsISK_E10value_typeET2_T3_PNSL_ISQ_E10value_typeET4_jRbjT5_SW_jjP12ihipStream_tbEUlT_E0_NS1_11comp_targetILNS1_3genE5ELNS1_11target_archE942ELNS1_3gpuE9ELNS1_3repE0EEENS1_60segmented_radix_sort_warp_sort_medium_config_static_selectorELNS0_4arch9wavefront6targetE1EEEvSK_.num_vgpr, 0
	.set _ZN7rocprim17ROCPRIM_400000_NS6detail17trampoline_kernelINS0_14default_configENS1_36segmented_radix_sort_config_selectorIdlEEZNS1_25segmented_radix_sort_implIS3_Lb1EPKdPdPKlPlN2at6native12_GLOBAL__N_18offset_tEEE10hipError_tPvRmT1_PNSt15iterator_traitsISK_E10value_typeET2_T3_PNSL_ISQ_E10value_typeET4_jRbjT5_SW_jjP12ihipStream_tbEUlT_E0_NS1_11comp_targetILNS1_3genE5ELNS1_11target_archE942ELNS1_3gpuE9ELNS1_3repE0EEENS1_60segmented_radix_sort_warp_sort_medium_config_static_selectorELNS0_4arch9wavefront6targetE1EEEvSK_.num_agpr, 0
	.set _ZN7rocprim17ROCPRIM_400000_NS6detail17trampoline_kernelINS0_14default_configENS1_36segmented_radix_sort_config_selectorIdlEEZNS1_25segmented_radix_sort_implIS3_Lb1EPKdPdPKlPlN2at6native12_GLOBAL__N_18offset_tEEE10hipError_tPvRmT1_PNSt15iterator_traitsISK_E10value_typeET2_T3_PNSL_ISQ_E10value_typeET4_jRbjT5_SW_jjP12ihipStream_tbEUlT_E0_NS1_11comp_targetILNS1_3genE5ELNS1_11target_archE942ELNS1_3gpuE9ELNS1_3repE0EEENS1_60segmented_radix_sort_warp_sort_medium_config_static_selectorELNS0_4arch9wavefront6targetE1EEEvSK_.numbered_sgpr, 0
	.set _ZN7rocprim17ROCPRIM_400000_NS6detail17trampoline_kernelINS0_14default_configENS1_36segmented_radix_sort_config_selectorIdlEEZNS1_25segmented_radix_sort_implIS3_Lb1EPKdPdPKlPlN2at6native12_GLOBAL__N_18offset_tEEE10hipError_tPvRmT1_PNSt15iterator_traitsISK_E10value_typeET2_T3_PNSL_ISQ_E10value_typeET4_jRbjT5_SW_jjP12ihipStream_tbEUlT_E0_NS1_11comp_targetILNS1_3genE5ELNS1_11target_archE942ELNS1_3gpuE9ELNS1_3repE0EEENS1_60segmented_radix_sort_warp_sort_medium_config_static_selectorELNS0_4arch9wavefront6targetE1EEEvSK_.num_named_barrier, 0
	.set _ZN7rocprim17ROCPRIM_400000_NS6detail17trampoline_kernelINS0_14default_configENS1_36segmented_radix_sort_config_selectorIdlEEZNS1_25segmented_radix_sort_implIS3_Lb1EPKdPdPKlPlN2at6native12_GLOBAL__N_18offset_tEEE10hipError_tPvRmT1_PNSt15iterator_traitsISK_E10value_typeET2_T3_PNSL_ISQ_E10value_typeET4_jRbjT5_SW_jjP12ihipStream_tbEUlT_E0_NS1_11comp_targetILNS1_3genE5ELNS1_11target_archE942ELNS1_3gpuE9ELNS1_3repE0EEENS1_60segmented_radix_sort_warp_sort_medium_config_static_selectorELNS0_4arch9wavefront6targetE1EEEvSK_.private_seg_size, 0
	.set _ZN7rocprim17ROCPRIM_400000_NS6detail17trampoline_kernelINS0_14default_configENS1_36segmented_radix_sort_config_selectorIdlEEZNS1_25segmented_radix_sort_implIS3_Lb1EPKdPdPKlPlN2at6native12_GLOBAL__N_18offset_tEEE10hipError_tPvRmT1_PNSt15iterator_traitsISK_E10value_typeET2_T3_PNSL_ISQ_E10value_typeET4_jRbjT5_SW_jjP12ihipStream_tbEUlT_E0_NS1_11comp_targetILNS1_3genE5ELNS1_11target_archE942ELNS1_3gpuE9ELNS1_3repE0EEENS1_60segmented_radix_sort_warp_sort_medium_config_static_selectorELNS0_4arch9wavefront6targetE1EEEvSK_.uses_vcc, 0
	.set _ZN7rocprim17ROCPRIM_400000_NS6detail17trampoline_kernelINS0_14default_configENS1_36segmented_radix_sort_config_selectorIdlEEZNS1_25segmented_radix_sort_implIS3_Lb1EPKdPdPKlPlN2at6native12_GLOBAL__N_18offset_tEEE10hipError_tPvRmT1_PNSt15iterator_traitsISK_E10value_typeET2_T3_PNSL_ISQ_E10value_typeET4_jRbjT5_SW_jjP12ihipStream_tbEUlT_E0_NS1_11comp_targetILNS1_3genE5ELNS1_11target_archE942ELNS1_3gpuE9ELNS1_3repE0EEENS1_60segmented_radix_sort_warp_sort_medium_config_static_selectorELNS0_4arch9wavefront6targetE1EEEvSK_.uses_flat_scratch, 0
	.set _ZN7rocprim17ROCPRIM_400000_NS6detail17trampoline_kernelINS0_14default_configENS1_36segmented_radix_sort_config_selectorIdlEEZNS1_25segmented_radix_sort_implIS3_Lb1EPKdPdPKlPlN2at6native12_GLOBAL__N_18offset_tEEE10hipError_tPvRmT1_PNSt15iterator_traitsISK_E10value_typeET2_T3_PNSL_ISQ_E10value_typeET4_jRbjT5_SW_jjP12ihipStream_tbEUlT_E0_NS1_11comp_targetILNS1_3genE5ELNS1_11target_archE942ELNS1_3gpuE9ELNS1_3repE0EEENS1_60segmented_radix_sort_warp_sort_medium_config_static_selectorELNS0_4arch9wavefront6targetE1EEEvSK_.has_dyn_sized_stack, 0
	.set _ZN7rocprim17ROCPRIM_400000_NS6detail17trampoline_kernelINS0_14default_configENS1_36segmented_radix_sort_config_selectorIdlEEZNS1_25segmented_radix_sort_implIS3_Lb1EPKdPdPKlPlN2at6native12_GLOBAL__N_18offset_tEEE10hipError_tPvRmT1_PNSt15iterator_traitsISK_E10value_typeET2_T3_PNSL_ISQ_E10value_typeET4_jRbjT5_SW_jjP12ihipStream_tbEUlT_E0_NS1_11comp_targetILNS1_3genE5ELNS1_11target_archE942ELNS1_3gpuE9ELNS1_3repE0EEENS1_60segmented_radix_sort_warp_sort_medium_config_static_selectorELNS0_4arch9wavefront6targetE1EEEvSK_.has_recursion, 0
	.set _ZN7rocprim17ROCPRIM_400000_NS6detail17trampoline_kernelINS0_14default_configENS1_36segmented_radix_sort_config_selectorIdlEEZNS1_25segmented_radix_sort_implIS3_Lb1EPKdPdPKlPlN2at6native12_GLOBAL__N_18offset_tEEE10hipError_tPvRmT1_PNSt15iterator_traitsISK_E10value_typeET2_T3_PNSL_ISQ_E10value_typeET4_jRbjT5_SW_jjP12ihipStream_tbEUlT_E0_NS1_11comp_targetILNS1_3genE5ELNS1_11target_archE942ELNS1_3gpuE9ELNS1_3repE0EEENS1_60segmented_radix_sort_warp_sort_medium_config_static_selectorELNS0_4arch9wavefront6targetE1EEEvSK_.has_indirect_call, 0
	.section	.AMDGPU.csdata,"",@progbits
; Kernel info:
; codeLenInByte = 0
; TotalNumSgprs: 4
; NumVgprs: 0
; ScratchSize: 0
; MemoryBound: 0
; FloatMode: 240
; IeeeMode: 1
; LDSByteSize: 0 bytes/workgroup (compile time only)
; SGPRBlocks: 0
; VGPRBlocks: 0
; NumSGPRsForWavesPerEU: 4
; NumVGPRsForWavesPerEU: 1
; Occupancy: 10
; WaveLimiterHint : 0
; COMPUTE_PGM_RSRC2:SCRATCH_EN: 0
; COMPUTE_PGM_RSRC2:USER_SGPR: 6
; COMPUTE_PGM_RSRC2:TRAP_HANDLER: 0
; COMPUTE_PGM_RSRC2:TGID_X_EN: 1
; COMPUTE_PGM_RSRC2:TGID_Y_EN: 0
; COMPUTE_PGM_RSRC2:TGID_Z_EN: 0
; COMPUTE_PGM_RSRC2:TIDIG_COMP_CNT: 0
	.section	.text._ZN7rocprim17ROCPRIM_400000_NS6detail17trampoline_kernelINS0_14default_configENS1_36segmented_radix_sort_config_selectorIdlEEZNS1_25segmented_radix_sort_implIS3_Lb1EPKdPdPKlPlN2at6native12_GLOBAL__N_18offset_tEEE10hipError_tPvRmT1_PNSt15iterator_traitsISK_E10value_typeET2_T3_PNSL_ISQ_E10value_typeET4_jRbjT5_SW_jjP12ihipStream_tbEUlT_E0_NS1_11comp_targetILNS1_3genE4ELNS1_11target_archE910ELNS1_3gpuE8ELNS1_3repE0EEENS1_60segmented_radix_sort_warp_sort_medium_config_static_selectorELNS0_4arch9wavefront6targetE1EEEvSK_,"axG",@progbits,_ZN7rocprim17ROCPRIM_400000_NS6detail17trampoline_kernelINS0_14default_configENS1_36segmented_radix_sort_config_selectorIdlEEZNS1_25segmented_radix_sort_implIS3_Lb1EPKdPdPKlPlN2at6native12_GLOBAL__N_18offset_tEEE10hipError_tPvRmT1_PNSt15iterator_traitsISK_E10value_typeET2_T3_PNSL_ISQ_E10value_typeET4_jRbjT5_SW_jjP12ihipStream_tbEUlT_E0_NS1_11comp_targetILNS1_3genE4ELNS1_11target_archE910ELNS1_3gpuE8ELNS1_3repE0EEENS1_60segmented_radix_sort_warp_sort_medium_config_static_selectorELNS0_4arch9wavefront6targetE1EEEvSK_,comdat
	.globl	_ZN7rocprim17ROCPRIM_400000_NS6detail17trampoline_kernelINS0_14default_configENS1_36segmented_radix_sort_config_selectorIdlEEZNS1_25segmented_radix_sort_implIS3_Lb1EPKdPdPKlPlN2at6native12_GLOBAL__N_18offset_tEEE10hipError_tPvRmT1_PNSt15iterator_traitsISK_E10value_typeET2_T3_PNSL_ISQ_E10value_typeET4_jRbjT5_SW_jjP12ihipStream_tbEUlT_E0_NS1_11comp_targetILNS1_3genE4ELNS1_11target_archE910ELNS1_3gpuE8ELNS1_3repE0EEENS1_60segmented_radix_sort_warp_sort_medium_config_static_selectorELNS0_4arch9wavefront6targetE1EEEvSK_ ; -- Begin function _ZN7rocprim17ROCPRIM_400000_NS6detail17trampoline_kernelINS0_14default_configENS1_36segmented_radix_sort_config_selectorIdlEEZNS1_25segmented_radix_sort_implIS3_Lb1EPKdPdPKlPlN2at6native12_GLOBAL__N_18offset_tEEE10hipError_tPvRmT1_PNSt15iterator_traitsISK_E10value_typeET2_T3_PNSL_ISQ_E10value_typeET4_jRbjT5_SW_jjP12ihipStream_tbEUlT_E0_NS1_11comp_targetILNS1_3genE4ELNS1_11target_archE910ELNS1_3gpuE8ELNS1_3repE0EEENS1_60segmented_radix_sort_warp_sort_medium_config_static_selectorELNS0_4arch9wavefront6targetE1EEEvSK_
	.p2align	8
	.type	_ZN7rocprim17ROCPRIM_400000_NS6detail17trampoline_kernelINS0_14default_configENS1_36segmented_radix_sort_config_selectorIdlEEZNS1_25segmented_radix_sort_implIS3_Lb1EPKdPdPKlPlN2at6native12_GLOBAL__N_18offset_tEEE10hipError_tPvRmT1_PNSt15iterator_traitsISK_E10value_typeET2_T3_PNSL_ISQ_E10value_typeET4_jRbjT5_SW_jjP12ihipStream_tbEUlT_E0_NS1_11comp_targetILNS1_3genE4ELNS1_11target_archE910ELNS1_3gpuE8ELNS1_3repE0EEENS1_60segmented_radix_sort_warp_sort_medium_config_static_selectorELNS0_4arch9wavefront6targetE1EEEvSK_,@function
_ZN7rocprim17ROCPRIM_400000_NS6detail17trampoline_kernelINS0_14default_configENS1_36segmented_radix_sort_config_selectorIdlEEZNS1_25segmented_radix_sort_implIS3_Lb1EPKdPdPKlPlN2at6native12_GLOBAL__N_18offset_tEEE10hipError_tPvRmT1_PNSt15iterator_traitsISK_E10value_typeET2_T3_PNSL_ISQ_E10value_typeET4_jRbjT5_SW_jjP12ihipStream_tbEUlT_E0_NS1_11comp_targetILNS1_3genE4ELNS1_11target_archE910ELNS1_3gpuE8ELNS1_3repE0EEENS1_60segmented_radix_sort_warp_sort_medium_config_static_selectorELNS0_4arch9wavefront6targetE1EEEvSK_: ; @_ZN7rocprim17ROCPRIM_400000_NS6detail17trampoline_kernelINS0_14default_configENS1_36segmented_radix_sort_config_selectorIdlEEZNS1_25segmented_radix_sort_implIS3_Lb1EPKdPdPKlPlN2at6native12_GLOBAL__N_18offset_tEEE10hipError_tPvRmT1_PNSt15iterator_traitsISK_E10value_typeET2_T3_PNSL_ISQ_E10value_typeET4_jRbjT5_SW_jjP12ihipStream_tbEUlT_E0_NS1_11comp_targetILNS1_3genE4ELNS1_11target_archE910ELNS1_3gpuE8ELNS1_3repE0EEENS1_60segmented_radix_sort_warp_sort_medium_config_static_selectorELNS0_4arch9wavefront6targetE1EEEvSK_
; %bb.0:
	.section	.rodata,"a",@progbits
	.p2align	6, 0x0
	.amdhsa_kernel _ZN7rocprim17ROCPRIM_400000_NS6detail17trampoline_kernelINS0_14default_configENS1_36segmented_radix_sort_config_selectorIdlEEZNS1_25segmented_radix_sort_implIS3_Lb1EPKdPdPKlPlN2at6native12_GLOBAL__N_18offset_tEEE10hipError_tPvRmT1_PNSt15iterator_traitsISK_E10value_typeET2_T3_PNSL_ISQ_E10value_typeET4_jRbjT5_SW_jjP12ihipStream_tbEUlT_E0_NS1_11comp_targetILNS1_3genE4ELNS1_11target_archE910ELNS1_3gpuE8ELNS1_3repE0EEENS1_60segmented_radix_sort_warp_sort_medium_config_static_selectorELNS0_4arch9wavefront6targetE1EEEvSK_
		.amdhsa_group_segment_fixed_size 0
		.amdhsa_private_segment_fixed_size 0
		.amdhsa_kernarg_size 88
		.amdhsa_user_sgpr_count 6
		.amdhsa_user_sgpr_private_segment_buffer 1
		.amdhsa_user_sgpr_dispatch_ptr 0
		.amdhsa_user_sgpr_queue_ptr 0
		.amdhsa_user_sgpr_kernarg_segment_ptr 1
		.amdhsa_user_sgpr_dispatch_id 0
		.amdhsa_user_sgpr_flat_scratch_init 0
		.amdhsa_user_sgpr_private_segment_size 0
		.amdhsa_uses_dynamic_stack 0
		.amdhsa_system_sgpr_private_segment_wavefront_offset 0
		.amdhsa_system_sgpr_workgroup_id_x 1
		.amdhsa_system_sgpr_workgroup_id_y 0
		.amdhsa_system_sgpr_workgroup_id_z 0
		.amdhsa_system_sgpr_workgroup_info 0
		.amdhsa_system_vgpr_workitem_id 0
		.amdhsa_next_free_vgpr 1
		.amdhsa_next_free_sgpr 0
		.amdhsa_reserve_vcc 0
		.amdhsa_reserve_flat_scratch 0
		.amdhsa_float_round_mode_32 0
		.amdhsa_float_round_mode_16_64 0
		.amdhsa_float_denorm_mode_32 3
		.amdhsa_float_denorm_mode_16_64 3
		.amdhsa_dx10_clamp 1
		.amdhsa_ieee_mode 1
		.amdhsa_fp16_overflow 0
		.amdhsa_exception_fp_ieee_invalid_op 0
		.amdhsa_exception_fp_denorm_src 0
		.amdhsa_exception_fp_ieee_div_zero 0
		.amdhsa_exception_fp_ieee_overflow 0
		.amdhsa_exception_fp_ieee_underflow 0
		.amdhsa_exception_fp_ieee_inexact 0
		.amdhsa_exception_int_div_zero 0
	.end_amdhsa_kernel
	.section	.text._ZN7rocprim17ROCPRIM_400000_NS6detail17trampoline_kernelINS0_14default_configENS1_36segmented_radix_sort_config_selectorIdlEEZNS1_25segmented_radix_sort_implIS3_Lb1EPKdPdPKlPlN2at6native12_GLOBAL__N_18offset_tEEE10hipError_tPvRmT1_PNSt15iterator_traitsISK_E10value_typeET2_T3_PNSL_ISQ_E10value_typeET4_jRbjT5_SW_jjP12ihipStream_tbEUlT_E0_NS1_11comp_targetILNS1_3genE4ELNS1_11target_archE910ELNS1_3gpuE8ELNS1_3repE0EEENS1_60segmented_radix_sort_warp_sort_medium_config_static_selectorELNS0_4arch9wavefront6targetE1EEEvSK_,"axG",@progbits,_ZN7rocprim17ROCPRIM_400000_NS6detail17trampoline_kernelINS0_14default_configENS1_36segmented_radix_sort_config_selectorIdlEEZNS1_25segmented_radix_sort_implIS3_Lb1EPKdPdPKlPlN2at6native12_GLOBAL__N_18offset_tEEE10hipError_tPvRmT1_PNSt15iterator_traitsISK_E10value_typeET2_T3_PNSL_ISQ_E10value_typeET4_jRbjT5_SW_jjP12ihipStream_tbEUlT_E0_NS1_11comp_targetILNS1_3genE4ELNS1_11target_archE910ELNS1_3gpuE8ELNS1_3repE0EEENS1_60segmented_radix_sort_warp_sort_medium_config_static_selectorELNS0_4arch9wavefront6targetE1EEEvSK_,comdat
.Lfunc_end1130:
	.size	_ZN7rocprim17ROCPRIM_400000_NS6detail17trampoline_kernelINS0_14default_configENS1_36segmented_radix_sort_config_selectorIdlEEZNS1_25segmented_radix_sort_implIS3_Lb1EPKdPdPKlPlN2at6native12_GLOBAL__N_18offset_tEEE10hipError_tPvRmT1_PNSt15iterator_traitsISK_E10value_typeET2_T3_PNSL_ISQ_E10value_typeET4_jRbjT5_SW_jjP12ihipStream_tbEUlT_E0_NS1_11comp_targetILNS1_3genE4ELNS1_11target_archE910ELNS1_3gpuE8ELNS1_3repE0EEENS1_60segmented_radix_sort_warp_sort_medium_config_static_selectorELNS0_4arch9wavefront6targetE1EEEvSK_, .Lfunc_end1130-_ZN7rocprim17ROCPRIM_400000_NS6detail17trampoline_kernelINS0_14default_configENS1_36segmented_radix_sort_config_selectorIdlEEZNS1_25segmented_radix_sort_implIS3_Lb1EPKdPdPKlPlN2at6native12_GLOBAL__N_18offset_tEEE10hipError_tPvRmT1_PNSt15iterator_traitsISK_E10value_typeET2_T3_PNSL_ISQ_E10value_typeET4_jRbjT5_SW_jjP12ihipStream_tbEUlT_E0_NS1_11comp_targetILNS1_3genE4ELNS1_11target_archE910ELNS1_3gpuE8ELNS1_3repE0EEENS1_60segmented_radix_sort_warp_sort_medium_config_static_selectorELNS0_4arch9wavefront6targetE1EEEvSK_
                                        ; -- End function
	.set _ZN7rocprim17ROCPRIM_400000_NS6detail17trampoline_kernelINS0_14default_configENS1_36segmented_radix_sort_config_selectorIdlEEZNS1_25segmented_radix_sort_implIS3_Lb1EPKdPdPKlPlN2at6native12_GLOBAL__N_18offset_tEEE10hipError_tPvRmT1_PNSt15iterator_traitsISK_E10value_typeET2_T3_PNSL_ISQ_E10value_typeET4_jRbjT5_SW_jjP12ihipStream_tbEUlT_E0_NS1_11comp_targetILNS1_3genE4ELNS1_11target_archE910ELNS1_3gpuE8ELNS1_3repE0EEENS1_60segmented_radix_sort_warp_sort_medium_config_static_selectorELNS0_4arch9wavefront6targetE1EEEvSK_.num_vgpr, 0
	.set _ZN7rocprim17ROCPRIM_400000_NS6detail17trampoline_kernelINS0_14default_configENS1_36segmented_radix_sort_config_selectorIdlEEZNS1_25segmented_radix_sort_implIS3_Lb1EPKdPdPKlPlN2at6native12_GLOBAL__N_18offset_tEEE10hipError_tPvRmT1_PNSt15iterator_traitsISK_E10value_typeET2_T3_PNSL_ISQ_E10value_typeET4_jRbjT5_SW_jjP12ihipStream_tbEUlT_E0_NS1_11comp_targetILNS1_3genE4ELNS1_11target_archE910ELNS1_3gpuE8ELNS1_3repE0EEENS1_60segmented_radix_sort_warp_sort_medium_config_static_selectorELNS0_4arch9wavefront6targetE1EEEvSK_.num_agpr, 0
	.set _ZN7rocprim17ROCPRIM_400000_NS6detail17trampoline_kernelINS0_14default_configENS1_36segmented_radix_sort_config_selectorIdlEEZNS1_25segmented_radix_sort_implIS3_Lb1EPKdPdPKlPlN2at6native12_GLOBAL__N_18offset_tEEE10hipError_tPvRmT1_PNSt15iterator_traitsISK_E10value_typeET2_T3_PNSL_ISQ_E10value_typeET4_jRbjT5_SW_jjP12ihipStream_tbEUlT_E0_NS1_11comp_targetILNS1_3genE4ELNS1_11target_archE910ELNS1_3gpuE8ELNS1_3repE0EEENS1_60segmented_radix_sort_warp_sort_medium_config_static_selectorELNS0_4arch9wavefront6targetE1EEEvSK_.numbered_sgpr, 0
	.set _ZN7rocprim17ROCPRIM_400000_NS6detail17trampoline_kernelINS0_14default_configENS1_36segmented_radix_sort_config_selectorIdlEEZNS1_25segmented_radix_sort_implIS3_Lb1EPKdPdPKlPlN2at6native12_GLOBAL__N_18offset_tEEE10hipError_tPvRmT1_PNSt15iterator_traitsISK_E10value_typeET2_T3_PNSL_ISQ_E10value_typeET4_jRbjT5_SW_jjP12ihipStream_tbEUlT_E0_NS1_11comp_targetILNS1_3genE4ELNS1_11target_archE910ELNS1_3gpuE8ELNS1_3repE0EEENS1_60segmented_radix_sort_warp_sort_medium_config_static_selectorELNS0_4arch9wavefront6targetE1EEEvSK_.num_named_barrier, 0
	.set _ZN7rocprim17ROCPRIM_400000_NS6detail17trampoline_kernelINS0_14default_configENS1_36segmented_radix_sort_config_selectorIdlEEZNS1_25segmented_radix_sort_implIS3_Lb1EPKdPdPKlPlN2at6native12_GLOBAL__N_18offset_tEEE10hipError_tPvRmT1_PNSt15iterator_traitsISK_E10value_typeET2_T3_PNSL_ISQ_E10value_typeET4_jRbjT5_SW_jjP12ihipStream_tbEUlT_E0_NS1_11comp_targetILNS1_3genE4ELNS1_11target_archE910ELNS1_3gpuE8ELNS1_3repE0EEENS1_60segmented_radix_sort_warp_sort_medium_config_static_selectorELNS0_4arch9wavefront6targetE1EEEvSK_.private_seg_size, 0
	.set _ZN7rocprim17ROCPRIM_400000_NS6detail17trampoline_kernelINS0_14default_configENS1_36segmented_radix_sort_config_selectorIdlEEZNS1_25segmented_radix_sort_implIS3_Lb1EPKdPdPKlPlN2at6native12_GLOBAL__N_18offset_tEEE10hipError_tPvRmT1_PNSt15iterator_traitsISK_E10value_typeET2_T3_PNSL_ISQ_E10value_typeET4_jRbjT5_SW_jjP12ihipStream_tbEUlT_E0_NS1_11comp_targetILNS1_3genE4ELNS1_11target_archE910ELNS1_3gpuE8ELNS1_3repE0EEENS1_60segmented_radix_sort_warp_sort_medium_config_static_selectorELNS0_4arch9wavefront6targetE1EEEvSK_.uses_vcc, 0
	.set _ZN7rocprim17ROCPRIM_400000_NS6detail17trampoline_kernelINS0_14default_configENS1_36segmented_radix_sort_config_selectorIdlEEZNS1_25segmented_radix_sort_implIS3_Lb1EPKdPdPKlPlN2at6native12_GLOBAL__N_18offset_tEEE10hipError_tPvRmT1_PNSt15iterator_traitsISK_E10value_typeET2_T3_PNSL_ISQ_E10value_typeET4_jRbjT5_SW_jjP12ihipStream_tbEUlT_E0_NS1_11comp_targetILNS1_3genE4ELNS1_11target_archE910ELNS1_3gpuE8ELNS1_3repE0EEENS1_60segmented_radix_sort_warp_sort_medium_config_static_selectorELNS0_4arch9wavefront6targetE1EEEvSK_.uses_flat_scratch, 0
	.set _ZN7rocprim17ROCPRIM_400000_NS6detail17trampoline_kernelINS0_14default_configENS1_36segmented_radix_sort_config_selectorIdlEEZNS1_25segmented_radix_sort_implIS3_Lb1EPKdPdPKlPlN2at6native12_GLOBAL__N_18offset_tEEE10hipError_tPvRmT1_PNSt15iterator_traitsISK_E10value_typeET2_T3_PNSL_ISQ_E10value_typeET4_jRbjT5_SW_jjP12ihipStream_tbEUlT_E0_NS1_11comp_targetILNS1_3genE4ELNS1_11target_archE910ELNS1_3gpuE8ELNS1_3repE0EEENS1_60segmented_radix_sort_warp_sort_medium_config_static_selectorELNS0_4arch9wavefront6targetE1EEEvSK_.has_dyn_sized_stack, 0
	.set _ZN7rocprim17ROCPRIM_400000_NS6detail17trampoline_kernelINS0_14default_configENS1_36segmented_radix_sort_config_selectorIdlEEZNS1_25segmented_radix_sort_implIS3_Lb1EPKdPdPKlPlN2at6native12_GLOBAL__N_18offset_tEEE10hipError_tPvRmT1_PNSt15iterator_traitsISK_E10value_typeET2_T3_PNSL_ISQ_E10value_typeET4_jRbjT5_SW_jjP12ihipStream_tbEUlT_E0_NS1_11comp_targetILNS1_3genE4ELNS1_11target_archE910ELNS1_3gpuE8ELNS1_3repE0EEENS1_60segmented_radix_sort_warp_sort_medium_config_static_selectorELNS0_4arch9wavefront6targetE1EEEvSK_.has_recursion, 0
	.set _ZN7rocprim17ROCPRIM_400000_NS6detail17trampoline_kernelINS0_14default_configENS1_36segmented_radix_sort_config_selectorIdlEEZNS1_25segmented_radix_sort_implIS3_Lb1EPKdPdPKlPlN2at6native12_GLOBAL__N_18offset_tEEE10hipError_tPvRmT1_PNSt15iterator_traitsISK_E10value_typeET2_T3_PNSL_ISQ_E10value_typeET4_jRbjT5_SW_jjP12ihipStream_tbEUlT_E0_NS1_11comp_targetILNS1_3genE4ELNS1_11target_archE910ELNS1_3gpuE8ELNS1_3repE0EEENS1_60segmented_radix_sort_warp_sort_medium_config_static_selectorELNS0_4arch9wavefront6targetE1EEEvSK_.has_indirect_call, 0
	.section	.AMDGPU.csdata,"",@progbits
; Kernel info:
; codeLenInByte = 0
; TotalNumSgprs: 4
; NumVgprs: 0
; ScratchSize: 0
; MemoryBound: 0
; FloatMode: 240
; IeeeMode: 1
; LDSByteSize: 0 bytes/workgroup (compile time only)
; SGPRBlocks: 0
; VGPRBlocks: 0
; NumSGPRsForWavesPerEU: 4
; NumVGPRsForWavesPerEU: 1
; Occupancy: 10
; WaveLimiterHint : 0
; COMPUTE_PGM_RSRC2:SCRATCH_EN: 0
; COMPUTE_PGM_RSRC2:USER_SGPR: 6
; COMPUTE_PGM_RSRC2:TRAP_HANDLER: 0
; COMPUTE_PGM_RSRC2:TGID_X_EN: 1
; COMPUTE_PGM_RSRC2:TGID_Y_EN: 0
; COMPUTE_PGM_RSRC2:TGID_Z_EN: 0
; COMPUTE_PGM_RSRC2:TIDIG_COMP_CNT: 0
	.section	.text._ZN7rocprim17ROCPRIM_400000_NS6detail17trampoline_kernelINS0_14default_configENS1_36segmented_radix_sort_config_selectorIdlEEZNS1_25segmented_radix_sort_implIS3_Lb1EPKdPdPKlPlN2at6native12_GLOBAL__N_18offset_tEEE10hipError_tPvRmT1_PNSt15iterator_traitsISK_E10value_typeET2_T3_PNSL_ISQ_E10value_typeET4_jRbjT5_SW_jjP12ihipStream_tbEUlT_E0_NS1_11comp_targetILNS1_3genE3ELNS1_11target_archE908ELNS1_3gpuE7ELNS1_3repE0EEENS1_60segmented_radix_sort_warp_sort_medium_config_static_selectorELNS0_4arch9wavefront6targetE1EEEvSK_,"axG",@progbits,_ZN7rocprim17ROCPRIM_400000_NS6detail17trampoline_kernelINS0_14default_configENS1_36segmented_radix_sort_config_selectorIdlEEZNS1_25segmented_radix_sort_implIS3_Lb1EPKdPdPKlPlN2at6native12_GLOBAL__N_18offset_tEEE10hipError_tPvRmT1_PNSt15iterator_traitsISK_E10value_typeET2_T3_PNSL_ISQ_E10value_typeET4_jRbjT5_SW_jjP12ihipStream_tbEUlT_E0_NS1_11comp_targetILNS1_3genE3ELNS1_11target_archE908ELNS1_3gpuE7ELNS1_3repE0EEENS1_60segmented_radix_sort_warp_sort_medium_config_static_selectorELNS0_4arch9wavefront6targetE1EEEvSK_,comdat
	.globl	_ZN7rocprim17ROCPRIM_400000_NS6detail17trampoline_kernelINS0_14default_configENS1_36segmented_radix_sort_config_selectorIdlEEZNS1_25segmented_radix_sort_implIS3_Lb1EPKdPdPKlPlN2at6native12_GLOBAL__N_18offset_tEEE10hipError_tPvRmT1_PNSt15iterator_traitsISK_E10value_typeET2_T3_PNSL_ISQ_E10value_typeET4_jRbjT5_SW_jjP12ihipStream_tbEUlT_E0_NS1_11comp_targetILNS1_3genE3ELNS1_11target_archE908ELNS1_3gpuE7ELNS1_3repE0EEENS1_60segmented_radix_sort_warp_sort_medium_config_static_selectorELNS0_4arch9wavefront6targetE1EEEvSK_ ; -- Begin function _ZN7rocprim17ROCPRIM_400000_NS6detail17trampoline_kernelINS0_14default_configENS1_36segmented_radix_sort_config_selectorIdlEEZNS1_25segmented_radix_sort_implIS3_Lb1EPKdPdPKlPlN2at6native12_GLOBAL__N_18offset_tEEE10hipError_tPvRmT1_PNSt15iterator_traitsISK_E10value_typeET2_T3_PNSL_ISQ_E10value_typeET4_jRbjT5_SW_jjP12ihipStream_tbEUlT_E0_NS1_11comp_targetILNS1_3genE3ELNS1_11target_archE908ELNS1_3gpuE7ELNS1_3repE0EEENS1_60segmented_radix_sort_warp_sort_medium_config_static_selectorELNS0_4arch9wavefront6targetE1EEEvSK_
	.p2align	8
	.type	_ZN7rocprim17ROCPRIM_400000_NS6detail17trampoline_kernelINS0_14default_configENS1_36segmented_radix_sort_config_selectorIdlEEZNS1_25segmented_radix_sort_implIS3_Lb1EPKdPdPKlPlN2at6native12_GLOBAL__N_18offset_tEEE10hipError_tPvRmT1_PNSt15iterator_traitsISK_E10value_typeET2_T3_PNSL_ISQ_E10value_typeET4_jRbjT5_SW_jjP12ihipStream_tbEUlT_E0_NS1_11comp_targetILNS1_3genE3ELNS1_11target_archE908ELNS1_3gpuE7ELNS1_3repE0EEENS1_60segmented_radix_sort_warp_sort_medium_config_static_selectorELNS0_4arch9wavefront6targetE1EEEvSK_,@function
_ZN7rocprim17ROCPRIM_400000_NS6detail17trampoline_kernelINS0_14default_configENS1_36segmented_radix_sort_config_selectorIdlEEZNS1_25segmented_radix_sort_implIS3_Lb1EPKdPdPKlPlN2at6native12_GLOBAL__N_18offset_tEEE10hipError_tPvRmT1_PNSt15iterator_traitsISK_E10value_typeET2_T3_PNSL_ISQ_E10value_typeET4_jRbjT5_SW_jjP12ihipStream_tbEUlT_E0_NS1_11comp_targetILNS1_3genE3ELNS1_11target_archE908ELNS1_3gpuE7ELNS1_3repE0EEENS1_60segmented_radix_sort_warp_sort_medium_config_static_selectorELNS0_4arch9wavefront6targetE1EEEvSK_: ; @_ZN7rocprim17ROCPRIM_400000_NS6detail17trampoline_kernelINS0_14default_configENS1_36segmented_radix_sort_config_selectorIdlEEZNS1_25segmented_radix_sort_implIS3_Lb1EPKdPdPKlPlN2at6native12_GLOBAL__N_18offset_tEEE10hipError_tPvRmT1_PNSt15iterator_traitsISK_E10value_typeET2_T3_PNSL_ISQ_E10value_typeET4_jRbjT5_SW_jjP12ihipStream_tbEUlT_E0_NS1_11comp_targetILNS1_3genE3ELNS1_11target_archE908ELNS1_3gpuE7ELNS1_3repE0EEENS1_60segmented_radix_sort_warp_sort_medium_config_static_selectorELNS0_4arch9wavefront6targetE1EEEvSK_
; %bb.0:
	.section	.rodata,"a",@progbits
	.p2align	6, 0x0
	.amdhsa_kernel _ZN7rocprim17ROCPRIM_400000_NS6detail17trampoline_kernelINS0_14default_configENS1_36segmented_radix_sort_config_selectorIdlEEZNS1_25segmented_radix_sort_implIS3_Lb1EPKdPdPKlPlN2at6native12_GLOBAL__N_18offset_tEEE10hipError_tPvRmT1_PNSt15iterator_traitsISK_E10value_typeET2_T3_PNSL_ISQ_E10value_typeET4_jRbjT5_SW_jjP12ihipStream_tbEUlT_E0_NS1_11comp_targetILNS1_3genE3ELNS1_11target_archE908ELNS1_3gpuE7ELNS1_3repE0EEENS1_60segmented_radix_sort_warp_sort_medium_config_static_selectorELNS0_4arch9wavefront6targetE1EEEvSK_
		.amdhsa_group_segment_fixed_size 0
		.amdhsa_private_segment_fixed_size 0
		.amdhsa_kernarg_size 88
		.amdhsa_user_sgpr_count 6
		.amdhsa_user_sgpr_private_segment_buffer 1
		.amdhsa_user_sgpr_dispatch_ptr 0
		.amdhsa_user_sgpr_queue_ptr 0
		.amdhsa_user_sgpr_kernarg_segment_ptr 1
		.amdhsa_user_sgpr_dispatch_id 0
		.amdhsa_user_sgpr_flat_scratch_init 0
		.amdhsa_user_sgpr_private_segment_size 0
		.amdhsa_uses_dynamic_stack 0
		.amdhsa_system_sgpr_private_segment_wavefront_offset 0
		.amdhsa_system_sgpr_workgroup_id_x 1
		.amdhsa_system_sgpr_workgroup_id_y 0
		.amdhsa_system_sgpr_workgroup_id_z 0
		.amdhsa_system_sgpr_workgroup_info 0
		.amdhsa_system_vgpr_workitem_id 0
		.amdhsa_next_free_vgpr 1
		.amdhsa_next_free_sgpr 0
		.amdhsa_reserve_vcc 0
		.amdhsa_reserve_flat_scratch 0
		.amdhsa_float_round_mode_32 0
		.amdhsa_float_round_mode_16_64 0
		.amdhsa_float_denorm_mode_32 3
		.amdhsa_float_denorm_mode_16_64 3
		.amdhsa_dx10_clamp 1
		.amdhsa_ieee_mode 1
		.amdhsa_fp16_overflow 0
		.amdhsa_exception_fp_ieee_invalid_op 0
		.amdhsa_exception_fp_denorm_src 0
		.amdhsa_exception_fp_ieee_div_zero 0
		.amdhsa_exception_fp_ieee_overflow 0
		.amdhsa_exception_fp_ieee_underflow 0
		.amdhsa_exception_fp_ieee_inexact 0
		.amdhsa_exception_int_div_zero 0
	.end_amdhsa_kernel
	.section	.text._ZN7rocprim17ROCPRIM_400000_NS6detail17trampoline_kernelINS0_14default_configENS1_36segmented_radix_sort_config_selectorIdlEEZNS1_25segmented_radix_sort_implIS3_Lb1EPKdPdPKlPlN2at6native12_GLOBAL__N_18offset_tEEE10hipError_tPvRmT1_PNSt15iterator_traitsISK_E10value_typeET2_T3_PNSL_ISQ_E10value_typeET4_jRbjT5_SW_jjP12ihipStream_tbEUlT_E0_NS1_11comp_targetILNS1_3genE3ELNS1_11target_archE908ELNS1_3gpuE7ELNS1_3repE0EEENS1_60segmented_radix_sort_warp_sort_medium_config_static_selectorELNS0_4arch9wavefront6targetE1EEEvSK_,"axG",@progbits,_ZN7rocprim17ROCPRIM_400000_NS6detail17trampoline_kernelINS0_14default_configENS1_36segmented_radix_sort_config_selectorIdlEEZNS1_25segmented_radix_sort_implIS3_Lb1EPKdPdPKlPlN2at6native12_GLOBAL__N_18offset_tEEE10hipError_tPvRmT1_PNSt15iterator_traitsISK_E10value_typeET2_T3_PNSL_ISQ_E10value_typeET4_jRbjT5_SW_jjP12ihipStream_tbEUlT_E0_NS1_11comp_targetILNS1_3genE3ELNS1_11target_archE908ELNS1_3gpuE7ELNS1_3repE0EEENS1_60segmented_radix_sort_warp_sort_medium_config_static_selectorELNS0_4arch9wavefront6targetE1EEEvSK_,comdat
.Lfunc_end1131:
	.size	_ZN7rocprim17ROCPRIM_400000_NS6detail17trampoline_kernelINS0_14default_configENS1_36segmented_radix_sort_config_selectorIdlEEZNS1_25segmented_radix_sort_implIS3_Lb1EPKdPdPKlPlN2at6native12_GLOBAL__N_18offset_tEEE10hipError_tPvRmT1_PNSt15iterator_traitsISK_E10value_typeET2_T3_PNSL_ISQ_E10value_typeET4_jRbjT5_SW_jjP12ihipStream_tbEUlT_E0_NS1_11comp_targetILNS1_3genE3ELNS1_11target_archE908ELNS1_3gpuE7ELNS1_3repE0EEENS1_60segmented_radix_sort_warp_sort_medium_config_static_selectorELNS0_4arch9wavefront6targetE1EEEvSK_, .Lfunc_end1131-_ZN7rocprim17ROCPRIM_400000_NS6detail17trampoline_kernelINS0_14default_configENS1_36segmented_radix_sort_config_selectorIdlEEZNS1_25segmented_radix_sort_implIS3_Lb1EPKdPdPKlPlN2at6native12_GLOBAL__N_18offset_tEEE10hipError_tPvRmT1_PNSt15iterator_traitsISK_E10value_typeET2_T3_PNSL_ISQ_E10value_typeET4_jRbjT5_SW_jjP12ihipStream_tbEUlT_E0_NS1_11comp_targetILNS1_3genE3ELNS1_11target_archE908ELNS1_3gpuE7ELNS1_3repE0EEENS1_60segmented_radix_sort_warp_sort_medium_config_static_selectorELNS0_4arch9wavefront6targetE1EEEvSK_
                                        ; -- End function
	.set _ZN7rocprim17ROCPRIM_400000_NS6detail17trampoline_kernelINS0_14default_configENS1_36segmented_radix_sort_config_selectorIdlEEZNS1_25segmented_radix_sort_implIS3_Lb1EPKdPdPKlPlN2at6native12_GLOBAL__N_18offset_tEEE10hipError_tPvRmT1_PNSt15iterator_traitsISK_E10value_typeET2_T3_PNSL_ISQ_E10value_typeET4_jRbjT5_SW_jjP12ihipStream_tbEUlT_E0_NS1_11comp_targetILNS1_3genE3ELNS1_11target_archE908ELNS1_3gpuE7ELNS1_3repE0EEENS1_60segmented_radix_sort_warp_sort_medium_config_static_selectorELNS0_4arch9wavefront6targetE1EEEvSK_.num_vgpr, 0
	.set _ZN7rocprim17ROCPRIM_400000_NS6detail17trampoline_kernelINS0_14default_configENS1_36segmented_radix_sort_config_selectorIdlEEZNS1_25segmented_radix_sort_implIS3_Lb1EPKdPdPKlPlN2at6native12_GLOBAL__N_18offset_tEEE10hipError_tPvRmT1_PNSt15iterator_traitsISK_E10value_typeET2_T3_PNSL_ISQ_E10value_typeET4_jRbjT5_SW_jjP12ihipStream_tbEUlT_E0_NS1_11comp_targetILNS1_3genE3ELNS1_11target_archE908ELNS1_3gpuE7ELNS1_3repE0EEENS1_60segmented_radix_sort_warp_sort_medium_config_static_selectorELNS0_4arch9wavefront6targetE1EEEvSK_.num_agpr, 0
	.set _ZN7rocprim17ROCPRIM_400000_NS6detail17trampoline_kernelINS0_14default_configENS1_36segmented_radix_sort_config_selectorIdlEEZNS1_25segmented_radix_sort_implIS3_Lb1EPKdPdPKlPlN2at6native12_GLOBAL__N_18offset_tEEE10hipError_tPvRmT1_PNSt15iterator_traitsISK_E10value_typeET2_T3_PNSL_ISQ_E10value_typeET4_jRbjT5_SW_jjP12ihipStream_tbEUlT_E0_NS1_11comp_targetILNS1_3genE3ELNS1_11target_archE908ELNS1_3gpuE7ELNS1_3repE0EEENS1_60segmented_radix_sort_warp_sort_medium_config_static_selectorELNS0_4arch9wavefront6targetE1EEEvSK_.numbered_sgpr, 0
	.set _ZN7rocprim17ROCPRIM_400000_NS6detail17trampoline_kernelINS0_14default_configENS1_36segmented_radix_sort_config_selectorIdlEEZNS1_25segmented_radix_sort_implIS3_Lb1EPKdPdPKlPlN2at6native12_GLOBAL__N_18offset_tEEE10hipError_tPvRmT1_PNSt15iterator_traitsISK_E10value_typeET2_T3_PNSL_ISQ_E10value_typeET4_jRbjT5_SW_jjP12ihipStream_tbEUlT_E0_NS1_11comp_targetILNS1_3genE3ELNS1_11target_archE908ELNS1_3gpuE7ELNS1_3repE0EEENS1_60segmented_radix_sort_warp_sort_medium_config_static_selectorELNS0_4arch9wavefront6targetE1EEEvSK_.num_named_barrier, 0
	.set _ZN7rocprim17ROCPRIM_400000_NS6detail17trampoline_kernelINS0_14default_configENS1_36segmented_radix_sort_config_selectorIdlEEZNS1_25segmented_radix_sort_implIS3_Lb1EPKdPdPKlPlN2at6native12_GLOBAL__N_18offset_tEEE10hipError_tPvRmT1_PNSt15iterator_traitsISK_E10value_typeET2_T3_PNSL_ISQ_E10value_typeET4_jRbjT5_SW_jjP12ihipStream_tbEUlT_E0_NS1_11comp_targetILNS1_3genE3ELNS1_11target_archE908ELNS1_3gpuE7ELNS1_3repE0EEENS1_60segmented_radix_sort_warp_sort_medium_config_static_selectorELNS0_4arch9wavefront6targetE1EEEvSK_.private_seg_size, 0
	.set _ZN7rocprim17ROCPRIM_400000_NS6detail17trampoline_kernelINS0_14default_configENS1_36segmented_radix_sort_config_selectorIdlEEZNS1_25segmented_radix_sort_implIS3_Lb1EPKdPdPKlPlN2at6native12_GLOBAL__N_18offset_tEEE10hipError_tPvRmT1_PNSt15iterator_traitsISK_E10value_typeET2_T3_PNSL_ISQ_E10value_typeET4_jRbjT5_SW_jjP12ihipStream_tbEUlT_E0_NS1_11comp_targetILNS1_3genE3ELNS1_11target_archE908ELNS1_3gpuE7ELNS1_3repE0EEENS1_60segmented_radix_sort_warp_sort_medium_config_static_selectorELNS0_4arch9wavefront6targetE1EEEvSK_.uses_vcc, 0
	.set _ZN7rocprim17ROCPRIM_400000_NS6detail17trampoline_kernelINS0_14default_configENS1_36segmented_radix_sort_config_selectorIdlEEZNS1_25segmented_radix_sort_implIS3_Lb1EPKdPdPKlPlN2at6native12_GLOBAL__N_18offset_tEEE10hipError_tPvRmT1_PNSt15iterator_traitsISK_E10value_typeET2_T3_PNSL_ISQ_E10value_typeET4_jRbjT5_SW_jjP12ihipStream_tbEUlT_E0_NS1_11comp_targetILNS1_3genE3ELNS1_11target_archE908ELNS1_3gpuE7ELNS1_3repE0EEENS1_60segmented_radix_sort_warp_sort_medium_config_static_selectorELNS0_4arch9wavefront6targetE1EEEvSK_.uses_flat_scratch, 0
	.set _ZN7rocprim17ROCPRIM_400000_NS6detail17trampoline_kernelINS0_14default_configENS1_36segmented_radix_sort_config_selectorIdlEEZNS1_25segmented_radix_sort_implIS3_Lb1EPKdPdPKlPlN2at6native12_GLOBAL__N_18offset_tEEE10hipError_tPvRmT1_PNSt15iterator_traitsISK_E10value_typeET2_T3_PNSL_ISQ_E10value_typeET4_jRbjT5_SW_jjP12ihipStream_tbEUlT_E0_NS1_11comp_targetILNS1_3genE3ELNS1_11target_archE908ELNS1_3gpuE7ELNS1_3repE0EEENS1_60segmented_radix_sort_warp_sort_medium_config_static_selectorELNS0_4arch9wavefront6targetE1EEEvSK_.has_dyn_sized_stack, 0
	.set _ZN7rocprim17ROCPRIM_400000_NS6detail17trampoline_kernelINS0_14default_configENS1_36segmented_radix_sort_config_selectorIdlEEZNS1_25segmented_radix_sort_implIS3_Lb1EPKdPdPKlPlN2at6native12_GLOBAL__N_18offset_tEEE10hipError_tPvRmT1_PNSt15iterator_traitsISK_E10value_typeET2_T3_PNSL_ISQ_E10value_typeET4_jRbjT5_SW_jjP12ihipStream_tbEUlT_E0_NS1_11comp_targetILNS1_3genE3ELNS1_11target_archE908ELNS1_3gpuE7ELNS1_3repE0EEENS1_60segmented_radix_sort_warp_sort_medium_config_static_selectorELNS0_4arch9wavefront6targetE1EEEvSK_.has_recursion, 0
	.set _ZN7rocprim17ROCPRIM_400000_NS6detail17trampoline_kernelINS0_14default_configENS1_36segmented_radix_sort_config_selectorIdlEEZNS1_25segmented_radix_sort_implIS3_Lb1EPKdPdPKlPlN2at6native12_GLOBAL__N_18offset_tEEE10hipError_tPvRmT1_PNSt15iterator_traitsISK_E10value_typeET2_T3_PNSL_ISQ_E10value_typeET4_jRbjT5_SW_jjP12ihipStream_tbEUlT_E0_NS1_11comp_targetILNS1_3genE3ELNS1_11target_archE908ELNS1_3gpuE7ELNS1_3repE0EEENS1_60segmented_radix_sort_warp_sort_medium_config_static_selectorELNS0_4arch9wavefront6targetE1EEEvSK_.has_indirect_call, 0
	.section	.AMDGPU.csdata,"",@progbits
; Kernel info:
; codeLenInByte = 0
; TotalNumSgprs: 4
; NumVgprs: 0
; ScratchSize: 0
; MemoryBound: 0
; FloatMode: 240
; IeeeMode: 1
; LDSByteSize: 0 bytes/workgroup (compile time only)
; SGPRBlocks: 0
; VGPRBlocks: 0
; NumSGPRsForWavesPerEU: 4
; NumVGPRsForWavesPerEU: 1
; Occupancy: 10
; WaveLimiterHint : 0
; COMPUTE_PGM_RSRC2:SCRATCH_EN: 0
; COMPUTE_PGM_RSRC2:USER_SGPR: 6
; COMPUTE_PGM_RSRC2:TRAP_HANDLER: 0
; COMPUTE_PGM_RSRC2:TGID_X_EN: 1
; COMPUTE_PGM_RSRC2:TGID_Y_EN: 0
; COMPUTE_PGM_RSRC2:TGID_Z_EN: 0
; COMPUTE_PGM_RSRC2:TIDIG_COMP_CNT: 0
	.text
	.p2align	2                               ; -- Begin function _ZN7rocprim17ROCPRIM_400000_NS6detail26segmented_warp_sort_helperINS1_20WarpSortHelperConfigILj16ELj8ELj256EEEdlLi256ELb1EvE4sortIPKdPdPKlPlEEvT_T0_T1_T2_jjjjRNS5_12storage_typeE
	.type	_ZN7rocprim17ROCPRIM_400000_NS6detail26segmented_warp_sort_helperINS1_20WarpSortHelperConfigILj16ELj8ELj256EEEdlLi256ELb1EvE4sortIPKdPdPKlPlEEvT_T0_T1_T2_jjjjRNS5_12storage_typeE,@function
_ZN7rocprim17ROCPRIM_400000_NS6detail26segmented_warp_sort_helperINS1_20WarpSortHelperConfigILj16ELj8ELj256EEEdlLi256ELb1EvE4sortIPKdPdPKlPlEEvT_T0_T1_T2_jjjjRNS5_12storage_typeE: ; @_ZN7rocprim17ROCPRIM_400000_NS6detail26segmented_warp_sort_helperINS1_20WarpSortHelperConfigILj16ELj8ELj256EEEdlLi256ELb1EvE4sortIPKdPdPKlPlEEvT_T0_T1_T2_jjjjRNS5_12storage_typeE
; %bb.0:
	s_waitcnt vmcnt(0) expcnt(0) lgkmcnt(0)
	v_sub_u32_e32 v10, v9, v8
	v_mov_b32_e32 v9, 0
	v_mbcnt_lo_u32_b32 v11, -1, 0
	v_lshlrev_b64 v[8:9], 3, v[8:9]
	v_mbcnt_hi_u32_b32 v11, -1, v11
	v_lshlrev_b32_e32 v70, 3, v11
	v_add_co_u32_e32 v0, vcc, v0, v8
	v_and_b32_e32 v69, 0x78, v70
	v_addc_co_u32_e32 v1, vcc, v1, v9, vcc
	v_lshlrev_b32_e32 v68, 3, v69
	v_add_co_u32_e32 v0, vcc, v0, v68
	v_addc_co_u32_e32 v1, vcc, 0, v1, vcc
	v_mov_b32_e32 v32, -1
	v_mov_b32_e32 v16, -1
	;; [unrolled: 1-line block ×4, first 2 shown]
	v_cmp_lt_u32_e32 vcc, v69, v10
	s_and_saveexec_b64 s[4:5], vcc
	s_cbranch_execz .LBB1132_2
; %bb.1:
	flat_load_dwordx2 v[16:17], v[0:1]
.LBB1132_2:
	s_or_b64 exec, exec, s[4:5]
	v_or_b32_e32 v11, 1, v69
	v_cmp_lt_u32_e64 s[4:5], v11, v10
	s_and_saveexec_b64 s[6:7], s[4:5]
	s_cbranch_execz .LBB1132_4
; %bb.3:
	flat_load_dwordx2 v[32:33], v[0:1] offset:8
.LBB1132_4:
	s_or_b64 exec, exec, s[6:7]
	v_or_b32_e32 v11, 2, v69
	v_mov_b32_e32 v36, -1
	v_mov_b32_e32 v28, -1
	v_mov_b32_e32 v37, -1
	v_mov_b32_e32 v29, -1
	v_cmp_lt_u32_e64 s[6:7], v11, v10
	s_and_saveexec_b64 s[10:11], s[6:7]
	s_cbranch_execz .LBB1132_6
; %bb.5:
	flat_load_dwordx2 v[28:29], v[0:1] offset:16
.LBB1132_6:
	s_or_b64 exec, exec, s[10:11]
	v_or_b32_e32 v11, 3, v69
	v_cmp_lt_u32_e64 s[18:19], v11, v10
	s_and_saveexec_b64 s[10:11], s[18:19]
	s_cbranch_execz .LBB1132_8
; %bb.7:
	flat_load_dwordx2 v[36:37], v[0:1] offset:24
.LBB1132_8:
	s_or_b64 exec, exec, s[10:11]
	v_or_b32_e32 v11, 4, v69
	v_mov_b32_e32 v24, -1
	v_mov_b32_e32 v26, -1
	v_mov_b32_e32 v25, -1
	v_mov_b32_e32 v27, -1
	v_cmp_lt_u32_e64 s[10:11], v11, v10
	s_and_saveexec_b64 s[14:15], s[10:11]
	s_cbranch_execz .LBB1132_10
; %bb.9:
	flat_load_dwordx2 v[26:27], v[0:1] offset:32
.LBB1132_10:
	;; [unrolled: 20-line block ×3, first 2 shown]
	s_or_b64 exec, exec, s[16:17]
	v_or_b32_e32 v11, 7, v69
	v_cmp_lt_u32_e64 s[16:17], v11, v10
	s_and_saveexec_b64 s[22:23], s[16:17]
	s_cbranch_execz .LBB1132_16
; %bb.15:
	flat_load_dwordx2 v[18:19], v[0:1] offset:56
.LBB1132_16:
	s_or_b64 exec, exec, s[22:23]
	v_add_co_u32_e64 v0, s[22:23], v4, v8
	v_addc_co_u32_e64 v1, s[22:23], v5, v9, s[22:23]
	v_add_co_u32_e64 v48, s[22:23], v0, v68
	v_addc_co_u32_e64 v49, s[22:23], 0, v1, s[22:23]
	; wave barrier
                                        ; implicit-def: $vgpr0_vgpr1
	s_and_saveexec_b64 s[22:23], vcc
	s_cbranch_execnz .LBB1132_261
; %bb.17:
	s_or_b64 exec, exec, s[22:23]
	s_and_saveexec_b64 s[22:23], s[4:5]
                                        ; implicit-def: $vgpr4_vgpr5
	s_cbranch_execnz .LBB1132_262
.LBB1132_18:
	s_or_b64 exec, exec, s[22:23]
                                        ; implicit-def: $vgpr10_vgpr11
	s_and_saveexec_b64 s[22:23], s[6:7]
	s_cbranch_execnz .LBB1132_263
.LBB1132_19:
	s_or_b64 exec, exec, s[22:23]
	s_and_saveexec_b64 s[22:23], s[18:19]
                                        ; implicit-def: $vgpr12_vgpr13
	s_cbranch_execnz .LBB1132_264
.LBB1132_20:
	s_or_b64 exec, exec, s[22:23]
                                        ; implicit-def: $vgpr14_vgpr15
	s_and_saveexec_b64 s[22:23], s[10:11]
	s_cbranch_execnz .LBB1132_265
.LBB1132_21:
	s_or_b64 exec, exec, s[22:23]
	s_and_saveexec_b64 s[22:23], s[20:21]
                                        ; implicit-def: $vgpr22_vgpr23
	s_cbranch_execnz .LBB1132_266
.LBB1132_22:
	s_or_b64 exec, exec, s[22:23]
                                        ; implicit-def: $vgpr20_vgpr21
	s_and_saveexec_b64 s[22:23], s[14:15]
	s_cbranch_execnz .LBB1132_267
.LBB1132_23:
	s_or_b64 exec, exec, s[22:23]
	s_and_saveexec_b64 s[22:23], s[16:17]
                                        ; implicit-def: $vgpr38_vgpr39
	s_cbranch_execz .LBB1132_25
.LBB1132_24:
	flat_load_dwordx2 v[38:39], v[48:49] offset:56
.LBB1132_25:
	s_or_b64 exec, exec, s[22:23]
	; wave barrier
	s_load_dwordx2 s[22:23], s[8:9], 0x0
	v_mov_b32_e32 v30, 0
	v_bfe_u32 v50, v31, 20, 10
	s_waitcnt lgkmcnt(0)
	s_cmp_lt_u32 s13, s23
	s_cselect_b32 s13, 14, 20
	s_add_u32 s24, s8, s13
	s_addc_u32 s25, s9, 0
	s_cmp_lt_u32 s12, s22
	s_cselect_b32 s12, 12, 18
	s_add_u32 s8, s8, s12
	s_addc_u32 s9, s9, 0
	global_load_ushort v48, v30, s[24:25]
	global_load_ushort v49, v30, s[8:9]
	v_bfe_u32 v30, v31, 10, 10
	v_and_b32_e32 v31, 0x3ff, v31
	s_movk_i32 s8, 0x800
	s_waitcnt vmcnt(0)
	v_mad_u32_u24 v30, v50, v48, v30
	v_mul_lo_u32 v30, v30, v49
	v_add_lshl_u32 v66, v30, v31, 3
	v_cmp_gt_u32_e64 s[8:9], s8, v66
	s_and_saveexec_b64 s[12:13], s[8:9]
	s_cbranch_execz .LBB1132_83
; %bb.26:
	v_add_f64 v[30:31], v[32:33], 0
	v_add_f64 v[48:49], v[16:17], 0
	v_ashrrev_i32_e32 v50, 31, v31
	v_ashrrev_i32_e32 v51, 31, v49
	v_or_b32_e32 v52, 0x80000000, v50
	v_xor_b32_e32 v30, v50, v30
	v_or_b32_e32 v50, 0x80000000, v51
	v_xor_b32_e32 v48, v51, v48
	v_xor_b32_e32 v31, v52, v31
	v_xor_b32_e32 v49, v50, v49
	v_cmp_gt_u64_e64 s[8:9], v[30:31], v[48:49]
	v_mov_b32_e32 v30, v32
	v_mov_b32_e32 v49, v5
	v_mov_b32_e32 v31, v33
	v_mov_b32_e32 v48, v4
	s_and_saveexec_b64 s[22:23], s[8:9]
; %bb.27:
	v_mov_b32_e32 v31, v17
	v_mov_b32_e32 v49, v1
	v_mov_b32_e32 v30, v16
	v_mov_b32_e32 v16, v32
	v_mov_b32_e32 v48, v0
	v_mov_b32_e32 v0, v4
	v_mov_b32_e32 v17, v33
	v_mov_b32_e32 v1, v5
; %bb.28:
	s_or_b64 exec, exec, s[22:23]
	v_add_f64 v[4:5], v[36:37], 0
	v_add_f64 v[32:33], v[28:29], 0
	v_ashrrev_i32_e32 v50, 31, v5
	v_ashrrev_i32_e32 v51, 31, v33
	v_or_b32_e32 v52, 0x80000000, v50
	v_xor_b32_e32 v4, v50, v4
	v_or_b32_e32 v50, 0x80000000, v51
	v_xor_b32_e32 v32, v51, v32
	v_xor_b32_e32 v5, v52, v5
	v_xor_b32_e32 v33, v50, v33
	v_cmp_gt_u64_e64 s[8:9], v[4:5], v[32:33]
	v_mov_b32_e32 v53, v37
	v_mov_b32_e32 v33, v13
	v_mov_b32_e32 v52, v36
	v_mov_b32_e32 v32, v12
	s_and_saveexec_b64 s[22:23], s[8:9]
; %bb.29:
	v_mov_b32_e32 v53, v29
	v_mov_b32_e32 v33, v11
	v_mov_b32_e32 v52, v28
	v_mov_b32_e32 v28, v36
	v_mov_b32_e32 v32, v10
	v_mov_b32_e32 v10, v12
	v_mov_b32_e32 v29, v37
	v_mov_b32_e32 v11, v13
; %bb.30:
	s_or_b64 exec, exec, s[22:23]
	;; [unrolled: 27-line block ×4, first 2 shown]
	v_add_f64 v[22:23], v[28:29], 0
	v_add_f64 v[34:35], v[30:31], 0
	v_ashrrev_i32_e32 v36, 31, v23
	v_ashrrev_i32_e32 v37, 31, v35
	v_or_b32_e32 v38, 0x80000000, v36
	v_xor_b32_e32 v22, v36, v22
	v_or_b32_e32 v36, 0x80000000, v37
	v_xor_b32_e32 v34, v37, v34
	v_xor_b32_e32 v23, v38, v23
	;; [unrolled: 1-line block ×3, first 2 shown]
	v_cmp_gt_u64_e64 s[8:9], v[22:23], v[34:35]
	v_mov_b32_e32 v22, v28
	v_mov_b32_e32 v35, v11
	;; [unrolled: 1-line block ×4, first 2 shown]
	s_and_saveexec_b64 s[22:23], s[8:9]
	s_xor_b64 s[8:9], exec, s[22:23]
; %bb.35:
	v_mov_b32_e32 v22, v30
	v_mov_b32_e32 v34, v48
	v_mov_b32_e32 v23, v31
	v_mov_b32_e32 v31, v29
	v_mov_b32_e32 v35, v49
	v_mov_b32_e32 v49, v11
	v_mov_b32_e32 v30, v28
	v_mov_b32_e32 v48, v10
; %bb.36:
	s_or_b64 exec, exec, s[8:9]
	v_add_f64 v[10:11], v[50:51], 0
	v_add_f64 v[28:29], v[52:53], 0
	v_ashrrev_i32_e32 v36, 31, v11
	v_ashrrev_i32_e32 v37, 31, v29
	v_or_b32_e32 v38, 0x80000000, v36
	v_xor_b32_e32 v10, v36, v10
	v_or_b32_e32 v36, 0x80000000, v37
	v_xor_b32_e32 v28, v37, v28
	v_xor_b32_e32 v11, v38, v11
	v_xor_b32_e32 v29, v36, v29
	v_cmp_gt_u64_e64 s[8:9], v[10:11], v[28:29]
	v_mov_b32_e32 v10, v52
	v_mov_b32_e32 v29, v15
	v_mov_b32_e32 v11, v53
	v_mov_b32_e32 v28, v14
	s_and_saveexec_b64 s[22:23], s[8:9]
; %bb.37:
	v_mov_b32_e32 v10, v50
	v_mov_b32_e32 v28, v32
	v_mov_b32_e32 v11, v51
	v_mov_b32_e32 v29, v33
	v_mov_b32_e32 v33, v15
	v_mov_b32_e32 v50, v52
	v_mov_b32_e32 v32, v14
	v_mov_b32_e32 v51, v53
; %bb.38:
	s_or_b64 exec, exec, s[22:23]
	v_add_f64 v[14:15], v[26:27], 0
	v_add_f64 v[36:37], v[24:25], 0
	v_ashrrev_i32_e32 v38, 31, v15
	v_ashrrev_i32_e32 v39, 31, v37
	v_or_b32_e32 v52, 0x80000000, v38
	v_xor_b32_e32 v14, v38, v14
	v_or_b32_e32 v38, 0x80000000, v39
	v_xor_b32_e32 v36, v39, v36
	v_xor_b32_e32 v15, v52, v15
	v_xor_b32_e32 v37, v38, v37
	v_cmp_gt_u64_e64 s[8:9], v[14:15], v[36:37]
	v_mov_b32_e32 v14, v20
	v_mov_b32_e32 v37, v25
	v_mov_b32_e32 v15, v21
	v_mov_b32_e32 v36, v24
	s_and_saveexec_b64 s[22:23], s[8:9]
	;; [unrolled: 27-line block ×3, first 2 shown]
; %bb.41:
	v_mov_b32_e32 v21, v17
	v_mov_b32_e32 v39, v1
	;; [unrolled: 1-line block ×8, first 2 shown]
; %bb.42:
	s_or_b64 exec, exec, s[22:23]
	v_add_f64 v[24:25], v[10:11], 0
	v_add_f64 v[30:31], v[22:23], 0
	v_mov_b32_e32 v55, v11
	v_mov_b32_e32 v54, v10
	v_ashrrev_i32_e32 v48, 31, v25
	v_ashrrev_i32_e32 v49, 31, v31
	v_or_b32_e32 v52, 0x80000000, v48
	v_xor_b32_e32 v24, v48, v24
	v_or_b32_e32 v48, 0x80000000, v49
	v_xor_b32_e32 v30, v49, v30
	v_xor_b32_e32 v25, v52, v25
	;; [unrolled: 1-line block ×3, first 2 shown]
	v_cmp_gt_u64_e64 s[8:9], v[24:25], v[30:31]
	v_mov_b32_e32 v30, v32
	v_mov_b32_e32 v31, v33
	s_and_saveexec_b64 s[22:23], s[8:9]
; %bb.43:
	v_mov_b32_e32 v55, v23
	v_mov_b32_e32 v30, v34
	;; [unrolled: 1-line block ×8, first 2 shown]
; %bb.44:
	s_or_b64 exec, exec, s[22:23]
	v_add_f64 v[10:11], v[36:37], 0
	v_add_f64 v[24:25], v[50:51], 0
	v_mov_b32_e32 v53, v51
	v_mov_b32_e32 v52, v50
	v_ashrrev_i32_e32 v32, 31, v11
	v_ashrrev_i32_e32 v33, 31, v25
	v_or_b32_e32 v48, 0x80000000, v32
	v_xor_b32_e32 v10, v32, v10
	v_or_b32_e32 v32, 0x80000000, v33
	v_xor_b32_e32 v24, v33, v24
	v_xor_b32_e32 v11, v48, v11
	;; [unrolled: 1-line block ×3, first 2 shown]
	v_cmp_gt_u64_e64 s[8:9], v[10:11], v[24:25]
	v_mov_b32_e32 v25, v13
	v_mov_b32_e32 v24, v12
	s_and_saveexec_b64 s[22:23], s[8:9]
; %bb.45:
	v_mov_b32_e32 v24, v28
	v_mov_b32_e32 v53, v37
	v_mov_b32_e32 v25, v29
	v_mov_b32_e32 v29, v13
	v_mov_b32_e32 v52, v36
	v_mov_b32_e32 v36, v50
	v_mov_b32_e32 v28, v12
	v_mov_b32_e32 v37, v51
; %bb.46:
	s_or_b64 exec, exec, s[22:23]
	v_add_f64 v[10:11], v[18:19], 0
	v_add_f64 v[12:13], v[26:27], 0
	v_ashrrev_i32_e32 v32, 31, v11
	v_ashrrev_i32_e32 v33, 31, v13
	v_or_b32_e32 v48, 0x80000000, v32
	v_xor_b32_e32 v10, v32, v10
	v_or_b32_e32 v32, 0x80000000, v33
	v_xor_b32_e32 v12, v33, v12
	v_xor_b32_e32 v11, v48, v11
	v_xor_b32_e32 v13, v32, v13
	v_cmp_gt_u64_e64 s[8:9], v[10:11], v[12:13]
	v_mov_b32_e32 v11, v5
	v_mov_b32_e32 v33, v27
	v_mov_b32_e32 v10, v4
	v_mov_b32_e32 v32, v26
	s_and_saveexec_b64 s[22:23], s[8:9]
; %bb.47:
	v_mov_b32_e32 v10, v14
	v_mov_b32_e32 v33, v19
	v_mov_b32_e32 v11, v15
	v_mov_b32_e32 v15, v5
	v_mov_b32_e32 v32, v18
	v_mov_b32_e32 v18, v26
	v_mov_b32_e32 v14, v4
	v_mov_b32_e32 v19, v27
; %bb.48:
	s_or_b64 exec, exec, s[22:23]
	v_add_f64 v[4:5], v[22:23], 0
	v_add_f64 v[12:13], v[20:21], 0
	v_ashrrev_i32_e32 v26, 31, v5
	v_ashrrev_i32_e32 v27, 31, v13
	v_or_b32_e32 v48, 0x80000000, v26
	v_xor_b32_e32 v4, v26, v4
	v_or_b32_e32 v26, 0x80000000, v27
	v_xor_b32_e32 v12, v27, v12
	v_xor_b32_e32 v5, v48, v5
	v_xor_b32_e32 v13, v26, v13
	v_cmp_gt_u64_e64 s[8:9], v[4:5], v[12:13]
	v_mov_b32_e32 v4, v22
	v_mov_b32_e32 v49, v35
	;; [unrolled: 27-line block ×6, first 2 shown]
	v_mov_b32_e32 v21, v35
	v_mov_b32_e32 v38, v30
	s_and_saveexec_b64 s[22:23], s[8:9]
; %bb.57:
	v_mov_b32_e32 v21, v5
	v_mov_b32_e32 v38, v48
	v_mov_b32_e32 v20, v4
	v_mov_b32_e32 v4, v34
	v_mov_b32_e32 v39, v49
	v_mov_b32_e32 v49, v31
	v_mov_b32_e32 v5, v35
	v_mov_b32_e32 v48, v30
; %bb.58:
	s_or_b64 exec, exec, s[22:23]
	v_add_f64 v[14:15], v[50:51], 0
	v_add_f64 v[28:29], v[52:53], 0
	v_mov_b32_e32 v65, v53
	v_mov_b32_e32 v64, v52
	v_ashrrev_i32_e32 v30, 31, v15
	v_ashrrev_i32_e32 v31, 31, v29
	v_or_b32_e32 v34, 0x80000000, v30
	v_xor_b32_e32 v14, v30, v14
	v_or_b32_e32 v30, 0x80000000, v31
	v_xor_b32_e32 v28, v31, v28
	v_xor_b32_e32 v15, v34, v15
	v_xor_b32_e32 v29, v30, v29
	v_cmp_gt_u64_e64 s[8:9], v[14:15], v[28:29]
	v_mov_b32_e32 v29, v25
	v_mov_b32_e32 v28, v24
	s_and_saveexec_b64 s[22:23], s[8:9]
; %bb.59:
	v_mov_b32_e32 v29, v27
	v_mov_b32_e32 v65, v51
	v_mov_b32_e32 v28, v26
	v_mov_b32_e32 v27, v25
	v_mov_b32_e32 v64, v50
	v_mov_b32_e32 v50, v52
	v_mov_b32_e32 v26, v24
	v_mov_b32_e32 v51, v53
; %bb.60:
	s_or_b64 exec, exec, s[22:23]
	v_add_f64 v[14:15], v[18:19], 0
	v_add_f64 v[24:25], v[32:33], 0
	v_mov_b32_e32 v53, v33
	v_mov_b32_e32 v52, v32
	v_ashrrev_i32_e32 v30, 31, v15
	v_ashrrev_i32_e32 v31, 31, v25
	v_or_b32_e32 v34, 0x80000000, v30
	v_xor_b32_e32 v14, v30, v14
	v_or_b32_e32 v30, 0x80000000, v31
	v_xor_b32_e32 v24, v31, v24
	v_xor_b32_e32 v15, v34, v15
	v_xor_b32_e32 v25, v30, v25
	v_cmp_gt_u64_e64 s[8:9], v[14:15], v[24:25]
	;; [unrolled: 27-line block ×4, first 2 shown]
	v_mov_b32_e32 v10, v20
	v_mov_b32_e32 v11, v21
	s_and_saveexec_b64 s[22:23], s[8:9]
; %bb.65:
	v_mov_b32_e32 v10, v64
	v_mov_b32_e32 v34, v38
	v_mov_b32_e32 v11, v65
	v_mov_b32_e32 v35, v39
	v_mov_b32_e32 v39, v27
	v_mov_b32_e32 v65, v21
	v_mov_b32_e32 v38, v26
	v_mov_b32_e32 v64, v20
; %bb.66:
	s_or_b64 exec, exec, s[22:23]
	v_add_f64 v[4:5], v[52:53], 0
	v_add_f64 v[20:21], v[50:51], 0
	v_ashrrev_i32_e32 v24, 31, v5
	v_ashrrev_i32_e32 v25, 31, v21
	v_or_b32_e32 v26, 0x80000000, v24
	v_xor_b32_e32 v4, v24, v4
	v_or_b32_e32 v24, 0x80000000, v25
	v_xor_b32_e32 v20, v25, v20
	v_xor_b32_e32 v5, v26, v5
	v_xor_b32_e32 v21, v24, v21
	v_cmp_gt_u64_e64 s[8:9], v[4:5], v[20:21]
	v_mov_b32_e32 v21, v13
	v_mov_b32_e32 v24, v50
	v_mov_b32_e32 v20, v12
	v_mov_b32_e32 v25, v51
	s_and_saveexec_b64 s[22:23], s[8:9]
; %bb.67:
	v_mov_b32_e32 v20, v28
	v_mov_b32_e32 v24, v52
	v_mov_b32_e32 v21, v29
	v_mov_b32_e32 v29, v13
	v_mov_b32_e32 v25, v53
	v_mov_b32_e32 v53, v51
	v_mov_b32_e32 v28, v12
	v_mov_b32_e32 v52, v50
; %bb.68:
	s_or_b64 exec, exec, s[22:23]
	v_add_f64 v[4:5], v[22:23], 0
	v_add_f64 v[12:13], v[16:17], 0
	v_ashrrev_i32_e32 v26, 31, v5
	v_ashrrev_i32_e32 v27, 31, v13
	v_or_b32_e32 v32, 0x80000000, v26
	v_xor_b32_e32 v4, v26, v4
	v_or_b32_e32 v26, 0x80000000, v27
	v_xor_b32_e32 v12, v27, v12
	v_xor_b32_e32 v5, v32, v5
	v_xor_b32_e32 v13, v26, v13
	v_cmp_gt_u64_e64 s[8:9], v[4:5], v[12:13]
	v_mov_b32_e32 v33, v23
	v_mov_b32_e32 v4, v36
	;; [unrolled: 27-line block ×3, first 2 shown]
	v_mov_b32_e32 v22, v10
	v_mov_b32_e32 v13, v39
	s_and_saveexec_b64 s[22:23], s[8:9]
; %bb.71:
	v_mov_b32_e32 v22, v30
	v_mov_b32_e32 v12, v54
	;; [unrolled: 1-line block ×8, first 2 shown]
; %bb.72:
	s_or_b64 exec, exec, s[22:23]
	v_add_f64 v[10:11], v[24:25], 0
	v_add_f64 v[26:27], v[64:65], 0
	v_mov_b32_e32 v49, v29
	v_mov_b32_e32 v48, v28
	v_ashrrev_i32_e32 v36, 31, v11
	v_ashrrev_i32_e32 v37, 31, v27
	v_or_b32_e32 v38, 0x80000000, v36
	v_xor_b32_e32 v10, v36, v10
	v_or_b32_e32 v36, 0x80000000, v37
	v_xor_b32_e32 v26, v37, v26
	v_xor_b32_e32 v11, v38, v11
	;; [unrolled: 1-line block ×3, first 2 shown]
	v_cmp_gt_u64_e64 s[8:9], v[10:11], v[26:27]
	v_mov_b32_e32 v26, v64
	v_mov_b32_e32 v27, v65
	s_and_saveexec_b64 s[22:23], s[8:9]
; %bb.73:
	v_mov_b32_e32 v49, v35
	v_mov_b32_e32 v27, v25
	;; [unrolled: 1-line block ×8, first 2 shown]
; %bb.74:
	s_or_b64 exec, exec, s[22:23]
	v_add_f64 v[10:11], v[18:19], 0
	v_add_f64 v[28:29], v[52:53], 0
	v_mov_b32_e32 v50, v52
	v_mov_b32_e32 v51, v53
	v_ashrrev_i32_e32 v36, 31, v11
	v_ashrrev_i32_e32 v37, 31, v29
	v_or_b32_e32 v38, 0x80000000, v36
	v_xor_b32_e32 v10, v36, v10
	v_or_b32_e32 v36, 0x80000000, v37
	v_xor_b32_e32 v28, v37, v28
	v_xor_b32_e32 v11, v38, v11
	;; [unrolled: 1-line block ×3, first 2 shown]
	v_cmp_gt_u64_e64 s[8:9], v[10:11], v[28:29]
	v_mov_b32_e32 v39, v15
	v_mov_b32_e32 v38, v14
	s_and_saveexec_b64 s[22:23], s[8:9]
; %bb.75:
	v_mov_b32_e32 v39, v21
	v_mov_b32_e32 v51, v19
	v_mov_b32_e32 v38, v20
	v_mov_b32_e32 v21, v15
	v_mov_b32_e32 v50, v18
	v_mov_b32_e32 v18, v52
	v_mov_b32_e32 v20, v14
	v_mov_b32_e32 v19, v53
; %bb.76:
	s_or_b64 exec, exec, s[22:23]
	v_add_f64 v[10:11], v[30:31], 0
	v_add_f64 v[14:15], v[32:33], 0
	v_ashrrev_i32_e32 v28, 31, v11
	v_ashrrev_i32_e32 v29, 31, v15
	v_or_b32_e32 v36, 0x80000000, v28
	v_xor_b32_e32 v10, v28, v10
	v_or_b32_e32 v28, 0x80000000, v29
	v_xor_b32_e32 v14, v29, v14
	v_xor_b32_e32 v11, v36, v11
	v_xor_b32_e32 v15, v28, v15
	v_cmp_gt_u64_e64 s[8:9], v[10:11], v[14:15]
	v_mov_b32_e32 v28, v30
	v_mov_b32_e32 v10, v54
	v_mov_b32_e32 v29, v31
	v_mov_b32_e32 v11, v55
	s_and_saveexec_b64 s[22:23], s[8:9]
; %bb.77:
	v_mov_b32_e32 v28, v32
	v_mov_b32_e32 v11, v5
	v_mov_b32_e32 v29, v33
	v_mov_b32_e32 v33, v31
	v_mov_b32_e32 v10, v4
	v_mov_b32_e32 v4, v54
	v_mov_b32_e32 v32, v30
	v_mov_b32_e32 v5, v55
; %bb.78:
	s_or_b64 exec, exec, s[22:23]
	v_add_f64 v[14:15], v[26:27], 0
	v_add_f64 v[30:31], v[22:23], 0
	v_ashrrev_i32_e32 v36, 31, v15
	v_ashrrev_i32_e32 v37, 31, v31
	v_or_b32_e32 v52, 0x80000000, v36
	v_xor_b32_e32 v14, v36, v14
	v_or_b32_e32 v36, 0x80000000, v37
	v_xor_b32_e32 v30, v37, v30
	v_xor_b32_e32 v15, v52, v15
	v_xor_b32_e32 v31, v36, v31
	v_cmp_gt_u64_e64 s[8:9], v[14:15], v[30:31]
	v_mov_b32_e32 v37, v23
	v_mov_b32_e32 v14, v34
	;; [unrolled: 27-line block ×3, first 2 shown]
	v_mov_b32_e32 v35, v51
	v_mov_b32_e32 v23, v49
	s_and_saveexec_b64 s[22:23], s[8:9]
; %bb.81:
	v_mov_b32_e32 v35, v25
	v_mov_b32_e32 v23, v21
	;; [unrolled: 1-line block ×8, first 2 shown]
; %bb.82:
	s_or_b64 exec, exec, s[22:23]
.LBB1132_83:
	s_or_b64 exec, exec, s[12:13]
	v_and_b32_e32 v30, 0xfffffe00, v66
	v_lshlrev_b32_e32 v71, 3, v30
	s_movk_i32 s8, 0x800
	v_lshl_add_u32 v81, v70, 3, v71
	v_sub_u32_e64 v80, s8, v30 clamp
	v_add_u32_e32 v30, 0x4000, v81
	ds_write2_b64 v81, v[16:17], v[32:33] offset1:1
	ds_write2_b64 v30, v[0:1], v[4:5] offset1:1
	v_add_u32_e32 v30, 0x4010, v81
	ds_write2_b64 v81, v[28:29], v[36:37] offset0:2 offset1:3
	ds_write2_b64 v30, v[10:11], v[12:13] offset1:1
	v_add_u32_e32 v30, 0x4020, v81
	ds_write2_b64 v81, v[26:27], v[24:25] offset0:4 offset1:5
	;; [unrolled: 3-line block ×3, first 2 shown]
	ds_write2_b64 v30, v[20:21], v[38:39] offset1:1
	v_or_b32_e32 v30, 8, v70
	v_min_u32_e32 v82, v80, v30
	v_add_u32_e32 v30, 8, v82
	v_and_b32_e32 v48, 0x3f0, v70
	v_min_u32_e32 v83, v80, v30
	v_and_b32_e32 v30, 8, v70
	v_min_u32_e32 v49, v80, v30
	v_sub_u32_e32 v50, v82, v48
	v_sub_u32_e32 v31, v83, v82
	v_sub_u32_e64 v31, v49, v31 clamp
	v_min_u32_e32 v50, v49, v50
	v_lshl_add_u32 v30, v48, 3, v71
	v_cmp_lt_u32_e64 s[8:9], v31, v50
	; wave barrier
	s_and_saveexec_b64 s[12:13], s[8:9]
	s_cbranch_execz .LBB1132_87
; %bb.84:
	v_lshlrev_b32_e32 v51, 3, v82
	v_lshlrev_b32_e32 v52, 3, v49
	v_add3_u32 v51, v71, v51, v52
	s_mov_b64 s[22:23], 0
.LBB1132_85:                            ; =>This Inner Loop Header: Depth=1
	v_add_u32_e32 v52, v50, v31
	v_lshrrev_b32_e32 v64, 1, v52
	v_not_b32_e32 v52, v64
	v_lshl_add_u32 v53, v64, 3, v30
	v_lshl_add_u32 v54, v52, 3, v51
	ds_read_b64 v[52:53], v53
	ds_read_b64 v[54:55], v54
	v_add_u32_e32 v65, 1, v64
	s_waitcnt lgkmcnt(1)
	v_add_f64 v[52:53], v[52:53], 0
	s_waitcnt lgkmcnt(0)
	v_add_f64 v[54:55], v[54:55], 0
	v_ashrrev_i32_e32 v66, 31, v53
	v_ashrrev_i32_e32 v67, 31, v55
	v_or_b32_e32 v84, 0x80000000, v66
	v_xor_b32_e32 v52, v66, v52
	v_or_b32_e32 v66, 0x80000000, v67
	v_xor_b32_e32 v54, v67, v54
	v_xor_b32_e32 v53, v84, v53
	;; [unrolled: 1-line block ×3, first 2 shown]
	v_cmp_gt_u64_e64 s[8:9], v[54:55], v[52:53]
	v_cndmask_b32_e64 v50, v50, v64, s[8:9]
	v_cndmask_b32_e64 v31, v65, v31, s[8:9]
	v_cmp_ge_u32_e64 s[8:9], v31, v50
	s_or_b64 s[22:23], s[8:9], s[22:23]
	s_andn2_b64 exec, exec, s[22:23]
	s_cbranch_execnz .LBB1132_85
; %bb.86:
	s_or_b64 exec, exec, s[22:23]
.LBB1132_87:
	s_or_b64 exec, exec, s[12:13]
	v_add_u32_e32 v49, v82, v49
	v_add_u32_e32 v48, v31, v48
	v_sub_u32_e32 v49, v49, v31
	v_cmp_le_u32_e64 s[8:9], v48, v82
	v_cmp_le_u32_e64 s[12:13], v49, v83
	s_or_b64 s[8:9], s[8:9], s[12:13]
	s_and_saveexec_b64 s[22:23], s[8:9]
	s_cbranch_execz .LBB1132_123
; %bb.88:
	v_cmp_ge_u32_e64 s[8:9], v48, v82
	v_cmp_lt_u32_e64 s[12:13], v48, v82
                                        ; implicit-def: $vgpr16_vgpr17
	s_and_saveexec_b64 s[24:25], s[12:13]
; %bb.89:
	v_lshl_add_u32 v0, v31, 3, v30
	ds_read_b64 v[16:17], v0
; %bb.90:
	s_or_b64 exec, exec, s[24:25]
	v_cmp_ge_u32_e64 s[24:25], v49, v83
	v_cmp_lt_u32_e64 s[12:13], v49, v83
                                        ; implicit-def: $vgpr18_vgpr19
	s_and_saveexec_b64 s[26:27], s[12:13]
; %bb.91:
	v_lshl_add_u32 v0, v49, 3, v71
	ds_read_b64 v[18:19], v0
; %bb.92:
	s_or_b64 exec, exec, s[26:27]
	s_nor_b64 s[8:9], s[8:9], s[24:25]
	s_and_saveexec_b64 s[12:13], s[8:9]
	s_cbranch_execz .LBB1132_94
; %bb.93:
	s_waitcnt lgkmcnt(0)
	v_add_f64 v[0:1], v[18:19], 0
	v_add_f64 v[4:5], v[16:17], 0
	s_andn2_b64 s[24:25], s[24:25], exec
	v_ashrrev_i32_e32 v10, 31, v1
	v_ashrrev_i32_e32 v11, 31, v5
	v_or_b32_e32 v12, 0x80000000, v10
	v_xor_b32_e32 v0, v10, v0
	v_or_b32_e32 v10, 0x80000000, v11
	v_xor_b32_e32 v1, v12, v1
	v_xor_b32_e32 v5, v10, v5
	;; [unrolled: 1-line block ×3, first 2 shown]
	v_cmp_le_u64_e64 s[8:9], v[0:1], v[4:5]
	s_and_b64 s[8:9], s[8:9], exec
	s_or_b64 s[24:25], s[24:25], s[8:9]
.LBB1132_94:
	s_or_b64 exec, exec, s[12:13]
	v_cndmask_b32_e64 v0, v49, v48, s[24:25]
	v_cndmask_b32_e64 v1, v83, v82, s[24:25]
	v_add_u32_e32 v11, 1, v0
	v_add_u32_e32 v1, -1, v1
	v_min_u32_e32 v1, v11, v1
	v_lshl_add_u32 v1, v1, 3, v71
	ds_read_b64 v[4:5], v1
	v_lshl_add_u32 v0, v0, 3, v71
	ds_read_b64 v[0:1], v0 offset:16384
	v_cndmask_b32_e64 v10, v11, v49, s[24:25]
	v_cndmask_b32_e64 v11, v48, v11, s[24:25]
	s_waitcnt lgkmcnt(1)
	v_cndmask_b32_e64 v31, v5, v19, s[24:25]
	v_cndmask_b32_e64 v30, v4, v18, s[24:25]
	;; [unrolled: 1-line block ×4, first 2 shown]
	v_cmp_lt_u32_e64 s[8:9], v10, v83
	s_mov_b64 s[26:27], -1
	s_mov_b64 s[12:13], -1
	s_and_saveexec_b64 s[28:29], s[8:9]
	s_cbranch_execz .LBB1132_98
; %bb.95:
	v_cmp_lt_u32_e64 s[8:9], v11, v82
	s_mov_b64 s[40:41], 0
	s_and_saveexec_b64 s[12:13], s[8:9]
	s_cbranch_execz .LBB1132_97
; %bb.96:
	v_add_f64 v[4:5], v[30:31], 0
	v_add_f64 v[12:13], v[32:33], 0
	v_ashrrev_i32_e32 v14, 31, v5
	v_ashrrev_i32_e32 v15, 31, v13
	v_or_b32_e32 v20, 0x80000000, v14
	v_xor_b32_e32 v4, v14, v4
	v_or_b32_e32 v14, 0x80000000, v15
	v_xor_b32_e32 v5, v20, v5
	v_xor_b32_e32 v13, v14, v13
	;; [unrolled: 1-line block ×3, first 2 shown]
	v_cmp_le_u64_e64 s[8:9], v[4:5], v[12:13]
	s_and_b64 s[40:41], s[8:9], exec
.LBB1132_97:
	s_or_b64 exec, exec, s[12:13]
	s_orn2_b64 s[12:13], s[40:41], exec
.LBB1132_98:
	s_or_b64 exec, exec, s[28:29]
	v_cndmask_b32_e64 v4, v10, v11, s[12:13]
	v_cndmask_b32_e64 v5, v83, v82, s[12:13]
	v_add_u32_e32 v14, 1, v4
	v_add_u32_e32 v5, -1, v5
	v_min_u32_e32 v5, v14, v5
	v_lshl_add_u32 v5, v5, 3, v71
	ds_read_b64 v[12:13], v5
	v_lshl_add_u32 v4, v4, 3, v71
	ds_read_b64 v[4:5], v4 offset:16384
	s_waitcnt lgkmcnt(1)
	v_cndmask_b32_e64 v28, v12, v30, s[12:13]
	v_cndmask_b32_e64 v38, v32, v12, s[12:13]
	;; [unrolled: 1-line block ×6, first 2 shown]
	v_cmp_lt_u32_e64 s[8:9], v12, v83
	s_and_saveexec_b64 s[28:29], s[8:9]
	s_cbranch_execz .LBB1132_102
; %bb.99:
	v_cmp_lt_u32_e64 s[8:9], v13, v82
	s_mov_b64 s[40:41], 0
	s_and_saveexec_b64 s[26:27], s[8:9]
	s_cbranch_execz .LBB1132_101
; %bb.100:
	v_add_f64 v[10:11], v[28:29], 0
	v_add_f64 v[14:15], v[38:39], 0
	v_ashrrev_i32_e32 v20, 31, v11
	v_ashrrev_i32_e32 v21, 31, v15
	v_or_b32_e32 v22, 0x80000000, v20
	v_xor_b32_e32 v10, v20, v10
	v_or_b32_e32 v20, 0x80000000, v21
	v_xor_b32_e32 v11, v22, v11
	v_xor_b32_e32 v15, v20, v15
	;; [unrolled: 1-line block ×3, first 2 shown]
	v_cmp_le_u64_e64 s[8:9], v[10:11], v[14:15]
	s_and_b64 s[40:41], s[8:9], exec
.LBB1132_101:
	s_or_b64 exec, exec, s[26:27]
	s_orn2_b64 s[26:27], s[40:41], exec
.LBB1132_102:
	s_or_b64 exec, exec, s[28:29]
	v_cndmask_b32_e64 v10, v12, v13, s[26:27]
	v_cndmask_b32_e64 v11, v83, v82, s[26:27]
	v_add_u32_e32 v20, 1, v10
	v_add_u32_e32 v11, -1, v11
	v_min_u32_e32 v11, v20, v11
	v_lshl_add_u32 v11, v11, 3, v71
	ds_read_b64 v[14:15], v11
	v_lshl_add_u32 v10, v10, 3, v71
	ds_read_b64 v[10:11], v10 offset:16384
	s_mov_b64 s[40:41], -1
	s_mov_b64 s[28:29], -1
	s_waitcnt lgkmcnt(1)
	v_cndmask_b32_e64 v36, v14, v28, s[26:27]
	v_cndmask_b32_e64 v48, v38, v14, s[26:27]
	;; [unrolled: 1-line block ×6, first 2 shown]
	v_cmp_lt_u32_e64 s[8:9], v14, v83
	s_and_saveexec_b64 s[42:43], s[8:9]
	s_cbranch_execz .LBB1132_106
; %bb.103:
	v_cmp_lt_u32_e64 s[8:9], v15, v82
	s_mov_b64 s[44:45], 0
	s_and_saveexec_b64 s[28:29], s[8:9]
	s_cbranch_execz .LBB1132_105
; %bb.104:
	v_add_f64 v[12:13], v[36:37], 0
	v_add_f64 v[20:21], v[48:49], 0
	v_ashrrev_i32_e32 v22, 31, v13
	v_ashrrev_i32_e32 v23, 31, v21
	v_or_b32_e32 v24, 0x80000000, v22
	v_xor_b32_e32 v12, v22, v12
	v_or_b32_e32 v22, 0x80000000, v23
	v_xor_b32_e32 v13, v24, v13
	v_xor_b32_e32 v21, v22, v21
	;; [unrolled: 1-line block ×3, first 2 shown]
	v_cmp_le_u64_e64 s[8:9], v[12:13], v[20:21]
	s_and_b64 s[44:45], s[8:9], exec
.LBB1132_105:
	s_or_b64 exec, exec, s[28:29]
	s_orn2_b64 s[28:29], s[44:45], exec
.LBB1132_106:
	s_or_b64 exec, exec, s[42:43]
	v_cndmask_b32_e64 v12, v14, v15, s[28:29]
	v_cndmask_b32_e64 v13, v83, v82, s[28:29]
	v_add_u32_e32 v22, 1, v12
	v_add_u32_e32 v13, -1, v13
	v_min_u32_e32 v13, v22, v13
	v_lshl_add_u32 v13, v13, 3, v71
	ds_read_b64 v[20:21], v13
	v_lshl_add_u32 v12, v12, 3, v71
	ds_read_b64 v[12:13], v12 offset:16384
	s_waitcnt lgkmcnt(1)
	v_cndmask_b32_e64 v26, v20, v36, s[28:29]
	v_cndmask_b32_e64 v50, v48, v20, s[28:29]
	;; [unrolled: 1-line block ×6, first 2 shown]
	v_cmp_lt_u32_e64 s[8:9], v20, v83
	s_and_saveexec_b64 s[42:43], s[8:9]
	s_cbranch_execz .LBB1132_110
; %bb.107:
	v_cmp_lt_u32_e64 s[8:9], v21, v82
	s_mov_b64 s[44:45], 0
	s_and_saveexec_b64 s[40:41], s[8:9]
	s_cbranch_execz .LBB1132_109
; %bb.108:
	v_add_f64 v[14:15], v[26:27], 0
	v_add_f64 v[22:23], v[50:51], 0
	v_ashrrev_i32_e32 v24, 31, v15
	v_ashrrev_i32_e32 v25, 31, v23
	v_or_b32_e32 v34, 0x80000000, v24
	v_xor_b32_e32 v14, v24, v14
	v_or_b32_e32 v24, 0x80000000, v25
	v_xor_b32_e32 v15, v34, v15
	v_xor_b32_e32 v23, v24, v23
	;; [unrolled: 1-line block ×3, first 2 shown]
	v_cmp_le_u64_e64 s[8:9], v[14:15], v[22:23]
	s_and_b64 s[44:45], s[8:9], exec
.LBB1132_109:
	s_or_b64 exec, exec, s[40:41]
	s_orn2_b64 s[40:41], s[44:45], exec
.LBB1132_110:
	s_or_b64 exec, exec, s[42:43]
	v_cndmask_b32_e64 v14, v20, v21, s[40:41]
	v_cndmask_b32_e64 v15, v83, v82, s[40:41]
	v_add_u32_e32 v34, 1, v14
	v_add_u32_e32 v15, -1, v15
	v_min_u32_e32 v15, v34, v15
	v_lshl_add_u32 v15, v15, 3, v71
	ds_read_b64 v[22:23], v15
	v_lshl_add_u32 v14, v14, 3, v71
	ds_read_b64 v[14:15], v14 offset:16384
	v_cndmask_b32_e64 v20, v34, v20, s[40:41]
	v_cndmask_b32_e64 v21, v21, v34, s[40:41]
	s_waitcnt lgkmcnt(1)
	v_cndmask_b32_e64 v25, v23, v27, s[40:41]
	v_cndmask_b32_e64 v24, v22, v26, s[40:41]
	v_cndmask_b32_e64 v53, v51, v23, s[40:41]
	v_cndmask_b32_e64 v52, v50, v22, s[40:41]
	v_cmp_lt_u32_e64 s[8:9], v20, v83
	s_mov_b64 s[44:45], -1
	s_mov_b64 s[42:43], -1
	s_and_saveexec_b64 s[46:47], s[8:9]
	s_cbranch_execz .LBB1132_114
; %bb.111:
	v_cmp_lt_u32_e64 s[8:9], v21, v82
	s_mov_b64 s[56:57], 0
	s_and_saveexec_b64 s[42:43], s[8:9]
	s_cbranch_execz .LBB1132_113
; %bb.112:
	v_add_f64 v[22:23], v[24:25], 0
	v_add_f64 v[34:35], v[52:53], 0
	v_ashrrev_i32_e32 v54, 31, v23
	v_ashrrev_i32_e32 v55, 31, v35
	v_or_b32_e32 v64, 0x80000000, v54
	v_xor_b32_e32 v22, v54, v22
	v_or_b32_e32 v54, 0x80000000, v55
	v_xor_b32_e32 v23, v64, v23
	v_xor_b32_e32 v35, v54, v35
	;; [unrolled: 1-line block ×3, first 2 shown]
	v_cmp_le_u64_e64 s[8:9], v[22:23], v[34:35]
	s_and_b64 s[56:57], s[8:9], exec
.LBB1132_113:
	s_or_b64 exec, exec, s[42:43]
	s_orn2_b64 s[42:43], s[56:57], exec
.LBB1132_114:
	s_or_b64 exec, exec, s[46:47]
	v_cndmask_b32_e64 v22, v20, v21, s[42:43]
	v_cndmask_b32_e64 v23, v83, v82, s[42:43]
	v_add_u32_e32 v64, 1, v22
	v_add_u32_e32 v23, -1, v23
	v_min_u32_e32 v23, v64, v23
	v_lshl_add_u32 v23, v23, 3, v71
	ds_read_b64 v[54:55], v23
	v_lshl_add_u32 v22, v22, 3, v71
	ds_read_b64 v[22:23], v22 offset:16384
	v_cndmask_b32_e64 v84, v64, v20, s[42:43]
	v_cndmask_b32_e64 v85, v21, v64, s[42:43]
	s_waitcnt lgkmcnt(1)
	v_cndmask_b32_e64 v35, v55, v25, s[42:43]
	v_cndmask_b32_e64 v34, v54, v24, s[42:43]
	;; [unrolled: 1-line block ×4, first 2 shown]
	v_cmp_lt_u32_e64 s[8:9], v84, v83
	s_and_saveexec_b64 s[46:47], s[8:9]
	s_cbranch_execz .LBB1132_118
; %bb.115:
	v_cmp_lt_u32_e64 s[8:9], v85, v82
	s_mov_b64 s[56:57], 0
	s_and_saveexec_b64 s[44:45], s[8:9]
	s_cbranch_execz .LBB1132_117
; %bb.116:
	v_add_f64 v[20:21], v[34:35], 0
	v_add_f64 v[64:65], v[54:55], 0
	v_ashrrev_i32_e32 v66, 31, v21
	v_ashrrev_i32_e32 v67, 31, v65
	v_or_b32_e32 v86, 0x80000000, v66
	v_xor_b32_e32 v20, v66, v20
	v_or_b32_e32 v66, 0x80000000, v67
	v_xor_b32_e32 v21, v86, v21
	v_xor_b32_e32 v65, v66, v65
	;; [unrolled: 1-line block ×3, first 2 shown]
	v_cmp_le_u64_e64 s[8:9], v[20:21], v[64:65]
	s_and_b64 s[56:57], s[8:9], exec
.LBB1132_117:
	s_or_b64 exec, exec, s[44:45]
	s_orn2_b64 s[44:45], s[56:57], exec
.LBB1132_118:
	s_or_b64 exec, exec, s[46:47]
	v_cndmask_b32_e64 v20, v84, v85, s[44:45]
	v_cndmask_b32_e64 v21, v83, v82, s[44:45]
	v_add_u32_e32 v86, 1, v20
	v_add_u32_e32 v21, -1, v21
	v_min_u32_e32 v21, v86, v21
	v_lshl_add_u32 v21, v21, 3, v71
	ds_read_b64 v[66:67], v21
	v_lshl_add_u32 v20, v20, 3, v71
	ds_read_b64 v[20:21], v20 offset:16384
	v_cndmask_b32_e64 v84, v86, v84, s[44:45]
	v_cndmask_b32_e64 v85, v85, v86, s[44:45]
	s_waitcnt lgkmcnt(1)
	v_cndmask_b32_e64 v65, v67, v35, s[44:45]
	v_cndmask_b32_e64 v64, v66, v34, s[44:45]
	;; [unrolled: 1-line block ×4, first 2 shown]
	v_cmp_lt_u32_e64 s[8:9], v84, v83
	s_mov_b64 s[46:47], -1
	s_and_saveexec_b64 s[56:57], s[8:9]
	s_cbranch_execz .LBB1132_122
; %bb.119:
	v_cmp_lt_u32_e64 s[8:9], v85, v82
	s_mov_b64 s[58:59], 0
	s_and_saveexec_b64 s[46:47], s[8:9]
	s_cbranch_execz .LBB1132_121
; %bb.120:
	v_add_f64 v[82:83], v[64:65], 0
	v_add_f64 v[86:87], v[66:67], 0
	v_ashrrev_i32_e32 v96, 31, v83
	v_ashrrev_i32_e32 v97, 31, v87
	v_or_b32_e32 v98, 0x80000000, v96
	v_xor_b32_e32 v82, v96, v82
	v_or_b32_e32 v96, 0x80000000, v97
	v_xor_b32_e32 v83, v98, v83
	v_xor_b32_e32 v87, v96, v87
	;; [unrolled: 1-line block ×3, first 2 shown]
	v_cmp_le_u64_e64 s[8:9], v[82:83], v[86:87]
	s_and_b64 s[58:59], s[8:9], exec
.LBB1132_121:
	s_or_b64 exec, exec, s[46:47]
	s_orn2_b64 s[46:47], s[58:59], exec
.LBB1132_122:
	s_or_b64 exec, exec, s[56:57]
	v_cndmask_b32_e64 v32, v30, v32, s[12:13]
	v_cndmask_b32_e64 v30, v84, v85, s[46:47]
	v_lshl_add_u32 v30, v30, 3, v71
	v_cndmask_b32_e64 v29, v29, v39, s[26:27]
	v_cndmask_b32_e64 v28, v28, v38, s[26:27]
	ds_read_b64 v[38:39], v30 offset:16384
	v_cndmask_b32_e64 v35, v35, v55, s[44:45]
	v_cndmask_b32_e64 v34, v34, v54, s[44:45]
	;; [unrolled: 1-line block ×13, first 2 shown]
.LBB1132_123:
	s_or_b64 exec, exec, s[22:23]
	v_add_u32_e32 v30, 0x4000, v81
	; wave barrier
	ds_write2_b64 v81, v[16:17], v[32:33] offset1:1
	ds_write2_b64 v30, v[0:1], v[4:5] offset1:1
	v_add_u32_e32 v30, 0x4010, v81
	ds_write2_b64 v81, v[28:29], v[36:37] offset0:2 offset1:3
	ds_write2_b64 v30, v[10:11], v[12:13] offset1:1
	v_add_u32_e32 v30, 0x4020, v81
	ds_write2_b64 v81, v[26:27], v[24:25] offset0:4 offset1:5
	ds_write2_b64 v30, v[14:15], v[22:23] offset1:1
	v_add_u32_e32 v30, 0x4030, v81
	v_and_b32_e32 v48, 0x3e0, v70
	ds_write2_b64 v81, v[34:35], v[18:19] offset0:6 offset1:7
	s_waitcnt lgkmcnt(7)
	ds_write2_b64 v30, v[20:21], v[38:39] offset1:1
	v_or_b32_e32 v30, 16, v48
	v_min_u32_e32 v82, v80, v30
	v_add_u32_e32 v30, 16, v82
	v_min_u32_e32 v83, v80, v30
	v_and_b32_e32 v30, 24, v70
	v_min_u32_e32 v49, v80, v30
	v_sub_u32_e32 v50, v82, v48
	v_sub_u32_e32 v31, v83, v82
	v_sub_u32_e64 v31, v49, v31 clamp
	v_min_u32_e32 v50, v49, v50
	v_lshl_add_u32 v30, v48, 3, v71
	v_cmp_lt_u32_e64 s[8:9], v31, v50
	; wave barrier
	s_and_saveexec_b64 s[12:13], s[8:9]
	s_cbranch_execz .LBB1132_127
; %bb.124:
	v_lshlrev_b32_e32 v51, 3, v82
	v_lshlrev_b32_e32 v52, 3, v49
	v_add3_u32 v51, v71, v51, v52
	s_mov_b64 s[22:23], 0
.LBB1132_125:                           ; =>This Inner Loop Header: Depth=1
	v_add_u32_e32 v52, v50, v31
	v_lshrrev_b32_e32 v64, 1, v52
	v_not_b32_e32 v52, v64
	v_lshl_add_u32 v53, v64, 3, v30
	v_lshl_add_u32 v54, v52, 3, v51
	ds_read_b64 v[52:53], v53
	ds_read_b64 v[54:55], v54
	v_add_u32_e32 v65, 1, v64
	s_waitcnt lgkmcnt(1)
	v_add_f64 v[52:53], v[52:53], 0
	s_waitcnt lgkmcnt(0)
	v_add_f64 v[54:55], v[54:55], 0
	v_ashrrev_i32_e32 v66, 31, v53
	v_ashrrev_i32_e32 v67, 31, v55
	v_or_b32_e32 v84, 0x80000000, v66
	v_xor_b32_e32 v52, v66, v52
	v_or_b32_e32 v66, 0x80000000, v67
	v_xor_b32_e32 v54, v67, v54
	v_xor_b32_e32 v53, v84, v53
	;; [unrolled: 1-line block ×3, first 2 shown]
	v_cmp_gt_u64_e64 s[8:9], v[54:55], v[52:53]
	v_cndmask_b32_e64 v50, v50, v64, s[8:9]
	v_cndmask_b32_e64 v31, v65, v31, s[8:9]
	v_cmp_ge_u32_e64 s[8:9], v31, v50
	s_or_b64 s[22:23], s[8:9], s[22:23]
	s_andn2_b64 exec, exec, s[22:23]
	s_cbranch_execnz .LBB1132_125
; %bb.126:
	s_or_b64 exec, exec, s[22:23]
.LBB1132_127:
	s_or_b64 exec, exec, s[12:13]
	v_add_u32_e32 v49, v82, v49
	v_add_u32_e32 v48, v31, v48
	v_sub_u32_e32 v49, v49, v31
	v_cmp_le_u32_e64 s[8:9], v48, v82
	v_cmp_le_u32_e64 s[12:13], v49, v83
	s_or_b64 s[8:9], s[8:9], s[12:13]
	s_and_saveexec_b64 s[22:23], s[8:9]
	s_cbranch_execz .LBB1132_163
; %bb.128:
	v_cmp_ge_u32_e64 s[8:9], v48, v82
	v_cmp_lt_u32_e64 s[12:13], v48, v82
                                        ; implicit-def: $vgpr16_vgpr17
	s_and_saveexec_b64 s[24:25], s[12:13]
; %bb.129:
	v_lshl_add_u32 v0, v31, 3, v30
	ds_read_b64 v[16:17], v0
; %bb.130:
	s_or_b64 exec, exec, s[24:25]
	v_cmp_ge_u32_e64 s[24:25], v49, v83
	v_cmp_lt_u32_e64 s[12:13], v49, v83
                                        ; implicit-def: $vgpr18_vgpr19
	s_and_saveexec_b64 s[26:27], s[12:13]
; %bb.131:
	v_lshl_add_u32 v0, v49, 3, v71
	ds_read_b64 v[18:19], v0
; %bb.132:
	s_or_b64 exec, exec, s[26:27]
	s_nor_b64 s[8:9], s[8:9], s[24:25]
	s_and_saveexec_b64 s[12:13], s[8:9]
	s_cbranch_execz .LBB1132_134
; %bb.133:
	s_waitcnt lgkmcnt(0)
	v_add_f64 v[0:1], v[18:19], 0
	v_add_f64 v[4:5], v[16:17], 0
	s_andn2_b64 s[24:25], s[24:25], exec
	v_ashrrev_i32_e32 v10, 31, v1
	v_ashrrev_i32_e32 v11, 31, v5
	v_or_b32_e32 v12, 0x80000000, v10
	v_xor_b32_e32 v0, v10, v0
	v_or_b32_e32 v10, 0x80000000, v11
	v_xor_b32_e32 v1, v12, v1
	v_xor_b32_e32 v5, v10, v5
	;; [unrolled: 1-line block ×3, first 2 shown]
	v_cmp_le_u64_e64 s[8:9], v[0:1], v[4:5]
	s_and_b64 s[8:9], s[8:9], exec
	s_or_b64 s[24:25], s[24:25], s[8:9]
.LBB1132_134:
	s_or_b64 exec, exec, s[12:13]
	v_cndmask_b32_e64 v0, v49, v48, s[24:25]
	v_cndmask_b32_e64 v1, v83, v82, s[24:25]
	v_add_u32_e32 v11, 1, v0
	v_add_u32_e32 v1, -1, v1
	v_min_u32_e32 v1, v11, v1
	v_lshl_add_u32 v1, v1, 3, v71
	ds_read_b64 v[4:5], v1
	v_lshl_add_u32 v0, v0, 3, v71
	ds_read_b64 v[0:1], v0 offset:16384
	v_cndmask_b32_e64 v10, v11, v49, s[24:25]
	v_cndmask_b32_e64 v11, v48, v11, s[24:25]
	s_waitcnt lgkmcnt(1)
	v_cndmask_b32_e64 v31, v5, v19, s[24:25]
	v_cndmask_b32_e64 v30, v4, v18, s[24:25]
	;; [unrolled: 1-line block ×4, first 2 shown]
	v_cmp_lt_u32_e64 s[8:9], v10, v83
	s_mov_b64 s[26:27], -1
	s_mov_b64 s[12:13], -1
	s_and_saveexec_b64 s[28:29], s[8:9]
	s_cbranch_execz .LBB1132_138
; %bb.135:
	v_cmp_lt_u32_e64 s[8:9], v11, v82
	s_mov_b64 s[40:41], 0
	s_and_saveexec_b64 s[12:13], s[8:9]
	s_cbranch_execz .LBB1132_137
; %bb.136:
	v_add_f64 v[4:5], v[30:31], 0
	v_add_f64 v[12:13], v[32:33], 0
	v_ashrrev_i32_e32 v14, 31, v5
	v_ashrrev_i32_e32 v15, 31, v13
	v_or_b32_e32 v20, 0x80000000, v14
	v_xor_b32_e32 v4, v14, v4
	v_or_b32_e32 v14, 0x80000000, v15
	v_xor_b32_e32 v5, v20, v5
	v_xor_b32_e32 v13, v14, v13
	;; [unrolled: 1-line block ×3, first 2 shown]
	v_cmp_le_u64_e64 s[8:9], v[4:5], v[12:13]
	s_and_b64 s[40:41], s[8:9], exec
.LBB1132_137:
	s_or_b64 exec, exec, s[12:13]
	s_orn2_b64 s[12:13], s[40:41], exec
.LBB1132_138:
	s_or_b64 exec, exec, s[28:29]
	v_cndmask_b32_e64 v4, v10, v11, s[12:13]
	v_cndmask_b32_e64 v5, v83, v82, s[12:13]
	v_add_u32_e32 v14, 1, v4
	v_add_u32_e32 v5, -1, v5
	v_min_u32_e32 v5, v14, v5
	v_lshl_add_u32 v5, v5, 3, v71
	ds_read_b64 v[12:13], v5
	v_lshl_add_u32 v4, v4, 3, v71
	ds_read_b64 v[4:5], v4 offset:16384
	s_waitcnt lgkmcnt(1)
	v_cndmask_b32_e64 v28, v12, v30, s[12:13]
	v_cndmask_b32_e64 v38, v32, v12, s[12:13]
	;; [unrolled: 1-line block ×6, first 2 shown]
	v_cmp_lt_u32_e64 s[8:9], v12, v83
	s_and_saveexec_b64 s[28:29], s[8:9]
	s_cbranch_execz .LBB1132_142
; %bb.139:
	v_cmp_lt_u32_e64 s[8:9], v13, v82
	s_mov_b64 s[40:41], 0
	s_and_saveexec_b64 s[26:27], s[8:9]
	s_cbranch_execz .LBB1132_141
; %bb.140:
	v_add_f64 v[10:11], v[28:29], 0
	v_add_f64 v[14:15], v[38:39], 0
	v_ashrrev_i32_e32 v20, 31, v11
	v_ashrrev_i32_e32 v21, 31, v15
	v_or_b32_e32 v22, 0x80000000, v20
	v_xor_b32_e32 v10, v20, v10
	v_or_b32_e32 v20, 0x80000000, v21
	v_xor_b32_e32 v11, v22, v11
	v_xor_b32_e32 v15, v20, v15
	;; [unrolled: 1-line block ×3, first 2 shown]
	v_cmp_le_u64_e64 s[8:9], v[10:11], v[14:15]
	s_and_b64 s[40:41], s[8:9], exec
.LBB1132_141:
	s_or_b64 exec, exec, s[26:27]
	s_orn2_b64 s[26:27], s[40:41], exec
.LBB1132_142:
	s_or_b64 exec, exec, s[28:29]
	v_cndmask_b32_e64 v10, v12, v13, s[26:27]
	v_cndmask_b32_e64 v11, v83, v82, s[26:27]
	v_add_u32_e32 v20, 1, v10
	v_add_u32_e32 v11, -1, v11
	v_min_u32_e32 v11, v20, v11
	v_lshl_add_u32 v11, v11, 3, v71
	ds_read_b64 v[14:15], v11
	v_lshl_add_u32 v10, v10, 3, v71
	ds_read_b64 v[10:11], v10 offset:16384
	s_mov_b64 s[40:41], -1
	s_mov_b64 s[28:29], -1
	s_waitcnt lgkmcnt(1)
	v_cndmask_b32_e64 v36, v14, v28, s[26:27]
	v_cndmask_b32_e64 v48, v38, v14, s[26:27]
	;; [unrolled: 1-line block ×6, first 2 shown]
	v_cmp_lt_u32_e64 s[8:9], v14, v83
	s_and_saveexec_b64 s[42:43], s[8:9]
	s_cbranch_execz .LBB1132_146
; %bb.143:
	v_cmp_lt_u32_e64 s[8:9], v15, v82
	s_mov_b64 s[44:45], 0
	s_and_saveexec_b64 s[28:29], s[8:9]
	s_cbranch_execz .LBB1132_145
; %bb.144:
	v_add_f64 v[12:13], v[36:37], 0
	v_add_f64 v[20:21], v[48:49], 0
	v_ashrrev_i32_e32 v22, 31, v13
	v_ashrrev_i32_e32 v23, 31, v21
	v_or_b32_e32 v24, 0x80000000, v22
	v_xor_b32_e32 v12, v22, v12
	v_or_b32_e32 v22, 0x80000000, v23
	v_xor_b32_e32 v13, v24, v13
	v_xor_b32_e32 v21, v22, v21
	;; [unrolled: 1-line block ×3, first 2 shown]
	v_cmp_le_u64_e64 s[8:9], v[12:13], v[20:21]
	s_and_b64 s[44:45], s[8:9], exec
.LBB1132_145:
	s_or_b64 exec, exec, s[28:29]
	s_orn2_b64 s[28:29], s[44:45], exec
.LBB1132_146:
	s_or_b64 exec, exec, s[42:43]
	v_cndmask_b32_e64 v12, v14, v15, s[28:29]
	v_cndmask_b32_e64 v13, v83, v82, s[28:29]
	v_add_u32_e32 v22, 1, v12
	v_add_u32_e32 v13, -1, v13
	v_min_u32_e32 v13, v22, v13
	v_lshl_add_u32 v13, v13, 3, v71
	ds_read_b64 v[20:21], v13
	v_lshl_add_u32 v12, v12, 3, v71
	ds_read_b64 v[12:13], v12 offset:16384
	s_waitcnt lgkmcnt(1)
	v_cndmask_b32_e64 v26, v20, v36, s[28:29]
	v_cndmask_b32_e64 v50, v48, v20, s[28:29]
	;; [unrolled: 1-line block ×6, first 2 shown]
	v_cmp_lt_u32_e64 s[8:9], v20, v83
	s_and_saveexec_b64 s[42:43], s[8:9]
	s_cbranch_execz .LBB1132_150
; %bb.147:
	v_cmp_lt_u32_e64 s[8:9], v21, v82
	s_mov_b64 s[44:45], 0
	s_and_saveexec_b64 s[40:41], s[8:9]
	s_cbranch_execz .LBB1132_149
; %bb.148:
	v_add_f64 v[14:15], v[26:27], 0
	v_add_f64 v[22:23], v[50:51], 0
	v_ashrrev_i32_e32 v24, 31, v15
	v_ashrrev_i32_e32 v25, 31, v23
	v_or_b32_e32 v34, 0x80000000, v24
	v_xor_b32_e32 v14, v24, v14
	v_or_b32_e32 v24, 0x80000000, v25
	v_xor_b32_e32 v15, v34, v15
	v_xor_b32_e32 v23, v24, v23
	;; [unrolled: 1-line block ×3, first 2 shown]
	v_cmp_le_u64_e64 s[8:9], v[14:15], v[22:23]
	s_and_b64 s[44:45], s[8:9], exec
.LBB1132_149:
	s_or_b64 exec, exec, s[40:41]
	s_orn2_b64 s[40:41], s[44:45], exec
.LBB1132_150:
	s_or_b64 exec, exec, s[42:43]
	v_cndmask_b32_e64 v14, v20, v21, s[40:41]
	v_cndmask_b32_e64 v15, v83, v82, s[40:41]
	v_add_u32_e32 v34, 1, v14
	v_add_u32_e32 v15, -1, v15
	v_min_u32_e32 v15, v34, v15
	v_lshl_add_u32 v15, v15, 3, v71
	ds_read_b64 v[22:23], v15
	v_lshl_add_u32 v14, v14, 3, v71
	ds_read_b64 v[14:15], v14 offset:16384
	v_cndmask_b32_e64 v20, v34, v20, s[40:41]
	v_cndmask_b32_e64 v21, v21, v34, s[40:41]
	s_waitcnt lgkmcnt(1)
	v_cndmask_b32_e64 v25, v23, v27, s[40:41]
	v_cndmask_b32_e64 v24, v22, v26, s[40:41]
	;; [unrolled: 1-line block ×4, first 2 shown]
	v_cmp_lt_u32_e64 s[8:9], v20, v83
	s_mov_b64 s[44:45], -1
	s_mov_b64 s[42:43], -1
	s_and_saveexec_b64 s[46:47], s[8:9]
	s_cbranch_execz .LBB1132_154
; %bb.151:
	v_cmp_lt_u32_e64 s[8:9], v21, v82
	s_mov_b64 s[56:57], 0
	s_and_saveexec_b64 s[42:43], s[8:9]
	s_cbranch_execz .LBB1132_153
; %bb.152:
	v_add_f64 v[22:23], v[24:25], 0
	v_add_f64 v[34:35], v[52:53], 0
	v_ashrrev_i32_e32 v54, 31, v23
	v_ashrrev_i32_e32 v55, 31, v35
	v_or_b32_e32 v64, 0x80000000, v54
	v_xor_b32_e32 v22, v54, v22
	v_or_b32_e32 v54, 0x80000000, v55
	v_xor_b32_e32 v23, v64, v23
	v_xor_b32_e32 v35, v54, v35
	;; [unrolled: 1-line block ×3, first 2 shown]
	v_cmp_le_u64_e64 s[8:9], v[22:23], v[34:35]
	s_and_b64 s[56:57], s[8:9], exec
.LBB1132_153:
	s_or_b64 exec, exec, s[42:43]
	s_orn2_b64 s[42:43], s[56:57], exec
.LBB1132_154:
	s_or_b64 exec, exec, s[46:47]
	v_cndmask_b32_e64 v22, v20, v21, s[42:43]
	v_cndmask_b32_e64 v23, v83, v82, s[42:43]
	v_add_u32_e32 v64, 1, v22
	v_add_u32_e32 v23, -1, v23
	v_min_u32_e32 v23, v64, v23
	v_lshl_add_u32 v23, v23, 3, v71
	ds_read_b64 v[54:55], v23
	v_lshl_add_u32 v22, v22, 3, v71
	ds_read_b64 v[22:23], v22 offset:16384
	v_cndmask_b32_e64 v84, v64, v20, s[42:43]
	v_cndmask_b32_e64 v85, v21, v64, s[42:43]
	s_waitcnt lgkmcnt(1)
	v_cndmask_b32_e64 v35, v55, v25, s[42:43]
	v_cndmask_b32_e64 v34, v54, v24, s[42:43]
	;; [unrolled: 1-line block ×4, first 2 shown]
	v_cmp_lt_u32_e64 s[8:9], v84, v83
	s_and_saveexec_b64 s[46:47], s[8:9]
	s_cbranch_execz .LBB1132_158
; %bb.155:
	v_cmp_lt_u32_e64 s[8:9], v85, v82
	s_mov_b64 s[56:57], 0
	s_and_saveexec_b64 s[44:45], s[8:9]
	s_cbranch_execz .LBB1132_157
; %bb.156:
	v_add_f64 v[20:21], v[34:35], 0
	v_add_f64 v[64:65], v[54:55], 0
	v_ashrrev_i32_e32 v66, 31, v21
	v_ashrrev_i32_e32 v67, 31, v65
	v_or_b32_e32 v86, 0x80000000, v66
	v_xor_b32_e32 v20, v66, v20
	v_or_b32_e32 v66, 0x80000000, v67
	v_xor_b32_e32 v21, v86, v21
	v_xor_b32_e32 v65, v66, v65
	;; [unrolled: 1-line block ×3, first 2 shown]
	v_cmp_le_u64_e64 s[8:9], v[20:21], v[64:65]
	s_and_b64 s[56:57], s[8:9], exec
.LBB1132_157:
	s_or_b64 exec, exec, s[44:45]
	s_orn2_b64 s[44:45], s[56:57], exec
.LBB1132_158:
	s_or_b64 exec, exec, s[46:47]
	v_cndmask_b32_e64 v20, v84, v85, s[44:45]
	v_cndmask_b32_e64 v21, v83, v82, s[44:45]
	v_add_u32_e32 v86, 1, v20
	v_add_u32_e32 v21, -1, v21
	v_min_u32_e32 v21, v86, v21
	v_lshl_add_u32 v21, v21, 3, v71
	ds_read_b64 v[66:67], v21
	v_lshl_add_u32 v20, v20, 3, v71
	ds_read_b64 v[20:21], v20 offset:16384
	v_cndmask_b32_e64 v84, v86, v84, s[44:45]
	v_cndmask_b32_e64 v85, v85, v86, s[44:45]
	s_waitcnt lgkmcnt(1)
	v_cndmask_b32_e64 v65, v67, v35, s[44:45]
	v_cndmask_b32_e64 v64, v66, v34, s[44:45]
	;; [unrolled: 1-line block ×4, first 2 shown]
	v_cmp_lt_u32_e64 s[8:9], v84, v83
	s_mov_b64 s[46:47], -1
	s_and_saveexec_b64 s[56:57], s[8:9]
	s_cbranch_execz .LBB1132_162
; %bb.159:
	v_cmp_lt_u32_e64 s[8:9], v85, v82
	s_mov_b64 s[58:59], 0
	s_and_saveexec_b64 s[46:47], s[8:9]
	s_cbranch_execz .LBB1132_161
; %bb.160:
	v_add_f64 v[82:83], v[64:65], 0
	v_add_f64 v[86:87], v[66:67], 0
	v_ashrrev_i32_e32 v96, 31, v83
	v_ashrrev_i32_e32 v97, 31, v87
	v_or_b32_e32 v98, 0x80000000, v96
	v_xor_b32_e32 v82, v96, v82
	v_or_b32_e32 v96, 0x80000000, v97
	v_xor_b32_e32 v83, v98, v83
	v_xor_b32_e32 v87, v96, v87
	v_xor_b32_e32 v86, v97, v86
	v_cmp_le_u64_e64 s[8:9], v[82:83], v[86:87]
	s_and_b64 s[58:59], s[8:9], exec
.LBB1132_161:
	s_or_b64 exec, exec, s[46:47]
	s_orn2_b64 s[46:47], s[58:59], exec
.LBB1132_162:
	s_or_b64 exec, exec, s[56:57]
	v_cndmask_b32_e64 v32, v30, v32, s[12:13]
	v_cndmask_b32_e64 v30, v84, v85, s[46:47]
	v_lshl_add_u32 v30, v30, 3, v71
	v_cndmask_b32_e64 v29, v29, v39, s[26:27]
	v_cndmask_b32_e64 v28, v28, v38, s[26:27]
	ds_read_b64 v[38:39], v30 offset:16384
	v_cndmask_b32_e64 v35, v35, v55, s[44:45]
	v_cndmask_b32_e64 v34, v34, v54, s[44:45]
	;; [unrolled: 1-line block ×13, first 2 shown]
.LBB1132_163:
	s_or_b64 exec, exec, s[22:23]
	v_add_u32_e32 v30, 0x4000, v81
	; wave barrier
	ds_write2_b64 v81, v[16:17], v[32:33] offset1:1
	ds_write2_b64 v30, v[0:1], v[4:5] offset1:1
	v_add_u32_e32 v30, 0x4010, v81
	ds_write2_b64 v81, v[28:29], v[36:37] offset0:2 offset1:3
	ds_write2_b64 v30, v[10:11], v[12:13] offset1:1
	v_add_u32_e32 v30, 0x4020, v81
	ds_write2_b64 v81, v[26:27], v[24:25] offset0:4 offset1:5
	ds_write2_b64 v30, v[14:15], v[22:23] offset1:1
	v_add_u32_e32 v30, 0x4030, v81
	v_and_b32_e32 v48, 0x3c0, v70
	ds_write2_b64 v81, v[34:35], v[18:19] offset0:6 offset1:7
	s_waitcnt lgkmcnt(7)
	ds_write2_b64 v30, v[20:21], v[38:39] offset1:1
	v_or_b32_e32 v30, 32, v48
	v_min_u32_e32 v82, v80, v30
	v_add_u32_e32 v30, 32, v82
	v_min_u32_e32 v83, v80, v30
	v_and_b32_e32 v30, 56, v70
	v_min_u32_e32 v49, v80, v30
	v_sub_u32_e32 v50, v82, v48
	v_sub_u32_e32 v31, v83, v82
	v_sub_u32_e64 v31, v49, v31 clamp
	v_min_u32_e32 v50, v49, v50
	v_lshl_add_u32 v30, v48, 3, v71
	v_cmp_lt_u32_e64 s[8:9], v31, v50
	; wave barrier
	s_and_saveexec_b64 s[12:13], s[8:9]
	s_cbranch_execz .LBB1132_167
; %bb.164:
	v_lshlrev_b32_e32 v51, 3, v82
	v_lshlrev_b32_e32 v52, 3, v49
	v_add3_u32 v51, v71, v51, v52
	s_mov_b64 s[22:23], 0
.LBB1132_165:                           ; =>This Inner Loop Header: Depth=1
	v_add_u32_e32 v52, v50, v31
	v_lshrrev_b32_e32 v64, 1, v52
	v_not_b32_e32 v52, v64
	v_lshl_add_u32 v53, v64, 3, v30
	v_lshl_add_u32 v54, v52, 3, v51
	ds_read_b64 v[52:53], v53
	ds_read_b64 v[54:55], v54
	v_add_u32_e32 v65, 1, v64
	s_waitcnt lgkmcnt(1)
	v_add_f64 v[52:53], v[52:53], 0
	s_waitcnt lgkmcnt(0)
	v_add_f64 v[54:55], v[54:55], 0
	v_ashrrev_i32_e32 v66, 31, v53
	v_ashrrev_i32_e32 v67, 31, v55
	v_or_b32_e32 v84, 0x80000000, v66
	v_xor_b32_e32 v52, v66, v52
	v_or_b32_e32 v66, 0x80000000, v67
	v_xor_b32_e32 v54, v67, v54
	v_xor_b32_e32 v53, v84, v53
	;; [unrolled: 1-line block ×3, first 2 shown]
	v_cmp_gt_u64_e64 s[8:9], v[54:55], v[52:53]
	v_cndmask_b32_e64 v50, v50, v64, s[8:9]
	v_cndmask_b32_e64 v31, v65, v31, s[8:9]
	v_cmp_ge_u32_e64 s[8:9], v31, v50
	s_or_b64 s[22:23], s[8:9], s[22:23]
	s_andn2_b64 exec, exec, s[22:23]
	s_cbranch_execnz .LBB1132_165
; %bb.166:
	s_or_b64 exec, exec, s[22:23]
.LBB1132_167:
	s_or_b64 exec, exec, s[12:13]
	v_add_u32_e32 v49, v82, v49
	v_add_u32_e32 v48, v31, v48
	v_sub_u32_e32 v49, v49, v31
	v_cmp_le_u32_e64 s[8:9], v48, v82
	v_cmp_le_u32_e64 s[12:13], v49, v83
	s_or_b64 s[8:9], s[8:9], s[12:13]
	s_and_saveexec_b64 s[22:23], s[8:9]
	s_cbranch_execz .LBB1132_203
; %bb.168:
	v_cmp_ge_u32_e64 s[8:9], v48, v82
	v_cmp_lt_u32_e64 s[12:13], v48, v82
                                        ; implicit-def: $vgpr16_vgpr17
	s_and_saveexec_b64 s[24:25], s[12:13]
; %bb.169:
	v_lshl_add_u32 v0, v31, 3, v30
	ds_read_b64 v[16:17], v0
; %bb.170:
	s_or_b64 exec, exec, s[24:25]
	v_cmp_ge_u32_e64 s[24:25], v49, v83
	v_cmp_lt_u32_e64 s[12:13], v49, v83
                                        ; implicit-def: $vgpr18_vgpr19
	s_and_saveexec_b64 s[26:27], s[12:13]
; %bb.171:
	v_lshl_add_u32 v0, v49, 3, v71
	ds_read_b64 v[18:19], v0
; %bb.172:
	s_or_b64 exec, exec, s[26:27]
	s_nor_b64 s[8:9], s[8:9], s[24:25]
	s_and_saveexec_b64 s[12:13], s[8:9]
	s_cbranch_execz .LBB1132_174
; %bb.173:
	s_waitcnt lgkmcnt(0)
	v_add_f64 v[0:1], v[18:19], 0
	v_add_f64 v[4:5], v[16:17], 0
	s_andn2_b64 s[24:25], s[24:25], exec
	v_ashrrev_i32_e32 v10, 31, v1
	v_ashrrev_i32_e32 v11, 31, v5
	v_or_b32_e32 v12, 0x80000000, v10
	v_xor_b32_e32 v0, v10, v0
	v_or_b32_e32 v10, 0x80000000, v11
	v_xor_b32_e32 v1, v12, v1
	v_xor_b32_e32 v5, v10, v5
	v_xor_b32_e32 v4, v11, v4
	v_cmp_le_u64_e64 s[8:9], v[0:1], v[4:5]
	s_and_b64 s[8:9], s[8:9], exec
	s_or_b64 s[24:25], s[24:25], s[8:9]
.LBB1132_174:
	s_or_b64 exec, exec, s[12:13]
	v_cndmask_b32_e64 v0, v49, v48, s[24:25]
	v_cndmask_b32_e64 v1, v83, v82, s[24:25]
	v_add_u32_e32 v11, 1, v0
	v_add_u32_e32 v1, -1, v1
	v_min_u32_e32 v1, v11, v1
	v_lshl_add_u32 v1, v1, 3, v71
	ds_read_b64 v[4:5], v1
	v_lshl_add_u32 v0, v0, 3, v71
	ds_read_b64 v[0:1], v0 offset:16384
	v_cndmask_b32_e64 v10, v11, v49, s[24:25]
	v_cndmask_b32_e64 v11, v48, v11, s[24:25]
	s_waitcnt lgkmcnt(1)
	v_cndmask_b32_e64 v31, v5, v19, s[24:25]
	v_cndmask_b32_e64 v30, v4, v18, s[24:25]
	;; [unrolled: 1-line block ×4, first 2 shown]
	v_cmp_lt_u32_e64 s[8:9], v10, v83
	s_mov_b64 s[26:27], -1
	s_mov_b64 s[12:13], -1
	s_and_saveexec_b64 s[28:29], s[8:9]
	s_cbranch_execz .LBB1132_178
; %bb.175:
	v_cmp_lt_u32_e64 s[8:9], v11, v82
	s_mov_b64 s[40:41], 0
	s_and_saveexec_b64 s[12:13], s[8:9]
	s_cbranch_execz .LBB1132_177
; %bb.176:
	v_add_f64 v[4:5], v[30:31], 0
	v_add_f64 v[12:13], v[32:33], 0
	v_ashrrev_i32_e32 v14, 31, v5
	v_ashrrev_i32_e32 v15, 31, v13
	v_or_b32_e32 v20, 0x80000000, v14
	v_xor_b32_e32 v4, v14, v4
	v_or_b32_e32 v14, 0x80000000, v15
	v_xor_b32_e32 v5, v20, v5
	v_xor_b32_e32 v13, v14, v13
	;; [unrolled: 1-line block ×3, first 2 shown]
	v_cmp_le_u64_e64 s[8:9], v[4:5], v[12:13]
	s_and_b64 s[40:41], s[8:9], exec
.LBB1132_177:
	s_or_b64 exec, exec, s[12:13]
	s_orn2_b64 s[12:13], s[40:41], exec
.LBB1132_178:
	s_or_b64 exec, exec, s[28:29]
	v_cndmask_b32_e64 v4, v10, v11, s[12:13]
	v_cndmask_b32_e64 v5, v83, v82, s[12:13]
	v_add_u32_e32 v14, 1, v4
	v_add_u32_e32 v5, -1, v5
	v_min_u32_e32 v5, v14, v5
	v_lshl_add_u32 v5, v5, 3, v71
	ds_read_b64 v[12:13], v5
	v_lshl_add_u32 v4, v4, 3, v71
	ds_read_b64 v[4:5], v4 offset:16384
	s_waitcnt lgkmcnt(1)
	v_cndmask_b32_e64 v28, v12, v30, s[12:13]
	v_cndmask_b32_e64 v38, v32, v12, s[12:13]
	;; [unrolled: 1-line block ×6, first 2 shown]
	v_cmp_lt_u32_e64 s[8:9], v12, v83
	s_and_saveexec_b64 s[28:29], s[8:9]
	s_cbranch_execz .LBB1132_182
; %bb.179:
	v_cmp_lt_u32_e64 s[8:9], v13, v82
	s_mov_b64 s[40:41], 0
	s_and_saveexec_b64 s[26:27], s[8:9]
	s_cbranch_execz .LBB1132_181
; %bb.180:
	v_add_f64 v[10:11], v[28:29], 0
	v_add_f64 v[14:15], v[38:39], 0
	v_ashrrev_i32_e32 v20, 31, v11
	v_ashrrev_i32_e32 v21, 31, v15
	v_or_b32_e32 v22, 0x80000000, v20
	v_xor_b32_e32 v10, v20, v10
	v_or_b32_e32 v20, 0x80000000, v21
	v_xor_b32_e32 v11, v22, v11
	v_xor_b32_e32 v15, v20, v15
	;; [unrolled: 1-line block ×3, first 2 shown]
	v_cmp_le_u64_e64 s[8:9], v[10:11], v[14:15]
	s_and_b64 s[40:41], s[8:9], exec
.LBB1132_181:
	s_or_b64 exec, exec, s[26:27]
	s_orn2_b64 s[26:27], s[40:41], exec
.LBB1132_182:
	s_or_b64 exec, exec, s[28:29]
	v_cndmask_b32_e64 v10, v12, v13, s[26:27]
	v_cndmask_b32_e64 v11, v83, v82, s[26:27]
	v_add_u32_e32 v20, 1, v10
	v_add_u32_e32 v11, -1, v11
	v_min_u32_e32 v11, v20, v11
	v_lshl_add_u32 v11, v11, 3, v71
	ds_read_b64 v[14:15], v11
	v_lshl_add_u32 v10, v10, 3, v71
	ds_read_b64 v[10:11], v10 offset:16384
	s_mov_b64 s[40:41], -1
	s_mov_b64 s[28:29], -1
	s_waitcnt lgkmcnt(1)
	v_cndmask_b32_e64 v36, v14, v28, s[26:27]
	v_cndmask_b32_e64 v48, v38, v14, s[26:27]
	;; [unrolled: 1-line block ×6, first 2 shown]
	v_cmp_lt_u32_e64 s[8:9], v14, v83
	s_and_saveexec_b64 s[42:43], s[8:9]
	s_cbranch_execz .LBB1132_186
; %bb.183:
	v_cmp_lt_u32_e64 s[8:9], v15, v82
	s_mov_b64 s[44:45], 0
	s_and_saveexec_b64 s[28:29], s[8:9]
	s_cbranch_execz .LBB1132_185
; %bb.184:
	v_add_f64 v[12:13], v[36:37], 0
	v_add_f64 v[20:21], v[48:49], 0
	v_ashrrev_i32_e32 v22, 31, v13
	v_ashrrev_i32_e32 v23, 31, v21
	v_or_b32_e32 v24, 0x80000000, v22
	v_xor_b32_e32 v12, v22, v12
	v_or_b32_e32 v22, 0x80000000, v23
	v_xor_b32_e32 v13, v24, v13
	v_xor_b32_e32 v21, v22, v21
	;; [unrolled: 1-line block ×3, first 2 shown]
	v_cmp_le_u64_e64 s[8:9], v[12:13], v[20:21]
	s_and_b64 s[44:45], s[8:9], exec
.LBB1132_185:
	s_or_b64 exec, exec, s[28:29]
	s_orn2_b64 s[28:29], s[44:45], exec
.LBB1132_186:
	s_or_b64 exec, exec, s[42:43]
	v_cndmask_b32_e64 v12, v14, v15, s[28:29]
	v_cndmask_b32_e64 v13, v83, v82, s[28:29]
	v_add_u32_e32 v22, 1, v12
	v_add_u32_e32 v13, -1, v13
	v_min_u32_e32 v13, v22, v13
	v_lshl_add_u32 v13, v13, 3, v71
	ds_read_b64 v[20:21], v13
	v_lshl_add_u32 v12, v12, 3, v71
	ds_read_b64 v[12:13], v12 offset:16384
	s_waitcnt lgkmcnt(1)
	v_cndmask_b32_e64 v26, v20, v36, s[28:29]
	v_cndmask_b32_e64 v50, v48, v20, s[28:29]
	;; [unrolled: 1-line block ×6, first 2 shown]
	v_cmp_lt_u32_e64 s[8:9], v20, v83
	s_and_saveexec_b64 s[42:43], s[8:9]
	s_cbranch_execz .LBB1132_190
; %bb.187:
	v_cmp_lt_u32_e64 s[8:9], v21, v82
	s_mov_b64 s[44:45], 0
	s_and_saveexec_b64 s[40:41], s[8:9]
	s_cbranch_execz .LBB1132_189
; %bb.188:
	v_add_f64 v[14:15], v[26:27], 0
	v_add_f64 v[22:23], v[50:51], 0
	v_ashrrev_i32_e32 v24, 31, v15
	v_ashrrev_i32_e32 v25, 31, v23
	v_or_b32_e32 v34, 0x80000000, v24
	v_xor_b32_e32 v14, v24, v14
	v_or_b32_e32 v24, 0x80000000, v25
	v_xor_b32_e32 v15, v34, v15
	v_xor_b32_e32 v23, v24, v23
	;; [unrolled: 1-line block ×3, first 2 shown]
	v_cmp_le_u64_e64 s[8:9], v[14:15], v[22:23]
	s_and_b64 s[44:45], s[8:9], exec
.LBB1132_189:
	s_or_b64 exec, exec, s[40:41]
	s_orn2_b64 s[40:41], s[44:45], exec
.LBB1132_190:
	s_or_b64 exec, exec, s[42:43]
	v_cndmask_b32_e64 v14, v20, v21, s[40:41]
	v_cndmask_b32_e64 v15, v83, v82, s[40:41]
	v_add_u32_e32 v34, 1, v14
	v_add_u32_e32 v15, -1, v15
	v_min_u32_e32 v15, v34, v15
	v_lshl_add_u32 v15, v15, 3, v71
	ds_read_b64 v[22:23], v15
	v_lshl_add_u32 v14, v14, 3, v71
	ds_read_b64 v[14:15], v14 offset:16384
	v_cndmask_b32_e64 v20, v34, v20, s[40:41]
	v_cndmask_b32_e64 v21, v21, v34, s[40:41]
	s_waitcnt lgkmcnt(1)
	v_cndmask_b32_e64 v25, v23, v27, s[40:41]
	v_cndmask_b32_e64 v24, v22, v26, s[40:41]
	;; [unrolled: 1-line block ×4, first 2 shown]
	v_cmp_lt_u32_e64 s[8:9], v20, v83
	s_mov_b64 s[44:45], -1
	s_mov_b64 s[42:43], -1
	s_and_saveexec_b64 s[46:47], s[8:9]
	s_cbranch_execz .LBB1132_194
; %bb.191:
	v_cmp_lt_u32_e64 s[8:9], v21, v82
	s_mov_b64 s[56:57], 0
	s_and_saveexec_b64 s[42:43], s[8:9]
	s_cbranch_execz .LBB1132_193
; %bb.192:
	v_add_f64 v[22:23], v[24:25], 0
	v_add_f64 v[34:35], v[52:53], 0
	v_ashrrev_i32_e32 v54, 31, v23
	v_ashrrev_i32_e32 v55, 31, v35
	v_or_b32_e32 v64, 0x80000000, v54
	v_xor_b32_e32 v22, v54, v22
	v_or_b32_e32 v54, 0x80000000, v55
	v_xor_b32_e32 v23, v64, v23
	v_xor_b32_e32 v35, v54, v35
	;; [unrolled: 1-line block ×3, first 2 shown]
	v_cmp_le_u64_e64 s[8:9], v[22:23], v[34:35]
	s_and_b64 s[56:57], s[8:9], exec
.LBB1132_193:
	s_or_b64 exec, exec, s[42:43]
	s_orn2_b64 s[42:43], s[56:57], exec
.LBB1132_194:
	s_or_b64 exec, exec, s[46:47]
	v_cndmask_b32_e64 v22, v20, v21, s[42:43]
	v_cndmask_b32_e64 v23, v83, v82, s[42:43]
	v_add_u32_e32 v64, 1, v22
	v_add_u32_e32 v23, -1, v23
	v_min_u32_e32 v23, v64, v23
	v_lshl_add_u32 v23, v23, 3, v71
	ds_read_b64 v[54:55], v23
	v_lshl_add_u32 v22, v22, 3, v71
	ds_read_b64 v[22:23], v22 offset:16384
	v_cndmask_b32_e64 v84, v64, v20, s[42:43]
	v_cndmask_b32_e64 v85, v21, v64, s[42:43]
	s_waitcnt lgkmcnt(1)
	v_cndmask_b32_e64 v35, v55, v25, s[42:43]
	v_cndmask_b32_e64 v34, v54, v24, s[42:43]
	;; [unrolled: 1-line block ×4, first 2 shown]
	v_cmp_lt_u32_e64 s[8:9], v84, v83
	s_and_saveexec_b64 s[46:47], s[8:9]
	s_cbranch_execz .LBB1132_198
; %bb.195:
	v_cmp_lt_u32_e64 s[8:9], v85, v82
	s_mov_b64 s[56:57], 0
	s_and_saveexec_b64 s[44:45], s[8:9]
	s_cbranch_execz .LBB1132_197
; %bb.196:
	v_add_f64 v[20:21], v[34:35], 0
	v_add_f64 v[64:65], v[54:55], 0
	v_ashrrev_i32_e32 v66, 31, v21
	v_ashrrev_i32_e32 v67, 31, v65
	v_or_b32_e32 v86, 0x80000000, v66
	v_xor_b32_e32 v20, v66, v20
	v_or_b32_e32 v66, 0x80000000, v67
	v_xor_b32_e32 v21, v86, v21
	v_xor_b32_e32 v65, v66, v65
	v_xor_b32_e32 v64, v67, v64
	v_cmp_le_u64_e64 s[8:9], v[20:21], v[64:65]
	s_and_b64 s[56:57], s[8:9], exec
.LBB1132_197:
	s_or_b64 exec, exec, s[44:45]
	s_orn2_b64 s[44:45], s[56:57], exec
.LBB1132_198:
	s_or_b64 exec, exec, s[46:47]
	v_cndmask_b32_e64 v20, v84, v85, s[44:45]
	v_cndmask_b32_e64 v21, v83, v82, s[44:45]
	v_add_u32_e32 v86, 1, v20
	v_add_u32_e32 v21, -1, v21
	v_min_u32_e32 v21, v86, v21
	v_lshl_add_u32 v21, v21, 3, v71
	ds_read_b64 v[66:67], v21
	v_lshl_add_u32 v20, v20, 3, v71
	ds_read_b64 v[20:21], v20 offset:16384
	v_cndmask_b32_e64 v84, v86, v84, s[44:45]
	v_cndmask_b32_e64 v85, v85, v86, s[44:45]
	s_waitcnt lgkmcnt(1)
	v_cndmask_b32_e64 v65, v67, v35, s[44:45]
	v_cndmask_b32_e64 v64, v66, v34, s[44:45]
	;; [unrolled: 1-line block ×4, first 2 shown]
	v_cmp_lt_u32_e64 s[8:9], v84, v83
	s_mov_b64 s[46:47], -1
	s_and_saveexec_b64 s[56:57], s[8:9]
	s_cbranch_execz .LBB1132_202
; %bb.199:
	v_cmp_lt_u32_e64 s[8:9], v85, v82
	s_mov_b64 s[58:59], 0
	s_and_saveexec_b64 s[46:47], s[8:9]
	s_cbranch_execz .LBB1132_201
; %bb.200:
	v_add_f64 v[82:83], v[64:65], 0
	v_add_f64 v[86:87], v[66:67], 0
	v_ashrrev_i32_e32 v96, 31, v83
	v_ashrrev_i32_e32 v97, 31, v87
	v_or_b32_e32 v98, 0x80000000, v96
	v_xor_b32_e32 v82, v96, v82
	v_or_b32_e32 v96, 0x80000000, v97
	v_xor_b32_e32 v83, v98, v83
	v_xor_b32_e32 v87, v96, v87
	;; [unrolled: 1-line block ×3, first 2 shown]
	v_cmp_le_u64_e64 s[8:9], v[82:83], v[86:87]
	s_and_b64 s[58:59], s[8:9], exec
.LBB1132_201:
	s_or_b64 exec, exec, s[46:47]
	s_orn2_b64 s[46:47], s[58:59], exec
.LBB1132_202:
	s_or_b64 exec, exec, s[56:57]
	v_cndmask_b32_e64 v32, v30, v32, s[12:13]
	v_cndmask_b32_e64 v30, v84, v85, s[46:47]
	v_lshl_add_u32 v30, v30, 3, v71
	v_cndmask_b32_e64 v29, v29, v39, s[26:27]
	v_cndmask_b32_e64 v28, v28, v38, s[26:27]
	ds_read_b64 v[38:39], v30 offset:16384
	v_cndmask_b32_e64 v35, v35, v55, s[44:45]
	v_cndmask_b32_e64 v34, v34, v54, s[44:45]
	;; [unrolled: 1-line block ×13, first 2 shown]
.LBB1132_203:
	s_or_b64 exec, exec, s[22:23]
	v_add_u32_e32 v30, 0x4000, v81
	; wave barrier
	ds_write2_b64 v81, v[16:17], v[32:33] offset1:1
	ds_write2_b64 v30, v[0:1], v[4:5] offset1:1
	v_add_u32_e32 v30, 0x4010, v81
	ds_write2_b64 v81, v[28:29], v[36:37] offset0:2 offset1:3
	ds_write2_b64 v30, v[10:11], v[12:13] offset1:1
	v_add_u32_e32 v30, 0x4020, v81
	ds_write2_b64 v81, v[26:27], v[24:25] offset0:4 offset1:5
	ds_write2_b64 v30, v[14:15], v[22:23] offset1:1
	v_add_u32_e32 v30, 0x4030, v81
	v_and_b32_e32 v48, 0x380, v70
	ds_write2_b64 v81, v[34:35], v[18:19] offset0:6 offset1:7
	s_waitcnt lgkmcnt(7)
	ds_write2_b64 v30, v[20:21], v[38:39] offset1:1
	v_or_b32_e32 v30, 64, v48
	v_min_u32_e32 v70, v80, v30
	v_add_u32_e32 v30, 64, v70
	v_min_u32_e32 v81, v80, v30
	v_min_u32_e32 v49, v80, v69
	v_sub_u32_e32 v50, v70, v48
	v_sub_u32_e32 v31, v81, v70
	v_sub_u32_e64 v31, v49, v31 clamp
	v_min_u32_e32 v50, v49, v50
	v_lshl_add_u32 v30, v48, 3, v71
	v_cmp_lt_u32_e64 s[8:9], v31, v50
	; wave barrier
	s_and_saveexec_b64 s[12:13], s[8:9]
	s_cbranch_execz .LBB1132_207
; %bb.204:
	v_lshlrev_b32_e32 v51, 3, v70
	v_lshlrev_b32_e32 v52, 3, v49
	v_add3_u32 v51, v71, v51, v52
	s_mov_b64 s[22:23], 0
.LBB1132_205:                           ; =>This Inner Loop Header: Depth=1
	v_add_u32_e32 v52, v50, v31
	v_lshrrev_b32_e32 v64, 1, v52
	v_not_b32_e32 v52, v64
	v_lshl_add_u32 v53, v64, 3, v30
	v_lshl_add_u32 v54, v52, 3, v51
	ds_read_b64 v[52:53], v53
	ds_read_b64 v[54:55], v54
	v_add_u32_e32 v65, 1, v64
	s_waitcnt lgkmcnt(1)
	v_add_f64 v[52:53], v[52:53], 0
	s_waitcnt lgkmcnt(0)
	v_add_f64 v[54:55], v[54:55], 0
	v_ashrrev_i32_e32 v66, 31, v53
	v_ashrrev_i32_e32 v67, 31, v55
	v_or_b32_e32 v69, 0x80000000, v66
	v_xor_b32_e32 v52, v66, v52
	v_or_b32_e32 v66, 0x80000000, v67
	v_xor_b32_e32 v54, v67, v54
	v_xor_b32_e32 v53, v69, v53
	;; [unrolled: 1-line block ×3, first 2 shown]
	v_cmp_gt_u64_e64 s[8:9], v[54:55], v[52:53]
	v_cndmask_b32_e64 v50, v50, v64, s[8:9]
	v_cndmask_b32_e64 v31, v65, v31, s[8:9]
	v_cmp_ge_u32_e64 s[8:9], v31, v50
	s_or_b64 s[22:23], s[8:9], s[22:23]
	s_andn2_b64 exec, exec, s[22:23]
	s_cbranch_execnz .LBB1132_205
; %bb.206:
	s_or_b64 exec, exec, s[22:23]
.LBB1132_207:
	s_or_b64 exec, exec, s[12:13]
	v_add_u32_e32 v49, v70, v49
	v_add_u32_e32 v48, v31, v48
	v_sub_u32_e32 v49, v49, v31
	v_cmp_le_u32_e64 s[8:9], v48, v70
	v_cmp_le_u32_e64 s[12:13], v49, v81
	s_or_b64 s[8:9], s[8:9], s[12:13]
	s_and_saveexec_b64 s[22:23], s[8:9]
	s_cbranch_execz .LBB1132_243
; %bb.208:
	v_cmp_ge_u32_e64 s[8:9], v48, v70
	v_cmp_lt_u32_e64 s[12:13], v48, v70
                                        ; implicit-def: $vgpr16_vgpr17
	s_and_saveexec_b64 s[24:25], s[12:13]
; %bb.209:
	v_lshl_add_u32 v0, v31, 3, v30
	ds_read_b64 v[16:17], v0
; %bb.210:
	s_or_b64 exec, exec, s[24:25]
	v_cmp_ge_u32_e64 s[24:25], v49, v81
	v_cmp_lt_u32_e64 s[12:13], v49, v81
                                        ; implicit-def: $vgpr18_vgpr19
	s_and_saveexec_b64 s[26:27], s[12:13]
; %bb.211:
	v_lshl_add_u32 v0, v49, 3, v71
	ds_read_b64 v[18:19], v0
; %bb.212:
	s_or_b64 exec, exec, s[26:27]
	s_nor_b64 s[8:9], s[8:9], s[24:25]
	s_and_saveexec_b64 s[12:13], s[8:9]
	s_cbranch_execz .LBB1132_214
; %bb.213:
	s_waitcnt lgkmcnt(0)
	v_add_f64 v[0:1], v[18:19], 0
	v_add_f64 v[4:5], v[16:17], 0
	s_andn2_b64 s[24:25], s[24:25], exec
	v_ashrrev_i32_e32 v10, 31, v1
	v_ashrrev_i32_e32 v11, 31, v5
	v_or_b32_e32 v12, 0x80000000, v10
	v_xor_b32_e32 v0, v10, v0
	v_or_b32_e32 v10, 0x80000000, v11
	v_xor_b32_e32 v1, v12, v1
	v_xor_b32_e32 v5, v10, v5
	;; [unrolled: 1-line block ×3, first 2 shown]
	v_cmp_le_u64_e64 s[8:9], v[0:1], v[4:5]
	s_and_b64 s[8:9], s[8:9], exec
	s_or_b64 s[24:25], s[24:25], s[8:9]
.LBB1132_214:
	s_or_b64 exec, exec, s[12:13]
	v_cndmask_b32_e64 v0, v49, v48, s[24:25]
	v_cndmask_b32_e64 v1, v81, v70, s[24:25]
	v_add_u32_e32 v11, 1, v0
	v_add_u32_e32 v1, -1, v1
	v_min_u32_e32 v1, v11, v1
	v_lshl_add_u32 v1, v1, 3, v71
	ds_read_b64 v[4:5], v1
	v_lshl_add_u32 v0, v0, 3, v71
	ds_read_b64 v[0:1], v0 offset:16384
	v_cndmask_b32_e64 v10, v11, v49, s[24:25]
	v_cndmask_b32_e64 v11, v48, v11, s[24:25]
	s_waitcnt lgkmcnt(1)
	v_cndmask_b32_e64 v31, v5, v19, s[24:25]
	v_cndmask_b32_e64 v30, v4, v18, s[24:25]
	;; [unrolled: 1-line block ×4, first 2 shown]
	v_cmp_lt_u32_e64 s[8:9], v10, v81
	s_mov_b64 s[26:27], -1
	s_mov_b64 s[12:13], -1
	s_and_saveexec_b64 s[28:29], s[8:9]
	s_cbranch_execz .LBB1132_218
; %bb.215:
	v_cmp_lt_u32_e64 s[8:9], v11, v70
	s_mov_b64 s[40:41], 0
	s_and_saveexec_b64 s[12:13], s[8:9]
	s_cbranch_execz .LBB1132_217
; %bb.216:
	v_add_f64 v[4:5], v[30:31], 0
	v_add_f64 v[12:13], v[32:33], 0
	v_ashrrev_i32_e32 v14, 31, v5
	v_ashrrev_i32_e32 v15, 31, v13
	v_or_b32_e32 v20, 0x80000000, v14
	v_xor_b32_e32 v4, v14, v4
	v_or_b32_e32 v14, 0x80000000, v15
	v_xor_b32_e32 v5, v20, v5
	v_xor_b32_e32 v13, v14, v13
	;; [unrolled: 1-line block ×3, first 2 shown]
	v_cmp_le_u64_e64 s[8:9], v[4:5], v[12:13]
	s_and_b64 s[40:41], s[8:9], exec
.LBB1132_217:
	s_or_b64 exec, exec, s[12:13]
	s_orn2_b64 s[12:13], s[40:41], exec
.LBB1132_218:
	s_or_b64 exec, exec, s[28:29]
	v_cndmask_b32_e64 v4, v10, v11, s[12:13]
	v_cndmask_b32_e64 v5, v81, v70, s[12:13]
	v_add_u32_e32 v14, 1, v4
	v_add_u32_e32 v5, -1, v5
	v_min_u32_e32 v5, v14, v5
	v_lshl_add_u32 v5, v5, 3, v71
	ds_read_b64 v[12:13], v5
	v_lshl_add_u32 v4, v4, 3, v71
	ds_read_b64 v[4:5], v4 offset:16384
	s_waitcnt lgkmcnt(1)
	v_cndmask_b32_e64 v28, v12, v30, s[12:13]
	v_cndmask_b32_e64 v38, v32, v12, s[12:13]
	;; [unrolled: 1-line block ×6, first 2 shown]
	v_cmp_lt_u32_e64 s[8:9], v12, v81
	s_and_saveexec_b64 s[28:29], s[8:9]
	s_cbranch_execz .LBB1132_222
; %bb.219:
	v_cmp_lt_u32_e64 s[8:9], v13, v70
	s_mov_b64 s[40:41], 0
	s_and_saveexec_b64 s[26:27], s[8:9]
	s_cbranch_execz .LBB1132_221
; %bb.220:
	v_add_f64 v[10:11], v[28:29], 0
	v_add_f64 v[14:15], v[38:39], 0
	v_ashrrev_i32_e32 v20, 31, v11
	v_ashrrev_i32_e32 v21, 31, v15
	v_or_b32_e32 v22, 0x80000000, v20
	v_xor_b32_e32 v10, v20, v10
	v_or_b32_e32 v20, 0x80000000, v21
	v_xor_b32_e32 v11, v22, v11
	v_xor_b32_e32 v15, v20, v15
	;; [unrolled: 1-line block ×3, first 2 shown]
	v_cmp_le_u64_e64 s[8:9], v[10:11], v[14:15]
	s_and_b64 s[40:41], s[8:9], exec
.LBB1132_221:
	s_or_b64 exec, exec, s[26:27]
	s_orn2_b64 s[26:27], s[40:41], exec
.LBB1132_222:
	s_or_b64 exec, exec, s[28:29]
	v_cndmask_b32_e64 v10, v12, v13, s[26:27]
	v_cndmask_b32_e64 v11, v81, v70, s[26:27]
	v_add_u32_e32 v20, 1, v10
	v_add_u32_e32 v11, -1, v11
	v_min_u32_e32 v11, v20, v11
	v_lshl_add_u32 v11, v11, 3, v71
	ds_read_b64 v[14:15], v11
	v_lshl_add_u32 v10, v10, 3, v71
	ds_read_b64 v[10:11], v10 offset:16384
	s_mov_b64 s[40:41], -1
	s_mov_b64 s[28:29], -1
	s_waitcnt lgkmcnt(1)
	v_cndmask_b32_e64 v36, v14, v28, s[26:27]
	v_cndmask_b32_e64 v48, v38, v14, s[26:27]
	;; [unrolled: 1-line block ×6, first 2 shown]
	v_cmp_lt_u32_e64 s[8:9], v14, v81
	s_and_saveexec_b64 s[42:43], s[8:9]
	s_cbranch_execz .LBB1132_226
; %bb.223:
	v_cmp_lt_u32_e64 s[8:9], v15, v70
	s_mov_b64 s[44:45], 0
	s_and_saveexec_b64 s[28:29], s[8:9]
	s_cbranch_execz .LBB1132_225
; %bb.224:
	v_add_f64 v[12:13], v[36:37], 0
	v_add_f64 v[20:21], v[48:49], 0
	v_ashrrev_i32_e32 v22, 31, v13
	v_ashrrev_i32_e32 v23, 31, v21
	v_or_b32_e32 v24, 0x80000000, v22
	v_xor_b32_e32 v12, v22, v12
	v_or_b32_e32 v22, 0x80000000, v23
	v_xor_b32_e32 v13, v24, v13
	v_xor_b32_e32 v21, v22, v21
	;; [unrolled: 1-line block ×3, first 2 shown]
	v_cmp_le_u64_e64 s[8:9], v[12:13], v[20:21]
	s_and_b64 s[44:45], s[8:9], exec
.LBB1132_225:
	s_or_b64 exec, exec, s[28:29]
	s_orn2_b64 s[28:29], s[44:45], exec
.LBB1132_226:
	s_or_b64 exec, exec, s[42:43]
	v_cndmask_b32_e64 v12, v14, v15, s[28:29]
	v_cndmask_b32_e64 v13, v81, v70, s[28:29]
	v_add_u32_e32 v22, 1, v12
	v_add_u32_e32 v13, -1, v13
	v_min_u32_e32 v13, v22, v13
	v_lshl_add_u32 v13, v13, 3, v71
	ds_read_b64 v[20:21], v13
	v_lshl_add_u32 v12, v12, 3, v71
	ds_read_b64 v[12:13], v12 offset:16384
	s_waitcnt lgkmcnt(1)
	v_cndmask_b32_e64 v26, v20, v36, s[28:29]
	v_cndmask_b32_e64 v50, v48, v20, s[28:29]
	;; [unrolled: 1-line block ×6, first 2 shown]
	v_cmp_lt_u32_e64 s[8:9], v20, v81
	s_and_saveexec_b64 s[42:43], s[8:9]
	s_cbranch_execz .LBB1132_230
; %bb.227:
	v_cmp_lt_u32_e64 s[8:9], v21, v70
	s_mov_b64 s[44:45], 0
	s_and_saveexec_b64 s[40:41], s[8:9]
	s_cbranch_execz .LBB1132_229
; %bb.228:
	v_add_f64 v[14:15], v[26:27], 0
	v_add_f64 v[22:23], v[50:51], 0
	v_ashrrev_i32_e32 v24, 31, v15
	v_ashrrev_i32_e32 v25, 31, v23
	v_or_b32_e32 v34, 0x80000000, v24
	v_xor_b32_e32 v14, v24, v14
	v_or_b32_e32 v24, 0x80000000, v25
	v_xor_b32_e32 v15, v34, v15
	v_xor_b32_e32 v23, v24, v23
	;; [unrolled: 1-line block ×3, first 2 shown]
	v_cmp_le_u64_e64 s[8:9], v[14:15], v[22:23]
	s_and_b64 s[44:45], s[8:9], exec
.LBB1132_229:
	s_or_b64 exec, exec, s[40:41]
	s_orn2_b64 s[40:41], s[44:45], exec
.LBB1132_230:
	s_or_b64 exec, exec, s[42:43]
	v_cndmask_b32_e64 v14, v20, v21, s[40:41]
	v_cndmask_b32_e64 v15, v81, v70, s[40:41]
	v_add_u32_e32 v34, 1, v14
	v_add_u32_e32 v15, -1, v15
	v_min_u32_e32 v15, v34, v15
	v_lshl_add_u32 v15, v15, 3, v71
	ds_read_b64 v[22:23], v15
	v_lshl_add_u32 v14, v14, 3, v71
	ds_read_b64 v[14:15], v14 offset:16384
	v_cndmask_b32_e64 v20, v34, v20, s[40:41]
	v_cndmask_b32_e64 v21, v21, v34, s[40:41]
	s_waitcnt lgkmcnt(1)
	v_cndmask_b32_e64 v25, v23, v27, s[40:41]
	v_cndmask_b32_e64 v24, v22, v26, s[40:41]
	;; [unrolled: 1-line block ×4, first 2 shown]
	v_cmp_lt_u32_e64 s[8:9], v20, v81
	s_mov_b64 s[44:45], -1
	s_mov_b64 s[42:43], -1
	s_and_saveexec_b64 s[46:47], s[8:9]
	s_cbranch_execz .LBB1132_234
; %bb.231:
	v_cmp_lt_u32_e64 s[8:9], v21, v70
	s_mov_b64 s[56:57], 0
	s_and_saveexec_b64 s[42:43], s[8:9]
	s_cbranch_execz .LBB1132_233
; %bb.232:
	v_add_f64 v[22:23], v[24:25], 0
	v_add_f64 v[34:35], v[52:53], 0
	v_ashrrev_i32_e32 v54, 31, v23
	v_ashrrev_i32_e32 v55, 31, v35
	v_or_b32_e32 v64, 0x80000000, v54
	v_xor_b32_e32 v22, v54, v22
	v_or_b32_e32 v54, 0x80000000, v55
	v_xor_b32_e32 v23, v64, v23
	v_xor_b32_e32 v35, v54, v35
	;; [unrolled: 1-line block ×3, first 2 shown]
	v_cmp_le_u64_e64 s[8:9], v[22:23], v[34:35]
	s_and_b64 s[56:57], s[8:9], exec
.LBB1132_233:
	s_or_b64 exec, exec, s[42:43]
	s_orn2_b64 s[42:43], s[56:57], exec
.LBB1132_234:
	s_or_b64 exec, exec, s[46:47]
	v_cndmask_b32_e64 v22, v20, v21, s[42:43]
	v_cndmask_b32_e64 v23, v81, v70, s[42:43]
	v_add_u32_e32 v64, 1, v22
	v_add_u32_e32 v23, -1, v23
	v_min_u32_e32 v23, v64, v23
	v_lshl_add_u32 v23, v23, 3, v71
	ds_read_b64 v[54:55], v23
	v_lshl_add_u32 v22, v22, 3, v71
	ds_read_b64 v[22:23], v22 offset:16384
	v_cndmask_b32_e64 v69, v64, v20, s[42:43]
	v_cndmask_b32_e64 v80, v21, v64, s[42:43]
	s_waitcnt lgkmcnt(1)
	v_cndmask_b32_e64 v35, v55, v25, s[42:43]
	v_cndmask_b32_e64 v34, v54, v24, s[42:43]
	;; [unrolled: 1-line block ×4, first 2 shown]
	v_cmp_lt_u32_e64 s[8:9], v69, v81
	s_and_saveexec_b64 s[46:47], s[8:9]
	s_cbranch_execz .LBB1132_238
; %bb.235:
	v_cmp_lt_u32_e64 s[8:9], v80, v70
	s_mov_b64 s[56:57], 0
	s_and_saveexec_b64 s[44:45], s[8:9]
	s_cbranch_execz .LBB1132_237
; %bb.236:
	v_add_f64 v[20:21], v[34:35], 0
	v_add_f64 v[64:65], v[54:55], 0
	v_ashrrev_i32_e32 v66, 31, v21
	v_ashrrev_i32_e32 v67, 31, v65
	v_or_b32_e32 v82, 0x80000000, v66
	v_xor_b32_e32 v20, v66, v20
	v_or_b32_e32 v66, 0x80000000, v67
	v_xor_b32_e32 v21, v82, v21
	v_xor_b32_e32 v65, v66, v65
	;; [unrolled: 1-line block ×3, first 2 shown]
	v_cmp_le_u64_e64 s[8:9], v[20:21], v[64:65]
	s_and_b64 s[56:57], s[8:9], exec
.LBB1132_237:
	s_or_b64 exec, exec, s[44:45]
	s_orn2_b64 s[44:45], s[56:57], exec
.LBB1132_238:
	s_or_b64 exec, exec, s[46:47]
	v_cndmask_b32_e64 v20, v69, v80, s[44:45]
	v_cndmask_b32_e64 v21, v81, v70, s[44:45]
	v_add_u32_e32 v82, 1, v20
	v_add_u32_e32 v21, -1, v21
	v_min_u32_e32 v21, v82, v21
	v_lshl_add_u32 v21, v21, 3, v71
	ds_read_b64 v[66:67], v21
	v_lshl_add_u32 v20, v20, 3, v71
	ds_read_b64 v[20:21], v20 offset:16384
	v_cndmask_b32_e64 v69, v82, v69, s[44:45]
	v_cndmask_b32_e64 v80, v80, v82, s[44:45]
	s_waitcnt lgkmcnt(1)
	v_cndmask_b32_e64 v65, v67, v35, s[44:45]
	v_cndmask_b32_e64 v64, v66, v34, s[44:45]
	;; [unrolled: 1-line block ×4, first 2 shown]
	v_cmp_lt_u32_e64 s[8:9], v69, v81
	s_mov_b64 s[46:47], -1
	s_and_saveexec_b64 s[56:57], s[8:9]
	s_cbranch_execz .LBB1132_242
; %bb.239:
	v_cmp_lt_u32_e64 s[8:9], v80, v70
	s_mov_b64 s[58:59], 0
	s_and_saveexec_b64 s[46:47], s[8:9]
	s_cbranch_execz .LBB1132_241
; %bb.240:
	v_add_f64 v[81:82], v[64:65], 0
	v_add_f64 v[83:84], v[66:67], 0
	v_ashrrev_i32_e32 v70, 31, v82
	v_ashrrev_i32_e32 v85, 31, v84
	v_or_b32_e32 v86, 0x80000000, v70
	v_xor_b32_e32 v81, v70, v81
	v_or_b32_e32 v70, 0x80000000, v85
	v_xor_b32_e32 v82, v86, v82
	v_xor_b32_e32 v84, v70, v84
	;; [unrolled: 1-line block ×3, first 2 shown]
	v_cmp_le_u64_e64 s[8:9], v[81:82], v[83:84]
	s_and_b64 s[58:59], s[8:9], exec
.LBB1132_241:
	s_or_b64 exec, exec, s[46:47]
	s_orn2_b64 s[46:47], s[58:59], exec
.LBB1132_242:
	s_or_b64 exec, exec, s[56:57]
	v_cndmask_b32_e64 v32, v30, v32, s[12:13]
	v_cndmask_b32_e64 v30, v69, v80, s[46:47]
	v_lshl_add_u32 v30, v30, 3, v71
	v_cndmask_b32_e64 v29, v29, v39, s[26:27]
	v_cndmask_b32_e64 v28, v28, v38, s[26:27]
	ds_read_b64 v[38:39], v30 offset:16384
	v_cndmask_b32_e64 v35, v35, v55, s[44:45]
	v_cndmask_b32_e64 v34, v34, v54, s[44:45]
	;; [unrolled: 1-line block ×13, first 2 shown]
.LBB1132_243:
	s_or_b64 exec, exec, s[22:23]
	v_add_co_u32_e64 v2, s[8:9], v2, v8
	v_addc_co_u32_e64 v3, s[8:9], v3, v9, s[8:9]
	v_add_co_u32_e64 v2, s[8:9], v2, v68
	v_addc_co_u32_e64 v3, s[8:9], 0, v3, s[8:9]
	; wave barrier
	s_waitcnt lgkmcnt(0)
	s_barrier
	; wave barrier
	s_and_saveexec_b64 s[8:9], vcc
	s_cbranch_execnz .LBB1132_268
; %bb.244:
	s_or_b64 exec, exec, s[8:9]
	s_and_saveexec_b64 s[8:9], s[4:5]
	s_cbranch_execnz .LBB1132_269
.LBB1132_245:
	s_or_b64 exec, exec, s[8:9]
	s_and_saveexec_b64 s[8:9], s[6:7]
	s_cbranch_execnz .LBB1132_270
.LBB1132_246:
	s_or_b64 exec, exec, s[8:9]
	s_and_saveexec_b64 s[8:9], s[18:19]
	s_cbranch_execnz .LBB1132_271
.LBB1132_247:
	s_or_b64 exec, exec, s[8:9]
	s_and_saveexec_b64 s[8:9], s[10:11]
	s_cbranch_execnz .LBB1132_272
.LBB1132_248:
	s_or_b64 exec, exec, s[8:9]
	s_and_saveexec_b64 s[8:9], s[20:21]
	s_cbranch_execnz .LBB1132_273
.LBB1132_249:
	s_or_b64 exec, exec, s[8:9]
	s_and_saveexec_b64 s[8:9], s[14:15]
	s_cbranch_execnz .LBB1132_274
.LBB1132_250:
	s_or_b64 exec, exec, s[8:9]
	s_and_saveexec_b64 s[8:9], s[16:17]
	s_cbranch_execz .LBB1132_252
.LBB1132_251:
	flat_store_dwordx2 v[2:3], v[18:19] offset:56
.LBB1132_252:
	s_or_b64 exec, exec, s[8:9]
	v_add_co_u32_e64 v2, s[8:9], v6, v8
	v_addc_co_u32_e64 v3, s[8:9], v7, v9, s[8:9]
	v_add_co_u32_e64 v2, s[8:9], v2, v68
	v_addc_co_u32_e64 v3, s[8:9], 0, v3, s[8:9]
	; wave barrier
	s_and_saveexec_b64 s[8:9], vcc
	s_cbranch_execnz .LBB1132_275
; %bb.253:
	s_or_b64 exec, exec, s[8:9]
	s_and_saveexec_b64 s[8:9], s[4:5]
	s_cbranch_execnz .LBB1132_276
.LBB1132_254:
	s_or_b64 exec, exec, s[8:9]
	s_and_saveexec_b64 s[4:5], s[6:7]
	s_cbranch_execnz .LBB1132_277
.LBB1132_255:
	s_or_b64 exec, exec, s[4:5]
	s_and_saveexec_b64 s[4:5], s[18:19]
	s_cbranch_execnz .LBB1132_278
.LBB1132_256:
	s_or_b64 exec, exec, s[4:5]
	s_and_saveexec_b64 s[4:5], s[10:11]
	s_cbranch_execnz .LBB1132_279
.LBB1132_257:
	s_or_b64 exec, exec, s[4:5]
	s_and_saveexec_b64 s[4:5], s[20:21]
	s_cbranch_execnz .LBB1132_280
.LBB1132_258:
	s_or_b64 exec, exec, s[4:5]
	s_and_saveexec_b64 s[4:5], s[14:15]
	s_cbranch_execnz .LBB1132_281
.LBB1132_259:
	s_or_b64 exec, exec, s[4:5]
	s_and_saveexec_b64 s[4:5], s[16:17]
	s_cbranch_execnz .LBB1132_282
.LBB1132_260:
	s_or_b64 exec, exec, s[4:5]
	s_waitcnt vmcnt(0) lgkmcnt(0)
	s_setpc_b64 s[30:31]
.LBB1132_261:
	flat_load_dwordx2 v[0:1], v[48:49]
	s_or_b64 exec, exec, s[22:23]
	s_and_saveexec_b64 s[22:23], s[4:5]
                                        ; implicit-def: $vgpr4_vgpr5
	s_cbranch_execz .LBB1132_18
.LBB1132_262:
	flat_load_dwordx2 v[4:5], v[48:49] offset:8
	s_or_b64 exec, exec, s[22:23]
                                        ; implicit-def: $vgpr10_vgpr11
	s_and_saveexec_b64 s[22:23], s[6:7]
	s_cbranch_execz .LBB1132_19
.LBB1132_263:
	flat_load_dwordx2 v[10:11], v[48:49] offset:16
	s_or_b64 exec, exec, s[22:23]
	s_and_saveexec_b64 s[22:23], s[18:19]
                                        ; implicit-def: $vgpr12_vgpr13
	s_cbranch_execz .LBB1132_20
.LBB1132_264:
	flat_load_dwordx2 v[12:13], v[48:49] offset:24
	s_or_b64 exec, exec, s[22:23]
                                        ; implicit-def: $vgpr14_vgpr15
	s_and_saveexec_b64 s[22:23], s[10:11]
	s_cbranch_execz .LBB1132_21
.LBB1132_265:
	flat_load_dwordx2 v[14:15], v[48:49] offset:32
	s_or_b64 exec, exec, s[22:23]
	s_and_saveexec_b64 s[22:23], s[20:21]
                                        ; implicit-def: $vgpr22_vgpr23
	s_cbranch_execz .LBB1132_22
.LBB1132_266:
	flat_load_dwordx2 v[22:23], v[48:49] offset:40
	s_or_b64 exec, exec, s[22:23]
                                        ; implicit-def: $vgpr20_vgpr21
	s_and_saveexec_b64 s[22:23], s[14:15]
	s_cbranch_execz .LBB1132_23
.LBB1132_267:
	flat_load_dwordx2 v[20:21], v[48:49] offset:48
	s_or_b64 exec, exec, s[22:23]
	s_and_saveexec_b64 s[22:23], s[16:17]
                                        ; implicit-def: $vgpr38_vgpr39
	s_cbranch_execnz .LBB1132_24
	s_branch .LBB1132_25
.LBB1132_268:
	flat_store_dwordx2 v[2:3], v[16:17]
	s_or_b64 exec, exec, s[8:9]
	s_and_saveexec_b64 s[8:9], s[4:5]
	s_cbranch_execz .LBB1132_245
.LBB1132_269:
	flat_store_dwordx2 v[2:3], v[32:33] offset:8
	s_or_b64 exec, exec, s[8:9]
	s_and_saveexec_b64 s[8:9], s[6:7]
	s_cbranch_execz .LBB1132_246
.LBB1132_270:
	flat_store_dwordx2 v[2:3], v[28:29] offset:16
	s_or_b64 exec, exec, s[8:9]
	s_and_saveexec_b64 s[8:9], s[18:19]
	s_cbranch_execz .LBB1132_247
.LBB1132_271:
	flat_store_dwordx2 v[2:3], v[36:37] offset:24
	s_or_b64 exec, exec, s[8:9]
	s_and_saveexec_b64 s[8:9], s[10:11]
	s_cbranch_execz .LBB1132_248
.LBB1132_272:
	flat_store_dwordx2 v[2:3], v[26:27] offset:32
	s_or_b64 exec, exec, s[8:9]
	s_and_saveexec_b64 s[8:9], s[20:21]
	s_cbranch_execz .LBB1132_249
.LBB1132_273:
	flat_store_dwordx2 v[2:3], v[24:25] offset:40
	s_or_b64 exec, exec, s[8:9]
	s_and_saveexec_b64 s[8:9], s[14:15]
	s_cbranch_execz .LBB1132_250
.LBB1132_274:
	flat_store_dwordx2 v[2:3], v[34:35] offset:48
	s_or_b64 exec, exec, s[8:9]
	s_and_saveexec_b64 s[8:9], s[16:17]
	s_cbranch_execnz .LBB1132_251
	s_branch .LBB1132_252
.LBB1132_275:
	flat_store_dwordx2 v[2:3], v[0:1]
	s_or_b64 exec, exec, s[8:9]
	s_and_saveexec_b64 s[8:9], s[4:5]
	s_cbranch_execz .LBB1132_254
.LBB1132_276:
	flat_store_dwordx2 v[2:3], v[4:5] offset:8
	s_or_b64 exec, exec, s[8:9]
	s_and_saveexec_b64 s[4:5], s[6:7]
	s_cbranch_execz .LBB1132_255
.LBB1132_277:
	flat_store_dwordx2 v[2:3], v[10:11] offset:16
	s_or_b64 exec, exec, s[4:5]
	s_and_saveexec_b64 s[4:5], s[18:19]
	s_cbranch_execz .LBB1132_256
.LBB1132_278:
	flat_store_dwordx2 v[2:3], v[12:13] offset:24
	s_or_b64 exec, exec, s[4:5]
	s_and_saveexec_b64 s[4:5], s[10:11]
	s_cbranch_execz .LBB1132_257
.LBB1132_279:
	flat_store_dwordx2 v[2:3], v[14:15] offset:32
	s_or_b64 exec, exec, s[4:5]
	s_and_saveexec_b64 s[4:5], s[20:21]
	s_cbranch_execz .LBB1132_258
.LBB1132_280:
	flat_store_dwordx2 v[2:3], v[22:23] offset:40
	s_or_b64 exec, exec, s[4:5]
	s_and_saveexec_b64 s[4:5], s[14:15]
	s_cbranch_execz .LBB1132_259
.LBB1132_281:
	flat_store_dwordx2 v[2:3], v[20:21] offset:48
	s_or_b64 exec, exec, s[4:5]
	s_and_saveexec_b64 s[4:5], s[16:17]
	s_cbranch_execz .LBB1132_260
.LBB1132_282:
	flat_store_dwordx2 v[2:3], v[38:39] offset:56
	s_or_b64 exec, exec, s[4:5]
	s_waitcnt vmcnt(0) lgkmcnt(0)
	s_setpc_b64 s[30:31]
.Lfunc_end1132:
	.size	_ZN7rocprim17ROCPRIM_400000_NS6detail26segmented_warp_sort_helperINS1_20WarpSortHelperConfigILj16ELj8ELj256EEEdlLi256ELb1EvE4sortIPKdPdPKlPlEEvT_T0_T1_T2_jjjjRNS5_12storage_typeE, .Lfunc_end1132-_ZN7rocprim17ROCPRIM_400000_NS6detail26segmented_warp_sort_helperINS1_20WarpSortHelperConfigILj16ELj8ELj256EEEdlLi256ELb1EvE4sortIPKdPdPKlPlEEvT_T0_T1_T2_jjjjRNS5_12storage_typeE
                                        ; -- End function
	.set .L_ZN7rocprim17ROCPRIM_400000_NS6detail26segmented_warp_sort_helperINS1_20WarpSortHelperConfigILj16ELj8ELj256EEEdlLi256ELb1EvE4sortIPKdPdPKlPlEEvT_T0_T1_T2_jjjjRNS5_12storage_typeE.num_vgpr, 99
	.set .L_ZN7rocprim17ROCPRIM_400000_NS6detail26segmented_warp_sort_helperINS1_20WarpSortHelperConfigILj16ELj8ELj256EEEdlLi256ELb1EvE4sortIPKdPdPKlPlEEvT_T0_T1_T2_jjjjRNS5_12storage_typeE.num_agpr, 0
	.set .L_ZN7rocprim17ROCPRIM_400000_NS6detail26segmented_warp_sort_helperINS1_20WarpSortHelperConfigILj16ELj8ELj256EEEdlLi256ELb1EvE4sortIPKdPdPKlPlEEvT_T0_T1_T2_jjjjRNS5_12storage_typeE.numbered_sgpr, 60
	.set .L_ZN7rocprim17ROCPRIM_400000_NS6detail26segmented_warp_sort_helperINS1_20WarpSortHelperConfigILj16ELj8ELj256EEEdlLi256ELb1EvE4sortIPKdPdPKlPlEEvT_T0_T1_T2_jjjjRNS5_12storage_typeE.num_named_barrier, 0
	.set .L_ZN7rocprim17ROCPRIM_400000_NS6detail26segmented_warp_sort_helperINS1_20WarpSortHelperConfigILj16ELj8ELj256EEEdlLi256ELb1EvE4sortIPKdPdPKlPlEEvT_T0_T1_T2_jjjjRNS5_12storage_typeE.private_seg_size, 0
	.set .L_ZN7rocprim17ROCPRIM_400000_NS6detail26segmented_warp_sort_helperINS1_20WarpSortHelperConfigILj16ELj8ELj256EEEdlLi256ELb1EvE4sortIPKdPdPKlPlEEvT_T0_T1_T2_jjjjRNS5_12storage_typeE.uses_vcc, 1
	.set .L_ZN7rocprim17ROCPRIM_400000_NS6detail26segmented_warp_sort_helperINS1_20WarpSortHelperConfigILj16ELj8ELj256EEEdlLi256ELb1EvE4sortIPKdPdPKlPlEEvT_T0_T1_T2_jjjjRNS5_12storage_typeE.uses_flat_scratch, 0
	.set .L_ZN7rocprim17ROCPRIM_400000_NS6detail26segmented_warp_sort_helperINS1_20WarpSortHelperConfigILj16ELj8ELj256EEEdlLi256ELb1EvE4sortIPKdPdPKlPlEEvT_T0_T1_T2_jjjjRNS5_12storage_typeE.has_dyn_sized_stack, 0
	.set .L_ZN7rocprim17ROCPRIM_400000_NS6detail26segmented_warp_sort_helperINS1_20WarpSortHelperConfigILj16ELj8ELj256EEEdlLi256ELb1EvE4sortIPKdPdPKlPlEEvT_T0_T1_T2_jjjjRNS5_12storage_typeE.has_recursion, 0
	.set .L_ZN7rocprim17ROCPRIM_400000_NS6detail26segmented_warp_sort_helperINS1_20WarpSortHelperConfigILj16ELj8ELj256EEEdlLi256ELb1EvE4sortIPKdPdPKlPlEEvT_T0_T1_T2_jjjjRNS5_12storage_typeE.has_indirect_call, 0
	.section	.AMDGPU.csdata,"",@progbits
; Function info:
; codeLenInByte = 14196
; TotalNumSgprs: 64
; NumVgprs: 99
; ScratchSize: 0
; MemoryBound: 0
	.section	.text._ZN7rocprim17ROCPRIM_400000_NS6detail17trampoline_kernelINS0_14default_configENS1_36segmented_radix_sort_config_selectorIdlEEZNS1_25segmented_radix_sort_implIS3_Lb1EPKdPdPKlPlN2at6native12_GLOBAL__N_18offset_tEEE10hipError_tPvRmT1_PNSt15iterator_traitsISK_E10value_typeET2_T3_PNSL_ISQ_E10value_typeET4_jRbjT5_SW_jjP12ihipStream_tbEUlT_E0_NS1_11comp_targetILNS1_3genE2ELNS1_11target_archE906ELNS1_3gpuE6ELNS1_3repE0EEENS1_60segmented_radix_sort_warp_sort_medium_config_static_selectorELNS0_4arch9wavefront6targetE1EEEvSK_,"axG",@progbits,_ZN7rocprim17ROCPRIM_400000_NS6detail17trampoline_kernelINS0_14default_configENS1_36segmented_radix_sort_config_selectorIdlEEZNS1_25segmented_radix_sort_implIS3_Lb1EPKdPdPKlPlN2at6native12_GLOBAL__N_18offset_tEEE10hipError_tPvRmT1_PNSt15iterator_traitsISK_E10value_typeET2_T3_PNSL_ISQ_E10value_typeET4_jRbjT5_SW_jjP12ihipStream_tbEUlT_E0_NS1_11comp_targetILNS1_3genE2ELNS1_11target_archE906ELNS1_3gpuE6ELNS1_3repE0EEENS1_60segmented_radix_sort_warp_sort_medium_config_static_selectorELNS0_4arch9wavefront6targetE1EEEvSK_,comdat
	.globl	_ZN7rocprim17ROCPRIM_400000_NS6detail17trampoline_kernelINS0_14default_configENS1_36segmented_radix_sort_config_selectorIdlEEZNS1_25segmented_radix_sort_implIS3_Lb1EPKdPdPKlPlN2at6native12_GLOBAL__N_18offset_tEEE10hipError_tPvRmT1_PNSt15iterator_traitsISK_E10value_typeET2_T3_PNSL_ISQ_E10value_typeET4_jRbjT5_SW_jjP12ihipStream_tbEUlT_E0_NS1_11comp_targetILNS1_3genE2ELNS1_11target_archE906ELNS1_3gpuE6ELNS1_3repE0EEENS1_60segmented_radix_sort_warp_sort_medium_config_static_selectorELNS0_4arch9wavefront6targetE1EEEvSK_ ; -- Begin function _ZN7rocprim17ROCPRIM_400000_NS6detail17trampoline_kernelINS0_14default_configENS1_36segmented_radix_sort_config_selectorIdlEEZNS1_25segmented_radix_sort_implIS3_Lb1EPKdPdPKlPlN2at6native12_GLOBAL__N_18offset_tEEE10hipError_tPvRmT1_PNSt15iterator_traitsISK_E10value_typeET2_T3_PNSL_ISQ_E10value_typeET4_jRbjT5_SW_jjP12ihipStream_tbEUlT_E0_NS1_11comp_targetILNS1_3genE2ELNS1_11target_archE906ELNS1_3gpuE6ELNS1_3repE0EEENS1_60segmented_radix_sort_warp_sort_medium_config_static_selectorELNS0_4arch9wavefront6targetE1EEEvSK_
	.p2align	8
	.type	_ZN7rocprim17ROCPRIM_400000_NS6detail17trampoline_kernelINS0_14default_configENS1_36segmented_radix_sort_config_selectorIdlEEZNS1_25segmented_radix_sort_implIS3_Lb1EPKdPdPKlPlN2at6native12_GLOBAL__N_18offset_tEEE10hipError_tPvRmT1_PNSt15iterator_traitsISK_E10value_typeET2_T3_PNSL_ISQ_E10value_typeET4_jRbjT5_SW_jjP12ihipStream_tbEUlT_E0_NS1_11comp_targetILNS1_3genE2ELNS1_11target_archE906ELNS1_3gpuE6ELNS1_3repE0EEENS1_60segmented_radix_sort_warp_sort_medium_config_static_selectorELNS0_4arch9wavefront6targetE1EEEvSK_,@function
_ZN7rocprim17ROCPRIM_400000_NS6detail17trampoline_kernelINS0_14default_configENS1_36segmented_radix_sort_config_selectorIdlEEZNS1_25segmented_radix_sort_implIS3_Lb1EPKdPdPKlPlN2at6native12_GLOBAL__N_18offset_tEEE10hipError_tPvRmT1_PNSt15iterator_traitsISK_E10value_typeET2_T3_PNSL_ISQ_E10value_typeET4_jRbjT5_SW_jjP12ihipStream_tbEUlT_E0_NS1_11comp_targetILNS1_3genE2ELNS1_11target_archE906ELNS1_3gpuE6ELNS1_3repE0EEENS1_60segmented_radix_sort_warp_sort_medium_config_static_selectorELNS0_4arch9wavefront6targetE1EEEvSK_: ; @_ZN7rocprim17ROCPRIM_400000_NS6detail17trampoline_kernelINS0_14default_configENS1_36segmented_radix_sort_config_selectorIdlEEZNS1_25segmented_radix_sort_implIS3_Lb1EPKdPdPKlPlN2at6native12_GLOBAL__N_18offset_tEEE10hipError_tPvRmT1_PNSt15iterator_traitsISK_E10value_typeET2_T3_PNSL_ISQ_E10value_typeET4_jRbjT5_SW_jjP12ihipStream_tbEUlT_E0_NS1_11comp_targetILNS1_3genE2ELNS1_11target_archE906ELNS1_3gpuE6ELNS1_3repE0EEENS1_60segmented_radix_sort_warp_sort_medium_config_static_selectorELNS0_4arch9wavefront6targetE1EEEvSK_
; %bb.0:
	s_add_u32 s0, s0, s8
	s_load_dword s8, s[4:5], 0x64
	s_addc_u32 s1, s1, 0
	s_mov_b32 s32, 0
	s_waitcnt lgkmcnt(0)
	s_lshr_b32 s9, s8, 16
	s_and_b32 s8, s8, 0xffff
	v_mad_u32_u24 v3, v2, s9, v1
	v_mad_u64_u32 v[3:4], s[8:9], v3, s8, v[0:1]
	s_load_dword s8, s[4:5], 0x34
	v_lshrrev_b32_e32 v3, 4, v3
	v_lshl_add_u32 v3, s6, 4, v3
	s_waitcnt lgkmcnt(0)
	v_cmp_gt_u32_e32 vcc, s8, v3
	s_and_saveexec_b64 s[8:9], vcc
	s_cbranch_execz .LBB1133_6
; %bb.1:
	s_load_dwordx2 s[12:13], s[4:5], 0x38
	s_load_dwordx4 s[8:11], s[4:5], 0x40
	v_mov_b32_e32 v4, 0
	v_lshlrev_b64 v[3:4], 2, v[3:4]
	s_waitcnt lgkmcnt(0)
	v_mov_b32_e32 v5, s13
	v_add_co_u32_e32 v3, vcc, s12, v3
	v_addc_co_u32_e32 v4, vcc, v5, v4, vcc
	global_load_dword v3, v[3:4], off
	s_waitcnt vmcnt(0)
	v_add_u32_e32 v4, s9, v3
	v_add_u32_e32 v3, s11, v3
	v_mul_lo_u32 v40, v4, s8
	v_mul_lo_u32 v41, v3, s10
	v_cmp_gt_u32_e32 vcc, v41, v40
	s_and_b64 exec, exec, vcc
	s_cbranch_execz .LBB1133_6
; %bb.2:
	s_load_dword s10, s[4:5], 0x30
	s_load_dwordx4 s[36:39], s[4:5], 0x20
	s_load_dwordx8 s[48:55], s[4:5], 0x0
	s_mov_b64 s[8:9], -1
	v_lshlrev_b32_e32 v43, 20, v2
	s_waitcnt lgkmcnt(0)
	s_bitcmp0_b32 s10, 0
	v_lshlrev_b32_e32 v44, 10, v1
	s_cbranch_scc0 .LBB1133_4
; %bb.3:
	s_add_u32 s8, s4, 0x58
	s_addc_u32 s9, s5, 0
	s_getpc_b64 s[10:11]
	s_add_u32 s10, s10, _ZN7rocprim17ROCPRIM_400000_NS6detail26segmented_warp_sort_helperINS1_20WarpSortHelperConfigILj16ELj8ELj256EEEdlLi256ELb1EvE4sortIPKdPdPKlPlEEvT_T0_T1_T2_jjjjRNS5_12storage_typeE@rel32@lo+4
	s_addc_u32 s11, s11, _ZN7rocprim17ROCPRIM_400000_NS6detail26segmented_warp_sort_helperINS1_20WarpSortHelperConfigILj16ELj8ELj256EEEdlLi256ELb1EvE4sortIPKdPdPKlPlEEvT_T0_T1_T2_jjjjRNS5_12storage_typeE@rel32@hi+12
	v_or3_b32 v31, v0, v44, v43
	s_mov_b32 s12, s6
	s_mov_b32 s13, s7
	v_mov_b32_e32 v42, v0
	v_mov_b32_e32 v0, s48
	;; [unrolled: 1-line block ×11, first 2 shown]
	s_mov_b64 s[34:35], s[4:5]
	s_mov_b32 s36, s7
	s_mov_b32 s33, s6
	s_swappc_b64 s[30:31], s[10:11]
	v_mov_b32_e32 v0, v42
	s_mov_b32 s6, s33
	s_mov_b32 s7, s36
	s_mov_b64 s[4:5], s[34:35]
	s_mov_b64 s[8:9], 0
.LBB1133_4:
	s_andn2_b64 vcc, exec, s[8:9]
	s_cbranch_vccnz .LBB1133_6
; %bb.5:
	s_add_u32 s8, s4, 0x58
	s_addc_u32 s9, s5, 0
	s_getpc_b64 s[4:5]
	s_add_u32 s4, s4, _ZN7rocprim17ROCPRIM_400000_NS6detail26segmented_warp_sort_helperINS1_20WarpSortHelperConfigILj16ELj8ELj256EEEdlLi256ELb1EvE4sortIPKdPdPKlPlEEvT_T0_T1_T2_jjjjRNS5_12storage_typeE@rel32@lo+4
	s_addc_u32 s5, s5, _ZN7rocprim17ROCPRIM_400000_NS6detail26segmented_warp_sort_helperINS1_20WarpSortHelperConfigILj16ELj8ELj256EEEdlLi256ELb1EvE4sortIPKdPdPKlPlEEvT_T0_T1_T2_jjjjRNS5_12storage_typeE@rel32@hi+12
	v_or3_b32 v31, v0, v44, v43
	s_mov_b32 s12, s6
	s_mov_b32 s13, s7
	v_mov_b32_e32 v0, s48
	v_mov_b32_e32 v1, s49
	;; [unrolled: 1-line block ×10, first 2 shown]
	s_swappc_b64 s[30:31], s[4:5]
.LBB1133_6:
	s_endpgm
	.section	.rodata,"a",@progbits
	.p2align	6, 0x0
	.amdhsa_kernel _ZN7rocprim17ROCPRIM_400000_NS6detail17trampoline_kernelINS0_14default_configENS1_36segmented_radix_sort_config_selectorIdlEEZNS1_25segmented_radix_sort_implIS3_Lb1EPKdPdPKlPlN2at6native12_GLOBAL__N_18offset_tEEE10hipError_tPvRmT1_PNSt15iterator_traitsISK_E10value_typeET2_T3_PNSL_ISQ_E10value_typeET4_jRbjT5_SW_jjP12ihipStream_tbEUlT_E0_NS1_11comp_targetILNS1_3genE2ELNS1_11target_archE906ELNS1_3gpuE6ELNS1_3repE0EEENS1_60segmented_radix_sort_warp_sort_medium_config_static_selectorELNS0_4arch9wavefront6targetE1EEEvSK_
		.amdhsa_group_segment_fixed_size 32768
		.amdhsa_private_segment_fixed_size 0
		.amdhsa_kernarg_size 344
		.amdhsa_user_sgpr_count 6
		.amdhsa_user_sgpr_private_segment_buffer 1
		.amdhsa_user_sgpr_dispatch_ptr 0
		.amdhsa_user_sgpr_queue_ptr 0
		.amdhsa_user_sgpr_kernarg_segment_ptr 1
		.amdhsa_user_sgpr_dispatch_id 0
		.amdhsa_user_sgpr_flat_scratch_init 0
		.amdhsa_user_sgpr_private_segment_size 0
		.amdhsa_uses_dynamic_stack 0
		.amdhsa_system_sgpr_private_segment_wavefront_offset 0
		.amdhsa_system_sgpr_workgroup_id_x 1
		.amdhsa_system_sgpr_workgroup_id_y 1
		.amdhsa_system_sgpr_workgroup_id_z 0
		.amdhsa_system_sgpr_workgroup_info 0
		.amdhsa_system_vgpr_workitem_id 2
		.amdhsa_next_free_vgpr 99
		.amdhsa_next_free_sgpr 98
		.amdhsa_reserve_vcc 1
		.amdhsa_reserve_flat_scratch 0
		.amdhsa_float_round_mode_32 0
		.amdhsa_float_round_mode_16_64 0
		.amdhsa_float_denorm_mode_32 3
		.amdhsa_float_denorm_mode_16_64 3
		.amdhsa_dx10_clamp 1
		.amdhsa_ieee_mode 1
		.amdhsa_fp16_overflow 0
		.amdhsa_exception_fp_ieee_invalid_op 0
		.amdhsa_exception_fp_denorm_src 0
		.amdhsa_exception_fp_ieee_div_zero 0
		.amdhsa_exception_fp_ieee_overflow 0
		.amdhsa_exception_fp_ieee_underflow 0
		.amdhsa_exception_fp_ieee_inexact 0
		.amdhsa_exception_int_div_zero 0
	.end_amdhsa_kernel
	.section	.text._ZN7rocprim17ROCPRIM_400000_NS6detail17trampoline_kernelINS0_14default_configENS1_36segmented_radix_sort_config_selectorIdlEEZNS1_25segmented_radix_sort_implIS3_Lb1EPKdPdPKlPlN2at6native12_GLOBAL__N_18offset_tEEE10hipError_tPvRmT1_PNSt15iterator_traitsISK_E10value_typeET2_T3_PNSL_ISQ_E10value_typeET4_jRbjT5_SW_jjP12ihipStream_tbEUlT_E0_NS1_11comp_targetILNS1_3genE2ELNS1_11target_archE906ELNS1_3gpuE6ELNS1_3repE0EEENS1_60segmented_radix_sort_warp_sort_medium_config_static_selectorELNS0_4arch9wavefront6targetE1EEEvSK_,"axG",@progbits,_ZN7rocprim17ROCPRIM_400000_NS6detail17trampoline_kernelINS0_14default_configENS1_36segmented_radix_sort_config_selectorIdlEEZNS1_25segmented_radix_sort_implIS3_Lb1EPKdPdPKlPlN2at6native12_GLOBAL__N_18offset_tEEE10hipError_tPvRmT1_PNSt15iterator_traitsISK_E10value_typeET2_T3_PNSL_ISQ_E10value_typeET4_jRbjT5_SW_jjP12ihipStream_tbEUlT_E0_NS1_11comp_targetILNS1_3genE2ELNS1_11target_archE906ELNS1_3gpuE6ELNS1_3repE0EEENS1_60segmented_radix_sort_warp_sort_medium_config_static_selectorELNS0_4arch9wavefront6targetE1EEEvSK_,comdat
.Lfunc_end1133:
	.size	_ZN7rocprim17ROCPRIM_400000_NS6detail17trampoline_kernelINS0_14default_configENS1_36segmented_radix_sort_config_selectorIdlEEZNS1_25segmented_radix_sort_implIS3_Lb1EPKdPdPKlPlN2at6native12_GLOBAL__N_18offset_tEEE10hipError_tPvRmT1_PNSt15iterator_traitsISK_E10value_typeET2_T3_PNSL_ISQ_E10value_typeET4_jRbjT5_SW_jjP12ihipStream_tbEUlT_E0_NS1_11comp_targetILNS1_3genE2ELNS1_11target_archE906ELNS1_3gpuE6ELNS1_3repE0EEENS1_60segmented_radix_sort_warp_sort_medium_config_static_selectorELNS0_4arch9wavefront6targetE1EEEvSK_, .Lfunc_end1133-_ZN7rocprim17ROCPRIM_400000_NS6detail17trampoline_kernelINS0_14default_configENS1_36segmented_radix_sort_config_selectorIdlEEZNS1_25segmented_radix_sort_implIS3_Lb1EPKdPdPKlPlN2at6native12_GLOBAL__N_18offset_tEEE10hipError_tPvRmT1_PNSt15iterator_traitsISK_E10value_typeET2_T3_PNSL_ISQ_E10value_typeET4_jRbjT5_SW_jjP12ihipStream_tbEUlT_E0_NS1_11comp_targetILNS1_3genE2ELNS1_11target_archE906ELNS1_3gpuE6ELNS1_3repE0EEENS1_60segmented_radix_sort_warp_sort_medium_config_static_selectorELNS0_4arch9wavefront6targetE1EEEvSK_
                                        ; -- End function
	.set _ZN7rocprim17ROCPRIM_400000_NS6detail17trampoline_kernelINS0_14default_configENS1_36segmented_radix_sort_config_selectorIdlEEZNS1_25segmented_radix_sort_implIS3_Lb1EPKdPdPKlPlN2at6native12_GLOBAL__N_18offset_tEEE10hipError_tPvRmT1_PNSt15iterator_traitsISK_E10value_typeET2_T3_PNSL_ISQ_E10value_typeET4_jRbjT5_SW_jjP12ihipStream_tbEUlT_E0_NS1_11comp_targetILNS1_3genE2ELNS1_11target_archE906ELNS1_3gpuE6ELNS1_3repE0EEENS1_60segmented_radix_sort_warp_sort_medium_config_static_selectorELNS0_4arch9wavefront6targetE1EEEvSK_.num_vgpr, max(45, .L_ZN7rocprim17ROCPRIM_400000_NS6detail26segmented_warp_sort_helperINS1_20WarpSortHelperConfigILj16ELj8ELj256EEEdlLi256ELb1EvE4sortIPKdPdPKlPlEEvT_T0_T1_T2_jjjjRNS5_12storage_typeE.num_vgpr)
	.set _ZN7rocprim17ROCPRIM_400000_NS6detail17trampoline_kernelINS0_14default_configENS1_36segmented_radix_sort_config_selectorIdlEEZNS1_25segmented_radix_sort_implIS3_Lb1EPKdPdPKlPlN2at6native12_GLOBAL__N_18offset_tEEE10hipError_tPvRmT1_PNSt15iterator_traitsISK_E10value_typeET2_T3_PNSL_ISQ_E10value_typeET4_jRbjT5_SW_jjP12ihipStream_tbEUlT_E0_NS1_11comp_targetILNS1_3genE2ELNS1_11target_archE906ELNS1_3gpuE6ELNS1_3repE0EEENS1_60segmented_radix_sort_warp_sort_medium_config_static_selectorELNS0_4arch9wavefront6targetE1EEEvSK_.num_agpr, max(0, .L_ZN7rocprim17ROCPRIM_400000_NS6detail26segmented_warp_sort_helperINS1_20WarpSortHelperConfigILj16ELj8ELj256EEEdlLi256ELb1EvE4sortIPKdPdPKlPlEEvT_T0_T1_T2_jjjjRNS5_12storage_typeE.num_agpr)
	.set _ZN7rocprim17ROCPRIM_400000_NS6detail17trampoline_kernelINS0_14default_configENS1_36segmented_radix_sort_config_selectorIdlEEZNS1_25segmented_radix_sort_implIS3_Lb1EPKdPdPKlPlN2at6native12_GLOBAL__N_18offset_tEEE10hipError_tPvRmT1_PNSt15iterator_traitsISK_E10value_typeET2_T3_PNSL_ISQ_E10value_typeET4_jRbjT5_SW_jjP12ihipStream_tbEUlT_E0_NS1_11comp_targetILNS1_3genE2ELNS1_11target_archE906ELNS1_3gpuE6ELNS1_3repE0EEENS1_60segmented_radix_sort_warp_sort_medium_config_static_selectorELNS0_4arch9wavefront6targetE1EEEvSK_.numbered_sgpr, max(56, .L_ZN7rocprim17ROCPRIM_400000_NS6detail26segmented_warp_sort_helperINS1_20WarpSortHelperConfigILj16ELj8ELj256EEEdlLi256ELb1EvE4sortIPKdPdPKlPlEEvT_T0_T1_T2_jjjjRNS5_12storage_typeE.numbered_sgpr)
	.set _ZN7rocprim17ROCPRIM_400000_NS6detail17trampoline_kernelINS0_14default_configENS1_36segmented_radix_sort_config_selectorIdlEEZNS1_25segmented_radix_sort_implIS3_Lb1EPKdPdPKlPlN2at6native12_GLOBAL__N_18offset_tEEE10hipError_tPvRmT1_PNSt15iterator_traitsISK_E10value_typeET2_T3_PNSL_ISQ_E10value_typeET4_jRbjT5_SW_jjP12ihipStream_tbEUlT_E0_NS1_11comp_targetILNS1_3genE2ELNS1_11target_archE906ELNS1_3gpuE6ELNS1_3repE0EEENS1_60segmented_radix_sort_warp_sort_medium_config_static_selectorELNS0_4arch9wavefront6targetE1EEEvSK_.num_named_barrier, max(0, .L_ZN7rocprim17ROCPRIM_400000_NS6detail26segmented_warp_sort_helperINS1_20WarpSortHelperConfigILj16ELj8ELj256EEEdlLi256ELb1EvE4sortIPKdPdPKlPlEEvT_T0_T1_T2_jjjjRNS5_12storage_typeE.num_named_barrier)
	.set _ZN7rocprim17ROCPRIM_400000_NS6detail17trampoline_kernelINS0_14default_configENS1_36segmented_radix_sort_config_selectorIdlEEZNS1_25segmented_radix_sort_implIS3_Lb1EPKdPdPKlPlN2at6native12_GLOBAL__N_18offset_tEEE10hipError_tPvRmT1_PNSt15iterator_traitsISK_E10value_typeET2_T3_PNSL_ISQ_E10value_typeET4_jRbjT5_SW_jjP12ihipStream_tbEUlT_E0_NS1_11comp_targetILNS1_3genE2ELNS1_11target_archE906ELNS1_3gpuE6ELNS1_3repE0EEENS1_60segmented_radix_sort_warp_sort_medium_config_static_selectorELNS0_4arch9wavefront6targetE1EEEvSK_.private_seg_size, 0+max(.L_ZN7rocprim17ROCPRIM_400000_NS6detail26segmented_warp_sort_helperINS1_20WarpSortHelperConfigILj16ELj8ELj256EEEdlLi256ELb1EvE4sortIPKdPdPKlPlEEvT_T0_T1_T2_jjjjRNS5_12storage_typeE.private_seg_size)
	.set _ZN7rocprim17ROCPRIM_400000_NS6detail17trampoline_kernelINS0_14default_configENS1_36segmented_radix_sort_config_selectorIdlEEZNS1_25segmented_radix_sort_implIS3_Lb1EPKdPdPKlPlN2at6native12_GLOBAL__N_18offset_tEEE10hipError_tPvRmT1_PNSt15iterator_traitsISK_E10value_typeET2_T3_PNSL_ISQ_E10value_typeET4_jRbjT5_SW_jjP12ihipStream_tbEUlT_E0_NS1_11comp_targetILNS1_3genE2ELNS1_11target_archE906ELNS1_3gpuE6ELNS1_3repE0EEENS1_60segmented_radix_sort_warp_sort_medium_config_static_selectorELNS0_4arch9wavefront6targetE1EEEvSK_.uses_vcc, or(1, .L_ZN7rocprim17ROCPRIM_400000_NS6detail26segmented_warp_sort_helperINS1_20WarpSortHelperConfigILj16ELj8ELj256EEEdlLi256ELb1EvE4sortIPKdPdPKlPlEEvT_T0_T1_T2_jjjjRNS5_12storage_typeE.uses_vcc)
	.set _ZN7rocprim17ROCPRIM_400000_NS6detail17trampoline_kernelINS0_14default_configENS1_36segmented_radix_sort_config_selectorIdlEEZNS1_25segmented_radix_sort_implIS3_Lb1EPKdPdPKlPlN2at6native12_GLOBAL__N_18offset_tEEE10hipError_tPvRmT1_PNSt15iterator_traitsISK_E10value_typeET2_T3_PNSL_ISQ_E10value_typeET4_jRbjT5_SW_jjP12ihipStream_tbEUlT_E0_NS1_11comp_targetILNS1_3genE2ELNS1_11target_archE906ELNS1_3gpuE6ELNS1_3repE0EEENS1_60segmented_radix_sort_warp_sort_medium_config_static_selectorELNS0_4arch9wavefront6targetE1EEEvSK_.uses_flat_scratch, or(0, .L_ZN7rocprim17ROCPRIM_400000_NS6detail26segmented_warp_sort_helperINS1_20WarpSortHelperConfigILj16ELj8ELj256EEEdlLi256ELb1EvE4sortIPKdPdPKlPlEEvT_T0_T1_T2_jjjjRNS5_12storage_typeE.uses_flat_scratch)
	.set _ZN7rocprim17ROCPRIM_400000_NS6detail17trampoline_kernelINS0_14default_configENS1_36segmented_radix_sort_config_selectorIdlEEZNS1_25segmented_radix_sort_implIS3_Lb1EPKdPdPKlPlN2at6native12_GLOBAL__N_18offset_tEEE10hipError_tPvRmT1_PNSt15iterator_traitsISK_E10value_typeET2_T3_PNSL_ISQ_E10value_typeET4_jRbjT5_SW_jjP12ihipStream_tbEUlT_E0_NS1_11comp_targetILNS1_3genE2ELNS1_11target_archE906ELNS1_3gpuE6ELNS1_3repE0EEENS1_60segmented_radix_sort_warp_sort_medium_config_static_selectorELNS0_4arch9wavefront6targetE1EEEvSK_.has_dyn_sized_stack, or(0, .L_ZN7rocprim17ROCPRIM_400000_NS6detail26segmented_warp_sort_helperINS1_20WarpSortHelperConfigILj16ELj8ELj256EEEdlLi256ELb1EvE4sortIPKdPdPKlPlEEvT_T0_T1_T2_jjjjRNS5_12storage_typeE.has_dyn_sized_stack)
	.set _ZN7rocprim17ROCPRIM_400000_NS6detail17trampoline_kernelINS0_14default_configENS1_36segmented_radix_sort_config_selectorIdlEEZNS1_25segmented_radix_sort_implIS3_Lb1EPKdPdPKlPlN2at6native12_GLOBAL__N_18offset_tEEE10hipError_tPvRmT1_PNSt15iterator_traitsISK_E10value_typeET2_T3_PNSL_ISQ_E10value_typeET4_jRbjT5_SW_jjP12ihipStream_tbEUlT_E0_NS1_11comp_targetILNS1_3genE2ELNS1_11target_archE906ELNS1_3gpuE6ELNS1_3repE0EEENS1_60segmented_radix_sort_warp_sort_medium_config_static_selectorELNS0_4arch9wavefront6targetE1EEEvSK_.has_recursion, or(0, .L_ZN7rocprim17ROCPRIM_400000_NS6detail26segmented_warp_sort_helperINS1_20WarpSortHelperConfigILj16ELj8ELj256EEEdlLi256ELb1EvE4sortIPKdPdPKlPlEEvT_T0_T1_T2_jjjjRNS5_12storage_typeE.has_recursion)
	.set _ZN7rocprim17ROCPRIM_400000_NS6detail17trampoline_kernelINS0_14default_configENS1_36segmented_radix_sort_config_selectorIdlEEZNS1_25segmented_radix_sort_implIS3_Lb1EPKdPdPKlPlN2at6native12_GLOBAL__N_18offset_tEEE10hipError_tPvRmT1_PNSt15iterator_traitsISK_E10value_typeET2_T3_PNSL_ISQ_E10value_typeET4_jRbjT5_SW_jjP12ihipStream_tbEUlT_E0_NS1_11comp_targetILNS1_3genE2ELNS1_11target_archE906ELNS1_3gpuE6ELNS1_3repE0EEENS1_60segmented_radix_sort_warp_sort_medium_config_static_selectorELNS0_4arch9wavefront6targetE1EEEvSK_.has_indirect_call, or(0, .L_ZN7rocprim17ROCPRIM_400000_NS6detail26segmented_warp_sort_helperINS1_20WarpSortHelperConfigILj16ELj8ELj256EEEdlLi256ELb1EvE4sortIPKdPdPKlPlEEvT_T0_T1_T2_jjjjRNS5_12storage_typeE.has_indirect_call)
	.section	.AMDGPU.csdata,"",@progbits
; Kernel info:
; codeLenInByte = 460
; TotalNumSgprs: 64
; NumVgprs: 99
; ScratchSize: 0
; MemoryBound: 0
; FloatMode: 240
; IeeeMode: 1
; LDSByteSize: 32768 bytes/workgroup (compile time only)
; SGPRBlocks: 12
; VGPRBlocks: 24
; NumSGPRsForWavesPerEU: 102
; NumVGPRsForWavesPerEU: 99
; Occupancy: 2
; WaveLimiterHint : 0
; COMPUTE_PGM_RSRC2:SCRATCH_EN: 0
; COMPUTE_PGM_RSRC2:USER_SGPR: 6
; COMPUTE_PGM_RSRC2:TRAP_HANDLER: 0
; COMPUTE_PGM_RSRC2:TGID_X_EN: 1
; COMPUTE_PGM_RSRC2:TGID_Y_EN: 1
; COMPUTE_PGM_RSRC2:TGID_Z_EN: 0
; COMPUTE_PGM_RSRC2:TIDIG_COMP_CNT: 2
	.section	.text._ZN7rocprim17ROCPRIM_400000_NS6detail17trampoline_kernelINS0_14default_configENS1_36segmented_radix_sort_config_selectorIdlEEZNS1_25segmented_radix_sort_implIS3_Lb1EPKdPdPKlPlN2at6native12_GLOBAL__N_18offset_tEEE10hipError_tPvRmT1_PNSt15iterator_traitsISK_E10value_typeET2_T3_PNSL_ISQ_E10value_typeET4_jRbjT5_SW_jjP12ihipStream_tbEUlT_E0_NS1_11comp_targetILNS1_3genE10ELNS1_11target_archE1201ELNS1_3gpuE5ELNS1_3repE0EEENS1_60segmented_radix_sort_warp_sort_medium_config_static_selectorELNS0_4arch9wavefront6targetE1EEEvSK_,"axG",@progbits,_ZN7rocprim17ROCPRIM_400000_NS6detail17trampoline_kernelINS0_14default_configENS1_36segmented_radix_sort_config_selectorIdlEEZNS1_25segmented_radix_sort_implIS3_Lb1EPKdPdPKlPlN2at6native12_GLOBAL__N_18offset_tEEE10hipError_tPvRmT1_PNSt15iterator_traitsISK_E10value_typeET2_T3_PNSL_ISQ_E10value_typeET4_jRbjT5_SW_jjP12ihipStream_tbEUlT_E0_NS1_11comp_targetILNS1_3genE10ELNS1_11target_archE1201ELNS1_3gpuE5ELNS1_3repE0EEENS1_60segmented_radix_sort_warp_sort_medium_config_static_selectorELNS0_4arch9wavefront6targetE1EEEvSK_,comdat
	.globl	_ZN7rocprim17ROCPRIM_400000_NS6detail17trampoline_kernelINS0_14default_configENS1_36segmented_radix_sort_config_selectorIdlEEZNS1_25segmented_radix_sort_implIS3_Lb1EPKdPdPKlPlN2at6native12_GLOBAL__N_18offset_tEEE10hipError_tPvRmT1_PNSt15iterator_traitsISK_E10value_typeET2_T3_PNSL_ISQ_E10value_typeET4_jRbjT5_SW_jjP12ihipStream_tbEUlT_E0_NS1_11comp_targetILNS1_3genE10ELNS1_11target_archE1201ELNS1_3gpuE5ELNS1_3repE0EEENS1_60segmented_radix_sort_warp_sort_medium_config_static_selectorELNS0_4arch9wavefront6targetE1EEEvSK_ ; -- Begin function _ZN7rocprim17ROCPRIM_400000_NS6detail17trampoline_kernelINS0_14default_configENS1_36segmented_radix_sort_config_selectorIdlEEZNS1_25segmented_radix_sort_implIS3_Lb1EPKdPdPKlPlN2at6native12_GLOBAL__N_18offset_tEEE10hipError_tPvRmT1_PNSt15iterator_traitsISK_E10value_typeET2_T3_PNSL_ISQ_E10value_typeET4_jRbjT5_SW_jjP12ihipStream_tbEUlT_E0_NS1_11comp_targetILNS1_3genE10ELNS1_11target_archE1201ELNS1_3gpuE5ELNS1_3repE0EEENS1_60segmented_radix_sort_warp_sort_medium_config_static_selectorELNS0_4arch9wavefront6targetE1EEEvSK_
	.p2align	8
	.type	_ZN7rocprim17ROCPRIM_400000_NS6detail17trampoline_kernelINS0_14default_configENS1_36segmented_radix_sort_config_selectorIdlEEZNS1_25segmented_radix_sort_implIS3_Lb1EPKdPdPKlPlN2at6native12_GLOBAL__N_18offset_tEEE10hipError_tPvRmT1_PNSt15iterator_traitsISK_E10value_typeET2_T3_PNSL_ISQ_E10value_typeET4_jRbjT5_SW_jjP12ihipStream_tbEUlT_E0_NS1_11comp_targetILNS1_3genE10ELNS1_11target_archE1201ELNS1_3gpuE5ELNS1_3repE0EEENS1_60segmented_radix_sort_warp_sort_medium_config_static_selectorELNS0_4arch9wavefront6targetE1EEEvSK_,@function
_ZN7rocprim17ROCPRIM_400000_NS6detail17trampoline_kernelINS0_14default_configENS1_36segmented_radix_sort_config_selectorIdlEEZNS1_25segmented_radix_sort_implIS3_Lb1EPKdPdPKlPlN2at6native12_GLOBAL__N_18offset_tEEE10hipError_tPvRmT1_PNSt15iterator_traitsISK_E10value_typeET2_T3_PNSL_ISQ_E10value_typeET4_jRbjT5_SW_jjP12ihipStream_tbEUlT_E0_NS1_11comp_targetILNS1_3genE10ELNS1_11target_archE1201ELNS1_3gpuE5ELNS1_3repE0EEENS1_60segmented_radix_sort_warp_sort_medium_config_static_selectorELNS0_4arch9wavefront6targetE1EEEvSK_: ; @_ZN7rocprim17ROCPRIM_400000_NS6detail17trampoline_kernelINS0_14default_configENS1_36segmented_radix_sort_config_selectorIdlEEZNS1_25segmented_radix_sort_implIS3_Lb1EPKdPdPKlPlN2at6native12_GLOBAL__N_18offset_tEEE10hipError_tPvRmT1_PNSt15iterator_traitsISK_E10value_typeET2_T3_PNSL_ISQ_E10value_typeET4_jRbjT5_SW_jjP12ihipStream_tbEUlT_E0_NS1_11comp_targetILNS1_3genE10ELNS1_11target_archE1201ELNS1_3gpuE5ELNS1_3repE0EEENS1_60segmented_radix_sort_warp_sort_medium_config_static_selectorELNS0_4arch9wavefront6targetE1EEEvSK_
; %bb.0:
	.section	.rodata,"a",@progbits
	.p2align	6, 0x0
	.amdhsa_kernel _ZN7rocprim17ROCPRIM_400000_NS6detail17trampoline_kernelINS0_14default_configENS1_36segmented_radix_sort_config_selectorIdlEEZNS1_25segmented_radix_sort_implIS3_Lb1EPKdPdPKlPlN2at6native12_GLOBAL__N_18offset_tEEE10hipError_tPvRmT1_PNSt15iterator_traitsISK_E10value_typeET2_T3_PNSL_ISQ_E10value_typeET4_jRbjT5_SW_jjP12ihipStream_tbEUlT_E0_NS1_11comp_targetILNS1_3genE10ELNS1_11target_archE1201ELNS1_3gpuE5ELNS1_3repE0EEENS1_60segmented_radix_sort_warp_sort_medium_config_static_selectorELNS0_4arch9wavefront6targetE1EEEvSK_
		.amdhsa_group_segment_fixed_size 0
		.amdhsa_private_segment_fixed_size 0
		.amdhsa_kernarg_size 88
		.amdhsa_user_sgpr_count 6
		.amdhsa_user_sgpr_private_segment_buffer 1
		.amdhsa_user_sgpr_dispatch_ptr 0
		.amdhsa_user_sgpr_queue_ptr 0
		.amdhsa_user_sgpr_kernarg_segment_ptr 1
		.amdhsa_user_sgpr_dispatch_id 0
		.amdhsa_user_sgpr_flat_scratch_init 0
		.amdhsa_user_sgpr_private_segment_size 0
		.amdhsa_uses_dynamic_stack 0
		.amdhsa_system_sgpr_private_segment_wavefront_offset 0
		.amdhsa_system_sgpr_workgroup_id_x 1
		.amdhsa_system_sgpr_workgroup_id_y 0
		.amdhsa_system_sgpr_workgroup_id_z 0
		.amdhsa_system_sgpr_workgroup_info 0
		.amdhsa_system_vgpr_workitem_id 0
		.amdhsa_next_free_vgpr 1
		.amdhsa_next_free_sgpr 0
		.amdhsa_reserve_vcc 0
		.amdhsa_reserve_flat_scratch 0
		.amdhsa_float_round_mode_32 0
		.amdhsa_float_round_mode_16_64 0
		.amdhsa_float_denorm_mode_32 3
		.amdhsa_float_denorm_mode_16_64 3
		.amdhsa_dx10_clamp 1
		.amdhsa_ieee_mode 1
		.amdhsa_fp16_overflow 0
		.amdhsa_exception_fp_ieee_invalid_op 0
		.amdhsa_exception_fp_denorm_src 0
		.amdhsa_exception_fp_ieee_div_zero 0
		.amdhsa_exception_fp_ieee_overflow 0
		.amdhsa_exception_fp_ieee_underflow 0
		.amdhsa_exception_fp_ieee_inexact 0
		.amdhsa_exception_int_div_zero 0
	.end_amdhsa_kernel
	.section	.text._ZN7rocprim17ROCPRIM_400000_NS6detail17trampoline_kernelINS0_14default_configENS1_36segmented_radix_sort_config_selectorIdlEEZNS1_25segmented_radix_sort_implIS3_Lb1EPKdPdPKlPlN2at6native12_GLOBAL__N_18offset_tEEE10hipError_tPvRmT1_PNSt15iterator_traitsISK_E10value_typeET2_T3_PNSL_ISQ_E10value_typeET4_jRbjT5_SW_jjP12ihipStream_tbEUlT_E0_NS1_11comp_targetILNS1_3genE10ELNS1_11target_archE1201ELNS1_3gpuE5ELNS1_3repE0EEENS1_60segmented_radix_sort_warp_sort_medium_config_static_selectorELNS0_4arch9wavefront6targetE1EEEvSK_,"axG",@progbits,_ZN7rocprim17ROCPRIM_400000_NS6detail17trampoline_kernelINS0_14default_configENS1_36segmented_radix_sort_config_selectorIdlEEZNS1_25segmented_radix_sort_implIS3_Lb1EPKdPdPKlPlN2at6native12_GLOBAL__N_18offset_tEEE10hipError_tPvRmT1_PNSt15iterator_traitsISK_E10value_typeET2_T3_PNSL_ISQ_E10value_typeET4_jRbjT5_SW_jjP12ihipStream_tbEUlT_E0_NS1_11comp_targetILNS1_3genE10ELNS1_11target_archE1201ELNS1_3gpuE5ELNS1_3repE0EEENS1_60segmented_radix_sort_warp_sort_medium_config_static_selectorELNS0_4arch9wavefront6targetE1EEEvSK_,comdat
.Lfunc_end1134:
	.size	_ZN7rocprim17ROCPRIM_400000_NS6detail17trampoline_kernelINS0_14default_configENS1_36segmented_radix_sort_config_selectorIdlEEZNS1_25segmented_radix_sort_implIS3_Lb1EPKdPdPKlPlN2at6native12_GLOBAL__N_18offset_tEEE10hipError_tPvRmT1_PNSt15iterator_traitsISK_E10value_typeET2_T3_PNSL_ISQ_E10value_typeET4_jRbjT5_SW_jjP12ihipStream_tbEUlT_E0_NS1_11comp_targetILNS1_3genE10ELNS1_11target_archE1201ELNS1_3gpuE5ELNS1_3repE0EEENS1_60segmented_radix_sort_warp_sort_medium_config_static_selectorELNS0_4arch9wavefront6targetE1EEEvSK_, .Lfunc_end1134-_ZN7rocprim17ROCPRIM_400000_NS6detail17trampoline_kernelINS0_14default_configENS1_36segmented_radix_sort_config_selectorIdlEEZNS1_25segmented_radix_sort_implIS3_Lb1EPKdPdPKlPlN2at6native12_GLOBAL__N_18offset_tEEE10hipError_tPvRmT1_PNSt15iterator_traitsISK_E10value_typeET2_T3_PNSL_ISQ_E10value_typeET4_jRbjT5_SW_jjP12ihipStream_tbEUlT_E0_NS1_11comp_targetILNS1_3genE10ELNS1_11target_archE1201ELNS1_3gpuE5ELNS1_3repE0EEENS1_60segmented_radix_sort_warp_sort_medium_config_static_selectorELNS0_4arch9wavefront6targetE1EEEvSK_
                                        ; -- End function
	.set _ZN7rocprim17ROCPRIM_400000_NS6detail17trampoline_kernelINS0_14default_configENS1_36segmented_radix_sort_config_selectorIdlEEZNS1_25segmented_radix_sort_implIS3_Lb1EPKdPdPKlPlN2at6native12_GLOBAL__N_18offset_tEEE10hipError_tPvRmT1_PNSt15iterator_traitsISK_E10value_typeET2_T3_PNSL_ISQ_E10value_typeET4_jRbjT5_SW_jjP12ihipStream_tbEUlT_E0_NS1_11comp_targetILNS1_3genE10ELNS1_11target_archE1201ELNS1_3gpuE5ELNS1_3repE0EEENS1_60segmented_radix_sort_warp_sort_medium_config_static_selectorELNS0_4arch9wavefront6targetE1EEEvSK_.num_vgpr, 0
	.set _ZN7rocprim17ROCPRIM_400000_NS6detail17trampoline_kernelINS0_14default_configENS1_36segmented_radix_sort_config_selectorIdlEEZNS1_25segmented_radix_sort_implIS3_Lb1EPKdPdPKlPlN2at6native12_GLOBAL__N_18offset_tEEE10hipError_tPvRmT1_PNSt15iterator_traitsISK_E10value_typeET2_T3_PNSL_ISQ_E10value_typeET4_jRbjT5_SW_jjP12ihipStream_tbEUlT_E0_NS1_11comp_targetILNS1_3genE10ELNS1_11target_archE1201ELNS1_3gpuE5ELNS1_3repE0EEENS1_60segmented_radix_sort_warp_sort_medium_config_static_selectorELNS0_4arch9wavefront6targetE1EEEvSK_.num_agpr, 0
	.set _ZN7rocprim17ROCPRIM_400000_NS6detail17trampoline_kernelINS0_14default_configENS1_36segmented_radix_sort_config_selectorIdlEEZNS1_25segmented_radix_sort_implIS3_Lb1EPKdPdPKlPlN2at6native12_GLOBAL__N_18offset_tEEE10hipError_tPvRmT1_PNSt15iterator_traitsISK_E10value_typeET2_T3_PNSL_ISQ_E10value_typeET4_jRbjT5_SW_jjP12ihipStream_tbEUlT_E0_NS1_11comp_targetILNS1_3genE10ELNS1_11target_archE1201ELNS1_3gpuE5ELNS1_3repE0EEENS1_60segmented_radix_sort_warp_sort_medium_config_static_selectorELNS0_4arch9wavefront6targetE1EEEvSK_.numbered_sgpr, 0
	.set _ZN7rocprim17ROCPRIM_400000_NS6detail17trampoline_kernelINS0_14default_configENS1_36segmented_radix_sort_config_selectorIdlEEZNS1_25segmented_radix_sort_implIS3_Lb1EPKdPdPKlPlN2at6native12_GLOBAL__N_18offset_tEEE10hipError_tPvRmT1_PNSt15iterator_traitsISK_E10value_typeET2_T3_PNSL_ISQ_E10value_typeET4_jRbjT5_SW_jjP12ihipStream_tbEUlT_E0_NS1_11comp_targetILNS1_3genE10ELNS1_11target_archE1201ELNS1_3gpuE5ELNS1_3repE0EEENS1_60segmented_radix_sort_warp_sort_medium_config_static_selectorELNS0_4arch9wavefront6targetE1EEEvSK_.num_named_barrier, 0
	.set _ZN7rocprim17ROCPRIM_400000_NS6detail17trampoline_kernelINS0_14default_configENS1_36segmented_radix_sort_config_selectorIdlEEZNS1_25segmented_radix_sort_implIS3_Lb1EPKdPdPKlPlN2at6native12_GLOBAL__N_18offset_tEEE10hipError_tPvRmT1_PNSt15iterator_traitsISK_E10value_typeET2_T3_PNSL_ISQ_E10value_typeET4_jRbjT5_SW_jjP12ihipStream_tbEUlT_E0_NS1_11comp_targetILNS1_3genE10ELNS1_11target_archE1201ELNS1_3gpuE5ELNS1_3repE0EEENS1_60segmented_radix_sort_warp_sort_medium_config_static_selectorELNS0_4arch9wavefront6targetE1EEEvSK_.private_seg_size, 0
	.set _ZN7rocprim17ROCPRIM_400000_NS6detail17trampoline_kernelINS0_14default_configENS1_36segmented_radix_sort_config_selectorIdlEEZNS1_25segmented_radix_sort_implIS3_Lb1EPKdPdPKlPlN2at6native12_GLOBAL__N_18offset_tEEE10hipError_tPvRmT1_PNSt15iterator_traitsISK_E10value_typeET2_T3_PNSL_ISQ_E10value_typeET4_jRbjT5_SW_jjP12ihipStream_tbEUlT_E0_NS1_11comp_targetILNS1_3genE10ELNS1_11target_archE1201ELNS1_3gpuE5ELNS1_3repE0EEENS1_60segmented_radix_sort_warp_sort_medium_config_static_selectorELNS0_4arch9wavefront6targetE1EEEvSK_.uses_vcc, 0
	.set _ZN7rocprim17ROCPRIM_400000_NS6detail17trampoline_kernelINS0_14default_configENS1_36segmented_radix_sort_config_selectorIdlEEZNS1_25segmented_radix_sort_implIS3_Lb1EPKdPdPKlPlN2at6native12_GLOBAL__N_18offset_tEEE10hipError_tPvRmT1_PNSt15iterator_traitsISK_E10value_typeET2_T3_PNSL_ISQ_E10value_typeET4_jRbjT5_SW_jjP12ihipStream_tbEUlT_E0_NS1_11comp_targetILNS1_3genE10ELNS1_11target_archE1201ELNS1_3gpuE5ELNS1_3repE0EEENS1_60segmented_radix_sort_warp_sort_medium_config_static_selectorELNS0_4arch9wavefront6targetE1EEEvSK_.uses_flat_scratch, 0
	.set _ZN7rocprim17ROCPRIM_400000_NS6detail17trampoline_kernelINS0_14default_configENS1_36segmented_radix_sort_config_selectorIdlEEZNS1_25segmented_radix_sort_implIS3_Lb1EPKdPdPKlPlN2at6native12_GLOBAL__N_18offset_tEEE10hipError_tPvRmT1_PNSt15iterator_traitsISK_E10value_typeET2_T3_PNSL_ISQ_E10value_typeET4_jRbjT5_SW_jjP12ihipStream_tbEUlT_E0_NS1_11comp_targetILNS1_3genE10ELNS1_11target_archE1201ELNS1_3gpuE5ELNS1_3repE0EEENS1_60segmented_radix_sort_warp_sort_medium_config_static_selectorELNS0_4arch9wavefront6targetE1EEEvSK_.has_dyn_sized_stack, 0
	.set _ZN7rocprim17ROCPRIM_400000_NS6detail17trampoline_kernelINS0_14default_configENS1_36segmented_radix_sort_config_selectorIdlEEZNS1_25segmented_radix_sort_implIS3_Lb1EPKdPdPKlPlN2at6native12_GLOBAL__N_18offset_tEEE10hipError_tPvRmT1_PNSt15iterator_traitsISK_E10value_typeET2_T3_PNSL_ISQ_E10value_typeET4_jRbjT5_SW_jjP12ihipStream_tbEUlT_E0_NS1_11comp_targetILNS1_3genE10ELNS1_11target_archE1201ELNS1_3gpuE5ELNS1_3repE0EEENS1_60segmented_radix_sort_warp_sort_medium_config_static_selectorELNS0_4arch9wavefront6targetE1EEEvSK_.has_recursion, 0
	.set _ZN7rocprim17ROCPRIM_400000_NS6detail17trampoline_kernelINS0_14default_configENS1_36segmented_radix_sort_config_selectorIdlEEZNS1_25segmented_radix_sort_implIS3_Lb1EPKdPdPKlPlN2at6native12_GLOBAL__N_18offset_tEEE10hipError_tPvRmT1_PNSt15iterator_traitsISK_E10value_typeET2_T3_PNSL_ISQ_E10value_typeET4_jRbjT5_SW_jjP12ihipStream_tbEUlT_E0_NS1_11comp_targetILNS1_3genE10ELNS1_11target_archE1201ELNS1_3gpuE5ELNS1_3repE0EEENS1_60segmented_radix_sort_warp_sort_medium_config_static_selectorELNS0_4arch9wavefront6targetE1EEEvSK_.has_indirect_call, 0
	.section	.AMDGPU.csdata,"",@progbits
; Kernel info:
; codeLenInByte = 0
; TotalNumSgprs: 4
; NumVgprs: 0
; ScratchSize: 0
; MemoryBound: 0
; FloatMode: 240
; IeeeMode: 1
; LDSByteSize: 0 bytes/workgroup (compile time only)
; SGPRBlocks: 0
; VGPRBlocks: 0
; NumSGPRsForWavesPerEU: 4
; NumVGPRsForWavesPerEU: 1
; Occupancy: 10
; WaveLimiterHint : 0
; COMPUTE_PGM_RSRC2:SCRATCH_EN: 0
; COMPUTE_PGM_RSRC2:USER_SGPR: 6
; COMPUTE_PGM_RSRC2:TRAP_HANDLER: 0
; COMPUTE_PGM_RSRC2:TGID_X_EN: 1
; COMPUTE_PGM_RSRC2:TGID_Y_EN: 0
; COMPUTE_PGM_RSRC2:TGID_Z_EN: 0
; COMPUTE_PGM_RSRC2:TIDIG_COMP_CNT: 0
	.section	.text._ZN7rocprim17ROCPRIM_400000_NS6detail17trampoline_kernelINS0_14default_configENS1_36segmented_radix_sort_config_selectorIdlEEZNS1_25segmented_radix_sort_implIS3_Lb1EPKdPdPKlPlN2at6native12_GLOBAL__N_18offset_tEEE10hipError_tPvRmT1_PNSt15iterator_traitsISK_E10value_typeET2_T3_PNSL_ISQ_E10value_typeET4_jRbjT5_SW_jjP12ihipStream_tbEUlT_E0_NS1_11comp_targetILNS1_3genE10ELNS1_11target_archE1200ELNS1_3gpuE4ELNS1_3repE0EEENS1_60segmented_radix_sort_warp_sort_medium_config_static_selectorELNS0_4arch9wavefront6targetE1EEEvSK_,"axG",@progbits,_ZN7rocprim17ROCPRIM_400000_NS6detail17trampoline_kernelINS0_14default_configENS1_36segmented_radix_sort_config_selectorIdlEEZNS1_25segmented_radix_sort_implIS3_Lb1EPKdPdPKlPlN2at6native12_GLOBAL__N_18offset_tEEE10hipError_tPvRmT1_PNSt15iterator_traitsISK_E10value_typeET2_T3_PNSL_ISQ_E10value_typeET4_jRbjT5_SW_jjP12ihipStream_tbEUlT_E0_NS1_11comp_targetILNS1_3genE10ELNS1_11target_archE1200ELNS1_3gpuE4ELNS1_3repE0EEENS1_60segmented_radix_sort_warp_sort_medium_config_static_selectorELNS0_4arch9wavefront6targetE1EEEvSK_,comdat
	.globl	_ZN7rocprim17ROCPRIM_400000_NS6detail17trampoline_kernelINS0_14default_configENS1_36segmented_radix_sort_config_selectorIdlEEZNS1_25segmented_radix_sort_implIS3_Lb1EPKdPdPKlPlN2at6native12_GLOBAL__N_18offset_tEEE10hipError_tPvRmT1_PNSt15iterator_traitsISK_E10value_typeET2_T3_PNSL_ISQ_E10value_typeET4_jRbjT5_SW_jjP12ihipStream_tbEUlT_E0_NS1_11comp_targetILNS1_3genE10ELNS1_11target_archE1200ELNS1_3gpuE4ELNS1_3repE0EEENS1_60segmented_radix_sort_warp_sort_medium_config_static_selectorELNS0_4arch9wavefront6targetE1EEEvSK_ ; -- Begin function _ZN7rocprim17ROCPRIM_400000_NS6detail17trampoline_kernelINS0_14default_configENS1_36segmented_radix_sort_config_selectorIdlEEZNS1_25segmented_radix_sort_implIS3_Lb1EPKdPdPKlPlN2at6native12_GLOBAL__N_18offset_tEEE10hipError_tPvRmT1_PNSt15iterator_traitsISK_E10value_typeET2_T3_PNSL_ISQ_E10value_typeET4_jRbjT5_SW_jjP12ihipStream_tbEUlT_E0_NS1_11comp_targetILNS1_3genE10ELNS1_11target_archE1200ELNS1_3gpuE4ELNS1_3repE0EEENS1_60segmented_radix_sort_warp_sort_medium_config_static_selectorELNS0_4arch9wavefront6targetE1EEEvSK_
	.p2align	8
	.type	_ZN7rocprim17ROCPRIM_400000_NS6detail17trampoline_kernelINS0_14default_configENS1_36segmented_radix_sort_config_selectorIdlEEZNS1_25segmented_radix_sort_implIS3_Lb1EPKdPdPKlPlN2at6native12_GLOBAL__N_18offset_tEEE10hipError_tPvRmT1_PNSt15iterator_traitsISK_E10value_typeET2_T3_PNSL_ISQ_E10value_typeET4_jRbjT5_SW_jjP12ihipStream_tbEUlT_E0_NS1_11comp_targetILNS1_3genE10ELNS1_11target_archE1200ELNS1_3gpuE4ELNS1_3repE0EEENS1_60segmented_radix_sort_warp_sort_medium_config_static_selectorELNS0_4arch9wavefront6targetE1EEEvSK_,@function
_ZN7rocprim17ROCPRIM_400000_NS6detail17trampoline_kernelINS0_14default_configENS1_36segmented_radix_sort_config_selectorIdlEEZNS1_25segmented_radix_sort_implIS3_Lb1EPKdPdPKlPlN2at6native12_GLOBAL__N_18offset_tEEE10hipError_tPvRmT1_PNSt15iterator_traitsISK_E10value_typeET2_T3_PNSL_ISQ_E10value_typeET4_jRbjT5_SW_jjP12ihipStream_tbEUlT_E0_NS1_11comp_targetILNS1_3genE10ELNS1_11target_archE1200ELNS1_3gpuE4ELNS1_3repE0EEENS1_60segmented_radix_sort_warp_sort_medium_config_static_selectorELNS0_4arch9wavefront6targetE1EEEvSK_: ; @_ZN7rocprim17ROCPRIM_400000_NS6detail17trampoline_kernelINS0_14default_configENS1_36segmented_radix_sort_config_selectorIdlEEZNS1_25segmented_radix_sort_implIS3_Lb1EPKdPdPKlPlN2at6native12_GLOBAL__N_18offset_tEEE10hipError_tPvRmT1_PNSt15iterator_traitsISK_E10value_typeET2_T3_PNSL_ISQ_E10value_typeET4_jRbjT5_SW_jjP12ihipStream_tbEUlT_E0_NS1_11comp_targetILNS1_3genE10ELNS1_11target_archE1200ELNS1_3gpuE4ELNS1_3repE0EEENS1_60segmented_radix_sort_warp_sort_medium_config_static_selectorELNS0_4arch9wavefront6targetE1EEEvSK_
; %bb.0:
	.section	.rodata,"a",@progbits
	.p2align	6, 0x0
	.amdhsa_kernel _ZN7rocprim17ROCPRIM_400000_NS6detail17trampoline_kernelINS0_14default_configENS1_36segmented_radix_sort_config_selectorIdlEEZNS1_25segmented_radix_sort_implIS3_Lb1EPKdPdPKlPlN2at6native12_GLOBAL__N_18offset_tEEE10hipError_tPvRmT1_PNSt15iterator_traitsISK_E10value_typeET2_T3_PNSL_ISQ_E10value_typeET4_jRbjT5_SW_jjP12ihipStream_tbEUlT_E0_NS1_11comp_targetILNS1_3genE10ELNS1_11target_archE1200ELNS1_3gpuE4ELNS1_3repE0EEENS1_60segmented_radix_sort_warp_sort_medium_config_static_selectorELNS0_4arch9wavefront6targetE1EEEvSK_
		.amdhsa_group_segment_fixed_size 0
		.amdhsa_private_segment_fixed_size 0
		.amdhsa_kernarg_size 88
		.amdhsa_user_sgpr_count 6
		.amdhsa_user_sgpr_private_segment_buffer 1
		.amdhsa_user_sgpr_dispatch_ptr 0
		.amdhsa_user_sgpr_queue_ptr 0
		.amdhsa_user_sgpr_kernarg_segment_ptr 1
		.amdhsa_user_sgpr_dispatch_id 0
		.amdhsa_user_sgpr_flat_scratch_init 0
		.amdhsa_user_sgpr_private_segment_size 0
		.amdhsa_uses_dynamic_stack 0
		.amdhsa_system_sgpr_private_segment_wavefront_offset 0
		.amdhsa_system_sgpr_workgroup_id_x 1
		.amdhsa_system_sgpr_workgroup_id_y 0
		.amdhsa_system_sgpr_workgroup_id_z 0
		.amdhsa_system_sgpr_workgroup_info 0
		.amdhsa_system_vgpr_workitem_id 0
		.amdhsa_next_free_vgpr 1
		.amdhsa_next_free_sgpr 0
		.amdhsa_reserve_vcc 0
		.amdhsa_reserve_flat_scratch 0
		.amdhsa_float_round_mode_32 0
		.amdhsa_float_round_mode_16_64 0
		.amdhsa_float_denorm_mode_32 3
		.amdhsa_float_denorm_mode_16_64 3
		.amdhsa_dx10_clamp 1
		.amdhsa_ieee_mode 1
		.amdhsa_fp16_overflow 0
		.amdhsa_exception_fp_ieee_invalid_op 0
		.amdhsa_exception_fp_denorm_src 0
		.amdhsa_exception_fp_ieee_div_zero 0
		.amdhsa_exception_fp_ieee_overflow 0
		.amdhsa_exception_fp_ieee_underflow 0
		.amdhsa_exception_fp_ieee_inexact 0
		.amdhsa_exception_int_div_zero 0
	.end_amdhsa_kernel
	.section	.text._ZN7rocprim17ROCPRIM_400000_NS6detail17trampoline_kernelINS0_14default_configENS1_36segmented_radix_sort_config_selectorIdlEEZNS1_25segmented_radix_sort_implIS3_Lb1EPKdPdPKlPlN2at6native12_GLOBAL__N_18offset_tEEE10hipError_tPvRmT1_PNSt15iterator_traitsISK_E10value_typeET2_T3_PNSL_ISQ_E10value_typeET4_jRbjT5_SW_jjP12ihipStream_tbEUlT_E0_NS1_11comp_targetILNS1_3genE10ELNS1_11target_archE1200ELNS1_3gpuE4ELNS1_3repE0EEENS1_60segmented_radix_sort_warp_sort_medium_config_static_selectorELNS0_4arch9wavefront6targetE1EEEvSK_,"axG",@progbits,_ZN7rocprim17ROCPRIM_400000_NS6detail17trampoline_kernelINS0_14default_configENS1_36segmented_radix_sort_config_selectorIdlEEZNS1_25segmented_radix_sort_implIS3_Lb1EPKdPdPKlPlN2at6native12_GLOBAL__N_18offset_tEEE10hipError_tPvRmT1_PNSt15iterator_traitsISK_E10value_typeET2_T3_PNSL_ISQ_E10value_typeET4_jRbjT5_SW_jjP12ihipStream_tbEUlT_E0_NS1_11comp_targetILNS1_3genE10ELNS1_11target_archE1200ELNS1_3gpuE4ELNS1_3repE0EEENS1_60segmented_radix_sort_warp_sort_medium_config_static_selectorELNS0_4arch9wavefront6targetE1EEEvSK_,comdat
.Lfunc_end1135:
	.size	_ZN7rocprim17ROCPRIM_400000_NS6detail17trampoline_kernelINS0_14default_configENS1_36segmented_radix_sort_config_selectorIdlEEZNS1_25segmented_radix_sort_implIS3_Lb1EPKdPdPKlPlN2at6native12_GLOBAL__N_18offset_tEEE10hipError_tPvRmT1_PNSt15iterator_traitsISK_E10value_typeET2_T3_PNSL_ISQ_E10value_typeET4_jRbjT5_SW_jjP12ihipStream_tbEUlT_E0_NS1_11comp_targetILNS1_3genE10ELNS1_11target_archE1200ELNS1_3gpuE4ELNS1_3repE0EEENS1_60segmented_radix_sort_warp_sort_medium_config_static_selectorELNS0_4arch9wavefront6targetE1EEEvSK_, .Lfunc_end1135-_ZN7rocprim17ROCPRIM_400000_NS6detail17trampoline_kernelINS0_14default_configENS1_36segmented_radix_sort_config_selectorIdlEEZNS1_25segmented_radix_sort_implIS3_Lb1EPKdPdPKlPlN2at6native12_GLOBAL__N_18offset_tEEE10hipError_tPvRmT1_PNSt15iterator_traitsISK_E10value_typeET2_T3_PNSL_ISQ_E10value_typeET4_jRbjT5_SW_jjP12ihipStream_tbEUlT_E0_NS1_11comp_targetILNS1_3genE10ELNS1_11target_archE1200ELNS1_3gpuE4ELNS1_3repE0EEENS1_60segmented_radix_sort_warp_sort_medium_config_static_selectorELNS0_4arch9wavefront6targetE1EEEvSK_
                                        ; -- End function
	.set _ZN7rocprim17ROCPRIM_400000_NS6detail17trampoline_kernelINS0_14default_configENS1_36segmented_radix_sort_config_selectorIdlEEZNS1_25segmented_radix_sort_implIS3_Lb1EPKdPdPKlPlN2at6native12_GLOBAL__N_18offset_tEEE10hipError_tPvRmT1_PNSt15iterator_traitsISK_E10value_typeET2_T3_PNSL_ISQ_E10value_typeET4_jRbjT5_SW_jjP12ihipStream_tbEUlT_E0_NS1_11comp_targetILNS1_3genE10ELNS1_11target_archE1200ELNS1_3gpuE4ELNS1_3repE0EEENS1_60segmented_radix_sort_warp_sort_medium_config_static_selectorELNS0_4arch9wavefront6targetE1EEEvSK_.num_vgpr, 0
	.set _ZN7rocprim17ROCPRIM_400000_NS6detail17trampoline_kernelINS0_14default_configENS1_36segmented_radix_sort_config_selectorIdlEEZNS1_25segmented_radix_sort_implIS3_Lb1EPKdPdPKlPlN2at6native12_GLOBAL__N_18offset_tEEE10hipError_tPvRmT1_PNSt15iterator_traitsISK_E10value_typeET2_T3_PNSL_ISQ_E10value_typeET4_jRbjT5_SW_jjP12ihipStream_tbEUlT_E0_NS1_11comp_targetILNS1_3genE10ELNS1_11target_archE1200ELNS1_3gpuE4ELNS1_3repE0EEENS1_60segmented_radix_sort_warp_sort_medium_config_static_selectorELNS0_4arch9wavefront6targetE1EEEvSK_.num_agpr, 0
	.set _ZN7rocprim17ROCPRIM_400000_NS6detail17trampoline_kernelINS0_14default_configENS1_36segmented_radix_sort_config_selectorIdlEEZNS1_25segmented_radix_sort_implIS3_Lb1EPKdPdPKlPlN2at6native12_GLOBAL__N_18offset_tEEE10hipError_tPvRmT1_PNSt15iterator_traitsISK_E10value_typeET2_T3_PNSL_ISQ_E10value_typeET4_jRbjT5_SW_jjP12ihipStream_tbEUlT_E0_NS1_11comp_targetILNS1_3genE10ELNS1_11target_archE1200ELNS1_3gpuE4ELNS1_3repE0EEENS1_60segmented_radix_sort_warp_sort_medium_config_static_selectorELNS0_4arch9wavefront6targetE1EEEvSK_.numbered_sgpr, 0
	.set _ZN7rocprim17ROCPRIM_400000_NS6detail17trampoline_kernelINS0_14default_configENS1_36segmented_radix_sort_config_selectorIdlEEZNS1_25segmented_radix_sort_implIS3_Lb1EPKdPdPKlPlN2at6native12_GLOBAL__N_18offset_tEEE10hipError_tPvRmT1_PNSt15iterator_traitsISK_E10value_typeET2_T3_PNSL_ISQ_E10value_typeET4_jRbjT5_SW_jjP12ihipStream_tbEUlT_E0_NS1_11comp_targetILNS1_3genE10ELNS1_11target_archE1200ELNS1_3gpuE4ELNS1_3repE0EEENS1_60segmented_radix_sort_warp_sort_medium_config_static_selectorELNS0_4arch9wavefront6targetE1EEEvSK_.num_named_barrier, 0
	.set _ZN7rocprim17ROCPRIM_400000_NS6detail17trampoline_kernelINS0_14default_configENS1_36segmented_radix_sort_config_selectorIdlEEZNS1_25segmented_radix_sort_implIS3_Lb1EPKdPdPKlPlN2at6native12_GLOBAL__N_18offset_tEEE10hipError_tPvRmT1_PNSt15iterator_traitsISK_E10value_typeET2_T3_PNSL_ISQ_E10value_typeET4_jRbjT5_SW_jjP12ihipStream_tbEUlT_E0_NS1_11comp_targetILNS1_3genE10ELNS1_11target_archE1200ELNS1_3gpuE4ELNS1_3repE0EEENS1_60segmented_radix_sort_warp_sort_medium_config_static_selectorELNS0_4arch9wavefront6targetE1EEEvSK_.private_seg_size, 0
	.set _ZN7rocprim17ROCPRIM_400000_NS6detail17trampoline_kernelINS0_14default_configENS1_36segmented_radix_sort_config_selectorIdlEEZNS1_25segmented_radix_sort_implIS3_Lb1EPKdPdPKlPlN2at6native12_GLOBAL__N_18offset_tEEE10hipError_tPvRmT1_PNSt15iterator_traitsISK_E10value_typeET2_T3_PNSL_ISQ_E10value_typeET4_jRbjT5_SW_jjP12ihipStream_tbEUlT_E0_NS1_11comp_targetILNS1_3genE10ELNS1_11target_archE1200ELNS1_3gpuE4ELNS1_3repE0EEENS1_60segmented_radix_sort_warp_sort_medium_config_static_selectorELNS0_4arch9wavefront6targetE1EEEvSK_.uses_vcc, 0
	.set _ZN7rocprim17ROCPRIM_400000_NS6detail17trampoline_kernelINS0_14default_configENS1_36segmented_radix_sort_config_selectorIdlEEZNS1_25segmented_radix_sort_implIS3_Lb1EPKdPdPKlPlN2at6native12_GLOBAL__N_18offset_tEEE10hipError_tPvRmT1_PNSt15iterator_traitsISK_E10value_typeET2_T3_PNSL_ISQ_E10value_typeET4_jRbjT5_SW_jjP12ihipStream_tbEUlT_E0_NS1_11comp_targetILNS1_3genE10ELNS1_11target_archE1200ELNS1_3gpuE4ELNS1_3repE0EEENS1_60segmented_radix_sort_warp_sort_medium_config_static_selectorELNS0_4arch9wavefront6targetE1EEEvSK_.uses_flat_scratch, 0
	.set _ZN7rocprim17ROCPRIM_400000_NS6detail17trampoline_kernelINS0_14default_configENS1_36segmented_radix_sort_config_selectorIdlEEZNS1_25segmented_radix_sort_implIS3_Lb1EPKdPdPKlPlN2at6native12_GLOBAL__N_18offset_tEEE10hipError_tPvRmT1_PNSt15iterator_traitsISK_E10value_typeET2_T3_PNSL_ISQ_E10value_typeET4_jRbjT5_SW_jjP12ihipStream_tbEUlT_E0_NS1_11comp_targetILNS1_3genE10ELNS1_11target_archE1200ELNS1_3gpuE4ELNS1_3repE0EEENS1_60segmented_radix_sort_warp_sort_medium_config_static_selectorELNS0_4arch9wavefront6targetE1EEEvSK_.has_dyn_sized_stack, 0
	.set _ZN7rocprim17ROCPRIM_400000_NS6detail17trampoline_kernelINS0_14default_configENS1_36segmented_radix_sort_config_selectorIdlEEZNS1_25segmented_radix_sort_implIS3_Lb1EPKdPdPKlPlN2at6native12_GLOBAL__N_18offset_tEEE10hipError_tPvRmT1_PNSt15iterator_traitsISK_E10value_typeET2_T3_PNSL_ISQ_E10value_typeET4_jRbjT5_SW_jjP12ihipStream_tbEUlT_E0_NS1_11comp_targetILNS1_3genE10ELNS1_11target_archE1200ELNS1_3gpuE4ELNS1_3repE0EEENS1_60segmented_radix_sort_warp_sort_medium_config_static_selectorELNS0_4arch9wavefront6targetE1EEEvSK_.has_recursion, 0
	.set _ZN7rocprim17ROCPRIM_400000_NS6detail17trampoline_kernelINS0_14default_configENS1_36segmented_radix_sort_config_selectorIdlEEZNS1_25segmented_radix_sort_implIS3_Lb1EPKdPdPKlPlN2at6native12_GLOBAL__N_18offset_tEEE10hipError_tPvRmT1_PNSt15iterator_traitsISK_E10value_typeET2_T3_PNSL_ISQ_E10value_typeET4_jRbjT5_SW_jjP12ihipStream_tbEUlT_E0_NS1_11comp_targetILNS1_3genE10ELNS1_11target_archE1200ELNS1_3gpuE4ELNS1_3repE0EEENS1_60segmented_radix_sort_warp_sort_medium_config_static_selectorELNS0_4arch9wavefront6targetE1EEEvSK_.has_indirect_call, 0
	.section	.AMDGPU.csdata,"",@progbits
; Kernel info:
; codeLenInByte = 0
; TotalNumSgprs: 4
; NumVgprs: 0
; ScratchSize: 0
; MemoryBound: 0
; FloatMode: 240
; IeeeMode: 1
; LDSByteSize: 0 bytes/workgroup (compile time only)
; SGPRBlocks: 0
; VGPRBlocks: 0
; NumSGPRsForWavesPerEU: 4
; NumVGPRsForWavesPerEU: 1
; Occupancy: 10
; WaveLimiterHint : 0
; COMPUTE_PGM_RSRC2:SCRATCH_EN: 0
; COMPUTE_PGM_RSRC2:USER_SGPR: 6
; COMPUTE_PGM_RSRC2:TRAP_HANDLER: 0
; COMPUTE_PGM_RSRC2:TGID_X_EN: 1
; COMPUTE_PGM_RSRC2:TGID_Y_EN: 0
; COMPUTE_PGM_RSRC2:TGID_Z_EN: 0
; COMPUTE_PGM_RSRC2:TIDIG_COMP_CNT: 0
	.section	.text._ZN7rocprim17ROCPRIM_400000_NS6detail17trampoline_kernelINS0_14default_configENS1_36segmented_radix_sort_config_selectorIdlEEZNS1_25segmented_radix_sort_implIS3_Lb1EPKdPdPKlPlN2at6native12_GLOBAL__N_18offset_tEEE10hipError_tPvRmT1_PNSt15iterator_traitsISK_E10value_typeET2_T3_PNSL_ISQ_E10value_typeET4_jRbjT5_SW_jjP12ihipStream_tbEUlT_E0_NS1_11comp_targetILNS1_3genE9ELNS1_11target_archE1100ELNS1_3gpuE3ELNS1_3repE0EEENS1_60segmented_radix_sort_warp_sort_medium_config_static_selectorELNS0_4arch9wavefront6targetE1EEEvSK_,"axG",@progbits,_ZN7rocprim17ROCPRIM_400000_NS6detail17trampoline_kernelINS0_14default_configENS1_36segmented_radix_sort_config_selectorIdlEEZNS1_25segmented_radix_sort_implIS3_Lb1EPKdPdPKlPlN2at6native12_GLOBAL__N_18offset_tEEE10hipError_tPvRmT1_PNSt15iterator_traitsISK_E10value_typeET2_T3_PNSL_ISQ_E10value_typeET4_jRbjT5_SW_jjP12ihipStream_tbEUlT_E0_NS1_11comp_targetILNS1_3genE9ELNS1_11target_archE1100ELNS1_3gpuE3ELNS1_3repE0EEENS1_60segmented_radix_sort_warp_sort_medium_config_static_selectorELNS0_4arch9wavefront6targetE1EEEvSK_,comdat
	.globl	_ZN7rocprim17ROCPRIM_400000_NS6detail17trampoline_kernelINS0_14default_configENS1_36segmented_radix_sort_config_selectorIdlEEZNS1_25segmented_radix_sort_implIS3_Lb1EPKdPdPKlPlN2at6native12_GLOBAL__N_18offset_tEEE10hipError_tPvRmT1_PNSt15iterator_traitsISK_E10value_typeET2_T3_PNSL_ISQ_E10value_typeET4_jRbjT5_SW_jjP12ihipStream_tbEUlT_E0_NS1_11comp_targetILNS1_3genE9ELNS1_11target_archE1100ELNS1_3gpuE3ELNS1_3repE0EEENS1_60segmented_radix_sort_warp_sort_medium_config_static_selectorELNS0_4arch9wavefront6targetE1EEEvSK_ ; -- Begin function _ZN7rocprim17ROCPRIM_400000_NS6detail17trampoline_kernelINS0_14default_configENS1_36segmented_radix_sort_config_selectorIdlEEZNS1_25segmented_radix_sort_implIS3_Lb1EPKdPdPKlPlN2at6native12_GLOBAL__N_18offset_tEEE10hipError_tPvRmT1_PNSt15iterator_traitsISK_E10value_typeET2_T3_PNSL_ISQ_E10value_typeET4_jRbjT5_SW_jjP12ihipStream_tbEUlT_E0_NS1_11comp_targetILNS1_3genE9ELNS1_11target_archE1100ELNS1_3gpuE3ELNS1_3repE0EEENS1_60segmented_radix_sort_warp_sort_medium_config_static_selectorELNS0_4arch9wavefront6targetE1EEEvSK_
	.p2align	8
	.type	_ZN7rocprim17ROCPRIM_400000_NS6detail17trampoline_kernelINS0_14default_configENS1_36segmented_radix_sort_config_selectorIdlEEZNS1_25segmented_radix_sort_implIS3_Lb1EPKdPdPKlPlN2at6native12_GLOBAL__N_18offset_tEEE10hipError_tPvRmT1_PNSt15iterator_traitsISK_E10value_typeET2_T3_PNSL_ISQ_E10value_typeET4_jRbjT5_SW_jjP12ihipStream_tbEUlT_E0_NS1_11comp_targetILNS1_3genE9ELNS1_11target_archE1100ELNS1_3gpuE3ELNS1_3repE0EEENS1_60segmented_radix_sort_warp_sort_medium_config_static_selectorELNS0_4arch9wavefront6targetE1EEEvSK_,@function
_ZN7rocprim17ROCPRIM_400000_NS6detail17trampoline_kernelINS0_14default_configENS1_36segmented_radix_sort_config_selectorIdlEEZNS1_25segmented_radix_sort_implIS3_Lb1EPKdPdPKlPlN2at6native12_GLOBAL__N_18offset_tEEE10hipError_tPvRmT1_PNSt15iterator_traitsISK_E10value_typeET2_T3_PNSL_ISQ_E10value_typeET4_jRbjT5_SW_jjP12ihipStream_tbEUlT_E0_NS1_11comp_targetILNS1_3genE9ELNS1_11target_archE1100ELNS1_3gpuE3ELNS1_3repE0EEENS1_60segmented_radix_sort_warp_sort_medium_config_static_selectorELNS0_4arch9wavefront6targetE1EEEvSK_: ; @_ZN7rocprim17ROCPRIM_400000_NS6detail17trampoline_kernelINS0_14default_configENS1_36segmented_radix_sort_config_selectorIdlEEZNS1_25segmented_radix_sort_implIS3_Lb1EPKdPdPKlPlN2at6native12_GLOBAL__N_18offset_tEEE10hipError_tPvRmT1_PNSt15iterator_traitsISK_E10value_typeET2_T3_PNSL_ISQ_E10value_typeET4_jRbjT5_SW_jjP12ihipStream_tbEUlT_E0_NS1_11comp_targetILNS1_3genE9ELNS1_11target_archE1100ELNS1_3gpuE3ELNS1_3repE0EEENS1_60segmented_radix_sort_warp_sort_medium_config_static_selectorELNS0_4arch9wavefront6targetE1EEEvSK_
; %bb.0:
	.section	.rodata,"a",@progbits
	.p2align	6, 0x0
	.amdhsa_kernel _ZN7rocprim17ROCPRIM_400000_NS6detail17trampoline_kernelINS0_14default_configENS1_36segmented_radix_sort_config_selectorIdlEEZNS1_25segmented_radix_sort_implIS3_Lb1EPKdPdPKlPlN2at6native12_GLOBAL__N_18offset_tEEE10hipError_tPvRmT1_PNSt15iterator_traitsISK_E10value_typeET2_T3_PNSL_ISQ_E10value_typeET4_jRbjT5_SW_jjP12ihipStream_tbEUlT_E0_NS1_11comp_targetILNS1_3genE9ELNS1_11target_archE1100ELNS1_3gpuE3ELNS1_3repE0EEENS1_60segmented_radix_sort_warp_sort_medium_config_static_selectorELNS0_4arch9wavefront6targetE1EEEvSK_
		.amdhsa_group_segment_fixed_size 0
		.amdhsa_private_segment_fixed_size 0
		.amdhsa_kernarg_size 88
		.amdhsa_user_sgpr_count 6
		.amdhsa_user_sgpr_private_segment_buffer 1
		.amdhsa_user_sgpr_dispatch_ptr 0
		.amdhsa_user_sgpr_queue_ptr 0
		.amdhsa_user_sgpr_kernarg_segment_ptr 1
		.amdhsa_user_sgpr_dispatch_id 0
		.amdhsa_user_sgpr_flat_scratch_init 0
		.amdhsa_user_sgpr_private_segment_size 0
		.amdhsa_uses_dynamic_stack 0
		.amdhsa_system_sgpr_private_segment_wavefront_offset 0
		.amdhsa_system_sgpr_workgroup_id_x 1
		.amdhsa_system_sgpr_workgroup_id_y 0
		.amdhsa_system_sgpr_workgroup_id_z 0
		.amdhsa_system_sgpr_workgroup_info 0
		.amdhsa_system_vgpr_workitem_id 0
		.amdhsa_next_free_vgpr 1
		.amdhsa_next_free_sgpr 0
		.amdhsa_reserve_vcc 0
		.amdhsa_reserve_flat_scratch 0
		.amdhsa_float_round_mode_32 0
		.amdhsa_float_round_mode_16_64 0
		.amdhsa_float_denorm_mode_32 3
		.amdhsa_float_denorm_mode_16_64 3
		.amdhsa_dx10_clamp 1
		.amdhsa_ieee_mode 1
		.amdhsa_fp16_overflow 0
		.amdhsa_exception_fp_ieee_invalid_op 0
		.amdhsa_exception_fp_denorm_src 0
		.amdhsa_exception_fp_ieee_div_zero 0
		.amdhsa_exception_fp_ieee_overflow 0
		.amdhsa_exception_fp_ieee_underflow 0
		.amdhsa_exception_fp_ieee_inexact 0
		.amdhsa_exception_int_div_zero 0
	.end_amdhsa_kernel
	.section	.text._ZN7rocprim17ROCPRIM_400000_NS6detail17trampoline_kernelINS0_14default_configENS1_36segmented_radix_sort_config_selectorIdlEEZNS1_25segmented_radix_sort_implIS3_Lb1EPKdPdPKlPlN2at6native12_GLOBAL__N_18offset_tEEE10hipError_tPvRmT1_PNSt15iterator_traitsISK_E10value_typeET2_T3_PNSL_ISQ_E10value_typeET4_jRbjT5_SW_jjP12ihipStream_tbEUlT_E0_NS1_11comp_targetILNS1_3genE9ELNS1_11target_archE1100ELNS1_3gpuE3ELNS1_3repE0EEENS1_60segmented_radix_sort_warp_sort_medium_config_static_selectorELNS0_4arch9wavefront6targetE1EEEvSK_,"axG",@progbits,_ZN7rocprim17ROCPRIM_400000_NS6detail17trampoline_kernelINS0_14default_configENS1_36segmented_radix_sort_config_selectorIdlEEZNS1_25segmented_radix_sort_implIS3_Lb1EPKdPdPKlPlN2at6native12_GLOBAL__N_18offset_tEEE10hipError_tPvRmT1_PNSt15iterator_traitsISK_E10value_typeET2_T3_PNSL_ISQ_E10value_typeET4_jRbjT5_SW_jjP12ihipStream_tbEUlT_E0_NS1_11comp_targetILNS1_3genE9ELNS1_11target_archE1100ELNS1_3gpuE3ELNS1_3repE0EEENS1_60segmented_radix_sort_warp_sort_medium_config_static_selectorELNS0_4arch9wavefront6targetE1EEEvSK_,comdat
.Lfunc_end1136:
	.size	_ZN7rocprim17ROCPRIM_400000_NS6detail17trampoline_kernelINS0_14default_configENS1_36segmented_radix_sort_config_selectorIdlEEZNS1_25segmented_radix_sort_implIS3_Lb1EPKdPdPKlPlN2at6native12_GLOBAL__N_18offset_tEEE10hipError_tPvRmT1_PNSt15iterator_traitsISK_E10value_typeET2_T3_PNSL_ISQ_E10value_typeET4_jRbjT5_SW_jjP12ihipStream_tbEUlT_E0_NS1_11comp_targetILNS1_3genE9ELNS1_11target_archE1100ELNS1_3gpuE3ELNS1_3repE0EEENS1_60segmented_radix_sort_warp_sort_medium_config_static_selectorELNS0_4arch9wavefront6targetE1EEEvSK_, .Lfunc_end1136-_ZN7rocprim17ROCPRIM_400000_NS6detail17trampoline_kernelINS0_14default_configENS1_36segmented_radix_sort_config_selectorIdlEEZNS1_25segmented_radix_sort_implIS3_Lb1EPKdPdPKlPlN2at6native12_GLOBAL__N_18offset_tEEE10hipError_tPvRmT1_PNSt15iterator_traitsISK_E10value_typeET2_T3_PNSL_ISQ_E10value_typeET4_jRbjT5_SW_jjP12ihipStream_tbEUlT_E0_NS1_11comp_targetILNS1_3genE9ELNS1_11target_archE1100ELNS1_3gpuE3ELNS1_3repE0EEENS1_60segmented_radix_sort_warp_sort_medium_config_static_selectorELNS0_4arch9wavefront6targetE1EEEvSK_
                                        ; -- End function
	.set _ZN7rocprim17ROCPRIM_400000_NS6detail17trampoline_kernelINS0_14default_configENS1_36segmented_radix_sort_config_selectorIdlEEZNS1_25segmented_radix_sort_implIS3_Lb1EPKdPdPKlPlN2at6native12_GLOBAL__N_18offset_tEEE10hipError_tPvRmT1_PNSt15iterator_traitsISK_E10value_typeET2_T3_PNSL_ISQ_E10value_typeET4_jRbjT5_SW_jjP12ihipStream_tbEUlT_E0_NS1_11comp_targetILNS1_3genE9ELNS1_11target_archE1100ELNS1_3gpuE3ELNS1_3repE0EEENS1_60segmented_radix_sort_warp_sort_medium_config_static_selectorELNS0_4arch9wavefront6targetE1EEEvSK_.num_vgpr, 0
	.set _ZN7rocprim17ROCPRIM_400000_NS6detail17trampoline_kernelINS0_14default_configENS1_36segmented_radix_sort_config_selectorIdlEEZNS1_25segmented_radix_sort_implIS3_Lb1EPKdPdPKlPlN2at6native12_GLOBAL__N_18offset_tEEE10hipError_tPvRmT1_PNSt15iterator_traitsISK_E10value_typeET2_T3_PNSL_ISQ_E10value_typeET4_jRbjT5_SW_jjP12ihipStream_tbEUlT_E0_NS1_11comp_targetILNS1_3genE9ELNS1_11target_archE1100ELNS1_3gpuE3ELNS1_3repE0EEENS1_60segmented_radix_sort_warp_sort_medium_config_static_selectorELNS0_4arch9wavefront6targetE1EEEvSK_.num_agpr, 0
	.set _ZN7rocprim17ROCPRIM_400000_NS6detail17trampoline_kernelINS0_14default_configENS1_36segmented_radix_sort_config_selectorIdlEEZNS1_25segmented_radix_sort_implIS3_Lb1EPKdPdPKlPlN2at6native12_GLOBAL__N_18offset_tEEE10hipError_tPvRmT1_PNSt15iterator_traitsISK_E10value_typeET2_T3_PNSL_ISQ_E10value_typeET4_jRbjT5_SW_jjP12ihipStream_tbEUlT_E0_NS1_11comp_targetILNS1_3genE9ELNS1_11target_archE1100ELNS1_3gpuE3ELNS1_3repE0EEENS1_60segmented_radix_sort_warp_sort_medium_config_static_selectorELNS0_4arch9wavefront6targetE1EEEvSK_.numbered_sgpr, 0
	.set _ZN7rocprim17ROCPRIM_400000_NS6detail17trampoline_kernelINS0_14default_configENS1_36segmented_radix_sort_config_selectorIdlEEZNS1_25segmented_radix_sort_implIS3_Lb1EPKdPdPKlPlN2at6native12_GLOBAL__N_18offset_tEEE10hipError_tPvRmT1_PNSt15iterator_traitsISK_E10value_typeET2_T3_PNSL_ISQ_E10value_typeET4_jRbjT5_SW_jjP12ihipStream_tbEUlT_E0_NS1_11comp_targetILNS1_3genE9ELNS1_11target_archE1100ELNS1_3gpuE3ELNS1_3repE0EEENS1_60segmented_radix_sort_warp_sort_medium_config_static_selectorELNS0_4arch9wavefront6targetE1EEEvSK_.num_named_barrier, 0
	.set _ZN7rocprim17ROCPRIM_400000_NS6detail17trampoline_kernelINS0_14default_configENS1_36segmented_radix_sort_config_selectorIdlEEZNS1_25segmented_radix_sort_implIS3_Lb1EPKdPdPKlPlN2at6native12_GLOBAL__N_18offset_tEEE10hipError_tPvRmT1_PNSt15iterator_traitsISK_E10value_typeET2_T3_PNSL_ISQ_E10value_typeET4_jRbjT5_SW_jjP12ihipStream_tbEUlT_E0_NS1_11comp_targetILNS1_3genE9ELNS1_11target_archE1100ELNS1_3gpuE3ELNS1_3repE0EEENS1_60segmented_radix_sort_warp_sort_medium_config_static_selectorELNS0_4arch9wavefront6targetE1EEEvSK_.private_seg_size, 0
	.set _ZN7rocprim17ROCPRIM_400000_NS6detail17trampoline_kernelINS0_14default_configENS1_36segmented_radix_sort_config_selectorIdlEEZNS1_25segmented_radix_sort_implIS3_Lb1EPKdPdPKlPlN2at6native12_GLOBAL__N_18offset_tEEE10hipError_tPvRmT1_PNSt15iterator_traitsISK_E10value_typeET2_T3_PNSL_ISQ_E10value_typeET4_jRbjT5_SW_jjP12ihipStream_tbEUlT_E0_NS1_11comp_targetILNS1_3genE9ELNS1_11target_archE1100ELNS1_3gpuE3ELNS1_3repE0EEENS1_60segmented_radix_sort_warp_sort_medium_config_static_selectorELNS0_4arch9wavefront6targetE1EEEvSK_.uses_vcc, 0
	.set _ZN7rocprim17ROCPRIM_400000_NS6detail17trampoline_kernelINS0_14default_configENS1_36segmented_radix_sort_config_selectorIdlEEZNS1_25segmented_radix_sort_implIS3_Lb1EPKdPdPKlPlN2at6native12_GLOBAL__N_18offset_tEEE10hipError_tPvRmT1_PNSt15iterator_traitsISK_E10value_typeET2_T3_PNSL_ISQ_E10value_typeET4_jRbjT5_SW_jjP12ihipStream_tbEUlT_E0_NS1_11comp_targetILNS1_3genE9ELNS1_11target_archE1100ELNS1_3gpuE3ELNS1_3repE0EEENS1_60segmented_radix_sort_warp_sort_medium_config_static_selectorELNS0_4arch9wavefront6targetE1EEEvSK_.uses_flat_scratch, 0
	.set _ZN7rocprim17ROCPRIM_400000_NS6detail17trampoline_kernelINS0_14default_configENS1_36segmented_radix_sort_config_selectorIdlEEZNS1_25segmented_radix_sort_implIS3_Lb1EPKdPdPKlPlN2at6native12_GLOBAL__N_18offset_tEEE10hipError_tPvRmT1_PNSt15iterator_traitsISK_E10value_typeET2_T3_PNSL_ISQ_E10value_typeET4_jRbjT5_SW_jjP12ihipStream_tbEUlT_E0_NS1_11comp_targetILNS1_3genE9ELNS1_11target_archE1100ELNS1_3gpuE3ELNS1_3repE0EEENS1_60segmented_radix_sort_warp_sort_medium_config_static_selectorELNS0_4arch9wavefront6targetE1EEEvSK_.has_dyn_sized_stack, 0
	.set _ZN7rocprim17ROCPRIM_400000_NS6detail17trampoline_kernelINS0_14default_configENS1_36segmented_radix_sort_config_selectorIdlEEZNS1_25segmented_radix_sort_implIS3_Lb1EPKdPdPKlPlN2at6native12_GLOBAL__N_18offset_tEEE10hipError_tPvRmT1_PNSt15iterator_traitsISK_E10value_typeET2_T3_PNSL_ISQ_E10value_typeET4_jRbjT5_SW_jjP12ihipStream_tbEUlT_E0_NS1_11comp_targetILNS1_3genE9ELNS1_11target_archE1100ELNS1_3gpuE3ELNS1_3repE0EEENS1_60segmented_radix_sort_warp_sort_medium_config_static_selectorELNS0_4arch9wavefront6targetE1EEEvSK_.has_recursion, 0
	.set _ZN7rocprim17ROCPRIM_400000_NS6detail17trampoline_kernelINS0_14default_configENS1_36segmented_radix_sort_config_selectorIdlEEZNS1_25segmented_radix_sort_implIS3_Lb1EPKdPdPKlPlN2at6native12_GLOBAL__N_18offset_tEEE10hipError_tPvRmT1_PNSt15iterator_traitsISK_E10value_typeET2_T3_PNSL_ISQ_E10value_typeET4_jRbjT5_SW_jjP12ihipStream_tbEUlT_E0_NS1_11comp_targetILNS1_3genE9ELNS1_11target_archE1100ELNS1_3gpuE3ELNS1_3repE0EEENS1_60segmented_radix_sort_warp_sort_medium_config_static_selectorELNS0_4arch9wavefront6targetE1EEEvSK_.has_indirect_call, 0
	.section	.AMDGPU.csdata,"",@progbits
; Kernel info:
; codeLenInByte = 0
; TotalNumSgprs: 4
; NumVgprs: 0
; ScratchSize: 0
; MemoryBound: 0
; FloatMode: 240
; IeeeMode: 1
; LDSByteSize: 0 bytes/workgroup (compile time only)
; SGPRBlocks: 0
; VGPRBlocks: 0
; NumSGPRsForWavesPerEU: 4
; NumVGPRsForWavesPerEU: 1
; Occupancy: 10
; WaveLimiterHint : 0
; COMPUTE_PGM_RSRC2:SCRATCH_EN: 0
; COMPUTE_PGM_RSRC2:USER_SGPR: 6
; COMPUTE_PGM_RSRC2:TRAP_HANDLER: 0
; COMPUTE_PGM_RSRC2:TGID_X_EN: 1
; COMPUTE_PGM_RSRC2:TGID_Y_EN: 0
; COMPUTE_PGM_RSRC2:TGID_Z_EN: 0
; COMPUTE_PGM_RSRC2:TIDIG_COMP_CNT: 0
	.section	.text._ZN7rocprim17ROCPRIM_400000_NS6detail17trampoline_kernelINS0_14default_configENS1_36segmented_radix_sort_config_selectorIdlEEZNS1_25segmented_radix_sort_implIS3_Lb1EPKdPdPKlPlN2at6native12_GLOBAL__N_18offset_tEEE10hipError_tPvRmT1_PNSt15iterator_traitsISK_E10value_typeET2_T3_PNSL_ISQ_E10value_typeET4_jRbjT5_SW_jjP12ihipStream_tbEUlT_E0_NS1_11comp_targetILNS1_3genE8ELNS1_11target_archE1030ELNS1_3gpuE2ELNS1_3repE0EEENS1_60segmented_radix_sort_warp_sort_medium_config_static_selectorELNS0_4arch9wavefront6targetE1EEEvSK_,"axG",@progbits,_ZN7rocprim17ROCPRIM_400000_NS6detail17trampoline_kernelINS0_14default_configENS1_36segmented_radix_sort_config_selectorIdlEEZNS1_25segmented_radix_sort_implIS3_Lb1EPKdPdPKlPlN2at6native12_GLOBAL__N_18offset_tEEE10hipError_tPvRmT1_PNSt15iterator_traitsISK_E10value_typeET2_T3_PNSL_ISQ_E10value_typeET4_jRbjT5_SW_jjP12ihipStream_tbEUlT_E0_NS1_11comp_targetILNS1_3genE8ELNS1_11target_archE1030ELNS1_3gpuE2ELNS1_3repE0EEENS1_60segmented_radix_sort_warp_sort_medium_config_static_selectorELNS0_4arch9wavefront6targetE1EEEvSK_,comdat
	.globl	_ZN7rocprim17ROCPRIM_400000_NS6detail17trampoline_kernelINS0_14default_configENS1_36segmented_radix_sort_config_selectorIdlEEZNS1_25segmented_radix_sort_implIS3_Lb1EPKdPdPKlPlN2at6native12_GLOBAL__N_18offset_tEEE10hipError_tPvRmT1_PNSt15iterator_traitsISK_E10value_typeET2_T3_PNSL_ISQ_E10value_typeET4_jRbjT5_SW_jjP12ihipStream_tbEUlT_E0_NS1_11comp_targetILNS1_3genE8ELNS1_11target_archE1030ELNS1_3gpuE2ELNS1_3repE0EEENS1_60segmented_radix_sort_warp_sort_medium_config_static_selectorELNS0_4arch9wavefront6targetE1EEEvSK_ ; -- Begin function _ZN7rocprim17ROCPRIM_400000_NS6detail17trampoline_kernelINS0_14default_configENS1_36segmented_radix_sort_config_selectorIdlEEZNS1_25segmented_radix_sort_implIS3_Lb1EPKdPdPKlPlN2at6native12_GLOBAL__N_18offset_tEEE10hipError_tPvRmT1_PNSt15iterator_traitsISK_E10value_typeET2_T3_PNSL_ISQ_E10value_typeET4_jRbjT5_SW_jjP12ihipStream_tbEUlT_E0_NS1_11comp_targetILNS1_3genE8ELNS1_11target_archE1030ELNS1_3gpuE2ELNS1_3repE0EEENS1_60segmented_radix_sort_warp_sort_medium_config_static_selectorELNS0_4arch9wavefront6targetE1EEEvSK_
	.p2align	8
	.type	_ZN7rocprim17ROCPRIM_400000_NS6detail17trampoline_kernelINS0_14default_configENS1_36segmented_radix_sort_config_selectorIdlEEZNS1_25segmented_radix_sort_implIS3_Lb1EPKdPdPKlPlN2at6native12_GLOBAL__N_18offset_tEEE10hipError_tPvRmT1_PNSt15iterator_traitsISK_E10value_typeET2_T3_PNSL_ISQ_E10value_typeET4_jRbjT5_SW_jjP12ihipStream_tbEUlT_E0_NS1_11comp_targetILNS1_3genE8ELNS1_11target_archE1030ELNS1_3gpuE2ELNS1_3repE0EEENS1_60segmented_radix_sort_warp_sort_medium_config_static_selectorELNS0_4arch9wavefront6targetE1EEEvSK_,@function
_ZN7rocprim17ROCPRIM_400000_NS6detail17trampoline_kernelINS0_14default_configENS1_36segmented_radix_sort_config_selectorIdlEEZNS1_25segmented_radix_sort_implIS3_Lb1EPKdPdPKlPlN2at6native12_GLOBAL__N_18offset_tEEE10hipError_tPvRmT1_PNSt15iterator_traitsISK_E10value_typeET2_T3_PNSL_ISQ_E10value_typeET4_jRbjT5_SW_jjP12ihipStream_tbEUlT_E0_NS1_11comp_targetILNS1_3genE8ELNS1_11target_archE1030ELNS1_3gpuE2ELNS1_3repE0EEENS1_60segmented_radix_sort_warp_sort_medium_config_static_selectorELNS0_4arch9wavefront6targetE1EEEvSK_: ; @_ZN7rocprim17ROCPRIM_400000_NS6detail17trampoline_kernelINS0_14default_configENS1_36segmented_radix_sort_config_selectorIdlEEZNS1_25segmented_radix_sort_implIS3_Lb1EPKdPdPKlPlN2at6native12_GLOBAL__N_18offset_tEEE10hipError_tPvRmT1_PNSt15iterator_traitsISK_E10value_typeET2_T3_PNSL_ISQ_E10value_typeET4_jRbjT5_SW_jjP12ihipStream_tbEUlT_E0_NS1_11comp_targetILNS1_3genE8ELNS1_11target_archE1030ELNS1_3gpuE2ELNS1_3repE0EEENS1_60segmented_radix_sort_warp_sort_medium_config_static_selectorELNS0_4arch9wavefront6targetE1EEEvSK_
; %bb.0:
	.section	.rodata,"a",@progbits
	.p2align	6, 0x0
	.amdhsa_kernel _ZN7rocprim17ROCPRIM_400000_NS6detail17trampoline_kernelINS0_14default_configENS1_36segmented_radix_sort_config_selectorIdlEEZNS1_25segmented_radix_sort_implIS3_Lb1EPKdPdPKlPlN2at6native12_GLOBAL__N_18offset_tEEE10hipError_tPvRmT1_PNSt15iterator_traitsISK_E10value_typeET2_T3_PNSL_ISQ_E10value_typeET4_jRbjT5_SW_jjP12ihipStream_tbEUlT_E0_NS1_11comp_targetILNS1_3genE8ELNS1_11target_archE1030ELNS1_3gpuE2ELNS1_3repE0EEENS1_60segmented_radix_sort_warp_sort_medium_config_static_selectorELNS0_4arch9wavefront6targetE1EEEvSK_
		.amdhsa_group_segment_fixed_size 0
		.amdhsa_private_segment_fixed_size 0
		.amdhsa_kernarg_size 88
		.amdhsa_user_sgpr_count 6
		.amdhsa_user_sgpr_private_segment_buffer 1
		.amdhsa_user_sgpr_dispatch_ptr 0
		.amdhsa_user_sgpr_queue_ptr 0
		.amdhsa_user_sgpr_kernarg_segment_ptr 1
		.amdhsa_user_sgpr_dispatch_id 0
		.amdhsa_user_sgpr_flat_scratch_init 0
		.amdhsa_user_sgpr_private_segment_size 0
		.amdhsa_uses_dynamic_stack 0
		.amdhsa_system_sgpr_private_segment_wavefront_offset 0
		.amdhsa_system_sgpr_workgroup_id_x 1
		.amdhsa_system_sgpr_workgroup_id_y 0
		.amdhsa_system_sgpr_workgroup_id_z 0
		.amdhsa_system_sgpr_workgroup_info 0
		.amdhsa_system_vgpr_workitem_id 0
		.amdhsa_next_free_vgpr 1
		.amdhsa_next_free_sgpr 0
		.amdhsa_reserve_vcc 0
		.amdhsa_reserve_flat_scratch 0
		.amdhsa_float_round_mode_32 0
		.amdhsa_float_round_mode_16_64 0
		.amdhsa_float_denorm_mode_32 3
		.amdhsa_float_denorm_mode_16_64 3
		.amdhsa_dx10_clamp 1
		.amdhsa_ieee_mode 1
		.amdhsa_fp16_overflow 0
		.amdhsa_exception_fp_ieee_invalid_op 0
		.amdhsa_exception_fp_denorm_src 0
		.amdhsa_exception_fp_ieee_div_zero 0
		.amdhsa_exception_fp_ieee_overflow 0
		.amdhsa_exception_fp_ieee_underflow 0
		.amdhsa_exception_fp_ieee_inexact 0
		.amdhsa_exception_int_div_zero 0
	.end_amdhsa_kernel
	.section	.text._ZN7rocprim17ROCPRIM_400000_NS6detail17trampoline_kernelINS0_14default_configENS1_36segmented_radix_sort_config_selectorIdlEEZNS1_25segmented_radix_sort_implIS3_Lb1EPKdPdPKlPlN2at6native12_GLOBAL__N_18offset_tEEE10hipError_tPvRmT1_PNSt15iterator_traitsISK_E10value_typeET2_T3_PNSL_ISQ_E10value_typeET4_jRbjT5_SW_jjP12ihipStream_tbEUlT_E0_NS1_11comp_targetILNS1_3genE8ELNS1_11target_archE1030ELNS1_3gpuE2ELNS1_3repE0EEENS1_60segmented_radix_sort_warp_sort_medium_config_static_selectorELNS0_4arch9wavefront6targetE1EEEvSK_,"axG",@progbits,_ZN7rocprim17ROCPRIM_400000_NS6detail17trampoline_kernelINS0_14default_configENS1_36segmented_radix_sort_config_selectorIdlEEZNS1_25segmented_radix_sort_implIS3_Lb1EPKdPdPKlPlN2at6native12_GLOBAL__N_18offset_tEEE10hipError_tPvRmT1_PNSt15iterator_traitsISK_E10value_typeET2_T3_PNSL_ISQ_E10value_typeET4_jRbjT5_SW_jjP12ihipStream_tbEUlT_E0_NS1_11comp_targetILNS1_3genE8ELNS1_11target_archE1030ELNS1_3gpuE2ELNS1_3repE0EEENS1_60segmented_radix_sort_warp_sort_medium_config_static_selectorELNS0_4arch9wavefront6targetE1EEEvSK_,comdat
.Lfunc_end1137:
	.size	_ZN7rocprim17ROCPRIM_400000_NS6detail17trampoline_kernelINS0_14default_configENS1_36segmented_radix_sort_config_selectorIdlEEZNS1_25segmented_radix_sort_implIS3_Lb1EPKdPdPKlPlN2at6native12_GLOBAL__N_18offset_tEEE10hipError_tPvRmT1_PNSt15iterator_traitsISK_E10value_typeET2_T3_PNSL_ISQ_E10value_typeET4_jRbjT5_SW_jjP12ihipStream_tbEUlT_E0_NS1_11comp_targetILNS1_3genE8ELNS1_11target_archE1030ELNS1_3gpuE2ELNS1_3repE0EEENS1_60segmented_radix_sort_warp_sort_medium_config_static_selectorELNS0_4arch9wavefront6targetE1EEEvSK_, .Lfunc_end1137-_ZN7rocprim17ROCPRIM_400000_NS6detail17trampoline_kernelINS0_14default_configENS1_36segmented_radix_sort_config_selectorIdlEEZNS1_25segmented_radix_sort_implIS3_Lb1EPKdPdPKlPlN2at6native12_GLOBAL__N_18offset_tEEE10hipError_tPvRmT1_PNSt15iterator_traitsISK_E10value_typeET2_T3_PNSL_ISQ_E10value_typeET4_jRbjT5_SW_jjP12ihipStream_tbEUlT_E0_NS1_11comp_targetILNS1_3genE8ELNS1_11target_archE1030ELNS1_3gpuE2ELNS1_3repE0EEENS1_60segmented_radix_sort_warp_sort_medium_config_static_selectorELNS0_4arch9wavefront6targetE1EEEvSK_
                                        ; -- End function
	.set _ZN7rocprim17ROCPRIM_400000_NS6detail17trampoline_kernelINS0_14default_configENS1_36segmented_radix_sort_config_selectorIdlEEZNS1_25segmented_radix_sort_implIS3_Lb1EPKdPdPKlPlN2at6native12_GLOBAL__N_18offset_tEEE10hipError_tPvRmT1_PNSt15iterator_traitsISK_E10value_typeET2_T3_PNSL_ISQ_E10value_typeET4_jRbjT5_SW_jjP12ihipStream_tbEUlT_E0_NS1_11comp_targetILNS1_3genE8ELNS1_11target_archE1030ELNS1_3gpuE2ELNS1_3repE0EEENS1_60segmented_radix_sort_warp_sort_medium_config_static_selectorELNS0_4arch9wavefront6targetE1EEEvSK_.num_vgpr, 0
	.set _ZN7rocprim17ROCPRIM_400000_NS6detail17trampoline_kernelINS0_14default_configENS1_36segmented_radix_sort_config_selectorIdlEEZNS1_25segmented_radix_sort_implIS3_Lb1EPKdPdPKlPlN2at6native12_GLOBAL__N_18offset_tEEE10hipError_tPvRmT1_PNSt15iterator_traitsISK_E10value_typeET2_T3_PNSL_ISQ_E10value_typeET4_jRbjT5_SW_jjP12ihipStream_tbEUlT_E0_NS1_11comp_targetILNS1_3genE8ELNS1_11target_archE1030ELNS1_3gpuE2ELNS1_3repE0EEENS1_60segmented_radix_sort_warp_sort_medium_config_static_selectorELNS0_4arch9wavefront6targetE1EEEvSK_.num_agpr, 0
	.set _ZN7rocprim17ROCPRIM_400000_NS6detail17trampoline_kernelINS0_14default_configENS1_36segmented_radix_sort_config_selectorIdlEEZNS1_25segmented_radix_sort_implIS3_Lb1EPKdPdPKlPlN2at6native12_GLOBAL__N_18offset_tEEE10hipError_tPvRmT1_PNSt15iterator_traitsISK_E10value_typeET2_T3_PNSL_ISQ_E10value_typeET4_jRbjT5_SW_jjP12ihipStream_tbEUlT_E0_NS1_11comp_targetILNS1_3genE8ELNS1_11target_archE1030ELNS1_3gpuE2ELNS1_3repE0EEENS1_60segmented_radix_sort_warp_sort_medium_config_static_selectorELNS0_4arch9wavefront6targetE1EEEvSK_.numbered_sgpr, 0
	.set _ZN7rocprim17ROCPRIM_400000_NS6detail17trampoline_kernelINS0_14default_configENS1_36segmented_radix_sort_config_selectorIdlEEZNS1_25segmented_radix_sort_implIS3_Lb1EPKdPdPKlPlN2at6native12_GLOBAL__N_18offset_tEEE10hipError_tPvRmT1_PNSt15iterator_traitsISK_E10value_typeET2_T3_PNSL_ISQ_E10value_typeET4_jRbjT5_SW_jjP12ihipStream_tbEUlT_E0_NS1_11comp_targetILNS1_3genE8ELNS1_11target_archE1030ELNS1_3gpuE2ELNS1_3repE0EEENS1_60segmented_radix_sort_warp_sort_medium_config_static_selectorELNS0_4arch9wavefront6targetE1EEEvSK_.num_named_barrier, 0
	.set _ZN7rocprim17ROCPRIM_400000_NS6detail17trampoline_kernelINS0_14default_configENS1_36segmented_radix_sort_config_selectorIdlEEZNS1_25segmented_radix_sort_implIS3_Lb1EPKdPdPKlPlN2at6native12_GLOBAL__N_18offset_tEEE10hipError_tPvRmT1_PNSt15iterator_traitsISK_E10value_typeET2_T3_PNSL_ISQ_E10value_typeET4_jRbjT5_SW_jjP12ihipStream_tbEUlT_E0_NS1_11comp_targetILNS1_3genE8ELNS1_11target_archE1030ELNS1_3gpuE2ELNS1_3repE0EEENS1_60segmented_radix_sort_warp_sort_medium_config_static_selectorELNS0_4arch9wavefront6targetE1EEEvSK_.private_seg_size, 0
	.set _ZN7rocprim17ROCPRIM_400000_NS6detail17trampoline_kernelINS0_14default_configENS1_36segmented_radix_sort_config_selectorIdlEEZNS1_25segmented_radix_sort_implIS3_Lb1EPKdPdPKlPlN2at6native12_GLOBAL__N_18offset_tEEE10hipError_tPvRmT1_PNSt15iterator_traitsISK_E10value_typeET2_T3_PNSL_ISQ_E10value_typeET4_jRbjT5_SW_jjP12ihipStream_tbEUlT_E0_NS1_11comp_targetILNS1_3genE8ELNS1_11target_archE1030ELNS1_3gpuE2ELNS1_3repE0EEENS1_60segmented_radix_sort_warp_sort_medium_config_static_selectorELNS0_4arch9wavefront6targetE1EEEvSK_.uses_vcc, 0
	.set _ZN7rocprim17ROCPRIM_400000_NS6detail17trampoline_kernelINS0_14default_configENS1_36segmented_radix_sort_config_selectorIdlEEZNS1_25segmented_radix_sort_implIS3_Lb1EPKdPdPKlPlN2at6native12_GLOBAL__N_18offset_tEEE10hipError_tPvRmT1_PNSt15iterator_traitsISK_E10value_typeET2_T3_PNSL_ISQ_E10value_typeET4_jRbjT5_SW_jjP12ihipStream_tbEUlT_E0_NS1_11comp_targetILNS1_3genE8ELNS1_11target_archE1030ELNS1_3gpuE2ELNS1_3repE0EEENS1_60segmented_radix_sort_warp_sort_medium_config_static_selectorELNS0_4arch9wavefront6targetE1EEEvSK_.uses_flat_scratch, 0
	.set _ZN7rocprim17ROCPRIM_400000_NS6detail17trampoline_kernelINS0_14default_configENS1_36segmented_radix_sort_config_selectorIdlEEZNS1_25segmented_radix_sort_implIS3_Lb1EPKdPdPKlPlN2at6native12_GLOBAL__N_18offset_tEEE10hipError_tPvRmT1_PNSt15iterator_traitsISK_E10value_typeET2_T3_PNSL_ISQ_E10value_typeET4_jRbjT5_SW_jjP12ihipStream_tbEUlT_E0_NS1_11comp_targetILNS1_3genE8ELNS1_11target_archE1030ELNS1_3gpuE2ELNS1_3repE0EEENS1_60segmented_radix_sort_warp_sort_medium_config_static_selectorELNS0_4arch9wavefront6targetE1EEEvSK_.has_dyn_sized_stack, 0
	.set _ZN7rocprim17ROCPRIM_400000_NS6detail17trampoline_kernelINS0_14default_configENS1_36segmented_radix_sort_config_selectorIdlEEZNS1_25segmented_radix_sort_implIS3_Lb1EPKdPdPKlPlN2at6native12_GLOBAL__N_18offset_tEEE10hipError_tPvRmT1_PNSt15iterator_traitsISK_E10value_typeET2_T3_PNSL_ISQ_E10value_typeET4_jRbjT5_SW_jjP12ihipStream_tbEUlT_E0_NS1_11comp_targetILNS1_3genE8ELNS1_11target_archE1030ELNS1_3gpuE2ELNS1_3repE0EEENS1_60segmented_radix_sort_warp_sort_medium_config_static_selectorELNS0_4arch9wavefront6targetE1EEEvSK_.has_recursion, 0
	.set _ZN7rocprim17ROCPRIM_400000_NS6detail17trampoline_kernelINS0_14default_configENS1_36segmented_radix_sort_config_selectorIdlEEZNS1_25segmented_radix_sort_implIS3_Lb1EPKdPdPKlPlN2at6native12_GLOBAL__N_18offset_tEEE10hipError_tPvRmT1_PNSt15iterator_traitsISK_E10value_typeET2_T3_PNSL_ISQ_E10value_typeET4_jRbjT5_SW_jjP12ihipStream_tbEUlT_E0_NS1_11comp_targetILNS1_3genE8ELNS1_11target_archE1030ELNS1_3gpuE2ELNS1_3repE0EEENS1_60segmented_radix_sort_warp_sort_medium_config_static_selectorELNS0_4arch9wavefront6targetE1EEEvSK_.has_indirect_call, 0
	.section	.AMDGPU.csdata,"",@progbits
; Kernel info:
; codeLenInByte = 0
; TotalNumSgprs: 4
; NumVgprs: 0
; ScratchSize: 0
; MemoryBound: 0
; FloatMode: 240
; IeeeMode: 1
; LDSByteSize: 0 bytes/workgroup (compile time only)
; SGPRBlocks: 0
; VGPRBlocks: 0
; NumSGPRsForWavesPerEU: 4
; NumVGPRsForWavesPerEU: 1
; Occupancy: 10
; WaveLimiterHint : 0
; COMPUTE_PGM_RSRC2:SCRATCH_EN: 0
; COMPUTE_PGM_RSRC2:USER_SGPR: 6
; COMPUTE_PGM_RSRC2:TRAP_HANDLER: 0
; COMPUTE_PGM_RSRC2:TGID_X_EN: 1
; COMPUTE_PGM_RSRC2:TGID_Y_EN: 0
; COMPUTE_PGM_RSRC2:TGID_Z_EN: 0
; COMPUTE_PGM_RSRC2:TIDIG_COMP_CNT: 0
	.section	.text._ZN7rocprim17ROCPRIM_400000_NS6detail17trampoline_kernelINS0_14default_configENS1_36segmented_radix_sort_config_selectorIdlEEZNS1_25segmented_radix_sort_implIS3_Lb1EPKdPdPKlPlN2at6native12_GLOBAL__N_18offset_tEEE10hipError_tPvRmT1_PNSt15iterator_traitsISK_E10value_typeET2_T3_PNSL_ISQ_E10value_typeET4_jRbjT5_SW_jjP12ihipStream_tbEUlT_E1_NS1_11comp_targetILNS1_3genE0ELNS1_11target_archE4294967295ELNS1_3gpuE0ELNS1_3repE0EEENS1_59segmented_radix_sort_warp_sort_small_config_static_selectorELNS0_4arch9wavefront6targetE1EEEvSK_,"axG",@progbits,_ZN7rocprim17ROCPRIM_400000_NS6detail17trampoline_kernelINS0_14default_configENS1_36segmented_radix_sort_config_selectorIdlEEZNS1_25segmented_radix_sort_implIS3_Lb1EPKdPdPKlPlN2at6native12_GLOBAL__N_18offset_tEEE10hipError_tPvRmT1_PNSt15iterator_traitsISK_E10value_typeET2_T3_PNSL_ISQ_E10value_typeET4_jRbjT5_SW_jjP12ihipStream_tbEUlT_E1_NS1_11comp_targetILNS1_3genE0ELNS1_11target_archE4294967295ELNS1_3gpuE0ELNS1_3repE0EEENS1_59segmented_radix_sort_warp_sort_small_config_static_selectorELNS0_4arch9wavefront6targetE1EEEvSK_,comdat
	.globl	_ZN7rocprim17ROCPRIM_400000_NS6detail17trampoline_kernelINS0_14default_configENS1_36segmented_radix_sort_config_selectorIdlEEZNS1_25segmented_radix_sort_implIS3_Lb1EPKdPdPKlPlN2at6native12_GLOBAL__N_18offset_tEEE10hipError_tPvRmT1_PNSt15iterator_traitsISK_E10value_typeET2_T3_PNSL_ISQ_E10value_typeET4_jRbjT5_SW_jjP12ihipStream_tbEUlT_E1_NS1_11comp_targetILNS1_3genE0ELNS1_11target_archE4294967295ELNS1_3gpuE0ELNS1_3repE0EEENS1_59segmented_radix_sort_warp_sort_small_config_static_selectorELNS0_4arch9wavefront6targetE1EEEvSK_ ; -- Begin function _ZN7rocprim17ROCPRIM_400000_NS6detail17trampoline_kernelINS0_14default_configENS1_36segmented_radix_sort_config_selectorIdlEEZNS1_25segmented_radix_sort_implIS3_Lb1EPKdPdPKlPlN2at6native12_GLOBAL__N_18offset_tEEE10hipError_tPvRmT1_PNSt15iterator_traitsISK_E10value_typeET2_T3_PNSL_ISQ_E10value_typeET4_jRbjT5_SW_jjP12ihipStream_tbEUlT_E1_NS1_11comp_targetILNS1_3genE0ELNS1_11target_archE4294967295ELNS1_3gpuE0ELNS1_3repE0EEENS1_59segmented_radix_sort_warp_sort_small_config_static_selectorELNS0_4arch9wavefront6targetE1EEEvSK_
	.p2align	8
	.type	_ZN7rocprim17ROCPRIM_400000_NS6detail17trampoline_kernelINS0_14default_configENS1_36segmented_radix_sort_config_selectorIdlEEZNS1_25segmented_radix_sort_implIS3_Lb1EPKdPdPKlPlN2at6native12_GLOBAL__N_18offset_tEEE10hipError_tPvRmT1_PNSt15iterator_traitsISK_E10value_typeET2_T3_PNSL_ISQ_E10value_typeET4_jRbjT5_SW_jjP12ihipStream_tbEUlT_E1_NS1_11comp_targetILNS1_3genE0ELNS1_11target_archE4294967295ELNS1_3gpuE0ELNS1_3repE0EEENS1_59segmented_radix_sort_warp_sort_small_config_static_selectorELNS0_4arch9wavefront6targetE1EEEvSK_,@function
_ZN7rocprim17ROCPRIM_400000_NS6detail17trampoline_kernelINS0_14default_configENS1_36segmented_radix_sort_config_selectorIdlEEZNS1_25segmented_radix_sort_implIS3_Lb1EPKdPdPKlPlN2at6native12_GLOBAL__N_18offset_tEEE10hipError_tPvRmT1_PNSt15iterator_traitsISK_E10value_typeET2_T3_PNSL_ISQ_E10value_typeET4_jRbjT5_SW_jjP12ihipStream_tbEUlT_E1_NS1_11comp_targetILNS1_3genE0ELNS1_11target_archE4294967295ELNS1_3gpuE0ELNS1_3repE0EEENS1_59segmented_radix_sort_warp_sort_small_config_static_selectorELNS0_4arch9wavefront6targetE1EEEvSK_: ; @_ZN7rocprim17ROCPRIM_400000_NS6detail17trampoline_kernelINS0_14default_configENS1_36segmented_radix_sort_config_selectorIdlEEZNS1_25segmented_radix_sort_implIS3_Lb1EPKdPdPKlPlN2at6native12_GLOBAL__N_18offset_tEEE10hipError_tPvRmT1_PNSt15iterator_traitsISK_E10value_typeET2_T3_PNSL_ISQ_E10value_typeET4_jRbjT5_SW_jjP12ihipStream_tbEUlT_E1_NS1_11comp_targetILNS1_3genE0ELNS1_11target_archE4294967295ELNS1_3gpuE0ELNS1_3repE0EEENS1_59segmented_radix_sort_warp_sort_small_config_static_selectorELNS0_4arch9wavefront6targetE1EEEvSK_
; %bb.0:
	.section	.rodata,"a",@progbits
	.p2align	6, 0x0
	.amdhsa_kernel _ZN7rocprim17ROCPRIM_400000_NS6detail17trampoline_kernelINS0_14default_configENS1_36segmented_radix_sort_config_selectorIdlEEZNS1_25segmented_radix_sort_implIS3_Lb1EPKdPdPKlPlN2at6native12_GLOBAL__N_18offset_tEEE10hipError_tPvRmT1_PNSt15iterator_traitsISK_E10value_typeET2_T3_PNSL_ISQ_E10value_typeET4_jRbjT5_SW_jjP12ihipStream_tbEUlT_E1_NS1_11comp_targetILNS1_3genE0ELNS1_11target_archE4294967295ELNS1_3gpuE0ELNS1_3repE0EEENS1_59segmented_radix_sort_warp_sort_small_config_static_selectorELNS0_4arch9wavefront6targetE1EEEvSK_
		.amdhsa_group_segment_fixed_size 0
		.amdhsa_private_segment_fixed_size 0
		.amdhsa_kernarg_size 88
		.amdhsa_user_sgpr_count 6
		.amdhsa_user_sgpr_private_segment_buffer 1
		.amdhsa_user_sgpr_dispatch_ptr 0
		.amdhsa_user_sgpr_queue_ptr 0
		.amdhsa_user_sgpr_kernarg_segment_ptr 1
		.amdhsa_user_sgpr_dispatch_id 0
		.amdhsa_user_sgpr_flat_scratch_init 0
		.amdhsa_user_sgpr_private_segment_size 0
		.amdhsa_uses_dynamic_stack 0
		.amdhsa_system_sgpr_private_segment_wavefront_offset 0
		.amdhsa_system_sgpr_workgroup_id_x 1
		.amdhsa_system_sgpr_workgroup_id_y 0
		.amdhsa_system_sgpr_workgroup_id_z 0
		.amdhsa_system_sgpr_workgroup_info 0
		.amdhsa_system_vgpr_workitem_id 0
		.amdhsa_next_free_vgpr 1
		.amdhsa_next_free_sgpr 0
		.amdhsa_reserve_vcc 0
		.amdhsa_reserve_flat_scratch 0
		.amdhsa_float_round_mode_32 0
		.amdhsa_float_round_mode_16_64 0
		.amdhsa_float_denorm_mode_32 3
		.amdhsa_float_denorm_mode_16_64 3
		.amdhsa_dx10_clamp 1
		.amdhsa_ieee_mode 1
		.amdhsa_fp16_overflow 0
		.amdhsa_exception_fp_ieee_invalid_op 0
		.amdhsa_exception_fp_denorm_src 0
		.amdhsa_exception_fp_ieee_div_zero 0
		.amdhsa_exception_fp_ieee_overflow 0
		.amdhsa_exception_fp_ieee_underflow 0
		.amdhsa_exception_fp_ieee_inexact 0
		.amdhsa_exception_int_div_zero 0
	.end_amdhsa_kernel
	.section	.text._ZN7rocprim17ROCPRIM_400000_NS6detail17trampoline_kernelINS0_14default_configENS1_36segmented_radix_sort_config_selectorIdlEEZNS1_25segmented_radix_sort_implIS3_Lb1EPKdPdPKlPlN2at6native12_GLOBAL__N_18offset_tEEE10hipError_tPvRmT1_PNSt15iterator_traitsISK_E10value_typeET2_T3_PNSL_ISQ_E10value_typeET4_jRbjT5_SW_jjP12ihipStream_tbEUlT_E1_NS1_11comp_targetILNS1_3genE0ELNS1_11target_archE4294967295ELNS1_3gpuE0ELNS1_3repE0EEENS1_59segmented_radix_sort_warp_sort_small_config_static_selectorELNS0_4arch9wavefront6targetE1EEEvSK_,"axG",@progbits,_ZN7rocprim17ROCPRIM_400000_NS6detail17trampoline_kernelINS0_14default_configENS1_36segmented_radix_sort_config_selectorIdlEEZNS1_25segmented_radix_sort_implIS3_Lb1EPKdPdPKlPlN2at6native12_GLOBAL__N_18offset_tEEE10hipError_tPvRmT1_PNSt15iterator_traitsISK_E10value_typeET2_T3_PNSL_ISQ_E10value_typeET4_jRbjT5_SW_jjP12ihipStream_tbEUlT_E1_NS1_11comp_targetILNS1_3genE0ELNS1_11target_archE4294967295ELNS1_3gpuE0ELNS1_3repE0EEENS1_59segmented_radix_sort_warp_sort_small_config_static_selectorELNS0_4arch9wavefront6targetE1EEEvSK_,comdat
.Lfunc_end1138:
	.size	_ZN7rocprim17ROCPRIM_400000_NS6detail17trampoline_kernelINS0_14default_configENS1_36segmented_radix_sort_config_selectorIdlEEZNS1_25segmented_radix_sort_implIS3_Lb1EPKdPdPKlPlN2at6native12_GLOBAL__N_18offset_tEEE10hipError_tPvRmT1_PNSt15iterator_traitsISK_E10value_typeET2_T3_PNSL_ISQ_E10value_typeET4_jRbjT5_SW_jjP12ihipStream_tbEUlT_E1_NS1_11comp_targetILNS1_3genE0ELNS1_11target_archE4294967295ELNS1_3gpuE0ELNS1_3repE0EEENS1_59segmented_radix_sort_warp_sort_small_config_static_selectorELNS0_4arch9wavefront6targetE1EEEvSK_, .Lfunc_end1138-_ZN7rocprim17ROCPRIM_400000_NS6detail17trampoline_kernelINS0_14default_configENS1_36segmented_radix_sort_config_selectorIdlEEZNS1_25segmented_radix_sort_implIS3_Lb1EPKdPdPKlPlN2at6native12_GLOBAL__N_18offset_tEEE10hipError_tPvRmT1_PNSt15iterator_traitsISK_E10value_typeET2_T3_PNSL_ISQ_E10value_typeET4_jRbjT5_SW_jjP12ihipStream_tbEUlT_E1_NS1_11comp_targetILNS1_3genE0ELNS1_11target_archE4294967295ELNS1_3gpuE0ELNS1_3repE0EEENS1_59segmented_radix_sort_warp_sort_small_config_static_selectorELNS0_4arch9wavefront6targetE1EEEvSK_
                                        ; -- End function
	.set _ZN7rocprim17ROCPRIM_400000_NS6detail17trampoline_kernelINS0_14default_configENS1_36segmented_radix_sort_config_selectorIdlEEZNS1_25segmented_radix_sort_implIS3_Lb1EPKdPdPKlPlN2at6native12_GLOBAL__N_18offset_tEEE10hipError_tPvRmT1_PNSt15iterator_traitsISK_E10value_typeET2_T3_PNSL_ISQ_E10value_typeET4_jRbjT5_SW_jjP12ihipStream_tbEUlT_E1_NS1_11comp_targetILNS1_3genE0ELNS1_11target_archE4294967295ELNS1_3gpuE0ELNS1_3repE0EEENS1_59segmented_radix_sort_warp_sort_small_config_static_selectorELNS0_4arch9wavefront6targetE1EEEvSK_.num_vgpr, 0
	.set _ZN7rocprim17ROCPRIM_400000_NS6detail17trampoline_kernelINS0_14default_configENS1_36segmented_radix_sort_config_selectorIdlEEZNS1_25segmented_radix_sort_implIS3_Lb1EPKdPdPKlPlN2at6native12_GLOBAL__N_18offset_tEEE10hipError_tPvRmT1_PNSt15iterator_traitsISK_E10value_typeET2_T3_PNSL_ISQ_E10value_typeET4_jRbjT5_SW_jjP12ihipStream_tbEUlT_E1_NS1_11comp_targetILNS1_3genE0ELNS1_11target_archE4294967295ELNS1_3gpuE0ELNS1_3repE0EEENS1_59segmented_radix_sort_warp_sort_small_config_static_selectorELNS0_4arch9wavefront6targetE1EEEvSK_.num_agpr, 0
	.set _ZN7rocprim17ROCPRIM_400000_NS6detail17trampoline_kernelINS0_14default_configENS1_36segmented_radix_sort_config_selectorIdlEEZNS1_25segmented_radix_sort_implIS3_Lb1EPKdPdPKlPlN2at6native12_GLOBAL__N_18offset_tEEE10hipError_tPvRmT1_PNSt15iterator_traitsISK_E10value_typeET2_T3_PNSL_ISQ_E10value_typeET4_jRbjT5_SW_jjP12ihipStream_tbEUlT_E1_NS1_11comp_targetILNS1_3genE0ELNS1_11target_archE4294967295ELNS1_3gpuE0ELNS1_3repE0EEENS1_59segmented_radix_sort_warp_sort_small_config_static_selectorELNS0_4arch9wavefront6targetE1EEEvSK_.numbered_sgpr, 0
	.set _ZN7rocprim17ROCPRIM_400000_NS6detail17trampoline_kernelINS0_14default_configENS1_36segmented_radix_sort_config_selectorIdlEEZNS1_25segmented_radix_sort_implIS3_Lb1EPKdPdPKlPlN2at6native12_GLOBAL__N_18offset_tEEE10hipError_tPvRmT1_PNSt15iterator_traitsISK_E10value_typeET2_T3_PNSL_ISQ_E10value_typeET4_jRbjT5_SW_jjP12ihipStream_tbEUlT_E1_NS1_11comp_targetILNS1_3genE0ELNS1_11target_archE4294967295ELNS1_3gpuE0ELNS1_3repE0EEENS1_59segmented_radix_sort_warp_sort_small_config_static_selectorELNS0_4arch9wavefront6targetE1EEEvSK_.num_named_barrier, 0
	.set _ZN7rocprim17ROCPRIM_400000_NS6detail17trampoline_kernelINS0_14default_configENS1_36segmented_radix_sort_config_selectorIdlEEZNS1_25segmented_radix_sort_implIS3_Lb1EPKdPdPKlPlN2at6native12_GLOBAL__N_18offset_tEEE10hipError_tPvRmT1_PNSt15iterator_traitsISK_E10value_typeET2_T3_PNSL_ISQ_E10value_typeET4_jRbjT5_SW_jjP12ihipStream_tbEUlT_E1_NS1_11comp_targetILNS1_3genE0ELNS1_11target_archE4294967295ELNS1_3gpuE0ELNS1_3repE0EEENS1_59segmented_radix_sort_warp_sort_small_config_static_selectorELNS0_4arch9wavefront6targetE1EEEvSK_.private_seg_size, 0
	.set _ZN7rocprim17ROCPRIM_400000_NS6detail17trampoline_kernelINS0_14default_configENS1_36segmented_radix_sort_config_selectorIdlEEZNS1_25segmented_radix_sort_implIS3_Lb1EPKdPdPKlPlN2at6native12_GLOBAL__N_18offset_tEEE10hipError_tPvRmT1_PNSt15iterator_traitsISK_E10value_typeET2_T3_PNSL_ISQ_E10value_typeET4_jRbjT5_SW_jjP12ihipStream_tbEUlT_E1_NS1_11comp_targetILNS1_3genE0ELNS1_11target_archE4294967295ELNS1_3gpuE0ELNS1_3repE0EEENS1_59segmented_radix_sort_warp_sort_small_config_static_selectorELNS0_4arch9wavefront6targetE1EEEvSK_.uses_vcc, 0
	.set _ZN7rocprim17ROCPRIM_400000_NS6detail17trampoline_kernelINS0_14default_configENS1_36segmented_radix_sort_config_selectorIdlEEZNS1_25segmented_radix_sort_implIS3_Lb1EPKdPdPKlPlN2at6native12_GLOBAL__N_18offset_tEEE10hipError_tPvRmT1_PNSt15iterator_traitsISK_E10value_typeET2_T3_PNSL_ISQ_E10value_typeET4_jRbjT5_SW_jjP12ihipStream_tbEUlT_E1_NS1_11comp_targetILNS1_3genE0ELNS1_11target_archE4294967295ELNS1_3gpuE0ELNS1_3repE0EEENS1_59segmented_radix_sort_warp_sort_small_config_static_selectorELNS0_4arch9wavefront6targetE1EEEvSK_.uses_flat_scratch, 0
	.set _ZN7rocprim17ROCPRIM_400000_NS6detail17trampoline_kernelINS0_14default_configENS1_36segmented_radix_sort_config_selectorIdlEEZNS1_25segmented_radix_sort_implIS3_Lb1EPKdPdPKlPlN2at6native12_GLOBAL__N_18offset_tEEE10hipError_tPvRmT1_PNSt15iterator_traitsISK_E10value_typeET2_T3_PNSL_ISQ_E10value_typeET4_jRbjT5_SW_jjP12ihipStream_tbEUlT_E1_NS1_11comp_targetILNS1_3genE0ELNS1_11target_archE4294967295ELNS1_3gpuE0ELNS1_3repE0EEENS1_59segmented_radix_sort_warp_sort_small_config_static_selectorELNS0_4arch9wavefront6targetE1EEEvSK_.has_dyn_sized_stack, 0
	.set _ZN7rocprim17ROCPRIM_400000_NS6detail17trampoline_kernelINS0_14default_configENS1_36segmented_radix_sort_config_selectorIdlEEZNS1_25segmented_radix_sort_implIS3_Lb1EPKdPdPKlPlN2at6native12_GLOBAL__N_18offset_tEEE10hipError_tPvRmT1_PNSt15iterator_traitsISK_E10value_typeET2_T3_PNSL_ISQ_E10value_typeET4_jRbjT5_SW_jjP12ihipStream_tbEUlT_E1_NS1_11comp_targetILNS1_3genE0ELNS1_11target_archE4294967295ELNS1_3gpuE0ELNS1_3repE0EEENS1_59segmented_radix_sort_warp_sort_small_config_static_selectorELNS0_4arch9wavefront6targetE1EEEvSK_.has_recursion, 0
	.set _ZN7rocprim17ROCPRIM_400000_NS6detail17trampoline_kernelINS0_14default_configENS1_36segmented_radix_sort_config_selectorIdlEEZNS1_25segmented_radix_sort_implIS3_Lb1EPKdPdPKlPlN2at6native12_GLOBAL__N_18offset_tEEE10hipError_tPvRmT1_PNSt15iterator_traitsISK_E10value_typeET2_T3_PNSL_ISQ_E10value_typeET4_jRbjT5_SW_jjP12ihipStream_tbEUlT_E1_NS1_11comp_targetILNS1_3genE0ELNS1_11target_archE4294967295ELNS1_3gpuE0ELNS1_3repE0EEENS1_59segmented_radix_sort_warp_sort_small_config_static_selectorELNS0_4arch9wavefront6targetE1EEEvSK_.has_indirect_call, 0
	.section	.AMDGPU.csdata,"",@progbits
; Kernel info:
; codeLenInByte = 0
; TotalNumSgprs: 4
; NumVgprs: 0
; ScratchSize: 0
; MemoryBound: 0
; FloatMode: 240
; IeeeMode: 1
; LDSByteSize: 0 bytes/workgroup (compile time only)
; SGPRBlocks: 0
; VGPRBlocks: 0
; NumSGPRsForWavesPerEU: 4
; NumVGPRsForWavesPerEU: 1
; Occupancy: 10
; WaveLimiterHint : 0
; COMPUTE_PGM_RSRC2:SCRATCH_EN: 0
; COMPUTE_PGM_RSRC2:USER_SGPR: 6
; COMPUTE_PGM_RSRC2:TRAP_HANDLER: 0
; COMPUTE_PGM_RSRC2:TGID_X_EN: 1
; COMPUTE_PGM_RSRC2:TGID_Y_EN: 0
; COMPUTE_PGM_RSRC2:TGID_Z_EN: 0
; COMPUTE_PGM_RSRC2:TIDIG_COMP_CNT: 0
	.section	.text._ZN7rocprim17ROCPRIM_400000_NS6detail17trampoline_kernelINS0_14default_configENS1_36segmented_radix_sort_config_selectorIdlEEZNS1_25segmented_radix_sort_implIS3_Lb1EPKdPdPKlPlN2at6native12_GLOBAL__N_18offset_tEEE10hipError_tPvRmT1_PNSt15iterator_traitsISK_E10value_typeET2_T3_PNSL_ISQ_E10value_typeET4_jRbjT5_SW_jjP12ihipStream_tbEUlT_E1_NS1_11comp_targetILNS1_3genE5ELNS1_11target_archE942ELNS1_3gpuE9ELNS1_3repE0EEENS1_59segmented_radix_sort_warp_sort_small_config_static_selectorELNS0_4arch9wavefront6targetE1EEEvSK_,"axG",@progbits,_ZN7rocprim17ROCPRIM_400000_NS6detail17trampoline_kernelINS0_14default_configENS1_36segmented_radix_sort_config_selectorIdlEEZNS1_25segmented_radix_sort_implIS3_Lb1EPKdPdPKlPlN2at6native12_GLOBAL__N_18offset_tEEE10hipError_tPvRmT1_PNSt15iterator_traitsISK_E10value_typeET2_T3_PNSL_ISQ_E10value_typeET4_jRbjT5_SW_jjP12ihipStream_tbEUlT_E1_NS1_11comp_targetILNS1_3genE5ELNS1_11target_archE942ELNS1_3gpuE9ELNS1_3repE0EEENS1_59segmented_radix_sort_warp_sort_small_config_static_selectorELNS0_4arch9wavefront6targetE1EEEvSK_,comdat
	.globl	_ZN7rocprim17ROCPRIM_400000_NS6detail17trampoline_kernelINS0_14default_configENS1_36segmented_radix_sort_config_selectorIdlEEZNS1_25segmented_radix_sort_implIS3_Lb1EPKdPdPKlPlN2at6native12_GLOBAL__N_18offset_tEEE10hipError_tPvRmT1_PNSt15iterator_traitsISK_E10value_typeET2_T3_PNSL_ISQ_E10value_typeET4_jRbjT5_SW_jjP12ihipStream_tbEUlT_E1_NS1_11comp_targetILNS1_3genE5ELNS1_11target_archE942ELNS1_3gpuE9ELNS1_3repE0EEENS1_59segmented_radix_sort_warp_sort_small_config_static_selectorELNS0_4arch9wavefront6targetE1EEEvSK_ ; -- Begin function _ZN7rocprim17ROCPRIM_400000_NS6detail17trampoline_kernelINS0_14default_configENS1_36segmented_radix_sort_config_selectorIdlEEZNS1_25segmented_radix_sort_implIS3_Lb1EPKdPdPKlPlN2at6native12_GLOBAL__N_18offset_tEEE10hipError_tPvRmT1_PNSt15iterator_traitsISK_E10value_typeET2_T3_PNSL_ISQ_E10value_typeET4_jRbjT5_SW_jjP12ihipStream_tbEUlT_E1_NS1_11comp_targetILNS1_3genE5ELNS1_11target_archE942ELNS1_3gpuE9ELNS1_3repE0EEENS1_59segmented_radix_sort_warp_sort_small_config_static_selectorELNS0_4arch9wavefront6targetE1EEEvSK_
	.p2align	8
	.type	_ZN7rocprim17ROCPRIM_400000_NS6detail17trampoline_kernelINS0_14default_configENS1_36segmented_radix_sort_config_selectorIdlEEZNS1_25segmented_radix_sort_implIS3_Lb1EPKdPdPKlPlN2at6native12_GLOBAL__N_18offset_tEEE10hipError_tPvRmT1_PNSt15iterator_traitsISK_E10value_typeET2_T3_PNSL_ISQ_E10value_typeET4_jRbjT5_SW_jjP12ihipStream_tbEUlT_E1_NS1_11comp_targetILNS1_3genE5ELNS1_11target_archE942ELNS1_3gpuE9ELNS1_3repE0EEENS1_59segmented_radix_sort_warp_sort_small_config_static_selectorELNS0_4arch9wavefront6targetE1EEEvSK_,@function
_ZN7rocprim17ROCPRIM_400000_NS6detail17trampoline_kernelINS0_14default_configENS1_36segmented_radix_sort_config_selectorIdlEEZNS1_25segmented_radix_sort_implIS3_Lb1EPKdPdPKlPlN2at6native12_GLOBAL__N_18offset_tEEE10hipError_tPvRmT1_PNSt15iterator_traitsISK_E10value_typeET2_T3_PNSL_ISQ_E10value_typeET4_jRbjT5_SW_jjP12ihipStream_tbEUlT_E1_NS1_11comp_targetILNS1_3genE5ELNS1_11target_archE942ELNS1_3gpuE9ELNS1_3repE0EEENS1_59segmented_radix_sort_warp_sort_small_config_static_selectorELNS0_4arch9wavefront6targetE1EEEvSK_: ; @_ZN7rocprim17ROCPRIM_400000_NS6detail17trampoline_kernelINS0_14default_configENS1_36segmented_radix_sort_config_selectorIdlEEZNS1_25segmented_radix_sort_implIS3_Lb1EPKdPdPKlPlN2at6native12_GLOBAL__N_18offset_tEEE10hipError_tPvRmT1_PNSt15iterator_traitsISK_E10value_typeET2_T3_PNSL_ISQ_E10value_typeET4_jRbjT5_SW_jjP12ihipStream_tbEUlT_E1_NS1_11comp_targetILNS1_3genE5ELNS1_11target_archE942ELNS1_3gpuE9ELNS1_3repE0EEENS1_59segmented_radix_sort_warp_sort_small_config_static_selectorELNS0_4arch9wavefront6targetE1EEEvSK_
; %bb.0:
	.section	.rodata,"a",@progbits
	.p2align	6, 0x0
	.amdhsa_kernel _ZN7rocprim17ROCPRIM_400000_NS6detail17trampoline_kernelINS0_14default_configENS1_36segmented_radix_sort_config_selectorIdlEEZNS1_25segmented_radix_sort_implIS3_Lb1EPKdPdPKlPlN2at6native12_GLOBAL__N_18offset_tEEE10hipError_tPvRmT1_PNSt15iterator_traitsISK_E10value_typeET2_T3_PNSL_ISQ_E10value_typeET4_jRbjT5_SW_jjP12ihipStream_tbEUlT_E1_NS1_11comp_targetILNS1_3genE5ELNS1_11target_archE942ELNS1_3gpuE9ELNS1_3repE0EEENS1_59segmented_radix_sort_warp_sort_small_config_static_selectorELNS0_4arch9wavefront6targetE1EEEvSK_
		.amdhsa_group_segment_fixed_size 0
		.amdhsa_private_segment_fixed_size 0
		.amdhsa_kernarg_size 88
		.amdhsa_user_sgpr_count 6
		.amdhsa_user_sgpr_private_segment_buffer 1
		.amdhsa_user_sgpr_dispatch_ptr 0
		.amdhsa_user_sgpr_queue_ptr 0
		.amdhsa_user_sgpr_kernarg_segment_ptr 1
		.amdhsa_user_sgpr_dispatch_id 0
		.amdhsa_user_sgpr_flat_scratch_init 0
		.amdhsa_user_sgpr_private_segment_size 0
		.amdhsa_uses_dynamic_stack 0
		.amdhsa_system_sgpr_private_segment_wavefront_offset 0
		.amdhsa_system_sgpr_workgroup_id_x 1
		.amdhsa_system_sgpr_workgroup_id_y 0
		.amdhsa_system_sgpr_workgroup_id_z 0
		.amdhsa_system_sgpr_workgroup_info 0
		.amdhsa_system_vgpr_workitem_id 0
		.amdhsa_next_free_vgpr 1
		.amdhsa_next_free_sgpr 0
		.amdhsa_reserve_vcc 0
		.amdhsa_reserve_flat_scratch 0
		.amdhsa_float_round_mode_32 0
		.amdhsa_float_round_mode_16_64 0
		.amdhsa_float_denorm_mode_32 3
		.amdhsa_float_denorm_mode_16_64 3
		.amdhsa_dx10_clamp 1
		.amdhsa_ieee_mode 1
		.amdhsa_fp16_overflow 0
		.amdhsa_exception_fp_ieee_invalid_op 0
		.amdhsa_exception_fp_denorm_src 0
		.amdhsa_exception_fp_ieee_div_zero 0
		.amdhsa_exception_fp_ieee_overflow 0
		.amdhsa_exception_fp_ieee_underflow 0
		.amdhsa_exception_fp_ieee_inexact 0
		.amdhsa_exception_int_div_zero 0
	.end_amdhsa_kernel
	.section	.text._ZN7rocprim17ROCPRIM_400000_NS6detail17trampoline_kernelINS0_14default_configENS1_36segmented_radix_sort_config_selectorIdlEEZNS1_25segmented_radix_sort_implIS3_Lb1EPKdPdPKlPlN2at6native12_GLOBAL__N_18offset_tEEE10hipError_tPvRmT1_PNSt15iterator_traitsISK_E10value_typeET2_T3_PNSL_ISQ_E10value_typeET4_jRbjT5_SW_jjP12ihipStream_tbEUlT_E1_NS1_11comp_targetILNS1_3genE5ELNS1_11target_archE942ELNS1_3gpuE9ELNS1_3repE0EEENS1_59segmented_radix_sort_warp_sort_small_config_static_selectorELNS0_4arch9wavefront6targetE1EEEvSK_,"axG",@progbits,_ZN7rocprim17ROCPRIM_400000_NS6detail17trampoline_kernelINS0_14default_configENS1_36segmented_radix_sort_config_selectorIdlEEZNS1_25segmented_radix_sort_implIS3_Lb1EPKdPdPKlPlN2at6native12_GLOBAL__N_18offset_tEEE10hipError_tPvRmT1_PNSt15iterator_traitsISK_E10value_typeET2_T3_PNSL_ISQ_E10value_typeET4_jRbjT5_SW_jjP12ihipStream_tbEUlT_E1_NS1_11comp_targetILNS1_3genE5ELNS1_11target_archE942ELNS1_3gpuE9ELNS1_3repE0EEENS1_59segmented_radix_sort_warp_sort_small_config_static_selectorELNS0_4arch9wavefront6targetE1EEEvSK_,comdat
.Lfunc_end1139:
	.size	_ZN7rocprim17ROCPRIM_400000_NS6detail17trampoline_kernelINS0_14default_configENS1_36segmented_radix_sort_config_selectorIdlEEZNS1_25segmented_radix_sort_implIS3_Lb1EPKdPdPKlPlN2at6native12_GLOBAL__N_18offset_tEEE10hipError_tPvRmT1_PNSt15iterator_traitsISK_E10value_typeET2_T3_PNSL_ISQ_E10value_typeET4_jRbjT5_SW_jjP12ihipStream_tbEUlT_E1_NS1_11comp_targetILNS1_3genE5ELNS1_11target_archE942ELNS1_3gpuE9ELNS1_3repE0EEENS1_59segmented_radix_sort_warp_sort_small_config_static_selectorELNS0_4arch9wavefront6targetE1EEEvSK_, .Lfunc_end1139-_ZN7rocprim17ROCPRIM_400000_NS6detail17trampoline_kernelINS0_14default_configENS1_36segmented_radix_sort_config_selectorIdlEEZNS1_25segmented_radix_sort_implIS3_Lb1EPKdPdPKlPlN2at6native12_GLOBAL__N_18offset_tEEE10hipError_tPvRmT1_PNSt15iterator_traitsISK_E10value_typeET2_T3_PNSL_ISQ_E10value_typeET4_jRbjT5_SW_jjP12ihipStream_tbEUlT_E1_NS1_11comp_targetILNS1_3genE5ELNS1_11target_archE942ELNS1_3gpuE9ELNS1_3repE0EEENS1_59segmented_radix_sort_warp_sort_small_config_static_selectorELNS0_4arch9wavefront6targetE1EEEvSK_
                                        ; -- End function
	.set _ZN7rocprim17ROCPRIM_400000_NS6detail17trampoline_kernelINS0_14default_configENS1_36segmented_radix_sort_config_selectorIdlEEZNS1_25segmented_radix_sort_implIS3_Lb1EPKdPdPKlPlN2at6native12_GLOBAL__N_18offset_tEEE10hipError_tPvRmT1_PNSt15iterator_traitsISK_E10value_typeET2_T3_PNSL_ISQ_E10value_typeET4_jRbjT5_SW_jjP12ihipStream_tbEUlT_E1_NS1_11comp_targetILNS1_3genE5ELNS1_11target_archE942ELNS1_3gpuE9ELNS1_3repE0EEENS1_59segmented_radix_sort_warp_sort_small_config_static_selectorELNS0_4arch9wavefront6targetE1EEEvSK_.num_vgpr, 0
	.set _ZN7rocprim17ROCPRIM_400000_NS6detail17trampoline_kernelINS0_14default_configENS1_36segmented_radix_sort_config_selectorIdlEEZNS1_25segmented_radix_sort_implIS3_Lb1EPKdPdPKlPlN2at6native12_GLOBAL__N_18offset_tEEE10hipError_tPvRmT1_PNSt15iterator_traitsISK_E10value_typeET2_T3_PNSL_ISQ_E10value_typeET4_jRbjT5_SW_jjP12ihipStream_tbEUlT_E1_NS1_11comp_targetILNS1_3genE5ELNS1_11target_archE942ELNS1_3gpuE9ELNS1_3repE0EEENS1_59segmented_radix_sort_warp_sort_small_config_static_selectorELNS0_4arch9wavefront6targetE1EEEvSK_.num_agpr, 0
	.set _ZN7rocprim17ROCPRIM_400000_NS6detail17trampoline_kernelINS0_14default_configENS1_36segmented_radix_sort_config_selectorIdlEEZNS1_25segmented_radix_sort_implIS3_Lb1EPKdPdPKlPlN2at6native12_GLOBAL__N_18offset_tEEE10hipError_tPvRmT1_PNSt15iterator_traitsISK_E10value_typeET2_T3_PNSL_ISQ_E10value_typeET4_jRbjT5_SW_jjP12ihipStream_tbEUlT_E1_NS1_11comp_targetILNS1_3genE5ELNS1_11target_archE942ELNS1_3gpuE9ELNS1_3repE0EEENS1_59segmented_radix_sort_warp_sort_small_config_static_selectorELNS0_4arch9wavefront6targetE1EEEvSK_.numbered_sgpr, 0
	.set _ZN7rocprim17ROCPRIM_400000_NS6detail17trampoline_kernelINS0_14default_configENS1_36segmented_radix_sort_config_selectorIdlEEZNS1_25segmented_radix_sort_implIS3_Lb1EPKdPdPKlPlN2at6native12_GLOBAL__N_18offset_tEEE10hipError_tPvRmT1_PNSt15iterator_traitsISK_E10value_typeET2_T3_PNSL_ISQ_E10value_typeET4_jRbjT5_SW_jjP12ihipStream_tbEUlT_E1_NS1_11comp_targetILNS1_3genE5ELNS1_11target_archE942ELNS1_3gpuE9ELNS1_3repE0EEENS1_59segmented_radix_sort_warp_sort_small_config_static_selectorELNS0_4arch9wavefront6targetE1EEEvSK_.num_named_barrier, 0
	.set _ZN7rocprim17ROCPRIM_400000_NS6detail17trampoline_kernelINS0_14default_configENS1_36segmented_radix_sort_config_selectorIdlEEZNS1_25segmented_radix_sort_implIS3_Lb1EPKdPdPKlPlN2at6native12_GLOBAL__N_18offset_tEEE10hipError_tPvRmT1_PNSt15iterator_traitsISK_E10value_typeET2_T3_PNSL_ISQ_E10value_typeET4_jRbjT5_SW_jjP12ihipStream_tbEUlT_E1_NS1_11comp_targetILNS1_3genE5ELNS1_11target_archE942ELNS1_3gpuE9ELNS1_3repE0EEENS1_59segmented_radix_sort_warp_sort_small_config_static_selectorELNS0_4arch9wavefront6targetE1EEEvSK_.private_seg_size, 0
	.set _ZN7rocprim17ROCPRIM_400000_NS6detail17trampoline_kernelINS0_14default_configENS1_36segmented_radix_sort_config_selectorIdlEEZNS1_25segmented_radix_sort_implIS3_Lb1EPKdPdPKlPlN2at6native12_GLOBAL__N_18offset_tEEE10hipError_tPvRmT1_PNSt15iterator_traitsISK_E10value_typeET2_T3_PNSL_ISQ_E10value_typeET4_jRbjT5_SW_jjP12ihipStream_tbEUlT_E1_NS1_11comp_targetILNS1_3genE5ELNS1_11target_archE942ELNS1_3gpuE9ELNS1_3repE0EEENS1_59segmented_radix_sort_warp_sort_small_config_static_selectorELNS0_4arch9wavefront6targetE1EEEvSK_.uses_vcc, 0
	.set _ZN7rocprim17ROCPRIM_400000_NS6detail17trampoline_kernelINS0_14default_configENS1_36segmented_radix_sort_config_selectorIdlEEZNS1_25segmented_radix_sort_implIS3_Lb1EPKdPdPKlPlN2at6native12_GLOBAL__N_18offset_tEEE10hipError_tPvRmT1_PNSt15iterator_traitsISK_E10value_typeET2_T3_PNSL_ISQ_E10value_typeET4_jRbjT5_SW_jjP12ihipStream_tbEUlT_E1_NS1_11comp_targetILNS1_3genE5ELNS1_11target_archE942ELNS1_3gpuE9ELNS1_3repE0EEENS1_59segmented_radix_sort_warp_sort_small_config_static_selectorELNS0_4arch9wavefront6targetE1EEEvSK_.uses_flat_scratch, 0
	.set _ZN7rocprim17ROCPRIM_400000_NS6detail17trampoline_kernelINS0_14default_configENS1_36segmented_radix_sort_config_selectorIdlEEZNS1_25segmented_radix_sort_implIS3_Lb1EPKdPdPKlPlN2at6native12_GLOBAL__N_18offset_tEEE10hipError_tPvRmT1_PNSt15iterator_traitsISK_E10value_typeET2_T3_PNSL_ISQ_E10value_typeET4_jRbjT5_SW_jjP12ihipStream_tbEUlT_E1_NS1_11comp_targetILNS1_3genE5ELNS1_11target_archE942ELNS1_3gpuE9ELNS1_3repE0EEENS1_59segmented_radix_sort_warp_sort_small_config_static_selectorELNS0_4arch9wavefront6targetE1EEEvSK_.has_dyn_sized_stack, 0
	.set _ZN7rocprim17ROCPRIM_400000_NS6detail17trampoline_kernelINS0_14default_configENS1_36segmented_radix_sort_config_selectorIdlEEZNS1_25segmented_radix_sort_implIS3_Lb1EPKdPdPKlPlN2at6native12_GLOBAL__N_18offset_tEEE10hipError_tPvRmT1_PNSt15iterator_traitsISK_E10value_typeET2_T3_PNSL_ISQ_E10value_typeET4_jRbjT5_SW_jjP12ihipStream_tbEUlT_E1_NS1_11comp_targetILNS1_3genE5ELNS1_11target_archE942ELNS1_3gpuE9ELNS1_3repE0EEENS1_59segmented_radix_sort_warp_sort_small_config_static_selectorELNS0_4arch9wavefront6targetE1EEEvSK_.has_recursion, 0
	.set _ZN7rocprim17ROCPRIM_400000_NS6detail17trampoline_kernelINS0_14default_configENS1_36segmented_radix_sort_config_selectorIdlEEZNS1_25segmented_radix_sort_implIS3_Lb1EPKdPdPKlPlN2at6native12_GLOBAL__N_18offset_tEEE10hipError_tPvRmT1_PNSt15iterator_traitsISK_E10value_typeET2_T3_PNSL_ISQ_E10value_typeET4_jRbjT5_SW_jjP12ihipStream_tbEUlT_E1_NS1_11comp_targetILNS1_3genE5ELNS1_11target_archE942ELNS1_3gpuE9ELNS1_3repE0EEENS1_59segmented_radix_sort_warp_sort_small_config_static_selectorELNS0_4arch9wavefront6targetE1EEEvSK_.has_indirect_call, 0
	.section	.AMDGPU.csdata,"",@progbits
; Kernel info:
; codeLenInByte = 0
; TotalNumSgprs: 4
; NumVgprs: 0
; ScratchSize: 0
; MemoryBound: 0
; FloatMode: 240
; IeeeMode: 1
; LDSByteSize: 0 bytes/workgroup (compile time only)
; SGPRBlocks: 0
; VGPRBlocks: 0
; NumSGPRsForWavesPerEU: 4
; NumVGPRsForWavesPerEU: 1
; Occupancy: 10
; WaveLimiterHint : 0
; COMPUTE_PGM_RSRC2:SCRATCH_EN: 0
; COMPUTE_PGM_RSRC2:USER_SGPR: 6
; COMPUTE_PGM_RSRC2:TRAP_HANDLER: 0
; COMPUTE_PGM_RSRC2:TGID_X_EN: 1
; COMPUTE_PGM_RSRC2:TGID_Y_EN: 0
; COMPUTE_PGM_RSRC2:TGID_Z_EN: 0
; COMPUTE_PGM_RSRC2:TIDIG_COMP_CNT: 0
	.section	.text._ZN7rocprim17ROCPRIM_400000_NS6detail17trampoline_kernelINS0_14default_configENS1_36segmented_radix_sort_config_selectorIdlEEZNS1_25segmented_radix_sort_implIS3_Lb1EPKdPdPKlPlN2at6native12_GLOBAL__N_18offset_tEEE10hipError_tPvRmT1_PNSt15iterator_traitsISK_E10value_typeET2_T3_PNSL_ISQ_E10value_typeET4_jRbjT5_SW_jjP12ihipStream_tbEUlT_E1_NS1_11comp_targetILNS1_3genE4ELNS1_11target_archE910ELNS1_3gpuE8ELNS1_3repE0EEENS1_59segmented_radix_sort_warp_sort_small_config_static_selectorELNS0_4arch9wavefront6targetE1EEEvSK_,"axG",@progbits,_ZN7rocprim17ROCPRIM_400000_NS6detail17trampoline_kernelINS0_14default_configENS1_36segmented_radix_sort_config_selectorIdlEEZNS1_25segmented_radix_sort_implIS3_Lb1EPKdPdPKlPlN2at6native12_GLOBAL__N_18offset_tEEE10hipError_tPvRmT1_PNSt15iterator_traitsISK_E10value_typeET2_T3_PNSL_ISQ_E10value_typeET4_jRbjT5_SW_jjP12ihipStream_tbEUlT_E1_NS1_11comp_targetILNS1_3genE4ELNS1_11target_archE910ELNS1_3gpuE8ELNS1_3repE0EEENS1_59segmented_radix_sort_warp_sort_small_config_static_selectorELNS0_4arch9wavefront6targetE1EEEvSK_,comdat
	.globl	_ZN7rocprim17ROCPRIM_400000_NS6detail17trampoline_kernelINS0_14default_configENS1_36segmented_radix_sort_config_selectorIdlEEZNS1_25segmented_radix_sort_implIS3_Lb1EPKdPdPKlPlN2at6native12_GLOBAL__N_18offset_tEEE10hipError_tPvRmT1_PNSt15iterator_traitsISK_E10value_typeET2_T3_PNSL_ISQ_E10value_typeET4_jRbjT5_SW_jjP12ihipStream_tbEUlT_E1_NS1_11comp_targetILNS1_3genE4ELNS1_11target_archE910ELNS1_3gpuE8ELNS1_3repE0EEENS1_59segmented_radix_sort_warp_sort_small_config_static_selectorELNS0_4arch9wavefront6targetE1EEEvSK_ ; -- Begin function _ZN7rocprim17ROCPRIM_400000_NS6detail17trampoline_kernelINS0_14default_configENS1_36segmented_radix_sort_config_selectorIdlEEZNS1_25segmented_radix_sort_implIS3_Lb1EPKdPdPKlPlN2at6native12_GLOBAL__N_18offset_tEEE10hipError_tPvRmT1_PNSt15iterator_traitsISK_E10value_typeET2_T3_PNSL_ISQ_E10value_typeET4_jRbjT5_SW_jjP12ihipStream_tbEUlT_E1_NS1_11comp_targetILNS1_3genE4ELNS1_11target_archE910ELNS1_3gpuE8ELNS1_3repE0EEENS1_59segmented_radix_sort_warp_sort_small_config_static_selectorELNS0_4arch9wavefront6targetE1EEEvSK_
	.p2align	8
	.type	_ZN7rocprim17ROCPRIM_400000_NS6detail17trampoline_kernelINS0_14default_configENS1_36segmented_radix_sort_config_selectorIdlEEZNS1_25segmented_radix_sort_implIS3_Lb1EPKdPdPKlPlN2at6native12_GLOBAL__N_18offset_tEEE10hipError_tPvRmT1_PNSt15iterator_traitsISK_E10value_typeET2_T3_PNSL_ISQ_E10value_typeET4_jRbjT5_SW_jjP12ihipStream_tbEUlT_E1_NS1_11comp_targetILNS1_3genE4ELNS1_11target_archE910ELNS1_3gpuE8ELNS1_3repE0EEENS1_59segmented_radix_sort_warp_sort_small_config_static_selectorELNS0_4arch9wavefront6targetE1EEEvSK_,@function
_ZN7rocprim17ROCPRIM_400000_NS6detail17trampoline_kernelINS0_14default_configENS1_36segmented_radix_sort_config_selectorIdlEEZNS1_25segmented_radix_sort_implIS3_Lb1EPKdPdPKlPlN2at6native12_GLOBAL__N_18offset_tEEE10hipError_tPvRmT1_PNSt15iterator_traitsISK_E10value_typeET2_T3_PNSL_ISQ_E10value_typeET4_jRbjT5_SW_jjP12ihipStream_tbEUlT_E1_NS1_11comp_targetILNS1_3genE4ELNS1_11target_archE910ELNS1_3gpuE8ELNS1_3repE0EEENS1_59segmented_radix_sort_warp_sort_small_config_static_selectorELNS0_4arch9wavefront6targetE1EEEvSK_: ; @_ZN7rocprim17ROCPRIM_400000_NS6detail17trampoline_kernelINS0_14default_configENS1_36segmented_radix_sort_config_selectorIdlEEZNS1_25segmented_radix_sort_implIS3_Lb1EPKdPdPKlPlN2at6native12_GLOBAL__N_18offset_tEEE10hipError_tPvRmT1_PNSt15iterator_traitsISK_E10value_typeET2_T3_PNSL_ISQ_E10value_typeET4_jRbjT5_SW_jjP12ihipStream_tbEUlT_E1_NS1_11comp_targetILNS1_3genE4ELNS1_11target_archE910ELNS1_3gpuE8ELNS1_3repE0EEENS1_59segmented_radix_sort_warp_sort_small_config_static_selectorELNS0_4arch9wavefront6targetE1EEEvSK_
; %bb.0:
	.section	.rodata,"a",@progbits
	.p2align	6, 0x0
	.amdhsa_kernel _ZN7rocprim17ROCPRIM_400000_NS6detail17trampoline_kernelINS0_14default_configENS1_36segmented_radix_sort_config_selectorIdlEEZNS1_25segmented_radix_sort_implIS3_Lb1EPKdPdPKlPlN2at6native12_GLOBAL__N_18offset_tEEE10hipError_tPvRmT1_PNSt15iterator_traitsISK_E10value_typeET2_T3_PNSL_ISQ_E10value_typeET4_jRbjT5_SW_jjP12ihipStream_tbEUlT_E1_NS1_11comp_targetILNS1_3genE4ELNS1_11target_archE910ELNS1_3gpuE8ELNS1_3repE0EEENS1_59segmented_radix_sort_warp_sort_small_config_static_selectorELNS0_4arch9wavefront6targetE1EEEvSK_
		.amdhsa_group_segment_fixed_size 0
		.amdhsa_private_segment_fixed_size 0
		.amdhsa_kernarg_size 88
		.amdhsa_user_sgpr_count 6
		.amdhsa_user_sgpr_private_segment_buffer 1
		.amdhsa_user_sgpr_dispatch_ptr 0
		.amdhsa_user_sgpr_queue_ptr 0
		.amdhsa_user_sgpr_kernarg_segment_ptr 1
		.amdhsa_user_sgpr_dispatch_id 0
		.amdhsa_user_sgpr_flat_scratch_init 0
		.amdhsa_user_sgpr_private_segment_size 0
		.amdhsa_uses_dynamic_stack 0
		.amdhsa_system_sgpr_private_segment_wavefront_offset 0
		.amdhsa_system_sgpr_workgroup_id_x 1
		.amdhsa_system_sgpr_workgroup_id_y 0
		.amdhsa_system_sgpr_workgroup_id_z 0
		.amdhsa_system_sgpr_workgroup_info 0
		.amdhsa_system_vgpr_workitem_id 0
		.amdhsa_next_free_vgpr 1
		.amdhsa_next_free_sgpr 0
		.amdhsa_reserve_vcc 0
		.amdhsa_reserve_flat_scratch 0
		.amdhsa_float_round_mode_32 0
		.amdhsa_float_round_mode_16_64 0
		.amdhsa_float_denorm_mode_32 3
		.amdhsa_float_denorm_mode_16_64 3
		.amdhsa_dx10_clamp 1
		.amdhsa_ieee_mode 1
		.amdhsa_fp16_overflow 0
		.amdhsa_exception_fp_ieee_invalid_op 0
		.amdhsa_exception_fp_denorm_src 0
		.amdhsa_exception_fp_ieee_div_zero 0
		.amdhsa_exception_fp_ieee_overflow 0
		.amdhsa_exception_fp_ieee_underflow 0
		.amdhsa_exception_fp_ieee_inexact 0
		.amdhsa_exception_int_div_zero 0
	.end_amdhsa_kernel
	.section	.text._ZN7rocprim17ROCPRIM_400000_NS6detail17trampoline_kernelINS0_14default_configENS1_36segmented_radix_sort_config_selectorIdlEEZNS1_25segmented_radix_sort_implIS3_Lb1EPKdPdPKlPlN2at6native12_GLOBAL__N_18offset_tEEE10hipError_tPvRmT1_PNSt15iterator_traitsISK_E10value_typeET2_T3_PNSL_ISQ_E10value_typeET4_jRbjT5_SW_jjP12ihipStream_tbEUlT_E1_NS1_11comp_targetILNS1_3genE4ELNS1_11target_archE910ELNS1_3gpuE8ELNS1_3repE0EEENS1_59segmented_radix_sort_warp_sort_small_config_static_selectorELNS0_4arch9wavefront6targetE1EEEvSK_,"axG",@progbits,_ZN7rocprim17ROCPRIM_400000_NS6detail17trampoline_kernelINS0_14default_configENS1_36segmented_radix_sort_config_selectorIdlEEZNS1_25segmented_radix_sort_implIS3_Lb1EPKdPdPKlPlN2at6native12_GLOBAL__N_18offset_tEEE10hipError_tPvRmT1_PNSt15iterator_traitsISK_E10value_typeET2_T3_PNSL_ISQ_E10value_typeET4_jRbjT5_SW_jjP12ihipStream_tbEUlT_E1_NS1_11comp_targetILNS1_3genE4ELNS1_11target_archE910ELNS1_3gpuE8ELNS1_3repE0EEENS1_59segmented_radix_sort_warp_sort_small_config_static_selectorELNS0_4arch9wavefront6targetE1EEEvSK_,comdat
.Lfunc_end1140:
	.size	_ZN7rocprim17ROCPRIM_400000_NS6detail17trampoline_kernelINS0_14default_configENS1_36segmented_radix_sort_config_selectorIdlEEZNS1_25segmented_radix_sort_implIS3_Lb1EPKdPdPKlPlN2at6native12_GLOBAL__N_18offset_tEEE10hipError_tPvRmT1_PNSt15iterator_traitsISK_E10value_typeET2_T3_PNSL_ISQ_E10value_typeET4_jRbjT5_SW_jjP12ihipStream_tbEUlT_E1_NS1_11comp_targetILNS1_3genE4ELNS1_11target_archE910ELNS1_3gpuE8ELNS1_3repE0EEENS1_59segmented_radix_sort_warp_sort_small_config_static_selectorELNS0_4arch9wavefront6targetE1EEEvSK_, .Lfunc_end1140-_ZN7rocprim17ROCPRIM_400000_NS6detail17trampoline_kernelINS0_14default_configENS1_36segmented_radix_sort_config_selectorIdlEEZNS1_25segmented_radix_sort_implIS3_Lb1EPKdPdPKlPlN2at6native12_GLOBAL__N_18offset_tEEE10hipError_tPvRmT1_PNSt15iterator_traitsISK_E10value_typeET2_T3_PNSL_ISQ_E10value_typeET4_jRbjT5_SW_jjP12ihipStream_tbEUlT_E1_NS1_11comp_targetILNS1_3genE4ELNS1_11target_archE910ELNS1_3gpuE8ELNS1_3repE0EEENS1_59segmented_radix_sort_warp_sort_small_config_static_selectorELNS0_4arch9wavefront6targetE1EEEvSK_
                                        ; -- End function
	.set _ZN7rocprim17ROCPRIM_400000_NS6detail17trampoline_kernelINS0_14default_configENS1_36segmented_radix_sort_config_selectorIdlEEZNS1_25segmented_radix_sort_implIS3_Lb1EPKdPdPKlPlN2at6native12_GLOBAL__N_18offset_tEEE10hipError_tPvRmT1_PNSt15iterator_traitsISK_E10value_typeET2_T3_PNSL_ISQ_E10value_typeET4_jRbjT5_SW_jjP12ihipStream_tbEUlT_E1_NS1_11comp_targetILNS1_3genE4ELNS1_11target_archE910ELNS1_3gpuE8ELNS1_3repE0EEENS1_59segmented_radix_sort_warp_sort_small_config_static_selectorELNS0_4arch9wavefront6targetE1EEEvSK_.num_vgpr, 0
	.set _ZN7rocprim17ROCPRIM_400000_NS6detail17trampoline_kernelINS0_14default_configENS1_36segmented_radix_sort_config_selectorIdlEEZNS1_25segmented_radix_sort_implIS3_Lb1EPKdPdPKlPlN2at6native12_GLOBAL__N_18offset_tEEE10hipError_tPvRmT1_PNSt15iterator_traitsISK_E10value_typeET2_T3_PNSL_ISQ_E10value_typeET4_jRbjT5_SW_jjP12ihipStream_tbEUlT_E1_NS1_11comp_targetILNS1_3genE4ELNS1_11target_archE910ELNS1_3gpuE8ELNS1_3repE0EEENS1_59segmented_radix_sort_warp_sort_small_config_static_selectorELNS0_4arch9wavefront6targetE1EEEvSK_.num_agpr, 0
	.set _ZN7rocprim17ROCPRIM_400000_NS6detail17trampoline_kernelINS0_14default_configENS1_36segmented_radix_sort_config_selectorIdlEEZNS1_25segmented_radix_sort_implIS3_Lb1EPKdPdPKlPlN2at6native12_GLOBAL__N_18offset_tEEE10hipError_tPvRmT1_PNSt15iterator_traitsISK_E10value_typeET2_T3_PNSL_ISQ_E10value_typeET4_jRbjT5_SW_jjP12ihipStream_tbEUlT_E1_NS1_11comp_targetILNS1_3genE4ELNS1_11target_archE910ELNS1_3gpuE8ELNS1_3repE0EEENS1_59segmented_radix_sort_warp_sort_small_config_static_selectorELNS0_4arch9wavefront6targetE1EEEvSK_.numbered_sgpr, 0
	.set _ZN7rocprim17ROCPRIM_400000_NS6detail17trampoline_kernelINS0_14default_configENS1_36segmented_radix_sort_config_selectorIdlEEZNS1_25segmented_radix_sort_implIS3_Lb1EPKdPdPKlPlN2at6native12_GLOBAL__N_18offset_tEEE10hipError_tPvRmT1_PNSt15iterator_traitsISK_E10value_typeET2_T3_PNSL_ISQ_E10value_typeET4_jRbjT5_SW_jjP12ihipStream_tbEUlT_E1_NS1_11comp_targetILNS1_3genE4ELNS1_11target_archE910ELNS1_3gpuE8ELNS1_3repE0EEENS1_59segmented_radix_sort_warp_sort_small_config_static_selectorELNS0_4arch9wavefront6targetE1EEEvSK_.num_named_barrier, 0
	.set _ZN7rocprim17ROCPRIM_400000_NS6detail17trampoline_kernelINS0_14default_configENS1_36segmented_radix_sort_config_selectorIdlEEZNS1_25segmented_radix_sort_implIS3_Lb1EPKdPdPKlPlN2at6native12_GLOBAL__N_18offset_tEEE10hipError_tPvRmT1_PNSt15iterator_traitsISK_E10value_typeET2_T3_PNSL_ISQ_E10value_typeET4_jRbjT5_SW_jjP12ihipStream_tbEUlT_E1_NS1_11comp_targetILNS1_3genE4ELNS1_11target_archE910ELNS1_3gpuE8ELNS1_3repE0EEENS1_59segmented_radix_sort_warp_sort_small_config_static_selectorELNS0_4arch9wavefront6targetE1EEEvSK_.private_seg_size, 0
	.set _ZN7rocprim17ROCPRIM_400000_NS6detail17trampoline_kernelINS0_14default_configENS1_36segmented_radix_sort_config_selectorIdlEEZNS1_25segmented_radix_sort_implIS3_Lb1EPKdPdPKlPlN2at6native12_GLOBAL__N_18offset_tEEE10hipError_tPvRmT1_PNSt15iterator_traitsISK_E10value_typeET2_T3_PNSL_ISQ_E10value_typeET4_jRbjT5_SW_jjP12ihipStream_tbEUlT_E1_NS1_11comp_targetILNS1_3genE4ELNS1_11target_archE910ELNS1_3gpuE8ELNS1_3repE0EEENS1_59segmented_radix_sort_warp_sort_small_config_static_selectorELNS0_4arch9wavefront6targetE1EEEvSK_.uses_vcc, 0
	.set _ZN7rocprim17ROCPRIM_400000_NS6detail17trampoline_kernelINS0_14default_configENS1_36segmented_radix_sort_config_selectorIdlEEZNS1_25segmented_radix_sort_implIS3_Lb1EPKdPdPKlPlN2at6native12_GLOBAL__N_18offset_tEEE10hipError_tPvRmT1_PNSt15iterator_traitsISK_E10value_typeET2_T3_PNSL_ISQ_E10value_typeET4_jRbjT5_SW_jjP12ihipStream_tbEUlT_E1_NS1_11comp_targetILNS1_3genE4ELNS1_11target_archE910ELNS1_3gpuE8ELNS1_3repE0EEENS1_59segmented_radix_sort_warp_sort_small_config_static_selectorELNS0_4arch9wavefront6targetE1EEEvSK_.uses_flat_scratch, 0
	.set _ZN7rocprim17ROCPRIM_400000_NS6detail17trampoline_kernelINS0_14default_configENS1_36segmented_radix_sort_config_selectorIdlEEZNS1_25segmented_radix_sort_implIS3_Lb1EPKdPdPKlPlN2at6native12_GLOBAL__N_18offset_tEEE10hipError_tPvRmT1_PNSt15iterator_traitsISK_E10value_typeET2_T3_PNSL_ISQ_E10value_typeET4_jRbjT5_SW_jjP12ihipStream_tbEUlT_E1_NS1_11comp_targetILNS1_3genE4ELNS1_11target_archE910ELNS1_3gpuE8ELNS1_3repE0EEENS1_59segmented_radix_sort_warp_sort_small_config_static_selectorELNS0_4arch9wavefront6targetE1EEEvSK_.has_dyn_sized_stack, 0
	.set _ZN7rocprim17ROCPRIM_400000_NS6detail17trampoline_kernelINS0_14default_configENS1_36segmented_radix_sort_config_selectorIdlEEZNS1_25segmented_radix_sort_implIS3_Lb1EPKdPdPKlPlN2at6native12_GLOBAL__N_18offset_tEEE10hipError_tPvRmT1_PNSt15iterator_traitsISK_E10value_typeET2_T3_PNSL_ISQ_E10value_typeET4_jRbjT5_SW_jjP12ihipStream_tbEUlT_E1_NS1_11comp_targetILNS1_3genE4ELNS1_11target_archE910ELNS1_3gpuE8ELNS1_3repE0EEENS1_59segmented_radix_sort_warp_sort_small_config_static_selectorELNS0_4arch9wavefront6targetE1EEEvSK_.has_recursion, 0
	.set _ZN7rocprim17ROCPRIM_400000_NS6detail17trampoline_kernelINS0_14default_configENS1_36segmented_radix_sort_config_selectorIdlEEZNS1_25segmented_radix_sort_implIS3_Lb1EPKdPdPKlPlN2at6native12_GLOBAL__N_18offset_tEEE10hipError_tPvRmT1_PNSt15iterator_traitsISK_E10value_typeET2_T3_PNSL_ISQ_E10value_typeET4_jRbjT5_SW_jjP12ihipStream_tbEUlT_E1_NS1_11comp_targetILNS1_3genE4ELNS1_11target_archE910ELNS1_3gpuE8ELNS1_3repE0EEENS1_59segmented_radix_sort_warp_sort_small_config_static_selectorELNS0_4arch9wavefront6targetE1EEEvSK_.has_indirect_call, 0
	.section	.AMDGPU.csdata,"",@progbits
; Kernel info:
; codeLenInByte = 0
; TotalNumSgprs: 4
; NumVgprs: 0
; ScratchSize: 0
; MemoryBound: 0
; FloatMode: 240
; IeeeMode: 1
; LDSByteSize: 0 bytes/workgroup (compile time only)
; SGPRBlocks: 0
; VGPRBlocks: 0
; NumSGPRsForWavesPerEU: 4
; NumVGPRsForWavesPerEU: 1
; Occupancy: 10
; WaveLimiterHint : 0
; COMPUTE_PGM_RSRC2:SCRATCH_EN: 0
; COMPUTE_PGM_RSRC2:USER_SGPR: 6
; COMPUTE_PGM_RSRC2:TRAP_HANDLER: 0
; COMPUTE_PGM_RSRC2:TGID_X_EN: 1
; COMPUTE_PGM_RSRC2:TGID_Y_EN: 0
; COMPUTE_PGM_RSRC2:TGID_Z_EN: 0
; COMPUTE_PGM_RSRC2:TIDIG_COMP_CNT: 0
	.section	.text._ZN7rocprim17ROCPRIM_400000_NS6detail17trampoline_kernelINS0_14default_configENS1_36segmented_radix_sort_config_selectorIdlEEZNS1_25segmented_radix_sort_implIS3_Lb1EPKdPdPKlPlN2at6native12_GLOBAL__N_18offset_tEEE10hipError_tPvRmT1_PNSt15iterator_traitsISK_E10value_typeET2_T3_PNSL_ISQ_E10value_typeET4_jRbjT5_SW_jjP12ihipStream_tbEUlT_E1_NS1_11comp_targetILNS1_3genE3ELNS1_11target_archE908ELNS1_3gpuE7ELNS1_3repE0EEENS1_59segmented_radix_sort_warp_sort_small_config_static_selectorELNS0_4arch9wavefront6targetE1EEEvSK_,"axG",@progbits,_ZN7rocprim17ROCPRIM_400000_NS6detail17trampoline_kernelINS0_14default_configENS1_36segmented_radix_sort_config_selectorIdlEEZNS1_25segmented_radix_sort_implIS3_Lb1EPKdPdPKlPlN2at6native12_GLOBAL__N_18offset_tEEE10hipError_tPvRmT1_PNSt15iterator_traitsISK_E10value_typeET2_T3_PNSL_ISQ_E10value_typeET4_jRbjT5_SW_jjP12ihipStream_tbEUlT_E1_NS1_11comp_targetILNS1_3genE3ELNS1_11target_archE908ELNS1_3gpuE7ELNS1_3repE0EEENS1_59segmented_radix_sort_warp_sort_small_config_static_selectorELNS0_4arch9wavefront6targetE1EEEvSK_,comdat
	.globl	_ZN7rocprim17ROCPRIM_400000_NS6detail17trampoline_kernelINS0_14default_configENS1_36segmented_radix_sort_config_selectorIdlEEZNS1_25segmented_radix_sort_implIS3_Lb1EPKdPdPKlPlN2at6native12_GLOBAL__N_18offset_tEEE10hipError_tPvRmT1_PNSt15iterator_traitsISK_E10value_typeET2_T3_PNSL_ISQ_E10value_typeET4_jRbjT5_SW_jjP12ihipStream_tbEUlT_E1_NS1_11comp_targetILNS1_3genE3ELNS1_11target_archE908ELNS1_3gpuE7ELNS1_3repE0EEENS1_59segmented_radix_sort_warp_sort_small_config_static_selectorELNS0_4arch9wavefront6targetE1EEEvSK_ ; -- Begin function _ZN7rocprim17ROCPRIM_400000_NS6detail17trampoline_kernelINS0_14default_configENS1_36segmented_radix_sort_config_selectorIdlEEZNS1_25segmented_radix_sort_implIS3_Lb1EPKdPdPKlPlN2at6native12_GLOBAL__N_18offset_tEEE10hipError_tPvRmT1_PNSt15iterator_traitsISK_E10value_typeET2_T3_PNSL_ISQ_E10value_typeET4_jRbjT5_SW_jjP12ihipStream_tbEUlT_E1_NS1_11comp_targetILNS1_3genE3ELNS1_11target_archE908ELNS1_3gpuE7ELNS1_3repE0EEENS1_59segmented_radix_sort_warp_sort_small_config_static_selectorELNS0_4arch9wavefront6targetE1EEEvSK_
	.p2align	8
	.type	_ZN7rocprim17ROCPRIM_400000_NS6detail17trampoline_kernelINS0_14default_configENS1_36segmented_radix_sort_config_selectorIdlEEZNS1_25segmented_radix_sort_implIS3_Lb1EPKdPdPKlPlN2at6native12_GLOBAL__N_18offset_tEEE10hipError_tPvRmT1_PNSt15iterator_traitsISK_E10value_typeET2_T3_PNSL_ISQ_E10value_typeET4_jRbjT5_SW_jjP12ihipStream_tbEUlT_E1_NS1_11comp_targetILNS1_3genE3ELNS1_11target_archE908ELNS1_3gpuE7ELNS1_3repE0EEENS1_59segmented_radix_sort_warp_sort_small_config_static_selectorELNS0_4arch9wavefront6targetE1EEEvSK_,@function
_ZN7rocprim17ROCPRIM_400000_NS6detail17trampoline_kernelINS0_14default_configENS1_36segmented_radix_sort_config_selectorIdlEEZNS1_25segmented_radix_sort_implIS3_Lb1EPKdPdPKlPlN2at6native12_GLOBAL__N_18offset_tEEE10hipError_tPvRmT1_PNSt15iterator_traitsISK_E10value_typeET2_T3_PNSL_ISQ_E10value_typeET4_jRbjT5_SW_jjP12ihipStream_tbEUlT_E1_NS1_11comp_targetILNS1_3genE3ELNS1_11target_archE908ELNS1_3gpuE7ELNS1_3repE0EEENS1_59segmented_radix_sort_warp_sort_small_config_static_selectorELNS0_4arch9wavefront6targetE1EEEvSK_: ; @_ZN7rocprim17ROCPRIM_400000_NS6detail17trampoline_kernelINS0_14default_configENS1_36segmented_radix_sort_config_selectorIdlEEZNS1_25segmented_radix_sort_implIS3_Lb1EPKdPdPKlPlN2at6native12_GLOBAL__N_18offset_tEEE10hipError_tPvRmT1_PNSt15iterator_traitsISK_E10value_typeET2_T3_PNSL_ISQ_E10value_typeET4_jRbjT5_SW_jjP12ihipStream_tbEUlT_E1_NS1_11comp_targetILNS1_3genE3ELNS1_11target_archE908ELNS1_3gpuE7ELNS1_3repE0EEENS1_59segmented_radix_sort_warp_sort_small_config_static_selectorELNS0_4arch9wavefront6targetE1EEEvSK_
; %bb.0:
	.section	.rodata,"a",@progbits
	.p2align	6, 0x0
	.amdhsa_kernel _ZN7rocprim17ROCPRIM_400000_NS6detail17trampoline_kernelINS0_14default_configENS1_36segmented_radix_sort_config_selectorIdlEEZNS1_25segmented_radix_sort_implIS3_Lb1EPKdPdPKlPlN2at6native12_GLOBAL__N_18offset_tEEE10hipError_tPvRmT1_PNSt15iterator_traitsISK_E10value_typeET2_T3_PNSL_ISQ_E10value_typeET4_jRbjT5_SW_jjP12ihipStream_tbEUlT_E1_NS1_11comp_targetILNS1_3genE3ELNS1_11target_archE908ELNS1_3gpuE7ELNS1_3repE0EEENS1_59segmented_radix_sort_warp_sort_small_config_static_selectorELNS0_4arch9wavefront6targetE1EEEvSK_
		.amdhsa_group_segment_fixed_size 0
		.amdhsa_private_segment_fixed_size 0
		.amdhsa_kernarg_size 88
		.amdhsa_user_sgpr_count 6
		.amdhsa_user_sgpr_private_segment_buffer 1
		.amdhsa_user_sgpr_dispatch_ptr 0
		.amdhsa_user_sgpr_queue_ptr 0
		.amdhsa_user_sgpr_kernarg_segment_ptr 1
		.amdhsa_user_sgpr_dispatch_id 0
		.amdhsa_user_sgpr_flat_scratch_init 0
		.amdhsa_user_sgpr_private_segment_size 0
		.amdhsa_uses_dynamic_stack 0
		.amdhsa_system_sgpr_private_segment_wavefront_offset 0
		.amdhsa_system_sgpr_workgroup_id_x 1
		.amdhsa_system_sgpr_workgroup_id_y 0
		.amdhsa_system_sgpr_workgroup_id_z 0
		.amdhsa_system_sgpr_workgroup_info 0
		.amdhsa_system_vgpr_workitem_id 0
		.amdhsa_next_free_vgpr 1
		.amdhsa_next_free_sgpr 0
		.amdhsa_reserve_vcc 0
		.amdhsa_reserve_flat_scratch 0
		.amdhsa_float_round_mode_32 0
		.amdhsa_float_round_mode_16_64 0
		.amdhsa_float_denorm_mode_32 3
		.amdhsa_float_denorm_mode_16_64 3
		.amdhsa_dx10_clamp 1
		.amdhsa_ieee_mode 1
		.amdhsa_fp16_overflow 0
		.amdhsa_exception_fp_ieee_invalid_op 0
		.amdhsa_exception_fp_denorm_src 0
		.amdhsa_exception_fp_ieee_div_zero 0
		.amdhsa_exception_fp_ieee_overflow 0
		.amdhsa_exception_fp_ieee_underflow 0
		.amdhsa_exception_fp_ieee_inexact 0
		.amdhsa_exception_int_div_zero 0
	.end_amdhsa_kernel
	.section	.text._ZN7rocprim17ROCPRIM_400000_NS6detail17trampoline_kernelINS0_14default_configENS1_36segmented_radix_sort_config_selectorIdlEEZNS1_25segmented_radix_sort_implIS3_Lb1EPKdPdPKlPlN2at6native12_GLOBAL__N_18offset_tEEE10hipError_tPvRmT1_PNSt15iterator_traitsISK_E10value_typeET2_T3_PNSL_ISQ_E10value_typeET4_jRbjT5_SW_jjP12ihipStream_tbEUlT_E1_NS1_11comp_targetILNS1_3genE3ELNS1_11target_archE908ELNS1_3gpuE7ELNS1_3repE0EEENS1_59segmented_radix_sort_warp_sort_small_config_static_selectorELNS0_4arch9wavefront6targetE1EEEvSK_,"axG",@progbits,_ZN7rocprim17ROCPRIM_400000_NS6detail17trampoline_kernelINS0_14default_configENS1_36segmented_radix_sort_config_selectorIdlEEZNS1_25segmented_radix_sort_implIS3_Lb1EPKdPdPKlPlN2at6native12_GLOBAL__N_18offset_tEEE10hipError_tPvRmT1_PNSt15iterator_traitsISK_E10value_typeET2_T3_PNSL_ISQ_E10value_typeET4_jRbjT5_SW_jjP12ihipStream_tbEUlT_E1_NS1_11comp_targetILNS1_3genE3ELNS1_11target_archE908ELNS1_3gpuE7ELNS1_3repE0EEENS1_59segmented_radix_sort_warp_sort_small_config_static_selectorELNS0_4arch9wavefront6targetE1EEEvSK_,comdat
.Lfunc_end1141:
	.size	_ZN7rocprim17ROCPRIM_400000_NS6detail17trampoline_kernelINS0_14default_configENS1_36segmented_radix_sort_config_selectorIdlEEZNS1_25segmented_radix_sort_implIS3_Lb1EPKdPdPKlPlN2at6native12_GLOBAL__N_18offset_tEEE10hipError_tPvRmT1_PNSt15iterator_traitsISK_E10value_typeET2_T3_PNSL_ISQ_E10value_typeET4_jRbjT5_SW_jjP12ihipStream_tbEUlT_E1_NS1_11comp_targetILNS1_3genE3ELNS1_11target_archE908ELNS1_3gpuE7ELNS1_3repE0EEENS1_59segmented_radix_sort_warp_sort_small_config_static_selectorELNS0_4arch9wavefront6targetE1EEEvSK_, .Lfunc_end1141-_ZN7rocprim17ROCPRIM_400000_NS6detail17trampoline_kernelINS0_14default_configENS1_36segmented_radix_sort_config_selectorIdlEEZNS1_25segmented_radix_sort_implIS3_Lb1EPKdPdPKlPlN2at6native12_GLOBAL__N_18offset_tEEE10hipError_tPvRmT1_PNSt15iterator_traitsISK_E10value_typeET2_T3_PNSL_ISQ_E10value_typeET4_jRbjT5_SW_jjP12ihipStream_tbEUlT_E1_NS1_11comp_targetILNS1_3genE3ELNS1_11target_archE908ELNS1_3gpuE7ELNS1_3repE0EEENS1_59segmented_radix_sort_warp_sort_small_config_static_selectorELNS0_4arch9wavefront6targetE1EEEvSK_
                                        ; -- End function
	.set _ZN7rocprim17ROCPRIM_400000_NS6detail17trampoline_kernelINS0_14default_configENS1_36segmented_radix_sort_config_selectorIdlEEZNS1_25segmented_radix_sort_implIS3_Lb1EPKdPdPKlPlN2at6native12_GLOBAL__N_18offset_tEEE10hipError_tPvRmT1_PNSt15iterator_traitsISK_E10value_typeET2_T3_PNSL_ISQ_E10value_typeET4_jRbjT5_SW_jjP12ihipStream_tbEUlT_E1_NS1_11comp_targetILNS1_3genE3ELNS1_11target_archE908ELNS1_3gpuE7ELNS1_3repE0EEENS1_59segmented_radix_sort_warp_sort_small_config_static_selectorELNS0_4arch9wavefront6targetE1EEEvSK_.num_vgpr, 0
	.set _ZN7rocprim17ROCPRIM_400000_NS6detail17trampoline_kernelINS0_14default_configENS1_36segmented_radix_sort_config_selectorIdlEEZNS1_25segmented_radix_sort_implIS3_Lb1EPKdPdPKlPlN2at6native12_GLOBAL__N_18offset_tEEE10hipError_tPvRmT1_PNSt15iterator_traitsISK_E10value_typeET2_T3_PNSL_ISQ_E10value_typeET4_jRbjT5_SW_jjP12ihipStream_tbEUlT_E1_NS1_11comp_targetILNS1_3genE3ELNS1_11target_archE908ELNS1_3gpuE7ELNS1_3repE0EEENS1_59segmented_radix_sort_warp_sort_small_config_static_selectorELNS0_4arch9wavefront6targetE1EEEvSK_.num_agpr, 0
	.set _ZN7rocprim17ROCPRIM_400000_NS6detail17trampoline_kernelINS0_14default_configENS1_36segmented_radix_sort_config_selectorIdlEEZNS1_25segmented_radix_sort_implIS3_Lb1EPKdPdPKlPlN2at6native12_GLOBAL__N_18offset_tEEE10hipError_tPvRmT1_PNSt15iterator_traitsISK_E10value_typeET2_T3_PNSL_ISQ_E10value_typeET4_jRbjT5_SW_jjP12ihipStream_tbEUlT_E1_NS1_11comp_targetILNS1_3genE3ELNS1_11target_archE908ELNS1_3gpuE7ELNS1_3repE0EEENS1_59segmented_radix_sort_warp_sort_small_config_static_selectorELNS0_4arch9wavefront6targetE1EEEvSK_.numbered_sgpr, 0
	.set _ZN7rocprim17ROCPRIM_400000_NS6detail17trampoline_kernelINS0_14default_configENS1_36segmented_radix_sort_config_selectorIdlEEZNS1_25segmented_radix_sort_implIS3_Lb1EPKdPdPKlPlN2at6native12_GLOBAL__N_18offset_tEEE10hipError_tPvRmT1_PNSt15iterator_traitsISK_E10value_typeET2_T3_PNSL_ISQ_E10value_typeET4_jRbjT5_SW_jjP12ihipStream_tbEUlT_E1_NS1_11comp_targetILNS1_3genE3ELNS1_11target_archE908ELNS1_3gpuE7ELNS1_3repE0EEENS1_59segmented_radix_sort_warp_sort_small_config_static_selectorELNS0_4arch9wavefront6targetE1EEEvSK_.num_named_barrier, 0
	.set _ZN7rocprim17ROCPRIM_400000_NS6detail17trampoline_kernelINS0_14default_configENS1_36segmented_radix_sort_config_selectorIdlEEZNS1_25segmented_radix_sort_implIS3_Lb1EPKdPdPKlPlN2at6native12_GLOBAL__N_18offset_tEEE10hipError_tPvRmT1_PNSt15iterator_traitsISK_E10value_typeET2_T3_PNSL_ISQ_E10value_typeET4_jRbjT5_SW_jjP12ihipStream_tbEUlT_E1_NS1_11comp_targetILNS1_3genE3ELNS1_11target_archE908ELNS1_3gpuE7ELNS1_3repE0EEENS1_59segmented_radix_sort_warp_sort_small_config_static_selectorELNS0_4arch9wavefront6targetE1EEEvSK_.private_seg_size, 0
	.set _ZN7rocprim17ROCPRIM_400000_NS6detail17trampoline_kernelINS0_14default_configENS1_36segmented_radix_sort_config_selectorIdlEEZNS1_25segmented_radix_sort_implIS3_Lb1EPKdPdPKlPlN2at6native12_GLOBAL__N_18offset_tEEE10hipError_tPvRmT1_PNSt15iterator_traitsISK_E10value_typeET2_T3_PNSL_ISQ_E10value_typeET4_jRbjT5_SW_jjP12ihipStream_tbEUlT_E1_NS1_11comp_targetILNS1_3genE3ELNS1_11target_archE908ELNS1_3gpuE7ELNS1_3repE0EEENS1_59segmented_radix_sort_warp_sort_small_config_static_selectorELNS0_4arch9wavefront6targetE1EEEvSK_.uses_vcc, 0
	.set _ZN7rocprim17ROCPRIM_400000_NS6detail17trampoline_kernelINS0_14default_configENS1_36segmented_radix_sort_config_selectorIdlEEZNS1_25segmented_radix_sort_implIS3_Lb1EPKdPdPKlPlN2at6native12_GLOBAL__N_18offset_tEEE10hipError_tPvRmT1_PNSt15iterator_traitsISK_E10value_typeET2_T3_PNSL_ISQ_E10value_typeET4_jRbjT5_SW_jjP12ihipStream_tbEUlT_E1_NS1_11comp_targetILNS1_3genE3ELNS1_11target_archE908ELNS1_3gpuE7ELNS1_3repE0EEENS1_59segmented_radix_sort_warp_sort_small_config_static_selectorELNS0_4arch9wavefront6targetE1EEEvSK_.uses_flat_scratch, 0
	.set _ZN7rocprim17ROCPRIM_400000_NS6detail17trampoline_kernelINS0_14default_configENS1_36segmented_radix_sort_config_selectorIdlEEZNS1_25segmented_radix_sort_implIS3_Lb1EPKdPdPKlPlN2at6native12_GLOBAL__N_18offset_tEEE10hipError_tPvRmT1_PNSt15iterator_traitsISK_E10value_typeET2_T3_PNSL_ISQ_E10value_typeET4_jRbjT5_SW_jjP12ihipStream_tbEUlT_E1_NS1_11comp_targetILNS1_3genE3ELNS1_11target_archE908ELNS1_3gpuE7ELNS1_3repE0EEENS1_59segmented_radix_sort_warp_sort_small_config_static_selectorELNS0_4arch9wavefront6targetE1EEEvSK_.has_dyn_sized_stack, 0
	.set _ZN7rocprim17ROCPRIM_400000_NS6detail17trampoline_kernelINS0_14default_configENS1_36segmented_radix_sort_config_selectorIdlEEZNS1_25segmented_radix_sort_implIS3_Lb1EPKdPdPKlPlN2at6native12_GLOBAL__N_18offset_tEEE10hipError_tPvRmT1_PNSt15iterator_traitsISK_E10value_typeET2_T3_PNSL_ISQ_E10value_typeET4_jRbjT5_SW_jjP12ihipStream_tbEUlT_E1_NS1_11comp_targetILNS1_3genE3ELNS1_11target_archE908ELNS1_3gpuE7ELNS1_3repE0EEENS1_59segmented_radix_sort_warp_sort_small_config_static_selectorELNS0_4arch9wavefront6targetE1EEEvSK_.has_recursion, 0
	.set _ZN7rocprim17ROCPRIM_400000_NS6detail17trampoline_kernelINS0_14default_configENS1_36segmented_radix_sort_config_selectorIdlEEZNS1_25segmented_radix_sort_implIS3_Lb1EPKdPdPKlPlN2at6native12_GLOBAL__N_18offset_tEEE10hipError_tPvRmT1_PNSt15iterator_traitsISK_E10value_typeET2_T3_PNSL_ISQ_E10value_typeET4_jRbjT5_SW_jjP12ihipStream_tbEUlT_E1_NS1_11comp_targetILNS1_3genE3ELNS1_11target_archE908ELNS1_3gpuE7ELNS1_3repE0EEENS1_59segmented_radix_sort_warp_sort_small_config_static_selectorELNS0_4arch9wavefront6targetE1EEEvSK_.has_indirect_call, 0
	.section	.AMDGPU.csdata,"",@progbits
; Kernel info:
; codeLenInByte = 0
; TotalNumSgprs: 4
; NumVgprs: 0
; ScratchSize: 0
; MemoryBound: 0
; FloatMode: 240
; IeeeMode: 1
; LDSByteSize: 0 bytes/workgroup (compile time only)
; SGPRBlocks: 0
; VGPRBlocks: 0
; NumSGPRsForWavesPerEU: 4
; NumVGPRsForWavesPerEU: 1
; Occupancy: 10
; WaveLimiterHint : 0
; COMPUTE_PGM_RSRC2:SCRATCH_EN: 0
; COMPUTE_PGM_RSRC2:USER_SGPR: 6
; COMPUTE_PGM_RSRC2:TRAP_HANDLER: 0
; COMPUTE_PGM_RSRC2:TGID_X_EN: 1
; COMPUTE_PGM_RSRC2:TGID_Y_EN: 0
; COMPUTE_PGM_RSRC2:TGID_Z_EN: 0
; COMPUTE_PGM_RSRC2:TIDIG_COMP_CNT: 0
	.text
	.p2align	2                               ; -- Begin function _ZN7rocprim17ROCPRIM_400000_NS6detail26segmented_warp_sort_helperINS1_20WarpSortHelperConfigILj8ELj4ELj256EEEdlLi256ELb1EvE4sortIPKdPdPKlPlEEvT_S9_T0_T1_SC_T2_bjjjjRNS5_12storage_typeE
	.type	_ZN7rocprim17ROCPRIM_400000_NS6detail26segmented_warp_sort_helperINS1_20WarpSortHelperConfigILj8ELj4ELj256EEEdlLi256ELb1EvE4sortIPKdPdPKlPlEEvT_S9_T0_T1_SC_T2_bjjjjRNS5_12storage_typeE,@function
_ZN7rocprim17ROCPRIM_400000_NS6detail26segmented_warp_sort_helperINS1_20WarpSortHelperConfigILj8ELj4ELj256EEEdlLi256ELb1EvE4sortIPKdPdPKlPlEEvT_S9_T0_T1_SC_T2_bjjjjRNS5_12storage_typeE: ; @_ZN7rocprim17ROCPRIM_400000_NS6detail26segmented_warp_sort_helperINS1_20WarpSortHelperConfigILj8ELj4ELj256EEEdlLi256ELb1EvE4sortIPKdPdPKlPlEEvT_S9_T0_T1_SC_T2_bjjjjRNS5_12storage_typeE
; %bb.0:
	s_waitcnt vmcnt(0) expcnt(0) lgkmcnt(0)
	v_and_b32_e32 v12, 1, v12
	v_sub_u32_e32 v26, v14, v13
	v_mov_b32_e32 v14, 0
	v_cmp_ne_u32_e32 vcc, 1, v12
	v_lshlrev_b64 v[12:13], 3, v[13:14]
	v_mbcnt_lo_u32_b32 v14, -1, 0
	v_mbcnt_hi_u32_b32 v14, -1, v14
	v_lshlrev_b32_e32 v51, 2, v14
	v_add_co_u32_e64 v0, s[4:5], v0, v12
	v_and_b32_e32 v52, 28, v51
	v_addc_co_u32_e64 v1, s[4:5], v1, v13, s[4:5]
	v_lshlrev_b32_e32 v50, 3, v52
	v_add_co_u32_e64 v24, s[4:5], v0, v50
	v_addc_co_u32_e64 v25, s[4:5], 0, v1, s[4:5]
	v_cmp_lt_u32_e64 s[4:5], v52, v26
	s_mov_b64 s[16:17], 0
                                        ; implicit-def: $vgpr16_vgpr17_vgpr18_vgpr19_vgpr20_vgpr21_vgpr22_vgpr23
	s_and_saveexec_b64 s[6:7], vcc
	s_xor_b64 s[18:19], exec, s[6:7]
	s_cbranch_execnz .LBB1142_4
; %bb.1:
	s_andn2_saveexec_b64 s[18:19], s[18:19]
	s_cbranch_execnz .LBB1142_111
.LBB1142_2:
	s_or_b64 exec, exec, s[18:19]
	s_and_saveexec_b64 s[4:5], s[16:17]
	s_cbranch_execnz .LBB1142_218
.LBB1142_3:
	s_or_b64 exec, exec, s[4:5]
	s_waitcnt vmcnt(0) lgkmcnt(0)
	s_setpc_b64 s[30:31]
.LBB1142_4:
	v_mov_b32_e32 v4, -1
	v_mov_b32_e32 v10, -1
	;; [unrolled: 1-line block ×4, first 2 shown]
	s_and_saveexec_b64 s[6:7], s[4:5]
	s_cbranch_execz .LBB1142_6
; %bb.5:
	flat_load_dwordx2 v[10:11], v[24:25]
.LBB1142_6:
	s_or_b64 exec, exec, s[6:7]
	v_or_b32_e32 v0, 1, v52
	v_cmp_lt_u32_e64 s[6:7], v0, v26
	s_and_saveexec_b64 s[10:11], s[6:7]
	s_cbranch_execz .LBB1142_8
; %bb.7:
	flat_load_dwordx2 v[4:5], v[24:25] offset:8
.LBB1142_8:
	s_or_b64 exec, exec, s[10:11]
	v_or_b32_e32 v14, 2, v52
	v_mov_b32_e32 v0, -1
	v_mov_b32_e32 v32, -1
	;; [unrolled: 1-line block ×4, first 2 shown]
	v_cmp_lt_u32_e64 s[10:11], v14, v26
	s_and_saveexec_b64 s[14:15], s[10:11]
	s_cbranch_execz .LBB1142_10
; %bb.9:
	flat_load_dwordx2 v[32:33], v[24:25] offset:16
.LBB1142_10:
	s_or_b64 exec, exec, s[14:15]
	v_or_b32_e32 v14, 3, v52
	v_cmp_lt_u32_e64 s[14:15], v14, v26
	s_and_saveexec_b64 s[16:17], s[14:15]
	s_cbranch_execz .LBB1142_12
; %bb.11:
	flat_load_dwordx2 v[0:1], v[24:25] offset:24
.LBB1142_12:
	s_or_b64 exec, exec, s[16:17]
	v_add_co_u32_e32 v6, vcc, v6, v12
	v_addc_co_u32_e32 v7, vcc, v7, v13, vcc
	v_mov_b32_e32 v16, 0
	v_add_co_u32_e32 v6, vcc, v6, v50
	v_addc_co_u32_e32 v7, vcc, 0, v7, vcc
	v_mov_b32_e32 v17, v16
	v_mov_b32_e32 v18, v16
	;; [unrolled: 1-line block ×7, first 2 shown]
	; wave barrier
	s_and_saveexec_b64 s[16:17], s[4:5]
	s_cbranch_execnz .LBB1142_219
; %bb.13:
	s_or_b64 exec, exec, s[16:17]
	s_and_saveexec_b64 s[16:17], s[6:7]
	s_cbranch_execnz .LBB1142_220
.LBB1142_14:
	s_or_b64 exec, exec, s[16:17]
	s_and_saveexec_b64 s[16:17], s[10:11]
	s_cbranch_execnz .LBB1142_221
.LBB1142_15:
	s_or_b64 exec, exec, s[16:17]
	s_and_saveexec_b64 s[16:17], s[14:15]
	s_cbranch_execz .LBB1142_17
.LBB1142_16:
	flat_load_dwordx2 v[22:23], v[6:7] offset:24
.LBB1142_17:
	s_or_b64 exec, exec, s[16:17]
	; wave barrier
	s_load_dwordx2 s[16:17], s[8:9], 0x0
	v_mov_b32_e32 v6, 0
	v_bfe_u32 v24, v31, 20, 10
	s_waitcnt lgkmcnt(0)
	s_cmp_lt_u32 s13, s17
	s_cselect_b32 s17, 14, 20
	s_add_u32 s20, s8, s17
	s_addc_u32 s21, s9, 0
	s_cmp_lt_u32 s12, s16
	s_cselect_b32 s16, 12, 18
	s_add_u32 s16, s8, s16
	s_addc_u32 s17, s9, 0
	global_load_ushort v7, v6, s[20:21]
	global_load_ushort v14, v6, s[16:17]
	v_bfe_u32 v6, v31, 10, 10
	s_movk_i32 s16, 0x400
	s_waitcnt vmcnt(0)
	v_mad_u32_u24 v6, v24, v7, v6
	v_mul_lo_u32 v6, v6, v14
	v_and_b32_e32 v7, 0x3ff, v31
	v_add_lshl_u32 v14, v6, v7, 2
	v_cmp_gt_u32_e32 vcc, s16, v14
	s_and_saveexec_b64 s[20:21], vcc
	s_cbranch_execz .LBB1142_29
; %bb.18:
	v_add_f64 v[6:7], v[4:5], 0
	v_add_f64 v[24:25], v[10:11], 0
	;; [unrolled: 1-line block ×3, first 2 shown]
	v_ashrrev_i32_e32 v26, 31, v7
	v_ashrrev_i32_e32 v27, 31, v25
	v_or_b32_e32 v30, 0x80000000, v26
	v_xor_b32_e32 v6, v26, v6
	v_or_b32_e32 v26, 0x80000000, v27
	v_xor_b32_e32 v24, v27, v24
	v_xor_b32_e32 v7, v30, v7
	;; [unrolled: 1-line block ×3, first 2 shown]
	v_cmp_gt_u64_e32 vcc, v[6:7], v[24:25]
	v_add_f64 v[6:7], v[32:33], 0
	v_cndmask_b32_e32 v26, v18, v16, vcc
	v_cndmask_b32_e32 v24, v16, v18, vcc
	v_ashrrev_i32_e32 v16, 31, v29
	v_cndmask_b32_e32 v27, v19, v17, vcc
	v_cndmask_b32_e32 v25, v17, v19, vcc
	v_or_b32_e32 v17, 0x80000000, v16
	v_xor_b32_e32 v18, v16, v28
	v_ashrrev_i32_e32 v16, 31, v7
	v_xor_b32_e32 v19, v17, v29
	v_or_b32_e32 v17, 0x80000000, v16
	v_xor_b32_e32 v17, v17, v7
	v_xor_b32_e32 v16, v16, v6
	v_cmp_gt_u64_e64 s[16:17], v[18:19], v[16:17]
	v_mov_b32_e32 v6, v32
	v_mov_b32_e32 v29, v21
	;; [unrolled: 1-line block ×4, first 2 shown]
	s_and_saveexec_b64 s[22:23], s[16:17]
	s_cbranch_execz .LBB1142_20
; %bb.19:
	v_mov_b32_e32 v7, v1
	v_mov_b32_e32 v29, v23
	v_mov_b32_e32 v6, v0
	v_mov_b32_e32 v0, v32
	v_mov_b32_e32 v16, v18
	v_mov_b32_e32 v28, v22
	v_mov_b32_e32 v23, v21
	v_mov_b32_e32 v1, v33
	v_mov_b32_e32 v17, v19
	v_mov_b32_e32 v22, v20
.LBB1142_20:
	s_or_b64 exec, exec, s[22:23]
	v_cndmask_b32_e32 v21, v5, v11, vcc
	v_cndmask_b32_e32 v20, v4, v10, vcc
	v_add_f64 v[18:19], v[20:21], 0
	v_mov_b32_e32 v30, v22
                                        ; implicit-def: $vgpr48_vgpr49
	v_ashrrev_i32_e32 v31, 31, v19
	v_or_b32_e32 v32, 0x80000000, v31
	v_xor_b32_e32 v19, v32, v19
	v_xor_b32_e32 v18, v31, v18
	v_cmp_le_u64_e64 s[16:17], v[16:17], v[18:19]
	v_mov_b32_e32 v39, v31
	v_mov_b32_e32 v33, v25
	;; [unrolled: 1-line block ×8, first 2 shown]
	s_and_saveexec_b64 s[22:23], s[16:17]
	s_xor_b64 s[16:17], exec, s[22:23]
	s_cbranch_execz .LBB1142_22
; %bb.21:
	v_add_f64 v[16:17], v[6:7], 0
	v_ashrrev_i32_e32 v31, 31, v17
	v_or_b32_e32 v32, 0x80000000, v31
	v_xor_b32_e32 v49, v32, v17
	v_xor_b32_e32 v48, v31, v16
                                        ; implicit-def: $vgpr32_vgpr33_vgpr34_vgpr35_vgpr36_vgpr37_vgpr38_vgpr39
                                        ; implicit-def: $vgpr16_vgpr17
.LBB1142_22:
	s_or_saveexec_b64 s[16:17], s[16:17]
	v_mov_b32_e32 v35, v21
	v_mov_b32_e32 v31, v23
	;; [unrolled: 1-line block ×3, first 2 shown]
	s_xor_b64 exec, exec, s[16:17]
	s_cbranch_execz .LBB1142_24
; %bb.23:
	v_mov_b32_e32 v34, v28
	v_mov_b32_e32 v35, v29
	;; [unrolled: 1-line block ×22, first 2 shown]
.LBB1142_24:
	s_or_b64 exec, exec, s[16:17]
	v_cndmask_b32_e32 v11, v11, v5, vcc
	v_cndmask_b32_e32 v10, v10, v4, vcc
	v_add_f64 v[4:5], v[10:11], 0
	v_add_f64 v[32:33], v[0:1], 0
	v_mov_b32_e32 v20, v28
	v_mov_b32_e32 v21, v29
	v_mov_b32_e32 v22, v30
	v_mov_b32_e32 v23, v31
	v_ashrrev_i32_e32 v16, 31, v5
	v_or_b32_e32 v17, 0x80000000, v16
	v_xor_b32_e32 v4, v16, v4
	v_xor_b32_e32 v5, v17, v5
	v_cmp_gt_u64_e32 vcc, v[18:19], v[4:5]
	v_ashrrev_i32_e32 v4, 31, v33
	v_or_b32_e32 v5, 0x80000000, v4
	v_xor_b32_e32 v5, v5, v33
	v_xor_b32_e32 v4, v4, v32
	v_cndmask_b32_e32 v19, v27, v25, vcc
	v_cndmask_b32_e32 v18, v26, v24, vcc
	;; [unrolled: 1-line block ×4, first 2 shown]
	v_cmp_gt_u64_e64 s[16:17], v[4:5], v[48:49]
	v_mov_b32_e32 v25, v7
	v_mov_b32_e32 v24, v6
	s_and_saveexec_b64 s[22:23], s[16:17]
	s_cbranch_execz .LBB1142_26
; %bb.25:
	v_mov_b32_e32 v25, v1
	v_mov_b32_e32 v24, v0
	;; [unrolled: 1-line block ×10, first 2 shown]
.LBB1142_26:
	s_or_b64 exec, exec, s[22:23]
	v_cndmask_b32_e32 v5, v35, v11, vcc
	v_cndmask_b32_e32 v4, v34, v10, vcc
	v_add_f64 v[6:7], v[4:5], 0
	v_cndmask_b32_e32 v11, v11, v35, vcc
	v_cndmask_b32_e32 v10, v10, v34, vcc
	v_mov_b32_e32 v33, v25
	v_mov_b32_e32 v32, v24
	v_ashrrev_i32_e32 v26, 31, v7
	v_or_b32_e32 v27, 0x80000000, v26
	v_xor_b32_e32 v7, v27, v7
	v_xor_b32_e32 v6, v26, v6
	v_cmp_gt_u64_e32 vcc, v[48:49], v[6:7]
	s_and_saveexec_b64 s[16:17], vcc
	s_cbranch_execz .LBB1142_28
; %bb.27:
	v_mov_b32_e32 v26, v16
	v_mov_b32_e32 v27, v17
	;; [unrolled: 1-line block ×20, first 2 shown]
.LBB1142_28:
	s_or_b64 exec, exec, s[16:17]
.LBB1142_29:
	s_or_b64 exec, exec, s[20:21]
	v_and_b32_e32 v6, 0xffffff00, v14
	s_movk_i32 s16, 0x400
	v_mov_b32_e32 v7, 0
	v_sub_u32_e64 v30, s16, v6 clamp
	v_lshlrev_b64 v[6:7], 3, v[6:7]
	v_or_b32_e32 v7, 4, v51
	v_add_co_u32_e32 v29, vcc, v15, v6
	v_min_u32_e32 v49, v30, v7
	v_add_co_u32_e32 v28, vcc, 0x2000, v29
	v_lshlrev_b32_e32 v6, 3, v51
	v_add_u32_e32 v7, 4, v49
	v_add_u32_e32 v31, v29, v6
	;; [unrolled: 1-line block ×3, first 2 shown]
	v_and_b32_e32 v6, 0x1f8, v51
	v_min_u32_e32 v53, v30, v7
	v_and_b32_e32 v7, 4, v51
	v_min_u32_e32 v7, v30, v7
	v_sub_u32_e32 v14, v49, v6
	v_sub_u32_e32 v15, v53, v49
	v_sub_u32_e64 v15, v7, v15 clamp
	v_min_u32_e32 v14, v7, v14
	v_cmp_lt_u32_e32 vcc, v15, v14
	ds_write2_b64 v31, v[10:11], v[4:5] offset1:1
	ds_write2_b64 v34, v[16:17], v[18:19] offset1:1
	ds_write2_b64 v31, v[32:33], v[0:1] offset0:2 offset1:3
	ds_write2_b64 v34, v[20:21], v[22:23] offset0:2 offset1:3
	; wave barrier
	s_and_saveexec_b64 s[16:17], vcc
	s_cbranch_execz .LBB1142_33
; %bb.30:
	v_lshlrev_b32_e32 v24, 3, v6
	v_lshlrev_b32_e32 v25, 3, v49
	v_add_co_u32_e32 v24, vcc, v29, v24
	v_add_co_u32_e32 v25, vcc, v29, v25
	s_mov_b64 s[20:21], 0
.LBB1142_31:                            ; =>This Inner Loop Header: Depth=1
	v_add_u32_e32 v26, v14, v15
	v_lshrrev_b32_e32 v37, 1, v26
	v_xad_u32 v35, v37, -1, v7
	v_lshl_add_u32 v26, v37, 3, v24
	v_lshl_add_u32 v35, v35, 3, v25
	ds_read_b64 v[26:27], v26
	ds_read_b64 v[35:36], v35
	v_add_u32_e32 v38, 1, v37
	s_waitcnt lgkmcnt(1)
	v_add_f64 v[26:27], v[26:27], 0
	s_waitcnt lgkmcnt(0)
	v_add_f64 v[35:36], v[35:36], 0
	v_ashrrev_i32_e32 v39, 31, v27
	v_ashrrev_i32_e32 v48, 31, v36
	v_or_b32_e32 v54, 0x80000000, v39
	v_xor_b32_e32 v26, v39, v26
	v_or_b32_e32 v39, 0x80000000, v48
	v_xor_b32_e32 v35, v48, v35
	v_xor_b32_e32 v27, v54, v27
	;; [unrolled: 1-line block ×3, first 2 shown]
	v_cmp_gt_u64_e32 vcc, v[35:36], v[26:27]
	v_cndmask_b32_e32 v14, v14, v37, vcc
	v_cndmask_b32_e32 v15, v38, v15, vcc
	v_cmp_ge_u32_e32 vcc, v15, v14
	s_or_b64 s[20:21], vcc, s[20:21]
	s_andn2_b64 exec, exec, s[20:21]
	s_cbranch_execnz .LBB1142_31
; %bb.32:
	s_or_b64 exec, exec, s[20:21]
.LBB1142_33:
	s_or_b64 exec, exec, s[16:17]
	v_add_u32_e32 v14, v15, v6
	v_add_u32_e32 v6, v49, v7
	v_sub_u32_e32 v15, v6, v15
	v_cmp_le_u32_e32 vcc, v14, v49
	v_cmp_le_u32_e64 s[16:17], v15, v53
	v_add_u32_e32 v35, 8, v31
	v_add_u32_e32 v36, 8, v34
	;; [unrolled: 1-line block ×6, first 2 shown]
	s_or_b64 s[16:17], vcc, s[16:17]
	s_and_saveexec_b64 s[20:21], s[16:17]
	s_cbranch_execz .LBB1142_53
; %bb.34:
	v_cmp_ge_u32_e32 vcc, v14, v49
	v_cmp_lt_u32_e64 s[16:17], v14, v49
                                        ; implicit-def: $vgpr0_vgpr1
	s_and_saveexec_b64 s[22:23], s[16:17]
; %bb.35:
	v_lshl_add_u32 v0, v14, 3, v29
	ds_read_b64 v[0:1], v0
; %bb.36:
	s_or_b64 exec, exec, s[22:23]
	v_cmp_ge_u32_e64 s[22:23], v15, v53
	v_cmp_lt_u32_e64 s[16:17], v15, v53
                                        ; implicit-def: $vgpr6_vgpr7
	s_and_saveexec_b64 s[24:25], s[16:17]
; %bb.37:
	v_lshl_add_u32 v4, v15, 3, v29
	ds_read_b64 v[6:7], v4
; %bb.38:
	s_or_b64 exec, exec, s[24:25]
	s_nor_b64 s[24:25], vcc, s[22:23]
	s_and_saveexec_b64 s[16:17], s[24:25]
	s_cbranch_execz .LBB1142_40
; %bb.39:
	s_waitcnt lgkmcnt(0)
	v_add_f64 v[4:5], v[6:7], 0
	v_add_f64 v[10:11], v[0:1], 0
	s_andn2_b64 s[22:23], s[22:23], exec
	v_ashrrev_i32_e32 v16, 31, v5
	v_ashrrev_i32_e32 v17, 31, v11
	v_or_b32_e32 v18, 0x80000000, v16
	v_xor_b32_e32 v4, v16, v4
	v_or_b32_e32 v16, 0x80000000, v17
	v_xor_b32_e32 v5, v18, v5
	v_xor_b32_e32 v11, v16, v11
	;; [unrolled: 1-line block ×3, first 2 shown]
	v_cmp_le_u64_e32 vcc, v[4:5], v[10:11]
	s_and_b64 s[24:25], vcc, exec
	s_or_b64 s[22:23], s[22:23], s[24:25]
.LBB1142_40:
	s_or_b64 exec, exec, s[16:17]
	v_cndmask_b32_e64 v4, v15, v14, s[22:23]
	v_cndmask_b32_e64 v5, v53, v49, s[22:23]
	v_add_u32_e32 v18, 1, v4
	v_add_u32_e32 v5, -1, v5
	v_min_u32_e32 v5, v18, v5
	v_lshl_add_u32 v5, v5, 3, v29
	ds_read_b64 v[10:11], v5
	v_lshl_add_u32 v4, v4, 3, v28
	ds_read_b64 v[16:17], v4
	v_cndmask_b32_e64 v20, v18, v15, s[22:23]
	v_cndmask_b32_e64 v21, v14, v18, s[22:23]
	s_waitcnt lgkmcnt(1)
	v_cndmask_b32_e64 v5, v11, v7, s[22:23]
	v_cndmask_b32_e64 v4, v10, v6, s[22:23]
	;; [unrolled: 1-line block ×4, first 2 shown]
	v_cmp_lt_u32_e32 vcc, v20, v53
	s_mov_b64 s[24:25], -1
	s_mov_b64 s[16:17], -1
	s_and_saveexec_b64 s[26:27], vcc
	s_cbranch_execz .LBB1142_44
; %bb.41:
	v_cmp_lt_u32_e32 vcc, v21, v49
	s_mov_b64 s[28:29], 0
	s_and_saveexec_b64 s[16:17], vcc
	s_cbranch_execz .LBB1142_43
; %bb.42:
	v_add_f64 v[14:15], v[4:5], 0
	v_add_f64 v[18:19], v[10:11], 0
	v_ashrrev_i32_e32 v22, 31, v15
	v_ashrrev_i32_e32 v23, 31, v19
	v_or_b32_e32 v24, 0x80000000, v22
	v_xor_b32_e32 v14, v22, v14
	v_or_b32_e32 v22, 0x80000000, v23
	v_xor_b32_e32 v15, v24, v15
	v_xor_b32_e32 v19, v22, v19
	;; [unrolled: 1-line block ×3, first 2 shown]
	v_cmp_le_u64_e32 vcc, v[14:15], v[18:19]
	s_and_b64 s[28:29], vcc, exec
.LBB1142_43:
	s_or_b64 exec, exec, s[16:17]
	s_orn2_b64 s[16:17], s[28:29], exec
.LBB1142_44:
	s_or_b64 exec, exec, s[26:27]
	v_cndmask_b32_e64 v14, v20, v21, s[16:17]
	v_cndmask_b32_e64 v15, v53, v49, s[16:17]
	v_add_u32_e32 v24, 1, v14
	v_add_u32_e32 v15, -1, v15
	v_min_u32_e32 v15, v24, v15
	v_lshl_add_u32 v15, v15, 3, v29
	ds_read_b64 v[22:23], v15
	v_lshl_add_u32 v14, v14, 3, v28
	ds_read_b64 v[18:19], v14
	v_cndmask_b32_e64 v32, v24, v20, s[16:17]
	v_cndmask_b32_e64 v33, v21, v24, s[16:17]
	s_waitcnt lgkmcnt(1)
	v_cndmask_b32_e64 v15, v23, v5, s[16:17]
	v_cndmask_b32_e64 v14, v22, v4, s[16:17]
	;; [unrolled: 1-line block ×4, first 2 shown]
	v_cmp_lt_u32_e32 vcc, v32, v53
	s_and_saveexec_b64 s[26:27], vcc
	s_cbranch_execz .LBB1142_48
; %bb.45:
	v_cmp_lt_u32_e32 vcc, v33, v49
	s_mov_b64 s[28:29], 0
	s_and_saveexec_b64 s[24:25], vcc
	s_cbranch_execz .LBB1142_47
; %bb.46:
	v_add_f64 v[20:21], v[14:15], 0
	v_add_f64 v[24:25], v[22:23], 0
	v_ashrrev_i32_e32 v26, 31, v21
	v_ashrrev_i32_e32 v27, 31, v25
	v_or_b32_e32 v54, 0x80000000, v26
	v_xor_b32_e32 v20, v26, v20
	v_or_b32_e32 v26, 0x80000000, v27
	v_xor_b32_e32 v21, v54, v21
	v_xor_b32_e32 v25, v26, v25
	v_xor_b32_e32 v24, v27, v24
	v_cmp_le_u64_e32 vcc, v[20:21], v[24:25]
	s_and_b64 s[28:29], vcc, exec
.LBB1142_47:
	s_or_b64 exec, exec, s[24:25]
	s_orn2_b64 s[24:25], s[28:29], exec
.LBB1142_48:
	s_or_b64 exec, exec, s[26:27]
	v_cndmask_b32_e64 v20, v32, v33, s[24:25]
	v_cndmask_b32_e64 v21, v53, v49, s[24:25]
	v_add_u32_e32 v55, 1, v20
	v_add_u32_e32 v21, -1, v21
	v_min_u32_e32 v21, v55, v21
	v_lshl_add_u32 v21, v21, 3, v29
	ds_read_b64 v[26:27], v21
	v_lshl_add_u32 v20, v20, 3, v28
	ds_read_b64 v[20:21], v20
	v_cndmask_b32_e64 v54, v55, v32, s[24:25]
	v_cndmask_b32_e64 v55, v33, v55, s[24:25]
	s_waitcnt lgkmcnt(1)
	v_cndmask_b32_e64 v25, v27, v15, s[24:25]
	v_cndmask_b32_e64 v24, v26, v14, s[24:25]
	;; [unrolled: 1-line block ×4, first 2 shown]
	v_cmp_lt_u32_e32 vcc, v54, v53
	s_mov_b64 s[28:29], -1
	s_and_saveexec_b64 s[26:27], vcc
	s_cbranch_execz .LBB1142_52
; %bb.49:
	v_cmp_lt_u32_e32 vcc, v55, v49
	s_mov_b64 s[40:41], 0
	s_and_saveexec_b64 s[28:29], vcc
	s_cbranch_execz .LBB1142_51
; %bb.50:
	v_add_f64 v[32:33], v[24:25], 0
	v_add_f64 v[64:65], v[26:27], 0
	v_ashrrev_i32_e32 v49, 31, v33
	v_ashrrev_i32_e32 v53, 31, v65
	v_or_b32_e32 v66, 0x80000000, v49
	v_xor_b32_e32 v32, v49, v32
	v_or_b32_e32 v49, 0x80000000, v53
	v_xor_b32_e32 v33, v66, v33
	v_xor_b32_e32 v65, v49, v65
	;; [unrolled: 1-line block ×3, first 2 shown]
	v_cmp_le_u64_e32 vcc, v[32:33], v[64:65]
	s_and_b64 s[40:41], vcc, exec
.LBB1142_51:
	s_or_b64 exec, exec, s[28:29]
	s_orn2_b64 s[28:29], s[40:41], exec
.LBB1142_52:
	s_or_b64 exec, exec, s[26:27]
	v_cndmask_b32_e64 v4, v4, v10, s[16:17]
	v_cndmask_b32_e64 v10, v54, v55, s[28:29]
	v_lshl_add_u32 v10, v10, 3, v28
	v_cndmask_b32_e64 v33, v15, v23, s[24:25]
	v_cndmask_b32_e64 v32, v14, v22, s[24:25]
	ds_read_b64 v[22:23], v10
	v_cndmask_b32_e64 v5, v5, v11, s[16:17]
	v_cndmask_b32_e64 v11, v7, v1, s[22:23]
	;; [unrolled: 1-line block ×5, first 2 shown]
.LBB1142_53:
	s_or_b64 exec, exec, s[20:21]
	v_and_b32_e32 v6, 0x1f0, v51
	v_or_b32_e32 v7, 8, v6
	v_min_u32_e32 v49, v30, v7
	v_add_u32_e32 v7, 8, v49
	v_min_u32_e32 v53, v30, v7
	v_and_b32_e32 v7, 12, v51
	v_min_u32_e32 v7, v30, v7
	v_sub_u32_e32 v14, v49, v6
	v_sub_u32_e32 v15, v53, v49
	v_sub_u32_e64 v15, v7, v15 clamp
	v_min_u32_e32 v14, v7, v14
	v_cmp_lt_u32_e32 vcc, v15, v14
	; wave barrier
	ds_write_b64 v31, v[10:11]
	ds_write_b64 v34, v[16:17]
	;; [unrolled: 1-line block ×5, first 2 shown]
	s_waitcnt lgkmcnt(6)
	ds_write_b64 v38, v[20:21]
	ds_write_b64 v39, v[0:1]
	s_waitcnt lgkmcnt(7)
	ds_write_b64 v48, v[22:23]
	; wave barrier
	s_and_saveexec_b64 s[16:17], vcc
	s_cbranch_execz .LBB1142_57
; %bb.54:
	v_lshlrev_b32_e32 v24, 3, v6
	v_lshlrev_b32_e32 v25, 3, v49
	v_add_co_u32_e32 v24, vcc, v29, v24
	v_add_co_u32_e32 v25, vcc, v29, v25
	s_mov_b64 s[20:21], 0
.LBB1142_55:                            ; =>This Inner Loop Header: Depth=1
	v_add_u32_e32 v26, v14, v15
	v_lshrrev_b32_e32 v64, 1, v26
	v_xad_u32 v54, v64, -1, v7
	v_lshl_add_u32 v26, v64, 3, v24
	v_lshl_add_u32 v54, v54, 3, v25
	ds_read_b64 v[26:27], v26
	ds_read_b64 v[54:55], v54
	v_add_u32_e32 v65, 1, v64
	s_waitcnt lgkmcnt(1)
	v_add_f64 v[26:27], v[26:27], 0
	s_waitcnt lgkmcnt(0)
	v_add_f64 v[54:55], v[54:55], 0
	v_ashrrev_i32_e32 v66, 31, v27
	v_ashrrev_i32_e32 v67, 31, v55
	v_or_b32_e32 v68, 0x80000000, v66
	v_xor_b32_e32 v26, v66, v26
	v_or_b32_e32 v66, 0x80000000, v67
	v_xor_b32_e32 v54, v67, v54
	v_xor_b32_e32 v27, v68, v27
	;; [unrolled: 1-line block ×3, first 2 shown]
	v_cmp_gt_u64_e32 vcc, v[54:55], v[26:27]
	v_cndmask_b32_e32 v14, v14, v64, vcc
	v_cndmask_b32_e32 v15, v65, v15, vcc
	v_cmp_ge_u32_e32 vcc, v15, v14
	s_or_b64 s[20:21], vcc, s[20:21]
	s_andn2_b64 exec, exec, s[20:21]
	s_cbranch_execnz .LBB1142_55
; %bb.56:
	s_or_b64 exec, exec, s[20:21]
.LBB1142_57:
	s_or_b64 exec, exec, s[16:17]
	v_add_u32_e32 v14, v15, v6
	v_add_u32_e32 v6, v49, v7
	v_sub_u32_e32 v15, v6, v15
	v_cmp_le_u32_e32 vcc, v14, v49
	v_cmp_le_u32_e64 s[16:17], v15, v53
	s_or_b64 s[16:17], vcc, s[16:17]
	s_and_saveexec_b64 s[20:21], s[16:17]
	s_cbranch_execz .LBB1142_77
; %bb.58:
	v_cmp_ge_u32_e32 vcc, v14, v49
	v_cmp_lt_u32_e64 s[16:17], v14, v49
                                        ; implicit-def: $vgpr0_vgpr1
	s_and_saveexec_b64 s[22:23], s[16:17]
; %bb.59:
	v_lshl_add_u32 v0, v14, 3, v29
	ds_read_b64 v[0:1], v0
; %bb.60:
	s_or_b64 exec, exec, s[22:23]
	v_cmp_ge_u32_e64 s[22:23], v15, v53
	v_cmp_lt_u32_e64 s[16:17], v15, v53
                                        ; implicit-def: $vgpr6_vgpr7
	s_and_saveexec_b64 s[24:25], s[16:17]
; %bb.61:
	v_lshl_add_u32 v4, v15, 3, v29
	ds_read_b64 v[6:7], v4
; %bb.62:
	s_or_b64 exec, exec, s[24:25]
	s_nor_b64 s[24:25], vcc, s[22:23]
	s_and_saveexec_b64 s[16:17], s[24:25]
	s_cbranch_execz .LBB1142_64
; %bb.63:
	s_waitcnt lgkmcnt(0)
	v_add_f64 v[4:5], v[6:7], 0
	v_add_f64 v[10:11], v[0:1], 0
	s_andn2_b64 s[22:23], s[22:23], exec
	v_ashrrev_i32_e32 v16, 31, v5
	v_ashrrev_i32_e32 v17, 31, v11
	v_or_b32_e32 v18, 0x80000000, v16
	v_xor_b32_e32 v4, v16, v4
	v_or_b32_e32 v16, 0x80000000, v17
	v_xor_b32_e32 v5, v18, v5
	v_xor_b32_e32 v11, v16, v11
	;; [unrolled: 1-line block ×3, first 2 shown]
	v_cmp_le_u64_e32 vcc, v[4:5], v[10:11]
	s_and_b64 s[24:25], vcc, exec
	s_or_b64 s[22:23], s[22:23], s[24:25]
.LBB1142_64:
	s_or_b64 exec, exec, s[16:17]
	v_cndmask_b32_e64 v4, v15, v14, s[22:23]
	v_cndmask_b32_e64 v5, v53, v49, s[22:23]
	v_add_u32_e32 v18, 1, v4
	v_add_u32_e32 v5, -1, v5
	v_min_u32_e32 v5, v18, v5
	v_lshl_add_u32 v5, v5, 3, v29
	ds_read_b64 v[10:11], v5
	v_lshl_add_u32 v4, v4, 3, v28
	ds_read_b64 v[16:17], v4
	v_cndmask_b32_e64 v20, v18, v15, s[22:23]
	v_cndmask_b32_e64 v21, v14, v18, s[22:23]
	s_waitcnt lgkmcnt(1)
	v_cndmask_b32_e64 v5, v11, v7, s[22:23]
	v_cndmask_b32_e64 v4, v10, v6, s[22:23]
	;; [unrolled: 1-line block ×4, first 2 shown]
	v_cmp_lt_u32_e32 vcc, v20, v53
	s_mov_b64 s[24:25], -1
	s_mov_b64 s[16:17], -1
	s_and_saveexec_b64 s[26:27], vcc
	s_cbranch_execz .LBB1142_68
; %bb.65:
	v_cmp_lt_u32_e32 vcc, v21, v49
	s_mov_b64 s[28:29], 0
	s_and_saveexec_b64 s[16:17], vcc
	s_cbranch_execz .LBB1142_67
; %bb.66:
	v_add_f64 v[14:15], v[4:5], 0
	v_add_f64 v[18:19], v[10:11], 0
	v_ashrrev_i32_e32 v22, 31, v15
	v_ashrrev_i32_e32 v23, 31, v19
	v_or_b32_e32 v24, 0x80000000, v22
	v_xor_b32_e32 v14, v22, v14
	v_or_b32_e32 v22, 0x80000000, v23
	v_xor_b32_e32 v15, v24, v15
	v_xor_b32_e32 v19, v22, v19
	;; [unrolled: 1-line block ×3, first 2 shown]
	v_cmp_le_u64_e32 vcc, v[14:15], v[18:19]
	s_and_b64 s[28:29], vcc, exec
.LBB1142_67:
	s_or_b64 exec, exec, s[16:17]
	s_orn2_b64 s[16:17], s[28:29], exec
.LBB1142_68:
	s_or_b64 exec, exec, s[26:27]
	v_cndmask_b32_e64 v14, v20, v21, s[16:17]
	v_cndmask_b32_e64 v15, v53, v49, s[16:17]
	v_add_u32_e32 v24, 1, v14
	v_add_u32_e32 v15, -1, v15
	v_min_u32_e32 v15, v24, v15
	v_lshl_add_u32 v15, v15, 3, v29
	ds_read_b64 v[22:23], v15
	v_lshl_add_u32 v14, v14, 3, v28
	ds_read_b64 v[18:19], v14
	v_cndmask_b32_e64 v32, v24, v20, s[16:17]
	v_cndmask_b32_e64 v33, v21, v24, s[16:17]
	s_waitcnt lgkmcnt(1)
	v_cndmask_b32_e64 v15, v23, v5, s[16:17]
	v_cndmask_b32_e64 v14, v22, v4, s[16:17]
	v_cndmask_b32_e64 v23, v11, v23, s[16:17]
	v_cndmask_b32_e64 v22, v10, v22, s[16:17]
	v_cmp_lt_u32_e32 vcc, v32, v53
	s_and_saveexec_b64 s[26:27], vcc
	s_cbranch_execz .LBB1142_72
; %bb.69:
	v_cmp_lt_u32_e32 vcc, v33, v49
	s_mov_b64 s[28:29], 0
	s_and_saveexec_b64 s[24:25], vcc
	s_cbranch_execz .LBB1142_71
; %bb.70:
	v_add_f64 v[20:21], v[14:15], 0
	v_add_f64 v[24:25], v[22:23], 0
	v_ashrrev_i32_e32 v26, 31, v21
	v_ashrrev_i32_e32 v27, 31, v25
	v_or_b32_e32 v54, 0x80000000, v26
	v_xor_b32_e32 v20, v26, v20
	v_or_b32_e32 v26, 0x80000000, v27
	v_xor_b32_e32 v21, v54, v21
	v_xor_b32_e32 v25, v26, v25
	;; [unrolled: 1-line block ×3, first 2 shown]
	v_cmp_le_u64_e32 vcc, v[20:21], v[24:25]
	s_and_b64 s[28:29], vcc, exec
.LBB1142_71:
	s_or_b64 exec, exec, s[24:25]
	s_orn2_b64 s[24:25], s[28:29], exec
.LBB1142_72:
	s_or_b64 exec, exec, s[26:27]
	v_cndmask_b32_e64 v20, v32, v33, s[24:25]
	v_cndmask_b32_e64 v21, v53, v49, s[24:25]
	v_add_u32_e32 v55, 1, v20
	v_add_u32_e32 v21, -1, v21
	v_min_u32_e32 v21, v55, v21
	v_lshl_add_u32 v21, v21, 3, v29
	ds_read_b64 v[26:27], v21
	v_lshl_add_u32 v20, v20, 3, v28
	ds_read_b64 v[20:21], v20
	v_cndmask_b32_e64 v54, v55, v32, s[24:25]
	v_cndmask_b32_e64 v55, v33, v55, s[24:25]
	s_waitcnt lgkmcnt(1)
	v_cndmask_b32_e64 v25, v27, v15, s[24:25]
	v_cndmask_b32_e64 v24, v26, v14, s[24:25]
	v_cndmask_b32_e64 v27, v23, v27, s[24:25]
	v_cndmask_b32_e64 v26, v22, v26, s[24:25]
	v_cmp_lt_u32_e32 vcc, v54, v53
	s_mov_b64 s[28:29], -1
	s_and_saveexec_b64 s[26:27], vcc
	s_cbranch_execz .LBB1142_76
; %bb.73:
	v_cmp_lt_u32_e32 vcc, v55, v49
	s_mov_b64 s[40:41], 0
	s_and_saveexec_b64 s[28:29], vcc
	s_cbranch_execz .LBB1142_75
; %bb.74:
	v_add_f64 v[32:33], v[24:25], 0
	v_add_f64 v[64:65], v[26:27], 0
	v_ashrrev_i32_e32 v49, 31, v33
	v_ashrrev_i32_e32 v53, 31, v65
	v_or_b32_e32 v66, 0x80000000, v49
	v_xor_b32_e32 v32, v49, v32
	v_or_b32_e32 v49, 0x80000000, v53
	v_xor_b32_e32 v33, v66, v33
	v_xor_b32_e32 v65, v49, v65
	v_xor_b32_e32 v64, v53, v64
	v_cmp_le_u64_e32 vcc, v[32:33], v[64:65]
	s_and_b64 s[40:41], vcc, exec
.LBB1142_75:
	s_or_b64 exec, exec, s[28:29]
	s_orn2_b64 s[28:29], s[40:41], exec
.LBB1142_76:
	s_or_b64 exec, exec, s[26:27]
	v_cndmask_b32_e64 v4, v4, v10, s[16:17]
	v_cndmask_b32_e64 v10, v54, v55, s[28:29]
	v_lshl_add_u32 v10, v10, 3, v28
	v_cndmask_b32_e64 v33, v15, v23, s[24:25]
	v_cndmask_b32_e64 v32, v14, v22, s[24:25]
	ds_read_b64 v[22:23], v10
	v_cndmask_b32_e64 v5, v5, v11, s[16:17]
	v_cndmask_b32_e64 v11, v7, v1, s[22:23]
	;; [unrolled: 1-line block ×5, first 2 shown]
.LBB1142_77:
	s_or_b64 exec, exec, s[20:21]
	v_and_b32_e32 v6, 0x1e0, v51
	v_or_b32_e32 v7, 16, v6
	; wave barrier
	ds_write_b64 v31, v[10:11]
	ds_write_b64 v34, v[16:17]
	;; [unrolled: 1-line block ×5, first 2 shown]
	s_waitcnt lgkmcnt(6)
	ds_write_b64 v38, v[20:21]
	ds_write_b64 v39, v[0:1]
	s_waitcnt lgkmcnt(7)
	ds_write_b64 v48, v[22:23]
	v_min_u32_e32 v31, v30, v7
	v_add_u32_e32 v7, 16, v31
	v_min_u32_e32 v34, v30, v7
	v_min_u32_e32 v7, v30, v52
	v_sub_u32_e32 v14, v31, v6
	v_sub_u32_e32 v15, v34, v31
	v_sub_u32_e64 v15, v7, v15 clamp
	v_min_u32_e32 v14, v7, v14
	v_cmp_lt_u32_e32 vcc, v15, v14
	; wave barrier
	s_and_saveexec_b64 s[16:17], vcc
	s_cbranch_execz .LBB1142_81
; %bb.78:
	v_lshlrev_b32_e32 v24, 3, v6
	v_lshlrev_b32_e32 v25, 3, v31
	v_add_co_u32_e32 v24, vcc, v29, v24
	v_add_co_u32_e32 v25, vcc, v29, v25
	s_mov_b64 s[20:21], 0
.LBB1142_79:                            ; =>This Inner Loop Header: Depth=1
	v_add_u32_e32 v26, v14, v15
	v_lshrrev_b32_e32 v30, 1, v26
	v_xad_u32 v35, v30, -1, v7
	v_lshl_add_u32 v26, v30, 3, v24
	v_lshl_add_u32 v35, v35, 3, v25
	ds_read_b64 v[26:27], v26
	ds_read_b64 v[35:36], v35
	v_add_u32_e32 v37, 1, v30
	s_waitcnt lgkmcnt(1)
	v_add_f64 v[26:27], v[26:27], 0
	s_waitcnt lgkmcnt(0)
	v_add_f64 v[35:36], v[35:36], 0
	v_ashrrev_i32_e32 v38, 31, v27
	v_ashrrev_i32_e32 v39, 31, v36
	v_or_b32_e32 v48, 0x80000000, v38
	v_xor_b32_e32 v26, v38, v26
	v_or_b32_e32 v38, 0x80000000, v39
	v_xor_b32_e32 v35, v39, v35
	v_xor_b32_e32 v27, v48, v27
	;; [unrolled: 1-line block ×3, first 2 shown]
	v_cmp_gt_u64_e32 vcc, v[35:36], v[26:27]
	v_cndmask_b32_e32 v14, v14, v30, vcc
	v_cndmask_b32_e32 v15, v37, v15, vcc
	v_cmp_ge_u32_e32 vcc, v15, v14
	s_or_b64 s[20:21], vcc, s[20:21]
	s_andn2_b64 exec, exec, s[20:21]
	s_cbranch_execnz .LBB1142_79
; %bb.80:
	s_or_b64 exec, exec, s[20:21]
.LBB1142_81:
	s_or_b64 exec, exec, s[16:17]
	v_add_u32_e32 v14, v15, v6
	v_add_u32_e32 v6, v31, v7
	v_sub_u32_e32 v15, v6, v15
	v_cmp_le_u32_e32 vcc, v14, v31
	v_cmp_le_u32_e64 s[16:17], v15, v34
	s_or_b64 s[16:17], vcc, s[16:17]
	s_and_saveexec_b64 s[20:21], s[16:17]
	s_cbranch_execz .LBB1142_101
; %bb.82:
	v_cmp_ge_u32_e32 vcc, v14, v31
	v_cmp_lt_u32_e64 s[16:17], v14, v31
                                        ; implicit-def: $vgpr0_vgpr1
	s_and_saveexec_b64 s[22:23], s[16:17]
; %bb.83:
	v_lshl_add_u32 v0, v14, 3, v29
	ds_read_b64 v[0:1], v0
; %bb.84:
	s_or_b64 exec, exec, s[22:23]
	v_cmp_ge_u32_e64 s[22:23], v15, v34
	v_cmp_lt_u32_e64 s[16:17], v15, v34
                                        ; implicit-def: $vgpr6_vgpr7
	s_and_saveexec_b64 s[24:25], s[16:17]
; %bb.85:
	v_lshl_add_u32 v4, v15, 3, v29
	ds_read_b64 v[6:7], v4
; %bb.86:
	s_or_b64 exec, exec, s[24:25]
	s_nor_b64 s[24:25], vcc, s[22:23]
	s_and_saveexec_b64 s[16:17], s[24:25]
	s_cbranch_execz .LBB1142_88
; %bb.87:
	s_waitcnt lgkmcnt(0)
	v_add_f64 v[4:5], v[6:7], 0
	v_add_f64 v[10:11], v[0:1], 0
	s_andn2_b64 s[22:23], s[22:23], exec
	v_ashrrev_i32_e32 v16, 31, v5
	v_ashrrev_i32_e32 v17, 31, v11
	v_or_b32_e32 v18, 0x80000000, v16
	v_xor_b32_e32 v4, v16, v4
	v_or_b32_e32 v16, 0x80000000, v17
	v_xor_b32_e32 v5, v18, v5
	v_xor_b32_e32 v11, v16, v11
	;; [unrolled: 1-line block ×3, first 2 shown]
	v_cmp_le_u64_e32 vcc, v[4:5], v[10:11]
	s_and_b64 s[24:25], vcc, exec
	s_or_b64 s[22:23], s[22:23], s[24:25]
.LBB1142_88:
	s_or_b64 exec, exec, s[16:17]
	v_cndmask_b32_e64 v4, v15, v14, s[22:23]
	v_cndmask_b32_e64 v5, v34, v31, s[22:23]
	v_add_u32_e32 v18, 1, v4
	v_add_u32_e32 v5, -1, v5
	v_min_u32_e32 v5, v18, v5
	v_lshl_add_u32 v5, v5, 3, v29
	ds_read_b64 v[10:11], v5
	v_lshl_add_u32 v4, v4, 3, v28
	ds_read_b64 v[16:17], v4
	v_cndmask_b32_e64 v20, v18, v15, s[22:23]
	v_cndmask_b32_e64 v21, v14, v18, s[22:23]
	s_waitcnt lgkmcnt(1)
	v_cndmask_b32_e64 v5, v11, v7, s[22:23]
	v_cndmask_b32_e64 v4, v10, v6, s[22:23]
	;; [unrolled: 1-line block ×4, first 2 shown]
	v_cmp_lt_u32_e32 vcc, v20, v34
	s_mov_b64 s[24:25], -1
	s_mov_b64 s[16:17], -1
	s_and_saveexec_b64 s[26:27], vcc
	s_cbranch_execz .LBB1142_92
; %bb.89:
	v_cmp_lt_u32_e32 vcc, v21, v31
	s_mov_b64 s[28:29], 0
	s_and_saveexec_b64 s[16:17], vcc
	s_cbranch_execz .LBB1142_91
; %bb.90:
	v_add_f64 v[14:15], v[4:5], 0
	v_add_f64 v[18:19], v[10:11], 0
	v_ashrrev_i32_e32 v22, 31, v15
	v_ashrrev_i32_e32 v23, 31, v19
	v_or_b32_e32 v24, 0x80000000, v22
	v_xor_b32_e32 v14, v22, v14
	v_or_b32_e32 v22, 0x80000000, v23
	v_xor_b32_e32 v15, v24, v15
	v_xor_b32_e32 v19, v22, v19
	;; [unrolled: 1-line block ×3, first 2 shown]
	v_cmp_le_u64_e32 vcc, v[14:15], v[18:19]
	s_and_b64 s[28:29], vcc, exec
.LBB1142_91:
	s_or_b64 exec, exec, s[16:17]
	s_orn2_b64 s[16:17], s[28:29], exec
.LBB1142_92:
	s_or_b64 exec, exec, s[26:27]
	v_cndmask_b32_e64 v14, v20, v21, s[16:17]
	v_cndmask_b32_e64 v15, v34, v31, s[16:17]
	v_add_u32_e32 v24, 1, v14
	v_add_u32_e32 v15, -1, v15
	v_min_u32_e32 v15, v24, v15
	v_lshl_add_u32 v15, v15, 3, v29
	ds_read_b64 v[22:23], v15
	v_lshl_add_u32 v14, v14, 3, v28
	ds_read_b64 v[18:19], v14
	v_cndmask_b32_e64 v30, v24, v20, s[16:17]
	v_cndmask_b32_e64 v32, v21, v24, s[16:17]
	s_waitcnt lgkmcnt(1)
	v_cndmask_b32_e64 v15, v23, v5, s[16:17]
	v_cndmask_b32_e64 v14, v22, v4, s[16:17]
	;; [unrolled: 1-line block ×4, first 2 shown]
	v_cmp_lt_u32_e32 vcc, v30, v34
	s_and_saveexec_b64 s[26:27], vcc
	s_cbranch_execz .LBB1142_96
; %bb.93:
	v_cmp_lt_u32_e32 vcc, v32, v31
	s_mov_b64 s[28:29], 0
	s_and_saveexec_b64 s[24:25], vcc
	s_cbranch_execz .LBB1142_95
; %bb.94:
	v_add_f64 v[20:21], v[14:15], 0
	v_add_f64 v[24:25], v[22:23], 0
	v_ashrrev_i32_e32 v26, 31, v21
	v_ashrrev_i32_e32 v27, 31, v25
	v_or_b32_e32 v33, 0x80000000, v26
	v_xor_b32_e32 v20, v26, v20
	v_or_b32_e32 v26, 0x80000000, v27
	v_xor_b32_e32 v21, v33, v21
	v_xor_b32_e32 v25, v26, v25
	;; [unrolled: 1-line block ×3, first 2 shown]
	v_cmp_le_u64_e32 vcc, v[20:21], v[24:25]
	s_and_b64 s[28:29], vcc, exec
.LBB1142_95:
	s_or_b64 exec, exec, s[24:25]
	s_orn2_b64 s[24:25], s[28:29], exec
.LBB1142_96:
	s_or_b64 exec, exec, s[26:27]
	v_cndmask_b32_e64 v20, v30, v32, s[24:25]
	v_cndmask_b32_e64 v21, v34, v31, s[24:25]
	v_add_u32_e32 v33, 1, v20
	v_add_u32_e32 v21, -1, v21
	v_min_u32_e32 v21, v33, v21
	v_lshl_add_u32 v21, v21, 3, v29
	ds_read_b64 v[26:27], v21
	v_lshl_add_u32 v20, v20, 3, v28
	ds_read_b64 v[20:21], v20
	v_cndmask_b32_e64 v29, v33, v30, s[24:25]
	v_cndmask_b32_e64 v30, v32, v33, s[24:25]
	s_waitcnt lgkmcnt(1)
	v_cndmask_b32_e64 v25, v27, v15, s[24:25]
	v_cndmask_b32_e64 v24, v26, v14, s[24:25]
	;; [unrolled: 1-line block ×4, first 2 shown]
	v_cmp_lt_u32_e32 vcc, v29, v34
	s_mov_b64 s[28:29], -1
	s_and_saveexec_b64 s[26:27], vcc
	s_cbranch_execz .LBB1142_100
; %bb.97:
	v_cmp_lt_u32_e32 vcc, v30, v31
	s_mov_b64 s[40:41], 0
	s_and_saveexec_b64 s[28:29], vcc
	s_cbranch_execz .LBB1142_99
; %bb.98:
	v_add_f64 v[31:32], v[24:25], 0
	v_add_f64 v[33:34], v[26:27], 0
	v_ashrrev_i32_e32 v35, 31, v32
	v_ashrrev_i32_e32 v36, 31, v34
	v_or_b32_e32 v37, 0x80000000, v35
	v_xor_b32_e32 v31, v35, v31
	v_or_b32_e32 v35, 0x80000000, v36
	v_xor_b32_e32 v32, v37, v32
	v_xor_b32_e32 v34, v35, v34
	;; [unrolled: 1-line block ×3, first 2 shown]
	v_cmp_le_u64_e32 vcc, v[31:32], v[33:34]
	s_and_b64 s[40:41], vcc, exec
.LBB1142_99:
	s_or_b64 exec, exec, s[28:29]
	s_orn2_b64 s[28:29], s[40:41], exec
.LBB1142_100:
	s_or_b64 exec, exec, s[26:27]
	v_cndmask_b32_e64 v4, v4, v10, s[16:17]
	v_cndmask_b32_e64 v10, v29, v30, s[28:29]
	v_lshl_add_u32 v10, v10, 3, v28
	v_cndmask_b32_e64 v33, v15, v23, s[24:25]
	v_cndmask_b32_e64 v32, v14, v22, s[24:25]
	ds_read_b64 v[22:23], v10
	v_cndmask_b32_e64 v5, v5, v11, s[16:17]
	v_cndmask_b32_e64 v11, v7, v1, s[22:23]
	;; [unrolled: 1-line block ×5, first 2 shown]
.LBB1142_101:
	s_or_b64 exec, exec, s[20:21]
	v_add_co_u32_e32 v2, vcc, v2, v12
	v_addc_co_u32_e32 v3, vcc, v3, v13, vcc
	v_add_co_u32_e32 v2, vcc, v2, v50
	v_addc_co_u32_e32 v3, vcc, 0, v3, vcc
	; wave barrier
	s_waitcnt lgkmcnt(0)
	s_barrier
	; wave barrier
	s_and_saveexec_b64 s[16:17], s[4:5]
	s_cbranch_execnz .LBB1142_222
; %bb.102:
	s_or_b64 exec, exec, s[16:17]
	s_and_saveexec_b64 s[16:17], s[6:7]
	s_cbranch_execnz .LBB1142_223
.LBB1142_103:
	s_or_b64 exec, exec, s[16:17]
	s_and_saveexec_b64 s[16:17], s[10:11]
	s_cbranch_execnz .LBB1142_224
.LBB1142_104:
	s_or_b64 exec, exec, s[16:17]
	s_and_saveexec_b64 s[16:17], s[14:15]
	s_cbranch_execz .LBB1142_106
.LBB1142_105:
	flat_store_dwordx2 v[2:3], v[0:1] offset:24
.LBB1142_106:
	s_or_b64 exec, exec, s[16:17]
	v_add_co_u32_e32 v0, vcc, v8, v12
	v_addc_co_u32_e32 v1, vcc, v9, v13, vcc
	v_add_co_u32_e32 v0, vcc, v0, v50
	v_addc_co_u32_e32 v1, vcc, 0, v1, vcc
	; wave barrier
	s_and_saveexec_b64 s[16:17], s[4:5]
	s_cbranch_execnz .LBB1142_225
; %bb.107:
	s_or_b64 exec, exec, s[16:17]
	s_and_saveexec_b64 s[16:17], s[6:7]
	s_cbranch_execnz .LBB1142_226
.LBB1142_108:
	s_or_b64 exec, exec, s[16:17]
	s_and_saveexec_b64 s[6:7], s[10:11]
	s_cbranch_execz .LBB1142_110
.LBB1142_109:
	flat_store_dwordx2 v[0:1], v[20:21] offset:16
.LBB1142_110:
	s_or_b64 exec, exec, s[6:7]
	s_and_b64 s[16:17], s[14:15], exec
                                        ; implicit-def: $vgpr26
                                        ; implicit-def: $vgpr51
                                        ; implicit-def: $vgpr24_vgpr25
                                        ; implicit-def: $vgpr4
                                        ; implicit-def: $vgpr5
                                        ; implicit-def: $vgpr6
                                        ; implicit-def: $vgpr7
                                        ; implicit-def: $vgpr10
                                        ; implicit-def: $vgpr15
                                        ; implicit-def: $vgpr52
                                        ; implicit-def: $vgpr31
	s_andn2_saveexec_b64 s[18:19], s[18:19]
	s_cbranch_execz .LBB1142_2
.LBB1142_111:
	v_mov_b32_e32 v2, -1
	v_mov_b32_e32 v8, -1
	;; [unrolled: 1-line block ×4, first 2 shown]
	s_and_saveexec_b64 s[6:7], s[4:5]
	s_cbranch_execz .LBB1142_113
; %bb.112:
	flat_load_dwordx2 v[8:9], v[24:25]
.LBB1142_113:
	s_or_b64 exec, exec, s[6:7]
	v_or_b32_e32 v0, 1, v52
	v_cmp_lt_u32_e64 s[6:7], v0, v26
	s_and_saveexec_b64 s[10:11], s[6:7]
	s_cbranch_execz .LBB1142_115
; %bb.114:
	flat_load_dwordx2 v[2:3], v[24:25] offset:8
.LBB1142_115:
	s_or_b64 exec, exec, s[10:11]
	v_or_b32_e32 v14, 2, v52
	v_mov_b32_e32 v0, -1
	v_mov_b32_e32 v32, -1
	;; [unrolled: 1-line block ×4, first 2 shown]
	v_cmp_lt_u32_e64 s[10:11], v14, v26
	s_and_saveexec_b64 s[14:15], s[10:11]
	s_cbranch_execz .LBB1142_117
; %bb.116:
	flat_load_dwordx2 v[32:33], v[24:25] offset:16
.LBB1142_117:
	s_or_b64 exec, exec, s[14:15]
	v_or_b32_e32 v14, 3, v52
	v_cmp_lt_u32_e64 s[14:15], v14, v26
	s_and_saveexec_b64 s[20:21], s[14:15]
	s_cbranch_execz .LBB1142_119
; %bb.118:
	flat_load_dwordx2 v[0:1], v[24:25] offset:24
.LBB1142_119:
	s_or_b64 exec, exec, s[20:21]
	v_add_co_u32_e32 v6, vcc, v6, v12
	v_addc_co_u32_e32 v7, vcc, v7, v13, vcc
	v_mov_b32_e32 v16, 0
	v_add_co_u32_e32 v6, vcc, v6, v50
	v_addc_co_u32_e32 v7, vcc, 0, v7, vcc
	v_mov_b32_e32 v17, v16
	v_mov_b32_e32 v18, v16
	;; [unrolled: 1-line block ×7, first 2 shown]
	; wave barrier
	s_and_saveexec_b64 s[20:21], s[4:5]
	s_cbranch_execnz .LBB1142_227
; %bb.120:
	s_or_b64 exec, exec, s[20:21]
	s_and_saveexec_b64 s[20:21], s[6:7]
	s_cbranch_execnz .LBB1142_228
.LBB1142_121:
	s_or_b64 exec, exec, s[20:21]
	s_and_saveexec_b64 s[20:21], s[10:11]
	s_cbranch_execnz .LBB1142_229
.LBB1142_122:
	s_or_b64 exec, exec, s[20:21]
	s_and_saveexec_b64 s[20:21], s[14:15]
	s_cbranch_execz .LBB1142_124
.LBB1142_123:
	flat_load_dwordx2 v[22:23], v[6:7] offset:24
.LBB1142_124:
	s_or_b64 exec, exec, s[20:21]
	; wave barrier
	s_load_dwordx2 s[20:21], s[8:9], 0x0
	v_mov_b32_e32 v6, 0
	v_bfe_u32 v24, v31, 20, 10
	s_waitcnt lgkmcnt(0)
	s_cmp_lt_u32 s13, s21
	s_cselect_b32 s13, 14, 20
	s_add_u32 s22, s8, s13
	s_addc_u32 s23, s9, 0
	s_cmp_lt_u32 s12, s20
	s_cselect_b32 s12, 12, 18
	s_add_u32 s8, s8, s12
	s_addc_u32 s9, s9, 0
	global_load_ushort v7, v6, s[22:23]
	global_load_ushort v14, v6, s[8:9]
	v_bfe_u32 v6, v31, 10, 10
	s_movk_i32 s8, 0x400
	s_waitcnt vmcnt(0)
	v_mad_u32_u24 v6, v24, v7, v6
	v_mul_lo_u32 v6, v6, v14
	v_and_b32_e32 v7, 0x3ff, v31
	v_add_lshl_u32 v14, v6, v7, 2
	v_cmp_gt_u32_e32 vcc, s8, v14
	s_and_saveexec_b64 s[12:13], vcc
	s_cbranch_execz .LBB1142_136
; %bb.125:
	v_add_f64 v[6:7], v[2:3], 0
	v_add_f64 v[24:25], v[8:9], 0
	;; [unrolled: 1-line block ×3, first 2 shown]
	v_ashrrev_i32_e32 v26, 31, v7
	v_ashrrev_i32_e32 v27, 31, v25
	v_or_b32_e32 v30, 0x80000000, v26
	v_xor_b32_e32 v6, v26, v6
	v_or_b32_e32 v26, 0x80000000, v27
	v_xor_b32_e32 v24, v27, v24
	v_xor_b32_e32 v7, v30, v7
	;; [unrolled: 1-line block ×3, first 2 shown]
	v_cmp_gt_u64_e32 vcc, v[6:7], v[24:25]
	v_add_f64 v[6:7], v[32:33], 0
	v_cndmask_b32_e32 v26, v18, v16, vcc
	v_cndmask_b32_e32 v24, v16, v18, vcc
	v_ashrrev_i32_e32 v16, 31, v29
	v_cndmask_b32_e32 v27, v19, v17, vcc
	v_cndmask_b32_e32 v25, v17, v19, vcc
	v_or_b32_e32 v17, 0x80000000, v16
	v_xor_b32_e32 v18, v16, v28
	v_ashrrev_i32_e32 v16, 31, v7
	v_xor_b32_e32 v19, v17, v29
	v_or_b32_e32 v17, 0x80000000, v16
	v_xor_b32_e32 v17, v17, v7
	v_xor_b32_e32 v16, v16, v6
	v_cmp_gt_u64_e64 s[8:9], v[18:19], v[16:17]
	v_mov_b32_e32 v6, v32
	v_mov_b32_e32 v29, v21
	;; [unrolled: 1-line block ×4, first 2 shown]
	s_and_saveexec_b64 s[20:21], s[8:9]
	s_cbranch_execz .LBB1142_127
; %bb.126:
	v_mov_b32_e32 v7, v1
	v_mov_b32_e32 v29, v23
	;; [unrolled: 1-line block ×10, first 2 shown]
.LBB1142_127:
	s_or_b64 exec, exec, s[20:21]
	v_cndmask_b32_e32 v21, v3, v9, vcc
	v_cndmask_b32_e32 v20, v2, v8, vcc
	v_add_f64 v[18:19], v[20:21], 0
	v_mov_b32_e32 v30, v22
                                        ; implicit-def: $vgpr48_vgpr49
	v_ashrrev_i32_e32 v31, 31, v19
	v_or_b32_e32 v32, 0x80000000, v31
	v_xor_b32_e32 v19, v32, v19
	v_xor_b32_e32 v18, v31, v18
	v_cmp_le_u64_e64 s[8:9], v[16:17], v[18:19]
	v_mov_b32_e32 v39, v31
	v_mov_b32_e32 v33, v25
	;; [unrolled: 1-line block ×8, first 2 shown]
	s_and_saveexec_b64 s[20:21], s[8:9]
	s_xor_b64 s[8:9], exec, s[20:21]
	s_cbranch_execz .LBB1142_129
; %bb.128:
	v_add_f64 v[16:17], v[6:7], 0
	v_ashrrev_i32_e32 v31, 31, v17
	v_or_b32_e32 v32, 0x80000000, v31
	v_xor_b32_e32 v49, v32, v17
	v_xor_b32_e32 v48, v31, v16
                                        ; implicit-def: $vgpr32_vgpr33_vgpr34_vgpr35_vgpr36_vgpr37_vgpr38_vgpr39
                                        ; implicit-def: $vgpr16_vgpr17
.LBB1142_129:
	s_or_saveexec_b64 s[8:9], s[8:9]
	v_mov_b32_e32 v35, v21
	v_mov_b32_e32 v31, v23
	;; [unrolled: 1-line block ×3, first 2 shown]
	s_xor_b64 exec, exec, s[8:9]
	s_cbranch_execz .LBB1142_131
; %bb.130:
	v_mov_b32_e32 v34, v28
	v_mov_b32_e32 v35, v29
	;; [unrolled: 1-line block ×22, first 2 shown]
.LBB1142_131:
	s_or_b64 exec, exec, s[8:9]
	v_cndmask_b32_e32 v9, v9, v3, vcc
	v_cndmask_b32_e32 v8, v8, v2, vcc
	v_add_f64 v[2:3], v[8:9], 0
	v_add_f64 v[32:33], v[0:1], 0
	v_mov_b32_e32 v20, v28
	v_mov_b32_e32 v21, v29
	;; [unrolled: 1-line block ×4, first 2 shown]
	v_ashrrev_i32_e32 v16, 31, v3
	v_or_b32_e32 v17, 0x80000000, v16
	v_xor_b32_e32 v2, v16, v2
	v_xor_b32_e32 v3, v17, v3
	v_cmp_gt_u64_e32 vcc, v[18:19], v[2:3]
	v_ashrrev_i32_e32 v2, 31, v33
	v_or_b32_e32 v3, 0x80000000, v2
	v_xor_b32_e32 v3, v3, v33
	v_xor_b32_e32 v2, v2, v32
	v_cndmask_b32_e32 v19, v27, v25, vcc
	v_cndmask_b32_e32 v18, v26, v24, vcc
	v_cndmask_b32_e32 v17, v25, v27, vcc
	v_cndmask_b32_e32 v16, v24, v26, vcc
	v_cmp_gt_u64_e64 s[8:9], v[2:3], v[48:49]
	v_mov_b32_e32 v25, v7
	v_mov_b32_e32 v24, v6
	s_and_saveexec_b64 s[20:21], s[8:9]
	s_cbranch_execz .LBB1142_133
; %bb.132:
	v_mov_b32_e32 v25, v1
	v_mov_b32_e32 v24, v0
	;; [unrolled: 1-line block ×10, first 2 shown]
.LBB1142_133:
	s_or_b64 exec, exec, s[20:21]
	v_cndmask_b32_e32 v3, v35, v9, vcc
	v_cndmask_b32_e32 v2, v34, v8, vcc
	v_add_f64 v[6:7], v[2:3], 0
	v_cndmask_b32_e32 v9, v9, v35, vcc
	v_cndmask_b32_e32 v8, v8, v34, vcc
	v_mov_b32_e32 v33, v25
	v_mov_b32_e32 v32, v24
	v_ashrrev_i32_e32 v26, 31, v7
	v_or_b32_e32 v27, 0x80000000, v26
	v_xor_b32_e32 v7, v27, v7
	v_xor_b32_e32 v6, v26, v6
	v_cmp_gt_u64_e32 vcc, v[48:49], v[6:7]
	s_and_saveexec_b64 s[8:9], vcc
	s_cbranch_execz .LBB1142_135
; %bb.134:
	v_mov_b32_e32 v26, v16
	v_mov_b32_e32 v27, v17
	;; [unrolled: 1-line block ×20, first 2 shown]
.LBB1142_135:
	s_or_b64 exec, exec, s[8:9]
.LBB1142_136:
	s_or_b64 exec, exec, s[12:13]
	v_and_b32_e32 v6, 0xffffff00, v14
	s_movk_i32 s8, 0x400
	v_mov_b32_e32 v7, 0
	v_sub_u32_e64 v30, s8, v6 clamp
	v_lshlrev_b64 v[6:7], 3, v[6:7]
	v_or_b32_e32 v7, 4, v51
	v_add_co_u32_e32 v29, vcc, v15, v6
	v_min_u32_e32 v49, v30, v7
	v_add_co_u32_e32 v28, vcc, 0x2000, v29
	v_lshlrev_b32_e32 v6, 3, v51
	v_add_u32_e32 v7, 4, v49
	v_add_u32_e32 v31, v29, v6
	;; [unrolled: 1-line block ×3, first 2 shown]
	v_and_b32_e32 v6, 0x1f8, v51
	v_min_u32_e32 v53, v30, v7
	v_and_b32_e32 v7, 4, v51
	v_min_u32_e32 v7, v30, v7
	v_sub_u32_e32 v14, v49, v6
	v_sub_u32_e32 v15, v53, v49
	v_sub_u32_e64 v15, v7, v15 clamp
	v_min_u32_e32 v14, v7, v14
	v_cmp_lt_u32_e32 vcc, v15, v14
	ds_write2_b64 v31, v[8:9], v[2:3] offset1:1
	ds_write2_b64 v34, v[16:17], v[18:19] offset1:1
	ds_write2_b64 v31, v[32:33], v[0:1] offset0:2 offset1:3
	ds_write2_b64 v34, v[20:21], v[22:23] offset0:2 offset1:3
	; wave barrier
	s_and_saveexec_b64 s[8:9], vcc
	s_cbranch_execz .LBB1142_140
; %bb.137:
	v_lshlrev_b32_e32 v24, 3, v6
	v_lshlrev_b32_e32 v25, 3, v49
	v_add_co_u32_e32 v24, vcc, v29, v24
	v_add_co_u32_e32 v25, vcc, v29, v25
	s_mov_b64 s[12:13], 0
.LBB1142_138:                           ; =>This Inner Loop Header: Depth=1
	v_add_u32_e32 v26, v14, v15
	v_lshrrev_b32_e32 v37, 1, v26
	v_xad_u32 v35, v37, -1, v7
	v_lshl_add_u32 v26, v37, 3, v24
	v_lshl_add_u32 v35, v35, 3, v25
	ds_read_b64 v[26:27], v26
	ds_read_b64 v[35:36], v35
	v_add_u32_e32 v38, 1, v37
	s_waitcnt lgkmcnt(1)
	v_add_f64 v[26:27], v[26:27], 0
	s_waitcnt lgkmcnt(0)
	v_add_f64 v[35:36], v[35:36], 0
	v_ashrrev_i32_e32 v39, 31, v27
	v_ashrrev_i32_e32 v48, 31, v36
	v_or_b32_e32 v54, 0x80000000, v39
	v_xor_b32_e32 v26, v39, v26
	v_or_b32_e32 v39, 0x80000000, v48
	v_xor_b32_e32 v35, v48, v35
	v_xor_b32_e32 v27, v54, v27
	;; [unrolled: 1-line block ×3, first 2 shown]
	v_cmp_gt_u64_e32 vcc, v[35:36], v[26:27]
	v_cndmask_b32_e32 v14, v14, v37, vcc
	v_cndmask_b32_e32 v15, v38, v15, vcc
	v_cmp_ge_u32_e32 vcc, v15, v14
	s_or_b64 s[12:13], vcc, s[12:13]
	s_andn2_b64 exec, exec, s[12:13]
	s_cbranch_execnz .LBB1142_138
; %bb.139:
	s_or_b64 exec, exec, s[12:13]
.LBB1142_140:
	s_or_b64 exec, exec, s[8:9]
	v_add_u32_e32 v14, v15, v6
	v_add_u32_e32 v6, v49, v7
	v_sub_u32_e32 v15, v6, v15
	v_cmp_le_u32_e32 vcc, v14, v49
	v_cmp_le_u32_e64 s[8:9], v15, v53
	v_add_u32_e32 v35, 8, v31
	v_add_u32_e32 v36, 8, v34
	;; [unrolled: 1-line block ×6, first 2 shown]
	s_or_b64 s[8:9], vcc, s[8:9]
	s_and_saveexec_b64 s[12:13], s[8:9]
	s_cbranch_execz .LBB1142_160
; %bb.141:
	v_cmp_ge_u32_e32 vcc, v14, v49
	v_cmp_lt_u32_e64 s[8:9], v14, v49
                                        ; implicit-def: $vgpr0_vgpr1
	s_and_saveexec_b64 s[20:21], s[8:9]
; %bb.142:
	v_lshl_add_u32 v0, v14, 3, v29
	ds_read_b64 v[0:1], v0
; %bb.143:
	s_or_b64 exec, exec, s[20:21]
	v_cmp_ge_u32_e64 s[20:21], v15, v53
	v_cmp_lt_u32_e64 s[8:9], v15, v53
                                        ; implicit-def: $vgpr6_vgpr7
	s_and_saveexec_b64 s[22:23], s[8:9]
; %bb.144:
	v_lshl_add_u32 v2, v15, 3, v29
	ds_read_b64 v[6:7], v2
; %bb.145:
	s_or_b64 exec, exec, s[22:23]
	s_nor_b64 s[22:23], vcc, s[20:21]
	s_and_saveexec_b64 s[8:9], s[22:23]
	s_cbranch_execz .LBB1142_147
; %bb.146:
	s_waitcnt lgkmcnt(0)
	v_add_f64 v[2:3], v[6:7], 0
	v_add_f64 v[8:9], v[0:1], 0
	s_andn2_b64 s[20:21], s[20:21], exec
	v_ashrrev_i32_e32 v16, 31, v3
	v_ashrrev_i32_e32 v17, 31, v9
	v_or_b32_e32 v18, 0x80000000, v16
	v_xor_b32_e32 v2, v16, v2
	v_or_b32_e32 v16, 0x80000000, v17
	v_xor_b32_e32 v3, v18, v3
	v_xor_b32_e32 v9, v16, v9
	;; [unrolled: 1-line block ×3, first 2 shown]
	v_cmp_le_u64_e32 vcc, v[2:3], v[8:9]
	s_and_b64 s[22:23], vcc, exec
	s_or_b64 s[20:21], s[20:21], s[22:23]
.LBB1142_147:
	s_or_b64 exec, exec, s[8:9]
	v_cndmask_b32_e64 v2, v15, v14, s[20:21]
	v_cndmask_b32_e64 v3, v53, v49, s[20:21]
	v_add_u32_e32 v18, 1, v2
	v_add_u32_e32 v3, -1, v3
	v_min_u32_e32 v3, v18, v3
	v_lshl_add_u32 v3, v3, 3, v29
	ds_read_b64 v[8:9], v3
	v_lshl_add_u32 v2, v2, 3, v28
	ds_read_b64 v[16:17], v2
	v_cndmask_b32_e64 v20, v18, v15, s[20:21]
	v_cndmask_b32_e64 v21, v14, v18, s[20:21]
	s_waitcnt lgkmcnt(1)
	v_cndmask_b32_e64 v3, v9, v7, s[20:21]
	v_cndmask_b32_e64 v2, v8, v6, s[20:21]
	;; [unrolled: 1-line block ×4, first 2 shown]
	v_cmp_lt_u32_e32 vcc, v20, v53
	s_mov_b64 s[22:23], -1
	s_mov_b64 s[8:9], -1
	s_and_saveexec_b64 s[24:25], vcc
	s_cbranch_execz .LBB1142_151
; %bb.148:
	v_cmp_lt_u32_e32 vcc, v21, v49
	s_mov_b64 s[26:27], 0
	s_and_saveexec_b64 s[8:9], vcc
	s_cbranch_execz .LBB1142_150
; %bb.149:
	v_add_f64 v[14:15], v[2:3], 0
	v_add_f64 v[18:19], v[8:9], 0
	v_ashrrev_i32_e32 v22, 31, v15
	v_ashrrev_i32_e32 v23, 31, v19
	v_or_b32_e32 v24, 0x80000000, v22
	v_xor_b32_e32 v14, v22, v14
	v_or_b32_e32 v22, 0x80000000, v23
	v_xor_b32_e32 v15, v24, v15
	v_xor_b32_e32 v19, v22, v19
	;; [unrolled: 1-line block ×3, first 2 shown]
	v_cmp_le_u64_e32 vcc, v[14:15], v[18:19]
	s_and_b64 s[26:27], vcc, exec
.LBB1142_150:
	s_or_b64 exec, exec, s[8:9]
	s_orn2_b64 s[8:9], s[26:27], exec
.LBB1142_151:
	s_or_b64 exec, exec, s[24:25]
	v_cndmask_b32_e64 v14, v20, v21, s[8:9]
	v_cndmask_b32_e64 v15, v53, v49, s[8:9]
	v_add_u32_e32 v24, 1, v14
	v_add_u32_e32 v15, -1, v15
	v_min_u32_e32 v15, v24, v15
	v_lshl_add_u32 v15, v15, 3, v29
	ds_read_b64 v[22:23], v15
	v_lshl_add_u32 v14, v14, 3, v28
	ds_read_b64 v[18:19], v14
	v_cndmask_b32_e64 v32, v24, v20, s[8:9]
	v_cndmask_b32_e64 v33, v21, v24, s[8:9]
	s_waitcnt lgkmcnt(1)
	v_cndmask_b32_e64 v15, v23, v3, s[8:9]
	v_cndmask_b32_e64 v14, v22, v2, s[8:9]
	;; [unrolled: 1-line block ×4, first 2 shown]
	v_cmp_lt_u32_e32 vcc, v32, v53
	s_and_saveexec_b64 s[24:25], vcc
	s_cbranch_execz .LBB1142_155
; %bb.152:
	v_cmp_lt_u32_e32 vcc, v33, v49
	s_mov_b64 s[26:27], 0
	s_and_saveexec_b64 s[22:23], vcc
	s_cbranch_execz .LBB1142_154
; %bb.153:
	v_add_f64 v[20:21], v[14:15], 0
	v_add_f64 v[24:25], v[22:23], 0
	v_ashrrev_i32_e32 v26, 31, v21
	v_ashrrev_i32_e32 v27, 31, v25
	v_or_b32_e32 v54, 0x80000000, v26
	v_xor_b32_e32 v20, v26, v20
	v_or_b32_e32 v26, 0x80000000, v27
	v_xor_b32_e32 v21, v54, v21
	v_xor_b32_e32 v25, v26, v25
	;; [unrolled: 1-line block ×3, first 2 shown]
	v_cmp_le_u64_e32 vcc, v[20:21], v[24:25]
	s_and_b64 s[26:27], vcc, exec
.LBB1142_154:
	s_or_b64 exec, exec, s[22:23]
	s_orn2_b64 s[22:23], s[26:27], exec
.LBB1142_155:
	s_or_b64 exec, exec, s[24:25]
	v_cndmask_b32_e64 v20, v32, v33, s[22:23]
	v_cndmask_b32_e64 v21, v53, v49, s[22:23]
	v_add_u32_e32 v55, 1, v20
	v_add_u32_e32 v21, -1, v21
	v_min_u32_e32 v21, v55, v21
	v_lshl_add_u32 v21, v21, 3, v29
	ds_read_b64 v[26:27], v21
	v_lshl_add_u32 v20, v20, 3, v28
	ds_read_b64 v[20:21], v20
	v_cndmask_b32_e64 v54, v55, v32, s[22:23]
	v_cndmask_b32_e64 v55, v33, v55, s[22:23]
	s_waitcnt lgkmcnt(1)
	v_cndmask_b32_e64 v25, v27, v15, s[22:23]
	v_cndmask_b32_e64 v24, v26, v14, s[22:23]
	;; [unrolled: 1-line block ×4, first 2 shown]
	v_cmp_lt_u32_e32 vcc, v54, v53
	s_mov_b64 s[26:27], -1
	s_and_saveexec_b64 s[24:25], vcc
	s_cbranch_execz .LBB1142_159
; %bb.156:
	v_cmp_lt_u32_e32 vcc, v55, v49
	s_mov_b64 s[28:29], 0
	s_and_saveexec_b64 s[26:27], vcc
	s_cbranch_execz .LBB1142_158
; %bb.157:
	v_add_f64 v[32:33], v[24:25], 0
	v_add_f64 v[64:65], v[26:27], 0
	v_ashrrev_i32_e32 v49, 31, v33
	v_ashrrev_i32_e32 v53, 31, v65
	v_or_b32_e32 v66, 0x80000000, v49
	v_xor_b32_e32 v32, v49, v32
	v_or_b32_e32 v49, 0x80000000, v53
	v_xor_b32_e32 v33, v66, v33
	v_xor_b32_e32 v65, v49, v65
	;; [unrolled: 1-line block ×3, first 2 shown]
	v_cmp_le_u64_e32 vcc, v[32:33], v[64:65]
	s_and_b64 s[28:29], vcc, exec
.LBB1142_158:
	s_or_b64 exec, exec, s[26:27]
	s_orn2_b64 s[26:27], s[28:29], exec
.LBB1142_159:
	s_or_b64 exec, exec, s[24:25]
	v_cndmask_b32_e64 v2, v2, v8, s[8:9]
	v_cndmask_b32_e64 v8, v54, v55, s[26:27]
	v_lshl_add_u32 v8, v8, 3, v28
	v_cndmask_b32_e64 v33, v15, v23, s[22:23]
	v_cndmask_b32_e64 v32, v14, v22, s[22:23]
	ds_read_b64 v[22:23], v8
	v_cndmask_b32_e64 v3, v3, v9, s[8:9]
	v_cndmask_b32_e64 v9, v7, v1, s[20:21]
	;; [unrolled: 1-line block ×5, first 2 shown]
.LBB1142_160:
	s_or_b64 exec, exec, s[12:13]
	v_and_b32_e32 v6, 0x1f0, v51
	v_or_b32_e32 v7, 8, v6
	v_min_u32_e32 v49, v30, v7
	v_add_u32_e32 v7, 8, v49
	v_min_u32_e32 v53, v30, v7
	v_and_b32_e32 v7, 12, v51
	v_min_u32_e32 v7, v30, v7
	v_sub_u32_e32 v14, v49, v6
	v_sub_u32_e32 v15, v53, v49
	v_sub_u32_e64 v15, v7, v15 clamp
	v_min_u32_e32 v14, v7, v14
	v_cmp_lt_u32_e32 vcc, v15, v14
	; wave barrier
	ds_write_b64 v31, v[8:9]
	ds_write_b64 v34, v[16:17]
	;; [unrolled: 1-line block ×5, first 2 shown]
	s_waitcnt lgkmcnt(6)
	ds_write_b64 v38, v[20:21]
	ds_write_b64 v39, v[0:1]
	s_waitcnt lgkmcnt(7)
	ds_write_b64 v48, v[22:23]
	; wave barrier
	s_and_saveexec_b64 s[8:9], vcc
	s_cbranch_execz .LBB1142_164
; %bb.161:
	v_lshlrev_b32_e32 v24, 3, v6
	v_lshlrev_b32_e32 v25, 3, v49
	v_add_co_u32_e32 v24, vcc, v29, v24
	v_add_co_u32_e32 v25, vcc, v29, v25
	s_mov_b64 s[12:13], 0
.LBB1142_162:                           ; =>This Inner Loop Header: Depth=1
	v_add_u32_e32 v26, v14, v15
	v_lshrrev_b32_e32 v64, 1, v26
	v_xad_u32 v54, v64, -1, v7
	v_lshl_add_u32 v26, v64, 3, v24
	v_lshl_add_u32 v54, v54, 3, v25
	ds_read_b64 v[26:27], v26
	ds_read_b64 v[54:55], v54
	v_add_u32_e32 v65, 1, v64
	s_waitcnt lgkmcnt(1)
	v_add_f64 v[26:27], v[26:27], 0
	s_waitcnt lgkmcnt(0)
	v_add_f64 v[54:55], v[54:55], 0
	v_ashrrev_i32_e32 v66, 31, v27
	v_ashrrev_i32_e32 v67, 31, v55
	v_or_b32_e32 v68, 0x80000000, v66
	v_xor_b32_e32 v26, v66, v26
	v_or_b32_e32 v66, 0x80000000, v67
	v_xor_b32_e32 v54, v67, v54
	v_xor_b32_e32 v27, v68, v27
	;; [unrolled: 1-line block ×3, first 2 shown]
	v_cmp_gt_u64_e32 vcc, v[54:55], v[26:27]
	v_cndmask_b32_e32 v14, v14, v64, vcc
	v_cndmask_b32_e32 v15, v65, v15, vcc
	v_cmp_ge_u32_e32 vcc, v15, v14
	s_or_b64 s[12:13], vcc, s[12:13]
	s_andn2_b64 exec, exec, s[12:13]
	s_cbranch_execnz .LBB1142_162
; %bb.163:
	s_or_b64 exec, exec, s[12:13]
.LBB1142_164:
	s_or_b64 exec, exec, s[8:9]
	v_add_u32_e32 v14, v15, v6
	v_add_u32_e32 v6, v49, v7
	v_sub_u32_e32 v15, v6, v15
	v_cmp_le_u32_e32 vcc, v14, v49
	v_cmp_le_u32_e64 s[8:9], v15, v53
	s_or_b64 s[8:9], vcc, s[8:9]
	s_and_saveexec_b64 s[12:13], s[8:9]
	s_cbranch_execz .LBB1142_184
; %bb.165:
	v_cmp_ge_u32_e32 vcc, v14, v49
	v_cmp_lt_u32_e64 s[8:9], v14, v49
                                        ; implicit-def: $vgpr0_vgpr1
	s_and_saveexec_b64 s[20:21], s[8:9]
; %bb.166:
	v_lshl_add_u32 v0, v14, 3, v29
	ds_read_b64 v[0:1], v0
; %bb.167:
	s_or_b64 exec, exec, s[20:21]
	v_cmp_ge_u32_e64 s[20:21], v15, v53
	v_cmp_lt_u32_e64 s[8:9], v15, v53
                                        ; implicit-def: $vgpr6_vgpr7
	s_and_saveexec_b64 s[22:23], s[8:9]
; %bb.168:
	v_lshl_add_u32 v2, v15, 3, v29
	ds_read_b64 v[6:7], v2
; %bb.169:
	s_or_b64 exec, exec, s[22:23]
	s_nor_b64 s[22:23], vcc, s[20:21]
	s_and_saveexec_b64 s[8:9], s[22:23]
	s_cbranch_execz .LBB1142_171
; %bb.170:
	s_waitcnt lgkmcnt(0)
	v_add_f64 v[2:3], v[6:7], 0
	v_add_f64 v[8:9], v[0:1], 0
	s_andn2_b64 s[20:21], s[20:21], exec
	v_ashrrev_i32_e32 v16, 31, v3
	v_ashrrev_i32_e32 v17, 31, v9
	v_or_b32_e32 v18, 0x80000000, v16
	v_xor_b32_e32 v2, v16, v2
	v_or_b32_e32 v16, 0x80000000, v17
	v_xor_b32_e32 v3, v18, v3
	v_xor_b32_e32 v9, v16, v9
	;; [unrolled: 1-line block ×3, first 2 shown]
	v_cmp_le_u64_e32 vcc, v[2:3], v[8:9]
	s_and_b64 s[22:23], vcc, exec
	s_or_b64 s[20:21], s[20:21], s[22:23]
.LBB1142_171:
	s_or_b64 exec, exec, s[8:9]
	v_cndmask_b32_e64 v2, v15, v14, s[20:21]
	v_cndmask_b32_e64 v3, v53, v49, s[20:21]
	v_add_u32_e32 v18, 1, v2
	v_add_u32_e32 v3, -1, v3
	v_min_u32_e32 v3, v18, v3
	v_lshl_add_u32 v3, v3, 3, v29
	ds_read_b64 v[8:9], v3
	v_lshl_add_u32 v2, v2, 3, v28
	ds_read_b64 v[16:17], v2
	v_cndmask_b32_e64 v20, v18, v15, s[20:21]
	v_cndmask_b32_e64 v21, v14, v18, s[20:21]
	s_waitcnt lgkmcnt(1)
	v_cndmask_b32_e64 v3, v9, v7, s[20:21]
	v_cndmask_b32_e64 v2, v8, v6, s[20:21]
	;; [unrolled: 1-line block ×4, first 2 shown]
	v_cmp_lt_u32_e32 vcc, v20, v53
	s_mov_b64 s[22:23], -1
	s_mov_b64 s[8:9], -1
	s_and_saveexec_b64 s[24:25], vcc
	s_cbranch_execz .LBB1142_175
; %bb.172:
	v_cmp_lt_u32_e32 vcc, v21, v49
	s_mov_b64 s[26:27], 0
	s_and_saveexec_b64 s[8:9], vcc
	s_cbranch_execz .LBB1142_174
; %bb.173:
	v_add_f64 v[14:15], v[2:3], 0
	v_add_f64 v[18:19], v[8:9], 0
	v_ashrrev_i32_e32 v22, 31, v15
	v_ashrrev_i32_e32 v23, 31, v19
	v_or_b32_e32 v24, 0x80000000, v22
	v_xor_b32_e32 v14, v22, v14
	v_or_b32_e32 v22, 0x80000000, v23
	v_xor_b32_e32 v15, v24, v15
	v_xor_b32_e32 v19, v22, v19
	;; [unrolled: 1-line block ×3, first 2 shown]
	v_cmp_le_u64_e32 vcc, v[14:15], v[18:19]
	s_and_b64 s[26:27], vcc, exec
.LBB1142_174:
	s_or_b64 exec, exec, s[8:9]
	s_orn2_b64 s[8:9], s[26:27], exec
.LBB1142_175:
	s_or_b64 exec, exec, s[24:25]
	v_cndmask_b32_e64 v14, v20, v21, s[8:9]
	v_cndmask_b32_e64 v15, v53, v49, s[8:9]
	v_add_u32_e32 v24, 1, v14
	v_add_u32_e32 v15, -1, v15
	v_min_u32_e32 v15, v24, v15
	v_lshl_add_u32 v15, v15, 3, v29
	ds_read_b64 v[22:23], v15
	v_lshl_add_u32 v14, v14, 3, v28
	ds_read_b64 v[18:19], v14
	v_cndmask_b32_e64 v32, v24, v20, s[8:9]
	v_cndmask_b32_e64 v33, v21, v24, s[8:9]
	s_waitcnt lgkmcnt(1)
	v_cndmask_b32_e64 v15, v23, v3, s[8:9]
	v_cndmask_b32_e64 v14, v22, v2, s[8:9]
	v_cndmask_b32_e64 v23, v9, v23, s[8:9]
	v_cndmask_b32_e64 v22, v8, v22, s[8:9]
	v_cmp_lt_u32_e32 vcc, v32, v53
	s_and_saveexec_b64 s[24:25], vcc
	s_cbranch_execz .LBB1142_179
; %bb.176:
	v_cmp_lt_u32_e32 vcc, v33, v49
	s_mov_b64 s[26:27], 0
	s_and_saveexec_b64 s[22:23], vcc
	s_cbranch_execz .LBB1142_178
; %bb.177:
	v_add_f64 v[20:21], v[14:15], 0
	v_add_f64 v[24:25], v[22:23], 0
	v_ashrrev_i32_e32 v26, 31, v21
	v_ashrrev_i32_e32 v27, 31, v25
	v_or_b32_e32 v54, 0x80000000, v26
	v_xor_b32_e32 v20, v26, v20
	v_or_b32_e32 v26, 0x80000000, v27
	v_xor_b32_e32 v21, v54, v21
	v_xor_b32_e32 v25, v26, v25
	;; [unrolled: 1-line block ×3, first 2 shown]
	v_cmp_le_u64_e32 vcc, v[20:21], v[24:25]
	s_and_b64 s[26:27], vcc, exec
.LBB1142_178:
	s_or_b64 exec, exec, s[22:23]
	s_orn2_b64 s[22:23], s[26:27], exec
.LBB1142_179:
	s_or_b64 exec, exec, s[24:25]
	v_cndmask_b32_e64 v20, v32, v33, s[22:23]
	v_cndmask_b32_e64 v21, v53, v49, s[22:23]
	v_add_u32_e32 v55, 1, v20
	v_add_u32_e32 v21, -1, v21
	v_min_u32_e32 v21, v55, v21
	v_lshl_add_u32 v21, v21, 3, v29
	ds_read_b64 v[26:27], v21
	v_lshl_add_u32 v20, v20, 3, v28
	ds_read_b64 v[20:21], v20
	v_cndmask_b32_e64 v54, v55, v32, s[22:23]
	v_cndmask_b32_e64 v55, v33, v55, s[22:23]
	s_waitcnt lgkmcnt(1)
	v_cndmask_b32_e64 v25, v27, v15, s[22:23]
	v_cndmask_b32_e64 v24, v26, v14, s[22:23]
	;; [unrolled: 1-line block ×4, first 2 shown]
	v_cmp_lt_u32_e32 vcc, v54, v53
	s_mov_b64 s[26:27], -1
	s_and_saveexec_b64 s[24:25], vcc
	s_cbranch_execz .LBB1142_183
; %bb.180:
	v_cmp_lt_u32_e32 vcc, v55, v49
	s_mov_b64 s[28:29], 0
	s_and_saveexec_b64 s[26:27], vcc
	s_cbranch_execz .LBB1142_182
; %bb.181:
	v_add_f64 v[32:33], v[24:25], 0
	v_add_f64 v[64:65], v[26:27], 0
	v_ashrrev_i32_e32 v49, 31, v33
	v_ashrrev_i32_e32 v53, 31, v65
	v_or_b32_e32 v66, 0x80000000, v49
	v_xor_b32_e32 v32, v49, v32
	v_or_b32_e32 v49, 0x80000000, v53
	v_xor_b32_e32 v33, v66, v33
	v_xor_b32_e32 v65, v49, v65
	;; [unrolled: 1-line block ×3, first 2 shown]
	v_cmp_le_u64_e32 vcc, v[32:33], v[64:65]
	s_and_b64 s[28:29], vcc, exec
.LBB1142_182:
	s_or_b64 exec, exec, s[26:27]
	s_orn2_b64 s[26:27], s[28:29], exec
.LBB1142_183:
	s_or_b64 exec, exec, s[24:25]
	v_cndmask_b32_e64 v2, v2, v8, s[8:9]
	v_cndmask_b32_e64 v8, v54, v55, s[26:27]
	v_lshl_add_u32 v8, v8, 3, v28
	v_cndmask_b32_e64 v33, v15, v23, s[22:23]
	v_cndmask_b32_e64 v32, v14, v22, s[22:23]
	ds_read_b64 v[22:23], v8
	v_cndmask_b32_e64 v3, v3, v9, s[8:9]
	v_cndmask_b32_e64 v9, v7, v1, s[20:21]
	;; [unrolled: 1-line block ×5, first 2 shown]
.LBB1142_184:
	s_or_b64 exec, exec, s[12:13]
	v_and_b32_e32 v6, 0x1e0, v51
	v_or_b32_e32 v7, 16, v6
	; wave barrier
	ds_write_b64 v31, v[8:9]
	ds_write_b64 v34, v[16:17]
	;; [unrolled: 1-line block ×5, first 2 shown]
	s_waitcnt lgkmcnt(6)
	ds_write_b64 v38, v[20:21]
	ds_write_b64 v39, v[0:1]
	s_waitcnt lgkmcnt(7)
	ds_write_b64 v48, v[22:23]
	v_min_u32_e32 v31, v30, v7
	v_add_u32_e32 v7, 16, v31
	v_min_u32_e32 v34, v30, v7
	v_min_u32_e32 v7, v30, v52
	v_sub_u32_e32 v14, v31, v6
	v_sub_u32_e32 v15, v34, v31
	v_sub_u32_e64 v15, v7, v15 clamp
	v_min_u32_e32 v14, v7, v14
	v_cmp_lt_u32_e32 vcc, v15, v14
	; wave barrier
	s_and_saveexec_b64 s[8:9], vcc
	s_cbranch_execz .LBB1142_188
; %bb.185:
	v_lshlrev_b32_e32 v24, 3, v6
	v_lshlrev_b32_e32 v25, 3, v31
	v_add_co_u32_e32 v24, vcc, v29, v24
	v_add_co_u32_e32 v25, vcc, v29, v25
	s_mov_b64 s[12:13], 0
.LBB1142_186:                           ; =>This Inner Loop Header: Depth=1
	v_add_u32_e32 v26, v14, v15
	v_lshrrev_b32_e32 v30, 1, v26
	v_xad_u32 v35, v30, -1, v7
	v_lshl_add_u32 v26, v30, 3, v24
	v_lshl_add_u32 v35, v35, 3, v25
	ds_read_b64 v[26:27], v26
	ds_read_b64 v[35:36], v35
	v_add_u32_e32 v37, 1, v30
	s_waitcnt lgkmcnt(1)
	v_add_f64 v[26:27], v[26:27], 0
	s_waitcnt lgkmcnt(0)
	v_add_f64 v[35:36], v[35:36], 0
	v_ashrrev_i32_e32 v38, 31, v27
	v_ashrrev_i32_e32 v39, 31, v36
	v_or_b32_e32 v48, 0x80000000, v38
	v_xor_b32_e32 v26, v38, v26
	v_or_b32_e32 v38, 0x80000000, v39
	v_xor_b32_e32 v35, v39, v35
	v_xor_b32_e32 v27, v48, v27
	;; [unrolled: 1-line block ×3, first 2 shown]
	v_cmp_gt_u64_e32 vcc, v[35:36], v[26:27]
	v_cndmask_b32_e32 v14, v14, v30, vcc
	v_cndmask_b32_e32 v15, v37, v15, vcc
	v_cmp_ge_u32_e32 vcc, v15, v14
	s_or_b64 s[12:13], vcc, s[12:13]
	s_andn2_b64 exec, exec, s[12:13]
	s_cbranch_execnz .LBB1142_186
; %bb.187:
	s_or_b64 exec, exec, s[12:13]
.LBB1142_188:
	s_or_b64 exec, exec, s[8:9]
	v_add_u32_e32 v14, v15, v6
	v_add_u32_e32 v6, v31, v7
	v_sub_u32_e32 v15, v6, v15
	v_cmp_le_u32_e32 vcc, v14, v31
	v_cmp_le_u32_e64 s[8:9], v15, v34
	s_or_b64 s[8:9], vcc, s[8:9]
	s_and_saveexec_b64 s[12:13], s[8:9]
	s_cbranch_execz .LBB1142_208
; %bb.189:
	v_cmp_ge_u32_e32 vcc, v14, v31
	v_cmp_lt_u32_e64 s[8:9], v14, v31
                                        ; implicit-def: $vgpr0_vgpr1
	s_and_saveexec_b64 s[20:21], s[8:9]
; %bb.190:
	v_lshl_add_u32 v0, v14, 3, v29
	ds_read_b64 v[0:1], v0
; %bb.191:
	s_or_b64 exec, exec, s[20:21]
	v_cmp_ge_u32_e64 s[20:21], v15, v34
	v_cmp_lt_u32_e64 s[8:9], v15, v34
                                        ; implicit-def: $vgpr6_vgpr7
	s_and_saveexec_b64 s[22:23], s[8:9]
; %bb.192:
	v_lshl_add_u32 v2, v15, 3, v29
	ds_read_b64 v[6:7], v2
; %bb.193:
	s_or_b64 exec, exec, s[22:23]
	s_nor_b64 s[22:23], vcc, s[20:21]
	s_and_saveexec_b64 s[8:9], s[22:23]
	s_cbranch_execz .LBB1142_195
; %bb.194:
	s_waitcnt lgkmcnt(0)
	v_add_f64 v[2:3], v[6:7], 0
	v_add_f64 v[8:9], v[0:1], 0
	s_andn2_b64 s[20:21], s[20:21], exec
	v_ashrrev_i32_e32 v16, 31, v3
	v_ashrrev_i32_e32 v17, 31, v9
	v_or_b32_e32 v18, 0x80000000, v16
	v_xor_b32_e32 v2, v16, v2
	v_or_b32_e32 v16, 0x80000000, v17
	v_xor_b32_e32 v3, v18, v3
	v_xor_b32_e32 v9, v16, v9
	v_xor_b32_e32 v8, v17, v8
	v_cmp_le_u64_e32 vcc, v[2:3], v[8:9]
	s_and_b64 s[22:23], vcc, exec
	s_or_b64 s[20:21], s[20:21], s[22:23]
.LBB1142_195:
	s_or_b64 exec, exec, s[8:9]
	v_cndmask_b32_e64 v2, v15, v14, s[20:21]
	v_cndmask_b32_e64 v3, v34, v31, s[20:21]
	v_add_u32_e32 v18, 1, v2
	v_add_u32_e32 v3, -1, v3
	v_min_u32_e32 v3, v18, v3
	v_lshl_add_u32 v3, v3, 3, v29
	ds_read_b64 v[8:9], v3
	v_lshl_add_u32 v2, v2, 3, v28
	ds_read_b64 v[16:17], v2
	v_cndmask_b32_e64 v20, v18, v15, s[20:21]
	v_cndmask_b32_e64 v21, v14, v18, s[20:21]
	s_waitcnt lgkmcnt(1)
	v_cndmask_b32_e64 v3, v9, v7, s[20:21]
	v_cndmask_b32_e64 v2, v8, v6, s[20:21]
	v_cndmask_b32_e64 v9, v1, v9, s[20:21]
	v_cndmask_b32_e64 v8, v0, v8, s[20:21]
	v_cmp_lt_u32_e32 vcc, v20, v34
	s_mov_b64 s[22:23], -1
	s_mov_b64 s[8:9], -1
	s_and_saveexec_b64 s[24:25], vcc
	s_cbranch_execz .LBB1142_199
; %bb.196:
	v_cmp_lt_u32_e32 vcc, v21, v31
	s_mov_b64 s[26:27], 0
	s_and_saveexec_b64 s[8:9], vcc
	s_cbranch_execz .LBB1142_198
; %bb.197:
	v_add_f64 v[14:15], v[2:3], 0
	v_add_f64 v[18:19], v[8:9], 0
	v_ashrrev_i32_e32 v22, 31, v15
	v_ashrrev_i32_e32 v23, 31, v19
	v_or_b32_e32 v24, 0x80000000, v22
	v_xor_b32_e32 v14, v22, v14
	v_or_b32_e32 v22, 0x80000000, v23
	v_xor_b32_e32 v15, v24, v15
	v_xor_b32_e32 v19, v22, v19
	v_xor_b32_e32 v18, v23, v18
	v_cmp_le_u64_e32 vcc, v[14:15], v[18:19]
	s_and_b64 s[26:27], vcc, exec
.LBB1142_198:
	s_or_b64 exec, exec, s[8:9]
	s_orn2_b64 s[8:9], s[26:27], exec
.LBB1142_199:
	s_or_b64 exec, exec, s[24:25]
	v_cndmask_b32_e64 v14, v20, v21, s[8:9]
	v_cndmask_b32_e64 v15, v34, v31, s[8:9]
	v_add_u32_e32 v24, 1, v14
	v_add_u32_e32 v15, -1, v15
	v_min_u32_e32 v15, v24, v15
	v_lshl_add_u32 v15, v15, 3, v29
	ds_read_b64 v[22:23], v15
	v_lshl_add_u32 v14, v14, 3, v28
	ds_read_b64 v[18:19], v14
	v_cndmask_b32_e64 v30, v24, v20, s[8:9]
	v_cndmask_b32_e64 v32, v21, v24, s[8:9]
	s_waitcnt lgkmcnt(1)
	v_cndmask_b32_e64 v15, v23, v3, s[8:9]
	v_cndmask_b32_e64 v14, v22, v2, s[8:9]
	;; [unrolled: 1-line block ×4, first 2 shown]
	v_cmp_lt_u32_e32 vcc, v30, v34
	s_and_saveexec_b64 s[24:25], vcc
	s_cbranch_execz .LBB1142_203
; %bb.200:
	v_cmp_lt_u32_e32 vcc, v32, v31
	s_mov_b64 s[26:27], 0
	s_and_saveexec_b64 s[22:23], vcc
	s_cbranch_execz .LBB1142_202
; %bb.201:
	v_add_f64 v[20:21], v[14:15], 0
	v_add_f64 v[24:25], v[22:23], 0
	v_ashrrev_i32_e32 v26, 31, v21
	v_ashrrev_i32_e32 v27, 31, v25
	v_or_b32_e32 v33, 0x80000000, v26
	v_xor_b32_e32 v20, v26, v20
	v_or_b32_e32 v26, 0x80000000, v27
	v_xor_b32_e32 v21, v33, v21
	v_xor_b32_e32 v25, v26, v25
	;; [unrolled: 1-line block ×3, first 2 shown]
	v_cmp_le_u64_e32 vcc, v[20:21], v[24:25]
	s_and_b64 s[26:27], vcc, exec
.LBB1142_202:
	s_or_b64 exec, exec, s[22:23]
	s_orn2_b64 s[22:23], s[26:27], exec
.LBB1142_203:
	s_or_b64 exec, exec, s[24:25]
	v_cndmask_b32_e64 v20, v30, v32, s[22:23]
	v_cndmask_b32_e64 v21, v34, v31, s[22:23]
	v_add_u32_e32 v33, 1, v20
	v_add_u32_e32 v21, -1, v21
	v_min_u32_e32 v21, v33, v21
	v_lshl_add_u32 v21, v21, 3, v29
	ds_read_b64 v[26:27], v21
	v_lshl_add_u32 v20, v20, 3, v28
	ds_read_b64 v[20:21], v20
	v_cndmask_b32_e64 v29, v33, v30, s[22:23]
	v_cndmask_b32_e64 v30, v32, v33, s[22:23]
	s_waitcnt lgkmcnt(1)
	v_cndmask_b32_e64 v25, v27, v15, s[22:23]
	v_cndmask_b32_e64 v24, v26, v14, s[22:23]
	;; [unrolled: 1-line block ×4, first 2 shown]
	v_cmp_lt_u32_e32 vcc, v29, v34
	s_mov_b64 s[26:27], -1
	s_and_saveexec_b64 s[24:25], vcc
	s_cbranch_execz .LBB1142_207
; %bb.204:
	v_cmp_lt_u32_e32 vcc, v30, v31
	s_mov_b64 s[28:29], 0
	s_and_saveexec_b64 s[26:27], vcc
	s_cbranch_execz .LBB1142_206
; %bb.205:
	v_add_f64 v[31:32], v[24:25], 0
	v_add_f64 v[33:34], v[26:27], 0
	v_ashrrev_i32_e32 v35, 31, v32
	v_ashrrev_i32_e32 v36, 31, v34
	v_or_b32_e32 v37, 0x80000000, v35
	v_xor_b32_e32 v31, v35, v31
	v_or_b32_e32 v35, 0x80000000, v36
	v_xor_b32_e32 v32, v37, v32
	v_xor_b32_e32 v34, v35, v34
	;; [unrolled: 1-line block ×3, first 2 shown]
	v_cmp_le_u64_e32 vcc, v[31:32], v[33:34]
	s_and_b64 s[28:29], vcc, exec
.LBB1142_206:
	s_or_b64 exec, exec, s[26:27]
	s_orn2_b64 s[26:27], s[28:29], exec
.LBB1142_207:
	s_or_b64 exec, exec, s[24:25]
	v_cndmask_b32_e64 v2, v2, v8, s[8:9]
	v_cndmask_b32_e64 v8, v29, v30, s[26:27]
	v_lshl_add_u32 v8, v8, 3, v28
	v_cndmask_b32_e64 v33, v15, v23, s[22:23]
	v_cndmask_b32_e64 v32, v14, v22, s[22:23]
	ds_read_b64 v[22:23], v8
	v_cndmask_b32_e64 v3, v3, v9, s[8:9]
	v_cndmask_b32_e64 v9, v7, v1, s[20:21]
	;; [unrolled: 1-line block ×5, first 2 shown]
.LBB1142_208:
	s_or_b64 exec, exec, s[12:13]
	v_add_co_u32_e32 v4, vcc, v4, v12
	v_addc_co_u32_e32 v5, vcc, v5, v13, vcc
	v_add_co_u32_e32 v4, vcc, v4, v50
	v_addc_co_u32_e32 v5, vcc, 0, v5, vcc
	; wave barrier
	s_waitcnt lgkmcnt(0)
	s_barrier
	; wave barrier
	s_and_saveexec_b64 s[8:9], s[4:5]
	s_cbranch_execnz .LBB1142_230
; %bb.209:
	s_or_b64 exec, exec, s[8:9]
	s_and_saveexec_b64 s[8:9], s[6:7]
	s_cbranch_execnz .LBB1142_231
.LBB1142_210:
	s_or_b64 exec, exec, s[8:9]
	s_and_saveexec_b64 s[8:9], s[10:11]
	s_cbranch_execnz .LBB1142_232
.LBB1142_211:
	s_or_b64 exec, exec, s[8:9]
	s_and_saveexec_b64 s[8:9], s[14:15]
	s_cbranch_execz .LBB1142_213
.LBB1142_212:
	flat_store_dwordx2 v[4:5], v[0:1] offset:24
.LBB1142_213:
	s_or_b64 exec, exec, s[8:9]
	v_add_co_u32_e32 v0, vcc, v10, v12
	v_addc_co_u32_e32 v1, vcc, v11, v13, vcc
	v_add_co_u32_e32 v0, vcc, v0, v50
	v_addc_co_u32_e32 v1, vcc, 0, v1, vcc
	; wave barrier
	s_and_saveexec_b64 s[8:9], s[4:5]
	s_cbranch_execnz .LBB1142_233
; %bb.214:
	s_or_b64 exec, exec, s[8:9]
	s_and_saveexec_b64 s[4:5], s[6:7]
	s_cbranch_execnz .LBB1142_234
.LBB1142_215:
	s_or_b64 exec, exec, s[4:5]
	s_and_saveexec_b64 s[4:5], s[10:11]
	s_cbranch_execz .LBB1142_217
.LBB1142_216:
	flat_store_dwordx2 v[0:1], v[20:21] offset:16
.LBB1142_217:
	s_or_b64 exec, exec, s[4:5]
	s_andn2_b64 s[4:5], s[16:17], exec
	s_and_b64 s[6:7], s[14:15], exec
	v_mov_b32_e32 v8, v10
	s_or_b64 s[16:17], s[4:5], s[6:7]
	v_mov_b32_e32 v9, v11
	s_or_b64 exec, exec, s[18:19]
	s_and_saveexec_b64 s[4:5], s[16:17]
	s_cbranch_execz .LBB1142_3
.LBB1142_218:
	v_add_co_u32_e32 v0, vcc, v8, v12
	v_addc_co_u32_e32 v1, vcc, v9, v13, vcc
	v_add_co_u32_e32 v0, vcc, v0, v50
	v_addc_co_u32_e32 v1, vcc, 0, v1, vcc
	flat_store_dwordx2 v[0:1], v[22:23] offset:24
	s_or_b64 exec, exec, s[4:5]
	s_waitcnt vmcnt(0) lgkmcnt(0)
	s_setpc_b64 s[30:31]
.LBB1142_219:
	flat_load_dwordx2 v[17:18], v[6:7]
	v_mov_b32_e32 v19, v16
	v_mov_b32_e32 v20, v16
	;; [unrolled: 1-line block ×6, first 2 shown]
	s_waitcnt vmcnt(0) lgkmcnt(0)
	v_mov_b32_e32 v16, v17
	v_mov_b32_e32 v17, v18
	;; [unrolled: 1-line block ×8, first 2 shown]
	s_or_b64 exec, exec, s[16:17]
	s_and_saveexec_b64 s[16:17], s[6:7]
	s_cbranch_execz .LBB1142_14
.LBB1142_220:
	flat_load_dwordx2 v[18:19], v[6:7] offset:8
	s_or_b64 exec, exec, s[16:17]
	s_and_saveexec_b64 s[16:17], s[10:11]
	s_cbranch_execz .LBB1142_15
.LBB1142_221:
	flat_load_dwordx2 v[20:21], v[6:7] offset:16
	s_or_b64 exec, exec, s[16:17]
	s_and_saveexec_b64 s[16:17], s[14:15]
	s_cbranch_execnz .LBB1142_16
	s_branch .LBB1142_17
.LBB1142_222:
	flat_store_dwordx2 v[2:3], v[10:11]
	s_or_b64 exec, exec, s[16:17]
	s_and_saveexec_b64 s[16:17], s[6:7]
	s_cbranch_execz .LBB1142_103
.LBB1142_223:
	flat_store_dwordx2 v[2:3], v[4:5] offset:8
	s_or_b64 exec, exec, s[16:17]
	s_and_saveexec_b64 s[16:17], s[10:11]
	s_cbranch_execz .LBB1142_104
.LBB1142_224:
	flat_store_dwordx2 v[2:3], v[32:33] offset:16
	s_or_b64 exec, exec, s[16:17]
	s_and_saveexec_b64 s[16:17], s[14:15]
	s_cbranch_execnz .LBB1142_105
	s_branch .LBB1142_106
.LBB1142_225:
	flat_store_dwordx2 v[0:1], v[16:17]
	s_or_b64 exec, exec, s[16:17]
	s_and_saveexec_b64 s[16:17], s[6:7]
	s_cbranch_execz .LBB1142_108
.LBB1142_226:
	flat_store_dwordx2 v[0:1], v[18:19] offset:8
	s_or_b64 exec, exec, s[16:17]
	s_and_saveexec_b64 s[6:7], s[10:11]
	s_cbranch_execnz .LBB1142_109
	s_branch .LBB1142_110
.LBB1142_227:
	flat_load_dwordx2 v[17:18], v[6:7]
	v_mov_b32_e32 v19, v16
	v_mov_b32_e32 v20, v16
	;; [unrolled: 1-line block ×6, first 2 shown]
	s_waitcnt vmcnt(0) lgkmcnt(0)
	v_mov_b32_e32 v16, v17
	v_mov_b32_e32 v17, v18
	;; [unrolled: 1-line block ×8, first 2 shown]
	s_or_b64 exec, exec, s[20:21]
	s_and_saveexec_b64 s[20:21], s[6:7]
	s_cbranch_execz .LBB1142_121
.LBB1142_228:
	flat_load_dwordx2 v[18:19], v[6:7] offset:8
	s_or_b64 exec, exec, s[20:21]
	s_and_saveexec_b64 s[20:21], s[10:11]
	s_cbranch_execz .LBB1142_122
.LBB1142_229:
	flat_load_dwordx2 v[20:21], v[6:7] offset:16
	s_or_b64 exec, exec, s[20:21]
	s_and_saveexec_b64 s[20:21], s[14:15]
	s_cbranch_execnz .LBB1142_123
	s_branch .LBB1142_124
.LBB1142_230:
	flat_store_dwordx2 v[4:5], v[8:9]
	s_or_b64 exec, exec, s[8:9]
	s_and_saveexec_b64 s[8:9], s[6:7]
	s_cbranch_execz .LBB1142_210
.LBB1142_231:
	flat_store_dwordx2 v[4:5], v[2:3] offset:8
	s_or_b64 exec, exec, s[8:9]
	s_and_saveexec_b64 s[8:9], s[10:11]
	s_cbranch_execz .LBB1142_211
.LBB1142_232:
	flat_store_dwordx2 v[4:5], v[32:33] offset:16
	s_or_b64 exec, exec, s[8:9]
	s_and_saveexec_b64 s[8:9], s[14:15]
	s_cbranch_execnz .LBB1142_212
	s_branch .LBB1142_213
.LBB1142_233:
	flat_store_dwordx2 v[0:1], v[16:17]
	s_or_b64 exec, exec, s[8:9]
	s_and_saveexec_b64 s[4:5], s[6:7]
	s_cbranch_execz .LBB1142_215
.LBB1142_234:
	flat_store_dwordx2 v[0:1], v[18:19] offset:8
	s_or_b64 exec, exec, s[4:5]
	s_and_saveexec_b64 s[4:5], s[10:11]
	s_cbranch_execnz .LBB1142_216
	s_branch .LBB1142_217
.Lfunc_end1142:
	.size	_ZN7rocprim17ROCPRIM_400000_NS6detail26segmented_warp_sort_helperINS1_20WarpSortHelperConfigILj8ELj4ELj256EEEdlLi256ELb1EvE4sortIPKdPdPKlPlEEvT_S9_T0_T1_SC_T2_bjjjjRNS5_12storage_typeE, .Lfunc_end1142-_ZN7rocprim17ROCPRIM_400000_NS6detail26segmented_warp_sort_helperINS1_20WarpSortHelperConfigILj8ELj4ELj256EEEdlLi256ELb1EvE4sortIPKdPdPKlPlEEvT_S9_T0_T1_SC_T2_bjjjjRNS5_12storage_typeE
                                        ; -- End function
	.set .L_ZN7rocprim17ROCPRIM_400000_NS6detail26segmented_warp_sort_helperINS1_20WarpSortHelperConfigILj8ELj4ELj256EEEdlLi256ELb1EvE4sortIPKdPdPKlPlEEvT_S9_T0_T1_SC_T2_bjjjjRNS5_12storage_typeE.num_vgpr, 69
	.set .L_ZN7rocprim17ROCPRIM_400000_NS6detail26segmented_warp_sort_helperINS1_20WarpSortHelperConfigILj8ELj4ELj256EEEdlLi256ELb1EvE4sortIPKdPdPKlPlEEvT_S9_T0_T1_SC_T2_bjjjjRNS5_12storage_typeE.num_agpr, 0
	.set .L_ZN7rocprim17ROCPRIM_400000_NS6detail26segmented_warp_sort_helperINS1_20WarpSortHelperConfigILj8ELj4ELj256EEEdlLi256ELb1EvE4sortIPKdPdPKlPlEEvT_S9_T0_T1_SC_T2_bjjjjRNS5_12storage_typeE.numbered_sgpr, 42
	.set .L_ZN7rocprim17ROCPRIM_400000_NS6detail26segmented_warp_sort_helperINS1_20WarpSortHelperConfigILj8ELj4ELj256EEEdlLi256ELb1EvE4sortIPKdPdPKlPlEEvT_S9_T0_T1_SC_T2_bjjjjRNS5_12storage_typeE.num_named_barrier, 0
	.set .L_ZN7rocprim17ROCPRIM_400000_NS6detail26segmented_warp_sort_helperINS1_20WarpSortHelperConfigILj8ELj4ELj256EEEdlLi256ELb1EvE4sortIPKdPdPKlPlEEvT_S9_T0_T1_SC_T2_bjjjjRNS5_12storage_typeE.private_seg_size, 0
	.set .L_ZN7rocprim17ROCPRIM_400000_NS6detail26segmented_warp_sort_helperINS1_20WarpSortHelperConfigILj8ELj4ELj256EEEdlLi256ELb1EvE4sortIPKdPdPKlPlEEvT_S9_T0_T1_SC_T2_bjjjjRNS5_12storage_typeE.uses_vcc, 1
	.set .L_ZN7rocprim17ROCPRIM_400000_NS6detail26segmented_warp_sort_helperINS1_20WarpSortHelperConfigILj8ELj4ELj256EEEdlLi256ELb1EvE4sortIPKdPdPKlPlEEvT_S9_T0_T1_SC_T2_bjjjjRNS5_12storage_typeE.uses_flat_scratch, 0
	.set .L_ZN7rocprim17ROCPRIM_400000_NS6detail26segmented_warp_sort_helperINS1_20WarpSortHelperConfigILj8ELj4ELj256EEEdlLi256ELb1EvE4sortIPKdPdPKlPlEEvT_S9_T0_T1_SC_T2_bjjjjRNS5_12storage_typeE.has_dyn_sized_stack, 0
	.set .L_ZN7rocprim17ROCPRIM_400000_NS6detail26segmented_warp_sort_helperINS1_20WarpSortHelperConfigILj8ELj4ELj256EEEdlLi256ELb1EvE4sortIPKdPdPKlPlEEvT_S9_T0_T1_SC_T2_bjjjjRNS5_12storage_typeE.has_recursion, 0
	.set .L_ZN7rocprim17ROCPRIM_400000_NS6detail26segmented_warp_sort_helperINS1_20WarpSortHelperConfigILj8ELj4ELj256EEEdlLi256ELb1EvE4sortIPKdPdPKlPlEEvT_S9_T0_T1_SC_T2_bjjjjRNS5_12storage_typeE.has_indirect_call, 0
	.section	.AMDGPU.csdata,"",@progbits
; Function info:
; codeLenInByte = 10920
; TotalNumSgprs: 46
; NumVgprs: 69
; ScratchSize: 0
; MemoryBound: 1
	.section	.text._ZN7rocprim17ROCPRIM_400000_NS6detail17trampoline_kernelINS0_14default_configENS1_36segmented_radix_sort_config_selectorIdlEEZNS1_25segmented_radix_sort_implIS3_Lb1EPKdPdPKlPlN2at6native12_GLOBAL__N_18offset_tEEE10hipError_tPvRmT1_PNSt15iterator_traitsISK_E10value_typeET2_T3_PNSL_ISQ_E10value_typeET4_jRbjT5_SW_jjP12ihipStream_tbEUlT_E1_NS1_11comp_targetILNS1_3genE2ELNS1_11target_archE906ELNS1_3gpuE6ELNS1_3repE0EEENS1_59segmented_radix_sort_warp_sort_small_config_static_selectorELNS0_4arch9wavefront6targetE1EEEvSK_,"axG",@progbits,_ZN7rocprim17ROCPRIM_400000_NS6detail17trampoline_kernelINS0_14default_configENS1_36segmented_radix_sort_config_selectorIdlEEZNS1_25segmented_radix_sort_implIS3_Lb1EPKdPdPKlPlN2at6native12_GLOBAL__N_18offset_tEEE10hipError_tPvRmT1_PNSt15iterator_traitsISK_E10value_typeET2_T3_PNSL_ISQ_E10value_typeET4_jRbjT5_SW_jjP12ihipStream_tbEUlT_E1_NS1_11comp_targetILNS1_3genE2ELNS1_11target_archE906ELNS1_3gpuE6ELNS1_3repE0EEENS1_59segmented_radix_sort_warp_sort_small_config_static_selectorELNS0_4arch9wavefront6targetE1EEEvSK_,comdat
	.globl	_ZN7rocprim17ROCPRIM_400000_NS6detail17trampoline_kernelINS0_14default_configENS1_36segmented_radix_sort_config_selectorIdlEEZNS1_25segmented_radix_sort_implIS3_Lb1EPKdPdPKlPlN2at6native12_GLOBAL__N_18offset_tEEE10hipError_tPvRmT1_PNSt15iterator_traitsISK_E10value_typeET2_T3_PNSL_ISQ_E10value_typeET4_jRbjT5_SW_jjP12ihipStream_tbEUlT_E1_NS1_11comp_targetILNS1_3genE2ELNS1_11target_archE906ELNS1_3gpuE6ELNS1_3repE0EEENS1_59segmented_radix_sort_warp_sort_small_config_static_selectorELNS0_4arch9wavefront6targetE1EEEvSK_ ; -- Begin function _ZN7rocprim17ROCPRIM_400000_NS6detail17trampoline_kernelINS0_14default_configENS1_36segmented_radix_sort_config_selectorIdlEEZNS1_25segmented_radix_sort_implIS3_Lb1EPKdPdPKlPlN2at6native12_GLOBAL__N_18offset_tEEE10hipError_tPvRmT1_PNSt15iterator_traitsISK_E10value_typeET2_T3_PNSL_ISQ_E10value_typeET4_jRbjT5_SW_jjP12ihipStream_tbEUlT_E1_NS1_11comp_targetILNS1_3genE2ELNS1_11target_archE906ELNS1_3gpuE6ELNS1_3repE0EEENS1_59segmented_radix_sort_warp_sort_small_config_static_selectorELNS0_4arch9wavefront6targetE1EEEvSK_
	.p2align	8
	.type	_ZN7rocprim17ROCPRIM_400000_NS6detail17trampoline_kernelINS0_14default_configENS1_36segmented_radix_sort_config_selectorIdlEEZNS1_25segmented_radix_sort_implIS3_Lb1EPKdPdPKlPlN2at6native12_GLOBAL__N_18offset_tEEE10hipError_tPvRmT1_PNSt15iterator_traitsISK_E10value_typeET2_T3_PNSL_ISQ_E10value_typeET4_jRbjT5_SW_jjP12ihipStream_tbEUlT_E1_NS1_11comp_targetILNS1_3genE2ELNS1_11target_archE906ELNS1_3gpuE6ELNS1_3repE0EEENS1_59segmented_radix_sort_warp_sort_small_config_static_selectorELNS0_4arch9wavefront6targetE1EEEvSK_,@function
_ZN7rocprim17ROCPRIM_400000_NS6detail17trampoline_kernelINS0_14default_configENS1_36segmented_radix_sort_config_selectorIdlEEZNS1_25segmented_radix_sort_implIS3_Lb1EPKdPdPKlPlN2at6native12_GLOBAL__N_18offset_tEEE10hipError_tPvRmT1_PNSt15iterator_traitsISK_E10value_typeET2_T3_PNSL_ISQ_E10value_typeET4_jRbjT5_SW_jjP12ihipStream_tbEUlT_E1_NS1_11comp_targetILNS1_3genE2ELNS1_11target_archE906ELNS1_3gpuE6ELNS1_3repE0EEENS1_59segmented_radix_sort_warp_sort_small_config_static_selectorELNS0_4arch9wavefront6targetE1EEEvSK_: ; @_ZN7rocprim17ROCPRIM_400000_NS6detail17trampoline_kernelINS0_14default_configENS1_36segmented_radix_sort_config_selectorIdlEEZNS1_25segmented_radix_sort_implIS3_Lb1EPKdPdPKlPlN2at6native12_GLOBAL__N_18offset_tEEE10hipError_tPvRmT1_PNSt15iterator_traitsISK_E10value_typeET2_T3_PNSL_ISQ_E10value_typeET4_jRbjT5_SW_jjP12ihipStream_tbEUlT_E1_NS1_11comp_targetILNS1_3genE2ELNS1_11target_archE906ELNS1_3gpuE6ELNS1_3repE0EEENS1_59segmented_radix_sort_warp_sort_small_config_static_selectorELNS0_4arch9wavefront6targetE1EEEvSK_
; %bb.0:
	s_add_u32 s0, s0, s8
	s_load_dword s8, s[4:5], 0x64
	s_addc_u32 s1, s1, 0
	s_mov_b32 s32, 0
	s_waitcnt lgkmcnt(0)
	s_lshr_b32 s9, s8, 16
	s_and_b32 s8, s8, 0xffff
	v_mad_u32_u24 v3, v2, s9, v1
	v_mad_u64_u32 v[3:4], s[8:9], v3, s8, v[0:1]
	s_load_dword s8, s[4:5], 0x34
	v_lshrrev_b32_e32 v3, 3, v3
	v_lshl_add_u32 v3, s6, 5, v3
	s_waitcnt lgkmcnt(0)
	v_cmp_gt_u32_e32 vcc, s8, v3
	s_and_saveexec_b64 s[8:9], vcc
	s_cbranch_execz .LBB1143_3
; %bb.1:
	s_load_dwordx2 s[12:13], s[4:5], 0x38
	s_load_dwordx4 s[8:11], s[4:5], 0x40
	v_mov_b32_e32 v4, 0
	v_lshlrev_b64 v[3:4], 2, v[3:4]
	s_waitcnt lgkmcnt(0)
	v_mov_b32_e32 v5, s13
	v_sub_co_u32_e32 v3, vcc, s12, v3
	v_subb_co_u32_e32 v4, vcc, v5, v4, vcc
	global_load_dword v3, v[3:4], off offset:-4
	s_waitcnt vmcnt(0)
	v_add_u32_e32 v4, s9, v3
	v_add_u32_e32 v3, s11, v3
	v_mul_lo_u32 v13, v4, s8
	v_mul_lo_u32 v14, v3, s10
	v_cmp_gt_u32_e32 vcc, v14, v13
	s_and_b64 exec, exec, vcc
	s_cbranch_execz .LBB1143_3
; %bb.2:
	s_load_dword s8, s[4:5], 0x30
	s_load_dwordx4 s[24:27], s[4:5], 0x20
	s_load_dwordx8 s[16:23], s[4:5], 0x0
	s_mov_b64 s[10:11], src_shared_base
	v_lshlrev_b32_e32 v2, 20, v2
	s_waitcnt lgkmcnt(0)
	s_and_b32 s10, s8, 0xff
	s_add_u32 s8, s4, 0x58
	s_addc_u32 s9, s5, 0
	v_lshlrev_b32_e32 v1, 10, v1
	s_getpc_b64 s[4:5]
	s_add_u32 s4, s4, _ZN7rocprim17ROCPRIM_400000_NS6detail26segmented_warp_sort_helperINS1_20WarpSortHelperConfigILj8ELj4ELj256EEEdlLi256ELb1EvE4sortIPKdPdPKlPlEEvT_S9_T0_T1_SC_T2_bjjjjRNS5_12storage_typeE@rel32@lo+4
	s_addc_u32 s5, s5, _ZN7rocprim17ROCPRIM_400000_NS6detail26segmented_warp_sort_helperINS1_20WarpSortHelperConfigILj8ELj4ELj256EEEdlLi256ELb1EvE4sortIPKdPdPKlPlEEvT_S9_T0_T1_SC_T2_bjjjjRNS5_12storage_typeE@rel32@hi+12
	v_or3_b32 v31, v0, v1, v2
	s_mov_b32 s12, s6
	s_mov_b32 s13, s7
	v_mov_b32_e32 v0, s16
	v_mov_b32_e32 v1, s17
	;; [unrolled: 1-line block ×15, first 2 shown]
	s_swappc_b64 s[30:31], s[4:5]
.LBB1143_3:
	s_endpgm
	.section	.rodata,"a",@progbits
	.p2align	6, 0x0
	.amdhsa_kernel _ZN7rocprim17ROCPRIM_400000_NS6detail17trampoline_kernelINS0_14default_configENS1_36segmented_radix_sort_config_selectorIdlEEZNS1_25segmented_radix_sort_implIS3_Lb1EPKdPdPKlPlN2at6native12_GLOBAL__N_18offset_tEEE10hipError_tPvRmT1_PNSt15iterator_traitsISK_E10value_typeET2_T3_PNSL_ISQ_E10value_typeET4_jRbjT5_SW_jjP12ihipStream_tbEUlT_E1_NS1_11comp_targetILNS1_3genE2ELNS1_11target_archE906ELNS1_3gpuE6ELNS1_3repE0EEENS1_59segmented_radix_sort_warp_sort_small_config_static_selectorELNS0_4arch9wavefront6targetE1EEEvSK_
		.amdhsa_group_segment_fixed_size 16384
		.amdhsa_private_segment_fixed_size 0
		.amdhsa_kernarg_size 344
		.amdhsa_user_sgpr_count 6
		.amdhsa_user_sgpr_private_segment_buffer 1
		.amdhsa_user_sgpr_dispatch_ptr 0
		.amdhsa_user_sgpr_queue_ptr 0
		.amdhsa_user_sgpr_kernarg_segment_ptr 1
		.amdhsa_user_sgpr_dispatch_id 0
		.amdhsa_user_sgpr_flat_scratch_init 0
		.amdhsa_user_sgpr_private_segment_size 0
		.amdhsa_uses_dynamic_stack 0
		.amdhsa_system_sgpr_private_segment_wavefront_offset 0
		.amdhsa_system_sgpr_workgroup_id_x 1
		.amdhsa_system_sgpr_workgroup_id_y 1
		.amdhsa_system_sgpr_workgroup_id_z 0
		.amdhsa_system_sgpr_workgroup_info 0
		.amdhsa_system_vgpr_workitem_id 2
		.amdhsa_next_free_vgpr 69
		.amdhsa_next_free_sgpr 98
		.amdhsa_reserve_vcc 1
		.amdhsa_reserve_flat_scratch 0
		.amdhsa_float_round_mode_32 0
		.amdhsa_float_round_mode_16_64 0
		.amdhsa_float_denorm_mode_32 3
		.amdhsa_float_denorm_mode_16_64 3
		.amdhsa_dx10_clamp 1
		.amdhsa_ieee_mode 1
		.amdhsa_fp16_overflow 0
		.amdhsa_exception_fp_ieee_invalid_op 0
		.amdhsa_exception_fp_denorm_src 0
		.amdhsa_exception_fp_ieee_div_zero 0
		.amdhsa_exception_fp_ieee_overflow 0
		.amdhsa_exception_fp_ieee_underflow 0
		.amdhsa_exception_fp_ieee_inexact 0
		.amdhsa_exception_int_div_zero 0
	.end_amdhsa_kernel
	.section	.text._ZN7rocprim17ROCPRIM_400000_NS6detail17trampoline_kernelINS0_14default_configENS1_36segmented_radix_sort_config_selectorIdlEEZNS1_25segmented_radix_sort_implIS3_Lb1EPKdPdPKlPlN2at6native12_GLOBAL__N_18offset_tEEE10hipError_tPvRmT1_PNSt15iterator_traitsISK_E10value_typeET2_T3_PNSL_ISQ_E10value_typeET4_jRbjT5_SW_jjP12ihipStream_tbEUlT_E1_NS1_11comp_targetILNS1_3genE2ELNS1_11target_archE906ELNS1_3gpuE6ELNS1_3repE0EEENS1_59segmented_radix_sort_warp_sort_small_config_static_selectorELNS0_4arch9wavefront6targetE1EEEvSK_,"axG",@progbits,_ZN7rocprim17ROCPRIM_400000_NS6detail17trampoline_kernelINS0_14default_configENS1_36segmented_radix_sort_config_selectorIdlEEZNS1_25segmented_radix_sort_implIS3_Lb1EPKdPdPKlPlN2at6native12_GLOBAL__N_18offset_tEEE10hipError_tPvRmT1_PNSt15iterator_traitsISK_E10value_typeET2_T3_PNSL_ISQ_E10value_typeET4_jRbjT5_SW_jjP12ihipStream_tbEUlT_E1_NS1_11comp_targetILNS1_3genE2ELNS1_11target_archE906ELNS1_3gpuE6ELNS1_3repE0EEENS1_59segmented_radix_sort_warp_sort_small_config_static_selectorELNS0_4arch9wavefront6targetE1EEEvSK_,comdat
.Lfunc_end1143:
	.size	_ZN7rocprim17ROCPRIM_400000_NS6detail17trampoline_kernelINS0_14default_configENS1_36segmented_radix_sort_config_selectorIdlEEZNS1_25segmented_radix_sort_implIS3_Lb1EPKdPdPKlPlN2at6native12_GLOBAL__N_18offset_tEEE10hipError_tPvRmT1_PNSt15iterator_traitsISK_E10value_typeET2_T3_PNSL_ISQ_E10value_typeET4_jRbjT5_SW_jjP12ihipStream_tbEUlT_E1_NS1_11comp_targetILNS1_3genE2ELNS1_11target_archE906ELNS1_3gpuE6ELNS1_3repE0EEENS1_59segmented_radix_sort_warp_sort_small_config_static_selectorELNS0_4arch9wavefront6targetE1EEEvSK_, .Lfunc_end1143-_ZN7rocprim17ROCPRIM_400000_NS6detail17trampoline_kernelINS0_14default_configENS1_36segmented_radix_sort_config_selectorIdlEEZNS1_25segmented_radix_sort_implIS3_Lb1EPKdPdPKlPlN2at6native12_GLOBAL__N_18offset_tEEE10hipError_tPvRmT1_PNSt15iterator_traitsISK_E10value_typeET2_T3_PNSL_ISQ_E10value_typeET4_jRbjT5_SW_jjP12ihipStream_tbEUlT_E1_NS1_11comp_targetILNS1_3genE2ELNS1_11target_archE906ELNS1_3gpuE6ELNS1_3repE0EEENS1_59segmented_radix_sort_warp_sort_small_config_static_selectorELNS0_4arch9wavefront6targetE1EEEvSK_
                                        ; -- End function
	.set _ZN7rocprim17ROCPRIM_400000_NS6detail17trampoline_kernelINS0_14default_configENS1_36segmented_radix_sort_config_selectorIdlEEZNS1_25segmented_radix_sort_implIS3_Lb1EPKdPdPKlPlN2at6native12_GLOBAL__N_18offset_tEEE10hipError_tPvRmT1_PNSt15iterator_traitsISK_E10value_typeET2_T3_PNSL_ISQ_E10value_typeET4_jRbjT5_SW_jjP12ihipStream_tbEUlT_E1_NS1_11comp_targetILNS1_3genE2ELNS1_11target_archE906ELNS1_3gpuE6ELNS1_3repE0EEENS1_59segmented_radix_sort_warp_sort_small_config_static_selectorELNS0_4arch9wavefront6targetE1EEEvSK_.num_vgpr, max(32, .L_ZN7rocprim17ROCPRIM_400000_NS6detail26segmented_warp_sort_helperINS1_20WarpSortHelperConfigILj8ELj4ELj256EEEdlLi256ELb1EvE4sortIPKdPdPKlPlEEvT_S9_T0_T1_SC_T2_bjjjjRNS5_12storage_typeE.num_vgpr)
	.set _ZN7rocprim17ROCPRIM_400000_NS6detail17trampoline_kernelINS0_14default_configENS1_36segmented_radix_sort_config_selectorIdlEEZNS1_25segmented_radix_sort_implIS3_Lb1EPKdPdPKlPlN2at6native12_GLOBAL__N_18offset_tEEE10hipError_tPvRmT1_PNSt15iterator_traitsISK_E10value_typeET2_T3_PNSL_ISQ_E10value_typeET4_jRbjT5_SW_jjP12ihipStream_tbEUlT_E1_NS1_11comp_targetILNS1_3genE2ELNS1_11target_archE906ELNS1_3gpuE6ELNS1_3repE0EEENS1_59segmented_radix_sort_warp_sort_small_config_static_selectorELNS0_4arch9wavefront6targetE1EEEvSK_.num_agpr, max(0, .L_ZN7rocprim17ROCPRIM_400000_NS6detail26segmented_warp_sort_helperINS1_20WarpSortHelperConfigILj8ELj4ELj256EEEdlLi256ELb1EvE4sortIPKdPdPKlPlEEvT_S9_T0_T1_SC_T2_bjjjjRNS5_12storage_typeE.num_agpr)
	.set _ZN7rocprim17ROCPRIM_400000_NS6detail17trampoline_kernelINS0_14default_configENS1_36segmented_radix_sort_config_selectorIdlEEZNS1_25segmented_radix_sort_implIS3_Lb1EPKdPdPKlPlN2at6native12_GLOBAL__N_18offset_tEEE10hipError_tPvRmT1_PNSt15iterator_traitsISK_E10value_typeET2_T3_PNSL_ISQ_E10value_typeET4_jRbjT5_SW_jjP12ihipStream_tbEUlT_E1_NS1_11comp_targetILNS1_3genE2ELNS1_11target_archE906ELNS1_3gpuE6ELNS1_3repE0EEENS1_59segmented_radix_sort_warp_sort_small_config_static_selectorELNS0_4arch9wavefront6targetE1EEEvSK_.numbered_sgpr, max(33, .L_ZN7rocprim17ROCPRIM_400000_NS6detail26segmented_warp_sort_helperINS1_20WarpSortHelperConfigILj8ELj4ELj256EEEdlLi256ELb1EvE4sortIPKdPdPKlPlEEvT_S9_T0_T1_SC_T2_bjjjjRNS5_12storage_typeE.numbered_sgpr)
	.set _ZN7rocprim17ROCPRIM_400000_NS6detail17trampoline_kernelINS0_14default_configENS1_36segmented_radix_sort_config_selectorIdlEEZNS1_25segmented_radix_sort_implIS3_Lb1EPKdPdPKlPlN2at6native12_GLOBAL__N_18offset_tEEE10hipError_tPvRmT1_PNSt15iterator_traitsISK_E10value_typeET2_T3_PNSL_ISQ_E10value_typeET4_jRbjT5_SW_jjP12ihipStream_tbEUlT_E1_NS1_11comp_targetILNS1_3genE2ELNS1_11target_archE906ELNS1_3gpuE6ELNS1_3repE0EEENS1_59segmented_radix_sort_warp_sort_small_config_static_selectorELNS0_4arch9wavefront6targetE1EEEvSK_.num_named_barrier, max(0, .L_ZN7rocprim17ROCPRIM_400000_NS6detail26segmented_warp_sort_helperINS1_20WarpSortHelperConfigILj8ELj4ELj256EEEdlLi256ELb1EvE4sortIPKdPdPKlPlEEvT_S9_T0_T1_SC_T2_bjjjjRNS5_12storage_typeE.num_named_barrier)
	.set _ZN7rocprim17ROCPRIM_400000_NS6detail17trampoline_kernelINS0_14default_configENS1_36segmented_radix_sort_config_selectorIdlEEZNS1_25segmented_radix_sort_implIS3_Lb1EPKdPdPKlPlN2at6native12_GLOBAL__N_18offset_tEEE10hipError_tPvRmT1_PNSt15iterator_traitsISK_E10value_typeET2_T3_PNSL_ISQ_E10value_typeET4_jRbjT5_SW_jjP12ihipStream_tbEUlT_E1_NS1_11comp_targetILNS1_3genE2ELNS1_11target_archE906ELNS1_3gpuE6ELNS1_3repE0EEENS1_59segmented_radix_sort_warp_sort_small_config_static_selectorELNS0_4arch9wavefront6targetE1EEEvSK_.private_seg_size, 0+max(.L_ZN7rocprim17ROCPRIM_400000_NS6detail26segmented_warp_sort_helperINS1_20WarpSortHelperConfigILj8ELj4ELj256EEEdlLi256ELb1EvE4sortIPKdPdPKlPlEEvT_S9_T0_T1_SC_T2_bjjjjRNS5_12storage_typeE.private_seg_size)
	.set _ZN7rocprim17ROCPRIM_400000_NS6detail17trampoline_kernelINS0_14default_configENS1_36segmented_radix_sort_config_selectorIdlEEZNS1_25segmented_radix_sort_implIS3_Lb1EPKdPdPKlPlN2at6native12_GLOBAL__N_18offset_tEEE10hipError_tPvRmT1_PNSt15iterator_traitsISK_E10value_typeET2_T3_PNSL_ISQ_E10value_typeET4_jRbjT5_SW_jjP12ihipStream_tbEUlT_E1_NS1_11comp_targetILNS1_3genE2ELNS1_11target_archE906ELNS1_3gpuE6ELNS1_3repE0EEENS1_59segmented_radix_sort_warp_sort_small_config_static_selectorELNS0_4arch9wavefront6targetE1EEEvSK_.uses_vcc, or(1, .L_ZN7rocprim17ROCPRIM_400000_NS6detail26segmented_warp_sort_helperINS1_20WarpSortHelperConfigILj8ELj4ELj256EEEdlLi256ELb1EvE4sortIPKdPdPKlPlEEvT_S9_T0_T1_SC_T2_bjjjjRNS5_12storage_typeE.uses_vcc)
	.set _ZN7rocprim17ROCPRIM_400000_NS6detail17trampoline_kernelINS0_14default_configENS1_36segmented_radix_sort_config_selectorIdlEEZNS1_25segmented_radix_sort_implIS3_Lb1EPKdPdPKlPlN2at6native12_GLOBAL__N_18offset_tEEE10hipError_tPvRmT1_PNSt15iterator_traitsISK_E10value_typeET2_T3_PNSL_ISQ_E10value_typeET4_jRbjT5_SW_jjP12ihipStream_tbEUlT_E1_NS1_11comp_targetILNS1_3genE2ELNS1_11target_archE906ELNS1_3gpuE6ELNS1_3repE0EEENS1_59segmented_radix_sort_warp_sort_small_config_static_selectorELNS0_4arch9wavefront6targetE1EEEvSK_.uses_flat_scratch, or(0, .L_ZN7rocprim17ROCPRIM_400000_NS6detail26segmented_warp_sort_helperINS1_20WarpSortHelperConfigILj8ELj4ELj256EEEdlLi256ELb1EvE4sortIPKdPdPKlPlEEvT_S9_T0_T1_SC_T2_bjjjjRNS5_12storage_typeE.uses_flat_scratch)
	.set _ZN7rocprim17ROCPRIM_400000_NS6detail17trampoline_kernelINS0_14default_configENS1_36segmented_radix_sort_config_selectorIdlEEZNS1_25segmented_radix_sort_implIS3_Lb1EPKdPdPKlPlN2at6native12_GLOBAL__N_18offset_tEEE10hipError_tPvRmT1_PNSt15iterator_traitsISK_E10value_typeET2_T3_PNSL_ISQ_E10value_typeET4_jRbjT5_SW_jjP12ihipStream_tbEUlT_E1_NS1_11comp_targetILNS1_3genE2ELNS1_11target_archE906ELNS1_3gpuE6ELNS1_3repE0EEENS1_59segmented_radix_sort_warp_sort_small_config_static_selectorELNS0_4arch9wavefront6targetE1EEEvSK_.has_dyn_sized_stack, or(0, .L_ZN7rocprim17ROCPRIM_400000_NS6detail26segmented_warp_sort_helperINS1_20WarpSortHelperConfigILj8ELj4ELj256EEEdlLi256ELb1EvE4sortIPKdPdPKlPlEEvT_S9_T0_T1_SC_T2_bjjjjRNS5_12storage_typeE.has_dyn_sized_stack)
	.set _ZN7rocprim17ROCPRIM_400000_NS6detail17trampoline_kernelINS0_14default_configENS1_36segmented_radix_sort_config_selectorIdlEEZNS1_25segmented_radix_sort_implIS3_Lb1EPKdPdPKlPlN2at6native12_GLOBAL__N_18offset_tEEE10hipError_tPvRmT1_PNSt15iterator_traitsISK_E10value_typeET2_T3_PNSL_ISQ_E10value_typeET4_jRbjT5_SW_jjP12ihipStream_tbEUlT_E1_NS1_11comp_targetILNS1_3genE2ELNS1_11target_archE906ELNS1_3gpuE6ELNS1_3repE0EEENS1_59segmented_radix_sort_warp_sort_small_config_static_selectorELNS0_4arch9wavefront6targetE1EEEvSK_.has_recursion, or(0, .L_ZN7rocprim17ROCPRIM_400000_NS6detail26segmented_warp_sort_helperINS1_20WarpSortHelperConfigILj8ELj4ELj256EEEdlLi256ELb1EvE4sortIPKdPdPKlPlEEvT_S9_T0_T1_SC_T2_bjjjjRNS5_12storage_typeE.has_recursion)
	.set _ZN7rocprim17ROCPRIM_400000_NS6detail17trampoline_kernelINS0_14default_configENS1_36segmented_radix_sort_config_selectorIdlEEZNS1_25segmented_radix_sort_implIS3_Lb1EPKdPdPKlPlN2at6native12_GLOBAL__N_18offset_tEEE10hipError_tPvRmT1_PNSt15iterator_traitsISK_E10value_typeET2_T3_PNSL_ISQ_E10value_typeET4_jRbjT5_SW_jjP12ihipStream_tbEUlT_E1_NS1_11comp_targetILNS1_3genE2ELNS1_11target_archE906ELNS1_3gpuE6ELNS1_3repE0EEENS1_59segmented_radix_sort_warp_sort_small_config_static_selectorELNS0_4arch9wavefront6targetE1EEEvSK_.has_indirect_call, or(0, .L_ZN7rocprim17ROCPRIM_400000_NS6detail26segmented_warp_sort_helperINS1_20WarpSortHelperConfigILj8ELj4ELj256EEEdlLi256ELb1EvE4sortIPKdPdPKlPlEEvT_S9_T0_T1_SC_T2_bjjjjRNS5_12storage_typeE.has_indirect_call)
	.section	.AMDGPU.csdata,"",@progbits
; Kernel info:
; codeLenInByte = 344
; TotalNumSgprs: 46
; NumVgprs: 69
; ScratchSize: 0
; MemoryBound: 0
; FloatMode: 240
; IeeeMode: 1
; LDSByteSize: 16384 bytes/workgroup (compile time only)
; SGPRBlocks: 12
; VGPRBlocks: 17
; NumSGPRsForWavesPerEU: 102
; NumVGPRsForWavesPerEU: 69
; Occupancy: 3
; WaveLimiterHint : 0
; COMPUTE_PGM_RSRC2:SCRATCH_EN: 0
; COMPUTE_PGM_RSRC2:USER_SGPR: 6
; COMPUTE_PGM_RSRC2:TRAP_HANDLER: 0
; COMPUTE_PGM_RSRC2:TGID_X_EN: 1
; COMPUTE_PGM_RSRC2:TGID_Y_EN: 1
; COMPUTE_PGM_RSRC2:TGID_Z_EN: 0
; COMPUTE_PGM_RSRC2:TIDIG_COMP_CNT: 2
	.section	.text._ZN7rocprim17ROCPRIM_400000_NS6detail17trampoline_kernelINS0_14default_configENS1_36segmented_radix_sort_config_selectorIdlEEZNS1_25segmented_radix_sort_implIS3_Lb1EPKdPdPKlPlN2at6native12_GLOBAL__N_18offset_tEEE10hipError_tPvRmT1_PNSt15iterator_traitsISK_E10value_typeET2_T3_PNSL_ISQ_E10value_typeET4_jRbjT5_SW_jjP12ihipStream_tbEUlT_E1_NS1_11comp_targetILNS1_3genE10ELNS1_11target_archE1201ELNS1_3gpuE5ELNS1_3repE0EEENS1_59segmented_radix_sort_warp_sort_small_config_static_selectorELNS0_4arch9wavefront6targetE1EEEvSK_,"axG",@progbits,_ZN7rocprim17ROCPRIM_400000_NS6detail17trampoline_kernelINS0_14default_configENS1_36segmented_radix_sort_config_selectorIdlEEZNS1_25segmented_radix_sort_implIS3_Lb1EPKdPdPKlPlN2at6native12_GLOBAL__N_18offset_tEEE10hipError_tPvRmT1_PNSt15iterator_traitsISK_E10value_typeET2_T3_PNSL_ISQ_E10value_typeET4_jRbjT5_SW_jjP12ihipStream_tbEUlT_E1_NS1_11comp_targetILNS1_3genE10ELNS1_11target_archE1201ELNS1_3gpuE5ELNS1_3repE0EEENS1_59segmented_radix_sort_warp_sort_small_config_static_selectorELNS0_4arch9wavefront6targetE1EEEvSK_,comdat
	.globl	_ZN7rocprim17ROCPRIM_400000_NS6detail17trampoline_kernelINS0_14default_configENS1_36segmented_radix_sort_config_selectorIdlEEZNS1_25segmented_radix_sort_implIS3_Lb1EPKdPdPKlPlN2at6native12_GLOBAL__N_18offset_tEEE10hipError_tPvRmT1_PNSt15iterator_traitsISK_E10value_typeET2_T3_PNSL_ISQ_E10value_typeET4_jRbjT5_SW_jjP12ihipStream_tbEUlT_E1_NS1_11comp_targetILNS1_3genE10ELNS1_11target_archE1201ELNS1_3gpuE5ELNS1_3repE0EEENS1_59segmented_radix_sort_warp_sort_small_config_static_selectorELNS0_4arch9wavefront6targetE1EEEvSK_ ; -- Begin function _ZN7rocprim17ROCPRIM_400000_NS6detail17trampoline_kernelINS0_14default_configENS1_36segmented_radix_sort_config_selectorIdlEEZNS1_25segmented_radix_sort_implIS3_Lb1EPKdPdPKlPlN2at6native12_GLOBAL__N_18offset_tEEE10hipError_tPvRmT1_PNSt15iterator_traitsISK_E10value_typeET2_T3_PNSL_ISQ_E10value_typeET4_jRbjT5_SW_jjP12ihipStream_tbEUlT_E1_NS1_11comp_targetILNS1_3genE10ELNS1_11target_archE1201ELNS1_3gpuE5ELNS1_3repE0EEENS1_59segmented_radix_sort_warp_sort_small_config_static_selectorELNS0_4arch9wavefront6targetE1EEEvSK_
	.p2align	8
	.type	_ZN7rocprim17ROCPRIM_400000_NS6detail17trampoline_kernelINS0_14default_configENS1_36segmented_radix_sort_config_selectorIdlEEZNS1_25segmented_radix_sort_implIS3_Lb1EPKdPdPKlPlN2at6native12_GLOBAL__N_18offset_tEEE10hipError_tPvRmT1_PNSt15iterator_traitsISK_E10value_typeET2_T3_PNSL_ISQ_E10value_typeET4_jRbjT5_SW_jjP12ihipStream_tbEUlT_E1_NS1_11comp_targetILNS1_3genE10ELNS1_11target_archE1201ELNS1_3gpuE5ELNS1_3repE0EEENS1_59segmented_radix_sort_warp_sort_small_config_static_selectorELNS0_4arch9wavefront6targetE1EEEvSK_,@function
_ZN7rocprim17ROCPRIM_400000_NS6detail17trampoline_kernelINS0_14default_configENS1_36segmented_radix_sort_config_selectorIdlEEZNS1_25segmented_radix_sort_implIS3_Lb1EPKdPdPKlPlN2at6native12_GLOBAL__N_18offset_tEEE10hipError_tPvRmT1_PNSt15iterator_traitsISK_E10value_typeET2_T3_PNSL_ISQ_E10value_typeET4_jRbjT5_SW_jjP12ihipStream_tbEUlT_E1_NS1_11comp_targetILNS1_3genE10ELNS1_11target_archE1201ELNS1_3gpuE5ELNS1_3repE0EEENS1_59segmented_radix_sort_warp_sort_small_config_static_selectorELNS0_4arch9wavefront6targetE1EEEvSK_: ; @_ZN7rocprim17ROCPRIM_400000_NS6detail17trampoline_kernelINS0_14default_configENS1_36segmented_radix_sort_config_selectorIdlEEZNS1_25segmented_radix_sort_implIS3_Lb1EPKdPdPKlPlN2at6native12_GLOBAL__N_18offset_tEEE10hipError_tPvRmT1_PNSt15iterator_traitsISK_E10value_typeET2_T3_PNSL_ISQ_E10value_typeET4_jRbjT5_SW_jjP12ihipStream_tbEUlT_E1_NS1_11comp_targetILNS1_3genE10ELNS1_11target_archE1201ELNS1_3gpuE5ELNS1_3repE0EEENS1_59segmented_radix_sort_warp_sort_small_config_static_selectorELNS0_4arch9wavefront6targetE1EEEvSK_
; %bb.0:
	.section	.rodata,"a",@progbits
	.p2align	6, 0x0
	.amdhsa_kernel _ZN7rocprim17ROCPRIM_400000_NS6detail17trampoline_kernelINS0_14default_configENS1_36segmented_radix_sort_config_selectorIdlEEZNS1_25segmented_radix_sort_implIS3_Lb1EPKdPdPKlPlN2at6native12_GLOBAL__N_18offset_tEEE10hipError_tPvRmT1_PNSt15iterator_traitsISK_E10value_typeET2_T3_PNSL_ISQ_E10value_typeET4_jRbjT5_SW_jjP12ihipStream_tbEUlT_E1_NS1_11comp_targetILNS1_3genE10ELNS1_11target_archE1201ELNS1_3gpuE5ELNS1_3repE0EEENS1_59segmented_radix_sort_warp_sort_small_config_static_selectorELNS0_4arch9wavefront6targetE1EEEvSK_
		.amdhsa_group_segment_fixed_size 0
		.amdhsa_private_segment_fixed_size 0
		.amdhsa_kernarg_size 88
		.amdhsa_user_sgpr_count 6
		.amdhsa_user_sgpr_private_segment_buffer 1
		.amdhsa_user_sgpr_dispatch_ptr 0
		.amdhsa_user_sgpr_queue_ptr 0
		.amdhsa_user_sgpr_kernarg_segment_ptr 1
		.amdhsa_user_sgpr_dispatch_id 0
		.amdhsa_user_sgpr_flat_scratch_init 0
		.amdhsa_user_sgpr_private_segment_size 0
		.amdhsa_uses_dynamic_stack 0
		.amdhsa_system_sgpr_private_segment_wavefront_offset 0
		.amdhsa_system_sgpr_workgroup_id_x 1
		.amdhsa_system_sgpr_workgroup_id_y 0
		.amdhsa_system_sgpr_workgroup_id_z 0
		.amdhsa_system_sgpr_workgroup_info 0
		.amdhsa_system_vgpr_workitem_id 0
		.amdhsa_next_free_vgpr 1
		.amdhsa_next_free_sgpr 0
		.amdhsa_reserve_vcc 0
		.amdhsa_reserve_flat_scratch 0
		.amdhsa_float_round_mode_32 0
		.amdhsa_float_round_mode_16_64 0
		.amdhsa_float_denorm_mode_32 3
		.amdhsa_float_denorm_mode_16_64 3
		.amdhsa_dx10_clamp 1
		.amdhsa_ieee_mode 1
		.amdhsa_fp16_overflow 0
		.amdhsa_exception_fp_ieee_invalid_op 0
		.amdhsa_exception_fp_denorm_src 0
		.amdhsa_exception_fp_ieee_div_zero 0
		.amdhsa_exception_fp_ieee_overflow 0
		.amdhsa_exception_fp_ieee_underflow 0
		.amdhsa_exception_fp_ieee_inexact 0
		.amdhsa_exception_int_div_zero 0
	.end_amdhsa_kernel
	.section	.text._ZN7rocprim17ROCPRIM_400000_NS6detail17trampoline_kernelINS0_14default_configENS1_36segmented_radix_sort_config_selectorIdlEEZNS1_25segmented_radix_sort_implIS3_Lb1EPKdPdPKlPlN2at6native12_GLOBAL__N_18offset_tEEE10hipError_tPvRmT1_PNSt15iterator_traitsISK_E10value_typeET2_T3_PNSL_ISQ_E10value_typeET4_jRbjT5_SW_jjP12ihipStream_tbEUlT_E1_NS1_11comp_targetILNS1_3genE10ELNS1_11target_archE1201ELNS1_3gpuE5ELNS1_3repE0EEENS1_59segmented_radix_sort_warp_sort_small_config_static_selectorELNS0_4arch9wavefront6targetE1EEEvSK_,"axG",@progbits,_ZN7rocprim17ROCPRIM_400000_NS6detail17trampoline_kernelINS0_14default_configENS1_36segmented_radix_sort_config_selectorIdlEEZNS1_25segmented_radix_sort_implIS3_Lb1EPKdPdPKlPlN2at6native12_GLOBAL__N_18offset_tEEE10hipError_tPvRmT1_PNSt15iterator_traitsISK_E10value_typeET2_T3_PNSL_ISQ_E10value_typeET4_jRbjT5_SW_jjP12ihipStream_tbEUlT_E1_NS1_11comp_targetILNS1_3genE10ELNS1_11target_archE1201ELNS1_3gpuE5ELNS1_3repE0EEENS1_59segmented_radix_sort_warp_sort_small_config_static_selectorELNS0_4arch9wavefront6targetE1EEEvSK_,comdat
.Lfunc_end1144:
	.size	_ZN7rocprim17ROCPRIM_400000_NS6detail17trampoline_kernelINS0_14default_configENS1_36segmented_radix_sort_config_selectorIdlEEZNS1_25segmented_radix_sort_implIS3_Lb1EPKdPdPKlPlN2at6native12_GLOBAL__N_18offset_tEEE10hipError_tPvRmT1_PNSt15iterator_traitsISK_E10value_typeET2_T3_PNSL_ISQ_E10value_typeET4_jRbjT5_SW_jjP12ihipStream_tbEUlT_E1_NS1_11comp_targetILNS1_3genE10ELNS1_11target_archE1201ELNS1_3gpuE5ELNS1_3repE0EEENS1_59segmented_radix_sort_warp_sort_small_config_static_selectorELNS0_4arch9wavefront6targetE1EEEvSK_, .Lfunc_end1144-_ZN7rocprim17ROCPRIM_400000_NS6detail17trampoline_kernelINS0_14default_configENS1_36segmented_radix_sort_config_selectorIdlEEZNS1_25segmented_radix_sort_implIS3_Lb1EPKdPdPKlPlN2at6native12_GLOBAL__N_18offset_tEEE10hipError_tPvRmT1_PNSt15iterator_traitsISK_E10value_typeET2_T3_PNSL_ISQ_E10value_typeET4_jRbjT5_SW_jjP12ihipStream_tbEUlT_E1_NS1_11comp_targetILNS1_3genE10ELNS1_11target_archE1201ELNS1_3gpuE5ELNS1_3repE0EEENS1_59segmented_radix_sort_warp_sort_small_config_static_selectorELNS0_4arch9wavefront6targetE1EEEvSK_
                                        ; -- End function
	.set _ZN7rocprim17ROCPRIM_400000_NS6detail17trampoline_kernelINS0_14default_configENS1_36segmented_radix_sort_config_selectorIdlEEZNS1_25segmented_radix_sort_implIS3_Lb1EPKdPdPKlPlN2at6native12_GLOBAL__N_18offset_tEEE10hipError_tPvRmT1_PNSt15iterator_traitsISK_E10value_typeET2_T3_PNSL_ISQ_E10value_typeET4_jRbjT5_SW_jjP12ihipStream_tbEUlT_E1_NS1_11comp_targetILNS1_3genE10ELNS1_11target_archE1201ELNS1_3gpuE5ELNS1_3repE0EEENS1_59segmented_radix_sort_warp_sort_small_config_static_selectorELNS0_4arch9wavefront6targetE1EEEvSK_.num_vgpr, 0
	.set _ZN7rocprim17ROCPRIM_400000_NS6detail17trampoline_kernelINS0_14default_configENS1_36segmented_radix_sort_config_selectorIdlEEZNS1_25segmented_radix_sort_implIS3_Lb1EPKdPdPKlPlN2at6native12_GLOBAL__N_18offset_tEEE10hipError_tPvRmT1_PNSt15iterator_traitsISK_E10value_typeET2_T3_PNSL_ISQ_E10value_typeET4_jRbjT5_SW_jjP12ihipStream_tbEUlT_E1_NS1_11comp_targetILNS1_3genE10ELNS1_11target_archE1201ELNS1_3gpuE5ELNS1_3repE0EEENS1_59segmented_radix_sort_warp_sort_small_config_static_selectorELNS0_4arch9wavefront6targetE1EEEvSK_.num_agpr, 0
	.set _ZN7rocprim17ROCPRIM_400000_NS6detail17trampoline_kernelINS0_14default_configENS1_36segmented_radix_sort_config_selectorIdlEEZNS1_25segmented_radix_sort_implIS3_Lb1EPKdPdPKlPlN2at6native12_GLOBAL__N_18offset_tEEE10hipError_tPvRmT1_PNSt15iterator_traitsISK_E10value_typeET2_T3_PNSL_ISQ_E10value_typeET4_jRbjT5_SW_jjP12ihipStream_tbEUlT_E1_NS1_11comp_targetILNS1_3genE10ELNS1_11target_archE1201ELNS1_3gpuE5ELNS1_3repE0EEENS1_59segmented_radix_sort_warp_sort_small_config_static_selectorELNS0_4arch9wavefront6targetE1EEEvSK_.numbered_sgpr, 0
	.set _ZN7rocprim17ROCPRIM_400000_NS6detail17trampoline_kernelINS0_14default_configENS1_36segmented_radix_sort_config_selectorIdlEEZNS1_25segmented_radix_sort_implIS3_Lb1EPKdPdPKlPlN2at6native12_GLOBAL__N_18offset_tEEE10hipError_tPvRmT1_PNSt15iterator_traitsISK_E10value_typeET2_T3_PNSL_ISQ_E10value_typeET4_jRbjT5_SW_jjP12ihipStream_tbEUlT_E1_NS1_11comp_targetILNS1_3genE10ELNS1_11target_archE1201ELNS1_3gpuE5ELNS1_3repE0EEENS1_59segmented_radix_sort_warp_sort_small_config_static_selectorELNS0_4arch9wavefront6targetE1EEEvSK_.num_named_barrier, 0
	.set _ZN7rocprim17ROCPRIM_400000_NS6detail17trampoline_kernelINS0_14default_configENS1_36segmented_radix_sort_config_selectorIdlEEZNS1_25segmented_radix_sort_implIS3_Lb1EPKdPdPKlPlN2at6native12_GLOBAL__N_18offset_tEEE10hipError_tPvRmT1_PNSt15iterator_traitsISK_E10value_typeET2_T3_PNSL_ISQ_E10value_typeET4_jRbjT5_SW_jjP12ihipStream_tbEUlT_E1_NS1_11comp_targetILNS1_3genE10ELNS1_11target_archE1201ELNS1_3gpuE5ELNS1_3repE0EEENS1_59segmented_radix_sort_warp_sort_small_config_static_selectorELNS0_4arch9wavefront6targetE1EEEvSK_.private_seg_size, 0
	.set _ZN7rocprim17ROCPRIM_400000_NS6detail17trampoline_kernelINS0_14default_configENS1_36segmented_radix_sort_config_selectorIdlEEZNS1_25segmented_radix_sort_implIS3_Lb1EPKdPdPKlPlN2at6native12_GLOBAL__N_18offset_tEEE10hipError_tPvRmT1_PNSt15iterator_traitsISK_E10value_typeET2_T3_PNSL_ISQ_E10value_typeET4_jRbjT5_SW_jjP12ihipStream_tbEUlT_E1_NS1_11comp_targetILNS1_3genE10ELNS1_11target_archE1201ELNS1_3gpuE5ELNS1_3repE0EEENS1_59segmented_radix_sort_warp_sort_small_config_static_selectorELNS0_4arch9wavefront6targetE1EEEvSK_.uses_vcc, 0
	.set _ZN7rocprim17ROCPRIM_400000_NS6detail17trampoline_kernelINS0_14default_configENS1_36segmented_radix_sort_config_selectorIdlEEZNS1_25segmented_radix_sort_implIS3_Lb1EPKdPdPKlPlN2at6native12_GLOBAL__N_18offset_tEEE10hipError_tPvRmT1_PNSt15iterator_traitsISK_E10value_typeET2_T3_PNSL_ISQ_E10value_typeET4_jRbjT5_SW_jjP12ihipStream_tbEUlT_E1_NS1_11comp_targetILNS1_3genE10ELNS1_11target_archE1201ELNS1_3gpuE5ELNS1_3repE0EEENS1_59segmented_radix_sort_warp_sort_small_config_static_selectorELNS0_4arch9wavefront6targetE1EEEvSK_.uses_flat_scratch, 0
	.set _ZN7rocprim17ROCPRIM_400000_NS6detail17trampoline_kernelINS0_14default_configENS1_36segmented_radix_sort_config_selectorIdlEEZNS1_25segmented_radix_sort_implIS3_Lb1EPKdPdPKlPlN2at6native12_GLOBAL__N_18offset_tEEE10hipError_tPvRmT1_PNSt15iterator_traitsISK_E10value_typeET2_T3_PNSL_ISQ_E10value_typeET4_jRbjT5_SW_jjP12ihipStream_tbEUlT_E1_NS1_11comp_targetILNS1_3genE10ELNS1_11target_archE1201ELNS1_3gpuE5ELNS1_3repE0EEENS1_59segmented_radix_sort_warp_sort_small_config_static_selectorELNS0_4arch9wavefront6targetE1EEEvSK_.has_dyn_sized_stack, 0
	.set _ZN7rocprim17ROCPRIM_400000_NS6detail17trampoline_kernelINS0_14default_configENS1_36segmented_radix_sort_config_selectorIdlEEZNS1_25segmented_radix_sort_implIS3_Lb1EPKdPdPKlPlN2at6native12_GLOBAL__N_18offset_tEEE10hipError_tPvRmT1_PNSt15iterator_traitsISK_E10value_typeET2_T3_PNSL_ISQ_E10value_typeET4_jRbjT5_SW_jjP12ihipStream_tbEUlT_E1_NS1_11comp_targetILNS1_3genE10ELNS1_11target_archE1201ELNS1_3gpuE5ELNS1_3repE0EEENS1_59segmented_radix_sort_warp_sort_small_config_static_selectorELNS0_4arch9wavefront6targetE1EEEvSK_.has_recursion, 0
	.set _ZN7rocprim17ROCPRIM_400000_NS6detail17trampoline_kernelINS0_14default_configENS1_36segmented_radix_sort_config_selectorIdlEEZNS1_25segmented_radix_sort_implIS3_Lb1EPKdPdPKlPlN2at6native12_GLOBAL__N_18offset_tEEE10hipError_tPvRmT1_PNSt15iterator_traitsISK_E10value_typeET2_T3_PNSL_ISQ_E10value_typeET4_jRbjT5_SW_jjP12ihipStream_tbEUlT_E1_NS1_11comp_targetILNS1_3genE10ELNS1_11target_archE1201ELNS1_3gpuE5ELNS1_3repE0EEENS1_59segmented_radix_sort_warp_sort_small_config_static_selectorELNS0_4arch9wavefront6targetE1EEEvSK_.has_indirect_call, 0
	.section	.AMDGPU.csdata,"",@progbits
; Kernel info:
; codeLenInByte = 0
; TotalNumSgprs: 4
; NumVgprs: 0
; ScratchSize: 0
; MemoryBound: 0
; FloatMode: 240
; IeeeMode: 1
; LDSByteSize: 0 bytes/workgroup (compile time only)
; SGPRBlocks: 0
; VGPRBlocks: 0
; NumSGPRsForWavesPerEU: 4
; NumVGPRsForWavesPerEU: 1
; Occupancy: 10
; WaveLimiterHint : 0
; COMPUTE_PGM_RSRC2:SCRATCH_EN: 0
; COMPUTE_PGM_RSRC2:USER_SGPR: 6
; COMPUTE_PGM_RSRC2:TRAP_HANDLER: 0
; COMPUTE_PGM_RSRC2:TGID_X_EN: 1
; COMPUTE_PGM_RSRC2:TGID_Y_EN: 0
; COMPUTE_PGM_RSRC2:TGID_Z_EN: 0
; COMPUTE_PGM_RSRC2:TIDIG_COMP_CNT: 0
	.section	.text._ZN7rocprim17ROCPRIM_400000_NS6detail17trampoline_kernelINS0_14default_configENS1_36segmented_radix_sort_config_selectorIdlEEZNS1_25segmented_radix_sort_implIS3_Lb1EPKdPdPKlPlN2at6native12_GLOBAL__N_18offset_tEEE10hipError_tPvRmT1_PNSt15iterator_traitsISK_E10value_typeET2_T3_PNSL_ISQ_E10value_typeET4_jRbjT5_SW_jjP12ihipStream_tbEUlT_E1_NS1_11comp_targetILNS1_3genE10ELNS1_11target_archE1200ELNS1_3gpuE4ELNS1_3repE0EEENS1_59segmented_radix_sort_warp_sort_small_config_static_selectorELNS0_4arch9wavefront6targetE1EEEvSK_,"axG",@progbits,_ZN7rocprim17ROCPRIM_400000_NS6detail17trampoline_kernelINS0_14default_configENS1_36segmented_radix_sort_config_selectorIdlEEZNS1_25segmented_radix_sort_implIS3_Lb1EPKdPdPKlPlN2at6native12_GLOBAL__N_18offset_tEEE10hipError_tPvRmT1_PNSt15iterator_traitsISK_E10value_typeET2_T3_PNSL_ISQ_E10value_typeET4_jRbjT5_SW_jjP12ihipStream_tbEUlT_E1_NS1_11comp_targetILNS1_3genE10ELNS1_11target_archE1200ELNS1_3gpuE4ELNS1_3repE0EEENS1_59segmented_radix_sort_warp_sort_small_config_static_selectorELNS0_4arch9wavefront6targetE1EEEvSK_,comdat
	.globl	_ZN7rocprim17ROCPRIM_400000_NS6detail17trampoline_kernelINS0_14default_configENS1_36segmented_radix_sort_config_selectorIdlEEZNS1_25segmented_radix_sort_implIS3_Lb1EPKdPdPKlPlN2at6native12_GLOBAL__N_18offset_tEEE10hipError_tPvRmT1_PNSt15iterator_traitsISK_E10value_typeET2_T3_PNSL_ISQ_E10value_typeET4_jRbjT5_SW_jjP12ihipStream_tbEUlT_E1_NS1_11comp_targetILNS1_3genE10ELNS1_11target_archE1200ELNS1_3gpuE4ELNS1_3repE0EEENS1_59segmented_radix_sort_warp_sort_small_config_static_selectorELNS0_4arch9wavefront6targetE1EEEvSK_ ; -- Begin function _ZN7rocprim17ROCPRIM_400000_NS6detail17trampoline_kernelINS0_14default_configENS1_36segmented_radix_sort_config_selectorIdlEEZNS1_25segmented_radix_sort_implIS3_Lb1EPKdPdPKlPlN2at6native12_GLOBAL__N_18offset_tEEE10hipError_tPvRmT1_PNSt15iterator_traitsISK_E10value_typeET2_T3_PNSL_ISQ_E10value_typeET4_jRbjT5_SW_jjP12ihipStream_tbEUlT_E1_NS1_11comp_targetILNS1_3genE10ELNS1_11target_archE1200ELNS1_3gpuE4ELNS1_3repE0EEENS1_59segmented_radix_sort_warp_sort_small_config_static_selectorELNS0_4arch9wavefront6targetE1EEEvSK_
	.p2align	8
	.type	_ZN7rocprim17ROCPRIM_400000_NS6detail17trampoline_kernelINS0_14default_configENS1_36segmented_radix_sort_config_selectorIdlEEZNS1_25segmented_radix_sort_implIS3_Lb1EPKdPdPKlPlN2at6native12_GLOBAL__N_18offset_tEEE10hipError_tPvRmT1_PNSt15iterator_traitsISK_E10value_typeET2_T3_PNSL_ISQ_E10value_typeET4_jRbjT5_SW_jjP12ihipStream_tbEUlT_E1_NS1_11comp_targetILNS1_3genE10ELNS1_11target_archE1200ELNS1_3gpuE4ELNS1_3repE0EEENS1_59segmented_radix_sort_warp_sort_small_config_static_selectorELNS0_4arch9wavefront6targetE1EEEvSK_,@function
_ZN7rocprim17ROCPRIM_400000_NS6detail17trampoline_kernelINS0_14default_configENS1_36segmented_radix_sort_config_selectorIdlEEZNS1_25segmented_radix_sort_implIS3_Lb1EPKdPdPKlPlN2at6native12_GLOBAL__N_18offset_tEEE10hipError_tPvRmT1_PNSt15iterator_traitsISK_E10value_typeET2_T3_PNSL_ISQ_E10value_typeET4_jRbjT5_SW_jjP12ihipStream_tbEUlT_E1_NS1_11comp_targetILNS1_3genE10ELNS1_11target_archE1200ELNS1_3gpuE4ELNS1_3repE0EEENS1_59segmented_radix_sort_warp_sort_small_config_static_selectorELNS0_4arch9wavefront6targetE1EEEvSK_: ; @_ZN7rocprim17ROCPRIM_400000_NS6detail17trampoline_kernelINS0_14default_configENS1_36segmented_radix_sort_config_selectorIdlEEZNS1_25segmented_radix_sort_implIS3_Lb1EPKdPdPKlPlN2at6native12_GLOBAL__N_18offset_tEEE10hipError_tPvRmT1_PNSt15iterator_traitsISK_E10value_typeET2_T3_PNSL_ISQ_E10value_typeET4_jRbjT5_SW_jjP12ihipStream_tbEUlT_E1_NS1_11comp_targetILNS1_3genE10ELNS1_11target_archE1200ELNS1_3gpuE4ELNS1_3repE0EEENS1_59segmented_radix_sort_warp_sort_small_config_static_selectorELNS0_4arch9wavefront6targetE1EEEvSK_
; %bb.0:
	.section	.rodata,"a",@progbits
	.p2align	6, 0x0
	.amdhsa_kernel _ZN7rocprim17ROCPRIM_400000_NS6detail17trampoline_kernelINS0_14default_configENS1_36segmented_radix_sort_config_selectorIdlEEZNS1_25segmented_radix_sort_implIS3_Lb1EPKdPdPKlPlN2at6native12_GLOBAL__N_18offset_tEEE10hipError_tPvRmT1_PNSt15iterator_traitsISK_E10value_typeET2_T3_PNSL_ISQ_E10value_typeET4_jRbjT5_SW_jjP12ihipStream_tbEUlT_E1_NS1_11comp_targetILNS1_3genE10ELNS1_11target_archE1200ELNS1_3gpuE4ELNS1_3repE0EEENS1_59segmented_radix_sort_warp_sort_small_config_static_selectorELNS0_4arch9wavefront6targetE1EEEvSK_
		.amdhsa_group_segment_fixed_size 0
		.amdhsa_private_segment_fixed_size 0
		.amdhsa_kernarg_size 88
		.amdhsa_user_sgpr_count 6
		.amdhsa_user_sgpr_private_segment_buffer 1
		.amdhsa_user_sgpr_dispatch_ptr 0
		.amdhsa_user_sgpr_queue_ptr 0
		.amdhsa_user_sgpr_kernarg_segment_ptr 1
		.amdhsa_user_sgpr_dispatch_id 0
		.amdhsa_user_sgpr_flat_scratch_init 0
		.amdhsa_user_sgpr_private_segment_size 0
		.amdhsa_uses_dynamic_stack 0
		.amdhsa_system_sgpr_private_segment_wavefront_offset 0
		.amdhsa_system_sgpr_workgroup_id_x 1
		.amdhsa_system_sgpr_workgroup_id_y 0
		.amdhsa_system_sgpr_workgroup_id_z 0
		.amdhsa_system_sgpr_workgroup_info 0
		.amdhsa_system_vgpr_workitem_id 0
		.amdhsa_next_free_vgpr 1
		.amdhsa_next_free_sgpr 0
		.amdhsa_reserve_vcc 0
		.amdhsa_reserve_flat_scratch 0
		.amdhsa_float_round_mode_32 0
		.amdhsa_float_round_mode_16_64 0
		.amdhsa_float_denorm_mode_32 3
		.amdhsa_float_denorm_mode_16_64 3
		.amdhsa_dx10_clamp 1
		.amdhsa_ieee_mode 1
		.amdhsa_fp16_overflow 0
		.amdhsa_exception_fp_ieee_invalid_op 0
		.amdhsa_exception_fp_denorm_src 0
		.amdhsa_exception_fp_ieee_div_zero 0
		.amdhsa_exception_fp_ieee_overflow 0
		.amdhsa_exception_fp_ieee_underflow 0
		.amdhsa_exception_fp_ieee_inexact 0
		.amdhsa_exception_int_div_zero 0
	.end_amdhsa_kernel
	.section	.text._ZN7rocprim17ROCPRIM_400000_NS6detail17trampoline_kernelINS0_14default_configENS1_36segmented_radix_sort_config_selectorIdlEEZNS1_25segmented_radix_sort_implIS3_Lb1EPKdPdPKlPlN2at6native12_GLOBAL__N_18offset_tEEE10hipError_tPvRmT1_PNSt15iterator_traitsISK_E10value_typeET2_T3_PNSL_ISQ_E10value_typeET4_jRbjT5_SW_jjP12ihipStream_tbEUlT_E1_NS1_11comp_targetILNS1_3genE10ELNS1_11target_archE1200ELNS1_3gpuE4ELNS1_3repE0EEENS1_59segmented_radix_sort_warp_sort_small_config_static_selectorELNS0_4arch9wavefront6targetE1EEEvSK_,"axG",@progbits,_ZN7rocprim17ROCPRIM_400000_NS6detail17trampoline_kernelINS0_14default_configENS1_36segmented_radix_sort_config_selectorIdlEEZNS1_25segmented_radix_sort_implIS3_Lb1EPKdPdPKlPlN2at6native12_GLOBAL__N_18offset_tEEE10hipError_tPvRmT1_PNSt15iterator_traitsISK_E10value_typeET2_T3_PNSL_ISQ_E10value_typeET4_jRbjT5_SW_jjP12ihipStream_tbEUlT_E1_NS1_11comp_targetILNS1_3genE10ELNS1_11target_archE1200ELNS1_3gpuE4ELNS1_3repE0EEENS1_59segmented_radix_sort_warp_sort_small_config_static_selectorELNS0_4arch9wavefront6targetE1EEEvSK_,comdat
.Lfunc_end1145:
	.size	_ZN7rocprim17ROCPRIM_400000_NS6detail17trampoline_kernelINS0_14default_configENS1_36segmented_radix_sort_config_selectorIdlEEZNS1_25segmented_radix_sort_implIS3_Lb1EPKdPdPKlPlN2at6native12_GLOBAL__N_18offset_tEEE10hipError_tPvRmT1_PNSt15iterator_traitsISK_E10value_typeET2_T3_PNSL_ISQ_E10value_typeET4_jRbjT5_SW_jjP12ihipStream_tbEUlT_E1_NS1_11comp_targetILNS1_3genE10ELNS1_11target_archE1200ELNS1_3gpuE4ELNS1_3repE0EEENS1_59segmented_radix_sort_warp_sort_small_config_static_selectorELNS0_4arch9wavefront6targetE1EEEvSK_, .Lfunc_end1145-_ZN7rocprim17ROCPRIM_400000_NS6detail17trampoline_kernelINS0_14default_configENS1_36segmented_radix_sort_config_selectorIdlEEZNS1_25segmented_radix_sort_implIS3_Lb1EPKdPdPKlPlN2at6native12_GLOBAL__N_18offset_tEEE10hipError_tPvRmT1_PNSt15iterator_traitsISK_E10value_typeET2_T3_PNSL_ISQ_E10value_typeET4_jRbjT5_SW_jjP12ihipStream_tbEUlT_E1_NS1_11comp_targetILNS1_3genE10ELNS1_11target_archE1200ELNS1_3gpuE4ELNS1_3repE0EEENS1_59segmented_radix_sort_warp_sort_small_config_static_selectorELNS0_4arch9wavefront6targetE1EEEvSK_
                                        ; -- End function
	.set _ZN7rocprim17ROCPRIM_400000_NS6detail17trampoline_kernelINS0_14default_configENS1_36segmented_radix_sort_config_selectorIdlEEZNS1_25segmented_radix_sort_implIS3_Lb1EPKdPdPKlPlN2at6native12_GLOBAL__N_18offset_tEEE10hipError_tPvRmT1_PNSt15iterator_traitsISK_E10value_typeET2_T3_PNSL_ISQ_E10value_typeET4_jRbjT5_SW_jjP12ihipStream_tbEUlT_E1_NS1_11comp_targetILNS1_3genE10ELNS1_11target_archE1200ELNS1_3gpuE4ELNS1_3repE0EEENS1_59segmented_radix_sort_warp_sort_small_config_static_selectorELNS0_4arch9wavefront6targetE1EEEvSK_.num_vgpr, 0
	.set _ZN7rocprim17ROCPRIM_400000_NS6detail17trampoline_kernelINS0_14default_configENS1_36segmented_radix_sort_config_selectorIdlEEZNS1_25segmented_radix_sort_implIS3_Lb1EPKdPdPKlPlN2at6native12_GLOBAL__N_18offset_tEEE10hipError_tPvRmT1_PNSt15iterator_traitsISK_E10value_typeET2_T3_PNSL_ISQ_E10value_typeET4_jRbjT5_SW_jjP12ihipStream_tbEUlT_E1_NS1_11comp_targetILNS1_3genE10ELNS1_11target_archE1200ELNS1_3gpuE4ELNS1_3repE0EEENS1_59segmented_radix_sort_warp_sort_small_config_static_selectorELNS0_4arch9wavefront6targetE1EEEvSK_.num_agpr, 0
	.set _ZN7rocprim17ROCPRIM_400000_NS6detail17trampoline_kernelINS0_14default_configENS1_36segmented_radix_sort_config_selectorIdlEEZNS1_25segmented_radix_sort_implIS3_Lb1EPKdPdPKlPlN2at6native12_GLOBAL__N_18offset_tEEE10hipError_tPvRmT1_PNSt15iterator_traitsISK_E10value_typeET2_T3_PNSL_ISQ_E10value_typeET4_jRbjT5_SW_jjP12ihipStream_tbEUlT_E1_NS1_11comp_targetILNS1_3genE10ELNS1_11target_archE1200ELNS1_3gpuE4ELNS1_3repE0EEENS1_59segmented_radix_sort_warp_sort_small_config_static_selectorELNS0_4arch9wavefront6targetE1EEEvSK_.numbered_sgpr, 0
	.set _ZN7rocprim17ROCPRIM_400000_NS6detail17trampoline_kernelINS0_14default_configENS1_36segmented_radix_sort_config_selectorIdlEEZNS1_25segmented_radix_sort_implIS3_Lb1EPKdPdPKlPlN2at6native12_GLOBAL__N_18offset_tEEE10hipError_tPvRmT1_PNSt15iterator_traitsISK_E10value_typeET2_T3_PNSL_ISQ_E10value_typeET4_jRbjT5_SW_jjP12ihipStream_tbEUlT_E1_NS1_11comp_targetILNS1_3genE10ELNS1_11target_archE1200ELNS1_3gpuE4ELNS1_3repE0EEENS1_59segmented_radix_sort_warp_sort_small_config_static_selectorELNS0_4arch9wavefront6targetE1EEEvSK_.num_named_barrier, 0
	.set _ZN7rocprim17ROCPRIM_400000_NS6detail17trampoline_kernelINS0_14default_configENS1_36segmented_radix_sort_config_selectorIdlEEZNS1_25segmented_radix_sort_implIS3_Lb1EPKdPdPKlPlN2at6native12_GLOBAL__N_18offset_tEEE10hipError_tPvRmT1_PNSt15iterator_traitsISK_E10value_typeET2_T3_PNSL_ISQ_E10value_typeET4_jRbjT5_SW_jjP12ihipStream_tbEUlT_E1_NS1_11comp_targetILNS1_3genE10ELNS1_11target_archE1200ELNS1_3gpuE4ELNS1_3repE0EEENS1_59segmented_radix_sort_warp_sort_small_config_static_selectorELNS0_4arch9wavefront6targetE1EEEvSK_.private_seg_size, 0
	.set _ZN7rocprim17ROCPRIM_400000_NS6detail17trampoline_kernelINS0_14default_configENS1_36segmented_radix_sort_config_selectorIdlEEZNS1_25segmented_radix_sort_implIS3_Lb1EPKdPdPKlPlN2at6native12_GLOBAL__N_18offset_tEEE10hipError_tPvRmT1_PNSt15iterator_traitsISK_E10value_typeET2_T3_PNSL_ISQ_E10value_typeET4_jRbjT5_SW_jjP12ihipStream_tbEUlT_E1_NS1_11comp_targetILNS1_3genE10ELNS1_11target_archE1200ELNS1_3gpuE4ELNS1_3repE0EEENS1_59segmented_radix_sort_warp_sort_small_config_static_selectorELNS0_4arch9wavefront6targetE1EEEvSK_.uses_vcc, 0
	.set _ZN7rocprim17ROCPRIM_400000_NS6detail17trampoline_kernelINS0_14default_configENS1_36segmented_radix_sort_config_selectorIdlEEZNS1_25segmented_radix_sort_implIS3_Lb1EPKdPdPKlPlN2at6native12_GLOBAL__N_18offset_tEEE10hipError_tPvRmT1_PNSt15iterator_traitsISK_E10value_typeET2_T3_PNSL_ISQ_E10value_typeET4_jRbjT5_SW_jjP12ihipStream_tbEUlT_E1_NS1_11comp_targetILNS1_3genE10ELNS1_11target_archE1200ELNS1_3gpuE4ELNS1_3repE0EEENS1_59segmented_radix_sort_warp_sort_small_config_static_selectorELNS0_4arch9wavefront6targetE1EEEvSK_.uses_flat_scratch, 0
	.set _ZN7rocprim17ROCPRIM_400000_NS6detail17trampoline_kernelINS0_14default_configENS1_36segmented_radix_sort_config_selectorIdlEEZNS1_25segmented_radix_sort_implIS3_Lb1EPKdPdPKlPlN2at6native12_GLOBAL__N_18offset_tEEE10hipError_tPvRmT1_PNSt15iterator_traitsISK_E10value_typeET2_T3_PNSL_ISQ_E10value_typeET4_jRbjT5_SW_jjP12ihipStream_tbEUlT_E1_NS1_11comp_targetILNS1_3genE10ELNS1_11target_archE1200ELNS1_3gpuE4ELNS1_3repE0EEENS1_59segmented_radix_sort_warp_sort_small_config_static_selectorELNS0_4arch9wavefront6targetE1EEEvSK_.has_dyn_sized_stack, 0
	.set _ZN7rocprim17ROCPRIM_400000_NS6detail17trampoline_kernelINS0_14default_configENS1_36segmented_radix_sort_config_selectorIdlEEZNS1_25segmented_radix_sort_implIS3_Lb1EPKdPdPKlPlN2at6native12_GLOBAL__N_18offset_tEEE10hipError_tPvRmT1_PNSt15iterator_traitsISK_E10value_typeET2_T3_PNSL_ISQ_E10value_typeET4_jRbjT5_SW_jjP12ihipStream_tbEUlT_E1_NS1_11comp_targetILNS1_3genE10ELNS1_11target_archE1200ELNS1_3gpuE4ELNS1_3repE0EEENS1_59segmented_radix_sort_warp_sort_small_config_static_selectorELNS0_4arch9wavefront6targetE1EEEvSK_.has_recursion, 0
	.set _ZN7rocprim17ROCPRIM_400000_NS6detail17trampoline_kernelINS0_14default_configENS1_36segmented_radix_sort_config_selectorIdlEEZNS1_25segmented_radix_sort_implIS3_Lb1EPKdPdPKlPlN2at6native12_GLOBAL__N_18offset_tEEE10hipError_tPvRmT1_PNSt15iterator_traitsISK_E10value_typeET2_T3_PNSL_ISQ_E10value_typeET4_jRbjT5_SW_jjP12ihipStream_tbEUlT_E1_NS1_11comp_targetILNS1_3genE10ELNS1_11target_archE1200ELNS1_3gpuE4ELNS1_3repE0EEENS1_59segmented_radix_sort_warp_sort_small_config_static_selectorELNS0_4arch9wavefront6targetE1EEEvSK_.has_indirect_call, 0
	.section	.AMDGPU.csdata,"",@progbits
; Kernel info:
; codeLenInByte = 0
; TotalNumSgprs: 4
; NumVgprs: 0
; ScratchSize: 0
; MemoryBound: 0
; FloatMode: 240
; IeeeMode: 1
; LDSByteSize: 0 bytes/workgroup (compile time only)
; SGPRBlocks: 0
; VGPRBlocks: 0
; NumSGPRsForWavesPerEU: 4
; NumVGPRsForWavesPerEU: 1
; Occupancy: 10
; WaveLimiterHint : 0
; COMPUTE_PGM_RSRC2:SCRATCH_EN: 0
; COMPUTE_PGM_RSRC2:USER_SGPR: 6
; COMPUTE_PGM_RSRC2:TRAP_HANDLER: 0
; COMPUTE_PGM_RSRC2:TGID_X_EN: 1
; COMPUTE_PGM_RSRC2:TGID_Y_EN: 0
; COMPUTE_PGM_RSRC2:TGID_Z_EN: 0
; COMPUTE_PGM_RSRC2:TIDIG_COMP_CNT: 0
	.section	.text._ZN7rocprim17ROCPRIM_400000_NS6detail17trampoline_kernelINS0_14default_configENS1_36segmented_radix_sort_config_selectorIdlEEZNS1_25segmented_radix_sort_implIS3_Lb1EPKdPdPKlPlN2at6native12_GLOBAL__N_18offset_tEEE10hipError_tPvRmT1_PNSt15iterator_traitsISK_E10value_typeET2_T3_PNSL_ISQ_E10value_typeET4_jRbjT5_SW_jjP12ihipStream_tbEUlT_E1_NS1_11comp_targetILNS1_3genE9ELNS1_11target_archE1100ELNS1_3gpuE3ELNS1_3repE0EEENS1_59segmented_radix_sort_warp_sort_small_config_static_selectorELNS0_4arch9wavefront6targetE1EEEvSK_,"axG",@progbits,_ZN7rocprim17ROCPRIM_400000_NS6detail17trampoline_kernelINS0_14default_configENS1_36segmented_radix_sort_config_selectorIdlEEZNS1_25segmented_radix_sort_implIS3_Lb1EPKdPdPKlPlN2at6native12_GLOBAL__N_18offset_tEEE10hipError_tPvRmT1_PNSt15iterator_traitsISK_E10value_typeET2_T3_PNSL_ISQ_E10value_typeET4_jRbjT5_SW_jjP12ihipStream_tbEUlT_E1_NS1_11comp_targetILNS1_3genE9ELNS1_11target_archE1100ELNS1_3gpuE3ELNS1_3repE0EEENS1_59segmented_radix_sort_warp_sort_small_config_static_selectorELNS0_4arch9wavefront6targetE1EEEvSK_,comdat
	.globl	_ZN7rocprim17ROCPRIM_400000_NS6detail17trampoline_kernelINS0_14default_configENS1_36segmented_radix_sort_config_selectorIdlEEZNS1_25segmented_radix_sort_implIS3_Lb1EPKdPdPKlPlN2at6native12_GLOBAL__N_18offset_tEEE10hipError_tPvRmT1_PNSt15iterator_traitsISK_E10value_typeET2_T3_PNSL_ISQ_E10value_typeET4_jRbjT5_SW_jjP12ihipStream_tbEUlT_E1_NS1_11comp_targetILNS1_3genE9ELNS1_11target_archE1100ELNS1_3gpuE3ELNS1_3repE0EEENS1_59segmented_radix_sort_warp_sort_small_config_static_selectorELNS0_4arch9wavefront6targetE1EEEvSK_ ; -- Begin function _ZN7rocprim17ROCPRIM_400000_NS6detail17trampoline_kernelINS0_14default_configENS1_36segmented_radix_sort_config_selectorIdlEEZNS1_25segmented_radix_sort_implIS3_Lb1EPKdPdPKlPlN2at6native12_GLOBAL__N_18offset_tEEE10hipError_tPvRmT1_PNSt15iterator_traitsISK_E10value_typeET2_T3_PNSL_ISQ_E10value_typeET4_jRbjT5_SW_jjP12ihipStream_tbEUlT_E1_NS1_11comp_targetILNS1_3genE9ELNS1_11target_archE1100ELNS1_3gpuE3ELNS1_3repE0EEENS1_59segmented_radix_sort_warp_sort_small_config_static_selectorELNS0_4arch9wavefront6targetE1EEEvSK_
	.p2align	8
	.type	_ZN7rocprim17ROCPRIM_400000_NS6detail17trampoline_kernelINS0_14default_configENS1_36segmented_radix_sort_config_selectorIdlEEZNS1_25segmented_radix_sort_implIS3_Lb1EPKdPdPKlPlN2at6native12_GLOBAL__N_18offset_tEEE10hipError_tPvRmT1_PNSt15iterator_traitsISK_E10value_typeET2_T3_PNSL_ISQ_E10value_typeET4_jRbjT5_SW_jjP12ihipStream_tbEUlT_E1_NS1_11comp_targetILNS1_3genE9ELNS1_11target_archE1100ELNS1_3gpuE3ELNS1_3repE0EEENS1_59segmented_radix_sort_warp_sort_small_config_static_selectorELNS0_4arch9wavefront6targetE1EEEvSK_,@function
_ZN7rocprim17ROCPRIM_400000_NS6detail17trampoline_kernelINS0_14default_configENS1_36segmented_radix_sort_config_selectorIdlEEZNS1_25segmented_radix_sort_implIS3_Lb1EPKdPdPKlPlN2at6native12_GLOBAL__N_18offset_tEEE10hipError_tPvRmT1_PNSt15iterator_traitsISK_E10value_typeET2_T3_PNSL_ISQ_E10value_typeET4_jRbjT5_SW_jjP12ihipStream_tbEUlT_E1_NS1_11comp_targetILNS1_3genE9ELNS1_11target_archE1100ELNS1_3gpuE3ELNS1_3repE0EEENS1_59segmented_radix_sort_warp_sort_small_config_static_selectorELNS0_4arch9wavefront6targetE1EEEvSK_: ; @_ZN7rocprim17ROCPRIM_400000_NS6detail17trampoline_kernelINS0_14default_configENS1_36segmented_radix_sort_config_selectorIdlEEZNS1_25segmented_radix_sort_implIS3_Lb1EPKdPdPKlPlN2at6native12_GLOBAL__N_18offset_tEEE10hipError_tPvRmT1_PNSt15iterator_traitsISK_E10value_typeET2_T3_PNSL_ISQ_E10value_typeET4_jRbjT5_SW_jjP12ihipStream_tbEUlT_E1_NS1_11comp_targetILNS1_3genE9ELNS1_11target_archE1100ELNS1_3gpuE3ELNS1_3repE0EEENS1_59segmented_radix_sort_warp_sort_small_config_static_selectorELNS0_4arch9wavefront6targetE1EEEvSK_
; %bb.0:
	.section	.rodata,"a",@progbits
	.p2align	6, 0x0
	.amdhsa_kernel _ZN7rocprim17ROCPRIM_400000_NS6detail17trampoline_kernelINS0_14default_configENS1_36segmented_radix_sort_config_selectorIdlEEZNS1_25segmented_radix_sort_implIS3_Lb1EPKdPdPKlPlN2at6native12_GLOBAL__N_18offset_tEEE10hipError_tPvRmT1_PNSt15iterator_traitsISK_E10value_typeET2_T3_PNSL_ISQ_E10value_typeET4_jRbjT5_SW_jjP12ihipStream_tbEUlT_E1_NS1_11comp_targetILNS1_3genE9ELNS1_11target_archE1100ELNS1_3gpuE3ELNS1_3repE0EEENS1_59segmented_radix_sort_warp_sort_small_config_static_selectorELNS0_4arch9wavefront6targetE1EEEvSK_
		.amdhsa_group_segment_fixed_size 0
		.amdhsa_private_segment_fixed_size 0
		.amdhsa_kernarg_size 88
		.amdhsa_user_sgpr_count 6
		.amdhsa_user_sgpr_private_segment_buffer 1
		.amdhsa_user_sgpr_dispatch_ptr 0
		.amdhsa_user_sgpr_queue_ptr 0
		.amdhsa_user_sgpr_kernarg_segment_ptr 1
		.amdhsa_user_sgpr_dispatch_id 0
		.amdhsa_user_sgpr_flat_scratch_init 0
		.amdhsa_user_sgpr_private_segment_size 0
		.amdhsa_uses_dynamic_stack 0
		.amdhsa_system_sgpr_private_segment_wavefront_offset 0
		.amdhsa_system_sgpr_workgroup_id_x 1
		.amdhsa_system_sgpr_workgroup_id_y 0
		.amdhsa_system_sgpr_workgroup_id_z 0
		.amdhsa_system_sgpr_workgroup_info 0
		.amdhsa_system_vgpr_workitem_id 0
		.amdhsa_next_free_vgpr 1
		.amdhsa_next_free_sgpr 0
		.amdhsa_reserve_vcc 0
		.amdhsa_reserve_flat_scratch 0
		.amdhsa_float_round_mode_32 0
		.amdhsa_float_round_mode_16_64 0
		.amdhsa_float_denorm_mode_32 3
		.amdhsa_float_denorm_mode_16_64 3
		.amdhsa_dx10_clamp 1
		.amdhsa_ieee_mode 1
		.amdhsa_fp16_overflow 0
		.amdhsa_exception_fp_ieee_invalid_op 0
		.amdhsa_exception_fp_denorm_src 0
		.amdhsa_exception_fp_ieee_div_zero 0
		.amdhsa_exception_fp_ieee_overflow 0
		.amdhsa_exception_fp_ieee_underflow 0
		.amdhsa_exception_fp_ieee_inexact 0
		.amdhsa_exception_int_div_zero 0
	.end_amdhsa_kernel
	.section	.text._ZN7rocprim17ROCPRIM_400000_NS6detail17trampoline_kernelINS0_14default_configENS1_36segmented_radix_sort_config_selectorIdlEEZNS1_25segmented_radix_sort_implIS3_Lb1EPKdPdPKlPlN2at6native12_GLOBAL__N_18offset_tEEE10hipError_tPvRmT1_PNSt15iterator_traitsISK_E10value_typeET2_T3_PNSL_ISQ_E10value_typeET4_jRbjT5_SW_jjP12ihipStream_tbEUlT_E1_NS1_11comp_targetILNS1_3genE9ELNS1_11target_archE1100ELNS1_3gpuE3ELNS1_3repE0EEENS1_59segmented_radix_sort_warp_sort_small_config_static_selectorELNS0_4arch9wavefront6targetE1EEEvSK_,"axG",@progbits,_ZN7rocprim17ROCPRIM_400000_NS6detail17trampoline_kernelINS0_14default_configENS1_36segmented_radix_sort_config_selectorIdlEEZNS1_25segmented_radix_sort_implIS3_Lb1EPKdPdPKlPlN2at6native12_GLOBAL__N_18offset_tEEE10hipError_tPvRmT1_PNSt15iterator_traitsISK_E10value_typeET2_T3_PNSL_ISQ_E10value_typeET4_jRbjT5_SW_jjP12ihipStream_tbEUlT_E1_NS1_11comp_targetILNS1_3genE9ELNS1_11target_archE1100ELNS1_3gpuE3ELNS1_3repE0EEENS1_59segmented_radix_sort_warp_sort_small_config_static_selectorELNS0_4arch9wavefront6targetE1EEEvSK_,comdat
.Lfunc_end1146:
	.size	_ZN7rocprim17ROCPRIM_400000_NS6detail17trampoline_kernelINS0_14default_configENS1_36segmented_radix_sort_config_selectorIdlEEZNS1_25segmented_radix_sort_implIS3_Lb1EPKdPdPKlPlN2at6native12_GLOBAL__N_18offset_tEEE10hipError_tPvRmT1_PNSt15iterator_traitsISK_E10value_typeET2_T3_PNSL_ISQ_E10value_typeET4_jRbjT5_SW_jjP12ihipStream_tbEUlT_E1_NS1_11comp_targetILNS1_3genE9ELNS1_11target_archE1100ELNS1_3gpuE3ELNS1_3repE0EEENS1_59segmented_radix_sort_warp_sort_small_config_static_selectorELNS0_4arch9wavefront6targetE1EEEvSK_, .Lfunc_end1146-_ZN7rocprim17ROCPRIM_400000_NS6detail17trampoline_kernelINS0_14default_configENS1_36segmented_radix_sort_config_selectorIdlEEZNS1_25segmented_radix_sort_implIS3_Lb1EPKdPdPKlPlN2at6native12_GLOBAL__N_18offset_tEEE10hipError_tPvRmT1_PNSt15iterator_traitsISK_E10value_typeET2_T3_PNSL_ISQ_E10value_typeET4_jRbjT5_SW_jjP12ihipStream_tbEUlT_E1_NS1_11comp_targetILNS1_3genE9ELNS1_11target_archE1100ELNS1_3gpuE3ELNS1_3repE0EEENS1_59segmented_radix_sort_warp_sort_small_config_static_selectorELNS0_4arch9wavefront6targetE1EEEvSK_
                                        ; -- End function
	.set _ZN7rocprim17ROCPRIM_400000_NS6detail17trampoline_kernelINS0_14default_configENS1_36segmented_radix_sort_config_selectorIdlEEZNS1_25segmented_radix_sort_implIS3_Lb1EPKdPdPKlPlN2at6native12_GLOBAL__N_18offset_tEEE10hipError_tPvRmT1_PNSt15iterator_traitsISK_E10value_typeET2_T3_PNSL_ISQ_E10value_typeET4_jRbjT5_SW_jjP12ihipStream_tbEUlT_E1_NS1_11comp_targetILNS1_3genE9ELNS1_11target_archE1100ELNS1_3gpuE3ELNS1_3repE0EEENS1_59segmented_radix_sort_warp_sort_small_config_static_selectorELNS0_4arch9wavefront6targetE1EEEvSK_.num_vgpr, 0
	.set _ZN7rocprim17ROCPRIM_400000_NS6detail17trampoline_kernelINS0_14default_configENS1_36segmented_radix_sort_config_selectorIdlEEZNS1_25segmented_radix_sort_implIS3_Lb1EPKdPdPKlPlN2at6native12_GLOBAL__N_18offset_tEEE10hipError_tPvRmT1_PNSt15iterator_traitsISK_E10value_typeET2_T3_PNSL_ISQ_E10value_typeET4_jRbjT5_SW_jjP12ihipStream_tbEUlT_E1_NS1_11comp_targetILNS1_3genE9ELNS1_11target_archE1100ELNS1_3gpuE3ELNS1_3repE0EEENS1_59segmented_radix_sort_warp_sort_small_config_static_selectorELNS0_4arch9wavefront6targetE1EEEvSK_.num_agpr, 0
	.set _ZN7rocprim17ROCPRIM_400000_NS6detail17trampoline_kernelINS0_14default_configENS1_36segmented_radix_sort_config_selectorIdlEEZNS1_25segmented_radix_sort_implIS3_Lb1EPKdPdPKlPlN2at6native12_GLOBAL__N_18offset_tEEE10hipError_tPvRmT1_PNSt15iterator_traitsISK_E10value_typeET2_T3_PNSL_ISQ_E10value_typeET4_jRbjT5_SW_jjP12ihipStream_tbEUlT_E1_NS1_11comp_targetILNS1_3genE9ELNS1_11target_archE1100ELNS1_3gpuE3ELNS1_3repE0EEENS1_59segmented_radix_sort_warp_sort_small_config_static_selectorELNS0_4arch9wavefront6targetE1EEEvSK_.numbered_sgpr, 0
	.set _ZN7rocprim17ROCPRIM_400000_NS6detail17trampoline_kernelINS0_14default_configENS1_36segmented_radix_sort_config_selectorIdlEEZNS1_25segmented_radix_sort_implIS3_Lb1EPKdPdPKlPlN2at6native12_GLOBAL__N_18offset_tEEE10hipError_tPvRmT1_PNSt15iterator_traitsISK_E10value_typeET2_T3_PNSL_ISQ_E10value_typeET4_jRbjT5_SW_jjP12ihipStream_tbEUlT_E1_NS1_11comp_targetILNS1_3genE9ELNS1_11target_archE1100ELNS1_3gpuE3ELNS1_3repE0EEENS1_59segmented_radix_sort_warp_sort_small_config_static_selectorELNS0_4arch9wavefront6targetE1EEEvSK_.num_named_barrier, 0
	.set _ZN7rocprim17ROCPRIM_400000_NS6detail17trampoline_kernelINS0_14default_configENS1_36segmented_radix_sort_config_selectorIdlEEZNS1_25segmented_radix_sort_implIS3_Lb1EPKdPdPKlPlN2at6native12_GLOBAL__N_18offset_tEEE10hipError_tPvRmT1_PNSt15iterator_traitsISK_E10value_typeET2_T3_PNSL_ISQ_E10value_typeET4_jRbjT5_SW_jjP12ihipStream_tbEUlT_E1_NS1_11comp_targetILNS1_3genE9ELNS1_11target_archE1100ELNS1_3gpuE3ELNS1_3repE0EEENS1_59segmented_radix_sort_warp_sort_small_config_static_selectorELNS0_4arch9wavefront6targetE1EEEvSK_.private_seg_size, 0
	.set _ZN7rocprim17ROCPRIM_400000_NS6detail17trampoline_kernelINS0_14default_configENS1_36segmented_radix_sort_config_selectorIdlEEZNS1_25segmented_radix_sort_implIS3_Lb1EPKdPdPKlPlN2at6native12_GLOBAL__N_18offset_tEEE10hipError_tPvRmT1_PNSt15iterator_traitsISK_E10value_typeET2_T3_PNSL_ISQ_E10value_typeET4_jRbjT5_SW_jjP12ihipStream_tbEUlT_E1_NS1_11comp_targetILNS1_3genE9ELNS1_11target_archE1100ELNS1_3gpuE3ELNS1_3repE0EEENS1_59segmented_radix_sort_warp_sort_small_config_static_selectorELNS0_4arch9wavefront6targetE1EEEvSK_.uses_vcc, 0
	.set _ZN7rocprim17ROCPRIM_400000_NS6detail17trampoline_kernelINS0_14default_configENS1_36segmented_radix_sort_config_selectorIdlEEZNS1_25segmented_radix_sort_implIS3_Lb1EPKdPdPKlPlN2at6native12_GLOBAL__N_18offset_tEEE10hipError_tPvRmT1_PNSt15iterator_traitsISK_E10value_typeET2_T3_PNSL_ISQ_E10value_typeET4_jRbjT5_SW_jjP12ihipStream_tbEUlT_E1_NS1_11comp_targetILNS1_3genE9ELNS1_11target_archE1100ELNS1_3gpuE3ELNS1_3repE0EEENS1_59segmented_radix_sort_warp_sort_small_config_static_selectorELNS0_4arch9wavefront6targetE1EEEvSK_.uses_flat_scratch, 0
	.set _ZN7rocprim17ROCPRIM_400000_NS6detail17trampoline_kernelINS0_14default_configENS1_36segmented_radix_sort_config_selectorIdlEEZNS1_25segmented_radix_sort_implIS3_Lb1EPKdPdPKlPlN2at6native12_GLOBAL__N_18offset_tEEE10hipError_tPvRmT1_PNSt15iterator_traitsISK_E10value_typeET2_T3_PNSL_ISQ_E10value_typeET4_jRbjT5_SW_jjP12ihipStream_tbEUlT_E1_NS1_11comp_targetILNS1_3genE9ELNS1_11target_archE1100ELNS1_3gpuE3ELNS1_3repE0EEENS1_59segmented_radix_sort_warp_sort_small_config_static_selectorELNS0_4arch9wavefront6targetE1EEEvSK_.has_dyn_sized_stack, 0
	.set _ZN7rocprim17ROCPRIM_400000_NS6detail17trampoline_kernelINS0_14default_configENS1_36segmented_radix_sort_config_selectorIdlEEZNS1_25segmented_radix_sort_implIS3_Lb1EPKdPdPKlPlN2at6native12_GLOBAL__N_18offset_tEEE10hipError_tPvRmT1_PNSt15iterator_traitsISK_E10value_typeET2_T3_PNSL_ISQ_E10value_typeET4_jRbjT5_SW_jjP12ihipStream_tbEUlT_E1_NS1_11comp_targetILNS1_3genE9ELNS1_11target_archE1100ELNS1_3gpuE3ELNS1_3repE0EEENS1_59segmented_radix_sort_warp_sort_small_config_static_selectorELNS0_4arch9wavefront6targetE1EEEvSK_.has_recursion, 0
	.set _ZN7rocprim17ROCPRIM_400000_NS6detail17trampoline_kernelINS0_14default_configENS1_36segmented_radix_sort_config_selectorIdlEEZNS1_25segmented_radix_sort_implIS3_Lb1EPKdPdPKlPlN2at6native12_GLOBAL__N_18offset_tEEE10hipError_tPvRmT1_PNSt15iterator_traitsISK_E10value_typeET2_T3_PNSL_ISQ_E10value_typeET4_jRbjT5_SW_jjP12ihipStream_tbEUlT_E1_NS1_11comp_targetILNS1_3genE9ELNS1_11target_archE1100ELNS1_3gpuE3ELNS1_3repE0EEENS1_59segmented_radix_sort_warp_sort_small_config_static_selectorELNS0_4arch9wavefront6targetE1EEEvSK_.has_indirect_call, 0
	.section	.AMDGPU.csdata,"",@progbits
; Kernel info:
; codeLenInByte = 0
; TotalNumSgprs: 4
; NumVgprs: 0
; ScratchSize: 0
; MemoryBound: 0
; FloatMode: 240
; IeeeMode: 1
; LDSByteSize: 0 bytes/workgroup (compile time only)
; SGPRBlocks: 0
; VGPRBlocks: 0
; NumSGPRsForWavesPerEU: 4
; NumVGPRsForWavesPerEU: 1
; Occupancy: 10
; WaveLimiterHint : 0
; COMPUTE_PGM_RSRC2:SCRATCH_EN: 0
; COMPUTE_PGM_RSRC2:USER_SGPR: 6
; COMPUTE_PGM_RSRC2:TRAP_HANDLER: 0
; COMPUTE_PGM_RSRC2:TGID_X_EN: 1
; COMPUTE_PGM_RSRC2:TGID_Y_EN: 0
; COMPUTE_PGM_RSRC2:TGID_Z_EN: 0
; COMPUTE_PGM_RSRC2:TIDIG_COMP_CNT: 0
	.section	.text._ZN7rocprim17ROCPRIM_400000_NS6detail17trampoline_kernelINS0_14default_configENS1_36segmented_radix_sort_config_selectorIdlEEZNS1_25segmented_radix_sort_implIS3_Lb1EPKdPdPKlPlN2at6native12_GLOBAL__N_18offset_tEEE10hipError_tPvRmT1_PNSt15iterator_traitsISK_E10value_typeET2_T3_PNSL_ISQ_E10value_typeET4_jRbjT5_SW_jjP12ihipStream_tbEUlT_E1_NS1_11comp_targetILNS1_3genE8ELNS1_11target_archE1030ELNS1_3gpuE2ELNS1_3repE0EEENS1_59segmented_radix_sort_warp_sort_small_config_static_selectorELNS0_4arch9wavefront6targetE1EEEvSK_,"axG",@progbits,_ZN7rocprim17ROCPRIM_400000_NS6detail17trampoline_kernelINS0_14default_configENS1_36segmented_radix_sort_config_selectorIdlEEZNS1_25segmented_radix_sort_implIS3_Lb1EPKdPdPKlPlN2at6native12_GLOBAL__N_18offset_tEEE10hipError_tPvRmT1_PNSt15iterator_traitsISK_E10value_typeET2_T3_PNSL_ISQ_E10value_typeET4_jRbjT5_SW_jjP12ihipStream_tbEUlT_E1_NS1_11comp_targetILNS1_3genE8ELNS1_11target_archE1030ELNS1_3gpuE2ELNS1_3repE0EEENS1_59segmented_radix_sort_warp_sort_small_config_static_selectorELNS0_4arch9wavefront6targetE1EEEvSK_,comdat
	.globl	_ZN7rocprim17ROCPRIM_400000_NS6detail17trampoline_kernelINS0_14default_configENS1_36segmented_radix_sort_config_selectorIdlEEZNS1_25segmented_radix_sort_implIS3_Lb1EPKdPdPKlPlN2at6native12_GLOBAL__N_18offset_tEEE10hipError_tPvRmT1_PNSt15iterator_traitsISK_E10value_typeET2_T3_PNSL_ISQ_E10value_typeET4_jRbjT5_SW_jjP12ihipStream_tbEUlT_E1_NS1_11comp_targetILNS1_3genE8ELNS1_11target_archE1030ELNS1_3gpuE2ELNS1_3repE0EEENS1_59segmented_radix_sort_warp_sort_small_config_static_selectorELNS0_4arch9wavefront6targetE1EEEvSK_ ; -- Begin function _ZN7rocprim17ROCPRIM_400000_NS6detail17trampoline_kernelINS0_14default_configENS1_36segmented_radix_sort_config_selectorIdlEEZNS1_25segmented_radix_sort_implIS3_Lb1EPKdPdPKlPlN2at6native12_GLOBAL__N_18offset_tEEE10hipError_tPvRmT1_PNSt15iterator_traitsISK_E10value_typeET2_T3_PNSL_ISQ_E10value_typeET4_jRbjT5_SW_jjP12ihipStream_tbEUlT_E1_NS1_11comp_targetILNS1_3genE8ELNS1_11target_archE1030ELNS1_3gpuE2ELNS1_3repE0EEENS1_59segmented_radix_sort_warp_sort_small_config_static_selectorELNS0_4arch9wavefront6targetE1EEEvSK_
	.p2align	8
	.type	_ZN7rocprim17ROCPRIM_400000_NS6detail17trampoline_kernelINS0_14default_configENS1_36segmented_radix_sort_config_selectorIdlEEZNS1_25segmented_radix_sort_implIS3_Lb1EPKdPdPKlPlN2at6native12_GLOBAL__N_18offset_tEEE10hipError_tPvRmT1_PNSt15iterator_traitsISK_E10value_typeET2_T3_PNSL_ISQ_E10value_typeET4_jRbjT5_SW_jjP12ihipStream_tbEUlT_E1_NS1_11comp_targetILNS1_3genE8ELNS1_11target_archE1030ELNS1_3gpuE2ELNS1_3repE0EEENS1_59segmented_radix_sort_warp_sort_small_config_static_selectorELNS0_4arch9wavefront6targetE1EEEvSK_,@function
_ZN7rocprim17ROCPRIM_400000_NS6detail17trampoline_kernelINS0_14default_configENS1_36segmented_radix_sort_config_selectorIdlEEZNS1_25segmented_radix_sort_implIS3_Lb1EPKdPdPKlPlN2at6native12_GLOBAL__N_18offset_tEEE10hipError_tPvRmT1_PNSt15iterator_traitsISK_E10value_typeET2_T3_PNSL_ISQ_E10value_typeET4_jRbjT5_SW_jjP12ihipStream_tbEUlT_E1_NS1_11comp_targetILNS1_3genE8ELNS1_11target_archE1030ELNS1_3gpuE2ELNS1_3repE0EEENS1_59segmented_radix_sort_warp_sort_small_config_static_selectorELNS0_4arch9wavefront6targetE1EEEvSK_: ; @_ZN7rocprim17ROCPRIM_400000_NS6detail17trampoline_kernelINS0_14default_configENS1_36segmented_radix_sort_config_selectorIdlEEZNS1_25segmented_radix_sort_implIS3_Lb1EPKdPdPKlPlN2at6native12_GLOBAL__N_18offset_tEEE10hipError_tPvRmT1_PNSt15iterator_traitsISK_E10value_typeET2_T3_PNSL_ISQ_E10value_typeET4_jRbjT5_SW_jjP12ihipStream_tbEUlT_E1_NS1_11comp_targetILNS1_3genE8ELNS1_11target_archE1030ELNS1_3gpuE2ELNS1_3repE0EEENS1_59segmented_radix_sort_warp_sort_small_config_static_selectorELNS0_4arch9wavefront6targetE1EEEvSK_
; %bb.0:
	.section	.rodata,"a",@progbits
	.p2align	6, 0x0
	.amdhsa_kernel _ZN7rocprim17ROCPRIM_400000_NS6detail17trampoline_kernelINS0_14default_configENS1_36segmented_radix_sort_config_selectorIdlEEZNS1_25segmented_radix_sort_implIS3_Lb1EPKdPdPKlPlN2at6native12_GLOBAL__N_18offset_tEEE10hipError_tPvRmT1_PNSt15iterator_traitsISK_E10value_typeET2_T3_PNSL_ISQ_E10value_typeET4_jRbjT5_SW_jjP12ihipStream_tbEUlT_E1_NS1_11comp_targetILNS1_3genE8ELNS1_11target_archE1030ELNS1_3gpuE2ELNS1_3repE0EEENS1_59segmented_radix_sort_warp_sort_small_config_static_selectorELNS0_4arch9wavefront6targetE1EEEvSK_
		.amdhsa_group_segment_fixed_size 0
		.amdhsa_private_segment_fixed_size 0
		.amdhsa_kernarg_size 88
		.amdhsa_user_sgpr_count 6
		.amdhsa_user_sgpr_private_segment_buffer 1
		.amdhsa_user_sgpr_dispatch_ptr 0
		.amdhsa_user_sgpr_queue_ptr 0
		.amdhsa_user_sgpr_kernarg_segment_ptr 1
		.amdhsa_user_sgpr_dispatch_id 0
		.amdhsa_user_sgpr_flat_scratch_init 0
		.amdhsa_user_sgpr_private_segment_size 0
		.amdhsa_uses_dynamic_stack 0
		.amdhsa_system_sgpr_private_segment_wavefront_offset 0
		.amdhsa_system_sgpr_workgroup_id_x 1
		.amdhsa_system_sgpr_workgroup_id_y 0
		.amdhsa_system_sgpr_workgroup_id_z 0
		.amdhsa_system_sgpr_workgroup_info 0
		.amdhsa_system_vgpr_workitem_id 0
		.amdhsa_next_free_vgpr 1
		.amdhsa_next_free_sgpr 0
		.amdhsa_reserve_vcc 0
		.amdhsa_reserve_flat_scratch 0
		.amdhsa_float_round_mode_32 0
		.amdhsa_float_round_mode_16_64 0
		.amdhsa_float_denorm_mode_32 3
		.amdhsa_float_denorm_mode_16_64 3
		.amdhsa_dx10_clamp 1
		.amdhsa_ieee_mode 1
		.amdhsa_fp16_overflow 0
		.amdhsa_exception_fp_ieee_invalid_op 0
		.amdhsa_exception_fp_denorm_src 0
		.amdhsa_exception_fp_ieee_div_zero 0
		.amdhsa_exception_fp_ieee_overflow 0
		.amdhsa_exception_fp_ieee_underflow 0
		.amdhsa_exception_fp_ieee_inexact 0
		.amdhsa_exception_int_div_zero 0
	.end_amdhsa_kernel
	.section	.text._ZN7rocprim17ROCPRIM_400000_NS6detail17trampoline_kernelINS0_14default_configENS1_36segmented_radix_sort_config_selectorIdlEEZNS1_25segmented_radix_sort_implIS3_Lb1EPKdPdPKlPlN2at6native12_GLOBAL__N_18offset_tEEE10hipError_tPvRmT1_PNSt15iterator_traitsISK_E10value_typeET2_T3_PNSL_ISQ_E10value_typeET4_jRbjT5_SW_jjP12ihipStream_tbEUlT_E1_NS1_11comp_targetILNS1_3genE8ELNS1_11target_archE1030ELNS1_3gpuE2ELNS1_3repE0EEENS1_59segmented_radix_sort_warp_sort_small_config_static_selectorELNS0_4arch9wavefront6targetE1EEEvSK_,"axG",@progbits,_ZN7rocprim17ROCPRIM_400000_NS6detail17trampoline_kernelINS0_14default_configENS1_36segmented_radix_sort_config_selectorIdlEEZNS1_25segmented_radix_sort_implIS3_Lb1EPKdPdPKlPlN2at6native12_GLOBAL__N_18offset_tEEE10hipError_tPvRmT1_PNSt15iterator_traitsISK_E10value_typeET2_T3_PNSL_ISQ_E10value_typeET4_jRbjT5_SW_jjP12ihipStream_tbEUlT_E1_NS1_11comp_targetILNS1_3genE8ELNS1_11target_archE1030ELNS1_3gpuE2ELNS1_3repE0EEENS1_59segmented_radix_sort_warp_sort_small_config_static_selectorELNS0_4arch9wavefront6targetE1EEEvSK_,comdat
.Lfunc_end1147:
	.size	_ZN7rocprim17ROCPRIM_400000_NS6detail17trampoline_kernelINS0_14default_configENS1_36segmented_radix_sort_config_selectorIdlEEZNS1_25segmented_radix_sort_implIS3_Lb1EPKdPdPKlPlN2at6native12_GLOBAL__N_18offset_tEEE10hipError_tPvRmT1_PNSt15iterator_traitsISK_E10value_typeET2_T3_PNSL_ISQ_E10value_typeET4_jRbjT5_SW_jjP12ihipStream_tbEUlT_E1_NS1_11comp_targetILNS1_3genE8ELNS1_11target_archE1030ELNS1_3gpuE2ELNS1_3repE0EEENS1_59segmented_radix_sort_warp_sort_small_config_static_selectorELNS0_4arch9wavefront6targetE1EEEvSK_, .Lfunc_end1147-_ZN7rocprim17ROCPRIM_400000_NS6detail17trampoline_kernelINS0_14default_configENS1_36segmented_radix_sort_config_selectorIdlEEZNS1_25segmented_radix_sort_implIS3_Lb1EPKdPdPKlPlN2at6native12_GLOBAL__N_18offset_tEEE10hipError_tPvRmT1_PNSt15iterator_traitsISK_E10value_typeET2_T3_PNSL_ISQ_E10value_typeET4_jRbjT5_SW_jjP12ihipStream_tbEUlT_E1_NS1_11comp_targetILNS1_3genE8ELNS1_11target_archE1030ELNS1_3gpuE2ELNS1_3repE0EEENS1_59segmented_radix_sort_warp_sort_small_config_static_selectorELNS0_4arch9wavefront6targetE1EEEvSK_
                                        ; -- End function
	.set _ZN7rocprim17ROCPRIM_400000_NS6detail17trampoline_kernelINS0_14default_configENS1_36segmented_radix_sort_config_selectorIdlEEZNS1_25segmented_radix_sort_implIS3_Lb1EPKdPdPKlPlN2at6native12_GLOBAL__N_18offset_tEEE10hipError_tPvRmT1_PNSt15iterator_traitsISK_E10value_typeET2_T3_PNSL_ISQ_E10value_typeET4_jRbjT5_SW_jjP12ihipStream_tbEUlT_E1_NS1_11comp_targetILNS1_3genE8ELNS1_11target_archE1030ELNS1_3gpuE2ELNS1_3repE0EEENS1_59segmented_radix_sort_warp_sort_small_config_static_selectorELNS0_4arch9wavefront6targetE1EEEvSK_.num_vgpr, 0
	.set _ZN7rocprim17ROCPRIM_400000_NS6detail17trampoline_kernelINS0_14default_configENS1_36segmented_radix_sort_config_selectorIdlEEZNS1_25segmented_radix_sort_implIS3_Lb1EPKdPdPKlPlN2at6native12_GLOBAL__N_18offset_tEEE10hipError_tPvRmT1_PNSt15iterator_traitsISK_E10value_typeET2_T3_PNSL_ISQ_E10value_typeET4_jRbjT5_SW_jjP12ihipStream_tbEUlT_E1_NS1_11comp_targetILNS1_3genE8ELNS1_11target_archE1030ELNS1_3gpuE2ELNS1_3repE0EEENS1_59segmented_radix_sort_warp_sort_small_config_static_selectorELNS0_4arch9wavefront6targetE1EEEvSK_.num_agpr, 0
	.set _ZN7rocprim17ROCPRIM_400000_NS6detail17trampoline_kernelINS0_14default_configENS1_36segmented_radix_sort_config_selectorIdlEEZNS1_25segmented_radix_sort_implIS3_Lb1EPKdPdPKlPlN2at6native12_GLOBAL__N_18offset_tEEE10hipError_tPvRmT1_PNSt15iterator_traitsISK_E10value_typeET2_T3_PNSL_ISQ_E10value_typeET4_jRbjT5_SW_jjP12ihipStream_tbEUlT_E1_NS1_11comp_targetILNS1_3genE8ELNS1_11target_archE1030ELNS1_3gpuE2ELNS1_3repE0EEENS1_59segmented_radix_sort_warp_sort_small_config_static_selectorELNS0_4arch9wavefront6targetE1EEEvSK_.numbered_sgpr, 0
	.set _ZN7rocprim17ROCPRIM_400000_NS6detail17trampoline_kernelINS0_14default_configENS1_36segmented_radix_sort_config_selectorIdlEEZNS1_25segmented_radix_sort_implIS3_Lb1EPKdPdPKlPlN2at6native12_GLOBAL__N_18offset_tEEE10hipError_tPvRmT1_PNSt15iterator_traitsISK_E10value_typeET2_T3_PNSL_ISQ_E10value_typeET4_jRbjT5_SW_jjP12ihipStream_tbEUlT_E1_NS1_11comp_targetILNS1_3genE8ELNS1_11target_archE1030ELNS1_3gpuE2ELNS1_3repE0EEENS1_59segmented_radix_sort_warp_sort_small_config_static_selectorELNS0_4arch9wavefront6targetE1EEEvSK_.num_named_barrier, 0
	.set _ZN7rocprim17ROCPRIM_400000_NS6detail17trampoline_kernelINS0_14default_configENS1_36segmented_radix_sort_config_selectorIdlEEZNS1_25segmented_radix_sort_implIS3_Lb1EPKdPdPKlPlN2at6native12_GLOBAL__N_18offset_tEEE10hipError_tPvRmT1_PNSt15iterator_traitsISK_E10value_typeET2_T3_PNSL_ISQ_E10value_typeET4_jRbjT5_SW_jjP12ihipStream_tbEUlT_E1_NS1_11comp_targetILNS1_3genE8ELNS1_11target_archE1030ELNS1_3gpuE2ELNS1_3repE0EEENS1_59segmented_radix_sort_warp_sort_small_config_static_selectorELNS0_4arch9wavefront6targetE1EEEvSK_.private_seg_size, 0
	.set _ZN7rocprim17ROCPRIM_400000_NS6detail17trampoline_kernelINS0_14default_configENS1_36segmented_radix_sort_config_selectorIdlEEZNS1_25segmented_radix_sort_implIS3_Lb1EPKdPdPKlPlN2at6native12_GLOBAL__N_18offset_tEEE10hipError_tPvRmT1_PNSt15iterator_traitsISK_E10value_typeET2_T3_PNSL_ISQ_E10value_typeET4_jRbjT5_SW_jjP12ihipStream_tbEUlT_E1_NS1_11comp_targetILNS1_3genE8ELNS1_11target_archE1030ELNS1_3gpuE2ELNS1_3repE0EEENS1_59segmented_radix_sort_warp_sort_small_config_static_selectorELNS0_4arch9wavefront6targetE1EEEvSK_.uses_vcc, 0
	.set _ZN7rocprim17ROCPRIM_400000_NS6detail17trampoline_kernelINS0_14default_configENS1_36segmented_radix_sort_config_selectorIdlEEZNS1_25segmented_radix_sort_implIS3_Lb1EPKdPdPKlPlN2at6native12_GLOBAL__N_18offset_tEEE10hipError_tPvRmT1_PNSt15iterator_traitsISK_E10value_typeET2_T3_PNSL_ISQ_E10value_typeET4_jRbjT5_SW_jjP12ihipStream_tbEUlT_E1_NS1_11comp_targetILNS1_3genE8ELNS1_11target_archE1030ELNS1_3gpuE2ELNS1_3repE0EEENS1_59segmented_radix_sort_warp_sort_small_config_static_selectorELNS0_4arch9wavefront6targetE1EEEvSK_.uses_flat_scratch, 0
	.set _ZN7rocprim17ROCPRIM_400000_NS6detail17trampoline_kernelINS0_14default_configENS1_36segmented_radix_sort_config_selectorIdlEEZNS1_25segmented_radix_sort_implIS3_Lb1EPKdPdPKlPlN2at6native12_GLOBAL__N_18offset_tEEE10hipError_tPvRmT1_PNSt15iterator_traitsISK_E10value_typeET2_T3_PNSL_ISQ_E10value_typeET4_jRbjT5_SW_jjP12ihipStream_tbEUlT_E1_NS1_11comp_targetILNS1_3genE8ELNS1_11target_archE1030ELNS1_3gpuE2ELNS1_3repE0EEENS1_59segmented_radix_sort_warp_sort_small_config_static_selectorELNS0_4arch9wavefront6targetE1EEEvSK_.has_dyn_sized_stack, 0
	.set _ZN7rocprim17ROCPRIM_400000_NS6detail17trampoline_kernelINS0_14default_configENS1_36segmented_radix_sort_config_selectorIdlEEZNS1_25segmented_radix_sort_implIS3_Lb1EPKdPdPKlPlN2at6native12_GLOBAL__N_18offset_tEEE10hipError_tPvRmT1_PNSt15iterator_traitsISK_E10value_typeET2_T3_PNSL_ISQ_E10value_typeET4_jRbjT5_SW_jjP12ihipStream_tbEUlT_E1_NS1_11comp_targetILNS1_3genE8ELNS1_11target_archE1030ELNS1_3gpuE2ELNS1_3repE0EEENS1_59segmented_radix_sort_warp_sort_small_config_static_selectorELNS0_4arch9wavefront6targetE1EEEvSK_.has_recursion, 0
	.set _ZN7rocprim17ROCPRIM_400000_NS6detail17trampoline_kernelINS0_14default_configENS1_36segmented_radix_sort_config_selectorIdlEEZNS1_25segmented_radix_sort_implIS3_Lb1EPKdPdPKlPlN2at6native12_GLOBAL__N_18offset_tEEE10hipError_tPvRmT1_PNSt15iterator_traitsISK_E10value_typeET2_T3_PNSL_ISQ_E10value_typeET4_jRbjT5_SW_jjP12ihipStream_tbEUlT_E1_NS1_11comp_targetILNS1_3genE8ELNS1_11target_archE1030ELNS1_3gpuE2ELNS1_3repE0EEENS1_59segmented_radix_sort_warp_sort_small_config_static_selectorELNS0_4arch9wavefront6targetE1EEEvSK_.has_indirect_call, 0
	.section	.AMDGPU.csdata,"",@progbits
; Kernel info:
; codeLenInByte = 0
; TotalNumSgprs: 4
; NumVgprs: 0
; ScratchSize: 0
; MemoryBound: 0
; FloatMode: 240
; IeeeMode: 1
; LDSByteSize: 0 bytes/workgroup (compile time only)
; SGPRBlocks: 0
; VGPRBlocks: 0
; NumSGPRsForWavesPerEU: 4
; NumVGPRsForWavesPerEU: 1
; Occupancy: 10
; WaveLimiterHint : 0
; COMPUTE_PGM_RSRC2:SCRATCH_EN: 0
; COMPUTE_PGM_RSRC2:USER_SGPR: 6
; COMPUTE_PGM_RSRC2:TRAP_HANDLER: 0
; COMPUTE_PGM_RSRC2:TGID_X_EN: 1
; COMPUTE_PGM_RSRC2:TGID_Y_EN: 0
; COMPUTE_PGM_RSRC2:TGID_Z_EN: 0
; COMPUTE_PGM_RSRC2:TIDIG_COMP_CNT: 0
	.section	.text._ZN7rocprim17ROCPRIM_400000_NS6detail17trampoline_kernelINS0_14default_configENS1_36segmented_radix_sort_config_selectorIdlEEZNS1_25segmented_radix_sort_implIS3_Lb1EPKdPdPKlPlN2at6native12_GLOBAL__N_18offset_tEEE10hipError_tPvRmT1_PNSt15iterator_traitsISK_E10value_typeET2_T3_PNSL_ISQ_E10value_typeET4_jRbjT5_SW_jjP12ihipStream_tbEUlT_E2_NS1_11comp_targetILNS1_3genE0ELNS1_11target_archE4294967295ELNS1_3gpuE0ELNS1_3repE0EEENS1_30default_config_static_selectorELNS0_4arch9wavefront6targetE1EEEvSK_,"axG",@progbits,_ZN7rocprim17ROCPRIM_400000_NS6detail17trampoline_kernelINS0_14default_configENS1_36segmented_radix_sort_config_selectorIdlEEZNS1_25segmented_radix_sort_implIS3_Lb1EPKdPdPKlPlN2at6native12_GLOBAL__N_18offset_tEEE10hipError_tPvRmT1_PNSt15iterator_traitsISK_E10value_typeET2_T3_PNSL_ISQ_E10value_typeET4_jRbjT5_SW_jjP12ihipStream_tbEUlT_E2_NS1_11comp_targetILNS1_3genE0ELNS1_11target_archE4294967295ELNS1_3gpuE0ELNS1_3repE0EEENS1_30default_config_static_selectorELNS0_4arch9wavefront6targetE1EEEvSK_,comdat
	.globl	_ZN7rocprim17ROCPRIM_400000_NS6detail17trampoline_kernelINS0_14default_configENS1_36segmented_radix_sort_config_selectorIdlEEZNS1_25segmented_radix_sort_implIS3_Lb1EPKdPdPKlPlN2at6native12_GLOBAL__N_18offset_tEEE10hipError_tPvRmT1_PNSt15iterator_traitsISK_E10value_typeET2_T3_PNSL_ISQ_E10value_typeET4_jRbjT5_SW_jjP12ihipStream_tbEUlT_E2_NS1_11comp_targetILNS1_3genE0ELNS1_11target_archE4294967295ELNS1_3gpuE0ELNS1_3repE0EEENS1_30default_config_static_selectorELNS0_4arch9wavefront6targetE1EEEvSK_ ; -- Begin function _ZN7rocprim17ROCPRIM_400000_NS6detail17trampoline_kernelINS0_14default_configENS1_36segmented_radix_sort_config_selectorIdlEEZNS1_25segmented_radix_sort_implIS3_Lb1EPKdPdPKlPlN2at6native12_GLOBAL__N_18offset_tEEE10hipError_tPvRmT1_PNSt15iterator_traitsISK_E10value_typeET2_T3_PNSL_ISQ_E10value_typeET4_jRbjT5_SW_jjP12ihipStream_tbEUlT_E2_NS1_11comp_targetILNS1_3genE0ELNS1_11target_archE4294967295ELNS1_3gpuE0ELNS1_3repE0EEENS1_30default_config_static_selectorELNS0_4arch9wavefront6targetE1EEEvSK_
	.p2align	8
	.type	_ZN7rocprim17ROCPRIM_400000_NS6detail17trampoline_kernelINS0_14default_configENS1_36segmented_radix_sort_config_selectorIdlEEZNS1_25segmented_radix_sort_implIS3_Lb1EPKdPdPKlPlN2at6native12_GLOBAL__N_18offset_tEEE10hipError_tPvRmT1_PNSt15iterator_traitsISK_E10value_typeET2_T3_PNSL_ISQ_E10value_typeET4_jRbjT5_SW_jjP12ihipStream_tbEUlT_E2_NS1_11comp_targetILNS1_3genE0ELNS1_11target_archE4294967295ELNS1_3gpuE0ELNS1_3repE0EEENS1_30default_config_static_selectorELNS0_4arch9wavefront6targetE1EEEvSK_,@function
_ZN7rocprim17ROCPRIM_400000_NS6detail17trampoline_kernelINS0_14default_configENS1_36segmented_radix_sort_config_selectorIdlEEZNS1_25segmented_radix_sort_implIS3_Lb1EPKdPdPKlPlN2at6native12_GLOBAL__N_18offset_tEEE10hipError_tPvRmT1_PNSt15iterator_traitsISK_E10value_typeET2_T3_PNSL_ISQ_E10value_typeET4_jRbjT5_SW_jjP12ihipStream_tbEUlT_E2_NS1_11comp_targetILNS1_3genE0ELNS1_11target_archE4294967295ELNS1_3gpuE0ELNS1_3repE0EEENS1_30default_config_static_selectorELNS0_4arch9wavefront6targetE1EEEvSK_: ; @_ZN7rocprim17ROCPRIM_400000_NS6detail17trampoline_kernelINS0_14default_configENS1_36segmented_radix_sort_config_selectorIdlEEZNS1_25segmented_radix_sort_implIS3_Lb1EPKdPdPKlPlN2at6native12_GLOBAL__N_18offset_tEEE10hipError_tPvRmT1_PNSt15iterator_traitsISK_E10value_typeET2_T3_PNSL_ISQ_E10value_typeET4_jRbjT5_SW_jjP12ihipStream_tbEUlT_E2_NS1_11comp_targetILNS1_3genE0ELNS1_11target_archE4294967295ELNS1_3gpuE0ELNS1_3repE0EEENS1_30default_config_static_selectorELNS0_4arch9wavefront6targetE1EEEvSK_
; %bb.0:
	.section	.rodata,"a",@progbits
	.p2align	6, 0x0
	.amdhsa_kernel _ZN7rocprim17ROCPRIM_400000_NS6detail17trampoline_kernelINS0_14default_configENS1_36segmented_radix_sort_config_selectorIdlEEZNS1_25segmented_radix_sort_implIS3_Lb1EPKdPdPKlPlN2at6native12_GLOBAL__N_18offset_tEEE10hipError_tPvRmT1_PNSt15iterator_traitsISK_E10value_typeET2_T3_PNSL_ISQ_E10value_typeET4_jRbjT5_SW_jjP12ihipStream_tbEUlT_E2_NS1_11comp_targetILNS1_3genE0ELNS1_11target_archE4294967295ELNS1_3gpuE0ELNS1_3repE0EEENS1_30default_config_static_selectorELNS0_4arch9wavefront6targetE1EEEvSK_
		.amdhsa_group_segment_fixed_size 0
		.amdhsa_private_segment_fixed_size 0
		.amdhsa_kernarg_size 80
		.amdhsa_user_sgpr_count 6
		.amdhsa_user_sgpr_private_segment_buffer 1
		.amdhsa_user_sgpr_dispatch_ptr 0
		.amdhsa_user_sgpr_queue_ptr 0
		.amdhsa_user_sgpr_kernarg_segment_ptr 1
		.amdhsa_user_sgpr_dispatch_id 0
		.amdhsa_user_sgpr_flat_scratch_init 0
		.amdhsa_user_sgpr_private_segment_size 0
		.amdhsa_uses_dynamic_stack 0
		.amdhsa_system_sgpr_private_segment_wavefront_offset 0
		.amdhsa_system_sgpr_workgroup_id_x 1
		.amdhsa_system_sgpr_workgroup_id_y 0
		.amdhsa_system_sgpr_workgroup_id_z 0
		.amdhsa_system_sgpr_workgroup_info 0
		.amdhsa_system_vgpr_workitem_id 0
		.amdhsa_next_free_vgpr 1
		.amdhsa_next_free_sgpr 0
		.amdhsa_reserve_vcc 0
		.amdhsa_reserve_flat_scratch 0
		.amdhsa_float_round_mode_32 0
		.amdhsa_float_round_mode_16_64 0
		.amdhsa_float_denorm_mode_32 3
		.amdhsa_float_denorm_mode_16_64 3
		.amdhsa_dx10_clamp 1
		.amdhsa_ieee_mode 1
		.amdhsa_fp16_overflow 0
		.amdhsa_exception_fp_ieee_invalid_op 0
		.amdhsa_exception_fp_denorm_src 0
		.amdhsa_exception_fp_ieee_div_zero 0
		.amdhsa_exception_fp_ieee_overflow 0
		.amdhsa_exception_fp_ieee_underflow 0
		.amdhsa_exception_fp_ieee_inexact 0
		.amdhsa_exception_int_div_zero 0
	.end_amdhsa_kernel
	.section	.text._ZN7rocprim17ROCPRIM_400000_NS6detail17trampoline_kernelINS0_14default_configENS1_36segmented_radix_sort_config_selectorIdlEEZNS1_25segmented_radix_sort_implIS3_Lb1EPKdPdPKlPlN2at6native12_GLOBAL__N_18offset_tEEE10hipError_tPvRmT1_PNSt15iterator_traitsISK_E10value_typeET2_T3_PNSL_ISQ_E10value_typeET4_jRbjT5_SW_jjP12ihipStream_tbEUlT_E2_NS1_11comp_targetILNS1_3genE0ELNS1_11target_archE4294967295ELNS1_3gpuE0ELNS1_3repE0EEENS1_30default_config_static_selectorELNS0_4arch9wavefront6targetE1EEEvSK_,"axG",@progbits,_ZN7rocprim17ROCPRIM_400000_NS6detail17trampoline_kernelINS0_14default_configENS1_36segmented_radix_sort_config_selectorIdlEEZNS1_25segmented_radix_sort_implIS3_Lb1EPKdPdPKlPlN2at6native12_GLOBAL__N_18offset_tEEE10hipError_tPvRmT1_PNSt15iterator_traitsISK_E10value_typeET2_T3_PNSL_ISQ_E10value_typeET4_jRbjT5_SW_jjP12ihipStream_tbEUlT_E2_NS1_11comp_targetILNS1_3genE0ELNS1_11target_archE4294967295ELNS1_3gpuE0ELNS1_3repE0EEENS1_30default_config_static_selectorELNS0_4arch9wavefront6targetE1EEEvSK_,comdat
.Lfunc_end1148:
	.size	_ZN7rocprim17ROCPRIM_400000_NS6detail17trampoline_kernelINS0_14default_configENS1_36segmented_radix_sort_config_selectorIdlEEZNS1_25segmented_radix_sort_implIS3_Lb1EPKdPdPKlPlN2at6native12_GLOBAL__N_18offset_tEEE10hipError_tPvRmT1_PNSt15iterator_traitsISK_E10value_typeET2_T3_PNSL_ISQ_E10value_typeET4_jRbjT5_SW_jjP12ihipStream_tbEUlT_E2_NS1_11comp_targetILNS1_3genE0ELNS1_11target_archE4294967295ELNS1_3gpuE0ELNS1_3repE0EEENS1_30default_config_static_selectorELNS0_4arch9wavefront6targetE1EEEvSK_, .Lfunc_end1148-_ZN7rocprim17ROCPRIM_400000_NS6detail17trampoline_kernelINS0_14default_configENS1_36segmented_radix_sort_config_selectorIdlEEZNS1_25segmented_radix_sort_implIS3_Lb1EPKdPdPKlPlN2at6native12_GLOBAL__N_18offset_tEEE10hipError_tPvRmT1_PNSt15iterator_traitsISK_E10value_typeET2_T3_PNSL_ISQ_E10value_typeET4_jRbjT5_SW_jjP12ihipStream_tbEUlT_E2_NS1_11comp_targetILNS1_3genE0ELNS1_11target_archE4294967295ELNS1_3gpuE0ELNS1_3repE0EEENS1_30default_config_static_selectorELNS0_4arch9wavefront6targetE1EEEvSK_
                                        ; -- End function
	.set _ZN7rocprim17ROCPRIM_400000_NS6detail17trampoline_kernelINS0_14default_configENS1_36segmented_radix_sort_config_selectorIdlEEZNS1_25segmented_radix_sort_implIS3_Lb1EPKdPdPKlPlN2at6native12_GLOBAL__N_18offset_tEEE10hipError_tPvRmT1_PNSt15iterator_traitsISK_E10value_typeET2_T3_PNSL_ISQ_E10value_typeET4_jRbjT5_SW_jjP12ihipStream_tbEUlT_E2_NS1_11comp_targetILNS1_3genE0ELNS1_11target_archE4294967295ELNS1_3gpuE0ELNS1_3repE0EEENS1_30default_config_static_selectorELNS0_4arch9wavefront6targetE1EEEvSK_.num_vgpr, 0
	.set _ZN7rocprim17ROCPRIM_400000_NS6detail17trampoline_kernelINS0_14default_configENS1_36segmented_radix_sort_config_selectorIdlEEZNS1_25segmented_radix_sort_implIS3_Lb1EPKdPdPKlPlN2at6native12_GLOBAL__N_18offset_tEEE10hipError_tPvRmT1_PNSt15iterator_traitsISK_E10value_typeET2_T3_PNSL_ISQ_E10value_typeET4_jRbjT5_SW_jjP12ihipStream_tbEUlT_E2_NS1_11comp_targetILNS1_3genE0ELNS1_11target_archE4294967295ELNS1_3gpuE0ELNS1_3repE0EEENS1_30default_config_static_selectorELNS0_4arch9wavefront6targetE1EEEvSK_.num_agpr, 0
	.set _ZN7rocprim17ROCPRIM_400000_NS6detail17trampoline_kernelINS0_14default_configENS1_36segmented_radix_sort_config_selectorIdlEEZNS1_25segmented_radix_sort_implIS3_Lb1EPKdPdPKlPlN2at6native12_GLOBAL__N_18offset_tEEE10hipError_tPvRmT1_PNSt15iterator_traitsISK_E10value_typeET2_T3_PNSL_ISQ_E10value_typeET4_jRbjT5_SW_jjP12ihipStream_tbEUlT_E2_NS1_11comp_targetILNS1_3genE0ELNS1_11target_archE4294967295ELNS1_3gpuE0ELNS1_3repE0EEENS1_30default_config_static_selectorELNS0_4arch9wavefront6targetE1EEEvSK_.numbered_sgpr, 0
	.set _ZN7rocprim17ROCPRIM_400000_NS6detail17trampoline_kernelINS0_14default_configENS1_36segmented_radix_sort_config_selectorIdlEEZNS1_25segmented_radix_sort_implIS3_Lb1EPKdPdPKlPlN2at6native12_GLOBAL__N_18offset_tEEE10hipError_tPvRmT1_PNSt15iterator_traitsISK_E10value_typeET2_T3_PNSL_ISQ_E10value_typeET4_jRbjT5_SW_jjP12ihipStream_tbEUlT_E2_NS1_11comp_targetILNS1_3genE0ELNS1_11target_archE4294967295ELNS1_3gpuE0ELNS1_3repE0EEENS1_30default_config_static_selectorELNS0_4arch9wavefront6targetE1EEEvSK_.num_named_barrier, 0
	.set _ZN7rocprim17ROCPRIM_400000_NS6detail17trampoline_kernelINS0_14default_configENS1_36segmented_radix_sort_config_selectorIdlEEZNS1_25segmented_radix_sort_implIS3_Lb1EPKdPdPKlPlN2at6native12_GLOBAL__N_18offset_tEEE10hipError_tPvRmT1_PNSt15iterator_traitsISK_E10value_typeET2_T3_PNSL_ISQ_E10value_typeET4_jRbjT5_SW_jjP12ihipStream_tbEUlT_E2_NS1_11comp_targetILNS1_3genE0ELNS1_11target_archE4294967295ELNS1_3gpuE0ELNS1_3repE0EEENS1_30default_config_static_selectorELNS0_4arch9wavefront6targetE1EEEvSK_.private_seg_size, 0
	.set _ZN7rocprim17ROCPRIM_400000_NS6detail17trampoline_kernelINS0_14default_configENS1_36segmented_radix_sort_config_selectorIdlEEZNS1_25segmented_radix_sort_implIS3_Lb1EPKdPdPKlPlN2at6native12_GLOBAL__N_18offset_tEEE10hipError_tPvRmT1_PNSt15iterator_traitsISK_E10value_typeET2_T3_PNSL_ISQ_E10value_typeET4_jRbjT5_SW_jjP12ihipStream_tbEUlT_E2_NS1_11comp_targetILNS1_3genE0ELNS1_11target_archE4294967295ELNS1_3gpuE0ELNS1_3repE0EEENS1_30default_config_static_selectorELNS0_4arch9wavefront6targetE1EEEvSK_.uses_vcc, 0
	.set _ZN7rocprim17ROCPRIM_400000_NS6detail17trampoline_kernelINS0_14default_configENS1_36segmented_radix_sort_config_selectorIdlEEZNS1_25segmented_radix_sort_implIS3_Lb1EPKdPdPKlPlN2at6native12_GLOBAL__N_18offset_tEEE10hipError_tPvRmT1_PNSt15iterator_traitsISK_E10value_typeET2_T3_PNSL_ISQ_E10value_typeET4_jRbjT5_SW_jjP12ihipStream_tbEUlT_E2_NS1_11comp_targetILNS1_3genE0ELNS1_11target_archE4294967295ELNS1_3gpuE0ELNS1_3repE0EEENS1_30default_config_static_selectorELNS0_4arch9wavefront6targetE1EEEvSK_.uses_flat_scratch, 0
	.set _ZN7rocprim17ROCPRIM_400000_NS6detail17trampoline_kernelINS0_14default_configENS1_36segmented_radix_sort_config_selectorIdlEEZNS1_25segmented_radix_sort_implIS3_Lb1EPKdPdPKlPlN2at6native12_GLOBAL__N_18offset_tEEE10hipError_tPvRmT1_PNSt15iterator_traitsISK_E10value_typeET2_T3_PNSL_ISQ_E10value_typeET4_jRbjT5_SW_jjP12ihipStream_tbEUlT_E2_NS1_11comp_targetILNS1_3genE0ELNS1_11target_archE4294967295ELNS1_3gpuE0ELNS1_3repE0EEENS1_30default_config_static_selectorELNS0_4arch9wavefront6targetE1EEEvSK_.has_dyn_sized_stack, 0
	.set _ZN7rocprim17ROCPRIM_400000_NS6detail17trampoline_kernelINS0_14default_configENS1_36segmented_radix_sort_config_selectorIdlEEZNS1_25segmented_radix_sort_implIS3_Lb1EPKdPdPKlPlN2at6native12_GLOBAL__N_18offset_tEEE10hipError_tPvRmT1_PNSt15iterator_traitsISK_E10value_typeET2_T3_PNSL_ISQ_E10value_typeET4_jRbjT5_SW_jjP12ihipStream_tbEUlT_E2_NS1_11comp_targetILNS1_3genE0ELNS1_11target_archE4294967295ELNS1_3gpuE0ELNS1_3repE0EEENS1_30default_config_static_selectorELNS0_4arch9wavefront6targetE1EEEvSK_.has_recursion, 0
	.set _ZN7rocprim17ROCPRIM_400000_NS6detail17trampoline_kernelINS0_14default_configENS1_36segmented_radix_sort_config_selectorIdlEEZNS1_25segmented_radix_sort_implIS3_Lb1EPKdPdPKlPlN2at6native12_GLOBAL__N_18offset_tEEE10hipError_tPvRmT1_PNSt15iterator_traitsISK_E10value_typeET2_T3_PNSL_ISQ_E10value_typeET4_jRbjT5_SW_jjP12ihipStream_tbEUlT_E2_NS1_11comp_targetILNS1_3genE0ELNS1_11target_archE4294967295ELNS1_3gpuE0ELNS1_3repE0EEENS1_30default_config_static_selectorELNS0_4arch9wavefront6targetE1EEEvSK_.has_indirect_call, 0
	.section	.AMDGPU.csdata,"",@progbits
; Kernel info:
; codeLenInByte = 0
; TotalNumSgprs: 4
; NumVgprs: 0
; ScratchSize: 0
; MemoryBound: 0
; FloatMode: 240
; IeeeMode: 1
; LDSByteSize: 0 bytes/workgroup (compile time only)
; SGPRBlocks: 0
; VGPRBlocks: 0
; NumSGPRsForWavesPerEU: 4
; NumVGPRsForWavesPerEU: 1
; Occupancy: 10
; WaveLimiterHint : 0
; COMPUTE_PGM_RSRC2:SCRATCH_EN: 0
; COMPUTE_PGM_RSRC2:USER_SGPR: 6
; COMPUTE_PGM_RSRC2:TRAP_HANDLER: 0
; COMPUTE_PGM_RSRC2:TGID_X_EN: 1
; COMPUTE_PGM_RSRC2:TGID_Y_EN: 0
; COMPUTE_PGM_RSRC2:TGID_Z_EN: 0
; COMPUTE_PGM_RSRC2:TIDIG_COMP_CNT: 0
	.section	.text._ZN7rocprim17ROCPRIM_400000_NS6detail17trampoline_kernelINS0_14default_configENS1_36segmented_radix_sort_config_selectorIdlEEZNS1_25segmented_radix_sort_implIS3_Lb1EPKdPdPKlPlN2at6native12_GLOBAL__N_18offset_tEEE10hipError_tPvRmT1_PNSt15iterator_traitsISK_E10value_typeET2_T3_PNSL_ISQ_E10value_typeET4_jRbjT5_SW_jjP12ihipStream_tbEUlT_E2_NS1_11comp_targetILNS1_3genE5ELNS1_11target_archE942ELNS1_3gpuE9ELNS1_3repE0EEENS1_30default_config_static_selectorELNS0_4arch9wavefront6targetE1EEEvSK_,"axG",@progbits,_ZN7rocprim17ROCPRIM_400000_NS6detail17trampoline_kernelINS0_14default_configENS1_36segmented_radix_sort_config_selectorIdlEEZNS1_25segmented_radix_sort_implIS3_Lb1EPKdPdPKlPlN2at6native12_GLOBAL__N_18offset_tEEE10hipError_tPvRmT1_PNSt15iterator_traitsISK_E10value_typeET2_T3_PNSL_ISQ_E10value_typeET4_jRbjT5_SW_jjP12ihipStream_tbEUlT_E2_NS1_11comp_targetILNS1_3genE5ELNS1_11target_archE942ELNS1_3gpuE9ELNS1_3repE0EEENS1_30default_config_static_selectorELNS0_4arch9wavefront6targetE1EEEvSK_,comdat
	.globl	_ZN7rocprim17ROCPRIM_400000_NS6detail17trampoline_kernelINS0_14default_configENS1_36segmented_radix_sort_config_selectorIdlEEZNS1_25segmented_radix_sort_implIS3_Lb1EPKdPdPKlPlN2at6native12_GLOBAL__N_18offset_tEEE10hipError_tPvRmT1_PNSt15iterator_traitsISK_E10value_typeET2_T3_PNSL_ISQ_E10value_typeET4_jRbjT5_SW_jjP12ihipStream_tbEUlT_E2_NS1_11comp_targetILNS1_3genE5ELNS1_11target_archE942ELNS1_3gpuE9ELNS1_3repE0EEENS1_30default_config_static_selectorELNS0_4arch9wavefront6targetE1EEEvSK_ ; -- Begin function _ZN7rocprim17ROCPRIM_400000_NS6detail17trampoline_kernelINS0_14default_configENS1_36segmented_radix_sort_config_selectorIdlEEZNS1_25segmented_radix_sort_implIS3_Lb1EPKdPdPKlPlN2at6native12_GLOBAL__N_18offset_tEEE10hipError_tPvRmT1_PNSt15iterator_traitsISK_E10value_typeET2_T3_PNSL_ISQ_E10value_typeET4_jRbjT5_SW_jjP12ihipStream_tbEUlT_E2_NS1_11comp_targetILNS1_3genE5ELNS1_11target_archE942ELNS1_3gpuE9ELNS1_3repE0EEENS1_30default_config_static_selectorELNS0_4arch9wavefront6targetE1EEEvSK_
	.p2align	8
	.type	_ZN7rocprim17ROCPRIM_400000_NS6detail17trampoline_kernelINS0_14default_configENS1_36segmented_radix_sort_config_selectorIdlEEZNS1_25segmented_radix_sort_implIS3_Lb1EPKdPdPKlPlN2at6native12_GLOBAL__N_18offset_tEEE10hipError_tPvRmT1_PNSt15iterator_traitsISK_E10value_typeET2_T3_PNSL_ISQ_E10value_typeET4_jRbjT5_SW_jjP12ihipStream_tbEUlT_E2_NS1_11comp_targetILNS1_3genE5ELNS1_11target_archE942ELNS1_3gpuE9ELNS1_3repE0EEENS1_30default_config_static_selectorELNS0_4arch9wavefront6targetE1EEEvSK_,@function
_ZN7rocprim17ROCPRIM_400000_NS6detail17trampoline_kernelINS0_14default_configENS1_36segmented_radix_sort_config_selectorIdlEEZNS1_25segmented_radix_sort_implIS3_Lb1EPKdPdPKlPlN2at6native12_GLOBAL__N_18offset_tEEE10hipError_tPvRmT1_PNSt15iterator_traitsISK_E10value_typeET2_T3_PNSL_ISQ_E10value_typeET4_jRbjT5_SW_jjP12ihipStream_tbEUlT_E2_NS1_11comp_targetILNS1_3genE5ELNS1_11target_archE942ELNS1_3gpuE9ELNS1_3repE0EEENS1_30default_config_static_selectorELNS0_4arch9wavefront6targetE1EEEvSK_: ; @_ZN7rocprim17ROCPRIM_400000_NS6detail17trampoline_kernelINS0_14default_configENS1_36segmented_radix_sort_config_selectorIdlEEZNS1_25segmented_radix_sort_implIS3_Lb1EPKdPdPKlPlN2at6native12_GLOBAL__N_18offset_tEEE10hipError_tPvRmT1_PNSt15iterator_traitsISK_E10value_typeET2_T3_PNSL_ISQ_E10value_typeET4_jRbjT5_SW_jjP12ihipStream_tbEUlT_E2_NS1_11comp_targetILNS1_3genE5ELNS1_11target_archE942ELNS1_3gpuE9ELNS1_3repE0EEENS1_30default_config_static_selectorELNS0_4arch9wavefront6targetE1EEEvSK_
; %bb.0:
	.section	.rodata,"a",@progbits
	.p2align	6, 0x0
	.amdhsa_kernel _ZN7rocprim17ROCPRIM_400000_NS6detail17trampoline_kernelINS0_14default_configENS1_36segmented_radix_sort_config_selectorIdlEEZNS1_25segmented_radix_sort_implIS3_Lb1EPKdPdPKlPlN2at6native12_GLOBAL__N_18offset_tEEE10hipError_tPvRmT1_PNSt15iterator_traitsISK_E10value_typeET2_T3_PNSL_ISQ_E10value_typeET4_jRbjT5_SW_jjP12ihipStream_tbEUlT_E2_NS1_11comp_targetILNS1_3genE5ELNS1_11target_archE942ELNS1_3gpuE9ELNS1_3repE0EEENS1_30default_config_static_selectorELNS0_4arch9wavefront6targetE1EEEvSK_
		.amdhsa_group_segment_fixed_size 0
		.amdhsa_private_segment_fixed_size 0
		.amdhsa_kernarg_size 80
		.amdhsa_user_sgpr_count 6
		.amdhsa_user_sgpr_private_segment_buffer 1
		.amdhsa_user_sgpr_dispatch_ptr 0
		.amdhsa_user_sgpr_queue_ptr 0
		.amdhsa_user_sgpr_kernarg_segment_ptr 1
		.amdhsa_user_sgpr_dispatch_id 0
		.amdhsa_user_sgpr_flat_scratch_init 0
		.amdhsa_user_sgpr_private_segment_size 0
		.amdhsa_uses_dynamic_stack 0
		.amdhsa_system_sgpr_private_segment_wavefront_offset 0
		.amdhsa_system_sgpr_workgroup_id_x 1
		.amdhsa_system_sgpr_workgroup_id_y 0
		.amdhsa_system_sgpr_workgroup_id_z 0
		.amdhsa_system_sgpr_workgroup_info 0
		.amdhsa_system_vgpr_workitem_id 0
		.amdhsa_next_free_vgpr 1
		.amdhsa_next_free_sgpr 0
		.amdhsa_reserve_vcc 0
		.amdhsa_reserve_flat_scratch 0
		.amdhsa_float_round_mode_32 0
		.amdhsa_float_round_mode_16_64 0
		.amdhsa_float_denorm_mode_32 3
		.amdhsa_float_denorm_mode_16_64 3
		.amdhsa_dx10_clamp 1
		.amdhsa_ieee_mode 1
		.amdhsa_fp16_overflow 0
		.amdhsa_exception_fp_ieee_invalid_op 0
		.amdhsa_exception_fp_denorm_src 0
		.amdhsa_exception_fp_ieee_div_zero 0
		.amdhsa_exception_fp_ieee_overflow 0
		.amdhsa_exception_fp_ieee_underflow 0
		.amdhsa_exception_fp_ieee_inexact 0
		.amdhsa_exception_int_div_zero 0
	.end_amdhsa_kernel
	.section	.text._ZN7rocprim17ROCPRIM_400000_NS6detail17trampoline_kernelINS0_14default_configENS1_36segmented_radix_sort_config_selectorIdlEEZNS1_25segmented_radix_sort_implIS3_Lb1EPKdPdPKlPlN2at6native12_GLOBAL__N_18offset_tEEE10hipError_tPvRmT1_PNSt15iterator_traitsISK_E10value_typeET2_T3_PNSL_ISQ_E10value_typeET4_jRbjT5_SW_jjP12ihipStream_tbEUlT_E2_NS1_11comp_targetILNS1_3genE5ELNS1_11target_archE942ELNS1_3gpuE9ELNS1_3repE0EEENS1_30default_config_static_selectorELNS0_4arch9wavefront6targetE1EEEvSK_,"axG",@progbits,_ZN7rocprim17ROCPRIM_400000_NS6detail17trampoline_kernelINS0_14default_configENS1_36segmented_radix_sort_config_selectorIdlEEZNS1_25segmented_radix_sort_implIS3_Lb1EPKdPdPKlPlN2at6native12_GLOBAL__N_18offset_tEEE10hipError_tPvRmT1_PNSt15iterator_traitsISK_E10value_typeET2_T3_PNSL_ISQ_E10value_typeET4_jRbjT5_SW_jjP12ihipStream_tbEUlT_E2_NS1_11comp_targetILNS1_3genE5ELNS1_11target_archE942ELNS1_3gpuE9ELNS1_3repE0EEENS1_30default_config_static_selectorELNS0_4arch9wavefront6targetE1EEEvSK_,comdat
.Lfunc_end1149:
	.size	_ZN7rocprim17ROCPRIM_400000_NS6detail17trampoline_kernelINS0_14default_configENS1_36segmented_radix_sort_config_selectorIdlEEZNS1_25segmented_radix_sort_implIS3_Lb1EPKdPdPKlPlN2at6native12_GLOBAL__N_18offset_tEEE10hipError_tPvRmT1_PNSt15iterator_traitsISK_E10value_typeET2_T3_PNSL_ISQ_E10value_typeET4_jRbjT5_SW_jjP12ihipStream_tbEUlT_E2_NS1_11comp_targetILNS1_3genE5ELNS1_11target_archE942ELNS1_3gpuE9ELNS1_3repE0EEENS1_30default_config_static_selectorELNS0_4arch9wavefront6targetE1EEEvSK_, .Lfunc_end1149-_ZN7rocprim17ROCPRIM_400000_NS6detail17trampoline_kernelINS0_14default_configENS1_36segmented_radix_sort_config_selectorIdlEEZNS1_25segmented_radix_sort_implIS3_Lb1EPKdPdPKlPlN2at6native12_GLOBAL__N_18offset_tEEE10hipError_tPvRmT1_PNSt15iterator_traitsISK_E10value_typeET2_T3_PNSL_ISQ_E10value_typeET4_jRbjT5_SW_jjP12ihipStream_tbEUlT_E2_NS1_11comp_targetILNS1_3genE5ELNS1_11target_archE942ELNS1_3gpuE9ELNS1_3repE0EEENS1_30default_config_static_selectorELNS0_4arch9wavefront6targetE1EEEvSK_
                                        ; -- End function
	.set _ZN7rocprim17ROCPRIM_400000_NS6detail17trampoline_kernelINS0_14default_configENS1_36segmented_radix_sort_config_selectorIdlEEZNS1_25segmented_radix_sort_implIS3_Lb1EPKdPdPKlPlN2at6native12_GLOBAL__N_18offset_tEEE10hipError_tPvRmT1_PNSt15iterator_traitsISK_E10value_typeET2_T3_PNSL_ISQ_E10value_typeET4_jRbjT5_SW_jjP12ihipStream_tbEUlT_E2_NS1_11comp_targetILNS1_3genE5ELNS1_11target_archE942ELNS1_3gpuE9ELNS1_3repE0EEENS1_30default_config_static_selectorELNS0_4arch9wavefront6targetE1EEEvSK_.num_vgpr, 0
	.set _ZN7rocprim17ROCPRIM_400000_NS6detail17trampoline_kernelINS0_14default_configENS1_36segmented_radix_sort_config_selectorIdlEEZNS1_25segmented_radix_sort_implIS3_Lb1EPKdPdPKlPlN2at6native12_GLOBAL__N_18offset_tEEE10hipError_tPvRmT1_PNSt15iterator_traitsISK_E10value_typeET2_T3_PNSL_ISQ_E10value_typeET4_jRbjT5_SW_jjP12ihipStream_tbEUlT_E2_NS1_11comp_targetILNS1_3genE5ELNS1_11target_archE942ELNS1_3gpuE9ELNS1_3repE0EEENS1_30default_config_static_selectorELNS0_4arch9wavefront6targetE1EEEvSK_.num_agpr, 0
	.set _ZN7rocprim17ROCPRIM_400000_NS6detail17trampoline_kernelINS0_14default_configENS1_36segmented_radix_sort_config_selectorIdlEEZNS1_25segmented_radix_sort_implIS3_Lb1EPKdPdPKlPlN2at6native12_GLOBAL__N_18offset_tEEE10hipError_tPvRmT1_PNSt15iterator_traitsISK_E10value_typeET2_T3_PNSL_ISQ_E10value_typeET4_jRbjT5_SW_jjP12ihipStream_tbEUlT_E2_NS1_11comp_targetILNS1_3genE5ELNS1_11target_archE942ELNS1_3gpuE9ELNS1_3repE0EEENS1_30default_config_static_selectorELNS0_4arch9wavefront6targetE1EEEvSK_.numbered_sgpr, 0
	.set _ZN7rocprim17ROCPRIM_400000_NS6detail17trampoline_kernelINS0_14default_configENS1_36segmented_radix_sort_config_selectorIdlEEZNS1_25segmented_radix_sort_implIS3_Lb1EPKdPdPKlPlN2at6native12_GLOBAL__N_18offset_tEEE10hipError_tPvRmT1_PNSt15iterator_traitsISK_E10value_typeET2_T3_PNSL_ISQ_E10value_typeET4_jRbjT5_SW_jjP12ihipStream_tbEUlT_E2_NS1_11comp_targetILNS1_3genE5ELNS1_11target_archE942ELNS1_3gpuE9ELNS1_3repE0EEENS1_30default_config_static_selectorELNS0_4arch9wavefront6targetE1EEEvSK_.num_named_barrier, 0
	.set _ZN7rocprim17ROCPRIM_400000_NS6detail17trampoline_kernelINS0_14default_configENS1_36segmented_radix_sort_config_selectorIdlEEZNS1_25segmented_radix_sort_implIS3_Lb1EPKdPdPKlPlN2at6native12_GLOBAL__N_18offset_tEEE10hipError_tPvRmT1_PNSt15iterator_traitsISK_E10value_typeET2_T3_PNSL_ISQ_E10value_typeET4_jRbjT5_SW_jjP12ihipStream_tbEUlT_E2_NS1_11comp_targetILNS1_3genE5ELNS1_11target_archE942ELNS1_3gpuE9ELNS1_3repE0EEENS1_30default_config_static_selectorELNS0_4arch9wavefront6targetE1EEEvSK_.private_seg_size, 0
	.set _ZN7rocprim17ROCPRIM_400000_NS6detail17trampoline_kernelINS0_14default_configENS1_36segmented_radix_sort_config_selectorIdlEEZNS1_25segmented_radix_sort_implIS3_Lb1EPKdPdPKlPlN2at6native12_GLOBAL__N_18offset_tEEE10hipError_tPvRmT1_PNSt15iterator_traitsISK_E10value_typeET2_T3_PNSL_ISQ_E10value_typeET4_jRbjT5_SW_jjP12ihipStream_tbEUlT_E2_NS1_11comp_targetILNS1_3genE5ELNS1_11target_archE942ELNS1_3gpuE9ELNS1_3repE0EEENS1_30default_config_static_selectorELNS0_4arch9wavefront6targetE1EEEvSK_.uses_vcc, 0
	.set _ZN7rocprim17ROCPRIM_400000_NS6detail17trampoline_kernelINS0_14default_configENS1_36segmented_radix_sort_config_selectorIdlEEZNS1_25segmented_radix_sort_implIS3_Lb1EPKdPdPKlPlN2at6native12_GLOBAL__N_18offset_tEEE10hipError_tPvRmT1_PNSt15iterator_traitsISK_E10value_typeET2_T3_PNSL_ISQ_E10value_typeET4_jRbjT5_SW_jjP12ihipStream_tbEUlT_E2_NS1_11comp_targetILNS1_3genE5ELNS1_11target_archE942ELNS1_3gpuE9ELNS1_3repE0EEENS1_30default_config_static_selectorELNS0_4arch9wavefront6targetE1EEEvSK_.uses_flat_scratch, 0
	.set _ZN7rocprim17ROCPRIM_400000_NS6detail17trampoline_kernelINS0_14default_configENS1_36segmented_radix_sort_config_selectorIdlEEZNS1_25segmented_radix_sort_implIS3_Lb1EPKdPdPKlPlN2at6native12_GLOBAL__N_18offset_tEEE10hipError_tPvRmT1_PNSt15iterator_traitsISK_E10value_typeET2_T3_PNSL_ISQ_E10value_typeET4_jRbjT5_SW_jjP12ihipStream_tbEUlT_E2_NS1_11comp_targetILNS1_3genE5ELNS1_11target_archE942ELNS1_3gpuE9ELNS1_3repE0EEENS1_30default_config_static_selectorELNS0_4arch9wavefront6targetE1EEEvSK_.has_dyn_sized_stack, 0
	.set _ZN7rocprim17ROCPRIM_400000_NS6detail17trampoline_kernelINS0_14default_configENS1_36segmented_radix_sort_config_selectorIdlEEZNS1_25segmented_radix_sort_implIS3_Lb1EPKdPdPKlPlN2at6native12_GLOBAL__N_18offset_tEEE10hipError_tPvRmT1_PNSt15iterator_traitsISK_E10value_typeET2_T3_PNSL_ISQ_E10value_typeET4_jRbjT5_SW_jjP12ihipStream_tbEUlT_E2_NS1_11comp_targetILNS1_3genE5ELNS1_11target_archE942ELNS1_3gpuE9ELNS1_3repE0EEENS1_30default_config_static_selectorELNS0_4arch9wavefront6targetE1EEEvSK_.has_recursion, 0
	.set _ZN7rocprim17ROCPRIM_400000_NS6detail17trampoline_kernelINS0_14default_configENS1_36segmented_radix_sort_config_selectorIdlEEZNS1_25segmented_radix_sort_implIS3_Lb1EPKdPdPKlPlN2at6native12_GLOBAL__N_18offset_tEEE10hipError_tPvRmT1_PNSt15iterator_traitsISK_E10value_typeET2_T3_PNSL_ISQ_E10value_typeET4_jRbjT5_SW_jjP12ihipStream_tbEUlT_E2_NS1_11comp_targetILNS1_3genE5ELNS1_11target_archE942ELNS1_3gpuE9ELNS1_3repE0EEENS1_30default_config_static_selectorELNS0_4arch9wavefront6targetE1EEEvSK_.has_indirect_call, 0
	.section	.AMDGPU.csdata,"",@progbits
; Kernel info:
; codeLenInByte = 0
; TotalNumSgprs: 4
; NumVgprs: 0
; ScratchSize: 0
; MemoryBound: 0
; FloatMode: 240
; IeeeMode: 1
; LDSByteSize: 0 bytes/workgroup (compile time only)
; SGPRBlocks: 0
; VGPRBlocks: 0
; NumSGPRsForWavesPerEU: 4
; NumVGPRsForWavesPerEU: 1
; Occupancy: 10
; WaveLimiterHint : 0
; COMPUTE_PGM_RSRC2:SCRATCH_EN: 0
; COMPUTE_PGM_RSRC2:USER_SGPR: 6
; COMPUTE_PGM_RSRC2:TRAP_HANDLER: 0
; COMPUTE_PGM_RSRC2:TGID_X_EN: 1
; COMPUTE_PGM_RSRC2:TGID_Y_EN: 0
; COMPUTE_PGM_RSRC2:TGID_Z_EN: 0
; COMPUTE_PGM_RSRC2:TIDIG_COMP_CNT: 0
	.section	.text._ZN7rocprim17ROCPRIM_400000_NS6detail17trampoline_kernelINS0_14default_configENS1_36segmented_radix_sort_config_selectorIdlEEZNS1_25segmented_radix_sort_implIS3_Lb1EPKdPdPKlPlN2at6native12_GLOBAL__N_18offset_tEEE10hipError_tPvRmT1_PNSt15iterator_traitsISK_E10value_typeET2_T3_PNSL_ISQ_E10value_typeET4_jRbjT5_SW_jjP12ihipStream_tbEUlT_E2_NS1_11comp_targetILNS1_3genE4ELNS1_11target_archE910ELNS1_3gpuE8ELNS1_3repE0EEENS1_30default_config_static_selectorELNS0_4arch9wavefront6targetE1EEEvSK_,"axG",@progbits,_ZN7rocprim17ROCPRIM_400000_NS6detail17trampoline_kernelINS0_14default_configENS1_36segmented_radix_sort_config_selectorIdlEEZNS1_25segmented_radix_sort_implIS3_Lb1EPKdPdPKlPlN2at6native12_GLOBAL__N_18offset_tEEE10hipError_tPvRmT1_PNSt15iterator_traitsISK_E10value_typeET2_T3_PNSL_ISQ_E10value_typeET4_jRbjT5_SW_jjP12ihipStream_tbEUlT_E2_NS1_11comp_targetILNS1_3genE4ELNS1_11target_archE910ELNS1_3gpuE8ELNS1_3repE0EEENS1_30default_config_static_selectorELNS0_4arch9wavefront6targetE1EEEvSK_,comdat
	.globl	_ZN7rocprim17ROCPRIM_400000_NS6detail17trampoline_kernelINS0_14default_configENS1_36segmented_radix_sort_config_selectorIdlEEZNS1_25segmented_radix_sort_implIS3_Lb1EPKdPdPKlPlN2at6native12_GLOBAL__N_18offset_tEEE10hipError_tPvRmT1_PNSt15iterator_traitsISK_E10value_typeET2_T3_PNSL_ISQ_E10value_typeET4_jRbjT5_SW_jjP12ihipStream_tbEUlT_E2_NS1_11comp_targetILNS1_3genE4ELNS1_11target_archE910ELNS1_3gpuE8ELNS1_3repE0EEENS1_30default_config_static_selectorELNS0_4arch9wavefront6targetE1EEEvSK_ ; -- Begin function _ZN7rocprim17ROCPRIM_400000_NS6detail17trampoline_kernelINS0_14default_configENS1_36segmented_radix_sort_config_selectorIdlEEZNS1_25segmented_radix_sort_implIS3_Lb1EPKdPdPKlPlN2at6native12_GLOBAL__N_18offset_tEEE10hipError_tPvRmT1_PNSt15iterator_traitsISK_E10value_typeET2_T3_PNSL_ISQ_E10value_typeET4_jRbjT5_SW_jjP12ihipStream_tbEUlT_E2_NS1_11comp_targetILNS1_3genE4ELNS1_11target_archE910ELNS1_3gpuE8ELNS1_3repE0EEENS1_30default_config_static_selectorELNS0_4arch9wavefront6targetE1EEEvSK_
	.p2align	8
	.type	_ZN7rocprim17ROCPRIM_400000_NS6detail17trampoline_kernelINS0_14default_configENS1_36segmented_radix_sort_config_selectorIdlEEZNS1_25segmented_radix_sort_implIS3_Lb1EPKdPdPKlPlN2at6native12_GLOBAL__N_18offset_tEEE10hipError_tPvRmT1_PNSt15iterator_traitsISK_E10value_typeET2_T3_PNSL_ISQ_E10value_typeET4_jRbjT5_SW_jjP12ihipStream_tbEUlT_E2_NS1_11comp_targetILNS1_3genE4ELNS1_11target_archE910ELNS1_3gpuE8ELNS1_3repE0EEENS1_30default_config_static_selectorELNS0_4arch9wavefront6targetE1EEEvSK_,@function
_ZN7rocprim17ROCPRIM_400000_NS6detail17trampoline_kernelINS0_14default_configENS1_36segmented_radix_sort_config_selectorIdlEEZNS1_25segmented_radix_sort_implIS3_Lb1EPKdPdPKlPlN2at6native12_GLOBAL__N_18offset_tEEE10hipError_tPvRmT1_PNSt15iterator_traitsISK_E10value_typeET2_T3_PNSL_ISQ_E10value_typeET4_jRbjT5_SW_jjP12ihipStream_tbEUlT_E2_NS1_11comp_targetILNS1_3genE4ELNS1_11target_archE910ELNS1_3gpuE8ELNS1_3repE0EEENS1_30default_config_static_selectorELNS0_4arch9wavefront6targetE1EEEvSK_: ; @_ZN7rocprim17ROCPRIM_400000_NS6detail17trampoline_kernelINS0_14default_configENS1_36segmented_radix_sort_config_selectorIdlEEZNS1_25segmented_radix_sort_implIS3_Lb1EPKdPdPKlPlN2at6native12_GLOBAL__N_18offset_tEEE10hipError_tPvRmT1_PNSt15iterator_traitsISK_E10value_typeET2_T3_PNSL_ISQ_E10value_typeET4_jRbjT5_SW_jjP12ihipStream_tbEUlT_E2_NS1_11comp_targetILNS1_3genE4ELNS1_11target_archE910ELNS1_3gpuE8ELNS1_3repE0EEENS1_30default_config_static_selectorELNS0_4arch9wavefront6targetE1EEEvSK_
; %bb.0:
	.section	.rodata,"a",@progbits
	.p2align	6, 0x0
	.amdhsa_kernel _ZN7rocprim17ROCPRIM_400000_NS6detail17trampoline_kernelINS0_14default_configENS1_36segmented_radix_sort_config_selectorIdlEEZNS1_25segmented_radix_sort_implIS3_Lb1EPKdPdPKlPlN2at6native12_GLOBAL__N_18offset_tEEE10hipError_tPvRmT1_PNSt15iterator_traitsISK_E10value_typeET2_T3_PNSL_ISQ_E10value_typeET4_jRbjT5_SW_jjP12ihipStream_tbEUlT_E2_NS1_11comp_targetILNS1_3genE4ELNS1_11target_archE910ELNS1_3gpuE8ELNS1_3repE0EEENS1_30default_config_static_selectorELNS0_4arch9wavefront6targetE1EEEvSK_
		.amdhsa_group_segment_fixed_size 0
		.amdhsa_private_segment_fixed_size 0
		.amdhsa_kernarg_size 80
		.amdhsa_user_sgpr_count 6
		.amdhsa_user_sgpr_private_segment_buffer 1
		.amdhsa_user_sgpr_dispatch_ptr 0
		.amdhsa_user_sgpr_queue_ptr 0
		.amdhsa_user_sgpr_kernarg_segment_ptr 1
		.amdhsa_user_sgpr_dispatch_id 0
		.amdhsa_user_sgpr_flat_scratch_init 0
		.amdhsa_user_sgpr_private_segment_size 0
		.amdhsa_uses_dynamic_stack 0
		.amdhsa_system_sgpr_private_segment_wavefront_offset 0
		.amdhsa_system_sgpr_workgroup_id_x 1
		.amdhsa_system_sgpr_workgroup_id_y 0
		.amdhsa_system_sgpr_workgroup_id_z 0
		.amdhsa_system_sgpr_workgroup_info 0
		.amdhsa_system_vgpr_workitem_id 0
		.amdhsa_next_free_vgpr 1
		.amdhsa_next_free_sgpr 0
		.amdhsa_reserve_vcc 0
		.amdhsa_reserve_flat_scratch 0
		.amdhsa_float_round_mode_32 0
		.amdhsa_float_round_mode_16_64 0
		.amdhsa_float_denorm_mode_32 3
		.amdhsa_float_denorm_mode_16_64 3
		.amdhsa_dx10_clamp 1
		.amdhsa_ieee_mode 1
		.amdhsa_fp16_overflow 0
		.amdhsa_exception_fp_ieee_invalid_op 0
		.amdhsa_exception_fp_denorm_src 0
		.amdhsa_exception_fp_ieee_div_zero 0
		.amdhsa_exception_fp_ieee_overflow 0
		.amdhsa_exception_fp_ieee_underflow 0
		.amdhsa_exception_fp_ieee_inexact 0
		.amdhsa_exception_int_div_zero 0
	.end_amdhsa_kernel
	.section	.text._ZN7rocprim17ROCPRIM_400000_NS6detail17trampoline_kernelINS0_14default_configENS1_36segmented_radix_sort_config_selectorIdlEEZNS1_25segmented_radix_sort_implIS3_Lb1EPKdPdPKlPlN2at6native12_GLOBAL__N_18offset_tEEE10hipError_tPvRmT1_PNSt15iterator_traitsISK_E10value_typeET2_T3_PNSL_ISQ_E10value_typeET4_jRbjT5_SW_jjP12ihipStream_tbEUlT_E2_NS1_11comp_targetILNS1_3genE4ELNS1_11target_archE910ELNS1_3gpuE8ELNS1_3repE0EEENS1_30default_config_static_selectorELNS0_4arch9wavefront6targetE1EEEvSK_,"axG",@progbits,_ZN7rocprim17ROCPRIM_400000_NS6detail17trampoline_kernelINS0_14default_configENS1_36segmented_radix_sort_config_selectorIdlEEZNS1_25segmented_radix_sort_implIS3_Lb1EPKdPdPKlPlN2at6native12_GLOBAL__N_18offset_tEEE10hipError_tPvRmT1_PNSt15iterator_traitsISK_E10value_typeET2_T3_PNSL_ISQ_E10value_typeET4_jRbjT5_SW_jjP12ihipStream_tbEUlT_E2_NS1_11comp_targetILNS1_3genE4ELNS1_11target_archE910ELNS1_3gpuE8ELNS1_3repE0EEENS1_30default_config_static_selectorELNS0_4arch9wavefront6targetE1EEEvSK_,comdat
.Lfunc_end1150:
	.size	_ZN7rocprim17ROCPRIM_400000_NS6detail17trampoline_kernelINS0_14default_configENS1_36segmented_radix_sort_config_selectorIdlEEZNS1_25segmented_radix_sort_implIS3_Lb1EPKdPdPKlPlN2at6native12_GLOBAL__N_18offset_tEEE10hipError_tPvRmT1_PNSt15iterator_traitsISK_E10value_typeET2_T3_PNSL_ISQ_E10value_typeET4_jRbjT5_SW_jjP12ihipStream_tbEUlT_E2_NS1_11comp_targetILNS1_3genE4ELNS1_11target_archE910ELNS1_3gpuE8ELNS1_3repE0EEENS1_30default_config_static_selectorELNS0_4arch9wavefront6targetE1EEEvSK_, .Lfunc_end1150-_ZN7rocprim17ROCPRIM_400000_NS6detail17trampoline_kernelINS0_14default_configENS1_36segmented_radix_sort_config_selectorIdlEEZNS1_25segmented_radix_sort_implIS3_Lb1EPKdPdPKlPlN2at6native12_GLOBAL__N_18offset_tEEE10hipError_tPvRmT1_PNSt15iterator_traitsISK_E10value_typeET2_T3_PNSL_ISQ_E10value_typeET4_jRbjT5_SW_jjP12ihipStream_tbEUlT_E2_NS1_11comp_targetILNS1_3genE4ELNS1_11target_archE910ELNS1_3gpuE8ELNS1_3repE0EEENS1_30default_config_static_selectorELNS0_4arch9wavefront6targetE1EEEvSK_
                                        ; -- End function
	.set _ZN7rocprim17ROCPRIM_400000_NS6detail17trampoline_kernelINS0_14default_configENS1_36segmented_radix_sort_config_selectorIdlEEZNS1_25segmented_radix_sort_implIS3_Lb1EPKdPdPKlPlN2at6native12_GLOBAL__N_18offset_tEEE10hipError_tPvRmT1_PNSt15iterator_traitsISK_E10value_typeET2_T3_PNSL_ISQ_E10value_typeET4_jRbjT5_SW_jjP12ihipStream_tbEUlT_E2_NS1_11comp_targetILNS1_3genE4ELNS1_11target_archE910ELNS1_3gpuE8ELNS1_3repE0EEENS1_30default_config_static_selectorELNS0_4arch9wavefront6targetE1EEEvSK_.num_vgpr, 0
	.set _ZN7rocprim17ROCPRIM_400000_NS6detail17trampoline_kernelINS0_14default_configENS1_36segmented_radix_sort_config_selectorIdlEEZNS1_25segmented_radix_sort_implIS3_Lb1EPKdPdPKlPlN2at6native12_GLOBAL__N_18offset_tEEE10hipError_tPvRmT1_PNSt15iterator_traitsISK_E10value_typeET2_T3_PNSL_ISQ_E10value_typeET4_jRbjT5_SW_jjP12ihipStream_tbEUlT_E2_NS1_11comp_targetILNS1_3genE4ELNS1_11target_archE910ELNS1_3gpuE8ELNS1_3repE0EEENS1_30default_config_static_selectorELNS0_4arch9wavefront6targetE1EEEvSK_.num_agpr, 0
	.set _ZN7rocprim17ROCPRIM_400000_NS6detail17trampoline_kernelINS0_14default_configENS1_36segmented_radix_sort_config_selectorIdlEEZNS1_25segmented_radix_sort_implIS3_Lb1EPKdPdPKlPlN2at6native12_GLOBAL__N_18offset_tEEE10hipError_tPvRmT1_PNSt15iterator_traitsISK_E10value_typeET2_T3_PNSL_ISQ_E10value_typeET4_jRbjT5_SW_jjP12ihipStream_tbEUlT_E2_NS1_11comp_targetILNS1_3genE4ELNS1_11target_archE910ELNS1_3gpuE8ELNS1_3repE0EEENS1_30default_config_static_selectorELNS0_4arch9wavefront6targetE1EEEvSK_.numbered_sgpr, 0
	.set _ZN7rocprim17ROCPRIM_400000_NS6detail17trampoline_kernelINS0_14default_configENS1_36segmented_radix_sort_config_selectorIdlEEZNS1_25segmented_radix_sort_implIS3_Lb1EPKdPdPKlPlN2at6native12_GLOBAL__N_18offset_tEEE10hipError_tPvRmT1_PNSt15iterator_traitsISK_E10value_typeET2_T3_PNSL_ISQ_E10value_typeET4_jRbjT5_SW_jjP12ihipStream_tbEUlT_E2_NS1_11comp_targetILNS1_3genE4ELNS1_11target_archE910ELNS1_3gpuE8ELNS1_3repE0EEENS1_30default_config_static_selectorELNS0_4arch9wavefront6targetE1EEEvSK_.num_named_barrier, 0
	.set _ZN7rocprim17ROCPRIM_400000_NS6detail17trampoline_kernelINS0_14default_configENS1_36segmented_radix_sort_config_selectorIdlEEZNS1_25segmented_radix_sort_implIS3_Lb1EPKdPdPKlPlN2at6native12_GLOBAL__N_18offset_tEEE10hipError_tPvRmT1_PNSt15iterator_traitsISK_E10value_typeET2_T3_PNSL_ISQ_E10value_typeET4_jRbjT5_SW_jjP12ihipStream_tbEUlT_E2_NS1_11comp_targetILNS1_3genE4ELNS1_11target_archE910ELNS1_3gpuE8ELNS1_3repE0EEENS1_30default_config_static_selectorELNS0_4arch9wavefront6targetE1EEEvSK_.private_seg_size, 0
	.set _ZN7rocprim17ROCPRIM_400000_NS6detail17trampoline_kernelINS0_14default_configENS1_36segmented_radix_sort_config_selectorIdlEEZNS1_25segmented_radix_sort_implIS3_Lb1EPKdPdPKlPlN2at6native12_GLOBAL__N_18offset_tEEE10hipError_tPvRmT1_PNSt15iterator_traitsISK_E10value_typeET2_T3_PNSL_ISQ_E10value_typeET4_jRbjT5_SW_jjP12ihipStream_tbEUlT_E2_NS1_11comp_targetILNS1_3genE4ELNS1_11target_archE910ELNS1_3gpuE8ELNS1_3repE0EEENS1_30default_config_static_selectorELNS0_4arch9wavefront6targetE1EEEvSK_.uses_vcc, 0
	.set _ZN7rocprim17ROCPRIM_400000_NS6detail17trampoline_kernelINS0_14default_configENS1_36segmented_radix_sort_config_selectorIdlEEZNS1_25segmented_radix_sort_implIS3_Lb1EPKdPdPKlPlN2at6native12_GLOBAL__N_18offset_tEEE10hipError_tPvRmT1_PNSt15iterator_traitsISK_E10value_typeET2_T3_PNSL_ISQ_E10value_typeET4_jRbjT5_SW_jjP12ihipStream_tbEUlT_E2_NS1_11comp_targetILNS1_3genE4ELNS1_11target_archE910ELNS1_3gpuE8ELNS1_3repE0EEENS1_30default_config_static_selectorELNS0_4arch9wavefront6targetE1EEEvSK_.uses_flat_scratch, 0
	.set _ZN7rocprim17ROCPRIM_400000_NS6detail17trampoline_kernelINS0_14default_configENS1_36segmented_radix_sort_config_selectorIdlEEZNS1_25segmented_radix_sort_implIS3_Lb1EPKdPdPKlPlN2at6native12_GLOBAL__N_18offset_tEEE10hipError_tPvRmT1_PNSt15iterator_traitsISK_E10value_typeET2_T3_PNSL_ISQ_E10value_typeET4_jRbjT5_SW_jjP12ihipStream_tbEUlT_E2_NS1_11comp_targetILNS1_3genE4ELNS1_11target_archE910ELNS1_3gpuE8ELNS1_3repE0EEENS1_30default_config_static_selectorELNS0_4arch9wavefront6targetE1EEEvSK_.has_dyn_sized_stack, 0
	.set _ZN7rocprim17ROCPRIM_400000_NS6detail17trampoline_kernelINS0_14default_configENS1_36segmented_radix_sort_config_selectorIdlEEZNS1_25segmented_radix_sort_implIS3_Lb1EPKdPdPKlPlN2at6native12_GLOBAL__N_18offset_tEEE10hipError_tPvRmT1_PNSt15iterator_traitsISK_E10value_typeET2_T3_PNSL_ISQ_E10value_typeET4_jRbjT5_SW_jjP12ihipStream_tbEUlT_E2_NS1_11comp_targetILNS1_3genE4ELNS1_11target_archE910ELNS1_3gpuE8ELNS1_3repE0EEENS1_30default_config_static_selectorELNS0_4arch9wavefront6targetE1EEEvSK_.has_recursion, 0
	.set _ZN7rocprim17ROCPRIM_400000_NS6detail17trampoline_kernelINS0_14default_configENS1_36segmented_radix_sort_config_selectorIdlEEZNS1_25segmented_radix_sort_implIS3_Lb1EPKdPdPKlPlN2at6native12_GLOBAL__N_18offset_tEEE10hipError_tPvRmT1_PNSt15iterator_traitsISK_E10value_typeET2_T3_PNSL_ISQ_E10value_typeET4_jRbjT5_SW_jjP12ihipStream_tbEUlT_E2_NS1_11comp_targetILNS1_3genE4ELNS1_11target_archE910ELNS1_3gpuE8ELNS1_3repE0EEENS1_30default_config_static_selectorELNS0_4arch9wavefront6targetE1EEEvSK_.has_indirect_call, 0
	.section	.AMDGPU.csdata,"",@progbits
; Kernel info:
; codeLenInByte = 0
; TotalNumSgprs: 4
; NumVgprs: 0
; ScratchSize: 0
; MemoryBound: 0
; FloatMode: 240
; IeeeMode: 1
; LDSByteSize: 0 bytes/workgroup (compile time only)
; SGPRBlocks: 0
; VGPRBlocks: 0
; NumSGPRsForWavesPerEU: 4
; NumVGPRsForWavesPerEU: 1
; Occupancy: 10
; WaveLimiterHint : 0
; COMPUTE_PGM_RSRC2:SCRATCH_EN: 0
; COMPUTE_PGM_RSRC2:USER_SGPR: 6
; COMPUTE_PGM_RSRC2:TRAP_HANDLER: 0
; COMPUTE_PGM_RSRC2:TGID_X_EN: 1
; COMPUTE_PGM_RSRC2:TGID_Y_EN: 0
; COMPUTE_PGM_RSRC2:TGID_Z_EN: 0
; COMPUTE_PGM_RSRC2:TIDIG_COMP_CNT: 0
	.section	.text._ZN7rocprim17ROCPRIM_400000_NS6detail17trampoline_kernelINS0_14default_configENS1_36segmented_radix_sort_config_selectorIdlEEZNS1_25segmented_radix_sort_implIS3_Lb1EPKdPdPKlPlN2at6native12_GLOBAL__N_18offset_tEEE10hipError_tPvRmT1_PNSt15iterator_traitsISK_E10value_typeET2_T3_PNSL_ISQ_E10value_typeET4_jRbjT5_SW_jjP12ihipStream_tbEUlT_E2_NS1_11comp_targetILNS1_3genE3ELNS1_11target_archE908ELNS1_3gpuE7ELNS1_3repE0EEENS1_30default_config_static_selectorELNS0_4arch9wavefront6targetE1EEEvSK_,"axG",@progbits,_ZN7rocprim17ROCPRIM_400000_NS6detail17trampoline_kernelINS0_14default_configENS1_36segmented_radix_sort_config_selectorIdlEEZNS1_25segmented_radix_sort_implIS3_Lb1EPKdPdPKlPlN2at6native12_GLOBAL__N_18offset_tEEE10hipError_tPvRmT1_PNSt15iterator_traitsISK_E10value_typeET2_T3_PNSL_ISQ_E10value_typeET4_jRbjT5_SW_jjP12ihipStream_tbEUlT_E2_NS1_11comp_targetILNS1_3genE3ELNS1_11target_archE908ELNS1_3gpuE7ELNS1_3repE0EEENS1_30default_config_static_selectorELNS0_4arch9wavefront6targetE1EEEvSK_,comdat
	.globl	_ZN7rocprim17ROCPRIM_400000_NS6detail17trampoline_kernelINS0_14default_configENS1_36segmented_radix_sort_config_selectorIdlEEZNS1_25segmented_radix_sort_implIS3_Lb1EPKdPdPKlPlN2at6native12_GLOBAL__N_18offset_tEEE10hipError_tPvRmT1_PNSt15iterator_traitsISK_E10value_typeET2_T3_PNSL_ISQ_E10value_typeET4_jRbjT5_SW_jjP12ihipStream_tbEUlT_E2_NS1_11comp_targetILNS1_3genE3ELNS1_11target_archE908ELNS1_3gpuE7ELNS1_3repE0EEENS1_30default_config_static_selectorELNS0_4arch9wavefront6targetE1EEEvSK_ ; -- Begin function _ZN7rocprim17ROCPRIM_400000_NS6detail17trampoline_kernelINS0_14default_configENS1_36segmented_radix_sort_config_selectorIdlEEZNS1_25segmented_radix_sort_implIS3_Lb1EPKdPdPKlPlN2at6native12_GLOBAL__N_18offset_tEEE10hipError_tPvRmT1_PNSt15iterator_traitsISK_E10value_typeET2_T3_PNSL_ISQ_E10value_typeET4_jRbjT5_SW_jjP12ihipStream_tbEUlT_E2_NS1_11comp_targetILNS1_3genE3ELNS1_11target_archE908ELNS1_3gpuE7ELNS1_3repE0EEENS1_30default_config_static_selectorELNS0_4arch9wavefront6targetE1EEEvSK_
	.p2align	8
	.type	_ZN7rocprim17ROCPRIM_400000_NS6detail17trampoline_kernelINS0_14default_configENS1_36segmented_radix_sort_config_selectorIdlEEZNS1_25segmented_radix_sort_implIS3_Lb1EPKdPdPKlPlN2at6native12_GLOBAL__N_18offset_tEEE10hipError_tPvRmT1_PNSt15iterator_traitsISK_E10value_typeET2_T3_PNSL_ISQ_E10value_typeET4_jRbjT5_SW_jjP12ihipStream_tbEUlT_E2_NS1_11comp_targetILNS1_3genE3ELNS1_11target_archE908ELNS1_3gpuE7ELNS1_3repE0EEENS1_30default_config_static_selectorELNS0_4arch9wavefront6targetE1EEEvSK_,@function
_ZN7rocprim17ROCPRIM_400000_NS6detail17trampoline_kernelINS0_14default_configENS1_36segmented_radix_sort_config_selectorIdlEEZNS1_25segmented_radix_sort_implIS3_Lb1EPKdPdPKlPlN2at6native12_GLOBAL__N_18offset_tEEE10hipError_tPvRmT1_PNSt15iterator_traitsISK_E10value_typeET2_T3_PNSL_ISQ_E10value_typeET4_jRbjT5_SW_jjP12ihipStream_tbEUlT_E2_NS1_11comp_targetILNS1_3genE3ELNS1_11target_archE908ELNS1_3gpuE7ELNS1_3repE0EEENS1_30default_config_static_selectorELNS0_4arch9wavefront6targetE1EEEvSK_: ; @_ZN7rocprim17ROCPRIM_400000_NS6detail17trampoline_kernelINS0_14default_configENS1_36segmented_radix_sort_config_selectorIdlEEZNS1_25segmented_radix_sort_implIS3_Lb1EPKdPdPKlPlN2at6native12_GLOBAL__N_18offset_tEEE10hipError_tPvRmT1_PNSt15iterator_traitsISK_E10value_typeET2_T3_PNSL_ISQ_E10value_typeET4_jRbjT5_SW_jjP12ihipStream_tbEUlT_E2_NS1_11comp_targetILNS1_3genE3ELNS1_11target_archE908ELNS1_3gpuE7ELNS1_3repE0EEENS1_30default_config_static_selectorELNS0_4arch9wavefront6targetE1EEEvSK_
; %bb.0:
	.section	.rodata,"a",@progbits
	.p2align	6, 0x0
	.amdhsa_kernel _ZN7rocprim17ROCPRIM_400000_NS6detail17trampoline_kernelINS0_14default_configENS1_36segmented_radix_sort_config_selectorIdlEEZNS1_25segmented_radix_sort_implIS3_Lb1EPKdPdPKlPlN2at6native12_GLOBAL__N_18offset_tEEE10hipError_tPvRmT1_PNSt15iterator_traitsISK_E10value_typeET2_T3_PNSL_ISQ_E10value_typeET4_jRbjT5_SW_jjP12ihipStream_tbEUlT_E2_NS1_11comp_targetILNS1_3genE3ELNS1_11target_archE908ELNS1_3gpuE7ELNS1_3repE0EEENS1_30default_config_static_selectorELNS0_4arch9wavefront6targetE1EEEvSK_
		.amdhsa_group_segment_fixed_size 0
		.amdhsa_private_segment_fixed_size 0
		.amdhsa_kernarg_size 80
		.amdhsa_user_sgpr_count 6
		.amdhsa_user_sgpr_private_segment_buffer 1
		.amdhsa_user_sgpr_dispatch_ptr 0
		.amdhsa_user_sgpr_queue_ptr 0
		.amdhsa_user_sgpr_kernarg_segment_ptr 1
		.amdhsa_user_sgpr_dispatch_id 0
		.amdhsa_user_sgpr_flat_scratch_init 0
		.amdhsa_user_sgpr_private_segment_size 0
		.amdhsa_uses_dynamic_stack 0
		.amdhsa_system_sgpr_private_segment_wavefront_offset 0
		.amdhsa_system_sgpr_workgroup_id_x 1
		.amdhsa_system_sgpr_workgroup_id_y 0
		.amdhsa_system_sgpr_workgroup_id_z 0
		.amdhsa_system_sgpr_workgroup_info 0
		.amdhsa_system_vgpr_workitem_id 0
		.amdhsa_next_free_vgpr 1
		.amdhsa_next_free_sgpr 0
		.amdhsa_reserve_vcc 0
		.amdhsa_reserve_flat_scratch 0
		.amdhsa_float_round_mode_32 0
		.amdhsa_float_round_mode_16_64 0
		.amdhsa_float_denorm_mode_32 3
		.amdhsa_float_denorm_mode_16_64 3
		.amdhsa_dx10_clamp 1
		.amdhsa_ieee_mode 1
		.amdhsa_fp16_overflow 0
		.amdhsa_exception_fp_ieee_invalid_op 0
		.amdhsa_exception_fp_denorm_src 0
		.amdhsa_exception_fp_ieee_div_zero 0
		.amdhsa_exception_fp_ieee_overflow 0
		.amdhsa_exception_fp_ieee_underflow 0
		.amdhsa_exception_fp_ieee_inexact 0
		.amdhsa_exception_int_div_zero 0
	.end_amdhsa_kernel
	.section	.text._ZN7rocprim17ROCPRIM_400000_NS6detail17trampoline_kernelINS0_14default_configENS1_36segmented_radix_sort_config_selectorIdlEEZNS1_25segmented_radix_sort_implIS3_Lb1EPKdPdPKlPlN2at6native12_GLOBAL__N_18offset_tEEE10hipError_tPvRmT1_PNSt15iterator_traitsISK_E10value_typeET2_T3_PNSL_ISQ_E10value_typeET4_jRbjT5_SW_jjP12ihipStream_tbEUlT_E2_NS1_11comp_targetILNS1_3genE3ELNS1_11target_archE908ELNS1_3gpuE7ELNS1_3repE0EEENS1_30default_config_static_selectorELNS0_4arch9wavefront6targetE1EEEvSK_,"axG",@progbits,_ZN7rocprim17ROCPRIM_400000_NS6detail17trampoline_kernelINS0_14default_configENS1_36segmented_radix_sort_config_selectorIdlEEZNS1_25segmented_radix_sort_implIS3_Lb1EPKdPdPKlPlN2at6native12_GLOBAL__N_18offset_tEEE10hipError_tPvRmT1_PNSt15iterator_traitsISK_E10value_typeET2_T3_PNSL_ISQ_E10value_typeET4_jRbjT5_SW_jjP12ihipStream_tbEUlT_E2_NS1_11comp_targetILNS1_3genE3ELNS1_11target_archE908ELNS1_3gpuE7ELNS1_3repE0EEENS1_30default_config_static_selectorELNS0_4arch9wavefront6targetE1EEEvSK_,comdat
.Lfunc_end1151:
	.size	_ZN7rocprim17ROCPRIM_400000_NS6detail17trampoline_kernelINS0_14default_configENS1_36segmented_radix_sort_config_selectorIdlEEZNS1_25segmented_radix_sort_implIS3_Lb1EPKdPdPKlPlN2at6native12_GLOBAL__N_18offset_tEEE10hipError_tPvRmT1_PNSt15iterator_traitsISK_E10value_typeET2_T3_PNSL_ISQ_E10value_typeET4_jRbjT5_SW_jjP12ihipStream_tbEUlT_E2_NS1_11comp_targetILNS1_3genE3ELNS1_11target_archE908ELNS1_3gpuE7ELNS1_3repE0EEENS1_30default_config_static_selectorELNS0_4arch9wavefront6targetE1EEEvSK_, .Lfunc_end1151-_ZN7rocprim17ROCPRIM_400000_NS6detail17trampoline_kernelINS0_14default_configENS1_36segmented_radix_sort_config_selectorIdlEEZNS1_25segmented_radix_sort_implIS3_Lb1EPKdPdPKlPlN2at6native12_GLOBAL__N_18offset_tEEE10hipError_tPvRmT1_PNSt15iterator_traitsISK_E10value_typeET2_T3_PNSL_ISQ_E10value_typeET4_jRbjT5_SW_jjP12ihipStream_tbEUlT_E2_NS1_11comp_targetILNS1_3genE3ELNS1_11target_archE908ELNS1_3gpuE7ELNS1_3repE0EEENS1_30default_config_static_selectorELNS0_4arch9wavefront6targetE1EEEvSK_
                                        ; -- End function
	.set _ZN7rocprim17ROCPRIM_400000_NS6detail17trampoline_kernelINS0_14default_configENS1_36segmented_radix_sort_config_selectorIdlEEZNS1_25segmented_radix_sort_implIS3_Lb1EPKdPdPKlPlN2at6native12_GLOBAL__N_18offset_tEEE10hipError_tPvRmT1_PNSt15iterator_traitsISK_E10value_typeET2_T3_PNSL_ISQ_E10value_typeET4_jRbjT5_SW_jjP12ihipStream_tbEUlT_E2_NS1_11comp_targetILNS1_3genE3ELNS1_11target_archE908ELNS1_3gpuE7ELNS1_3repE0EEENS1_30default_config_static_selectorELNS0_4arch9wavefront6targetE1EEEvSK_.num_vgpr, 0
	.set _ZN7rocprim17ROCPRIM_400000_NS6detail17trampoline_kernelINS0_14default_configENS1_36segmented_radix_sort_config_selectorIdlEEZNS1_25segmented_radix_sort_implIS3_Lb1EPKdPdPKlPlN2at6native12_GLOBAL__N_18offset_tEEE10hipError_tPvRmT1_PNSt15iterator_traitsISK_E10value_typeET2_T3_PNSL_ISQ_E10value_typeET4_jRbjT5_SW_jjP12ihipStream_tbEUlT_E2_NS1_11comp_targetILNS1_3genE3ELNS1_11target_archE908ELNS1_3gpuE7ELNS1_3repE0EEENS1_30default_config_static_selectorELNS0_4arch9wavefront6targetE1EEEvSK_.num_agpr, 0
	.set _ZN7rocprim17ROCPRIM_400000_NS6detail17trampoline_kernelINS0_14default_configENS1_36segmented_radix_sort_config_selectorIdlEEZNS1_25segmented_radix_sort_implIS3_Lb1EPKdPdPKlPlN2at6native12_GLOBAL__N_18offset_tEEE10hipError_tPvRmT1_PNSt15iterator_traitsISK_E10value_typeET2_T3_PNSL_ISQ_E10value_typeET4_jRbjT5_SW_jjP12ihipStream_tbEUlT_E2_NS1_11comp_targetILNS1_3genE3ELNS1_11target_archE908ELNS1_3gpuE7ELNS1_3repE0EEENS1_30default_config_static_selectorELNS0_4arch9wavefront6targetE1EEEvSK_.numbered_sgpr, 0
	.set _ZN7rocprim17ROCPRIM_400000_NS6detail17trampoline_kernelINS0_14default_configENS1_36segmented_radix_sort_config_selectorIdlEEZNS1_25segmented_radix_sort_implIS3_Lb1EPKdPdPKlPlN2at6native12_GLOBAL__N_18offset_tEEE10hipError_tPvRmT1_PNSt15iterator_traitsISK_E10value_typeET2_T3_PNSL_ISQ_E10value_typeET4_jRbjT5_SW_jjP12ihipStream_tbEUlT_E2_NS1_11comp_targetILNS1_3genE3ELNS1_11target_archE908ELNS1_3gpuE7ELNS1_3repE0EEENS1_30default_config_static_selectorELNS0_4arch9wavefront6targetE1EEEvSK_.num_named_barrier, 0
	.set _ZN7rocprim17ROCPRIM_400000_NS6detail17trampoline_kernelINS0_14default_configENS1_36segmented_radix_sort_config_selectorIdlEEZNS1_25segmented_radix_sort_implIS3_Lb1EPKdPdPKlPlN2at6native12_GLOBAL__N_18offset_tEEE10hipError_tPvRmT1_PNSt15iterator_traitsISK_E10value_typeET2_T3_PNSL_ISQ_E10value_typeET4_jRbjT5_SW_jjP12ihipStream_tbEUlT_E2_NS1_11comp_targetILNS1_3genE3ELNS1_11target_archE908ELNS1_3gpuE7ELNS1_3repE0EEENS1_30default_config_static_selectorELNS0_4arch9wavefront6targetE1EEEvSK_.private_seg_size, 0
	.set _ZN7rocprim17ROCPRIM_400000_NS6detail17trampoline_kernelINS0_14default_configENS1_36segmented_radix_sort_config_selectorIdlEEZNS1_25segmented_radix_sort_implIS3_Lb1EPKdPdPKlPlN2at6native12_GLOBAL__N_18offset_tEEE10hipError_tPvRmT1_PNSt15iterator_traitsISK_E10value_typeET2_T3_PNSL_ISQ_E10value_typeET4_jRbjT5_SW_jjP12ihipStream_tbEUlT_E2_NS1_11comp_targetILNS1_3genE3ELNS1_11target_archE908ELNS1_3gpuE7ELNS1_3repE0EEENS1_30default_config_static_selectorELNS0_4arch9wavefront6targetE1EEEvSK_.uses_vcc, 0
	.set _ZN7rocprim17ROCPRIM_400000_NS6detail17trampoline_kernelINS0_14default_configENS1_36segmented_radix_sort_config_selectorIdlEEZNS1_25segmented_radix_sort_implIS3_Lb1EPKdPdPKlPlN2at6native12_GLOBAL__N_18offset_tEEE10hipError_tPvRmT1_PNSt15iterator_traitsISK_E10value_typeET2_T3_PNSL_ISQ_E10value_typeET4_jRbjT5_SW_jjP12ihipStream_tbEUlT_E2_NS1_11comp_targetILNS1_3genE3ELNS1_11target_archE908ELNS1_3gpuE7ELNS1_3repE0EEENS1_30default_config_static_selectorELNS0_4arch9wavefront6targetE1EEEvSK_.uses_flat_scratch, 0
	.set _ZN7rocprim17ROCPRIM_400000_NS6detail17trampoline_kernelINS0_14default_configENS1_36segmented_radix_sort_config_selectorIdlEEZNS1_25segmented_radix_sort_implIS3_Lb1EPKdPdPKlPlN2at6native12_GLOBAL__N_18offset_tEEE10hipError_tPvRmT1_PNSt15iterator_traitsISK_E10value_typeET2_T3_PNSL_ISQ_E10value_typeET4_jRbjT5_SW_jjP12ihipStream_tbEUlT_E2_NS1_11comp_targetILNS1_3genE3ELNS1_11target_archE908ELNS1_3gpuE7ELNS1_3repE0EEENS1_30default_config_static_selectorELNS0_4arch9wavefront6targetE1EEEvSK_.has_dyn_sized_stack, 0
	.set _ZN7rocprim17ROCPRIM_400000_NS6detail17trampoline_kernelINS0_14default_configENS1_36segmented_radix_sort_config_selectorIdlEEZNS1_25segmented_radix_sort_implIS3_Lb1EPKdPdPKlPlN2at6native12_GLOBAL__N_18offset_tEEE10hipError_tPvRmT1_PNSt15iterator_traitsISK_E10value_typeET2_T3_PNSL_ISQ_E10value_typeET4_jRbjT5_SW_jjP12ihipStream_tbEUlT_E2_NS1_11comp_targetILNS1_3genE3ELNS1_11target_archE908ELNS1_3gpuE7ELNS1_3repE0EEENS1_30default_config_static_selectorELNS0_4arch9wavefront6targetE1EEEvSK_.has_recursion, 0
	.set _ZN7rocprim17ROCPRIM_400000_NS6detail17trampoline_kernelINS0_14default_configENS1_36segmented_radix_sort_config_selectorIdlEEZNS1_25segmented_radix_sort_implIS3_Lb1EPKdPdPKlPlN2at6native12_GLOBAL__N_18offset_tEEE10hipError_tPvRmT1_PNSt15iterator_traitsISK_E10value_typeET2_T3_PNSL_ISQ_E10value_typeET4_jRbjT5_SW_jjP12ihipStream_tbEUlT_E2_NS1_11comp_targetILNS1_3genE3ELNS1_11target_archE908ELNS1_3gpuE7ELNS1_3repE0EEENS1_30default_config_static_selectorELNS0_4arch9wavefront6targetE1EEEvSK_.has_indirect_call, 0
	.section	.AMDGPU.csdata,"",@progbits
; Kernel info:
; codeLenInByte = 0
; TotalNumSgprs: 4
; NumVgprs: 0
; ScratchSize: 0
; MemoryBound: 0
; FloatMode: 240
; IeeeMode: 1
; LDSByteSize: 0 bytes/workgroup (compile time only)
; SGPRBlocks: 0
; VGPRBlocks: 0
; NumSGPRsForWavesPerEU: 4
; NumVGPRsForWavesPerEU: 1
; Occupancy: 10
; WaveLimiterHint : 0
; COMPUTE_PGM_RSRC2:SCRATCH_EN: 0
; COMPUTE_PGM_RSRC2:USER_SGPR: 6
; COMPUTE_PGM_RSRC2:TRAP_HANDLER: 0
; COMPUTE_PGM_RSRC2:TGID_X_EN: 1
; COMPUTE_PGM_RSRC2:TGID_Y_EN: 0
; COMPUTE_PGM_RSRC2:TGID_Z_EN: 0
; COMPUTE_PGM_RSRC2:TIDIG_COMP_CNT: 0
	.section	.text._ZN7rocprim17ROCPRIM_400000_NS6detail17trampoline_kernelINS0_14default_configENS1_36segmented_radix_sort_config_selectorIdlEEZNS1_25segmented_radix_sort_implIS3_Lb1EPKdPdPKlPlN2at6native12_GLOBAL__N_18offset_tEEE10hipError_tPvRmT1_PNSt15iterator_traitsISK_E10value_typeET2_T3_PNSL_ISQ_E10value_typeET4_jRbjT5_SW_jjP12ihipStream_tbEUlT_E2_NS1_11comp_targetILNS1_3genE2ELNS1_11target_archE906ELNS1_3gpuE6ELNS1_3repE0EEENS1_30default_config_static_selectorELNS0_4arch9wavefront6targetE1EEEvSK_,"axG",@progbits,_ZN7rocprim17ROCPRIM_400000_NS6detail17trampoline_kernelINS0_14default_configENS1_36segmented_radix_sort_config_selectorIdlEEZNS1_25segmented_radix_sort_implIS3_Lb1EPKdPdPKlPlN2at6native12_GLOBAL__N_18offset_tEEE10hipError_tPvRmT1_PNSt15iterator_traitsISK_E10value_typeET2_T3_PNSL_ISQ_E10value_typeET4_jRbjT5_SW_jjP12ihipStream_tbEUlT_E2_NS1_11comp_targetILNS1_3genE2ELNS1_11target_archE906ELNS1_3gpuE6ELNS1_3repE0EEENS1_30default_config_static_selectorELNS0_4arch9wavefront6targetE1EEEvSK_,comdat
	.globl	_ZN7rocprim17ROCPRIM_400000_NS6detail17trampoline_kernelINS0_14default_configENS1_36segmented_radix_sort_config_selectorIdlEEZNS1_25segmented_radix_sort_implIS3_Lb1EPKdPdPKlPlN2at6native12_GLOBAL__N_18offset_tEEE10hipError_tPvRmT1_PNSt15iterator_traitsISK_E10value_typeET2_T3_PNSL_ISQ_E10value_typeET4_jRbjT5_SW_jjP12ihipStream_tbEUlT_E2_NS1_11comp_targetILNS1_3genE2ELNS1_11target_archE906ELNS1_3gpuE6ELNS1_3repE0EEENS1_30default_config_static_selectorELNS0_4arch9wavefront6targetE1EEEvSK_ ; -- Begin function _ZN7rocprim17ROCPRIM_400000_NS6detail17trampoline_kernelINS0_14default_configENS1_36segmented_radix_sort_config_selectorIdlEEZNS1_25segmented_radix_sort_implIS3_Lb1EPKdPdPKlPlN2at6native12_GLOBAL__N_18offset_tEEE10hipError_tPvRmT1_PNSt15iterator_traitsISK_E10value_typeET2_T3_PNSL_ISQ_E10value_typeET4_jRbjT5_SW_jjP12ihipStream_tbEUlT_E2_NS1_11comp_targetILNS1_3genE2ELNS1_11target_archE906ELNS1_3gpuE6ELNS1_3repE0EEENS1_30default_config_static_selectorELNS0_4arch9wavefront6targetE1EEEvSK_
	.p2align	8
	.type	_ZN7rocprim17ROCPRIM_400000_NS6detail17trampoline_kernelINS0_14default_configENS1_36segmented_radix_sort_config_selectorIdlEEZNS1_25segmented_radix_sort_implIS3_Lb1EPKdPdPKlPlN2at6native12_GLOBAL__N_18offset_tEEE10hipError_tPvRmT1_PNSt15iterator_traitsISK_E10value_typeET2_T3_PNSL_ISQ_E10value_typeET4_jRbjT5_SW_jjP12ihipStream_tbEUlT_E2_NS1_11comp_targetILNS1_3genE2ELNS1_11target_archE906ELNS1_3gpuE6ELNS1_3repE0EEENS1_30default_config_static_selectorELNS0_4arch9wavefront6targetE1EEEvSK_,@function
_ZN7rocprim17ROCPRIM_400000_NS6detail17trampoline_kernelINS0_14default_configENS1_36segmented_radix_sort_config_selectorIdlEEZNS1_25segmented_radix_sort_implIS3_Lb1EPKdPdPKlPlN2at6native12_GLOBAL__N_18offset_tEEE10hipError_tPvRmT1_PNSt15iterator_traitsISK_E10value_typeET2_T3_PNSL_ISQ_E10value_typeET4_jRbjT5_SW_jjP12ihipStream_tbEUlT_E2_NS1_11comp_targetILNS1_3genE2ELNS1_11target_archE906ELNS1_3gpuE6ELNS1_3repE0EEENS1_30default_config_static_selectorELNS0_4arch9wavefront6targetE1EEEvSK_: ; @_ZN7rocprim17ROCPRIM_400000_NS6detail17trampoline_kernelINS0_14default_configENS1_36segmented_radix_sort_config_selectorIdlEEZNS1_25segmented_radix_sort_implIS3_Lb1EPKdPdPKlPlN2at6native12_GLOBAL__N_18offset_tEEE10hipError_tPvRmT1_PNSt15iterator_traitsISK_E10value_typeET2_T3_PNSL_ISQ_E10value_typeET4_jRbjT5_SW_jjP12ihipStream_tbEUlT_E2_NS1_11comp_targetILNS1_3genE2ELNS1_11target_archE906ELNS1_3gpuE6ELNS1_3repE0EEENS1_30default_config_static_selectorELNS0_4arch9wavefront6targetE1EEEvSK_
; %bb.0:
	s_add_u32 s0, s0, s8
	s_load_dwordx4 s[8:11], s[4:5], 0x34
	s_addc_u32 s1, s1, 0
	s_mov_b32 s32, 0
	s_waitcnt lgkmcnt(0)
	s_add_i32 s69, s9, s6
	s_add_i32 s94, s11, s6
	s_mul_i32 s69, s69, s8
	s_mul_i32 s94, s94, s10
	s_cmp_le_u32 s94, s69
	s_cbranch_scc1 .LBB1152_1187
; %bb.1:
	s_mov_b32 s68, s6
	s_load_dword s6, s[4:5], 0x30
	s_load_dwordx4 s[84:87], s[4:5], 0x20
	s_load_dwordx4 s[88:91], s[4:5], 0x44
	s_load_dwordx8 s[76:83], s[4:5], 0x0
	s_mov_b32 s33, s7
	s_waitcnt lgkmcnt(0)
	s_bitcmp1_b32 s6, 0
	s_cselect_b64 s[70:71], -1, 0
	s_sub_i32 s91, s94, s69
	s_cmpk_lt_u32 s91, 0x1001
	s_mov_b64 s[6:7], -1
	s_cbranch_scc0 .LBB1152_12
; %bb.2:
	s_cmp_lt_u32 s91, 33
	s_cbranch_scc0 .LBB1152_6
; %bb.3:
	s_load_dword s6, s[4:5], 0x5c
	s_waitcnt lgkmcnt(0)
	s_lshr_b32 s7, s6, 16
	s_and_b32 s6, s6, 0xffff
	v_mad_u32_u24 v3, v2, s7, v1
	v_mad_u64_u32 v[3:4], s[6:7], v3, s6, v[0:1]
	v_cmp_gt_u32_e32 vcc, 8, v3
	s_and_saveexec_b64 s[34:35], vcc
	s_cbranch_execz .LBB1152_5
; %bb.4:
	s_bitcmp1_b32 s88, 0
	s_cselect_b64 s[8:9], -1, 0
	s_xor_b64 s[8:9], s[70:71], s[8:9]
	s_xor_b64 s[8:9], s[8:9], -1
	v_cndmask_b32_e64 v12, 0, 1, s[8:9]
	s_add_u32 s8, s4, 0x50
	s_mov_b64 s[6:7], src_shared_base
	s_addc_u32 s9, s5, 0
	v_lshlrev_b32_e32 v3, 20, v2
	v_lshlrev_b32_e32 v4, 10, v1
	s_getpc_b64 s[10:11]
	s_add_u32 s10, s10, _ZN7rocprim17ROCPRIM_400000_NS6detail26segmented_warp_sort_helperINS1_20WarpSortHelperConfigILj8ELj4ELj256EEEdlLi256ELb1EvE4sortIPKdPdPKlPlEEvT_S9_T0_T1_SC_T2_bjjjjRNS5_12storage_typeE@rel32@lo+4
	s_addc_u32 s11, s11, _ZN7rocprim17ROCPRIM_400000_NS6detail26segmented_warp_sort_helperINS1_20WarpSortHelperConfigILj8ELj4ELj256EEEdlLi256ELb1EvE4sortIPKdPdPKlPlEEvT_S9_T0_T1_SC_T2_bjjjjRNS5_12storage_typeE@rel32@hi+12
	v_or3_b32 v31, v0, v4, v3
	s_mov_b32 s12, s68
	s_mov_b32 s13, s33
	v_mov_b32_e32 v40, v0
	v_mov_b32_e32 v0, s76
	;; [unrolled: 1-line block ×19, first 2 shown]
	s_mov_b64 s[36:37], s[4:5]
	s_swappc_b64 s[30:31], s[10:11]
	v_mov_b32_e32 v1, v41
	v_mov_b32_e32 v2, v42
	;; [unrolled: 1-line block ×3, first 2 shown]
	s_mov_b64 s[4:5], s[36:37]
.LBB1152_5:
	s_or_b64 exec, exec, s[34:35]
	s_mov_b64 s[6:7], 0
.LBB1152_6:
	s_andn2_b64 vcc, exec, s[6:7]
	s_cbranch_vccnz .LBB1152_11
; %bb.7:
	s_and_b32 s6, s88, 1
	v_cndmask_b32_e64 v3, 0, 1, s[70:71]
	v_cmp_ne_u32_e32 vcc, s6, v3
	s_mov_b64 s[6:7], -1
	v_lshlrev_b32_e32 v41, 20, v2
	v_lshlrev_b32_e32 v42, 10, v1
	s_cbranch_vccnz .LBB1152_9
; %bb.8:
	s_add_u32 s8, s4, 0x50
	s_mov_b64 s[6:7], src_shared_base
	s_addc_u32 s9, s5, 0
	s_getpc_b64 s[10:11]
	s_add_u32 s10, s10, _ZN7rocprim17ROCPRIM_400000_NS6detail40segmented_radix_sort_single_block_helperIdlLj256ELj16ELb1EE4sortIPKdPdPKlPlEEbT_T0_T1_T2_jjjjRNS3_12storage_typeE@rel32@lo+4
	s_addc_u32 s11, s11, _ZN7rocprim17ROCPRIM_400000_NS6detail40segmented_radix_sort_single_block_helperIdlLj256ELj16ELb1EE4sortIPKdPdPKlPlEEbT_T0_T1_T2_jjjjRNS3_12storage_typeE@rel32@hi+12
	v_or3_b32 v31, v0, v42, v41
	s_mov_b32 s12, s68
	s_mov_b32 s13, s33
	v_mov_b32_e32 v40, v0
	v_mov_b32_e32 v0, s76
	;; [unrolled: 1-line block ×17, first 2 shown]
	s_mov_b64 s[34:35], s[4:5]
	s_swappc_b64 s[30:31], s[10:11]
	v_mov_b32_e32 v1, v43
	v_mov_b32_e32 v2, v44
	;; [unrolled: 1-line block ×3, first 2 shown]
	s_mov_b64 s[4:5], s[34:35]
	s_mov_b64 s[6:7], 0
.LBB1152_9:
	s_andn2_b64 vcc, exec, s[6:7]
	s_cbranch_vccnz .LBB1152_11
; %bb.10:
	s_add_u32 s8, s4, 0x50
	s_mov_b64 s[6:7], src_shared_base
	s_addc_u32 s9, s5, 0
	s_getpc_b64 s[10:11]
	s_add_u32 s10, s10, _ZN7rocprim17ROCPRIM_400000_NS6detail40segmented_radix_sort_single_block_helperIdlLj256ELj16ELb1EE4sortIPKdPdPKlPlEEbT_T0_T1_T2_jjjjRNS3_12storage_typeE@rel32@lo+4
	s_addc_u32 s11, s11, _ZN7rocprim17ROCPRIM_400000_NS6detail40segmented_radix_sort_single_block_helperIdlLj256ELj16ELb1EE4sortIPKdPdPKlPlEEbT_T0_T1_T2_jjjjRNS3_12storage_typeE@rel32@hi+12
	v_or3_b32 v31, v0, v42, v41
	s_mov_b32 s12, s68
	s_mov_b32 s13, s33
	v_mov_b32_e32 v40, v0
	v_mov_b32_e32 v0, s76
	;; [unrolled: 1-line block ×17, first 2 shown]
	s_mov_b64 s[34:35], s[4:5]
	s_swappc_b64 s[30:31], s[10:11]
	v_mov_b32_e32 v1, v41
	v_mov_b32_e32 v2, v42
	v_mov_b32_e32 v0, v40
	s_mov_b64 s[4:5], s[34:35]
.LBB1152_11:
	s_mov_b64 s[6:7], 0
.LBB1152_12:
	s_andn2_b64 vcc, exec, s[6:7]
	s_cbranch_vccnz .LBB1152_1187
; %bb.13:
	s_cmp_ge_u32 s89, s90
	s_cbranch_scc1 .LBB1152_1187
; %bb.14:
	v_lshlrev_b32_e32 v73, 2, v0
	v_and_b32_e32 v4, 3, v0
	v_lshlrev_b32_e32 v5, 3, v0
	v_mov_b32_e32 v6, s81
	v_add_co_u32_e32 v77, vcc, s80, v5
	v_lshlrev_b32_e32 v91, 2, v4
	v_lshlrev_b32_e32 v4, 4, v0
	v_mad_u32_u24 v92, v0, 12, v73
	s_movk_i32 s6, 0x100
	v_addc_co_u32_e32 v78, vcc, 0, v6, vcc
	v_or_b32_e32 v6, 63, v0
	v_and_b32_e32 v97, 0xc00, v4
	v_add_u32_e32 v98, v92, v73
	s_mov_b64 s[12:13], s[4:5]
	v_cmp_gt_u32_e64 s[4:5], s6, v0
	v_cmp_eq_u32_e64 s[6:7], v0, v6
	v_lshrrev_b32_e32 v6, 4, v0
	v_sub_u32_e32 v99, v98, v4
	v_lshlrev_b32_e32 v4, 3, v97
	v_and_b32_e32 v93, 12, v6
	v_mov_b32_e32 v6, s87
	v_add_co_u32_e32 v100, vcc, s86, v4
	v_addc_co_u32_e32 v101, vcc, 0, v6, vcc
	v_mov_b32_e32 v6, s81
	v_add_co_u32_e32 v102, vcc, s80, v4
	v_addc_co_u32_e32 v103, vcc, 0, v6, vcc
	;; [unrolled: 3-line block ×7, first 2 shown]
	s_mov_b32 s72, 0
	v_or_b32_e32 v75, 0x200, v0
	v_or_b32_e32 v76, 0x300, v0
	;; [unrolled: 1-line block ×14, first 2 shown]
	s_add_u32 s74, s12, 0x50
	s_movk_i32 s14, 0xff
	v_mov_b32_e32 v5, s77
	v_add_co_u32_e32 v115, vcc, s76, v4
	v_mbcnt_lo_u32_b32 v4, -1, 0
	s_brev_b32 s73, 1
	v_mov_b32_e32 v3, 0
	v_or_b32_e32 v74, 0x100, v0
	v_or_b32_e32 v94, 0x8400, v93
	v_cmp_gt_u32_e64 s[8:9], 4, v0
	v_or_b32_e32 v95, 0x8400, v73
	v_cmp_lt_u32_e64 s[10:11], 63, v0
	v_add_u32_e32 v96, 0x83fc, v93
	s_addc_u32 s75, s13, 0
	v_cmp_eq_u32_e64 s[12:13], 0, v0
	v_cmp_ne_u32_e64 s[14:15], s14, v0
	v_add_u32_e32 v104, v99, v73
	v_addc_co_u32_e32 v116, vcc, 0, v5, vcc
	s_mov_b32 s88, s89
	v_mov_b32_e32 v117, 1
	v_lshlrev_b32_e32 v118, 3, v0
	v_lshlrev_b32_e32 v119, 3, v75
	;; [unrolled: 1-line block ×15, first 2 shown]
	v_bfrev_b32_e32 v133, -2
	v_mbcnt_hi_u32_b32 v134, -1, v4
	s_mov_b32 s95, s89
	s_branch .LBB1152_17
.LBB1152_15:                            ;   in Loop: Header=BB1152_17 Depth=1
	s_waitcnt lgkmcnt(0)
	s_barrier
.LBB1152_16:                            ;   in Loop: Header=BB1152_17 Depth=1
	s_add_i32 s95, s95, 8
	s_cmp_ge_u32 s95, s90
	s_cbranch_scc1 .LBB1152_1187
.LBB1152_17:                            ; =>This Loop Header: Depth=1
                                        ;     Child Loop BB1152_21 Depth 2
                                        ;     Child Loop BB1152_101 Depth 2
	;; [unrolled: 1-line block ×8, first 2 shown]
	s_sub_i32 s16, s90, s95
	s_xor_b64 s[70:71], s[70:71], -1
	s_min_u32 s96, s16, 8
	s_cmp_lg_u32 s95, s89
	s_mov_b64 s[16:17], -1
	ds_write2st64_b32 v73, v3, v3 offset1:4
	ds_write2st64_b32 v73, v3, v3 offset0:8 offset1:12
	s_waitcnt lgkmcnt(0)
	s_cbranch_scc0 .LBB1152_603
; %bb.18:                               ;   in Loop: Header=BB1152_17 Depth=1
	s_lshl_b32 s16, -1, s96
	s_not_b32 s97, s16
	s_mov_b64 s[16:17], -1
	s_and_b64 vcc, exec, s[70:71]
	s_cbranch_vccz .LBB1152_310
; %bb.19:                               ;   in Loop: Header=BB1152_17 Depth=1
	s_mov_b32 s20, s91
	s_mov_b32 s16, s69
	s_barrier
                                        ; implicit-def: $vgpr4_vgpr5
                                        ; implicit-def: $vgpr6_vgpr7
                                        ; implicit-def: $vgpr8_vgpr9
                                        ; implicit-def: $vgpr10_vgpr11
                                        ; implicit-def: $vgpr12_vgpr13
                                        ; implicit-def: $vgpr14_vgpr15
                                        ; implicit-def: $vgpr16_vgpr17
                                        ; implicit-def: $vgpr18_vgpr19
                                        ; implicit-def: $vgpr20_vgpr21
                                        ; implicit-def: $vgpr22_vgpr23
                                        ; implicit-def: $vgpr24_vgpr25
                                        ; implicit-def: $vgpr26_vgpr27
                                        ; implicit-def: $vgpr28_vgpr29
                                        ; implicit-def: $vgpr30_vgpr31
                                        ; implicit-def: $vgpr32_vgpr33
                                        ; implicit-def: $vgpr34_vgpr35
	s_branch .LBB1152_21
.LBB1152_20:                            ;   in Loop: Header=BB1152_21 Depth=2
	s_or_b64 exec, exec, s[16:17]
	s_addk_i32 s20, 0xf000
	s_cmp_ge_u32 s21, s94
	s_mov_b32 s16, s21
	s_cbranch_scc1 .LBB1152_89
.LBB1152_21:                            ;   Parent Loop BB1152_17 Depth=1
                                        ; =>  This Inner Loop Header: Depth=2
	s_add_i32 s21, s16, 0x1000
	s_cmp_gt_u32 s21, s94
	s_mov_b64 s[18:19], -1
                                        ; implicit-def: $vgpr36_vgpr37
                                        ; implicit-def: $vgpr38_vgpr39
                                        ; implicit-def: $vgpr40_vgpr41
                                        ; implicit-def: $vgpr42_vgpr43
                                        ; implicit-def: $vgpr44_vgpr45
                                        ; implicit-def: $vgpr46_vgpr47
                                        ; implicit-def: $vgpr48_vgpr49
                                        ; implicit-def: $vgpr50_vgpr51
                                        ; implicit-def: $vgpr52_vgpr53
                                        ; implicit-def: $vgpr54_vgpr55
                                        ; implicit-def: $vgpr56_vgpr57
                                        ; implicit-def: $vgpr58_vgpr59
                                        ; implicit-def: $vgpr60_vgpr61
                                        ; implicit-def: $vgpr62_vgpr63
                                        ; implicit-def: $vgpr64_vgpr65
                                        ; implicit-def: $vgpr66_vgpr67
	s_cbranch_scc1 .LBB1152_23
; %bb.22:                               ;   in Loop: Header=BB1152_21 Depth=2
	s_mov_b32 s17, s72
	s_lshl_b64 s[18:19], s[16:17], 3
	v_mov_b32_e32 v36, s19
	v_add_co_u32_e32 v60, vcc, s18, v77
	v_addc_co_u32_e32 v61, vcc, v78, v36, vcc
	v_add_co_u32_e32 v44, vcc, 0x1000, v60
	v_addc_co_u32_e32 v45, vcc, 0, v61, vcc
	;; [unrolled: 2-line block ×6, first 2 shown]
	global_load_dwordx2 v[36:37], v[60:61], off
	global_load_dwordx2 v[38:39], v[60:61], off offset:2048
	global_load_dwordx2 v[40:41], v[44:45], off
	global_load_dwordx2 v[42:43], v[44:45], off offset:2048
	s_nop 0
	global_load_dwordx2 v[44:45], v[52:53], off
	global_load_dwordx2 v[46:47], v[52:53], off offset:2048
	global_load_dwordx2 v[48:49], v[54:55], off
	global_load_dwordx2 v[50:51], v[54:55], off offset:2048
	s_nop 0
	global_load_dwordx2 v[52:53], v[62:63], off
	global_load_dwordx2 v[54:55], v[62:63], off offset:2048
	global_load_dwordx2 v[56:57], v[64:65], off
	global_load_dwordx2 v[58:59], v[64:65], off offset:2048
	v_add_co_u32_e32 v62, vcc, 0x6000, v60
	v_addc_co_u32_e32 v63, vcc, 0, v61, vcc
	v_add_co_u32_e32 v66, vcc, 0x7000, v60
	v_addc_co_u32_e32 v67, vcc, 0, v61, vcc
	global_load_dwordx2 v[60:61], v[62:63], off
	s_nop 0
	global_load_dwordx2 v[62:63], v[62:63], off offset:2048
	s_nop 0
	global_load_dwordx2 v[64:65], v[66:67], off
	s_nop 0
	global_load_dwordx2 v[66:67], v[66:67], off offset:2048
	s_mov_b64 s[18:19], 0
.LBB1152_23:                            ;   in Loop: Header=BB1152_21 Depth=2
	s_andn2_b64 vcc, exec, s[18:19]
	s_movk_i32 s18, 0x1000
	s_cbranch_vccnz .LBB1152_42
; %bb.24:                               ;   in Loop: Header=BB1152_21 Depth=2
	s_mov_b32 s17, s72
	s_lshl_b64 s[16:17], s[16:17], 3
	s_add_u32 s16, s80, s16
	s_addc_u32 s17, s81, s17
	v_cmp_gt_u32_e32 vcc, s20, v0
	s_and_saveexec_b64 s[18:19], vcc
	s_cbranch_execnz .LBB1152_74
; %bb.25:                               ;   in Loop: Header=BB1152_21 Depth=2
	s_or_b64 exec, exec, s[18:19]
	v_cmp_gt_u32_e32 vcc, s20, v74
	s_and_saveexec_b64 s[18:19], vcc
	s_cbranch_execnz .LBB1152_75
.LBB1152_26:                            ;   in Loop: Header=BB1152_21 Depth=2
	s_or_b64 exec, exec, s[18:19]
	v_cmp_gt_u32_e32 vcc, s20, v75
	s_and_saveexec_b64 s[18:19], vcc
	s_cbranch_execnz .LBB1152_76
.LBB1152_27:                            ;   in Loop: Header=BB1152_21 Depth=2
	s_or_b64 exec, exec, s[18:19]
	v_cmp_gt_u32_e32 vcc, s20, v76
	s_and_saveexec_b64 s[18:19], vcc
	s_cbranch_execnz .LBB1152_77
.LBB1152_28:                            ;   in Loop: Header=BB1152_21 Depth=2
	s_or_b64 exec, exec, s[18:19]
	v_cmp_gt_u32_e32 vcc, s20, v79
	s_and_saveexec_b64 s[18:19], vcc
	s_cbranch_execnz .LBB1152_78
.LBB1152_29:                            ;   in Loop: Header=BB1152_21 Depth=2
	s_or_b64 exec, exec, s[18:19]
	v_cmp_gt_u32_e32 vcc, s20, v80
	s_and_saveexec_b64 s[18:19], vcc
	s_cbranch_execnz .LBB1152_79
.LBB1152_30:                            ;   in Loop: Header=BB1152_21 Depth=2
	s_or_b64 exec, exec, s[18:19]
	v_cmp_gt_u32_e32 vcc, s20, v81
	s_and_saveexec_b64 s[18:19], vcc
	s_cbranch_execnz .LBB1152_80
.LBB1152_31:                            ;   in Loop: Header=BB1152_21 Depth=2
	s_or_b64 exec, exec, s[18:19]
	v_cmp_gt_u32_e32 vcc, s20, v82
	s_and_saveexec_b64 s[18:19], vcc
	s_cbranch_execnz .LBB1152_81
.LBB1152_32:                            ;   in Loop: Header=BB1152_21 Depth=2
	s_or_b64 exec, exec, s[18:19]
	v_cmp_gt_u32_e32 vcc, s20, v83
	s_and_saveexec_b64 s[18:19], vcc
	s_cbranch_execnz .LBB1152_82
.LBB1152_33:                            ;   in Loop: Header=BB1152_21 Depth=2
	s_or_b64 exec, exec, s[18:19]
	v_cmp_gt_u32_e32 vcc, s20, v84
	s_and_saveexec_b64 s[18:19], vcc
	s_cbranch_execnz .LBB1152_83
.LBB1152_34:                            ;   in Loop: Header=BB1152_21 Depth=2
	s_or_b64 exec, exec, s[18:19]
	v_cmp_gt_u32_e32 vcc, s20, v85
	s_and_saveexec_b64 s[18:19], vcc
	s_cbranch_execnz .LBB1152_84
.LBB1152_35:                            ;   in Loop: Header=BB1152_21 Depth=2
	s_or_b64 exec, exec, s[18:19]
	v_cmp_gt_u32_e32 vcc, s20, v86
	s_and_saveexec_b64 s[18:19], vcc
	s_cbranch_execnz .LBB1152_85
.LBB1152_36:                            ;   in Loop: Header=BB1152_21 Depth=2
	s_or_b64 exec, exec, s[18:19]
	v_cmp_gt_u32_e32 vcc, s20, v87
	s_and_saveexec_b64 s[18:19], vcc
	s_cbranch_execnz .LBB1152_86
.LBB1152_37:                            ;   in Loop: Header=BB1152_21 Depth=2
	s_or_b64 exec, exec, s[18:19]
	v_cmp_gt_u32_e32 vcc, s20, v88
	s_and_saveexec_b64 s[18:19], vcc
	s_cbranch_execnz .LBB1152_87
.LBB1152_38:                            ;   in Loop: Header=BB1152_21 Depth=2
	s_or_b64 exec, exec, s[18:19]
	v_cmp_gt_u32_e32 vcc, s20, v89
	s_and_saveexec_b64 s[18:19], vcc
	s_cbranch_execnz .LBB1152_88
.LBB1152_39:                            ;   in Loop: Header=BB1152_21 Depth=2
	s_or_b64 exec, exec, s[18:19]
	v_cmp_gt_u32_e32 vcc, s20, v90
	s_and_saveexec_b64 s[18:19], vcc
	s_cbranch_execz .LBB1152_41
.LBB1152_40:                            ;   in Loop: Header=BB1152_21 Depth=2
	global_load_dwordx2 v[4:5], v132, s[16:17]
.LBB1152_41:                            ;   in Loop: Header=BB1152_21 Depth=2
	s_or_b64 exec, exec, s[18:19]
	s_waitcnt vmcnt(0)
	v_mov_b32_e32 v37, v35
	v_mov_b32_e32 v39, v33
	;; [unrolled: 1-line block ×16, first 2 shown]
	s_mov_b32 s18, s20
	v_mov_b32_e32 v36, v34
	v_mov_b32_e32 v38, v32
	;; [unrolled: 1-line block ×16, first 2 shown]
.LBB1152_42:                            ;   in Loop: Header=BB1152_21 Depth=2
	s_waitcnt vmcnt(0)
	v_mov_b32_e32 v4, v66
	v_mov_b32_e32 v6, v64
	;; [unrolled: 1-line block ×32, first 2 shown]
	v_cmp_gt_u32_e32 vcc, s18, v0
	s_and_saveexec_b64 s[16:17], vcc
	s_cbranch_execnz .LBB1152_58
; %bb.43:                               ;   in Loop: Header=BB1152_21 Depth=2
	s_or_b64 exec, exec, s[16:17]
	v_cmp_gt_u32_e32 vcc, s18, v74
	s_and_saveexec_b64 s[16:17], vcc
	s_cbranch_execnz .LBB1152_59
.LBB1152_44:                            ;   in Loop: Header=BB1152_21 Depth=2
	s_or_b64 exec, exec, s[16:17]
	v_cmp_gt_u32_e32 vcc, s18, v75
	s_and_saveexec_b64 s[16:17], vcc
	s_cbranch_execnz .LBB1152_60
.LBB1152_45:                            ;   in Loop: Header=BB1152_21 Depth=2
	s_or_b64 exec, exec, s[16:17]
	v_cmp_gt_u32_e32 vcc, s18, v76
	s_and_saveexec_b64 s[16:17], vcc
	s_cbranch_execnz .LBB1152_61
.LBB1152_46:                            ;   in Loop: Header=BB1152_21 Depth=2
	s_or_b64 exec, exec, s[16:17]
	v_cmp_gt_u32_e32 vcc, s18, v79
	s_and_saveexec_b64 s[16:17], vcc
	s_cbranch_execnz .LBB1152_62
.LBB1152_47:                            ;   in Loop: Header=BB1152_21 Depth=2
	s_or_b64 exec, exec, s[16:17]
	v_cmp_gt_u32_e32 vcc, s18, v80
	s_and_saveexec_b64 s[16:17], vcc
	s_cbranch_execnz .LBB1152_63
.LBB1152_48:                            ;   in Loop: Header=BB1152_21 Depth=2
	s_or_b64 exec, exec, s[16:17]
	v_cmp_gt_u32_e32 vcc, s18, v81
	s_and_saveexec_b64 s[16:17], vcc
	s_cbranch_execnz .LBB1152_64
.LBB1152_49:                            ;   in Loop: Header=BB1152_21 Depth=2
	s_or_b64 exec, exec, s[16:17]
	v_cmp_gt_u32_e32 vcc, s18, v82
	s_and_saveexec_b64 s[16:17], vcc
	s_cbranch_execnz .LBB1152_65
.LBB1152_50:                            ;   in Loop: Header=BB1152_21 Depth=2
	s_or_b64 exec, exec, s[16:17]
	v_cmp_gt_u32_e32 vcc, s18, v83
	s_and_saveexec_b64 s[16:17], vcc
	s_cbranch_execnz .LBB1152_66
.LBB1152_51:                            ;   in Loop: Header=BB1152_21 Depth=2
	s_or_b64 exec, exec, s[16:17]
	v_cmp_gt_u32_e32 vcc, s18, v84
	s_and_saveexec_b64 s[16:17], vcc
	s_cbranch_execnz .LBB1152_67
.LBB1152_52:                            ;   in Loop: Header=BB1152_21 Depth=2
	s_or_b64 exec, exec, s[16:17]
	v_cmp_gt_u32_e32 vcc, s18, v85
	s_and_saveexec_b64 s[16:17], vcc
	s_cbranch_execnz .LBB1152_68
.LBB1152_53:                            ;   in Loop: Header=BB1152_21 Depth=2
	s_or_b64 exec, exec, s[16:17]
	v_cmp_gt_u32_e32 vcc, s18, v86
	s_and_saveexec_b64 s[16:17], vcc
	s_cbranch_execnz .LBB1152_69
.LBB1152_54:                            ;   in Loop: Header=BB1152_21 Depth=2
	s_or_b64 exec, exec, s[16:17]
	v_cmp_gt_u32_e32 vcc, s18, v87
	s_and_saveexec_b64 s[16:17], vcc
	s_cbranch_execnz .LBB1152_70
.LBB1152_55:                            ;   in Loop: Header=BB1152_21 Depth=2
	s_or_b64 exec, exec, s[16:17]
	v_cmp_gt_u32_e32 vcc, s18, v88
	s_and_saveexec_b64 s[16:17], vcc
	s_cbranch_execnz .LBB1152_71
.LBB1152_56:                            ;   in Loop: Header=BB1152_21 Depth=2
	s_or_b64 exec, exec, s[16:17]
	v_cmp_gt_u32_e32 vcc, s18, v89
	s_and_saveexec_b64 s[16:17], vcc
	s_cbranch_execnz .LBB1152_72
.LBB1152_57:                            ;   in Loop: Header=BB1152_21 Depth=2
	s_or_b64 exec, exec, s[16:17]
	v_cmp_gt_u32_e32 vcc, s18, v90
	s_and_saveexec_b64 s[16:17], vcc
	s_cbranch_execz .LBB1152_20
	s_branch .LBB1152_73
.LBB1152_58:                            ;   in Loop: Header=BB1152_21 Depth=2
	v_cmp_gt_i64_e32 vcc, 0, v[34:35]
	v_ashrrev_i32_e32 v37, 31, v35
	v_cndmask_b32_e64 v36, v133, 0, vcc
	v_not_b32_e32 v38, v37
	v_xor_b32_e32 v37, v36, v35
	v_xor_b32_e32 v36, v38, v34
	v_cmp_ne_u64_e32 vcc, s[72:73], v[36:37]
	v_cndmask_b32_e32 v37, v133, v37, vcc
	v_cndmask_b32_e32 v36, -1, v36, vcc
	v_lshrrev_b64 v[36:37], s95, v[36:37]
	v_and_b32_e32 v36, s97, v36
	v_lshl_or_b32 v36, v36, 4, v91
	ds_add_u32 v36, v117
	s_or_b64 exec, exec, s[16:17]
	v_cmp_gt_u32_e32 vcc, s18, v74
	s_and_saveexec_b64 s[16:17], vcc
	s_cbranch_execz .LBB1152_44
.LBB1152_59:                            ;   in Loop: Header=BB1152_21 Depth=2
	v_cmp_gt_i64_e32 vcc, 0, v[32:33]
	v_ashrrev_i32_e32 v37, 31, v33
	v_cndmask_b32_e64 v36, v133, 0, vcc
	v_not_b32_e32 v38, v37
	v_xor_b32_e32 v37, v36, v33
	v_xor_b32_e32 v36, v38, v32
	v_cmp_ne_u64_e32 vcc, s[72:73], v[36:37]
	v_cndmask_b32_e32 v37, v133, v37, vcc
	v_cndmask_b32_e32 v36, -1, v36, vcc
	v_lshrrev_b64 v[36:37], s95, v[36:37]
	v_and_b32_e32 v36, s97, v36
	v_lshl_or_b32 v36, v36, 4, v91
	ds_add_u32 v36, v117
	s_or_b64 exec, exec, s[16:17]
	v_cmp_gt_u32_e32 vcc, s18, v75
	s_and_saveexec_b64 s[16:17], vcc
	s_cbranch_execz .LBB1152_45
.LBB1152_60:                            ;   in Loop: Header=BB1152_21 Depth=2
	v_cmp_gt_i64_e32 vcc, 0, v[30:31]
	v_ashrrev_i32_e32 v37, 31, v31
	v_cndmask_b32_e64 v36, v133, 0, vcc
	v_not_b32_e32 v38, v37
	v_xor_b32_e32 v37, v36, v31
	v_xor_b32_e32 v36, v38, v30
	v_cmp_ne_u64_e32 vcc, s[72:73], v[36:37]
	v_cndmask_b32_e32 v37, v133, v37, vcc
	v_cndmask_b32_e32 v36, -1, v36, vcc
	v_lshrrev_b64 v[36:37], s95, v[36:37]
	v_and_b32_e32 v36, s97, v36
	v_lshl_or_b32 v36, v36, 4, v91
	ds_add_u32 v36, v117
	s_or_b64 exec, exec, s[16:17]
	v_cmp_gt_u32_e32 vcc, s18, v76
	s_and_saveexec_b64 s[16:17], vcc
	s_cbranch_execz .LBB1152_46
.LBB1152_61:                            ;   in Loop: Header=BB1152_21 Depth=2
	v_cmp_gt_i64_e32 vcc, 0, v[28:29]
	v_ashrrev_i32_e32 v37, 31, v29
	v_cndmask_b32_e64 v36, v133, 0, vcc
	v_not_b32_e32 v38, v37
	v_xor_b32_e32 v37, v36, v29
	v_xor_b32_e32 v36, v38, v28
	v_cmp_ne_u64_e32 vcc, s[72:73], v[36:37]
	v_cndmask_b32_e32 v37, v133, v37, vcc
	v_cndmask_b32_e32 v36, -1, v36, vcc
	v_lshrrev_b64 v[36:37], s95, v[36:37]
	v_and_b32_e32 v36, s97, v36
	v_lshl_or_b32 v36, v36, 4, v91
	ds_add_u32 v36, v117
	s_or_b64 exec, exec, s[16:17]
	v_cmp_gt_u32_e32 vcc, s18, v79
	s_and_saveexec_b64 s[16:17], vcc
	s_cbranch_execz .LBB1152_47
.LBB1152_62:                            ;   in Loop: Header=BB1152_21 Depth=2
	v_cmp_gt_i64_e32 vcc, 0, v[26:27]
	v_ashrrev_i32_e32 v37, 31, v27
	v_cndmask_b32_e64 v36, v133, 0, vcc
	v_not_b32_e32 v38, v37
	v_xor_b32_e32 v37, v36, v27
	v_xor_b32_e32 v36, v38, v26
	v_cmp_ne_u64_e32 vcc, s[72:73], v[36:37]
	v_cndmask_b32_e32 v37, v133, v37, vcc
	v_cndmask_b32_e32 v36, -1, v36, vcc
	v_lshrrev_b64 v[36:37], s95, v[36:37]
	v_and_b32_e32 v36, s97, v36
	v_lshl_or_b32 v36, v36, 4, v91
	ds_add_u32 v36, v117
	s_or_b64 exec, exec, s[16:17]
	v_cmp_gt_u32_e32 vcc, s18, v80
	s_and_saveexec_b64 s[16:17], vcc
	s_cbranch_execz .LBB1152_48
.LBB1152_63:                            ;   in Loop: Header=BB1152_21 Depth=2
	v_cmp_gt_i64_e32 vcc, 0, v[24:25]
	v_ashrrev_i32_e32 v37, 31, v25
	v_cndmask_b32_e64 v36, v133, 0, vcc
	v_not_b32_e32 v38, v37
	v_xor_b32_e32 v37, v36, v25
	v_xor_b32_e32 v36, v38, v24
	v_cmp_ne_u64_e32 vcc, s[72:73], v[36:37]
	v_cndmask_b32_e32 v37, v133, v37, vcc
	v_cndmask_b32_e32 v36, -1, v36, vcc
	v_lshrrev_b64 v[36:37], s95, v[36:37]
	v_and_b32_e32 v36, s97, v36
	v_lshl_or_b32 v36, v36, 4, v91
	ds_add_u32 v36, v117
	s_or_b64 exec, exec, s[16:17]
	v_cmp_gt_u32_e32 vcc, s18, v81
	s_and_saveexec_b64 s[16:17], vcc
	s_cbranch_execz .LBB1152_49
.LBB1152_64:                            ;   in Loop: Header=BB1152_21 Depth=2
	v_cmp_gt_i64_e32 vcc, 0, v[22:23]
	v_ashrrev_i32_e32 v37, 31, v23
	v_cndmask_b32_e64 v36, v133, 0, vcc
	v_not_b32_e32 v38, v37
	v_xor_b32_e32 v37, v36, v23
	v_xor_b32_e32 v36, v38, v22
	v_cmp_ne_u64_e32 vcc, s[72:73], v[36:37]
	v_cndmask_b32_e32 v37, v133, v37, vcc
	v_cndmask_b32_e32 v36, -1, v36, vcc
	v_lshrrev_b64 v[36:37], s95, v[36:37]
	v_and_b32_e32 v36, s97, v36
	v_lshl_or_b32 v36, v36, 4, v91
	ds_add_u32 v36, v117
	s_or_b64 exec, exec, s[16:17]
	v_cmp_gt_u32_e32 vcc, s18, v82
	s_and_saveexec_b64 s[16:17], vcc
	s_cbranch_execz .LBB1152_50
.LBB1152_65:                            ;   in Loop: Header=BB1152_21 Depth=2
	v_cmp_gt_i64_e32 vcc, 0, v[20:21]
	v_ashrrev_i32_e32 v37, 31, v21
	v_cndmask_b32_e64 v36, v133, 0, vcc
	v_not_b32_e32 v38, v37
	v_xor_b32_e32 v37, v36, v21
	v_xor_b32_e32 v36, v38, v20
	v_cmp_ne_u64_e32 vcc, s[72:73], v[36:37]
	v_cndmask_b32_e32 v37, v133, v37, vcc
	v_cndmask_b32_e32 v36, -1, v36, vcc
	v_lshrrev_b64 v[36:37], s95, v[36:37]
	v_and_b32_e32 v36, s97, v36
	v_lshl_or_b32 v36, v36, 4, v91
	ds_add_u32 v36, v117
	s_or_b64 exec, exec, s[16:17]
	v_cmp_gt_u32_e32 vcc, s18, v83
	s_and_saveexec_b64 s[16:17], vcc
	s_cbranch_execz .LBB1152_51
.LBB1152_66:                            ;   in Loop: Header=BB1152_21 Depth=2
	v_cmp_gt_i64_e32 vcc, 0, v[18:19]
	v_ashrrev_i32_e32 v37, 31, v19
	v_cndmask_b32_e64 v36, v133, 0, vcc
	v_not_b32_e32 v38, v37
	v_xor_b32_e32 v37, v36, v19
	v_xor_b32_e32 v36, v38, v18
	v_cmp_ne_u64_e32 vcc, s[72:73], v[36:37]
	v_cndmask_b32_e32 v37, v133, v37, vcc
	v_cndmask_b32_e32 v36, -1, v36, vcc
	v_lshrrev_b64 v[36:37], s95, v[36:37]
	v_and_b32_e32 v36, s97, v36
	v_lshl_or_b32 v36, v36, 4, v91
	ds_add_u32 v36, v117
	s_or_b64 exec, exec, s[16:17]
	v_cmp_gt_u32_e32 vcc, s18, v84
	s_and_saveexec_b64 s[16:17], vcc
	s_cbranch_execz .LBB1152_52
.LBB1152_67:                            ;   in Loop: Header=BB1152_21 Depth=2
	v_cmp_gt_i64_e32 vcc, 0, v[16:17]
	v_ashrrev_i32_e32 v37, 31, v17
	v_cndmask_b32_e64 v36, v133, 0, vcc
	v_not_b32_e32 v38, v37
	v_xor_b32_e32 v37, v36, v17
	v_xor_b32_e32 v36, v38, v16
	v_cmp_ne_u64_e32 vcc, s[72:73], v[36:37]
	v_cndmask_b32_e32 v37, v133, v37, vcc
	v_cndmask_b32_e32 v36, -1, v36, vcc
	v_lshrrev_b64 v[36:37], s95, v[36:37]
	v_and_b32_e32 v36, s97, v36
	v_lshl_or_b32 v36, v36, 4, v91
	ds_add_u32 v36, v117
	s_or_b64 exec, exec, s[16:17]
	v_cmp_gt_u32_e32 vcc, s18, v85
	s_and_saveexec_b64 s[16:17], vcc
	s_cbranch_execz .LBB1152_53
.LBB1152_68:                            ;   in Loop: Header=BB1152_21 Depth=2
	v_cmp_gt_i64_e32 vcc, 0, v[14:15]
	v_ashrrev_i32_e32 v37, 31, v15
	v_cndmask_b32_e64 v36, v133, 0, vcc
	v_not_b32_e32 v38, v37
	v_xor_b32_e32 v37, v36, v15
	v_xor_b32_e32 v36, v38, v14
	v_cmp_ne_u64_e32 vcc, s[72:73], v[36:37]
	v_cndmask_b32_e32 v37, v133, v37, vcc
	v_cndmask_b32_e32 v36, -1, v36, vcc
	v_lshrrev_b64 v[36:37], s95, v[36:37]
	v_and_b32_e32 v36, s97, v36
	v_lshl_or_b32 v36, v36, 4, v91
	ds_add_u32 v36, v117
	s_or_b64 exec, exec, s[16:17]
	v_cmp_gt_u32_e32 vcc, s18, v86
	s_and_saveexec_b64 s[16:17], vcc
	s_cbranch_execz .LBB1152_54
.LBB1152_69:                            ;   in Loop: Header=BB1152_21 Depth=2
	v_cmp_gt_i64_e32 vcc, 0, v[12:13]
	v_ashrrev_i32_e32 v37, 31, v13
	v_cndmask_b32_e64 v36, v133, 0, vcc
	v_not_b32_e32 v38, v37
	v_xor_b32_e32 v37, v36, v13
	v_xor_b32_e32 v36, v38, v12
	v_cmp_ne_u64_e32 vcc, s[72:73], v[36:37]
	v_cndmask_b32_e32 v37, v133, v37, vcc
	v_cndmask_b32_e32 v36, -1, v36, vcc
	v_lshrrev_b64 v[36:37], s95, v[36:37]
	v_and_b32_e32 v36, s97, v36
	v_lshl_or_b32 v36, v36, 4, v91
	ds_add_u32 v36, v117
	s_or_b64 exec, exec, s[16:17]
	v_cmp_gt_u32_e32 vcc, s18, v87
	s_and_saveexec_b64 s[16:17], vcc
	s_cbranch_execz .LBB1152_55
.LBB1152_70:                            ;   in Loop: Header=BB1152_21 Depth=2
	v_cmp_gt_i64_e32 vcc, 0, v[10:11]
	v_ashrrev_i32_e32 v37, 31, v11
	v_cndmask_b32_e64 v36, v133, 0, vcc
	v_not_b32_e32 v38, v37
	v_xor_b32_e32 v37, v36, v11
	v_xor_b32_e32 v36, v38, v10
	v_cmp_ne_u64_e32 vcc, s[72:73], v[36:37]
	v_cndmask_b32_e32 v37, v133, v37, vcc
	v_cndmask_b32_e32 v36, -1, v36, vcc
	v_lshrrev_b64 v[36:37], s95, v[36:37]
	v_and_b32_e32 v36, s97, v36
	v_lshl_or_b32 v36, v36, 4, v91
	ds_add_u32 v36, v117
	s_or_b64 exec, exec, s[16:17]
	v_cmp_gt_u32_e32 vcc, s18, v88
	s_and_saveexec_b64 s[16:17], vcc
	s_cbranch_execz .LBB1152_56
.LBB1152_71:                            ;   in Loop: Header=BB1152_21 Depth=2
	v_cmp_gt_i64_e32 vcc, 0, v[8:9]
	v_ashrrev_i32_e32 v37, 31, v9
	v_cndmask_b32_e64 v36, v133, 0, vcc
	v_not_b32_e32 v38, v37
	v_xor_b32_e32 v37, v36, v9
	v_xor_b32_e32 v36, v38, v8
	v_cmp_ne_u64_e32 vcc, s[72:73], v[36:37]
	v_cndmask_b32_e32 v37, v133, v37, vcc
	v_cndmask_b32_e32 v36, -1, v36, vcc
	v_lshrrev_b64 v[36:37], s95, v[36:37]
	v_and_b32_e32 v36, s97, v36
	v_lshl_or_b32 v36, v36, 4, v91
	ds_add_u32 v36, v117
	s_or_b64 exec, exec, s[16:17]
	v_cmp_gt_u32_e32 vcc, s18, v89
	s_and_saveexec_b64 s[16:17], vcc
	s_cbranch_execz .LBB1152_57
.LBB1152_72:                            ;   in Loop: Header=BB1152_21 Depth=2
	v_cmp_gt_i64_e32 vcc, 0, v[6:7]
	v_ashrrev_i32_e32 v37, 31, v7
	v_cndmask_b32_e64 v36, v133, 0, vcc
	v_not_b32_e32 v38, v37
	v_xor_b32_e32 v37, v36, v7
	v_xor_b32_e32 v36, v38, v6
	v_cmp_ne_u64_e32 vcc, s[72:73], v[36:37]
	v_cndmask_b32_e32 v37, v133, v37, vcc
	v_cndmask_b32_e32 v36, -1, v36, vcc
	v_lshrrev_b64 v[36:37], s95, v[36:37]
	v_and_b32_e32 v36, s97, v36
	v_lshl_or_b32 v36, v36, 4, v91
	ds_add_u32 v36, v117
	s_or_b64 exec, exec, s[16:17]
	v_cmp_gt_u32_e32 vcc, s18, v90
	s_and_saveexec_b64 s[16:17], vcc
	s_cbranch_execz .LBB1152_20
.LBB1152_73:                            ;   in Loop: Header=BB1152_21 Depth=2
	v_cmp_gt_i64_e32 vcc, 0, v[4:5]
	v_ashrrev_i32_e32 v37, 31, v5
	v_cndmask_b32_e64 v36, v133, 0, vcc
	v_not_b32_e32 v38, v37
	v_xor_b32_e32 v37, v36, v5
	v_xor_b32_e32 v36, v38, v4
	v_cmp_ne_u64_e32 vcc, s[72:73], v[36:37]
	v_cndmask_b32_e32 v37, v133, v37, vcc
	v_cndmask_b32_e32 v36, -1, v36, vcc
	v_lshrrev_b64 v[36:37], s95, v[36:37]
	v_and_b32_e32 v36, s97, v36
	v_lshl_or_b32 v36, v36, 4, v91
	ds_add_u32 v36, v117
	s_branch .LBB1152_20
.LBB1152_74:                            ;   in Loop: Header=BB1152_21 Depth=2
	global_load_dwordx2 v[34:35], v118, s[16:17]
	s_or_b64 exec, exec, s[18:19]
	v_cmp_gt_u32_e32 vcc, s20, v74
	s_and_saveexec_b64 s[18:19], vcc
	s_cbranch_execz .LBB1152_26
.LBB1152_75:                            ;   in Loop: Header=BB1152_21 Depth=2
	global_load_dwordx2 v[32:33], v118, s[16:17] offset:2048
	s_or_b64 exec, exec, s[18:19]
	v_cmp_gt_u32_e32 vcc, s20, v75
	s_and_saveexec_b64 s[18:19], vcc
	s_cbranch_execz .LBB1152_27
.LBB1152_76:                            ;   in Loop: Header=BB1152_21 Depth=2
	global_load_dwordx2 v[30:31], v119, s[16:17]
	s_or_b64 exec, exec, s[18:19]
	v_cmp_gt_u32_e32 vcc, s20, v76
	s_and_saveexec_b64 s[18:19], vcc
	s_cbranch_execz .LBB1152_28
.LBB1152_77:                            ;   in Loop: Header=BB1152_21 Depth=2
	global_load_dwordx2 v[28:29], v120, s[16:17]
	s_or_b64 exec, exec, s[18:19]
	v_cmp_gt_u32_e32 vcc, s20, v79
	s_and_saveexec_b64 s[18:19], vcc
	s_cbranch_execz .LBB1152_29
.LBB1152_78:                            ;   in Loop: Header=BB1152_21 Depth=2
	global_load_dwordx2 v[26:27], v121, s[16:17]
	s_or_b64 exec, exec, s[18:19]
	v_cmp_gt_u32_e32 vcc, s20, v80
	s_and_saveexec_b64 s[18:19], vcc
	s_cbranch_execz .LBB1152_30
.LBB1152_79:                            ;   in Loop: Header=BB1152_21 Depth=2
	global_load_dwordx2 v[24:25], v122, s[16:17]
	s_or_b64 exec, exec, s[18:19]
	v_cmp_gt_u32_e32 vcc, s20, v81
	s_and_saveexec_b64 s[18:19], vcc
	s_cbranch_execz .LBB1152_31
.LBB1152_80:                            ;   in Loop: Header=BB1152_21 Depth=2
	global_load_dwordx2 v[22:23], v123, s[16:17]
	s_or_b64 exec, exec, s[18:19]
	v_cmp_gt_u32_e32 vcc, s20, v82
	s_and_saveexec_b64 s[18:19], vcc
	s_cbranch_execz .LBB1152_32
.LBB1152_81:                            ;   in Loop: Header=BB1152_21 Depth=2
	global_load_dwordx2 v[20:21], v124, s[16:17]
	s_or_b64 exec, exec, s[18:19]
	v_cmp_gt_u32_e32 vcc, s20, v83
	s_and_saveexec_b64 s[18:19], vcc
	s_cbranch_execz .LBB1152_33
.LBB1152_82:                            ;   in Loop: Header=BB1152_21 Depth=2
	global_load_dwordx2 v[18:19], v125, s[16:17]
	s_or_b64 exec, exec, s[18:19]
	v_cmp_gt_u32_e32 vcc, s20, v84
	s_and_saveexec_b64 s[18:19], vcc
	s_cbranch_execz .LBB1152_34
.LBB1152_83:                            ;   in Loop: Header=BB1152_21 Depth=2
	global_load_dwordx2 v[16:17], v126, s[16:17]
	s_or_b64 exec, exec, s[18:19]
	v_cmp_gt_u32_e32 vcc, s20, v85
	s_and_saveexec_b64 s[18:19], vcc
	s_cbranch_execz .LBB1152_35
.LBB1152_84:                            ;   in Loop: Header=BB1152_21 Depth=2
	global_load_dwordx2 v[14:15], v127, s[16:17]
	s_or_b64 exec, exec, s[18:19]
	v_cmp_gt_u32_e32 vcc, s20, v86
	s_and_saveexec_b64 s[18:19], vcc
	s_cbranch_execz .LBB1152_36
.LBB1152_85:                            ;   in Loop: Header=BB1152_21 Depth=2
	global_load_dwordx2 v[12:13], v128, s[16:17]
	s_or_b64 exec, exec, s[18:19]
	v_cmp_gt_u32_e32 vcc, s20, v87
	s_and_saveexec_b64 s[18:19], vcc
	s_cbranch_execz .LBB1152_37
.LBB1152_86:                            ;   in Loop: Header=BB1152_21 Depth=2
	global_load_dwordx2 v[10:11], v129, s[16:17]
	s_or_b64 exec, exec, s[18:19]
	v_cmp_gt_u32_e32 vcc, s20, v88
	s_and_saveexec_b64 s[18:19], vcc
	s_cbranch_execz .LBB1152_38
.LBB1152_87:                            ;   in Loop: Header=BB1152_21 Depth=2
	global_load_dwordx2 v[8:9], v130, s[16:17]
	s_or_b64 exec, exec, s[18:19]
	v_cmp_gt_u32_e32 vcc, s20, v89
	s_and_saveexec_b64 s[18:19], vcc
	s_cbranch_execz .LBB1152_39
.LBB1152_88:                            ;   in Loop: Header=BB1152_21 Depth=2
	global_load_dwordx2 v[6:7], v131, s[16:17]
	s_or_b64 exec, exec, s[18:19]
	v_cmp_gt_u32_e32 vcc, s20, v90
	s_and_saveexec_b64 s[18:19], vcc
	s_cbranch_execnz .LBB1152_40
	s_branch .LBB1152_41
.LBB1152_89:                            ;   in Loop: Header=BB1152_17 Depth=1
	v_mov_b32_e32 v4, 0
	s_waitcnt lgkmcnt(0)
	s_barrier
	s_and_saveexec_b64 s[16:17], s[4:5]
	s_cbranch_execz .LBB1152_91
; %bb.90:                               ;   in Loop: Header=BB1152_17 Depth=1
	ds_read2_b64 v[4:7], v92 offset1:1
	s_waitcnt lgkmcnt(0)
	v_add_u32_e32 v4, v5, v4
	v_add3_u32 v4, v4, v6, v7
.LBB1152_91:                            ;   in Loop: Header=BB1152_17 Depth=1
	s_or_b64 exec, exec, s[16:17]
	v_and_b32_e32 v5, 15, v134
	v_mov_b32_dpp v6, v4 row_shr:1 row_mask:0xf bank_mask:0xf
	v_cmp_eq_u32_e64 s[16:17], 0, v5
	v_cndmask_b32_e64 v6, v6, 0, s[16:17]
	v_add_u32_e32 v4, v6, v4
	v_cmp_lt_u32_e64 s[18:19], 1, v5
	v_cmp_lt_u32_e64 s[20:21], 3, v5
	v_mov_b32_dpp v6, v4 row_shr:2 row_mask:0xf bank_mask:0xf
	v_cndmask_b32_e64 v6, 0, v6, s[18:19]
	v_add_u32_e32 v4, v4, v6
	v_cmp_lt_u32_e64 s[22:23], 7, v5
	v_cmp_lt_u32_e64 s[26:27], 31, v134
	v_mov_b32_dpp v6, v4 row_shr:4 row_mask:0xf bank_mask:0xf
	v_cndmask_b32_e64 v6, 0, v6, s[20:21]
	v_add_u32_e32 v4, v4, v6
	v_and_b32_e32 v7, 16, v134
	v_cmp_eq_u32_e64 s[24:25], 0, v7
	v_mov_b32_dpp v6, v4 row_shr:8 row_mask:0xf bank_mask:0xf
	v_cndmask_b32_e64 v5, 0, v6, s[22:23]
	v_add_u32_e32 v4, v4, v5
	v_bfe_i32 v6, v134, 4, 1
	s_nop 0
	v_mov_b32_dpp v5, v4 row_bcast:15 row_mask:0xf bank_mask:0xf
	v_and_b32_e32 v5, v6, v5
	v_add_u32_e32 v4, v4, v5
	s_nop 1
	v_mov_b32_dpp v5, v4 row_bcast:31 row_mask:0xf bank_mask:0xf
	v_cndmask_b32_e64 v5, 0, v5, s[26:27]
	v_add_u32_e32 v5, v4, v5
	s_and_saveexec_b64 s[28:29], s[6:7]
; %bb.92:                               ;   in Loop: Header=BB1152_17 Depth=1
	ds_write_b32 v94, v5
; %bb.93:                               ;   in Loop: Header=BB1152_17 Depth=1
	s_or_b64 exec, exec, s[28:29]
	v_and_b32_e32 v4, 3, v134
	s_waitcnt lgkmcnt(0)
	s_barrier
	s_and_saveexec_b64 s[28:29], s[8:9]
	s_cbranch_execz .LBB1152_95
; %bb.94:                               ;   in Loop: Header=BB1152_17 Depth=1
	ds_read_b32 v6, v95
	v_cmp_ne_u32_e32 vcc, 0, v4
	s_waitcnt lgkmcnt(0)
	v_mov_b32_dpp v7, v6 row_shr:1 row_mask:0xf bank_mask:0xf
	v_cndmask_b32_e32 v7, 0, v7, vcc
	v_add_u32_e32 v6, v7, v6
	v_cmp_lt_u32_e32 vcc, 1, v4
	s_nop 0
	v_mov_b32_dpp v7, v6 row_shr:2 row_mask:0xf bank_mask:0xf
	v_cndmask_b32_e32 v7, 0, v7, vcc
	v_add_u32_e32 v6, v6, v7
	ds_write_b32 v95, v6
.LBB1152_95:                            ;   in Loop: Header=BB1152_17 Depth=1
	s_or_b64 exec, exec, s[28:29]
	v_mov_b32_e32 v6, 0
	s_waitcnt lgkmcnt(0)
	s_barrier
	s_and_saveexec_b64 s[28:29], s[10:11]
; %bb.96:                               ;   in Loop: Header=BB1152_17 Depth=1
	ds_read_b32 v6, v96
; %bb.97:                               ;   in Loop: Header=BB1152_17 Depth=1
	s_or_b64 exec, exec, s[28:29]
	v_subrev_co_u32_e64 v7, s[28:29], 1, v134
	v_and_b32_e32 v8, 64, v134
	v_cmp_lt_i32_e32 vcc, v7, v8
	v_cndmask_b32_e32 v7, v7, v134, vcc
	s_waitcnt lgkmcnt(0)
	v_add_u32_e32 v5, v6, v5
	v_lshlrev_b32_e32 v135, 2, v7
	ds_bpermute_b32 v5, v135, v5
	s_waitcnt lgkmcnt(0)
	s_barrier
	s_and_saveexec_b64 s[30:31], s[4:5]
; %bb.98:                               ;   in Loop: Header=BB1152_17 Depth=1
	v_cndmask_b32_e64 v5, v5, v6, s[28:29]
	v_add_u32_e32 v5, s69, v5
	ds_write_b32 v73, v5
; %bb.99:                               ;   in Loop: Header=BB1152_17 Depth=1
	s_or_b64 exec, exec, s[30:31]
	s_load_dword s30, s[74:75], 0x4
	s_load_dword s36, s[74:75], 0xc
	v_cmp_lt_u32_e64 s[34:35], 1, v4
	s_mov_b32 s98, s91
	s_mov_b32 s82, s69
	s_waitcnt lgkmcnt(0)
	s_cmp_lt_u32 s33, s30
	s_cselect_b32 s30, 14, 20
	s_add_u32 s30, s74, s30
	s_addc_u32 s31, s75, 0
	global_load_ushort v37, v3, s[30:31]
	v_cmp_eq_u32_e64 s[30:31], 0, v4
	v_and_b32_e32 v4, 63, v134
	v_lshlrev_b32_e32 v39, 3, v4
	v_or_b32_e32 v143, v4, v97
	s_and_b32 s36, s36, 0xffff
	v_add_co_u32_e32 v145, vcc, v100, v39
	v_addc_co_u32_e32 v147, vcc, 0, v101, vcc
	v_add_co_u32_e32 v170, vcc, v102, v39
	v_or_b32_e32 v149, 64, v143
	v_or_b32_e32 v151, 0x80, v143
	;; [unrolled: 1-line block ×15, first 2 shown]
	v_addc_co_u32_e32 v171, vcc, 0, v103, vcc
                                        ; implicit-def: $vgpr5_vgpr6
                                        ; implicit-def: $vgpr7_vgpr8
                                        ; implicit-def: $vgpr9_vgpr10
                                        ; implicit-def: $vgpr13_vgpr14
                                        ; implicit-def: $vgpr17_vgpr18
                                        ; implicit-def: $vgpr21_vgpr22
                                        ; implicit-def: $vgpr25_vgpr26
                                        ; implicit-def: $vgpr29_vgpr30
                                        ; implicit-def: $vgpr11_vgpr12
                                        ; implicit-def: $vgpr15_vgpr16
                                        ; implicit-def: $vgpr19_vgpr20
                                        ; implicit-def: $vgpr23_vgpr24
                                        ; implicit-def: $vgpr27_vgpr28
                                        ; implicit-def: $vgpr31_vgpr32
                                        ; implicit-def: $vgpr33_vgpr34
                                        ; implicit-def: $vgpr35_vgpr36
                                        ; implicit-def: $vgpr136
                                        ; implicit-def: $vgpr137
                                        ; implicit-def: $vgpr138
                                        ; implicit-def: $vgpr139
                                        ; implicit-def: $vgpr140
                                        ; implicit-def: $vgpr141
                                        ; implicit-def: $vgpr142
                                        ; implicit-def: $vgpr144
                                        ; implicit-def: $vgpr146
                                        ; implicit-def: $vgpr148
                                        ; implicit-def: $vgpr150
                                        ; implicit-def: $vgpr152
                                        ; implicit-def: $vgpr154
                                        ; implicit-def: $vgpr156
                                        ; implicit-def: $vgpr158
                                        ; implicit-def: $vgpr160
	s_waitcnt vmcnt(0)
	v_mad_u32_u24 v4, v2, v37, v1
	v_mad_u64_u32 v[37:38], s[36:37], v4, s36, v[0:1]
	v_lshrrev_b32_e32 v4, 4, v37
	v_and_b32_e32 v172, 0xffffffc, v4
	s_branch .LBB1152_101
.LBB1152_100:                           ;   in Loop: Header=BB1152_101 Depth=2
	s_or_b64 exec, exec, s[36:37]
	s_addk_i32 s98, 0xf000
	s_cmp_lt_u32 s99, s94
	s_mov_b32 s82, s99
	s_cbranch_scc0 .LBB1152_309
.LBB1152_101:                           ;   Parent Loop BB1152_17 Depth=1
                                        ; =>  This Inner Loop Header: Depth=2
	s_add_i32 s99, s82, 0x1000
	s_cmp_gt_u32 s99, s94
	s_cbranch_scc1 .LBB1152_103
; %bb.102:                              ;   in Loop: Header=BB1152_101 Depth=2
	s_mov_b32 s83, s72
	s_lshl_b64 s[36:37], s[82:83], 3
	v_mov_b32_e32 v4, s37
	v_add_co_u32_e32 v41, vcc, s36, v170
	v_addc_co_u32_e32 v42, vcc, v171, v4, vcc
	global_load_dwordx2 v[37:38], v[41:42], off
	global_load_dwordx2 v[39:40], v[41:42], off offset:512
	global_load_dwordx2 v[45:46], v[41:42], off offset:1024
	;; [unrolled: 1-line block ×7, first 2 shown]
	v_add_co_u32_e32 v41, vcc, 0x1000, v41
	v_addc_co_u32_e32 v42, vcc, 0, v42, vcc
	global_load_dwordx2 v[67:68], v[41:42], off
	global_load_dwordx2 v[61:62], v[41:42], off offset:512
	global_load_dwordx2 v[59:60], v[41:42], off offset:1024
	global_load_dwordx2 v[55:56], v[41:42], off offset:1536
	global_load_dwordx2 v[51:52], v[41:42], off offset:2048
	global_load_dwordx2 v[47:48], v[41:42], off offset:2560
	s_nop 0
	global_load_dwordx2 v[41:42], v[41:42], off offset:3072
	s_mov_b64 s[36:37], -1
	s_movk_i32 s40, 0x1000
	s_cbranch_execz .LBB1152_104
	s_branch .LBB1152_135
.LBB1152_103:                           ;   in Loop: Header=BB1152_101 Depth=2
	s_mov_b64 s[36:37], 0
                                        ; implicit-def: $vgpr37_vgpr38
                                        ; implicit-def: $vgpr39_vgpr40
                                        ; implicit-def: $vgpr45_vgpr46
                                        ; implicit-def: $vgpr49_vgpr50
                                        ; implicit-def: $vgpr53_vgpr54
                                        ; implicit-def: $vgpr57_vgpr58
                                        ; implicit-def: $vgpr63_vgpr64
                                        ; implicit-def: $vgpr65_vgpr66
                                        ; implicit-def: $vgpr67_vgpr68
                                        ; implicit-def: $vgpr61_vgpr62
                                        ; implicit-def: $vgpr59_vgpr60
                                        ; implicit-def: $vgpr55_vgpr56
                                        ; implicit-def: $vgpr51_vgpr52
                                        ; implicit-def: $vgpr47_vgpr48
                                        ; implicit-def: $vgpr41_vgpr42
	s_movk_i32 s40, 0x1000
.LBB1152_104:                           ;   in Loop: Header=BB1152_101 Depth=2
	s_mov_b32 s83, s72
	s_lshl_b64 s[36:37], s[82:83], 3
	v_mov_b32_e32 v4, s37
	v_add_co_u32_e32 v43, vcc, s36, v170
	v_addc_co_u32_e32 v44, vcc, v171, v4, vcc
	s_waitcnt vmcnt(13)
	v_mov_b32_e32 v39, -1
	v_mov_b32_e32 v37, -1
	v_mov_b32_e32 v40, -1
	v_mov_b32_e32 v38, -1
	v_cmp_gt_u32_e32 vcc, s98, v143
	s_and_saveexec_b64 s[36:37], vcc
	s_cbranch_execz .LBB1152_106
; %bb.105:                              ;   in Loop: Header=BB1152_101 Depth=2
	global_load_dwordx2 v[37:38], v[43:44], off
.LBB1152_106:                           ;   in Loop: Header=BB1152_101 Depth=2
	s_or_b64 exec, exec, s[36:37]
	v_cmp_gt_u32_e32 vcc, s98, v149
	s_and_saveexec_b64 s[36:37], vcc
	s_cbranch_execz .LBB1152_108
; %bb.107:                              ;   in Loop: Header=BB1152_101 Depth=2
	global_load_dwordx2 v[39:40], v[43:44], off offset:512
.LBB1152_108:                           ;   in Loop: Header=BB1152_101 Depth=2
	s_or_b64 exec, exec, s[36:37]
	s_waitcnt vmcnt(11)
	v_mov_b32_e32 v49, -1
	v_mov_b32_e32 v45, -1
	v_mov_b32_e32 v50, -1
	v_mov_b32_e32 v46, -1
	v_cmp_gt_u32_e32 vcc, s98, v151
	s_and_saveexec_b64 s[36:37], vcc
	s_cbranch_execz .LBB1152_110
; %bb.109:                              ;   in Loop: Header=BB1152_101 Depth=2
	global_load_dwordx2 v[45:46], v[43:44], off offset:1024
.LBB1152_110:                           ;   in Loop: Header=BB1152_101 Depth=2
	s_or_b64 exec, exec, s[36:37]
	v_cmp_gt_u32_e32 vcc, s98, v153
	s_and_saveexec_b64 s[36:37], vcc
	s_cbranch_execz .LBB1152_112
; %bb.111:                              ;   in Loop: Header=BB1152_101 Depth=2
	global_load_dwordx2 v[49:50], v[43:44], off offset:1536
.LBB1152_112:                           ;   in Loop: Header=BB1152_101 Depth=2
	s_or_b64 exec, exec, s[36:37]
	s_waitcnt vmcnt(9)
	v_mov_b32_e32 v57, -1
	v_mov_b32_e32 v53, -1
	v_mov_b32_e32 v58, -1
	v_mov_b32_e32 v54, -1
	v_cmp_gt_u32_e32 vcc, s98, v155
	s_and_saveexec_b64 s[36:37], vcc
	s_cbranch_execz .LBB1152_114
; %bb.113:                              ;   in Loop: Header=BB1152_101 Depth=2
	global_load_dwordx2 v[53:54], v[43:44], off offset:2048
.LBB1152_114:                           ;   in Loop: Header=BB1152_101 Depth=2
	;; [unrolled: 19-line block ×3, first 2 shown]
	s_or_b64 exec, exec, s[36:37]
	v_cmp_gt_u32_e32 vcc, s98, v161
	s_and_saveexec_b64 s[36:37], vcc
	s_cbranch_execz .LBB1152_120
; %bb.119:                              ;   in Loop: Header=BB1152_101 Depth=2
	global_load_dwordx2 v[65:66], v[43:44], off offset:3584
.LBB1152_120:                           ;   in Loop: Header=BB1152_101 Depth=2
	s_or_b64 exec, exec, s[36:37]
	s_waitcnt vmcnt(5)
	v_mov_b32_e32 v61, -1
	v_mov_b32_e32 v67, -1
	v_mov_b32_e32 v62, -1
	v_mov_b32_e32 v68, -1
	v_cmp_gt_u32_e32 vcc, s98, v162
	s_and_saveexec_b64 s[36:37], vcc
	s_cbranch_execz .LBB1152_122
; %bb.121:                              ;   in Loop: Header=BB1152_101 Depth=2
	s_waitcnt vmcnt(0)
	v_add_co_u32_e32 v41, vcc, 0x1000, v43
	v_addc_co_u32_e32 v42, vcc, 0, v44, vcc
	global_load_dwordx2 v[67:68], v[41:42], off
.LBB1152_122:                           ;   in Loop: Header=BB1152_101 Depth=2
	s_or_b64 exec, exec, s[36:37]
	v_cmp_gt_u32_e32 vcc, s98, v163
	s_and_saveexec_b64 s[36:37], vcc
	s_cbranch_execz .LBB1152_124
; %bb.123:                              ;   in Loop: Header=BB1152_101 Depth=2
	s_waitcnt vmcnt(0)
	v_add_co_u32_e32 v41, vcc, 0x1000, v43
	v_addc_co_u32_e32 v42, vcc, 0, v44, vcc
	global_load_dwordx2 v[61:62], v[41:42], off offset:512
.LBB1152_124:                           ;   in Loop: Header=BB1152_101 Depth=2
	s_or_b64 exec, exec, s[36:37]
	s_waitcnt vmcnt(3)
	v_mov_b32_e32 v55, -1
	v_mov_b32_e32 v59, -1
	;; [unrolled: 1-line block ×4, first 2 shown]
	v_cmp_gt_u32_e32 vcc, s98, v164
	s_and_saveexec_b64 s[36:37], vcc
	s_cbranch_execz .LBB1152_126
; %bb.125:                              ;   in Loop: Header=BB1152_101 Depth=2
	s_waitcnt vmcnt(0)
	v_add_co_u32_e32 v41, vcc, 0x1000, v43
	v_addc_co_u32_e32 v42, vcc, 0, v44, vcc
	global_load_dwordx2 v[59:60], v[41:42], off offset:1024
.LBB1152_126:                           ;   in Loop: Header=BB1152_101 Depth=2
	s_or_b64 exec, exec, s[36:37]
	v_cmp_gt_u32_e32 vcc, s98, v165
	s_and_saveexec_b64 s[36:37], vcc
	s_cbranch_execz .LBB1152_128
; %bb.127:                              ;   in Loop: Header=BB1152_101 Depth=2
	s_waitcnt vmcnt(0)
	v_add_co_u32_e32 v41, vcc, 0x1000, v43
	v_addc_co_u32_e32 v42, vcc, 0, v44, vcc
	global_load_dwordx2 v[55:56], v[41:42], off offset:1536
.LBB1152_128:                           ;   in Loop: Header=BB1152_101 Depth=2
	s_or_b64 exec, exec, s[36:37]
	s_waitcnt vmcnt(1)
	v_mov_b32_e32 v47, -1
	v_mov_b32_e32 v51, -1
	;; [unrolled: 1-line block ×4, first 2 shown]
	v_cmp_gt_u32_e32 vcc, s98, v166
	s_and_saveexec_b64 s[36:37], vcc
	s_cbranch_execz .LBB1152_130
; %bb.129:                              ;   in Loop: Header=BB1152_101 Depth=2
	s_waitcnt vmcnt(0)
	v_add_co_u32_e32 v41, vcc, 0x1000, v43
	v_addc_co_u32_e32 v42, vcc, 0, v44, vcc
	global_load_dwordx2 v[51:52], v[41:42], off offset:2048
.LBB1152_130:                           ;   in Loop: Header=BB1152_101 Depth=2
	s_or_b64 exec, exec, s[36:37]
	v_cmp_gt_u32_e32 vcc, s98, v167
	s_and_saveexec_b64 s[36:37], vcc
	s_cbranch_execz .LBB1152_132
; %bb.131:                              ;   in Loop: Header=BB1152_101 Depth=2
	s_waitcnt vmcnt(0)
	v_add_co_u32_e32 v41, vcc, 0x1000, v43
	v_addc_co_u32_e32 v42, vcc, 0, v44, vcc
	global_load_dwordx2 v[47:48], v[41:42], off offset:2560
.LBB1152_132:                           ;   in Loop: Header=BB1152_101 Depth=2
	s_or_b64 exec, exec, s[36:37]
	s_waitcnt vmcnt(0)
	v_mov_b32_e32 v41, -1
	v_mov_b32_e32 v42, -1
	v_cmp_gt_u32_e32 vcc, s98, v168
	s_and_saveexec_b64 s[36:37], vcc
	s_cbranch_execz .LBB1152_134
; %bb.133:                              ;   in Loop: Header=BB1152_101 Depth=2
	v_add_co_u32_e32 v41, vcc, 0x1000, v43
	v_addc_co_u32_e32 v42, vcc, 0, v44, vcc
	global_load_dwordx2 v[41:42], v[41:42], off offset:3072
.LBB1152_134:                           ;   in Loop: Header=BB1152_101 Depth=2
	s_or_b64 exec, exec, s[36:37]
	s_sub_i32 s40, s94, s82
	v_cmp_gt_u32_e64 s[36:37], s98, v169
.LBB1152_135:                           ;   in Loop: Header=BB1152_101 Depth=2
	v_mov_b32_e32 v43, -1
	v_mov_b32_e32 v44, -1
	v_mov_b32_e32 v173, s98
	s_and_saveexec_b64 s[38:39], s[36:37]
	s_cbranch_execz .LBB1152_137
; %bb.136:                              ;   in Loop: Header=BB1152_101 Depth=2
	s_lshl_b64 s[36:37], s[82:83], 3
	v_mov_b32_e32 v4, s37
	v_add_co_u32_e32 v43, vcc, s36, v170
	v_addc_co_u32_e32 v4, vcc, v171, v4, vcc
	v_add_co_u32_e32 v43, vcc, 0x1000, v43
	v_addc_co_u32_e32 v44, vcc, 0, v4, vcc
	global_load_dwordx2 v[43:44], v[43:44], off offset:3584
	v_mov_b32_e32 v173, s40
.LBB1152_137:                           ;   in Loop: Header=BB1152_101 Depth=2
	s_or_b64 exec, exec, s[38:39]
	s_waitcnt vmcnt(14)
	v_cmp_gt_i64_e32 vcc, 0, v[37:38]
	v_ashrrev_i32_e32 v69, 31, v38
	v_cndmask_b32_e64 v4, v133, 0, vcc
	v_not_b32_e32 v69, v69
	v_xor_b32_e32 v38, v4, v38
	v_xor_b32_e32 v37, v69, v37
	v_cmp_ne_u64_e32 vcc, s[72:73], v[37:38]
	v_add_u32_e32 v175, 0x410, v98
	v_cndmask_b32_e32 v70, v133, v38, vcc
	v_cndmask_b32_e32 v69, -1, v37, vcc
	v_lshrrev_b64 v[69:70], s95, v[69:70]
	v_add_u32_e32 v174, 0x418, v98
	v_and_b32_e32 v69, s97, v69
	v_and_b32_e32 v4, 1, v69
	v_add_co_u32_e32 v70, vcc, -1, v4
	v_addc_co_u32_e64 v72, s[36:37], 0, -1, vcc
	v_cmp_ne_u32_e32 vcc, 0, v4
	v_xor_b32_e32 v4, vcc_hi, v72
	v_and_b32_e32 v72, exec_hi, v4
	v_lshlrev_b32_e32 v4, 30, v69
	v_xor_b32_e32 v70, vcc_lo, v70
	v_cmp_gt_i64_e32 vcc, 0, v[3:4]
	v_not_b32_e32 v4, v4
	v_ashrrev_i32_e32 v4, 31, v4
	v_and_b32_e32 v70, exec_lo, v70
	v_xor_b32_e32 v176, vcc_hi, v4
	v_xor_b32_e32 v4, vcc_lo, v4
	v_and_b32_e32 v70, v70, v4
	v_lshlrev_b32_e32 v4, 29, v69
	v_cmp_gt_i64_e32 vcc, 0, v[3:4]
	v_not_b32_e32 v4, v4
	v_ashrrev_i32_e32 v4, 31, v4
	v_and_b32_e32 v72, v72, v176
	v_xor_b32_e32 v176, vcc_hi, v4
	v_xor_b32_e32 v4, vcc_lo, v4
	v_and_b32_e32 v70, v70, v4
	v_lshlrev_b32_e32 v4, 28, v69
	v_cmp_gt_i64_e32 vcc, 0, v[3:4]
	v_not_b32_e32 v4, v4
	v_ashrrev_i32_e32 v4, 31, v4
	v_and_b32_e32 v72, v72, v176
	;; [unrolled: 8-line block ×5, first 2 shown]
	v_xor_b32_e32 v176, vcc_hi, v4
	v_xor_b32_e32 v4, vcc_lo, v4
	v_and_b32_e32 v72, v72, v176
	v_and_b32_e32 v176, v70, v4
	v_lshlrev_b32_e32 v4, 24, v69
	v_cmp_gt_i64_e32 vcc, 0, v[3:4]
	v_not_b32_e32 v4, v4
	v_ashrrev_i32_e32 v4, 31, v4
	v_mul_u32_u24_e32 v71, 20, v69
	v_xor_b32_e32 v69, vcc_hi, v4
	v_xor_b32_e32 v4, vcc_lo, v4
	v_and_b32_e32 v70, v72, v69
	v_and_b32_e32 v69, v176, v4
	v_mbcnt_lo_u32_b32 v4, v69, 0
	v_mbcnt_hi_u32_b32 v176, v70, v4
	v_cmp_ne_u64_e32 vcc, 0, v[69:70]
	v_cmp_eq_u32_e64 s[36:37], 0, v176
	s_and_b64 s[38:39], vcc, s[36:37]
	v_add_u32_e32 v178, v172, v71
	ds_write2_b32 v175, v3, v3 offset1:1
	ds_write2_b32 v174, v3, v3 offset1:1
	ds_write_b32 v98, v3 offset:1056
	s_waitcnt vmcnt(0) lgkmcnt(0)
	s_barrier
	; wave barrier
	s_and_saveexec_b64 s[36:37], s[38:39]
; %bb.138:                              ;   in Loop: Header=BB1152_101 Depth=2
	v_bcnt_u32_b32 v4, v69, 0
	v_bcnt_u32_b32 v4, v70, v4
	ds_write_b32 v178, v4 offset:1040
; %bb.139:                              ;   in Loop: Header=BB1152_101 Depth=2
	s_or_b64 exec, exec, s[36:37]
	v_cmp_gt_i64_e32 vcc, 0, v[39:40]
	v_ashrrev_i32_e32 v69, 31, v40
	v_cndmask_b32_e64 v4, v133, 0, vcc
	v_not_b32_e32 v69, v69
	v_xor_b32_e32 v40, v4, v40
	v_xor_b32_e32 v39, v69, v39
	v_cmp_ne_u64_e32 vcc, s[72:73], v[39:40]
	v_cndmask_b32_e32 v70, v133, v40, vcc
	v_cndmask_b32_e32 v69, -1, v39, vcc
	v_lshrrev_b64 v[69:70], s95, v[69:70]
	; wave barrier
	v_and_b32_e32 v69, s97, v69
	v_mad_u32_u24 v4, v69, 20, v172
	ds_read_b32 v177, v4 offset:1040
	v_and_b32_e32 v4, 1, v69
	v_add_co_u32_e32 v70, vcc, -1, v4
	v_addc_co_u32_e64 v72, s[36:37], 0, -1, vcc
	v_cmp_ne_u32_e32 vcc, 0, v4
	v_xor_b32_e32 v4, vcc_hi, v72
	v_and_b32_e32 v72, exec_hi, v4
	v_lshlrev_b32_e32 v4, 30, v69
	v_xor_b32_e32 v70, vcc_lo, v70
	v_cmp_gt_i64_e32 vcc, 0, v[3:4]
	v_not_b32_e32 v4, v4
	v_ashrrev_i32_e32 v4, 31, v4
	v_and_b32_e32 v70, exec_lo, v70
	v_xor_b32_e32 v179, vcc_hi, v4
	v_xor_b32_e32 v4, vcc_lo, v4
	v_and_b32_e32 v70, v70, v4
	v_lshlrev_b32_e32 v4, 29, v69
	v_cmp_gt_i64_e32 vcc, 0, v[3:4]
	v_not_b32_e32 v4, v4
	v_ashrrev_i32_e32 v4, 31, v4
	v_and_b32_e32 v72, v72, v179
	v_xor_b32_e32 v179, vcc_hi, v4
	v_xor_b32_e32 v4, vcc_lo, v4
	v_and_b32_e32 v70, v70, v4
	v_lshlrev_b32_e32 v4, 28, v69
	v_cmp_gt_i64_e32 vcc, 0, v[3:4]
	v_not_b32_e32 v4, v4
	v_ashrrev_i32_e32 v4, 31, v4
	v_and_b32_e32 v72, v72, v179
	;; [unrolled: 8-line block ×5, first 2 shown]
	v_xor_b32_e32 v179, vcc_hi, v4
	v_xor_b32_e32 v4, vcc_lo, v4
	v_and_b32_e32 v72, v72, v179
	v_and_b32_e32 v179, v70, v4
	v_lshlrev_b32_e32 v4, 24, v69
	v_cmp_gt_i64_e32 vcc, 0, v[3:4]
	v_not_b32_e32 v4, v4
	v_ashrrev_i32_e32 v4, 31, v4
	v_mul_u32_u24_e32 v71, 20, v69
	v_xor_b32_e32 v69, vcc_hi, v4
	v_xor_b32_e32 v4, vcc_lo, v4
	v_and_b32_e32 v70, v72, v69
	v_and_b32_e32 v69, v179, v4
	v_mbcnt_lo_u32_b32 v4, v69, 0
	v_mbcnt_hi_u32_b32 v179, v70, v4
	v_cmp_ne_u64_e32 vcc, 0, v[69:70]
	v_cmp_eq_u32_e64 s[36:37], 0, v179
	s_and_b64 s[38:39], vcc, s[36:37]
	v_add_u32_e32 v181, v172, v71
	; wave barrier
	s_and_saveexec_b64 s[36:37], s[38:39]
	s_cbranch_execz .LBB1152_141
; %bb.140:                              ;   in Loop: Header=BB1152_101 Depth=2
	v_bcnt_u32_b32 v4, v69, 0
	v_bcnt_u32_b32 v4, v70, v4
	s_waitcnt lgkmcnt(0)
	v_add_u32_e32 v4, v177, v4
	ds_write_b32 v181, v4 offset:1040
.LBB1152_141:                           ;   in Loop: Header=BB1152_101 Depth=2
	s_or_b64 exec, exec, s[36:37]
	v_cmp_gt_i64_e32 vcc, 0, v[45:46]
	v_ashrrev_i32_e32 v69, 31, v46
	v_cndmask_b32_e64 v4, v133, 0, vcc
	v_not_b32_e32 v69, v69
	v_xor_b32_e32 v46, v4, v46
	v_xor_b32_e32 v45, v69, v45
	v_cmp_ne_u64_e32 vcc, s[72:73], v[45:46]
	v_cndmask_b32_e32 v70, v133, v46, vcc
	v_cndmask_b32_e32 v69, -1, v45, vcc
	v_lshrrev_b64 v[69:70], s95, v[69:70]
	; wave barrier
	v_and_b32_e32 v69, s97, v69
	v_mad_u32_u24 v4, v69, 20, v172
	ds_read_b32 v180, v4 offset:1040
	v_and_b32_e32 v4, 1, v69
	v_add_co_u32_e32 v70, vcc, -1, v4
	v_addc_co_u32_e64 v72, s[36:37], 0, -1, vcc
	v_cmp_ne_u32_e32 vcc, 0, v4
	v_xor_b32_e32 v4, vcc_hi, v72
	v_and_b32_e32 v72, exec_hi, v4
	v_lshlrev_b32_e32 v4, 30, v69
	v_xor_b32_e32 v70, vcc_lo, v70
	v_cmp_gt_i64_e32 vcc, 0, v[3:4]
	v_not_b32_e32 v4, v4
	v_ashrrev_i32_e32 v4, 31, v4
	v_and_b32_e32 v70, exec_lo, v70
	v_xor_b32_e32 v182, vcc_hi, v4
	v_xor_b32_e32 v4, vcc_lo, v4
	v_and_b32_e32 v70, v70, v4
	v_lshlrev_b32_e32 v4, 29, v69
	v_cmp_gt_i64_e32 vcc, 0, v[3:4]
	v_not_b32_e32 v4, v4
	v_ashrrev_i32_e32 v4, 31, v4
	v_and_b32_e32 v72, v72, v182
	v_xor_b32_e32 v182, vcc_hi, v4
	v_xor_b32_e32 v4, vcc_lo, v4
	v_and_b32_e32 v70, v70, v4
	v_lshlrev_b32_e32 v4, 28, v69
	v_cmp_gt_i64_e32 vcc, 0, v[3:4]
	v_not_b32_e32 v4, v4
	v_ashrrev_i32_e32 v4, 31, v4
	v_and_b32_e32 v72, v72, v182
	;; [unrolled: 8-line block ×5, first 2 shown]
	v_xor_b32_e32 v182, vcc_hi, v4
	v_xor_b32_e32 v4, vcc_lo, v4
	v_and_b32_e32 v72, v72, v182
	v_and_b32_e32 v182, v70, v4
	v_lshlrev_b32_e32 v4, 24, v69
	v_cmp_gt_i64_e32 vcc, 0, v[3:4]
	v_not_b32_e32 v4, v4
	v_ashrrev_i32_e32 v4, 31, v4
	v_mul_u32_u24_e32 v71, 20, v69
	v_xor_b32_e32 v69, vcc_hi, v4
	v_xor_b32_e32 v4, vcc_lo, v4
	v_and_b32_e32 v70, v72, v69
	v_and_b32_e32 v69, v182, v4
	v_mbcnt_lo_u32_b32 v4, v69, 0
	v_mbcnt_hi_u32_b32 v182, v70, v4
	v_cmp_ne_u64_e32 vcc, 0, v[69:70]
	v_cmp_eq_u32_e64 s[36:37], 0, v182
	s_and_b64 s[38:39], vcc, s[36:37]
	v_add_u32_e32 v184, v172, v71
	; wave barrier
	s_and_saveexec_b64 s[36:37], s[38:39]
	s_cbranch_execz .LBB1152_143
; %bb.142:                              ;   in Loop: Header=BB1152_101 Depth=2
	v_bcnt_u32_b32 v4, v69, 0
	v_bcnt_u32_b32 v4, v70, v4
	s_waitcnt lgkmcnt(0)
	v_add_u32_e32 v4, v180, v4
	ds_write_b32 v184, v4 offset:1040
.LBB1152_143:                           ;   in Loop: Header=BB1152_101 Depth=2
	s_or_b64 exec, exec, s[36:37]
	v_cmp_gt_i64_e32 vcc, 0, v[49:50]
	v_ashrrev_i32_e32 v69, 31, v50
	v_cndmask_b32_e64 v4, v133, 0, vcc
	v_not_b32_e32 v69, v69
	v_xor_b32_e32 v50, v4, v50
	v_xor_b32_e32 v49, v69, v49
	v_cmp_ne_u64_e32 vcc, s[72:73], v[49:50]
	v_cndmask_b32_e32 v70, v133, v50, vcc
	v_cndmask_b32_e32 v69, -1, v49, vcc
	v_lshrrev_b64 v[69:70], s95, v[69:70]
	; wave barrier
	v_and_b32_e32 v69, s97, v69
	v_mad_u32_u24 v4, v69, 20, v172
	ds_read_b32 v183, v4 offset:1040
	v_and_b32_e32 v4, 1, v69
	v_add_co_u32_e32 v70, vcc, -1, v4
	v_addc_co_u32_e64 v72, s[36:37], 0, -1, vcc
	v_cmp_ne_u32_e32 vcc, 0, v4
	v_xor_b32_e32 v4, vcc_hi, v72
	v_and_b32_e32 v72, exec_hi, v4
	v_lshlrev_b32_e32 v4, 30, v69
	v_xor_b32_e32 v70, vcc_lo, v70
	v_cmp_gt_i64_e32 vcc, 0, v[3:4]
	v_not_b32_e32 v4, v4
	v_ashrrev_i32_e32 v4, 31, v4
	v_and_b32_e32 v70, exec_lo, v70
	v_xor_b32_e32 v185, vcc_hi, v4
	v_xor_b32_e32 v4, vcc_lo, v4
	v_and_b32_e32 v70, v70, v4
	v_lshlrev_b32_e32 v4, 29, v69
	v_cmp_gt_i64_e32 vcc, 0, v[3:4]
	v_not_b32_e32 v4, v4
	v_ashrrev_i32_e32 v4, 31, v4
	v_and_b32_e32 v72, v72, v185
	v_xor_b32_e32 v185, vcc_hi, v4
	v_xor_b32_e32 v4, vcc_lo, v4
	v_and_b32_e32 v70, v70, v4
	v_lshlrev_b32_e32 v4, 28, v69
	v_cmp_gt_i64_e32 vcc, 0, v[3:4]
	v_not_b32_e32 v4, v4
	v_ashrrev_i32_e32 v4, 31, v4
	v_and_b32_e32 v72, v72, v185
	;; [unrolled: 8-line block ×5, first 2 shown]
	v_xor_b32_e32 v185, vcc_hi, v4
	v_xor_b32_e32 v4, vcc_lo, v4
	v_and_b32_e32 v72, v72, v185
	v_and_b32_e32 v185, v70, v4
	v_lshlrev_b32_e32 v4, 24, v69
	v_cmp_gt_i64_e32 vcc, 0, v[3:4]
	v_not_b32_e32 v4, v4
	v_ashrrev_i32_e32 v4, 31, v4
	v_mul_u32_u24_e32 v71, 20, v69
	v_xor_b32_e32 v69, vcc_hi, v4
	v_xor_b32_e32 v4, vcc_lo, v4
	v_and_b32_e32 v70, v72, v69
	v_and_b32_e32 v69, v185, v4
	v_mbcnt_lo_u32_b32 v4, v69, 0
	v_mbcnt_hi_u32_b32 v185, v70, v4
	v_cmp_ne_u64_e32 vcc, 0, v[69:70]
	v_cmp_eq_u32_e64 s[36:37], 0, v185
	s_and_b64 s[38:39], vcc, s[36:37]
	v_add_u32_e32 v187, v172, v71
	; wave barrier
	s_and_saveexec_b64 s[36:37], s[38:39]
	s_cbranch_execz .LBB1152_145
; %bb.144:                              ;   in Loop: Header=BB1152_101 Depth=2
	v_bcnt_u32_b32 v4, v69, 0
	v_bcnt_u32_b32 v4, v70, v4
	s_waitcnt lgkmcnt(0)
	v_add_u32_e32 v4, v183, v4
	ds_write_b32 v187, v4 offset:1040
.LBB1152_145:                           ;   in Loop: Header=BB1152_101 Depth=2
	s_or_b64 exec, exec, s[36:37]
	v_cmp_gt_i64_e32 vcc, 0, v[53:54]
	v_ashrrev_i32_e32 v69, 31, v54
	v_cndmask_b32_e64 v4, v133, 0, vcc
	v_not_b32_e32 v69, v69
	v_xor_b32_e32 v54, v4, v54
	v_xor_b32_e32 v53, v69, v53
	v_cmp_ne_u64_e32 vcc, s[72:73], v[53:54]
	v_cndmask_b32_e32 v70, v133, v54, vcc
	v_cndmask_b32_e32 v69, -1, v53, vcc
	v_lshrrev_b64 v[69:70], s95, v[69:70]
	; wave barrier
	v_and_b32_e32 v69, s97, v69
	v_mad_u32_u24 v4, v69, 20, v172
	ds_read_b32 v186, v4 offset:1040
	v_and_b32_e32 v4, 1, v69
	v_add_co_u32_e32 v70, vcc, -1, v4
	v_addc_co_u32_e64 v72, s[36:37], 0, -1, vcc
	v_cmp_ne_u32_e32 vcc, 0, v4
	v_xor_b32_e32 v4, vcc_hi, v72
	v_and_b32_e32 v72, exec_hi, v4
	v_lshlrev_b32_e32 v4, 30, v69
	v_xor_b32_e32 v70, vcc_lo, v70
	v_cmp_gt_i64_e32 vcc, 0, v[3:4]
	v_not_b32_e32 v4, v4
	v_ashrrev_i32_e32 v4, 31, v4
	v_and_b32_e32 v70, exec_lo, v70
	v_xor_b32_e32 v188, vcc_hi, v4
	v_xor_b32_e32 v4, vcc_lo, v4
	v_and_b32_e32 v70, v70, v4
	v_lshlrev_b32_e32 v4, 29, v69
	v_cmp_gt_i64_e32 vcc, 0, v[3:4]
	v_not_b32_e32 v4, v4
	v_ashrrev_i32_e32 v4, 31, v4
	v_and_b32_e32 v72, v72, v188
	v_xor_b32_e32 v188, vcc_hi, v4
	v_xor_b32_e32 v4, vcc_lo, v4
	v_and_b32_e32 v70, v70, v4
	v_lshlrev_b32_e32 v4, 28, v69
	v_cmp_gt_i64_e32 vcc, 0, v[3:4]
	v_not_b32_e32 v4, v4
	v_ashrrev_i32_e32 v4, 31, v4
	v_and_b32_e32 v72, v72, v188
	;; [unrolled: 8-line block ×5, first 2 shown]
	v_xor_b32_e32 v188, vcc_hi, v4
	v_xor_b32_e32 v4, vcc_lo, v4
	v_and_b32_e32 v72, v72, v188
	v_and_b32_e32 v188, v70, v4
	v_lshlrev_b32_e32 v4, 24, v69
	v_cmp_gt_i64_e32 vcc, 0, v[3:4]
	v_not_b32_e32 v4, v4
	v_ashrrev_i32_e32 v4, 31, v4
	v_mul_u32_u24_e32 v71, 20, v69
	v_xor_b32_e32 v69, vcc_hi, v4
	v_xor_b32_e32 v4, vcc_lo, v4
	v_and_b32_e32 v70, v72, v69
	v_and_b32_e32 v69, v188, v4
	v_mbcnt_lo_u32_b32 v4, v69, 0
	v_mbcnt_hi_u32_b32 v188, v70, v4
	v_cmp_ne_u64_e32 vcc, 0, v[69:70]
	v_cmp_eq_u32_e64 s[36:37], 0, v188
	s_and_b64 s[38:39], vcc, s[36:37]
	v_add_u32_e32 v190, v172, v71
	; wave barrier
	s_and_saveexec_b64 s[36:37], s[38:39]
	s_cbranch_execz .LBB1152_147
; %bb.146:                              ;   in Loop: Header=BB1152_101 Depth=2
	v_bcnt_u32_b32 v4, v69, 0
	v_bcnt_u32_b32 v4, v70, v4
	s_waitcnt lgkmcnt(0)
	v_add_u32_e32 v4, v186, v4
	ds_write_b32 v190, v4 offset:1040
.LBB1152_147:                           ;   in Loop: Header=BB1152_101 Depth=2
	s_or_b64 exec, exec, s[36:37]
	v_cmp_gt_i64_e32 vcc, 0, v[57:58]
	v_ashrrev_i32_e32 v69, 31, v58
	v_cndmask_b32_e64 v4, v133, 0, vcc
	v_not_b32_e32 v69, v69
	v_xor_b32_e32 v58, v4, v58
	v_xor_b32_e32 v57, v69, v57
	v_cmp_ne_u64_e32 vcc, s[72:73], v[57:58]
	v_cndmask_b32_e32 v70, v133, v58, vcc
	v_cndmask_b32_e32 v69, -1, v57, vcc
	v_lshrrev_b64 v[69:70], s95, v[69:70]
	; wave barrier
	v_and_b32_e32 v69, s97, v69
	v_mad_u32_u24 v4, v69, 20, v172
	ds_read_b32 v189, v4 offset:1040
	v_and_b32_e32 v4, 1, v69
	v_add_co_u32_e32 v70, vcc, -1, v4
	v_addc_co_u32_e64 v72, s[36:37], 0, -1, vcc
	v_cmp_ne_u32_e32 vcc, 0, v4
	v_xor_b32_e32 v4, vcc_hi, v72
	v_and_b32_e32 v72, exec_hi, v4
	v_lshlrev_b32_e32 v4, 30, v69
	v_xor_b32_e32 v70, vcc_lo, v70
	v_cmp_gt_i64_e32 vcc, 0, v[3:4]
	v_not_b32_e32 v4, v4
	v_ashrrev_i32_e32 v4, 31, v4
	v_and_b32_e32 v70, exec_lo, v70
	v_xor_b32_e32 v191, vcc_hi, v4
	v_xor_b32_e32 v4, vcc_lo, v4
	v_and_b32_e32 v70, v70, v4
	v_lshlrev_b32_e32 v4, 29, v69
	v_cmp_gt_i64_e32 vcc, 0, v[3:4]
	v_not_b32_e32 v4, v4
	v_ashrrev_i32_e32 v4, 31, v4
	v_and_b32_e32 v72, v72, v191
	v_xor_b32_e32 v191, vcc_hi, v4
	v_xor_b32_e32 v4, vcc_lo, v4
	v_and_b32_e32 v70, v70, v4
	v_lshlrev_b32_e32 v4, 28, v69
	v_cmp_gt_i64_e32 vcc, 0, v[3:4]
	v_not_b32_e32 v4, v4
	v_ashrrev_i32_e32 v4, 31, v4
	v_and_b32_e32 v72, v72, v191
	;; [unrolled: 8-line block ×5, first 2 shown]
	v_xor_b32_e32 v191, vcc_hi, v4
	v_xor_b32_e32 v4, vcc_lo, v4
	v_and_b32_e32 v72, v72, v191
	v_and_b32_e32 v191, v70, v4
	v_lshlrev_b32_e32 v4, 24, v69
	v_cmp_gt_i64_e32 vcc, 0, v[3:4]
	v_not_b32_e32 v4, v4
	v_ashrrev_i32_e32 v4, 31, v4
	v_mul_u32_u24_e32 v71, 20, v69
	v_xor_b32_e32 v69, vcc_hi, v4
	v_xor_b32_e32 v4, vcc_lo, v4
	v_and_b32_e32 v70, v72, v69
	v_and_b32_e32 v69, v191, v4
	v_mbcnt_lo_u32_b32 v4, v69, 0
	v_mbcnt_hi_u32_b32 v191, v70, v4
	v_cmp_ne_u64_e32 vcc, 0, v[69:70]
	v_cmp_eq_u32_e64 s[36:37], 0, v191
	s_and_b64 s[38:39], vcc, s[36:37]
	v_add_u32_e32 v193, v172, v71
	; wave barrier
	s_and_saveexec_b64 s[36:37], s[38:39]
	s_cbranch_execz .LBB1152_149
; %bb.148:                              ;   in Loop: Header=BB1152_101 Depth=2
	v_bcnt_u32_b32 v4, v69, 0
	v_bcnt_u32_b32 v4, v70, v4
	s_waitcnt lgkmcnt(0)
	v_add_u32_e32 v4, v189, v4
	ds_write_b32 v193, v4 offset:1040
.LBB1152_149:                           ;   in Loop: Header=BB1152_101 Depth=2
	s_or_b64 exec, exec, s[36:37]
	v_cmp_gt_i64_e32 vcc, 0, v[63:64]
	v_ashrrev_i32_e32 v69, 31, v64
	v_cndmask_b32_e64 v4, v133, 0, vcc
	v_not_b32_e32 v69, v69
	v_xor_b32_e32 v64, v4, v64
	v_xor_b32_e32 v63, v69, v63
	v_cmp_ne_u64_e32 vcc, s[72:73], v[63:64]
	v_cndmask_b32_e32 v70, v133, v64, vcc
	v_cndmask_b32_e32 v69, -1, v63, vcc
	v_lshrrev_b64 v[69:70], s95, v[69:70]
	; wave barrier
	v_and_b32_e32 v69, s97, v69
	v_mad_u32_u24 v4, v69, 20, v172
	ds_read_b32 v192, v4 offset:1040
	v_and_b32_e32 v4, 1, v69
	v_add_co_u32_e32 v70, vcc, -1, v4
	v_addc_co_u32_e64 v72, s[36:37], 0, -1, vcc
	v_cmp_ne_u32_e32 vcc, 0, v4
	v_xor_b32_e32 v4, vcc_hi, v72
	v_and_b32_e32 v72, exec_hi, v4
	v_lshlrev_b32_e32 v4, 30, v69
	v_xor_b32_e32 v70, vcc_lo, v70
	v_cmp_gt_i64_e32 vcc, 0, v[3:4]
	v_not_b32_e32 v4, v4
	v_ashrrev_i32_e32 v4, 31, v4
	v_and_b32_e32 v70, exec_lo, v70
	v_xor_b32_e32 v194, vcc_hi, v4
	v_xor_b32_e32 v4, vcc_lo, v4
	v_and_b32_e32 v70, v70, v4
	v_lshlrev_b32_e32 v4, 29, v69
	v_cmp_gt_i64_e32 vcc, 0, v[3:4]
	v_not_b32_e32 v4, v4
	v_ashrrev_i32_e32 v4, 31, v4
	v_and_b32_e32 v72, v72, v194
	v_xor_b32_e32 v194, vcc_hi, v4
	v_xor_b32_e32 v4, vcc_lo, v4
	v_and_b32_e32 v70, v70, v4
	v_lshlrev_b32_e32 v4, 28, v69
	v_cmp_gt_i64_e32 vcc, 0, v[3:4]
	v_not_b32_e32 v4, v4
	v_ashrrev_i32_e32 v4, 31, v4
	v_and_b32_e32 v72, v72, v194
	;; [unrolled: 8-line block ×5, first 2 shown]
	v_xor_b32_e32 v194, vcc_hi, v4
	v_xor_b32_e32 v4, vcc_lo, v4
	v_and_b32_e32 v72, v72, v194
	v_and_b32_e32 v194, v70, v4
	v_lshlrev_b32_e32 v4, 24, v69
	v_cmp_gt_i64_e32 vcc, 0, v[3:4]
	v_not_b32_e32 v4, v4
	v_ashrrev_i32_e32 v4, 31, v4
	v_mul_u32_u24_e32 v71, 20, v69
	v_xor_b32_e32 v69, vcc_hi, v4
	v_xor_b32_e32 v4, vcc_lo, v4
	v_and_b32_e32 v70, v72, v69
	v_and_b32_e32 v69, v194, v4
	v_mbcnt_lo_u32_b32 v4, v69, 0
	v_mbcnt_hi_u32_b32 v194, v70, v4
	v_cmp_ne_u64_e32 vcc, 0, v[69:70]
	v_cmp_eq_u32_e64 s[36:37], 0, v194
	s_and_b64 s[38:39], vcc, s[36:37]
	v_add_u32_e32 v196, v172, v71
	; wave barrier
	s_and_saveexec_b64 s[36:37], s[38:39]
	s_cbranch_execz .LBB1152_151
; %bb.150:                              ;   in Loop: Header=BB1152_101 Depth=2
	v_bcnt_u32_b32 v4, v69, 0
	v_bcnt_u32_b32 v4, v70, v4
	s_waitcnt lgkmcnt(0)
	v_add_u32_e32 v4, v192, v4
	ds_write_b32 v196, v4 offset:1040
.LBB1152_151:                           ;   in Loop: Header=BB1152_101 Depth=2
	s_or_b64 exec, exec, s[36:37]
	v_cmp_gt_i64_e32 vcc, 0, v[65:66]
	v_ashrrev_i32_e32 v69, 31, v66
	v_cndmask_b32_e64 v4, v133, 0, vcc
	v_not_b32_e32 v69, v69
	v_xor_b32_e32 v66, v4, v66
	v_xor_b32_e32 v65, v69, v65
	v_cmp_ne_u64_e32 vcc, s[72:73], v[65:66]
	v_cndmask_b32_e32 v70, v133, v66, vcc
	v_cndmask_b32_e32 v69, -1, v65, vcc
	v_lshrrev_b64 v[69:70], s95, v[69:70]
	; wave barrier
	v_and_b32_e32 v69, s97, v69
	v_mad_u32_u24 v4, v69, 20, v172
	ds_read_b32 v195, v4 offset:1040
	v_and_b32_e32 v4, 1, v69
	v_add_co_u32_e32 v70, vcc, -1, v4
	v_addc_co_u32_e64 v72, s[36:37], 0, -1, vcc
	v_cmp_ne_u32_e32 vcc, 0, v4
	v_xor_b32_e32 v4, vcc_hi, v72
	v_and_b32_e32 v72, exec_hi, v4
	v_lshlrev_b32_e32 v4, 30, v69
	v_xor_b32_e32 v70, vcc_lo, v70
	v_cmp_gt_i64_e32 vcc, 0, v[3:4]
	v_not_b32_e32 v4, v4
	v_ashrrev_i32_e32 v4, 31, v4
	v_and_b32_e32 v70, exec_lo, v70
	v_xor_b32_e32 v197, vcc_hi, v4
	v_xor_b32_e32 v4, vcc_lo, v4
	v_and_b32_e32 v70, v70, v4
	v_lshlrev_b32_e32 v4, 29, v69
	v_cmp_gt_i64_e32 vcc, 0, v[3:4]
	v_not_b32_e32 v4, v4
	v_ashrrev_i32_e32 v4, 31, v4
	v_and_b32_e32 v72, v72, v197
	v_xor_b32_e32 v197, vcc_hi, v4
	v_xor_b32_e32 v4, vcc_lo, v4
	v_and_b32_e32 v70, v70, v4
	v_lshlrev_b32_e32 v4, 28, v69
	v_cmp_gt_i64_e32 vcc, 0, v[3:4]
	v_not_b32_e32 v4, v4
	v_ashrrev_i32_e32 v4, 31, v4
	v_and_b32_e32 v72, v72, v197
	;; [unrolled: 8-line block ×5, first 2 shown]
	v_xor_b32_e32 v197, vcc_hi, v4
	v_xor_b32_e32 v4, vcc_lo, v4
	v_and_b32_e32 v72, v72, v197
	v_and_b32_e32 v197, v70, v4
	v_lshlrev_b32_e32 v4, 24, v69
	v_cmp_gt_i64_e32 vcc, 0, v[3:4]
	v_not_b32_e32 v4, v4
	v_ashrrev_i32_e32 v4, 31, v4
	v_mul_u32_u24_e32 v71, 20, v69
	v_xor_b32_e32 v69, vcc_hi, v4
	v_xor_b32_e32 v4, vcc_lo, v4
	v_and_b32_e32 v70, v72, v69
	v_and_b32_e32 v69, v197, v4
	v_mbcnt_lo_u32_b32 v4, v69, 0
	v_mbcnt_hi_u32_b32 v197, v70, v4
	v_cmp_ne_u64_e32 vcc, 0, v[69:70]
	v_cmp_eq_u32_e64 s[36:37], 0, v197
	s_and_b64 s[38:39], vcc, s[36:37]
	v_add_u32_e32 v199, v172, v71
	; wave barrier
	s_and_saveexec_b64 s[36:37], s[38:39]
	s_cbranch_execz .LBB1152_153
; %bb.152:                              ;   in Loop: Header=BB1152_101 Depth=2
	v_bcnt_u32_b32 v4, v69, 0
	v_bcnt_u32_b32 v4, v70, v4
	s_waitcnt lgkmcnt(0)
	v_add_u32_e32 v4, v195, v4
	ds_write_b32 v199, v4 offset:1040
.LBB1152_153:                           ;   in Loop: Header=BB1152_101 Depth=2
	s_or_b64 exec, exec, s[36:37]
	v_cmp_gt_i64_e32 vcc, 0, v[67:68]
	v_ashrrev_i32_e32 v69, 31, v68
	v_cndmask_b32_e64 v4, v133, 0, vcc
	v_not_b32_e32 v69, v69
	v_xor_b32_e32 v68, v4, v68
	v_xor_b32_e32 v67, v69, v67
	v_cmp_ne_u64_e32 vcc, s[72:73], v[67:68]
	v_cndmask_b32_e32 v70, v133, v68, vcc
	v_cndmask_b32_e32 v69, -1, v67, vcc
	v_lshrrev_b64 v[69:70], s95, v[69:70]
	; wave barrier
	v_and_b32_e32 v69, s97, v69
	v_mad_u32_u24 v4, v69, 20, v172
	ds_read_b32 v198, v4 offset:1040
	v_and_b32_e32 v4, 1, v69
	v_add_co_u32_e32 v70, vcc, -1, v4
	v_addc_co_u32_e64 v72, s[36:37], 0, -1, vcc
	v_cmp_ne_u32_e32 vcc, 0, v4
	v_xor_b32_e32 v4, vcc_hi, v72
	v_and_b32_e32 v72, exec_hi, v4
	v_lshlrev_b32_e32 v4, 30, v69
	v_xor_b32_e32 v70, vcc_lo, v70
	v_cmp_gt_i64_e32 vcc, 0, v[3:4]
	v_not_b32_e32 v4, v4
	v_ashrrev_i32_e32 v4, 31, v4
	v_and_b32_e32 v70, exec_lo, v70
	v_xor_b32_e32 v200, vcc_hi, v4
	v_xor_b32_e32 v4, vcc_lo, v4
	v_and_b32_e32 v70, v70, v4
	v_lshlrev_b32_e32 v4, 29, v69
	v_cmp_gt_i64_e32 vcc, 0, v[3:4]
	v_not_b32_e32 v4, v4
	v_ashrrev_i32_e32 v4, 31, v4
	v_and_b32_e32 v72, v72, v200
	v_xor_b32_e32 v200, vcc_hi, v4
	v_xor_b32_e32 v4, vcc_lo, v4
	v_and_b32_e32 v70, v70, v4
	v_lshlrev_b32_e32 v4, 28, v69
	v_cmp_gt_i64_e32 vcc, 0, v[3:4]
	v_not_b32_e32 v4, v4
	v_ashrrev_i32_e32 v4, 31, v4
	v_and_b32_e32 v72, v72, v200
	;; [unrolled: 8-line block ×5, first 2 shown]
	v_xor_b32_e32 v200, vcc_hi, v4
	v_xor_b32_e32 v4, vcc_lo, v4
	v_and_b32_e32 v72, v72, v200
	v_and_b32_e32 v200, v70, v4
	v_lshlrev_b32_e32 v4, 24, v69
	v_cmp_gt_i64_e32 vcc, 0, v[3:4]
	v_not_b32_e32 v4, v4
	v_ashrrev_i32_e32 v4, 31, v4
	v_mul_u32_u24_e32 v71, 20, v69
	v_xor_b32_e32 v69, vcc_hi, v4
	v_xor_b32_e32 v4, vcc_lo, v4
	v_and_b32_e32 v70, v72, v69
	v_and_b32_e32 v69, v200, v4
	v_mbcnt_lo_u32_b32 v4, v69, 0
	v_mbcnt_hi_u32_b32 v200, v70, v4
	v_cmp_ne_u64_e32 vcc, 0, v[69:70]
	v_cmp_eq_u32_e64 s[36:37], 0, v200
	s_and_b64 s[38:39], vcc, s[36:37]
	v_add_u32_e32 v202, v172, v71
	; wave barrier
	s_and_saveexec_b64 s[36:37], s[38:39]
	s_cbranch_execz .LBB1152_155
; %bb.154:                              ;   in Loop: Header=BB1152_101 Depth=2
	v_bcnt_u32_b32 v4, v69, 0
	v_bcnt_u32_b32 v4, v70, v4
	s_waitcnt lgkmcnt(0)
	v_add_u32_e32 v4, v198, v4
	ds_write_b32 v202, v4 offset:1040
.LBB1152_155:                           ;   in Loop: Header=BB1152_101 Depth=2
	s_or_b64 exec, exec, s[36:37]
	v_cmp_gt_i64_e32 vcc, 0, v[61:62]
	v_ashrrev_i32_e32 v69, 31, v62
	v_cndmask_b32_e64 v4, v133, 0, vcc
	v_not_b32_e32 v69, v69
	v_xor_b32_e32 v62, v4, v62
	v_xor_b32_e32 v61, v69, v61
	v_cmp_ne_u64_e32 vcc, s[72:73], v[61:62]
	v_cndmask_b32_e32 v70, v133, v62, vcc
	v_cndmask_b32_e32 v69, -1, v61, vcc
	v_lshrrev_b64 v[69:70], s95, v[69:70]
	; wave barrier
	v_and_b32_e32 v69, s97, v69
	v_mad_u32_u24 v4, v69, 20, v172
	ds_read_b32 v201, v4 offset:1040
	v_and_b32_e32 v4, 1, v69
	v_add_co_u32_e32 v70, vcc, -1, v4
	v_addc_co_u32_e64 v72, s[36:37], 0, -1, vcc
	v_cmp_ne_u32_e32 vcc, 0, v4
	v_xor_b32_e32 v4, vcc_hi, v72
	v_and_b32_e32 v72, exec_hi, v4
	v_lshlrev_b32_e32 v4, 30, v69
	v_xor_b32_e32 v70, vcc_lo, v70
	v_cmp_gt_i64_e32 vcc, 0, v[3:4]
	v_not_b32_e32 v4, v4
	v_ashrrev_i32_e32 v4, 31, v4
	v_and_b32_e32 v70, exec_lo, v70
	v_xor_b32_e32 v203, vcc_hi, v4
	v_xor_b32_e32 v4, vcc_lo, v4
	v_and_b32_e32 v70, v70, v4
	v_lshlrev_b32_e32 v4, 29, v69
	v_cmp_gt_i64_e32 vcc, 0, v[3:4]
	v_not_b32_e32 v4, v4
	v_ashrrev_i32_e32 v4, 31, v4
	v_and_b32_e32 v72, v72, v203
	v_xor_b32_e32 v203, vcc_hi, v4
	v_xor_b32_e32 v4, vcc_lo, v4
	v_and_b32_e32 v70, v70, v4
	v_lshlrev_b32_e32 v4, 28, v69
	v_cmp_gt_i64_e32 vcc, 0, v[3:4]
	v_not_b32_e32 v4, v4
	v_ashrrev_i32_e32 v4, 31, v4
	v_and_b32_e32 v72, v72, v203
	;; [unrolled: 8-line block ×5, first 2 shown]
	v_xor_b32_e32 v203, vcc_hi, v4
	v_xor_b32_e32 v4, vcc_lo, v4
	v_and_b32_e32 v72, v72, v203
	v_and_b32_e32 v203, v70, v4
	v_lshlrev_b32_e32 v4, 24, v69
	v_cmp_gt_i64_e32 vcc, 0, v[3:4]
	v_not_b32_e32 v4, v4
	v_ashrrev_i32_e32 v4, 31, v4
	v_mul_u32_u24_e32 v71, 20, v69
	v_xor_b32_e32 v69, vcc_hi, v4
	v_xor_b32_e32 v4, vcc_lo, v4
	v_and_b32_e32 v70, v72, v69
	v_and_b32_e32 v69, v203, v4
	v_mbcnt_lo_u32_b32 v4, v69, 0
	v_mbcnt_hi_u32_b32 v203, v70, v4
	v_cmp_ne_u64_e32 vcc, 0, v[69:70]
	v_cmp_eq_u32_e64 s[36:37], 0, v203
	s_and_b64 s[38:39], vcc, s[36:37]
	v_add_u32_e32 v205, v172, v71
	; wave barrier
	s_and_saveexec_b64 s[36:37], s[38:39]
	s_cbranch_execz .LBB1152_157
; %bb.156:                              ;   in Loop: Header=BB1152_101 Depth=2
	v_bcnt_u32_b32 v4, v69, 0
	v_bcnt_u32_b32 v4, v70, v4
	s_waitcnt lgkmcnt(0)
	v_add_u32_e32 v4, v201, v4
	ds_write_b32 v205, v4 offset:1040
.LBB1152_157:                           ;   in Loop: Header=BB1152_101 Depth=2
	s_or_b64 exec, exec, s[36:37]
	v_cmp_gt_i64_e32 vcc, 0, v[59:60]
	v_ashrrev_i32_e32 v69, 31, v60
	v_cndmask_b32_e64 v4, v133, 0, vcc
	v_not_b32_e32 v69, v69
	v_xor_b32_e32 v60, v4, v60
	v_xor_b32_e32 v59, v69, v59
	v_cmp_ne_u64_e32 vcc, s[72:73], v[59:60]
	v_cndmask_b32_e32 v70, v133, v60, vcc
	v_cndmask_b32_e32 v69, -1, v59, vcc
	v_lshrrev_b64 v[69:70], s95, v[69:70]
	; wave barrier
	v_and_b32_e32 v69, s97, v69
	v_mad_u32_u24 v4, v69, 20, v172
	ds_read_b32 v204, v4 offset:1040
	v_and_b32_e32 v4, 1, v69
	v_add_co_u32_e32 v70, vcc, -1, v4
	v_addc_co_u32_e64 v72, s[36:37], 0, -1, vcc
	v_cmp_ne_u32_e32 vcc, 0, v4
	v_xor_b32_e32 v4, vcc_hi, v72
	v_and_b32_e32 v72, exec_hi, v4
	v_lshlrev_b32_e32 v4, 30, v69
	v_xor_b32_e32 v70, vcc_lo, v70
	v_cmp_gt_i64_e32 vcc, 0, v[3:4]
	v_not_b32_e32 v4, v4
	v_ashrrev_i32_e32 v4, 31, v4
	v_and_b32_e32 v70, exec_lo, v70
	v_xor_b32_e32 v206, vcc_hi, v4
	v_xor_b32_e32 v4, vcc_lo, v4
	v_and_b32_e32 v70, v70, v4
	v_lshlrev_b32_e32 v4, 29, v69
	v_cmp_gt_i64_e32 vcc, 0, v[3:4]
	v_not_b32_e32 v4, v4
	v_ashrrev_i32_e32 v4, 31, v4
	v_and_b32_e32 v72, v72, v206
	v_xor_b32_e32 v206, vcc_hi, v4
	v_xor_b32_e32 v4, vcc_lo, v4
	v_and_b32_e32 v70, v70, v4
	v_lshlrev_b32_e32 v4, 28, v69
	v_cmp_gt_i64_e32 vcc, 0, v[3:4]
	v_not_b32_e32 v4, v4
	v_ashrrev_i32_e32 v4, 31, v4
	v_and_b32_e32 v72, v72, v206
	;; [unrolled: 8-line block ×5, first 2 shown]
	v_xor_b32_e32 v206, vcc_hi, v4
	v_xor_b32_e32 v4, vcc_lo, v4
	v_and_b32_e32 v72, v72, v206
	v_and_b32_e32 v206, v70, v4
	v_lshlrev_b32_e32 v4, 24, v69
	v_cmp_gt_i64_e32 vcc, 0, v[3:4]
	v_not_b32_e32 v4, v4
	v_ashrrev_i32_e32 v4, 31, v4
	v_mul_u32_u24_e32 v71, 20, v69
	v_xor_b32_e32 v69, vcc_hi, v4
	v_xor_b32_e32 v4, vcc_lo, v4
	v_and_b32_e32 v70, v72, v69
	v_and_b32_e32 v69, v206, v4
	v_mbcnt_lo_u32_b32 v4, v69, 0
	v_mbcnt_hi_u32_b32 v206, v70, v4
	v_cmp_ne_u64_e32 vcc, 0, v[69:70]
	v_cmp_eq_u32_e64 s[36:37], 0, v206
	s_and_b64 s[38:39], vcc, s[36:37]
	v_add_u32_e32 v208, v172, v71
	; wave barrier
	s_and_saveexec_b64 s[36:37], s[38:39]
	s_cbranch_execz .LBB1152_159
; %bb.158:                              ;   in Loop: Header=BB1152_101 Depth=2
	v_bcnt_u32_b32 v4, v69, 0
	v_bcnt_u32_b32 v4, v70, v4
	s_waitcnt lgkmcnt(0)
	v_add_u32_e32 v4, v204, v4
	ds_write_b32 v208, v4 offset:1040
.LBB1152_159:                           ;   in Loop: Header=BB1152_101 Depth=2
	s_or_b64 exec, exec, s[36:37]
	v_cmp_gt_i64_e32 vcc, 0, v[55:56]
	v_ashrrev_i32_e32 v69, 31, v56
	v_cndmask_b32_e64 v4, v133, 0, vcc
	v_not_b32_e32 v69, v69
	v_xor_b32_e32 v56, v4, v56
	v_xor_b32_e32 v55, v69, v55
	v_cmp_ne_u64_e32 vcc, s[72:73], v[55:56]
	v_cndmask_b32_e32 v70, v133, v56, vcc
	v_cndmask_b32_e32 v69, -1, v55, vcc
	v_lshrrev_b64 v[69:70], s95, v[69:70]
	; wave barrier
	v_and_b32_e32 v69, s97, v69
	v_mad_u32_u24 v4, v69, 20, v172
	ds_read_b32 v207, v4 offset:1040
	v_and_b32_e32 v4, 1, v69
	v_add_co_u32_e32 v70, vcc, -1, v4
	v_addc_co_u32_e64 v72, s[36:37], 0, -1, vcc
	v_cmp_ne_u32_e32 vcc, 0, v4
	v_xor_b32_e32 v4, vcc_hi, v72
	v_and_b32_e32 v72, exec_hi, v4
	v_lshlrev_b32_e32 v4, 30, v69
	v_xor_b32_e32 v70, vcc_lo, v70
	v_cmp_gt_i64_e32 vcc, 0, v[3:4]
	v_not_b32_e32 v4, v4
	v_ashrrev_i32_e32 v4, 31, v4
	v_and_b32_e32 v70, exec_lo, v70
	v_xor_b32_e32 v209, vcc_hi, v4
	v_xor_b32_e32 v4, vcc_lo, v4
	v_and_b32_e32 v70, v70, v4
	v_lshlrev_b32_e32 v4, 29, v69
	v_cmp_gt_i64_e32 vcc, 0, v[3:4]
	v_not_b32_e32 v4, v4
	v_ashrrev_i32_e32 v4, 31, v4
	v_and_b32_e32 v72, v72, v209
	v_xor_b32_e32 v209, vcc_hi, v4
	v_xor_b32_e32 v4, vcc_lo, v4
	v_and_b32_e32 v70, v70, v4
	v_lshlrev_b32_e32 v4, 28, v69
	v_cmp_gt_i64_e32 vcc, 0, v[3:4]
	v_not_b32_e32 v4, v4
	v_ashrrev_i32_e32 v4, 31, v4
	v_and_b32_e32 v72, v72, v209
	;; [unrolled: 8-line block ×5, first 2 shown]
	v_xor_b32_e32 v209, vcc_hi, v4
	v_xor_b32_e32 v4, vcc_lo, v4
	v_and_b32_e32 v72, v72, v209
	v_and_b32_e32 v209, v70, v4
	v_lshlrev_b32_e32 v4, 24, v69
	v_cmp_gt_i64_e32 vcc, 0, v[3:4]
	v_not_b32_e32 v4, v4
	v_ashrrev_i32_e32 v4, 31, v4
	v_mul_u32_u24_e32 v71, 20, v69
	v_xor_b32_e32 v69, vcc_hi, v4
	v_xor_b32_e32 v4, vcc_lo, v4
	v_and_b32_e32 v70, v72, v69
	v_and_b32_e32 v69, v209, v4
	v_mbcnt_lo_u32_b32 v4, v69, 0
	v_mbcnt_hi_u32_b32 v209, v70, v4
	v_cmp_ne_u64_e32 vcc, 0, v[69:70]
	v_cmp_eq_u32_e64 s[36:37], 0, v209
	s_and_b64 s[38:39], vcc, s[36:37]
	v_add_u32_e32 v211, v172, v71
	; wave barrier
	s_and_saveexec_b64 s[36:37], s[38:39]
	s_cbranch_execz .LBB1152_161
; %bb.160:                              ;   in Loop: Header=BB1152_101 Depth=2
	v_bcnt_u32_b32 v4, v69, 0
	v_bcnt_u32_b32 v4, v70, v4
	s_waitcnt lgkmcnt(0)
	v_add_u32_e32 v4, v207, v4
	ds_write_b32 v211, v4 offset:1040
.LBB1152_161:                           ;   in Loop: Header=BB1152_101 Depth=2
	s_or_b64 exec, exec, s[36:37]
	v_cmp_gt_i64_e32 vcc, 0, v[51:52]
	v_ashrrev_i32_e32 v69, 31, v52
	v_cndmask_b32_e64 v4, v133, 0, vcc
	v_not_b32_e32 v69, v69
	v_xor_b32_e32 v52, v4, v52
	v_xor_b32_e32 v51, v69, v51
	v_cmp_ne_u64_e32 vcc, s[72:73], v[51:52]
	v_cndmask_b32_e32 v70, v133, v52, vcc
	v_cndmask_b32_e32 v69, -1, v51, vcc
	v_lshrrev_b64 v[69:70], s95, v[69:70]
	; wave barrier
	v_and_b32_e32 v69, s97, v69
	v_mad_u32_u24 v4, v69, 20, v172
	ds_read_b32 v210, v4 offset:1040
	v_and_b32_e32 v4, 1, v69
	v_add_co_u32_e32 v70, vcc, -1, v4
	v_addc_co_u32_e64 v72, s[36:37], 0, -1, vcc
	v_cmp_ne_u32_e32 vcc, 0, v4
	v_xor_b32_e32 v4, vcc_hi, v72
	v_and_b32_e32 v72, exec_hi, v4
	v_lshlrev_b32_e32 v4, 30, v69
	v_xor_b32_e32 v70, vcc_lo, v70
	v_cmp_gt_i64_e32 vcc, 0, v[3:4]
	v_not_b32_e32 v4, v4
	v_ashrrev_i32_e32 v4, 31, v4
	v_and_b32_e32 v70, exec_lo, v70
	v_xor_b32_e32 v212, vcc_hi, v4
	v_xor_b32_e32 v4, vcc_lo, v4
	v_and_b32_e32 v70, v70, v4
	v_lshlrev_b32_e32 v4, 29, v69
	v_cmp_gt_i64_e32 vcc, 0, v[3:4]
	v_not_b32_e32 v4, v4
	v_ashrrev_i32_e32 v4, 31, v4
	v_and_b32_e32 v72, v72, v212
	v_xor_b32_e32 v212, vcc_hi, v4
	v_xor_b32_e32 v4, vcc_lo, v4
	v_and_b32_e32 v70, v70, v4
	v_lshlrev_b32_e32 v4, 28, v69
	v_cmp_gt_i64_e32 vcc, 0, v[3:4]
	v_not_b32_e32 v4, v4
	v_ashrrev_i32_e32 v4, 31, v4
	v_and_b32_e32 v72, v72, v212
	;; [unrolled: 8-line block ×5, first 2 shown]
	v_xor_b32_e32 v212, vcc_hi, v4
	v_xor_b32_e32 v4, vcc_lo, v4
	v_and_b32_e32 v72, v72, v212
	v_and_b32_e32 v212, v70, v4
	v_lshlrev_b32_e32 v4, 24, v69
	v_cmp_gt_i64_e32 vcc, 0, v[3:4]
	v_not_b32_e32 v4, v4
	v_ashrrev_i32_e32 v4, 31, v4
	v_mul_u32_u24_e32 v71, 20, v69
	v_xor_b32_e32 v69, vcc_hi, v4
	v_xor_b32_e32 v4, vcc_lo, v4
	v_and_b32_e32 v70, v72, v69
	v_and_b32_e32 v69, v212, v4
	v_mbcnt_lo_u32_b32 v4, v69, 0
	v_mbcnt_hi_u32_b32 v212, v70, v4
	v_cmp_ne_u64_e32 vcc, 0, v[69:70]
	v_cmp_eq_u32_e64 s[36:37], 0, v212
	s_and_b64 s[38:39], vcc, s[36:37]
	v_add_u32_e32 v214, v172, v71
	; wave barrier
	s_and_saveexec_b64 s[36:37], s[38:39]
	s_cbranch_execz .LBB1152_163
; %bb.162:                              ;   in Loop: Header=BB1152_101 Depth=2
	v_bcnt_u32_b32 v4, v69, 0
	v_bcnt_u32_b32 v4, v70, v4
	s_waitcnt lgkmcnt(0)
	v_add_u32_e32 v4, v210, v4
	ds_write_b32 v214, v4 offset:1040
.LBB1152_163:                           ;   in Loop: Header=BB1152_101 Depth=2
	s_or_b64 exec, exec, s[36:37]
	v_cmp_gt_i64_e32 vcc, 0, v[47:48]
	v_ashrrev_i32_e32 v69, 31, v48
	v_cndmask_b32_e64 v4, v133, 0, vcc
	v_not_b32_e32 v69, v69
	v_xor_b32_e32 v48, v4, v48
	v_xor_b32_e32 v47, v69, v47
	v_cmp_ne_u64_e32 vcc, s[72:73], v[47:48]
	v_cndmask_b32_e32 v70, v133, v48, vcc
	v_cndmask_b32_e32 v69, -1, v47, vcc
	v_lshrrev_b64 v[69:70], s95, v[69:70]
	; wave barrier
	v_and_b32_e32 v69, s97, v69
	v_mad_u32_u24 v4, v69, 20, v172
	ds_read_b32 v213, v4 offset:1040
	v_and_b32_e32 v4, 1, v69
	v_add_co_u32_e32 v70, vcc, -1, v4
	v_addc_co_u32_e64 v72, s[36:37], 0, -1, vcc
	v_cmp_ne_u32_e32 vcc, 0, v4
	v_xor_b32_e32 v4, vcc_hi, v72
	v_and_b32_e32 v72, exec_hi, v4
	v_lshlrev_b32_e32 v4, 30, v69
	v_xor_b32_e32 v70, vcc_lo, v70
	v_cmp_gt_i64_e32 vcc, 0, v[3:4]
	v_not_b32_e32 v4, v4
	v_ashrrev_i32_e32 v4, 31, v4
	v_and_b32_e32 v70, exec_lo, v70
	v_xor_b32_e32 v215, vcc_hi, v4
	v_xor_b32_e32 v4, vcc_lo, v4
	v_and_b32_e32 v70, v70, v4
	v_lshlrev_b32_e32 v4, 29, v69
	v_cmp_gt_i64_e32 vcc, 0, v[3:4]
	v_not_b32_e32 v4, v4
	v_ashrrev_i32_e32 v4, 31, v4
	v_and_b32_e32 v72, v72, v215
	v_xor_b32_e32 v215, vcc_hi, v4
	v_xor_b32_e32 v4, vcc_lo, v4
	v_and_b32_e32 v70, v70, v4
	v_lshlrev_b32_e32 v4, 28, v69
	v_cmp_gt_i64_e32 vcc, 0, v[3:4]
	v_not_b32_e32 v4, v4
	v_ashrrev_i32_e32 v4, 31, v4
	v_and_b32_e32 v72, v72, v215
	;; [unrolled: 8-line block ×5, first 2 shown]
	v_xor_b32_e32 v215, vcc_hi, v4
	v_xor_b32_e32 v4, vcc_lo, v4
	v_and_b32_e32 v72, v72, v215
	v_and_b32_e32 v215, v70, v4
	v_lshlrev_b32_e32 v4, 24, v69
	v_cmp_gt_i64_e32 vcc, 0, v[3:4]
	v_not_b32_e32 v4, v4
	v_ashrrev_i32_e32 v4, 31, v4
	v_mul_u32_u24_e32 v71, 20, v69
	v_xor_b32_e32 v69, vcc_hi, v4
	v_xor_b32_e32 v4, vcc_lo, v4
	v_and_b32_e32 v70, v72, v69
	v_and_b32_e32 v69, v215, v4
	v_mbcnt_lo_u32_b32 v4, v69, 0
	v_mbcnt_hi_u32_b32 v215, v70, v4
	v_cmp_ne_u64_e32 vcc, 0, v[69:70]
	v_cmp_eq_u32_e64 s[36:37], 0, v215
	s_and_b64 s[38:39], vcc, s[36:37]
	v_add_u32_e32 v217, v172, v71
	; wave barrier
	s_and_saveexec_b64 s[36:37], s[38:39]
	s_cbranch_execz .LBB1152_165
; %bb.164:                              ;   in Loop: Header=BB1152_101 Depth=2
	v_bcnt_u32_b32 v4, v69, 0
	v_bcnt_u32_b32 v4, v70, v4
	s_waitcnt lgkmcnt(0)
	v_add_u32_e32 v4, v213, v4
	ds_write_b32 v217, v4 offset:1040
.LBB1152_165:                           ;   in Loop: Header=BB1152_101 Depth=2
	s_or_b64 exec, exec, s[36:37]
	v_cmp_gt_i64_e32 vcc, 0, v[41:42]
	v_ashrrev_i32_e32 v69, 31, v42
	v_cndmask_b32_e64 v4, v133, 0, vcc
	v_not_b32_e32 v69, v69
	v_xor_b32_e32 v42, v4, v42
	v_xor_b32_e32 v41, v69, v41
	v_cmp_ne_u64_e32 vcc, s[72:73], v[41:42]
	v_cndmask_b32_e32 v70, v133, v42, vcc
	v_cndmask_b32_e32 v69, -1, v41, vcc
	v_lshrrev_b64 v[69:70], s95, v[69:70]
	; wave barrier
	v_and_b32_e32 v69, s97, v69
	v_mad_u32_u24 v4, v69, 20, v172
	ds_read_b32 v216, v4 offset:1040
	v_and_b32_e32 v4, 1, v69
	v_add_co_u32_e32 v70, vcc, -1, v4
	v_addc_co_u32_e64 v72, s[36:37], 0, -1, vcc
	v_cmp_ne_u32_e32 vcc, 0, v4
	v_xor_b32_e32 v4, vcc_hi, v72
	v_and_b32_e32 v72, exec_hi, v4
	v_lshlrev_b32_e32 v4, 30, v69
	v_xor_b32_e32 v70, vcc_lo, v70
	v_cmp_gt_i64_e32 vcc, 0, v[3:4]
	v_not_b32_e32 v4, v4
	v_ashrrev_i32_e32 v4, 31, v4
	v_and_b32_e32 v70, exec_lo, v70
	v_xor_b32_e32 v218, vcc_hi, v4
	v_xor_b32_e32 v4, vcc_lo, v4
	v_and_b32_e32 v70, v70, v4
	v_lshlrev_b32_e32 v4, 29, v69
	v_cmp_gt_i64_e32 vcc, 0, v[3:4]
	v_not_b32_e32 v4, v4
	v_ashrrev_i32_e32 v4, 31, v4
	v_and_b32_e32 v72, v72, v218
	v_xor_b32_e32 v218, vcc_hi, v4
	v_xor_b32_e32 v4, vcc_lo, v4
	v_and_b32_e32 v70, v70, v4
	v_lshlrev_b32_e32 v4, 28, v69
	v_cmp_gt_i64_e32 vcc, 0, v[3:4]
	v_not_b32_e32 v4, v4
	v_ashrrev_i32_e32 v4, 31, v4
	v_and_b32_e32 v72, v72, v218
	;; [unrolled: 8-line block ×5, first 2 shown]
	v_xor_b32_e32 v218, vcc_hi, v4
	v_xor_b32_e32 v4, vcc_lo, v4
	v_and_b32_e32 v72, v72, v218
	v_and_b32_e32 v218, v70, v4
	v_lshlrev_b32_e32 v4, 24, v69
	v_cmp_gt_i64_e32 vcc, 0, v[3:4]
	v_not_b32_e32 v4, v4
	v_ashrrev_i32_e32 v4, 31, v4
	v_mul_u32_u24_e32 v71, 20, v69
	v_xor_b32_e32 v69, vcc_hi, v4
	v_xor_b32_e32 v4, vcc_lo, v4
	v_and_b32_e32 v70, v72, v69
	v_and_b32_e32 v69, v218, v4
	v_mbcnt_lo_u32_b32 v4, v69, 0
	v_mbcnt_hi_u32_b32 v218, v70, v4
	v_cmp_ne_u64_e32 vcc, 0, v[69:70]
	v_cmp_eq_u32_e64 s[36:37], 0, v218
	s_and_b64 s[38:39], vcc, s[36:37]
	v_add_u32_e32 v220, v172, v71
	; wave barrier
	s_and_saveexec_b64 s[36:37], s[38:39]
	s_cbranch_execz .LBB1152_167
; %bb.166:                              ;   in Loop: Header=BB1152_101 Depth=2
	v_bcnt_u32_b32 v4, v69, 0
	v_bcnt_u32_b32 v4, v70, v4
	s_waitcnt lgkmcnt(0)
	v_add_u32_e32 v4, v216, v4
	ds_write_b32 v220, v4 offset:1040
.LBB1152_167:                           ;   in Loop: Header=BB1152_101 Depth=2
	s_or_b64 exec, exec, s[36:37]
	v_cmp_gt_i64_e32 vcc, 0, v[43:44]
	v_ashrrev_i32_e32 v69, 31, v44
	v_cndmask_b32_e64 v4, v133, 0, vcc
	v_not_b32_e32 v69, v69
	v_xor_b32_e32 v44, v4, v44
	v_xor_b32_e32 v43, v69, v43
	v_cmp_ne_u64_e32 vcc, s[72:73], v[43:44]
	v_cndmask_b32_e32 v70, v133, v44, vcc
	v_cndmask_b32_e32 v69, -1, v43, vcc
	v_lshrrev_b64 v[69:70], s95, v[69:70]
	; wave barrier
	v_and_b32_e32 v69, s97, v69
	v_mad_u32_u24 v4, v69, 20, v172
	ds_read_b32 v219, v4 offset:1040
	v_and_b32_e32 v4, 1, v69
	v_add_co_u32_e32 v70, vcc, -1, v4
	v_addc_co_u32_e64 v72, s[36:37], 0, -1, vcc
	v_cmp_ne_u32_e32 vcc, 0, v4
	v_xor_b32_e32 v4, vcc_hi, v72
	v_and_b32_e32 v72, exec_hi, v4
	v_lshlrev_b32_e32 v4, 30, v69
	v_xor_b32_e32 v70, vcc_lo, v70
	v_cmp_gt_i64_e32 vcc, 0, v[3:4]
	v_not_b32_e32 v4, v4
	v_ashrrev_i32_e32 v4, 31, v4
	v_and_b32_e32 v70, exec_lo, v70
	v_xor_b32_e32 v221, vcc_hi, v4
	v_xor_b32_e32 v4, vcc_lo, v4
	v_and_b32_e32 v70, v70, v4
	v_lshlrev_b32_e32 v4, 29, v69
	v_cmp_gt_i64_e32 vcc, 0, v[3:4]
	v_not_b32_e32 v4, v4
	v_ashrrev_i32_e32 v4, 31, v4
	v_and_b32_e32 v72, v72, v221
	v_xor_b32_e32 v221, vcc_hi, v4
	v_xor_b32_e32 v4, vcc_lo, v4
	v_and_b32_e32 v70, v70, v4
	v_lshlrev_b32_e32 v4, 28, v69
	v_cmp_gt_i64_e32 vcc, 0, v[3:4]
	v_not_b32_e32 v4, v4
	v_ashrrev_i32_e32 v4, 31, v4
	v_and_b32_e32 v72, v72, v221
	;; [unrolled: 8-line block ×5, first 2 shown]
	v_xor_b32_e32 v221, vcc_hi, v4
	v_xor_b32_e32 v4, vcc_lo, v4
	v_and_b32_e32 v72, v72, v221
	v_and_b32_e32 v221, v70, v4
	v_lshlrev_b32_e32 v4, 24, v69
	v_cmp_gt_i64_e32 vcc, 0, v[3:4]
	v_not_b32_e32 v4, v4
	v_ashrrev_i32_e32 v4, 31, v4
	v_mul_u32_u24_e32 v71, 20, v69
	v_xor_b32_e32 v69, vcc_hi, v4
	v_xor_b32_e32 v4, vcc_lo, v4
	v_and_b32_e32 v70, v72, v69
	v_and_b32_e32 v69, v221, v4
	v_mbcnt_lo_u32_b32 v4, v69, 0
	v_mbcnt_hi_u32_b32 v221, v70, v4
	v_cmp_ne_u64_e32 vcc, 0, v[69:70]
	v_cmp_eq_u32_e64 s[36:37], 0, v221
	s_and_b64 s[38:39], vcc, s[36:37]
	v_add_u32_e32 v4, v172, v71
	; wave barrier
	s_and_saveexec_b64 s[36:37], s[38:39]
	s_cbranch_execz .LBB1152_169
; %bb.168:                              ;   in Loop: Header=BB1152_101 Depth=2
	v_bcnt_u32_b32 v69, v69, 0
	v_bcnt_u32_b32 v69, v70, v69
	s_waitcnt lgkmcnt(0)
	v_add_u32_e32 v69, v219, v69
	ds_write_b32 v4, v69 offset:1040
.LBB1152_169:                           ;   in Loop: Header=BB1152_101 Depth=2
	s_or_b64 exec, exec, s[36:37]
	; wave barrier
	s_waitcnt lgkmcnt(0)
	s_barrier
	ds_read2_b32 v[71:72], v175 offset1:1
	ds_read2_b32 v[69:70], v174 offset1:1
	ds_read_b32 v222, v98 offset:1056
	s_waitcnt lgkmcnt(1)
	v_add3_u32 v223, v72, v71, v69
	s_waitcnt lgkmcnt(0)
	v_add3_u32 v222, v223, v70, v222
	s_nop 1
	v_mov_b32_dpp v223, v222 row_shr:1 row_mask:0xf bank_mask:0xf
	v_cndmask_b32_e64 v223, v223, 0, s[16:17]
	v_add_u32_e32 v222, v223, v222
	s_nop 1
	v_mov_b32_dpp v223, v222 row_shr:2 row_mask:0xf bank_mask:0xf
	v_cndmask_b32_e64 v223, 0, v223, s[18:19]
	v_add_u32_e32 v222, v222, v223
	;; [unrolled: 4-line block ×4, first 2 shown]
	s_nop 1
	v_mov_b32_dpp v223, v222 row_bcast:15 row_mask:0xf bank_mask:0xf
	v_cndmask_b32_e64 v223, v223, 0, s[24:25]
	v_add_u32_e32 v222, v222, v223
	s_nop 1
	v_mov_b32_dpp v223, v222 row_bcast:31 row_mask:0xf bank_mask:0xf
	v_cndmask_b32_e64 v223, 0, v223, s[26:27]
	v_add_u32_e32 v222, v222, v223
	s_and_saveexec_b64 s[36:37], s[6:7]
; %bb.170:                              ;   in Loop: Header=BB1152_101 Depth=2
	ds_write_b32 v93, v222 offset:1024
; %bb.171:                              ;   in Loop: Header=BB1152_101 Depth=2
	s_or_b64 exec, exec, s[36:37]
	s_waitcnt lgkmcnt(0)
	s_barrier
	s_and_saveexec_b64 s[36:37], s[8:9]
	s_cbranch_execz .LBB1152_173
; %bb.172:                              ;   in Loop: Header=BB1152_101 Depth=2
	ds_read_b32 v223, v99 offset:1024
	s_waitcnt lgkmcnt(0)
	s_nop 0
	v_mov_b32_dpp v224, v223 row_shr:1 row_mask:0xf bank_mask:0xf
	v_cndmask_b32_e64 v224, v224, 0, s[30:31]
	v_add_u32_e32 v223, v224, v223
	s_nop 1
	v_mov_b32_dpp v224, v223 row_shr:2 row_mask:0xf bank_mask:0xf
	v_cndmask_b32_e64 v224, 0, v224, s[34:35]
	v_add_u32_e32 v223, v223, v224
	ds_write_b32 v99, v223 offset:1024
.LBB1152_173:                           ;   in Loop: Header=BB1152_101 Depth=2
	s_or_b64 exec, exec, s[36:37]
	v_mov_b32_e32 v223, 0
	s_waitcnt lgkmcnt(0)
	s_barrier
	s_and_saveexec_b64 s[36:37], s[10:11]
; %bb.174:                              ;   in Loop: Header=BB1152_101 Depth=2
	ds_read_b32 v223, v93 offset:1020
; %bb.175:                              ;   in Loop: Header=BB1152_101 Depth=2
	s_or_b64 exec, exec, s[36:37]
	s_waitcnt lgkmcnt(0)
	v_add_u32_e32 v222, v223, v222
	ds_bpermute_b32 v222, v135, v222
	s_waitcnt lgkmcnt(0)
	v_cndmask_b32_e64 v222, v222, v223, s[28:29]
	v_cndmask_b32_e64 v222, v222, 0, s[12:13]
	v_add_u32_e32 v71, v222, v71
	v_add_u32_e32 v72, v71, v72
	;; [unrolled: 1-line block ×4, first 2 shown]
	ds_write2_b32 v175, v222, v71 offset1:1
	ds_write2_b32 v174, v72, v69 offset1:1
	ds_write_b32 v98, v70 offset:1056
	s_waitcnt lgkmcnt(0)
	s_barrier
	ds_read_b32 v69, v178 offset:1040
	ds_read_b32 v70, v181 offset:1040
	;; [unrolled: 1-line block ×17, first 2 shown]
	v_mov_b32_e32 v4, 0x1000
	s_and_saveexec_b64 s[36:37], s[14:15]
; %bb.176:                              ;   in Loop: Header=BB1152_101 Depth=2
	ds_read_b32 v4, v98 offset:1060
; %bb.177:                              ;   in Loop: Header=BB1152_101 Depth=2
	s_or_b64 exec, exec, s[36:37]
	s_waitcnt lgkmcnt(0)
	s_barrier
	s_and_saveexec_b64 s[36:37], s[4:5]
	s_cbranch_execz .LBB1152_179
; %bb.178:                              ;   in Loop: Header=BB1152_101 Depth=2
	ds_read_b32 v199, v73
	s_waitcnt lgkmcnt(0)
	v_sub_u32_e32 v196, v199, v196
	ds_write_b32 v73, v196
.LBB1152_179:                           ;   in Loop: Header=BB1152_101 Depth=2
	s_or_b64 exec, exec, s[36:37]
	v_lshlrev_b32_e32 v176, 3, v176
	v_lshl_add_u32 v69, v69, 3, v176
	ds_write_b64 v69, v[37:38] offset:1024
	v_lshlrev_b32_e32 v37, 3, v179
	v_lshlrev_b32_e32 v38, 3, v177
	;; [unrolled: 1-line block ×3, first 2 shown]
	v_add3_u32 v70, v37, v38, v70
	ds_write_b64 v70, v[39:40] offset:1024
	v_lshlrev_b32_e32 v37, 3, v182
	v_lshlrev_b32_e32 v38, 3, v180
	v_lshlrev_b32_e32 v39, 3, v225
	v_add3_u32 v39, v37, v38, v39
	v_lshlrev_b32_e32 v37, 3, v185
	v_lshlrev_b32_e32 v38, 3, v183
	v_lshlrev_b32_e32 v40, 3, v224
	ds_write_b64 v39, v[45:46] offset:1024
	v_add3_u32 v40, v37, v38, v40
	v_lshlrev_b32_e32 v37, 3, v188
	v_lshlrev_b32_e32 v38, 3, v186
	v_lshlrev_b32_e32 v45, 3, v223
	v_add3_u32 v45, v37, v38, v45
	v_lshlrev_b32_e32 v37, 3, v191
	v_lshlrev_b32_e32 v38, 3, v189
	v_lshlrev_b32_e32 v46, 3, v222
	ds_write_b64 v40, v[49:50] offset:1024
	v_add3_u32 v46, v37, v38, v46
	;; [unrolled: 9-line block ×4, first 2 shown]
	v_lshlrev_b32_e32 v37, 3, v206
	v_lshlrev_b32_e32 v38, 3, v204
	;; [unrolled: 1-line block ×3, first 2 shown]
	v_add3_u32 v57, v37, v38, v57
	v_lshlrev_b32_e32 v37, 3, v209
	v_lshlrev_b32_e32 v38, 3, v207
	;; [unrolled: 1-line block ×3, first 2 shown]
	v_add3_u32 v58, v37, v38, v58
	ds_write_b64 v49, v[63:64] offset:1024
	ds_write_b64 v50, v[65:66] offset:1024
	;; [unrolled: 1-line block ×6, first 2 shown]
	v_lshlrev_b32_e32 v37, 3, v212
	v_lshlrev_b32_e32 v38, 3, v210
	v_lshlrev_b32_e32 v55, 3, v175
	v_add3_u32 v55, v37, v38, v55
	ds_write_b64 v55, v[51:52] offset:1024
	v_lshlrev_b32_e32 v37, 3, v215
	v_lshlrev_b32_e32 v38, 3, v213
	v_lshlrev_b32_e32 v51, 3, v174
	v_add3_u32 v51, v37, v38, v51
	ds_write_b64 v51, v[47:48] offset:1024
	;; [unrolled: 5-line block ×3, first 2 shown]
	v_lshlrev_b32_e32 v37, 3, v221
	v_lshlrev_b32_e32 v38, 3, v219
	;; [unrolled: 1-line block ×3, first 2 shown]
	v_add3_u32 v41, v37, v38, v41
	v_cmp_lt_u32_e64 s[36:37], v0, v173
	ds_write_b64 v41, v[43:44] offset:1024
	s_waitcnt lgkmcnt(0)
	s_barrier
	s_and_saveexec_b64 s[38:39], s[36:37]
	s_cbranch_execnz .LBB1152_248
; %bb.180:                              ;   in Loop: Header=BB1152_101 Depth=2
	s_or_b64 exec, exec, s[38:39]
	v_cmp_lt_u32_e64 s[38:39], v74, v173
	s_and_saveexec_b64 s[40:41], s[38:39]
	s_cbranch_execnz .LBB1152_249
.LBB1152_181:                           ;   in Loop: Header=BB1152_101 Depth=2
	s_or_b64 exec, exec, s[40:41]
	v_cmp_lt_u32_e64 s[40:41], v75, v173
	s_and_saveexec_b64 s[42:43], s[40:41]
	s_cbranch_execnz .LBB1152_250
.LBB1152_182:                           ;   in Loop: Header=BB1152_101 Depth=2
	s_or_b64 exec, exec, s[42:43]
	v_cmp_lt_u32_e64 s[42:43], v76, v173
	s_and_saveexec_b64 s[44:45], s[42:43]
	s_cbranch_execnz .LBB1152_251
.LBB1152_183:                           ;   in Loop: Header=BB1152_101 Depth=2
	s_or_b64 exec, exec, s[44:45]
	v_cmp_lt_u32_e64 s[44:45], v79, v173
	s_and_saveexec_b64 s[46:47], s[44:45]
	s_cbranch_execnz .LBB1152_252
.LBB1152_184:                           ;   in Loop: Header=BB1152_101 Depth=2
	s_or_b64 exec, exec, s[46:47]
	v_cmp_lt_u32_e64 s[46:47], v80, v173
	s_and_saveexec_b64 s[48:49], s[46:47]
	s_cbranch_execnz .LBB1152_253
.LBB1152_185:                           ;   in Loop: Header=BB1152_101 Depth=2
	s_or_b64 exec, exec, s[48:49]
	v_cmp_lt_u32_e64 s[48:49], v81, v173
	s_and_saveexec_b64 s[50:51], s[48:49]
	s_cbranch_execnz .LBB1152_254
.LBB1152_186:                           ;   in Loop: Header=BB1152_101 Depth=2
	s_or_b64 exec, exec, s[50:51]
	v_cmp_lt_u32_e64 s[50:51], v82, v173
	s_and_saveexec_b64 s[52:53], s[50:51]
	s_cbranch_execnz .LBB1152_255
.LBB1152_187:                           ;   in Loop: Header=BB1152_101 Depth=2
	s_or_b64 exec, exec, s[52:53]
	v_cmp_lt_u32_e64 s[52:53], v83, v173
	s_and_saveexec_b64 s[54:55], s[52:53]
	s_cbranch_execnz .LBB1152_256
.LBB1152_188:                           ;   in Loop: Header=BB1152_101 Depth=2
	s_or_b64 exec, exec, s[54:55]
	v_cmp_lt_u32_e64 s[54:55], v84, v173
	s_and_saveexec_b64 s[56:57], s[54:55]
	s_cbranch_execnz .LBB1152_257
.LBB1152_189:                           ;   in Loop: Header=BB1152_101 Depth=2
	s_or_b64 exec, exec, s[56:57]
	v_cmp_lt_u32_e64 s[56:57], v85, v173
	s_and_saveexec_b64 s[58:59], s[56:57]
	s_cbranch_execnz .LBB1152_258
.LBB1152_190:                           ;   in Loop: Header=BB1152_101 Depth=2
	s_or_b64 exec, exec, s[58:59]
	v_cmp_lt_u32_e64 s[58:59], v86, v173
	s_and_saveexec_b64 s[60:61], s[58:59]
	s_cbranch_execnz .LBB1152_259
.LBB1152_191:                           ;   in Loop: Header=BB1152_101 Depth=2
	s_or_b64 exec, exec, s[60:61]
	v_cmp_lt_u32_e64 s[60:61], v87, v173
	s_and_saveexec_b64 s[62:63], s[60:61]
	s_cbranch_execnz .LBB1152_260
.LBB1152_192:                           ;   in Loop: Header=BB1152_101 Depth=2
	s_or_b64 exec, exec, s[62:63]
	v_cmp_lt_u32_e64 s[62:63], v88, v173
	s_and_saveexec_b64 s[64:65], s[62:63]
	s_cbranch_execnz .LBB1152_261
.LBB1152_193:                           ;   in Loop: Header=BB1152_101 Depth=2
	s_or_b64 exec, exec, s[64:65]
	v_cmp_lt_u32_e64 s[64:65], v89, v173
	s_and_saveexec_b64 s[66:67], s[64:65]
	s_cbranch_execnz .LBB1152_262
.LBB1152_194:                           ;   in Loop: Header=BB1152_101 Depth=2
	s_or_b64 exec, exec, s[66:67]
	v_cmp_lt_u32_e64 s[66:67], v90, v173
	s_and_saveexec_b64 s[92:93], s[66:67]
	s_cbranch_execz .LBB1152_196
.LBB1152_195:                           ;   in Loop: Header=BB1152_101 Depth=2
	ds_read_b64 v[37:38], v104 offset:31744
	v_mov_b32_e32 v43, v3
	v_mov_b32_e32 v44, s79
	s_waitcnt lgkmcnt(0)
	v_cmp_ne_u64_e32 vcc, s[72:73], v[37:38]
	v_ashrrev_i32_e32 v52, 31, v38
	v_cndmask_b32_e32 v60, v133, v38, vcc
	v_cndmask_b32_e32 v59, -1, v37, vcc
	v_lshrrev_b64 v[59:60], s95, v[59:60]
	v_cmp_gt_i64_e32 vcc, 0, v[37:38]
	v_and_b32_e32 v48, s97, v59
	v_lshlrev_b32_e32 v48, 2, v48
	ds_read_b32 v48, v48
	v_cndmask_b32_e64 v42, v133, 0, vcc
	v_xor_b32_e32 v38, v42, v38
	v_not_b32_e32 v52, v52
	v_xor_b32_e32 v37, v52, v37
	s_waitcnt lgkmcnt(0)
	v_add_u32_e32 v42, v48, v90
	v_lshlrev_b64 v[42:43], 3, v[42:43]
	v_add_co_u32_e32 v42, vcc, s78, v42
	v_addc_co_u32_e32 v43, vcc, v44, v43, vcc
	global_store_dwordx2 v[42:43], v[37:38], off
.LBB1152_196:                           ;   in Loop: Header=BB1152_101 Depth=2
	s_or_b64 exec, exec, s[92:93]
	s_mov_b32 s83, s72
	s_lshl_b64 s[82:83], s[82:83], 3
	v_mov_b32_e32 v38, s83
	v_add_co_u32_e32 v37, vcc, s82, v145
	v_addc_co_u32_e32 v38, vcc, v147, v38, vcc
	v_cmp_lt_u32_e32 vcc, v143, v173
	s_and_saveexec_b64 s[82:83], vcc
	s_xor_b64 s[82:83], exec, s[82:83]
	s_cbranch_execnz .LBB1152_263
; %bb.197:                              ;   in Loop: Header=BB1152_101 Depth=2
	s_or_b64 exec, exec, s[82:83]
	v_cmp_lt_u32_e32 vcc, v149, v173
	s_and_saveexec_b64 s[82:83], vcc
	s_cbranch_execnz .LBB1152_264
.LBB1152_198:                           ;   in Loop: Header=BB1152_101 Depth=2
	s_or_b64 exec, exec, s[82:83]
	v_cmp_lt_u32_e32 vcc, v151, v173
	s_and_saveexec_b64 s[82:83], vcc
	s_cbranch_execnz .LBB1152_265
.LBB1152_199:                           ;   in Loop: Header=BB1152_101 Depth=2
	s_or_b64 exec, exec, s[82:83]
	v_cmp_lt_u32_e32 vcc, v153, v173
	s_and_saveexec_b64 s[82:83], vcc
	s_cbranch_execnz .LBB1152_266
.LBB1152_200:                           ;   in Loop: Header=BB1152_101 Depth=2
	s_or_b64 exec, exec, s[82:83]
	v_cmp_lt_u32_e32 vcc, v155, v173
	s_and_saveexec_b64 s[82:83], vcc
	s_cbranch_execnz .LBB1152_267
.LBB1152_201:                           ;   in Loop: Header=BB1152_101 Depth=2
	s_or_b64 exec, exec, s[82:83]
	v_cmp_lt_u32_e32 vcc, v157, v173
	s_and_saveexec_b64 s[82:83], vcc
	s_cbranch_execnz .LBB1152_268
.LBB1152_202:                           ;   in Loop: Header=BB1152_101 Depth=2
	s_or_b64 exec, exec, s[82:83]
	v_cmp_lt_u32_e32 vcc, v159, v173
	s_and_saveexec_b64 s[82:83], vcc
	s_cbranch_execnz .LBB1152_269
.LBB1152_203:                           ;   in Loop: Header=BB1152_101 Depth=2
	s_or_b64 exec, exec, s[82:83]
	v_cmp_lt_u32_e32 vcc, v161, v173
	s_and_saveexec_b64 s[82:83], vcc
	s_cbranch_execnz .LBB1152_270
.LBB1152_204:                           ;   in Loop: Header=BB1152_101 Depth=2
	s_or_b64 exec, exec, s[82:83]
	v_cmp_lt_u32_e32 vcc, v162, v173
	s_and_saveexec_b64 s[82:83], vcc
	s_cbranch_execnz .LBB1152_271
.LBB1152_205:                           ;   in Loop: Header=BB1152_101 Depth=2
	s_or_b64 exec, exec, s[82:83]
	v_cmp_lt_u32_e32 vcc, v163, v173
	s_and_saveexec_b64 s[82:83], vcc
	s_cbranch_execnz .LBB1152_272
.LBB1152_206:                           ;   in Loop: Header=BB1152_101 Depth=2
	s_or_b64 exec, exec, s[82:83]
	v_cmp_lt_u32_e32 vcc, v164, v173
	s_and_saveexec_b64 s[82:83], vcc
	s_cbranch_execnz .LBB1152_273
.LBB1152_207:                           ;   in Loop: Header=BB1152_101 Depth=2
	s_or_b64 exec, exec, s[82:83]
	v_cmp_lt_u32_e32 vcc, v165, v173
	s_and_saveexec_b64 s[82:83], vcc
	s_cbranch_execnz .LBB1152_274
.LBB1152_208:                           ;   in Loop: Header=BB1152_101 Depth=2
	s_or_b64 exec, exec, s[82:83]
	v_cmp_lt_u32_e32 vcc, v166, v173
	s_and_saveexec_b64 s[82:83], vcc
	s_cbranch_execnz .LBB1152_275
.LBB1152_209:                           ;   in Loop: Header=BB1152_101 Depth=2
	s_or_b64 exec, exec, s[82:83]
	v_cmp_lt_u32_e32 vcc, v167, v173
	s_and_saveexec_b64 s[82:83], vcc
	s_cbranch_execnz .LBB1152_276
.LBB1152_210:                           ;   in Loop: Header=BB1152_101 Depth=2
	s_or_b64 exec, exec, s[82:83]
	v_cmp_lt_u32_e32 vcc, v168, v173
	s_and_saveexec_b64 s[82:83], vcc
	s_cbranch_execnz .LBB1152_277
.LBB1152_211:                           ;   in Loop: Header=BB1152_101 Depth=2
	s_or_b64 exec, exec, s[82:83]
	v_cmp_lt_u32_e32 vcc, v169, v173
	s_and_saveexec_b64 s[82:83], vcc
	s_cbranch_execnz .LBB1152_278
.LBB1152_212:                           ;   in Loop: Header=BB1152_101 Depth=2
	s_or_b64 exec, exec, s[82:83]
	s_and_saveexec_b64 s[82:83], s[36:37]
	s_cbranch_execnz .LBB1152_279
.LBB1152_213:                           ;   in Loop: Header=BB1152_101 Depth=2
	s_or_b64 exec, exec, s[82:83]
	s_and_saveexec_b64 s[82:83], s[38:39]
	s_cbranch_execnz .LBB1152_280
.LBB1152_214:                           ;   in Loop: Header=BB1152_101 Depth=2
	s_or_b64 exec, exec, s[82:83]
	s_and_saveexec_b64 s[82:83], s[40:41]
	s_cbranch_execnz .LBB1152_281
.LBB1152_215:                           ;   in Loop: Header=BB1152_101 Depth=2
	s_or_b64 exec, exec, s[82:83]
	s_and_saveexec_b64 s[82:83], s[42:43]
	s_cbranch_execnz .LBB1152_282
.LBB1152_216:                           ;   in Loop: Header=BB1152_101 Depth=2
	s_or_b64 exec, exec, s[82:83]
	s_and_saveexec_b64 s[82:83], s[44:45]
	s_cbranch_execnz .LBB1152_283
.LBB1152_217:                           ;   in Loop: Header=BB1152_101 Depth=2
	s_or_b64 exec, exec, s[82:83]
	s_and_saveexec_b64 s[82:83], s[46:47]
	s_cbranch_execnz .LBB1152_284
.LBB1152_218:                           ;   in Loop: Header=BB1152_101 Depth=2
	s_or_b64 exec, exec, s[82:83]
	s_and_saveexec_b64 s[82:83], s[48:49]
	s_cbranch_execnz .LBB1152_285
.LBB1152_219:                           ;   in Loop: Header=BB1152_101 Depth=2
	s_or_b64 exec, exec, s[82:83]
	s_and_saveexec_b64 s[82:83], s[50:51]
	s_cbranch_execnz .LBB1152_286
.LBB1152_220:                           ;   in Loop: Header=BB1152_101 Depth=2
	s_or_b64 exec, exec, s[82:83]
	s_and_saveexec_b64 s[82:83], s[52:53]
	s_cbranch_execnz .LBB1152_287
.LBB1152_221:                           ;   in Loop: Header=BB1152_101 Depth=2
	s_or_b64 exec, exec, s[82:83]
	s_and_saveexec_b64 s[82:83], s[54:55]
	s_cbranch_execnz .LBB1152_288
.LBB1152_222:                           ;   in Loop: Header=BB1152_101 Depth=2
	s_or_b64 exec, exec, s[82:83]
	s_and_saveexec_b64 s[82:83], s[56:57]
	s_cbranch_execnz .LBB1152_289
.LBB1152_223:                           ;   in Loop: Header=BB1152_101 Depth=2
	s_or_b64 exec, exec, s[82:83]
	s_and_saveexec_b64 s[82:83], s[58:59]
	s_cbranch_execnz .LBB1152_290
.LBB1152_224:                           ;   in Loop: Header=BB1152_101 Depth=2
	s_or_b64 exec, exec, s[82:83]
	s_and_saveexec_b64 s[82:83], s[60:61]
	s_cbranch_execnz .LBB1152_291
.LBB1152_225:                           ;   in Loop: Header=BB1152_101 Depth=2
	s_or_b64 exec, exec, s[82:83]
	s_and_saveexec_b64 s[82:83], s[62:63]
	s_cbranch_execnz .LBB1152_292
.LBB1152_226:                           ;   in Loop: Header=BB1152_101 Depth=2
	s_or_b64 exec, exec, s[82:83]
	s_and_saveexec_b64 s[82:83], s[64:65]
	s_cbranch_execnz .LBB1152_293
.LBB1152_227:                           ;   in Loop: Header=BB1152_101 Depth=2
	s_or_b64 exec, exec, s[82:83]
	s_and_saveexec_b64 s[82:83], s[66:67]
	s_cbranch_execz .LBB1152_229
.LBB1152_228:                           ;   in Loop: Header=BB1152_101 Depth=2
	ds_read_b64 v[37:38], v104 offset:31744
	s_waitcnt lgkmcnt(0)
	v_cmp_ne_u64_e32 vcc, s[72:73], v[37:38]
	v_cndmask_b32_e32 v38, v133, v38, vcc
	v_cndmask_b32_e32 v37, -1, v37, vcc
	v_lshrrev_b64 v[37:38], s95, v[37:38]
	v_and_b32_e32 v136, s97, v37
.LBB1152_229:                           ;   in Loop: Header=BB1152_101 Depth=2
	s_or_b64 exec, exec, s[82:83]
	s_waitcnt vmcnt(0)
	s_barrier
	ds_write_b64 v69, v[35:36] offset:1024
	ds_write_b64 v70, v[33:34] offset:1024
	;; [unrolled: 1-line block ×16, first 2 shown]
	s_waitcnt lgkmcnt(0)
	s_barrier
	s_and_saveexec_b64 s[82:83], s[36:37]
	s_cbranch_execnz .LBB1152_294
; %bb.230:                              ;   in Loop: Header=BB1152_101 Depth=2
	s_or_b64 exec, exec, s[82:83]
	s_and_saveexec_b64 s[36:37], s[38:39]
	s_cbranch_execnz .LBB1152_295
.LBB1152_231:                           ;   in Loop: Header=BB1152_101 Depth=2
	s_or_b64 exec, exec, s[36:37]
	s_and_saveexec_b64 s[36:37], s[40:41]
	s_cbranch_execnz .LBB1152_296
.LBB1152_232:                           ;   in Loop: Header=BB1152_101 Depth=2
	s_or_b64 exec, exec, s[36:37]
	s_and_saveexec_b64 s[36:37], s[42:43]
	s_cbranch_execnz .LBB1152_297
.LBB1152_233:                           ;   in Loop: Header=BB1152_101 Depth=2
	s_or_b64 exec, exec, s[36:37]
	s_and_saveexec_b64 s[36:37], s[44:45]
	s_cbranch_execnz .LBB1152_298
.LBB1152_234:                           ;   in Loop: Header=BB1152_101 Depth=2
	s_or_b64 exec, exec, s[36:37]
	s_and_saveexec_b64 s[36:37], s[46:47]
	s_cbranch_execnz .LBB1152_299
.LBB1152_235:                           ;   in Loop: Header=BB1152_101 Depth=2
	s_or_b64 exec, exec, s[36:37]
	s_and_saveexec_b64 s[36:37], s[48:49]
	s_cbranch_execnz .LBB1152_300
.LBB1152_236:                           ;   in Loop: Header=BB1152_101 Depth=2
	s_or_b64 exec, exec, s[36:37]
	s_and_saveexec_b64 s[36:37], s[50:51]
	s_cbranch_execnz .LBB1152_301
.LBB1152_237:                           ;   in Loop: Header=BB1152_101 Depth=2
	s_or_b64 exec, exec, s[36:37]
	s_and_saveexec_b64 s[36:37], s[52:53]
	s_cbranch_execnz .LBB1152_302
.LBB1152_238:                           ;   in Loop: Header=BB1152_101 Depth=2
	s_or_b64 exec, exec, s[36:37]
	s_and_saveexec_b64 s[36:37], s[54:55]
	s_cbranch_execnz .LBB1152_303
.LBB1152_239:                           ;   in Loop: Header=BB1152_101 Depth=2
	s_or_b64 exec, exec, s[36:37]
	s_and_saveexec_b64 s[36:37], s[56:57]
	s_cbranch_execnz .LBB1152_304
.LBB1152_240:                           ;   in Loop: Header=BB1152_101 Depth=2
	s_or_b64 exec, exec, s[36:37]
	s_and_saveexec_b64 s[36:37], s[58:59]
	s_cbranch_execnz .LBB1152_305
.LBB1152_241:                           ;   in Loop: Header=BB1152_101 Depth=2
	s_or_b64 exec, exec, s[36:37]
	s_and_saveexec_b64 s[36:37], s[60:61]
	s_cbranch_execnz .LBB1152_306
.LBB1152_242:                           ;   in Loop: Header=BB1152_101 Depth=2
	s_or_b64 exec, exec, s[36:37]
	s_and_saveexec_b64 s[36:37], s[62:63]
	s_cbranch_execnz .LBB1152_307
.LBB1152_243:                           ;   in Loop: Header=BB1152_101 Depth=2
	s_or_b64 exec, exec, s[36:37]
	s_and_saveexec_b64 s[36:37], s[64:65]
	s_cbranch_execnz .LBB1152_308
.LBB1152_244:                           ;   in Loop: Header=BB1152_101 Depth=2
	s_or_b64 exec, exec, s[36:37]
	s_and_saveexec_b64 s[36:37], s[66:67]
	s_cbranch_execz .LBB1152_246
.LBB1152_245:                           ;   in Loop: Header=BB1152_101 Depth=2
	v_lshlrev_b32_e32 v37, 2, v136
	ds_read_b32 v39, v37
	ds_read_b64 v[37:38], v104 offset:31744
	v_mov_b32_e32 v40, v3
	v_mov_b32_e32 v41, s85
	s_waitcnt lgkmcnt(1)
	v_add_u32_e32 v39, v39, v90
	v_lshlrev_b64 v[39:40], 3, v[39:40]
	v_add_co_u32_e32 v39, vcc, s84, v39
	v_addc_co_u32_e32 v40, vcc, v41, v40, vcc
	s_waitcnt lgkmcnt(0)
	global_store_dwordx2 v[39:40], v[37:38], off
.LBB1152_246:                           ;   in Loop: Header=BB1152_101 Depth=2
	s_or_b64 exec, exec, s[36:37]
	s_waitcnt vmcnt(0)
	s_barrier
	s_and_saveexec_b64 s[36:37], s[4:5]
	s_cbranch_execz .LBB1152_100
; %bb.247:                              ;   in Loop: Header=BB1152_101 Depth=2
	ds_read_b32 v37, v73
	s_waitcnt lgkmcnt(0)
	v_add_u32_e32 v4, v37, v4
	ds_write_b32 v73, v4
	s_branch .LBB1152_100
.LBB1152_248:                           ;   in Loop: Header=BB1152_101 Depth=2
	ds_read_b64 v[37:38], v104 offset:1024
	v_mov_b32_e32 v43, v3
	v_mov_b32_e32 v44, s79
	s_waitcnt lgkmcnt(0)
	v_cmp_ne_u64_e32 vcc, s[72:73], v[37:38]
	v_ashrrev_i32_e32 v52, 31, v38
	v_cndmask_b32_e32 v60, v133, v38, vcc
	v_cndmask_b32_e32 v59, -1, v37, vcc
	v_lshrrev_b64 v[59:60], s95, v[59:60]
	v_cmp_gt_i64_e32 vcc, 0, v[37:38]
	v_and_b32_e32 v48, s97, v59
	v_lshlrev_b32_e32 v48, 2, v48
	ds_read_b32 v48, v48
	v_cndmask_b32_e64 v42, v133, 0, vcc
	v_xor_b32_e32 v38, v42, v38
	v_not_b32_e32 v52, v52
	v_xor_b32_e32 v37, v52, v37
	s_waitcnt lgkmcnt(0)
	v_add_u32_e32 v42, v48, v0
	v_lshlrev_b64 v[42:43], 3, v[42:43]
	v_add_co_u32_e32 v42, vcc, s78, v42
	v_addc_co_u32_e32 v43, vcc, v44, v43, vcc
	global_store_dwordx2 v[42:43], v[37:38], off
	s_or_b64 exec, exec, s[38:39]
	v_cmp_lt_u32_e64 s[38:39], v74, v173
	s_and_saveexec_b64 s[40:41], s[38:39]
	s_cbranch_execz .LBB1152_181
.LBB1152_249:                           ;   in Loop: Header=BB1152_101 Depth=2
	ds_read_b64 v[37:38], v104 offset:3072
	v_mov_b32_e32 v43, v3
	v_mov_b32_e32 v44, s79
	s_waitcnt lgkmcnt(0)
	v_cmp_ne_u64_e32 vcc, s[72:73], v[37:38]
	v_ashrrev_i32_e32 v52, 31, v38
	v_cndmask_b32_e32 v60, v133, v38, vcc
	v_cndmask_b32_e32 v59, -1, v37, vcc
	v_lshrrev_b64 v[59:60], s95, v[59:60]
	v_cmp_gt_i64_e32 vcc, 0, v[37:38]
	v_and_b32_e32 v48, s97, v59
	v_lshlrev_b32_e32 v48, 2, v48
	ds_read_b32 v48, v48
	v_cndmask_b32_e64 v42, v133, 0, vcc
	v_xor_b32_e32 v38, v42, v38
	v_not_b32_e32 v52, v52
	v_xor_b32_e32 v37, v52, v37
	s_waitcnt lgkmcnt(0)
	v_add_u32_e32 v42, v48, v74
	v_lshlrev_b64 v[42:43], 3, v[42:43]
	v_add_co_u32_e32 v42, vcc, s78, v42
	v_addc_co_u32_e32 v43, vcc, v44, v43, vcc
	global_store_dwordx2 v[42:43], v[37:38], off
	s_or_b64 exec, exec, s[40:41]
	v_cmp_lt_u32_e64 s[40:41], v75, v173
	s_and_saveexec_b64 s[42:43], s[40:41]
	s_cbranch_execz .LBB1152_182
.LBB1152_250:                           ;   in Loop: Header=BB1152_101 Depth=2
	ds_read_b64 v[37:38], v104 offset:5120
	v_mov_b32_e32 v43, v3
	v_mov_b32_e32 v44, s79
	s_waitcnt lgkmcnt(0)
	v_cmp_ne_u64_e32 vcc, s[72:73], v[37:38]
	v_ashrrev_i32_e32 v52, 31, v38
	v_cndmask_b32_e32 v60, v133, v38, vcc
	v_cndmask_b32_e32 v59, -1, v37, vcc
	v_lshrrev_b64 v[59:60], s95, v[59:60]
	v_cmp_gt_i64_e32 vcc, 0, v[37:38]
	v_and_b32_e32 v48, s97, v59
	v_lshlrev_b32_e32 v48, 2, v48
	ds_read_b32 v48, v48
	v_cndmask_b32_e64 v42, v133, 0, vcc
	v_xor_b32_e32 v38, v42, v38
	v_not_b32_e32 v52, v52
	v_xor_b32_e32 v37, v52, v37
	s_waitcnt lgkmcnt(0)
	v_add_u32_e32 v42, v48, v75
	v_lshlrev_b64 v[42:43], 3, v[42:43]
	v_add_co_u32_e32 v42, vcc, s78, v42
	v_addc_co_u32_e32 v43, vcc, v44, v43, vcc
	global_store_dwordx2 v[42:43], v[37:38], off
	s_or_b64 exec, exec, s[42:43]
	v_cmp_lt_u32_e64 s[42:43], v76, v173
	s_and_saveexec_b64 s[44:45], s[42:43]
	s_cbranch_execz .LBB1152_183
.LBB1152_251:                           ;   in Loop: Header=BB1152_101 Depth=2
	ds_read_b64 v[37:38], v104 offset:7168
	v_mov_b32_e32 v43, v3
	v_mov_b32_e32 v44, s79
	s_waitcnt lgkmcnt(0)
	v_cmp_ne_u64_e32 vcc, s[72:73], v[37:38]
	v_ashrrev_i32_e32 v52, 31, v38
	v_cndmask_b32_e32 v60, v133, v38, vcc
	v_cndmask_b32_e32 v59, -1, v37, vcc
	v_lshrrev_b64 v[59:60], s95, v[59:60]
	v_cmp_gt_i64_e32 vcc, 0, v[37:38]
	v_and_b32_e32 v48, s97, v59
	v_lshlrev_b32_e32 v48, 2, v48
	ds_read_b32 v48, v48
	v_cndmask_b32_e64 v42, v133, 0, vcc
	v_xor_b32_e32 v38, v42, v38
	v_not_b32_e32 v52, v52
	v_xor_b32_e32 v37, v52, v37
	s_waitcnt lgkmcnt(0)
	v_add_u32_e32 v42, v48, v76
	v_lshlrev_b64 v[42:43], 3, v[42:43]
	v_add_co_u32_e32 v42, vcc, s78, v42
	v_addc_co_u32_e32 v43, vcc, v44, v43, vcc
	global_store_dwordx2 v[42:43], v[37:38], off
	s_or_b64 exec, exec, s[44:45]
	v_cmp_lt_u32_e64 s[44:45], v79, v173
	s_and_saveexec_b64 s[46:47], s[44:45]
	s_cbranch_execz .LBB1152_184
.LBB1152_252:                           ;   in Loop: Header=BB1152_101 Depth=2
	ds_read_b64 v[37:38], v104 offset:9216
	v_mov_b32_e32 v43, v3
	v_mov_b32_e32 v44, s79
	s_waitcnt lgkmcnt(0)
	v_cmp_ne_u64_e32 vcc, s[72:73], v[37:38]
	v_ashrrev_i32_e32 v52, 31, v38
	v_cndmask_b32_e32 v60, v133, v38, vcc
	v_cndmask_b32_e32 v59, -1, v37, vcc
	v_lshrrev_b64 v[59:60], s95, v[59:60]
	v_cmp_gt_i64_e32 vcc, 0, v[37:38]
	v_and_b32_e32 v48, s97, v59
	v_lshlrev_b32_e32 v48, 2, v48
	ds_read_b32 v48, v48
	v_cndmask_b32_e64 v42, v133, 0, vcc
	v_xor_b32_e32 v38, v42, v38
	v_not_b32_e32 v52, v52
	v_xor_b32_e32 v37, v52, v37
	s_waitcnt lgkmcnt(0)
	v_add_u32_e32 v42, v48, v79
	v_lshlrev_b64 v[42:43], 3, v[42:43]
	v_add_co_u32_e32 v42, vcc, s78, v42
	v_addc_co_u32_e32 v43, vcc, v44, v43, vcc
	global_store_dwordx2 v[42:43], v[37:38], off
	s_or_b64 exec, exec, s[46:47]
	v_cmp_lt_u32_e64 s[46:47], v80, v173
	s_and_saveexec_b64 s[48:49], s[46:47]
	s_cbranch_execz .LBB1152_185
.LBB1152_253:                           ;   in Loop: Header=BB1152_101 Depth=2
	ds_read_b64 v[37:38], v104 offset:11264
	v_mov_b32_e32 v43, v3
	v_mov_b32_e32 v44, s79
	s_waitcnt lgkmcnt(0)
	v_cmp_ne_u64_e32 vcc, s[72:73], v[37:38]
	v_ashrrev_i32_e32 v52, 31, v38
	v_cndmask_b32_e32 v60, v133, v38, vcc
	v_cndmask_b32_e32 v59, -1, v37, vcc
	v_lshrrev_b64 v[59:60], s95, v[59:60]
	v_cmp_gt_i64_e32 vcc, 0, v[37:38]
	v_and_b32_e32 v48, s97, v59
	v_lshlrev_b32_e32 v48, 2, v48
	ds_read_b32 v48, v48
	v_cndmask_b32_e64 v42, v133, 0, vcc
	v_xor_b32_e32 v38, v42, v38
	v_not_b32_e32 v52, v52
	v_xor_b32_e32 v37, v52, v37
	s_waitcnt lgkmcnt(0)
	v_add_u32_e32 v42, v48, v80
	v_lshlrev_b64 v[42:43], 3, v[42:43]
	v_add_co_u32_e32 v42, vcc, s78, v42
	v_addc_co_u32_e32 v43, vcc, v44, v43, vcc
	global_store_dwordx2 v[42:43], v[37:38], off
	s_or_b64 exec, exec, s[48:49]
	v_cmp_lt_u32_e64 s[48:49], v81, v173
	s_and_saveexec_b64 s[50:51], s[48:49]
	s_cbranch_execz .LBB1152_186
.LBB1152_254:                           ;   in Loop: Header=BB1152_101 Depth=2
	ds_read_b64 v[37:38], v104 offset:13312
	v_mov_b32_e32 v43, v3
	v_mov_b32_e32 v44, s79
	s_waitcnt lgkmcnt(0)
	v_cmp_ne_u64_e32 vcc, s[72:73], v[37:38]
	v_ashrrev_i32_e32 v52, 31, v38
	v_cndmask_b32_e32 v60, v133, v38, vcc
	v_cndmask_b32_e32 v59, -1, v37, vcc
	v_lshrrev_b64 v[59:60], s95, v[59:60]
	v_cmp_gt_i64_e32 vcc, 0, v[37:38]
	v_and_b32_e32 v48, s97, v59
	v_lshlrev_b32_e32 v48, 2, v48
	ds_read_b32 v48, v48
	v_cndmask_b32_e64 v42, v133, 0, vcc
	v_xor_b32_e32 v38, v42, v38
	v_not_b32_e32 v52, v52
	v_xor_b32_e32 v37, v52, v37
	s_waitcnt lgkmcnt(0)
	v_add_u32_e32 v42, v48, v81
	v_lshlrev_b64 v[42:43], 3, v[42:43]
	v_add_co_u32_e32 v42, vcc, s78, v42
	v_addc_co_u32_e32 v43, vcc, v44, v43, vcc
	global_store_dwordx2 v[42:43], v[37:38], off
	s_or_b64 exec, exec, s[50:51]
	v_cmp_lt_u32_e64 s[50:51], v82, v173
	s_and_saveexec_b64 s[52:53], s[50:51]
	s_cbranch_execz .LBB1152_187
.LBB1152_255:                           ;   in Loop: Header=BB1152_101 Depth=2
	ds_read_b64 v[37:38], v104 offset:15360
	v_mov_b32_e32 v43, v3
	v_mov_b32_e32 v44, s79
	s_waitcnt lgkmcnt(0)
	v_cmp_ne_u64_e32 vcc, s[72:73], v[37:38]
	v_ashrrev_i32_e32 v52, 31, v38
	v_cndmask_b32_e32 v60, v133, v38, vcc
	v_cndmask_b32_e32 v59, -1, v37, vcc
	v_lshrrev_b64 v[59:60], s95, v[59:60]
	v_cmp_gt_i64_e32 vcc, 0, v[37:38]
	v_and_b32_e32 v48, s97, v59
	v_lshlrev_b32_e32 v48, 2, v48
	ds_read_b32 v48, v48
	v_cndmask_b32_e64 v42, v133, 0, vcc
	v_xor_b32_e32 v38, v42, v38
	v_not_b32_e32 v52, v52
	v_xor_b32_e32 v37, v52, v37
	s_waitcnt lgkmcnt(0)
	v_add_u32_e32 v42, v48, v82
	v_lshlrev_b64 v[42:43], 3, v[42:43]
	v_add_co_u32_e32 v42, vcc, s78, v42
	v_addc_co_u32_e32 v43, vcc, v44, v43, vcc
	global_store_dwordx2 v[42:43], v[37:38], off
	s_or_b64 exec, exec, s[52:53]
	v_cmp_lt_u32_e64 s[52:53], v83, v173
	s_and_saveexec_b64 s[54:55], s[52:53]
	s_cbranch_execz .LBB1152_188
.LBB1152_256:                           ;   in Loop: Header=BB1152_101 Depth=2
	ds_read_b64 v[37:38], v104 offset:17408
	v_mov_b32_e32 v43, v3
	v_mov_b32_e32 v44, s79
	s_waitcnt lgkmcnt(0)
	v_cmp_ne_u64_e32 vcc, s[72:73], v[37:38]
	v_ashrrev_i32_e32 v52, 31, v38
	v_cndmask_b32_e32 v60, v133, v38, vcc
	v_cndmask_b32_e32 v59, -1, v37, vcc
	v_lshrrev_b64 v[59:60], s95, v[59:60]
	v_cmp_gt_i64_e32 vcc, 0, v[37:38]
	v_and_b32_e32 v48, s97, v59
	v_lshlrev_b32_e32 v48, 2, v48
	ds_read_b32 v48, v48
	v_cndmask_b32_e64 v42, v133, 0, vcc
	v_xor_b32_e32 v38, v42, v38
	v_not_b32_e32 v52, v52
	v_xor_b32_e32 v37, v52, v37
	s_waitcnt lgkmcnt(0)
	v_add_u32_e32 v42, v48, v83
	v_lshlrev_b64 v[42:43], 3, v[42:43]
	v_add_co_u32_e32 v42, vcc, s78, v42
	v_addc_co_u32_e32 v43, vcc, v44, v43, vcc
	global_store_dwordx2 v[42:43], v[37:38], off
	s_or_b64 exec, exec, s[54:55]
	v_cmp_lt_u32_e64 s[54:55], v84, v173
	s_and_saveexec_b64 s[56:57], s[54:55]
	s_cbranch_execz .LBB1152_189
.LBB1152_257:                           ;   in Loop: Header=BB1152_101 Depth=2
	ds_read_b64 v[37:38], v104 offset:19456
	v_mov_b32_e32 v43, v3
	v_mov_b32_e32 v44, s79
	s_waitcnt lgkmcnt(0)
	v_cmp_ne_u64_e32 vcc, s[72:73], v[37:38]
	v_ashrrev_i32_e32 v52, 31, v38
	v_cndmask_b32_e32 v60, v133, v38, vcc
	v_cndmask_b32_e32 v59, -1, v37, vcc
	v_lshrrev_b64 v[59:60], s95, v[59:60]
	v_cmp_gt_i64_e32 vcc, 0, v[37:38]
	v_and_b32_e32 v48, s97, v59
	v_lshlrev_b32_e32 v48, 2, v48
	ds_read_b32 v48, v48
	v_cndmask_b32_e64 v42, v133, 0, vcc
	v_xor_b32_e32 v38, v42, v38
	v_not_b32_e32 v52, v52
	v_xor_b32_e32 v37, v52, v37
	s_waitcnt lgkmcnt(0)
	v_add_u32_e32 v42, v48, v84
	v_lshlrev_b64 v[42:43], 3, v[42:43]
	v_add_co_u32_e32 v42, vcc, s78, v42
	v_addc_co_u32_e32 v43, vcc, v44, v43, vcc
	global_store_dwordx2 v[42:43], v[37:38], off
	s_or_b64 exec, exec, s[56:57]
	v_cmp_lt_u32_e64 s[56:57], v85, v173
	s_and_saveexec_b64 s[58:59], s[56:57]
	s_cbranch_execz .LBB1152_190
.LBB1152_258:                           ;   in Loop: Header=BB1152_101 Depth=2
	ds_read_b64 v[37:38], v104 offset:21504
	v_mov_b32_e32 v43, v3
	v_mov_b32_e32 v44, s79
	s_waitcnt lgkmcnt(0)
	v_cmp_ne_u64_e32 vcc, s[72:73], v[37:38]
	v_ashrrev_i32_e32 v52, 31, v38
	v_cndmask_b32_e32 v60, v133, v38, vcc
	v_cndmask_b32_e32 v59, -1, v37, vcc
	v_lshrrev_b64 v[59:60], s95, v[59:60]
	v_cmp_gt_i64_e32 vcc, 0, v[37:38]
	v_and_b32_e32 v48, s97, v59
	v_lshlrev_b32_e32 v48, 2, v48
	ds_read_b32 v48, v48
	v_cndmask_b32_e64 v42, v133, 0, vcc
	v_xor_b32_e32 v38, v42, v38
	v_not_b32_e32 v52, v52
	v_xor_b32_e32 v37, v52, v37
	s_waitcnt lgkmcnt(0)
	v_add_u32_e32 v42, v48, v85
	v_lshlrev_b64 v[42:43], 3, v[42:43]
	v_add_co_u32_e32 v42, vcc, s78, v42
	v_addc_co_u32_e32 v43, vcc, v44, v43, vcc
	global_store_dwordx2 v[42:43], v[37:38], off
	s_or_b64 exec, exec, s[58:59]
	v_cmp_lt_u32_e64 s[58:59], v86, v173
	s_and_saveexec_b64 s[60:61], s[58:59]
	s_cbranch_execz .LBB1152_191
.LBB1152_259:                           ;   in Loop: Header=BB1152_101 Depth=2
	ds_read_b64 v[37:38], v104 offset:23552
	v_mov_b32_e32 v43, v3
	v_mov_b32_e32 v44, s79
	s_waitcnt lgkmcnt(0)
	v_cmp_ne_u64_e32 vcc, s[72:73], v[37:38]
	v_ashrrev_i32_e32 v52, 31, v38
	v_cndmask_b32_e32 v60, v133, v38, vcc
	v_cndmask_b32_e32 v59, -1, v37, vcc
	v_lshrrev_b64 v[59:60], s95, v[59:60]
	v_cmp_gt_i64_e32 vcc, 0, v[37:38]
	v_and_b32_e32 v48, s97, v59
	v_lshlrev_b32_e32 v48, 2, v48
	ds_read_b32 v48, v48
	v_cndmask_b32_e64 v42, v133, 0, vcc
	v_xor_b32_e32 v38, v42, v38
	v_not_b32_e32 v52, v52
	v_xor_b32_e32 v37, v52, v37
	s_waitcnt lgkmcnt(0)
	v_add_u32_e32 v42, v48, v86
	v_lshlrev_b64 v[42:43], 3, v[42:43]
	v_add_co_u32_e32 v42, vcc, s78, v42
	v_addc_co_u32_e32 v43, vcc, v44, v43, vcc
	global_store_dwordx2 v[42:43], v[37:38], off
	s_or_b64 exec, exec, s[60:61]
	v_cmp_lt_u32_e64 s[60:61], v87, v173
	s_and_saveexec_b64 s[62:63], s[60:61]
	s_cbranch_execz .LBB1152_192
.LBB1152_260:                           ;   in Loop: Header=BB1152_101 Depth=2
	ds_read_b64 v[37:38], v104 offset:25600
	v_mov_b32_e32 v43, v3
	v_mov_b32_e32 v44, s79
	s_waitcnt lgkmcnt(0)
	v_cmp_ne_u64_e32 vcc, s[72:73], v[37:38]
	v_ashrrev_i32_e32 v52, 31, v38
	v_cndmask_b32_e32 v60, v133, v38, vcc
	v_cndmask_b32_e32 v59, -1, v37, vcc
	v_lshrrev_b64 v[59:60], s95, v[59:60]
	v_cmp_gt_i64_e32 vcc, 0, v[37:38]
	v_and_b32_e32 v48, s97, v59
	v_lshlrev_b32_e32 v48, 2, v48
	ds_read_b32 v48, v48
	v_cndmask_b32_e64 v42, v133, 0, vcc
	v_xor_b32_e32 v38, v42, v38
	v_not_b32_e32 v52, v52
	v_xor_b32_e32 v37, v52, v37
	s_waitcnt lgkmcnt(0)
	v_add_u32_e32 v42, v48, v87
	v_lshlrev_b64 v[42:43], 3, v[42:43]
	v_add_co_u32_e32 v42, vcc, s78, v42
	v_addc_co_u32_e32 v43, vcc, v44, v43, vcc
	global_store_dwordx2 v[42:43], v[37:38], off
	s_or_b64 exec, exec, s[62:63]
	v_cmp_lt_u32_e64 s[62:63], v88, v173
	s_and_saveexec_b64 s[64:65], s[62:63]
	s_cbranch_execz .LBB1152_193
.LBB1152_261:                           ;   in Loop: Header=BB1152_101 Depth=2
	ds_read_b64 v[37:38], v104 offset:27648
	v_mov_b32_e32 v43, v3
	v_mov_b32_e32 v44, s79
	s_waitcnt lgkmcnt(0)
	v_cmp_ne_u64_e32 vcc, s[72:73], v[37:38]
	v_ashrrev_i32_e32 v52, 31, v38
	v_cndmask_b32_e32 v60, v133, v38, vcc
	v_cndmask_b32_e32 v59, -1, v37, vcc
	v_lshrrev_b64 v[59:60], s95, v[59:60]
	v_cmp_gt_i64_e32 vcc, 0, v[37:38]
	v_and_b32_e32 v48, s97, v59
	v_lshlrev_b32_e32 v48, 2, v48
	ds_read_b32 v48, v48
	v_cndmask_b32_e64 v42, v133, 0, vcc
	v_xor_b32_e32 v38, v42, v38
	v_not_b32_e32 v52, v52
	v_xor_b32_e32 v37, v52, v37
	s_waitcnt lgkmcnt(0)
	v_add_u32_e32 v42, v48, v88
	v_lshlrev_b64 v[42:43], 3, v[42:43]
	v_add_co_u32_e32 v42, vcc, s78, v42
	v_addc_co_u32_e32 v43, vcc, v44, v43, vcc
	global_store_dwordx2 v[42:43], v[37:38], off
	s_or_b64 exec, exec, s[64:65]
	v_cmp_lt_u32_e64 s[64:65], v89, v173
	s_and_saveexec_b64 s[66:67], s[64:65]
	s_cbranch_execz .LBB1152_194
.LBB1152_262:                           ;   in Loop: Header=BB1152_101 Depth=2
	ds_read_b64 v[37:38], v104 offset:29696
	v_mov_b32_e32 v43, v3
	v_mov_b32_e32 v44, s79
	s_waitcnt lgkmcnt(0)
	v_cmp_ne_u64_e32 vcc, s[72:73], v[37:38]
	v_ashrrev_i32_e32 v52, 31, v38
	v_cndmask_b32_e32 v60, v133, v38, vcc
	v_cndmask_b32_e32 v59, -1, v37, vcc
	v_lshrrev_b64 v[59:60], s95, v[59:60]
	v_cmp_gt_i64_e32 vcc, 0, v[37:38]
	v_and_b32_e32 v48, s97, v59
	v_lshlrev_b32_e32 v48, 2, v48
	ds_read_b32 v48, v48
	v_cndmask_b32_e64 v42, v133, 0, vcc
	v_xor_b32_e32 v38, v42, v38
	v_not_b32_e32 v52, v52
	v_xor_b32_e32 v37, v52, v37
	s_waitcnt lgkmcnt(0)
	v_add_u32_e32 v42, v48, v89
	v_lshlrev_b64 v[42:43], 3, v[42:43]
	v_add_co_u32_e32 v42, vcc, s78, v42
	v_addc_co_u32_e32 v43, vcc, v44, v43, vcc
	global_store_dwordx2 v[42:43], v[37:38], off
	s_or_b64 exec, exec, s[66:67]
	v_cmp_lt_u32_e64 s[66:67], v90, v173
	s_and_saveexec_b64 s[92:93], s[66:67]
	s_cbranch_execnz .LBB1152_195
	s_branch .LBB1152_196
.LBB1152_263:                           ;   in Loop: Header=BB1152_101 Depth=2
	global_load_dwordx2 v[35:36], v[37:38], off
	s_or_b64 exec, exec, s[82:83]
	v_cmp_lt_u32_e32 vcc, v149, v173
	s_and_saveexec_b64 s[82:83], vcc
	s_cbranch_execz .LBB1152_198
.LBB1152_264:                           ;   in Loop: Header=BB1152_101 Depth=2
	global_load_dwordx2 v[33:34], v[37:38], off offset:512
	s_or_b64 exec, exec, s[82:83]
	v_cmp_lt_u32_e32 vcc, v151, v173
	s_and_saveexec_b64 s[82:83], vcc
	s_cbranch_execz .LBB1152_199
.LBB1152_265:                           ;   in Loop: Header=BB1152_101 Depth=2
	global_load_dwordx2 v[31:32], v[37:38], off offset:1024
	s_or_b64 exec, exec, s[82:83]
	v_cmp_lt_u32_e32 vcc, v153, v173
	s_and_saveexec_b64 s[82:83], vcc
	s_cbranch_execz .LBB1152_200
.LBB1152_266:                           ;   in Loop: Header=BB1152_101 Depth=2
	global_load_dwordx2 v[27:28], v[37:38], off offset:1536
	s_or_b64 exec, exec, s[82:83]
	v_cmp_lt_u32_e32 vcc, v155, v173
	s_and_saveexec_b64 s[82:83], vcc
	s_cbranch_execz .LBB1152_201
.LBB1152_267:                           ;   in Loop: Header=BB1152_101 Depth=2
	global_load_dwordx2 v[23:24], v[37:38], off offset:2048
	s_or_b64 exec, exec, s[82:83]
	v_cmp_lt_u32_e32 vcc, v157, v173
	s_and_saveexec_b64 s[82:83], vcc
	s_cbranch_execz .LBB1152_202
.LBB1152_268:                           ;   in Loop: Header=BB1152_101 Depth=2
	global_load_dwordx2 v[19:20], v[37:38], off offset:2560
	s_or_b64 exec, exec, s[82:83]
	v_cmp_lt_u32_e32 vcc, v159, v173
	s_and_saveexec_b64 s[82:83], vcc
	s_cbranch_execz .LBB1152_203
.LBB1152_269:                           ;   in Loop: Header=BB1152_101 Depth=2
	global_load_dwordx2 v[15:16], v[37:38], off offset:3072
	s_or_b64 exec, exec, s[82:83]
	v_cmp_lt_u32_e32 vcc, v161, v173
	s_and_saveexec_b64 s[82:83], vcc
	s_cbranch_execz .LBB1152_204
.LBB1152_270:                           ;   in Loop: Header=BB1152_101 Depth=2
	global_load_dwordx2 v[11:12], v[37:38], off offset:3584
	s_or_b64 exec, exec, s[82:83]
	v_cmp_lt_u32_e32 vcc, v162, v173
	s_and_saveexec_b64 s[82:83], vcc
	s_cbranch_execz .LBB1152_205
.LBB1152_271:                           ;   in Loop: Header=BB1152_101 Depth=2
	v_add_co_u32_e32 v29, vcc, 0x1000, v37
	v_addc_co_u32_e32 v30, vcc, 0, v38, vcc
	global_load_dwordx2 v[29:30], v[29:30], off
	s_or_b64 exec, exec, s[82:83]
	v_cmp_lt_u32_e32 vcc, v163, v173
	s_and_saveexec_b64 s[82:83], vcc
	s_cbranch_execz .LBB1152_206
.LBB1152_272:                           ;   in Loop: Header=BB1152_101 Depth=2
	v_add_co_u32_e32 v25, vcc, 0x1000, v37
	v_addc_co_u32_e32 v26, vcc, 0, v38, vcc
	global_load_dwordx2 v[25:26], v[25:26], off offset:512
	s_or_b64 exec, exec, s[82:83]
	v_cmp_lt_u32_e32 vcc, v164, v173
	s_and_saveexec_b64 s[82:83], vcc
	s_cbranch_execz .LBB1152_207
.LBB1152_273:                           ;   in Loop: Header=BB1152_101 Depth=2
	v_add_co_u32_e32 v21, vcc, 0x1000, v37
	v_addc_co_u32_e32 v22, vcc, 0, v38, vcc
	global_load_dwordx2 v[21:22], v[21:22], off offset:1024
	s_or_b64 exec, exec, s[82:83]
	v_cmp_lt_u32_e32 vcc, v165, v173
	s_and_saveexec_b64 s[82:83], vcc
	s_cbranch_execz .LBB1152_208
.LBB1152_274:                           ;   in Loop: Header=BB1152_101 Depth=2
	v_add_co_u32_e32 v17, vcc, 0x1000, v37
	v_addc_co_u32_e32 v18, vcc, 0, v38, vcc
	global_load_dwordx2 v[17:18], v[17:18], off offset:1536
	s_or_b64 exec, exec, s[82:83]
	v_cmp_lt_u32_e32 vcc, v166, v173
	s_and_saveexec_b64 s[82:83], vcc
	s_cbranch_execz .LBB1152_209
.LBB1152_275:                           ;   in Loop: Header=BB1152_101 Depth=2
	v_add_co_u32_e32 v13, vcc, 0x1000, v37
	v_addc_co_u32_e32 v14, vcc, 0, v38, vcc
	global_load_dwordx2 v[13:14], v[13:14], off offset:2048
	s_or_b64 exec, exec, s[82:83]
	v_cmp_lt_u32_e32 vcc, v167, v173
	s_and_saveexec_b64 s[82:83], vcc
	s_cbranch_execz .LBB1152_210
.LBB1152_276:                           ;   in Loop: Header=BB1152_101 Depth=2
	v_add_co_u32_e32 v9, vcc, 0x1000, v37
	v_addc_co_u32_e32 v10, vcc, 0, v38, vcc
	global_load_dwordx2 v[9:10], v[9:10], off offset:2560
	s_or_b64 exec, exec, s[82:83]
	v_cmp_lt_u32_e32 vcc, v168, v173
	s_and_saveexec_b64 s[82:83], vcc
	s_cbranch_execz .LBB1152_211
.LBB1152_277:                           ;   in Loop: Header=BB1152_101 Depth=2
	v_add_co_u32_e32 v7, vcc, 0x1000, v37
	v_addc_co_u32_e32 v8, vcc, 0, v38, vcc
	global_load_dwordx2 v[7:8], v[7:8], off offset:3072
	s_or_b64 exec, exec, s[82:83]
	v_cmp_lt_u32_e32 vcc, v169, v173
	s_and_saveexec_b64 s[82:83], vcc
	s_cbranch_execz .LBB1152_212
.LBB1152_278:                           ;   in Loop: Header=BB1152_101 Depth=2
	v_add_co_u32_e32 v5, vcc, 0x1000, v37
	v_addc_co_u32_e32 v6, vcc, 0, v38, vcc
	global_load_dwordx2 v[5:6], v[5:6], off offset:3584
	s_or_b64 exec, exec, s[82:83]
	s_and_saveexec_b64 s[82:83], s[36:37]
	s_cbranch_execz .LBB1152_213
.LBB1152_279:                           ;   in Loop: Header=BB1152_101 Depth=2
	ds_read_b64 v[37:38], v104 offset:1024
	s_waitcnt lgkmcnt(0)
	v_cmp_ne_u64_e32 vcc, s[72:73], v[37:38]
	v_cndmask_b32_e32 v38, v133, v38, vcc
	v_cndmask_b32_e32 v37, -1, v37, vcc
	v_lshrrev_b64 v[37:38], s95, v[37:38]
	v_and_b32_e32 v160, s97, v37
	s_or_b64 exec, exec, s[82:83]
	s_and_saveexec_b64 s[82:83], s[38:39]
	s_cbranch_execz .LBB1152_214
.LBB1152_280:                           ;   in Loop: Header=BB1152_101 Depth=2
	ds_read_b64 v[37:38], v104 offset:3072
	s_waitcnt lgkmcnt(0)
	v_cmp_ne_u64_e32 vcc, s[72:73], v[37:38]
	v_cndmask_b32_e32 v38, v133, v38, vcc
	v_cndmask_b32_e32 v37, -1, v37, vcc
	v_lshrrev_b64 v[37:38], s95, v[37:38]
	v_and_b32_e32 v158, s97, v37
	s_or_b64 exec, exec, s[82:83]
	s_and_saveexec_b64 s[82:83], s[40:41]
	s_cbranch_execz .LBB1152_215
.LBB1152_281:                           ;   in Loop: Header=BB1152_101 Depth=2
	ds_read_b64 v[37:38], v104 offset:5120
	s_waitcnt lgkmcnt(0)
	v_cmp_ne_u64_e32 vcc, s[72:73], v[37:38]
	v_cndmask_b32_e32 v38, v133, v38, vcc
	v_cndmask_b32_e32 v37, -1, v37, vcc
	v_lshrrev_b64 v[37:38], s95, v[37:38]
	v_and_b32_e32 v156, s97, v37
	s_or_b64 exec, exec, s[82:83]
	s_and_saveexec_b64 s[82:83], s[42:43]
	s_cbranch_execz .LBB1152_216
.LBB1152_282:                           ;   in Loop: Header=BB1152_101 Depth=2
	ds_read_b64 v[37:38], v104 offset:7168
	s_waitcnt lgkmcnt(0)
	v_cmp_ne_u64_e32 vcc, s[72:73], v[37:38]
	v_cndmask_b32_e32 v38, v133, v38, vcc
	v_cndmask_b32_e32 v37, -1, v37, vcc
	v_lshrrev_b64 v[37:38], s95, v[37:38]
	v_and_b32_e32 v154, s97, v37
	s_or_b64 exec, exec, s[82:83]
	s_and_saveexec_b64 s[82:83], s[44:45]
	s_cbranch_execz .LBB1152_217
.LBB1152_283:                           ;   in Loop: Header=BB1152_101 Depth=2
	ds_read_b64 v[37:38], v104 offset:9216
	s_waitcnt lgkmcnt(0)
	v_cmp_ne_u64_e32 vcc, s[72:73], v[37:38]
	v_cndmask_b32_e32 v38, v133, v38, vcc
	v_cndmask_b32_e32 v37, -1, v37, vcc
	v_lshrrev_b64 v[37:38], s95, v[37:38]
	v_and_b32_e32 v152, s97, v37
	s_or_b64 exec, exec, s[82:83]
	s_and_saveexec_b64 s[82:83], s[46:47]
	s_cbranch_execz .LBB1152_218
.LBB1152_284:                           ;   in Loop: Header=BB1152_101 Depth=2
	ds_read_b64 v[37:38], v104 offset:11264
	s_waitcnt lgkmcnt(0)
	v_cmp_ne_u64_e32 vcc, s[72:73], v[37:38]
	v_cndmask_b32_e32 v38, v133, v38, vcc
	v_cndmask_b32_e32 v37, -1, v37, vcc
	v_lshrrev_b64 v[37:38], s95, v[37:38]
	v_and_b32_e32 v150, s97, v37
	s_or_b64 exec, exec, s[82:83]
	s_and_saveexec_b64 s[82:83], s[48:49]
	s_cbranch_execz .LBB1152_219
.LBB1152_285:                           ;   in Loop: Header=BB1152_101 Depth=2
	ds_read_b64 v[37:38], v104 offset:13312
	s_waitcnt lgkmcnt(0)
	v_cmp_ne_u64_e32 vcc, s[72:73], v[37:38]
	v_cndmask_b32_e32 v38, v133, v38, vcc
	v_cndmask_b32_e32 v37, -1, v37, vcc
	v_lshrrev_b64 v[37:38], s95, v[37:38]
	v_and_b32_e32 v148, s97, v37
	s_or_b64 exec, exec, s[82:83]
	s_and_saveexec_b64 s[82:83], s[50:51]
	s_cbranch_execz .LBB1152_220
.LBB1152_286:                           ;   in Loop: Header=BB1152_101 Depth=2
	ds_read_b64 v[37:38], v104 offset:15360
	s_waitcnt lgkmcnt(0)
	v_cmp_ne_u64_e32 vcc, s[72:73], v[37:38]
	v_cndmask_b32_e32 v38, v133, v38, vcc
	v_cndmask_b32_e32 v37, -1, v37, vcc
	v_lshrrev_b64 v[37:38], s95, v[37:38]
	v_and_b32_e32 v146, s97, v37
	s_or_b64 exec, exec, s[82:83]
	s_and_saveexec_b64 s[82:83], s[52:53]
	s_cbranch_execz .LBB1152_221
.LBB1152_287:                           ;   in Loop: Header=BB1152_101 Depth=2
	ds_read_b64 v[37:38], v104 offset:17408
	s_waitcnt lgkmcnt(0)
	v_cmp_ne_u64_e32 vcc, s[72:73], v[37:38]
	v_cndmask_b32_e32 v38, v133, v38, vcc
	v_cndmask_b32_e32 v37, -1, v37, vcc
	v_lshrrev_b64 v[37:38], s95, v[37:38]
	v_and_b32_e32 v144, s97, v37
	s_or_b64 exec, exec, s[82:83]
	s_and_saveexec_b64 s[82:83], s[54:55]
	s_cbranch_execz .LBB1152_222
.LBB1152_288:                           ;   in Loop: Header=BB1152_101 Depth=2
	ds_read_b64 v[37:38], v104 offset:19456
	s_waitcnt lgkmcnt(0)
	v_cmp_ne_u64_e32 vcc, s[72:73], v[37:38]
	v_cndmask_b32_e32 v38, v133, v38, vcc
	v_cndmask_b32_e32 v37, -1, v37, vcc
	v_lshrrev_b64 v[37:38], s95, v[37:38]
	v_and_b32_e32 v142, s97, v37
	s_or_b64 exec, exec, s[82:83]
	s_and_saveexec_b64 s[82:83], s[56:57]
	s_cbranch_execz .LBB1152_223
.LBB1152_289:                           ;   in Loop: Header=BB1152_101 Depth=2
	ds_read_b64 v[37:38], v104 offset:21504
	s_waitcnt lgkmcnt(0)
	v_cmp_ne_u64_e32 vcc, s[72:73], v[37:38]
	v_cndmask_b32_e32 v38, v133, v38, vcc
	v_cndmask_b32_e32 v37, -1, v37, vcc
	v_lshrrev_b64 v[37:38], s95, v[37:38]
	v_and_b32_e32 v141, s97, v37
	s_or_b64 exec, exec, s[82:83]
	s_and_saveexec_b64 s[82:83], s[58:59]
	s_cbranch_execz .LBB1152_224
.LBB1152_290:                           ;   in Loop: Header=BB1152_101 Depth=2
	ds_read_b64 v[37:38], v104 offset:23552
	s_waitcnt lgkmcnt(0)
	v_cmp_ne_u64_e32 vcc, s[72:73], v[37:38]
	v_cndmask_b32_e32 v38, v133, v38, vcc
	v_cndmask_b32_e32 v37, -1, v37, vcc
	v_lshrrev_b64 v[37:38], s95, v[37:38]
	v_and_b32_e32 v140, s97, v37
	s_or_b64 exec, exec, s[82:83]
	s_and_saveexec_b64 s[82:83], s[60:61]
	s_cbranch_execz .LBB1152_225
.LBB1152_291:                           ;   in Loop: Header=BB1152_101 Depth=2
	ds_read_b64 v[37:38], v104 offset:25600
	s_waitcnt lgkmcnt(0)
	v_cmp_ne_u64_e32 vcc, s[72:73], v[37:38]
	v_cndmask_b32_e32 v38, v133, v38, vcc
	v_cndmask_b32_e32 v37, -1, v37, vcc
	v_lshrrev_b64 v[37:38], s95, v[37:38]
	v_and_b32_e32 v139, s97, v37
	s_or_b64 exec, exec, s[82:83]
	s_and_saveexec_b64 s[82:83], s[62:63]
	s_cbranch_execz .LBB1152_226
.LBB1152_292:                           ;   in Loop: Header=BB1152_101 Depth=2
	ds_read_b64 v[37:38], v104 offset:27648
	s_waitcnt lgkmcnt(0)
	v_cmp_ne_u64_e32 vcc, s[72:73], v[37:38]
	v_cndmask_b32_e32 v38, v133, v38, vcc
	v_cndmask_b32_e32 v37, -1, v37, vcc
	v_lshrrev_b64 v[37:38], s95, v[37:38]
	v_and_b32_e32 v138, s97, v37
	s_or_b64 exec, exec, s[82:83]
	s_and_saveexec_b64 s[82:83], s[64:65]
	s_cbranch_execz .LBB1152_227
.LBB1152_293:                           ;   in Loop: Header=BB1152_101 Depth=2
	ds_read_b64 v[37:38], v104 offset:29696
	s_waitcnt lgkmcnt(0)
	v_cmp_ne_u64_e32 vcc, s[72:73], v[37:38]
	v_cndmask_b32_e32 v38, v133, v38, vcc
	v_cndmask_b32_e32 v37, -1, v37, vcc
	v_lshrrev_b64 v[37:38], s95, v[37:38]
	v_and_b32_e32 v137, s97, v37
	s_or_b64 exec, exec, s[82:83]
	s_and_saveexec_b64 s[82:83], s[66:67]
	s_cbranch_execnz .LBB1152_228
	s_branch .LBB1152_229
.LBB1152_294:                           ;   in Loop: Header=BB1152_101 Depth=2
	v_lshlrev_b32_e32 v37, 2, v160
	ds_read_b32 v39, v37
	ds_read_b64 v[37:38], v104 offset:1024
	v_mov_b32_e32 v40, v3
	v_mov_b32_e32 v41, s85
	s_waitcnt lgkmcnt(1)
	v_add_u32_e32 v39, v39, v0
	v_lshlrev_b64 v[39:40], 3, v[39:40]
	v_add_co_u32_e32 v39, vcc, s84, v39
	v_addc_co_u32_e32 v40, vcc, v41, v40, vcc
	s_waitcnt lgkmcnt(0)
	global_store_dwordx2 v[39:40], v[37:38], off
	s_or_b64 exec, exec, s[82:83]
	s_and_saveexec_b64 s[36:37], s[38:39]
	s_cbranch_execz .LBB1152_231
.LBB1152_295:                           ;   in Loop: Header=BB1152_101 Depth=2
	v_lshlrev_b32_e32 v37, 2, v158
	ds_read_b32 v39, v37
	ds_read_b64 v[37:38], v104 offset:3072
	v_mov_b32_e32 v40, v3
	v_mov_b32_e32 v41, s85
	s_waitcnt lgkmcnt(1)
	v_add_u32_e32 v39, v39, v74
	v_lshlrev_b64 v[39:40], 3, v[39:40]
	v_add_co_u32_e32 v39, vcc, s84, v39
	v_addc_co_u32_e32 v40, vcc, v41, v40, vcc
	s_waitcnt lgkmcnt(0)
	global_store_dwordx2 v[39:40], v[37:38], off
	s_or_b64 exec, exec, s[36:37]
	s_and_saveexec_b64 s[36:37], s[40:41]
	s_cbranch_execz .LBB1152_232
.LBB1152_296:                           ;   in Loop: Header=BB1152_101 Depth=2
	v_lshlrev_b32_e32 v37, 2, v156
	ds_read_b32 v39, v37
	ds_read_b64 v[37:38], v104 offset:5120
	v_mov_b32_e32 v40, v3
	v_mov_b32_e32 v41, s85
	s_waitcnt lgkmcnt(1)
	v_add_u32_e32 v39, v39, v75
	v_lshlrev_b64 v[39:40], 3, v[39:40]
	v_add_co_u32_e32 v39, vcc, s84, v39
	v_addc_co_u32_e32 v40, vcc, v41, v40, vcc
	s_waitcnt lgkmcnt(0)
	global_store_dwordx2 v[39:40], v[37:38], off
	s_or_b64 exec, exec, s[36:37]
	s_and_saveexec_b64 s[36:37], s[42:43]
	s_cbranch_execz .LBB1152_233
.LBB1152_297:                           ;   in Loop: Header=BB1152_101 Depth=2
	v_lshlrev_b32_e32 v37, 2, v154
	ds_read_b32 v39, v37
	ds_read_b64 v[37:38], v104 offset:7168
	v_mov_b32_e32 v40, v3
	v_mov_b32_e32 v41, s85
	s_waitcnt lgkmcnt(1)
	v_add_u32_e32 v39, v39, v76
	v_lshlrev_b64 v[39:40], 3, v[39:40]
	v_add_co_u32_e32 v39, vcc, s84, v39
	v_addc_co_u32_e32 v40, vcc, v41, v40, vcc
	s_waitcnt lgkmcnt(0)
	global_store_dwordx2 v[39:40], v[37:38], off
	s_or_b64 exec, exec, s[36:37]
	s_and_saveexec_b64 s[36:37], s[44:45]
	s_cbranch_execz .LBB1152_234
.LBB1152_298:                           ;   in Loop: Header=BB1152_101 Depth=2
	v_lshlrev_b32_e32 v37, 2, v152
	ds_read_b32 v39, v37
	ds_read_b64 v[37:38], v104 offset:9216
	v_mov_b32_e32 v40, v3
	v_mov_b32_e32 v41, s85
	s_waitcnt lgkmcnt(1)
	v_add_u32_e32 v39, v39, v79
	v_lshlrev_b64 v[39:40], 3, v[39:40]
	v_add_co_u32_e32 v39, vcc, s84, v39
	v_addc_co_u32_e32 v40, vcc, v41, v40, vcc
	s_waitcnt lgkmcnt(0)
	global_store_dwordx2 v[39:40], v[37:38], off
	s_or_b64 exec, exec, s[36:37]
	s_and_saveexec_b64 s[36:37], s[46:47]
	s_cbranch_execz .LBB1152_235
.LBB1152_299:                           ;   in Loop: Header=BB1152_101 Depth=2
	v_lshlrev_b32_e32 v37, 2, v150
	ds_read_b32 v39, v37
	ds_read_b64 v[37:38], v104 offset:11264
	v_mov_b32_e32 v40, v3
	v_mov_b32_e32 v41, s85
	s_waitcnt lgkmcnt(1)
	v_add_u32_e32 v39, v39, v80
	v_lshlrev_b64 v[39:40], 3, v[39:40]
	v_add_co_u32_e32 v39, vcc, s84, v39
	v_addc_co_u32_e32 v40, vcc, v41, v40, vcc
	s_waitcnt lgkmcnt(0)
	global_store_dwordx2 v[39:40], v[37:38], off
	s_or_b64 exec, exec, s[36:37]
	s_and_saveexec_b64 s[36:37], s[48:49]
	s_cbranch_execz .LBB1152_236
.LBB1152_300:                           ;   in Loop: Header=BB1152_101 Depth=2
	v_lshlrev_b32_e32 v37, 2, v148
	ds_read_b32 v39, v37
	ds_read_b64 v[37:38], v104 offset:13312
	v_mov_b32_e32 v40, v3
	v_mov_b32_e32 v41, s85
	s_waitcnt lgkmcnt(1)
	v_add_u32_e32 v39, v39, v81
	v_lshlrev_b64 v[39:40], 3, v[39:40]
	v_add_co_u32_e32 v39, vcc, s84, v39
	v_addc_co_u32_e32 v40, vcc, v41, v40, vcc
	s_waitcnt lgkmcnt(0)
	global_store_dwordx2 v[39:40], v[37:38], off
	s_or_b64 exec, exec, s[36:37]
	s_and_saveexec_b64 s[36:37], s[50:51]
	s_cbranch_execz .LBB1152_237
.LBB1152_301:                           ;   in Loop: Header=BB1152_101 Depth=2
	v_lshlrev_b32_e32 v37, 2, v146
	ds_read_b32 v39, v37
	ds_read_b64 v[37:38], v104 offset:15360
	v_mov_b32_e32 v40, v3
	v_mov_b32_e32 v41, s85
	s_waitcnt lgkmcnt(1)
	v_add_u32_e32 v39, v39, v82
	v_lshlrev_b64 v[39:40], 3, v[39:40]
	v_add_co_u32_e32 v39, vcc, s84, v39
	v_addc_co_u32_e32 v40, vcc, v41, v40, vcc
	s_waitcnt lgkmcnt(0)
	global_store_dwordx2 v[39:40], v[37:38], off
	s_or_b64 exec, exec, s[36:37]
	s_and_saveexec_b64 s[36:37], s[52:53]
	s_cbranch_execz .LBB1152_238
.LBB1152_302:                           ;   in Loop: Header=BB1152_101 Depth=2
	v_lshlrev_b32_e32 v37, 2, v144
	ds_read_b32 v39, v37
	ds_read_b64 v[37:38], v104 offset:17408
	v_mov_b32_e32 v40, v3
	v_mov_b32_e32 v41, s85
	s_waitcnt lgkmcnt(1)
	v_add_u32_e32 v39, v39, v83
	v_lshlrev_b64 v[39:40], 3, v[39:40]
	v_add_co_u32_e32 v39, vcc, s84, v39
	v_addc_co_u32_e32 v40, vcc, v41, v40, vcc
	s_waitcnt lgkmcnt(0)
	global_store_dwordx2 v[39:40], v[37:38], off
	s_or_b64 exec, exec, s[36:37]
	s_and_saveexec_b64 s[36:37], s[54:55]
	s_cbranch_execz .LBB1152_239
.LBB1152_303:                           ;   in Loop: Header=BB1152_101 Depth=2
	v_lshlrev_b32_e32 v37, 2, v142
	ds_read_b32 v39, v37
	ds_read_b64 v[37:38], v104 offset:19456
	v_mov_b32_e32 v40, v3
	v_mov_b32_e32 v41, s85
	s_waitcnt lgkmcnt(1)
	v_add_u32_e32 v39, v39, v84
	v_lshlrev_b64 v[39:40], 3, v[39:40]
	v_add_co_u32_e32 v39, vcc, s84, v39
	v_addc_co_u32_e32 v40, vcc, v41, v40, vcc
	s_waitcnt lgkmcnt(0)
	global_store_dwordx2 v[39:40], v[37:38], off
	s_or_b64 exec, exec, s[36:37]
	s_and_saveexec_b64 s[36:37], s[56:57]
	s_cbranch_execz .LBB1152_240
.LBB1152_304:                           ;   in Loop: Header=BB1152_101 Depth=2
	v_lshlrev_b32_e32 v37, 2, v141
	ds_read_b32 v39, v37
	ds_read_b64 v[37:38], v104 offset:21504
	v_mov_b32_e32 v40, v3
	v_mov_b32_e32 v41, s85
	s_waitcnt lgkmcnt(1)
	v_add_u32_e32 v39, v39, v85
	v_lshlrev_b64 v[39:40], 3, v[39:40]
	v_add_co_u32_e32 v39, vcc, s84, v39
	v_addc_co_u32_e32 v40, vcc, v41, v40, vcc
	s_waitcnt lgkmcnt(0)
	global_store_dwordx2 v[39:40], v[37:38], off
	s_or_b64 exec, exec, s[36:37]
	s_and_saveexec_b64 s[36:37], s[58:59]
	s_cbranch_execz .LBB1152_241
.LBB1152_305:                           ;   in Loop: Header=BB1152_101 Depth=2
	v_lshlrev_b32_e32 v37, 2, v140
	ds_read_b32 v39, v37
	ds_read_b64 v[37:38], v104 offset:23552
	v_mov_b32_e32 v40, v3
	v_mov_b32_e32 v41, s85
	s_waitcnt lgkmcnt(1)
	v_add_u32_e32 v39, v39, v86
	v_lshlrev_b64 v[39:40], 3, v[39:40]
	v_add_co_u32_e32 v39, vcc, s84, v39
	v_addc_co_u32_e32 v40, vcc, v41, v40, vcc
	s_waitcnt lgkmcnt(0)
	global_store_dwordx2 v[39:40], v[37:38], off
	s_or_b64 exec, exec, s[36:37]
	s_and_saveexec_b64 s[36:37], s[60:61]
	s_cbranch_execz .LBB1152_242
.LBB1152_306:                           ;   in Loop: Header=BB1152_101 Depth=2
	v_lshlrev_b32_e32 v37, 2, v139
	ds_read_b32 v39, v37
	ds_read_b64 v[37:38], v104 offset:25600
	v_mov_b32_e32 v40, v3
	v_mov_b32_e32 v41, s85
	s_waitcnt lgkmcnt(1)
	v_add_u32_e32 v39, v39, v87
	v_lshlrev_b64 v[39:40], 3, v[39:40]
	v_add_co_u32_e32 v39, vcc, s84, v39
	v_addc_co_u32_e32 v40, vcc, v41, v40, vcc
	s_waitcnt lgkmcnt(0)
	global_store_dwordx2 v[39:40], v[37:38], off
	s_or_b64 exec, exec, s[36:37]
	s_and_saveexec_b64 s[36:37], s[62:63]
	s_cbranch_execz .LBB1152_243
.LBB1152_307:                           ;   in Loop: Header=BB1152_101 Depth=2
	v_lshlrev_b32_e32 v37, 2, v138
	ds_read_b32 v39, v37
	ds_read_b64 v[37:38], v104 offset:27648
	v_mov_b32_e32 v40, v3
	v_mov_b32_e32 v41, s85
	s_waitcnt lgkmcnt(1)
	v_add_u32_e32 v39, v39, v88
	v_lshlrev_b64 v[39:40], 3, v[39:40]
	v_add_co_u32_e32 v39, vcc, s84, v39
	v_addc_co_u32_e32 v40, vcc, v41, v40, vcc
	s_waitcnt lgkmcnt(0)
	global_store_dwordx2 v[39:40], v[37:38], off
	s_or_b64 exec, exec, s[36:37]
	s_and_saveexec_b64 s[36:37], s[64:65]
	s_cbranch_execz .LBB1152_244
.LBB1152_308:                           ;   in Loop: Header=BB1152_101 Depth=2
	v_lshlrev_b32_e32 v37, 2, v137
	ds_read_b32 v39, v37
	ds_read_b64 v[37:38], v104 offset:29696
	v_mov_b32_e32 v40, v3
	v_mov_b32_e32 v41, s85
	s_waitcnt lgkmcnt(1)
	v_add_u32_e32 v39, v39, v89
	v_lshlrev_b64 v[39:40], 3, v[39:40]
	v_add_co_u32_e32 v39, vcc, s84, v39
	v_addc_co_u32_e32 v40, vcc, v41, v40, vcc
	s_waitcnt lgkmcnt(0)
	global_store_dwordx2 v[39:40], v[37:38], off
	s_or_b64 exec, exec, s[36:37]
	s_and_saveexec_b64 s[36:37], s[66:67]
	s_cbranch_execnz .LBB1152_245
	s_branch .LBB1152_246
.LBB1152_309:                           ;   in Loop: Header=BB1152_17 Depth=1
	s_waitcnt lgkmcnt(0)
	s_barrier
	s_mov_b64 s[16:17], 0
.LBB1152_310:                           ;   in Loop: Header=BB1152_17 Depth=1
	s_and_b64 vcc, exec, s[16:17]
	s_cbranch_vccz .LBB1152_602
; %bb.311:                              ;   in Loop: Header=BB1152_17 Depth=1
	s_mov_b32 s20, s91
	s_mov_b32 s16, s69
	s_barrier
                                        ; implicit-def: $vgpr4_vgpr5
                                        ; implicit-def: $vgpr6_vgpr7
                                        ; implicit-def: $vgpr8_vgpr9
                                        ; implicit-def: $vgpr10_vgpr11
                                        ; implicit-def: $vgpr12_vgpr13
                                        ; implicit-def: $vgpr14_vgpr15
                                        ; implicit-def: $vgpr16_vgpr17
                                        ; implicit-def: $vgpr18_vgpr19
                                        ; implicit-def: $vgpr20_vgpr21
                                        ; implicit-def: $vgpr22_vgpr23
                                        ; implicit-def: $vgpr24_vgpr25
                                        ; implicit-def: $vgpr26_vgpr27
                                        ; implicit-def: $vgpr28_vgpr29
                                        ; implicit-def: $vgpr30_vgpr31
                                        ; implicit-def: $vgpr32_vgpr33
                                        ; implicit-def: $vgpr34_vgpr35
	s_branch .LBB1152_313
.LBB1152_312:                           ;   in Loop: Header=BB1152_313 Depth=2
	s_or_b64 exec, exec, s[16:17]
	s_addk_i32 s20, 0xf000
	s_cmp_ge_u32 s21, s94
	s_mov_b32 s16, s21
	s_cbranch_scc1 .LBB1152_381
.LBB1152_313:                           ;   Parent Loop BB1152_17 Depth=1
                                        ; =>  This Inner Loop Header: Depth=2
	s_add_i32 s21, s16, 0x1000
	s_cmp_gt_u32 s21, s94
	s_mov_b64 s[18:19], -1
                                        ; implicit-def: $vgpr36_vgpr37
                                        ; implicit-def: $vgpr38_vgpr39
                                        ; implicit-def: $vgpr40_vgpr41
                                        ; implicit-def: $vgpr42_vgpr43
                                        ; implicit-def: $vgpr44_vgpr45
                                        ; implicit-def: $vgpr46_vgpr47
                                        ; implicit-def: $vgpr48_vgpr49
                                        ; implicit-def: $vgpr50_vgpr51
                                        ; implicit-def: $vgpr52_vgpr53
                                        ; implicit-def: $vgpr54_vgpr55
                                        ; implicit-def: $vgpr56_vgpr57
                                        ; implicit-def: $vgpr58_vgpr59
                                        ; implicit-def: $vgpr60_vgpr61
                                        ; implicit-def: $vgpr62_vgpr63
                                        ; implicit-def: $vgpr64_vgpr65
                                        ; implicit-def: $vgpr66_vgpr67
	s_cbranch_scc1 .LBB1152_315
; %bb.314:                              ;   in Loop: Header=BB1152_313 Depth=2
	s_mov_b32 s17, s72
	s_lshl_b64 s[18:19], s[16:17], 3
	v_mov_b32_e32 v36, s19
	v_add_co_u32_e32 v60, vcc, s18, v105
	v_addc_co_u32_e32 v61, vcc, v106, v36, vcc
	v_add_co_u32_e32 v44, vcc, 0x1000, v60
	v_addc_co_u32_e32 v45, vcc, 0, v61, vcc
	;; [unrolled: 2-line block ×6, first 2 shown]
	global_load_dwordx2 v[36:37], v[60:61], off
	global_load_dwordx2 v[38:39], v[60:61], off offset:2048
	global_load_dwordx2 v[40:41], v[44:45], off
	global_load_dwordx2 v[42:43], v[44:45], off offset:2048
	s_nop 0
	global_load_dwordx2 v[44:45], v[52:53], off
	global_load_dwordx2 v[46:47], v[52:53], off offset:2048
	global_load_dwordx2 v[48:49], v[54:55], off
	global_load_dwordx2 v[50:51], v[54:55], off offset:2048
	s_nop 0
	global_load_dwordx2 v[52:53], v[62:63], off
	global_load_dwordx2 v[54:55], v[62:63], off offset:2048
	global_load_dwordx2 v[56:57], v[64:65], off
	global_load_dwordx2 v[58:59], v[64:65], off offset:2048
	v_add_co_u32_e32 v62, vcc, 0x6000, v60
	v_addc_co_u32_e32 v63, vcc, 0, v61, vcc
	v_add_co_u32_e32 v66, vcc, 0x7000, v60
	v_addc_co_u32_e32 v67, vcc, 0, v61, vcc
	global_load_dwordx2 v[60:61], v[62:63], off
	s_nop 0
	global_load_dwordx2 v[62:63], v[62:63], off offset:2048
	s_nop 0
	global_load_dwordx2 v[64:65], v[66:67], off
	s_nop 0
	global_load_dwordx2 v[66:67], v[66:67], off offset:2048
	s_mov_b64 s[18:19], 0
.LBB1152_315:                           ;   in Loop: Header=BB1152_313 Depth=2
	s_andn2_b64 vcc, exec, s[18:19]
	s_movk_i32 s18, 0x1000
	s_cbranch_vccnz .LBB1152_334
; %bb.316:                              ;   in Loop: Header=BB1152_313 Depth=2
	s_mov_b32 s17, s72
	s_lshl_b64 s[16:17], s[16:17], 3
	s_add_u32 s16, s78, s16
	s_addc_u32 s17, s79, s17
	v_cmp_gt_u32_e32 vcc, s20, v0
	s_and_saveexec_b64 s[18:19], vcc
	s_cbranch_execnz .LBB1152_366
; %bb.317:                              ;   in Loop: Header=BB1152_313 Depth=2
	s_or_b64 exec, exec, s[18:19]
	v_cmp_gt_u32_e32 vcc, s20, v74
	s_and_saveexec_b64 s[18:19], vcc
	s_cbranch_execnz .LBB1152_367
.LBB1152_318:                           ;   in Loop: Header=BB1152_313 Depth=2
	s_or_b64 exec, exec, s[18:19]
	v_cmp_gt_u32_e32 vcc, s20, v75
	s_and_saveexec_b64 s[18:19], vcc
	s_cbranch_execnz .LBB1152_368
.LBB1152_319:                           ;   in Loop: Header=BB1152_313 Depth=2
	s_or_b64 exec, exec, s[18:19]
	v_cmp_gt_u32_e32 vcc, s20, v76
	s_and_saveexec_b64 s[18:19], vcc
	s_cbranch_execnz .LBB1152_369
.LBB1152_320:                           ;   in Loop: Header=BB1152_313 Depth=2
	s_or_b64 exec, exec, s[18:19]
	v_cmp_gt_u32_e32 vcc, s20, v79
	s_and_saveexec_b64 s[18:19], vcc
	s_cbranch_execnz .LBB1152_370
.LBB1152_321:                           ;   in Loop: Header=BB1152_313 Depth=2
	s_or_b64 exec, exec, s[18:19]
	v_cmp_gt_u32_e32 vcc, s20, v80
	s_and_saveexec_b64 s[18:19], vcc
	s_cbranch_execnz .LBB1152_371
.LBB1152_322:                           ;   in Loop: Header=BB1152_313 Depth=2
	s_or_b64 exec, exec, s[18:19]
	v_cmp_gt_u32_e32 vcc, s20, v81
	s_and_saveexec_b64 s[18:19], vcc
	s_cbranch_execnz .LBB1152_372
.LBB1152_323:                           ;   in Loop: Header=BB1152_313 Depth=2
	s_or_b64 exec, exec, s[18:19]
	v_cmp_gt_u32_e32 vcc, s20, v82
	s_and_saveexec_b64 s[18:19], vcc
	s_cbranch_execnz .LBB1152_373
.LBB1152_324:                           ;   in Loop: Header=BB1152_313 Depth=2
	s_or_b64 exec, exec, s[18:19]
	v_cmp_gt_u32_e32 vcc, s20, v83
	s_and_saveexec_b64 s[18:19], vcc
	s_cbranch_execnz .LBB1152_374
.LBB1152_325:                           ;   in Loop: Header=BB1152_313 Depth=2
	s_or_b64 exec, exec, s[18:19]
	v_cmp_gt_u32_e32 vcc, s20, v84
	s_and_saveexec_b64 s[18:19], vcc
	s_cbranch_execnz .LBB1152_375
.LBB1152_326:                           ;   in Loop: Header=BB1152_313 Depth=2
	s_or_b64 exec, exec, s[18:19]
	v_cmp_gt_u32_e32 vcc, s20, v85
	s_and_saveexec_b64 s[18:19], vcc
	s_cbranch_execnz .LBB1152_376
.LBB1152_327:                           ;   in Loop: Header=BB1152_313 Depth=2
	s_or_b64 exec, exec, s[18:19]
	v_cmp_gt_u32_e32 vcc, s20, v86
	s_and_saveexec_b64 s[18:19], vcc
	s_cbranch_execnz .LBB1152_377
.LBB1152_328:                           ;   in Loop: Header=BB1152_313 Depth=2
	s_or_b64 exec, exec, s[18:19]
	v_cmp_gt_u32_e32 vcc, s20, v87
	s_and_saveexec_b64 s[18:19], vcc
	s_cbranch_execnz .LBB1152_378
.LBB1152_329:                           ;   in Loop: Header=BB1152_313 Depth=2
	s_or_b64 exec, exec, s[18:19]
	v_cmp_gt_u32_e32 vcc, s20, v88
	s_and_saveexec_b64 s[18:19], vcc
	s_cbranch_execnz .LBB1152_379
.LBB1152_330:                           ;   in Loop: Header=BB1152_313 Depth=2
	s_or_b64 exec, exec, s[18:19]
	v_cmp_gt_u32_e32 vcc, s20, v89
	s_and_saveexec_b64 s[18:19], vcc
	s_cbranch_execnz .LBB1152_380
.LBB1152_331:                           ;   in Loop: Header=BB1152_313 Depth=2
	s_or_b64 exec, exec, s[18:19]
	v_cmp_gt_u32_e32 vcc, s20, v90
	s_and_saveexec_b64 s[18:19], vcc
	s_cbranch_execz .LBB1152_333
.LBB1152_332:                           ;   in Loop: Header=BB1152_313 Depth=2
	global_load_dwordx2 v[4:5], v132, s[16:17]
.LBB1152_333:                           ;   in Loop: Header=BB1152_313 Depth=2
	s_or_b64 exec, exec, s[18:19]
	s_waitcnt vmcnt(0)
	v_mov_b32_e32 v37, v35
	v_mov_b32_e32 v39, v33
	;; [unrolled: 1-line block ×16, first 2 shown]
	s_mov_b32 s18, s20
	v_mov_b32_e32 v36, v34
	v_mov_b32_e32 v38, v32
	;; [unrolled: 1-line block ×16, first 2 shown]
.LBB1152_334:                           ;   in Loop: Header=BB1152_313 Depth=2
	s_waitcnt vmcnt(0)
	v_mov_b32_e32 v4, v66
	v_mov_b32_e32 v6, v64
	;; [unrolled: 1-line block ×32, first 2 shown]
	v_cmp_gt_u32_e32 vcc, s18, v0
	s_and_saveexec_b64 s[16:17], vcc
	s_cbranch_execnz .LBB1152_350
; %bb.335:                              ;   in Loop: Header=BB1152_313 Depth=2
	s_or_b64 exec, exec, s[16:17]
	v_cmp_gt_u32_e32 vcc, s18, v74
	s_and_saveexec_b64 s[16:17], vcc
	s_cbranch_execnz .LBB1152_351
.LBB1152_336:                           ;   in Loop: Header=BB1152_313 Depth=2
	s_or_b64 exec, exec, s[16:17]
	v_cmp_gt_u32_e32 vcc, s18, v75
	s_and_saveexec_b64 s[16:17], vcc
	s_cbranch_execnz .LBB1152_352
.LBB1152_337:                           ;   in Loop: Header=BB1152_313 Depth=2
	s_or_b64 exec, exec, s[16:17]
	v_cmp_gt_u32_e32 vcc, s18, v76
	s_and_saveexec_b64 s[16:17], vcc
	s_cbranch_execnz .LBB1152_353
.LBB1152_338:                           ;   in Loop: Header=BB1152_313 Depth=2
	s_or_b64 exec, exec, s[16:17]
	v_cmp_gt_u32_e32 vcc, s18, v79
	s_and_saveexec_b64 s[16:17], vcc
	s_cbranch_execnz .LBB1152_354
.LBB1152_339:                           ;   in Loop: Header=BB1152_313 Depth=2
	s_or_b64 exec, exec, s[16:17]
	v_cmp_gt_u32_e32 vcc, s18, v80
	s_and_saveexec_b64 s[16:17], vcc
	s_cbranch_execnz .LBB1152_355
.LBB1152_340:                           ;   in Loop: Header=BB1152_313 Depth=2
	s_or_b64 exec, exec, s[16:17]
	v_cmp_gt_u32_e32 vcc, s18, v81
	s_and_saveexec_b64 s[16:17], vcc
	s_cbranch_execnz .LBB1152_356
.LBB1152_341:                           ;   in Loop: Header=BB1152_313 Depth=2
	s_or_b64 exec, exec, s[16:17]
	v_cmp_gt_u32_e32 vcc, s18, v82
	s_and_saveexec_b64 s[16:17], vcc
	s_cbranch_execnz .LBB1152_357
.LBB1152_342:                           ;   in Loop: Header=BB1152_313 Depth=2
	s_or_b64 exec, exec, s[16:17]
	v_cmp_gt_u32_e32 vcc, s18, v83
	s_and_saveexec_b64 s[16:17], vcc
	s_cbranch_execnz .LBB1152_358
.LBB1152_343:                           ;   in Loop: Header=BB1152_313 Depth=2
	s_or_b64 exec, exec, s[16:17]
	v_cmp_gt_u32_e32 vcc, s18, v84
	s_and_saveexec_b64 s[16:17], vcc
	s_cbranch_execnz .LBB1152_359
.LBB1152_344:                           ;   in Loop: Header=BB1152_313 Depth=2
	s_or_b64 exec, exec, s[16:17]
	v_cmp_gt_u32_e32 vcc, s18, v85
	s_and_saveexec_b64 s[16:17], vcc
	s_cbranch_execnz .LBB1152_360
.LBB1152_345:                           ;   in Loop: Header=BB1152_313 Depth=2
	s_or_b64 exec, exec, s[16:17]
	v_cmp_gt_u32_e32 vcc, s18, v86
	s_and_saveexec_b64 s[16:17], vcc
	s_cbranch_execnz .LBB1152_361
.LBB1152_346:                           ;   in Loop: Header=BB1152_313 Depth=2
	s_or_b64 exec, exec, s[16:17]
	v_cmp_gt_u32_e32 vcc, s18, v87
	s_and_saveexec_b64 s[16:17], vcc
	s_cbranch_execnz .LBB1152_362
.LBB1152_347:                           ;   in Loop: Header=BB1152_313 Depth=2
	s_or_b64 exec, exec, s[16:17]
	v_cmp_gt_u32_e32 vcc, s18, v88
	s_and_saveexec_b64 s[16:17], vcc
	s_cbranch_execnz .LBB1152_363
.LBB1152_348:                           ;   in Loop: Header=BB1152_313 Depth=2
	s_or_b64 exec, exec, s[16:17]
	v_cmp_gt_u32_e32 vcc, s18, v89
	s_and_saveexec_b64 s[16:17], vcc
	s_cbranch_execnz .LBB1152_364
.LBB1152_349:                           ;   in Loop: Header=BB1152_313 Depth=2
	s_or_b64 exec, exec, s[16:17]
	v_cmp_gt_u32_e32 vcc, s18, v90
	s_and_saveexec_b64 s[16:17], vcc
	s_cbranch_execz .LBB1152_312
	s_branch .LBB1152_365
.LBB1152_350:                           ;   in Loop: Header=BB1152_313 Depth=2
	v_cmp_gt_i64_e32 vcc, 0, v[34:35]
	v_ashrrev_i32_e32 v37, 31, v35
	v_cndmask_b32_e64 v36, v133, 0, vcc
	v_not_b32_e32 v38, v37
	v_xor_b32_e32 v37, v36, v35
	v_xor_b32_e32 v36, v38, v34
	v_cmp_ne_u64_e32 vcc, s[72:73], v[36:37]
	v_cndmask_b32_e32 v37, v133, v37, vcc
	v_cndmask_b32_e32 v36, -1, v36, vcc
	v_lshrrev_b64 v[36:37], s95, v[36:37]
	v_and_b32_e32 v36, s97, v36
	v_lshl_or_b32 v36, v36, 4, v91
	ds_add_u32 v36, v117
	s_or_b64 exec, exec, s[16:17]
	v_cmp_gt_u32_e32 vcc, s18, v74
	s_and_saveexec_b64 s[16:17], vcc
	s_cbranch_execz .LBB1152_336
.LBB1152_351:                           ;   in Loop: Header=BB1152_313 Depth=2
	v_cmp_gt_i64_e32 vcc, 0, v[32:33]
	v_ashrrev_i32_e32 v37, 31, v33
	v_cndmask_b32_e64 v36, v133, 0, vcc
	v_not_b32_e32 v38, v37
	v_xor_b32_e32 v37, v36, v33
	v_xor_b32_e32 v36, v38, v32
	v_cmp_ne_u64_e32 vcc, s[72:73], v[36:37]
	v_cndmask_b32_e32 v37, v133, v37, vcc
	v_cndmask_b32_e32 v36, -1, v36, vcc
	v_lshrrev_b64 v[36:37], s95, v[36:37]
	v_and_b32_e32 v36, s97, v36
	v_lshl_or_b32 v36, v36, 4, v91
	ds_add_u32 v36, v117
	s_or_b64 exec, exec, s[16:17]
	v_cmp_gt_u32_e32 vcc, s18, v75
	s_and_saveexec_b64 s[16:17], vcc
	s_cbranch_execz .LBB1152_337
.LBB1152_352:                           ;   in Loop: Header=BB1152_313 Depth=2
	v_cmp_gt_i64_e32 vcc, 0, v[30:31]
	v_ashrrev_i32_e32 v37, 31, v31
	v_cndmask_b32_e64 v36, v133, 0, vcc
	v_not_b32_e32 v38, v37
	v_xor_b32_e32 v37, v36, v31
	v_xor_b32_e32 v36, v38, v30
	v_cmp_ne_u64_e32 vcc, s[72:73], v[36:37]
	v_cndmask_b32_e32 v37, v133, v37, vcc
	v_cndmask_b32_e32 v36, -1, v36, vcc
	v_lshrrev_b64 v[36:37], s95, v[36:37]
	v_and_b32_e32 v36, s97, v36
	v_lshl_or_b32 v36, v36, 4, v91
	ds_add_u32 v36, v117
	s_or_b64 exec, exec, s[16:17]
	v_cmp_gt_u32_e32 vcc, s18, v76
	s_and_saveexec_b64 s[16:17], vcc
	s_cbranch_execz .LBB1152_338
.LBB1152_353:                           ;   in Loop: Header=BB1152_313 Depth=2
	v_cmp_gt_i64_e32 vcc, 0, v[28:29]
	v_ashrrev_i32_e32 v37, 31, v29
	v_cndmask_b32_e64 v36, v133, 0, vcc
	v_not_b32_e32 v38, v37
	v_xor_b32_e32 v37, v36, v29
	v_xor_b32_e32 v36, v38, v28
	v_cmp_ne_u64_e32 vcc, s[72:73], v[36:37]
	v_cndmask_b32_e32 v37, v133, v37, vcc
	v_cndmask_b32_e32 v36, -1, v36, vcc
	v_lshrrev_b64 v[36:37], s95, v[36:37]
	v_and_b32_e32 v36, s97, v36
	v_lshl_or_b32 v36, v36, 4, v91
	ds_add_u32 v36, v117
	s_or_b64 exec, exec, s[16:17]
	v_cmp_gt_u32_e32 vcc, s18, v79
	s_and_saveexec_b64 s[16:17], vcc
	s_cbranch_execz .LBB1152_339
.LBB1152_354:                           ;   in Loop: Header=BB1152_313 Depth=2
	v_cmp_gt_i64_e32 vcc, 0, v[26:27]
	v_ashrrev_i32_e32 v37, 31, v27
	v_cndmask_b32_e64 v36, v133, 0, vcc
	v_not_b32_e32 v38, v37
	v_xor_b32_e32 v37, v36, v27
	v_xor_b32_e32 v36, v38, v26
	v_cmp_ne_u64_e32 vcc, s[72:73], v[36:37]
	v_cndmask_b32_e32 v37, v133, v37, vcc
	v_cndmask_b32_e32 v36, -1, v36, vcc
	v_lshrrev_b64 v[36:37], s95, v[36:37]
	v_and_b32_e32 v36, s97, v36
	v_lshl_or_b32 v36, v36, 4, v91
	ds_add_u32 v36, v117
	s_or_b64 exec, exec, s[16:17]
	v_cmp_gt_u32_e32 vcc, s18, v80
	s_and_saveexec_b64 s[16:17], vcc
	s_cbranch_execz .LBB1152_340
.LBB1152_355:                           ;   in Loop: Header=BB1152_313 Depth=2
	v_cmp_gt_i64_e32 vcc, 0, v[24:25]
	v_ashrrev_i32_e32 v37, 31, v25
	v_cndmask_b32_e64 v36, v133, 0, vcc
	v_not_b32_e32 v38, v37
	v_xor_b32_e32 v37, v36, v25
	v_xor_b32_e32 v36, v38, v24
	v_cmp_ne_u64_e32 vcc, s[72:73], v[36:37]
	v_cndmask_b32_e32 v37, v133, v37, vcc
	v_cndmask_b32_e32 v36, -1, v36, vcc
	v_lshrrev_b64 v[36:37], s95, v[36:37]
	v_and_b32_e32 v36, s97, v36
	v_lshl_or_b32 v36, v36, 4, v91
	ds_add_u32 v36, v117
	s_or_b64 exec, exec, s[16:17]
	v_cmp_gt_u32_e32 vcc, s18, v81
	s_and_saveexec_b64 s[16:17], vcc
	s_cbranch_execz .LBB1152_341
.LBB1152_356:                           ;   in Loop: Header=BB1152_313 Depth=2
	v_cmp_gt_i64_e32 vcc, 0, v[22:23]
	v_ashrrev_i32_e32 v37, 31, v23
	v_cndmask_b32_e64 v36, v133, 0, vcc
	v_not_b32_e32 v38, v37
	v_xor_b32_e32 v37, v36, v23
	v_xor_b32_e32 v36, v38, v22
	v_cmp_ne_u64_e32 vcc, s[72:73], v[36:37]
	v_cndmask_b32_e32 v37, v133, v37, vcc
	v_cndmask_b32_e32 v36, -1, v36, vcc
	v_lshrrev_b64 v[36:37], s95, v[36:37]
	v_and_b32_e32 v36, s97, v36
	v_lshl_or_b32 v36, v36, 4, v91
	ds_add_u32 v36, v117
	s_or_b64 exec, exec, s[16:17]
	v_cmp_gt_u32_e32 vcc, s18, v82
	s_and_saveexec_b64 s[16:17], vcc
	s_cbranch_execz .LBB1152_342
.LBB1152_357:                           ;   in Loop: Header=BB1152_313 Depth=2
	v_cmp_gt_i64_e32 vcc, 0, v[20:21]
	v_ashrrev_i32_e32 v37, 31, v21
	v_cndmask_b32_e64 v36, v133, 0, vcc
	v_not_b32_e32 v38, v37
	v_xor_b32_e32 v37, v36, v21
	v_xor_b32_e32 v36, v38, v20
	v_cmp_ne_u64_e32 vcc, s[72:73], v[36:37]
	v_cndmask_b32_e32 v37, v133, v37, vcc
	v_cndmask_b32_e32 v36, -1, v36, vcc
	v_lshrrev_b64 v[36:37], s95, v[36:37]
	v_and_b32_e32 v36, s97, v36
	v_lshl_or_b32 v36, v36, 4, v91
	ds_add_u32 v36, v117
	s_or_b64 exec, exec, s[16:17]
	v_cmp_gt_u32_e32 vcc, s18, v83
	s_and_saveexec_b64 s[16:17], vcc
	s_cbranch_execz .LBB1152_343
.LBB1152_358:                           ;   in Loop: Header=BB1152_313 Depth=2
	v_cmp_gt_i64_e32 vcc, 0, v[18:19]
	v_ashrrev_i32_e32 v37, 31, v19
	v_cndmask_b32_e64 v36, v133, 0, vcc
	v_not_b32_e32 v38, v37
	v_xor_b32_e32 v37, v36, v19
	v_xor_b32_e32 v36, v38, v18
	v_cmp_ne_u64_e32 vcc, s[72:73], v[36:37]
	v_cndmask_b32_e32 v37, v133, v37, vcc
	v_cndmask_b32_e32 v36, -1, v36, vcc
	v_lshrrev_b64 v[36:37], s95, v[36:37]
	v_and_b32_e32 v36, s97, v36
	v_lshl_or_b32 v36, v36, 4, v91
	ds_add_u32 v36, v117
	s_or_b64 exec, exec, s[16:17]
	v_cmp_gt_u32_e32 vcc, s18, v84
	s_and_saveexec_b64 s[16:17], vcc
	s_cbranch_execz .LBB1152_344
.LBB1152_359:                           ;   in Loop: Header=BB1152_313 Depth=2
	v_cmp_gt_i64_e32 vcc, 0, v[16:17]
	v_ashrrev_i32_e32 v37, 31, v17
	v_cndmask_b32_e64 v36, v133, 0, vcc
	v_not_b32_e32 v38, v37
	v_xor_b32_e32 v37, v36, v17
	v_xor_b32_e32 v36, v38, v16
	v_cmp_ne_u64_e32 vcc, s[72:73], v[36:37]
	v_cndmask_b32_e32 v37, v133, v37, vcc
	v_cndmask_b32_e32 v36, -1, v36, vcc
	v_lshrrev_b64 v[36:37], s95, v[36:37]
	v_and_b32_e32 v36, s97, v36
	v_lshl_or_b32 v36, v36, 4, v91
	ds_add_u32 v36, v117
	s_or_b64 exec, exec, s[16:17]
	v_cmp_gt_u32_e32 vcc, s18, v85
	s_and_saveexec_b64 s[16:17], vcc
	s_cbranch_execz .LBB1152_345
.LBB1152_360:                           ;   in Loop: Header=BB1152_313 Depth=2
	v_cmp_gt_i64_e32 vcc, 0, v[14:15]
	v_ashrrev_i32_e32 v37, 31, v15
	v_cndmask_b32_e64 v36, v133, 0, vcc
	v_not_b32_e32 v38, v37
	v_xor_b32_e32 v37, v36, v15
	v_xor_b32_e32 v36, v38, v14
	v_cmp_ne_u64_e32 vcc, s[72:73], v[36:37]
	v_cndmask_b32_e32 v37, v133, v37, vcc
	v_cndmask_b32_e32 v36, -1, v36, vcc
	v_lshrrev_b64 v[36:37], s95, v[36:37]
	v_and_b32_e32 v36, s97, v36
	v_lshl_or_b32 v36, v36, 4, v91
	ds_add_u32 v36, v117
	s_or_b64 exec, exec, s[16:17]
	v_cmp_gt_u32_e32 vcc, s18, v86
	s_and_saveexec_b64 s[16:17], vcc
	s_cbranch_execz .LBB1152_346
.LBB1152_361:                           ;   in Loop: Header=BB1152_313 Depth=2
	v_cmp_gt_i64_e32 vcc, 0, v[12:13]
	v_ashrrev_i32_e32 v37, 31, v13
	v_cndmask_b32_e64 v36, v133, 0, vcc
	v_not_b32_e32 v38, v37
	v_xor_b32_e32 v37, v36, v13
	v_xor_b32_e32 v36, v38, v12
	v_cmp_ne_u64_e32 vcc, s[72:73], v[36:37]
	v_cndmask_b32_e32 v37, v133, v37, vcc
	v_cndmask_b32_e32 v36, -1, v36, vcc
	v_lshrrev_b64 v[36:37], s95, v[36:37]
	v_and_b32_e32 v36, s97, v36
	v_lshl_or_b32 v36, v36, 4, v91
	ds_add_u32 v36, v117
	s_or_b64 exec, exec, s[16:17]
	v_cmp_gt_u32_e32 vcc, s18, v87
	s_and_saveexec_b64 s[16:17], vcc
	s_cbranch_execz .LBB1152_347
.LBB1152_362:                           ;   in Loop: Header=BB1152_313 Depth=2
	v_cmp_gt_i64_e32 vcc, 0, v[10:11]
	v_ashrrev_i32_e32 v37, 31, v11
	v_cndmask_b32_e64 v36, v133, 0, vcc
	v_not_b32_e32 v38, v37
	v_xor_b32_e32 v37, v36, v11
	v_xor_b32_e32 v36, v38, v10
	v_cmp_ne_u64_e32 vcc, s[72:73], v[36:37]
	v_cndmask_b32_e32 v37, v133, v37, vcc
	v_cndmask_b32_e32 v36, -1, v36, vcc
	v_lshrrev_b64 v[36:37], s95, v[36:37]
	v_and_b32_e32 v36, s97, v36
	v_lshl_or_b32 v36, v36, 4, v91
	ds_add_u32 v36, v117
	s_or_b64 exec, exec, s[16:17]
	v_cmp_gt_u32_e32 vcc, s18, v88
	s_and_saveexec_b64 s[16:17], vcc
	s_cbranch_execz .LBB1152_348
.LBB1152_363:                           ;   in Loop: Header=BB1152_313 Depth=2
	v_cmp_gt_i64_e32 vcc, 0, v[8:9]
	v_ashrrev_i32_e32 v37, 31, v9
	v_cndmask_b32_e64 v36, v133, 0, vcc
	v_not_b32_e32 v38, v37
	v_xor_b32_e32 v37, v36, v9
	v_xor_b32_e32 v36, v38, v8
	v_cmp_ne_u64_e32 vcc, s[72:73], v[36:37]
	v_cndmask_b32_e32 v37, v133, v37, vcc
	v_cndmask_b32_e32 v36, -1, v36, vcc
	v_lshrrev_b64 v[36:37], s95, v[36:37]
	v_and_b32_e32 v36, s97, v36
	v_lshl_or_b32 v36, v36, 4, v91
	ds_add_u32 v36, v117
	s_or_b64 exec, exec, s[16:17]
	v_cmp_gt_u32_e32 vcc, s18, v89
	s_and_saveexec_b64 s[16:17], vcc
	s_cbranch_execz .LBB1152_349
.LBB1152_364:                           ;   in Loop: Header=BB1152_313 Depth=2
	v_cmp_gt_i64_e32 vcc, 0, v[6:7]
	v_ashrrev_i32_e32 v37, 31, v7
	v_cndmask_b32_e64 v36, v133, 0, vcc
	v_not_b32_e32 v38, v37
	v_xor_b32_e32 v37, v36, v7
	v_xor_b32_e32 v36, v38, v6
	v_cmp_ne_u64_e32 vcc, s[72:73], v[36:37]
	v_cndmask_b32_e32 v37, v133, v37, vcc
	v_cndmask_b32_e32 v36, -1, v36, vcc
	v_lshrrev_b64 v[36:37], s95, v[36:37]
	v_and_b32_e32 v36, s97, v36
	v_lshl_or_b32 v36, v36, 4, v91
	ds_add_u32 v36, v117
	s_or_b64 exec, exec, s[16:17]
	v_cmp_gt_u32_e32 vcc, s18, v90
	s_and_saveexec_b64 s[16:17], vcc
	s_cbranch_execz .LBB1152_312
.LBB1152_365:                           ;   in Loop: Header=BB1152_313 Depth=2
	v_cmp_gt_i64_e32 vcc, 0, v[4:5]
	v_ashrrev_i32_e32 v37, 31, v5
	v_cndmask_b32_e64 v36, v133, 0, vcc
	v_not_b32_e32 v38, v37
	v_xor_b32_e32 v37, v36, v5
	v_xor_b32_e32 v36, v38, v4
	v_cmp_ne_u64_e32 vcc, s[72:73], v[36:37]
	v_cndmask_b32_e32 v37, v133, v37, vcc
	v_cndmask_b32_e32 v36, -1, v36, vcc
	v_lshrrev_b64 v[36:37], s95, v[36:37]
	v_and_b32_e32 v36, s97, v36
	v_lshl_or_b32 v36, v36, 4, v91
	ds_add_u32 v36, v117
	s_branch .LBB1152_312
.LBB1152_366:                           ;   in Loop: Header=BB1152_313 Depth=2
	global_load_dwordx2 v[34:35], v118, s[16:17]
	s_or_b64 exec, exec, s[18:19]
	v_cmp_gt_u32_e32 vcc, s20, v74
	s_and_saveexec_b64 s[18:19], vcc
	s_cbranch_execz .LBB1152_318
.LBB1152_367:                           ;   in Loop: Header=BB1152_313 Depth=2
	global_load_dwordx2 v[32:33], v118, s[16:17] offset:2048
	s_or_b64 exec, exec, s[18:19]
	v_cmp_gt_u32_e32 vcc, s20, v75
	s_and_saveexec_b64 s[18:19], vcc
	s_cbranch_execz .LBB1152_319
.LBB1152_368:                           ;   in Loop: Header=BB1152_313 Depth=2
	global_load_dwordx2 v[30:31], v119, s[16:17]
	s_or_b64 exec, exec, s[18:19]
	v_cmp_gt_u32_e32 vcc, s20, v76
	s_and_saveexec_b64 s[18:19], vcc
	s_cbranch_execz .LBB1152_320
.LBB1152_369:                           ;   in Loop: Header=BB1152_313 Depth=2
	global_load_dwordx2 v[28:29], v120, s[16:17]
	s_or_b64 exec, exec, s[18:19]
	v_cmp_gt_u32_e32 vcc, s20, v79
	s_and_saveexec_b64 s[18:19], vcc
	s_cbranch_execz .LBB1152_321
.LBB1152_370:                           ;   in Loop: Header=BB1152_313 Depth=2
	global_load_dwordx2 v[26:27], v121, s[16:17]
	s_or_b64 exec, exec, s[18:19]
	v_cmp_gt_u32_e32 vcc, s20, v80
	s_and_saveexec_b64 s[18:19], vcc
	s_cbranch_execz .LBB1152_322
.LBB1152_371:                           ;   in Loop: Header=BB1152_313 Depth=2
	global_load_dwordx2 v[24:25], v122, s[16:17]
	s_or_b64 exec, exec, s[18:19]
	v_cmp_gt_u32_e32 vcc, s20, v81
	s_and_saveexec_b64 s[18:19], vcc
	s_cbranch_execz .LBB1152_323
.LBB1152_372:                           ;   in Loop: Header=BB1152_313 Depth=2
	global_load_dwordx2 v[22:23], v123, s[16:17]
	s_or_b64 exec, exec, s[18:19]
	v_cmp_gt_u32_e32 vcc, s20, v82
	s_and_saveexec_b64 s[18:19], vcc
	s_cbranch_execz .LBB1152_324
.LBB1152_373:                           ;   in Loop: Header=BB1152_313 Depth=2
	global_load_dwordx2 v[20:21], v124, s[16:17]
	s_or_b64 exec, exec, s[18:19]
	v_cmp_gt_u32_e32 vcc, s20, v83
	s_and_saveexec_b64 s[18:19], vcc
	s_cbranch_execz .LBB1152_325
.LBB1152_374:                           ;   in Loop: Header=BB1152_313 Depth=2
	global_load_dwordx2 v[18:19], v125, s[16:17]
	s_or_b64 exec, exec, s[18:19]
	v_cmp_gt_u32_e32 vcc, s20, v84
	s_and_saveexec_b64 s[18:19], vcc
	s_cbranch_execz .LBB1152_326
.LBB1152_375:                           ;   in Loop: Header=BB1152_313 Depth=2
	global_load_dwordx2 v[16:17], v126, s[16:17]
	s_or_b64 exec, exec, s[18:19]
	v_cmp_gt_u32_e32 vcc, s20, v85
	s_and_saveexec_b64 s[18:19], vcc
	s_cbranch_execz .LBB1152_327
.LBB1152_376:                           ;   in Loop: Header=BB1152_313 Depth=2
	global_load_dwordx2 v[14:15], v127, s[16:17]
	s_or_b64 exec, exec, s[18:19]
	v_cmp_gt_u32_e32 vcc, s20, v86
	s_and_saveexec_b64 s[18:19], vcc
	s_cbranch_execz .LBB1152_328
.LBB1152_377:                           ;   in Loop: Header=BB1152_313 Depth=2
	global_load_dwordx2 v[12:13], v128, s[16:17]
	s_or_b64 exec, exec, s[18:19]
	v_cmp_gt_u32_e32 vcc, s20, v87
	s_and_saveexec_b64 s[18:19], vcc
	s_cbranch_execz .LBB1152_329
.LBB1152_378:                           ;   in Loop: Header=BB1152_313 Depth=2
	global_load_dwordx2 v[10:11], v129, s[16:17]
	s_or_b64 exec, exec, s[18:19]
	v_cmp_gt_u32_e32 vcc, s20, v88
	s_and_saveexec_b64 s[18:19], vcc
	s_cbranch_execz .LBB1152_330
.LBB1152_379:                           ;   in Loop: Header=BB1152_313 Depth=2
	global_load_dwordx2 v[8:9], v130, s[16:17]
	s_or_b64 exec, exec, s[18:19]
	v_cmp_gt_u32_e32 vcc, s20, v89
	s_and_saveexec_b64 s[18:19], vcc
	s_cbranch_execz .LBB1152_331
.LBB1152_380:                           ;   in Loop: Header=BB1152_313 Depth=2
	global_load_dwordx2 v[6:7], v131, s[16:17]
	s_or_b64 exec, exec, s[18:19]
	v_cmp_gt_u32_e32 vcc, s20, v90
	s_and_saveexec_b64 s[18:19], vcc
	s_cbranch_execnz .LBB1152_332
	s_branch .LBB1152_333
.LBB1152_381:                           ;   in Loop: Header=BB1152_17 Depth=1
	v_mov_b32_e32 v4, 0
	s_waitcnt lgkmcnt(0)
	s_barrier
	s_and_saveexec_b64 s[16:17], s[4:5]
	s_cbranch_execz .LBB1152_383
; %bb.382:                              ;   in Loop: Header=BB1152_17 Depth=1
	ds_read2_b64 v[4:7], v92 offset1:1
	s_waitcnt lgkmcnt(0)
	v_add_u32_e32 v4, v5, v4
	v_add3_u32 v4, v4, v6, v7
.LBB1152_383:                           ;   in Loop: Header=BB1152_17 Depth=1
	s_or_b64 exec, exec, s[16:17]
	v_and_b32_e32 v5, 15, v134
	v_mov_b32_dpp v6, v4 row_shr:1 row_mask:0xf bank_mask:0xf
	v_cmp_eq_u32_e64 s[16:17], 0, v5
	v_cndmask_b32_e64 v6, v6, 0, s[16:17]
	v_add_u32_e32 v4, v6, v4
	v_cmp_lt_u32_e64 s[18:19], 1, v5
	v_cmp_lt_u32_e64 s[20:21], 3, v5
	v_mov_b32_dpp v6, v4 row_shr:2 row_mask:0xf bank_mask:0xf
	v_cndmask_b32_e64 v6, 0, v6, s[18:19]
	v_add_u32_e32 v4, v4, v6
	v_cmp_lt_u32_e64 s[22:23], 7, v5
	v_cmp_lt_u32_e64 s[26:27], 31, v134
	v_mov_b32_dpp v6, v4 row_shr:4 row_mask:0xf bank_mask:0xf
	v_cndmask_b32_e64 v6, 0, v6, s[20:21]
	v_add_u32_e32 v4, v4, v6
	v_and_b32_e32 v7, 16, v134
	v_cmp_eq_u32_e64 s[24:25], 0, v7
	v_mov_b32_dpp v6, v4 row_shr:8 row_mask:0xf bank_mask:0xf
	v_cndmask_b32_e64 v5, 0, v6, s[22:23]
	v_add_u32_e32 v4, v4, v5
	v_bfe_i32 v6, v134, 4, 1
	s_nop 0
	v_mov_b32_dpp v5, v4 row_bcast:15 row_mask:0xf bank_mask:0xf
	v_and_b32_e32 v5, v6, v5
	v_add_u32_e32 v4, v4, v5
	s_nop 1
	v_mov_b32_dpp v5, v4 row_bcast:31 row_mask:0xf bank_mask:0xf
	v_cndmask_b32_e64 v5, 0, v5, s[26:27]
	v_add_u32_e32 v5, v4, v5
	s_and_saveexec_b64 s[28:29], s[6:7]
; %bb.384:                              ;   in Loop: Header=BB1152_17 Depth=1
	ds_write_b32 v94, v5
; %bb.385:                              ;   in Loop: Header=BB1152_17 Depth=1
	s_or_b64 exec, exec, s[28:29]
	v_and_b32_e32 v4, 3, v134
	s_waitcnt lgkmcnt(0)
	s_barrier
	s_and_saveexec_b64 s[28:29], s[8:9]
	s_cbranch_execz .LBB1152_387
; %bb.386:                              ;   in Loop: Header=BB1152_17 Depth=1
	ds_read_b32 v6, v95
	v_cmp_ne_u32_e32 vcc, 0, v4
	s_waitcnt lgkmcnt(0)
	v_mov_b32_dpp v7, v6 row_shr:1 row_mask:0xf bank_mask:0xf
	v_cndmask_b32_e32 v7, 0, v7, vcc
	v_add_u32_e32 v6, v7, v6
	v_cmp_lt_u32_e32 vcc, 1, v4
	s_nop 0
	v_mov_b32_dpp v7, v6 row_shr:2 row_mask:0xf bank_mask:0xf
	v_cndmask_b32_e32 v7, 0, v7, vcc
	v_add_u32_e32 v6, v6, v7
	ds_write_b32 v95, v6
.LBB1152_387:                           ;   in Loop: Header=BB1152_17 Depth=1
	s_or_b64 exec, exec, s[28:29]
	v_mov_b32_e32 v6, 0
	s_waitcnt lgkmcnt(0)
	s_barrier
	s_and_saveexec_b64 s[28:29], s[10:11]
; %bb.388:                              ;   in Loop: Header=BB1152_17 Depth=1
	ds_read_b32 v6, v96
; %bb.389:                              ;   in Loop: Header=BB1152_17 Depth=1
	s_or_b64 exec, exec, s[28:29]
	v_subrev_co_u32_e64 v7, s[28:29], 1, v134
	v_and_b32_e32 v8, 64, v134
	v_cmp_lt_i32_e32 vcc, v7, v8
	v_cndmask_b32_e32 v7, v7, v134, vcc
	s_waitcnt lgkmcnt(0)
	v_add_u32_e32 v5, v6, v5
	v_lshlrev_b32_e32 v135, 2, v7
	ds_bpermute_b32 v5, v135, v5
	s_waitcnt lgkmcnt(0)
	s_barrier
	s_and_saveexec_b64 s[30:31], s[4:5]
; %bb.390:                              ;   in Loop: Header=BB1152_17 Depth=1
	v_cndmask_b32_e64 v5, v5, v6, s[28:29]
	v_add_u32_e32 v5, s69, v5
	ds_write_b32 v73, v5
; %bb.391:                              ;   in Loop: Header=BB1152_17 Depth=1
	s_or_b64 exec, exec, s[30:31]
	s_load_dwordx2 s[30:31], s[74:75], 0x0
	s_mov_b32 s98, s91
	s_mov_b32 s82, s69
                                        ; implicit-def: $vgpr5_vgpr6
                                        ; implicit-def: $vgpr7_vgpr8
                                        ; implicit-def: $vgpr9_vgpr10
                                        ; implicit-def: $vgpr13_vgpr14
                                        ; implicit-def: $vgpr17_vgpr18
                                        ; implicit-def: $vgpr21_vgpr22
                                        ; implicit-def: $vgpr25_vgpr26
                                        ; implicit-def: $vgpr29_vgpr30
                                        ; implicit-def: $vgpr11_vgpr12
                                        ; implicit-def: $vgpr15_vgpr16
                                        ; implicit-def: $vgpr19_vgpr20
                                        ; implicit-def: $vgpr23_vgpr24
                                        ; implicit-def: $vgpr27_vgpr28
                                        ; implicit-def: $vgpr31_vgpr32
                                        ; implicit-def: $vgpr33_vgpr34
                                        ; implicit-def: $vgpr35_vgpr36
                                        ; implicit-def: $vgpr136
                                        ; implicit-def: $vgpr137
                                        ; implicit-def: $vgpr138
                                        ; implicit-def: $vgpr139
                                        ; implicit-def: $vgpr140
                                        ; implicit-def: $vgpr141
                                        ; implicit-def: $vgpr142
                                        ; implicit-def: $vgpr144
                                        ; implicit-def: $vgpr146
                                        ; implicit-def: $vgpr148
                                        ; implicit-def: $vgpr150
                                        ; implicit-def: $vgpr152
                                        ; implicit-def: $vgpr154
                                        ; implicit-def: $vgpr156
                                        ; implicit-def: $vgpr158
                                        ; implicit-def: $vgpr160
	s_waitcnt lgkmcnt(0)
	s_cmp_lt_u32 s33, s31
	s_cselect_b32 s31, 14, 20
	s_add_u32 s34, s74, s31
	s_addc_u32 s35, s75, 0
	s_cmp_lt_u32 s68, s30
	s_cselect_b32 s30, 12, 18
	s_add_u32 s30, s74, s30
	global_load_ushort v37, v3, s[34:35]
	s_addc_u32 s31, s75, 0
	global_load_ushort v38, v3, s[30:31]
	v_cmp_eq_u32_e64 s[30:31], 0, v4
	v_cmp_lt_u32_e64 s[34:35], 1, v4
	v_and_b32_e32 v4, 63, v134
	v_lshlrev_b32_e32 v39, 3, v4
	v_or_b32_e32 v143, v4, v97
	v_add_co_u32_e32 v145, vcc, v107, v39
	v_addc_co_u32_e32 v147, vcc, 0, v108, vcc
	v_add_co_u32_e32 v170, vcc, v109, v39
	v_or_b32_e32 v149, 64, v143
	v_or_b32_e32 v151, 0x80, v143
	;; [unrolled: 1-line block ×15, first 2 shown]
	v_addc_co_u32_e32 v171, vcc, 0, v110, vcc
	s_waitcnt vmcnt(1)
	v_mad_u32_u24 v4, v2, v37, v1
	s_waitcnt vmcnt(0)
	v_mad_u64_u32 v[37:38], s[36:37], v4, v38, v[0:1]
	v_lshrrev_b32_e32 v4, 4, v37
	v_and_b32_e32 v172, 0xffffffc, v4
	s_branch .LBB1152_393
.LBB1152_392:                           ;   in Loop: Header=BB1152_393 Depth=2
	s_or_b64 exec, exec, s[36:37]
	s_addk_i32 s98, 0xf000
	s_cmp_lt_u32 s99, s94
	s_mov_b32 s82, s99
	s_cbranch_scc0 .LBB1152_601
.LBB1152_393:                           ;   Parent Loop BB1152_17 Depth=1
                                        ; =>  This Inner Loop Header: Depth=2
	s_add_i32 s99, s82, 0x1000
	s_cmp_gt_u32 s99, s94
	s_cbranch_scc1 .LBB1152_395
; %bb.394:                              ;   in Loop: Header=BB1152_393 Depth=2
	s_mov_b32 s83, s72
	s_lshl_b64 s[36:37], s[82:83], 3
	v_mov_b32_e32 v4, s37
	v_add_co_u32_e32 v41, vcc, s36, v170
	v_addc_co_u32_e32 v42, vcc, v171, v4, vcc
	global_load_dwordx2 v[37:38], v[41:42], off
	global_load_dwordx2 v[39:40], v[41:42], off offset:512
	global_load_dwordx2 v[45:46], v[41:42], off offset:1024
	;; [unrolled: 1-line block ×7, first 2 shown]
	v_add_co_u32_e32 v41, vcc, 0x1000, v41
	v_addc_co_u32_e32 v42, vcc, 0, v42, vcc
	global_load_dwordx2 v[67:68], v[41:42], off
	global_load_dwordx2 v[61:62], v[41:42], off offset:512
	global_load_dwordx2 v[59:60], v[41:42], off offset:1024
	;; [unrolled: 1-line block ×5, first 2 shown]
	s_nop 0
	global_load_dwordx2 v[41:42], v[41:42], off offset:3072
	s_mov_b64 s[36:37], -1
	s_movk_i32 s40, 0x1000
	s_cbranch_execz .LBB1152_396
	s_branch .LBB1152_427
.LBB1152_395:                           ;   in Loop: Header=BB1152_393 Depth=2
	s_mov_b64 s[36:37], 0
                                        ; implicit-def: $vgpr37_vgpr38
                                        ; implicit-def: $vgpr39_vgpr40
                                        ; implicit-def: $vgpr45_vgpr46
                                        ; implicit-def: $vgpr49_vgpr50
                                        ; implicit-def: $vgpr53_vgpr54
                                        ; implicit-def: $vgpr57_vgpr58
                                        ; implicit-def: $vgpr63_vgpr64
                                        ; implicit-def: $vgpr65_vgpr66
                                        ; implicit-def: $vgpr67_vgpr68
                                        ; implicit-def: $vgpr61_vgpr62
                                        ; implicit-def: $vgpr59_vgpr60
                                        ; implicit-def: $vgpr55_vgpr56
                                        ; implicit-def: $vgpr51_vgpr52
                                        ; implicit-def: $vgpr47_vgpr48
                                        ; implicit-def: $vgpr41_vgpr42
	s_movk_i32 s40, 0x1000
.LBB1152_396:                           ;   in Loop: Header=BB1152_393 Depth=2
	s_mov_b32 s83, s72
	s_lshl_b64 s[36:37], s[82:83], 3
	v_mov_b32_e32 v4, s37
	v_add_co_u32_e32 v43, vcc, s36, v170
	v_addc_co_u32_e32 v44, vcc, v171, v4, vcc
	s_waitcnt vmcnt(13)
	v_mov_b32_e32 v39, -1
	v_mov_b32_e32 v37, -1
	;; [unrolled: 1-line block ×4, first 2 shown]
	v_cmp_gt_u32_e32 vcc, s98, v143
	s_and_saveexec_b64 s[36:37], vcc
	s_cbranch_execz .LBB1152_398
; %bb.397:                              ;   in Loop: Header=BB1152_393 Depth=2
	global_load_dwordx2 v[37:38], v[43:44], off
.LBB1152_398:                           ;   in Loop: Header=BB1152_393 Depth=2
	s_or_b64 exec, exec, s[36:37]
	v_cmp_gt_u32_e32 vcc, s98, v149
	s_and_saveexec_b64 s[36:37], vcc
	s_cbranch_execz .LBB1152_400
; %bb.399:                              ;   in Loop: Header=BB1152_393 Depth=2
	global_load_dwordx2 v[39:40], v[43:44], off offset:512
.LBB1152_400:                           ;   in Loop: Header=BB1152_393 Depth=2
	s_or_b64 exec, exec, s[36:37]
	s_waitcnt vmcnt(11)
	v_mov_b32_e32 v49, -1
	v_mov_b32_e32 v45, -1
	v_mov_b32_e32 v50, -1
	v_mov_b32_e32 v46, -1
	v_cmp_gt_u32_e32 vcc, s98, v151
	s_and_saveexec_b64 s[36:37], vcc
	s_cbranch_execz .LBB1152_402
; %bb.401:                              ;   in Loop: Header=BB1152_393 Depth=2
	global_load_dwordx2 v[45:46], v[43:44], off offset:1024
.LBB1152_402:                           ;   in Loop: Header=BB1152_393 Depth=2
	s_or_b64 exec, exec, s[36:37]
	v_cmp_gt_u32_e32 vcc, s98, v153
	s_and_saveexec_b64 s[36:37], vcc
	s_cbranch_execz .LBB1152_404
; %bb.403:                              ;   in Loop: Header=BB1152_393 Depth=2
	global_load_dwordx2 v[49:50], v[43:44], off offset:1536
.LBB1152_404:                           ;   in Loop: Header=BB1152_393 Depth=2
	s_or_b64 exec, exec, s[36:37]
	s_waitcnt vmcnt(9)
	v_mov_b32_e32 v57, -1
	v_mov_b32_e32 v53, -1
	v_mov_b32_e32 v58, -1
	v_mov_b32_e32 v54, -1
	v_cmp_gt_u32_e32 vcc, s98, v155
	s_and_saveexec_b64 s[36:37], vcc
	s_cbranch_execz .LBB1152_406
; %bb.405:                              ;   in Loop: Header=BB1152_393 Depth=2
	global_load_dwordx2 v[53:54], v[43:44], off offset:2048
.LBB1152_406:                           ;   in Loop: Header=BB1152_393 Depth=2
	;; [unrolled: 19-line block ×3, first 2 shown]
	s_or_b64 exec, exec, s[36:37]
	v_cmp_gt_u32_e32 vcc, s98, v161
	s_and_saveexec_b64 s[36:37], vcc
	s_cbranch_execz .LBB1152_412
; %bb.411:                              ;   in Loop: Header=BB1152_393 Depth=2
	global_load_dwordx2 v[65:66], v[43:44], off offset:3584
.LBB1152_412:                           ;   in Loop: Header=BB1152_393 Depth=2
	s_or_b64 exec, exec, s[36:37]
	s_waitcnt vmcnt(5)
	v_mov_b32_e32 v61, -1
	v_mov_b32_e32 v67, -1
	v_mov_b32_e32 v62, -1
	v_mov_b32_e32 v68, -1
	v_cmp_gt_u32_e32 vcc, s98, v162
	s_and_saveexec_b64 s[36:37], vcc
	s_cbranch_execz .LBB1152_414
; %bb.413:                              ;   in Loop: Header=BB1152_393 Depth=2
	s_waitcnt vmcnt(0)
	v_add_co_u32_e32 v41, vcc, 0x1000, v43
	v_addc_co_u32_e32 v42, vcc, 0, v44, vcc
	global_load_dwordx2 v[67:68], v[41:42], off
.LBB1152_414:                           ;   in Loop: Header=BB1152_393 Depth=2
	s_or_b64 exec, exec, s[36:37]
	v_cmp_gt_u32_e32 vcc, s98, v163
	s_and_saveexec_b64 s[36:37], vcc
	s_cbranch_execz .LBB1152_416
; %bb.415:                              ;   in Loop: Header=BB1152_393 Depth=2
	s_waitcnt vmcnt(0)
	v_add_co_u32_e32 v41, vcc, 0x1000, v43
	v_addc_co_u32_e32 v42, vcc, 0, v44, vcc
	global_load_dwordx2 v[61:62], v[41:42], off offset:512
.LBB1152_416:                           ;   in Loop: Header=BB1152_393 Depth=2
	s_or_b64 exec, exec, s[36:37]
	s_waitcnt vmcnt(3)
	v_mov_b32_e32 v55, -1
	v_mov_b32_e32 v59, -1
	;; [unrolled: 1-line block ×4, first 2 shown]
	v_cmp_gt_u32_e32 vcc, s98, v164
	s_and_saveexec_b64 s[36:37], vcc
	s_cbranch_execz .LBB1152_418
; %bb.417:                              ;   in Loop: Header=BB1152_393 Depth=2
	s_waitcnt vmcnt(0)
	v_add_co_u32_e32 v41, vcc, 0x1000, v43
	v_addc_co_u32_e32 v42, vcc, 0, v44, vcc
	global_load_dwordx2 v[59:60], v[41:42], off offset:1024
.LBB1152_418:                           ;   in Loop: Header=BB1152_393 Depth=2
	s_or_b64 exec, exec, s[36:37]
	v_cmp_gt_u32_e32 vcc, s98, v165
	s_and_saveexec_b64 s[36:37], vcc
	s_cbranch_execz .LBB1152_420
; %bb.419:                              ;   in Loop: Header=BB1152_393 Depth=2
	s_waitcnt vmcnt(0)
	v_add_co_u32_e32 v41, vcc, 0x1000, v43
	v_addc_co_u32_e32 v42, vcc, 0, v44, vcc
	global_load_dwordx2 v[55:56], v[41:42], off offset:1536
.LBB1152_420:                           ;   in Loop: Header=BB1152_393 Depth=2
	s_or_b64 exec, exec, s[36:37]
	s_waitcnt vmcnt(1)
	v_mov_b32_e32 v47, -1
	v_mov_b32_e32 v51, -1
	;; [unrolled: 1-line block ×4, first 2 shown]
	v_cmp_gt_u32_e32 vcc, s98, v166
	s_and_saveexec_b64 s[36:37], vcc
	s_cbranch_execz .LBB1152_422
; %bb.421:                              ;   in Loop: Header=BB1152_393 Depth=2
	s_waitcnt vmcnt(0)
	v_add_co_u32_e32 v41, vcc, 0x1000, v43
	v_addc_co_u32_e32 v42, vcc, 0, v44, vcc
	global_load_dwordx2 v[51:52], v[41:42], off offset:2048
.LBB1152_422:                           ;   in Loop: Header=BB1152_393 Depth=2
	s_or_b64 exec, exec, s[36:37]
	v_cmp_gt_u32_e32 vcc, s98, v167
	s_and_saveexec_b64 s[36:37], vcc
	s_cbranch_execz .LBB1152_424
; %bb.423:                              ;   in Loop: Header=BB1152_393 Depth=2
	s_waitcnt vmcnt(0)
	v_add_co_u32_e32 v41, vcc, 0x1000, v43
	v_addc_co_u32_e32 v42, vcc, 0, v44, vcc
	global_load_dwordx2 v[47:48], v[41:42], off offset:2560
.LBB1152_424:                           ;   in Loop: Header=BB1152_393 Depth=2
	s_or_b64 exec, exec, s[36:37]
	s_waitcnt vmcnt(0)
	v_mov_b32_e32 v41, -1
	v_mov_b32_e32 v42, -1
	v_cmp_gt_u32_e32 vcc, s98, v168
	s_and_saveexec_b64 s[36:37], vcc
	s_cbranch_execz .LBB1152_426
; %bb.425:                              ;   in Loop: Header=BB1152_393 Depth=2
	v_add_co_u32_e32 v41, vcc, 0x1000, v43
	v_addc_co_u32_e32 v42, vcc, 0, v44, vcc
	global_load_dwordx2 v[41:42], v[41:42], off offset:3072
.LBB1152_426:                           ;   in Loop: Header=BB1152_393 Depth=2
	s_or_b64 exec, exec, s[36:37]
	s_sub_i32 s40, s94, s82
	v_cmp_gt_u32_e64 s[36:37], s98, v169
.LBB1152_427:                           ;   in Loop: Header=BB1152_393 Depth=2
	v_mov_b32_e32 v43, -1
	v_mov_b32_e32 v44, -1
	v_mov_b32_e32 v173, s98
	s_and_saveexec_b64 s[38:39], s[36:37]
	s_cbranch_execz .LBB1152_429
; %bb.428:                              ;   in Loop: Header=BB1152_393 Depth=2
	s_lshl_b64 s[36:37], s[82:83], 3
	v_mov_b32_e32 v4, s37
	v_add_co_u32_e32 v43, vcc, s36, v170
	v_addc_co_u32_e32 v4, vcc, v171, v4, vcc
	v_add_co_u32_e32 v43, vcc, 0x1000, v43
	v_addc_co_u32_e32 v44, vcc, 0, v4, vcc
	global_load_dwordx2 v[43:44], v[43:44], off offset:3584
	v_mov_b32_e32 v173, s40
.LBB1152_429:                           ;   in Loop: Header=BB1152_393 Depth=2
	s_or_b64 exec, exec, s[38:39]
	s_waitcnt vmcnt(14)
	v_cmp_gt_i64_e32 vcc, 0, v[37:38]
	v_ashrrev_i32_e32 v69, 31, v38
	v_cndmask_b32_e64 v4, v133, 0, vcc
	v_not_b32_e32 v69, v69
	v_xor_b32_e32 v38, v4, v38
	v_xor_b32_e32 v37, v69, v37
	v_cmp_ne_u64_e32 vcc, s[72:73], v[37:38]
	v_add_u32_e32 v175, 0x410, v98
	v_cndmask_b32_e32 v70, v133, v38, vcc
	v_cndmask_b32_e32 v69, -1, v37, vcc
	v_lshrrev_b64 v[69:70], s95, v[69:70]
	v_add_u32_e32 v174, 0x418, v98
	v_and_b32_e32 v69, s97, v69
	v_and_b32_e32 v4, 1, v69
	v_add_co_u32_e32 v70, vcc, -1, v4
	v_addc_co_u32_e64 v72, s[36:37], 0, -1, vcc
	v_cmp_ne_u32_e32 vcc, 0, v4
	v_xor_b32_e32 v4, vcc_hi, v72
	v_and_b32_e32 v72, exec_hi, v4
	v_lshlrev_b32_e32 v4, 30, v69
	v_xor_b32_e32 v70, vcc_lo, v70
	v_cmp_gt_i64_e32 vcc, 0, v[3:4]
	v_not_b32_e32 v4, v4
	v_ashrrev_i32_e32 v4, 31, v4
	v_and_b32_e32 v70, exec_lo, v70
	v_xor_b32_e32 v176, vcc_hi, v4
	v_xor_b32_e32 v4, vcc_lo, v4
	v_and_b32_e32 v70, v70, v4
	v_lshlrev_b32_e32 v4, 29, v69
	v_cmp_gt_i64_e32 vcc, 0, v[3:4]
	v_not_b32_e32 v4, v4
	v_ashrrev_i32_e32 v4, 31, v4
	v_and_b32_e32 v72, v72, v176
	v_xor_b32_e32 v176, vcc_hi, v4
	v_xor_b32_e32 v4, vcc_lo, v4
	v_and_b32_e32 v70, v70, v4
	v_lshlrev_b32_e32 v4, 28, v69
	v_cmp_gt_i64_e32 vcc, 0, v[3:4]
	v_not_b32_e32 v4, v4
	v_ashrrev_i32_e32 v4, 31, v4
	v_and_b32_e32 v72, v72, v176
	;; [unrolled: 8-line block ×5, first 2 shown]
	v_xor_b32_e32 v176, vcc_hi, v4
	v_xor_b32_e32 v4, vcc_lo, v4
	v_and_b32_e32 v72, v72, v176
	v_and_b32_e32 v176, v70, v4
	v_lshlrev_b32_e32 v4, 24, v69
	v_cmp_gt_i64_e32 vcc, 0, v[3:4]
	v_not_b32_e32 v4, v4
	v_ashrrev_i32_e32 v4, 31, v4
	v_mul_u32_u24_e32 v71, 20, v69
	v_xor_b32_e32 v69, vcc_hi, v4
	v_xor_b32_e32 v4, vcc_lo, v4
	v_and_b32_e32 v70, v72, v69
	v_and_b32_e32 v69, v176, v4
	v_mbcnt_lo_u32_b32 v4, v69, 0
	v_mbcnt_hi_u32_b32 v176, v70, v4
	v_cmp_ne_u64_e32 vcc, 0, v[69:70]
	v_cmp_eq_u32_e64 s[36:37], 0, v176
	s_and_b64 s[38:39], vcc, s[36:37]
	v_add_u32_e32 v178, v172, v71
	ds_write2_b32 v175, v3, v3 offset1:1
	ds_write2_b32 v174, v3, v3 offset1:1
	ds_write_b32 v98, v3 offset:1056
	s_waitcnt vmcnt(0) lgkmcnt(0)
	s_barrier
	; wave barrier
	s_and_saveexec_b64 s[36:37], s[38:39]
; %bb.430:                              ;   in Loop: Header=BB1152_393 Depth=2
	v_bcnt_u32_b32 v4, v69, 0
	v_bcnt_u32_b32 v4, v70, v4
	ds_write_b32 v178, v4 offset:1040
; %bb.431:                              ;   in Loop: Header=BB1152_393 Depth=2
	s_or_b64 exec, exec, s[36:37]
	v_cmp_gt_i64_e32 vcc, 0, v[39:40]
	v_ashrrev_i32_e32 v69, 31, v40
	v_cndmask_b32_e64 v4, v133, 0, vcc
	v_not_b32_e32 v69, v69
	v_xor_b32_e32 v40, v4, v40
	v_xor_b32_e32 v39, v69, v39
	v_cmp_ne_u64_e32 vcc, s[72:73], v[39:40]
	v_cndmask_b32_e32 v70, v133, v40, vcc
	v_cndmask_b32_e32 v69, -1, v39, vcc
	v_lshrrev_b64 v[69:70], s95, v[69:70]
	; wave barrier
	v_and_b32_e32 v69, s97, v69
	v_mad_u32_u24 v4, v69, 20, v172
	ds_read_b32 v177, v4 offset:1040
	v_and_b32_e32 v4, 1, v69
	v_add_co_u32_e32 v70, vcc, -1, v4
	v_addc_co_u32_e64 v72, s[36:37], 0, -1, vcc
	v_cmp_ne_u32_e32 vcc, 0, v4
	v_xor_b32_e32 v4, vcc_hi, v72
	v_and_b32_e32 v72, exec_hi, v4
	v_lshlrev_b32_e32 v4, 30, v69
	v_xor_b32_e32 v70, vcc_lo, v70
	v_cmp_gt_i64_e32 vcc, 0, v[3:4]
	v_not_b32_e32 v4, v4
	v_ashrrev_i32_e32 v4, 31, v4
	v_and_b32_e32 v70, exec_lo, v70
	v_xor_b32_e32 v179, vcc_hi, v4
	v_xor_b32_e32 v4, vcc_lo, v4
	v_and_b32_e32 v70, v70, v4
	v_lshlrev_b32_e32 v4, 29, v69
	v_cmp_gt_i64_e32 vcc, 0, v[3:4]
	v_not_b32_e32 v4, v4
	v_ashrrev_i32_e32 v4, 31, v4
	v_and_b32_e32 v72, v72, v179
	v_xor_b32_e32 v179, vcc_hi, v4
	v_xor_b32_e32 v4, vcc_lo, v4
	v_and_b32_e32 v70, v70, v4
	v_lshlrev_b32_e32 v4, 28, v69
	v_cmp_gt_i64_e32 vcc, 0, v[3:4]
	v_not_b32_e32 v4, v4
	v_ashrrev_i32_e32 v4, 31, v4
	v_and_b32_e32 v72, v72, v179
	;; [unrolled: 8-line block ×5, first 2 shown]
	v_xor_b32_e32 v179, vcc_hi, v4
	v_xor_b32_e32 v4, vcc_lo, v4
	v_and_b32_e32 v72, v72, v179
	v_and_b32_e32 v179, v70, v4
	v_lshlrev_b32_e32 v4, 24, v69
	v_cmp_gt_i64_e32 vcc, 0, v[3:4]
	v_not_b32_e32 v4, v4
	v_ashrrev_i32_e32 v4, 31, v4
	v_mul_u32_u24_e32 v71, 20, v69
	v_xor_b32_e32 v69, vcc_hi, v4
	v_xor_b32_e32 v4, vcc_lo, v4
	v_and_b32_e32 v70, v72, v69
	v_and_b32_e32 v69, v179, v4
	v_mbcnt_lo_u32_b32 v4, v69, 0
	v_mbcnt_hi_u32_b32 v179, v70, v4
	v_cmp_ne_u64_e32 vcc, 0, v[69:70]
	v_cmp_eq_u32_e64 s[36:37], 0, v179
	s_and_b64 s[38:39], vcc, s[36:37]
	v_add_u32_e32 v181, v172, v71
	; wave barrier
	s_and_saveexec_b64 s[36:37], s[38:39]
	s_cbranch_execz .LBB1152_433
; %bb.432:                              ;   in Loop: Header=BB1152_393 Depth=2
	v_bcnt_u32_b32 v4, v69, 0
	v_bcnt_u32_b32 v4, v70, v4
	s_waitcnt lgkmcnt(0)
	v_add_u32_e32 v4, v177, v4
	ds_write_b32 v181, v4 offset:1040
.LBB1152_433:                           ;   in Loop: Header=BB1152_393 Depth=2
	s_or_b64 exec, exec, s[36:37]
	v_cmp_gt_i64_e32 vcc, 0, v[45:46]
	v_ashrrev_i32_e32 v69, 31, v46
	v_cndmask_b32_e64 v4, v133, 0, vcc
	v_not_b32_e32 v69, v69
	v_xor_b32_e32 v46, v4, v46
	v_xor_b32_e32 v45, v69, v45
	v_cmp_ne_u64_e32 vcc, s[72:73], v[45:46]
	v_cndmask_b32_e32 v70, v133, v46, vcc
	v_cndmask_b32_e32 v69, -1, v45, vcc
	v_lshrrev_b64 v[69:70], s95, v[69:70]
	; wave barrier
	v_and_b32_e32 v69, s97, v69
	v_mad_u32_u24 v4, v69, 20, v172
	ds_read_b32 v180, v4 offset:1040
	v_and_b32_e32 v4, 1, v69
	v_add_co_u32_e32 v70, vcc, -1, v4
	v_addc_co_u32_e64 v72, s[36:37], 0, -1, vcc
	v_cmp_ne_u32_e32 vcc, 0, v4
	v_xor_b32_e32 v4, vcc_hi, v72
	v_and_b32_e32 v72, exec_hi, v4
	v_lshlrev_b32_e32 v4, 30, v69
	v_xor_b32_e32 v70, vcc_lo, v70
	v_cmp_gt_i64_e32 vcc, 0, v[3:4]
	v_not_b32_e32 v4, v4
	v_ashrrev_i32_e32 v4, 31, v4
	v_and_b32_e32 v70, exec_lo, v70
	v_xor_b32_e32 v182, vcc_hi, v4
	v_xor_b32_e32 v4, vcc_lo, v4
	v_and_b32_e32 v70, v70, v4
	v_lshlrev_b32_e32 v4, 29, v69
	v_cmp_gt_i64_e32 vcc, 0, v[3:4]
	v_not_b32_e32 v4, v4
	v_ashrrev_i32_e32 v4, 31, v4
	v_and_b32_e32 v72, v72, v182
	v_xor_b32_e32 v182, vcc_hi, v4
	v_xor_b32_e32 v4, vcc_lo, v4
	v_and_b32_e32 v70, v70, v4
	v_lshlrev_b32_e32 v4, 28, v69
	v_cmp_gt_i64_e32 vcc, 0, v[3:4]
	v_not_b32_e32 v4, v4
	v_ashrrev_i32_e32 v4, 31, v4
	v_and_b32_e32 v72, v72, v182
	;; [unrolled: 8-line block ×5, first 2 shown]
	v_xor_b32_e32 v182, vcc_hi, v4
	v_xor_b32_e32 v4, vcc_lo, v4
	v_and_b32_e32 v72, v72, v182
	v_and_b32_e32 v182, v70, v4
	v_lshlrev_b32_e32 v4, 24, v69
	v_cmp_gt_i64_e32 vcc, 0, v[3:4]
	v_not_b32_e32 v4, v4
	v_ashrrev_i32_e32 v4, 31, v4
	v_mul_u32_u24_e32 v71, 20, v69
	v_xor_b32_e32 v69, vcc_hi, v4
	v_xor_b32_e32 v4, vcc_lo, v4
	v_and_b32_e32 v70, v72, v69
	v_and_b32_e32 v69, v182, v4
	v_mbcnt_lo_u32_b32 v4, v69, 0
	v_mbcnt_hi_u32_b32 v182, v70, v4
	v_cmp_ne_u64_e32 vcc, 0, v[69:70]
	v_cmp_eq_u32_e64 s[36:37], 0, v182
	s_and_b64 s[38:39], vcc, s[36:37]
	v_add_u32_e32 v184, v172, v71
	; wave barrier
	s_and_saveexec_b64 s[36:37], s[38:39]
	s_cbranch_execz .LBB1152_435
; %bb.434:                              ;   in Loop: Header=BB1152_393 Depth=2
	v_bcnt_u32_b32 v4, v69, 0
	v_bcnt_u32_b32 v4, v70, v4
	s_waitcnt lgkmcnt(0)
	v_add_u32_e32 v4, v180, v4
	ds_write_b32 v184, v4 offset:1040
.LBB1152_435:                           ;   in Loop: Header=BB1152_393 Depth=2
	s_or_b64 exec, exec, s[36:37]
	v_cmp_gt_i64_e32 vcc, 0, v[49:50]
	v_ashrrev_i32_e32 v69, 31, v50
	v_cndmask_b32_e64 v4, v133, 0, vcc
	v_not_b32_e32 v69, v69
	v_xor_b32_e32 v50, v4, v50
	v_xor_b32_e32 v49, v69, v49
	v_cmp_ne_u64_e32 vcc, s[72:73], v[49:50]
	v_cndmask_b32_e32 v70, v133, v50, vcc
	v_cndmask_b32_e32 v69, -1, v49, vcc
	v_lshrrev_b64 v[69:70], s95, v[69:70]
	; wave barrier
	v_and_b32_e32 v69, s97, v69
	v_mad_u32_u24 v4, v69, 20, v172
	ds_read_b32 v183, v4 offset:1040
	v_and_b32_e32 v4, 1, v69
	v_add_co_u32_e32 v70, vcc, -1, v4
	v_addc_co_u32_e64 v72, s[36:37], 0, -1, vcc
	v_cmp_ne_u32_e32 vcc, 0, v4
	v_xor_b32_e32 v4, vcc_hi, v72
	v_and_b32_e32 v72, exec_hi, v4
	v_lshlrev_b32_e32 v4, 30, v69
	v_xor_b32_e32 v70, vcc_lo, v70
	v_cmp_gt_i64_e32 vcc, 0, v[3:4]
	v_not_b32_e32 v4, v4
	v_ashrrev_i32_e32 v4, 31, v4
	v_and_b32_e32 v70, exec_lo, v70
	v_xor_b32_e32 v185, vcc_hi, v4
	v_xor_b32_e32 v4, vcc_lo, v4
	v_and_b32_e32 v70, v70, v4
	v_lshlrev_b32_e32 v4, 29, v69
	v_cmp_gt_i64_e32 vcc, 0, v[3:4]
	v_not_b32_e32 v4, v4
	v_ashrrev_i32_e32 v4, 31, v4
	v_and_b32_e32 v72, v72, v185
	v_xor_b32_e32 v185, vcc_hi, v4
	v_xor_b32_e32 v4, vcc_lo, v4
	v_and_b32_e32 v70, v70, v4
	v_lshlrev_b32_e32 v4, 28, v69
	v_cmp_gt_i64_e32 vcc, 0, v[3:4]
	v_not_b32_e32 v4, v4
	v_ashrrev_i32_e32 v4, 31, v4
	v_and_b32_e32 v72, v72, v185
	;; [unrolled: 8-line block ×5, first 2 shown]
	v_xor_b32_e32 v185, vcc_hi, v4
	v_xor_b32_e32 v4, vcc_lo, v4
	v_and_b32_e32 v72, v72, v185
	v_and_b32_e32 v185, v70, v4
	v_lshlrev_b32_e32 v4, 24, v69
	v_cmp_gt_i64_e32 vcc, 0, v[3:4]
	v_not_b32_e32 v4, v4
	v_ashrrev_i32_e32 v4, 31, v4
	v_mul_u32_u24_e32 v71, 20, v69
	v_xor_b32_e32 v69, vcc_hi, v4
	v_xor_b32_e32 v4, vcc_lo, v4
	v_and_b32_e32 v70, v72, v69
	v_and_b32_e32 v69, v185, v4
	v_mbcnt_lo_u32_b32 v4, v69, 0
	v_mbcnt_hi_u32_b32 v185, v70, v4
	v_cmp_ne_u64_e32 vcc, 0, v[69:70]
	v_cmp_eq_u32_e64 s[36:37], 0, v185
	s_and_b64 s[38:39], vcc, s[36:37]
	v_add_u32_e32 v187, v172, v71
	; wave barrier
	s_and_saveexec_b64 s[36:37], s[38:39]
	s_cbranch_execz .LBB1152_437
; %bb.436:                              ;   in Loop: Header=BB1152_393 Depth=2
	v_bcnt_u32_b32 v4, v69, 0
	v_bcnt_u32_b32 v4, v70, v4
	s_waitcnt lgkmcnt(0)
	v_add_u32_e32 v4, v183, v4
	ds_write_b32 v187, v4 offset:1040
.LBB1152_437:                           ;   in Loop: Header=BB1152_393 Depth=2
	s_or_b64 exec, exec, s[36:37]
	v_cmp_gt_i64_e32 vcc, 0, v[53:54]
	v_ashrrev_i32_e32 v69, 31, v54
	v_cndmask_b32_e64 v4, v133, 0, vcc
	v_not_b32_e32 v69, v69
	v_xor_b32_e32 v54, v4, v54
	v_xor_b32_e32 v53, v69, v53
	v_cmp_ne_u64_e32 vcc, s[72:73], v[53:54]
	v_cndmask_b32_e32 v70, v133, v54, vcc
	v_cndmask_b32_e32 v69, -1, v53, vcc
	v_lshrrev_b64 v[69:70], s95, v[69:70]
	; wave barrier
	v_and_b32_e32 v69, s97, v69
	v_mad_u32_u24 v4, v69, 20, v172
	ds_read_b32 v186, v4 offset:1040
	v_and_b32_e32 v4, 1, v69
	v_add_co_u32_e32 v70, vcc, -1, v4
	v_addc_co_u32_e64 v72, s[36:37], 0, -1, vcc
	v_cmp_ne_u32_e32 vcc, 0, v4
	v_xor_b32_e32 v4, vcc_hi, v72
	v_and_b32_e32 v72, exec_hi, v4
	v_lshlrev_b32_e32 v4, 30, v69
	v_xor_b32_e32 v70, vcc_lo, v70
	v_cmp_gt_i64_e32 vcc, 0, v[3:4]
	v_not_b32_e32 v4, v4
	v_ashrrev_i32_e32 v4, 31, v4
	v_and_b32_e32 v70, exec_lo, v70
	v_xor_b32_e32 v188, vcc_hi, v4
	v_xor_b32_e32 v4, vcc_lo, v4
	v_and_b32_e32 v70, v70, v4
	v_lshlrev_b32_e32 v4, 29, v69
	v_cmp_gt_i64_e32 vcc, 0, v[3:4]
	v_not_b32_e32 v4, v4
	v_ashrrev_i32_e32 v4, 31, v4
	v_and_b32_e32 v72, v72, v188
	v_xor_b32_e32 v188, vcc_hi, v4
	v_xor_b32_e32 v4, vcc_lo, v4
	v_and_b32_e32 v70, v70, v4
	v_lshlrev_b32_e32 v4, 28, v69
	v_cmp_gt_i64_e32 vcc, 0, v[3:4]
	v_not_b32_e32 v4, v4
	v_ashrrev_i32_e32 v4, 31, v4
	v_and_b32_e32 v72, v72, v188
	;; [unrolled: 8-line block ×5, first 2 shown]
	v_xor_b32_e32 v188, vcc_hi, v4
	v_xor_b32_e32 v4, vcc_lo, v4
	v_and_b32_e32 v72, v72, v188
	v_and_b32_e32 v188, v70, v4
	v_lshlrev_b32_e32 v4, 24, v69
	v_cmp_gt_i64_e32 vcc, 0, v[3:4]
	v_not_b32_e32 v4, v4
	v_ashrrev_i32_e32 v4, 31, v4
	v_mul_u32_u24_e32 v71, 20, v69
	v_xor_b32_e32 v69, vcc_hi, v4
	v_xor_b32_e32 v4, vcc_lo, v4
	v_and_b32_e32 v70, v72, v69
	v_and_b32_e32 v69, v188, v4
	v_mbcnt_lo_u32_b32 v4, v69, 0
	v_mbcnt_hi_u32_b32 v188, v70, v4
	v_cmp_ne_u64_e32 vcc, 0, v[69:70]
	v_cmp_eq_u32_e64 s[36:37], 0, v188
	s_and_b64 s[38:39], vcc, s[36:37]
	v_add_u32_e32 v190, v172, v71
	; wave barrier
	s_and_saveexec_b64 s[36:37], s[38:39]
	s_cbranch_execz .LBB1152_439
; %bb.438:                              ;   in Loop: Header=BB1152_393 Depth=2
	v_bcnt_u32_b32 v4, v69, 0
	v_bcnt_u32_b32 v4, v70, v4
	s_waitcnt lgkmcnt(0)
	v_add_u32_e32 v4, v186, v4
	ds_write_b32 v190, v4 offset:1040
.LBB1152_439:                           ;   in Loop: Header=BB1152_393 Depth=2
	s_or_b64 exec, exec, s[36:37]
	v_cmp_gt_i64_e32 vcc, 0, v[57:58]
	v_ashrrev_i32_e32 v69, 31, v58
	v_cndmask_b32_e64 v4, v133, 0, vcc
	v_not_b32_e32 v69, v69
	v_xor_b32_e32 v58, v4, v58
	v_xor_b32_e32 v57, v69, v57
	v_cmp_ne_u64_e32 vcc, s[72:73], v[57:58]
	v_cndmask_b32_e32 v70, v133, v58, vcc
	v_cndmask_b32_e32 v69, -1, v57, vcc
	v_lshrrev_b64 v[69:70], s95, v[69:70]
	; wave barrier
	v_and_b32_e32 v69, s97, v69
	v_mad_u32_u24 v4, v69, 20, v172
	ds_read_b32 v189, v4 offset:1040
	v_and_b32_e32 v4, 1, v69
	v_add_co_u32_e32 v70, vcc, -1, v4
	v_addc_co_u32_e64 v72, s[36:37], 0, -1, vcc
	v_cmp_ne_u32_e32 vcc, 0, v4
	v_xor_b32_e32 v4, vcc_hi, v72
	v_and_b32_e32 v72, exec_hi, v4
	v_lshlrev_b32_e32 v4, 30, v69
	v_xor_b32_e32 v70, vcc_lo, v70
	v_cmp_gt_i64_e32 vcc, 0, v[3:4]
	v_not_b32_e32 v4, v4
	v_ashrrev_i32_e32 v4, 31, v4
	v_and_b32_e32 v70, exec_lo, v70
	v_xor_b32_e32 v191, vcc_hi, v4
	v_xor_b32_e32 v4, vcc_lo, v4
	v_and_b32_e32 v70, v70, v4
	v_lshlrev_b32_e32 v4, 29, v69
	v_cmp_gt_i64_e32 vcc, 0, v[3:4]
	v_not_b32_e32 v4, v4
	v_ashrrev_i32_e32 v4, 31, v4
	v_and_b32_e32 v72, v72, v191
	v_xor_b32_e32 v191, vcc_hi, v4
	v_xor_b32_e32 v4, vcc_lo, v4
	v_and_b32_e32 v70, v70, v4
	v_lshlrev_b32_e32 v4, 28, v69
	v_cmp_gt_i64_e32 vcc, 0, v[3:4]
	v_not_b32_e32 v4, v4
	v_ashrrev_i32_e32 v4, 31, v4
	v_and_b32_e32 v72, v72, v191
	v_xor_b32_e32 v191, vcc_hi, v4
	v_xor_b32_e32 v4, vcc_lo, v4
	v_and_b32_e32 v70, v70, v4
	v_lshlrev_b32_e32 v4, 27, v69
	v_cmp_gt_i64_e32 vcc, 0, v[3:4]
	v_not_b32_e32 v4, v4
	v_ashrrev_i32_e32 v4, 31, v4
	v_and_b32_e32 v72, v72, v191
	v_xor_b32_e32 v191, vcc_hi, v4
	v_xor_b32_e32 v4, vcc_lo, v4
	v_and_b32_e32 v70, v70, v4
	v_lshlrev_b32_e32 v4, 26, v69
	v_cmp_gt_i64_e32 vcc, 0, v[3:4]
	v_not_b32_e32 v4, v4
	v_ashrrev_i32_e32 v4, 31, v4
	v_and_b32_e32 v72, v72, v191
	v_xor_b32_e32 v191, vcc_hi, v4
	v_xor_b32_e32 v4, vcc_lo, v4
	v_and_b32_e32 v70, v70, v4
	v_lshlrev_b32_e32 v4, 25, v69
	v_cmp_gt_i64_e32 vcc, 0, v[3:4]
	v_not_b32_e32 v4, v4
	v_ashrrev_i32_e32 v4, 31, v4
	v_and_b32_e32 v72, v72, v191
	v_xor_b32_e32 v191, vcc_hi, v4
	v_xor_b32_e32 v4, vcc_lo, v4
	v_and_b32_e32 v72, v72, v191
	v_and_b32_e32 v191, v70, v4
	v_lshlrev_b32_e32 v4, 24, v69
	v_cmp_gt_i64_e32 vcc, 0, v[3:4]
	v_not_b32_e32 v4, v4
	v_ashrrev_i32_e32 v4, 31, v4
	v_mul_u32_u24_e32 v71, 20, v69
	v_xor_b32_e32 v69, vcc_hi, v4
	v_xor_b32_e32 v4, vcc_lo, v4
	v_and_b32_e32 v70, v72, v69
	v_and_b32_e32 v69, v191, v4
	v_mbcnt_lo_u32_b32 v4, v69, 0
	v_mbcnt_hi_u32_b32 v191, v70, v4
	v_cmp_ne_u64_e32 vcc, 0, v[69:70]
	v_cmp_eq_u32_e64 s[36:37], 0, v191
	s_and_b64 s[38:39], vcc, s[36:37]
	v_add_u32_e32 v193, v172, v71
	; wave barrier
	s_and_saveexec_b64 s[36:37], s[38:39]
	s_cbranch_execz .LBB1152_441
; %bb.440:                              ;   in Loop: Header=BB1152_393 Depth=2
	v_bcnt_u32_b32 v4, v69, 0
	v_bcnt_u32_b32 v4, v70, v4
	s_waitcnt lgkmcnt(0)
	v_add_u32_e32 v4, v189, v4
	ds_write_b32 v193, v4 offset:1040
.LBB1152_441:                           ;   in Loop: Header=BB1152_393 Depth=2
	s_or_b64 exec, exec, s[36:37]
	v_cmp_gt_i64_e32 vcc, 0, v[63:64]
	v_ashrrev_i32_e32 v69, 31, v64
	v_cndmask_b32_e64 v4, v133, 0, vcc
	v_not_b32_e32 v69, v69
	v_xor_b32_e32 v64, v4, v64
	v_xor_b32_e32 v63, v69, v63
	v_cmp_ne_u64_e32 vcc, s[72:73], v[63:64]
	v_cndmask_b32_e32 v70, v133, v64, vcc
	v_cndmask_b32_e32 v69, -1, v63, vcc
	v_lshrrev_b64 v[69:70], s95, v[69:70]
	; wave barrier
	v_and_b32_e32 v69, s97, v69
	v_mad_u32_u24 v4, v69, 20, v172
	ds_read_b32 v192, v4 offset:1040
	v_and_b32_e32 v4, 1, v69
	v_add_co_u32_e32 v70, vcc, -1, v4
	v_addc_co_u32_e64 v72, s[36:37], 0, -1, vcc
	v_cmp_ne_u32_e32 vcc, 0, v4
	v_xor_b32_e32 v4, vcc_hi, v72
	v_and_b32_e32 v72, exec_hi, v4
	v_lshlrev_b32_e32 v4, 30, v69
	v_xor_b32_e32 v70, vcc_lo, v70
	v_cmp_gt_i64_e32 vcc, 0, v[3:4]
	v_not_b32_e32 v4, v4
	v_ashrrev_i32_e32 v4, 31, v4
	v_and_b32_e32 v70, exec_lo, v70
	v_xor_b32_e32 v194, vcc_hi, v4
	v_xor_b32_e32 v4, vcc_lo, v4
	v_and_b32_e32 v70, v70, v4
	v_lshlrev_b32_e32 v4, 29, v69
	v_cmp_gt_i64_e32 vcc, 0, v[3:4]
	v_not_b32_e32 v4, v4
	v_ashrrev_i32_e32 v4, 31, v4
	v_and_b32_e32 v72, v72, v194
	v_xor_b32_e32 v194, vcc_hi, v4
	v_xor_b32_e32 v4, vcc_lo, v4
	v_and_b32_e32 v70, v70, v4
	v_lshlrev_b32_e32 v4, 28, v69
	v_cmp_gt_i64_e32 vcc, 0, v[3:4]
	v_not_b32_e32 v4, v4
	v_ashrrev_i32_e32 v4, 31, v4
	v_and_b32_e32 v72, v72, v194
	;; [unrolled: 8-line block ×5, first 2 shown]
	v_xor_b32_e32 v194, vcc_hi, v4
	v_xor_b32_e32 v4, vcc_lo, v4
	v_and_b32_e32 v72, v72, v194
	v_and_b32_e32 v194, v70, v4
	v_lshlrev_b32_e32 v4, 24, v69
	v_cmp_gt_i64_e32 vcc, 0, v[3:4]
	v_not_b32_e32 v4, v4
	v_ashrrev_i32_e32 v4, 31, v4
	v_mul_u32_u24_e32 v71, 20, v69
	v_xor_b32_e32 v69, vcc_hi, v4
	v_xor_b32_e32 v4, vcc_lo, v4
	v_and_b32_e32 v70, v72, v69
	v_and_b32_e32 v69, v194, v4
	v_mbcnt_lo_u32_b32 v4, v69, 0
	v_mbcnt_hi_u32_b32 v194, v70, v4
	v_cmp_ne_u64_e32 vcc, 0, v[69:70]
	v_cmp_eq_u32_e64 s[36:37], 0, v194
	s_and_b64 s[38:39], vcc, s[36:37]
	v_add_u32_e32 v196, v172, v71
	; wave barrier
	s_and_saveexec_b64 s[36:37], s[38:39]
	s_cbranch_execz .LBB1152_443
; %bb.442:                              ;   in Loop: Header=BB1152_393 Depth=2
	v_bcnt_u32_b32 v4, v69, 0
	v_bcnt_u32_b32 v4, v70, v4
	s_waitcnt lgkmcnt(0)
	v_add_u32_e32 v4, v192, v4
	ds_write_b32 v196, v4 offset:1040
.LBB1152_443:                           ;   in Loop: Header=BB1152_393 Depth=2
	s_or_b64 exec, exec, s[36:37]
	v_cmp_gt_i64_e32 vcc, 0, v[65:66]
	v_ashrrev_i32_e32 v69, 31, v66
	v_cndmask_b32_e64 v4, v133, 0, vcc
	v_not_b32_e32 v69, v69
	v_xor_b32_e32 v66, v4, v66
	v_xor_b32_e32 v65, v69, v65
	v_cmp_ne_u64_e32 vcc, s[72:73], v[65:66]
	v_cndmask_b32_e32 v70, v133, v66, vcc
	v_cndmask_b32_e32 v69, -1, v65, vcc
	v_lshrrev_b64 v[69:70], s95, v[69:70]
	; wave barrier
	v_and_b32_e32 v69, s97, v69
	v_mad_u32_u24 v4, v69, 20, v172
	ds_read_b32 v195, v4 offset:1040
	v_and_b32_e32 v4, 1, v69
	v_add_co_u32_e32 v70, vcc, -1, v4
	v_addc_co_u32_e64 v72, s[36:37], 0, -1, vcc
	v_cmp_ne_u32_e32 vcc, 0, v4
	v_xor_b32_e32 v4, vcc_hi, v72
	v_and_b32_e32 v72, exec_hi, v4
	v_lshlrev_b32_e32 v4, 30, v69
	v_xor_b32_e32 v70, vcc_lo, v70
	v_cmp_gt_i64_e32 vcc, 0, v[3:4]
	v_not_b32_e32 v4, v4
	v_ashrrev_i32_e32 v4, 31, v4
	v_and_b32_e32 v70, exec_lo, v70
	v_xor_b32_e32 v197, vcc_hi, v4
	v_xor_b32_e32 v4, vcc_lo, v4
	v_and_b32_e32 v70, v70, v4
	v_lshlrev_b32_e32 v4, 29, v69
	v_cmp_gt_i64_e32 vcc, 0, v[3:4]
	v_not_b32_e32 v4, v4
	v_ashrrev_i32_e32 v4, 31, v4
	v_and_b32_e32 v72, v72, v197
	v_xor_b32_e32 v197, vcc_hi, v4
	v_xor_b32_e32 v4, vcc_lo, v4
	v_and_b32_e32 v70, v70, v4
	v_lshlrev_b32_e32 v4, 28, v69
	v_cmp_gt_i64_e32 vcc, 0, v[3:4]
	v_not_b32_e32 v4, v4
	v_ashrrev_i32_e32 v4, 31, v4
	v_and_b32_e32 v72, v72, v197
	;; [unrolled: 8-line block ×5, first 2 shown]
	v_xor_b32_e32 v197, vcc_hi, v4
	v_xor_b32_e32 v4, vcc_lo, v4
	v_and_b32_e32 v72, v72, v197
	v_and_b32_e32 v197, v70, v4
	v_lshlrev_b32_e32 v4, 24, v69
	v_cmp_gt_i64_e32 vcc, 0, v[3:4]
	v_not_b32_e32 v4, v4
	v_ashrrev_i32_e32 v4, 31, v4
	v_mul_u32_u24_e32 v71, 20, v69
	v_xor_b32_e32 v69, vcc_hi, v4
	v_xor_b32_e32 v4, vcc_lo, v4
	v_and_b32_e32 v70, v72, v69
	v_and_b32_e32 v69, v197, v4
	v_mbcnt_lo_u32_b32 v4, v69, 0
	v_mbcnt_hi_u32_b32 v197, v70, v4
	v_cmp_ne_u64_e32 vcc, 0, v[69:70]
	v_cmp_eq_u32_e64 s[36:37], 0, v197
	s_and_b64 s[38:39], vcc, s[36:37]
	v_add_u32_e32 v199, v172, v71
	; wave barrier
	s_and_saveexec_b64 s[36:37], s[38:39]
	s_cbranch_execz .LBB1152_445
; %bb.444:                              ;   in Loop: Header=BB1152_393 Depth=2
	v_bcnt_u32_b32 v4, v69, 0
	v_bcnt_u32_b32 v4, v70, v4
	s_waitcnt lgkmcnt(0)
	v_add_u32_e32 v4, v195, v4
	ds_write_b32 v199, v4 offset:1040
.LBB1152_445:                           ;   in Loop: Header=BB1152_393 Depth=2
	s_or_b64 exec, exec, s[36:37]
	v_cmp_gt_i64_e32 vcc, 0, v[67:68]
	v_ashrrev_i32_e32 v69, 31, v68
	v_cndmask_b32_e64 v4, v133, 0, vcc
	v_not_b32_e32 v69, v69
	v_xor_b32_e32 v68, v4, v68
	v_xor_b32_e32 v67, v69, v67
	v_cmp_ne_u64_e32 vcc, s[72:73], v[67:68]
	v_cndmask_b32_e32 v70, v133, v68, vcc
	v_cndmask_b32_e32 v69, -1, v67, vcc
	v_lshrrev_b64 v[69:70], s95, v[69:70]
	; wave barrier
	v_and_b32_e32 v69, s97, v69
	v_mad_u32_u24 v4, v69, 20, v172
	ds_read_b32 v198, v4 offset:1040
	v_and_b32_e32 v4, 1, v69
	v_add_co_u32_e32 v70, vcc, -1, v4
	v_addc_co_u32_e64 v72, s[36:37], 0, -1, vcc
	v_cmp_ne_u32_e32 vcc, 0, v4
	v_xor_b32_e32 v4, vcc_hi, v72
	v_and_b32_e32 v72, exec_hi, v4
	v_lshlrev_b32_e32 v4, 30, v69
	v_xor_b32_e32 v70, vcc_lo, v70
	v_cmp_gt_i64_e32 vcc, 0, v[3:4]
	v_not_b32_e32 v4, v4
	v_ashrrev_i32_e32 v4, 31, v4
	v_and_b32_e32 v70, exec_lo, v70
	v_xor_b32_e32 v200, vcc_hi, v4
	v_xor_b32_e32 v4, vcc_lo, v4
	v_and_b32_e32 v70, v70, v4
	v_lshlrev_b32_e32 v4, 29, v69
	v_cmp_gt_i64_e32 vcc, 0, v[3:4]
	v_not_b32_e32 v4, v4
	v_ashrrev_i32_e32 v4, 31, v4
	v_and_b32_e32 v72, v72, v200
	v_xor_b32_e32 v200, vcc_hi, v4
	v_xor_b32_e32 v4, vcc_lo, v4
	v_and_b32_e32 v70, v70, v4
	v_lshlrev_b32_e32 v4, 28, v69
	v_cmp_gt_i64_e32 vcc, 0, v[3:4]
	v_not_b32_e32 v4, v4
	v_ashrrev_i32_e32 v4, 31, v4
	v_and_b32_e32 v72, v72, v200
	;; [unrolled: 8-line block ×5, first 2 shown]
	v_xor_b32_e32 v200, vcc_hi, v4
	v_xor_b32_e32 v4, vcc_lo, v4
	v_and_b32_e32 v72, v72, v200
	v_and_b32_e32 v200, v70, v4
	v_lshlrev_b32_e32 v4, 24, v69
	v_cmp_gt_i64_e32 vcc, 0, v[3:4]
	v_not_b32_e32 v4, v4
	v_ashrrev_i32_e32 v4, 31, v4
	v_mul_u32_u24_e32 v71, 20, v69
	v_xor_b32_e32 v69, vcc_hi, v4
	v_xor_b32_e32 v4, vcc_lo, v4
	v_and_b32_e32 v70, v72, v69
	v_and_b32_e32 v69, v200, v4
	v_mbcnt_lo_u32_b32 v4, v69, 0
	v_mbcnt_hi_u32_b32 v200, v70, v4
	v_cmp_ne_u64_e32 vcc, 0, v[69:70]
	v_cmp_eq_u32_e64 s[36:37], 0, v200
	s_and_b64 s[38:39], vcc, s[36:37]
	v_add_u32_e32 v202, v172, v71
	; wave barrier
	s_and_saveexec_b64 s[36:37], s[38:39]
	s_cbranch_execz .LBB1152_447
; %bb.446:                              ;   in Loop: Header=BB1152_393 Depth=2
	v_bcnt_u32_b32 v4, v69, 0
	v_bcnt_u32_b32 v4, v70, v4
	s_waitcnt lgkmcnt(0)
	v_add_u32_e32 v4, v198, v4
	ds_write_b32 v202, v4 offset:1040
.LBB1152_447:                           ;   in Loop: Header=BB1152_393 Depth=2
	s_or_b64 exec, exec, s[36:37]
	v_cmp_gt_i64_e32 vcc, 0, v[61:62]
	v_ashrrev_i32_e32 v69, 31, v62
	v_cndmask_b32_e64 v4, v133, 0, vcc
	v_not_b32_e32 v69, v69
	v_xor_b32_e32 v62, v4, v62
	v_xor_b32_e32 v61, v69, v61
	v_cmp_ne_u64_e32 vcc, s[72:73], v[61:62]
	v_cndmask_b32_e32 v70, v133, v62, vcc
	v_cndmask_b32_e32 v69, -1, v61, vcc
	v_lshrrev_b64 v[69:70], s95, v[69:70]
	; wave barrier
	v_and_b32_e32 v69, s97, v69
	v_mad_u32_u24 v4, v69, 20, v172
	ds_read_b32 v201, v4 offset:1040
	v_and_b32_e32 v4, 1, v69
	v_add_co_u32_e32 v70, vcc, -1, v4
	v_addc_co_u32_e64 v72, s[36:37], 0, -1, vcc
	v_cmp_ne_u32_e32 vcc, 0, v4
	v_xor_b32_e32 v4, vcc_hi, v72
	v_and_b32_e32 v72, exec_hi, v4
	v_lshlrev_b32_e32 v4, 30, v69
	v_xor_b32_e32 v70, vcc_lo, v70
	v_cmp_gt_i64_e32 vcc, 0, v[3:4]
	v_not_b32_e32 v4, v4
	v_ashrrev_i32_e32 v4, 31, v4
	v_and_b32_e32 v70, exec_lo, v70
	v_xor_b32_e32 v203, vcc_hi, v4
	v_xor_b32_e32 v4, vcc_lo, v4
	v_and_b32_e32 v70, v70, v4
	v_lshlrev_b32_e32 v4, 29, v69
	v_cmp_gt_i64_e32 vcc, 0, v[3:4]
	v_not_b32_e32 v4, v4
	v_ashrrev_i32_e32 v4, 31, v4
	v_and_b32_e32 v72, v72, v203
	v_xor_b32_e32 v203, vcc_hi, v4
	v_xor_b32_e32 v4, vcc_lo, v4
	v_and_b32_e32 v70, v70, v4
	v_lshlrev_b32_e32 v4, 28, v69
	v_cmp_gt_i64_e32 vcc, 0, v[3:4]
	v_not_b32_e32 v4, v4
	v_ashrrev_i32_e32 v4, 31, v4
	v_and_b32_e32 v72, v72, v203
	;; [unrolled: 8-line block ×5, first 2 shown]
	v_xor_b32_e32 v203, vcc_hi, v4
	v_xor_b32_e32 v4, vcc_lo, v4
	v_and_b32_e32 v72, v72, v203
	v_and_b32_e32 v203, v70, v4
	v_lshlrev_b32_e32 v4, 24, v69
	v_cmp_gt_i64_e32 vcc, 0, v[3:4]
	v_not_b32_e32 v4, v4
	v_ashrrev_i32_e32 v4, 31, v4
	v_mul_u32_u24_e32 v71, 20, v69
	v_xor_b32_e32 v69, vcc_hi, v4
	v_xor_b32_e32 v4, vcc_lo, v4
	v_and_b32_e32 v70, v72, v69
	v_and_b32_e32 v69, v203, v4
	v_mbcnt_lo_u32_b32 v4, v69, 0
	v_mbcnt_hi_u32_b32 v203, v70, v4
	v_cmp_ne_u64_e32 vcc, 0, v[69:70]
	v_cmp_eq_u32_e64 s[36:37], 0, v203
	s_and_b64 s[38:39], vcc, s[36:37]
	v_add_u32_e32 v205, v172, v71
	; wave barrier
	s_and_saveexec_b64 s[36:37], s[38:39]
	s_cbranch_execz .LBB1152_449
; %bb.448:                              ;   in Loop: Header=BB1152_393 Depth=2
	v_bcnt_u32_b32 v4, v69, 0
	v_bcnt_u32_b32 v4, v70, v4
	s_waitcnt lgkmcnt(0)
	v_add_u32_e32 v4, v201, v4
	ds_write_b32 v205, v4 offset:1040
.LBB1152_449:                           ;   in Loop: Header=BB1152_393 Depth=2
	s_or_b64 exec, exec, s[36:37]
	v_cmp_gt_i64_e32 vcc, 0, v[59:60]
	v_ashrrev_i32_e32 v69, 31, v60
	v_cndmask_b32_e64 v4, v133, 0, vcc
	v_not_b32_e32 v69, v69
	v_xor_b32_e32 v60, v4, v60
	v_xor_b32_e32 v59, v69, v59
	v_cmp_ne_u64_e32 vcc, s[72:73], v[59:60]
	v_cndmask_b32_e32 v70, v133, v60, vcc
	v_cndmask_b32_e32 v69, -1, v59, vcc
	v_lshrrev_b64 v[69:70], s95, v[69:70]
	; wave barrier
	v_and_b32_e32 v69, s97, v69
	v_mad_u32_u24 v4, v69, 20, v172
	ds_read_b32 v204, v4 offset:1040
	v_and_b32_e32 v4, 1, v69
	v_add_co_u32_e32 v70, vcc, -1, v4
	v_addc_co_u32_e64 v72, s[36:37], 0, -1, vcc
	v_cmp_ne_u32_e32 vcc, 0, v4
	v_xor_b32_e32 v4, vcc_hi, v72
	v_and_b32_e32 v72, exec_hi, v4
	v_lshlrev_b32_e32 v4, 30, v69
	v_xor_b32_e32 v70, vcc_lo, v70
	v_cmp_gt_i64_e32 vcc, 0, v[3:4]
	v_not_b32_e32 v4, v4
	v_ashrrev_i32_e32 v4, 31, v4
	v_and_b32_e32 v70, exec_lo, v70
	v_xor_b32_e32 v206, vcc_hi, v4
	v_xor_b32_e32 v4, vcc_lo, v4
	v_and_b32_e32 v70, v70, v4
	v_lshlrev_b32_e32 v4, 29, v69
	v_cmp_gt_i64_e32 vcc, 0, v[3:4]
	v_not_b32_e32 v4, v4
	v_ashrrev_i32_e32 v4, 31, v4
	v_and_b32_e32 v72, v72, v206
	v_xor_b32_e32 v206, vcc_hi, v4
	v_xor_b32_e32 v4, vcc_lo, v4
	v_and_b32_e32 v70, v70, v4
	v_lshlrev_b32_e32 v4, 28, v69
	v_cmp_gt_i64_e32 vcc, 0, v[3:4]
	v_not_b32_e32 v4, v4
	v_ashrrev_i32_e32 v4, 31, v4
	v_and_b32_e32 v72, v72, v206
	;; [unrolled: 8-line block ×5, first 2 shown]
	v_xor_b32_e32 v206, vcc_hi, v4
	v_xor_b32_e32 v4, vcc_lo, v4
	v_and_b32_e32 v72, v72, v206
	v_and_b32_e32 v206, v70, v4
	v_lshlrev_b32_e32 v4, 24, v69
	v_cmp_gt_i64_e32 vcc, 0, v[3:4]
	v_not_b32_e32 v4, v4
	v_ashrrev_i32_e32 v4, 31, v4
	v_mul_u32_u24_e32 v71, 20, v69
	v_xor_b32_e32 v69, vcc_hi, v4
	v_xor_b32_e32 v4, vcc_lo, v4
	v_and_b32_e32 v70, v72, v69
	v_and_b32_e32 v69, v206, v4
	v_mbcnt_lo_u32_b32 v4, v69, 0
	v_mbcnt_hi_u32_b32 v206, v70, v4
	v_cmp_ne_u64_e32 vcc, 0, v[69:70]
	v_cmp_eq_u32_e64 s[36:37], 0, v206
	s_and_b64 s[38:39], vcc, s[36:37]
	v_add_u32_e32 v208, v172, v71
	; wave barrier
	s_and_saveexec_b64 s[36:37], s[38:39]
	s_cbranch_execz .LBB1152_451
; %bb.450:                              ;   in Loop: Header=BB1152_393 Depth=2
	v_bcnt_u32_b32 v4, v69, 0
	v_bcnt_u32_b32 v4, v70, v4
	s_waitcnt lgkmcnt(0)
	v_add_u32_e32 v4, v204, v4
	ds_write_b32 v208, v4 offset:1040
.LBB1152_451:                           ;   in Loop: Header=BB1152_393 Depth=2
	s_or_b64 exec, exec, s[36:37]
	v_cmp_gt_i64_e32 vcc, 0, v[55:56]
	v_ashrrev_i32_e32 v69, 31, v56
	v_cndmask_b32_e64 v4, v133, 0, vcc
	v_not_b32_e32 v69, v69
	v_xor_b32_e32 v56, v4, v56
	v_xor_b32_e32 v55, v69, v55
	v_cmp_ne_u64_e32 vcc, s[72:73], v[55:56]
	v_cndmask_b32_e32 v70, v133, v56, vcc
	v_cndmask_b32_e32 v69, -1, v55, vcc
	v_lshrrev_b64 v[69:70], s95, v[69:70]
	; wave barrier
	v_and_b32_e32 v69, s97, v69
	v_mad_u32_u24 v4, v69, 20, v172
	ds_read_b32 v207, v4 offset:1040
	v_and_b32_e32 v4, 1, v69
	v_add_co_u32_e32 v70, vcc, -1, v4
	v_addc_co_u32_e64 v72, s[36:37], 0, -1, vcc
	v_cmp_ne_u32_e32 vcc, 0, v4
	v_xor_b32_e32 v4, vcc_hi, v72
	v_and_b32_e32 v72, exec_hi, v4
	v_lshlrev_b32_e32 v4, 30, v69
	v_xor_b32_e32 v70, vcc_lo, v70
	v_cmp_gt_i64_e32 vcc, 0, v[3:4]
	v_not_b32_e32 v4, v4
	v_ashrrev_i32_e32 v4, 31, v4
	v_and_b32_e32 v70, exec_lo, v70
	v_xor_b32_e32 v209, vcc_hi, v4
	v_xor_b32_e32 v4, vcc_lo, v4
	v_and_b32_e32 v70, v70, v4
	v_lshlrev_b32_e32 v4, 29, v69
	v_cmp_gt_i64_e32 vcc, 0, v[3:4]
	v_not_b32_e32 v4, v4
	v_ashrrev_i32_e32 v4, 31, v4
	v_and_b32_e32 v72, v72, v209
	v_xor_b32_e32 v209, vcc_hi, v4
	v_xor_b32_e32 v4, vcc_lo, v4
	v_and_b32_e32 v70, v70, v4
	v_lshlrev_b32_e32 v4, 28, v69
	v_cmp_gt_i64_e32 vcc, 0, v[3:4]
	v_not_b32_e32 v4, v4
	v_ashrrev_i32_e32 v4, 31, v4
	v_and_b32_e32 v72, v72, v209
	;; [unrolled: 8-line block ×5, first 2 shown]
	v_xor_b32_e32 v209, vcc_hi, v4
	v_xor_b32_e32 v4, vcc_lo, v4
	v_and_b32_e32 v72, v72, v209
	v_and_b32_e32 v209, v70, v4
	v_lshlrev_b32_e32 v4, 24, v69
	v_cmp_gt_i64_e32 vcc, 0, v[3:4]
	v_not_b32_e32 v4, v4
	v_ashrrev_i32_e32 v4, 31, v4
	v_mul_u32_u24_e32 v71, 20, v69
	v_xor_b32_e32 v69, vcc_hi, v4
	v_xor_b32_e32 v4, vcc_lo, v4
	v_and_b32_e32 v70, v72, v69
	v_and_b32_e32 v69, v209, v4
	v_mbcnt_lo_u32_b32 v4, v69, 0
	v_mbcnt_hi_u32_b32 v209, v70, v4
	v_cmp_ne_u64_e32 vcc, 0, v[69:70]
	v_cmp_eq_u32_e64 s[36:37], 0, v209
	s_and_b64 s[38:39], vcc, s[36:37]
	v_add_u32_e32 v211, v172, v71
	; wave barrier
	s_and_saveexec_b64 s[36:37], s[38:39]
	s_cbranch_execz .LBB1152_453
; %bb.452:                              ;   in Loop: Header=BB1152_393 Depth=2
	v_bcnt_u32_b32 v4, v69, 0
	v_bcnt_u32_b32 v4, v70, v4
	s_waitcnt lgkmcnt(0)
	v_add_u32_e32 v4, v207, v4
	ds_write_b32 v211, v4 offset:1040
.LBB1152_453:                           ;   in Loop: Header=BB1152_393 Depth=2
	s_or_b64 exec, exec, s[36:37]
	v_cmp_gt_i64_e32 vcc, 0, v[51:52]
	v_ashrrev_i32_e32 v69, 31, v52
	v_cndmask_b32_e64 v4, v133, 0, vcc
	v_not_b32_e32 v69, v69
	v_xor_b32_e32 v52, v4, v52
	v_xor_b32_e32 v51, v69, v51
	v_cmp_ne_u64_e32 vcc, s[72:73], v[51:52]
	v_cndmask_b32_e32 v70, v133, v52, vcc
	v_cndmask_b32_e32 v69, -1, v51, vcc
	v_lshrrev_b64 v[69:70], s95, v[69:70]
	; wave barrier
	v_and_b32_e32 v69, s97, v69
	v_mad_u32_u24 v4, v69, 20, v172
	ds_read_b32 v210, v4 offset:1040
	v_and_b32_e32 v4, 1, v69
	v_add_co_u32_e32 v70, vcc, -1, v4
	v_addc_co_u32_e64 v72, s[36:37], 0, -1, vcc
	v_cmp_ne_u32_e32 vcc, 0, v4
	v_xor_b32_e32 v4, vcc_hi, v72
	v_and_b32_e32 v72, exec_hi, v4
	v_lshlrev_b32_e32 v4, 30, v69
	v_xor_b32_e32 v70, vcc_lo, v70
	v_cmp_gt_i64_e32 vcc, 0, v[3:4]
	v_not_b32_e32 v4, v4
	v_ashrrev_i32_e32 v4, 31, v4
	v_and_b32_e32 v70, exec_lo, v70
	v_xor_b32_e32 v212, vcc_hi, v4
	v_xor_b32_e32 v4, vcc_lo, v4
	v_and_b32_e32 v70, v70, v4
	v_lshlrev_b32_e32 v4, 29, v69
	v_cmp_gt_i64_e32 vcc, 0, v[3:4]
	v_not_b32_e32 v4, v4
	v_ashrrev_i32_e32 v4, 31, v4
	v_and_b32_e32 v72, v72, v212
	v_xor_b32_e32 v212, vcc_hi, v4
	v_xor_b32_e32 v4, vcc_lo, v4
	v_and_b32_e32 v70, v70, v4
	v_lshlrev_b32_e32 v4, 28, v69
	v_cmp_gt_i64_e32 vcc, 0, v[3:4]
	v_not_b32_e32 v4, v4
	v_ashrrev_i32_e32 v4, 31, v4
	v_and_b32_e32 v72, v72, v212
	;; [unrolled: 8-line block ×5, first 2 shown]
	v_xor_b32_e32 v212, vcc_hi, v4
	v_xor_b32_e32 v4, vcc_lo, v4
	v_and_b32_e32 v72, v72, v212
	v_and_b32_e32 v212, v70, v4
	v_lshlrev_b32_e32 v4, 24, v69
	v_cmp_gt_i64_e32 vcc, 0, v[3:4]
	v_not_b32_e32 v4, v4
	v_ashrrev_i32_e32 v4, 31, v4
	v_mul_u32_u24_e32 v71, 20, v69
	v_xor_b32_e32 v69, vcc_hi, v4
	v_xor_b32_e32 v4, vcc_lo, v4
	v_and_b32_e32 v70, v72, v69
	v_and_b32_e32 v69, v212, v4
	v_mbcnt_lo_u32_b32 v4, v69, 0
	v_mbcnt_hi_u32_b32 v212, v70, v4
	v_cmp_ne_u64_e32 vcc, 0, v[69:70]
	v_cmp_eq_u32_e64 s[36:37], 0, v212
	s_and_b64 s[38:39], vcc, s[36:37]
	v_add_u32_e32 v214, v172, v71
	; wave barrier
	s_and_saveexec_b64 s[36:37], s[38:39]
	s_cbranch_execz .LBB1152_455
; %bb.454:                              ;   in Loop: Header=BB1152_393 Depth=2
	v_bcnt_u32_b32 v4, v69, 0
	v_bcnt_u32_b32 v4, v70, v4
	s_waitcnt lgkmcnt(0)
	v_add_u32_e32 v4, v210, v4
	ds_write_b32 v214, v4 offset:1040
.LBB1152_455:                           ;   in Loop: Header=BB1152_393 Depth=2
	s_or_b64 exec, exec, s[36:37]
	v_cmp_gt_i64_e32 vcc, 0, v[47:48]
	v_ashrrev_i32_e32 v69, 31, v48
	v_cndmask_b32_e64 v4, v133, 0, vcc
	v_not_b32_e32 v69, v69
	v_xor_b32_e32 v48, v4, v48
	v_xor_b32_e32 v47, v69, v47
	v_cmp_ne_u64_e32 vcc, s[72:73], v[47:48]
	v_cndmask_b32_e32 v70, v133, v48, vcc
	v_cndmask_b32_e32 v69, -1, v47, vcc
	v_lshrrev_b64 v[69:70], s95, v[69:70]
	; wave barrier
	v_and_b32_e32 v69, s97, v69
	v_mad_u32_u24 v4, v69, 20, v172
	ds_read_b32 v213, v4 offset:1040
	v_and_b32_e32 v4, 1, v69
	v_add_co_u32_e32 v70, vcc, -1, v4
	v_addc_co_u32_e64 v72, s[36:37], 0, -1, vcc
	v_cmp_ne_u32_e32 vcc, 0, v4
	v_xor_b32_e32 v4, vcc_hi, v72
	v_and_b32_e32 v72, exec_hi, v4
	v_lshlrev_b32_e32 v4, 30, v69
	v_xor_b32_e32 v70, vcc_lo, v70
	v_cmp_gt_i64_e32 vcc, 0, v[3:4]
	v_not_b32_e32 v4, v4
	v_ashrrev_i32_e32 v4, 31, v4
	v_and_b32_e32 v70, exec_lo, v70
	v_xor_b32_e32 v215, vcc_hi, v4
	v_xor_b32_e32 v4, vcc_lo, v4
	v_and_b32_e32 v70, v70, v4
	v_lshlrev_b32_e32 v4, 29, v69
	v_cmp_gt_i64_e32 vcc, 0, v[3:4]
	v_not_b32_e32 v4, v4
	v_ashrrev_i32_e32 v4, 31, v4
	v_and_b32_e32 v72, v72, v215
	v_xor_b32_e32 v215, vcc_hi, v4
	v_xor_b32_e32 v4, vcc_lo, v4
	v_and_b32_e32 v70, v70, v4
	v_lshlrev_b32_e32 v4, 28, v69
	v_cmp_gt_i64_e32 vcc, 0, v[3:4]
	v_not_b32_e32 v4, v4
	v_ashrrev_i32_e32 v4, 31, v4
	v_and_b32_e32 v72, v72, v215
	;; [unrolled: 8-line block ×5, first 2 shown]
	v_xor_b32_e32 v215, vcc_hi, v4
	v_xor_b32_e32 v4, vcc_lo, v4
	v_and_b32_e32 v72, v72, v215
	v_and_b32_e32 v215, v70, v4
	v_lshlrev_b32_e32 v4, 24, v69
	v_cmp_gt_i64_e32 vcc, 0, v[3:4]
	v_not_b32_e32 v4, v4
	v_ashrrev_i32_e32 v4, 31, v4
	v_mul_u32_u24_e32 v71, 20, v69
	v_xor_b32_e32 v69, vcc_hi, v4
	v_xor_b32_e32 v4, vcc_lo, v4
	v_and_b32_e32 v70, v72, v69
	v_and_b32_e32 v69, v215, v4
	v_mbcnt_lo_u32_b32 v4, v69, 0
	v_mbcnt_hi_u32_b32 v215, v70, v4
	v_cmp_ne_u64_e32 vcc, 0, v[69:70]
	v_cmp_eq_u32_e64 s[36:37], 0, v215
	s_and_b64 s[38:39], vcc, s[36:37]
	v_add_u32_e32 v217, v172, v71
	; wave barrier
	s_and_saveexec_b64 s[36:37], s[38:39]
	s_cbranch_execz .LBB1152_457
; %bb.456:                              ;   in Loop: Header=BB1152_393 Depth=2
	v_bcnt_u32_b32 v4, v69, 0
	v_bcnt_u32_b32 v4, v70, v4
	s_waitcnt lgkmcnt(0)
	v_add_u32_e32 v4, v213, v4
	ds_write_b32 v217, v4 offset:1040
.LBB1152_457:                           ;   in Loop: Header=BB1152_393 Depth=2
	s_or_b64 exec, exec, s[36:37]
	v_cmp_gt_i64_e32 vcc, 0, v[41:42]
	v_ashrrev_i32_e32 v69, 31, v42
	v_cndmask_b32_e64 v4, v133, 0, vcc
	v_not_b32_e32 v69, v69
	v_xor_b32_e32 v42, v4, v42
	v_xor_b32_e32 v41, v69, v41
	v_cmp_ne_u64_e32 vcc, s[72:73], v[41:42]
	v_cndmask_b32_e32 v70, v133, v42, vcc
	v_cndmask_b32_e32 v69, -1, v41, vcc
	v_lshrrev_b64 v[69:70], s95, v[69:70]
	; wave barrier
	v_and_b32_e32 v69, s97, v69
	v_mad_u32_u24 v4, v69, 20, v172
	ds_read_b32 v216, v4 offset:1040
	v_and_b32_e32 v4, 1, v69
	v_add_co_u32_e32 v70, vcc, -1, v4
	v_addc_co_u32_e64 v72, s[36:37], 0, -1, vcc
	v_cmp_ne_u32_e32 vcc, 0, v4
	v_xor_b32_e32 v4, vcc_hi, v72
	v_and_b32_e32 v72, exec_hi, v4
	v_lshlrev_b32_e32 v4, 30, v69
	v_xor_b32_e32 v70, vcc_lo, v70
	v_cmp_gt_i64_e32 vcc, 0, v[3:4]
	v_not_b32_e32 v4, v4
	v_ashrrev_i32_e32 v4, 31, v4
	v_and_b32_e32 v70, exec_lo, v70
	v_xor_b32_e32 v218, vcc_hi, v4
	v_xor_b32_e32 v4, vcc_lo, v4
	v_and_b32_e32 v70, v70, v4
	v_lshlrev_b32_e32 v4, 29, v69
	v_cmp_gt_i64_e32 vcc, 0, v[3:4]
	v_not_b32_e32 v4, v4
	v_ashrrev_i32_e32 v4, 31, v4
	v_and_b32_e32 v72, v72, v218
	v_xor_b32_e32 v218, vcc_hi, v4
	v_xor_b32_e32 v4, vcc_lo, v4
	v_and_b32_e32 v70, v70, v4
	v_lshlrev_b32_e32 v4, 28, v69
	v_cmp_gt_i64_e32 vcc, 0, v[3:4]
	v_not_b32_e32 v4, v4
	v_ashrrev_i32_e32 v4, 31, v4
	v_and_b32_e32 v72, v72, v218
	;; [unrolled: 8-line block ×5, first 2 shown]
	v_xor_b32_e32 v218, vcc_hi, v4
	v_xor_b32_e32 v4, vcc_lo, v4
	v_and_b32_e32 v72, v72, v218
	v_and_b32_e32 v218, v70, v4
	v_lshlrev_b32_e32 v4, 24, v69
	v_cmp_gt_i64_e32 vcc, 0, v[3:4]
	v_not_b32_e32 v4, v4
	v_ashrrev_i32_e32 v4, 31, v4
	v_mul_u32_u24_e32 v71, 20, v69
	v_xor_b32_e32 v69, vcc_hi, v4
	v_xor_b32_e32 v4, vcc_lo, v4
	v_and_b32_e32 v70, v72, v69
	v_and_b32_e32 v69, v218, v4
	v_mbcnt_lo_u32_b32 v4, v69, 0
	v_mbcnt_hi_u32_b32 v218, v70, v4
	v_cmp_ne_u64_e32 vcc, 0, v[69:70]
	v_cmp_eq_u32_e64 s[36:37], 0, v218
	s_and_b64 s[38:39], vcc, s[36:37]
	v_add_u32_e32 v220, v172, v71
	; wave barrier
	s_and_saveexec_b64 s[36:37], s[38:39]
	s_cbranch_execz .LBB1152_459
; %bb.458:                              ;   in Loop: Header=BB1152_393 Depth=2
	v_bcnt_u32_b32 v4, v69, 0
	v_bcnt_u32_b32 v4, v70, v4
	s_waitcnt lgkmcnt(0)
	v_add_u32_e32 v4, v216, v4
	ds_write_b32 v220, v4 offset:1040
.LBB1152_459:                           ;   in Loop: Header=BB1152_393 Depth=2
	s_or_b64 exec, exec, s[36:37]
	v_cmp_gt_i64_e32 vcc, 0, v[43:44]
	v_ashrrev_i32_e32 v69, 31, v44
	v_cndmask_b32_e64 v4, v133, 0, vcc
	v_not_b32_e32 v69, v69
	v_xor_b32_e32 v44, v4, v44
	v_xor_b32_e32 v43, v69, v43
	v_cmp_ne_u64_e32 vcc, s[72:73], v[43:44]
	v_cndmask_b32_e32 v70, v133, v44, vcc
	v_cndmask_b32_e32 v69, -1, v43, vcc
	v_lshrrev_b64 v[69:70], s95, v[69:70]
	; wave barrier
	v_and_b32_e32 v69, s97, v69
	v_mad_u32_u24 v4, v69, 20, v172
	ds_read_b32 v219, v4 offset:1040
	v_and_b32_e32 v4, 1, v69
	v_add_co_u32_e32 v70, vcc, -1, v4
	v_addc_co_u32_e64 v72, s[36:37], 0, -1, vcc
	v_cmp_ne_u32_e32 vcc, 0, v4
	v_xor_b32_e32 v4, vcc_hi, v72
	v_and_b32_e32 v72, exec_hi, v4
	v_lshlrev_b32_e32 v4, 30, v69
	v_xor_b32_e32 v70, vcc_lo, v70
	v_cmp_gt_i64_e32 vcc, 0, v[3:4]
	v_not_b32_e32 v4, v4
	v_ashrrev_i32_e32 v4, 31, v4
	v_and_b32_e32 v70, exec_lo, v70
	v_xor_b32_e32 v221, vcc_hi, v4
	v_xor_b32_e32 v4, vcc_lo, v4
	v_and_b32_e32 v70, v70, v4
	v_lshlrev_b32_e32 v4, 29, v69
	v_cmp_gt_i64_e32 vcc, 0, v[3:4]
	v_not_b32_e32 v4, v4
	v_ashrrev_i32_e32 v4, 31, v4
	v_and_b32_e32 v72, v72, v221
	v_xor_b32_e32 v221, vcc_hi, v4
	v_xor_b32_e32 v4, vcc_lo, v4
	v_and_b32_e32 v70, v70, v4
	v_lshlrev_b32_e32 v4, 28, v69
	v_cmp_gt_i64_e32 vcc, 0, v[3:4]
	v_not_b32_e32 v4, v4
	v_ashrrev_i32_e32 v4, 31, v4
	v_and_b32_e32 v72, v72, v221
	;; [unrolled: 8-line block ×5, first 2 shown]
	v_xor_b32_e32 v221, vcc_hi, v4
	v_xor_b32_e32 v4, vcc_lo, v4
	v_and_b32_e32 v72, v72, v221
	v_and_b32_e32 v221, v70, v4
	v_lshlrev_b32_e32 v4, 24, v69
	v_cmp_gt_i64_e32 vcc, 0, v[3:4]
	v_not_b32_e32 v4, v4
	v_ashrrev_i32_e32 v4, 31, v4
	v_mul_u32_u24_e32 v71, 20, v69
	v_xor_b32_e32 v69, vcc_hi, v4
	v_xor_b32_e32 v4, vcc_lo, v4
	v_and_b32_e32 v70, v72, v69
	v_and_b32_e32 v69, v221, v4
	v_mbcnt_lo_u32_b32 v4, v69, 0
	v_mbcnt_hi_u32_b32 v221, v70, v4
	v_cmp_ne_u64_e32 vcc, 0, v[69:70]
	v_cmp_eq_u32_e64 s[36:37], 0, v221
	s_and_b64 s[38:39], vcc, s[36:37]
	v_add_u32_e32 v4, v172, v71
	; wave barrier
	s_and_saveexec_b64 s[36:37], s[38:39]
	s_cbranch_execz .LBB1152_461
; %bb.460:                              ;   in Loop: Header=BB1152_393 Depth=2
	v_bcnt_u32_b32 v69, v69, 0
	v_bcnt_u32_b32 v69, v70, v69
	s_waitcnt lgkmcnt(0)
	v_add_u32_e32 v69, v219, v69
	ds_write_b32 v4, v69 offset:1040
.LBB1152_461:                           ;   in Loop: Header=BB1152_393 Depth=2
	s_or_b64 exec, exec, s[36:37]
	; wave barrier
	s_waitcnt lgkmcnt(0)
	s_barrier
	ds_read2_b32 v[71:72], v175 offset1:1
	ds_read2_b32 v[69:70], v174 offset1:1
	ds_read_b32 v222, v98 offset:1056
	s_waitcnt lgkmcnt(1)
	v_add3_u32 v223, v72, v71, v69
	s_waitcnt lgkmcnt(0)
	v_add3_u32 v222, v223, v70, v222
	s_nop 1
	v_mov_b32_dpp v223, v222 row_shr:1 row_mask:0xf bank_mask:0xf
	v_cndmask_b32_e64 v223, v223, 0, s[16:17]
	v_add_u32_e32 v222, v223, v222
	s_nop 1
	v_mov_b32_dpp v223, v222 row_shr:2 row_mask:0xf bank_mask:0xf
	v_cndmask_b32_e64 v223, 0, v223, s[18:19]
	v_add_u32_e32 v222, v222, v223
	;; [unrolled: 4-line block ×4, first 2 shown]
	s_nop 1
	v_mov_b32_dpp v223, v222 row_bcast:15 row_mask:0xf bank_mask:0xf
	v_cndmask_b32_e64 v223, v223, 0, s[24:25]
	v_add_u32_e32 v222, v222, v223
	s_nop 1
	v_mov_b32_dpp v223, v222 row_bcast:31 row_mask:0xf bank_mask:0xf
	v_cndmask_b32_e64 v223, 0, v223, s[26:27]
	v_add_u32_e32 v222, v222, v223
	s_and_saveexec_b64 s[36:37], s[6:7]
; %bb.462:                              ;   in Loop: Header=BB1152_393 Depth=2
	ds_write_b32 v93, v222 offset:1024
; %bb.463:                              ;   in Loop: Header=BB1152_393 Depth=2
	s_or_b64 exec, exec, s[36:37]
	s_waitcnt lgkmcnt(0)
	s_barrier
	s_and_saveexec_b64 s[36:37], s[8:9]
	s_cbranch_execz .LBB1152_465
; %bb.464:                              ;   in Loop: Header=BB1152_393 Depth=2
	ds_read_b32 v223, v99 offset:1024
	s_waitcnt lgkmcnt(0)
	s_nop 0
	v_mov_b32_dpp v224, v223 row_shr:1 row_mask:0xf bank_mask:0xf
	v_cndmask_b32_e64 v224, v224, 0, s[30:31]
	v_add_u32_e32 v223, v224, v223
	s_nop 1
	v_mov_b32_dpp v224, v223 row_shr:2 row_mask:0xf bank_mask:0xf
	v_cndmask_b32_e64 v224, 0, v224, s[34:35]
	v_add_u32_e32 v223, v223, v224
	ds_write_b32 v99, v223 offset:1024
.LBB1152_465:                           ;   in Loop: Header=BB1152_393 Depth=2
	s_or_b64 exec, exec, s[36:37]
	v_mov_b32_e32 v223, 0
	s_waitcnt lgkmcnt(0)
	s_barrier
	s_and_saveexec_b64 s[36:37], s[10:11]
; %bb.466:                              ;   in Loop: Header=BB1152_393 Depth=2
	ds_read_b32 v223, v93 offset:1020
; %bb.467:                              ;   in Loop: Header=BB1152_393 Depth=2
	s_or_b64 exec, exec, s[36:37]
	s_waitcnt lgkmcnt(0)
	v_add_u32_e32 v222, v223, v222
	ds_bpermute_b32 v222, v135, v222
	s_waitcnt lgkmcnt(0)
	v_cndmask_b32_e64 v222, v222, v223, s[28:29]
	v_cndmask_b32_e64 v222, v222, 0, s[12:13]
	v_add_u32_e32 v71, v222, v71
	v_add_u32_e32 v72, v71, v72
	;; [unrolled: 1-line block ×4, first 2 shown]
	ds_write2_b32 v175, v222, v71 offset1:1
	ds_write2_b32 v174, v72, v69 offset1:1
	ds_write_b32 v98, v70 offset:1056
	s_waitcnt lgkmcnt(0)
	s_barrier
	ds_read_b32 v69, v178 offset:1040
	ds_read_b32 v70, v181 offset:1040
	;; [unrolled: 1-line block ×17, first 2 shown]
	v_mov_b32_e32 v4, 0x1000
	s_and_saveexec_b64 s[36:37], s[14:15]
; %bb.468:                              ;   in Loop: Header=BB1152_393 Depth=2
	ds_read_b32 v4, v98 offset:1060
; %bb.469:                              ;   in Loop: Header=BB1152_393 Depth=2
	s_or_b64 exec, exec, s[36:37]
	s_waitcnt lgkmcnt(0)
	s_barrier
	s_and_saveexec_b64 s[36:37], s[4:5]
	s_cbranch_execz .LBB1152_471
; %bb.470:                              ;   in Loop: Header=BB1152_393 Depth=2
	ds_read_b32 v199, v73
	s_waitcnt lgkmcnt(0)
	v_sub_u32_e32 v196, v199, v196
	ds_write_b32 v73, v196
.LBB1152_471:                           ;   in Loop: Header=BB1152_393 Depth=2
	s_or_b64 exec, exec, s[36:37]
	v_lshlrev_b32_e32 v176, 3, v176
	v_lshl_add_u32 v69, v69, 3, v176
	ds_write_b64 v69, v[37:38] offset:1024
	v_lshlrev_b32_e32 v37, 3, v179
	v_lshlrev_b32_e32 v38, 3, v177
	;; [unrolled: 1-line block ×3, first 2 shown]
	v_add3_u32 v70, v37, v38, v70
	ds_write_b64 v70, v[39:40] offset:1024
	v_lshlrev_b32_e32 v37, 3, v182
	v_lshlrev_b32_e32 v38, 3, v180
	v_lshlrev_b32_e32 v39, 3, v225
	v_add3_u32 v39, v37, v38, v39
	v_lshlrev_b32_e32 v37, 3, v185
	v_lshlrev_b32_e32 v38, 3, v183
	v_lshlrev_b32_e32 v40, 3, v224
	ds_write_b64 v39, v[45:46] offset:1024
	v_add3_u32 v40, v37, v38, v40
	v_lshlrev_b32_e32 v37, 3, v188
	v_lshlrev_b32_e32 v38, 3, v186
	v_lshlrev_b32_e32 v45, 3, v223
	v_add3_u32 v45, v37, v38, v45
	v_lshlrev_b32_e32 v37, 3, v191
	v_lshlrev_b32_e32 v38, 3, v189
	v_lshlrev_b32_e32 v46, 3, v222
	ds_write_b64 v40, v[49:50] offset:1024
	v_add3_u32 v46, v37, v38, v46
	;; [unrolled: 9-line block ×4, first 2 shown]
	v_lshlrev_b32_e32 v37, 3, v206
	v_lshlrev_b32_e32 v38, 3, v204
	v_lshlrev_b32_e32 v57, 3, v181
	v_add3_u32 v57, v37, v38, v57
	v_lshlrev_b32_e32 v37, 3, v209
	v_lshlrev_b32_e32 v38, 3, v207
	;; [unrolled: 1-line block ×3, first 2 shown]
	v_add3_u32 v58, v37, v38, v58
	ds_write_b64 v49, v[63:64] offset:1024
	ds_write_b64 v50, v[65:66] offset:1024
	;; [unrolled: 1-line block ×6, first 2 shown]
	v_lshlrev_b32_e32 v37, 3, v212
	v_lshlrev_b32_e32 v38, 3, v210
	v_lshlrev_b32_e32 v55, 3, v175
	v_add3_u32 v55, v37, v38, v55
	ds_write_b64 v55, v[51:52] offset:1024
	v_lshlrev_b32_e32 v37, 3, v215
	v_lshlrev_b32_e32 v38, 3, v213
	v_lshlrev_b32_e32 v51, 3, v174
	v_add3_u32 v51, v37, v38, v51
	ds_write_b64 v51, v[47:48] offset:1024
	;; [unrolled: 5-line block ×3, first 2 shown]
	v_lshlrev_b32_e32 v37, 3, v221
	v_lshlrev_b32_e32 v38, 3, v219
	;; [unrolled: 1-line block ×3, first 2 shown]
	v_add3_u32 v41, v37, v38, v41
	v_cmp_lt_u32_e64 s[36:37], v0, v173
	ds_write_b64 v41, v[43:44] offset:1024
	s_waitcnt lgkmcnt(0)
	s_barrier
	s_and_saveexec_b64 s[38:39], s[36:37]
	s_cbranch_execnz .LBB1152_540
; %bb.472:                              ;   in Loop: Header=BB1152_393 Depth=2
	s_or_b64 exec, exec, s[38:39]
	v_cmp_lt_u32_e64 s[38:39], v74, v173
	s_and_saveexec_b64 s[40:41], s[38:39]
	s_cbranch_execnz .LBB1152_541
.LBB1152_473:                           ;   in Loop: Header=BB1152_393 Depth=2
	s_or_b64 exec, exec, s[40:41]
	v_cmp_lt_u32_e64 s[40:41], v75, v173
	s_and_saveexec_b64 s[42:43], s[40:41]
	s_cbranch_execnz .LBB1152_542
.LBB1152_474:                           ;   in Loop: Header=BB1152_393 Depth=2
	s_or_b64 exec, exec, s[42:43]
	v_cmp_lt_u32_e64 s[42:43], v76, v173
	s_and_saveexec_b64 s[44:45], s[42:43]
	s_cbranch_execnz .LBB1152_543
.LBB1152_475:                           ;   in Loop: Header=BB1152_393 Depth=2
	s_or_b64 exec, exec, s[44:45]
	v_cmp_lt_u32_e64 s[44:45], v79, v173
	s_and_saveexec_b64 s[46:47], s[44:45]
	s_cbranch_execnz .LBB1152_544
.LBB1152_476:                           ;   in Loop: Header=BB1152_393 Depth=2
	s_or_b64 exec, exec, s[46:47]
	v_cmp_lt_u32_e64 s[46:47], v80, v173
	s_and_saveexec_b64 s[48:49], s[46:47]
	s_cbranch_execnz .LBB1152_545
.LBB1152_477:                           ;   in Loop: Header=BB1152_393 Depth=2
	s_or_b64 exec, exec, s[48:49]
	v_cmp_lt_u32_e64 s[48:49], v81, v173
	s_and_saveexec_b64 s[50:51], s[48:49]
	s_cbranch_execnz .LBB1152_546
.LBB1152_478:                           ;   in Loop: Header=BB1152_393 Depth=2
	s_or_b64 exec, exec, s[50:51]
	v_cmp_lt_u32_e64 s[50:51], v82, v173
	s_and_saveexec_b64 s[52:53], s[50:51]
	s_cbranch_execnz .LBB1152_547
.LBB1152_479:                           ;   in Loop: Header=BB1152_393 Depth=2
	s_or_b64 exec, exec, s[52:53]
	v_cmp_lt_u32_e64 s[52:53], v83, v173
	s_and_saveexec_b64 s[54:55], s[52:53]
	s_cbranch_execnz .LBB1152_548
.LBB1152_480:                           ;   in Loop: Header=BB1152_393 Depth=2
	s_or_b64 exec, exec, s[54:55]
	v_cmp_lt_u32_e64 s[54:55], v84, v173
	s_and_saveexec_b64 s[56:57], s[54:55]
	s_cbranch_execnz .LBB1152_549
.LBB1152_481:                           ;   in Loop: Header=BB1152_393 Depth=2
	s_or_b64 exec, exec, s[56:57]
	v_cmp_lt_u32_e64 s[56:57], v85, v173
	s_and_saveexec_b64 s[58:59], s[56:57]
	s_cbranch_execnz .LBB1152_550
.LBB1152_482:                           ;   in Loop: Header=BB1152_393 Depth=2
	s_or_b64 exec, exec, s[58:59]
	v_cmp_lt_u32_e64 s[58:59], v86, v173
	s_and_saveexec_b64 s[60:61], s[58:59]
	s_cbranch_execnz .LBB1152_551
.LBB1152_483:                           ;   in Loop: Header=BB1152_393 Depth=2
	s_or_b64 exec, exec, s[60:61]
	v_cmp_lt_u32_e64 s[60:61], v87, v173
	s_and_saveexec_b64 s[62:63], s[60:61]
	s_cbranch_execnz .LBB1152_552
.LBB1152_484:                           ;   in Loop: Header=BB1152_393 Depth=2
	s_or_b64 exec, exec, s[62:63]
	v_cmp_lt_u32_e64 s[62:63], v88, v173
	s_and_saveexec_b64 s[64:65], s[62:63]
	s_cbranch_execnz .LBB1152_553
.LBB1152_485:                           ;   in Loop: Header=BB1152_393 Depth=2
	s_or_b64 exec, exec, s[64:65]
	v_cmp_lt_u32_e64 s[64:65], v89, v173
	s_and_saveexec_b64 s[66:67], s[64:65]
	s_cbranch_execnz .LBB1152_554
.LBB1152_486:                           ;   in Loop: Header=BB1152_393 Depth=2
	s_or_b64 exec, exec, s[66:67]
	v_cmp_lt_u32_e64 s[66:67], v90, v173
	s_and_saveexec_b64 s[92:93], s[66:67]
	s_cbranch_execz .LBB1152_488
.LBB1152_487:                           ;   in Loop: Header=BB1152_393 Depth=2
	ds_read_b64 v[37:38], v104 offset:31744
	v_mov_b32_e32 v43, v3
	v_mov_b32_e32 v44, s81
	s_waitcnt lgkmcnt(0)
	v_cmp_ne_u64_e32 vcc, s[72:73], v[37:38]
	v_ashrrev_i32_e32 v52, 31, v38
	v_cndmask_b32_e32 v60, v133, v38, vcc
	v_cndmask_b32_e32 v59, -1, v37, vcc
	v_lshrrev_b64 v[59:60], s95, v[59:60]
	v_cmp_gt_i64_e32 vcc, 0, v[37:38]
	v_and_b32_e32 v48, s97, v59
	v_lshlrev_b32_e32 v48, 2, v48
	ds_read_b32 v48, v48
	v_cndmask_b32_e64 v42, v133, 0, vcc
	v_xor_b32_e32 v38, v42, v38
	v_not_b32_e32 v52, v52
	v_xor_b32_e32 v37, v52, v37
	s_waitcnt lgkmcnt(0)
	v_add_u32_e32 v42, v48, v90
	v_lshlrev_b64 v[42:43], 3, v[42:43]
	v_add_co_u32_e32 v42, vcc, s80, v42
	v_addc_co_u32_e32 v43, vcc, v44, v43, vcc
	global_store_dwordx2 v[42:43], v[37:38], off
.LBB1152_488:                           ;   in Loop: Header=BB1152_393 Depth=2
	s_or_b64 exec, exec, s[92:93]
	s_mov_b32 s83, s72
	s_lshl_b64 s[82:83], s[82:83], 3
	v_mov_b32_e32 v38, s83
	v_add_co_u32_e32 v37, vcc, s82, v145
	v_addc_co_u32_e32 v38, vcc, v147, v38, vcc
	v_cmp_lt_u32_e32 vcc, v143, v173
	s_and_saveexec_b64 s[82:83], vcc
	s_xor_b64 s[82:83], exec, s[82:83]
	s_cbranch_execnz .LBB1152_555
; %bb.489:                              ;   in Loop: Header=BB1152_393 Depth=2
	s_or_b64 exec, exec, s[82:83]
	v_cmp_lt_u32_e32 vcc, v149, v173
	s_and_saveexec_b64 s[82:83], vcc
	s_cbranch_execnz .LBB1152_556
.LBB1152_490:                           ;   in Loop: Header=BB1152_393 Depth=2
	s_or_b64 exec, exec, s[82:83]
	v_cmp_lt_u32_e32 vcc, v151, v173
	s_and_saveexec_b64 s[82:83], vcc
	s_cbranch_execnz .LBB1152_557
.LBB1152_491:                           ;   in Loop: Header=BB1152_393 Depth=2
	s_or_b64 exec, exec, s[82:83]
	v_cmp_lt_u32_e32 vcc, v153, v173
	s_and_saveexec_b64 s[82:83], vcc
	s_cbranch_execnz .LBB1152_558
.LBB1152_492:                           ;   in Loop: Header=BB1152_393 Depth=2
	s_or_b64 exec, exec, s[82:83]
	v_cmp_lt_u32_e32 vcc, v155, v173
	s_and_saveexec_b64 s[82:83], vcc
	s_cbranch_execnz .LBB1152_559
.LBB1152_493:                           ;   in Loop: Header=BB1152_393 Depth=2
	s_or_b64 exec, exec, s[82:83]
	v_cmp_lt_u32_e32 vcc, v157, v173
	s_and_saveexec_b64 s[82:83], vcc
	s_cbranch_execnz .LBB1152_560
.LBB1152_494:                           ;   in Loop: Header=BB1152_393 Depth=2
	s_or_b64 exec, exec, s[82:83]
	v_cmp_lt_u32_e32 vcc, v159, v173
	s_and_saveexec_b64 s[82:83], vcc
	s_cbranch_execnz .LBB1152_561
.LBB1152_495:                           ;   in Loop: Header=BB1152_393 Depth=2
	s_or_b64 exec, exec, s[82:83]
	v_cmp_lt_u32_e32 vcc, v161, v173
	s_and_saveexec_b64 s[82:83], vcc
	s_cbranch_execnz .LBB1152_562
.LBB1152_496:                           ;   in Loop: Header=BB1152_393 Depth=2
	s_or_b64 exec, exec, s[82:83]
	v_cmp_lt_u32_e32 vcc, v162, v173
	s_and_saveexec_b64 s[82:83], vcc
	s_cbranch_execnz .LBB1152_563
.LBB1152_497:                           ;   in Loop: Header=BB1152_393 Depth=2
	s_or_b64 exec, exec, s[82:83]
	v_cmp_lt_u32_e32 vcc, v163, v173
	s_and_saveexec_b64 s[82:83], vcc
	s_cbranch_execnz .LBB1152_564
.LBB1152_498:                           ;   in Loop: Header=BB1152_393 Depth=2
	s_or_b64 exec, exec, s[82:83]
	v_cmp_lt_u32_e32 vcc, v164, v173
	s_and_saveexec_b64 s[82:83], vcc
	s_cbranch_execnz .LBB1152_565
.LBB1152_499:                           ;   in Loop: Header=BB1152_393 Depth=2
	s_or_b64 exec, exec, s[82:83]
	v_cmp_lt_u32_e32 vcc, v165, v173
	s_and_saveexec_b64 s[82:83], vcc
	s_cbranch_execnz .LBB1152_566
.LBB1152_500:                           ;   in Loop: Header=BB1152_393 Depth=2
	s_or_b64 exec, exec, s[82:83]
	v_cmp_lt_u32_e32 vcc, v166, v173
	s_and_saveexec_b64 s[82:83], vcc
	s_cbranch_execnz .LBB1152_567
.LBB1152_501:                           ;   in Loop: Header=BB1152_393 Depth=2
	s_or_b64 exec, exec, s[82:83]
	v_cmp_lt_u32_e32 vcc, v167, v173
	s_and_saveexec_b64 s[82:83], vcc
	s_cbranch_execnz .LBB1152_568
.LBB1152_502:                           ;   in Loop: Header=BB1152_393 Depth=2
	s_or_b64 exec, exec, s[82:83]
	v_cmp_lt_u32_e32 vcc, v168, v173
	s_and_saveexec_b64 s[82:83], vcc
	s_cbranch_execnz .LBB1152_569
.LBB1152_503:                           ;   in Loop: Header=BB1152_393 Depth=2
	s_or_b64 exec, exec, s[82:83]
	v_cmp_lt_u32_e32 vcc, v169, v173
	s_and_saveexec_b64 s[82:83], vcc
	s_cbranch_execnz .LBB1152_570
.LBB1152_504:                           ;   in Loop: Header=BB1152_393 Depth=2
	s_or_b64 exec, exec, s[82:83]
	s_and_saveexec_b64 s[82:83], s[36:37]
	s_cbranch_execnz .LBB1152_571
.LBB1152_505:                           ;   in Loop: Header=BB1152_393 Depth=2
	s_or_b64 exec, exec, s[82:83]
	s_and_saveexec_b64 s[82:83], s[38:39]
	s_cbranch_execnz .LBB1152_572
.LBB1152_506:                           ;   in Loop: Header=BB1152_393 Depth=2
	s_or_b64 exec, exec, s[82:83]
	s_and_saveexec_b64 s[82:83], s[40:41]
	s_cbranch_execnz .LBB1152_573
.LBB1152_507:                           ;   in Loop: Header=BB1152_393 Depth=2
	s_or_b64 exec, exec, s[82:83]
	s_and_saveexec_b64 s[82:83], s[42:43]
	s_cbranch_execnz .LBB1152_574
.LBB1152_508:                           ;   in Loop: Header=BB1152_393 Depth=2
	s_or_b64 exec, exec, s[82:83]
	s_and_saveexec_b64 s[82:83], s[44:45]
	s_cbranch_execnz .LBB1152_575
.LBB1152_509:                           ;   in Loop: Header=BB1152_393 Depth=2
	s_or_b64 exec, exec, s[82:83]
	s_and_saveexec_b64 s[82:83], s[46:47]
	s_cbranch_execnz .LBB1152_576
.LBB1152_510:                           ;   in Loop: Header=BB1152_393 Depth=2
	s_or_b64 exec, exec, s[82:83]
	s_and_saveexec_b64 s[82:83], s[48:49]
	s_cbranch_execnz .LBB1152_577
.LBB1152_511:                           ;   in Loop: Header=BB1152_393 Depth=2
	s_or_b64 exec, exec, s[82:83]
	s_and_saveexec_b64 s[82:83], s[50:51]
	s_cbranch_execnz .LBB1152_578
.LBB1152_512:                           ;   in Loop: Header=BB1152_393 Depth=2
	s_or_b64 exec, exec, s[82:83]
	s_and_saveexec_b64 s[82:83], s[52:53]
	s_cbranch_execnz .LBB1152_579
.LBB1152_513:                           ;   in Loop: Header=BB1152_393 Depth=2
	s_or_b64 exec, exec, s[82:83]
	s_and_saveexec_b64 s[82:83], s[54:55]
	s_cbranch_execnz .LBB1152_580
.LBB1152_514:                           ;   in Loop: Header=BB1152_393 Depth=2
	s_or_b64 exec, exec, s[82:83]
	s_and_saveexec_b64 s[82:83], s[56:57]
	s_cbranch_execnz .LBB1152_581
.LBB1152_515:                           ;   in Loop: Header=BB1152_393 Depth=2
	s_or_b64 exec, exec, s[82:83]
	s_and_saveexec_b64 s[82:83], s[58:59]
	s_cbranch_execnz .LBB1152_582
.LBB1152_516:                           ;   in Loop: Header=BB1152_393 Depth=2
	s_or_b64 exec, exec, s[82:83]
	s_and_saveexec_b64 s[82:83], s[60:61]
	s_cbranch_execnz .LBB1152_583
.LBB1152_517:                           ;   in Loop: Header=BB1152_393 Depth=2
	s_or_b64 exec, exec, s[82:83]
	s_and_saveexec_b64 s[82:83], s[62:63]
	s_cbranch_execnz .LBB1152_584
.LBB1152_518:                           ;   in Loop: Header=BB1152_393 Depth=2
	s_or_b64 exec, exec, s[82:83]
	s_and_saveexec_b64 s[82:83], s[64:65]
	s_cbranch_execnz .LBB1152_585
.LBB1152_519:                           ;   in Loop: Header=BB1152_393 Depth=2
	s_or_b64 exec, exec, s[82:83]
	s_and_saveexec_b64 s[82:83], s[66:67]
	s_cbranch_execz .LBB1152_521
.LBB1152_520:                           ;   in Loop: Header=BB1152_393 Depth=2
	ds_read_b64 v[37:38], v104 offset:31744
	s_waitcnt lgkmcnt(0)
	v_cmp_ne_u64_e32 vcc, s[72:73], v[37:38]
	v_cndmask_b32_e32 v38, v133, v38, vcc
	v_cndmask_b32_e32 v37, -1, v37, vcc
	v_lshrrev_b64 v[37:38], s95, v[37:38]
	v_and_b32_e32 v136, s97, v37
.LBB1152_521:                           ;   in Loop: Header=BB1152_393 Depth=2
	s_or_b64 exec, exec, s[82:83]
	s_waitcnt vmcnt(0)
	s_barrier
	ds_write_b64 v69, v[35:36] offset:1024
	ds_write_b64 v70, v[33:34] offset:1024
	;; [unrolled: 1-line block ×16, first 2 shown]
	s_waitcnt lgkmcnt(0)
	s_barrier
	s_and_saveexec_b64 s[82:83], s[36:37]
	s_cbranch_execnz .LBB1152_586
; %bb.522:                              ;   in Loop: Header=BB1152_393 Depth=2
	s_or_b64 exec, exec, s[82:83]
	s_and_saveexec_b64 s[36:37], s[38:39]
	s_cbranch_execnz .LBB1152_587
.LBB1152_523:                           ;   in Loop: Header=BB1152_393 Depth=2
	s_or_b64 exec, exec, s[36:37]
	s_and_saveexec_b64 s[36:37], s[40:41]
	s_cbranch_execnz .LBB1152_588
.LBB1152_524:                           ;   in Loop: Header=BB1152_393 Depth=2
	s_or_b64 exec, exec, s[36:37]
	s_and_saveexec_b64 s[36:37], s[42:43]
	s_cbranch_execnz .LBB1152_589
.LBB1152_525:                           ;   in Loop: Header=BB1152_393 Depth=2
	s_or_b64 exec, exec, s[36:37]
	s_and_saveexec_b64 s[36:37], s[44:45]
	s_cbranch_execnz .LBB1152_590
.LBB1152_526:                           ;   in Loop: Header=BB1152_393 Depth=2
	s_or_b64 exec, exec, s[36:37]
	s_and_saveexec_b64 s[36:37], s[46:47]
	s_cbranch_execnz .LBB1152_591
.LBB1152_527:                           ;   in Loop: Header=BB1152_393 Depth=2
	s_or_b64 exec, exec, s[36:37]
	s_and_saveexec_b64 s[36:37], s[48:49]
	s_cbranch_execnz .LBB1152_592
.LBB1152_528:                           ;   in Loop: Header=BB1152_393 Depth=2
	s_or_b64 exec, exec, s[36:37]
	s_and_saveexec_b64 s[36:37], s[50:51]
	s_cbranch_execnz .LBB1152_593
.LBB1152_529:                           ;   in Loop: Header=BB1152_393 Depth=2
	s_or_b64 exec, exec, s[36:37]
	s_and_saveexec_b64 s[36:37], s[52:53]
	s_cbranch_execnz .LBB1152_594
.LBB1152_530:                           ;   in Loop: Header=BB1152_393 Depth=2
	s_or_b64 exec, exec, s[36:37]
	s_and_saveexec_b64 s[36:37], s[54:55]
	s_cbranch_execnz .LBB1152_595
.LBB1152_531:                           ;   in Loop: Header=BB1152_393 Depth=2
	s_or_b64 exec, exec, s[36:37]
	s_and_saveexec_b64 s[36:37], s[56:57]
	s_cbranch_execnz .LBB1152_596
.LBB1152_532:                           ;   in Loop: Header=BB1152_393 Depth=2
	s_or_b64 exec, exec, s[36:37]
	s_and_saveexec_b64 s[36:37], s[58:59]
	s_cbranch_execnz .LBB1152_597
.LBB1152_533:                           ;   in Loop: Header=BB1152_393 Depth=2
	s_or_b64 exec, exec, s[36:37]
	s_and_saveexec_b64 s[36:37], s[60:61]
	s_cbranch_execnz .LBB1152_598
.LBB1152_534:                           ;   in Loop: Header=BB1152_393 Depth=2
	s_or_b64 exec, exec, s[36:37]
	s_and_saveexec_b64 s[36:37], s[62:63]
	s_cbranch_execnz .LBB1152_599
.LBB1152_535:                           ;   in Loop: Header=BB1152_393 Depth=2
	s_or_b64 exec, exec, s[36:37]
	s_and_saveexec_b64 s[36:37], s[64:65]
	s_cbranch_execnz .LBB1152_600
.LBB1152_536:                           ;   in Loop: Header=BB1152_393 Depth=2
	s_or_b64 exec, exec, s[36:37]
	s_and_saveexec_b64 s[36:37], s[66:67]
	s_cbranch_execz .LBB1152_538
.LBB1152_537:                           ;   in Loop: Header=BB1152_393 Depth=2
	v_lshlrev_b32_e32 v37, 2, v136
	ds_read_b32 v39, v37
	ds_read_b64 v[37:38], v104 offset:31744
	v_mov_b32_e32 v40, v3
	v_mov_b32_e32 v41, s87
	s_waitcnt lgkmcnt(1)
	v_add_u32_e32 v39, v39, v90
	v_lshlrev_b64 v[39:40], 3, v[39:40]
	v_add_co_u32_e32 v39, vcc, s86, v39
	v_addc_co_u32_e32 v40, vcc, v41, v40, vcc
	s_waitcnt lgkmcnt(0)
	global_store_dwordx2 v[39:40], v[37:38], off
.LBB1152_538:                           ;   in Loop: Header=BB1152_393 Depth=2
	s_or_b64 exec, exec, s[36:37]
	s_waitcnt vmcnt(0)
	s_barrier
	s_and_saveexec_b64 s[36:37], s[4:5]
	s_cbranch_execz .LBB1152_392
; %bb.539:                              ;   in Loop: Header=BB1152_393 Depth=2
	ds_read_b32 v37, v73
	s_waitcnt lgkmcnt(0)
	v_add_u32_e32 v4, v37, v4
	ds_write_b32 v73, v4
	s_branch .LBB1152_392
.LBB1152_540:                           ;   in Loop: Header=BB1152_393 Depth=2
	ds_read_b64 v[37:38], v104 offset:1024
	v_mov_b32_e32 v43, v3
	v_mov_b32_e32 v44, s81
	s_waitcnt lgkmcnt(0)
	v_cmp_ne_u64_e32 vcc, s[72:73], v[37:38]
	v_ashrrev_i32_e32 v52, 31, v38
	v_cndmask_b32_e32 v60, v133, v38, vcc
	v_cndmask_b32_e32 v59, -1, v37, vcc
	v_lshrrev_b64 v[59:60], s95, v[59:60]
	v_cmp_gt_i64_e32 vcc, 0, v[37:38]
	v_and_b32_e32 v48, s97, v59
	v_lshlrev_b32_e32 v48, 2, v48
	ds_read_b32 v48, v48
	v_cndmask_b32_e64 v42, v133, 0, vcc
	v_xor_b32_e32 v38, v42, v38
	v_not_b32_e32 v52, v52
	v_xor_b32_e32 v37, v52, v37
	s_waitcnt lgkmcnt(0)
	v_add_u32_e32 v42, v48, v0
	v_lshlrev_b64 v[42:43], 3, v[42:43]
	v_add_co_u32_e32 v42, vcc, s80, v42
	v_addc_co_u32_e32 v43, vcc, v44, v43, vcc
	global_store_dwordx2 v[42:43], v[37:38], off
	s_or_b64 exec, exec, s[38:39]
	v_cmp_lt_u32_e64 s[38:39], v74, v173
	s_and_saveexec_b64 s[40:41], s[38:39]
	s_cbranch_execz .LBB1152_473
.LBB1152_541:                           ;   in Loop: Header=BB1152_393 Depth=2
	ds_read_b64 v[37:38], v104 offset:3072
	v_mov_b32_e32 v43, v3
	v_mov_b32_e32 v44, s81
	s_waitcnt lgkmcnt(0)
	v_cmp_ne_u64_e32 vcc, s[72:73], v[37:38]
	v_ashrrev_i32_e32 v52, 31, v38
	v_cndmask_b32_e32 v60, v133, v38, vcc
	v_cndmask_b32_e32 v59, -1, v37, vcc
	v_lshrrev_b64 v[59:60], s95, v[59:60]
	v_cmp_gt_i64_e32 vcc, 0, v[37:38]
	v_and_b32_e32 v48, s97, v59
	v_lshlrev_b32_e32 v48, 2, v48
	ds_read_b32 v48, v48
	v_cndmask_b32_e64 v42, v133, 0, vcc
	v_xor_b32_e32 v38, v42, v38
	v_not_b32_e32 v52, v52
	v_xor_b32_e32 v37, v52, v37
	s_waitcnt lgkmcnt(0)
	v_add_u32_e32 v42, v48, v74
	v_lshlrev_b64 v[42:43], 3, v[42:43]
	v_add_co_u32_e32 v42, vcc, s80, v42
	v_addc_co_u32_e32 v43, vcc, v44, v43, vcc
	global_store_dwordx2 v[42:43], v[37:38], off
	s_or_b64 exec, exec, s[40:41]
	v_cmp_lt_u32_e64 s[40:41], v75, v173
	s_and_saveexec_b64 s[42:43], s[40:41]
	s_cbranch_execz .LBB1152_474
.LBB1152_542:                           ;   in Loop: Header=BB1152_393 Depth=2
	ds_read_b64 v[37:38], v104 offset:5120
	v_mov_b32_e32 v43, v3
	v_mov_b32_e32 v44, s81
	s_waitcnt lgkmcnt(0)
	v_cmp_ne_u64_e32 vcc, s[72:73], v[37:38]
	v_ashrrev_i32_e32 v52, 31, v38
	v_cndmask_b32_e32 v60, v133, v38, vcc
	v_cndmask_b32_e32 v59, -1, v37, vcc
	v_lshrrev_b64 v[59:60], s95, v[59:60]
	v_cmp_gt_i64_e32 vcc, 0, v[37:38]
	v_and_b32_e32 v48, s97, v59
	v_lshlrev_b32_e32 v48, 2, v48
	ds_read_b32 v48, v48
	v_cndmask_b32_e64 v42, v133, 0, vcc
	v_xor_b32_e32 v38, v42, v38
	v_not_b32_e32 v52, v52
	v_xor_b32_e32 v37, v52, v37
	s_waitcnt lgkmcnt(0)
	v_add_u32_e32 v42, v48, v75
	v_lshlrev_b64 v[42:43], 3, v[42:43]
	v_add_co_u32_e32 v42, vcc, s80, v42
	v_addc_co_u32_e32 v43, vcc, v44, v43, vcc
	global_store_dwordx2 v[42:43], v[37:38], off
	s_or_b64 exec, exec, s[42:43]
	v_cmp_lt_u32_e64 s[42:43], v76, v173
	s_and_saveexec_b64 s[44:45], s[42:43]
	s_cbranch_execz .LBB1152_475
.LBB1152_543:                           ;   in Loop: Header=BB1152_393 Depth=2
	ds_read_b64 v[37:38], v104 offset:7168
	v_mov_b32_e32 v43, v3
	v_mov_b32_e32 v44, s81
	s_waitcnt lgkmcnt(0)
	v_cmp_ne_u64_e32 vcc, s[72:73], v[37:38]
	v_ashrrev_i32_e32 v52, 31, v38
	v_cndmask_b32_e32 v60, v133, v38, vcc
	v_cndmask_b32_e32 v59, -1, v37, vcc
	v_lshrrev_b64 v[59:60], s95, v[59:60]
	v_cmp_gt_i64_e32 vcc, 0, v[37:38]
	v_and_b32_e32 v48, s97, v59
	v_lshlrev_b32_e32 v48, 2, v48
	ds_read_b32 v48, v48
	v_cndmask_b32_e64 v42, v133, 0, vcc
	v_xor_b32_e32 v38, v42, v38
	v_not_b32_e32 v52, v52
	v_xor_b32_e32 v37, v52, v37
	s_waitcnt lgkmcnt(0)
	v_add_u32_e32 v42, v48, v76
	v_lshlrev_b64 v[42:43], 3, v[42:43]
	v_add_co_u32_e32 v42, vcc, s80, v42
	v_addc_co_u32_e32 v43, vcc, v44, v43, vcc
	global_store_dwordx2 v[42:43], v[37:38], off
	s_or_b64 exec, exec, s[44:45]
	v_cmp_lt_u32_e64 s[44:45], v79, v173
	s_and_saveexec_b64 s[46:47], s[44:45]
	s_cbranch_execz .LBB1152_476
.LBB1152_544:                           ;   in Loop: Header=BB1152_393 Depth=2
	ds_read_b64 v[37:38], v104 offset:9216
	v_mov_b32_e32 v43, v3
	v_mov_b32_e32 v44, s81
	s_waitcnt lgkmcnt(0)
	v_cmp_ne_u64_e32 vcc, s[72:73], v[37:38]
	v_ashrrev_i32_e32 v52, 31, v38
	v_cndmask_b32_e32 v60, v133, v38, vcc
	v_cndmask_b32_e32 v59, -1, v37, vcc
	v_lshrrev_b64 v[59:60], s95, v[59:60]
	v_cmp_gt_i64_e32 vcc, 0, v[37:38]
	v_and_b32_e32 v48, s97, v59
	v_lshlrev_b32_e32 v48, 2, v48
	ds_read_b32 v48, v48
	v_cndmask_b32_e64 v42, v133, 0, vcc
	v_xor_b32_e32 v38, v42, v38
	v_not_b32_e32 v52, v52
	v_xor_b32_e32 v37, v52, v37
	s_waitcnt lgkmcnt(0)
	v_add_u32_e32 v42, v48, v79
	v_lshlrev_b64 v[42:43], 3, v[42:43]
	v_add_co_u32_e32 v42, vcc, s80, v42
	v_addc_co_u32_e32 v43, vcc, v44, v43, vcc
	global_store_dwordx2 v[42:43], v[37:38], off
	s_or_b64 exec, exec, s[46:47]
	v_cmp_lt_u32_e64 s[46:47], v80, v173
	s_and_saveexec_b64 s[48:49], s[46:47]
	s_cbranch_execz .LBB1152_477
.LBB1152_545:                           ;   in Loop: Header=BB1152_393 Depth=2
	ds_read_b64 v[37:38], v104 offset:11264
	v_mov_b32_e32 v43, v3
	v_mov_b32_e32 v44, s81
	s_waitcnt lgkmcnt(0)
	v_cmp_ne_u64_e32 vcc, s[72:73], v[37:38]
	v_ashrrev_i32_e32 v52, 31, v38
	v_cndmask_b32_e32 v60, v133, v38, vcc
	v_cndmask_b32_e32 v59, -1, v37, vcc
	v_lshrrev_b64 v[59:60], s95, v[59:60]
	v_cmp_gt_i64_e32 vcc, 0, v[37:38]
	v_and_b32_e32 v48, s97, v59
	v_lshlrev_b32_e32 v48, 2, v48
	ds_read_b32 v48, v48
	v_cndmask_b32_e64 v42, v133, 0, vcc
	v_xor_b32_e32 v38, v42, v38
	v_not_b32_e32 v52, v52
	v_xor_b32_e32 v37, v52, v37
	s_waitcnt lgkmcnt(0)
	v_add_u32_e32 v42, v48, v80
	v_lshlrev_b64 v[42:43], 3, v[42:43]
	v_add_co_u32_e32 v42, vcc, s80, v42
	v_addc_co_u32_e32 v43, vcc, v44, v43, vcc
	global_store_dwordx2 v[42:43], v[37:38], off
	s_or_b64 exec, exec, s[48:49]
	v_cmp_lt_u32_e64 s[48:49], v81, v173
	s_and_saveexec_b64 s[50:51], s[48:49]
	s_cbranch_execz .LBB1152_478
.LBB1152_546:                           ;   in Loop: Header=BB1152_393 Depth=2
	ds_read_b64 v[37:38], v104 offset:13312
	v_mov_b32_e32 v43, v3
	v_mov_b32_e32 v44, s81
	s_waitcnt lgkmcnt(0)
	v_cmp_ne_u64_e32 vcc, s[72:73], v[37:38]
	v_ashrrev_i32_e32 v52, 31, v38
	v_cndmask_b32_e32 v60, v133, v38, vcc
	v_cndmask_b32_e32 v59, -1, v37, vcc
	v_lshrrev_b64 v[59:60], s95, v[59:60]
	v_cmp_gt_i64_e32 vcc, 0, v[37:38]
	v_and_b32_e32 v48, s97, v59
	v_lshlrev_b32_e32 v48, 2, v48
	ds_read_b32 v48, v48
	v_cndmask_b32_e64 v42, v133, 0, vcc
	v_xor_b32_e32 v38, v42, v38
	v_not_b32_e32 v52, v52
	v_xor_b32_e32 v37, v52, v37
	s_waitcnt lgkmcnt(0)
	v_add_u32_e32 v42, v48, v81
	v_lshlrev_b64 v[42:43], 3, v[42:43]
	v_add_co_u32_e32 v42, vcc, s80, v42
	v_addc_co_u32_e32 v43, vcc, v44, v43, vcc
	global_store_dwordx2 v[42:43], v[37:38], off
	s_or_b64 exec, exec, s[50:51]
	v_cmp_lt_u32_e64 s[50:51], v82, v173
	s_and_saveexec_b64 s[52:53], s[50:51]
	s_cbranch_execz .LBB1152_479
.LBB1152_547:                           ;   in Loop: Header=BB1152_393 Depth=2
	ds_read_b64 v[37:38], v104 offset:15360
	v_mov_b32_e32 v43, v3
	v_mov_b32_e32 v44, s81
	s_waitcnt lgkmcnt(0)
	v_cmp_ne_u64_e32 vcc, s[72:73], v[37:38]
	v_ashrrev_i32_e32 v52, 31, v38
	v_cndmask_b32_e32 v60, v133, v38, vcc
	v_cndmask_b32_e32 v59, -1, v37, vcc
	v_lshrrev_b64 v[59:60], s95, v[59:60]
	v_cmp_gt_i64_e32 vcc, 0, v[37:38]
	v_and_b32_e32 v48, s97, v59
	v_lshlrev_b32_e32 v48, 2, v48
	ds_read_b32 v48, v48
	v_cndmask_b32_e64 v42, v133, 0, vcc
	v_xor_b32_e32 v38, v42, v38
	v_not_b32_e32 v52, v52
	v_xor_b32_e32 v37, v52, v37
	s_waitcnt lgkmcnt(0)
	v_add_u32_e32 v42, v48, v82
	v_lshlrev_b64 v[42:43], 3, v[42:43]
	v_add_co_u32_e32 v42, vcc, s80, v42
	v_addc_co_u32_e32 v43, vcc, v44, v43, vcc
	global_store_dwordx2 v[42:43], v[37:38], off
	s_or_b64 exec, exec, s[52:53]
	v_cmp_lt_u32_e64 s[52:53], v83, v173
	s_and_saveexec_b64 s[54:55], s[52:53]
	s_cbranch_execz .LBB1152_480
.LBB1152_548:                           ;   in Loop: Header=BB1152_393 Depth=2
	ds_read_b64 v[37:38], v104 offset:17408
	v_mov_b32_e32 v43, v3
	v_mov_b32_e32 v44, s81
	s_waitcnt lgkmcnt(0)
	v_cmp_ne_u64_e32 vcc, s[72:73], v[37:38]
	v_ashrrev_i32_e32 v52, 31, v38
	v_cndmask_b32_e32 v60, v133, v38, vcc
	v_cndmask_b32_e32 v59, -1, v37, vcc
	v_lshrrev_b64 v[59:60], s95, v[59:60]
	v_cmp_gt_i64_e32 vcc, 0, v[37:38]
	v_and_b32_e32 v48, s97, v59
	v_lshlrev_b32_e32 v48, 2, v48
	ds_read_b32 v48, v48
	v_cndmask_b32_e64 v42, v133, 0, vcc
	v_xor_b32_e32 v38, v42, v38
	v_not_b32_e32 v52, v52
	v_xor_b32_e32 v37, v52, v37
	s_waitcnt lgkmcnt(0)
	v_add_u32_e32 v42, v48, v83
	v_lshlrev_b64 v[42:43], 3, v[42:43]
	v_add_co_u32_e32 v42, vcc, s80, v42
	v_addc_co_u32_e32 v43, vcc, v44, v43, vcc
	global_store_dwordx2 v[42:43], v[37:38], off
	s_or_b64 exec, exec, s[54:55]
	v_cmp_lt_u32_e64 s[54:55], v84, v173
	s_and_saveexec_b64 s[56:57], s[54:55]
	s_cbranch_execz .LBB1152_481
.LBB1152_549:                           ;   in Loop: Header=BB1152_393 Depth=2
	ds_read_b64 v[37:38], v104 offset:19456
	v_mov_b32_e32 v43, v3
	v_mov_b32_e32 v44, s81
	s_waitcnt lgkmcnt(0)
	v_cmp_ne_u64_e32 vcc, s[72:73], v[37:38]
	v_ashrrev_i32_e32 v52, 31, v38
	v_cndmask_b32_e32 v60, v133, v38, vcc
	v_cndmask_b32_e32 v59, -1, v37, vcc
	v_lshrrev_b64 v[59:60], s95, v[59:60]
	v_cmp_gt_i64_e32 vcc, 0, v[37:38]
	v_and_b32_e32 v48, s97, v59
	v_lshlrev_b32_e32 v48, 2, v48
	ds_read_b32 v48, v48
	v_cndmask_b32_e64 v42, v133, 0, vcc
	v_xor_b32_e32 v38, v42, v38
	v_not_b32_e32 v52, v52
	v_xor_b32_e32 v37, v52, v37
	s_waitcnt lgkmcnt(0)
	v_add_u32_e32 v42, v48, v84
	v_lshlrev_b64 v[42:43], 3, v[42:43]
	v_add_co_u32_e32 v42, vcc, s80, v42
	v_addc_co_u32_e32 v43, vcc, v44, v43, vcc
	global_store_dwordx2 v[42:43], v[37:38], off
	s_or_b64 exec, exec, s[56:57]
	v_cmp_lt_u32_e64 s[56:57], v85, v173
	s_and_saveexec_b64 s[58:59], s[56:57]
	s_cbranch_execz .LBB1152_482
.LBB1152_550:                           ;   in Loop: Header=BB1152_393 Depth=2
	ds_read_b64 v[37:38], v104 offset:21504
	v_mov_b32_e32 v43, v3
	v_mov_b32_e32 v44, s81
	s_waitcnt lgkmcnt(0)
	v_cmp_ne_u64_e32 vcc, s[72:73], v[37:38]
	v_ashrrev_i32_e32 v52, 31, v38
	v_cndmask_b32_e32 v60, v133, v38, vcc
	v_cndmask_b32_e32 v59, -1, v37, vcc
	v_lshrrev_b64 v[59:60], s95, v[59:60]
	v_cmp_gt_i64_e32 vcc, 0, v[37:38]
	v_and_b32_e32 v48, s97, v59
	v_lshlrev_b32_e32 v48, 2, v48
	ds_read_b32 v48, v48
	v_cndmask_b32_e64 v42, v133, 0, vcc
	v_xor_b32_e32 v38, v42, v38
	v_not_b32_e32 v52, v52
	v_xor_b32_e32 v37, v52, v37
	s_waitcnt lgkmcnt(0)
	v_add_u32_e32 v42, v48, v85
	v_lshlrev_b64 v[42:43], 3, v[42:43]
	v_add_co_u32_e32 v42, vcc, s80, v42
	v_addc_co_u32_e32 v43, vcc, v44, v43, vcc
	global_store_dwordx2 v[42:43], v[37:38], off
	s_or_b64 exec, exec, s[58:59]
	v_cmp_lt_u32_e64 s[58:59], v86, v173
	s_and_saveexec_b64 s[60:61], s[58:59]
	s_cbranch_execz .LBB1152_483
.LBB1152_551:                           ;   in Loop: Header=BB1152_393 Depth=2
	ds_read_b64 v[37:38], v104 offset:23552
	v_mov_b32_e32 v43, v3
	v_mov_b32_e32 v44, s81
	s_waitcnt lgkmcnt(0)
	v_cmp_ne_u64_e32 vcc, s[72:73], v[37:38]
	v_ashrrev_i32_e32 v52, 31, v38
	v_cndmask_b32_e32 v60, v133, v38, vcc
	v_cndmask_b32_e32 v59, -1, v37, vcc
	v_lshrrev_b64 v[59:60], s95, v[59:60]
	v_cmp_gt_i64_e32 vcc, 0, v[37:38]
	v_and_b32_e32 v48, s97, v59
	v_lshlrev_b32_e32 v48, 2, v48
	ds_read_b32 v48, v48
	v_cndmask_b32_e64 v42, v133, 0, vcc
	v_xor_b32_e32 v38, v42, v38
	v_not_b32_e32 v52, v52
	v_xor_b32_e32 v37, v52, v37
	s_waitcnt lgkmcnt(0)
	v_add_u32_e32 v42, v48, v86
	v_lshlrev_b64 v[42:43], 3, v[42:43]
	v_add_co_u32_e32 v42, vcc, s80, v42
	v_addc_co_u32_e32 v43, vcc, v44, v43, vcc
	global_store_dwordx2 v[42:43], v[37:38], off
	s_or_b64 exec, exec, s[60:61]
	v_cmp_lt_u32_e64 s[60:61], v87, v173
	s_and_saveexec_b64 s[62:63], s[60:61]
	s_cbranch_execz .LBB1152_484
.LBB1152_552:                           ;   in Loop: Header=BB1152_393 Depth=2
	ds_read_b64 v[37:38], v104 offset:25600
	v_mov_b32_e32 v43, v3
	v_mov_b32_e32 v44, s81
	s_waitcnt lgkmcnt(0)
	v_cmp_ne_u64_e32 vcc, s[72:73], v[37:38]
	v_ashrrev_i32_e32 v52, 31, v38
	v_cndmask_b32_e32 v60, v133, v38, vcc
	v_cndmask_b32_e32 v59, -1, v37, vcc
	v_lshrrev_b64 v[59:60], s95, v[59:60]
	v_cmp_gt_i64_e32 vcc, 0, v[37:38]
	v_and_b32_e32 v48, s97, v59
	v_lshlrev_b32_e32 v48, 2, v48
	ds_read_b32 v48, v48
	v_cndmask_b32_e64 v42, v133, 0, vcc
	v_xor_b32_e32 v38, v42, v38
	v_not_b32_e32 v52, v52
	v_xor_b32_e32 v37, v52, v37
	s_waitcnt lgkmcnt(0)
	v_add_u32_e32 v42, v48, v87
	v_lshlrev_b64 v[42:43], 3, v[42:43]
	v_add_co_u32_e32 v42, vcc, s80, v42
	v_addc_co_u32_e32 v43, vcc, v44, v43, vcc
	global_store_dwordx2 v[42:43], v[37:38], off
	s_or_b64 exec, exec, s[62:63]
	v_cmp_lt_u32_e64 s[62:63], v88, v173
	s_and_saveexec_b64 s[64:65], s[62:63]
	s_cbranch_execz .LBB1152_485
.LBB1152_553:                           ;   in Loop: Header=BB1152_393 Depth=2
	ds_read_b64 v[37:38], v104 offset:27648
	v_mov_b32_e32 v43, v3
	v_mov_b32_e32 v44, s81
	s_waitcnt lgkmcnt(0)
	v_cmp_ne_u64_e32 vcc, s[72:73], v[37:38]
	v_ashrrev_i32_e32 v52, 31, v38
	v_cndmask_b32_e32 v60, v133, v38, vcc
	v_cndmask_b32_e32 v59, -1, v37, vcc
	v_lshrrev_b64 v[59:60], s95, v[59:60]
	v_cmp_gt_i64_e32 vcc, 0, v[37:38]
	v_and_b32_e32 v48, s97, v59
	v_lshlrev_b32_e32 v48, 2, v48
	ds_read_b32 v48, v48
	v_cndmask_b32_e64 v42, v133, 0, vcc
	v_xor_b32_e32 v38, v42, v38
	v_not_b32_e32 v52, v52
	v_xor_b32_e32 v37, v52, v37
	s_waitcnt lgkmcnt(0)
	v_add_u32_e32 v42, v48, v88
	v_lshlrev_b64 v[42:43], 3, v[42:43]
	v_add_co_u32_e32 v42, vcc, s80, v42
	v_addc_co_u32_e32 v43, vcc, v44, v43, vcc
	global_store_dwordx2 v[42:43], v[37:38], off
	s_or_b64 exec, exec, s[64:65]
	v_cmp_lt_u32_e64 s[64:65], v89, v173
	s_and_saveexec_b64 s[66:67], s[64:65]
	s_cbranch_execz .LBB1152_486
.LBB1152_554:                           ;   in Loop: Header=BB1152_393 Depth=2
	ds_read_b64 v[37:38], v104 offset:29696
	v_mov_b32_e32 v43, v3
	v_mov_b32_e32 v44, s81
	s_waitcnt lgkmcnt(0)
	v_cmp_ne_u64_e32 vcc, s[72:73], v[37:38]
	v_ashrrev_i32_e32 v52, 31, v38
	v_cndmask_b32_e32 v60, v133, v38, vcc
	v_cndmask_b32_e32 v59, -1, v37, vcc
	v_lshrrev_b64 v[59:60], s95, v[59:60]
	v_cmp_gt_i64_e32 vcc, 0, v[37:38]
	v_and_b32_e32 v48, s97, v59
	v_lshlrev_b32_e32 v48, 2, v48
	ds_read_b32 v48, v48
	v_cndmask_b32_e64 v42, v133, 0, vcc
	v_xor_b32_e32 v38, v42, v38
	v_not_b32_e32 v52, v52
	v_xor_b32_e32 v37, v52, v37
	s_waitcnt lgkmcnt(0)
	v_add_u32_e32 v42, v48, v89
	v_lshlrev_b64 v[42:43], 3, v[42:43]
	v_add_co_u32_e32 v42, vcc, s80, v42
	v_addc_co_u32_e32 v43, vcc, v44, v43, vcc
	global_store_dwordx2 v[42:43], v[37:38], off
	s_or_b64 exec, exec, s[66:67]
	v_cmp_lt_u32_e64 s[66:67], v90, v173
	s_and_saveexec_b64 s[92:93], s[66:67]
	s_cbranch_execnz .LBB1152_487
	s_branch .LBB1152_488
.LBB1152_555:                           ;   in Loop: Header=BB1152_393 Depth=2
	global_load_dwordx2 v[35:36], v[37:38], off
	s_or_b64 exec, exec, s[82:83]
	v_cmp_lt_u32_e32 vcc, v149, v173
	s_and_saveexec_b64 s[82:83], vcc
	s_cbranch_execz .LBB1152_490
.LBB1152_556:                           ;   in Loop: Header=BB1152_393 Depth=2
	global_load_dwordx2 v[33:34], v[37:38], off offset:512
	s_or_b64 exec, exec, s[82:83]
	v_cmp_lt_u32_e32 vcc, v151, v173
	s_and_saveexec_b64 s[82:83], vcc
	s_cbranch_execz .LBB1152_491
.LBB1152_557:                           ;   in Loop: Header=BB1152_393 Depth=2
	global_load_dwordx2 v[31:32], v[37:38], off offset:1024
	s_or_b64 exec, exec, s[82:83]
	v_cmp_lt_u32_e32 vcc, v153, v173
	s_and_saveexec_b64 s[82:83], vcc
	s_cbranch_execz .LBB1152_492
.LBB1152_558:                           ;   in Loop: Header=BB1152_393 Depth=2
	global_load_dwordx2 v[27:28], v[37:38], off offset:1536
	s_or_b64 exec, exec, s[82:83]
	v_cmp_lt_u32_e32 vcc, v155, v173
	s_and_saveexec_b64 s[82:83], vcc
	s_cbranch_execz .LBB1152_493
.LBB1152_559:                           ;   in Loop: Header=BB1152_393 Depth=2
	global_load_dwordx2 v[23:24], v[37:38], off offset:2048
	s_or_b64 exec, exec, s[82:83]
	v_cmp_lt_u32_e32 vcc, v157, v173
	s_and_saveexec_b64 s[82:83], vcc
	s_cbranch_execz .LBB1152_494
.LBB1152_560:                           ;   in Loop: Header=BB1152_393 Depth=2
	global_load_dwordx2 v[19:20], v[37:38], off offset:2560
	s_or_b64 exec, exec, s[82:83]
	v_cmp_lt_u32_e32 vcc, v159, v173
	s_and_saveexec_b64 s[82:83], vcc
	s_cbranch_execz .LBB1152_495
.LBB1152_561:                           ;   in Loop: Header=BB1152_393 Depth=2
	global_load_dwordx2 v[15:16], v[37:38], off offset:3072
	s_or_b64 exec, exec, s[82:83]
	v_cmp_lt_u32_e32 vcc, v161, v173
	s_and_saveexec_b64 s[82:83], vcc
	s_cbranch_execz .LBB1152_496
.LBB1152_562:                           ;   in Loop: Header=BB1152_393 Depth=2
	global_load_dwordx2 v[11:12], v[37:38], off offset:3584
	s_or_b64 exec, exec, s[82:83]
	v_cmp_lt_u32_e32 vcc, v162, v173
	s_and_saveexec_b64 s[82:83], vcc
	s_cbranch_execz .LBB1152_497
.LBB1152_563:                           ;   in Loop: Header=BB1152_393 Depth=2
	v_add_co_u32_e32 v29, vcc, 0x1000, v37
	v_addc_co_u32_e32 v30, vcc, 0, v38, vcc
	global_load_dwordx2 v[29:30], v[29:30], off
	s_or_b64 exec, exec, s[82:83]
	v_cmp_lt_u32_e32 vcc, v163, v173
	s_and_saveexec_b64 s[82:83], vcc
	s_cbranch_execz .LBB1152_498
.LBB1152_564:                           ;   in Loop: Header=BB1152_393 Depth=2
	v_add_co_u32_e32 v25, vcc, 0x1000, v37
	v_addc_co_u32_e32 v26, vcc, 0, v38, vcc
	global_load_dwordx2 v[25:26], v[25:26], off offset:512
	s_or_b64 exec, exec, s[82:83]
	v_cmp_lt_u32_e32 vcc, v164, v173
	s_and_saveexec_b64 s[82:83], vcc
	s_cbranch_execz .LBB1152_499
.LBB1152_565:                           ;   in Loop: Header=BB1152_393 Depth=2
	v_add_co_u32_e32 v21, vcc, 0x1000, v37
	v_addc_co_u32_e32 v22, vcc, 0, v38, vcc
	global_load_dwordx2 v[21:22], v[21:22], off offset:1024
	s_or_b64 exec, exec, s[82:83]
	v_cmp_lt_u32_e32 vcc, v165, v173
	s_and_saveexec_b64 s[82:83], vcc
	s_cbranch_execz .LBB1152_500
.LBB1152_566:                           ;   in Loop: Header=BB1152_393 Depth=2
	v_add_co_u32_e32 v17, vcc, 0x1000, v37
	v_addc_co_u32_e32 v18, vcc, 0, v38, vcc
	global_load_dwordx2 v[17:18], v[17:18], off offset:1536
	s_or_b64 exec, exec, s[82:83]
	v_cmp_lt_u32_e32 vcc, v166, v173
	s_and_saveexec_b64 s[82:83], vcc
	s_cbranch_execz .LBB1152_501
.LBB1152_567:                           ;   in Loop: Header=BB1152_393 Depth=2
	v_add_co_u32_e32 v13, vcc, 0x1000, v37
	v_addc_co_u32_e32 v14, vcc, 0, v38, vcc
	global_load_dwordx2 v[13:14], v[13:14], off offset:2048
	s_or_b64 exec, exec, s[82:83]
	v_cmp_lt_u32_e32 vcc, v167, v173
	s_and_saveexec_b64 s[82:83], vcc
	s_cbranch_execz .LBB1152_502
.LBB1152_568:                           ;   in Loop: Header=BB1152_393 Depth=2
	v_add_co_u32_e32 v9, vcc, 0x1000, v37
	v_addc_co_u32_e32 v10, vcc, 0, v38, vcc
	global_load_dwordx2 v[9:10], v[9:10], off offset:2560
	s_or_b64 exec, exec, s[82:83]
	v_cmp_lt_u32_e32 vcc, v168, v173
	s_and_saveexec_b64 s[82:83], vcc
	s_cbranch_execz .LBB1152_503
.LBB1152_569:                           ;   in Loop: Header=BB1152_393 Depth=2
	v_add_co_u32_e32 v7, vcc, 0x1000, v37
	v_addc_co_u32_e32 v8, vcc, 0, v38, vcc
	global_load_dwordx2 v[7:8], v[7:8], off offset:3072
	s_or_b64 exec, exec, s[82:83]
	v_cmp_lt_u32_e32 vcc, v169, v173
	s_and_saveexec_b64 s[82:83], vcc
	s_cbranch_execz .LBB1152_504
.LBB1152_570:                           ;   in Loop: Header=BB1152_393 Depth=2
	v_add_co_u32_e32 v5, vcc, 0x1000, v37
	v_addc_co_u32_e32 v6, vcc, 0, v38, vcc
	global_load_dwordx2 v[5:6], v[5:6], off offset:3584
	s_or_b64 exec, exec, s[82:83]
	s_and_saveexec_b64 s[82:83], s[36:37]
	s_cbranch_execz .LBB1152_505
.LBB1152_571:                           ;   in Loop: Header=BB1152_393 Depth=2
	ds_read_b64 v[37:38], v104 offset:1024
	s_waitcnt lgkmcnt(0)
	v_cmp_ne_u64_e32 vcc, s[72:73], v[37:38]
	v_cndmask_b32_e32 v38, v133, v38, vcc
	v_cndmask_b32_e32 v37, -1, v37, vcc
	v_lshrrev_b64 v[37:38], s95, v[37:38]
	v_and_b32_e32 v160, s97, v37
	s_or_b64 exec, exec, s[82:83]
	s_and_saveexec_b64 s[82:83], s[38:39]
	s_cbranch_execz .LBB1152_506
.LBB1152_572:                           ;   in Loop: Header=BB1152_393 Depth=2
	ds_read_b64 v[37:38], v104 offset:3072
	s_waitcnt lgkmcnt(0)
	v_cmp_ne_u64_e32 vcc, s[72:73], v[37:38]
	v_cndmask_b32_e32 v38, v133, v38, vcc
	v_cndmask_b32_e32 v37, -1, v37, vcc
	v_lshrrev_b64 v[37:38], s95, v[37:38]
	v_and_b32_e32 v158, s97, v37
	s_or_b64 exec, exec, s[82:83]
	s_and_saveexec_b64 s[82:83], s[40:41]
	s_cbranch_execz .LBB1152_507
.LBB1152_573:                           ;   in Loop: Header=BB1152_393 Depth=2
	ds_read_b64 v[37:38], v104 offset:5120
	s_waitcnt lgkmcnt(0)
	v_cmp_ne_u64_e32 vcc, s[72:73], v[37:38]
	v_cndmask_b32_e32 v38, v133, v38, vcc
	v_cndmask_b32_e32 v37, -1, v37, vcc
	v_lshrrev_b64 v[37:38], s95, v[37:38]
	v_and_b32_e32 v156, s97, v37
	s_or_b64 exec, exec, s[82:83]
	s_and_saveexec_b64 s[82:83], s[42:43]
	s_cbranch_execz .LBB1152_508
.LBB1152_574:                           ;   in Loop: Header=BB1152_393 Depth=2
	ds_read_b64 v[37:38], v104 offset:7168
	s_waitcnt lgkmcnt(0)
	v_cmp_ne_u64_e32 vcc, s[72:73], v[37:38]
	v_cndmask_b32_e32 v38, v133, v38, vcc
	v_cndmask_b32_e32 v37, -1, v37, vcc
	v_lshrrev_b64 v[37:38], s95, v[37:38]
	v_and_b32_e32 v154, s97, v37
	s_or_b64 exec, exec, s[82:83]
	s_and_saveexec_b64 s[82:83], s[44:45]
	s_cbranch_execz .LBB1152_509
.LBB1152_575:                           ;   in Loop: Header=BB1152_393 Depth=2
	ds_read_b64 v[37:38], v104 offset:9216
	s_waitcnt lgkmcnt(0)
	v_cmp_ne_u64_e32 vcc, s[72:73], v[37:38]
	v_cndmask_b32_e32 v38, v133, v38, vcc
	v_cndmask_b32_e32 v37, -1, v37, vcc
	v_lshrrev_b64 v[37:38], s95, v[37:38]
	v_and_b32_e32 v152, s97, v37
	s_or_b64 exec, exec, s[82:83]
	s_and_saveexec_b64 s[82:83], s[46:47]
	s_cbranch_execz .LBB1152_510
.LBB1152_576:                           ;   in Loop: Header=BB1152_393 Depth=2
	ds_read_b64 v[37:38], v104 offset:11264
	s_waitcnt lgkmcnt(0)
	v_cmp_ne_u64_e32 vcc, s[72:73], v[37:38]
	v_cndmask_b32_e32 v38, v133, v38, vcc
	v_cndmask_b32_e32 v37, -1, v37, vcc
	v_lshrrev_b64 v[37:38], s95, v[37:38]
	v_and_b32_e32 v150, s97, v37
	s_or_b64 exec, exec, s[82:83]
	s_and_saveexec_b64 s[82:83], s[48:49]
	s_cbranch_execz .LBB1152_511
.LBB1152_577:                           ;   in Loop: Header=BB1152_393 Depth=2
	ds_read_b64 v[37:38], v104 offset:13312
	s_waitcnt lgkmcnt(0)
	v_cmp_ne_u64_e32 vcc, s[72:73], v[37:38]
	v_cndmask_b32_e32 v38, v133, v38, vcc
	v_cndmask_b32_e32 v37, -1, v37, vcc
	v_lshrrev_b64 v[37:38], s95, v[37:38]
	v_and_b32_e32 v148, s97, v37
	s_or_b64 exec, exec, s[82:83]
	s_and_saveexec_b64 s[82:83], s[50:51]
	s_cbranch_execz .LBB1152_512
.LBB1152_578:                           ;   in Loop: Header=BB1152_393 Depth=2
	ds_read_b64 v[37:38], v104 offset:15360
	s_waitcnt lgkmcnt(0)
	v_cmp_ne_u64_e32 vcc, s[72:73], v[37:38]
	v_cndmask_b32_e32 v38, v133, v38, vcc
	v_cndmask_b32_e32 v37, -1, v37, vcc
	v_lshrrev_b64 v[37:38], s95, v[37:38]
	v_and_b32_e32 v146, s97, v37
	s_or_b64 exec, exec, s[82:83]
	s_and_saveexec_b64 s[82:83], s[52:53]
	s_cbranch_execz .LBB1152_513
.LBB1152_579:                           ;   in Loop: Header=BB1152_393 Depth=2
	ds_read_b64 v[37:38], v104 offset:17408
	s_waitcnt lgkmcnt(0)
	v_cmp_ne_u64_e32 vcc, s[72:73], v[37:38]
	v_cndmask_b32_e32 v38, v133, v38, vcc
	v_cndmask_b32_e32 v37, -1, v37, vcc
	v_lshrrev_b64 v[37:38], s95, v[37:38]
	v_and_b32_e32 v144, s97, v37
	s_or_b64 exec, exec, s[82:83]
	s_and_saveexec_b64 s[82:83], s[54:55]
	s_cbranch_execz .LBB1152_514
.LBB1152_580:                           ;   in Loop: Header=BB1152_393 Depth=2
	ds_read_b64 v[37:38], v104 offset:19456
	s_waitcnt lgkmcnt(0)
	v_cmp_ne_u64_e32 vcc, s[72:73], v[37:38]
	v_cndmask_b32_e32 v38, v133, v38, vcc
	v_cndmask_b32_e32 v37, -1, v37, vcc
	v_lshrrev_b64 v[37:38], s95, v[37:38]
	v_and_b32_e32 v142, s97, v37
	s_or_b64 exec, exec, s[82:83]
	s_and_saveexec_b64 s[82:83], s[56:57]
	s_cbranch_execz .LBB1152_515
.LBB1152_581:                           ;   in Loop: Header=BB1152_393 Depth=2
	ds_read_b64 v[37:38], v104 offset:21504
	s_waitcnt lgkmcnt(0)
	v_cmp_ne_u64_e32 vcc, s[72:73], v[37:38]
	v_cndmask_b32_e32 v38, v133, v38, vcc
	v_cndmask_b32_e32 v37, -1, v37, vcc
	v_lshrrev_b64 v[37:38], s95, v[37:38]
	v_and_b32_e32 v141, s97, v37
	s_or_b64 exec, exec, s[82:83]
	s_and_saveexec_b64 s[82:83], s[58:59]
	s_cbranch_execz .LBB1152_516
.LBB1152_582:                           ;   in Loop: Header=BB1152_393 Depth=2
	ds_read_b64 v[37:38], v104 offset:23552
	s_waitcnt lgkmcnt(0)
	v_cmp_ne_u64_e32 vcc, s[72:73], v[37:38]
	v_cndmask_b32_e32 v38, v133, v38, vcc
	v_cndmask_b32_e32 v37, -1, v37, vcc
	v_lshrrev_b64 v[37:38], s95, v[37:38]
	v_and_b32_e32 v140, s97, v37
	s_or_b64 exec, exec, s[82:83]
	s_and_saveexec_b64 s[82:83], s[60:61]
	s_cbranch_execz .LBB1152_517
.LBB1152_583:                           ;   in Loop: Header=BB1152_393 Depth=2
	ds_read_b64 v[37:38], v104 offset:25600
	s_waitcnt lgkmcnt(0)
	v_cmp_ne_u64_e32 vcc, s[72:73], v[37:38]
	v_cndmask_b32_e32 v38, v133, v38, vcc
	v_cndmask_b32_e32 v37, -1, v37, vcc
	v_lshrrev_b64 v[37:38], s95, v[37:38]
	v_and_b32_e32 v139, s97, v37
	s_or_b64 exec, exec, s[82:83]
	s_and_saveexec_b64 s[82:83], s[62:63]
	s_cbranch_execz .LBB1152_518
.LBB1152_584:                           ;   in Loop: Header=BB1152_393 Depth=2
	ds_read_b64 v[37:38], v104 offset:27648
	s_waitcnt lgkmcnt(0)
	v_cmp_ne_u64_e32 vcc, s[72:73], v[37:38]
	v_cndmask_b32_e32 v38, v133, v38, vcc
	v_cndmask_b32_e32 v37, -1, v37, vcc
	v_lshrrev_b64 v[37:38], s95, v[37:38]
	v_and_b32_e32 v138, s97, v37
	s_or_b64 exec, exec, s[82:83]
	s_and_saveexec_b64 s[82:83], s[64:65]
	s_cbranch_execz .LBB1152_519
.LBB1152_585:                           ;   in Loop: Header=BB1152_393 Depth=2
	ds_read_b64 v[37:38], v104 offset:29696
	s_waitcnt lgkmcnt(0)
	v_cmp_ne_u64_e32 vcc, s[72:73], v[37:38]
	v_cndmask_b32_e32 v38, v133, v38, vcc
	v_cndmask_b32_e32 v37, -1, v37, vcc
	v_lshrrev_b64 v[37:38], s95, v[37:38]
	v_and_b32_e32 v137, s97, v37
	s_or_b64 exec, exec, s[82:83]
	s_and_saveexec_b64 s[82:83], s[66:67]
	s_cbranch_execnz .LBB1152_520
	s_branch .LBB1152_521
.LBB1152_586:                           ;   in Loop: Header=BB1152_393 Depth=2
	v_lshlrev_b32_e32 v37, 2, v160
	ds_read_b32 v39, v37
	ds_read_b64 v[37:38], v104 offset:1024
	v_mov_b32_e32 v40, v3
	v_mov_b32_e32 v41, s87
	s_waitcnt lgkmcnt(1)
	v_add_u32_e32 v39, v39, v0
	v_lshlrev_b64 v[39:40], 3, v[39:40]
	v_add_co_u32_e32 v39, vcc, s86, v39
	v_addc_co_u32_e32 v40, vcc, v41, v40, vcc
	s_waitcnt lgkmcnt(0)
	global_store_dwordx2 v[39:40], v[37:38], off
	s_or_b64 exec, exec, s[82:83]
	s_and_saveexec_b64 s[36:37], s[38:39]
	s_cbranch_execz .LBB1152_523
.LBB1152_587:                           ;   in Loop: Header=BB1152_393 Depth=2
	v_lshlrev_b32_e32 v37, 2, v158
	ds_read_b32 v39, v37
	ds_read_b64 v[37:38], v104 offset:3072
	v_mov_b32_e32 v40, v3
	v_mov_b32_e32 v41, s87
	s_waitcnt lgkmcnt(1)
	v_add_u32_e32 v39, v39, v74
	v_lshlrev_b64 v[39:40], 3, v[39:40]
	v_add_co_u32_e32 v39, vcc, s86, v39
	v_addc_co_u32_e32 v40, vcc, v41, v40, vcc
	s_waitcnt lgkmcnt(0)
	global_store_dwordx2 v[39:40], v[37:38], off
	s_or_b64 exec, exec, s[36:37]
	s_and_saveexec_b64 s[36:37], s[40:41]
	s_cbranch_execz .LBB1152_524
.LBB1152_588:                           ;   in Loop: Header=BB1152_393 Depth=2
	v_lshlrev_b32_e32 v37, 2, v156
	ds_read_b32 v39, v37
	ds_read_b64 v[37:38], v104 offset:5120
	v_mov_b32_e32 v40, v3
	v_mov_b32_e32 v41, s87
	s_waitcnt lgkmcnt(1)
	v_add_u32_e32 v39, v39, v75
	v_lshlrev_b64 v[39:40], 3, v[39:40]
	v_add_co_u32_e32 v39, vcc, s86, v39
	v_addc_co_u32_e32 v40, vcc, v41, v40, vcc
	s_waitcnt lgkmcnt(0)
	global_store_dwordx2 v[39:40], v[37:38], off
	s_or_b64 exec, exec, s[36:37]
	s_and_saveexec_b64 s[36:37], s[42:43]
	s_cbranch_execz .LBB1152_525
.LBB1152_589:                           ;   in Loop: Header=BB1152_393 Depth=2
	v_lshlrev_b32_e32 v37, 2, v154
	ds_read_b32 v39, v37
	ds_read_b64 v[37:38], v104 offset:7168
	v_mov_b32_e32 v40, v3
	v_mov_b32_e32 v41, s87
	s_waitcnt lgkmcnt(1)
	v_add_u32_e32 v39, v39, v76
	v_lshlrev_b64 v[39:40], 3, v[39:40]
	v_add_co_u32_e32 v39, vcc, s86, v39
	v_addc_co_u32_e32 v40, vcc, v41, v40, vcc
	s_waitcnt lgkmcnt(0)
	global_store_dwordx2 v[39:40], v[37:38], off
	s_or_b64 exec, exec, s[36:37]
	s_and_saveexec_b64 s[36:37], s[44:45]
	s_cbranch_execz .LBB1152_526
.LBB1152_590:                           ;   in Loop: Header=BB1152_393 Depth=2
	v_lshlrev_b32_e32 v37, 2, v152
	ds_read_b32 v39, v37
	ds_read_b64 v[37:38], v104 offset:9216
	v_mov_b32_e32 v40, v3
	v_mov_b32_e32 v41, s87
	s_waitcnt lgkmcnt(1)
	v_add_u32_e32 v39, v39, v79
	v_lshlrev_b64 v[39:40], 3, v[39:40]
	v_add_co_u32_e32 v39, vcc, s86, v39
	v_addc_co_u32_e32 v40, vcc, v41, v40, vcc
	s_waitcnt lgkmcnt(0)
	global_store_dwordx2 v[39:40], v[37:38], off
	s_or_b64 exec, exec, s[36:37]
	s_and_saveexec_b64 s[36:37], s[46:47]
	s_cbranch_execz .LBB1152_527
.LBB1152_591:                           ;   in Loop: Header=BB1152_393 Depth=2
	v_lshlrev_b32_e32 v37, 2, v150
	ds_read_b32 v39, v37
	ds_read_b64 v[37:38], v104 offset:11264
	v_mov_b32_e32 v40, v3
	v_mov_b32_e32 v41, s87
	s_waitcnt lgkmcnt(1)
	v_add_u32_e32 v39, v39, v80
	v_lshlrev_b64 v[39:40], 3, v[39:40]
	v_add_co_u32_e32 v39, vcc, s86, v39
	v_addc_co_u32_e32 v40, vcc, v41, v40, vcc
	s_waitcnt lgkmcnt(0)
	global_store_dwordx2 v[39:40], v[37:38], off
	s_or_b64 exec, exec, s[36:37]
	s_and_saveexec_b64 s[36:37], s[48:49]
	s_cbranch_execz .LBB1152_528
.LBB1152_592:                           ;   in Loop: Header=BB1152_393 Depth=2
	v_lshlrev_b32_e32 v37, 2, v148
	ds_read_b32 v39, v37
	ds_read_b64 v[37:38], v104 offset:13312
	v_mov_b32_e32 v40, v3
	v_mov_b32_e32 v41, s87
	s_waitcnt lgkmcnt(1)
	v_add_u32_e32 v39, v39, v81
	v_lshlrev_b64 v[39:40], 3, v[39:40]
	v_add_co_u32_e32 v39, vcc, s86, v39
	v_addc_co_u32_e32 v40, vcc, v41, v40, vcc
	s_waitcnt lgkmcnt(0)
	global_store_dwordx2 v[39:40], v[37:38], off
	s_or_b64 exec, exec, s[36:37]
	s_and_saveexec_b64 s[36:37], s[50:51]
	s_cbranch_execz .LBB1152_529
.LBB1152_593:                           ;   in Loop: Header=BB1152_393 Depth=2
	v_lshlrev_b32_e32 v37, 2, v146
	ds_read_b32 v39, v37
	ds_read_b64 v[37:38], v104 offset:15360
	v_mov_b32_e32 v40, v3
	v_mov_b32_e32 v41, s87
	s_waitcnt lgkmcnt(1)
	v_add_u32_e32 v39, v39, v82
	v_lshlrev_b64 v[39:40], 3, v[39:40]
	v_add_co_u32_e32 v39, vcc, s86, v39
	v_addc_co_u32_e32 v40, vcc, v41, v40, vcc
	s_waitcnt lgkmcnt(0)
	global_store_dwordx2 v[39:40], v[37:38], off
	s_or_b64 exec, exec, s[36:37]
	s_and_saveexec_b64 s[36:37], s[52:53]
	s_cbranch_execz .LBB1152_530
.LBB1152_594:                           ;   in Loop: Header=BB1152_393 Depth=2
	v_lshlrev_b32_e32 v37, 2, v144
	ds_read_b32 v39, v37
	ds_read_b64 v[37:38], v104 offset:17408
	v_mov_b32_e32 v40, v3
	v_mov_b32_e32 v41, s87
	s_waitcnt lgkmcnt(1)
	v_add_u32_e32 v39, v39, v83
	v_lshlrev_b64 v[39:40], 3, v[39:40]
	v_add_co_u32_e32 v39, vcc, s86, v39
	v_addc_co_u32_e32 v40, vcc, v41, v40, vcc
	s_waitcnt lgkmcnt(0)
	global_store_dwordx2 v[39:40], v[37:38], off
	s_or_b64 exec, exec, s[36:37]
	s_and_saveexec_b64 s[36:37], s[54:55]
	s_cbranch_execz .LBB1152_531
.LBB1152_595:                           ;   in Loop: Header=BB1152_393 Depth=2
	v_lshlrev_b32_e32 v37, 2, v142
	ds_read_b32 v39, v37
	ds_read_b64 v[37:38], v104 offset:19456
	v_mov_b32_e32 v40, v3
	v_mov_b32_e32 v41, s87
	s_waitcnt lgkmcnt(1)
	v_add_u32_e32 v39, v39, v84
	v_lshlrev_b64 v[39:40], 3, v[39:40]
	v_add_co_u32_e32 v39, vcc, s86, v39
	v_addc_co_u32_e32 v40, vcc, v41, v40, vcc
	s_waitcnt lgkmcnt(0)
	global_store_dwordx2 v[39:40], v[37:38], off
	s_or_b64 exec, exec, s[36:37]
	s_and_saveexec_b64 s[36:37], s[56:57]
	s_cbranch_execz .LBB1152_532
.LBB1152_596:                           ;   in Loop: Header=BB1152_393 Depth=2
	v_lshlrev_b32_e32 v37, 2, v141
	ds_read_b32 v39, v37
	ds_read_b64 v[37:38], v104 offset:21504
	v_mov_b32_e32 v40, v3
	v_mov_b32_e32 v41, s87
	s_waitcnt lgkmcnt(1)
	v_add_u32_e32 v39, v39, v85
	v_lshlrev_b64 v[39:40], 3, v[39:40]
	v_add_co_u32_e32 v39, vcc, s86, v39
	v_addc_co_u32_e32 v40, vcc, v41, v40, vcc
	s_waitcnt lgkmcnt(0)
	global_store_dwordx2 v[39:40], v[37:38], off
	s_or_b64 exec, exec, s[36:37]
	s_and_saveexec_b64 s[36:37], s[58:59]
	s_cbranch_execz .LBB1152_533
.LBB1152_597:                           ;   in Loop: Header=BB1152_393 Depth=2
	v_lshlrev_b32_e32 v37, 2, v140
	ds_read_b32 v39, v37
	ds_read_b64 v[37:38], v104 offset:23552
	v_mov_b32_e32 v40, v3
	v_mov_b32_e32 v41, s87
	s_waitcnt lgkmcnt(1)
	v_add_u32_e32 v39, v39, v86
	v_lshlrev_b64 v[39:40], 3, v[39:40]
	v_add_co_u32_e32 v39, vcc, s86, v39
	v_addc_co_u32_e32 v40, vcc, v41, v40, vcc
	s_waitcnt lgkmcnt(0)
	global_store_dwordx2 v[39:40], v[37:38], off
	s_or_b64 exec, exec, s[36:37]
	s_and_saveexec_b64 s[36:37], s[60:61]
	s_cbranch_execz .LBB1152_534
.LBB1152_598:                           ;   in Loop: Header=BB1152_393 Depth=2
	v_lshlrev_b32_e32 v37, 2, v139
	ds_read_b32 v39, v37
	ds_read_b64 v[37:38], v104 offset:25600
	v_mov_b32_e32 v40, v3
	v_mov_b32_e32 v41, s87
	s_waitcnt lgkmcnt(1)
	v_add_u32_e32 v39, v39, v87
	v_lshlrev_b64 v[39:40], 3, v[39:40]
	v_add_co_u32_e32 v39, vcc, s86, v39
	v_addc_co_u32_e32 v40, vcc, v41, v40, vcc
	s_waitcnt lgkmcnt(0)
	global_store_dwordx2 v[39:40], v[37:38], off
	s_or_b64 exec, exec, s[36:37]
	s_and_saveexec_b64 s[36:37], s[62:63]
	s_cbranch_execz .LBB1152_535
.LBB1152_599:                           ;   in Loop: Header=BB1152_393 Depth=2
	v_lshlrev_b32_e32 v37, 2, v138
	ds_read_b32 v39, v37
	ds_read_b64 v[37:38], v104 offset:27648
	v_mov_b32_e32 v40, v3
	v_mov_b32_e32 v41, s87
	s_waitcnt lgkmcnt(1)
	v_add_u32_e32 v39, v39, v88
	v_lshlrev_b64 v[39:40], 3, v[39:40]
	v_add_co_u32_e32 v39, vcc, s86, v39
	v_addc_co_u32_e32 v40, vcc, v41, v40, vcc
	s_waitcnt lgkmcnt(0)
	global_store_dwordx2 v[39:40], v[37:38], off
	s_or_b64 exec, exec, s[36:37]
	s_and_saveexec_b64 s[36:37], s[64:65]
	s_cbranch_execz .LBB1152_536
.LBB1152_600:                           ;   in Loop: Header=BB1152_393 Depth=2
	v_lshlrev_b32_e32 v37, 2, v137
	ds_read_b32 v39, v37
	ds_read_b64 v[37:38], v104 offset:29696
	v_mov_b32_e32 v40, v3
	v_mov_b32_e32 v41, s87
	s_waitcnt lgkmcnt(1)
	v_add_u32_e32 v39, v39, v89
	v_lshlrev_b64 v[39:40], 3, v[39:40]
	v_add_co_u32_e32 v39, vcc, s86, v39
	v_addc_co_u32_e32 v40, vcc, v41, v40, vcc
	s_waitcnt lgkmcnt(0)
	global_store_dwordx2 v[39:40], v[37:38], off
	s_or_b64 exec, exec, s[36:37]
	s_and_saveexec_b64 s[36:37], s[66:67]
	s_cbranch_execnz .LBB1152_537
	s_branch .LBB1152_538
.LBB1152_601:                           ;   in Loop: Header=BB1152_17 Depth=1
	s_waitcnt lgkmcnt(0)
	s_barrier
.LBB1152_602:                           ;   in Loop: Header=BB1152_17 Depth=1
	s_mov_b64 s[16:17], 0
.LBB1152_603:                           ;   in Loop: Header=BB1152_17 Depth=1
	s_andn2_b64 vcc, exec, s[16:17]
	s_cbranch_vccnz .LBB1152_16
; %bb.604:                              ;   in Loop: Header=BB1152_17 Depth=1
	s_lshl_b32 s16, -1, s96
	s_not_b32 s96, s16
	s_mov_b64 s[16:17], -1
	s_and_b64 vcc, exec, s[70:71]
	s_cbranch_vccz .LBB1152_896
; %bb.605:                              ;   in Loop: Header=BB1152_17 Depth=1
	s_mov_b32 s20, s91
	s_mov_b32 s16, s69
	s_barrier
                                        ; implicit-def: $vgpr4_vgpr5
                                        ; implicit-def: $vgpr6_vgpr7
                                        ; implicit-def: $vgpr8_vgpr9
                                        ; implicit-def: $vgpr10_vgpr11
                                        ; implicit-def: $vgpr12_vgpr13
                                        ; implicit-def: $vgpr14_vgpr15
                                        ; implicit-def: $vgpr16_vgpr17
                                        ; implicit-def: $vgpr18_vgpr19
                                        ; implicit-def: $vgpr20_vgpr21
                                        ; implicit-def: $vgpr22_vgpr23
                                        ; implicit-def: $vgpr24_vgpr25
                                        ; implicit-def: $vgpr26_vgpr27
                                        ; implicit-def: $vgpr28_vgpr29
                                        ; implicit-def: $vgpr30_vgpr31
                                        ; implicit-def: $vgpr32_vgpr33
                                        ; implicit-def: $vgpr34_vgpr35
	s_branch .LBB1152_607
.LBB1152_606:                           ;   in Loop: Header=BB1152_607 Depth=2
	s_or_b64 exec, exec, s[16:17]
	s_addk_i32 s20, 0xf000
	s_cmp_ge_u32 s21, s94
	s_mov_b32 s16, s21
	s_cbranch_scc1 .LBB1152_675
.LBB1152_607:                           ;   Parent Loop BB1152_17 Depth=1
                                        ; =>  This Inner Loop Header: Depth=2
	s_add_i32 s21, s16, 0x1000
	s_cmp_gt_u32 s21, s94
	s_mov_b64 s[18:19], -1
                                        ; implicit-def: $vgpr36_vgpr37
                                        ; implicit-def: $vgpr38_vgpr39
                                        ; implicit-def: $vgpr40_vgpr41
                                        ; implicit-def: $vgpr42_vgpr43
                                        ; implicit-def: $vgpr44_vgpr45
                                        ; implicit-def: $vgpr46_vgpr47
                                        ; implicit-def: $vgpr48_vgpr49
                                        ; implicit-def: $vgpr50_vgpr51
                                        ; implicit-def: $vgpr52_vgpr53
                                        ; implicit-def: $vgpr54_vgpr55
                                        ; implicit-def: $vgpr56_vgpr57
                                        ; implicit-def: $vgpr58_vgpr59
                                        ; implicit-def: $vgpr60_vgpr61
                                        ; implicit-def: $vgpr62_vgpr63
                                        ; implicit-def: $vgpr64_vgpr65
                                        ; implicit-def: $vgpr66_vgpr67
	s_cbranch_scc1 .LBB1152_609
; %bb.608:                              ;   in Loop: Header=BB1152_607 Depth=2
	s_mov_b32 s17, s72
	s_lshl_b64 s[18:19], s[16:17], 3
	v_mov_b32_e32 v36, s19
	v_add_co_u32_e32 v60, vcc, s18, v111
	v_addc_co_u32_e32 v61, vcc, v112, v36, vcc
	v_add_co_u32_e32 v44, vcc, 0x1000, v60
	v_addc_co_u32_e32 v45, vcc, 0, v61, vcc
	;; [unrolled: 2-line block ×6, first 2 shown]
	global_load_dwordx2 v[36:37], v[60:61], off
	global_load_dwordx2 v[38:39], v[60:61], off offset:2048
	global_load_dwordx2 v[40:41], v[44:45], off
	global_load_dwordx2 v[42:43], v[44:45], off offset:2048
	s_nop 0
	global_load_dwordx2 v[44:45], v[52:53], off
	global_load_dwordx2 v[46:47], v[52:53], off offset:2048
	global_load_dwordx2 v[48:49], v[54:55], off
	global_load_dwordx2 v[50:51], v[54:55], off offset:2048
	s_nop 0
	global_load_dwordx2 v[52:53], v[62:63], off
	global_load_dwordx2 v[54:55], v[62:63], off offset:2048
	global_load_dwordx2 v[56:57], v[64:65], off
	global_load_dwordx2 v[58:59], v[64:65], off offset:2048
	v_add_co_u32_e32 v62, vcc, 0x6000, v60
	v_addc_co_u32_e32 v63, vcc, 0, v61, vcc
	v_add_co_u32_e32 v66, vcc, 0x7000, v60
	v_addc_co_u32_e32 v67, vcc, 0, v61, vcc
	global_load_dwordx2 v[60:61], v[62:63], off
	s_nop 0
	global_load_dwordx2 v[62:63], v[62:63], off offset:2048
	s_nop 0
	global_load_dwordx2 v[64:65], v[66:67], off
	s_nop 0
	global_load_dwordx2 v[66:67], v[66:67], off offset:2048
	s_mov_b64 s[18:19], 0
.LBB1152_609:                           ;   in Loop: Header=BB1152_607 Depth=2
	s_andn2_b64 vcc, exec, s[18:19]
	s_movk_i32 s18, 0x1000
	s_cbranch_vccnz .LBB1152_628
; %bb.610:                              ;   in Loop: Header=BB1152_607 Depth=2
	s_mov_b32 s17, s72
	s_lshl_b64 s[16:17], s[16:17], 3
	s_add_u32 s16, s76, s16
	s_addc_u32 s17, s77, s17
	v_cmp_gt_u32_e32 vcc, s20, v0
	s_and_saveexec_b64 s[18:19], vcc
	s_cbranch_execnz .LBB1152_660
; %bb.611:                              ;   in Loop: Header=BB1152_607 Depth=2
	s_or_b64 exec, exec, s[18:19]
	v_cmp_gt_u32_e32 vcc, s20, v74
	s_and_saveexec_b64 s[18:19], vcc
	s_cbranch_execnz .LBB1152_661
.LBB1152_612:                           ;   in Loop: Header=BB1152_607 Depth=2
	s_or_b64 exec, exec, s[18:19]
	v_cmp_gt_u32_e32 vcc, s20, v75
	s_and_saveexec_b64 s[18:19], vcc
	s_cbranch_execnz .LBB1152_662
.LBB1152_613:                           ;   in Loop: Header=BB1152_607 Depth=2
	s_or_b64 exec, exec, s[18:19]
	v_cmp_gt_u32_e32 vcc, s20, v76
	s_and_saveexec_b64 s[18:19], vcc
	s_cbranch_execnz .LBB1152_663
.LBB1152_614:                           ;   in Loop: Header=BB1152_607 Depth=2
	s_or_b64 exec, exec, s[18:19]
	v_cmp_gt_u32_e32 vcc, s20, v79
	s_and_saveexec_b64 s[18:19], vcc
	s_cbranch_execnz .LBB1152_664
.LBB1152_615:                           ;   in Loop: Header=BB1152_607 Depth=2
	s_or_b64 exec, exec, s[18:19]
	v_cmp_gt_u32_e32 vcc, s20, v80
	s_and_saveexec_b64 s[18:19], vcc
	s_cbranch_execnz .LBB1152_665
.LBB1152_616:                           ;   in Loop: Header=BB1152_607 Depth=2
	s_or_b64 exec, exec, s[18:19]
	v_cmp_gt_u32_e32 vcc, s20, v81
	s_and_saveexec_b64 s[18:19], vcc
	s_cbranch_execnz .LBB1152_666
.LBB1152_617:                           ;   in Loop: Header=BB1152_607 Depth=2
	s_or_b64 exec, exec, s[18:19]
	v_cmp_gt_u32_e32 vcc, s20, v82
	s_and_saveexec_b64 s[18:19], vcc
	s_cbranch_execnz .LBB1152_667
.LBB1152_618:                           ;   in Loop: Header=BB1152_607 Depth=2
	s_or_b64 exec, exec, s[18:19]
	v_cmp_gt_u32_e32 vcc, s20, v83
	s_and_saveexec_b64 s[18:19], vcc
	s_cbranch_execnz .LBB1152_668
.LBB1152_619:                           ;   in Loop: Header=BB1152_607 Depth=2
	s_or_b64 exec, exec, s[18:19]
	v_cmp_gt_u32_e32 vcc, s20, v84
	s_and_saveexec_b64 s[18:19], vcc
	s_cbranch_execnz .LBB1152_669
.LBB1152_620:                           ;   in Loop: Header=BB1152_607 Depth=2
	s_or_b64 exec, exec, s[18:19]
	v_cmp_gt_u32_e32 vcc, s20, v85
	s_and_saveexec_b64 s[18:19], vcc
	s_cbranch_execnz .LBB1152_670
.LBB1152_621:                           ;   in Loop: Header=BB1152_607 Depth=2
	s_or_b64 exec, exec, s[18:19]
	v_cmp_gt_u32_e32 vcc, s20, v86
	s_and_saveexec_b64 s[18:19], vcc
	s_cbranch_execnz .LBB1152_671
.LBB1152_622:                           ;   in Loop: Header=BB1152_607 Depth=2
	s_or_b64 exec, exec, s[18:19]
	v_cmp_gt_u32_e32 vcc, s20, v87
	s_and_saveexec_b64 s[18:19], vcc
	s_cbranch_execnz .LBB1152_672
.LBB1152_623:                           ;   in Loop: Header=BB1152_607 Depth=2
	s_or_b64 exec, exec, s[18:19]
	v_cmp_gt_u32_e32 vcc, s20, v88
	s_and_saveexec_b64 s[18:19], vcc
	s_cbranch_execnz .LBB1152_673
.LBB1152_624:                           ;   in Loop: Header=BB1152_607 Depth=2
	s_or_b64 exec, exec, s[18:19]
	v_cmp_gt_u32_e32 vcc, s20, v89
	s_and_saveexec_b64 s[18:19], vcc
	s_cbranch_execnz .LBB1152_674
.LBB1152_625:                           ;   in Loop: Header=BB1152_607 Depth=2
	s_or_b64 exec, exec, s[18:19]
	v_cmp_gt_u32_e32 vcc, s20, v90
	s_and_saveexec_b64 s[18:19], vcc
	s_cbranch_execz .LBB1152_627
.LBB1152_626:                           ;   in Loop: Header=BB1152_607 Depth=2
	global_load_dwordx2 v[4:5], v132, s[16:17]
.LBB1152_627:                           ;   in Loop: Header=BB1152_607 Depth=2
	s_or_b64 exec, exec, s[18:19]
	s_waitcnt vmcnt(0)
	v_mov_b32_e32 v37, v35
	v_mov_b32_e32 v39, v33
	;; [unrolled: 1-line block ×16, first 2 shown]
	s_mov_b32 s18, s20
	v_mov_b32_e32 v36, v34
	v_mov_b32_e32 v38, v32
	;; [unrolled: 1-line block ×16, first 2 shown]
.LBB1152_628:                           ;   in Loop: Header=BB1152_607 Depth=2
	s_waitcnt vmcnt(0)
	v_mov_b32_e32 v4, v66
	v_mov_b32_e32 v6, v64
	;; [unrolled: 1-line block ×32, first 2 shown]
	v_cmp_gt_u32_e32 vcc, s18, v0
	s_and_saveexec_b64 s[16:17], vcc
	s_cbranch_execnz .LBB1152_644
; %bb.629:                              ;   in Loop: Header=BB1152_607 Depth=2
	s_or_b64 exec, exec, s[16:17]
	v_cmp_gt_u32_e32 vcc, s18, v74
	s_and_saveexec_b64 s[16:17], vcc
	s_cbranch_execnz .LBB1152_645
.LBB1152_630:                           ;   in Loop: Header=BB1152_607 Depth=2
	s_or_b64 exec, exec, s[16:17]
	v_cmp_gt_u32_e32 vcc, s18, v75
	s_and_saveexec_b64 s[16:17], vcc
	s_cbranch_execnz .LBB1152_646
.LBB1152_631:                           ;   in Loop: Header=BB1152_607 Depth=2
	s_or_b64 exec, exec, s[16:17]
	v_cmp_gt_u32_e32 vcc, s18, v76
	s_and_saveexec_b64 s[16:17], vcc
	s_cbranch_execnz .LBB1152_647
.LBB1152_632:                           ;   in Loop: Header=BB1152_607 Depth=2
	s_or_b64 exec, exec, s[16:17]
	v_cmp_gt_u32_e32 vcc, s18, v79
	s_and_saveexec_b64 s[16:17], vcc
	s_cbranch_execnz .LBB1152_648
.LBB1152_633:                           ;   in Loop: Header=BB1152_607 Depth=2
	s_or_b64 exec, exec, s[16:17]
	v_cmp_gt_u32_e32 vcc, s18, v80
	s_and_saveexec_b64 s[16:17], vcc
	s_cbranch_execnz .LBB1152_649
.LBB1152_634:                           ;   in Loop: Header=BB1152_607 Depth=2
	s_or_b64 exec, exec, s[16:17]
	v_cmp_gt_u32_e32 vcc, s18, v81
	s_and_saveexec_b64 s[16:17], vcc
	s_cbranch_execnz .LBB1152_650
.LBB1152_635:                           ;   in Loop: Header=BB1152_607 Depth=2
	s_or_b64 exec, exec, s[16:17]
	v_cmp_gt_u32_e32 vcc, s18, v82
	s_and_saveexec_b64 s[16:17], vcc
	s_cbranch_execnz .LBB1152_651
.LBB1152_636:                           ;   in Loop: Header=BB1152_607 Depth=2
	s_or_b64 exec, exec, s[16:17]
	v_cmp_gt_u32_e32 vcc, s18, v83
	s_and_saveexec_b64 s[16:17], vcc
	s_cbranch_execnz .LBB1152_652
.LBB1152_637:                           ;   in Loop: Header=BB1152_607 Depth=2
	s_or_b64 exec, exec, s[16:17]
	v_cmp_gt_u32_e32 vcc, s18, v84
	s_and_saveexec_b64 s[16:17], vcc
	s_cbranch_execnz .LBB1152_653
.LBB1152_638:                           ;   in Loop: Header=BB1152_607 Depth=2
	s_or_b64 exec, exec, s[16:17]
	v_cmp_gt_u32_e32 vcc, s18, v85
	s_and_saveexec_b64 s[16:17], vcc
	s_cbranch_execnz .LBB1152_654
.LBB1152_639:                           ;   in Loop: Header=BB1152_607 Depth=2
	s_or_b64 exec, exec, s[16:17]
	v_cmp_gt_u32_e32 vcc, s18, v86
	s_and_saveexec_b64 s[16:17], vcc
	s_cbranch_execnz .LBB1152_655
.LBB1152_640:                           ;   in Loop: Header=BB1152_607 Depth=2
	s_or_b64 exec, exec, s[16:17]
	v_cmp_gt_u32_e32 vcc, s18, v87
	s_and_saveexec_b64 s[16:17], vcc
	s_cbranch_execnz .LBB1152_656
.LBB1152_641:                           ;   in Loop: Header=BB1152_607 Depth=2
	s_or_b64 exec, exec, s[16:17]
	v_cmp_gt_u32_e32 vcc, s18, v88
	s_and_saveexec_b64 s[16:17], vcc
	s_cbranch_execnz .LBB1152_657
.LBB1152_642:                           ;   in Loop: Header=BB1152_607 Depth=2
	s_or_b64 exec, exec, s[16:17]
	v_cmp_gt_u32_e32 vcc, s18, v89
	s_and_saveexec_b64 s[16:17], vcc
	s_cbranch_execnz .LBB1152_658
.LBB1152_643:                           ;   in Loop: Header=BB1152_607 Depth=2
	s_or_b64 exec, exec, s[16:17]
	v_cmp_gt_u32_e32 vcc, s18, v90
	s_and_saveexec_b64 s[16:17], vcc
	s_cbranch_execz .LBB1152_606
	s_branch .LBB1152_659
.LBB1152_644:                           ;   in Loop: Header=BB1152_607 Depth=2
	v_cmp_gt_i64_e32 vcc, 0, v[34:35]
	v_ashrrev_i32_e32 v37, 31, v35
	v_cndmask_b32_e64 v36, v133, 0, vcc
	v_not_b32_e32 v38, v37
	v_xor_b32_e32 v37, v36, v35
	v_xor_b32_e32 v36, v38, v34
	v_cmp_ne_u64_e32 vcc, s[72:73], v[36:37]
	v_cndmask_b32_e32 v37, v133, v37, vcc
	v_cndmask_b32_e32 v36, -1, v36, vcc
	v_lshrrev_b64 v[36:37], s88, v[36:37]
	v_and_b32_e32 v36, s96, v36
	v_lshl_or_b32 v36, v36, 4, v91
	ds_add_u32 v36, v117
	s_or_b64 exec, exec, s[16:17]
	v_cmp_gt_u32_e32 vcc, s18, v74
	s_and_saveexec_b64 s[16:17], vcc
	s_cbranch_execz .LBB1152_630
.LBB1152_645:                           ;   in Loop: Header=BB1152_607 Depth=2
	v_cmp_gt_i64_e32 vcc, 0, v[32:33]
	v_ashrrev_i32_e32 v37, 31, v33
	v_cndmask_b32_e64 v36, v133, 0, vcc
	v_not_b32_e32 v38, v37
	v_xor_b32_e32 v37, v36, v33
	v_xor_b32_e32 v36, v38, v32
	v_cmp_ne_u64_e32 vcc, s[72:73], v[36:37]
	v_cndmask_b32_e32 v37, v133, v37, vcc
	v_cndmask_b32_e32 v36, -1, v36, vcc
	v_lshrrev_b64 v[36:37], s88, v[36:37]
	v_and_b32_e32 v36, s96, v36
	v_lshl_or_b32 v36, v36, 4, v91
	ds_add_u32 v36, v117
	s_or_b64 exec, exec, s[16:17]
	v_cmp_gt_u32_e32 vcc, s18, v75
	s_and_saveexec_b64 s[16:17], vcc
	s_cbranch_execz .LBB1152_631
.LBB1152_646:                           ;   in Loop: Header=BB1152_607 Depth=2
	v_cmp_gt_i64_e32 vcc, 0, v[30:31]
	v_ashrrev_i32_e32 v37, 31, v31
	v_cndmask_b32_e64 v36, v133, 0, vcc
	v_not_b32_e32 v38, v37
	v_xor_b32_e32 v37, v36, v31
	v_xor_b32_e32 v36, v38, v30
	v_cmp_ne_u64_e32 vcc, s[72:73], v[36:37]
	v_cndmask_b32_e32 v37, v133, v37, vcc
	v_cndmask_b32_e32 v36, -1, v36, vcc
	v_lshrrev_b64 v[36:37], s88, v[36:37]
	v_and_b32_e32 v36, s96, v36
	v_lshl_or_b32 v36, v36, 4, v91
	ds_add_u32 v36, v117
	s_or_b64 exec, exec, s[16:17]
	v_cmp_gt_u32_e32 vcc, s18, v76
	s_and_saveexec_b64 s[16:17], vcc
	s_cbranch_execz .LBB1152_632
.LBB1152_647:                           ;   in Loop: Header=BB1152_607 Depth=2
	v_cmp_gt_i64_e32 vcc, 0, v[28:29]
	v_ashrrev_i32_e32 v37, 31, v29
	v_cndmask_b32_e64 v36, v133, 0, vcc
	v_not_b32_e32 v38, v37
	v_xor_b32_e32 v37, v36, v29
	v_xor_b32_e32 v36, v38, v28
	v_cmp_ne_u64_e32 vcc, s[72:73], v[36:37]
	v_cndmask_b32_e32 v37, v133, v37, vcc
	v_cndmask_b32_e32 v36, -1, v36, vcc
	v_lshrrev_b64 v[36:37], s88, v[36:37]
	v_and_b32_e32 v36, s96, v36
	v_lshl_or_b32 v36, v36, 4, v91
	ds_add_u32 v36, v117
	s_or_b64 exec, exec, s[16:17]
	v_cmp_gt_u32_e32 vcc, s18, v79
	s_and_saveexec_b64 s[16:17], vcc
	s_cbranch_execz .LBB1152_633
.LBB1152_648:                           ;   in Loop: Header=BB1152_607 Depth=2
	v_cmp_gt_i64_e32 vcc, 0, v[26:27]
	v_ashrrev_i32_e32 v37, 31, v27
	v_cndmask_b32_e64 v36, v133, 0, vcc
	v_not_b32_e32 v38, v37
	v_xor_b32_e32 v37, v36, v27
	v_xor_b32_e32 v36, v38, v26
	v_cmp_ne_u64_e32 vcc, s[72:73], v[36:37]
	v_cndmask_b32_e32 v37, v133, v37, vcc
	v_cndmask_b32_e32 v36, -1, v36, vcc
	v_lshrrev_b64 v[36:37], s88, v[36:37]
	v_and_b32_e32 v36, s96, v36
	v_lshl_or_b32 v36, v36, 4, v91
	ds_add_u32 v36, v117
	s_or_b64 exec, exec, s[16:17]
	v_cmp_gt_u32_e32 vcc, s18, v80
	s_and_saveexec_b64 s[16:17], vcc
	s_cbranch_execz .LBB1152_634
.LBB1152_649:                           ;   in Loop: Header=BB1152_607 Depth=2
	v_cmp_gt_i64_e32 vcc, 0, v[24:25]
	v_ashrrev_i32_e32 v37, 31, v25
	v_cndmask_b32_e64 v36, v133, 0, vcc
	v_not_b32_e32 v38, v37
	v_xor_b32_e32 v37, v36, v25
	v_xor_b32_e32 v36, v38, v24
	v_cmp_ne_u64_e32 vcc, s[72:73], v[36:37]
	v_cndmask_b32_e32 v37, v133, v37, vcc
	v_cndmask_b32_e32 v36, -1, v36, vcc
	v_lshrrev_b64 v[36:37], s88, v[36:37]
	v_and_b32_e32 v36, s96, v36
	v_lshl_or_b32 v36, v36, 4, v91
	ds_add_u32 v36, v117
	s_or_b64 exec, exec, s[16:17]
	v_cmp_gt_u32_e32 vcc, s18, v81
	s_and_saveexec_b64 s[16:17], vcc
	s_cbranch_execz .LBB1152_635
.LBB1152_650:                           ;   in Loop: Header=BB1152_607 Depth=2
	v_cmp_gt_i64_e32 vcc, 0, v[22:23]
	v_ashrrev_i32_e32 v37, 31, v23
	v_cndmask_b32_e64 v36, v133, 0, vcc
	v_not_b32_e32 v38, v37
	v_xor_b32_e32 v37, v36, v23
	v_xor_b32_e32 v36, v38, v22
	v_cmp_ne_u64_e32 vcc, s[72:73], v[36:37]
	v_cndmask_b32_e32 v37, v133, v37, vcc
	v_cndmask_b32_e32 v36, -1, v36, vcc
	v_lshrrev_b64 v[36:37], s88, v[36:37]
	v_and_b32_e32 v36, s96, v36
	v_lshl_or_b32 v36, v36, 4, v91
	ds_add_u32 v36, v117
	s_or_b64 exec, exec, s[16:17]
	v_cmp_gt_u32_e32 vcc, s18, v82
	s_and_saveexec_b64 s[16:17], vcc
	s_cbranch_execz .LBB1152_636
.LBB1152_651:                           ;   in Loop: Header=BB1152_607 Depth=2
	v_cmp_gt_i64_e32 vcc, 0, v[20:21]
	v_ashrrev_i32_e32 v37, 31, v21
	v_cndmask_b32_e64 v36, v133, 0, vcc
	v_not_b32_e32 v38, v37
	v_xor_b32_e32 v37, v36, v21
	v_xor_b32_e32 v36, v38, v20
	v_cmp_ne_u64_e32 vcc, s[72:73], v[36:37]
	v_cndmask_b32_e32 v37, v133, v37, vcc
	v_cndmask_b32_e32 v36, -1, v36, vcc
	v_lshrrev_b64 v[36:37], s88, v[36:37]
	v_and_b32_e32 v36, s96, v36
	v_lshl_or_b32 v36, v36, 4, v91
	ds_add_u32 v36, v117
	s_or_b64 exec, exec, s[16:17]
	v_cmp_gt_u32_e32 vcc, s18, v83
	s_and_saveexec_b64 s[16:17], vcc
	s_cbranch_execz .LBB1152_637
.LBB1152_652:                           ;   in Loop: Header=BB1152_607 Depth=2
	v_cmp_gt_i64_e32 vcc, 0, v[18:19]
	v_ashrrev_i32_e32 v37, 31, v19
	v_cndmask_b32_e64 v36, v133, 0, vcc
	v_not_b32_e32 v38, v37
	v_xor_b32_e32 v37, v36, v19
	v_xor_b32_e32 v36, v38, v18
	v_cmp_ne_u64_e32 vcc, s[72:73], v[36:37]
	v_cndmask_b32_e32 v37, v133, v37, vcc
	v_cndmask_b32_e32 v36, -1, v36, vcc
	v_lshrrev_b64 v[36:37], s88, v[36:37]
	v_and_b32_e32 v36, s96, v36
	v_lshl_or_b32 v36, v36, 4, v91
	ds_add_u32 v36, v117
	s_or_b64 exec, exec, s[16:17]
	v_cmp_gt_u32_e32 vcc, s18, v84
	s_and_saveexec_b64 s[16:17], vcc
	s_cbranch_execz .LBB1152_638
.LBB1152_653:                           ;   in Loop: Header=BB1152_607 Depth=2
	v_cmp_gt_i64_e32 vcc, 0, v[16:17]
	v_ashrrev_i32_e32 v37, 31, v17
	v_cndmask_b32_e64 v36, v133, 0, vcc
	v_not_b32_e32 v38, v37
	v_xor_b32_e32 v37, v36, v17
	v_xor_b32_e32 v36, v38, v16
	v_cmp_ne_u64_e32 vcc, s[72:73], v[36:37]
	v_cndmask_b32_e32 v37, v133, v37, vcc
	v_cndmask_b32_e32 v36, -1, v36, vcc
	v_lshrrev_b64 v[36:37], s88, v[36:37]
	v_and_b32_e32 v36, s96, v36
	v_lshl_or_b32 v36, v36, 4, v91
	ds_add_u32 v36, v117
	s_or_b64 exec, exec, s[16:17]
	v_cmp_gt_u32_e32 vcc, s18, v85
	s_and_saveexec_b64 s[16:17], vcc
	s_cbranch_execz .LBB1152_639
.LBB1152_654:                           ;   in Loop: Header=BB1152_607 Depth=2
	v_cmp_gt_i64_e32 vcc, 0, v[14:15]
	v_ashrrev_i32_e32 v37, 31, v15
	v_cndmask_b32_e64 v36, v133, 0, vcc
	v_not_b32_e32 v38, v37
	v_xor_b32_e32 v37, v36, v15
	v_xor_b32_e32 v36, v38, v14
	v_cmp_ne_u64_e32 vcc, s[72:73], v[36:37]
	v_cndmask_b32_e32 v37, v133, v37, vcc
	v_cndmask_b32_e32 v36, -1, v36, vcc
	v_lshrrev_b64 v[36:37], s88, v[36:37]
	v_and_b32_e32 v36, s96, v36
	v_lshl_or_b32 v36, v36, 4, v91
	ds_add_u32 v36, v117
	s_or_b64 exec, exec, s[16:17]
	v_cmp_gt_u32_e32 vcc, s18, v86
	s_and_saveexec_b64 s[16:17], vcc
	s_cbranch_execz .LBB1152_640
.LBB1152_655:                           ;   in Loop: Header=BB1152_607 Depth=2
	v_cmp_gt_i64_e32 vcc, 0, v[12:13]
	v_ashrrev_i32_e32 v37, 31, v13
	v_cndmask_b32_e64 v36, v133, 0, vcc
	v_not_b32_e32 v38, v37
	v_xor_b32_e32 v37, v36, v13
	v_xor_b32_e32 v36, v38, v12
	v_cmp_ne_u64_e32 vcc, s[72:73], v[36:37]
	v_cndmask_b32_e32 v37, v133, v37, vcc
	v_cndmask_b32_e32 v36, -1, v36, vcc
	v_lshrrev_b64 v[36:37], s88, v[36:37]
	v_and_b32_e32 v36, s96, v36
	v_lshl_or_b32 v36, v36, 4, v91
	ds_add_u32 v36, v117
	s_or_b64 exec, exec, s[16:17]
	v_cmp_gt_u32_e32 vcc, s18, v87
	s_and_saveexec_b64 s[16:17], vcc
	s_cbranch_execz .LBB1152_641
.LBB1152_656:                           ;   in Loop: Header=BB1152_607 Depth=2
	v_cmp_gt_i64_e32 vcc, 0, v[10:11]
	v_ashrrev_i32_e32 v37, 31, v11
	v_cndmask_b32_e64 v36, v133, 0, vcc
	v_not_b32_e32 v38, v37
	v_xor_b32_e32 v37, v36, v11
	v_xor_b32_e32 v36, v38, v10
	v_cmp_ne_u64_e32 vcc, s[72:73], v[36:37]
	v_cndmask_b32_e32 v37, v133, v37, vcc
	v_cndmask_b32_e32 v36, -1, v36, vcc
	v_lshrrev_b64 v[36:37], s88, v[36:37]
	v_and_b32_e32 v36, s96, v36
	v_lshl_or_b32 v36, v36, 4, v91
	ds_add_u32 v36, v117
	s_or_b64 exec, exec, s[16:17]
	v_cmp_gt_u32_e32 vcc, s18, v88
	s_and_saveexec_b64 s[16:17], vcc
	s_cbranch_execz .LBB1152_642
.LBB1152_657:                           ;   in Loop: Header=BB1152_607 Depth=2
	v_cmp_gt_i64_e32 vcc, 0, v[8:9]
	v_ashrrev_i32_e32 v37, 31, v9
	v_cndmask_b32_e64 v36, v133, 0, vcc
	v_not_b32_e32 v38, v37
	v_xor_b32_e32 v37, v36, v9
	v_xor_b32_e32 v36, v38, v8
	v_cmp_ne_u64_e32 vcc, s[72:73], v[36:37]
	v_cndmask_b32_e32 v37, v133, v37, vcc
	v_cndmask_b32_e32 v36, -1, v36, vcc
	v_lshrrev_b64 v[36:37], s88, v[36:37]
	v_and_b32_e32 v36, s96, v36
	v_lshl_or_b32 v36, v36, 4, v91
	ds_add_u32 v36, v117
	s_or_b64 exec, exec, s[16:17]
	v_cmp_gt_u32_e32 vcc, s18, v89
	s_and_saveexec_b64 s[16:17], vcc
	s_cbranch_execz .LBB1152_643
.LBB1152_658:                           ;   in Loop: Header=BB1152_607 Depth=2
	v_cmp_gt_i64_e32 vcc, 0, v[6:7]
	v_ashrrev_i32_e32 v37, 31, v7
	v_cndmask_b32_e64 v36, v133, 0, vcc
	v_not_b32_e32 v38, v37
	v_xor_b32_e32 v37, v36, v7
	v_xor_b32_e32 v36, v38, v6
	v_cmp_ne_u64_e32 vcc, s[72:73], v[36:37]
	v_cndmask_b32_e32 v37, v133, v37, vcc
	v_cndmask_b32_e32 v36, -1, v36, vcc
	v_lshrrev_b64 v[36:37], s88, v[36:37]
	v_and_b32_e32 v36, s96, v36
	v_lshl_or_b32 v36, v36, 4, v91
	ds_add_u32 v36, v117
	s_or_b64 exec, exec, s[16:17]
	v_cmp_gt_u32_e32 vcc, s18, v90
	s_and_saveexec_b64 s[16:17], vcc
	s_cbranch_execz .LBB1152_606
.LBB1152_659:                           ;   in Loop: Header=BB1152_607 Depth=2
	v_cmp_gt_i64_e32 vcc, 0, v[4:5]
	v_ashrrev_i32_e32 v37, 31, v5
	v_cndmask_b32_e64 v36, v133, 0, vcc
	v_not_b32_e32 v38, v37
	v_xor_b32_e32 v37, v36, v5
	v_xor_b32_e32 v36, v38, v4
	v_cmp_ne_u64_e32 vcc, s[72:73], v[36:37]
	v_cndmask_b32_e32 v37, v133, v37, vcc
	v_cndmask_b32_e32 v36, -1, v36, vcc
	v_lshrrev_b64 v[36:37], s88, v[36:37]
	v_and_b32_e32 v36, s96, v36
	v_lshl_or_b32 v36, v36, 4, v91
	ds_add_u32 v36, v117
	s_branch .LBB1152_606
.LBB1152_660:                           ;   in Loop: Header=BB1152_607 Depth=2
	global_load_dwordx2 v[34:35], v118, s[16:17]
	s_or_b64 exec, exec, s[18:19]
	v_cmp_gt_u32_e32 vcc, s20, v74
	s_and_saveexec_b64 s[18:19], vcc
	s_cbranch_execz .LBB1152_612
.LBB1152_661:                           ;   in Loop: Header=BB1152_607 Depth=2
	global_load_dwordx2 v[32:33], v118, s[16:17] offset:2048
	s_or_b64 exec, exec, s[18:19]
	v_cmp_gt_u32_e32 vcc, s20, v75
	s_and_saveexec_b64 s[18:19], vcc
	s_cbranch_execz .LBB1152_613
.LBB1152_662:                           ;   in Loop: Header=BB1152_607 Depth=2
	global_load_dwordx2 v[30:31], v119, s[16:17]
	s_or_b64 exec, exec, s[18:19]
	v_cmp_gt_u32_e32 vcc, s20, v76
	s_and_saveexec_b64 s[18:19], vcc
	s_cbranch_execz .LBB1152_614
.LBB1152_663:                           ;   in Loop: Header=BB1152_607 Depth=2
	global_load_dwordx2 v[28:29], v120, s[16:17]
	s_or_b64 exec, exec, s[18:19]
	v_cmp_gt_u32_e32 vcc, s20, v79
	s_and_saveexec_b64 s[18:19], vcc
	s_cbranch_execz .LBB1152_615
.LBB1152_664:                           ;   in Loop: Header=BB1152_607 Depth=2
	global_load_dwordx2 v[26:27], v121, s[16:17]
	s_or_b64 exec, exec, s[18:19]
	v_cmp_gt_u32_e32 vcc, s20, v80
	s_and_saveexec_b64 s[18:19], vcc
	s_cbranch_execz .LBB1152_616
.LBB1152_665:                           ;   in Loop: Header=BB1152_607 Depth=2
	global_load_dwordx2 v[24:25], v122, s[16:17]
	s_or_b64 exec, exec, s[18:19]
	v_cmp_gt_u32_e32 vcc, s20, v81
	s_and_saveexec_b64 s[18:19], vcc
	s_cbranch_execz .LBB1152_617
.LBB1152_666:                           ;   in Loop: Header=BB1152_607 Depth=2
	global_load_dwordx2 v[22:23], v123, s[16:17]
	s_or_b64 exec, exec, s[18:19]
	v_cmp_gt_u32_e32 vcc, s20, v82
	s_and_saveexec_b64 s[18:19], vcc
	s_cbranch_execz .LBB1152_618
.LBB1152_667:                           ;   in Loop: Header=BB1152_607 Depth=2
	global_load_dwordx2 v[20:21], v124, s[16:17]
	s_or_b64 exec, exec, s[18:19]
	v_cmp_gt_u32_e32 vcc, s20, v83
	s_and_saveexec_b64 s[18:19], vcc
	s_cbranch_execz .LBB1152_619
.LBB1152_668:                           ;   in Loop: Header=BB1152_607 Depth=2
	global_load_dwordx2 v[18:19], v125, s[16:17]
	s_or_b64 exec, exec, s[18:19]
	v_cmp_gt_u32_e32 vcc, s20, v84
	s_and_saveexec_b64 s[18:19], vcc
	s_cbranch_execz .LBB1152_620
.LBB1152_669:                           ;   in Loop: Header=BB1152_607 Depth=2
	global_load_dwordx2 v[16:17], v126, s[16:17]
	s_or_b64 exec, exec, s[18:19]
	v_cmp_gt_u32_e32 vcc, s20, v85
	s_and_saveexec_b64 s[18:19], vcc
	s_cbranch_execz .LBB1152_621
.LBB1152_670:                           ;   in Loop: Header=BB1152_607 Depth=2
	global_load_dwordx2 v[14:15], v127, s[16:17]
	s_or_b64 exec, exec, s[18:19]
	v_cmp_gt_u32_e32 vcc, s20, v86
	s_and_saveexec_b64 s[18:19], vcc
	s_cbranch_execz .LBB1152_622
.LBB1152_671:                           ;   in Loop: Header=BB1152_607 Depth=2
	global_load_dwordx2 v[12:13], v128, s[16:17]
	s_or_b64 exec, exec, s[18:19]
	v_cmp_gt_u32_e32 vcc, s20, v87
	s_and_saveexec_b64 s[18:19], vcc
	s_cbranch_execz .LBB1152_623
.LBB1152_672:                           ;   in Loop: Header=BB1152_607 Depth=2
	global_load_dwordx2 v[10:11], v129, s[16:17]
	s_or_b64 exec, exec, s[18:19]
	v_cmp_gt_u32_e32 vcc, s20, v88
	s_and_saveexec_b64 s[18:19], vcc
	s_cbranch_execz .LBB1152_624
.LBB1152_673:                           ;   in Loop: Header=BB1152_607 Depth=2
	global_load_dwordx2 v[8:9], v130, s[16:17]
	s_or_b64 exec, exec, s[18:19]
	v_cmp_gt_u32_e32 vcc, s20, v89
	s_and_saveexec_b64 s[18:19], vcc
	s_cbranch_execz .LBB1152_625
.LBB1152_674:                           ;   in Loop: Header=BB1152_607 Depth=2
	global_load_dwordx2 v[6:7], v131, s[16:17]
	s_or_b64 exec, exec, s[18:19]
	v_cmp_gt_u32_e32 vcc, s20, v90
	s_and_saveexec_b64 s[18:19], vcc
	s_cbranch_execnz .LBB1152_626
	s_branch .LBB1152_627
.LBB1152_675:                           ;   in Loop: Header=BB1152_17 Depth=1
	v_mov_b32_e32 v4, 0
	s_waitcnt lgkmcnt(0)
	s_barrier
	s_and_saveexec_b64 s[16:17], s[4:5]
	s_cbranch_execz .LBB1152_677
; %bb.676:                              ;   in Loop: Header=BB1152_17 Depth=1
	ds_read2_b64 v[4:7], v92 offset1:1
	s_waitcnt lgkmcnt(0)
	v_add_u32_e32 v4, v5, v4
	v_add3_u32 v4, v4, v6, v7
.LBB1152_677:                           ;   in Loop: Header=BB1152_17 Depth=1
	s_or_b64 exec, exec, s[16:17]
	v_and_b32_e32 v5, 15, v134
	v_mov_b32_dpp v6, v4 row_shr:1 row_mask:0xf bank_mask:0xf
	v_cmp_eq_u32_e64 s[16:17], 0, v5
	v_cndmask_b32_e64 v6, v6, 0, s[16:17]
	v_add_u32_e32 v4, v6, v4
	v_cmp_lt_u32_e64 s[18:19], 1, v5
	v_cmp_lt_u32_e64 s[20:21], 3, v5
	v_mov_b32_dpp v6, v4 row_shr:2 row_mask:0xf bank_mask:0xf
	v_cndmask_b32_e64 v6, 0, v6, s[18:19]
	v_add_u32_e32 v4, v4, v6
	v_cmp_lt_u32_e64 s[22:23], 7, v5
	v_cmp_lt_u32_e64 s[26:27], 31, v134
	v_mov_b32_dpp v6, v4 row_shr:4 row_mask:0xf bank_mask:0xf
	v_cndmask_b32_e64 v6, 0, v6, s[20:21]
	v_add_u32_e32 v4, v4, v6
	v_and_b32_e32 v7, 16, v134
	v_cmp_eq_u32_e64 s[24:25], 0, v7
	v_mov_b32_dpp v6, v4 row_shr:8 row_mask:0xf bank_mask:0xf
	v_cndmask_b32_e64 v5, 0, v6, s[22:23]
	v_add_u32_e32 v4, v4, v5
	v_bfe_i32 v6, v134, 4, 1
	s_nop 0
	v_mov_b32_dpp v5, v4 row_bcast:15 row_mask:0xf bank_mask:0xf
	v_and_b32_e32 v5, v6, v5
	v_add_u32_e32 v4, v4, v5
	s_nop 1
	v_mov_b32_dpp v5, v4 row_bcast:31 row_mask:0xf bank_mask:0xf
	v_cndmask_b32_e64 v5, 0, v5, s[26:27]
	v_add_u32_e32 v5, v4, v5
	s_and_saveexec_b64 s[28:29], s[6:7]
; %bb.678:                              ;   in Loop: Header=BB1152_17 Depth=1
	ds_write_b32 v94, v5
; %bb.679:                              ;   in Loop: Header=BB1152_17 Depth=1
	s_or_b64 exec, exec, s[28:29]
	v_and_b32_e32 v4, 3, v134
	s_waitcnt lgkmcnt(0)
	s_barrier
	s_and_saveexec_b64 s[28:29], s[8:9]
	s_cbranch_execz .LBB1152_681
; %bb.680:                              ;   in Loop: Header=BB1152_17 Depth=1
	ds_read_b32 v6, v95
	v_cmp_ne_u32_e32 vcc, 0, v4
	s_waitcnt lgkmcnt(0)
	v_mov_b32_dpp v7, v6 row_shr:1 row_mask:0xf bank_mask:0xf
	v_cndmask_b32_e32 v7, 0, v7, vcc
	v_add_u32_e32 v6, v7, v6
	v_cmp_lt_u32_e32 vcc, 1, v4
	s_nop 0
	v_mov_b32_dpp v7, v6 row_shr:2 row_mask:0xf bank_mask:0xf
	v_cndmask_b32_e32 v7, 0, v7, vcc
	v_add_u32_e32 v6, v6, v7
	ds_write_b32 v95, v6
.LBB1152_681:                           ;   in Loop: Header=BB1152_17 Depth=1
	s_or_b64 exec, exec, s[28:29]
	v_mov_b32_e32 v6, 0
	s_waitcnt lgkmcnt(0)
	s_barrier
	s_and_saveexec_b64 s[28:29], s[10:11]
; %bb.682:                              ;   in Loop: Header=BB1152_17 Depth=1
	ds_read_b32 v6, v96
; %bb.683:                              ;   in Loop: Header=BB1152_17 Depth=1
	s_or_b64 exec, exec, s[28:29]
	v_subrev_co_u32_e64 v7, s[28:29], 1, v134
	v_and_b32_e32 v8, 64, v134
	v_cmp_lt_i32_e32 vcc, v7, v8
	v_cndmask_b32_e32 v7, v7, v134, vcc
	s_waitcnt lgkmcnt(0)
	v_add_u32_e32 v5, v6, v5
	v_lshlrev_b32_e32 v135, 2, v7
	ds_bpermute_b32 v5, v135, v5
	s_waitcnt lgkmcnt(0)
	s_barrier
	s_and_saveexec_b64 s[30:31], s[4:5]
; %bb.684:                              ;   in Loop: Header=BB1152_17 Depth=1
	v_cndmask_b32_e64 v5, v5, v6, s[28:29]
	v_add_u32_e32 v5, s69, v5
	ds_write_b32 v73, v5
; %bb.685:                              ;   in Loop: Header=BB1152_17 Depth=1
	s_or_b64 exec, exec, s[30:31]
	s_load_dwordx2 s[30:31], s[74:75], 0x0
	s_mov_b32 s97, s91
	s_mov_b32 s82, s69
                                        ; implicit-def: $vgpr5_vgpr6
                                        ; implicit-def: $vgpr7_vgpr8
                                        ; implicit-def: $vgpr9_vgpr10
                                        ; implicit-def: $vgpr13_vgpr14
                                        ; implicit-def: $vgpr17_vgpr18
                                        ; implicit-def: $vgpr21_vgpr22
                                        ; implicit-def: $vgpr25_vgpr26
                                        ; implicit-def: $vgpr29_vgpr30
                                        ; implicit-def: $vgpr11_vgpr12
                                        ; implicit-def: $vgpr15_vgpr16
                                        ; implicit-def: $vgpr19_vgpr20
                                        ; implicit-def: $vgpr23_vgpr24
                                        ; implicit-def: $vgpr27_vgpr28
                                        ; implicit-def: $vgpr31_vgpr32
                                        ; implicit-def: $vgpr33_vgpr34
                                        ; implicit-def: $vgpr35_vgpr36
                                        ; implicit-def: $vgpr136
                                        ; implicit-def: $vgpr137
                                        ; implicit-def: $vgpr138
                                        ; implicit-def: $vgpr139
                                        ; implicit-def: $vgpr140
                                        ; implicit-def: $vgpr141
                                        ; implicit-def: $vgpr142
                                        ; implicit-def: $vgpr144
                                        ; implicit-def: $vgpr146
                                        ; implicit-def: $vgpr148
                                        ; implicit-def: $vgpr150
                                        ; implicit-def: $vgpr152
                                        ; implicit-def: $vgpr154
                                        ; implicit-def: $vgpr156
                                        ; implicit-def: $vgpr158
                                        ; implicit-def: $vgpr160
	s_waitcnt lgkmcnt(0)
	s_cmp_lt_u32 s33, s31
	s_cselect_b32 s31, 14, 20
	s_add_u32 s34, s74, s31
	s_addc_u32 s35, s75, 0
	s_cmp_lt_u32 s68, s30
	s_cselect_b32 s30, 12, 18
	s_add_u32 s30, s74, s30
	global_load_ushort v37, v3, s[34:35]
	s_addc_u32 s31, s75, 0
	global_load_ushort v38, v3, s[30:31]
	v_cmp_eq_u32_e64 s[30:31], 0, v4
	v_cmp_lt_u32_e64 s[34:35], 1, v4
	v_and_b32_e32 v4, 63, v134
	v_lshlrev_b32_e32 v39, 3, v4
	v_or_b32_e32 v143, v4, v97
	v_add_co_u32_e32 v145, vcc, v113, v39
	v_addc_co_u32_e32 v147, vcc, 0, v114, vcc
	v_add_co_u32_e32 v170, vcc, v115, v39
	v_or_b32_e32 v149, 64, v143
	v_or_b32_e32 v151, 0x80, v143
	;; [unrolled: 1-line block ×15, first 2 shown]
	v_addc_co_u32_e32 v171, vcc, 0, v116, vcc
	s_waitcnt vmcnt(1)
	v_mad_u32_u24 v4, v2, v37, v1
	s_waitcnt vmcnt(0)
	v_mad_u64_u32 v[37:38], s[36:37], v4, v38, v[0:1]
	v_lshrrev_b32_e32 v4, 4, v37
	v_and_b32_e32 v172, 0xffffffc, v4
	s_branch .LBB1152_687
.LBB1152_686:                           ;   in Loop: Header=BB1152_687 Depth=2
	s_or_b64 exec, exec, s[36:37]
	s_addk_i32 s97, 0xf000
	s_cmp_lt_u32 s98, s94
	s_mov_b32 s82, s98
	s_cbranch_scc0 .LBB1152_895
.LBB1152_687:                           ;   Parent Loop BB1152_17 Depth=1
                                        ; =>  This Inner Loop Header: Depth=2
	s_add_i32 s98, s82, 0x1000
	s_cmp_gt_u32 s98, s94
	s_cbranch_scc1 .LBB1152_689
; %bb.688:                              ;   in Loop: Header=BB1152_687 Depth=2
	s_mov_b32 s83, s72
	s_lshl_b64 s[36:37], s[82:83], 3
	v_mov_b32_e32 v4, s37
	v_add_co_u32_e32 v41, vcc, s36, v170
	v_addc_co_u32_e32 v42, vcc, v171, v4, vcc
	global_load_dwordx2 v[37:38], v[41:42], off
	global_load_dwordx2 v[39:40], v[41:42], off offset:512
	global_load_dwordx2 v[45:46], v[41:42], off offset:1024
	;; [unrolled: 1-line block ×7, first 2 shown]
	v_add_co_u32_e32 v41, vcc, 0x1000, v41
	v_addc_co_u32_e32 v42, vcc, 0, v42, vcc
	global_load_dwordx2 v[67:68], v[41:42], off
	global_load_dwordx2 v[61:62], v[41:42], off offset:512
	global_load_dwordx2 v[59:60], v[41:42], off offset:1024
	;; [unrolled: 1-line block ×5, first 2 shown]
	s_nop 0
	global_load_dwordx2 v[41:42], v[41:42], off offset:3072
	s_mov_b64 s[36:37], -1
	s_movk_i32 s40, 0x1000
	s_cbranch_execz .LBB1152_690
	s_branch .LBB1152_721
.LBB1152_689:                           ;   in Loop: Header=BB1152_687 Depth=2
	s_mov_b64 s[36:37], 0
                                        ; implicit-def: $vgpr37_vgpr38
                                        ; implicit-def: $vgpr39_vgpr40
                                        ; implicit-def: $vgpr45_vgpr46
                                        ; implicit-def: $vgpr49_vgpr50
                                        ; implicit-def: $vgpr53_vgpr54
                                        ; implicit-def: $vgpr57_vgpr58
                                        ; implicit-def: $vgpr63_vgpr64
                                        ; implicit-def: $vgpr65_vgpr66
                                        ; implicit-def: $vgpr67_vgpr68
                                        ; implicit-def: $vgpr61_vgpr62
                                        ; implicit-def: $vgpr59_vgpr60
                                        ; implicit-def: $vgpr55_vgpr56
                                        ; implicit-def: $vgpr51_vgpr52
                                        ; implicit-def: $vgpr47_vgpr48
                                        ; implicit-def: $vgpr41_vgpr42
	s_movk_i32 s40, 0x1000
.LBB1152_690:                           ;   in Loop: Header=BB1152_687 Depth=2
	s_mov_b32 s83, s72
	s_lshl_b64 s[36:37], s[82:83], 3
	v_mov_b32_e32 v4, s37
	v_add_co_u32_e32 v43, vcc, s36, v170
	v_addc_co_u32_e32 v44, vcc, v171, v4, vcc
	s_waitcnt vmcnt(13)
	v_mov_b32_e32 v39, -1
	v_mov_b32_e32 v37, -1
	;; [unrolled: 1-line block ×4, first 2 shown]
	v_cmp_gt_u32_e32 vcc, s97, v143
	s_and_saveexec_b64 s[36:37], vcc
	s_cbranch_execz .LBB1152_692
; %bb.691:                              ;   in Loop: Header=BB1152_687 Depth=2
	global_load_dwordx2 v[37:38], v[43:44], off
.LBB1152_692:                           ;   in Loop: Header=BB1152_687 Depth=2
	s_or_b64 exec, exec, s[36:37]
	v_cmp_gt_u32_e32 vcc, s97, v149
	s_and_saveexec_b64 s[36:37], vcc
	s_cbranch_execz .LBB1152_694
; %bb.693:                              ;   in Loop: Header=BB1152_687 Depth=2
	global_load_dwordx2 v[39:40], v[43:44], off offset:512
.LBB1152_694:                           ;   in Loop: Header=BB1152_687 Depth=2
	s_or_b64 exec, exec, s[36:37]
	s_waitcnt vmcnt(11)
	v_mov_b32_e32 v49, -1
	v_mov_b32_e32 v45, -1
	v_mov_b32_e32 v50, -1
	v_mov_b32_e32 v46, -1
	v_cmp_gt_u32_e32 vcc, s97, v151
	s_and_saveexec_b64 s[36:37], vcc
	s_cbranch_execz .LBB1152_696
; %bb.695:                              ;   in Loop: Header=BB1152_687 Depth=2
	global_load_dwordx2 v[45:46], v[43:44], off offset:1024
.LBB1152_696:                           ;   in Loop: Header=BB1152_687 Depth=2
	s_or_b64 exec, exec, s[36:37]
	v_cmp_gt_u32_e32 vcc, s97, v153
	s_and_saveexec_b64 s[36:37], vcc
	s_cbranch_execz .LBB1152_698
; %bb.697:                              ;   in Loop: Header=BB1152_687 Depth=2
	global_load_dwordx2 v[49:50], v[43:44], off offset:1536
.LBB1152_698:                           ;   in Loop: Header=BB1152_687 Depth=2
	s_or_b64 exec, exec, s[36:37]
	s_waitcnt vmcnt(9)
	v_mov_b32_e32 v57, -1
	v_mov_b32_e32 v53, -1
	v_mov_b32_e32 v58, -1
	v_mov_b32_e32 v54, -1
	v_cmp_gt_u32_e32 vcc, s97, v155
	s_and_saveexec_b64 s[36:37], vcc
	s_cbranch_execz .LBB1152_700
; %bb.699:                              ;   in Loop: Header=BB1152_687 Depth=2
	global_load_dwordx2 v[53:54], v[43:44], off offset:2048
.LBB1152_700:                           ;   in Loop: Header=BB1152_687 Depth=2
	;; [unrolled: 19-line block ×3, first 2 shown]
	s_or_b64 exec, exec, s[36:37]
	v_cmp_gt_u32_e32 vcc, s97, v161
	s_and_saveexec_b64 s[36:37], vcc
	s_cbranch_execz .LBB1152_706
; %bb.705:                              ;   in Loop: Header=BB1152_687 Depth=2
	global_load_dwordx2 v[65:66], v[43:44], off offset:3584
.LBB1152_706:                           ;   in Loop: Header=BB1152_687 Depth=2
	s_or_b64 exec, exec, s[36:37]
	s_waitcnt vmcnt(5)
	v_mov_b32_e32 v61, -1
	v_mov_b32_e32 v67, -1
	;; [unrolled: 1-line block ×4, first 2 shown]
	v_cmp_gt_u32_e32 vcc, s97, v162
	s_and_saveexec_b64 s[36:37], vcc
	s_cbranch_execz .LBB1152_708
; %bb.707:                              ;   in Loop: Header=BB1152_687 Depth=2
	s_waitcnt vmcnt(0)
	v_add_co_u32_e32 v41, vcc, 0x1000, v43
	v_addc_co_u32_e32 v42, vcc, 0, v44, vcc
	global_load_dwordx2 v[67:68], v[41:42], off
.LBB1152_708:                           ;   in Loop: Header=BB1152_687 Depth=2
	s_or_b64 exec, exec, s[36:37]
	v_cmp_gt_u32_e32 vcc, s97, v163
	s_and_saveexec_b64 s[36:37], vcc
	s_cbranch_execz .LBB1152_710
; %bb.709:                              ;   in Loop: Header=BB1152_687 Depth=2
	s_waitcnt vmcnt(0)
	v_add_co_u32_e32 v41, vcc, 0x1000, v43
	v_addc_co_u32_e32 v42, vcc, 0, v44, vcc
	global_load_dwordx2 v[61:62], v[41:42], off offset:512
.LBB1152_710:                           ;   in Loop: Header=BB1152_687 Depth=2
	s_or_b64 exec, exec, s[36:37]
	s_waitcnt vmcnt(3)
	v_mov_b32_e32 v55, -1
	v_mov_b32_e32 v59, -1
	;; [unrolled: 1-line block ×4, first 2 shown]
	v_cmp_gt_u32_e32 vcc, s97, v164
	s_and_saveexec_b64 s[36:37], vcc
	s_cbranch_execz .LBB1152_712
; %bb.711:                              ;   in Loop: Header=BB1152_687 Depth=2
	s_waitcnt vmcnt(0)
	v_add_co_u32_e32 v41, vcc, 0x1000, v43
	v_addc_co_u32_e32 v42, vcc, 0, v44, vcc
	global_load_dwordx2 v[59:60], v[41:42], off offset:1024
.LBB1152_712:                           ;   in Loop: Header=BB1152_687 Depth=2
	s_or_b64 exec, exec, s[36:37]
	v_cmp_gt_u32_e32 vcc, s97, v165
	s_and_saveexec_b64 s[36:37], vcc
	s_cbranch_execz .LBB1152_714
; %bb.713:                              ;   in Loop: Header=BB1152_687 Depth=2
	s_waitcnt vmcnt(0)
	v_add_co_u32_e32 v41, vcc, 0x1000, v43
	v_addc_co_u32_e32 v42, vcc, 0, v44, vcc
	global_load_dwordx2 v[55:56], v[41:42], off offset:1536
.LBB1152_714:                           ;   in Loop: Header=BB1152_687 Depth=2
	s_or_b64 exec, exec, s[36:37]
	s_waitcnt vmcnt(1)
	v_mov_b32_e32 v47, -1
	v_mov_b32_e32 v51, -1
	;; [unrolled: 1-line block ×4, first 2 shown]
	v_cmp_gt_u32_e32 vcc, s97, v166
	s_and_saveexec_b64 s[36:37], vcc
	s_cbranch_execz .LBB1152_716
; %bb.715:                              ;   in Loop: Header=BB1152_687 Depth=2
	s_waitcnt vmcnt(0)
	v_add_co_u32_e32 v41, vcc, 0x1000, v43
	v_addc_co_u32_e32 v42, vcc, 0, v44, vcc
	global_load_dwordx2 v[51:52], v[41:42], off offset:2048
.LBB1152_716:                           ;   in Loop: Header=BB1152_687 Depth=2
	s_or_b64 exec, exec, s[36:37]
	v_cmp_gt_u32_e32 vcc, s97, v167
	s_and_saveexec_b64 s[36:37], vcc
	s_cbranch_execz .LBB1152_718
; %bb.717:                              ;   in Loop: Header=BB1152_687 Depth=2
	s_waitcnt vmcnt(0)
	v_add_co_u32_e32 v41, vcc, 0x1000, v43
	v_addc_co_u32_e32 v42, vcc, 0, v44, vcc
	global_load_dwordx2 v[47:48], v[41:42], off offset:2560
.LBB1152_718:                           ;   in Loop: Header=BB1152_687 Depth=2
	s_or_b64 exec, exec, s[36:37]
	s_waitcnt vmcnt(0)
	v_mov_b32_e32 v41, -1
	v_mov_b32_e32 v42, -1
	v_cmp_gt_u32_e32 vcc, s97, v168
	s_and_saveexec_b64 s[36:37], vcc
	s_cbranch_execz .LBB1152_720
; %bb.719:                              ;   in Loop: Header=BB1152_687 Depth=2
	v_add_co_u32_e32 v41, vcc, 0x1000, v43
	v_addc_co_u32_e32 v42, vcc, 0, v44, vcc
	global_load_dwordx2 v[41:42], v[41:42], off offset:3072
.LBB1152_720:                           ;   in Loop: Header=BB1152_687 Depth=2
	s_or_b64 exec, exec, s[36:37]
	s_sub_i32 s40, s94, s82
	v_cmp_gt_u32_e64 s[36:37], s97, v169
.LBB1152_721:                           ;   in Loop: Header=BB1152_687 Depth=2
	v_mov_b32_e32 v43, -1
	v_mov_b32_e32 v44, -1
	v_mov_b32_e32 v173, s97
	s_and_saveexec_b64 s[38:39], s[36:37]
	s_cbranch_execz .LBB1152_723
; %bb.722:                              ;   in Loop: Header=BB1152_687 Depth=2
	s_lshl_b64 s[36:37], s[82:83], 3
	v_mov_b32_e32 v4, s37
	v_add_co_u32_e32 v43, vcc, s36, v170
	v_addc_co_u32_e32 v4, vcc, v171, v4, vcc
	v_add_co_u32_e32 v43, vcc, 0x1000, v43
	v_addc_co_u32_e32 v44, vcc, 0, v4, vcc
	global_load_dwordx2 v[43:44], v[43:44], off offset:3584
	v_mov_b32_e32 v173, s40
.LBB1152_723:                           ;   in Loop: Header=BB1152_687 Depth=2
	s_or_b64 exec, exec, s[38:39]
	s_waitcnt vmcnt(14)
	v_cmp_gt_i64_e32 vcc, 0, v[37:38]
	v_ashrrev_i32_e32 v69, 31, v38
	v_cndmask_b32_e64 v4, v133, 0, vcc
	v_not_b32_e32 v69, v69
	v_xor_b32_e32 v38, v4, v38
	v_xor_b32_e32 v37, v69, v37
	v_cmp_ne_u64_e32 vcc, s[72:73], v[37:38]
	v_add_u32_e32 v175, 0x410, v98
	v_cndmask_b32_e32 v70, v133, v38, vcc
	v_cndmask_b32_e32 v69, -1, v37, vcc
	v_lshrrev_b64 v[69:70], s88, v[69:70]
	v_add_u32_e32 v174, 0x418, v98
	v_and_b32_e32 v69, s96, v69
	v_and_b32_e32 v4, 1, v69
	v_add_co_u32_e32 v70, vcc, -1, v4
	v_addc_co_u32_e64 v72, s[36:37], 0, -1, vcc
	v_cmp_ne_u32_e32 vcc, 0, v4
	v_xor_b32_e32 v4, vcc_hi, v72
	v_and_b32_e32 v72, exec_hi, v4
	v_lshlrev_b32_e32 v4, 30, v69
	v_xor_b32_e32 v70, vcc_lo, v70
	v_cmp_gt_i64_e32 vcc, 0, v[3:4]
	v_not_b32_e32 v4, v4
	v_ashrrev_i32_e32 v4, 31, v4
	v_and_b32_e32 v70, exec_lo, v70
	v_xor_b32_e32 v176, vcc_hi, v4
	v_xor_b32_e32 v4, vcc_lo, v4
	v_and_b32_e32 v70, v70, v4
	v_lshlrev_b32_e32 v4, 29, v69
	v_cmp_gt_i64_e32 vcc, 0, v[3:4]
	v_not_b32_e32 v4, v4
	v_ashrrev_i32_e32 v4, 31, v4
	v_and_b32_e32 v72, v72, v176
	v_xor_b32_e32 v176, vcc_hi, v4
	v_xor_b32_e32 v4, vcc_lo, v4
	v_and_b32_e32 v70, v70, v4
	v_lshlrev_b32_e32 v4, 28, v69
	v_cmp_gt_i64_e32 vcc, 0, v[3:4]
	v_not_b32_e32 v4, v4
	v_ashrrev_i32_e32 v4, 31, v4
	v_and_b32_e32 v72, v72, v176
	;; [unrolled: 8-line block ×5, first 2 shown]
	v_xor_b32_e32 v176, vcc_hi, v4
	v_xor_b32_e32 v4, vcc_lo, v4
	v_and_b32_e32 v72, v72, v176
	v_and_b32_e32 v176, v70, v4
	v_lshlrev_b32_e32 v4, 24, v69
	v_cmp_gt_i64_e32 vcc, 0, v[3:4]
	v_not_b32_e32 v4, v4
	v_ashrrev_i32_e32 v4, 31, v4
	v_mul_u32_u24_e32 v71, 20, v69
	v_xor_b32_e32 v69, vcc_hi, v4
	v_xor_b32_e32 v4, vcc_lo, v4
	v_and_b32_e32 v70, v72, v69
	v_and_b32_e32 v69, v176, v4
	v_mbcnt_lo_u32_b32 v4, v69, 0
	v_mbcnt_hi_u32_b32 v176, v70, v4
	v_cmp_ne_u64_e32 vcc, 0, v[69:70]
	v_cmp_eq_u32_e64 s[36:37], 0, v176
	s_and_b64 s[38:39], vcc, s[36:37]
	v_add_u32_e32 v178, v172, v71
	ds_write2_b32 v175, v3, v3 offset1:1
	ds_write2_b32 v174, v3, v3 offset1:1
	ds_write_b32 v98, v3 offset:1056
	s_waitcnt vmcnt(0) lgkmcnt(0)
	s_barrier
	; wave barrier
	s_and_saveexec_b64 s[36:37], s[38:39]
; %bb.724:                              ;   in Loop: Header=BB1152_687 Depth=2
	v_bcnt_u32_b32 v4, v69, 0
	v_bcnt_u32_b32 v4, v70, v4
	ds_write_b32 v178, v4 offset:1040
; %bb.725:                              ;   in Loop: Header=BB1152_687 Depth=2
	s_or_b64 exec, exec, s[36:37]
	v_cmp_gt_i64_e32 vcc, 0, v[39:40]
	v_ashrrev_i32_e32 v69, 31, v40
	v_cndmask_b32_e64 v4, v133, 0, vcc
	v_not_b32_e32 v69, v69
	v_xor_b32_e32 v40, v4, v40
	v_xor_b32_e32 v39, v69, v39
	v_cmp_ne_u64_e32 vcc, s[72:73], v[39:40]
	v_cndmask_b32_e32 v70, v133, v40, vcc
	v_cndmask_b32_e32 v69, -1, v39, vcc
	v_lshrrev_b64 v[69:70], s88, v[69:70]
	; wave barrier
	v_and_b32_e32 v69, s96, v69
	v_mad_u32_u24 v4, v69, 20, v172
	ds_read_b32 v177, v4 offset:1040
	v_and_b32_e32 v4, 1, v69
	v_add_co_u32_e32 v70, vcc, -1, v4
	v_addc_co_u32_e64 v72, s[36:37], 0, -1, vcc
	v_cmp_ne_u32_e32 vcc, 0, v4
	v_xor_b32_e32 v4, vcc_hi, v72
	v_and_b32_e32 v72, exec_hi, v4
	v_lshlrev_b32_e32 v4, 30, v69
	v_xor_b32_e32 v70, vcc_lo, v70
	v_cmp_gt_i64_e32 vcc, 0, v[3:4]
	v_not_b32_e32 v4, v4
	v_ashrrev_i32_e32 v4, 31, v4
	v_and_b32_e32 v70, exec_lo, v70
	v_xor_b32_e32 v179, vcc_hi, v4
	v_xor_b32_e32 v4, vcc_lo, v4
	v_and_b32_e32 v70, v70, v4
	v_lshlrev_b32_e32 v4, 29, v69
	v_cmp_gt_i64_e32 vcc, 0, v[3:4]
	v_not_b32_e32 v4, v4
	v_ashrrev_i32_e32 v4, 31, v4
	v_and_b32_e32 v72, v72, v179
	v_xor_b32_e32 v179, vcc_hi, v4
	v_xor_b32_e32 v4, vcc_lo, v4
	v_and_b32_e32 v70, v70, v4
	v_lshlrev_b32_e32 v4, 28, v69
	v_cmp_gt_i64_e32 vcc, 0, v[3:4]
	v_not_b32_e32 v4, v4
	v_ashrrev_i32_e32 v4, 31, v4
	v_and_b32_e32 v72, v72, v179
	;; [unrolled: 8-line block ×5, first 2 shown]
	v_xor_b32_e32 v179, vcc_hi, v4
	v_xor_b32_e32 v4, vcc_lo, v4
	v_and_b32_e32 v72, v72, v179
	v_and_b32_e32 v179, v70, v4
	v_lshlrev_b32_e32 v4, 24, v69
	v_cmp_gt_i64_e32 vcc, 0, v[3:4]
	v_not_b32_e32 v4, v4
	v_ashrrev_i32_e32 v4, 31, v4
	v_mul_u32_u24_e32 v71, 20, v69
	v_xor_b32_e32 v69, vcc_hi, v4
	v_xor_b32_e32 v4, vcc_lo, v4
	v_and_b32_e32 v70, v72, v69
	v_and_b32_e32 v69, v179, v4
	v_mbcnt_lo_u32_b32 v4, v69, 0
	v_mbcnt_hi_u32_b32 v179, v70, v4
	v_cmp_ne_u64_e32 vcc, 0, v[69:70]
	v_cmp_eq_u32_e64 s[36:37], 0, v179
	s_and_b64 s[38:39], vcc, s[36:37]
	v_add_u32_e32 v181, v172, v71
	; wave barrier
	s_and_saveexec_b64 s[36:37], s[38:39]
	s_cbranch_execz .LBB1152_727
; %bb.726:                              ;   in Loop: Header=BB1152_687 Depth=2
	v_bcnt_u32_b32 v4, v69, 0
	v_bcnt_u32_b32 v4, v70, v4
	s_waitcnt lgkmcnt(0)
	v_add_u32_e32 v4, v177, v4
	ds_write_b32 v181, v4 offset:1040
.LBB1152_727:                           ;   in Loop: Header=BB1152_687 Depth=2
	s_or_b64 exec, exec, s[36:37]
	v_cmp_gt_i64_e32 vcc, 0, v[45:46]
	v_ashrrev_i32_e32 v69, 31, v46
	v_cndmask_b32_e64 v4, v133, 0, vcc
	v_not_b32_e32 v69, v69
	v_xor_b32_e32 v46, v4, v46
	v_xor_b32_e32 v45, v69, v45
	v_cmp_ne_u64_e32 vcc, s[72:73], v[45:46]
	v_cndmask_b32_e32 v70, v133, v46, vcc
	v_cndmask_b32_e32 v69, -1, v45, vcc
	v_lshrrev_b64 v[69:70], s88, v[69:70]
	; wave barrier
	v_and_b32_e32 v69, s96, v69
	v_mad_u32_u24 v4, v69, 20, v172
	ds_read_b32 v180, v4 offset:1040
	v_and_b32_e32 v4, 1, v69
	v_add_co_u32_e32 v70, vcc, -1, v4
	v_addc_co_u32_e64 v72, s[36:37], 0, -1, vcc
	v_cmp_ne_u32_e32 vcc, 0, v4
	v_xor_b32_e32 v4, vcc_hi, v72
	v_and_b32_e32 v72, exec_hi, v4
	v_lshlrev_b32_e32 v4, 30, v69
	v_xor_b32_e32 v70, vcc_lo, v70
	v_cmp_gt_i64_e32 vcc, 0, v[3:4]
	v_not_b32_e32 v4, v4
	v_ashrrev_i32_e32 v4, 31, v4
	v_and_b32_e32 v70, exec_lo, v70
	v_xor_b32_e32 v182, vcc_hi, v4
	v_xor_b32_e32 v4, vcc_lo, v4
	v_and_b32_e32 v70, v70, v4
	v_lshlrev_b32_e32 v4, 29, v69
	v_cmp_gt_i64_e32 vcc, 0, v[3:4]
	v_not_b32_e32 v4, v4
	v_ashrrev_i32_e32 v4, 31, v4
	v_and_b32_e32 v72, v72, v182
	v_xor_b32_e32 v182, vcc_hi, v4
	v_xor_b32_e32 v4, vcc_lo, v4
	v_and_b32_e32 v70, v70, v4
	v_lshlrev_b32_e32 v4, 28, v69
	v_cmp_gt_i64_e32 vcc, 0, v[3:4]
	v_not_b32_e32 v4, v4
	v_ashrrev_i32_e32 v4, 31, v4
	v_and_b32_e32 v72, v72, v182
	;; [unrolled: 8-line block ×5, first 2 shown]
	v_xor_b32_e32 v182, vcc_hi, v4
	v_xor_b32_e32 v4, vcc_lo, v4
	v_and_b32_e32 v72, v72, v182
	v_and_b32_e32 v182, v70, v4
	v_lshlrev_b32_e32 v4, 24, v69
	v_cmp_gt_i64_e32 vcc, 0, v[3:4]
	v_not_b32_e32 v4, v4
	v_ashrrev_i32_e32 v4, 31, v4
	v_mul_u32_u24_e32 v71, 20, v69
	v_xor_b32_e32 v69, vcc_hi, v4
	v_xor_b32_e32 v4, vcc_lo, v4
	v_and_b32_e32 v70, v72, v69
	v_and_b32_e32 v69, v182, v4
	v_mbcnt_lo_u32_b32 v4, v69, 0
	v_mbcnt_hi_u32_b32 v182, v70, v4
	v_cmp_ne_u64_e32 vcc, 0, v[69:70]
	v_cmp_eq_u32_e64 s[36:37], 0, v182
	s_and_b64 s[38:39], vcc, s[36:37]
	v_add_u32_e32 v184, v172, v71
	; wave barrier
	s_and_saveexec_b64 s[36:37], s[38:39]
	s_cbranch_execz .LBB1152_729
; %bb.728:                              ;   in Loop: Header=BB1152_687 Depth=2
	v_bcnt_u32_b32 v4, v69, 0
	v_bcnt_u32_b32 v4, v70, v4
	s_waitcnt lgkmcnt(0)
	v_add_u32_e32 v4, v180, v4
	ds_write_b32 v184, v4 offset:1040
.LBB1152_729:                           ;   in Loop: Header=BB1152_687 Depth=2
	s_or_b64 exec, exec, s[36:37]
	v_cmp_gt_i64_e32 vcc, 0, v[49:50]
	v_ashrrev_i32_e32 v69, 31, v50
	v_cndmask_b32_e64 v4, v133, 0, vcc
	v_not_b32_e32 v69, v69
	v_xor_b32_e32 v50, v4, v50
	v_xor_b32_e32 v49, v69, v49
	v_cmp_ne_u64_e32 vcc, s[72:73], v[49:50]
	v_cndmask_b32_e32 v70, v133, v50, vcc
	v_cndmask_b32_e32 v69, -1, v49, vcc
	v_lshrrev_b64 v[69:70], s88, v[69:70]
	; wave barrier
	v_and_b32_e32 v69, s96, v69
	v_mad_u32_u24 v4, v69, 20, v172
	ds_read_b32 v183, v4 offset:1040
	v_and_b32_e32 v4, 1, v69
	v_add_co_u32_e32 v70, vcc, -1, v4
	v_addc_co_u32_e64 v72, s[36:37], 0, -1, vcc
	v_cmp_ne_u32_e32 vcc, 0, v4
	v_xor_b32_e32 v4, vcc_hi, v72
	v_and_b32_e32 v72, exec_hi, v4
	v_lshlrev_b32_e32 v4, 30, v69
	v_xor_b32_e32 v70, vcc_lo, v70
	v_cmp_gt_i64_e32 vcc, 0, v[3:4]
	v_not_b32_e32 v4, v4
	v_ashrrev_i32_e32 v4, 31, v4
	v_and_b32_e32 v70, exec_lo, v70
	v_xor_b32_e32 v185, vcc_hi, v4
	v_xor_b32_e32 v4, vcc_lo, v4
	v_and_b32_e32 v70, v70, v4
	v_lshlrev_b32_e32 v4, 29, v69
	v_cmp_gt_i64_e32 vcc, 0, v[3:4]
	v_not_b32_e32 v4, v4
	v_ashrrev_i32_e32 v4, 31, v4
	v_and_b32_e32 v72, v72, v185
	v_xor_b32_e32 v185, vcc_hi, v4
	v_xor_b32_e32 v4, vcc_lo, v4
	v_and_b32_e32 v70, v70, v4
	v_lshlrev_b32_e32 v4, 28, v69
	v_cmp_gt_i64_e32 vcc, 0, v[3:4]
	v_not_b32_e32 v4, v4
	v_ashrrev_i32_e32 v4, 31, v4
	v_and_b32_e32 v72, v72, v185
	;; [unrolled: 8-line block ×5, first 2 shown]
	v_xor_b32_e32 v185, vcc_hi, v4
	v_xor_b32_e32 v4, vcc_lo, v4
	v_and_b32_e32 v72, v72, v185
	v_and_b32_e32 v185, v70, v4
	v_lshlrev_b32_e32 v4, 24, v69
	v_cmp_gt_i64_e32 vcc, 0, v[3:4]
	v_not_b32_e32 v4, v4
	v_ashrrev_i32_e32 v4, 31, v4
	v_mul_u32_u24_e32 v71, 20, v69
	v_xor_b32_e32 v69, vcc_hi, v4
	v_xor_b32_e32 v4, vcc_lo, v4
	v_and_b32_e32 v70, v72, v69
	v_and_b32_e32 v69, v185, v4
	v_mbcnt_lo_u32_b32 v4, v69, 0
	v_mbcnt_hi_u32_b32 v185, v70, v4
	v_cmp_ne_u64_e32 vcc, 0, v[69:70]
	v_cmp_eq_u32_e64 s[36:37], 0, v185
	s_and_b64 s[38:39], vcc, s[36:37]
	v_add_u32_e32 v187, v172, v71
	; wave barrier
	s_and_saveexec_b64 s[36:37], s[38:39]
	s_cbranch_execz .LBB1152_731
; %bb.730:                              ;   in Loop: Header=BB1152_687 Depth=2
	v_bcnt_u32_b32 v4, v69, 0
	v_bcnt_u32_b32 v4, v70, v4
	s_waitcnt lgkmcnt(0)
	v_add_u32_e32 v4, v183, v4
	ds_write_b32 v187, v4 offset:1040
.LBB1152_731:                           ;   in Loop: Header=BB1152_687 Depth=2
	s_or_b64 exec, exec, s[36:37]
	v_cmp_gt_i64_e32 vcc, 0, v[53:54]
	v_ashrrev_i32_e32 v69, 31, v54
	v_cndmask_b32_e64 v4, v133, 0, vcc
	v_not_b32_e32 v69, v69
	v_xor_b32_e32 v54, v4, v54
	v_xor_b32_e32 v53, v69, v53
	v_cmp_ne_u64_e32 vcc, s[72:73], v[53:54]
	v_cndmask_b32_e32 v70, v133, v54, vcc
	v_cndmask_b32_e32 v69, -1, v53, vcc
	v_lshrrev_b64 v[69:70], s88, v[69:70]
	; wave barrier
	v_and_b32_e32 v69, s96, v69
	v_mad_u32_u24 v4, v69, 20, v172
	ds_read_b32 v186, v4 offset:1040
	v_and_b32_e32 v4, 1, v69
	v_add_co_u32_e32 v70, vcc, -1, v4
	v_addc_co_u32_e64 v72, s[36:37], 0, -1, vcc
	v_cmp_ne_u32_e32 vcc, 0, v4
	v_xor_b32_e32 v4, vcc_hi, v72
	v_and_b32_e32 v72, exec_hi, v4
	v_lshlrev_b32_e32 v4, 30, v69
	v_xor_b32_e32 v70, vcc_lo, v70
	v_cmp_gt_i64_e32 vcc, 0, v[3:4]
	v_not_b32_e32 v4, v4
	v_ashrrev_i32_e32 v4, 31, v4
	v_and_b32_e32 v70, exec_lo, v70
	v_xor_b32_e32 v188, vcc_hi, v4
	v_xor_b32_e32 v4, vcc_lo, v4
	v_and_b32_e32 v70, v70, v4
	v_lshlrev_b32_e32 v4, 29, v69
	v_cmp_gt_i64_e32 vcc, 0, v[3:4]
	v_not_b32_e32 v4, v4
	v_ashrrev_i32_e32 v4, 31, v4
	v_and_b32_e32 v72, v72, v188
	v_xor_b32_e32 v188, vcc_hi, v4
	v_xor_b32_e32 v4, vcc_lo, v4
	v_and_b32_e32 v70, v70, v4
	v_lshlrev_b32_e32 v4, 28, v69
	v_cmp_gt_i64_e32 vcc, 0, v[3:4]
	v_not_b32_e32 v4, v4
	v_ashrrev_i32_e32 v4, 31, v4
	v_and_b32_e32 v72, v72, v188
	v_xor_b32_e32 v188, vcc_hi, v4
	v_xor_b32_e32 v4, vcc_lo, v4
	v_and_b32_e32 v70, v70, v4
	v_lshlrev_b32_e32 v4, 27, v69
	v_cmp_gt_i64_e32 vcc, 0, v[3:4]
	v_not_b32_e32 v4, v4
	v_ashrrev_i32_e32 v4, 31, v4
	v_and_b32_e32 v72, v72, v188
	v_xor_b32_e32 v188, vcc_hi, v4
	v_xor_b32_e32 v4, vcc_lo, v4
	v_and_b32_e32 v70, v70, v4
	v_lshlrev_b32_e32 v4, 26, v69
	v_cmp_gt_i64_e32 vcc, 0, v[3:4]
	v_not_b32_e32 v4, v4
	v_ashrrev_i32_e32 v4, 31, v4
	v_and_b32_e32 v72, v72, v188
	v_xor_b32_e32 v188, vcc_hi, v4
	v_xor_b32_e32 v4, vcc_lo, v4
	v_and_b32_e32 v70, v70, v4
	v_lshlrev_b32_e32 v4, 25, v69
	v_cmp_gt_i64_e32 vcc, 0, v[3:4]
	v_not_b32_e32 v4, v4
	v_ashrrev_i32_e32 v4, 31, v4
	v_and_b32_e32 v72, v72, v188
	v_xor_b32_e32 v188, vcc_hi, v4
	v_xor_b32_e32 v4, vcc_lo, v4
	v_and_b32_e32 v72, v72, v188
	v_and_b32_e32 v188, v70, v4
	v_lshlrev_b32_e32 v4, 24, v69
	v_cmp_gt_i64_e32 vcc, 0, v[3:4]
	v_not_b32_e32 v4, v4
	v_ashrrev_i32_e32 v4, 31, v4
	v_mul_u32_u24_e32 v71, 20, v69
	v_xor_b32_e32 v69, vcc_hi, v4
	v_xor_b32_e32 v4, vcc_lo, v4
	v_and_b32_e32 v70, v72, v69
	v_and_b32_e32 v69, v188, v4
	v_mbcnt_lo_u32_b32 v4, v69, 0
	v_mbcnt_hi_u32_b32 v188, v70, v4
	v_cmp_ne_u64_e32 vcc, 0, v[69:70]
	v_cmp_eq_u32_e64 s[36:37], 0, v188
	s_and_b64 s[38:39], vcc, s[36:37]
	v_add_u32_e32 v190, v172, v71
	; wave barrier
	s_and_saveexec_b64 s[36:37], s[38:39]
	s_cbranch_execz .LBB1152_733
; %bb.732:                              ;   in Loop: Header=BB1152_687 Depth=2
	v_bcnt_u32_b32 v4, v69, 0
	v_bcnt_u32_b32 v4, v70, v4
	s_waitcnt lgkmcnt(0)
	v_add_u32_e32 v4, v186, v4
	ds_write_b32 v190, v4 offset:1040
.LBB1152_733:                           ;   in Loop: Header=BB1152_687 Depth=2
	s_or_b64 exec, exec, s[36:37]
	v_cmp_gt_i64_e32 vcc, 0, v[57:58]
	v_ashrrev_i32_e32 v69, 31, v58
	v_cndmask_b32_e64 v4, v133, 0, vcc
	v_not_b32_e32 v69, v69
	v_xor_b32_e32 v58, v4, v58
	v_xor_b32_e32 v57, v69, v57
	v_cmp_ne_u64_e32 vcc, s[72:73], v[57:58]
	v_cndmask_b32_e32 v70, v133, v58, vcc
	v_cndmask_b32_e32 v69, -1, v57, vcc
	v_lshrrev_b64 v[69:70], s88, v[69:70]
	; wave barrier
	v_and_b32_e32 v69, s96, v69
	v_mad_u32_u24 v4, v69, 20, v172
	ds_read_b32 v189, v4 offset:1040
	v_and_b32_e32 v4, 1, v69
	v_add_co_u32_e32 v70, vcc, -1, v4
	v_addc_co_u32_e64 v72, s[36:37], 0, -1, vcc
	v_cmp_ne_u32_e32 vcc, 0, v4
	v_xor_b32_e32 v4, vcc_hi, v72
	v_and_b32_e32 v72, exec_hi, v4
	v_lshlrev_b32_e32 v4, 30, v69
	v_xor_b32_e32 v70, vcc_lo, v70
	v_cmp_gt_i64_e32 vcc, 0, v[3:4]
	v_not_b32_e32 v4, v4
	v_ashrrev_i32_e32 v4, 31, v4
	v_and_b32_e32 v70, exec_lo, v70
	v_xor_b32_e32 v191, vcc_hi, v4
	v_xor_b32_e32 v4, vcc_lo, v4
	v_and_b32_e32 v70, v70, v4
	v_lshlrev_b32_e32 v4, 29, v69
	v_cmp_gt_i64_e32 vcc, 0, v[3:4]
	v_not_b32_e32 v4, v4
	v_ashrrev_i32_e32 v4, 31, v4
	v_and_b32_e32 v72, v72, v191
	v_xor_b32_e32 v191, vcc_hi, v4
	v_xor_b32_e32 v4, vcc_lo, v4
	v_and_b32_e32 v70, v70, v4
	v_lshlrev_b32_e32 v4, 28, v69
	v_cmp_gt_i64_e32 vcc, 0, v[3:4]
	v_not_b32_e32 v4, v4
	v_ashrrev_i32_e32 v4, 31, v4
	v_and_b32_e32 v72, v72, v191
	;; [unrolled: 8-line block ×5, first 2 shown]
	v_xor_b32_e32 v191, vcc_hi, v4
	v_xor_b32_e32 v4, vcc_lo, v4
	v_and_b32_e32 v72, v72, v191
	v_and_b32_e32 v191, v70, v4
	v_lshlrev_b32_e32 v4, 24, v69
	v_cmp_gt_i64_e32 vcc, 0, v[3:4]
	v_not_b32_e32 v4, v4
	v_ashrrev_i32_e32 v4, 31, v4
	v_mul_u32_u24_e32 v71, 20, v69
	v_xor_b32_e32 v69, vcc_hi, v4
	v_xor_b32_e32 v4, vcc_lo, v4
	v_and_b32_e32 v70, v72, v69
	v_and_b32_e32 v69, v191, v4
	v_mbcnt_lo_u32_b32 v4, v69, 0
	v_mbcnt_hi_u32_b32 v191, v70, v4
	v_cmp_ne_u64_e32 vcc, 0, v[69:70]
	v_cmp_eq_u32_e64 s[36:37], 0, v191
	s_and_b64 s[38:39], vcc, s[36:37]
	v_add_u32_e32 v193, v172, v71
	; wave barrier
	s_and_saveexec_b64 s[36:37], s[38:39]
	s_cbranch_execz .LBB1152_735
; %bb.734:                              ;   in Loop: Header=BB1152_687 Depth=2
	v_bcnt_u32_b32 v4, v69, 0
	v_bcnt_u32_b32 v4, v70, v4
	s_waitcnt lgkmcnt(0)
	v_add_u32_e32 v4, v189, v4
	ds_write_b32 v193, v4 offset:1040
.LBB1152_735:                           ;   in Loop: Header=BB1152_687 Depth=2
	s_or_b64 exec, exec, s[36:37]
	v_cmp_gt_i64_e32 vcc, 0, v[63:64]
	v_ashrrev_i32_e32 v69, 31, v64
	v_cndmask_b32_e64 v4, v133, 0, vcc
	v_not_b32_e32 v69, v69
	v_xor_b32_e32 v64, v4, v64
	v_xor_b32_e32 v63, v69, v63
	v_cmp_ne_u64_e32 vcc, s[72:73], v[63:64]
	v_cndmask_b32_e32 v70, v133, v64, vcc
	v_cndmask_b32_e32 v69, -1, v63, vcc
	v_lshrrev_b64 v[69:70], s88, v[69:70]
	; wave barrier
	v_and_b32_e32 v69, s96, v69
	v_mad_u32_u24 v4, v69, 20, v172
	ds_read_b32 v192, v4 offset:1040
	v_and_b32_e32 v4, 1, v69
	v_add_co_u32_e32 v70, vcc, -1, v4
	v_addc_co_u32_e64 v72, s[36:37], 0, -1, vcc
	v_cmp_ne_u32_e32 vcc, 0, v4
	v_xor_b32_e32 v4, vcc_hi, v72
	v_and_b32_e32 v72, exec_hi, v4
	v_lshlrev_b32_e32 v4, 30, v69
	v_xor_b32_e32 v70, vcc_lo, v70
	v_cmp_gt_i64_e32 vcc, 0, v[3:4]
	v_not_b32_e32 v4, v4
	v_ashrrev_i32_e32 v4, 31, v4
	v_and_b32_e32 v70, exec_lo, v70
	v_xor_b32_e32 v194, vcc_hi, v4
	v_xor_b32_e32 v4, vcc_lo, v4
	v_and_b32_e32 v70, v70, v4
	v_lshlrev_b32_e32 v4, 29, v69
	v_cmp_gt_i64_e32 vcc, 0, v[3:4]
	v_not_b32_e32 v4, v4
	v_ashrrev_i32_e32 v4, 31, v4
	v_and_b32_e32 v72, v72, v194
	v_xor_b32_e32 v194, vcc_hi, v4
	v_xor_b32_e32 v4, vcc_lo, v4
	v_and_b32_e32 v70, v70, v4
	v_lshlrev_b32_e32 v4, 28, v69
	v_cmp_gt_i64_e32 vcc, 0, v[3:4]
	v_not_b32_e32 v4, v4
	v_ashrrev_i32_e32 v4, 31, v4
	v_and_b32_e32 v72, v72, v194
	;; [unrolled: 8-line block ×5, first 2 shown]
	v_xor_b32_e32 v194, vcc_hi, v4
	v_xor_b32_e32 v4, vcc_lo, v4
	v_and_b32_e32 v72, v72, v194
	v_and_b32_e32 v194, v70, v4
	v_lshlrev_b32_e32 v4, 24, v69
	v_cmp_gt_i64_e32 vcc, 0, v[3:4]
	v_not_b32_e32 v4, v4
	v_ashrrev_i32_e32 v4, 31, v4
	v_mul_u32_u24_e32 v71, 20, v69
	v_xor_b32_e32 v69, vcc_hi, v4
	v_xor_b32_e32 v4, vcc_lo, v4
	v_and_b32_e32 v70, v72, v69
	v_and_b32_e32 v69, v194, v4
	v_mbcnt_lo_u32_b32 v4, v69, 0
	v_mbcnt_hi_u32_b32 v194, v70, v4
	v_cmp_ne_u64_e32 vcc, 0, v[69:70]
	v_cmp_eq_u32_e64 s[36:37], 0, v194
	s_and_b64 s[38:39], vcc, s[36:37]
	v_add_u32_e32 v196, v172, v71
	; wave barrier
	s_and_saveexec_b64 s[36:37], s[38:39]
	s_cbranch_execz .LBB1152_737
; %bb.736:                              ;   in Loop: Header=BB1152_687 Depth=2
	v_bcnt_u32_b32 v4, v69, 0
	v_bcnt_u32_b32 v4, v70, v4
	s_waitcnt lgkmcnt(0)
	v_add_u32_e32 v4, v192, v4
	ds_write_b32 v196, v4 offset:1040
.LBB1152_737:                           ;   in Loop: Header=BB1152_687 Depth=2
	s_or_b64 exec, exec, s[36:37]
	v_cmp_gt_i64_e32 vcc, 0, v[65:66]
	v_ashrrev_i32_e32 v69, 31, v66
	v_cndmask_b32_e64 v4, v133, 0, vcc
	v_not_b32_e32 v69, v69
	v_xor_b32_e32 v66, v4, v66
	v_xor_b32_e32 v65, v69, v65
	v_cmp_ne_u64_e32 vcc, s[72:73], v[65:66]
	v_cndmask_b32_e32 v70, v133, v66, vcc
	v_cndmask_b32_e32 v69, -1, v65, vcc
	v_lshrrev_b64 v[69:70], s88, v[69:70]
	; wave barrier
	v_and_b32_e32 v69, s96, v69
	v_mad_u32_u24 v4, v69, 20, v172
	ds_read_b32 v195, v4 offset:1040
	v_and_b32_e32 v4, 1, v69
	v_add_co_u32_e32 v70, vcc, -1, v4
	v_addc_co_u32_e64 v72, s[36:37], 0, -1, vcc
	v_cmp_ne_u32_e32 vcc, 0, v4
	v_xor_b32_e32 v4, vcc_hi, v72
	v_and_b32_e32 v72, exec_hi, v4
	v_lshlrev_b32_e32 v4, 30, v69
	v_xor_b32_e32 v70, vcc_lo, v70
	v_cmp_gt_i64_e32 vcc, 0, v[3:4]
	v_not_b32_e32 v4, v4
	v_ashrrev_i32_e32 v4, 31, v4
	v_and_b32_e32 v70, exec_lo, v70
	v_xor_b32_e32 v197, vcc_hi, v4
	v_xor_b32_e32 v4, vcc_lo, v4
	v_and_b32_e32 v70, v70, v4
	v_lshlrev_b32_e32 v4, 29, v69
	v_cmp_gt_i64_e32 vcc, 0, v[3:4]
	v_not_b32_e32 v4, v4
	v_ashrrev_i32_e32 v4, 31, v4
	v_and_b32_e32 v72, v72, v197
	v_xor_b32_e32 v197, vcc_hi, v4
	v_xor_b32_e32 v4, vcc_lo, v4
	v_and_b32_e32 v70, v70, v4
	v_lshlrev_b32_e32 v4, 28, v69
	v_cmp_gt_i64_e32 vcc, 0, v[3:4]
	v_not_b32_e32 v4, v4
	v_ashrrev_i32_e32 v4, 31, v4
	v_and_b32_e32 v72, v72, v197
	;; [unrolled: 8-line block ×5, first 2 shown]
	v_xor_b32_e32 v197, vcc_hi, v4
	v_xor_b32_e32 v4, vcc_lo, v4
	v_and_b32_e32 v72, v72, v197
	v_and_b32_e32 v197, v70, v4
	v_lshlrev_b32_e32 v4, 24, v69
	v_cmp_gt_i64_e32 vcc, 0, v[3:4]
	v_not_b32_e32 v4, v4
	v_ashrrev_i32_e32 v4, 31, v4
	v_mul_u32_u24_e32 v71, 20, v69
	v_xor_b32_e32 v69, vcc_hi, v4
	v_xor_b32_e32 v4, vcc_lo, v4
	v_and_b32_e32 v70, v72, v69
	v_and_b32_e32 v69, v197, v4
	v_mbcnt_lo_u32_b32 v4, v69, 0
	v_mbcnt_hi_u32_b32 v197, v70, v4
	v_cmp_ne_u64_e32 vcc, 0, v[69:70]
	v_cmp_eq_u32_e64 s[36:37], 0, v197
	s_and_b64 s[38:39], vcc, s[36:37]
	v_add_u32_e32 v199, v172, v71
	; wave barrier
	s_and_saveexec_b64 s[36:37], s[38:39]
	s_cbranch_execz .LBB1152_739
; %bb.738:                              ;   in Loop: Header=BB1152_687 Depth=2
	v_bcnt_u32_b32 v4, v69, 0
	v_bcnt_u32_b32 v4, v70, v4
	s_waitcnt lgkmcnt(0)
	v_add_u32_e32 v4, v195, v4
	ds_write_b32 v199, v4 offset:1040
.LBB1152_739:                           ;   in Loop: Header=BB1152_687 Depth=2
	s_or_b64 exec, exec, s[36:37]
	v_cmp_gt_i64_e32 vcc, 0, v[67:68]
	v_ashrrev_i32_e32 v69, 31, v68
	v_cndmask_b32_e64 v4, v133, 0, vcc
	v_not_b32_e32 v69, v69
	v_xor_b32_e32 v68, v4, v68
	v_xor_b32_e32 v67, v69, v67
	v_cmp_ne_u64_e32 vcc, s[72:73], v[67:68]
	v_cndmask_b32_e32 v70, v133, v68, vcc
	v_cndmask_b32_e32 v69, -1, v67, vcc
	v_lshrrev_b64 v[69:70], s88, v[69:70]
	; wave barrier
	v_and_b32_e32 v69, s96, v69
	v_mad_u32_u24 v4, v69, 20, v172
	ds_read_b32 v198, v4 offset:1040
	v_and_b32_e32 v4, 1, v69
	v_add_co_u32_e32 v70, vcc, -1, v4
	v_addc_co_u32_e64 v72, s[36:37], 0, -1, vcc
	v_cmp_ne_u32_e32 vcc, 0, v4
	v_xor_b32_e32 v4, vcc_hi, v72
	v_and_b32_e32 v72, exec_hi, v4
	v_lshlrev_b32_e32 v4, 30, v69
	v_xor_b32_e32 v70, vcc_lo, v70
	v_cmp_gt_i64_e32 vcc, 0, v[3:4]
	v_not_b32_e32 v4, v4
	v_ashrrev_i32_e32 v4, 31, v4
	v_and_b32_e32 v70, exec_lo, v70
	v_xor_b32_e32 v200, vcc_hi, v4
	v_xor_b32_e32 v4, vcc_lo, v4
	v_and_b32_e32 v70, v70, v4
	v_lshlrev_b32_e32 v4, 29, v69
	v_cmp_gt_i64_e32 vcc, 0, v[3:4]
	v_not_b32_e32 v4, v4
	v_ashrrev_i32_e32 v4, 31, v4
	v_and_b32_e32 v72, v72, v200
	v_xor_b32_e32 v200, vcc_hi, v4
	v_xor_b32_e32 v4, vcc_lo, v4
	v_and_b32_e32 v70, v70, v4
	v_lshlrev_b32_e32 v4, 28, v69
	v_cmp_gt_i64_e32 vcc, 0, v[3:4]
	v_not_b32_e32 v4, v4
	v_ashrrev_i32_e32 v4, 31, v4
	v_and_b32_e32 v72, v72, v200
	;; [unrolled: 8-line block ×5, first 2 shown]
	v_xor_b32_e32 v200, vcc_hi, v4
	v_xor_b32_e32 v4, vcc_lo, v4
	v_and_b32_e32 v72, v72, v200
	v_and_b32_e32 v200, v70, v4
	v_lshlrev_b32_e32 v4, 24, v69
	v_cmp_gt_i64_e32 vcc, 0, v[3:4]
	v_not_b32_e32 v4, v4
	v_ashrrev_i32_e32 v4, 31, v4
	v_mul_u32_u24_e32 v71, 20, v69
	v_xor_b32_e32 v69, vcc_hi, v4
	v_xor_b32_e32 v4, vcc_lo, v4
	v_and_b32_e32 v70, v72, v69
	v_and_b32_e32 v69, v200, v4
	v_mbcnt_lo_u32_b32 v4, v69, 0
	v_mbcnt_hi_u32_b32 v200, v70, v4
	v_cmp_ne_u64_e32 vcc, 0, v[69:70]
	v_cmp_eq_u32_e64 s[36:37], 0, v200
	s_and_b64 s[38:39], vcc, s[36:37]
	v_add_u32_e32 v202, v172, v71
	; wave barrier
	s_and_saveexec_b64 s[36:37], s[38:39]
	s_cbranch_execz .LBB1152_741
; %bb.740:                              ;   in Loop: Header=BB1152_687 Depth=2
	v_bcnt_u32_b32 v4, v69, 0
	v_bcnt_u32_b32 v4, v70, v4
	s_waitcnt lgkmcnt(0)
	v_add_u32_e32 v4, v198, v4
	ds_write_b32 v202, v4 offset:1040
.LBB1152_741:                           ;   in Loop: Header=BB1152_687 Depth=2
	s_or_b64 exec, exec, s[36:37]
	v_cmp_gt_i64_e32 vcc, 0, v[61:62]
	v_ashrrev_i32_e32 v69, 31, v62
	v_cndmask_b32_e64 v4, v133, 0, vcc
	v_not_b32_e32 v69, v69
	v_xor_b32_e32 v62, v4, v62
	v_xor_b32_e32 v61, v69, v61
	v_cmp_ne_u64_e32 vcc, s[72:73], v[61:62]
	v_cndmask_b32_e32 v70, v133, v62, vcc
	v_cndmask_b32_e32 v69, -1, v61, vcc
	v_lshrrev_b64 v[69:70], s88, v[69:70]
	; wave barrier
	v_and_b32_e32 v69, s96, v69
	v_mad_u32_u24 v4, v69, 20, v172
	ds_read_b32 v201, v4 offset:1040
	v_and_b32_e32 v4, 1, v69
	v_add_co_u32_e32 v70, vcc, -1, v4
	v_addc_co_u32_e64 v72, s[36:37], 0, -1, vcc
	v_cmp_ne_u32_e32 vcc, 0, v4
	v_xor_b32_e32 v4, vcc_hi, v72
	v_and_b32_e32 v72, exec_hi, v4
	v_lshlrev_b32_e32 v4, 30, v69
	v_xor_b32_e32 v70, vcc_lo, v70
	v_cmp_gt_i64_e32 vcc, 0, v[3:4]
	v_not_b32_e32 v4, v4
	v_ashrrev_i32_e32 v4, 31, v4
	v_and_b32_e32 v70, exec_lo, v70
	v_xor_b32_e32 v203, vcc_hi, v4
	v_xor_b32_e32 v4, vcc_lo, v4
	v_and_b32_e32 v70, v70, v4
	v_lshlrev_b32_e32 v4, 29, v69
	v_cmp_gt_i64_e32 vcc, 0, v[3:4]
	v_not_b32_e32 v4, v4
	v_ashrrev_i32_e32 v4, 31, v4
	v_and_b32_e32 v72, v72, v203
	v_xor_b32_e32 v203, vcc_hi, v4
	v_xor_b32_e32 v4, vcc_lo, v4
	v_and_b32_e32 v70, v70, v4
	v_lshlrev_b32_e32 v4, 28, v69
	v_cmp_gt_i64_e32 vcc, 0, v[3:4]
	v_not_b32_e32 v4, v4
	v_ashrrev_i32_e32 v4, 31, v4
	v_and_b32_e32 v72, v72, v203
	;; [unrolled: 8-line block ×5, first 2 shown]
	v_xor_b32_e32 v203, vcc_hi, v4
	v_xor_b32_e32 v4, vcc_lo, v4
	v_and_b32_e32 v72, v72, v203
	v_and_b32_e32 v203, v70, v4
	v_lshlrev_b32_e32 v4, 24, v69
	v_cmp_gt_i64_e32 vcc, 0, v[3:4]
	v_not_b32_e32 v4, v4
	v_ashrrev_i32_e32 v4, 31, v4
	v_mul_u32_u24_e32 v71, 20, v69
	v_xor_b32_e32 v69, vcc_hi, v4
	v_xor_b32_e32 v4, vcc_lo, v4
	v_and_b32_e32 v70, v72, v69
	v_and_b32_e32 v69, v203, v4
	v_mbcnt_lo_u32_b32 v4, v69, 0
	v_mbcnt_hi_u32_b32 v203, v70, v4
	v_cmp_ne_u64_e32 vcc, 0, v[69:70]
	v_cmp_eq_u32_e64 s[36:37], 0, v203
	s_and_b64 s[38:39], vcc, s[36:37]
	v_add_u32_e32 v205, v172, v71
	; wave barrier
	s_and_saveexec_b64 s[36:37], s[38:39]
	s_cbranch_execz .LBB1152_743
; %bb.742:                              ;   in Loop: Header=BB1152_687 Depth=2
	v_bcnt_u32_b32 v4, v69, 0
	v_bcnt_u32_b32 v4, v70, v4
	s_waitcnt lgkmcnt(0)
	v_add_u32_e32 v4, v201, v4
	ds_write_b32 v205, v4 offset:1040
.LBB1152_743:                           ;   in Loop: Header=BB1152_687 Depth=2
	s_or_b64 exec, exec, s[36:37]
	v_cmp_gt_i64_e32 vcc, 0, v[59:60]
	v_ashrrev_i32_e32 v69, 31, v60
	v_cndmask_b32_e64 v4, v133, 0, vcc
	v_not_b32_e32 v69, v69
	v_xor_b32_e32 v60, v4, v60
	v_xor_b32_e32 v59, v69, v59
	v_cmp_ne_u64_e32 vcc, s[72:73], v[59:60]
	v_cndmask_b32_e32 v70, v133, v60, vcc
	v_cndmask_b32_e32 v69, -1, v59, vcc
	v_lshrrev_b64 v[69:70], s88, v[69:70]
	; wave barrier
	v_and_b32_e32 v69, s96, v69
	v_mad_u32_u24 v4, v69, 20, v172
	ds_read_b32 v204, v4 offset:1040
	v_and_b32_e32 v4, 1, v69
	v_add_co_u32_e32 v70, vcc, -1, v4
	v_addc_co_u32_e64 v72, s[36:37], 0, -1, vcc
	v_cmp_ne_u32_e32 vcc, 0, v4
	v_xor_b32_e32 v4, vcc_hi, v72
	v_and_b32_e32 v72, exec_hi, v4
	v_lshlrev_b32_e32 v4, 30, v69
	v_xor_b32_e32 v70, vcc_lo, v70
	v_cmp_gt_i64_e32 vcc, 0, v[3:4]
	v_not_b32_e32 v4, v4
	v_ashrrev_i32_e32 v4, 31, v4
	v_and_b32_e32 v70, exec_lo, v70
	v_xor_b32_e32 v206, vcc_hi, v4
	v_xor_b32_e32 v4, vcc_lo, v4
	v_and_b32_e32 v70, v70, v4
	v_lshlrev_b32_e32 v4, 29, v69
	v_cmp_gt_i64_e32 vcc, 0, v[3:4]
	v_not_b32_e32 v4, v4
	v_ashrrev_i32_e32 v4, 31, v4
	v_and_b32_e32 v72, v72, v206
	v_xor_b32_e32 v206, vcc_hi, v4
	v_xor_b32_e32 v4, vcc_lo, v4
	v_and_b32_e32 v70, v70, v4
	v_lshlrev_b32_e32 v4, 28, v69
	v_cmp_gt_i64_e32 vcc, 0, v[3:4]
	v_not_b32_e32 v4, v4
	v_ashrrev_i32_e32 v4, 31, v4
	v_and_b32_e32 v72, v72, v206
	v_xor_b32_e32 v206, vcc_hi, v4
	v_xor_b32_e32 v4, vcc_lo, v4
	v_and_b32_e32 v70, v70, v4
	v_lshlrev_b32_e32 v4, 27, v69
	v_cmp_gt_i64_e32 vcc, 0, v[3:4]
	v_not_b32_e32 v4, v4
	v_ashrrev_i32_e32 v4, 31, v4
	v_and_b32_e32 v72, v72, v206
	v_xor_b32_e32 v206, vcc_hi, v4
	v_xor_b32_e32 v4, vcc_lo, v4
	v_and_b32_e32 v70, v70, v4
	v_lshlrev_b32_e32 v4, 26, v69
	v_cmp_gt_i64_e32 vcc, 0, v[3:4]
	v_not_b32_e32 v4, v4
	v_ashrrev_i32_e32 v4, 31, v4
	v_and_b32_e32 v72, v72, v206
	v_xor_b32_e32 v206, vcc_hi, v4
	v_xor_b32_e32 v4, vcc_lo, v4
	v_and_b32_e32 v70, v70, v4
	v_lshlrev_b32_e32 v4, 25, v69
	v_cmp_gt_i64_e32 vcc, 0, v[3:4]
	v_not_b32_e32 v4, v4
	v_ashrrev_i32_e32 v4, 31, v4
	v_and_b32_e32 v72, v72, v206
	v_xor_b32_e32 v206, vcc_hi, v4
	v_xor_b32_e32 v4, vcc_lo, v4
	v_and_b32_e32 v72, v72, v206
	v_and_b32_e32 v206, v70, v4
	v_lshlrev_b32_e32 v4, 24, v69
	v_cmp_gt_i64_e32 vcc, 0, v[3:4]
	v_not_b32_e32 v4, v4
	v_ashrrev_i32_e32 v4, 31, v4
	v_mul_u32_u24_e32 v71, 20, v69
	v_xor_b32_e32 v69, vcc_hi, v4
	v_xor_b32_e32 v4, vcc_lo, v4
	v_and_b32_e32 v70, v72, v69
	v_and_b32_e32 v69, v206, v4
	v_mbcnt_lo_u32_b32 v4, v69, 0
	v_mbcnt_hi_u32_b32 v206, v70, v4
	v_cmp_ne_u64_e32 vcc, 0, v[69:70]
	v_cmp_eq_u32_e64 s[36:37], 0, v206
	s_and_b64 s[38:39], vcc, s[36:37]
	v_add_u32_e32 v208, v172, v71
	; wave barrier
	s_and_saveexec_b64 s[36:37], s[38:39]
	s_cbranch_execz .LBB1152_745
; %bb.744:                              ;   in Loop: Header=BB1152_687 Depth=2
	v_bcnt_u32_b32 v4, v69, 0
	v_bcnt_u32_b32 v4, v70, v4
	s_waitcnt lgkmcnt(0)
	v_add_u32_e32 v4, v204, v4
	ds_write_b32 v208, v4 offset:1040
.LBB1152_745:                           ;   in Loop: Header=BB1152_687 Depth=2
	s_or_b64 exec, exec, s[36:37]
	v_cmp_gt_i64_e32 vcc, 0, v[55:56]
	v_ashrrev_i32_e32 v69, 31, v56
	v_cndmask_b32_e64 v4, v133, 0, vcc
	v_not_b32_e32 v69, v69
	v_xor_b32_e32 v56, v4, v56
	v_xor_b32_e32 v55, v69, v55
	v_cmp_ne_u64_e32 vcc, s[72:73], v[55:56]
	v_cndmask_b32_e32 v70, v133, v56, vcc
	v_cndmask_b32_e32 v69, -1, v55, vcc
	v_lshrrev_b64 v[69:70], s88, v[69:70]
	; wave barrier
	v_and_b32_e32 v69, s96, v69
	v_mad_u32_u24 v4, v69, 20, v172
	ds_read_b32 v207, v4 offset:1040
	v_and_b32_e32 v4, 1, v69
	v_add_co_u32_e32 v70, vcc, -1, v4
	v_addc_co_u32_e64 v72, s[36:37], 0, -1, vcc
	v_cmp_ne_u32_e32 vcc, 0, v4
	v_xor_b32_e32 v4, vcc_hi, v72
	v_and_b32_e32 v72, exec_hi, v4
	v_lshlrev_b32_e32 v4, 30, v69
	v_xor_b32_e32 v70, vcc_lo, v70
	v_cmp_gt_i64_e32 vcc, 0, v[3:4]
	v_not_b32_e32 v4, v4
	v_ashrrev_i32_e32 v4, 31, v4
	v_and_b32_e32 v70, exec_lo, v70
	v_xor_b32_e32 v209, vcc_hi, v4
	v_xor_b32_e32 v4, vcc_lo, v4
	v_and_b32_e32 v70, v70, v4
	v_lshlrev_b32_e32 v4, 29, v69
	v_cmp_gt_i64_e32 vcc, 0, v[3:4]
	v_not_b32_e32 v4, v4
	v_ashrrev_i32_e32 v4, 31, v4
	v_and_b32_e32 v72, v72, v209
	v_xor_b32_e32 v209, vcc_hi, v4
	v_xor_b32_e32 v4, vcc_lo, v4
	v_and_b32_e32 v70, v70, v4
	v_lshlrev_b32_e32 v4, 28, v69
	v_cmp_gt_i64_e32 vcc, 0, v[3:4]
	v_not_b32_e32 v4, v4
	v_ashrrev_i32_e32 v4, 31, v4
	v_and_b32_e32 v72, v72, v209
	;; [unrolled: 8-line block ×5, first 2 shown]
	v_xor_b32_e32 v209, vcc_hi, v4
	v_xor_b32_e32 v4, vcc_lo, v4
	v_and_b32_e32 v72, v72, v209
	v_and_b32_e32 v209, v70, v4
	v_lshlrev_b32_e32 v4, 24, v69
	v_cmp_gt_i64_e32 vcc, 0, v[3:4]
	v_not_b32_e32 v4, v4
	v_ashrrev_i32_e32 v4, 31, v4
	v_mul_u32_u24_e32 v71, 20, v69
	v_xor_b32_e32 v69, vcc_hi, v4
	v_xor_b32_e32 v4, vcc_lo, v4
	v_and_b32_e32 v70, v72, v69
	v_and_b32_e32 v69, v209, v4
	v_mbcnt_lo_u32_b32 v4, v69, 0
	v_mbcnt_hi_u32_b32 v209, v70, v4
	v_cmp_ne_u64_e32 vcc, 0, v[69:70]
	v_cmp_eq_u32_e64 s[36:37], 0, v209
	s_and_b64 s[38:39], vcc, s[36:37]
	v_add_u32_e32 v211, v172, v71
	; wave barrier
	s_and_saveexec_b64 s[36:37], s[38:39]
	s_cbranch_execz .LBB1152_747
; %bb.746:                              ;   in Loop: Header=BB1152_687 Depth=2
	v_bcnt_u32_b32 v4, v69, 0
	v_bcnt_u32_b32 v4, v70, v4
	s_waitcnt lgkmcnt(0)
	v_add_u32_e32 v4, v207, v4
	ds_write_b32 v211, v4 offset:1040
.LBB1152_747:                           ;   in Loop: Header=BB1152_687 Depth=2
	s_or_b64 exec, exec, s[36:37]
	v_cmp_gt_i64_e32 vcc, 0, v[51:52]
	v_ashrrev_i32_e32 v69, 31, v52
	v_cndmask_b32_e64 v4, v133, 0, vcc
	v_not_b32_e32 v69, v69
	v_xor_b32_e32 v52, v4, v52
	v_xor_b32_e32 v51, v69, v51
	v_cmp_ne_u64_e32 vcc, s[72:73], v[51:52]
	v_cndmask_b32_e32 v70, v133, v52, vcc
	v_cndmask_b32_e32 v69, -1, v51, vcc
	v_lshrrev_b64 v[69:70], s88, v[69:70]
	; wave barrier
	v_and_b32_e32 v69, s96, v69
	v_mad_u32_u24 v4, v69, 20, v172
	ds_read_b32 v210, v4 offset:1040
	v_and_b32_e32 v4, 1, v69
	v_add_co_u32_e32 v70, vcc, -1, v4
	v_addc_co_u32_e64 v72, s[36:37], 0, -1, vcc
	v_cmp_ne_u32_e32 vcc, 0, v4
	v_xor_b32_e32 v4, vcc_hi, v72
	v_and_b32_e32 v72, exec_hi, v4
	v_lshlrev_b32_e32 v4, 30, v69
	v_xor_b32_e32 v70, vcc_lo, v70
	v_cmp_gt_i64_e32 vcc, 0, v[3:4]
	v_not_b32_e32 v4, v4
	v_ashrrev_i32_e32 v4, 31, v4
	v_and_b32_e32 v70, exec_lo, v70
	v_xor_b32_e32 v212, vcc_hi, v4
	v_xor_b32_e32 v4, vcc_lo, v4
	v_and_b32_e32 v70, v70, v4
	v_lshlrev_b32_e32 v4, 29, v69
	v_cmp_gt_i64_e32 vcc, 0, v[3:4]
	v_not_b32_e32 v4, v4
	v_ashrrev_i32_e32 v4, 31, v4
	v_and_b32_e32 v72, v72, v212
	v_xor_b32_e32 v212, vcc_hi, v4
	v_xor_b32_e32 v4, vcc_lo, v4
	v_and_b32_e32 v70, v70, v4
	v_lshlrev_b32_e32 v4, 28, v69
	v_cmp_gt_i64_e32 vcc, 0, v[3:4]
	v_not_b32_e32 v4, v4
	v_ashrrev_i32_e32 v4, 31, v4
	v_and_b32_e32 v72, v72, v212
	;; [unrolled: 8-line block ×5, first 2 shown]
	v_xor_b32_e32 v212, vcc_hi, v4
	v_xor_b32_e32 v4, vcc_lo, v4
	v_and_b32_e32 v72, v72, v212
	v_and_b32_e32 v212, v70, v4
	v_lshlrev_b32_e32 v4, 24, v69
	v_cmp_gt_i64_e32 vcc, 0, v[3:4]
	v_not_b32_e32 v4, v4
	v_ashrrev_i32_e32 v4, 31, v4
	v_mul_u32_u24_e32 v71, 20, v69
	v_xor_b32_e32 v69, vcc_hi, v4
	v_xor_b32_e32 v4, vcc_lo, v4
	v_and_b32_e32 v70, v72, v69
	v_and_b32_e32 v69, v212, v4
	v_mbcnt_lo_u32_b32 v4, v69, 0
	v_mbcnt_hi_u32_b32 v212, v70, v4
	v_cmp_ne_u64_e32 vcc, 0, v[69:70]
	v_cmp_eq_u32_e64 s[36:37], 0, v212
	s_and_b64 s[38:39], vcc, s[36:37]
	v_add_u32_e32 v214, v172, v71
	; wave barrier
	s_and_saveexec_b64 s[36:37], s[38:39]
	s_cbranch_execz .LBB1152_749
; %bb.748:                              ;   in Loop: Header=BB1152_687 Depth=2
	v_bcnt_u32_b32 v4, v69, 0
	v_bcnt_u32_b32 v4, v70, v4
	s_waitcnt lgkmcnt(0)
	v_add_u32_e32 v4, v210, v4
	ds_write_b32 v214, v4 offset:1040
.LBB1152_749:                           ;   in Loop: Header=BB1152_687 Depth=2
	s_or_b64 exec, exec, s[36:37]
	v_cmp_gt_i64_e32 vcc, 0, v[47:48]
	v_ashrrev_i32_e32 v69, 31, v48
	v_cndmask_b32_e64 v4, v133, 0, vcc
	v_not_b32_e32 v69, v69
	v_xor_b32_e32 v48, v4, v48
	v_xor_b32_e32 v47, v69, v47
	v_cmp_ne_u64_e32 vcc, s[72:73], v[47:48]
	v_cndmask_b32_e32 v70, v133, v48, vcc
	v_cndmask_b32_e32 v69, -1, v47, vcc
	v_lshrrev_b64 v[69:70], s88, v[69:70]
	; wave barrier
	v_and_b32_e32 v69, s96, v69
	v_mad_u32_u24 v4, v69, 20, v172
	ds_read_b32 v213, v4 offset:1040
	v_and_b32_e32 v4, 1, v69
	v_add_co_u32_e32 v70, vcc, -1, v4
	v_addc_co_u32_e64 v72, s[36:37], 0, -1, vcc
	v_cmp_ne_u32_e32 vcc, 0, v4
	v_xor_b32_e32 v4, vcc_hi, v72
	v_and_b32_e32 v72, exec_hi, v4
	v_lshlrev_b32_e32 v4, 30, v69
	v_xor_b32_e32 v70, vcc_lo, v70
	v_cmp_gt_i64_e32 vcc, 0, v[3:4]
	v_not_b32_e32 v4, v4
	v_ashrrev_i32_e32 v4, 31, v4
	v_and_b32_e32 v70, exec_lo, v70
	v_xor_b32_e32 v215, vcc_hi, v4
	v_xor_b32_e32 v4, vcc_lo, v4
	v_and_b32_e32 v70, v70, v4
	v_lshlrev_b32_e32 v4, 29, v69
	v_cmp_gt_i64_e32 vcc, 0, v[3:4]
	v_not_b32_e32 v4, v4
	v_ashrrev_i32_e32 v4, 31, v4
	v_and_b32_e32 v72, v72, v215
	v_xor_b32_e32 v215, vcc_hi, v4
	v_xor_b32_e32 v4, vcc_lo, v4
	v_and_b32_e32 v70, v70, v4
	v_lshlrev_b32_e32 v4, 28, v69
	v_cmp_gt_i64_e32 vcc, 0, v[3:4]
	v_not_b32_e32 v4, v4
	v_ashrrev_i32_e32 v4, 31, v4
	v_and_b32_e32 v72, v72, v215
	;; [unrolled: 8-line block ×5, first 2 shown]
	v_xor_b32_e32 v215, vcc_hi, v4
	v_xor_b32_e32 v4, vcc_lo, v4
	v_and_b32_e32 v72, v72, v215
	v_and_b32_e32 v215, v70, v4
	v_lshlrev_b32_e32 v4, 24, v69
	v_cmp_gt_i64_e32 vcc, 0, v[3:4]
	v_not_b32_e32 v4, v4
	v_ashrrev_i32_e32 v4, 31, v4
	v_mul_u32_u24_e32 v71, 20, v69
	v_xor_b32_e32 v69, vcc_hi, v4
	v_xor_b32_e32 v4, vcc_lo, v4
	v_and_b32_e32 v70, v72, v69
	v_and_b32_e32 v69, v215, v4
	v_mbcnt_lo_u32_b32 v4, v69, 0
	v_mbcnt_hi_u32_b32 v215, v70, v4
	v_cmp_ne_u64_e32 vcc, 0, v[69:70]
	v_cmp_eq_u32_e64 s[36:37], 0, v215
	s_and_b64 s[38:39], vcc, s[36:37]
	v_add_u32_e32 v217, v172, v71
	; wave barrier
	s_and_saveexec_b64 s[36:37], s[38:39]
	s_cbranch_execz .LBB1152_751
; %bb.750:                              ;   in Loop: Header=BB1152_687 Depth=2
	v_bcnt_u32_b32 v4, v69, 0
	v_bcnt_u32_b32 v4, v70, v4
	s_waitcnt lgkmcnt(0)
	v_add_u32_e32 v4, v213, v4
	ds_write_b32 v217, v4 offset:1040
.LBB1152_751:                           ;   in Loop: Header=BB1152_687 Depth=2
	s_or_b64 exec, exec, s[36:37]
	v_cmp_gt_i64_e32 vcc, 0, v[41:42]
	v_ashrrev_i32_e32 v69, 31, v42
	v_cndmask_b32_e64 v4, v133, 0, vcc
	v_not_b32_e32 v69, v69
	v_xor_b32_e32 v42, v4, v42
	v_xor_b32_e32 v41, v69, v41
	v_cmp_ne_u64_e32 vcc, s[72:73], v[41:42]
	v_cndmask_b32_e32 v70, v133, v42, vcc
	v_cndmask_b32_e32 v69, -1, v41, vcc
	v_lshrrev_b64 v[69:70], s88, v[69:70]
	; wave barrier
	v_and_b32_e32 v69, s96, v69
	v_mad_u32_u24 v4, v69, 20, v172
	ds_read_b32 v216, v4 offset:1040
	v_and_b32_e32 v4, 1, v69
	v_add_co_u32_e32 v70, vcc, -1, v4
	v_addc_co_u32_e64 v72, s[36:37], 0, -1, vcc
	v_cmp_ne_u32_e32 vcc, 0, v4
	v_xor_b32_e32 v4, vcc_hi, v72
	v_and_b32_e32 v72, exec_hi, v4
	v_lshlrev_b32_e32 v4, 30, v69
	v_xor_b32_e32 v70, vcc_lo, v70
	v_cmp_gt_i64_e32 vcc, 0, v[3:4]
	v_not_b32_e32 v4, v4
	v_ashrrev_i32_e32 v4, 31, v4
	v_and_b32_e32 v70, exec_lo, v70
	v_xor_b32_e32 v218, vcc_hi, v4
	v_xor_b32_e32 v4, vcc_lo, v4
	v_and_b32_e32 v70, v70, v4
	v_lshlrev_b32_e32 v4, 29, v69
	v_cmp_gt_i64_e32 vcc, 0, v[3:4]
	v_not_b32_e32 v4, v4
	v_ashrrev_i32_e32 v4, 31, v4
	v_and_b32_e32 v72, v72, v218
	v_xor_b32_e32 v218, vcc_hi, v4
	v_xor_b32_e32 v4, vcc_lo, v4
	v_and_b32_e32 v70, v70, v4
	v_lshlrev_b32_e32 v4, 28, v69
	v_cmp_gt_i64_e32 vcc, 0, v[3:4]
	v_not_b32_e32 v4, v4
	v_ashrrev_i32_e32 v4, 31, v4
	v_and_b32_e32 v72, v72, v218
	;; [unrolled: 8-line block ×5, first 2 shown]
	v_xor_b32_e32 v218, vcc_hi, v4
	v_xor_b32_e32 v4, vcc_lo, v4
	v_and_b32_e32 v72, v72, v218
	v_and_b32_e32 v218, v70, v4
	v_lshlrev_b32_e32 v4, 24, v69
	v_cmp_gt_i64_e32 vcc, 0, v[3:4]
	v_not_b32_e32 v4, v4
	v_ashrrev_i32_e32 v4, 31, v4
	v_mul_u32_u24_e32 v71, 20, v69
	v_xor_b32_e32 v69, vcc_hi, v4
	v_xor_b32_e32 v4, vcc_lo, v4
	v_and_b32_e32 v70, v72, v69
	v_and_b32_e32 v69, v218, v4
	v_mbcnt_lo_u32_b32 v4, v69, 0
	v_mbcnt_hi_u32_b32 v218, v70, v4
	v_cmp_ne_u64_e32 vcc, 0, v[69:70]
	v_cmp_eq_u32_e64 s[36:37], 0, v218
	s_and_b64 s[38:39], vcc, s[36:37]
	v_add_u32_e32 v220, v172, v71
	; wave barrier
	s_and_saveexec_b64 s[36:37], s[38:39]
	s_cbranch_execz .LBB1152_753
; %bb.752:                              ;   in Loop: Header=BB1152_687 Depth=2
	v_bcnt_u32_b32 v4, v69, 0
	v_bcnt_u32_b32 v4, v70, v4
	s_waitcnt lgkmcnt(0)
	v_add_u32_e32 v4, v216, v4
	ds_write_b32 v220, v4 offset:1040
.LBB1152_753:                           ;   in Loop: Header=BB1152_687 Depth=2
	s_or_b64 exec, exec, s[36:37]
	v_cmp_gt_i64_e32 vcc, 0, v[43:44]
	v_ashrrev_i32_e32 v69, 31, v44
	v_cndmask_b32_e64 v4, v133, 0, vcc
	v_not_b32_e32 v69, v69
	v_xor_b32_e32 v44, v4, v44
	v_xor_b32_e32 v43, v69, v43
	v_cmp_ne_u64_e32 vcc, s[72:73], v[43:44]
	v_cndmask_b32_e32 v70, v133, v44, vcc
	v_cndmask_b32_e32 v69, -1, v43, vcc
	v_lshrrev_b64 v[69:70], s88, v[69:70]
	; wave barrier
	v_and_b32_e32 v69, s96, v69
	v_mad_u32_u24 v4, v69, 20, v172
	ds_read_b32 v219, v4 offset:1040
	v_and_b32_e32 v4, 1, v69
	v_add_co_u32_e32 v70, vcc, -1, v4
	v_addc_co_u32_e64 v72, s[36:37], 0, -1, vcc
	v_cmp_ne_u32_e32 vcc, 0, v4
	v_xor_b32_e32 v4, vcc_hi, v72
	v_and_b32_e32 v72, exec_hi, v4
	v_lshlrev_b32_e32 v4, 30, v69
	v_xor_b32_e32 v70, vcc_lo, v70
	v_cmp_gt_i64_e32 vcc, 0, v[3:4]
	v_not_b32_e32 v4, v4
	v_ashrrev_i32_e32 v4, 31, v4
	v_and_b32_e32 v70, exec_lo, v70
	v_xor_b32_e32 v221, vcc_hi, v4
	v_xor_b32_e32 v4, vcc_lo, v4
	v_and_b32_e32 v70, v70, v4
	v_lshlrev_b32_e32 v4, 29, v69
	v_cmp_gt_i64_e32 vcc, 0, v[3:4]
	v_not_b32_e32 v4, v4
	v_ashrrev_i32_e32 v4, 31, v4
	v_and_b32_e32 v72, v72, v221
	v_xor_b32_e32 v221, vcc_hi, v4
	v_xor_b32_e32 v4, vcc_lo, v4
	v_and_b32_e32 v70, v70, v4
	v_lshlrev_b32_e32 v4, 28, v69
	v_cmp_gt_i64_e32 vcc, 0, v[3:4]
	v_not_b32_e32 v4, v4
	v_ashrrev_i32_e32 v4, 31, v4
	v_and_b32_e32 v72, v72, v221
	v_xor_b32_e32 v221, vcc_hi, v4
	v_xor_b32_e32 v4, vcc_lo, v4
	v_and_b32_e32 v70, v70, v4
	v_lshlrev_b32_e32 v4, 27, v69
	v_cmp_gt_i64_e32 vcc, 0, v[3:4]
	v_not_b32_e32 v4, v4
	v_ashrrev_i32_e32 v4, 31, v4
	v_and_b32_e32 v72, v72, v221
	v_xor_b32_e32 v221, vcc_hi, v4
	v_xor_b32_e32 v4, vcc_lo, v4
	v_and_b32_e32 v70, v70, v4
	v_lshlrev_b32_e32 v4, 26, v69
	v_cmp_gt_i64_e32 vcc, 0, v[3:4]
	v_not_b32_e32 v4, v4
	v_ashrrev_i32_e32 v4, 31, v4
	v_and_b32_e32 v72, v72, v221
	v_xor_b32_e32 v221, vcc_hi, v4
	v_xor_b32_e32 v4, vcc_lo, v4
	v_and_b32_e32 v70, v70, v4
	v_lshlrev_b32_e32 v4, 25, v69
	v_cmp_gt_i64_e32 vcc, 0, v[3:4]
	v_not_b32_e32 v4, v4
	v_ashrrev_i32_e32 v4, 31, v4
	v_and_b32_e32 v72, v72, v221
	v_xor_b32_e32 v221, vcc_hi, v4
	v_xor_b32_e32 v4, vcc_lo, v4
	v_and_b32_e32 v72, v72, v221
	v_and_b32_e32 v221, v70, v4
	v_lshlrev_b32_e32 v4, 24, v69
	v_cmp_gt_i64_e32 vcc, 0, v[3:4]
	v_not_b32_e32 v4, v4
	v_ashrrev_i32_e32 v4, 31, v4
	v_mul_u32_u24_e32 v71, 20, v69
	v_xor_b32_e32 v69, vcc_hi, v4
	v_xor_b32_e32 v4, vcc_lo, v4
	v_and_b32_e32 v70, v72, v69
	v_and_b32_e32 v69, v221, v4
	v_mbcnt_lo_u32_b32 v4, v69, 0
	v_mbcnt_hi_u32_b32 v221, v70, v4
	v_cmp_ne_u64_e32 vcc, 0, v[69:70]
	v_cmp_eq_u32_e64 s[36:37], 0, v221
	s_and_b64 s[38:39], vcc, s[36:37]
	v_add_u32_e32 v4, v172, v71
	; wave barrier
	s_and_saveexec_b64 s[36:37], s[38:39]
	s_cbranch_execz .LBB1152_755
; %bb.754:                              ;   in Loop: Header=BB1152_687 Depth=2
	v_bcnt_u32_b32 v69, v69, 0
	v_bcnt_u32_b32 v69, v70, v69
	s_waitcnt lgkmcnt(0)
	v_add_u32_e32 v69, v219, v69
	ds_write_b32 v4, v69 offset:1040
.LBB1152_755:                           ;   in Loop: Header=BB1152_687 Depth=2
	s_or_b64 exec, exec, s[36:37]
	; wave barrier
	s_waitcnt lgkmcnt(0)
	s_barrier
	ds_read2_b32 v[71:72], v175 offset1:1
	ds_read2_b32 v[69:70], v174 offset1:1
	ds_read_b32 v222, v98 offset:1056
	s_waitcnt lgkmcnt(1)
	v_add3_u32 v223, v72, v71, v69
	s_waitcnt lgkmcnt(0)
	v_add3_u32 v222, v223, v70, v222
	s_nop 1
	v_mov_b32_dpp v223, v222 row_shr:1 row_mask:0xf bank_mask:0xf
	v_cndmask_b32_e64 v223, v223, 0, s[16:17]
	v_add_u32_e32 v222, v223, v222
	s_nop 1
	v_mov_b32_dpp v223, v222 row_shr:2 row_mask:0xf bank_mask:0xf
	v_cndmask_b32_e64 v223, 0, v223, s[18:19]
	v_add_u32_e32 v222, v222, v223
	s_nop 1
	v_mov_b32_dpp v223, v222 row_shr:4 row_mask:0xf bank_mask:0xf
	v_cndmask_b32_e64 v223, 0, v223, s[20:21]
	v_add_u32_e32 v222, v222, v223
	s_nop 1
	v_mov_b32_dpp v223, v222 row_shr:8 row_mask:0xf bank_mask:0xf
	v_cndmask_b32_e64 v223, 0, v223, s[22:23]
	v_add_u32_e32 v222, v222, v223
	s_nop 1
	v_mov_b32_dpp v223, v222 row_bcast:15 row_mask:0xf bank_mask:0xf
	v_cndmask_b32_e64 v223, v223, 0, s[24:25]
	v_add_u32_e32 v222, v222, v223
	s_nop 1
	v_mov_b32_dpp v223, v222 row_bcast:31 row_mask:0xf bank_mask:0xf
	v_cndmask_b32_e64 v223, 0, v223, s[26:27]
	v_add_u32_e32 v222, v222, v223
	s_and_saveexec_b64 s[36:37], s[6:7]
; %bb.756:                              ;   in Loop: Header=BB1152_687 Depth=2
	ds_write_b32 v93, v222 offset:1024
; %bb.757:                              ;   in Loop: Header=BB1152_687 Depth=2
	s_or_b64 exec, exec, s[36:37]
	s_waitcnt lgkmcnt(0)
	s_barrier
	s_and_saveexec_b64 s[36:37], s[8:9]
	s_cbranch_execz .LBB1152_759
; %bb.758:                              ;   in Loop: Header=BB1152_687 Depth=2
	ds_read_b32 v223, v99 offset:1024
	s_waitcnt lgkmcnt(0)
	s_nop 0
	v_mov_b32_dpp v224, v223 row_shr:1 row_mask:0xf bank_mask:0xf
	v_cndmask_b32_e64 v224, v224, 0, s[30:31]
	v_add_u32_e32 v223, v224, v223
	s_nop 1
	v_mov_b32_dpp v224, v223 row_shr:2 row_mask:0xf bank_mask:0xf
	v_cndmask_b32_e64 v224, 0, v224, s[34:35]
	v_add_u32_e32 v223, v223, v224
	ds_write_b32 v99, v223 offset:1024
.LBB1152_759:                           ;   in Loop: Header=BB1152_687 Depth=2
	s_or_b64 exec, exec, s[36:37]
	v_mov_b32_e32 v223, 0
	s_waitcnt lgkmcnt(0)
	s_barrier
	s_and_saveexec_b64 s[36:37], s[10:11]
; %bb.760:                              ;   in Loop: Header=BB1152_687 Depth=2
	ds_read_b32 v223, v93 offset:1020
; %bb.761:                              ;   in Loop: Header=BB1152_687 Depth=2
	s_or_b64 exec, exec, s[36:37]
	s_waitcnt lgkmcnt(0)
	v_add_u32_e32 v222, v223, v222
	ds_bpermute_b32 v222, v135, v222
	s_waitcnt lgkmcnt(0)
	v_cndmask_b32_e64 v222, v222, v223, s[28:29]
	v_cndmask_b32_e64 v222, v222, 0, s[12:13]
	v_add_u32_e32 v71, v222, v71
	v_add_u32_e32 v72, v71, v72
	v_add_u32_e32 v69, v72, v69
	v_add_u32_e32 v70, v69, v70
	ds_write2_b32 v175, v222, v71 offset1:1
	ds_write2_b32 v174, v72, v69 offset1:1
	ds_write_b32 v98, v70 offset:1056
	s_waitcnt lgkmcnt(0)
	s_barrier
	ds_read_b32 v69, v178 offset:1040
	ds_read_b32 v70, v181 offset:1040
	;; [unrolled: 1-line block ×17, first 2 shown]
	v_mov_b32_e32 v4, 0x1000
	s_and_saveexec_b64 s[36:37], s[14:15]
; %bb.762:                              ;   in Loop: Header=BB1152_687 Depth=2
	ds_read_b32 v4, v98 offset:1060
; %bb.763:                              ;   in Loop: Header=BB1152_687 Depth=2
	s_or_b64 exec, exec, s[36:37]
	s_waitcnt lgkmcnt(0)
	s_barrier
	s_and_saveexec_b64 s[36:37], s[4:5]
	s_cbranch_execz .LBB1152_765
; %bb.764:                              ;   in Loop: Header=BB1152_687 Depth=2
	ds_read_b32 v199, v73
	s_waitcnt lgkmcnt(0)
	v_sub_u32_e32 v196, v199, v196
	ds_write_b32 v73, v196
.LBB1152_765:                           ;   in Loop: Header=BB1152_687 Depth=2
	s_or_b64 exec, exec, s[36:37]
	v_lshlrev_b32_e32 v176, 3, v176
	v_lshl_add_u32 v69, v69, 3, v176
	ds_write_b64 v69, v[37:38] offset:1024
	v_lshlrev_b32_e32 v37, 3, v179
	v_lshlrev_b32_e32 v38, 3, v177
	;; [unrolled: 1-line block ×3, first 2 shown]
	v_add3_u32 v70, v37, v38, v70
	ds_write_b64 v70, v[39:40] offset:1024
	v_lshlrev_b32_e32 v37, 3, v182
	v_lshlrev_b32_e32 v38, 3, v180
	v_lshlrev_b32_e32 v39, 3, v225
	v_add3_u32 v39, v37, v38, v39
	v_lshlrev_b32_e32 v37, 3, v185
	v_lshlrev_b32_e32 v38, 3, v183
	v_lshlrev_b32_e32 v40, 3, v224
	ds_write_b64 v39, v[45:46] offset:1024
	v_add3_u32 v40, v37, v38, v40
	v_lshlrev_b32_e32 v37, 3, v188
	v_lshlrev_b32_e32 v38, 3, v186
	v_lshlrev_b32_e32 v45, 3, v223
	v_add3_u32 v45, v37, v38, v45
	v_lshlrev_b32_e32 v37, 3, v191
	v_lshlrev_b32_e32 v38, 3, v189
	v_lshlrev_b32_e32 v46, 3, v222
	ds_write_b64 v40, v[49:50] offset:1024
	v_add3_u32 v46, v37, v38, v46
	;; [unrolled: 9-line block ×4, first 2 shown]
	v_lshlrev_b32_e32 v37, 3, v206
	v_lshlrev_b32_e32 v38, 3, v204
	;; [unrolled: 1-line block ×3, first 2 shown]
	v_add3_u32 v57, v37, v38, v57
	v_lshlrev_b32_e32 v37, 3, v209
	v_lshlrev_b32_e32 v38, 3, v207
	;; [unrolled: 1-line block ×3, first 2 shown]
	v_add3_u32 v58, v37, v38, v58
	ds_write_b64 v49, v[63:64] offset:1024
	ds_write_b64 v50, v[65:66] offset:1024
	;; [unrolled: 1-line block ×6, first 2 shown]
	v_lshlrev_b32_e32 v37, 3, v212
	v_lshlrev_b32_e32 v38, 3, v210
	v_lshlrev_b32_e32 v55, 3, v175
	v_add3_u32 v55, v37, v38, v55
	ds_write_b64 v55, v[51:52] offset:1024
	v_lshlrev_b32_e32 v37, 3, v215
	v_lshlrev_b32_e32 v38, 3, v213
	v_lshlrev_b32_e32 v51, 3, v174
	v_add3_u32 v51, v37, v38, v51
	ds_write_b64 v51, v[47:48] offset:1024
	v_lshlrev_b32_e32 v37, 3, v218
	v_lshlrev_b32_e32 v38, 3, v216
	v_lshlrev_b32_e32 v47, 3, v72
	v_add3_u32 v47, v37, v38, v47
	ds_write_b64 v47, v[41:42] offset:1024
	v_lshlrev_b32_e32 v37, 3, v221
	v_lshlrev_b32_e32 v38, 3, v219
	;; [unrolled: 1-line block ×3, first 2 shown]
	v_add3_u32 v41, v37, v38, v41
	v_cmp_lt_u32_e64 s[36:37], v0, v173
	ds_write_b64 v41, v[43:44] offset:1024
	s_waitcnt lgkmcnt(0)
	s_barrier
	s_and_saveexec_b64 s[38:39], s[36:37]
	s_cbranch_execnz .LBB1152_834
; %bb.766:                              ;   in Loop: Header=BB1152_687 Depth=2
	s_or_b64 exec, exec, s[38:39]
	v_cmp_lt_u32_e64 s[38:39], v74, v173
	s_and_saveexec_b64 s[40:41], s[38:39]
	s_cbranch_execnz .LBB1152_835
.LBB1152_767:                           ;   in Loop: Header=BB1152_687 Depth=2
	s_or_b64 exec, exec, s[40:41]
	v_cmp_lt_u32_e64 s[40:41], v75, v173
	s_and_saveexec_b64 s[42:43], s[40:41]
	s_cbranch_execnz .LBB1152_836
.LBB1152_768:                           ;   in Loop: Header=BB1152_687 Depth=2
	s_or_b64 exec, exec, s[42:43]
	v_cmp_lt_u32_e64 s[42:43], v76, v173
	s_and_saveexec_b64 s[44:45], s[42:43]
	s_cbranch_execnz .LBB1152_837
.LBB1152_769:                           ;   in Loop: Header=BB1152_687 Depth=2
	s_or_b64 exec, exec, s[44:45]
	v_cmp_lt_u32_e64 s[44:45], v79, v173
	s_and_saveexec_b64 s[46:47], s[44:45]
	s_cbranch_execnz .LBB1152_838
.LBB1152_770:                           ;   in Loop: Header=BB1152_687 Depth=2
	s_or_b64 exec, exec, s[46:47]
	v_cmp_lt_u32_e64 s[46:47], v80, v173
	s_and_saveexec_b64 s[48:49], s[46:47]
	s_cbranch_execnz .LBB1152_839
.LBB1152_771:                           ;   in Loop: Header=BB1152_687 Depth=2
	s_or_b64 exec, exec, s[48:49]
	v_cmp_lt_u32_e64 s[48:49], v81, v173
	s_and_saveexec_b64 s[50:51], s[48:49]
	s_cbranch_execnz .LBB1152_840
.LBB1152_772:                           ;   in Loop: Header=BB1152_687 Depth=2
	s_or_b64 exec, exec, s[50:51]
	v_cmp_lt_u32_e64 s[50:51], v82, v173
	s_and_saveexec_b64 s[52:53], s[50:51]
	s_cbranch_execnz .LBB1152_841
.LBB1152_773:                           ;   in Loop: Header=BB1152_687 Depth=2
	s_or_b64 exec, exec, s[52:53]
	v_cmp_lt_u32_e64 s[52:53], v83, v173
	s_and_saveexec_b64 s[54:55], s[52:53]
	s_cbranch_execnz .LBB1152_842
.LBB1152_774:                           ;   in Loop: Header=BB1152_687 Depth=2
	s_or_b64 exec, exec, s[54:55]
	v_cmp_lt_u32_e64 s[54:55], v84, v173
	s_and_saveexec_b64 s[56:57], s[54:55]
	s_cbranch_execnz .LBB1152_843
.LBB1152_775:                           ;   in Loop: Header=BB1152_687 Depth=2
	s_or_b64 exec, exec, s[56:57]
	v_cmp_lt_u32_e64 s[56:57], v85, v173
	s_and_saveexec_b64 s[58:59], s[56:57]
	s_cbranch_execnz .LBB1152_844
.LBB1152_776:                           ;   in Loop: Header=BB1152_687 Depth=2
	s_or_b64 exec, exec, s[58:59]
	v_cmp_lt_u32_e64 s[58:59], v86, v173
	s_and_saveexec_b64 s[60:61], s[58:59]
	s_cbranch_execnz .LBB1152_845
.LBB1152_777:                           ;   in Loop: Header=BB1152_687 Depth=2
	s_or_b64 exec, exec, s[60:61]
	v_cmp_lt_u32_e64 s[60:61], v87, v173
	s_and_saveexec_b64 s[62:63], s[60:61]
	s_cbranch_execnz .LBB1152_846
.LBB1152_778:                           ;   in Loop: Header=BB1152_687 Depth=2
	s_or_b64 exec, exec, s[62:63]
	v_cmp_lt_u32_e64 s[62:63], v88, v173
	s_and_saveexec_b64 s[64:65], s[62:63]
	s_cbranch_execnz .LBB1152_847
.LBB1152_779:                           ;   in Loop: Header=BB1152_687 Depth=2
	s_or_b64 exec, exec, s[64:65]
	v_cmp_lt_u32_e64 s[64:65], v89, v173
	s_and_saveexec_b64 s[66:67], s[64:65]
	s_cbranch_execnz .LBB1152_848
.LBB1152_780:                           ;   in Loop: Header=BB1152_687 Depth=2
	s_or_b64 exec, exec, s[66:67]
	v_cmp_lt_u32_e64 s[66:67], v90, v173
	s_and_saveexec_b64 s[92:93], s[66:67]
	s_cbranch_execz .LBB1152_782
.LBB1152_781:                           ;   in Loop: Header=BB1152_687 Depth=2
	ds_read_b64 v[37:38], v104 offset:31744
	v_mov_b32_e32 v43, v3
	v_mov_b32_e32 v44, s79
	s_waitcnt lgkmcnt(0)
	v_cmp_ne_u64_e32 vcc, s[72:73], v[37:38]
	v_ashrrev_i32_e32 v52, 31, v38
	v_cndmask_b32_e32 v60, v133, v38, vcc
	v_cndmask_b32_e32 v59, -1, v37, vcc
	v_lshrrev_b64 v[59:60], s88, v[59:60]
	v_cmp_gt_i64_e32 vcc, 0, v[37:38]
	v_and_b32_e32 v48, s96, v59
	v_lshlrev_b32_e32 v48, 2, v48
	ds_read_b32 v48, v48
	v_cndmask_b32_e64 v42, v133, 0, vcc
	v_xor_b32_e32 v38, v42, v38
	v_not_b32_e32 v52, v52
	v_xor_b32_e32 v37, v52, v37
	s_waitcnt lgkmcnt(0)
	v_add_u32_e32 v42, v48, v90
	v_lshlrev_b64 v[42:43], 3, v[42:43]
	v_add_co_u32_e32 v42, vcc, s78, v42
	v_addc_co_u32_e32 v43, vcc, v44, v43, vcc
	global_store_dwordx2 v[42:43], v[37:38], off
.LBB1152_782:                           ;   in Loop: Header=BB1152_687 Depth=2
	s_or_b64 exec, exec, s[92:93]
	s_mov_b32 s83, s72
	s_lshl_b64 s[82:83], s[82:83], 3
	v_mov_b32_e32 v38, s83
	v_add_co_u32_e32 v37, vcc, s82, v145
	v_addc_co_u32_e32 v38, vcc, v147, v38, vcc
	v_cmp_lt_u32_e32 vcc, v143, v173
	s_and_saveexec_b64 s[82:83], vcc
	s_xor_b64 s[82:83], exec, s[82:83]
	s_cbranch_execnz .LBB1152_849
; %bb.783:                              ;   in Loop: Header=BB1152_687 Depth=2
	s_or_b64 exec, exec, s[82:83]
	v_cmp_lt_u32_e32 vcc, v149, v173
	s_and_saveexec_b64 s[82:83], vcc
	s_cbranch_execnz .LBB1152_850
.LBB1152_784:                           ;   in Loop: Header=BB1152_687 Depth=2
	s_or_b64 exec, exec, s[82:83]
	v_cmp_lt_u32_e32 vcc, v151, v173
	s_and_saveexec_b64 s[82:83], vcc
	s_cbranch_execnz .LBB1152_851
.LBB1152_785:                           ;   in Loop: Header=BB1152_687 Depth=2
	s_or_b64 exec, exec, s[82:83]
	v_cmp_lt_u32_e32 vcc, v153, v173
	s_and_saveexec_b64 s[82:83], vcc
	s_cbranch_execnz .LBB1152_852
.LBB1152_786:                           ;   in Loop: Header=BB1152_687 Depth=2
	s_or_b64 exec, exec, s[82:83]
	v_cmp_lt_u32_e32 vcc, v155, v173
	s_and_saveexec_b64 s[82:83], vcc
	s_cbranch_execnz .LBB1152_853
.LBB1152_787:                           ;   in Loop: Header=BB1152_687 Depth=2
	s_or_b64 exec, exec, s[82:83]
	v_cmp_lt_u32_e32 vcc, v157, v173
	s_and_saveexec_b64 s[82:83], vcc
	s_cbranch_execnz .LBB1152_854
.LBB1152_788:                           ;   in Loop: Header=BB1152_687 Depth=2
	s_or_b64 exec, exec, s[82:83]
	v_cmp_lt_u32_e32 vcc, v159, v173
	s_and_saveexec_b64 s[82:83], vcc
	s_cbranch_execnz .LBB1152_855
.LBB1152_789:                           ;   in Loop: Header=BB1152_687 Depth=2
	s_or_b64 exec, exec, s[82:83]
	v_cmp_lt_u32_e32 vcc, v161, v173
	s_and_saveexec_b64 s[82:83], vcc
	s_cbranch_execnz .LBB1152_856
.LBB1152_790:                           ;   in Loop: Header=BB1152_687 Depth=2
	s_or_b64 exec, exec, s[82:83]
	v_cmp_lt_u32_e32 vcc, v162, v173
	s_and_saveexec_b64 s[82:83], vcc
	s_cbranch_execnz .LBB1152_857
.LBB1152_791:                           ;   in Loop: Header=BB1152_687 Depth=2
	s_or_b64 exec, exec, s[82:83]
	v_cmp_lt_u32_e32 vcc, v163, v173
	s_and_saveexec_b64 s[82:83], vcc
	s_cbranch_execnz .LBB1152_858
.LBB1152_792:                           ;   in Loop: Header=BB1152_687 Depth=2
	s_or_b64 exec, exec, s[82:83]
	v_cmp_lt_u32_e32 vcc, v164, v173
	s_and_saveexec_b64 s[82:83], vcc
	s_cbranch_execnz .LBB1152_859
.LBB1152_793:                           ;   in Loop: Header=BB1152_687 Depth=2
	s_or_b64 exec, exec, s[82:83]
	v_cmp_lt_u32_e32 vcc, v165, v173
	s_and_saveexec_b64 s[82:83], vcc
	s_cbranch_execnz .LBB1152_860
.LBB1152_794:                           ;   in Loop: Header=BB1152_687 Depth=2
	s_or_b64 exec, exec, s[82:83]
	v_cmp_lt_u32_e32 vcc, v166, v173
	s_and_saveexec_b64 s[82:83], vcc
	s_cbranch_execnz .LBB1152_861
.LBB1152_795:                           ;   in Loop: Header=BB1152_687 Depth=2
	s_or_b64 exec, exec, s[82:83]
	v_cmp_lt_u32_e32 vcc, v167, v173
	s_and_saveexec_b64 s[82:83], vcc
	s_cbranch_execnz .LBB1152_862
.LBB1152_796:                           ;   in Loop: Header=BB1152_687 Depth=2
	s_or_b64 exec, exec, s[82:83]
	v_cmp_lt_u32_e32 vcc, v168, v173
	s_and_saveexec_b64 s[82:83], vcc
	s_cbranch_execnz .LBB1152_863
.LBB1152_797:                           ;   in Loop: Header=BB1152_687 Depth=2
	s_or_b64 exec, exec, s[82:83]
	v_cmp_lt_u32_e32 vcc, v169, v173
	s_and_saveexec_b64 s[82:83], vcc
	s_cbranch_execnz .LBB1152_864
.LBB1152_798:                           ;   in Loop: Header=BB1152_687 Depth=2
	s_or_b64 exec, exec, s[82:83]
	s_and_saveexec_b64 s[82:83], s[36:37]
	s_cbranch_execnz .LBB1152_865
.LBB1152_799:                           ;   in Loop: Header=BB1152_687 Depth=2
	s_or_b64 exec, exec, s[82:83]
	s_and_saveexec_b64 s[82:83], s[38:39]
	s_cbranch_execnz .LBB1152_866
.LBB1152_800:                           ;   in Loop: Header=BB1152_687 Depth=2
	s_or_b64 exec, exec, s[82:83]
	s_and_saveexec_b64 s[82:83], s[40:41]
	s_cbranch_execnz .LBB1152_867
.LBB1152_801:                           ;   in Loop: Header=BB1152_687 Depth=2
	s_or_b64 exec, exec, s[82:83]
	s_and_saveexec_b64 s[82:83], s[42:43]
	s_cbranch_execnz .LBB1152_868
.LBB1152_802:                           ;   in Loop: Header=BB1152_687 Depth=2
	s_or_b64 exec, exec, s[82:83]
	s_and_saveexec_b64 s[82:83], s[44:45]
	s_cbranch_execnz .LBB1152_869
.LBB1152_803:                           ;   in Loop: Header=BB1152_687 Depth=2
	s_or_b64 exec, exec, s[82:83]
	s_and_saveexec_b64 s[82:83], s[46:47]
	s_cbranch_execnz .LBB1152_870
.LBB1152_804:                           ;   in Loop: Header=BB1152_687 Depth=2
	s_or_b64 exec, exec, s[82:83]
	s_and_saveexec_b64 s[82:83], s[48:49]
	s_cbranch_execnz .LBB1152_871
.LBB1152_805:                           ;   in Loop: Header=BB1152_687 Depth=2
	s_or_b64 exec, exec, s[82:83]
	s_and_saveexec_b64 s[82:83], s[50:51]
	s_cbranch_execnz .LBB1152_872
.LBB1152_806:                           ;   in Loop: Header=BB1152_687 Depth=2
	s_or_b64 exec, exec, s[82:83]
	s_and_saveexec_b64 s[82:83], s[52:53]
	s_cbranch_execnz .LBB1152_873
.LBB1152_807:                           ;   in Loop: Header=BB1152_687 Depth=2
	s_or_b64 exec, exec, s[82:83]
	s_and_saveexec_b64 s[82:83], s[54:55]
	s_cbranch_execnz .LBB1152_874
.LBB1152_808:                           ;   in Loop: Header=BB1152_687 Depth=2
	s_or_b64 exec, exec, s[82:83]
	s_and_saveexec_b64 s[82:83], s[56:57]
	s_cbranch_execnz .LBB1152_875
.LBB1152_809:                           ;   in Loop: Header=BB1152_687 Depth=2
	s_or_b64 exec, exec, s[82:83]
	s_and_saveexec_b64 s[82:83], s[58:59]
	s_cbranch_execnz .LBB1152_876
.LBB1152_810:                           ;   in Loop: Header=BB1152_687 Depth=2
	s_or_b64 exec, exec, s[82:83]
	s_and_saveexec_b64 s[82:83], s[60:61]
	s_cbranch_execnz .LBB1152_877
.LBB1152_811:                           ;   in Loop: Header=BB1152_687 Depth=2
	s_or_b64 exec, exec, s[82:83]
	s_and_saveexec_b64 s[82:83], s[62:63]
	s_cbranch_execnz .LBB1152_878
.LBB1152_812:                           ;   in Loop: Header=BB1152_687 Depth=2
	s_or_b64 exec, exec, s[82:83]
	s_and_saveexec_b64 s[82:83], s[64:65]
	s_cbranch_execnz .LBB1152_879
.LBB1152_813:                           ;   in Loop: Header=BB1152_687 Depth=2
	s_or_b64 exec, exec, s[82:83]
	s_and_saveexec_b64 s[82:83], s[66:67]
	s_cbranch_execz .LBB1152_815
.LBB1152_814:                           ;   in Loop: Header=BB1152_687 Depth=2
	ds_read_b64 v[37:38], v104 offset:31744
	s_waitcnt lgkmcnt(0)
	v_cmp_ne_u64_e32 vcc, s[72:73], v[37:38]
	v_cndmask_b32_e32 v38, v133, v38, vcc
	v_cndmask_b32_e32 v37, -1, v37, vcc
	v_lshrrev_b64 v[37:38], s88, v[37:38]
	v_and_b32_e32 v136, s96, v37
.LBB1152_815:                           ;   in Loop: Header=BB1152_687 Depth=2
	s_or_b64 exec, exec, s[82:83]
	s_waitcnt vmcnt(0)
	s_barrier
	ds_write_b64 v69, v[35:36] offset:1024
	ds_write_b64 v70, v[33:34] offset:1024
	;; [unrolled: 1-line block ×16, first 2 shown]
	s_waitcnt lgkmcnt(0)
	s_barrier
	s_and_saveexec_b64 s[82:83], s[36:37]
	s_cbranch_execnz .LBB1152_880
; %bb.816:                              ;   in Loop: Header=BB1152_687 Depth=2
	s_or_b64 exec, exec, s[82:83]
	s_and_saveexec_b64 s[36:37], s[38:39]
	s_cbranch_execnz .LBB1152_881
.LBB1152_817:                           ;   in Loop: Header=BB1152_687 Depth=2
	s_or_b64 exec, exec, s[36:37]
	s_and_saveexec_b64 s[36:37], s[40:41]
	s_cbranch_execnz .LBB1152_882
.LBB1152_818:                           ;   in Loop: Header=BB1152_687 Depth=2
	s_or_b64 exec, exec, s[36:37]
	s_and_saveexec_b64 s[36:37], s[42:43]
	s_cbranch_execnz .LBB1152_883
.LBB1152_819:                           ;   in Loop: Header=BB1152_687 Depth=2
	s_or_b64 exec, exec, s[36:37]
	s_and_saveexec_b64 s[36:37], s[44:45]
	s_cbranch_execnz .LBB1152_884
.LBB1152_820:                           ;   in Loop: Header=BB1152_687 Depth=2
	s_or_b64 exec, exec, s[36:37]
	s_and_saveexec_b64 s[36:37], s[46:47]
	s_cbranch_execnz .LBB1152_885
.LBB1152_821:                           ;   in Loop: Header=BB1152_687 Depth=2
	s_or_b64 exec, exec, s[36:37]
	s_and_saveexec_b64 s[36:37], s[48:49]
	s_cbranch_execnz .LBB1152_886
.LBB1152_822:                           ;   in Loop: Header=BB1152_687 Depth=2
	s_or_b64 exec, exec, s[36:37]
	s_and_saveexec_b64 s[36:37], s[50:51]
	s_cbranch_execnz .LBB1152_887
.LBB1152_823:                           ;   in Loop: Header=BB1152_687 Depth=2
	s_or_b64 exec, exec, s[36:37]
	s_and_saveexec_b64 s[36:37], s[52:53]
	s_cbranch_execnz .LBB1152_888
.LBB1152_824:                           ;   in Loop: Header=BB1152_687 Depth=2
	s_or_b64 exec, exec, s[36:37]
	s_and_saveexec_b64 s[36:37], s[54:55]
	s_cbranch_execnz .LBB1152_889
.LBB1152_825:                           ;   in Loop: Header=BB1152_687 Depth=2
	s_or_b64 exec, exec, s[36:37]
	s_and_saveexec_b64 s[36:37], s[56:57]
	s_cbranch_execnz .LBB1152_890
.LBB1152_826:                           ;   in Loop: Header=BB1152_687 Depth=2
	s_or_b64 exec, exec, s[36:37]
	s_and_saveexec_b64 s[36:37], s[58:59]
	s_cbranch_execnz .LBB1152_891
.LBB1152_827:                           ;   in Loop: Header=BB1152_687 Depth=2
	s_or_b64 exec, exec, s[36:37]
	s_and_saveexec_b64 s[36:37], s[60:61]
	s_cbranch_execnz .LBB1152_892
.LBB1152_828:                           ;   in Loop: Header=BB1152_687 Depth=2
	s_or_b64 exec, exec, s[36:37]
	s_and_saveexec_b64 s[36:37], s[62:63]
	s_cbranch_execnz .LBB1152_893
.LBB1152_829:                           ;   in Loop: Header=BB1152_687 Depth=2
	s_or_b64 exec, exec, s[36:37]
	s_and_saveexec_b64 s[36:37], s[64:65]
	s_cbranch_execnz .LBB1152_894
.LBB1152_830:                           ;   in Loop: Header=BB1152_687 Depth=2
	s_or_b64 exec, exec, s[36:37]
	s_and_saveexec_b64 s[36:37], s[66:67]
	s_cbranch_execz .LBB1152_832
.LBB1152_831:                           ;   in Loop: Header=BB1152_687 Depth=2
	v_lshlrev_b32_e32 v37, 2, v136
	ds_read_b32 v39, v37
	ds_read_b64 v[37:38], v104 offset:31744
	v_mov_b32_e32 v40, v3
	v_mov_b32_e32 v41, s85
	s_waitcnt lgkmcnt(1)
	v_add_u32_e32 v39, v39, v90
	v_lshlrev_b64 v[39:40], 3, v[39:40]
	v_add_co_u32_e32 v39, vcc, s84, v39
	v_addc_co_u32_e32 v40, vcc, v41, v40, vcc
	s_waitcnt lgkmcnt(0)
	global_store_dwordx2 v[39:40], v[37:38], off
.LBB1152_832:                           ;   in Loop: Header=BB1152_687 Depth=2
	s_or_b64 exec, exec, s[36:37]
	s_waitcnt vmcnt(0)
	s_barrier
	s_and_saveexec_b64 s[36:37], s[4:5]
	s_cbranch_execz .LBB1152_686
; %bb.833:                              ;   in Loop: Header=BB1152_687 Depth=2
	ds_read_b32 v37, v73
	s_waitcnt lgkmcnt(0)
	v_add_u32_e32 v4, v37, v4
	ds_write_b32 v73, v4
	s_branch .LBB1152_686
.LBB1152_834:                           ;   in Loop: Header=BB1152_687 Depth=2
	ds_read_b64 v[37:38], v104 offset:1024
	v_mov_b32_e32 v43, v3
	v_mov_b32_e32 v44, s79
	s_waitcnt lgkmcnt(0)
	v_cmp_ne_u64_e32 vcc, s[72:73], v[37:38]
	v_ashrrev_i32_e32 v52, 31, v38
	v_cndmask_b32_e32 v60, v133, v38, vcc
	v_cndmask_b32_e32 v59, -1, v37, vcc
	v_lshrrev_b64 v[59:60], s88, v[59:60]
	v_cmp_gt_i64_e32 vcc, 0, v[37:38]
	v_and_b32_e32 v48, s96, v59
	v_lshlrev_b32_e32 v48, 2, v48
	ds_read_b32 v48, v48
	v_cndmask_b32_e64 v42, v133, 0, vcc
	v_xor_b32_e32 v38, v42, v38
	v_not_b32_e32 v52, v52
	v_xor_b32_e32 v37, v52, v37
	s_waitcnt lgkmcnt(0)
	v_add_u32_e32 v42, v48, v0
	v_lshlrev_b64 v[42:43], 3, v[42:43]
	v_add_co_u32_e32 v42, vcc, s78, v42
	v_addc_co_u32_e32 v43, vcc, v44, v43, vcc
	global_store_dwordx2 v[42:43], v[37:38], off
	s_or_b64 exec, exec, s[38:39]
	v_cmp_lt_u32_e64 s[38:39], v74, v173
	s_and_saveexec_b64 s[40:41], s[38:39]
	s_cbranch_execz .LBB1152_767
.LBB1152_835:                           ;   in Loop: Header=BB1152_687 Depth=2
	ds_read_b64 v[37:38], v104 offset:3072
	v_mov_b32_e32 v43, v3
	v_mov_b32_e32 v44, s79
	s_waitcnt lgkmcnt(0)
	v_cmp_ne_u64_e32 vcc, s[72:73], v[37:38]
	v_ashrrev_i32_e32 v52, 31, v38
	v_cndmask_b32_e32 v60, v133, v38, vcc
	v_cndmask_b32_e32 v59, -1, v37, vcc
	v_lshrrev_b64 v[59:60], s88, v[59:60]
	v_cmp_gt_i64_e32 vcc, 0, v[37:38]
	v_and_b32_e32 v48, s96, v59
	v_lshlrev_b32_e32 v48, 2, v48
	ds_read_b32 v48, v48
	v_cndmask_b32_e64 v42, v133, 0, vcc
	v_xor_b32_e32 v38, v42, v38
	v_not_b32_e32 v52, v52
	v_xor_b32_e32 v37, v52, v37
	s_waitcnt lgkmcnt(0)
	v_add_u32_e32 v42, v48, v74
	v_lshlrev_b64 v[42:43], 3, v[42:43]
	v_add_co_u32_e32 v42, vcc, s78, v42
	v_addc_co_u32_e32 v43, vcc, v44, v43, vcc
	global_store_dwordx2 v[42:43], v[37:38], off
	s_or_b64 exec, exec, s[40:41]
	v_cmp_lt_u32_e64 s[40:41], v75, v173
	s_and_saveexec_b64 s[42:43], s[40:41]
	s_cbranch_execz .LBB1152_768
.LBB1152_836:                           ;   in Loop: Header=BB1152_687 Depth=2
	ds_read_b64 v[37:38], v104 offset:5120
	v_mov_b32_e32 v43, v3
	v_mov_b32_e32 v44, s79
	s_waitcnt lgkmcnt(0)
	v_cmp_ne_u64_e32 vcc, s[72:73], v[37:38]
	v_ashrrev_i32_e32 v52, 31, v38
	v_cndmask_b32_e32 v60, v133, v38, vcc
	v_cndmask_b32_e32 v59, -1, v37, vcc
	v_lshrrev_b64 v[59:60], s88, v[59:60]
	v_cmp_gt_i64_e32 vcc, 0, v[37:38]
	v_and_b32_e32 v48, s96, v59
	v_lshlrev_b32_e32 v48, 2, v48
	ds_read_b32 v48, v48
	v_cndmask_b32_e64 v42, v133, 0, vcc
	v_xor_b32_e32 v38, v42, v38
	v_not_b32_e32 v52, v52
	v_xor_b32_e32 v37, v52, v37
	s_waitcnt lgkmcnt(0)
	v_add_u32_e32 v42, v48, v75
	v_lshlrev_b64 v[42:43], 3, v[42:43]
	v_add_co_u32_e32 v42, vcc, s78, v42
	v_addc_co_u32_e32 v43, vcc, v44, v43, vcc
	global_store_dwordx2 v[42:43], v[37:38], off
	s_or_b64 exec, exec, s[42:43]
	v_cmp_lt_u32_e64 s[42:43], v76, v173
	s_and_saveexec_b64 s[44:45], s[42:43]
	s_cbranch_execz .LBB1152_769
.LBB1152_837:                           ;   in Loop: Header=BB1152_687 Depth=2
	ds_read_b64 v[37:38], v104 offset:7168
	v_mov_b32_e32 v43, v3
	v_mov_b32_e32 v44, s79
	s_waitcnt lgkmcnt(0)
	v_cmp_ne_u64_e32 vcc, s[72:73], v[37:38]
	v_ashrrev_i32_e32 v52, 31, v38
	v_cndmask_b32_e32 v60, v133, v38, vcc
	v_cndmask_b32_e32 v59, -1, v37, vcc
	v_lshrrev_b64 v[59:60], s88, v[59:60]
	v_cmp_gt_i64_e32 vcc, 0, v[37:38]
	v_and_b32_e32 v48, s96, v59
	v_lshlrev_b32_e32 v48, 2, v48
	ds_read_b32 v48, v48
	v_cndmask_b32_e64 v42, v133, 0, vcc
	v_xor_b32_e32 v38, v42, v38
	v_not_b32_e32 v52, v52
	v_xor_b32_e32 v37, v52, v37
	s_waitcnt lgkmcnt(0)
	v_add_u32_e32 v42, v48, v76
	v_lshlrev_b64 v[42:43], 3, v[42:43]
	v_add_co_u32_e32 v42, vcc, s78, v42
	v_addc_co_u32_e32 v43, vcc, v44, v43, vcc
	global_store_dwordx2 v[42:43], v[37:38], off
	s_or_b64 exec, exec, s[44:45]
	v_cmp_lt_u32_e64 s[44:45], v79, v173
	s_and_saveexec_b64 s[46:47], s[44:45]
	s_cbranch_execz .LBB1152_770
.LBB1152_838:                           ;   in Loop: Header=BB1152_687 Depth=2
	ds_read_b64 v[37:38], v104 offset:9216
	v_mov_b32_e32 v43, v3
	v_mov_b32_e32 v44, s79
	s_waitcnt lgkmcnt(0)
	v_cmp_ne_u64_e32 vcc, s[72:73], v[37:38]
	v_ashrrev_i32_e32 v52, 31, v38
	v_cndmask_b32_e32 v60, v133, v38, vcc
	v_cndmask_b32_e32 v59, -1, v37, vcc
	v_lshrrev_b64 v[59:60], s88, v[59:60]
	v_cmp_gt_i64_e32 vcc, 0, v[37:38]
	v_and_b32_e32 v48, s96, v59
	v_lshlrev_b32_e32 v48, 2, v48
	ds_read_b32 v48, v48
	v_cndmask_b32_e64 v42, v133, 0, vcc
	v_xor_b32_e32 v38, v42, v38
	v_not_b32_e32 v52, v52
	v_xor_b32_e32 v37, v52, v37
	s_waitcnt lgkmcnt(0)
	v_add_u32_e32 v42, v48, v79
	v_lshlrev_b64 v[42:43], 3, v[42:43]
	v_add_co_u32_e32 v42, vcc, s78, v42
	v_addc_co_u32_e32 v43, vcc, v44, v43, vcc
	global_store_dwordx2 v[42:43], v[37:38], off
	s_or_b64 exec, exec, s[46:47]
	v_cmp_lt_u32_e64 s[46:47], v80, v173
	s_and_saveexec_b64 s[48:49], s[46:47]
	s_cbranch_execz .LBB1152_771
.LBB1152_839:                           ;   in Loop: Header=BB1152_687 Depth=2
	ds_read_b64 v[37:38], v104 offset:11264
	v_mov_b32_e32 v43, v3
	v_mov_b32_e32 v44, s79
	s_waitcnt lgkmcnt(0)
	v_cmp_ne_u64_e32 vcc, s[72:73], v[37:38]
	v_ashrrev_i32_e32 v52, 31, v38
	v_cndmask_b32_e32 v60, v133, v38, vcc
	v_cndmask_b32_e32 v59, -1, v37, vcc
	v_lshrrev_b64 v[59:60], s88, v[59:60]
	v_cmp_gt_i64_e32 vcc, 0, v[37:38]
	v_and_b32_e32 v48, s96, v59
	v_lshlrev_b32_e32 v48, 2, v48
	ds_read_b32 v48, v48
	v_cndmask_b32_e64 v42, v133, 0, vcc
	v_xor_b32_e32 v38, v42, v38
	v_not_b32_e32 v52, v52
	v_xor_b32_e32 v37, v52, v37
	s_waitcnt lgkmcnt(0)
	v_add_u32_e32 v42, v48, v80
	v_lshlrev_b64 v[42:43], 3, v[42:43]
	v_add_co_u32_e32 v42, vcc, s78, v42
	v_addc_co_u32_e32 v43, vcc, v44, v43, vcc
	global_store_dwordx2 v[42:43], v[37:38], off
	s_or_b64 exec, exec, s[48:49]
	v_cmp_lt_u32_e64 s[48:49], v81, v173
	s_and_saveexec_b64 s[50:51], s[48:49]
	s_cbranch_execz .LBB1152_772
.LBB1152_840:                           ;   in Loop: Header=BB1152_687 Depth=2
	ds_read_b64 v[37:38], v104 offset:13312
	v_mov_b32_e32 v43, v3
	v_mov_b32_e32 v44, s79
	s_waitcnt lgkmcnt(0)
	v_cmp_ne_u64_e32 vcc, s[72:73], v[37:38]
	v_ashrrev_i32_e32 v52, 31, v38
	v_cndmask_b32_e32 v60, v133, v38, vcc
	v_cndmask_b32_e32 v59, -1, v37, vcc
	v_lshrrev_b64 v[59:60], s88, v[59:60]
	v_cmp_gt_i64_e32 vcc, 0, v[37:38]
	v_and_b32_e32 v48, s96, v59
	v_lshlrev_b32_e32 v48, 2, v48
	ds_read_b32 v48, v48
	v_cndmask_b32_e64 v42, v133, 0, vcc
	v_xor_b32_e32 v38, v42, v38
	v_not_b32_e32 v52, v52
	v_xor_b32_e32 v37, v52, v37
	s_waitcnt lgkmcnt(0)
	v_add_u32_e32 v42, v48, v81
	v_lshlrev_b64 v[42:43], 3, v[42:43]
	v_add_co_u32_e32 v42, vcc, s78, v42
	v_addc_co_u32_e32 v43, vcc, v44, v43, vcc
	global_store_dwordx2 v[42:43], v[37:38], off
	s_or_b64 exec, exec, s[50:51]
	v_cmp_lt_u32_e64 s[50:51], v82, v173
	s_and_saveexec_b64 s[52:53], s[50:51]
	s_cbranch_execz .LBB1152_773
.LBB1152_841:                           ;   in Loop: Header=BB1152_687 Depth=2
	ds_read_b64 v[37:38], v104 offset:15360
	v_mov_b32_e32 v43, v3
	v_mov_b32_e32 v44, s79
	s_waitcnt lgkmcnt(0)
	v_cmp_ne_u64_e32 vcc, s[72:73], v[37:38]
	v_ashrrev_i32_e32 v52, 31, v38
	v_cndmask_b32_e32 v60, v133, v38, vcc
	v_cndmask_b32_e32 v59, -1, v37, vcc
	v_lshrrev_b64 v[59:60], s88, v[59:60]
	v_cmp_gt_i64_e32 vcc, 0, v[37:38]
	v_and_b32_e32 v48, s96, v59
	v_lshlrev_b32_e32 v48, 2, v48
	ds_read_b32 v48, v48
	v_cndmask_b32_e64 v42, v133, 0, vcc
	v_xor_b32_e32 v38, v42, v38
	v_not_b32_e32 v52, v52
	v_xor_b32_e32 v37, v52, v37
	s_waitcnt lgkmcnt(0)
	v_add_u32_e32 v42, v48, v82
	v_lshlrev_b64 v[42:43], 3, v[42:43]
	v_add_co_u32_e32 v42, vcc, s78, v42
	v_addc_co_u32_e32 v43, vcc, v44, v43, vcc
	global_store_dwordx2 v[42:43], v[37:38], off
	s_or_b64 exec, exec, s[52:53]
	v_cmp_lt_u32_e64 s[52:53], v83, v173
	s_and_saveexec_b64 s[54:55], s[52:53]
	s_cbranch_execz .LBB1152_774
.LBB1152_842:                           ;   in Loop: Header=BB1152_687 Depth=2
	ds_read_b64 v[37:38], v104 offset:17408
	v_mov_b32_e32 v43, v3
	v_mov_b32_e32 v44, s79
	s_waitcnt lgkmcnt(0)
	v_cmp_ne_u64_e32 vcc, s[72:73], v[37:38]
	v_ashrrev_i32_e32 v52, 31, v38
	v_cndmask_b32_e32 v60, v133, v38, vcc
	v_cndmask_b32_e32 v59, -1, v37, vcc
	v_lshrrev_b64 v[59:60], s88, v[59:60]
	v_cmp_gt_i64_e32 vcc, 0, v[37:38]
	v_and_b32_e32 v48, s96, v59
	v_lshlrev_b32_e32 v48, 2, v48
	ds_read_b32 v48, v48
	v_cndmask_b32_e64 v42, v133, 0, vcc
	v_xor_b32_e32 v38, v42, v38
	v_not_b32_e32 v52, v52
	v_xor_b32_e32 v37, v52, v37
	s_waitcnt lgkmcnt(0)
	v_add_u32_e32 v42, v48, v83
	v_lshlrev_b64 v[42:43], 3, v[42:43]
	v_add_co_u32_e32 v42, vcc, s78, v42
	v_addc_co_u32_e32 v43, vcc, v44, v43, vcc
	global_store_dwordx2 v[42:43], v[37:38], off
	s_or_b64 exec, exec, s[54:55]
	v_cmp_lt_u32_e64 s[54:55], v84, v173
	s_and_saveexec_b64 s[56:57], s[54:55]
	s_cbranch_execz .LBB1152_775
.LBB1152_843:                           ;   in Loop: Header=BB1152_687 Depth=2
	ds_read_b64 v[37:38], v104 offset:19456
	v_mov_b32_e32 v43, v3
	v_mov_b32_e32 v44, s79
	s_waitcnt lgkmcnt(0)
	v_cmp_ne_u64_e32 vcc, s[72:73], v[37:38]
	v_ashrrev_i32_e32 v52, 31, v38
	v_cndmask_b32_e32 v60, v133, v38, vcc
	v_cndmask_b32_e32 v59, -1, v37, vcc
	v_lshrrev_b64 v[59:60], s88, v[59:60]
	v_cmp_gt_i64_e32 vcc, 0, v[37:38]
	v_and_b32_e32 v48, s96, v59
	v_lshlrev_b32_e32 v48, 2, v48
	ds_read_b32 v48, v48
	v_cndmask_b32_e64 v42, v133, 0, vcc
	v_xor_b32_e32 v38, v42, v38
	v_not_b32_e32 v52, v52
	v_xor_b32_e32 v37, v52, v37
	s_waitcnt lgkmcnt(0)
	v_add_u32_e32 v42, v48, v84
	v_lshlrev_b64 v[42:43], 3, v[42:43]
	v_add_co_u32_e32 v42, vcc, s78, v42
	v_addc_co_u32_e32 v43, vcc, v44, v43, vcc
	global_store_dwordx2 v[42:43], v[37:38], off
	s_or_b64 exec, exec, s[56:57]
	v_cmp_lt_u32_e64 s[56:57], v85, v173
	s_and_saveexec_b64 s[58:59], s[56:57]
	s_cbranch_execz .LBB1152_776
.LBB1152_844:                           ;   in Loop: Header=BB1152_687 Depth=2
	ds_read_b64 v[37:38], v104 offset:21504
	v_mov_b32_e32 v43, v3
	v_mov_b32_e32 v44, s79
	s_waitcnt lgkmcnt(0)
	v_cmp_ne_u64_e32 vcc, s[72:73], v[37:38]
	v_ashrrev_i32_e32 v52, 31, v38
	v_cndmask_b32_e32 v60, v133, v38, vcc
	v_cndmask_b32_e32 v59, -1, v37, vcc
	v_lshrrev_b64 v[59:60], s88, v[59:60]
	v_cmp_gt_i64_e32 vcc, 0, v[37:38]
	v_and_b32_e32 v48, s96, v59
	v_lshlrev_b32_e32 v48, 2, v48
	ds_read_b32 v48, v48
	v_cndmask_b32_e64 v42, v133, 0, vcc
	v_xor_b32_e32 v38, v42, v38
	v_not_b32_e32 v52, v52
	v_xor_b32_e32 v37, v52, v37
	s_waitcnt lgkmcnt(0)
	v_add_u32_e32 v42, v48, v85
	v_lshlrev_b64 v[42:43], 3, v[42:43]
	v_add_co_u32_e32 v42, vcc, s78, v42
	v_addc_co_u32_e32 v43, vcc, v44, v43, vcc
	global_store_dwordx2 v[42:43], v[37:38], off
	s_or_b64 exec, exec, s[58:59]
	v_cmp_lt_u32_e64 s[58:59], v86, v173
	s_and_saveexec_b64 s[60:61], s[58:59]
	s_cbranch_execz .LBB1152_777
.LBB1152_845:                           ;   in Loop: Header=BB1152_687 Depth=2
	ds_read_b64 v[37:38], v104 offset:23552
	v_mov_b32_e32 v43, v3
	v_mov_b32_e32 v44, s79
	s_waitcnt lgkmcnt(0)
	v_cmp_ne_u64_e32 vcc, s[72:73], v[37:38]
	v_ashrrev_i32_e32 v52, 31, v38
	v_cndmask_b32_e32 v60, v133, v38, vcc
	v_cndmask_b32_e32 v59, -1, v37, vcc
	v_lshrrev_b64 v[59:60], s88, v[59:60]
	v_cmp_gt_i64_e32 vcc, 0, v[37:38]
	v_and_b32_e32 v48, s96, v59
	v_lshlrev_b32_e32 v48, 2, v48
	ds_read_b32 v48, v48
	v_cndmask_b32_e64 v42, v133, 0, vcc
	v_xor_b32_e32 v38, v42, v38
	v_not_b32_e32 v52, v52
	v_xor_b32_e32 v37, v52, v37
	s_waitcnt lgkmcnt(0)
	v_add_u32_e32 v42, v48, v86
	v_lshlrev_b64 v[42:43], 3, v[42:43]
	v_add_co_u32_e32 v42, vcc, s78, v42
	v_addc_co_u32_e32 v43, vcc, v44, v43, vcc
	global_store_dwordx2 v[42:43], v[37:38], off
	s_or_b64 exec, exec, s[60:61]
	v_cmp_lt_u32_e64 s[60:61], v87, v173
	s_and_saveexec_b64 s[62:63], s[60:61]
	s_cbranch_execz .LBB1152_778
.LBB1152_846:                           ;   in Loop: Header=BB1152_687 Depth=2
	ds_read_b64 v[37:38], v104 offset:25600
	v_mov_b32_e32 v43, v3
	v_mov_b32_e32 v44, s79
	s_waitcnt lgkmcnt(0)
	v_cmp_ne_u64_e32 vcc, s[72:73], v[37:38]
	v_ashrrev_i32_e32 v52, 31, v38
	v_cndmask_b32_e32 v60, v133, v38, vcc
	v_cndmask_b32_e32 v59, -1, v37, vcc
	v_lshrrev_b64 v[59:60], s88, v[59:60]
	v_cmp_gt_i64_e32 vcc, 0, v[37:38]
	v_and_b32_e32 v48, s96, v59
	v_lshlrev_b32_e32 v48, 2, v48
	ds_read_b32 v48, v48
	v_cndmask_b32_e64 v42, v133, 0, vcc
	v_xor_b32_e32 v38, v42, v38
	v_not_b32_e32 v52, v52
	v_xor_b32_e32 v37, v52, v37
	s_waitcnt lgkmcnt(0)
	v_add_u32_e32 v42, v48, v87
	v_lshlrev_b64 v[42:43], 3, v[42:43]
	v_add_co_u32_e32 v42, vcc, s78, v42
	v_addc_co_u32_e32 v43, vcc, v44, v43, vcc
	global_store_dwordx2 v[42:43], v[37:38], off
	s_or_b64 exec, exec, s[62:63]
	v_cmp_lt_u32_e64 s[62:63], v88, v173
	s_and_saveexec_b64 s[64:65], s[62:63]
	s_cbranch_execz .LBB1152_779
.LBB1152_847:                           ;   in Loop: Header=BB1152_687 Depth=2
	ds_read_b64 v[37:38], v104 offset:27648
	v_mov_b32_e32 v43, v3
	v_mov_b32_e32 v44, s79
	s_waitcnt lgkmcnt(0)
	v_cmp_ne_u64_e32 vcc, s[72:73], v[37:38]
	v_ashrrev_i32_e32 v52, 31, v38
	v_cndmask_b32_e32 v60, v133, v38, vcc
	v_cndmask_b32_e32 v59, -1, v37, vcc
	v_lshrrev_b64 v[59:60], s88, v[59:60]
	v_cmp_gt_i64_e32 vcc, 0, v[37:38]
	v_and_b32_e32 v48, s96, v59
	v_lshlrev_b32_e32 v48, 2, v48
	ds_read_b32 v48, v48
	v_cndmask_b32_e64 v42, v133, 0, vcc
	v_xor_b32_e32 v38, v42, v38
	v_not_b32_e32 v52, v52
	v_xor_b32_e32 v37, v52, v37
	s_waitcnt lgkmcnt(0)
	v_add_u32_e32 v42, v48, v88
	v_lshlrev_b64 v[42:43], 3, v[42:43]
	v_add_co_u32_e32 v42, vcc, s78, v42
	v_addc_co_u32_e32 v43, vcc, v44, v43, vcc
	global_store_dwordx2 v[42:43], v[37:38], off
	s_or_b64 exec, exec, s[64:65]
	v_cmp_lt_u32_e64 s[64:65], v89, v173
	s_and_saveexec_b64 s[66:67], s[64:65]
	s_cbranch_execz .LBB1152_780
.LBB1152_848:                           ;   in Loop: Header=BB1152_687 Depth=2
	ds_read_b64 v[37:38], v104 offset:29696
	v_mov_b32_e32 v43, v3
	v_mov_b32_e32 v44, s79
	s_waitcnt lgkmcnt(0)
	v_cmp_ne_u64_e32 vcc, s[72:73], v[37:38]
	v_ashrrev_i32_e32 v52, 31, v38
	v_cndmask_b32_e32 v60, v133, v38, vcc
	v_cndmask_b32_e32 v59, -1, v37, vcc
	v_lshrrev_b64 v[59:60], s88, v[59:60]
	v_cmp_gt_i64_e32 vcc, 0, v[37:38]
	v_and_b32_e32 v48, s96, v59
	v_lshlrev_b32_e32 v48, 2, v48
	ds_read_b32 v48, v48
	v_cndmask_b32_e64 v42, v133, 0, vcc
	v_xor_b32_e32 v38, v42, v38
	v_not_b32_e32 v52, v52
	v_xor_b32_e32 v37, v52, v37
	s_waitcnt lgkmcnt(0)
	v_add_u32_e32 v42, v48, v89
	v_lshlrev_b64 v[42:43], 3, v[42:43]
	v_add_co_u32_e32 v42, vcc, s78, v42
	v_addc_co_u32_e32 v43, vcc, v44, v43, vcc
	global_store_dwordx2 v[42:43], v[37:38], off
	s_or_b64 exec, exec, s[66:67]
	v_cmp_lt_u32_e64 s[66:67], v90, v173
	s_and_saveexec_b64 s[92:93], s[66:67]
	s_cbranch_execnz .LBB1152_781
	s_branch .LBB1152_782
.LBB1152_849:                           ;   in Loop: Header=BB1152_687 Depth=2
	global_load_dwordx2 v[35:36], v[37:38], off
	s_or_b64 exec, exec, s[82:83]
	v_cmp_lt_u32_e32 vcc, v149, v173
	s_and_saveexec_b64 s[82:83], vcc
	s_cbranch_execz .LBB1152_784
.LBB1152_850:                           ;   in Loop: Header=BB1152_687 Depth=2
	global_load_dwordx2 v[33:34], v[37:38], off offset:512
	s_or_b64 exec, exec, s[82:83]
	v_cmp_lt_u32_e32 vcc, v151, v173
	s_and_saveexec_b64 s[82:83], vcc
	s_cbranch_execz .LBB1152_785
.LBB1152_851:                           ;   in Loop: Header=BB1152_687 Depth=2
	global_load_dwordx2 v[31:32], v[37:38], off offset:1024
	s_or_b64 exec, exec, s[82:83]
	v_cmp_lt_u32_e32 vcc, v153, v173
	s_and_saveexec_b64 s[82:83], vcc
	s_cbranch_execz .LBB1152_786
.LBB1152_852:                           ;   in Loop: Header=BB1152_687 Depth=2
	global_load_dwordx2 v[27:28], v[37:38], off offset:1536
	s_or_b64 exec, exec, s[82:83]
	v_cmp_lt_u32_e32 vcc, v155, v173
	s_and_saveexec_b64 s[82:83], vcc
	s_cbranch_execz .LBB1152_787
.LBB1152_853:                           ;   in Loop: Header=BB1152_687 Depth=2
	global_load_dwordx2 v[23:24], v[37:38], off offset:2048
	s_or_b64 exec, exec, s[82:83]
	v_cmp_lt_u32_e32 vcc, v157, v173
	s_and_saveexec_b64 s[82:83], vcc
	s_cbranch_execz .LBB1152_788
.LBB1152_854:                           ;   in Loop: Header=BB1152_687 Depth=2
	global_load_dwordx2 v[19:20], v[37:38], off offset:2560
	s_or_b64 exec, exec, s[82:83]
	v_cmp_lt_u32_e32 vcc, v159, v173
	s_and_saveexec_b64 s[82:83], vcc
	s_cbranch_execz .LBB1152_789
.LBB1152_855:                           ;   in Loop: Header=BB1152_687 Depth=2
	global_load_dwordx2 v[15:16], v[37:38], off offset:3072
	s_or_b64 exec, exec, s[82:83]
	v_cmp_lt_u32_e32 vcc, v161, v173
	s_and_saveexec_b64 s[82:83], vcc
	s_cbranch_execz .LBB1152_790
.LBB1152_856:                           ;   in Loop: Header=BB1152_687 Depth=2
	global_load_dwordx2 v[11:12], v[37:38], off offset:3584
	s_or_b64 exec, exec, s[82:83]
	v_cmp_lt_u32_e32 vcc, v162, v173
	s_and_saveexec_b64 s[82:83], vcc
	s_cbranch_execz .LBB1152_791
.LBB1152_857:                           ;   in Loop: Header=BB1152_687 Depth=2
	v_add_co_u32_e32 v29, vcc, 0x1000, v37
	v_addc_co_u32_e32 v30, vcc, 0, v38, vcc
	global_load_dwordx2 v[29:30], v[29:30], off
	s_or_b64 exec, exec, s[82:83]
	v_cmp_lt_u32_e32 vcc, v163, v173
	s_and_saveexec_b64 s[82:83], vcc
	s_cbranch_execz .LBB1152_792
.LBB1152_858:                           ;   in Loop: Header=BB1152_687 Depth=2
	v_add_co_u32_e32 v25, vcc, 0x1000, v37
	v_addc_co_u32_e32 v26, vcc, 0, v38, vcc
	global_load_dwordx2 v[25:26], v[25:26], off offset:512
	s_or_b64 exec, exec, s[82:83]
	v_cmp_lt_u32_e32 vcc, v164, v173
	s_and_saveexec_b64 s[82:83], vcc
	s_cbranch_execz .LBB1152_793
.LBB1152_859:                           ;   in Loop: Header=BB1152_687 Depth=2
	v_add_co_u32_e32 v21, vcc, 0x1000, v37
	v_addc_co_u32_e32 v22, vcc, 0, v38, vcc
	global_load_dwordx2 v[21:22], v[21:22], off offset:1024
	s_or_b64 exec, exec, s[82:83]
	v_cmp_lt_u32_e32 vcc, v165, v173
	s_and_saveexec_b64 s[82:83], vcc
	s_cbranch_execz .LBB1152_794
.LBB1152_860:                           ;   in Loop: Header=BB1152_687 Depth=2
	v_add_co_u32_e32 v17, vcc, 0x1000, v37
	v_addc_co_u32_e32 v18, vcc, 0, v38, vcc
	global_load_dwordx2 v[17:18], v[17:18], off offset:1536
	s_or_b64 exec, exec, s[82:83]
	v_cmp_lt_u32_e32 vcc, v166, v173
	s_and_saveexec_b64 s[82:83], vcc
	s_cbranch_execz .LBB1152_795
.LBB1152_861:                           ;   in Loop: Header=BB1152_687 Depth=2
	v_add_co_u32_e32 v13, vcc, 0x1000, v37
	v_addc_co_u32_e32 v14, vcc, 0, v38, vcc
	global_load_dwordx2 v[13:14], v[13:14], off offset:2048
	s_or_b64 exec, exec, s[82:83]
	v_cmp_lt_u32_e32 vcc, v167, v173
	s_and_saveexec_b64 s[82:83], vcc
	s_cbranch_execz .LBB1152_796
.LBB1152_862:                           ;   in Loop: Header=BB1152_687 Depth=2
	v_add_co_u32_e32 v9, vcc, 0x1000, v37
	v_addc_co_u32_e32 v10, vcc, 0, v38, vcc
	global_load_dwordx2 v[9:10], v[9:10], off offset:2560
	s_or_b64 exec, exec, s[82:83]
	v_cmp_lt_u32_e32 vcc, v168, v173
	s_and_saveexec_b64 s[82:83], vcc
	s_cbranch_execz .LBB1152_797
.LBB1152_863:                           ;   in Loop: Header=BB1152_687 Depth=2
	v_add_co_u32_e32 v7, vcc, 0x1000, v37
	v_addc_co_u32_e32 v8, vcc, 0, v38, vcc
	global_load_dwordx2 v[7:8], v[7:8], off offset:3072
	s_or_b64 exec, exec, s[82:83]
	v_cmp_lt_u32_e32 vcc, v169, v173
	s_and_saveexec_b64 s[82:83], vcc
	s_cbranch_execz .LBB1152_798
.LBB1152_864:                           ;   in Loop: Header=BB1152_687 Depth=2
	v_add_co_u32_e32 v5, vcc, 0x1000, v37
	v_addc_co_u32_e32 v6, vcc, 0, v38, vcc
	global_load_dwordx2 v[5:6], v[5:6], off offset:3584
	s_or_b64 exec, exec, s[82:83]
	s_and_saveexec_b64 s[82:83], s[36:37]
	s_cbranch_execz .LBB1152_799
.LBB1152_865:                           ;   in Loop: Header=BB1152_687 Depth=2
	ds_read_b64 v[37:38], v104 offset:1024
	s_waitcnt lgkmcnt(0)
	v_cmp_ne_u64_e32 vcc, s[72:73], v[37:38]
	v_cndmask_b32_e32 v38, v133, v38, vcc
	v_cndmask_b32_e32 v37, -1, v37, vcc
	v_lshrrev_b64 v[37:38], s88, v[37:38]
	v_and_b32_e32 v160, s96, v37
	s_or_b64 exec, exec, s[82:83]
	s_and_saveexec_b64 s[82:83], s[38:39]
	s_cbranch_execz .LBB1152_800
.LBB1152_866:                           ;   in Loop: Header=BB1152_687 Depth=2
	ds_read_b64 v[37:38], v104 offset:3072
	s_waitcnt lgkmcnt(0)
	v_cmp_ne_u64_e32 vcc, s[72:73], v[37:38]
	v_cndmask_b32_e32 v38, v133, v38, vcc
	v_cndmask_b32_e32 v37, -1, v37, vcc
	v_lshrrev_b64 v[37:38], s88, v[37:38]
	v_and_b32_e32 v158, s96, v37
	s_or_b64 exec, exec, s[82:83]
	s_and_saveexec_b64 s[82:83], s[40:41]
	s_cbranch_execz .LBB1152_801
.LBB1152_867:                           ;   in Loop: Header=BB1152_687 Depth=2
	ds_read_b64 v[37:38], v104 offset:5120
	s_waitcnt lgkmcnt(0)
	v_cmp_ne_u64_e32 vcc, s[72:73], v[37:38]
	v_cndmask_b32_e32 v38, v133, v38, vcc
	v_cndmask_b32_e32 v37, -1, v37, vcc
	v_lshrrev_b64 v[37:38], s88, v[37:38]
	v_and_b32_e32 v156, s96, v37
	s_or_b64 exec, exec, s[82:83]
	s_and_saveexec_b64 s[82:83], s[42:43]
	s_cbranch_execz .LBB1152_802
.LBB1152_868:                           ;   in Loop: Header=BB1152_687 Depth=2
	ds_read_b64 v[37:38], v104 offset:7168
	s_waitcnt lgkmcnt(0)
	v_cmp_ne_u64_e32 vcc, s[72:73], v[37:38]
	v_cndmask_b32_e32 v38, v133, v38, vcc
	v_cndmask_b32_e32 v37, -1, v37, vcc
	v_lshrrev_b64 v[37:38], s88, v[37:38]
	v_and_b32_e32 v154, s96, v37
	s_or_b64 exec, exec, s[82:83]
	s_and_saveexec_b64 s[82:83], s[44:45]
	s_cbranch_execz .LBB1152_803
.LBB1152_869:                           ;   in Loop: Header=BB1152_687 Depth=2
	ds_read_b64 v[37:38], v104 offset:9216
	s_waitcnt lgkmcnt(0)
	v_cmp_ne_u64_e32 vcc, s[72:73], v[37:38]
	v_cndmask_b32_e32 v38, v133, v38, vcc
	v_cndmask_b32_e32 v37, -1, v37, vcc
	v_lshrrev_b64 v[37:38], s88, v[37:38]
	v_and_b32_e32 v152, s96, v37
	s_or_b64 exec, exec, s[82:83]
	s_and_saveexec_b64 s[82:83], s[46:47]
	s_cbranch_execz .LBB1152_804
.LBB1152_870:                           ;   in Loop: Header=BB1152_687 Depth=2
	ds_read_b64 v[37:38], v104 offset:11264
	s_waitcnt lgkmcnt(0)
	v_cmp_ne_u64_e32 vcc, s[72:73], v[37:38]
	v_cndmask_b32_e32 v38, v133, v38, vcc
	v_cndmask_b32_e32 v37, -1, v37, vcc
	v_lshrrev_b64 v[37:38], s88, v[37:38]
	v_and_b32_e32 v150, s96, v37
	s_or_b64 exec, exec, s[82:83]
	s_and_saveexec_b64 s[82:83], s[48:49]
	s_cbranch_execz .LBB1152_805
.LBB1152_871:                           ;   in Loop: Header=BB1152_687 Depth=2
	ds_read_b64 v[37:38], v104 offset:13312
	s_waitcnt lgkmcnt(0)
	v_cmp_ne_u64_e32 vcc, s[72:73], v[37:38]
	v_cndmask_b32_e32 v38, v133, v38, vcc
	v_cndmask_b32_e32 v37, -1, v37, vcc
	v_lshrrev_b64 v[37:38], s88, v[37:38]
	v_and_b32_e32 v148, s96, v37
	s_or_b64 exec, exec, s[82:83]
	s_and_saveexec_b64 s[82:83], s[50:51]
	s_cbranch_execz .LBB1152_806
.LBB1152_872:                           ;   in Loop: Header=BB1152_687 Depth=2
	ds_read_b64 v[37:38], v104 offset:15360
	s_waitcnt lgkmcnt(0)
	v_cmp_ne_u64_e32 vcc, s[72:73], v[37:38]
	v_cndmask_b32_e32 v38, v133, v38, vcc
	v_cndmask_b32_e32 v37, -1, v37, vcc
	v_lshrrev_b64 v[37:38], s88, v[37:38]
	v_and_b32_e32 v146, s96, v37
	s_or_b64 exec, exec, s[82:83]
	s_and_saveexec_b64 s[82:83], s[52:53]
	s_cbranch_execz .LBB1152_807
.LBB1152_873:                           ;   in Loop: Header=BB1152_687 Depth=2
	ds_read_b64 v[37:38], v104 offset:17408
	s_waitcnt lgkmcnt(0)
	v_cmp_ne_u64_e32 vcc, s[72:73], v[37:38]
	v_cndmask_b32_e32 v38, v133, v38, vcc
	v_cndmask_b32_e32 v37, -1, v37, vcc
	v_lshrrev_b64 v[37:38], s88, v[37:38]
	v_and_b32_e32 v144, s96, v37
	s_or_b64 exec, exec, s[82:83]
	s_and_saveexec_b64 s[82:83], s[54:55]
	s_cbranch_execz .LBB1152_808
.LBB1152_874:                           ;   in Loop: Header=BB1152_687 Depth=2
	ds_read_b64 v[37:38], v104 offset:19456
	s_waitcnt lgkmcnt(0)
	v_cmp_ne_u64_e32 vcc, s[72:73], v[37:38]
	v_cndmask_b32_e32 v38, v133, v38, vcc
	v_cndmask_b32_e32 v37, -1, v37, vcc
	v_lshrrev_b64 v[37:38], s88, v[37:38]
	v_and_b32_e32 v142, s96, v37
	s_or_b64 exec, exec, s[82:83]
	s_and_saveexec_b64 s[82:83], s[56:57]
	s_cbranch_execz .LBB1152_809
.LBB1152_875:                           ;   in Loop: Header=BB1152_687 Depth=2
	ds_read_b64 v[37:38], v104 offset:21504
	s_waitcnt lgkmcnt(0)
	v_cmp_ne_u64_e32 vcc, s[72:73], v[37:38]
	v_cndmask_b32_e32 v38, v133, v38, vcc
	v_cndmask_b32_e32 v37, -1, v37, vcc
	v_lshrrev_b64 v[37:38], s88, v[37:38]
	v_and_b32_e32 v141, s96, v37
	s_or_b64 exec, exec, s[82:83]
	s_and_saveexec_b64 s[82:83], s[58:59]
	s_cbranch_execz .LBB1152_810
.LBB1152_876:                           ;   in Loop: Header=BB1152_687 Depth=2
	ds_read_b64 v[37:38], v104 offset:23552
	s_waitcnt lgkmcnt(0)
	v_cmp_ne_u64_e32 vcc, s[72:73], v[37:38]
	v_cndmask_b32_e32 v38, v133, v38, vcc
	v_cndmask_b32_e32 v37, -1, v37, vcc
	v_lshrrev_b64 v[37:38], s88, v[37:38]
	v_and_b32_e32 v140, s96, v37
	s_or_b64 exec, exec, s[82:83]
	s_and_saveexec_b64 s[82:83], s[60:61]
	s_cbranch_execz .LBB1152_811
.LBB1152_877:                           ;   in Loop: Header=BB1152_687 Depth=2
	ds_read_b64 v[37:38], v104 offset:25600
	s_waitcnt lgkmcnt(0)
	v_cmp_ne_u64_e32 vcc, s[72:73], v[37:38]
	v_cndmask_b32_e32 v38, v133, v38, vcc
	v_cndmask_b32_e32 v37, -1, v37, vcc
	v_lshrrev_b64 v[37:38], s88, v[37:38]
	v_and_b32_e32 v139, s96, v37
	s_or_b64 exec, exec, s[82:83]
	s_and_saveexec_b64 s[82:83], s[62:63]
	s_cbranch_execz .LBB1152_812
.LBB1152_878:                           ;   in Loop: Header=BB1152_687 Depth=2
	ds_read_b64 v[37:38], v104 offset:27648
	s_waitcnt lgkmcnt(0)
	v_cmp_ne_u64_e32 vcc, s[72:73], v[37:38]
	v_cndmask_b32_e32 v38, v133, v38, vcc
	v_cndmask_b32_e32 v37, -1, v37, vcc
	v_lshrrev_b64 v[37:38], s88, v[37:38]
	v_and_b32_e32 v138, s96, v37
	s_or_b64 exec, exec, s[82:83]
	s_and_saveexec_b64 s[82:83], s[64:65]
	s_cbranch_execz .LBB1152_813
.LBB1152_879:                           ;   in Loop: Header=BB1152_687 Depth=2
	ds_read_b64 v[37:38], v104 offset:29696
	s_waitcnt lgkmcnt(0)
	v_cmp_ne_u64_e32 vcc, s[72:73], v[37:38]
	v_cndmask_b32_e32 v38, v133, v38, vcc
	v_cndmask_b32_e32 v37, -1, v37, vcc
	v_lshrrev_b64 v[37:38], s88, v[37:38]
	v_and_b32_e32 v137, s96, v37
	s_or_b64 exec, exec, s[82:83]
	s_and_saveexec_b64 s[82:83], s[66:67]
	s_cbranch_execnz .LBB1152_814
	s_branch .LBB1152_815
.LBB1152_880:                           ;   in Loop: Header=BB1152_687 Depth=2
	v_lshlrev_b32_e32 v37, 2, v160
	ds_read_b32 v39, v37
	ds_read_b64 v[37:38], v104 offset:1024
	v_mov_b32_e32 v40, v3
	v_mov_b32_e32 v41, s85
	s_waitcnt lgkmcnt(1)
	v_add_u32_e32 v39, v39, v0
	v_lshlrev_b64 v[39:40], 3, v[39:40]
	v_add_co_u32_e32 v39, vcc, s84, v39
	v_addc_co_u32_e32 v40, vcc, v41, v40, vcc
	s_waitcnt lgkmcnt(0)
	global_store_dwordx2 v[39:40], v[37:38], off
	s_or_b64 exec, exec, s[82:83]
	s_and_saveexec_b64 s[36:37], s[38:39]
	s_cbranch_execz .LBB1152_817
.LBB1152_881:                           ;   in Loop: Header=BB1152_687 Depth=2
	v_lshlrev_b32_e32 v37, 2, v158
	ds_read_b32 v39, v37
	ds_read_b64 v[37:38], v104 offset:3072
	v_mov_b32_e32 v40, v3
	v_mov_b32_e32 v41, s85
	s_waitcnt lgkmcnt(1)
	v_add_u32_e32 v39, v39, v74
	v_lshlrev_b64 v[39:40], 3, v[39:40]
	v_add_co_u32_e32 v39, vcc, s84, v39
	v_addc_co_u32_e32 v40, vcc, v41, v40, vcc
	s_waitcnt lgkmcnt(0)
	global_store_dwordx2 v[39:40], v[37:38], off
	s_or_b64 exec, exec, s[36:37]
	s_and_saveexec_b64 s[36:37], s[40:41]
	s_cbranch_execz .LBB1152_818
.LBB1152_882:                           ;   in Loop: Header=BB1152_687 Depth=2
	v_lshlrev_b32_e32 v37, 2, v156
	ds_read_b32 v39, v37
	ds_read_b64 v[37:38], v104 offset:5120
	v_mov_b32_e32 v40, v3
	v_mov_b32_e32 v41, s85
	s_waitcnt lgkmcnt(1)
	v_add_u32_e32 v39, v39, v75
	v_lshlrev_b64 v[39:40], 3, v[39:40]
	v_add_co_u32_e32 v39, vcc, s84, v39
	v_addc_co_u32_e32 v40, vcc, v41, v40, vcc
	s_waitcnt lgkmcnt(0)
	global_store_dwordx2 v[39:40], v[37:38], off
	s_or_b64 exec, exec, s[36:37]
	s_and_saveexec_b64 s[36:37], s[42:43]
	s_cbranch_execz .LBB1152_819
.LBB1152_883:                           ;   in Loop: Header=BB1152_687 Depth=2
	v_lshlrev_b32_e32 v37, 2, v154
	ds_read_b32 v39, v37
	ds_read_b64 v[37:38], v104 offset:7168
	v_mov_b32_e32 v40, v3
	v_mov_b32_e32 v41, s85
	s_waitcnt lgkmcnt(1)
	v_add_u32_e32 v39, v39, v76
	v_lshlrev_b64 v[39:40], 3, v[39:40]
	v_add_co_u32_e32 v39, vcc, s84, v39
	v_addc_co_u32_e32 v40, vcc, v41, v40, vcc
	s_waitcnt lgkmcnt(0)
	global_store_dwordx2 v[39:40], v[37:38], off
	s_or_b64 exec, exec, s[36:37]
	s_and_saveexec_b64 s[36:37], s[44:45]
	s_cbranch_execz .LBB1152_820
.LBB1152_884:                           ;   in Loop: Header=BB1152_687 Depth=2
	v_lshlrev_b32_e32 v37, 2, v152
	ds_read_b32 v39, v37
	ds_read_b64 v[37:38], v104 offset:9216
	v_mov_b32_e32 v40, v3
	v_mov_b32_e32 v41, s85
	s_waitcnt lgkmcnt(1)
	v_add_u32_e32 v39, v39, v79
	v_lshlrev_b64 v[39:40], 3, v[39:40]
	v_add_co_u32_e32 v39, vcc, s84, v39
	v_addc_co_u32_e32 v40, vcc, v41, v40, vcc
	s_waitcnt lgkmcnt(0)
	global_store_dwordx2 v[39:40], v[37:38], off
	s_or_b64 exec, exec, s[36:37]
	s_and_saveexec_b64 s[36:37], s[46:47]
	s_cbranch_execz .LBB1152_821
.LBB1152_885:                           ;   in Loop: Header=BB1152_687 Depth=2
	v_lshlrev_b32_e32 v37, 2, v150
	ds_read_b32 v39, v37
	ds_read_b64 v[37:38], v104 offset:11264
	v_mov_b32_e32 v40, v3
	v_mov_b32_e32 v41, s85
	s_waitcnt lgkmcnt(1)
	v_add_u32_e32 v39, v39, v80
	v_lshlrev_b64 v[39:40], 3, v[39:40]
	v_add_co_u32_e32 v39, vcc, s84, v39
	v_addc_co_u32_e32 v40, vcc, v41, v40, vcc
	s_waitcnt lgkmcnt(0)
	global_store_dwordx2 v[39:40], v[37:38], off
	s_or_b64 exec, exec, s[36:37]
	s_and_saveexec_b64 s[36:37], s[48:49]
	s_cbranch_execz .LBB1152_822
.LBB1152_886:                           ;   in Loop: Header=BB1152_687 Depth=2
	v_lshlrev_b32_e32 v37, 2, v148
	ds_read_b32 v39, v37
	ds_read_b64 v[37:38], v104 offset:13312
	v_mov_b32_e32 v40, v3
	v_mov_b32_e32 v41, s85
	s_waitcnt lgkmcnt(1)
	v_add_u32_e32 v39, v39, v81
	v_lshlrev_b64 v[39:40], 3, v[39:40]
	v_add_co_u32_e32 v39, vcc, s84, v39
	v_addc_co_u32_e32 v40, vcc, v41, v40, vcc
	s_waitcnt lgkmcnt(0)
	global_store_dwordx2 v[39:40], v[37:38], off
	s_or_b64 exec, exec, s[36:37]
	s_and_saveexec_b64 s[36:37], s[50:51]
	s_cbranch_execz .LBB1152_823
.LBB1152_887:                           ;   in Loop: Header=BB1152_687 Depth=2
	v_lshlrev_b32_e32 v37, 2, v146
	ds_read_b32 v39, v37
	ds_read_b64 v[37:38], v104 offset:15360
	v_mov_b32_e32 v40, v3
	v_mov_b32_e32 v41, s85
	s_waitcnt lgkmcnt(1)
	v_add_u32_e32 v39, v39, v82
	v_lshlrev_b64 v[39:40], 3, v[39:40]
	v_add_co_u32_e32 v39, vcc, s84, v39
	v_addc_co_u32_e32 v40, vcc, v41, v40, vcc
	s_waitcnt lgkmcnt(0)
	global_store_dwordx2 v[39:40], v[37:38], off
	s_or_b64 exec, exec, s[36:37]
	s_and_saveexec_b64 s[36:37], s[52:53]
	s_cbranch_execz .LBB1152_824
.LBB1152_888:                           ;   in Loop: Header=BB1152_687 Depth=2
	v_lshlrev_b32_e32 v37, 2, v144
	ds_read_b32 v39, v37
	ds_read_b64 v[37:38], v104 offset:17408
	v_mov_b32_e32 v40, v3
	v_mov_b32_e32 v41, s85
	s_waitcnt lgkmcnt(1)
	v_add_u32_e32 v39, v39, v83
	v_lshlrev_b64 v[39:40], 3, v[39:40]
	v_add_co_u32_e32 v39, vcc, s84, v39
	v_addc_co_u32_e32 v40, vcc, v41, v40, vcc
	s_waitcnt lgkmcnt(0)
	global_store_dwordx2 v[39:40], v[37:38], off
	s_or_b64 exec, exec, s[36:37]
	s_and_saveexec_b64 s[36:37], s[54:55]
	s_cbranch_execz .LBB1152_825
.LBB1152_889:                           ;   in Loop: Header=BB1152_687 Depth=2
	v_lshlrev_b32_e32 v37, 2, v142
	ds_read_b32 v39, v37
	ds_read_b64 v[37:38], v104 offset:19456
	v_mov_b32_e32 v40, v3
	v_mov_b32_e32 v41, s85
	s_waitcnt lgkmcnt(1)
	v_add_u32_e32 v39, v39, v84
	v_lshlrev_b64 v[39:40], 3, v[39:40]
	v_add_co_u32_e32 v39, vcc, s84, v39
	v_addc_co_u32_e32 v40, vcc, v41, v40, vcc
	s_waitcnt lgkmcnt(0)
	global_store_dwordx2 v[39:40], v[37:38], off
	s_or_b64 exec, exec, s[36:37]
	s_and_saveexec_b64 s[36:37], s[56:57]
	s_cbranch_execz .LBB1152_826
.LBB1152_890:                           ;   in Loop: Header=BB1152_687 Depth=2
	v_lshlrev_b32_e32 v37, 2, v141
	ds_read_b32 v39, v37
	ds_read_b64 v[37:38], v104 offset:21504
	v_mov_b32_e32 v40, v3
	v_mov_b32_e32 v41, s85
	s_waitcnt lgkmcnt(1)
	v_add_u32_e32 v39, v39, v85
	v_lshlrev_b64 v[39:40], 3, v[39:40]
	v_add_co_u32_e32 v39, vcc, s84, v39
	v_addc_co_u32_e32 v40, vcc, v41, v40, vcc
	s_waitcnt lgkmcnt(0)
	global_store_dwordx2 v[39:40], v[37:38], off
	s_or_b64 exec, exec, s[36:37]
	s_and_saveexec_b64 s[36:37], s[58:59]
	s_cbranch_execz .LBB1152_827
.LBB1152_891:                           ;   in Loop: Header=BB1152_687 Depth=2
	v_lshlrev_b32_e32 v37, 2, v140
	ds_read_b32 v39, v37
	ds_read_b64 v[37:38], v104 offset:23552
	v_mov_b32_e32 v40, v3
	v_mov_b32_e32 v41, s85
	s_waitcnt lgkmcnt(1)
	v_add_u32_e32 v39, v39, v86
	v_lshlrev_b64 v[39:40], 3, v[39:40]
	v_add_co_u32_e32 v39, vcc, s84, v39
	v_addc_co_u32_e32 v40, vcc, v41, v40, vcc
	s_waitcnt lgkmcnt(0)
	global_store_dwordx2 v[39:40], v[37:38], off
	s_or_b64 exec, exec, s[36:37]
	s_and_saveexec_b64 s[36:37], s[60:61]
	s_cbranch_execz .LBB1152_828
.LBB1152_892:                           ;   in Loop: Header=BB1152_687 Depth=2
	v_lshlrev_b32_e32 v37, 2, v139
	ds_read_b32 v39, v37
	ds_read_b64 v[37:38], v104 offset:25600
	v_mov_b32_e32 v40, v3
	v_mov_b32_e32 v41, s85
	s_waitcnt lgkmcnt(1)
	v_add_u32_e32 v39, v39, v87
	v_lshlrev_b64 v[39:40], 3, v[39:40]
	v_add_co_u32_e32 v39, vcc, s84, v39
	v_addc_co_u32_e32 v40, vcc, v41, v40, vcc
	s_waitcnt lgkmcnt(0)
	global_store_dwordx2 v[39:40], v[37:38], off
	s_or_b64 exec, exec, s[36:37]
	s_and_saveexec_b64 s[36:37], s[62:63]
	s_cbranch_execz .LBB1152_829
.LBB1152_893:                           ;   in Loop: Header=BB1152_687 Depth=2
	v_lshlrev_b32_e32 v37, 2, v138
	ds_read_b32 v39, v37
	ds_read_b64 v[37:38], v104 offset:27648
	v_mov_b32_e32 v40, v3
	v_mov_b32_e32 v41, s85
	s_waitcnt lgkmcnt(1)
	v_add_u32_e32 v39, v39, v88
	v_lshlrev_b64 v[39:40], 3, v[39:40]
	v_add_co_u32_e32 v39, vcc, s84, v39
	v_addc_co_u32_e32 v40, vcc, v41, v40, vcc
	s_waitcnt lgkmcnt(0)
	global_store_dwordx2 v[39:40], v[37:38], off
	s_or_b64 exec, exec, s[36:37]
	s_and_saveexec_b64 s[36:37], s[64:65]
	s_cbranch_execz .LBB1152_830
.LBB1152_894:                           ;   in Loop: Header=BB1152_687 Depth=2
	v_lshlrev_b32_e32 v37, 2, v137
	ds_read_b32 v39, v37
	ds_read_b64 v[37:38], v104 offset:29696
	v_mov_b32_e32 v40, v3
	v_mov_b32_e32 v41, s85
	s_waitcnt lgkmcnt(1)
	v_add_u32_e32 v39, v39, v89
	v_lshlrev_b64 v[39:40], 3, v[39:40]
	v_add_co_u32_e32 v39, vcc, s84, v39
	v_addc_co_u32_e32 v40, vcc, v41, v40, vcc
	s_waitcnt lgkmcnt(0)
	global_store_dwordx2 v[39:40], v[37:38], off
	s_or_b64 exec, exec, s[36:37]
	s_and_saveexec_b64 s[36:37], s[66:67]
	s_cbranch_execnz .LBB1152_831
	s_branch .LBB1152_832
.LBB1152_895:                           ;   in Loop: Header=BB1152_17 Depth=1
	s_waitcnt lgkmcnt(0)
	s_barrier
	s_mov_b64 s[16:17], 0
.LBB1152_896:                           ;   in Loop: Header=BB1152_17 Depth=1
	s_and_b64 vcc, exec, s[16:17]
	s_cbranch_vccz .LBB1152_16
; %bb.897:                              ;   in Loop: Header=BB1152_17 Depth=1
	s_mov_b32 s20, s91
	s_mov_b32 s16, s69
	s_barrier
                                        ; implicit-def: $vgpr4_vgpr5
                                        ; implicit-def: $vgpr6_vgpr7
                                        ; implicit-def: $vgpr8_vgpr9
                                        ; implicit-def: $vgpr10_vgpr11
                                        ; implicit-def: $vgpr12_vgpr13
                                        ; implicit-def: $vgpr14_vgpr15
                                        ; implicit-def: $vgpr16_vgpr17
                                        ; implicit-def: $vgpr18_vgpr19
                                        ; implicit-def: $vgpr20_vgpr21
                                        ; implicit-def: $vgpr22_vgpr23
                                        ; implicit-def: $vgpr24_vgpr25
                                        ; implicit-def: $vgpr26_vgpr27
                                        ; implicit-def: $vgpr28_vgpr29
                                        ; implicit-def: $vgpr30_vgpr31
                                        ; implicit-def: $vgpr32_vgpr33
                                        ; implicit-def: $vgpr34_vgpr35
	s_branch .LBB1152_899
.LBB1152_898:                           ;   in Loop: Header=BB1152_899 Depth=2
	s_or_b64 exec, exec, s[16:17]
	s_addk_i32 s20, 0xf000
	s_cmp_ge_u32 s21, s94
	s_mov_b32 s16, s21
	s_cbranch_scc1 .LBB1152_967
.LBB1152_899:                           ;   Parent Loop BB1152_17 Depth=1
                                        ; =>  This Inner Loop Header: Depth=2
	s_add_i32 s21, s16, 0x1000
	s_cmp_gt_u32 s21, s94
	s_mov_b64 s[18:19], -1
                                        ; implicit-def: $vgpr36_vgpr37
                                        ; implicit-def: $vgpr38_vgpr39
                                        ; implicit-def: $vgpr40_vgpr41
                                        ; implicit-def: $vgpr42_vgpr43
                                        ; implicit-def: $vgpr44_vgpr45
                                        ; implicit-def: $vgpr46_vgpr47
                                        ; implicit-def: $vgpr48_vgpr49
                                        ; implicit-def: $vgpr50_vgpr51
                                        ; implicit-def: $vgpr52_vgpr53
                                        ; implicit-def: $vgpr54_vgpr55
                                        ; implicit-def: $vgpr56_vgpr57
                                        ; implicit-def: $vgpr58_vgpr59
                                        ; implicit-def: $vgpr60_vgpr61
                                        ; implicit-def: $vgpr62_vgpr63
                                        ; implicit-def: $vgpr64_vgpr65
                                        ; implicit-def: $vgpr66_vgpr67
	s_cbranch_scc1 .LBB1152_901
; %bb.900:                              ;   in Loop: Header=BB1152_899 Depth=2
	s_mov_b32 s17, s72
	s_lshl_b64 s[18:19], s[16:17], 3
	v_mov_b32_e32 v36, s19
	v_add_co_u32_e32 v60, vcc, s18, v111
	v_addc_co_u32_e32 v61, vcc, v112, v36, vcc
	v_add_co_u32_e32 v44, vcc, 0x1000, v60
	v_addc_co_u32_e32 v45, vcc, 0, v61, vcc
	;; [unrolled: 2-line block ×6, first 2 shown]
	global_load_dwordx2 v[36:37], v[60:61], off
	global_load_dwordx2 v[38:39], v[60:61], off offset:2048
	global_load_dwordx2 v[40:41], v[44:45], off
	global_load_dwordx2 v[42:43], v[44:45], off offset:2048
	s_nop 0
	global_load_dwordx2 v[44:45], v[52:53], off
	global_load_dwordx2 v[46:47], v[52:53], off offset:2048
	global_load_dwordx2 v[48:49], v[54:55], off
	global_load_dwordx2 v[50:51], v[54:55], off offset:2048
	s_nop 0
	global_load_dwordx2 v[52:53], v[62:63], off
	global_load_dwordx2 v[54:55], v[62:63], off offset:2048
	global_load_dwordx2 v[56:57], v[64:65], off
	global_load_dwordx2 v[58:59], v[64:65], off offset:2048
	v_add_co_u32_e32 v62, vcc, 0x6000, v60
	v_addc_co_u32_e32 v63, vcc, 0, v61, vcc
	v_add_co_u32_e32 v66, vcc, 0x7000, v60
	v_addc_co_u32_e32 v67, vcc, 0, v61, vcc
	global_load_dwordx2 v[60:61], v[62:63], off
	s_nop 0
	global_load_dwordx2 v[62:63], v[62:63], off offset:2048
	s_nop 0
	global_load_dwordx2 v[64:65], v[66:67], off
	s_nop 0
	global_load_dwordx2 v[66:67], v[66:67], off offset:2048
	s_mov_b64 s[18:19], 0
.LBB1152_901:                           ;   in Loop: Header=BB1152_899 Depth=2
	s_andn2_b64 vcc, exec, s[18:19]
	s_movk_i32 s18, 0x1000
	s_cbranch_vccnz .LBB1152_920
; %bb.902:                              ;   in Loop: Header=BB1152_899 Depth=2
	s_mov_b32 s17, s72
	s_lshl_b64 s[16:17], s[16:17], 3
	s_add_u32 s16, s76, s16
	s_addc_u32 s17, s77, s17
	v_cmp_gt_u32_e32 vcc, s20, v0
	s_and_saveexec_b64 s[18:19], vcc
	s_cbranch_execnz .LBB1152_952
; %bb.903:                              ;   in Loop: Header=BB1152_899 Depth=2
	s_or_b64 exec, exec, s[18:19]
	v_cmp_gt_u32_e32 vcc, s20, v74
	s_and_saveexec_b64 s[18:19], vcc
	s_cbranch_execnz .LBB1152_953
.LBB1152_904:                           ;   in Loop: Header=BB1152_899 Depth=2
	s_or_b64 exec, exec, s[18:19]
	v_cmp_gt_u32_e32 vcc, s20, v75
	s_and_saveexec_b64 s[18:19], vcc
	s_cbranch_execnz .LBB1152_954
.LBB1152_905:                           ;   in Loop: Header=BB1152_899 Depth=2
	s_or_b64 exec, exec, s[18:19]
	v_cmp_gt_u32_e32 vcc, s20, v76
	s_and_saveexec_b64 s[18:19], vcc
	s_cbranch_execnz .LBB1152_955
.LBB1152_906:                           ;   in Loop: Header=BB1152_899 Depth=2
	s_or_b64 exec, exec, s[18:19]
	v_cmp_gt_u32_e32 vcc, s20, v79
	s_and_saveexec_b64 s[18:19], vcc
	s_cbranch_execnz .LBB1152_956
.LBB1152_907:                           ;   in Loop: Header=BB1152_899 Depth=2
	s_or_b64 exec, exec, s[18:19]
	v_cmp_gt_u32_e32 vcc, s20, v80
	s_and_saveexec_b64 s[18:19], vcc
	s_cbranch_execnz .LBB1152_957
.LBB1152_908:                           ;   in Loop: Header=BB1152_899 Depth=2
	s_or_b64 exec, exec, s[18:19]
	v_cmp_gt_u32_e32 vcc, s20, v81
	s_and_saveexec_b64 s[18:19], vcc
	s_cbranch_execnz .LBB1152_958
.LBB1152_909:                           ;   in Loop: Header=BB1152_899 Depth=2
	s_or_b64 exec, exec, s[18:19]
	v_cmp_gt_u32_e32 vcc, s20, v82
	s_and_saveexec_b64 s[18:19], vcc
	s_cbranch_execnz .LBB1152_959
.LBB1152_910:                           ;   in Loop: Header=BB1152_899 Depth=2
	s_or_b64 exec, exec, s[18:19]
	v_cmp_gt_u32_e32 vcc, s20, v83
	s_and_saveexec_b64 s[18:19], vcc
	s_cbranch_execnz .LBB1152_960
.LBB1152_911:                           ;   in Loop: Header=BB1152_899 Depth=2
	s_or_b64 exec, exec, s[18:19]
	v_cmp_gt_u32_e32 vcc, s20, v84
	s_and_saveexec_b64 s[18:19], vcc
	s_cbranch_execnz .LBB1152_961
.LBB1152_912:                           ;   in Loop: Header=BB1152_899 Depth=2
	s_or_b64 exec, exec, s[18:19]
	v_cmp_gt_u32_e32 vcc, s20, v85
	s_and_saveexec_b64 s[18:19], vcc
	s_cbranch_execnz .LBB1152_962
.LBB1152_913:                           ;   in Loop: Header=BB1152_899 Depth=2
	s_or_b64 exec, exec, s[18:19]
	v_cmp_gt_u32_e32 vcc, s20, v86
	s_and_saveexec_b64 s[18:19], vcc
	s_cbranch_execnz .LBB1152_963
.LBB1152_914:                           ;   in Loop: Header=BB1152_899 Depth=2
	s_or_b64 exec, exec, s[18:19]
	v_cmp_gt_u32_e32 vcc, s20, v87
	s_and_saveexec_b64 s[18:19], vcc
	s_cbranch_execnz .LBB1152_964
.LBB1152_915:                           ;   in Loop: Header=BB1152_899 Depth=2
	s_or_b64 exec, exec, s[18:19]
	v_cmp_gt_u32_e32 vcc, s20, v88
	s_and_saveexec_b64 s[18:19], vcc
	s_cbranch_execnz .LBB1152_965
.LBB1152_916:                           ;   in Loop: Header=BB1152_899 Depth=2
	s_or_b64 exec, exec, s[18:19]
	v_cmp_gt_u32_e32 vcc, s20, v89
	s_and_saveexec_b64 s[18:19], vcc
	s_cbranch_execnz .LBB1152_966
.LBB1152_917:                           ;   in Loop: Header=BB1152_899 Depth=2
	s_or_b64 exec, exec, s[18:19]
	v_cmp_gt_u32_e32 vcc, s20, v90
	s_and_saveexec_b64 s[18:19], vcc
	s_cbranch_execz .LBB1152_919
.LBB1152_918:                           ;   in Loop: Header=BB1152_899 Depth=2
	global_load_dwordx2 v[4:5], v132, s[16:17]
.LBB1152_919:                           ;   in Loop: Header=BB1152_899 Depth=2
	s_or_b64 exec, exec, s[18:19]
	s_waitcnt vmcnt(0)
	v_mov_b32_e32 v37, v35
	v_mov_b32_e32 v39, v33
	;; [unrolled: 1-line block ×16, first 2 shown]
	s_mov_b32 s18, s20
	v_mov_b32_e32 v36, v34
	v_mov_b32_e32 v38, v32
	;; [unrolled: 1-line block ×16, first 2 shown]
.LBB1152_920:                           ;   in Loop: Header=BB1152_899 Depth=2
	s_waitcnt vmcnt(0)
	v_mov_b32_e32 v4, v66
	v_mov_b32_e32 v6, v64
	;; [unrolled: 1-line block ×32, first 2 shown]
	v_cmp_gt_u32_e32 vcc, s18, v0
	s_and_saveexec_b64 s[16:17], vcc
	s_cbranch_execnz .LBB1152_936
; %bb.921:                              ;   in Loop: Header=BB1152_899 Depth=2
	s_or_b64 exec, exec, s[16:17]
	v_cmp_gt_u32_e32 vcc, s18, v74
	s_and_saveexec_b64 s[16:17], vcc
	s_cbranch_execnz .LBB1152_937
.LBB1152_922:                           ;   in Loop: Header=BB1152_899 Depth=2
	s_or_b64 exec, exec, s[16:17]
	v_cmp_gt_u32_e32 vcc, s18, v75
	s_and_saveexec_b64 s[16:17], vcc
	s_cbranch_execnz .LBB1152_938
.LBB1152_923:                           ;   in Loop: Header=BB1152_899 Depth=2
	s_or_b64 exec, exec, s[16:17]
	v_cmp_gt_u32_e32 vcc, s18, v76
	s_and_saveexec_b64 s[16:17], vcc
	s_cbranch_execnz .LBB1152_939
.LBB1152_924:                           ;   in Loop: Header=BB1152_899 Depth=2
	s_or_b64 exec, exec, s[16:17]
	v_cmp_gt_u32_e32 vcc, s18, v79
	s_and_saveexec_b64 s[16:17], vcc
	s_cbranch_execnz .LBB1152_940
.LBB1152_925:                           ;   in Loop: Header=BB1152_899 Depth=2
	s_or_b64 exec, exec, s[16:17]
	v_cmp_gt_u32_e32 vcc, s18, v80
	s_and_saveexec_b64 s[16:17], vcc
	s_cbranch_execnz .LBB1152_941
.LBB1152_926:                           ;   in Loop: Header=BB1152_899 Depth=2
	s_or_b64 exec, exec, s[16:17]
	v_cmp_gt_u32_e32 vcc, s18, v81
	s_and_saveexec_b64 s[16:17], vcc
	s_cbranch_execnz .LBB1152_942
.LBB1152_927:                           ;   in Loop: Header=BB1152_899 Depth=2
	s_or_b64 exec, exec, s[16:17]
	v_cmp_gt_u32_e32 vcc, s18, v82
	s_and_saveexec_b64 s[16:17], vcc
	s_cbranch_execnz .LBB1152_943
.LBB1152_928:                           ;   in Loop: Header=BB1152_899 Depth=2
	s_or_b64 exec, exec, s[16:17]
	v_cmp_gt_u32_e32 vcc, s18, v83
	s_and_saveexec_b64 s[16:17], vcc
	s_cbranch_execnz .LBB1152_944
.LBB1152_929:                           ;   in Loop: Header=BB1152_899 Depth=2
	s_or_b64 exec, exec, s[16:17]
	v_cmp_gt_u32_e32 vcc, s18, v84
	s_and_saveexec_b64 s[16:17], vcc
	s_cbranch_execnz .LBB1152_945
.LBB1152_930:                           ;   in Loop: Header=BB1152_899 Depth=2
	s_or_b64 exec, exec, s[16:17]
	v_cmp_gt_u32_e32 vcc, s18, v85
	s_and_saveexec_b64 s[16:17], vcc
	s_cbranch_execnz .LBB1152_946
.LBB1152_931:                           ;   in Loop: Header=BB1152_899 Depth=2
	s_or_b64 exec, exec, s[16:17]
	v_cmp_gt_u32_e32 vcc, s18, v86
	s_and_saveexec_b64 s[16:17], vcc
	s_cbranch_execnz .LBB1152_947
.LBB1152_932:                           ;   in Loop: Header=BB1152_899 Depth=2
	s_or_b64 exec, exec, s[16:17]
	v_cmp_gt_u32_e32 vcc, s18, v87
	s_and_saveexec_b64 s[16:17], vcc
	s_cbranch_execnz .LBB1152_948
.LBB1152_933:                           ;   in Loop: Header=BB1152_899 Depth=2
	s_or_b64 exec, exec, s[16:17]
	v_cmp_gt_u32_e32 vcc, s18, v88
	s_and_saveexec_b64 s[16:17], vcc
	s_cbranch_execnz .LBB1152_949
.LBB1152_934:                           ;   in Loop: Header=BB1152_899 Depth=2
	s_or_b64 exec, exec, s[16:17]
	v_cmp_gt_u32_e32 vcc, s18, v89
	s_and_saveexec_b64 s[16:17], vcc
	s_cbranch_execnz .LBB1152_950
.LBB1152_935:                           ;   in Loop: Header=BB1152_899 Depth=2
	s_or_b64 exec, exec, s[16:17]
	v_cmp_gt_u32_e32 vcc, s18, v90
	s_and_saveexec_b64 s[16:17], vcc
	s_cbranch_execz .LBB1152_898
	s_branch .LBB1152_951
.LBB1152_936:                           ;   in Loop: Header=BB1152_899 Depth=2
	v_cmp_gt_i64_e32 vcc, 0, v[34:35]
	v_ashrrev_i32_e32 v37, 31, v35
	v_cndmask_b32_e64 v36, v133, 0, vcc
	v_not_b32_e32 v38, v37
	v_xor_b32_e32 v37, v36, v35
	v_xor_b32_e32 v36, v38, v34
	v_cmp_ne_u64_e32 vcc, s[72:73], v[36:37]
	v_cndmask_b32_e32 v37, v133, v37, vcc
	v_cndmask_b32_e32 v36, -1, v36, vcc
	v_lshrrev_b64 v[36:37], s88, v[36:37]
	v_and_b32_e32 v36, s96, v36
	v_lshl_or_b32 v36, v36, 4, v91
	ds_add_u32 v36, v117
	s_or_b64 exec, exec, s[16:17]
	v_cmp_gt_u32_e32 vcc, s18, v74
	s_and_saveexec_b64 s[16:17], vcc
	s_cbranch_execz .LBB1152_922
.LBB1152_937:                           ;   in Loop: Header=BB1152_899 Depth=2
	v_cmp_gt_i64_e32 vcc, 0, v[32:33]
	v_ashrrev_i32_e32 v37, 31, v33
	v_cndmask_b32_e64 v36, v133, 0, vcc
	v_not_b32_e32 v38, v37
	v_xor_b32_e32 v37, v36, v33
	v_xor_b32_e32 v36, v38, v32
	v_cmp_ne_u64_e32 vcc, s[72:73], v[36:37]
	v_cndmask_b32_e32 v37, v133, v37, vcc
	v_cndmask_b32_e32 v36, -1, v36, vcc
	v_lshrrev_b64 v[36:37], s88, v[36:37]
	v_and_b32_e32 v36, s96, v36
	v_lshl_or_b32 v36, v36, 4, v91
	ds_add_u32 v36, v117
	s_or_b64 exec, exec, s[16:17]
	v_cmp_gt_u32_e32 vcc, s18, v75
	s_and_saveexec_b64 s[16:17], vcc
	s_cbranch_execz .LBB1152_923
.LBB1152_938:                           ;   in Loop: Header=BB1152_899 Depth=2
	v_cmp_gt_i64_e32 vcc, 0, v[30:31]
	v_ashrrev_i32_e32 v37, 31, v31
	v_cndmask_b32_e64 v36, v133, 0, vcc
	v_not_b32_e32 v38, v37
	v_xor_b32_e32 v37, v36, v31
	v_xor_b32_e32 v36, v38, v30
	v_cmp_ne_u64_e32 vcc, s[72:73], v[36:37]
	v_cndmask_b32_e32 v37, v133, v37, vcc
	v_cndmask_b32_e32 v36, -1, v36, vcc
	v_lshrrev_b64 v[36:37], s88, v[36:37]
	v_and_b32_e32 v36, s96, v36
	v_lshl_or_b32 v36, v36, 4, v91
	ds_add_u32 v36, v117
	s_or_b64 exec, exec, s[16:17]
	v_cmp_gt_u32_e32 vcc, s18, v76
	s_and_saveexec_b64 s[16:17], vcc
	s_cbranch_execz .LBB1152_924
.LBB1152_939:                           ;   in Loop: Header=BB1152_899 Depth=2
	v_cmp_gt_i64_e32 vcc, 0, v[28:29]
	v_ashrrev_i32_e32 v37, 31, v29
	v_cndmask_b32_e64 v36, v133, 0, vcc
	v_not_b32_e32 v38, v37
	v_xor_b32_e32 v37, v36, v29
	v_xor_b32_e32 v36, v38, v28
	v_cmp_ne_u64_e32 vcc, s[72:73], v[36:37]
	v_cndmask_b32_e32 v37, v133, v37, vcc
	v_cndmask_b32_e32 v36, -1, v36, vcc
	v_lshrrev_b64 v[36:37], s88, v[36:37]
	v_and_b32_e32 v36, s96, v36
	v_lshl_or_b32 v36, v36, 4, v91
	ds_add_u32 v36, v117
	s_or_b64 exec, exec, s[16:17]
	v_cmp_gt_u32_e32 vcc, s18, v79
	s_and_saveexec_b64 s[16:17], vcc
	s_cbranch_execz .LBB1152_925
.LBB1152_940:                           ;   in Loop: Header=BB1152_899 Depth=2
	v_cmp_gt_i64_e32 vcc, 0, v[26:27]
	v_ashrrev_i32_e32 v37, 31, v27
	v_cndmask_b32_e64 v36, v133, 0, vcc
	v_not_b32_e32 v38, v37
	v_xor_b32_e32 v37, v36, v27
	v_xor_b32_e32 v36, v38, v26
	v_cmp_ne_u64_e32 vcc, s[72:73], v[36:37]
	v_cndmask_b32_e32 v37, v133, v37, vcc
	v_cndmask_b32_e32 v36, -1, v36, vcc
	v_lshrrev_b64 v[36:37], s88, v[36:37]
	v_and_b32_e32 v36, s96, v36
	v_lshl_or_b32 v36, v36, 4, v91
	ds_add_u32 v36, v117
	s_or_b64 exec, exec, s[16:17]
	v_cmp_gt_u32_e32 vcc, s18, v80
	s_and_saveexec_b64 s[16:17], vcc
	s_cbranch_execz .LBB1152_926
.LBB1152_941:                           ;   in Loop: Header=BB1152_899 Depth=2
	v_cmp_gt_i64_e32 vcc, 0, v[24:25]
	v_ashrrev_i32_e32 v37, 31, v25
	v_cndmask_b32_e64 v36, v133, 0, vcc
	v_not_b32_e32 v38, v37
	v_xor_b32_e32 v37, v36, v25
	v_xor_b32_e32 v36, v38, v24
	v_cmp_ne_u64_e32 vcc, s[72:73], v[36:37]
	v_cndmask_b32_e32 v37, v133, v37, vcc
	v_cndmask_b32_e32 v36, -1, v36, vcc
	v_lshrrev_b64 v[36:37], s88, v[36:37]
	v_and_b32_e32 v36, s96, v36
	v_lshl_or_b32 v36, v36, 4, v91
	ds_add_u32 v36, v117
	s_or_b64 exec, exec, s[16:17]
	v_cmp_gt_u32_e32 vcc, s18, v81
	s_and_saveexec_b64 s[16:17], vcc
	s_cbranch_execz .LBB1152_927
.LBB1152_942:                           ;   in Loop: Header=BB1152_899 Depth=2
	v_cmp_gt_i64_e32 vcc, 0, v[22:23]
	v_ashrrev_i32_e32 v37, 31, v23
	v_cndmask_b32_e64 v36, v133, 0, vcc
	v_not_b32_e32 v38, v37
	v_xor_b32_e32 v37, v36, v23
	v_xor_b32_e32 v36, v38, v22
	v_cmp_ne_u64_e32 vcc, s[72:73], v[36:37]
	v_cndmask_b32_e32 v37, v133, v37, vcc
	v_cndmask_b32_e32 v36, -1, v36, vcc
	v_lshrrev_b64 v[36:37], s88, v[36:37]
	v_and_b32_e32 v36, s96, v36
	v_lshl_or_b32 v36, v36, 4, v91
	ds_add_u32 v36, v117
	s_or_b64 exec, exec, s[16:17]
	v_cmp_gt_u32_e32 vcc, s18, v82
	s_and_saveexec_b64 s[16:17], vcc
	s_cbranch_execz .LBB1152_928
.LBB1152_943:                           ;   in Loop: Header=BB1152_899 Depth=2
	v_cmp_gt_i64_e32 vcc, 0, v[20:21]
	v_ashrrev_i32_e32 v37, 31, v21
	v_cndmask_b32_e64 v36, v133, 0, vcc
	v_not_b32_e32 v38, v37
	v_xor_b32_e32 v37, v36, v21
	v_xor_b32_e32 v36, v38, v20
	v_cmp_ne_u64_e32 vcc, s[72:73], v[36:37]
	v_cndmask_b32_e32 v37, v133, v37, vcc
	v_cndmask_b32_e32 v36, -1, v36, vcc
	v_lshrrev_b64 v[36:37], s88, v[36:37]
	v_and_b32_e32 v36, s96, v36
	v_lshl_or_b32 v36, v36, 4, v91
	ds_add_u32 v36, v117
	s_or_b64 exec, exec, s[16:17]
	v_cmp_gt_u32_e32 vcc, s18, v83
	s_and_saveexec_b64 s[16:17], vcc
	s_cbranch_execz .LBB1152_929
.LBB1152_944:                           ;   in Loop: Header=BB1152_899 Depth=2
	v_cmp_gt_i64_e32 vcc, 0, v[18:19]
	v_ashrrev_i32_e32 v37, 31, v19
	v_cndmask_b32_e64 v36, v133, 0, vcc
	v_not_b32_e32 v38, v37
	v_xor_b32_e32 v37, v36, v19
	v_xor_b32_e32 v36, v38, v18
	v_cmp_ne_u64_e32 vcc, s[72:73], v[36:37]
	v_cndmask_b32_e32 v37, v133, v37, vcc
	v_cndmask_b32_e32 v36, -1, v36, vcc
	v_lshrrev_b64 v[36:37], s88, v[36:37]
	v_and_b32_e32 v36, s96, v36
	v_lshl_or_b32 v36, v36, 4, v91
	ds_add_u32 v36, v117
	s_or_b64 exec, exec, s[16:17]
	v_cmp_gt_u32_e32 vcc, s18, v84
	s_and_saveexec_b64 s[16:17], vcc
	s_cbranch_execz .LBB1152_930
.LBB1152_945:                           ;   in Loop: Header=BB1152_899 Depth=2
	v_cmp_gt_i64_e32 vcc, 0, v[16:17]
	v_ashrrev_i32_e32 v37, 31, v17
	v_cndmask_b32_e64 v36, v133, 0, vcc
	v_not_b32_e32 v38, v37
	v_xor_b32_e32 v37, v36, v17
	v_xor_b32_e32 v36, v38, v16
	v_cmp_ne_u64_e32 vcc, s[72:73], v[36:37]
	v_cndmask_b32_e32 v37, v133, v37, vcc
	v_cndmask_b32_e32 v36, -1, v36, vcc
	v_lshrrev_b64 v[36:37], s88, v[36:37]
	v_and_b32_e32 v36, s96, v36
	v_lshl_or_b32 v36, v36, 4, v91
	ds_add_u32 v36, v117
	s_or_b64 exec, exec, s[16:17]
	v_cmp_gt_u32_e32 vcc, s18, v85
	s_and_saveexec_b64 s[16:17], vcc
	s_cbranch_execz .LBB1152_931
.LBB1152_946:                           ;   in Loop: Header=BB1152_899 Depth=2
	v_cmp_gt_i64_e32 vcc, 0, v[14:15]
	v_ashrrev_i32_e32 v37, 31, v15
	v_cndmask_b32_e64 v36, v133, 0, vcc
	v_not_b32_e32 v38, v37
	v_xor_b32_e32 v37, v36, v15
	v_xor_b32_e32 v36, v38, v14
	v_cmp_ne_u64_e32 vcc, s[72:73], v[36:37]
	v_cndmask_b32_e32 v37, v133, v37, vcc
	v_cndmask_b32_e32 v36, -1, v36, vcc
	v_lshrrev_b64 v[36:37], s88, v[36:37]
	v_and_b32_e32 v36, s96, v36
	v_lshl_or_b32 v36, v36, 4, v91
	ds_add_u32 v36, v117
	s_or_b64 exec, exec, s[16:17]
	v_cmp_gt_u32_e32 vcc, s18, v86
	s_and_saveexec_b64 s[16:17], vcc
	s_cbranch_execz .LBB1152_932
.LBB1152_947:                           ;   in Loop: Header=BB1152_899 Depth=2
	v_cmp_gt_i64_e32 vcc, 0, v[12:13]
	v_ashrrev_i32_e32 v37, 31, v13
	v_cndmask_b32_e64 v36, v133, 0, vcc
	v_not_b32_e32 v38, v37
	v_xor_b32_e32 v37, v36, v13
	v_xor_b32_e32 v36, v38, v12
	v_cmp_ne_u64_e32 vcc, s[72:73], v[36:37]
	v_cndmask_b32_e32 v37, v133, v37, vcc
	v_cndmask_b32_e32 v36, -1, v36, vcc
	v_lshrrev_b64 v[36:37], s88, v[36:37]
	v_and_b32_e32 v36, s96, v36
	v_lshl_or_b32 v36, v36, 4, v91
	ds_add_u32 v36, v117
	s_or_b64 exec, exec, s[16:17]
	v_cmp_gt_u32_e32 vcc, s18, v87
	s_and_saveexec_b64 s[16:17], vcc
	s_cbranch_execz .LBB1152_933
.LBB1152_948:                           ;   in Loop: Header=BB1152_899 Depth=2
	v_cmp_gt_i64_e32 vcc, 0, v[10:11]
	v_ashrrev_i32_e32 v37, 31, v11
	v_cndmask_b32_e64 v36, v133, 0, vcc
	v_not_b32_e32 v38, v37
	v_xor_b32_e32 v37, v36, v11
	v_xor_b32_e32 v36, v38, v10
	v_cmp_ne_u64_e32 vcc, s[72:73], v[36:37]
	v_cndmask_b32_e32 v37, v133, v37, vcc
	v_cndmask_b32_e32 v36, -1, v36, vcc
	v_lshrrev_b64 v[36:37], s88, v[36:37]
	v_and_b32_e32 v36, s96, v36
	v_lshl_or_b32 v36, v36, 4, v91
	ds_add_u32 v36, v117
	s_or_b64 exec, exec, s[16:17]
	v_cmp_gt_u32_e32 vcc, s18, v88
	s_and_saveexec_b64 s[16:17], vcc
	s_cbranch_execz .LBB1152_934
.LBB1152_949:                           ;   in Loop: Header=BB1152_899 Depth=2
	v_cmp_gt_i64_e32 vcc, 0, v[8:9]
	v_ashrrev_i32_e32 v37, 31, v9
	v_cndmask_b32_e64 v36, v133, 0, vcc
	v_not_b32_e32 v38, v37
	v_xor_b32_e32 v37, v36, v9
	v_xor_b32_e32 v36, v38, v8
	v_cmp_ne_u64_e32 vcc, s[72:73], v[36:37]
	v_cndmask_b32_e32 v37, v133, v37, vcc
	v_cndmask_b32_e32 v36, -1, v36, vcc
	v_lshrrev_b64 v[36:37], s88, v[36:37]
	v_and_b32_e32 v36, s96, v36
	v_lshl_or_b32 v36, v36, 4, v91
	ds_add_u32 v36, v117
	s_or_b64 exec, exec, s[16:17]
	v_cmp_gt_u32_e32 vcc, s18, v89
	s_and_saveexec_b64 s[16:17], vcc
	s_cbranch_execz .LBB1152_935
.LBB1152_950:                           ;   in Loop: Header=BB1152_899 Depth=2
	v_cmp_gt_i64_e32 vcc, 0, v[6:7]
	v_ashrrev_i32_e32 v37, 31, v7
	v_cndmask_b32_e64 v36, v133, 0, vcc
	v_not_b32_e32 v38, v37
	v_xor_b32_e32 v37, v36, v7
	v_xor_b32_e32 v36, v38, v6
	v_cmp_ne_u64_e32 vcc, s[72:73], v[36:37]
	v_cndmask_b32_e32 v37, v133, v37, vcc
	v_cndmask_b32_e32 v36, -1, v36, vcc
	v_lshrrev_b64 v[36:37], s88, v[36:37]
	v_and_b32_e32 v36, s96, v36
	v_lshl_or_b32 v36, v36, 4, v91
	ds_add_u32 v36, v117
	s_or_b64 exec, exec, s[16:17]
	v_cmp_gt_u32_e32 vcc, s18, v90
	s_and_saveexec_b64 s[16:17], vcc
	s_cbranch_execz .LBB1152_898
.LBB1152_951:                           ;   in Loop: Header=BB1152_899 Depth=2
	v_cmp_gt_i64_e32 vcc, 0, v[4:5]
	v_ashrrev_i32_e32 v37, 31, v5
	v_cndmask_b32_e64 v36, v133, 0, vcc
	v_not_b32_e32 v38, v37
	v_xor_b32_e32 v37, v36, v5
	v_xor_b32_e32 v36, v38, v4
	v_cmp_ne_u64_e32 vcc, s[72:73], v[36:37]
	v_cndmask_b32_e32 v37, v133, v37, vcc
	v_cndmask_b32_e32 v36, -1, v36, vcc
	v_lshrrev_b64 v[36:37], s88, v[36:37]
	v_and_b32_e32 v36, s96, v36
	v_lshl_or_b32 v36, v36, 4, v91
	ds_add_u32 v36, v117
	s_branch .LBB1152_898
.LBB1152_952:                           ;   in Loop: Header=BB1152_899 Depth=2
	global_load_dwordx2 v[34:35], v118, s[16:17]
	s_or_b64 exec, exec, s[18:19]
	v_cmp_gt_u32_e32 vcc, s20, v74
	s_and_saveexec_b64 s[18:19], vcc
	s_cbranch_execz .LBB1152_904
.LBB1152_953:                           ;   in Loop: Header=BB1152_899 Depth=2
	global_load_dwordx2 v[32:33], v118, s[16:17] offset:2048
	s_or_b64 exec, exec, s[18:19]
	v_cmp_gt_u32_e32 vcc, s20, v75
	s_and_saveexec_b64 s[18:19], vcc
	s_cbranch_execz .LBB1152_905
.LBB1152_954:                           ;   in Loop: Header=BB1152_899 Depth=2
	global_load_dwordx2 v[30:31], v119, s[16:17]
	s_or_b64 exec, exec, s[18:19]
	v_cmp_gt_u32_e32 vcc, s20, v76
	s_and_saveexec_b64 s[18:19], vcc
	s_cbranch_execz .LBB1152_906
.LBB1152_955:                           ;   in Loop: Header=BB1152_899 Depth=2
	global_load_dwordx2 v[28:29], v120, s[16:17]
	s_or_b64 exec, exec, s[18:19]
	v_cmp_gt_u32_e32 vcc, s20, v79
	s_and_saveexec_b64 s[18:19], vcc
	s_cbranch_execz .LBB1152_907
.LBB1152_956:                           ;   in Loop: Header=BB1152_899 Depth=2
	global_load_dwordx2 v[26:27], v121, s[16:17]
	s_or_b64 exec, exec, s[18:19]
	v_cmp_gt_u32_e32 vcc, s20, v80
	s_and_saveexec_b64 s[18:19], vcc
	s_cbranch_execz .LBB1152_908
.LBB1152_957:                           ;   in Loop: Header=BB1152_899 Depth=2
	global_load_dwordx2 v[24:25], v122, s[16:17]
	s_or_b64 exec, exec, s[18:19]
	v_cmp_gt_u32_e32 vcc, s20, v81
	s_and_saveexec_b64 s[18:19], vcc
	s_cbranch_execz .LBB1152_909
.LBB1152_958:                           ;   in Loop: Header=BB1152_899 Depth=2
	global_load_dwordx2 v[22:23], v123, s[16:17]
	s_or_b64 exec, exec, s[18:19]
	v_cmp_gt_u32_e32 vcc, s20, v82
	s_and_saveexec_b64 s[18:19], vcc
	s_cbranch_execz .LBB1152_910
.LBB1152_959:                           ;   in Loop: Header=BB1152_899 Depth=2
	global_load_dwordx2 v[20:21], v124, s[16:17]
	s_or_b64 exec, exec, s[18:19]
	v_cmp_gt_u32_e32 vcc, s20, v83
	s_and_saveexec_b64 s[18:19], vcc
	s_cbranch_execz .LBB1152_911
.LBB1152_960:                           ;   in Loop: Header=BB1152_899 Depth=2
	global_load_dwordx2 v[18:19], v125, s[16:17]
	s_or_b64 exec, exec, s[18:19]
	v_cmp_gt_u32_e32 vcc, s20, v84
	s_and_saveexec_b64 s[18:19], vcc
	s_cbranch_execz .LBB1152_912
.LBB1152_961:                           ;   in Loop: Header=BB1152_899 Depth=2
	global_load_dwordx2 v[16:17], v126, s[16:17]
	s_or_b64 exec, exec, s[18:19]
	v_cmp_gt_u32_e32 vcc, s20, v85
	s_and_saveexec_b64 s[18:19], vcc
	s_cbranch_execz .LBB1152_913
.LBB1152_962:                           ;   in Loop: Header=BB1152_899 Depth=2
	global_load_dwordx2 v[14:15], v127, s[16:17]
	s_or_b64 exec, exec, s[18:19]
	v_cmp_gt_u32_e32 vcc, s20, v86
	s_and_saveexec_b64 s[18:19], vcc
	s_cbranch_execz .LBB1152_914
.LBB1152_963:                           ;   in Loop: Header=BB1152_899 Depth=2
	global_load_dwordx2 v[12:13], v128, s[16:17]
	s_or_b64 exec, exec, s[18:19]
	v_cmp_gt_u32_e32 vcc, s20, v87
	s_and_saveexec_b64 s[18:19], vcc
	s_cbranch_execz .LBB1152_915
.LBB1152_964:                           ;   in Loop: Header=BB1152_899 Depth=2
	global_load_dwordx2 v[10:11], v129, s[16:17]
	s_or_b64 exec, exec, s[18:19]
	v_cmp_gt_u32_e32 vcc, s20, v88
	s_and_saveexec_b64 s[18:19], vcc
	s_cbranch_execz .LBB1152_916
.LBB1152_965:                           ;   in Loop: Header=BB1152_899 Depth=2
	global_load_dwordx2 v[8:9], v130, s[16:17]
	s_or_b64 exec, exec, s[18:19]
	v_cmp_gt_u32_e32 vcc, s20, v89
	s_and_saveexec_b64 s[18:19], vcc
	s_cbranch_execz .LBB1152_917
.LBB1152_966:                           ;   in Loop: Header=BB1152_899 Depth=2
	global_load_dwordx2 v[6:7], v131, s[16:17]
	s_or_b64 exec, exec, s[18:19]
	v_cmp_gt_u32_e32 vcc, s20, v90
	s_and_saveexec_b64 s[18:19], vcc
	s_cbranch_execnz .LBB1152_918
	s_branch .LBB1152_919
.LBB1152_967:                           ;   in Loop: Header=BB1152_17 Depth=1
	v_mov_b32_e32 v4, 0
	s_waitcnt lgkmcnt(0)
	s_barrier
	s_and_saveexec_b64 s[16:17], s[4:5]
	s_cbranch_execz .LBB1152_969
; %bb.968:                              ;   in Loop: Header=BB1152_17 Depth=1
	ds_read2_b64 v[4:7], v92 offset1:1
	s_waitcnt lgkmcnt(0)
	v_add_u32_e32 v4, v5, v4
	v_add3_u32 v4, v4, v6, v7
.LBB1152_969:                           ;   in Loop: Header=BB1152_17 Depth=1
	s_or_b64 exec, exec, s[16:17]
	v_and_b32_e32 v5, 15, v134
	v_mov_b32_dpp v6, v4 row_shr:1 row_mask:0xf bank_mask:0xf
	v_cmp_eq_u32_e64 s[16:17], 0, v5
	v_cndmask_b32_e64 v6, v6, 0, s[16:17]
	v_add_u32_e32 v4, v6, v4
	v_cmp_lt_u32_e64 s[18:19], 1, v5
	v_cmp_lt_u32_e64 s[20:21], 3, v5
	v_mov_b32_dpp v6, v4 row_shr:2 row_mask:0xf bank_mask:0xf
	v_cndmask_b32_e64 v6, 0, v6, s[18:19]
	v_add_u32_e32 v4, v4, v6
	v_cmp_lt_u32_e64 s[22:23], 7, v5
	v_cmp_lt_u32_e64 s[26:27], 31, v134
	v_mov_b32_dpp v6, v4 row_shr:4 row_mask:0xf bank_mask:0xf
	v_cndmask_b32_e64 v6, 0, v6, s[20:21]
	v_add_u32_e32 v4, v4, v6
	v_and_b32_e32 v7, 16, v134
	v_cmp_eq_u32_e64 s[24:25], 0, v7
	v_mov_b32_dpp v6, v4 row_shr:8 row_mask:0xf bank_mask:0xf
	v_cndmask_b32_e64 v5, 0, v6, s[22:23]
	v_add_u32_e32 v4, v4, v5
	v_bfe_i32 v6, v134, 4, 1
	s_nop 0
	v_mov_b32_dpp v5, v4 row_bcast:15 row_mask:0xf bank_mask:0xf
	v_and_b32_e32 v5, v6, v5
	v_add_u32_e32 v4, v4, v5
	s_nop 1
	v_mov_b32_dpp v5, v4 row_bcast:31 row_mask:0xf bank_mask:0xf
	v_cndmask_b32_e64 v5, 0, v5, s[26:27]
	v_add_u32_e32 v5, v4, v5
	s_and_saveexec_b64 s[28:29], s[6:7]
; %bb.970:                              ;   in Loop: Header=BB1152_17 Depth=1
	ds_write_b32 v94, v5
; %bb.971:                              ;   in Loop: Header=BB1152_17 Depth=1
	s_or_b64 exec, exec, s[28:29]
	v_and_b32_e32 v4, 3, v134
	s_waitcnt lgkmcnt(0)
	s_barrier
	s_and_saveexec_b64 s[28:29], s[8:9]
	s_cbranch_execz .LBB1152_973
; %bb.972:                              ;   in Loop: Header=BB1152_17 Depth=1
	ds_read_b32 v6, v95
	v_cmp_ne_u32_e32 vcc, 0, v4
	s_waitcnt lgkmcnt(0)
	v_mov_b32_dpp v7, v6 row_shr:1 row_mask:0xf bank_mask:0xf
	v_cndmask_b32_e32 v7, 0, v7, vcc
	v_add_u32_e32 v6, v7, v6
	v_cmp_lt_u32_e32 vcc, 1, v4
	s_nop 0
	v_mov_b32_dpp v7, v6 row_shr:2 row_mask:0xf bank_mask:0xf
	v_cndmask_b32_e32 v7, 0, v7, vcc
	v_add_u32_e32 v6, v6, v7
	ds_write_b32 v95, v6
.LBB1152_973:                           ;   in Loop: Header=BB1152_17 Depth=1
	s_or_b64 exec, exec, s[28:29]
	v_mov_b32_e32 v6, 0
	s_waitcnt lgkmcnt(0)
	s_barrier
	s_and_saveexec_b64 s[28:29], s[10:11]
; %bb.974:                              ;   in Loop: Header=BB1152_17 Depth=1
	ds_read_b32 v6, v96
; %bb.975:                              ;   in Loop: Header=BB1152_17 Depth=1
	s_or_b64 exec, exec, s[28:29]
	v_subrev_co_u32_e64 v7, s[28:29], 1, v134
	v_and_b32_e32 v8, 64, v134
	v_cmp_lt_i32_e32 vcc, v7, v8
	v_cndmask_b32_e32 v7, v7, v134, vcc
	s_waitcnt lgkmcnt(0)
	v_add_u32_e32 v5, v6, v5
	v_lshlrev_b32_e32 v135, 2, v7
	ds_bpermute_b32 v5, v135, v5
	s_waitcnt lgkmcnt(0)
	s_barrier
	s_and_saveexec_b64 s[30:31], s[4:5]
; %bb.976:                              ;   in Loop: Header=BB1152_17 Depth=1
	v_cndmask_b32_e64 v5, v5, v6, s[28:29]
	v_add_u32_e32 v5, s69, v5
	ds_write_b32 v73, v5
; %bb.977:                              ;   in Loop: Header=BB1152_17 Depth=1
	s_or_b64 exec, exec, s[30:31]
	s_load_dwordx2 s[30:31], s[74:75], 0x0
	s_mov_b32 s97, s91
	s_mov_b32 s82, s69
                                        ; implicit-def: $vgpr5_vgpr6
                                        ; implicit-def: $vgpr7_vgpr8
                                        ; implicit-def: $vgpr9_vgpr10
                                        ; implicit-def: $vgpr13_vgpr14
                                        ; implicit-def: $vgpr17_vgpr18
                                        ; implicit-def: $vgpr21_vgpr22
                                        ; implicit-def: $vgpr25_vgpr26
                                        ; implicit-def: $vgpr29_vgpr30
                                        ; implicit-def: $vgpr11_vgpr12
                                        ; implicit-def: $vgpr15_vgpr16
                                        ; implicit-def: $vgpr19_vgpr20
                                        ; implicit-def: $vgpr23_vgpr24
                                        ; implicit-def: $vgpr27_vgpr28
                                        ; implicit-def: $vgpr31_vgpr32
                                        ; implicit-def: $vgpr33_vgpr34
                                        ; implicit-def: $vgpr35_vgpr36
                                        ; implicit-def: $vgpr136
                                        ; implicit-def: $vgpr137
                                        ; implicit-def: $vgpr138
                                        ; implicit-def: $vgpr139
                                        ; implicit-def: $vgpr140
                                        ; implicit-def: $vgpr141
                                        ; implicit-def: $vgpr142
                                        ; implicit-def: $vgpr144
                                        ; implicit-def: $vgpr146
                                        ; implicit-def: $vgpr148
                                        ; implicit-def: $vgpr150
                                        ; implicit-def: $vgpr152
                                        ; implicit-def: $vgpr154
                                        ; implicit-def: $vgpr156
                                        ; implicit-def: $vgpr158
                                        ; implicit-def: $vgpr160
	s_waitcnt lgkmcnt(0)
	s_cmp_lt_u32 s33, s31
	s_cselect_b32 s31, 14, 20
	s_add_u32 s34, s74, s31
	s_addc_u32 s35, s75, 0
	s_cmp_lt_u32 s68, s30
	s_cselect_b32 s30, 12, 18
	s_add_u32 s30, s74, s30
	global_load_ushort v37, v3, s[34:35]
	s_addc_u32 s31, s75, 0
	global_load_ushort v38, v3, s[30:31]
	v_cmp_eq_u32_e64 s[30:31], 0, v4
	v_cmp_lt_u32_e64 s[34:35], 1, v4
	v_and_b32_e32 v4, 63, v134
	v_lshlrev_b32_e32 v39, 3, v4
	v_or_b32_e32 v143, v4, v97
	v_add_co_u32_e32 v145, vcc, v113, v39
	v_addc_co_u32_e32 v147, vcc, 0, v114, vcc
	v_add_co_u32_e32 v170, vcc, v115, v39
	v_or_b32_e32 v149, 64, v143
	v_or_b32_e32 v151, 0x80, v143
	;; [unrolled: 1-line block ×15, first 2 shown]
	v_addc_co_u32_e32 v171, vcc, 0, v116, vcc
	s_waitcnt vmcnt(1)
	v_mad_u32_u24 v4, v2, v37, v1
	s_waitcnt vmcnt(0)
	v_mad_u64_u32 v[37:38], s[36:37], v4, v38, v[0:1]
	v_lshrrev_b32_e32 v4, 4, v37
	v_and_b32_e32 v172, 0xffffffc, v4
	s_branch .LBB1152_979
.LBB1152_978:                           ;   in Loop: Header=BB1152_979 Depth=2
	s_or_b64 exec, exec, s[36:37]
	s_addk_i32 s97, 0xf000
	s_cmp_lt_u32 s98, s94
	s_mov_b32 s82, s98
	s_cbranch_scc0 .LBB1152_15
.LBB1152_979:                           ;   Parent Loop BB1152_17 Depth=1
                                        ; =>  This Inner Loop Header: Depth=2
	s_add_i32 s98, s82, 0x1000
	s_cmp_gt_u32 s98, s94
	s_cbranch_scc1 .LBB1152_981
; %bb.980:                              ;   in Loop: Header=BB1152_979 Depth=2
	s_mov_b32 s83, s72
	s_lshl_b64 s[36:37], s[82:83], 3
	v_mov_b32_e32 v4, s37
	v_add_co_u32_e32 v41, vcc, s36, v170
	v_addc_co_u32_e32 v42, vcc, v171, v4, vcc
	global_load_dwordx2 v[37:38], v[41:42], off
	global_load_dwordx2 v[39:40], v[41:42], off offset:512
	global_load_dwordx2 v[45:46], v[41:42], off offset:1024
	;; [unrolled: 1-line block ×7, first 2 shown]
	v_add_co_u32_e32 v41, vcc, 0x1000, v41
	v_addc_co_u32_e32 v42, vcc, 0, v42, vcc
	global_load_dwordx2 v[67:68], v[41:42], off
	global_load_dwordx2 v[61:62], v[41:42], off offset:512
	global_load_dwordx2 v[59:60], v[41:42], off offset:1024
	;; [unrolled: 1-line block ×5, first 2 shown]
	s_nop 0
	global_load_dwordx2 v[41:42], v[41:42], off offset:3072
	s_mov_b64 s[36:37], -1
	s_movk_i32 s40, 0x1000
	s_cbranch_execz .LBB1152_982
	s_branch .LBB1152_1013
.LBB1152_981:                           ;   in Loop: Header=BB1152_979 Depth=2
	s_mov_b64 s[36:37], 0
                                        ; implicit-def: $vgpr37_vgpr38
                                        ; implicit-def: $vgpr39_vgpr40
                                        ; implicit-def: $vgpr45_vgpr46
                                        ; implicit-def: $vgpr49_vgpr50
                                        ; implicit-def: $vgpr53_vgpr54
                                        ; implicit-def: $vgpr57_vgpr58
                                        ; implicit-def: $vgpr63_vgpr64
                                        ; implicit-def: $vgpr65_vgpr66
                                        ; implicit-def: $vgpr67_vgpr68
                                        ; implicit-def: $vgpr61_vgpr62
                                        ; implicit-def: $vgpr59_vgpr60
                                        ; implicit-def: $vgpr55_vgpr56
                                        ; implicit-def: $vgpr51_vgpr52
                                        ; implicit-def: $vgpr47_vgpr48
                                        ; implicit-def: $vgpr41_vgpr42
	s_movk_i32 s40, 0x1000
.LBB1152_982:                           ;   in Loop: Header=BB1152_979 Depth=2
	s_mov_b32 s83, s72
	s_lshl_b64 s[36:37], s[82:83], 3
	v_mov_b32_e32 v4, s37
	v_add_co_u32_e32 v43, vcc, s36, v170
	v_addc_co_u32_e32 v44, vcc, v171, v4, vcc
	s_waitcnt vmcnt(13)
	v_mov_b32_e32 v39, -1
	v_mov_b32_e32 v37, -1
	;; [unrolled: 1-line block ×4, first 2 shown]
	v_cmp_gt_u32_e32 vcc, s97, v143
	s_and_saveexec_b64 s[36:37], vcc
	s_cbranch_execz .LBB1152_984
; %bb.983:                              ;   in Loop: Header=BB1152_979 Depth=2
	global_load_dwordx2 v[37:38], v[43:44], off
.LBB1152_984:                           ;   in Loop: Header=BB1152_979 Depth=2
	s_or_b64 exec, exec, s[36:37]
	v_cmp_gt_u32_e32 vcc, s97, v149
	s_and_saveexec_b64 s[36:37], vcc
	s_cbranch_execz .LBB1152_986
; %bb.985:                              ;   in Loop: Header=BB1152_979 Depth=2
	global_load_dwordx2 v[39:40], v[43:44], off offset:512
.LBB1152_986:                           ;   in Loop: Header=BB1152_979 Depth=2
	s_or_b64 exec, exec, s[36:37]
	s_waitcnt vmcnt(11)
	v_mov_b32_e32 v49, -1
	v_mov_b32_e32 v45, -1
	v_mov_b32_e32 v50, -1
	v_mov_b32_e32 v46, -1
	v_cmp_gt_u32_e32 vcc, s97, v151
	s_and_saveexec_b64 s[36:37], vcc
	s_cbranch_execz .LBB1152_988
; %bb.987:                              ;   in Loop: Header=BB1152_979 Depth=2
	global_load_dwordx2 v[45:46], v[43:44], off offset:1024
.LBB1152_988:                           ;   in Loop: Header=BB1152_979 Depth=2
	s_or_b64 exec, exec, s[36:37]
	v_cmp_gt_u32_e32 vcc, s97, v153
	s_and_saveexec_b64 s[36:37], vcc
	s_cbranch_execz .LBB1152_990
; %bb.989:                              ;   in Loop: Header=BB1152_979 Depth=2
	global_load_dwordx2 v[49:50], v[43:44], off offset:1536
.LBB1152_990:                           ;   in Loop: Header=BB1152_979 Depth=2
	s_or_b64 exec, exec, s[36:37]
	s_waitcnt vmcnt(9)
	v_mov_b32_e32 v57, -1
	v_mov_b32_e32 v53, -1
	v_mov_b32_e32 v58, -1
	v_mov_b32_e32 v54, -1
	v_cmp_gt_u32_e32 vcc, s97, v155
	s_and_saveexec_b64 s[36:37], vcc
	s_cbranch_execz .LBB1152_992
; %bb.991:                              ;   in Loop: Header=BB1152_979 Depth=2
	global_load_dwordx2 v[53:54], v[43:44], off offset:2048
.LBB1152_992:                           ;   in Loop: Header=BB1152_979 Depth=2
	s_or_b64 exec, exec, s[36:37]
	v_cmp_gt_u32_e32 vcc, s97, v157
	s_and_saveexec_b64 s[36:37], vcc
	s_cbranch_execz .LBB1152_994
; %bb.993:                              ;   in Loop: Header=BB1152_979 Depth=2
	global_load_dwordx2 v[57:58], v[43:44], off offset:2560
.LBB1152_994:                           ;   in Loop: Header=BB1152_979 Depth=2
	s_or_b64 exec, exec, s[36:37]
	s_waitcnt vmcnt(7)
	v_mov_b32_e32 v65, -1
	v_mov_b32_e32 v63, -1
	v_mov_b32_e32 v66, -1
	v_mov_b32_e32 v64, -1
	v_cmp_gt_u32_e32 vcc, s97, v159
	s_and_saveexec_b64 s[36:37], vcc
	s_cbranch_execz .LBB1152_996
; %bb.995:                              ;   in Loop: Header=BB1152_979 Depth=2
	global_load_dwordx2 v[63:64], v[43:44], off offset:3072
.LBB1152_996:                           ;   in Loop: Header=BB1152_979 Depth=2
	s_or_b64 exec, exec, s[36:37]
	v_cmp_gt_u32_e32 vcc, s97, v161
	s_and_saveexec_b64 s[36:37], vcc
	s_cbranch_execz .LBB1152_998
; %bb.997:                              ;   in Loop: Header=BB1152_979 Depth=2
	global_load_dwordx2 v[65:66], v[43:44], off offset:3584
.LBB1152_998:                           ;   in Loop: Header=BB1152_979 Depth=2
	s_or_b64 exec, exec, s[36:37]
	s_waitcnt vmcnt(5)
	v_mov_b32_e32 v61, -1
	v_mov_b32_e32 v67, -1
	v_mov_b32_e32 v62, -1
	v_mov_b32_e32 v68, -1
	v_cmp_gt_u32_e32 vcc, s97, v162
	s_and_saveexec_b64 s[36:37], vcc
	s_cbranch_execz .LBB1152_1000
; %bb.999:                              ;   in Loop: Header=BB1152_979 Depth=2
	s_waitcnt vmcnt(0)
	v_add_co_u32_e32 v41, vcc, 0x1000, v43
	v_addc_co_u32_e32 v42, vcc, 0, v44, vcc
	global_load_dwordx2 v[67:68], v[41:42], off
.LBB1152_1000:                          ;   in Loop: Header=BB1152_979 Depth=2
	s_or_b64 exec, exec, s[36:37]
	v_cmp_gt_u32_e32 vcc, s97, v163
	s_and_saveexec_b64 s[36:37], vcc
	s_cbranch_execz .LBB1152_1002
; %bb.1001:                             ;   in Loop: Header=BB1152_979 Depth=2
	s_waitcnt vmcnt(0)
	v_add_co_u32_e32 v41, vcc, 0x1000, v43
	v_addc_co_u32_e32 v42, vcc, 0, v44, vcc
	global_load_dwordx2 v[61:62], v[41:42], off offset:512
.LBB1152_1002:                          ;   in Loop: Header=BB1152_979 Depth=2
	s_or_b64 exec, exec, s[36:37]
	s_waitcnt vmcnt(3)
	v_mov_b32_e32 v55, -1
	v_mov_b32_e32 v59, -1
	;; [unrolled: 1-line block ×4, first 2 shown]
	v_cmp_gt_u32_e32 vcc, s97, v164
	s_and_saveexec_b64 s[36:37], vcc
	s_cbranch_execz .LBB1152_1004
; %bb.1003:                             ;   in Loop: Header=BB1152_979 Depth=2
	s_waitcnt vmcnt(0)
	v_add_co_u32_e32 v41, vcc, 0x1000, v43
	v_addc_co_u32_e32 v42, vcc, 0, v44, vcc
	global_load_dwordx2 v[59:60], v[41:42], off offset:1024
.LBB1152_1004:                          ;   in Loop: Header=BB1152_979 Depth=2
	s_or_b64 exec, exec, s[36:37]
	v_cmp_gt_u32_e32 vcc, s97, v165
	s_and_saveexec_b64 s[36:37], vcc
	s_cbranch_execz .LBB1152_1006
; %bb.1005:                             ;   in Loop: Header=BB1152_979 Depth=2
	s_waitcnt vmcnt(0)
	v_add_co_u32_e32 v41, vcc, 0x1000, v43
	v_addc_co_u32_e32 v42, vcc, 0, v44, vcc
	global_load_dwordx2 v[55:56], v[41:42], off offset:1536
.LBB1152_1006:                          ;   in Loop: Header=BB1152_979 Depth=2
	s_or_b64 exec, exec, s[36:37]
	s_waitcnt vmcnt(1)
	v_mov_b32_e32 v47, -1
	v_mov_b32_e32 v51, -1
	;; [unrolled: 1-line block ×4, first 2 shown]
	v_cmp_gt_u32_e32 vcc, s97, v166
	s_and_saveexec_b64 s[36:37], vcc
	s_cbranch_execz .LBB1152_1008
; %bb.1007:                             ;   in Loop: Header=BB1152_979 Depth=2
	s_waitcnt vmcnt(0)
	v_add_co_u32_e32 v41, vcc, 0x1000, v43
	v_addc_co_u32_e32 v42, vcc, 0, v44, vcc
	global_load_dwordx2 v[51:52], v[41:42], off offset:2048
.LBB1152_1008:                          ;   in Loop: Header=BB1152_979 Depth=2
	s_or_b64 exec, exec, s[36:37]
	v_cmp_gt_u32_e32 vcc, s97, v167
	s_and_saveexec_b64 s[36:37], vcc
	s_cbranch_execz .LBB1152_1010
; %bb.1009:                             ;   in Loop: Header=BB1152_979 Depth=2
	s_waitcnt vmcnt(0)
	v_add_co_u32_e32 v41, vcc, 0x1000, v43
	v_addc_co_u32_e32 v42, vcc, 0, v44, vcc
	global_load_dwordx2 v[47:48], v[41:42], off offset:2560
.LBB1152_1010:                          ;   in Loop: Header=BB1152_979 Depth=2
	s_or_b64 exec, exec, s[36:37]
	s_waitcnt vmcnt(0)
	v_mov_b32_e32 v41, -1
	v_mov_b32_e32 v42, -1
	v_cmp_gt_u32_e32 vcc, s97, v168
	s_and_saveexec_b64 s[36:37], vcc
	s_cbranch_execz .LBB1152_1012
; %bb.1011:                             ;   in Loop: Header=BB1152_979 Depth=2
	v_add_co_u32_e32 v41, vcc, 0x1000, v43
	v_addc_co_u32_e32 v42, vcc, 0, v44, vcc
	global_load_dwordx2 v[41:42], v[41:42], off offset:3072
.LBB1152_1012:                          ;   in Loop: Header=BB1152_979 Depth=2
	s_or_b64 exec, exec, s[36:37]
	s_sub_i32 s40, s94, s82
	v_cmp_gt_u32_e64 s[36:37], s97, v169
.LBB1152_1013:                          ;   in Loop: Header=BB1152_979 Depth=2
	v_mov_b32_e32 v43, -1
	v_mov_b32_e32 v44, -1
	v_mov_b32_e32 v173, s97
	s_and_saveexec_b64 s[38:39], s[36:37]
	s_cbranch_execz .LBB1152_1015
; %bb.1014:                             ;   in Loop: Header=BB1152_979 Depth=2
	s_lshl_b64 s[36:37], s[82:83], 3
	v_mov_b32_e32 v4, s37
	v_add_co_u32_e32 v43, vcc, s36, v170
	v_addc_co_u32_e32 v4, vcc, v171, v4, vcc
	v_add_co_u32_e32 v43, vcc, 0x1000, v43
	v_addc_co_u32_e32 v44, vcc, 0, v4, vcc
	global_load_dwordx2 v[43:44], v[43:44], off offset:3584
	v_mov_b32_e32 v173, s40
.LBB1152_1015:                          ;   in Loop: Header=BB1152_979 Depth=2
	s_or_b64 exec, exec, s[38:39]
	s_waitcnt vmcnt(14)
	v_cmp_gt_i64_e32 vcc, 0, v[37:38]
	v_ashrrev_i32_e32 v69, 31, v38
	v_cndmask_b32_e64 v4, v133, 0, vcc
	v_not_b32_e32 v69, v69
	v_xor_b32_e32 v38, v4, v38
	v_xor_b32_e32 v37, v69, v37
	v_cmp_ne_u64_e32 vcc, s[72:73], v[37:38]
	v_add_u32_e32 v175, 0x410, v98
	v_cndmask_b32_e32 v70, v133, v38, vcc
	v_cndmask_b32_e32 v69, -1, v37, vcc
	v_lshrrev_b64 v[69:70], s88, v[69:70]
	v_add_u32_e32 v174, 0x418, v98
	v_and_b32_e32 v69, s96, v69
	v_and_b32_e32 v4, 1, v69
	v_add_co_u32_e32 v70, vcc, -1, v4
	v_addc_co_u32_e64 v72, s[36:37], 0, -1, vcc
	v_cmp_ne_u32_e32 vcc, 0, v4
	v_xor_b32_e32 v4, vcc_hi, v72
	v_and_b32_e32 v72, exec_hi, v4
	v_lshlrev_b32_e32 v4, 30, v69
	v_xor_b32_e32 v70, vcc_lo, v70
	v_cmp_gt_i64_e32 vcc, 0, v[3:4]
	v_not_b32_e32 v4, v4
	v_ashrrev_i32_e32 v4, 31, v4
	v_and_b32_e32 v70, exec_lo, v70
	v_xor_b32_e32 v176, vcc_hi, v4
	v_xor_b32_e32 v4, vcc_lo, v4
	v_and_b32_e32 v70, v70, v4
	v_lshlrev_b32_e32 v4, 29, v69
	v_cmp_gt_i64_e32 vcc, 0, v[3:4]
	v_not_b32_e32 v4, v4
	v_ashrrev_i32_e32 v4, 31, v4
	v_and_b32_e32 v72, v72, v176
	v_xor_b32_e32 v176, vcc_hi, v4
	v_xor_b32_e32 v4, vcc_lo, v4
	v_and_b32_e32 v70, v70, v4
	v_lshlrev_b32_e32 v4, 28, v69
	v_cmp_gt_i64_e32 vcc, 0, v[3:4]
	v_not_b32_e32 v4, v4
	v_ashrrev_i32_e32 v4, 31, v4
	v_and_b32_e32 v72, v72, v176
	;; [unrolled: 8-line block ×5, first 2 shown]
	v_xor_b32_e32 v176, vcc_hi, v4
	v_xor_b32_e32 v4, vcc_lo, v4
	v_and_b32_e32 v72, v72, v176
	v_and_b32_e32 v176, v70, v4
	v_lshlrev_b32_e32 v4, 24, v69
	v_cmp_gt_i64_e32 vcc, 0, v[3:4]
	v_not_b32_e32 v4, v4
	v_ashrrev_i32_e32 v4, 31, v4
	v_mul_u32_u24_e32 v71, 20, v69
	v_xor_b32_e32 v69, vcc_hi, v4
	v_xor_b32_e32 v4, vcc_lo, v4
	v_and_b32_e32 v70, v72, v69
	v_and_b32_e32 v69, v176, v4
	v_mbcnt_lo_u32_b32 v4, v69, 0
	v_mbcnt_hi_u32_b32 v176, v70, v4
	v_cmp_ne_u64_e32 vcc, 0, v[69:70]
	v_cmp_eq_u32_e64 s[36:37], 0, v176
	s_and_b64 s[38:39], vcc, s[36:37]
	v_add_u32_e32 v178, v172, v71
	ds_write2_b32 v175, v3, v3 offset1:1
	ds_write2_b32 v174, v3, v3 offset1:1
	ds_write_b32 v98, v3 offset:1056
	s_waitcnt vmcnt(0) lgkmcnt(0)
	s_barrier
	; wave barrier
	s_and_saveexec_b64 s[36:37], s[38:39]
; %bb.1016:                             ;   in Loop: Header=BB1152_979 Depth=2
	v_bcnt_u32_b32 v4, v69, 0
	v_bcnt_u32_b32 v4, v70, v4
	ds_write_b32 v178, v4 offset:1040
; %bb.1017:                             ;   in Loop: Header=BB1152_979 Depth=2
	s_or_b64 exec, exec, s[36:37]
	v_cmp_gt_i64_e32 vcc, 0, v[39:40]
	v_ashrrev_i32_e32 v69, 31, v40
	v_cndmask_b32_e64 v4, v133, 0, vcc
	v_not_b32_e32 v69, v69
	v_xor_b32_e32 v40, v4, v40
	v_xor_b32_e32 v39, v69, v39
	v_cmp_ne_u64_e32 vcc, s[72:73], v[39:40]
	v_cndmask_b32_e32 v70, v133, v40, vcc
	v_cndmask_b32_e32 v69, -1, v39, vcc
	v_lshrrev_b64 v[69:70], s88, v[69:70]
	; wave barrier
	v_and_b32_e32 v69, s96, v69
	v_mad_u32_u24 v4, v69, 20, v172
	ds_read_b32 v177, v4 offset:1040
	v_and_b32_e32 v4, 1, v69
	v_add_co_u32_e32 v70, vcc, -1, v4
	v_addc_co_u32_e64 v72, s[36:37], 0, -1, vcc
	v_cmp_ne_u32_e32 vcc, 0, v4
	v_xor_b32_e32 v4, vcc_hi, v72
	v_and_b32_e32 v72, exec_hi, v4
	v_lshlrev_b32_e32 v4, 30, v69
	v_xor_b32_e32 v70, vcc_lo, v70
	v_cmp_gt_i64_e32 vcc, 0, v[3:4]
	v_not_b32_e32 v4, v4
	v_ashrrev_i32_e32 v4, 31, v4
	v_and_b32_e32 v70, exec_lo, v70
	v_xor_b32_e32 v179, vcc_hi, v4
	v_xor_b32_e32 v4, vcc_lo, v4
	v_and_b32_e32 v70, v70, v4
	v_lshlrev_b32_e32 v4, 29, v69
	v_cmp_gt_i64_e32 vcc, 0, v[3:4]
	v_not_b32_e32 v4, v4
	v_ashrrev_i32_e32 v4, 31, v4
	v_and_b32_e32 v72, v72, v179
	v_xor_b32_e32 v179, vcc_hi, v4
	v_xor_b32_e32 v4, vcc_lo, v4
	v_and_b32_e32 v70, v70, v4
	v_lshlrev_b32_e32 v4, 28, v69
	v_cmp_gt_i64_e32 vcc, 0, v[3:4]
	v_not_b32_e32 v4, v4
	v_ashrrev_i32_e32 v4, 31, v4
	v_and_b32_e32 v72, v72, v179
	;; [unrolled: 8-line block ×5, first 2 shown]
	v_xor_b32_e32 v179, vcc_hi, v4
	v_xor_b32_e32 v4, vcc_lo, v4
	v_and_b32_e32 v72, v72, v179
	v_and_b32_e32 v179, v70, v4
	v_lshlrev_b32_e32 v4, 24, v69
	v_cmp_gt_i64_e32 vcc, 0, v[3:4]
	v_not_b32_e32 v4, v4
	v_ashrrev_i32_e32 v4, 31, v4
	v_mul_u32_u24_e32 v71, 20, v69
	v_xor_b32_e32 v69, vcc_hi, v4
	v_xor_b32_e32 v4, vcc_lo, v4
	v_and_b32_e32 v70, v72, v69
	v_and_b32_e32 v69, v179, v4
	v_mbcnt_lo_u32_b32 v4, v69, 0
	v_mbcnt_hi_u32_b32 v179, v70, v4
	v_cmp_ne_u64_e32 vcc, 0, v[69:70]
	v_cmp_eq_u32_e64 s[36:37], 0, v179
	s_and_b64 s[38:39], vcc, s[36:37]
	v_add_u32_e32 v181, v172, v71
	; wave barrier
	s_and_saveexec_b64 s[36:37], s[38:39]
	s_cbranch_execz .LBB1152_1019
; %bb.1018:                             ;   in Loop: Header=BB1152_979 Depth=2
	v_bcnt_u32_b32 v4, v69, 0
	v_bcnt_u32_b32 v4, v70, v4
	s_waitcnt lgkmcnt(0)
	v_add_u32_e32 v4, v177, v4
	ds_write_b32 v181, v4 offset:1040
.LBB1152_1019:                          ;   in Loop: Header=BB1152_979 Depth=2
	s_or_b64 exec, exec, s[36:37]
	v_cmp_gt_i64_e32 vcc, 0, v[45:46]
	v_ashrrev_i32_e32 v69, 31, v46
	v_cndmask_b32_e64 v4, v133, 0, vcc
	v_not_b32_e32 v69, v69
	v_xor_b32_e32 v46, v4, v46
	v_xor_b32_e32 v45, v69, v45
	v_cmp_ne_u64_e32 vcc, s[72:73], v[45:46]
	v_cndmask_b32_e32 v70, v133, v46, vcc
	v_cndmask_b32_e32 v69, -1, v45, vcc
	v_lshrrev_b64 v[69:70], s88, v[69:70]
	; wave barrier
	v_and_b32_e32 v69, s96, v69
	v_mad_u32_u24 v4, v69, 20, v172
	ds_read_b32 v180, v4 offset:1040
	v_and_b32_e32 v4, 1, v69
	v_add_co_u32_e32 v70, vcc, -1, v4
	v_addc_co_u32_e64 v72, s[36:37], 0, -1, vcc
	v_cmp_ne_u32_e32 vcc, 0, v4
	v_xor_b32_e32 v4, vcc_hi, v72
	v_and_b32_e32 v72, exec_hi, v4
	v_lshlrev_b32_e32 v4, 30, v69
	v_xor_b32_e32 v70, vcc_lo, v70
	v_cmp_gt_i64_e32 vcc, 0, v[3:4]
	v_not_b32_e32 v4, v4
	v_ashrrev_i32_e32 v4, 31, v4
	v_and_b32_e32 v70, exec_lo, v70
	v_xor_b32_e32 v182, vcc_hi, v4
	v_xor_b32_e32 v4, vcc_lo, v4
	v_and_b32_e32 v70, v70, v4
	v_lshlrev_b32_e32 v4, 29, v69
	v_cmp_gt_i64_e32 vcc, 0, v[3:4]
	v_not_b32_e32 v4, v4
	v_ashrrev_i32_e32 v4, 31, v4
	v_and_b32_e32 v72, v72, v182
	v_xor_b32_e32 v182, vcc_hi, v4
	v_xor_b32_e32 v4, vcc_lo, v4
	v_and_b32_e32 v70, v70, v4
	v_lshlrev_b32_e32 v4, 28, v69
	v_cmp_gt_i64_e32 vcc, 0, v[3:4]
	v_not_b32_e32 v4, v4
	v_ashrrev_i32_e32 v4, 31, v4
	v_and_b32_e32 v72, v72, v182
	;; [unrolled: 8-line block ×5, first 2 shown]
	v_xor_b32_e32 v182, vcc_hi, v4
	v_xor_b32_e32 v4, vcc_lo, v4
	v_and_b32_e32 v72, v72, v182
	v_and_b32_e32 v182, v70, v4
	v_lshlrev_b32_e32 v4, 24, v69
	v_cmp_gt_i64_e32 vcc, 0, v[3:4]
	v_not_b32_e32 v4, v4
	v_ashrrev_i32_e32 v4, 31, v4
	v_mul_u32_u24_e32 v71, 20, v69
	v_xor_b32_e32 v69, vcc_hi, v4
	v_xor_b32_e32 v4, vcc_lo, v4
	v_and_b32_e32 v70, v72, v69
	v_and_b32_e32 v69, v182, v4
	v_mbcnt_lo_u32_b32 v4, v69, 0
	v_mbcnt_hi_u32_b32 v182, v70, v4
	v_cmp_ne_u64_e32 vcc, 0, v[69:70]
	v_cmp_eq_u32_e64 s[36:37], 0, v182
	s_and_b64 s[38:39], vcc, s[36:37]
	v_add_u32_e32 v184, v172, v71
	; wave barrier
	s_and_saveexec_b64 s[36:37], s[38:39]
	s_cbranch_execz .LBB1152_1021
; %bb.1020:                             ;   in Loop: Header=BB1152_979 Depth=2
	v_bcnt_u32_b32 v4, v69, 0
	v_bcnt_u32_b32 v4, v70, v4
	s_waitcnt lgkmcnt(0)
	v_add_u32_e32 v4, v180, v4
	ds_write_b32 v184, v4 offset:1040
.LBB1152_1021:                          ;   in Loop: Header=BB1152_979 Depth=2
	s_or_b64 exec, exec, s[36:37]
	v_cmp_gt_i64_e32 vcc, 0, v[49:50]
	v_ashrrev_i32_e32 v69, 31, v50
	v_cndmask_b32_e64 v4, v133, 0, vcc
	v_not_b32_e32 v69, v69
	v_xor_b32_e32 v50, v4, v50
	v_xor_b32_e32 v49, v69, v49
	v_cmp_ne_u64_e32 vcc, s[72:73], v[49:50]
	v_cndmask_b32_e32 v70, v133, v50, vcc
	v_cndmask_b32_e32 v69, -1, v49, vcc
	v_lshrrev_b64 v[69:70], s88, v[69:70]
	; wave barrier
	v_and_b32_e32 v69, s96, v69
	v_mad_u32_u24 v4, v69, 20, v172
	ds_read_b32 v183, v4 offset:1040
	v_and_b32_e32 v4, 1, v69
	v_add_co_u32_e32 v70, vcc, -1, v4
	v_addc_co_u32_e64 v72, s[36:37], 0, -1, vcc
	v_cmp_ne_u32_e32 vcc, 0, v4
	v_xor_b32_e32 v4, vcc_hi, v72
	v_and_b32_e32 v72, exec_hi, v4
	v_lshlrev_b32_e32 v4, 30, v69
	v_xor_b32_e32 v70, vcc_lo, v70
	v_cmp_gt_i64_e32 vcc, 0, v[3:4]
	v_not_b32_e32 v4, v4
	v_ashrrev_i32_e32 v4, 31, v4
	v_and_b32_e32 v70, exec_lo, v70
	v_xor_b32_e32 v185, vcc_hi, v4
	v_xor_b32_e32 v4, vcc_lo, v4
	v_and_b32_e32 v70, v70, v4
	v_lshlrev_b32_e32 v4, 29, v69
	v_cmp_gt_i64_e32 vcc, 0, v[3:4]
	v_not_b32_e32 v4, v4
	v_ashrrev_i32_e32 v4, 31, v4
	v_and_b32_e32 v72, v72, v185
	v_xor_b32_e32 v185, vcc_hi, v4
	v_xor_b32_e32 v4, vcc_lo, v4
	v_and_b32_e32 v70, v70, v4
	v_lshlrev_b32_e32 v4, 28, v69
	v_cmp_gt_i64_e32 vcc, 0, v[3:4]
	v_not_b32_e32 v4, v4
	v_ashrrev_i32_e32 v4, 31, v4
	v_and_b32_e32 v72, v72, v185
	;; [unrolled: 8-line block ×5, first 2 shown]
	v_xor_b32_e32 v185, vcc_hi, v4
	v_xor_b32_e32 v4, vcc_lo, v4
	v_and_b32_e32 v72, v72, v185
	v_and_b32_e32 v185, v70, v4
	v_lshlrev_b32_e32 v4, 24, v69
	v_cmp_gt_i64_e32 vcc, 0, v[3:4]
	v_not_b32_e32 v4, v4
	v_ashrrev_i32_e32 v4, 31, v4
	v_mul_u32_u24_e32 v71, 20, v69
	v_xor_b32_e32 v69, vcc_hi, v4
	v_xor_b32_e32 v4, vcc_lo, v4
	v_and_b32_e32 v70, v72, v69
	v_and_b32_e32 v69, v185, v4
	v_mbcnt_lo_u32_b32 v4, v69, 0
	v_mbcnt_hi_u32_b32 v185, v70, v4
	v_cmp_ne_u64_e32 vcc, 0, v[69:70]
	v_cmp_eq_u32_e64 s[36:37], 0, v185
	s_and_b64 s[38:39], vcc, s[36:37]
	v_add_u32_e32 v187, v172, v71
	; wave barrier
	s_and_saveexec_b64 s[36:37], s[38:39]
	s_cbranch_execz .LBB1152_1023
; %bb.1022:                             ;   in Loop: Header=BB1152_979 Depth=2
	v_bcnt_u32_b32 v4, v69, 0
	v_bcnt_u32_b32 v4, v70, v4
	s_waitcnt lgkmcnt(0)
	v_add_u32_e32 v4, v183, v4
	ds_write_b32 v187, v4 offset:1040
.LBB1152_1023:                          ;   in Loop: Header=BB1152_979 Depth=2
	s_or_b64 exec, exec, s[36:37]
	v_cmp_gt_i64_e32 vcc, 0, v[53:54]
	v_ashrrev_i32_e32 v69, 31, v54
	v_cndmask_b32_e64 v4, v133, 0, vcc
	v_not_b32_e32 v69, v69
	v_xor_b32_e32 v54, v4, v54
	v_xor_b32_e32 v53, v69, v53
	v_cmp_ne_u64_e32 vcc, s[72:73], v[53:54]
	v_cndmask_b32_e32 v70, v133, v54, vcc
	v_cndmask_b32_e32 v69, -1, v53, vcc
	v_lshrrev_b64 v[69:70], s88, v[69:70]
	; wave barrier
	v_and_b32_e32 v69, s96, v69
	v_mad_u32_u24 v4, v69, 20, v172
	ds_read_b32 v186, v4 offset:1040
	v_and_b32_e32 v4, 1, v69
	v_add_co_u32_e32 v70, vcc, -1, v4
	v_addc_co_u32_e64 v72, s[36:37], 0, -1, vcc
	v_cmp_ne_u32_e32 vcc, 0, v4
	v_xor_b32_e32 v4, vcc_hi, v72
	v_and_b32_e32 v72, exec_hi, v4
	v_lshlrev_b32_e32 v4, 30, v69
	v_xor_b32_e32 v70, vcc_lo, v70
	v_cmp_gt_i64_e32 vcc, 0, v[3:4]
	v_not_b32_e32 v4, v4
	v_ashrrev_i32_e32 v4, 31, v4
	v_and_b32_e32 v70, exec_lo, v70
	v_xor_b32_e32 v188, vcc_hi, v4
	v_xor_b32_e32 v4, vcc_lo, v4
	v_and_b32_e32 v70, v70, v4
	v_lshlrev_b32_e32 v4, 29, v69
	v_cmp_gt_i64_e32 vcc, 0, v[3:4]
	v_not_b32_e32 v4, v4
	v_ashrrev_i32_e32 v4, 31, v4
	v_and_b32_e32 v72, v72, v188
	v_xor_b32_e32 v188, vcc_hi, v4
	v_xor_b32_e32 v4, vcc_lo, v4
	v_and_b32_e32 v70, v70, v4
	v_lshlrev_b32_e32 v4, 28, v69
	v_cmp_gt_i64_e32 vcc, 0, v[3:4]
	v_not_b32_e32 v4, v4
	v_ashrrev_i32_e32 v4, 31, v4
	v_and_b32_e32 v72, v72, v188
	;; [unrolled: 8-line block ×5, first 2 shown]
	v_xor_b32_e32 v188, vcc_hi, v4
	v_xor_b32_e32 v4, vcc_lo, v4
	v_and_b32_e32 v72, v72, v188
	v_and_b32_e32 v188, v70, v4
	v_lshlrev_b32_e32 v4, 24, v69
	v_cmp_gt_i64_e32 vcc, 0, v[3:4]
	v_not_b32_e32 v4, v4
	v_ashrrev_i32_e32 v4, 31, v4
	v_mul_u32_u24_e32 v71, 20, v69
	v_xor_b32_e32 v69, vcc_hi, v4
	v_xor_b32_e32 v4, vcc_lo, v4
	v_and_b32_e32 v70, v72, v69
	v_and_b32_e32 v69, v188, v4
	v_mbcnt_lo_u32_b32 v4, v69, 0
	v_mbcnt_hi_u32_b32 v188, v70, v4
	v_cmp_ne_u64_e32 vcc, 0, v[69:70]
	v_cmp_eq_u32_e64 s[36:37], 0, v188
	s_and_b64 s[38:39], vcc, s[36:37]
	v_add_u32_e32 v190, v172, v71
	; wave barrier
	s_and_saveexec_b64 s[36:37], s[38:39]
	s_cbranch_execz .LBB1152_1025
; %bb.1024:                             ;   in Loop: Header=BB1152_979 Depth=2
	v_bcnt_u32_b32 v4, v69, 0
	v_bcnt_u32_b32 v4, v70, v4
	s_waitcnt lgkmcnt(0)
	v_add_u32_e32 v4, v186, v4
	ds_write_b32 v190, v4 offset:1040
.LBB1152_1025:                          ;   in Loop: Header=BB1152_979 Depth=2
	s_or_b64 exec, exec, s[36:37]
	v_cmp_gt_i64_e32 vcc, 0, v[57:58]
	v_ashrrev_i32_e32 v69, 31, v58
	v_cndmask_b32_e64 v4, v133, 0, vcc
	v_not_b32_e32 v69, v69
	v_xor_b32_e32 v58, v4, v58
	v_xor_b32_e32 v57, v69, v57
	v_cmp_ne_u64_e32 vcc, s[72:73], v[57:58]
	v_cndmask_b32_e32 v70, v133, v58, vcc
	v_cndmask_b32_e32 v69, -1, v57, vcc
	v_lshrrev_b64 v[69:70], s88, v[69:70]
	; wave barrier
	v_and_b32_e32 v69, s96, v69
	v_mad_u32_u24 v4, v69, 20, v172
	ds_read_b32 v189, v4 offset:1040
	v_and_b32_e32 v4, 1, v69
	v_add_co_u32_e32 v70, vcc, -1, v4
	v_addc_co_u32_e64 v72, s[36:37], 0, -1, vcc
	v_cmp_ne_u32_e32 vcc, 0, v4
	v_xor_b32_e32 v4, vcc_hi, v72
	v_and_b32_e32 v72, exec_hi, v4
	v_lshlrev_b32_e32 v4, 30, v69
	v_xor_b32_e32 v70, vcc_lo, v70
	v_cmp_gt_i64_e32 vcc, 0, v[3:4]
	v_not_b32_e32 v4, v4
	v_ashrrev_i32_e32 v4, 31, v4
	v_and_b32_e32 v70, exec_lo, v70
	v_xor_b32_e32 v191, vcc_hi, v4
	v_xor_b32_e32 v4, vcc_lo, v4
	v_and_b32_e32 v70, v70, v4
	v_lshlrev_b32_e32 v4, 29, v69
	v_cmp_gt_i64_e32 vcc, 0, v[3:4]
	v_not_b32_e32 v4, v4
	v_ashrrev_i32_e32 v4, 31, v4
	v_and_b32_e32 v72, v72, v191
	v_xor_b32_e32 v191, vcc_hi, v4
	v_xor_b32_e32 v4, vcc_lo, v4
	v_and_b32_e32 v70, v70, v4
	v_lshlrev_b32_e32 v4, 28, v69
	v_cmp_gt_i64_e32 vcc, 0, v[3:4]
	v_not_b32_e32 v4, v4
	v_ashrrev_i32_e32 v4, 31, v4
	v_and_b32_e32 v72, v72, v191
	;; [unrolled: 8-line block ×5, first 2 shown]
	v_xor_b32_e32 v191, vcc_hi, v4
	v_xor_b32_e32 v4, vcc_lo, v4
	v_and_b32_e32 v72, v72, v191
	v_and_b32_e32 v191, v70, v4
	v_lshlrev_b32_e32 v4, 24, v69
	v_cmp_gt_i64_e32 vcc, 0, v[3:4]
	v_not_b32_e32 v4, v4
	v_ashrrev_i32_e32 v4, 31, v4
	v_mul_u32_u24_e32 v71, 20, v69
	v_xor_b32_e32 v69, vcc_hi, v4
	v_xor_b32_e32 v4, vcc_lo, v4
	v_and_b32_e32 v70, v72, v69
	v_and_b32_e32 v69, v191, v4
	v_mbcnt_lo_u32_b32 v4, v69, 0
	v_mbcnt_hi_u32_b32 v191, v70, v4
	v_cmp_ne_u64_e32 vcc, 0, v[69:70]
	v_cmp_eq_u32_e64 s[36:37], 0, v191
	s_and_b64 s[38:39], vcc, s[36:37]
	v_add_u32_e32 v193, v172, v71
	; wave barrier
	s_and_saveexec_b64 s[36:37], s[38:39]
	s_cbranch_execz .LBB1152_1027
; %bb.1026:                             ;   in Loop: Header=BB1152_979 Depth=2
	v_bcnt_u32_b32 v4, v69, 0
	v_bcnt_u32_b32 v4, v70, v4
	s_waitcnt lgkmcnt(0)
	v_add_u32_e32 v4, v189, v4
	ds_write_b32 v193, v4 offset:1040
.LBB1152_1027:                          ;   in Loop: Header=BB1152_979 Depth=2
	s_or_b64 exec, exec, s[36:37]
	v_cmp_gt_i64_e32 vcc, 0, v[63:64]
	v_ashrrev_i32_e32 v69, 31, v64
	v_cndmask_b32_e64 v4, v133, 0, vcc
	v_not_b32_e32 v69, v69
	v_xor_b32_e32 v64, v4, v64
	v_xor_b32_e32 v63, v69, v63
	v_cmp_ne_u64_e32 vcc, s[72:73], v[63:64]
	v_cndmask_b32_e32 v70, v133, v64, vcc
	v_cndmask_b32_e32 v69, -1, v63, vcc
	v_lshrrev_b64 v[69:70], s88, v[69:70]
	; wave barrier
	v_and_b32_e32 v69, s96, v69
	v_mad_u32_u24 v4, v69, 20, v172
	ds_read_b32 v192, v4 offset:1040
	v_and_b32_e32 v4, 1, v69
	v_add_co_u32_e32 v70, vcc, -1, v4
	v_addc_co_u32_e64 v72, s[36:37], 0, -1, vcc
	v_cmp_ne_u32_e32 vcc, 0, v4
	v_xor_b32_e32 v4, vcc_hi, v72
	v_and_b32_e32 v72, exec_hi, v4
	v_lshlrev_b32_e32 v4, 30, v69
	v_xor_b32_e32 v70, vcc_lo, v70
	v_cmp_gt_i64_e32 vcc, 0, v[3:4]
	v_not_b32_e32 v4, v4
	v_ashrrev_i32_e32 v4, 31, v4
	v_and_b32_e32 v70, exec_lo, v70
	v_xor_b32_e32 v194, vcc_hi, v4
	v_xor_b32_e32 v4, vcc_lo, v4
	v_and_b32_e32 v70, v70, v4
	v_lshlrev_b32_e32 v4, 29, v69
	v_cmp_gt_i64_e32 vcc, 0, v[3:4]
	v_not_b32_e32 v4, v4
	v_ashrrev_i32_e32 v4, 31, v4
	v_and_b32_e32 v72, v72, v194
	v_xor_b32_e32 v194, vcc_hi, v4
	v_xor_b32_e32 v4, vcc_lo, v4
	v_and_b32_e32 v70, v70, v4
	v_lshlrev_b32_e32 v4, 28, v69
	v_cmp_gt_i64_e32 vcc, 0, v[3:4]
	v_not_b32_e32 v4, v4
	v_ashrrev_i32_e32 v4, 31, v4
	v_and_b32_e32 v72, v72, v194
	;; [unrolled: 8-line block ×5, first 2 shown]
	v_xor_b32_e32 v194, vcc_hi, v4
	v_xor_b32_e32 v4, vcc_lo, v4
	v_and_b32_e32 v72, v72, v194
	v_and_b32_e32 v194, v70, v4
	v_lshlrev_b32_e32 v4, 24, v69
	v_cmp_gt_i64_e32 vcc, 0, v[3:4]
	v_not_b32_e32 v4, v4
	v_ashrrev_i32_e32 v4, 31, v4
	v_mul_u32_u24_e32 v71, 20, v69
	v_xor_b32_e32 v69, vcc_hi, v4
	v_xor_b32_e32 v4, vcc_lo, v4
	v_and_b32_e32 v70, v72, v69
	v_and_b32_e32 v69, v194, v4
	v_mbcnt_lo_u32_b32 v4, v69, 0
	v_mbcnt_hi_u32_b32 v194, v70, v4
	v_cmp_ne_u64_e32 vcc, 0, v[69:70]
	v_cmp_eq_u32_e64 s[36:37], 0, v194
	s_and_b64 s[38:39], vcc, s[36:37]
	v_add_u32_e32 v196, v172, v71
	; wave barrier
	s_and_saveexec_b64 s[36:37], s[38:39]
	s_cbranch_execz .LBB1152_1029
; %bb.1028:                             ;   in Loop: Header=BB1152_979 Depth=2
	v_bcnt_u32_b32 v4, v69, 0
	v_bcnt_u32_b32 v4, v70, v4
	s_waitcnt lgkmcnt(0)
	v_add_u32_e32 v4, v192, v4
	ds_write_b32 v196, v4 offset:1040
.LBB1152_1029:                          ;   in Loop: Header=BB1152_979 Depth=2
	s_or_b64 exec, exec, s[36:37]
	v_cmp_gt_i64_e32 vcc, 0, v[65:66]
	v_ashrrev_i32_e32 v69, 31, v66
	v_cndmask_b32_e64 v4, v133, 0, vcc
	v_not_b32_e32 v69, v69
	v_xor_b32_e32 v66, v4, v66
	v_xor_b32_e32 v65, v69, v65
	v_cmp_ne_u64_e32 vcc, s[72:73], v[65:66]
	v_cndmask_b32_e32 v70, v133, v66, vcc
	v_cndmask_b32_e32 v69, -1, v65, vcc
	v_lshrrev_b64 v[69:70], s88, v[69:70]
	; wave barrier
	v_and_b32_e32 v69, s96, v69
	v_mad_u32_u24 v4, v69, 20, v172
	ds_read_b32 v195, v4 offset:1040
	v_and_b32_e32 v4, 1, v69
	v_add_co_u32_e32 v70, vcc, -1, v4
	v_addc_co_u32_e64 v72, s[36:37], 0, -1, vcc
	v_cmp_ne_u32_e32 vcc, 0, v4
	v_xor_b32_e32 v4, vcc_hi, v72
	v_and_b32_e32 v72, exec_hi, v4
	v_lshlrev_b32_e32 v4, 30, v69
	v_xor_b32_e32 v70, vcc_lo, v70
	v_cmp_gt_i64_e32 vcc, 0, v[3:4]
	v_not_b32_e32 v4, v4
	v_ashrrev_i32_e32 v4, 31, v4
	v_and_b32_e32 v70, exec_lo, v70
	v_xor_b32_e32 v197, vcc_hi, v4
	v_xor_b32_e32 v4, vcc_lo, v4
	v_and_b32_e32 v70, v70, v4
	v_lshlrev_b32_e32 v4, 29, v69
	v_cmp_gt_i64_e32 vcc, 0, v[3:4]
	v_not_b32_e32 v4, v4
	v_ashrrev_i32_e32 v4, 31, v4
	v_and_b32_e32 v72, v72, v197
	v_xor_b32_e32 v197, vcc_hi, v4
	v_xor_b32_e32 v4, vcc_lo, v4
	v_and_b32_e32 v70, v70, v4
	v_lshlrev_b32_e32 v4, 28, v69
	v_cmp_gt_i64_e32 vcc, 0, v[3:4]
	v_not_b32_e32 v4, v4
	v_ashrrev_i32_e32 v4, 31, v4
	v_and_b32_e32 v72, v72, v197
	;; [unrolled: 8-line block ×5, first 2 shown]
	v_xor_b32_e32 v197, vcc_hi, v4
	v_xor_b32_e32 v4, vcc_lo, v4
	v_and_b32_e32 v72, v72, v197
	v_and_b32_e32 v197, v70, v4
	v_lshlrev_b32_e32 v4, 24, v69
	v_cmp_gt_i64_e32 vcc, 0, v[3:4]
	v_not_b32_e32 v4, v4
	v_ashrrev_i32_e32 v4, 31, v4
	v_mul_u32_u24_e32 v71, 20, v69
	v_xor_b32_e32 v69, vcc_hi, v4
	v_xor_b32_e32 v4, vcc_lo, v4
	v_and_b32_e32 v70, v72, v69
	v_and_b32_e32 v69, v197, v4
	v_mbcnt_lo_u32_b32 v4, v69, 0
	v_mbcnt_hi_u32_b32 v197, v70, v4
	v_cmp_ne_u64_e32 vcc, 0, v[69:70]
	v_cmp_eq_u32_e64 s[36:37], 0, v197
	s_and_b64 s[38:39], vcc, s[36:37]
	v_add_u32_e32 v199, v172, v71
	; wave barrier
	s_and_saveexec_b64 s[36:37], s[38:39]
	s_cbranch_execz .LBB1152_1031
; %bb.1030:                             ;   in Loop: Header=BB1152_979 Depth=2
	v_bcnt_u32_b32 v4, v69, 0
	v_bcnt_u32_b32 v4, v70, v4
	s_waitcnt lgkmcnt(0)
	v_add_u32_e32 v4, v195, v4
	ds_write_b32 v199, v4 offset:1040
.LBB1152_1031:                          ;   in Loop: Header=BB1152_979 Depth=2
	s_or_b64 exec, exec, s[36:37]
	v_cmp_gt_i64_e32 vcc, 0, v[67:68]
	v_ashrrev_i32_e32 v69, 31, v68
	v_cndmask_b32_e64 v4, v133, 0, vcc
	v_not_b32_e32 v69, v69
	v_xor_b32_e32 v68, v4, v68
	v_xor_b32_e32 v67, v69, v67
	v_cmp_ne_u64_e32 vcc, s[72:73], v[67:68]
	v_cndmask_b32_e32 v70, v133, v68, vcc
	v_cndmask_b32_e32 v69, -1, v67, vcc
	v_lshrrev_b64 v[69:70], s88, v[69:70]
	; wave barrier
	v_and_b32_e32 v69, s96, v69
	v_mad_u32_u24 v4, v69, 20, v172
	ds_read_b32 v198, v4 offset:1040
	v_and_b32_e32 v4, 1, v69
	v_add_co_u32_e32 v70, vcc, -1, v4
	v_addc_co_u32_e64 v72, s[36:37], 0, -1, vcc
	v_cmp_ne_u32_e32 vcc, 0, v4
	v_xor_b32_e32 v4, vcc_hi, v72
	v_and_b32_e32 v72, exec_hi, v4
	v_lshlrev_b32_e32 v4, 30, v69
	v_xor_b32_e32 v70, vcc_lo, v70
	v_cmp_gt_i64_e32 vcc, 0, v[3:4]
	v_not_b32_e32 v4, v4
	v_ashrrev_i32_e32 v4, 31, v4
	v_and_b32_e32 v70, exec_lo, v70
	v_xor_b32_e32 v200, vcc_hi, v4
	v_xor_b32_e32 v4, vcc_lo, v4
	v_and_b32_e32 v70, v70, v4
	v_lshlrev_b32_e32 v4, 29, v69
	v_cmp_gt_i64_e32 vcc, 0, v[3:4]
	v_not_b32_e32 v4, v4
	v_ashrrev_i32_e32 v4, 31, v4
	v_and_b32_e32 v72, v72, v200
	v_xor_b32_e32 v200, vcc_hi, v4
	v_xor_b32_e32 v4, vcc_lo, v4
	v_and_b32_e32 v70, v70, v4
	v_lshlrev_b32_e32 v4, 28, v69
	v_cmp_gt_i64_e32 vcc, 0, v[3:4]
	v_not_b32_e32 v4, v4
	v_ashrrev_i32_e32 v4, 31, v4
	v_and_b32_e32 v72, v72, v200
	;; [unrolled: 8-line block ×5, first 2 shown]
	v_xor_b32_e32 v200, vcc_hi, v4
	v_xor_b32_e32 v4, vcc_lo, v4
	v_and_b32_e32 v72, v72, v200
	v_and_b32_e32 v200, v70, v4
	v_lshlrev_b32_e32 v4, 24, v69
	v_cmp_gt_i64_e32 vcc, 0, v[3:4]
	v_not_b32_e32 v4, v4
	v_ashrrev_i32_e32 v4, 31, v4
	v_mul_u32_u24_e32 v71, 20, v69
	v_xor_b32_e32 v69, vcc_hi, v4
	v_xor_b32_e32 v4, vcc_lo, v4
	v_and_b32_e32 v70, v72, v69
	v_and_b32_e32 v69, v200, v4
	v_mbcnt_lo_u32_b32 v4, v69, 0
	v_mbcnt_hi_u32_b32 v200, v70, v4
	v_cmp_ne_u64_e32 vcc, 0, v[69:70]
	v_cmp_eq_u32_e64 s[36:37], 0, v200
	s_and_b64 s[38:39], vcc, s[36:37]
	v_add_u32_e32 v202, v172, v71
	; wave barrier
	s_and_saveexec_b64 s[36:37], s[38:39]
	s_cbranch_execz .LBB1152_1033
; %bb.1032:                             ;   in Loop: Header=BB1152_979 Depth=2
	v_bcnt_u32_b32 v4, v69, 0
	v_bcnt_u32_b32 v4, v70, v4
	s_waitcnt lgkmcnt(0)
	v_add_u32_e32 v4, v198, v4
	ds_write_b32 v202, v4 offset:1040
.LBB1152_1033:                          ;   in Loop: Header=BB1152_979 Depth=2
	s_or_b64 exec, exec, s[36:37]
	v_cmp_gt_i64_e32 vcc, 0, v[61:62]
	v_ashrrev_i32_e32 v69, 31, v62
	v_cndmask_b32_e64 v4, v133, 0, vcc
	v_not_b32_e32 v69, v69
	v_xor_b32_e32 v62, v4, v62
	v_xor_b32_e32 v61, v69, v61
	v_cmp_ne_u64_e32 vcc, s[72:73], v[61:62]
	v_cndmask_b32_e32 v70, v133, v62, vcc
	v_cndmask_b32_e32 v69, -1, v61, vcc
	v_lshrrev_b64 v[69:70], s88, v[69:70]
	; wave barrier
	v_and_b32_e32 v69, s96, v69
	v_mad_u32_u24 v4, v69, 20, v172
	ds_read_b32 v201, v4 offset:1040
	v_and_b32_e32 v4, 1, v69
	v_add_co_u32_e32 v70, vcc, -1, v4
	v_addc_co_u32_e64 v72, s[36:37], 0, -1, vcc
	v_cmp_ne_u32_e32 vcc, 0, v4
	v_xor_b32_e32 v4, vcc_hi, v72
	v_and_b32_e32 v72, exec_hi, v4
	v_lshlrev_b32_e32 v4, 30, v69
	v_xor_b32_e32 v70, vcc_lo, v70
	v_cmp_gt_i64_e32 vcc, 0, v[3:4]
	v_not_b32_e32 v4, v4
	v_ashrrev_i32_e32 v4, 31, v4
	v_and_b32_e32 v70, exec_lo, v70
	v_xor_b32_e32 v203, vcc_hi, v4
	v_xor_b32_e32 v4, vcc_lo, v4
	v_and_b32_e32 v70, v70, v4
	v_lshlrev_b32_e32 v4, 29, v69
	v_cmp_gt_i64_e32 vcc, 0, v[3:4]
	v_not_b32_e32 v4, v4
	v_ashrrev_i32_e32 v4, 31, v4
	v_and_b32_e32 v72, v72, v203
	v_xor_b32_e32 v203, vcc_hi, v4
	v_xor_b32_e32 v4, vcc_lo, v4
	v_and_b32_e32 v70, v70, v4
	v_lshlrev_b32_e32 v4, 28, v69
	v_cmp_gt_i64_e32 vcc, 0, v[3:4]
	v_not_b32_e32 v4, v4
	v_ashrrev_i32_e32 v4, 31, v4
	v_and_b32_e32 v72, v72, v203
	;; [unrolled: 8-line block ×5, first 2 shown]
	v_xor_b32_e32 v203, vcc_hi, v4
	v_xor_b32_e32 v4, vcc_lo, v4
	v_and_b32_e32 v72, v72, v203
	v_and_b32_e32 v203, v70, v4
	v_lshlrev_b32_e32 v4, 24, v69
	v_cmp_gt_i64_e32 vcc, 0, v[3:4]
	v_not_b32_e32 v4, v4
	v_ashrrev_i32_e32 v4, 31, v4
	v_mul_u32_u24_e32 v71, 20, v69
	v_xor_b32_e32 v69, vcc_hi, v4
	v_xor_b32_e32 v4, vcc_lo, v4
	v_and_b32_e32 v70, v72, v69
	v_and_b32_e32 v69, v203, v4
	v_mbcnt_lo_u32_b32 v4, v69, 0
	v_mbcnt_hi_u32_b32 v203, v70, v4
	v_cmp_ne_u64_e32 vcc, 0, v[69:70]
	v_cmp_eq_u32_e64 s[36:37], 0, v203
	s_and_b64 s[38:39], vcc, s[36:37]
	v_add_u32_e32 v205, v172, v71
	; wave barrier
	s_and_saveexec_b64 s[36:37], s[38:39]
	s_cbranch_execz .LBB1152_1035
; %bb.1034:                             ;   in Loop: Header=BB1152_979 Depth=2
	v_bcnt_u32_b32 v4, v69, 0
	v_bcnt_u32_b32 v4, v70, v4
	s_waitcnt lgkmcnt(0)
	v_add_u32_e32 v4, v201, v4
	ds_write_b32 v205, v4 offset:1040
.LBB1152_1035:                          ;   in Loop: Header=BB1152_979 Depth=2
	s_or_b64 exec, exec, s[36:37]
	v_cmp_gt_i64_e32 vcc, 0, v[59:60]
	v_ashrrev_i32_e32 v69, 31, v60
	v_cndmask_b32_e64 v4, v133, 0, vcc
	v_not_b32_e32 v69, v69
	v_xor_b32_e32 v60, v4, v60
	v_xor_b32_e32 v59, v69, v59
	v_cmp_ne_u64_e32 vcc, s[72:73], v[59:60]
	v_cndmask_b32_e32 v70, v133, v60, vcc
	v_cndmask_b32_e32 v69, -1, v59, vcc
	v_lshrrev_b64 v[69:70], s88, v[69:70]
	; wave barrier
	v_and_b32_e32 v69, s96, v69
	v_mad_u32_u24 v4, v69, 20, v172
	ds_read_b32 v204, v4 offset:1040
	v_and_b32_e32 v4, 1, v69
	v_add_co_u32_e32 v70, vcc, -1, v4
	v_addc_co_u32_e64 v72, s[36:37], 0, -1, vcc
	v_cmp_ne_u32_e32 vcc, 0, v4
	v_xor_b32_e32 v4, vcc_hi, v72
	v_and_b32_e32 v72, exec_hi, v4
	v_lshlrev_b32_e32 v4, 30, v69
	v_xor_b32_e32 v70, vcc_lo, v70
	v_cmp_gt_i64_e32 vcc, 0, v[3:4]
	v_not_b32_e32 v4, v4
	v_ashrrev_i32_e32 v4, 31, v4
	v_and_b32_e32 v70, exec_lo, v70
	v_xor_b32_e32 v206, vcc_hi, v4
	v_xor_b32_e32 v4, vcc_lo, v4
	v_and_b32_e32 v70, v70, v4
	v_lshlrev_b32_e32 v4, 29, v69
	v_cmp_gt_i64_e32 vcc, 0, v[3:4]
	v_not_b32_e32 v4, v4
	v_ashrrev_i32_e32 v4, 31, v4
	v_and_b32_e32 v72, v72, v206
	v_xor_b32_e32 v206, vcc_hi, v4
	v_xor_b32_e32 v4, vcc_lo, v4
	v_and_b32_e32 v70, v70, v4
	v_lshlrev_b32_e32 v4, 28, v69
	v_cmp_gt_i64_e32 vcc, 0, v[3:4]
	v_not_b32_e32 v4, v4
	v_ashrrev_i32_e32 v4, 31, v4
	v_and_b32_e32 v72, v72, v206
	v_xor_b32_e32 v206, vcc_hi, v4
	v_xor_b32_e32 v4, vcc_lo, v4
	v_and_b32_e32 v70, v70, v4
	v_lshlrev_b32_e32 v4, 27, v69
	v_cmp_gt_i64_e32 vcc, 0, v[3:4]
	v_not_b32_e32 v4, v4
	v_ashrrev_i32_e32 v4, 31, v4
	v_and_b32_e32 v72, v72, v206
	v_xor_b32_e32 v206, vcc_hi, v4
	v_xor_b32_e32 v4, vcc_lo, v4
	v_and_b32_e32 v70, v70, v4
	v_lshlrev_b32_e32 v4, 26, v69
	v_cmp_gt_i64_e32 vcc, 0, v[3:4]
	v_not_b32_e32 v4, v4
	v_ashrrev_i32_e32 v4, 31, v4
	v_and_b32_e32 v72, v72, v206
	v_xor_b32_e32 v206, vcc_hi, v4
	v_xor_b32_e32 v4, vcc_lo, v4
	v_and_b32_e32 v70, v70, v4
	v_lshlrev_b32_e32 v4, 25, v69
	v_cmp_gt_i64_e32 vcc, 0, v[3:4]
	v_not_b32_e32 v4, v4
	v_ashrrev_i32_e32 v4, 31, v4
	v_and_b32_e32 v72, v72, v206
	v_xor_b32_e32 v206, vcc_hi, v4
	v_xor_b32_e32 v4, vcc_lo, v4
	v_and_b32_e32 v72, v72, v206
	v_and_b32_e32 v206, v70, v4
	v_lshlrev_b32_e32 v4, 24, v69
	v_cmp_gt_i64_e32 vcc, 0, v[3:4]
	v_not_b32_e32 v4, v4
	v_ashrrev_i32_e32 v4, 31, v4
	v_mul_u32_u24_e32 v71, 20, v69
	v_xor_b32_e32 v69, vcc_hi, v4
	v_xor_b32_e32 v4, vcc_lo, v4
	v_and_b32_e32 v70, v72, v69
	v_and_b32_e32 v69, v206, v4
	v_mbcnt_lo_u32_b32 v4, v69, 0
	v_mbcnt_hi_u32_b32 v206, v70, v4
	v_cmp_ne_u64_e32 vcc, 0, v[69:70]
	v_cmp_eq_u32_e64 s[36:37], 0, v206
	s_and_b64 s[38:39], vcc, s[36:37]
	v_add_u32_e32 v208, v172, v71
	; wave barrier
	s_and_saveexec_b64 s[36:37], s[38:39]
	s_cbranch_execz .LBB1152_1037
; %bb.1036:                             ;   in Loop: Header=BB1152_979 Depth=2
	v_bcnt_u32_b32 v4, v69, 0
	v_bcnt_u32_b32 v4, v70, v4
	s_waitcnt lgkmcnt(0)
	v_add_u32_e32 v4, v204, v4
	ds_write_b32 v208, v4 offset:1040
.LBB1152_1037:                          ;   in Loop: Header=BB1152_979 Depth=2
	s_or_b64 exec, exec, s[36:37]
	v_cmp_gt_i64_e32 vcc, 0, v[55:56]
	v_ashrrev_i32_e32 v69, 31, v56
	v_cndmask_b32_e64 v4, v133, 0, vcc
	v_not_b32_e32 v69, v69
	v_xor_b32_e32 v56, v4, v56
	v_xor_b32_e32 v55, v69, v55
	v_cmp_ne_u64_e32 vcc, s[72:73], v[55:56]
	v_cndmask_b32_e32 v70, v133, v56, vcc
	v_cndmask_b32_e32 v69, -1, v55, vcc
	v_lshrrev_b64 v[69:70], s88, v[69:70]
	; wave barrier
	v_and_b32_e32 v69, s96, v69
	v_mad_u32_u24 v4, v69, 20, v172
	ds_read_b32 v207, v4 offset:1040
	v_and_b32_e32 v4, 1, v69
	v_add_co_u32_e32 v70, vcc, -1, v4
	v_addc_co_u32_e64 v72, s[36:37], 0, -1, vcc
	v_cmp_ne_u32_e32 vcc, 0, v4
	v_xor_b32_e32 v4, vcc_hi, v72
	v_and_b32_e32 v72, exec_hi, v4
	v_lshlrev_b32_e32 v4, 30, v69
	v_xor_b32_e32 v70, vcc_lo, v70
	v_cmp_gt_i64_e32 vcc, 0, v[3:4]
	v_not_b32_e32 v4, v4
	v_ashrrev_i32_e32 v4, 31, v4
	v_and_b32_e32 v70, exec_lo, v70
	v_xor_b32_e32 v209, vcc_hi, v4
	v_xor_b32_e32 v4, vcc_lo, v4
	v_and_b32_e32 v70, v70, v4
	v_lshlrev_b32_e32 v4, 29, v69
	v_cmp_gt_i64_e32 vcc, 0, v[3:4]
	v_not_b32_e32 v4, v4
	v_ashrrev_i32_e32 v4, 31, v4
	v_and_b32_e32 v72, v72, v209
	v_xor_b32_e32 v209, vcc_hi, v4
	v_xor_b32_e32 v4, vcc_lo, v4
	v_and_b32_e32 v70, v70, v4
	v_lshlrev_b32_e32 v4, 28, v69
	v_cmp_gt_i64_e32 vcc, 0, v[3:4]
	v_not_b32_e32 v4, v4
	v_ashrrev_i32_e32 v4, 31, v4
	v_and_b32_e32 v72, v72, v209
	;; [unrolled: 8-line block ×5, first 2 shown]
	v_xor_b32_e32 v209, vcc_hi, v4
	v_xor_b32_e32 v4, vcc_lo, v4
	v_and_b32_e32 v72, v72, v209
	v_and_b32_e32 v209, v70, v4
	v_lshlrev_b32_e32 v4, 24, v69
	v_cmp_gt_i64_e32 vcc, 0, v[3:4]
	v_not_b32_e32 v4, v4
	v_ashrrev_i32_e32 v4, 31, v4
	v_mul_u32_u24_e32 v71, 20, v69
	v_xor_b32_e32 v69, vcc_hi, v4
	v_xor_b32_e32 v4, vcc_lo, v4
	v_and_b32_e32 v70, v72, v69
	v_and_b32_e32 v69, v209, v4
	v_mbcnt_lo_u32_b32 v4, v69, 0
	v_mbcnt_hi_u32_b32 v209, v70, v4
	v_cmp_ne_u64_e32 vcc, 0, v[69:70]
	v_cmp_eq_u32_e64 s[36:37], 0, v209
	s_and_b64 s[38:39], vcc, s[36:37]
	v_add_u32_e32 v211, v172, v71
	; wave barrier
	s_and_saveexec_b64 s[36:37], s[38:39]
	s_cbranch_execz .LBB1152_1039
; %bb.1038:                             ;   in Loop: Header=BB1152_979 Depth=2
	v_bcnt_u32_b32 v4, v69, 0
	v_bcnt_u32_b32 v4, v70, v4
	s_waitcnt lgkmcnt(0)
	v_add_u32_e32 v4, v207, v4
	ds_write_b32 v211, v4 offset:1040
.LBB1152_1039:                          ;   in Loop: Header=BB1152_979 Depth=2
	s_or_b64 exec, exec, s[36:37]
	v_cmp_gt_i64_e32 vcc, 0, v[51:52]
	v_ashrrev_i32_e32 v69, 31, v52
	v_cndmask_b32_e64 v4, v133, 0, vcc
	v_not_b32_e32 v69, v69
	v_xor_b32_e32 v52, v4, v52
	v_xor_b32_e32 v51, v69, v51
	v_cmp_ne_u64_e32 vcc, s[72:73], v[51:52]
	v_cndmask_b32_e32 v70, v133, v52, vcc
	v_cndmask_b32_e32 v69, -1, v51, vcc
	v_lshrrev_b64 v[69:70], s88, v[69:70]
	; wave barrier
	v_and_b32_e32 v69, s96, v69
	v_mad_u32_u24 v4, v69, 20, v172
	ds_read_b32 v210, v4 offset:1040
	v_and_b32_e32 v4, 1, v69
	v_add_co_u32_e32 v70, vcc, -1, v4
	v_addc_co_u32_e64 v72, s[36:37], 0, -1, vcc
	v_cmp_ne_u32_e32 vcc, 0, v4
	v_xor_b32_e32 v4, vcc_hi, v72
	v_and_b32_e32 v72, exec_hi, v4
	v_lshlrev_b32_e32 v4, 30, v69
	v_xor_b32_e32 v70, vcc_lo, v70
	v_cmp_gt_i64_e32 vcc, 0, v[3:4]
	v_not_b32_e32 v4, v4
	v_ashrrev_i32_e32 v4, 31, v4
	v_and_b32_e32 v70, exec_lo, v70
	v_xor_b32_e32 v212, vcc_hi, v4
	v_xor_b32_e32 v4, vcc_lo, v4
	v_and_b32_e32 v70, v70, v4
	v_lshlrev_b32_e32 v4, 29, v69
	v_cmp_gt_i64_e32 vcc, 0, v[3:4]
	v_not_b32_e32 v4, v4
	v_ashrrev_i32_e32 v4, 31, v4
	v_and_b32_e32 v72, v72, v212
	v_xor_b32_e32 v212, vcc_hi, v4
	v_xor_b32_e32 v4, vcc_lo, v4
	v_and_b32_e32 v70, v70, v4
	v_lshlrev_b32_e32 v4, 28, v69
	v_cmp_gt_i64_e32 vcc, 0, v[3:4]
	v_not_b32_e32 v4, v4
	v_ashrrev_i32_e32 v4, 31, v4
	v_and_b32_e32 v72, v72, v212
	;; [unrolled: 8-line block ×5, first 2 shown]
	v_xor_b32_e32 v212, vcc_hi, v4
	v_xor_b32_e32 v4, vcc_lo, v4
	v_and_b32_e32 v72, v72, v212
	v_and_b32_e32 v212, v70, v4
	v_lshlrev_b32_e32 v4, 24, v69
	v_cmp_gt_i64_e32 vcc, 0, v[3:4]
	v_not_b32_e32 v4, v4
	v_ashrrev_i32_e32 v4, 31, v4
	v_mul_u32_u24_e32 v71, 20, v69
	v_xor_b32_e32 v69, vcc_hi, v4
	v_xor_b32_e32 v4, vcc_lo, v4
	v_and_b32_e32 v70, v72, v69
	v_and_b32_e32 v69, v212, v4
	v_mbcnt_lo_u32_b32 v4, v69, 0
	v_mbcnt_hi_u32_b32 v212, v70, v4
	v_cmp_ne_u64_e32 vcc, 0, v[69:70]
	v_cmp_eq_u32_e64 s[36:37], 0, v212
	s_and_b64 s[38:39], vcc, s[36:37]
	v_add_u32_e32 v214, v172, v71
	; wave barrier
	s_and_saveexec_b64 s[36:37], s[38:39]
	s_cbranch_execz .LBB1152_1041
; %bb.1040:                             ;   in Loop: Header=BB1152_979 Depth=2
	v_bcnt_u32_b32 v4, v69, 0
	v_bcnt_u32_b32 v4, v70, v4
	s_waitcnt lgkmcnt(0)
	v_add_u32_e32 v4, v210, v4
	ds_write_b32 v214, v4 offset:1040
.LBB1152_1041:                          ;   in Loop: Header=BB1152_979 Depth=2
	s_or_b64 exec, exec, s[36:37]
	v_cmp_gt_i64_e32 vcc, 0, v[47:48]
	v_ashrrev_i32_e32 v69, 31, v48
	v_cndmask_b32_e64 v4, v133, 0, vcc
	v_not_b32_e32 v69, v69
	v_xor_b32_e32 v48, v4, v48
	v_xor_b32_e32 v47, v69, v47
	v_cmp_ne_u64_e32 vcc, s[72:73], v[47:48]
	v_cndmask_b32_e32 v70, v133, v48, vcc
	v_cndmask_b32_e32 v69, -1, v47, vcc
	v_lshrrev_b64 v[69:70], s88, v[69:70]
	; wave barrier
	v_and_b32_e32 v69, s96, v69
	v_mad_u32_u24 v4, v69, 20, v172
	ds_read_b32 v213, v4 offset:1040
	v_and_b32_e32 v4, 1, v69
	v_add_co_u32_e32 v70, vcc, -1, v4
	v_addc_co_u32_e64 v72, s[36:37], 0, -1, vcc
	v_cmp_ne_u32_e32 vcc, 0, v4
	v_xor_b32_e32 v4, vcc_hi, v72
	v_and_b32_e32 v72, exec_hi, v4
	v_lshlrev_b32_e32 v4, 30, v69
	v_xor_b32_e32 v70, vcc_lo, v70
	v_cmp_gt_i64_e32 vcc, 0, v[3:4]
	v_not_b32_e32 v4, v4
	v_ashrrev_i32_e32 v4, 31, v4
	v_and_b32_e32 v70, exec_lo, v70
	v_xor_b32_e32 v215, vcc_hi, v4
	v_xor_b32_e32 v4, vcc_lo, v4
	v_and_b32_e32 v70, v70, v4
	v_lshlrev_b32_e32 v4, 29, v69
	v_cmp_gt_i64_e32 vcc, 0, v[3:4]
	v_not_b32_e32 v4, v4
	v_ashrrev_i32_e32 v4, 31, v4
	v_and_b32_e32 v72, v72, v215
	v_xor_b32_e32 v215, vcc_hi, v4
	v_xor_b32_e32 v4, vcc_lo, v4
	v_and_b32_e32 v70, v70, v4
	v_lshlrev_b32_e32 v4, 28, v69
	v_cmp_gt_i64_e32 vcc, 0, v[3:4]
	v_not_b32_e32 v4, v4
	v_ashrrev_i32_e32 v4, 31, v4
	v_and_b32_e32 v72, v72, v215
	;; [unrolled: 8-line block ×5, first 2 shown]
	v_xor_b32_e32 v215, vcc_hi, v4
	v_xor_b32_e32 v4, vcc_lo, v4
	v_and_b32_e32 v72, v72, v215
	v_and_b32_e32 v215, v70, v4
	v_lshlrev_b32_e32 v4, 24, v69
	v_cmp_gt_i64_e32 vcc, 0, v[3:4]
	v_not_b32_e32 v4, v4
	v_ashrrev_i32_e32 v4, 31, v4
	v_mul_u32_u24_e32 v71, 20, v69
	v_xor_b32_e32 v69, vcc_hi, v4
	v_xor_b32_e32 v4, vcc_lo, v4
	v_and_b32_e32 v70, v72, v69
	v_and_b32_e32 v69, v215, v4
	v_mbcnt_lo_u32_b32 v4, v69, 0
	v_mbcnt_hi_u32_b32 v215, v70, v4
	v_cmp_ne_u64_e32 vcc, 0, v[69:70]
	v_cmp_eq_u32_e64 s[36:37], 0, v215
	s_and_b64 s[38:39], vcc, s[36:37]
	v_add_u32_e32 v217, v172, v71
	; wave barrier
	s_and_saveexec_b64 s[36:37], s[38:39]
	s_cbranch_execz .LBB1152_1043
; %bb.1042:                             ;   in Loop: Header=BB1152_979 Depth=2
	v_bcnt_u32_b32 v4, v69, 0
	v_bcnt_u32_b32 v4, v70, v4
	s_waitcnt lgkmcnt(0)
	v_add_u32_e32 v4, v213, v4
	ds_write_b32 v217, v4 offset:1040
.LBB1152_1043:                          ;   in Loop: Header=BB1152_979 Depth=2
	s_or_b64 exec, exec, s[36:37]
	v_cmp_gt_i64_e32 vcc, 0, v[41:42]
	v_ashrrev_i32_e32 v69, 31, v42
	v_cndmask_b32_e64 v4, v133, 0, vcc
	v_not_b32_e32 v69, v69
	v_xor_b32_e32 v42, v4, v42
	v_xor_b32_e32 v41, v69, v41
	v_cmp_ne_u64_e32 vcc, s[72:73], v[41:42]
	v_cndmask_b32_e32 v70, v133, v42, vcc
	v_cndmask_b32_e32 v69, -1, v41, vcc
	v_lshrrev_b64 v[69:70], s88, v[69:70]
	; wave barrier
	v_and_b32_e32 v69, s96, v69
	v_mad_u32_u24 v4, v69, 20, v172
	ds_read_b32 v216, v4 offset:1040
	v_and_b32_e32 v4, 1, v69
	v_add_co_u32_e32 v70, vcc, -1, v4
	v_addc_co_u32_e64 v72, s[36:37], 0, -1, vcc
	v_cmp_ne_u32_e32 vcc, 0, v4
	v_xor_b32_e32 v4, vcc_hi, v72
	v_and_b32_e32 v72, exec_hi, v4
	v_lshlrev_b32_e32 v4, 30, v69
	v_xor_b32_e32 v70, vcc_lo, v70
	v_cmp_gt_i64_e32 vcc, 0, v[3:4]
	v_not_b32_e32 v4, v4
	v_ashrrev_i32_e32 v4, 31, v4
	v_and_b32_e32 v70, exec_lo, v70
	v_xor_b32_e32 v218, vcc_hi, v4
	v_xor_b32_e32 v4, vcc_lo, v4
	v_and_b32_e32 v70, v70, v4
	v_lshlrev_b32_e32 v4, 29, v69
	v_cmp_gt_i64_e32 vcc, 0, v[3:4]
	v_not_b32_e32 v4, v4
	v_ashrrev_i32_e32 v4, 31, v4
	v_and_b32_e32 v72, v72, v218
	v_xor_b32_e32 v218, vcc_hi, v4
	v_xor_b32_e32 v4, vcc_lo, v4
	v_and_b32_e32 v70, v70, v4
	v_lshlrev_b32_e32 v4, 28, v69
	v_cmp_gt_i64_e32 vcc, 0, v[3:4]
	v_not_b32_e32 v4, v4
	v_ashrrev_i32_e32 v4, 31, v4
	v_and_b32_e32 v72, v72, v218
	;; [unrolled: 8-line block ×5, first 2 shown]
	v_xor_b32_e32 v218, vcc_hi, v4
	v_xor_b32_e32 v4, vcc_lo, v4
	v_and_b32_e32 v72, v72, v218
	v_and_b32_e32 v218, v70, v4
	v_lshlrev_b32_e32 v4, 24, v69
	v_cmp_gt_i64_e32 vcc, 0, v[3:4]
	v_not_b32_e32 v4, v4
	v_ashrrev_i32_e32 v4, 31, v4
	v_mul_u32_u24_e32 v71, 20, v69
	v_xor_b32_e32 v69, vcc_hi, v4
	v_xor_b32_e32 v4, vcc_lo, v4
	v_and_b32_e32 v70, v72, v69
	v_and_b32_e32 v69, v218, v4
	v_mbcnt_lo_u32_b32 v4, v69, 0
	v_mbcnt_hi_u32_b32 v218, v70, v4
	v_cmp_ne_u64_e32 vcc, 0, v[69:70]
	v_cmp_eq_u32_e64 s[36:37], 0, v218
	s_and_b64 s[38:39], vcc, s[36:37]
	v_add_u32_e32 v220, v172, v71
	; wave barrier
	s_and_saveexec_b64 s[36:37], s[38:39]
	s_cbranch_execz .LBB1152_1045
; %bb.1044:                             ;   in Loop: Header=BB1152_979 Depth=2
	v_bcnt_u32_b32 v4, v69, 0
	v_bcnt_u32_b32 v4, v70, v4
	s_waitcnt lgkmcnt(0)
	v_add_u32_e32 v4, v216, v4
	ds_write_b32 v220, v4 offset:1040
.LBB1152_1045:                          ;   in Loop: Header=BB1152_979 Depth=2
	s_or_b64 exec, exec, s[36:37]
	v_cmp_gt_i64_e32 vcc, 0, v[43:44]
	v_ashrrev_i32_e32 v69, 31, v44
	v_cndmask_b32_e64 v4, v133, 0, vcc
	v_not_b32_e32 v69, v69
	v_xor_b32_e32 v44, v4, v44
	v_xor_b32_e32 v43, v69, v43
	v_cmp_ne_u64_e32 vcc, s[72:73], v[43:44]
	v_cndmask_b32_e32 v70, v133, v44, vcc
	v_cndmask_b32_e32 v69, -1, v43, vcc
	v_lshrrev_b64 v[69:70], s88, v[69:70]
	; wave barrier
	v_and_b32_e32 v69, s96, v69
	v_mad_u32_u24 v4, v69, 20, v172
	ds_read_b32 v219, v4 offset:1040
	v_and_b32_e32 v4, 1, v69
	v_add_co_u32_e32 v70, vcc, -1, v4
	v_addc_co_u32_e64 v72, s[36:37], 0, -1, vcc
	v_cmp_ne_u32_e32 vcc, 0, v4
	v_xor_b32_e32 v4, vcc_hi, v72
	v_and_b32_e32 v72, exec_hi, v4
	v_lshlrev_b32_e32 v4, 30, v69
	v_xor_b32_e32 v70, vcc_lo, v70
	v_cmp_gt_i64_e32 vcc, 0, v[3:4]
	v_not_b32_e32 v4, v4
	v_ashrrev_i32_e32 v4, 31, v4
	v_and_b32_e32 v70, exec_lo, v70
	v_xor_b32_e32 v221, vcc_hi, v4
	v_xor_b32_e32 v4, vcc_lo, v4
	v_and_b32_e32 v70, v70, v4
	v_lshlrev_b32_e32 v4, 29, v69
	v_cmp_gt_i64_e32 vcc, 0, v[3:4]
	v_not_b32_e32 v4, v4
	v_ashrrev_i32_e32 v4, 31, v4
	v_and_b32_e32 v72, v72, v221
	v_xor_b32_e32 v221, vcc_hi, v4
	v_xor_b32_e32 v4, vcc_lo, v4
	v_and_b32_e32 v70, v70, v4
	v_lshlrev_b32_e32 v4, 28, v69
	v_cmp_gt_i64_e32 vcc, 0, v[3:4]
	v_not_b32_e32 v4, v4
	v_ashrrev_i32_e32 v4, 31, v4
	v_and_b32_e32 v72, v72, v221
	;; [unrolled: 8-line block ×5, first 2 shown]
	v_xor_b32_e32 v221, vcc_hi, v4
	v_xor_b32_e32 v4, vcc_lo, v4
	v_and_b32_e32 v72, v72, v221
	v_and_b32_e32 v221, v70, v4
	v_lshlrev_b32_e32 v4, 24, v69
	v_cmp_gt_i64_e32 vcc, 0, v[3:4]
	v_not_b32_e32 v4, v4
	v_ashrrev_i32_e32 v4, 31, v4
	v_mul_u32_u24_e32 v71, 20, v69
	v_xor_b32_e32 v69, vcc_hi, v4
	v_xor_b32_e32 v4, vcc_lo, v4
	v_and_b32_e32 v70, v72, v69
	v_and_b32_e32 v69, v221, v4
	v_mbcnt_lo_u32_b32 v4, v69, 0
	v_mbcnt_hi_u32_b32 v221, v70, v4
	v_cmp_ne_u64_e32 vcc, 0, v[69:70]
	v_cmp_eq_u32_e64 s[36:37], 0, v221
	s_and_b64 s[38:39], vcc, s[36:37]
	v_add_u32_e32 v4, v172, v71
	; wave barrier
	s_and_saveexec_b64 s[36:37], s[38:39]
	s_cbranch_execz .LBB1152_1047
; %bb.1046:                             ;   in Loop: Header=BB1152_979 Depth=2
	v_bcnt_u32_b32 v69, v69, 0
	v_bcnt_u32_b32 v69, v70, v69
	s_waitcnt lgkmcnt(0)
	v_add_u32_e32 v69, v219, v69
	ds_write_b32 v4, v69 offset:1040
.LBB1152_1047:                          ;   in Loop: Header=BB1152_979 Depth=2
	s_or_b64 exec, exec, s[36:37]
	; wave barrier
	s_waitcnt lgkmcnt(0)
	s_barrier
	ds_read2_b32 v[71:72], v175 offset1:1
	ds_read2_b32 v[69:70], v174 offset1:1
	ds_read_b32 v222, v98 offset:1056
	s_waitcnt lgkmcnt(1)
	v_add3_u32 v223, v72, v71, v69
	s_waitcnt lgkmcnt(0)
	v_add3_u32 v222, v223, v70, v222
	s_nop 1
	v_mov_b32_dpp v223, v222 row_shr:1 row_mask:0xf bank_mask:0xf
	v_cndmask_b32_e64 v223, v223, 0, s[16:17]
	v_add_u32_e32 v222, v223, v222
	s_nop 1
	v_mov_b32_dpp v223, v222 row_shr:2 row_mask:0xf bank_mask:0xf
	v_cndmask_b32_e64 v223, 0, v223, s[18:19]
	v_add_u32_e32 v222, v222, v223
	;; [unrolled: 4-line block ×4, first 2 shown]
	s_nop 1
	v_mov_b32_dpp v223, v222 row_bcast:15 row_mask:0xf bank_mask:0xf
	v_cndmask_b32_e64 v223, v223, 0, s[24:25]
	v_add_u32_e32 v222, v222, v223
	s_nop 1
	v_mov_b32_dpp v223, v222 row_bcast:31 row_mask:0xf bank_mask:0xf
	v_cndmask_b32_e64 v223, 0, v223, s[26:27]
	v_add_u32_e32 v222, v222, v223
	s_and_saveexec_b64 s[36:37], s[6:7]
; %bb.1048:                             ;   in Loop: Header=BB1152_979 Depth=2
	ds_write_b32 v93, v222 offset:1024
; %bb.1049:                             ;   in Loop: Header=BB1152_979 Depth=2
	s_or_b64 exec, exec, s[36:37]
	s_waitcnt lgkmcnt(0)
	s_barrier
	s_and_saveexec_b64 s[36:37], s[8:9]
	s_cbranch_execz .LBB1152_1051
; %bb.1050:                             ;   in Loop: Header=BB1152_979 Depth=2
	ds_read_b32 v223, v99 offset:1024
	s_waitcnt lgkmcnt(0)
	s_nop 0
	v_mov_b32_dpp v224, v223 row_shr:1 row_mask:0xf bank_mask:0xf
	v_cndmask_b32_e64 v224, v224, 0, s[30:31]
	v_add_u32_e32 v223, v224, v223
	s_nop 1
	v_mov_b32_dpp v224, v223 row_shr:2 row_mask:0xf bank_mask:0xf
	v_cndmask_b32_e64 v224, 0, v224, s[34:35]
	v_add_u32_e32 v223, v223, v224
	ds_write_b32 v99, v223 offset:1024
.LBB1152_1051:                          ;   in Loop: Header=BB1152_979 Depth=2
	s_or_b64 exec, exec, s[36:37]
	v_mov_b32_e32 v223, 0
	s_waitcnt lgkmcnt(0)
	s_barrier
	s_and_saveexec_b64 s[36:37], s[10:11]
; %bb.1052:                             ;   in Loop: Header=BB1152_979 Depth=2
	ds_read_b32 v223, v93 offset:1020
; %bb.1053:                             ;   in Loop: Header=BB1152_979 Depth=2
	s_or_b64 exec, exec, s[36:37]
	s_waitcnt lgkmcnt(0)
	v_add_u32_e32 v222, v223, v222
	ds_bpermute_b32 v222, v135, v222
	s_waitcnt lgkmcnt(0)
	v_cndmask_b32_e64 v222, v222, v223, s[28:29]
	v_cndmask_b32_e64 v222, v222, 0, s[12:13]
	v_add_u32_e32 v71, v222, v71
	v_add_u32_e32 v72, v71, v72
	;; [unrolled: 1-line block ×4, first 2 shown]
	ds_write2_b32 v175, v222, v71 offset1:1
	ds_write2_b32 v174, v72, v69 offset1:1
	ds_write_b32 v98, v70 offset:1056
	s_waitcnt lgkmcnt(0)
	s_barrier
	ds_read_b32 v69, v178 offset:1040
	ds_read_b32 v70, v181 offset:1040
	;; [unrolled: 1-line block ×17, first 2 shown]
	v_mov_b32_e32 v4, 0x1000
	s_and_saveexec_b64 s[36:37], s[14:15]
; %bb.1054:                             ;   in Loop: Header=BB1152_979 Depth=2
	ds_read_b32 v4, v98 offset:1060
; %bb.1055:                             ;   in Loop: Header=BB1152_979 Depth=2
	s_or_b64 exec, exec, s[36:37]
	s_waitcnt lgkmcnt(0)
	s_barrier
	s_and_saveexec_b64 s[36:37], s[4:5]
	s_cbranch_execz .LBB1152_1057
; %bb.1056:                             ;   in Loop: Header=BB1152_979 Depth=2
	ds_read_b32 v199, v73
	s_waitcnt lgkmcnt(0)
	v_sub_u32_e32 v196, v199, v196
	ds_write_b32 v73, v196
.LBB1152_1057:                          ;   in Loop: Header=BB1152_979 Depth=2
	s_or_b64 exec, exec, s[36:37]
	v_lshlrev_b32_e32 v176, 3, v176
	v_lshl_add_u32 v69, v69, 3, v176
	ds_write_b64 v69, v[37:38] offset:1024
	v_lshlrev_b32_e32 v37, 3, v179
	v_lshlrev_b32_e32 v38, 3, v177
	;; [unrolled: 1-line block ×3, first 2 shown]
	v_add3_u32 v70, v37, v38, v70
	ds_write_b64 v70, v[39:40] offset:1024
	v_lshlrev_b32_e32 v37, 3, v182
	v_lshlrev_b32_e32 v38, 3, v180
	v_lshlrev_b32_e32 v39, 3, v225
	v_add3_u32 v39, v37, v38, v39
	v_lshlrev_b32_e32 v37, 3, v185
	v_lshlrev_b32_e32 v38, 3, v183
	v_lshlrev_b32_e32 v40, 3, v224
	ds_write_b64 v39, v[45:46] offset:1024
	v_add3_u32 v40, v37, v38, v40
	v_lshlrev_b32_e32 v37, 3, v188
	v_lshlrev_b32_e32 v38, 3, v186
	v_lshlrev_b32_e32 v45, 3, v223
	v_add3_u32 v45, v37, v38, v45
	v_lshlrev_b32_e32 v37, 3, v191
	v_lshlrev_b32_e32 v38, 3, v189
	v_lshlrev_b32_e32 v46, 3, v222
	ds_write_b64 v40, v[49:50] offset:1024
	v_add3_u32 v46, v37, v38, v46
	;; [unrolled: 9-line block ×4, first 2 shown]
	v_lshlrev_b32_e32 v37, 3, v206
	v_lshlrev_b32_e32 v38, 3, v204
	;; [unrolled: 1-line block ×3, first 2 shown]
	v_add3_u32 v57, v37, v38, v57
	v_lshlrev_b32_e32 v37, 3, v209
	v_lshlrev_b32_e32 v38, 3, v207
	;; [unrolled: 1-line block ×3, first 2 shown]
	v_add3_u32 v58, v37, v38, v58
	ds_write_b64 v49, v[63:64] offset:1024
	ds_write_b64 v50, v[65:66] offset:1024
	;; [unrolled: 1-line block ×6, first 2 shown]
	v_lshlrev_b32_e32 v37, 3, v212
	v_lshlrev_b32_e32 v38, 3, v210
	v_lshlrev_b32_e32 v55, 3, v175
	v_add3_u32 v55, v37, v38, v55
	ds_write_b64 v55, v[51:52] offset:1024
	v_lshlrev_b32_e32 v37, 3, v215
	v_lshlrev_b32_e32 v38, 3, v213
	v_lshlrev_b32_e32 v51, 3, v174
	v_add3_u32 v51, v37, v38, v51
	ds_write_b64 v51, v[47:48] offset:1024
	;; [unrolled: 5-line block ×3, first 2 shown]
	v_lshlrev_b32_e32 v37, 3, v221
	v_lshlrev_b32_e32 v38, 3, v219
	;; [unrolled: 1-line block ×3, first 2 shown]
	v_add3_u32 v41, v37, v38, v41
	v_cmp_lt_u32_e64 s[36:37], v0, v173
	ds_write_b64 v41, v[43:44] offset:1024
	s_waitcnt lgkmcnt(0)
	s_barrier
	s_and_saveexec_b64 s[38:39], s[36:37]
	s_cbranch_execnz .LBB1152_1126
; %bb.1058:                             ;   in Loop: Header=BB1152_979 Depth=2
	s_or_b64 exec, exec, s[38:39]
	v_cmp_lt_u32_e64 s[38:39], v74, v173
	s_and_saveexec_b64 s[40:41], s[38:39]
	s_cbranch_execnz .LBB1152_1127
.LBB1152_1059:                          ;   in Loop: Header=BB1152_979 Depth=2
	s_or_b64 exec, exec, s[40:41]
	v_cmp_lt_u32_e64 s[40:41], v75, v173
	s_and_saveexec_b64 s[42:43], s[40:41]
	s_cbranch_execnz .LBB1152_1128
.LBB1152_1060:                          ;   in Loop: Header=BB1152_979 Depth=2
	s_or_b64 exec, exec, s[42:43]
	v_cmp_lt_u32_e64 s[42:43], v76, v173
	s_and_saveexec_b64 s[44:45], s[42:43]
	s_cbranch_execnz .LBB1152_1129
.LBB1152_1061:                          ;   in Loop: Header=BB1152_979 Depth=2
	s_or_b64 exec, exec, s[44:45]
	v_cmp_lt_u32_e64 s[44:45], v79, v173
	s_and_saveexec_b64 s[46:47], s[44:45]
	s_cbranch_execnz .LBB1152_1130
.LBB1152_1062:                          ;   in Loop: Header=BB1152_979 Depth=2
	s_or_b64 exec, exec, s[46:47]
	v_cmp_lt_u32_e64 s[46:47], v80, v173
	s_and_saveexec_b64 s[48:49], s[46:47]
	s_cbranch_execnz .LBB1152_1131
.LBB1152_1063:                          ;   in Loop: Header=BB1152_979 Depth=2
	s_or_b64 exec, exec, s[48:49]
	v_cmp_lt_u32_e64 s[48:49], v81, v173
	s_and_saveexec_b64 s[50:51], s[48:49]
	s_cbranch_execnz .LBB1152_1132
.LBB1152_1064:                          ;   in Loop: Header=BB1152_979 Depth=2
	s_or_b64 exec, exec, s[50:51]
	v_cmp_lt_u32_e64 s[50:51], v82, v173
	s_and_saveexec_b64 s[52:53], s[50:51]
	s_cbranch_execnz .LBB1152_1133
.LBB1152_1065:                          ;   in Loop: Header=BB1152_979 Depth=2
	s_or_b64 exec, exec, s[52:53]
	v_cmp_lt_u32_e64 s[52:53], v83, v173
	s_and_saveexec_b64 s[54:55], s[52:53]
	s_cbranch_execnz .LBB1152_1134
.LBB1152_1066:                          ;   in Loop: Header=BB1152_979 Depth=2
	s_or_b64 exec, exec, s[54:55]
	v_cmp_lt_u32_e64 s[54:55], v84, v173
	s_and_saveexec_b64 s[56:57], s[54:55]
	s_cbranch_execnz .LBB1152_1135
.LBB1152_1067:                          ;   in Loop: Header=BB1152_979 Depth=2
	s_or_b64 exec, exec, s[56:57]
	v_cmp_lt_u32_e64 s[56:57], v85, v173
	s_and_saveexec_b64 s[58:59], s[56:57]
	s_cbranch_execnz .LBB1152_1136
.LBB1152_1068:                          ;   in Loop: Header=BB1152_979 Depth=2
	s_or_b64 exec, exec, s[58:59]
	v_cmp_lt_u32_e64 s[58:59], v86, v173
	s_and_saveexec_b64 s[60:61], s[58:59]
	s_cbranch_execnz .LBB1152_1137
.LBB1152_1069:                          ;   in Loop: Header=BB1152_979 Depth=2
	s_or_b64 exec, exec, s[60:61]
	v_cmp_lt_u32_e64 s[60:61], v87, v173
	s_and_saveexec_b64 s[62:63], s[60:61]
	s_cbranch_execnz .LBB1152_1138
.LBB1152_1070:                          ;   in Loop: Header=BB1152_979 Depth=2
	s_or_b64 exec, exec, s[62:63]
	v_cmp_lt_u32_e64 s[62:63], v88, v173
	s_and_saveexec_b64 s[64:65], s[62:63]
	s_cbranch_execnz .LBB1152_1139
.LBB1152_1071:                          ;   in Loop: Header=BB1152_979 Depth=2
	s_or_b64 exec, exec, s[64:65]
	v_cmp_lt_u32_e64 s[64:65], v89, v173
	s_and_saveexec_b64 s[66:67], s[64:65]
	s_cbranch_execnz .LBB1152_1140
.LBB1152_1072:                          ;   in Loop: Header=BB1152_979 Depth=2
	s_or_b64 exec, exec, s[66:67]
	v_cmp_lt_u32_e64 s[66:67], v90, v173
	s_and_saveexec_b64 s[92:93], s[66:67]
	s_cbranch_execz .LBB1152_1074
.LBB1152_1073:                          ;   in Loop: Header=BB1152_979 Depth=2
	ds_read_b64 v[37:38], v104 offset:31744
	v_mov_b32_e32 v43, v3
	v_mov_b32_e32 v44, s81
	s_waitcnt lgkmcnt(0)
	v_cmp_ne_u64_e32 vcc, s[72:73], v[37:38]
	v_ashrrev_i32_e32 v52, 31, v38
	v_cndmask_b32_e32 v60, v133, v38, vcc
	v_cndmask_b32_e32 v59, -1, v37, vcc
	v_lshrrev_b64 v[59:60], s88, v[59:60]
	v_cmp_gt_i64_e32 vcc, 0, v[37:38]
	v_and_b32_e32 v48, s96, v59
	v_lshlrev_b32_e32 v48, 2, v48
	ds_read_b32 v48, v48
	v_cndmask_b32_e64 v42, v133, 0, vcc
	v_xor_b32_e32 v38, v42, v38
	v_not_b32_e32 v52, v52
	v_xor_b32_e32 v37, v52, v37
	s_waitcnt lgkmcnt(0)
	v_add_u32_e32 v42, v48, v90
	v_lshlrev_b64 v[42:43], 3, v[42:43]
	v_add_co_u32_e32 v42, vcc, s80, v42
	v_addc_co_u32_e32 v43, vcc, v44, v43, vcc
	global_store_dwordx2 v[42:43], v[37:38], off
.LBB1152_1074:                          ;   in Loop: Header=BB1152_979 Depth=2
	s_or_b64 exec, exec, s[92:93]
	s_mov_b32 s83, s72
	s_lshl_b64 s[82:83], s[82:83], 3
	v_mov_b32_e32 v38, s83
	v_add_co_u32_e32 v37, vcc, s82, v145
	v_addc_co_u32_e32 v38, vcc, v147, v38, vcc
	v_cmp_lt_u32_e32 vcc, v143, v173
	s_and_saveexec_b64 s[82:83], vcc
	s_xor_b64 s[82:83], exec, s[82:83]
	s_cbranch_execnz .LBB1152_1141
; %bb.1075:                             ;   in Loop: Header=BB1152_979 Depth=2
	s_or_b64 exec, exec, s[82:83]
	v_cmp_lt_u32_e32 vcc, v149, v173
	s_and_saveexec_b64 s[82:83], vcc
	s_cbranch_execnz .LBB1152_1142
.LBB1152_1076:                          ;   in Loop: Header=BB1152_979 Depth=2
	s_or_b64 exec, exec, s[82:83]
	v_cmp_lt_u32_e32 vcc, v151, v173
	s_and_saveexec_b64 s[82:83], vcc
	s_cbranch_execnz .LBB1152_1143
.LBB1152_1077:                          ;   in Loop: Header=BB1152_979 Depth=2
	s_or_b64 exec, exec, s[82:83]
	v_cmp_lt_u32_e32 vcc, v153, v173
	s_and_saveexec_b64 s[82:83], vcc
	s_cbranch_execnz .LBB1152_1144
.LBB1152_1078:                          ;   in Loop: Header=BB1152_979 Depth=2
	s_or_b64 exec, exec, s[82:83]
	v_cmp_lt_u32_e32 vcc, v155, v173
	s_and_saveexec_b64 s[82:83], vcc
	s_cbranch_execnz .LBB1152_1145
.LBB1152_1079:                          ;   in Loop: Header=BB1152_979 Depth=2
	s_or_b64 exec, exec, s[82:83]
	v_cmp_lt_u32_e32 vcc, v157, v173
	s_and_saveexec_b64 s[82:83], vcc
	s_cbranch_execnz .LBB1152_1146
.LBB1152_1080:                          ;   in Loop: Header=BB1152_979 Depth=2
	s_or_b64 exec, exec, s[82:83]
	v_cmp_lt_u32_e32 vcc, v159, v173
	s_and_saveexec_b64 s[82:83], vcc
	s_cbranch_execnz .LBB1152_1147
.LBB1152_1081:                          ;   in Loop: Header=BB1152_979 Depth=2
	s_or_b64 exec, exec, s[82:83]
	v_cmp_lt_u32_e32 vcc, v161, v173
	s_and_saveexec_b64 s[82:83], vcc
	s_cbranch_execnz .LBB1152_1148
.LBB1152_1082:                          ;   in Loop: Header=BB1152_979 Depth=2
	s_or_b64 exec, exec, s[82:83]
	v_cmp_lt_u32_e32 vcc, v162, v173
	s_and_saveexec_b64 s[82:83], vcc
	s_cbranch_execnz .LBB1152_1149
.LBB1152_1083:                          ;   in Loop: Header=BB1152_979 Depth=2
	s_or_b64 exec, exec, s[82:83]
	v_cmp_lt_u32_e32 vcc, v163, v173
	s_and_saveexec_b64 s[82:83], vcc
	s_cbranch_execnz .LBB1152_1150
.LBB1152_1084:                          ;   in Loop: Header=BB1152_979 Depth=2
	s_or_b64 exec, exec, s[82:83]
	v_cmp_lt_u32_e32 vcc, v164, v173
	s_and_saveexec_b64 s[82:83], vcc
	s_cbranch_execnz .LBB1152_1151
.LBB1152_1085:                          ;   in Loop: Header=BB1152_979 Depth=2
	s_or_b64 exec, exec, s[82:83]
	v_cmp_lt_u32_e32 vcc, v165, v173
	s_and_saveexec_b64 s[82:83], vcc
	s_cbranch_execnz .LBB1152_1152
.LBB1152_1086:                          ;   in Loop: Header=BB1152_979 Depth=2
	s_or_b64 exec, exec, s[82:83]
	v_cmp_lt_u32_e32 vcc, v166, v173
	s_and_saveexec_b64 s[82:83], vcc
	s_cbranch_execnz .LBB1152_1153
.LBB1152_1087:                          ;   in Loop: Header=BB1152_979 Depth=2
	s_or_b64 exec, exec, s[82:83]
	v_cmp_lt_u32_e32 vcc, v167, v173
	s_and_saveexec_b64 s[82:83], vcc
	s_cbranch_execnz .LBB1152_1154
.LBB1152_1088:                          ;   in Loop: Header=BB1152_979 Depth=2
	s_or_b64 exec, exec, s[82:83]
	v_cmp_lt_u32_e32 vcc, v168, v173
	s_and_saveexec_b64 s[82:83], vcc
	s_cbranch_execnz .LBB1152_1155
.LBB1152_1089:                          ;   in Loop: Header=BB1152_979 Depth=2
	s_or_b64 exec, exec, s[82:83]
	v_cmp_lt_u32_e32 vcc, v169, v173
	s_and_saveexec_b64 s[82:83], vcc
	s_cbranch_execnz .LBB1152_1156
.LBB1152_1090:                          ;   in Loop: Header=BB1152_979 Depth=2
	s_or_b64 exec, exec, s[82:83]
	s_and_saveexec_b64 s[82:83], s[36:37]
	s_cbranch_execnz .LBB1152_1157
.LBB1152_1091:                          ;   in Loop: Header=BB1152_979 Depth=2
	s_or_b64 exec, exec, s[82:83]
	s_and_saveexec_b64 s[82:83], s[38:39]
	s_cbranch_execnz .LBB1152_1158
.LBB1152_1092:                          ;   in Loop: Header=BB1152_979 Depth=2
	s_or_b64 exec, exec, s[82:83]
	s_and_saveexec_b64 s[82:83], s[40:41]
	s_cbranch_execnz .LBB1152_1159
.LBB1152_1093:                          ;   in Loop: Header=BB1152_979 Depth=2
	s_or_b64 exec, exec, s[82:83]
	s_and_saveexec_b64 s[82:83], s[42:43]
	s_cbranch_execnz .LBB1152_1160
.LBB1152_1094:                          ;   in Loop: Header=BB1152_979 Depth=2
	s_or_b64 exec, exec, s[82:83]
	s_and_saveexec_b64 s[82:83], s[44:45]
	s_cbranch_execnz .LBB1152_1161
.LBB1152_1095:                          ;   in Loop: Header=BB1152_979 Depth=2
	s_or_b64 exec, exec, s[82:83]
	s_and_saveexec_b64 s[82:83], s[46:47]
	s_cbranch_execnz .LBB1152_1162
.LBB1152_1096:                          ;   in Loop: Header=BB1152_979 Depth=2
	s_or_b64 exec, exec, s[82:83]
	s_and_saveexec_b64 s[82:83], s[48:49]
	s_cbranch_execnz .LBB1152_1163
.LBB1152_1097:                          ;   in Loop: Header=BB1152_979 Depth=2
	s_or_b64 exec, exec, s[82:83]
	s_and_saveexec_b64 s[82:83], s[50:51]
	s_cbranch_execnz .LBB1152_1164
.LBB1152_1098:                          ;   in Loop: Header=BB1152_979 Depth=2
	s_or_b64 exec, exec, s[82:83]
	s_and_saveexec_b64 s[82:83], s[52:53]
	s_cbranch_execnz .LBB1152_1165
.LBB1152_1099:                          ;   in Loop: Header=BB1152_979 Depth=2
	s_or_b64 exec, exec, s[82:83]
	s_and_saveexec_b64 s[82:83], s[54:55]
	s_cbranch_execnz .LBB1152_1166
.LBB1152_1100:                          ;   in Loop: Header=BB1152_979 Depth=2
	s_or_b64 exec, exec, s[82:83]
	s_and_saveexec_b64 s[82:83], s[56:57]
	s_cbranch_execnz .LBB1152_1167
.LBB1152_1101:                          ;   in Loop: Header=BB1152_979 Depth=2
	s_or_b64 exec, exec, s[82:83]
	s_and_saveexec_b64 s[82:83], s[58:59]
	s_cbranch_execnz .LBB1152_1168
.LBB1152_1102:                          ;   in Loop: Header=BB1152_979 Depth=2
	s_or_b64 exec, exec, s[82:83]
	s_and_saveexec_b64 s[82:83], s[60:61]
	s_cbranch_execnz .LBB1152_1169
.LBB1152_1103:                          ;   in Loop: Header=BB1152_979 Depth=2
	s_or_b64 exec, exec, s[82:83]
	s_and_saveexec_b64 s[82:83], s[62:63]
	s_cbranch_execnz .LBB1152_1170
.LBB1152_1104:                          ;   in Loop: Header=BB1152_979 Depth=2
	s_or_b64 exec, exec, s[82:83]
	s_and_saveexec_b64 s[82:83], s[64:65]
	s_cbranch_execnz .LBB1152_1171
.LBB1152_1105:                          ;   in Loop: Header=BB1152_979 Depth=2
	s_or_b64 exec, exec, s[82:83]
	s_and_saveexec_b64 s[82:83], s[66:67]
	s_cbranch_execz .LBB1152_1107
.LBB1152_1106:                          ;   in Loop: Header=BB1152_979 Depth=2
	ds_read_b64 v[37:38], v104 offset:31744
	s_waitcnt lgkmcnt(0)
	v_cmp_ne_u64_e32 vcc, s[72:73], v[37:38]
	v_cndmask_b32_e32 v38, v133, v38, vcc
	v_cndmask_b32_e32 v37, -1, v37, vcc
	v_lshrrev_b64 v[37:38], s88, v[37:38]
	v_and_b32_e32 v136, s96, v37
.LBB1152_1107:                          ;   in Loop: Header=BB1152_979 Depth=2
	s_or_b64 exec, exec, s[82:83]
	s_waitcnt vmcnt(0)
	s_barrier
	ds_write_b64 v69, v[35:36] offset:1024
	ds_write_b64 v70, v[33:34] offset:1024
	;; [unrolled: 1-line block ×16, first 2 shown]
	s_waitcnt lgkmcnt(0)
	s_barrier
	s_and_saveexec_b64 s[82:83], s[36:37]
	s_cbranch_execnz .LBB1152_1172
; %bb.1108:                             ;   in Loop: Header=BB1152_979 Depth=2
	s_or_b64 exec, exec, s[82:83]
	s_and_saveexec_b64 s[36:37], s[38:39]
	s_cbranch_execnz .LBB1152_1173
.LBB1152_1109:                          ;   in Loop: Header=BB1152_979 Depth=2
	s_or_b64 exec, exec, s[36:37]
	s_and_saveexec_b64 s[36:37], s[40:41]
	s_cbranch_execnz .LBB1152_1174
.LBB1152_1110:                          ;   in Loop: Header=BB1152_979 Depth=2
	s_or_b64 exec, exec, s[36:37]
	s_and_saveexec_b64 s[36:37], s[42:43]
	s_cbranch_execnz .LBB1152_1175
.LBB1152_1111:                          ;   in Loop: Header=BB1152_979 Depth=2
	s_or_b64 exec, exec, s[36:37]
	s_and_saveexec_b64 s[36:37], s[44:45]
	s_cbranch_execnz .LBB1152_1176
.LBB1152_1112:                          ;   in Loop: Header=BB1152_979 Depth=2
	s_or_b64 exec, exec, s[36:37]
	s_and_saveexec_b64 s[36:37], s[46:47]
	s_cbranch_execnz .LBB1152_1177
.LBB1152_1113:                          ;   in Loop: Header=BB1152_979 Depth=2
	s_or_b64 exec, exec, s[36:37]
	s_and_saveexec_b64 s[36:37], s[48:49]
	s_cbranch_execnz .LBB1152_1178
.LBB1152_1114:                          ;   in Loop: Header=BB1152_979 Depth=2
	s_or_b64 exec, exec, s[36:37]
	s_and_saveexec_b64 s[36:37], s[50:51]
	s_cbranch_execnz .LBB1152_1179
.LBB1152_1115:                          ;   in Loop: Header=BB1152_979 Depth=2
	s_or_b64 exec, exec, s[36:37]
	s_and_saveexec_b64 s[36:37], s[52:53]
	s_cbranch_execnz .LBB1152_1180
.LBB1152_1116:                          ;   in Loop: Header=BB1152_979 Depth=2
	s_or_b64 exec, exec, s[36:37]
	s_and_saveexec_b64 s[36:37], s[54:55]
	s_cbranch_execnz .LBB1152_1181
.LBB1152_1117:                          ;   in Loop: Header=BB1152_979 Depth=2
	s_or_b64 exec, exec, s[36:37]
	s_and_saveexec_b64 s[36:37], s[56:57]
	s_cbranch_execnz .LBB1152_1182
.LBB1152_1118:                          ;   in Loop: Header=BB1152_979 Depth=2
	s_or_b64 exec, exec, s[36:37]
	s_and_saveexec_b64 s[36:37], s[58:59]
	s_cbranch_execnz .LBB1152_1183
.LBB1152_1119:                          ;   in Loop: Header=BB1152_979 Depth=2
	s_or_b64 exec, exec, s[36:37]
	s_and_saveexec_b64 s[36:37], s[60:61]
	s_cbranch_execnz .LBB1152_1184
.LBB1152_1120:                          ;   in Loop: Header=BB1152_979 Depth=2
	s_or_b64 exec, exec, s[36:37]
	s_and_saveexec_b64 s[36:37], s[62:63]
	s_cbranch_execnz .LBB1152_1185
.LBB1152_1121:                          ;   in Loop: Header=BB1152_979 Depth=2
	s_or_b64 exec, exec, s[36:37]
	s_and_saveexec_b64 s[36:37], s[64:65]
	s_cbranch_execnz .LBB1152_1186
.LBB1152_1122:                          ;   in Loop: Header=BB1152_979 Depth=2
	s_or_b64 exec, exec, s[36:37]
	s_and_saveexec_b64 s[36:37], s[66:67]
	s_cbranch_execz .LBB1152_1124
.LBB1152_1123:                          ;   in Loop: Header=BB1152_979 Depth=2
	v_lshlrev_b32_e32 v37, 2, v136
	ds_read_b32 v39, v37
	ds_read_b64 v[37:38], v104 offset:31744
	v_mov_b32_e32 v40, v3
	v_mov_b32_e32 v41, s87
	s_waitcnt lgkmcnt(1)
	v_add_u32_e32 v39, v39, v90
	v_lshlrev_b64 v[39:40], 3, v[39:40]
	v_add_co_u32_e32 v39, vcc, s86, v39
	v_addc_co_u32_e32 v40, vcc, v41, v40, vcc
	s_waitcnt lgkmcnt(0)
	global_store_dwordx2 v[39:40], v[37:38], off
.LBB1152_1124:                          ;   in Loop: Header=BB1152_979 Depth=2
	s_or_b64 exec, exec, s[36:37]
	s_waitcnt vmcnt(0)
	s_barrier
	s_and_saveexec_b64 s[36:37], s[4:5]
	s_cbranch_execz .LBB1152_978
; %bb.1125:                             ;   in Loop: Header=BB1152_979 Depth=2
	ds_read_b32 v37, v73
	s_waitcnt lgkmcnt(0)
	v_add_u32_e32 v4, v37, v4
	ds_write_b32 v73, v4
	s_branch .LBB1152_978
.LBB1152_1126:                          ;   in Loop: Header=BB1152_979 Depth=2
	ds_read_b64 v[37:38], v104 offset:1024
	v_mov_b32_e32 v43, v3
	v_mov_b32_e32 v44, s81
	s_waitcnt lgkmcnt(0)
	v_cmp_ne_u64_e32 vcc, s[72:73], v[37:38]
	v_ashrrev_i32_e32 v52, 31, v38
	v_cndmask_b32_e32 v60, v133, v38, vcc
	v_cndmask_b32_e32 v59, -1, v37, vcc
	v_lshrrev_b64 v[59:60], s88, v[59:60]
	v_cmp_gt_i64_e32 vcc, 0, v[37:38]
	v_and_b32_e32 v48, s96, v59
	v_lshlrev_b32_e32 v48, 2, v48
	ds_read_b32 v48, v48
	v_cndmask_b32_e64 v42, v133, 0, vcc
	v_xor_b32_e32 v38, v42, v38
	v_not_b32_e32 v52, v52
	v_xor_b32_e32 v37, v52, v37
	s_waitcnt lgkmcnt(0)
	v_add_u32_e32 v42, v48, v0
	v_lshlrev_b64 v[42:43], 3, v[42:43]
	v_add_co_u32_e32 v42, vcc, s80, v42
	v_addc_co_u32_e32 v43, vcc, v44, v43, vcc
	global_store_dwordx2 v[42:43], v[37:38], off
	s_or_b64 exec, exec, s[38:39]
	v_cmp_lt_u32_e64 s[38:39], v74, v173
	s_and_saveexec_b64 s[40:41], s[38:39]
	s_cbranch_execz .LBB1152_1059
.LBB1152_1127:                          ;   in Loop: Header=BB1152_979 Depth=2
	ds_read_b64 v[37:38], v104 offset:3072
	v_mov_b32_e32 v43, v3
	v_mov_b32_e32 v44, s81
	s_waitcnt lgkmcnt(0)
	v_cmp_ne_u64_e32 vcc, s[72:73], v[37:38]
	v_ashrrev_i32_e32 v52, 31, v38
	v_cndmask_b32_e32 v60, v133, v38, vcc
	v_cndmask_b32_e32 v59, -1, v37, vcc
	v_lshrrev_b64 v[59:60], s88, v[59:60]
	v_cmp_gt_i64_e32 vcc, 0, v[37:38]
	v_and_b32_e32 v48, s96, v59
	v_lshlrev_b32_e32 v48, 2, v48
	ds_read_b32 v48, v48
	v_cndmask_b32_e64 v42, v133, 0, vcc
	v_xor_b32_e32 v38, v42, v38
	v_not_b32_e32 v52, v52
	v_xor_b32_e32 v37, v52, v37
	s_waitcnt lgkmcnt(0)
	v_add_u32_e32 v42, v48, v74
	v_lshlrev_b64 v[42:43], 3, v[42:43]
	v_add_co_u32_e32 v42, vcc, s80, v42
	v_addc_co_u32_e32 v43, vcc, v44, v43, vcc
	global_store_dwordx2 v[42:43], v[37:38], off
	s_or_b64 exec, exec, s[40:41]
	v_cmp_lt_u32_e64 s[40:41], v75, v173
	s_and_saveexec_b64 s[42:43], s[40:41]
	s_cbranch_execz .LBB1152_1060
.LBB1152_1128:                          ;   in Loop: Header=BB1152_979 Depth=2
	ds_read_b64 v[37:38], v104 offset:5120
	v_mov_b32_e32 v43, v3
	v_mov_b32_e32 v44, s81
	s_waitcnt lgkmcnt(0)
	v_cmp_ne_u64_e32 vcc, s[72:73], v[37:38]
	v_ashrrev_i32_e32 v52, 31, v38
	v_cndmask_b32_e32 v60, v133, v38, vcc
	v_cndmask_b32_e32 v59, -1, v37, vcc
	v_lshrrev_b64 v[59:60], s88, v[59:60]
	v_cmp_gt_i64_e32 vcc, 0, v[37:38]
	v_and_b32_e32 v48, s96, v59
	v_lshlrev_b32_e32 v48, 2, v48
	ds_read_b32 v48, v48
	v_cndmask_b32_e64 v42, v133, 0, vcc
	v_xor_b32_e32 v38, v42, v38
	v_not_b32_e32 v52, v52
	v_xor_b32_e32 v37, v52, v37
	s_waitcnt lgkmcnt(0)
	v_add_u32_e32 v42, v48, v75
	v_lshlrev_b64 v[42:43], 3, v[42:43]
	v_add_co_u32_e32 v42, vcc, s80, v42
	v_addc_co_u32_e32 v43, vcc, v44, v43, vcc
	global_store_dwordx2 v[42:43], v[37:38], off
	s_or_b64 exec, exec, s[42:43]
	v_cmp_lt_u32_e64 s[42:43], v76, v173
	s_and_saveexec_b64 s[44:45], s[42:43]
	s_cbranch_execz .LBB1152_1061
.LBB1152_1129:                          ;   in Loop: Header=BB1152_979 Depth=2
	ds_read_b64 v[37:38], v104 offset:7168
	v_mov_b32_e32 v43, v3
	v_mov_b32_e32 v44, s81
	s_waitcnt lgkmcnt(0)
	v_cmp_ne_u64_e32 vcc, s[72:73], v[37:38]
	v_ashrrev_i32_e32 v52, 31, v38
	v_cndmask_b32_e32 v60, v133, v38, vcc
	v_cndmask_b32_e32 v59, -1, v37, vcc
	v_lshrrev_b64 v[59:60], s88, v[59:60]
	v_cmp_gt_i64_e32 vcc, 0, v[37:38]
	v_and_b32_e32 v48, s96, v59
	v_lshlrev_b32_e32 v48, 2, v48
	ds_read_b32 v48, v48
	v_cndmask_b32_e64 v42, v133, 0, vcc
	v_xor_b32_e32 v38, v42, v38
	v_not_b32_e32 v52, v52
	v_xor_b32_e32 v37, v52, v37
	s_waitcnt lgkmcnt(0)
	v_add_u32_e32 v42, v48, v76
	v_lshlrev_b64 v[42:43], 3, v[42:43]
	v_add_co_u32_e32 v42, vcc, s80, v42
	v_addc_co_u32_e32 v43, vcc, v44, v43, vcc
	global_store_dwordx2 v[42:43], v[37:38], off
	s_or_b64 exec, exec, s[44:45]
	v_cmp_lt_u32_e64 s[44:45], v79, v173
	s_and_saveexec_b64 s[46:47], s[44:45]
	s_cbranch_execz .LBB1152_1062
.LBB1152_1130:                          ;   in Loop: Header=BB1152_979 Depth=2
	ds_read_b64 v[37:38], v104 offset:9216
	v_mov_b32_e32 v43, v3
	v_mov_b32_e32 v44, s81
	s_waitcnt lgkmcnt(0)
	v_cmp_ne_u64_e32 vcc, s[72:73], v[37:38]
	v_ashrrev_i32_e32 v52, 31, v38
	v_cndmask_b32_e32 v60, v133, v38, vcc
	v_cndmask_b32_e32 v59, -1, v37, vcc
	v_lshrrev_b64 v[59:60], s88, v[59:60]
	v_cmp_gt_i64_e32 vcc, 0, v[37:38]
	v_and_b32_e32 v48, s96, v59
	v_lshlrev_b32_e32 v48, 2, v48
	ds_read_b32 v48, v48
	v_cndmask_b32_e64 v42, v133, 0, vcc
	v_xor_b32_e32 v38, v42, v38
	v_not_b32_e32 v52, v52
	v_xor_b32_e32 v37, v52, v37
	s_waitcnt lgkmcnt(0)
	v_add_u32_e32 v42, v48, v79
	v_lshlrev_b64 v[42:43], 3, v[42:43]
	v_add_co_u32_e32 v42, vcc, s80, v42
	v_addc_co_u32_e32 v43, vcc, v44, v43, vcc
	global_store_dwordx2 v[42:43], v[37:38], off
	s_or_b64 exec, exec, s[46:47]
	v_cmp_lt_u32_e64 s[46:47], v80, v173
	s_and_saveexec_b64 s[48:49], s[46:47]
	s_cbranch_execz .LBB1152_1063
.LBB1152_1131:                          ;   in Loop: Header=BB1152_979 Depth=2
	ds_read_b64 v[37:38], v104 offset:11264
	v_mov_b32_e32 v43, v3
	v_mov_b32_e32 v44, s81
	s_waitcnt lgkmcnt(0)
	v_cmp_ne_u64_e32 vcc, s[72:73], v[37:38]
	v_ashrrev_i32_e32 v52, 31, v38
	v_cndmask_b32_e32 v60, v133, v38, vcc
	v_cndmask_b32_e32 v59, -1, v37, vcc
	v_lshrrev_b64 v[59:60], s88, v[59:60]
	v_cmp_gt_i64_e32 vcc, 0, v[37:38]
	v_and_b32_e32 v48, s96, v59
	v_lshlrev_b32_e32 v48, 2, v48
	ds_read_b32 v48, v48
	v_cndmask_b32_e64 v42, v133, 0, vcc
	v_xor_b32_e32 v38, v42, v38
	v_not_b32_e32 v52, v52
	v_xor_b32_e32 v37, v52, v37
	s_waitcnt lgkmcnt(0)
	v_add_u32_e32 v42, v48, v80
	v_lshlrev_b64 v[42:43], 3, v[42:43]
	v_add_co_u32_e32 v42, vcc, s80, v42
	v_addc_co_u32_e32 v43, vcc, v44, v43, vcc
	global_store_dwordx2 v[42:43], v[37:38], off
	s_or_b64 exec, exec, s[48:49]
	v_cmp_lt_u32_e64 s[48:49], v81, v173
	s_and_saveexec_b64 s[50:51], s[48:49]
	s_cbranch_execz .LBB1152_1064
.LBB1152_1132:                          ;   in Loop: Header=BB1152_979 Depth=2
	ds_read_b64 v[37:38], v104 offset:13312
	v_mov_b32_e32 v43, v3
	v_mov_b32_e32 v44, s81
	s_waitcnt lgkmcnt(0)
	v_cmp_ne_u64_e32 vcc, s[72:73], v[37:38]
	v_ashrrev_i32_e32 v52, 31, v38
	v_cndmask_b32_e32 v60, v133, v38, vcc
	v_cndmask_b32_e32 v59, -1, v37, vcc
	v_lshrrev_b64 v[59:60], s88, v[59:60]
	v_cmp_gt_i64_e32 vcc, 0, v[37:38]
	v_and_b32_e32 v48, s96, v59
	v_lshlrev_b32_e32 v48, 2, v48
	ds_read_b32 v48, v48
	v_cndmask_b32_e64 v42, v133, 0, vcc
	v_xor_b32_e32 v38, v42, v38
	v_not_b32_e32 v52, v52
	v_xor_b32_e32 v37, v52, v37
	s_waitcnt lgkmcnt(0)
	v_add_u32_e32 v42, v48, v81
	v_lshlrev_b64 v[42:43], 3, v[42:43]
	v_add_co_u32_e32 v42, vcc, s80, v42
	v_addc_co_u32_e32 v43, vcc, v44, v43, vcc
	global_store_dwordx2 v[42:43], v[37:38], off
	s_or_b64 exec, exec, s[50:51]
	v_cmp_lt_u32_e64 s[50:51], v82, v173
	s_and_saveexec_b64 s[52:53], s[50:51]
	s_cbranch_execz .LBB1152_1065
.LBB1152_1133:                          ;   in Loop: Header=BB1152_979 Depth=2
	ds_read_b64 v[37:38], v104 offset:15360
	v_mov_b32_e32 v43, v3
	v_mov_b32_e32 v44, s81
	s_waitcnt lgkmcnt(0)
	v_cmp_ne_u64_e32 vcc, s[72:73], v[37:38]
	v_ashrrev_i32_e32 v52, 31, v38
	v_cndmask_b32_e32 v60, v133, v38, vcc
	v_cndmask_b32_e32 v59, -1, v37, vcc
	v_lshrrev_b64 v[59:60], s88, v[59:60]
	v_cmp_gt_i64_e32 vcc, 0, v[37:38]
	v_and_b32_e32 v48, s96, v59
	v_lshlrev_b32_e32 v48, 2, v48
	ds_read_b32 v48, v48
	v_cndmask_b32_e64 v42, v133, 0, vcc
	v_xor_b32_e32 v38, v42, v38
	v_not_b32_e32 v52, v52
	v_xor_b32_e32 v37, v52, v37
	s_waitcnt lgkmcnt(0)
	v_add_u32_e32 v42, v48, v82
	v_lshlrev_b64 v[42:43], 3, v[42:43]
	v_add_co_u32_e32 v42, vcc, s80, v42
	v_addc_co_u32_e32 v43, vcc, v44, v43, vcc
	global_store_dwordx2 v[42:43], v[37:38], off
	s_or_b64 exec, exec, s[52:53]
	v_cmp_lt_u32_e64 s[52:53], v83, v173
	s_and_saveexec_b64 s[54:55], s[52:53]
	s_cbranch_execz .LBB1152_1066
.LBB1152_1134:                          ;   in Loop: Header=BB1152_979 Depth=2
	ds_read_b64 v[37:38], v104 offset:17408
	v_mov_b32_e32 v43, v3
	v_mov_b32_e32 v44, s81
	s_waitcnt lgkmcnt(0)
	v_cmp_ne_u64_e32 vcc, s[72:73], v[37:38]
	v_ashrrev_i32_e32 v52, 31, v38
	v_cndmask_b32_e32 v60, v133, v38, vcc
	v_cndmask_b32_e32 v59, -1, v37, vcc
	v_lshrrev_b64 v[59:60], s88, v[59:60]
	v_cmp_gt_i64_e32 vcc, 0, v[37:38]
	v_and_b32_e32 v48, s96, v59
	v_lshlrev_b32_e32 v48, 2, v48
	ds_read_b32 v48, v48
	v_cndmask_b32_e64 v42, v133, 0, vcc
	v_xor_b32_e32 v38, v42, v38
	v_not_b32_e32 v52, v52
	v_xor_b32_e32 v37, v52, v37
	s_waitcnt lgkmcnt(0)
	v_add_u32_e32 v42, v48, v83
	v_lshlrev_b64 v[42:43], 3, v[42:43]
	v_add_co_u32_e32 v42, vcc, s80, v42
	v_addc_co_u32_e32 v43, vcc, v44, v43, vcc
	global_store_dwordx2 v[42:43], v[37:38], off
	s_or_b64 exec, exec, s[54:55]
	v_cmp_lt_u32_e64 s[54:55], v84, v173
	s_and_saveexec_b64 s[56:57], s[54:55]
	s_cbranch_execz .LBB1152_1067
.LBB1152_1135:                          ;   in Loop: Header=BB1152_979 Depth=2
	ds_read_b64 v[37:38], v104 offset:19456
	v_mov_b32_e32 v43, v3
	v_mov_b32_e32 v44, s81
	s_waitcnt lgkmcnt(0)
	v_cmp_ne_u64_e32 vcc, s[72:73], v[37:38]
	v_ashrrev_i32_e32 v52, 31, v38
	v_cndmask_b32_e32 v60, v133, v38, vcc
	v_cndmask_b32_e32 v59, -1, v37, vcc
	v_lshrrev_b64 v[59:60], s88, v[59:60]
	v_cmp_gt_i64_e32 vcc, 0, v[37:38]
	v_and_b32_e32 v48, s96, v59
	v_lshlrev_b32_e32 v48, 2, v48
	ds_read_b32 v48, v48
	v_cndmask_b32_e64 v42, v133, 0, vcc
	v_xor_b32_e32 v38, v42, v38
	v_not_b32_e32 v52, v52
	v_xor_b32_e32 v37, v52, v37
	s_waitcnt lgkmcnt(0)
	v_add_u32_e32 v42, v48, v84
	v_lshlrev_b64 v[42:43], 3, v[42:43]
	v_add_co_u32_e32 v42, vcc, s80, v42
	v_addc_co_u32_e32 v43, vcc, v44, v43, vcc
	global_store_dwordx2 v[42:43], v[37:38], off
	s_or_b64 exec, exec, s[56:57]
	v_cmp_lt_u32_e64 s[56:57], v85, v173
	s_and_saveexec_b64 s[58:59], s[56:57]
	s_cbranch_execz .LBB1152_1068
.LBB1152_1136:                          ;   in Loop: Header=BB1152_979 Depth=2
	ds_read_b64 v[37:38], v104 offset:21504
	v_mov_b32_e32 v43, v3
	v_mov_b32_e32 v44, s81
	s_waitcnt lgkmcnt(0)
	v_cmp_ne_u64_e32 vcc, s[72:73], v[37:38]
	v_ashrrev_i32_e32 v52, 31, v38
	v_cndmask_b32_e32 v60, v133, v38, vcc
	v_cndmask_b32_e32 v59, -1, v37, vcc
	v_lshrrev_b64 v[59:60], s88, v[59:60]
	v_cmp_gt_i64_e32 vcc, 0, v[37:38]
	v_and_b32_e32 v48, s96, v59
	v_lshlrev_b32_e32 v48, 2, v48
	ds_read_b32 v48, v48
	v_cndmask_b32_e64 v42, v133, 0, vcc
	v_xor_b32_e32 v38, v42, v38
	v_not_b32_e32 v52, v52
	v_xor_b32_e32 v37, v52, v37
	s_waitcnt lgkmcnt(0)
	v_add_u32_e32 v42, v48, v85
	v_lshlrev_b64 v[42:43], 3, v[42:43]
	v_add_co_u32_e32 v42, vcc, s80, v42
	v_addc_co_u32_e32 v43, vcc, v44, v43, vcc
	global_store_dwordx2 v[42:43], v[37:38], off
	s_or_b64 exec, exec, s[58:59]
	v_cmp_lt_u32_e64 s[58:59], v86, v173
	s_and_saveexec_b64 s[60:61], s[58:59]
	s_cbranch_execz .LBB1152_1069
.LBB1152_1137:                          ;   in Loop: Header=BB1152_979 Depth=2
	ds_read_b64 v[37:38], v104 offset:23552
	v_mov_b32_e32 v43, v3
	v_mov_b32_e32 v44, s81
	s_waitcnt lgkmcnt(0)
	v_cmp_ne_u64_e32 vcc, s[72:73], v[37:38]
	v_ashrrev_i32_e32 v52, 31, v38
	v_cndmask_b32_e32 v60, v133, v38, vcc
	v_cndmask_b32_e32 v59, -1, v37, vcc
	v_lshrrev_b64 v[59:60], s88, v[59:60]
	v_cmp_gt_i64_e32 vcc, 0, v[37:38]
	v_and_b32_e32 v48, s96, v59
	v_lshlrev_b32_e32 v48, 2, v48
	ds_read_b32 v48, v48
	v_cndmask_b32_e64 v42, v133, 0, vcc
	v_xor_b32_e32 v38, v42, v38
	v_not_b32_e32 v52, v52
	v_xor_b32_e32 v37, v52, v37
	s_waitcnt lgkmcnt(0)
	v_add_u32_e32 v42, v48, v86
	v_lshlrev_b64 v[42:43], 3, v[42:43]
	v_add_co_u32_e32 v42, vcc, s80, v42
	v_addc_co_u32_e32 v43, vcc, v44, v43, vcc
	global_store_dwordx2 v[42:43], v[37:38], off
	s_or_b64 exec, exec, s[60:61]
	v_cmp_lt_u32_e64 s[60:61], v87, v173
	s_and_saveexec_b64 s[62:63], s[60:61]
	s_cbranch_execz .LBB1152_1070
.LBB1152_1138:                          ;   in Loop: Header=BB1152_979 Depth=2
	ds_read_b64 v[37:38], v104 offset:25600
	v_mov_b32_e32 v43, v3
	v_mov_b32_e32 v44, s81
	s_waitcnt lgkmcnt(0)
	v_cmp_ne_u64_e32 vcc, s[72:73], v[37:38]
	v_ashrrev_i32_e32 v52, 31, v38
	v_cndmask_b32_e32 v60, v133, v38, vcc
	v_cndmask_b32_e32 v59, -1, v37, vcc
	v_lshrrev_b64 v[59:60], s88, v[59:60]
	v_cmp_gt_i64_e32 vcc, 0, v[37:38]
	v_and_b32_e32 v48, s96, v59
	v_lshlrev_b32_e32 v48, 2, v48
	ds_read_b32 v48, v48
	v_cndmask_b32_e64 v42, v133, 0, vcc
	v_xor_b32_e32 v38, v42, v38
	v_not_b32_e32 v52, v52
	v_xor_b32_e32 v37, v52, v37
	s_waitcnt lgkmcnt(0)
	v_add_u32_e32 v42, v48, v87
	v_lshlrev_b64 v[42:43], 3, v[42:43]
	v_add_co_u32_e32 v42, vcc, s80, v42
	v_addc_co_u32_e32 v43, vcc, v44, v43, vcc
	global_store_dwordx2 v[42:43], v[37:38], off
	s_or_b64 exec, exec, s[62:63]
	v_cmp_lt_u32_e64 s[62:63], v88, v173
	s_and_saveexec_b64 s[64:65], s[62:63]
	s_cbranch_execz .LBB1152_1071
.LBB1152_1139:                          ;   in Loop: Header=BB1152_979 Depth=2
	ds_read_b64 v[37:38], v104 offset:27648
	v_mov_b32_e32 v43, v3
	v_mov_b32_e32 v44, s81
	s_waitcnt lgkmcnt(0)
	v_cmp_ne_u64_e32 vcc, s[72:73], v[37:38]
	v_ashrrev_i32_e32 v52, 31, v38
	v_cndmask_b32_e32 v60, v133, v38, vcc
	v_cndmask_b32_e32 v59, -1, v37, vcc
	v_lshrrev_b64 v[59:60], s88, v[59:60]
	v_cmp_gt_i64_e32 vcc, 0, v[37:38]
	v_and_b32_e32 v48, s96, v59
	v_lshlrev_b32_e32 v48, 2, v48
	ds_read_b32 v48, v48
	v_cndmask_b32_e64 v42, v133, 0, vcc
	v_xor_b32_e32 v38, v42, v38
	v_not_b32_e32 v52, v52
	v_xor_b32_e32 v37, v52, v37
	s_waitcnt lgkmcnt(0)
	v_add_u32_e32 v42, v48, v88
	v_lshlrev_b64 v[42:43], 3, v[42:43]
	v_add_co_u32_e32 v42, vcc, s80, v42
	v_addc_co_u32_e32 v43, vcc, v44, v43, vcc
	global_store_dwordx2 v[42:43], v[37:38], off
	s_or_b64 exec, exec, s[64:65]
	v_cmp_lt_u32_e64 s[64:65], v89, v173
	s_and_saveexec_b64 s[66:67], s[64:65]
	s_cbranch_execz .LBB1152_1072
.LBB1152_1140:                          ;   in Loop: Header=BB1152_979 Depth=2
	ds_read_b64 v[37:38], v104 offset:29696
	v_mov_b32_e32 v43, v3
	v_mov_b32_e32 v44, s81
	s_waitcnt lgkmcnt(0)
	v_cmp_ne_u64_e32 vcc, s[72:73], v[37:38]
	v_ashrrev_i32_e32 v52, 31, v38
	v_cndmask_b32_e32 v60, v133, v38, vcc
	v_cndmask_b32_e32 v59, -1, v37, vcc
	v_lshrrev_b64 v[59:60], s88, v[59:60]
	v_cmp_gt_i64_e32 vcc, 0, v[37:38]
	v_and_b32_e32 v48, s96, v59
	v_lshlrev_b32_e32 v48, 2, v48
	ds_read_b32 v48, v48
	v_cndmask_b32_e64 v42, v133, 0, vcc
	v_xor_b32_e32 v38, v42, v38
	v_not_b32_e32 v52, v52
	v_xor_b32_e32 v37, v52, v37
	s_waitcnt lgkmcnt(0)
	v_add_u32_e32 v42, v48, v89
	v_lshlrev_b64 v[42:43], 3, v[42:43]
	v_add_co_u32_e32 v42, vcc, s80, v42
	v_addc_co_u32_e32 v43, vcc, v44, v43, vcc
	global_store_dwordx2 v[42:43], v[37:38], off
	s_or_b64 exec, exec, s[66:67]
	v_cmp_lt_u32_e64 s[66:67], v90, v173
	s_and_saveexec_b64 s[92:93], s[66:67]
	s_cbranch_execnz .LBB1152_1073
	s_branch .LBB1152_1074
.LBB1152_1141:                          ;   in Loop: Header=BB1152_979 Depth=2
	global_load_dwordx2 v[35:36], v[37:38], off
	s_or_b64 exec, exec, s[82:83]
	v_cmp_lt_u32_e32 vcc, v149, v173
	s_and_saveexec_b64 s[82:83], vcc
	s_cbranch_execz .LBB1152_1076
.LBB1152_1142:                          ;   in Loop: Header=BB1152_979 Depth=2
	global_load_dwordx2 v[33:34], v[37:38], off offset:512
	s_or_b64 exec, exec, s[82:83]
	v_cmp_lt_u32_e32 vcc, v151, v173
	s_and_saveexec_b64 s[82:83], vcc
	s_cbranch_execz .LBB1152_1077
.LBB1152_1143:                          ;   in Loop: Header=BB1152_979 Depth=2
	global_load_dwordx2 v[31:32], v[37:38], off offset:1024
	s_or_b64 exec, exec, s[82:83]
	v_cmp_lt_u32_e32 vcc, v153, v173
	s_and_saveexec_b64 s[82:83], vcc
	s_cbranch_execz .LBB1152_1078
.LBB1152_1144:                          ;   in Loop: Header=BB1152_979 Depth=2
	global_load_dwordx2 v[27:28], v[37:38], off offset:1536
	s_or_b64 exec, exec, s[82:83]
	v_cmp_lt_u32_e32 vcc, v155, v173
	s_and_saveexec_b64 s[82:83], vcc
	s_cbranch_execz .LBB1152_1079
.LBB1152_1145:                          ;   in Loop: Header=BB1152_979 Depth=2
	global_load_dwordx2 v[23:24], v[37:38], off offset:2048
	s_or_b64 exec, exec, s[82:83]
	v_cmp_lt_u32_e32 vcc, v157, v173
	s_and_saveexec_b64 s[82:83], vcc
	s_cbranch_execz .LBB1152_1080
.LBB1152_1146:                          ;   in Loop: Header=BB1152_979 Depth=2
	global_load_dwordx2 v[19:20], v[37:38], off offset:2560
	s_or_b64 exec, exec, s[82:83]
	v_cmp_lt_u32_e32 vcc, v159, v173
	s_and_saveexec_b64 s[82:83], vcc
	s_cbranch_execz .LBB1152_1081
.LBB1152_1147:                          ;   in Loop: Header=BB1152_979 Depth=2
	global_load_dwordx2 v[15:16], v[37:38], off offset:3072
	s_or_b64 exec, exec, s[82:83]
	v_cmp_lt_u32_e32 vcc, v161, v173
	s_and_saveexec_b64 s[82:83], vcc
	s_cbranch_execz .LBB1152_1082
.LBB1152_1148:                          ;   in Loop: Header=BB1152_979 Depth=2
	global_load_dwordx2 v[11:12], v[37:38], off offset:3584
	s_or_b64 exec, exec, s[82:83]
	v_cmp_lt_u32_e32 vcc, v162, v173
	s_and_saveexec_b64 s[82:83], vcc
	s_cbranch_execz .LBB1152_1083
.LBB1152_1149:                          ;   in Loop: Header=BB1152_979 Depth=2
	v_add_co_u32_e32 v29, vcc, 0x1000, v37
	v_addc_co_u32_e32 v30, vcc, 0, v38, vcc
	global_load_dwordx2 v[29:30], v[29:30], off
	s_or_b64 exec, exec, s[82:83]
	v_cmp_lt_u32_e32 vcc, v163, v173
	s_and_saveexec_b64 s[82:83], vcc
	s_cbranch_execz .LBB1152_1084
.LBB1152_1150:                          ;   in Loop: Header=BB1152_979 Depth=2
	v_add_co_u32_e32 v25, vcc, 0x1000, v37
	v_addc_co_u32_e32 v26, vcc, 0, v38, vcc
	global_load_dwordx2 v[25:26], v[25:26], off offset:512
	s_or_b64 exec, exec, s[82:83]
	v_cmp_lt_u32_e32 vcc, v164, v173
	s_and_saveexec_b64 s[82:83], vcc
	s_cbranch_execz .LBB1152_1085
.LBB1152_1151:                          ;   in Loop: Header=BB1152_979 Depth=2
	v_add_co_u32_e32 v21, vcc, 0x1000, v37
	v_addc_co_u32_e32 v22, vcc, 0, v38, vcc
	global_load_dwordx2 v[21:22], v[21:22], off offset:1024
	s_or_b64 exec, exec, s[82:83]
	v_cmp_lt_u32_e32 vcc, v165, v173
	s_and_saveexec_b64 s[82:83], vcc
	s_cbranch_execz .LBB1152_1086
.LBB1152_1152:                          ;   in Loop: Header=BB1152_979 Depth=2
	v_add_co_u32_e32 v17, vcc, 0x1000, v37
	v_addc_co_u32_e32 v18, vcc, 0, v38, vcc
	global_load_dwordx2 v[17:18], v[17:18], off offset:1536
	s_or_b64 exec, exec, s[82:83]
	v_cmp_lt_u32_e32 vcc, v166, v173
	s_and_saveexec_b64 s[82:83], vcc
	s_cbranch_execz .LBB1152_1087
.LBB1152_1153:                          ;   in Loop: Header=BB1152_979 Depth=2
	v_add_co_u32_e32 v13, vcc, 0x1000, v37
	v_addc_co_u32_e32 v14, vcc, 0, v38, vcc
	global_load_dwordx2 v[13:14], v[13:14], off offset:2048
	s_or_b64 exec, exec, s[82:83]
	v_cmp_lt_u32_e32 vcc, v167, v173
	s_and_saveexec_b64 s[82:83], vcc
	s_cbranch_execz .LBB1152_1088
.LBB1152_1154:                          ;   in Loop: Header=BB1152_979 Depth=2
	v_add_co_u32_e32 v9, vcc, 0x1000, v37
	v_addc_co_u32_e32 v10, vcc, 0, v38, vcc
	global_load_dwordx2 v[9:10], v[9:10], off offset:2560
	s_or_b64 exec, exec, s[82:83]
	v_cmp_lt_u32_e32 vcc, v168, v173
	s_and_saveexec_b64 s[82:83], vcc
	s_cbranch_execz .LBB1152_1089
.LBB1152_1155:                          ;   in Loop: Header=BB1152_979 Depth=2
	v_add_co_u32_e32 v7, vcc, 0x1000, v37
	v_addc_co_u32_e32 v8, vcc, 0, v38, vcc
	global_load_dwordx2 v[7:8], v[7:8], off offset:3072
	s_or_b64 exec, exec, s[82:83]
	v_cmp_lt_u32_e32 vcc, v169, v173
	s_and_saveexec_b64 s[82:83], vcc
	s_cbranch_execz .LBB1152_1090
.LBB1152_1156:                          ;   in Loop: Header=BB1152_979 Depth=2
	v_add_co_u32_e32 v5, vcc, 0x1000, v37
	v_addc_co_u32_e32 v6, vcc, 0, v38, vcc
	global_load_dwordx2 v[5:6], v[5:6], off offset:3584
	s_or_b64 exec, exec, s[82:83]
	s_and_saveexec_b64 s[82:83], s[36:37]
	s_cbranch_execz .LBB1152_1091
.LBB1152_1157:                          ;   in Loop: Header=BB1152_979 Depth=2
	ds_read_b64 v[37:38], v104 offset:1024
	s_waitcnt lgkmcnt(0)
	v_cmp_ne_u64_e32 vcc, s[72:73], v[37:38]
	v_cndmask_b32_e32 v38, v133, v38, vcc
	v_cndmask_b32_e32 v37, -1, v37, vcc
	v_lshrrev_b64 v[37:38], s88, v[37:38]
	v_and_b32_e32 v160, s96, v37
	s_or_b64 exec, exec, s[82:83]
	s_and_saveexec_b64 s[82:83], s[38:39]
	s_cbranch_execz .LBB1152_1092
.LBB1152_1158:                          ;   in Loop: Header=BB1152_979 Depth=2
	ds_read_b64 v[37:38], v104 offset:3072
	s_waitcnt lgkmcnt(0)
	v_cmp_ne_u64_e32 vcc, s[72:73], v[37:38]
	v_cndmask_b32_e32 v38, v133, v38, vcc
	v_cndmask_b32_e32 v37, -1, v37, vcc
	v_lshrrev_b64 v[37:38], s88, v[37:38]
	v_and_b32_e32 v158, s96, v37
	s_or_b64 exec, exec, s[82:83]
	s_and_saveexec_b64 s[82:83], s[40:41]
	s_cbranch_execz .LBB1152_1093
.LBB1152_1159:                          ;   in Loop: Header=BB1152_979 Depth=2
	ds_read_b64 v[37:38], v104 offset:5120
	s_waitcnt lgkmcnt(0)
	v_cmp_ne_u64_e32 vcc, s[72:73], v[37:38]
	v_cndmask_b32_e32 v38, v133, v38, vcc
	v_cndmask_b32_e32 v37, -1, v37, vcc
	v_lshrrev_b64 v[37:38], s88, v[37:38]
	v_and_b32_e32 v156, s96, v37
	s_or_b64 exec, exec, s[82:83]
	s_and_saveexec_b64 s[82:83], s[42:43]
	s_cbranch_execz .LBB1152_1094
.LBB1152_1160:                          ;   in Loop: Header=BB1152_979 Depth=2
	ds_read_b64 v[37:38], v104 offset:7168
	s_waitcnt lgkmcnt(0)
	v_cmp_ne_u64_e32 vcc, s[72:73], v[37:38]
	v_cndmask_b32_e32 v38, v133, v38, vcc
	v_cndmask_b32_e32 v37, -1, v37, vcc
	v_lshrrev_b64 v[37:38], s88, v[37:38]
	v_and_b32_e32 v154, s96, v37
	s_or_b64 exec, exec, s[82:83]
	s_and_saveexec_b64 s[82:83], s[44:45]
	s_cbranch_execz .LBB1152_1095
.LBB1152_1161:                          ;   in Loop: Header=BB1152_979 Depth=2
	ds_read_b64 v[37:38], v104 offset:9216
	s_waitcnt lgkmcnt(0)
	v_cmp_ne_u64_e32 vcc, s[72:73], v[37:38]
	v_cndmask_b32_e32 v38, v133, v38, vcc
	v_cndmask_b32_e32 v37, -1, v37, vcc
	v_lshrrev_b64 v[37:38], s88, v[37:38]
	v_and_b32_e32 v152, s96, v37
	s_or_b64 exec, exec, s[82:83]
	s_and_saveexec_b64 s[82:83], s[46:47]
	s_cbranch_execz .LBB1152_1096
.LBB1152_1162:                          ;   in Loop: Header=BB1152_979 Depth=2
	ds_read_b64 v[37:38], v104 offset:11264
	s_waitcnt lgkmcnt(0)
	v_cmp_ne_u64_e32 vcc, s[72:73], v[37:38]
	v_cndmask_b32_e32 v38, v133, v38, vcc
	v_cndmask_b32_e32 v37, -1, v37, vcc
	v_lshrrev_b64 v[37:38], s88, v[37:38]
	v_and_b32_e32 v150, s96, v37
	s_or_b64 exec, exec, s[82:83]
	s_and_saveexec_b64 s[82:83], s[48:49]
	s_cbranch_execz .LBB1152_1097
.LBB1152_1163:                          ;   in Loop: Header=BB1152_979 Depth=2
	ds_read_b64 v[37:38], v104 offset:13312
	s_waitcnt lgkmcnt(0)
	v_cmp_ne_u64_e32 vcc, s[72:73], v[37:38]
	v_cndmask_b32_e32 v38, v133, v38, vcc
	v_cndmask_b32_e32 v37, -1, v37, vcc
	v_lshrrev_b64 v[37:38], s88, v[37:38]
	v_and_b32_e32 v148, s96, v37
	s_or_b64 exec, exec, s[82:83]
	s_and_saveexec_b64 s[82:83], s[50:51]
	s_cbranch_execz .LBB1152_1098
.LBB1152_1164:                          ;   in Loop: Header=BB1152_979 Depth=2
	ds_read_b64 v[37:38], v104 offset:15360
	s_waitcnt lgkmcnt(0)
	v_cmp_ne_u64_e32 vcc, s[72:73], v[37:38]
	v_cndmask_b32_e32 v38, v133, v38, vcc
	v_cndmask_b32_e32 v37, -1, v37, vcc
	v_lshrrev_b64 v[37:38], s88, v[37:38]
	v_and_b32_e32 v146, s96, v37
	s_or_b64 exec, exec, s[82:83]
	s_and_saveexec_b64 s[82:83], s[52:53]
	s_cbranch_execz .LBB1152_1099
.LBB1152_1165:                          ;   in Loop: Header=BB1152_979 Depth=2
	ds_read_b64 v[37:38], v104 offset:17408
	s_waitcnt lgkmcnt(0)
	v_cmp_ne_u64_e32 vcc, s[72:73], v[37:38]
	v_cndmask_b32_e32 v38, v133, v38, vcc
	v_cndmask_b32_e32 v37, -1, v37, vcc
	v_lshrrev_b64 v[37:38], s88, v[37:38]
	v_and_b32_e32 v144, s96, v37
	s_or_b64 exec, exec, s[82:83]
	s_and_saveexec_b64 s[82:83], s[54:55]
	s_cbranch_execz .LBB1152_1100
.LBB1152_1166:                          ;   in Loop: Header=BB1152_979 Depth=2
	ds_read_b64 v[37:38], v104 offset:19456
	s_waitcnt lgkmcnt(0)
	v_cmp_ne_u64_e32 vcc, s[72:73], v[37:38]
	v_cndmask_b32_e32 v38, v133, v38, vcc
	v_cndmask_b32_e32 v37, -1, v37, vcc
	v_lshrrev_b64 v[37:38], s88, v[37:38]
	v_and_b32_e32 v142, s96, v37
	s_or_b64 exec, exec, s[82:83]
	s_and_saveexec_b64 s[82:83], s[56:57]
	s_cbranch_execz .LBB1152_1101
.LBB1152_1167:                          ;   in Loop: Header=BB1152_979 Depth=2
	ds_read_b64 v[37:38], v104 offset:21504
	s_waitcnt lgkmcnt(0)
	v_cmp_ne_u64_e32 vcc, s[72:73], v[37:38]
	v_cndmask_b32_e32 v38, v133, v38, vcc
	v_cndmask_b32_e32 v37, -1, v37, vcc
	v_lshrrev_b64 v[37:38], s88, v[37:38]
	v_and_b32_e32 v141, s96, v37
	s_or_b64 exec, exec, s[82:83]
	s_and_saveexec_b64 s[82:83], s[58:59]
	s_cbranch_execz .LBB1152_1102
.LBB1152_1168:                          ;   in Loop: Header=BB1152_979 Depth=2
	ds_read_b64 v[37:38], v104 offset:23552
	s_waitcnt lgkmcnt(0)
	v_cmp_ne_u64_e32 vcc, s[72:73], v[37:38]
	v_cndmask_b32_e32 v38, v133, v38, vcc
	v_cndmask_b32_e32 v37, -1, v37, vcc
	v_lshrrev_b64 v[37:38], s88, v[37:38]
	v_and_b32_e32 v140, s96, v37
	s_or_b64 exec, exec, s[82:83]
	s_and_saveexec_b64 s[82:83], s[60:61]
	s_cbranch_execz .LBB1152_1103
.LBB1152_1169:                          ;   in Loop: Header=BB1152_979 Depth=2
	ds_read_b64 v[37:38], v104 offset:25600
	s_waitcnt lgkmcnt(0)
	v_cmp_ne_u64_e32 vcc, s[72:73], v[37:38]
	v_cndmask_b32_e32 v38, v133, v38, vcc
	v_cndmask_b32_e32 v37, -1, v37, vcc
	v_lshrrev_b64 v[37:38], s88, v[37:38]
	v_and_b32_e32 v139, s96, v37
	s_or_b64 exec, exec, s[82:83]
	s_and_saveexec_b64 s[82:83], s[62:63]
	s_cbranch_execz .LBB1152_1104
.LBB1152_1170:                          ;   in Loop: Header=BB1152_979 Depth=2
	ds_read_b64 v[37:38], v104 offset:27648
	s_waitcnt lgkmcnt(0)
	v_cmp_ne_u64_e32 vcc, s[72:73], v[37:38]
	v_cndmask_b32_e32 v38, v133, v38, vcc
	v_cndmask_b32_e32 v37, -1, v37, vcc
	v_lshrrev_b64 v[37:38], s88, v[37:38]
	v_and_b32_e32 v138, s96, v37
	s_or_b64 exec, exec, s[82:83]
	s_and_saveexec_b64 s[82:83], s[64:65]
	s_cbranch_execz .LBB1152_1105
.LBB1152_1171:                          ;   in Loop: Header=BB1152_979 Depth=2
	ds_read_b64 v[37:38], v104 offset:29696
	s_waitcnt lgkmcnt(0)
	v_cmp_ne_u64_e32 vcc, s[72:73], v[37:38]
	v_cndmask_b32_e32 v38, v133, v38, vcc
	v_cndmask_b32_e32 v37, -1, v37, vcc
	v_lshrrev_b64 v[37:38], s88, v[37:38]
	v_and_b32_e32 v137, s96, v37
	s_or_b64 exec, exec, s[82:83]
	s_and_saveexec_b64 s[82:83], s[66:67]
	s_cbranch_execnz .LBB1152_1106
	s_branch .LBB1152_1107
.LBB1152_1172:                          ;   in Loop: Header=BB1152_979 Depth=2
	v_lshlrev_b32_e32 v37, 2, v160
	ds_read_b32 v39, v37
	ds_read_b64 v[37:38], v104 offset:1024
	v_mov_b32_e32 v40, v3
	v_mov_b32_e32 v41, s87
	s_waitcnt lgkmcnt(1)
	v_add_u32_e32 v39, v39, v0
	v_lshlrev_b64 v[39:40], 3, v[39:40]
	v_add_co_u32_e32 v39, vcc, s86, v39
	v_addc_co_u32_e32 v40, vcc, v41, v40, vcc
	s_waitcnt lgkmcnt(0)
	global_store_dwordx2 v[39:40], v[37:38], off
	s_or_b64 exec, exec, s[82:83]
	s_and_saveexec_b64 s[36:37], s[38:39]
	s_cbranch_execz .LBB1152_1109
.LBB1152_1173:                          ;   in Loop: Header=BB1152_979 Depth=2
	v_lshlrev_b32_e32 v37, 2, v158
	ds_read_b32 v39, v37
	ds_read_b64 v[37:38], v104 offset:3072
	v_mov_b32_e32 v40, v3
	v_mov_b32_e32 v41, s87
	s_waitcnt lgkmcnt(1)
	v_add_u32_e32 v39, v39, v74
	v_lshlrev_b64 v[39:40], 3, v[39:40]
	v_add_co_u32_e32 v39, vcc, s86, v39
	v_addc_co_u32_e32 v40, vcc, v41, v40, vcc
	s_waitcnt lgkmcnt(0)
	global_store_dwordx2 v[39:40], v[37:38], off
	s_or_b64 exec, exec, s[36:37]
	s_and_saveexec_b64 s[36:37], s[40:41]
	s_cbranch_execz .LBB1152_1110
.LBB1152_1174:                          ;   in Loop: Header=BB1152_979 Depth=2
	v_lshlrev_b32_e32 v37, 2, v156
	ds_read_b32 v39, v37
	ds_read_b64 v[37:38], v104 offset:5120
	v_mov_b32_e32 v40, v3
	v_mov_b32_e32 v41, s87
	s_waitcnt lgkmcnt(1)
	v_add_u32_e32 v39, v39, v75
	v_lshlrev_b64 v[39:40], 3, v[39:40]
	v_add_co_u32_e32 v39, vcc, s86, v39
	v_addc_co_u32_e32 v40, vcc, v41, v40, vcc
	s_waitcnt lgkmcnt(0)
	global_store_dwordx2 v[39:40], v[37:38], off
	s_or_b64 exec, exec, s[36:37]
	s_and_saveexec_b64 s[36:37], s[42:43]
	s_cbranch_execz .LBB1152_1111
.LBB1152_1175:                          ;   in Loop: Header=BB1152_979 Depth=2
	v_lshlrev_b32_e32 v37, 2, v154
	ds_read_b32 v39, v37
	ds_read_b64 v[37:38], v104 offset:7168
	v_mov_b32_e32 v40, v3
	v_mov_b32_e32 v41, s87
	s_waitcnt lgkmcnt(1)
	v_add_u32_e32 v39, v39, v76
	v_lshlrev_b64 v[39:40], 3, v[39:40]
	v_add_co_u32_e32 v39, vcc, s86, v39
	v_addc_co_u32_e32 v40, vcc, v41, v40, vcc
	s_waitcnt lgkmcnt(0)
	global_store_dwordx2 v[39:40], v[37:38], off
	s_or_b64 exec, exec, s[36:37]
	s_and_saveexec_b64 s[36:37], s[44:45]
	s_cbranch_execz .LBB1152_1112
.LBB1152_1176:                          ;   in Loop: Header=BB1152_979 Depth=2
	v_lshlrev_b32_e32 v37, 2, v152
	ds_read_b32 v39, v37
	ds_read_b64 v[37:38], v104 offset:9216
	v_mov_b32_e32 v40, v3
	v_mov_b32_e32 v41, s87
	s_waitcnt lgkmcnt(1)
	v_add_u32_e32 v39, v39, v79
	v_lshlrev_b64 v[39:40], 3, v[39:40]
	v_add_co_u32_e32 v39, vcc, s86, v39
	v_addc_co_u32_e32 v40, vcc, v41, v40, vcc
	s_waitcnt lgkmcnt(0)
	global_store_dwordx2 v[39:40], v[37:38], off
	s_or_b64 exec, exec, s[36:37]
	s_and_saveexec_b64 s[36:37], s[46:47]
	s_cbranch_execz .LBB1152_1113
.LBB1152_1177:                          ;   in Loop: Header=BB1152_979 Depth=2
	v_lshlrev_b32_e32 v37, 2, v150
	ds_read_b32 v39, v37
	ds_read_b64 v[37:38], v104 offset:11264
	v_mov_b32_e32 v40, v3
	v_mov_b32_e32 v41, s87
	s_waitcnt lgkmcnt(1)
	v_add_u32_e32 v39, v39, v80
	v_lshlrev_b64 v[39:40], 3, v[39:40]
	v_add_co_u32_e32 v39, vcc, s86, v39
	v_addc_co_u32_e32 v40, vcc, v41, v40, vcc
	s_waitcnt lgkmcnt(0)
	global_store_dwordx2 v[39:40], v[37:38], off
	s_or_b64 exec, exec, s[36:37]
	s_and_saveexec_b64 s[36:37], s[48:49]
	s_cbranch_execz .LBB1152_1114
.LBB1152_1178:                          ;   in Loop: Header=BB1152_979 Depth=2
	v_lshlrev_b32_e32 v37, 2, v148
	ds_read_b32 v39, v37
	ds_read_b64 v[37:38], v104 offset:13312
	v_mov_b32_e32 v40, v3
	v_mov_b32_e32 v41, s87
	s_waitcnt lgkmcnt(1)
	v_add_u32_e32 v39, v39, v81
	v_lshlrev_b64 v[39:40], 3, v[39:40]
	v_add_co_u32_e32 v39, vcc, s86, v39
	v_addc_co_u32_e32 v40, vcc, v41, v40, vcc
	s_waitcnt lgkmcnt(0)
	global_store_dwordx2 v[39:40], v[37:38], off
	s_or_b64 exec, exec, s[36:37]
	s_and_saveexec_b64 s[36:37], s[50:51]
	s_cbranch_execz .LBB1152_1115
.LBB1152_1179:                          ;   in Loop: Header=BB1152_979 Depth=2
	v_lshlrev_b32_e32 v37, 2, v146
	ds_read_b32 v39, v37
	ds_read_b64 v[37:38], v104 offset:15360
	v_mov_b32_e32 v40, v3
	v_mov_b32_e32 v41, s87
	s_waitcnt lgkmcnt(1)
	v_add_u32_e32 v39, v39, v82
	v_lshlrev_b64 v[39:40], 3, v[39:40]
	v_add_co_u32_e32 v39, vcc, s86, v39
	v_addc_co_u32_e32 v40, vcc, v41, v40, vcc
	s_waitcnt lgkmcnt(0)
	global_store_dwordx2 v[39:40], v[37:38], off
	s_or_b64 exec, exec, s[36:37]
	s_and_saveexec_b64 s[36:37], s[52:53]
	s_cbranch_execz .LBB1152_1116
.LBB1152_1180:                          ;   in Loop: Header=BB1152_979 Depth=2
	v_lshlrev_b32_e32 v37, 2, v144
	ds_read_b32 v39, v37
	ds_read_b64 v[37:38], v104 offset:17408
	v_mov_b32_e32 v40, v3
	v_mov_b32_e32 v41, s87
	s_waitcnt lgkmcnt(1)
	v_add_u32_e32 v39, v39, v83
	v_lshlrev_b64 v[39:40], 3, v[39:40]
	v_add_co_u32_e32 v39, vcc, s86, v39
	v_addc_co_u32_e32 v40, vcc, v41, v40, vcc
	s_waitcnt lgkmcnt(0)
	global_store_dwordx2 v[39:40], v[37:38], off
	s_or_b64 exec, exec, s[36:37]
	s_and_saveexec_b64 s[36:37], s[54:55]
	s_cbranch_execz .LBB1152_1117
.LBB1152_1181:                          ;   in Loop: Header=BB1152_979 Depth=2
	v_lshlrev_b32_e32 v37, 2, v142
	ds_read_b32 v39, v37
	ds_read_b64 v[37:38], v104 offset:19456
	v_mov_b32_e32 v40, v3
	v_mov_b32_e32 v41, s87
	s_waitcnt lgkmcnt(1)
	v_add_u32_e32 v39, v39, v84
	v_lshlrev_b64 v[39:40], 3, v[39:40]
	v_add_co_u32_e32 v39, vcc, s86, v39
	v_addc_co_u32_e32 v40, vcc, v41, v40, vcc
	s_waitcnt lgkmcnt(0)
	global_store_dwordx2 v[39:40], v[37:38], off
	s_or_b64 exec, exec, s[36:37]
	s_and_saveexec_b64 s[36:37], s[56:57]
	s_cbranch_execz .LBB1152_1118
.LBB1152_1182:                          ;   in Loop: Header=BB1152_979 Depth=2
	v_lshlrev_b32_e32 v37, 2, v141
	ds_read_b32 v39, v37
	ds_read_b64 v[37:38], v104 offset:21504
	v_mov_b32_e32 v40, v3
	v_mov_b32_e32 v41, s87
	s_waitcnt lgkmcnt(1)
	v_add_u32_e32 v39, v39, v85
	v_lshlrev_b64 v[39:40], 3, v[39:40]
	v_add_co_u32_e32 v39, vcc, s86, v39
	v_addc_co_u32_e32 v40, vcc, v41, v40, vcc
	s_waitcnt lgkmcnt(0)
	global_store_dwordx2 v[39:40], v[37:38], off
	s_or_b64 exec, exec, s[36:37]
	s_and_saveexec_b64 s[36:37], s[58:59]
	s_cbranch_execz .LBB1152_1119
.LBB1152_1183:                          ;   in Loop: Header=BB1152_979 Depth=2
	v_lshlrev_b32_e32 v37, 2, v140
	ds_read_b32 v39, v37
	ds_read_b64 v[37:38], v104 offset:23552
	v_mov_b32_e32 v40, v3
	v_mov_b32_e32 v41, s87
	s_waitcnt lgkmcnt(1)
	v_add_u32_e32 v39, v39, v86
	v_lshlrev_b64 v[39:40], 3, v[39:40]
	v_add_co_u32_e32 v39, vcc, s86, v39
	v_addc_co_u32_e32 v40, vcc, v41, v40, vcc
	s_waitcnt lgkmcnt(0)
	global_store_dwordx2 v[39:40], v[37:38], off
	s_or_b64 exec, exec, s[36:37]
	s_and_saveexec_b64 s[36:37], s[60:61]
	s_cbranch_execz .LBB1152_1120
.LBB1152_1184:                          ;   in Loop: Header=BB1152_979 Depth=2
	v_lshlrev_b32_e32 v37, 2, v139
	ds_read_b32 v39, v37
	ds_read_b64 v[37:38], v104 offset:25600
	v_mov_b32_e32 v40, v3
	v_mov_b32_e32 v41, s87
	s_waitcnt lgkmcnt(1)
	v_add_u32_e32 v39, v39, v87
	v_lshlrev_b64 v[39:40], 3, v[39:40]
	v_add_co_u32_e32 v39, vcc, s86, v39
	v_addc_co_u32_e32 v40, vcc, v41, v40, vcc
	s_waitcnt lgkmcnt(0)
	global_store_dwordx2 v[39:40], v[37:38], off
	s_or_b64 exec, exec, s[36:37]
	s_and_saveexec_b64 s[36:37], s[62:63]
	s_cbranch_execz .LBB1152_1121
.LBB1152_1185:                          ;   in Loop: Header=BB1152_979 Depth=2
	v_lshlrev_b32_e32 v37, 2, v138
	ds_read_b32 v39, v37
	ds_read_b64 v[37:38], v104 offset:27648
	v_mov_b32_e32 v40, v3
	v_mov_b32_e32 v41, s87
	s_waitcnt lgkmcnt(1)
	v_add_u32_e32 v39, v39, v88
	v_lshlrev_b64 v[39:40], 3, v[39:40]
	v_add_co_u32_e32 v39, vcc, s86, v39
	v_addc_co_u32_e32 v40, vcc, v41, v40, vcc
	s_waitcnt lgkmcnt(0)
	global_store_dwordx2 v[39:40], v[37:38], off
	s_or_b64 exec, exec, s[36:37]
	s_and_saveexec_b64 s[36:37], s[64:65]
	s_cbranch_execz .LBB1152_1122
.LBB1152_1186:                          ;   in Loop: Header=BB1152_979 Depth=2
	v_lshlrev_b32_e32 v37, 2, v137
	ds_read_b32 v39, v37
	ds_read_b64 v[37:38], v104 offset:29696
	v_mov_b32_e32 v40, v3
	v_mov_b32_e32 v41, s87
	s_waitcnt lgkmcnt(1)
	v_add_u32_e32 v39, v39, v89
	v_lshlrev_b64 v[39:40], 3, v[39:40]
	v_add_co_u32_e32 v39, vcc, s86, v39
	v_addc_co_u32_e32 v40, vcc, v41, v40, vcc
	s_waitcnt lgkmcnt(0)
	global_store_dwordx2 v[39:40], v[37:38], off
	s_or_b64 exec, exec, s[36:37]
	s_and_saveexec_b64 s[36:37], s[66:67]
	s_cbranch_execnz .LBB1152_1123
	s_branch .LBB1152_1124
.LBB1152_1187:
	s_endpgm
	.section	.rodata,"a",@progbits
	.p2align	6, 0x0
	.amdhsa_kernel _ZN7rocprim17ROCPRIM_400000_NS6detail17trampoline_kernelINS0_14default_configENS1_36segmented_radix_sort_config_selectorIdlEEZNS1_25segmented_radix_sort_implIS3_Lb1EPKdPdPKlPlN2at6native12_GLOBAL__N_18offset_tEEE10hipError_tPvRmT1_PNSt15iterator_traitsISK_E10value_typeET2_T3_PNSL_ISQ_E10value_typeET4_jRbjT5_SW_jjP12ihipStream_tbEUlT_E2_NS1_11comp_targetILNS1_3genE2ELNS1_11target_archE906ELNS1_3gpuE6ELNS1_3repE0EEENS1_30default_config_static_selectorELNS0_4arch9wavefront6targetE1EEEvSK_
		.amdhsa_group_segment_fixed_size 33808
		.amdhsa_private_segment_fixed_size 164
		.amdhsa_kernarg_size 336
		.amdhsa_user_sgpr_count 6
		.amdhsa_user_sgpr_private_segment_buffer 1
		.amdhsa_user_sgpr_dispatch_ptr 0
		.amdhsa_user_sgpr_queue_ptr 0
		.amdhsa_user_sgpr_kernarg_segment_ptr 1
		.amdhsa_user_sgpr_dispatch_id 0
		.amdhsa_user_sgpr_flat_scratch_init 0
		.amdhsa_user_sgpr_private_segment_size 0
		.amdhsa_uses_dynamic_stack 0
		.amdhsa_system_sgpr_private_segment_wavefront_offset 1
		.amdhsa_system_sgpr_workgroup_id_x 1
		.amdhsa_system_sgpr_workgroup_id_y 1
		.amdhsa_system_sgpr_workgroup_id_z 0
		.amdhsa_system_sgpr_workgroup_info 0
		.amdhsa_system_vgpr_workitem_id 2
		.amdhsa_next_free_vgpr 248
		.amdhsa_next_free_sgpr 100
		.amdhsa_reserve_vcc 1
		.amdhsa_reserve_flat_scratch 0
		.amdhsa_float_round_mode_32 0
		.amdhsa_float_round_mode_16_64 0
		.amdhsa_float_denorm_mode_32 3
		.amdhsa_float_denorm_mode_16_64 3
		.amdhsa_dx10_clamp 1
		.amdhsa_ieee_mode 1
		.amdhsa_fp16_overflow 0
		.amdhsa_exception_fp_ieee_invalid_op 0
		.amdhsa_exception_fp_denorm_src 0
		.amdhsa_exception_fp_ieee_div_zero 0
		.amdhsa_exception_fp_ieee_overflow 0
		.amdhsa_exception_fp_ieee_underflow 0
		.amdhsa_exception_fp_ieee_inexact 0
		.amdhsa_exception_int_div_zero 0
	.end_amdhsa_kernel
	.section	.text._ZN7rocprim17ROCPRIM_400000_NS6detail17trampoline_kernelINS0_14default_configENS1_36segmented_radix_sort_config_selectorIdlEEZNS1_25segmented_radix_sort_implIS3_Lb1EPKdPdPKlPlN2at6native12_GLOBAL__N_18offset_tEEE10hipError_tPvRmT1_PNSt15iterator_traitsISK_E10value_typeET2_T3_PNSL_ISQ_E10value_typeET4_jRbjT5_SW_jjP12ihipStream_tbEUlT_E2_NS1_11comp_targetILNS1_3genE2ELNS1_11target_archE906ELNS1_3gpuE6ELNS1_3repE0EEENS1_30default_config_static_selectorELNS0_4arch9wavefront6targetE1EEEvSK_,"axG",@progbits,_ZN7rocprim17ROCPRIM_400000_NS6detail17trampoline_kernelINS0_14default_configENS1_36segmented_radix_sort_config_selectorIdlEEZNS1_25segmented_radix_sort_implIS3_Lb1EPKdPdPKlPlN2at6native12_GLOBAL__N_18offset_tEEE10hipError_tPvRmT1_PNSt15iterator_traitsISK_E10value_typeET2_T3_PNSL_ISQ_E10value_typeET4_jRbjT5_SW_jjP12ihipStream_tbEUlT_E2_NS1_11comp_targetILNS1_3genE2ELNS1_11target_archE906ELNS1_3gpuE6ELNS1_3repE0EEENS1_30default_config_static_selectorELNS0_4arch9wavefront6targetE1EEEvSK_,comdat
.Lfunc_end1152:
	.size	_ZN7rocprim17ROCPRIM_400000_NS6detail17trampoline_kernelINS0_14default_configENS1_36segmented_radix_sort_config_selectorIdlEEZNS1_25segmented_radix_sort_implIS3_Lb1EPKdPdPKlPlN2at6native12_GLOBAL__N_18offset_tEEE10hipError_tPvRmT1_PNSt15iterator_traitsISK_E10value_typeET2_T3_PNSL_ISQ_E10value_typeET4_jRbjT5_SW_jjP12ihipStream_tbEUlT_E2_NS1_11comp_targetILNS1_3genE2ELNS1_11target_archE906ELNS1_3gpuE6ELNS1_3repE0EEENS1_30default_config_static_selectorELNS0_4arch9wavefront6targetE1EEEvSK_, .Lfunc_end1152-_ZN7rocprim17ROCPRIM_400000_NS6detail17trampoline_kernelINS0_14default_configENS1_36segmented_radix_sort_config_selectorIdlEEZNS1_25segmented_radix_sort_implIS3_Lb1EPKdPdPKlPlN2at6native12_GLOBAL__N_18offset_tEEE10hipError_tPvRmT1_PNSt15iterator_traitsISK_E10value_typeET2_T3_PNSL_ISQ_E10value_typeET4_jRbjT5_SW_jjP12ihipStream_tbEUlT_E2_NS1_11comp_targetILNS1_3genE2ELNS1_11target_archE906ELNS1_3gpuE6ELNS1_3repE0EEENS1_30default_config_static_selectorELNS0_4arch9wavefront6targetE1EEEvSK_
                                        ; -- End function
	.set _ZN7rocprim17ROCPRIM_400000_NS6detail17trampoline_kernelINS0_14default_configENS1_36segmented_radix_sort_config_selectorIdlEEZNS1_25segmented_radix_sort_implIS3_Lb1EPKdPdPKlPlN2at6native12_GLOBAL__N_18offset_tEEE10hipError_tPvRmT1_PNSt15iterator_traitsISK_E10value_typeET2_T3_PNSL_ISQ_E10value_typeET4_jRbjT5_SW_jjP12ihipStream_tbEUlT_E2_NS1_11comp_targetILNS1_3genE2ELNS1_11target_archE906ELNS1_3gpuE6ELNS1_3repE0EEENS1_30default_config_static_selectorELNS0_4arch9wavefront6targetE1EEEvSK_.num_vgpr, max(226, .L_ZN7rocprim17ROCPRIM_400000_NS6detail26segmented_warp_sort_helperINS1_20WarpSortHelperConfigILj8ELj4ELj256EEEdlLi256ELb1EvE4sortIPKdPdPKlPlEEvT_S9_T0_T1_SC_T2_bjjjjRNS5_12storage_typeE.num_vgpr, .L_ZN7rocprim17ROCPRIM_400000_NS6detail40segmented_radix_sort_single_block_helperIdlLj256ELj16ELb1EE4sortIPKdPdPKlPlEEbT_T0_T1_T2_jjjjRNS3_12storage_typeE.num_vgpr)
	.set _ZN7rocprim17ROCPRIM_400000_NS6detail17trampoline_kernelINS0_14default_configENS1_36segmented_radix_sort_config_selectorIdlEEZNS1_25segmented_radix_sort_implIS3_Lb1EPKdPdPKlPlN2at6native12_GLOBAL__N_18offset_tEEE10hipError_tPvRmT1_PNSt15iterator_traitsISK_E10value_typeET2_T3_PNSL_ISQ_E10value_typeET4_jRbjT5_SW_jjP12ihipStream_tbEUlT_E2_NS1_11comp_targetILNS1_3genE2ELNS1_11target_archE906ELNS1_3gpuE6ELNS1_3repE0EEENS1_30default_config_static_selectorELNS0_4arch9wavefront6targetE1EEEvSK_.num_agpr, max(0, .L_ZN7rocprim17ROCPRIM_400000_NS6detail26segmented_warp_sort_helperINS1_20WarpSortHelperConfigILj8ELj4ELj256EEEdlLi256ELb1EvE4sortIPKdPdPKlPlEEvT_S9_T0_T1_SC_T2_bjjjjRNS5_12storage_typeE.num_agpr, .L_ZN7rocprim17ROCPRIM_400000_NS6detail40segmented_radix_sort_single_block_helperIdlLj256ELj16ELb1EE4sortIPKdPdPKlPlEEbT_T0_T1_T2_jjjjRNS3_12storage_typeE.num_agpr)
	.set _ZN7rocprim17ROCPRIM_400000_NS6detail17trampoline_kernelINS0_14default_configENS1_36segmented_radix_sort_config_selectorIdlEEZNS1_25segmented_radix_sort_implIS3_Lb1EPKdPdPKlPlN2at6native12_GLOBAL__N_18offset_tEEE10hipError_tPvRmT1_PNSt15iterator_traitsISK_E10value_typeET2_T3_PNSL_ISQ_E10value_typeET4_jRbjT5_SW_jjP12ihipStream_tbEUlT_E2_NS1_11comp_targetILNS1_3genE2ELNS1_11target_archE906ELNS1_3gpuE6ELNS1_3repE0EEENS1_30default_config_static_selectorELNS0_4arch9wavefront6targetE1EEEvSK_.numbered_sgpr, max(100, .L_ZN7rocprim17ROCPRIM_400000_NS6detail26segmented_warp_sort_helperINS1_20WarpSortHelperConfigILj8ELj4ELj256EEEdlLi256ELb1EvE4sortIPKdPdPKlPlEEvT_S9_T0_T1_SC_T2_bjjjjRNS5_12storage_typeE.numbered_sgpr, .L_ZN7rocprim17ROCPRIM_400000_NS6detail40segmented_radix_sort_single_block_helperIdlLj256ELj16ELb1EE4sortIPKdPdPKlPlEEbT_T0_T1_T2_jjjjRNS3_12storage_typeE.numbered_sgpr)
	.set _ZN7rocprim17ROCPRIM_400000_NS6detail17trampoline_kernelINS0_14default_configENS1_36segmented_radix_sort_config_selectorIdlEEZNS1_25segmented_radix_sort_implIS3_Lb1EPKdPdPKlPlN2at6native12_GLOBAL__N_18offset_tEEE10hipError_tPvRmT1_PNSt15iterator_traitsISK_E10value_typeET2_T3_PNSL_ISQ_E10value_typeET4_jRbjT5_SW_jjP12ihipStream_tbEUlT_E2_NS1_11comp_targetILNS1_3genE2ELNS1_11target_archE906ELNS1_3gpuE6ELNS1_3repE0EEENS1_30default_config_static_selectorELNS0_4arch9wavefront6targetE1EEEvSK_.num_named_barrier, max(0, .L_ZN7rocprim17ROCPRIM_400000_NS6detail26segmented_warp_sort_helperINS1_20WarpSortHelperConfigILj8ELj4ELj256EEEdlLi256ELb1EvE4sortIPKdPdPKlPlEEvT_S9_T0_T1_SC_T2_bjjjjRNS5_12storage_typeE.num_named_barrier, .L_ZN7rocprim17ROCPRIM_400000_NS6detail40segmented_radix_sort_single_block_helperIdlLj256ELj16ELb1EE4sortIPKdPdPKlPlEEbT_T0_T1_T2_jjjjRNS3_12storage_typeE.num_named_barrier)
	.set _ZN7rocprim17ROCPRIM_400000_NS6detail17trampoline_kernelINS0_14default_configENS1_36segmented_radix_sort_config_selectorIdlEEZNS1_25segmented_radix_sort_implIS3_Lb1EPKdPdPKlPlN2at6native12_GLOBAL__N_18offset_tEEE10hipError_tPvRmT1_PNSt15iterator_traitsISK_E10value_typeET2_T3_PNSL_ISQ_E10value_typeET4_jRbjT5_SW_jjP12ihipStream_tbEUlT_E2_NS1_11comp_targetILNS1_3genE2ELNS1_11target_archE906ELNS1_3gpuE6ELNS1_3repE0EEENS1_30default_config_static_selectorELNS0_4arch9wavefront6targetE1EEEvSK_.private_seg_size, 0+max(.L_ZN7rocprim17ROCPRIM_400000_NS6detail26segmented_warp_sort_helperINS1_20WarpSortHelperConfigILj8ELj4ELj256EEEdlLi256ELb1EvE4sortIPKdPdPKlPlEEvT_S9_T0_T1_SC_T2_bjjjjRNS5_12storage_typeE.private_seg_size, .L_ZN7rocprim17ROCPRIM_400000_NS6detail40segmented_radix_sort_single_block_helperIdlLj256ELj16ELb1EE4sortIPKdPdPKlPlEEbT_T0_T1_T2_jjjjRNS3_12storage_typeE.private_seg_size)
	.set _ZN7rocprim17ROCPRIM_400000_NS6detail17trampoline_kernelINS0_14default_configENS1_36segmented_radix_sort_config_selectorIdlEEZNS1_25segmented_radix_sort_implIS3_Lb1EPKdPdPKlPlN2at6native12_GLOBAL__N_18offset_tEEE10hipError_tPvRmT1_PNSt15iterator_traitsISK_E10value_typeET2_T3_PNSL_ISQ_E10value_typeET4_jRbjT5_SW_jjP12ihipStream_tbEUlT_E2_NS1_11comp_targetILNS1_3genE2ELNS1_11target_archE906ELNS1_3gpuE6ELNS1_3repE0EEENS1_30default_config_static_selectorELNS0_4arch9wavefront6targetE1EEEvSK_.uses_vcc, or(1, .L_ZN7rocprim17ROCPRIM_400000_NS6detail26segmented_warp_sort_helperINS1_20WarpSortHelperConfigILj8ELj4ELj256EEEdlLi256ELb1EvE4sortIPKdPdPKlPlEEvT_S9_T0_T1_SC_T2_bjjjjRNS5_12storage_typeE.uses_vcc, .L_ZN7rocprim17ROCPRIM_400000_NS6detail40segmented_radix_sort_single_block_helperIdlLj256ELj16ELb1EE4sortIPKdPdPKlPlEEbT_T0_T1_T2_jjjjRNS3_12storage_typeE.uses_vcc)
	.set _ZN7rocprim17ROCPRIM_400000_NS6detail17trampoline_kernelINS0_14default_configENS1_36segmented_radix_sort_config_selectorIdlEEZNS1_25segmented_radix_sort_implIS3_Lb1EPKdPdPKlPlN2at6native12_GLOBAL__N_18offset_tEEE10hipError_tPvRmT1_PNSt15iterator_traitsISK_E10value_typeET2_T3_PNSL_ISQ_E10value_typeET4_jRbjT5_SW_jjP12ihipStream_tbEUlT_E2_NS1_11comp_targetILNS1_3genE2ELNS1_11target_archE906ELNS1_3gpuE6ELNS1_3repE0EEENS1_30default_config_static_selectorELNS0_4arch9wavefront6targetE1EEEvSK_.uses_flat_scratch, or(0, .L_ZN7rocprim17ROCPRIM_400000_NS6detail26segmented_warp_sort_helperINS1_20WarpSortHelperConfigILj8ELj4ELj256EEEdlLi256ELb1EvE4sortIPKdPdPKlPlEEvT_S9_T0_T1_SC_T2_bjjjjRNS5_12storage_typeE.uses_flat_scratch, .L_ZN7rocprim17ROCPRIM_400000_NS6detail40segmented_radix_sort_single_block_helperIdlLj256ELj16ELb1EE4sortIPKdPdPKlPlEEbT_T0_T1_T2_jjjjRNS3_12storage_typeE.uses_flat_scratch)
	.set _ZN7rocprim17ROCPRIM_400000_NS6detail17trampoline_kernelINS0_14default_configENS1_36segmented_radix_sort_config_selectorIdlEEZNS1_25segmented_radix_sort_implIS3_Lb1EPKdPdPKlPlN2at6native12_GLOBAL__N_18offset_tEEE10hipError_tPvRmT1_PNSt15iterator_traitsISK_E10value_typeET2_T3_PNSL_ISQ_E10value_typeET4_jRbjT5_SW_jjP12ihipStream_tbEUlT_E2_NS1_11comp_targetILNS1_3genE2ELNS1_11target_archE906ELNS1_3gpuE6ELNS1_3repE0EEENS1_30default_config_static_selectorELNS0_4arch9wavefront6targetE1EEEvSK_.has_dyn_sized_stack, or(0, .L_ZN7rocprim17ROCPRIM_400000_NS6detail26segmented_warp_sort_helperINS1_20WarpSortHelperConfigILj8ELj4ELj256EEEdlLi256ELb1EvE4sortIPKdPdPKlPlEEvT_S9_T0_T1_SC_T2_bjjjjRNS5_12storage_typeE.has_dyn_sized_stack, .L_ZN7rocprim17ROCPRIM_400000_NS6detail40segmented_radix_sort_single_block_helperIdlLj256ELj16ELb1EE4sortIPKdPdPKlPlEEbT_T0_T1_T2_jjjjRNS3_12storage_typeE.has_dyn_sized_stack)
	.set _ZN7rocprim17ROCPRIM_400000_NS6detail17trampoline_kernelINS0_14default_configENS1_36segmented_radix_sort_config_selectorIdlEEZNS1_25segmented_radix_sort_implIS3_Lb1EPKdPdPKlPlN2at6native12_GLOBAL__N_18offset_tEEE10hipError_tPvRmT1_PNSt15iterator_traitsISK_E10value_typeET2_T3_PNSL_ISQ_E10value_typeET4_jRbjT5_SW_jjP12ihipStream_tbEUlT_E2_NS1_11comp_targetILNS1_3genE2ELNS1_11target_archE906ELNS1_3gpuE6ELNS1_3repE0EEENS1_30default_config_static_selectorELNS0_4arch9wavefront6targetE1EEEvSK_.has_recursion, or(0, .L_ZN7rocprim17ROCPRIM_400000_NS6detail26segmented_warp_sort_helperINS1_20WarpSortHelperConfigILj8ELj4ELj256EEEdlLi256ELb1EvE4sortIPKdPdPKlPlEEvT_S9_T0_T1_SC_T2_bjjjjRNS5_12storage_typeE.has_recursion, .L_ZN7rocprim17ROCPRIM_400000_NS6detail40segmented_radix_sort_single_block_helperIdlLj256ELj16ELb1EE4sortIPKdPdPKlPlEEbT_T0_T1_T2_jjjjRNS3_12storage_typeE.has_recursion)
	.set _ZN7rocprim17ROCPRIM_400000_NS6detail17trampoline_kernelINS0_14default_configENS1_36segmented_radix_sort_config_selectorIdlEEZNS1_25segmented_radix_sort_implIS3_Lb1EPKdPdPKlPlN2at6native12_GLOBAL__N_18offset_tEEE10hipError_tPvRmT1_PNSt15iterator_traitsISK_E10value_typeET2_T3_PNSL_ISQ_E10value_typeET4_jRbjT5_SW_jjP12ihipStream_tbEUlT_E2_NS1_11comp_targetILNS1_3genE2ELNS1_11target_archE906ELNS1_3gpuE6ELNS1_3repE0EEENS1_30default_config_static_selectorELNS0_4arch9wavefront6targetE1EEEvSK_.has_indirect_call, or(0, .L_ZN7rocprim17ROCPRIM_400000_NS6detail26segmented_warp_sort_helperINS1_20WarpSortHelperConfigILj8ELj4ELj256EEEdlLi256ELb1EvE4sortIPKdPdPKlPlEEvT_S9_T0_T1_SC_T2_bjjjjRNS5_12storage_typeE.has_indirect_call, .L_ZN7rocprim17ROCPRIM_400000_NS6detail40segmented_radix_sort_single_block_helperIdlLj256ELj16ELb1EE4sortIPKdPdPKlPlEEbT_T0_T1_T2_jjjjRNS3_12storage_typeE.has_indirect_call)
	.section	.AMDGPU.csdata,"",@progbits
; Kernel info:
; codeLenInByte = 73092
; TotalNumSgprs: 104
; NumVgprs: 248
; ScratchSize: 164
; MemoryBound: 0
; FloatMode: 240
; IeeeMode: 1
; LDSByteSize: 33808 bytes/workgroup (compile time only)
; SGPRBlocks: 12
; VGPRBlocks: 61
; NumSGPRsForWavesPerEU: 104
; NumVGPRsForWavesPerEU: 248
; Occupancy: 1
; WaveLimiterHint : 1
; COMPUTE_PGM_RSRC2:SCRATCH_EN: 1
; COMPUTE_PGM_RSRC2:USER_SGPR: 6
; COMPUTE_PGM_RSRC2:TRAP_HANDLER: 0
; COMPUTE_PGM_RSRC2:TGID_X_EN: 1
; COMPUTE_PGM_RSRC2:TGID_Y_EN: 1
; COMPUTE_PGM_RSRC2:TGID_Z_EN: 0
; COMPUTE_PGM_RSRC2:TIDIG_COMP_CNT: 2
	.section	.text._ZN7rocprim17ROCPRIM_400000_NS6detail17trampoline_kernelINS0_14default_configENS1_36segmented_radix_sort_config_selectorIdlEEZNS1_25segmented_radix_sort_implIS3_Lb1EPKdPdPKlPlN2at6native12_GLOBAL__N_18offset_tEEE10hipError_tPvRmT1_PNSt15iterator_traitsISK_E10value_typeET2_T3_PNSL_ISQ_E10value_typeET4_jRbjT5_SW_jjP12ihipStream_tbEUlT_E2_NS1_11comp_targetILNS1_3genE10ELNS1_11target_archE1201ELNS1_3gpuE5ELNS1_3repE0EEENS1_30default_config_static_selectorELNS0_4arch9wavefront6targetE1EEEvSK_,"axG",@progbits,_ZN7rocprim17ROCPRIM_400000_NS6detail17trampoline_kernelINS0_14default_configENS1_36segmented_radix_sort_config_selectorIdlEEZNS1_25segmented_radix_sort_implIS3_Lb1EPKdPdPKlPlN2at6native12_GLOBAL__N_18offset_tEEE10hipError_tPvRmT1_PNSt15iterator_traitsISK_E10value_typeET2_T3_PNSL_ISQ_E10value_typeET4_jRbjT5_SW_jjP12ihipStream_tbEUlT_E2_NS1_11comp_targetILNS1_3genE10ELNS1_11target_archE1201ELNS1_3gpuE5ELNS1_3repE0EEENS1_30default_config_static_selectorELNS0_4arch9wavefront6targetE1EEEvSK_,comdat
	.globl	_ZN7rocprim17ROCPRIM_400000_NS6detail17trampoline_kernelINS0_14default_configENS1_36segmented_radix_sort_config_selectorIdlEEZNS1_25segmented_radix_sort_implIS3_Lb1EPKdPdPKlPlN2at6native12_GLOBAL__N_18offset_tEEE10hipError_tPvRmT1_PNSt15iterator_traitsISK_E10value_typeET2_T3_PNSL_ISQ_E10value_typeET4_jRbjT5_SW_jjP12ihipStream_tbEUlT_E2_NS1_11comp_targetILNS1_3genE10ELNS1_11target_archE1201ELNS1_3gpuE5ELNS1_3repE0EEENS1_30default_config_static_selectorELNS0_4arch9wavefront6targetE1EEEvSK_ ; -- Begin function _ZN7rocprim17ROCPRIM_400000_NS6detail17trampoline_kernelINS0_14default_configENS1_36segmented_radix_sort_config_selectorIdlEEZNS1_25segmented_radix_sort_implIS3_Lb1EPKdPdPKlPlN2at6native12_GLOBAL__N_18offset_tEEE10hipError_tPvRmT1_PNSt15iterator_traitsISK_E10value_typeET2_T3_PNSL_ISQ_E10value_typeET4_jRbjT5_SW_jjP12ihipStream_tbEUlT_E2_NS1_11comp_targetILNS1_3genE10ELNS1_11target_archE1201ELNS1_3gpuE5ELNS1_3repE0EEENS1_30default_config_static_selectorELNS0_4arch9wavefront6targetE1EEEvSK_
	.p2align	8
	.type	_ZN7rocprim17ROCPRIM_400000_NS6detail17trampoline_kernelINS0_14default_configENS1_36segmented_radix_sort_config_selectorIdlEEZNS1_25segmented_radix_sort_implIS3_Lb1EPKdPdPKlPlN2at6native12_GLOBAL__N_18offset_tEEE10hipError_tPvRmT1_PNSt15iterator_traitsISK_E10value_typeET2_T3_PNSL_ISQ_E10value_typeET4_jRbjT5_SW_jjP12ihipStream_tbEUlT_E2_NS1_11comp_targetILNS1_3genE10ELNS1_11target_archE1201ELNS1_3gpuE5ELNS1_3repE0EEENS1_30default_config_static_selectorELNS0_4arch9wavefront6targetE1EEEvSK_,@function
_ZN7rocprim17ROCPRIM_400000_NS6detail17trampoline_kernelINS0_14default_configENS1_36segmented_radix_sort_config_selectorIdlEEZNS1_25segmented_radix_sort_implIS3_Lb1EPKdPdPKlPlN2at6native12_GLOBAL__N_18offset_tEEE10hipError_tPvRmT1_PNSt15iterator_traitsISK_E10value_typeET2_T3_PNSL_ISQ_E10value_typeET4_jRbjT5_SW_jjP12ihipStream_tbEUlT_E2_NS1_11comp_targetILNS1_3genE10ELNS1_11target_archE1201ELNS1_3gpuE5ELNS1_3repE0EEENS1_30default_config_static_selectorELNS0_4arch9wavefront6targetE1EEEvSK_: ; @_ZN7rocprim17ROCPRIM_400000_NS6detail17trampoline_kernelINS0_14default_configENS1_36segmented_radix_sort_config_selectorIdlEEZNS1_25segmented_radix_sort_implIS3_Lb1EPKdPdPKlPlN2at6native12_GLOBAL__N_18offset_tEEE10hipError_tPvRmT1_PNSt15iterator_traitsISK_E10value_typeET2_T3_PNSL_ISQ_E10value_typeET4_jRbjT5_SW_jjP12ihipStream_tbEUlT_E2_NS1_11comp_targetILNS1_3genE10ELNS1_11target_archE1201ELNS1_3gpuE5ELNS1_3repE0EEENS1_30default_config_static_selectorELNS0_4arch9wavefront6targetE1EEEvSK_
; %bb.0:
	.section	.rodata,"a",@progbits
	.p2align	6, 0x0
	.amdhsa_kernel _ZN7rocprim17ROCPRIM_400000_NS6detail17trampoline_kernelINS0_14default_configENS1_36segmented_radix_sort_config_selectorIdlEEZNS1_25segmented_radix_sort_implIS3_Lb1EPKdPdPKlPlN2at6native12_GLOBAL__N_18offset_tEEE10hipError_tPvRmT1_PNSt15iterator_traitsISK_E10value_typeET2_T3_PNSL_ISQ_E10value_typeET4_jRbjT5_SW_jjP12ihipStream_tbEUlT_E2_NS1_11comp_targetILNS1_3genE10ELNS1_11target_archE1201ELNS1_3gpuE5ELNS1_3repE0EEENS1_30default_config_static_selectorELNS0_4arch9wavefront6targetE1EEEvSK_
		.amdhsa_group_segment_fixed_size 0
		.amdhsa_private_segment_fixed_size 0
		.amdhsa_kernarg_size 80
		.amdhsa_user_sgpr_count 6
		.amdhsa_user_sgpr_private_segment_buffer 1
		.amdhsa_user_sgpr_dispatch_ptr 0
		.amdhsa_user_sgpr_queue_ptr 0
		.amdhsa_user_sgpr_kernarg_segment_ptr 1
		.amdhsa_user_sgpr_dispatch_id 0
		.amdhsa_user_sgpr_flat_scratch_init 0
		.amdhsa_user_sgpr_private_segment_size 0
		.amdhsa_uses_dynamic_stack 0
		.amdhsa_system_sgpr_private_segment_wavefront_offset 0
		.amdhsa_system_sgpr_workgroup_id_x 1
		.amdhsa_system_sgpr_workgroup_id_y 0
		.amdhsa_system_sgpr_workgroup_id_z 0
		.amdhsa_system_sgpr_workgroup_info 0
		.amdhsa_system_vgpr_workitem_id 0
		.amdhsa_next_free_vgpr 1
		.amdhsa_next_free_sgpr 0
		.amdhsa_reserve_vcc 0
		.amdhsa_reserve_flat_scratch 0
		.amdhsa_float_round_mode_32 0
		.amdhsa_float_round_mode_16_64 0
		.amdhsa_float_denorm_mode_32 3
		.amdhsa_float_denorm_mode_16_64 3
		.amdhsa_dx10_clamp 1
		.amdhsa_ieee_mode 1
		.amdhsa_fp16_overflow 0
		.amdhsa_exception_fp_ieee_invalid_op 0
		.amdhsa_exception_fp_denorm_src 0
		.amdhsa_exception_fp_ieee_div_zero 0
		.amdhsa_exception_fp_ieee_overflow 0
		.amdhsa_exception_fp_ieee_underflow 0
		.amdhsa_exception_fp_ieee_inexact 0
		.amdhsa_exception_int_div_zero 0
	.end_amdhsa_kernel
	.section	.text._ZN7rocprim17ROCPRIM_400000_NS6detail17trampoline_kernelINS0_14default_configENS1_36segmented_radix_sort_config_selectorIdlEEZNS1_25segmented_radix_sort_implIS3_Lb1EPKdPdPKlPlN2at6native12_GLOBAL__N_18offset_tEEE10hipError_tPvRmT1_PNSt15iterator_traitsISK_E10value_typeET2_T3_PNSL_ISQ_E10value_typeET4_jRbjT5_SW_jjP12ihipStream_tbEUlT_E2_NS1_11comp_targetILNS1_3genE10ELNS1_11target_archE1201ELNS1_3gpuE5ELNS1_3repE0EEENS1_30default_config_static_selectorELNS0_4arch9wavefront6targetE1EEEvSK_,"axG",@progbits,_ZN7rocprim17ROCPRIM_400000_NS6detail17trampoline_kernelINS0_14default_configENS1_36segmented_radix_sort_config_selectorIdlEEZNS1_25segmented_radix_sort_implIS3_Lb1EPKdPdPKlPlN2at6native12_GLOBAL__N_18offset_tEEE10hipError_tPvRmT1_PNSt15iterator_traitsISK_E10value_typeET2_T3_PNSL_ISQ_E10value_typeET4_jRbjT5_SW_jjP12ihipStream_tbEUlT_E2_NS1_11comp_targetILNS1_3genE10ELNS1_11target_archE1201ELNS1_3gpuE5ELNS1_3repE0EEENS1_30default_config_static_selectorELNS0_4arch9wavefront6targetE1EEEvSK_,comdat
.Lfunc_end1153:
	.size	_ZN7rocprim17ROCPRIM_400000_NS6detail17trampoline_kernelINS0_14default_configENS1_36segmented_radix_sort_config_selectorIdlEEZNS1_25segmented_radix_sort_implIS3_Lb1EPKdPdPKlPlN2at6native12_GLOBAL__N_18offset_tEEE10hipError_tPvRmT1_PNSt15iterator_traitsISK_E10value_typeET2_T3_PNSL_ISQ_E10value_typeET4_jRbjT5_SW_jjP12ihipStream_tbEUlT_E2_NS1_11comp_targetILNS1_3genE10ELNS1_11target_archE1201ELNS1_3gpuE5ELNS1_3repE0EEENS1_30default_config_static_selectorELNS0_4arch9wavefront6targetE1EEEvSK_, .Lfunc_end1153-_ZN7rocprim17ROCPRIM_400000_NS6detail17trampoline_kernelINS0_14default_configENS1_36segmented_radix_sort_config_selectorIdlEEZNS1_25segmented_radix_sort_implIS3_Lb1EPKdPdPKlPlN2at6native12_GLOBAL__N_18offset_tEEE10hipError_tPvRmT1_PNSt15iterator_traitsISK_E10value_typeET2_T3_PNSL_ISQ_E10value_typeET4_jRbjT5_SW_jjP12ihipStream_tbEUlT_E2_NS1_11comp_targetILNS1_3genE10ELNS1_11target_archE1201ELNS1_3gpuE5ELNS1_3repE0EEENS1_30default_config_static_selectorELNS0_4arch9wavefront6targetE1EEEvSK_
                                        ; -- End function
	.set _ZN7rocprim17ROCPRIM_400000_NS6detail17trampoline_kernelINS0_14default_configENS1_36segmented_radix_sort_config_selectorIdlEEZNS1_25segmented_radix_sort_implIS3_Lb1EPKdPdPKlPlN2at6native12_GLOBAL__N_18offset_tEEE10hipError_tPvRmT1_PNSt15iterator_traitsISK_E10value_typeET2_T3_PNSL_ISQ_E10value_typeET4_jRbjT5_SW_jjP12ihipStream_tbEUlT_E2_NS1_11comp_targetILNS1_3genE10ELNS1_11target_archE1201ELNS1_3gpuE5ELNS1_3repE0EEENS1_30default_config_static_selectorELNS0_4arch9wavefront6targetE1EEEvSK_.num_vgpr, 0
	.set _ZN7rocprim17ROCPRIM_400000_NS6detail17trampoline_kernelINS0_14default_configENS1_36segmented_radix_sort_config_selectorIdlEEZNS1_25segmented_radix_sort_implIS3_Lb1EPKdPdPKlPlN2at6native12_GLOBAL__N_18offset_tEEE10hipError_tPvRmT1_PNSt15iterator_traitsISK_E10value_typeET2_T3_PNSL_ISQ_E10value_typeET4_jRbjT5_SW_jjP12ihipStream_tbEUlT_E2_NS1_11comp_targetILNS1_3genE10ELNS1_11target_archE1201ELNS1_3gpuE5ELNS1_3repE0EEENS1_30default_config_static_selectorELNS0_4arch9wavefront6targetE1EEEvSK_.num_agpr, 0
	.set _ZN7rocprim17ROCPRIM_400000_NS6detail17trampoline_kernelINS0_14default_configENS1_36segmented_radix_sort_config_selectorIdlEEZNS1_25segmented_radix_sort_implIS3_Lb1EPKdPdPKlPlN2at6native12_GLOBAL__N_18offset_tEEE10hipError_tPvRmT1_PNSt15iterator_traitsISK_E10value_typeET2_T3_PNSL_ISQ_E10value_typeET4_jRbjT5_SW_jjP12ihipStream_tbEUlT_E2_NS1_11comp_targetILNS1_3genE10ELNS1_11target_archE1201ELNS1_3gpuE5ELNS1_3repE0EEENS1_30default_config_static_selectorELNS0_4arch9wavefront6targetE1EEEvSK_.numbered_sgpr, 0
	.set _ZN7rocprim17ROCPRIM_400000_NS6detail17trampoline_kernelINS0_14default_configENS1_36segmented_radix_sort_config_selectorIdlEEZNS1_25segmented_radix_sort_implIS3_Lb1EPKdPdPKlPlN2at6native12_GLOBAL__N_18offset_tEEE10hipError_tPvRmT1_PNSt15iterator_traitsISK_E10value_typeET2_T3_PNSL_ISQ_E10value_typeET4_jRbjT5_SW_jjP12ihipStream_tbEUlT_E2_NS1_11comp_targetILNS1_3genE10ELNS1_11target_archE1201ELNS1_3gpuE5ELNS1_3repE0EEENS1_30default_config_static_selectorELNS0_4arch9wavefront6targetE1EEEvSK_.num_named_barrier, 0
	.set _ZN7rocprim17ROCPRIM_400000_NS6detail17trampoline_kernelINS0_14default_configENS1_36segmented_radix_sort_config_selectorIdlEEZNS1_25segmented_radix_sort_implIS3_Lb1EPKdPdPKlPlN2at6native12_GLOBAL__N_18offset_tEEE10hipError_tPvRmT1_PNSt15iterator_traitsISK_E10value_typeET2_T3_PNSL_ISQ_E10value_typeET4_jRbjT5_SW_jjP12ihipStream_tbEUlT_E2_NS1_11comp_targetILNS1_3genE10ELNS1_11target_archE1201ELNS1_3gpuE5ELNS1_3repE0EEENS1_30default_config_static_selectorELNS0_4arch9wavefront6targetE1EEEvSK_.private_seg_size, 0
	.set _ZN7rocprim17ROCPRIM_400000_NS6detail17trampoline_kernelINS0_14default_configENS1_36segmented_radix_sort_config_selectorIdlEEZNS1_25segmented_radix_sort_implIS3_Lb1EPKdPdPKlPlN2at6native12_GLOBAL__N_18offset_tEEE10hipError_tPvRmT1_PNSt15iterator_traitsISK_E10value_typeET2_T3_PNSL_ISQ_E10value_typeET4_jRbjT5_SW_jjP12ihipStream_tbEUlT_E2_NS1_11comp_targetILNS1_3genE10ELNS1_11target_archE1201ELNS1_3gpuE5ELNS1_3repE0EEENS1_30default_config_static_selectorELNS0_4arch9wavefront6targetE1EEEvSK_.uses_vcc, 0
	.set _ZN7rocprim17ROCPRIM_400000_NS6detail17trampoline_kernelINS0_14default_configENS1_36segmented_radix_sort_config_selectorIdlEEZNS1_25segmented_radix_sort_implIS3_Lb1EPKdPdPKlPlN2at6native12_GLOBAL__N_18offset_tEEE10hipError_tPvRmT1_PNSt15iterator_traitsISK_E10value_typeET2_T3_PNSL_ISQ_E10value_typeET4_jRbjT5_SW_jjP12ihipStream_tbEUlT_E2_NS1_11comp_targetILNS1_3genE10ELNS1_11target_archE1201ELNS1_3gpuE5ELNS1_3repE0EEENS1_30default_config_static_selectorELNS0_4arch9wavefront6targetE1EEEvSK_.uses_flat_scratch, 0
	.set _ZN7rocprim17ROCPRIM_400000_NS6detail17trampoline_kernelINS0_14default_configENS1_36segmented_radix_sort_config_selectorIdlEEZNS1_25segmented_radix_sort_implIS3_Lb1EPKdPdPKlPlN2at6native12_GLOBAL__N_18offset_tEEE10hipError_tPvRmT1_PNSt15iterator_traitsISK_E10value_typeET2_T3_PNSL_ISQ_E10value_typeET4_jRbjT5_SW_jjP12ihipStream_tbEUlT_E2_NS1_11comp_targetILNS1_3genE10ELNS1_11target_archE1201ELNS1_3gpuE5ELNS1_3repE0EEENS1_30default_config_static_selectorELNS0_4arch9wavefront6targetE1EEEvSK_.has_dyn_sized_stack, 0
	.set _ZN7rocprim17ROCPRIM_400000_NS6detail17trampoline_kernelINS0_14default_configENS1_36segmented_radix_sort_config_selectorIdlEEZNS1_25segmented_radix_sort_implIS3_Lb1EPKdPdPKlPlN2at6native12_GLOBAL__N_18offset_tEEE10hipError_tPvRmT1_PNSt15iterator_traitsISK_E10value_typeET2_T3_PNSL_ISQ_E10value_typeET4_jRbjT5_SW_jjP12ihipStream_tbEUlT_E2_NS1_11comp_targetILNS1_3genE10ELNS1_11target_archE1201ELNS1_3gpuE5ELNS1_3repE0EEENS1_30default_config_static_selectorELNS0_4arch9wavefront6targetE1EEEvSK_.has_recursion, 0
	.set _ZN7rocprim17ROCPRIM_400000_NS6detail17trampoline_kernelINS0_14default_configENS1_36segmented_radix_sort_config_selectorIdlEEZNS1_25segmented_radix_sort_implIS3_Lb1EPKdPdPKlPlN2at6native12_GLOBAL__N_18offset_tEEE10hipError_tPvRmT1_PNSt15iterator_traitsISK_E10value_typeET2_T3_PNSL_ISQ_E10value_typeET4_jRbjT5_SW_jjP12ihipStream_tbEUlT_E2_NS1_11comp_targetILNS1_3genE10ELNS1_11target_archE1201ELNS1_3gpuE5ELNS1_3repE0EEENS1_30default_config_static_selectorELNS0_4arch9wavefront6targetE1EEEvSK_.has_indirect_call, 0
	.section	.AMDGPU.csdata,"",@progbits
; Kernel info:
; codeLenInByte = 0
; TotalNumSgprs: 4
; NumVgprs: 0
; ScratchSize: 0
; MemoryBound: 0
; FloatMode: 240
; IeeeMode: 1
; LDSByteSize: 0 bytes/workgroup (compile time only)
; SGPRBlocks: 0
; VGPRBlocks: 0
; NumSGPRsForWavesPerEU: 4
; NumVGPRsForWavesPerEU: 1
; Occupancy: 10
; WaveLimiterHint : 0
; COMPUTE_PGM_RSRC2:SCRATCH_EN: 0
; COMPUTE_PGM_RSRC2:USER_SGPR: 6
; COMPUTE_PGM_RSRC2:TRAP_HANDLER: 0
; COMPUTE_PGM_RSRC2:TGID_X_EN: 1
; COMPUTE_PGM_RSRC2:TGID_Y_EN: 0
; COMPUTE_PGM_RSRC2:TGID_Z_EN: 0
; COMPUTE_PGM_RSRC2:TIDIG_COMP_CNT: 0
	.section	.text._ZN7rocprim17ROCPRIM_400000_NS6detail17trampoline_kernelINS0_14default_configENS1_36segmented_radix_sort_config_selectorIdlEEZNS1_25segmented_radix_sort_implIS3_Lb1EPKdPdPKlPlN2at6native12_GLOBAL__N_18offset_tEEE10hipError_tPvRmT1_PNSt15iterator_traitsISK_E10value_typeET2_T3_PNSL_ISQ_E10value_typeET4_jRbjT5_SW_jjP12ihipStream_tbEUlT_E2_NS1_11comp_targetILNS1_3genE10ELNS1_11target_archE1200ELNS1_3gpuE4ELNS1_3repE0EEENS1_30default_config_static_selectorELNS0_4arch9wavefront6targetE1EEEvSK_,"axG",@progbits,_ZN7rocprim17ROCPRIM_400000_NS6detail17trampoline_kernelINS0_14default_configENS1_36segmented_radix_sort_config_selectorIdlEEZNS1_25segmented_radix_sort_implIS3_Lb1EPKdPdPKlPlN2at6native12_GLOBAL__N_18offset_tEEE10hipError_tPvRmT1_PNSt15iterator_traitsISK_E10value_typeET2_T3_PNSL_ISQ_E10value_typeET4_jRbjT5_SW_jjP12ihipStream_tbEUlT_E2_NS1_11comp_targetILNS1_3genE10ELNS1_11target_archE1200ELNS1_3gpuE4ELNS1_3repE0EEENS1_30default_config_static_selectorELNS0_4arch9wavefront6targetE1EEEvSK_,comdat
	.globl	_ZN7rocprim17ROCPRIM_400000_NS6detail17trampoline_kernelINS0_14default_configENS1_36segmented_radix_sort_config_selectorIdlEEZNS1_25segmented_radix_sort_implIS3_Lb1EPKdPdPKlPlN2at6native12_GLOBAL__N_18offset_tEEE10hipError_tPvRmT1_PNSt15iterator_traitsISK_E10value_typeET2_T3_PNSL_ISQ_E10value_typeET4_jRbjT5_SW_jjP12ihipStream_tbEUlT_E2_NS1_11comp_targetILNS1_3genE10ELNS1_11target_archE1200ELNS1_3gpuE4ELNS1_3repE0EEENS1_30default_config_static_selectorELNS0_4arch9wavefront6targetE1EEEvSK_ ; -- Begin function _ZN7rocprim17ROCPRIM_400000_NS6detail17trampoline_kernelINS0_14default_configENS1_36segmented_radix_sort_config_selectorIdlEEZNS1_25segmented_radix_sort_implIS3_Lb1EPKdPdPKlPlN2at6native12_GLOBAL__N_18offset_tEEE10hipError_tPvRmT1_PNSt15iterator_traitsISK_E10value_typeET2_T3_PNSL_ISQ_E10value_typeET4_jRbjT5_SW_jjP12ihipStream_tbEUlT_E2_NS1_11comp_targetILNS1_3genE10ELNS1_11target_archE1200ELNS1_3gpuE4ELNS1_3repE0EEENS1_30default_config_static_selectorELNS0_4arch9wavefront6targetE1EEEvSK_
	.p2align	8
	.type	_ZN7rocprim17ROCPRIM_400000_NS6detail17trampoline_kernelINS0_14default_configENS1_36segmented_radix_sort_config_selectorIdlEEZNS1_25segmented_radix_sort_implIS3_Lb1EPKdPdPKlPlN2at6native12_GLOBAL__N_18offset_tEEE10hipError_tPvRmT1_PNSt15iterator_traitsISK_E10value_typeET2_T3_PNSL_ISQ_E10value_typeET4_jRbjT5_SW_jjP12ihipStream_tbEUlT_E2_NS1_11comp_targetILNS1_3genE10ELNS1_11target_archE1200ELNS1_3gpuE4ELNS1_3repE0EEENS1_30default_config_static_selectorELNS0_4arch9wavefront6targetE1EEEvSK_,@function
_ZN7rocprim17ROCPRIM_400000_NS6detail17trampoline_kernelINS0_14default_configENS1_36segmented_radix_sort_config_selectorIdlEEZNS1_25segmented_radix_sort_implIS3_Lb1EPKdPdPKlPlN2at6native12_GLOBAL__N_18offset_tEEE10hipError_tPvRmT1_PNSt15iterator_traitsISK_E10value_typeET2_T3_PNSL_ISQ_E10value_typeET4_jRbjT5_SW_jjP12ihipStream_tbEUlT_E2_NS1_11comp_targetILNS1_3genE10ELNS1_11target_archE1200ELNS1_3gpuE4ELNS1_3repE0EEENS1_30default_config_static_selectorELNS0_4arch9wavefront6targetE1EEEvSK_: ; @_ZN7rocprim17ROCPRIM_400000_NS6detail17trampoline_kernelINS0_14default_configENS1_36segmented_radix_sort_config_selectorIdlEEZNS1_25segmented_radix_sort_implIS3_Lb1EPKdPdPKlPlN2at6native12_GLOBAL__N_18offset_tEEE10hipError_tPvRmT1_PNSt15iterator_traitsISK_E10value_typeET2_T3_PNSL_ISQ_E10value_typeET4_jRbjT5_SW_jjP12ihipStream_tbEUlT_E2_NS1_11comp_targetILNS1_3genE10ELNS1_11target_archE1200ELNS1_3gpuE4ELNS1_3repE0EEENS1_30default_config_static_selectorELNS0_4arch9wavefront6targetE1EEEvSK_
; %bb.0:
	.section	.rodata,"a",@progbits
	.p2align	6, 0x0
	.amdhsa_kernel _ZN7rocprim17ROCPRIM_400000_NS6detail17trampoline_kernelINS0_14default_configENS1_36segmented_radix_sort_config_selectorIdlEEZNS1_25segmented_radix_sort_implIS3_Lb1EPKdPdPKlPlN2at6native12_GLOBAL__N_18offset_tEEE10hipError_tPvRmT1_PNSt15iterator_traitsISK_E10value_typeET2_T3_PNSL_ISQ_E10value_typeET4_jRbjT5_SW_jjP12ihipStream_tbEUlT_E2_NS1_11comp_targetILNS1_3genE10ELNS1_11target_archE1200ELNS1_3gpuE4ELNS1_3repE0EEENS1_30default_config_static_selectorELNS0_4arch9wavefront6targetE1EEEvSK_
		.amdhsa_group_segment_fixed_size 0
		.amdhsa_private_segment_fixed_size 0
		.amdhsa_kernarg_size 80
		.amdhsa_user_sgpr_count 6
		.amdhsa_user_sgpr_private_segment_buffer 1
		.amdhsa_user_sgpr_dispatch_ptr 0
		.amdhsa_user_sgpr_queue_ptr 0
		.amdhsa_user_sgpr_kernarg_segment_ptr 1
		.amdhsa_user_sgpr_dispatch_id 0
		.amdhsa_user_sgpr_flat_scratch_init 0
		.amdhsa_user_sgpr_private_segment_size 0
		.amdhsa_uses_dynamic_stack 0
		.amdhsa_system_sgpr_private_segment_wavefront_offset 0
		.amdhsa_system_sgpr_workgroup_id_x 1
		.amdhsa_system_sgpr_workgroup_id_y 0
		.amdhsa_system_sgpr_workgroup_id_z 0
		.amdhsa_system_sgpr_workgroup_info 0
		.amdhsa_system_vgpr_workitem_id 0
		.amdhsa_next_free_vgpr 1
		.amdhsa_next_free_sgpr 0
		.amdhsa_reserve_vcc 0
		.amdhsa_reserve_flat_scratch 0
		.amdhsa_float_round_mode_32 0
		.amdhsa_float_round_mode_16_64 0
		.amdhsa_float_denorm_mode_32 3
		.amdhsa_float_denorm_mode_16_64 3
		.amdhsa_dx10_clamp 1
		.amdhsa_ieee_mode 1
		.amdhsa_fp16_overflow 0
		.amdhsa_exception_fp_ieee_invalid_op 0
		.amdhsa_exception_fp_denorm_src 0
		.amdhsa_exception_fp_ieee_div_zero 0
		.amdhsa_exception_fp_ieee_overflow 0
		.amdhsa_exception_fp_ieee_underflow 0
		.amdhsa_exception_fp_ieee_inexact 0
		.amdhsa_exception_int_div_zero 0
	.end_amdhsa_kernel
	.section	.text._ZN7rocprim17ROCPRIM_400000_NS6detail17trampoline_kernelINS0_14default_configENS1_36segmented_radix_sort_config_selectorIdlEEZNS1_25segmented_radix_sort_implIS3_Lb1EPKdPdPKlPlN2at6native12_GLOBAL__N_18offset_tEEE10hipError_tPvRmT1_PNSt15iterator_traitsISK_E10value_typeET2_T3_PNSL_ISQ_E10value_typeET4_jRbjT5_SW_jjP12ihipStream_tbEUlT_E2_NS1_11comp_targetILNS1_3genE10ELNS1_11target_archE1200ELNS1_3gpuE4ELNS1_3repE0EEENS1_30default_config_static_selectorELNS0_4arch9wavefront6targetE1EEEvSK_,"axG",@progbits,_ZN7rocprim17ROCPRIM_400000_NS6detail17trampoline_kernelINS0_14default_configENS1_36segmented_radix_sort_config_selectorIdlEEZNS1_25segmented_radix_sort_implIS3_Lb1EPKdPdPKlPlN2at6native12_GLOBAL__N_18offset_tEEE10hipError_tPvRmT1_PNSt15iterator_traitsISK_E10value_typeET2_T3_PNSL_ISQ_E10value_typeET4_jRbjT5_SW_jjP12ihipStream_tbEUlT_E2_NS1_11comp_targetILNS1_3genE10ELNS1_11target_archE1200ELNS1_3gpuE4ELNS1_3repE0EEENS1_30default_config_static_selectorELNS0_4arch9wavefront6targetE1EEEvSK_,comdat
.Lfunc_end1154:
	.size	_ZN7rocprim17ROCPRIM_400000_NS6detail17trampoline_kernelINS0_14default_configENS1_36segmented_radix_sort_config_selectorIdlEEZNS1_25segmented_radix_sort_implIS3_Lb1EPKdPdPKlPlN2at6native12_GLOBAL__N_18offset_tEEE10hipError_tPvRmT1_PNSt15iterator_traitsISK_E10value_typeET2_T3_PNSL_ISQ_E10value_typeET4_jRbjT5_SW_jjP12ihipStream_tbEUlT_E2_NS1_11comp_targetILNS1_3genE10ELNS1_11target_archE1200ELNS1_3gpuE4ELNS1_3repE0EEENS1_30default_config_static_selectorELNS0_4arch9wavefront6targetE1EEEvSK_, .Lfunc_end1154-_ZN7rocprim17ROCPRIM_400000_NS6detail17trampoline_kernelINS0_14default_configENS1_36segmented_radix_sort_config_selectorIdlEEZNS1_25segmented_radix_sort_implIS3_Lb1EPKdPdPKlPlN2at6native12_GLOBAL__N_18offset_tEEE10hipError_tPvRmT1_PNSt15iterator_traitsISK_E10value_typeET2_T3_PNSL_ISQ_E10value_typeET4_jRbjT5_SW_jjP12ihipStream_tbEUlT_E2_NS1_11comp_targetILNS1_3genE10ELNS1_11target_archE1200ELNS1_3gpuE4ELNS1_3repE0EEENS1_30default_config_static_selectorELNS0_4arch9wavefront6targetE1EEEvSK_
                                        ; -- End function
	.set _ZN7rocprim17ROCPRIM_400000_NS6detail17trampoline_kernelINS0_14default_configENS1_36segmented_radix_sort_config_selectorIdlEEZNS1_25segmented_radix_sort_implIS3_Lb1EPKdPdPKlPlN2at6native12_GLOBAL__N_18offset_tEEE10hipError_tPvRmT1_PNSt15iterator_traitsISK_E10value_typeET2_T3_PNSL_ISQ_E10value_typeET4_jRbjT5_SW_jjP12ihipStream_tbEUlT_E2_NS1_11comp_targetILNS1_3genE10ELNS1_11target_archE1200ELNS1_3gpuE4ELNS1_3repE0EEENS1_30default_config_static_selectorELNS0_4arch9wavefront6targetE1EEEvSK_.num_vgpr, 0
	.set _ZN7rocprim17ROCPRIM_400000_NS6detail17trampoline_kernelINS0_14default_configENS1_36segmented_radix_sort_config_selectorIdlEEZNS1_25segmented_radix_sort_implIS3_Lb1EPKdPdPKlPlN2at6native12_GLOBAL__N_18offset_tEEE10hipError_tPvRmT1_PNSt15iterator_traitsISK_E10value_typeET2_T3_PNSL_ISQ_E10value_typeET4_jRbjT5_SW_jjP12ihipStream_tbEUlT_E2_NS1_11comp_targetILNS1_3genE10ELNS1_11target_archE1200ELNS1_3gpuE4ELNS1_3repE0EEENS1_30default_config_static_selectorELNS0_4arch9wavefront6targetE1EEEvSK_.num_agpr, 0
	.set _ZN7rocprim17ROCPRIM_400000_NS6detail17trampoline_kernelINS0_14default_configENS1_36segmented_radix_sort_config_selectorIdlEEZNS1_25segmented_radix_sort_implIS3_Lb1EPKdPdPKlPlN2at6native12_GLOBAL__N_18offset_tEEE10hipError_tPvRmT1_PNSt15iterator_traitsISK_E10value_typeET2_T3_PNSL_ISQ_E10value_typeET4_jRbjT5_SW_jjP12ihipStream_tbEUlT_E2_NS1_11comp_targetILNS1_3genE10ELNS1_11target_archE1200ELNS1_3gpuE4ELNS1_3repE0EEENS1_30default_config_static_selectorELNS0_4arch9wavefront6targetE1EEEvSK_.numbered_sgpr, 0
	.set _ZN7rocprim17ROCPRIM_400000_NS6detail17trampoline_kernelINS0_14default_configENS1_36segmented_radix_sort_config_selectorIdlEEZNS1_25segmented_radix_sort_implIS3_Lb1EPKdPdPKlPlN2at6native12_GLOBAL__N_18offset_tEEE10hipError_tPvRmT1_PNSt15iterator_traitsISK_E10value_typeET2_T3_PNSL_ISQ_E10value_typeET4_jRbjT5_SW_jjP12ihipStream_tbEUlT_E2_NS1_11comp_targetILNS1_3genE10ELNS1_11target_archE1200ELNS1_3gpuE4ELNS1_3repE0EEENS1_30default_config_static_selectorELNS0_4arch9wavefront6targetE1EEEvSK_.num_named_barrier, 0
	.set _ZN7rocprim17ROCPRIM_400000_NS6detail17trampoline_kernelINS0_14default_configENS1_36segmented_radix_sort_config_selectorIdlEEZNS1_25segmented_radix_sort_implIS3_Lb1EPKdPdPKlPlN2at6native12_GLOBAL__N_18offset_tEEE10hipError_tPvRmT1_PNSt15iterator_traitsISK_E10value_typeET2_T3_PNSL_ISQ_E10value_typeET4_jRbjT5_SW_jjP12ihipStream_tbEUlT_E2_NS1_11comp_targetILNS1_3genE10ELNS1_11target_archE1200ELNS1_3gpuE4ELNS1_3repE0EEENS1_30default_config_static_selectorELNS0_4arch9wavefront6targetE1EEEvSK_.private_seg_size, 0
	.set _ZN7rocprim17ROCPRIM_400000_NS6detail17trampoline_kernelINS0_14default_configENS1_36segmented_radix_sort_config_selectorIdlEEZNS1_25segmented_radix_sort_implIS3_Lb1EPKdPdPKlPlN2at6native12_GLOBAL__N_18offset_tEEE10hipError_tPvRmT1_PNSt15iterator_traitsISK_E10value_typeET2_T3_PNSL_ISQ_E10value_typeET4_jRbjT5_SW_jjP12ihipStream_tbEUlT_E2_NS1_11comp_targetILNS1_3genE10ELNS1_11target_archE1200ELNS1_3gpuE4ELNS1_3repE0EEENS1_30default_config_static_selectorELNS0_4arch9wavefront6targetE1EEEvSK_.uses_vcc, 0
	.set _ZN7rocprim17ROCPRIM_400000_NS6detail17trampoline_kernelINS0_14default_configENS1_36segmented_radix_sort_config_selectorIdlEEZNS1_25segmented_radix_sort_implIS3_Lb1EPKdPdPKlPlN2at6native12_GLOBAL__N_18offset_tEEE10hipError_tPvRmT1_PNSt15iterator_traitsISK_E10value_typeET2_T3_PNSL_ISQ_E10value_typeET4_jRbjT5_SW_jjP12ihipStream_tbEUlT_E2_NS1_11comp_targetILNS1_3genE10ELNS1_11target_archE1200ELNS1_3gpuE4ELNS1_3repE0EEENS1_30default_config_static_selectorELNS0_4arch9wavefront6targetE1EEEvSK_.uses_flat_scratch, 0
	.set _ZN7rocprim17ROCPRIM_400000_NS6detail17trampoline_kernelINS0_14default_configENS1_36segmented_radix_sort_config_selectorIdlEEZNS1_25segmented_radix_sort_implIS3_Lb1EPKdPdPKlPlN2at6native12_GLOBAL__N_18offset_tEEE10hipError_tPvRmT1_PNSt15iterator_traitsISK_E10value_typeET2_T3_PNSL_ISQ_E10value_typeET4_jRbjT5_SW_jjP12ihipStream_tbEUlT_E2_NS1_11comp_targetILNS1_3genE10ELNS1_11target_archE1200ELNS1_3gpuE4ELNS1_3repE0EEENS1_30default_config_static_selectorELNS0_4arch9wavefront6targetE1EEEvSK_.has_dyn_sized_stack, 0
	.set _ZN7rocprim17ROCPRIM_400000_NS6detail17trampoline_kernelINS0_14default_configENS1_36segmented_radix_sort_config_selectorIdlEEZNS1_25segmented_radix_sort_implIS3_Lb1EPKdPdPKlPlN2at6native12_GLOBAL__N_18offset_tEEE10hipError_tPvRmT1_PNSt15iterator_traitsISK_E10value_typeET2_T3_PNSL_ISQ_E10value_typeET4_jRbjT5_SW_jjP12ihipStream_tbEUlT_E2_NS1_11comp_targetILNS1_3genE10ELNS1_11target_archE1200ELNS1_3gpuE4ELNS1_3repE0EEENS1_30default_config_static_selectorELNS0_4arch9wavefront6targetE1EEEvSK_.has_recursion, 0
	.set _ZN7rocprim17ROCPRIM_400000_NS6detail17trampoline_kernelINS0_14default_configENS1_36segmented_radix_sort_config_selectorIdlEEZNS1_25segmented_radix_sort_implIS3_Lb1EPKdPdPKlPlN2at6native12_GLOBAL__N_18offset_tEEE10hipError_tPvRmT1_PNSt15iterator_traitsISK_E10value_typeET2_T3_PNSL_ISQ_E10value_typeET4_jRbjT5_SW_jjP12ihipStream_tbEUlT_E2_NS1_11comp_targetILNS1_3genE10ELNS1_11target_archE1200ELNS1_3gpuE4ELNS1_3repE0EEENS1_30default_config_static_selectorELNS0_4arch9wavefront6targetE1EEEvSK_.has_indirect_call, 0
	.section	.AMDGPU.csdata,"",@progbits
; Kernel info:
; codeLenInByte = 0
; TotalNumSgprs: 4
; NumVgprs: 0
; ScratchSize: 0
; MemoryBound: 0
; FloatMode: 240
; IeeeMode: 1
; LDSByteSize: 0 bytes/workgroup (compile time only)
; SGPRBlocks: 0
; VGPRBlocks: 0
; NumSGPRsForWavesPerEU: 4
; NumVGPRsForWavesPerEU: 1
; Occupancy: 10
; WaveLimiterHint : 0
; COMPUTE_PGM_RSRC2:SCRATCH_EN: 0
; COMPUTE_PGM_RSRC2:USER_SGPR: 6
; COMPUTE_PGM_RSRC2:TRAP_HANDLER: 0
; COMPUTE_PGM_RSRC2:TGID_X_EN: 1
; COMPUTE_PGM_RSRC2:TGID_Y_EN: 0
; COMPUTE_PGM_RSRC2:TGID_Z_EN: 0
; COMPUTE_PGM_RSRC2:TIDIG_COMP_CNT: 0
	.section	.text._ZN7rocprim17ROCPRIM_400000_NS6detail17trampoline_kernelINS0_14default_configENS1_36segmented_radix_sort_config_selectorIdlEEZNS1_25segmented_radix_sort_implIS3_Lb1EPKdPdPKlPlN2at6native12_GLOBAL__N_18offset_tEEE10hipError_tPvRmT1_PNSt15iterator_traitsISK_E10value_typeET2_T3_PNSL_ISQ_E10value_typeET4_jRbjT5_SW_jjP12ihipStream_tbEUlT_E2_NS1_11comp_targetILNS1_3genE9ELNS1_11target_archE1100ELNS1_3gpuE3ELNS1_3repE0EEENS1_30default_config_static_selectorELNS0_4arch9wavefront6targetE1EEEvSK_,"axG",@progbits,_ZN7rocprim17ROCPRIM_400000_NS6detail17trampoline_kernelINS0_14default_configENS1_36segmented_radix_sort_config_selectorIdlEEZNS1_25segmented_radix_sort_implIS3_Lb1EPKdPdPKlPlN2at6native12_GLOBAL__N_18offset_tEEE10hipError_tPvRmT1_PNSt15iterator_traitsISK_E10value_typeET2_T3_PNSL_ISQ_E10value_typeET4_jRbjT5_SW_jjP12ihipStream_tbEUlT_E2_NS1_11comp_targetILNS1_3genE9ELNS1_11target_archE1100ELNS1_3gpuE3ELNS1_3repE0EEENS1_30default_config_static_selectorELNS0_4arch9wavefront6targetE1EEEvSK_,comdat
	.globl	_ZN7rocprim17ROCPRIM_400000_NS6detail17trampoline_kernelINS0_14default_configENS1_36segmented_radix_sort_config_selectorIdlEEZNS1_25segmented_radix_sort_implIS3_Lb1EPKdPdPKlPlN2at6native12_GLOBAL__N_18offset_tEEE10hipError_tPvRmT1_PNSt15iterator_traitsISK_E10value_typeET2_T3_PNSL_ISQ_E10value_typeET4_jRbjT5_SW_jjP12ihipStream_tbEUlT_E2_NS1_11comp_targetILNS1_3genE9ELNS1_11target_archE1100ELNS1_3gpuE3ELNS1_3repE0EEENS1_30default_config_static_selectorELNS0_4arch9wavefront6targetE1EEEvSK_ ; -- Begin function _ZN7rocprim17ROCPRIM_400000_NS6detail17trampoline_kernelINS0_14default_configENS1_36segmented_radix_sort_config_selectorIdlEEZNS1_25segmented_radix_sort_implIS3_Lb1EPKdPdPKlPlN2at6native12_GLOBAL__N_18offset_tEEE10hipError_tPvRmT1_PNSt15iterator_traitsISK_E10value_typeET2_T3_PNSL_ISQ_E10value_typeET4_jRbjT5_SW_jjP12ihipStream_tbEUlT_E2_NS1_11comp_targetILNS1_3genE9ELNS1_11target_archE1100ELNS1_3gpuE3ELNS1_3repE0EEENS1_30default_config_static_selectorELNS0_4arch9wavefront6targetE1EEEvSK_
	.p2align	8
	.type	_ZN7rocprim17ROCPRIM_400000_NS6detail17trampoline_kernelINS0_14default_configENS1_36segmented_radix_sort_config_selectorIdlEEZNS1_25segmented_radix_sort_implIS3_Lb1EPKdPdPKlPlN2at6native12_GLOBAL__N_18offset_tEEE10hipError_tPvRmT1_PNSt15iterator_traitsISK_E10value_typeET2_T3_PNSL_ISQ_E10value_typeET4_jRbjT5_SW_jjP12ihipStream_tbEUlT_E2_NS1_11comp_targetILNS1_3genE9ELNS1_11target_archE1100ELNS1_3gpuE3ELNS1_3repE0EEENS1_30default_config_static_selectorELNS0_4arch9wavefront6targetE1EEEvSK_,@function
_ZN7rocprim17ROCPRIM_400000_NS6detail17trampoline_kernelINS0_14default_configENS1_36segmented_radix_sort_config_selectorIdlEEZNS1_25segmented_radix_sort_implIS3_Lb1EPKdPdPKlPlN2at6native12_GLOBAL__N_18offset_tEEE10hipError_tPvRmT1_PNSt15iterator_traitsISK_E10value_typeET2_T3_PNSL_ISQ_E10value_typeET4_jRbjT5_SW_jjP12ihipStream_tbEUlT_E2_NS1_11comp_targetILNS1_3genE9ELNS1_11target_archE1100ELNS1_3gpuE3ELNS1_3repE0EEENS1_30default_config_static_selectorELNS0_4arch9wavefront6targetE1EEEvSK_: ; @_ZN7rocprim17ROCPRIM_400000_NS6detail17trampoline_kernelINS0_14default_configENS1_36segmented_radix_sort_config_selectorIdlEEZNS1_25segmented_radix_sort_implIS3_Lb1EPKdPdPKlPlN2at6native12_GLOBAL__N_18offset_tEEE10hipError_tPvRmT1_PNSt15iterator_traitsISK_E10value_typeET2_T3_PNSL_ISQ_E10value_typeET4_jRbjT5_SW_jjP12ihipStream_tbEUlT_E2_NS1_11comp_targetILNS1_3genE9ELNS1_11target_archE1100ELNS1_3gpuE3ELNS1_3repE0EEENS1_30default_config_static_selectorELNS0_4arch9wavefront6targetE1EEEvSK_
; %bb.0:
	.section	.rodata,"a",@progbits
	.p2align	6, 0x0
	.amdhsa_kernel _ZN7rocprim17ROCPRIM_400000_NS6detail17trampoline_kernelINS0_14default_configENS1_36segmented_radix_sort_config_selectorIdlEEZNS1_25segmented_radix_sort_implIS3_Lb1EPKdPdPKlPlN2at6native12_GLOBAL__N_18offset_tEEE10hipError_tPvRmT1_PNSt15iterator_traitsISK_E10value_typeET2_T3_PNSL_ISQ_E10value_typeET4_jRbjT5_SW_jjP12ihipStream_tbEUlT_E2_NS1_11comp_targetILNS1_3genE9ELNS1_11target_archE1100ELNS1_3gpuE3ELNS1_3repE0EEENS1_30default_config_static_selectorELNS0_4arch9wavefront6targetE1EEEvSK_
		.amdhsa_group_segment_fixed_size 0
		.amdhsa_private_segment_fixed_size 0
		.amdhsa_kernarg_size 80
		.amdhsa_user_sgpr_count 6
		.amdhsa_user_sgpr_private_segment_buffer 1
		.amdhsa_user_sgpr_dispatch_ptr 0
		.amdhsa_user_sgpr_queue_ptr 0
		.amdhsa_user_sgpr_kernarg_segment_ptr 1
		.amdhsa_user_sgpr_dispatch_id 0
		.amdhsa_user_sgpr_flat_scratch_init 0
		.amdhsa_user_sgpr_private_segment_size 0
		.amdhsa_uses_dynamic_stack 0
		.amdhsa_system_sgpr_private_segment_wavefront_offset 0
		.amdhsa_system_sgpr_workgroup_id_x 1
		.amdhsa_system_sgpr_workgroup_id_y 0
		.amdhsa_system_sgpr_workgroup_id_z 0
		.amdhsa_system_sgpr_workgroup_info 0
		.amdhsa_system_vgpr_workitem_id 0
		.amdhsa_next_free_vgpr 1
		.amdhsa_next_free_sgpr 0
		.amdhsa_reserve_vcc 0
		.amdhsa_reserve_flat_scratch 0
		.amdhsa_float_round_mode_32 0
		.amdhsa_float_round_mode_16_64 0
		.amdhsa_float_denorm_mode_32 3
		.amdhsa_float_denorm_mode_16_64 3
		.amdhsa_dx10_clamp 1
		.amdhsa_ieee_mode 1
		.amdhsa_fp16_overflow 0
		.amdhsa_exception_fp_ieee_invalid_op 0
		.amdhsa_exception_fp_denorm_src 0
		.amdhsa_exception_fp_ieee_div_zero 0
		.amdhsa_exception_fp_ieee_overflow 0
		.amdhsa_exception_fp_ieee_underflow 0
		.amdhsa_exception_fp_ieee_inexact 0
		.amdhsa_exception_int_div_zero 0
	.end_amdhsa_kernel
	.section	.text._ZN7rocprim17ROCPRIM_400000_NS6detail17trampoline_kernelINS0_14default_configENS1_36segmented_radix_sort_config_selectorIdlEEZNS1_25segmented_radix_sort_implIS3_Lb1EPKdPdPKlPlN2at6native12_GLOBAL__N_18offset_tEEE10hipError_tPvRmT1_PNSt15iterator_traitsISK_E10value_typeET2_T3_PNSL_ISQ_E10value_typeET4_jRbjT5_SW_jjP12ihipStream_tbEUlT_E2_NS1_11comp_targetILNS1_3genE9ELNS1_11target_archE1100ELNS1_3gpuE3ELNS1_3repE0EEENS1_30default_config_static_selectorELNS0_4arch9wavefront6targetE1EEEvSK_,"axG",@progbits,_ZN7rocprim17ROCPRIM_400000_NS6detail17trampoline_kernelINS0_14default_configENS1_36segmented_radix_sort_config_selectorIdlEEZNS1_25segmented_radix_sort_implIS3_Lb1EPKdPdPKlPlN2at6native12_GLOBAL__N_18offset_tEEE10hipError_tPvRmT1_PNSt15iterator_traitsISK_E10value_typeET2_T3_PNSL_ISQ_E10value_typeET4_jRbjT5_SW_jjP12ihipStream_tbEUlT_E2_NS1_11comp_targetILNS1_3genE9ELNS1_11target_archE1100ELNS1_3gpuE3ELNS1_3repE0EEENS1_30default_config_static_selectorELNS0_4arch9wavefront6targetE1EEEvSK_,comdat
.Lfunc_end1155:
	.size	_ZN7rocprim17ROCPRIM_400000_NS6detail17trampoline_kernelINS0_14default_configENS1_36segmented_radix_sort_config_selectorIdlEEZNS1_25segmented_radix_sort_implIS3_Lb1EPKdPdPKlPlN2at6native12_GLOBAL__N_18offset_tEEE10hipError_tPvRmT1_PNSt15iterator_traitsISK_E10value_typeET2_T3_PNSL_ISQ_E10value_typeET4_jRbjT5_SW_jjP12ihipStream_tbEUlT_E2_NS1_11comp_targetILNS1_3genE9ELNS1_11target_archE1100ELNS1_3gpuE3ELNS1_3repE0EEENS1_30default_config_static_selectorELNS0_4arch9wavefront6targetE1EEEvSK_, .Lfunc_end1155-_ZN7rocprim17ROCPRIM_400000_NS6detail17trampoline_kernelINS0_14default_configENS1_36segmented_radix_sort_config_selectorIdlEEZNS1_25segmented_radix_sort_implIS3_Lb1EPKdPdPKlPlN2at6native12_GLOBAL__N_18offset_tEEE10hipError_tPvRmT1_PNSt15iterator_traitsISK_E10value_typeET2_T3_PNSL_ISQ_E10value_typeET4_jRbjT5_SW_jjP12ihipStream_tbEUlT_E2_NS1_11comp_targetILNS1_3genE9ELNS1_11target_archE1100ELNS1_3gpuE3ELNS1_3repE0EEENS1_30default_config_static_selectorELNS0_4arch9wavefront6targetE1EEEvSK_
                                        ; -- End function
	.set _ZN7rocprim17ROCPRIM_400000_NS6detail17trampoline_kernelINS0_14default_configENS1_36segmented_radix_sort_config_selectorIdlEEZNS1_25segmented_radix_sort_implIS3_Lb1EPKdPdPKlPlN2at6native12_GLOBAL__N_18offset_tEEE10hipError_tPvRmT1_PNSt15iterator_traitsISK_E10value_typeET2_T3_PNSL_ISQ_E10value_typeET4_jRbjT5_SW_jjP12ihipStream_tbEUlT_E2_NS1_11comp_targetILNS1_3genE9ELNS1_11target_archE1100ELNS1_3gpuE3ELNS1_3repE0EEENS1_30default_config_static_selectorELNS0_4arch9wavefront6targetE1EEEvSK_.num_vgpr, 0
	.set _ZN7rocprim17ROCPRIM_400000_NS6detail17trampoline_kernelINS0_14default_configENS1_36segmented_radix_sort_config_selectorIdlEEZNS1_25segmented_radix_sort_implIS3_Lb1EPKdPdPKlPlN2at6native12_GLOBAL__N_18offset_tEEE10hipError_tPvRmT1_PNSt15iterator_traitsISK_E10value_typeET2_T3_PNSL_ISQ_E10value_typeET4_jRbjT5_SW_jjP12ihipStream_tbEUlT_E2_NS1_11comp_targetILNS1_3genE9ELNS1_11target_archE1100ELNS1_3gpuE3ELNS1_3repE0EEENS1_30default_config_static_selectorELNS0_4arch9wavefront6targetE1EEEvSK_.num_agpr, 0
	.set _ZN7rocprim17ROCPRIM_400000_NS6detail17trampoline_kernelINS0_14default_configENS1_36segmented_radix_sort_config_selectorIdlEEZNS1_25segmented_radix_sort_implIS3_Lb1EPKdPdPKlPlN2at6native12_GLOBAL__N_18offset_tEEE10hipError_tPvRmT1_PNSt15iterator_traitsISK_E10value_typeET2_T3_PNSL_ISQ_E10value_typeET4_jRbjT5_SW_jjP12ihipStream_tbEUlT_E2_NS1_11comp_targetILNS1_3genE9ELNS1_11target_archE1100ELNS1_3gpuE3ELNS1_3repE0EEENS1_30default_config_static_selectorELNS0_4arch9wavefront6targetE1EEEvSK_.numbered_sgpr, 0
	.set _ZN7rocprim17ROCPRIM_400000_NS6detail17trampoline_kernelINS0_14default_configENS1_36segmented_radix_sort_config_selectorIdlEEZNS1_25segmented_radix_sort_implIS3_Lb1EPKdPdPKlPlN2at6native12_GLOBAL__N_18offset_tEEE10hipError_tPvRmT1_PNSt15iterator_traitsISK_E10value_typeET2_T3_PNSL_ISQ_E10value_typeET4_jRbjT5_SW_jjP12ihipStream_tbEUlT_E2_NS1_11comp_targetILNS1_3genE9ELNS1_11target_archE1100ELNS1_3gpuE3ELNS1_3repE0EEENS1_30default_config_static_selectorELNS0_4arch9wavefront6targetE1EEEvSK_.num_named_barrier, 0
	.set _ZN7rocprim17ROCPRIM_400000_NS6detail17trampoline_kernelINS0_14default_configENS1_36segmented_radix_sort_config_selectorIdlEEZNS1_25segmented_radix_sort_implIS3_Lb1EPKdPdPKlPlN2at6native12_GLOBAL__N_18offset_tEEE10hipError_tPvRmT1_PNSt15iterator_traitsISK_E10value_typeET2_T3_PNSL_ISQ_E10value_typeET4_jRbjT5_SW_jjP12ihipStream_tbEUlT_E2_NS1_11comp_targetILNS1_3genE9ELNS1_11target_archE1100ELNS1_3gpuE3ELNS1_3repE0EEENS1_30default_config_static_selectorELNS0_4arch9wavefront6targetE1EEEvSK_.private_seg_size, 0
	.set _ZN7rocprim17ROCPRIM_400000_NS6detail17trampoline_kernelINS0_14default_configENS1_36segmented_radix_sort_config_selectorIdlEEZNS1_25segmented_radix_sort_implIS3_Lb1EPKdPdPKlPlN2at6native12_GLOBAL__N_18offset_tEEE10hipError_tPvRmT1_PNSt15iterator_traitsISK_E10value_typeET2_T3_PNSL_ISQ_E10value_typeET4_jRbjT5_SW_jjP12ihipStream_tbEUlT_E2_NS1_11comp_targetILNS1_3genE9ELNS1_11target_archE1100ELNS1_3gpuE3ELNS1_3repE0EEENS1_30default_config_static_selectorELNS0_4arch9wavefront6targetE1EEEvSK_.uses_vcc, 0
	.set _ZN7rocprim17ROCPRIM_400000_NS6detail17trampoline_kernelINS0_14default_configENS1_36segmented_radix_sort_config_selectorIdlEEZNS1_25segmented_radix_sort_implIS3_Lb1EPKdPdPKlPlN2at6native12_GLOBAL__N_18offset_tEEE10hipError_tPvRmT1_PNSt15iterator_traitsISK_E10value_typeET2_T3_PNSL_ISQ_E10value_typeET4_jRbjT5_SW_jjP12ihipStream_tbEUlT_E2_NS1_11comp_targetILNS1_3genE9ELNS1_11target_archE1100ELNS1_3gpuE3ELNS1_3repE0EEENS1_30default_config_static_selectorELNS0_4arch9wavefront6targetE1EEEvSK_.uses_flat_scratch, 0
	.set _ZN7rocprim17ROCPRIM_400000_NS6detail17trampoline_kernelINS0_14default_configENS1_36segmented_radix_sort_config_selectorIdlEEZNS1_25segmented_radix_sort_implIS3_Lb1EPKdPdPKlPlN2at6native12_GLOBAL__N_18offset_tEEE10hipError_tPvRmT1_PNSt15iterator_traitsISK_E10value_typeET2_T3_PNSL_ISQ_E10value_typeET4_jRbjT5_SW_jjP12ihipStream_tbEUlT_E2_NS1_11comp_targetILNS1_3genE9ELNS1_11target_archE1100ELNS1_3gpuE3ELNS1_3repE0EEENS1_30default_config_static_selectorELNS0_4arch9wavefront6targetE1EEEvSK_.has_dyn_sized_stack, 0
	.set _ZN7rocprim17ROCPRIM_400000_NS6detail17trampoline_kernelINS0_14default_configENS1_36segmented_radix_sort_config_selectorIdlEEZNS1_25segmented_radix_sort_implIS3_Lb1EPKdPdPKlPlN2at6native12_GLOBAL__N_18offset_tEEE10hipError_tPvRmT1_PNSt15iterator_traitsISK_E10value_typeET2_T3_PNSL_ISQ_E10value_typeET4_jRbjT5_SW_jjP12ihipStream_tbEUlT_E2_NS1_11comp_targetILNS1_3genE9ELNS1_11target_archE1100ELNS1_3gpuE3ELNS1_3repE0EEENS1_30default_config_static_selectorELNS0_4arch9wavefront6targetE1EEEvSK_.has_recursion, 0
	.set _ZN7rocprim17ROCPRIM_400000_NS6detail17trampoline_kernelINS0_14default_configENS1_36segmented_radix_sort_config_selectorIdlEEZNS1_25segmented_radix_sort_implIS3_Lb1EPKdPdPKlPlN2at6native12_GLOBAL__N_18offset_tEEE10hipError_tPvRmT1_PNSt15iterator_traitsISK_E10value_typeET2_T3_PNSL_ISQ_E10value_typeET4_jRbjT5_SW_jjP12ihipStream_tbEUlT_E2_NS1_11comp_targetILNS1_3genE9ELNS1_11target_archE1100ELNS1_3gpuE3ELNS1_3repE0EEENS1_30default_config_static_selectorELNS0_4arch9wavefront6targetE1EEEvSK_.has_indirect_call, 0
	.section	.AMDGPU.csdata,"",@progbits
; Kernel info:
; codeLenInByte = 0
; TotalNumSgprs: 4
; NumVgprs: 0
; ScratchSize: 0
; MemoryBound: 0
; FloatMode: 240
; IeeeMode: 1
; LDSByteSize: 0 bytes/workgroup (compile time only)
; SGPRBlocks: 0
; VGPRBlocks: 0
; NumSGPRsForWavesPerEU: 4
; NumVGPRsForWavesPerEU: 1
; Occupancy: 10
; WaveLimiterHint : 0
; COMPUTE_PGM_RSRC2:SCRATCH_EN: 0
; COMPUTE_PGM_RSRC2:USER_SGPR: 6
; COMPUTE_PGM_RSRC2:TRAP_HANDLER: 0
; COMPUTE_PGM_RSRC2:TGID_X_EN: 1
; COMPUTE_PGM_RSRC2:TGID_Y_EN: 0
; COMPUTE_PGM_RSRC2:TGID_Z_EN: 0
; COMPUTE_PGM_RSRC2:TIDIG_COMP_CNT: 0
	.section	.text._ZN7rocprim17ROCPRIM_400000_NS6detail17trampoline_kernelINS0_14default_configENS1_36segmented_radix_sort_config_selectorIdlEEZNS1_25segmented_radix_sort_implIS3_Lb1EPKdPdPKlPlN2at6native12_GLOBAL__N_18offset_tEEE10hipError_tPvRmT1_PNSt15iterator_traitsISK_E10value_typeET2_T3_PNSL_ISQ_E10value_typeET4_jRbjT5_SW_jjP12ihipStream_tbEUlT_E2_NS1_11comp_targetILNS1_3genE8ELNS1_11target_archE1030ELNS1_3gpuE2ELNS1_3repE0EEENS1_30default_config_static_selectorELNS0_4arch9wavefront6targetE1EEEvSK_,"axG",@progbits,_ZN7rocprim17ROCPRIM_400000_NS6detail17trampoline_kernelINS0_14default_configENS1_36segmented_radix_sort_config_selectorIdlEEZNS1_25segmented_radix_sort_implIS3_Lb1EPKdPdPKlPlN2at6native12_GLOBAL__N_18offset_tEEE10hipError_tPvRmT1_PNSt15iterator_traitsISK_E10value_typeET2_T3_PNSL_ISQ_E10value_typeET4_jRbjT5_SW_jjP12ihipStream_tbEUlT_E2_NS1_11comp_targetILNS1_3genE8ELNS1_11target_archE1030ELNS1_3gpuE2ELNS1_3repE0EEENS1_30default_config_static_selectorELNS0_4arch9wavefront6targetE1EEEvSK_,comdat
	.globl	_ZN7rocprim17ROCPRIM_400000_NS6detail17trampoline_kernelINS0_14default_configENS1_36segmented_radix_sort_config_selectorIdlEEZNS1_25segmented_radix_sort_implIS3_Lb1EPKdPdPKlPlN2at6native12_GLOBAL__N_18offset_tEEE10hipError_tPvRmT1_PNSt15iterator_traitsISK_E10value_typeET2_T3_PNSL_ISQ_E10value_typeET4_jRbjT5_SW_jjP12ihipStream_tbEUlT_E2_NS1_11comp_targetILNS1_3genE8ELNS1_11target_archE1030ELNS1_3gpuE2ELNS1_3repE0EEENS1_30default_config_static_selectorELNS0_4arch9wavefront6targetE1EEEvSK_ ; -- Begin function _ZN7rocprim17ROCPRIM_400000_NS6detail17trampoline_kernelINS0_14default_configENS1_36segmented_radix_sort_config_selectorIdlEEZNS1_25segmented_radix_sort_implIS3_Lb1EPKdPdPKlPlN2at6native12_GLOBAL__N_18offset_tEEE10hipError_tPvRmT1_PNSt15iterator_traitsISK_E10value_typeET2_T3_PNSL_ISQ_E10value_typeET4_jRbjT5_SW_jjP12ihipStream_tbEUlT_E2_NS1_11comp_targetILNS1_3genE8ELNS1_11target_archE1030ELNS1_3gpuE2ELNS1_3repE0EEENS1_30default_config_static_selectorELNS0_4arch9wavefront6targetE1EEEvSK_
	.p2align	8
	.type	_ZN7rocprim17ROCPRIM_400000_NS6detail17trampoline_kernelINS0_14default_configENS1_36segmented_radix_sort_config_selectorIdlEEZNS1_25segmented_radix_sort_implIS3_Lb1EPKdPdPKlPlN2at6native12_GLOBAL__N_18offset_tEEE10hipError_tPvRmT1_PNSt15iterator_traitsISK_E10value_typeET2_T3_PNSL_ISQ_E10value_typeET4_jRbjT5_SW_jjP12ihipStream_tbEUlT_E2_NS1_11comp_targetILNS1_3genE8ELNS1_11target_archE1030ELNS1_3gpuE2ELNS1_3repE0EEENS1_30default_config_static_selectorELNS0_4arch9wavefront6targetE1EEEvSK_,@function
_ZN7rocprim17ROCPRIM_400000_NS6detail17trampoline_kernelINS0_14default_configENS1_36segmented_radix_sort_config_selectorIdlEEZNS1_25segmented_radix_sort_implIS3_Lb1EPKdPdPKlPlN2at6native12_GLOBAL__N_18offset_tEEE10hipError_tPvRmT1_PNSt15iterator_traitsISK_E10value_typeET2_T3_PNSL_ISQ_E10value_typeET4_jRbjT5_SW_jjP12ihipStream_tbEUlT_E2_NS1_11comp_targetILNS1_3genE8ELNS1_11target_archE1030ELNS1_3gpuE2ELNS1_3repE0EEENS1_30default_config_static_selectorELNS0_4arch9wavefront6targetE1EEEvSK_: ; @_ZN7rocprim17ROCPRIM_400000_NS6detail17trampoline_kernelINS0_14default_configENS1_36segmented_radix_sort_config_selectorIdlEEZNS1_25segmented_radix_sort_implIS3_Lb1EPKdPdPKlPlN2at6native12_GLOBAL__N_18offset_tEEE10hipError_tPvRmT1_PNSt15iterator_traitsISK_E10value_typeET2_T3_PNSL_ISQ_E10value_typeET4_jRbjT5_SW_jjP12ihipStream_tbEUlT_E2_NS1_11comp_targetILNS1_3genE8ELNS1_11target_archE1030ELNS1_3gpuE2ELNS1_3repE0EEENS1_30default_config_static_selectorELNS0_4arch9wavefront6targetE1EEEvSK_
; %bb.0:
	.section	.rodata,"a",@progbits
	.p2align	6, 0x0
	.amdhsa_kernel _ZN7rocprim17ROCPRIM_400000_NS6detail17trampoline_kernelINS0_14default_configENS1_36segmented_radix_sort_config_selectorIdlEEZNS1_25segmented_radix_sort_implIS3_Lb1EPKdPdPKlPlN2at6native12_GLOBAL__N_18offset_tEEE10hipError_tPvRmT1_PNSt15iterator_traitsISK_E10value_typeET2_T3_PNSL_ISQ_E10value_typeET4_jRbjT5_SW_jjP12ihipStream_tbEUlT_E2_NS1_11comp_targetILNS1_3genE8ELNS1_11target_archE1030ELNS1_3gpuE2ELNS1_3repE0EEENS1_30default_config_static_selectorELNS0_4arch9wavefront6targetE1EEEvSK_
		.amdhsa_group_segment_fixed_size 0
		.amdhsa_private_segment_fixed_size 0
		.amdhsa_kernarg_size 80
		.amdhsa_user_sgpr_count 6
		.amdhsa_user_sgpr_private_segment_buffer 1
		.amdhsa_user_sgpr_dispatch_ptr 0
		.amdhsa_user_sgpr_queue_ptr 0
		.amdhsa_user_sgpr_kernarg_segment_ptr 1
		.amdhsa_user_sgpr_dispatch_id 0
		.amdhsa_user_sgpr_flat_scratch_init 0
		.amdhsa_user_sgpr_private_segment_size 0
		.amdhsa_uses_dynamic_stack 0
		.amdhsa_system_sgpr_private_segment_wavefront_offset 0
		.amdhsa_system_sgpr_workgroup_id_x 1
		.amdhsa_system_sgpr_workgroup_id_y 0
		.amdhsa_system_sgpr_workgroup_id_z 0
		.amdhsa_system_sgpr_workgroup_info 0
		.amdhsa_system_vgpr_workitem_id 0
		.amdhsa_next_free_vgpr 1
		.amdhsa_next_free_sgpr 0
		.amdhsa_reserve_vcc 0
		.amdhsa_reserve_flat_scratch 0
		.amdhsa_float_round_mode_32 0
		.amdhsa_float_round_mode_16_64 0
		.amdhsa_float_denorm_mode_32 3
		.amdhsa_float_denorm_mode_16_64 3
		.amdhsa_dx10_clamp 1
		.amdhsa_ieee_mode 1
		.amdhsa_fp16_overflow 0
		.amdhsa_exception_fp_ieee_invalid_op 0
		.amdhsa_exception_fp_denorm_src 0
		.amdhsa_exception_fp_ieee_div_zero 0
		.amdhsa_exception_fp_ieee_overflow 0
		.amdhsa_exception_fp_ieee_underflow 0
		.amdhsa_exception_fp_ieee_inexact 0
		.amdhsa_exception_int_div_zero 0
	.end_amdhsa_kernel
	.section	.text._ZN7rocprim17ROCPRIM_400000_NS6detail17trampoline_kernelINS0_14default_configENS1_36segmented_radix_sort_config_selectorIdlEEZNS1_25segmented_radix_sort_implIS3_Lb1EPKdPdPKlPlN2at6native12_GLOBAL__N_18offset_tEEE10hipError_tPvRmT1_PNSt15iterator_traitsISK_E10value_typeET2_T3_PNSL_ISQ_E10value_typeET4_jRbjT5_SW_jjP12ihipStream_tbEUlT_E2_NS1_11comp_targetILNS1_3genE8ELNS1_11target_archE1030ELNS1_3gpuE2ELNS1_3repE0EEENS1_30default_config_static_selectorELNS0_4arch9wavefront6targetE1EEEvSK_,"axG",@progbits,_ZN7rocprim17ROCPRIM_400000_NS6detail17trampoline_kernelINS0_14default_configENS1_36segmented_radix_sort_config_selectorIdlEEZNS1_25segmented_radix_sort_implIS3_Lb1EPKdPdPKlPlN2at6native12_GLOBAL__N_18offset_tEEE10hipError_tPvRmT1_PNSt15iterator_traitsISK_E10value_typeET2_T3_PNSL_ISQ_E10value_typeET4_jRbjT5_SW_jjP12ihipStream_tbEUlT_E2_NS1_11comp_targetILNS1_3genE8ELNS1_11target_archE1030ELNS1_3gpuE2ELNS1_3repE0EEENS1_30default_config_static_selectorELNS0_4arch9wavefront6targetE1EEEvSK_,comdat
.Lfunc_end1156:
	.size	_ZN7rocprim17ROCPRIM_400000_NS6detail17trampoline_kernelINS0_14default_configENS1_36segmented_radix_sort_config_selectorIdlEEZNS1_25segmented_radix_sort_implIS3_Lb1EPKdPdPKlPlN2at6native12_GLOBAL__N_18offset_tEEE10hipError_tPvRmT1_PNSt15iterator_traitsISK_E10value_typeET2_T3_PNSL_ISQ_E10value_typeET4_jRbjT5_SW_jjP12ihipStream_tbEUlT_E2_NS1_11comp_targetILNS1_3genE8ELNS1_11target_archE1030ELNS1_3gpuE2ELNS1_3repE0EEENS1_30default_config_static_selectorELNS0_4arch9wavefront6targetE1EEEvSK_, .Lfunc_end1156-_ZN7rocprim17ROCPRIM_400000_NS6detail17trampoline_kernelINS0_14default_configENS1_36segmented_radix_sort_config_selectorIdlEEZNS1_25segmented_radix_sort_implIS3_Lb1EPKdPdPKlPlN2at6native12_GLOBAL__N_18offset_tEEE10hipError_tPvRmT1_PNSt15iterator_traitsISK_E10value_typeET2_T3_PNSL_ISQ_E10value_typeET4_jRbjT5_SW_jjP12ihipStream_tbEUlT_E2_NS1_11comp_targetILNS1_3genE8ELNS1_11target_archE1030ELNS1_3gpuE2ELNS1_3repE0EEENS1_30default_config_static_selectorELNS0_4arch9wavefront6targetE1EEEvSK_
                                        ; -- End function
	.set _ZN7rocprim17ROCPRIM_400000_NS6detail17trampoline_kernelINS0_14default_configENS1_36segmented_radix_sort_config_selectorIdlEEZNS1_25segmented_radix_sort_implIS3_Lb1EPKdPdPKlPlN2at6native12_GLOBAL__N_18offset_tEEE10hipError_tPvRmT1_PNSt15iterator_traitsISK_E10value_typeET2_T3_PNSL_ISQ_E10value_typeET4_jRbjT5_SW_jjP12ihipStream_tbEUlT_E2_NS1_11comp_targetILNS1_3genE8ELNS1_11target_archE1030ELNS1_3gpuE2ELNS1_3repE0EEENS1_30default_config_static_selectorELNS0_4arch9wavefront6targetE1EEEvSK_.num_vgpr, 0
	.set _ZN7rocprim17ROCPRIM_400000_NS6detail17trampoline_kernelINS0_14default_configENS1_36segmented_radix_sort_config_selectorIdlEEZNS1_25segmented_radix_sort_implIS3_Lb1EPKdPdPKlPlN2at6native12_GLOBAL__N_18offset_tEEE10hipError_tPvRmT1_PNSt15iterator_traitsISK_E10value_typeET2_T3_PNSL_ISQ_E10value_typeET4_jRbjT5_SW_jjP12ihipStream_tbEUlT_E2_NS1_11comp_targetILNS1_3genE8ELNS1_11target_archE1030ELNS1_3gpuE2ELNS1_3repE0EEENS1_30default_config_static_selectorELNS0_4arch9wavefront6targetE1EEEvSK_.num_agpr, 0
	.set _ZN7rocprim17ROCPRIM_400000_NS6detail17trampoline_kernelINS0_14default_configENS1_36segmented_radix_sort_config_selectorIdlEEZNS1_25segmented_radix_sort_implIS3_Lb1EPKdPdPKlPlN2at6native12_GLOBAL__N_18offset_tEEE10hipError_tPvRmT1_PNSt15iterator_traitsISK_E10value_typeET2_T3_PNSL_ISQ_E10value_typeET4_jRbjT5_SW_jjP12ihipStream_tbEUlT_E2_NS1_11comp_targetILNS1_3genE8ELNS1_11target_archE1030ELNS1_3gpuE2ELNS1_3repE0EEENS1_30default_config_static_selectorELNS0_4arch9wavefront6targetE1EEEvSK_.numbered_sgpr, 0
	.set _ZN7rocprim17ROCPRIM_400000_NS6detail17trampoline_kernelINS0_14default_configENS1_36segmented_radix_sort_config_selectorIdlEEZNS1_25segmented_radix_sort_implIS3_Lb1EPKdPdPKlPlN2at6native12_GLOBAL__N_18offset_tEEE10hipError_tPvRmT1_PNSt15iterator_traitsISK_E10value_typeET2_T3_PNSL_ISQ_E10value_typeET4_jRbjT5_SW_jjP12ihipStream_tbEUlT_E2_NS1_11comp_targetILNS1_3genE8ELNS1_11target_archE1030ELNS1_3gpuE2ELNS1_3repE0EEENS1_30default_config_static_selectorELNS0_4arch9wavefront6targetE1EEEvSK_.num_named_barrier, 0
	.set _ZN7rocprim17ROCPRIM_400000_NS6detail17trampoline_kernelINS0_14default_configENS1_36segmented_radix_sort_config_selectorIdlEEZNS1_25segmented_radix_sort_implIS3_Lb1EPKdPdPKlPlN2at6native12_GLOBAL__N_18offset_tEEE10hipError_tPvRmT1_PNSt15iterator_traitsISK_E10value_typeET2_T3_PNSL_ISQ_E10value_typeET4_jRbjT5_SW_jjP12ihipStream_tbEUlT_E2_NS1_11comp_targetILNS1_3genE8ELNS1_11target_archE1030ELNS1_3gpuE2ELNS1_3repE0EEENS1_30default_config_static_selectorELNS0_4arch9wavefront6targetE1EEEvSK_.private_seg_size, 0
	.set _ZN7rocprim17ROCPRIM_400000_NS6detail17trampoline_kernelINS0_14default_configENS1_36segmented_radix_sort_config_selectorIdlEEZNS1_25segmented_radix_sort_implIS3_Lb1EPKdPdPKlPlN2at6native12_GLOBAL__N_18offset_tEEE10hipError_tPvRmT1_PNSt15iterator_traitsISK_E10value_typeET2_T3_PNSL_ISQ_E10value_typeET4_jRbjT5_SW_jjP12ihipStream_tbEUlT_E2_NS1_11comp_targetILNS1_3genE8ELNS1_11target_archE1030ELNS1_3gpuE2ELNS1_3repE0EEENS1_30default_config_static_selectorELNS0_4arch9wavefront6targetE1EEEvSK_.uses_vcc, 0
	.set _ZN7rocprim17ROCPRIM_400000_NS6detail17trampoline_kernelINS0_14default_configENS1_36segmented_radix_sort_config_selectorIdlEEZNS1_25segmented_radix_sort_implIS3_Lb1EPKdPdPKlPlN2at6native12_GLOBAL__N_18offset_tEEE10hipError_tPvRmT1_PNSt15iterator_traitsISK_E10value_typeET2_T3_PNSL_ISQ_E10value_typeET4_jRbjT5_SW_jjP12ihipStream_tbEUlT_E2_NS1_11comp_targetILNS1_3genE8ELNS1_11target_archE1030ELNS1_3gpuE2ELNS1_3repE0EEENS1_30default_config_static_selectorELNS0_4arch9wavefront6targetE1EEEvSK_.uses_flat_scratch, 0
	.set _ZN7rocprim17ROCPRIM_400000_NS6detail17trampoline_kernelINS0_14default_configENS1_36segmented_radix_sort_config_selectorIdlEEZNS1_25segmented_radix_sort_implIS3_Lb1EPKdPdPKlPlN2at6native12_GLOBAL__N_18offset_tEEE10hipError_tPvRmT1_PNSt15iterator_traitsISK_E10value_typeET2_T3_PNSL_ISQ_E10value_typeET4_jRbjT5_SW_jjP12ihipStream_tbEUlT_E2_NS1_11comp_targetILNS1_3genE8ELNS1_11target_archE1030ELNS1_3gpuE2ELNS1_3repE0EEENS1_30default_config_static_selectorELNS0_4arch9wavefront6targetE1EEEvSK_.has_dyn_sized_stack, 0
	.set _ZN7rocprim17ROCPRIM_400000_NS6detail17trampoline_kernelINS0_14default_configENS1_36segmented_radix_sort_config_selectorIdlEEZNS1_25segmented_radix_sort_implIS3_Lb1EPKdPdPKlPlN2at6native12_GLOBAL__N_18offset_tEEE10hipError_tPvRmT1_PNSt15iterator_traitsISK_E10value_typeET2_T3_PNSL_ISQ_E10value_typeET4_jRbjT5_SW_jjP12ihipStream_tbEUlT_E2_NS1_11comp_targetILNS1_3genE8ELNS1_11target_archE1030ELNS1_3gpuE2ELNS1_3repE0EEENS1_30default_config_static_selectorELNS0_4arch9wavefront6targetE1EEEvSK_.has_recursion, 0
	.set _ZN7rocprim17ROCPRIM_400000_NS6detail17trampoline_kernelINS0_14default_configENS1_36segmented_radix_sort_config_selectorIdlEEZNS1_25segmented_radix_sort_implIS3_Lb1EPKdPdPKlPlN2at6native12_GLOBAL__N_18offset_tEEE10hipError_tPvRmT1_PNSt15iterator_traitsISK_E10value_typeET2_T3_PNSL_ISQ_E10value_typeET4_jRbjT5_SW_jjP12ihipStream_tbEUlT_E2_NS1_11comp_targetILNS1_3genE8ELNS1_11target_archE1030ELNS1_3gpuE2ELNS1_3repE0EEENS1_30default_config_static_selectorELNS0_4arch9wavefront6targetE1EEEvSK_.has_indirect_call, 0
	.section	.AMDGPU.csdata,"",@progbits
; Kernel info:
; codeLenInByte = 0
; TotalNumSgprs: 4
; NumVgprs: 0
; ScratchSize: 0
; MemoryBound: 0
; FloatMode: 240
; IeeeMode: 1
; LDSByteSize: 0 bytes/workgroup (compile time only)
; SGPRBlocks: 0
; VGPRBlocks: 0
; NumSGPRsForWavesPerEU: 4
; NumVGPRsForWavesPerEU: 1
; Occupancy: 10
; WaveLimiterHint : 0
; COMPUTE_PGM_RSRC2:SCRATCH_EN: 0
; COMPUTE_PGM_RSRC2:USER_SGPR: 6
; COMPUTE_PGM_RSRC2:TRAP_HANDLER: 0
; COMPUTE_PGM_RSRC2:TGID_X_EN: 1
; COMPUTE_PGM_RSRC2:TGID_Y_EN: 0
; COMPUTE_PGM_RSRC2:TGID_Z_EN: 0
; COMPUTE_PGM_RSRC2:TIDIG_COMP_CNT: 0
	.section	.text._ZN7rocprim17ROCPRIM_400000_NS6detail17trampoline_kernelINS0_13select_configILj256ELj13ELNS0_17block_load_methodE3ELS4_3ELS4_3ELNS0_20block_scan_algorithmE0ELj4294967295EEENS1_25partition_config_selectorILNS1_17partition_subalgoE4EjNS0_10empty_typeEbEEZZNS1_14partition_implILS8_4ELb0ES6_15HIP_vector_typeIjLj2EENS0_17counting_iteratorIjlEEPS9_SG_NS0_5tupleIJPjSI_NS0_16reverse_iteratorISI_EEEEENSH_IJSG_SG_SG_EEES9_SI_JZNS1_25segmented_radix_sort_implINS0_14default_configELb0EPKdPdPKlPlN2at6native12_GLOBAL__N_18offset_tEEE10hipError_tPvRmT1_PNSt15iterator_traitsIS12_E10value_typeET2_T3_PNS13_IS18_E10value_typeET4_jRbjT5_S1E_jjP12ihipStream_tbEUljE_ZNSN_ISO_Lb0ESQ_SR_ST_SU_SY_EESZ_S10_S11_S12_S16_S17_S18_S1B_S1C_jS1D_jS1E_S1E_jjS1G_bEUljE0_EEESZ_S10_S11_S18_S1C_S1E_T6_T7_T9_mT8_S1G_bDpT10_ENKUlT_T0_E_clISt17integral_constantIbLb0EES1U_EEDaS1P_S1Q_EUlS1P_E_NS1_11comp_targetILNS1_3genE0ELNS1_11target_archE4294967295ELNS1_3gpuE0ELNS1_3repE0EEENS1_30default_config_static_selectorELNS0_4arch9wavefront6targetE1EEEvS12_,"axG",@progbits,_ZN7rocprim17ROCPRIM_400000_NS6detail17trampoline_kernelINS0_13select_configILj256ELj13ELNS0_17block_load_methodE3ELS4_3ELS4_3ELNS0_20block_scan_algorithmE0ELj4294967295EEENS1_25partition_config_selectorILNS1_17partition_subalgoE4EjNS0_10empty_typeEbEEZZNS1_14partition_implILS8_4ELb0ES6_15HIP_vector_typeIjLj2EENS0_17counting_iteratorIjlEEPS9_SG_NS0_5tupleIJPjSI_NS0_16reverse_iteratorISI_EEEEENSH_IJSG_SG_SG_EEES9_SI_JZNS1_25segmented_radix_sort_implINS0_14default_configELb0EPKdPdPKlPlN2at6native12_GLOBAL__N_18offset_tEEE10hipError_tPvRmT1_PNSt15iterator_traitsIS12_E10value_typeET2_T3_PNS13_IS18_E10value_typeET4_jRbjT5_S1E_jjP12ihipStream_tbEUljE_ZNSN_ISO_Lb0ESQ_SR_ST_SU_SY_EESZ_S10_S11_S12_S16_S17_S18_S1B_S1C_jS1D_jS1E_S1E_jjS1G_bEUljE0_EEESZ_S10_S11_S18_S1C_S1E_T6_T7_T9_mT8_S1G_bDpT10_ENKUlT_T0_E_clISt17integral_constantIbLb0EES1U_EEDaS1P_S1Q_EUlS1P_E_NS1_11comp_targetILNS1_3genE0ELNS1_11target_archE4294967295ELNS1_3gpuE0ELNS1_3repE0EEENS1_30default_config_static_selectorELNS0_4arch9wavefront6targetE1EEEvS12_,comdat
	.globl	_ZN7rocprim17ROCPRIM_400000_NS6detail17trampoline_kernelINS0_13select_configILj256ELj13ELNS0_17block_load_methodE3ELS4_3ELS4_3ELNS0_20block_scan_algorithmE0ELj4294967295EEENS1_25partition_config_selectorILNS1_17partition_subalgoE4EjNS0_10empty_typeEbEEZZNS1_14partition_implILS8_4ELb0ES6_15HIP_vector_typeIjLj2EENS0_17counting_iteratorIjlEEPS9_SG_NS0_5tupleIJPjSI_NS0_16reverse_iteratorISI_EEEEENSH_IJSG_SG_SG_EEES9_SI_JZNS1_25segmented_radix_sort_implINS0_14default_configELb0EPKdPdPKlPlN2at6native12_GLOBAL__N_18offset_tEEE10hipError_tPvRmT1_PNSt15iterator_traitsIS12_E10value_typeET2_T3_PNS13_IS18_E10value_typeET4_jRbjT5_S1E_jjP12ihipStream_tbEUljE_ZNSN_ISO_Lb0ESQ_SR_ST_SU_SY_EESZ_S10_S11_S12_S16_S17_S18_S1B_S1C_jS1D_jS1E_S1E_jjS1G_bEUljE0_EEESZ_S10_S11_S18_S1C_S1E_T6_T7_T9_mT8_S1G_bDpT10_ENKUlT_T0_E_clISt17integral_constantIbLb0EES1U_EEDaS1P_S1Q_EUlS1P_E_NS1_11comp_targetILNS1_3genE0ELNS1_11target_archE4294967295ELNS1_3gpuE0ELNS1_3repE0EEENS1_30default_config_static_selectorELNS0_4arch9wavefront6targetE1EEEvS12_ ; -- Begin function _ZN7rocprim17ROCPRIM_400000_NS6detail17trampoline_kernelINS0_13select_configILj256ELj13ELNS0_17block_load_methodE3ELS4_3ELS4_3ELNS0_20block_scan_algorithmE0ELj4294967295EEENS1_25partition_config_selectorILNS1_17partition_subalgoE4EjNS0_10empty_typeEbEEZZNS1_14partition_implILS8_4ELb0ES6_15HIP_vector_typeIjLj2EENS0_17counting_iteratorIjlEEPS9_SG_NS0_5tupleIJPjSI_NS0_16reverse_iteratorISI_EEEEENSH_IJSG_SG_SG_EEES9_SI_JZNS1_25segmented_radix_sort_implINS0_14default_configELb0EPKdPdPKlPlN2at6native12_GLOBAL__N_18offset_tEEE10hipError_tPvRmT1_PNSt15iterator_traitsIS12_E10value_typeET2_T3_PNS13_IS18_E10value_typeET4_jRbjT5_S1E_jjP12ihipStream_tbEUljE_ZNSN_ISO_Lb0ESQ_SR_ST_SU_SY_EESZ_S10_S11_S12_S16_S17_S18_S1B_S1C_jS1D_jS1E_S1E_jjS1G_bEUljE0_EEESZ_S10_S11_S18_S1C_S1E_T6_T7_T9_mT8_S1G_bDpT10_ENKUlT_T0_E_clISt17integral_constantIbLb0EES1U_EEDaS1P_S1Q_EUlS1P_E_NS1_11comp_targetILNS1_3genE0ELNS1_11target_archE4294967295ELNS1_3gpuE0ELNS1_3repE0EEENS1_30default_config_static_selectorELNS0_4arch9wavefront6targetE1EEEvS12_
	.p2align	8
	.type	_ZN7rocprim17ROCPRIM_400000_NS6detail17trampoline_kernelINS0_13select_configILj256ELj13ELNS0_17block_load_methodE3ELS4_3ELS4_3ELNS0_20block_scan_algorithmE0ELj4294967295EEENS1_25partition_config_selectorILNS1_17partition_subalgoE4EjNS0_10empty_typeEbEEZZNS1_14partition_implILS8_4ELb0ES6_15HIP_vector_typeIjLj2EENS0_17counting_iteratorIjlEEPS9_SG_NS0_5tupleIJPjSI_NS0_16reverse_iteratorISI_EEEEENSH_IJSG_SG_SG_EEES9_SI_JZNS1_25segmented_radix_sort_implINS0_14default_configELb0EPKdPdPKlPlN2at6native12_GLOBAL__N_18offset_tEEE10hipError_tPvRmT1_PNSt15iterator_traitsIS12_E10value_typeET2_T3_PNS13_IS18_E10value_typeET4_jRbjT5_S1E_jjP12ihipStream_tbEUljE_ZNSN_ISO_Lb0ESQ_SR_ST_SU_SY_EESZ_S10_S11_S12_S16_S17_S18_S1B_S1C_jS1D_jS1E_S1E_jjS1G_bEUljE0_EEESZ_S10_S11_S18_S1C_S1E_T6_T7_T9_mT8_S1G_bDpT10_ENKUlT_T0_E_clISt17integral_constantIbLb0EES1U_EEDaS1P_S1Q_EUlS1P_E_NS1_11comp_targetILNS1_3genE0ELNS1_11target_archE4294967295ELNS1_3gpuE0ELNS1_3repE0EEENS1_30default_config_static_selectorELNS0_4arch9wavefront6targetE1EEEvS12_,@function
_ZN7rocprim17ROCPRIM_400000_NS6detail17trampoline_kernelINS0_13select_configILj256ELj13ELNS0_17block_load_methodE3ELS4_3ELS4_3ELNS0_20block_scan_algorithmE0ELj4294967295EEENS1_25partition_config_selectorILNS1_17partition_subalgoE4EjNS0_10empty_typeEbEEZZNS1_14partition_implILS8_4ELb0ES6_15HIP_vector_typeIjLj2EENS0_17counting_iteratorIjlEEPS9_SG_NS0_5tupleIJPjSI_NS0_16reverse_iteratorISI_EEEEENSH_IJSG_SG_SG_EEES9_SI_JZNS1_25segmented_radix_sort_implINS0_14default_configELb0EPKdPdPKlPlN2at6native12_GLOBAL__N_18offset_tEEE10hipError_tPvRmT1_PNSt15iterator_traitsIS12_E10value_typeET2_T3_PNS13_IS18_E10value_typeET4_jRbjT5_S1E_jjP12ihipStream_tbEUljE_ZNSN_ISO_Lb0ESQ_SR_ST_SU_SY_EESZ_S10_S11_S12_S16_S17_S18_S1B_S1C_jS1D_jS1E_S1E_jjS1G_bEUljE0_EEESZ_S10_S11_S18_S1C_S1E_T6_T7_T9_mT8_S1G_bDpT10_ENKUlT_T0_E_clISt17integral_constantIbLb0EES1U_EEDaS1P_S1Q_EUlS1P_E_NS1_11comp_targetILNS1_3genE0ELNS1_11target_archE4294967295ELNS1_3gpuE0ELNS1_3repE0EEENS1_30default_config_static_selectorELNS0_4arch9wavefront6targetE1EEEvS12_: ; @_ZN7rocprim17ROCPRIM_400000_NS6detail17trampoline_kernelINS0_13select_configILj256ELj13ELNS0_17block_load_methodE3ELS4_3ELS4_3ELNS0_20block_scan_algorithmE0ELj4294967295EEENS1_25partition_config_selectorILNS1_17partition_subalgoE4EjNS0_10empty_typeEbEEZZNS1_14partition_implILS8_4ELb0ES6_15HIP_vector_typeIjLj2EENS0_17counting_iteratorIjlEEPS9_SG_NS0_5tupleIJPjSI_NS0_16reverse_iteratorISI_EEEEENSH_IJSG_SG_SG_EEES9_SI_JZNS1_25segmented_radix_sort_implINS0_14default_configELb0EPKdPdPKlPlN2at6native12_GLOBAL__N_18offset_tEEE10hipError_tPvRmT1_PNSt15iterator_traitsIS12_E10value_typeET2_T3_PNS13_IS18_E10value_typeET4_jRbjT5_S1E_jjP12ihipStream_tbEUljE_ZNSN_ISO_Lb0ESQ_SR_ST_SU_SY_EESZ_S10_S11_S12_S16_S17_S18_S1B_S1C_jS1D_jS1E_S1E_jjS1G_bEUljE0_EEESZ_S10_S11_S18_S1C_S1E_T6_T7_T9_mT8_S1G_bDpT10_ENKUlT_T0_E_clISt17integral_constantIbLb0EES1U_EEDaS1P_S1Q_EUlS1P_E_NS1_11comp_targetILNS1_3genE0ELNS1_11target_archE4294967295ELNS1_3gpuE0ELNS1_3repE0EEENS1_30default_config_static_selectorELNS0_4arch9wavefront6targetE1EEEvS12_
; %bb.0:
	.section	.rodata,"a",@progbits
	.p2align	6, 0x0
	.amdhsa_kernel _ZN7rocprim17ROCPRIM_400000_NS6detail17trampoline_kernelINS0_13select_configILj256ELj13ELNS0_17block_load_methodE3ELS4_3ELS4_3ELNS0_20block_scan_algorithmE0ELj4294967295EEENS1_25partition_config_selectorILNS1_17partition_subalgoE4EjNS0_10empty_typeEbEEZZNS1_14partition_implILS8_4ELb0ES6_15HIP_vector_typeIjLj2EENS0_17counting_iteratorIjlEEPS9_SG_NS0_5tupleIJPjSI_NS0_16reverse_iteratorISI_EEEEENSH_IJSG_SG_SG_EEES9_SI_JZNS1_25segmented_radix_sort_implINS0_14default_configELb0EPKdPdPKlPlN2at6native12_GLOBAL__N_18offset_tEEE10hipError_tPvRmT1_PNSt15iterator_traitsIS12_E10value_typeET2_T3_PNS13_IS18_E10value_typeET4_jRbjT5_S1E_jjP12ihipStream_tbEUljE_ZNSN_ISO_Lb0ESQ_SR_ST_SU_SY_EESZ_S10_S11_S12_S16_S17_S18_S1B_S1C_jS1D_jS1E_S1E_jjS1G_bEUljE0_EEESZ_S10_S11_S18_S1C_S1E_T6_T7_T9_mT8_S1G_bDpT10_ENKUlT_T0_E_clISt17integral_constantIbLb0EES1U_EEDaS1P_S1Q_EUlS1P_E_NS1_11comp_targetILNS1_3genE0ELNS1_11target_archE4294967295ELNS1_3gpuE0ELNS1_3repE0EEENS1_30default_config_static_selectorELNS0_4arch9wavefront6targetE1EEEvS12_
		.amdhsa_group_segment_fixed_size 0
		.amdhsa_private_segment_fixed_size 0
		.amdhsa_kernarg_size 176
		.amdhsa_user_sgpr_count 6
		.amdhsa_user_sgpr_private_segment_buffer 1
		.amdhsa_user_sgpr_dispatch_ptr 0
		.amdhsa_user_sgpr_queue_ptr 0
		.amdhsa_user_sgpr_kernarg_segment_ptr 1
		.amdhsa_user_sgpr_dispatch_id 0
		.amdhsa_user_sgpr_flat_scratch_init 0
		.amdhsa_user_sgpr_private_segment_size 0
		.amdhsa_uses_dynamic_stack 0
		.amdhsa_system_sgpr_private_segment_wavefront_offset 0
		.amdhsa_system_sgpr_workgroup_id_x 1
		.amdhsa_system_sgpr_workgroup_id_y 0
		.amdhsa_system_sgpr_workgroup_id_z 0
		.amdhsa_system_sgpr_workgroup_info 0
		.amdhsa_system_vgpr_workitem_id 0
		.amdhsa_next_free_vgpr 1
		.amdhsa_next_free_sgpr 0
		.amdhsa_reserve_vcc 0
		.amdhsa_reserve_flat_scratch 0
		.amdhsa_float_round_mode_32 0
		.amdhsa_float_round_mode_16_64 0
		.amdhsa_float_denorm_mode_32 3
		.amdhsa_float_denorm_mode_16_64 3
		.amdhsa_dx10_clamp 1
		.amdhsa_ieee_mode 1
		.amdhsa_fp16_overflow 0
		.amdhsa_exception_fp_ieee_invalid_op 0
		.amdhsa_exception_fp_denorm_src 0
		.amdhsa_exception_fp_ieee_div_zero 0
		.amdhsa_exception_fp_ieee_overflow 0
		.amdhsa_exception_fp_ieee_underflow 0
		.amdhsa_exception_fp_ieee_inexact 0
		.amdhsa_exception_int_div_zero 0
	.end_amdhsa_kernel
	.section	.text._ZN7rocprim17ROCPRIM_400000_NS6detail17trampoline_kernelINS0_13select_configILj256ELj13ELNS0_17block_load_methodE3ELS4_3ELS4_3ELNS0_20block_scan_algorithmE0ELj4294967295EEENS1_25partition_config_selectorILNS1_17partition_subalgoE4EjNS0_10empty_typeEbEEZZNS1_14partition_implILS8_4ELb0ES6_15HIP_vector_typeIjLj2EENS0_17counting_iteratorIjlEEPS9_SG_NS0_5tupleIJPjSI_NS0_16reverse_iteratorISI_EEEEENSH_IJSG_SG_SG_EEES9_SI_JZNS1_25segmented_radix_sort_implINS0_14default_configELb0EPKdPdPKlPlN2at6native12_GLOBAL__N_18offset_tEEE10hipError_tPvRmT1_PNSt15iterator_traitsIS12_E10value_typeET2_T3_PNS13_IS18_E10value_typeET4_jRbjT5_S1E_jjP12ihipStream_tbEUljE_ZNSN_ISO_Lb0ESQ_SR_ST_SU_SY_EESZ_S10_S11_S12_S16_S17_S18_S1B_S1C_jS1D_jS1E_S1E_jjS1G_bEUljE0_EEESZ_S10_S11_S18_S1C_S1E_T6_T7_T9_mT8_S1G_bDpT10_ENKUlT_T0_E_clISt17integral_constantIbLb0EES1U_EEDaS1P_S1Q_EUlS1P_E_NS1_11comp_targetILNS1_3genE0ELNS1_11target_archE4294967295ELNS1_3gpuE0ELNS1_3repE0EEENS1_30default_config_static_selectorELNS0_4arch9wavefront6targetE1EEEvS12_,"axG",@progbits,_ZN7rocprim17ROCPRIM_400000_NS6detail17trampoline_kernelINS0_13select_configILj256ELj13ELNS0_17block_load_methodE3ELS4_3ELS4_3ELNS0_20block_scan_algorithmE0ELj4294967295EEENS1_25partition_config_selectorILNS1_17partition_subalgoE4EjNS0_10empty_typeEbEEZZNS1_14partition_implILS8_4ELb0ES6_15HIP_vector_typeIjLj2EENS0_17counting_iteratorIjlEEPS9_SG_NS0_5tupleIJPjSI_NS0_16reverse_iteratorISI_EEEEENSH_IJSG_SG_SG_EEES9_SI_JZNS1_25segmented_radix_sort_implINS0_14default_configELb0EPKdPdPKlPlN2at6native12_GLOBAL__N_18offset_tEEE10hipError_tPvRmT1_PNSt15iterator_traitsIS12_E10value_typeET2_T3_PNS13_IS18_E10value_typeET4_jRbjT5_S1E_jjP12ihipStream_tbEUljE_ZNSN_ISO_Lb0ESQ_SR_ST_SU_SY_EESZ_S10_S11_S12_S16_S17_S18_S1B_S1C_jS1D_jS1E_S1E_jjS1G_bEUljE0_EEESZ_S10_S11_S18_S1C_S1E_T6_T7_T9_mT8_S1G_bDpT10_ENKUlT_T0_E_clISt17integral_constantIbLb0EES1U_EEDaS1P_S1Q_EUlS1P_E_NS1_11comp_targetILNS1_3genE0ELNS1_11target_archE4294967295ELNS1_3gpuE0ELNS1_3repE0EEENS1_30default_config_static_selectorELNS0_4arch9wavefront6targetE1EEEvS12_,comdat
.Lfunc_end1157:
	.size	_ZN7rocprim17ROCPRIM_400000_NS6detail17trampoline_kernelINS0_13select_configILj256ELj13ELNS0_17block_load_methodE3ELS4_3ELS4_3ELNS0_20block_scan_algorithmE0ELj4294967295EEENS1_25partition_config_selectorILNS1_17partition_subalgoE4EjNS0_10empty_typeEbEEZZNS1_14partition_implILS8_4ELb0ES6_15HIP_vector_typeIjLj2EENS0_17counting_iteratorIjlEEPS9_SG_NS0_5tupleIJPjSI_NS0_16reverse_iteratorISI_EEEEENSH_IJSG_SG_SG_EEES9_SI_JZNS1_25segmented_radix_sort_implINS0_14default_configELb0EPKdPdPKlPlN2at6native12_GLOBAL__N_18offset_tEEE10hipError_tPvRmT1_PNSt15iterator_traitsIS12_E10value_typeET2_T3_PNS13_IS18_E10value_typeET4_jRbjT5_S1E_jjP12ihipStream_tbEUljE_ZNSN_ISO_Lb0ESQ_SR_ST_SU_SY_EESZ_S10_S11_S12_S16_S17_S18_S1B_S1C_jS1D_jS1E_S1E_jjS1G_bEUljE0_EEESZ_S10_S11_S18_S1C_S1E_T6_T7_T9_mT8_S1G_bDpT10_ENKUlT_T0_E_clISt17integral_constantIbLb0EES1U_EEDaS1P_S1Q_EUlS1P_E_NS1_11comp_targetILNS1_3genE0ELNS1_11target_archE4294967295ELNS1_3gpuE0ELNS1_3repE0EEENS1_30default_config_static_selectorELNS0_4arch9wavefront6targetE1EEEvS12_, .Lfunc_end1157-_ZN7rocprim17ROCPRIM_400000_NS6detail17trampoline_kernelINS0_13select_configILj256ELj13ELNS0_17block_load_methodE3ELS4_3ELS4_3ELNS0_20block_scan_algorithmE0ELj4294967295EEENS1_25partition_config_selectorILNS1_17partition_subalgoE4EjNS0_10empty_typeEbEEZZNS1_14partition_implILS8_4ELb0ES6_15HIP_vector_typeIjLj2EENS0_17counting_iteratorIjlEEPS9_SG_NS0_5tupleIJPjSI_NS0_16reverse_iteratorISI_EEEEENSH_IJSG_SG_SG_EEES9_SI_JZNS1_25segmented_radix_sort_implINS0_14default_configELb0EPKdPdPKlPlN2at6native12_GLOBAL__N_18offset_tEEE10hipError_tPvRmT1_PNSt15iterator_traitsIS12_E10value_typeET2_T3_PNS13_IS18_E10value_typeET4_jRbjT5_S1E_jjP12ihipStream_tbEUljE_ZNSN_ISO_Lb0ESQ_SR_ST_SU_SY_EESZ_S10_S11_S12_S16_S17_S18_S1B_S1C_jS1D_jS1E_S1E_jjS1G_bEUljE0_EEESZ_S10_S11_S18_S1C_S1E_T6_T7_T9_mT8_S1G_bDpT10_ENKUlT_T0_E_clISt17integral_constantIbLb0EES1U_EEDaS1P_S1Q_EUlS1P_E_NS1_11comp_targetILNS1_3genE0ELNS1_11target_archE4294967295ELNS1_3gpuE0ELNS1_3repE0EEENS1_30default_config_static_selectorELNS0_4arch9wavefront6targetE1EEEvS12_
                                        ; -- End function
	.set _ZN7rocprim17ROCPRIM_400000_NS6detail17trampoline_kernelINS0_13select_configILj256ELj13ELNS0_17block_load_methodE3ELS4_3ELS4_3ELNS0_20block_scan_algorithmE0ELj4294967295EEENS1_25partition_config_selectorILNS1_17partition_subalgoE4EjNS0_10empty_typeEbEEZZNS1_14partition_implILS8_4ELb0ES6_15HIP_vector_typeIjLj2EENS0_17counting_iteratorIjlEEPS9_SG_NS0_5tupleIJPjSI_NS0_16reverse_iteratorISI_EEEEENSH_IJSG_SG_SG_EEES9_SI_JZNS1_25segmented_radix_sort_implINS0_14default_configELb0EPKdPdPKlPlN2at6native12_GLOBAL__N_18offset_tEEE10hipError_tPvRmT1_PNSt15iterator_traitsIS12_E10value_typeET2_T3_PNS13_IS18_E10value_typeET4_jRbjT5_S1E_jjP12ihipStream_tbEUljE_ZNSN_ISO_Lb0ESQ_SR_ST_SU_SY_EESZ_S10_S11_S12_S16_S17_S18_S1B_S1C_jS1D_jS1E_S1E_jjS1G_bEUljE0_EEESZ_S10_S11_S18_S1C_S1E_T6_T7_T9_mT8_S1G_bDpT10_ENKUlT_T0_E_clISt17integral_constantIbLb0EES1U_EEDaS1P_S1Q_EUlS1P_E_NS1_11comp_targetILNS1_3genE0ELNS1_11target_archE4294967295ELNS1_3gpuE0ELNS1_3repE0EEENS1_30default_config_static_selectorELNS0_4arch9wavefront6targetE1EEEvS12_.num_vgpr, 0
	.set _ZN7rocprim17ROCPRIM_400000_NS6detail17trampoline_kernelINS0_13select_configILj256ELj13ELNS0_17block_load_methodE3ELS4_3ELS4_3ELNS0_20block_scan_algorithmE0ELj4294967295EEENS1_25partition_config_selectorILNS1_17partition_subalgoE4EjNS0_10empty_typeEbEEZZNS1_14partition_implILS8_4ELb0ES6_15HIP_vector_typeIjLj2EENS0_17counting_iteratorIjlEEPS9_SG_NS0_5tupleIJPjSI_NS0_16reverse_iteratorISI_EEEEENSH_IJSG_SG_SG_EEES9_SI_JZNS1_25segmented_radix_sort_implINS0_14default_configELb0EPKdPdPKlPlN2at6native12_GLOBAL__N_18offset_tEEE10hipError_tPvRmT1_PNSt15iterator_traitsIS12_E10value_typeET2_T3_PNS13_IS18_E10value_typeET4_jRbjT5_S1E_jjP12ihipStream_tbEUljE_ZNSN_ISO_Lb0ESQ_SR_ST_SU_SY_EESZ_S10_S11_S12_S16_S17_S18_S1B_S1C_jS1D_jS1E_S1E_jjS1G_bEUljE0_EEESZ_S10_S11_S18_S1C_S1E_T6_T7_T9_mT8_S1G_bDpT10_ENKUlT_T0_E_clISt17integral_constantIbLb0EES1U_EEDaS1P_S1Q_EUlS1P_E_NS1_11comp_targetILNS1_3genE0ELNS1_11target_archE4294967295ELNS1_3gpuE0ELNS1_3repE0EEENS1_30default_config_static_selectorELNS0_4arch9wavefront6targetE1EEEvS12_.num_agpr, 0
	.set _ZN7rocprim17ROCPRIM_400000_NS6detail17trampoline_kernelINS0_13select_configILj256ELj13ELNS0_17block_load_methodE3ELS4_3ELS4_3ELNS0_20block_scan_algorithmE0ELj4294967295EEENS1_25partition_config_selectorILNS1_17partition_subalgoE4EjNS0_10empty_typeEbEEZZNS1_14partition_implILS8_4ELb0ES6_15HIP_vector_typeIjLj2EENS0_17counting_iteratorIjlEEPS9_SG_NS0_5tupleIJPjSI_NS0_16reverse_iteratorISI_EEEEENSH_IJSG_SG_SG_EEES9_SI_JZNS1_25segmented_radix_sort_implINS0_14default_configELb0EPKdPdPKlPlN2at6native12_GLOBAL__N_18offset_tEEE10hipError_tPvRmT1_PNSt15iterator_traitsIS12_E10value_typeET2_T3_PNS13_IS18_E10value_typeET4_jRbjT5_S1E_jjP12ihipStream_tbEUljE_ZNSN_ISO_Lb0ESQ_SR_ST_SU_SY_EESZ_S10_S11_S12_S16_S17_S18_S1B_S1C_jS1D_jS1E_S1E_jjS1G_bEUljE0_EEESZ_S10_S11_S18_S1C_S1E_T6_T7_T9_mT8_S1G_bDpT10_ENKUlT_T0_E_clISt17integral_constantIbLb0EES1U_EEDaS1P_S1Q_EUlS1P_E_NS1_11comp_targetILNS1_3genE0ELNS1_11target_archE4294967295ELNS1_3gpuE0ELNS1_3repE0EEENS1_30default_config_static_selectorELNS0_4arch9wavefront6targetE1EEEvS12_.numbered_sgpr, 0
	.set _ZN7rocprim17ROCPRIM_400000_NS6detail17trampoline_kernelINS0_13select_configILj256ELj13ELNS0_17block_load_methodE3ELS4_3ELS4_3ELNS0_20block_scan_algorithmE0ELj4294967295EEENS1_25partition_config_selectorILNS1_17partition_subalgoE4EjNS0_10empty_typeEbEEZZNS1_14partition_implILS8_4ELb0ES6_15HIP_vector_typeIjLj2EENS0_17counting_iteratorIjlEEPS9_SG_NS0_5tupleIJPjSI_NS0_16reverse_iteratorISI_EEEEENSH_IJSG_SG_SG_EEES9_SI_JZNS1_25segmented_radix_sort_implINS0_14default_configELb0EPKdPdPKlPlN2at6native12_GLOBAL__N_18offset_tEEE10hipError_tPvRmT1_PNSt15iterator_traitsIS12_E10value_typeET2_T3_PNS13_IS18_E10value_typeET4_jRbjT5_S1E_jjP12ihipStream_tbEUljE_ZNSN_ISO_Lb0ESQ_SR_ST_SU_SY_EESZ_S10_S11_S12_S16_S17_S18_S1B_S1C_jS1D_jS1E_S1E_jjS1G_bEUljE0_EEESZ_S10_S11_S18_S1C_S1E_T6_T7_T9_mT8_S1G_bDpT10_ENKUlT_T0_E_clISt17integral_constantIbLb0EES1U_EEDaS1P_S1Q_EUlS1P_E_NS1_11comp_targetILNS1_3genE0ELNS1_11target_archE4294967295ELNS1_3gpuE0ELNS1_3repE0EEENS1_30default_config_static_selectorELNS0_4arch9wavefront6targetE1EEEvS12_.num_named_barrier, 0
	.set _ZN7rocprim17ROCPRIM_400000_NS6detail17trampoline_kernelINS0_13select_configILj256ELj13ELNS0_17block_load_methodE3ELS4_3ELS4_3ELNS0_20block_scan_algorithmE0ELj4294967295EEENS1_25partition_config_selectorILNS1_17partition_subalgoE4EjNS0_10empty_typeEbEEZZNS1_14partition_implILS8_4ELb0ES6_15HIP_vector_typeIjLj2EENS0_17counting_iteratorIjlEEPS9_SG_NS0_5tupleIJPjSI_NS0_16reverse_iteratorISI_EEEEENSH_IJSG_SG_SG_EEES9_SI_JZNS1_25segmented_radix_sort_implINS0_14default_configELb0EPKdPdPKlPlN2at6native12_GLOBAL__N_18offset_tEEE10hipError_tPvRmT1_PNSt15iterator_traitsIS12_E10value_typeET2_T3_PNS13_IS18_E10value_typeET4_jRbjT5_S1E_jjP12ihipStream_tbEUljE_ZNSN_ISO_Lb0ESQ_SR_ST_SU_SY_EESZ_S10_S11_S12_S16_S17_S18_S1B_S1C_jS1D_jS1E_S1E_jjS1G_bEUljE0_EEESZ_S10_S11_S18_S1C_S1E_T6_T7_T9_mT8_S1G_bDpT10_ENKUlT_T0_E_clISt17integral_constantIbLb0EES1U_EEDaS1P_S1Q_EUlS1P_E_NS1_11comp_targetILNS1_3genE0ELNS1_11target_archE4294967295ELNS1_3gpuE0ELNS1_3repE0EEENS1_30default_config_static_selectorELNS0_4arch9wavefront6targetE1EEEvS12_.private_seg_size, 0
	.set _ZN7rocprim17ROCPRIM_400000_NS6detail17trampoline_kernelINS0_13select_configILj256ELj13ELNS0_17block_load_methodE3ELS4_3ELS4_3ELNS0_20block_scan_algorithmE0ELj4294967295EEENS1_25partition_config_selectorILNS1_17partition_subalgoE4EjNS0_10empty_typeEbEEZZNS1_14partition_implILS8_4ELb0ES6_15HIP_vector_typeIjLj2EENS0_17counting_iteratorIjlEEPS9_SG_NS0_5tupleIJPjSI_NS0_16reverse_iteratorISI_EEEEENSH_IJSG_SG_SG_EEES9_SI_JZNS1_25segmented_radix_sort_implINS0_14default_configELb0EPKdPdPKlPlN2at6native12_GLOBAL__N_18offset_tEEE10hipError_tPvRmT1_PNSt15iterator_traitsIS12_E10value_typeET2_T3_PNS13_IS18_E10value_typeET4_jRbjT5_S1E_jjP12ihipStream_tbEUljE_ZNSN_ISO_Lb0ESQ_SR_ST_SU_SY_EESZ_S10_S11_S12_S16_S17_S18_S1B_S1C_jS1D_jS1E_S1E_jjS1G_bEUljE0_EEESZ_S10_S11_S18_S1C_S1E_T6_T7_T9_mT8_S1G_bDpT10_ENKUlT_T0_E_clISt17integral_constantIbLb0EES1U_EEDaS1P_S1Q_EUlS1P_E_NS1_11comp_targetILNS1_3genE0ELNS1_11target_archE4294967295ELNS1_3gpuE0ELNS1_3repE0EEENS1_30default_config_static_selectorELNS0_4arch9wavefront6targetE1EEEvS12_.uses_vcc, 0
	.set _ZN7rocprim17ROCPRIM_400000_NS6detail17trampoline_kernelINS0_13select_configILj256ELj13ELNS0_17block_load_methodE3ELS4_3ELS4_3ELNS0_20block_scan_algorithmE0ELj4294967295EEENS1_25partition_config_selectorILNS1_17partition_subalgoE4EjNS0_10empty_typeEbEEZZNS1_14partition_implILS8_4ELb0ES6_15HIP_vector_typeIjLj2EENS0_17counting_iteratorIjlEEPS9_SG_NS0_5tupleIJPjSI_NS0_16reverse_iteratorISI_EEEEENSH_IJSG_SG_SG_EEES9_SI_JZNS1_25segmented_radix_sort_implINS0_14default_configELb0EPKdPdPKlPlN2at6native12_GLOBAL__N_18offset_tEEE10hipError_tPvRmT1_PNSt15iterator_traitsIS12_E10value_typeET2_T3_PNS13_IS18_E10value_typeET4_jRbjT5_S1E_jjP12ihipStream_tbEUljE_ZNSN_ISO_Lb0ESQ_SR_ST_SU_SY_EESZ_S10_S11_S12_S16_S17_S18_S1B_S1C_jS1D_jS1E_S1E_jjS1G_bEUljE0_EEESZ_S10_S11_S18_S1C_S1E_T6_T7_T9_mT8_S1G_bDpT10_ENKUlT_T0_E_clISt17integral_constantIbLb0EES1U_EEDaS1P_S1Q_EUlS1P_E_NS1_11comp_targetILNS1_3genE0ELNS1_11target_archE4294967295ELNS1_3gpuE0ELNS1_3repE0EEENS1_30default_config_static_selectorELNS0_4arch9wavefront6targetE1EEEvS12_.uses_flat_scratch, 0
	.set _ZN7rocprim17ROCPRIM_400000_NS6detail17trampoline_kernelINS0_13select_configILj256ELj13ELNS0_17block_load_methodE3ELS4_3ELS4_3ELNS0_20block_scan_algorithmE0ELj4294967295EEENS1_25partition_config_selectorILNS1_17partition_subalgoE4EjNS0_10empty_typeEbEEZZNS1_14partition_implILS8_4ELb0ES6_15HIP_vector_typeIjLj2EENS0_17counting_iteratorIjlEEPS9_SG_NS0_5tupleIJPjSI_NS0_16reverse_iteratorISI_EEEEENSH_IJSG_SG_SG_EEES9_SI_JZNS1_25segmented_radix_sort_implINS0_14default_configELb0EPKdPdPKlPlN2at6native12_GLOBAL__N_18offset_tEEE10hipError_tPvRmT1_PNSt15iterator_traitsIS12_E10value_typeET2_T3_PNS13_IS18_E10value_typeET4_jRbjT5_S1E_jjP12ihipStream_tbEUljE_ZNSN_ISO_Lb0ESQ_SR_ST_SU_SY_EESZ_S10_S11_S12_S16_S17_S18_S1B_S1C_jS1D_jS1E_S1E_jjS1G_bEUljE0_EEESZ_S10_S11_S18_S1C_S1E_T6_T7_T9_mT8_S1G_bDpT10_ENKUlT_T0_E_clISt17integral_constantIbLb0EES1U_EEDaS1P_S1Q_EUlS1P_E_NS1_11comp_targetILNS1_3genE0ELNS1_11target_archE4294967295ELNS1_3gpuE0ELNS1_3repE0EEENS1_30default_config_static_selectorELNS0_4arch9wavefront6targetE1EEEvS12_.has_dyn_sized_stack, 0
	.set _ZN7rocprim17ROCPRIM_400000_NS6detail17trampoline_kernelINS0_13select_configILj256ELj13ELNS0_17block_load_methodE3ELS4_3ELS4_3ELNS0_20block_scan_algorithmE0ELj4294967295EEENS1_25partition_config_selectorILNS1_17partition_subalgoE4EjNS0_10empty_typeEbEEZZNS1_14partition_implILS8_4ELb0ES6_15HIP_vector_typeIjLj2EENS0_17counting_iteratorIjlEEPS9_SG_NS0_5tupleIJPjSI_NS0_16reverse_iteratorISI_EEEEENSH_IJSG_SG_SG_EEES9_SI_JZNS1_25segmented_radix_sort_implINS0_14default_configELb0EPKdPdPKlPlN2at6native12_GLOBAL__N_18offset_tEEE10hipError_tPvRmT1_PNSt15iterator_traitsIS12_E10value_typeET2_T3_PNS13_IS18_E10value_typeET4_jRbjT5_S1E_jjP12ihipStream_tbEUljE_ZNSN_ISO_Lb0ESQ_SR_ST_SU_SY_EESZ_S10_S11_S12_S16_S17_S18_S1B_S1C_jS1D_jS1E_S1E_jjS1G_bEUljE0_EEESZ_S10_S11_S18_S1C_S1E_T6_T7_T9_mT8_S1G_bDpT10_ENKUlT_T0_E_clISt17integral_constantIbLb0EES1U_EEDaS1P_S1Q_EUlS1P_E_NS1_11comp_targetILNS1_3genE0ELNS1_11target_archE4294967295ELNS1_3gpuE0ELNS1_3repE0EEENS1_30default_config_static_selectorELNS0_4arch9wavefront6targetE1EEEvS12_.has_recursion, 0
	.set _ZN7rocprim17ROCPRIM_400000_NS6detail17trampoline_kernelINS0_13select_configILj256ELj13ELNS0_17block_load_methodE3ELS4_3ELS4_3ELNS0_20block_scan_algorithmE0ELj4294967295EEENS1_25partition_config_selectorILNS1_17partition_subalgoE4EjNS0_10empty_typeEbEEZZNS1_14partition_implILS8_4ELb0ES6_15HIP_vector_typeIjLj2EENS0_17counting_iteratorIjlEEPS9_SG_NS0_5tupleIJPjSI_NS0_16reverse_iteratorISI_EEEEENSH_IJSG_SG_SG_EEES9_SI_JZNS1_25segmented_radix_sort_implINS0_14default_configELb0EPKdPdPKlPlN2at6native12_GLOBAL__N_18offset_tEEE10hipError_tPvRmT1_PNSt15iterator_traitsIS12_E10value_typeET2_T3_PNS13_IS18_E10value_typeET4_jRbjT5_S1E_jjP12ihipStream_tbEUljE_ZNSN_ISO_Lb0ESQ_SR_ST_SU_SY_EESZ_S10_S11_S12_S16_S17_S18_S1B_S1C_jS1D_jS1E_S1E_jjS1G_bEUljE0_EEESZ_S10_S11_S18_S1C_S1E_T6_T7_T9_mT8_S1G_bDpT10_ENKUlT_T0_E_clISt17integral_constantIbLb0EES1U_EEDaS1P_S1Q_EUlS1P_E_NS1_11comp_targetILNS1_3genE0ELNS1_11target_archE4294967295ELNS1_3gpuE0ELNS1_3repE0EEENS1_30default_config_static_selectorELNS0_4arch9wavefront6targetE1EEEvS12_.has_indirect_call, 0
	.section	.AMDGPU.csdata,"",@progbits
; Kernel info:
; codeLenInByte = 0
; TotalNumSgprs: 4
; NumVgprs: 0
; ScratchSize: 0
; MemoryBound: 0
; FloatMode: 240
; IeeeMode: 1
; LDSByteSize: 0 bytes/workgroup (compile time only)
; SGPRBlocks: 0
; VGPRBlocks: 0
; NumSGPRsForWavesPerEU: 4
; NumVGPRsForWavesPerEU: 1
; Occupancy: 10
; WaveLimiterHint : 0
; COMPUTE_PGM_RSRC2:SCRATCH_EN: 0
; COMPUTE_PGM_RSRC2:USER_SGPR: 6
; COMPUTE_PGM_RSRC2:TRAP_HANDLER: 0
; COMPUTE_PGM_RSRC2:TGID_X_EN: 1
; COMPUTE_PGM_RSRC2:TGID_Y_EN: 0
; COMPUTE_PGM_RSRC2:TGID_Z_EN: 0
; COMPUTE_PGM_RSRC2:TIDIG_COMP_CNT: 0
	.section	.text._ZN7rocprim17ROCPRIM_400000_NS6detail17trampoline_kernelINS0_13select_configILj256ELj13ELNS0_17block_load_methodE3ELS4_3ELS4_3ELNS0_20block_scan_algorithmE0ELj4294967295EEENS1_25partition_config_selectorILNS1_17partition_subalgoE4EjNS0_10empty_typeEbEEZZNS1_14partition_implILS8_4ELb0ES6_15HIP_vector_typeIjLj2EENS0_17counting_iteratorIjlEEPS9_SG_NS0_5tupleIJPjSI_NS0_16reverse_iteratorISI_EEEEENSH_IJSG_SG_SG_EEES9_SI_JZNS1_25segmented_radix_sort_implINS0_14default_configELb0EPKdPdPKlPlN2at6native12_GLOBAL__N_18offset_tEEE10hipError_tPvRmT1_PNSt15iterator_traitsIS12_E10value_typeET2_T3_PNS13_IS18_E10value_typeET4_jRbjT5_S1E_jjP12ihipStream_tbEUljE_ZNSN_ISO_Lb0ESQ_SR_ST_SU_SY_EESZ_S10_S11_S12_S16_S17_S18_S1B_S1C_jS1D_jS1E_S1E_jjS1G_bEUljE0_EEESZ_S10_S11_S18_S1C_S1E_T6_T7_T9_mT8_S1G_bDpT10_ENKUlT_T0_E_clISt17integral_constantIbLb0EES1U_EEDaS1P_S1Q_EUlS1P_E_NS1_11comp_targetILNS1_3genE5ELNS1_11target_archE942ELNS1_3gpuE9ELNS1_3repE0EEENS1_30default_config_static_selectorELNS0_4arch9wavefront6targetE1EEEvS12_,"axG",@progbits,_ZN7rocprim17ROCPRIM_400000_NS6detail17trampoline_kernelINS0_13select_configILj256ELj13ELNS0_17block_load_methodE3ELS4_3ELS4_3ELNS0_20block_scan_algorithmE0ELj4294967295EEENS1_25partition_config_selectorILNS1_17partition_subalgoE4EjNS0_10empty_typeEbEEZZNS1_14partition_implILS8_4ELb0ES6_15HIP_vector_typeIjLj2EENS0_17counting_iteratorIjlEEPS9_SG_NS0_5tupleIJPjSI_NS0_16reverse_iteratorISI_EEEEENSH_IJSG_SG_SG_EEES9_SI_JZNS1_25segmented_radix_sort_implINS0_14default_configELb0EPKdPdPKlPlN2at6native12_GLOBAL__N_18offset_tEEE10hipError_tPvRmT1_PNSt15iterator_traitsIS12_E10value_typeET2_T3_PNS13_IS18_E10value_typeET4_jRbjT5_S1E_jjP12ihipStream_tbEUljE_ZNSN_ISO_Lb0ESQ_SR_ST_SU_SY_EESZ_S10_S11_S12_S16_S17_S18_S1B_S1C_jS1D_jS1E_S1E_jjS1G_bEUljE0_EEESZ_S10_S11_S18_S1C_S1E_T6_T7_T9_mT8_S1G_bDpT10_ENKUlT_T0_E_clISt17integral_constantIbLb0EES1U_EEDaS1P_S1Q_EUlS1P_E_NS1_11comp_targetILNS1_3genE5ELNS1_11target_archE942ELNS1_3gpuE9ELNS1_3repE0EEENS1_30default_config_static_selectorELNS0_4arch9wavefront6targetE1EEEvS12_,comdat
	.globl	_ZN7rocprim17ROCPRIM_400000_NS6detail17trampoline_kernelINS0_13select_configILj256ELj13ELNS0_17block_load_methodE3ELS4_3ELS4_3ELNS0_20block_scan_algorithmE0ELj4294967295EEENS1_25partition_config_selectorILNS1_17partition_subalgoE4EjNS0_10empty_typeEbEEZZNS1_14partition_implILS8_4ELb0ES6_15HIP_vector_typeIjLj2EENS0_17counting_iteratorIjlEEPS9_SG_NS0_5tupleIJPjSI_NS0_16reverse_iteratorISI_EEEEENSH_IJSG_SG_SG_EEES9_SI_JZNS1_25segmented_radix_sort_implINS0_14default_configELb0EPKdPdPKlPlN2at6native12_GLOBAL__N_18offset_tEEE10hipError_tPvRmT1_PNSt15iterator_traitsIS12_E10value_typeET2_T3_PNS13_IS18_E10value_typeET4_jRbjT5_S1E_jjP12ihipStream_tbEUljE_ZNSN_ISO_Lb0ESQ_SR_ST_SU_SY_EESZ_S10_S11_S12_S16_S17_S18_S1B_S1C_jS1D_jS1E_S1E_jjS1G_bEUljE0_EEESZ_S10_S11_S18_S1C_S1E_T6_T7_T9_mT8_S1G_bDpT10_ENKUlT_T0_E_clISt17integral_constantIbLb0EES1U_EEDaS1P_S1Q_EUlS1P_E_NS1_11comp_targetILNS1_3genE5ELNS1_11target_archE942ELNS1_3gpuE9ELNS1_3repE0EEENS1_30default_config_static_selectorELNS0_4arch9wavefront6targetE1EEEvS12_ ; -- Begin function _ZN7rocprim17ROCPRIM_400000_NS6detail17trampoline_kernelINS0_13select_configILj256ELj13ELNS0_17block_load_methodE3ELS4_3ELS4_3ELNS0_20block_scan_algorithmE0ELj4294967295EEENS1_25partition_config_selectorILNS1_17partition_subalgoE4EjNS0_10empty_typeEbEEZZNS1_14partition_implILS8_4ELb0ES6_15HIP_vector_typeIjLj2EENS0_17counting_iteratorIjlEEPS9_SG_NS0_5tupleIJPjSI_NS0_16reverse_iteratorISI_EEEEENSH_IJSG_SG_SG_EEES9_SI_JZNS1_25segmented_radix_sort_implINS0_14default_configELb0EPKdPdPKlPlN2at6native12_GLOBAL__N_18offset_tEEE10hipError_tPvRmT1_PNSt15iterator_traitsIS12_E10value_typeET2_T3_PNS13_IS18_E10value_typeET4_jRbjT5_S1E_jjP12ihipStream_tbEUljE_ZNSN_ISO_Lb0ESQ_SR_ST_SU_SY_EESZ_S10_S11_S12_S16_S17_S18_S1B_S1C_jS1D_jS1E_S1E_jjS1G_bEUljE0_EEESZ_S10_S11_S18_S1C_S1E_T6_T7_T9_mT8_S1G_bDpT10_ENKUlT_T0_E_clISt17integral_constantIbLb0EES1U_EEDaS1P_S1Q_EUlS1P_E_NS1_11comp_targetILNS1_3genE5ELNS1_11target_archE942ELNS1_3gpuE9ELNS1_3repE0EEENS1_30default_config_static_selectorELNS0_4arch9wavefront6targetE1EEEvS12_
	.p2align	8
	.type	_ZN7rocprim17ROCPRIM_400000_NS6detail17trampoline_kernelINS0_13select_configILj256ELj13ELNS0_17block_load_methodE3ELS4_3ELS4_3ELNS0_20block_scan_algorithmE0ELj4294967295EEENS1_25partition_config_selectorILNS1_17partition_subalgoE4EjNS0_10empty_typeEbEEZZNS1_14partition_implILS8_4ELb0ES6_15HIP_vector_typeIjLj2EENS0_17counting_iteratorIjlEEPS9_SG_NS0_5tupleIJPjSI_NS0_16reverse_iteratorISI_EEEEENSH_IJSG_SG_SG_EEES9_SI_JZNS1_25segmented_radix_sort_implINS0_14default_configELb0EPKdPdPKlPlN2at6native12_GLOBAL__N_18offset_tEEE10hipError_tPvRmT1_PNSt15iterator_traitsIS12_E10value_typeET2_T3_PNS13_IS18_E10value_typeET4_jRbjT5_S1E_jjP12ihipStream_tbEUljE_ZNSN_ISO_Lb0ESQ_SR_ST_SU_SY_EESZ_S10_S11_S12_S16_S17_S18_S1B_S1C_jS1D_jS1E_S1E_jjS1G_bEUljE0_EEESZ_S10_S11_S18_S1C_S1E_T6_T7_T9_mT8_S1G_bDpT10_ENKUlT_T0_E_clISt17integral_constantIbLb0EES1U_EEDaS1P_S1Q_EUlS1P_E_NS1_11comp_targetILNS1_3genE5ELNS1_11target_archE942ELNS1_3gpuE9ELNS1_3repE0EEENS1_30default_config_static_selectorELNS0_4arch9wavefront6targetE1EEEvS12_,@function
_ZN7rocprim17ROCPRIM_400000_NS6detail17trampoline_kernelINS0_13select_configILj256ELj13ELNS0_17block_load_methodE3ELS4_3ELS4_3ELNS0_20block_scan_algorithmE0ELj4294967295EEENS1_25partition_config_selectorILNS1_17partition_subalgoE4EjNS0_10empty_typeEbEEZZNS1_14partition_implILS8_4ELb0ES6_15HIP_vector_typeIjLj2EENS0_17counting_iteratorIjlEEPS9_SG_NS0_5tupleIJPjSI_NS0_16reverse_iteratorISI_EEEEENSH_IJSG_SG_SG_EEES9_SI_JZNS1_25segmented_radix_sort_implINS0_14default_configELb0EPKdPdPKlPlN2at6native12_GLOBAL__N_18offset_tEEE10hipError_tPvRmT1_PNSt15iterator_traitsIS12_E10value_typeET2_T3_PNS13_IS18_E10value_typeET4_jRbjT5_S1E_jjP12ihipStream_tbEUljE_ZNSN_ISO_Lb0ESQ_SR_ST_SU_SY_EESZ_S10_S11_S12_S16_S17_S18_S1B_S1C_jS1D_jS1E_S1E_jjS1G_bEUljE0_EEESZ_S10_S11_S18_S1C_S1E_T6_T7_T9_mT8_S1G_bDpT10_ENKUlT_T0_E_clISt17integral_constantIbLb0EES1U_EEDaS1P_S1Q_EUlS1P_E_NS1_11comp_targetILNS1_3genE5ELNS1_11target_archE942ELNS1_3gpuE9ELNS1_3repE0EEENS1_30default_config_static_selectorELNS0_4arch9wavefront6targetE1EEEvS12_: ; @_ZN7rocprim17ROCPRIM_400000_NS6detail17trampoline_kernelINS0_13select_configILj256ELj13ELNS0_17block_load_methodE3ELS4_3ELS4_3ELNS0_20block_scan_algorithmE0ELj4294967295EEENS1_25partition_config_selectorILNS1_17partition_subalgoE4EjNS0_10empty_typeEbEEZZNS1_14partition_implILS8_4ELb0ES6_15HIP_vector_typeIjLj2EENS0_17counting_iteratorIjlEEPS9_SG_NS0_5tupleIJPjSI_NS0_16reverse_iteratorISI_EEEEENSH_IJSG_SG_SG_EEES9_SI_JZNS1_25segmented_radix_sort_implINS0_14default_configELb0EPKdPdPKlPlN2at6native12_GLOBAL__N_18offset_tEEE10hipError_tPvRmT1_PNSt15iterator_traitsIS12_E10value_typeET2_T3_PNS13_IS18_E10value_typeET4_jRbjT5_S1E_jjP12ihipStream_tbEUljE_ZNSN_ISO_Lb0ESQ_SR_ST_SU_SY_EESZ_S10_S11_S12_S16_S17_S18_S1B_S1C_jS1D_jS1E_S1E_jjS1G_bEUljE0_EEESZ_S10_S11_S18_S1C_S1E_T6_T7_T9_mT8_S1G_bDpT10_ENKUlT_T0_E_clISt17integral_constantIbLb0EES1U_EEDaS1P_S1Q_EUlS1P_E_NS1_11comp_targetILNS1_3genE5ELNS1_11target_archE942ELNS1_3gpuE9ELNS1_3repE0EEENS1_30default_config_static_selectorELNS0_4arch9wavefront6targetE1EEEvS12_
; %bb.0:
	.section	.rodata,"a",@progbits
	.p2align	6, 0x0
	.amdhsa_kernel _ZN7rocprim17ROCPRIM_400000_NS6detail17trampoline_kernelINS0_13select_configILj256ELj13ELNS0_17block_load_methodE3ELS4_3ELS4_3ELNS0_20block_scan_algorithmE0ELj4294967295EEENS1_25partition_config_selectorILNS1_17partition_subalgoE4EjNS0_10empty_typeEbEEZZNS1_14partition_implILS8_4ELb0ES6_15HIP_vector_typeIjLj2EENS0_17counting_iteratorIjlEEPS9_SG_NS0_5tupleIJPjSI_NS0_16reverse_iteratorISI_EEEEENSH_IJSG_SG_SG_EEES9_SI_JZNS1_25segmented_radix_sort_implINS0_14default_configELb0EPKdPdPKlPlN2at6native12_GLOBAL__N_18offset_tEEE10hipError_tPvRmT1_PNSt15iterator_traitsIS12_E10value_typeET2_T3_PNS13_IS18_E10value_typeET4_jRbjT5_S1E_jjP12ihipStream_tbEUljE_ZNSN_ISO_Lb0ESQ_SR_ST_SU_SY_EESZ_S10_S11_S12_S16_S17_S18_S1B_S1C_jS1D_jS1E_S1E_jjS1G_bEUljE0_EEESZ_S10_S11_S18_S1C_S1E_T6_T7_T9_mT8_S1G_bDpT10_ENKUlT_T0_E_clISt17integral_constantIbLb0EES1U_EEDaS1P_S1Q_EUlS1P_E_NS1_11comp_targetILNS1_3genE5ELNS1_11target_archE942ELNS1_3gpuE9ELNS1_3repE0EEENS1_30default_config_static_selectorELNS0_4arch9wavefront6targetE1EEEvS12_
		.amdhsa_group_segment_fixed_size 0
		.amdhsa_private_segment_fixed_size 0
		.amdhsa_kernarg_size 176
		.amdhsa_user_sgpr_count 6
		.amdhsa_user_sgpr_private_segment_buffer 1
		.amdhsa_user_sgpr_dispatch_ptr 0
		.amdhsa_user_sgpr_queue_ptr 0
		.amdhsa_user_sgpr_kernarg_segment_ptr 1
		.amdhsa_user_sgpr_dispatch_id 0
		.amdhsa_user_sgpr_flat_scratch_init 0
		.amdhsa_user_sgpr_private_segment_size 0
		.amdhsa_uses_dynamic_stack 0
		.amdhsa_system_sgpr_private_segment_wavefront_offset 0
		.amdhsa_system_sgpr_workgroup_id_x 1
		.amdhsa_system_sgpr_workgroup_id_y 0
		.amdhsa_system_sgpr_workgroup_id_z 0
		.amdhsa_system_sgpr_workgroup_info 0
		.amdhsa_system_vgpr_workitem_id 0
		.amdhsa_next_free_vgpr 1
		.amdhsa_next_free_sgpr 0
		.amdhsa_reserve_vcc 0
		.amdhsa_reserve_flat_scratch 0
		.amdhsa_float_round_mode_32 0
		.amdhsa_float_round_mode_16_64 0
		.amdhsa_float_denorm_mode_32 3
		.amdhsa_float_denorm_mode_16_64 3
		.amdhsa_dx10_clamp 1
		.amdhsa_ieee_mode 1
		.amdhsa_fp16_overflow 0
		.amdhsa_exception_fp_ieee_invalid_op 0
		.amdhsa_exception_fp_denorm_src 0
		.amdhsa_exception_fp_ieee_div_zero 0
		.amdhsa_exception_fp_ieee_overflow 0
		.amdhsa_exception_fp_ieee_underflow 0
		.amdhsa_exception_fp_ieee_inexact 0
		.amdhsa_exception_int_div_zero 0
	.end_amdhsa_kernel
	.section	.text._ZN7rocprim17ROCPRIM_400000_NS6detail17trampoline_kernelINS0_13select_configILj256ELj13ELNS0_17block_load_methodE3ELS4_3ELS4_3ELNS0_20block_scan_algorithmE0ELj4294967295EEENS1_25partition_config_selectorILNS1_17partition_subalgoE4EjNS0_10empty_typeEbEEZZNS1_14partition_implILS8_4ELb0ES6_15HIP_vector_typeIjLj2EENS0_17counting_iteratorIjlEEPS9_SG_NS0_5tupleIJPjSI_NS0_16reverse_iteratorISI_EEEEENSH_IJSG_SG_SG_EEES9_SI_JZNS1_25segmented_radix_sort_implINS0_14default_configELb0EPKdPdPKlPlN2at6native12_GLOBAL__N_18offset_tEEE10hipError_tPvRmT1_PNSt15iterator_traitsIS12_E10value_typeET2_T3_PNS13_IS18_E10value_typeET4_jRbjT5_S1E_jjP12ihipStream_tbEUljE_ZNSN_ISO_Lb0ESQ_SR_ST_SU_SY_EESZ_S10_S11_S12_S16_S17_S18_S1B_S1C_jS1D_jS1E_S1E_jjS1G_bEUljE0_EEESZ_S10_S11_S18_S1C_S1E_T6_T7_T9_mT8_S1G_bDpT10_ENKUlT_T0_E_clISt17integral_constantIbLb0EES1U_EEDaS1P_S1Q_EUlS1P_E_NS1_11comp_targetILNS1_3genE5ELNS1_11target_archE942ELNS1_3gpuE9ELNS1_3repE0EEENS1_30default_config_static_selectorELNS0_4arch9wavefront6targetE1EEEvS12_,"axG",@progbits,_ZN7rocprim17ROCPRIM_400000_NS6detail17trampoline_kernelINS0_13select_configILj256ELj13ELNS0_17block_load_methodE3ELS4_3ELS4_3ELNS0_20block_scan_algorithmE0ELj4294967295EEENS1_25partition_config_selectorILNS1_17partition_subalgoE4EjNS0_10empty_typeEbEEZZNS1_14partition_implILS8_4ELb0ES6_15HIP_vector_typeIjLj2EENS0_17counting_iteratorIjlEEPS9_SG_NS0_5tupleIJPjSI_NS0_16reverse_iteratorISI_EEEEENSH_IJSG_SG_SG_EEES9_SI_JZNS1_25segmented_radix_sort_implINS0_14default_configELb0EPKdPdPKlPlN2at6native12_GLOBAL__N_18offset_tEEE10hipError_tPvRmT1_PNSt15iterator_traitsIS12_E10value_typeET2_T3_PNS13_IS18_E10value_typeET4_jRbjT5_S1E_jjP12ihipStream_tbEUljE_ZNSN_ISO_Lb0ESQ_SR_ST_SU_SY_EESZ_S10_S11_S12_S16_S17_S18_S1B_S1C_jS1D_jS1E_S1E_jjS1G_bEUljE0_EEESZ_S10_S11_S18_S1C_S1E_T6_T7_T9_mT8_S1G_bDpT10_ENKUlT_T0_E_clISt17integral_constantIbLb0EES1U_EEDaS1P_S1Q_EUlS1P_E_NS1_11comp_targetILNS1_3genE5ELNS1_11target_archE942ELNS1_3gpuE9ELNS1_3repE0EEENS1_30default_config_static_selectorELNS0_4arch9wavefront6targetE1EEEvS12_,comdat
.Lfunc_end1158:
	.size	_ZN7rocprim17ROCPRIM_400000_NS6detail17trampoline_kernelINS0_13select_configILj256ELj13ELNS0_17block_load_methodE3ELS4_3ELS4_3ELNS0_20block_scan_algorithmE0ELj4294967295EEENS1_25partition_config_selectorILNS1_17partition_subalgoE4EjNS0_10empty_typeEbEEZZNS1_14partition_implILS8_4ELb0ES6_15HIP_vector_typeIjLj2EENS0_17counting_iteratorIjlEEPS9_SG_NS0_5tupleIJPjSI_NS0_16reverse_iteratorISI_EEEEENSH_IJSG_SG_SG_EEES9_SI_JZNS1_25segmented_radix_sort_implINS0_14default_configELb0EPKdPdPKlPlN2at6native12_GLOBAL__N_18offset_tEEE10hipError_tPvRmT1_PNSt15iterator_traitsIS12_E10value_typeET2_T3_PNS13_IS18_E10value_typeET4_jRbjT5_S1E_jjP12ihipStream_tbEUljE_ZNSN_ISO_Lb0ESQ_SR_ST_SU_SY_EESZ_S10_S11_S12_S16_S17_S18_S1B_S1C_jS1D_jS1E_S1E_jjS1G_bEUljE0_EEESZ_S10_S11_S18_S1C_S1E_T6_T7_T9_mT8_S1G_bDpT10_ENKUlT_T0_E_clISt17integral_constantIbLb0EES1U_EEDaS1P_S1Q_EUlS1P_E_NS1_11comp_targetILNS1_3genE5ELNS1_11target_archE942ELNS1_3gpuE9ELNS1_3repE0EEENS1_30default_config_static_selectorELNS0_4arch9wavefront6targetE1EEEvS12_, .Lfunc_end1158-_ZN7rocprim17ROCPRIM_400000_NS6detail17trampoline_kernelINS0_13select_configILj256ELj13ELNS0_17block_load_methodE3ELS4_3ELS4_3ELNS0_20block_scan_algorithmE0ELj4294967295EEENS1_25partition_config_selectorILNS1_17partition_subalgoE4EjNS0_10empty_typeEbEEZZNS1_14partition_implILS8_4ELb0ES6_15HIP_vector_typeIjLj2EENS0_17counting_iteratorIjlEEPS9_SG_NS0_5tupleIJPjSI_NS0_16reverse_iteratorISI_EEEEENSH_IJSG_SG_SG_EEES9_SI_JZNS1_25segmented_radix_sort_implINS0_14default_configELb0EPKdPdPKlPlN2at6native12_GLOBAL__N_18offset_tEEE10hipError_tPvRmT1_PNSt15iterator_traitsIS12_E10value_typeET2_T3_PNS13_IS18_E10value_typeET4_jRbjT5_S1E_jjP12ihipStream_tbEUljE_ZNSN_ISO_Lb0ESQ_SR_ST_SU_SY_EESZ_S10_S11_S12_S16_S17_S18_S1B_S1C_jS1D_jS1E_S1E_jjS1G_bEUljE0_EEESZ_S10_S11_S18_S1C_S1E_T6_T7_T9_mT8_S1G_bDpT10_ENKUlT_T0_E_clISt17integral_constantIbLb0EES1U_EEDaS1P_S1Q_EUlS1P_E_NS1_11comp_targetILNS1_3genE5ELNS1_11target_archE942ELNS1_3gpuE9ELNS1_3repE0EEENS1_30default_config_static_selectorELNS0_4arch9wavefront6targetE1EEEvS12_
                                        ; -- End function
	.set _ZN7rocprim17ROCPRIM_400000_NS6detail17trampoline_kernelINS0_13select_configILj256ELj13ELNS0_17block_load_methodE3ELS4_3ELS4_3ELNS0_20block_scan_algorithmE0ELj4294967295EEENS1_25partition_config_selectorILNS1_17partition_subalgoE4EjNS0_10empty_typeEbEEZZNS1_14partition_implILS8_4ELb0ES6_15HIP_vector_typeIjLj2EENS0_17counting_iteratorIjlEEPS9_SG_NS0_5tupleIJPjSI_NS0_16reverse_iteratorISI_EEEEENSH_IJSG_SG_SG_EEES9_SI_JZNS1_25segmented_radix_sort_implINS0_14default_configELb0EPKdPdPKlPlN2at6native12_GLOBAL__N_18offset_tEEE10hipError_tPvRmT1_PNSt15iterator_traitsIS12_E10value_typeET2_T3_PNS13_IS18_E10value_typeET4_jRbjT5_S1E_jjP12ihipStream_tbEUljE_ZNSN_ISO_Lb0ESQ_SR_ST_SU_SY_EESZ_S10_S11_S12_S16_S17_S18_S1B_S1C_jS1D_jS1E_S1E_jjS1G_bEUljE0_EEESZ_S10_S11_S18_S1C_S1E_T6_T7_T9_mT8_S1G_bDpT10_ENKUlT_T0_E_clISt17integral_constantIbLb0EES1U_EEDaS1P_S1Q_EUlS1P_E_NS1_11comp_targetILNS1_3genE5ELNS1_11target_archE942ELNS1_3gpuE9ELNS1_3repE0EEENS1_30default_config_static_selectorELNS0_4arch9wavefront6targetE1EEEvS12_.num_vgpr, 0
	.set _ZN7rocprim17ROCPRIM_400000_NS6detail17trampoline_kernelINS0_13select_configILj256ELj13ELNS0_17block_load_methodE3ELS4_3ELS4_3ELNS0_20block_scan_algorithmE0ELj4294967295EEENS1_25partition_config_selectorILNS1_17partition_subalgoE4EjNS0_10empty_typeEbEEZZNS1_14partition_implILS8_4ELb0ES6_15HIP_vector_typeIjLj2EENS0_17counting_iteratorIjlEEPS9_SG_NS0_5tupleIJPjSI_NS0_16reverse_iteratorISI_EEEEENSH_IJSG_SG_SG_EEES9_SI_JZNS1_25segmented_radix_sort_implINS0_14default_configELb0EPKdPdPKlPlN2at6native12_GLOBAL__N_18offset_tEEE10hipError_tPvRmT1_PNSt15iterator_traitsIS12_E10value_typeET2_T3_PNS13_IS18_E10value_typeET4_jRbjT5_S1E_jjP12ihipStream_tbEUljE_ZNSN_ISO_Lb0ESQ_SR_ST_SU_SY_EESZ_S10_S11_S12_S16_S17_S18_S1B_S1C_jS1D_jS1E_S1E_jjS1G_bEUljE0_EEESZ_S10_S11_S18_S1C_S1E_T6_T7_T9_mT8_S1G_bDpT10_ENKUlT_T0_E_clISt17integral_constantIbLb0EES1U_EEDaS1P_S1Q_EUlS1P_E_NS1_11comp_targetILNS1_3genE5ELNS1_11target_archE942ELNS1_3gpuE9ELNS1_3repE0EEENS1_30default_config_static_selectorELNS0_4arch9wavefront6targetE1EEEvS12_.num_agpr, 0
	.set _ZN7rocprim17ROCPRIM_400000_NS6detail17trampoline_kernelINS0_13select_configILj256ELj13ELNS0_17block_load_methodE3ELS4_3ELS4_3ELNS0_20block_scan_algorithmE0ELj4294967295EEENS1_25partition_config_selectorILNS1_17partition_subalgoE4EjNS0_10empty_typeEbEEZZNS1_14partition_implILS8_4ELb0ES6_15HIP_vector_typeIjLj2EENS0_17counting_iteratorIjlEEPS9_SG_NS0_5tupleIJPjSI_NS0_16reverse_iteratorISI_EEEEENSH_IJSG_SG_SG_EEES9_SI_JZNS1_25segmented_radix_sort_implINS0_14default_configELb0EPKdPdPKlPlN2at6native12_GLOBAL__N_18offset_tEEE10hipError_tPvRmT1_PNSt15iterator_traitsIS12_E10value_typeET2_T3_PNS13_IS18_E10value_typeET4_jRbjT5_S1E_jjP12ihipStream_tbEUljE_ZNSN_ISO_Lb0ESQ_SR_ST_SU_SY_EESZ_S10_S11_S12_S16_S17_S18_S1B_S1C_jS1D_jS1E_S1E_jjS1G_bEUljE0_EEESZ_S10_S11_S18_S1C_S1E_T6_T7_T9_mT8_S1G_bDpT10_ENKUlT_T0_E_clISt17integral_constantIbLb0EES1U_EEDaS1P_S1Q_EUlS1P_E_NS1_11comp_targetILNS1_3genE5ELNS1_11target_archE942ELNS1_3gpuE9ELNS1_3repE0EEENS1_30default_config_static_selectorELNS0_4arch9wavefront6targetE1EEEvS12_.numbered_sgpr, 0
	.set _ZN7rocprim17ROCPRIM_400000_NS6detail17trampoline_kernelINS0_13select_configILj256ELj13ELNS0_17block_load_methodE3ELS4_3ELS4_3ELNS0_20block_scan_algorithmE0ELj4294967295EEENS1_25partition_config_selectorILNS1_17partition_subalgoE4EjNS0_10empty_typeEbEEZZNS1_14partition_implILS8_4ELb0ES6_15HIP_vector_typeIjLj2EENS0_17counting_iteratorIjlEEPS9_SG_NS0_5tupleIJPjSI_NS0_16reverse_iteratorISI_EEEEENSH_IJSG_SG_SG_EEES9_SI_JZNS1_25segmented_radix_sort_implINS0_14default_configELb0EPKdPdPKlPlN2at6native12_GLOBAL__N_18offset_tEEE10hipError_tPvRmT1_PNSt15iterator_traitsIS12_E10value_typeET2_T3_PNS13_IS18_E10value_typeET4_jRbjT5_S1E_jjP12ihipStream_tbEUljE_ZNSN_ISO_Lb0ESQ_SR_ST_SU_SY_EESZ_S10_S11_S12_S16_S17_S18_S1B_S1C_jS1D_jS1E_S1E_jjS1G_bEUljE0_EEESZ_S10_S11_S18_S1C_S1E_T6_T7_T9_mT8_S1G_bDpT10_ENKUlT_T0_E_clISt17integral_constantIbLb0EES1U_EEDaS1P_S1Q_EUlS1P_E_NS1_11comp_targetILNS1_3genE5ELNS1_11target_archE942ELNS1_3gpuE9ELNS1_3repE0EEENS1_30default_config_static_selectorELNS0_4arch9wavefront6targetE1EEEvS12_.num_named_barrier, 0
	.set _ZN7rocprim17ROCPRIM_400000_NS6detail17trampoline_kernelINS0_13select_configILj256ELj13ELNS0_17block_load_methodE3ELS4_3ELS4_3ELNS0_20block_scan_algorithmE0ELj4294967295EEENS1_25partition_config_selectorILNS1_17partition_subalgoE4EjNS0_10empty_typeEbEEZZNS1_14partition_implILS8_4ELb0ES6_15HIP_vector_typeIjLj2EENS0_17counting_iteratorIjlEEPS9_SG_NS0_5tupleIJPjSI_NS0_16reverse_iteratorISI_EEEEENSH_IJSG_SG_SG_EEES9_SI_JZNS1_25segmented_radix_sort_implINS0_14default_configELb0EPKdPdPKlPlN2at6native12_GLOBAL__N_18offset_tEEE10hipError_tPvRmT1_PNSt15iterator_traitsIS12_E10value_typeET2_T3_PNS13_IS18_E10value_typeET4_jRbjT5_S1E_jjP12ihipStream_tbEUljE_ZNSN_ISO_Lb0ESQ_SR_ST_SU_SY_EESZ_S10_S11_S12_S16_S17_S18_S1B_S1C_jS1D_jS1E_S1E_jjS1G_bEUljE0_EEESZ_S10_S11_S18_S1C_S1E_T6_T7_T9_mT8_S1G_bDpT10_ENKUlT_T0_E_clISt17integral_constantIbLb0EES1U_EEDaS1P_S1Q_EUlS1P_E_NS1_11comp_targetILNS1_3genE5ELNS1_11target_archE942ELNS1_3gpuE9ELNS1_3repE0EEENS1_30default_config_static_selectorELNS0_4arch9wavefront6targetE1EEEvS12_.private_seg_size, 0
	.set _ZN7rocprim17ROCPRIM_400000_NS6detail17trampoline_kernelINS0_13select_configILj256ELj13ELNS0_17block_load_methodE3ELS4_3ELS4_3ELNS0_20block_scan_algorithmE0ELj4294967295EEENS1_25partition_config_selectorILNS1_17partition_subalgoE4EjNS0_10empty_typeEbEEZZNS1_14partition_implILS8_4ELb0ES6_15HIP_vector_typeIjLj2EENS0_17counting_iteratorIjlEEPS9_SG_NS0_5tupleIJPjSI_NS0_16reverse_iteratorISI_EEEEENSH_IJSG_SG_SG_EEES9_SI_JZNS1_25segmented_radix_sort_implINS0_14default_configELb0EPKdPdPKlPlN2at6native12_GLOBAL__N_18offset_tEEE10hipError_tPvRmT1_PNSt15iterator_traitsIS12_E10value_typeET2_T3_PNS13_IS18_E10value_typeET4_jRbjT5_S1E_jjP12ihipStream_tbEUljE_ZNSN_ISO_Lb0ESQ_SR_ST_SU_SY_EESZ_S10_S11_S12_S16_S17_S18_S1B_S1C_jS1D_jS1E_S1E_jjS1G_bEUljE0_EEESZ_S10_S11_S18_S1C_S1E_T6_T7_T9_mT8_S1G_bDpT10_ENKUlT_T0_E_clISt17integral_constantIbLb0EES1U_EEDaS1P_S1Q_EUlS1P_E_NS1_11comp_targetILNS1_3genE5ELNS1_11target_archE942ELNS1_3gpuE9ELNS1_3repE0EEENS1_30default_config_static_selectorELNS0_4arch9wavefront6targetE1EEEvS12_.uses_vcc, 0
	.set _ZN7rocprim17ROCPRIM_400000_NS6detail17trampoline_kernelINS0_13select_configILj256ELj13ELNS0_17block_load_methodE3ELS4_3ELS4_3ELNS0_20block_scan_algorithmE0ELj4294967295EEENS1_25partition_config_selectorILNS1_17partition_subalgoE4EjNS0_10empty_typeEbEEZZNS1_14partition_implILS8_4ELb0ES6_15HIP_vector_typeIjLj2EENS0_17counting_iteratorIjlEEPS9_SG_NS0_5tupleIJPjSI_NS0_16reverse_iteratorISI_EEEEENSH_IJSG_SG_SG_EEES9_SI_JZNS1_25segmented_radix_sort_implINS0_14default_configELb0EPKdPdPKlPlN2at6native12_GLOBAL__N_18offset_tEEE10hipError_tPvRmT1_PNSt15iterator_traitsIS12_E10value_typeET2_T3_PNS13_IS18_E10value_typeET4_jRbjT5_S1E_jjP12ihipStream_tbEUljE_ZNSN_ISO_Lb0ESQ_SR_ST_SU_SY_EESZ_S10_S11_S12_S16_S17_S18_S1B_S1C_jS1D_jS1E_S1E_jjS1G_bEUljE0_EEESZ_S10_S11_S18_S1C_S1E_T6_T7_T9_mT8_S1G_bDpT10_ENKUlT_T0_E_clISt17integral_constantIbLb0EES1U_EEDaS1P_S1Q_EUlS1P_E_NS1_11comp_targetILNS1_3genE5ELNS1_11target_archE942ELNS1_3gpuE9ELNS1_3repE0EEENS1_30default_config_static_selectorELNS0_4arch9wavefront6targetE1EEEvS12_.uses_flat_scratch, 0
	.set _ZN7rocprim17ROCPRIM_400000_NS6detail17trampoline_kernelINS0_13select_configILj256ELj13ELNS0_17block_load_methodE3ELS4_3ELS4_3ELNS0_20block_scan_algorithmE0ELj4294967295EEENS1_25partition_config_selectorILNS1_17partition_subalgoE4EjNS0_10empty_typeEbEEZZNS1_14partition_implILS8_4ELb0ES6_15HIP_vector_typeIjLj2EENS0_17counting_iteratorIjlEEPS9_SG_NS0_5tupleIJPjSI_NS0_16reverse_iteratorISI_EEEEENSH_IJSG_SG_SG_EEES9_SI_JZNS1_25segmented_radix_sort_implINS0_14default_configELb0EPKdPdPKlPlN2at6native12_GLOBAL__N_18offset_tEEE10hipError_tPvRmT1_PNSt15iterator_traitsIS12_E10value_typeET2_T3_PNS13_IS18_E10value_typeET4_jRbjT5_S1E_jjP12ihipStream_tbEUljE_ZNSN_ISO_Lb0ESQ_SR_ST_SU_SY_EESZ_S10_S11_S12_S16_S17_S18_S1B_S1C_jS1D_jS1E_S1E_jjS1G_bEUljE0_EEESZ_S10_S11_S18_S1C_S1E_T6_T7_T9_mT8_S1G_bDpT10_ENKUlT_T0_E_clISt17integral_constantIbLb0EES1U_EEDaS1P_S1Q_EUlS1P_E_NS1_11comp_targetILNS1_3genE5ELNS1_11target_archE942ELNS1_3gpuE9ELNS1_3repE0EEENS1_30default_config_static_selectorELNS0_4arch9wavefront6targetE1EEEvS12_.has_dyn_sized_stack, 0
	.set _ZN7rocprim17ROCPRIM_400000_NS6detail17trampoline_kernelINS0_13select_configILj256ELj13ELNS0_17block_load_methodE3ELS4_3ELS4_3ELNS0_20block_scan_algorithmE0ELj4294967295EEENS1_25partition_config_selectorILNS1_17partition_subalgoE4EjNS0_10empty_typeEbEEZZNS1_14partition_implILS8_4ELb0ES6_15HIP_vector_typeIjLj2EENS0_17counting_iteratorIjlEEPS9_SG_NS0_5tupleIJPjSI_NS0_16reverse_iteratorISI_EEEEENSH_IJSG_SG_SG_EEES9_SI_JZNS1_25segmented_radix_sort_implINS0_14default_configELb0EPKdPdPKlPlN2at6native12_GLOBAL__N_18offset_tEEE10hipError_tPvRmT1_PNSt15iterator_traitsIS12_E10value_typeET2_T3_PNS13_IS18_E10value_typeET4_jRbjT5_S1E_jjP12ihipStream_tbEUljE_ZNSN_ISO_Lb0ESQ_SR_ST_SU_SY_EESZ_S10_S11_S12_S16_S17_S18_S1B_S1C_jS1D_jS1E_S1E_jjS1G_bEUljE0_EEESZ_S10_S11_S18_S1C_S1E_T6_T7_T9_mT8_S1G_bDpT10_ENKUlT_T0_E_clISt17integral_constantIbLb0EES1U_EEDaS1P_S1Q_EUlS1P_E_NS1_11comp_targetILNS1_3genE5ELNS1_11target_archE942ELNS1_3gpuE9ELNS1_3repE0EEENS1_30default_config_static_selectorELNS0_4arch9wavefront6targetE1EEEvS12_.has_recursion, 0
	.set _ZN7rocprim17ROCPRIM_400000_NS6detail17trampoline_kernelINS0_13select_configILj256ELj13ELNS0_17block_load_methodE3ELS4_3ELS4_3ELNS0_20block_scan_algorithmE0ELj4294967295EEENS1_25partition_config_selectorILNS1_17partition_subalgoE4EjNS0_10empty_typeEbEEZZNS1_14partition_implILS8_4ELb0ES6_15HIP_vector_typeIjLj2EENS0_17counting_iteratorIjlEEPS9_SG_NS0_5tupleIJPjSI_NS0_16reverse_iteratorISI_EEEEENSH_IJSG_SG_SG_EEES9_SI_JZNS1_25segmented_radix_sort_implINS0_14default_configELb0EPKdPdPKlPlN2at6native12_GLOBAL__N_18offset_tEEE10hipError_tPvRmT1_PNSt15iterator_traitsIS12_E10value_typeET2_T3_PNS13_IS18_E10value_typeET4_jRbjT5_S1E_jjP12ihipStream_tbEUljE_ZNSN_ISO_Lb0ESQ_SR_ST_SU_SY_EESZ_S10_S11_S12_S16_S17_S18_S1B_S1C_jS1D_jS1E_S1E_jjS1G_bEUljE0_EEESZ_S10_S11_S18_S1C_S1E_T6_T7_T9_mT8_S1G_bDpT10_ENKUlT_T0_E_clISt17integral_constantIbLb0EES1U_EEDaS1P_S1Q_EUlS1P_E_NS1_11comp_targetILNS1_3genE5ELNS1_11target_archE942ELNS1_3gpuE9ELNS1_3repE0EEENS1_30default_config_static_selectorELNS0_4arch9wavefront6targetE1EEEvS12_.has_indirect_call, 0
	.section	.AMDGPU.csdata,"",@progbits
; Kernel info:
; codeLenInByte = 0
; TotalNumSgprs: 4
; NumVgprs: 0
; ScratchSize: 0
; MemoryBound: 0
; FloatMode: 240
; IeeeMode: 1
; LDSByteSize: 0 bytes/workgroup (compile time only)
; SGPRBlocks: 0
; VGPRBlocks: 0
; NumSGPRsForWavesPerEU: 4
; NumVGPRsForWavesPerEU: 1
; Occupancy: 10
; WaveLimiterHint : 0
; COMPUTE_PGM_RSRC2:SCRATCH_EN: 0
; COMPUTE_PGM_RSRC2:USER_SGPR: 6
; COMPUTE_PGM_RSRC2:TRAP_HANDLER: 0
; COMPUTE_PGM_RSRC2:TGID_X_EN: 1
; COMPUTE_PGM_RSRC2:TGID_Y_EN: 0
; COMPUTE_PGM_RSRC2:TGID_Z_EN: 0
; COMPUTE_PGM_RSRC2:TIDIG_COMP_CNT: 0
	.section	.text._ZN7rocprim17ROCPRIM_400000_NS6detail17trampoline_kernelINS0_13select_configILj256ELj13ELNS0_17block_load_methodE3ELS4_3ELS4_3ELNS0_20block_scan_algorithmE0ELj4294967295EEENS1_25partition_config_selectorILNS1_17partition_subalgoE4EjNS0_10empty_typeEbEEZZNS1_14partition_implILS8_4ELb0ES6_15HIP_vector_typeIjLj2EENS0_17counting_iteratorIjlEEPS9_SG_NS0_5tupleIJPjSI_NS0_16reverse_iteratorISI_EEEEENSH_IJSG_SG_SG_EEES9_SI_JZNS1_25segmented_radix_sort_implINS0_14default_configELb0EPKdPdPKlPlN2at6native12_GLOBAL__N_18offset_tEEE10hipError_tPvRmT1_PNSt15iterator_traitsIS12_E10value_typeET2_T3_PNS13_IS18_E10value_typeET4_jRbjT5_S1E_jjP12ihipStream_tbEUljE_ZNSN_ISO_Lb0ESQ_SR_ST_SU_SY_EESZ_S10_S11_S12_S16_S17_S18_S1B_S1C_jS1D_jS1E_S1E_jjS1G_bEUljE0_EEESZ_S10_S11_S18_S1C_S1E_T6_T7_T9_mT8_S1G_bDpT10_ENKUlT_T0_E_clISt17integral_constantIbLb0EES1U_EEDaS1P_S1Q_EUlS1P_E_NS1_11comp_targetILNS1_3genE4ELNS1_11target_archE910ELNS1_3gpuE8ELNS1_3repE0EEENS1_30default_config_static_selectorELNS0_4arch9wavefront6targetE1EEEvS12_,"axG",@progbits,_ZN7rocprim17ROCPRIM_400000_NS6detail17trampoline_kernelINS0_13select_configILj256ELj13ELNS0_17block_load_methodE3ELS4_3ELS4_3ELNS0_20block_scan_algorithmE0ELj4294967295EEENS1_25partition_config_selectorILNS1_17partition_subalgoE4EjNS0_10empty_typeEbEEZZNS1_14partition_implILS8_4ELb0ES6_15HIP_vector_typeIjLj2EENS0_17counting_iteratorIjlEEPS9_SG_NS0_5tupleIJPjSI_NS0_16reverse_iteratorISI_EEEEENSH_IJSG_SG_SG_EEES9_SI_JZNS1_25segmented_radix_sort_implINS0_14default_configELb0EPKdPdPKlPlN2at6native12_GLOBAL__N_18offset_tEEE10hipError_tPvRmT1_PNSt15iterator_traitsIS12_E10value_typeET2_T3_PNS13_IS18_E10value_typeET4_jRbjT5_S1E_jjP12ihipStream_tbEUljE_ZNSN_ISO_Lb0ESQ_SR_ST_SU_SY_EESZ_S10_S11_S12_S16_S17_S18_S1B_S1C_jS1D_jS1E_S1E_jjS1G_bEUljE0_EEESZ_S10_S11_S18_S1C_S1E_T6_T7_T9_mT8_S1G_bDpT10_ENKUlT_T0_E_clISt17integral_constantIbLb0EES1U_EEDaS1P_S1Q_EUlS1P_E_NS1_11comp_targetILNS1_3genE4ELNS1_11target_archE910ELNS1_3gpuE8ELNS1_3repE0EEENS1_30default_config_static_selectorELNS0_4arch9wavefront6targetE1EEEvS12_,comdat
	.globl	_ZN7rocprim17ROCPRIM_400000_NS6detail17trampoline_kernelINS0_13select_configILj256ELj13ELNS0_17block_load_methodE3ELS4_3ELS4_3ELNS0_20block_scan_algorithmE0ELj4294967295EEENS1_25partition_config_selectorILNS1_17partition_subalgoE4EjNS0_10empty_typeEbEEZZNS1_14partition_implILS8_4ELb0ES6_15HIP_vector_typeIjLj2EENS0_17counting_iteratorIjlEEPS9_SG_NS0_5tupleIJPjSI_NS0_16reverse_iteratorISI_EEEEENSH_IJSG_SG_SG_EEES9_SI_JZNS1_25segmented_radix_sort_implINS0_14default_configELb0EPKdPdPKlPlN2at6native12_GLOBAL__N_18offset_tEEE10hipError_tPvRmT1_PNSt15iterator_traitsIS12_E10value_typeET2_T3_PNS13_IS18_E10value_typeET4_jRbjT5_S1E_jjP12ihipStream_tbEUljE_ZNSN_ISO_Lb0ESQ_SR_ST_SU_SY_EESZ_S10_S11_S12_S16_S17_S18_S1B_S1C_jS1D_jS1E_S1E_jjS1G_bEUljE0_EEESZ_S10_S11_S18_S1C_S1E_T6_T7_T9_mT8_S1G_bDpT10_ENKUlT_T0_E_clISt17integral_constantIbLb0EES1U_EEDaS1P_S1Q_EUlS1P_E_NS1_11comp_targetILNS1_3genE4ELNS1_11target_archE910ELNS1_3gpuE8ELNS1_3repE0EEENS1_30default_config_static_selectorELNS0_4arch9wavefront6targetE1EEEvS12_ ; -- Begin function _ZN7rocprim17ROCPRIM_400000_NS6detail17trampoline_kernelINS0_13select_configILj256ELj13ELNS0_17block_load_methodE3ELS4_3ELS4_3ELNS0_20block_scan_algorithmE0ELj4294967295EEENS1_25partition_config_selectorILNS1_17partition_subalgoE4EjNS0_10empty_typeEbEEZZNS1_14partition_implILS8_4ELb0ES6_15HIP_vector_typeIjLj2EENS0_17counting_iteratorIjlEEPS9_SG_NS0_5tupleIJPjSI_NS0_16reverse_iteratorISI_EEEEENSH_IJSG_SG_SG_EEES9_SI_JZNS1_25segmented_radix_sort_implINS0_14default_configELb0EPKdPdPKlPlN2at6native12_GLOBAL__N_18offset_tEEE10hipError_tPvRmT1_PNSt15iterator_traitsIS12_E10value_typeET2_T3_PNS13_IS18_E10value_typeET4_jRbjT5_S1E_jjP12ihipStream_tbEUljE_ZNSN_ISO_Lb0ESQ_SR_ST_SU_SY_EESZ_S10_S11_S12_S16_S17_S18_S1B_S1C_jS1D_jS1E_S1E_jjS1G_bEUljE0_EEESZ_S10_S11_S18_S1C_S1E_T6_T7_T9_mT8_S1G_bDpT10_ENKUlT_T0_E_clISt17integral_constantIbLb0EES1U_EEDaS1P_S1Q_EUlS1P_E_NS1_11comp_targetILNS1_3genE4ELNS1_11target_archE910ELNS1_3gpuE8ELNS1_3repE0EEENS1_30default_config_static_selectorELNS0_4arch9wavefront6targetE1EEEvS12_
	.p2align	8
	.type	_ZN7rocprim17ROCPRIM_400000_NS6detail17trampoline_kernelINS0_13select_configILj256ELj13ELNS0_17block_load_methodE3ELS4_3ELS4_3ELNS0_20block_scan_algorithmE0ELj4294967295EEENS1_25partition_config_selectorILNS1_17partition_subalgoE4EjNS0_10empty_typeEbEEZZNS1_14partition_implILS8_4ELb0ES6_15HIP_vector_typeIjLj2EENS0_17counting_iteratorIjlEEPS9_SG_NS0_5tupleIJPjSI_NS0_16reverse_iteratorISI_EEEEENSH_IJSG_SG_SG_EEES9_SI_JZNS1_25segmented_radix_sort_implINS0_14default_configELb0EPKdPdPKlPlN2at6native12_GLOBAL__N_18offset_tEEE10hipError_tPvRmT1_PNSt15iterator_traitsIS12_E10value_typeET2_T3_PNS13_IS18_E10value_typeET4_jRbjT5_S1E_jjP12ihipStream_tbEUljE_ZNSN_ISO_Lb0ESQ_SR_ST_SU_SY_EESZ_S10_S11_S12_S16_S17_S18_S1B_S1C_jS1D_jS1E_S1E_jjS1G_bEUljE0_EEESZ_S10_S11_S18_S1C_S1E_T6_T7_T9_mT8_S1G_bDpT10_ENKUlT_T0_E_clISt17integral_constantIbLb0EES1U_EEDaS1P_S1Q_EUlS1P_E_NS1_11comp_targetILNS1_3genE4ELNS1_11target_archE910ELNS1_3gpuE8ELNS1_3repE0EEENS1_30default_config_static_selectorELNS0_4arch9wavefront6targetE1EEEvS12_,@function
_ZN7rocprim17ROCPRIM_400000_NS6detail17trampoline_kernelINS0_13select_configILj256ELj13ELNS0_17block_load_methodE3ELS4_3ELS4_3ELNS0_20block_scan_algorithmE0ELj4294967295EEENS1_25partition_config_selectorILNS1_17partition_subalgoE4EjNS0_10empty_typeEbEEZZNS1_14partition_implILS8_4ELb0ES6_15HIP_vector_typeIjLj2EENS0_17counting_iteratorIjlEEPS9_SG_NS0_5tupleIJPjSI_NS0_16reverse_iteratorISI_EEEEENSH_IJSG_SG_SG_EEES9_SI_JZNS1_25segmented_radix_sort_implINS0_14default_configELb0EPKdPdPKlPlN2at6native12_GLOBAL__N_18offset_tEEE10hipError_tPvRmT1_PNSt15iterator_traitsIS12_E10value_typeET2_T3_PNS13_IS18_E10value_typeET4_jRbjT5_S1E_jjP12ihipStream_tbEUljE_ZNSN_ISO_Lb0ESQ_SR_ST_SU_SY_EESZ_S10_S11_S12_S16_S17_S18_S1B_S1C_jS1D_jS1E_S1E_jjS1G_bEUljE0_EEESZ_S10_S11_S18_S1C_S1E_T6_T7_T9_mT8_S1G_bDpT10_ENKUlT_T0_E_clISt17integral_constantIbLb0EES1U_EEDaS1P_S1Q_EUlS1P_E_NS1_11comp_targetILNS1_3genE4ELNS1_11target_archE910ELNS1_3gpuE8ELNS1_3repE0EEENS1_30default_config_static_selectorELNS0_4arch9wavefront6targetE1EEEvS12_: ; @_ZN7rocprim17ROCPRIM_400000_NS6detail17trampoline_kernelINS0_13select_configILj256ELj13ELNS0_17block_load_methodE3ELS4_3ELS4_3ELNS0_20block_scan_algorithmE0ELj4294967295EEENS1_25partition_config_selectorILNS1_17partition_subalgoE4EjNS0_10empty_typeEbEEZZNS1_14partition_implILS8_4ELb0ES6_15HIP_vector_typeIjLj2EENS0_17counting_iteratorIjlEEPS9_SG_NS0_5tupleIJPjSI_NS0_16reverse_iteratorISI_EEEEENSH_IJSG_SG_SG_EEES9_SI_JZNS1_25segmented_radix_sort_implINS0_14default_configELb0EPKdPdPKlPlN2at6native12_GLOBAL__N_18offset_tEEE10hipError_tPvRmT1_PNSt15iterator_traitsIS12_E10value_typeET2_T3_PNS13_IS18_E10value_typeET4_jRbjT5_S1E_jjP12ihipStream_tbEUljE_ZNSN_ISO_Lb0ESQ_SR_ST_SU_SY_EESZ_S10_S11_S12_S16_S17_S18_S1B_S1C_jS1D_jS1E_S1E_jjS1G_bEUljE0_EEESZ_S10_S11_S18_S1C_S1E_T6_T7_T9_mT8_S1G_bDpT10_ENKUlT_T0_E_clISt17integral_constantIbLb0EES1U_EEDaS1P_S1Q_EUlS1P_E_NS1_11comp_targetILNS1_3genE4ELNS1_11target_archE910ELNS1_3gpuE8ELNS1_3repE0EEENS1_30default_config_static_selectorELNS0_4arch9wavefront6targetE1EEEvS12_
; %bb.0:
	.section	.rodata,"a",@progbits
	.p2align	6, 0x0
	.amdhsa_kernel _ZN7rocprim17ROCPRIM_400000_NS6detail17trampoline_kernelINS0_13select_configILj256ELj13ELNS0_17block_load_methodE3ELS4_3ELS4_3ELNS0_20block_scan_algorithmE0ELj4294967295EEENS1_25partition_config_selectorILNS1_17partition_subalgoE4EjNS0_10empty_typeEbEEZZNS1_14partition_implILS8_4ELb0ES6_15HIP_vector_typeIjLj2EENS0_17counting_iteratorIjlEEPS9_SG_NS0_5tupleIJPjSI_NS0_16reverse_iteratorISI_EEEEENSH_IJSG_SG_SG_EEES9_SI_JZNS1_25segmented_radix_sort_implINS0_14default_configELb0EPKdPdPKlPlN2at6native12_GLOBAL__N_18offset_tEEE10hipError_tPvRmT1_PNSt15iterator_traitsIS12_E10value_typeET2_T3_PNS13_IS18_E10value_typeET4_jRbjT5_S1E_jjP12ihipStream_tbEUljE_ZNSN_ISO_Lb0ESQ_SR_ST_SU_SY_EESZ_S10_S11_S12_S16_S17_S18_S1B_S1C_jS1D_jS1E_S1E_jjS1G_bEUljE0_EEESZ_S10_S11_S18_S1C_S1E_T6_T7_T9_mT8_S1G_bDpT10_ENKUlT_T0_E_clISt17integral_constantIbLb0EES1U_EEDaS1P_S1Q_EUlS1P_E_NS1_11comp_targetILNS1_3genE4ELNS1_11target_archE910ELNS1_3gpuE8ELNS1_3repE0EEENS1_30default_config_static_selectorELNS0_4arch9wavefront6targetE1EEEvS12_
		.amdhsa_group_segment_fixed_size 0
		.amdhsa_private_segment_fixed_size 0
		.amdhsa_kernarg_size 176
		.amdhsa_user_sgpr_count 6
		.amdhsa_user_sgpr_private_segment_buffer 1
		.amdhsa_user_sgpr_dispatch_ptr 0
		.amdhsa_user_sgpr_queue_ptr 0
		.amdhsa_user_sgpr_kernarg_segment_ptr 1
		.amdhsa_user_sgpr_dispatch_id 0
		.amdhsa_user_sgpr_flat_scratch_init 0
		.amdhsa_user_sgpr_private_segment_size 0
		.amdhsa_uses_dynamic_stack 0
		.amdhsa_system_sgpr_private_segment_wavefront_offset 0
		.amdhsa_system_sgpr_workgroup_id_x 1
		.amdhsa_system_sgpr_workgroup_id_y 0
		.amdhsa_system_sgpr_workgroup_id_z 0
		.amdhsa_system_sgpr_workgroup_info 0
		.amdhsa_system_vgpr_workitem_id 0
		.amdhsa_next_free_vgpr 1
		.amdhsa_next_free_sgpr 0
		.amdhsa_reserve_vcc 0
		.amdhsa_reserve_flat_scratch 0
		.amdhsa_float_round_mode_32 0
		.amdhsa_float_round_mode_16_64 0
		.amdhsa_float_denorm_mode_32 3
		.amdhsa_float_denorm_mode_16_64 3
		.amdhsa_dx10_clamp 1
		.amdhsa_ieee_mode 1
		.amdhsa_fp16_overflow 0
		.amdhsa_exception_fp_ieee_invalid_op 0
		.amdhsa_exception_fp_denorm_src 0
		.amdhsa_exception_fp_ieee_div_zero 0
		.amdhsa_exception_fp_ieee_overflow 0
		.amdhsa_exception_fp_ieee_underflow 0
		.amdhsa_exception_fp_ieee_inexact 0
		.amdhsa_exception_int_div_zero 0
	.end_amdhsa_kernel
	.section	.text._ZN7rocprim17ROCPRIM_400000_NS6detail17trampoline_kernelINS0_13select_configILj256ELj13ELNS0_17block_load_methodE3ELS4_3ELS4_3ELNS0_20block_scan_algorithmE0ELj4294967295EEENS1_25partition_config_selectorILNS1_17partition_subalgoE4EjNS0_10empty_typeEbEEZZNS1_14partition_implILS8_4ELb0ES6_15HIP_vector_typeIjLj2EENS0_17counting_iteratorIjlEEPS9_SG_NS0_5tupleIJPjSI_NS0_16reverse_iteratorISI_EEEEENSH_IJSG_SG_SG_EEES9_SI_JZNS1_25segmented_radix_sort_implINS0_14default_configELb0EPKdPdPKlPlN2at6native12_GLOBAL__N_18offset_tEEE10hipError_tPvRmT1_PNSt15iterator_traitsIS12_E10value_typeET2_T3_PNS13_IS18_E10value_typeET4_jRbjT5_S1E_jjP12ihipStream_tbEUljE_ZNSN_ISO_Lb0ESQ_SR_ST_SU_SY_EESZ_S10_S11_S12_S16_S17_S18_S1B_S1C_jS1D_jS1E_S1E_jjS1G_bEUljE0_EEESZ_S10_S11_S18_S1C_S1E_T6_T7_T9_mT8_S1G_bDpT10_ENKUlT_T0_E_clISt17integral_constantIbLb0EES1U_EEDaS1P_S1Q_EUlS1P_E_NS1_11comp_targetILNS1_3genE4ELNS1_11target_archE910ELNS1_3gpuE8ELNS1_3repE0EEENS1_30default_config_static_selectorELNS0_4arch9wavefront6targetE1EEEvS12_,"axG",@progbits,_ZN7rocprim17ROCPRIM_400000_NS6detail17trampoline_kernelINS0_13select_configILj256ELj13ELNS0_17block_load_methodE3ELS4_3ELS4_3ELNS0_20block_scan_algorithmE0ELj4294967295EEENS1_25partition_config_selectorILNS1_17partition_subalgoE4EjNS0_10empty_typeEbEEZZNS1_14partition_implILS8_4ELb0ES6_15HIP_vector_typeIjLj2EENS0_17counting_iteratorIjlEEPS9_SG_NS0_5tupleIJPjSI_NS0_16reverse_iteratorISI_EEEEENSH_IJSG_SG_SG_EEES9_SI_JZNS1_25segmented_radix_sort_implINS0_14default_configELb0EPKdPdPKlPlN2at6native12_GLOBAL__N_18offset_tEEE10hipError_tPvRmT1_PNSt15iterator_traitsIS12_E10value_typeET2_T3_PNS13_IS18_E10value_typeET4_jRbjT5_S1E_jjP12ihipStream_tbEUljE_ZNSN_ISO_Lb0ESQ_SR_ST_SU_SY_EESZ_S10_S11_S12_S16_S17_S18_S1B_S1C_jS1D_jS1E_S1E_jjS1G_bEUljE0_EEESZ_S10_S11_S18_S1C_S1E_T6_T7_T9_mT8_S1G_bDpT10_ENKUlT_T0_E_clISt17integral_constantIbLb0EES1U_EEDaS1P_S1Q_EUlS1P_E_NS1_11comp_targetILNS1_3genE4ELNS1_11target_archE910ELNS1_3gpuE8ELNS1_3repE0EEENS1_30default_config_static_selectorELNS0_4arch9wavefront6targetE1EEEvS12_,comdat
.Lfunc_end1159:
	.size	_ZN7rocprim17ROCPRIM_400000_NS6detail17trampoline_kernelINS0_13select_configILj256ELj13ELNS0_17block_load_methodE3ELS4_3ELS4_3ELNS0_20block_scan_algorithmE0ELj4294967295EEENS1_25partition_config_selectorILNS1_17partition_subalgoE4EjNS0_10empty_typeEbEEZZNS1_14partition_implILS8_4ELb0ES6_15HIP_vector_typeIjLj2EENS0_17counting_iteratorIjlEEPS9_SG_NS0_5tupleIJPjSI_NS0_16reverse_iteratorISI_EEEEENSH_IJSG_SG_SG_EEES9_SI_JZNS1_25segmented_radix_sort_implINS0_14default_configELb0EPKdPdPKlPlN2at6native12_GLOBAL__N_18offset_tEEE10hipError_tPvRmT1_PNSt15iterator_traitsIS12_E10value_typeET2_T3_PNS13_IS18_E10value_typeET4_jRbjT5_S1E_jjP12ihipStream_tbEUljE_ZNSN_ISO_Lb0ESQ_SR_ST_SU_SY_EESZ_S10_S11_S12_S16_S17_S18_S1B_S1C_jS1D_jS1E_S1E_jjS1G_bEUljE0_EEESZ_S10_S11_S18_S1C_S1E_T6_T7_T9_mT8_S1G_bDpT10_ENKUlT_T0_E_clISt17integral_constantIbLb0EES1U_EEDaS1P_S1Q_EUlS1P_E_NS1_11comp_targetILNS1_3genE4ELNS1_11target_archE910ELNS1_3gpuE8ELNS1_3repE0EEENS1_30default_config_static_selectorELNS0_4arch9wavefront6targetE1EEEvS12_, .Lfunc_end1159-_ZN7rocprim17ROCPRIM_400000_NS6detail17trampoline_kernelINS0_13select_configILj256ELj13ELNS0_17block_load_methodE3ELS4_3ELS4_3ELNS0_20block_scan_algorithmE0ELj4294967295EEENS1_25partition_config_selectorILNS1_17partition_subalgoE4EjNS0_10empty_typeEbEEZZNS1_14partition_implILS8_4ELb0ES6_15HIP_vector_typeIjLj2EENS0_17counting_iteratorIjlEEPS9_SG_NS0_5tupleIJPjSI_NS0_16reverse_iteratorISI_EEEEENSH_IJSG_SG_SG_EEES9_SI_JZNS1_25segmented_radix_sort_implINS0_14default_configELb0EPKdPdPKlPlN2at6native12_GLOBAL__N_18offset_tEEE10hipError_tPvRmT1_PNSt15iterator_traitsIS12_E10value_typeET2_T3_PNS13_IS18_E10value_typeET4_jRbjT5_S1E_jjP12ihipStream_tbEUljE_ZNSN_ISO_Lb0ESQ_SR_ST_SU_SY_EESZ_S10_S11_S12_S16_S17_S18_S1B_S1C_jS1D_jS1E_S1E_jjS1G_bEUljE0_EEESZ_S10_S11_S18_S1C_S1E_T6_T7_T9_mT8_S1G_bDpT10_ENKUlT_T0_E_clISt17integral_constantIbLb0EES1U_EEDaS1P_S1Q_EUlS1P_E_NS1_11comp_targetILNS1_3genE4ELNS1_11target_archE910ELNS1_3gpuE8ELNS1_3repE0EEENS1_30default_config_static_selectorELNS0_4arch9wavefront6targetE1EEEvS12_
                                        ; -- End function
	.set _ZN7rocprim17ROCPRIM_400000_NS6detail17trampoline_kernelINS0_13select_configILj256ELj13ELNS0_17block_load_methodE3ELS4_3ELS4_3ELNS0_20block_scan_algorithmE0ELj4294967295EEENS1_25partition_config_selectorILNS1_17partition_subalgoE4EjNS0_10empty_typeEbEEZZNS1_14partition_implILS8_4ELb0ES6_15HIP_vector_typeIjLj2EENS0_17counting_iteratorIjlEEPS9_SG_NS0_5tupleIJPjSI_NS0_16reverse_iteratorISI_EEEEENSH_IJSG_SG_SG_EEES9_SI_JZNS1_25segmented_radix_sort_implINS0_14default_configELb0EPKdPdPKlPlN2at6native12_GLOBAL__N_18offset_tEEE10hipError_tPvRmT1_PNSt15iterator_traitsIS12_E10value_typeET2_T3_PNS13_IS18_E10value_typeET4_jRbjT5_S1E_jjP12ihipStream_tbEUljE_ZNSN_ISO_Lb0ESQ_SR_ST_SU_SY_EESZ_S10_S11_S12_S16_S17_S18_S1B_S1C_jS1D_jS1E_S1E_jjS1G_bEUljE0_EEESZ_S10_S11_S18_S1C_S1E_T6_T7_T9_mT8_S1G_bDpT10_ENKUlT_T0_E_clISt17integral_constantIbLb0EES1U_EEDaS1P_S1Q_EUlS1P_E_NS1_11comp_targetILNS1_3genE4ELNS1_11target_archE910ELNS1_3gpuE8ELNS1_3repE0EEENS1_30default_config_static_selectorELNS0_4arch9wavefront6targetE1EEEvS12_.num_vgpr, 0
	.set _ZN7rocprim17ROCPRIM_400000_NS6detail17trampoline_kernelINS0_13select_configILj256ELj13ELNS0_17block_load_methodE3ELS4_3ELS4_3ELNS0_20block_scan_algorithmE0ELj4294967295EEENS1_25partition_config_selectorILNS1_17partition_subalgoE4EjNS0_10empty_typeEbEEZZNS1_14partition_implILS8_4ELb0ES6_15HIP_vector_typeIjLj2EENS0_17counting_iteratorIjlEEPS9_SG_NS0_5tupleIJPjSI_NS0_16reverse_iteratorISI_EEEEENSH_IJSG_SG_SG_EEES9_SI_JZNS1_25segmented_radix_sort_implINS0_14default_configELb0EPKdPdPKlPlN2at6native12_GLOBAL__N_18offset_tEEE10hipError_tPvRmT1_PNSt15iterator_traitsIS12_E10value_typeET2_T3_PNS13_IS18_E10value_typeET4_jRbjT5_S1E_jjP12ihipStream_tbEUljE_ZNSN_ISO_Lb0ESQ_SR_ST_SU_SY_EESZ_S10_S11_S12_S16_S17_S18_S1B_S1C_jS1D_jS1E_S1E_jjS1G_bEUljE0_EEESZ_S10_S11_S18_S1C_S1E_T6_T7_T9_mT8_S1G_bDpT10_ENKUlT_T0_E_clISt17integral_constantIbLb0EES1U_EEDaS1P_S1Q_EUlS1P_E_NS1_11comp_targetILNS1_3genE4ELNS1_11target_archE910ELNS1_3gpuE8ELNS1_3repE0EEENS1_30default_config_static_selectorELNS0_4arch9wavefront6targetE1EEEvS12_.num_agpr, 0
	.set _ZN7rocprim17ROCPRIM_400000_NS6detail17trampoline_kernelINS0_13select_configILj256ELj13ELNS0_17block_load_methodE3ELS4_3ELS4_3ELNS0_20block_scan_algorithmE0ELj4294967295EEENS1_25partition_config_selectorILNS1_17partition_subalgoE4EjNS0_10empty_typeEbEEZZNS1_14partition_implILS8_4ELb0ES6_15HIP_vector_typeIjLj2EENS0_17counting_iteratorIjlEEPS9_SG_NS0_5tupleIJPjSI_NS0_16reverse_iteratorISI_EEEEENSH_IJSG_SG_SG_EEES9_SI_JZNS1_25segmented_radix_sort_implINS0_14default_configELb0EPKdPdPKlPlN2at6native12_GLOBAL__N_18offset_tEEE10hipError_tPvRmT1_PNSt15iterator_traitsIS12_E10value_typeET2_T3_PNS13_IS18_E10value_typeET4_jRbjT5_S1E_jjP12ihipStream_tbEUljE_ZNSN_ISO_Lb0ESQ_SR_ST_SU_SY_EESZ_S10_S11_S12_S16_S17_S18_S1B_S1C_jS1D_jS1E_S1E_jjS1G_bEUljE0_EEESZ_S10_S11_S18_S1C_S1E_T6_T7_T9_mT8_S1G_bDpT10_ENKUlT_T0_E_clISt17integral_constantIbLb0EES1U_EEDaS1P_S1Q_EUlS1P_E_NS1_11comp_targetILNS1_3genE4ELNS1_11target_archE910ELNS1_3gpuE8ELNS1_3repE0EEENS1_30default_config_static_selectorELNS0_4arch9wavefront6targetE1EEEvS12_.numbered_sgpr, 0
	.set _ZN7rocprim17ROCPRIM_400000_NS6detail17trampoline_kernelINS0_13select_configILj256ELj13ELNS0_17block_load_methodE3ELS4_3ELS4_3ELNS0_20block_scan_algorithmE0ELj4294967295EEENS1_25partition_config_selectorILNS1_17partition_subalgoE4EjNS0_10empty_typeEbEEZZNS1_14partition_implILS8_4ELb0ES6_15HIP_vector_typeIjLj2EENS0_17counting_iteratorIjlEEPS9_SG_NS0_5tupleIJPjSI_NS0_16reverse_iteratorISI_EEEEENSH_IJSG_SG_SG_EEES9_SI_JZNS1_25segmented_radix_sort_implINS0_14default_configELb0EPKdPdPKlPlN2at6native12_GLOBAL__N_18offset_tEEE10hipError_tPvRmT1_PNSt15iterator_traitsIS12_E10value_typeET2_T3_PNS13_IS18_E10value_typeET4_jRbjT5_S1E_jjP12ihipStream_tbEUljE_ZNSN_ISO_Lb0ESQ_SR_ST_SU_SY_EESZ_S10_S11_S12_S16_S17_S18_S1B_S1C_jS1D_jS1E_S1E_jjS1G_bEUljE0_EEESZ_S10_S11_S18_S1C_S1E_T6_T7_T9_mT8_S1G_bDpT10_ENKUlT_T0_E_clISt17integral_constantIbLb0EES1U_EEDaS1P_S1Q_EUlS1P_E_NS1_11comp_targetILNS1_3genE4ELNS1_11target_archE910ELNS1_3gpuE8ELNS1_3repE0EEENS1_30default_config_static_selectorELNS0_4arch9wavefront6targetE1EEEvS12_.num_named_barrier, 0
	.set _ZN7rocprim17ROCPRIM_400000_NS6detail17trampoline_kernelINS0_13select_configILj256ELj13ELNS0_17block_load_methodE3ELS4_3ELS4_3ELNS0_20block_scan_algorithmE0ELj4294967295EEENS1_25partition_config_selectorILNS1_17partition_subalgoE4EjNS0_10empty_typeEbEEZZNS1_14partition_implILS8_4ELb0ES6_15HIP_vector_typeIjLj2EENS0_17counting_iteratorIjlEEPS9_SG_NS0_5tupleIJPjSI_NS0_16reverse_iteratorISI_EEEEENSH_IJSG_SG_SG_EEES9_SI_JZNS1_25segmented_radix_sort_implINS0_14default_configELb0EPKdPdPKlPlN2at6native12_GLOBAL__N_18offset_tEEE10hipError_tPvRmT1_PNSt15iterator_traitsIS12_E10value_typeET2_T3_PNS13_IS18_E10value_typeET4_jRbjT5_S1E_jjP12ihipStream_tbEUljE_ZNSN_ISO_Lb0ESQ_SR_ST_SU_SY_EESZ_S10_S11_S12_S16_S17_S18_S1B_S1C_jS1D_jS1E_S1E_jjS1G_bEUljE0_EEESZ_S10_S11_S18_S1C_S1E_T6_T7_T9_mT8_S1G_bDpT10_ENKUlT_T0_E_clISt17integral_constantIbLb0EES1U_EEDaS1P_S1Q_EUlS1P_E_NS1_11comp_targetILNS1_3genE4ELNS1_11target_archE910ELNS1_3gpuE8ELNS1_3repE0EEENS1_30default_config_static_selectorELNS0_4arch9wavefront6targetE1EEEvS12_.private_seg_size, 0
	.set _ZN7rocprim17ROCPRIM_400000_NS6detail17trampoline_kernelINS0_13select_configILj256ELj13ELNS0_17block_load_methodE3ELS4_3ELS4_3ELNS0_20block_scan_algorithmE0ELj4294967295EEENS1_25partition_config_selectorILNS1_17partition_subalgoE4EjNS0_10empty_typeEbEEZZNS1_14partition_implILS8_4ELb0ES6_15HIP_vector_typeIjLj2EENS0_17counting_iteratorIjlEEPS9_SG_NS0_5tupleIJPjSI_NS0_16reverse_iteratorISI_EEEEENSH_IJSG_SG_SG_EEES9_SI_JZNS1_25segmented_radix_sort_implINS0_14default_configELb0EPKdPdPKlPlN2at6native12_GLOBAL__N_18offset_tEEE10hipError_tPvRmT1_PNSt15iterator_traitsIS12_E10value_typeET2_T3_PNS13_IS18_E10value_typeET4_jRbjT5_S1E_jjP12ihipStream_tbEUljE_ZNSN_ISO_Lb0ESQ_SR_ST_SU_SY_EESZ_S10_S11_S12_S16_S17_S18_S1B_S1C_jS1D_jS1E_S1E_jjS1G_bEUljE0_EEESZ_S10_S11_S18_S1C_S1E_T6_T7_T9_mT8_S1G_bDpT10_ENKUlT_T0_E_clISt17integral_constantIbLb0EES1U_EEDaS1P_S1Q_EUlS1P_E_NS1_11comp_targetILNS1_3genE4ELNS1_11target_archE910ELNS1_3gpuE8ELNS1_3repE0EEENS1_30default_config_static_selectorELNS0_4arch9wavefront6targetE1EEEvS12_.uses_vcc, 0
	.set _ZN7rocprim17ROCPRIM_400000_NS6detail17trampoline_kernelINS0_13select_configILj256ELj13ELNS0_17block_load_methodE3ELS4_3ELS4_3ELNS0_20block_scan_algorithmE0ELj4294967295EEENS1_25partition_config_selectorILNS1_17partition_subalgoE4EjNS0_10empty_typeEbEEZZNS1_14partition_implILS8_4ELb0ES6_15HIP_vector_typeIjLj2EENS0_17counting_iteratorIjlEEPS9_SG_NS0_5tupleIJPjSI_NS0_16reverse_iteratorISI_EEEEENSH_IJSG_SG_SG_EEES9_SI_JZNS1_25segmented_radix_sort_implINS0_14default_configELb0EPKdPdPKlPlN2at6native12_GLOBAL__N_18offset_tEEE10hipError_tPvRmT1_PNSt15iterator_traitsIS12_E10value_typeET2_T3_PNS13_IS18_E10value_typeET4_jRbjT5_S1E_jjP12ihipStream_tbEUljE_ZNSN_ISO_Lb0ESQ_SR_ST_SU_SY_EESZ_S10_S11_S12_S16_S17_S18_S1B_S1C_jS1D_jS1E_S1E_jjS1G_bEUljE0_EEESZ_S10_S11_S18_S1C_S1E_T6_T7_T9_mT8_S1G_bDpT10_ENKUlT_T0_E_clISt17integral_constantIbLb0EES1U_EEDaS1P_S1Q_EUlS1P_E_NS1_11comp_targetILNS1_3genE4ELNS1_11target_archE910ELNS1_3gpuE8ELNS1_3repE0EEENS1_30default_config_static_selectorELNS0_4arch9wavefront6targetE1EEEvS12_.uses_flat_scratch, 0
	.set _ZN7rocprim17ROCPRIM_400000_NS6detail17trampoline_kernelINS0_13select_configILj256ELj13ELNS0_17block_load_methodE3ELS4_3ELS4_3ELNS0_20block_scan_algorithmE0ELj4294967295EEENS1_25partition_config_selectorILNS1_17partition_subalgoE4EjNS0_10empty_typeEbEEZZNS1_14partition_implILS8_4ELb0ES6_15HIP_vector_typeIjLj2EENS0_17counting_iteratorIjlEEPS9_SG_NS0_5tupleIJPjSI_NS0_16reverse_iteratorISI_EEEEENSH_IJSG_SG_SG_EEES9_SI_JZNS1_25segmented_radix_sort_implINS0_14default_configELb0EPKdPdPKlPlN2at6native12_GLOBAL__N_18offset_tEEE10hipError_tPvRmT1_PNSt15iterator_traitsIS12_E10value_typeET2_T3_PNS13_IS18_E10value_typeET4_jRbjT5_S1E_jjP12ihipStream_tbEUljE_ZNSN_ISO_Lb0ESQ_SR_ST_SU_SY_EESZ_S10_S11_S12_S16_S17_S18_S1B_S1C_jS1D_jS1E_S1E_jjS1G_bEUljE0_EEESZ_S10_S11_S18_S1C_S1E_T6_T7_T9_mT8_S1G_bDpT10_ENKUlT_T0_E_clISt17integral_constantIbLb0EES1U_EEDaS1P_S1Q_EUlS1P_E_NS1_11comp_targetILNS1_3genE4ELNS1_11target_archE910ELNS1_3gpuE8ELNS1_3repE0EEENS1_30default_config_static_selectorELNS0_4arch9wavefront6targetE1EEEvS12_.has_dyn_sized_stack, 0
	.set _ZN7rocprim17ROCPRIM_400000_NS6detail17trampoline_kernelINS0_13select_configILj256ELj13ELNS0_17block_load_methodE3ELS4_3ELS4_3ELNS0_20block_scan_algorithmE0ELj4294967295EEENS1_25partition_config_selectorILNS1_17partition_subalgoE4EjNS0_10empty_typeEbEEZZNS1_14partition_implILS8_4ELb0ES6_15HIP_vector_typeIjLj2EENS0_17counting_iteratorIjlEEPS9_SG_NS0_5tupleIJPjSI_NS0_16reverse_iteratorISI_EEEEENSH_IJSG_SG_SG_EEES9_SI_JZNS1_25segmented_radix_sort_implINS0_14default_configELb0EPKdPdPKlPlN2at6native12_GLOBAL__N_18offset_tEEE10hipError_tPvRmT1_PNSt15iterator_traitsIS12_E10value_typeET2_T3_PNS13_IS18_E10value_typeET4_jRbjT5_S1E_jjP12ihipStream_tbEUljE_ZNSN_ISO_Lb0ESQ_SR_ST_SU_SY_EESZ_S10_S11_S12_S16_S17_S18_S1B_S1C_jS1D_jS1E_S1E_jjS1G_bEUljE0_EEESZ_S10_S11_S18_S1C_S1E_T6_T7_T9_mT8_S1G_bDpT10_ENKUlT_T0_E_clISt17integral_constantIbLb0EES1U_EEDaS1P_S1Q_EUlS1P_E_NS1_11comp_targetILNS1_3genE4ELNS1_11target_archE910ELNS1_3gpuE8ELNS1_3repE0EEENS1_30default_config_static_selectorELNS0_4arch9wavefront6targetE1EEEvS12_.has_recursion, 0
	.set _ZN7rocprim17ROCPRIM_400000_NS6detail17trampoline_kernelINS0_13select_configILj256ELj13ELNS0_17block_load_methodE3ELS4_3ELS4_3ELNS0_20block_scan_algorithmE0ELj4294967295EEENS1_25partition_config_selectorILNS1_17partition_subalgoE4EjNS0_10empty_typeEbEEZZNS1_14partition_implILS8_4ELb0ES6_15HIP_vector_typeIjLj2EENS0_17counting_iteratorIjlEEPS9_SG_NS0_5tupleIJPjSI_NS0_16reverse_iteratorISI_EEEEENSH_IJSG_SG_SG_EEES9_SI_JZNS1_25segmented_radix_sort_implINS0_14default_configELb0EPKdPdPKlPlN2at6native12_GLOBAL__N_18offset_tEEE10hipError_tPvRmT1_PNSt15iterator_traitsIS12_E10value_typeET2_T3_PNS13_IS18_E10value_typeET4_jRbjT5_S1E_jjP12ihipStream_tbEUljE_ZNSN_ISO_Lb0ESQ_SR_ST_SU_SY_EESZ_S10_S11_S12_S16_S17_S18_S1B_S1C_jS1D_jS1E_S1E_jjS1G_bEUljE0_EEESZ_S10_S11_S18_S1C_S1E_T6_T7_T9_mT8_S1G_bDpT10_ENKUlT_T0_E_clISt17integral_constantIbLb0EES1U_EEDaS1P_S1Q_EUlS1P_E_NS1_11comp_targetILNS1_3genE4ELNS1_11target_archE910ELNS1_3gpuE8ELNS1_3repE0EEENS1_30default_config_static_selectorELNS0_4arch9wavefront6targetE1EEEvS12_.has_indirect_call, 0
	.section	.AMDGPU.csdata,"",@progbits
; Kernel info:
; codeLenInByte = 0
; TotalNumSgprs: 4
; NumVgprs: 0
; ScratchSize: 0
; MemoryBound: 0
; FloatMode: 240
; IeeeMode: 1
; LDSByteSize: 0 bytes/workgroup (compile time only)
; SGPRBlocks: 0
; VGPRBlocks: 0
; NumSGPRsForWavesPerEU: 4
; NumVGPRsForWavesPerEU: 1
; Occupancy: 10
; WaveLimiterHint : 0
; COMPUTE_PGM_RSRC2:SCRATCH_EN: 0
; COMPUTE_PGM_RSRC2:USER_SGPR: 6
; COMPUTE_PGM_RSRC2:TRAP_HANDLER: 0
; COMPUTE_PGM_RSRC2:TGID_X_EN: 1
; COMPUTE_PGM_RSRC2:TGID_Y_EN: 0
; COMPUTE_PGM_RSRC2:TGID_Z_EN: 0
; COMPUTE_PGM_RSRC2:TIDIG_COMP_CNT: 0
	.section	.text._ZN7rocprim17ROCPRIM_400000_NS6detail17trampoline_kernelINS0_13select_configILj256ELj13ELNS0_17block_load_methodE3ELS4_3ELS4_3ELNS0_20block_scan_algorithmE0ELj4294967295EEENS1_25partition_config_selectorILNS1_17partition_subalgoE4EjNS0_10empty_typeEbEEZZNS1_14partition_implILS8_4ELb0ES6_15HIP_vector_typeIjLj2EENS0_17counting_iteratorIjlEEPS9_SG_NS0_5tupleIJPjSI_NS0_16reverse_iteratorISI_EEEEENSH_IJSG_SG_SG_EEES9_SI_JZNS1_25segmented_radix_sort_implINS0_14default_configELb0EPKdPdPKlPlN2at6native12_GLOBAL__N_18offset_tEEE10hipError_tPvRmT1_PNSt15iterator_traitsIS12_E10value_typeET2_T3_PNS13_IS18_E10value_typeET4_jRbjT5_S1E_jjP12ihipStream_tbEUljE_ZNSN_ISO_Lb0ESQ_SR_ST_SU_SY_EESZ_S10_S11_S12_S16_S17_S18_S1B_S1C_jS1D_jS1E_S1E_jjS1G_bEUljE0_EEESZ_S10_S11_S18_S1C_S1E_T6_T7_T9_mT8_S1G_bDpT10_ENKUlT_T0_E_clISt17integral_constantIbLb0EES1U_EEDaS1P_S1Q_EUlS1P_E_NS1_11comp_targetILNS1_3genE3ELNS1_11target_archE908ELNS1_3gpuE7ELNS1_3repE0EEENS1_30default_config_static_selectorELNS0_4arch9wavefront6targetE1EEEvS12_,"axG",@progbits,_ZN7rocprim17ROCPRIM_400000_NS6detail17trampoline_kernelINS0_13select_configILj256ELj13ELNS0_17block_load_methodE3ELS4_3ELS4_3ELNS0_20block_scan_algorithmE0ELj4294967295EEENS1_25partition_config_selectorILNS1_17partition_subalgoE4EjNS0_10empty_typeEbEEZZNS1_14partition_implILS8_4ELb0ES6_15HIP_vector_typeIjLj2EENS0_17counting_iteratorIjlEEPS9_SG_NS0_5tupleIJPjSI_NS0_16reverse_iteratorISI_EEEEENSH_IJSG_SG_SG_EEES9_SI_JZNS1_25segmented_radix_sort_implINS0_14default_configELb0EPKdPdPKlPlN2at6native12_GLOBAL__N_18offset_tEEE10hipError_tPvRmT1_PNSt15iterator_traitsIS12_E10value_typeET2_T3_PNS13_IS18_E10value_typeET4_jRbjT5_S1E_jjP12ihipStream_tbEUljE_ZNSN_ISO_Lb0ESQ_SR_ST_SU_SY_EESZ_S10_S11_S12_S16_S17_S18_S1B_S1C_jS1D_jS1E_S1E_jjS1G_bEUljE0_EEESZ_S10_S11_S18_S1C_S1E_T6_T7_T9_mT8_S1G_bDpT10_ENKUlT_T0_E_clISt17integral_constantIbLb0EES1U_EEDaS1P_S1Q_EUlS1P_E_NS1_11comp_targetILNS1_3genE3ELNS1_11target_archE908ELNS1_3gpuE7ELNS1_3repE0EEENS1_30default_config_static_selectorELNS0_4arch9wavefront6targetE1EEEvS12_,comdat
	.globl	_ZN7rocprim17ROCPRIM_400000_NS6detail17trampoline_kernelINS0_13select_configILj256ELj13ELNS0_17block_load_methodE3ELS4_3ELS4_3ELNS0_20block_scan_algorithmE0ELj4294967295EEENS1_25partition_config_selectorILNS1_17partition_subalgoE4EjNS0_10empty_typeEbEEZZNS1_14partition_implILS8_4ELb0ES6_15HIP_vector_typeIjLj2EENS0_17counting_iteratorIjlEEPS9_SG_NS0_5tupleIJPjSI_NS0_16reverse_iteratorISI_EEEEENSH_IJSG_SG_SG_EEES9_SI_JZNS1_25segmented_radix_sort_implINS0_14default_configELb0EPKdPdPKlPlN2at6native12_GLOBAL__N_18offset_tEEE10hipError_tPvRmT1_PNSt15iterator_traitsIS12_E10value_typeET2_T3_PNS13_IS18_E10value_typeET4_jRbjT5_S1E_jjP12ihipStream_tbEUljE_ZNSN_ISO_Lb0ESQ_SR_ST_SU_SY_EESZ_S10_S11_S12_S16_S17_S18_S1B_S1C_jS1D_jS1E_S1E_jjS1G_bEUljE0_EEESZ_S10_S11_S18_S1C_S1E_T6_T7_T9_mT8_S1G_bDpT10_ENKUlT_T0_E_clISt17integral_constantIbLb0EES1U_EEDaS1P_S1Q_EUlS1P_E_NS1_11comp_targetILNS1_3genE3ELNS1_11target_archE908ELNS1_3gpuE7ELNS1_3repE0EEENS1_30default_config_static_selectorELNS0_4arch9wavefront6targetE1EEEvS12_ ; -- Begin function _ZN7rocprim17ROCPRIM_400000_NS6detail17trampoline_kernelINS0_13select_configILj256ELj13ELNS0_17block_load_methodE3ELS4_3ELS4_3ELNS0_20block_scan_algorithmE0ELj4294967295EEENS1_25partition_config_selectorILNS1_17partition_subalgoE4EjNS0_10empty_typeEbEEZZNS1_14partition_implILS8_4ELb0ES6_15HIP_vector_typeIjLj2EENS0_17counting_iteratorIjlEEPS9_SG_NS0_5tupleIJPjSI_NS0_16reverse_iteratorISI_EEEEENSH_IJSG_SG_SG_EEES9_SI_JZNS1_25segmented_radix_sort_implINS0_14default_configELb0EPKdPdPKlPlN2at6native12_GLOBAL__N_18offset_tEEE10hipError_tPvRmT1_PNSt15iterator_traitsIS12_E10value_typeET2_T3_PNS13_IS18_E10value_typeET4_jRbjT5_S1E_jjP12ihipStream_tbEUljE_ZNSN_ISO_Lb0ESQ_SR_ST_SU_SY_EESZ_S10_S11_S12_S16_S17_S18_S1B_S1C_jS1D_jS1E_S1E_jjS1G_bEUljE0_EEESZ_S10_S11_S18_S1C_S1E_T6_T7_T9_mT8_S1G_bDpT10_ENKUlT_T0_E_clISt17integral_constantIbLb0EES1U_EEDaS1P_S1Q_EUlS1P_E_NS1_11comp_targetILNS1_3genE3ELNS1_11target_archE908ELNS1_3gpuE7ELNS1_3repE0EEENS1_30default_config_static_selectorELNS0_4arch9wavefront6targetE1EEEvS12_
	.p2align	8
	.type	_ZN7rocprim17ROCPRIM_400000_NS6detail17trampoline_kernelINS0_13select_configILj256ELj13ELNS0_17block_load_methodE3ELS4_3ELS4_3ELNS0_20block_scan_algorithmE0ELj4294967295EEENS1_25partition_config_selectorILNS1_17partition_subalgoE4EjNS0_10empty_typeEbEEZZNS1_14partition_implILS8_4ELb0ES6_15HIP_vector_typeIjLj2EENS0_17counting_iteratorIjlEEPS9_SG_NS0_5tupleIJPjSI_NS0_16reverse_iteratorISI_EEEEENSH_IJSG_SG_SG_EEES9_SI_JZNS1_25segmented_radix_sort_implINS0_14default_configELb0EPKdPdPKlPlN2at6native12_GLOBAL__N_18offset_tEEE10hipError_tPvRmT1_PNSt15iterator_traitsIS12_E10value_typeET2_T3_PNS13_IS18_E10value_typeET4_jRbjT5_S1E_jjP12ihipStream_tbEUljE_ZNSN_ISO_Lb0ESQ_SR_ST_SU_SY_EESZ_S10_S11_S12_S16_S17_S18_S1B_S1C_jS1D_jS1E_S1E_jjS1G_bEUljE0_EEESZ_S10_S11_S18_S1C_S1E_T6_T7_T9_mT8_S1G_bDpT10_ENKUlT_T0_E_clISt17integral_constantIbLb0EES1U_EEDaS1P_S1Q_EUlS1P_E_NS1_11comp_targetILNS1_3genE3ELNS1_11target_archE908ELNS1_3gpuE7ELNS1_3repE0EEENS1_30default_config_static_selectorELNS0_4arch9wavefront6targetE1EEEvS12_,@function
_ZN7rocprim17ROCPRIM_400000_NS6detail17trampoline_kernelINS0_13select_configILj256ELj13ELNS0_17block_load_methodE3ELS4_3ELS4_3ELNS0_20block_scan_algorithmE0ELj4294967295EEENS1_25partition_config_selectorILNS1_17partition_subalgoE4EjNS0_10empty_typeEbEEZZNS1_14partition_implILS8_4ELb0ES6_15HIP_vector_typeIjLj2EENS0_17counting_iteratorIjlEEPS9_SG_NS0_5tupleIJPjSI_NS0_16reverse_iteratorISI_EEEEENSH_IJSG_SG_SG_EEES9_SI_JZNS1_25segmented_radix_sort_implINS0_14default_configELb0EPKdPdPKlPlN2at6native12_GLOBAL__N_18offset_tEEE10hipError_tPvRmT1_PNSt15iterator_traitsIS12_E10value_typeET2_T3_PNS13_IS18_E10value_typeET4_jRbjT5_S1E_jjP12ihipStream_tbEUljE_ZNSN_ISO_Lb0ESQ_SR_ST_SU_SY_EESZ_S10_S11_S12_S16_S17_S18_S1B_S1C_jS1D_jS1E_S1E_jjS1G_bEUljE0_EEESZ_S10_S11_S18_S1C_S1E_T6_T7_T9_mT8_S1G_bDpT10_ENKUlT_T0_E_clISt17integral_constantIbLb0EES1U_EEDaS1P_S1Q_EUlS1P_E_NS1_11comp_targetILNS1_3genE3ELNS1_11target_archE908ELNS1_3gpuE7ELNS1_3repE0EEENS1_30default_config_static_selectorELNS0_4arch9wavefront6targetE1EEEvS12_: ; @_ZN7rocprim17ROCPRIM_400000_NS6detail17trampoline_kernelINS0_13select_configILj256ELj13ELNS0_17block_load_methodE3ELS4_3ELS4_3ELNS0_20block_scan_algorithmE0ELj4294967295EEENS1_25partition_config_selectorILNS1_17partition_subalgoE4EjNS0_10empty_typeEbEEZZNS1_14partition_implILS8_4ELb0ES6_15HIP_vector_typeIjLj2EENS0_17counting_iteratorIjlEEPS9_SG_NS0_5tupleIJPjSI_NS0_16reverse_iteratorISI_EEEEENSH_IJSG_SG_SG_EEES9_SI_JZNS1_25segmented_radix_sort_implINS0_14default_configELb0EPKdPdPKlPlN2at6native12_GLOBAL__N_18offset_tEEE10hipError_tPvRmT1_PNSt15iterator_traitsIS12_E10value_typeET2_T3_PNS13_IS18_E10value_typeET4_jRbjT5_S1E_jjP12ihipStream_tbEUljE_ZNSN_ISO_Lb0ESQ_SR_ST_SU_SY_EESZ_S10_S11_S12_S16_S17_S18_S1B_S1C_jS1D_jS1E_S1E_jjS1G_bEUljE0_EEESZ_S10_S11_S18_S1C_S1E_T6_T7_T9_mT8_S1G_bDpT10_ENKUlT_T0_E_clISt17integral_constantIbLb0EES1U_EEDaS1P_S1Q_EUlS1P_E_NS1_11comp_targetILNS1_3genE3ELNS1_11target_archE908ELNS1_3gpuE7ELNS1_3repE0EEENS1_30default_config_static_selectorELNS0_4arch9wavefront6targetE1EEEvS12_
; %bb.0:
	.section	.rodata,"a",@progbits
	.p2align	6, 0x0
	.amdhsa_kernel _ZN7rocprim17ROCPRIM_400000_NS6detail17trampoline_kernelINS0_13select_configILj256ELj13ELNS0_17block_load_methodE3ELS4_3ELS4_3ELNS0_20block_scan_algorithmE0ELj4294967295EEENS1_25partition_config_selectorILNS1_17partition_subalgoE4EjNS0_10empty_typeEbEEZZNS1_14partition_implILS8_4ELb0ES6_15HIP_vector_typeIjLj2EENS0_17counting_iteratorIjlEEPS9_SG_NS0_5tupleIJPjSI_NS0_16reverse_iteratorISI_EEEEENSH_IJSG_SG_SG_EEES9_SI_JZNS1_25segmented_radix_sort_implINS0_14default_configELb0EPKdPdPKlPlN2at6native12_GLOBAL__N_18offset_tEEE10hipError_tPvRmT1_PNSt15iterator_traitsIS12_E10value_typeET2_T3_PNS13_IS18_E10value_typeET4_jRbjT5_S1E_jjP12ihipStream_tbEUljE_ZNSN_ISO_Lb0ESQ_SR_ST_SU_SY_EESZ_S10_S11_S12_S16_S17_S18_S1B_S1C_jS1D_jS1E_S1E_jjS1G_bEUljE0_EEESZ_S10_S11_S18_S1C_S1E_T6_T7_T9_mT8_S1G_bDpT10_ENKUlT_T0_E_clISt17integral_constantIbLb0EES1U_EEDaS1P_S1Q_EUlS1P_E_NS1_11comp_targetILNS1_3genE3ELNS1_11target_archE908ELNS1_3gpuE7ELNS1_3repE0EEENS1_30default_config_static_selectorELNS0_4arch9wavefront6targetE1EEEvS12_
		.amdhsa_group_segment_fixed_size 0
		.amdhsa_private_segment_fixed_size 0
		.amdhsa_kernarg_size 176
		.amdhsa_user_sgpr_count 6
		.amdhsa_user_sgpr_private_segment_buffer 1
		.amdhsa_user_sgpr_dispatch_ptr 0
		.amdhsa_user_sgpr_queue_ptr 0
		.amdhsa_user_sgpr_kernarg_segment_ptr 1
		.amdhsa_user_sgpr_dispatch_id 0
		.amdhsa_user_sgpr_flat_scratch_init 0
		.amdhsa_user_sgpr_private_segment_size 0
		.amdhsa_uses_dynamic_stack 0
		.amdhsa_system_sgpr_private_segment_wavefront_offset 0
		.amdhsa_system_sgpr_workgroup_id_x 1
		.amdhsa_system_sgpr_workgroup_id_y 0
		.amdhsa_system_sgpr_workgroup_id_z 0
		.amdhsa_system_sgpr_workgroup_info 0
		.amdhsa_system_vgpr_workitem_id 0
		.amdhsa_next_free_vgpr 1
		.amdhsa_next_free_sgpr 0
		.amdhsa_reserve_vcc 0
		.amdhsa_reserve_flat_scratch 0
		.amdhsa_float_round_mode_32 0
		.amdhsa_float_round_mode_16_64 0
		.amdhsa_float_denorm_mode_32 3
		.amdhsa_float_denorm_mode_16_64 3
		.amdhsa_dx10_clamp 1
		.amdhsa_ieee_mode 1
		.amdhsa_fp16_overflow 0
		.amdhsa_exception_fp_ieee_invalid_op 0
		.amdhsa_exception_fp_denorm_src 0
		.amdhsa_exception_fp_ieee_div_zero 0
		.amdhsa_exception_fp_ieee_overflow 0
		.amdhsa_exception_fp_ieee_underflow 0
		.amdhsa_exception_fp_ieee_inexact 0
		.amdhsa_exception_int_div_zero 0
	.end_amdhsa_kernel
	.section	.text._ZN7rocprim17ROCPRIM_400000_NS6detail17trampoline_kernelINS0_13select_configILj256ELj13ELNS0_17block_load_methodE3ELS4_3ELS4_3ELNS0_20block_scan_algorithmE0ELj4294967295EEENS1_25partition_config_selectorILNS1_17partition_subalgoE4EjNS0_10empty_typeEbEEZZNS1_14partition_implILS8_4ELb0ES6_15HIP_vector_typeIjLj2EENS0_17counting_iteratorIjlEEPS9_SG_NS0_5tupleIJPjSI_NS0_16reverse_iteratorISI_EEEEENSH_IJSG_SG_SG_EEES9_SI_JZNS1_25segmented_radix_sort_implINS0_14default_configELb0EPKdPdPKlPlN2at6native12_GLOBAL__N_18offset_tEEE10hipError_tPvRmT1_PNSt15iterator_traitsIS12_E10value_typeET2_T3_PNS13_IS18_E10value_typeET4_jRbjT5_S1E_jjP12ihipStream_tbEUljE_ZNSN_ISO_Lb0ESQ_SR_ST_SU_SY_EESZ_S10_S11_S12_S16_S17_S18_S1B_S1C_jS1D_jS1E_S1E_jjS1G_bEUljE0_EEESZ_S10_S11_S18_S1C_S1E_T6_T7_T9_mT8_S1G_bDpT10_ENKUlT_T0_E_clISt17integral_constantIbLb0EES1U_EEDaS1P_S1Q_EUlS1P_E_NS1_11comp_targetILNS1_3genE3ELNS1_11target_archE908ELNS1_3gpuE7ELNS1_3repE0EEENS1_30default_config_static_selectorELNS0_4arch9wavefront6targetE1EEEvS12_,"axG",@progbits,_ZN7rocprim17ROCPRIM_400000_NS6detail17trampoline_kernelINS0_13select_configILj256ELj13ELNS0_17block_load_methodE3ELS4_3ELS4_3ELNS0_20block_scan_algorithmE0ELj4294967295EEENS1_25partition_config_selectorILNS1_17partition_subalgoE4EjNS0_10empty_typeEbEEZZNS1_14partition_implILS8_4ELb0ES6_15HIP_vector_typeIjLj2EENS0_17counting_iteratorIjlEEPS9_SG_NS0_5tupleIJPjSI_NS0_16reverse_iteratorISI_EEEEENSH_IJSG_SG_SG_EEES9_SI_JZNS1_25segmented_radix_sort_implINS0_14default_configELb0EPKdPdPKlPlN2at6native12_GLOBAL__N_18offset_tEEE10hipError_tPvRmT1_PNSt15iterator_traitsIS12_E10value_typeET2_T3_PNS13_IS18_E10value_typeET4_jRbjT5_S1E_jjP12ihipStream_tbEUljE_ZNSN_ISO_Lb0ESQ_SR_ST_SU_SY_EESZ_S10_S11_S12_S16_S17_S18_S1B_S1C_jS1D_jS1E_S1E_jjS1G_bEUljE0_EEESZ_S10_S11_S18_S1C_S1E_T6_T7_T9_mT8_S1G_bDpT10_ENKUlT_T0_E_clISt17integral_constantIbLb0EES1U_EEDaS1P_S1Q_EUlS1P_E_NS1_11comp_targetILNS1_3genE3ELNS1_11target_archE908ELNS1_3gpuE7ELNS1_3repE0EEENS1_30default_config_static_selectorELNS0_4arch9wavefront6targetE1EEEvS12_,comdat
.Lfunc_end1160:
	.size	_ZN7rocprim17ROCPRIM_400000_NS6detail17trampoline_kernelINS0_13select_configILj256ELj13ELNS0_17block_load_methodE3ELS4_3ELS4_3ELNS0_20block_scan_algorithmE0ELj4294967295EEENS1_25partition_config_selectorILNS1_17partition_subalgoE4EjNS0_10empty_typeEbEEZZNS1_14partition_implILS8_4ELb0ES6_15HIP_vector_typeIjLj2EENS0_17counting_iteratorIjlEEPS9_SG_NS0_5tupleIJPjSI_NS0_16reverse_iteratorISI_EEEEENSH_IJSG_SG_SG_EEES9_SI_JZNS1_25segmented_radix_sort_implINS0_14default_configELb0EPKdPdPKlPlN2at6native12_GLOBAL__N_18offset_tEEE10hipError_tPvRmT1_PNSt15iterator_traitsIS12_E10value_typeET2_T3_PNS13_IS18_E10value_typeET4_jRbjT5_S1E_jjP12ihipStream_tbEUljE_ZNSN_ISO_Lb0ESQ_SR_ST_SU_SY_EESZ_S10_S11_S12_S16_S17_S18_S1B_S1C_jS1D_jS1E_S1E_jjS1G_bEUljE0_EEESZ_S10_S11_S18_S1C_S1E_T6_T7_T9_mT8_S1G_bDpT10_ENKUlT_T0_E_clISt17integral_constantIbLb0EES1U_EEDaS1P_S1Q_EUlS1P_E_NS1_11comp_targetILNS1_3genE3ELNS1_11target_archE908ELNS1_3gpuE7ELNS1_3repE0EEENS1_30default_config_static_selectorELNS0_4arch9wavefront6targetE1EEEvS12_, .Lfunc_end1160-_ZN7rocprim17ROCPRIM_400000_NS6detail17trampoline_kernelINS0_13select_configILj256ELj13ELNS0_17block_load_methodE3ELS4_3ELS4_3ELNS0_20block_scan_algorithmE0ELj4294967295EEENS1_25partition_config_selectorILNS1_17partition_subalgoE4EjNS0_10empty_typeEbEEZZNS1_14partition_implILS8_4ELb0ES6_15HIP_vector_typeIjLj2EENS0_17counting_iteratorIjlEEPS9_SG_NS0_5tupleIJPjSI_NS0_16reverse_iteratorISI_EEEEENSH_IJSG_SG_SG_EEES9_SI_JZNS1_25segmented_radix_sort_implINS0_14default_configELb0EPKdPdPKlPlN2at6native12_GLOBAL__N_18offset_tEEE10hipError_tPvRmT1_PNSt15iterator_traitsIS12_E10value_typeET2_T3_PNS13_IS18_E10value_typeET4_jRbjT5_S1E_jjP12ihipStream_tbEUljE_ZNSN_ISO_Lb0ESQ_SR_ST_SU_SY_EESZ_S10_S11_S12_S16_S17_S18_S1B_S1C_jS1D_jS1E_S1E_jjS1G_bEUljE0_EEESZ_S10_S11_S18_S1C_S1E_T6_T7_T9_mT8_S1G_bDpT10_ENKUlT_T0_E_clISt17integral_constantIbLb0EES1U_EEDaS1P_S1Q_EUlS1P_E_NS1_11comp_targetILNS1_3genE3ELNS1_11target_archE908ELNS1_3gpuE7ELNS1_3repE0EEENS1_30default_config_static_selectorELNS0_4arch9wavefront6targetE1EEEvS12_
                                        ; -- End function
	.set _ZN7rocprim17ROCPRIM_400000_NS6detail17trampoline_kernelINS0_13select_configILj256ELj13ELNS0_17block_load_methodE3ELS4_3ELS4_3ELNS0_20block_scan_algorithmE0ELj4294967295EEENS1_25partition_config_selectorILNS1_17partition_subalgoE4EjNS0_10empty_typeEbEEZZNS1_14partition_implILS8_4ELb0ES6_15HIP_vector_typeIjLj2EENS0_17counting_iteratorIjlEEPS9_SG_NS0_5tupleIJPjSI_NS0_16reverse_iteratorISI_EEEEENSH_IJSG_SG_SG_EEES9_SI_JZNS1_25segmented_radix_sort_implINS0_14default_configELb0EPKdPdPKlPlN2at6native12_GLOBAL__N_18offset_tEEE10hipError_tPvRmT1_PNSt15iterator_traitsIS12_E10value_typeET2_T3_PNS13_IS18_E10value_typeET4_jRbjT5_S1E_jjP12ihipStream_tbEUljE_ZNSN_ISO_Lb0ESQ_SR_ST_SU_SY_EESZ_S10_S11_S12_S16_S17_S18_S1B_S1C_jS1D_jS1E_S1E_jjS1G_bEUljE0_EEESZ_S10_S11_S18_S1C_S1E_T6_T7_T9_mT8_S1G_bDpT10_ENKUlT_T0_E_clISt17integral_constantIbLb0EES1U_EEDaS1P_S1Q_EUlS1P_E_NS1_11comp_targetILNS1_3genE3ELNS1_11target_archE908ELNS1_3gpuE7ELNS1_3repE0EEENS1_30default_config_static_selectorELNS0_4arch9wavefront6targetE1EEEvS12_.num_vgpr, 0
	.set _ZN7rocprim17ROCPRIM_400000_NS6detail17trampoline_kernelINS0_13select_configILj256ELj13ELNS0_17block_load_methodE3ELS4_3ELS4_3ELNS0_20block_scan_algorithmE0ELj4294967295EEENS1_25partition_config_selectorILNS1_17partition_subalgoE4EjNS0_10empty_typeEbEEZZNS1_14partition_implILS8_4ELb0ES6_15HIP_vector_typeIjLj2EENS0_17counting_iteratorIjlEEPS9_SG_NS0_5tupleIJPjSI_NS0_16reverse_iteratorISI_EEEEENSH_IJSG_SG_SG_EEES9_SI_JZNS1_25segmented_radix_sort_implINS0_14default_configELb0EPKdPdPKlPlN2at6native12_GLOBAL__N_18offset_tEEE10hipError_tPvRmT1_PNSt15iterator_traitsIS12_E10value_typeET2_T3_PNS13_IS18_E10value_typeET4_jRbjT5_S1E_jjP12ihipStream_tbEUljE_ZNSN_ISO_Lb0ESQ_SR_ST_SU_SY_EESZ_S10_S11_S12_S16_S17_S18_S1B_S1C_jS1D_jS1E_S1E_jjS1G_bEUljE0_EEESZ_S10_S11_S18_S1C_S1E_T6_T7_T9_mT8_S1G_bDpT10_ENKUlT_T0_E_clISt17integral_constantIbLb0EES1U_EEDaS1P_S1Q_EUlS1P_E_NS1_11comp_targetILNS1_3genE3ELNS1_11target_archE908ELNS1_3gpuE7ELNS1_3repE0EEENS1_30default_config_static_selectorELNS0_4arch9wavefront6targetE1EEEvS12_.num_agpr, 0
	.set _ZN7rocprim17ROCPRIM_400000_NS6detail17trampoline_kernelINS0_13select_configILj256ELj13ELNS0_17block_load_methodE3ELS4_3ELS4_3ELNS0_20block_scan_algorithmE0ELj4294967295EEENS1_25partition_config_selectorILNS1_17partition_subalgoE4EjNS0_10empty_typeEbEEZZNS1_14partition_implILS8_4ELb0ES6_15HIP_vector_typeIjLj2EENS0_17counting_iteratorIjlEEPS9_SG_NS0_5tupleIJPjSI_NS0_16reverse_iteratorISI_EEEEENSH_IJSG_SG_SG_EEES9_SI_JZNS1_25segmented_radix_sort_implINS0_14default_configELb0EPKdPdPKlPlN2at6native12_GLOBAL__N_18offset_tEEE10hipError_tPvRmT1_PNSt15iterator_traitsIS12_E10value_typeET2_T3_PNS13_IS18_E10value_typeET4_jRbjT5_S1E_jjP12ihipStream_tbEUljE_ZNSN_ISO_Lb0ESQ_SR_ST_SU_SY_EESZ_S10_S11_S12_S16_S17_S18_S1B_S1C_jS1D_jS1E_S1E_jjS1G_bEUljE0_EEESZ_S10_S11_S18_S1C_S1E_T6_T7_T9_mT8_S1G_bDpT10_ENKUlT_T0_E_clISt17integral_constantIbLb0EES1U_EEDaS1P_S1Q_EUlS1P_E_NS1_11comp_targetILNS1_3genE3ELNS1_11target_archE908ELNS1_3gpuE7ELNS1_3repE0EEENS1_30default_config_static_selectorELNS0_4arch9wavefront6targetE1EEEvS12_.numbered_sgpr, 0
	.set _ZN7rocprim17ROCPRIM_400000_NS6detail17trampoline_kernelINS0_13select_configILj256ELj13ELNS0_17block_load_methodE3ELS4_3ELS4_3ELNS0_20block_scan_algorithmE0ELj4294967295EEENS1_25partition_config_selectorILNS1_17partition_subalgoE4EjNS0_10empty_typeEbEEZZNS1_14partition_implILS8_4ELb0ES6_15HIP_vector_typeIjLj2EENS0_17counting_iteratorIjlEEPS9_SG_NS0_5tupleIJPjSI_NS0_16reverse_iteratorISI_EEEEENSH_IJSG_SG_SG_EEES9_SI_JZNS1_25segmented_radix_sort_implINS0_14default_configELb0EPKdPdPKlPlN2at6native12_GLOBAL__N_18offset_tEEE10hipError_tPvRmT1_PNSt15iterator_traitsIS12_E10value_typeET2_T3_PNS13_IS18_E10value_typeET4_jRbjT5_S1E_jjP12ihipStream_tbEUljE_ZNSN_ISO_Lb0ESQ_SR_ST_SU_SY_EESZ_S10_S11_S12_S16_S17_S18_S1B_S1C_jS1D_jS1E_S1E_jjS1G_bEUljE0_EEESZ_S10_S11_S18_S1C_S1E_T6_T7_T9_mT8_S1G_bDpT10_ENKUlT_T0_E_clISt17integral_constantIbLb0EES1U_EEDaS1P_S1Q_EUlS1P_E_NS1_11comp_targetILNS1_3genE3ELNS1_11target_archE908ELNS1_3gpuE7ELNS1_3repE0EEENS1_30default_config_static_selectorELNS0_4arch9wavefront6targetE1EEEvS12_.num_named_barrier, 0
	.set _ZN7rocprim17ROCPRIM_400000_NS6detail17trampoline_kernelINS0_13select_configILj256ELj13ELNS0_17block_load_methodE3ELS4_3ELS4_3ELNS0_20block_scan_algorithmE0ELj4294967295EEENS1_25partition_config_selectorILNS1_17partition_subalgoE4EjNS0_10empty_typeEbEEZZNS1_14partition_implILS8_4ELb0ES6_15HIP_vector_typeIjLj2EENS0_17counting_iteratorIjlEEPS9_SG_NS0_5tupleIJPjSI_NS0_16reverse_iteratorISI_EEEEENSH_IJSG_SG_SG_EEES9_SI_JZNS1_25segmented_radix_sort_implINS0_14default_configELb0EPKdPdPKlPlN2at6native12_GLOBAL__N_18offset_tEEE10hipError_tPvRmT1_PNSt15iterator_traitsIS12_E10value_typeET2_T3_PNS13_IS18_E10value_typeET4_jRbjT5_S1E_jjP12ihipStream_tbEUljE_ZNSN_ISO_Lb0ESQ_SR_ST_SU_SY_EESZ_S10_S11_S12_S16_S17_S18_S1B_S1C_jS1D_jS1E_S1E_jjS1G_bEUljE0_EEESZ_S10_S11_S18_S1C_S1E_T6_T7_T9_mT8_S1G_bDpT10_ENKUlT_T0_E_clISt17integral_constantIbLb0EES1U_EEDaS1P_S1Q_EUlS1P_E_NS1_11comp_targetILNS1_3genE3ELNS1_11target_archE908ELNS1_3gpuE7ELNS1_3repE0EEENS1_30default_config_static_selectorELNS0_4arch9wavefront6targetE1EEEvS12_.private_seg_size, 0
	.set _ZN7rocprim17ROCPRIM_400000_NS6detail17trampoline_kernelINS0_13select_configILj256ELj13ELNS0_17block_load_methodE3ELS4_3ELS4_3ELNS0_20block_scan_algorithmE0ELj4294967295EEENS1_25partition_config_selectorILNS1_17partition_subalgoE4EjNS0_10empty_typeEbEEZZNS1_14partition_implILS8_4ELb0ES6_15HIP_vector_typeIjLj2EENS0_17counting_iteratorIjlEEPS9_SG_NS0_5tupleIJPjSI_NS0_16reverse_iteratorISI_EEEEENSH_IJSG_SG_SG_EEES9_SI_JZNS1_25segmented_radix_sort_implINS0_14default_configELb0EPKdPdPKlPlN2at6native12_GLOBAL__N_18offset_tEEE10hipError_tPvRmT1_PNSt15iterator_traitsIS12_E10value_typeET2_T3_PNS13_IS18_E10value_typeET4_jRbjT5_S1E_jjP12ihipStream_tbEUljE_ZNSN_ISO_Lb0ESQ_SR_ST_SU_SY_EESZ_S10_S11_S12_S16_S17_S18_S1B_S1C_jS1D_jS1E_S1E_jjS1G_bEUljE0_EEESZ_S10_S11_S18_S1C_S1E_T6_T7_T9_mT8_S1G_bDpT10_ENKUlT_T0_E_clISt17integral_constantIbLb0EES1U_EEDaS1P_S1Q_EUlS1P_E_NS1_11comp_targetILNS1_3genE3ELNS1_11target_archE908ELNS1_3gpuE7ELNS1_3repE0EEENS1_30default_config_static_selectorELNS0_4arch9wavefront6targetE1EEEvS12_.uses_vcc, 0
	.set _ZN7rocprim17ROCPRIM_400000_NS6detail17trampoline_kernelINS0_13select_configILj256ELj13ELNS0_17block_load_methodE3ELS4_3ELS4_3ELNS0_20block_scan_algorithmE0ELj4294967295EEENS1_25partition_config_selectorILNS1_17partition_subalgoE4EjNS0_10empty_typeEbEEZZNS1_14partition_implILS8_4ELb0ES6_15HIP_vector_typeIjLj2EENS0_17counting_iteratorIjlEEPS9_SG_NS0_5tupleIJPjSI_NS0_16reverse_iteratorISI_EEEEENSH_IJSG_SG_SG_EEES9_SI_JZNS1_25segmented_radix_sort_implINS0_14default_configELb0EPKdPdPKlPlN2at6native12_GLOBAL__N_18offset_tEEE10hipError_tPvRmT1_PNSt15iterator_traitsIS12_E10value_typeET2_T3_PNS13_IS18_E10value_typeET4_jRbjT5_S1E_jjP12ihipStream_tbEUljE_ZNSN_ISO_Lb0ESQ_SR_ST_SU_SY_EESZ_S10_S11_S12_S16_S17_S18_S1B_S1C_jS1D_jS1E_S1E_jjS1G_bEUljE0_EEESZ_S10_S11_S18_S1C_S1E_T6_T7_T9_mT8_S1G_bDpT10_ENKUlT_T0_E_clISt17integral_constantIbLb0EES1U_EEDaS1P_S1Q_EUlS1P_E_NS1_11comp_targetILNS1_3genE3ELNS1_11target_archE908ELNS1_3gpuE7ELNS1_3repE0EEENS1_30default_config_static_selectorELNS0_4arch9wavefront6targetE1EEEvS12_.uses_flat_scratch, 0
	.set _ZN7rocprim17ROCPRIM_400000_NS6detail17trampoline_kernelINS0_13select_configILj256ELj13ELNS0_17block_load_methodE3ELS4_3ELS4_3ELNS0_20block_scan_algorithmE0ELj4294967295EEENS1_25partition_config_selectorILNS1_17partition_subalgoE4EjNS0_10empty_typeEbEEZZNS1_14partition_implILS8_4ELb0ES6_15HIP_vector_typeIjLj2EENS0_17counting_iteratorIjlEEPS9_SG_NS0_5tupleIJPjSI_NS0_16reverse_iteratorISI_EEEEENSH_IJSG_SG_SG_EEES9_SI_JZNS1_25segmented_radix_sort_implINS0_14default_configELb0EPKdPdPKlPlN2at6native12_GLOBAL__N_18offset_tEEE10hipError_tPvRmT1_PNSt15iterator_traitsIS12_E10value_typeET2_T3_PNS13_IS18_E10value_typeET4_jRbjT5_S1E_jjP12ihipStream_tbEUljE_ZNSN_ISO_Lb0ESQ_SR_ST_SU_SY_EESZ_S10_S11_S12_S16_S17_S18_S1B_S1C_jS1D_jS1E_S1E_jjS1G_bEUljE0_EEESZ_S10_S11_S18_S1C_S1E_T6_T7_T9_mT8_S1G_bDpT10_ENKUlT_T0_E_clISt17integral_constantIbLb0EES1U_EEDaS1P_S1Q_EUlS1P_E_NS1_11comp_targetILNS1_3genE3ELNS1_11target_archE908ELNS1_3gpuE7ELNS1_3repE0EEENS1_30default_config_static_selectorELNS0_4arch9wavefront6targetE1EEEvS12_.has_dyn_sized_stack, 0
	.set _ZN7rocprim17ROCPRIM_400000_NS6detail17trampoline_kernelINS0_13select_configILj256ELj13ELNS0_17block_load_methodE3ELS4_3ELS4_3ELNS0_20block_scan_algorithmE0ELj4294967295EEENS1_25partition_config_selectorILNS1_17partition_subalgoE4EjNS0_10empty_typeEbEEZZNS1_14partition_implILS8_4ELb0ES6_15HIP_vector_typeIjLj2EENS0_17counting_iteratorIjlEEPS9_SG_NS0_5tupleIJPjSI_NS0_16reverse_iteratorISI_EEEEENSH_IJSG_SG_SG_EEES9_SI_JZNS1_25segmented_radix_sort_implINS0_14default_configELb0EPKdPdPKlPlN2at6native12_GLOBAL__N_18offset_tEEE10hipError_tPvRmT1_PNSt15iterator_traitsIS12_E10value_typeET2_T3_PNS13_IS18_E10value_typeET4_jRbjT5_S1E_jjP12ihipStream_tbEUljE_ZNSN_ISO_Lb0ESQ_SR_ST_SU_SY_EESZ_S10_S11_S12_S16_S17_S18_S1B_S1C_jS1D_jS1E_S1E_jjS1G_bEUljE0_EEESZ_S10_S11_S18_S1C_S1E_T6_T7_T9_mT8_S1G_bDpT10_ENKUlT_T0_E_clISt17integral_constantIbLb0EES1U_EEDaS1P_S1Q_EUlS1P_E_NS1_11comp_targetILNS1_3genE3ELNS1_11target_archE908ELNS1_3gpuE7ELNS1_3repE0EEENS1_30default_config_static_selectorELNS0_4arch9wavefront6targetE1EEEvS12_.has_recursion, 0
	.set _ZN7rocprim17ROCPRIM_400000_NS6detail17trampoline_kernelINS0_13select_configILj256ELj13ELNS0_17block_load_methodE3ELS4_3ELS4_3ELNS0_20block_scan_algorithmE0ELj4294967295EEENS1_25partition_config_selectorILNS1_17partition_subalgoE4EjNS0_10empty_typeEbEEZZNS1_14partition_implILS8_4ELb0ES6_15HIP_vector_typeIjLj2EENS0_17counting_iteratorIjlEEPS9_SG_NS0_5tupleIJPjSI_NS0_16reverse_iteratorISI_EEEEENSH_IJSG_SG_SG_EEES9_SI_JZNS1_25segmented_radix_sort_implINS0_14default_configELb0EPKdPdPKlPlN2at6native12_GLOBAL__N_18offset_tEEE10hipError_tPvRmT1_PNSt15iterator_traitsIS12_E10value_typeET2_T3_PNS13_IS18_E10value_typeET4_jRbjT5_S1E_jjP12ihipStream_tbEUljE_ZNSN_ISO_Lb0ESQ_SR_ST_SU_SY_EESZ_S10_S11_S12_S16_S17_S18_S1B_S1C_jS1D_jS1E_S1E_jjS1G_bEUljE0_EEESZ_S10_S11_S18_S1C_S1E_T6_T7_T9_mT8_S1G_bDpT10_ENKUlT_T0_E_clISt17integral_constantIbLb0EES1U_EEDaS1P_S1Q_EUlS1P_E_NS1_11comp_targetILNS1_3genE3ELNS1_11target_archE908ELNS1_3gpuE7ELNS1_3repE0EEENS1_30default_config_static_selectorELNS0_4arch9wavefront6targetE1EEEvS12_.has_indirect_call, 0
	.section	.AMDGPU.csdata,"",@progbits
; Kernel info:
; codeLenInByte = 0
; TotalNumSgprs: 4
; NumVgprs: 0
; ScratchSize: 0
; MemoryBound: 0
; FloatMode: 240
; IeeeMode: 1
; LDSByteSize: 0 bytes/workgroup (compile time only)
; SGPRBlocks: 0
; VGPRBlocks: 0
; NumSGPRsForWavesPerEU: 4
; NumVGPRsForWavesPerEU: 1
; Occupancy: 10
; WaveLimiterHint : 0
; COMPUTE_PGM_RSRC2:SCRATCH_EN: 0
; COMPUTE_PGM_RSRC2:USER_SGPR: 6
; COMPUTE_PGM_RSRC2:TRAP_HANDLER: 0
; COMPUTE_PGM_RSRC2:TGID_X_EN: 1
; COMPUTE_PGM_RSRC2:TGID_Y_EN: 0
; COMPUTE_PGM_RSRC2:TGID_Z_EN: 0
; COMPUTE_PGM_RSRC2:TIDIG_COMP_CNT: 0
	.section	.text._ZN7rocprim17ROCPRIM_400000_NS6detail17trampoline_kernelINS0_13select_configILj256ELj13ELNS0_17block_load_methodE3ELS4_3ELS4_3ELNS0_20block_scan_algorithmE0ELj4294967295EEENS1_25partition_config_selectorILNS1_17partition_subalgoE4EjNS0_10empty_typeEbEEZZNS1_14partition_implILS8_4ELb0ES6_15HIP_vector_typeIjLj2EENS0_17counting_iteratorIjlEEPS9_SG_NS0_5tupleIJPjSI_NS0_16reverse_iteratorISI_EEEEENSH_IJSG_SG_SG_EEES9_SI_JZNS1_25segmented_radix_sort_implINS0_14default_configELb0EPKdPdPKlPlN2at6native12_GLOBAL__N_18offset_tEEE10hipError_tPvRmT1_PNSt15iterator_traitsIS12_E10value_typeET2_T3_PNS13_IS18_E10value_typeET4_jRbjT5_S1E_jjP12ihipStream_tbEUljE_ZNSN_ISO_Lb0ESQ_SR_ST_SU_SY_EESZ_S10_S11_S12_S16_S17_S18_S1B_S1C_jS1D_jS1E_S1E_jjS1G_bEUljE0_EEESZ_S10_S11_S18_S1C_S1E_T6_T7_T9_mT8_S1G_bDpT10_ENKUlT_T0_E_clISt17integral_constantIbLb0EES1U_EEDaS1P_S1Q_EUlS1P_E_NS1_11comp_targetILNS1_3genE2ELNS1_11target_archE906ELNS1_3gpuE6ELNS1_3repE0EEENS1_30default_config_static_selectorELNS0_4arch9wavefront6targetE1EEEvS12_,"axG",@progbits,_ZN7rocprim17ROCPRIM_400000_NS6detail17trampoline_kernelINS0_13select_configILj256ELj13ELNS0_17block_load_methodE3ELS4_3ELS4_3ELNS0_20block_scan_algorithmE0ELj4294967295EEENS1_25partition_config_selectorILNS1_17partition_subalgoE4EjNS0_10empty_typeEbEEZZNS1_14partition_implILS8_4ELb0ES6_15HIP_vector_typeIjLj2EENS0_17counting_iteratorIjlEEPS9_SG_NS0_5tupleIJPjSI_NS0_16reverse_iteratorISI_EEEEENSH_IJSG_SG_SG_EEES9_SI_JZNS1_25segmented_radix_sort_implINS0_14default_configELb0EPKdPdPKlPlN2at6native12_GLOBAL__N_18offset_tEEE10hipError_tPvRmT1_PNSt15iterator_traitsIS12_E10value_typeET2_T3_PNS13_IS18_E10value_typeET4_jRbjT5_S1E_jjP12ihipStream_tbEUljE_ZNSN_ISO_Lb0ESQ_SR_ST_SU_SY_EESZ_S10_S11_S12_S16_S17_S18_S1B_S1C_jS1D_jS1E_S1E_jjS1G_bEUljE0_EEESZ_S10_S11_S18_S1C_S1E_T6_T7_T9_mT8_S1G_bDpT10_ENKUlT_T0_E_clISt17integral_constantIbLb0EES1U_EEDaS1P_S1Q_EUlS1P_E_NS1_11comp_targetILNS1_3genE2ELNS1_11target_archE906ELNS1_3gpuE6ELNS1_3repE0EEENS1_30default_config_static_selectorELNS0_4arch9wavefront6targetE1EEEvS12_,comdat
	.globl	_ZN7rocprim17ROCPRIM_400000_NS6detail17trampoline_kernelINS0_13select_configILj256ELj13ELNS0_17block_load_methodE3ELS4_3ELS4_3ELNS0_20block_scan_algorithmE0ELj4294967295EEENS1_25partition_config_selectorILNS1_17partition_subalgoE4EjNS0_10empty_typeEbEEZZNS1_14partition_implILS8_4ELb0ES6_15HIP_vector_typeIjLj2EENS0_17counting_iteratorIjlEEPS9_SG_NS0_5tupleIJPjSI_NS0_16reverse_iteratorISI_EEEEENSH_IJSG_SG_SG_EEES9_SI_JZNS1_25segmented_radix_sort_implINS0_14default_configELb0EPKdPdPKlPlN2at6native12_GLOBAL__N_18offset_tEEE10hipError_tPvRmT1_PNSt15iterator_traitsIS12_E10value_typeET2_T3_PNS13_IS18_E10value_typeET4_jRbjT5_S1E_jjP12ihipStream_tbEUljE_ZNSN_ISO_Lb0ESQ_SR_ST_SU_SY_EESZ_S10_S11_S12_S16_S17_S18_S1B_S1C_jS1D_jS1E_S1E_jjS1G_bEUljE0_EEESZ_S10_S11_S18_S1C_S1E_T6_T7_T9_mT8_S1G_bDpT10_ENKUlT_T0_E_clISt17integral_constantIbLb0EES1U_EEDaS1P_S1Q_EUlS1P_E_NS1_11comp_targetILNS1_3genE2ELNS1_11target_archE906ELNS1_3gpuE6ELNS1_3repE0EEENS1_30default_config_static_selectorELNS0_4arch9wavefront6targetE1EEEvS12_ ; -- Begin function _ZN7rocprim17ROCPRIM_400000_NS6detail17trampoline_kernelINS0_13select_configILj256ELj13ELNS0_17block_load_methodE3ELS4_3ELS4_3ELNS0_20block_scan_algorithmE0ELj4294967295EEENS1_25partition_config_selectorILNS1_17partition_subalgoE4EjNS0_10empty_typeEbEEZZNS1_14partition_implILS8_4ELb0ES6_15HIP_vector_typeIjLj2EENS0_17counting_iteratorIjlEEPS9_SG_NS0_5tupleIJPjSI_NS0_16reverse_iteratorISI_EEEEENSH_IJSG_SG_SG_EEES9_SI_JZNS1_25segmented_radix_sort_implINS0_14default_configELb0EPKdPdPKlPlN2at6native12_GLOBAL__N_18offset_tEEE10hipError_tPvRmT1_PNSt15iterator_traitsIS12_E10value_typeET2_T3_PNS13_IS18_E10value_typeET4_jRbjT5_S1E_jjP12ihipStream_tbEUljE_ZNSN_ISO_Lb0ESQ_SR_ST_SU_SY_EESZ_S10_S11_S12_S16_S17_S18_S1B_S1C_jS1D_jS1E_S1E_jjS1G_bEUljE0_EEESZ_S10_S11_S18_S1C_S1E_T6_T7_T9_mT8_S1G_bDpT10_ENKUlT_T0_E_clISt17integral_constantIbLb0EES1U_EEDaS1P_S1Q_EUlS1P_E_NS1_11comp_targetILNS1_3genE2ELNS1_11target_archE906ELNS1_3gpuE6ELNS1_3repE0EEENS1_30default_config_static_selectorELNS0_4arch9wavefront6targetE1EEEvS12_
	.p2align	8
	.type	_ZN7rocprim17ROCPRIM_400000_NS6detail17trampoline_kernelINS0_13select_configILj256ELj13ELNS0_17block_load_methodE3ELS4_3ELS4_3ELNS0_20block_scan_algorithmE0ELj4294967295EEENS1_25partition_config_selectorILNS1_17partition_subalgoE4EjNS0_10empty_typeEbEEZZNS1_14partition_implILS8_4ELb0ES6_15HIP_vector_typeIjLj2EENS0_17counting_iteratorIjlEEPS9_SG_NS0_5tupleIJPjSI_NS0_16reverse_iteratorISI_EEEEENSH_IJSG_SG_SG_EEES9_SI_JZNS1_25segmented_radix_sort_implINS0_14default_configELb0EPKdPdPKlPlN2at6native12_GLOBAL__N_18offset_tEEE10hipError_tPvRmT1_PNSt15iterator_traitsIS12_E10value_typeET2_T3_PNS13_IS18_E10value_typeET4_jRbjT5_S1E_jjP12ihipStream_tbEUljE_ZNSN_ISO_Lb0ESQ_SR_ST_SU_SY_EESZ_S10_S11_S12_S16_S17_S18_S1B_S1C_jS1D_jS1E_S1E_jjS1G_bEUljE0_EEESZ_S10_S11_S18_S1C_S1E_T6_T7_T9_mT8_S1G_bDpT10_ENKUlT_T0_E_clISt17integral_constantIbLb0EES1U_EEDaS1P_S1Q_EUlS1P_E_NS1_11comp_targetILNS1_3genE2ELNS1_11target_archE906ELNS1_3gpuE6ELNS1_3repE0EEENS1_30default_config_static_selectorELNS0_4arch9wavefront6targetE1EEEvS12_,@function
_ZN7rocprim17ROCPRIM_400000_NS6detail17trampoline_kernelINS0_13select_configILj256ELj13ELNS0_17block_load_methodE3ELS4_3ELS4_3ELNS0_20block_scan_algorithmE0ELj4294967295EEENS1_25partition_config_selectorILNS1_17partition_subalgoE4EjNS0_10empty_typeEbEEZZNS1_14partition_implILS8_4ELb0ES6_15HIP_vector_typeIjLj2EENS0_17counting_iteratorIjlEEPS9_SG_NS0_5tupleIJPjSI_NS0_16reverse_iteratorISI_EEEEENSH_IJSG_SG_SG_EEES9_SI_JZNS1_25segmented_radix_sort_implINS0_14default_configELb0EPKdPdPKlPlN2at6native12_GLOBAL__N_18offset_tEEE10hipError_tPvRmT1_PNSt15iterator_traitsIS12_E10value_typeET2_T3_PNS13_IS18_E10value_typeET4_jRbjT5_S1E_jjP12ihipStream_tbEUljE_ZNSN_ISO_Lb0ESQ_SR_ST_SU_SY_EESZ_S10_S11_S12_S16_S17_S18_S1B_S1C_jS1D_jS1E_S1E_jjS1G_bEUljE0_EEESZ_S10_S11_S18_S1C_S1E_T6_T7_T9_mT8_S1G_bDpT10_ENKUlT_T0_E_clISt17integral_constantIbLb0EES1U_EEDaS1P_S1Q_EUlS1P_E_NS1_11comp_targetILNS1_3genE2ELNS1_11target_archE906ELNS1_3gpuE6ELNS1_3repE0EEENS1_30default_config_static_selectorELNS0_4arch9wavefront6targetE1EEEvS12_: ; @_ZN7rocprim17ROCPRIM_400000_NS6detail17trampoline_kernelINS0_13select_configILj256ELj13ELNS0_17block_load_methodE3ELS4_3ELS4_3ELNS0_20block_scan_algorithmE0ELj4294967295EEENS1_25partition_config_selectorILNS1_17partition_subalgoE4EjNS0_10empty_typeEbEEZZNS1_14partition_implILS8_4ELb0ES6_15HIP_vector_typeIjLj2EENS0_17counting_iteratorIjlEEPS9_SG_NS0_5tupleIJPjSI_NS0_16reverse_iteratorISI_EEEEENSH_IJSG_SG_SG_EEES9_SI_JZNS1_25segmented_radix_sort_implINS0_14default_configELb0EPKdPdPKlPlN2at6native12_GLOBAL__N_18offset_tEEE10hipError_tPvRmT1_PNSt15iterator_traitsIS12_E10value_typeET2_T3_PNS13_IS18_E10value_typeET4_jRbjT5_S1E_jjP12ihipStream_tbEUljE_ZNSN_ISO_Lb0ESQ_SR_ST_SU_SY_EESZ_S10_S11_S12_S16_S17_S18_S1B_S1C_jS1D_jS1E_S1E_jjS1G_bEUljE0_EEESZ_S10_S11_S18_S1C_S1E_T6_T7_T9_mT8_S1G_bDpT10_ENKUlT_T0_E_clISt17integral_constantIbLb0EES1U_EEDaS1P_S1Q_EUlS1P_E_NS1_11comp_targetILNS1_3genE2ELNS1_11target_archE906ELNS1_3gpuE6ELNS1_3repE0EEENS1_30default_config_static_selectorELNS0_4arch9wavefront6targetE1EEEvS12_
; %bb.0:
	s_load_dwordx2 s[0:1], s[4:5], 0x68
	s_load_dwordx4 s[44:47], s[4:5], 0x58
	s_load_dword s8, s[4:5], 0x8
	s_load_dwordx2 s[56:57], s[4:5], 0x10
	s_load_dword s7, s[4:5], 0x80
	s_load_dwordx2 s[58:59], s[4:5], 0xa8
	s_load_dwordx8 s[36:43], s[4:5], 0x88
	s_waitcnt lgkmcnt(0)
	s_load_dwordx4 s[48:51], s[46:47], 0x0
	s_mul_i32 s33, s6, 0xd00
	s_add_i32 s9, s7, -1
	s_mulk_i32 s7, 0xd00
	s_add_u32 s2, s56, s7
	s_addc_u32 s3, s57, 0
	v_mov_b32_e32 v1, s2
	v_mov_b32_e32 v2, s3
	s_cmp_eq_u32 s6, s9
	v_cmp_gt_u64_e32 vcc, s[0:1], v[1:2]
	s_cselect_b64 s[34:35], -1, 0
	s_cmp_lg_u32 s6, s9
	s_cselect_b64 s[2:3], -1, 0
	s_add_i32 s1, s8, s33
	s_or_b64 s[2:3], s[2:3], vcc
	s_add_i32 s1, s1, s56
	s_mov_b64 s[8:9], -1
	s_and_b64 vcc, exec, s[2:3]
	v_add_u32_e32 v1, s1, v0
	s_cbranch_vccz .LBB1161_2
; %bb.1:
	v_add_u32_e32 v2, 0x100, v1
	v_lshlrev_b32_e32 v14, 2, v0
	v_add_u32_e32 v3, 0x200, v1
	v_add_u32_e32 v4, 0x300, v1
	;; [unrolled: 1-line block ×11, first 2 shown]
	ds_write2st64_b32 v14, v1, v2 offset1:4
	ds_write2st64_b32 v14, v3, v4 offset0:8 offset1:12
	ds_write2st64_b32 v14, v5, v6 offset0:16 offset1:20
	;; [unrolled: 1-line block ×5, first 2 shown]
	ds_write_b32 v14, v13 offset:12288
	s_waitcnt lgkmcnt(0)
	s_barrier
	s_mov_b64 s[8:9], 0
.LBB1161_2:
	s_andn2_b64 vcc, exec, s[8:9]
	s_add_i32 s7, s7, s56
	s_cbranch_vccnz .LBB1161_4
; %bb.3:
	v_add_u32_e32 v2, 0x100, v1
	v_lshlrev_b32_e32 v14, 2, v0
	v_add_u32_e32 v3, 0x200, v1
	v_add_u32_e32 v4, 0x300, v1
	;; [unrolled: 1-line block ×11, first 2 shown]
	ds_write2st64_b32 v14, v1, v2 offset1:4
	ds_write2st64_b32 v14, v3, v4 offset0:8 offset1:12
	ds_write2st64_b32 v14, v5, v6 offset0:16 offset1:20
	;; [unrolled: 1-line block ×5, first 2 shown]
	ds_write_b32 v14, v13 offset:12288
	s_waitcnt lgkmcnt(0)
	s_barrier
.LBB1161_4:
	v_mul_u32_u24_e32 v30, 13, v0
	v_lshlrev_b32_e32 v1, 2, v30
	s_load_dwordx4 s[52:55], s[4:5], 0x28
	s_load_dwordx2 s[46:47], s[4:5], 0x38
	s_waitcnt lgkmcnt(0)
	ds_read_b32 v29, v1 offset:48
	ds_read2_b32 v[9:10], v1 offset0:10 offset1:11
	ds_read2_b32 v[11:12], v1 offset0:8 offset1:9
	;; [unrolled: 1-line block ×4, first 2 shown]
	ds_read2_b32 v[19:20], v1 offset1:1
	ds_read2_b32 v[17:18], v1 offset0:2 offset1:3
	v_cndmask_b32_e64 v1, 0, 1, s[2:3]
	s_sub_i32 s7, s0, s7
	v_cmp_ne_u32_e64 s[0:1], 1, v1
	s_andn2_b64 vcc, exec, s[2:3]
	s_waitcnt lgkmcnt(0)
	s_barrier
	s_cbranch_vccnz .LBB1161_32
; %bb.5:
	v_add_u32_e32 v1, s37, v19
	v_add_u32_e32 v2, s39, v19
	v_mul_lo_u32 v1, v1, s36
	v_mul_lo_u32 v2, v2, s38
	s_mov_b64 s[62:63], 0
	s_mov_b64 s[60:61], 0
	v_sub_u32_e32 v1, v1, v2
	v_cmp_lt_u32_e32 vcc, s40, v1
	v_cmp_ge_u32_e64 s[2:3], s40, v1
	s_and_saveexec_b64 s[8:9], s[2:3]
	s_cbranch_execz .LBB1161_7
; %bb.6:
	v_add_u32_e32 v1, s42, v19
	v_add_u32_e32 v2, s58, v19
	v_mul_lo_u32 v1, v1, s41
	v_mul_lo_u32 v2, v2, s43
	v_sub_u32_e32 v1, v1, v2
	v_cmp_lt_u32_e64 s[2:3], s59, v1
	s_and_b64 s[60:61], s[2:3], exec
.LBB1161_7:
	s_or_b64 exec, exec, s[8:9]
	v_add_u32_e32 v1, s37, v20
	v_add_u32_e32 v2, s39, v20
	v_mul_lo_u32 v1, v1, s36
	v_mul_lo_u32 v2, v2, s38
	v_sub_u32_e32 v1, v1, v2
	v_cmp_lt_u32_e64 s[2:3], s40, v1
	v_cmp_ge_u32_e64 s[8:9], s40, v1
	s_and_saveexec_b64 s[10:11], s[8:9]
	s_cbranch_execz .LBB1161_9
; %bb.8:
	v_add_u32_e32 v1, s42, v20
	v_add_u32_e32 v2, s58, v20
	v_mul_lo_u32 v1, v1, s41
	v_mul_lo_u32 v2, v2, s43
	v_sub_u32_e32 v1, v1, v2
	v_cmp_lt_u32_e64 s[8:9], s59, v1
	s_and_b64 s[62:63], s[8:9], exec
.LBB1161_9:
	s_or_b64 exec, exec, s[10:11]
	v_add_u32_e32 v1, s37, v17
	v_add_u32_e32 v2, s39, v17
	v_mul_lo_u32 v1, v1, s36
	v_mul_lo_u32 v2, v2, s38
	s_mov_b64 s[66:67], 0
	s_mov_b64 s[64:65], 0
	v_sub_u32_e32 v1, v1, v2
	v_cmp_lt_u32_e64 s[28:29], s40, v1
	v_cmp_ge_u32_e64 s[8:9], s40, v1
	s_and_saveexec_b64 s[10:11], s[8:9]
	s_cbranch_execz .LBB1161_11
; %bb.10:
	v_add_u32_e32 v1, s42, v17
	v_add_u32_e32 v2, s58, v17
	v_mul_lo_u32 v1, v1, s41
	v_mul_lo_u32 v2, v2, s43
	v_sub_u32_e32 v1, v1, v2
	v_cmp_lt_u32_e64 s[8:9], s59, v1
	s_and_b64 s[64:65], s[8:9], exec
.LBB1161_11:
	s_or_b64 exec, exec, s[10:11]
	v_add_u32_e32 v1, s37, v18
	v_add_u32_e32 v2, s39, v18
	v_mul_lo_u32 v1, v1, s36
	v_mul_lo_u32 v2, v2, s38
	v_sub_u32_e32 v1, v1, v2
	v_cmp_lt_u32_e64 s[8:9], s40, v1
	v_cmp_ge_u32_e64 s[10:11], s40, v1
	s_and_saveexec_b64 s[12:13], s[10:11]
	s_cbranch_execz .LBB1161_13
; %bb.12:
	v_add_u32_e32 v1, s42, v18
	v_add_u32_e32 v2, s58, v18
	v_mul_lo_u32 v1, v1, s41
	v_mul_lo_u32 v2, v2, s43
	v_sub_u32_e32 v1, v1, v2
	v_cmp_lt_u32_e64 s[10:11], s59, v1
	s_and_b64 s[66:67], s[10:11], exec
.LBB1161_13:
	s_or_b64 exec, exec, s[12:13]
	v_add_u32_e32 v1, s37, v15
	v_add_u32_e32 v2, s39, v15
	v_mul_lo_u32 v1, v1, s36
	v_mul_lo_u32 v2, v2, s38
	s_mov_b64 s[70:71], 0
	s_mov_b64 s[68:69], 0
	v_sub_u32_e32 v1, v1, v2
	v_cmp_lt_u32_e64 s[10:11], s40, v1
	;; [unrolled: 40-line block ×6, first 2 shown]
	v_cmp_ge_u32_e64 s[30:31], s40, v1
	s_and_saveexec_b64 s[88:89], s[30:31]
	s_cbranch_execz .LBB1161_31
; %bb.30:
	v_add_u32_e32 v1, s42, v29
	v_add_u32_e32 v2, s58, v29
	v_mul_lo_u32 v1, v1, s41
	v_mul_lo_u32 v2, v2, s43
	v_sub_u32_e32 v1, v1, v2
	v_cmp_lt_u32_e64 s[30:31], s59, v1
	s_and_b64 s[86:87], s[30:31], exec
.LBB1161_31:
	s_or_b64 exec, exec, s[88:89]
	v_cndmask_b32_e64 v2, 0, 1, s[2:3]
	v_cndmask_b32_e64 v1, 0, 1, vcc
	v_cndmask_b32_e64 v4, 0, 1, s[8:9]
	v_lshlrev_b16_e32 v2, 8, v2
	v_cndmask_b32_e64 v3, 0, 1, s[28:29]
	v_or_b32_e32 v1, v1, v2
	v_lshlrev_b16_e32 v2, 8, v4
	v_cndmask_b32_e64 v6, 0, 1, s[12:13]
	v_cndmask_b32_e64 v8, 0, 1, s[16:17]
	v_or_b32_sdwa v2, v3, v2 dst_sel:WORD_1 dst_unused:UNUSED_PAD src0_sel:DWORD src1_sel:DWORD
	v_cndmask_b32_e64 v5, 0, 1, s[10:11]
	v_cndmask_b32_e64 v7, 0, 1, s[14:15]
	v_or_b32_sdwa v31, v1, v2 dst_sel:DWORD dst_unused:UNUSED_PAD src0_sel:WORD_0 src1_sel:DWORD
	v_lshlrev_b16_e32 v1, 8, v6
	v_lshlrev_b16_e32 v2, 8, v8
	v_cndmask_b32_e64 v22, 0, 1, s[20:21]
	v_cndmask_b32_e64 v25, 0, 1, s[24:25]
	v_or_b32_e32 v1, v5, v1
	v_or_b32_sdwa v2, v7, v2 dst_sel:WORD_1 dst_unused:UNUSED_PAD src0_sel:DWORD src1_sel:DWORD
	v_cndmask_b32_e64 v21, 0, 1, s[18:19]
	v_cndmask_b32_e64 v23, 0, 1, s[22:23]
	v_or_b32_sdwa v33, v1, v2 dst_sel:DWORD dst_unused:UNUSED_PAD src0_sel:WORD_0 src1_sel:DWORD
	v_lshlrev_b16_e32 v1, 8, v22
	v_lshlrev_b16_e32 v2, 8, v25
	v_cndmask_b32_e64 v37, 0, 1, s[64:65]
	v_cndmask_b32_e64 v42, 0, 1, s[60:61]
	v_or_b32_e32 v1, v21, v1
	;; [unrolled: 9-line block ×4, first 2 shown]
	v_or_b32_sdwa v2, v34, v2 dst_sel:WORD_1 dst_unused:UNUSED_PAD src0_sel:DWORD src1_sel:DWORD
	v_cndmask_b32_e64 v26, 0, 1, s[78:79]
	v_cndmask_b32_e64 v28, 0, 1, s[74:75]
	v_or_b32_sdwa v32, v1, v2 dst_sel:DWORD dst_unused:UNUSED_PAD src0_sel:WORD_0 src1_sel:DWORD
	v_lshlrev_b16_e32 v1, 8, v27
	v_lshlrev_b16_e32 v2, 8, v24
	v_or_b32_e32 v1, v28, v1
	v_or_b32_sdwa v2, v26, v2 dst_sel:WORD_1 dst_unused:UNUSED_PAD src0_sel:DWORD src1_sel:DWORD
	v_cndmask_b32_e64 v35, 0, 1, s[82:83]
	v_cndmask_b32_e64 v38, 0, 1, s[86:87]
	v_or_b32_sdwa v34, v1, v2 dst_sel:DWORD dst_unused:UNUSED_PAD src0_sel:WORD_0 src1_sel:DWORD
	s_load_dwordx2 s[12:13], s[4:5], 0x78
	s_add_i32 s18, s7, 0xd00
	s_and_b64 vcc, exec, s[80:81]
	s_cbranch_vccnz .LBB1161_33
	s_branch .LBB1161_110
.LBB1161_32:
                                        ; implicit-def: $vgpr38
                                        ; implicit-def: $vgpr35
                                        ; implicit-def: $vgpr34
                                        ; implicit-def: $vgpr32
                                        ; implicit-def: $vgpr37
                                        ; implicit-def: $vgpr36
                                        ; implicit-def: $vgpr33
                                        ; implicit-def: $vgpr31
	s_load_dwordx2 s[12:13], s[4:5], 0x78
	s_add_i32 s18, s7, 0xd00
	s_cbranch_execz .LBB1161_110
.LBB1161_33:
	v_cmp_gt_u32_e32 vcc, s18, v30
	v_mov_b32_e32 v2, 0
	v_mov_b32_e32 v1, 0
	s_and_saveexec_b64 s[4:5], vcc
	s_cbranch_execz .LBB1161_37
; %bb.34:
	v_add_u32_e32 v1, s37, v19
	v_add_u32_e32 v2, s39, v19
	v_mul_lo_u32 v1, v1, s36
	v_mul_lo_u32 v2, v2, s38
	s_mov_b64 s[10:11], 0
	v_sub_u32_e32 v1, v1, v2
	v_cmp_lt_u32_e32 vcc, s40, v1
	v_cmp_ge_u32_e64 s[2:3], s40, v1
	s_and_saveexec_b64 s[8:9], s[2:3]
	s_cbranch_execz .LBB1161_36
; %bb.35:
	v_add_u32_e32 v1, s42, v19
	v_add_u32_e32 v2, s58, v19
	v_mul_lo_u32 v1, v1, s41
	v_mul_lo_u32 v2, v2, s43
	v_sub_u32_e32 v1, v1, v2
	v_cmp_lt_u32_e64 s[2:3], s59, v1
	s_and_b64 s[10:11], s[2:3], exec
.LBB1161_36:
	s_or_b64 exec, exec, s[8:9]
	v_cndmask_b32_e64 v2, 0, 1, s[10:11]
	v_cndmask_b32_e64 v1, 0, 1, vcc
.LBB1161_37:
	s_or_b64 exec, exec, s[4:5]
	v_lshlrev_b16_e32 v7, 8, v2
	v_add_u32_e32 v2, 1, v30
	v_cmp_le_u32_e32 vcc, s18, v2
	v_lshlrev_b16_e64 v4, 8, 0
                                        ; implicit-def: $vgpr3
                                        ; implicit-def: $vgpr5
                                        ; implicit-def: $vgpr6
                                        ; implicit-def: $vgpr2
                                        ; implicit-def: $vgpr8
	s_and_saveexec_b64 s[2:3], vcc
	s_xor_b64 s[2:3], exec, s[2:3]
; %bb.38:
	v_mov_b32_e32 v2, 8
	v_lshrrev_b32_sdwa v3, v2, v7 dst_sel:BYTE_1 dst_unused:UNUSED_PAD src0_sel:DWORD src1_sel:DWORD
	v_and_b32_e32 v8, 0xff, v1
	v_or_b32_sdwa v1, v7, v3 dst_sel:DWORD dst_unused:UNUSED_PAD src0_sel:BYTE_0 src1_sel:DWORD
	v_mov_b32_e32 v5, 0
	v_lshlrev_b16_e64 v4, 8, 0
	v_lshlrev_b16_e64 v2, 8, 0
	v_and_b32_e32 v6, 0xffff, v1
	v_lshlrev_b16_e64 v3, 8, 0
                                        ; implicit-def: $vgpr1
                                        ; implicit-def: $vgpr7
; %bb.39:
	s_andn2_saveexec_b64 s[4:5], s[2:3]
	s_cbranch_execz .LBB1161_43
; %bb.40:
	v_add_u32_e32 v2, s37, v20
	v_add_u32_e32 v3, s39, v20
	v_mul_lo_u32 v2, v2, s36
	v_mul_lo_u32 v3, v3, s38
	s_mov_b64 s[8:9], 0
	v_sub_u32_e32 v2, v2, v3
	v_cmp_lt_u32_e32 vcc, s40, v2
	v_cmp_ge_u32_e64 s[2:3], s40, v2
	s_and_saveexec_b64 s[10:11], s[2:3]
	s_cbranch_execz .LBB1161_42
; %bb.41:
	v_add_u32_e32 v2, s42, v20
	v_add_u32_e32 v3, s58, v20
	v_mul_lo_u32 v2, v2, s41
	v_mul_lo_u32 v3, v3, s43
	v_sub_u32_e32 v2, v2, v3
	v_cmp_lt_u32_e64 s[2:3], s59, v2
	s_and_b64 s[8:9], s[2:3], exec
.LBB1161_42:
	s_or_b64 exec, exec, s[10:11]
	v_cndmask_b32_e64 v3, 0, 1, vcc
	v_lshlrev_b16_e32 v3, 8, v3
	v_or_b32_sdwa v1, v1, v3 dst_sel:DWORD dst_unused:UNUSED_PAD src0_sel:BYTE_0 src1_sel:DWORD
	v_and_b32_e32 v8, 0xffff, v1
	v_mov_b32_e32 v1, 8
	v_lshrrev_b32_sdwa v1, v1, v7 dst_sel:BYTE_1 dst_unused:UNUSED_PAD src0_sel:DWORD src1_sel:DWORD
	v_or_b32_sdwa v1, v7, v1 dst_sel:DWORD dst_unused:UNUSED_PAD src0_sel:BYTE_0 src1_sel:DWORD
	v_and_b32_e32 v1, 0xffff, v1
	v_cndmask_b32_e64 v3, 0, 1, s[8:9]
	v_mov_b32_e32 v2, 0
	v_mov_b32_e32 v5, 0
	v_lshl_or_b32 v6, v3, 16, v1
	v_lshlrev_b16_e64 v3, 8, 0
.LBB1161_43:
	s_or_b64 exec, exec, s[4:5]
	v_add_u32_e32 v1, 2, v30
	v_cmp_le_u32_e32 vcc, s18, v1
	v_lshrrev_b32_e32 v21, 24, v8
                                        ; implicit-def: $vgpr1
                                        ; implicit-def: $vgpr7
	s_and_saveexec_b64 s[2:3], vcc
	s_xor_b64 s[2:3], exec, s[2:3]
	s_cbranch_execz .LBB1161_45
; %bb.44:
	s_mov_b32 s4, 0x40c0100
	v_perm_b32 v7, v21, v8, s4
	v_mov_b32_e32 v8, 8
	v_lshrrev_b32_sdwa v8, v8, v7 dst_sel:BYTE_1 dst_unused:UNUSED_PAD src0_sel:DWORD src1_sel:DWORD
	v_or_b32_sdwa v8, v7, v8 dst_sel:DWORD dst_unused:UNUSED_PAD src0_sel:BYTE_0 src1_sel:DWORD
	v_and_b32_e32 v8, 0xffff, v8
	s_mov_b32 s4, 0xff000000
	v_and_or_b32 v7, v7, s4, v8
	s_mov_b32 s4, 0x3060504
	v_and_b32_e32 v1, 0xff0000, v6
	v_perm_b32 v4, v4, v4, s4
	s_mov_b32 s4, 0x3020504
	v_perm_b32 v1, v6, v1, s4
                                        ; implicit-def: $vgpr8
                                        ; implicit-def: $vgpr21
                                        ; implicit-def: $vgpr6
.LBB1161_45:
	s_andn2_saveexec_b64 s[4:5], s[2:3]
	s_cbranch_execz .LBB1161_49
; %bb.46:
	v_add_u32_e32 v1, s37, v17
	v_add_u32_e32 v7, s39, v17
	v_mul_lo_u32 v1, v1, s36
	v_mul_lo_u32 v7, v7, s38
	s_mov_b64 s[8:9], 0
	v_sub_u32_e32 v1, v1, v7
	v_cmp_lt_u32_e32 vcc, s40, v1
	v_cmp_ge_u32_e64 s[2:3], s40, v1
	s_and_saveexec_b64 s[10:11], s[2:3]
	s_cbranch_execz .LBB1161_48
; %bb.47:
	v_add_u32_e32 v1, s42, v17
	v_add_u32_e32 v7, s58, v17
	v_mul_lo_u32 v1, v1, s41
	v_mul_lo_u32 v7, v7, s43
	v_sub_u32_e32 v1, v1, v7
	v_cmp_lt_u32_e64 s[2:3], s59, v1
	s_and_b64 s[8:9], s[2:3], exec
.LBB1161_48:
	s_or_b64 exec, exec, s[10:11]
	v_mov_b32_e32 v23, 8
	v_lshrrev_b32_sdwa v7, v23, v8 dst_sel:BYTE_1 dst_unused:UNUSED_PAD src0_sel:DWORD src1_sel:DWORD
	v_cndmask_b32_e64 v1, 0, 1, vcc
	v_or_b32_sdwa v7, v8, v7 dst_sel:DWORD dst_unused:UNUSED_PAD src0_sel:BYTE_0 src1_sel:DWORD
	v_lshlrev_b16_e32 v8, 8, v21
	v_or_b32_sdwa v1, v1, v8 dst_sel:WORD_1 dst_unused:UNUSED_PAD src0_sel:DWORD src1_sel:DWORD
	v_cndmask_b32_e64 v22, 0, 1, s[8:9]
	s_movk_i32 s2, 0xff
	v_or_b32_sdwa v7, v7, v1 dst_sel:DWORD dst_unused:UNUSED_PAD src0_sel:WORD_0 src1_sel:DWORD
	v_lshrrev_b32_sdwa v1, v23, v6 dst_sel:BYTE_1 dst_unused:UNUSED_PAD src0_sel:DWORD src1_sel:DWORD
	v_or_b32_sdwa v1, v6, v1 dst_sel:DWORD dst_unused:UNUSED_PAD src0_sel:BYTE_0 src1_sel:DWORD
	v_lshlrev_b16_e32 v8, 8, v22
	v_and_b32_sdwa v6, v6, s2 dst_sel:DWORD dst_unused:UNUSED_PAD src0_sel:WORD_1 src1_sel:DWORD
	v_or_b32_sdwa v6, v6, v8 dst_sel:WORD_1 dst_unused:UNUSED_PAD src0_sel:DWORD src1_sel:DWORD
	v_or_b32_sdwa v1, v1, v6 dst_sel:DWORD dst_unused:UNUSED_PAD src0_sel:WORD_0 src1_sel:DWORD
.LBB1161_49:
	s_or_b64 exec, exec, s[4:5]
	v_add_u32_e32 v6, 3, v30
	v_cmp_le_u32_e32 vcc, s18, v6
	v_lshrrev_b32_e32 v8, 24, v5
                                        ; implicit-def: $vgpr6
                                        ; implicit-def: $vgpr31
	s_and_saveexec_b64 s[2:3], vcc
	s_xor_b64 s[2:3], exec, s[2:3]
	s_cbranch_execz .LBB1161_51
; %bb.50:
	v_and_b32_e32 v6, 0xff0000, v7
	s_mov_b32 s4, 0x3020504
	s_movk_i32 s5, 0xff
	v_perm_b32 v31, v7, v6, s4
	v_lshlrev_b16_e32 v6, 8, v8
	v_and_b32_sdwa v7, v5, s5 dst_sel:DWORD dst_unused:UNUSED_PAD src0_sel:WORD_1 src1_sel:DWORD
	s_mov_b32 s4, 0x3060504
	v_or_b32_sdwa v6, v7, v6 dst_sel:WORD_1 dst_unused:UNUSED_PAD src0_sel:DWORD src1_sel:DWORD
	v_mov_b32_e32 v7, 8
	v_perm_b32 v4, v4, v4, s4
	v_lshrrev_b32_sdwa v6, v7, v5 dst_sel:BYTE_1 dst_unused:UNUSED_PRESERVE src0_sel:DWORD src1_sel:DWORD
	v_perm_b32 v3, v3, v3, s4
                                        ; implicit-def: $vgpr7
                                        ; implicit-def: $vgpr8
                                        ; implicit-def: $vgpr5
.LBB1161_51:
	s_andn2_saveexec_b64 s[4:5], s[2:3]
	s_cbranch_execz .LBB1161_55
; %bb.52:
	v_add_u32_e32 v6, s37, v18
	v_add_u32_e32 v21, s39, v18
	v_mul_lo_u32 v6, v6, s36
	v_mul_lo_u32 v21, v21, s38
	s_mov_b64 s[8:9], 0
	v_sub_u32_e32 v6, v6, v21
	v_cmp_lt_u32_e32 vcc, s40, v6
	v_cmp_ge_u32_e64 s[2:3], s40, v6
	s_and_saveexec_b64 s[10:11], s[2:3]
	s_cbranch_execz .LBB1161_54
; %bb.53:
	v_add_u32_e32 v6, s42, v18
	v_add_u32_e32 v21, s58, v18
	v_mul_lo_u32 v6, v6, s41
	v_mul_lo_u32 v21, v21, s43
	v_sub_u32_e32 v6, v6, v21
	v_cmp_lt_u32_e64 s[2:3], s59, v6
	s_and_b64 s[8:9], s[2:3], exec
.LBB1161_54:
	s_or_b64 exec, exec, s[10:11]
	v_mov_b32_e32 v22, 8
	v_cndmask_b32_e64 v6, 0, 1, vcc
	s_movk_i32 s2, 0xff
	v_lshrrev_b32_sdwa v23, v22, v7 dst_sel:BYTE_1 dst_unused:UNUSED_PAD src0_sel:DWORD src1_sel:DWORD
	v_or_b32_sdwa v23, v7, v23 dst_sel:DWORD dst_unused:UNUSED_PAD src0_sel:BYTE_0 src1_sel:DWORD
	v_lshlrev_b16_e32 v6, 8, v6
	v_and_b32_sdwa v7, v7, s2 dst_sel:DWORD dst_unused:UNUSED_PAD src0_sel:WORD_1 src1_sel:DWORD
	v_or_b32_sdwa v6, v7, v6 dst_sel:WORD_1 dst_unused:UNUSED_PAD src0_sel:DWORD src1_sel:DWORD
	v_cndmask_b32_e64 v21, 0, 1, s[8:9]
	v_or_b32_sdwa v31, v23, v6 dst_sel:DWORD dst_unused:UNUSED_PAD src0_sel:WORD_0 src1_sel:DWORD
	v_lshlrev_b16_e32 v6, 8, v8
	v_and_b32_sdwa v7, v5, s2 dst_sel:DWORD dst_unused:UNUSED_PAD src0_sel:WORD_1 src1_sel:DWORD
	v_lshrrev_b32_sdwa v5, v22, v5 dst_sel:BYTE_1 dst_unused:UNUSED_PAD src0_sel:DWORD src1_sel:DWORD
	v_or_b32_sdwa v6, v7, v6 dst_sel:WORD_1 dst_unused:UNUSED_PAD src0_sel:DWORD src1_sel:DWORD
	v_or_b32_e32 v5, v21, v5
	v_or_b32_sdwa v6, v5, v6 dst_sel:DWORD dst_unused:UNUSED_PAD src0_sel:WORD_0 src1_sel:DWORD
.LBB1161_55:
	s_or_b64 exec, exec, s[4:5]
	v_add_u32_e32 v5, 4, v30
	v_cmp_le_u32_e32 vcc, s18, v5
	v_lshrrev_b32_e32 v21, 24, v4
	v_lshrrev_b32_e32 v8, 24, v6
                                        ; implicit-def: $vgpr7
                                        ; implicit-def: $vgpr5
	s_and_saveexec_b64 s[2:3], vcc
	s_xor_b64 s[2:3], exec, s[2:3]
	s_cbranch_execz .LBB1161_57
; %bb.56:
	s_movk_i32 s4, 0xff
	v_lshlrev_b16_e32 v5, 8, v21
	v_and_b32_sdwa v21, v4, s4 dst_sel:DWORD dst_unused:UNUSED_PAD src0_sel:WORD_1 src1_sel:DWORD
	v_mov_b32_e32 v7, 8
	v_or_b32_sdwa v5, v21, v5 dst_sel:WORD_1 dst_unused:UNUSED_PAD src0_sel:DWORD src1_sel:DWORD
	v_lshrrev_b32_sdwa v5, v7, v4 dst_sel:BYTE_1 dst_unused:UNUSED_PRESERVE src0_sel:DWORD src1_sel:DWORD
	v_lshlrev_b16_e32 v4, 8, v8
	v_and_b32_sdwa v7, v6, s4 dst_sel:DWORD dst_unused:UNUSED_PAD src0_sel:WORD_1 src1_sel:DWORD
	v_or_b32_e32 v4, v7, v4
	s_mov_b32 s4, 0x5040c00
	v_perm_b32 v7, v4, v6, s4
	s_mov_b32 s4, 0x3060504
	v_perm_b32 v3, v3, v3, s4
                                        ; implicit-def: $vgpr21
                                        ; implicit-def: $vgpr4
                                        ; implicit-def: $vgpr6
                                        ; implicit-def: $vgpr8
.LBB1161_57:
	s_andn2_saveexec_b64 s[4:5], s[2:3]
	s_cbranch_execz .LBB1161_61
; %bb.58:
	v_add_u32_e32 v5, s37, v15
	v_add_u32_e32 v7, s39, v15
	v_mul_lo_u32 v5, v5, s36
	v_mul_lo_u32 v7, v7, s38
	s_mov_b64 s[8:9], 0
	v_sub_u32_e32 v5, v5, v7
	v_cmp_lt_u32_e32 vcc, s40, v5
	v_cmp_ge_u32_e64 s[2:3], s40, v5
	s_and_saveexec_b64 s[10:11], s[2:3]
	s_cbranch_execz .LBB1161_60
; %bb.59:
	v_add_u32_e32 v5, s42, v15
	v_add_u32_e32 v7, s58, v15
	v_mul_lo_u32 v5, v5, s41
	v_mul_lo_u32 v7, v7, s43
	v_sub_u32_e32 v5, v5, v7
	v_cmp_lt_u32_e64 s[2:3], s59, v5
	s_and_b64 s[8:9], s[2:3], exec
.LBB1161_60:
	s_or_b64 exec, exec, s[10:11]
	s_movk_i32 s2, 0xff
	v_lshlrev_b16_e32 v21, 8, v21
	v_and_b32_sdwa v22, v4, s2 dst_sel:DWORD dst_unused:UNUSED_PAD src0_sel:WORD_1 src1_sel:DWORD
	v_or_b32_sdwa v21, v22, v21 dst_sel:WORD_1 dst_unused:UNUSED_PAD src0_sel:DWORD src1_sel:DWORD
	v_mov_b32_e32 v22, 8
	v_cndmask_b32_e64 v5, 0, 1, vcc
	v_lshrrev_b32_sdwa v4, v22, v4 dst_sel:BYTE_1 dst_unused:UNUSED_PAD src0_sel:DWORD src1_sel:DWORD
	v_cndmask_b32_e64 v7, 0, 1, s[8:9]
	v_or_b32_e32 v4, v5, v4
	v_or_b32_sdwa v5, v4, v21 dst_sel:DWORD dst_unused:UNUSED_PAD src0_sel:WORD_0 src1_sel:DWORD
	v_lshlrev_b16_e32 v4, 8, v7
	v_or_b32_sdwa v4, v6, v4 dst_sel:DWORD dst_unused:UNUSED_PAD src0_sel:BYTE_0 src1_sel:DWORD
	v_lshlrev_b16_e32 v7, 8, v8
	v_and_b32_sdwa v6, v6, s2 dst_sel:DWORD dst_unused:UNUSED_PAD src0_sel:WORD_1 src1_sel:DWORD
	v_or_b32_sdwa v6, v6, v7 dst_sel:WORD_1 dst_unused:UNUSED_PAD src0_sel:DWORD src1_sel:DWORD
	v_or_b32_sdwa v7, v4, v6 dst_sel:DWORD dst_unused:UNUSED_PAD src0_sel:WORD_0 src1_sel:DWORD
.LBB1161_61:
	s_or_b64 exec, exec, s[4:5]
	v_add_u32_e32 v4, 5, v30
	v_cmp_le_u32_e32 vcc, s18, v4
	v_lshrrev_b32_e32 v8, 24, v7
	v_lshrrev_b32_e32 v21, 24, v5
                                        ; implicit-def: $vgpr4
                                        ; implicit-def: $vgpr6
	s_and_saveexec_b64 s[2:3], vcc
	s_xor_b64 s[2:3], exec, s[2:3]
	s_cbranch_execz .LBB1161_63
; %bb.62:
	s_mov_b32 s4, 0x40c0100
	v_perm_b32 v4, v8, v7, s4
	s_movk_i32 s4, 0xff
	v_lshlrev_b16_e32 v6, 8, v21
	v_and_b32_sdwa v7, v5, s4 dst_sel:DWORD dst_unused:UNUSED_PAD src0_sel:WORD_1 src1_sel:DWORD
	v_or_b32_e32 v6, v7, v6
	s_mov_b32 s4, 0x5040c00
	v_perm_b32 v6, v6, v5, s4
	v_mov_b32_e32 v5, 8
	v_lshrrev_b32_sdwa v5, v5, v4 dst_sel:BYTE_1 dst_unused:UNUSED_PAD src0_sel:DWORD src1_sel:DWORD
	v_or_b32_sdwa v5, v4, v5 dst_sel:DWORD dst_unused:UNUSED_PAD src0_sel:BYTE_0 src1_sel:DWORD
	v_and_b32_e32 v5, 0xffff, v5
	s_mov_b32 s4, 0xff000000
	v_and_or_b32 v4, v4, s4, v5
	s_mov_b32 s4, 0x3060504
	v_perm_b32 v3, v3, v3, s4
                                        ; implicit-def: $vgpr5
                                        ; implicit-def: $vgpr21
                                        ; implicit-def: $vgpr7
                                        ; implicit-def: $vgpr8
.LBB1161_63:
	s_andn2_saveexec_b64 s[4:5], s[2:3]
	s_cbranch_execz .LBB1161_67
; %bb.64:
	v_add_u32_e32 v4, s37, v16
	v_add_u32_e32 v6, s39, v16
	v_mul_lo_u32 v4, v4, s36
	v_mul_lo_u32 v6, v6, s38
	s_mov_b64 s[8:9], 0
	v_sub_u32_e32 v4, v4, v6
	v_cmp_lt_u32_e32 vcc, s40, v4
	v_cmp_ge_u32_e64 s[2:3], s40, v4
	s_and_saveexec_b64 s[10:11], s[2:3]
	s_cbranch_execz .LBB1161_66
; %bb.65:
	v_add_u32_e32 v4, s42, v16
	v_add_u32_e32 v6, s58, v16
	v_mul_lo_u32 v4, v4, s41
	v_mul_lo_u32 v6, v6, s43
	v_sub_u32_e32 v4, v4, v6
	v_cmp_lt_u32_e64 s[2:3], s59, v4
	s_and_b64 s[8:9], s[2:3], exec
.LBB1161_66:
	s_or_b64 exec, exec, s[10:11]
	v_cndmask_b32_e64 v4, 0, 1, vcc
	v_lshlrev_b16_e32 v4, 8, v4
	s_movk_i32 s2, 0xff
	v_or_b32_sdwa v4, v5, v4 dst_sel:DWORD dst_unused:UNUSED_PAD src0_sel:BYTE_0 src1_sel:DWORD
	v_lshlrev_b16_e32 v6, 8, v21
	v_and_b32_sdwa v5, v5, s2 dst_sel:DWORD dst_unused:UNUSED_PAD src0_sel:WORD_1 src1_sel:DWORD
	v_or_b32_sdwa v5, v5, v6 dst_sel:WORD_1 dst_unused:UNUSED_PAD src0_sel:DWORD src1_sel:DWORD
	v_or_b32_sdwa v6, v4, v5 dst_sel:DWORD dst_unused:UNUSED_PAD src0_sel:WORD_0 src1_sel:DWORD
	v_mov_b32_e32 v4, 8
	v_cndmask_b32_e64 v22, 0, 1, s[8:9]
	v_lshrrev_b32_sdwa v4, v4, v7 dst_sel:BYTE_1 dst_unused:UNUSED_PAD src0_sel:DWORD src1_sel:DWORD
	v_lshlrev_b16_e32 v5, 8, v8
	v_or_b32_sdwa v4, v7, v4 dst_sel:DWORD dst_unused:UNUSED_PAD src0_sel:BYTE_0 src1_sel:DWORD
	v_or_b32_sdwa v5, v22, v5 dst_sel:WORD_1 dst_unused:UNUSED_PAD src0_sel:DWORD src1_sel:DWORD
	v_or_b32_sdwa v4, v4, v5 dst_sel:DWORD dst_unused:UNUSED_PAD src0_sel:WORD_0 src1_sel:DWORD
.LBB1161_67:
	s_or_b64 exec, exec, s[4:5]
	v_add_u32_e32 v5, 6, v30
	v_cmp_le_u32_e32 vcc, s18, v5
	v_lshrrev_b32_e32 v7, 24, v6
                                        ; implicit-def: $vgpr32
                                        ; implicit-def: $vgpr5
	s_and_saveexec_b64 s[2:3], vcc
	s_xor_b64 s[2:3], exec, s[2:3]
	s_cbranch_execz .LBB1161_69
; %bb.68:
	s_mov_b32 s4, 0x40c0100
	v_perm_b32 v5, v7, v6, s4
	v_mov_b32_e32 v6, 8
	v_lshrrev_b32_sdwa v6, v6, v5 dst_sel:BYTE_1 dst_unused:UNUSED_PAD src0_sel:DWORD src1_sel:DWORD
	v_or_b32_sdwa v6, v5, v6 dst_sel:DWORD dst_unused:UNUSED_PAD src0_sel:BYTE_0 src1_sel:DWORD
	v_and_b32_e32 v6, 0xffff, v6
	s_mov_b32 s4, 0xff000000
	v_and_b32_e32 v8, 0xff0000, v4
	v_and_or_b32 v5, v5, s4, v6
	s_mov_b32 s4, 0x3020504
	v_perm_b32 v32, v4, v8, s4
	s_mov_b32 s4, 0x3060504
	v_perm_b32 v3, v3, v3, s4
                                        ; implicit-def: $vgpr6
                                        ; implicit-def: $vgpr7
                                        ; implicit-def: $vgpr4
.LBB1161_69:
	s_andn2_saveexec_b64 s[4:5], s[2:3]
	s_cbranch_execz .LBB1161_73
; %bb.70:
	v_add_u32_e32 v5, s37, v13
	v_add_u32_e32 v8, s39, v13
	v_mul_lo_u32 v5, v5, s36
	v_mul_lo_u32 v8, v8, s38
	s_mov_b64 s[8:9], 0
	v_sub_u32_e32 v5, v5, v8
	v_cmp_lt_u32_e32 vcc, s40, v5
	v_cmp_ge_u32_e64 s[2:3], s40, v5
	s_and_saveexec_b64 s[10:11], s[2:3]
	s_cbranch_execz .LBB1161_72
; %bb.71:
	v_add_u32_e32 v5, s42, v13
	v_add_u32_e32 v8, s58, v13
	v_mul_lo_u32 v5, v5, s41
	v_mul_lo_u32 v8, v8, s43
	v_sub_u32_e32 v5, v5, v8
	v_cmp_lt_u32_e64 s[2:3], s59, v5
	s_and_b64 s[8:9], s[2:3], exec
.LBB1161_72:
	s_or_b64 exec, exec, s[10:11]
	v_mov_b32_e32 v21, 8
	v_cndmask_b32_e64 v5, 0, 1, vcc
	v_lshrrev_b32_sdwa v22, v21, v6 dst_sel:BYTE_1 dst_unused:UNUSED_PAD src0_sel:DWORD src1_sel:DWORD
	v_lshlrev_b16_e32 v7, 8, v7
	v_or_b32_sdwa v6, v6, v22 dst_sel:DWORD dst_unused:UNUSED_PAD src0_sel:BYTE_0 src1_sel:DWORD
	v_or_b32_sdwa v5, v5, v7 dst_sel:WORD_1 dst_unused:UNUSED_PAD src0_sel:DWORD src1_sel:DWORD
	v_cndmask_b32_e64 v8, 0, 1, s[8:9]
	s_movk_i32 s2, 0xff
	v_or_b32_sdwa v5, v6, v5 dst_sel:DWORD dst_unused:UNUSED_PAD src0_sel:WORD_0 src1_sel:DWORD
	v_lshrrev_b32_sdwa v6, v21, v4 dst_sel:BYTE_1 dst_unused:UNUSED_PAD src0_sel:DWORD src1_sel:DWORD
	v_or_b32_sdwa v6, v4, v6 dst_sel:DWORD dst_unused:UNUSED_PAD src0_sel:BYTE_0 src1_sel:DWORD
	v_lshlrev_b16_e32 v7, 8, v8
	v_and_b32_sdwa v4, v4, s2 dst_sel:DWORD dst_unused:UNUSED_PAD src0_sel:WORD_1 src1_sel:DWORD
	v_or_b32_sdwa v4, v4, v7 dst_sel:WORD_1 dst_unused:UNUSED_PAD src0_sel:DWORD src1_sel:DWORD
	v_or_b32_sdwa v32, v6, v4 dst_sel:DWORD dst_unused:UNUSED_PAD src0_sel:WORD_0 src1_sel:DWORD
.LBB1161_73:
	s_or_b64 exec, exec, s[4:5]
	v_add_u32_e32 v4, 7, v30
	v_cmp_le_u32_e32 vcc, s18, v4
	v_lshrrev_b32_e32 v6, 24, v3
                                        ; implicit-def: $vgpr4
                                        ; implicit-def: $vgpr33
	s_and_saveexec_b64 s[2:3], vcc
	s_xor_b64 s[2:3], exec, s[2:3]
; %bb.74:
	v_and_b32_e32 v4, 0xff0000, v5
	s_mov_b32 s4, 0x3020504
	v_perm_b32 v33, v5, v4, s4
	s_movk_i32 s4, 0xff
	v_lshlrev_b16_e32 v4, 8, v6
	v_and_b32_sdwa v5, v3, s4 dst_sel:DWORD dst_unused:UNUSED_PAD src0_sel:WORD_1 src1_sel:DWORD
	v_mov_b32_e32 v7, 8
	v_or_b32_sdwa v4, v5, v4 dst_sel:WORD_1 dst_unused:UNUSED_PAD src0_sel:DWORD src1_sel:DWORD
	v_lshrrev_b32_sdwa v4, v7, v3 dst_sel:BYTE_1 dst_unused:UNUSED_PRESERVE src0_sel:DWORD src1_sel:DWORD
                                        ; implicit-def: $vgpr5
                                        ; implicit-def: $vgpr6
                                        ; implicit-def: $vgpr3
; %bb.75:
	s_andn2_saveexec_b64 s[4:5], s[2:3]
	s_cbranch_execz .LBB1161_79
; %bb.76:
	v_add_u32_e32 v4, s37, v14
	v_add_u32_e32 v7, s39, v14
	v_mul_lo_u32 v4, v4, s36
	v_mul_lo_u32 v7, v7, s38
	s_mov_b64 s[8:9], 0
	v_sub_u32_e32 v4, v4, v7
	v_cmp_lt_u32_e32 vcc, s40, v4
	v_cmp_ge_u32_e64 s[2:3], s40, v4
	s_and_saveexec_b64 s[10:11], s[2:3]
	s_cbranch_execz .LBB1161_78
; %bb.77:
	v_add_u32_e32 v4, s42, v14
	v_add_u32_e32 v7, s58, v14
	v_mul_lo_u32 v4, v4, s41
	v_mul_lo_u32 v7, v7, s43
	v_sub_u32_e32 v4, v4, v7
	v_cmp_lt_u32_e64 s[2:3], s59, v4
	s_and_b64 s[8:9], s[2:3], exec
.LBB1161_78:
	s_or_b64 exec, exec, s[10:11]
	v_mov_b32_e32 v8, 8
	v_cndmask_b32_e64 v4, 0, 1, vcc
	s_movk_i32 s2, 0xff
	v_lshrrev_b32_sdwa v21, v8, v5 dst_sel:BYTE_1 dst_unused:UNUSED_PAD src0_sel:DWORD src1_sel:DWORD
	v_or_b32_sdwa v21, v5, v21 dst_sel:DWORD dst_unused:UNUSED_PAD src0_sel:BYTE_0 src1_sel:DWORD
	v_lshlrev_b16_e32 v4, 8, v4
	v_and_b32_sdwa v5, v5, s2 dst_sel:DWORD dst_unused:UNUSED_PAD src0_sel:WORD_1 src1_sel:DWORD
	v_or_b32_sdwa v4, v5, v4 dst_sel:WORD_1 dst_unused:UNUSED_PAD src0_sel:DWORD src1_sel:DWORD
	v_cndmask_b32_e64 v7, 0, 1, s[8:9]
	v_or_b32_sdwa v33, v21, v4 dst_sel:DWORD dst_unused:UNUSED_PAD src0_sel:WORD_0 src1_sel:DWORD
	v_lshlrev_b16_e32 v4, 8, v6
	v_and_b32_sdwa v5, v3, s2 dst_sel:DWORD dst_unused:UNUSED_PAD src0_sel:WORD_1 src1_sel:DWORD
	v_lshrrev_b32_sdwa v3, v8, v3 dst_sel:BYTE_1 dst_unused:UNUSED_PAD src0_sel:DWORD src1_sel:DWORD
	v_or_b32_sdwa v4, v5, v4 dst_sel:WORD_1 dst_unused:UNUSED_PAD src0_sel:DWORD src1_sel:DWORD
	v_or_b32_e32 v3, v7, v3
	v_or_b32_sdwa v4, v3, v4 dst_sel:DWORD dst_unused:UNUSED_PAD src0_sel:WORD_0 src1_sel:DWORD
.LBB1161_79:
	s_or_b64 exec, exec, s[4:5]
	v_add_u32_e32 v3, 8, v30
	v_cmp_le_u32_e32 vcc, s18, v3
	v_lshrrev_b32_e32 v6, 24, v4
	v_lshrrev_b32_e32 v7, 24, v2
                                        ; implicit-def: $vgpr5
                                        ; implicit-def: $vgpr3
	s_and_saveexec_b64 s[2:3], vcc
	s_xor_b64 s[2:3], exec, s[2:3]
	s_cbranch_execz .LBB1161_81
; %bb.80:
	s_movk_i32 s4, 0xff
	v_lshlrev_b16_e32 v3, 8, v7
	v_and_b32_sdwa v5, v2, s4 dst_sel:DWORD dst_unused:UNUSED_PAD src0_sel:WORD_1 src1_sel:DWORD
	v_or_b32_sdwa v3, v5, v3 dst_sel:WORD_1 dst_unused:UNUSED_PAD src0_sel:DWORD src1_sel:DWORD
	v_mov_b32_e32 v5, 8
	v_lshrrev_b32_sdwa v3, v5, v2 dst_sel:BYTE_1 dst_unused:UNUSED_PRESERVE src0_sel:DWORD src1_sel:DWORD
	v_lshlrev_b16_e32 v2, 8, v6
	v_and_b32_sdwa v5, v4, s4 dst_sel:DWORD dst_unused:UNUSED_PAD src0_sel:WORD_1 src1_sel:DWORD
	s_mov_b32 s5, 0x3060504
	v_or_b32_e32 v2, v5, v2
	s_mov_b32 s4, 0x5040c00
	v_perm_b32 v1, v1, v1, s5
	v_perm_b32 v5, v2, v4, s4
                                        ; implicit-def: $vgpr7
                                        ; implicit-def: $vgpr2
                                        ; implicit-def: $vgpr4
                                        ; implicit-def: $vgpr6
.LBB1161_81:
	s_andn2_saveexec_b64 s[4:5], s[2:3]
	s_cbranch_execz .LBB1161_85
; %bb.82:
	v_add_u32_e32 v3, s37, v11
	v_add_u32_e32 v5, s39, v11
	v_mul_lo_u32 v3, v3, s36
	v_mul_lo_u32 v5, v5, s38
	s_mov_b64 s[8:9], 0
	v_sub_u32_e32 v3, v3, v5
	v_cmp_lt_u32_e32 vcc, s40, v3
	v_cmp_ge_u32_e64 s[2:3], s40, v3
	s_and_saveexec_b64 s[10:11], s[2:3]
	s_cbranch_execz .LBB1161_84
; %bb.83:
	v_add_u32_e32 v3, s42, v11
	v_add_u32_e32 v5, s58, v11
	v_mul_lo_u32 v3, v3, s41
	v_mul_lo_u32 v5, v5, s43
	v_sub_u32_e32 v3, v3, v5
	v_cmp_lt_u32_e64 s[2:3], s59, v3
	s_and_b64 s[8:9], s[2:3], exec
.LBB1161_84:
	s_or_b64 exec, exec, s[10:11]
	s_movk_i32 s2, 0xff
	v_lshlrev_b16_e32 v7, 8, v7
	v_and_b32_sdwa v8, v2, s2 dst_sel:DWORD dst_unused:UNUSED_PAD src0_sel:WORD_1 src1_sel:DWORD
	v_or_b32_sdwa v7, v8, v7 dst_sel:WORD_1 dst_unused:UNUSED_PAD src0_sel:DWORD src1_sel:DWORD
	v_mov_b32_e32 v8, 8
	v_cndmask_b32_e64 v3, 0, 1, vcc
	v_lshrrev_b32_sdwa v2, v8, v2 dst_sel:BYTE_1 dst_unused:UNUSED_PAD src0_sel:DWORD src1_sel:DWORD
	v_cndmask_b32_e64 v5, 0, 1, s[8:9]
	v_or_b32_e32 v2, v3, v2
	v_or_b32_sdwa v3, v2, v7 dst_sel:DWORD dst_unused:UNUSED_PAD src0_sel:WORD_0 src1_sel:DWORD
	v_lshlrev_b16_e32 v2, 8, v5
	v_or_b32_sdwa v2, v4, v2 dst_sel:DWORD dst_unused:UNUSED_PAD src0_sel:BYTE_0 src1_sel:DWORD
	v_lshlrev_b16_e32 v5, 8, v6
	v_and_b32_sdwa v4, v4, s2 dst_sel:DWORD dst_unused:UNUSED_PAD src0_sel:WORD_1 src1_sel:DWORD
	v_or_b32_sdwa v4, v4, v5 dst_sel:WORD_1 dst_unused:UNUSED_PAD src0_sel:DWORD src1_sel:DWORD
	v_or_b32_sdwa v5, v2, v4 dst_sel:DWORD dst_unused:UNUSED_PAD src0_sel:WORD_0 src1_sel:DWORD
.LBB1161_85:
	s_or_b64 exec, exec, s[4:5]
	v_add_u32_e32 v2, 9, v30
	v_cmp_le_u32_e32 vcc, s18, v2
	v_lshrrev_b32_e32 v6, 24, v5
	v_lshrrev_b32_e32 v7, 24, v3
                                        ; implicit-def: $vgpr2
                                        ; implicit-def: $vgpr4
	s_and_saveexec_b64 s[2:3], vcc
	s_xor_b64 s[2:3], exec, s[2:3]
	s_cbranch_execz .LBB1161_87
; %bb.86:
	s_mov_b32 s4, 0x40c0100
	v_perm_b32 v2, v6, v5, s4
	v_mov_b32_e32 v4, 8
	s_movk_i32 s4, 0xff
	v_lshrrev_b32_sdwa v5, v4, v2 dst_sel:BYTE_1 dst_unused:UNUSED_PAD src0_sel:DWORD src1_sel:DWORD
	v_lshlrev_b16_e32 v4, 8, v7
	v_and_b32_sdwa v6, v3, s4 dst_sel:DWORD dst_unused:UNUSED_PAD src0_sel:WORD_1 src1_sel:DWORD
	v_or_b32_e32 v4, v6, v4
	s_mov_b32 s4, 0x5040c00
	v_perm_b32 v4, v4, v3, s4
	s_mov_b32 s4, 0x3060504
	v_or_b32_sdwa v3, v2, v5 dst_sel:DWORD dst_unused:UNUSED_PAD src0_sel:BYTE_0 src1_sel:DWORD
	v_perm_b32 v1, v1, v1, s4
	v_and_b32_e32 v3, 0xffff, v3
	s_mov_b32 s4, 0xff000000
	v_and_or_b32 v2, v2, s4, v3
                                        ; implicit-def: $vgpr3
                                        ; implicit-def: $vgpr7
                                        ; implicit-def: $vgpr5
                                        ; implicit-def: $vgpr6
.LBB1161_87:
	s_andn2_saveexec_b64 s[4:5], s[2:3]
	s_cbranch_execz .LBB1161_91
; %bb.88:
	v_add_u32_e32 v2, s37, v12
	v_add_u32_e32 v4, s39, v12
	v_mul_lo_u32 v2, v2, s36
	v_mul_lo_u32 v4, v4, s38
	s_mov_b64 s[8:9], 0
	v_sub_u32_e32 v2, v2, v4
	v_cmp_lt_u32_e32 vcc, s40, v2
	v_cmp_ge_u32_e64 s[2:3], s40, v2
	s_and_saveexec_b64 s[10:11], s[2:3]
	s_cbranch_execz .LBB1161_90
; %bb.89:
	v_add_u32_e32 v2, s42, v12
	v_add_u32_e32 v4, s58, v12
	v_mul_lo_u32 v2, v2, s41
	v_mul_lo_u32 v4, v4, s43
	v_sub_u32_e32 v2, v2, v4
	v_cmp_lt_u32_e64 s[2:3], s59, v2
	s_and_b64 s[8:9], s[2:3], exec
.LBB1161_90:
	s_or_b64 exec, exec, s[10:11]
	v_cndmask_b32_e64 v2, 0, 1, vcc
	v_lshlrev_b16_e32 v2, 8, v2
	s_movk_i32 s2, 0xff
	v_or_b32_sdwa v2, v3, v2 dst_sel:DWORD dst_unused:UNUSED_PAD src0_sel:BYTE_0 src1_sel:DWORD
	v_lshlrev_b16_e32 v4, 8, v7
	v_and_b32_sdwa v3, v3, s2 dst_sel:DWORD dst_unused:UNUSED_PAD src0_sel:WORD_1 src1_sel:DWORD
	v_or_b32_sdwa v3, v3, v4 dst_sel:WORD_1 dst_unused:UNUSED_PAD src0_sel:DWORD src1_sel:DWORD
	v_or_b32_sdwa v4, v2, v3 dst_sel:DWORD dst_unused:UNUSED_PAD src0_sel:WORD_0 src1_sel:DWORD
	v_mov_b32_e32 v2, 8
	v_cndmask_b32_e64 v8, 0, 1, s[8:9]
	v_lshrrev_b32_sdwa v2, v2, v5 dst_sel:BYTE_1 dst_unused:UNUSED_PAD src0_sel:DWORD src1_sel:DWORD
	v_lshlrev_b16_e32 v3, 8, v6
	v_or_b32_sdwa v2, v5, v2 dst_sel:DWORD dst_unused:UNUSED_PAD src0_sel:BYTE_0 src1_sel:DWORD
	v_or_b32_sdwa v3, v8, v3 dst_sel:WORD_1 dst_unused:UNUSED_PAD src0_sel:DWORD src1_sel:DWORD
	v_or_b32_sdwa v2, v2, v3 dst_sel:DWORD dst_unused:UNUSED_PAD src0_sel:WORD_0 src1_sel:DWORD
.LBB1161_91:
	s_or_b64 exec, exec, s[4:5]
	v_add_u32_e32 v3, 10, v30
	v_cmp_le_u32_e32 vcc, s18, v3
	v_lshrrev_b32_e32 v5, 24, v4
                                        ; implicit-def: $vgpr34
                                        ; implicit-def: $vgpr3
	s_and_saveexec_b64 s[2:3], vcc
	s_xor_b64 s[2:3], exec, s[2:3]
	s_cbranch_execz .LBB1161_93
; %bb.92:
	s_mov_b32 s4, 0x40c0100
	v_perm_b32 v3, v5, v4, s4
	v_mov_b32_e32 v4, 8
	v_lshrrev_b32_sdwa v4, v4, v3 dst_sel:BYTE_1 dst_unused:UNUSED_PAD src0_sel:DWORD src1_sel:DWORD
	v_or_b32_sdwa v4, v3, v4 dst_sel:DWORD dst_unused:UNUSED_PAD src0_sel:BYTE_0 src1_sel:DWORD
	v_and_b32_e32 v4, 0xffff, v4
	s_mov_b32 s4, 0xff000000
	v_and_or_b32 v3, v3, s4, v4
	s_mov_b32 s4, 0x3060504
	v_and_b32_e32 v6, 0xff0000, v2
	v_perm_b32 v1, v1, v1, s4
	s_mov_b32 s4, 0x3020504
	v_perm_b32 v34, v2, v6, s4
                                        ; implicit-def: $vgpr4
                                        ; implicit-def: $vgpr5
                                        ; implicit-def: $vgpr2
.LBB1161_93:
	s_andn2_saveexec_b64 s[4:5], s[2:3]
	s_cbranch_execz .LBB1161_97
; %bb.94:
	v_add_u32_e32 v3, s37, v9
	v_add_u32_e32 v6, s39, v9
	v_mul_lo_u32 v3, v3, s36
	v_mul_lo_u32 v6, v6, s38
	s_mov_b64 s[8:9], 0
	v_sub_u32_e32 v3, v3, v6
	v_cmp_lt_u32_e32 vcc, s40, v3
	v_cmp_ge_u32_e64 s[2:3], s40, v3
	s_and_saveexec_b64 s[10:11], s[2:3]
	s_cbranch_execz .LBB1161_96
; %bb.95:
	v_add_u32_e32 v3, s42, v9
	v_add_u32_e32 v6, s58, v9
	v_mul_lo_u32 v3, v3, s41
	v_mul_lo_u32 v6, v6, s43
	v_sub_u32_e32 v3, v3, v6
	v_cmp_lt_u32_e64 s[2:3], s59, v3
	s_and_b64 s[8:9], s[2:3], exec
.LBB1161_96:
	s_or_b64 exec, exec, s[10:11]
	v_mov_b32_e32 v7, 8
	v_cndmask_b32_e64 v3, 0, 1, vcc
	v_lshrrev_b32_sdwa v8, v7, v4 dst_sel:BYTE_1 dst_unused:UNUSED_PAD src0_sel:DWORD src1_sel:DWORD
	v_lshlrev_b16_e32 v5, 8, v5
	v_or_b32_sdwa v4, v4, v8 dst_sel:DWORD dst_unused:UNUSED_PAD src0_sel:BYTE_0 src1_sel:DWORD
	v_or_b32_sdwa v3, v3, v5 dst_sel:WORD_1 dst_unused:UNUSED_PAD src0_sel:DWORD src1_sel:DWORD
	v_cndmask_b32_e64 v6, 0, 1, s[8:9]
	s_movk_i32 s2, 0xff
	v_or_b32_sdwa v3, v4, v3 dst_sel:DWORD dst_unused:UNUSED_PAD src0_sel:WORD_0 src1_sel:DWORD
	v_lshrrev_b32_sdwa v4, v7, v2 dst_sel:BYTE_1 dst_unused:UNUSED_PAD src0_sel:DWORD src1_sel:DWORD
	v_or_b32_sdwa v4, v2, v4 dst_sel:DWORD dst_unused:UNUSED_PAD src0_sel:BYTE_0 src1_sel:DWORD
	v_lshlrev_b16_e32 v5, 8, v6
	v_and_b32_sdwa v2, v2, s2 dst_sel:DWORD dst_unused:UNUSED_PAD src0_sel:WORD_1 src1_sel:DWORD
	v_or_b32_sdwa v2, v2, v5 dst_sel:WORD_1 dst_unused:UNUSED_PAD src0_sel:DWORD src1_sel:DWORD
	v_or_b32_sdwa v34, v4, v2 dst_sel:DWORD dst_unused:UNUSED_PAD src0_sel:WORD_0 src1_sel:DWORD
.LBB1161_97:
	s_or_b64 exec, exec, s[4:5]
	v_add_u32_e32 v2, 11, v30
	v_mov_b32_e32 v35, 0
	v_cmp_le_u32_e32 vcc, s18, v2
                                        ; implicit-def: $vgpr36
	s_and_saveexec_b64 s[2:3], vcc
	s_xor_b64 s[2:3], exec, s[2:3]
; %bb.98:
	v_and_b32_e32 v2, 0xff0000, v3
	s_mov_b32 s4, 0x3020504
	v_perm_b32 v36, v3, v2, s4
	s_mov_b32 s4, 0x3060504
	v_perm_b32 v1, v1, v1, s4
                                        ; implicit-def: $vgpr3
; %bb.99:
	s_andn2_saveexec_b64 s[4:5], s[2:3]
	s_cbranch_execz .LBB1161_103
; %bb.100:
	v_add_u32_e32 v2, s37, v10
	v_add_u32_e32 v4, s39, v10
	v_mul_lo_u32 v2, v2, s36
	v_mul_lo_u32 v4, v4, s38
	s_mov_b64 s[8:9], 0
	v_sub_u32_e32 v2, v2, v4
	v_cmp_lt_u32_e32 vcc, s40, v2
	v_cmp_ge_u32_e64 s[2:3], s40, v2
	s_and_saveexec_b64 s[10:11], s[2:3]
	s_cbranch_execz .LBB1161_102
; %bb.101:
	v_add_u32_e32 v2, s42, v10
	v_add_u32_e32 v4, s58, v10
	v_mul_lo_u32 v2, v2, s41
	v_mul_lo_u32 v4, v4, s43
	v_sub_u32_e32 v2, v2, v4
	v_cmp_lt_u32_e64 s[2:3], s59, v2
	s_and_b64 s[8:9], s[2:3], exec
.LBB1161_102:
	s_or_b64 exec, exec, s[10:11]
	v_mov_b32_e32 v4, 8
	v_cndmask_b32_e64 v2, 0, 1, vcc
	s_movk_i32 s2, 0xff
	v_lshrrev_b32_sdwa v4, v4, v3 dst_sel:BYTE_1 dst_unused:UNUSED_PAD src0_sel:DWORD src1_sel:DWORD
	v_or_b32_sdwa v4, v3, v4 dst_sel:DWORD dst_unused:UNUSED_PAD src0_sel:BYTE_0 src1_sel:DWORD
	v_lshlrev_b16_e32 v2, 8, v2
	v_and_b32_sdwa v3, v3, s2 dst_sel:DWORD dst_unused:UNUSED_PAD src0_sel:WORD_1 src1_sel:DWORD
	v_or_b32_sdwa v2, v3, v2 dst_sel:WORD_1 dst_unused:UNUSED_PAD src0_sel:DWORD src1_sel:DWORD
	v_cndmask_b32_e64 v35, 0, 1, s[8:9]
	v_or_b32_sdwa v36, v4, v2 dst_sel:DWORD dst_unused:UNUSED_PAD src0_sel:WORD_0 src1_sel:DWORD
.LBB1161_103:
	s_or_b64 exec, exec, s[4:5]
	v_add_u32_e32 v2, 12, v30
	v_cmp_le_u32_e32 vcc, s18, v2
	v_lshrrev_b32_e32 v2, 24, v1
                                        ; implicit-def: $vgpr37
	s_and_saveexec_b64 s[2:3], vcc
	s_xor_b64 s[2:3], exec, s[2:3]
; %bb.104:
	s_movk_i32 s4, 0xff
	v_lshlrev_b16_e32 v2, 8, v2
	v_and_b32_sdwa v4, v1, s4 dst_sel:DWORD dst_unused:UNUSED_PAD src0_sel:WORD_1 src1_sel:DWORD
	v_mov_b32_e32 v3, 8
	v_or_b32_sdwa v37, v4, v2 dst_sel:WORD_1 dst_unused:UNUSED_PAD src0_sel:DWORD src1_sel:DWORD
	v_lshrrev_b32_sdwa v37, v3, v1 dst_sel:BYTE_1 dst_unused:UNUSED_PRESERVE src0_sel:DWORD src1_sel:DWORD
                                        ; implicit-def: $vgpr2
                                        ; implicit-def: $vgpr1
; %bb.105:
	s_or_saveexec_b64 s[4:5], s[2:3]
	v_mov_b32_e32 v38, 0
	s_xor_b64 exec, exec, s[4:5]
	s_cbranch_execz .LBB1161_109
; %bb.106:
	v_add_u32_e32 v3, s37, v29
	v_add_u32_e32 v4, s39, v29
	v_mul_lo_u32 v3, v3, s36
	v_mul_lo_u32 v4, v4, s38
	s_mov_b64 s[8:9], 0
	v_sub_u32_e32 v3, v3, v4
	v_cmp_lt_u32_e32 vcc, s40, v3
	v_cmp_ge_u32_e64 s[2:3], s40, v3
	s_and_saveexec_b64 s[10:11], s[2:3]
	s_cbranch_execz .LBB1161_108
; %bb.107:
	v_add_u32_e32 v3, s42, v29
	v_add_u32_e32 v4, s58, v29
	v_mul_lo_u32 v3, v3, s41
	v_mul_lo_u32 v4, v4, s43
	v_sub_u32_e32 v3, v3, v4
	v_cmp_lt_u32_e64 s[2:3], s59, v3
	s_and_b64 s[8:9], s[2:3], exec
.LBB1161_108:
	s_or_b64 exec, exec, s[10:11]
	s_movk_i32 s2, 0xff
	v_lshlrev_b16_e32 v2, 8, v2
	v_and_b32_sdwa v4, v1, s2 dst_sel:DWORD dst_unused:UNUSED_PAD src0_sel:WORD_1 src1_sel:DWORD
	v_or_b32_sdwa v2, v4, v2 dst_sel:WORD_1 dst_unused:UNUSED_PAD src0_sel:DWORD src1_sel:DWORD
	v_mov_b32_e32 v4, 8
	v_cndmask_b32_e64 v3, 0, 1, vcc
	v_lshrrev_b32_sdwa v1, v4, v1 dst_sel:BYTE_1 dst_unused:UNUSED_PAD src0_sel:DWORD src1_sel:DWORD
	v_or_b32_e32 v1, v3, v1
	v_cndmask_b32_e64 v38, 0, 1, s[8:9]
	v_or_b32_sdwa v37, v1, v2 dst_sel:DWORD dst_unused:UNUSED_PAD src0_sel:WORD_0 src1_sel:DWORD
.LBB1161_109:
	s_or_b64 exec, exec, s[4:5]
.LBB1161_110:
	v_and_b32_e32 v48, 0xff, v31
	v_bfe_u32 v45, v31, 8, 8
	v_bfe_u32 v50, v31, 16, 8
	v_lshrrev_b32_e32 v43, 24, v31
	v_and_b32_e32 v51, 0xff, v33
	v_add3_u32 v4, v45, v48, v50
	v_bfe_u32 v46, v33, 8, 8
	v_bfe_u32 v53, v33, 16, 8
	v_add3_u32 v4, v4, v43, v51
	v_bfe_u32 v49, v37, 8, 8
	v_bfe_u32 v57, v37, 16, 8
	v_lshrrev_b32_e32 v44, 24, v37
	v_lshrrev_b32_e32 v41, 24, v33
	v_and_b32_e32 v54, 0xff, v36
	v_add3_u32 v4, v4, v46, v53
	v_and_b32_e32 v58, 0xff, v32
	v_bfe_u32 v52, v32, 8, 8
	v_bfe_u32 v47, v36, 8, 8
	;; [unrolled: 1-line block ×3, first 2 shown]
	v_add3_u32 v3, v57, v49, v44
	v_add3_u32 v4, v4, v41, v54
	v_bfe_u32 v59, v32, 16, 8
	v_lshrrev_b32_e32 v42, 24, v32
	v_lshrrev_b32_e32 v39, 24, v36
	v_and_b32_e32 v1, 0xff, v37
	v_add3_u32 v3, v3, v58, v52
	v_add3_u32 v4, v4, v47, v56
	v_and_b32_e32 v60, 0xff, v34
	v_bfe_u32 v55, v34, 8, 8
	v_add3_u32 v3, v3, v59, v42
	v_add3_u32 v68, v4, v39, v1
	v_mbcnt_lo_u32_b32 v1, -1, 0
	v_bfe_u32 v61, v34, 16, 8
	v_lshrrev_b32_e32 v40, 24, v34
	v_add3_u32 v3, v3, v60, v55
	v_mbcnt_hi_u32_b32 v63, -1, v1
	v_and_b32_e32 v62, 0xff, v35
	v_and_b32_e32 v2, 0xff, v38
	v_add3_u32 v3, v3, v61, v40
	v_and_b32_e32 v67, 15, v63
	s_cmp_lg_u32 s6, 0
	v_add3_u32 v69, v3, v62, v2
	v_cmp_eq_u32_e64 s[4:5], 0, v67
	v_cmp_lt_u32_e64 s[2:3], 1, v67
	v_cmp_lt_u32_e64 s[8:9], 3, v67
	;; [unrolled: 1-line block ×3, first 2 shown]
	v_and_b32_e32 v66, 16, v63
	v_cmp_lt_u32_e32 vcc, 31, v63
	v_lshrrev_b32_e32 v64, 6, v0
	v_or_b32_e32 v65, 63, v0
	s_cbranch_scc0 .LBB1161_132
; %bb.111:
	v_mov_b32_dpp v1, v68 row_shr:1 row_mask:0xf bank_mask:0xf
	v_mov_b32_dpp v2, v69 row_shr:1 row_mask:0xf bank_mask:0xf
	v_add_u32_e32 v1, v1, v68
	v_add_u32_e32 v2, v2, v69
	v_cndmask_b32_e64 v2, v2, v69, s[4:5]
	v_cndmask_b32_e64 v1, v1, v68, s[4:5]
	s_nop 0
	v_mov_b32_dpp v4, v2 row_shr:2 row_mask:0xf bank_mask:0xf
	v_mov_b32_dpp v3, v1 row_shr:2 row_mask:0xf bank_mask:0xf
	v_add_u32_e32 v3, v1, v3
	v_add_u32_e32 v4, v2, v4
	v_cndmask_b32_e64 v2, v2, v4, s[2:3]
	v_cndmask_b32_e64 v1, v1, v3, s[2:3]
	s_nop 0
	v_mov_b32_dpp v4, v2 row_shr:4 row_mask:0xf bank_mask:0xf
	v_mov_b32_dpp v3, v1 row_shr:4 row_mask:0xf bank_mask:0xf
	v_add_u32_e32 v3, v1, v3
	v_add_u32_e32 v4, v2, v4
	v_cndmask_b32_e64 v2, v2, v4, s[8:9]
	v_cndmask_b32_e64 v1, v1, v3, s[8:9]
	v_cmp_eq_u32_e64 s[8:9], 0, v66
	v_mov_b32_dpp v4, v2 row_shr:8 row_mask:0xf bank_mask:0xf
	v_mov_b32_dpp v3, v1 row_shr:8 row_mask:0xf bank_mask:0xf
	v_add_u32_e32 v3, v1, v3
	v_add_u32_e32 v4, v2, v4
	v_cndmask_b32_e64 v2, v2, v4, s[10:11]
	v_cndmask_b32_e64 v3, v1, v3, s[10:11]
	s_nop 0
	v_mov_b32_dpp v4, v2 row_bcast:15 row_mask:0xf bank_mask:0xf
	v_mov_b32_dpp v1, v3 row_bcast:15 row_mask:0xf bank_mask:0xf
	v_add_u32_e32 v5, v3, v1
	v_add_u32_e32 v1, v2, v4
	v_cndmask_b32_e64 v1, v1, v2, s[8:9]
	v_cndmask_b32_e64 v2, v5, v3, s[8:9]
	v_cmp_eq_u32_e64 s[8:9], v0, v65
	v_mov_b32_dpp v3, v1 row_bcast:31 row_mask:0xf bank_mask:0xf
	v_mov_b32_dpp v4, v2 row_bcast:31 row_mask:0xf bank_mask:0xf
	v_add_u32_e32 v3, v1, v3
	v_add_u32_e32 v4, v2, v4
	s_and_saveexec_b64 s[10:11], s[8:9]
; %bb.112:
	v_lshlrev_b32_e32 v7, 3, v64
	v_cndmask_b32_e32 v6, v1, v3, vcc
	v_cndmask_b32_e32 v5, v2, v4, vcc
	ds_write_b64 v7, v[5:6]
; %bb.113:
	s_or_b64 exec, exec, s[10:11]
	v_cmp_gt_u32_e64 s[8:9], 4, v0
	s_waitcnt lgkmcnt(0)
	s_barrier
	s_and_saveexec_b64 s[10:11], s[8:9]
	s_cbranch_execz .LBB1161_115
; %bb.114:
	v_lshlrev_b32_e32 v7, 3, v0
	ds_read_b64 v[5:6], v7
	v_and_b32_e32 v8, 3, v63
	v_cmp_eq_u32_e64 s[8:9], 0, v8
	s_waitcnt lgkmcnt(0)
	v_mov_b32_dpp v21, v5 row_shr:1 row_mask:0xf bank_mask:0xf
	v_mov_b32_dpp v22, v6 row_shr:1 row_mask:0xf bank_mask:0xf
	v_add_u32_e32 v21, v21, v5
	v_add_u32_e32 v22, v22, v6
	v_cndmask_b32_e64 v6, v22, v6, s[8:9]
	v_cndmask_b32_e64 v5, v21, v5, s[8:9]
	v_cmp_lt_u32_e64 s[8:9], 1, v8
	v_mov_b32_dpp v22, v6 row_shr:2 row_mask:0xf bank_mask:0xf
	v_mov_b32_dpp v21, v5 row_shr:2 row_mask:0xf bank_mask:0xf
	v_cndmask_b32_e64 v8, 0, v21, s[8:9]
	v_cndmask_b32_e64 v21, 0, v22, s[8:9]
	v_add_u32_e32 v6, v21, v6
	v_add_u32_e32 v5, v8, v5
	ds_write_b64 v7, v[5:6]
.LBB1161_115:
	s_or_b64 exec, exec, s[10:11]
	v_cndmask_b32_e32 v1, v1, v3, vcc
	v_cndmask_b32_e32 v2, v2, v4, vcc
	v_cmp_gt_u32_e32 vcc, 64, v0
	v_cmp_lt_u32_e64 s[8:9], 63, v0
	s_waitcnt lgkmcnt(0)
	s_barrier
                                        ; implicit-def: $vgpr21
	s_and_saveexec_b64 s[10:11], s[8:9]
	s_cbranch_execz .LBB1161_117
; %bb.116:
	v_lshl_add_u32 v3, v64, 3, -8
	ds_read_b64 v[21:22], v3
	s_waitcnt lgkmcnt(0)
	v_add_u32_e32 v1, v22, v1
	v_add_u32_e32 v2, v21, v2
.LBB1161_117:
	s_or_b64 exec, exec, s[10:11]
	v_subrev_co_u32_e64 v3, s[8:9], 1, v63
	v_and_b32_e32 v4, 64, v63
	v_cmp_lt_i32_e64 s[10:11], v3, v4
	v_cndmask_b32_e64 v3, v3, v63, s[10:11]
	v_lshlrev_b32_e32 v3, 2, v3
	ds_bpermute_b32 v70, v3, v2
	ds_bpermute_b32 v71, v3, v1
	s_and_saveexec_b64 s[10:11], vcc
	s_cbranch_execz .LBB1161_137
; %bb.118:
	v_mov_b32_e32 v4, 0
	ds_read_b64 v[1:2], v4 offset:24
	s_and_saveexec_b64 s[14:15], s[8:9]
	s_cbranch_execz .LBB1161_120
; %bb.119:
	s_add_i32 s16, s6, 64
	s_mov_b32 s17, 0
	s_lshl_b64 s[16:17], s[16:17], 4
	s_add_u32 s16, s12, s16
	s_addc_u32 s17, s13, s17
	v_mov_b32_e32 v5, s16
	v_mov_b32_e32 v3, 1
	;; [unrolled: 1-line block ×3, first 2 shown]
	s_waitcnt lgkmcnt(0)
	;;#ASMSTART
	global_store_dwordx4 v[5:6], v[1:4] off	
s_waitcnt vmcnt(0)
	;;#ASMEND
.LBB1161_120:
	s_or_b64 exec, exec, s[14:15]
	v_xad_u32 v23, v63, -1, s6
	v_add_u32_e32 v3, 64, v23
	v_lshlrev_b64 v[5:6], 4, v[3:4]
	v_mov_b32_e32 v3, s13
	v_add_co_u32_e32 v24, vcc, s12, v5
	v_addc_co_u32_e32 v25, vcc, v3, v6, vcc
	;;#ASMSTART
	global_load_dwordx4 v[5:8], v[24:25] off glc	
s_waitcnt vmcnt(0)
	;;#ASMEND
	v_cmp_eq_u16_sdwa s[16:17], v7, v4 src0_sel:BYTE_0 src1_sel:DWORD
	s_and_saveexec_b64 s[14:15], s[16:17]
	s_cbranch_execz .LBB1161_124
; %bb.121:
	s_mov_b64 s[16:17], 0
	v_mov_b32_e32 v3, 0
.LBB1161_122:                           ; =>This Inner Loop Header: Depth=1
	;;#ASMSTART
	global_load_dwordx4 v[5:8], v[24:25] off glc	
s_waitcnt vmcnt(0)
	;;#ASMEND
	v_cmp_ne_u16_sdwa s[20:21], v7, v3 src0_sel:BYTE_0 src1_sel:DWORD
	s_or_b64 s[16:17], s[20:21], s[16:17]
	s_andn2_b64 exec, exec, s[16:17]
	s_cbranch_execnz .LBB1161_122
; %bb.123:
	s_or_b64 exec, exec, s[16:17]
.LBB1161_124:
	s_or_b64 exec, exec, s[14:15]
	v_and_b32_e32 v73, 63, v63
	v_cmp_ne_u32_e32 vcc, 63, v73
	v_mov_b32_e32 v72, 2
	v_lshlrev_b64 v[25:26], v63, -1
	v_addc_co_u32_e32 v8, vcc, 0, v63, vcc
	v_cmp_eq_u16_sdwa s[14:15], v7, v72 src0_sel:BYTE_0 src1_sel:DWORD
	v_lshlrev_b32_e32 v74, 2, v8
	v_and_b32_e32 v3, s15, v26
	ds_bpermute_b32 v8, v74, v5
	ds_bpermute_b32 v24, v74, v6
	v_or_b32_e32 v3, 0x80000000, v3
	v_and_b32_e32 v4, s14, v25
	v_ffbl_b32_e32 v3, v3
	v_add_u32_e32 v3, 32, v3
	v_ffbl_b32_e32 v4, v4
	v_min_u32_e32 v3, v4, v3
	s_waitcnt lgkmcnt(1)
	v_add_u32_e32 v4, v8, v5
	s_waitcnt lgkmcnt(0)
	v_add_u32_e32 v8, v24, v6
	v_cmp_lt_u32_e32 vcc, v73, v3
	v_cndmask_b32_e32 v6, v6, v8, vcc
	v_cndmask_b32_e32 v4, v5, v4, vcc
	v_cmp_gt_u32_e32 vcc, 62, v73
	v_cndmask_b32_e64 v5, 0, 2, vcc
	v_add_lshl_u32 v75, v5, v63, 2
	ds_bpermute_b32 v5, v75, v4
	ds_bpermute_b32 v8, v75, v6
	v_add_u32_e32 v76, 2, v73
	v_cmp_gt_u32_e32 vcc, v76, v3
	v_add_u32_e32 v78, 4, v73
	s_waitcnt lgkmcnt(1)
	v_add_u32_e32 v5, v4, v5
	s_waitcnt lgkmcnt(0)
	v_add_u32_e32 v8, v6, v8
	v_cndmask_b32_e32 v6, v8, v6, vcc
	v_cndmask_b32_e32 v4, v5, v4, vcc
	v_cmp_gt_u32_e32 vcc, 60, v73
	v_cndmask_b32_e64 v5, 0, 4, vcc
	v_add_lshl_u32 v77, v5, v63, 2
	ds_bpermute_b32 v5, v77, v4
	ds_bpermute_b32 v8, v77, v6
	v_cmp_gt_u32_e32 vcc, v78, v3
	v_add_u32_e32 v80, 8, v73
	v_add_u32_e32 v82, 16, v73
	s_waitcnt lgkmcnt(1)
	v_add_u32_e32 v5, v4, v5
	s_waitcnt lgkmcnt(0)
	v_add_u32_e32 v8, v6, v8
	v_cndmask_b32_e32 v6, v8, v6, vcc
	v_cndmask_b32_e32 v4, v5, v4, vcc
	v_cmp_gt_u32_e32 vcc, 56, v73
	v_cndmask_b32_e64 v5, 0, 8, vcc
	v_add_lshl_u32 v79, v5, v63, 2
	ds_bpermute_b32 v5, v79, v4
	ds_bpermute_b32 v8, v79, v6
	v_cmp_gt_u32_e32 vcc, v80, v3
	v_add_u32_e32 v84, 32, v73
	v_mov_b32_e32 v24, 0
	s_waitcnt lgkmcnt(1)
	v_add_u32_e32 v5, v4, v5
	s_waitcnt lgkmcnt(0)
	v_add_u32_e32 v8, v6, v8
	v_cndmask_b32_e32 v6, v8, v6, vcc
	v_cndmask_b32_e32 v4, v5, v4, vcc
	v_cmp_gt_u32_e32 vcc, 48, v73
	v_cndmask_b32_e64 v5, 0, 16, vcc
	v_add_lshl_u32 v81, v5, v63, 2
	ds_bpermute_b32 v5, v81, v4
	ds_bpermute_b32 v8, v81, v6
	v_cmp_gt_u32_e32 vcc, v82, v3
	s_waitcnt lgkmcnt(1)
	v_add_u32_e32 v5, v4, v5
	s_waitcnt lgkmcnt(0)
	v_add_u32_e32 v8, v6, v8
	v_cndmask_b32_e32 v4, v5, v4, vcc
	v_mov_b32_e32 v5, 0x80
	v_cndmask_b32_e32 v6, v8, v6, vcc
	v_lshl_or_b32 v83, v63, 2, v5
	ds_bpermute_b32 v5, v83, v4
	ds_bpermute_b32 v8, v83, v6
	v_cmp_le_u32_e32 vcc, v84, v3
	s_waitcnt lgkmcnt(1)
	v_cndmask_b32_e32 v3, 0, v5, vcc
	s_waitcnt lgkmcnt(0)
	v_cndmask_b32_e32 v5, 0, v8, vcc
	v_add_u32_e32 v6, v6, v5
	v_add_u32_e32 v5, v4, v3
	s_branch .LBB1161_128
.LBB1161_125:                           ;   in Loop: Header=BB1161_128 Depth=1
	s_or_b64 exec, exec, s[16:17]
.LBB1161_126:                           ;   in Loop: Header=BB1161_128 Depth=1
	s_or_b64 exec, exec, s[14:15]
	v_cmp_eq_u16_sdwa s[14:15], v7, v72 src0_sel:BYTE_0 src1_sel:DWORD
	v_and_b32_e32 v8, s15, v26
	ds_bpermute_b32 v28, v74, v5
	ds_bpermute_b32 v85, v74, v6
	v_or_b32_e32 v8, 0x80000000, v8
	v_and_b32_e32 v27, s14, v25
	v_ffbl_b32_e32 v8, v8
	v_add_u32_e32 v8, 32, v8
	v_ffbl_b32_e32 v27, v27
	v_min_u32_e32 v8, v27, v8
	s_waitcnt lgkmcnt(1)
	v_add_u32_e32 v27, v28, v5
	s_waitcnt lgkmcnt(0)
	v_add_u32_e32 v28, v85, v6
	v_cmp_lt_u32_e32 vcc, v73, v8
	v_cndmask_b32_e32 v6, v6, v28, vcc
	v_cndmask_b32_e32 v5, v5, v27, vcc
	ds_bpermute_b32 v27, v75, v5
	ds_bpermute_b32 v28, v75, v6
	v_cmp_gt_u32_e32 vcc, v76, v8
	v_subrev_u32_e32 v23, 64, v23
	s_mov_b64 s[14:15], 0
	s_waitcnt lgkmcnt(1)
	v_add_u32_e32 v27, v5, v27
	s_waitcnt lgkmcnt(0)
	v_add_u32_e32 v28, v6, v28
	v_cndmask_b32_e32 v6, v28, v6, vcc
	v_cndmask_b32_e32 v5, v27, v5, vcc
	ds_bpermute_b32 v27, v77, v5
	ds_bpermute_b32 v28, v77, v6
	v_cmp_gt_u32_e32 vcc, v78, v8
	s_waitcnt lgkmcnt(1)
	v_add_u32_e32 v27, v5, v27
	s_waitcnt lgkmcnt(0)
	v_add_u32_e32 v28, v6, v28
	v_cndmask_b32_e32 v6, v28, v6, vcc
	v_cndmask_b32_e32 v5, v27, v5, vcc
	ds_bpermute_b32 v27, v79, v5
	ds_bpermute_b32 v28, v79, v6
	v_cmp_gt_u32_e32 vcc, v80, v8
	;; [unrolled: 9-line block ×3, first 2 shown]
	s_waitcnt lgkmcnt(1)
	v_add_u32_e32 v27, v5, v27
	s_waitcnt lgkmcnt(0)
	v_add_u32_e32 v28, v6, v28
	v_cndmask_b32_e32 v6, v28, v6, vcc
	v_cndmask_b32_e32 v5, v27, v5, vcc
	ds_bpermute_b32 v27, v83, v5
	ds_bpermute_b32 v28, v83, v6
	v_cmp_le_u32_e32 vcc, v84, v8
	s_waitcnt lgkmcnt(1)
	v_cndmask_b32_e32 v8, 0, v27, vcc
	s_waitcnt lgkmcnt(0)
	v_cndmask_b32_e32 v27, 0, v28, vcc
	v_add3_u32 v6, v27, v4, v6
	v_add3_u32 v5, v8, v3, v5
.LBB1161_127:                           ;   in Loop: Header=BB1161_128 Depth=1
	s_and_b64 vcc, exec, s[14:15]
	s_cbranch_vccnz .LBB1161_133
.LBB1161_128:                           ; =>This Loop Header: Depth=1
                                        ;     Child Loop BB1161_131 Depth 2
	v_mov_b32_e32 v3, v5
	v_cmp_ne_u16_sdwa s[14:15], v7, v72 src0_sel:BYTE_0 src1_sel:DWORD
	v_mov_b32_e32 v4, v6
	s_cmp_lg_u64 s[14:15], exec
	s_mov_b64 s[14:15], -1
                                        ; implicit-def: $vgpr7
                                        ; implicit-def: $vgpr5_vgpr6
	s_cbranch_scc1 .LBB1161_127
; %bb.129:                              ;   in Loop: Header=BB1161_128 Depth=1
	v_lshlrev_b64 v[5:6], 4, v[23:24]
	v_mov_b32_e32 v7, s13
	v_add_co_u32_e32 v27, vcc, s12, v5
	v_addc_co_u32_e32 v28, vcc, v7, v6, vcc
	;;#ASMSTART
	global_load_dwordx4 v[5:8], v[27:28] off glc	
s_waitcnt vmcnt(0)
	;;#ASMEND
	v_cmp_eq_u16_sdwa s[16:17], v7, v24 src0_sel:BYTE_0 src1_sel:DWORD
	s_and_saveexec_b64 s[14:15], s[16:17]
	s_cbranch_execz .LBB1161_126
; %bb.130:                              ;   in Loop: Header=BB1161_128 Depth=1
	s_mov_b64 s[16:17], 0
.LBB1161_131:                           ;   Parent Loop BB1161_128 Depth=1
                                        ; =>  This Inner Loop Header: Depth=2
	;;#ASMSTART
	global_load_dwordx4 v[5:8], v[27:28] off glc	
s_waitcnt vmcnt(0)
	;;#ASMEND
	v_cmp_ne_u16_sdwa s[20:21], v7, v24 src0_sel:BYTE_0 src1_sel:DWORD
	s_or_b64 s[16:17], s[20:21], s[16:17]
	s_andn2_b64 exec, exec, s[16:17]
	s_cbranch_execnz .LBB1161_131
	s_branch .LBB1161_125
.LBB1161_132:
                                        ; implicit-def: $vgpr22
                                        ; implicit-def: $vgpr3
                                        ; implicit-def: $vgpr23
	s_cbranch_execnz .LBB1161_138
	s_branch .LBB1161_147
.LBB1161_133:
	s_and_saveexec_b64 s[14:15], s[8:9]
	s_cbranch_execnz .LBB1161_375
; %bb.134:
	s_or_b64 exec, exec, s[14:15]
	s_and_saveexec_b64 s[6:7], s[8:9]
	s_cbranch_execnz .LBB1161_376
.LBB1161_135:
	s_or_b64 exec, exec, s[6:7]
	v_cmp_eq_u32_e32 vcc, 0, v0
	s_and_b64 exec, exec, vcc
.LBB1161_136:
	v_mov_b32_e32 v1, 0
	ds_write_b64 v1, v[3:4] offset:24
.LBB1161_137:
	s_or_b64 exec, exec, s[10:11]
	v_mov_b32_e32 v1, 0
	s_waitcnt lgkmcnt(0)
	s_barrier
	ds_read_b64 v[5:6], v1 offset:24
	v_cndmask_b32_e64 v2, v71, v22, s[8:9]
	v_cndmask_b32_e64 v3, v70, v21, s[8:9]
	s_waitcnt lgkmcnt(0)
	s_barrier
	v_add_u32_e32 v7, v5, v3
	v_add_u32_e32 v8, v6, v2
	ds_read_b128 v[1:4], v1 offset:13312
	v_cmp_eq_u32_e32 vcc, 0, v0
	v_cndmask_b32_e32 v22, v8, v6, vcc
	v_cndmask_b32_e32 v23, v7, v5, vcc
	s_branch .LBB1161_147
.LBB1161_138:
	s_waitcnt lgkmcnt(0)
	v_mov_b32_dpp v1, v68 row_shr:1 row_mask:0xf bank_mask:0xf
	v_mov_b32_dpp v2, v69 row_shr:1 row_mask:0xf bank_mask:0xf
	v_add_u32_e32 v1, v1, v68
	v_add_u32_e32 v2, v2, v69
	v_cndmask_b32_e64 v2, v2, v69, s[4:5]
	v_cndmask_b32_e64 v1, v1, v68, s[4:5]
	v_cmp_lt_u32_e32 vcc, 3, v67
	v_mov_b32_dpp v4, v2 row_shr:2 row_mask:0xf bank_mask:0xf
	v_mov_b32_dpp v3, v1 row_shr:2 row_mask:0xf bank_mask:0xf
	v_add_u32_e32 v3, v1, v3
	v_add_u32_e32 v4, v2, v4
	v_cndmask_b32_e64 v2, v2, v4, s[2:3]
	v_cndmask_b32_e64 v1, v1, v3, s[2:3]
	v_cmp_eq_u32_e64 s[2:3], v0, v65
	v_mov_b32_dpp v4, v2 row_shr:4 row_mask:0xf bank_mask:0xf
	v_mov_b32_dpp v3, v1 row_shr:4 row_mask:0xf bank_mask:0xf
	v_add_u32_e32 v3, v1, v3
	v_add_u32_e32 v4, v2, v4
	v_cndmask_b32_e32 v2, v2, v4, vcc
	v_cndmask_b32_e32 v1, v1, v3, vcc
	v_cmp_lt_u32_e32 vcc, 7, v67
	v_mov_b32_dpp v4, v2 row_shr:8 row_mask:0xf bank_mask:0xf
	v_mov_b32_dpp v3, v1 row_shr:8 row_mask:0xf bank_mask:0xf
	v_add_u32_e32 v3, v1, v3
	v_add_u32_e32 v4, v2, v4
	v_cndmask_b32_e32 v2, v2, v4, vcc
	v_cndmask_b32_e32 v3, v1, v3, vcc
	v_cmp_eq_u32_e32 vcc, 0, v66
	v_mov_b32_dpp v4, v2 row_bcast:15 row_mask:0xf bank_mask:0xf
	v_mov_b32_dpp v1, v3 row_bcast:15 row_mask:0xf bank_mask:0xf
	v_add_u32_e32 v5, v3, v1
	v_add_u32_e32 v1, v2, v4
	v_cndmask_b32_e32 v1, v1, v2, vcc
	v_cndmask_b32_e32 v2, v5, v3, vcc
	v_cmp_lt_u32_e32 vcc, 31, v63
	v_mov_b32_dpp v3, v1 row_bcast:31 row_mask:0xf bank_mask:0xf
	v_mov_b32_dpp v4, v2 row_bcast:31 row_mask:0xf bank_mask:0xf
	v_add_u32_e32 v3, v1, v3
	v_add_u32_e32 v4, v2, v4
	s_and_saveexec_b64 s[4:5], s[2:3]
; %bb.139:
	v_cndmask_b32_e32 v5, v2, v4, vcc
	v_cndmask_b32_e32 v6, v1, v3, vcc
	v_lshlrev_b32_e32 v7, 3, v64
	ds_write_b64 v7, v[5:6]
; %bb.140:
	s_or_b64 exec, exec, s[4:5]
	v_cmp_gt_u32_e64 s[2:3], 4, v0
	s_waitcnt lgkmcnt(0)
	s_barrier
	s_and_saveexec_b64 s[4:5], s[2:3]
	s_cbranch_execz .LBB1161_142
; %bb.141:
	v_lshlrev_b32_e32 v7, 3, v0
	ds_read_b64 v[5:6], v7
	v_and_b32_e32 v8, 3, v63
	v_cmp_eq_u32_e64 s[2:3], 0, v8
	s_waitcnt lgkmcnt(0)
	v_mov_b32_dpp v21, v5 row_shr:1 row_mask:0xf bank_mask:0xf
	v_mov_b32_dpp v22, v6 row_shr:1 row_mask:0xf bank_mask:0xf
	v_add_u32_e32 v21, v21, v5
	v_add_u32_e32 v22, v22, v6
	v_cndmask_b32_e64 v6, v22, v6, s[2:3]
	v_cndmask_b32_e64 v5, v21, v5, s[2:3]
	v_cmp_lt_u32_e64 s[2:3], 1, v8
	v_mov_b32_dpp v22, v6 row_shr:2 row_mask:0xf bank_mask:0xf
	v_mov_b32_dpp v21, v5 row_shr:2 row_mask:0xf bank_mask:0xf
	v_cndmask_b32_e64 v8, 0, v21, s[2:3]
	v_cndmask_b32_e64 v21, 0, v22, s[2:3]
	v_add_u32_e32 v6, v21, v6
	v_add_u32_e32 v5, v8, v5
	ds_write_b64 v7, v[5:6]
.LBB1161_142:
	s_or_b64 exec, exec, s[4:5]
	v_cmp_lt_u32_e64 s[2:3], 63, v0
	v_mov_b32_e32 v7, 0
	v_mov_b32_e32 v5, 0
	;; [unrolled: 1-line block ×3, first 2 shown]
	s_waitcnt lgkmcnt(0)
	s_barrier
	s_and_saveexec_b64 s[4:5], s[2:3]
; %bb.143:
	v_lshl_add_u32 v5, v64, 3, -8
	ds_read_b64 v[5:6], v5
; %bb.144:
	s_or_b64 exec, exec, s[4:5]
	v_cndmask_b32_e32 v2, v2, v4, vcc
	v_cndmask_b32_e32 v1, v1, v3, vcc
	v_subrev_co_u32_e32 v3, vcc, 1, v63
	v_and_b32_e32 v4, 64, v63
	v_cmp_lt_i32_e64 s[2:3], v3, v4
	v_cndmask_b32_e64 v3, v3, v63, s[2:3]
	s_waitcnt lgkmcnt(0)
	v_add_u32_e32 v1, v6, v1
	v_add_u32_e32 v2, v5, v2
	v_lshlrev_b32_e32 v3, 2, v3
	ds_bpermute_b32 v8, v3, v2
	ds_bpermute_b32 v21, v3, v1
	ds_read_b64 v[1:2], v7 offset:24
	v_cmp_eq_u32_e64 s[2:3], 0, v0
	s_and_saveexec_b64 s[4:5], s[2:3]
	s_cbranch_execz .LBB1161_146
; %bb.145:
	s_add_u32 s6, s12, 0x400
	s_addc_u32 s7, s13, 0
	v_mov_b32_e32 v23, s7
	v_mov_b32_e32 v3, 2
	;; [unrolled: 1-line block ×4, first 2 shown]
	s_waitcnt lgkmcnt(0)
	;;#ASMSTART
	global_store_dwordx4 v[22:23], v[1:4] off	
s_waitcnt vmcnt(0)
	;;#ASMEND
.LBB1161_146:
	s_or_b64 exec, exec, s[4:5]
	s_waitcnt lgkmcnt(2)
	v_cndmask_b32_e32 v3, v8, v5, vcc
	s_waitcnt lgkmcnt(1)
	v_cndmask_b32_e32 v4, v21, v6, vcc
	v_cndmask_b32_e64 v22, v4, 0, s[2:3]
	v_cndmask_b32_e64 v23, v3, 0, s[2:3]
	v_mov_b32_e32 v4, 0
	v_mov_b32_e32 v3, 0
	s_waitcnt lgkmcnt(0)
	s_barrier
.LBB1161_147:
	v_mov_b32_e32 v6, s49
	s_waitcnt lgkmcnt(0)
	v_add_co_u32_e32 v5, vcc, s48, v3
	v_addc_co_u32_e32 v6, vcc, 0, v6, vcc
	v_mov_b32_e32 v27, s51
	v_sub_co_u32_e32 v28, vcc, s50, v1
	v_subbrev_co_u32_e32 v69, vcc, 0, v27, vcc
	v_add_co_u32_e32 v27, vcc, v28, v4
	v_add_u32_e32 v49, v22, v49
	v_addc_co_u32_e32 v28, vcc, 0, v69, vcc
	v_lshlrev_b32_e32 v69, 1, v1
	v_sub_u32_e32 v22, v22, v4
	v_lshrrev_b32_e32 v26, 8, v37
	v_add_u32_e32 v48, v23, v48
	v_add_u32_e32 v70, v69, v2
	v_sub_u32_e32 v23, v23, v3
	v_add_u32_e32 v22, v22, v1
	v_add_u32_e32 v30, v70, v30
	v_and_b32_e32 v26, 1, v26
	v_add_u32_e32 v71, v23, v22
	v_and_b32_e32 v70, 1, v31
	v_sub_u32_e32 v71, v30, v71
	v_cmp_eq_u32_e32 vcc, 1, v26
	v_cndmask_b32_e32 v22, v71, v22, vcc
	v_cmp_eq_u32_e32 vcc, 1, v70
	v_cndmask_b32_e32 v22, v22, v23, vcc
	v_lshlrev_b32_e32 v22, 2, v22
	v_sub_u32_e32 v23, v49, v4
	v_lshrrev_b32_e32 v25, 8, v31
	ds_write_b32 v22, v19
	v_sub_u32_e32 v19, v48, v3
	v_add_u32_e32 v23, v23, v1
	v_add_u32_e32 v45, v48, v45
	v_and_b32_e32 v22, 1, v25
	v_mov_b32_e32 v25, 1
	v_add_u32_e32 v48, v23, v19
	v_and_b32_sdwa v26, v25, v37 dst_sel:DWORD dst_unused:UNUSED_PAD src0_sel:DWORD src1_sel:WORD_1
	v_sub_u32_e32 v48, v30, v48
	v_add_u32_e32 v48, 1, v48
	v_cmp_eq_u32_e32 vcc, 1, v26
	v_cndmask_b32_e32 v23, v48, v23, vcc
	v_cmp_eq_u32_e32 vcc, 1, v22
	v_add_u32_e32 v57, v49, v57
	v_cndmask_b32_e32 v19, v23, v19, vcc
	v_lshlrev_b32_e32 v19, 2, v19
	v_sub_u32_e32 v22, v57, v4
	ds_write_b32 v19, v20
	v_sub_u32_e32 v19, v45, v3
	v_add_u32_e32 v22, v22, v1
	v_add_u32_e32 v26, v22, v19
	v_and_b32_e32 v23, 1, v44
	v_sub_u32_e32 v26, v30, v26
	v_and_b32_sdwa v20, v25, v31 dst_sel:DWORD dst_unused:UNUSED_PAD src0_sel:DWORD src1_sel:WORD_1
	v_add_u32_e32 v26, 2, v26
	v_cmp_eq_u32_e32 vcc, 1, v23
	v_cndmask_b32_e32 v22, v26, v22, vcc
	v_cmp_eq_u32_e32 vcc, 1, v20
	v_add_u32_e32 v63, v57, v44
	v_cndmask_b32_e32 v19, v22, v19, vcc
	v_add_u32_e32 v50, v45, v50
	v_lshlrev_b32_e32 v19, 2, v19
	v_sub_u32_e32 v20, v63, v4
	ds_write_b32 v19, v17
	v_sub_u32_e32 v17, v50, v3
	v_add_u32_e32 v20, v20, v1
	v_add_u32_e32 v23, v17, v20
	v_and_b32_e32 v22, 1, v32
	v_sub_u32_e32 v23, v30, v23
	v_and_b32_e32 v19, 1, v43
	v_add_u32_e32 v23, 3, v23
	v_cmp_eq_u32_e32 vcc, 1, v22
	v_cndmask_b32_e32 v20, v23, v20, vcc
	v_cmp_eq_u32_e32 vcc, 1, v19
	v_add_u32_e32 v58, v63, v58
	v_cndmask_b32_e32 v17, v20, v17, vcc
	v_add_u32_e32 v64, v50, v43
	v_lshlrev_b32_e32 v17, 2, v17
	v_sub_u32_e32 v19, v58, v4
	ds_write_b32 v17, v18
	v_sub_u32_e32 v17, v64, v3
	v_add_u32_e32 v19, v19, v1
	v_lshrrev_b32_e32 v24, 8, v32
	v_add_u32_e32 v22, v17, v19
	v_and_b32_e32 v20, 1, v24
	v_sub_u32_e32 v22, v30, v22
	v_and_b32_e32 v18, 1, v33
	v_add_u32_e32 v22, 4, v22
	v_cmp_eq_u32_e32 vcc, 1, v20
	v_cndmask_b32_e32 v19, v22, v19, vcc
	v_cmp_eq_u32_e32 vcc, 1, v18
	v_add_u32_e32 v52, v58, v52
	v_cndmask_b32_e32 v17, v19, v17, vcc
	v_add_u32_e32 v51, v64, v51
	v_lshlrev_b32_e32 v17, 2, v17
	v_sub_u32_e32 v18, v52, v4
	ds_write_b32 v17, v15
	v_sub_u32_e32 v15, v51, v3
	v_add_u32_e32 v18, v18, v1
	v_add_u32_e32 v20, v15, v18
	v_lshrrev_b32_e32 v21, 8, v33
	v_and_b32_sdwa v19, v25, v32 dst_sel:DWORD dst_unused:UNUSED_PAD src0_sel:DWORD src1_sel:WORD_1
	v_sub_u32_e32 v20, v30, v20
	v_and_b32_e32 v17, 1, v21
	v_add_u32_e32 v20, 5, v20
	v_cmp_eq_u32_e32 vcc, 1, v19
	v_cndmask_b32_e32 v18, v20, v18, vcc
	v_cmp_eq_u32_e32 vcc, 1, v17
	v_add_u32_e32 v59, v52, v59
	v_cndmask_b32_e32 v15, v18, v15, vcc
	v_add_u32_e32 v46, v51, v46
	v_lshlrev_b32_e32 v15, 2, v15
	v_sub_u32_e32 v17, v59, v4
	ds_write_b32 v15, v16
	v_sub_u32_e32 v15, v46, v3
	v_add_u32_e32 v17, v17, v1
	v_add_u32_e32 v19, v15, v17
	v_and_b32_e32 v18, 1, v42
	v_sub_u32_e32 v19, v30, v19
	v_and_b32_sdwa v16, v25, v33 dst_sel:DWORD dst_unused:UNUSED_PAD src0_sel:DWORD src1_sel:WORD_1
	v_add_u32_e32 v19, 6, v19
	v_cmp_eq_u32_e32 vcc, 1, v18
	v_cndmask_b32_e32 v17, v19, v17, vcc
	v_cmp_eq_u32_e32 vcc, 1, v16
	v_add_u32_e32 v65, v59, v42
	v_cndmask_b32_e32 v15, v17, v15, vcc
	v_add_u32_e32 v53, v46, v53
	v_lshlrev_b32_e32 v15, 2, v15
	v_sub_u32_e32 v16, v65, v4
	ds_write_b32 v15, v13
	v_sub_u32_e32 v13, v53, v3
	v_add_u32_e32 v16, v16, v1
	v_add_u32_e32 v18, v13, v16
	v_and_b32_e32 v17, 1, v34
	v_sub_u32_e32 v18, v30, v18
	v_and_b32_e32 v15, 1, v41
	v_add_u32_e32 v18, 7, v18
	v_cmp_eq_u32_e32 vcc, 1, v17
	v_cndmask_b32_e32 v16, v18, v16, vcc
	v_cmp_eq_u32_e32 vcc, 1, v15
	v_add_u32_e32 v60, v65, v60
	v_cndmask_b32_e32 v13, v16, v13, vcc
	v_add_u32_e32 v66, v53, v41
	v_lshlrev_b32_e32 v13, 2, v13
	v_sub_u32_e32 v15, v60, v4
	ds_write_b32 v13, v14
	v_sub_u32_e32 v13, v66, v3
	v_add_u32_e32 v15, v15, v1
	v_lshrrev_b32_e32 v8, 8, v34
	v_add_u32_e32 v16, v13, v15
	v_and_b32_e32 v8, 1, v8
	v_sub_u32_e32 v16, v30, v16
	v_and_b32_e32 v14, 1, v36
	v_add_u32_e32 v16, 8, v16
	v_cmp_eq_u32_e32 vcc, 1, v8
	v_cndmask_b32_e32 v8, v16, v15, vcc
	v_cmp_eq_u32_e32 vcc, 1, v14
	v_cndmask_b32_e32 v8, v8, v13, vcc
	v_add_u32_e32 v55, v60, v55
	v_lshlrev_b32_e32 v8, 2, v8
	v_add_u32_e32 v54, v66, v54
	ds_write_b32 v8, v11
	v_sub_u32_e32 v11, v55, v4
	v_sub_u32_e32 v8, v54, v3
	v_add_u32_e32 v11, v11, v1
	v_add_u32_e32 v14, v8, v11
	v_lshrrev_b32_e32 v7, 8, v36
	v_and_b32_sdwa v13, v25, v34 dst_sel:DWORD dst_unused:UNUSED_PAD src0_sel:DWORD src1_sel:WORD_1
	v_sub_u32_e32 v14, v30, v14
	v_and_b32_e32 v7, 1, v7
	v_add_u32_e32 v14, 9, v14
	v_cmp_eq_u32_e32 vcc, 1, v13
	v_cndmask_b32_e32 v11, v14, v11, vcc
	v_cmp_eq_u32_e32 vcc, 1, v7
	v_add_u32_e32 v61, v55, v61
	v_cndmask_b32_e32 v7, v11, v8, vcc
	v_add_u32_e32 v47, v54, v47
	v_lshlrev_b32_e32 v7, 2, v7
	v_sub_u32_e32 v11, v61, v4
	ds_write_b32 v7, v12
	v_sub_u32_e32 v7, v47, v3
	v_add_u32_e32 v11, v11, v1
	v_add_u32_e32 v13, v7, v11
	v_and_b32_e32 v12, 1, v40
	v_sub_u32_e32 v13, v30, v13
	v_and_b32_sdwa v8, v25, v36 dst_sel:DWORD dst_unused:UNUSED_PAD src0_sel:DWORD src1_sel:WORD_1
	v_add_u32_e32 v13, 10, v13
	v_cmp_eq_u32_e32 vcc, 1, v12
	v_cndmask_b32_e32 v11, v13, v11, vcc
	v_cmp_eq_u32_e32 vcc, 1, v8
	v_cndmask_b32_e32 v7, v11, v7, vcc
	v_add_u32_e32 v67, v61, v40
	v_lshlrev_b32_e32 v7, 2, v7
	v_add_u32_e32 v56, v47, v56
	ds_write_b32 v7, v9
	v_sub_u32_e32 v9, v67, v4
	v_sub_u32_e32 v7, v56, v3
	v_add_u32_e32 v9, v9, v1
	v_add_u32_e32 v12, v7, v9
	v_and_b32_e32 v11, 1, v35
	v_sub_u32_e32 v12, v30, v12
	v_and_b32_e32 v8, 1, v39
	v_add_u32_e32 v12, 11, v12
	v_cmp_eq_u32_e32 vcc, 1, v11
	v_add_u32_e32 v62, v67, v62
	v_cndmask_b32_e32 v9, v12, v9, vcc
	v_cmp_eq_u32_e32 vcc, 1, v8
	v_add_u32_e32 v68, v56, v39
	v_cndmask_b32_e32 v7, v9, v7, vcc
	v_sub_u32_e32 v8, v62, v4
	v_lshlrev_b32_e32 v7, 2, v7
	v_sub_u32_e32 v3, v68, v3
	v_add_u32_e32 v8, v8, v1
	ds_write_b32 v7, v10
	v_add_u32_e32 v10, v3, v8
	v_and_b32_e32 v9, 1, v38
	v_sub_u32_e32 v10, v30, v10
	v_and_b32_e32 v7, 1, v37
	v_add_u32_e32 v10, 12, v10
	v_cmp_eq_u32_e32 vcc, 1, v9
	v_cndmask_b32_e32 v8, v10, v8, vcc
	v_cmp_eq_u32_e32 vcc, 1, v7
	v_cndmask_b32_e32 v3, v8, v3, vcc
	v_lshlrev_b32_e32 v3, 2, v3
	ds_write_b32 v3, v29
	v_add_co_u32_e32 v3, vcc, v2, v69
	v_addc_co_u32_e64 v7, s[2:3], 0, 0, vcc
	v_add_co_u32_e32 v3, vcc, v3, v27
	v_addc_co_u32_e32 v7, vcc, v7, v28, vcc
	s_add_u32 s4, s56, s33
	v_add_co_u32_e32 v3, vcc, v3, v5
	s_addc_u32 s5, s57, 0
	v_addc_co_u32_e32 v7, vcc, v7, v6, vcc
	v_mov_b32_e32 v8, s5
	v_sub_co_u32_e32 v3, vcc, s4, v3
	v_subb_co_u32_e32 v11, vcc, v8, v7, vcc
	v_lshlrev_b64 v[7:8], 2, v[27:28]
	v_mov_b32_e32 v9, s55
	v_add_co_u32_e32 v7, vcc, s54, v7
	v_addc_co_u32_e32 v8, vcc, v9, v8, vcc
	v_lshlrev_b64 v[9:10], 2, v[5:6]
	v_mov_b32_e32 v13, s53
	v_add_co_u32_e32 v9, vcc, s52, v9
	v_addc_co_u32_e32 v10, vcc, v13, v10, vcc
	v_add_u32_e32 v12, v1, v2
	s_and_b64 vcc, exec, s[0:1]
	s_mov_b64 s[0:1], -1
	s_waitcnt lgkmcnt(0)
	s_barrier
	s_cbranch_vccz .LBB1161_151
; %bb.148:
	s_and_b64 vcc, exec, s[0:1]
	s_cbranch_vccnz .LBB1161_256
.LBB1161_149:
	v_cmp_eq_u32_e32 vcc, 0, v0
	s_and_b64 s[0:1], vcc, s[34:35]
	s_and_saveexec_b64 s[2:3], s[0:1]
	s_cbranch_execnz .LBB1161_374
.LBB1161_150:
	s_endpgm
.LBB1161_151:
	v_cmp_ge_u32_e32 vcc, v0, v1
	s_and_saveexec_b64 s[0:1], vcc
	s_xor_b64 s[0:1], exec, s[0:1]
	s_cbranch_execz .LBB1161_157
; %bb.152:
	v_cmp_ge_u32_e32 vcc, v0, v12
	s_and_saveexec_b64 s[2:3], vcc
	s_xor_b64 s[2:3], exec, s[2:3]
	s_cbranch_execz .LBB1161_154
; %bb.153:
	v_add_co_u32_e32 v13, vcc, v3, v0
	v_lshlrev_b32_e32 v15, 2, v0
	v_addc_co_u32_e32 v14, vcc, 0, v11, vcc
	ds_read_b32 v15, v15
	v_lshlrev_b64 v[13:14], 2, v[13:14]
	v_mov_b32_e32 v16, s47
	v_sub_co_u32_e32 v13, vcc, s46, v13
	v_subb_co_u32_e32 v14, vcc, v16, v14, vcc
	s_waitcnt lgkmcnt(0)
	global_store_dword v[13:14], v15, off offset:-4
.LBB1161_154:
	s_andn2_saveexec_b64 s[2:3], s[2:3]
	s_cbranch_execz .LBB1161_156
; %bb.155:
	v_lshlrev_b32_e32 v13, 2, v0
	ds_read_b32 v14, v13
	v_readfirstlane_b32 s4, v7
	v_readfirstlane_b32 s5, v8
	s_waitcnt lgkmcnt(0)
	s_nop 3
	global_store_dword v13, v14, s[4:5]
.LBB1161_156:
	s_or_b64 exec, exec, s[2:3]
.LBB1161_157:
	s_andn2_saveexec_b64 s[0:1], s[0:1]
	s_cbranch_execz .LBB1161_159
; %bb.158:
	v_lshlrev_b32_e32 v13, 2, v0
	ds_read_b32 v14, v13
	v_readfirstlane_b32 s2, v9
	v_readfirstlane_b32 s3, v10
	s_waitcnt lgkmcnt(0)
	s_nop 3
	global_store_dword v13, v14, s[2:3]
.LBB1161_159:
	s_or_b64 exec, exec, s[0:1]
	v_or_b32_e32 v13, 0x100, v0
	v_cmp_ge_u32_e32 vcc, v13, v1
	s_and_saveexec_b64 s[0:1], vcc
	s_xor_b64 s[0:1], exec, s[0:1]
	s_cbranch_execz .LBB1161_165
; %bb.160:
	v_cmp_ge_u32_e32 vcc, v13, v12
	s_and_saveexec_b64 s[2:3], vcc
	s_xor_b64 s[2:3], exec, s[2:3]
	s_cbranch_execz .LBB1161_162
; %bb.161:
	v_lshlrev_b32_e32 v13, 2, v0
	ds_read_b32 v15, v13 offset:1024
	v_add_co_u32_e32 v13, vcc, v3, v0
	v_addc_co_u32_e32 v14, vcc, 0, v11, vcc
	v_lshlrev_b64 v[13:14], 2, v[13:14]
	v_mov_b32_e32 v16, s47
	v_sub_co_u32_e32 v13, vcc, s46, v13
	v_subb_co_u32_e32 v14, vcc, v16, v14, vcc
	s_waitcnt lgkmcnt(0)
	global_store_dword v[13:14], v15, off offset:-1028
.LBB1161_162:
	s_andn2_saveexec_b64 s[2:3], s[2:3]
	s_cbranch_execz .LBB1161_164
; %bb.163:
	v_lshlrev_b32_e32 v13, 2, v0
	ds_read_b32 v14, v13 offset:1024
	v_readfirstlane_b32 s4, v7
	v_readfirstlane_b32 s5, v8
	s_waitcnt lgkmcnt(0)
	s_nop 3
	global_store_dword v13, v14, s[4:5] offset:1024
.LBB1161_164:
	s_or_b64 exec, exec, s[2:3]
.LBB1161_165:
	s_andn2_saveexec_b64 s[0:1], s[0:1]
	s_cbranch_execz .LBB1161_167
; %bb.166:
	v_lshlrev_b32_e32 v13, 2, v0
	ds_read_b32 v14, v13 offset:1024
	v_readfirstlane_b32 s2, v9
	v_readfirstlane_b32 s3, v10
	s_waitcnt lgkmcnt(0)
	s_nop 3
	global_store_dword v13, v14, s[2:3] offset:1024
.LBB1161_167:
	s_or_b64 exec, exec, s[0:1]
	v_or_b32_e32 v13, 0x200, v0
	v_cmp_ge_u32_e32 vcc, v13, v1
	s_and_saveexec_b64 s[0:1], vcc
	s_xor_b64 s[0:1], exec, s[0:1]
	s_cbranch_execz .LBB1161_173
; %bb.168:
	v_cmp_ge_u32_e32 vcc, v13, v12
	s_and_saveexec_b64 s[2:3], vcc
	s_xor_b64 s[2:3], exec, s[2:3]
	s_cbranch_execz .LBB1161_170
; %bb.169:
	v_lshlrev_b32_e32 v13, 2, v0
	ds_read_b32 v15, v13 offset:2048
	v_add_co_u32_e32 v13, vcc, v3, v0
	v_addc_co_u32_e32 v14, vcc, 0, v11, vcc
	v_lshlrev_b64 v[13:14], 2, v[13:14]
	v_mov_b32_e32 v16, s47
	v_sub_co_u32_e32 v13, vcc, s46, v13
	v_subb_co_u32_e32 v14, vcc, v16, v14, vcc
	s_waitcnt lgkmcnt(0)
	global_store_dword v[13:14], v15, off offset:-2052
.LBB1161_170:
	s_andn2_saveexec_b64 s[2:3], s[2:3]
	s_cbranch_execz .LBB1161_172
; %bb.171:
	v_lshlrev_b32_e32 v13, 2, v0
	ds_read_b32 v14, v13 offset:2048
	v_readfirstlane_b32 s4, v7
	v_readfirstlane_b32 s5, v8
	s_waitcnt lgkmcnt(0)
	s_nop 3
	global_store_dword v13, v14, s[4:5] offset:2048
.LBB1161_172:
	s_or_b64 exec, exec, s[2:3]
.LBB1161_173:
	s_andn2_saveexec_b64 s[0:1], s[0:1]
	s_cbranch_execz .LBB1161_175
; %bb.174:
	v_lshlrev_b32_e32 v13, 2, v0
	ds_read_b32 v14, v13 offset:2048
	v_readfirstlane_b32 s2, v9
	v_readfirstlane_b32 s3, v10
	s_waitcnt lgkmcnt(0)
	s_nop 3
	global_store_dword v13, v14, s[2:3] offset:2048
.LBB1161_175:
	;; [unrolled: 47-line block ×3, first 2 shown]
	s_or_b64 exec, exec, s[0:1]
	v_or_b32_e32 v13, 0x400, v0
	v_cmp_ge_u32_e32 vcc, v13, v1
	s_and_saveexec_b64 s[0:1], vcc
	s_xor_b64 s[0:1], exec, s[0:1]
	s_cbranch_execz .LBB1161_189
; %bb.184:
	v_cmp_ge_u32_e32 vcc, v13, v12
	s_and_saveexec_b64 s[2:3], vcc
	s_xor_b64 s[2:3], exec, s[2:3]
	s_cbranch_execz .LBB1161_186
; %bb.185:
	v_lshlrev_b32_e32 v13, 2, v0
	ds_read_b32 v15, v13 offset:4096
	v_add_co_u32_e32 v13, vcc, v3, v0
	v_addc_co_u32_e32 v14, vcc, 0, v11, vcc
	v_lshlrev_b64 v[13:14], 2, v[13:14]
	v_mov_b32_e32 v16, s47
	v_sub_co_u32_e32 v13, vcc, s46, v13
	v_subb_co_u32_e32 v14, vcc, v16, v14, vcc
	v_add_co_u32_e32 v13, vcc, 0xfffff000, v13
	v_addc_co_u32_e32 v14, vcc, -1, v14, vcc
	s_waitcnt lgkmcnt(0)
	global_store_dword v[13:14], v15, off offset:-4
                                        ; implicit-def: $vgpr13
.LBB1161_186:
	s_andn2_saveexec_b64 s[2:3], s[2:3]
	s_cbranch_execz .LBB1161_188
; %bb.187:
	v_lshlrev_b32_e32 v14, 2, v0
	ds_read_b32 v14, v14 offset:4096
	v_lshlrev_b32_e32 v13, 2, v13
	v_readfirstlane_b32 s4, v7
	v_readfirstlane_b32 s5, v8
	s_waitcnt lgkmcnt(0)
	s_nop 3
	global_store_dword v13, v14, s[4:5]
.LBB1161_188:
	s_or_b64 exec, exec, s[2:3]
                                        ; implicit-def: $vgpr13
.LBB1161_189:
	s_andn2_saveexec_b64 s[0:1], s[0:1]
	s_cbranch_execz .LBB1161_191
; %bb.190:
	v_lshlrev_b32_e32 v14, 2, v0
	ds_read_b32 v14, v14 offset:4096
	v_lshlrev_b32_e32 v13, 2, v13
	v_readfirstlane_b32 s2, v9
	v_readfirstlane_b32 s3, v10
	s_waitcnt lgkmcnt(0)
	s_nop 3
	global_store_dword v13, v14, s[2:3]
.LBB1161_191:
	s_or_b64 exec, exec, s[0:1]
	v_or_b32_e32 v13, 0x500, v0
	v_cmp_ge_u32_e32 vcc, v13, v1
	s_and_saveexec_b64 s[0:1], vcc
	s_xor_b64 s[0:1], exec, s[0:1]
	s_cbranch_execz .LBB1161_197
; %bb.192:
	v_cmp_ge_u32_e32 vcc, v13, v12
	s_and_saveexec_b64 s[2:3], vcc
	s_xor_b64 s[2:3], exec, s[2:3]
	s_cbranch_execz .LBB1161_194
; %bb.193:
	v_add_co_u32_e32 v13, vcc, v3, v13
	v_lshlrev_b32_e32 v15, 2, v0
	v_addc_co_u32_e32 v14, vcc, 0, v11, vcc
	ds_read_b32 v15, v15 offset:5120
	v_lshlrev_b64 v[13:14], 2, v[13:14]
	v_mov_b32_e32 v16, s47
	v_sub_co_u32_e32 v13, vcc, s46, v13
	v_subb_co_u32_e32 v14, vcc, v16, v14, vcc
	s_waitcnt lgkmcnt(0)
	global_store_dword v[13:14], v15, off offset:-4
                                        ; implicit-def: $vgpr13
.LBB1161_194:
	s_andn2_saveexec_b64 s[2:3], s[2:3]
	s_cbranch_execz .LBB1161_196
; %bb.195:
	v_lshlrev_b32_e32 v14, 2, v0
	ds_read_b32 v14, v14 offset:5120
	v_lshlrev_b32_e32 v13, 2, v13
	v_readfirstlane_b32 s4, v7
	v_readfirstlane_b32 s5, v8
	s_waitcnt lgkmcnt(0)
	s_nop 3
	global_store_dword v13, v14, s[4:5]
.LBB1161_196:
	s_or_b64 exec, exec, s[2:3]
                                        ; implicit-def: $vgpr13
.LBB1161_197:
	s_andn2_saveexec_b64 s[0:1], s[0:1]
	s_cbranch_execz .LBB1161_199
; %bb.198:
	v_lshlrev_b32_e32 v14, 2, v0
	ds_read_b32 v14, v14 offset:5120
	v_lshlrev_b32_e32 v13, 2, v13
	v_readfirstlane_b32 s2, v9
	v_readfirstlane_b32 s3, v10
	s_waitcnt lgkmcnt(0)
	s_nop 3
	global_store_dword v13, v14, s[2:3]
.LBB1161_199:
	s_or_b64 exec, exec, s[0:1]
	v_or_b32_e32 v13, 0x600, v0
	v_cmp_ge_u32_e32 vcc, v13, v1
	s_and_saveexec_b64 s[0:1], vcc
	s_xor_b64 s[0:1], exec, s[0:1]
	s_cbranch_execz .LBB1161_205
; %bb.200:
	v_cmp_ge_u32_e32 vcc, v13, v12
	s_and_saveexec_b64 s[2:3], vcc
	s_xor_b64 s[2:3], exec, s[2:3]
	s_cbranch_execz .LBB1161_202
; %bb.201:
	v_add_co_u32_e32 v13, vcc, v3, v13
	v_lshlrev_b32_e32 v15, 2, v0
	v_addc_co_u32_e32 v14, vcc, 0, v11, vcc
	ds_read_b32 v15, v15 offset:6144
	v_lshlrev_b64 v[13:14], 2, v[13:14]
	v_mov_b32_e32 v16, s47
	v_sub_co_u32_e32 v13, vcc, s46, v13
	v_subb_co_u32_e32 v14, vcc, v16, v14, vcc
	s_waitcnt lgkmcnt(0)
	global_store_dword v[13:14], v15, off offset:-4
                                        ; implicit-def: $vgpr13
.LBB1161_202:
	s_andn2_saveexec_b64 s[2:3], s[2:3]
	s_cbranch_execz .LBB1161_204
; %bb.203:
	v_lshlrev_b32_e32 v14, 2, v0
	ds_read_b32 v14, v14 offset:6144
	v_lshlrev_b32_e32 v13, 2, v13
	v_readfirstlane_b32 s4, v7
	v_readfirstlane_b32 s5, v8
	s_waitcnt lgkmcnt(0)
	s_nop 3
	global_store_dword v13, v14, s[4:5]
.LBB1161_204:
	s_or_b64 exec, exec, s[2:3]
                                        ; implicit-def: $vgpr13
.LBB1161_205:
	;; [unrolled: 51-line block ×8, first 2 shown]
	s_andn2_saveexec_b64 s[0:1], s[0:1]
	s_cbranch_execz .LBB1161_255
; %bb.254:
	v_lshlrev_b32_e32 v14, 2, v0
	ds_read_b32 v14, v14 offset:12288
	v_lshlrev_b32_e32 v13, 2, v13
	v_readfirstlane_b32 s2, v9
	v_readfirstlane_b32 s3, v10
	s_waitcnt lgkmcnt(0)
	s_nop 3
	global_store_dword v13, v14, s[2:3]
.LBB1161_255:
	s_or_b64 exec, exec, s[0:1]
	s_branch .LBB1161_149
.LBB1161_256:
	v_cmp_gt_u32_e32 vcc, s18, v0
	s_and_saveexec_b64 s[0:1], vcc
	s_cbranch_execz .LBB1161_265
; %bb.257:
	v_cmp_ge_u32_e32 vcc, v0, v1
	s_and_saveexec_b64 s[2:3], vcc
	s_xor_b64 s[2:3], exec, s[2:3]
	s_cbranch_execz .LBB1161_263
; %bb.258:
	v_cmp_ge_u32_e32 vcc, v0, v12
	s_and_saveexec_b64 s[4:5], vcc
	s_xor_b64 s[4:5], exec, s[4:5]
	s_cbranch_execz .LBB1161_260
; %bb.259:
	v_add_co_u32_e32 v13, vcc, v3, v0
	v_lshlrev_b32_e32 v15, 2, v0
	v_addc_co_u32_e32 v14, vcc, 0, v11, vcc
	ds_read_b32 v15, v15
	v_lshlrev_b64 v[13:14], 2, v[13:14]
	v_mov_b32_e32 v16, s47
	v_sub_co_u32_e32 v13, vcc, s46, v13
	v_subb_co_u32_e32 v14, vcc, v16, v14, vcc
	s_waitcnt lgkmcnt(0)
	global_store_dword v[13:14], v15, off offset:-4
.LBB1161_260:
	s_andn2_saveexec_b64 s[4:5], s[4:5]
	s_cbranch_execz .LBB1161_262
; %bb.261:
	v_lshlrev_b32_e32 v13, 2, v0
	ds_read_b32 v14, v13
	v_readfirstlane_b32 s6, v7
	v_readfirstlane_b32 s7, v8
	s_waitcnt lgkmcnt(0)
	s_nop 3
	global_store_dword v13, v14, s[6:7]
.LBB1161_262:
	s_or_b64 exec, exec, s[4:5]
.LBB1161_263:
	s_andn2_saveexec_b64 s[2:3], s[2:3]
	s_cbranch_execz .LBB1161_265
; %bb.264:
	v_lshlrev_b32_e32 v13, 2, v0
	ds_read_b32 v14, v13
	v_readfirstlane_b32 s2, v9
	v_readfirstlane_b32 s3, v10
	s_waitcnt lgkmcnt(0)
	s_nop 3
	global_store_dword v13, v14, s[2:3]
.LBB1161_265:
	s_or_b64 exec, exec, s[0:1]
	v_or_b32_e32 v13, 0x100, v0
	v_cmp_gt_u32_e32 vcc, s18, v13
	s_and_saveexec_b64 s[0:1], vcc
	s_cbranch_execz .LBB1161_274
; %bb.266:
	v_cmp_ge_u32_e32 vcc, v13, v1
	s_and_saveexec_b64 s[2:3], vcc
	s_xor_b64 s[2:3], exec, s[2:3]
	s_cbranch_execz .LBB1161_272
; %bb.267:
	v_cmp_ge_u32_e32 vcc, v13, v12
	s_and_saveexec_b64 s[4:5], vcc
	s_xor_b64 s[4:5], exec, s[4:5]
	s_cbranch_execz .LBB1161_269
; %bb.268:
	v_lshlrev_b32_e32 v13, 2, v0
	ds_read_b32 v15, v13 offset:1024
	v_add_co_u32_e32 v13, vcc, v3, v0
	v_addc_co_u32_e32 v14, vcc, 0, v11, vcc
	v_lshlrev_b64 v[13:14], 2, v[13:14]
	v_mov_b32_e32 v16, s47
	v_sub_co_u32_e32 v13, vcc, s46, v13
	v_subb_co_u32_e32 v14, vcc, v16, v14, vcc
	s_waitcnt lgkmcnt(0)
	global_store_dword v[13:14], v15, off offset:-1028
.LBB1161_269:
	s_andn2_saveexec_b64 s[4:5], s[4:5]
	s_cbranch_execz .LBB1161_271
; %bb.270:
	v_lshlrev_b32_e32 v13, 2, v0
	ds_read_b32 v14, v13 offset:1024
	v_readfirstlane_b32 s6, v7
	v_readfirstlane_b32 s7, v8
	s_waitcnt lgkmcnt(0)
	s_nop 3
	global_store_dword v13, v14, s[6:7] offset:1024
.LBB1161_271:
	s_or_b64 exec, exec, s[4:5]
.LBB1161_272:
	s_andn2_saveexec_b64 s[2:3], s[2:3]
	s_cbranch_execz .LBB1161_274
; %bb.273:
	v_lshlrev_b32_e32 v13, 2, v0
	ds_read_b32 v14, v13 offset:1024
	v_readfirstlane_b32 s2, v9
	v_readfirstlane_b32 s3, v10
	s_waitcnt lgkmcnt(0)
	s_nop 3
	global_store_dword v13, v14, s[2:3] offset:1024
.LBB1161_274:
	s_or_b64 exec, exec, s[0:1]
	v_or_b32_e32 v13, 0x200, v0
	v_cmp_gt_u32_e32 vcc, s18, v13
	s_and_saveexec_b64 s[0:1], vcc
	s_cbranch_execz .LBB1161_283
; %bb.275:
	v_cmp_ge_u32_e32 vcc, v13, v1
	s_and_saveexec_b64 s[2:3], vcc
	s_xor_b64 s[2:3], exec, s[2:3]
	s_cbranch_execz .LBB1161_281
; %bb.276:
	v_cmp_ge_u32_e32 vcc, v13, v12
	s_and_saveexec_b64 s[4:5], vcc
	s_xor_b64 s[4:5], exec, s[4:5]
	s_cbranch_execz .LBB1161_278
; %bb.277:
	v_lshlrev_b32_e32 v13, 2, v0
	ds_read_b32 v15, v13 offset:2048
	v_add_co_u32_e32 v13, vcc, v3, v0
	v_addc_co_u32_e32 v14, vcc, 0, v11, vcc
	v_lshlrev_b64 v[13:14], 2, v[13:14]
	v_mov_b32_e32 v16, s47
	v_sub_co_u32_e32 v13, vcc, s46, v13
	v_subb_co_u32_e32 v14, vcc, v16, v14, vcc
	s_waitcnt lgkmcnt(0)
	global_store_dword v[13:14], v15, off offset:-2052
.LBB1161_278:
	s_andn2_saveexec_b64 s[4:5], s[4:5]
	s_cbranch_execz .LBB1161_280
; %bb.279:
	v_lshlrev_b32_e32 v13, 2, v0
	ds_read_b32 v14, v13 offset:2048
	v_readfirstlane_b32 s6, v7
	v_readfirstlane_b32 s7, v8
	s_waitcnt lgkmcnt(0)
	s_nop 3
	global_store_dword v13, v14, s[6:7] offset:2048
.LBB1161_280:
	s_or_b64 exec, exec, s[4:5]
.LBB1161_281:
	s_andn2_saveexec_b64 s[2:3], s[2:3]
	s_cbranch_execz .LBB1161_283
; %bb.282:
	v_lshlrev_b32_e32 v13, 2, v0
	ds_read_b32 v14, v13 offset:2048
	v_readfirstlane_b32 s2, v9
	v_readfirstlane_b32 s3, v10
	s_waitcnt lgkmcnt(0)
	s_nop 3
	global_store_dword v13, v14, s[2:3] offset:2048
.LBB1161_283:
	;; [unrolled: 51-line block ×3, first 2 shown]
	s_or_b64 exec, exec, s[0:1]
	v_or_b32_e32 v13, 0x400, v0
	v_cmp_gt_u32_e32 vcc, s18, v13
	s_and_saveexec_b64 s[0:1], vcc
	s_cbranch_execz .LBB1161_301
; %bb.293:
	v_cmp_ge_u32_e32 vcc, v13, v1
	s_and_saveexec_b64 s[2:3], vcc
	s_xor_b64 s[2:3], exec, s[2:3]
	s_cbranch_execz .LBB1161_299
; %bb.294:
	v_cmp_ge_u32_e32 vcc, v13, v12
	s_and_saveexec_b64 s[4:5], vcc
	s_xor_b64 s[4:5], exec, s[4:5]
	s_cbranch_execz .LBB1161_296
; %bb.295:
	v_lshlrev_b32_e32 v13, 2, v0
	ds_read_b32 v15, v13 offset:4096
	v_add_co_u32_e32 v13, vcc, v3, v0
	v_addc_co_u32_e32 v14, vcc, 0, v11, vcc
	v_lshlrev_b64 v[13:14], 2, v[13:14]
	v_mov_b32_e32 v16, s47
	v_sub_co_u32_e32 v13, vcc, s46, v13
	v_subb_co_u32_e32 v14, vcc, v16, v14, vcc
	v_add_co_u32_e32 v13, vcc, 0xfffff000, v13
	v_addc_co_u32_e32 v14, vcc, -1, v14, vcc
	s_waitcnt lgkmcnt(0)
	global_store_dword v[13:14], v15, off offset:-4
                                        ; implicit-def: $vgpr13
.LBB1161_296:
	s_andn2_saveexec_b64 s[4:5], s[4:5]
	s_cbranch_execz .LBB1161_298
; %bb.297:
	v_lshlrev_b32_e32 v14, 2, v0
	ds_read_b32 v14, v14 offset:4096
	v_lshlrev_b32_e32 v13, 2, v13
	v_readfirstlane_b32 s6, v7
	v_readfirstlane_b32 s7, v8
	s_waitcnt lgkmcnt(0)
	s_nop 3
	global_store_dword v13, v14, s[6:7]
.LBB1161_298:
	s_or_b64 exec, exec, s[4:5]
                                        ; implicit-def: $vgpr13
.LBB1161_299:
	s_andn2_saveexec_b64 s[2:3], s[2:3]
	s_cbranch_execz .LBB1161_301
; %bb.300:
	v_lshlrev_b32_e32 v14, 2, v0
	ds_read_b32 v14, v14 offset:4096
	v_lshlrev_b32_e32 v13, 2, v13
	v_readfirstlane_b32 s2, v9
	v_readfirstlane_b32 s3, v10
	s_waitcnt lgkmcnt(0)
	s_nop 3
	global_store_dword v13, v14, s[2:3]
.LBB1161_301:
	s_or_b64 exec, exec, s[0:1]
	v_or_b32_e32 v13, 0x500, v0
	v_cmp_gt_u32_e32 vcc, s18, v13
	s_and_saveexec_b64 s[0:1], vcc
	s_cbranch_execz .LBB1161_310
; %bb.302:
	v_cmp_ge_u32_e32 vcc, v13, v1
	s_and_saveexec_b64 s[2:3], vcc
	s_xor_b64 s[2:3], exec, s[2:3]
	s_cbranch_execz .LBB1161_308
; %bb.303:
	v_cmp_ge_u32_e32 vcc, v13, v12
	s_and_saveexec_b64 s[4:5], vcc
	s_xor_b64 s[4:5], exec, s[4:5]
	s_cbranch_execz .LBB1161_305
; %bb.304:
	v_add_co_u32_e32 v13, vcc, v3, v13
	v_lshlrev_b32_e32 v15, 2, v0
	v_addc_co_u32_e32 v14, vcc, 0, v11, vcc
	ds_read_b32 v15, v15 offset:5120
	v_lshlrev_b64 v[13:14], 2, v[13:14]
	v_mov_b32_e32 v16, s47
	v_sub_co_u32_e32 v13, vcc, s46, v13
	v_subb_co_u32_e32 v14, vcc, v16, v14, vcc
	s_waitcnt lgkmcnt(0)
	global_store_dword v[13:14], v15, off offset:-4
                                        ; implicit-def: $vgpr13
.LBB1161_305:
	s_andn2_saveexec_b64 s[4:5], s[4:5]
	s_cbranch_execz .LBB1161_307
; %bb.306:
	v_lshlrev_b32_e32 v14, 2, v0
	ds_read_b32 v14, v14 offset:5120
	v_lshlrev_b32_e32 v13, 2, v13
	v_readfirstlane_b32 s6, v7
	v_readfirstlane_b32 s7, v8
	s_waitcnt lgkmcnt(0)
	s_nop 3
	global_store_dword v13, v14, s[6:7]
.LBB1161_307:
	s_or_b64 exec, exec, s[4:5]
                                        ; implicit-def: $vgpr13
.LBB1161_308:
	s_andn2_saveexec_b64 s[2:3], s[2:3]
	s_cbranch_execz .LBB1161_310
; %bb.309:
	v_lshlrev_b32_e32 v14, 2, v0
	ds_read_b32 v14, v14 offset:5120
	v_lshlrev_b32_e32 v13, 2, v13
	v_readfirstlane_b32 s2, v9
	v_readfirstlane_b32 s3, v10
	s_waitcnt lgkmcnt(0)
	s_nop 3
	global_store_dword v13, v14, s[2:3]
.LBB1161_310:
	s_or_b64 exec, exec, s[0:1]
	v_or_b32_e32 v13, 0x600, v0
	v_cmp_gt_u32_e32 vcc, s18, v13
	s_and_saveexec_b64 s[0:1], vcc
	s_cbranch_execz .LBB1161_319
; %bb.311:
	v_cmp_ge_u32_e32 vcc, v13, v1
	s_and_saveexec_b64 s[2:3], vcc
	s_xor_b64 s[2:3], exec, s[2:3]
	s_cbranch_execz .LBB1161_317
; %bb.312:
	v_cmp_ge_u32_e32 vcc, v13, v12
	s_and_saveexec_b64 s[4:5], vcc
	s_xor_b64 s[4:5], exec, s[4:5]
	s_cbranch_execz .LBB1161_314
; %bb.313:
	v_add_co_u32_e32 v13, vcc, v3, v13
	v_lshlrev_b32_e32 v15, 2, v0
	v_addc_co_u32_e32 v14, vcc, 0, v11, vcc
	ds_read_b32 v15, v15 offset:6144
	v_lshlrev_b64 v[13:14], 2, v[13:14]
	v_mov_b32_e32 v16, s47
	v_sub_co_u32_e32 v13, vcc, s46, v13
	v_subb_co_u32_e32 v14, vcc, v16, v14, vcc
	s_waitcnt lgkmcnt(0)
	global_store_dword v[13:14], v15, off offset:-4
                                        ; implicit-def: $vgpr13
.LBB1161_314:
	s_andn2_saveexec_b64 s[4:5], s[4:5]
	s_cbranch_execz .LBB1161_316
; %bb.315:
	v_lshlrev_b32_e32 v14, 2, v0
	ds_read_b32 v14, v14 offset:6144
	v_lshlrev_b32_e32 v13, 2, v13
	v_readfirstlane_b32 s6, v7
	v_readfirstlane_b32 s7, v8
	s_waitcnt lgkmcnt(0)
	s_nop 3
	global_store_dword v13, v14, s[6:7]
.LBB1161_316:
	s_or_b64 exec, exec, s[4:5]
                                        ; implicit-def: $vgpr13
.LBB1161_317:
	s_andn2_saveexec_b64 s[2:3], s[2:3]
	s_cbranch_execz .LBB1161_319
; %bb.318:
	v_lshlrev_b32_e32 v14, 2, v0
	ds_read_b32 v14, v14 offset:6144
	v_lshlrev_b32_e32 v13, 2, v13
	v_readfirstlane_b32 s2, v9
	v_readfirstlane_b32 s3, v10
	s_waitcnt lgkmcnt(0)
	s_nop 3
	global_store_dword v13, v14, s[2:3]
.LBB1161_319:
	;; [unrolled: 55-line block ×7, first 2 shown]
	s_or_b64 exec, exec, s[0:1]
	v_or_b32_e32 v13, 0xc00, v0
	v_cmp_gt_u32_e32 vcc, s18, v13
	s_and_saveexec_b64 s[0:1], vcc
	s_cbranch_execz .LBB1161_373
; %bb.365:
	v_cmp_ge_u32_e32 vcc, v13, v1
	s_and_saveexec_b64 s[2:3], vcc
	s_xor_b64 s[2:3], exec, s[2:3]
	s_cbranch_execz .LBB1161_371
; %bb.366:
	v_cmp_ge_u32_e32 vcc, v13, v12
	s_and_saveexec_b64 s[4:5], vcc
	s_xor_b64 s[4:5], exec, s[4:5]
	s_cbranch_execz .LBB1161_368
; %bb.367:
	v_add_co_u32_e32 v7, vcc, v3, v13
	v_lshlrev_b32_e32 v3, 2, v0
	v_addc_co_u32_e32 v8, vcc, 0, v11, vcc
	ds_read_b32 v3, v3 offset:12288
	v_lshlrev_b64 v[7:8], 2, v[7:8]
	v_mov_b32_e32 v9, s47
	v_sub_co_u32_e32 v7, vcc, s46, v7
	v_subb_co_u32_e32 v8, vcc, v9, v8, vcc
	s_waitcnt lgkmcnt(0)
	global_store_dword v[7:8], v3, off offset:-4
                                        ; implicit-def: $vgpr13
                                        ; implicit-def: $vgpr7_vgpr8
.LBB1161_368:
	s_andn2_saveexec_b64 s[4:5], s[4:5]
	s_cbranch_execz .LBB1161_370
; %bb.369:
	v_lshlrev_b32_e32 v3, 2, v0
	ds_read_b32 v3, v3 offset:12288
	v_lshlrev_b32_e32 v9, 2, v13
	v_readfirstlane_b32 s6, v7
	v_readfirstlane_b32 s7, v8
	s_waitcnt lgkmcnt(0)
	s_nop 3
	global_store_dword v9, v3, s[6:7]
.LBB1161_370:
	s_or_b64 exec, exec, s[4:5]
                                        ; implicit-def: $vgpr13
                                        ; implicit-def: $vgpr9_vgpr10
.LBB1161_371:
	s_andn2_saveexec_b64 s[2:3], s[2:3]
	s_cbranch_execz .LBB1161_373
; %bb.372:
	v_lshlrev_b32_e32 v3, 2, v0
	ds_read_b32 v3, v3 offset:12288
	v_lshlrev_b32_e32 v7, 2, v13
	v_readfirstlane_b32 s2, v9
	v_readfirstlane_b32 s3, v10
	s_waitcnt lgkmcnt(0)
	s_nop 3
	global_store_dword v7, v3, s[2:3]
.LBB1161_373:
	s_or_b64 exec, exec, s[0:1]
	v_cmp_eq_u32_e32 vcc, 0, v0
	s_and_b64 s[0:1], vcc, s[34:35]
	s_and_saveexec_b64 s[2:3], s[0:1]
	s_cbranch_execz .LBB1161_150
.LBB1161_374:
	v_mov_b32_e32 v0, s51
	v_add_co_u32_e32 v2, vcc, s50, v2
	v_addc_co_u32_e32 v0, vcc, 0, v0, vcc
	v_add_co_u32_e32 v2, vcc, v2, v4
	v_addc_co_u32_e32 v3, vcc, 0, v0, vcc
	v_add_co_u32_e32 v0, vcc, v5, v1
	v_mov_b32_e32 v7, 0
	v_addc_co_u32_e32 v1, vcc, 0, v6, vcc
	global_store_dwordx4 v7, v[0:3], s[44:45]
	s_endpgm
.LBB1161_375:
	s_add_i32 s6, s6, 64
	s_mov_b32 s7, 0
	s_lshl_b64 s[6:7], s[6:7], 4
	s_add_u32 s6, s12, s6
	s_addc_u32 s7, s13, s7
	v_mov_b32_e32 v24, s7
	v_add_u32_e32 v6, v4, v2
	v_add_u32_e32 v5, v3, v1
	v_mov_b32_e32 v7, 2
	v_mov_b32_e32 v8, 0
	;; [unrolled: 1-line block ×3, first 2 shown]
	;;#ASMSTART
	global_store_dwordx4 v[23:24], v[5:8] off	
s_waitcnt vmcnt(0)
	;;#ASMEND
	s_or_b64 exec, exec, s[14:15]
	s_and_saveexec_b64 s[6:7], s[8:9]
	s_cbranch_execz .LBB1161_135
.LBB1161_376:
	v_mov_b32_e32 v5, 0
	ds_write_b128 v5, v[1:4] offset:13312
	s_or_b64 exec, exec, s[6:7]
	v_cmp_eq_u32_e32 vcc, 0, v0
	s_and_b64 exec, exec, vcc
	s_cbranch_execnz .LBB1161_136
	s_branch .LBB1161_137
	.section	.rodata,"a",@progbits
	.p2align	6, 0x0
	.amdhsa_kernel _ZN7rocprim17ROCPRIM_400000_NS6detail17trampoline_kernelINS0_13select_configILj256ELj13ELNS0_17block_load_methodE3ELS4_3ELS4_3ELNS0_20block_scan_algorithmE0ELj4294967295EEENS1_25partition_config_selectorILNS1_17partition_subalgoE4EjNS0_10empty_typeEbEEZZNS1_14partition_implILS8_4ELb0ES6_15HIP_vector_typeIjLj2EENS0_17counting_iteratorIjlEEPS9_SG_NS0_5tupleIJPjSI_NS0_16reverse_iteratorISI_EEEEENSH_IJSG_SG_SG_EEES9_SI_JZNS1_25segmented_radix_sort_implINS0_14default_configELb0EPKdPdPKlPlN2at6native12_GLOBAL__N_18offset_tEEE10hipError_tPvRmT1_PNSt15iterator_traitsIS12_E10value_typeET2_T3_PNS13_IS18_E10value_typeET4_jRbjT5_S1E_jjP12ihipStream_tbEUljE_ZNSN_ISO_Lb0ESQ_SR_ST_SU_SY_EESZ_S10_S11_S12_S16_S17_S18_S1B_S1C_jS1D_jS1E_S1E_jjS1G_bEUljE0_EEESZ_S10_S11_S18_S1C_S1E_T6_T7_T9_mT8_S1G_bDpT10_ENKUlT_T0_E_clISt17integral_constantIbLb0EES1U_EEDaS1P_S1Q_EUlS1P_E_NS1_11comp_targetILNS1_3genE2ELNS1_11target_archE906ELNS1_3gpuE6ELNS1_3repE0EEENS1_30default_config_static_selectorELNS0_4arch9wavefront6targetE1EEEvS12_
		.amdhsa_group_segment_fixed_size 13328
		.amdhsa_private_segment_fixed_size 0
		.amdhsa_kernarg_size 176
		.amdhsa_user_sgpr_count 6
		.amdhsa_user_sgpr_private_segment_buffer 1
		.amdhsa_user_sgpr_dispatch_ptr 0
		.amdhsa_user_sgpr_queue_ptr 0
		.amdhsa_user_sgpr_kernarg_segment_ptr 1
		.amdhsa_user_sgpr_dispatch_id 0
		.amdhsa_user_sgpr_flat_scratch_init 0
		.amdhsa_user_sgpr_private_segment_size 0
		.amdhsa_uses_dynamic_stack 0
		.amdhsa_system_sgpr_private_segment_wavefront_offset 0
		.amdhsa_system_sgpr_workgroup_id_x 1
		.amdhsa_system_sgpr_workgroup_id_y 0
		.amdhsa_system_sgpr_workgroup_id_z 0
		.amdhsa_system_sgpr_workgroup_info 0
		.amdhsa_system_vgpr_workitem_id 0
		.amdhsa_next_free_vgpr 86
		.amdhsa_next_free_sgpr 98
		.amdhsa_reserve_vcc 1
		.amdhsa_reserve_flat_scratch 0
		.amdhsa_float_round_mode_32 0
		.amdhsa_float_round_mode_16_64 0
		.amdhsa_float_denorm_mode_32 3
		.amdhsa_float_denorm_mode_16_64 3
		.amdhsa_dx10_clamp 1
		.amdhsa_ieee_mode 1
		.amdhsa_fp16_overflow 0
		.amdhsa_exception_fp_ieee_invalid_op 0
		.amdhsa_exception_fp_denorm_src 0
		.amdhsa_exception_fp_ieee_div_zero 0
		.amdhsa_exception_fp_ieee_overflow 0
		.amdhsa_exception_fp_ieee_underflow 0
		.amdhsa_exception_fp_ieee_inexact 0
		.amdhsa_exception_int_div_zero 0
	.end_amdhsa_kernel
	.section	.text._ZN7rocprim17ROCPRIM_400000_NS6detail17trampoline_kernelINS0_13select_configILj256ELj13ELNS0_17block_load_methodE3ELS4_3ELS4_3ELNS0_20block_scan_algorithmE0ELj4294967295EEENS1_25partition_config_selectorILNS1_17partition_subalgoE4EjNS0_10empty_typeEbEEZZNS1_14partition_implILS8_4ELb0ES6_15HIP_vector_typeIjLj2EENS0_17counting_iteratorIjlEEPS9_SG_NS0_5tupleIJPjSI_NS0_16reverse_iteratorISI_EEEEENSH_IJSG_SG_SG_EEES9_SI_JZNS1_25segmented_radix_sort_implINS0_14default_configELb0EPKdPdPKlPlN2at6native12_GLOBAL__N_18offset_tEEE10hipError_tPvRmT1_PNSt15iterator_traitsIS12_E10value_typeET2_T3_PNS13_IS18_E10value_typeET4_jRbjT5_S1E_jjP12ihipStream_tbEUljE_ZNSN_ISO_Lb0ESQ_SR_ST_SU_SY_EESZ_S10_S11_S12_S16_S17_S18_S1B_S1C_jS1D_jS1E_S1E_jjS1G_bEUljE0_EEESZ_S10_S11_S18_S1C_S1E_T6_T7_T9_mT8_S1G_bDpT10_ENKUlT_T0_E_clISt17integral_constantIbLb0EES1U_EEDaS1P_S1Q_EUlS1P_E_NS1_11comp_targetILNS1_3genE2ELNS1_11target_archE906ELNS1_3gpuE6ELNS1_3repE0EEENS1_30default_config_static_selectorELNS0_4arch9wavefront6targetE1EEEvS12_,"axG",@progbits,_ZN7rocprim17ROCPRIM_400000_NS6detail17trampoline_kernelINS0_13select_configILj256ELj13ELNS0_17block_load_methodE3ELS4_3ELS4_3ELNS0_20block_scan_algorithmE0ELj4294967295EEENS1_25partition_config_selectorILNS1_17partition_subalgoE4EjNS0_10empty_typeEbEEZZNS1_14partition_implILS8_4ELb0ES6_15HIP_vector_typeIjLj2EENS0_17counting_iteratorIjlEEPS9_SG_NS0_5tupleIJPjSI_NS0_16reverse_iteratorISI_EEEEENSH_IJSG_SG_SG_EEES9_SI_JZNS1_25segmented_radix_sort_implINS0_14default_configELb0EPKdPdPKlPlN2at6native12_GLOBAL__N_18offset_tEEE10hipError_tPvRmT1_PNSt15iterator_traitsIS12_E10value_typeET2_T3_PNS13_IS18_E10value_typeET4_jRbjT5_S1E_jjP12ihipStream_tbEUljE_ZNSN_ISO_Lb0ESQ_SR_ST_SU_SY_EESZ_S10_S11_S12_S16_S17_S18_S1B_S1C_jS1D_jS1E_S1E_jjS1G_bEUljE0_EEESZ_S10_S11_S18_S1C_S1E_T6_T7_T9_mT8_S1G_bDpT10_ENKUlT_T0_E_clISt17integral_constantIbLb0EES1U_EEDaS1P_S1Q_EUlS1P_E_NS1_11comp_targetILNS1_3genE2ELNS1_11target_archE906ELNS1_3gpuE6ELNS1_3repE0EEENS1_30default_config_static_selectorELNS0_4arch9wavefront6targetE1EEEvS12_,comdat
.Lfunc_end1161:
	.size	_ZN7rocprim17ROCPRIM_400000_NS6detail17trampoline_kernelINS0_13select_configILj256ELj13ELNS0_17block_load_methodE3ELS4_3ELS4_3ELNS0_20block_scan_algorithmE0ELj4294967295EEENS1_25partition_config_selectorILNS1_17partition_subalgoE4EjNS0_10empty_typeEbEEZZNS1_14partition_implILS8_4ELb0ES6_15HIP_vector_typeIjLj2EENS0_17counting_iteratorIjlEEPS9_SG_NS0_5tupleIJPjSI_NS0_16reverse_iteratorISI_EEEEENSH_IJSG_SG_SG_EEES9_SI_JZNS1_25segmented_radix_sort_implINS0_14default_configELb0EPKdPdPKlPlN2at6native12_GLOBAL__N_18offset_tEEE10hipError_tPvRmT1_PNSt15iterator_traitsIS12_E10value_typeET2_T3_PNS13_IS18_E10value_typeET4_jRbjT5_S1E_jjP12ihipStream_tbEUljE_ZNSN_ISO_Lb0ESQ_SR_ST_SU_SY_EESZ_S10_S11_S12_S16_S17_S18_S1B_S1C_jS1D_jS1E_S1E_jjS1G_bEUljE0_EEESZ_S10_S11_S18_S1C_S1E_T6_T7_T9_mT8_S1G_bDpT10_ENKUlT_T0_E_clISt17integral_constantIbLb0EES1U_EEDaS1P_S1Q_EUlS1P_E_NS1_11comp_targetILNS1_3genE2ELNS1_11target_archE906ELNS1_3gpuE6ELNS1_3repE0EEENS1_30default_config_static_selectorELNS0_4arch9wavefront6targetE1EEEvS12_, .Lfunc_end1161-_ZN7rocprim17ROCPRIM_400000_NS6detail17trampoline_kernelINS0_13select_configILj256ELj13ELNS0_17block_load_methodE3ELS4_3ELS4_3ELNS0_20block_scan_algorithmE0ELj4294967295EEENS1_25partition_config_selectorILNS1_17partition_subalgoE4EjNS0_10empty_typeEbEEZZNS1_14partition_implILS8_4ELb0ES6_15HIP_vector_typeIjLj2EENS0_17counting_iteratorIjlEEPS9_SG_NS0_5tupleIJPjSI_NS0_16reverse_iteratorISI_EEEEENSH_IJSG_SG_SG_EEES9_SI_JZNS1_25segmented_radix_sort_implINS0_14default_configELb0EPKdPdPKlPlN2at6native12_GLOBAL__N_18offset_tEEE10hipError_tPvRmT1_PNSt15iterator_traitsIS12_E10value_typeET2_T3_PNS13_IS18_E10value_typeET4_jRbjT5_S1E_jjP12ihipStream_tbEUljE_ZNSN_ISO_Lb0ESQ_SR_ST_SU_SY_EESZ_S10_S11_S12_S16_S17_S18_S1B_S1C_jS1D_jS1E_S1E_jjS1G_bEUljE0_EEESZ_S10_S11_S18_S1C_S1E_T6_T7_T9_mT8_S1G_bDpT10_ENKUlT_T0_E_clISt17integral_constantIbLb0EES1U_EEDaS1P_S1Q_EUlS1P_E_NS1_11comp_targetILNS1_3genE2ELNS1_11target_archE906ELNS1_3gpuE6ELNS1_3repE0EEENS1_30default_config_static_selectorELNS0_4arch9wavefront6targetE1EEEvS12_
                                        ; -- End function
	.set _ZN7rocprim17ROCPRIM_400000_NS6detail17trampoline_kernelINS0_13select_configILj256ELj13ELNS0_17block_load_methodE3ELS4_3ELS4_3ELNS0_20block_scan_algorithmE0ELj4294967295EEENS1_25partition_config_selectorILNS1_17partition_subalgoE4EjNS0_10empty_typeEbEEZZNS1_14partition_implILS8_4ELb0ES6_15HIP_vector_typeIjLj2EENS0_17counting_iteratorIjlEEPS9_SG_NS0_5tupleIJPjSI_NS0_16reverse_iteratorISI_EEEEENSH_IJSG_SG_SG_EEES9_SI_JZNS1_25segmented_radix_sort_implINS0_14default_configELb0EPKdPdPKlPlN2at6native12_GLOBAL__N_18offset_tEEE10hipError_tPvRmT1_PNSt15iterator_traitsIS12_E10value_typeET2_T3_PNS13_IS18_E10value_typeET4_jRbjT5_S1E_jjP12ihipStream_tbEUljE_ZNSN_ISO_Lb0ESQ_SR_ST_SU_SY_EESZ_S10_S11_S12_S16_S17_S18_S1B_S1C_jS1D_jS1E_S1E_jjS1G_bEUljE0_EEESZ_S10_S11_S18_S1C_S1E_T6_T7_T9_mT8_S1G_bDpT10_ENKUlT_T0_E_clISt17integral_constantIbLb0EES1U_EEDaS1P_S1Q_EUlS1P_E_NS1_11comp_targetILNS1_3genE2ELNS1_11target_archE906ELNS1_3gpuE6ELNS1_3repE0EEENS1_30default_config_static_selectorELNS0_4arch9wavefront6targetE1EEEvS12_.num_vgpr, 86
	.set _ZN7rocprim17ROCPRIM_400000_NS6detail17trampoline_kernelINS0_13select_configILj256ELj13ELNS0_17block_load_methodE3ELS4_3ELS4_3ELNS0_20block_scan_algorithmE0ELj4294967295EEENS1_25partition_config_selectorILNS1_17partition_subalgoE4EjNS0_10empty_typeEbEEZZNS1_14partition_implILS8_4ELb0ES6_15HIP_vector_typeIjLj2EENS0_17counting_iteratorIjlEEPS9_SG_NS0_5tupleIJPjSI_NS0_16reverse_iteratorISI_EEEEENSH_IJSG_SG_SG_EEES9_SI_JZNS1_25segmented_radix_sort_implINS0_14default_configELb0EPKdPdPKlPlN2at6native12_GLOBAL__N_18offset_tEEE10hipError_tPvRmT1_PNSt15iterator_traitsIS12_E10value_typeET2_T3_PNS13_IS18_E10value_typeET4_jRbjT5_S1E_jjP12ihipStream_tbEUljE_ZNSN_ISO_Lb0ESQ_SR_ST_SU_SY_EESZ_S10_S11_S12_S16_S17_S18_S1B_S1C_jS1D_jS1E_S1E_jjS1G_bEUljE0_EEESZ_S10_S11_S18_S1C_S1E_T6_T7_T9_mT8_S1G_bDpT10_ENKUlT_T0_E_clISt17integral_constantIbLb0EES1U_EEDaS1P_S1Q_EUlS1P_E_NS1_11comp_targetILNS1_3genE2ELNS1_11target_archE906ELNS1_3gpuE6ELNS1_3repE0EEENS1_30default_config_static_selectorELNS0_4arch9wavefront6targetE1EEEvS12_.num_agpr, 0
	.set _ZN7rocprim17ROCPRIM_400000_NS6detail17trampoline_kernelINS0_13select_configILj256ELj13ELNS0_17block_load_methodE3ELS4_3ELS4_3ELNS0_20block_scan_algorithmE0ELj4294967295EEENS1_25partition_config_selectorILNS1_17partition_subalgoE4EjNS0_10empty_typeEbEEZZNS1_14partition_implILS8_4ELb0ES6_15HIP_vector_typeIjLj2EENS0_17counting_iteratorIjlEEPS9_SG_NS0_5tupleIJPjSI_NS0_16reverse_iteratorISI_EEEEENSH_IJSG_SG_SG_EEES9_SI_JZNS1_25segmented_radix_sort_implINS0_14default_configELb0EPKdPdPKlPlN2at6native12_GLOBAL__N_18offset_tEEE10hipError_tPvRmT1_PNSt15iterator_traitsIS12_E10value_typeET2_T3_PNS13_IS18_E10value_typeET4_jRbjT5_S1E_jjP12ihipStream_tbEUljE_ZNSN_ISO_Lb0ESQ_SR_ST_SU_SY_EESZ_S10_S11_S12_S16_S17_S18_S1B_S1C_jS1D_jS1E_S1E_jjS1G_bEUljE0_EEESZ_S10_S11_S18_S1C_S1E_T6_T7_T9_mT8_S1G_bDpT10_ENKUlT_T0_E_clISt17integral_constantIbLb0EES1U_EEDaS1P_S1Q_EUlS1P_E_NS1_11comp_targetILNS1_3genE2ELNS1_11target_archE906ELNS1_3gpuE6ELNS1_3repE0EEENS1_30default_config_static_selectorELNS0_4arch9wavefront6targetE1EEEvS12_.numbered_sgpr, 90
	.set _ZN7rocprim17ROCPRIM_400000_NS6detail17trampoline_kernelINS0_13select_configILj256ELj13ELNS0_17block_load_methodE3ELS4_3ELS4_3ELNS0_20block_scan_algorithmE0ELj4294967295EEENS1_25partition_config_selectorILNS1_17partition_subalgoE4EjNS0_10empty_typeEbEEZZNS1_14partition_implILS8_4ELb0ES6_15HIP_vector_typeIjLj2EENS0_17counting_iteratorIjlEEPS9_SG_NS0_5tupleIJPjSI_NS0_16reverse_iteratorISI_EEEEENSH_IJSG_SG_SG_EEES9_SI_JZNS1_25segmented_radix_sort_implINS0_14default_configELb0EPKdPdPKlPlN2at6native12_GLOBAL__N_18offset_tEEE10hipError_tPvRmT1_PNSt15iterator_traitsIS12_E10value_typeET2_T3_PNS13_IS18_E10value_typeET4_jRbjT5_S1E_jjP12ihipStream_tbEUljE_ZNSN_ISO_Lb0ESQ_SR_ST_SU_SY_EESZ_S10_S11_S12_S16_S17_S18_S1B_S1C_jS1D_jS1E_S1E_jjS1G_bEUljE0_EEESZ_S10_S11_S18_S1C_S1E_T6_T7_T9_mT8_S1G_bDpT10_ENKUlT_T0_E_clISt17integral_constantIbLb0EES1U_EEDaS1P_S1Q_EUlS1P_E_NS1_11comp_targetILNS1_3genE2ELNS1_11target_archE906ELNS1_3gpuE6ELNS1_3repE0EEENS1_30default_config_static_selectorELNS0_4arch9wavefront6targetE1EEEvS12_.num_named_barrier, 0
	.set _ZN7rocprim17ROCPRIM_400000_NS6detail17trampoline_kernelINS0_13select_configILj256ELj13ELNS0_17block_load_methodE3ELS4_3ELS4_3ELNS0_20block_scan_algorithmE0ELj4294967295EEENS1_25partition_config_selectorILNS1_17partition_subalgoE4EjNS0_10empty_typeEbEEZZNS1_14partition_implILS8_4ELb0ES6_15HIP_vector_typeIjLj2EENS0_17counting_iteratorIjlEEPS9_SG_NS0_5tupleIJPjSI_NS0_16reverse_iteratorISI_EEEEENSH_IJSG_SG_SG_EEES9_SI_JZNS1_25segmented_radix_sort_implINS0_14default_configELb0EPKdPdPKlPlN2at6native12_GLOBAL__N_18offset_tEEE10hipError_tPvRmT1_PNSt15iterator_traitsIS12_E10value_typeET2_T3_PNS13_IS18_E10value_typeET4_jRbjT5_S1E_jjP12ihipStream_tbEUljE_ZNSN_ISO_Lb0ESQ_SR_ST_SU_SY_EESZ_S10_S11_S12_S16_S17_S18_S1B_S1C_jS1D_jS1E_S1E_jjS1G_bEUljE0_EEESZ_S10_S11_S18_S1C_S1E_T6_T7_T9_mT8_S1G_bDpT10_ENKUlT_T0_E_clISt17integral_constantIbLb0EES1U_EEDaS1P_S1Q_EUlS1P_E_NS1_11comp_targetILNS1_3genE2ELNS1_11target_archE906ELNS1_3gpuE6ELNS1_3repE0EEENS1_30default_config_static_selectorELNS0_4arch9wavefront6targetE1EEEvS12_.private_seg_size, 0
	.set _ZN7rocprim17ROCPRIM_400000_NS6detail17trampoline_kernelINS0_13select_configILj256ELj13ELNS0_17block_load_methodE3ELS4_3ELS4_3ELNS0_20block_scan_algorithmE0ELj4294967295EEENS1_25partition_config_selectorILNS1_17partition_subalgoE4EjNS0_10empty_typeEbEEZZNS1_14partition_implILS8_4ELb0ES6_15HIP_vector_typeIjLj2EENS0_17counting_iteratorIjlEEPS9_SG_NS0_5tupleIJPjSI_NS0_16reverse_iteratorISI_EEEEENSH_IJSG_SG_SG_EEES9_SI_JZNS1_25segmented_radix_sort_implINS0_14default_configELb0EPKdPdPKlPlN2at6native12_GLOBAL__N_18offset_tEEE10hipError_tPvRmT1_PNSt15iterator_traitsIS12_E10value_typeET2_T3_PNS13_IS18_E10value_typeET4_jRbjT5_S1E_jjP12ihipStream_tbEUljE_ZNSN_ISO_Lb0ESQ_SR_ST_SU_SY_EESZ_S10_S11_S12_S16_S17_S18_S1B_S1C_jS1D_jS1E_S1E_jjS1G_bEUljE0_EEESZ_S10_S11_S18_S1C_S1E_T6_T7_T9_mT8_S1G_bDpT10_ENKUlT_T0_E_clISt17integral_constantIbLb0EES1U_EEDaS1P_S1Q_EUlS1P_E_NS1_11comp_targetILNS1_3genE2ELNS1_11target_archE906ELNS1_3gpuE6ELNS1_3repE0EEENS1_30default_config_static_selectorELNS0_4arch9wavefront6targetE1EEEvS12_.uses_vcc, 1
	.set _ZN7rocprim17ROCPRIM_400000_NS6detail17trampoline_kernelINS0_13select_configILj256ELj13ELNS0_17block_load_methodE3ELS4_3ELS4_3ELNS0_20block_scan_algorithmE0ELj4294967295EEENS1_25partition_config_selectorILNS1_17partition_subalgoE4EjNS0_10empty_typeEbEEZZNS1_14partition_implILS8_4ELb0ES6_15HIP_vector_typeIjLj2EENS0_17counting_iteratorIjlEEPS9_SG_NS0_5tupleIJPjSI_NS0_16reverse_iteratorISI_EEEEENSH_IJSG_SG_SG_EEES9_SI_JZNS1_25segmented_radix_sort_implINS0_14default_configELb0EPKdPdPKlPlN2at6native12_GLOBAL__N_18offset_tEEE10hipError_tPvRmT1_PNSt15iterator_traitsIS12_E10value_typeET2_T3_PNS13_IS18_E10value_typeET4_jRbjT5_S1E_jjP12ihipStream_tbEUljE_ZNSN_ISO_Lb0ESQ_SR_ST_SU_SY_EESZ_S10_S11_S12_S16_S17_S18_S1B_S1C_jS1D_jS1E_S1E_jjS1G_bEUljE0_EEESZ_S10_S11_S18_S1C_S1E_T6_T7_T9_mT8_S1G_bDpT10_ENKUlT_T0_E_clISt17integral_constantIbLb0EES1U_EEDaS1P_S1Q_EUlS1P_E_NS1_11comp_targetILNS1_3genE2ELNS1_11target_archE906ELNS1_3gpuE6ELNS1_3repE0EEENS1_30default_config_static_selectorELNS0_4arch9wavefront6targetE1EEEvS12_.uses_flat_scratch, 0
	.set _ZN7rocprim17ROCPRIM_400000_NS6detail17trampoline_kernelINS0_13select_configILj256ELj13ELNS0_17block_load_methodE3ELS4_3ELS4_3ELNS0_20block_scan_algorithmE0ELj4294967295EEENS1_25partition_config_selectorILNS1_17partition_subalgoE4EjNS0_10empty_typeEbEEZZNS1_14partition_implILS8_4ELb0ES6_15HIP_vector_typeIjLj2EENS0_17counting_iteratorIjlEEPS9_SG_NS0_5tupleIJPjSI_NS0_16reverse_iteratorISI_EEEEENSH_IJSG_SG_SG_EEES9_SI_JZNS1_25segmented_radix_sort_implINS0_14default_configELb0EPKdPdPKlPlN2at6native12_GLOBAL__N_18offset_tEEE10hipError_tPvRmT1_PNSt15iterator_traitsIS12_E10value_typeET2_T3_PNS13_IS18_E10value_typeET4_jRbjT5_S1E_jjP12ihipStream_tbEUljE_ZNSN_ISO_Lb0ESQ_SR_ST_SU_SY_EESZ_S10_S11_S12_S16_S17_S18_S1B_S1C_jS1D_jS1E_S1E_jjS1G_bEUljE0_EEESZ_S10_S11_S18_S1C_S1E_T6_T7_T9_mT8_S1G_bDpT10_ENKUlT_T0_E_clISt17integral_constantIbLb0EES1U_EEDaS1P_S1Q_EUlS1P_E_NS1_11comp_targetILNS1_3genE2ELNS1_11target_archE906ELNS1_3gpuE6ELNS1_3repE0EEENS1_30default_config_static_selectorELNS0_4arch9wavefront6targetE1EEEvS12_.has_dyn_sized_stack, 0
	.set _ZN7rocprim17ROCPRIM_400000_NS6detail17trampoline_kernelINS0_13select_configILj256ELj13ELNS0_17block_load_methodE3ELS4_3ELS4_3ELNS0_20block_scan_algorithmE0ELj4294967295EEENS1_25partition_config_selectorILNS1_17partition_subalgoE4EjNS0_10empty_typeEbEEZZNS1_14partition_implILS8_4ELb0ES6_15HIP_vector_typeIjLj2EENS0_17counting_iteratorIjlEEPS9_SG_NS0_5tupleIJPjSI_NS0_16reverse_iteratorISI_EEEEENSH_IJSG_SG_SG_EEES9_SI_JZNS1_25segmented_radix_sort_implINS0_14default_configELb0EPKdPdPKlPlN2at6native12_GLOBAL__N_18offset_tEEE10hipError_tPvRmT1_PNSt15iterator_traitsIS12_E10value_typeET2_T3_PNS13_IS18_E10value_typeET4_jRbjT5_S1E_jjP12ihipStream_tbEUljE_ZNSN_ISO_Lb0ESQ_SR_ST_SU_SY_EESZ_S10_S11_S12_S16_S17_S18_S1B_S1C_jS1D_jS1E_S1E_jjS1G_bEUljE0_EEESZ_S10_S11_S18_S1C_S1E_T6_T7_T9_mT8_S1G_bDpT10_ENKUlT_T0_E_clISt17integral_constantIbLb0EES1U_EEDaS1P_S1Q_EUlS1P_E_NS1_11comp_targetILNS1_3genE2ELNS1_11target_archE906ELNS1_3gpuE6ELNS1_3repE0EEENS1_30default_config_static_selectorELNS0_4arch9wavefront6targetE1EEEvS12_.has_recursion, 0
	.set _ZN7rocprim17ROCPRIM_400000_NS6detail17trampoline_kernelINS0_13select_configILj256ELj13ELNS0_17block_load_methodE3ELS4_3ELS4_3ELNS0_20block_scan_algorithmE0ELj4294967295EEENS1_25partition_config_selectorILNS1_17partition_subalgoE4EjNS0_10empty_typeEbEEZZNS1_14partition_implILS8_4ELb0ES6_15HIP_vector_typeIjLj2EENS0_17counting_iteratorIjlEEPS9_SG_NS0_5tupleIJPjSI_NS0_16reverse_iteratorISI_EEEEENSH_IJSG_SG_SG_EEES9_SI_JZNS1_25segmented_radix_sort_implINS0_14default_configELb0EPKdPdPKlPlN2at6native12_GLOBAL__N_18offset_tEEE10hipError_tPvRmT1_PNSt15iterator_traitsIS12_E10value_typeET2_T3_PNS13_IS18_E10value_typeET4_jRbjT5_S1E_jjP12ihipStream_tbEUljE_ZNSN_ISO_Lb0ESQ_SR_ST_SU_SY_EESZ_S10_S11_S12_S16_S17_S18_S1B_S1C_jS1D_jS1E_S1E_jjS1G_bEUljE0_EEESZ_S10_S11_S18_S1C_S1E_T6_T7_T9_mT8_S1G_bDpT10_ENKUlT_T0_E_clISt17integral_constantIbLb0EES1U_EEDaS1P_S1Q_EUlS1P_E_NS1_11comp_targetILNS1_3genE2ELNS1_11target_archE906ELNS1_3gpuE6ELNS1_3repE0EEENS1_30default_config_static_selectorELNS0_4arch9wavefront6targetE1EEEvS12_.has_indirect_call, 0
	.section	.AMDGPU.csdata,"",@progbits
; Kernel info:
; codeLenInByte = 15480
; TotalNumSgprs: 94
; NumVgprs: 86
; ScratchSize: 0
; MemoryBound: 0
; FloatMode: 240
; IeeeMode: 1
; LDSByteSize: 13328 bytes/workgroup (compile time only)
; SGPRBlocks: 12
; VGPRBlocks: 21
; NumSGPRsForWavesPerEU: 102
; NumVGPRsForWavesPerEU: 86
; Occupancy: 2
; WaveLimiterHint : 1
; COMPUTE_PGM_RSRC2:SCRATCH_EN: 0
; COMPUTE_PGM_RSRC2:USER_SGPR: 6
; COMPUTE_PGM_RSRC2:TRAP_HANDLER: 0
; COMPUTE_PGM_RSRC2:TGID_X_EN: 1
; COMPUTE_PGM_RSRC2:TGID_Y_EN: 0
; COMPUTE_PGM_RSRC2:TGID_Z_EN: 0
; COMPUTE_PGM_RSRC2:TIDIG_COMP_CNT: 0
	.section	.text._ZN7rocprim17ROCPRIM_400000_NS6detail17trampoline_kernelINS0_13select_configILj256ELj13ELNS0_17block_load_methodE3ELS4_3ELS4_3ELNS0_20block_scan_algorithmE0ELj4294967295EEENS1_25partition_config_selectorILNS1_17partition_subalgoE4EjNS0_10empty_typeEbEEZZNS1_14partition_implILS8_4ELb0ES6_15HIP_vector_typeIjLj2EENS0_17counting_iteratorIjlEEPS9_SG_NS0_5tupleIJPjSI_NS0_16reverse_iteratorISI_EEEEENSH_IJSG_SG_SG_EEES9_SI_JZNS1_25segmented_radix_sort_implINS0_14default_configELb0EPKdPdPKlPlN2at6native12_GLOBAL__N_18offset_tEEE10hipError_tPvRmT1_PNSt15iterator_traitsIS12_E10value_typeET2_T3_PNS13_IS18_E10value_typeET4_jRbjT5_S1E_jjP12ihipStream_tbEUljE_ZNSN_ISO_Lb0ESQ_SR_ST_SU_SY_EESZ_S10_S11_S12_S16_S17_S18_S1B_S1C_jS1D_jS1E_S1E_jjS1G_bEUljE0_EEESZ_S10_S11_S18_S1C_S1E_T6_T7_T9_mT8_S1G_bDpT10_ENKUlT_T0_E_clISt17integral_constantIbLb0EES1U_EEDaS1P_S1Q_EUlS1P_E_NS1_11comp_targetILNS1_3genE10ELNS1_11target_archE1200ELNS1_3gpuE4ELNS1_3repE0EEENS1_30default_config_static_selectorELNS0_4arch9wavefront6targetE1EEEvS12_,"axG",@progbits,_ZN7rocprim17ROCPRIM_400000_NS6detail17trampoline_kernelINS0_13select_configILj256ELj13ELNS0_17block_load_methodE3ELS4_3ELS4_3ELNS0_20block_scan_algorithmE0ELj4294967295EEENS1_25partition_config_selectorILNS1_17partition_subalgoE4EjNS0_10empty_typeEbEEZZNS1_14partition_implILS8_4ELb0ES6_15HIP_vector_typeIjLj2EENS0_17counting_iteratorIjlEEPS9_SG_NS0_5tupleIJPjSI_NS0_16reverse_iteratorISI_EEEEENSH_IJSG_SG_SG_EEES9_SI_JZNS1_25segmented_radix_sort_implINS0_14default_configELb0EPKdPdPKlPlN2at6native12_GLOBAL__N_18offset_tEEE10hipError_tPvRmT1_PNSt15iterator_traitsIS12_E10value_typeET2_T3_PNS13_IS18_E10value_typeET4_jRbjT5_S1E_jjP12ihipStream_tbEUljE_ZNSN_ISO_Lb0ESQ_SR_ST_SU_SY_EESZ_S10_S11_S12_S16_S17_S18_S1B_S1C_jS1D_jS1E_S1E_jjS1G_bEUljE0_EEESZ_S10_S11_S18_S1C_S1E_T6_T7_T9_mT8_S1G_bDpT10_ENKUlT_T0_E_clISt17integral_constantIbLb0EES1U_EEDaS1P_S1Q_EUlS1P_E_NS1_11comp_targetILNS1_3genE10ELNS1_11target_archE1200ELNS1_3gpuE4ELNS1_3repE0EEENS1_30default_config_static_selectorELNS0_4arch9wavefront6targetE1EEEvS12_,comdat
	.globl	_ZN7rocprim17ROCPRIM_400000_NS6detail17trampoline_kernelINS0_13select_configILj256ELj13ELNS0_17block_load_methodE3ELS4_3ELS4_3ELNS0_20block_scan_algorithmE0ELj4294967295EEENS1_25partition_config_selectorILNS1_17partition_subalgoE4EjNS0_10empty_typeEbEEZZNS1_14partition_implILS8_4ELb0ES6_15HIP_vector_typeIjLj2EENS0_17counting_iteratorIjlEEPS9_SG_NS0_5tupleIJPjSI_NS0_16reverse_iteratorISI_EEEEENSH_IJSG_SG_SG_EEES9_SI_JZNS1_25segmented_radix_sort_implINS0_14default_configELb0EPKdPdPKlPlN2at6native12_GLOBAL__N_18offset_tEEE10hipError_tPvRmT1_PNSt15iterator_traitsIS12_E10value_typeET2_T3_PNS13_IS18_E10value_typeET4_jRbjT5_S1E_jjP12ihipStream_tbEUljE_ZNSN_ISO_Lb0ESQ_SR_ST_SU_SY_EESZ_S10_S11_S12_S16_S17_S18_S1B_S1C_jS1D_jS1E_S1E_jjS1G_bEUljE0_EEESZ_S10_S11_S18_S1C_S1E_T6_T7_T9_mT8_S1G_bDpT10_ENKUlT_T0_E_clISt17integral_constantIbLb0EES1U_EEDaS1P_S1Q_EUlS1P_E_NS1_11comp_targetILNS1_3genE10ELNS1_11target_archE1200ELNS1_3gpuE4ELNS1_3repE0EEENS1_30default_config_static_selectorELNS0_4arch9wavefront6targetE1EEEvS12_ ; -- Begin function _ZN7rocprim17ROCPRIM_400000_NS6detail17trampoline_kernelINS0_13select_configILj256ELj13ELNS0_17block_load_methodE3ELS4_3ELS4_3ELNS0_20block_scan_algorithmE0ELj4294967295EEENS1_25partition_config_selectorILNS1_17partition_subalgoE4EjNS0_10empty_typeEbEEZZNS1_14partition_implILS8_4ELb0ES6_15HIP_vector_typeIjLj2EENS0_17counting_iteratorIjlEEPS9_SG_NS0_5tupleIJPjSI_NS0_16reverse_iteratorISI_EEEEENSH_IJSG_SG_SG_EEES9_SI_JZNS1_25segmented_radix_sort_implINS0_14default_configELb0EPKdPdPKlPlN2at6native12_GLOBAL__N_18offset_tEEE10hipError_tPvRmT1_PNSt15iterator_traitsIS12_E10value_typeET2_T3_PNS13_IS18_E10value_typeET4_jRbjT5_S1E_jjP12ihipStream_tbEUljE_ZNSN_ISO_Lb0ESQ_SR_ST_SU_SY_EESZ_S10_S11_S12_S16_S17_S18_S1B_S1C_jS1D_jS1E_S1E_jjS1G_bEUljE0_EEESZ_S10_S11_S18_S1C_S1E_T6_T7_T9_mT8_S1G_bDpT10_ENKUlT_T0_E_clISt17integral_constantIbLb0EES1U_EEDaS1P_S1Q_EUlS1P_E_NS1_11comp_targetILNS1_3genE10ELNS1_11target_archE1200ELNS1_3gpuE4ELNS1_3repE0EEENS1_30default_config_static_selectorELNS0_4arch9wavefront6targetE1EEEvS12_
	.p2align	8
	.type	_ZN7rocprim17ROCPRIM_400000_NS6detail17trampoline_kernelINS0_13select_configILj256ELj13ELNS0_17block_load_methodE3ELS4_3ELS4_3ELNS0_20block_scan_algorithmE0ELj4294967295EEENS1_25partition_config_selectorILNS1_17partition_subalgoE4EjNS0_10empty_typeEbEEZZNS1_14partition_implILS8_4ELb0ES6_15HIP_vector_typeIjLj2EENS0_17counting_iteratorIjlEEPS9_SG_NS0_5tupleIJPjSI_NS0_16reverse_iteratorISI_EEEEENSH_IJSG_SG_SG_EEES9_SI_JZNS1_25segmented_radix_sort_implINS0_14default_configELb0EPKdPdPKlPlN2at6native12_GLOBAL__N_18offset_tEEE10hipError_tPvRmT1_PNSt15iterator_traitsIS12_E10value_typeET2_T3_PNS13_IS18_E10value_typeET4_jRbjT5_S1E_jjP12ihipStream_tbEUljE_ZNSN_ISO_Lb0ESQ_SR_ST_SU_SY_EESZ_S10_S11_S12_S16_S17_S18_S1B_S1C_jS1D_jS1E_S1E_jjS1G_bEUljE0_EEESZ_S10_S11_S18_S1C_S1E_T6_T7_T9_mT8_S1G_bDpT10_ENKUlT_T0_E_clISt17integral_constantIbLb0EES1U_EEDaS1P_S1Q_EUlS1P_E_NS1_11comp_targetILNS1_3genE10ELNS1_11target_archE1200ELNS1_3gpuE4ELNS1_3repE0EEENS1_30default_config_static_selectorELNS0_4arch9wavefront6targetE1EEEvS12_,@function
_ZN7rocprim17ROCPRIM_400000_NS6detail17trampoline_kernelINS0_13select_configILj256ELj13ELNS0_17block_load_methodE3ELS4_3ELS4_3ELNS0_20block_scan_algorithmE0ELj4294967295EEENS1_25partition_config_selectorILNS1_17partition_subalgoE4EjNS0_10empty_typeEbEEZZNS1_14partition_implILS8_4ELb0ES6_15HIP_vector_typeIjLj2EENS0_17counting_iteratorIjlEEPS9_SG_NS0_5tupleIJPjSI_NS0_16reverse_iteratorISI_EEEEENSH_IJSG_SG_SG_EEES9_SI_JZNS1_25segmented_radix_sort_implINS0_14default_configELb0EPKdPdPKlPlN2at6native12_GLOBAL__N_18offset_tEEE10hipError_tPvRmT1_PNSt15iterator_traitsIS12_E10value_typeET2_T3_PNS13_IS18_E10value_typeET4_jRbjT5_S1E_jjP12ihipStream_tbEUljE_ZNSN_ISO_Lb0ESQ_SR_ST_SU_SY_EESZ_S10_S11_S12_S16_S17_S18_S1B_S1C_jS1D_jS1E_S1E_jjS1G_bEUljE0_EEESZ_S10_S11_S18_S1C_S1E_T6_T7_T9_mT8_S1G_bDpT10_ENKUlT_T0_E_clISt17integral_constantIbLb0EES1U_EEDaS1P_S1Q_EUlS1P_E_NS1_11comp_targetILNS1_3genE10ELNS1_11target_archE1200ELNS1_3gpuE4ELNS1_3repE0EEENS1_30default_config_static_selectorELNS0_4arch9wavefront6targetE1EEEvS12_: ; @_ZN7rocprim17ROCPRIM_400000_NS6detail17trampoline_kernelINS0_13select_configILj256ELj13ELNS0_17block_load_methodE3ELS4_3ELS4_3ELNS0_20block_scan_algorithmE0ELj4294967295EEENS1_25partition_config_selectorILNS1_17partition_subalgoE4EjNS0_10empty_typeEbEEZZNS1_14partition_implILS8_4ELb0ES6_15HIP_vector_typeIjLj2EENS0_17counting_iteratorIjlEEPS9_SG_NS0_5tupleIJPjSI_NS0_16reverse_iteratorISI_EEEEENSH_IJSG_SG_SG_EEES9_SI_JZNS1_25segmented_radix_sort_implINS0_14default_configELb0EPKdPdPKlPlN2at6native12_GLOBAL__N_18offset_tEEE10hipError_tPvRmT1_PNSt15iterator_traitsIS12_E10value_typeET2_T3_PNS13_IS18_E10value_typeET4_jRbjT5_S1E_jjP12ihipStream_tbEUljE_ZNSN_ISO_Lb0ESQ_SR_ST_SU_SY_EESZ_S10_S11_S12_S16_S17_S18_S1B_S1C_jS1D_jS1E_S1E_jjS1G_bEUljE0_EEESZ_S10_S11_S18_S1C_S1E_T6_T7_T9_mT8_S1G_bDpT10_ENKUlT_T0_E_clISt17integral_constantIbLb0EES1U_EEDaS1P_S1Q_EUlS1P_E_NS1_11comp_targetILNS1_3genE10ELNS1_11target_archE1200ELNS1_3gpuE4ELNS1_3repE0EEENS1_30default_config_static_selectorELNS0_4arch9wavefront6targetE1EEEvS12_
; %bb.0:
	.section	.rodata,"a",@progbits
	.p2align	6, 0x0
	.amdhsa_kernel _ZN7rocprim17ROCPRIM_400000_NS6detail17trampoline_kernelINS0_13select_configILj256ELj13ELNS0_17block_load_methodE3ELS4_3ELS4_3ELNS0_20block_scan_algorithmE0ELj4294967295EEENS1_25partition_config_selectorILNS1_17partition_subalgoE4EjNS0_10empty_typeEbEEZZNS1_14partition_implILS8_4ELb0ES6_15HIP_vector_typeIjLj2EENS0_17counting_iteratorIjlEEPS9_SG_NS0_5tupleIJPjSI_NS0_16reverse_iteratorISI_EEEEENSH_IJSG_SG_SG_EEES9_SI_JZNS1_25segmented_radix_sort_implINS0_14default_configELb0EPKdPdPKlPlN2at6native12_GLOBAL__N_18offset_tEEE10hipError_tPvRmT1_PNSt15iterator_traitsIS12_E10value_typeET2_T3_PNS13_IS18_E10value_typeET4_jRbjT5_S1E_jjP12ihipStream_tbEUljE_ZNSN_ISO_Lb0ESQ_SR_ST_SU_SY_EESZ_S10_S11_S12_S16_S17_S18_S1B_S1C_jS1D_jS1E_S1E_jjS1G_bEUljE0_EEESZ_S10_S11_S18_S1C_S1E_T6_T7_T9_mT8_S1G_bDpT10_ENKUlT_T0_E_clISt17integral_constantIbLb0EES1U_EEDaS1P_S1Q_EUlS1P_E_NS1_11comp_targetILNS1_3genE10ELNS1_11target_archE1200ELNS1_3gpuE4ELNS1_3repE0EEENS1_30default_config_static_selectorELNS0_4arch9wavefront6targetE1EEEvS12_
		.amdhsa_group_segment_fixed_size 0
		.amdhsa_private_segment_fixed_size 0
		.amdhsa_kernarg_size 176
		.amdhsa_user_sgpr_count 6
		.amdhsa_user_sgpr_private_segment_buffer 1
		.amdhsa_user_sgpr_dispatch_ptr 0
		.amdhsa_user_sgpr_queue_ptr 0
		.amdhsa_user_sgpr_kernarg_segment_ptr 1
		.amdhsa_user_sgpr_dispatch_id 0
		.amdhsa_user_sgpr_flat_scratch_init 0
		.amdhsa_user_sgpr_private_segment_size 0
		.amdhsa_uses_dynamic_stack 0
		.amdhsa_system_sgpr_private_segment_wavefront_offset 0
		.amdhsa_system_sgpr_workgroup_id_x 1
		.amdhsa_system_sgpr_workgroup_id_y 0
		.amdhsa_system_sgpr_workgroup_id_z 0
		.amdhsa_system_sgpr_workgroup_info 0
		.amdhsa_system_vgpr_workitem_id 0
		.amdhsa_next_free_vgpr 1
		.amdhsa_next_free_sgpr 0
		.amdhsa_reserve_vcc 0
		.amdhsa_reserve_flat_scratch 0
		.amdhsa_float_round_mode_32 0
		.amdhsa_float_round_mode_16_64 0
		.amdhsa_float_denorm_mode_32 3
		.amdhsa_float_denorm_mode_16_64 3
		.amdhsa_dx10_clamp 1
		.amdhsa_ieee_mode 1
		.amdhsa_fp16_overflow 0
		.amdhsa_exception_fp_ieee_invalid_op 0
		.amdhsa_exception_fp_denorm_src 0
		.amdhsa_exception_fp_ieee_div_zero 0
		.amdhsa_exception_fp_ieee_overflow 0
		.amdhsa_exception_fp_ieee_underflow 0
		.amdhsa_exception_fp_ieee_inexact 0
		.amdhsa_exception_int_div_zero 0
	.end_amdhsa_kernel
	.section	.text._ZN7rocprim17ROCPRIM_400000_NS6detail17trampoline_kernelINS0_13select_configILj256ELj13ELNS0_17block_load_methodE3ELS4_3ELS4_3ELNS0_20block_scan_algorithmE0ELj4294967295EEENS1_25partition_config_selectorILNS1_17partition_subalgoE4EjNS0_10empty_typeEbEEZZNS1_14partition_implILS8_4ELb0ES6_15HIP_vector_typeIjLj2EENS0_17counting_iteratorIjlEEPS9_SG_NS0_5tupleIJPjSI_NS0_16reverse_iteratorISI_EEEEENSH_IJSG_SG_SG_EEES9_SI_JZNS1_25segmented_radix_sort_implINS0_14default_configELb0EPKdPdPKlPlN2at6native12_GLOBAL__N_18offset_tEEE10hipError_tPvRmT1_PNSt15iterator_traitsIS12_E10value_typeET2_T3_PNS13_IS18_E10value_typeET4_jRbjT5_S1E_jjP12ihipStream_tbEUljE_ZNSN_ISO_Lb0ESQ_SR_ST_SU_SY_EESZ_S10_S11_S12_S16_S17_S18_S1B_S1C_jS1D_jS1E_S1E_jjS1G_bEUljE0_EEESZ_S10_S11_S18_S1C_S1E_T6_T7_T9_mT8_S1G_bDpT10_ENKUlT_T0_E_clISt17integral_constantIbLb0EES1U_EEDaS1P_S1Q_EUlS1P_E_NS1_11comp_targetILNS1_3genE10ELNS1_11target_archE1200ELNS1_3gpuE4ELNS1_3repE0EEENS1_30default_config_static_selectorELNS0_4arch9wavefront6targetE1EEEvS12_,"axG",@progbits,_ZN7rocprim17ROCPRIM_400000_NS6detail17trampoline_kernelINS0_13select_configILj256ELj13ELNS0_17block_load_methodE3ELS4_3ELS4_3ELNS0_20block_scan_algorithmE0ELj4294967295EEENS1_25partition_config_selectorILNS1_17partition_subalgoE4EjNS0_10empty_typeEbEEZZNS1_14partition_implILS8_4ELb0ES6_15HIP_vector_typeIjLj2EENS0_17counting_iteratorIjlEEPS9_SG_NS0_5tupleIJPjSI_NS0_16reverse_iteratorISI_EEEEENSH_IJSG_SG_SG_EEES9_SI_JZNS1_25segmented_radix_sort_implINS0_14default_configELb0EPKdPdPKlPlN2at6native12_GLOBAL__N_18offset_tEEE10hipError_tPvRmT1_PNSt15iterator_traitsIS12_E10value_typeET2_T3_PNS13_IS18_E10value_typeET4_jRbjT5_S1E_jjP12ihipStream_tbEUljE_ZNSN_ISO_Lb0ESQ_SR_ST_SU_SY_EESZ_S10_S11_S12_S16_S17_S18_S1B_S1C_jS1D_jS1E_S1E_jjS1G_bEUljE0_EEESZ_S10_S11_S18_S1C_S1E_T6_T7_T9_mT8_S1G_bDpT10_ENKUlT_T0_E_clISt17integral_constantIbLb0EES1U_EEDaS1P_S1Q_EUlS1P_E_NS1_11comp_targetILNS1_3genE10ELNS1_11target_archE1200ELNS1_3gpuE4ELNS1_3repE0EEENS1_30default_config_static_selectorELNS0_4arch9wavefront6targetE1EEEvS12_,comdat
.Lfunc_end1162:
	.size	_ZN7rocprim17ROCPRIM_400000_NS6detail17trampoline_kernelINS0_13select_configILj256ELj13ELNS0_17block_load_methodE3ELS4_3ELS4_3ELNS0_20block_scan_algorithmE0ELj4294967295EEENS1_25partition_config_selectorILNS1_17partition_subalgoE4EjNS0_10empty_typeEbEEZZNS1_14partition_implILS8_4ELb0ES6_15HIP_vector_typeIjLj2EENS0_17counting_iteratorIjlEEPS9_SG_NS0_5tupleIJPjSI_NS0_16reverse_iteratorISI_EEEEENSH_IJSG_SG_SG_EEES9_SI_JZNS1_25segmented_radix_sort_implINS0_14default_configELb0EPKdPdPKlPlN2at6native12_GLOBAL__N_18offset_tEEE10hipError_tPvRmT1_PNSt15iterator_traitsIS12_E10value_typeET2_T3_PNS13_IS18_E10value_typeET4_jRbjT5_S1E_jjP12ihipStream_tbEUljE_ZNSN_ISO_Lb0ESQ_SR_ST_SU_SY_EESZ_S10_S11_S12_S16_S17_S18_S1B_S1C_jS1D_jS1E_S1E_jjS1G_bEUljE0_EEESZ_S10_S11_S18_S1C_S1E_T6_T7_T9_mT8_S1G_bDpT10_ENKUlT_T0_E_clISt17integral_constantIbLb0EES1U_EEDaS1P_S1Q_EUlS1P_E_NS1_11comp_targetILNS1_3genE10ELNS1_11target_archE1200ELNS1_3gpuE4ELNS1_3repE0EEENS1_30default_config_static_selectorELNS0_4arch9wavefront6targetE1EEEvS12_, .Lfunc_end1162-_ZN7rocprim17ROCPRIM_400000_NS6detail17trampoline_kernelINS0_13select_configILj256ELj13ELNS0_17block_load_methodE3ELS4_3ELS4_3ELNS0_20block_scan_algorithmE0ELj4294967295EEENS1_25partition_config_selectorILNS1_17partition_subalgoE4EjNS0_10empty_typeEbEEZZNS1_14partition_implILS8_4ELb0ES6_15HIP_vector_typeIjLj2EENS0_17counting_iteratorIjlEEPS9_SG_NS0_5tupleIJPjSI_NS0_16reverse_iteratorISI_EEEEENSH_IJSG_SG_SG_EEES9_SI_JZNS1_25segmented_radix_sort_implINS0_14default_configELb0EPKdPdPKlPlN2at6native12_GLOBAL__N_18offset_tEEE10hipError_tPvRmT1_PNSt15iterator_traitsIS12_E10value_typeET2_T3_PNS13_IS18_E10value_typeET4_jRbjT5_S1E_jjP12ihipStream_tbEUljE_ZNSN_ISO_Lb0ESQ_SR_ST_SU_SY_EESZ_S10_S11_S12_S16_S17_S18_S1B_S1C_jS1D_jS1E_S1E_jjS1G_bEUljE0_EEESZ_S10_S11_S18_S1C_S1E_T6_T7_T9_mT8_S1G_bDpT10_ENKUlT_T0_E_clISt17integral_constantIbLb0EES1U_EEDaS1P_S1Q_EUlS1P_E_NS1_11comp_targetILNS1_3genE10ELNS1_11target_archE1200ELNS1_3gpuE4ELNS1_3repE0EEENS1_30default_config_static_selectorELNS0_4arch9wavefront6targetE1EEEvS12_
                                        ; -- End function
	.set _ZN7rocprim17ROCPRIM_400000_NS6detail17trampoline_kernelINS0_13select_configILj256ELj13ELNS0_17block_load_methodE3ELS4_3ELS4_3ELNS0_20block_scan_algorithmE0ELj4294967295EEENS1_25partition_config_selectorILNS1_17partition_subalgoE4EjNS0_10empty_typeEbEEZZNS1_14partition_implILS8_4ELb0ES6_15HIP_vector_typeIjLj2EENS0_17counting_iteratorIjlEEPS9_SG_NS0_5tupleIJPjSI_NS0_16reverse_iteratorISI_EEEEENSH_IJSG_SG_SG_EEES9_SI_JZNS1_25segmented_radix_sort_implINS0_14default_configELb0EPKdPdPKlPlN2at6native12_GLOBAL__N_18offset_tEEE10hipError_tPvRmT1_PNSt15iterator_traitsIS12_E10value_typeET2_T3_PNS13_IS18_E10value_typeET4_jRbjT5_S1E_jjP12ihipStream_tbEUljE_ZNSN_ISO_Lb0ESQ_SR_ST_SU_SY_EESZ_S10_S11_S12_S16_S17_S18_S1B_S1C_jS1D_jS1E_S1E_jjS1G_bEUljE0_EEESZ_S10_S11_S18_S1C_S1E_T6_T7_T9_mT8_S1G_bDpT10_ENKUlT_T0_E_clISt17integral_constantIbLb0EES1U_EEDaS1P_S1Q_EUlS1P_E_NS1_11comp_targetILNS1_3genE10ELNS1_11target_archE1200ELNS1_3gpuE4ELNS1_3repE0EEENS1_30default_config_static_selectorELNS0_4arch9wavefront6targetE1EEEvS12_.num_vgpr, 0
	.set _ZN7rocprim17ROCPRIM_400000_NS6detail17trampoline_kernelINS0_13select_configILj256ELj13ELNS0_17block_load_methodE3ELS4_3ELS4_3ELNS0_20block_scan_algorithmE0ELj4294967295EEENS1_25partition_config_selectorILNS1_17partition_subalgoE4EjNS0_10empty_typeEbEEZZNS1_14partition_implILS8_4ELb0ES6_15HIP_vector_typeIjLj2EENS0_17counting_iteratorIjlEEPS9_SG_NS0_5tupleIJPjSI_NS0_16reverse_iteratorISI_EEEEENSH_IJSG_SG_SG_EEES9_SI_JZNS1_25segmented_radix_sort_implINS0_14default_configELb0EPKdPdPKlPlN2at6native12_GLOBAL__N_18offset_tEEE10hipError_tPvRmT1_PNSt15iterator_traitsIS12_E10value_typeET2_T3_PNS13_IS18_E10value_typeET4_jRbjT5_S1E_jjP12ihipStream_tbEUljE_ZNSN_ISO_Lb0ESQ_SR_ST_SU_SY_EESZ_S10_S11_S12_S16_S17_S18_S1B_S1C_jS1D_jS1E_S1E_jjS1G_bEUljE0_EEESZ_S10_S11_S18_S1C_S1E_T6_T7_T9_mT8_S1G_bDpT10_ENKUlT_T0_E_clISt17integral_constantIbLb0EES1U_EEDaS1P_S1Q_EUlS1P_E_NS1_11comp_targetILNS1_3genE10ELNS1_11target_archE1200ELNS1_3gpuE4ELNS1_3repE0EEENS1_30default_config_static_selectorELNS0_4arch9wavefront6targetE1EEEvS12_.num_agpr, 0
	.set _ZN7rocprim17ROCPRIM_400000_NS6detail17trampoline_kernelINS0_13select_configILj256ELj13ELNS0_17block_load_methodE3ELS4_3ELS4_3ELNS0_20block_scan_algorithmE0ELj4294967295EEENS1_25partition_config_selectorILNS1_17partition_subalgoE4EjNS0_10empty_typeEbEEZZNS1_14partition_implILS8_4ELb0ES6_15HIP_vector_typeIjLj2EENS0_17counting_iteratorIjlEEPS9_SG_NS0_5tupleIJPjSI_NS0_16reverse_iteratorISI_EEEEENSH_IJSG_SG_SG_EEES9_SI_JZNS1_25segmented_radix_sort_implINS0_14default_configELb0EPKdPdPKlPlN2at6native12_GLOBAL__N_18offset_tEEE10hipError_tPvRmT1_PNSt15iterator_traitsIS12_E10value_typeET2_T3_PNS13_IS18_E10value_typeET4_jRbjT5_S1E_jjP12ihipStream_tbEUljE_ZNSN_ISO_Lb0ESQ_SR_ST_SU_SY_EESZ_S10_S11_S12_S16_S17_S18_S1B_S1C_jS1D_jS1E_S1E_jjS1G_bEUljE0_EEESZ_S10_S11_S18_S1C_S1E_T6_T7_T9_mT8_S1G_bDpT10_ENKUlT_T0_E_clISt17integral_constantIbLb0EES1U_EEDaS1P_S1Q_EUlS1P_E_NS1_11comp_targetILNS1_3genE10ELNS1_11target_archE1200ELNS1_3gpuE4ELNS1_3repE0EEENS1_30default_config_static_selectorELNS0_4arch9wavefront6targetE1EEEvS12_.numbered_sgpr, 0
	.set _ZN7rocprim17ROCPRIM_400000_NS6detail17trampoline_kernelINS0_13select_configILj256ELj13ELNS0_17block_load_methodE3ELS4_3ELS4_3ELNS0_20block_scan_algorithmE0ELj4294967295EEENS1_25partition_config_selectorILNS1_17partition_subalgoE4EjNS0_10empty_typeEbEEZZNS1_14partition_implILS8_4ELb0ES6_15HIP_vector_typeIjLj2EENS0_17counting_iteratorIjlEEPS9_SG_NS0_5tupleIJPjSI_NS0_16reverse_iteratorISI_EEEEENSH_IJSG_SG_SG_EEES9_SI_JZNS1_25segmented_radix_sort_implINS0_14default_configELb0EPKdPdPKlPlN2at6native12_GLOBAL__N_18offset_tEEE10hipError_tPvRmT1_PNSt15iterator_traitsIS12_E10value_typeET2_T3_PNS13_IS18_E10value_typeET4_jRbjT5_S1E_jjP12ihipStream_tbEUljE_ZNSN_ISO_Lb0ESQ_SR_ST_SU_SY_EESZ_S10_S11_S12_S16_S17_S18_S1B_S1C_jS1D_jS1E_S1E_jjS1G_bEUljE0_EEESZ_S10_S11_S18_S1C_S1E_T6_T7_T9_mT8_S1G_bDpT10_ENKUlT_T0_E_clISt17integral_constantIbLb0EES1U_EEDaS1P_S1Q_EUlS1P_E_NS1_11comp_targetILNS1_3genE10ELNS1_11target_archE1200ELNS1_3gpuE4ELNS1_3repE0EEENS1_30default_config_static_selectorELNS0_4arch9wavefront6targetE1EEEvS12_.num_named_barrier, 0
	.set _ZN7rocprim17ROCPRIM_400000_NS6detail17trampoline_kernelINS0_13select_configILj256ELj13ELNS0_17block_load_methodE3ELS4_3ELS4_3ELNS0_20block_scan_algorithmE0ELj4294967295EEENS1_25partition_config_selectorILNS1_17partition_subalgoE4EjNS0_10empty_typeEbEEZZNS1_14partition_implILS8_4ELb0ES6_15HIP_vector_typeIjLj2EENS0_17counting_iteratorIjlEEPS9_SG_NS0_5tupleIJPjSI_NS0_16reverse_iteratorISI_EEEEENSH_IJSG_SG_SG_EEES9_SI_JZNS1_25segmented_radix_sort_implINS0_14default_configELb0EPKdPdPKlPlN2at6native12_GLOBAL__N_18offset_tEEE10hipError_tPvRmT1_PNSt15iterator_traitsIS12_E10value_typeET2_T3_PNS13_IS18_E10value_typeET4_jRbjT5_S1E_jjP12ihipStream_tbEUljE_ZNSN_ISO_Lb0ESQ_SR_ST_SU_SY_EESZ_S10_S11_S12_S16_S17_S18_S1B_S1C_jS1D_jS1E_S1E_jjS1G_bEUljE0_EEESZ_S10_S11_S18_S1C_S1E_T6_T7_T9_mT8_S1G_bDpT10_ENKUlT_T0_E_clISt17integral_constantIbLb0EES1U_EEDaS1P_S1Q_EUlS1P_E_NS1_11comp_targetILNS1_3genE10ELNS1_11target_archE1200ELNS1_3gpuE4ELNS1_3repE0EEENS1_30default_config_static_selectorELNS0_4arch9wavefront6targetE1EEEvS12_.private_seg_size, 0
	.set _ZN7rocprim17ROCPRIM_400000_NS6detail17trampoline_kernelINS0_13select_configILj256ELj13ELNS0_17block_load_methodE3ELS4_3ELS4_3ELNS0_20block_scan_algorithmE0ELj4294967295EEENS1_25partition_config_selectorILNS1_17partition_subalgoE4EjNS0_10empty_typeEbEEZZNS1_14partition_implILS8_4ELb0ES6_15HIP_vector_typeIjLj2EENS0_17counting_iteratorIjlEEPS9_SG_NS0_5tupleIJPjSI_NS0_16reverse_iteratorISI_EEEEENSH_IJSG_SG_SG_EEES9_SI_JZNS1_25segmented_radix_sort_implINS0_14default_configELb0EPKdPdPKlPlN2at6native12_GLOBAL__N_18offset_tEEE10hipError_tPvRmT1_PNSt15iterator_traitsIS12_E10value_typeET2_T3_PNS13_IS18_E10value_typeET4_jRbjT5_S1E_jjP12ihipStream_tbEUljE_ZNSN_ISO_Lb0ESQ_SR_ST_SU_SY_EESZ_S10_S11_S12_S16_S17_S18_S1B_S1C_jS1D_jS1E_S1E_jjS1G_bEUljE0_EEESZ_S10_S11_S18_S1C_S1E_T6_T7_T9_mT8_S1G_bDpT10_ENKUlT_T0_E_clISt17integral_constantIbLb0EES1U_EEDaS1P_S1Q_EUlS1P_E_NS1_11comp_targetILNS1_3genE10ELNS1_11target_archE1200ELNS1_3gpuE4ELNS1_3repE0EEENS1_30default_config_static_selectorELNS0_4arch9wavefront6targetE1EEEvS12_.uses_vcc, 0
	.set _ZN7rocprim17ROCPRIM_400000_NS6detail17trampoline_kernelINS0_13select_configILj256ELj13ELNS0_17block_load_methodE3ELS4_3ELS4_3ELNS0_20block_scan_algorithmE0ELj4294967295EEENS1_25partition_config_selectorILNS1_17partition_subalgoE4EjNS0_10empty_typeEbEEZZNS1_14partition_implILS8_4ELb0ES6_15HIP_vector_typeIjLj2EENS0_17counting_iteratorIjlEEPS9_SG_NS0_5tupleIJPjSI_NS0_16reverse_iteratorISI_EEEEENSH_IJSG_SG_SG_EEES9_SI_JZNS1_25segmented_radix_sort_implINS0_14default_configELb0EPKdPdPKlPlN2at6native12_GLOBAL__N_18offset_tEEE10hipError_tPvRmT1_PNSt15iterator_traitsIS12_E10value_typeET2_T3_PNS13_IS18_E10value_typeET4_jRbjT5_S1E_jjP12ihipStream_tbEUljE_ZNSN_ISO_Lb0ESQ_SR_ST_SU_SY_EESZ_S10_S11_S12_S16_S17_S18_S1B_S1C_jS1D_jS1E_S1E_jjS1G_bEUljE0_EEESZ_S10_S11_S18_S1C_S1E_T6_T7_T9_mT8_S1G_bDpT10_ENKUlT_T0_E_clISt17integral_constantIbLb0EES1U_EEDaS1P_S1Q_EUlS1P_E_NS1_11comp_targetILNS1_3genE10ELNS1_11target_archE1200ELNS1_3gpuE4ELNS1_3repE0EEENS1_30default_config_static_selectorELNS0_4arch9wavefront6targetE1EEEvS12_.uses_flat_scratch, 0
	.set _ZN7rocprim17ROCPRIM_400000_NS6detail17trampoline_kernelINS0_13select_configILj256ELj13ELNS0_17block_load_methodE3ELS4_3ELS4_3ELNS0_20block_scan_algorithmE0ELj4294967295EEENS1_25partition_config_selectorILNS1_17partition_subalgoE4EjNS0_10empty_typeEbEEZZNS1_14partition_implILS8_4ELb0ES6_15HIP_vector_typeIjLj2EENS0_17counting_iteratorIjlEEPS9_SG_NS0_5tupleIJPjSI_NS0_16reverse_iteratorISI_EEEEENSH_IJSG_SG_SG_EEES9_SI_JZNS1_25segmented_radix_sort_implINS0_14default_configELb0EPKdPdPKlPlN2at6native12_GLOBAL__N_18offset_tEEE10hipError_tPvRmT1_PNSt15iterator_traitsIS12_E10value_typeET2_T3_PNS13_IS18_E10value_typeET4_jRbjT5_S1E_jjP12ihipStream_tbEUljE_ZNSN_ISO_Lb0ESQ_SR_ST_SU_SY_EESZ_S10_S11_S12_S16_S17_S18_S1B_S1C_jS1D_jS1E_S1E_jjS1G_bEUljE0_EEESZ_S10_S11_S18_S1C_S1E_T6_T7_T9_mT8_S1G_bDpT10_ENKUlT_T0_E_clISt17integral_constantIbLb0EES1U_EEDaS1P_S1Q_EUlS1P_E_NS1_11comp_targetILNS1_3genE10ELNS1_11target_archE1200ELNS1_3gpuE4ELNS1_3repE0EEENS1_30default_config_static_selectorELNS0_4arch9wavefront6targetE1EEEvS12_.has_dyn_sized_stack, 0
	.set _ZN7rocprim17ROCPRIM_400000_NS6detail17trampoline_kernelINS0_13select_configILj256ELj13ELNS0_17block_load_methodE3ELS4_3ELS4_3ELNS0_20block_scan_algorithmE0ELj4294967295EEENS1_25partition_config_selectorILNS1_17partition_subalgoE4EjNS0_10empty_typeEbEEZZNS1_14partition_implILS8_4ELb0ES6_15HIP_vector_typeIjLj2EENS0_17counting_iteratorIjlEEPS9_SG_NS0_5tupleIJPjSI_NS0_16reverse_iteratorISI_EEEEENSH_IJSG_SG_SG_EEES9_SI_JZNS1_25segmented_radix_sort_implINS0_14default_configELb0EPKdPdPKlPlN2at6native12_GLOBAL__N_18offset_tEEE10hipError_tPvRmT1_PNSt15iterator_traitsIS12_E10value_typeET2_T3_PNS13_IS18_E10value_typeET4_jRbjT5_S1E_jjP12ihipStream_tbEUljE_ZNSN_ISO_Lb0ESQ_SR_ST_SU_SY_EESZ_S10_S11_S12_S16_S17_S18_S1B_S1C_jS1D_jS1E_S1E_jjS1G_bEUljE0_EEESZ_S10_S11_S18_S1C_S1E_T6_T7_T9_mT8_S1G_bDpT10_ENKUlT_T0_E_clISt17integral_constantIbLb0EES1U_EEDaS1P_S1Q_EUlS1P_E_NS1_11comp_targetILNS1_3genE10ELNS1_11target_archE1200ELNS1_3gpuE4ELNS1_3repE0EEENS1_30default_config_static_selectorELNS0_4arch9wavefront6targetE1EEEvS12_.has_recursion, 0
	.set _ZN7rocprim17ROCPRIM_400000_NS6detail17trampoline_kernelINS0_13select_configILj256ELj13ELNS0_17block_load_methodE3ELS4_3ELS4_3ELNS0_20block_scan_algorithmE0ELj4294967295EEENS1_25partition_config_selectorILNS1_17partition_subalgoE4EjNS0_10empty_typeEbEEZZNS1_14partition_implILS8_4ELb0ES6_15HIP_vector_typeIjLj2EENS0_17counting_iteratorIjlEEPS9_SG_NS0_5tupleIJPjSI_NS0_16reverse_iteratorISI_EEEEENSH_IJSG_SG_SG_EEES9_SI_JZNS1_25segmented_radix_sort_implINS0_14default_configELb0EPKdPdPKlPlN2at6native12_GLOBAL__N_18offset_tEEE10hipError_tPvRmT1_PNSt15iterator_traitsIS12_E10value_typeET2_T3_PNS13_IS18_E10value_typeET4_jRbjT5_S1E_jjP12ihipStream_tbEUljE_ZNSN_ISO_Lb0ESQ_SR_ST_SU_SY_EESZ_S10_S11_S12_S16_S17_S18_S1B_S1C_jS1D_jS1E_S1E_jjS1G_bEUljE0_EEESZ_S10_S11_S18_S1C_S1E_T6_T7_T9_mT8_S1G_bDpT10_ENKUlT_T0_E_clISt17integral_constantIbLb0EES1U_EEDaS1P_S1Q_EUlS1P_E_NS1_11comp_targetILNS1_3genE10ELNS1_11target_archE1200ELNS1_3gpuE4ELNS1_3repE0EEENS1_30default_config_static_selectorELNS0_4arch9wavefront6targetE1EEEvS12_.has_indirect_call, 0
	.section	.AMDGPU.csdata,"",@progbits
; Kernel info:
; codeLenInByte = 0
; TotalNumSgprs: 4
; NumVgprs: 0
; ScratchSize: 0
; MemoryBound: 0
; FloatMode: 240
; IeeeMode: 1
; LDSByteSize: 0 bytes/workgroup (compile time only)
; SGPRBlocks: 0
; VGPRBlocks: 0
; NumSGPRsForWavesPerEU: 4
; NumVGPRsForWavesPerEU: 1
; Occupancy: 10
; WaveLimiterHint : 0
; COMPUTE_PGM_RSRC2:SCRATCH_EN: 0
; COMPUTE_PGM_RSRC2:USER_SGPR: 6
; COMPUTE_PGM_RSRC2:TRAP_HANDLER: 0
; COMPUTE_PGM_RSRC2:TGID_X_EN: 1
; COMPUTE_PGM_RSRC2:TGID_Y_EN: 0
; COMPUTE_PGM_RSRC2:TGID_Z_EN: 0
; COMPUTE_PGM_RSRC2:TIDIG_COMP_CNT: 0
	.section	.text._ZN7rocprim17ROCPRIM_400000_NS6detail17trampoline_kernelINS0_13select_configILj256ELj13ELNS0_17block_load_methodE3ELS4_3ELS4_3ELNS0_20block_scan_algorithmE0ELj4294967295EEENS1_25partition_config_selectorILNS1_17partition_subalgoE4EjNS0_10empty_typeEbEEZZNS1_14partition_implILS8_4ELb0ES6_15HIP_vector_typeIjLj2EENS0_17counting_iteratorIjlEEPS9_SG_NS0_5tupleIJPjSI_NS0_16reverse_iteratorISI_EEEEENSH_IJSG_SG_SG_EEES9_SI_JZNS1_25segmented_radix_sort_implINS0_14default_configELb0EPKdPdPKlPlN2at6native12_GLOBAL__N_18offset_tEEE10hipError_tPvRmT1_PNSt15iterator_traitsIS12_E10value_typeET2_T3_PNS13_IS18_E10value_typeET4_jRbjT5_S1E_jjP12ihipStream_tbEUljE_ZNSN_ISO_Lb0ESQ_SR_ST_SU_SY_EESZ_S10_S11_S12_S16_S17_S18_S1B_S1C_jS1D_jS1E_S1E_jjS1G_bEUljE0_EEESZ_S10_S11_S18_S1C_S1E_T6_T7_T9_mT8_S1G_bDpT10_ENKUlT_T0_E_clISt17integral_constantIbLb0EES1U_EEDaS1P_S1Q_EUlS1P_E_NS1_11comp_targetILNS1_3genE9ELNS1_11target_archE1100ELNS1_3gpuE3ELNS1_3repE0EEENS1_30default_config_static_selectorELNS0_4arch9wavefront6targetE1EEEvS12_,"axG",@progbits,_ZN7rocprim17ROCPRIM_400000_NS6detail17trampoline_kernelINS0_13select_configILj256ELj13ELNS0_17block_load_methodE3ELS4_3ELS4_3ELNS0_20block_scan_algorithmE0ELj4294967295EEENS1_25partition_config_selectorILNS1_17partition_subalgoE4EjNS0_10empty_typeEbEEZZNS1_14partition_implILS8_4ELb0ES6_15HIP_vector_typeIjLj2EENS0_17counting_iteratorIjlEEPS9_SG_NS0_5tupleIJPjSI_NS0_16reverse_iteratorISI_EEEEENSH_IJSG_SG_SG_EEES9_SI_JZNS1_25segmented_radix_sort_implINS0_14default_configELb0EPKdPdPKlPlN2at6native12_GLOBAL__N_18offset_tEEE10hipError_tPvRmT1_PNSt15iterator_traitsIS12_E10value_typeET2_T3_PNS13_IS18_E10value_typeET4_jRbjT5_S1E_jjP12ihipStream_tbEUljE_ZNSN_ISO_Lb0ESQ_SR_ST_SU_SY_EESZ_S10_S11_S12_S16_S17_S18_S1B_S1C_jS1D_jS1E_S1E_jjS1G_bEUljE0_EEESZ_S10_S11_S18_S1C_S1E_T6_T7_T9_mT8_S1G_bDpT10_ENKUlT_T0_E_clISt17integral_constantIbLb0EES1U_EEDaS1P_S1Q_EUlS1P_E_NS1_11comp_targetILNS1_3genE9ELNS1_11target_archE1100ELNS1_3gpuE3ELNS1_3repE0EEENS1_30default_config_static_selectorELNS0_4arch9wavefront6targetE1EEEvS12_,comdat
	.globl	_ZN7rocprim17ROCPRIM_400000_NS6detail17trampoline_kernelINS0_13select_configILj256ELj13ELNS0_17block_load_methodE3ELS4_3ELS4_3ELNS0_20block_scan_algorithmE0ELj4294967295EEENS1_25partition_config_selectorILNS1_17partition_subalgoE4EjNS0_10empty_typeEbEEZZNS1_14partition_implILS8_4ELb0ES6_15HIP_vector_typeIjLj2EENS0_17counting_iteratorIjlEEPS9_SG_NS0_5tupleIJPjSI_NS0_16reverse_iteratorISI_EEEEENSH_IJSG_SG_SG_EEES9_SI_JZNS1_25segmented_radix_sort_implINS0_14default_configELb0EPKdPdPKlPlN2at6native12_GLOBAL__N_18offset_tEEE10hipError_tPvRmT1_PNSt15iterator_traitsIS12_E10value_typeET2_T3_PNS13_IS18_E10value_typeET4_jRbjT5_S1E_jjP12ihipStream_tbEUljE_ZNSN_ISO_Lb0ESQ_SR_ST_SU_SY_EESZ_S10_S11_S12_S16_S17_S18_S1B_S1C_jS1D_jS1E_S1E_jjS1G_bEUljE0_EEESZ_S10_S11_S18_S1C_S1E_T6_T7_T9_mT8_S1G_bDpT10_ENKUlT_T0_E_clISt17integral_constantIbLb0EES1U_EEDaS1P_S1Q_EUlS1P_E_NS1_11comp_targetILNS1_3genE9ELNS1_11target_archE1100ELNS1_3gpuE3ELNS1_3repE0EEENS1_30default_config_static_selectorELNS0_4arch9wavefront6targetE1EEEvS12_ ; -- Begin function _ZN7rocprim17ROCPRIM_400000_NS6detail17trampoline_kernelINS0_13select_configILj256ELj13ELNS0_17block_load_methodE3ELS4_3ELS4_3ELNS0_20block_scan_algorithmE0ELj4294967295EEENS1_25partition_config_selectorILNS1_17partition_subalgoE4EjNS0_10empty_typeEbEEZZNS1_14partition_implILS8_4ELb0ES6_15HIP_vector_typeIjLj2EENS0_17counting_iteratorIjlEEPS9_SG_NS0_5tupleIJPjSI_NS0_16reverse_iteratorISI_EEEEENSH_IJSG_SG_SG_EEES9_SI_JZNS1_25segmented_radix_sort_implINS0_14default_configELb0EPKdPdPKlPlN2at6native12_GLOBAL__N_18offset_tEEE10hipError_tPvRmT1_PNSt15iterator_traitsIS12_E10value_typeET2_T3_PNS13_IS18_E10value_typeET4_jRbjT5_S1E_jjP12ihipStream_tbEUljE_ZNSN_ISO_Lb0ESQ_SR_ST_SU_SY_EESZ_S10_S11_S12_S16_S17_S18_S1B_S1C_jS1D_jS1E_S1E_jjS1G_bEUljE0_EEESZ_S10_S11_S18_S1C_S1E_T6_T7_T9_mT8_S1G_bDpT10_ENKUlT_T0_E_clISt17integral_constantIbLb0EES1U_EEDaS1P_S1Q_EUlS1P_E_NS1_11comp_targetILNS1_3genE9ELNS1_11target_archE1100ELNS1_3gpuE3ELNS1_3repE0EEENS1_30default_config_static_selectorELNS0_4arch9wavefront6targetE1EEEvS12_
	.p2align	8
	.type	_ZN7rocprim17ROCPRIM_400000_NS6detail17trampoline_kernelINS0_13select_configILj256ELj13ELNS0_17block_load_methodE3ELS4_3ELS4_3ELNS0_20block_scan_algorithmE0ELj4294967295EEENS1_25partition_config_selectorILNS1_17partition_subalgoE4EjNS0_10empty_typeEbEEZZNS1_14partition_implILS8_4ELb0ES6_15HIP_vector_typeIjLj2EENS0_17counting_iteratorIjlEEPS9_SG_NS0_5tupleIJPjSI_NS0_16reverse_iteratorISI_EEEEENSH_IJSG_SG_SG_EEES9_SI_JZNS1_25segmented_radix_sort_implINS0_14default_configELb0EPKdPdPKlPlN2at6native12_GLOBAL__N_18offset_tEEE10hipError_tPvRmT1_PNSt15iterator_traitsIS12_E10value_typeET2_T3_PNS13_IS18_E10value_typeET4_jRbjT5_S1E_jjP12ihipStream_tbEUljE_ZNSN_ISO_Lb0ESQ_SR_ST_SU_SY_EESZ_S10_S11_S12_S16_S17_S18_S1B_S1C_jS1D_jS1E_S1E_jjS1G_bEUljE0_EEESZ_S10_S11_S18_S1C_S1E_T6_T7_T9_mT8_S1G_bDpT10_ENKUlT_T0_E_clISt17integral_constantIbLb0EES1U_EEDaS1P_S1Q_EUlS1P_E_NS1_11comp_targetILNS1_3genE9ELNS1_11target_archE1100ELNS1_3gpuE3ELNS1_3repE0EEENS1_30default_config_static_selectorELNS0_4arch9wavefront6targetE1EEEvS12_,@function
_ZN7rocprim17ROCPRIM_400000_NS6detail17trampoline_kernelINS0_13select_configILj256ELj13ELNS0_17block_load_methodE3ELS4_3ELS4_3ELNS0_20block_scan_algorithmE0ELj4294967295EEENS1_25partition_config_selectorILNS1_17partition_subalgoE4EjNS0_10empty_typeEbEEZZNS1_14partition_implILS8_4ELb0ES6_15HIP_vector_typeIjLj2EENS0_17counting_iteratorIjlEEPS9_SG_NS0_5tupleIJPjSI_NS0_16reverse_iteratorISI_EEEEENSH_IJSG_SG_SG_EEES9_SI_JZNS1_25segmented_radix_sort_implINS0_14default_configELb0EPKdPdPKlPlN2at6native12_GLOBAL__N_18offset_tEEE10hipError_tPvRmT1_PNSt15iterator_traitsIS12_E10value_typeET2_T3_PNS13_IS18_E10value_typeET4_jRbjT5_S1E_jjP12ihipStream_tbEUljE_ZNSN_ISO_Lb0ESQ_SR_ST_SU_SY_EESZ_S10_S11_S12_S16_S17_S18_S1B_S1C_jS1D_jS1E_S1E_jjS1G_bEUljE0_EEESZ_S10_S11_S18_S1C_S1E_T6_T7_T9_mT8_S1G_bDpT10_ENKUlT_T0_E_clISt17integral_constantIbLb0EES1U_EEDaS1P_S1Q_EUlS1P_E_NS1_11comp_targetILNS1_3genE9ELNS1_11target_archE1100ELNS1_3gpuE3ELNS1_3repE0EEENS1_30default_config_static_selectorELNS0_4arch9wavefront6targetE1EEEvS12_: ; @_ZN7rocprim17ROCPRIM_400000_NS6detail17trampoline_kernelINS0_13select_configILj256ELj13ELNS0_17block_load_methodE3ELS4_3ELS4_3ELNS0_20block_scan_algorithmE0ELj4294967295EEENS1_25partition_config_selectorILNS1_17partition_subalgoE4EjNS0_10empty_typeEbEEZZNS1_14partition_implILS8_4ELb0ES6_15HIP_vector_typeIjLj2EENS0_17counting_iteratorIjlEEPS9_SG_NS0_5tupleIJPjSI_NS0_16reverse_iteratorISI_EEEEENSH_IJSG_SG_SG_EEES9_SI_JZNS1_25segmented_radix_sort_implINS0_14default_configELb0EPKdPdPKlPlN2at6native12_GLOBAL__N_18offset_tEEE10hipError_tPvRmT1_PNSt15iterator_traitsIS12_E10value_typeET2_T3_PNS13_IS18_E10value_typeET4_jRbjT5_S1E_jjP12ihipStream_tbEUljE_ZNSN_ISO_Lb0ESQ_SR_ST_SU_SY_EESZ_S10_S11_S12_S16_S17_S18_S1B_S1C_jS1D_jS1E_S1E_jjS1G_bEUljE0_EEESZ_S10_S11_S18_S1C_S1E_T6_T7_T9_mT8_S1G_bDpT10_ENKUlT_T0_E_clISt17integral_constantIbLb0EES1U_EEDaS1P_S1Q_EUlS1P_E_NS1_11comp_targetILNS1_3genE9ELNS1_11target_archE1100ELNS1_3gpuE3ELNS1_3repE0EEENS1_30default_config_static_selectorELNS0_4arch9wavefront6targetE1EEEvS12_
; %bb.0:
	.section	.rodata,"a",@progbits
	.p2align	6, 0x0
	.amdhsa_kernel _ZN7rocprim17ROCPRIM_400000_NS6detail17trampoline_kernelINS0_13select_configILj256ELj13ELNS0_17block_load_methodE3ELS4_3ELS4_3ELNS0_20block_scan_algorithmE0ELj4294967295EEENS1_25partition_config_selectorILNS1_17partition_subalgoE4EjNS0_10empty_typeEbEEZZNS1_14partition_implILS8_4ELb0ES6_15HIP_vector_typeIjLj2EENS0_17counting_iteratorIjlEEPS9_SG_NS0_5tupleIJPjSI_NS0_16reverse_iteratorISI_EEEEENSH_IJSG_SG_SG_EEES9_SI_JZNS1_25segmented_radix_sort_implINS0_14default_configELb0EPKdPdPKlPlN2at6native12_GLOBAL__N_18offset_tEEE10hipError_tPvRmT1_PNSt15iterator_traitsIS12_E10value_typeET2_T3_PNS13_IS18_E10value_typeET4_jRbjT5_S1E_jjP12ihipStream_tbEUljE_ZNSN_ISO_Lb0ESQ_SR_ST_SU_SY_EESZ_S10_S11_S12_S16_S17_S18_S1B_S1C_jS1D_jS1E_S1E_jjS1G_bEUljE0_EEESZ_S10_S11_S18_S1C_S1E_T6_T7_T9_mT8_S1G_bDpT10_ENKUlT_T0_E_clISt17integral_constantIbLb0EES1U_EEDaS1P_S1Q_EUlS1P_E_NS1_11comp_targetILNS1_3genE9ELNS1_11target_archE1100ELNS1_3gpuE3ELNS1_3repE0EEENS1_30default_config_static_selectorELNS0_4arch9wavefront6targetE1EEEvS12_
		.amdhsa_group_segment_fixed_size 0
		.amdhsa_private_segment_fixed_size 0
		.amdhsa_kernarg_size 176
		.amdhsa_user_sgpr_count 6
		.amdhsa_user_sgpr_private_segment_buffer 1
		.amdhsa_user_sgpr_dispatch_ptr 0
		.amdhsa_user_sgpr_queue_ptr 0
		.amdhsa_user_sgpr_kernarg_segment_ptr 1
		.amdhsa_user_sgpr_dispatch_id 0
		.amdhsa_user_sgpr_flat_scratch_init 0
		.amdhsa_user_sgpr_private_segment_size 0
		.amdhsa_uses_dynamic_stack 0
		.amdhsa_system_sgpr_private_segment_wavefront_offset 0
		.amdhsa_system_sgpr_workgroup_id_x 1
		.amdhsa_system_sgpr_workgroup_id_y 0
		.amdhsa_system_sgpr_workgroup_id_z 0
		.amdhsa_system_sgpr_workgroup_info 0
		.amdhsa_system_vgpr_workitem_id 0
		.amdhsa_next_free_vgpr 1
		.amdhsa_next_free_sgpr 0
		.amdhsa_reserve_vcc 0
		.amdhsa_reserve_flat_scratch 0
		.amdhsa_float_round_mode_32 0
		.amdhsa_float_round_mode_16_64 0
		.amdhsa_float_denorm_mode_32 3
		.amdhsa_float_denorm_mode_16_64 3
		.amdhsa_dx10_clamp 1
		.amdhsa_ieee_mode 1
		.amdhsa_fp16_overflow 0
		.amdhsa_exception_fp_ieee_invalid_op 0
		.amdhsa_exception_fp_denorm_src 0
		.amdhsa_exception_fp_ieee_div_zero 0
		.amdhsa_exception_fp_ieee_overflow 0
		.amdhsa_exception_fp_ieee_underflow 0
		.amdhsa_exception_fp_ieee_inexact 0
		.amdhsa_exception_int_div_zero 0
	.end_amdhsa_kernel
	.section	.text._ZN7rocprim17ROCPRIM_400000_NS6detail17trampoline_kernelINS0_13select_configILj256ELj13ELNS0_17block_load_methodE3ELS4_3ELS4_3ELNS0_20block_scan_algorithmE0ELj4294967295EEENS1_25partition_config_selectorILNS1_17partition_subalgoE4EjNS0_10empty_typeEbEEZZNS1_14partition_implILS8_4ELb0ES6_15HIP_vector_typeIjLj2EENS0_17counting_iteratorIjlEEPS9_SG_NS0_5tupleIJPjSI_NS0_16reverse_iteratorISI_EEEEENSH_IJSG_SG_SG_EEES9_SI_JZNS1_25segmented_radix_sort_implINS0_14default_configELb0EPKdPdPKlPlN2at6native12_GLOBAL__N_18offset_tEEE10hipError_tPvRmT1_PNSt15iterator_traitsIS12_E10value_typeET2_T3_PNS13_IS18_E10value_typeET4_jRbjT5_S1E_jjP12ihipStream_tbEUljE_ZNSN_ISO_Lb0ESQ_SR_ST_SU_SY_EESZ_S10_S11_S12_S16_S17_S18_S1B_S1C_jS1D_jS1E_S1E_jjS1G_bEUljE0_EEESZ_S10_S11_S18_S1C_S1E_T6_T7_T9_mT8_S1G_bDpT10_ENKUlT_T0_E_clISt17integral_constantIbLb0EES1U_EEDaS1P_S1Q_EUlS1P_E_NS1_11comp_targetILNS1_3genE9ELNS1_11target_archE1100ELNS1_3gpuE3ELNS1_3repE0EEENS1_30default_config_static_selectorELNS0_4arch9wavefront6targetE1EEEvS12_,"axG",@progbits,_ZN7rocprim17ROCPRIM_400000_NS6detail17trampoline_kernelINS0_13select_configILj256ELj13ELNS0_17block_load_methodE3ELS4_3ELS4_3ELNS0_20block_scan_algorithmE0ELj4294967295EEENS1_25partition_config_selectorILNS1_17partition_subalgoE4EjNS0_10empty_typeEbEEZZNS1_14partition_implILS8_4ELb0ES6_15HIP_vector_typeIjLj2EENS0_17counting_iteratorIjlEEPS9_SG_NS0_5tupleIJPjSI_NS0_16reverse_iteratorISI_EEEEENSH_IJSG_SG_SG_EEES9_SI_JZNS1_25segmented_radix_sort_implINS0_14default_configELb0EPKdPdPKlPlN2at6native12_GLOBAL__N_18offset_tEEE10hipError_tPvRmT1_PNSt15iterator_traitsIS12_E10value_typeET2_T3_PNS13_IS18_E10value_typeET4_jRbjT5_S1E_jjP12ihipStream_tbEUljE_ZNSN_ISO_Lb0ESQ_SR_ST_SU_SY_EESZ_S10_S11_S12_S16_S17_S18_S1B_S1C_jS1D_jS1E_S1E_jjS1G_bEUljE0_EEESZ_S10_S11_S18_S1C_S1E_T6_T7_T9_mT8_S1G_bDpT10_ENKUlT_T0_E_clISt17integral_constantIbLb0EES1U_EEDaS1P_S1Q_EUlS1P_E_NS1_11comp_targetILNS1_3genE9ELNS1_11target_archE1100ELNS1_3gpuE3ELNS1_3repE0EEENS1_30default_config_static_selectorELNS0_4arch9wavefront6targetE1EEEvS12_,comdat
.Lfunc_end1163:
	.size	_ZN7rocprim17ROCPRIM_400000_NS6detail17trampoline_kernelINS0_13select_configILj256ELj13ELNS0_17block_load_methodE3ELS4_3ELS4_3ELNS0_20block_scan_algorithmE0ELj4294967295EEENS1_25partition_config_selectorILNS1_17partition_subalgoE4EjNS0_10empty_typeEbEEZZNS1_14partition_implILS8_4ELb0ES6_15HIP_vector_typeIjLj2EENS0_17counting_iteratorIjlEEPS9_SG_NS0_5tupleIJPjSI_NS0_16reverse_iteratorISI_EEEEENSH_IJSG_SG_SG_EEES9_SI_JZNS1_25segmented_radix_sort_implINS0_14default_configELb0EPKdPdPKlPlN2at6native12_GLOBAL__N_18offset_tEEE10hipError_tPvRmT1_PNSt15iterator_traitsIS12_E10value_typeET2_T3_PNS13_IS18_E10value_typeET4_jRbjT5_S1E_jjP12ihipStream_tbEUljE_ZNSN_ISO_Lb0ESQ_SR_ST_SU_SY_EESZ_S10_S11_S12_S16_S17_S18_S1B_S1C_jS1D_jS1E_S1E_jjS1G_bEUljE0_EEESZ_S10_S11_S18_S1C_S1E_T6_T7_T9_mT8_S1G_bDpT10_ENKUlT_T0_E_clISt17integral_constantIbLb0EES1U_EEDaS1P_S1Q_EUlS1P_E_NS1_11comp_targetILNS1_3genE9ELNS1_11target_archE1100ELNS1_3gpuE3ELNS1_3repE0EEENS1_30default_config_static_selectorELNS0_4arch9wavefront6targetE1EEEvS12_, .Lfunc_end1163-_ZN7rocprim17ROCPRIM_400000_NS6detail17trampoline_kernelINS0_13select_configILj256ELj13ELNS0_17block_load_methodE3ELS4_3ELS4_3ELNS0_20block_scan_algorithmE0ELj4294967295EEENS1_25partition_config_selectorILNS1_17partition_subalgoE4EjNS0_10empty_typeEbEEZZNS1_14partition_implILS8_4ELb0ES6_15HIP_vector_typeIjLj2EENS0_17counting_iteratorIjlEEPS9_SG_NS0_5tupleIJPjSI_NS0_16reverse_iteratorISI_EEEEENSH_IJSG_SG_SG_EEES9_SI_JZNS1_25segmented_radix_sort_implINS0_14default_configELb0EPKdPdPKlPlN2at6native12_GLOBAL__N_18offset_tEEE10hipError_tPvRmT1_PNSt15iterator_traitsIS12_E10value_typeET2_T3_PNS13_IS18_E10value_typeET4_jRbjT5_S1E_jjP12ihipStream_tbEUljE_ZNSN_ISO_Lb0ESQ_SR_ST_SU_SY_EESZ_S10_S11_S12_S16_S17_S18_S1B_S1C_jS1D_jS1E_S1E_jjS1G_bEUljE0_EEESZ_S10_S11_S18_S1C_S1E_T6_T7_T9_mT8_S1G_bDpT10_ENKUlT_T0_E_clISt17integral_constantIbLb0EES1U_EEDaS1P_S1Q_EUlS1P_E_NS1_11comp_targetILNS1_3genE9ELNS1_11target_archE1100ELNS1_3gpuE3ELNS1_3repE0EEENS1_30default_config_static_selectorELNS0_4arch9wavefront6targetE1EEEvS12_
                                        ; -- End function
	.set _ZN7rocprim17ROCPRIM_400000_NS6detail17trampoline_kernelINS0_13select_configILj256ELj13ELNS0_17block_load_methodE3ELS4_3ELS4_3ELNS0_20block_scan_algorithmE0ELj4294967295EEENS1_25partition_config_selectorILNS1_17partition_subalgoE4EjNS0_10empty_typeEbEEZZNS1_14partition_implILS8_4ELb0ES6_15HIP_vector_typeIjLj2EENS0_17counting_iteratorIjlEEPS9_SG_NS0_5tupleIJPjSI_NS0_16reverse_iteratorISI_EEEEENSH_IJSG_SG_SG_EEES9_SI_JZNS1_25segmented_radix_sort_implINS0_14default_configELb0EPKdPdPKlPlN2at6native12_GLOBAL__N_18offset_tEEE10hipError_tPvRmT1_PNSt15iterator_traitsIS12_E10value_typeET2_T3_PNS13_IS18_E10value_typeET4_jRbjT5_S1E_jjP12ihipStream_tbEUljE_ZNSN_ISO_Lb0ESQ_SR_ST_SU_SY_EESZ_S10_S11_S12_S16_S17_S18_S1B_S1C_jS1D_jS1E_S1E_jjS1G_bEUljE0_EEESZ_S10_S11_S18_S1C_S1E_T6_T7_T9_mT8_S1G_bDpT10_ENKUlT_T0_E_clISt17integral_constantIbLb0EES1U_EEDaS1P_S1Q_EUlS1P_E_NS1_11comp_targetILNS1_3genE9ELNS1_11target_archE1100ELNS1_3gpuE3ELNS1_3repE0EEENS1_30default_config_static_selectorELNS0_4arch9wavefront6targetE1EEEvS12_.num_vgpr, 0
	.set _ZN7rocprim17ROCPRIM_400000_NS6detail17trampoline_kernelINS0_13select_configILj256ELj13ELNS0_17block_load_methodE3ELS4_3ELS4_3ELNS0_20block_scan_algorithmE0ELj4294967295EEENS1_25partition_config_selectorILNS1_17partition_subalgoE4EjNS0_10empty_typeEbEEZZNS1_14partition_implILS8_4ELb0ES6_15HIP_vector_typeIjLj2EENS0_17counting_iteratorIjlEEPS9_SG_NS0_5tupleIJPjSI_NS0_16reverse_iteratorISI_EEEEENSH_IJSG_SG_SG_EEES9_SI_JZNS1_25segmented_radix_sort_implINS0_14default_configELb0EPKdPdPKlPlN2at6native12_GLOBAL__N_18offset_tEEE10hipError_tPvRmT1_PNSt15iterator_traitsIS12_E10value_typeET2_T3_PNS13_IS18_E10value_typeET4_jRbjT5_S1E_jjP12ihipStream_tbEUljE_ZNSN_ISO_Lb0ESQ_SR_ST_SU_SY_EESZ_S10_S11_S12_S16_S17_S18_S1B_S1C_jS1D_jS1E_S1E_jjS1G_bEUljE0_EEESZ_S10_S11_S18_S1C_S1E_T6_T7_T9_mT8_S1G_bDpT10_ENKUlT_T0_E_clISt17integral_constantIbLb0EES1U_EEDaS1P_S1Q_EUlS1P_E_NS1_11comp_targetILNS1_3genE9ELNS1_11target_archE1100ELNS1_3gpuE3ELNS1_3repE0EEENS1_30default_config_static_selectorELNS0_4arch9wavefront6targetE1EEEvS12_.num_agpr, 0
	.set _ZN7rocprim17ROCPRIM_400000_NS6detail17trampoline_kernelINS0_13select_configILj256ELj13ELNS0_17block_load_methodE3ELS4_3ELS4_3ELNS0_20block_scan_algorithmE0ELj4294967295EEENS1_25partition_config_selectorILNS1_17partition_subalgoE4EjNS0_10empty_typeEbEEZZNS1_14partition_implILS8_4ELb0ES6_15HIP_vector_typeIjLj2EENS0_17counting_iteratorIjlEEPS9_SG_NS0_5tupleIJPjSI_NS0_16reverse_iteratorISI_EEEEENSH_IJSG_SG_SG_EEES9_SI_JZNS1_25segmented_radix_sort_implINS0_14default_configELb0EPKdPdPKlPlN2at6native12_GLOBAL__N_18offset_tEEE10hipError_tPvRmT1_PNSt15iterator_traitsIS12_E10value_typeET2_T3_PNS13_IS18_E10value_typeET4_jRbjT5_S1E_jjP12ihipStream_tbEUljE_ZNSN_ISO_Lb0ESQ_SR_ST_SU_SY_EESZ_S10_S11_S12_S16_S17_S18_S1B_S1C_jS1D_jS1E_S1E_jjS1G_bEUljE0_EEESZ_S10_S11_S18_S1C_S1E_T6_T7_T9_mT8_S1G_bDpT10_ENKUlT_T0_E_clISt17integral_constantIbLb0EES1U_EEDaS1P_S1Q_EUlS1P_E_NS1_11comp_targetILNS1_3genE9ELNS1_11target_archE1100ELNS1_3gpuE3ELNS1_3repE0EEENS1_30default_config_static_selectorELNS0_4arch9wavefront6targetE1EEEvS12_.numbered_sgpr, 0
	.set _ZN7rocprim17ROCPRIM_400000_NS6detail17trampoline_kernelINS0_13select_configILj256ELj13ELNS0_17block_load_methodE3ELS4_3ELS4_3ELNS0_20block_scan_algorithmE0ELj4294967295EEENS1_25partition_config_selectorILNS1_17partition_subalgoE4EjNS0_10empty_typeEbEEZZNS1_14partition_implILS8_4ELb0ES6_15HIP_vector_typeIjLj2EENS0_17counting_iteratorIjlEEPS9_SG_NS0_5tupleIJPjSI_NS0_16reverse_iteratorISI_EEEEENSH_IJSG_SG_SG_EEES9_SI_JZNS1_25segmented_radix_sort_implINS0_14default_configELb0EPKdPdPKlPlN2at6native12_GLOBAL__N_18offset_tEEE10hipError_tPvRmT1_PNSt15iterator_traitsIS12_E10value_typeET2_T3_PNS13_IS18_E10value_typeET4_jRbjT5_S1E_jjP12ihipStream_tbEUljE_ZNSN_ISO_Lb0ESQ_SR_ST_SU_SY_EESZ_S10_S11_S12_S16_S17_S18_S1B_S1C_jS1D_jS1E_S1E_jjS1G_bEUljE0_EEESZ_S10_S11_S18_S1C_S1E_T6_T7_T9_mT8_S1G_bDpT10_ENKUlT_T0_E_clISt17integral_constantIbLb0EES1U_EEDaS1P_S1Q_EUlS1P_E_NS1_11comp_targetILNS1_3genE9ELNS1_11target_archE1100ELNS1_3gpuE3ELNS1_3repE0EEENS1_30default_config_static_selectorELNS0_4arch9wavefront6targetE1EEEvS12_.num_named_barrier, 0
	.set _ZN7rocprim17ROCPRIM_400000_NS6detail17trampoline_kernelINS0_13select_configILj256ELj13ELNS0_17block_load_methodE3ELS4_3ELS4_3ELNS0_20block_scan_algorithmE0ELj4294967295EEENS1_25partition_config_selectorILNS1_17partition_subalgoE4EjNS0_10empty_typeEbEEZZNS1_14partition_implILS8_4ELb0ES6_15HIP_vector_typeIjLj2EENS0_17counting_iteratorIjlEEPS9_SG_NS0_5tupleIJPjSI_NS0_16reverse_iteratorISI_EEEEENSH_IJSG_SG_SG_EEES9_SI_JZNS1_25segmented_radix_sort_implINS0_14default_configELb0EPKdPdPKlPlN2at6native12_GLOBAL__N_18offset_tEEE10hipError_tPvRmT1_PNSt15iterator_traitsIS12_E10value_typeET2_T3_PNS13_IS18_E10value_typeET4_jRbjT5_S1E_jjP12ihipStream_tbEUljE_ZNSN_ISO_Lb0ESQ_SR_ST_SU_SY_EESZ_S10_S11_S12_S16_S17_S18_S1B_S1C_jS1D_jS1E_S1E_jjS1G_bEUljE0_EEESZ_S10_S11_S18_S1C_S1E_T6_T7_T9_mT8_S1G_bDpT10_ENKUlT_T0_E_clISt17integral_constantIbLb0EES1U_EEDaS1P_S1Q_EUlS1P_E_NS1_11comp_targetILNS1_3genE9ELNS1_11target_archE1100ELNS1_3gpuE3ELNS1_3repE0EEENS1_30default_config_static_selectorELNS0_4arch9wavefront6targetE1EEEvS12_.private_seg_size, 0
	.set _ZN7rocprim17ROCPRIM_400000_NS6detail17trampoline_kernelINS0_13select_configILj256ELj13ELNS0_17block_load_methodE3ELS4_3ELS4_3ELNS0_20block_scan_algorithmE0ELj4294967295EEENS1_25partition_config_selectorILNS1_17partition_subalgoE4EjNS0_10empty_typeEbEEZZNS1_14partition_implILS8_4ELb0ES6_15HIP_vector_typeIjLj2EENS0_17counting_iteratorIjlEEPS9_SG_NS0_5tupleIJPjSI_NS0_16reverse_iteratorISI_EEEEENSH_IJSG_SG_SG_EEES9_SI_JZNS1_25segmented_radix_sort_implINS0_14default_configELb0EPKdPdPKlPlN2at6native12_GLOBAL__N_18offset_tEEE10hipError_tPvRmT1_PNSt15iterator_traitsIS12_E10value_typeET2_T3_PNS13_IS18_E10value_typeET4_jRbjT5_S1E_jjP12ihipStream_tbEUljE_ZNSN_ISO_Lb0ESQ_SR_ST_SU_SY_EESZ_S10_S11_S12_S16_S17_S18_S1B_S1C_jS1D_jS1E_S1E_jjS1G_bEUljE0_EEESZ_S10_S11_S18_S1C_S1E_T6_T7_T9_mT8_S1G_bDpT10_ENKUlT_T0_E_clISt17integral_constantIbLb0EES1U_EEDaS1P_S1Q_EUlS1P_E_NS1_11comp_targetILNS1_3genE9ELNS1_11target_archE1100ELNS1_3gpuE3ELNS1_3repE0EEENS1_30default_config_static_selectorELNS0_4arch9wavefront6targetE1EEEvS12_.uses_vcc, 0
	.set _ZN7rocprim17ROCPRIM_400000_NS6detail17trampoline_kernelINS0_13select_configILj256ELj13ELNS0_17block_load_methodE3ELS4_3ELS4_3ELNS0_20block_scan_algorithmE0ELj4294967295EEENS1_25partition_config_selectorILNS1_17partition_subalgoE4EjNS0_10empty_typeEbEEZZNS1_14partition_implILS8_4ELb0ES6_15HIP_vector_typeIjLj2EENS0_17counting_iteratorIjlEEPS9_SG_NS0_5tupleIJPjSI_NS0_16reverse_iteratorISI_EEEEENSH_IJSG_SG_SG_EEES9_SI_JZNS1_25segmented_radix_sort_implINS0_14default_configELb0EPKdPdPKlPlN2at6native12_GLOBAL__N_18offset_tEEE10hipError_tPvRmT1_PNSt15iterator_traitsIS12_E10value_typeET2_T3_PNS13_IS18_E10value_typeET4_jRbjT5_S1E_jjP12ihipStream_tbEUljE_ZNSN_ISO_Lb0ESQ_SR_ST_SU_SY_EESZ_S10_S11_S12_S16_S17_S18_S1B_S1C_jS1D_jS1E_S1E_jjS1G_bEUljE0_EEESZ_S10_S11_S18_S1C_S1E_T6_T7_T9_mT8_S1G_bDpT10_ENKUlT_T0_E_clISt17integral_constantIbLb0EES1U_EEDaS1P_S1Q_EUlS1P_E_NS1_11comp_targetILNS1_3genE9ELNS1_11target_archE1100ELNS1_3gpuE3ELNS1_3repE0EEENS1_30default_config_static_selectorELNS0_4arch9wavefront6targetE1EEEvS12_.uses_flat_scratch, 0
	.set _ZN7rocprim17ROCPRIM_400000_NS6detail17trampoline_kernelINS0_13select_configILj256ELj13ELNS0_17block_load_methodE3ELS4_3ELS4_3ELNS0_20block_scan_algorithmE0ELj4294967295EEENS1_25partition_config_selectorILNS1_17partition_subalgoE4EjNS0_10empty_typeEbEEZZNS1_14partition_implILS8_4ELb0ES6_15HIP_vector_typeIjLj2EENS0_17counting_iteratorIjlEEPS9_SG_NS0_5tupleIJPjSI_NS0_16reverse_iteratorISI_EEEEENSH_IJSG_SG_SG_EEES9_SI_JZNS1_25segmented_radix_sort_implINS0_14default_configELb0EPKdPdPKlPlN2at6native12_GLOBAL__N_18offset_tEEE10hipError_tPvRmT1_PNSt15iterator_traitsIS12_E10value_typeET2_T3_PNS13_IS18_E10value_typeET4_jRbjT5_S1E_jjP12ihipStream_tbEUljE_ZNSN_ISO_Lb0ESQ_SR_ST_SU_SY_EESZ_S10_S11_S12_S16_S17_S18_S1B_S1C_jS1D_jS1E_S1E_jjS1G_bEUljE0_EEESZ_S10_S11_S18_S1C_S1E_T6_T7_T9_mT8_S1G_bDpT10_ENKUlT_T0_E_clISt17integral_constantIbLb0EES1U_EEDaS1P_S1Q_EUlS1P_E_NS1_11comp_targetILNS1_3genE9ELNS1_11target_archE1100ELNS1_3gpuE3ELNS1_3repE0EEENS1_30default_config_static_selectorELNS0_4arch9wavefront6targetE1EEEvS12_.has_dyn_sized_stack, 0
	.set _ZN7rocprim17ROCPRIM_400000_NS6detail17trampoline_kernelINS0_13select_configILj256ELj13ELNS0_17block_load_methodE3ELS4_3ELS4_3ELNS0_20block_scan_algorithmE0ELj4294967295EEENS1_25partition_config_selectorILNS1_17partition_subalgoE4EjNS0_10empty_typeEbEEZZNS1_14partition_implILS8_4ELb0ES6_15HIP_vector_typeIjLj2EENS0_17counting_iteratorIjlEEPS9_SG_NS0_5tupleIJPjSI_NS0_16reverse_iteratorISI_EEEEENSH_IJSG_SG_SG_EEES9_SI_JZNS1_25segmented_radix_sort_implINS0_14default_configELb0EPKdPdPKlPlN2at6native12_GLOBAL__N_18offset_tEEE10hipError_tPvRmT1_PNSt15iterator_traitsIS12_E10value_typeET2_T3_PNS13_IS18_E10value_typeET4_jRbjT5_S1E_jjP12ihipStream_tbEUljE_ZNSN_ISO_Lb0ESQ_SR_ST_SU_SY_EESZ_S10_S11_S12_S16_S17_S18_S1B_S1C_jS1D_jS1E_S1E_jjS1G_bEUljE0_EEESZ_S10_S11_S18_S1C_S1E_T6_T7_T9_mT8_S1G_bDpT10_ENKUlT_T0_E_clISt17integral_constantIbLb0EES1U_EEDaS1P_S1Q_EUlS1P_E_NS1_11comp_targetILNS1_3genE9ELNS1_11target_archE1100ELNS1_3gpuE3ELNS1_3repE0EEENS1_30default_config_static_selectorELNS0_4arch9wavefront6targetE1EEEvS12_.has_recursion, 0
	.set _ZN7rocprim17ROCPRIM_400000_NS6detail17trampoline_kernelINS0_13select_configILj256ELj13ELNS0_17block_load_methodE3ELS4_3ELS4_3ELNS0_20block_scan_algorithmE0ELj4294967295EEENS1_25partition_config_selectorILNS1_17partition_subalgoE4EjNS0_10empty_typeEbEEZZNS1_14partition_implILS8_4ELb0ES6_15HIP_vector_typeIjLj2EENS0_17counting_iteratorIjlEEPS9_SG_NS0_5tupleIJPjSI_NS0_16reverse_iteratorISI_EEEEENSH_IJSG_SG_SG_EEES9_SI_JZNS1_25segmented_radix_sort_implINS0_14default_configELb0EPKdPdPKlPlN2at6native12_GLOBAL__N_18offset_tEEE10hipError_tPvRmT1_PNSt15iterator_traitsIS12_E10value_typeET2_T3_PNS13_IS18_E10value_typeET4_jRbjT5_S1E_jjP12ihipStream_tbEUljE_ZNSN_ISO_Lb0ESQ_SR_ST_SU_SY_EESZ_S10_S11_S12_S16_S17_S18_S1B_S1C_jS1D_jS1E_S1E_jjS1G_bEUljE0_EEESZ_S10_S11_S18_S1C_S1E_T6_T7_T9_mT8_S1G_bDpT10_ENKUlT_T0_E_clISt17integral_constantIbLb0EES1U_EEDaS1P_S1Q_EUlS1P_E_NS1_11comp_targetILNS1_3genE9ELNS1_11target_archE1100ELNS1_3gpuE3ELNS1_3repE0EEENS1_30default_config_static_selectorELNS0_4arch9wavefront6targetE1EEEvS12_.has_indirect_call, 0
	.section	.AMDGPU.csdata,"",@progbits
; Kernel info:
; codeLenInByte = 0
; TotalNumSgprs: 4
; NumVgprs: 0
; ScratchSize: 0
; MemoryBound: 0
; FloatMode: 240
; IeeeMode: 1
; LDSByteSize: 0 bytes/workgroup (compile time only)
; SGPRBlocks: 0
; VGPRBlocks: 0
; NumSGPRsForWavesPerEU: 4
; NumVGPRsForWavesPerEU: 1
; Occupancy: 10
; WaveLimiterHint : 0
; COMPUTE_PGM_RSRC2:SCRATCH_EN: 0
; COMPUTE_PGM_RSRC2:USER_SGPR: 6
; COMPUTE_PGM_RSRC2:TRAP_HANDLER: 0
; COMPUTE_PGM_RSRC2:TGID_X_EN: 1
; COMPUTE_PGM_RSRC2:TGID_Y_EN: 0
; COMPUTE_PGM_RSRC2:TGID_Z_EN: 0
; COMPUTE_PGM_RSRC2:TIDIG_COMP_CNT: 0
	.section	.text._ZN7rocprim17ROCPRIM_400000_NS6detail17trampoline_kernelINS0_13select_configILj256ELj13ELNS0_17block_load_methodE3ELS4_3ELS4_3ELNS0_20block_scan_algorithmE0ELj4294967295EEENS1_25partition_config_selectorILNS1_17partition_subalgoE4EjNS0_10empty_typeEbEEZZNS1_14partition_implILS8_4ELb0ES6_15HIP_vector_typeIjLj2EENS0_17counting_iteratorIjlEEPS9_SG_NS0_5tupleIJPjSI_NS0_16reverse_iteratorISI_EEEEENSH_IJSG_SG_SG_EEES9_SI_JZNS1_25segmented_radix_sort_implINS0_14default_configELb0EPKdPdPKlPlN2at6native12_GLOBAL__N_18offset_tEEE10hipError_tPvRmT1_PNSt15iterator_traitsIS12_E10value_typeET2_T3_PNS13_IS18_E10value_typeET4_jRbjT5_S1E_jjP12ihipStream_tbEUljE_ZNSN_ISO_Lb0ESQ_SR_ST_SU_SY_EESZ_S10_S11_S12_S16_S17_S18_S1B_S1C_jS1D_jS1E_S1E_jjS1G_bEUljE0_EEESZ_S10_S11_S18_S1C_S1E_T6_T7_T9_mT8_S1G_bDpT10_ENKUlT_T0_E_clISt17integral_constantIbLb0EES1U_EEDaS1P_S1Q_EUlS1P_E_NS1_11comp_targetILNS1_3genE8ELNS1_11target_archE1030ELNS1_3gpuE2ELNS1_3repE0EEENS1_30default_config_static_selectorELNS0_4arch9wavefront6targetE1EEEvS12_,"axG",@progbits,_ZN7rocprim17ROCPRIM_400000_NS6detail17trampoline_kernelINS0_13select_configILj256ELj13ELNS0_17block_load_methodE3ELS4_3ELS4_3ELNS0_20block_scan_algorithmE0ELj4294967295EEENS1_25partition_config_selectorILNS1_17partition_subalgoE4EjNS0_10empty_typeEbEEZZNS1_14partition_implILS8_4ELb0ES6_15HIP_vector_typeIjLj2EENS0_17counting_iteratorIjlEEPS9_SG_NS0_5tupleIJPjSI_NS0_16reverse_iteratorISI_EEEEENSH_IJSG_SG_SG_EEES9_SI_JZNS1_25segmented_radix_sort_implINS0_14default_configELb0EPKdPdPKlPlN2at6native12_GLOBAL__N_18offset_tEEE10hipError_tPvRmT1_PNSt15iterator_traitsIS12_E10value_typeET2_T3_PNS13_IS18_E10value_typeET4_jRbjT5_S1E_jjP12ihipStream_tbEUljE_ZNSN_ISO_Lb0ESQ_SR_ST_SU_SY_EESZ_S10_S11_S12_S16_S17_S18_S1B_S1C_jS1D_jS1E_S1E_jjS1G_bEUljE0_EEESZ_S10_S11_S18_S1C_S1E_T6_T7_T9_mT8_S1G_bDpT10_ENKUlT_T0_E_clISt17integral_constantIbLb0EES1U_EEDaS1P_S1Q_EUlS1P_E_NS1_11comp_targetILNS1_3genE8ELNS1_11target_archE1030ELNS1_3gpuE2ELNS1_3repE0EEENS1_30default_config_static_selectorELNS0_4arch9wavefront6targetE1EEEvS12_,comdat
	.globl	_ZN7rocprim17ROCPRIM_400000_NS6detail17trampoline_kernelINS0_13select_configILj256ELj13ELNS0_17block_load_methodE3ELS4_3ELS4_3ELNS0_20block_scan_algorithmE0ELj4294967295EEENS1_25partition_config_selectorILNS1_17partition_subalgoE4EjNS0_10empty_typeEbEEZZNS1_14partition_implILS8_4ELb0ES6_15HIP_vector_typeIjLj2EENS0_17counting_iteratorIjlEEPS9_SG_NS0_5tupleIJPjSI_NS0_16reverse_iteratorISI_EEEEENSH_IJSG_SG_SG_EEES9_SI_JZNS1_25segmented_radix_sort_implINS0_14default_configELb0EPKdPdPKlPlN2at6native12_GLOBAL__N_18offset_tEEE10hipError_tPvRmT1_PNSt15iterator_traitsIS12_E10value_typeET2_T3_PNS13_IS18_E10value_typeET4_jRbjT5_S1E_jjP12ihipStream_tbEUljE_ZNSN_ISO_Lb0ESQ_SR_ST_SU_SY_EESZ_S10_S11_S12_S16_S17_S18_S1B_S1C_jS1D_jS1E_S1E_jjS1G_bEUljE0_EEESZ_S10_S11_S18_S1C_S1E_T6_T7_T9_mT8_S1G_bDpT10_ENKUlT_T0_E_clISt17integral_constantIbLb0EES1U_EEDaS1P_S1Q_EUlS1P_E_NS1_11comp_targetILNS1_3genE8ELNS1_11target_archE1030ELNS1_3gpuE2ELNS1_3repE0EEENS1_30default_config_static_selectorELNS0_4arch9wavefront6targetE1EEEvS12_ ; -- Begin function _ZN7rocprim17ROCPRIM_400000_NS6detail17trampoline_kernelINS0_13select_configILj256ELj13ELNS0_17block_load_methodE3ELS4_3ELS4_3ELNS0_20block_scan_algorithmE0ELj4294967295EEENS1_25partition_config_selectorILNS1_17partition_subalgoE4EjNS0_10empty_typeEbEEZZNS1_14partition_implILS8_4ELb0ES6_15HIP_vector_typeIjLj2EENS0_17counting_iteratorIjlEEPS9_SG_NS0_5tupleIJPjSI_NS0_16reverse_iteratorISI_EEEEENSH_IJSG_SG_SG_EEES9_SI_JZNS1_25segmented_radix_sort_implINS0_14default_configELb0EPKdPdPKlPlN2at6native12_GLOBAL__N_18offset_tEEE10hipError_tPvRmT1_PNSt15iterator_traitsIS12_E10value_typeET2_T3_PNS13_IS18_E10value_typeET4_jRbjT5_S1E_jjP12ihipStream_tbEUljE_ZNSN_ISO_Lb0ESQ_SR_ST_SU_SY_EESZ_S10_S11_S12_S16_S17_S18_S1B_S1C_jS1D_jS1E_S1E_jjS1G_bEUljE0_EEESZ_S10_S11_S18_S1C_S1E_T6_T7_T9_mT8_S1G_bDpT10_ENKUlT_T0_E_clISt17integral_constantIbLb0EES1U_EEDaS1P_S1Q_EUlS1P_E_NS1_11comp_targetILNS1_3genE8ELNS1_11target_archE1030ELNS1_3gpuE2ELNS1_3repE0EEENS1_30default_config_static_selectorELNS0_4arch9wavefront6targetE1EEEvS12_
	.p2align	8
	.type	_ZN7rocprim17ROCPRIM_400000_NS6detail17trampoline_kernelINS0_13select_configILj256ELj13ELNS0_17block_load_methodE3ELS4_3ELS4_3ELNS0_20block_scan_algorithmE0ELj4294967295EEENS1_25partition_config_selectorILNS1_17partition_subalgoE4EjNS0_10empty_typeEbEEZZNS1_14partition_implILS8_4ELb0ES6_15HIP_vector_typeIjLj2EENS0_17counting_iteratorIjlEEPS9_SG_NS0_5tupleIJPjSI_NS0_16reverse_iteratorISI_EEEEENSH_IJSG_SG_SG_EEES9_SI_JZNS1_25segmented_radix_sort_implINS0_14default_configELb0EPKdPdPKlPlN2at6native12_GLOBAL__N_18offset_tEEE10hipError_tPvRmT1_PNSt15iterator_traitsIS12_E10value_typeET2_T3_PNS13_IS18_E10value_typeET4_jRbjT5_S1E_jjP12ihipStream_tbEUljE_ZNSN_ISO_Lb0ESQ_SR_ST_SU_SY_EESZ_S10_S11_S12_S16_S17_S18_S1B_S1C_jS1D_jS1E_S1E_jjS1G_bEUljE0_EEESZ_S10_S11_S18_S1C_S1E_T6_T7_T9_mT8_S1G_bDpT10_ENKUlT_T0_E_clISt17integral_constantIbLb0EES1U_EEDaS1P_S1Q_EUlS1P_E_NS1_11comp_targetILNS1_3genE8ELNS1_11target_archE1030ELNS1_3gpuE2ELNS1_3repE0EEENS1_30default_config_static_selectorELNS0_4arch9wavefront6targetE1EEEvS12_,@function
_ZN7rocprim17ROCPRIM_400000_NS6detail17trampoline_kernelINS0_13select_configILj256ELj13ELNS0_17block_load_methodE3ELS4_3ELS4_3ELNS0_20block_scan_algorithmE0ELj4294967295EEENS1_25partition_config_selectorILNS1_17partition_subalgoE4EjNS0_10empty_typeEbEEZZNS1_14partition_implILS8_4ELb0ES6_15HIP_vector_typeIjLj2EENS0_17counting_iteratorIjlEEPS9_SG_NS0_5tupleIJPjSI_NS0_16reverse_iteratorISI_EEEEENSH_IJSG_SG_SG_EEES9_SI_JZNS1_25segmented_radix_sort_implINS0_14default_configELb0EPKdPdPKlPlN2at6native12_GLOBAL__N_18offset_tEEE10hipError_tPvRmT1_PNSt15iterator_traitsIS12_E10value_typeET2_T3_PNS13_IS18_E10value_typeET4_jRbjT5_S1E_jjP12ihipStream_tbEUljE_ZNSN_ISO_Lb0ESQ_SR_ST_SU_SY_EESZ_S10_S11_S12_S16_S17_S18_S1B_S1C_jS1D_jS1E_S1E_jjS1G_bEUljE0_EEESZ_S10_S11_S18_S1C_S1E_T6_T7_T9_mT8_S1G_bDpT10_ENKUlT_T0_E_clISt17integral_constantIbLb0EES1U_EEDaS1P_S1Q_EUlS1P_E_NS1_11comp_targetILNS1_3genE8ELNS1_11target_archE1030ELNS1_3gpuE2ELNS1_3repE0EEENS1_30default_config_static_selectorELNS0_4arch9wavefront6targetE1EEEvS12_: ; @_ZN7rocprim17ROCPRIM_400000_NS6detail17trampoline_kernelINS0_13select_configILj256ELj13ELNS0_17block_load_methodE3ELS4_3ELS4_3ELNS0_20block_scan_algorithmE0ELj4294967295EEENS1_25partition_config_selectorILNS1_17partition_subalgoE4EjNS0_10empty_typeEbEEZZNS1_14partition_implILS8_4ELb0ES6_15HIP_vector_typeIjLj2EENS0_17counting_iteratorIjlEEPS9_SG_NS0_5tupleIJPjSI_NS0_16reverse_iteratorISI_EEEEENSH_IJSG_SG_SG_EEES9_SI_JZNS1_25segmented_radix_sort_implINS0_14default_configELb0EPKdPdPKlPlN2at6native12_GLOBAL__N_18offset_tEEE10hipError_tPvRmT1_PNSt15iterator_traitsIS12_E10value_typeET2_T3_PNS13_IS18_E10value_typeET4_jRbjT5_S1E_jjP12ihipStream_tbEUljE_ZNSN_ISO_Lb0ESQ_SR_ST_SU_SY_EESZ_S10_S11_S12_S16_S17_S18_S1B_S1C_jS1D_jS1E_S1E_jjS1G_bEUljE0_EEESZ_S10_S11_S18_S1C_S1E_T6_T7_T9_mT8_S1G_bDpT10_ENKUlT_T0_E_clISt17integral_constantIbLb0EES1U_EEDaS1P_S1Q_EUlS1P_E_NS1_11comp_targetILNS1_3genE8ELNS1_11target_archE1030ELNS1_3gpuE2ELNS1_3repE0EEENS1_30default_config_static_selectorELNS0_4arch9wavefront6targetE1EEEvS12_
; %bb.0:
	.section	.rodata,"a",@progbits
	.p2align	6, 0x0
	.amdhsa_kernel _ZN7rocprim17ROCPRIM_400000_NS6detail17trampoline_kernelINS0_13select_configILj256ELj13ELNS0_17block_load_methodE3ELS4_3ELS4_3ELNS0_20block_scan_algorithmE0ELj4294967295EEENS1_25partition_config_selectorILNS1_17partition_subalgoE4EjNS0_10empty_typeEbEEZZNS1_14partition_implILS8_4ELb0ES6_15HIP_vector_typeIjLj2EENS0_17counting_iteratorIjlEEPS9_SG_NS0_5tupleIJPjSI_NS0_16reverse_iteratorISI_EEEEENSH_IJSG_SG_SG_EEES9_SI_JZNS1_25segmented_radix_sort_implINS0_14default_configELb0EPKdPdPKlPlN2at6native12_GLOBAL__N_18offset_tEEE10hipError_tPvRmT1_PNSt15iterator_traitsIS12_E10value_typeET2_T3_PNS13_IS18_E10value_typeET4_jRbjT5_S1E_jjP12ihipStream_tbEUljE_ZNSN_ISO_Lb0ESQ_SR_ST_SU_SY_EESZ_S10_S11_S12_S16_S17_S18_S1B_S1C_jS1D_jS1E_S1E_jjS1G_bEUljE0_EEESZ_S10_S11_S18_S1C_S1E_T6_T7_T9_mT8_S1G_bDpT10_ENKUlT_T0_E_clISt17integral_constantIbLb0EES1U_EEDaS1P_S1Q_EUlS1P_E_NS1_11comp_targetILNS1_3genE8ELNS1_11target_archE1030ELNS1_3gpuE2ELNS1_3repE0EEENS1_30default_config_static_selectorELNS0_4arch9wavefront6targetE1EEEvS12_
		.amdhsa_group_segment_fixed_size 0
		.amdhsa_private_segment_fixed_size 0
		.amdhsa_kernarg_size 176
		.amdhsa_user_sgpr_count 6
		.amdhsa_user_sgpr_private_segment_buffer 1
		.amdhsa_user_sgpr_dispatch_ptr 0
		.amdhsa_user_sgpr_queue_ptr 0
		.amdhsa_user_sgpr_kernarg_segment_ptr 1
		.amdhsa_user_sgpr_dispatch_id 0
		.amdhsa_user_sgpr_flat_scratch_init 0
		.amdhsa_user_sgpr_private_segment_size 0
		.amdhsa_uses_dynamic_stack 0
		.amdhsa_system_sgpr_private_segment_wavefront_offset 0
		.amdhsa_system_sgpr_workgroup_id_x 1
		.amdhsa_system_sgpr_workgroup_id_y 0
		.amdhsa_system_sgpr_workgroup_id_z 0
		.amdhsa_system_sgpr_workgroup_info 0
		.amdhsa_system_vgpr_workitem_id 0
		.amdhsa_next_free_vgpr 1
		.amdhsa_next_free_sgpr 0
		.amdhsa_reserve_vcc 0
		.amdhsa_reserve_flat_scratch 0
		.amdhsa_float_round_mode_32 0
		.amdhsa_float_round_mode_16_64 0
		.amdhsa_float_denorm_mode_32 3
		.amdhsa_float_denorm_mode_16_64 3
		.amdhsa_dx10_clamp 1
		.amdhsa_ieee_mode 1
		.amdhsa_fp16_overflow 0
		.amdhsa_exception_fp_ieee_invalid_op 0
		.amdhsa_exception_fp_denorm_src 0
		.amdhsa_exception_fp_ieee_div_zero 0
		.amdhsa_exception_fp_ieee_overflow 0
		.amdhsa_exception_fp_ieee_underflow 0
		.amdhsa_exception_fp_ieee_inexact 0
		.amdhsa_exception_int_div_zero 0
	.end_amdhsa_kernel
	.section	.text._ZN7rocprim17ROCPRIM_400000_NS6detail17trampoline_kernelINS0_13select_configILj256ELj13ELNS0_17block_load_methodE3ELS4_3ELS4_3ELNS0_20block_scan_algorithmE0ELj4294967295EEENS1_25partition_config_selectorILNS1_17partition_subalgoE4EjNS0_10empty_typeEbEEZZNS1_14partition_implILS8_4ELb0ES6_15HIP_vector_typeIjLj2EENS0_17counting_iteratorIjlEEPS9_SG_NS0_5tupleIJPjSI_NS0_16reverse_iteratorISI_EEEEENSH_IJSG_SG_SG_EEES9_SI_JZNS1_25segmented_radix_sort_implINS0_14default_configELb0EPKdPdPKlPlN2at6native12_GLOBAL__N_18offset_tEEE10hipError_tPvRmT1_PNSt15iterator_traitsIS12_E10value_typeET2_T3_PNS13_IS18_E10value_typeET4_jRbjT5_S1E_jjP12ihipStream_tbEUljE_ZNSN_ISO_Lb0ESQ_SR_ST_SU_SY_EESZ_S10_S11_S12_S16_S17_S18_S1B_S1C_jS1D_jS1E_S1E_jjS1G_bEUljE0_EEESZ_S10_S11_S18_S1C_S1E_T6_T7_T9_mT8_S1G_bDpT10_ENKUlT_T0_E_clISt17integral_constantIbLb0EES1U_EEDaS1P_S1Q_EUlS1P_E_NS1_11comp_targetILNS1_3genE8ELNS1_11target_archE1030ELNS1_3gpuE2ELNS1_3repE0EEENS1_30default_config_static_selectorELNS0_4arch9wavefront6targetE1EEEvS12_,"axG",@progbits,_ZN7rocprim17ROCPRIM_400000_NS6detail17trampoline_kernelINS0_13select_configILj256ELj13ELNS0_17block_load_methodE3ELS4_3ELS4_3ELNS0_20block_scan_algorithmE0ELj4294967295EEENS1_25partition_config_selectorILNS1_17partition_subalgoE4EjNS0_10empty_typeEbEEZZNS1_14partition_implILS8_4ELb0ES6_15HIP_vector_typeIjLj2EENS0_17counting_iteratorIjlEEPS9_SG_NS0_5tupleIJPjSI_NS0_16reverse_iteratorISI_EEEEENSH_IJSG_SG_SG_EEES9_SI_JZNS1_25segmented_radix_sort_implINS0_14default_configELb0EPKdPdPKlPlN2at6native12_GLOBAL__N_18offset_tEEE10hipError_tPvRmT1_PNSt15iterator_traitsIS12_E10value_typeET2_T3_PNS13_IS18_E10value_typeET4_jRbjT5_S1E_jjP12ihipStream_tbEUljE_ZNSN_ISO_Lb0ESQ_SR_ST_SU_SY_EESZ_S10_S11_S12_S16_S17_S18_S1B_S1C_jS1D_jS1E_S1E_jjS1G_bEUljE0_EEESZ_S10_S11_S18_S1C_S1E_T6_T7_T9_mT8_S1G_bDpT10_ENKUlT_T0_E_clISt17integral_constantIbLb0EES1U_EEDaS1P_S1Q_EUlS1P_E_NS1_11comp_targetILNS1_3genE8ELNS1_11target_archE1030ELNS1_3gpuE2ELNS1_3repE0EEENS1_30default_config_static_selectorELNS0_4arch9wavefront6targetE1EEEvS12_,comdat
.Lfunc_end1164:
	.size	_ZN7rocprim17ROCPRIM_400000_NS6detail17trampoline_kernelINS0_13select_configILj256ELj13ELNS0_17block_load_methodE3ELS4_3ELS4_3ELNS0_20block_scan_algorithmE0ELj4294967295EEENS1_25partition_config_selectorILNS1_17partition_subalgoE4EjNS0_10empty_typeEbEEZZNS1_14partition_implILS8_4ELb0ES6_15HIP_vector_typeIjLj2EENS0_17counting_iteratorIjlEEPS9_SG_NS0_5tupleIJPjSI_NS0_16reverse_iteratorISI_EEEEENSH_IJSG_SG_SG_EEES9_SI_JZNS1_25segmented_radix_sort_implINS0_14default_configELb0EPKdPdPKlPlN2at6native12_GLOBAL__N_18offset_tEEE10hipError_tPvRmT1_PNSt15iterator_traitsIS12_E10value_typeET2_T3_PNS13_IS18_E10value_typeET4_jRbjT5_S1E_jjP12ihipStream_tbEUljE_ZNSN_ISO_Lb0ESQ_SR_ST_SU_SY_EESZ_S10_S11_S12_S16_S17_S18_S1B_S1C_jS1D_jS1E_S1E_jjS1G_bEUljE0_EEESZ_S10_S11_S18_S1C_S1E_T6_T7_T9_mT8_S1G_bDpT10_ENKUlT_T0_E_clISt17integral_constantIbLb0EES1U_EEDaS1P_S1Q_EUlS1P_E_NS1_11comp_targetILNS1_3genE8ELNS1_11target_archE1030ELNS1_3gpuE2ELNS1_3repE0EEENS1_30default_config_static_selectorELNS0_4arch9wavefront6targetE1EEEvS12_, .Lfunc_end1164-_ZN7rocprim17ROCPRIM_400000_NS6detail17trampoline_kernelINS0_13select_configILj256ELj13ELNS0_17block_load_methodE3ELS4_3ELS4_3ELNS0_20block_scan_algorithmE0ELj4294967295EEENS1_25partition_config_selectorILNS1_17partition_subalgoE4EjNS0_10empty_typeEbEEZZNS1_14partition_implILS8_4ELb0ES6_15HIP_vector_typeIjLj2EENS0_17counting_iteratorIjlEEPS9_SG_NS0_5tupleIJPjSI_NS0_16reverse_iteratorISI_EEEEENSH_IJSG_SG_SG_EEES9_SI_JZNS1_25segmented_radix_sort_implINS0_14default_configELb0EPKdPdPKlPlN2at6native12_GLOBAL__N_18offset_tEEE10hipError_tPvRmT1_PNSt15iterator_traitsIS12_E10value_typeET2_T3_PNS13_IS18_E10value_typeET4_jRbjT5_S1E_jjP12ihipStream_tbEUljE_ZNSN_ISO_Lb0ESQ_SR_ST_SU_SY_EESZ_S10_S11_S12_S16_S17_S18_S1B_S1C_jS1D_jS1E_S1E_jjS1G_bEUljE0_EEESZ_S10_S11_S18_S1C_S1E_T6_T7_T9_mT8_S1G_bDpT10_ENKUlT_T0_E_clISt17integral_constantIbLb0EES1U_EEDaS1P_S1Q_EUlS1P_E_NS1_11comp_targetILNS1_3genE8ELNS1_11target_archE1030ELNS1_3gpuE2ELNS1_3repE0EEENS1_30default_config_static_selectorELNS0_4arch9wavefront6targetE1EEEvS12_
                                        ; -- End function
	.set _ZN7rocprim17ROCPRIM_400000_NS6detail17trampoline_kernelINS0_13select_configILj256ELj13ELNS0_17block_load_methodE3ELS4_3ELS4_3ELNS0_20block_scan_algorithmE0ELj4294967295EEENS1_25partition_config_selectorILNS1_17partition_subalgoE4EjNS0_10empty_typeEbEEZZNS1_14partition_implILS8_4ELb0ES6_15HIP_vector_typeIjLj2EENS0_17counting_iteratorIjlEEPS9_SG_NS0_5tupleIJPjSI_NS0_16reverse_iteratorISI_EEEEENSH_IJSG_SG_SG_EEES9_SI_JZNS1_25segmented_radix_sort_implINS0_14default_configELb0EPKdPdPKlPlN2at6native12_GLOBAL__N_18offset_tEEE10hipError_tPvRmT1_PNSt15iterator_traitsIS12_E10value_typeET2_T3_PNS13_IS18_E10value_typeET4_jRbjT5_S1E_jjP12ihipStream_tbEUljE_ZNSN_ISO_Lb0ESQ_SR_ST_SU_SY_EESZ_S10_S11_S12_S16_S17_S18_S1B_S1C_jS1D_jS1E_S1E_jjS1G_bEUljE0_EEESZ_S10_S11_S18_S1C_S1E_T6_T7_T9_mT8_S1G_bDpT10_ENKUlT_T0_E_clISt17integral_constantIbLb0EES1U_EEDaS1P_S1Q_EUlS1P_E_NS1_11comp_targetILNS1_3genE8ELNS1_11target_archE1030ELNS1_3gpuE2ELNS1_3repE0EEENS1_30default_config_static_selectorELNS0_4arch9wavefront6targetE1EEEvS12_.num_vgpr, 0
	.set _ZN7rocprim17ROCPRIM_400000_NS6detail17trampoline_kernelINS0_13select_configILj256ELj13ELNS0_17block_load_methodE3ELS4_3ELS4_3ELNS0_20block_scan_algorithmE0ELj4294967295EEENS1_25partition_config_selectorILNS1_17partition_subalgoE4EjNS0_10empty_typeEbEEZZNS1_14partition_implILS8_4ELb0ES6_15HIP_vector_typeIjLj2EENS0_17counting_iteratorIjlEEPS9_SG_NS0_5tupleIJPjSI_NS0_16reverse_iteratorISI_EEEEENSH_IJSG_SG_SG_EEES9_SI_JZNS1_25segmented_radix_sort_implINS0_14default_configELb0EPKdPdPKlPlN2at6native12_GLOBAL__N_18offset_tEEE10hipError_tPvRmT1_PNSt15iterator_traitsIS12_E10value_typeET2_T3_PNS13_IS18_E10value_typeET4_jRbjT5_S1E_jjP12ihipStream_tbEUljE_ZNSN_ISO_Lb0ESQ_SR_ST_SU_SY_EESZ_S10_S11_S12_S16_S17_S18_S1B_S1C_jS1D_jS1E_S1E_jjS1G_bEUljE0_EEESZ_S10_S11_S18_S1C_S1E_T6_T7_T9_mT8_S1G_bDpT10_ENKUlT_T0_E_clISt17integral_constantIbLb0EES1U_EEDaS1P_S1Q_EUlS1P_E_NS1_11comp_targetILNS1_3genE8ELNS1_11target_archE1030ELNS1_3gpuE2ELNS1_3repE0EEENS1_30default_config_static_selectorELNS0_4arch9wavefront6targetE1EEEvS12_.num_agpr, 0
	.set _ZN7rocprim17ROCPRIM_400000_NS6detail17trampoline_kernelINS0_13select_configILj256ELj13ELNS0_17block_load_methodE3ELS4_3ELS4_3ELNS0_20block_scan_algorithmE0ELj4294967295EEENS1_25partition_config_selectorILNS1_17partition_subalgoE4EjNS0_10empty_typeEbEEZZNS1_14partition_implILS8_4ELb0ES6_15HIP_vector_typeIjLj2EENS0_17counting_iteratorIjlEEPS9_SG_NS0_5tupleIJPjSI_NS0_16reverse_iteratorISI_EEEEENSH_IJSG_SG_SG_EEES9_SI_JZNS1_25segmented_radix_sort_implINS0_14default_configELb0EPKdPdPKlPlN2at6native12_GLOBAL__N_18offset_tEEE10hipError_tPvRmT1_PNSt15iterator_traitsIS12_E10value_typeET2_T3_PNS13_IS18_E10value_typeET4_jRbjT5_S1E_jjP12ihipStream_tbEUljE_ZNSN_ISO_Lb0ESQ_SR_ST_SU_SY_EESZ_S10_S11_S12_S16_S17_S18_S1B_S1C_jS1D_jS1E_S1E_jjS1G_bEUljE0_EEESZ_S10_S11_S18_S1C_S1E_T6_T7_T9_mT8_S1G_bDpT10_ENKUlT_T0_E_clISt17integral_constantIbLb0EES1U_EEDaS1P_S1Q_EUlS1P_E_NS1_11comp_targetILNS1_3genE8ELNS1_11target_archE1030ELNS1_3gpuE2ELNS1_3repE0EEENS1_30default_config_static_selectorELNS0_4arch9wavefront6targetE1EEEvS12_.numbered_sgpr, 0
	.set _ZN7rocprim17ROCPRIM_400000_NS6detail17trampoline_kernelINS0_13select_configILj256ELj13ELNS0_17block_load_methodE3ELS4_3ELS4_3ELNS0_20block_scan_algorithmE0ELj4294967295EEENS1_25partition_config_selectorILNS1_17partition_subalgoE4EjNS0_10empty_typeEbEEZZNS1_14partition_implILS8_4ELb0ES6_15HIP_vector_typeIjLj2EENS0_17counting_iteratorIjlEEPS9_SG_NS0_5tupleIJPjSI_NS0_16reverse_iteratorISI_EEEEENSH_IJSG_SG_SG_EEES9_SI_JZNS1_25segmented_radix_sort_implINS0_14default_configELb0EPKdPdPKlPlN2at6native12_GLOBAL__N_18offset_tEEE10hipError_tPvRmT1_PNSt15iterator_traitsIS12_E10value_typeET2_T3_PNS13_IS18_E10value_typeET4_jRbjT5_S1E_jjP12ihipStream_tbEUljE_ZNSN_ISO_Lb0ESQ_SR_ST_SU_SY_EESZ_S10_S11_S12_S16_S17_S18_S1B_S1C_jS1D_jS1E_S1E_jjS1G_bEUljE0_EEESZ_S10_S11_S18_S1C_S1E_T6_T7_T9_mT8_S1G_bDpT10_ENKUlT_T0_E_clISt17integral_constantIbLb0EES1U_EEDaS1P_S1Q_EUlS1P_E_NS1_11comp_targetILNS1_3genE8ELNS1_11target_archE1030ELNS1_3gpuE2ELNS1_3repE0EEENS1_30default_config_static_selectorELNS0_4arch9wavefront6targetE1EEEvS12_.num_named_barrier, 0
	.set _ZN7rocprim17ROCPRIM_400000_NS6detail17trampoline_kernelINS0_13select_configILj256ELj13ELNS0_17block_load_methodE3ELS4_3ELS4_3ELNS0_20block_scan_algorithmE0ELj4294967295EEENS1_25partition_config_selectorILNS1_17partition_subalgoE4EjNS0_10empty_typeEbEEZZNS1_14partition_implILS8_4ELb0ES6_15HIP_vector_typeIjLj2EENS0_17counting_iteratorIjlEEPS9_SG_NS0_5tupleIJPjSI_NS0_16reverse_iteratorISI_EEEEENSH_IJSG_SG_SG_EEES9_SI_JZNS1_25segmented_radix_sort_implINS0_14default_configELb0EPKdPdPKlPlN2at6native12_GLOBAL__N_18offset_tEEE10hipError_tPvRmT1_PNSt15iterator_traitsIS12_E10value_typeET2_T3_PNS13_IS18_E10value_typeET4_jRbjT5_S1E_jjP12ihipStream_tbEUljE_ZNSN_ISO_Lb0ESQ_SR_ST_SU_SY_EESZ_S10_S11_S12_S16_S17_S18_S1B_S1C_jS1D_jS1E_S1E_jjS1G_bEUljE0_EEESZ_S10_S11_S18_S1C_S1E_T6_T7_T9_mT8_S1G_bDpT10_ENKUlT_T0_E_clISt17integral_constantIbLb0EES1U_EEDaS1P_S1Q_EUlS1P_E_NS1_11comp_targetILNS1_3genE8ELNS1_11target_archE1030ELNS1_3gpuE2ELNS1_3repE0EEENS1_30default_config_static_selectorELNS0_4arch9wavefront6targetE1EEEvS12_.private_seg_size, 0
	.set _ZN7rocprim17ROCPRIM_400000_NS6detail17trampoline_kernelINS0_13select_configILj256ELj13ELNS0_17block_load_methodE3ELS4_3ELS4_3ELNS0_20block_scan_algorithmE0ELj4294967295EEENS1_25partition_config_selectorILNS1_17partition_subalgoE4EjNS0_10empty_typeEbEEZZNS1_14partition_implILS8_4ELb0ES6_15HIP_vector_typeIjLj2EENS0_17counting_iteratorIjlEEPS9_SG_NS0_5tupleIJPjSI_NS0_16reverse_iteratorISI_EEEEENSH_IJSG_SG_SG_EEES9_SI_JZNS1_25segmented_radix_sort_implINS0_14default_configELb0EPKdPdPKlPlN2at6native12_GLOBAL__N_18offset_tEEE10hipError_tPvRmT1_PNSt15iterator_traitsIS12_E10value_typeET2_T3_PNS13_IS18_E10value_typeET4_jRbjT5_S1E_jjP12ihipStream_tbEUljE_ZNSN_ISO_Lb0ESQ_SR_ST_SU_SY_EESZ_S10_S11_S12_S16_S17_S18_S1B_S1C_jS1D_jS1E_S1E_jjS1G_bEUljE0_EEESZ_S10_S11_S18_S1C_S1E_T6_T7_T9_mT8_S1G_bDpT10_ENKUlT_T0_E_clISt17integral_constantIbLb0EES1U_EEDaS1P_S1Q_EUlS1P_E_NS1_11comp_targetILNS1_3genE8ELNS1_11target_archE1030ELNS1_3gpuE2ELNS1_3repE0EEENS1_30default_config_static_selectorELNS0_4arch9wavefront6targetE1EEEvS12_.uses_vcc, 0
	.set _ZN7rocprim17ROCPRIM_400000_NS6detail17trampoline_kernelINS0_13select_configILj256ELj13ELNS0_17block_load_methodE3ELS4_3ELS4_3ELNS0_20block_scan_algorithmE0ELj4294967295EEENS1_25partition_config_selectorILNS1_17partition_subalgoE4EjNS0_10empty_typeEbEEZZNS1_14partition_implILS8_4ELb0ES6_15HIP_vector_typeIjLj2EENS0_17counting_iteratorIjlEEPS9_SG_NS0_5tupleIJPjSI_NS0_16reverse_iteratorISI_EEEEENSH_IJSG_SG_SG_EEES9_SI_JZNS1_25segmented_radix_sort_implINS0_14default_configELb0EPKdPdPKlPlN2at6native12_GLOBAL__N_18offset_tEEE10hipError_tPvRmT1_PNSt15iterator_traitsIS12_E10value_typeET2_T3_PNS13_IS18_E10value_typeET4_jRbjT5_S1E_jjP12ihipStream_tbEUljE_ZNSN_ISO_Lb0ESQ_SR_ST_SU_SY_EESZ_S10_S11_S12_S16_S17_S18_S1B_S1C_jS1D_jS1E_S1E_jjS1G_bEUljE0_EEESZ_S10_S11_S18_S1C_S1E_T6_T7_T9_mT8_S1G_bDpT10_ENKUlT_T0_E_clISt17integral_constantIbLb0EES1U_EEDaS1P_S1Q_EUlS1P_E_NS1_11comp_targetILNS1_3genE8ELNS1_11target_archE1030ELNS1_3gpuE2ELNS1_3repE0EEENS1_30default_config_static_selectorELNS0_4arch9wavefront6targetE1EEEvS12_.uses_flat_scratch, 0
	.set _ZN7rocprim17ROCPRIM_400000_NS6detail17trampoline_kernelINS0_13select_configILj256ELj13ELNS0_17block_load_methodE3ELS4_3ELS4_3ELNS0_20block_scan_algorithmE0ELj4294967295EEENS1_25partition_config_selectorILNS1_17partition_subalgoE4EjNS0_10empty_typeEbEEZZNS1_14partition_implILS8_4ELb0ES6_15HIP_vector_typeIjLj2EENS0_17counting_iteratorIjlEEPS9_SG_NS0_5tupleIJPjSI_NS0_16reverse_iteratorISI_EEEEENSH_IJSG_SG_SG_EEES9_SI_JZNS1_25segmented_radix_sort_implINS0_14default_configELb0EPKdPdPKlPlN2at6native12_GLOBAL__N_18offset_tEEE10hipError_tPvRmT1_PNSt15iterator_traitsIS12_E10value_typeET2_T3_PNS13_IS18_E10value_typeET4_jRbjT5_S1E_jjP12ihipStream_tbEUljE_ZNSN_ISO_Lb0ESQ_SR_ST_SU_SY_EESZ_S10_S11_S12_S16_S17_S18_S1B_S1C_jS1D_jS1E_S1E_jjS1G_bEUljE0_EEESZ_S10_S11_S18_S1C_S1E_T6_T7_T9_mT8_S1G_bDpT10_ENKUlT_T0_E_clISt17integral_constantIbLb0EES1U_EEDaS1P_S1Q_EUlS1P_E_NS1_11comp_targetILNS1_3genE8ELNS1_11target_archE1030ELNS1_3gpuE2ELNS1_3repE0EEENS1_30default_config_static_selectorELNS0_4arch9wavefront6targetE1EEEvS12_.has_dyn_sized_stack, 0
	.set _ZN7rocprim17ROCPRIM_400000_NS6detail17trampoline_kernelINS0_13select_configILj256ELj13ELNS0_17block_load_methodE3ELS4_3ELS4_3ELNS0_20block_scan_algorithmE0ELj4294967295EEENS1_25partition_config_selectorILNS1_17partition_subalgoE4EjNS0_10empty_typeEbEEZZNS1_14partition_implILS8_4ELb0ES6_15HIP_vector_typeIjLj2EENS0_17counting_iteratorIjlEEPS9_SG_NS0_5tupleIJPjSI_NS0_16reverse_iteratorISI_EEEEENSH_IJSG_SG_SG_EEES9_SI_JZNS1_25segmented_radix_sort_implINS0_14default_configELb0EPKdPdPKlPlN2at6native12_GLOBAL__N_18offset_tEEE10hipError_tPvRmT1_PNSt15iterator_traitsIS12_E10value_typeET2_T3_PNS13_IS18_E10value_typeET4_jRbjT5_S1E_jjP12ihipStream_tbEUljE_ZNSN_ISO_Lb0ESQ_SR_ST_SU_SY_EESZ_S10_S11_S12_S16_S17_S18_S1B_S1C_jS1D_jS1E_S1E_jjS1G_bEUljE0_EEESZ_S10_S11_S18_S1C_S1E_T6_T7_T9_mT8_S1G_bDpT10_ENKUlT_T0_E_clISt17integral_constantIbLb0EES1U_EEDaS1P_S1Q_EUlS1P_E_NS1_11comp_targetILNS1_3genE8ELNS1_11target_archE1030ELNS1_3gpuE2ELNS1_3repE0EEENS1_30default_config_static_selectorELNS0_4arch9wavefront6targetE1EEEvS12_.has_recursion, 0
	.set _ZN7rocprim17ROCPRIM_400000_NS6detail17trampoline_kernelINS0_13select_configILj256ELj13ELNS0_17block_load_methodE3ELS4_3ELS4_3ELNS0_20block_scan_algorithmE0ELj4294967295EEENS1_25partition_config_selectorILNS1_17partition_subalgoE4EjNS0_10empty_typeEbEEZZNS1_14partition_implILS8_4ELb0ES6_15HIP_vector_typeIjLj2EENS0_17counting_iteratorIjlEEPS9_SG_NS0_5tupleIJPjSI_NS0_16reverse_iteratorISI_EEEEENSH_IJSG_SG_SG_EEES9_SI_JZNS1_25segmented_radix_sort_implINS0_14default_configELb0EPKdPdPKlPlN2at6native12_GLOBAL__N_18offset_tEEE10hipError_tPvRmT1_PNSt15iterator_traitsIS12_E10value_typeET2_T3_PNS13_IS18_E10value_typeET4_jRbjT5_S1E_jjP12ihipStream_tbEUljE_ZNSN_ISO_Lb0ESQ_SR_ST_SU_SY_EESZ_S10_S11_S12_S16_S17_S18_S1B_S1C_jS1D_jS1E_S1E_jjS1G_bEUljE0_EEESZ_S10_S11_S18_S1C_S1E_T6_T7_T9_mT8_S1G_bDpT10_ENKUlT_T0_E_clISt17integral_constantIbLb0EES1U_EEDaS1P_S1Q_EUlS1P_E_NS1_11comp_targetILNS1_3genE8ELNS1_11target_archE1030ELNS1_3gpuE2ELNS1_3repE0EEENS1_30default_config_static_selectorELNS0_4arch9wavefront6targetE1EEEvS12_.has_indirect_call, 0
	.section	.AMDGPU.csdata,"",@progbits
; Kernel info:
; codeLenInByte = 0
; TotalNumSgprs: 4
; NumVgprs: 0
; ScratchSize: 0
; MemoryBound: 0
; FloatMode: 240
; IeeeMode: 1
; LDSByteSize: 0 bytes/workgroup (compile time only)
; SGPRBlocks: 0
; VGPRBlocks: 0
; NumSGPRsForWavesPerEU: 4
; NumVGPRsForWavesPerEU: 1
; Occupancy: 10
; WaveLimiterHint : 0
; COMPUTE_PGM_RSRC2:SCRATCH_EN: 0
; COMPUTE_PGM_RSRC2:USER_SGPR: 6
; COMPUTE_PGM_RSRC2:TRAP_HANDLER: 0
; COMPUTE_PGM_RSRC2:TGID_X_EN: 1
; COMPUTE_PGM_RSRC2:TGID_Y_EN: 0
; COMPUTE_PGM_RSRC2:TGID_Z_EN: 0
; COMPUTE_PGM_RSRC2:TIDIG_COMP_CNT: 0
	.section	.text._ZN7rocprim17ROCPRIM_400000_NS6detail17trampoline_kernelINS0_13select_configILj256ELj13ELNS0_17block_load_methodE3ELS4_3ELS4_3ELNS0_20block_scan_algorithmE0ELj4294967295EEENS1_25partition_config_selectorILNS1_17partition_subalgoE4EjNS0_10empty_typeEbEEZZNS1_14partition_implILS8_4ELb0ES6_15HIP_vector_typeIjLj2EENS0_17counting_iteratorIjlEEPS9_SG_NS0_5tupleIJPjSI_NS0_16reverse_iteratorISI_EEEEENSH_IJSG_SG_SG_EEES9_SI_JZNS1_25segmented_radix_sort_implINS0_14default_configELb0EPKdPdPKlPlN2at6native12_GLOBAL__N_18offset_tEEE10hipError_tPvRmT1_PNSt15iterator_traitsIS12_E10value_typeET2_T3_PNS13_IS18_E10value_typeET4_jRbjT5_S1E_jjP12ihipStream_tbEUljE_ZNSN_ISO_Lb0ESQ_SR_ST_SU_SY_EESZ_S10_S11_S12_S16_S17_S18_S1B_S1C_jS1D_jS1E_S1E_jjS1G_bEUljE0_EEESZ_S10_S11_S18_S1C_S1E_T6_T7_T9_mT8_S1G_bDpT10_ENKUlT_T0_E_clISt17integral_constantIbLb1EES1U_EEDaS1P_S1Q_EUlS1P_E_NS1_11comp_targetILNS1_3genE0ELNS1_11target_archE4294967295ELNS1_3gpuE0ELNS1_3repE0EEENS1_30default_config_static_selectorELNS0_4arch9wavefront6targetE1EEEvS12_,"axG",@progbits,_ZN7rocprim17ROCPRIM_400000_NS6detail17trampoline_kernelINS0_13select_configILj256ELj13ELNS0_17block_load_methodE3ELS4_3ELS4_3ELNS0_20block_scan_algorithmE0ELj4294967295EEENS1_25partition_config_selectorILNS1_17partition_subalgoE4EjNS0_10empty_typeEbEEZZNS1_14partition_implILS8_4ELb0ES6_15HIP_vector_typeIjLj2EENS0_17counting_iteratorIjlEEPS9_SG_NS0_5tupleIJPjSI_NS0_16reverse_iteratorISI_EEEEENSH_IJSG_SG_SG_EEES9_SI_JZNS1_25segmented_radix_sort_implINS0_14default_configELb0EPKdPdPKlPlN2at6native12_GLOBAL__N_18offset_tEEE10hipError_tPvRmT1_PNSt15iterator_traitsIS12_E10value_typeET2_T3_PNS13_IS18_E10value_typeET4_jRbjT5_S1E_jjP12ihipStream_tbEUljE_ZNSN_ISO_Lb0ESQ_SR_ST_SU_SY_EESZ_S10_S11_S12_S16_S17_S18_S1B_S1C_jS1D_jS1E_S1E_jjS1G_bEUljE0_EEESZ_S10_S11_S18_S1C_S1E_T6_T7_T9_mT8_S1G_bDpT10_ENKUlT_T0_E_clISt17integral_constantIbLb1EES1U_EEDaS1P_S1Q_EUlS1P_E_NS1_11comp_targetILNS1_3genE0ELNS1_11target_archE4294967295ELNS1_3gpuE0ELNS1_3repE0EEENS1_30default_config_static_selectorELNS0_4arch9wavefront6targetE1EEEvS12_,comdat
	.globl	_ZN7rocprim17ROCPRIM_400000_NS6detail17trampoline_kernelINS0_13select_configILj256ELj13ELNS0_17block_load_methodE3ELS4_3ELS4_3ELNS0_20block_scan_algorithmE0ELj4294967295EEENS1_25partition_config_selectorILNS1_17partition_subalgoE4EjNS0_10empty_typeEbEEZZNS1_14partition_implILS8_4ELb0ES6_15HIP_vector_typeIjLj2EENS0_17counting_iteratorIjlEEPS9_SG_NS0_5tupleIJPjSI_NS0_16reverse_iteratorISI_EEEEENSH_IJSG_SG_SG_EEES9_SI_JZNS1_25segmented_radix_sort_implINS0_14default_configELb0EPKdPdPKlPlN2at6native12_GLOBAL__N_18offset_tEEE10hipError_tPvRmT1_PNSt15iterator_traitsIS12_E10value_typeET2_T3_PNS13_IS18_E10value_typeET4_jRbjT5_S1E_jjP12ihipStream_tbEUljE_ZNSN_ISO_Lb0ESQ_SR_ST_SU_SY_EESZ_S10_S11_S12_S16_S17_S18_S1B_S1C_jS1D_jS1E_S1E_jjS1G_bEUljE0_EEESZ_S10_S11_S18_S1C_S1E_T6_T7_T9_mT8_S1G_bDpT10_ENKUlT_T0_E_clISt17integral_constantIbLb1EES1U_EEDaS1P_S1Q_EUlS1P_E_NS1_11comp_targetILNS1_3genE0ELNS1_11target_archE4294967295ELNS1_3gpuE0ELNS1_3repE0EEENS1_30default_config_static_selectorELNS0_4arch9wavefront6targetE1EEEvS12_ ; -- Begin function _ZN7rocprim17ROCPRIM_400000_NS6detail17trampoline_kernelINS0_13select_configILj256ELj13ELNS0_17block_load_methodE3ELS4_3ELS4_3ELNS0_20block_scan_algorithmE0ELj4294967295EEENS1_25partition_config_selectorILNS1_17partition_subalgoE4EjNS0_10empty_typeEbEEZZNS1_14partition_implILS8_4ELb0ES6_15HIP_vector_typeIjLj2EENS0_17counting_iteratorIjlEEPS9_SG_NS0_5tupleIJPjSI_NS0_16reverse_iteratorISI_EEEEENSH_IJSG_SG_SG_EEES9_SI_JZNS1_25segmented_radix_sort_implINS0_14default_configELb0EPKdPdPKlPlN2at6native12_GLOBAL__N_18offset_tEEE10hipError_tPvRmT1_PNSt15iterator_traitsIS12_E10value_typeET2_T3_PNS13_IS18_E10value_typeET4_jRbjT5_S1E_jjP12ihipStream_tbEUljE_ZNSN_ISO_Lb0ESQ_SR_ST_SU_SY_EESZ_S10_S11_S12_S16_S17_S18_S1B_S1C_jS1D_jS1E_S1E_jjS1G_bEUljE0_EEESZ_S10_S11_S18_S1C_S1E_T6_T7_T9_mT8_S1G_bDpT10_ENKUlT_T0_E_clISt17integral_constantIbLb1EES1U_EEDaS1P_S1Q_EUlS1P_E_NS1_11comp_targetILNS1_3genE0ELNS1_11target_archE4294967295ELNS1_3gpuE0ELNS1_3repE0EEENS1_30default_config_static_selectorELNS0_4arch9wavefront6targetE1EEEvS12_
	.p2align	8
	.type	_ZN7rocprim17ROCPRIM_400000_NS6detail17trampoline_kernelINS0_13select_configILj256ELj13ELNS0_17block_load_methodE3ELS4_3ELS4_3ELNS0_20block_scan_algorithmE0ELj4294967295EEENS1_25partition_config_selectorILNS1_17partition_subalgoE4EjNS0_10empty_typeEbEEZZNS1_14partition_implILS8_4ELb0ES6_15HIP_vector_typeIjLj2EENS0_17counting_iteratorIjlEEPS9_SG_NS0_5tupleIJPjSI_NS0_16reverse_iteratorISI_EEEEENSH_IJSG_SG_SG_EEES9_SI_JZNS1_25segmented_radix_sort_implINS0_14default_configELb0EPKdPdPKlPlN2at6native12_GLOBAL__N_18offset_tEEE10hipError_tPvRmT1_PNSt15iterator_traitsIS12_E10value_typeET2_T3_PNS13_IS18_E10value_typeET4_jRbjT5_S1E_jjP12ihipStream_tbEUljE_ZNSN_ISO_Lb0ESQ_SR_ST_SU_SY_EESZ_S10_S11_S12_S16_S17_S18_S1B_S1C_jS1D_jS1E_S1E_jjS1G_bEUljE0_EEESZ_S10_S11_S18_S1C_S1E_T6_T7_T9_mT8_S1G_bDpT10_ENKUlT_T0_E_clISt17integral_constantIbLb1EES1U_EEDaS1P_S1Q_EUlS1P_E_NS1_11comp_targetILNS1_3genE0ELNS1_11target_archE4294967295ELNS1_3gpuE0ELNS1_3repE0EEENS1_30default_config_static_selectorELNS0_4arch9wavefront6targetE1EEEvS12_,@function
_ZN7rocprim17ROCPRIM_400000_NS6detail17trampoline_kernelINS0_13select_configILj256ELj13ELNS0_17block_load_methodE3ELS4_3ELS4_3ELNS0_20block_scan_algorithmE0ELj4294967295EEENS1_25partition_config_selectorILNS1_17partition_subalgoE4EjNS0_10empty_typeEbEEZZNS1_14partition_implILS8_4ELb0ES6_15HIP_vector_typeIjLj2EENS0_17counting_iteratorIjlEEPS9_SG_NS0_5tupleIJPjSI_NS0_16reverse_iteratorISI_EEEEENSH_IJSG_SG_SG_EEES9_SI_JZNS1_25segmented_radix_sort_implINS0_14default_configELb0EPKdPdPKlPlN2at6native12_GLOBAL__N_18offset_tEEE10hipError_tPvRmT1_PNSt15iterator_traitsIS12_E10value_typeET2_T3_PNS13_IS18_E10value_typeET4_jRbjT5_S1E_jjP12ihipStream_tbEUljE_ZNSN_ISO_Lb0ESQ_SR_ST_SU_SY_EESZ_S10_S11_S12_S16_S17_S18_S1B_S1C_jS1D_jS1E_S1E_jjS1G_bEUljE0_EEESZ_S10_S11_S18_S1C_S1E_T6_T7_T9_mT8_S1G_bDpT10_ENKUlT_T0_E_clISt17integral_constantIbLb1EES1U_EEDaS1P_S1Q_EUlS1P_E_NS1_11comp_targetILNS1_3genE0ELNS1_11target_archE4294967295ELNS1_3gpuE0ELNS1_3repE0EEENS1_30default_config_static_selectorELNS0_4arch9wavefront6targetE1EEEvS12_: ; @_ZN7rocprim17ROCPRIM_400000_NS6detail17trampoline_kernelINS0_13select_configILj256ELj13ELNS0_17block_load_methodE3ELS4_3ELS4_3ELNS0_20block_scan_algorithmE0ELj4294967295EEENS1_25partition_config_selectorILNS1_17partition_subalgoE4EjNS0_10empty_typeEbEEZZNS1_14partition_implILS8_4ELb0ES6_15HIP_vector_typeIjLj2EENS0_17counting_iteratorIjlEEPS9_SG_NS0_5tupleIJPjSI_NS0_16reverse_iteratorISI_EEEEENSH_IJSG_SG_SG_EEES9_SI_JZNS1_25segmented_radix_sort_implINS0_14default_configELb0EPKdPdPKlPlN2at6native12_GLOBAL__N_18offset_tEEE10hipError_tPvRmT1_PNSt15iterator_traitsIS12_E10value_typeET2_T3_PNS13_IS18_E10value_typeET4_jRbjT5_S1E_jjP12ihipStream_tbEUljE_ZNSN_ISO_Lb0ESQ_SR_ST_SU_SY_EESZ_S10_S11_S12_S16_S17_S18_S1B_S1C_jS1D_jS1E_S1E_jjS1G_bEUljE0_EEESZ_S10_S11_S18_S1C_S1E_T6_T7_T9_mT8_S1G_bDpT10_ENKUlT_T0_E_clISt17integral_constantIbLb1EES1U_EEDaS1P_S1Q_EUlS1P_E_NS1_11comp_targetILNS1_3genE0ELNS1_11target_archE4294967295ELNS1_3gpuE0ELNS1_3repE0EEENS1_30default_config_static_selectorELNS0_4arch9wavefront6targetE1EEEvS12_
; %bb.0:
	.section	.rodata,"a",@progbits
	.p2align	6, 0x0
	.amdhsa_kernel _ZN7rocprim17ROCPRIM_400000_NS6detail17trampoline_kernelINS0_13select_configILj256ELj13ELNS0_17block_load_methodE3ELS4_3ELS4_3ELNS0_20block_scan_algorithmE0ELj4294967295EEENS1_25partition_config_selectorILNS1_17partition_subalgoE4EjNS0_10empty_typeEbEEZZNS1_14partition_implILS8_4ELb0ES6_15HIP_vector_typeIjLj2EENS0_17counting_iteratorIjlEEPS9_SG_NS0_5tupleIJPjSI_NS0_16reverse_iteratorISI_EEEEENSH_IJSG_SG_SG_EEES9_SI_JZNS1_25segmented_radix_sort_implINS0_14default_configELb0EPKdPdPKlPlN2at6native12_GLOBAL__N_18offset_tEEE10hipError_tPvRmT1_PNSt15iterator_traitsIS12_E10value_typeET2_T3_PNS13_IS18_E10value_typeET4_jRbjT5_S1E_jjP12ihipStream_tbEUljE_ZNSN_ISO_Lb0ESQ_SR_ST_SU_SY_EESZ_S10_S11_S12_S16_S17_S18_S1B_S1C_jS1D_jS1E_S1E_jjS1G_bEUljE0_EEESZ_S10_S11_S18_S1C_S1E_T6_T7_T9_mT8_S1G_bDpT10_ENKUlT_T0_E_clISt17integral_constantIbLb1EES1U_EEDaS1P_S1Q_EUlS1P_E_NS1_11comp_targetILNS1_3genE0ELNS1_11target_archE4294967295ELNS1_3gpuE0ELNS1_3repE0EEENS1_30default_config_static_selectorELNS0_4arch9wavefront6targetE1EEEvS12_
		.amdhsa_group_segment_fixed_size 0
		.amdhsa_private_segment_fixed_size 0
		.amdhsa_kernarg_size 184
		.amdhsa_user_sgpr_count 6
		.amdhsa_user_sgpr_private_segment_buffer 1
		.amdhsa_user_sgpr_dispatch_ptr 0
		.amdhsa_user_sgpr_queue_ptr 0
		.amdhsa_user_sgpr_kernarg_segment_ptr 1
		.amdhsa_user_sgpr_dispatch_id 0
		.amdhsa_user_sgpr_flat_scratch_init 0
		.amdhsa_user_sgpr_private_segment_size 0
		.amdhsa_uses_dynamic_stack 0
		.amdhsa_system_sgpr_private_segment_wavefront_offset 0
		.amdhsa_system_sgpr_workgroup_id_x 1
		.amdhsa_system_sgpr_workgroup_id_y 0
		.amdhsa_system_sgpr_workgroup_id_z 0
		.amdhsa_system_sgpr_workgroup_info 0
		.amdhsa_system_vgpr_workitem_id 0
		.amdhsa_next_free_vgpr 1
		.amdhsa_next_free_sgpr 0
		.amdhsa_reserve_vcc 0
		.amdhsa_reserve_flat_scratch 0
		.amdhsa_float_round_mode_32 0
		.amdhsa_float_round_mode_16_64 0
		.amdhsa_float_denorm_mode_32 3
		.amdhsa_float_denorm_mode_16_64 3
		.amdhsa_dx10_clamp 1
		.amdhsa_ieee_mode 1
		.amdhsa_fp16_overflow 0
		.amdhsa_exception_fp_ieee_invalid_op 0
		.amdhsa_exception_fp_denorm_src 0
		.amdhsa_exception_fp_ieee_div_zero 0
		.amdhsa_exception_fp_ieee_overflow 0
		.amdhsa_exception_fp_ieee_underflow 0
		.amdhsa_exception_fp_ieee_inexact 0
		.amdhsa_exception_int_div_zero 0
	.end_amdhsa_kernel
	.section	.text._ZN7rocprim17ROCPRIM_400000_NS6detail17trampoline_kernelINS0_13select_configILj256ELj13ELNS0_17block_load_methodE3ELS4_3ELS4_3ELNS0_20block_scan_algorithmE0ELj4294967295EEENS1_25partition_config_selectorILNS1_17partition_subalgoE4EjNS0_10empty_typeEbEEZZNS1_14partition_implILS8_4ELb0ES6_15HIP_vector_typeIjLj2EENS0_17counting_iteratorIjlEEPS9_SG_NS0_5tupleIJPjSI_NS0_16reverse_iteratorISI_EEEEENSH_IJSG_SG_SG_EEES9_SI_JZNS1_25segmented_radix_sort_implINS0_14default_configELb0EPKdPdPKlPlN2at6native12_GLOBAL__N_18offset_tEEE10hipError_tPvRmT1_PNSt15iterator_traitsIS12_E10value_typeET2_T3_PNS13_IS18_E10value_typeET4_jRbjT5_S1E_jjP12ihipStream_tbEUljE_ZNSN_ISO_Lb0ESQ_SR_ST_SU_SY_EESZ_S10_S11_S12_S16_S17_S18_S1B_S1C_jS1D_jS1E_S1E_jjS1G_bEUljE0_EEESZ_S10_S11_S18_S1C_S1E_T6_T7_T9_mT8_S1G_bDpT10_ENKUlT_T0_E_clISt17integral_constantIbLb1EES1U_EEDaS1P_S1Q_EUlS1P_E_NS1_11comp_targetILNS1_3genE0ELNS1_11target_archE4294967295ELNS1_3gpuE0ELNS1_3repE0EEENS1_30default_config_static_selectorELNS0_4arch9wavefront6targetE1EEEvS12_,"axG",@progbits,_ZN7rocprim17ROCPRIM_400000_NS6detail17trampoline_kernelINS0_13select_configILj256ELj13ELNS0_17block_load_methodE3ELS4_3ELS4_3ELNS0_20block_scan_algorithmE0ELj4294967295EEENS1_25partition_config_selectorILNS1_17partition_subalgoE4EjNS0_10empty_typeEbEEZZNS1_14partition_implILS8_4ELb0ES6_15HIP_vector_typeIjLj2EENS0_17counting_iteratorIjlEEPS9_SG_NS0_5tupleIJPjSI_NS0_16reverse_iteratorISI_EEEEENSH_IJSG_SG_SG_EEES9_SI_JZNS1_25segmented_radix_sort_implINS0_14default_configELb0EPKdPdPKlPlN2at6native12_GLOBAL__N_18offset_tEEE10hipError_tPvRmT1_PNSt15iterator_traitsIS12_E10value_typeET2_T3_PNS13_IS18_E10value_typeET4_jRbjT5_S1E_jjP12ihipStream_tbEUljE_ZNSN_ISO_Lb0ESQ_SR_ST_SU_SY_EESZ_S10_S11_S12_S16_S17_S18_S1B_S1C_jS1D_jS1E_S1E_jjS1G_bEUljE0_EEESZ_S10_S11_S18_S1C_S1E_T6_T7_T9_mT8_S1G_bDpT10_ENKUlT_T0_E_clISt17integral_constantIbLb1EES1U_EEDaS1P_S1Q_EUlS1P_E_NS1_11comp_targetILNS1_3genE0ELNS1_11target_archE4294967295ELNS1_3gpuE0ELNS1_3repE0EEENS1_30default_config_static_selectorELNS0_4arch9wavefront6targetE1EEEvS12_,comdat
.Lfunc_end1165:
	.size	_ZN7rocprim17ROCPRIM_400000_NS6detail17trampoline_kernelINS0_13select_configILj256ELj13ELNS0_17block_load_methodE3ELS4_3ELS4_3ELNS0_20block_scan_algorithmE0ELj4294967295EEENS1_25partition_config_selectorILNS1_17partition_subalgoE4EjNS0_10empty_typeEbEEZZNS1_14partition_implILS8_4ELb0ES6_15HIP_vector_typeIjLj2EENS0_17counting_iteratorIjlEEPS9_SG_NS0_5tupleIJPjSI_NS0_16reverse_iteratorISI_EEEEENSH_IJSG_SG_SG_EEES9_SI_JZNS1_25segmented_radix_sort_implINS0_14default_configELb0EPKdPdPKlPlN2at6native12_GLOBAL__N_18offset_tEEE10hipError_tPvRmT1_PNSt15iterator_traitsIS12_E10value_typeET2_T3_PNS13_IS18_E10value_typeET4_jRbjT5_S1E_jjP12ihipStream_tbEUljE_ZNSN_ISO_Lb0ESQ_SR_ST_SU_SY_EESZ_S10_S11_S12_S16_S17_S18_S1B_S1C_jS1D_jS1E_S1E_jjS1G_bEUljE0_EEESZ_S10_S11_S18_S1C_S1E_T6_T7_T9_mT8_S1G_bDpT10_ENKUlT_T0_E_clISt17integral_constantIbLb1EES1U_EEDaS1P_S1Q_EUlS1P_E_NS1_11comp_targetILNS1_3genE0ELNS1_11target_archE4294967295ELNS1_3gpuE0ELNS1_3repE0EEENS1_30default_config_static_selectorELNS0_4arch9wavefront6targetE1EEEvS12_, .Lfunc_end1165-_ZN7rocprim17ROCPRIM_400000_NS6detail17trampoline_kernelINS0_13select_configILj256ELj13ELNS0_17block_load_methodE3ELS4_3ELS4_3ELNS0_20block_scan_algorithmE0ELj4294967295EEENS1_25partition_config_selectorILNS1_17partition_subalgoE4EjNS0_10empty_typeEbEEZZNS1_14partition_implILS8_4ELb0ES6_15HIP_vector_typeIjLj2EENS0_17counting_iteratorIjlEEPS9_SG_NS0_5tupleIJPjSI_NS0_16reverse_iteratorISI_EEEEENSH_IJSG_SG_SG_EEES9_SI_JZNS1_25segmented_radix_sort_implINS0_14default_configELb0EPKdPdPKlPlN2at6native12_GLOBAL__N_18offset_tEEE10hipError_tPvRmT1_PNSt15iterator_traitsIS12_E10value_typeET2_T3_PNS13_IS18_E10value_typeET4_jRbjT5_S1E_jjP12ihipStream_tbEUljE_ZNSN_ISO_Lb0ESQ_SR_ST_SU_SY_EESZ_S10_S11_S12_S16_S17_S18_S1B_S1C_jS1D_jS1E_S1E_jjS1G_bEUljE0_EEESZ_S10_S11_S18_S1C_S1E_T6_T7_T9_mT8_S1G_bDpT10_ENKUlT_T0_E_clISt17integral_constantIbLb1EES1U_EEDaS1P_S1Q_EUlS1P_E_NS1_11comp_targetILNS1_3genE0ELNS1_11target_archE4294967295ELNS1_3gpuE0ELNS1_3repE0EEENS1_30default_config_static_selectorELNS0_4arch9wavefront6targetE1EEEvS12_
                                        ; -- End function
	.set _ZN7rocprim17ROCPRIM_400000_NS6detail17trampoline_kernelINS0_13select_configILj256ELj13ELNS0_17block_load_methodE3ELS4_3ELS4_3ELNS0_20block_scan_algorithmE0ELj4294967295EEENS1_25partition_config_selectorILNS1_17partition_subalgoE4EjNS0_10empty_typeEbEEZZNS1_14partition_implILS8_4ELb0ES6_15HIP_vector_typeIjLj2EENS0_17counting_iteratorIjlEEPS9_SG_NS0_5tupleIJPjSI_NS0_16reverse_iteratorISI_EEEEENSH_IJSG_SG_SG_EEES9_SI_JZNS1_25segmented_radix_sort_implINS0_14default_configELb0EPKdPdPKlPlN2at6native12_GLOBAL__N_18offset_tEEE10hipError_tPvRmT1_PNSt15iterator_traitsIS12_E10value_typeET2_T3_PNS13_IS18_E10value_typeET4_jRbjT5_S1E_jjP12ihipStream_tbEUljE_ZNSN_ISO_Lb0ESQ_SR_ST_SU_SY_EESZ_S10_S11_S12_S16_S17_S18_S1B_S1C_jS1D_jS1E_S1E_jjS1G_bEUljE0_EEESZ_S10_S11_S18_S1C_S1E_T6_T7_T9_mT8_S1G_bDpT10_ENKUlT_T0_E_clISt17integral_constantIbLb1EES1U_EEDaS1P_S1Q_EUlS1P_E_NS1_11comp_targetILNS1_3genE0ELNS1_11target_archE4294967295ELNS1_3gpuE0ELNS1_3repE0EEENS1_30default_config_static_selectorELNS0_4arch9wavefront6targetE1EEEvS12_.num_vgpr, 0
	.set _ZN7rocprim17ROCPRIM_400000_NS6detail17trampoline_kernelINS0_13select_configILj256ELj13ELNS0_17block_load_methodE3ELS4_3ELS4_3ELNS0_20block_scan_algorithmE0ELj4294967295EEENS1_25partition_config_selectorILNS1_17partition_subalgoE4EjNS0_10empty_typeEbEEZZNS1_14partition_implILS8_4ELb0ES6_15HIP_vector_typeIjLj2EENS0_17counting_iteratorIjlEEPS9_SG_NS0_5tupleIJPjSI_NS0_16reverse_iteratorISI_EEEEENSH_IJSG_SG_SG_EEES9_SI_JZNS1_25segmented_radix_sort_implINS0_14default_configELb0EPKdPdPKlPlN2at6native12_GLOBAL__N_18offset_tEEE10hipError_tPvRmT1_PNSt15iterator_traitsIS12_E10value_typeET2_T3_PNS13_IS18_E10value_typeET4_jRbjT5_S1E_jjP12ihipStream_tbEUljE_ZNSN_ISO_Lb0ESQ_SR_ST_SU_SY_EESZ_S10_S11_S12_S16_S17_S18_S1B_S1C_jS1D_jS1E_S1E_jjS1G_bEUljE0_EEESZ_S10_S11_S18_S1C_S1E_T6_T7_T9_mT8_S1G_bDpT10_ENKUlT_T0_E_clISt17integral_constantIbLb1EES1U_EEDaS1P_S1Q_EUlS1P_E_NS1_11comp_targetILNS1_3genE0ELNS1_11target_archE4294967295ELNS1_3gpuE0ELNS1_3repE0EEENS1_30default_config_static_selectorELNS0_4arch9wavefront6targetE1EEEvS12_.num_agpr, 0
	.set _ZN7rocprim17ROCPRIM_400000_NS6detail17trampoline_kernelINS0_13select_configILj256ELj13ELNS0_17block_load_methodE3ELS4_3ELS4_3ELNS0_20block_scan_algorithmE0ELj4294967295EEENS1_25partition_config_selectorILNS1_17partition_subalgoE4EjNS0_10empty_typeEbEEZZNS1_14partition_implILS8_4ELb0ES6_15HIP_vector_typeIjLj2EENS0_17counting_iteratorIjlEEPS9_SG_NS0_5tupleIJPjSI_NS0_16reverse_iteratorISI_EEEEENSH_IJSG_SG_SG_EEES9_SI_JZNS1_25segmented_radix_sort_implINS0_14default_configELb0EPKdPdPKlPlN2at6native12_GLOBAL__N_18offset_tEEE10hipError_tPvRmT1_PNSt15iterator_traitsIS12_E10value_typeET2_T3_PNS13_IS18_E10value_typeET4_jRbjT5_S1E_jjP12ihipStream_tbEUljE_ZNSN_ISO_Lb0ESQ_SR_ST_SU_SY_EESZ_S10_S11_S12_S16_S17_S18_S1B_S1C_jS1D_jS1E_S1E_jjS1G_bEUljE0_EEESZ_S10_S11_S18_S1C_S1E_T6_T7_T9_mT8_S1G_bDpT10_ENKUlT_T0_E_clISt17integral_constantIbLb1EES1U_EEDaS1P_S1Q_EUlS1P_E_NS1_11comp_targetILNS1_3genE0ELNS1_11target_archE4294967295ELNS1_3gpuE0ELNS1_3repE0EEENS1_30default_config_static_selectorELNS0_4arch9wavefront6targetE1EEEvS12_.numbered_sgpr, 0
	.set _ZN7rocprim17ROCPRIM_400000_NS6detail17trampoline_kernelINS0_13select_configILj256ELj13ELNS0_17block_load_methodE3ELS4_3ELS4_3ELNS0_20block_scan_algorithmE0ELj4294967295EEENS1_25partition_config_selectorILNS1_17partition_subalgoE4EjNS0_10empty_typeEbEEZZNS1_14partition_implILS8_4ELb0ES6_15HIP_vector_typeIjLj2EENS0_17counting_iteratorIjlEEPS9_SG_NS0_5tupleIJPjSI_NS0_16reverse_iteratorISI_EEEEENSH_IJSG_SG_SG_EEES9_SI_JZNS1_25segmented_radix_sort_implINS0_14default_configELb0EPKdPdPKlPlN2at6native12_GLOBAL__N_18offset_tEEE10hipError_tPvRmT1_PNSt15iterator_traitsIS12_E10value_typeET2_T3_PNS13_IS18_E10value_typeET4_jRbjT5_S1E_jjP12ihipStream_tbEUljE_ZNSN_ISO_Lb0ESQ_SR_ST_SU_SY_EESZ_S10_S11_S12_S16_S17_S18_S1B_S1C_jS1D_jS1E_S1E_jjS1G_bEUljE0_EEESZ_S10_S11_S18_S1C_S1E_T6_T7_T9_mT8_S1G_bDpT10_ENKUlT_T0_E_clISt17integral_constantIbLb1EES1U_EEDaS1P_S1Q_EUlS1P_E_NS1_11comp_targetILNS1_3genE0ELNS1_11target_archE4294967295ELNS1_3gpuE0ELNS1_3repE0EEENS1_30default_config_static_selectorELNS0_4arch9wavefront6targetE1EEEvS12_.num_named_barrier, 0
	.set _ZN7rocprim17ROCPRIM_400000_NS6detail17trampoline_kernelINS0_13select_configILj256ELj13ELNS0_17block_load_methodE3ELS4_3ELS4_3ELNS0_20block_scan_algorithmE0ELj4294967295EEENS1_25partition_config_selectorILNS1_17partition_subalgoE4EjNS0_10empty_typeEbEEZZNS1_14partition_implILS8_4ELb0ES6_15HIP_vector_typeIjLj2EENS0_17counting_iteratorIjlEEPS9_SG_NS0_5tupleIJPjSI_NS0_16reverse_iteratorISI_EEEEENSH_IJSG_SG_SG_EEES9_SI_JZNS1_25segmented_radix_sort_implINS0_14default_configELb0EPKdPdPKlPlN2at6native12_GLOBAL__N_18offset_tEEE10hipError_tPvRmT1_PNSt15iterator_traitsIS12_E10value_typeET2_T3_PNS13_IS18_E10value_typeET4_jRbjT5_S1E_jjP12ihipStream_tbEUljE_ZNSN_ISO_Lb0ESQ_SR_ST_SU_SY_EESZ_S10_S11_S12_S16_S17_S18_S1B_S1C_jS1D_jS1E_S1E_jjS1G_bEUljE0_EEESZ_S10_S11_S18_S1C_S1E_T6_T7_T9_mT8_S1G_bDpT10_ENKUlT_T0_E_clISt17integral_constantIbLb1EES1U_EEDaS1P_S1Q_EUlS1P_E_NS1_11comp_targetILNS1_3genE0ELNS1_11target_archE4294967295ELNS1_3gpuE0ELNS1_3repE0EEENS1_30default_config_static_selectorELNS0_4arch9wavefront6targetE1EEEvS12_.private_seg_size, 0
	.set _ZN7rocprim17ROCPRIM_400000_NS6detail17trampoline_kernelINS0_13select_configILj256ELj13ELNS0_17block_load_methodE3ELS4_3ELS4_3ELNS0_20block_scan_algorithmE0ELj4294967295EEENS1_25partition_config_selectorILNS1_17partition_subalgoE4EjNS0_10empty_typeEbEEZZNS1_14partition_implILS8_4ELb0ES6_15HIP_vector_typeIjLj2EENS0_17counting_iteratorIjlEEPS9_SG_NS0_5tupleIJPjSI_NS0_16reverse_iteratorISI_EEEEENSH_IJSG_SG_SG_EEES9_SI_JZNS1_25segmented_radix_sort_implINS0_14default_configELb0EPKdPdPKlPlN2at6native12_GLOBAL__N_18offset_tEEE10hipError_tPvRmT1_PNSt15iterator_traitsIS12_E10value_typeET2_T3_PNS13_IS18_E10value_typeET4_jRbjT5_S1E_jjP12ihipStream_tbEUljE_ZNSN_ISO_Lb0ESQ_SR_ST_SU_SY_EESZ_S10_S11_S12_S16_S17_S18_S1B_S1C_jS1D_jS1E_S1E_jjS1G_bEUljE0_EEESZ_S10_S11_S18_S1C_S1E_T6_T7_T9_mT8_S1G_bDpT10_ENKUlT_T0_E_clISt17integral_constantIbLb1EES1U_EEDaS1P_S1Q_EUlS1P_E_NS1_11comp_targetILNS1_3genE0ELNS1_11target_archE4294967295ELNS1_3gpuE0ELNS1_3repE0EEENS1_30default_config_static_selectorELNS0_4arch9wavefront6targetE1EEEvS12_.uses_vcc, 0
	.set _ZN7rocprim17ROCPRIM_400000_NS6detail17trampoline_kernelINS0_13select_configILj256ELj13ELNS0_17block_load_methodE3ELS4_3ELS4_3ELNS0_20block_scan_algorithmE0ELj4294967295EEENS1_25partition_config_selectorILNS1_17partition_subalgoE4EjNS0_10empty_typeEbEEZZNS1_14partition_implILS8_4ELb0ES6_15HIP_vector_typeIjLj2EENS0_17counting_iteratorIjlEEPS9_SG_NS0_5tupleIJPjSI_NS0_16reverse_iteratorISI_EEEEENSH_IJSG_SG_SG_EEES9_SI_JZNS1_25segmented_radix_sort_implINS0_14default_configELb0EPKdPdPKlPlN2at6native12_GLOBAL__N_18offset_tEEE10hipError_tPvRmT1_PNSt15iterator_traitsIS12_E10value_typeET2_T3_PNS13_IS18_E10value_typeET4_jRbjT5_S1E_jjP12ihipStream_tbEUljE_ZNSN_ISO_Lb0ESQ_SR_ST_SU_SY_EESZ_S10_S11_S12_S16_S17_S18_S1B_S1C_jS1D_jS1E_S1E_jjS1G_bEUljE0_EEESZ_S10_S11_S18_S1C_S1E_T6_T7_T9_mT8_S1G_bDpT10_ENKUlT_T0_E_clISt17integral_constantIbLb1EES1U_EEDaS1P_S1Q_EUlS1P_E_NS1_11comp_targetILNS1_3genE0ELNS1_11target_archE4294967295ELNS1_3gpuE0ELNS1_3repE0EEENS1_30default_config_static_selectorELNS0_4arch9wavefront6targetE1EEEvS12_.uses_flat_scratch, 0
	.set _ZN7rocprim17ROCPRIM_400000_NS6detail17trampoline_kernelINS0_13select_configILj256ELj13ELNS0_17block_load_methodE3ELS4_3ELS4_3ELNS0_20block_scan_algorithmE0ELj4294967295EEENS1_25partition_config_selectorILNS1_17partition_subalgoE4EjNS0_10empty_typeEbEEZZNS1_14partition_implILS8_4ELb0ES6_15HIP_vector_typeIjLj2EENS0_17counting_iteratorIjlEEPS9_SG_NS0_5tupleIJPjSI_NS0_16reverse_iteratorISI_EEEEENSH_IJSG_SG_SG_EEES9_SI_JZNS1_25segmented_radix_sort_implINS0_14default_configELb0EPKdPdPKlPlN2at6native12_GLOBAL__N_18offset_tEEE10hipError_tPvRmT1_PNSt15iterator_traitsIS12_E10value_typeET2_T3_PNS13_IS18_E10value_typeET4_jRbjT5_S1E_jjP12ihipStream_tbEUljE_ZNSN_ISO_Lb0ESQ_SR_ST_SU_SY_EESZ_S10_S11_S12_S16_S17_S18_S1B_S1C_jS1D_jS1E_S1E_jjS1G_bEUljE0_EEESZ_S10_S11_S18_S1C_S1E_T6_T7_T9_mT8_S1G_bDpT10_ENKUlT_T0_E_clISt17integral_constantIbLb1EES1U_EEDaS1P_S1Q_EUlS1P_E_NS1_11comp_targetILNS1_3genE0ELNS1_11target_archE4294967295ELNS1_3gpuE0ELNS1_3repE0EEENS1_30default_config_static_selectorELNS0_4arch9wavefront6targetE1EEEvS12_.has_dyn_sized_stack, 0
	.set _ZN7rocprim17ROCPRIM_400000_NS6detail17trampoline_kernelINS0_13select_configILj256ELj13ELNS0_17block_load_methodE3ELS4_3ELS4_3ELNS0_20block_scan_algorithmE0ELj4294967295EEENS1_25partition_config_selectorILNS1_17partition_subalgoE4EjNS0_10empty_typeEbEEZZNS1_14partition_implILS8_4ELb0ES6_15HIP_vector_typeIjLj2EENS0_17counting_iteratorIjlEEPS9_SG_NS0_5tupleIJPjSI_NS0_16reverse_iteratorISI_EEEEENSH_IJSG_SG_SG_EEES9_SI_JZNS1_25segmented_radix_sort_implINS0_14default_configELb0EPKdPdPKlPlN2at6native12_GLOBAL__N_18offset_tEEE10hipError_tPvRmT1_PNSt15iterator_traitsIS12_E10value_typeET2_T3_PNS13_IS18_E10value_typeET4_jRbjT5_S1E_jjP12ihipStream_tbEUljE_ZNSN_ISO_Lb0ESQ_SR_ST_SU_SY_EESZ_S10_S11_S12_S16_S17_S18_S1B_S1C_jS1D_jS1E_S1E_jjS1G_bEUljE0_EEESZ_S10_S11_S18_S1C_S1E_T6_T7_T9_mT8_S1G_bDpT10_ENKUlT_T0_E_clISt17integral_constantIbLb1EES1U_EEDaS1P_S1Q_EUlS1P_E_NS1_11comp_targetILNS1_3genE0ELNS1_11target_archE4294967295ELNS1_3gpuE0ELNS1_3repE0EEENS1_30default_config_static_selectorELNS0_4arch9wavefront6targetE1EEEvS12_.has_recursion, 0
	.set _ZN7rocprim17ROCPRIM_400000_NS6detail17trampoline_kernelINS0_13select_configILj256ELj13ELNS0_17block_load_methodE3ELS4_3ELS4_3ELNS0_20block_scan_algorithmE0ELj4294967295EEENS1_25partition_config_selectorILNS1_17partition_subalgoE4EjNS0_10empty_typeEbEEZZNS1_14partition_implILS8_4ELb0ES6_15HIP_vector_typeIjLj2EENS0_17counting_iteratorIjlEEPS9_SG_NS0_5tupleIJPjSI_NS0_16reverse_iteratorISI_EEEEENSH_IJSG_SG_SG_EEES9_SI_JZNS1_25segmented_radix_sort_implINS0_14default_configELb0EPKdPdPKlPlN2at6native12_GLOBAL__N_18offset_tEEE10hipError_tPvRmT1_PNSt15iterator_traitsIS12_E10value_typeET2_T3_PNS13_IS18_E10value_typeET4_jRbjT5_S1E_jjP12ihipStream_tbEUljE_ZNSN_ISO_Lb0ESQ_SR_ST_SU_SY_EESZ_S10_S11_S12_S16_S17_S18_S1B_S1C_jS1D_jS1E_S1E_jjS1G_bEUljE0_EEESZ_S10_S11_S18_S1C_S1E_T6_T7_T9_mT8_S1G_bDpT10_ENKUlT_T0_E_clISt17integral_constantIbLb1EES1U_EEDaS1P_S1Q_EUlS1P_E_NS1_11comp_targetILNS1_3genE0ELNS1_11target_archE4294967295ELNS1_3gpuE0ELNS1_3repE0EEENS1_30default_config_static_selectorELNS0_4arch9wavefront6targetE1EEEvS12_.has_indirect_call, 0
	.section	.AMDGPU.csdata,"",@progbits
; Kernel info:
; codeLenInByte = 0
; TotalNumSgprs: 4
; NumVgprs: 0
; ScratchSize: 0
; MemoryBound: 0
; FloatMode: 240
; IeeeMode: 1
; LDSByteSize: 0 bytes/workgroup (compile time only)
; SGPRBlocks: 0
; VGPRBlocks: 0
; NumSGPRsForWavesPerEU: 4
; NumVGPRsForWavesPerEU: 1
; Occupancy: 10
; WaveLimiterHint : 0
; COMPUTE_PGM_RSRC2:SCRATCH_EN: 0
; COMPUTE_PGM_RSRC2:USER_SGPR: 6
; COMPUTE_PGM_RSRC2:TRAP_HANDLER: 0
; COMPUTE_PGM_RSRC2:TGID_X_EN: 1
; COMPUTE_PGM_RSRC2:TGID_Y_EN: 0
; COMPUTE_PGM_RSRC2:TGID_Z_EN: 0
; COMPUTE_PGM_RSRC2:TIDIG_COMP_CNT: 0
	.section	.text._ZN7rocprim17ROCPRIM_400000_NS6detail17trampoline_kernelINS0_13select_configILj256ELj13ELNS0_17block_load_methodE3ELS4_3ELS4_3ELNS0_20block_scan_algorithmE0ELj4294967295EEENS1_25partition_config_selectorILNS1_17partition_subalgoE4EjNS0_10empty_typeEbEEZZNS1_14partition_implILS8_4ELb0ES6_15HIP_vector_typeIjLj2EENS0_17counting_iteratorIjlEEPS9_SG_NS0_5tupleIJPjSI_NS0_16reverse_iteratorISI_EEEEENSH_IJSG_SG_SG_EEES9_SI_JZNS1_25segmented_radix_sort_implINS0_14default_configELb0EPKdPdPKlPlN2at6native12_GLOBAL__N_18offset_tEEE10hipError_tPvRmT1_PNSt15iterator_traitsIS12_E10value_typeET2_T3_PNS13_IS18_E10value_typeET4_jRbjT5_S1E_jjP12ihipStream_tbEUljE_ZNSN_ISO_Lb0ESQ_SR_ST_SU_SY_EESZ_S10_S11_S12_S16_S17_S18_S1B_S1C_jS1D_jS1E_S1E_jjS1G_bEUljE0_EEESZ_S10_S11_S18_S1C_S1E_T6_T7_T9_mT8_S1G_bDpT10_ENKUlT_T0_E_clISt17integral_constantIbLb1EES1U_EEDaS1P_S1Q_EUlS1P_E_NS1_11comp_targetILNS1_3genE5ELNS1_11target_archE942ELNS1_3gpuE9ELNS1_3repE0EEENS1_30default_config_static_selectorELNS0_4arch9wavefront6targetE1EEEvS12_,"axG",@progbits,_ZN7rocprim17ROCPRIM_400000_NS6detail17trampoline_kernelINS0_13select_configILj256ELj13ELNS0_17block_load_methodE3ELS4_3ELS4_3ELNS0_20block_scan_algorithmE0ELj4294967295EEENS1_25partition_config_selectorILNS1_17partition_subalgoE4EjNS0_10empty_typeEbEEZZNS1_14partition_implILS8_4ELb0ES6_15HIP_vector_typeIjLj2EENS0_17counting_iteratorIjlEEPS9_SG_NS0_5tupleIJPjSI_NS0_16reverse_iteratorISI_EEEEENSH_IJSG_SG_SG_EEES9_SI_JZNS1_25segmented_radix_sort_implINS0_14default_configELb0EPKdPdPKlPlN2at6native12_GLOBAL__N_18offset_tEEE10hipError_tPvRmT1_PNSt15iterator_traitsIS12_E10value_typeET2_T3_PNS13_IS18_E10value_typeET4_jRbjT5_S1E_jjP12ihipStream_tbEUljE_ZNSN_ISO_Lb0ESQ_SR_ST_SU_SY_EESZ_S10_S11_S12_S16_S17_S18_S1B_S1C_jS1D_jS1E_S1E_jjS1G_bEUljE0_EEESZ_S10_S11_S18_S1C_S1E_T6_T7_T9_mT8_S1G_bDpT10_ENKUlT_T0_E_clISt17integral_constantIbLb1EES1U_EEDaS1P_S1Q_EUlS1P_E_NS1_11comp_targetILNS1_3genE5ELNS1_11target_archE942ELNS1_3gpuE9ELNS1_3repE0EEENS1_30default_config_static_selectorELNS0_4arch9wavefront6targetE1EEEvS12_,comdat
	.globl	_ZN7rocprim17ROCPRIM_400000_NS6detail17trampoline_kernelINS0_13select_configILj256ELj13ELNS0_17block_load_methodE3ELS4_3ELS4_3ELNS0_20block_scan_algorithmE0ELj4294967295EEENS1_25partition_config_selectorILNS1_17partition_subalgoE4EjNS0_10empty_typeEbEEZZNS1_14partition_implILS8_4ELb0ES6_15HIP_vector_typeIjLj2EENS0_17counting_iteratorIjlEEPS9_SG_NS0_5tupleIJPjSI_NS0_16reverse_iteratorISI_EEEEENSH_IJSG_SG_SG_EEES9_SI_JZNS1_25segmented_radix_sort_implINS0_14default_configELb0EPKdPdPKlPlN2at6native12_GLOBAL__N_18offset_tEEE10hipError_tPvRmT1_PNSt15iterator_traitsIS12_E10value_typeET2_T3_PNS13_IS18_E10value_typeET4_jRbjT5_S1E_jjP12ihipStream_tbEUljE_ZNSN_ISO_Lb0ESQ_SR_ST_SU_SY_EESZ_S10_S11_S12_S16_S17_S18_S1B_S1C_jS1D_jS1E_S1E_jjS1G_bEUljE0_EEESZ_S10_S11_S18_S1C_S1E_T6_T7_T9_mT8_S1G_bDpT10_ENKUlT_T0_E_clISt17integral_constantIbLb1EES1U_EEDaS1P_S1Q_EUlS1P_E_NS1_11comp_targetILNS1_3genE5ELNS1_11target_archE942ELNS1_3gpuE9ELNS1_3repE0EEENS1_30default_config_static_selectorELNS0_4arch9wavefront6targetE1EEEvS12_ ; -- Begin function _ZN7rocprim17ROCPRIM_400000_NS6detail17trampoline_kernelINS0_13select_configILj256ELj13ELNS0_17block_load_methodE3ELS4_3ELS4_3ELNS0_20block_scan_algorithmE0ELj4294967295EEENS1_25partition_config_selectorILNS1_17partition_subalgoE4EjNS0_10empty_typeEbEEZZNS1_14partition_implILS8_4ELb0ES6_15HIP_vector_typeIjLj2EENS0_17counting_iteratorIjlEEPS9_SG_NS0_5tupleIJPjSI_NS0_16reverse_iteratorISI_EEEEENSH_IJSG_SG_SG_EEES9_SI_JZNS1_25segmented_radix_sort_implINS0_14default_configELb0EPKdPdPKlPlN2at6native12_GLOBAL__N_18offset_tEEE10hipError_tPvRmT1_PNSt15iterator_traitsIS12_E10value_typeET2_T3_PNS13_IS18_E10value_typeET4_jRbjT5_S1E_jjP12ihipStream_tbEUljE_ZNSN_ISO_Lb0ESQ_SR_ST_SU_SY_EESZ_S10_S11_S12_S16_S17_S18_S1B_S1C_jS1D_jS1E_S1E_jjS1G_bEUljE0_EEESZ_S10_S11_S18_S1C_S1E_T6_T7_T9_mT8_S1G_bDpT10_ENKUlT_T0_E_clISt17integral_constantIbLb1EES1U_EEDaS1P_S1Q_EUlS1P_E_NS1_11comp_targetILNS1_3genE5ELNS1_11target_archE942ELNS1_3gpuE9ELNS1_3repE0EEENS1_30default_config_static_selectorELNS0_4arch9wavefront6targetE1EEEvS12_
	.p2align	8
	.type	_ZN7rocprim17ROCPRIM_400000_NS6detail17trampoline_kernelINS0_13select_configILj256ELj13ELNS0_17block_load_methodE3ELS4_3ELS4_3ELNS0_20block_scan_algorithmE0ELj4294967295EEENS1_25partition_config_selectorILNS1_17partition_subalgoE4EjNS0_10empty_typeEbEEZZNS1_14partition_implILS8_4ELb0ES6_15HIP_vector_typeIjLj2EENS0_17counting_iteratorIjlEEPS9_SG_NS0_5tupleIJPjSI_NS0_16reverse_iteratorISI_EEEEENSH_IJSG_SG_SG_EEES9_SI_JZNS1_25segmented_radix_sort_implINS0_14default_configELb0EPKdPdPKlPlN2at6native12_GLOBAL__N_18offset_tEEE10hipError_tPvRmT1_PNSt15iterator_traitsIS12_E10value_typeET2_T3_PNS13_IS18_E10value_typeET4_jRbjT5_S1E_jjP12ihipStream_tbEUljE_ZNSN_ISO_Lb0ESQ_SR_ST_SU_SY_EESZ_S10_S11_S12_S16_S17_S18_S1B_S1C_jS1D_jS1E_S1E_jjS1G_bEUljE0_EEESZ_S10_S11_S18_S1C_S1E_T6_T7_T9_mT8_S1G_bDpT10_ENKUlT_T0_E_clISt17integral_constantIbLb1EES1U_EEDaS1P_S1Q_EUlS1P_E_NS1_11comp_targetILNS1_3genE5ELNS1_11target_archE942ELNS1_3gpuE9ELNS1_3repE0EEENS1_30default_config_static_selectorELNS0_4arch9wavefront6targetE1EEEvS12_,@function
_ZN7rocprim17ROCPRIM_400000_NS6detail17trampoline_kernelINS0_13select_configILj256ELj13ELNS0_17block_load_methodE3ELS4_3ELS4_3ELNS0_20block_scan_algorithmE0ELj4294967295EEENS1_25partition_config_selectorILNS1_17partition_subalgoE4EjNS0_10empty_typeEbEEZZNS1_14partition_implILS8_4ELb0ES6_15HIP_vector_typeIjLj2EENS0_17counting_iteratorIjlEEPS9_SG_NS0_5tupleIJPjSI_NS0_16reverse_iteratorISI_EEEEENSH_IJSG_SG_SG_EEES9_SI_JZNS1_25segmented_radix_sort_implINS0_14default_configELb0EPKdPdPKlPlN2at6native12_GLOBAL__N_18offset_tEEE10hipError_tPvRmT1_PNSt15iterator_traitsIS12_E10value_typeET2_T3_PNS13_IS18_E10value_typeET4_jRbjT5_S1E_jjP12ihipStream_tbEUljE_ZNSN_ISO_Lb0ESQ_SR_ST_SU_SY_EESZ_S10_S11_S12_S16_S17_S18_S1B_S1C_jS1D_jS1E_S1E_jjS1G_bEUljE0_EEESZ_S10_S11_S18_S1C_S1E_T6_T7_T9_mT8_S1G_bDpT10_ENKUlT_T0_E_clISt17integral_constantIbLb1EES1U_EEDaS1P_S1Q_EUlS1P_E_NS1_11comp_targetILNS1_3genE5ELNS1_11target_archE942ELNS1_3gpuE9ELNS1_3repE0EEENS1_30default_config_static_selectorELNS0_4arch9wavefront6targetE1EEEvS12_: ; @_ZN7rocprim17ROCPRIM_400000_NS6detail17trampoline_kernelINS0_13select_configILj256ELj13ELNS0_17block_load_methodE3ELS4_3ELS4_3ELNS0_20block_scan_algorithmE0ELj4294967295EEENS1_25partition_config_selectorILNS1_17partition_subalgoE4EjNS0_10empty_typeEbEEZZNS1_14partition_implILS8_4ELb0ES6_15HIP_vector_typeIjLj2EENS0_17counting_iteratorIjlEEPS9_SG_NS0_5tupleIJPjSI_NS0_16reverse_iteratorISI_EEEEENSH_IJSG_SG_SG_EEES9_SI_JZNS1_25segmented_radix_sort_implINS0_14default_configELb0EPKdPdPKlPlN2at6native12_GLOBAL__N_18offset_tEEE10hipError_tPvRmT1_PNSt15iterator_traitsIS12_E10value_typeET2_T3_PNS13_IS18_E10value_typeET4_jRbjT5_S1E_jjP12ihipStream_tbEUljE_ZNSN_ISO_Lb0ESQ_SR_ST_SU_SY_EESZ_S10_S11_S12_S16_S17_S18_S1B_S1C_jS1D_jS1E_S1E_jjS1G_bEUljE0_EEESZ_S10_S11_S18_S1C_S1E_T6_T7_T9_mT8_S1G_bDpT10_ENKUlT_T0_E_clISt17integral_constantIbLb1EES1U_EEDaS1P_S1Q_EUlS1P_E_NS1_11comp_targetILNS1_3genE5ELNS1_11target_archE942ELNS1_3gpuE9ELNS1_3repE0EEENS1_30default_config_static_selectorELNS0_4arch9wavefront6targetE1EEEvS12_
; %bb.0:
	.section	.rodata,"a",@progbits
	.p2align	6, 0x0
	.amdhsa_kernel _ZN7rocprim17ROCPRIM_400000_NS6detail17trampoline_kernelINS0_13select_configILj256ELj13ELNS0_17block_load_methodE3ELS4_3ELS4_3ELNS0_20block_scan_algorithmE0ELj4294967295EEENS1_25partition_config_selectorILNS1_17partition_subalgoE4EjNS0_10empty_typeEbEEZZNS1_14partition_implILS8_4ELb0ES6_15HIP_vector_typeIjLj2EENS0_17counting_iteratorIjlEEPS9_SG_NS0_5tupleIJPjSI_NS0_16reverse_iteratorISI_EEEEENSH_IJSG_SG_SG_EEES9_SI_JZNS1_25segmented_radix_sort_implINS0_14default_configELb0EPKdPdPKlPlN2at6native12_GLOBAL__N_18offset_tEEE10hipError_tPvRmT1_PNSt15iterator_traitsIS12_E10value_typeET2_T3_PNS13_IS18_E10value_typeET4_jRbjT5_S1E_jjP12ihipStream_tbEUljE_ZNSN_ISO_Lb0ESQ_SR_ST_SU_SY_EESZ_S10_S11_S12_S16_S17_S18_S1B_S1C_jS1D_jS1E_S1E_jjS1G_bEUljE0_EEESZ_S10_S11_S18_S1C_S1E_T6_T7_T9_mT8_S1G_bDpT10_ENKUlT_T0_E_clISt17integral_constantIbLb1EES1U_EEDaS1P_S1Q_EUlS1P_E_NS1_11comp_targetILNS1_3genE5ELNS1_11target_archE942ELNS1_3gpuE9ELNS1_3repE0EEENS1_30default_config_static_selectorELNS0_4arch9wavefront6targetE1EEEvS12_
		.amdhsa_group_segment_fixed_size 0
		.amdhsa_private_segment_fixed_size 0
		.amdhsa_kernarg_size 184
		.amdhsa_user_sgpr_count 6
		.amdhsa_user_sgpr_private_segment_buffer 1
		.amdhsa_user_sgpr_dispatch_ptr 0
		.amdhsa_user_sgpr_queue_ptr 0
		.amdhsa_user_sgpr_kernarg_segment_ptr 1
		.amdhsa_user_sgpr_dispatch_id 0
		.amdhsa_user_sgpr_flat_scratch_init 0
		.amdhsa_user_sgpr_private_segment_size 0
		.amdhsa_uses_dynamic_stack 0
		.amdhsa_system_sgpr_private_segment_wavefront_offset 0
		.amdhsa_system_sgpr_workgroup_id_x 1
		.amdhsa_system_sgpr_workgroup_id_y 0
		.amdhsa_system_sgpr_workgroup_id_z 0
		.amdhsa_system_sgpr_workgroup_info 0
		.amdhsa_system_vgpr_workitem_id 0
		.amdhsa_next_free_vgpr 1
		.amdhsa_next_free_sgpr 0
		.amdhsa_reserve_vcc 0
		.amdhsa_reserve_flat_scratch 0
		.amdhsa_float_round_mode_32 0
		.amdhsa_float_round_mode_16_64 0
		.amdhsa_float_denorm_mode_32 3
		.amdhsa_float_denorm_mode_16_64 3
		.amdhsa_dx10_clamp 1
		.amdhsa_ieee_mode 1
		.amdhsa_fp16_overflow 0
		.amdhsa_exception_fp_ieee_invalid_op 0
		.amdhsa_exception_fp_denorm_src 0
		.amdhsa_exception_fp_ieee_div_zero 0
		.amdhsa_exception_fp_ieee_overflow 0
		.amdhsa_exception_fp_ieee_underflow 0
		.amdhsa_exception_fp_ieee_inexact 0
		.amdhsa_exception_int_div_zero 0
	.end_amdhsa_kernel
	.section	.text._ZN7rocprim17ROCPRIM_400000_NS6detail17trampoline_kernelINS0_13select_configILj256ELj13ELNS0_17block_load_methodE3ELS4_3ELS4_3ELNS0_20block_scan_algorithmE0ELj4294967295EEENS1_25partition_config_selectorILNS1_17partition_subalgoE4EjNS0_10empty_typeEbEEZZNS1_14partition_implILS8_4ELb0ES6_15HIP_vector_typeIjLj2EENS0_17counting_iteratorIjlEEPS9_SG_NS0_5tupleIJPjSI_NS0_16reverse_iteratorISI_EEEEENSH_IJSG_SG_SG_EEES9_SI_JZNS1_25segmented_radix_sort_implINS0_14default_configELb0EPKdPdPKlPlN2at6native12_GLOBAL__N_18offset_tEEE10hipError_tPvRmT1_PNSt15iterator_traitsIS12_E10value_typeET2_T3_PNS13_IS18_E10value_typeET4_jRbjT5_S1E_jjP12ihipStream_tbEUljE_ZNSN_ISO_Lb0ESQ_SR_ST_SU_SY_EESZ_S10_S11_S12_S16_S17_S18_S1B_S1C_jS1D_jS1E_S1E_jjS1G_bEUljE0_EEESZ_S10_S11_S18_S1C_S1E_T6_T7_T9_mT8_S1G_bDpT10_ENKUlT_T0_E_clISt17integral_constantIbLb1EES1U_EEDaS1P_S1Q_EUlS1P_E_NS1_11comp_targetILNS1_3genE5ELNS1_11target_archE942ELNS1_3gpuE9ELNS1_3repE0EEENS1_30default_config_static_selectorELNS0_4arch9wavefront6targetE1EEEvS12_,"axG",@progbits,_ZN7rocprim17ROCPRIM_400000_NS6detail17trampoline_kernelINS0_13select_configILj256ELj13ELNS0_17block_load_methodE3ELS4_3ELS4_3ELNS0_20block_scan_algorithmE0ELj4294967295EEENS1_25partition_config_selectorILNS1_17partition_subalgoE4EjNS0_10empty_typeEbEEZZNS1_14partition_implILS8_4ELb0ES6_15HIP_vector_typeIjLj2EENS0_17counting_iteratorIjlEEPS9_SG_NS0_5tupleIJPjSI_NS0_16reverse_iteratorISI_EEEEENSH_IJSG_SG_SG_EEES9_SI_JZNS1_25segmented_radix_sort_implINS0_14default_configELb0EPKdPdPKlPlN2at6native12_GLOBAL__N_18offset_tEEE10hipError_tPvRmT1_PNSt15iterator_traitsIS12_E10value_typeET2_T3_PNS13_IS18_E10value_typeET4_jRbjT5_S1E_jjP12ihipStream_tbEUljE_ZNSN_ISO_Lb0ESQ_SR_ST_SU_SY_EESZ_S10_S11_S12_S16_S17_S18_S1B_S1C_jS1D_jS1E_S1E_jjS1G_bEUljE0_EEESZ_S10_S11_S18_S1C_S1E_T6_T7_T9_mT8_S1G_bDpT10_ENKUlT_T0_E_clISt17integral_constantIbLb1EES1U_EEDaS1P_S1Q_EUlS1P_E_NS1_11comp_targetILNS1_3genE5ELNS1_11target_archE942ELNS1_3gpuE9ELNS1_3repE0EEENS1_30default_config_static_selectorELNS0_4arch9wavefront6targetE1EEEvS12_,comdat
.Lfunc_end1166:
	.size	_ZN7rocprim17ROCPRIM_400000_NS6detail17trampoline_kernelINS0_13select_configILj256ELj13ELNS0_17block_load_methodE3ELS4_3ELS4_3ELNS0_20block_scan_algorithmE0ELj4294967295EEENS1_25partition_config_selectorILNS1_17partition_subalgoE4EjNS0_10empty_typeEbEEZZNS1_14partition_implILS8_4ELb0ES6_15HIP_vector_typeIjLj2EENS0_17counting_iteratorIjlEEPS9_SG_NS0_5tupleIJPjSI_NS0_16reverse_iteratorISI_EEEEENSH_IJSG_SG_SG_EEES9_SI_JZNS1_25segmented_radix_sort_implINS0_14default_configELb0EPKdPdPKlPlN2at6native12_GLOBAL__N_18offset_tEEE10hipError_tPvRmT1_PNSt15iterator_traitsIS12_E10value_typeET2_T3_PNS13_IS18_E10value_typeET4_jRbjT5_S1E_jjP12ihipStream_tbEUljE_ZNSN_ISO_Lb0ESQ_SR_ST_SU_SY_EESZ_S10_S11_S12_S16_S17_S18_S1B_S1C_jS1D_jS1E_S1E_jjS1G_bEUljE0_EEESZ_S10_S11_S18_S1C_S1E_T6_T7_T9_mT8_S1G_bDpT10_ENKUlT_T0_E_clISt17integral_constantIbLb1EES1U_EEDaS1P_S1Q_EUlS1P_E_NS1_11comp_targetILNS1_3genE5ELNS1_11target_archE942ELNS1_3gpuE9ELNS1_3repE0EEENS1_30default_config_static_selectorELNS0_4arch9wavefront6targetE1EEEvS12_, .Lfunc_end1166-_ZN7rocprim17ROCPRIM_400000_NS6detail17trampoline_kernelINS0_13select_configILj256ELj13ELNS0_17block_load_methodE3ELS4_3ELS4_3ELNS0_20block_scan_algorithmE0ELj4294967295EEENS1_25partition_config_selectorILNS1_17partition_subalgoE4EjNS0_10empty_typeEbEEZZNS1_14partition_implILS8_4ELb0ES6_15HIP_vector_typeIjLj2EENS0_17counting_iteratorIjlEEPS9_SG_NS0_5tupleIJPjSI_NS0_16reverse_iteratorISI_EEEEENSH_IJSG_SG_SG_EEES9_SI_JZNS1_25segmented_radix_sort_implINS0_14default_configELb0EPKdPdPKlPlN2at6native12_GLOBAL__N_18offset_tEEE10hipError_tPvRmT1_PNSt15iterator_traitsIS12_E10value_typeET2_T3_PNS13_IS18_E10value_typeET4_jRbjT5_S1E_jjP12ihipStream_tbEUljE_ZNSN_ISO_Lb0ESQ_SR_ST_SU_SY_EESZ_S10_S11_S12_S16_S17_S18_S1B_S1C_jS1D_jS1E_S1E_jjS1G_bEUljE0_EEESZ_S10_S11_S18_S1C_S1E_T6_T7_T9_mT8_S1G_bDpT10_ENKUlT_T0_E_clISt17integral_constantIbLb1EES1U_EEDaS1P_S1Q_EUlS1P_E_NS1_11comp_targetILNS1_3genE5ELNS1_11target_archE942ELNS1_3gpuE9ELNS1_3repE0EEENS1_30default_config_static_selectorELNS0_4arch9wavefront6targetE1EEEvS12_
                                        ; -- End function
	.set _ZN7rocprim17ROCPRIM_400000_NS6detail17trampoline_kernelINS0_13select_configILj256ELj13ELNS0_17block_load_methodE3ELS4_3ELS4_3ELNS0_20block_scan_algorithmE0ELj4294967295EEENS1_25partition_config_selectorILNS1_17partition_subalgoE4EjNS0_10empty_typeEbEEZZNS1_14partition_implILS8_4ELb0ES6_15HIP_vector_typeIjLj2EENS0_17counting_iteratorIjlEEPS9_SG_NS0_5tupleIJPjSI_NS0_16reverse_iteratorISI_EEEEENSH_IJSG_SG_SG_EEES9_SI_JZNS1_25segmented_radix_sort_implINS0_14default_configELb0EPKdPdPKlPlN2at6native12_GLOBAL__N_18offset_tEEE10hipError_tPvRmT1_PNSt15iterator_traitsIS12_E10value_typeET2_T3_PNS13_IS18_E10value_typeET4_jRbjT5_S1E_jjP12ihipStream_tbEUljE_ZNSN_ISO_Lb0ESQ_SR_ST_SU_SY_EESZ_S10_S11_S12_S16_S17_S18_S1B_S1C_jS1D_jS1E_S1E_jjS1G_bEUljE0_EEESZ_S10_S11_S18_S1C_S1E_T6_T7_T9_mT8_S1G_bDpT10_ENKUlT_T0_E_clISt17integral_constantIbLb1EES1U_EEDaS1P_S1Q_EUlS1P_E_NS1_11comp_targetILNS1_3genE5ELNS1_11target_archE942ELNS1_3gpuE9ELNS1_3repE0EEENS1_30default_config_static_selectorELNS0_4arch9wavefront6targetE1EEEvS12_.num_vgpr, 0
	.set _ZN7rocprim17ROCPRIM_400000_NS6detail17trampoline_kernelINS0_13select_configILj256ELj13ELNS0_17block_load_methodE3ELS4_3ELS4_3ELNS0_20block_scan_algorithmE0ELj4294967295EEENS1_25partition_config_selectorILNS1_17partition_subalgoE4EjNS0_10empty_typeEbEEZZNS1_14partition_implILS8_4ELb0ES6_15HIP_vector_typeIjLj2EENS0_17counting_iteratorIjlEEPS9_SG_NS0_5tupleIJPjSI_NS0_16reverse_iteratorISI_EEEEENSH_IJSG_SG_SG_EEES9_SI_JZNS1_25segmented_radix_sort_implINS0_14default_configELb0EPKdPdPKlPlN2at6native12_GLOBAL__N_18offset_tEEE10hipError_tPvRmT1_PNSt15iterator_traitsIS12_E10value_typeET2_T3_PNS13_IS18_E10value_typeET4_jRbjT5_S1E_jjP12ihipStream_tbEUljE_ZNSN_ISO_Lb0ESQ_SR_ST_SU_SY_EESZ_S10_S11_S12_S16_S17_S18_S1B_S1C_jS1D_jS1E_S1E_jjS1G_bEUljE0_EEESZ_S10_S11_S18_S1C_S1E_T6_T7_T9_mT8_S1G_bDpT10_ENKUlT_T0_E_clISt17integral_constantIbLb1EES1U_EEDaS1P_S1Q_EUlS1P_E_NS1_11comp_targetILNS1_3genE5ELNS1_11target_archE942ELNS1_3gpuE9ELNS1_3repE0EEENS1_30default_config_static_selectorELNS0_4arch9wavefront6targetE1EEEvS12_.num_agpr, 0
	.set _ZN7rocprim17ROCPRIM_400000_NS6detail17trampoline_kernelINS0_13select_configILj256ELj13ELNS0_17block_load_methodE3ELS4_3ELS4_3ELNS0_20block_scan_algorithmE0ELj4294967295EEENS1_25partition_config_selectorILNS1_17partition_subalgoE4EjNS0_10empty_typeEbEEZZNS1_14partition_implILS8_4ELb0ES6_15HIP_vector_typeIjLj2EENS0_17counting_iteratorIjlEEPS9_SG_NS0_5tupleIJPjSI_NS0_16reverse_iteratorISI_EEEEENSH_IJSG_SG_SG_EEES9_SI_JZNS1_25segmented_radix_sort_implINS0_14default_configELb0EPKdPdPKlPlN2at6native12_GLOBAL__N_18offset_tEEE10hipError_tPvRmT1_PNSt15iterator_traitsIS12_E10value_typeET2_T3_PNS13_IS18_E10value_typeET4_jRbjT5_S1E_jjP12ihipStream_tbEUljE_ZNSN_ISO_Lb0ESQ_SR_ST_SU_SY_EESZ_S10_S11_S12_S16_S17_S18_S1B_S1C_jS1D_jS1E_S1E_jjS1G_bEUljE0_EEESZ_S10_S11_S18_S1C_S1E_T6_T7_T9_mT8_S1G_bDpT10_ENKUlT_T0_E_clISt17integral_constantIbLb1EES1U_EEDaS1P_S1Q_EUlS1P_E_NS1_11comp_targetILNS1_3genE5ELNS1_11target_archE942ELNS1_3gpuE9ELNS1_3repE0EEENS1_30default_config_static_selectorELNS0_4arch9wavefront6targetE1EEEvS12_.numbered_sgpr, 0
	.set _ZN7rocprim17ROCPRIM_400000_NS6detail17trampoline_kernelINS0_13select_configILj256ELj13ELNS0_17block_load_methodE3ELS4_3ELS4_3ELNS0_20block_scan_algorithmE0ELj4294967295EEENS1_25partition_config_selectorILNS1_17partition_subalgoE4EjNS0_10empty_typeEbEEZZNS1_14partition_implILS8_4ELb0ES6_15HIP_vector_typeIjLj2EENS0_17counting_iteratorIjlEEPS9_SG_NS0_5tupleIJPjSI_NS0_16reverse_iteratorISI_EEEEENSH_IJSG_SG_SG_EEES9_SI_JZNS1_25segmented_radix_sort_implINS0_14default_configELb0EPKdPdPKlPlN2at6native12_GLOBAL__N_18offset_tEEE10hipError_tPvRmT1_PNSt15iterator_traitsIS12_E10value_typeET2_T3_PNS13_IS18_E10value_typeET4_jRbjT5_S1E_jjP12ihipStream_tbEUljE_ZNSN_ISO_Lb0ESQ_SR_ST_SU_SY_EESZ_S10_S11_S12_S16_S17_S18_S1B_S1C_jS1D_jS1E_S1E_jjS1G_bEUljE0_EEESZ_S10_S11_S18_S1C_S1E_T6_T7_T9_mT8_S1G_bDpT10_ENKUlT_T0_E_clISt17integral_constantIbLb1EES1U_EEDaS1P_S1Q_EUlS1P_E_NS1_11comp_targetILNS1_3genE5ELNS1_11target_archE942ELNS1_3gpuE9ELNS1_3repE0EEENS1_30default_config_static_selectorELNS0_4arch9wavefront6targetE1EEEvS12_.num_named_barrier, 0
	.set _ZN7rocprim17ROCPRIM_400000_NS6detail17trampoline_kernelINS0_13select_configILj256ELj13ELNS0_17block_load_methodE3ELS4_3ELS4_3ELNS0_20block_scan_algorithmE0ELj4294967295EEENS1_25partition_config_selectorILNS1_17partition_subalgoE4EjNS0_10empty_typeEbEEZZNS1_14partition_implILS8_4ELb0ES6_15HIP_vector_typeIjLj2EENS0_17counting_iteratorIjlEEPS9_SG_NS0_5tupleIJPjSI_NS0_16reverse_iteratorISI_EEEEENSH_IJSG_SG_SG_EEES9_SI_JZNS1_25segmented_radix_sort_implINS0_14default_configELb0EPKdPdPKlPlN2at6native12_GLOBAL__N_18offset_tEEE10hipError_tPvRmT1_PNSt15iterator_traitsIS12_E10value_typeET2_T3_PNS13_IS18_E10value_typeET4_jRbjT5_S1E_jjP12ihipStream_tbEUljE_ZNSN_ISO_Lb0ESQ_SR_ST_SU_SY_EESZ_S10_S11_S12_S16_S17_S18_S1B_S1C_jS1D_jS1E_S1E_jjS1G_bEUljE0_EEESZ_S10_S11_S18_S1C_S1E_T6_T7_T9_mT8_S1G_bDpT10_ENKUlT_T0_E_clISt17integral_constantIbLb1EES1U_EEDaS1P_S1Q_EUlS1P_E_NS1_11comp_targetILNS1_3genE5ELNS1_11target_archE942ELNS1_3gpuE9ELNS1_3repE0EEENS1_30default_config_static_selectorELNS0_4arch9wavefront6targetE1EEEvS12_.private_seg_size, 0
	.set _ZN7rocprim17ROCPRIM_400000_NS6detail17trampoline_kernelINS0_13select_configILj256ELj13ELNS0_17block_load_methodE3ELS4_3ELS4_3ELNS0_20block_scan_algorithmE0ELj4294967295EEENS1_25partition_config_selectorILNS1_17partition_subalgoE4EjNS0_10empty_typeEbEEZZNS1_14partition_implILS8_4ELb0ES6_15HIP_vector_typeIjLj2EENS0_17counting_iteratorIjlEEPS9_SG_NS0_5tupleIJPjSI_NS0_16reverse_iteratorISI_EEEEENSH_IJSG_SG_SG_EEES9_SI_JZNS1_25segmented_radix_sort_implINS0_14default_configELb0EPKdPdPKlPlN2at6native12_GLOBAL__N_18offset_tEEE10hipError_tPvRmT1_PNSt15iterator_traitsIS12_E10value_typeET2_T3_PNS13_IS18_E10value_typeET4_jRbjT5_S1E_jjP12ihipStream_tbEUljE_ZNSN_ISO_Lb0ESQ_SR_ST_SU_SY_EESZ_S10_S11_S12_S16_S17_S18_S1B_S1C_jS1D_jS1E_S1E_jjS1G_bEUljE0_EEESZ_S10_S11_S18_S1C_S1E_T6_T7_T9_mT8_S1G_bDpT10_ENKUlT_T0_E_clISt17integral_constantIbLb1EES1U_EEDaS1P_S1Q_EUlS1P_E_NS1_11comp_targetILNS1_3genE5ELNS1_11target_archE942ELNS1_3gpuE9ELNS1_3repE0EEENS1_30default_config_static_selectorELNS0_4arch9wavefront6targetE1EEEvS12_.uses_vcc, 0
	.set _ZN7rocprim17ROCPRIM_400000_NS6detail17trampoline_kernelINS0_13select_configILj256ELj13ELNS0_17block_load_methodE3ELS4_3ELS4_3ELNS0_20block_scan_algorithmE0ELj4294967295EEENS1_25partition_config_selectorILNS1_17partition_subalgoE4EjNS0_10empty_typeEbEEZZNS1_14partition_implILS8_4ELb0ES6_15HIP_vector_typeIjLj2EENS0_17counting_iteratorIjlEEPS9_SG_NS0_5tupleIJPjSI_NS0_16reverse_iteratorISI_EEEEENSH_IJSG_SG_SG_EEES9_SI_JZNS1_25segmented_radix_sort_implINS0_14default_configELb0EPKdPdPKlPlN2at6native12_GLOBAL__N_18offset_tEEE10hipError_tPvRmT1_PNSt15iterator_traitsIS12_E10value_typeET2_T3_PNS13_IS18_E10value_typeET4_jRbjT5_S1E_jjP12ihipStream_tbEUljE_ZNSN_ISO_Lb0ESQ_SR_ST_SU_SY_EESZ_S10_S11_S12_S16_S17_S18_S1B_S1C_jS1D_jS1E_S1E_jjS1G_bEUljE0_EEESZ_S10_S11_S18_S1C_S1E_T6_T7_T9_mT8_S1G_bDpT10_ENKUlT_T0_E_clISt17integral_constantIbLb1EES1U_EEDaS1P_S1Q_EUlS1P_E_NS1_11comp_targetILNS1_3genE5ELNS1_11target_archE942ELNS1_3gpuE9ELNS1_3repE0EEENS1_30default_config_static_selectorELNS0_4arch9wavefront6targetE1EEEvS12_.uses_flat_scratch, 0
	.set _ZN7rocprim17ROCPRIM_400000_NS6detail17trampoline_kernelINS0_13select_configILj256ELj13ELNS0_17block_load_methodE3ELS4_3ELS4_3ELNS0_20block_scan_algorithmE0ELj4294967295EEENS1_25partition_config_selectorILNS1_17partition_subalgoE4EjNS0_10empty_typeEbEEZZNS1_14partition_implILS8_4ELb0ES6_15HIP_vector_typeIjLj2EENS0_17counting_iteratorIjlEEPS9_SG_NS0_5tupleIJPjSI_NS0_16reverse_iteratorISI_EEEEENSH_IJSG_SG_SG_EEES9_SI_JZNS1_25segmented_radix_sort_implINS0_14default_configELb0EPKdPdPKlPlN2at6native12_GLOBAL__N_18offset_tEEE10hipError_tPvRmT1_PNSt15iterator_traitsIS12_E10value_typeET2_T3_PNS13_IS18_E10value_typeET4_jRbjT5_S1E_jjP12ihipStream_tbEUljE_ZNSN_ISO_Lb0ESQ_SR_ST_SU_SY_EESZ_S10_S11_S12_S16_S17_S18_S1B_S1C_jS1D_jS1E_S1E_jjS1G_bEUljE0_EEESZ_S10_S11_S18_S1C_S1E_T6_T7_T9_mT8_S1G_bDpT10_ENKUlT_T0_E_clISt17integral_constantIbLb1EES1U_EEDaS1P_S1Q_EUlS1P_E_NS1_11comp_targetILNS1_3genE5ELNS1_11target_archE942ELNS1_3gpuE9ELNS1_3repE0EEENS1_30default_config_static_selectorELNS0_4arch9wavefront6targetE1EEEvS12_.has_dyn_sized_stack, 0
	.set _ZN7rocprim17ROCPRIM_400000_NS6detail17trampoline_kernelINS0_13select_configILj256ELj13ELNS0_17block_load_methodE3ELS4_3ELS4_3ELNS0_20block_scan_algorithmE0ELj4294967295EEENS1_25partition_config_selectorILNS1_17partition_subalgoE4EjNS0_10empty_typeEbEEZZNS1_14partition_implILS8_4ELb0ES6_15HIP_vector_typeIjLj2EENS0_17counting_iteratorIjlEEPS9_SG_NS0_5tupleIJPjSI_NS0_16reverse_iteratorISI_EEEEENSH_IJSG_SG_SG_EEES9_SI_JZNS1_25segmented_radix_sort_implINS0_14default_configELb0EPKdPdPKlPlN2at6native12_GLOBAL__N_18offset_tEEE10hipError_tPvRmT1_PNSt15iterator_traitsIS12_E10value_typeET2_T3_PNS13_IS18_E10value_typeET4_jRbjT5_S1E_jjP12ihipStream_tbEUljE_ZNSN_ISO_Lb0ESQ_SR_ST_SU_SY_EESZ_S10_S11_S12_S16_S17_S18_S1B_S1C_jS1D_jS1E_S1E_jjS1G_bEUljE0_EEESZ_S10_S11_S18_S1C_S1E_T6_T7_T9_mT8_S1G_bDpT10_ENKUlT_T0_E_clISt17integral_constantIbLb1EES1U_EEDaS1P_S1Q_EUlS1P_E_NS1_11comp_targetILNS1_3genE5ELNS1_11target_archE942ELNS1_3gpuE9ELNS1_3repE0EEENS1_30default_config_static_selectorELNS0_4arch9wavefront6targetE1EEEvS12_.has_recursion, 0
	.set _ZN7rocprim17ROCPRIM_400000_NS6detail17trampoline_kernelINS0_13select_configILj256ELj13ELNS0_17block_load_methodE3ELS4_3ELS4_3ELNS0_20block_scan_algorithmE0ELj4294967295EEENS1_25partition_config_selectorILNS1_17partition_subalgoE4EjNS0_10empty_typeEbEEZZNS1_14partition_implILS8_4ELb0ES6_15HIP_vector_typeIjLj2EENS0_17counting_iteratorIjlEEPS9_SG_NS0_5tupleIJPjSI_NS0_16reverse_iteratorISI_EEEEENSH_IJSG_SG_SG_EEES9_SI_JZNS1_25segmented_radix_sort_implINS0_14default_configELb0EPKdPdPKlPlN2at6native12_GLOBAL__N_18offset_tEEE10hipError_tPvRmT1_PNSt15iterator_traitsIS12_E10value_typeET2_T3_PNS13_IS18_E10value_typeET4_jRbjT5_S1E_jjP12ihipStream_tbEUljE_ZNSN_ISO_Lb0ESQ_SR_ST_SU_SY_EESZ_S10_S11_S12_S16_S17_S18_S1B_S1C_jS1D_jS1E_S1E_jjS1G_bEUljE0_EEESZ_S10_S11_S18_S1C_S1E_T6_T7_T9_mT8_S1G_bDpT10_ENKUlT_T0_E_clISt17integral_constantIbLb1EES1U_EEDaS1P_S1Q_EUlS1P_E_NS1_11comp_targetILNS1_3genE5ELNS1_11target_archE942ELNS1_3gpuE9ELNS1_3repE0EEENS1_30default_config_static_selectorELNS0_4arch9wavefront6targetE1EEEvS12_.has_indirect_call, 0
	.section	.AMDGPU.csdata,"",@progbits
; Kernel info:
; codeLenInByte = 0
; TotalNumSgprs: 4
; NumVgprs: 0
; ScratchSize: 0
; MemoryBound: 0
; FloatMode: 240
; IeeeMode: 1
; LDSByteSize: 0 bytes/workgroup (compile time only)
; SGPRBlocks: 0
; VGPRBlocks: 0
; NumSGPRsForWavesPerEU: 4
; NumVGPRsForWavesPerEU: 1
; Occupancy: 10
; WaveLimiterHint : 0
; COMPUTE_PGM_RSRC2:SCRATCH_EN: 0
; COMPUTE_PGM_RSRC2:USER_SGPR: 6
; COMPUTE_PGM_RSRC2:TRAP_HANDLER: 0
; COMPUTE_PGM_RSRC2:TGID_X_EN: 1
; COMPUTE_PGM_RSRC2:TGID_Y_EN: 0
; COMPUTE_PGM_RSRC2:TGID_Z_EN: 0
; COMPUTE_PGM_RSRC2:TIDIG_COMP_CNT: 0
	.section	.text._ZN7rocprim17ROCPRIM_400000_NS6detail17trampoline_kernelINS0_13select_configILj256ELj13ELNS0_17block_load_methodE3ELS4_3ELS4_3ELNS0_20block_scan_algorithmE0ELj4294967295EEENS1_25partition_config_selectorILNS1_17partition_subalgoE4EjNS0_10empty_typeEbEEZZNS1_14partition_implILS8_4ELb0ES6_15HIP_vector_typeIjLj2EENS0_17counting_iteratorIjlEEPS9_SG_NS0_5tupleIJPjSI_NS0_16reverse_iteratorISI_EEEEENSH_IJSG_SG_SG_EEES9_SI_JZNS1_25segmented_radix_sort_implINS0_14default_configELb0EPKdPdPKlPlN2at6native12_GLOBAL__N_18offset_tEEE10hipError_tPvRmT1_PNSt15iterator_traitsIS12_E10value_typeET2_T3_PNS13_IS18_E10value_typeET4_jRbjT5_S1E_jjP12ihipStream_tbEUljE_ZNSN_ISO_Lb0ESQ_SR_ST_SU_SY_EESZ_S10_S11_S12_S16_S17_S18_S1B_S1C_jS1D_jS1E_S1E_jjS1G_bEUljE0_EEESZ_S10_S11_S18_S1C_S1E_T6_T7_T9_mT8_S1G_bDpT10_ENKUlT_T0_E_clISt17integral_constantIbLb1EES1U_EEDaS1P_S1Q_EUlS1P_E_NS1_11comp_targetILNS1_3genE4ELNS1_11target_archE910ELNS1_3gpuE8ELNS1_3repE0EEENS1_30default_config_static_selectorELNS0_4arch9wavefront6targetE1EEEvS12_,"axG",@progbits,_ZN7rocprim17ROCPRIM_400000_NS6detail17trampoline_kernelINS0_13select_configILj256ELj13ELNS0_17block_load_methodE3ELS4_3ELS4_3ELNS0_20block_scan_algorithmE0ELj4294967295EEENS1_25partition_config_selectorILNS1_17partition_subalgoE4EjNS0_10empty_typeEbEEZZNS1_14partition_implILS8_4ELb0ES6_15HIP_vector_typeIjLj2EENS0_17counting_iteratorIjlEEPS9_SG_NS0_5tupleIJPjSI_NS0_16reverse_iteratorISI_EEEEENSH_IJSG_SG_SG_EEES9_SI_JZNS1_25segmented_radix_sort_implINS0_14default_configELb0EPKdPdPKlPlN2at6native12_GLOBAL__N_18offset_tEEE10hipError_tPvRmT1_PNSt15iterator_traitsIS12_E10value_typeET2_T3_PNS13_IS18_E10value_typeET4_jRbjT5_S1E_jjP12ihipStream_tbEUljE_ZNSN_ISO_Lb0ESQ_SR_ST_SU_SY_EESZ_S10_S11_S12_S16_S17_S18_S1B_S1C_jS1D_jS1E_S1E_jjS1G_bEUljE0_EEESZ_S10_S11_S18_S1C_S1E_T6_T7_T9_mT8_S1G_bDpT10_ENKUlT_T0_E_clISt17integral_constantIbLb1EES1U_EEDaS1P_S1Q_EUlS1P_E_NS1_11comp_targetILNS1_3genE4ELNS1_11target_archE910ELNS1_3gpuE8ELNS1_3repE0EEENS1_30default_config_static_selectorELNS0_4arch9wavefront6targetE1EEEvS12_,comdat
	.globl	_ZN7rocprim17ROCPRIM_400000_NS6detail17trampoline_kernelINS0_13select_configILj256ELj13ELNS0_17block_load_methodE3ELS4_3ELS4_3ELNS0_20block_scan_algorithmE0ELj4294967295EEENS1_25partition_config_selectorILNS1_17partition_subalgoE4EjNS0_10empty_typeEbEEZZNS1_14partition_implILS8_4ELb0ES6_15HIP_vector_typeIjLj2EENS0_17counting_iteratorIjlEEPS9_SG_NS0_5tupleIJPjSI_NS0_16reverse_iteratorISI_EEEEENSH_IJSG_SG_SG_EEES9_SI_JZNS1_25segmented_radix_sort_implINS0_14default_configELb0EPKdPdPKlPlN2at6native12_GLOBAL__N_18offset_tEEE10hipError_tPvRmT1_PNSt15iterator_traitsIS12_E10value_typeET2_T3_PNS13_IS18_E10value_typeET4_jRbjT5_S1E_jjP12ihipStream_tbEUljE_ZNSN_ISO_Lb0ESQ_SR_ST_SU_SY_EESZ_S10_S11_S12_S16_S17_S18_S1B_S1C_jS1D_jS1E_S1E_jjS1G_bEUljE0_EEESZ_S10_S11_S18_S1C_S1E_T6_T7_T9_mT8_S1G_bDpT10_ENKUlT_T0_E_clISt17integral_constantIbLb1EES1U_EEDaS1P_S1Q_EUlS1P_E_NS1_11comp_targetILNS1_3genE4ELNS1_11target_archE910ELNS1_3gpuE8ELNS1_3repE0EEENS1_30default_config_static_selectorELNS0_4arch9wavefront6targetE1EEEvS12_ ; -- Begin function _ZN7rocprim17ROCPRIM_400000_NS6detail17trampoline_kernelINS0_13select_configILj256ELj13ELNS0_17block_load_methodE3ELS4_3ELS4_3ELNS0_20block_scan_algorithmE0ELj4294967295EEENS1_25partition_config_selectorILNS1_17partition_subalgoE4EjNS0_10empty_typeEbEEZZNS1_14partition_implILS8_4ELb0ES6_15HIP_vector_typeIjLj2EENS0_17counting_iteratorIjlEEPS9_SG_NS0_5tupleIJPjSI_NS0_16reverse_iteratorISI_EEEEENSH_IJSG_SG_SG_EEES9_SI_JZNS1_25segmented_radix_sort_implINS0_14default_configELb0EPKdPdPKlPlN2at6native12_GLOBAL__N_18offset_tEEE10hipError_tPvRmT1_PNSt15iterator_traitsIS12_E10value_typeET2_T3_PNS13_IS18_E10value_typeET4_jRbjT5_S1E_jjP12ihipStream_tbEUljE_ZNSN_ISO_Lb0ESQ_SR_ST_SU_SY_EESZ_S10_S11_S12_S16_S17_S18_S1B_S1C_jS1D_jS1E_S1E_jjS1G_bEUljE0_EEESZ_S10_S11_S18_S1C_S1E_T6_T7_T9_mT8_S1G_bDpT10_ENKUlT_T0_E_clISt17integral_constantIbLb1EES1U_EEDaS1P_S1Q_EUlS1P_E_NS1_11comp_targetILNS1_3genE4ELNS1_11target_archE910ELNS1_3gpuE8ELNS1_3repE0EEENS1_30default_config_static_selectorELNS0_4arch9wavefront6targetE1EEEvS12_
	.p2align	8
	.type	_ZN7rocprim17ROCPRIM_400000_NS6detail17trampoline_kernelINS0_13select_configILj256ELj13ELNS0_17block_load_methodE3ELS4_3ELS4_3ELNS0_20block_scan_algorithmE0ELj4294967295EEENS1_25partition_config_selectorILNS1_17partition_subalgoE4EjNS0_10empty_typeEbEEZZNS1_14partition_implILS8_4ELb0ES6_15HIP_vector_typeIjLj2EENS0_17counting_iteratorIjlEEPS9_SG_NS0_5tupleIJPjSI_NS0_16reverse_iteratorISI_EEEEENSH_IJSG_SG_SG_EEES9_SI_JZNS1_25segmented_radix_sort_implINS0_14default_configELb0EPKdPdPKlPlN2at6native12_GLOBAL__N_18offset_tEEE10hipError_tPvRmT1_PNSt15iterator_traitsIS12_E10value_typeET2_T3_PNS13_IS18_E10value_typeET4_jRbjT5_S1E_jjP12ihipStream_tbEUljE_ZNSN_ISO_Lb0ESQ_SR_ST_SU_SY_EESZ_S10_S11_S12_S16_S17_S18_S1B_S1C_jS1D_jS1E_S1E_jjS1G_bEUljE0_EEESZ_S10_S11_S18_S1C_S1E_T6_T7_T9_mT8_S1G_bDpT10_ENKUlT_T0_E_clISt17integral_constantIbLb1EES1U_EEDaS1P_S1Q_EUlS1P_E_NS1_11comp_targetILNS1_3genE4ELNS1_11target_archE910ELNS1_3gpuE8ELNS1_3repE0EEENS1_30default_config_static_selectorELNS0_4arch9wavefront6targetE1EEEvS12_,@function
_ZN7rocprim17ROCPRIM_400000_NS6detail17trampoline_kernelINS0_13select_configILj256ELj13ELNS0_17block_load_methodE3ELS4_3ELS4_3ELNS0_20block_scan_algorithmE0ELj4294967295EEENS1_25partition_config_selectorILNS1_17partition_subalgoE4EjNS0_10empty_typeEbEEZZNS1_14partition_implILS8_4ELb0ES6_15HIP_vector_typeIjLj2EENS0_17counting_iteratorIjlEEPS9_SG_NS0_5tupleIJPjSI_NS0_16reverse_iteratorISI_EEEEENSH_IJSG_SG_SG_EEES9_SI_JZNS1_25segmented_radix_sort_implINS0_14default_configELb0EPKdPdPKlPlN2at6native12_GLOBAL__N_18offset_tEEE10hipError_tPvRmT1_PNSt15iterator_traitsIS12_E10value_typeET2_T3_PNS13_IS18_E10value_typeET4_jRbjT5_S1E_jjP12ihipStream_tbEUljE_ZNSN_ISO_Lb0ESQ_SR_ST_SU_SY_EESZ_S10_S11_S12_S16_S17_S18_S1B_S1C_jS1D_jS1E_S1E_jjS1G_bEUljE0_EEESZ_S10_S11_S18_S1C_S1E_T6_T7_T9_mT8_S1G_bDpT10_ENKUlT_T0_E_clISt17integral_constantIbLb1EES1U_EEDaS1P_S1Q_EUlS1P_E_NS1_11comp_targetILNS1_3genE4ELNS1_11target_archE910ELNS1_3gpuE8ELNS1_3repE0EEENS1_30default_config_static_selectorELNS0_4arch9wavefront6targetE1EEEvS12_: ; @_ZN7rocprim17ROCPRIM_400000_NS6detail17trampoline_kernelINS0_13select_configILj256ELj13ELNS0_17block_load_methodE3ELS4_3ELS4_3ELNS0_20block_scan_algorithmE0ELj4294967295EEENS1_25partition_config_selectorILNS1_17partition_subalgoE4EjNS0_10empty_typeEbEEZZNS1_14partition_implILS8_4ELb0ES6_15HIP_vector_typeIjLj2EENS0_17counting_iteratorIjlEEPS9_SG_NS0_5tupleIJPjSI_NS0_16reverse_iteratorISI_EEEEENSH_IJSG_SG_SG_EEES9_SI_JZNS1_25segmented_radix_sort_implINS0_14default_configELb0EPKdPdPKlPlN2at6native12_GLOBAL__N_18offset_tEEE10hipError_tPvRmT1_PNSt15iterator_traitsIS12_E10value_typeET2_T3_PNS13_IS18_E10value_typeET4_jRbjT5_S1E_jjP12ihipStream_tbEUljE_ZNSN_ISO_Lb0ESQ_SR_ST_SU_SY_EESZ_S10_S11_S12_S16_S17_S18_S1B_S1C_jS1D_jS1E_S1E_jjS1G_bEUljE0_EEESZ_S10_S11_S18_S1C_S1E_T6_T7_T9_mT8_S1G_bDpT10_ENKUlT_T0_E_clISt17integral_constantIbLb1EES1U_EEDaS1P_S1Q_EUlS1P_E_NS1_11comp_targetILNS1_3genE4ELNS1_11target_archE910ELNS1_3gpuE8ELNS1_3repE0EEENS1_30default_config_static_selectorELNS0_4arch9wavefront6targetE1EEEvS12_
; %bb.0:
	.section	.rodata,"a",@progbits
	.p2align	6, 0x0
	.amdhsa_kernel _ZN7rocprim17ROCPRIM_400000_NS6detail17trampoline_kernelINS0_13select_configILj256ELj13ELNS0_17block_load_methodE3ELS4_3ELS4_3ELNS0_20block_scan_algorithmE0ELj4294967295EEENS1_25partition_config_selectorILNS1_17partition_subalgoE4EjNS0_10empty_typeEbEEZZNS1_14partition_implILS8_4ELb0ES6_15HIP_vector_typeIjLj2EENS0_17counting_iteratorIjlEEPS9_SG_NS0_5tupleIJPjSI_NS0_16reverse_iteratorISI_EEEEENSH_IJSG_SG_SG_EEES9_SI_JZNS1_25segmented_radix_sort_implINS0_14default_configELb0EPKdPdPKlPlN2at6native12_GLOBAL__N_18offset_tEEE10hipError_tPvRmT1_PNSt15iterator_traitsIS12_E10value_typeET2_T3_PNS13_IS18_E10value_typeET4_jRbjT5_S1E_jjP12ihipStream_tbEUljE_ZNSN_ISO_Lb0ESQ_SR_ST_SU_SY_EESZ_S10_S11_S12_S16_S17_S18_S1B_S1C_jS1D_jS1E_S1E_jjS1G_bEUljE0_EEESZ_S10_S11_S18_S1C_S1E_T6_T7_T9_mT8_S1G_bDpT10_ENKUlT_T0_E_clISt17integral_constantIbLb1EES1U_EEDaS1P_S1Q_EUlS1P_E_NS1_11comp_targetILNS1_3genE4ELNS1_11target_archE910ELNS1_3gpuE8ELNS1_3repE0EEENS1_30default_config_static_selectorELNS0_4arch9wavefront6targetE1EEEvS12_
		.amdhsa_group_segment_fixed_size 0
		.amdhsa_private_segment_fixed_size 0
		.amdhsa_kernarg_size 184
		.amdhsa_user_sgpr_count 6
		.amdhsa_user_sgpr_private_segment_buffer 1
		.amdhsa_user_sgpr_dispatch_ptr 0
		.amdhsa_user_sgpr_queue_ptr 0
		.amdhsa_user_sgpr_kernarg_segment_ptr 1
		.amdhsa_user_sgpr_dispatch_id 0
		.amdhsa_user_sgpr_flat_scratch_init 0
		.amdhsa_user_sgpr_private_segment_size 0
		.amdhsa_uses_dynamic_stack 0
		.amdhsa_system_sgpr_private_segment_wavefront_offset 0
		.amdhsa_system_sgpr_workgroup_id_x 1
		.amdhsa_system_sgpr_workgroup_id_y 0
		.amdhsa_system_sgpr_workgroup_id_z 0
		.amdhsa_system_sgpr_workgroup_info 0
		.amdhsa_system_vgpr_workitem_id 0
		.amdhsa_next_free_vgpr 1
		.amdhsa_next_free_sgpr 0
		.amdhsa_reserve_vcc 0
		.amdhsa_reserve_flat_scratch 0
		.amdhsa_float_round_mode_32 0
		.amdhsa_float_round_mode_16_64 0
		.amdhsa_float_denorm_mode_32 3
		.amdhsa_float_denorm_mode_16_64 3
		.amdhsa_dx10_clamp 1
		.amdhsa_ieee_mode 1
		.amdhsa_fp16_overflow 0
		.amdhsa_exception_fp_ieee_invalid_op 0
		.amdhsa_exception_fp_denorm_src 0
		.amdhsa_exception_fp_ieee_div_zero 0
		.amdhsa_exception_fp_ieee_overflow 0
		.amdhsa_exception_fp_ieee_underflow 0
		.amdhsa_exception_fp_ieee_inexact 0
		.amdhsa_exception_int_div_zero 0
	.end_amdhsa_kernel
	.section	.text._ZN7rocprim17ROCPRIM_400000_NS6detail17trampoline_kernelINS0_13select_configILj256ELj13ELNS0_17block_load_methodE3ELS4_3ELS4_3ELNS0_20block_scan_algorithmE0ELj4294967295EEENS1_25partition_config_selectorILNS1_17partition_subalgoE4EjNS0_10empty_typeEbEEZZNS1_14partition_implILS8_4ELb0ES6_15HIP_vector_typeIjLj2EENS0_17counting_iteratorIjlEEPS9_SG_NS0_5tupleIJPjSI_NS0_16reverse_iteratorISI_EEEEENSH_IJSG_SG_SG_EEES9_SI_JZNS1_25segmented_radix_sort_implINS0_14default_configELb0EPKdPdPKlPlN2at6native12_GLOBAL__N_18offset_tEEE10hipError_tPvRmT1_PNSt15iterator_traitsIS12_E10value_typeET2_T3_PNS13_IS18_E10value_typeET4_jRbjT5_S1E_jjP12ihipStream_tbEUljE_ZNSN_ISO_Lb0ESQ_SR_ST_SU_SY_EESZ_S10_S11_S12_S16_S17_S18_S1B_S1C_jS1D_jS1E_S1E_jjS1G_bEUljE0_EEESZ_S10_S11_S18_S1C_S1E_T6_T7_T9_mT8_S1G_bDpT10_ENKUlT_T0_E_clISt17integral_constantIbLb1EES1U_EEDaS1P_S1Q_EUlS1P_E_NS1_11comp_targetILNS1_3genE4ELNS1_11target_archE910ELNS1_3gpuE8ELNS1_3repE0EEENS1_30default_config_static_selectorELNS0_4arch9wavefront6targetE1EEEvS12_,"axG",@progbits,_ZN7rocprim17ROCPRIM_400000_NS6detail17trampoline_kernelINS0_13select_configILj256ELj13ELNS0_17block_load_methodE3ELS4_3ELS4_3ELNS0_20block_scan_algorithmE0ELj4294967295EEENS1_25partition_config_selectorILNS1_17partition_subalgoE4EjNS0_10empty_typeEbEEZZNS1_14partition_implILS8_4ELb0ES6_15HIP_vector_typeIjLj2EENS0_17counting_iteratorIjlEEPS9_SG_NS0_5tupleIJPjSI_NS0_16reverse_iteratorISI_EEEEENSH_IJSG_SG_SG_EEES9_SI_JZNS1_25segmented_radix_sort_implINS0_14default_configELb0EPKdPdPKlPlN2at6native12_GLOBAL__N_18offset_tEEE10hipError_tPvRmT1_PNSt15iterator_traitsIS12_E10value_typeET2_T3_PNS13_IS18_E10value_typeET4_jRbjT5_S1E_jjP12ihipStream_tbEUljE_ZNSN_ISO_Lb0ESQ_SR_ST_SU_SY_EESZ_S10_S11_S12_S16_S17_S18_S1B_S1C_jS1D_jS1E_S1E_jjS1G_bEUljE0_EEESZ_S10_S11_S18_S1C_S1E_T6_T7_T9_mT8_S1G_bDpT10_ENKUlT_T0_E_clISt17integral_constantIbLb1EES1U_EEDaS1P_S1Q_EUlS1P_E_NS1_11comp_targetILNS1_3genE4ELNS1_11target_archE910ELNS1_3gpuE8ELNS1_3repE0EEENS1_30default_config_static_selectorELNS0_4arch9wavefront6targetE1EEEvS12_,comdat
.Lfunc_end1167:
	.size	_ZN7rocprim17ROCPRIM_400000_NS6detail17trampoline_kernelINS0_13select_configILj256ELj13ELNS0_17block_load_methodE3ELS4_3ELS4_3ELNS0_20block_scan_algorithmE0ELj4294967295EEENS1_25partition_config_selectorILNS1_17partition_subalgoE4EjNS0_10empty_typeEbEEZZNS1_14partition_implILS8_4ELb0ES6_15HIP_vector_typeIjLj2EENS0_17counting_iteratorIjlEEPS9_SG_NS0_5tupleIJPjSI_NS0_16reverse_iteratorISI_EEEEENSH_IJSG_SG_SG_EEES9_SI_JZNS1_25segmented_radix_sort_implINS0_14default_configELb0EPKdPdPKlPlN2at6native12_GLOBAL__N_18offset_tEEE10hipError_tPvRmT1_PNSt15iterator_traitsIS12_E10value_typeET2_T3_PNS13_IS18_E10value_typeET4_jRbjT5_S1E_jjP12ihipStream_tbEUljE_ZNSN_ISO_Lb0ESQ_SR_ST_SU_SY_EESZ_S10_S11_S12_S16_S17_S18_S1B_S1C_jS1D_jS1E_S1E_jjS1G_bEUljE0_EEESZ_S10_S11_S18_S1C_S1E_T6_T7_T9_mT8_S1G_bDpT10_ENKUlT_T0_E_clISt17integral_constantIbLb1EES1U_EEDaS1P_S1Q_EUlS1P_E_NS1_11comp_targetILNS1_3genE4ELNS1_11target_archE910ELNS1_3gpuE8ELNS1_3repE0EEENS1_30default_config_static_selectorELNS0_4arch9wavefront6targetE1EEEvS12_, .Lfunc_end1167-_ZN7rocprim17ROCPRIM_400000_NS6detail17trampoline_kernelINS0_13select_configILj256ELj13ELNS0_17block_load_methodE3ELS4_3ELS4_3ELNS0_20block_scan_algorithmE0ELj4294967295EEENS1_25partition_config_selectorILNS1_17partition_subalgoE4EjNS0_10empty_typeEbEEZZNS1_14partition_implILS8_4ELb0ES6_15HIP_vector_typeIjLj2EENS0_17counting_iteratorIjlEEPS9_SG_NS0_5tupleIJPjSI_NS0_16reverse_iteratorISI_EEEEENSH_IJSG_SG_SG_EEES9_SI_JZNS1_25segmented_radix_sort_implINS0_14default_configELb0EPKdPdPKlPlN2at6native12_GLOBAL__N_18offset_tEEE10hipError_tPvRmT1_PNSt15iterator_traitsIS12_E10value_typeET2_T3_PNS13_IS18_E10value_typeET4_jRbjT5_S1E_jjP12ihipStream_tbEUljE_ZNSN_ISO_Lb0ESQ_SR_ST_SU_SY_EESZ_S10_S11_S12_S16_S17_S18_S1B_S1C_jS1D_jS1E_S1E_jjS1G_bEUljE0_EEESZ_S10_S11_S18_S1C_S1E_T6_T7_T9_mT8_S1G_bDpT10_ENKUlT_T0_E_clISt17integral_constantIbLb1EES1U_EEDaS1P_S1Q_EUlS1P_E_NS1_11comp_targetILNS1_3genE4ELNS1_11target_archE910ELNS1_3gpuE8ELNS1_3repE0EEENS1_30default_config_static_selectorELNS0_4arch9wavefront6targetE1EEEvS12_
                                        ; -- End function
	.set _ZN7rocprim17ROCPRIM_400000_NS6detail17trampoline_kernelINS0_13select_configILj256ELj13ELNS0_17block_load_methodE3ELS4_3ELS4_3ELNS0_20block_scan_algorithmE0ELj4294967295EEENS1_25partition_config_selectorILNS1_17partition_subalgoE4EjNS0_10empty_typeEbEEZZNS1_14partition_implILS8_4ELb0ES6_15HIP_vector_typeIjLj2EENS0_17counting_iteratorIjlEEPS9_SG_NS0_5tupleIJPjSI_NS0_16reverse_iteratorISI_EEEEENSH_IJSG_SG_SG_EEES9_SI_JZNS1_25segmented_radix_sort_implINS0_14default_configELb0EPKdPdPKlPlN2at6native12_GLOBAL__N_18offset_tEEE10hipError_tPvRmT1_PNSt15iterator_traitsIS12_E10value_typeET2_T3_PNS13_IS18_E10value_typeET4_jRbjT5_S1E_jjP12ihipStream_tbEUljE_ZNSN_ISO_Lb0ESQ_SR_ST_SU_SY_EESZ_S10_S11_S12_S16_S17_S18_S1B_S1C_jS1D_jS1E_S1E_jjS1G_bEUljE0_EEESZ_S10_S11_S18_S1C_S1E_T6_T7_T9_mT8_S1G_bDpT10_ENKUlT_T0_E_clISt17integral_constantIbLb1EES1U_EEDaS1P_S1Q_EUlS1P_E_NS1_11comp_targetILNS1_3genE4ELNS1_11target_archE910ELNS1_3gpuE8ELNS1_3repE0EEENS1_30default_config_static_selectorELNS0_4arch9wavefront6targetE1EEEvS12_.num_vgpr, 0
	.set _ZN7rocprim17ROCPRIM_400000_NS6detail17trampoline_kernelINS0_13select_configILj256ELj13ELNS0_17block_load_methodE3ELS4_3ELS4_3ELNS0_20block_scan_algorithmE0ELj4294967295EEENS1_25partition_config_selectorILNS1_17partition_subalgoE4EjNS0_10empty_typeEbEEZZNS1_14partition_implILS8_4ELb0ES6_15HIP_vector_typeIjLj2EENS0_17counting_iteratorIjlEEPS9_SG_NS0_5tupleIJPjSI_NS0_16reverse_iteratorISI_EEEEENSH_IJSG_SG_SG_EEES9_SI_JZNS1_25segmented_radix_sort_implINS0_14default_configELb0EPKdPdPKlPlN2at6native12_GLOBAL__N_18offset_tEEE10hipError_tPvRmT1_PNSt15iterator_traitsIS12_E10value_typeET2_T3_PNS13_IS18_E10value_typeET4_jRbjT5_S1E_jjP12ihipStream_tbEUljE_ZNSN_ISO_Lb0ESQ_SR_ST_SU_SY_EESZ_S10_S11_S12_S16_S17_S18_S1B_S1C_jS1D_jS1E_S1E_jjS1G_bEUljE0_EEESZ_S10_S11_S18_S1C_S1E_T6_T7_T9_mT8_S1G_bDpT10_ENKUlT_T0_E_clISt17integral_constantIbLb1EES1U_EEDaS1P_S1Q_EUlS1P_E_NS1_11comp_targetILNS1_3genE4ELNS1_11target_archE910ELNS1_3gpuE8ELNS1_3repE0EEENS1_30default_config_static_selectorELNS0_4arch9wavefront6targetE1EEEvS12_.num_agpr, 0
	.set _ZN7rocprim17ROCPRIM_400000_NS6detail17trampoline_kernelINS0_13select_configILj256ELj13ELNS0_17block_load_methodE3ELS4_3ELS4_3ELNS0_20block_scan_algorithmE0ELj4294967295EEENS1_25partition_config_selectorILNS1_17partition_subalgoE4EjNS0_10empty_typeEbEEZZNS1_14partition_implILS8_4ELb0ES6_15HIP_vector_typeIjLj2EENS0_17counting_iteratorIjlEEPS9_SG_NS0_5tupleIJPjSI_NS0_16reverse_iteratorISI_EEEEENSH_IJSG_SG_SG_EEES9_SI_JZNS1_25segmented_radix_sort_implINS0_14default_configELb0EPKdPdPKlPlN2at6native12_GLOBAL__N_18offset_tEEE10hipError_tPvRmT1_PNSt15iterator_traitsIS12_E10value_typeET2_T3_PNS13_IS18_E10value_typeET4_jRbjT5_S1E_jjP12ihipStream_tbEUljE_ZNSN_ISO_Lb0ESQ_SR_ST_SU_SY_EESZ_S10_S11_S12_S16_S17_S18_S1B_S1C_jS1D_jS1E_S1E_jjS1G_bEUljE0_EEESZ_S10_S11_S18_S1C_S1E_T6_T7_T9_mT8_S1G_bDpT10_ENKUlT_T0_E_clISt17integral_constantIbLb1EES1U_EEDaS1P_S1Q_EUlS1P_E_NS1_11comp_targetILNS1_3genE4ELNS1_11target_archE910ELNS1_3gpuE8ELNS1_3repE0EEENS1_30default_config_static_selectorELNS0_4arch9wavefront6targetE1EEEvS12_.numbered_sgpr, 0
	.set _ZN7rocprim17ROCPRIM_400000_NS6detail17trampoline_kernelINS0_13select_configILj256ELj13ELNS0_17block_load_methodE3ELS4_3ELS4_3ELNS0_20block_scan_algorithmE0ELj4294967295EEENS1_25partition_config_selectorILNS1_17partition_subalgoE4EjNS0_10empty_typeEbEEZZNS1_14partition_implILS8_4ELb0ES6_15HIP_vector_typeIjLj2EENS0_17counting_iteratorIjlEEPS9_SG_NS0_5tupleIJPjSI_NS0_16reverse_iteratorISI_EEEEENSH_IJSG_SG_SG_EEES9_SI_JZNS1_25segmented_radix_sort_implINS0_14default_configELb0EPKdPdPKlPlN2at6native12_GLOBAL__N_18offset_tEEE10hipError_tPvRmT1_PNSt15iterator_traitsIS12_E10value_typeET2_T3_PNS13_IS18_E10value_typeET4_jRbjT5_S1E_jjP12ihipStream_tbEUljE_ZNSN_ISO_Lb0ESQ_SR_ST_SU_SY_EESZ_S10_S11_S12_S16_S17_S18_S1B_S1C_jS1D_jS1E_S1E_jjS1G_bEUljE0_EEESZ_S10_S11_S18_S1C_S1E_T6_T7_T9_mT8_S1G_bDpT10_ENKUlT_T0_E_clISt17integral_constantIbLb1EES1U_EEDaS1P_S1Q_EUlS1P_E_NS1_11comp_targetILNS1_3genE4ELNS1_11target_archE910ELNS1_3gpuE8ELNS1_3repE0EEENS1_30default_config_static_selectorELNS0_4arch9wavefront6targetE1EEEvS12_.num_named_barrier, 0
	.set _ZN7rocprim17ROCPRIM_400000_NS6detail17trampoline_kernelINS0_13select_configILj256ELj13ELNS0_17block_load_methodE3ELS4_3ELS4_3ELNS0_20block_scan_algorithmE0ELj4294967295EEENS1_25partition_config_selectorILNS1_17partition_subalgoE4EjNS0_10empty_typeEbEEZZNS1_14partition_implILS8_4ELb0ES6_15HIP_vector_typeIjLj2EENS0_17counting_iteratorIjlEEPS9_SG_NS0_5tupleIJPjSI_NS0_16reverse_iteratorISI_EEEEENSH_IJSG_SG_SG_EEES9_SI_JZNS1_25segmented_radix_sort_implINS0_14default_configELb0EPKdPdPKlPlN2at6native12_GLOBAL__N_18offset_tEEE10hipError_tPvRmT1_PNSt15iterator_traitsIS12_E10value_typeET2_T3_PNS13_IS18_E10value_typeET4_jRbjT5_S1E_jjP12ihipStream_tbEUljE_ZNSN_ISO_Lb0ESQ_SR_ST_SU_SY_EESZ_S10_S11_S12_S16_S17_S18_S1B_S1C_jS1D_jS1E_S1E_jjS1G_bEUljE0_EEESZ_S10_S11_S18_S1C_S1E_T6_T7_T9_mT8_S1G_bDpT10_ENKUlT_T0_E_clISt17integral_constantIbLb1EES1U_EEDaS1P_S1Q_EUlS1P_E_NS1_11comp_targetILNS1_3genE4ELNS1_11target_archE910ELNS1_3gpuE8ELNS1_3repE0EEENS1_30default_config_static_selectorELNS0_4arch9wavefront6targetE1EEEvS12_.private_seg_size, 0
	.set _ZN7rocprim17ROCPRIM_400000_NS6detail17trampoline_kernelINS0_13select_configILj256ELj13ELNS0_17block_load_methodE3ELS4_3ELS4_3ELNS0_20block_scan_algorithmE0ELj4294967295EEENS1_25partition_config_selectorILNS1_17partition_subalgoE4EjNS0_10empty_typeEbEEZZNS1_14partition_implILS8_4ELb0ES6_15HIP_vector_typeIjLj2EENS0_17counting_iteratorIjlEEPS9_SG_NS0_5tupleIJPjSI_NS0_16reverse_iteratorISI_EEEEENSH_IJSG_SG_SG_EEES9_SI_JZNS1_25segmented_radix_sort_implINS0_14default_configELb0EPKdPdPKlPlN2at6native12_GLOBAL__N_18offset_tEEE10hipError_tPvRmT1_PNSt15iterator_traitsIS12_E10value_typeET2_T3_PNS13_IS18_E10value_typeET4_jRbjT5_S1E_jjP12ihipStream_tbEUljE_ZNSN_ISO_Lb0ESQ_SR_ST_SU_SY_EESZ_S10_S11_S12_S16_S17_S18_S1B_S1C_jS1D_jS1E_S1E_jjS1G_bEUljE0_EEESZ_S10_S11_S18_S1C_S1E_T6_T7_T9_mT8_S1G_bDpT10_ENKUlT_T0_E_clISt17integral_constantIbLb1EES1U_EEDaS1P_S1Q_EUlS1P_E_NS1_11comp_targetILNS1_3genE4ELNS1_11target_archE910ELNS1_3gpuE8ELNS1_3repE0EEENS1_30default_config_static_selectorELNS0_4arch9wavefront6targetE1EEEvS12_.uses_vcc, 0
	.set _ZN7rocprim17ROCPRIM_400000_NS6detail17trampoline_kernelINS0_13select_configILj256ELj13ELNS0_17block_load_methodE3ELS4_3ELS4_3ELNS0_20block_scan_algorithmE0ELj4294967295EEENS1_25partition_config_selectorILNS1_17partition_subalgoE4EjNS0_10empty_typeEbEEZZNS1_14partition_implILS8_4ELb0ES6_15HIP_vector_typeIjLj2EENS0_17counting_iteratorIjlEEPS9_SG_NS0_5tupleIJPjSI_NS0_16reverse_iteratorISI_EEEEENSH_IJSG_SG_SG_EEES9_SI_JZNS1_25segmented_radix_sort_implINS0_14default_configELb0EPKdPdPKlPlN2at6native12_GLOBAL__N_18offset_tEEE10hipError_tPvRmT1_PNSt15iterator_traitsIS12_E10value_typeET2_T3_PNS13_IS18_E10value_typeET4_jRbjT5_S1E_jjP12ihipStream_tbEUljE_ZNSN_ISO_Lb0ESQ_SR_ST_SU_SY_EESZ_S10_S11_S12_S16_S17_S18_S1B_S1C_jS1D_jS1E_S1E_jjS1G_bEUljE0_EEESZ_S10_S11_S18_S1C_S1E_T6_T7_T9_mT8_S1G_bDpT10_ENKUlT_T0_E_clISt17integral_constantIbLb1EES1U_EEDaS1P_S1Q_EUlS1P_E_NS1_11comp_targetILNS1_3genE4ELNS1_11target_archE910ELNS1_3gpuE8ELNS1_3repE0EEENS1_30default_config_static_selectorELNS0_4arch9wavefront6targetE1EEEvS12_.uses_flat_scratch, 0
	.set _ZN7rocprim17ROCPRIM_400000_NS6detail17trampoline_kernelINS0_13select_configILj256ELj13ELNS0_17block_load_methodE3ELS4_3ELS4_3ELNS0_20block_scan_algorithmE0ELj4294967295EEENS1_25partition_config_selectorILNS1_17partition_subalgoE4EjNS0_10empty_typeEbEEZZNS1_14partition_implILS8_4ELb0ES6_15HIP_vector_typeIjLj2EENS0_17counting_iteratorIjlEEPS9_SG_NS0_5tupleIJPjSI_NS0_16reverse_iteratorISI_EEEEENSH_IJSG_SG_SG_EEES9_SI_JZNS1_25segmented_radix_sort_implINS0_14default_configELb0EPKdPdPKlPlN2at6native12_GLOBAL__N_18offset_tEEE10hipError_tPvRmT1_PNSt15iterator_traitsIS12_E10value_typeET2_T3_PNS13_IS18_E10value_typeET4_jRbjT5_S1E_jjP12ihipStream_tbEUljE_ZNSN_ISO_Lb0ESQ_SR_ST_SU_SY_EESZ_S10_S11_S12_S16_S17_S18_S1B_S1C_jS1D_jS1E_S1E_jjS1G_bEUljE0_EEESZ_S10_S11_S18_S1C_S1E_T6_T7_T9_mT8_S1G_bDpT10_ENKUlT_T0_E_clISt17integral_constantIbLb1EES1U_EEDaS1P_S1Q_EUlS1P_E_NS1_11comp_targetILNS1_3genE4ELNS1_11target_archE910ELNS1_3gpuE8ELNS1_3repE0EEENS1_30default_config_static_selectorELNS0_4arch9wavefront6targetE1EEEvS12_.has_dyn_sized_stack, 0
	.set _ZN7rocprim17ROCPRIM_400000_NS6detail17trampoline_kernelINS0_13select_configILj256ELj13ELNS0_17block_load_methodE3ELS4_3ELS4_3ELNS0_20block_scan_algorithmE0ELj4294967295EEENS1_25partition_config_selectorILNS1_17partition_subalgoE4EjNS0_10empty_typeEbEEZZNS1_14partition_implILS8_4ELb0ES6_15HIP_vector_typeIjLj2EENS0_17counting_iteratorIjlEEPS9_SG_NS0_5tupleIJPjSI_NS0_16reverse_iteratorISI_EEEEENSH_IJSG_SG_SG_EEES9_SI_JZNS1_25segmented_radix_sort_implINS0_14default_configELb0EPKdPdPKlPlN2at6native12_GLOBAL__N_18offset_tEEE10hipError_tPvRmT1_PNSt15iterator_traitsIS12_E10value_typeET2_T3_PNS13_IS18_E10value_typeET4_jRbjT5_S1E_jjP12ihipStream_tbEUljE_ZNSN_ISO_Lb0ESQ_SR_ST_SU_SY_EESZ_S10_S11_S12_S16_S17_S18_S1B_S1C_jS1D_jS1E_S1E_jjS1G_bEUljE0_EEESZ_S10_S11_S18_S1C_S1E_T6_T7_T9_mT8_S1G_bDpT10_ENKUlT_T0_E_clISt17integral_constantIbLb1EES1U_EEDaS1P_S1Q_EUlS1P_E_NS1_11comp_targetILNS1_3genE4ELNS1_11target_archE910ELNS1_3gpuE8ELNS1_3repE0EEENS1_30default_config_static_selectorELNS0_4arch9wavefront6targetE1EEEvS12_.has_recursion, 0
	.set _ZN7rocprim17ROCPRIM_400000_NS6detail17trampoline_kernelINS0_13select_configILj256ELj13ELNS0_17block_load_methodE3ELS4_3ELS4_3ELNS0_20block_scan_algorithmE0ELj4294967295EEENS1_25partition_config_selectorILNS1_17partition_subalgoE4EjNS0_10empty_typeEbEEZZNS1_14partition_implILS8_4ELb0ES6_15HIP_vector_typeIjLj2EENS0_17counting_iteratorIjlEEPS9_SG_NS0_5tupleIJPjSI_NS0_16reverse_iteratorISI_EEEEENSH_IJSG_SG_SG_EEES9_SI_JZNS1_25segmented_radix_sort_implINS0_14default_configELb0EPKdPdPKlPlN2at6native12_GLOBAL__N_18offset_tEEE10hipError_tPvRmT1_PNSt15iterator_traitsIS12_E10value_typeET2_T3_PNS13_IS18_E10value_typeET4_jRbjT5_S1E_jjP12ihipStream_tbEUljE_ZNSN_ISO_Lb0ESQ_SR_ST_SU_SY_EESZ_S10_S11_S12_S16_S17_S18_S1B_S1C_jS1D_jS1E_S1E_jjS1G_bEUljE0_EEESZ_S10_S11_S18_S1C_S1E_T6_T7_T9_mT8_S1G_bDpT10_ENKUlT_T0_E_clISt17integral_constantIbLb1EES1U_EEDaS1P_S1Q_EUlS1P_E_NS1_11comp_targetILNS1_3genE4ELNS1_11target_archE910ELNS1_3gpuE8ELNS1_3repE0EEENS1_30default_config_static_selectorELNS0_4arch9wavefront6targetE1EEEvS12_.has_indirect_call, 0
	.section	.AMDGPU.csdata,"",@progbits
; Kernel info:
; codeLenInByte = 0
; TotalNumSgprs: 4
; NumVgprs: 0
; ScratchSize: 0
; MemoryBound: 0
; FloatMode: 240
; IeeeMode: 1
; LDSByteSize: 0 bytes/workgroup (compile time only)
; SGPRBlocks: 0
; VGPRBlocks: 0
; NumSGPRsForWavesPerEU: 4
; NumVGPRsForWavesPerEU: 1
; Occupancy: 10
; WaveLimiterHint : 0
; COMPUTE_PGM_RSRC2:SCRATCH_EN: 0
; COMPUTE_PGM_RSRC2:USER_SGPR: 6
; COMPUTE_PGM_RSRC2:TRAP_HANDLER: 0
; COMPUTE_PGM_RSRC2:TGID_X_EN: 1
; COMPUTE_PGM_RSRC2:TGID_Y_EN: 0
; COMPUTE_PGM_RSRC2:TGID_Z_EN: 0
; COMPUTE_PGM_RSRC2:TIDIG_COMP_CNT: 0
	.section	.text._ZN7rocprim17ROCPRIM_400000_NS6detail17trampoline_kernelINS0_13select_configILj256ELj13ELNS0_17block_load_methodE3ELS4_3ELS4_3ELNS0_20block_scan_algorithmE0ELj4294967295EEENS1_25partition_config_selectorILNS1_17partition_subalgoE4EjNS0_10empty_typeEbEEZZNS1_14partition_implILS8_4ELb0ES6_15HIP_vector_typeIjLj2EENS0_17counting_iteratorIjlEEPS9_SG_NS0_5tupleIJPjSI_NS0_16reverse_iteratorISI_EEEEENSH_IJSG_SG_SG_EEES9_SI_JZNS1_25segmented_radix_sort_implINS0_14default_configELb0EPKdPdPKlPlN2at6native12_GLOBAL__N_18offset_tEEE10hipError_tPvRmT1_PNSt15iterator_traitsIS12_E10value_typeET2_T3_PNS13_IS18_E10value_typeET4_jRbjT5_S1E_jjP12ihipStream_tbEUljE_ZNSN_ISO_Lb0ESQ_SR_ST_SU_SY_EESZ_S10_S11_S12_S16_S17_S18_S1B_S1C_jS1D_jS1E_S1E_jjS1G_bEUljE0_EEESZ_S10_S11_S18_S1C_S1E_T6_T7_T9_mT8_S1G_bDpT10_ENKUlT_T0_E_clISt17integral_constantIbLb1EES1U_EEDaS1P_S1Q_EUlS1P_E_NS1_11comp_targetILNS1_3genE3ELNS1_11target_archE908ELNS1_3gpuE7ELNS1_3repE0EEENS1_30default_config_static_selectorELNS0_4arch9wavefront6targetE1EEEvS12_,"axG",@progbits,_ZN7rocprim17ROCPRIM_400000_NS6detail17trampoline_kernelINS0_13select_configILj256ELj13ELNS0_17block_load_methodE3ELS4_3ELS4_3ELNS0_20block_scan_algorithmE0ELj4294967295EEENS1_25partition_config_selectorILNS1_17partition_subalgoE4EjNS0_10empty_typeEbEEZZNS1_14partition_implILS8_4ELb0ES6_15HIP_vector_typeIjLj2EENS0_17counting_iteratorIjlEEPS9_SG_NS0_5tupleIJPjSI_NS0_16reverse_iteratorISI_EEEEENSH_IJSG_SG_SG_EEES9_SI_JZNS1_25segmented_radix_sort_implINS0_14default_configELb0EPKdPdPKlPlN2at6native12_GLOBAL__N_18offset_tEEE10hipError_tPvRmT1_PNSt15iterator_traitsIS12_E10value_typeET2_T3_PNS13_IS18_E10value_typeET4_jRbjT5_S1E_jjP12ihipStream_tbEUljE_ZNSN_ISO_Lb0ESQ_SR_ST_SU_SY_EESZ_S10_S11_S12_S16_S17_S18_S1B_S1C_jS1D_jS1E_S1E_jjS1G_bEUljE0_EEESZ_S10_S11_S18_S1C_S1E_T6_T7_T9_mT8_S1G_bDpT10_ENKUlT_T0_E_clISt17integral_constantIbLb1EES1U_EEDaS1P_S1Q_EUlS1P_E_NS1_11comp_targetILNS1_3genE3ELNS1_11target_archE908ELNS1_3gpuE7ELNS1_3repE0EEENS1_30default_config_static_selectorELNS0_4arch9wavefront6targetE1EEEvS12_,comdat
	.globl	_ZN7rocprim17ROCPRIM_400000_NS6detail17trampoline_kernelINS0_13select_configILj256ELj13ELNS0_17block_load_methodE3ELS4_3ELS4_3ELNS0_20block_scan_algorithmE0ELj4294967295EEENS1_25partition_config_selectorILNS1_17partition_subalgoE4EjNS0_10empty_typeEbEEZZNS1_14partition_implILS8_4ELb0ES6_15HIP_vector_typeIjLj2EENS0_17counting_iteratorIjlEEPS9_SG_NS0_5tupleIJPjSI_NS0_16reverse_iteratorISI_EEEEENSH_IJSG_SG_SG_EEES9_SI_JZNS1_25segmented_radix_sort_implINS0_14default_configELb0EPKdPdPKlPlN2at6native12_GLOBAL__N_18offset_tEEE10hipError_tPvRmT1_PNSt15iterator_traitsIS12_E10value_typeET2_T3_PNS13_IS18_E10value_typeET4_jRbjT5_S1E_jjP12ihipStream_tbEUljE_ZNSN_ISO_Lb0ESQ_SR_ST_SU_SY_EESZ_S10_S11_S12_S16_S17_S18_S1B_S1C_jS1D_jS1E_S1E_jjS1G_bEUljE0_EEESZ_S10_S11_S18_S1C_S1E_T6_T7_T9_mT8_S1G_bDpT10_ENKUlT_T0_E_clISt17integral_constantIbLb1EES1U_EEDaS1P_S1Q_EUlS1P_E_NS1_11comp_targetILNS1_3genE3ELNS1_11target_archE908ELNS1_3gpuE7ELNS1_3repE0EEENS1_30default_config_static_selectorELNS0_4arch9wavefront6targetE1EEEvS12_ ; -- Begin function _ZN7rocprim17ROCPRIM_400000_NS6detail17trampoline_kernelINS0_13select_configILj256ELj13ELNS0_17block_load_methodE3ELS4_3ELS4_3ELNS0_20block_scan_algorithmE0ELj4294967295EEENS1_25partition_config_selectorILNS1_17partition_subalgoE4EjNS0_10empty_typeEbEEZZNS1_14partition_implILS8_4ELb0ES6_15HIP_vector_typeIjLj2EENS0_17counting_iteratorIjlEEPS9_SG_NS0_5tupleIJPjSI_NS0_16reverse_iteratorISI_EEEEENSH_IJSG_SG_SG_EEES9_SI_JZNS1_25segmented_radix_sort_implINS0_14default_configELb0EPKdPdPKlPlN2at6native12_GLOBAL__N_18offset_tEEE10hipError_tPvRmT1_PNSt15iterator_traitsIS12_E10value_typeET2_T3_PNS13_IS18_E10value_typeET4_jRbjT5_S1E_jjP12ihipStream_tbEUljE_ZNSN_ISO_Lb0ESQ_SR_ST_SU_SY_EESZ_S10_S11_S12_S16_S17_S18_S1B_S1C_jS1D_jS1E_S1E_jjS1G_bEUljE0_EEESZ_S10_S11_S18_S1C_S1E_T6_T7_T9_mT8_S1G_bDpT10_ENKUlT_T0_E_clISt17integral_constantIbLb1EES1U_EEDaS1P_S1Q_EUlS1P_E_NS1_11comp_targetILNS1_3genE3ELNS1_11target_archE908ELNS1_3gpuE7ELNS1_3repE0EEENS1_30default_config_static_selectorELNS0_4arch9wavefront6targetE1EEEvS12_
	.p2align	8
	.type	_ZN7rocprim17ROCPRIM_400000_NS6detail17trampoline_kernelINS0_13select_configILj256ELj13ELNS0_17block_load_methodE3ELS4_3ELS4_3ELNS0_20block_scan_algorithmE0ELj4294967295EEENS1_25partition_config_selectorILNS1_17partition_subalgoE4EjNS0_10empty_typeEbEEZZNS1_14partition_implILS8_4ELb0ES6_15HIP_vector_typeIjLj2EENS0_17counting_iteratorIjlEEPS9_SG_NS0_5tupleIJPjSI_NS0_16reverse_iteratorISI_EEEEENSH_IJSG_SG_SG_EEES9_SI_JZNS1_25segmented_radix_sort_implINS0_14default_configELb0EPKdPdPKlPlN2at6native12_GLOBAL__N_18offset_tEEE10hipError_tPvRmT1_PNSt15iterator_traitsIS12_E10value_typeET2_T3_PNS13_IS18_E10value_typeET4_jRbjT5_S1E_jjP12ihipStream_tbEUljE_ZNSN_ISO_Lb0ESQ_SR_ST_SU_SY_EESZ_S10_S11_S12_S16_S17_S18_S1B_S1C_jS1D_jS1E_S1E_jjS1G_bEUljE0_EEESZ_S10_S11_S18_S1C_S1E_T6_T7_T9_mT8_S1G_bDpT10_ENKUlT_T0_E_clISt17integral_constantIbLb1EES1U_EEDaS1P_S1Q_EUlS1P_E_NS1_11comp_targetILNS1_3genE3ELNS1_11target_archE908ELNS1_3gpuE7ELNS1_3repE0EEENS1_30default_config_static_selectorELNS0_4arch9wavefront6targetE1EEEvS12_,@function
_ZN7rocprim17ROCPRIM_400000_NS6detail17trampoline_kernelINS0_13select_configILj256ELj13ELNS0_17block_load_methodE3ELS4_3ELS4_3ELNS0_20block_scan_algorithmE0ELj4294967295EEENS1_25partition_config_selectorILNS1_17partition_subalgoE4EjNS0_10empty_typeEbEEZZNS1_14partition_implILS8_4ELb0ES6_15HIP_vector_typeIjLj2EENS0_17counting_iteratorIjlEEPS9_SG_NS0_5tupleIJPjSI_NS0_16reverse_iteratorISI_EEEEENSH_IJSG_SG_SG_EEES9_SI_JZNS1_25segmented_radix_sort_implINS0_14default_configELb0EPKdPdPKlPlN2at6native12_GLOBAL__N_18offset_tEEE10hipError_tPvRmT1_PNSt15iterator_traitsIS12_E10value_typeET2_T3_PNS13_IS18_E10value_typeET4_jRbjT5_S1E_jjP12ihipStream_tbEUljE_ZNSN_ISO_Lb0ESQ_SR_ST_SU_SY_EESZ_S10_S11_S12_S16_S17_S18_S1B_S1C_jS1D_jS1E_S1E_jjS1G_bEUljE0_EEESZ_S10_S11_S18_S1C_S1E_T6_T7_T9_mT8_S1G_bDpT10_ENKUlT_T0_E_clISt17integral_constantIbLb1EES1U_EEDaS1P_S1Q_EUlS1P_E_NS1_11comp_targetILNS1_3genE3ELNS1_11target_archE908ELNS1_3gpuE7ELNS1_3repE0EEENS1_30default_config_static_selectorELNS0_4arch9wavefront6targetE1EEEvS12_: ; @_ZN7rocprim17ROCPRIM_400000_NS6detail17trampoline_kernelINS0_13select_configILj256ELj13ELNS0_17block_load_methodE3ELS4_3ELS4_3ELNS0_20block_scan_algorithmE0ELj4294967295EEENS1_25partition_config_selectorILNS1_17partition_subalgoE4EjNS0_10empty_typeEbEEZZNS1_14partition_implILS8_4ELb0ES6_15HIP_vector_typeIjLj2EENS0_17counting_iteratorIjlEEPS9_SG_NS0_5tupleIJPjSI_NS0_16reverse_iteratorISI_EEEEENSH_IJSG_SG_SG_EEES9_SI_JZNS1_25segmented_radix_sort_implINS0_14default_configELb0EPKdPdPKlPlN2at6native12_GLOBAL__N_18offset_tEEE10hipError_tPvRmT1_PNSt15iterator_traitsIS12_E10value_typeET2_T3_PNS13_IS18_E10value_typeET4_jRbjT5_S1E_jjP12ihipStream_tbEUljE_ZNSN_ISO_Lb0ESQ_SR_ST_SU_SY_EESZ_S10_S11_S12_S16_S17_S18_S1B_S1C_jS1D_jS1E_S1E_jjS1G_bEUljE0_EEESZ_S10_S11_S18_S1C_S1E_T6_T7_T9_mT8_S1G_bDpT10_ENKUlT_T0_E_clISt17integral_constantIbLb1EES1U_EEDaS1P_S1Q_EUlS1P_E_NS1_11comp_targetILNS1_3genE3ELNS1_11target_archE908ELNS1_3gpuE7ELNS1_3repE0EEENS1_30default_config_static_selectorELNS0_4arch9wavefront6targetE1EEEvS12_
; %bb.0:
	.section	.rodata,"a",@progbits
	.p2align	6, 0x0
	.amdhsa_kernel _ZN7rocprim17ROCPRIM_400000_NS6detail17trampoline_kernelINS0_13select_configILj256ELj13ELNS0_17block_load_methodE3ELS4_3ELS4_3ELNS0_20block_scan_algorithmE0ELj4294967295EEENS1_25partition_config_selectorILNS1_17partition_subalgoE4EjNS0_10empty_typeEbEEZZNS1_14partition_implILS8_4ELb0ES6_15HIP_vector_typeIjLj2EENS0_17counting_iteratorIjlEEPS9_SG_NS0_5tupleIJPjSI_NS0_16reverse_iteratorISI_EEEEENSH_IJSG_SG_SG_EEES9_SI_JZNS1_25segmented_radix_sort_implINS0_14default_configELb0EPKdPdPKlPlN2at6native12_GLOBAL__N_18offset_tEEE10hipError_tPvRmT1_PNSt15iterator_traitsIS12_E10value_typeET2_T3_PNS13_IS18_E10value_typeET4_jRbjT5_S1E_jjP12ihipStream_tbEUljE_ZNSN_ISO_Lb0ESQ_SR_ST_SU_SY_EESZ_S10_S11_S12_S16_S17_S18_S1B_S1C_jS1D_jS1E_S1E_jjS1G_bEUljE0_EEESZ_S10_S11_S18_S1C_S1E_T6_T7_T9_mT8_S1G_bDpT10_ENKUlT_T0_E_clISt17integral_constantIbLb1EES1U_EEDaS1P_S1Q_EUlS1P_E_NS1_11comp_targetILNS1_3genE3ELNS1_11target_archE908ELNS1_3gpuE7ELNS1_3repE0EEENS1_30default_config_static_selectorELNS0_4arch9wavefront6targetE1EEEvS12_
		.amdhsa_group_segment_fixed_size 0
		.amdhsa_private_segment_fixed_size 0
		.amdhsa_kernarg_size 184
		.amdhsa_user_sgpr_count 6
		.amdhsa_user_sgpr_private_segment_buffer 1
		.amdhsa_user_sgpr_dispatch_ptr 0
		.amdhsa_user_sgpr_queue_ptr 0
		.amdhsa_user_sgpr_kernarg_segment_ptr 1
		.amdhsa_user_sgpr_dispatch_id 0
		.amdhsa_user_sgpr_flat_scratch_init 0
		.amdhsa_user_sgpr_private_segment_size 0
		.amdhsa_uses_dynamic_stack 0
		.amdhsa_system_sgpr_private_segment_wavefront_offset 0
		.amdhsa_system_sgpr_workgroup_id_x 1
		.amdhsa_system_sgpr_workgroup_id_y 0
		.amdhsa_system_sgpr_workgroup_id_z 0
		.amdhsa_system_sgpr_workgroup_info 0
		.amdhsa_system_vgpr_workitem_id 0
		.amdhsa_next_free_vgpr 1
		.amdhsa_next_free_sgpr 0
		.amdhsa_reserve_vcc 0
		.amdhsa_reserve_flat_scratch 0
		.amdhsa_float_round_mode_32 0
		.amdhsa_float_round_mode_16_64 0
		.amdhsa_float_denorm_mode_32 3
		.amdhsa_float_denorm_mode_16_64 3
		.amdhsa_dx10_clamp 1
		.amdhsa_ieee_mode 1
		.amdhsa_fp16_overflow 0
		.amdhsa_exception_fp_ieee_invalid_op 0
		.amdhsa_exception_fp_denorm_src 0
		.amdhsa_exception_fp_ieee_div_zero 0
		.amdhsa_exception_fp_ieee_overflow 0
		.amdhsa_exception_fp_ieee_underflow 0
		.amdhsa_exception_fp_ieee_inexact 0
		.amdhsa_exception_int_div_zero 0
	.end_amdhsa_kernel
	.section	.text._ZN7rocprim17ROCPRIM_400000_NS6detail17trampoline_kernelINS0_13select_configILj256ELj13ELNS0_17block_load_methodE3ELS4_3ELS4_3ELNS0_20block_scan_algorithmE0ELj4294967295EEENS1_25partition_config_selectorILNS1_17partition_subalgoE4EjNS0_10empty_typeEbEEZZNS1_14partition_implILS8_4ELb0ES6_15HIP_vector_typeIjLj2EENS0_17counting_iteratorIjlEEPS9_SG_NS0_5tupleIJPjSI_NS0_16reverse_iteratorISI_EEEEENSH_IJSG_SG_SG_EEES9_SI_JZNS1_25segmented_radix_sort_implINS0_14default_configELb0EPKdPdPKlPlN2at6native12_GLOBAL__N_18offset_tEEE10hipError_tPvRmT1_PNSt15iterator_traitsIS12_E10value_typeET2_T3_PNS13_IS18_E10value_typeET4_jRbjT5_S1E_jjP12ihipStream_tbEUljE_ZNSN_ISO_Lb0ESQ_SR_ST_SU_SY_EESZ_S10_S11_S12_S16_S17_S18_S1B_S1C_jS1D_jS1E_S1E_jjS1G_bEUljE0_EEESZ_S10_S11_S18_S1C_S1E_T6_T7_T9_mT8_S1G_bDpT10_ENKUlT_T0_E_clISt17integral_constantIbLb1EES1U_EEDaS1P_S1Q_EUlS1P_E_NS1_11comp_targetILNS1_3genE3ELNS1_11target_archE908ELNS1_3gpuE7ELNS1_3repE0EEENS1_30default_config_static_selectorELNS0_4arch9wavefront6targetE1EEEvS12_,"axG",@progbits,_ZN7rocprim17ROCPRIM_400000_NS6detail17trampoline_kernelINS0_13select_configILj256ELj13ELNS0_17block_load_methodE3ELS4_3ELS4_3ELNS0_20block_scan_algorithmE0ELj4294967295EEENS1_25partition_config_selectorILNS1_17partition_subalgoE4EjNS0_10empty_typeEbEEZZNS1_14partition_implILS8_4ELb0ES6_15HIP_vector_typeIjLj2EENS0_17counting_iteratorIjlEEPS9_SG_NS0_5tupleIJPjSI_NS0_16reverse_iteratorISI_EEEEENSH_IJSG_SG_SG_EEES9_SI_JZNS1_25segmented_radix_sort_implINS0_14default_configELb0EPKdPdPKlPlN2at6native12_GLOBAL__N_18offset_tEEE10hipError_tPvRmT1_PNSt15iterator_traitsIS12_E10value_typeET2_T3_PNS13_IS18_E10value_typeET4_jRbjT5_S1E_jjP12ihipStream_tbEUljE_ZNSN_ISO_Lb0ESQ_SR_ST_SU_SY_EESZ_S10_S11_S12_S16_S17_S18_S1B_S1C_jS1D_jS1E_S1E_jjS1G_bEUljE0_EEESZ_S10_S11_S18_S1C_S1E_T6_T7_T9_mT8_S1G_bDpT10_ENKUlT_T0_E_clISt17integral_constantIbLb1EES1U_EEDaS1P_S1Q_EUlS1P_E_NS1_11comp_targetILNS1_3genE3ELNS1_11target_archE908ELNS1_3gpuE7ELNS1_3repE0EEENS1_30default_config_static_selectorELNS0_4arch9wavefront6targetE1EEEvS12_,comdat
.Lfunc_end1168:
	.size	_ZN7rocprim17ROCPRIM_400000_NS6detail17trampoline_kernelINS0_13select_configILj256ELj13ELNS0_17block_load_methodE3ELS4_3ELS4_3ELNS0_20block_scan_algorithmE0ELj4294967295EEENS1_25partition_config_selectorILNS1_17partition_subalgoE4EjNS0_10empty_typeEbEEZZNS1_14partition_implILS8_4ELb0ES6_15HIP_vector_typeIjLj2EENS0_17counting_iteratorIjlEEPS9_SG_NS0_5tupleIJPjSI_NS0_16reverse_iteratorISI_EEEEENSH_IJSG_SG_SG_EEES9_SI_JZNS1_25segmented_radix_sort_implINS0_14default_configELb0EPKdPdPKlPlN2at6native12_GLOBAL__N_18offset_tEEE10hipError_tPvRmT1_PNSt15iterator_traitsIS12_E10value_typeET2_T3_PNS13_IS18_E10value_typeET4_jRbjT5_S1E_jjP12ihipStream_tbEUljE_ZNSN_ISO_Lb0ESQ_SR_ST_SU_SY_EESZ_S10_S11_S12_S16_S17_S18_S1B_S1C_jS1D_jS1E_S1E_jjS1G_bEUljE0_EEESZ_S10_S11_S18_S1C_S1E_T6_T7_T9_mT8_S1G_bDpT10_ENKUlT_T0_E_clISt17integral_constantIbLb1EES1U_EEDaS1P_S1Q_EUlS1P_E_NS1_11comp_targetILNS1_3genE3ELNS1_11target_archE908ELNS1_3gpuE7ELNS1_3repE0EEENS1_30default_config_static_selectorELNS0_4arch9wavefront6targetE1EEEvS12_, .Lfunc_end1168-_ZN7rocprim17ROCPRIM_400000_NS6detail17trampoline_kernelINS0_13select_configILj256ELj13ELNS0_17block_load_methodE3ELS4_3ELS4_3ELNS0_20block_scan_algorithmE0ELj4294967295EEENS1_25partition_config_selectorILNS1_17partition_subalgoE4EjNS0_10empty_typeEbEEZZNS1_14partition_implILS8_4ELb0ES6_15HIP_vector_typeIjLj2EENS0_17counting_iteratorIjlEEPS9_SG_NS0_5tupleIJPjSI_NS0_16reverse_iteratorISI_EEEEENSH_IJSG_SG_SG_EEES9_SI_JZNS1_25segmented_radix_sort_implINS0_14default_configELb0EPKdPdPKlPlN2at6native12_GLOBAL__N_18offset_tEEE10hipError_tPvRmT1_PNSt15iterator_traitsIS12_E10value_typeET2_T3_PNS13_IS18_E10value_typeET4_jRbjT5_S1E_jjP12ihipStream_tbEUljE_ZNSN_ISO_Lb0ESQ_SR_ST_SU_SY_EESZ_S10_S11_S12_S16_S17_S18_S1B_S1C_jS1D_jS1E_S1E_jjS1G_bEUljE0_EEESZ_S10_S11_S18_S1C_S1E_T6_T7_T9_mT8_S1G_bDpT10_ENKUlT_T0_E_clISt17integral_constantIbLb1EES1U_EEDaS1P_S1Q_EUlS1P_E_NS1_11comp_targetILNS1_3genE3ELNS1_11target_archE908ELNS1_3gpuE7ELNS1_3repE0EEENS1_30default_config_static_selectorELNS0_4arch9wavefront6targetE1EEEvS12_
                                        ; -- End function
	.set _ZN7rocprim17ROCPRIM_400000_NS6detail17trampoline_kernelINS0_13select_configILj256ELj13ELNS0_17block_load_methodE3ELS4_3ELS4_3ELNS0_20block_scan_algorithmE0ELj4294967295EEENS1_25partition_config_selectorILNS1_17partition_subalgoE4EjNS0_10empty_typeEbEEZZNS1_14partition_implILS8_4ELb0ES6_15HIP_vector_typeIjLj2EENS0_17counting_iteratorIjlEEPS9_SG_NS0_5tupleIJPjSI_NS0_16reverse_iteratorISI_EEEEENSH_IJSG_SG_SG_EEES9_SI_JZNS1_25segmented_radix_sort_implINS0_14default_configELb0EPKdPdPKlPlN2at6native12_GLOBAL__N_18offset_tEEE10hipError_tPvRmT1_PNSt15iterator_traitsIS12_E10value_typeET2_T3_PNS13_IS18_E10value_typeET4_jRbjT5_S1E_jjP12ihipStream_tbEUljE_ZNSN_ISO_Lb0ESQ_SR_ST_SU_SY_EESZ_S10_S11_S12_S16_S17_S18_S1B_S1C_jS1D_jS1E_S1E_jjS1G_bEUljE0_EEESZ_S10_S11_S18_S1C_S1E_T6_T7_T9_mT8_S1G_bDpT10_ENKUlT_T0_E_clISt17integral_constantIbLb1EES1U_EEDaS1P_S1Q_EUlS1P_E_NS1_11comp_targetILNS1_3genE3ELNS1_11target_archE908ELNS1_3gpuE7ELNS1_3repE0EEENS1_30default_config_static_selectorELNS0_4arch9wavefront6targetE1EEEvS12_.num_vgpr, 0
	.set _ZN7rocprim17ROCPRIM_400000_NS6detail17trampoline_kernelINS0_13select_configILj256ELj13ELNS0_17block_load_methodE3ELS4_3ELS4_3ELNS0_20block_scan_algorithmE0ELj4294967295EEENS1_25partition_config_selectorILNS1_17partition_subalgoE4EjNS0_10empty_typeEbEEZZNS1_14partition_implILS8_4ELb0ES6_15HIP_vector_typeIjLj2EENS0_17counting_iteratorIjlEEPS9_SG_NS0_5tupleIJPjSI_NS0_16reverse_iteratorISI_EEEEENSH_IJSG_SG_SG_EEES9_SI_JZNS1_25segmented_radix_sort_implINS0_14default_configELb0EPKdPdPKlPlN2at6native12_GLOBAL__N_18offset_tEEE10hipError_tPvRmT1_PNSt15iterator_traitsIS12_E10value_typeET2_T3_PNS13_IS18_E10value_typeET4_jRbjT5_S1E_jjP12ihipStream_tbEUljE_ZNSN_ISO_Lb0ESQ_SR_ST_SU_SY_EESZ_S10_S11_S12_S16_S17_S18_S1B_S1C_jS1D_jS1E_S1E_jjS1G_bEUljE0_EEESZ_S10_S11_S18_S1C_S1E_T6_T7_T9_mT8_S1G_bDpT10_ENKUlT_T0_E_clISt17integral_constantIbLb1EES1U_EEDaS1P_S1Q_EUlS1P_E_NS1_11comp_targetILNS1_3genE3ELNS1_11target_archE908ELNS1_3gpuE7ELNS1_3repE0EEENS1_30default_config_static_selectorELNS0_4arch9wavefront6targetE1EEEvS12_.num_agpr, 0
	.set _ZN7rocprim17ROCPRIM_400000_NS6detail17trampoline_kernelINS0_13select_configILj256ELj13ELNS0_17block_load_methodE3ELS4_3ELS4_3ELNS0_20block_scan_algorithmE0ELj4294967295EEENS1_25partition_config_selectorILNS1_17partition_subalgoE4EjNS0_10empty_typeEbEEZZNS1_14partition_implILS8_4ELb0ES6_15HIP_vector_typeIjLj2EENS0_17counting_iteratorIjlEEPS9_SG_NS0_5tupleIJPjSI_NS0_16reverse_iteratorISI_EEEEENSH_IJSG_SG_SG_EEES9_SI_JZNS1_25segmented_radix_sort_implINS0_14default_configELb0EPKdPdPKlPlN2at6native12_GLOBAL__N_18offset_tEEE10hipError_tPvRmT1_PNSt15iterator_traitsIS12_E10value_typeET2_T3_PNS13_IS18_E10value_typeET4_jRbjT5_S1E_jjP12ihipStream_tbEUljE_ZNSN_ISO_Lb0ESQ_SR_ST_SU_SY_EESZ_S10_S11_S12_S16_S17_S18_S1B_S1C_jS1D_jS1E_S1E_jjS1G_bEUljE0_EEESZ_S10_S11_S18_S1C_S1E_T6_T7_T9_mT8_S1G_bDpT10_ENKUlT_T0_E_clISt17integral_constantIbLb1EES1U_EEDaS1P_S1Q_EUlS1P_E_NS1_11comp_targetILNS1_3genE3ELNS1_11target_archE908ELNS1_3gpuE7ELNS1_3repE0EEENS1_30default_config_static_selectorELNS0_4arch9wavefront6targetE1EEEvS12_.numbered_sgpr, 0
	.set _ZN7rocprim17ROCPRIM_400000_NS6detail17trampoline_kernelINS0_13select_configILj256ELj13ELNS0_17block_load_methodE3ELS4_3ELS4_3ELNS0_20block_scan_algorithmE0ELj4294967295EEENS1_25partition_config_selectorILNS1_17partition_subalgoE4EjNS0_10empty_typeEbEEZZNS1_14partition_implILS8_4ELb0ES6_15HIP_vector_typeIjLj2EENS0_17counting_iteratorIjlEEPS9_SG_NS0_5tupleIJPjSI_NS0_16reverse_iteratorISI_EEEEENSH_IJSG_SG_SG_EEES9_SI_JZNS1_25segmented_radix_sort_implINS0_14default_configELb0EPKdPdPKlPlN2at6native12_GLOBAL__N_18offset_tEEE10hipError_tPvRmT1_PNSt15iterator_traitsIS12_E10value_typeET2_T3_PNS13_IS18_E10value_typeET4_jRbjT5_S1E_jjP12ihipStream_tbEUljE_ZNSN_ISO_Lb0ESQ_SR_ST_SU_SY_EESZ_S10_S11_S12_S16_S17_S18_S1B_S1C_jS1D_jS1E_S1E_jjS1G_bEUljE0_EEESZ_S10_S11_S18_S1C_S1E_T6_T7_T9_mT8_S1G_bDpT10_ENKUlT_T0_E_clISt17integral_constantIbLb1EES1U_EEDaS1P_S1Q_EUlS1P_E_NS1_11comp_targetILNS1_3genE3ELNS1_11target_archE908ELNS1_3gpuE7ELNS1_3repE0EEENS1_30default_config_static_selectorELNS0_4arch9wavefront6targetE1EEEvS12_.num_named_barrier, 0
	.set _ZN7rocprim17ROCPRIM_400000_NS6detail17trampoline_kernelINS0_13select_configILj256ELj13ELNS0_17block_load_methodE3ELS4_3ELS4_3ELNS0_20block_scan_algorithmE0ELj4294967295EEENS1_25partition_config_selectorILNS1_17partition_subalgoE4EjNS0_10empty_typeEbEEZZNS1_14partition_implILS8_4ELb0ES6_15HIP_vector_typeIjLj2EENS0_17counting_iteratorIjlEEPS9_SG_NS0_5tupleIJPjSI_NS0_16reverse_iteratorISI_EEEEENSH_IJSG_SG_SG_EEES9_SI_JZNS1_25segmented_radix_sort_implINS0_14default_configELb0EPKdPdPKlPlN2at6native12_GLOBAL__N_18offset_tEEE10hipError_tPvRmT1_PNSt15iterator_traitsIS12_E10value_typeET2_T3_PNS13_IS18_E10value_typeET4_jRbjT5_S1E_jjP12ihipStream_tbEUljE_ZNSN_ISO_Lb0ESQ_SR_ST_SU_SY_EESZ_S10_S11_S12_S16_S17_S18_S1B_S1C_jS1D_jS1E_S1E_jjS1G_bEUljE0_EEESZ_S10_S11_S18_S1C_S1E_T6_T7_T9_mT8_S1G_bDpT10_ENKUlT_T0_E_clISt17integral_constantIbLb1EES1U_EEDaS1P_S1Q_EUlS1P_E_NS1_11comp_targetILNS1_3genE3ELNS1_11target_archE908ELNS1_3gpuE7ELNS1_3repE0EEENS1_30default_config_static_selectorELNS0_4arch9wavefront6targetE1EEEvS12_.private_seg_size, 0
	.set _ZN7rocprim17ROCPRIM_400000_NS6detail17trampoline_kernelINS0_13select_configILj256ELj13ELNS0_17block_load_methodE3ELS4_3ELS4_3ELNS0_20block_scan_algorithmE0ELj4294967295EEENS1_25partition_config_selectorILNS1_17partition_subalgoE4EjNS0_10empty_typeEbEEZZNS1_14partition_implILS8_4ELb0ES6_15HIP_vector_typeIjLj2EENS0_17counting_iteratorIjlEEPS9_SG_NS0_5tupleIJPjSI_NS0_16reverse_iteratorISI_EEEEENSH_IJSG_SG_SG_EEES9_SI_JZNS1_25segmented_radix_sort_implINS0_14default_configELb0EPKdPdPKlPlN2at6native12_GLOBAL__N_18offset_tEEE10hipError_tPvRmT1_PNSt15iterator_traitsIS12_E10value_typeET2_T3_PNS13_IS18_E10value_typeET4_jRbjT5_S1E_jjP12ihipStream_tbEUljE_ZNSN_ISO_Lb0ESQ_SR_ST_SU_SY_EESZ_S10_S11_S12_S16_S17_S18_S1B_S1C_jS1D_jS1E_S1E_jjS1G_bEUljE0_EEESZ_S10_S11_S18_S1C_S1E_T6_T7_T9_mT8_S1G_bDpT10_ENKUlT_T0_E_clISt17integral_constantIbLb1EES1U_EEDaS1P_S1Q_EUlS1P_E_NS1_11comp_targetILNS1_3genE3ELNS1_11target_archE908ELNS1_3gpuE7ELNS1_3repE0EEENS1_30default_config_static_selectorELNS0_4arch9wavefront6targetE1EEEvS12_.uses_vcc, 0
	.set _ZN7rocprim17ROCPRIM_400000_NS6detail17trampoline_kernelINS0_13select_configILj256ELj13ELNS0_17block_load_methodE3ELS4_3ELS4_3ELNS0_20block_scan_algorithmE0ELj4294967295EEENS1_25partition_config_selectorILNS1_17partition_subalgoE4EjNS0_10empty_typeEbEEZZNS1_14partition_implILS8_4ELb0ES6_15HIP_vector_typeIjLj2EENS0_17counting_iteratorIjlEEPS9_SG_NS0_5tupleIJPjSI_NS0_16reverse_iteratorISI_EEEEENSH_IJSG_SG_SG_EEES9_SI_JZNS1_25segmented_radix_sort_implINS0_14default_configELb0EPKdPdPKlPlN2at6native12_GLOBAL__N_18offset_tEEE10hipError_tPvRmT1_PNSt15iterator_traitsIS12_E10value_typeET2_T3_PNS13_IS18_E10value_typeET4_jRbjT5_S1E_jjP12ihipStream_tbEUljE_ZNSN_ISO_Lb0ESQ_SR_ST_SU_SY_EESZ_S10_S11_S12_S16_S17_S18_S1B_S1C_jS1D_jS1E_S1E_jjS1G_bEUljE0_EEESZ_S10_S11_S18_S1C_S1E_T6_T7_T9_mT8_S1G_bDpT10_ENKUlT_T0_E_clISt17integral_constantIbLb1EES1U_EEDaS1P_S1Q_EUlS1P_E_NS1_11comp_targetILNS1_3genE3ELNS1_11target_archE908ELNS1_3gpuE7ELNS1_3repE0EEENS1_30default_config_static_selectorELNS0_4arch9wavefront6targetE1EEEvS12_.uses_flat_scratch, 0
	.set _ZN7rocprim17ROCPRIM_400000_NS6detail17trampoline_kernelINS0_13select_configILj256ELj13ELNS0_17block_load_methodE3ELS4_3ELS4_3ELNS0_20block_scan_algorithmE0ELj4294967295EEENS1_25partition_config_selectorILNS1_17partition_subalgoE4EjNS0_10empty_typeEbEEZZNS1_14partition_implILS8_4ELb0ES6_15HIP_vector_typeIjLj2EENS0_17counting_iteratorIjlEEPS9_SG_NS0_5tupleIJPjSI_NS0_16reverse_iteratorISI_EEEEENSH_IJSG_SG_SG_EEES9_SI_JZNS1_25segmented_radix_sort_implINS0_14default_configELb0EPKdPdPKlPlN2at6native12_GLOBAL__N_18offset_tEEE10hipError_tPvRmT1_PNSt15iterator_traitsIS12_E10value_typeET2_T3_PNS13_IS18_E10value_typeET4_jRbjT5_S1E_jjP12ihipStream_tbEUljE_ZNSN_ISO_Lb0ESQ_SR_ST_SU_SY_EESZ_S10_S11_S12_S16_S17_S18_S1B_S1C_jS1D_jS1E_S1E_jjS1G_bEUljE0_EEESZ_S10_S11_S18_S1C_S1E_T6_T7_T9_mT8_S1G_bDpT10_ENKUlT_T0_E_clISt17integral_constantIbLb1EES1U_EEDaS1P_S1Q_EUlS1P_E_NS1_11comp_targetILNS1_3genE3ELNS1_11target_archE908ELNS1_3gpuE7ELNS1_3repE0EEENS1_30default_config_static_selectorELNS0_4arch9wavefront6targetE1EEEvS12_.has_dyn_sized_stack, 0
	.set _ZN7rocprim17ROCPRIM_400000_NS6detail17trampoline_kernelINS0_13select_configILj256ELj13ELNS0_17block_load_methodE3ELS4_3ELS4_3ELNS0_20block_scan_algorithmE0ELj4294967295EEENS1_25partition_config_selectorILNS1_17partition_subalgoE4EjNS0_10empty_typeEbEEZZNS1_14partition_implILS8_4ELb0ES6_15HIP_vector_typeIjLj2EENS0_17counting_iteratorIjlEEPS9_SG_NS0_5tupleIJPjSI_NS0_16reverse_iteratorISI_EEEEENSH_IJSG_SG_SG_EEES9_SI_JZNS1_25segmented_radix_sort_implINS0_14default_configELb0EPKdPdPKlPlN2at6native12_GLOBAL__N_18offset_tEEE10hipError_tPvRmT1_PNSt15iterator_traitsIS12_E10value_typeET2_T3_PNS13_IS18_E10value_typeET4_jRbjT5_S1E_jjP12ihipStream_tbEUljE_ZNSN_ISO_Lb0ESQ_SR_ST_SU_SY_EESZ_S10_S11_S12_S16_S17_S18_S1B_S1C_jS1D_jS1E_S1E_jjS1G_bEUljE0_EEESZ_S10_S11_S18_S1C_S1E_T6_T7_T9_mT8_S1G_bDpT10_ENKUlT_T0_E_clISt17integral_constantIbLb1EES1U_EEDaS1P_S1Q_EUlS1P_E_NS1_11comp_targetILNS1_3genE3ELNS1_11target_archE908ELNS1_3gpuE7ELNS1_3repE0EEENS1_30default_config_static_selectorELNS0_4arch9wavefront6targetE1EEEvS12_.has_recursion, 0
	.set _ZN7rocprim17ROCPRIM_400000_NS6detail17trampoline_kernelINS0_13select_configILj256ELj13ELNS0_17block_load_methodE3ELS4_3ELS4_3ELNS0_20block_scan_algorithmE0ELj4294967295EEENS1_25partition_config_selectorILNS1_17partition_subalgoE4EjNS0_10empty_typeEbEEZZNS1_14partition_implILS8_4ELb0ES6_15HIP_vector_typeIjLj2EENS0_17counting_iteratorIjlEEPS9_SG_NS0_5tupleIJPjSI_NS0_16reverse_iteratorISI_EEEEENSH_IJSG_SG_SG_EEES9_SI_JZNS1_25segmented_radix_sort_implINS0_14default_configELb0EPKdPdPKlPlN2at6native12_GLOBAL__N_18offset_tEEE10hipError_tPvRmT1_PNSt15iterator_traitsIS12_E10value_typeET2_T3_PNS13_IS18_E10value_typeET4_jRbjT5_S1E_jjP12ihipStream_tbEUljE_ZNSN_ISO_Lb0ESQ_SR_ST_SU_SY_EESZ_S10_S11_S12_S16_S17_S18_S1B_S1C_jS1D_jS1E_S1E_jjS1G_bEUljE0_EEESZ_S10_S11_S18_S1C_S1E_T6_T7_T9_mT8_S1G_bDpT10_ENKUlT_T0_E_clISt17integral_constantIbLb1EES1U_EEDaS1P_S1Q_EUlS1P_E_NS1_11comp_targetILNS1_3genE3ELNS1_11target_archE908ELNS1_3gpuE7ELNS1_3repE0EEENS1_30default_config_static_selectorELNS0_4arch9wavefront6targetE1EEEvS12_.has_indirect_call, 0
	.section	.AMDGPU.csdata,"",@progbits
; Kernel info:
; codeLenInByte = 0
; TotalNumSgprs: 4
; NumVgprs: 0
; ScratchSize: 0
; MemoryBound: 0
; FloatMode: 240
; IeeeMode: 1
; LDSByteSize: 0 bytes/workgroup (compile time only)
; SGPRBlocks: 0
; VGPRBlocks: 0
; NumSGPRsForWavesPerEU: 4
; NumVGPRsForWavesPerEU: 1
; Occupancy: 10
; WaveLimiterHint : 0
; COMPUTE_PGM_RSRC2:SCRATCH_EN: 0
; COMPUTE_PGM_RSRC2:USER_SGPR: 6
; COMPUTE_PGM_RSRC2:TRAP_HANDLER: 0
; COMPUTE_PGM_RSRC2:TGID_X_EN: 1
; COMPUTE_PGM_RSRC2:TGID_Y_EN: 0
; COMPUTE_PGM_RSRC2:TGID_Z_EN: 0
; COMPUTE_PGM_RSRC2:TIDIG_COMP_CNT: 0
	.section	.text._ZN7rocprim17ROCPRIM_400000_NS6detail17trampoline_kernelINS0_13select_configILj256ELj13ELNS0_17block_load_methodE3ELS4_3ELS4_3ELNS0_20block_scan_algorithmE0ELj4294967295EEENS1_25partition_config_selectorILNS1_17partition_subalgoE4EjNS0_10empty_typeEbEEZZNS1_14partition_implILS8_4ELb0ES6_15HIP_vector_typeIjLj2EENS0_17counting_iteratorIjlEEPS9_SG_NS0_5tupleIJPjSI_NS0_16reverse_iteratorISI_EEEEENSH_IJSG_SG_SG_EEES9_SI_JZNS1_25segmented_radix_sort_implINS0_14default_configELb0EPKdPdPKlPlN2at6native12_GLOBAL__N_18offset_tEEE10hipError_tPvRmT1_PNSt15iterator_traitsIS12_E10value_typeET2_T3_PNS13_IS18_E10value_typeET4_jRbjT5_S1E_jjP12ihipStream_tbEUljE_ZNSN_ISO_Lb0ESQ_SR_ST_SU_SY_EESZ_S10_S11_S12_S16_S17_S18_S1B_S1C_jS1D_jS1E_S1E_jjS1G_bEUljE0_EEESZ_S10_S11_S18_S1C_S1E_T6_T7_T9_mT8_S1G_bDpT10_ENKUlT_T0_E_clISt17integral_constantIbLb1EES1U_EEDaS1P_S1Q_EUlS1P_E_NS1_11comp_targetILNS1_3genE2ELNS1_11target_archE906ELNS1_3gpuE6ELNS1_3repE0EEENS1_30default_config_static_selectorELNS0_4arch9wavefront6targetE1EEEvS12_,"axG",@progbits,_ZN7rocprim17ROCPRIM_400000_NS6detail17trampoline_kernelINS0_13select_configILj256ELj13ELNS0_17block_load_methodE3ELS4_3ELS4_3ELNS0_20block_scan_algorithmE0ELj4294967295EEENS1_25partition_config_selectorILNS1_17partition_subalgoE4EjNS0_10empty_typeEbEEZZNS1_14partition_implILS8_4ELb0ES6_15HIP_vector_typeIjLj2EENS0_17counting_iteratorIjlEEPS9_SG_NS0_5tupleIJPjSI_NS0_16reverse_iteratorISI_EEEEENSH_IJSG_SG_SG_EEES9_SI_JZNS1_25segmented_radix_sort_implINS0_14default_configELb0EPKdPdPKlPlN2at6native12_GLOBAL__N_18offset_tEEE10hipError_tPvRmT1_PNSt15iterator_traitsIS12_E10value_typeET2_T3_PNS13_IS18_E10value_typeET4_jRbjT5_S1E_jjP12ihipStream_tbEUljE_ZNSN_ISO_Lb0ESQ_SR_ST_SU_SY_EESZ_S10_S11_S12_S16_S17_S18_S1B_S1C_jS1D_jS1E_S1E_jjS1G_bEUljE0_EEESZ_S10_S11_S18_S1C_S1E_T6_T7_T9_mT8_S1G_bDpT10_ENKUlT_T0_E_clISt17integral_constantIbLb1EES1U_EEDaS1P_S1Q_EUlS1P_E_NS1_11comp_targetILNS1_3genE2ELNS1_11target_archE906ELNS1_3gpuE6ELNS1_3repE0EEENS1_30default_config_static_selectorELNS0_4arch9wavefront6targetE1EEEvS12_,comdat
	.globl	_ZN7rocprim17ROCPRIM_400000_NS6detail17trampoline_kernelINS0_13select_configILj256ELj13ELNS0_17block_load_methodE3ELS4_3ELS4_3ELNS0_20block_scan_algorithmE0ELj4294967295EEENS1_25partition_config_selectorILNS1_17partition_subalgoE4EjNS0_10empty_typeEbEEZZNS1_14partition_implILS8_4ELb0ES6_15HIP_vector_typeIjLj2EENS0_17counting_iteratorIjlEEPS9_SG_NS0_5tupleIJPjSI_NS0_16reverse_iteratorISI_EEEEENSH_IJSG_SG_SG_EEES9_SI_JZNS1_25segmented_radix_sort_implINS0_14default_configELb0EPKdPdPKlPlN2at6native12_GLOBAL__N_18offset_tEEE10hipError_tPvRmT1_PNSt15iterator_traitsIS12_E10value_typeET2_T3_PNS13_IS18_E10value_typeET4_jRbjT5_S1E_jjP12ihipStream_tbEUljE_ZNSN_ISO_Lb0ESQ_SR_ST_SU_SY_EESZ_S10_S11_S12_S16_S17_S18_S1B_S1C_jS1D_jS1E_S1E_jjS1G_bEUljE0_EEESZ_S10_S11_S18_S1C_S1E_T6_T7_T9_mT8_S1G_bDpT10_ENKUlT_T0_E_clISt17integral_constantIbLb1EES1U_EEDaS1P_S1Q_EUlS1P_E_NS1_11comp_targetILNS1_3genE2ELNS1_11target_archE906ELNS1_3gpuE6ELNS1_3repE0EEENS1_30default_config_static_selectorELNS0_4arch9wavefront6targetE1EEEvS12_ ; -- Begin function _ZN7rocprim17ROCPRIM_400000_NS6detail17trampoline_kernelINS0_13select_configILj256ELj13ELNS0_17block_load_methodE3ELS4_3ELS4_3ELNS0_20block_scan_algorithmE0ELj4294967295EEENS1_25partition_config_selectorILNS1_17partition_subalgoE4EjNS0_10empty_typeEbEEZZNS1_14partition_implILS8_4ELb0ES6_15HIP_vector_typeIjLj2EENS0_17counting_iteratorIjlEEPS9_SG_NS0_5tupleIJPjSI_NS0_16reverse_iteratorISI_EEEEENSH_IJSG_SG_SG_EEES9_SI_JZNS1_25segmented_radix_sort_implINS0_14default_configELb0EPKdPdPKlPlN2at6native12_GLOBAL__N_18offset_tEEE10hipError_tPvRmT1_PNSt15iterator_traitsIS12_E10value_typeET2_T3_PNS13_IS18_E10value_typeET4_jRbjT5_S1E_jjP12ihipStream_tbEUljE_ZNSN_ISO_Lb0ESQ_SR_ST_SU_SY_EESZ_S10_S11_S12_S16_S17_S18_S1B_S1C_jS1D_jS1E_S1E_jjS1G_bEUljE0_EEESZ_S10_S11_S18_S1C_S1E_T6_T7_T9_mT8_S1G_bDpT10_ENKUlT_T0_E_clISt17integral_constantIbLb1EES1U_EEDaS1P_S1Q_EUlS1P_E_NS1_11comp_targetILNS1_3genE2ELNS1_11target_archE906ELNS1_3gpuE6ELNS1_3repE0EEENS1_30default_config_static_selectorELNS0_4arch9wavefront6targetE1EEEvS12_
	.p2align	8
	.type	_ZN7rocprim17ROCPRIM_400000_NS6detail17trampoline_kernelINS0_13select_configILj256ELj13ELNS0_17block_load_methodE3ELS4_3ELS4_3ELNS0_20block_scan_algorithmE0ELj4294967295EEENS1_25partition_config_selectorILNS1_17partition_subalgoE4EjNS0_10empty_typeEbEEZZNS1_14partition_implILS8_4ELb0ES6_15HIP_vector_typeIjLj2EENS0_17counting_iteratorIjlEEPS9_SG_NS0_5tupleIJPjSI_NS0_16reverse_iteratorISI_EEEEENSH_IJSG_SG_SG_EEES9_SI_JZNS1_25segmented_radix_sort_implINS0_14default_configELb0EPKdPdPKlPlN2at6native12_GLOBAL__N_18offset_tEEE10hipError_tPvRmT1_PNSt15iterator_traitsIS12_E10value_typeET2_T3_PNS13_IS18_E10value_typeET4_jRbjT5_S1E_jjP12ihipStream_tbEUljE_ZNSN_ISO_Lb0ESQ_SR_ST_SU_SY_EESZ_S10_S11_S12_S16_S17_S18_S1B_S1C_jS1D_jS1E_S1E_jjS1G_bEUljE0_EEESZ_S10_S11_S18_S1C_S1E_T6_T7_T9_mT8_S1G_bDpT10_ENKUlT_T0_E_clISt17integral_constantIbLb1EES1U_EEDaS1P_S1Q_EUlS1P_E_NS1_11comp_targetILNS1_3genE2ELNS1_11target_archE906ELNS1_3gpuE6ELNS1_3repE0EEENS1_30default_config_static_selectorELNS0_4arch9wavefront6targetE1EEEvS12_,@function
_ZN7rocprim17ROCPRIM_400000_NS6detail17trampoline_kernelINS0_13select_configILj256ELj13ELNS0_17block_load_methodE3ELS4_3ELS4_3ELNS0_20block_scan_algorithmE0ELj4294967295EEENS1_25partition_config_selectorILNS1_17partition_subalgoE4EjNS0_10empty_typeEbEEZZNS1_14partition_implILS8_4ELb0ES6_15HIP_vector_typeIjLj2EENS0_17counting_iteratorIjlEEPS9_SG_NS0_5tupleIJPjSI_NS0_16reverse_iteratorISI_EEEEENSH_IJSG_SG_SG_EEES9_SI_JZNS1_25segmented_radix_sort_implINS0_14default_configELb0EPKdPdPKlPlN2at6native12_GLOBAL__N_18offset_tEEE10hipError_tPvRmT1_PNSt15iterator_traitsIS12_E10value_typeET2_T3_PNS13_IS18_E10value_typeET4_jRbjT5_S1E_jjP12ihipStream_tbEUljE_ZNSN_ISO_Lb0ESQ_SR_ST_SU_SY_EESZ_S10_S11_S12_S16_S17_S18_S1B_S1C_jS1D_jS1E_S1E_jjS1G_bEUljE0_EEESZ_S10_S11_S18_S1C_S1E_T6_T7_T9_mT8_S1G_bDpT10_ENKUlT_T0_E_clISt17integral_constantIbLb1EES1U_EEDaS1P_S1Q_EUlS1P_E_NS1_11comp_targetILNS1_3genE2ELNS1_11target_archE906ELNS1_3gpuE6ELNS1_3repE0EEENS1_30default_config_static_selectorELNS0_4arch9wavefront6targetE1EEEvS12_: ; @_ZN7rocprim17ROCPRIM_400000_NS6detail17trampoline_kernelINS0_13select_configILj256ELj13ELNS0_17block_load_methodE3ELS4_3ELS4_3ELNS0_20block_scan_algorithmE0ELj4294967295EEENS1_25partition_config_selectorILNS1_17partition_subalgoE4EjNS0_10empty_typeEbEEZZNS1_14partition_implILS8_4ELb0ES6_15HIP_vector_typeIjLj2EENS0_17counting_iteratorIjlEEPS9_SG_NS0_5tupleIJPjSI_NS0_16reverse_iteratorISI_EEEEENSH_IJSG_SG_SG_EEES9_SI_JZNS1_25segmented_radix_sort_implINS0_14default_configELb0EPKdPdPKlPlN2at6native12_GLOBAL__N_18offset_tEEE10hipError_tPvRmT1_PNSt15iterator_traitsIS12_E10value_typeET2_T3_PNS13_IS18_E10value_typeET4_jRbjT5_S1E_jjP12ihipStream_tbEUljE_ZNSN_ISO_Lb0ESQ_SR_ST_SU_SY_EESZ_S10_S11_S12_S16_S17_S18_S1B_S1C_jS1D_jS1E_S1E_jjS1G_bEUljE0_EEESZ_S10_S11_S18_S1C_S1E_T6_T7_T9_mT8_S1G_bDpT10_ENKUlT_T0_E_clISt17integral_constantIbLb1EES1U_EEDaS1P_S1Q_EUlS1P_E_NS1_11comp_targetILNS1_3genE2ELNS1_11target_archE906ELNS1_3gpuE6ELNS1_3repE0EEENS1_30default_config_static_selectorELNS0_4arch9wavefront6targetE1EEEvS12_
; %bb.0:
	s_endpgm
	.section	.rodata,"a",@progbits
	.p2align	6, 0x0
	.amdhsa_kernel _ZN7rocprim17ROCPRIM_400000_NS6detail17trampoline_kernelINS0_13select_configILj256ELj13ELNS0_17block_load_methodE3ELS4_3ELS4_3ELNS0_20block_scan_algorithmE0ELj4294967295EEENS1_25partition_config_selectorILNS1_17partition_subalgoE4EjNS0_10empty_typeEbEEZZNS1_14partition_implILS8_4ELb0ES6_15HIP_vector_typeIjLj2EENS0_17counting_iteratorIjlEEPS9_SG_NS0_5tupleIJPjSI_NS0_16reverse_iteratorISI_EEEEENSH_IJSG_SG_SG_EEES9_SI_JZNS1_25segmented_radix_sort_implINS0_14default_configELb0EPKdPdPKlPlN2at6native12_GLOBAL__N_18offset_tEEE10hipError_tPvRmT1_PNSt15iterator_traitsIS12_E10value_typeET2_T3_PNS13_IS18_E10value_typeET4_jRbjT5_S1E_jjP12ihipStream_tbEUljE_ZNSN_ISO_Lb0ESQ_SR_ST_SU_SY_EESZ_S10_S11_S12_S16_S17_S18_S1B_S1C_jS1D_jS1E_S1E_jjS1G_bEUljE0_EEESZ_S10_S11_S18_S1C_S1E_T6_T7_T9_mT8_S1G_bDpT10_ENKUlT_T0_E_clISt17integral_constantIbLb1EES1U_EEDaS1P_S1Q_EUlS1P_E_NS1_11comp_targetILNS1_3genE2ELNS1_11target_archE906ELNS1_3gpuE6ELNS1_3repE0EEENS1_30default_config_static_selectorELNS0_4arch9wavefront6targetE1EEEvS12_
		.amdhsa_group_segment_fixed_size 0
		.amdhsa_private_segment_fixed_size 0
		.amdhsa_kernarg_size 184
		.amdhsa_user_sgpr_count 6
		.amdhsa_user_sgpr_private_segment_buffer 1
		.amdhsa_user_sgpr_dispatch_ptr 0
		.amdhsa_user_sgpr_queue_ptr 0
		.amdhsa_user_sgpr_kernarg_segment_ptr 1
		.amdhsa_user_sgpr_dispatch_id 0
		.amdhsa_user_sgpr_flat_scratch_init 0
		.amdhsa_user_sgpr_private_segment_size 0
		.amdhsa_uses_dynamic_stack 0
		.amdhsa_system_sgpr_private_segment_wavefront_offset 0
		.amdhsa_system_sgpr_workgroup_id_x 1
		.amdhsa_system_sgpr_workgroup_id_y 0
		.amdhsa_system_sgpr_workgroup_id_z 0
		.amdhsa_system_sgpr_workgroup_info 0
		.amdhsa_system_vgpr_workitem_id 0
		.amdhsa_next_free_vgpr 1
		.amdhsa_next_free_sgpr 0
		.amdhsa_reserve_vcc 0
		.amdhsa_reserve_flat_scratch 0
		.amdhsa_float_round_mode_32 0
		.amdhsa_float_round_mode_16_64 0
		.amdhsa_float_denorm_mode_32 3
		.amdhsa_float_denorm_mode_16_64 3
		.amdhsa_dx10_clamp 1
		.amdhsa_ieee_mode 1
		.amdhsa_fp16_overflow 0
		.amdhsa_exception_fp_ieee_invalid_op 0
		.amdhsa_exception_fp_denorm_src 0
		.amdhsa_exception_fp_ieee_div_zero 0
		.amdhsa_exception_fp_ieee_overflow 0
		.amdhsa_exception_fp_ieee_underflow 0
		.amdhsa_exception_fp_ieee_inexact 0
		.amdhsa_exception_int_div_zero 0
	.end_amdhsa_kernel
	.section	.text._ZN7rocprim17ROCPRIM_400000_NS6detail17trampoline_kernelINS0_13select_configILj256ELj13ELNS0_17block_load_methodE3ELS4_3ELS4_3ELNS0_20block_scan_algorithmE0ELj4294967295EEENS1_25partition_config_selectorILNS1_17partition_subalgoE4EjNS0_10empty_typeEbEEZZNS1_14partition_implILS8_4ELb0ES6_15HIP_vector_typeIjLj2EENS0_17counting_iteratorIjlEEPS9_SG_NS0_5tupleIJPjSI_NS0_16reverse_iteratorISI_EEEEENSH_IJSG_SG_SG_EEES9_SI_JZNS1_25segmented_radix_sort_implINS0_14default_configELb0EPKdPdPKlPlN2at6native12_GLOBAL__N_18offset_tEEE10hipError_tPvRmT1_PNSt15iterator_traitsIS12_E10value_typeET2_T3_PNS13_IS18_E10value_typeET4_jRbjT5_S1E_jjP12ihipStream_tbEUljE_ZNSN_ISO_Lb0ESQ_SR_ST_SU_SY_EESZ_S10_S11_S12_S16_S17_S18_S1B_S1C_jS1D_jS1E_S1E_jjS1G_bEUljE0_EEESZ_S10_S11_S18_S1C_S1E_T6_T7_T9_mT8_S1G_bDpT10_ENKUlT_T0_E_clISt17integral_constantIbLb1EES1U_EEDaS1P_S1Q_EUlS1P_E_NS1_11comp_targetILNS1_3genE2ELNS1_11target_archE906ELNS1_3gpuE6ELNS1_3repE0EEENS1_30default_config_static_selectorELNS0_4arch9wavefront6targetE1EEEvS12_,"axG",@progbits,_ZN7rocprim17ROCPRIM_400000_NS6detail17trampoline_kernelINS0_13select_configILj256ELj13ELNS0_17block_load_methodE3ELS4_3ELS4_3ELNS0_20block_scan_algorithmE0ELj4294967295EEENS1_25partition_config_selectorILNS1_17partition_subalgoE4EjNS0_10empty_typeEbEEZZNS1_14partition_implILS8_4ELb0ES6_15HIP_vector_typeIjLj2EENS0_17counting_iteratorIjlEEPS9_SG_NS0_5tupleIJPjSI_NS0_16reverse_iteratorISI_EEEEENSH_IJSG_SG_SG_EEES9_SI_JZNS1_25segmented_radix_sort_implINS0_14default_configELb0EPKdPdPKlPlN2at6native12_GLOBAL__N_18offset_tEEE10hipError_tPvRmT1_PNSt15iterator_traitsIS12_E10value_typeET2_T3_PNS13_IS18_E10value_typeET4_jRbjT5_S1E_jjP12ihipStream_tbEUljE_ZNSN_ISO_Lb0ESQ_SR_ST_SU_SY_EESZ_S10_S11_S12_S16_S17_S18_S1B_S1C_jS1D_jS1E_S1E_jjS1G_bEUljE0_EEESZ_S10_S11_S18_S1C_S1E_T6_T7_T9_mT8_S1G_bDpT10_ENKUlT_T0_E_clISt17integral_constantIbLb1EES1U_EEDaS1P_S1Q_EUlS1P_E_NS1_11comp_targetILNS1_3genE2ELNS1_11target_archE906ELNS1_3gpuE6ELNS1_3repE0EEENS1_30default_config_static_selectorELNS0_4arch9wavefront6targetE1EEEvS12_,comdat
.Lfunc_end1169:
	.size	_ZN7rocprim17ROCPRIM_400000_NS6detail17trampoline_kernelINS0_13select_configILj256ELj13ELNS0_17block_load_methodE3ELS4_3ELS4_3ELNS0_20block_scan_algorithmE0ELj4294967295EEENS1_25partition_config_selectorILNS1_17partition_subalgoE4EjNS0_10empty_typeEbEEZZNS1_14partition_implILS8_4ELb0ES6_15HIP_vector_typeIjLj2EENS0_17counting_iteratorIjlEEPS9_SG_NS0_5tupleIJPjSI_NS0_16reverse_iteratorISI_EEEEENSH_IJSG_SG_SG_EEES9_SI_JZNS1_25segmented_radix_sort_implINS0_14default_configELb0EPKdPdPKlPlN2at6native12_GLOBAL__N_18offset_tEEE10hipError_tPvRmT1_PNSt15iterator_traitsIS12_E10value_typeET2_T3_PNS13_IS18_E10value_typeET4_jRbjT5_S1E_jjP12ihipStream_tbEUljE_ZNSN_ISO_Lb0ESQ_SR_ST_SU_SY_EESZ_S10_S11_S12_S16_S17_S18_S1B_S1C_jS1D_jS1E_S1E_jjS1G_bEUljE0_EEESZ_S10_S11_S18_S1C_S1E_T6_T7_T9_mT8_S1G_bDpT10_ENKUlT_T0_E_clISt17integral_constantIbLb1EES1U_EEDaS1P_S1Q_EUlS1P_E_NS1_11comp_targetILNS1_3genE2ELNS1_11target_archE906ELNS1_3gpuE6ELNS1_3repE0EEENS1_30default_config_static_selectorELNS0_4arch9wavefront6targetE1EEEvS12_, .Lfunc_end1169-_ZN7rocprim17ROCPRIM_400000_NS6detail17trampoline_kernelINS0_13select_configILj256ELj13ELNS0_17block_load_methodE3ELS4_3ELS4_3ELNS0_20block_scan_algorithmE0ELj4294967295EEENS1_25partition_config_selectorILNS1_17partition_subalgoE4EjNS0_10empty_typeEbEEZZNS1_14partition_implILS8_4ELb0ES6_15HIP_vector_typeIjLj2EENS0_17counting_iteratorIjlEEPS9_SG_NS0_5tupleIJPjSI_NS0_16reverse_iteratorISI_EEEEENSH_IJSG_SG_SG_EEES9_SI_JZNS1_25segmented_radix_sort_implINS0_14default_configELb0EPKdPdPKlPlN2at6native12_GLOBAL__N_18offset_tEEE10hipError_tPvRmT1_PNSt15iterator_traitsIS12_E10value_typeET2_T3_PNS13_IS18_E10value_typeET4_jRbjT5_S1E_jjP12ihipStream_tbEUljE_ZNSN_ISO_Lb0ESQ_SR_ST_SU_SY_EESZ_S10_S11_S12_S16_S17_S18_S1B_S1C_jS1D_jS1E_S1E_jjS1G_bEUljE0_EEESZ_S10_S11_S18_S1C_S1E_T6_T7_T9_mT8_S1G_bDpT10_ENKUlT_T0_E_clISt17integral_constantIbLb1EES1U_EEDaS1P_S1Q_EUlS1P_E_NS1_11comp_targetILNS1_3genE2ELNS1_11target_archE906ELNS1_3gpuE6ELNS1_3repE0EEENS1_30default_config_static_selectorELNS0_4arch9wavefront6targetE1EEEvS12_
                                        ; -- End function
	.set _ZN7rocprim17ROCPRIM_400000_NS6detail17trampoline_kernelINS0_13select_configILj256ELj13ELNS0_17block_load_methodE3ELS4_3ELS4_3ELNS0_20block_scan_algorithmE0ELj4294967295EEENS1_25partition_config_selectorILNS1_17partition_subalgoE4EjNS0_10empty_typeEbEEZZNS1_14partition_implILS8_4ELb0ES6_15HIP_vector_typeIjLj2EENS0_17counting_iteratorIjlEEPS9_SG_NS0_5tupleIJPjSI_NS0_16reverse_iteratorISI_EEEEENSH_IJSG_SG_SG_EEES9_SI_JZNS1_25segmented_radix_sort_implINS0_14default_configELb0EPKdPdPKlPlN2at6native12_GLOBAL__N_18offset_tEEE10hipError_tPvRmT1_PNSt15iterator_traitsIS12_E10value_typeET2_T3_PNS13_IS18_E10value_typeET4_jRbjT5_S1E_jjP12ihipStream_tbEUljE_ZNSN_ISO_Lb0ESQ_SR_ST_SU_SY_EESZ_S10_S11_S12_S16_S17_S18_S1B_S1C_jS1D_jS1E_S1E_jjS1G_bEUljE0_EEESZ_S10_S11_S18_S1C_S1E_T6_T7_T9_mT8_S1G_bDpT10_ENKUlT_T0_E_clISt17integral_constantIbLb1EES1U_EEDaS1P_S1Q_EUlS1P_E_NS1_11comp_targetILNS1_3genE2ELNS1_11target_archE906ELNS1_3gpuE6ELNS1_3repE0EEENS1_30default_config_static_selectorELNS0_4arch9wavefront6targetE1EEEvS12_.num_vgpr, 0
	.set _ZN7rocprim17ROCPRIM_400000_NS6detail17trampoline_kernelINS0_13select_configILj256ELj13ELNS0_17block_load_methodE3ELS4_3ELS4_3ELNS0_20block_scan_algorithmE0ELj4294967295EEENS1_25partition_config_selectorILNS1_17partition_subalgoE4EjNS0_10empty_typeEbEEZZNS1_14partition_implILS8_4ELb0ES6_15HIP_vector_typeIjLj2EENS0_17counting_iteratorIjlEEPS9_SG_NS0_5tupleIJPjSI_NS0_16reverse_iteratorISI_EEEEENSH_IJSG_SG_SG_EEES9_SI_JZNS1_25segmented_radix_sort_implINS0_14default_configELb0EPKdPdPKlPlN2at6native12_GLOBAL__N_18offset_tEEE10hipError_tPvRmT1_PNSt15iterator_traitsIS12_E10value_typeET2_T3_PNS13_IS18_E10value_typeET4_jRbjT5_S1E_jjP12ihipStream_tbEUljE_ZNSN_ISO_Lb0ESQ_SR_ST_SU_SY_EESZ_S10_S11_S12_S16_S17_S18_S1B_S1C_jS1D_jS1E_S1E_jjS1G_bEUljE0_EEESZ_S10_S11_S18_S1C_S1E_T6_T7_T9_mT8_S1G_bDpT10_ENKUlT_T0_E_clISt17integral_constantIbLb1EES1U_EEDaS1P_S1Q_EUlS1P_E_NS1_11comp_targetILNS1_3genE2ELNS1_11target_archE906ELNS1_3gpuE6ELNS1_3repE0EEENS1_30default_config_static_selectorELNS0_4arch9wavefront6targetE1EEEvS12_.num_agpr, 0
	.set _ZN7rocprim17ROCPRIM_400000_NS6detail17trampoline_kernelINS0_13select_configILj256ELj13ELNS0_17block_load_methodE3ELS4_3ELS4_3ELNS0_20block_scan_algorithmE0ELj4294967295EEENS1_25partition_config_selectorILNS1_17partition_subalgoE4EjNS0_10empty_typeEbEEZZNS1_14partition_implILS8_4ELb0ES6_15HIP_vector_typeIjLj2EENS0_17counting_iteratorIjlEEPS9_SG_NS0_5tupleIJPjSI_NS0_16reverse_iteratorISI_EEEEENSH_IJSG_SG_SG_EEES9_SI_JZNS1_25segmented_radix_sort_implINS0_14default_configELb0EPKdPdPKlPlN2at6native12_GLOBAL__N_18offset_tEEE10hipError_tPvRmT1_PNSt15iterator_traitsIS12_E10value_typeET2_T3_PNS13_IS18_E10value_typeET4_jRbjT5_S1E_jjP12ihipStream_tbEUljE_ZNSN_ISO_Lb0ESQ_SR_ST_SU_SY_EESZ_S10_S11_S12_S16_S17_S18_S1B_S1C_jS1D_jS1E_S1E_jjS1G_bEUljE0_EEESZ_S10_S11_S18_S1C_S1E_T6_T7_T9_mT8_S1G_bDpT10_ENKUlT_T0_E_clISt17integral_constantIbLb1EES1U_EEDaS1P_S1Q_EUlS1P_E_NS1_11comp_targetILNS1_3genE2ELNS1_11target_archE906ELNS1_3gpuE6ELNS1_3repE0EEENS1_30default_config_static_selectorELNS0_4arch9wavefront6targetE1EEEvS12_.numbered_sgpr, 0
	.set _ZN7rocprim17ROCPRIM_400000_NS6detail17trampoline_kernelINS0_13select_configILj256ELj13ELNS0_17block_load_methodE3ELS4_3ELS4_3ELNS0_20block_scan_algorithmE0ELj4294967295EEENS1_25partition_config_selectorILNS1_17partition_subalgoE4EjNS0_10empty_typeEbEEZZNS1_14partition_implILS8_4ELb0ES6_15HIP_vector_typeIjLj2EENS0_17counting_iteratorIjlEEPS9_SG_NS0_5tupleIJPjSI_NS0_16reverse_iteratorISI_EEEEENSH_IJSG_SG_SG_EEES9_SI_JZNS1_25segmented_radix_sort_implINS0_14default_configELb0EPKdPdPKlPlN2at6native12_GLOBAL__N_18offset_tEEE10hipError_tPvRmT1_PNSt15iterator_traitsIS12_E10value_typeET2_T3_PNS13_IS18_E10value_typeET4_jRbjT5_S1E_jjP12ihipStream_tbEUljE_ZNSN_ISO_Lb0ESQ_SR_ST_SU_SY_EESZ_S10_S11_S12_S16_S17_S18_S1B_S1C_jS1D_jS1E_S1E_jjS1G_bEUljE0_EEESZ_S10_S11_S18_S1C_S1E_T6_T7_T9_mT8_S1G_bDpT10_ENKUlT_T0_E_clISt17integral_constantIbLb1EES1U_EEDaS1P_S1Q_EUlS1P_E_NS1_11comp_targetILNS1_3genE2ELNS1_11target_archE906ELNS1_3gpuE6ELNS1_3repE0EEENS1_30default_config_static_selectorELNS0_4arch9wavefront6targetE1EEEvS12_.num_named_barrier, 0
	.set _ZN7rocprim17ROCPRIM_400000_NS6detail17trampoline_kernelINS0_13select_configILj256ELj13ELNS0_17block_load_methodE3ELS4_3ELS4_3ELNS0_20block_scan_algorithmE0ELj4294967295EEENS1_25partition_config_selectorILNS1_17partition_subalgoE4EjNS0_10empty_typeEbEEZZNS1_14partition_implILS8_4ELb0ES6_15HIP_vector_typeIjLj2EENS0_17counting_iteratorIjlEEPS9_SG_NS0_5tupleIJPjSI_NS0_16reverse_iteratorISI_EEEEENSH_IJSG_SG_SG_EEES9_SI_JZNS1_25segmented_radix_sort_implINS0_14default_configELb0EPKdPdPKlPlN2at6native12_GLOBAL__N_18offset_tEEE10hipError_tPvRmT1_PNSt15iterator_traitsIS12_E10value_typeET2_T3_PNS13_IS18_E10value_typeET4_jRbjT5_S1E_jjP12ihipStream_tbEUljE_ZNSN_ISO_Lb0ESQ_SR_ST_SU_SY_EESZ_S10_S11_S12_S16_S17_S18_S1B_S1C_jS1D_jS1E_S1E_jjS1G_bEUljE0_EEESZ_S10_S11_S18_S1C_S1E_T6_T7_T9_mT8_S1G_bDpT10_ENKUlT_T0_E_clISt17integral_constantIbLb1EES1U_EEDaS1P_S1Q_EUlS1P_E_NS1_11comp_targetILNS1_3genE2ELNS1_11target_archE906ELNS1_3gpuE6ELNS1_3repE0EEENS1_30default_config_static_selectorELNS0_4arch9wavefront6targetE1EEEvS12_.private_seg_size, 0
	.set _ZN7rocprim17ROCPRIM_400000_NS6detail17trampoline_kernelINS0_13select_configILj256ELj13ELNS0_17block_load_methodE3ELS4_3ELS4_3ELNS0_20block_scan_algorithmE0ELj4294967295EEENS1_25partition_config_selectorILNS1_17partition_subalgoE4EjNS0_10empty_typeEbEEZZNS1_14partition_implILS8_4ELb0ES6_15HIP_vector_typeIjLj2EENS0_17counting_iteratorIjlEEPS9_SG_NS0_5tupleIJPjSI_NS0_16reverse_iteratorISI_EEEEENSH_IJSG_SG_SG_EEES9_SI_JZNS1_25segmented_radix_sort_implINS0_14default_configELb0EPKdPdPKlPlN2at6native12_GLOBAL__N_18offset_tEEE10hipError_tPvRmT1_PNSt15iterator_traitsIS12_E10value_typeET2_T3_PNS13_IS18_E10value_typeET4_jRbjT5_S1E_jjP12ihipStream_tbEUljE_ZNSN_ISO_Lb0ESQ_SR_ST_SU_SY_EESZ_S10_S11_S12_S16_S17_S18_S1B_S1C_jS1D_jS1E_S1E_jjS1G_bEUljE0_EEESZ_S10_S11_S18_S1C_S1E_T6_T7_T9_mT8_S1G_bDpT10_ENKUlT_T0_E_clISt17integral_constantIbLb1EES1U_EEDaS1P_S1Q_EUlS1P_E_NS1_11comp_targetILNS1_3genE2ELNS1_11target_archE906ELNS1_3gpuE6ELNS1_3repE0EEENS1_30default_config_static_selectorELNS0_4arch9wavefront6targetE1EEEvS12_.uses_vcc, 0
	.set _ZN7rocprim17ROCPRIM_400000_NS6detail17trampoline_kernelINS0_13select_configILj256ELj13ELNS0_17block_load_methodE3ELS4_3ELS4_3ELNS0_20block_scan_algorithmE0ELj4294967295EEENS1_25partition_config_selectorILNS1_17partition_subalgoE4EjNS0_10empty_typeEbEEZZNS1_14partition_implILS8_4ELb0ES6_15HIP_vector_typeIjLj2EENS0_17counting_iteratorIjlEEPS9_SG_NS0_5tupleIJPjSI_NS0_16reverse_iteratorISI_EEEEENSH_IJSG_SG_SG_EEES9_SI_JZNS1_25segmented_radix_sort_implINS0_14default_configELb0EPKdPdPKlPlN2at6native12_GLOBAL__N_18offset_tEEE10hipError_tPvRmT1_PNSt15iterator_traitsIS12_E10value_typeET2_T3_PNS13_IS18_E10value_typeET4_jRbjT5_S1E_jjP12ihipStream_tbEUljE_ZNSN_ISO_Lb0ESQ_SR_ST_SU_SY_EESZ_S10_S11_S12_S16_S17_S18_S1B_S1C_jS1D_jS1E_S1E_jjS1G_bEUljE0_EEESZ_S10_S11_S18_S1C_S1E_T6_T7_T9_mT8_S1G_bDpT10_ENKUlT_T0_E_clISt17integral_constantIbLb1EES1U_EEDaS1P_S1Q_EUlS1P_E_NS1_11comp_targetILNS1_3genE2ELNS1_11target_archE906ELNS1_3gpuE6ELNS1_3repE0EEENS1_30default_config_static_selectorELNS0_4arch9wavefront6targetE1EEEvS12_.uses_flat_scratch, 0
	.set _ZN7rocprim17ROCPRIM_400000_NS6detail17trampoline_kernelINS0_13select_configILj256ELj13ELNS0_17block_load_methodE3ELS4_3ELS4_3ELNS0_20block_scan_algorithmE0ELj4294967295EEENS1_25partition_config_selectorILNS1_17partition_subalgoE4EjNS0_10empty_typeEbEEZZNS1_14partition_implILS8_4ELb0ES6_15HIP_vector_typeIjLj2EENS0_17counting_iteratorIjlEEPS9_SG_NS0_5tupleIJPjSI_NS0_16reverse_iteratorISI_EEEEENSH_IJSG_SG_SG_EEES9_SI_JZNS1_25segmented_radix_sort_implINS0_14default_configELb0EPKdPdPKlPlN2at6native12_GLOBAL__N_18offset_tEEE10hipError_tPvRmT1_PNSt15iterator_traitsIS12_E10value_typeET2_T3_PNS13_IS18_E10value_typeET4_jRbjT5_S1E_jjP12ihipStream_tbEUljE_ZNSN_ISO_Lb0ESQ_SR_ST_SU_SY_EESZ_S10_S11_S12_S16_S17_S18_S1B_S1C_jS1D_jS1E_S1E_jjS1G_bEUljE0_EEESZ_S10_S11_S18_S1C_S1E_T6_T7_T9_mT8_S1G_bDpT10_ENKUlT_T0_E_clISt17integral_constantIbLb1EES1U_EEDaS1P_S1Q_EUlS1P_E_NS1_11comp_targetILNS1_3genE2ELNS1_11target_archE906ELNS1_3gpuE6ELNS1_3repE0EEENS1_30default_config_static_selectorELNS0_4arch9wavefront6targetE1EEEvS12_.has_dyn_sized_stack, 0
	.set _ZN7rocprim17ROCPRIM_400000_NS6detail17trampoline_kernelINS0_13select_configILj256ELj13ELNS0_17block_load_methodE3ELS4_3ELS4_3ELNS0_20block_scan_algorithmE0ELj4294967295EEENS1_25partition_config_selectorILNS1_17partition_subalgoE4EjNS0_10empty_typeEbEEZZNS1_14partition_implILS8_4ELb0ES6_15HIP_vector_typeIjLj2EENS0_17counting_iteratorIjlEEPS9_SG_NS0_5tupleIJPjSI_NS0_16reverse_iteratorISI_EEEEENSH_IJSG_SG_SG_EEES9_SI_JZNS1_25segmented_radix_sort_implINS0_14default_configELb0EPKdPdPKlPlN2at6native12_GLOBAL__N_18offset_tEEE10hipError_tPvRmT1_PNSt15iterator_traitsIS12_E10value_typeET2_T3_PNS13_IS18_E10value_typeET4_jRbjT5_S1E_jjP12ihipStream_tbEUljE_ZNSN_ISO_Lb0ESQ_SR_ST_SU_SY_EESZ_S10_S11_S12_S16_S17_S18_S1B_S1C_jS1D_jS1E_S1E_jjS1G_bEUljE0_EEESZ_S10_S11_S18_S1C_S1E_T6_T7_T9_mT8_S1G_bDpT10_ENKUlT_T0_E_clISt17integral_constantIbLb1EES1U_EEDaS1P_S1Q_EUlS1P_E_NS1_11comp_targetILNS1_3genE2ELNS1_11target_archE906ELNS1_3gpuE6ELNS1_3repE0EEENS1_30default_config_static_selectorELNS0_4arch9wavefront6targetE1EEEvS12_.has_recursion, 0
	.set _ZN7rocprim17ROCPRIM_400000_NS6detail17trampoline_kernelINS0_13select_configILj256ELj13ELNS0_17block_load_methodE3ELS4_3ELS4_3ELNS0_20block_scan_algorithmE0ELj4294967295EEENS1_25partition_config_selectorILNS1_17partition_subalgoE4EjNS0_10empty_typeEbEEZZNS1_14partition_implILS8_4ELb0ES6_15HIP_vector_typeIjLj2EENS0_17counting_iteratorIjlEEPS9_SG_NS0_5tupleIJPjSI_NS0_16reverse_iteratorISI_EEEEENSH_IJSG_SG_SG_EEES9_SI_JZNS1_25segmented_radix_sort_implINS0_14default_configELb0EPKdPdPKlPlN2at6native12_GLOBAL__N_18offset_tEEE10hipError_tPvRmT1_PNSt15iterator_traitsIS12_E10value_typeET2_T3_PNS13_IS18_E10value_typeET4_jRbjT5_S1E_jjP12ihipStream_tbEUljE_ZNSN_ISO_Lb0ESQ_SR_ST_SU_SY_EESZ_S10_S11_S12_S16_S17_S18_S1B_S1C_jS1D_jS1E_S1E_jjS1G_bEUljE0_EEESZ_S10_S11_S18_S1C_S1E_T6_T7_T9_mT8_S1G_bDpT10_ENKUlT_T0_E_clISt17integral_constantIbLb1EES1U_EEDaS1P_S1Q_EUlS1P_E_NS1_11comp_targetILNS1_3genE2ELNS1_11target_archE906ELNS1_3gpuE6ELNS1_3repE0EEENS1_30default_config_static_selectorELNS0_4arch9wavefront6targetE1EEEvS12_.has_indirect_call, 0
	.section	.AMDGPU.csdata,"",@progbits
; Kernel info:
; codeLenInByte = 4
; TotalNumSgprs: 4
; NumVgprs: 0
; ScratchSize: 0
; MemoryBound: 0
; FloatMode: 240
; IeeeMode: 1
; LDSByteSize: 0 bytes/workgroup (compile time only)
; SGPRBlocks: 0
; VGPRBlocks: 0
; NumSGPRsForWavesPerEU: 4
; NumVGPRsForWavesPerEU: 1
; Occupancy: 10
; WaveLimiterHint : 0
; COMPUTE_PGM_RSRC2:SCRATCH_EN: 0
; COMPUTE_PGM_RSRC2:USER_SGPR: 6
; COMPUTE_PGM_RSRC2:TRAP_HANDLER: 0
; COMPUTE_PGM_RSRC2:TGID_X_EN: 1
; COMPUTE_PGM_RSRC2:TGID_Y_EN: 0
; COMPUTE_PGM_RSRC2:TGID_Z_EN: 0
; COMPUTE_PGM_RSRC2:TIDIG_COMP_CNT: 0
	.section	.text._ZN7rocprim17ROCPRIM_400000_NS6detail17trampoline_kernelINS0_13select_configILj256ELj13ELNS0_17block_load_methodE3ELS4_3ELS4_3ELNS0_20block_scan_algorithmE0ELj4294967295EEENS1_25partition_config_selectorILNS1_17partition_subalgoE4EjNS0_10empty_typeEbEEZZNS1_14partition_implILS8_4ELb0ES6_15HIP_vector_typeIjLj2EENS0_17counting_iteratorIjlEEPS9_SG_NS0_5tupleIJPjSI_NS0_16reverse_iteratorISI_EEEEENSH_IJSG_SG_SG_EEES9_SI_JZNS1_25segmented_radix_sort_implINS0_14default_configELb0EPKdPdPKlPlN2at6native12_GLOBAL__N_18offset_tEEE10hipError_tPvRmT1_PNSt15iterator_traitsIS12_E10value_typeET2_T3_PNS13_IS18_E10value_typeET4_jRbjT5_S1E_jjP12ihipStream_tbEUljE_ZNSN_ISO_Lb0ESQ_SR_ST_SU_SY_EESZ_S10_S11_S12_S16_S17_S18_S1B_S1C_jS1D_jS1E_S1E_jjS1G_bEUljE0_EEESZ_S10_S11_S18_S1C_S1E_T6_T7_T9_mT8_S1G_bDpT10_ENKUlT_T0_E_clISt17integral_constantIbLb1EES1U_EEDaS1P_S1Q_EUlS1P_E_NS1_11comp_targetILNS1_3genE10ELNS1_11target_archE1200ELNS1_3gpuE4ELNS1_3repE0EEENS1_30default_config_static_selectorELNS0_4arch9wavefront6targetE1EEEvS12_,"axG",@progbits,_ZN7rocprim17ROCPRIM_400000_NS6detail17trampoline_kernelINS0_13select_configILj256ELj13ELNS0_17block_load_methodE3ELS4_3ELS4_3ELNS0_20block_scan_algorithmE0ELj4294967295EEENS1_25partition_config_selectorILNS1_17partition_subalgoE4EjNS0_10empty_typeEbEEZZNS1_14partition_implILS8_4ELb0ES6_15HIP_vector_typeIjLj2EENS0_17counting_iteratorIjlEEPS9_SG_NS0_5tupleIJPjSI_NS0_16reverse_iteratorISI_EEEEENSH_IJSG_SG_SG_EEES9_SI_JZNS1_25segmented_radix_sort_implINS0_14default_configELb0EPKdPdPKlPlN2at6native12_GLOBAL__N_18offset_tEEE10hipError_tPvRmT1_PNSt15iterator_traitsIS12_E10value_typeET2_T3_PNS13_IS18_E10value_typeET4_jRbjT5_S1E_jjP12ihipStream_tbEUljE_ZNSN_ISO_Lb0ESQ_SR_ST_SU_SY_EESZ_S10_S11_S12_S16_S17_S18_S1B_S1C_jS1D_jS1E_S1E_jjS1G_bEUljE0_EEESZ_S10_S11_S18_S1C_S1E_T6_T7_T9_mT8_S1G_bDpT10_ENKUlT_T0_E_clISt17integral_constantIbLb1EES1U_EEDaS1P_S1Q_EUlS1P_E_NS1_11comp_targetILNS1_3genE10ELNS1_11target_archE1200ELNS1_3gpuE4ELNS1_3repE0EEENS1_30default_config_static_selectorELNS0_4arch9wavefront6targetE1EEEvS12_,comdat
	.globl	_ZN7rocprim17ROCPRIM_400000_NS6detail17trampoline_kernelINS0_13select_configILj256ELj13ELNS0_17block_load_methodE3ELS4_3ELS4_3ELNS0_20block_scan_algorithmE0ELj4294967295EEENS1_25partition_config_selectorILNS1_17partition_subalgoE4EjNS0_10empty_typeEbEEZZNS1_14partition_implILS8_4ELb0ES6_15HIP_vector_typeIjLj2EENS0_17counting_iteratorIjlEEPS9_SG_NS0_5tupleIJPjSI_NS0_16reverse_iteratorISI_EEEEENSH_IJSG_SG_SG_EEES9_SI_JZNS1_25segmented_radix_sort_implINS0_14default_configELb0EPKdPdPKlPlN2at6native12_GLOBAL__N_18offset_tEEE10hipError_tPvRmT1_PNSt15iterator_traitsIS12_E10value_typeET2_T3_PNS13_IS18_E10value_typeET4_jRbjT5_S1E_jjP12ihipStream_tbEUljE_ZNSN_ISO_Lb0ESQ_SR_ST_SU_SY_EESZ_S10_S11_S12_S16_S17_S18_S1B_S1C_jS1D_jS1E_S1E_jjS1G_bEUljE0_EEESZ_S10_S11_S18_S1C_S1E_T6_T7_T9_mT8_S1G_bDpT10_ENKUlT_T0_E_clISt17integral_constantIbLb1EES1U_EEDaS1P_S1Q_EUlS1P_E_NS1_11comp_targetILNS1_3genE10ELNS1_11target_archE1200ELNS1_3gpuE4ELNS1_3repE0EEENS1_30default_config_static_selectorELNS0_4arch9wavefront6targetE1EEEvS12_ ; -- Begin function _ZN7rocprim17ROCPRIM_400000_NS6detail17trampoline_kernelINS0_13select_configILj256ELj13ELNS0_17block_load_methodE3ELS4_3ELS4_3ELNS0_20block_scan_algorithmE0ELj4294967295EEENS1_25partition_config_selectorILNS1_17partition_subalgoE4EjNS0_10empty_typeEbEEZZNS1_14partition_implILS8_4ELb0ES6_15HIP_vector_typeIjLj2EENS0_17counting_iteratorIjlEEPS9_SG_NS0_5tupleIJPjSI_NS0_16reverse_iteratorISI_EEEEENSH_IJSG_SG_SG_EEES9_SI_JZNS1_25segmented_radix_sort_implINS0_14default_configELb0EPKdPdPKlPlN2at6native12_GLOBAL__N_18offset_tEEE10hipError_tPvRmT1_PNSt15iterator_traitsIS12_E10value_typeET2_T3_PNS13_IS18_E10value_typeET4_jRbjT5_S1E_jjP12ihipStream_tbEUljE_ZNSN_ISO_Lb0ESQ_SR_ST_SU_SY_EESZ_S10_S11_S12_S16_S17_S18_S1B_S1C_jS1D_jS1E_S1E_jjS1G_bEUljE0_EEESZ_S10_S11_S18_S1C_S1E_T6_T7_T9_mT8_S1G_bDpT10_ENKUlT_T0_E_clISt17integral_constantIbLb1EES1U_EEDaS1P_S1Q_EUlS1P_E_NS1_11comp_targetILNS1_3genE10ELNS1_11target_archE1200ELNS1_3gpuE4ELNS1_3repE0EEENS1_30default_config_static_selectorELNS0_4arch9wavefront6targetE1EEEvS12_
	.p2align	8
	.type	_ZN7rocprim17ROCPRIM_400000_NS6detail17trampoline_kernelINS0_13select_configILj256ELj13ELNS0_17block_load_methodE3ELS4_3ELS4_3ELNS0_20block_scan_algorithmE0ELj4294967295EEENS1_25partition_config_selectorILNS1_17partition_subalgoE4EjNS0_10empty_typeEbEEZZNS1_14partition_implILS8_4ELb0ES6_15HIP_vector_typeIjLj2EENS0_17counting_iteratorIjlEEPS9_SG_NS0_5tupleIJPjSI_NS0_16reverse_iteratorISI_EEEEENSH_IJSG_SG_SG_EEES9_SI_JZNS1_25segmented_radix_sort_implINS0_14default_configELb0EPKdPdPKlPlN2at6native12_GLOBAL__N_18offset_tEEE10hipError_tPvRmT1_PNSt15iterator_traitsIS12_E10value_typeET2_T3_PNS13_IS18_E10value_typeET4_jRbjT5_S1E_jjP12ihipStream_tbEUljE_ZNSN_ISO_Lb0ESQ_SR_ST_SU_SY_EESZ_S10_S11_S12_S16_S17_S18_S1B_S1C_jS1D_jS1E_S1E_jjS1G_bEUljE0_EEESZ_S10_S11_S18_S1C_S1E_T6_T7_T9_mT8_S1G_bDpT10_ENKUlT_T0_E_clISt17integral_constantIbLb1EES1U_EEDaS1P_S1Q_EUlS1P_E_NS1_11comp_targetILNS1_3genE10ELNS1_11target_archE1200ELNS1_3gpuE4ELNS1_3repE0EEENS1_30default_config_static_selectorELNS0_4arch9wavefront6targetE1EEEvS12_,@function
_ZN7rocprim17ROCPRIM_400000_NS6detail17trampoline_kernelINS0_13select_configILj256ELj13ELNS0_17block_load_methodE3ELS4_3ELS4_3ELNS0_20block_scan_algorithmE0ELj4294967295EEENS1_25partition_config_selectorILNS1_17partition_subalgoE4EjNS0_10empty_typeEbEEZZNS1_14partition_implILS8_4ELb0ES6_15HIP_vector_typeIjLj2EENS0_17counting_iteratorIjlEEPS9_SG_NS0_5tupleIJPjSI_NS0_16reverse_iteratorISI_EEEEENSH_IJSG_SG_SG_EEES9_SI_JZNS1_25segmented_radix_sort_implINS0_14default_configELb0EPKdPdPKlPlN2at6native12_GLOBAL__N_18offset_tEEE10hipError_tPvRmT1_PNSt15iterator_traitsIS12_E10value_typeET2_T3_PNS13_IS18_E10value_typeET4_jRbjT5_S1E_jjP12ihipStream_tbEUljE_ZNSN_ISO_Lb0ESQ_SR_ST_SU_SY_EESZ_S10_S11_S12_S16_S17_S18_S1B_S1C_jS1D_jS1E_S1E_jjS1G_bEUljE0_EEESZ_S10_S11_S18_S1C_S1E_T6_T7_T9_mT8_S1G_bDpT10_ENKUlT_T0_E_clISt17integral_constantIbLb1EES1U_EEDaS1P_S1Q_EUlS1P_E_NS1_11comp_targetILNS1_3genE10ELNS1_11target_archE1200ELNS1_3gpuE4ELNS1_3repE0EEENS1_30default_config_static_selectorELNS0_4arch9wavefront6targetE1EEEvS12_: ; @_ZN7rocprim17ROCPRIM_400000_NS6detail17trampoline_kernelINS0_13select_configILj256ELj13ELNS0_17block_load_methodE3ELS4_3ELS4_3ELNS0_20block_scan_algorithmE0ELj4294967295EEENS1_25partition_config_selectorILNS1_17partition_subalgoE4EjNS0_10empty_typeEbEEZZNS1_14partition_implILS8_4ELb0ES6_15HIP_vector_typeIjLj2EENS0_17counting_iteratorIjlEEPS9_SG_NS0_5tupleIJPjSI_NS0_16reverse_iteratorISI_EEEEENSH_IJSG_SG_SG_EEES9_SI_JZNS1_25segmented_radix_sort_implINS0_14default_configELb0EPKdPdPKlPlN2at6native12_GLOBAL__N_18offset_tEEE10hipError_tPvRmT1_PNSt15iterator_traitsIS12_E10value_typeET2_T3_PNS13_IS18_E10value_typeET4_jRbjT5_S1E_jjP12ihipStream_tbEUljE_ZNSN_ISO_Lb0ESQ_SR_ST_SU_SY_EESZ_S10_S11_S12_S16_S17_S18_S1B_S1C_jS1D_jS1E_S1E_jjS1G_bEUljE0_EEESZ_S10_S11_S18_S1C_S1E_T6_T7_T9_mT8_S1G_bDpT10_ENKUlT_T0_E_clISt17integral_constantIbLb1EES1U_EEDaS1P_S1Q_EUlS1P_E_NS1_11comp_targetILNS1_3genE10ELNS1_11target_archE1200ELNS1_3gpuE4ELNS1_3repE0EEENS1_30default_config_static_selectorELNS0_4arch9wavefront6targetE1EEEvS12_
; %bb.0:
	.section	.rodata,"a",@progbits
	.p2align	6, 0x0
	.amdhsa_kernel _ZN7rocprim17ROCPRIM_400000_NS6detail17trampoline_kernelINS0_13select_configILj256ELj13ELNS0_17block_load_methodE3ELS4_3ELS4_3ELNS0_20block_scan_algorithmE0ELj4294967295EEENS1_25partition_config_selectorILNS1_17partition_subalgoE4EjNS0_10empty_typeEbEEZZNS1_14partition_implILS8_4ELb0ES6_15HIP_vector_typeIjLj2EENS0_17counting_iteratorIjlEEPS9_SG_NS0_5tupleIJPjSI_NS0_16reverse_iteratorISI_EEEEENSH_IJSG_SG_SG_EEES9_SI_JZNS1_25segmented_radix_sort_implINS0_14default_configELb0EPKdPdPKlPlN2at6native12_GLOBAL__N_18offset_tEEE10hipError_tPvRmT1_PNSt15iterator_traitsIS12_E10value_typeET2_T3_PNS13_IS18_E10value_typeET4_jRbjT5_S1E_jjP12ihipStream_tbEUljE_ZNSN_ISO_Lb0ESQ_SR_ST_SU_SY_EESZ_S10_S11_S12_S16_S17_S18_S1B_S1C_jS1D_jS1E_S1E_jjS1G_bEUljE0_EEESZ_S10_S11_S18_S1C_S1E_T6_T7_T9_mT8_S1G_bDpT10_ENKUlT_T0_E_clISt17integral_constantIbLb1EES1U_EEDaS1P_S1Q_EUlS1P_E_NS1_11comp_targetILNS1_3genE10ELNS1_11target_archE1200ELNS1_3gpuE4ELNS1_3repE0EEENS1_30default_config_static_selectorELNS0_4arch9wavefront6targetE1EEEvS12_
		.amdhsa_group_segment_fixed_size 0
		.amdhsa_private_segment_fixed_size 0
		.amdhsa_kernarg_size 184
		.amdhsa_user_sgpr_count 6
		.amdhsa_user_sgpr_private_segment_buffer 1
		.amdhsa_user_sgpr_dispatch_ptr 0
		.amdhsa_user_sgpr_queue_ptr 0
		.amdhsa_user_sgpr_kernarg_segment_ptr 1
		.amdhsa_user_sgpr_dispatch_id 0
		.amdhsa_user_sgpr_flat_scratch_init 0
		.amdhsa_user_sgpr_private_segment_size 0
		.amdhsa_uses_dynamic_stack 0
		.amdhsa_system_sgpr_private_segment_wavefront_offset 0
		.amdhsa_system_sgpr_workgroup_id_x 1
		.amdhsa_system_sgpr_workgroup_id_y 0
		.amdhsa_system_sgpr_workgroup_id_z 0
		.amdhsa_system_sgpr_workgroup_info 0
		.amdhsa_system_vgpr_workitem_id 0
		.amdhsa_next_free_vgpr 1
		.amdhsa_next_free_sgpr 0
		.amdhsa_reserve_vcc 0
		.amdhsa_reserve_flat_scratch 0
		.amdhsa_float_round_mode_32 0
		.amdhsa_float_round_mode_16_64 0
		.amdhsa_float_denorm_mode_32 3
		.amdhsa_float_denorm_mode_16_64 3
		.amdhsa_dx10_clamp 1
		.amdhsa_ieee_mode 1
		.amdhsa_fp16_overflow 0
		.amdhsa_exception_fp_ieee_invalid_op 0
		.amdhsa_exception_fp_denorm_src 0
		.amdhsa_exception_fp_ieee_div_zero 0
		.amdhsa_exception_fp_ieee_overflow 0
		.amdhsa_exception_fp_ieee_underflow 0
		.amdhsa_exception_fp_ieee_inexact 0
		.amdhsa_exception_int_div_zero 0
	.end_amdhsa_kernel
	.section	.text._ZN7rocprim17ROCPRIM_400000_NS6detail17trampoline_kernelINS0_13select_configILj256ELj13ELNS0_17block_load_methodE3ELS4_3ELS4_3ELNS0_20block_scan_algorithmE0ELj4294967295EEENS1_25partition_config_selectorILNS1_17partition_subalgoE4EjNS0_10empty_typeEbEEZZNS1_14partition_implILS8_4ELb0ES6_15HIP_vector_typeIjLj2EENS0_17counting_iteratorIjlEEPS9_SG_NS0_5tupleIJPjSI_NS0_16reverse_iteratorISI_EEEEENSH_IJSG_SG_SG_EEES9_SI_JZNS1_25segmented_radix_sort_implINS0_14default_configELb0EPKdPdPKlPlN2at6native12_GLOBAL__N_18offset_tEEE10hipError_tPvRmT1_PNSt15iterator_traitsIS12_E10value_typeET2_T3_PNS13_IS18_E10value_typeET4_jRbjT5_S1E_jjP12ihipStream_tbEUljE_ZNSN_ISO_Lb0ESQ_SR_ST_SU_SY_EESZ_S10_S11_S12_S16_S17_S18_S1B_S1C_jS1D_jS1E_S1E_jjS1G_bEUljE0_EEESZ_S10_S11_S18_S1C_S1E_T6_T7_T9_mT8_S1G_bDpT10_ENKUlT_T0_E_clISt17integral_constantIbLb1EES1U_EEDaS1P_S1Q_EUlS1P_E_NS1_11comp_targetILNS1_3genE10ELNS1_11target_archE1200ELNS1_3gpuE4ELNS1_3repE0EEENS1_30default_config_static_selectorELNS0_4arch9wavefront6targetE1EEEvS12_,"axG",@progbits,_ZN7rocprim17ROCPRIM_400000_NS6detail17trampoline_kernelINS0_13select_configILj256ELj13ELNS0_17block_load_methodE3ELS4_3ELS4_3ELNS0_20block_scan_algorithmE0ELj4294967295EEENS1_25partition_config_selectorILNS1_17partition_subalgoE4EjNS0_10empty_typeEbEEZZNS1_14partition_implILS8_4ELb0ES6_15HIP_vector_typeIjLj2EENS0_17counting_iteratorIjlEEPS9_SG_NS0_5tupleIJPjSI_NS0_16reverse_iteratorISI_EEEEENSH_IJSG_SG_SG_EEES9_SI_JZNS1_25segmented_radix_sort_implINS0_14default_configELb0EPKdPdPKlPlN2at6native12_GLOBAL__N_18offset_tEEE10hipError_tPvRmT1_PNSt15iterator_traitsIS12_E10value_typeET2_T3_PNS13_IS18_E10value_typeET4_jRbjT5_S1E_jjP12ihipStream_tbEUljE_ZNSN_ISO_Lb0ESQ_SR_ST_SU_SY_EESZ_S10_S11_S12_S16_S17_S18_S1B_S1C_jS1D_jS1E_S1E_jjS1G_bEUljE0_EEESZ_S10_S11_S18_S1C_S1E_T6_T7_T9_mT8_S1G_bDpT10_ENKUlT_T0_E_clISt17integral_constantIbLb1EES1U_EEDaS1P_S1Q_EUlS1P_E_NS1_11comp_targetILNS1_3genE10ELNS1_11target_archE1200ELNS1_3gpuE4ELNS1_3repE0EEENS1_30default_config_static_selectorELNS0_4arch9wavefront6targetE1EEEvS12_,comdat
.Lfunc_end1170:
	.size	_ZN7rocprim17ROCPRIM_400000_NS6detail17trampoline_kernelINS0_13select_configILj256ELj13ELNS0_17block_load_methodE3ELS4_3ELS4_3ELNS0_20block_scan_algorithmE0ELj4294967295EEENS1_25partition_config_selectorILNS1_17partition_subalgoE4EjNS0_10empty_typeEbEEZZNS1_14partition_implILS8_4ELb0ES6_15HIP_vector_typeIjLj2EENS0_17counting_iteratorIjlEEPS9_SG_NS0_5tupleIJPjSI_NS0_16reverse_iteratorISI_EEEEENSH_IJSG_SG_SG_EEES9_SI_JZNS1_25segmented_radix_sort_implINS0_14default_configELb0EPKdPdPKlPlN2at6native12_GLOBAL__N_18offset_tEEE10hipError_tPvRmT1_PNSt15iterator_traitsIS12_E10value_typeET2_T3_PNS13_IS18_E10value_typeET4_jRbjT5_S1E_jjP12ihipStream_tbEUljE_ZNSN_ISO_Lb0ESQ_SR_ST_SU_SY_EESZ_S10_S11_S12_S16_S17_S18_S1B_S1C_jS1D_jS1E_S1E_jjS1G_bEUljE0_EEESZ_S10_S11_S18_S1C_S1E_T6_T7_T9_mT8_S1G_bDpT10_ENKUlT_T0_E_clISt17integral_constantIbLb1EES1U_EEDaS1P_S1Q_EUlS1P_E_NS1_11comp_targetILNS1_3genE10ELNS1_11target_archE1200ELNS1_3gpuE4ELNS1_3repE0EEENS1_30default_config_static_selectorELNS0_4arch9wavefront6targetE1EEEvS12_, .Lfunc_end1170-_ZN7rocprim17ROCPRIM_400000_NS6detail17trampoline_kernelINS0_13select_configILj256ELj13ELNS0_17block_load_methodE3ELS4_3ELS4_3ELNS0_20block_scan_algorithmE0ELj4294967295EEENS1_25partition_config_selectorILNS1_17partition_subalgoE4EjNS0_10empty_typeEbEEZZNS1_14partition_implILS8_4ELb0ES6_15HIP_vector_typeIjLj2EENS0_17counting_iteratorIjlEEPS9_SG_NS0_5tupleIJPjSI_NS0_16reverse_iteratorISI_EEEEENSH_IJSG_SG_SG_EEES9_SI_JZNS1_25segmented_radix_sort_implINS0_14default_configELb0EPKdPdPKlPlN2at6native12_GLOBAL__N_18offset_tEEE10hipError_tPvRmT1_PNSt15iterator_traitsIS12_E10value_typeET2_T3_PNS13_IS18_E10value_typeET4_jRbjT5_S1E_jjP12ihipStream_tbEUljE_ZNSN_ISO_Lb0ESQ_SR_ST_SU_SY_EESZ_S10_S11_S12_S16_S17_S18_S1B_S1C_jS1D_jS1E_S1E_jjS1G_bEUljE0_EEESZ_S10_S11_S18_S1C_S1E_T6_T7_T9_mT8_S1G_bDpT10_ENKUlT_T0_E_clISt17integral_constantIbLb1EES1U_EEDaS1P_S1Q_EUlS1P_E_NS1_11comp_targetILNS1_3genE10ELNS1_11target_archE1200ELNS1_3gpuE4ELNS1_3repE0EEENS1_30default_config_static_selectorELNS0_4arch9wavefront6targetE1EEEvS12_
                                        ; -- End function
	.set _ZN7rocprim17ROCPRIM_400000_NS6detail17trampoline_kernelINS0_13select_configILj256ELj13ELNS0_17block_load_methodE3ELS4_3ELS4_3ELNS0_20block_scan_algorithmE0ELj4294967295EEENS1_25partition_config_selectorILNS1_17partition_subalgoE4EjNS0_10empty_typeEbEEZZNS1_14partition_implILS8_4ELb0ES6_15HIP_vector_typeIjLj2EENS0_17counting_iteratorIjlEEPS9_SG_NS0_5tupleIJPjSI_NS0_16reverse_iteratorISI_EEEEENSH_IJSG_SG_SG_EEES9_SI_JZNS1_25segmented_radix_sort_implINS0_14default_configELb0EPKdPdPKlPlN2at6native12_GLOBAL__N_18offset_tEEE10hipError_tPvRmT1_PNSt15iterator_traitsIS12_E10value_typeET2_T3_PNS13_IS18_E10value_typeET4_jRbjT5_S1E_jjP12ihipStream_tbEUljE_ZNSN_ISO_Lb0ESQ_SR_ST_SU_SY_EESZ_S10_S11_S12_S16_S17_S18_S1B_S1C_jS1D_jS1E_S1E_jjS1G_bEUljE0_EEESZ_S10_S11_S18_S1C_S1E_T6_T7_T9_mT8_S1G_bDpT10_ENKUlT_T0_E_clISt17integral_constantIbLb1EES1U_EEDaS1P_S1Q_EUlS1P_E_NS1_11comp_targetILNS1_3genE10ELNS1_11target_archE1200ELNS1_3gpuE4ELNS1_3repE0EEENS1_30default_config_static_selectorELNS0_4arch9wavefront6targetE1EEEvS12_.num_vgpr, 0
	.set _ZN7rocprim17ROCPRIM_400000_NS6detail17trampoline_kernelINS0_13select_configILj256ELj13ELNS0_17block_load_methodE3ELS4_3ELS4_3ELNS0_20block_scan_algorithmE0ELj4294967295EEENS1_25partition_config_selectorILNS1_17partition_subalgoE4EjNS0_10empty_typeEbEEZZNS1_14partition_implILS8_4ELb0ES6_15HIP_vector_typeIjLj2EENS0_17counting_iteratorIjlEEPS9_SG_NS0_5tupleIJPjSI_NS0_16reverse_iteratorISI_EEEEENSH_IJSG_SG_SG_EEES9_SI_JZNS1_25segmented_radix_sort_implINS0_14default_configELb0EPKdPdPKlPlN2at6native12_GLOBAL__N_18offset_tEEE10hipError_tPvRmT1_PNSt15iterator_traitsIS12_E10value_typeET2_T3_PNS13_IS18_E10value_typeET4_jRbjT5_S1E_jjP12ihipStream_tbEUljE_ZNSN_ISO_Lb0ESQ_SR_ST_SU_SY_EESZ_S10_S11_S12_S16_S17_S18_S1B_S1C_jS1D_jS1E_S1E_jjS1G_bEUljE0_EEESZ_S10_S11_S18_S1C_S1E_T6_T7_T9_mT8_S1G_bDpT10_ENKUlT_T0_E_clISt17integral_constantIbLb1EES1U_EEDaS1P_S1Q_EUlS1P_E_NS1_11comp_targetILNS1_3genE10ELNS1_11target_archE1200ELNS1_3gpuE4ELNS1_3repE0EEENS1_30default_config_static_selectorELNS0_4arch9wavefront6targetE1EEEvS12_.num_agpr, 0
	.set _ZN7rocprim17ROCPRIM_400000_NS6detail17trampoline_kernelINS0_13select_configILj256ELj13ELNS0_17block_load_methodE3ELS4_3ELS4_3ELNS0_20block_scan_algorithmE0ELj4294967295EEENS1_25partition_config_selectorILNS1_17partition_subalgoE4EjNS0_10empty_typeEbEEZZNS1_14partition_implILS8_4ELb0ES6_15HIP_vector_typeIjLj2EENS0_17counting_iteratorIjlEEPS9_SG_NS0_5tupleIJPjSI_NS0_16reverse_iteratorISI_EEEEENSH_IJSG_SG_SG_EEES9_SI_JZNS1_25segmented_radix_sort_implINS0_14default_configELb0EPKdPdPKlPlN2at6native12_GLOBAL__N_18offset_tEEE10hipError_tPvRmT1_PNSt15iterator_traitsIS12_E10value_typeET2_T3_PNS13_IS18_E10value_typeET4_jRbjT5_S1E_jjP12ihipStream_tbEUljE_ZNSN_ISO_Lb0ESQ_SR_ST_SU_SY_EESZ_S10_S11_S12_S16_S17_S18_S1B_S1C_jS1D_jS1E_S1E_jjS1G_bEUljE0_EEESZ_S10_S11_S18_S1C_S1E_T6_T7_T9_mT8_S1G_bDpT10_ENKUlT_T0_E_clISt17integral_constantIbLb1EES1U_EEDaS1P_S1Q_EUlS1P_E_NS1_11comp_targetILNS1_3genE10ELNS1_11target_archE1200ELNS1_3gpuE4ELNS1_3repE0EEENS1_30default_config_static_selectorELNS0_4arch9wavefront6targetE1EEEvS12_.numbered_sgpr, 0
	.set _ZN7rocprim17ROCPRIM_400000_NS6detail17trampoline_kernelINS0_13select_configILj256ELj13ELNS0_17block_load_methodE3ELS4_3ELS4_3ELNS0_20block_scan_algorithmE0ELj4294967295EEENS1_25partition_config_selectorILNS1_17partition_subalgoE4EjNS0_10empty_typeEbEEZZNS1_14partition_implILS8_4ELb0ES6_15HIP_vector_typeIjLj2EENS0_17counting_iteratorIjlEEPS9_SG_NS0_5tupleIJPjSI_NS0_16reverse_iteratorISI_EEEEENSH_IJSG_SG_SG_EEES9_SI_JZNS1_25segmented_radix_sort_implINS0_14default_configELb0EPKdPdPKlPlN2at6native12_GLOBAL__N_18offset_tEEE10hipError_tPvRmT1_PNSt15iterator_traitsIS12_E10value_typeET2_T3_PNS13_IS18_E10value_typeET4_jRbjT5_S1E_jjP12ihipStream_tbEUljE_ZNSN_ISO_Lb0ESQ_SR_ST_SU_SY_EESZ_S10_S11_S12_S16_S17_S18_S1B_S1C_jS1D_jS1E_S1E_jjS1G_bEUljE0_EEESZ_S10_S11_S18_S1C_S1E_T6_T7_T9_mT8_S1G_bDpT10_ENKUlT_T0_E_clISt17integral_constantIbLb1EES1U_EEDaS1P_S1Q_EUlS1P_E_NS1_11comp_targetILNS1_3genE10ELNS1_11target_archE1200ELNS1_3gpuE4ELNS1_3repE0EEENS1_30default_config_static_selectorELNS0_4arch9wavefront6targetE1EEEvS12_.num_named_barrier, 0
	.set _ZN7rocprim17ROCPRIM_400000_NS6detail17trampoline_kernelINS0_13select_configILj256ELj13ELNS0_17block_load_methodE3ELS4_3ELS4_3ELNS0_20block_scan_algorithmE0ELj4294967295EEENS1_25partition_config_selectorILNS1_17partition_subalgoE4EjNS0_10empty_typeEbEEZZNS1_14partition_implILS8_4ELb0ES6_15HIP_vector_typeIjLj2EENS0_17counting_iteratorIjlEEPS9_SG_NS0_5tupleIJPjSI_NS0_16reverse_iteratorISI_EEEEENSH_IJSG_SG_SG_EEES9_SI_JZNS1_25segmented_radix_sort_implINS0_14default_configELb0EPKdPdPKlPlN2at6native12_GLOBAL__N_18offset_tEEE10hipError_tPvRmT1_PNSt15iterator_traitsIS12_E10value_typeET2_T3_PNS13_IS18_E10value_typeET4_jRbjT5_S1E_jjP12ihipStream_tbEUljE_ZNSN_ISO_Lb0ESQ_SR_ST_SU_SY_EESZ_S10_S11_S12_S16_S17_S18_S1B_S1C_jS1D_jS1E_S1E_jjS1G_bEUljE0_EEESZ_S10_S11_S18_S1C_S1E_T6_T7_T9_mT8_S1G_bDpT10_ENKUlT_T0_E_clISt17integral_constantIbLb1EES1U_EEDaS1P_S1Q_EUlS1P_E_NS1_11comp_targetILNS1_3genE10ELNS1_11target_archE1200ELNS1_3gpuE4ELNS1_3repE0EEENS1_30default_config_static_selectorELNS0_4arch9wavefront6targetE1EEEvS12_.private_seg_size, 0
	.set _ZN7rocprim17ROCPRIM_400000_NS6detail17trampoline_kernelINS0_13select_configILj256ELj13ELNS0_17block_load_methodE3ELS4_3ELS4_3ELNS0_20block_scan_algorithmE0ELj4294967295EEENS1_25partition_config_selectorILNS1_17partition_subalgoE4EjNS0_10empty_typeEbEEZZNS1_14partition_implILS8_4ELb0ES6_15HIP_vector_typeIjLj2EENS0_17counting_iteratorIjlEEPS9_SG_NS0_5tupleIJPjSI_NS0_16reverse_iteratorISI_EEEEENSH_IJSG_SG_SG_EEES9_SI_JZNS1_25segmented_radix_sort_implINS0_14default_configELb0EPKdPdPKlPlN2at6native12_GLOBAL__N_18offset_tEEE10hipError_tPvRmT1_PNSt15iterator_traitsIS12_E10value_typeET2_T3_PNS13_IS18_E10value_typeET4_jRbjT5_S1E_jjP12ihipStream_tbEUljE_ZNSN_ISO_Lb0ESQ_SR_ST_SU_SY_EESZ_S10_S11_S12_S16_S17_S18_S1B_S1C_jS1D_jS1E_S1E_jjS1G_bEUljE0_EEESZ_S10_S11_S18_S1C_S1E_T6_T7_T9_mT8_S1G_bDpT10_ENKUlT_T0_E_clISt17integral_constantIbLb1EES1U_EEDaS1P_S1Q_EUlS1P_E_NS1_11comp_targetILNS1_3genE10ELNS1_11target_archE1200ELNS1_3gpuE4ELNS1_3repE0EEENS1_30default_config_static_selectorELNS0_4arch9wavefront6targetE1EEEvS12_.uses_vcc, 0
	.set _ZN7rocprim17ROCPRIM_400000_NS6detail17trampoline_kernelINS0_13select_configILj256ELj13ELNS0_17block_load_methodE3ELS4_3ELS4_3ELNS0_20block_scan_algorithmE0ELj4294967295EEENS1_25partition_config_selectorILNS1_17partition_subalgoE4EjNS0_10empty_typeEbEEZZNS1_14partition_implILS8_4ELb0ES6_15HIP_vector_typeIjLj2EENS0_17counting_iteratorIjlEEPS9_SG_NS0_5tupleIJPjSI_NS0_16reverse_iteratorISI_EEEEENSH_IJSG_SG_SG_EEES9_SI_JZNS1_25segmented_radix_sort_implINS0_14default_configELb0EPKdPdPKlPlN2at6native12_GLOBAL__N_18offset_tEEE10hipError_tPvRmT1_PNSt15iterator_traitsIS12_E10value_typeET2_T3_PNS13_IS18_E10value_typeET4_jRbjT5_S1E_jjP12ihipStream_tbEUljE_ZNSN_ISO_Lb0ESQ_SR_ST_SU_SY_EESZ_S10_S11_S12_S16_S17_S18_S1B_S1C_jS1D_jS1E_S1E_jjS1G_bEUljE0_EEESZ_S10_S11_S18_S1C_S1E_T6_T7_T9_mT8_S1G_bDpT10_ENKUlT_T0_E_clISt17integral_constantIbLb1EES1U_EEDaS1P_S1Q_EUlS1P_E_NS1_11comp_targetILNS1_3genE10ELNS1_11target_archE1200ELNS1_3gpuE4ELNS1_3repE0EEENS1_30default_config_static_selectorELNS0_4arch9wavefront6targetE1EEEvS12_.uses_flat_scratch, 0
	.set _ZN7rocprim17ROCPRIM_400000_NS6detail17trampoline_kernelINS0_13select_configILj256ELj13ELNS0_17block_load_methodE3ELS4_3ELS4_3ELNS0_20block_scan_algorithmE0ELj4294967295EEENS1_25partition_config_selectorILNS1_17partition_subalgoE4EjNS0_10empty_typeEbEEZZNS1_14partition_implILS8_4ELb0ES6_15HIP_vector_typeIjLj2EENS0_17counting_iteratorIjlEEPS9_SG_NS0_5tupleIJPjSI_NS0_16reverse_iteratorISI_EEEEENSH_IJSG_SG_SG_EEES9_SI_JZNS1_25segmented_radix_sort_implINS0_14default_configELb0EPKdPdPKlPlN2at6native12_GLOBAL__N_18offset_tEEE10hipError_tPvRmT1_PNSt15iterator_traitsIS12_E10value_typeET2_T3_PNS13_IS18_E10value_typeET4_jRbjT5_S1E_jjP12ihipStream_tbEUljE_ZNSN_ISO_Lb0ESQ_SR_ST_SU_SY_EESZ_S10_S11_S12_S16_S17_S18_S1B_S1C_jS1D_jS1E_S1E_jjS1G_bEUljE0_EEESZ_S10_S11_S18_S1C_S1E_T6_T7_T9_mT8_S1G_bDpT10_ENKUlT_T0_E_clISt17integral_constantIbLb1EES1U_EEDaS1P_S1Q_EUlS1P_E_NS1_11comp_targetILNS1_3genE10ELNS1_11target_archE1200ELNS1_3gpuE4ELNS1_3repE0EEENS1_30default_config_static_selectorELNS0_4arch9wavefront6targetE1EEEvS12_.has_dyn_sized_stack, 0
	.set _ZN7rocprim17ROCPRIM_400000_NS6detail17trampoline_kernelINS0_13select_configILj256ELj13ELNS0_17block_load_methodE3ELS4_3ELS4_3ELNS0_20block_scan_algorithmE0ELj4294967295EEENS1_25partition_config_selectorILNS1_17partition_subalgoE4EjNS0_10empty_typeEbEEZZNS1_14partition_implILS8_4ELb0ES6_15HIP_vector_typeIjLj2EENS0_17counting_iteratorIjlEEPS9_SG_NS0_5tupleIJPjSI_NS0_16reverse_iteratorISI_EEEEENSH_IJSG_SG_SG_EEES9_SI_JZNS1_25segmented_radix_sort_implINS0_14default_configELb0EPKdPdPKlPlN2at6native12_GLOBAL__N_18offset_tEEE10hipError_tPvRmT1_PNSt15iterator_traitsIS12_E10value_typeET2_T3_PNS13_IS18_E10value_typeET4_jRbjT5_S1E_jjP12ihipStream_tbEUljE_ZNSN_ISO_Lb0ESQ_SR_ST_SU_SY_EESZ_S10_S11_S12_S16_S17_S18_S1B_S1C_jS1D_jS1E_S1E_jjS1G_bEUljE0_EEESZ_S10_S11_S18_S1C_S1E_T6_T7_T9_mT8_S1G_bDpT10_ENKUlT_T0_E_clISt17integral_constantIbLb1EES1U_EEDaS1P_S1Q_EUlS1P_E_NS1_11comp_targetILNS1_3genE10ELNS1_11target_archE1200ELNS1_3gpuE4ELNS1_3repE0EEENS1_30default_config_static_selectorELNS0_4arch9wavefront6targetE1EEEvS12_.has_recursion, 0
	.set _ZN7rocprim17ROCPRIM_400000_NS6detail17trampoline_kernelINS0_13select_configILj256ELj13ELNS0_17block_load_methodE3ELS4_3ELS4_3ELNS0_20block_scan_algorithmE0ELj4294967295EEENS1_25partition_config_selectorILNS1_17partition_subalgoE4EjNS0_10empty_typeEbEEZZNS1_14partition_implILS8_4ELb0ES6_15HIP_vector_typeIjLj2EENS0_17counting_iteratorIjlEEPS9_SG_NS0_5tupleIJPjSI_NS0_16reverse_iteratorISI_EEEEENSH_IJSG_SG_SG_EEES9_SI_JZNS1_25segmented_radix_sort_implINS0_14default_configELb0EPKdPdPKlPlN2at6native12_GLOBAL__N_18offset_tEEE10hipError_tPvRmT1_PNSt15iterator_traitsIS12_E10value_typeET2_T3_PNS13_IS18_E10value_typeET4_jRbjT5_S1E_jjP12ihipStream_tbEUljE_ZNSN_ISO_Lb0ESQ_SR_ST_SU_SY_EESZ_S10_S11_S12_S16_S17_S18_S1B_S1C_jS1D_jS1E_S1E_jjS1G_bEUljE0_EEESZ_S10_S11_S18_S1C_S1E_T6_T7_T9_mT8_S1G_bDpT10_ENKUlT_T0_E_clISt17integral_constantIbLb1EES1U_EEDaS1P_S1Q_EUlS1P_E_NS1_11comp_targetILNS1_3genE10ELNS1_11target_archE1200ELNS1_3gpuE4ELNS1_3repE0EEENS1_30default_config_static_selectorELNS0_4arch9wavefront6targetE1EEEvS12_.has_indirect_call, 0
	.section	.AMDGPU.csdata,"",@progbits
; Kernel info:
; codeLenInByte = 0
; TotalNumSgprs: 4
; NumVgprs: 0
; ScratchSize: 0
; MemoryBound: 0
; FloatMode: 240
; IeeeMode: 1
; LDSByteSize: 0 bytes/workgroup (compile time only)
; SGPRBlocks: 0
; VGPRBlocks: 0
; NumSGPRsForWavesPerEU: 4
; NumVGPRsForWavesPerEU: 1
; Occupancy: 10
; WaveLimiterHint : 0
; COMPUTE_PGM_RSRC2:SCRATCH_EN: 0
; COMPUTE_PGM_RSRC2:USER_SGPR: 6
; COMPUTE_PGM_RSRC2:TRAP_HANDLER: 0
; COMPUTE_PGM_RSRC2:TGID_X_EN: 1
; COMPUTE_PGM_RSRC2:TGID_Y_EN: 0
; COMPUTE_PGM_RSRC2:TGID_Z_EN: 0
; COMPUTE_PGM_RSRC2:TIDIG_COMP_CNT: 0
	.section	.text._ZN7rocprim17ROCPRIM_400000_NS6detail17trampoline_kernelINS0_13select_configILj256ELj13ELNS0_17block_load_methodE3ELS4_3ELS4_3ELNS0_20block_scan_algorithmE0ELj4294967295EEENS1_25partition_config_selectorILNS1_17partition_subalgoE4EjNS0_10empty_typeEbEEZZNS1_14partition_implILS8_4ELb0ES6_15HIP_vector_typeIjLj2EENS0_17counting_iteratorIjlEEPS9_SG_NS0_5tupleIJPjSI_NS0_16reverse_iteratorISI_EEEEENSH_IJSG_SG_SG_EEES9_SI_JZNS1_25segmented_radix_sort_implINS0_14default_configELb0EPKdPdPKlPlN2at6native12_GLOBAL__N_18offset_tEEE10hipError_tPvRmT1_PNSt15iterator_traitsIS12_E10value_typeET2_T3_PNS13_IS18_E10value_typeET4_jRbjT5_S1E_jjP12ihipStream_tbEUljE_ZNSN_ISO_Lb0ESQ_SR_ST_SU_SY_EESZ_S10_S11_S12_S16_S17_S18_S1B_S1C_jS1D_jS1E_S1E_jjS1G_bEUljE0_EEESZ_S10_S11_S18_S1C_S1E_T6_T7_T9_mT8_S1G_bDpT10_ENKUlT_T0_E_clISt17integral_constantIbLb1EES1U_EEDaS1P_S1Q_EUlS1P_E_NS1_11comp_targetILNS1_3genE9ELNS1_11target_archE1100ELNS1_3gpuE3ELNS1_3repE0EEENS1_30default_config_static_selectorELNS0_4arch9wavefront6targetE1EEEvS12_,"axG",@progbits,_ZN7rocprim17ROCPRIM_400000_NS6detail17trampoline_kernelINS0_13select_configILj256ELj13ELNS0_17block_load_methodE3ELS4_3ELS4_3ELNS0_20block_scan_algorithmE0ELj4294967295EEENS1_25partition_config_selectorILNS1_17partition_subalgoE4EjNS0_10empty_typeEbEEZZNS1_14partition_implILS8_4ELb0ES6_15HIP_vector_typeIjLj2EENS0_17counting_iteratorIjlEEPS9_SG_NS0_5tupleIJPjSI_NS0_16reverse_iteratorISI_EEEEENSH_IJSG_SG_SG_EEES9_SI_JZNS1_25segmented_radix_sort_implINS0_14default_configELb0EPKdPdPKlPlN2at6native12_GLOBAL__N_18offset_tEEE10hipError_tPvRmT1_PNSt15iterator_traitsIS12_E10value_typeET2_T3_PNS13_IS18_E10value_typeET4_jRbjT5_S1E_jjP12ihipStream_tbEUljE_ZNSN_ISO_Lb0ESQ_SR_ST_SU_SY_EESZ_S10_S11_S12_S16_S17_S18_S1B_S1C_jS1D_jS1E_S1E_jjS1G_bEUljE0_EEESZ_S10_S11_S18_S1C_S1E_T6_T7_T9_mT8_S1G_bDpT10_ENKUlT_T0_E_clISt17integral_constantIbLb1EES1U_EEDaS1P_S1Q_EUlS1P_E_NS1_11comp_targetILNS1_3genE9ELNS1_11target_archE1100ELNS1_3gpuE3ELNS1_3repE0EEENS1_30default_config_static_selectorELNS0_4arch9wavefront6targetE1EEEvS12_,comdat
	.globl	_ZN7rocprim17ROCPRIM_400000_NS6detail17trampoline_kernelINS0_13select_configILj256ELj13ELNS0_17block_load_methodE3ELS4_3ELS4_3ELNS0_20block_scan_algorithmE0ELj4294967295EEENS1_25partition_config_selectorILNS1_17partition_subalgoE4EjNS0_10empty_typeEbEEZZNS1_14partition_implILS8_4ELb0ES6_15HIP_vector_typeIjLj2EENS0_17counting_iteratorIjlEEPS9_SG_NS0_5tupleIJPjSI_NS0_16reverse_iteratorISI_EEEEENSH_IJSG_SG_SG_EEES9_SI_JZNS1_25segmented_radix_sort_implINS0_14default_configELb0EPKdPdPKlPlN2at6native12_GLOBAL__N_18offset_tEEE10hipError_tPvRmT1_PNSt15iterator_traitsIS12_E10value_typeET2_T3_PNS13_IS18_E10value_typeET4_jRbjT5_S1E_jjP12ihipStream_tbEUljE_ZNSN_ISO_Lb0ESQ_SR_ST_SU_SY_EESZ_S10_S11_S12_S16_S17_S18_S1B_S1C_jS1D_jS1E_S1E_jjS1G_bEUljE0_EEESZ_S10_S11_S18_S1C_S1E_T6_T7_T9_mT8_S1G_bDpT10_ENKUlT_T0_E_clISt17integral_constantIbLb1EES1U_EEDaS1P_S1Q_EUlS1P_E_NS1_11comp_targetILNS1_3genE9ELNS1_11target_archE1100ELNS1_3gpuE3ELNS1_3repE0EEENS1_30default_config_static_selectorELNS0_4arch9wavefront6targetE1EEEvS12_ ; -- Begin function _ZN7rocprim17ROCPRIM_400000_NS6detail17trampoline_kernelINS0_13select_configILj256ELj13ELNS0_17block_load_methodE3ELS4_3ELS4_3ELNS0_20block_scan_algorithmE0ELj4294967295EEENS1_25partition_config_selectorILNS1_17partition_subalgoE4EjNS0_10empty_typeEbEEZZNS1_14partition_implILS8_4ELb0ES6_15HIP_vector_typeIjLj2EENS0_17counting_iteratorIjlEEPS9_SG_NS0_5tupleIJPjSI_NS0_16reverse_iteratorISI_EEEEENSH_IJSG_SG_SG_EEES9_SI_JZNS1_25segmented_radix_sort_implINS0_14default_configELb0EPKdPdPKlPlN2at6native12_GLOBAL__N_18offset_tEEE10hipError_tPvRmT1_PNSt15iterator_traitsIS12_E10value_typeET2_T3_PNS13_IS18_E10value_typeET4_jRbjT5_S1E_jjP12ihipStream_tbEUljE_ZNSN_ISO_Lb0ESQ_SR_ST_SU_SY_EESZ_S10_S11_S12_S16_S17_S18_S1B_S1C_jS1D_jS1E_S1E_jjS1G_bEUljE0_EEESZ_S10_S11_S18_S1C_S1E_T6_T7_T9_mT8_S1G_bDpT10_ENKUlT_T0_E_clISt17integral_constantIbLb1EES1U_EEDaS1P_S1Q_EUlS1P_E_NS1_11comp_targetILNS1_3genE9ELNS1_11target_archE1100ELNS1_3gpuE3ELNS1_3repE0EEENS1_30default_config_static_selectorELNS0_4arch9wavefront6targetE1EEEvS12_
	.p2align	8
	.type	_ZN7rocprim17ROCPRIM_400000_NS6detail17trampoline_kernelINS0_13select_configILj256ELj13ELNS0_17block_load_methodE3ELS4_3ELS4_3ELNS0_20block_scan_algorithmE0ELj4294967295EEENS1_25partition_config_selectorILNS1_17partition_subalgoE4EjNS0_10empty_typeEbEEZZNS1_14partition_implILS8_4ELb0ES6_15HIP_vector_typeIjLj2EENS0_17counting_iteratorIjlEEPS9_SG_NS0_5tupleIJPjSI_NS0_16reverse_iteratorISI_EEEEENSH_IJSG_SG_SG_EEES9_SI_JZNS1_25segmented_radix_sort_implINS0_14default_configELb0EPKdPdPKlPlN2at6native12_GLOBAL__N_18offset_tEEE10hipError_tPvRmT1_PNSt15iterator_traitsIS12_E10value_typeET2_T3_PNS13_IS18_E10value_typeET4_jRbjT5_S1E_jjP12ihipStream_tbEUljE_ZNSN_ISO_Lb0ESQ_SR_ST_SU_SY_EESZ_S10_S11_S12_S16_S17_S18_S1B_S1C_jS1D_jS1E_S1E_jjS1G_bEUljE0_EEESZ_S10_S11_S18_S1C_S1E_T6_T7_T9_mT8_S1G_bDpT10_ENKUlT_T0_E_clISt17integral_constantIbLb1EES1U_EEDaS1P_S1Q_EUlS1P_E_NS1_11comp_targetILNS1_3genE9ELNS1_11target_archE1100ELNS1_3gpuE3ELNS1_3repE0EEENS1_30default_config_static_selectorELNS0_4arch9wavefront6targetE1EEEvS12_,@function
_ZN7rocprim17ROCPRIM_400000_NS6detail17trampoline_kernelINS0_13select_configILj256ELj13ELNS0_17block_load_methodE3ELS4_3ELS4_3ELNS0_20block_scan_algorithmE0ELj4294967295EEENS1_25partition_config_selectorILNS1_17partition_subalgoE4EjNS0_10empty_typeEbEEZZNS1_14partition_implILS8_4ELb0ES6_15HIP_vector_typeIjLj2EENS0_17counting_iteratorIjlEEPS9_SG_NS0_5tupleIJPjSI_NS0_16reverse_iteratorISI_EEEEENSH_IJSG_SG_SG_EEES9_SI_JZNS1_25segmented_radix_sort_implINS0_14default_configELb0EPKdPdPKlPlN2at6native12_GLOBAL__N_18offset_tEEE10hipError_tPvRmT1_PNSt15iterator_traitsIS12_E10value_typeET2_T3_PNS13_IS18_E10value_typeET4_jRbjT5_S1E_jjP12ihipStream_tbEUljE_ZNSN_ISO_Lb0ESQ_SR_ST_SU_SY_EESZ_S10_S11_S12_S16_S17_S18_S1B_S1C_jS1D_jS1E_S1E_jjS1G_bEUljE0_EEESZ_S10_S11_S18_S1C_S1E_T6_T7_T9_mT8_S1G_bDpT10_ENKUlT_T0_E_clISt17integral_constantIbLb1EES1U_EEDaS1P_S1Q_EUlS1P_E_NS1_11comp_targetILNS1_3genE9ELNS1_11target_archE1100ELNS1_3gpuE3ELNS1_3repE0EEENS1_30default_config_static_selectorELNS0_4arch9wavefront6targetE1EEEvS12_: ; @_ZN7rocprim17ROCPRIM_400000_NS6detail17trampoline_kernelINS0_13select_configILj256ELj13ELNS0_17block_load_methodE3ELS4_3ELS4_3ELNS0_20block_scan_algorithmE0ELj4294967295EEENS1_25partition_config_selectorILNS1_17partition_subalgoE4EjNS0_10empty_typeEbEEZZNS1_14partition_implILS8_4ELb0ES6_15HIP_vector_typeIjLj2EENS0_17counting_iteratorIjlEEPS9_SG_NS0_5tupleIJPjSI_NS0_16reverse_iteratorISI_EEEEENSH_IJSG_SG_SG_EEES9_SI_JZNS1_25segmented_radix_sort_implINS0_14default_configELb0EPKdPdPKlPlN2at6native12_GLOBAL__N_18offset_tEEE10hipError_tPvRmT1_PNSt15iterator_traitsIS12_E10value_typeET2_T3_PNS13_IS18_E10value_typeET4_jRbjT5_S1E_jjP12ihipStream_tbEUljE_ZNSN_ISO_Lb0ESQ_SR_ST_SU_SY_EESZ_S10_S11_S12_S16_S17_S18_S1B_S1C_jS1D_jS1E_S1E_jjS1G_bEUljE0_EEESZ_S10_S11_S18_S1C_S1E_T6_T7_T9_mT8_S1G_bDpT10_ENKUlT_T0_E_clISt17integral_constantIbLb1EES1U_EEDaS1P_S1Q_EUlS1P_E_NS1_11comp_targetILNS1_3genE9ELNS1_11target_archE1100ELNS1_3gpuE3ELNS1_3repE0EEENS1_30default_config_static_selectorELNS0_4arch9wavefront6targetE1EEEvS12_
; %bb.0:
	.section	.rodata,"a",@progbits
	.p2align	6, 0x0
	.amdhsa_kernel _ZN7rocprim17ROCPRIM_400000_NS6detail17trampoline_kernelINS0_13select_configILj256ELj13ELNS0_17block_load_methodE3ELS4_3ELS4_3ELNS0_20block_scan_algorithmE0ELj4294967295EEENS1_25partition_config_selectorILNS1_17partition_subalgoE4EjNS0_10empty_typeEbEEZZNS1_14partition_implILS8_4ELb0ES6_15HIP_vector_typeIjLj2EENS0_17counting_iteratorIjlEEPS9_SG_NS0_5tupleIJPjSI_NS0_16reverse_iteratorISI_EEEEENSH_IJSG_SG_SG_EEES9_SI_JZNS1_25segmented_radix_sort_implINS0_14default_configELb0EPKdPdPKlPlN2at6native12_GLOBAL__N_18offset_tEEE10hipError_tPvRmT1_PNSt15iterator_traitsIS12_E10value_typeET2_T3_PNS13_IS18_E10value_typeET4_jRbjT5_S1E_jjP12ihipStream_tbEUljE_ZNSN_ISO_Lb0ESQ_SR_ST_SU_SY_EESZ_S10_S11_S12_S16_S17_S18_S1B_S1C_jS1D_jS1E_S1E_jjS1G_bEUljE0_EEESZ_S10_S11_S18_S1C_S1E_T6_T7_T9_mT8_S1G_bDpT10_ENKUlT_T0_E_clISt17integral_constantIbLb1EES1U_EEDaS1P_S1Q_EUlS1P_E_NS1_11comp_targetILNS1_3genE9ELNS1_11target_archE1100ELNS1_3gpuE3ELNS1_3repE0EEENS1_30default_config_static_selectorELNS0_4arch9wavefront6targetE1EEEvS12_
		.amdhsa_group_segment_fixed_size 0
		.amdhsa_private_segment_fixed_size 0
		.amdhsa_kernarg_size 184
		.amdhsa_user_sgpr_count 6
		.amdhsa_user_sgpr_private_segment_buffer 1
		.amdhsa_user_sgpr_dispatch_ptr 0
		.amdhsa_user_sgpr_queue_ptr 0
		.amdhsa_user_sgpr_kernarg_segment_ptr 1
		.amdhsa_user_sgpr_dispatch_id 0
		.amdhsa_user_sgpr_flat_scratch_init 0
		.amdhsa_user_sgpr_private_segment_size 0
		.amdhsa_uses_dynamic_stack 0
		.amdhsa_system_sgpr_private_segment_wavefront_offset 0
		.amdhsa_system_sgpr_workgroup_id_x 1
		.amdhsa_system_sgpr_workgroup_id_y 0
		.amdhsa_system_sgpr_workgroup_id_z 0
		.amdhsa_system_sgpr_workgroup_info 0
		.amdhsa_system_vgpr_workitem_id 0
		.amdhsa_next_free_vgpr 1
		.amdhsa_next_free_sgpr 0
		.amdhsa_reserve_vcc 0
		.amdhsa_reserve_flat_scratch 0
		.amdhsa_float_round_mode_32 0
		.amdhsa_float_round_mode_16_64 0
		.amdhsa_float_denorm_mode_32 3
		.amdhsa_float_denorm_mode_16_64 3
		.amdhsa_dx10_clamp 1
		.amdhsa_ieee_mode 1
		.amdhsa_fp16_overflow 0
		.amdhsa_exception_fp_ieee_invalid_op 0
		.amdhsa_exception_fp_denorm_src 0
		.amdhsa_exception_fp_ieee_div_zero 0
		.amdhsa_exception_fp_ieee_overflow 0
		.amdhsa_exception_fp_ieee_underflow 0
		.amdhsa_exception_fp_ieee_inexact 0
		.amdhsa_exception_int_div_zero 0
	.end_amdhsa_kernel
	.section	.text._ZN7rocprim17ROCPRIM_400000_NS6detail17trampoline_kernelINS0_13select_configILj256ELj13ELNS0_17block_load_methodE3ELS4_3ELS4_3ELNS0_20block_scan_algorithmE0ELj4294967295EEENS1_25partition_config_selectorILNS1_17partition_subalgoE4EjNS0_10empty_typeEbEEZZNS1_14partition_implILS8_4ELb0ES6_15HIP_vector_typeIjLj2EENS0_17counting_iteratorIjlEEPS9_SG_NS0_5tupleIJPjSI_NS0_16reverse_iteratorISI_EEEEENSH_IJSG_SG_SG_EEES9_SI_JZNS1_25segmented_radix_sort_implINS0_14default_configELb0EPKdPdPKlPlN2at6native12_GLOBAL__N_18offset_tEEE10hipError_tPvRmT1_PNSt15iterator_traitsIS12_E10value_typeET2_T3_PNS13_IS18_E10value_typeET4_jRbjT5_S1E_jjP12ihipStream_tbEUljE_ZNSN_ISO_Lb0ESQ_SR_ST_SU_SY_EESZ_S10_S11_S12_S16_S17_S18_S1B_S1C_jS1D_jS1E_S1E_jjS1G_bEUljE0_EEESZ_S10_S11_S18_S1C_S1E_T6_T7_T9_mT8_S1G_bDpT10_ENKUlT_T0_E_clISt17integral_constantIbLb1EES1U_EEDaS1P_S1Q_EUlS1P_E_NS1_11comp_targetILNS1_3genE9ELNS1_11target_archE1100ELNS1_3gpuE3ELNS1_3repE0EEENS1_30default_config_static_selectorELNS0_4arch9wavefront6targetE1EEEvS12_,"axG",@progbits,_ZN7rocprim17ROCPRIM_400000_NS6detail17trampoline_kernelINS0_13select_configILj256ELj13ELNS0_17block_load_methodE3ELS4_3ELS4_3ELNS0_20block_scan_algorithmE0ELj4294967295EEENS1_25partition_config_selectorILNS1_17partition_subalgoE4EjNS0_10empty_typeEbEEZZNS1_14partition_implILS8_4ELb0ES6_15HIP_vector_typeIjLj2EENS0_17counting_iteratorIjlEEPS9_SG_NS0_5tupleIJPjSI_NS0_16reverse_iteratorISI_EEEEENSH_IJSG_SG_SG_EEES9_SI_JZNS1_25segmented_radix_sort_implINS0_14default_configELb0EPKdPdPKlPlN2at6native12_GLOBAL__N_18offset_tEEE10hipError_tPvRmT1_PNSt15iterator_traitsIS12_E10value_typeET2_T3_PNS13_IS18_E10value_typeET4_jRbjT5_S1E_jjP12ihipStream_tbEUljE_ZNSN_ISO_Lb0ESQ_SR_ST_SU_SY_EESZ_S10_S11_S12_S16_S17_S18_S1B_S1C_jS1D_jS1E_S1E_jjS1G_bEUljE0_EEESZ_S10_S11_S18_S1C_S1E_T6_T7_T9_mT8_S1G_bDpT10_ENKUlT_T0_E_clISt17integral_constantIbLb1EES1U_EEDaS1P_S1Q_EUlS1P_E_NS1_11comp_targetILNS1_3genE9ELNS1_11target_archE1100ELNS1_3gpuE3ELNS1_3repE0EEENS1_30default_config_static_selectorELNS0_4arch9wavefront6targetE1EEEvS12_,comdat
.Lfunc_end1171:
	.size	_ZN7rocprim17ROCPRIM_400000_NS6detail17trampoline_kernelINS0_13select_configILj256ELj13ELNS0_17block_load_methodE3ELS4_3ELS4_3ELNS0_20block_scan_algorithmE0ELj4294967295EEENS1_25partition_config_selectorILNS1_17partition_subalgoE4EjNS0_10empty_typeEbEEZZNS1_14partition_implILS8_4ELb0ES6_15HIP_vector_typeIjLj2EENS0_17counting_iteratorIjlEEPS9_SG_NS0_5tupleIJPjSI_NS0_16reverse_iteratorISI_EEEEENSH_IJSG_SG_SG_EEES9_SI_JZNS1_25segmented_radix_sort_implINS0_14default_configELb0EPKdPdPKlPlN2at6native12_GLOBAL__N_18offset_tEEE10hipError_tPvRmT1_PNSt15iterator_traitsIS12_E10value_typeET2_T3_PNS13_IS18_E10value_typeET4_jRbjT5_S1E_jjP12ihipStream_tbEUljE_ZNSN_ISO_Lb0ESQ_SR_ST_SU_SY_EESZ_S10_S11_S12_S16_S17_S18_S1B_S1C_jS1D_jS1E_S1E_jjS1G_bEUljE0_EEESZ_S10_S11_S18_S1C_S1E_T6_T7_T9_mT8_S1G_bDpT10_ENKUlT_T0_E_clISt17integral_constantIbLb1EES1U_EEDaS1P_S1Q_EUlS1P_E_NS1_11comp_targetILNS1_3genE9ELNS1_11target_archE1100ELNS1_3gpuE3ELNS1_3repE0EEENS1_30default_config_static_selectorELNS0_4arch9wavefront6targetE1EEEvS12_, .Lfunc_end1171-_ZN7rocprim17ROCPRIM_400000_NS6detail17trampoline_kernelINS0_13select_configILj256ELj13ELNS0_17block_load_methodE3ELS4_3ELS4_3ELNS0_20block_scan_algorithmE0ELj4294967295EEENS1_25partition_config_selectorILNS1_17partition_subalgoE4EjNS0_10empty_typeEbEEZZNS1_14partition_implILS8_4ELb0ES6_15HIP_vector_typeIjLj2EENS0_17counting_iteratorIjlEEPS9_SG_NS0_5tupleIJPjSI_NS0_16reverse_iteratorISI_EEEEENSH_IJSG_SG_SG_EEES9_SI_JZNS1_25segmented_radix_sort_implINS0_14default_configELb0EPKdPdPKlPlN2at6native12_GLOBAL__N_18offset_tEEE10hipError_tPvRmT1_PNSt15iterator_traitsIS12_E10value_typeET2_T3_PNS13_IS18_E10value_typeET4_jRbjT5_S1E_jjP12ihipStream_tbEUljE_ZNSN_ISO_Lb0ESQ_SR_ST_SU_SY_EESZ_S10_S11_S12_S16_S17_S18_S1B_S1C_jS1D_jS1E_S1E_jjS1G_bEUljE0_EEESZ_S10_S11_S18_S1C_S1E_T6_T7_T9_mT8_S1G_bDpT10_ENKUlT_T0_E_clISt17integral_constantIbLb1EES1U_EEDaS1P_S1Q_EUlS1P_E_NS1_11comp_targetILNS1_3genE9ELNS1_11target_archE1100ELNS1_3gpuE3ELNS1_3repE0EEENS1_30default_config_static_selectorELNS0_4arch9wavefront6targetE1EEEvS12_
                                        ; -- End function
	.set _ZN7rocprim17ROCPRIM_400000_NS6detail17trampoline_kernelINS0_13select_configILj256ELj13ELNS0_17block_load_methodE3ELS4_3ELS4_3ELNS0_20block_scan_algorithmE0ELj4294967295EEENS1_25partition_config_selectorILNS1_17partition_subalgoE4EjNS0_10empty_typeEbEEZZNS1_14partition_implILS8_4ELb0ES6_15HIP_vector_typeIjLj2EENS0_17counting_iteratorIjlEEPS9_SG_NS0_5tupleIJPjSI_NS0_16reverse_iteratorISI_EEEEENSH_IJSG_SG_SG_EEES9_SI_JZNS1_25segmented_radix_sort_implINS0_14default_configELb0EPKdPdPKlPlN2at6native12_GLOBAL__N_18offset_tEEE10hipError_tPvRmT1_PNSt15iterator_traitsIS12_E10value_typeET2_T3_PNS13_IS18_E10value_typeET4_jRbjT5_S1E_jjP12ihipStream_tbEUljE_ZNSN_ISO_Lb0ESQ_SR_ST_SU_SY_EESZ_S10_S11_S12_S16_S17_S18_S1B_S1C_jS1D_jS1E_S1E_jjS1G_bEUljE0_EEESZ_S10_S11_S18_S1C_S1E_T6_T7_T9_mT8_S1G_bDpT10_ENKUlT_T0_E_clISt17integral_constantIbLb1EES1U_EEDaS1P_S1Q_EUlS1P_E_NS1_11comp_targetILNS1_3genE9ELNS1_11target_archE1100ELNS1_3gpuE3ELNS1_3repE0EEENS1_30default_config_static_selectorELNS0_4arch9wavefront6targetE1EEEvS12_.num_vgpr, 0
	.set _ZN7rocprim17ROCPRIM_400000_NS6detail17trampoline_kernelINS0_13select_configILj256ELj13ELNS0_17block_load_methodE3ELS4_3ELS4_3ELNS0_20block_scan_algorithmE0ELj4294967295EEENS1_25partition_config_selectorILNS1_17partition_subalgoE4EjNS0_10empty_typeEbEEZZNS1_14partition_implILS8_4ELb0ES6_15HIP_vector_typeIjLj2EENS0_17counting_iteratorIjlEEPS9_SG_NS0_5tupleIJPjSI_NS0_16reverse_iteratorISI_EEEEENSH_IJSG_SG_SG_EEES9_SI_JZNS1_25segmented_radix_sort_implINS0_14default_configELb0EPKdPdPKlPlN2at6native12_GLOBAL__N_18offset_tEEE10hipError_tPvRmT1_PNSt15iterator_traitsIS12_E10value_typeET2_T3_PNS13_IS18_E10value_typeET4_jRbjT5_S1E_jjP12ihipStream_tbEUljE_ZNSN_ISO_Lb0ESQ_SR_ST_SU_SY_EESZ_S10_S11_S12_S16_S17_S18_S1B_S1C_jS1D_jS1E_S1E_jjS1G_bEUljE0_EEESZ_S10_S11_S18_S1C_S1E_T6_T7_T9_mT8_S1G_bDpT10_ENKUlT_T0_E_clISt17integral_constantIbLb1EES1U_EEDaS1P_S1Q_EUlS1P_E_NS1_11comp_targetILNS1_3genE9ELNS1_11target_archE1100ELNS1_3gpuE3ELNS1_3repE0EEENS1_30default_config_static_selectorELNS0_4arch9wavefront6targetE1EEEvS12_.num_agpr, 0
	.set _ZN7rocprim17ROCPRIM_400000_NS6detail17trampoline_kernelINS0_13select_configILj256ELj13ELNS0_17block_load_methodE3ELS4_3ELS4_3ELNS0_20block_scan_algorithmE0ELj4294967295EEENS1_25partition_config_selectorILNS1_17partition_subalgoE4EjNS0_10empty_typeEbEEZZNS1_14partition_implILS8_4ELb0ES6_15HIP_vector_typeIjLj2EENS0_17counting_iteratorIjlEEPS9_SG_NS0_5tupleIJPjSI_NS0_16reverse_iteratorISI_EEEEENSH_IJSG_SG_SG_EEES9_SI_JZNS1_25segmented_radix_sort_implINS0_14default_configELb0EPKdPdPKlPlN2at6native12_GLOBAL__N_18offset_tEEE10hipError_tPvRmT1_PNSt15iterator_traitsIS12_E10value_typeET2_T3_PNS13_IS18_E10value_typeET4_jRbjT5_S1E_jjP12ihipStream_tbEUljE_ZNSN_ISO_Lb0ESQ_SR_ST_SU_SY_EESZ_S10_S11_S12_S16_S17_S18_S1B_S1C_jS1D_jS1E_S1E_jjS1G_bEUljE0_EEESZ_S10_S11_S18_S1C_S1E_T6_T7_T9_mT8_S1G_bDpT10_ENKUlT_T0_E_clISt17integral_constantIbLb1EES1U_EEDaS1P_S1Q_EUlS1P_E_NS1_11comp_targetILNS1_3genE9ELNS1_11target_archE1100ELNS1_3gpuE3ELNS1_3repE0EEENS1_30default_config_static_selectorELNS0_4arch9wavefront6targetE1EEEvS12_.numbered_sgpr, 0
	.set _ZN7rocprim17ROCPRIM_400000_NS6detail17trampoline_kernelINS0_13select_configILj256ELj13ELNS0_17block_load_methodE3ELS4_3ELS4_3ELNS0_20block_scan_algorithmE0ELj4294967295EEENS1_25partition_config_selectorILNS1_17partition_subalgoE4EjNS0_10empty_typeEbEEZZNS1_14partition_implILS8_4ELb0ES6_15HIP_vector_typeIjLj2EENS0_17counting_iteratorIjlEEPS9_SG_NS0_5tupleIJPjSI_NS0_16reverse_iteratorISI_EEEEENSH_IJSG_SG_SG_EEES9_SI_JZNS1_25segmented_radix_sort_implINS0_14default_configELb0EPKdPdPKlPlN2at6native12_GLOBAL__N_18offset_tEEE10hipError_tPvRmT1_PNSt15iterator_traitsIS12_E10value_typeET2_T3_PNS13_IS18_E10value_typeET4_jRbjT5_S1E_jjP12ihipStream_tbEUljE_ZNSN_ISO_Lb0ESQ_SR_ST_SU_SY_EESZ_S10_S11_S12_S16_S17_S18_S1B_S1C_jS1D_jS1E_S1E_jjS1G_bEUljE0_EEESZ_S10_S11_S18_S1C_S1E_T6_T7_T9_mT8_S1G_bDpT10_ENKUlT_T0_E_clISt17integral_constantIbLb1EES1U_EEDaS1P_S1Q_EUlS1P_E_NS1_11comp_targetILNS1_3genE9ELNS1_11target_archE1100ELNS1_3gpuE3ELNS1_3repE0EEENS1_30default_config_static_selectorELNS0_4arch9wavefront6targetE1EEEvS12_.num_named_barrier, 0
	.set _ZN7rocprim17ROCPRIM_400000_NS6detail17trampoline_kernelINS0_13select_configILj256ELj13ELNS0_17block_load_methodE3ELS4_3ELS4_3ELNS0_20block_scan_algorithmE0ELj4294967295EEENS1_25partition_config_selectorILNS1_17partition_subalgoE4EjNS0_10empty_typeEbEEZZNS1_14partition_implILS8_4ELb0ES6_15HIP_vector_typeIjLj2EENS0_17counting_iteratorIjlEEPS9_SG_NS0_5tupleIJPjSI_NS0_16reverse_iteratorISI_EEEEENSH_IJSG_SG_SG_EEES9_SI_JZNS1_25segmented_radix_sort_implINS0_14default_configELb0EPKdPdPKlPlN2at6native12_GLOBAL__N_18offset_tEEE10hipError_tPvRmT1_PNSt15iterator_traitsIS12_E10value_typeET2_T3_PNS13_IS18_E10value_typeET4_jRbjT5_S1E_jjP12ihipStream_tbEUljE_ZNSN_ISO_Lb0ESQ_SR_ST_SU_SY_EESZ_S10_S11_S12_S16_S17_S18_S1B_S1C_jS1D_jS1E_S1E_jjS1G_bEUljE0_EEESZ_S10_S11_S18_S1C_S1E_T6_T7_T9_mT8_S1G_bDpT10_ENKUlT_T0_E_clISt17integral_constantIbLb1EES1U_EEDaS1P_S1Q_EUlS1P_E_NS1_11comp_targetILNS1_3genE9ELNS1_11target_archE1100ELNS1_3gpuE3ELNS1_3repE0EEENS1_30default_config_static_selectorELNS0_4arch9wavefront6targetE1EEEvS12_.private_seg_size, 0
	.set _ZN7rocprim17ROCPRIM_400000_NS6detail17trampoline_kernelINS0_13select_configILj256ELj13ELNS0_17block_load_methodE3ELS4_3ELS4_3ELNS0_20block_scan_algorithmE0ELj4294967295EEENS1_25partition_config_selectorILNS1_17partition_subalgoE4EjNS0_10empty_typeEbEEZZNS1_14partition_implILS8_4ELb0ES6_15HIP_vector_typeIjLj2EENS0_17counting_iteratorIjlEEPS9_SG_NS0_5tupleIJPjSI_NS0_16reverse_iteratorISI_EEEEENSH_IJSG_SG_SG_EEES9_SI_JZNS1_25segmented_radix_sort_implINS0_14default_configELb0EPKdPdPKlPlN2at6native12_GLOBAL__N_18offset_tEEE10hipError_tPvRmT1_PNSt15iterator_traitsIS12_E10value_typeET2_T3_PNS13_IS18_E10value_typeET4_jRbjT5_S1E_jjP12ihipStream_tbEUljE_ZNSN_ISO_Lb0ESQ_SR_ST_SU_SY_EESZ_S10_S11_S12_S16_S17_S18_S1B_S1C_jS1D_jS1E_S1E_jjS1G_bEUljE0_EEESZ_S10_S11_S18_S1C_S1E_T6_T7_T9_mT8_S1G_bDpT10_ENKUlT_T0_E_clISt17integral_constantIbLb1EES1U_EEDaS1P_S1Q_EUlS1P_E_NS1_11comp_targetILNS1_3genE9ELNS1_11target_archE1100ELNS1_3gpuE3ELNS1_3repE0EEENS1_30default_config_static_selectorELNS0_4arch9wavefront6targetE1EEEvS12_.uses_vcc, 0
	.set _ZN7rocprim17ROCPRIM_400000_NS6detail17trampoline_kernelINS0_13select_configILj256ELj13ELNS0_17block_load_methodE3ELS4_3ELS4_3ELNS0_20block_scan_algorithmE0ELj4294967295EEENS1_25partition_config_selectorILNS1_17partition_subalgoE4EjNS0_10empty_typeEbEEZZNS1_14partition_implILS8_4ELb0ES6_15HIP_vector_typeIjLj2EENS0_17counting_iteratorIjlEEPS9_SG_NS0_5tupleIJPjSI_NS0_16reverse_iteratorISI_EEEEENSH_IJSG_SG_SG_EEES9_SI_JZNS1_25segmented_radix_sort_implINS0_14default_configELb0EPKdPdPKlPlN2at6native12_GLOBAL__N_18offset_tEEE10hipError_tPvRmT1_PNSt15iterator_traitsIS12_E10value_typeET2_T3_PNS13_IS18_E10value_typeET4_jRbjT5_S1E_jjP12ihipStream_tbEUljE_ZNSN_ISO_Lb0ESQ_SR_ST_SU_SY_EESZ_S10_S11_S12_S16_S17_S18_S1B_S1C_jS1D_jS1E_S1E_jjS1G_bEUljE0_EEESZ_S10_S11_S18_S1C_S1E_T6_T7_T9_mT8_S1G_bDpT10_ENKUlT_T0_E_clISt17integral_constantIbLb1EES1U_EEDaS1P_S1Q_EUlS1P_E_NS1_11comp_targetILNS1_3genE9ELNS1_11target_archE1100ELNS1_3gpuE3ELNS1_3repE0EEENS1_30default_config_static_selectorELNS0_4arch9wavefront6targetE1EEEvS12_.uses_flat_scratch, 0
	.set _ZN7rocprim17ROCPRIM_400000_NS6detail17trampoline_kernelINS0_13select_configILj256ELj13ELNS0_17block_load_methodE3ELS4_3ELS4_3ELNS0_20block_scan_algorithmE0ELj4294967295EEENS1_25partition_config_selectorILNS1_17partition_subalgoE4EjNS0_10empty_typeEbEEZZNS1_14partition_implILS8_4ELb0ES6_15HIP_vector_typeIjLj2EENS0_17counting_iteratorIjlEEPS9_SG_NS0_5tupleIJPjSI_NS0_16reverse_iteratorISI_EEEEENSH_IJSG_SG_SG_EEES9_SI_JZNS1_25segmented_radix_sort_implINS0_14default_configELb0EPKdPdPKlPlN2at6native12_GLOBAL__N_18offset_tEEE10hipError_tPvRmT1_PNSt15iterator_traitsIS12_E10value_typeET2_T3_PNS13_IS18_E10value_typeET4_jRbjT5_S1E_jjP12ihipStream_tbEUljE_ZNSN_ISO_Lb0ESQ_SR_ST_SU_SY_EESZ_S10_S11_S12_S16_S17_S18_S1B_S1C_jS1D_jS1E_S1E_jjS1G_bEUljE0_EEESZ_S10_S11_S18_S1C_S1E_T6_T7_T9_mT8_S1G_bDpT10_ENKUlT_T0_E_clISt17integral_constantIbLb1EES1U_EEDaS1P_S1Q_EUlS1P_E_NS1_11comp_targetILNS1_3genE9ELNS1_11target_archE1100ELNS1_3gpuE3ELNS1_3repE0EEENS1_30default_config_static_selectorELNS0_4arch9wavefront6targetE1EEEvS12_.has_dyn_sized_stack, 0
	.set _ZN7rocprim17ROCPRIM_400000_NS6detail17trampoline_kernelINS0_13select_configILj256ELj13ELNS0_17block_load_methodE3ELS4_3ELS4_3ELNS0_20block_scan_algorithmE0ELj4294967295EEENS1_25partition_config_selectorILNS1_17partition_subalgoE4EjNS0_10empty_typeEbEEZZNS1_14partition_implILS8_4ELb0ES6_15HIP_vector_typeIjLj2EENS0_17counting_iteratorIjlEEPS9_SG_NS0_5tupleIJPjSI_NS0_16reverse_iteratorISI_EEEEENSH_IJSG_SG_SG_EEES9_SI_JZNS1_25segmented_radix_sort_implINS0_14default_configELb0EPKdPdPKlPlN2at6native12_GLOBAL__N_18offset_tEEE10hipError_tPvRmT1_PNSt15iterator_traitsIS12_E10value_typeET2_T3_PNS13_IS18_E10value_typeET4_jRbjT5_S1E_jjP12ihipStream_tbEUljE_ZNSN_ISO_Lb0ESQ_SR_ST_SU_SY_EESZ_S10_S11_S12_S16_S17_S18_S1B_S1C_jS1D_jS1E_S1E_jjS1G_bEUljE0_EEESZ_S10_S11_S18_S1C_S1E_T6_T7_T9_mT8_S1G_bDpT10_ENKUlT_T0_E_clISt17integral_constantIbLb1EES1U_EEDaS1P_S1Q_EUlS1P_E_NS1_11comp_targetILNS1_3genE9ELNS1_11target_archE1100ELNS1_3gpuE3ELNS1_3repE0EEENS1_30default_config_static_selectorELNS0_4arch9wavefront6targetE1EEEvS12_.has_recursion, 0
	.set _ZN7rocprim17ROCPRIM_400000_NS6detail17trampoline_kernelINS0_13select_configILj256ELj13ELNS0_17block_load_methodE3ELS4_3ELS4_3ELNS0_20block_scan_algorithmE0ELj4294967295EEENS1_25partition_config_selectorILNS1_17partition_subalgoE4EjNS0_10empty_typeEbEEZZNS1_14partition_implILS8_4ELb0ES6_15HIP_vector_typeIjLj2EENS0_17counting_iteratorIjlEEPS9_SG_NS0_5tupleIJPjSI_NS0_16reverse_iteratorISI_EEEEENSH_IJSG_SG_SG_EEES9_SI_JZNS1_25segmented_radix_sort_implINS0_14default_configELb0EPKdPdPKlPlN2at6native12_GLOBAL__N_18offset_tEEE10hipError_tPvRmT1_PNSt15iterator_traitsIS12_E10value_typeET2_T3_PNS13_IS18_E10value_typeET4_jRbjT5_S1E_jjP12ihipStream_tbEUljE_ZNSN_ISO_Lb0ESQ_SR_ST_SU_SY_EESZ_S10_S11_S12_S16_S17_S18_S1B_S1C_jS1D_jS1E_S1E_jjS1G_bEUljE0_EEESZ_S10_S11_S18_S1C_S1E_T6_T7_T9_mT8_S1G_bDpT10_ENKUlT_T0_E_clISt17integral_constantIbLb1EES1U_EEDaS1P_S1Q_EUlS1P_E_NS1_11comp_targetILNS1_3genE9ELNS1_11target_archE1100ELNS1_3gpuE3ELNS1_3repE0EEENS1_30default_config_static_selectorELNS0_4arch9wavefront6targetE1EEEvS12_.has_indirect_call, 0
	.section	.AMDGPU.csdata,"",@progbits
; Kernel info:
; codeLenInByte = 0
; TotalNumSgprs: 4
; NumVgprs: 0
; ScratchSize: 0
; MemoryBound: 0
; FloatMode: 240
; IeeeMode: 1
; LDSByteSize: 0 bytes/workgroup (compile time only)
; SGPRBlocks: 0
; VGPRBlocks: 0
; NumSGPRsForWavesPerEU: 4
; NumVGPRsForWavesPerEU: 1
; Occupancy: 10
; WaveLimiterHint : 0
; COMPUTE_PGM_RSRC2:SCRATCH_EN: 0
; COMPUTE_PGM_RSRC2:USER_SGPR: 6
; COMPUTE_PGM_RSRC2:TRAP_HANDLER: 0
; COMPUTE_PGM_RSRC2:TGID_X_EN: 1
; COMPUTE_PGM_RSRC2:TGID_Y_EN: 0
; COMPUTE_PGM_RSRC2:TGID_Z_EN: 0
; COMPUTE_PGM_RSRC2:TIDIG_COMP_CNT: 0
	.section	.text._ZN7rocprim17ROCPRIM_400000_NS6detail17trampoline_kernelINS0_13select_configILj256ELj13ELNS0_17block_load_methodE3ELS4_3ELS4_3ELNS0_20block_scan_algorithmE0ELj4294967295EEENS1_25partition_config_selectorILNS1_17partition_subalgoE4EjNS0_10empty_typeEbEEZZNS1_14partition_implILS8_4ELb0ES6_15HIP_vector_typeIjLj2EENS0_17counting_iteratorIjlEEPS9_SG_NS0_5tupleIJPjSI_NS0_16reverse_iteratorISI_EEEEENSH_IJSG_SG_SG_EEES9_SI_JZNS1_25segmented_radix_sort_implINS0_14default_configELb0EPKdPdPKlPlN2at6native12_GLOBAL__N_18offset_tEEE10hipError_tPvRmT1_PNSt15iterator_traitsIS12_E10value_typeET2_T3_PNS13_IS18_E10value_typeET4_jRbjT5_S1E_jjP12ihipStream_tbEUljE_ZNSN_ISO_Lb0ESQ_SR_ST_SU_SY_EESZ_S10_S11_S12_S16_S17_S18_S1B_S1C_jS1D_jS1E_S1E_jjS1G_bEUljE0_EEESZ_S10_S11_S18_S1C_S1E_T6_T7_T9_mT8_S1G_bDpT10_ENKUlT_T0_E_clISt17integral_constantIbLb1EES1U_EEDaS1P_S1Q_EUlS1P_E_NS1_11comp_targetILNS1_3genE8ELNS1_11target_archE1030ELNS1_3gpuE2ELNS1_3repE0EEENS1_30default_config_static_selectorELNS0_4arch9wavefront6targetE1EEEvS12_,"axG",@progbits,_ZN7rocprim17ROCPRIM_400000_NS6detail17trampoline_kernelINS0_13select_configILj256ELj13ELNS0_17block_load_methodE3ELS4_3ELS4_3ELNS0_20block_scan_algorithmE0ELj4294967295EEENS1_25partition_config_selectorILNS1_17partition_subalgoE4EjNS0_10empty_typeEbEEZZNS1_14partition_implILS8_4ELb0ES6_15HIP_vector_typeIjLj2EENS0_17counting_iteratorIjlEEPS9_SG_NS0_5tupleIJPjSI_NS0_16reverse_iteratorISI_EEEEENSH_IJSG_SG_SG_EEES9_SI_JZNS1_25segmented_radix_sort_implINS0_14default_configELb0EPKdPdPKlPlN2at6native12_GLOBAL__N_18offset_tEEE10hipError_tPvRmT1_PNSt15iterator_traitsIS12_E10value_typeET2_T3_PNS13_IS18_E10value_typeET4_jRbjT5_S1E_jjP12ihipStream_tbEUljE_ZNSN_ISO_Lb0ESQ_SR_ST_SU_SY_EESZ_S10_S11_S12_S16_S17_S18_S1B_S1C_jS1D_jS1E_S1E_jjS1G_bEUljE0_EEESZ_S10_S11_S18_S1C_S1E_T6_T7_T9_mT8_S1G_bDpT10_ENKUlT_T0_E_clISt17integral_constantIbLb1EES1U_EEDaS1P_S1Q_EUlS1P_E_NS1_11comp_targetILNS1_3genE8ELNS1_11target_archE1030ELNS1_3gpuE2ELNS1_3repE0EEENS1_30default_config_static_selectorELNS0_4arch9wavefront6targetE1EEEvS12_,comdat
	.globl	_ZN7rocprim17ROCPRIM_400000_NS6detail17trampoline_kernelINS0_13select_configILj256ELj13ELNS0_17block_load_methodE3ELS4_3ELS4_3ELNS0_20block_scan_algorithmE0ELj4294967295EEENS1_25partition_config_selectorILNS1_17partition_subalgoE4EjNS0_10empty_typeEbEEZZNS1_14partition_implILS8_4ELb0ES6_15HIP_vector_typeIjLj2EENS0_17counting_iteratorIjlEEPS9_SG_NS0_5tupleIJPjSI_NS0_16reverse_iteratorISI_EEEEENSH_IJSG_SG_SG_EEES9_SI_JZNS1_25segmented_radix_sort_implINS0_14default_configELb0EPKdPdPKlPlN2at6native12_GLOBAL__N_18offset_tEEE10hipError_tPvRmT1_PNSt15iterator_traitsIS12_E10value_typeET2_T3_PNS13_IS18_E10value_typeET4_jRbjT5_S1E_jjP12ihipStream_tbEUljE_ZNSN_ISO_Lb0ESQ_SR_ST_SU_SY_EESZ_S10_S11_S12_S16_S17_S18_S1B_S1C_jS1D_jS1E_S1E_jjS1G_bEUljE0_EEESZ_S10_S11_S18_S1C_S1E_T6_T7_T9_mT8_S1G_bDpT10_ENKUlT_T0_E_clISt17integral_constantIbLb1EES1U_EEDaS1P_S1Q_EUlS1P_E_NS1_11comp_targetILNS1_3genE8ELNS1_11target_archE1030ELNS1_3gpuE2ELNS1_3repE0EEENS1_30default_config_static_selectorELNS0_4arch9wavefront6targetE1EEEvS12_ ; -- Begin function _ZN7rocprim17ROCPRIM_400000_NS6detail17trampoline_kernelINS0_13select_configILj256ELj13ELNS0_17block_load_methodE3ELS4_3ELS4_3ELNS0_20block_scan_algorithmE0ELj4294967295EEENS1_25partition_config_selectorILNS1_17partition_subalgoE4EjNS0_10empty_typeEbEEZZNS1_14partition_implILS8_4ELb0ES6_15HIP_vector_typeIjLj2EENS0_17counting_iteratorIjlEEPS9_SG_NS0_5tupleIJPjSI_NS0_16reverse_iteratorISI_EEEEENSH_IJSG_SG_SG_EEES9_SI_JZNS1_25segmented_radix_sort_implINS0_14default_configELb0EPKdPdPKlPlN2at6native12_GLOBAL__N_18offset_tEEE10hipError_tPvRmT1_PNSt15iterator_traitsIS12_E10value_typeET2_T3_PNS13_IS18_E10value_typeET4_jRbjT5_S1E_jjP12ihipStream_tbEUljE_ZNSN_ISO_Lb0ESQ_SR_ST_SU_SY_EESZ_S10_S11_S12_S16_S17_S18_S1B_S1C_jS1D_jS1E_S1E_jjS1G_bEUljE0_EEESZ_S10_S11_S18_S1C_S1E_T6_T7_T9_mT8_S1G_bDpT10_ENKUlT_T0_E_clISt17integral_constantIbLb1EES1U_EEDaS1P_S1Q_EUlS1P_E_NS1_11comp_targetILNS1_3genE8ELNS1_11target_archE1030ELNS1_3gpuE2ELNS1_3repE0EEENS1_30default_config_static_selectorELNS0_4arch9wavefront6targetE1EEEvS12_
	.p2align	8
	.type	_ZN7rocprim17ROCPRIM_400000_NS6detail17trampoline_kernelINS0_13select_configILj256ELj13ELNS0_17block_load_methodE3ELS4_3ELS4_3ELNS0_20block_scan_algorithmE0ELj4294967295EEENS1_25partition_config_selectorILNS1_17partition_subalgoE4EjNS0_10empty_typeEbEEZZNS1_14partition_implILS8_4ELb0ES6_15HIP_vector_typeIjLj2EENS0_17counting_iteratorIjlEEPS9_SG_NS0_5tupleIJPjSI_NS0_16reverse_iteratorISI_EEEEENSH_IJSG_SG_SG_EEES9_SI_JZNS1_25segmented_radix_sort_implINS0_14default_configELb0EPKdPdPKlPlN2at6native12_GLOBAL__N_18offset_tEEE10hipError_tPvRmT1_PNSt15iterator_traitsIS12_E10value_typeET2_T3_PNS13_IS18_E10value_typeET4_jRbjT5_S1E_jjP12ihipStream_tbEUljE_ZNSN_ISO_Lb0ESQ_SR_ST_SU_SY_EESZ_S10_S11_S12_S16_S17_S18_S1B_S1C_jS1D_jS1E_S1E_jjS1G_bEUljE0_EEESZ_S10_S11_S18_S1C_S1E_T6_T7_T9_mT8_S1G_bDpT10_ENKUlT_T0_E_clISt17integral_constantIbLb1EES1U_EEDaS1P_S1Q_EUlS1P_E_NS1_11comp_targetILNS1_3genE8ELNS1_11target_archE1030ELNS1_3gpuE2ELNS1_3repE0EEENS1_30default_config_static_selectorELNS0_4arch9wavefront6targetE1EEEvS12_,@function
_ZN7rocprim17ROCPRIM_400000_NS6detail17trampoline_kernelINS0_13select_configILj256ELj13ELNS0_17block_load_methodE3ELS4_3ELS4_3ELNS0_20block_scan_algorithmE0ELj4294967295EEENS1_25partition_config_selectorILNS1_17partition_subalgoE4EjNS0_10empty_typeEbEEZZNS1_14partition_implILS8_4ELb0ES6_15HIP_vector_typeIjLj2EENS0_17counting_iteratorIjlEEPS9_SG_NS0_5tupleIJPjSI_NS0_16reverse_iteratorISI_EEEEENSH_IJSG_SG_SG_EEES9_SI_JZNS1_25segmented_radix_sort_implINS0_14default_configELb0EPKdPdPKlPlN2at6native12_GLOBAL__N_18offset_tEEE10hipError_tPvRmT1_PNSt15iterator_traitsIS12_E10value_typeET2_T3_PNS13_IS18_E10value_typeET4_jRbjT5_S1E_jjP12ihipStream_tbEUljE_ZNSN_ISO_Lb0ESQ_SR_ST_SU_SY_EESZ_S10_S11_S12_S16_S17_S18_S1B_S1C_jS1D_jS1E_S1E_jjS1G_bEUljE0_EEESZ_S10_S11_S18_S1C_S1E_T6_T7_T9_mT8_S1G_bDpT10_ENKUlT_T0_E_clISt17integral_constantIbLb1EES1U_EEDaS1P_S1Q_EUlS1P_E_NS1_11comp_targetILNS1_3genE8ELNS1_11target_archE1030ELNS1_3gpuE2ELNS1_3repE0EEENS1_30default_config_static_selectorELNS0_4arch9wavefront6targetE1EEEvS12_: ; @_ZN7rocprim17ROCPRIM_400000_NS6detail17trampoline_kernelINS0_13select_configILj256ELj13ELNS0_17block_load_methodE3ELS4_3ELS4_3ELNS0_20block_scan_algorithmE0ELj4294967295EEENS1_25partition_config_selectorILNS1_17partition_subalgoE4EjNS0_10empty_typeEbEEZZNS1_14partition_implILS8_4ELb0ES6_15HIP_vector_typeIjLj2EENS0_17counting_iteratorIjlEEPS9_SG_NS0_5tupleIJPjSI_NS0_16reverse_iteratorISI_EEEEENSH_IJSG_SG_SG_EEES9_SI_JZNS1_25segmented_radix_sort_implINS0_14default_configELb0EPKdPdPKlPlN2at6native12_GLOBAL__N_18offset_tEEE10hipError_tPvRmT1_PNSt15iterator_traitsIS12_E10value_typeET2_T3_PNS13_IS18_E10value_typeET4_jRbjT5_S1E_jjP12ihipStream_tbEUljE_ZNSN_ISO_Lb0ESQ_SR_ST_SU_SY_EESZ_S10_S11_S12_S16_S17_S18_S1B_S1C_jS1D_jS1E_S1E_jjS1G_bEUljE0_EEESZ_S10_S11_S18_S1C_S1E_T6_T7_T9_mT8_S1G_bDpT10_ENKUlT_T0_E_clISt17integral_constantIbLb1EES1U_EEDaS1P_S1Q_EUlS1P_E_NS1_11comp_targetILNS1_3genE8ELNS1_11target_archE1030ELNS1_3gpuE2ELNS1_3repE0EEENS1_30default_config_static_selectorELNS0_4arch9wavefront6targetE1EEEvS12_
; %bb.0:
	.section	.rodata,"a",@progbits
	.p2align	6, 0x0
	.amdhsa_kernel _ZN7rocprim17ROCPRIM_400000_NS6detail17trampoline_kernelINS0_13select_configILj256ELj13ELNS0_17block_load_methodE3ELS4_3ELS4_3ELNS0_20block_scan_algorithmE0ELj4294967295EEENS1_25partition_config_selectorILNS1_17partition_subalgoE4EjNS0_10empty_typeEbEEZZNS1_14partition_implILS8_4ELb0ES6_15HIP_vector_typeIjLj2EENS0_17counting_iteratorIjlEEPS9_SG_NS0_5tupleIJPjSI_NS0_16reverse_iteratorISI_EEEEENSH_IJSG_SG_SG_EEES9_SI_JZNS1_25segmented_radix_sort_implINS0_14default_configELb0EPKdPdPKlPlN2at6native12_GLOBAL__N_18offset_tEEE10hipError_tPvRmT1_PNSt15iterator_traitsIS12_E10value_typeET2_T3_PNS13_IS18_E10value_typeET4_jRbjT5_S1E_jjP12ihipStream_tbEUljE_ZNSN_ISO_Lb0ESQ_SR_ST_SU_SY_EESZ_S10_S11_S12_S16_S17_S18_S1B_S1C_jS1D_jS1E_S1E_jjS1G_bEUljE0_EEESZ_S10_S11_S18_S1C_S1E_T6_T7_T9_mT8_S1G_bDpT10_ENKUlT_T0_E_clISt17integral_constantIbLb1EES1U_EEDaS1P_S1Q_EUlS1P_E_NS1_11comp_targetILNS1_3genE8ELNS1_11target_archE1030ELNS1_3gpuE2ELNS1_3repE0EEENS1_30default_config_static_selectorELNS0_4arch9wavefront6targetE1EEEvS12_
		.amdhsa_group_segment_fixed_size 0
		.amdhsa_private_segment_fixed_size 0
		.amdhsa_kernarg_size 184
		.amdhsa_user_sgpr_count 6
		.amdhsa_user_sgpr_private_segment_buffer 1
		.amdhsa_user_sgpr_dispatch_ptr 0
		.amdhsa_user_sgpr_queue_ptr 0
		.amdhsa_user_sgpr_kernarg_segment_ptr 1
		.amdhsa_user_sgpr_dispatch_id 0
		.amdhsa_user_sgpr_flat_scratch_init 0
		.amdhsa_user_sgpr_private_segment_size 0
		.amdhsa_uses_dynamic_stack 0
		.amdhsa_system_sgpr_private_segment_wavefront_offset 0
		.amdhsa_system_sgpr_workgroup_id_x 1
		.amdhsa_system_sgpr_workgroup_id_y 0
		.amdhsa_system_sgpr_workgroup_id_z 0
		.amdhsa_system_sgpr_workgroup_info 0
		.amdhsa_system_vgpr_workitem_id 0
		.amdhsa_next_free_vgpr 1
		.amdhsa_next_free_sgpr 0
		.amdhsa_reserve_vcc 0
		.amdhsa_reserve_flat_scratch 0
		.amdhsa_float_round_mode_32 0
		.amdhsa_float_round_mode_16_64 0
		.amdhsa_float_denorm_mode_32 3
		.amdhsa_float_denorm_mode_16_64 3
		.amdhsa_dx10_clamp 1
		.amdhsa_ieee_mode 1
		.amdhsa_fp16_overflow 0
		.amdhsa_exception_fp_ieee_invalid_op 0
		.amdhsa_exception_fp_denorm_src 0
		.amdhsa_exception_fp_ieee_div_zero 0
		.amdhsa_exception_fp_ieee_overflow 0
		.amdhsa_exception_fp_ieee_underflow 0
		.amdhsa_exception_fp_ieee_inexact 0
		.amdhsa_exception_int_div_zero 0
	.end_amdhsa_kernel
	.section	.text._ZN7rocprim17ROCPRIM_400000_NS6detail17trampoline_kernelINS0_13select_configILj256ELj13ELNS0_17block_load_methodE3ELS4_3ELS4_3ELNS0_20block_scan_algorithmE0ELj4294967295EEENS1_25partition_config_selectorILNS1_17partition_subalgoE4EjNS0_10empty_typeEbEEZZNS1_14partition_implILS8_4ELb0ES6_15HIP_vector_typeIjLj2EENS0_17counting_iteratorIjlEEPS9_SG_NS0_5tupleIJPjSI_NS0_16reverse_iteratorISI_EEEEENSH_IJSG_SG_SG_EEES9_SI_JZNS1_25segmented_radix_sort_implINS0_14default_configELb0EPKdPdPKlPlN2at6native12_GLOBAL__N_18offset_tEEE10hipError_tPvRmT1_PNSt15iterator_traitsIS12_E10value_typeET2_T3_PNS13_IS18_E10value_typeET4_jRbjT5_S1E_jjP12ihipStream_tbEUljE_ZNSN_ISO_Lb0ESQ_SR_ST_SU_SY_EESZ_S10_S11_S12_S16_S17_S18_S1B_S1C_jS1D_jS1E_S1E_jjS1G_bEUljE0_EEESZ_S10_S11_S18_S1C_S1E_T6_T7_T9_mT8_S1G_bDpT10_ENKUlT_T0_E_clISt17integral_constantIbLb1EES1U_EEDaS1P_S1Q_EUlS1P_E_NS1_11comp_targetILNS1_3genE8ELNS1_11target_archE1030ELNS1_3gpuE2ELNS1_3repE0EEENS1_30default_config_static_selectorELNS0_4arch9wavefront6targetE1EEEvS12_,"axG",@progbits,_ZN7rocprim17ROCPRIM_400000_NS6detail17trampoline_kernelINS0_13select_configILj256ELj13ELNS0_17block_load_methodE3ELS4_3ELS4_3ELNS0_20block_scan_algorithmE0ELj4294967295EEENS1_25partition_config_selectorILNS1_17partition_subalgoE4EjNS0_10empty_typeEbEEZZNS1_14partition_implILS8_4ELb0ES6_15HIP_vector_typeIjLj2EENS0_17counting_iteratorIjlEEPS9_SG_NS0_5tupleIJPjSI_NS0_16reverse_iteratorISI_EEEEENSH_IJSG_SG_SG_EEES9_SI_JZNS1_25segmented_radix_sort_implINS0_14default_configELb0EPKdPdPKlPlN2at6native12_GLOBAL__N_18offset_tEEE10hipError_tPvRmT1_PNSt15iterator_traitsIS12_E10value_typeET2_T3_PNS13_IS18_E10value_typeET4_jRbjT5_S1E_jjP12ihipStream_tbEUljE_ZNSN_ISO_Lb0ESQ_SR_ST_SU_SY_EESZ_S10_S11_S12_S16_S17_S18_S1B_S1C_jS1D_jS1E_S1E_jjS1G_bEUljE0_EEESZ_S10_S11_S18_S1C_S1E_T6_T7_T9_mT8_S1G_bDpT10_ENKUlT_T0_E_clISt17integral_constantIbLb1EES1U_EEDaS1P_S1Q_EUlS1P_E_NS1_11comp_targetILNS1_3genE8ELNS1_11target_archE1030ELNS1_3gpuE2ELNS1_3repE0EEENS1_30default_config_static_selectorELNS0_4arch9wavefront6targetE1EEEvS12_,comdat
.Lfunc_end1172:
	.size	_ZN7rocprim17ROCPRIM_400000_NS6detail17trampoline_kernelINS0_13select_configILj256ELj13ELNS0_17block_load_methodE3ELS4_3ELS4_3ELNS0_20block_scan_algorithmE0ELj4294967295EEENS1_25partition_config_selectorILNS1_17partition_subalgoE4EjNS0_10empty_typeEbEEZZNS1_14partition_implILS8_4ELb0ES6_15HIP_vector_typeIjLj2EENS0_17counting_iteratorIjlEEPS9_SG_NS0_5tupleIJPjSI_NS0_16reverse_iteratorISI_EEEEENSH_IJSG_SG_SG_EEES9_SI_JZNS1_25segmented_radix_sort_implINS0_14default_configELb0EPKdPdPKlPlN2at6native12_GLOBAL__N_18offset_tEEE10hipError_tPvRmT1_PNSt15iterator_traitsIS12_E10value_typeET2_T3_PNS13_IS18_E10value_typeET4_jRbjT5_S1E_jjP12ihipStream_tbEUljE_ZNSN_ISO_Lb0ESQ_SR_ST_SU_SY_EESZ_S10_S11_S12_S16_S17_S18_S1B_S1C_jS1D_jS1E_S1E_jjS1G_bEUljE0_EEESZ_S10_S11_S18_S1C_S1E_T6_T7_T9_mT8_S1G_bDpT10_ENKUlT_T0_E_clISt17integral_constantIbLb1EES1U_EEDaS1P_S1Q_EUlS1P_E_NS1_11comp_targetILNS1_3genE8ELNS1_11target_archE1030ELNS1_3gpuE2ELNS1_3repE0EEENS1_30default_config_static_selectorELNS0_4arch9wavefront6targetE1EEEvS12_, .Lfunc_end1172-_ZN7rocprim17ROCPRIM_400000_NS6detail17trampoline_kernelINS0_13select_configILj256ELj13ELNS0_17block_load_methodE3ELS4_3ELS4_3ELNS0_20block_scan_algorithmE0ELj4294967295EEENS1_25partition_config_selectorILNS1_17partition_subalgoE4EjNS0_10empty_typeEbEEZZNS1_14partition_implILS8_4ELb0ES6_15HIP_vector_typeIjLj2EENS0_17counting_iteratorIjlEEPS9_SG_NS0_5tupleIJPjSI_NS0_16reverse_iteratorISI_EEEEENSH_IJSG_SG_SG_EEES9_SI_JZNS1_25segmented_radix_sort_implINS0_14default_configELb0EPKdPdPKlPlN2at6native12_GLOBAL__N_18offset_tEEE10hipError_tPvRmT1_PNSt15iterator_traitsIS12_E10value_typeET2_T3_PNS13_IS18_E10value_typeET4_jRbjT5_S1E_jjP12ihipStream_tbEUljE_ZNSN_ISO_Lb0ESQ_SR_ST_SU_SY_EESZ_S10_S11_S12_S16_S17_S18_S1B_S1C_jS1D_jS1E_S1E_jjS1G_bEUljE0_EEESZ_S10_S11_S18_S1C_S1E_T6_T7_T9_mT8_S1G_bDpT10_ENKUlT_T0_E_clISt17integral_constantIbLb1EES1U_EEDaS1P_S1Q_EUlS1P_E_NS1_11comp_targetILNS1_3genE8ELNS1_11target_archE1030ELNS1_3gpuE2ELNS1_3repE0EEENS1_30default_config_static_selectorELNS0_4arch9wavefront6targetE1EEEvS12_
                                        ; -- End function
	.set _ZN7rocprim17ROCPRIM_400000_NS6detail17trampoline_kernelINS0_13select_configILj256ELj13ELNS0_17block_load_methodE3ELS4_3ELS4_3ELNS0_20block_scan_algorithmE0ELj4294967295EEENS1_25partition_config_selectorILNS1_17partition_subalgoE4EjNS0_10empty_typeEbEEZZNS1_14partition_implILS8_4ELb0ES6_15HIP_vector_typeIjLj2EENS0_17counting_iteratorIjlEEPS9_SG_NS0_5tupleIJPjSI_NS0_16reverse_iteratorISI_EEEEENSH_IJSG_SG_SG_EEES9_SI_JZNS1_25segmented_radix_sort_implINS0_14default_configELb0EPKdPdPKlPlN2at6native12_GLOBAL__N_18offset_tEEE10hipError_tPvRmT1_PNSt15iterator_traitsIS12_E10value_typeET2_T3_PNS13_IS18_E10value_typeET4_jRbjT5_S1E_jjP12ihipStream_tbEUljE_ZNSN_ISO_Lb0ESQ_SR_ST_SU_SY_EESZ_S10_S11_S12_S16_S17_S18_S1B_S1C_jS1D_jS1E_S1E_jjS1G_bEUljE0_EEESZ_S10_S11_S18_S1C_S1E_T6_T7_T9_mT8_S1G_bDpT10_ENKUlT_T0_E_clISt17integral_constantIbLb1EES1U_EEDaS1P_S1Q_EUlS1P_E_NS1_11comp_targetILNS1_3genE8ELNS1_11target_archE1030ELNS1_3gpuE2ELNS1_3repE0EEENS1_30default_config_static_selectorELNS0_4arch9wavefront6targetE1EEEvS12_.num_vgpr, 0
	.set _ZN7rocprim17ROCPRIM_400000_NS6detail17trampoline_kernelINS0_13select_configILj256ELj13ELNS0_17block_load_methodE3ELS4_3ELS4_3ELNS0_20block_scan_algorithmE0ELj4294967295EEENS1_25partition_config_selectorILNS1_17partition_subalgoE4EjNS0_10empty_typeEbEEZZNS1_14partition_implILS8_4ELb0ES6_15HIP_vector_typeIjLj2EENS0_17counting_iteratorIjlEEPS9_SG_NS0_5tupleIJPjSI_NS0_16reverse_iteratorISI_EEEEENSH_IJSG_SG_SG_EEES9_SI_JZNS1_25segmented_radix_sort_implINS0_14default_configELb0EPKdPdPKlPlN2at6native12_GLOBAL__N_18offset_tEEE10hipError_tPvRmT1_PNSt15iterator_traitsIS12_E10value_typeET2_T3_PNS13_IS18_E10value_typeET4_jRbjT5_S1E_jjP12ihipStream_tbEUljE_ZNSN_ISO_Lb0ESQ_SR_ST_SU_SY_EESZ_S10_S11_S12_S16_S17_S18_S1B_S1C_jS1D_jS1E_S1E_jjS1G_bEUljE0_EEESZ_S10_S11_S18_S1C_S1E_T6_T7_T9_mT8_S1G_bDpT10_ENKUlT_T0_E_clISt17integral_constantIbLb1EES1U_EEDaS1P_S1Q_EUlS1P_E_NS1_11comp_targetILNS1_3genE8ELNS1_11target_archE1030ELNS1_3gpuE2ELNS1_3repE0EEENS1_30default_config_static_selectorELNS0_4arch9wavefront6targetE1EEEvS12_.num_agpr, 0
	.set _ZN7rocprim17ROCPRIM_400000_NS6detail17trampoline_kernelINS0_13select_configILj256ELj13ELNS0_17block_load_methodE3ELS4_3ELS4_3ELNS0_20block_scan_algorithmE0ELj4294967295EEENS1_25partition_config_selectorILNS1_17partition_subalgoE4EjNS0_10empty_typeEbEEZZNS1_14partition_implILS8_4ELb0ES6_15HIP_vector_typeIjLj2EENS0_17counting_iteratorIjlEEPS9_SG_NS0_5tupleIJPjSI_NS0_16reverse_iteratorISI_EEEEENSH_IJSG_SG_SG_EEES9_SI_JZNS1_25segmented_radix_sort_implINS0_14default_configELb0EPKdPdPKlPlN2at6native12_GLOBAL__N_18offset_tEEE10hipError_tPvRmT1_PNSt15iterator_traitsIS12_E10value_typeET2_T3_PNS13_IS18_E10value_typeET4_jRbjT5_S1E_jjP12ihipStream_tbEUljE_ZNSN_ISO_Lb0ESQ_SR_ST_SU_SY_EESZ_S10_S11_S12_S16_S17_S18_S1B_S1C_jS1D_jS1E_S1E_jjS1G_bEUljE0_EEESZ_S10_S11_S18_S1C_S1E_T6_T7_T9_mT8_S1G_bDpT10_ENKUlT_T0_E_clISt17integral_constantIbLb1EES1U_EEDaS1P_S1Q_EUlS1P_E_NS1_11comp_targetILNS1_3genE8ELNS1_11target_archE1030ELNS1_3gpuE2ELNS1_3repE0EEENS1_30default_config_static_selectorELNS0_4arch9wavefront6targetE1EEEvS12_.numbered_sgpr, 0
	.set _ZN7rocprim17ROCPRIM_400000_NS6detail17trampoline_kernelINS0_13select_configILj256ELj13ELNS0_17block_load_methodE3ELS4_3ELS4_3ELNS0_20block_scan_algorithmE0ELj4294967295EEENS1_25partition_config_selectorILNS1_17partition_subalgoE4EjNS0_10empty_typeEbEEZZNS1_14partition_implILS8_4ELb0ES6_15HIP_vector_typeIjLj2EENS0_17counting_iteratorIjlEEPS9_SG_NS0_5tupleIJPjSI_NS0_16reverse_iteratorISI_EEEEENSH_IJSG_SG_SG_EEES9_SI_JZNS1_25segmented_radix_sort_implINS0_14default_configELb0EPKdPdPKlPlN2at6native12_GLOBAL__N_18offset_tEEE10hipError_tPvRmT1_PNSt15iterator_traitsIS12_E10value_typeET2_T3_PNS13_IS18_E10value_typeET4_jRbjT5_S1E_jjP12ihipStream_tbEUljE_ZNSN_ISO_Lb0ESQ_SR_ST_SU_SY_EESZ_S10_S11_S12_S16_S17_S18_S1B_S1C_jS1D_jS1E_S1E_jjS1G_bEUljE0_EEESZ_S10_S11_S18_S1C_S1E_T6_T7_T9_mT8_S1G_bDpT10_ENKUlT_T0_E_clISt17integral_constantIbLb1EES1U_EEDaS1P_S1Q_EUlS1P_E_NS1_11comp_targetILNS1_3genE8ELNS1_11target_archE1030ELNS1_3gpuE2ELNS1_3repE0EEENS1_30default_config_static_selectorELNS0_4arch9wavefront6targetE1EEEvS12_.num_named_barrier, 0
	.set _ZN7rocprim17ROCPRIM_400000_NS6detail17trampoline_kernelINS0_13select_configILj256ELj13ELNS0_17block_load_methodE3ELS4_3ELS4_3ELNS0_20block_scan_algorithmE0ELj4294967295EEENS1_25partition_config_selectorILNS1_17partition_subalgoE4EjNS0_10empty_typeEbEEZZNS1_14partition_implILS8_4ELb0ES6_15HIP_vector_typeIjLj2EENS0_17counting_iteratorIjlEEPS9_SG_NS0_5tupleIJPjSI_NS0_16reverse_iteratorISI_EEEEENSH_IJSG_SG_SG_EEES9_SI_JZNS1_25segmented_radix_sort_implINS0_14default_configELb0EPKdPdPKlPlN2at6native12_GLOBAL__N_18offset_tEEE10hipError_tPvRmT1_PNSt15iterator_traitsIS12_E10value_typeET2_T3_PNS13_IS18_E10value_typeET4_jRbjT5_S1E_jjP12ihipStream_tbEUljE_ZNSN_ISO_Lb0ESQ_SR_ST_SU_SY_EESZ_S10_S11_S12_S16_S17_S18_S1B_S1C_jS1D_jS1E_S1E_jjS1G_bEUljE0_EEESZ_S10_S11_S18_S1C_S1E_T6_T7_T9_mT8_S1G_bDpT10_ENKUlT_T0_E_clISt17integral_constantIbLb1EES1U_EEDaS1P_S1Q_EUlS1P_E_NS1_11comp_targetILNS1_3genE8ELNS1_11target_archE1030ELNS1_3gpuE2ELNS1_3repE0EEENS1_30default_config_static_selectorELNS0_4arch9wavefront6targetE1EEEvS12_.private_seg_size, 0
	.set _ZN7rocprim17ROCPRIM_400000_NS6detail17trampoline_kernelINS0_13select_configILj256ELj13ELNS0_17block_load_methodE3ELS4_3ELS4_3ELNS0_20block_scan_algorithmE0ELj4294967295EEENS1_25partition_config_selectorILNS1_17partition_subalgoE4EjNS0_10empty_typeEbEEZZNS1_14partition_implILS8_4ELb0ES6_15HIP_vector_typeIjLj2EENS0_17counting_iteratorIjlEEPS9_SG_NS0_5tupleIJPjSI_NS0_16reverse_iteratorISI_EEEEENSH_IJSG_SG_SG_EEES9_SI_JZNS1_25segmented_radix_sort_implINS0_14default_configELb0EPKdPdPKlPlN2at6native12_GLOBAL__N_18offset_tEEE10hipError_tPvRmT1_PNSt15iterator_traitsIS12_E10value_typeET2_T3_PNS13_IS18_E10value_typeET4_jRbjT5_S1E_jjP12ihipStream_tbEUljE_ZNSN_ISO_Lb0ESQ_SR_ST_SU_SY_EESZ_S10_S11_S12_S16_S17_S18_S1B_S1C_jS1D_jS1E_S1E_jjS1G_bEUljE0_EEESZ_S10_S11_S18_S1C_S1E_T6_T7_T9_mT8_S1G_bDpT10_ENKUlT_T0_E_clISt17integral_constantIbLb1EES1U_EEDaS1P_S1Q_EUlS1P_E_NS1_11comp_targetILNS1_3genE8ELNS1_11target_archE1030ELNS1_3gpuE2ELNS1_3repE0EEENS1_30default_config_static_selectorELNS0_4arch9wavefront6targetE1EEEvS12_.uses_vcc, 0
	.set _ZN7rocprim17ROCPRIM_400000_NS6detail17trampoline_kernelINS0_13select_configILj256ELj13ELNS0_17block_load_methodE3ELS4_3ELS4_3ELNS0_20block_scan_algorithmE0ELj4294967295EEENS1_25partition_config_selectorILNS1_17partition_subalgoE4EjNS0_10empty_typeEbEEZZNS1_14partition_implILS8_4ELb0ES6_15HIP_vector_typeIjLj2EENS0_17counting_iteratorIjlEEPS9_SG_NS0_5tupleIJPjSI_NS0_16reverse_iteratorISI_EEEEENSH_IJSG_SG_SG_EEES9_SI_JZNS1_25segmented_radix_sort_implINS0_14default_configELb0EPKdPdPKlPlN2at6native12_GLOBAL__N_18offset_tEEE10hipError_tPvRmT1_PNSt15iterator_traitsIS12_E10value_typeET2_T3_PNS13_IS18_E10value_typeET4_jRbjT5_S1E_jjP12ihipStream_tbEUljE_ZNSN_ISO_Lb0ESQ_SR_ST_SU_SY_EESZ_S10_S11_S12_S16_S17_S18_S1B_S1C_jS1D_jS1E_S1E_jjS1G_bEUljE0_EEESZ_S10_S11_S18_S1C_S1E_T6_T7_T9_mT8_S1G_bDpT10_ENKUlT_T0_E_clISt17integral_constantIbLb1EES1U_EEDaS1P_S1Q_EUlS1P_E_NS1_11comp_targetILNS1_3genE8ELNS1_11target_archE1030ELNS1_3gpuE2ELNS1_3repE0EEENS1_30default_config_static_selectorELNS0_4arch9wavefront6targetE1EEEvS12_.uses_flat_scratch, 0
	.set _ZN7rocprim17ROCPRIM_400000_NS6detail17trampoline_kernelINS0_13select_configILj256ELj13ELNS0_17block_load_methodE3ELS4_3ELS4_3ELNS0_20block_scan_algorithmE0ELj4294967295EEENS1_25partition_config_selectorILNS1_17partition_subalgoE4EjNS0_10empty_typeEbEEZZNS1_14partition_implILS8_4ELb0ES6_15HIP_vector_typeIjLj2EENS0_17counting_iteratorIjlEEPS9_SG_NS0_5tupleIJPjSI_NS0_16reverse_iteratorISI_EEEEENSH_IJSG_SG_SG_EEES9_SI_JZNS1_25segmented_radix_sort_implINS0_14default_configELb0EPKdPdPKlPlN2at6native12_GLOBAL__N_18offset_tEEE10hipError_tPvRmT1_PNSt15iterator_traitsIS12_E10value_typeET2_T3_PNS13_IS18_E10value_typeET4_jRbjT5_S1E_jjP12ihipStream_tbEUljE_ZNSN_ISO_Lb0ESQ_SR_ST_SU_SY_EESZ_S10_S11_S12_S16_S17_S18_S1B_S1C_jS1D_jS1E_S1E_jjS1G_bEUljE0_EEESZ_S10_S11_S18_S1C_S1E_T6_T7_T9_mT8_S1G_bDpT10_ENKUlT_T0_E_clISt17integral_constantIbLb1EES1U_EEDaS1P_S1Q_EUlS1P_E_NS1_11comp_targetILNS1_3genE8ELNS1_11target_archE1030ELNS1_3gpuE2ELNS1_3repE0EEENS1_30default_config_static_selectorELNS0_4arch9wavefront6targetE1EEEvS12_.has_dyn_sized_stack, 0
	.set _ZN7rocprim17ROCPRIM_400000_NS6detail17trampoline_kernelINS0_13select_configILj256ELj13ELNS0_17block_load_methodE3ELS4_3ELS4_3ELNS0_20block_scan_algorithmE0ELj4294967295EEENS1_25partition_config_selectorILNS1_17partition_subalgoE4EjNS0_10empty_typeEbEEZZNS1_14partition_implILS8_4ELb0ES6_15HIP_vector_typeIjLj2EENS0_17counting_iteratorIjlEEPS9_SG_NS0_5tupleIJPjSI_NS0_16reverse_iteratorISI_EEEEENSH_IJSG_SG_SG_EEES9_SI_JZNS1_25segmented_radix_sort_implINS0_14default_configELb0EPKdPdPKlPlN2at6native12_GLOBAL__N_18offset_tEEE10hipError_tPvRmT1_PNSt15iterator_traitsIS12_E10value_typeET2_T3_PNS13_IS18_E10value_typeET4_jRbjT5_S1E_jjP12ihipStream_tbEUljE_ZNSN_ISO_Lb0ESQ_SR_ST_SU_SY_EESZ_S10_S11_S12_S16_S17_S18_S1B_S1C_jS1D_jS1E_S1E_jjS1G_bEUljE0_EEESZ_S10_S11_S18_S1C_S1E_T6_T7_T9_mT8_S1G_bDpT10_ENKUlT_T0_E_clISt17integral_constantIbLb1EES1U_EEDaS1P_S1Q_EUlS1P_E_NS1_11comp_targetILNS1_3genE8ELNS1_11target_archE1030ELNS1_3gpuE2ELNS1_3repE0EEENS1_30default_config_static_selectorELNS0_4arch9wavefront6targetE1EEEvS12_.has_recursion, 0
	.set _ZN7rocprim17ROCPRIM_400000_NS6detail17trampoline_kernelINS0_13select_configILj256ELj13ELNS0_17block_load_methodE3ELS4_3ELS4_3ELNS0_20block_scan_algorithmE0ELj4294967295EEENS1_25partition_config_selectorILNS1_17partition_subalgoE4EjNS0_10empty_typeEbEEZZNS1_14partition_implILS8_4ELb0ES6_15HIP_vector_typeIjLj2EENS0_17counting_iteratorIjlEEPS9_SG_NS0_5tupleIJPjSI_NS0_16reverse_iteratorISI_EEEEENSH_IJSG_SG_SG_EEES9_SI_JZNS1_25segmented_radix_sort_implINS0_14default_configELb0EPKdPdPKlPlN2at6native12_GLOBAL__N_18offset_tEEE10hipError_tPvRmT1_PNSt15iterator_traitsIS12_E10value_typeET2_T3_PNS13_IS18_E10value_typeET4_jRbjT5_S1E_jjP12ihipStream_tbEUljE_ZNSN_ISO_Lb0ESQ_SR_ST_SU_SY_EESZ_S10_S11_S12_S16_S17_S18_S1B_S1C_jS1D_jS1E_S1E_jjS1G_bEUljE0_EEESZ_S10_S11_S18_S1C_S1E_T6_T7_T9_mT8_S1G_bDpT10_ENKUlT_T0_E_clISt17integral_constantIbLb1EES1U_EEDaS1P_S1Q_EUlS1P_E_NS1_11comp_targetILNS1_3genE8ELNS1_11target_archE1030ELNS1_3gpuE2ELNS1_3repE0EEENS1_30default_config_static_selectorELNS0_4arch9wavefront6targetE1EEEvS12_.has_indirect_call, 0
	.section	.AMDGPU.csdata,"",@progbits
; Kernel info:
; codeLenInByte = 0
; TotalNumSgprs: 4
; NumVgprs: 0
; ScratchSize: 0
; MemoryBound: 0
; FloatMode: 240
; IeeeMode: 1
; LDSByteSize: 0 bytes/workgroup (compile time only)
; SGPRBlocks: 0
; VGPRBlocks: 0
; NumSGPRsForWavesPerEU: 4
; NumVGPRsForWavesPerEU: 1
; Occupancy: 10
; WaveLimiterHint : 0
; COMPUTE_PGM_RSRC2:SCRATCH_EN: 0
; COMPUTE_PGM_RSRC2:USER_SGPR: 6
; COMPUTE_PGM_RSRC2:TRAP_HANDLER: 0
; COMPUTE_PGM_RSRC2:TGID_X_EN: 1
; COMPUTE_PGM_RSRC2:TGID_Y_EN: 0
; COMPUTE_PGM_RSRC2:TGID_Z_EN: 0
; COMPUTE_PGM_RSRC2:TIDIG_COMP_CNT: 0
	.section	.text._ZN7rocprim17ROCPRIM_400000_NS6detail17trampoline_kernelINS0_13select_configILj256ELj13ELNS0_17block_load_methodE3ELS4_3ELS4_3ELNS0_20block_scan_algorithmE0ELj4294967295EEENS1_25partition_config_selectorILNS1_17partition_subalgoE4EjNS0_10empty_typeEbEEZZNS1_14partition_implILS8_4ELb0ES6_15HIP_vector_typeIjLj2EENS0_17counting_iteratorIjlEEPS9_SG_NS0_5tupleIJPjSI_NS0_16reverse_iteratorISI_EEEEENSH_IJSG_SG_SG_EEES9_SI_JZNS1_25segmented_radix_sort_implINS0_14default_configELb0EPKdPdPKlPlN2at6native12_GLOBAL__N_18offset_tEEE10hipError_tPvRmT1_PNSt15iterator_traitsIS12_E10value_typeET2_T3_PNS13_IS18_E10value_typeET4_jRbjT5_S1E_jjP12ihipStream_tbEUljE_ZNSN_ISO_Lb0ESQ_SR_ST_SU_SY_EESZ_S10_S11_S12_S16_S17_S18_S1B_S1C_jS1D_jS1E_S1E_jjS1G_bEUljE0_EEESZ_S10_S11_S18_S1C_S1E_T6_T7_T9_mT8_S1G_bDpT10_ENKUlT_T0_E_clISt17integral_constantIbLb1EES1T_IbLb0EEEEDaS1P_S1Q_EUlS1P_E_NS1_11comp_targetILNS1_3genE0ELNS1_11target_archE4294967295ELNS1_3gpuE0ELNS1_3repE0EEENS1_30default_config_static_selectorELNS0_4arch9wavefront6targetE1EEEvS12_,"axG",@progbits,_ZN7rocprim17ROCPRIM_400000_NS6detail17trampoline_kernelINS0_13select_configILj256ELj13ELNS0_17block_load_methodE3ELS4_3ELS4_3ELNS0_20block_scan_algorithmE0ELj4294967295EEENS1_25partition_config_selectorILNS1_17partition_subalgoE4EjNS0_10empty_typeEbEEZZNS1_14partition_implILS8_4ELb0ES6_15HIP_vector_typeIjLj2EENS0_17counting_iteratorIjlEEPS9_SG_NS0_5tupleIJPjSI_NS0_16reverse_iteratorISI_EEEEENSH_IJSG_SG_SG_EEES9_SI_JZNS1_25segmented_radix_sort_implINS0_14default_configELb0EPKdPdPKlPlN2at6native12_GLOBAL__N_18offset_tEEE10hipError_tPvRmT1_PNSt15iterator_traitsIS12_E10value_typeET2_T3_PNS13_IS18_E10value_typeET4_jRbjT5_S1E_jjP12ihipStream_tbEUljE_ZNSN_ISO_Lb0ESQ_SR_ST_SU_SY_EESZ_S10_S11_S12_S16_S17_S18_S1B_S1C_jS1D_jS1E_S1E_jjS1G_bEUljE0_EEESZ_S10_S11_S18_S1C_S1E_T6_T7_T9_mT8_S1G_bDpT10_ENKUlT_T0_E_clISt17integral_constantIbLb1EES1T_IbLb0EEEEDaS1P_S1Q_EUlS1P_E_NS1_11comp_targetILNS1_3genE0ELNS1_11target_archE4294967295ELNS1_3gpuE0ELNS1_3repE0EEENS1_30default_config_static_selectorELNS0_4arch9wavefront6targetE1EEEvS12_,comdat
	.globl	_ZN7rocprim17ROCPRIM_400000_NS6detail17trampoline_kernelINS0_13select_configILj256ELj13ELNS0_17block_load_methodE3ELS4_3ELS4_3ELNS0_20block_scan_algorithmE0ELj4294967295EEENS1_25partition_config_selectorILNS1_17partition_subalgoE4EjNS0_10empty_typeEbEEZZNS1_14partition_implILS8_4ELb0ES6_15HIP_vector_typeIjLj2EENS0_17counting_iteratorIjlEEPS9_SG_NS0_5tupleIJPjSI_NS0_16reverse_iteratorISI_EEEEENSH_IJSG_SG_SG_EEES9_SI_JZNS1_25segmented_radix_sort_implINS0_14default_configELb0EPKdPdPKlPlN2at6native12_GLOBAL__N_18offset_tEEE10hipError_tPvRmT1_PNSt15iterator_traitsIS12_E10value_typeET2_T3_PNS13_IS18_E10value_typeET4_jRbjT5_S1E_jjP12ihipStream_tbEUljE_ZNSN_ISO_Lb0ESQ_SR_ST_SU_SY_EESZ_S10_S11_S12_S16_S17_S18_S1B_S1C_jS1D_jS1E_S1E_jjS1G_bEUljE0_EEESZ_S10_S11_S18_S1C_S1E_T6_T7_T9_mT8_S1G_bDpT10_ENKUlT_T0_E_clISt17integral_constantIbLb1EES1T_IbLb0EEEEDaS1P_S1Q_EUlS1P_E_NS1_11comp_targetILNS1_3genE0ELNS1_11target_archE4294967295ELNS1_3gpuE0ELNS1_3repE0EEENS1_30default_config_static_selectorELNS0_4arch9wavefront6targetE1EEEvS12_ ; -- Begin function _ZN7rocprim17ROCPRIM_400000_NS6detail17trampoline_kernelINS0_13select_configILj256ELj13ELNS0_17block_load_methodE3ELS4_3ELS4_3ELNS0_20block_scan_algorithmE0ELj4294967295EEENS1_25partition_config_selectorILNS1_17partition_subalgoE4EjNS0_10empty_typeEbEEZZNS1_14partition_implILS8_4ELb0ES6_15HIP_vector_typeIjLj2EENS0_17counting_iteratorIjlEEPS9_SG_NS0_5tupleIJPjSI_NS0_16reverse_iteratorISI_EEEEENSH_IJSG_SG_SG_EEES9_SI_JZNS1_25segmented_radix_sort_implINS0_14default_configELb0EPKdPdPKlPlN2at6native12_GLOBAL__N_18offset_tEEE10hipError_tPvRmT1_PNSt15iterator_traitsIS12_E10value_typeET2_T3_PNS13_IS18_E10value_typeET4_jRbjT5_S1E_jjP12ihipStream_tbEUljE_ZNSN_ISO_Lb0ESQ_SR_ST_SU_SY_EESZ_S10_S11_S12_S16_S17_S18_S1B_S1C_jS1D_jS1E_S1E_jjS1G_bEUljE0_EEESZ_S10_S11_S18_S1C_S1E_T6_T7_T9_mT8_S1G_bDpT10_ENKUlT_T0_E_clISt17integral_constantIbLb1EES1T_IbLb0EEEEDaS1P_S1Q_EUlS1P_E_NS1_11comp_targetILNS1_3genE0ELNS1_11target_archE4294967295ELNS1_3gpuE0ELNS1_3repE0EEENS1_30default_config_static_selectorELNS0_4arch9wavefront6targetE1EEEvS12_
	.p2align	8
	.type	_ZN7rocprim17ROCPRIM_400000_NS6detail17trampoline_kernelINS0_13select_configILj256ELj13ELNS0_17block_load_methodE3ELS4_3ELS4_3ELNS0_20block_scan_algorithmE0ELj4294967295EEENS1_25partition_config_selectorILNS1_17partition_subalgoE4EjNS0_10empty_typeEbEEZZNS1_14partition_implILS8_4ELb0ES6_15HIP_vector_typeIjLj2EENS0_17counting_iteratorIjlEEPS9_SG_NS0_5tupleIJPjSI_NS0_16reverse_iteratorISI_EEEEENSH_IJSG_SG_SG_EEES9_SI_JZNS1_25segmented_radix_sort_implINS0_14default_configELb0EPKdPdPKlPlN2at6native12_GLOBAL__N_18offset_tEEE10hipError_tPvRmT1_PNSt15iterator_traitsIS12_E10value_typeET2_T3_PNS13_IS18_E10value_typeET4_jRbjT5_S1E_jjP12ihipStream_tbEUljE_ZNSN_ISO_Lb0ESQ_SR_ST_SU_SY_EESZ_S10_S11_S12_S16_S17_S18_S1B_S1C_jS1D_jS1E_S1E_jjS1G_bEUljE0_EEESZ_S10_S11_S18_S1C_S1E_T6_T7_T9_mT8_S1G_bDpT10_ENKUlT_T0_E_clISt17integral_constantIbLb1EES1T_IbLb0EEEEDaS1P_S1Q_EUlS1P_E_NS1_11comp_targetILNS1_3genE0ELNS1_11target_archE4294967295ELNS1_3gpuE0ELNS1_3repE0EEENS1_30default_config_static_selectorELNS0_4arch9wavefront6targetE1EEEvS12_,@function
_ZN7rocprim17ROCPRIM_400000_NS6detail17trampoline_kernelINS0_13select_configILj256ELj13ELNS0_17block_load_methodE3ELS4_3ELS4_3ELNS0_20block_scan_algorithmE0ELj4294967295EEENS1_25partition_config_selectorILNS1_17partition_subalgoE4EjNS0_10empty_typeEbEEZZNS1_14partition_implILS8_4ELb0ES6_15HIP_vector_typeIjLj2EENS0_17counting_iteratorIjlEEPS9_SG_NS0_5tupleIJPjSI_NS0_16reverse_iteratorISI_EEEEENSH_IJSG_SG_SG_EEES9_SI_JZNS1_25segmented_radix_sort_implINS0_14default_configELb0EPKdPdPKlPlN2at6native12_GLOBAL__N_18offset_tEEE10hipError_tPvRmT1_PNSt15iterator_traitsIS12_E10value_typeET2_T3_PNS13_IS18_E10value_typeET4_jRbjT5_S1E_jjP12ihipStream_tbEUljE_ZNSN_ISO_Lb0ESQ_SR_ST_SU_SY_EESZ_S10_S11_S12_S16_S17_S18_S1B_S1C_jS1D_jS1E_S1E_jjS1G_bEUljE0_EEESZ_S10_S11_S18_S1C_S1E_T6_T7_T9_mT8_S1G_bDpT10_ENKUlT_T0_E_clISt17integral_constantIbLb1EES1T_IbLb0EEEEDaS1P_S1Q_EUlS1P_E_NS1_11comp_targetILNS1_3genE0ELNS1_11target_archE4294967295ELNS1_3gpuE0ELNS1_3repE0EEENS1_30default_config_static_selectorELNS0_4arch9wavefront6targetE1EEEvS12_: ; @_ZN7rocprim17ROCPRIM_400000_NS6detail17trampoline_kernelINS0_13select_configILj256ELj13ELNS0_17block_load_methodE3ELS4_3ELS4_3ELNS0_20block_scan_algorithmE0ELj4294967295EEENS1_25partition_config_selectorILNS1_17partition_subalgoE4EjNS0_10empty_typeEbEEZZNS1_14partition_implILS8_4ELb0ES6_15HIP_vector_typeIjLj2EENS0_17counting_iteratorIjlEEPS9_SG_NS0_5tupleIJPjSI_NS0_16reverse_iteratorISI_EEEEENSH_IJSG_SG_SG_EEES9_SI_JZNS1_25segmented_radix_sort_implINS0_14default_configELb0EPKdPdPKlPlN2at6native12_GLOBAL__N_18offset_tEEE10hipError_tPvRmT1_PNSt15iterator_traitsIS12_E10value_typeET2_T3_PNS13_IS18_E10value_typeET4_jRbjT5_S1E_jjP12ihipStream_tbEUljE_ZNSN_ISO_Lb0ESQ_SR_ST_SU_SY_EESZ_S10_S11_S12_S16_S17_S18_S1B_S1C_jS1D_jS1E_S1E_jjS1G_bEUljE0_EEESZ_S10_S11_S18_S1C_S1E_T6_T7_T9_mT8_S1G_bDpT10_ENKUlT_T0_E_clISt17integral_constantIbLb1EES1T_IbLb0EEEEDaS1P_S1Q_EUlS1P_E_NS1_11comp_targetILNS1_3genE0ELNS1_11target_archE4294967295ELNS1_3gpuE0ELNS1_3repE0EEENS1_30default_config_static_selectorELNS0_4arch9wavefront6targetE1EEEvS12_
; %bb.0:
	.section	.rodata,"a",@progbits
	.p2align	6, 0x0
	.amdhsa_kernel _ZN7rocprim17ROCPRIM_400000_NS6detail17trampoline_kernelINS0_13select_configILj256ELj13ELNS0_17block_load_methodE3ELS4_3ELS4_3ELNS0_20block_scan_algorithmE0ELj4294967295EEENS1_25partition_config_selectorILNS1_17partition_subalgoE4EjNS0_10empty_typeEbEEZZNS1_14partition_implILS8_4ELb0ES6_15HIP_vector_typeIjLj2EENS0_17counting_iteratorIjlEEPS9_SG_NS0_5tupleIJPjSI_NS0_16reverse_iteratorISI_EEEEENSH_IJSG_SG_SG_EEES9_SI_JZNS1_25segmented_radix_sort_implINS0_14default_configELb0EPKdPdPKlPlN2at6native12_GLOBAL__N_18offset_tEEE10hipError_tPvRmT1_PNSt15iterator_traitsIS12_E10value_typeET2_T3_PNS13_IS18_E10value_typeET4_jRbjT5_S1E_jjP12ihipStream_tbEUljE_ZNSN_ISO_Lb0ESQ_SR_ST_SU_SY_EESZ_S10_S11_S12_S16_S17_S18_S1B_S1C_jS1D_jS1E_S1E_jjS1G_bEUljE0_EEESZ_S10_S11_S18_S1C_S1E_T6_T7_T9_mT8_S1G_bDpT10_ENKUlT_T0_E_clISt17integral_constantIbLb1EES1T_IbLb0EEEEDaS1P_S1Q_EUlS1P_E_NS1_11comp_targetILNS1_3genE0ELNS1_11target_archE4294967295ELNS1_3gpuE0ELNS1_3repE0EEENS1_30default_config_static_selectorELNS0_4arch9wavefront6targetE1EEEvS12_
		.amdhsa_group_segment_fixed_size 0
		.amdhsa_private_segment_fixed_size 0
		.amdhsa_kernarg_size 176
		.amdhsa_user_sgpr_count 6
		.amdhsa_user_sgpr_private_segment_buffer 1
		.amdhsa_user_sgpr_dispatch_ptr 0
		.amdhsa_user_sgpr_queue_ptr 0
		.amdhsa_user_sgpr_kernarg_segment_ptr 1
		.amdhsa_user_sgpr_dispatch_id 0
		.amdhsa_user_sgpr_flat_scratch_init 0
		.amdhsa_user_sgpr_private_segment_size 0
		.amdhsa_uses_dynamic_stack 0
		.amdhsa_system_sgpr_private_segment_wavefront_offset 0
		.amdhsa_system_sgpr_workgroup_id_x 1
		.amdhsa_system_sgpr_workgroup_id_y 0
		.amdhsa_system_sgpr_workgroup_id_z 0
		.amdhsa_system_sgpr_workgroup_info 0
		.amdhsa_system_vgpr_workitem_id 0
		.amdhsa_next_free_vgpr 1
		.amdhsa_next_free_sgpr 0
		.amdhsa_reserve_vcc 0
		.amdhsa_reserve_flat_scratch 0
		.amdhsa_float_round_mode_32 0
		.amdhsa_float_round_mode_16_64 0
		.amdhsa_float_denorm_mode_32 3
		.amdhsa_float_denorm_mode_16_64 3
		.amdhsa_dx10_clamp 1
		.amdhsa_ieee_mode 1
		.amdhsa_fp16_overflow 0
		.amdhsa_exception_fp_ieee_invalid_op 0
		.amdhsa_exception_fp_denorm_src 0
		.amdhsa_exception_fp_ieee_div_zero 0
		.amdhsa_exception_fp_ieee_overflow 0
		.amdhsa_exception_fp_ieee_underflow 0
		.amdhsa_exception_fp_ieee_inexact 0
		.amdhsa_exception_int_div_zero 0
	.end_amdhsa_kernel
	.section	.text._ZN7rocprim17ROCPRIM_400000_NS6detail17trampoline_kernelINS0_13select_configILj256ELj13ELNS0_17block_load_methodE3ELS4_3ELS4_3ELNS0_20block_scan_algorithmE0ELj4294967295EEENS1_25partition_config_selectorILNS1_17partition_subalgoE4EjNS0_10empty_typeEbEEZZNS1_14partition_implILS8_4ELb0ES6_15HIP_vector_typeIjLj2EENS0_17counting_iteratorIjlEEPS9_SG_NS0_5tupleIJPjSI_NS0_16reverse_iteratorISI_EEEEENSH_IJSG_SG_SG_EEES9_SI_JZNS1_25segmented_radix_sort_implINS0_14default_configELb0EPKdPdPKlPlN2at6native12_GLOBAL__N_18offset_tEEE10hipError_tPvRmT1_PNSt15iterator_traitsIS12_E10value_typeET2_T3_PNS13_IS18_E10value_typeET4_jRbjT5_S1E_jjP12ihipStream_tbEUljE_ZNSN_ISO_Lb0ESQ_SR_ST_SU_SY_EESZ_S10_S11_S12_S16_S17_S18_S1B_S1C_jS1D_jS1E_S1E_jjS1G_bEUljE0_EEESZ_S10_S11_S18_S1C_S1E_T6_T7_T9_mT8_S1G_bDpT10_ENKUlT_T0_E_clISt17integral_constantIbLb1EES1T_IbLb0EEEEDaS1P_S1Q_EUlS1P_E_NS1_11comp_targetILNS1_3genE0ELNS1_11target_archE4294967295ELNS1_3gpuE0ELNS1_3repE0EEENS1_30default_config_static_selectorELNS0_4arch9wavefront6targetE1EEEvS12_,"axG",@progbits,_ZN7rocprim17ROCPRIM_400000_NS6detail17trampoline_kernelINS0_13select_configILj256ELj13ELNS0_17block_load_methodE3ELS4_3ELS4_3ELNS0_20block_scan_algorithmE0ELj4294967295EEENS1_25partition_config_selectorILNS1_17partition_subalgoE4EjNS0_10empty_typeEbEEZZNS1_14partition_implILS8_4ELb0ES6_15HIP_vector_typeIjLj2EENS0_17counting_iteratorIjlEEPS9_SG_NS0_5tupleIJPjSI_NS0_16reverse_iteratorISI_EEEEENSH_IJSG_SG_SG_EEES9_SI_JZNS1_25segmented_radix_sort_implINS0_14default_configELb0EPKdPdPKlPlN2at6native12_GLOBAL__N_18offset_tEEE10hipError_tPvRmT1_PNSt15iterator_traitsIS12_E10value_typeET2_T3_PNS13_IS18_E10value_typeET4_jRbjT5_S1E_jjP12ihipStream_tbEUljE_ZNSN_ISO_Lb0ESQ_SR_ST_SU_SY_EESZ_S10_S11_S12_S16_S17_S18_S1B_S1C_jS1D_jS1E_S1E_jjS1G_bEUljE0_EEESZ_S10_S11_S18_S1C_S1E_T6_T7_T9_mT8_S1G_bDpT10_ENKUlT_T0_E_clISt17integral_constantIbLb1EES1T_IbLb0EEEEDaS1P_S1Q_EUlS1P_E_NS1_11comp_targetILNS1_3genE0ELNS1_11target_archE4294967295ELNS1_3gpuE0ELNS1_3repE0EEENS1_30default_config_static_selectorELNS0_4arch9wavefront6targetE1EEEvS12_,comdat
.Lfunc_end1173:
	.size	_ZN7rocprim17ROCPRIM_400000_NS6detail17trampoline_kernelINS0_13select_configILj256ELj13ELNS0_17block_load_methodE3ELS4_3ELS4_3ELNS0_20block_scan_algorithmE0ELj4294967295EEENS1_25partition_config_selectorILNS1_17partition_subalgoE4EjNS0_10empty_typeEbEEZZNS1_14partition_implILS8_4ELb0ES6_15HIP_vector_typeIjLj2EENS0_17counting_iteratorIjlEEPS9_SG_NS0_5tupleIJPjSI_NS0_16reverse_iteratorISI_EEEEENSH_IJSG_SG_SG_EEES9_SI_JZNS1_25segmented_radix_sort_implINS0_14default_configELb0EPKdPdPKlPlN2at6native12_GLOBAL__N_18offset_tEEE10hipError_tPvRmT1_PNSt15iterator_traitsIS12_E10value_typeET2_T3_PNS13_IS18_E10value_typeET4_jRbjT5_S1E_jjP12ihipStream_tbEUljE_ZNSN_ISO_Lb0ESQ_SR_ST_SU_SY_EESZ_S10_S11_S12_S16_S17_S18_S1B_S1C_jS1D_jS1E_S1E_jjS1G_bEUljE0_EEESZ_S10_S11_S18_S1C_S1E_T6_T7_T9_mT8_S1G_bDpT10_ENKUlT_T0_E_clISt17integral_constantIbLb1EES1T_IbLb0EEEEDaS1P_S1Q_EUlS1P_E_NS1_11comp_targetILNS1_3genE0ELNS1_11target_archE4294967295ELNS1_3gpuE0ELNS1_3repE0EEENS1_30default_config_static_selectorELNS0_4arch9wavefront6targetE1EEEvS12_, .Lfunc_end1173-_ZN7rocprim17ROCPRIM_400000_NS6detail17trampoline_kernelINS0_13select_configILj256ELj13ELNS0_17block_load_methodE3ELS4_3ELS4_3ELNS0_20block_scan_algorithmE0ELj4294967295EEENS1_25partition_config_selectorILNS1_17partition_subalgoE4EjNS0_10empty_typeEbEEZZNS1_14partition_implILS8_4ELb0ES6_15HIP_vector_typeIjLj2EENS0_17counting_iteratorIjlEEPS9_SG_NS0_5tupleIJPjSI_NS0_16reverse_iteratorISI_EEEEENSH_IJSG_SG_SG_EEES9_SI_JZNS1_25segmented_radix_sort_implINS0_14default_configELb0EPKdPdPKlPlN2at6native12_GLOBAL__N_18offset_tEEE10hipError_tPvRmT1_PNSt15iterator_traitsIS12_E10value_typeET2_T3_PNS13_IS18_E10value_typeET4_jRbjT5_S1E_jjP12ihipStream_tbEUljE_ZNSN_ISO_Lb0ESQ_SR_ST_SU_SY_EESZ_S10_S11_S12_S16_S17_S18_S1B_S1C_jS1D_jS1E_S1E_jjS1G_bEUljE0_EEESZ_S10_S11_S18_S1C_S1E_T6_T7_T9_mT8_S1G_bDpT10_ENKUlT_T0_E_clISt17integral_constantIbLb1EES1T_IbLb0EEEEDaS1P_S1Q_EUlS1P_E_NS1_11comp_targetILNS1_3genE0ELNS1_11target_archE4294967295ELNS1_3gpuE0ELNS1_3repE0EEENS1_30default_config_static_selectorELNS0_4arch9wavefront6targetE1EEEvS12_
                                        ; -- End function
	.set _ZN7rocprim17ROCPRIM_400000_NS6detail17trampoline_kernelINS0_13select_configILj256ELj13ELNS0_17block_load_methodE3ELS4_3ELS4_3ELNS0_20block_scan_algorithmE0ELj4294967295EEENS1_25partition_config_selectorILNS1_17partition_subalgoE4EjNS0_10empty_typeEbEEZZNS1_14partition_implILS8_4ELb0ES6_15HIP_vector_typeIjLj2EENS0_17counting_iteratorIjlEEPS9_SG_NS0_5tupleIJPjSI_NS0_16reverse_iteratorISI_EEEEENSH_IJSG_SG_SG_EEES9_SI_JZNS1_25segmented_radix_sort_implINS0_14default_configELb0EPKdPdPKlPlN2at6native12_GLOBAL__N_18offset_tEEE10hipError_tPvRmT1_PNSt15iterator_traitsIS12_E10value_typeET2_T3_PNS13_IS18_E10value_typeET4_jRbjT5_S1E_jjP12ihipStream_tbEUljE_ZNSN_ISO_Lb0ESQ_SR_ST_SU_SY_EESZ_S10_S11_S12_S16_S17_S18_S1B_S1C_jS1D_jS1E_S1E_jjS1G_bEUljE0_EEESZ_S10_S11_S18_S1C_S1E_T6_T7_T9_mT8_S1G_bDpT10_ENKUlT_T0_E_clISt17integral_constantIbLb1EES1T_IbLb0EEEEDaS1P_S1Q_EUlS1P_E_NS1_11comp_targetILNS1_3genE0ELNS1_11target_archE4294967295ELNS1_3gpuE0ELNS1_3repE0EEENS1_30default_config_static_selectorELNS0_4arch9wavefront6targetE1EEEvS12_.num_vgpr, 0
	.set _ZN7rocprim17ROCPRIM_400000_NS6detail17trampoline_kernelINS0_13select_configILj256ELj13ELNS0_17block_load_methodE3ELS4_3ELS4_3ELNS0_20block_scan_algorithmE0ELj4294967295EEENS1_25partition_config_selectorILNS1_17partition_subalgoE4EjNS0_10empty_typeEbEEZZNS1_14partition_implILS8_4ELb0ES6_15HIP_vector_typeIjLj2EENS0_17counting_iteratorIjlEEPS9_SG_NS0_5tupleIJPjSI_NS0_16reverse_iteratorISI_EEEEENSH_IJSG_SG_SG_EEES9_SI_JZNS1_25segmented_radix_sort_implINS0_14default_configELb0EPKdPdPKlPlN2at6native12_GLOBAL__N_18offset_tEEE10hipError_tPvRmT1_PNSt15iterator_traitsIS12_E10value_typeET2_T3_PNS13_IS18_E10value_typeET4_jRbjT5_S1E_jjP12ihipStream_tbEUljE_ZNSN_ISO_Lb0ESQ_SR_ST_SU_SY_EESZ_S10_S11_S12_S16_S17_S18_S1B_S1C_jS1D_jS1E_S1E_jjS1G_bEUljE0_EEESZ_S10_S11_S18_S1C_S1E_T6_T7_T9_mT8_S1G_bDpT10_ENKUlT_T0_E_clISt17integral_constantIbLb1EES1T_IbLb0EEEEDaS1P_S1Q_EUlS1P_E_NS1_11comp_targetILNS1_3genE0ELNS1_11target_archE4294967295ELNS1_3gpuE0ELNS1_3repE0EEENS1_30default_config_static_selectorELNS0_4arch9wavefront6targetE1EEEvS12_.num_agpr, 0
	.set _ZN7rocprim17ROCPRIM_400000_NS6detail17trampoline_kernelINS0_13select_configILj256ELj13ELNS0_17block_load_methodE3ELS4_3ELS4_3ELNS0_20block_scan_algorithmE0ELj4294967295EEENS1_25partition_config_selectorILNS1_17partition_subalgoE4EjNS0_10empty_typeEbEEZZNS1_14partition_implILS8_4ELb0ES6_15HIP_vector_typeIjLj2EENS0_17counting_iteratorIjlEEPS9_SG_NS0_5tupleIJPjSI_NS0_16reverse_iteratorISI_EEEEENSH_IJSG_SG_SG_EEES9_SI_JZNS1_25segmented_radix_sort_implINS0_14default_configELb0EPKdPdPKlPlN2at6native12_GLOBAL__N_18offset_tEEE10hipError_tPvRmT1_PNSt15iterator_traitsIS12_E10value_typeET2_T3_PNS13_IS18_E10value_typeET4_jRbjT5_S1E_jjP12ihipStream_tbEUljE_ZNSN_ISO_Lb0ESQ_SR_ST_SU_SY_EESZ_S10_S11_S12_S16_S17_S18_S1B_S1C_jS1D_jS1E_S1E_jjS1G_bEUljE0_EEESZ_S10_S11_S18_S1C_S1E_T6_T7_T9_mT8_S1G_bDpT10_ENKUlT_T0_E_clISt17integral_constantIbLb1EES1T_IbLb0EEEEDaS1P_S1Q_EUlS1P_E_NS1_11comp_targetILNS1_3genE0ELNS1_11target_archE4294967295ELNS1_3gpuE0ELNS1_3repE0EEENS1_30default_config_static_selectorELNS0_4arch9wavefront6targetE1EEEvS12_.numbered_sgpr, 0
	.set _ZN7rocprim17ROCPRIM_400000_NS6detail17trampoline_kernelINS0_13select_configILj256ELj13ELNS0_17block_load_methodE3ELS4_3ELS4_3ELNS0_20block_scan_algorithmE0ELj4294967295EEENS1_25partition_config_selectorILNS1_17partition_subalgoE4EjNS0_10empty_typeEbEEZZNS1_14partition_implILS8_4ELb0ES6_15HIP_vector_typeIjLj2EENS0_17counting_iteratorIjlEEPS9_SG_NS0_5tupleIJPjSI_NS0_16reverse_iteratorISI_EEEEENSH_IJSG_SG_SG_EEES9_SI_JZNS1_25segmented_radix_sort_implINS0_14default_configELb0EPKdPdPKlPlN2at6native12_GLOBAL__N_18offset_tEEE10hipError_tPvRmT1_PNSt15iterator_traitsIS12_E10value_typeET2_T3_PNS13_IS18_E10value_typeET4_jRbjT5_S1E_jjP12ihipStream_tbEUljE_ZNSN_ISO_Lb0ESQ_SR_ST_SU_SY_EESZ_S10_S11_S12_S16_S17_S18_S1B_S1C_jS1D_jS1E_S1E_jjS1G_bEUljE0_EEESZ_S10_S11_S18_S1C_S1E_T6_T7_T9_mT8_S1G_bDpT10_ENKUlT_T0_E_clISt17integral_constantIbLb1EES1T_IbLb0EEEEDaS1P_S1Q_EUlS1P_E_NS1_11comp_targetILNS1_3genE0ELNS1_11target_archE4294967295ELNS1_3gpuE0ELNS1_3repE0EEENS1_30default_config_static_selectorELNS0_4arch9wavefront6targetE1EEEvS12_.num_named_barrier, 0
	.set _ZN7rocprim17ROCPRIM_400000_NS6detail17trampoline_kernelINS0_13select_configILj256ELj13ELNS0_17block_load_methodE3ELS4_3ELS4_3ELNS0_20block_scan_algorithmE0ELj4294967295EEENS1_25partition_config_selectorILNS1_17partition_subalgoE4EjNS0_10empty_typeEbEEZZNS1_14partition_implILS8_4ELb0ES6_15HIP_vector_typeIjLj2EENS0_17counting_iteratorIjlEEPS9_SG_NS0_5tupleIJPjSI_NS0_16reverse_iteratorISI_EEEEENSH_IJSG_SG_SG_EEES9_SI_JZNS1_25segmented_radix_sort_implINS0_14default_configELb0EPKdPdPKlPlN2at6native12_GLOBAL__N_18offset_tEEE10hipError_tPvRmT1_PNSt15iterator_traitsIS12_E10value_typeET2_T3_PNS13_IS18_E10value_typeET4_jRbjT5_S1E_jjP12ihipStream_tbEUljE_ZNSN_ISO_Lb0ESQ_SR_ST_SU_SY_EESZ_S10_S11_S12_S16_S17_S18_S1B_S1C_jS1D_jS1E_S1E_jjS1G_bEUljE0_EEESZ_S10_S11_S18_S1C_S1E_T6_T7_T9_mT8_S1G_bDpT10_ENKUlT_T0_E_clISt17integral_constantIbLb1EES1T_IbLb0EEEEDaS1P_S1Q_EUlS1P_E_NS1_11comp_targetILNS1_3genE0ELNS1_11target_archE4294967295ELNS1_3gpuE0ELNS1_3repE0EEENS1_30default_config_static_selectorELNS0_4arch9wavefront6targetE1EEEvS12_.private_seg_size, 0
	.set _ZN7rocprim17ROCPRIM_400000_NS6detail17trampoline_kernelINS0_13select_configILj256ELj13ELNS0_17block_load_methodE3ELS4_3ELS4_3ELNS0_20block_scan_algorithmE0ELj4294967295EEENS1_25partition_config_selectorILNS1_17partition_subalgoE4EjNS0_10empty_typeEbEEZZNS1_14partition_implILS8_4ELb0ES6_15HIP_vector_typeIjLj2EENS0_17counting_iteratorIjlEEPS9_SG_NS0_5tupleIJPjSI_NS0_16reverse_iteratorISI_EEEEENSH_IJSG_SG_SG_EEES9_SI_JZNS1_25segmented_radix_sort_implINS0_14default_configELb0EPKdPdPKlPlN2at6native12_GLOBAL__N_18offset_tEEE10hipError_tPvRmT1_PNSt15iterator_traitsIS12_E10value_typeET2_T3_PNS13_IS18_E10value_typeET4_jRbjT5_S1E_jjP12ihipStream_tbEUljE_ZNSN_ISO_Lb0ESQ_SR_ST_SU_SY_EESZ_S10_S11_S12_S16_S17_S18_S1B_S1C_jS1D_jS1E_S1E_jjS1G_bEUljE0_EEESZ_S10_S11_S18_S1C_S1E_T6_T7_T9_mT8_S1G_bDpT10_ENKUlT_T0_E_clISt17integral_constantIbLb1EES1T_IbLb0EEEEDaS1P_S1Q_EUlS1P_E_NS1_11comp_targetILNS1_3genE0ELNS1_11target_archE4294967295ELNS1_3gpuE0ELNS1_3repE0EEENS1_30default_config_static_selectorELNS0_4arch9wavefront6targetE1EEEvS12_.uses_vcc, 0
	.set _ZN7rocprim17ROCPRIM_400000_NS6detail17trampoline_kernelINS0_13select_configILj256ELj13ELNS0_17block_load_methodE3ELS4_3ELS4_3ELNS0_20block_scan_algorithmE0ELj4294967295EEENS1_25partition_config_selectorILNS1_17partition_subalgoE4EjNS0_10empty_typeEbEEZZNS1_14partition_implILS8_4ELb0ES6_15HIP_vector_typeIjLj2EENS0_17counting_iteratorIjlEEPS9_SG_NS0_5tupleIJPjSI_NS0_16reverse_iteratorISI_EEEEENSH_IJSG_SG_SG_EEES9_SI_JZNS1_25segmented_radix_sort_implINS0_14default_configELb0EPKdPdPKlPlN2at6native12_GLOBAL__N_18offset_tEEE10hipError_tPvRmT1_PNSt15iterator_traitsIS12_E10value_typeET2_T3_PNS13_IS18_E10value_typeET4_jRbjT5_S1E_jjP12ihipStream_tbEUljE_ZNSN_ISO_Lb0ESQ_SR_ST_SU_SY_EESZ_S10_S11_S12_S16_S17_S18_S1B_S1C_jS1D_jS1E_S1E_jjS1G_bEUljE0_EEESZ_S10_S11_S18_S1C_S1E_T6_T7_T9_mT8_S1G_bDpT10_ENKUlT_T0_E_clISt17integral_constantIbLb1EES1T_IbLb0EEEEDaS1P_S1Q_EUlS1P_E_NS1_11comp_targetILNS1_3genE0ELNS1_11target_archE4294967295ELNS1_3gpuE0ELNS1_3repE0EEENS1_30default_config_static_selectorELNS0_4arch9wavefront6targetE1EEEvS12_.uses_flat_scratch, 0
	.set _ZN7rocprim17ROCPRIM_400000_NS6detail17trampoline_kernelINS0_13select_configILj256ELj13ELNS0_17block_load_methodE3ELS4_3ELS4_3ELNS0_20block_scan_algorithmE0ELj4294967295EEENS1_25partition_config_selectorILNS1_17partition_subalgoE4EjNS0_10empty_typeEbEEZZNS1_14partition_implILS8_4ELb0ES6_15HIP_vector_typeIjLj2EENS0_17counting_iteratorIjlEEPS9_SG_NS0_5tupleIJPjSI_NS0_16reverse_iteratorISI_EEEEENSH_IJSG_SG_SG_EEES9_SI_JZNS1_25segmented_radix_sort_implINS0_14default_configELb0EPKdPdPKlPlN2at6native12_GLOBAL__N_18offset_tEEE10hipError_tPvRmT1_PNSt15iterator_traitsIS12_E10value_typeET2_T3_PNS13_IS18_E10value_typeET4_jRbjT5_S1E_jjP12ihipStream_tbEUljE_ZNSN_ISO_Lb0ESQ_SR_ST_SU_SY_EESZ_S10_S11_S12_S16_S17_S18_S1B_S1C_jS1D_jS1E_S1E_jjS1G_bEUljE0_EEESZ_S10_S11_S18_S1C_S1E_T6_T7_T9_mT8_S1G_bDpT10_ENKUlT_T0_E_clISt17integral_constantIbLb1EES1T_IbLb0EEEEDaS1P_S1Q_EUlS1P_E_NS1_11comp_targetILNS1_3genE0ELNS1_11target_archE4294967295ELNS1_3gpuE0ELNS1_3repE0EEENS1_30default_config_static_selectorELNS0_4arch9wavefront6targetE1EEEvS12_.has_dyn_sized_stack, 0
	.set _ZN7rocprim17ROCPRIM_400000_NS6detail17trampoline_kernelINS0_13select_configILj256ELj13ELNS0_17block_load_methodE3ELS4_3ELS4_3ELNS0_20block_scan_algorithmE0ELj4294967295EEENS1_25partition_config_selectorILNS1_17partition_subalgoE4EjNS0_10empty_typeEbEEZZNS1_14partition_implILS8_4ELb0ES6_15HIP_vector_typeIjLj2EENS0_17counting_iteratorIjlEEPS9_SG_NS0_5tupleIJPjSI_NS0_16reverse_iteratorISI_EEEEENSH_IJSG_SG_SG_EEES9_SI_JZNS1_25segmented_radix_sort_implINS0_14default_configELb0EPKdPdPKlPlN2at6native12_GLOBAL__N_18offset_tEEE10hipError_tPvRmT1_PNSt15iterator_traitsIS12_E10value_typeET2_T3_PNS13_IS18_E10value_typeET4_jRbjT5_S1E_jjP12ihipStream_tbEUljE_ZNSN_ISO_Lb0ESQ_SR_ST_SU_SY_EESZ_S10_S11_S12_S16_S17_S18_S1B_S1C_jS1D_jS1E_S1E_jjS1G_bEUljE0_EEESZ_S10_S11_S18_S1C_S1E_T6_T7_T9_mT8_S1G_bDpT10_ENKUlT_T0_E_clISt17integral_constantIbLb1EES1T_IbLb0EEEEDaS1P_S1Q_EUlS1P_E_NS1_11comp_targetILNS1_3genE0ELNS1_11target_archE4294967295ELNS1_3gpuE0ELNS1_3repE0EEENS1_30default_config_static_selectorELNS0_4arch9wavefront6targetE1EEEvS12_.has_recursion, 0
	.set _ZN7rocprim17ROCPRIM_400000_NS6detail17trampoline_kernelINS0_13select_configILj256ELj13ELNS0_17block_load_methodE3ELS4_3ELS4_3ELNS0_20block_scan_algorithmE0ELj4294967295EEENS1_25partition_config_selectorILNS1_17partition_subalgoE4EjNS0_10empty_typeEbEEZZNS1_14partition_implILS8_4ELb0ES6_15HIP_vector_typeIjLj2EENS0_17counting_iteratorIjlEEPS9_SG_NS0_5tupleIJPjSI_NS0_16reverse_iteratorISI_EEEEENSH_IJSG_SG_SG_EEES9_SI_JZNS1_25segmented_radix_sort_implINS0_14default_configELb0EPKdPdPKlPlN2at6native12_GLOBAL__N_18offset_tEEE10hipError_tPvRmT1_PNSt15iterator_traitsIS12_E10value_typeET2_T3_PNS13_IS18_E10value_typeET4_jRbjT5_S1E_jjP12ihipStream_tbEUljE_ZNSN_ISO_Lb0ESQ_SR_ST_SU_SY_EESZ_S10_S11_S12_S16_S17_S18_S1B_S1C_jS1D_jS1E_S1E_jjS1G_bEUljE0_EEESZ_S10_S11_S18_S1C_S1E_T6_T7_T9_mT8_S1G_bDpT10_ENKUlT_T0_E_clISt17integral_constantIbLb1EES1T_IbLb0EEEEDaS1P_S1Q_EUlS1P_E_NS1_11comp_targetILNS1_3genE0ELNS1_11target_archE4294967295ELNS1_3gpuE0ELNS1_3repE0EEENS1_30default_config_static_selectorELNS0_4arch9wavefront6targetE1EEEvS12_.has_indirect_call, 0
	.section	.AMDGPU.csdata,"",@progbits
; Kernel info:
; codeLenInByte = 0
; TotalNumSgprs: 4
; NumVgprs: 0
; ScratchSize: 0
; MemoryBound: 0
; FloatMode: 240
; IeeeMode: 1
; LDSByteSize: 0 bytes/workgroup (compile time only)
; SGPRBlocks: 0
; VGPRBlocks: 0
; NumSGPRsForWavesPerEU: 4
; NumVGPRsForWavesPerEU: 1
; Occupancy: 10
; WaveLimiterHint : 0
; COMPUTE_PGM_RSRC2:SCRATCH_EN: 0
; COMPUTE_PGM_RSRC2:USER_SGPR: 6
; COMPUTE_PGM_RSRC2:TRAP_HANDLER: 0
; COMPUTE_PGM_RSRC2:TGID_X_EN: 1
; COMPUTE_PGM_RSRC2:TGID_Y_EN: 0
; COMPUTE_PGM_RSRC2:TGID_Z_EN: 0
; COMPUTE_PGM_RSRC2:TIDIG_COMP_CNT: 0
	.section	.text._ZN7rocprim17ROCPRIM_400000_NS6detail17trampoline_kernelINS0_13select_configILj256ELj13ELNS0_17block_load_methodE3ELS4_3ELS4_3ELNS0_20block_scan_algorithmE0ELj4294967295EEENS1_25partition_config_selectorILNS1_17partition_subalgoE4EjNS0_10empty_typeEbEEZZNS1_14partition_implILS8_4ELb0ES6_15HIP_vector_typeIjLj2EENS0_17counting_iteratorIjlEEPS9_SG_NS0_5tupleIJPjSI_NS0_16reverse_iteratorISI_EEEEENSH_IJSG_SG_SG_EEES9_SI_JZNS1_25segmented_radix_sort_implINS0_14default_configELb0EPKdPdPKlPlN2at6native12_GLOBAL__N_18offset_tEEE10hipError_tPvRmT1_PNSt15iterator_traitsIS12_E10value_typeET2_T3_PNS13_IS18_E10value_typeET4_jRbjT5_S1E_jjP12ihipStream_tbEUljE_ZNSN_ISO_Lb0ESQ_SR_ST_SU_SY_EESZ_S10_S11_S12_S16_S17_S18_S1B_S1C_jS1D_jS1E_S1E_jjS1G_bEUljE0_EEESZ_S10_S11_S18_S1C_S1E_T6_T7_T9_mT8_S1G_bDpT10_ENKUlT_T0_E_clISt17integral_constantIbLb1EES1T_IbLb0EEEEDaS1P_S1Q_EUlS1P_E_NS1_11comp_targetILNS1_3genE5ELNS1_11target_archE942ELNS1_3gpuE9ELNS1_3repE0EEENS1_30default_config_static_selectorELNS0_4arch9wavefront6targetE1EEEvS12_,"axG",@progbits,_ZN7rocprim17ROCPRIM_400000_NS6detail17trampoline_kernelINS0_13select_configILj256ELj13ELNS0_17block_load_methodE3ELS4_3ELS4_3ELNS0_20block_scan_algorithmE0ELj4294967295EEENS1_25partition_config_selectorILNS1_17partition_subalgoE4EjNS0_10empty_typeEbEEZZNS1_14partition_implILS8_4ELb0ES6_15HIP_vector_typeIjLj2EENS0_17counting_iteratorIjlEEPS9_SG_NS0_5tupleIJPjSI_NS0_16reverse_iteratorISI_EEEEENSH_IJSG_SG_SG_EEES9_SI_JZNS1_25segmented_radix_sort_implINS0_14default_configELb0EPKdPdPKlPlN2at6native12_GLOBAL__N_18offset_tEEE10hipError_tPvRmT1_PNSt15iterator_traitsIS12_E10value_typeET2_T3_PNS13_IS18_E10value_typeET4_jRbjT5_S1E_jjP12ihipStream_tbEUljE_ZNSN_ISO_Lb0ESQ_SR_ST_SU_SY_EESZ_S10_S11_S12_S16_S17_S18_S1B_S1C_jS1D_jS1E_S1E_jjS1G_bEUljE0_EEESZ_S10_S11_S18_S1C_S1E_T6_T7_T9_mT8_S1G_bDpT10_ENKUlT_T0_E_clISt17integral_constantIbLb1EES1T_IbLb0EEEEDaS1P_S1Q_EUlS1P_E_NS1_11comp_targetILNS1_3genE5ELNS1_11target_archE942ELNS1_3gpuE9ELNS1_3repE0EEENS1_30default_config_static_selectorELNS0_4arch9wavefront6targetE1EEEvS12_,comdat
	.globl	_ZN7rocprim17ROCPRIM_400000_NS6detail17trampoline_kernelINS0_13select_configILj256ELj13ELNS0_17block_load_methodE3ELS4_3ELS4_3ELNS0_20block_scan_algorithmE0ELj4294967295EEENS1_25partition_config_selectorILNS1_17partition_subalgoE4EjNS0_10empty_typeEbEEZZNS1_14partition_implILS8_4ELb0ES6_15HIP_vector_typeIjLj2EENS0_17counting_iteratorIjlEEPS9_SG_NS0_5tupleIJPjSI_NS0_16reverse_iteratorISI_EEEEENSH_IJSG_SG_SG_EEES9_SI_JZNS1_25segmented_radix_sort_implINS0_14default_configELb0EPKdPdPKlPlN2at6native12_GLOBAL__N_18offset_tEEE10hipError_tPvRmT1_PNSt15iterator_traitsIS12_E10value_typeET2_T3_PNS13_IS18_E10value_typeET4_jRbjT5_S1E_jjP12ihipStream_tbEUljE_ZNSN_ISO_Lb0ESQ_SR_ST_SU_SY_EESZ_S10_S11_S12_S16_S17_S18_S1B_S1C_jS1D_jS1E_S1E_jjS1G_bEUljE0_EEESZ_S10_S11_S18_S1C_S1E_T6_T7_T9_mT8_S1G_bDpT10_ENKUlT_T0_E_clISt17integral_constantIbLb1EES1T_IbLb0EEEEDaS1P_S1Q_EUlS1P_E_NS1_11comp_targetILNS1_3genE5ELNS1_11target_archE942ELNS1_3gpuE9ELNS1_3repE0EEENS1_30default_config_static_selectorELNS0_4arch9wavefront6targetE1EEEvS12_ ; -- Begin function _ZN7rocprim17ROCPRIM_400000_NS6detail17trampoline_kernelINS0_13select_configILj256ELj13ELNS0_17block_load_methodE3ELS4_3ELS4_3ELNS0_20block_scan_algorithmE0ELj4294967295EEENS1_25partition_config_selectorILNS1_17partition_subalgoE4EjNS0_10empty_typeEbEEZZNS1_14partition_implILS8_4ELb0ES6_15HIP_vector_typeIjLj2EENS0_17counting_iteratorIjlEEPS9_SG_NS0_5tupleIJPjSI_NS0_16reverse_iteratorISI_EEEEENSH_IJSG_SG_SG_EEES9_SI_JZNS1_25segmented_radix_sort_implINS0_14default_configELb0EPKdPdPKlPlN2at6native12_GLOBAL__N_18offset_tEEE10hipError_tPvRmT1_PNSt15iterator_traitsIS12_E10value_typeET2_T3_PNS13_IS18_E10value_typeET4_jRbjT5_S1E_jjP12ihipStream_tbEUljE_ZNSN_ISO_Lb0ESQ_SR_ST_SU_SY_EESZ_S10_S11_S12_S16_S17_S18_S1B_S1C_jS1D_jS1E_S1E_jjS1G_bEUljE0_EEESZ_S10_S11_S18_S1C_S1E_T6_T7_T9_mT8_S1G_bDpT10_ENKUlT_T0_E_clISt17integral_constantIbLb1EES1T_IbLb0EEEEDaS1P_S1Q_EUlS1P_E_NS1_11comp_targetILNS1_3genE5ELNS1_11target_archE942ELNS1_3gpuE9ELNS1_3repE0EEENS1_30default_config_static_selectorELNS0_4arch9wavefront6targetE1EEEvS12_
	.p2align	8
	.type	_ZN7rocprim17ROCPRIM_400000_NS6detail17trampoline_kernelINS0_13select_configILj256ELj13ELNS0_17block_load_methodE3ELS4_3ELS4_3ELNS0_20block_scan_algorithmE0ELj4294967295EEENS1_25partition_config_selectorILNS1_17partition_subalgoE4EjNS0_10empty_typeEbEEZZNS1_14partition_implILS8_4ELb0ES6_15HIP_vector_typeIjLj2EENS0_17counting_iteratorIjlEEPS9_SG_NS0_5tupleIJPjSI_NS0_16reverse_iteratorISI_EEEEENSH_IJSG_SG_SG_EEES9_SI_JZNS1_25segmented_radix_sort_implINS0_14default_configELb0EPKdPdPKlPlN2at6native12_GLOBAL__N_18offset_tEEE10hipError_tPvRmT1_PNSt15iterator_traitsIS12_E10value_typeET2_T3_PNS13_IS18_E10value_typeET4_jRbjT5_S1E_jjP12ihipStream_tbEUljE_ZNSN_ISO_Lb0ESQ_SR_ST_SU_SY_EESZ_S10_S11_S12_S16_S17_S18_S1B_S1C_jS1D_jS1E_S1E_jjS1G_bEUljE0_EEESZ_S10_S11_S18_S1C_S1E_T6_T7_T9_mT8_S1G_bDpT10_ENKUlT_T0_E_clISt17integral_constantIbLb1EES1T_IbLb0EEEEDaS1P_S1Q_EUlS1P_E_NS1_11comp_targetILNS1_3genE5ELNS1_11target_archE942ELNS1_3gpuE9ELNS1_3repE0EEENS1_30default_config_static_selectorELNS0_4arch9wavefront6targetE1EEEvS12_,@function
_ZN7rocprim17ROCPRIM_400000_NS6detail17trampoline_kernelINS0_13select_configILj256ELj13ELNS0_17block_load_methodE3ELS4_3ELS4_3ELNS0_20block_scan_algorithmE0ELj4294967295EEENS1_25partition_config_selectorILNS1_17partition_subalgoE4EjNS0_10empty_typeEbEEZZNS1_14partition_implILS8_4ELb0ES6_15HIP_vector_typeIjLj2EENS0_17counting_iteratorIjlEEPS9_SG_NS0_5tupleIJPjSI_NS0_16reverse_iteratorISI_EEEEENSH_IJSG_SG_SG_EEES9_SI_JZNS1_25segmented_radix_sort_implINS0_14default_configELb0EPKdPdPKlPlN2at6native12_GLOBAL__N_18offset_tEEE10hipError_tPvRmT1_PNSt15iterator_traitsIS12_E10value_typeET2_T3_PNS13_IS18_E10value_typeET4_jRbjT5_S1E_jjP12ihipStream_tbEUljE_ZNSN_ISO_Lb0ESQ_SR_ST_SU_SY_EESZ_S10_S11_S12_S16_S17_S18_S1B_S1C_jS1D_jS1E_S1E_jjS1G_bEUljE0_EEESZ_S10_S11_S18_S1C_S1E_T6_T7_T9_mT8_S1G_bDpT10_ENKUlT_T0_E_clISt17integral_constantIbLb1EES1T_IbLb0EEEEDaS1P_S1Q_EUlS1P_E_NS1_11comp_targetILNS1_3genE5ELNS1_11target_archE942ELNS1_3gpuE9ELNS1_3repE0EEENS1_30default_config_static_selectorELNS0_4arch9wavefront6targetE1EEEvS12_: ; @_ZN7rocprim17ROCPRIM_400000_NS6detail17trampoline_kernelINS0_13select_configILj256ELj13ELNS0_17block_load_methodE3ELS4_3ELS4_3ELNS0_20block_scan_algorithmE0ELj4294967295EEENS1_25partition_config_selectorILNS1_17partition_subalgoE4EjNS0_10empty_typeEbEEZZNS1_14partition_implILS8_4ELb0ES6_15HIP_vector_typeIjLj2EENS0_17counting_iteratorIjlEEPS9_SG_NS0_5tupleIJPjSI_NS0_16reverse_iteratorISI_EEEEENSH_IJSG_SG_SG_EEES9_SI_JZNS1_25segmented_radix_sort_implINS0_14default_configELb0EPKdPdPKlPlN2at6native12_GLOBAL__N_18offset_tEEE10hipError_tPvRmT1_PNSt15iterator_traitsIS12_E10value_typeET2_T3_PNS13_IS18_E10value_typeET4_jRbjT5_S1E_jjP12ihipStream_tbEUljE_ZNSN_ISO_Lb0ESQ_SR_ST_SU_SY_EESZ_S10_S11_S12_S16_S17_S18_S1B_S1C_jS1D_jS1E_S1E_jjS1G_bEUljE0_EEESZ_S10_S11_S18_S1C_S1E_T6_T7_T9_mT8_S1G_bDpT10_ENKUlT_T0_E_clISt17integral_constantIbLb1EES1T_IbLb0EEEEDaS1P_S1Q_EUlS1P_E_NS1_11comp_targetILNS1_3genE5ELNS1_11target_archE942ELNS1_3gpuE9ELNS1_3repE0EEENS1_30default_config_static_selectorELNS0_4arch9wavefront6targetE1EEEvS12_
; %bb.0:
	.section	.rodata,"a",@progbits
	.p2align	6, 0x0
	.amdhsa_kernel _ZN7rocprim17ROCPRIM_400000_NS6detail17trampoline_kernelINS0_13select_configILj256ELj13ELNS0_17block_load_methodE3ELS4_3ELS4_3ELNS0_20block_scan_algorithmE0ELj4294967295EEENS1_25partition_config_selectorILNS1_17partition_subalgoE4EjNS0_10empty_typeEbEEZZNS1_14partition_implILS8_4ELb0ES6_15HIP_vector_typeIjLj2EENS0_17counting_iteratorIjlEEPS9_SG_NS0_5tupleIJPjSI_NS0_16reverse_iteratorISI_EEEEENSH_IJSG_SG_SG_EEES9_SI_JZNS1_25segmented_radix_sort_implINS0_14default_configELb0EPKdPdPKlPlN2at6native12_GLOBAL__N_18offset_tEEE10hipError_tPvRmT1_PNSt15iterator_traitsIS12_E10value_typeET2_T3_PNS13_IS18_E10value_typeET4_jRbjT5_S1E_jjP12ihipStream_tbEUljE_ZNSN_ISO_Lb0ESQ_SR_ST_SU_SY_EESZ_S10_S11_S12_S16_S17_S18_S1B_S1C_jS1D_jS1E_S1E_jjS1G_bEUljE0_EEESZ_S10_S11_S18_S1C_S1E_T6_T7_T9_mT8_S1G_bDpT10_ENKUlT_T0_E_clISt17integral_constantIbLb1EES1T_IbLb0EEEEDaS1P_S1Q_EUlS1P_E_NS1_11comp_targetILNS1_3genE5ELNS1_11target_archE942ELNS1_3gpuE9ELNS1_3repE0EEENS1_30default_config_static_selectorELNS0_4arch9wavefront6targetE1EEEvS12_
		.amdhsa_group_segment_fixed_size 0
		.amdhsa_private_segment_fixed_size 0
		.amdhsa_kernarg_size 176
		.amdhsa_user_sgpr_count 6
		.amdhsa_user_sgpr_private_segment_buffer 1
		.amdhsa_user_sgpr_dispatch_ptr 0
		.amdhsa_user_sgpr_queue_ptr 0
		.amdhsa_user_sgpr_kernarg_segment_ptr 1
		.amdhsa_user_sgpr_dispatch_id 0
		.amdhsa_user_sgpr_flat_scratch_init 0
		.amdhsa_user_sgpr_private_segment_size 0
		.amdhsa_uses_dynamic_stack 0
		.amdhsa_system_sgpr_private_segment_wavefront_offset 0
		.amdhsa_system_sgpr_workgroup_id_x 1
		.amdhsa_system_sgpr_workgroup_id_y 0
		.amdhsa_system_sgpr_workgroup_id_z 0
		.amdhsa_system_sgpr_workgroup_info 0
		.amdhsa_system_vgpr_workitem_id 0
		.amdhsa_next_free_vgpr 1
		.amdhsa_next_free_sgpr 0
		.amdhsa_reserve_vcc 0
		.amdhsa_reserve_flat_scratch 0
		.amdhsa_float_round_mode_32 0
		.amdhsa_float_round_mode_16_64 0
		.amdhsa_float_denorm_mode_32 3
		.amdhsa_float_denorm_mode_16_64 3
		.amdhsa_dx10_clamp 1
		.amdhsa_ieee_mode 1
		.amdhsa_fp16_overflow 0
		.amdhsa_exception_fp_ieee_invalid_op 0
		.amdhsa_exception_fp_denorm_src 0
		.amdhsa_exception_fp_ieee_div_zero 0
		.amdhsa_exception_fp_ieee_overflow 0
		.amdhsa_exception_fp_ieee_underflow 0
		.amdhsa_exception_fp_ieee_inexact 0
		.amdhsa_exception_int_div_zero 0
	.end_amdhsa_kernel
	.section	.text._ZN7rocprim17ROCPRIM_400000_NS6detail17trampoline_kernelINS0_13select_configILj256ELj13ELNS0_17block_load_methodE3ELS4_3ELS4_3ELNS0_20block_scan_algorithmE0ELj4294967295EEENS1_25partition_config_selectorILNS1_17partition_subalgoE4EjNS0_10empty_typeEbEEZZNS1_14partition_implILS8_4ELb0ES6_15HIP_vector_typeIjLj2EENS0_17counting_iteratorIjlEEPS9_SG_NS0_5tupleIJPjSI_NS0_16reverse_iteratorISI_EEEEENSH_IJSG_SG_SG_EEES9_SI_JZNS1_25segmented_radix_sort_implINS0_14default_configELb0EPKdPdPKlPlN2at6native12_GLOBAL__N_18offset_tEEE10hipError_tPvRmT1_PNSt15iterator_traitsIS12_E10value_typeET2_T3_PNS13_IS18_E10value_typeET4_jRbjT5_S1E_jjP12ihipStream_tbEUljE_ZNSN_ISO_Lb0ESQ_SR_ST_SU_SY_EESZ_S10_S11_S12_S16_S17_S18_S1B_S1C_jS1D_jS1E_S1E_jjS1G_bEUljE0_EEESZ_S10_S11_S18_S1C_S1E_T6_T7_T9_mT8_S1G_bDpT10_ENKUlT_T0_E_clISt17integral_constantIbLb1EES1T_IbLb0EEEEDaS1P_S1Q_EUlS1P_E_NS1_11comp_targetILNS1_3genE5ELNS1_11target_archE942ELNS1_3gpuE9ELNS1_3repE0EEENS1_30default_config_static_selectorELNS0_4arch9wavefront6targetE1EEEvS12_,"axG",@progbits,_ZN7rocprim17ROCPRIM_400000_NS6detail17trampoline_kernelINS0_13select_configILj256ELj13ELNS0_17block_load_methodE3ELS4_3ELS4_3ELNS0_20block_scan_algorithmE0ELj4294967295EEENS1_25partition_config_selectorILNS1_17partition_subalgoE4EjNS0_10empty_typeEbEEZZNS1_14partition_implILS8_4ELb0ES6_15HIP_vector_typeIjLj2EENS0_17counting_iteratorIjlEEPS9_SG_NS0_5tupleIJPjSI_NS0_16reverse_iteratorISI_EEEEENSH_IJSG_SG_SG_EEES9_SI_JZNS1_25segmented_radix_sort_implINS0_14default_configELb0EPKdPdPKlPlN2at6native12_GLOBAL__N_18offset_tEEE10hipError_tPvRmT1_PNSt15iterator_traitsIS12_E10value_typeET2_T3_PNS13_IS18_E10value_typeET4_jRbjT5_S1E_jjP12ihipStream_tbEUljE_ZNSN_ISO_Lb0ESQ_SR_ST_SU_SY_EESZ_S10_S11_S12_S16_S17_S18_S1B_S1C_jS1D_jS1E_S1E_jjS1G_bEUljE0_EEESZ_S10_S11_S18_S1C_S1E_T6_T7_T9_mT8_S1G_bDpT10_ENKUlT_T0_E_clISt17integral_constantIbLb1EES1T_IbLb0EEEEDaS1P_S1Q_EUlS1P_E_NS1_11comp_targetILNS1_3genE5ELNS1_11target_archE942ELNS1_3gpuE9ELNS1_3repE0EEENS1_30default_config_static_selectorELNS0_4arch9wavefront6targetE1EEEvS12_,comdat
.Lfunc_end1174:
	.size	_ZN7rocprim17ROCPRIM_400000_NS6detail17trampoline_kernelINS0_13select_configILj256ELj13ELNS0_17block_load_methodE3ELS4_3ELS4_3ELNS0_20block_scan_algorithmE0ELj4294967295EEENS1_25partition_config_selectorILNS1_17partition_subalgoE4EjNS0_10empty_typeEbEEZZNS1_14partition_implILS8_4ELb0ES6_15HIP_vector_typeIjLj2EENS0_17counting_iteratorIjlEEPS9_SG_NS0_5tupleIJPjSI_NS0_16reverse_iteratorISI_EEEEENSH_IJSG_SG_SG_EEES9_SI_JZNS1_25segmented_radix_sort_implINS0_14default_configELb0EPKdPdPKlPlN2at6native12_GLOBAL__N_18offset_tEEE10hipError_tPvRmT1_PNSt15iterator_traitsIS12_E10value_typeET2_T3_PNS13_IS18_E10value_typeET4_jRbjT5_S1E_jjP12ihipStream_tbEUljE_ZNSN_ISO_Lb0ESQ_SR_ST_SU_SY_EESZ_S10_S11_S12_S16_S17_S18_S1B_S1C_jS1D_jS1E_S1E_jjS1G_bEUljE0_EEESZ_S10_S11_S18_S1C_S1E_T6_T7_T9_mT8_S1G_bDpT10_ENKUlT_T0_E_clISt17integral_constantIbLb1EES1T_IbLb0EEEEDaS1P_S1Q_EUlS1P_E_NS1_11comp_targetILNS1_3genE5ELNS1_11target_archE942ELNS1_3gpuE9ELNS1_3repE0EEENS1_30default_config_static_selectorELNS0_4arch9wavefront6targetE1EEEvS12_, .Lfunc_end1174-_ZN7rocprim17ROCPRIM_400000_NS6detail17trampoline_kernelINS0_13select_configILj256ELj13ELNS0_17block_load_methodE3ELS4_3ELS4_3ELNS0_20block_scan_algorithmE0ELj4294967295EEENS1_25partition_config_selectorILNS1_17partition_subalgoE4EjNS0_10empty_typeEbEEZZNS1_14partition_implILS8_4ELb0ES6_15HIP_vector_typeIjLj2EENS0_17counting_iteratorIjlEEPS9_SG_NS0_5tupleIJPjSI_NS0_16reverse_iteratorISI_EEEEENSH_IJSG_SG_SG_EEES9_SI_JZNS1_25segmented_radix_sort_implINS0_14default_configELb0EPKdPdPKlPlN2at6native12_GLOBAL__N_18offset_tEEE10hipError_tPvRmT1_PNSt15iterator_traitsIS12_E10value_typeET2_T3_PNS13_IS18_E10value_typeET4_jRbjT5_S1E_jjP12ihipStream_tbEUljE_ZNSN_ISO_Lb0ESQ_SR_ST_SU_SY_EESZ_S10_S11_S12_S16_S17_S18_S1B_S1C_jS1D_jS1E_S1E_jjS1G_bEUljE0_EEESZ_S10_S11_S18_S1C_S1E_T6_T7_T9_mT8_S1G_bDpT10_ENKUlT_T0_E_clISt17integral_constantIbLb1EES1T_IbLb0EEEEDaS1P_S1Q_EUlS1P_E_NS1_11comp_targetILNS1_3genE5ELNS1_11target_archE942ELNS1_3gpuE9ELNS1_3repE0EEENS1_30default_config_static_selectorELNS0_4arch9wavefront6targetE1EEEvS12_
                                        ; -- End function
	.set _ZN7rocprim17ROCPRIM_400000_NS6detail17trampoline_kernelINS0_13select_configILj256ELj13ELNS0_17block_load_methodE3ELS4_3ELS4_3ELNS0_20block_scan_algorithmE0ELj4294967295EEENS1_25partition_config_selectorILNS1_17partition_subalgoE4EjNS0_10empty_typeEbEEZZNS1_14partition_implILS8_4ELb0ES6_15HIP_vector_typeIjLj2EENS0_17counting_iteratorIjlEEPS9_SG_NS0_5tupleIJPjSI_NS0_16reverse_iteratorISI_EEEEENSH_IJSG_SG_SG_EEES9_SI_JZNS1_25segmented_radix_sort_implINS0_14default_configELb0EPKdPdPKlPlN2at6native12_GLOBAL__N_18offset_tEEE10hipError_tPvRmT1_PNSt15iterator_traitsIS12_E10value_typeET2_T3_PNS13_IS18_E10value_typeET4_jRbjT5_S1E_jjP12ihipStream_tbEUljE_ZNSN_ISO_Lb0ESQ_SR_ST_SU_SY_EESZ_S10_S11_S12_S16_S17_S18_S1B_S1C_jS1D_jS1E_S1E_jjS1G_bEUljE0_EEESZ_S10_S11_S18_S1C_S1E_T6_T7_T9_mT8_S1G_bDpT10_ENKUlT_T0_E_clISt17integral_constantIbLb1EES1T_IbLb0EEEEDaS1P_S1Q_EUlS1P_E_NS1_11comp_targetILNS1_3genE5ELNS1_11target_archE942ELNS1_3gpuE9ELNS1_3repE0EEENS1_30default_config_static_selectorELNS0_4arch9wavefront6targetE1EEEvS12_.num_vgpr, 0
	.set _ZN7rocprim17ROCPRIM_400000_NS6detail17trampoline_kernelINS0_13select_configILj256ELj13ELNS0_17block_load_methodE3ELS4_3ELS4_3ELNS0_20block_scan_algorithmE0ELj4294967295EEENS1_25partition_config_selectorILNS1_17partition_subalgoE4EjNS0_10empty_typeEbEEZZNS1_14partition_implILS8_4ELb0ES6_15HIP_vector_typeIjLj2EENS0_17counting_iteratorIjlEEPS9_SG_NS0_5tupleIJPjSI_NS0_16reverse_iteratorISI_EEEEENSH_IJSG_SG_SG_EEES9_SI_JZNS1_25segmented_radix_sort_implINS0_14default_configELb0EPKdPdPKlPlN2at6native12_GLOBAL__N_18offset_tEEE10hipError_tPvRmT1_PNSt15iterator_traitsIS12_E10value_typeET2_T3_PNS13_IS18_E10value_typeET4_jRbjT5_S1E_jjP12ihipStream_tbEUljE_ZNSN_ISO_Lb0ESQ_SR_ST_SU_SY_EESZ_S10_S11_S12_S16_S17_S18_S1B_S1C_jS1D_jS1E_S1E_jjS1G_bEUljE0_EEESZ_S10_S11_S18_S1C_S1E_T6_T7_T9_mT8_S1G_bDpT10_ENKUlT_T0_E_clISt17integral_constantIbLb1EES1T_IbLb0EEEEDaS1P_S1Q_EUlS1P_E_NS1_11comp_targetILNS1_3genE5ELNS1_11target_archE942ELNS1_3gpuE9ELNS1_3repE0EEENS1_30default_config_static_selectorELNS0_4arch9wavefront6targetE1EEEvS12_.num_agpr, 0
	.set _ZN7rocprim17ROCPRIM_400000_NS6detail17trampoline_kernelINS0_13select_configILj256ELj13ELNS0_17block_load_methodE3ELS4_3ELS4_3ELNS0_20block_scan_algorithmE0ELj4294967295EEENS1_25partition_config_selectorILNS1_17partition_subalgoE4EjNS0_10empty_typeEbEEZZNS1_14partition_implILS8_4ELb0ES6_15HIP_vector_typeIjLj2EENS0_17counting_iteratorIjlEEPS9_SG_NS0_5tupleIJPjSI_NS0_16reverse_iteratorISI_EEEEENSH_IJSG_SG_SG_EEES9_SI_JZNS1_25segmented_radix_sort_implINS0_14default_configELb0EPKdPdPKlPlN2at6native12_GLOBAL__N_18offset_tEEE10hipError_tPvRmT1_PNSt15iterator_traitsIS12_E10value_typeET2_T3_PNS13_IS18_E10value_typeET4_jRbjT5_S1E_jjP12ihipStream_tbEUljE_ZNSN_ISO_Lb0ESQ_SR_ST_SU_SY_EESZ_S10_S11_S12_S16_S17_S18_S1B_S1C_jS1D_jS1E_S1E_jjS1G_bEUljE0_EEESZ_S10_S11_S18_S1C_S1E_T6_T7_T9_mT8_S1G_bDpT10_ENKUlT_T0_E_clISt17integral_constantIbLb1EES1T_IbLb0EEEEDaS1P_S1Q_EUlS1P_E_NS1_11comp_targetILNS1_3genE5ELNS1_11target_archE942ELNS1_3gpuE9ELNS1_3repE0EEENS1_30default_config_static_selectorELNS0_4arch9wavefront6targetE1EEEvS12_.numbered_sgpr, 0
	.set _ZN7rocprim17ROCPRIM_400000_NS6detail17trampoline_kernelINS0_13select_configILj256ELj13ELNS0_17block_load_methodE3ELS4_3ELS4_3ELNS0_20block_scan_algorithmE0ELj4294967295EEENS1_25partition_config_selectorILNS1_17partition_subalgoE4EjNS0_10empty_typeEbEEZZNS1_14partition_implILS8_4ELb0ES6_15HIP_vector_typeIjLj2EENS0_17counting_iteratorIjlEEPS9_SG_NS0_5tupleIJPjSI_NS0_16reverse_iteratorISI_EEEEENSH_IJSG_SG_SG_EEES9_SI_JZNS1_25segmented_radix_sort_implINS0_14default_configELb0EPKdPdPKlPlN2at6native12_GLOBAL__N_18offset_tEEE10hipError_tPvRmT1_PNSt15iterator_traitsIS12_E10value_typeET2_T3_PNS13_IS18_E10value_typeET4_jRbjT5_S1E_jjP12ihipStream_tbEUljE_ZNSN_ISO_Lb0ESQ_SR_ST_SU_SY_EESZ_S10_S11_S12_S16_S17_S18_S1B_S1C_jS1D_jS1E_S1E_jjS1G_bEUljE0_EEESZ_S10_S11_S18_S1C_S1E_T6_T7_T9_mT8_S1G_bDpT10_ENKUlT_T0_E_clISt17integral_constantIbLb1EES1T_IbLb0EEEEDaS1P_S1Q_EUlS1P_E_NS1_11comp_targetILNS1_3genE5ELNS1_11target_archE942ELNS1_3gpuE9ELNS1_3repE0EEENS1_30default_config_static_selectorELNS0_4arch9wavefront6targetE1EEEvS12_.num_named_barrier, 0
	.set _ZN7rocprim17ROCPRIM_400000_NS6detail17trampoline_kernelINS0_13select_configILj256ELj13ELNS0_17block_load_methodE3ELS4_3ELS4_3ELNS0_20block_scan_algorithmE0ELj4294967295EEENS1_25partition_config_selectorILNS1_17partition_subalgoE4EjNS0_10empty_typeEbEEZZNS1_14partition_implILS8_4ELb0ES6_15HIP_vector_typeIjLj2EENS0_17counting_iteratorIjlEEPS9_SG_NS0_5tupleIJPjSI_NS0_16reverse_iteratorISI_EEEEENSH_IJSG_SG_SG_EEES9_SI_JZNS1_25segmented_radix_sort_implINS0_14default_configELb0EPKdPdPKlPlN2at6native12_GLOBAL__N_18offset_tEEE10hipError_tPvRmT1_PNSt15iterator_traitsIS12_E10value_typeET2_T3_PNS13_IS18_E10value_typeET4_jRbjT5_S1E_jjP12ihipStream_tbEUljE_ZNSN_ISO_Lb0ESQ_SR_ST_SU_SY_EESZ_S10_S11_S12_S16_S17_S18_S1B_S1C_jS1D_jS1E_S1E_jjS1G_bEUljE0_EEESZ_S10_S11_S18_S1C_S1E_T6_T7_T9_mT8_S1G_bDpT10_ENKUlT_T0_E_clISt17integral_constantIbLb1EES1T_IbLb0EEEEDaS1P_S1Q_EUlS1P_E_NS1_11comp_targetILNS1_3genE5ELNS1_11target_archE942ELNS1_3gpuE9ELNS1_3repE0EEENS1_30default_config_static_selectorELNS0_4arch9wavefront6targetE1EEEvS12_.private_seg_size, 0
	.set _ZN7rocprim17ROCPRIM_400000_NS6detail17trampoline_kernelINS0_13select_configILj256ELj13ELNS0_17block_load_methodE3ELS4_3ELS4_3ELNS0_20block_scan_algorithmE0ELj4294967295EEENS1_25partition_config_selectorILNS1_17partition_subalgoE4EjNS0_10empty_typeEbEEZZNS1_14partition_implILS8_4ELb0ES6_15HIP_vector_typeIjLj2EENS0_17counting_iteratorIjlEEPS9_SG_NS0_5tupleIJPjSI_NS0_16reverse_iteratorISI_EEEEENSH_IJSG_SG_SG_EEES9_SI_JZNS1_25segmented_radix_sort_implINS0_14default_configELb0EPKdPdPKlPlN2at6native12_GLOBAL__N_18offset_tEEE10hipError_tPvRmT1_PNSt15iterator_traitsIS12_E10value_typeET2_T3_PNS13_IS18_E10value_typeET4_jRbjT5_S1E_jjP12ihipStream_tbEUljE_ZNSN_ISO_Lb0ESQ_SR_ST_SU_SY_EESZ_S10_S11_S12_S16_S17_S18_S1B_S1C_jS1D_jS1E_S1E_jjS1G_bEUljE0_EEESZ_S10_S11_S18_S1C_S1E_T6_T7_T9_mT8_S1G_bDpT10_ENKUlT_T0_E_clISt17integral_constantIbLb1EES1T_IbLb0EEEEDaS1P_S1Q_EUlS1P_E_NS1_11comp_targetILNS1_3genE5ELNS1_11target_archE942ELNS1_3gpuE9ELNS1_3repE0EEENS1_30default_config_static_selectorELNS0_4arch9wavefront6targetE1EEEvS12_.uses_vcc, 0
	.set _ZN7rocprim17ROCPRIM_400000_NS6detail17trampoline_kernelINS0_13select_configILj256ELj13ELNS0_17block_load_methodE3ELS4_3ELS4_3ELNS0_20block_scan_algorithmE0ELj4294967295EEENS1_25partition_config_selectorILNS1_17partition_subalgoE4EjNS0_10empty_typeEbEEZZNS1_14partition_implILS8_4ELb0ES6_15HIP_vector_typeIjLj2EENS0_17counting_iteratorIjlEEPS9_SG_NS0_5tupleIJPjSI_NS0_16reverse_iteratorISI_EEEEENSH_IJSG_SG_SG_EEES9_SI_JZNS1_25segmented_radix_sort_implINS0_14default_configELb0EPKdPdPKlPlN2at6native12_GLOBAL__N_18offset_tEEE10hipError_tPvRmT1_PNSt15iterator_traitsIS12_E10value_typeET2_T3_PNS13_IS18_E10value_typeET4_jRbjT5_S1E_jjP12ihipStream_tbEUljE_ZNSN_ISO_Lb0ESQ_SR_ST_SU_SY_EESZ_S10_S11_S12_S16_S17_S18_S1B_S1C_jS1D_jS1E_S1E_jjS1G_bEUljE0_EEESZ_S10_S11_S18_S1C_S1E_T6_T7_T9_mT8_S1G_bDpT10_ENKUlT_T0_E_clISt17integral_constantIbLb1EES1T_IbLb0EEEEDaS1P_S1Q_EUlS1P_E_NS1_11comp_targetILNS1_3genE5ELNS1_11target_archE942ELNS1_3gpuE9ELNS1_3repE0EEENS1_30default_config_static_selectorELNS0_4arch9wavefront6targetE1EEEvS12_.uses_flat_scratch, 0
	.set _ZN7rocprim17ROCPRIM_400000_NS6detail17trampoline_kernelINS0_13select_configILj256ELj13ELNS0_17block_load_methodE3ELS4_3ELS4_3ELNS0_20block_scan_algorithmE0ELj4294967295EEENS1_25partition_config_selectorILNS1_17partition_subalgoE4EjNS0_10empty_typeEbEEZZNS1_14partition_implILS8_4ELb0ES6_15HIP_vector_typeIjLj2EENS0_17counting_iteratorIjlEEPS9_SG_NS0_5tupleIJPjSI_NS0_16reverse_iteratorISI_EEEEENSH_IJSG_SG_SG_EEES9_SI_JZNS1_25segmented_radix_sort_implINS0_14default_configELb0EPKdPdPKlPlN2at6native12_GLOBAL__N_18offset_tEEE10hipError_tPvRmT1_PNSt15iterator_traitsIS12_E10value_typeET2_T3_PNS13_IS18_E10value_typeET4_jRbjT5_S1E_jjP12ihipStream_tbEUljE_ZNSN_ISO_Lb0ESQ_SR_ST_SU_SY_EESZ_S10_S11_S12_S16_S17_S18_S1B_S1C_jS1D_jS1E_S1E_jjS1G_bEUljE0_EEESZ_S10_S11_S18_S1C_S1E_T6_T7_T9_mT8_S1G_bDpT10_ENKUlT_T0_E_clISt17integral_constantIbLb1EES1T_IbLb0EEEEDaS1P_S1Q_EUlS1P_E_NS1_11comp_targetILNS1_3genE5ELNS1_11target_archE942ELNS1_3gpuE9ELNS1_3repE0EEENS1_30default_config_static_selectorELNS0_4arch9wavefront6targetE1EEEvS12_.has_dyn_sized_stack, 0
	.set _ZN7rocprim17ROCPRIM_400000_NS6detail17trampoline_kernelINS0_13select_configILj256ELj13ELNS0_17block_load_methodE3ELS4_3ELS4_3ELNS0_20block_scan_algorithmE0ELj4294967295EEENS1_25partition_config_selectorILNS1_17partition_subalgoE4EjNS0_10empty_typeEbEEZZNS1_14partition_implILS8_4ELb0ES6_15HIP_vector_typeIjLj2EENS0_17counting_iteratorIjlEEPS9_SG_NS0_5tupleIJPjSI_NS0_16reverse_iteratorISI_EEEEENSH_IJSG_SG_SG_EEES9_SI_JZNS1_25segmented_radix_sort_implINS0_14default_configELb0EPKdPdPKlPlN2at6native12_GLOBAL__N_18offset_tEEE10hipError_tPvRmT1_PNSt15iterator_traitsIS12_E10value_typeET2_T3_PNS13_IS18_E10value_typeET4_jRbjT5_S1E_jjP12ihipStream_tbEUljE_ZNSN_ISO_Lb0ESQ_SR_ST_SU_SY_EESZ_S10_S11_S12_S16_S17_S18_S1B_S1C_jS1D_jS1E_S1E_jjS1G_bEUljE0_EEESZ_S10_S11_S18_S1C_S1E_T6_T7_T9_mT8_S1G_bDpT10_ENKUlT_T0_E_clISt17integral_constantIbLb1EES1T_IbLb0EEEEDaS1P_S1Q_EUlS1P_E_NS1_11comp_targetILNS1_3genE5ELNS1_11target_archE942ELNS1_3gpuE9ELNS1_3repE0EEENS1_30default_config_static_selectorELNS0_4arch9wavefront6targetE1EEEvS12_.has_recursion, 0
	.set _ZN7rocprim17ROCPRIM_400000_NS6detail17trampoline_kernelINS0_13select_configILj256ELj13ELNS0_17block_load_methodE3ELS4_3ELS4_3ELNS0_20block_scan_algorithmE0ELj4294967295EEENS1_25partition_config_selectorILNS1_17partition_subalgoE4EjNS0_10empty_typeEbEEZZNS1_14partition_implILS8_4ELb0ES6_15HIP_vector_typeIjLj2EENS0_17counting_iteratorIjlEEPS9_SG_NS0_5tupleIJPjSI_NS0_16reverse_iteratorISI_EEEEENSH_IJSG_SG_SG_EEES9_SI_JZNS1_25segmented_radix_sort_implINS0_14default_configELb0EPKdPdPKlPlN2at6native12_GLOBAL__N_18offset_tEEE10hipError_tPvRmT1_PNSt15iterator_traitsIS12_E10value_typeET2_T3_PNS13_IS18_E10value_typeET4_jRbjT5_S1E_jjP12ihipStream_tbEUljE_ZNSN_ISO_Lb0ESQ_SR_ST_SU_SY_EESZ_S10_S11_S12_S16_S17_S18_S1B_S1C_jS1D_jS1E_S1E_jjS1G_bEUljE0_EEESZ_S10_S11_S18_S1C_S1E_T6_T7_T9_mT8_S1G_bDpT10_ENKUlT_T0_E_clISt17integral_constantIbLb1EES1T_IbLb0EEEEDaS1P_S1Q_EUlS1P_E_NS1_11comp_targetILNS1_3genE5ELNS1_11target_archE942ELNS1_3gpuE9ELNS1_3repE0EEENS1_30default_config_static_selectorELNS0_4arch9wavefront6targetE1EEEvS12_.has_indirect_call, 0
	.section	.AMDGPU.csdata,"",@progbits
; Kernel info:
; codeLenInByte = 0
; TotalNumSgprs: 4
; NumVgprs: 0
; ScratchSize: 0
; MemoryBound: 0
; FloatMode: 240
; IeeeMode: 1
; LDSByteSize: 0 bytes/workgroup (compile time only)
; SGPRBlocks: 0
; VGPRBlocks: 0
; NumSGPRsForWavesPerEU: 4
; NumVGPRsForWavesPerEU: 1
; Occupancy: 10
; WaveLimiterHint : 0
; COMPUTE_PGM_RSRC2:SCRATCH_EN: 0
; COMPUTE_PGM_RSRC2:USER_SGPR: 6
; COMPUTE_PGM_RSRC2:TRAP_HANDLER: 0
; COMPUTE_PGM_RSRC2:TGID_X_EN: 1
; COMPUTE_PGM_RSRC2:TGID_Y_EN: 0
; COMPUTE_PGM_RSRC2:TGID_Z_EN: 0
; COMPUTE_PGM_RSRC2:TIDIG_COMP_CNT: 0
	.section	.text._ZN7rocprim17ROCPRIM_400000_NS6detail17trampoline_kernelINS0_13select_configILj256ELj13ELNS0_17block_load_methodE3ELS4_3ELS4_3ELNS0_20block_scan_algorithmE0ELj4294967295EEENS1_25partition_config_selectorILNS1_17partition_subalgoE4EjNS0_10empty_typeEbEEZZNS1_14partition_implILS8_4ELb0ES6_15HIP_vector_typeIjLj2EENS0_17counting_iteratorIjlEEPS9_SG_NS0_5tupleIJPjSI_NS0_16reverse_iteratorISI_EEEEENSH_IJSG_SG_SG_EEES9_SI_JZNS1_25segmented_radix_sort_implINS0_14default_configELb0EPKdPdPKlPlN2at6native12_GLOBAL__N_18offset_tEEE10hipError_tPvRmT1_PNSt15iterator_traitsIS12_E10value_typeET2_T3_PNS13_IS18_E10value_typeET4_jRbjT5_S1E_jjP12ihipStream_tbEUljE_ZNSN_ISO_Lb0ESQ_SR_ST_SU_SY_EESZ_S10_S11_S12_S16_S17_S18_S1B_S1C_jS1D_jS1E_S1E_jjS1G_bEUljE0_EEESZ_S10_S11_S18_S1C_S1E_T6_T7_T9_mT8_S1G_bDpT10_ENKUlT_T0_E_clISt17integral_constantIbLb1EES1T_IbLb0EEEEDaS1P_S1Q_EUlS1P_E_NS1_11comp_targetILNS1_3genE4ELNS1_11target_archE910ELNS1_3gpuE8ELNS1_3repE0EEENS1_30default_config_static_selectorELNS0_4arch9wavefront6targetE1EEEvS12_,"axG",@progbits,_ZN7rocprim17ROCPRIM_400000_NS6detail17trampoline_kernelINS0_13select_configILj256ELj13ELNS0_17block_load_methodE3ELS4_3ELS4_3ELNS0_20block_scan_algorithmE0ELj4294967295EEENS1_25partition_config_selectorILNS1_17partition_subalgoE4EjNS0_10empty_typeEbEEZZNS1_14partition_implILS8_4ELb0ES6_15HIP_vector_typeIjLj2EENS0_17counting_iteratorIjlEEPS9_SG_NS0_5tupleIJPjSI_NS0_16reverse_iteratorISI_EEEEENSH_IJSG_SG_SG_EEES9_SI_JZNS1_25segmented_radix_sort_implINS0_14default_configELb0EPKdPdPKlPlN2at6native12_GLOBAL__N_18offset_tEEE10hipError_tPvRmT1_PNSt15iterator_traitsIS12_E10value_typeET2_T3_PNS13_IS18_E10value_typeET4_jRbjT5_S1E_jjP12ihipStream_tbEUljE_ZNSN_ISO_Lb0ESQ_SR_ST_SU_SY_EESZ_S10_S11_S12_S16_S17_S18_S1B_S1C_jS1D_jS1E_S1E_jjS1G_bEUljE0_EEESZ_S10_S11_S18_S1C_S1E_T6_T7_T9_mT8_S1G_bDpT10_ENKUlT_T0_E_clISt17integral_constantIbLb1EES1T_IbLb0EEEEDaS1P_S1Q_EUlS1P_E_NS1_11comp_targetILNS1_3genE4ELNS1_11target_archE910ELNS1_3gpuE8ELNS1_3repE0EEENS1_30default_config_static_selectorELNS0_4arch9wavefront6targetE1EEEvS12_,comdat
	.globl	_ZN7rocprim17ROCPRIM_400000_NS6detail17trampoline_kernelINS0_13select_configILj256ELj13ELNS0_17block_load_methodE3ELS4_3ELS4_3ELNS0_20block_scan_algorithmE0ELj4294967295EEENS1_25partition_config_selectorILNS1_17partition_subalgoE4EjNS0_10empty_typeEbEEZZNS1_14partition_implILS8_4ELb0ES6_15HIP_vector_typeIjLj2EENS0_17counting_iteratorIjlEEPS9_SG_NS0_5tupleIJPjSI_NS0_16reverse_iteratorISI_EEEEENSH_IJSG_SG_SG_EEES9_SI_JZNS1_25segmented_radix_sort_implINS0_14default_configELb0EPKdPdPKlPlN2at6native12_GLOBAL__N_18offset_tEEE10hipError_tPvRmT1_PNSt15iterator_traitsIS12_E10value_typeET2_T3_PNS13_IS18_E10value_typeET4_jRbjT5_S1E_jjP12ihipStream_tbEUljE_ZNSN_ISO_Lb0ESQ_SR_ST_SU_SY_EESZ_S10_S11_S12_S16_S17_S18_S1B_S1C_jS1D_jS1E_S1E_jjS1G_bEUljE0_EEESZ_S10_S11_S18_S1C_S1E_T6_T7_T9_mT8_S1G_bDpT10_ENKUlT_T0_E_clISt17integral_constantIbLb1EES1T_IbLb0EEEEDaS1P_S1Q_EUlS1P_E_NS1_11comp_targetILNS1_3genE4ELNS1_11target_archE910ELNS1_3gpuE8ELNS1_3repE0EEENS1_30default_config_static_selectorELNS0_4arch9wavefront6targetE1EEEvS12_ ; -- Begin function _ZN7rocprim17ROCPRIM_400000_NS6detail17trampoline_kernelINS0_13select_configILj256ELj13ELNS0_17block_load_methodE3ELS4_3ELS4_3ELNS0_20block_scan_algorithmE0ELj4294967295EEENS1_25partition_config_selectorILNS1_17partition_subalgoE4EjNS0_10empty_typeEbEEZZNS1_14partition_implILS8_4ELb0ES6_15HIP_vector_typeIjLj2EENS0_17counting_iteratorIjlEEPS9_SG_NS0_5tupleIJPjSI_NS0_16reverse_iteratorISI_EEEEENSH_IJSG_SG_SG_EEES9_SI_JZNS1_25segmented_radix_sort_implINS0_14default_configELb0EPKdPdPKlPlN2at6native12_GLOBAL__N_18offset_tEEE10hipError_tPvRmT1_PNSt15iterator_traitsIS12_E10value_typeET2_T3_PNS13_IS18_E10value_typeET4_jRbjT5_S1E_jjP12ihipStream_tbEUljE_ZNSN_ISO_Lb0ESQ_SR_ST_SU_SY_EESZ_S10_S11_S12_S16_S17_S18_S1B_S1C_jS1D_jS1E_S1E_jjS1G_bEUljE0_EEESZ_S10_S11_S18_S1C_S1E_T6_T7_T9_mT8_S1G_bDpT10_ENKUlT_T0_E_clISt17integral_constantIbLb1EES1T_IbLb0EEEEDaS1P_S1Q_EUlS1P_E_NS1_11comp_targetILNS1_3genE4ELNS1_11target_archE910ELNS1_3gpuE8ELNS1_3repE0EEENS1_30default_config_static_selectorELNS0_4arch9wavefront6targetE1EEEvS12_
	.p2align	8
	.type	_ZN7rocprim17ROCPRIM_400000_NS6detail17trampoline_kernelINS0_13select_configILj256ELj13ELNS0_17block_load_methodE3ELS4_3ELS4_3ELNS0_20block_scan_algorithmE0ELj4294967295EEENS1_25partition_config_selectorILNS1_17partition_subalgoE4EjNS0_10empty_typeEbEEZZNS1_14partition_implILS8_4ELb0ES6_15HIP_vector_typeIjLj2EENS0_17counting_iteratorIjlEEPS9_SG_NS0_5tupleIJPjSI_NS0_16reverse_iteratorISI_EEEEENSH_IJSG_SG_SG_EEES9_SI_JZNS1_25segmented_radix_sort_implINS0_14default_configELb0EPKdPdPKlPlN2at6native12_GLOBAL__N_18offset_tEEE10hipError_tPvRmT1_PNSt15iterator_traitsIS12_E10value_typeET2_T3_PNS13_IS18_E10value_typeET4_jRbjT5_S1E_jjP12ihipStream_tbEUljE_ZNSN_ISO_Lb0ESQ_SR_ST_SU_SY_EESZ_S10_S11_S12_S16_S17_S18_S1B_S1C_jS1D_jS1E_S1E_jjS1G_bEUljE0_EEESZ_S10_S11_S18_S1C_S1E_T6_T7_T9_mT8_S1G_bDpT10_ENKUlT_T0_E_clISt17integral_constantIbLb1EES1T_IbLb0EEEEDaS1P_S1Q_EUlS1P_E_NS1_11comp_targetILNS1_3genE4ELNS1_11target_archE910ELNS1_3gpuE8ELNS1_3repE0EEENS1_30default_config_static_selectorELNS0_4arch9wavefront6targetE1EEEvS12_,@function
_ZN7rocprim17ROCPRIM_400000_NS6detail17trampoline_kernelINS0_13select_configILj256ELj13ELNS0_17block_load_methodE3ELS4_3ELS4_3ELNS0_20block_scan_algorithmE0ELj4294967295EEENS1_25partition_config_selectorILNS1_17partition_subalgoE4EjNS0_10empty_typeEbEEZZNS1_14partition_implILS8_4ELb0ES6_15HIP_vector_typeIjLj2EENS0_17counting_iteratorIjlEEPS9_SG_NS0_5tupleIJPjSI_NS0_16reverse_iteratorISI_EEEEENSH_IJSG_SG_SG_EEES9_SI_JZNS1_25segmented_radix_sort_implINS0_14default_configELb0EPKdPdPKlPlN2at6native12_GLOBAL__N_18offset_tEEE10hipError_tPvRmT1_PNSt15iterator_traitsIS12_E10value_typeET2_T3_PNS13_IS18_E10value_typeET4_jRbjT5_S1E_jjP12ihipStream_tbEUljE_ZNSN_ISO_Lb0ESQ_SR_ST_SU_SY_EESZ_S10_S11_S12_S16_S17_S18_S1B_S1C_jS1D_jS1E_S1E_jjS1G_bEUljE0_EEESZ_S10_S11_S18_S1C_S1E_T6_T7_T9_mT8_S1G_bDpT10_ENKUlT_T0_E_clISt17integral_constantIbLb1EES1T_IbLb0EEEEDaS1P_S1Q_EUlS1P_E_NS1_11comp_targetILNS1_3genE4ELNS1_11target_archE910ELNS1_3gpuE8ELNS1_3repE0EEENS1_30default_config_static_selectorELNS0_4arch9wavefront6targetE1EEEvS12_: ; @_ZN7rocprim17ROCPRIM_400000_NS6detail17trampoline_kernelINS0_13select_configILj256ELj13ELNS0_17block_load_methodE3ELS4_3ELS4_3ELNS0_20block_scan_algorithmE0ELj4294967295EEENS1_25partition_config_selectorILNS1_17partition_subalgoE4EjNS0_10empty_typeEbEEZZNS1_14partition_implILS8_4ELb0ES6_15HIP_vector_typeIjLj2EENS0_17counting_iteratorIjlEEPS9_SG_NS0_5tupleIJPjSI_NS0_16reverse_iteratorISI_EEEEENSH_IJSG_SG_SG_EEES9_SI_JZNS1_25segmented_radix_sort_implINS0_14default_configELb0EPKdPdPKlPlN2at6native12_GLOBAL__N_18offset_tEEE10hipError_tPvRmT1_PNSt15iterator_traitsIS12_E10value_typeET2_T3_PNS13_IS18_E10value_typeET4_jRbjT5_S1E_jjP12ihipStream_tbEUljE_ZNSN_ISO_Lb0ESQ_SR_ST_SU_SY_EESZ_S10_S11_S12_S16_S17_S18_S1B_S1C_jS1D_jS1E_S1E_jjS1G_bEUljE0_EEESZ_S10_S11_S18_S1C_S1E_T6_T7_T9_mT8_S1G_bDpT10_ENKUlT_T0_E_clISt17integral_constantIbLb1EES1T_IbLb0EEEEDaS1P_S1Q_EUlS1P_E_NS1_11comp_targetILNS1_3genE4ELNS1_11target_archE910ELNS1_3gpuE8ELNS1_3repE0EEENS1_30default_config_static_selectorELNS0_4arch9wavefront6targetE1EEEvS12_
; %bb.0:
	.section	.rodata,"a",@progbits
	.p2align	6, 0x0
	.amdhsa_kernel _ZN7rocprim17ROCPRIM_400000_NS6detail17trampoline_kernelINS0_13select_configILj256ELj13ELNS0_17block_load_methodE3ELS4_3ELS4_3ELNS0_20block_scan_algorithmE0ELj4294967295EEENS1_25partition_config_selectorILNS1_17partition_subalgoE4EjNS0_10empty_typeEbEEZZNS1_14partition_implILS8_4ELb0ES6_15HIP_vector_typeIjLj2EENS0_17counting_iteratorIjlEEPS9_SG_NS0_5tupleIJPjSI_NS0_16reverse_iteratorISI_EEEEENSH_IJSG_SG_SG_EEES9_SI_JZNS1_25segmented_radix_sort_implINS0_14default_configELb0EPKdPdPKlPlN2at6native12_GLOBAL__N_18offset_tEEE10hipError_tPvRmT1_PNSt15iterator_traitsIS12_E10value_typeET2_T3_PNS13_IS18_E10value_typeET4_jRbjT5_S1E_jjP12ihipStream_tbEUljE_ZNSN_ISO_Lb0ESQ_SR_ST_SU_SY_EESZ_S10_S11_S12_S16_S17_S18_S1B_S1C_jS1D_jS1E_S1E_jjS1G_bEUljE0_EEESZ_S10_S11_S18_S1C_S1E_T6_T7_T9_mT8_S1G_bDpT10_ENKUlT_T0_E_clISt17integral_constantIbLb1EES1T_IbLb0EEEEDaS1P_S1Q_EUlS1P_E_NS1_11comp_targetILNS1_3genE4ELNS1_11target_archE910ELNS1_3gpuE8ELNS1_3repE0EEENS1_30default_config_static_selectorELNS0_4arch9wavefront6targetE1EEEvS12_
		.amdhsa_group_segment_fixed_size 0
		.amdhsa_private_segment_fixed_size 0
		.amdhsa_kernarg_size 176
		.amdhsa_user_sgpr_count 6
		.amdhsa_user_sgpr_private_segment_buffer 1
		.amdhsa_user_sgpr_dispatch_ptr 0
		.amdhsa_user_sgpr_queue_ptr 0
		.amdhsa_user_sgpr_kernarg_segment_ptr 1
		.amdhsa_user_sgpr_dispatch_id 0
		.amdhsa_user_sgpr_flat_scratch_init 0
		.amdhsa_user_sgpr_private_segment_size 0
		.amdhsa_uses_dynamic_stack 0
		.amdhsa_system_sgpr_private_segment_wavefront_offset 0
		.amdhsa_system_sgpr_workgroup_id_x 1
		.amdhsa_system_sgpr_workgroup_id_y 0
		.amdhsa_system_sgpr_workgroup_id_z 0
		.amdhsa_system_sgpr_workgroup_info 0
		.amdhsa_system_vgpr_workitem_id 0
		.amdhsa_next_free_vgpr 1
		.amdhsa_next_free_sgpr 0
		.amdhsa_reserve_vcc 0
		.amdhsa_reserve_flat_scratch 0
		.amdhsa_float_round_mode_32 0
		.amdhsa_float_round_mode_16_64 0
		.amdhsa_float_denorm_mode_32 3
		.amdhsa_float_denorm_mode_16_64 3
		.amdhsa_dx10_clamp 1
		.amdhsa_ieee_mode 1
		.amdhsa_fp16_overflow 0
		.amdhsa_exception_fp_ieee_invalid_op 0
		.amdhsa_exception_fp_denorm_src 0
		.amdhsa_exception_fp_ieee_div_zero 0
		.amdhsa_exception_fp_ieee_overflow 0
		.amdhsa_exception_fp_ieee_underflow 0
		.amdhsa_exception_fp_ieee_inexact 0
		.amdhsa_exception_int_div_zero 0
	.end_amdhsa_kernel
	.section	.text._ZN7rocprim17ROCPRIM_400000_NS6detail17trampoline_kernelINS0_13select_configILj256ELj13ELNS0_17block_load_methodE3ELS4_3ELS4_3ELNS0_20block_scan_algorithmE0ELj4294967295EEENS1_25partition_config_selectorILNS1_17partition_subalgoE4EjNS0_10empty_typeEbEEZZNS1_14partition_implILS8_4ELb0ES6_15HIP_vector_typeIjLj2EENS0_17counting_iteratorIjlEEPS9_SG_NS0_5tupleIJPjSI_NS0_16reverse_iteratorISI_EEEEENSH_IJSG_SG_SG_EEES9_SI_JZNS1_25segmented_radix_sort_implINS0_14default_configELb0EPKdPdPKlPlN2at6native12_GLOBAL__N_18offset_tEEE10hipError_tPvRmT1_PNSt15iterator_traitsIS12_E10value_typeET2_T3_PNS13_IS18_E10value_typeET4_jRbjT5_S1E_jjP12ihipStream_tbEUljE_ZNSN_ISO_Lb0ESQ_SR_ST_SU_SY_EESZ_S10_S11_S12_S16_S17_S18_S1B_S1C_jS1D_jS1E_S1E_jjS1G_bEUljE0_EEESZ_S10_S11_S18_S1C_S1E_T6_T7_T9_mT8_S1G_bDpT10_ENKUlT_T0_E_clISt17integral_constantIbLb1EES1T_IbLb0EEEEDaS1P_S1Q_EUlS1P_E_NS1_11comp_targetILNS1_3genE4ELNS1_11target_archE910ELNS1_3gpuE8ELNS1_3repE0EEENS1_30default_config_static_selectorELNS0_4arch9wavefront6targetE1EEEvS12_,"axG",@progbits,_ZN7rocprim17ROCPRIM_400000_NS6detail17trampoline_kernelINS0_13select_configILj256ELj13ELNS0_17block_load_methodE3ELS4_3ELS4_3ELNS0_20block_scan_algorithmE0ELj4294967295EEENS1_25partition_config_selectorILNS1_17partition_subalgoE4EjNS0_10empty_typeEbEEZZNS1_14partition_implILS8_4ELb0ES6_15HIP_vector_typeIjLj2EENS0_17counting_iteratorIjlEEPS9_SG_NS0_5tupleIJPjSI_NS0_16reverse_iteratorISI_EEEEENSH_IJSG_SG_SG_EEES9_SI_JZNS1_25segmented_radix_sort_implINS0_14default_configELb0EPKdPdPKlPlN2at6native12_GLOBAL__N_18offset_tEEE10hipError_tPvRmT1_PNSt15iterator_traitsIS12_E10value_typeET2_T3_PNS13_IS18_E10value_typeET4_jRbjT5_S1E_jjP12ihipStream_tbEUljE_ZNSN_ISO_Lb0ESQ_SR_ST_SU_SY_EESZ_S10_S11_S12_S16_S17_S18_S1B_S1C_jS1D_jS1E_S1E_jjS1G_bEUljE0_EEESZ_S10_S11_S18_S1C_S1E_T6_T7_T9_mT8_S1G_bDpT10_ENKUlT_T0_E_clISt17integral_constantIbLb1EES1T_IbLb0EEEEDaS1P_S1Q_EUlS1P_E_NS1_11comp_targetILNS1_3genE4ELNS1_11target_archE910ELNS1_3gpuE8ELNS1_3repE0EEENS1_30default_config_static_selectorELNS0_4arch9wavefront6targetE1EEEvS12_,comdat
.Lfunc_end1175:
	.size	_ZN7rocprim17ROCPRIM_400000_NS6detail17trampoline_kernelINS0_13select_configILj256ELj13ELNS0_17block_load_methodE3ELS4_3ELS4_3ELNS0_20block_scan_algorithmE0ELj4294967295EEENS1_25partition_config_selectorILNS1_17partition_subalgoE4EjNS0_10empty_typeEbEEZZNS1_14partition_implILS8_4ELb0ES6_15HIP_vector_typeIjLj2EENS0_17counting_iteratorIjlEEPS9_SG_NS0_5tupleIJPjSI_NS0_16reverse_iteratorISI_EEEEENSH_IJSG_SG_SG_EEES9_SI_JZNS1_25segmented_radix_sort_implINS0_14default_configELb0EPKdPdPKlPlN2at6native12_GLOBAL__N_18offset_tEEE10hipError_tPvRmT1_PNSt15iterator_traitsIS12_E10value_typeET2_T3_PNS13_IS18_E10value_typeET4_jRbjT5_S1E_jjP12ihipStream_tbEUljE_ZNSN_ISO_Lb0ESQ_SR_ST_SU_SY_EESZ_S10_S11_S12_S16_S17_S18_S1B_S1C_jS1D_jS1E_S1E_jjS1G_bEUljE0_EEESZ_S10_S11_S18_S1C_S1E_T6_T7_T9_mT8_S1G_bDpT10_ENKUlT_T0_E_clISt17integral_constantIbLb1EES1T_IbLb0EEEEDaS1P_S1Q_EUlS1P_E_NS1_11comp_targetILNS1_3genE4ELNS1_11target_archE910ELNS1_3gpuE8ELNS1_3repE0EEENS1_30default_config_static_selectorELNS0_4arch9wavefront6targetE1EEEvS12_, .Lfunc_end1175-_ZN7rocprim17ROCPRIM_400000_NS6detail17trampoline_kernelINS0_13select_configILj256ELj13ELNS0_17block_load_methodE3ELS4_3ELS4_3ELNS0_20block_scan_algorithmE0ELj4294967295EEENS1_25partition_config_selectorILNS1_17partition_subalgoE4EjNS0_10empty_typeEbEEZZNS1_14partition_implILS8_4ELb0ES6_15HIP_vector_typeIjLj2EENS0_17counting_iteratorIjlEEPS9_SG_NS0_5tupleIJPjSI_NS0_16reverse_iteratorISI_EEEEENSH_IJSG_SG_SG_EEES9_SI_JZNS1_25segmented_radix_sort_implINS0_14default_configELb0EPKdPdPKlPlN2at6native12_GLOBAL__N_18offset_tEEE10hipError_tPvRmT1_PNSt15iterator_traitsIS12_E10value_typeET2_T3_PNS13_IS18_E10value_typeET4_jRbjT5_S1E_jjP12ihipStream_tbEUljE_ZNSN_ISO_Lb0ESQ_SR_ST_SU_SY_EESZ_S10_S11_S12_S16_S17_S18_S1B_S1C_jS1D_jS1E_S1E_jjS1G_bEUljE0_EEESZ_S10_S11_S18_S1C_S1E_T6_T7_T9_mT8_S1G_bDpT10_ENKUlT_T0_E_clISt17integral_constantIbLb1EES1T_IbLb0EEEEDaS1P_S1Q_EUlS1P_E_NS1_11comp_targetILNS1_3genE4ELNS1_11target_archE910ELNS1_3gpuE8ELNS1_3repE0EEENS1_30default_config_static_selectorELNS0_4arch9wavefront6targetE1EEEvS12_
                                        ; -- End function
	.set _ZN7rocprim17ROCPRIM_400000_NS6detail17trampoline_kernelINS0_13select_configILj256ELj13ELNS0_17block_load_methodE3ELS4_3ELS4_3ELNS0_20block_scan_algorithmE0ELj4294967295EEENS1_25partition_config_selectorILNS1_17partition_subalgoE4EjNS0_10empty_typeEbEEZZNS1_14partition_implILS8_4ELb0ES6_15HIP_vector_typeIjLj2EENS0_17counting_iteratorIjlEEPS9_SG_NS0_5tupleIJPjSI_NS0_16reverse_iteratorISI_EEEEENSH_IJSG_SG_SG_EEES9_SI_JZNS1_25segmented_radix_sort_implINS0_14default_configELb0EPKdPdPKlPlN2at6native12_GLOBAL__N_18offset_tEEE10hipError_tPvRmT1_PNSt15iterator_traitsIS12_E10value_typeET2_T3_PNS13_IS18_E10value_typeET4_jRbjT5_S1E_jjP12ihipStream_tbEUljE_ZNSN_ISO_Lb0ESQ_SR_ST_SU_SY_EESZ_S10_S11_S12_S16_S17_S18_S1B_S1C_jS1D_jS1E_S1E_jjS1G_bEUljE0_EEESZ_S10_S11_S18_S1C_S1E_T6_T7_T9_mT8_S1G_bDpT10_ENKUlT_T0_E_clISt17integral_constantIbLb1EES1T_IbLb0EEEEDaS1P_S1Q_EUlS1P_E_NS1_11comp_targetILNS1_3genE4ELNS1_11target_archE910ELNS1_3gpuE8ELNS1_3repE0EEENS1_30default_config_static_selectorELNS0_4arch9wavefront6targetE1EEEvS12_.num_vgpr, 0
	.set _ZN7rocprim17ROCPRIM_400000_NS6detail17trampoline_kernelINS0_13select_configILj256ELj13ELNS0_17block_load_methodE3ELS4_3ELS4_3ELNS0_20block_scan_algorithmE0ELj4294967295EEENS1_25partition_config_selectorILNS1_17partition_subalgoE4EjNS0_10empty_typeEbEEZZNS1_14partition_implILS8_4ELb0ES6_15HIP_vector_typeIjLj2EENS0_17counting_iteratorIjlEEPS9_SG_NS0_5tupleIJPjSI_NS0_16reverse_iteratorISI_EEEEENSH_IJSG_SG_SG_EEES9_SI_JZNS1_25segmented_radix_sort_implINS0_14default_configELb0EPKdPdPKlPlN2at6native12_GLOBAL__N_18offset_tEEE10hipError_tPvRmT1_PNSt15iterator_traitsIS12_E10value_typeET2_T3_PNS13_IS18_E10value_typeET4_jRbjT5_S1E_jjP12ihipStream_tbEUljE_ZNSN_ISO_Lb0ESQ_SR_ST_SU_SY_EESZ_S10_S11_S12_S16_S17_S18_S1B_S1C_jS1D_jS1E_S1E_jjS1G_bEUljE0_EEESZ_S10_S11_S18_S1C_S1E_T6_T7_T9_mT8_S1G_bDpT10_ENKUlT_T0_E_clISt17integral_constantIbLb1EES1T_IbLb0EEEEDaS1P_S1Q_EUlS1P_E_NS1_11comp_targetILNS1_3genE4ELNS1_11target_archE910ELNS1_3gpuE8ELNS1_3repE0EEENS1_30default_config_static_selectorELNS0_4arch9wavefront6targetE1EEEvS12_.num_agpr, 0
	.set _ZN7rocprim17ROCPRIM_400000_NS6detail17trampoline_kernelINS0_13select_configILj256ELj13ELNS0_17block_load_methodE3ELS4_3ELS4_3ELNS0_20block_scan_algorithmE0ELj4294967295EEENS1_25partition_config_selectorILNS1_17partition_subalgoE4EjNS0_10empty_typeEbEEZZNS1_14partition_implILS8_4ELb0ES6_15HIP_vector_typeIjLj2EENS0_17counting_iteratorIjlEEPS9_SG_NS0_5tupleIJPjSI_NS0_16reverse_iteratorISI_EEEEENSH_IJSG_SG_SG_EEES9_SI_JZNS1_25segmented_radix_sort_implINS0_14default_configELb0EPKdPdPKlPlN2at6native12_GLOBAL__N_18offset_tEEE10hipError_tPvRmT1_PNSt15iterator_traitsIS12_E10value_typeET2_T3_PNS13_IS18_E10value_typeET4_jRbjT5_S1E_jjP12ihipStream_tbEUljE_ZNSN_ISO_Lb0ESQ_SR_ST_SU_SY_EESZ_S10_S11_S12_S16_S17_S18_S1B_S1C_jS1D_jS1E_S1E_jjS1G_bEUljE0_EEESZ_S10_S11_S18_S1C_S1E_T6_T7_T9_mT8_S1G_bDpT10_ENKUlT_T0_E_clISt17integral_constantIbLb1EES1T_IbLb0EEEEDaS1P_S1Q_EUlS1P_E_NS1_11comp_targetILNS1_3genE4ELNS1_11target_archE910ELNS1_3gpuE8ELNS1_3repE0EEENS1_30default_config_static_selectorELNS0_4arch9wavefront6targetE1EEEvS12_.numbered_sgpr, 0
	.set _ZN7rocprim17ROCPRIM_400000_NS6detail17trampoline_kernelINS0_13select_configILj256ELj13ELNS0_17block_load_methodE3ELS4_3ELS4_3ELNS0_20block_scan_algorithmE0ELj4294967295EEENS1_25partition_config_selectorILNS1_17partition_subalgoE4EjNS0_10empty_typeEbEEZZNS1_14partition_implILS8_4ELb0ES6_15HIP_vector_typeIjLj2EENS0_17counting_iteratorIjlEEPS9_SG_NS0_5tupleIJPjSI_NS0_16reverse_iteratorISI_EEEEENSH_IJSG_SG_SG_EEES9_SI_JZNS1_25segmented_radix_sort_implINS0_14default_configELb0EPKdPdPKlPlN2at6native12_GLOBAL__N_18offset_tEEE10hipError_tPvRmT1_PNSt15iterator_traitsIS12_E10value_typeET2_T3_PNS13_IS18_E10value_typeET4_jRbjT5_S1E_jjP12ihipStream_tbEUljE_ZNSN_ISO_Lb0ESQ_SR_ST_SU_SY_EESZ_S10_S11_S12_S16_S17_S18_S1B_S1C_jS1D_jS1E_S1E_jjS1G_bEUljE0_EEESZ_S10_S11_S18_S1C_S1E_T6_T7_T9_mT8_S1G_bDpT10_ENKUlT_T0_E_clISt17integral_constantIbLb1EES1T_IbLb0EEEEDaS1P_S1Q_EUlS1P_E_NS1_11comp_targetILNS1_3genE4ELNS1_11target_archE910ELNS1_3gpuE8ELNS1_3repE0EEENS1_30default_config_static_selectorELNS0_4arch9wavefront6targetE1EEEvS12_.num_named_barrier, 0
	.set _ZN7rocprim17ROCPRIM_400000_NS6detail17trampoline_kernelINS0_13select_configILj256ELj13ELNS0_17block_load_methodE3ELS4_3ELS4_3ELNS0_20block_scan_algorithmE0ELj4294967295EEENS1_25partition_config_selectorILNS1_17partition_subalgoE4EjNS0_10empty_typeEbEEZZNS1_14partition_implILS8_4ELb0ES6_15HIP_vector_typeIjLj2EENS0_17counting_iteratorIjlEEPS9_SG_NS0_5tupleIJPjSI_NS0_16reverse_iteratorISI_EEEEENSH_IJSG_SG_SG_EEES9_SI_JZNS1_25segmented_radix_sort_implINS0_14default_configELb0EPKdPdPKlPlN2at6native12_GLOBAL__N_18offset_tEEE10hipError_tPvRmT1_PNSt15iterator_traitsIS12_E10value_typeET2_T3_PNS13_IS18_E10value_typeET4_jRbjT5_S1E_jjP12ihipStream_tbEUljE_ZNSN_ISO_Lb0ESQ_SR_ST_SU_SY_EESZ_S10_S11_S12_S16_S17_S18_S1B_S1C_jS1D_jS1E_S1E_jjS1G_bEUljE0_EEESZ_S10_S11_S18_S1C_S1E_T6_T7_T9_mT8_S1G_bDpT10_ENKUlT_T0_E_clISt17integral_constantIbLb1EES1T_IbLb0EEEEDaS1P_S1Q_EUlS1P_E_NS1_11comp_targetILNS1_3genE4ELNS1_11target_archE910ELNS1_3gpuE8ELNS1_3repE0EEENS1_30default_config_static_selectorELNS0_4arch9wavefront6targetE1EEEvS12_.private_seg_size, 0
	.set _ZN7rocprim17ROCPRIM_400000_NS6detail17trampoline_kernelINS0_13select_configILj256ELj13ELNS0_17block_load_methodE3ELS4_3ELS4_3ELNS0_20block_scan_algorithmE0ELj4294967295EEENS1_25partition_config_selectorILNS1_17partition_subalgoE4EjNS0_10empty_typeEbEEZZNS1_14partition_implILS8_4ELb0ES6_15HIP_vector_typeIjLj2EENS0_17counting_iteratorIjlEEPS9_SG_NS0_5tupleIJPjSI_NS0_16reverse_iteratorISI_EEEEENSH_IJSG_SG_SG_EEES9_SI_JZNS1_25segmented_radix_sort_implINS0_14default_configELb0EPKdPdPKlPlN2at6native12_GLOBAL__N_18offset_tEEE10hipError_tPvRmT1_PNSt15iterator_traitsIS12_E10value_typeET2_T3_PNS13_IS18_E10value_typeET4_jRbjT5_S1E_jjP12ihipStream_tbEUljE_ZNSN_ISO_Lb0ESQ_SR_ST_SU_SY_EESZ_S10_S11_S12_S16_S17_S18_S1B_S1C_jS1D_jS1E_S1E_jjS1G_bEUljE0_EEESZ_S10_S11_S18_S1C_S1E_T6_T7_T9_mT8_S1G_bDpT10_ENKUlT_T0_E_clISt17integral_constantIbLb1EES1T_IbLb0EEEEDaS1P_S1Q_EUlS1P_E_NS1_11comp_targetILNS1_3genE4ELNS1_11target_archE910ELNS1_3gpuE8ELNS1_3repE0EEENS1_30default_config_static_selectorELNS0_4arch9wavefront6targetE1EEEvS12_.uses_vcc, 0
	.set _ZN7rocprim17ROCPRIM_400000_NS6detail17trampoline_kernelINS0_13select_configILj256ELj13ELNS0_17block_load_methodE3ELS4_3ELS4_3ELNS0_20block_scan_algorithmE0ELj4294967295EEENS1_25partition_config_selectorILNS1_17partition_subalgoE4EjNS0_10empty_typeEbEEZZNS1_14partition_implILS8_4ELb0ES6_15HIP_vector_typeIjLj2EENS0_17counting_iteratorIjlEEPS9_SG_NS0_5tupleIJPjSI_NS0_16reverse_iteratorISI_EEEEENSH_IJSG_SG_SG_EEES9_SI_JZNS1_25segmented_radix_sort_implINS0_14default_configELb0EPKdPdPKlPlN2at6native12_GLOBAL__N_18offset_tEEE10hipError_tPvRmT1_PNSt15iterator_traitsIS12_E10value_typeET2_T3_PNS13_IS18_E10value_typeET4_jRbjT5_S1E_jjP12ihipStream_tbEUljE_ZNSN_ISO_Lb0ESQ_SR_ST_SU_SY_EESZ_S10_S11_S12_S16_S17_S18_S1B_S1C_jS1D_jS1E_S1E_jjS1G_bEUljE0_EEESZ_S10_S11_S18_S1C_S1E_T6_T7_T9_mT8_S1G_bDpT10_ENKUlT_T0_E_clISt17integral_constantIbLb1EES1T_IbLb0EEEEDaS1P_S1Q_EUlS1P_E_NS1_11comp_targetILNS1_3genE4ELNS1_11target_archE910ELNS1_3gpuE8ELNS1_3repE0EEENS1_30default_config_static_selectorELNS0_4arch9wavefront6targetE1EEEvS12_.uses_flat_scratch, 0
	.set _ZN7rocprim17ROCPRIM_400000_NS6detail17trampoline_kernelINS0_13select_configILj256ELj13ELNS0_17block_load_methodE3ELS4_3ELS4_3ELNS0_20block_scan_algorithmE0ELj4294967295EEENS1_25partition_config_selectorILNS1_17partition_subalgoE4EjNS0_10empty_typeEbEEZZNS1_14partition_implILS8_4ELb0ES6_15HIP_vector_typeIjLj2EENS0_17counting_iteratorIjlEEPS9_SG_NS0_5tupleIJPjSI_NS0_16reverse_iteratorISI_EEEEENSH_IJSG_SG_SG_EEES9_SI_JZNS1_25segmented_radix_sort_implINS0_14default_configELb0EPKdPdPKlPlN2at6native12_GLOBAL__N_18offset_tEEE10hipError_tPvRmT1_PNSt15iterator_traitsIS12_E10value_typeET2_T3_PNS13_IS18_E10value_typeET4_jRbjT5_S1E_jjP12ihipStream_tbEUljE_ZNSN_ISO_Lb0ESQ_SR_ST_SU_SY_EESZ_S10_S11_S12_S16_S17_S18_S1B_S1C_jS1D_jS1E_S1E_jjS1G_bEUljE0_EEESZ_S10_S11_S18_S1C_S1E_T6_T7_T9_mT8_S1G_bDpT10_ENKUlT_T0_E_clISt17integral_constantIbLb1EES1T_IbLb0EEEEDaS1P_S1Q_EUlS1P_E_NS1_11comp_targetILNS1_3genE4ELNS1_11target_archE910ELNS1_3gpuE8ELNS1_3repE0EEENS1_30default_config_static_selectorELNS0_4arch9wavefront6targetE1EEEvS12_.has_dyn_sized_stack, 0
	.set _ZN7rocprim17ROCPRIM_400000_NS6detail17trampoline_kernelINS0_13select_configILj256ELj13ELNS0_17block_load_methodE3ELS4_3ELS4_3ELNS0_20block_scan_algorithmE0ELj4294967295EEENS1_25partition_config_selectorILNS1_17partition_subalgoE4EjNS0_10empty_typeEbEEZZNS1_14partition_implILS8_4ELb0ES6_15HIP_vector_typeIjLj2EENS0_17counting_iteratorIjlEEPS9_SG_NS0_5tupleIJPjSI_NS0_16reverse_iteratorISI_EEEEENSH_IJSG_SG_SG_EEES9_SI_JZNS1_25segmented_radix_sort_implINS0_14default_configELb0EPKdPdPKlPlN2at6native12_GLOBAL__N_18offset_tEEE10hipError_tPvRmT1_PNSt15iterator_traitsIS12_E10value_typeET2_T3_PNS13_IS18_E10value_typeET4_jRbjT5_S1E_jjP12ihipStream_tbEUljE_ZNSN_ISO_Lb0ESQ_SR_ST_SU_SY_EESZ_S10_S11_S12_S16_S17_S18_S1B_S1C_jS1D_jS1E_S1E_jjS1G_bEUljE0_EEESZ_S10_S11_S18_S1C_S1E_T6_T7_T9_mT8_S1G_bDpT10_ENKUlT_T0_E_clISt17integral_constantIbLb1EES1T_IbLb0EEEEDaS1P_S1Q_EUlS1P_E_NS1_11comp_targetILNS1_3genE4ELNS1_11target_archE910ELNS1_3gpuE8ELNS1_3repE0EEENS1_30default_config_static_selectorELNS0_4arch9wavefront6targetE1EEEvS12_.has_recursion, 0
	.set _ZN7rocprim17ROCPRIM_400000_NS6detail17trampoline_kernelINS0_13select_configILj256ELj13ELNS0_17block_load_methodE3ELS4_3ELS4_3ELNS0_20block_scan_algorithmE0ELj4294967295EEENS1_25partition_config_selectorILNS1_17partition_subalgoE4EjNS0_10empty_typeEbEEZZNS1_14partition_implILS8_4ELb0ES6_15HIP_vector_typeIjLj2EENS0_17counting_iteratorIjlEEPS9_SG_NS0_5tupleIJPjSI_NS0_16reverse_iteratorISI_EEEEENSH_IJSG_SG_SG_EEES9_SI_JZNS1_25segmented_radix_sort_implINS0_14default_configELb0EPKdPdPKlPlN2at6native12_GLOBAL__N_18offset_tEEE10hipError_tPvRmT1_PNSt15iterator_traitsIS12_E10value_typeET2_T3_PNS13_IS18_E10value_typeET4_jRbjT5_S1E_jjP12ihipStream_tbEUljE_ZNSN_ISO_Lb0ESQ_SR_ST_SU_SY_EESZ_S10_S11_S12_S16_S17_S18_S1B_S1C_jS1D_jS1E_S1E_jjS1G_bEUljE0_EEESZ_S10_S11_S18_S1C_S1E_T6_T7_T9_mT8_S1G_bDpT10_ENKUlT_T0_E_clISt17integral_constantIbLb1EES1T_IbLb0EEEEDaS1P_S1Q_EUlS1P_E_NS1_11comp_targetILNS1_3genE4ELNS1_11target_archE910ELNS1_3gpuE8ELNS1_3repE0EEENS1_30default_config_static_selectorELNS0_4arch9wavefront6targetE1EEEvS12_.has_indirect_call, 0
	.section	.AMDGPU.csdata,"",@progbits
; Kernel info:
; codeLenInByte = 0
; TotalNumSgprs: 4
; NumVgprs: 0
; ScratchSize: 0
; MemoryBound: 0
; FloatMode: 240
; IeeeMode: 1
; LDSByteSize: 0 bytes/workgroup (compile time only)
; SGPRBlocks: 0
; VGPRBlocks: 0
; NumSGPRsForWavesPerEU: 4
; NumVGPRsForWavesPerEU: 1
; Occupancy: 10
; WaveLimiterHint : 0
; COMPUTE_PGM_RSRC2:SCRATCH_EN: 0
; COMPUTE_PGM_RSRC2:USER_SGPR: 6
; COMPUTE_PGM_RSRC2:TRAP_HANDLER: 0
; COMPUTE_PGM_RSRC2:TGID_X_EN: 1
; COMPUTE_PGM_RSRC2:TGID_Y_EN: 0
; COMPUTE_PGM_RSRC2:TGID_Z_EN: 0
; COMPUTE_PGM_RSRC2:TIDIG_COMP_CNT: 0
	.section	.text._ZN7rocprim17ROCPRIM_400000_NS6detail17trampoline_kernelINS0_13select_configILj256ELj13ELNS0_17block_load_methodE3ELS4_3ELS4_3ELNS0_20block_scan_algorithmE0ELj4294967295EEENS1_25partition_config_selectorILNS1_17partition_subalgoE4EjNS0_10empty_typeEbEEZZNS1_14partition_implILS8_4ELb0ES6_15HIP_vector_typeIjLj2EENS0_17counting_iteratorIjlEEPS9_SG_NS0_5tupleIJPjSI_NS0_16reverse_iteratorISI_EEEEENSH_IJSG_SG_SG_EEES9_SI_JZNS1_25segmented_radix_sort_implINS0_14default_configELb0EPKdPdPKlPlN2at6native12_GLOBAL__N_18offset_tEEE10hipError_tPvRmT1_PNSt15iterator_traitsIS12_E10value_typeET2_T3_PNS13_IS18_E10value_typeET4_jRbjT5_S1E_jjP12ihipStream_tbEUljE_ZNSN_ISO_Lb0ESQ_SR_ST_SU_SY_EESZ_S10_S11_S12_S16_S17_S18_S1B_S1C_jS1D_jS1E_S1E_jjS1G_bEUljE0_EEESZ_S10_S11_S18_S1C_S1E_T6_T7_T9_mT8_S1G_bDpT10_ENKUlT_T0_E_clISt17integral_constantIbLb1EES1T_IbLb0EEEEDaS1P_S1Q_EUlS1P_E_NS1_11comp_targetILNS1_3genE3ELNS1_11target_archE908ELNS1_3gpuE7ELNS1_3repE0EEENS1_30default_config_static_selectorELNS0_4arch9wavefront6targetE1EEEvS12_,"axG",@progbits,_ZN7rocprim17ROCPRIM_400000_NS6detail17trampoline_kernelINS0_13select_configILj256ELj13ELNS0_17block_load_methodE3ELS4_3ELS4_3ELNS0_20block_scan_algorithmE0ELj4294967295EEENS1_25partition_config_selectorILNS1_17partition_subalgoE4EjNS0_10empty_typeEbEEZZNS1_14partition_implILS8_4ELb0ES6_15HIP_vector_typeIjLj2EENS0_17counting_iteratorIjlEEPS9_SG_NS0_5tupleIJPjSI_NS0_16reverse_iteratorISI_EEEEENSH_IJSG_SG_SG_EEES9_SI_JZNS1_25segmented_radix_sort_implINS0_14default_configELb0EPKdPdPKlPlN2at6native12_GLOBAL__N_18offset_tEEE10hipError_tPvRmT1_PNSt15iterator_traitsIS12_E10value_typeET2_T3_PNS13_IS18_E10value_typeET4_jRbjT5_S1E_jjP12ihipStream_tbEUljE_ZNSN_ISO_Lb0ESQ_SR_ST_SU_SY_EESZ_S10_S11_S12_S16_S17_S18_S1B_S1C_jS1D_jS1E_S1E_jjS1G_bEUljE0_EEESZ_S10_S11_S18_S1C_S1E_T6_T7_T9_mT8_S1G_bDpT10_ENKUlT_T0_E_clISt17integral_constantIbLb1EES1T_IbLb0EEEEDaS1P_S1Q_EUlS1P_E_NS1_11comp_targetILNS1_3genE3ELNS1_11target_archE908ELNS1_3gpuE7ELNS1_3repE0EEENS1_30default_config_static_selectorELNS0_4arch9wavefront6targetE1EEEvS12_,comdat
	.globl	_ZN7rocprim17ROCPRIM_400000_NS6detail17trampoline_kernelINS0_13select_configILj256ELj13ELNS0_17block_load_methodE3ELS4_3ELS4_3ELNS0_20block_scan_algorithmE0ELj4294967295EEENS1_25partition_config_selectorILNS1_17partition_subalgoE4EjNS0_10empty_typeEbEEZZNS1_14partition_implILS8_4ELb0ES6_15HIP_vector_typeIjLj2EENS0_17counting_iteratorIjlEEPS9_SG_NS0_5tupleIJPjSI_NS0_16reverse_iteratorISI_EEEEENSH_IJSG_SG_SG_EEES9_SI_JZNS1_25segmented_radix_sort_implINS0_14default_configELb0EPKdPdPKlPlN2at6native12_GLOBAL__N_18offset_tEEE10hipError_tPvRmT1_PNSt15iterator_traitsIS12_E10value_typeET2_T3_PNS13_IS18_E10value_typeET4_jRbjT5_S1E_jjP12ihipStream_tbEUljE_ZNSN_ISO_Lb0ESQ_SR_ST_SU_SY_EESZ_S10_S11_S12_S16_S17_S18_S1B_S1C_jS1D_jS1E_S1E_jjS1G_bEUljE0_EEESZ_S10_S11_S18_S1C_S1E_T6_T7_T9_mT8_S1G_bDpT10_ENKUlT_T0_E_clISt17integral_constantIbLb1EES1T_IbLb0EEEEDaS1P_S1Q_EUlS1P_E_NS1_11comp_targetILNS1_3genE3ELNS1_11target_archE908ELNS1_3gpuE7ELNS1_3repE0EEENS1_30default_config_static_selectorELNS0_4arch9wavefront6targetE1EEEvS12_ ; -- Begin function _ZN7rocprim17ROCPRIM_400000_NS6detail17trampoline_kernelINS0_13select_configILj256ELj13ELNS0_17block_load_methodE3ELS4_3ELS4_3ELNS0_20block_scan_algorithmE0ELj4294967295EEENS1_25partition_config_selectorILNS1_17partition_subalgoE4EjNS0_10empty_typeEbEEZZNS1_14partition_implILS8_4ELb0ES6_15HIP_vector_typeIjLj2EENS0_17counting_iteratorIjlEEPS9_SG_NS0_5tupleIJPjSI_NS0_16reverse_iteratorISI_EEEEENSH_IJSG_SG_SG_EEES9_SI_JZNS1_25segmented_radix_sort_implINS0_14default_configELb0EPKdPdPKlPlN2at6native12_GLOBAL__N_18offset_tEEE10hipError_tPvRmT1_PNSt15iterator_traitsIS12_E10value_typeET2_T3_PNS13_IS18_E10value_typeET4_jRbjT5_S1E_jjP12ihipStream_tbEUljE_ZNSN_ISO_Lb0ESQ_SR_ST_SU_SY_EESZ_S10_S11_S12_S16_S17_S18_S1B_S1C_jS1D_jS1E_S1E_jjS1G_bEUljE0_EEESZ_S10_S11_S18_S1C_S1E_T6_T7_T9_mT8_S1G_bDpT10_ENKUlT_T0_E_clISt17integral_constantIbLb1EES1T_IbLb0EEEEDaS1P_S1Q_EUlS1P_E_NS1_11comp_targetILNS1_3genE3ELNS1_11target_archE908ELNS1_3gpuE7ELNS1_3repE0EEENS1_30default_config_static_selectorELNS0_4arch9wavefront6targetE1EEEvS12_
	.p2align	8
	.type	_ZN7rocprim17ROCPRIM_400000_NS6detail17trampoline_kernelINS0_13select_configILj256ELj13ELNS0_17block_load_methodE3ELS4_3ELS4_3ELNS0_20block_scan_algorithmE0ELj4294967295EEENS1_25partition_config_selectorILNS1_17partition_subalgoE4EjNS0_10empty_typeEbEEZZNS1_14partition_implILS8_4ELb0ES6_15HIP_vector_typeIjLj2EENS0_17counting_iteratorIjlEEPS9_SG_NS0_5tupleIJPjSI_NS0_16reverse_iteratorISI_EEEEENSH_IJSG_SG_SG_EEES9_SI_JZNS1_25segmented_radix_sort_implINS0_14default_configELb0EPKdPdPKlPlN2at6native12_GLOBAL__N_18offset_tEEE10hipError_tPvRmT1_PNSt15iterator_traitsIS12_E10value_typeET2_T3_PNS13_IS18_E10value_typeET4_jRbjT5_S1E_jjP12ihipStream_tbEUljE_ZNSN_ISO_Lb0ESQ_SR_ST_SU_SY_EESZ_S10_S11_S12_S16_S17_S18_S1B_S1C_jS1D_jS1E_S1E_jjS1G_bEUljE0_EEESZ_S10_S11_S18_S1C_S1E_T6_T7_T9_mT8_S1G_bDpT10_ENKUlT_T0_E_clISt17integral_constantIbLb1EES1T_IbLb0EEEEDaS1P_S1Q_EUlS1P_E_NS1_11comp_targetILNS1_3genE3ELNS1_11target_archE908ELNS1_3gpuE7ELNS1_3repE0EEENS1_30default_config_static_selectorELNS0_4arch9wavefront6targetE1EEEvS12_,@function
_ZN7rocprim17ROCPRIM_400000_NS6detail17trampoline_kernelINS0_13select_configILj256ELj13ELNS0_17block_load_methodE3ELS4_3ELS4_3ELNS0_20block_scan_algorithmE0ELj4294967295EEENS1_25partition_config_selectorILNS1_17partition_subalgoE4EjNS0_10empty_typeEbEEZZNS1_14partition_implILS8_4ELb0ES6_15HIP_vector_typeIjLj2EENS0_17counting_iteratorIjlEEPS9_SG_NS0_5tupleIJPjSI_NS0_16reverse_iteratorISI_EEEEENSH_IJSG_SG_SG_EEES9_SI_JZNS1_25segmented_radix_sort_implINS0_14default_configELb0EPKdPdPKlPlN2at6native12_GLOBAL__N_18offset_tEEE10hipError_tPvRmT1_PNSt15iterator_traitsIS12_E10value_typeET2_T3_PNS13_IS18_E10value_typeET4_jRbjT5_S1E_jjP12ihipStream_tbEUljE_ZNSN_ISO_Lb0ESQ_SR_ST_SU_SY_EESZ_S10_S11_S12_S16_S17_S18_S1B_S1C_jS1D_jS1E_S1E_jjS1G_bEUljE0_EEESZ_S10_S11_S18_S1C_S1E_T6_T7_T9_mT8_S1G_bDpT10_ENKUlT_T0_E_clISt17integral_constantIbLb1EES1T_IbLb0EEEEDaS1P_S1Q_EUlS1P_E_NS1_11comp_targetILNS1_3genE3ELNS1_11target_archE908ELNS1_3gpuE7ELNS1_3repE0EEENS1_30default_config_static_selectorELNS0_4arch9wavefront6targetE1EEEvS12_: ; @_ZN7rocprim17ROCPRIM_400000_NS6detail17trampoline_kernelINS0_13select_configILj256ELj13ELNS0_17block_load_methodE3ELS4_3ELS4_3ELNS0_20block_scan_algorithmE0ELj4294967295EEENS1_25partition_config_selectorILNS1_17partition_subalgoE4EjNS0_10empty_typeEbEEZZNS1_14partition_implILS8_4ELb0ES6_15HIP_vector_typeIjLj2EENS0_17counting_iteratorIjlEEPS9_SG_NS0_5tupleIJPjSI_NS0_16reverse_iteratorISI_EEEEENSH_IJSG_SG_SG_EEES9_SI_JZNS1_25segmented_radix_sort_implINS0_14default_configELb0EPKdPdPKlPlN2at6native12_GLOBAL__N_18offset_tEEE10hipError_tPvRmT1_PNSt15iterator_traitsIS12_E10value_typeET2_T3_PNS13_IS18_E10value_typeET4_jRbjT5_S1E_jjP12ihipStream_tbEUljE_ZNSN_ISO_Lb0ESQ_SR_ST_SU_SY_EESZ_S10_S11_S12_S16_S17_S18_S1B_S1C_jS1D_jS1E_S1E_jjS1G_bEUljE0_EEESZ_S10_S11_S18_S1C_S1E_T6_T7_T9_mT8_S1G_bDpT10_ENKUlT_T0_E_clISt17integral_constantIbLb1EES1T_IbLb0EEEEDaS1P_S1Q_EUlS1P_E_NS1_11comp_targetILNS1_3genE3ELNS1_11target_archE908ELNS1_3gpuE7ELNS1_3repE0EEENS1_30default_config_static_selectorELNS0_4arch9wavefront6targetE1EEEvS12_
; %bb.0:
	.section	.rodata,"a",@progbits
	.p2align	6, 0x0
	.amdhsa_kernel _ZN7rocprim17ROCPRIM_400000_NS6detail17trampoline_kernelINS0_13select_configILj256ELj13ELNS0_17block_load_methodE3ELS4_3ELS4_3ELNS0_20block_scan_algorithmE0ELj4294967295EEENS1_25partition_config_selectorILNS1_17partition_subalgoE4EjNS0_10empty_typeEbEEZZNS1_14partition_implILS8_4ELb0ES6_15HIP_vector_typeIjLj2EENS0_17counting_iteratorIjlEEPS9_SG_NS0_5tupleIJPjSI_NS0_16reverse_iteratorISI_EEEEENSH_IJSG_SG_SG_EEES9_SI_JZNS1_25segmented_radix_sort_implINS0_14default_configELb0EPKdPdPKlPlN2at6native12_GLOBAL__N_18offset_tEEE10hipError_tPvRmT1_PNSt15iterator_traitsIS12_E10value_typeET2_T3_PNS13_IS18_E10value_typeET4_jRbjT5_S1E_jjP12ihipStream_tbEUljE_ZNSN_ISO_Lb0ESQ_SR_ST_SU_SY_EESZ_S10_S11_S12_S16_S17_S18_S1B_S1C_jS1D_jS1E_S1E_jjS1G_bEUljE0_EEESZ_S10_S11_S18_S1C_S1E_T6_T7_T9_mT8_S1G_bDpT10_ENKUlT_T0_E_clISt17integral_constantIbLb1EES1T_IbLb0EEEEDaS1P_S1Q_EUlS1P_E_NS1_11comp_targetILNS1_3genE3ELNS1_11target_archE908ELNS1_3gpuE7ELNS1_3repE0EEENS1_30default_config_static_selectorELNS0_4arch9wavefront6targetE1EEEvS12_
		.amdhsa_group_segment_fixed_size 0
		.amdhsa_private_segment_fixed_size 0
		.amdhsa_kernarg_size 176
		.amdhsa_user_sgpr_count 6
		.amdhsa_user_sgpr_private_segment_buffer 1
		.amdhsa_user_sgpr_dispatch_ptr 0
		.amdhsa_user_sgpr_queue_ptr 0
		.amdhsa_user_sgpr_kernarg_segment_ptr 1
		.amdhsa_user_sgpr_dispatch_id 0
		.amdhsa_user_sgpr_flat_scratch_init 0
		.amdhsa_user_sgpr_private_segment_size 0
		.amdhsa_uses_dynamic_stack 0
		.amdhsa_system_sgpr_private_segment_wavefront_offset 0
		.amdhsa_system_sgpr_workgroup_id_x 1
		.amdhsa_system_sgpr_workgroup_id_y 0
		.amdhsa_system_sgpr_workgroup_id_z 0
		.amdhsa_system_sgpr_workgroup_info 0
		.amdhsa_system_vgpr_workitem_id 0
		.amdhsa_next_free_vgpr 1
		.amdhsa_next_free_sgpr 0
		.amdhsa_reserve_vcc 0
		.amdhsa_reserve_flat_scratch 0
		.amdhsa_float_round_mode_32 0
		.amdhsa_float_round_mode_16_64 0
		.amdhsa_float_denorm_mode_32 3
		.amdhsa_float_denorm_mode_16_64 3
		.amdhsa_dx10_clamp 1
		.amdhsa_ieee_mode 1
		.amdhsa_fp16_overflow 0
		.amdhsa_exception_fp_ieee_invalid_op 0
		.amdhsa_exception_fp_denorm_src 0
		.amdhsa_exception_fp_ieee_div_zero 0
		.amdhsa_exception_fp_ieee_overflow 0
		.amdhsa_exception_fp_ieee_underflow 0
		.amdhsa_exception_fp_ieee_inexact 0
		.amdhsa_exception_int_div_zero 0
	.end_amdhsa_kernel
	.section	.text._ZN7rocprim17ROCPRIM_400000_NS6detail17trampoline_kernelINS0_13select_configILj256ELj13ELNS0_17block_load_methodE3ELS4_3ELS4_3ELNS0_20block_scan_algorithmE0ELj4294967295EEENS1_25partition_config_selectorILNS1_17partition_subalgoE4EjNS0_10empty_typeEbEEZZNS1_14partition_implILS8_4ELb0ES6_15HIP_vector_typeIjLj2EENS0_17counting_iteratorIjlEEPS9_SG_NS0_5tupleIJPjSI_NS0_16reverse_iteratorISI_EEEEENSH_IJSG_SG_SG_EEES9_SI_JZNS1_25segmented_radix_sort_implINS0_14default_configELb0EPKdPdPKlPlN2at6native12_GLOBAL__N_18offset_tEEE10hipError_tPvRmT1_PNSt15iterator_traitsIS12_E10value_typeET2_T3_PNS13_IS18_E10value_typeET4_jRbjT5_S1E_jjP12ihipStream_tbEUljE_ZNSN_ISO_Lb0ESQ_SR_ST_SU_SY_EESZ_S10_S11_S12_S16_S17_S18_S1B_S1C_jS1D_jS1E_S1E_jjS1G_bEUljE0_EEESZ_S10_S11_S18_S1C_S1E_T6_T7_T9_mT8_S1G_bDpT10_ENKUlT_T0_E_clISt17integral_constantIbLb1EES1T_IbLb0EEEEDaS1P_S1Q_EUlS1P_E_NS1_11comp_targetILNS1_3genE3ELNS1_11target_archE908ELNS1_3gpuE7ELNS1_3repE0EEENS1_30default_config_static_selectorELNS0_4arch9wavefront6targetE1EEEvS12_,"axG",@progbits,_ZN7rocprim17ROCPRIM_400000_NS6detail17trampoline_kernelINS0_13select_configILj256ELj13ELNS0_17block_load_methodE3ELS4_3ELS4_3ELNS0_20block_scan_algorithmE0ELj4294967295EEENS1_25partition_config_selectorILNS1_17partition_subalgoE4EjNS0_10empty_typeEbEEZZNS1_14partition_implILS8_4ELb0ES6_15HIP_vector_typeIjLj2EENS0_17counting_iteratorIjlEEPS9_SG_NS0_5tupleIJPjSI_NS0_16reverse_iteratorISI_EEEEENSH_IJSG_SG_SG_EEES9_SI_JZNS1_25segmented_radix_sort_implINS0_14default_configELb0EPKdPdPKlPlN2at6native12_GLOBAL__N_18offset_tEEE10hipError_tPvRmT1_PNSt15iterator_traitsIS12_E10value_typeET2_T3_PNS13_IS18_E10value_typeET4_jRbjT5_S1E_jjP12ihipStream_tbEUljE_ZNSN_ISO_Lb0ESQ_SR_ST_SU_SY_EESZ_S10_S11_S12_S16_S17_S18_S1B_S1C_jS1D_jS1E_S1E_jjS1G_bEUljE0_EEESZ_S10_S11_S18_S1C_S1E_T6_T7_T9_mT8_S1G_bDpT10_ENKUlT_T0_E_clISt17integral_constantIbLb1EES1T_IbLb0EEEEDaS1P_S1Q_EUlS1P_E_NS1_11comp_targetILNS1_3genE3ELNS1_11target_archE908ELNS1_3gpuE7ELNS1_3repE0EEENS1_30default_config_static_selectorELNS0_4arch9wavefront6targetE1EEEvS12_,comdat
.Lfunc_end1176:
	.size	_ZN7rocprim17ROCPRIM_400000_NS6detail17trampoline_kernelINS0_13select_configILj256ELj13ELNS0_17block_load_methodE3ELS4_3ELS4_3ELNS0_20block_scan_algorithmE0ELj4294967295EEENS1_25partition_config_selectorILNS1_17partition_subalgoE4EjNS0_10empty_typeEbEEZZNS1_14partition_implILS8_4ELb0ES6_15HIP_vector_typeIjLj2EENS0_17counting_iteratorIjlEEPS9_SG_NS0_5tupleIJPjSI_NS0_16reverse_iteratorISI_EEEEENSH_IJSG_SG_SG_EEES9_SI_JZNS1_25segmented_radix_sort_implINS0_14default_configELb0EPKdPdPKlPlN2at6native12_GLOBAL__N_18offset_tEEE10hipError_tPvRmT1_PNSt15iterator_traitsIS12_E10value_typeET2_T3_PNS13_IS18_E10value_typeET4_jRbjT5_S1E_jjP12ihipStream_tbEUljE_ZNSN_ISO_Lb0ESQ_SR_ST_SU_SY_EESZ_S10_S11_S12_S16_S17_S18_S1B_S1C_jS1D_jS1E_S1E_jjS1G_bEUljE0_EEESZ_S10_S11_S18_S1C_S1E_T6_T7_T9_mT8_S1G_bDpT10_ENKUlT_T0_E_clISt17integral_constantIbLb1EES1T_IbLb0EEEEDaS1P_S1Q_EUlS1P_E_NS1_11comp_targetILNS1_3genE3ELNS1_11target_archE908ELNS1_3gpuE7ELNS1_3repE0EEENS1_30default_config_static_selectorELNS0_4arch9wavefront6targetE1EEEvS12_, .Lfunc_end1176-_ZN7rocprim17ROCPRIM_400000_NS6detail17trampoline_kernelINS0_13select_configILj256ELj13ELNS0_17block_load_methodE3ELS4_3ELS4_3ELNS0_20block_scan_algorithmE0ELj4294967295EEENS1_25partition_config_selectorILNS1_17partition_subalgoE4EjNS0_10empty_typeEbEEZZNS1_14partition_implILS8_4ELb0ES6_15HIP_vector_typeIjLj2EENS0_17counting_iteratorIjlEEPS9_SG_NS0_5tupleIJPjSI_NS0_16reverse_iteratorISI_EEEEENSH_IJSG_SG_SG_EEES9_SI_JZNS1_25segmented_radix_sort_implINS0_14default_configELb0EPKdPdPKlPlN2at6native12_GLOBAL__N_18offset_tEEE10hipError_tPvRmT1_PNSt15iterator_traitsIS12_E10value_typeET2_T3_PNS13_IS18_E10value_typeET4_jRbjT5_S1E_jjP12ihipStream_tbEUljE_ZNSN_ISO_Lb0ESQ_SR_ST_SU_SY_EESZ_S10_S11_S12_S16_S17_S18_S1B_S1C_jS1D_jS1E_S1E_jjS1G_bEUljE0_EEESZ_S10_S11_S18_S1C_S1E_T6_T7_T9_mT8_S1G_bDpT10_ENKUlT_T0_E_clISt17integral_constantIbLb1EES1T_IbLb0EEEEDaS1P_S1Q_EUlS1P_E_NS1_11comp_targetILNS1_3genE3ELNS1_11target_archE908ELNS1_3gpuE7ELNS1_3repE0EEENS1_30default_config_static_selectorELNS0_4arch9wavefront6targetE1EEEvS12_
                                        ; -- End function
	.set _ZN7rocprim17ROCPRIM_400000_NS6detail17trampoline_kernelINS0_13select_configILj256ELj13ELNS0_17block_load_methodE3ELS4_3ELS4_3ELNS0_20block_scan_algorithmE0ELj4294967295EEENS1_25partition_config_selectorILNS1_17partition_subalgoE4EjNS0_10empty_typeEbEEZZNS1_14partition_implILS8_4ELb0ES6_15HIP_vector_typeIjLj2EENS0_17counting_iteratorIjlEEPS9_SG_NS0_5tupleIJPjSI_NS0_16reverse_iteratorISI_EEEEENSH_IJSG_SG_SG_EEES9_SI_JZNS1_25segmented_radix_sort_implINS0_14default_configELb0EPKdPdPKlPlN2at6native12_GLOBAL__N_18offset_tEEE10hipError_tPvRmT1_PNSt15iterator_traitsIS12_E10value_typeET2_T3_PNS13_IS18_E10value_typeET4_jRbjT5_S1E_jjP12ihipStream_tbEUljE_ZNSN_ISO_Lb0ESQ_SR_ST_SU_SY_EESZ_S10_S11_S12_S16_S17_S18_S1B_S1C_jS1D_jS1E_S1E_jjS1G_bEUljE0_EEESZ_S10_S11_S18_S1C_S1E_T6_T7_T9_mT8_S1G_bDpT10_ENKUlT_T0_E_clISt17integral_constantIbLb1EES1T_IbLb0EEEEDaS1P_S1Q_EUlS1P_E_NS1_11comp_targetILNS1_3genE3ELNS1_11target_archE908ELNS1_3gpuE7ELNS1_3repE0EEENS1_30default_config_static_selectorELNS0_4arch9wavefront6targetE1EEEvS12_.num_vgpr, 0
	.set _ZN7rocprim17ROCPRIM_400000_NS6detail17trampoline_kernelINS0_13select_configILj256ELj13ELNS0_17block_load_methodE3ELS4_3ELS4_3ELNS0_20block_scan_algorithmE0ELj4294967295EEENS1_25partition_config_selectorILNS1_17partition_subalgoE4EjNS0_10empty_typeEbEEZZNS1_14partition_implILS8_4ELb0ES6_15HIP_vector_typeIjLj2EENS0_17counting_iteratorIjlEEPS9_SG_NS0_5tupleIJPjSI_NS0_16reverse_iteratorISI_EEEEENSH_IJSG_SG_SG_EEES9_SI_JZNS1_25segmented_radix_sort_implINS0_14default_configELb0EPKdPdPKlPlN2at6native12_GLOBAL__N_18offset_tEEE10hipError_tPvRmT1_PNSt15iterator_traitsIS12_E10value_typeET2_T3_PNS13_IS18_E10value_typeET4_jRbjT5_S1E_jjP12ihipStream_tbEUljE_ZNSN_ISO_Lb0ESQ_SR_ST_SU_SY_EESZ_S10_S11_S12_S16_S17_S18_S1B_S1C_jS1D_jS1E_S1E_jjS1G_bEUljE0_EEESZ_S10_S11_S18_S1C_S1E_T6_T7_T9_mT8_S1G_bDpT10_ENKUlT_T0_E_clISt17integral_constantIbLb1EES1T_IbLb0EEEEDaS1P_S1Q_EUlS1P_E_NS1_11comp_targetILNS1_3genE3ELNS1_11target_archE908ELNS1_3gpuE7ELNS1_3repE0EEENS1_30default_config_static_selectorELNS0_4arch9wavefront6targetE1EEEvS12_.num_agpr, 0
	.set _ZN7rocprim17ROCPRIM_400000_NS6detail17trampoline_kernelINS0_13select_configILj256ELj13ELNS0_17block_load_methodE3ELS4_3ELS4_3ELNS0_20block_scan_algorithmE0ELj4294967295EEENS1_25partition_config_selectorILNS1_17partition_subalgoE4EjNS0_10empty_typeEbEEZZNS1_14partition_implILS8_4ELb0ES6_15HIP_vector_typeIjLj2EENS0_17counting_iteratorIjlEEPS9_SG_NS0_5tupleIJPjSI_NS0_16reverse_iteratorISI_EEEEENSH_IJSG_SG_SG_EEES9_SI_JZNS1_25segmented_radix_sort_implINS0_14default_configELb0EPKdPdPKlPlN2at6native12_GLOBAL__N_18offset_tEEE10hipError_tPvRmT1_PNSt15iterator_traitsIS12_E10value_typeET2_T3_PNS13_IS18_E10value_typeET4_jRbjT5_S1E_jjP12ihipStream_tbEUljE_ZNSN_ISO_Lb0ESQ_SR_ST_SU_SY_EESZ_S10_S11_S12_S16_S17_S18_S1B_S1C_jS1D_jS1E_S1E_jjS1G_bEUljE0_EEESZ_S10_S11_S18_S1C_S1E_T6_T7_T9_mT8_S1G_bDpT10_ENKUlT_T0_E_clISt17integral_constantIbLb1EES1T_IbLb0EEEEDaS1P_S1Q_EUlS1P_E_NS1_11comp_targetILNS1_3genE3ELNS1_11target_archE908ELNS1_3gpuE7ELNS1_3repE0EEENS1_30default_config_static_selectorELNS0_4arch9wavefront6targetE1EEEvS12_.numbered_sgpr, 0
	.set _ZN7rocprim17ROCPRIM_400000_NS6detail17trampoline_kernelINS0_13select_configILj256ELj13ELNS0_17block_load_methodE3ELS4_3ELS4_3ELNS0_20block_scan_algorithmE0ELj4294967295EEENS1_25partition_config_selectorILNS1_17partition_subalgoE4EjNS0_10empty_typeEbEEZZNS1_14partition_implILS8_4ELb0ES6_15HIP_vector_typeIjLj2EENS0_17counting_iteratorIjlEEPS9_SG_NS0_5tupleIJPjSI_NS0_16reverse_iteratorISI_EEEEENSH_IJSG_SG_SG_EEES9_SI_JZNS1_25segmented_radix_sort_implINS0_14default_configELb0EPKdPdPKlPlN2at6native12_GLOBAL__N_18offset_tEEE10hipError_tPvRmT1_PNSt15iterator_traitsIS12_E10value_typeET2_T3_PNS13_IS18_E10value_typeET4_jRbjT5_S1E_jjP12ihipStream_tbEUljE_ZNSN_ISO_Lb0ESQ_SR_ST_SU_SY_EESZ_S10_S11_S12_S16_S17_S18_S1B_S1C_jS1D_jS1E_S1E_jjS1G_bEUljE0_EEESZ_S10_S11_S18_S1C_S1E_T6_T7_T9_mT8_S1G_bDpT10_ENKUlT_T0_E_clISt17integral_constantIbLb1EES1T_IbLb0EEEEDaS1P_S1Q_EUlS1P_E_NS1_11comp_targetILNS1_3genE3ELNS1_11target_archE908ELNS1_3gpuE7ELNS1_3repE0EEENS1_30default_config_static_selectorELNS0_4arch9wavefront6targetE1EEEvS12_.num_named_barrier, 0
	.set _ZN7rocprim17ROCPRIM_400000_NS6detail17trampoline_kernelINS0_13select_configILj256ELj13ELNS0_17block_load_methodE3ELS4_3ELS4_3ELNS0_20block_scan_algorithmE0ELj4294967295EEENS1_25partition_config_selectorILNS1_17partition_subalgoE4EjNS0_10empty_typeEbEEZZNS1_14partition_implILS8_4ELb0ES6_15HIP_vector_typeIjLj2EENS0_17counting_iteratorIjlEEPS9_SG_NS0_5tupleIJPjSI_NS0_16reverse_iteratorISI_EEEEENSH_IJSG_SG_SG_EEES9_SI_JZNS1_25segmented_radix_sort_implINS0_14default_configELb0EPKdPdPKlPlN2at6native12_GLOBAL__N_18offset_tEEE10hipError_tPvRmT1_PNSt15iterator_traitsIS12_E10value_typeET2_T3_PNS13_IS18_E10value_typeET4_jRbjT5_S1E_jjP12ihipStream_tbEUljE_ZNSN_ISO_Lb0ESQ_SR_ST_SU_SY_EESZ_S10_S11_S12_S16_S17_S18_S1B_S1C_jS1D_jS1E_S1E_jjS1G_bEUljE0_EEESZ_S10_S11_S18_S1C_S1E_T6_T7_T9_mT8_S1G_bDpT10_ENKUlT_T0_E_clISt17integral_constantIbLb1EES1T_IbLb0EEEEDaS1P_S1Q_EUlS1P_E_NS1_11comp_targetILNS1_3genE3ELNS1_11target_archE908ELNS1_3gpuE7ELNS1_3repE0EEENS1_30default_config_static_selectorELNS0_4arch9wavefront6targetE1EEEvS12_.private_seg_size, 0
	.set _ZN7rocprim17ROCPRIM_400000_NS6detail17trampoline_kernelINS0_13select_configILj256ELj13ELNS0_17block_load_methodE3ELS4_3ELS4_3ELNS0_20block_scan_algorithmE0ELj4294967295EEENS1_25partition_config_selectorILNS1_17partition_subalgoE4EjNS0_10empty_typeEbEEZZNS1_14partition_implILS8_4ELb0ES6_15HIP_vector_typeIjLj2EENS0_17counting_iteratorIjlEEPS9_SG_NS0_5tupleIJPjSI_NS0_16reverse_iteratorISI_EEEEENSH_IJSG_SG_SG_EEES9_SI_JZNS1_25segmented_radix_sort_implINS0_14default_configELb0EPKdPdPKlPlN2at6native12_GLOBAL__N_18offset_tEEE10hipError_tPvRmT1_PNSt15iterator_traitsIS12_E10value_typeET2_T3_PNS13_IS18_E10value_typeET4_jRbjT5_S1E_jjP12ihipStream_tbEUljE_ZNSN_ISO_Lb0ESQ_SR_ST_SU_SY_EESZ_S10_S11_S12_S16_S17_S18_S1B_S1C_jS1D_jS1E_S1E_jjS1G_bEUljE0_EEESZ_S10_S11_S18_S1C_S1E_T6_T7_T9_mT8_S1G_bDpT10_ENKUlT_T0_E_clISt17integral_constantIbLb1EES1T_IbLb0EEEEDaS1P_S1Q_EUlS1P_E_NS1_11comp_targetILNS1_3genE3ELNS1_11target_archE908ELNS1_3gpuE7ELNS1_3repE0EEENS1_30default_config_static_selectorELNS0_4arch9wavefront6targetE1EEEvS12_.uses_vcc, 0
	.set _ZN7rocprim17ROCPRIM_400000_NS6detail17trampoline_kernelINS0_13select_configILj256ELj13ELNS0_17block_load_methodE3ELS4_3ELS4_3ELNS0_20block_scan_algorithmE0ELj4294967295EEENS1_25partition_config_selectorILNS1_17partition_subalgoE4EjNS0_10empty_typeEbEEZZNS1_14partition_implILS8_4ELb0ES6_15HIP_vector_typeIjLj2EENS0_17counting_iteratorIjlEEPS9_SG_NS0_5tupleIJPjSI_NS0_16reverse_iteratorISI_EEEEENSH_IJSG_SG_SG_EEES9_SI_JZNS1_25segmented_radix_sort_implINS0_14default_configELb0EPKdPdPKlPlN2at6native12_GLOBAL__N_18offset_tEEE10hipError_tPvRmT1_PNSt15iterator_traitsIS12_E10value_typeET2_T3_PNS13_IS18_E10value_typeET4_jRbjT5_S1E_jjP12ihipStream_tbEUljE_ZNSN_ISO_Lb0ESQ_SR_ST_SU_SY_EESZ_S10_S11_S12_S16_S17_S18_S1B_S1C_jS1D_jS1E_S1E_jjS1G_bEUljE0_EEESZ_S10_S11_S18_S1C_S1E_T6_T7_T9_mT8_S1G_bDpT10_ENKUlT_T0_E_clISt17integral_constantIbLb1EES1T_IbLb0EEEEDaS1P_S1Q_EUlS1P_E_NS1_11comp_targetILNS1_3genE3ELNS1_11target_archE908ELNS1_3gpuE7ELNS1_3repE0EEENS1_30default_config_static_selectorELNS0_4arch9wavefront6targetE1EEEvS12_.uses_flat_scratch, 0
	.set _ZN7rocprim17ROCPRIM_400000_NS6detail17trampoline_kernelINS0_13select_configILj256ELj13ELNS0_17block_load_methodE3ELS4_3ELS4_3ELNS0_20block_scan_algorithmE0ELj4294967295EEENS1_25partition_config_selectorILNS1_17partition_subalgoE4EjNS0_10empty_typeEbEEZZNS1_14partition_implILS8_4ELb0ES6_15HIP_vector_typeIjLj2EENS0_17counting_iteratorIjlEEPS9_SG_NS0_5tupleIJPjSI_NS0_16reverse_iteratorISI_EEEEENSH_IJSG_SG_SG_EEES9_SI_JZNS1_25segmented_radix_sort_implINS0_14default_configELb0EPKdPdPKlPlN2at6native12_GLOBAL__N_18offset_tEEE10hipError_tPvRmT1_PNSt15iterator_traitsIS12_E10value_typeET2_T3_PNS13_IS18_E10value_typeET4_jRbjT5_S1E_jjP12ihipStream_tbEUljE_ZNSN_ISO_Lb0ESQ_SR_ST_SU_SY_EESZ_S10_S11_S12_S16_S17_S18_S1B_S1C_jS1D_jS1E_S1E_jjS1G_bEUljE0_EEESZ_S10_S11_S18_S1C_S1E_T6_T7_T9_mT8_S1G_bDpT10_ENKUlT_T0_E_clISt17integral_constantIbLb1EES1T_IbLb0EEEEDaS1P_S1Q_EUlS1P_E_NS1_11comp_targetILNS1_3genE3ELNS1_11target_archE908ELNS1_3gpuE7ELNS1_3repE0EEENS1_30default_config_static_selectorELNS0_4arch9wavefront6targetE1EEEvS12_.has_dyn_sized_stack, 0
	.set _ZN7rocprim17ROCPRIM_400000_NS6detail17trampoline_kernelINS0_13select_configILj256ELj13ELNS0_17block_load_methodE3ELS4_3ELS4_3ELNS0_20block_scan_algorithmE0ELj4294967295EEENS1_25partition_config_selectorILNS1_17partition_subalgoE4EjNS0_10empty_typeEbEEZZNS1_14partition_implILS8_4ELb0ES6_15HIP_vector_typeIjLj2EENS0_17counting_iteratorIjlEEPS9_SG_NS0_5tupleIJPjSI_NS0_16reverse_iteratorISI_EEEEENSH_IJSG_SG_SG_EEES9_SI_JZNS1_25segmented_radix_sort_implINS0_14default_configELb0EPKdPdPKlPlN2at6native12_GLOBAL__N_18offset_tEEE10hipError_tPvRmT1_PNSt15iterator_traitsIS12_E10value_typeET2_T3_PNS13_IS18_E10value_typeET4_jRbjT5_S1E_jjP12ihipStream_tbEUljE_ZNSN_ISO_Lb0ESQ_SR_ST_SU_SY_EESZ_S10_S11_S12_S16_S17_S18_S1B_S1C_jS1D_jS1E_S1E_jjS1G_bEUljE0_EEESZ_S10_S11_S18_S1C_S1E_T6_T7_T9_mT8_S1G_bDpT10_ENKUlT_T0_E_clISt17integral_constantIbLb1EES1T_IbLb0EEEEDaS1P_S1Q_EUlS1P_E_NS1_11comp_targetILNS1_3genE3ELNS1_11target_archE908ELNS1_3gpuE7ELNS1_3repE0EEENS1_30default_config_static_selectorELNS0_4arch9wavefront6targetE1EEEvS12_.has_recursion, 0
	.set _ZN7rocprim17ROCPRIM_400000_NS6detail17trampoline_kernelINS0_13select_configILj256ELj13ELNS0_17block_load_methodE3ELS4_3ELS4_3ELNS0_20block_scan_algorithmE0ELj4294967295EEENS1_25partition_config_selectorILNS1_17partition_subalgoE4EjNS0_10empty_typeEbEEZZNS1_14partition_implILS8_4ELb0ES6_15HIP_vector_typeIjLj2EENS0_17counting_iteratorIjlEEPS9_SG_NS0_5tupleIJPjSI_NS0_16reverse_iteratorISI_EEEEENSH_IJSG_SG_SG_EEES9_SI_JZNS1_25segmented_radix_sort_implINS0_14default_configELb0EPKdPdPKlPlN2at6native12_GLOBAL__N_18offset_tEEE10hipError_tPvRmT1_PNSt15iterator_traitsIS12_E10value_typeET2_T3_PNS13_IS18_E10value_typeET4_jRbjT5_S1E_jjP12ihipStream_tbEUljE_ZNSN_ISO_Lb0ESQ_SR_ST_SU_SY_EESZ_S10_S11_S12_S16_S17_S18_S1B_S1C_jS1D_jS1E_S1E_jjS1G_bEUljE0_EEESZ_S10_S11_S18_S1C_S1E_T6_T7_T9_mT8_S1G_bDpT10_ENKUlT_T0_E_clISt17integral_constantIbLb1EES1T_IbLb0EEEEDaS1P_S1Q_EUlS1P_E_NS1_11comp_targetILNS1_3genE3ELNS1_11target_archE908ELNS1_3gpuE7ELNS1_3repE0EEENS1_30default_config_static_selectorELNS0_4arch9wavefront6targetE1EEEvS12_.has_indirect_call, 0
	.section	.AMDGPU.csdata,"",@progbits
; Kernel info:
; codeLenInByte = 0
; TotalNumSgprs: 4
; NumVgprs: 0
; ScratchSize: 0
; MemoryBound: 0
; FloatMode: 240
; IeeeMode: 1
; LDSByteSize: 0 bytes/workgroup (compile time only)
; SGPRBlocks: 0
; VGPRBlocks: 0
; NumSGPRsForWavesPerEU: 4
; NumVGPRsForWavesPerEU: 1
; Occupancy: 10
; WaveLimiterHint : 0
; COMPUTE_PGM_RSRC2:SCRATCH_EN: 0
; COMPUTE_PGM_RSRC2:USER_SGPR: 6
; COMPUTE_PGM_RSRC2:TRAP_HANDLER: 0
; COMPUTE_PGM_RSRC2:TGID_X_EN: 1
; COMPUTE_PGM_RSRC2:TGID_Y_EN: 0
; COMPUTE_PGM_RSRC2:TGID_Z_EN: 0
; COMPUTE_PGM_RSRC2:TIDIG_COMP_CNT: 0
	.section	.text._ZN7rocprim17ROCPRIM_400000_NS6detail17trampoline_kernelINS0_13select_configILj256ELj13ELNS0_17block_load_methodE3ELS4_3ELS4_3ELNS0_20block_scan_algorithmE0ELj4294967295EEENS1_25partition_config_selectorILNS1_17partition_subalgoE4EjNS0_10empty_typeEbEEZZNS1_14partition_implILS8_4ELb0ES6_15HIP_vector_typeIjLj2EENS0_17counting_iteratorIjlEEPS9_SG_NS0_5tupleIJPjSI_NS0_16reverse_iteratorISI_EEEEENSH_IJSG_SG_SG_EEES9_SI_JZNS1_25segmented_radix_sort_implINS0_14default_configELb0EPKdPdPKlPlN2at6native12_GLOBAL__N_18offset_tEEE10hipError_tPvRmT1_PNSt15iterator_traitsIS12_E10value_typeET2_T3_PNS13_IS18_E10value_typeET4_jRbjT5_S1E_jjP12ihipStream_tbEUljE_ZNSN_ISO_Lb0ESQ_SR_ST_SU_SY_EESZ_S10_S11_S12_S16_S17_S18_S1B_S1C_jS1D_jS1E_S1E_jjS1G_bEUljE0_EEESZ_S10_S11_S18_S1C_S1E_T6_T7_T9_mT8_S1G_bDpT10_ENKUlT_T0_E_clISt17integral_constantIbLb1EES1T_IbLb0EEEEDaS1P_S1Q_EUlS1P_E_NS1_11comp_targetILNS1_3genE2ELNS1_11target_archE906ELNS1_3gpuE6ELNS1_3repE0EEENS1_30default_config_static_selectorELNS0_4arch9wavefront6targetE1EEEvS12_,"axG",@progbits,_ZN7rocprim17ROCPRIM_400000_NS6detail17trampoline_kernelINS0_13select_configILj256ELj13ELNS0_17block_load_methodE3ELS4_3ELS4_3ELNS0_20block_scan_algorithmE0ELj4294967295EEENS1_25partition_config_selectorILNS1_17partition_subalgoE4EjNS0_10empty_typeEbEEZZNS1_14partition_implILS8_4ELb0ES6_15HIP_vector_typeIjLj2EENS0_17counting_iteratorIjlEEPS9_SG_NS0_5tupleIJPjSI_NS0_16reverse_iteratorISI_EEEEENSH_IJSG_SG_SG_EEES9_SI_JZNS1_25segmented_radix_sort_implINS0_14default_configELb0EPKdPdPKlPlN2at6native12_GLOBAL__N_18offset_tEEE10hipError_tPvRmT1_PNSt15iterator_traitsIS12_E10value_typeET2_T3_PNS13_IS18_E10value_typeET4_jRbjT5_S1E_jjP12ihipStream_tbEUljE_ZNSN_ISO_Lb0ESQ_SR_ST_SU_SY_EESZ_S10_S11_S12_S16_S17_S18_S1B_S1C_jS1D_jS1E_S1E_jjS1G_bEUljE0_EEESZ_S10_S11_S18_S1C_S1E_T6_T7_T9_mT8_S1G_bDpT10_ENKUlT_T0_E_clISt17integral_constantIbLb1EES1T_IbLb0EEEEDaS1P_S1Q_EUlS1P_E_NS1_11comp_targetILNS1_3genE2ELNS1_11target_archE906ELNS1_3gpuE6ELNS1_3repE0EEENS1_30default_config_static_selectorELNS0_4arch9wavefront6targetE1EEEvS12_,comdat
	.globl	_ZN7rocprim17ROCPRIM_400000_NS6detail17trampoline_kernelINS0_13select_configILj256ELj13ELNS0_17block_load_methodE3ELS4_3ELS4_3ELNS0_20block_scan_algorithmE0ELj4294967295EEENS1_25partition_config_selectorILNS1_17partition_subalgoE4EjNS0_10empty_typeEbEEZZNS1_14partition_implILS8_4ELb0ES6_15HIP_vector_typeIjLj2EENS0_17counting_iteratorIjlEEPS9_SG_NS0_5tupleIJPjSI_NS0_16reverse_iteratorISI_EEEEENSH_IJSG_SG_SG_EEES9_SI_JZNS1_25segmented_radix_sort_implINS0_14default_configELb0EPKdPdPKlPlN2at6native12_GLOBAL__N_18offset_tEEE10hipError_tPvRmT1_PNSt15iterator_traitsIS12_E10value_typeET2_T3_PNS13_IS18_E10value_typeET4_jRbjT5_S1E_jjP12ihipStream_tbEUljE_ZNSN_ISO_Lb0ESQ_SR_ST_SU_SY_EESZ_S10_S11_S12_S16_S17_S18_S1B_S1C_jS1D_jS1E_S1E_jjS1G_bEUljE0_EEESZ_S10_S11_S18_S1C_S1E_T6_T7_T9_mT8_S1G_bDpT10_ENKUlT_T0_E_clISt17integral_constantIbLb1EES1T_IbLb0EEEEDaS1P_S1Q_EUlS1P_E_NS1_11comp_targetILNS1_3genE2ELNS1_11target_archE906ELNS1_3gpuE6ELNS1_3repE0EEENS1_30default_config_static_selectorELNS0_4arch9wavefront6targetE1EEEvS12_ ; -- Begin function _ZN7rocprim17ROCPRIM_400000_NS6detail17trampoline_kernelINS0_13select_configILj256ELj13ELNS0_17block_load_methodE3ELS4_3ELS4_3ELNS0_20block_scan_algorithmE0ELj4294967295EEENS1_25partition_config_selectorILNS1_17partition_subalgoE4EjNS0_10empty_typeEbEEZZNS1_14partition_implILS8_4ELb0ES6_15HIP_vector_typeIjLj2EENS0_17counting_iteratorIjlEEPS9_SG_NS0_5tupleIJPjSI_NS0_16reverse_iteratorISI_EEEEENSH_IJSG_SG_SG_EEES9_SI_JZNS1_25segmented_radix_sort_implINS0_14default_configELb0EPKdPdPKlPlN2at6native12_GLOBAL__N_18offset_tEEE10hipError_tPvRmT1_PNSt15iterator_traitsIS12_E10value_typeET2_T3_PNS13_IS18_E10value_typeET4_jRbjT5_S1E_jjP12ihipStream_tbEUljE_ZNSN_ISO_Lb0ESQ_SR_ST_SU_SY_EESZ_S10_S11_S12_S16_S17_S18_S1B_S1C_jS1D_jS1E_S1E_jjS1G_bEUljE0_EEESZ_S10_S11_S18_S1C_S1E_T6_T7_T9_mT8_S1G_bDpT10_ENKUlT_T0_E_clISt17integral_constantIbLb1EES1T_IbLb0EEEEDaS1P_S1Q_EUlS1P_E_NS1_11comp_targetILNS1_3genE2ELNS1_11target_archE906ELNS1_3gpuE6ELNS1_3repE0EEENS1_30default_config_static_selectorELNS0_4arch9wavefront6targetE1EEEvS12_
	.p2align	8
	.type	_ZN7rocprim17ROCPRIM_400000_NS6detail17trampoline_kernelINS0_13select_configILj256ELj13ELNS0_17block_load_methodE3ELS4_3ELS4_3ELNS0_20block_scan_algorithmE0ELj4294967295EEENS1_25partition_config_selectorILNS1_17partition_subalgoE4EjNS0_10empty_typeEbEEZZNS1_14partition_implILS8_4ELb0ES6_15HIP_vector_typeIjLj2EENS0_17counting_iteratorIjlEEPS9_SG_NS0_5tupleIJPjSI_NS0_16reverse_iteratorISI_EEEEENSH_IJSG_SG_SG_EEES9_SI_JZNS1_25segmented_radix_sort_implINS0_14default_configELb0EPKdPdPKlPlN2at6native12_GLOBAL__N_18offset_tEEE10hipError_tPvRmT1_PNSt15iterator_traitsIS12_E10value_typeET2_T3_PNS13_IS18_E10value_typeET4_jRbjT5_S1E_jjP12ihipStream_tbEUljE_ZNSN_ISO_Lb0ESQ_SR_ST_SU_SY_EESZ_S10_S11_S12_S16_S17_S18_S1B_S1C_jS1D_jS1E_S1E_jjS1G_bEUljE0_EEESZ_S10_S11_S18_S1C_S1E_T6_T7_T9_mT8_S1G_bDpT10_ENKUlT_T0_E_clISt17integral_constantIbLb1EES1T_IbLb0EEEEDaS1P_S1Q_EUlS1P_E_NS1_11comp_targetILNS1_3genE2ELNS1_11target_archE906ELNS1_3gpuE6ELNS1_3repE0EEENS1_30default_config_static_selectorELNS0_4arch9wavefront6targetE1EEEvS12_,@function
_ZN7rocprim17ROCPRIM_400000_NS6detail17trampoline_kernelINS0_13select_configILj256ELj13ELNS0_17block_load_methodE3ELS4_3ELS4_3ELNS0_20block_scan_algorithmE0ELj4294967295EEENS1_25partition_config_selectorILNS1_17partition_subalgoE4EjNS0_10empty_typeEbEEZZNS1_14partition_implILS8_4ELb0ES6_15HIP_vector_typeIjLj2EENS0_17counting_iteratorIjlEEPS9_SG_NS0_5tupleIJPjSI_NS0_16reverse_iteratorISI_EEEEENSH_IJSG_SG_SG_EEES9_SI_JZNS1_25segmented_radix_sort_implINS0_14default_configELb0EPKdPdPKlPlN2at6native12_GLOBAL__N_18offset_tEEE10hipError_tPvRmT1_PNSt15iterator_traitsIS12_E10value_typeET2_T3_PNS13_IS18_E10value_typeET4_jRbjT5_S1E_jjP12ihipStream_tbEUljE_ZNSN_ISO_Lb0ESQ_SR_ST_SU_SY_EESZ_S10_S11_S12_S16_S17_S18_S1B_S1C_jS1D_jS1E_S1E_jjS1G_bEUljE0_EEESZ_S10_S11_S18_S1C_S1E_T6_T7_T9_mT8_S1G_bDpT10_ENKUlT_T0_E_clISt17integral_constantIbLb1EES1T_IbLb0EEEEDaS1P_S1Q_EUlS1P_E_NS1_11comp_targetILNS1_3genE2ELNS1_11target_archE906ELNS1_3gpuE6ELNS1_3repE0EEENS1_30default_config_static_selectorELNS0_4arch9wavefront6targetE1EEEvS12_: ; @_ZN7rocprim17ROCPRIM_400000_NS6detail17trampoline_kernelINS0_13select_configILj256ELj13ELNS0_17block_load_methodE3ELS4_3ELS4_3ELNS0_20block_scan_algorithmE0ELj4294967295EEENS1_25partition_config_selectorILNS1_17partition_subalgoE4EjNS0_10empty_typeEbEEZZNS1_14partition_implILS8_4ELb0ES6_15HIP_vector_typeIjLj2EENS0_17counting_iteratorIjlEEPS9_SG_NS0_5tupleIJPjSI_NS0_16reverse_iteratorISI_EEEEENSH_IJSG_SG_SG_EEES9_SI_JZNS1_25segmented_radix_sort_implINS0_14default_configELb0EPKdPdPKlPlN2at6native12_GLOBAL__N_18offset_tEEE10hipError_tPvRmT1_PNSt15iterator_traitsIS12_E10value_typeET2_T3_PNS13_IS18_E10value_typeET4_jRbjT5_S1E_jjP12ihipStream_tbEUljE_ZNSN_ISO_Lb0ESQ_SR_ST_SU_SY_EESZ_S10_S11_S12_S16_S17_S18_S1B_S1C_jS1D_jS1E_S1E_jjS1G_bEUljE0_EEESZ_S10_S11_S18_S1C_S1E_T6_T7_T9_mT8_S1G_bDpT10_ENKUlT_T0_E_clISt17integral_constantIbLb1EES1T_IbLb0EEEEDaS1P_S1Q_EUlS1P_E_NS1_11comp_targetILNS1_3genE2ELNS1_11target_archE906ELNS1_3gpuE6ELNS1_3repE0EEENS1_30default_config_static_selectorELNS0_4arch9wavefront6targetE1EEEvS12_
; %bb.0:
	s_endpgm
	.section	.rodata,"a",@progbits
	.p2align	6, 0x0
	.amdhsa_kernel _ZN7rocprim17ROCPRIM_400000_NS6detail17trampoline_kernelINS0_13select_configILj256ELj13ELNS0_17block_load_methodE3ELS4_3ELS4_3ELNS0_20block_scan_algorithmE0ELj4294967295EEENS1_25partition_config_selectorILNS1_17partition_subalgoE4EjNS0_10empty_typeEbEEZZNS1_14partition_implILS8_4ELb0ES6_15HIP_vector_typeIjLj2EENS0_17counting_iteratorIjlEEPS9_SG_NS0_5tupleIJPjSI_NS0_16reverse_iteratorISI_EEEEENSH_IJSG_SG_SG_EEES9_SI_JZNS1_25segmented_radix_sort_implINS0_14default_configELb0EPKdPdPKlPlN2at6native12_GLOBAL__N_18offset_tEEE10hipError_tPvRmT1_PNSt15iterator_traitsIS12_E10value_typeET2_T3_PNS13_IS18_E10value_typeET4_jRbjT5_S1E_jjP12ihipStream_tbEUljE_ZNSN_ISO_Lb0ESQ_SR_ST_SU_SY_EESZ_S10_S11_S12_S16_S17_S18_S1B_S1C_jS1D_jS1E_S1E_jjS1G_bEUljE0_EEESZ_S10_S11_S18_S1C_S1E_T6_T7_T9_mT8_S1G_bDpT10_ENKUlT_T0_E_clISt17integral_constantIbLb1EES1T_IbLb0EEEEDaS1P_S1Q_EUlS1P_E_NS1_11comp_targetILNS1_3genE2ELNS1_11target_archE906ELNS1_3gpuE6ELNS1_3repE0EEENS1_30default_config_static_selectorELNS0_4arch9wavefront6targetE1EEEvS12_
		.amdhsa_group_segment_fixed_size 0
		.amdhsa_private_segment_fixed_size 0
		.amdhsa_kernarg_size 176
		.amdhsa_user_sgpr_count 6
		.amdhsa_user_sgpr_private_segment_buffer 1
		.amdhsa_user_sgpr_dispatch_ptr 0
		.amdhsa_user_sgpr_queue_ptr 0
		.amdhsa_user_sgpr_kernarg_segment_ptr 1
		.amdhsa_user_sgpr_dispatch_id 0
		.amdhsa_user_sgpr_flat_scratch_init 0
		.amdhsa_user_sgpr_private_segment_size 0
		.amdhsa_uses_dynamic_stack 0
		.amdhsa_system_sgpr_private_segment_wavefront_offset 0
		.amdhsa_system_sgpr_workgroup_id_x 1
		.amdhsa_system_sgpr_workgroup_id_y 0
		.amdhsa_system_sgpr_workgroup_id_z 0
		.amdhsa_system_sgpr_workgroup_info 0
		.amdhsa_system_vgpr_workitem_id 0
		.amdhsa_next_free_vgpr 1
		.amdhsa_next_free_sgpr 0
		.amdhsa_reserve_vcc 0
		.amdhsa_reserve_flat_scratch 0
		.amdhsa_float_round_mode_32 0
		.amdhsa_float_round_mode_16_64 0
		.amdhsa_float_denorm_mode_32 3
		.amdhsa_float_denorm_mode_16_64 3
		.amdhsa_dx10_clamp 1
		.amdhsa_ieee_mode 1
		.amdhsa_fp16_overflow 0
		.amdhsa_exception_fp_ieee_invalid_op 0
		.amdhsa_exception_fp_denorm_src 0
		.amdhsa_exception_fp_ieee_div_zero 0
		.amdhsa_exception_fp_ieee_overflow 0
		.amdhsa_exception_fp_ieee_underflow 0
		.amdhsa_exception_fp_ieee_inexact 0
		.amdhsa_exception_int_div_zero 0
	.end_amdhsa_kernel
	.section	.text._ZN7rocprim17ROCPRIM_400000_NS6detail17trampoline_kernelINS0_13select_configILj256ELj13ELNS0_17block_load_methodE3ELS4_3ELS4_3ELNS0_20block_scan_algorithmE0ELj4294967295EEENS1_25partition_config_selectorILNS1_17partition_subalgoE4EjNS0_10empty_typeEbEEZZNS1_14partition_implILS8_4ELb0ES6_15HIP_vector_typeIjLj2EENS0_17counting_iteratorIjlEEPS9_SG_NS0_5tupleIJPjSI_NS0_16reverse_iteratorISI_EEEEENSH_IJSG_SG_SG_EEES9_SI_JZNS1_25segmented_radix_sort_implINS0_14default_configELb0EPKdPdPKlPlN2at6native12_GLOBAL__N_18offset_tEEE10hipError_tPvRmT1_PNSt15iterator_traitsIS12_E10value_typeET2_T3_PNS13_IS18_E10value_typeET4_jRbjT5_S1E_jjP12ihipStream_tbEUljE_ZNSN_ISO_Lb0ESQ_SR_ST_SU_SY_EESZ_S10_S11_S12_S16_S17_S18_S1B_S1C_jS1D_jS1E_S1E_jjS1G_bEUljE0_EEESZ_S10_S11_S18_S1C_S1E_T6_T7_T9_mT8_S1G_bDpT10_ENKUlT_T0_E_clISt17integral_constantIbLb1EES1T_IbLb0EEEEDaS1P_S1Q_EUlS1P_E_NS1_11comp_targetILNS1_3genE2ELNS1_11target_archE906ELNS1_3gpuE6ELNS1_3repE0EEENS1_30default_config_static_selectorELNS0_4arch9wavefront6targetE1EEEvS12_,"axG",@progbits,_ZN7rocprim17ROCPRIM_400000_NS6detail17trampoline_kernelINS0_13select_configILj256ELj13ELNS0_17block_load_methodE3ELS4_3ELS4_3ELNS0_20block_scan_algorithmE0ELj4294967295EEENS1_25partition_config_selectorILNS1_17partition_subalgoE4EjNS0_10empty_typeEbEEZZNS1_14partition_implILS8_4ELb0ES6_15HIP_vector_typeIjLj2EENS0_17counting_iteratorIjlEEPS9_SG_NS0_5tupleIJPjSI_NS0_16reverse_iteratorISI_EEEEENSH_IJSG_SG_SG_EEES9_SI_JZNS1_25segmented_radix_sort_implINS0_14default_configELb0EPKdPdPKlPlN2at6native12_GLOBAL__N_18offset_tEEE10hipError_tPvRmT1_PNSt15iterator_traitsIS12_E10value_typeET2_T3_PNS13_IS18_E10value_typeET4_jRbjT5_S1E_jjP12ihipStream_tbEUljE_ZNSN_ISO_Lb0ESQ_SR_ST_SU_SY_EESZ_S10_S11_S12_S16_S17_S18_S1B_S1C_jS1D_jS1E_S1E_jjS1G_bEUljE0_EEESZ_S10_S11_S18_S1C_S1E_T6_T7_T9_mT8_S1G_bDpT10_ENKUlT_T0_E_clISt17integral_constantIbLb1EES1T_IbLb0EEEEDaS1P_S1Q_EUlS1P_E_NS1_11comp_targetILNS1_3genE2ELNS1_11target_archE906ELNS1_3gpuE6ELNS1_3repE0EEENS1_30default_config_static_selectorELNS0_4arch9wavefront6targetE1EEEvS12_,comdat
.Lfunc_end1177:
	.size	_ZN7rocprim17ROCPRIM_400000_NS6detail17trampoline_kernelINS0_13select_configILj256ELj13ELNS0_17block_load_methodE3ELS4_3ELS4_3ELNS0_20block_scan_algorithmE0ELj4294967295EEENS1_25partition_config_selectorILNS1_17partition_subalgoE4EjNS0_10empty_typeEbEEZZNS1_14partition_implILS8_4ELb0ES6_15HIP_vector_typeIjLj2EENS0_17counting_iteratorIjlEEPS9_SG_NS0_5tupleIJPjSI_NS0_16reverse_iteratorISI_EEEEENSH_IJSG_SG_SG_EEES9_SI_JZNS1_25segmented_radix_sort_implINS0_14default_configELb0EPKdPdPKlPlN2at6native12_GLOBAL__N_18offset_tEEE10hipError_tPvRmT1_PNSt15iterator_traitsIS12_E10value_typeET2_T3_PNS13_IS18_E10value_typeET4_jRbjT5_S1E_jjP12ihipStream_tbEUljE_ZNSN_ISO_Lb0ESQ_SR_ST_SU_SY_EESZ_S10_S11_S12_S16_S17_S18_S1B_S1C_jS1D_jS1E_S1E_jjS1G_bEUljE0_EEESZ_S10_S11_S18_S1C_S1E_T6_T7_T9_mT8_S1G_bDpT10_ENKUlT_T0_E_clISt17integral_constantIbLb1EES1T_IbLb0EEEEDaS1P_S1Q_EUlS1P_E_NS1_11comp_targetILNS1_3genE2ELNS1_11target_archE906ELNS1_3gpuE6ELNS1_3repE0EEENS1_30default_config_static_selectorELNS0_4arch9wavefront6targetE1EEEvS12_, .Lfunc_end1177-_ZN7rocprim17ROCPRIM_400000_NS6detail17trampoline_kernelINS0_13select_configILj256ELj13ELNS0_17block_load_methodE3ELS4_3ELS4_3ELNS0_20block_scan_algorithmE0ELj4294967295EEENS1_25partition_config_selectorILNS1_17partition_subalgoE4EjNS0_10empty_typeEbEEZZNS1_14partition_implILS8_4ELb0ES6_15HIP_vector_typeIjLj2EENS0_17counting_iteratorIjlEEPS9_SG_NS0_5tupleIJPjSI_NS0_16reverse_iteratorISI_EEEEENSH_IJSG_SG_SG_EEES9_SI_JZNS1_25segmented_radix_sort_implINS0_14default_configELb0EPKdPdPKlPlN2at6native12_GLOBAL__N_18offset_tEEE10hipError_tPvRmT1_PNSt15iterator_traitsIS12_E10value_typeET2_T3_PNS13_IS18_E10value_typeET4_jRbjT5_S1E_jjP12ihipStream_tbEUljE_ZNSN_ISO_Lb0ESQ_SR_ST_SU_SY_EESZ_S10_S11_S12_S16_S17_S18_S1B_S1C_jS1D_jS1E_S1E_jjS1G_bEUljE0_EEESZ_S10_S11_S18_S1C_S1E_T6_T7_T9_mT8_S1G_bDpT10_ENKUlT_T0_E_clISt17integral_constantIbLb1EES1T_IbLb0EEEEDaS1P_S1Q_EUlS1P_E_NS1_11comp_targetILNS1_3genE2ELNS1_11target_archE906ELNS1_3gpuE6ELNS1_3repE0EEENS1_30default_config_static_selectorELNS0_4arch9wavefront6targetE1EEEvS12_
                                        ; -- End function
	.set _ZN7rocprim17ROCPRIM_400000_NS6detail17trampoline_kernelINS0_13select_configILj256ELj13ELNS0_17block_load_methodE3ELS4_3ELS4_3ELNS0_20block_scan_algorithmE0ELj4294967295EEENS1_25partition_config_selectorILNS1_17partition_subalgoE4EjNS0_10empty_typeEbEEZZNS1_14partition_implILS8_4ELb0ES6_15HIP_vector_typeIjLj2EENS0_17counting_iteratorIjlEEPS9_SG_NS0_5tupleIJPjSI_NS0_16reverse_iteratorISI_EEEEENSH_IJSG_SG_SG_EEES9_SI_JZNS1_25segmented_radix_sort_implINS0_14default_configELb0EPKdPdPKlPlN2at6native12_GLOBAL__N_18offset_tEEE10hipError_tPvRmT1_PNSt15iterator_traitsIS12_E10value_typeET2_T3_PNS13_IS18_E10value_typeET4_jRbjT5_S1E_jjP12ihipStream_tbEUljE_ZNSN_ISO_Lb0ESQ_SR_ST_SU_SY_EESZ_S10_S11_S12_S16_S17_S18_S1B_S1C_jS1D_jS1E_S1E_jjS1G_bEUljE0_EEESZ_S10_S11_S18_S1C_S1E_T6_T7_T9_mT8_S1G_bDpT10_ENKUlT_T0_E_clISt17integral_constantIbLb1EES1T_IbLb0EEEEDaS1P_S1Q_EUlS1P_E_NS1_11comp_targetILNS1_3genE2ELNS1_11target_archE906ELNS1_3gpuE6ELNS1_3repE0EEENS1_30default_config_static_selectorELNS0_4arch9wavefront6targetE1EEEvS12_.num_vgpr, 0
	.set _ZN7rocprim17ROCPRIM_400000_NS6detail17trampoline_kernelINS0_13select_configILj256ELj13ELNS0_17block_load_methodE3ELS4_3ELS4_3ELNS0_20block_scan_algorithmE0ELj4294967295EEENS1_25partition_config_selectorILNS1_17partition_subalgoE4EjNS0_10empty_typeEbEEZZNS1_14partition_implILS8_4ELb0ES6_15HIP_vector_typeIjLj2EENS0_17counting_iteratorIjlEEPS9_SG_NS0_5tupleIJPjSI_NS0_16reverse_iteratorISI_EEEEENSH_IJSG_SG_SG_EEES9_SI_JZNS1_25segmented_radix_sort_implINS0_14default_configELb0EPKdPdPKlPlN2at6native12_GLOBAL__N_18offset_tEEE10hipError_tPvRmT1_PNSt15iterator_traitsIS12_E10value_typeET2_T3_PNS13_IS18_E10value_typeET4_jRbjT5_S1E_jjP12ihipStream_tbEUljE_ZNSN_ISO_Lb0ESQ_SR_ST_SU_SY_EESZ_S10_S11_S12_S16_S17_S18_S1B_S1C_jS1D_jS1E_S1E_jjS1G_bEUljE0_EEESZ_S10_S11_S18_S1C_S1E_T6_T7_T9_mT8_S1G_bDpT10_ENKUlT_T0_E_clISt17integral_constantIbLb1EES1T_IbLb0EEEEDaS1P_S1Q_EUlS1P_E_NS1_11comp_targetILNS1_3genE2ELNS1_11target_archE906ELNS1_3gpuE6ELNS1_3repE0EEENS1_30default_config_static_selectorELNS0_4arch9wavefront6targetE1EEEvS12_.num_agpr, 0
	.set _ZN7rocprim17ROCPRIM_400000_NS6detail17trampoline_kernelINS0_13select_configILj256ELj13ELNS0_17block_load_methodE3ELS4_3ELS4_3ELNS0_20block_scan_algorithmE0ELj4294967295EEENS1_25partition_config_selectorILNS1_17partition_subalgoE4EjNS0_10empty_typeEbEEZZNS1_14partition_implILS8_4ELb0ES6_15HIP_vector_typeIjLj2EENS0_17counting_iteratorIjlEEPS9_SG_NS0_5tupleIJPjSI_NS0_16reverse_iteratorISI_EEEEENSH_IJSG_SG_SG_EEES9_SI_JZNS1_25segmented_radix_sort_implINS0_14default_configELb0EPKdPdPKlPlN2at6native12_GLOBAL__N_18offset_tEEE10hipError_tPvRmT1_PNSt15iterator_traitsIS12_E10value_typeET2_T3_PNS13_IS18_E10value_typeET4_jRbjT5_S1E_jjP12ihipStream_tbEUljE_ZNSN_ISO_Lb0ESQ_SR_ST_SU_SY_EESZ_S10_S11_S12_S16_S17_S18_S1B_S1C_jS1D_jS1E_S1E_jjS1G_bEUljE0_EEESZ_S10_S11_S18_S1C_S1E_T6_T7_T9_mT8_S1G_bDpT10_ENKUlT_T0_E_clISt17integral_constantIbLb1EES1T_IbLb0EEEEDaS1P_S1Q_EUlS1P_E_NS1_11comp_targetILNS1_3genE2ELNS1_11target_archE906ELNS1_3gpuE6ELNS1_3repE0EEENS1_30default_config_static_selectorELNS0_4arch9wavefront6targetE1EEEvS12_.numbered_sgpr, 0
	.set _ZN7rocprim17ROCPRIM_400000_NS6detail17trampoline_kernelINS0_13select_configILj256ELj13ELNS0_17block_load_methodE3ELS4_3ELS4_3ELNS0_20block_scan_algorithmE0ELj4294967295EEENS1_25partition_config_selectorILNS1_17partition_subalgoE4EjNS0_10empty_typeEbEEZZNS1_14partition_implILS8_4ELb0ES6_15HIP_vector_typeIjLj2EENS0_17counting_iteratorIjlEEPS9_SG_NS0_5tupleIJPjSI_NS0_16reverse_iteratorISI_EEEEENSH_IJSG_SG_SG_EEES9_SI_JZNS1_25segmented_radix_sort_implINS0_14default_configELb0EPKdPdPKlPlN2at6native12_GLOBAL__N_18offset_tEEE10hipError_tPvRmT1_PNSt15iterator_traitsIS12_E10value_typeET2_T3_PNS13_IS18_E10value_typeET4_jRbjT5_S1E_jjP12ihipStream_tbEUljE_ZNSN_ISO_Lb0ESQ_SR_ST_SU_SY_EESZ_S10_S11_S12_S16_S17_S18_S1B_S1C_jS1D_jS1E_S1E_jjS1G_bEUljE0_EEESZ_S10_S11_S18_S1C_S1E_T6_T7_T9_mT8_S1G_bDpT10_ENKUlT_T0_E_clISt17integral_constantIbLb1EES1T_IbLb0EEEEDaS1P_S1Q_EUlS1P_E_NS1_11comp_targetILNS1_3genE2ELNS1_11target_archE906ELNS1_3gpuE6ELNS1_3repE0EEENS1_30default_config_static_selectorELNS0_4arch9wavefront6targetE1EEEvS12_.num_named_barrier, 0
	.set _ZN7rocprim17ROCPRIM_400000_NS6detail17trampoline_kernelINS0_13select_configILj256ELj13ELNS0_17block_load_methodE3ELS4_3ELS4_3ELNS0_20block_scan_algorithmE0ELj4294967295EEENS1_25partition_config_selectorILNS1_17partition_subalgoE4EjNS0_10empty_typeEbEEZZNS1_14partition_implILS8_4ELb0ES6_15HIP_vector_typeIjLj2EENS0_17counting_iteratorIjlEEPS9_SG_NS0_5tupleIJPjSI_NS0_16reverse_iteratorISI_EEEEENSH_IJSG_SG_SG_EEES9_SI_JZNS1_25segmented_radix_sort_implINS0_14default_configELb0EPKdPdPKlPlN2at6native12_GLOBAL__N_18offset_tEEE10hipError_tPvRmT1_PNSt15iterator_traitsIS12_E10value_typeET2_T3_PNS13_IS18_E10value_typeET4_jRbjT5_S1E_jjP12ihipStream_tbEUljE_ZNSN_ISO_Lb0ESQ_SR_ST_SU_SY_EESZ_S10_S11_S12_S16_S17_S18_S1B_S1C_jS1D_jS1E_S1E_jjS1G_bEUljE0_EEESZ_S10_S11_S18_S1C_S1E_T6_T7_T9_mT8_S1G_bDpT10_ENKUlT_T0_E_clISt17integral_constantIbLb1EES1T_IbLb0EEEEDaS1P_S1Q_EUlS1P_E_NS1_11comp_targetILNS1_3genE2ELNS1_11target_archE906ELNS1_3gpuE6ELNS1_3repE0EEENS1_30default_config_static_selectorELNS0_4arch9wavefront6targetE1EEEvS12_.private_seg_size, 0
	.set _ZN7rocprim17ROCPRIM_400000_NS6detail17trampoline_kernelINS0_13select_configILj256ELj13ELNS0_17block_load_methodE3ELS4_3ELS4_3ELNS0_20block_scan_algorithmE0ELj4294967295EEENS1_25partition_config_selectorILNS1_17partition_subalgoE4EjNS0_10empty_typeEbEEZZNS1_14partition_implILS8_4ELb0ES6_15HIP_vector_typeIjLj2EENS0_17counting_iteratorIjlEEPS9_SG_NS0_5tupleIJPjSI_NS0_16reverse_iteratorISI_EEEEENSH_IJSG_SG_SG_EEES9_SI_JZNS1_25segmented_radix_sort_implINS0_14default_configELb0EPKdPdPKlPlN2at6native12_GLOBAL__N_18offset_tEEE10hipError_tPvRmT1_PNSt15iterator_traitsIS12_E10value_typeET2_T3_PNS13_IS18_E10value_typeET4_jRbjT5_S1E_jjP12ihipStream_tbEUljE_ZNSN_ISO_Lb0ESQ_SR_ST_SU_SY_EESZ_S10_S11_S12_S16_S17_S18_S1B_S1C_jS1D_jS1E_S1E_jjS1G_bEUljE0_EEESZ_S10_S11_S18_S1C_S1E_T6_T7_T9_mT8_S1G_bDpT10_ENKUlT_T0_E_clISt17integral_constantIbLb1EES1T_IbLb0EEEEDaS1P_S1Q_EUlS1P_E_NS1_11comp_targetILNS1_3genE2ELNS1_11target_archE906ELNS1_3gpuE6ELNS1_3repE0EEENS1_30default_config_static_selectorELNS0_4arch9wavefront6targetE1EEEvS12_.uses_vcc, 0
	.set _ZN7rocprim17ROCPRIM_400000_NS6detail17trampoline_kernelINS0_13select_configILj256ELj13ELNS0_17block_load_methodE3ELS4_3ELS4_3ELNS0_20block_scan_algorithmE0ELj4294967295EEENS1_25partition_config_selectorILNS1_17partition_subalgoE4EjNS0_10empty_typeEbEEZZNS1_14partition_implILS8_4ELb0ES6_15HIP_vector_typeIjLj2EENS0_17counting_iteratorIjlEEPS9_SG_NS0_5tupleIJPjSI_NS0_16reverse_iteratorISI_EEEEENSH_IJSG_SG_SG_EEES9_SI_JZNS1_25segmented_radix_sort_implINS0_14default_configELb0EPKdPdPKlPlN2at6native12_GLOBAL__N_18offset_tEEE10hipError_tPvRmT1_PNSt15iterator_traitsIS12_E10value_typeET2_T3_PNS13_IS18_E10value_typeET4_jRbjT5_S1E_jjP12ihipStream_tbEUljE_ZNSN_ISO_Lb0ESQ_SR_ST_SU_SY_EESZ_S10_S11_S12_S16_S17_S18_S1B_S1C_jS1D_jS1E_S1E_jjS1G_bEUljE0_EEESZ_S10_S11_S18_S1C_S1E_T6_T7_T9_mT8_S1G_bDpT10_ENKUlT_T0_E_clISt17integral_constantIbLb1EES1T_IbLb0EEEEDaS1P_S1Q_EUlS1P_E_NS1_11comp_targetILNS1_3genE2ELNS1_11target_archE906ELNS1_3gpuE6ELNS1_3repE0EEENS1_30default_config_static_selectorELNS0_4arch9wavefront6targetE1EEEvS12_.uses_flat_scratch, 0
	.set _ZN7rocprim17ROCPRIM_400000_NS6detail17trampoline_kernelINS0_13select_configILj256ELj13ELNS0_17block_load_methodE3ELS4_3ELS4_3ELNS0_20block_scan_algorithmE0ELj4294967295EEENS1_25partition_config_selectorILNS1_17partition_subalgoE4EjNS0_10empty_typeEbEEZZNS1_14partition_implILS8_4ELb0ES6_15HIP_vector_typeIjLj2EENS0_17counting_iteratorIjlEEPS9_SG_NS0_5tupleIJPjSI_NS0_16reverse_iteratorISI_EEEEENSH_IJSG_SG_SG_EEES9_SI_JZNS1_25segmented_radix_sort_implINS0_14default_configELb0EPKdPdPKlPlN2at6native12_GLOBAL__N_18offset_tEEE10hipError_tPvRmT1_PNSt15iterator_traitsIS12_E10value_typeET2_T3_PNS13_IS18_E10value_typeET4_jRbjT5_S1E_jjP12ihipStream_tbEUljE_ZNSN_ISO_Lb0ESQ_SR_ST_SU_SY_EESZ_S10_S11_S12_S16_S17_S18_S1B_S1C_jS1D_jS1E_S1E_jjS1G_bEUljE0_EEESZ_S10_S11_S18_S1C_S1E_T6_T7_T9_mT8_S1G_bDpT10_ENKUlT_T0_E_clISt17integral_constantIbLb1EES1T_IbLb0EEEEDaS1P_S1Q_EUlS1P_E_NS1_11comp_targetILNS1_3genE2ELNS1_11target_archE906ELNS1_3gpuE6ELNS1_3repE0EEENS1_30default_config_static_selectorELNS0_4arch9wavefront6targetE1EEEvS12_.has_dyn_sized_stack, 0
	.set _ZN7rocprim17ROCPRIM_400000_NS6detail17trampoline_kernelINS0_13select_configILj256ELj13ELNS0_17block_load_methodE3ELS4_3ELS4_3ELNS0_20block_scan_algorithmE0ELj4294967295EEENS1_25partition_config_selectorILNS1_17partition_subalgoE4EjNS0_10empty_typeEbEEZZNS1_14partition_implILS8_4ELb0ES6_15HIP_vector_typeIjLj2EENS0_17counting_iteratorIjlEEPS9_SG_NS0_5tupleIJPjSI_NS0_16reverse_iteratorISI_EEEEENSH_IJSG_SG_SG_EEES9_SI_JZNS1_25segmented_radix_sort_implINS0_14default_configELb0EPKdPdPKlPlN2at6native12_GLOBAL__N_18offset_tEEE10hipError_tPvRmT1_PNSt15iterator_traitsIS12_E10value_typeET2_T3_PNS13_IS18_E10value_typeET4_jRbjT5_S1E_jjP12ihipStream_tbEUljE_ZNSN_ISO_Lb0ESQ_SR_ST_SU_SY_EESZ_S10_S11_S12_S16_S17_S18_S1B_S1C_jS1D_jS1E_S1E_jjS1G_bEUljE0_EEESZ_S10_S11_S18_S1C_S1E_T6_T7_T9_mT8_S1G_bDpT10_ENKUlT_T0_E_clISt17integral_constantIbLb1EES1T_IbLb0EEEEDaS1P_S1Q_EUlS1P_E_NS1_11comp_targetILNS1_3genE2ELNS1_11target_archE906ELNS1_3gpuE6ELNS1_3repE0EEENS1_30default_config_static_selectorELNS0_4arch9wavefront6targetE1EEEvS12_.has_recursion, 0
	.set _ZN7rocprim17ROCPRIM_400000_NS6detail17trampoline_kernelINS0_13select_configILj256ELj13ELNS0_17block_load_methodE3ELS4_3ELS4_3ELNS0_20block_scan_algorithmE0ELj4294967295EEENS1_25partition_config_selectorILNS1_17partition_subalgoE4EjNS0_10empty_typeEbEEZZNS1_14partition_implILS8_4ELb0ES6_15HIP_vector_typeIjLj2EENS0_17counting_iteratorIjlEEPS9_SG_NS0_5tupleIJPjSI_NS0_16reverse_iteratorISI_EEEEENSH_IJSG_SG_SG_EEES9_SI_JZNS1_25segmented_radix_sort_implINS0_14default_configELb0EPKdPdPKlPlN2at6native12_GLOBAL__N_18offset_tEEE10hipError_tPvRmT1_PNSt15iterator_traitsIS12_E10value_typeET2_T3_PNS13_IS18_E10value_typeET4_jRbjT5_S1E_jjP12ihipStream_tbEUljE_ZNSN_ISO_Lb0ESQ_SR_ST_SU_SY_EESZ_S10_S11_S12_S16_S17_S18_S1B_S1C_jS1D_jS1E_S1E_jjS1G_bEUljE0_EEESZ_S10_S11_S18_S1C_S1E_T6_T7_T9_mT8_S1G_bDpT10_ENKUlT_T0_E_clISt17integral_constantIbLb1EES1T_IbLb0EEEEDaS1P_S1Q_EUlS1P_E_NS1_11comp_targetILNS1_3genE2ELNS1_11target_archE906ELNS1_3gpuE6ELNS1_3repE0EEENS1_30default_config_static_selectorELNS0_4arch9wavefront6targetE1EEEvS12_.has_indirect_call, 0
	.section	.AMDGPU.csdata,"",@progbits
; Kernel info:
; codeLenInByte = 4
; TotalNumSgprs: 4
; NumVgprs: 0
; ScratchSize: 0
; MemoryBound: 0
; FloatMode: 240
; IeeeMode: 1
; LDSByteSize: 0 bytes/workgroup (compile time only)
; SGPRBlocks: 0
; VGPRBlocks: 0
; NumSGPRsForWavesPerEU: 4
; NumVGPRsForWavesPerEU: 1
; Occupancy: 10
; WaveLimiterHint : 0
; COMPUTE_PGM_RSRC2:SCRATCH_EN: 0
; COMPUTE_PGM_RSRC2:USER_SGPR: 6
; COMPUTE_PGM_RSRC2:TRAP_HANDLER: 0
; COMPUTE_PGM_RSRC2:TGID_X_EN: 1
; COMPUTE_PGM_RSRC2:TGID_Y_EN: 0
; COMPUTE_PGM_RSRC2:TGID_Z_EN: 0
; COMPUTE_PGM_RSRC2:TIDIG_COMP_CNT: 0
	.section	.text._ZN7rocprim17ROCPRIM_400000_NS6detail17trampoline_kernelINS0_13select_configILj256ELj13ELNS0_17block_load_methodE3ELS4_3ELS4_3ELNS0_20block_scan_algorithmE0ELj4294967295EEENS1_25partition_config_selectorILNS1_17partition_subalgoE4EjNS0_10empty_typeEbEEZZNS1_14partition_implILS8_4ELb0ES6_15HIP_vector_typeIjLj2EENS0_17counting_iteratorIjlEEPS9_SG_NS0_5tupleIJPjSI_NS0_16reverse_iteratorISI_EEEEENSH_IJSG_SG_SG_EEES9_SI_JZNS1_25segmented_radix_sort_implINS0_14default_configELb0EPKdPdPKlPlN2at6native12_GLOBAL__N_18offset_tEEE10hipError_tPvRmT1_PNSt15iterator_traitsIS12_E10value_typeET2_T3_PNS13_IS18_E10value_typeET4_jRbjT5_S1E_jjP12ihipStream_tbEUljE_ZNSN_ISO_Lb0ESQ_SR_ST_SU_SY_EESZ_S10_S11_S12_S16_S17_S18_S1B_S1C_jS1D_jS1E_S1E_jjS1G_bEUljE0_EEESZ_S10_S11_S18_S1C_S1E_T6_T7_T9_mT8_S1G_bDpT10_ENKUlT_T0_E_clISt17integral_constantIbLb1EES1T_IbLb0EEEEDaS1P_S1Q_EUlS1P_E_NS1_11comp_targetILNS1_3genE10ELNS1_11target_archE1200ELNS1_3gpuE4ELNS1_3repE0EEENS1_30default_config_static_selectorELNS0_4arch9wavefront6targetE1EEEvS12_,"axG",@progbits,_ZN7rocprim17ROCPRIM_400000_NS6detail17trampoline_kernelINS0_13select_configILj256ELj13ELNS0_17block_load_methodE3ELS4_3ELS4_3ELNS0_20block_scan_algorithmE0ELj4294967295EEENS1_25partition_config_selectorILNS1_17partition_subalgoE4EjNS0_10empty_typeEbEEZZNS1_14partition_implILS8_4ELb0ES6_15HIP_vector_typeIjLj2EENS0_17counting_iteratorIjlEEPS9_SG_NS0_5tupleIJPjSI_NS0_16reverse_iteratorISI_EEEEENSH_IJSG_SG_SG_EEES9_SI_JZNS1_25segmented_radix_sort_implINS0_14default_configELb0EPKdPdPKlPlN2at6native12_GLOBAL__N_18offset_tEEE10hipError_tPvRmT1_PNSt15iterator_traitsIS12_E10value_typeET2_T3_PNS13_IS18_E10value_typeET4_jRbjT5_S1E_jjP12ihipStream_tbEUljE_ZNSN_ISO_Lb0ESQ_SR_ST_SU_SY_EESZ_S10_S11_S12_S16_S17_S18_S1B_S1C_jS1D_jS1E_S1E_jjS1G_bEUljE0_EEESZ_S10_S11_S18_S1C_S1E_T6_T7_T9_mT8_S1G_bDpT10_ENKUlT_T0_E_clISt17integral_constantIbLb1EES1T_IbLb0EEEEDaS1P_S1Q_EUlS1P_E_NS1_11comp_targetILNS1_3genE10ELNS1_11target_archE1200ELNS1_3gpuE4ELNS1_3repE0EEENS1_30default_config_static_selectorELNS0_4arch9wavefront6targetE1EEEvS12_,comdat
	.globl	_ZN7rocprim17ROCPRIM_400000_NS6detail17trampoline_kernelINS0_13select_configILj256ELj13ELNS0_17block_load_methodE3ELS4_3ELS4_3ELNS0_20block_scan_algorithmE0ELj4294967295EEENS1_25partition_config_selectorILNS1_17partition_subalgoE4EjNS0_10empty_typeEbEEZZNS1_14partition_implILS8_4ELb0ES6_15HIP_vector_typeIjLj2EENS0_17counting_iteratorIjlEEPS9_SG_NS0_5tupleIJPjSI_NS0_16reverse_iteratorISI_EEEEENSH_IJSG_SG_SG_EEES9_SI_JZNS1_25segmented_radix_sort_implINS0_14default_configELb0EPKdPdPKlPlN2at6native12_GLOBAL__N_18offset_tEEE10hipError_tPvRmT1_PNSt15iterator_traitsIS12_E10value_typeET2_T3_PNS13_IS18_E10value_typeET4_jRbjT5_S1E_jjP12ihipStream_tbEUljE_ZNSN_ISO_Lb0ESQ_SR_ST_SU_SY_EESZ_S10_S11_S12_S16_S17_S18_S1B_S1C_jS1D_jS1E_S1E_jjS1G_bEUljE0_EEESZ_S10_S11_S18_S1C_S1E_T6_T7_T9_mT8_S1G_bDpT10_ENKUlT_T0_E_clISt17integral_constantIbLb1EES1T_IbLb0EEEEDaS1P_S1Q_EUlS1P_E_NS1_11comp_targetILNS1_3genE10ELNS1_11target_archE1200ELNS1_3gpuE4ELNS1_3repE0EEENS1_30default_config_static_selectorELNS0_4arch9wavefront6targetE1EEEvS12_ ; -- Begin function _ZN7rocprim17ROCPRIM_400000_NS6detail17trampoline_kernelINS0_13select_configILj256ELj13ELNS0_17block_load_methodE3ELS4_3ELS4_3ELNS0_20block_scan_algorithmE0ELj4294967295EEENS1_25partition_config_selectorILNS1_17partition_subalgoE4EjNS0_10empty_typeEbEEZZNS1_14partition_implILS8_4ELb0ES6_15HIP_vector_typeIjLj2EENS0_17counting_iteratorIjlEEPS9_SG_NS0_5tupleIJPjSI_NS0_16reverse_iteratorISI_EEEEENSH_IJSG_SG_SG_EEES9_SI_JZNS1_25segmented_radix_sort_implINS0_14default_configELb0EPKdPdPKlPlN2at6native12_GLOBAL__N_18offset_tEEE10hipError_tPvRmT1_PNSt15iterator_traitsIS12_E10value_typeET2_T3_PNS13_IS18_E10value_typeET4_jRbjT5_S1E_jjP12ihipStream_tbEUljE_ZNSN_ISO_Lb0ESQ_SR_ST_SU_SY_EESZ_S10_S11_S12_S16_S17_S18_S1B_S1C_jS1D_jS1E_S1E_jjS1G_bEUljE0_EEESZ_S10_S11_S18_S1C_S1E_T6_T7_T9_mT8_S1G_bDpT10_ENKUlT_T0_E_clISt17integral_constantIbLb1EES1T_IbLb0EEEEDaS1P_S1Q_EUlS1P_E_NS1_11comp_targetILNS1_3genE10ELNS1_11target_archE1200ELNS1_3gpuE4ELNS1_3repE0EEENS1_30default_config_static_selectorELNS0_4arch9wavefront6targetE1EEEvS12_
	.p2align	8
	.type	_ZN7rocprim17ROCPRIM_400000_NS6detail17trampoline_kernelINS0_13select_configILj256ELj13ELNS0_17block_load_methodE3ELS4_3ELS4_3ELNS0_20block_scan_algorithmE0ELj4294967295EEENS1_25partition_config_selectorILNS1_17partition_subalgoE4EjNS0_10empty_typeEbEEZZNS1_14partition_implILS8_4ELb0ES6_15HIP_vector_typeIjLj2EENS0_17counting_iteratorIjlEEPS9_SG_NS0_5tupleIJPjSI_NS0_16reverse_iteratorISI_EEEEENSH_IJSG_SG_SG_EEES9_SI_JZNS1_25segmented_radix_sort_implINS0_14default_configELb0EPKdPdPKlPlN2at6native12_GLOBAL__N_18offset_tEEE10hipError_tPvRmT1_PNSt15iterator_traitsIS12_E10value_typeET2_T3_PNS13_IS18_E10value_typeET4_jRbjT5_S1E_jjP12ihipStream_tbEUljE_ZNSN_ISO_Lb0ESQ_SR_ST_SU_SY_EESZ_S10_S11_S12_S16_S17_S18_S1B_S1C_jS1D_jS1E_S1E_jjS1G_bEUljE0_EEESZ_S10_S11_S18_S1C_S1E_T6_T7_T9_mT8_S1G_bDpT10_ENKUlT_T0_E_clISt17integral_constantIbLb1EES1T_IbLb0EEEEDaS1P_S1Q_EUlS1P_E_NS1_11comp_targetILNS1_3genE10ELNS1_11target_archE1200ELNS1_3gpuE4ELNS1_3repE0EEENS1_30default_config_static_selectorELNS0_4arch9wavefront6targetE1EEEvS12_,@function
_ZN7rocprim17ROCPRIM_400000_NS6detail17trampoline_kernelINS0_13select_configILj256ELj13ELNS0_17block_load_methodE3ELS4_3ELS4_3ELNS0_20block_scan_algorithmE0ELj4294967295EEENS1_25partition_config_selectorILNS1_17partition_subalgoE4EjNS0_10empty_typeEbEEZZNS1_14partition_implILS8_4ELb0ES6_15HIP_vector_typeIjLj2EENS0_17counting_iteratorIjlEEPS9_SG_NS0_5tupleIJPjSI_NS0_16reverse_iteratorISI_EEEEENSH_IJSG_SG_SG_EEES9_SI_JZNS1_25segmented_radix_sort_implINS0_14default_configELb0EPKdPdPKlPlN2at6native12_GLOBAL__N_18offset_tEEE10hipError_tPvRmT1_PNSt15iterator_traitsIS12_E10value_typeET2_T3_PNS13_IS18_E10value_typeET4_jRbjT5_S1E_jjP12ihipStream_tbEUljE_ZNSN_ISO_Lb0ESQ_SR_ST_SU_SY_EESZ_S10_S11_S12_S16_S17_S18_S1B_S1C_jS1D_jS1E_S1E_jjS1G_bEUljE0_EEESZ_S10_S11_S18_S1C_S1E_T6_T7_T9_mT8_S1G_bDpT10_ENKUlT_T0_E_clISt17integral_constantIbLb1EES1T_IbLb0EEEEDaS1P_S1Q_EUlS1P_E_NS1_11comp_targetILNS1_3genE10ELNS1_11target_archE1200ELNS1_3gpuE4ELNS1_3repE0EEENS1_30default_config_static_selectorELNS0_4arch9wavefront6targetE1EEEvS12_: ; @_ZN7rocprim17ROCPRIM_400000_NS6detail17trampoline_kernelINS0_13select_configILj256ELj13ELNS0_17block_load_methodE3ELS4_3ELS4_3ELNS0_20block_scan_algorithmE0ELj4294967295EEENS1_25partition_config_selectorILNS1_17partition_subalgoE4EjNS0_10empty_typeEbEEZZNS1_14partition_implILS8_4ELb0ES6_15HIP_vector_typeIjLj2EENS0_17counting_iteratorIjlEEPS9_SG_NS0_5tupleIJPjSI_NS0_16reverse_iteratorISI_EEEEENSH_IJSG_SG_SG_EEES9_SI_JZNS1_25segmented_radix_sort_implINS0_14default_configELb0EPKdPdPKlPlN2at6native12_GLOBAL__N_18offset_tEEE10hipError_tPvRmT1_PNSt15iterator_traitsIS12_E10value_typeET2_T3_PNS13_IS18_E10value_typeET4_jRbjT5_S1E_jjP12ihipStream_tbEUljE_ZNSN_ISO_Lb0ESQ_SR_ST_SU_SY_EESZ_S10_S11_S12_S16_S17_S18_S1B_S1C_jS1D_jS1E_S1E_jjS1G_bEUljE0_EEESZ_S10_S11_S18_S1C_S1E_T6_T7_T9_mT8_S1G_bDpT10_ENKUlT_T0_E_clISt17integral_constantIbLb1EES1T_IbLb0EEEEDaS1P_S1Q_EUlS1P_E_NS1_11comp_targetILNS1_3genE10ELNS1_11target_archE1200ELNS1_3gpuE4ELNS1_3repE0EEENS1_30default_config_static_selectorELNS0_4arch9wavefront6targetE1EEEvS12_
; %bb.0:
	.section	.rodata,"a",@progbits
	.p2align	6, 0x0
	.amdhsa_kernel _ZN7rocprim17ROCPRIM_400000_NS6detail17trampoline_kernelINS0_13select_configILj256ELj13ELNS0_17block_load_methodE3ELS4_3ELS4_3ELNS0_20block_scan_algorithmE0ELj4294967295EEENS1_25partition_config_selectorILNS1_17partition_subalgoE4EjNS0_10empty_typeEbEEZZNS1_14partition_implILS8_4ELb0ES6_15HIP_vector_typeIjLj2EENS0_17counting_iteratorIjlEEPS9_SG_NS0_5tupleIJPjSI_NS0_16reverse_iteratorISI_EEEEENSH_IJSG_SG_SG_EEES9_SI_JZNS1_25segmented_radix_sort_implINS0_14default_configELb0EPKdPdPKlPlN2at6native12_GLOBAL__N_18offset_tEEE10hipError_tPvRmT1_PNSt15iterator_traitsIS12_E10value_typeET2_T3_PNS13_IS18_E10value_typeET4_jRbjT5_S1E_jjP12ihipStream_tbEUljE_ZNSN_ISO_Lb0ESQ_SR_ST_SU_SY_EESZ_S10_S11_S12_S16_S17_S18_S1B_S1C_jS1D_jS1E_S1E_jjS1G_bEUljE0_EEESZ_S10_S11_S18_S1C_S1E_T6_T7_T9_mT8_S1G_bDpT10_ENKUlT_T0_E_clISt17integral_constantIbLb1EES1T_IbLb0EEEEDaS1P_S1Q_EUlS1P_E_NS1_11comp_targetILNS1_3genE10ELNS1_11target_archE1200ELNS1_3gpuE4ELNS1_3repE0EEENS1_30default_config_static_selectorELNS0_4arch9wavefront6targetE1EEEvS12_
		.amdhsa_group_segment_fixed_size 0
		.amdhsa_private_segment_fixed_size 0
		.amdhsa_kernarg_size 176
		.amdhsa_user_sgpr_count 6
		.amdhsa_user_sgpr_private_segment_buffer 1
		.amdhsa_user_sgpr_dispatch_ptr 0
		.amdhsa_user_sgpr_queue_ptr 0
		.amdhsa_user_sgpr_kernarg_segment_ptr 1
		.amdhsa_user_sgpr_dispatch_id 0
		.amdhsa_user_sgpr_flat_scratch_init 0
		.amdhsa_user_sgpr_private_segment_size 0
		.amdhsa_uses_dynamic_stack 0
		.amdhsa_system_sgpr_private_segment_wavefront_offset 0
		.amdhsa_system_sgpr_workgroup_id_x 1
		.amdhsa_system_sgpr_workgroup_id_y 0
		.amdhsa_system_sgpr_workgroup_id_z 0
		.amdhsa_system_sgpr_workgroup_info 0
		.amdhsa_system_vgpr_workitem_id 0
		.amdhsa_next_free_vgpr 1
		.amdhsa_next_free_sgpr 0
		.amdhsa_reserve_vcc 0
		.amdhsa_reserve_flat_scratch 0
		.amdhsa_float_round_mode_32 0
		.amdhsa_float_round_mode_16_64 0
		.amdhsa_float_denorm_mode_32 3
		.amdhsa_float_denorm_mode_16_64 3
		.amdhsa_dx10_clamp 1
		.amdhsa_ieee_mode 1
		.amdhsa_fp16_overflow 0
		.amdhsa_exception_fp_ieee_invalid_op 0
		.amdhsa_exception_fp_denorm_src 0
		.amdhsa_exception_fp_ieee_div_zero 0
		.amdhsa_exception_fp_ieee_overflow 0
		.amdhsa_exception_fp_ieee_underflow 0
		.amdhsa_exception_fp_ieee_inexact 0
		.amdhsa_exception_int_div_zero 0
	.end_amdhsa_kernel
	.section	.text._ZN7rocprim17ROCPRIM_400000_NS6detail17trampoline_kernelINS0_13select_configILj256ELj13ELNS0_17block_load_methodE3ELS4_3ELS4_3ELNS0_20block_scan_algorithmE0ELj4294967295EEENS1_25partition_config_selectorILNS1_17partition_subalgoE4EjNS0_10empty_typeEbEEZZNS1_14partition_implILS8_4ELb0ES6_15HIP_vector_typeIjLj2EENS0_17counting_iteratorIjlEEPS9_SG_NS0_5tupleIJPjSI_NS0_16reverse_iteratorISI_EEEEENSH_IJSG_SG_SG_EEES9_SI_JZNS1_25segmented_radix_sort_implINS0_14default_configELb0EPKdPdPKlPlN2at6native12_GLOBAL__N_18offset_tEEE10hipError_tPvRmT1_PNSt15iterator_traitsIS12_E10value_typeET2_T3_PNS13_IS18_E10value_typeET4_jRbjT5_S1E_jjP12ihipStream_tbEUljE_ZNSN_ISO_Lb0ESQ_SR_ST_SU_SY_EESZ_S10_S11_S12_S16_S17_S18_S1B_S1C_jS1D_jS1E_S1E_jjS1G_bEUljE0_EEESZ_S10_S11_S18_S1C_S1E_T6_T7_T9_mT8_S1G_bDpT10_ENKUlT_T0_E_clISt17integral_constantIbLb1EES1T_IbLb0EEEEDaS1P_S1Q_EUlS1P_E_NS1_11comp_targetILNS1_3genE10ELNS1_11target_archE1200ELNS1_3gpuE4ELNS1_3repE0EEENS1_30default_config_static_selectorELNS0_4arch9wavefront6targetE1EEEvS12_,"axG",@progbits,_ZN7rocprim17ROCPRIM_400000_NS6detail17trampoline_kernelINS0_13select_configILj256ELj13ELNS0_17block_load_methodE3ELS4_3ELS4_3ELNS0_20block_scan_algorithmE0ELj4294967295EEENS1_25partition_config_selectorILNS1_17partition_subalgoE4EjNS0_10empty_typeEbEEZZNS1_14partition_implILS8_4ELb0ES6_15HIP_vector_typeIjLj2EENS0_17counting_iteratorIjlEEPS9_SG_NS0_5tupleIJPjSI_NS0_16reverse_iteratorISI_EEEEENSH_IJSG_SG_SG_EEES9_SI_JZNS1_25segmented_radix_sort_implINS0_14default_configELb0EPKdPdPKlPlN2at6native12_GLOBAL__N_18offset_tEEE10hipError_tPvRmT1_PNSt15iterator_traitsIS12_E10value_typeET2_T3_PNS13_IS18_E10value_typeET4_jRbjT5_S1E_jjP12ihipStream_tbEUljE_ZNSN_ISO_Lb0ESQ_SR_ST_SU_SY_EESZ_S10_S11_S12_S16_S17_S18_S1B_S1C_jS1D_jS1E_S1E_jjS1G_bEUljE0_EEESZ_S10_S11_S18_S1C_S1E_T6_T7_T9_mT8_S1G_bDpT10_ENKUlT_T0_E_clISt17integral_constantIbLb1EES1T_IbLb0EEEEDaS1P_S1Q_EUlS1P_E_NS1_11comp_targetILNS1_3genE10ELNS1_11target_archE1200ELNS1_3gpuE4ELNS1_3repE0EEENS1_30default_config_static_selectorELNS0_4arch9wavefront6targetE1EEEvS12_,comdat
.Lfunc_end1178:
	.size	_ZN7rocprim17ROCPRIM_400000_NS6detail17trampoline_kernelINS0_13select_configILj256ELj13ELNS0_17block_load_methodE3ELS4_3ELS4_3ELNS0_20block_scan_algorithmE0ELj4294967295EEENS1_25partition_config_selectorILNS1_17partition_subalgoE4EjNS0_10empty_typeEbEEZZNS1_14partition_implILS8_4ELb0ES6_15HIP_vector_typeIjLj2EENS0_17counting_iteratorIjlEEPS9_SG_NS0_5tupleIJPjSI_NS0_16reverse_iteratorISI_EEEEENSH_IJSG_SG_SG_EEES9_SI_JZNS1_25segmented_radix_sort_implINS0_14default_configELb0EPKdPdPKlPlN2at6native12_GLOBAL__N_18offset_tEEE10hipError_tPvRmT1_PNSt15iterator_traitsIS12_E10value_typeET2_T3_PNS13_IS18_E10value_typeET4_jRbjT5_S1E_jjP12ihipStream_tbEUljE_ZNSN_ISO_Lb0ESQ_SR_ST_SU_SY_EESZ_S10_S11_S12_S16_S17_S18_S1B_S1C_jS1D_jS1E_S1E_jjS1G_bEUljE0_EEESZ_S10_S11_S18_S1C_S1E_T6_T7_T9_mT8_S1G_bDpT10_ENKUlT_T0_E_clISt17integral_constantIbLb1EES1T_IbLb0EEEEDaS1P_S1Q_EUlS1P_E_NS1_11comp_targetILNS1_3genE10ELNS1_11target_archE1200ELNS1_3gpuE4ELNS1_3repE0EEENS1_30default_config_static_selectorELNS0_4arch9wavefront6targetE1EEEvS12_, .Lfunc_end1178-_ZN7rocprim17ROCPRIM_400000_NS6detail17trampoline_kernelINS0_13select_configILj256ELj13ELNS0_17block_load_methodE3ELS4_3ELS4_3ELNS0_20block_scan_algorithmE0ELj4294967295EEENS1_25partition_config_selectorILNS1_17partition_subalgoE4EjNS0_10empty_typeEbEEZZNS1_14partition_implILS8_4ELb0ES6_15HIP_vector_typeIjLj2EENS0_17counting_iteratorIjlEEPS9_SG_NS0_5tupleIJPjSI_NS0_16reverse_iteratorISI_EEEEENSH_IJSG_SG_SG_EEES9_SI_JZNS1_25segmented_radix_sort_implINS0_14default_configELb0EPKdPdPKlPlN2at6native12_GLOBAL__N_18offset_tEEE10hipError_tPvRmT1_PNSt15iterator_traitsIS12_E10value_typeET2_T3_PNS13_IS18_E10value_typeET4_jRbjT5_S1E_jjP12ihipStream_tbEUljE_ZNSN_ISO_Lb0ESQ_SR_ST_SU_SY_EESZ_S10_S11_S12_S16_S17_S18_S1B_S1C_jS1D_jS1E_S1E_jjS1G_bEUljE0_EEESZ_S10_S11_S18_S1C_S1E_T6_T7_T9_mT8_S1G_bDpT10_ENKUlT_T0_E_clISt17integral_constantIbLb1EES1T_IbLb0EEEEDaS1P_S1Q_EUlS1P_E_NS1_11comp_targetILNS1_3genE10ELNS1_11target_archE1200ELNS1_3gpuE4ELNS1_3repE0EEENS1_30default_config_static_selectorELNS0_4arch9wavefront6targetE1EEEvS12_
                                        ; -- End function
	.set _ZN7rocprim17ROCPRIM_400000_NS6detail17trampoline_kernelINS0_13select_configILj256ELj13ELNS0_17block_load_methodE3ELS4_3ELS4_3ELNS0_20block_scan_algorithmE0ELj4294967295EEENS1_25partition_config_selectorILNS1_17partition_subalgoE4EjNS0_10empty_typeEbEEZZNS1_14partition_implILS8_4ELb0ES6_15HIP_vector_typeIjLj2EENS0_17counting_iteratorIjlEEPS9_SG_NS0_5tupleIJPjSI_NS0_16reverse_iteratorISI_EEEEENSH_IJSG_SG_SG_EEES9_SI_JZNS1_25segmented_radix_sort_implINS0_14default_configELb0EPKdPdPKlPlN2at6native12_GLOBAL__N_18offset_tEEE10hipError_tPvRmT1_PNSt15iterator_traitsIS12_E10value_typeET2_T3_PNS13_IS18_E10value_typeET4_jRbjT5_S1E_jjP12ihipStream_tbEUljE_ZNSN_ISO_Lb0ESQ_SR_ST_SU_SY_EESZ_S10_S11_S12_S16_S17_S18_S1B_S1C_jS1D_jS1E_S1E_jjS1G_bEUljE0_EEESZ_S10_S11_S18_S1C_S1E_T6_T7_T9_mT8_S1G_bDpT10_ENKUlT_T0_E_clISt17integral_constantIbLb1EES1T_IbLb0EEEEDaS1P_S1Q_EUlS1P_E_NS1_11comp_targetILNS1_3genE10ELNS1_11target_archE1200ELNS1_3gpuE4ELNS1_3repE0EEENS1_30default_config_static_selectorELNS0_4arch9wavefront6targetE1EEEvS12_.num_vgpr, 0
	.set _ZN7rocprim17ROCPRIM_400000_NS6detail17trampoline_kernelINS0_13select_configILj256ELj13ELNS0_17block_load_methodE3ELS4_3ELS4_3ELNS0_20block_scan_algorithmE0ELj4294967295EEENS1_25partition_config_selectorILNS1_17partition_subalgoE4EjNS0_10empty_typeEbEEZZNS1_14partition_implILS8_4ELb0ES6_15HIP_vector_typeIjLj2EENS0_17counting_iteratorIjlEEPS9_SG_NS0_5tupleIJPjSI_NS0_16reverse_iteratorISI_EEEEENSH_IJSG_SG_SG_EEES9_SI_JZNS1_25segmented_radix_sort_implINS0_14default_configELb0EPKdPdPKlPlN2at6native12_GLOBAL__N_18offset_tEEE10hipError_tPvRmT1_PNSt15iterator_traitsIS12_E10value_typeET2_T3_PNS13_IS18_E10value_typeET4_jRbjT5_S1E_jjP12ihipStream_tbEUljE_ZNSN_ISO_Lb0ESQ_SR_ST_SU_SY_EESZ_S10_S11_S12_S16_S17_S18_S1B_S1C_jS1D_jS1E_S1E_jjS1G_bEUljE0_EEESZ_S10_S11_S18_S1C_S1E_T6_T7_T9_mT8_S1G_bDpT10_ENKUlT_T0_E_clISt17integral_constantIbLb1EES1T_IbLb0EEEEDaS1P_S1Q_EUlS1P_E_NS1_11comp_targetILNS1_3genE10ELNS1_11target_archE1200ELNS1_3gpuE4ELNS1_3repE0EEENS1_30default_config_static_selectorELNS0_4arch9wavefront6targetE1EEEvS12_.num_agpr, 0
	.set _ZN7rocprim17ROCPRIM_400000_NS6detail17trampoline_kernelINS0_13select_configILj256ELj13ELNS0_17block_load_methodE3ELS4_3ELS4_3ELNS0_20block_scan_algorithmE0ELj4294967295EEENS1_25partition_config_selectorILNS1_17partition_subalgoE4EjNS0_10empty_typeEbEEZZNS1_14partition_implILS8_4ELb0ES6_15HIP_vector_typeIjLj2EENS0_17counting_iteratorIjlEEPS9_SG_NS0_5tupleIJPjSI_NS0_16reverse_iteratorISI_EEEEENSH_IJSG_SG_SG_EEES9_SI_JZNS1_25segmented_radix_sort_implINS0_14default_configELb0EPKdPdPKlPlN2at6native12_GLOBAL__N_18offset_tEEE10hipError_tPvRmT1_PNSt15iterator_traitsIS12_E10value_typeET2_T3_PNS13_IS18_E10value_typeET4_jRbjT5_S1E_jjP12ihipStream_tbEUljE_ZNSN_ISO_Lb0ESQ_SR_ST_SU_SY_EESZ_S10_S11_S12_S16_S17_S18_S1B_S1C_jS1D_jS1E_S1E_jjS1G_bEUljE0_EEESZ_S10_S11_S18_S1C_S1E_T6_T7_T9_mT8_S1G_bDpT10_ENKUlT_T0_E_clISt17integral_constantIbLb1EES1T_IbLb0EEEEDaS1P_S1Q_EUlS1P_E_NS1_11comp_targetILNS1_3genE10ELNS1_11target_archE1200ELNS1_3gpuE4ELNS1_3repE0EEENS1_30default_config_static_selectorELNS0_4arch9wavefront6targetE1EEEvS12_.numbered_sgpr, 0
	.set _ZN7rocprim17ROCPRIM_400000_NS6detail17trampoline_kernelINS0_13select_configILj256ELj13ELNS0_17block_load_methodE3ELS4_3ELS4_3ELNS0_20block_scan_algorithmE0ELj4294967295EEENS1_25partition_config_selectorILNS1_17partition_subalgoE4EjNS0_10empty_typeEbEEZZNS1_14partition_implILS8_4ELb0ES6_15HIP_vector_typeIjLj2EENS0_17counting_iteratorIjlEEPS9_SG_NS0_5tupleIJPjSI_NS0_16reverse_iteratorISI_EEEEENSH_IJSG_SG_SG_EEES9_SI_JZNS1_25segmented_radix_sort_implINS0_14default_configELb0EPKdPdPKlPlN2at6native12_GLOBAL__N_18offset_tEEE10hipError_tPvRmT1_PNSt15iterator_traitsIS12_E10value_typeET2_T3_PNS13_IS18_E10value_typeET4_jRbjT5_S1E_jjP12ihipStream_tbEUljE_ZNSN_ISO_Lb0ESQ_SR_ST_SU_SY_EESZ_S10_S11_S12_S16_S17_S18_S1B_S1C_jS1D_jS1E_S1E_jjS1G_bEUljE0_EEESZ_S10_S11_S18_S1C_S1E_T6_T7_T9_mT8_S1G_bDpT10_ENKUlT_T0_E_clISt17integral_constantIbLb1EES1T_IbLb0EEEEDaS1P_S1Q_EUlS1P_E_NS1_11comp_targetILNS1_3genE10ELNS1_11target_archE1200ELNS1_3gpuE4ELNS1_3repE0EEENS1_30default_config_static_selectorELNS0_4arch9wavefront6targetE1EEEvS12_.num_named_barrier, 0
	.set _ZN7rocprim17ROCPRIM_400000_NS6detail17trampoline_kernelINS0_13select_configILj256ELj13ELNS0_17block_load_methodE3ELS4_3ELS4_3ELNS0_20block_scan_algorithmE0ELj4294967295EEENS1_25partition_config_selectorILNS1_17partition_subalgoE4EjNS0_10empty_typeEbEEZZNS1_14partition_implILS8_4ELb0ES6_15HIP_vector_typeIjLj2EENS0_17counting_iteratorIjlEEPS9_SG_NS0_5tupleIJPjSI_NS0_16reverse_iteratorISI_EEEEENSH_IJSG_SG_SG_EEES9_SI_JZNS1_25segmented_radix_sort_implINS0_14default_configELb0EPKdPdPKlPlN2at6native12_GLOBAL__N_18offset_tEEE10hipError_tPvRmT1_PNSt15iterator_traitsIS12_E10value_typeET2_T3_PNS13_IS18_E10value_typeET4_jRbjT5_S1E_jjP12ihipStream_tbEUljE_ZNSN_ISO_Lb0ESQ_SR_ST_SU_SY_EESZ_S10_S11_S12_S16_S17_S18_S1B_S1C_jS1D_jS1E_S1E_jjS1G_bEUljE0_EEESZ_S10_S11_S18_S1C_S1E_T6_T7_T9_mT8_S1G_bDpT10_ENKUlT_T0_E_clISt17integral_constantIbLb1EES1T_IbLb0EEEEDaS1P_S1Q_EUlS1P_E_NS1_11comp_targetILNS1_3genE10ELNS1_11target_archE1200ELNS1_3gpuE4ELNS1_3repE0EEENS1_30default_config_static_selectorELNS0_4arch9wavefront6targetE1EEEvS12_.private_seg_size, 0
	.set _ZN7rocprim17ROCPRIM_400000_NS6detail17trampoline_kernelINS0_13select_configILj256ELj13ELNS0_17block_load_methodE3ELS4_3ELS4_3ELNS0_20block_scan_algorithmE0ELj4294967295EEENS1_25partition_config_selectorILNS1_17partition_subalgoE4EjNS0_10empty_typeEbEEZZNS1_14partition_implILS8_4ELb0ES6_15HIP_vector_typeIjLj2EENS0_17counting_iteratorIjlEEPS9_SG_NS0_5tupleIJPjSI_NS0_16reverse_iteratorISI_EEEEENSH_IJSG_SG_SG_EEES9_SI_JZNS1_25segmented_radix_sort_implINS0_14default_configELb0EPKdPdPKlPlN2at6native12_GLOBAL__N_18offset_tEEE10hipError_tPvRmT1_PNSt15iterator_traitsIS12_E10value_typeET2_T3_PNS13_IS18_E10value_typeET4_jRbjT5_S1E_jjP12ihipStream_tbEUljE_ZNSN_ISO_Lb0ESQ_SR_ST_SU_SY_EESZ_S10_S11_S12_S16_S17_S18_S1B_S1C_jS1D_jS1E_S1E_jjS1G_bEUljE0_EEESZ_S10_S11_S18_S1C_S1E_T6_T7_T9_mT8_S1G_bDpT10_ENKUlT_T0_E_clISt17integral_constantIbLb1EES1T_IbLb0EEEEDaS1P_S1Q_EUlS1P_E_NS1_11comp_targetILNS1_3genE10ELNS1_11target_archE1200ELNS1_3gpuE4ELNS1_3repE0EEENS1_30default_config_static_selectorELNS0_4arch9wavefront6targetE1EEEvS12_.uses_vcc, 0
	.set _ZN7rocprim17ROCPRIM_400000_NS6detail17trampoline_kernelINS0_13select_configILj256ELj13ELNS0_17block_load_methodE3ELS4_3ELS4_3ELNS0_20block_scan_algorithmE0ELj4294967295EEENS1_25partition_config_selectorILNS1_17partition_subalgoE4EjNS0_10empty_typeEbEEZZNS1_14partition_implILS8_4ELb0ES6_15HIP_vector_typeIjLj2EENS0_17counting_iteratorIjlEEPS9_SG_NS0_5tupleIJPjSI_NS0_16reverse_iteratorISI_EEEEENSH_IJSG_SG_SG_EEES9_SI_JZNS1_25segmented_radix_sort_implINS0_14default_configELb0EPKdPdPKlPlN2at6native12_GLOBAL__N_18offset_tEEE10hipError_tPvRmT1_PNSt15iterator_traitsIS12_E10value_typeET2_T3_PNS13_IS18_E10value_typeET4_jRbjT5_S1E_jjP12ihipStream_tbEUljE_ZNSN_ISO_Lb0ESQ_SR_ST_SU_SY_EESZ_S10_S11_S12_S16_S17_S18_S1B_S1C_jS1D_jS1E_S1E_jjS1G_bEUljE0_EEESZ_S10_S11_S18_S1C_S1E_T6_T7_T9_mT8_S1G_bDpT10_ENKUlT_T0_E_clISt17integral_constantIbLb1EES1T_IbLb0EEEEDaS1P_S1Q_EUlS1P_E_NS1_11comp_targetILNS1_3genE10ELNS1_11target_archE1200ELNS1_3gpuE4ELNS1_3repE0EEENS1_30default_config_static_selectorELNS0_4arch9wavefront6targetE1EEEvS12_.uses_flat_scratch, 0
	.set _ZN7rocprim17ROCPRIM_400000_NS6detail17trampoline_kernelINS0_13select_configILj256ELj13ELNS0_17block_load_methodE3ELS4_3ELS4_3ELNS0_20block_scan_algorithmE0ELj4294967295EEENS1_25partition_config_selectorILNS1_17partition_subalgoE4EjNS0_10empty_typeEbEEZZNS1_14partition_implILS8_4ELb0ES6_15HIP_vector_typeIjLj2EENS0_17counting_iteratorIjlEEPS9_SG_NS0_5tupleIJPjSI_NS0_16reverse_iteratorISI_EEEEENSH_IJSG_SG_SG_EEES9_SI_JZNS1_25segmented_radix_sort_implINS0_14default_configELb0EPKdPdPKlPlN2at6native12_GLOBAL__N_18offset_tEEE10hipError_tPvRmT1_PNSt15iterator_traitsIS12_E10value_typeET2_T3_PNS13_IS18_E10value_typeET4_jRbjT5_S1E_jjP12ihipStream_tbEUljE_ZNSN_ISO_Lb0ESQ_SR_ST_SU_SY_EESZ_S10_S11_S12_S16_S17_S18_S1B_S1C_jS1D_jS1E_S1E_jjS1G_bEUljE0_EEESZ_S10_S11_S18_S1C_S1E_T6_T7_T9_mT8_S1G_bDpT10_ENKUlT_T0_E_clISt17integral_constantIbLb1EES1T_IbLb0EEEEDaS1P_S1Q_EUlS1P_E_NS1_11comp_targetILNS1_3genE10ELNS1_11target_archE1200ELNS1_3gpuE4ELNS1_3repE0EEENS1_30default_config_static_selectorELNS0_4arch9wavefront6targetE1EEEvS12_.has_dyn_sized_stack, 0
	.set _ZN7rocprim17ROCPRIM_400000_NS6detail17trampoline_kernelINS0_13select_configILj256ELj13ELNS0_17block_load_methodE3ELS4_3ELS4_3ELNS0_20block_scan_algorithmE0ELj4294967295EEENS1_25partition_config_selectorILNS1_17partition_subalgoE4EjNS0_10empty_typeEbEEZZNS1_14partition_implILS8_4ELb0ES6_15HIP_vector_typeIjLj2EENS0_17counting_iteratorIjlEEPS9_SG_NS0_5tupleIJPjSI_NS0_16reverse_iteratorISI_EEEEENSH_IJSG_SG_SG_EEES9_SI_JZNS1_25segmented_radix_sort_implINS0_14default_configELb0EPKdPdPKlPlN2at6native12_GLOBAL__N_18offset_tEEE10hipError_tPvRmT1_PNSt15iterator_traitsIS12_E10value_typeET2_T3_PNS13_IS18_E10value_typeET4_jRbjT5_S1E_jjP12ihipStream_tbEUljE_ZNSN_ISO_Lb0ESQ_SR_ST_SU_SY_EESZ_S10_S11_S12_S16_S17_S18_S1B_S1C_jS1D_jS1E_S1E_jjS1G_bEUljE0_EEESZ_S10_S11_S18_S1C_S1E_T6_T7_T9_mT8_S1G_bDpT10_ENKUlT_T0_E_clISt17integral_constantIbLb1EES1T_IbLb0EEEEDaS1P_S1Q_EUlS1P_E_NS1_11comp_targetILNS1_3genE10ELNS1_11target_archE1200ELNS1_3gpuE4ELNS1_3repE0EEENS1_30default_config_static_selectorELNS0_4arch9wavefront6targetE1EEEvS12_.has_recursion, 0
	.set _ZN7rocprim17ROCPRIM_400000_NS6detail17trampoline_kernelINS0_13select_configILj256ELj13ELNS0_17block_load_methodE3ELS4_3ELS4_3ELNS0_20block_scan_algorithmE0ELj4294967295EEENS1_25partition_config_selectorILNS1_17partition_subalgoE4EjNS0_10empty_typeEbEEZZNS1_14partition_implILS8_4ELb0ES6_15HIP_vector_typeIjLj2EENS0_17counting_iteratorIjlEEPS9_SG_NS0_5tupleIJPjSI_NS0_16reverse_iteratorISI_EEEEENSH_IJSG_SG_SG_EEES9_SI_JZNS1_25segmented_radix_sort_implINS0_14default_configELb0EPKdPdPKlPlN2at6native12_GLOBAL__N_18offset_tEEE10hipError_tPvRmT1_PNSt15iterator_traitsIS12_E10value_typeET2_T3_PNS13_IS18_E10value_typeET4_jRbjT5_S1E_jjP12ihipStream_tbEUljE_ZNSN_ISO_Lb0ESQ_SR_ST_SU_SY_EESZ_S10_S11_S12_S16_S17_S18_S1B_S1C_jS1D_jS1E_S1E_jjS1G_bEUljE0_EEESZ_S10_S11_S18_S1C_S1E_T6_T7_T9_mT8_S1G_bDpT10_ENKUlT_T0_E_clISt17integral_constantIbLb1EES1T_IbLb0EEEEDaS1P_S1Q_EUlS1P_E_NS1_11comp_targetILNS1_3genE10ELNS1_11target_archE1200ELNS1_3gpuE4ELNS1_3repE0EEENS1_30default_config_static_selectorELNS0_4arch9wavefront6targetE1EEEvS12_.has_indirect_call, 0
	.section	.AMDGPU.csdata,"",@progbits
; Kernel info:
; codeLenInByte = 0
; TotalNumSgprs: 4
; NumVgprs: 0
; ScratchSize: 0
; MemoryBound: 0
; FloatMode: 240
; IeeeMode: 1
; LDSByteSize: 0 bytes/workgroup (compile time only)
; SGPRBlocks: 0
; VGPRBlocks: 0
; NumSGPRsForWavesPerEU: 4
; NumVGPRsForWavesPerEU: 1
; Occupancy: 10
; WaveLimiterHint : 0
; COMPUTE_PGM_RSRC2:SCRATCH_EN: 0
; COMPUTE_PGM_RSRC2:USER_SGPR: 6
; COMPUTE_PGM_RSRC2:TRAP_HANDLER: 0
; COMPUTE_PGM_RSRC2:TGID_X_EN: 1
; COMPUTE_PGM_RSRC2:TGID_Y_EN: 0
; COMPUTE_PGM_RSRC2:TGID_Z_EN: 0
; COMPUTE_PGM_RSRC2:TIDIG_COMP_CNT: 0
	.section	.text._ZN7rocprim17ROCPRIM_400000_NS6detail17trampoline_kernelINS0_13select_configILj256ELj13ELNS0_17block_load_methodE3ELS4_3ELS4_3ELNS0_20block_scan_algorithmE0ELj4294967295EEENS1_25partition_config_selectorILNS1_17partition_subalgoE4EjNS0_10empty_typeEbEEZZNS1_14partition_implILS8_4ELb0ES6_15HIP_vector_typeIjLj2EENS0_17counting_iteratorIjlEEPS9_SG_NS0_5tupleIJPjSI_NS0_16reverse_iteratorISI_EEEEENSH_IJSG_SG_SG_EEES9_SI_JZNS1_25segmented_radix_sort_implINS0_14default_configELb0EPKdPdPKlPlN2at6native12_GLOBAL__N_18offset_tEEE10hipError_tPvRmT1_PNSt15iterator_traitsIS12_E10value_typeET2_T3_PNS13_IS18_E10value_typeET4_jRbjT5_S1E_jjP12ihipStream_tbEUljE_ZNSN_ISO_Lb0ESQ_SR_ST_SU_SY_EESZ_S10_S11_S12_S16_S17_S18_S1B_S1C_jS1D_jS1E_S1E_jjS1G_bEUljE0_EEESZ_S10_S11_S18_S1C_S1E_T6_T7_T9_mT8_S1G_bDpT10_ENKUlT_T0_E_clISt17integral_constantIbLb1EES1T_IbLb0EEEEDaS1P_S1Q_EUlS1P_E_NS1_11comp_targetILNS1_3genE9ELNS1_11target_archE1100ELNS1_3gpuE3ELNS1_3repE0EEENS1_30default_config_static_selectorELNS0_4arch9wavefront6targetE1EEEvS12_,"axG",@progbits,_ZN7rocprim17ROCPRIM_400000_NS6detail17trampoline_kernelINS0_13select_configILj256ELj13ELNS0_17block_load_methodE3ELS4_3ELS4_3ELNS0_20block_scan_algorithmE0ELj4294967295EEENS1_25partition_config_selectorILNS1_17partition_subalgoE4EjNS0_10empty_typeEbEEZZNS1_14partition_implILS8_4ELb0ES6_15HIP_vector_typeIjLj2EENS0_17counting_iteratorIjlEEPS9_SG_NS0_5tupleIJPjSI_NS0_16reverse_iteratorISI_EEEEENSH_IJSG_SG_SG_EEES9_SI_JZNS1_25segmented_radix_sort_implINS0_14default_configELb0EPKdPdPKlPlN2at6native12_GLOBAL__N_18offset_tEEE10hipError_tPvRmT1_PNSt15iterator_traitsIS12_E10value_typeET2_T3_PNS13_IS18_E10value_typeET4_jRbjT5_S1E_jjP12ihipStream_tbEUljE_ZNSN_ISO_Lb0ESQ_SR_ST_SU_SY_EESZ_S10_S11_S12_S16_S17_S18_S1B_S1C_jS1D_jS1E_S1E_jjS1G_bEUljE0_EEESZ_S10_S11_S18_S1C_S1E_T6_T7_T9_mT8_S1G_bDpT10_ENKUlT_T0_E_clISt17integral_constantIbLb1EES1T_IbLb0EEEEDaS1P_S1Q_EUlS1P_E_NS1_11comp_targetILNS1_3genE9ELNS1_11target_archE1100ELNS1_3gpuE3ELNS1_3repE0EEENS1_30default_config_static_selectorELNS0_4arch9wavefront6targetE1EEEvS12_,comdat
	.globl	_ZN7rocprim17ROCPRIM_400000_NS6detail17trampoline_kernelINS0_13select_configILj256ELj13ELNS0_17block_load_methodE3ELS4_3ELS4_3ELNS0_20block_scan_algorithmE0ELj4294967295EEENS1_25partition_config_selectorILNS1_17partition_subalgoE4EjNS0_10empty_typeEbEEZZNS1_14partition_implILS8_4ELb0ES6_15HIP_vector_typeIjLj2EENS0_17counting_iteratorIjlEEPS9_SG_NS0_5tupleIJPjSI_NS0_16reverse_iteratorISI_EEEEENSH_IJSG_SG_SG_EEES9_SI_JZNS1_25segmented_radix_sort_implINS0_14default_configELb0EPKdPdPKlPlN2at6native12_GLOBAL__N_18offset_tEEE10hipError_tPvRmT1_PNSt15iterator_traitsIS12_E10value_typeET2_T3_PNS13_IS18_E10value_typeET4_jRbjT5_S1E_jjP12ihipStream_tbEUljE_ZNSN_ISO_Lb0ESQ_SR_ST_SU_SY_EESZ_S10_S11_S12_S16_S17_S18_S1B_S1C_jS1D_jS1E_S1E_jjS1G_bEUljE0_EEESZ_S10_S11_S18_S1C_S1E_T6_T7_T9_mT8_S1G_bDpT10_ENKUlT_T0_E_clISt17integral_constantIbLb1EES1T_IbLb0EEEEDaS1P_S1Q_EUlS1P_E_NS1_11comp_targetILNS1_3genE9ELNS1_11target_archE1100ELNS1_3gpuE3ELNS1_3repE0EEENS1_30default_config_static_selectorELNS0_4arch9wavefront6targetE1EEEvS12_ ; -- Begin function _ZN7rocprim17ROCPRIM_400000_NS6detail17trampoline_kernelINS0_13select_configILj256ELj13ELNS0_17block_load_methodE3ELS4_3ELS4_3ELNS0_20block_scan_algorithmE0ELj4294967295EEENS1_25partition_config_selectorILNS1_17partition_subalgoE4EjNS0_10empty_typeEbEEZZNS1_14partition_implILS8_4ELb0ES6_15HIP_vector_typeIjLj2EENS0_17counting_iteratorIjlEEPS9_SG_NS0_5tupleIJPjSI_NS0_16reverse_iteratorISI_EEEEENSH_IJSG_SG_SG_EEES9_SI_JZNS1_25segmented_radix_sort_implINS0_14default_configELb0EPKdPdPKlPlN2at6native12_GLOBAL__N_18offset_tEEE10hipError_tPvRmT1_PNSt15iterator_traitsIS12_E10value_typeET2_T3_PNS13_IS18_E10value_typeET4_jRbjT5_S1E_jjP12ihipStream_tbEUljE_ZNSN_ISO_Lb0ESQ_SR_ST_SU_SY_EESZ_S10_S11_S12_S16_S17_S18_S1B_S1C_jS1D_jS1E_S1E_jjS1G_bEUljE0_EEESZ_S10_S11_S18_S1C_S1E_T6_T7_T9_mT8_S1G_bDpT10_ENKUlT_T0_E_clISt17integral_constantIbLb1EES1T_IbLb0EEEEDaS1P_S1Q_EUlS1P_E_NS1_11comp_targetILNS1_3genE9ELNS1_11target_archE1100ELNS1_3gpuE3ELNS1_3repE0EEENS1_30default_config_static_selectorELNS0_4arch9wavefront6targetE1EEEvS12_
	.p2align	8
	.type	_ZN7rocprim17ROCPRIM_400000_NS6detail17trampoline_kernelINS0_13select_configILj256ELj13ELNS0_17block_load_methodE3ELS4_3ELS4_3ELNS0_20block_scan_algorithmE0ELj4294967295EEENS1_25partition_config_selectorILNS1_17partition_subalgoE4EjNS0_10empty_typeEbEEZZNS1_14partition_implILS8_4ELb0ES6_15HIP_vector_typeIjLj2EENS0_17counting_iteratorIjlEEPS9_SG_NS0_5tupleIJPjSI_NS0_16reverse_iteratorISI_EEEEENSH_IJSG_SG_SG_EEES9_SI_JZNS1_25segmented_radix_sort_implINS0_14default_configELb0EPKdPdPKlPlN2at6native12_GLOBAL__N_18offset_tEEE10hipError_tPvRmT1_PNSt15iterator_traitsIS12_E10value_typeET2_T3_PNS13_IS18_E10value_typeET4_jRbjT5_S1E_jjP12ihipStream_tbEUljE_ZNSN_ISO_Lb0ESQ_SR_ST_SU_SY_EESZ_S10_S11_S12_S16_S17_S18_S1B_S1C_jS1D_jS1E_S1E_jjS1G_bEUljE0_EEESZ_S10_S11_S18_S1C_S1E_T6_T7_T9_mT8_S1G_bDpT10_ENKUlT_T0_E_clISt17integral_constantIbLb1EES1T_IbLb0EEEEDaS1P_S1Q_EUlS1P_E_NS1_11comp_targetILNS1_3genE9ELNS1_11target_archE1100ELNS1_3gpuE3ELNS1_3repE0EEENS1_30default_config_static_selectorELNS0_4arch9wavefront6targetE1EEEvS12_,@function
_ZN7rocprim17ROCPRIM_400000_NS6detail17trampoline_kernelINS0_13select_configILj256ELj13ELNS0_17block_load_methodE3ELS4_3ELS4_3ELNS0_20block_scan_algorithmE0ELj4294967295EEENS1_25partition_config_selectorILNS1_17partition_subalgoE4EjNS0_10empty_typeEbEEZZNS1_14partition_implILS8_4ELb0ES6_15HIP_vector_typeIjLj2EENS0_17counting_iteratorIjlEEPS9_SG_NS0_5tupleIJPjSI_NS0_16reverse_iteratorISI_EEEEENSH_IJSG_SG_SG_EEES9_SI_JZNS1_25segmented_radix_sort_implINS0_14default_configELb0EPKdPdPKlPlN2at6native12_GLOBAL__N_18offset_tEEE10hipError_tPvRmT1_PNSt15iterator_traitsIS12_E10value_typeET2_T3_PNS13_IS18_E10value_typeET4_jRbjT5_S1E_jjP12ihipStream_tbEUljE_ZNSN_ISO_Lb0ESQ_SR_ST_SU_SY_EESZ_S10_S11_S12_S16_S17_S18_S1B_S1C_jS1D_jS1E_S1E_jjS1G_bEUljE0_EEESZ_S10_S11_S18_S1C_S1E_T6_T7_T9_mT8_S1G_bDpT10_ENKUlT_T0_E_clISt17integral_constantIbLb1EES1T_IbLb0EEEEDaS1P_S1Q_EUlS1P_E_NS1_11comp_targetILNS1_3genE9ELNS1_11target_archE1100ELNS1_3gpuE3ELNS1_3repE0EEENS1_30default_config_static_selectorELNS0_4arch9wavefront6targetE1EEEvS12_: ; @_ZN7rocprim17ROCPRIM_400000_NS6detail17trampoline_kernelINS0_13select_configILj256ELj13ELNS0_17block_load_methodE3ELS4_3ELS4_3ELNS0_20block_scan_algorithmE0ELj4294967295EEENS1_25partition_config_selectorILNS1_17partition_subalgoE4EjNS0_10empty_typeEbEEZZNS1_14partition_implILS8_4ELb0ES6_15HIP_vector_typeIjLj2EENS0_17counting_iteratorIjlEEPS9_SG_NS0_5tupleIJPjSI_NS0_16reverse_iteratorISI_EEEEENSH_IJSG_SG_SG_EEES9_SI_JZNS1_25segmented_radix_sort_implINS0_14default_configELb0EPKdPdPKlPlN2at6native12_GLOBAL__N_18offset_tEEE10hipError_tPvRmT1_PNSt15iterator_traitsIS12_E10value_typeET2_T3_PNS13_IS18_E10value_typeET4_jRbjT5_S1E_jjP12ihipStream_tbEUljE_ZNSN_ISO_Lb0ESQ_SR_ST_SU_SY_EESZ_S10_S11_S12_S16_S17_S18_S1B_S1C_jS1D_jS1E_S1E_jjS1G_bEUljE0_EEESZ_S10_S11_S18_S1C_S1E_T6_T7_T9_mT8_S1G_bDpT10_ENKUlT_T0_E_clISt17integral_constantIbLb1EES1T_IbLb0EEEEDaS1P_S1Q_EUlS1P_E_NS1_11comp_targetILNS1_3genE9ELNS1_11target_archE1100ELNS1_3gpuE3ELNS1_3repE0EEENS1_30default_config_static_selectorELNS0_4arch9wavefront6targetE1EEEvS12_
; %bb.0:
	.section	.rodata,"a",@progbits
	.p2align	6, 0x0
	.amdhsa_kernel _ZN7rocprim17ROCPRIM_400000_NS6detail17trampoline_kernelINS0_13select_configILj256ELj13ELNS0_17block_load_methodE3ELS4_3ELS4_3ELNS0_20block_scan_algorithmE0ELj4294967295EEENS1_25partition_config_selectorILNS1_17partition_subalgoE4EjNS0_10empty_typeEbEEZZNS1_14partition_implILS8_4ELb0ES6_15HIP_vector_typeIjLj2EENS0_17counting_iteratorIjlEEPS9_SG_NS0_5tupleIJPjSI_NS0_16reverse_iteratorISI_EEEEENSH_IJSG_SG_SG_EEES9_SI_JZNS1_25segmented_radix_sort_implINS0_14default_configELb0EPKdPdPKlPlN2at6native12_GLOBAL__N_18offset_tEEE10hipError_tPvRmT1_PNSt15iterator_traitsIS12_E10value_typeET2_T3_PNS13_IS18_E10value_typeET4_jRbjT5_S1E_jjP12ihipStream_tbEUljE_ZNSN_ISO_Lb0ESQ_SR_ST_SU_SY_EESZ_S10_S11_S12_S16_S17_S18_S1B_S1C_jS1D_jS1E_S1E_jjS1G_bEUljE0_EEESZ_S10_S11_S18_S1C_S1E_T6_T7_T9_mT8_S1G_bDpT10_ENKUlT_T0_E_clISt17integral_constantIbLb1EES1T_IbLb0EEEEDaS1P_S1Q_EUlS1P_E_NS1_11comp_targetILNS1_3genE9ELNS1_11target_archE1100ELNS1_3gpuE3ELNS1_3repE0EEENS1_30default_config_static_selectorELNS0_4arch9wavefront6targetE1EEEvS12_
		.amdhsa_group_segment_fixed_size 0
		.amdhsa_private_segment_fixed_size 0
		.amdhsa_kernarg_size 176
		.amdhsa_user_sgpr_count 6
		.amdhsa_user_sgpr_private_segment_buffer 1
		.amdhsa_user_sgpr_dispatch_ptr 0
		.amdhsa_user_sgpr_queue_ptr 0
		.amdhsa_user_sgpr_kernarg_segment_ptr 1
		.amdhsa_user_sgpr_dispatch_id 0
		.amdhsa_user_sgpr_flat_scratch_init 0
		.amdhsa_user_sgpr_private_segment_size 0
		.amdhsa_uses_dynamic_stack 0
		.amdhsa_system_sgpr_private_segment_wavefront_offset 0
		.amdhsa_system_sgpr_workgroup_id_x 1
		.amdhsa_system_sgpr_workgroup_id_y 0
		.amdhsa_system_sgpr_workgroup_id_z 0
		.amdhsa_system_sgpr_workgroup_info 0
		.amdhsa_system_vgpr_workitem_id 0
		.amdhsa_next_free_vgpr 1
		.amdhsa_next_free_sgpr 0
		.amdhsa_reserve_vcc 0
		.amdhsa_reserve_flat_scratch 0
		.amdhsa_float_round_mode_32 0
		.amdhsa_float_round_mode_16_64 0
		.amdhsa_float_denorm_mode_32 3
		.amdhsa_float_denorm_mode_16_64 3
		.amdhsa_dx10_clamp 1
		.amdhsa_ieee_mode 1
		.amdhsa_fp16_overflow 0
		.amdhsa_exception_fp_ieee_invalid_op 0
		.amdhsa_exception_fp_denorm_src 0
		.amdhsa_exception_fp_ieee_div_zero 0
		.amdhsa_exception_fp_ieee_overflow 0
		.amdhsa_exception_fp_ieee_underflow 0
		.amdhsa_exception_fp_ieee_inexact 0
		.amdhsa_exception_int_div_zero 0
	.end_amdhsa_kernel
	.section	.text._ZN7rocprim17ROCPRIM_400000_NS6detail17trampoline_kernelINS0_13select_configILj256ELj13ELNS0_17block_load_methodE3ELS4_3ELS4_3ELNS0_20block_scan_algorithmE0ELj4294967295EEENS1_25partition_config_selectorILNS1_17partition_subalgoE4EjNS0_10empty_typeEbEEZZNS1_14partition_implILS8_4ELb0ES6_15HIP_vector_typeIjLj2EENS0_17counting_iteratorIjlEEPS9_SG_NS0_5tupleIJPjSI_NS0_16reverse_iteratorISI_EEEEENSH_IJSG_SG_SG_EEES9_SI_JZNS1_25segmented_radix_sort_implINS0_14default_configELb0EPKdPdPKlPlN2at6native12_GLOBAL__N_18offset_tEEE10hipError_tPvRmT1_PNSt15iterator_traitsIS12_E10value_typeET2_T3_PNS13_IS18_E10value_typeET4_jRbjT5_S1E_jjP12ihipStream_tbEUljE_ZNSN_ISO_Lb0ESQ_SR_ST_SU_SY_EESZ_S10_S11_S12_S16_S17_S18_S1B_S1C_jS1D_jS1E_S1E_jjS1G_bEUljE0_EEESZ_S10_S11_S18_S1C_S1E_T6_T7_T9_mT8_S1G_bDpT10_ENKUlT_T0_E_clISt17integral_constantIbLb1EES1T_IbLb0EEEEDaS1P_S1Q_EUlS1P_E_NS1_11comp_targetILNS1_3genE9ELNS1_11target_archE1100ELNS1_3gpuE3ELNS1_3repE0EEENS1_30default_config_static_selectorELNS0_4arch9wavefront6targetE1EEEvS12_,"axG",@progbits,_ZN7rocprim17ROCPRIM_400000_NS6detail17trampoline_kernelINS0_13select_configILj256ELj13ELNS0_17block_load_methodE3ELS4_3ELS4_3ELNS0_20block_scan_algorithmE0ELj4294967295EEENS1_25partition_config_selectorILNS1_17partition_subalgoE4EjNS0_10empty_typeEbEEZZNS1_14partition_implILS8_4ELb0ES6_15HIP_vector_typeIjLj2EENS0_17counting_iteratorIjlEEPS9_SG_NS0_5tupleIJPjSI_NS0_16reverse_iteratorISI_EEEEENSH_IJSG_SG_SG_EEES9_SI_JZNS1_25segmented_radix_sort_implINS0_14default_configELb0EPKdPdPKlPlN2at6native12_GLOBAL__N_18offset_tEEE10hipError_tPvRmT1_PNSt15iterator_traitsIS12_E10value_typeET2_T3_PNS13_IS18_E10value_typeET4_jRbjT5_S1E_jjP12ihipStream_tbEUljE_ZNSN_ISO_Lb0ESQ_SR_ST_SU_SY_EESZ_S10_S11_S12_S16_S17_S18_S1B_S1C_jS1D_jS1E_S1E_jjS1G_bEUljE0_EEESZ_S10_S11_S18_S1C_S1E_T6_T7_T9_mT8_S1G_bDpT10_ENKUlT_T0_E_clISt17integral_constantIbLb1EES1T_IbLb0EEEEDaS1P_S1Q_EUlS1P_E_NS1_11comp_targetILNS1_3genE9ELNS1_11target_archE1100ELNS1_3gpuE3ELNS1_3repE0EEENS1_30default_config_static_selectorELNS0_4arch9wavefront6targetE1EEEvS12_,comdat
.Lfunc_end1179:
	.size	_ZN7rocprim17ROCPRIM_400000_NS6detail17trampoline_kernelINS0_13select_configILj256ELj13ELNS0_17block_load_methodE3ELS4_3ELS4_3ELNS0_20block_scan_algorithmE0ELj4294967295EEENS1_25partition_config_selectorILNS1_17partition_subalgoE4EjNS0_10empty_typeEbEEZZNS1_14partition_implILS8_4ELb0ES6_15HIP_vector_typeIjLj2EENS0_17counting_iteratorIjlEEPS9_SG_NS0_5tupleIJPjSI_NS0_16reverse_iteratorISI_EEEEENSH_IJSG_SG_SG_EEES9_SI_JZNS1_25segmented_radix_sort_implINS0_14default_configELb0EPKdPdPKlPlN2at6native12_GLOBAL__N_18offset_tEEE10hipError_tPvRmT1_PNSt15iterator_traitsIS12_E10value_typeET2_T3_PNS13_IS18_E10value_typeET4_jRbjT5_S1E_jjP12ihipStream_tbEUljE_ZNSN_ISO_Lb0ESQ_SR_ST_SU_SY_EESZ_S10_S11_S12_S16_S17_S18_S1B_S1C_jS1D_jS1E_S1E_jjS1G_bEUljE0_EEESZ_S10_S11_S18_S1C_S1E_T6_T7_T9_mT8_S1G_bDpT10_ENKUlT_T0_E_clISt17integral_constantIbLb1EES1T_IbLb0EEEEDaS1P_S1Q_EUlS1P_E_NS1_11comp_targetILNS1_3genE9ELNS1_11target_archE1100ELNS1_3gpuE3ELNS1_3repE0EEENS1_30default_config_static_selectorELNS0_4arch9wavefront6targetE1EEEvS12_, .Lfunc_end1179-_ZN7rocprim17ROCPRIM_400000_NS6detail17trampoline_kernelINS0_13select_configILj256ELj13ELNS0_17block_load_methodE3ELS4_3ELS4_3ELNS0_20block_scan_algorithmE0ELj4294967295EEENS1_25partition_config_selectorILNS1_17partition_subalgoE4EjNS0_10empty_typeEbEEZZNS1_14partition_implILS8_4ELb0ES6_15HIP_vector_typeIjLj2EENS0_17counting_iteratorIjlEEPS9_SG_NS0_5tupleIJPjSI_NS0_16reverse_iteratorISI_EEEEENSH_IJSG_SG_SG_EEES9_SI_JZNS1_25segmented_radix_sort_implINS0_14default_configELb0EPKdPdPKlPlN2at6native12_GLOBAL__N_18offset_tEEE10hipError_tPvRmT1_PNSt15iterator_traitsIS12_E10value_typeET2_T3_PNS13_IS18_E10value_typeET4_jRbjT5_S1E_jjP12ihipStream_tbEUljE_ZNSN_ISO_Lb0ESQ_SR_ST_SU_SY_EESZ_S10_S11_S12_S16_S17_S18_S1B_S1C_jS1D_jS1E_S1E_jjS1G_bEUljE0_EEESZ_S10_S11_S18_S1C_S1E_T6_T7_T9_mT8_S1G_bDpT10_ENKUlT_T0_E_clISt17integral_constantIbLb1EES1T_IbLb0EEEEDaS1P_S1Q_EUlS1P_E_NS1_11comp_targetILNS1_3genE9ELNS1_11target_archE1100ELNS1_3gpuE3ELNS1_3repE0EEENS1_30default_config_static_selectorELNS0_4arch9wavefront6targetE1EEEvS12_
                                        ; -- End function
	.set _ZN7rocprim17ROCPRIM_400000_NS6detail17trampoline_kernelINS0_13select_configILj256ELj13ELNS0_17block_load_methodE3ELS4_3ELS4_3ELNS0_20block_scan_algorithmE0ELj4294967295EEENS1_25partition_config_selectorILNS1_17partition_subalgoE4EjNS0_10empty_typeEbEEZZNS1_14partition_implILS8_4ELb0ES6_15HIP_vector_typeIjLj2EENS0_17counting_iteratorIjlEEPS9_SG_NS0_5tupleIJPjSI_NS0_16reverse_iteratorISI_EEEEENSH_IJSG_SG_SG_EEES9_SI_JZNS1_25segmented_radix_sort_implINS0_14default_configELb0EPKdPdPKlPlN2at6native12_GLOBAL__N_18offset_tEEE10hipError_tPvRmT1_PNSt15iterator_traitsIS12_E10value_typeET2_T3_PNS13_IS18_E10value_typeET4_jRbjT5_S1E_jjP12ihipStream_tbEUljE_ZNSN_ISO_Lb0ESQ_SR_ST_SU_SY_EESZ_S10_S11_S12_S16_S17_S18_S1B_S1C_jS1D_jS1E_S1E_jjS1G_bEUljE0_EEESZ_S10_S11_S18_S1C_S1E_T6_T7_T9_mT8_S1G_bDpT10_ENKUlT_T0_E_clISt17integral_constantIbLb1EES1T_IbLb0EEEEDaS1P_S1Q_EUlS1P_E_NS1_11comp_targetILNS1_3genE9ELNS1_11target_archE1100ELNS1_3gpuE3ELNS1_3repE0EEENS1_30default_config_static_selectorELNS0_4arch9wavefront6targetE1EEEvS12_.num_vgpr, 0
	.set _ZN7rocprim17ROCPRIM_400000_NS6detail17trampoline_kernelINS0_13select_configILj256ELj13ELNS0_17block_load_methodE3ELS4_3ELS4_3ELNS0_20block_scan_algorithmE0ELj4294967295EEENS1_25partition_config_selectorILNS1_17partition_subalgoE4EjNS0_10empty_typeEbEEZZNS1_14partition_implILS8_4ELb0ES6_15HIP_vector_typeIjLj2EENS0_17counting_iteratorIjlEEPS9_SG_NS0_5tupleIJPjSI_NS0_16reverse_iteratorISI_EEEEENSH_IJSG_SG_SG_EEES9_SI_JZNS1_25segmented_radix_sort_implINS0_14default_configELb0EPKdPdPKlPlN2at6native12_GLOBAL__N_18offset_tEEE10hipError_tPvRmT1_PNSt15iterator_traitsIS12_E10value_typeET2_T3_PNS13_IS18_E10value_typeET4_jRbjT5_S1E_jjP12ihipStream_tbEUljE_ZNSN_ISO_Lb0ESQ_SR_ST_SU_SY_EESZ_S10_S11_S12_S16_S17_S18_S1B_S1C_jS1D_jS1E_S1E_jjS1G_bEUljE0_EEESZ_S10_S11_S18_S1C_S1E_T6_T7_T9_mT8_S1G_bDpT10_ENKUlT_T0_E_clISt17integral_constantIbLb1EES1T_IbLb0EEEEDaS1P_S1Q_EUlS1P_E_NS1_11comp_targetILNS1_3genE9ELNS1_11target_archE1100ELNS1_3gpuE3ELNS1_3repE0EEENS1_30default_config_static_selectorELNS0_4arch9wavefront6targetE1EEEvS12_.num_agpr, 0
	.set _ZN7rocprim17ROCPRIM_400000_NS6detail17trampoline_kernelINS0_13select_configILj256ELj13ELNS0_17block_load_methodE3ELS4_3ELS4_3ELNS0_20block_scan_algorithmE0ELj4294967295EEENS1_25partition_config_selectorILNS1_17partition_subalgoE4EjNS0_10empty_typeEbEEZZNS1_14partition_implILS8_4ELb0ES6_15HIP_vector_typeIjLj2EENS0_17counting_iteratorIjlEEPS9_SG_NS0_5tupleIJPjSI_NS0_16reverse_iteratorISI_EEEEENSH_IJSG_SG_SG_EEES9_SI_JZNS1_25segmented_radix_sort_implINS0_14default_configELb0EPKdPdPKlPlN2at6native12_GLOBAL__N_18offset_tEEE10hipError_tPvRmT1_PNSt15iterator_traitsIS12_E10value_typeET2_T3_PNS13_IS18_E10value_typeET4_jRbjT5_S1E_jjP12ihipStream_tbEUljE_ZNSN_ISO_Lb0ESQ_SR_ST_SU_SY_EESZ_S10_S11_S12_S16_S17_S18_S1B_S1C_jS1D_jS1E_S1E_jjS1G_bEUljE0_EEESZ_S10_S11_S18_S1C_S1E_T6_T7_T9_mT8_S1G_bDpT10_ENKUlT_T0_E_clISt17integral_constantIbLb1EES1T_IbLb0EEEEDaS1P_S1Q_EUlS1P_E_NS1_11comp_targetILNS1_3genE9ELNS1_11target_archE1100ELNS1_3gpuE3ELNS1_3repE0EEENS1_30default_config_static_selectorELNS0_4arch9wavefront6targetE1EEEvS12_.numbered_sgpr, 0
	.set _ZN7rocprim17ROCPRIM_400000_NS6detail17trampoline_kernelINS0_13select_configILj256ELj13ELNS0_17block_load_methodE3ELS4_3ELS4_3ELNS0_20block_scan_algorithmE0ELj4294967295EEENS1_25partition_config_selectorILNS1_17partition_subalgoE4EjNS0_10empty_typeEbEEZZNS1_14partition_implILS8_4ELb0ES6_15HIP_vector_typeIjLj2EENS0_17counting_iteratorIjlEEPS9_SG_NS0_5tupleIJPjSI_NS0_16reverse_iteratorISI_EEEEENSH_IJSG_SG_SG_EEES9_SI_JZNS1_25segmented_radix_sort_implINS0_14default_configELb0EPKdPdPKlPlN2at6native12_GLOBAL__N_18offset_tEEE10hipError_tPvRmT1_PNSt15iterator_traitsIS12_E10value_typeET2_T3_PNS13_IS18_E10value_typeET4_jRbjT5_S1E_jjP12ihipStream_tbEUljE_ZNSN_ISO_Lb0ESQ_SR_ST_SU_SY_EESZ_S10_S11_S12_S16_S17_S18_S1B_S1C_jS1D_jS1E_S1E_jjS1G_bEUljE0_EEESZ_S10_S11_S18_S1C_S1E_T6_T7_T9_mT8_S1G_bDpT10_ENKUlT_T0_E_clISt17integral_constantIbLb1EES1T_IbLb0EEEEDaS1P_S1Q_EUlS1P_E_NS1_11comp_targetILNS1_3genE9ELNS1_11target_archE1100ELNS1_3gpuE3ELNS1_3repE0EEENS1_30default_config_static_selectorELNS0_4arch9wavefront6targetE1EEEvS12_.num_named_barrier, 0
	.set _ZN7rocprim17ROCPRIM_400000_NS6detail17trampoline_kernelINS0_13select_configILj256ELj13ELNS0_17block_load_methodE3ELS4_3ELS4_3ELNS0_20block_scan_algorithmE0ELj4294967295EEENS1_25partition_config_selectorILNS1_17partition_subalgoE4EjNS0_10empty_typeEbEEZZNS1_14partition_implILS8_4ELb0ES6_15HIP_vector_typeIjLj2EENS0_17counting_iteratorIjlEEPS9_SG_NS0_5tupleIJPjSI_NS0_16reverse_iteratorISI_EEEEENSH_IJSG_SG_SG_EEES9_SI_JZNS1_25segmented_radix_sort_implINS0_14default_configELb0EPKdPdPKlPlN2at6native12_GLOBAL__N_18offset_tEEE10hipError_tPvRmT1_PNSt15iterator_traitsIS12_E10value_typeET2_T3_PNS13_IS18_E10value_typeET4_jRbjT5_S1E_jjP12ihipStream_tbEUljE_ZNSN_ISO_Lb0ESQ_SR_ST_SU_SY_EESZ_S10_S11_S12_S16_S17_S18_S1B_S1C_jS1D_jS1E_S1E_jjS1G_bEUljE0_EEESZ_S10_S11_S18_S1C_S1E_T6_T7_T9_mT8_S1G_bDpT10_ENKUlT_T0_E_clISt17integral_constantIbLb1EES1T_IbLb0EEEEDaS1P_S1Q_EUlS1P_E_NS1_11comp_targetILNS1_3genE9ELNS1_11target_archE1100ELNS1_3gpuE3ELNS1_3repE0EEENS1_30default_config_static_selectorELNS0_4arch9wavefront6targetE1EEEvS12_.private_seg_size, 0
	.set _ZN7rocprim17ROCPRIM_400000_NS6detail17trampoline_kernelINS0_13select_configILj256ELj13ELNS0_17block_load_methodE3ELS4_3ELS4_3ELNS0_20block_scan_algorithmE0ELj4294967295EEENS1_25partition_config_selectorILNS1_17partition_subalgoE4EjNS0_10empty_typeEbEEZZNS1_14partition_implILS8_4ELb0ES6_15HIP_vector_typeIjLj2EENS0_17counting_iteratorIjlEEPS9_SG_NS0_5tupleIJPjSI_NS0_16reverse_iteratorISI_EEEEENSH_IJSG_SG_SG_EEES9_SI_JZNS1_25segmented_radix_sort_implINS0_14default_configELb0EPKdPdPKlPlN2at6native12_GLOBAL__N_18offset_tEEE10hipError_tPvRmT1_PNSt15iterator_traitsIS12_E10value_typeET2_T3_PNS13_IS18_E10value_typeET4_jRbjT5_S1E_jjP12ihipStream_tbEUljE_ZNSN_ISO_Lb0ESQ_SR_ST_SU_SY_EESZ_S10_S11_S12_S16_S17_S18_S1B_S1C_jS1D_jS1E_S1E_jjS1G_bEUljE0_EEESZ_S10_S11_S18_S1C_S1E_T6_T7_T9_mT8_S1G_bDpT10_ENKUlT_T0_E_clISt17integral_constantIbLb1EES1T_IbLb0EEEEDaS1P_S1Q_EUlS1P_E_NS1_11comp_targetILNS1_3genE9ELNS1_11target_archE1100ELNS1_3gpuE3ELNS1_3repE0EEENS1_30default_config_static_selectorELNS0_4arch9wavefront6targetE1EEEvS12_.uses_vcc, 0
	.set _ZN7rocprim17ROCPRIM_400000_NS6detail17trampoline_kernelINS0_13select_configILj256ELj13ELNS0_17block_load_methodE3ELS4_3ELS4_3ELNS0_20block_scan_algorithmE0ELj4294967295EEENS1_25partition_config_selectorILNS1_17partition_subalgoE4EjNS0_10empty_typeEbEEZZNS1_14partition_implILS8_4ELb0ES6_15HIP_vector_typeIjLj2EENS0_17counting_iteratorIjlEEPS9_SG_NS0_5tupleIJPjSI_NS0_16reverse_iteratorISI_EEEEENSH_IJSG_SG_SG_EEES9_SI_JZNS1_25segmented_radix_sort_implINS0_14default_configELb0EPKdPdPKlPlN2at6native12_GLOBAL__N_18offset_tEEE10hipError_tPvRmT1_PNSt15iterator_traitsIS12_E10value_typeET2_T3_PNS13_IS18_E10value_typeET4_jRbjT5_S1E_jjP12ihipStream_tbEUljE_ZNSN_ISO_Lb0ESQ_SR_ST_SU_SY_EESZ_S10_S11_S12_S16_S17_S18_S1B_S1C_jS1D_jS1E_S1E_jjS1G_bEUljE0_EEESZ_S10_S11_S18_S1C_S1E_T6_T7_T9_mT8_S1G_bDpT10_ENKUlT_T0_E_clISt17integral_constantIbLb1EES1T_IbLb0EEEEDaS1P_S1Q_EUlS1P_E_NS1_11comp_targetILNS1_3genE9ELNS1_11target_archE1100ELNS1_3gpuE3ELNS1_3repE0EEENS1_30default_config_static_selectorELNS0_4arch9wavefront6targetE1EEEvS12_.uses_flat_scratch, 0
	.set _ZN7rocprim17ROCPRIM_400000_NS6detail17trampoline_kernelINS0_13select_configILj256ELj13ELNS0_17block_load_methodE3ELS4_3ELS4_3ELNS0_20block_scan_algorithmE0ELj4294967295EEENS1_25partition_config_selectorILNS1_17partition_subalgoE4EjNS0_10empty_typeEbEEZZNS1_14partition_implILS8_4ELb0ES6_15HIP_vector_typeIjLj2EENS0_17counting_iteratorIjlEEPS9_SG_NS0_5tupleIJPjSI_NS0_16reverse_iteratorISI_EEEEENSH_IJSG_SG_SG_EEES9_SI_JZNS1_25segmented_radix_sort_implINS0_14default_configELb0EPKdPdPKlPlN2at6native12_GLOBAL__N_18offset_tEEE10hipError_tPvRmT1_PNSt15iterator_traitsIS12_E10value_typeET2_T3_PNS13_IS18_E10value_typeET4_jRbjT5_S1E_jjP12ihipStream_tbEUljE_ZNSN_ISO_Lb0ESQ_SR_ST_SU_SY_EESZ_S10_S11_S12_S16_S17_S18_S1B_S1C_jS1D_jS1E_S1E_jjS1G_bEUljE0_EEESZ_S10_S11_S18_S1C_S1E_T6_T7_T9_mT8_S1G_bDpT10_ENKUlT_T0_E_clISt17integral_constantIbLb1EES1T_IbLb0EEEEDaS1P_S1Q_EUlS1P_E_NS1_11comp_targetILNS1_3genE9ELNS1_11target_archE1100ELNS1_3gpuE3ELNS1_3repE0EEENS1_30default_config_static_selectorELNS0_4arch9wavefront6targetE1EEEvS12_.has_dyn_sized_stack, 0
	.set _ZN7rocprim17ROCPRIM_400000_NS6detail17trampoline_kernelINS0_13select_configILj256ELj13ELNS0_17block_load_methodE3ELS4_3ELS4_3ELNS0_20block_scan_algorithmE0ELj4294967295EEENS1_25partition_config_selectorILNS1_17partition_subalgoE4EjNS0_10empty_typeEbEEZZNS1_14partition_implILS8_4ELb0ES6_15HIP_vector_typeIjLj2EENS0_17counting_iteratorIjlEEPS9_SG_NS0_5tupleIJPjSI_NS0_16reverse_iteratorISI_EEEEENSH_IJSG_SG_SG_EEES9_SI_JZNS1_25segmented_radix_sort_implINS0_14default_configELb0EPKdPdPKlPlN2at6native12_GLOBAL__N_18offset_tEEE10hipError_tPvRmT1_PNSt15iterator_traitsIS12_E10value_typeET2_T3_PNS13_IS18_E10value_typeET4_jRbjT5_S1E_jjP12ihipStream_tbEUljE_ZNSN_ISO_Lb0ESQ_SR_ST_SU_SY_EESZ_S10_S11_S12_S16_S17_S18_S1B_S1C_jS1D_jS1E_S1E_jjS1G_bEUljE0_EEESZ_S10_S11_S18_S1C_S1E_T6_T7_T9_mT8_S1G_bDpT10_ENKUlT_T0_E_clISt17integral_constantIbLb1EES1T_IbLb0EEEEDaS1P_S1Q_EUlS1P_E_NS1_11comp_targetILNS1_3genE9ELNS1_11target_archE1100ELNS1_3gpuE3ELNS1_3repE0EEENS1_30default_config_static_selectorELNS0_4arch9wavefront6targetE1EEEvS12_.has_recursion, 0
	.set _ZN7rocprim17ROCPRIM_400000_NS6detail17trampoline_kernelINS0_13select_configILj256ELj13ELNS0_17block_load_methodE3ELS4_3ELS4_3ELNS0_20block_scan_algorithmE0ELj4294967295EEENS1_25partition_config_selectorILNS1_17partition_subalgoE4EjNS0_10empty_typeEbEEZZNS1_14partition_implILS8_4ELb0ES6_15HIP_vector_typeIjLj2EENS0_17counting_iteratorIjlEEPS9_SG_NS0_5tupleIJPjSI_NS0_16reverse_iteratorISI_EEEEENSH_IJSG_SG_SG_EEES9_SI_JZNS1_25segmented_radix_sort_implINS0_14default_configELb0EPKdPdPKlPlN2at6native12_GLOBAL__N_18offset_tEEE10hipError_tPvRmT1_PNSt15iterator_traitsIS12_E10value_typeET2_T3_PNS13_IS18_E10value_typeET4_jRbjT5_S1E_jjP12ihipStream_tbEUljE_ZNSN_ISO_Lb0ESQ_SR_ST_SU_SY_EESZ_S10_S11_S12_S16_S17_S18_S1B_S1C_jS1D_jS1E_S1E_jjS1G_bEUljE0_EEESZ_S10_S11_S18_S1C_S1E_T6_T7_T9_mT8_S1G_bDpT10_ENKUlT_T0_E_clISt17integral_constantIbLb1EES1T_IbLb0EEEEDaS1P_S1Q_EUlS1P_E_NS1_11comp_targetILNS1_3genE9ELNS1_11target_archE1100ELNS1_3gpuE3ELNS1_3repE0EEENS1_30default_config_static_selectorELNS0_4arch9wavefront6targetE1EEEvS12_.has_indirect_call, 0
	.section	.AMDGPU.csdata,"",@progbits
; Kernel info:
; codeLenInByte = 0
; TotalNumSgprs: 4
; NumVgprs: 0
; ScratchSize: 0
; MemoryBound: 0
; FloatMode: 240
; IeeeMode: 1
; LDSByteSize: 0 bytes/workgroup (compile time only)
; SGPRBlocks: 0
; VGPRBlocks: 0
; NumSGPRsForWavesPerEU: 4
; NumVGPRsForWavesPerEU: 1
; Occupancy: 10
; WaveLimiterHint : 0
; COMPUTE_PGM_RSRC2:SCRATCH_EN: 0
; COMPUTE_PGM_RSRC2:USER_SGPR: 6
; COMPUTE_PGM_RSRC2:TRAP_HANDLER: 0
; COMPUTE_PGM_RSRC2:TGID_X_EN: 1
; COMPUTE_PGM_RSRC2:TGID_Y_EN: 0
; COMPUTE_PGM_RSRC2:TGID_Z_EN: 0
; COMPUTE_PGM_RSRC2:TIDIG_COMP_CNT: 0
	.section	.text._ZN7rocprim17ROCPRIM_400000_NS6detail17trampoline_kernelINS0_13select_configILj256ELj13ELNS0_17block_load_methodE3ELS4_3ELS4_3ELNS0_20block_scan_algorithmE0ELj4294967295EEENS1_25partition_config_selectorILNS1_17partition_subalgoE4EjNS0_10empty_typeEbEEZZNS1_14partition_implILS8_4ELb0ES6_15HIP_vector_typeIjLj2EENS0_17counting_iteratorIjlEEPS9_SG_NS0_5tupleIJPjSI_NS0_16reverse_iteratorISI_EEEEENSH_IJSG_SG_SG_EEES9_SI_JZNS1_25segmented_radix_sort_implINS0_14default_configELb0EPKdPdPKlPlN2at6native12_GLOBAL__N_18offset_tEEE10hipError_tPvRmT1_PNSt15iterator_traitsIS12_E10value_typeET2_T3_PNS13_IS18_E10value_typeET4_jRbjT5_S1E_jjP12ihipStream_tbEUljE_ZNSN_ISO_Lb0ESQ_SR_ST_SU_SY_EESZ_S10_S11_S12_S16_S17_S18_S1B_S1C_jS1D_jS1E_S1E_jjS1G_bEUljE0_EEESZ_S10_S11_S18_S1C_S1E_T6_T7_T9_mT8_S1G_bDpT10_ENKUlT_T0_E_clISt17integral_constantIbLb1EES1T_IbLb0EEEEDaS1P_S1Q_EUlS1P_E_NS1_11comp_targetILNS1_3genE8ELNS1_11target_archE1030ELNS1_3gpuE2ELNS1_3repE0EEENS1_30default_config_static_selectorELNS0_4arch9wavefront6targetE1EEEvS12_,"axG",@progbits,_ZN7rocprim17ROCPRIM_400000_NS6detail17trampoline_kernelINS0_13select_configILj256ELj13ELNS0_17block_load_methodE3ELS4_3ELS4_3ELNS0_20block_scan_algorithmE0ELj4294967295EEENS1_25partition_config_selectorILNS1_17partition_subalgoE4EjNS0_10empty_typeEbEEZZNS1_14partition_implILS8_4ELb0ES6_15HIP_vector_typeIjLj2EENS0_17counting_iteratorIjlEEPS9_SG_NS0_5tupleIJPjSI_NS0_16reverse_iteratorISI_EEEEENSH_IJSG_SG_SG_EEES9_SI_JZNS1_25segmented_radix_sort_implINS0_14default_configELb0EPKdPdPKlPlN2at6native12_GLOBAL__N_18offset_tEEE10hipError_tPvRmT1_PNSt15iterator_traitsIS12_E10value_typeET2_T3_PNS13_IS18_E10value_typeET4_jRbjT5_S1E_jjP12ihipStream_tbEUljE_ZNSN_ISO_Lb0ESQ_SR_ST_SU_SY_EESZ_S10_S11_S12_S16_S17_S18_S1B_S1C_jS1D_jS1E_S1E_jjS1G_bEUljE0_EEESZ_S10_S11_S18_S1C_S1E_T6_T7_T9_mT8_S1G_bDpT10_ENKUlT_T0_E_clISt17integral_constantIbLb1EES1T_IbLb0EEEEDaS1P_S1Q_EUlS1P_E_NS1_11comp_targetILNS1_3genE8ELNS1_11target_archE1030ELNS1_3gpuE2ELNS1_3repE0EEENS1_30default_config_static_selectorELNS0_4arch9wavefront6targetE1EEEvS12_,comdat
	.globl	_ZN7rocprim17ROCPRIM_400000_NS6detail17trampoline_kernelINS0_13select_configILj256ELj13ELNS0_17block_load_methodE3ELS4_3ELS4_3ELNS0_20block_scan_algorithmE0ELj4294967295EEENS1_25partition_config_selectorILNS1_17partition_subalgoE4EjNS0_10empty_typeEbEEZZNS1_14partition_implILS8_4ELb0ES6_15HIP_vector_typeIjLj2EENS0_17counting_iteratorIjlEEPS9_SG_NS0_5tupleIJPjSI_NS0_16reverse_iteratorISI_EEEEENSH_IJSG_SG_SG_EEES9_SI_JZNS1_25segmented_radix_sort_implINS0_14default_configELb0EPKdPdPKlPlN2at6native12_GLOBAL__N_18offset_tEEE10hipError_tPvRmT1_PNSt15iterator_traitsIS12_E10value_typeET2_T3_PNS13_IS18_E10value_typeET4_jRbjT5_S1E_jjP12ihipStream_tbEUljE_ZNSN_ISO_Lb0ESQ_SR_ST_SU_SY_EESZ_S10_S11_S12_S16_S17_S18_S1B_S1C_jS1D_jS1E_S1E_jjS1G_bEUljE0_EEESZ_S10_S11_S18_S1C_S1E_T6_T7_T9_mT8_S1G_bDpT10_ENKUlT_T0_E_clISt17integral_constantIbLb1EES1T_IbLb0EEEEDaS1P_S1Q_EUlS1P_E_NS1_11comp_targetILNS1_3genE8ELNS1_11target_archE1030ELNS1_3gpuE2ELNS1_3repE0EEENS1_30default_config_static_selectorELNS0_4arch9wavefront6targetE1EEEvS12_ ; -- Begin function _ZN7rocprim17ROCPRIM_400000_NS6detail17trampoline_kernelINS0_13select_configILj256ELj13ELNS0_17block_load_methodE3ELS4_3ELS4_3ELNS0_20block_scan_algorithmE0ELj4294967295EEENS1_25partition_config_selectorILNS1_17partition_subalgoE4EjNS0_10empty_typeEbEEZZNS1_14partition_implILS8_4ELb0ES6_15HIP_vector_typeIjLj2EENS0_17counting_iteratorIjlEEPS9_SG_NS0_5tupleIJPjSI_NS0_16reverse_iteratorISI_EEEEENSH_IJSG_SG_SG_EEES9_SI_JZNS1_25segmented_radix_sort_implINS0_14default_configELb0EPKdPdPKlPlN2at6native12_GLOBAL__N_18offset_tEEE10hipError_tPvRmT1_PNSt15iterator_traitsIS12_E10value_typeET2_T3_PNS13_IS18_E10value_typeET4_jRbjT5_S1E_jjP12ihipStream_tbEUljE_ZNSN_ISO_Lb0ESQ_SR_ST_SU_SY_EESZ_S10_S11_S12_S16_S17_S18_S1B_S1C_jS1D_jS1E_S1E_jjS1G_bEUljE0_EEESZ_S10_S11_S18_S1C_S1E_T6_T7_T9_mT8_S1G_bDpT10_ENKUlT_T0_E_clISt17integral_constantIbLb1EES1T_IbLb0EEEEDaS1P_S1Q_EUlS1P_E_NS1_11comp_targetILNS1_3genE8ELNS1_11target_archE1030ELNS1_3gpuE2ELNS1_3repE0EEENS1_30default_config_static_selectorELNS0_4arch9wavefront6targetE1EEEvS12_
	.p2align	8
	.type	_ZN7rocprim17ROCPRIM_400000_NS6detail17trampoline_kernelINS0_13select_configILj256ELj13ELNS0_17block_load_methodE3ELS4_3ELS4_3ELNS0_20block_scan_algorithmE0ELj4294967295EEENS1_25partition_config_selectorILNS1_17partition_subalgoE4EjNS0_10empty_typeEbEEZZNS1_14partition_implILS8_4ELb0ES6_15HIP_vector_typeIjLj2EENS0_17counting_iteratorIjlEEPS9_SG_NS0_5tupleIJPjSI_NS0_16reverse_iteratorISI_EEEEENSH_IJSG_SG_SG_EEES9_SI_JZNS1_25segmented_radix_sort_implINS0_14default_configELb0EPKdPdPKlPlN2at6native12_GLOBAL__N_18offset_tEEE10hipError_tPvRmT1_PNSt15iterator_traitsIS12_E10value_typeET2_T3_PNS13_IS18_E10value_typeET4_jRbjT5_S1E_jjP12ihipStream_tbEUljE_ZNSN_ISO_Lb0ESQ_SR_ST_SU_SY_EESZ_S10_S11_S12_S16_S17_S18_S1B_S1C_jS1D_jS1E_S1E_jjS1G_bEUljE0_EEESZ_S10_S11_S18_S1C_S1E_T6_T7_T9_mT8_S1G_bDpT10_ENKUlT_T0_E_clISt17integral_constantIbLb1EES1T_IbLb0EEEEDaS1P_S1Q_EUlS1P_E_NS1_11comp_targetILNS1_3genE8ELNS1_11target_archE1030ELNS1_3gpuE2ELNS1_3repE0EEENS1_30default_config_static_selectorELNS0_4arch9wavefront6targetE1EEEvS12_,@function
_ZN7rocprim17ROCPRIM_400000_NS6detail17trampoline_kernelINS0_13select_configILj256ELj13ELNS0_17block_load_methodE3ELS4_3ELS4_3ELNS0_20block_scan_algorithmE0ELj4294967295EEENS1_25partition_config_selectorILNS1_17partition_subalgoE4EjNS0_10empty_typeEbEEZZNS1_14partition_implILS8_4ELb0ES6_15HIP_vector_typeIjLj2EENS0_17counting_iteratorIjlEEPS9_SG_NS0_5tupleIJPjSI_NS0_16reverse_iteratorISI_EEEEENSH_IJSG_SG_SG_EEES9_SI_JZNS1_25segmented_radix_sort_implINS0_14default_configELb0EPKdPdPKlPlN2at6native12_GLOBAL__N_18offset_tEEE10hipError_tPvRmT1_PNSt15iterator_traitsIS12_E10value_typeET2_T3_PNS13_IS18_E10value_typeET4_jRbjT5_S1E_jjP12ihipStream_tbEUljE_ZNSN_ISO_Lb0ESQ_SR_ST_SU_SY_EESZ_S10_S11_S12_S16_S17_S18_S1B_S1C_jS1D_jS1E_S1E_jjS1G_bEUljE0_EEESZ_S10_S11_S18_S1C_S1E_T6_T7_T9_mT8_S1G_bDpT10_ENKUlT_T0_E_clISt17integral_constantIbLb1EES1T_IbLb0EEEEDaS1P_S1Q_EUlS1P_E_NS1_11comp_targetILNS1_3genE8ELNS1_11target_archE1030ELNS1_3gpuE2ELNS1_3repE0EEENS1_30default_config_static_selectorELNS0_4arch9wavefront6targetE1EEEvS12_: ; @_ZN7rocprim17ROCPRIM_400000_NS6detail17trampoline_kernelINS0_13select_configILj256ELj13ELNS0_17block_load_methodE3ELS4_3ELS4_3ELNS0_20block_scan_algorithmE0ELj4294967295EEENS1_25partition_config_selectorILNS1_17partition_subalgoE4EjNS0_10empty_typeEbEEZZNS1_14partition_implILS8_4ELb0ES6_15HIP_vector_typeIjLj2EENS0_17counting_iteratorIjlEEPS9_SG_NS0_5tupleIJPjSI_NS0_16reverse_iteratorISI_EEEEENSH_IJSG_SG_SG_EEES9_SI_JZNS1_25segmented_radix_sort_implINS0_14default_configELb0EPKdPdPKlPlN2at6native12_GLOBAL__N_18offset_tEEE10hipError_tPvRmT1_PNSt15iterator_traitsIS12_E10value_typeET2_T3_PNS13_IS18_E10value_typeET4_jRbjT5_S1E_jjP12ihipStream_tbEUljE_ZNSN_ISO_Lb0ESQ_SR_ST_SU_SY_EESZ_S10_S11_S12_S16_S17_S18_S1B_S1C_jS1D_jS1E_S1E_jjS1G_bEUljE0_EEESZ_S10_S11_S18_S1C_S1E_T6_T7_T9_mT8_S1G_bDpT10_ENKUlT_T0_E_clISt17integral_constantIbLb1EES1T_IbLb0EEEEDaS1P_S1Q_EUlS1P_E_NS1_11comp_targetILNS1_3genE8ELNS1_11target_archE1030ELNS1_3gpuE2ELNS1_3repE0EEENS1_30default_config_static_selectorELNS0_4arch9wavefront6targetE1EEEvS12_
; %bb.0:
	.section	.rodata,"a",@progbits
	.p2align	6, 0x0
	.amdhsa_kernel _ZN7rocprim17ROCPRIM_400000_NS6detail17trampoline_kernelINS0_13select_configILj256ELj13ELNS0_17block_load_methodE3ELS4_3ELS4_3ELNS0_20block_scan_algorithmE0ELj4294967295EEENS1_25partition_config_selectorILNS1_17partition_subalgoE4EjNS0_10empty_typeEbEEZZNS1_14partition_implILS8_4ELb0ES6_15HIP_vector_typeIjLj2EENS0_17counting_iteratorIjlEEPS9_SG_NS0_5tupleIJPjSI_NS0_16reverse_iteratorISI_EEEEENSH_IJSG_SG_SG_EEES9_SI_JZNS1_25segmented_radix_sort_implINS0_14default_configELb0EPKdPdPKlPlN2at6native12_GLOBAL__N_18offset_tEEE10hipError_tPvRmT1_PNSt15iterator_traitsIS12_E10value_typeET2_T3_PNS13_IS18_E10value_typeET4_jRbjT5_S1E_jjP12ihipStream_tbEUljE_ZNSN_ISO_Lb0ESQ_SR_ST_SU_SY_EESZ_S10_S11_S12_S16_S17_S18_S1B_S1C_jS1D_jS1E_S1E_jjS1G_bEUljE0_EEESZ_S10_S11_S18_S1C_S1E_T6_T7_T9_mT8_S1G_bDpT10_ENKUlT_T0_E_clISt17integral_constantIbLb1EES1T_IbLb0EEEEDaS1P_S1Q_EUlS1P_E_NS1_11comp_targetILNS1_3genE8ELNS1_11target_archE1030ELNS1_3gpuE2ELNS1_3repE0EEENS1_30default_config_static_selectorELNS0_4arch9wavefront6targetE1EEEvS12_
		.amdhsa_group_segment_fixed_size 0
		.amdhsa_private_segment_fixed_size 0
		.amdhsa_kernarg_size 176
		.amdhsa_user_sgpr_count 6
		.amdhsa_user_sgpr_private_segment_buffer 1
		.amdhsa_user_sgpr_dispatch_ptr 0
		.amdhsa_user_sgpr_queue_ptr 0
		.amdhsa_user_sgpr_kernarg_segment_ptr 1
		.amdhsa_user_sgpr_dispatch_id 0
		.amdhsa_user_sgpr_flat_scratch_init 0
		.amdhsa_user_sgpr_private_segment_size 0
		.amdhsa_uses_dynamic_stack 0
		.amdhsa_system_sgpr_private_segment_wavefront_offset 0
		.amdhsa_system_sgpr_workgroup_id_x 1
		.amdhsa_system_sgpr_workgroup_id_y 0
		.amdhsa_system_sgpr_workgroup_id_z 0
		.amdhsa_system_sgpr_workgroup_info 0
		.amdhsa_system_vgpr_workitem_id 0
		.amdhsa_next_free_vgpr 1
		.amdhsa_next_free_sgpr 0
		.amdhsa_reserve_vcc 0
		.amdhsa_reserve_flat_scratch 0
		.amdhsa_float_round_mode_32 0
		.amdhsa_float_round_mode_16_64 0
		.amdhsa_float_denorm_mode_32 3
		.amdhsa_float_denorm_mode_16_64 3
		.amdhsa_dx10_clamp 1
		.amdhsa_ieee_mode 1
		.amdhsa_fp16_overflow 0
		.amdhsa_exception_fp_ieee_invalid_op 0
		.amdhsa_exception_fp_denorm_src 0
		.amdhsa_exception_fp_ieee_div_zero 0
		.amdhsa_exception_fp_ieee_overflow 0
		.amdhsa_exception_fp_ieee_underflow 0
		.amdhsa_exception_fp_ieee_inexact 0
		.amdhsa_exception_int_div_zero 0
	.end_amdhsa_kernel
	.section	.text._ZN7rocprim17ROCPRIM_400000_NS6detail17trampoline_kernelINS0_13select_configILj256ELj13ELNS0_17block_load_methodE3ELS4_3ELS4_3ELNS0_20block_scan_algorithmE0ELj4294967295EEENS1_25partition_config_selectorILNS1_17partition_subalgoE4EjNS0_10empty_typeEbEEZZNS1_14partition_implILS8_4ELb0ES6_15HIP_vector_typeIjLj2EENS0_17counting_iteratorIjlEEPS9_SG_NS0_5tupleIJPjSI_NS0_16reverse_iteratorISI_EEEEENSH_IJSG_SG_SG_EEES9_SI_JZNS1_25segmented_radix_sort_implINS0_14default_configELb0EPKdPdPKlPlN2at6native12_GLOBAL__N_18offset_tEEE10hipError_tPvRmT1_PNSt15iterator_traitsIS12_E10value_typeET2_T3_PNS13_IS18_E10value_typeET4_jRbjT5_S1E_jjP12ihipStream_tbEUljE_ZNSN_ISO_Lb0ESQ_SR_ST_SU_SY_EESZ_S10_S11_S12_S16_S17_S18_S1B_S1C_jS1D_jS1E_S1E_jjS1G_bEUljE0_EEESZ_S10_S11_S18_S1C_S1E_T6_T7_T9_mT8_S1G_bDpT10_ENKUlT_T0_E_clISt17integral_constantIbLb1EES1T_IbLb0EEEEDaS1P_S1Q_EUlS1P_E_NS1_11comp_targetILNS1_3genE8ELNS1_11target_archE1030ELNS1_3gpuE2ELNS1_3repE0EEENS1_30default_config_static_selectorELNS0_4arch9wavefront6targetE1EEEvS12_,"axG",@progbits,_ZN7rocprim17ROCPRIM_400000_NS6detail17trampoline_kernelINS0_13select_configILj256ELj13ELNS0_17block_load_methodE3ELS4_3ELS4_3ELNS0_20block_scan_algorithmE0ELj4294967295EEENS1_25partition_config_selectorILNS1_17partition_subalgoE4EjNS0_10empty_typeEbEEZZNS1_14partition_implILS8_4ELb0ES6_15HIP_vector_typeIjLj2EENS0_17counting_iteratorIjlEEPS9_SG_NS0_5tupleIJPjSI_NS0_16reverse_iteratorISI_EEEEENSH_IJSG_SG_SG_EEES9_SI_JZNS1_25segmented_radix_sort_implINS0_14default_configELb0EPKdPdPKlPlN2at6native12_GLOBAL__N_18offset_tEEE10hipError_tPvRmT1_PNSt15iterator_traitsIS12_E10value_typeET2_T3_PNS13_IS18_E10value_typeET4_jRbjT5_S1E_jjP12ihipStream_tbEUljE_ZNSN_ISO_Lb0ESQ_SR_ST_SU_SY_EESZ_S10_S11_S12_S16_S17_S18_S1B_S1C_jS1D_jS1E_S1E_jjS1G_bEUljE0_EEESZ_S10_S11_S18_S1C_S1E_T6_T7_T9_mT8_S1G_bDpT10_ENKUlT_T0_E_clISt17integral_constantIbLb1EES1T_IbLb0EEEEDaS1P_S1Q_EUlS1P_E_NS1_11comp_targetILNS1_3genE8ELNS1_11target_archE1030ELNS1_3gpuE2ELNS1_3repE0EEENS1_30default_config_static_selectorELNS0_4arch9wavefront6targetE1EEEvS12_,comdat
.Lfunc_end1180:
	.size	_ZN7rocprim17ROCPRIM_400000_NS6detail17trampoline_kernelINS0_13select_configILj256ELj13ELNS0_17block_load_methodE3ELS4_3ELS4_3ELNS0_20block_scan_algorithmE0ELj4294967295EEENS1_25partition_config_selectorILNS1_17partition_subalgoE4EjNS0_10empty_typeEbEEZZNS1_14partition_implILS8_4ELb0ES6_15HIP_vector_typeIjLj2EENS0_17counting_iteratorIjlEEPS9_SG_NS0_5tupleIJPjSI_NS0_16reverse_iteratorISI_EEEEENSH_IJSG_SG_SG_EEES9_SI_JZNS1_25segmented_radix_sort_implINS0_14default_configELb0EPKdPdPKlPlN2at6native12_GLOBAL__N_18offset_tEEE10hipError_tPvRmT1_PNSt15iterator_traitsIS12_E10value_typeET2_T3_PNS13_IS18_E10value_typeET4_jRbjT5_S1E_jjP12ihipStream_tbEUljE_ZNSN_ISO_Lb0ESQ_SR_ST_SU_SY_EESZ_S10_S11_S12_S16_S17_S18_S1B_S1C_jS1D_jS1E_S1E_jjS1G_bEUljE0_EEESZ_S10_S11_S18_S1C_S1E_T6_T7_T9_mT8_S1G_bDpT10_ENKUlT_T0_E_clISt17integral_constantIbLb1EES1T_IbLb0EEEEDaS1P_S1Q_EUlS1P_E_NS1_11comp_targetILNS1_3genE8ELNS1_11target_archE1030ELNS1_3gpuE2ELNS1_3repE0EEENS1_30default_config_static_selectorELNS0_4arch9wavefront6targetE1EEEvS12_, .Lfunc_end1180-_ZN7rocprim17ROCPRIM_400000_NS6detail17trampoline_kernelINS0_13select_configILj256ELj13ELNS0_17block_load_methodE3ELS4_3ELS4_3ELNS0_20block_scan_algorithmE0ELj4294967295EEENS1_25partition_config_selectorILNS1_17partition_subalgoE4EjNS0_10empty_typeEbEEZZNS1_14partition_implILS8_4ELb0ES6_15HIP_vector_typeIjLj2EENS0_17counting_iteratorIjlEEPS9_SG_NS0_5tupleIJPjSI_NS0_16reverse_iteratorISI_EEEEENSH_IJSG_SG_SG_EEES9_SI_JZNS1_25segmented_radix_sort_implINS0_14default_configELb0EPKdPdPKlPlN2at6native12_GLOBAL__N_18offset_tEEE10hipError_tPvRmT1_PNSt15iterator_traitsIS12_E10value_typeET2_T3_PNS13_IS18_E10value_typeET4_jRbjT5_S1E_jjP12ihipStream_tbEUljE_ZNSN_ISO_Lb0ESQ_SR_ST_SU_SY_EESZ_S10_S11_S12_S16_S17_S18_S1B_S1C_jS1D_jS1E_S1E_jjS1G_bEUljE0_EEESZ_S10_S11_S18_S1C_S1E_T6_T7_T9_mT8_S1G_bDpT10_ENKUlT_T0_E_clISt17integral_constantIbLb1EES1T_IbLb0EEEEDaS1P_S1Q_EUlS1P_E_NS1_11comp_targetILNS1_3genE8ELNS1_11target_archE1030ELNS1_3gpuE2ELNS1_3repE0EEENS1_30default_config_static_selectorELNS0_4arch9wavefront6targetE1EEEvS12_
                                        ; -- End function
	.set _ZN7rocprim17ROCPRIM_400000_NS6detail17trampoline_kernelINS0_13select_configILj256ELj13ELNS0_17block_load_methodE3ELS4_3ELS4_3ELNS0_20block_scan_algorithmE0ELj4294967295EEENS1_25partition_config_selectorILNS1_17partition_subalgoE4EjNS0_10empty_typeEbEEZZNS1_14partition_implILS8_4ELb0ES6_15HIP_vector_typeIjLj2EENS0_17counting_iteratorIjlEEPS9_SG_NS0_5tupleIJPjSI_NS0_16reverse_iteratorISI_EEEEENSH_IJSG_SG_SG_EEES9_SI_JZNS1_25segmented_radix_sort_implINS0_14default_configELb0EPKdPdPKlPlN2at6native12_GLOBAL__N_18offset_tEEE10hipError_tPvRmT1_PNSt15iterator_traitsIS12_E10value_typeET2_T3_PNS13_IS18_E10value_typeET4_jRbjT5_S1E_jjP12ihipStream_tbEUljE_ZNSN_ISO_Lb0ESQ_SR_ST_SU_SY_EESZ_S10_S11_S12_S16_S17_S18_S1B_S1C_jS1D_jS1E_S1E_jjS1G_bEUljE0_EEESZ_S10_S11_S18_S1C_S1E_T6_T7_T9_mT8_S1G_bDpT10_ENKUlT_T0_E_clISt17integral_constantIbLb1EES1T_IbLb0EEEEDaS1P_S1Q_EUlS1P_E_NS1_11comp_targetILNS1_3genE8ELNS1_11target_archE1030ELNS1_3gpuE2ELNS1_3repE0EEENS1_30default_config_static_selectorELNS0_4arch9wavefront6targetE1EEEvS12_.num_vgpr, 0
	.set _ZN7rocprim17ROCPRIM_400000_NS6detail17trampoline_kernelINS0_13select_configILj256ELj13ELNS0_17block_load_methodE3ELS4_3ELS4_3ELNS0_20block_scan_algorithmE0ELj4294967295EEENS1_25partition_config_selectorILNS1_17partition_subalgoE4EjNS0_10empty_typeEbEEZZNS1_14partition_implILS8_4ELb0ES6_15HIP_vector_typeIjLj2EENS0_17counting_iteratorIjlEEPS9_SG_NS0_5tupleIJPjSI_NS0_16reverse_iteratorISI_EEEEENSH_IJSG_SG_SG_EEES9_SI_JZNS1_25segmented_radix_sort_implINS0_14default_configELb0EPKdPdPKlPlN2at6native12_GLOBAL__N_18offset_tEEE10hipError_tPvRmT1_PNSt15iterator_traitsIS12_E10value_typeET2_T3_PNS13_IS18_E10value_typeET4_jRbjT5_S1E_jjP12ihipStream_tbEUljE_ZNSN_ISO_Lb0ESQ_SR_ST_SU_SY_EESZ_S10_S11_S12_S16_S17_S18_S1B_S1C_jS1D_jS1E_S1E_jjS1G_bEUljE0_EEESZ_S10_S11_S18_S1C_S1E_T6_T7_T9_mT8_S1G_bDpT10_ENKUlT_T0_E_clISt17integral_constantIbLb1EES1T_IbLb0EEEEDaS1P_S1Q_EUlS1P_E_NS1_11comp_targetILNS1_3genE8ELNS1_11target_archE1030ELNS1_3gpuE2ELNS1_3repE0EEENS1_30default_config_static_selectorELNS0_4arch9wavefront6targetE1EEEvS12_.num_agpr, 0
	.set _ZN7rocprim17ROCPRIM_400000_NS6detail17trampoline_kernelINS0_13select_configILj256ELj13ELNS0_17block_load_methodE3ELS4_3ELS4_3ELNS0_20block_scan_algorithmE0ELj4294967295EEENS1_25partition_config_selectorILNS1_17partition_subalgoE4EjNS0_10empty_typeEbEEZZNS1_14partition_implILS8_4ELb0ES6_15HIP_vector_typeIjLj2EENS0_17counting_iteratorIjlEEPS9_SG_NS0_5tupleIJPjSI_NS0_16reverse_iteratorISI_EEEEENSH_IJSG_SG_SG_EEES9_SI_JZNS1_25segmented_radix_sort_implINS0_14default_configELb0EPKdPdPKlPlN2at6native12_GLOBAL__N_18offset_tEEE10hipError_tPvRmT1_PNSt15iterator_traitsIS12_E10value_typeET2_T3_PNS13_IS18_E10value_typeET4_jRbjT5_S1E_jjP12ihipStream_tbEUljE_ZNSN_ISO_Lb0ESQ_SR_ST_SU_SY_EESZ_S10_S11_S12_S16_S17_S18_S1B_S1C_jS1D_jS1E_S1E_jjS1G_bEUljE0_EEESZ_S10_S11_S18_S1C_S1E_T6_T7_T9_mT8_S1G_bDpT10_ENKUlT_T0_E_clISt17integral_constantIbLb1EES1T_IbLb0EEEEDaS1P_S1Q_EUlS1P_E_NS1_11comp_targetILNS1_3genE8ELNS1_11target_archE1030ELNS1_3gpuE2ELNS1_3repE0EEENS1_30default_config_static_selectorELNS0_4arch9wavefront6targetE1EEEvS12_.numbered_sgpr, 0
	.set _ZN7rocprim17ROCPRIM_400000_NS6detail17trampoline_kernelINS0_13select_configILj256ELj13ELNS0_17block_load_methodE3ELS4_3ELS4_3ELNS0_20block_scan_algorithmE0ELj4294967295EEENS1_25partition_config_selectorILNS1_17partition_subalgoE4EjNS0_10empty_typeEbEEZZNS1_14partition_implILS8_4ELb0ES6_15HIP_vector_typeIjLj2EENS0_17counting_iteratorIjlEEPS9_SG_NS0_5tupleIJPjSI_NS0_16reverse_iteratorISI_EEEEENSH_IJSG_SG_SG_EEES9_SI_JZNS1_25segmented_radix_sort_implINS0_14default_configELb0EPKdPdPKlPlN2at6native12_GLOBAL__N_18offset_tEEE10hipError_tPvRmT1_PNSt15iterator_traitsIS12_E10value_typeET2_T3_PNS13_IS18_E10value_typeET4_jRbjT5_S1E_jjP12ihipStream_tbEUljE_ZNSN_ISO_Lb0ESQ_SR_ST_SU_SY_EESZ_S10_S11_S12_S16_S17_S18_S1B_S1C_jS1D_jS1E_S1E_jjS1G_bEUljE0_EEESZ_S10_S11_S18_S1C_S1E_T6_T7_T9_mT8_S1G_bDpT10_ENKUlT_T0_E_clISt17integral_constantIbLb1EES1T_IbLb0EEEEDaS1P_S1Q_EUlS1P_E_NS1_11comp_targetILNS1_3genE8ELNS1_11target_archE1030ELNS1_3gpuE2ELNS1_3repE0EEENS1_30default_config_static_selectorELNS0_4arch9wavefront6targetE1EEEvS12_.num_named_barrier, 0
	.set _ZN7rocprim17ROCPRIM_400000_NS6detail17trampoline_kernelINS0_13select_configILj256ELj13ELNS0_17block_load_methodE3ELS4_3ELS4_3ELNS0_20block_scan_algorithmE0ELj4294967295EEENS1_25partition_config_selectorILNS1_17partition_subalgoE4EjNS0_10empty_typeEbEEZZNS1_14partition_implILS8_4ELb0ES6_15HIP_vector_typeIjLj2EENS0_17counting_iteratorIjlEEPS9_SG_NS0_5tupleIJPjSI_NS0_16reverse_iteratorISI_EEEEENSH_IJSG_SG_SG_EEES9_SI_JZNS1_25segmented_radix_sort_implINS0_14default_configELb0EPKdPdPKlPlN2at6native12_GLOBAL__N_18offset_tEEE10hipError_tPvRmT1_PNSt15iterator_traitsIS12_E10value_typeET2_T3_PNS13_IS18_E10value_typeET4_jRbjT5_S1E_jjP12ihipStream_tbEUljE_ZNSN_ISO_Lb0ESQ_SR_ST_SU_SY_EESZ_S10_S11_S12_S16_S17_S18_S1B_S1C_jS1D_jS1E_S1E_jjS1G_bEUljE0_EEESZ_S10_S11_S18_S1C_S1E_T6_T7_T9_mT8_S1G_bDpT10_ENKUlT_T0_E_clISt17integral_constantIbLb1EES1T_IbLb0EEEEDaS1P_S1Q_EUlS1P_E_NS1_11comp_targetILNS1_3genE8ELNS1_11target_archE1030ELNS1_3gpuE2ELNS1_3repE0EEENS1_30default_config_static_selectorELNS0_4arch9wavefront6targetE1EEEvS12_.private_seg_size, 0
	.set _ZN7rocprim17ROCPRIM_400000_NS6detail17trampoline_kernelINS0_13select_configILj256ELj13ELNS0_17block_load_methodE3ELS4_3ELS4_3ELNS0_20block_scan_algorithmE0ELj4294967295EEENS1_25partition_config_selectorILNS1_17partition_subalgoE4EjNS0_10empty_typeEbEEZZNS1_14partition_implILS8_4ELb0ES6_15HIP_vector_typeIjLj2EENS0_17counting_iteratorIjlEEPS9_SG_NS0_5tupleIJPjSI_NS0_16reverse_iteratorISI_EEEEENSH_IJSG_SG_SG_EEES9_SI_JZNS1_25segmented_radix_sort_implINS0_14default_configELb0EPKdPdPKlPlN2at6native12_GLOBAL__N_18offset_tEEE10hipError_tPvRmT1_PNSt15iterator_traitsIS12_E10value_typeET2_T3_PNS13_IS18_E10value_typeET4_jRbjT5_S1E_jjP12ihipStream_tbEUljE_ZNSN_ISO_Lb0ESQ_SR_ST_SU_SY_EESZ_S10_S11_S12_S16_S17_S18_S1B_S1C_jS1D_jS1E_S1E_jjS1G_bEUljE0_EEESZ_S10_S11_S18_S1C_S1E_T6_T7_T9_mT8_S1G_bDpT10_ENKUlT_T0_E_clISt17integral_constantIbLb1EES1T_IbLb0EEEEDaS1P_S1Q_EUlS1P_E_NS1_11comp_targetILNS1_3genE8ELNS1_11target_archE1030ELNS1_3gpuE2ELNS1_3repE0EEENS1_30default_config_static_selectorELNS0_4arch9wavefront6targetE1EEEvS12_.uses_vcc, 0
	.set _ZN7rocprim17ROCPRIM_400000_NS6detail17trampoline_kernelINS0_13select_configILj256ELj13ELNS0_17block_load_methodE3ELS4_3ELS4_3ELNS0_20block_scan_algorithmE0ELj4294967295EEENS1_25partition_config_selectorILNS1_17partition_subalgoE4EjNS0_10empty_typeEbEEZZNS1_14partition_implILS8_4ELb0ES6_15HIP_vector_typeIjLj2EENS0_17counting_iteratorIjlEEPS9_SG_NS0_5tupleIJPjSI_NS0_16reverse_iteratorISI_EEEEENSH_IJSG_SG_SG_EEES9_SI_JZNS1_25segmented_radix_sort_implINS0_14default_configELb0EPKdPdPKlPlN2at6native12_GLOBAL__N_18offset_tEEE10hipError_tPvRmT1_PNSt15iterator_traitsIS12_E10value_typeET2_T3_PNS13_IS18_E10value_typeET4_jRbjT5_S1E_jjP12ihipStream_tbEUljE_ZNSN_ISO_Lb0ESQ_SR_ST_SU_SY_EESZ_S10_S11_S12_S16_S17_S18_S1B_S1C_jS1D_jS1E_S1E_jjS1G_bEUljE0_EEESZ_S10_S11_S18_S1C_S1E_T6_T7_T9_mT8_S1G_bDpT10_ENKUlT_T0_E_clISt17integral_constantIbLb1EES1T_IbLb0EEEEDaS1P_S1Q_EUlS1P_E_NS1_11comp_targetILNS1_3genE8ELNS1_11target_archE1030ELNS1_3gpuE2ELNS1_3repE0EEENS1_30default_config_static_selectorELNS0_4arch9wavefront6targetE1EEEvS12_.uses_flat_scratch, 0
	.set _ZN7rocprim17ROCPRIM_400000_NS6detail17trampoline_kernelINS0_13select_configILj256ELj13ELNS0_17block_load_methodE3ELS4_3ELS4_3ELNS0_20block_scan_algorithmE0ELj4294967295EEENS1_25partition_config_selectorILNS1_17partition_subalgoE4EjNS0_10empty_typeEbEEZZNS1_14partition_implILS8_4ELb0ES6_15HIP_vector_typeIjLj2EENS0_17counting_iteratorIjlEEPS9_SG_NS0_5tupleIJPjSI_NS0_16reverse_iteratorISI_EEEEENSH_IJSG_SG_SG_EEES9_SI_JZNS1_25segmented_radix_sort_implINS0_14default_configELb0EPKdPdPKlPlN2at6native12_GLOBAL__N_18offset_tEEE10hipError_tPvRmT1_PNSt15iterator_traitsIS12_E10value_typeET2_T3_PNS13_IS18_E10value_typeET4_jRbjT5_S1E_jjP12ihipStream_tbEUljE_ZNSN_ISO_Lb0ESQ_SR_ST_SU_SY_EESZ_S10_S11_S12_S16_S17_S18_S1B_S1C_jS1D_jS1E_S1E_jjS1G_bEUljE0_EEESZ_S10_S11_S18_S1C_S1E_T6_T7_T9_mT8_S1G_bDpT10_ENKUlT_T0_E_clISt17integral_constantIbLb1EES1T_IbLb0EEEEDaS1P_S1Q_EUlS1P_E_NS1_11comp_targetILNS1_3genE8ELNS1_11target_archE1030ELNS1_3gpuE2ELNS1_3repE0EEENS1_30default_config_static_selectorELNS0_4arch9wavefront6targetE1EEEvS12_.has_dyn_sized_stack, 0
	.set _ZN7rocprim17ROCPRIM_400000_NS6detail17trampoline_kernelINS0_13select_configILj256ELj13ELNS0_17block_load_methodE3ELS4_3ELS4_3ELNS0_20block_scan_algorithmE0ELj4294967295EEENS1_25partition_config_selectorILNS1_17partition_subalgoE4EjNS0_10empty_typeEbEEZZNS1_14partition_implILS8_4ELb0ES6_15HIP_vector_typeIjLj2EENS0_17counting_iteratorIjlEEPS9_SG_NS0_5tupleIJPjSI_NS0_16reverse_iteratorISI_EEEEENSH_IJSG_SG_SG_EEES9_SI_JZNS1_25segmented_radix_sort_implINS0_14default_configELb0EPKdPdPKlPlN2at6native12_GLOBAL__N_18offset_tEEE10hipError_tPvRmT1_PNSt15iterator_traitsIS12_E10value_typeET2_T3_PNS13_IS18_E10value_typeET4_jRbjT5_S1E_jjP12ihipStream_tbEUljE_ZNSN_ISO_Lb0ESQ_SR_ST_SU_SY_EESZ_S10_S11_S12_S16_S17_S18_S1B_S1C_jS1D_jS1E_S1E_jjS1G_bEUljE0_EEESZ_S10_S11_S18_S1C_S1E_T6_T7_T9_mT8_S1G_bDpT10_ENKUlT_T0_E_clISt17integral_constantIbLb1EES1T_IbLb0EEEEDaS1P_S1Q_EUlS1P_E_NS1_11comp_targetILNS1_3genE8ELNS1_11target_archE1030ELNS1_3gpuE2ELNS1_3repE0EEENS1_30default_config_static_selectorELNS0_4arch9wavefront6targetE1EEEvS12_.has_recursion, 0
	.set _ZN7rocprim17ROCPRIM_400000_NS6detail17trampoline_kernelINS0_13select_configILj256ELj13ELNS0_17block_load_methodE3ELS4_3ELS4_3ELNS0_20block_scan_algorithmE0ELj4294967295EEENS1_25partition_config_selectorILNS1_17partition_subalgoE4EjNS0_10empty_typeEbEEZZNS1_14partition_implILS8_4ELb0ES6_15HIP_vector_typeIjLj2EENS0_17counting_iteratorIjlEEPS9_SG_NS0_5tupleIJPjSI_NS0_16reverse_iteratorISI_EEEEENSH_IJSG_SG_SG_EEES9_SI_JZNS1_25segmented_radix_sort_implINS0_14default_configELb0EPKdPdPKlPlN2at6native12_GLOBAL__N_18offset_tEEE10hipError_tPvRmT1_PNSt15iterator_traitsIS12_E10value_typeET2_T3_PNS13_IS18_E10value_typeET4_jRbjT5_S1E_jjP12ihipStream_tbEUljE_ZNSN_ISO_Lb0ESQ_SR_ST_SU_SY_EESZ_S10_S11_S12_S16_S17_S18_S1B_S1C_jS1D_jS1E_S1E_jjS1G_bEUljE0_EEESZ_S10_S11_S18_S1C_S1E_T6_T7_T9_mT8_S1G_bDpT10_ENKUlT_T0_E_clISt17integral_constantIbLb1EES1T_IbLb0EEEEDaS1P_S1Q_EUlS1P_E_NS1_11comp_targetILNS1_3genE8ELNS1_11target_archE1030ELNS1_3gpuE2ELNS1_3repE0EEENS1_30default_config_static_selectorELNS0_4arch9wavefront6targetE1EEEvS12_.has_indirect_call, 0
	.section	.AMDGPU.csdata,"",@progbits
; Kernel info:
; codeLenInByte = 0
; TotalNumSgprs: 4
; NumVgprs: 0
; ScratchSize: 0
; MemoryBound: 0
; FloatMode: 240
; IeeeMode: 1
; LDSByteSize: 0 bytes/workgroup (compile time only)
; SGPRBlocks: 0
; VGPRBlocks: 0
; NumSGPRsForWavesPerEU: 4
; NumVGPRsForWavesPerEU: 1
; Occupancy: 10
; WaveLimiterHint : 0
; COMPUTE_PGM_RSRC2:SCRATCH_EN: 0
; COMPUTE_PGM_RSRC2:USER_SGPR: 6
; COMPUTE_PGM_RSRC2:TRAP_HANDLER: 0
; COMPUTE_PGM_RSRC2:TGID_X_EN: 1
; COMPUTE_PGM_RSRC2:TGID_Y_EN: 0
; COMPUTE_PGM_RSRC2:TGID_Z_EN: 0
; COMPUTE_PGM_RSRC2:TIDIG_COMP_CNT: 0
	.section	.text._ZN7rocprim17ROCPRIM_400000_NS6detail17trampoline_kernelINS0_13select_configILj256ELj13ELNS0_17block_load_methodE3ELS4_3ELS4_3ELNS0_20block_scan_algorithmE0ELj4294967295EEENS1_25partition_config_selectorILNS1_17partition_subalgoE4EjNS0_10empty_typeEbEEZZNS1_14partition_implILS8_4ELb0ES6_15HIP_vector_typeIjLj2EENS0_17counting_iteratorIjlEEPS9_SG_NS0_5tupleIJPjSI_NS0_16reverse_iteratorISI_EEEEENSH_IJSG_SG_SG_EEES9_SI_JZNS1_25segmented_radix_sort_implINS0_14default_configELb0EPKdPdPKlPlN2at6native12_GLOBAL__N_18offset_tEEE10hipError_tPvRmT1_PNSt15iterator_traitsIS12_E10value_typeET2_T3_PNS13_IS18_E10value_typeET4_jRbjT5_S1E_jjP12ihipStream_tbEUljE_ZNSN_ISO_Lb0ESQ_SR_ST_SU_SY_EESZ_S10_S11_S12_S16_S17_S18_S1B_S1C_jS1D_jS1E_S1E_jjS1G_bEUljE0_EEESZ_S10_S11_S18_S1C_S1E_T6_T7_T9_mT8_S1G_bDpT10_ENKUlT_T0_E_clISt17integral_constantIbLb0EES1T_IbLb1EEEEDaS1P_S1Q_EUlS1P_E_NS1_11comp_targetILNS1_3genE0ELNS1_11target_archE4294967295ELNS1_3gpuE0ELNS1_3repE0EEENS1_30default_config_static_selectorELNS0_4arch9wavefront6targetE1EEEvS12_,"axG",@progbits,_ZN7rocprim17ROCPRIM_400000_NS6detail17trampoline_kernelINS0_13select_configILj256ELj13ELNS0_17block_load_methodE3ELS4_3ELS4_3ELNS0_20block_scan_algorithmE0ELj4294967295EEENS1_25partition_config_selectorILNS1_17partition_subalgoE4EjNS0_10empty_typeEbEEZZNS1_14partition_implILS8_4ELb0ES6_15HIP_vector_typeIjLj2EENS0_17counting_iteratorIjlEEPS9_SG_NS0_5tupleIJPjSI_NS0_16reverse_iteratorISI_EEEEENSH_IJSG_SG_SG_EEES9_SI_JZNS1_25segmented_radix_sort_implINS0_14default_configELb0EPKdPdPKlPlN2at6native12_GLOBAL__N_18offset_tEEE10hipError_tPvRmT1_PNSt15iterator_traitsIS12_E10value_typeET2_T3_PNS13_IS18_E10value_typeET4_jRbjT5_S1E_jjP12ihipStream_tbEUljE_ZNSN_ISO_Lb0ESQ_SR_ST_SU_SY_EESZ_S10_S11_S12_S16_S17_S18_S1B_S1C_jS1D_jS1E_S1E_jjS1G_bEUljE0_EEESZ_S10_S11_S18_S1C_S1E_T6_T7_T9_mT8_S1G_bDpT10_ENKUlT_T0_E_clISt17integral_constantIbLb0EES1T_IbLb1EEEEDaS1P_S1Q_EUlS1P_E_NS1_11comp_targetILNS1_3genE0ELNS1_11target_archE4294967295ELNS1_3gpuE0ELNS1_3repE0EEENS1_30default_config_static_selectorELNS0_4arch9wavefront6targetE1EEEvS12_,comdat
	.globl	_ZN7rocprim17ROCPRIM_400000_NS6detail17trampoline_kernelINS0_13select_configILj256ELj13ELNS0_17block_load_methodE3ELS4_3ELS4_3ELNS0_20block_scan_algorithmE0ELj4294967295EEENS1_25partition_config_selectorILNS1_17partition_subalgoE4EjNS0_10empty_typeEbEEZZNS1_14partition_implILS8_4ELb0ES6_15HIP_vector_typeIjLj2EENS0_17counting_iteratorIjlEEPS9_SG_NS0_5tupleIJPjSI_NS0_16reverse_iteratorISI_EEEEENSH_IJSG_SG_SG_EEES9_SI_JZNS1_25segmented_radix_sort_implINS0_14default_configELb0EPKdPdPKlPlN2at6native12_GLOBAL__N_18offset_tEEE10hipError_tPvRmT1_PNSt15iterator_traitsIS12_E10value_typeET2_T3_PNS13_IS18_E10value_typeET4_jRbjT5_S1E_jjP12ihipStream_tbEUljE_ZNSN_ISO_Lb0ESQ_SR_ST_SU_SY_EESZ_S10_S11_S12_S16_S17_S18_S1B_S1C_jS1D_jS1E_S1E_jjS1G_bEUljE0_EEESZ_S10_S11_S18_S1C_S1E_T6_T7_T9_mT8_S1G_bDpT10_ENKUlT_T0_E_clISt17integral_constantIbLb0EES1T_IbLb1EEEEDaS1P_S1Q_EUlS1P_E_NS1_11comp_targetILNS1_3genE0ELNS1_11target_archE4294967295ELNS1_3gpuE0ELNS1_3repE0EEENS1_30default_config_static_selectorELNS0_4arch9wavefront6targetE1EEEvS12_ ; -- Begin function _ZN7rocprim17ROCPRIM_400000_NS6detail17trampoline_kernelINS0_13select_configILj256ELj13ELNS0_17block_load_methodE3ELS4_3ELS4_3ELNS0_20block_scan_algorithmE0ELj4294967295EEENS1_25partition_config_selectorILNS1_17partition_subalgoE4EjNS0_10empty_typeEbEEZZNS1_14partition_implILS8_4ELb0ES6_15HIP_vector_typeIjLj2EENS0_17counting_iteratorIjlEEPS9_SG_NS0_5tupleIJPjSI_NS0_16reverse_iteratorISI_EEEEENSH_IJSG_SG_SG_EEES9_SI_JZNS1_25segmented_radix_sort_implINS0_14default_configELb0EPKdPdPKlPlN2at6native12_GLOBAL__N_18offset_tEEE10hipError_tPvRmT1_PNSt15iterator_traitsIS12_E10value_typeET2_T3_PNS13_IS18_E10value_typeET4_jRbjT5_S1E_jjP12ihipStream_tbEUljE_ZNSN_ISO_Lb0ESQ_SR_ST_SU_SY_EESZ_S10_S11_S12_S16_S17_S18_S1B_S1C_jS1D_jS1E_S1E_jjS1G_bEUljE0_EEESZ_S10_S11_S18_S1C_S1E_T6_T7_T9_mT8_S1G_bDpT10_ENKUlT_T0_E_clISt17integral_constantIbLb0EES1T_IbLb1EEEEDaS1P_S1Q_EUlS1P_E_NS1_11comp_targetILNS1_3genE0ELNS1_11target_archE4294967295ELNS1_3gpuE0ELNS1_3repE0EEENS1_30default_config_static_selectorELNS0_4arch9wavefront6targetE1EEEvS12_
	.p2align	8
	.type	_ZN7rocprim17ROCPRIM_400000_NS6detail17trampoline_kernelINS0_13select_configILj256ELj13ELNS0_17block_load_methodE3ELS4_3ELS4_3ELNS0_20block_scan_algorithmE0ELj4294967295EEENS1_25partition_config_selectorILNS1_17partition_subalgoE4EjNS0_10empty_typeEbEEZZNS1_14partition_implILS8_4ELb0ES6_15HIP_vector_typeIjLj2EENS0_17counting_iteratorIjlEEPS9_SG_NS0_5tupleIJPjSI_NS0_16reverse_iteratorISI_EEEEENSH_IJSG_SG_SG_EEES9_SI_JZNS1_25segmented_radix_sort_implINS0_14default_configELb0EPKdPdPKlPlN2at6native12_GLOBAL__N_18offset_tEEE10hipError_tPvRmT1_PNSt15iterator_traitsIS12_E10value_typeET2_T3_PNS13_IS18_E10value_typeET4_jRbjT5_S1E_jjP12ihipStream_tbEUljE_ZNSN_ISO_Lb0ESQ_SR_ST_SU_SY_EESZ_S10_S11_S12_S16_S17_S18_S1B_S1C_jS1D_jS1E_S1E_jjS1G_bEUljE0_EEESZ_S10_S11_S18_S1C_S1E_T6_T7_T9_mT8_S1G_bDpT10_ENKUlT_T0_E_clISt17integral_constantIbLb0EES1T_IbLb1EEEEDaS1P_S1Q_EUlS1P_E_NS1_11comp_targetILNS1_3genE0ELNS1_11target_archE4294967295ELNS1_3gpuE0ELNS1_3repE0EEENS1_30default_config_static_selectorELNS0_4arch9wavefront6targetE1EEEvS12_,@function
_ZN7rocprim17ROCPRIM_400000_NS6detail17trampoline_kernelINS0_13select_configILj256ELj13ELNS0_17block_load_methodE3ELS4_3ELS4_3ELNS0_20block_scan_algorithmE0ELj4294967295EEENS1_25partition_config_selectorILNS1_17partition_subalgoE4EjNS0_10empty_typeEbEEZZNS1_14partition_implILS8_4ELb0ES6_15HIP_vector_typeIjLj2EENS0_17counting_iteratorIjlEEPS9_SG_NS0_5tupleIJPjSI_NS0_16reverse_iteratorISI_EEEEENSH_IJSG_SG_SG_EEES9_SI_JZNS1_25segmented_radix_sort_implINS0_14default_configELb0EPKdPdPKlPlN2at6native12_GLOBAL__N_18offset_tEEE10hipError_tPvRmT1_PNSt15iterator_traitsIS12_E10value_typeET2_T3_PNS13_IS18_E10value_typeET4_jRbjT5_S1E_jjP12ihipStream_tbEUljE_ZNSN_ISO_Lb0ESQ_SR_ST_SU_SY_EESZ_S10_S11_S12_S16_S17_S18_S1B_S1C_jS1D_jS1E_S1E_jjS1G_bEUljE0_EEESZ_S10_S11_S18_S1C_S1E_T6_T7_T9_mT8_S1G_bDpT10_ENKUlT_T0_E_clISt17integral_constantIbLb0EES1T_IbLb1EEEEDaS1P_S1Q_EUlS1P_E_NS1_11comp_targetILNS1_3genE0ELNS1_11target_archE4294967295ELNS1_3gpuE0ELNS1_3repE0EEENS1_30default_config_static_selectorELNS0_4arch9wavefront6targetE1EEEvS12_: ; @_ZN7rocprim17ROCPRIM_400000_NS6detail17trampoline_kernelINS0_13select_configILj256ELj13ELNS0_17block_load_methodE3ELS4_3ELS4_3ELNS0_20block_scan_algorithmE0ELj4294967295EEENS1_25partition_config_selectorILNS1_17partition_subalgoE4EjNS0_10empty_typeEbEEZZNS1_14partition_implILS8_4ELb0ES6_15HIP_vector_typeIjLj2EENS0_17counting_iteratorIjlEEPS9_SG_NS0_5tupleIJPjSI_NS0_16reverse_iteratorISI_EEEEENSH_IJSG_SG_SG_EEES9_SI_JZNS1_25segmented_radix_sort_implINS0_14default_configELb0EPKdPdPKlPlN2at6native12_GLOBAL__N_18offset_tEEE10hipError_tPvRmT1_PNSt15iterator_traitsIS12_E10value_typeET2_T3_PNS13_IS18_E10value_typeET4_jRbjT5_S1E_jjP12ihipStream_tbEUljE_ZNSN_ISO_Lb0ESQ_SR_ST_SU_SY_EESZ_S10_S11_S12_S16_S17_S18_S1B_S1C_jS1D_jS1E_S1E_jjS1G_bEUljE0_EEESZ_S10_S11_S18_S1C_S1E_T6_T7_T9_mT8_S1G_bDpT10_ENKUlT_T0_E_clISt17integral_constantIbLb0EES1T_IbLb1EEEEDaS1P_S1Q_EUlS1P_E_NS1_11comp_targetILNS1_3genE0ELNS1_11target_archE4294967295ELNS1_3gpuE0ELNS1_3repE0EEENS1_30default_config_static_selectorELNS0_4arch9wavefront6targetE1EEEvS12_
; %bb.0:
	.section	.rodata,"a",@progbits
	.p2align	6, 0x0
	.amdhsa_kernel _ZN7rocprim17ROCPRIM_400000_NS6detail17trampoline_kernelINS0_13select_configILj256ELj13ELNS0_17block_load_methodE3ELS4_3ELS4_3ELNS0_20block_scan_algorithmE0ELj4294967295EEENS1_25partition_config_selectorILNS1_17partition_subalgoE4EjNS0_10empty_typeEbEEZZNS1_14partition_implILS8_4ELb0ES6_15HIP_vector_typeIjLj2EENS0_17counting_iteratorIjlEEPS9_SG_NS0_5tupleIJPjSI_NS0_16reverse_iteratorISI_EEEEENSH_IJSG_SG_SG_EEES9_SI_JZNS1_25segmented_radix_sort_implINS0_14default_configELb0EPKdPdPKlPlN2at6native12_GLOBAL__N_18offset_tEEE10hipError_tPvRmT1_PNSt15iterator_traitsIS12_E10value_typeET2_T3_PNS13_IS18_E10value_typeET4_jRbjT5_S1E_jjP12ihipStream_tbEUljE_ZNSN_ISO_Lb0ESQ_SR_ST_SU_SY_EESZ_S10_S11_S12_S16_S17_S18_S1B_S1C_jS1D_jS1E_S1E_jjS1G_bEUljE0_EEESZ_S10_S11_S18_S1C_S1E_T6_T7_T9_mT8_S1G_bDpT10_ENKUlT_T0_E_clISt17integral_constantIbLb0EES1T_IbLb1EEEEDaS1P_S1Q_EUlS1P_E_NS1_11comp_targetILNS1_3genE0ELNS1_11target_archE4294967295ELNS1_3gpuE0ELNS1_3repE0EEENS1_30default_config_static_selectorELNS0_4arch9wavefront6targetE1EEEvS12_
		.amdhsa_group_segment_fixed_size 0
		.amdhsa_private_segment_fixed_size 0
		.amdhsa_kernarg_size 184
		.amdhsa_user_sgpr_count 6
		.amdhsa_user_sgpr_private_segment_buffer 1
		.amdhsa_user_sgpr_dispatch_ptr 0
		.amdhsa_user_sgpr_queue_ptr 0
		.amdhsa_user_sgpr_kernarg_segment_ptr 1
		.amdhsa_user_sgpr_dispatch_id 0
		.amdhsa_user_sgpr_flat_scratch_init 0
		.amdhsa_user_sgpr_private_segment_size 0
		.amdhsa_uses_dynamic_stack 0
		.amdhsa_system_sgpr_private_segment_wavefront_offset 0
		.amdhsa_system_sgpr_workgroup_id_x 1
		.amdhsa_system_sgpr_workgroup_id_y 0
		.amdhsa_system_sgpr_workgroup_id_z 0
		.amdhsa_system_sgpr_workgroup_info 0
		.amdhsa_system_vgpr_workitem_id 0
		.amdhsa_next_free_vgpr 1
		.amdhsa_next_free_sgpr 0
		.amdhsa_reserve_vcc 0
		.amdhsa_reserve_flat_scratch 0
		.amdhsa_float_round_mode_32 0
		.amdhsa_float_round_mode_16_64 0
		.amdhsa_float_denorm_mode_32 3
		.amdhsa_float_denorm_mode_16_64 3
		.amdhsa_dx10_clamp 1
		.amdhsa_ieee_mode 1
		.amdhsa_fp16_overflow 0
		.amdhsa_exception_fp_ieee_invalid_op 0
		.amdhsa_exception_fp_denorm_src 0
		.amdhsa_exception_fp_ieee_div_zero 0
		.amdhsa_exception_fp_ieee_overflow 0
		.amdhsa_exception_fp_ieee_underflow 0
		.amdhsa_exception_fp_ieee_inexact 0
		.amdhsa_exception_int_div_zero 0
	.end_amdhsa_kernel
	.section	.text._ZN7rocprim17ROCPRIM_400000_NS6detail17trampoline_kernelINS0_13select_configILj256ELj13ELNS0_17block_load_methodE3ELS4_3ELS4_3ELNS0_20block_scan_algorithmE0ELj4294967295EEENS1_25partition_config_selectorILNS1_17partition_subalgoE4EjNS0_10empty_typeEbEEZZNS1_14partition_implILS8_4ELb0ES6_15HIP_vector_typeIjLj2EENS0_17counting_iteratorIjlEEPS9_SG_NS0_5tupleIJPjSI_NS0_16reverse_iteratorISI_EEEEENSH_IJSG_SG_SG_EEES9_SI_JZNS1_25segmented_radix_sort_implINS0_14default_configELb0EPKdPdPKlPlN2at6native12_GLOBAL__N_18offset_tEEE10hipError_tPvRmT1_PNSt15iterator_traitsIS12_E10value_typeET2_T3_PNS13_IS18_E10value_typeET4_jRbjT5_S1E_jjP12ihipStream_tbEUljE_ZNSN_ISO_Lb0ESQ_SR_ST_SU_SY_EESZ_S10_S11_S12_S16_S17_S18_S1B_S1C_jS1D_jS1E_S1E_jjS1G_bEUljE0_EEESZ_S10_S11_S18_S1C_S1E_T6_T7_T9_mT8_S1G_bDpT10_ENKUlT_T0_E_clISt17integral_constantIbLb0EES1T_IbLb1EEEEDaS1P_S1Q_EUlS1P_E_NS1_11comp_targetILNS1_3genE0ELNS1_11target_archE4294967295ELNS1_3gpuE0ELNS1_3repE0EEENS1_30default_config_static_selectorELNS0_4arch9wavefront6targetE1EEEvS12_,"axG",@progbits,_ZN7rocprim17ROCPRIM_400000_NS6detail17trampoline_kernelINS0_13select_configILj256ELj13ELNS0_17block_load_methodE3ELS4_3ELS4_3ELNS0_20block_scan_algorithmE0ELj4294967295EEENS1_25partition_config_selectorILNS1_17partition_subalgoE4EjNS0_10empty_typeEbEEZZNS1_14partition_implILS8_4ELb0ES6_15HIP_vector_typeIjLj2EENS0_17counting_iteratorIjlEEPS9_SG_NS0_5tupleIJPjSI_NS0_16reverse_iteratorISI_EEEEENSH_IJSG_SG_SG_EEES9_SI_JZNS1_25segmented_radix_sort_implINS0_14default_configELb0EPKdPdPKlPlN2at6native12_GLOBAL__N_18offset_tEEE10hipError_tPvRmT1_PNSt15iterator_traitsIS12_E10value_typeET2_T3_PNS13_IS18_E10value_typeET4_jRbjT5_S1E_jjP12ihipStream_tbEUljE_ZNSN_ISO_Lb0ESQ_SR_ST_SU_SY_EESZ_S10_S11_S12_S16_S17_S18_S1B_S1C_jS1D_jS1E_S1E_jjS1G_bEUljE0_EEESZ_S10_S11_S18_S1C_S1E_T6_T7_T9_mT8_S1G_bDpT10_ENKUlT_T0_E_clISt17integral_constantIbLb0EES1T_IbLb1EEEEDaS1P_S1Q_EUlS1P_E_NS1_11comp_targetILNS1_3genE0ELNS1_11target_archE4294967295ELNS1_3gpuE0ELNS1_3repE0EEENS1_30default_config_static_selectorELNS0_4arch9wavefront6targetE1EEEvS12_,comdat
.Lfunc_end1181:
	.size	_ZN7rocprim17ROCPRIM_400000_NS6detail17trampoline_kernelINS0_13select_configILj256ELj13ELNS0_17block_load_methodE3ELS4_3ELS4_3ELNS0_20block_scan_algorithmE0ELj4294967295EEENS1_25partition_config_selectorILNS1_17partition_subalgoE4EjNS0_10empty_typeEbEEZZNS1_14partition_implILS8_4ELb0ES6_15HIP_vector_typeIjLj2EENS0_17counting_iteratorIjlEEPS9_SG_NS0_5tupleIJPjSI_NS0_16reverse_iteratorISI_EEEEENSH_IJSG_SG_SG_EEES9_SI_JZNS1_25segmented_radix_sort_implINS0_14default_configELb0EPKdPdPKlPlN2at6native12_GLOBAL__N_18offset_tEEE10hipError_tPvRmT1_PNSt15iterator_traitsIS12_E10value_typeET2_T3_PNS13_IS18_E10value_typeET4_jRbjT5_S1E_jjP12ihipStream_tbEUljE_ZNSN_ISO_Lb0ESQ_SR_ST_SU_SY_EESZ_S10_S11_S12_S16_S17_S18_S1B_S1C_jS1D_jS1E_S1E_jjS1G_bEUljE0_EEESZ_S10_S11_S18_S1C_S1E_T6_T7_T9_mT8_S1G_bDpT10_ENKUlT_T0_E_clISt17integral_constantIbLb0EES1T_IbLb1EEEEDaS1P_S1Q_EUlS1P_E_NS1_11comp_targetILNS1_3genE0ELNS1_11target_archE4294967295ELNS1_3gpuE0ELNS1_3repE0EEENS1_30default_config_static_selectorELNS0_4arch9wavefront6targetE1EEEvS12_, .Lfunc_end1181-_ZN7rocprim17ROCPRIM_400000_NS6detail17trampoline_kernelINS0_13select_configILj256ELj13ELNS0_17block_load_methodE3ELS4_3ELS4_3ELNS0_20block_scan_algorithmE0ELj4294967295EEENS1_25partition_config_selectorILNS1_17partition_subalgoE4EjNS0_10empty_typeEbEEZZNS1_14partition_implILS8_4ELb0ES6_15HIP_vector_typeIjLj2EENS0_17counting_iteratorIjlEEPS9_SG_NS0_5tupleIJPjSI_NS0_16reverse_iteratorISI_EEEEENSH_IJSG_SG_SG_EEES9_SI_JZNS1_25segmented_radix_sort_implINS0_14default_configELb0EPKdPdPKlPlN2at6native12_GLOBAL__N_18offset_tEEE10hipError_tPvRmT1_PNSt15iterator_traitsIS12_E10value_typeET2_T3_PNS13_IS18_E10value_typeET4_jRbjT5_S1E_jjP12ihipStream_tbEUljE_ZNSN_ISO_Lb0ESQ_SR_ST_SU_SY_EESZ_S10_S11_S12_S16_S17_S18_S1B_S1C_jS1D_jS1E_S1E_jjS1G_bEUljE0_EEESZ_S10_S11_S18_S1C_S1E_T6_T7_T9_mT8_S1G_bDpT10_ENKUlT_T0_E_clISt17integral_constantIbLb0EES1T_IbLb1EEEEDaS1P_S1Q_EUlS1P_E_NS1_11comp_targetILNS1_3genE0ELNS1_11target_archE4294967295ELNS1_3gpuE0ELNS1_3repE0EEENS1_30default_config_static_selectorELNS0_4arch9wavefront6targetE1EEEvS12_
                                        ; -- End function
	.set _ZN7rocprim17ROCPRIM_400000_NS6detail17trampoline_kernelINS0_13select_configILj256ELj13ELNS0_17block_load_methodE3ELS4_3ELS4_3ELNS0_20block_scan_algorithmE0ELj4294967295EEENS1_25partition_config_selectorILNS1_17partition_subalgoE4EjNS0_10empty_typeEbEEZZNS1_14partition_implILS8_4ELb0ES6_15HIP_vector_typeIjLj2EENS0_17counting_iteratorIjlEEPS9_SG_NS0_5tupleIJPjSI_NS0_16reverse_iteratorISI_EEEEENSH_IJSG_SG_SG_EEES9_SI_JZNS1_25segmented_radix_sort_implINS0_14default_configELb0EPKdPdPKlPlN2at6native12_GLOBAL__N_18offset_tEEE10hipError_tPvRmT1_PNSt15iterator_traitsIS12_E10value_typeET2_T3_PNS13_IS18_E10value_typeET4_jRbjT5_S1E_jjP12ihipStream_tbEUljE_ZNSN_ISO_Lb0ESQ_SR_ST_SU_SY_EESZ_S10_S11_S12_S16_S17_S18_S1B_S1C_jS1D_jS1E_S1E_jjS1G_bEUljE0_EEESZ_S10_S11_S18_S1C_S1E_T6_T7_T9_mT8_S1G_bDpT10_ENKUlT_T0_E_clISt17integral_constantIbLb0EES1T_IbLb1EEEEDaS1P_S1Q_EUlS1P_E_NS1_11comp_targetILNS1_3genE0ELNS1_11target_archE4294967295ELNS1_3gpuE0ELNS1_3repE0EEENS1_30default_config_static_selectorELNS0_4arch9wavefront6targetE1EEEvS12_.num_vgpr, 0
	.set _ZN7rocprim17ROCPRIM_400000_NS6detail17trampoline_kernelINS0_13select_configILj256ELj13ELNS0_17block_load_methodE3ELS4_3ELS4_3ELNS0_20block_scan_algorithmE0ELj4294967295EEENS1_25partition_config_selectorILNS1_17partition_subalgoE4EjNS0_10empty_typeEbEEZZNS1_14partition_implILS8_4ELb0ES6_15HIP_vector_typeIjLj2EENS0_17counting_iteratorIjlEEPS9_SG_NS0_5tupleIJPjSI_NS0_16reverse_iteratorISI_EEEEENSH_IJSG_SG_SG_EEES9_SI_JZNS1_25segmented_radix_sort_implINS0_14default_configELb0EPKdPdPKlPlN2at6native12_GLOBAL__N_18offset_tEEE10hipError_tPvRmT1_PNSt15iterator_traitsIS12_E10value_typeET2_T3_PNS13_IS18_E10value_typeET4_jRbjT5_S1E_jjP12ihipStream_tbEUljE_ZNSN_ISO_Lb0ESQ_SR_ST_SU_SY_EESZ_S10_S11_S12_S16_S17_S18_S1B_S1C_jS1D_jS1E_S1E_jjS1G_bEUljE0_EEESZ_S10_S11_S18_S1C_S1E_T6_T7_T9_mT8_S1G_bDpT10_ENKUlT_T0_E_clISt17integral_constantIbLb0EES1T_IbLb1EEEEDaS1P_S1Q_EUlS1P_E_NS1_11comp_targetILNS1_3genE0ELNS1_11target_archE4294967295ELNS1_3gpuE0ELNS1_3repE0EEENS1_30default_config_static_selectorELNS0_4arch9wavefront6targetE1EEEvS12_.num_agpr, 0
	.set _ZN7rocprim17ROCPRIM_400000_NS6detail17trampoline_kernelINS0_13select_configILj256ELj13ELNS0_17block_load_methodE3ELS4_3ELS4_3ELNS0_20block_scan_algorithmE0ELj4294967295EEENS1_25partition_config_selectorILNS1_17partition_subalgoE4EjNS0_10empty_typeEbEEZZNS1_14partition_implILS8_4ELb0ES6_15HIP_vector_typeIjLj2EENS0_17counting_iteratorIjlEEPS9_SG_NS0_5tupleIJPjSI_NS0_16reverse_iteratorISI_EEEEENSH_IJSG_SG_SG_EEES9_SI_JZNS1_25segmented_radix_sort_implINS0_14default_configELb0EPKdPdPKlPlN2at6native12_GLOBAL__N_18offset_tEEE10hipError_tPvRmT1_PNSt15iterator_traitsIS12_E10value_typeET2_T3_PNS13_IS18_E10value_typeET4_jRbjT5_S1E_jjP12ihipStream_tbEUljE_ZNSN_ISO_Lb0ESQ_SR_ST_SU_SY_EESZ_S10_S11_S12_S16_S17_S18_S1B_S1C_jS1D_jS1E_S1E_jjS1G_bEUljE0_EEESZ_S10_S11_S18_S1C_S1E_T6_T7_T9_mT8_S1G_bDpT10_ENKUlT_T0_E_clISt17integral_constantIbLb0EES1T_IbLb1EEEEDaS1P_S1Q_EUlS1P_E_NS1_11comp_targetILNS1_3genE0ELNS1_11target_archE4294967295ELNS1_3gpuE0ELNS1_3repE0EEENS1_30default_config_static_selectorELNS0_4arch9wavefront6targetE1EEEvS12_.numbered_sgpr, 0
	.set _ZN7rocprim17ROCPRIM_400000_NS6detail17trampoline_kernelINS0_13select_configILj256ELj13ELNS0_17block_load_methodE3ELS4_3ELS4_3ELNS0_20block_scan_algorithmE0ELj4294967295EEENS1_25partition_config_selectorILNS1_17partition_subalgoE4EjNS0_10empty_typeEbEEZZNS1_14partition_implILS8_4ELb0ES6_15HIP_vector_typeIjLj2EENS0_17counting_iteratorIjlEEPS9_SG_NS0_5tupleIJPjSI_NS0_16reverse_iteratorISI_EEEEENSH_IJSG_SG_SG_EEES9_SI_JZNS1_25segmented_radix_sort_implINS0_14default_configELb0EPKdPdPKlPlN2at6native12_GLOBAL__N_18offset_tEEE10hipError_tPvRmT1_PNSt15iterator_traitsIS12_E10value_typeET2_T3_PNS13_IS18_E10value_typeET4_jRbjT5_S1E_jjP12ihipStream_tbEUljE_ZNSN_ISO_Lb0ESQ_SR_ST_SU_SY_EESZ_S10_S11_S12_S16_S17_S18_S1B_S1C_jS1D_jS1E_S1E_jjS1G_bEUljE0_EEESZ_S10_S11_S18_S1C_S1E_T6_T7_T9_mT8_S1G_bDpT10_ENKUlT_T0_E_clISt17integral_constantIbLb0EES1T_IbLb1EEEEDaS1P_S1Q_EUlS1P_E_NS1_11comp_targetILNS1_3genE0ELNS1_11target_archE4294967295ELNS1_3gpuE0ELNS1_3repE0EEENS1_30default_config_static_selectorELNS0_4arch9wavefront6targetE1EEEvS12_.num_named_barrier, 0
	.set _ZN7rocprim17ROCPRIM_400000_NS6detail17trampoline_kernelINS0_13select_configILj256ELj13ELNS0_17block_load_methodE3ELS4_3ELS4_3ELNS0_20block_scan_algorithmE0ELj4294967295EEENS1_25partition_config_selectorILNS1_17partition_subalgoE4EjNS0_10empty_typeEbEEZZNS1_14partition_implILS8_4ELb0ES6_15HIP_vector_typeIjLj2EENS0_17counting_iteratorIjlEEPS9_SG_NS0_5tupleIJPjSI_NS0_16reverse_iteratorISI_EEEEENSH_IJSG_SG_SG_EEES9_SI_JZNS1_25segmented_radix_sort_implINS0_14default_configELb0EPKdPdPKlPlN2at6native12_GLOBAL__N_18offset_tEEE10hipError_tPvRmT1_PNSt15iterator_traitsIS12_E10value_typeET2_T3_PNS13_IS18_E10value_typeET4_jRbjT5_S1E_jjP12ihipStream_tbEUljE_ZNSN_ISO_Lb0ESQ_SR_ST_SU_SY_EESZ_S10_S11_S12_S16_S17_S18_S1B_S1C_jS1D_jS1E_S1E_jjS1G_bEUljE0_EEESZ_S10_S11_S18_S1C_S1E_T6_T7_T9_mT8_S1G_bDpT10_ENKUlT_T0_E_clISt17integral_constantIbLb0EES1T_IbLb1EEEEDaS1P_S1Q_EUlS1P_E_NS1_11comp_targetILNS1_3genE0ELNS1_11target_archE4294967295ELNS1_3gpuE0ELNS1_3repE0EEENS1_30default_config_static_selectorELNS0_4arch9wavefront6targetE1EEEvS12_.private_seg_size, 0
	.set _ZN7rocprim17ROCPRIM_400000_NS6detail17trampoline_kernelINS0_13select_configILj256ELj13ELNS0_17block_load_methodE3ELS4_3ELS4_3ELNS0_20block_scan_algorithmE0ELj4294967295EEENS1_25partition_config_selectorILNS1_17partition_subalgoE4EjNS0_10empty_typeEbEEZZNS1_14partition_implILS8_4ELb0ES6_15HIP_vector_typeIjLj2EENS0_17counting_iteratorIjlEEPS9_SG_NS0_5tupleIJPjSI_NS0_16reverse_iteratorISI_EEEEENSH_IJSG_SG_SG_EEES9_SI_JZNS1_25segmented_radix_sort_implINS0_14default_configELb0EPKdPdPKlPlN2at6native12_GLOBAL__N_18offset_tEEE10hipError_tPvRmT1_PNSt15iterator_traitsIS12_E10value_typeET2_T3_PNS13_IS18_E10value_typeET4_jRbjT5_S1E_jjP12ihipStream_tbEUljE_ZNSN_ISO_Lb0ESQ_SR_ST_SU_SY_EESZ_S10_S11_S12_S16_S17_S18_S1B_S1C_jS1D_jS1E_S1E_jjS1G_bEUljE0_EEESZ_S10_S11_S18_S1C_S1E_T6_T7_T9_mT8_S1G_bDpT10_ENKUlT_T0_E_clISt17integral_constantIbLb0EES1T_IbLb1EEEEDaS1P_S1Q_EUlS1P_E_NS1_11comp_targetILNS1_3genE0ELNS1_11target_archE4294967295ELNS1_3gpuE0ELNS1_3repE0EEENS1_30default_config_static_selectorELNS0_4arch9wavefront6targetE1EEEvS12_.uses_vcc, 0
	.set _ZN7rocprim17ROCPRIM_400000_NS6detail17trampoline_kernelINS0_13select_configILj256ELj13ELNS0_17block_load_methodE3ELS4_3ELS4_3ELNS0_20block_scan_algorithmE0ELj4294967295EEENS1_25partition_config_selectorILNS1_17partition_subalgoE4EjNS0_10empty_typeEbEEZZNS1_14partition_implILS8_4ELb0ES6_15HIP_vector_typeIjLj2EENS0_17counting_iteratorIjlEEPS9_SG_NS0_5tupleIJPjSI_NS0_16reverse_iteratorISI_EEEEENSH_IJSG_SG_SG_EEES9_SI_JZNS1_25segmented_radix_sort_implINS0_14default_configELb0EPKdPdPKlPlN2at6native12_GLOBAL__N_18offset_tEEE10hipError_tPvRmT1_PNSt15iterator_traitsIS12_E10value_typeET2_T3_PNS13_IS18_E10value_typeET4_jRbjT5_S1E_jjP12ihipStream_tbEUljE_ZNSN_ISO_Lb0ESQ_SR_ST_SU_SY_EESZ_S10_S11_S12_S16_S17_S18_S1B_S1C_jS1D_jS1E_S1E_jjS1G_bEUljE0_EEESZ_S10_S11_S18_S1C_S1E_T6_T7_T9_mT8_S1G_bDpT10_ENKUlT_T0_E_clISt17integral_constantIbLb0EES1T_IbLb1EEEEDaS1P_S1Q_EUlS1P_E_NS1_11comp_targetILNS1_3genE0ELNS1_11target_archE4294967295ELNS1_3gpuE0ELNS1_3repE0EEENS1_30default_config_static_selectorELNS0_4arch9wavefront6targetE1EEEvS12_.uses_flat_scratch, 0
	.set _ZN7rocprim17ROCPRIM_400000_NS6detail17trampoline_kernelINS0_13select_configILj256ELj13ELNS0_17block_load_methodE3ELS4_3ELS4_3ELNS0_20block_scan_algorithmE0ELj4294967295EEENS1_25partition_config_selectorILNS1_17partition_subalgoE4EjNS0_10empty_typeEbEEZZNS1_14partition_implILS8_4ELb0ES6_15HIP_vector_typeIjLj2EENS0_17counting_iteratorIjlEEPS9_SG_NS0_5tupleIJPjSI_NS0_16reverse_iteratorISI_EEEEENSH_IJSG_SG_SG_EEES9_SI_JZNS1_25segmented_radix_sort_implINS0_14default_configELb0EPKdPdPKlPlN2at6native12_GLOBAL__N_18offset_tEEE10hipError_tPvRmT1_PNSt15iterator_traitsIS12_E10value_typeET2_T3_PNS13_IS18_E10value_typeET4_jRbjT5_S1E_jjP12ihipStream_tbEUljE_ZNSN_ISO_Lb0ESQ_SR_ST_SU_SY_EESZ_S10_S11_S12_S16_S17_S18_S1B_S1C_jS1D_jS1E_S1E_jjS1G_bEUljE0_EEESZ_S10_S11_S18_S1C_S1E_T6_T7_T9_mT8_S1G_bDpT10_ENKUlT_T0_E_clISt17integral_constantIbLb0EES1T_IbLb1EEEEDaS1P_S1Q_EUlS1P_E_NS1_11comp_targetILNS1_3genE0ELNS1_11target_archE4294967295ELNS1_3gpuE0ELNS1_3repE0EEENS1_30default_config_static_selectorELNS0_4arch9wavefront6targetE1EEEvS12_.has_dyn_sized_stack, 0
	.set _ZN7rocprim17ROCPRIM_400000_NS6detail17trampoline_kernelINS0_13select_configILj256ELj13ELNS0_17block_load_methodE3ELS4_3ELS4_3ELNS0_20block_scan_algorithmE0ELj4294967295EEENS1_25partition_config_selectorILNS1_17partition_subalgoE4EjNS0_10empty_typeEbEEZZNS1_14partition_implILS8_4ELb0ES6_15HIP_vector_typeIjLj2EENS0_17counting_iteratorIjlEEPS9_SG_NS0_5tupleIJPjSI_NS0_16reverse_iteratorISI_EEEEENSH_IJSG_SG_SG_EEES9_SI_JZNS1_25segmented_radix_sort_implINS0_14default_configELb0EPKdPdPKlPlN2at6native12_GLOBAL__N_18offset_tEEE10hipError_tPvRmT1_PNSt15iterator_traitsIS12_E10value_typeET2_T3_PNS13_IS18_E10value_typeET4_jRbjT5_S1E_jjP12ihipStream_tbEUljE_ZNSN_ISO_Lb0ESQ_SR_ST_SU_SY_EESZ_S10_S11_S12_S16_S17_S18_S1B_S1C_jS1D_jS1E_S1E_jjS1G_bEUljE0_EEESZ_S10_S11_S18_S1C_S1E_T6_T7_T9_mT8_S1G_bDpT10_ENKUlT_T0_E_clISt17integral_constantIbLb0EES1T_IbLb1EEEEDaS1P_S1Q_EUlS1P_E_NS1_11comp_targetILNS1_3genE0ELNS1_11target_archE4294967295ELNS1_3gpuE0ELNS1_3repE0EEENS1_30default_config_static_selectorELNS0_4arch9wavefront6targetE1EEEvS12_.has_recursion, 0
	.set _ZN7rocprim17ROCPRIM_400000_NS6detail17trampoline_kernelINS0_13select_configILj256ELj13ELNS0_17block_load_methodE3ELS4_3ELS4_3ELNS0_20block_scan_algorithmE0ELj4294967295EEENS1_25partition_config_selectorILNS1_17partition_subalgoE4EjNS0_10empty_typeEbEEZZNS1_14partition_implILS8_4ELb0ES6_15HIP_vector_typeIjLj2EENS0_17counting_iteratorIjlEEPS9_SG_NS0_5tupleIJPjSI_NS0_16reverse_iteratorISI_EEEEENSH_IJSG_SG_SG_EEES9_SI_JZNS1_25segmented_radix_sort_implINS0_14default_configELb0EPKdPdPKlPlN2at6native12_GLOBAL__N_18offset_tEEE10hipError_tPvRmT1_PNSt15iterator_traitsIS12_E10value_typeET2_T3_PNS13_IS18_E10value_typeET4_jRbjT5_S1E_jjP12ihipStream_tbEUljE_ZNSN_ISO_Lb0ESQ_SR_ST_SU_SY_EESZ_S10_S11_S12_S16_S17_S18_S1B_S1C_jS1D_jS1E_S1E_jjS1G_bEUljE0_EEESZ_S10_S11_S18_S1C_S1E_T6_T7_T9_mT8_S1G_bDpT10_ENKUlT_T0_E_clISt17integral_constantIbLb0EES1T_IbLb1EEEEDaS1P_S1Q_EUlS1P_E_NS1_11comp_targetILNS1_3genE0ELNS1_11target_archE4294967295ELNS1_3gpuE0ELNS1_3repE0EEENS1_30default_config_static_selectorELNS0_4arch9wavefront6targetE1EEEvS12_.has_indirect_call, 0
	.section	.AMDGPU.csdata,"",@progbits
; Kernel info:
; codeLenInByte = 0
; TotalNumSgprs: 4
; NumVgprs: 0
; ScratchSize: 0
; MemoryBound: 0
; FloatMode: 240
; IeeeMode: 1
; LDSByteSize: 0 bytes/workgroup (compile time only)
; SGPRBlocks: 0
; VGPRBlocks: 0
; NumSGPRsForWavesPerEU: 4
; NumVGPRsForWavesPerEU: 1
; Occupancy: 10
; WaveLimiterHint : 0
; COMPUTE_PGM_RSRC2:SCRATCH_EN: 0
; COMPUTE_PGM_RSRC2:USER_SGPR: 6
; COMPUTE_PGM_RSRC2:TRAP_HANDLER: 0
; COMPUTE_PGM_RSRC2:TGID_X_EN: 1
; COMPUTE_PGM_RSRC2:TGID_Y_EN: 0
; COMPUTE_PGM_RSRC2:TGID_Z_EN: 0
; COMPUTE_PGM_RSRC2:TIDIG_COMP_CNT: 0
	.section	.text._ZN7rocprim17ROCPRIM_400000_NS6detail17trampoline_kernelINS0_13select_configILj256ELj13ELNS0_17block_load_methodE3ELS4_3ELS4_3ELNS0_20block_scan_algorithmE0ELj4294967295EEENS1_25partition_config_selectorILNS1_17partition_subalgoE4EjNS0_10empty_typeEbEEZZNS1_14partition_implILS8_4ELb0ES6_15HIP_vector_typeIjLj2EENS0_17counting_iteratorIjlEEPS9_SG_NS0_5tupleIJPjSI_NS0_16reverse_iteratorISI_EEEEENSH_IJSG_SG_SG_EEES9_SI_JZNS1_25segmented_radix_sort_implINS0_14default_configELb0EPKdPdPKlPlN2at6native12_GLOBAL__N_18offset_tEEE10hipError_tPvRmT1_PNSt15iterator_traitsIS12_E10value_typeET2_T3_PNS13_IS18_E10value_typeET4_jRbjT5_S1E_jjP12ihipStream_tbEUljE_ZNSN_ISO_Lb0ESQ_SR_ST_SU_SY_EESZ_S10_S11_S12_S16_S17_S18_S1B_S1C_jS1D_jS1E_S1E_jjS1G_bEUljE0_EEESZ_S10_S11_S18_S1C_S1E_T6_T7_T9_mT8_S1G_bDpT10_ENKUlT_T0_E_clISt17integral_constantIbLb0EES1T_IbLb1EEEEDaS1P_S1Q_EUlS1P_E_NS1_11comp_targetILNS1_3genE5ELNS1_11target_archE942ELNS1_3gpuE9ELNS1_3repE0EEENS1_30default_config_static_selectorELNS0_4arch9wavefront6targetE1EEEvS12_,"axG",@progbits,_ZN7rocprim17ROCPRIM_400000_NS6detail17trampoline_kernelINS0_13select_configILj256ELj13ELNS0_17block_load_methodE3ELS4_3ELS4_3ELNS0_20block_scan_algorithmE0ELj4294967295EEENS1_25partition_config_selectorILNS1_17partition_subalgoE4EjNS0_10empty_typeEbEEZZNS1_14partition_implILS8_4ELb0ES6_15HIP_vector_typeIjLj2EENS0_17counting_iteratorIjlEEPS9_SG_NS0_5tupleIJPjSI_NS0_16reverse_iteratorISI_EEEEENSH_IJSG_SG_SG_EEES9_SI_JZNS1_25segmented_radix_sort_implINS0_14default_configELb0EPKdPdPKlPlN2at6native12_GLOBAL__N_18offset_tEEE10hipError_tPvRmT1_PNSt15iterator_traitsIS12_E10value_typeET2_T3_PNS13_IS18_E10value_typeET4_jRbjT5_S1E_jjP12ihipStream_tbEUljE_ZNSN_ISO_Lb0ESQ_SR_ST_SU_SY_EESZ_S10_S11_S12_S16_S17_S18_S1B_S1C_jS1D_jS1E_S1E_jjS1G_bEUljE0_EEESZ_S10_S11_S18_S1C_S1E_T6_T7_T9_mT8_S1G_bDpT10_ENKUlT_T0_E_clISt17integral_constantIbLb0EES1T_IbLb1EEEEDaS1P_S1Q_EUlS1P_E_NS1_11comp_targetILNS1_3genE5ELNS1_11target_archE942ELNS1_3gpuE9ELNS1_3repE0EEENS1_30default_config_static_selectorELNS0_4arch9wavefront6targetE1EEEvS12_,comdat
	.globl	_ZN7rocprim17ROCPRIM_400000_NS6detail17trampoline_kernelINS0_13select_configILj256ELj13ELNS0_17block_load_methodE3ELS4_3ELS4_3ELNS0_20block_scan_algorithmE0ELj4294967295EEENS1_25partition_config_selectorILNS1_17partition_subalgoE4EjNS0_10empty_typeEbEEZZNS1_14partition_implILS8_4ELb0ES6_15HIP_vector_typeIjLj2EENS0_17counting_iteratorIjlEEPS9_SG_NS0_5tupleIJPjSI_NS0_16reverse_iteratorISI_EEEEENSH_IJSG_SG_SG_EEES9_SI_JZNS1_25segmented_radix_sort_implINS0_14default_configELb0EPKdPdPKlPlN2at6native12_GLOBAL__N_18offset_tEEE10hipError_tPvRmT1_PNSt15iterator_traitsIS12_E10value_typeET2_T3_PNS13_IS18_E10value_typeET4_jRbjT5_S1E_jjP12ihipStream_tbEUljE_ZNSN_ISO_Lb0ESQ_SR_ST_SU_SY_EESZ_S10_S11_S12_S16_S17_S18_S1B_S1C_jS1D_jS1E_S1E_jjS1G_bEUljE0_EEESZ_S10_S11_S18_S1C_S1E_T6_T7_T9_mT8_S1G_bDpT10_ENKUlT_T0_E_clISt17integral_constantIbLb0EES1T_IbLb1EEEEDaS1P_S1Q_EUlS1P_E_NS1_11comp_targetILNS1_3genE5ELNS1_11target_archE942ELNS1_3gpuE9ELNS1_3repE0EEENS1_30default_config_static_selectorELNS0_4arch9wavefront6targetE1EEEvS12_ ; -- Begin function _ZN7rocprim17ROCPRIM_400000_NS6detail17trampoline_kernelINS0_13select_configILj256ELj13ELNS0_17block_load_methodE3ELS4_3ELS4_3ELNS0_20block_scan_algorithmE0ELj4294967295EEENS1_25partition_config_selectorILNS1_17partition_subalgoE4EjNS0_10empty_typeEbEEZZNS1_14partition_implILS8_4ELb0ES6_15HIP_vector_typeIjLj2EENS0_17counting_iteratorIjlEEPS9_SG_NS0_5tupleIJPjSI_NS0_16reverse_iteratorISI_EEEEENSH_IJSG_SG_SG_EEES9_SI_JZNS1_25segmented_radix_sort_implINS0_14default_configELb0EPKdPdPKlPlN2at6native12_GLOBAL__N_18offset_tEEE10hipError_tPvRmT1_PNSt15iterator_traitsIS12_E10value_typeET2_T3_PNS13_IS18_E10value_typeET4_jRbjT5_S1E_jjP12ihipStream_tbEUljE_ZNSN_ISO_Lb0ESQ_SR_ST_SU_SY_EESZ_S10_S11_S12_S16_S17_S18_S1B_S1C_jS1D_jS1E_S1E_jjS1G_bEUljE0_EEESZ_S10_S11_S18_S1C_S1E_T6_T7_T9_mT8_S1G_bDpT10_ENKUlT_T0_E_clISt17integral_constantIbLb0EES1T_IbLb1EEEEDaS1P_S1Q_EUlS1P_E_NS1_11comp_targetILNS1_3genE5ELNS1_11target_archE942ELNS1_3gpuE9ELNS1_3repE0EEENS1_30default_config_static_selectorELNS0_4arch9wavefront6targetE1EEEvS12_
	.p2align	8
	.type	_ZN7rocprim17ROCPRIM_400000_NS6detail17trampoline_kernelINS0_13select_configILj256ELj13ELNS0_17block_load_methodE3ELS4_3ELS4_3ELNS0_20block_scan_algorithmE0ELj4294967295EEENS1_25partition_config_selectorILNS1_17partition_subalgoE4EjNS0_10empty_typeEbEEZZNS1_14partition_implILS8_4ELb0ES6_15HIP_vector_typeIjLj2EENS0_17counting_iteratorIjlEEPS9_SG_NS0_5tupleIJPjSI_NS0_16reverse_iteratorISI_EEEEENSH_IJSG_SG_SG_EEES9_SI_JZNS1_25segmented_radix_sort_implINS0_14default_configELb0EPKdPdPKlPlN2at6native12_GLOBAL__N_18offset_tEEE10hipError_tPvRmT1_PNSt15iterator_traitsIS12_E10value_typeET2_T3_PNS13_IS18_E10value_typeET4_jRbjT5_S1E_jjP12ihipStream_tbEUljE_ZNSN_ISO_Lb0ESQ_SR_ST_SU_SY_EESZ_S10_S11_S12_S16_S17_S18_S1B_S1C_jS1D_jS1E_S1E_jjS1G_bEUljE0_EEESZ_S10_S11_S18_S1C_S1E_T6_T7_T9_mT8_S1G_bDpT10_ENKUlT_T0_E_clISt17integral_constantIbLb0EES1T_IbLb1EEEEDaS1P_S1Q_EUlS1P_E_NS1_11comp_targetILNS1_3genE5ELNS1_11target_archE942ELNS1_3gpuE9ELNS1_3repE0EEENS1_30default_config_static_selectorELNS0_4arch9wavefront6targetE1EEEvS12_,@function
_ZN7rocprim17ROCPRIM_400000_NS6detail17trampoline_kernelINS0_13select_configILj256ELj13ELNS0_17block_load_methodE3ELS4_3ELS4_3ELNS0_20block_scan_algorithmE0ELj4294967295EEENS1_25partition_config_selectorILNS1_17partition_subalgoE4EjNS0_10empty_typeEbEEZZNS1_14partition_implILS8_4ELb0ES6_15HIP_vector_typeIjLj2EENS0_17counting_iteratorIjlEEPS9_SG_NS0_5tupleIJPjSI_NS0_16reverse_iteratorISI_EEEEENSH_IJSG_SG_SG_EEES9_SI_JZNS1_25segmented_radix_sort_implINS0_14default_configELb0EPKdPdPKlPlN2at6native12_GLOBAL__N_18offset_tEEE10hipError_tPvRmT1_PNSt15iterator_traitsIS12_E10value_typeET2_T3_PNS13_IS18_E10value_typeET4_jRbjT5_S1E_jjP12ihipStream_tbEUljE_ZNSN_ISO_Lb0ESQ_SR_ST_SU_SY_EESZ_S10_S11_S12_S16_S17_S18_S1B_S1C_jS1D_jS1E_S1E_jjS1G_bEUljE0_EEESZ_S10_S11_S18_S1C_S1E_T6_T7_T9_mT8_S1G_bDpT10_ENKUlT_T0_E_clISt17integral_constantIbLb0EES1T_IbLb1EEEEDaS1P_S1Q_EUlS1P_E_NS1_11comp_targetILNS1_3genE5ELNS1_11target_archE942ELNS1_3gpuE9ELNS1_3repE0EEENS1_30default_config_static_selectorELNS0_4arch9wavefront6targetE1EEEvS12_: ; @_ZN7rocprim17ROCPRIM_400000_NS6detail17trampoline_kernelINS0_13select_configILj256ELj13ELNS0_17block_load_methodE3ELS4_3ELS4_3ELNS0_20block_scan_algorithmE0ELj4294967295EEENS1_25partition_config_selectorILNS1_17partition_subalgoE4EjNS0_10empty_typeEbEEZZNS1_14partition_implILS8_4ELb0ES6_15HIP_vector_typeIjLj2EENS0_17counting_iteratorIjlEEPS9_SG_NS0_5tupleIJPjSI_NS0_16reverse_iteratorISI_EEEEENSH_IJSG_SG_SG_EEES9_SI_JZNS1_25segmented_radix_sort_implINS0_14default_configELb0EPKdPdPKlPlN2at6native12_GLOBAL__N_18offset_tEEE10hipError_tPvRmT1_PNSt15iterator_traitsIS12_E10value_typeET2_T3_PNS13_IS18_E10value_typeET4_jRbjT5_S1E_jjP12ihipStream_tbEUljE_ZNSN_ISO_Lb0ESQ_SR_ST_SU_SY_EESZ_S10_S11_S12_S16_S17_S18_S1B_S1C_jS1D_jS1E_S1E_jjS1G_bEUljE0_EEESZ_S10_S11_S18_S1C_S1E_T6_T7_T9_mT8_S1G_bDpT10_ENKUlT_T0_E_clISt17integral_constantIbLb0EES1T_IbLb1EEEEDaS1P_S1Q_EUlS1P_E_NS1_11comp_targetILNS1_3genE5ELNS1_11target_archE942ELNS1_3gpuE9ELNS1_3repE0EEENS1_30default_config_static_selectorELNS0_4arch9wavefront6targetE1EEEvS12_
; %bb.0:
	.section	.rodata,"a",@progbits
	.p2align	6, 0x0
	.amdhsa_kernel _ZN7rocprim17ROCPRIM_400000_NS6detail17trampoline_kernelINS0_13select_configILj256ELj13ELNS0_17block_load_methodE3ELS4_3ELS4_3ELNS0_20block_scan_algorithmE0ELj4294967295EEENS1_25partition_config_selectorILNS1_17partition_subalgoE4EjNS0_10empty_typeEbEEZZNS1_14partition_implILS8_4ELb0ES6_15HIP_vector_typeIjLj2EENS0_17counting_iteratorIjlEEPS9_SG_NS0_5tupleIJPjSI_NS0_16reverse_iteratorISI_EEEEENSH_IJSG_SG_SG_EEES9_SI_JZNS1_25segmented_radix_sort_implINS0_14default_configELb0EPKdPdPKlPlN2at6native12_GLOBAL__N_18offset_tEEE10hipError_tPvRmT1_PNSt15iterator_traitsIS12_E10value_typeET2_T3_PNS13_IS18_E10value_typeET4_jRbjT5_S1E_jjP12ihipStream_tbEUljE_ZNSN_ISO_Lb0ESQ_SR_ST_SU_SY_EESZ_S10_S11_S12_S16_S17_S18_S1B_S1C_jS1D_jS1E_S1E_jjS1G_bEUljE0_EEESZ_S10_S11_S18_S1C_S1E_T6_T7_T9_mT8_S1G_bDpT10_ENKUlT_T0_E_clISt17integral_constantIbLb0EES1T_IbLb1EEEEDaS1P_S1Q_EUlS1P_E_NS1_11comp_targetILNS1_3genE5ELNS1_11target_archE942ELNS1_3gpuE9ELNS1_3repE0EEENS1_30default_config_static_selectorELNS0_4arch9wavefront6targetE1EEEvS12_
		.amdhsa_group_segment_fixed_size 0
		.amdhsa_private_segment_fixed_size 0
		.amdhsa_kernarg_size 184
		.amdhsa_user_sgpr_count 6
		.amdhsa_user_sgpr_private_segment_buffer 1
		.amdhsa_user_sgpr_dispatch_ptr 0
		.amdhsa_user_sgpr_queue_ptr 0
		.amdhsa_user_sgpr_kernarg_segment_ptr 1
		.amdhsa_user_sgpr_dispatch_id 0
		.amdhsa_user_sgpr_flat_scratch_init 0
		.amdhsa_user_sgpr_private_segment_size 0
		.amdhsa_uses_dynamic_stack 0
		.amdhsa_system_sgpr_private_segment_wavefront_offset 0
		.amdhsa_system_sgpr_workgroup_id_x 1
		.amdhsa_system_sgpr_workgroup_id_y 0
		.amdhsa_system_sgpr_workgroup_id_z 0
		.amdhsa_system_sgpr_workgroup_info 0
		.amdhsa_system_vgpr_workitem_id 0
		.amdhsa_next_free_vgpr 1
		.amdhsa_next_free_sgpr 0
		.amdhsa_reserve_vcc 0
		.amdhsa_reserve_flat_scratch 0
		.amdhsa_float_round_mode_32 0
		.amdhsa_float_round_mode_16_64 0
		.amdhsa_float_denorm_mode_32 3
		.amdhsa_float_denorm_mode_16_64 3
		.amdhsa_dx10_clamp 1
		.amdhsa_ieee_mode 1
		.amdhsa_fp16_overflow 0
		.amdhsa_exception_fp_ieee_invalid_op 0
		.amdhsa_exception_fp_denorm_src 0
		.amdhsa_exception_fp_ieee_div_zero 0
		.amdhsa_exception_fp_ieee_overflow 0
		.amdhsa_exception_fp_ieee_underflow 0
		.amdhsa_exception_fp_ieee_inexact 0
		.amdhsa_exception_int_div_zero 0
	.end_amdhsa_kernel
	.section	.text._ZN7rocprim17ROCPRIM_400000_NS6detail17trampoline_kernelINS0_13select_configILj256ELj13ELNS0_17block_load_methodE3ELS4_3ELS4_3ELNS0_20block_scan_algorithmE0ELj4294967295EEENS1_25partition_config_selectorILNS1_17partition_subalgoE4EjNS0_10empty_typeEbEEZZNS1_14partition_implILS8_4ELb0ES6_15HIP_vector_typeIjLj2EENS0_17counting_iteratorIjlEEPS9_SG_NS0_5tupleIJPjSI_NS0_16reverse_iteratorISI_EEEEENSH_IJSG_SG_SG_EEES9_SI_JZNS1_25segmented_radix_sort_implINS0_14default_configELb0EPKdPdPKlPlN2at6native12_GLOBAL__N_18offset_tEEE10hipError_tPvRmT1_PNSt15iterator_traitsIS12_E10value_typeET2_T3_PNS13_IS18_E10value_typeET4_jRbjT5_S1E_jjP12ihipStream_tbEUljE_ZNSN_ISO_Lb0ESQ_SR_ST_SU_SY_EESZ_S10_S11_S12_S16_S17_S18_S1B_S1C_jS1D_jS1E_S1E_jjS1G_bEUljE0_EEESZ_S10_S11_S18_S1C_S1E_T6_T7_T9_mT8_S1G_bDpT10_ENKUlT_T0_E_clISt17integral_constantIbLb0EES1T_IbLb1EEEEDaS1P_S1Q_EUlS1P_E_NS1_11comp_targetILNS1_3genE5ELNS1_11target_archE942ELNS1_3gpuE9ELNS1_3repE0EEENS1_30default_config_static_selectorELNS0_4arch9wavefront6targetE1EEEvS12_,"axG",@progbits,_ZN7rocprim17ROCPRIM_400000_NS6detail17trampoline_kernelINS0_13select_configILj256ELj13ELNS0_17block_load_methodE3ELS4_3ELS4_3ELNS0_20block_scan_algorithmE0ELj4294967295EEENS1_25partition_config_selectorILNS1_17partition_subalgoE4EjNS0_10empty_typeEbEEZZNS1_14partition_implILS8_4ELb0ES6_15HIP_vector_typeIjLj2EENS0_17counting_iteratorIjlEEPS9_SG_NS0_5tupleIJPjSI_NS0_16reverse_iteratorISI_EEEEENSH_IJSG_SG_SG_EEES9_SI_JZNS1_25segmented_radix_sort_implINS0_14default_configELb0EPKdPdPKlPlN2at6native12_GLOBAL__N_18offset_tEEE10hipError_tPvRmT1_PNSt15iterator_traitsIS12_E10value_typeET2_T3_PNS13_IS18_E10value_typeET4_jRbjT5_S1E_jjP12ihipStream_tbEUljE_ZNSN_ISO_Lb0ESQ_SR_ST_SU_SY_EESZ_S10_S11_S12_S16_S17_S18_S1B_S1C_jS1D_jS1E_S1E_jjS1G_bEUljE0_EEESZ_S10_S11_S18_S1C_S1E_T6_T7_T9_mT8_S1G_bDpT10_ENKUlT_T0_E_clISt17integral_constantIbLb0EES1T_IbLb1EEEEDaS1P_S1Q_EUlS1P_E_NS1_11comp_targetILNS1_3genE5ELNS1_11target_archE942ELNS1_3gpuE9ELNS1_3repE0EEENS1_30default_config_static_selectorELNS0_4arch9wavefront6targetE1EEEvS12_,comdat
.Lfunc_end1182:
	.size	_ZN7rocprim17ROCPRIM_400000_NS6detail17trampoline_kernelINS0_13select_configILj256ELj13ELNS0_17block_load_methodE3ELS4_3ELS4_3ELNS0_20block_scan_algorithmE0ELj4294967295EEENS1_25partition_config_selectorILNS1_17partition_subalgoE4EjNS0_10empty_typeEbEEZZNS1_14partition_implILS8_4ELb0ES6_15HIP_vector_typeIjLj2EENS0_17counting_iteratorIjlEEPS9_SG_NS0_5tupleIJPjSI_NS0_16reverse_iteratorISI_EEEEENSH_IJSG_SG_SG_EEES9_SI_JZNS1_25segmented_radix_sort_implINS0_14default_configELb0EPKdPdPKlPlN2at6native12_GLOBAL__N_18offset_tEEE10hipError_tPvRmT1_PNSt15iterator_traitsIS12_E10value_typeET2_T3_PNS13_IS18_E10value_typeET4_jRbjT5_S1E_jjP12ihipStream_tbEUljE_ZNSN_ISO_Lb0ESQ_SR_ST_SU_SY_EESZ_S10_S11_S12_S16_S17_S18_S1B_S1C_jS1D_jS1E_S1E_jjS1G_bEUljE0_EEESZ_S10_S11_S18_S1C_S1E_T6_T7_T9_mT8_S1G_bDpT10_ENKUlT_T0_E_clISt17integral_constantIbLb0EES1T_IbLb1EEEEDaS1P_S1Q_EUlS1P_E_NS1_11comp_targetILNS1_3genE5ELNS1_11target_archE942ELNS1_3gpuE9ELNS1_3repE0EEENS1_30default_config_static_selectorELNS0_4arch9wavefront6targetE1EEEvS12_, .Lfunc_end1182-_ZN7rocprim17ROCPRIM_400000_NS6detail17trampoline_kernelINS0_13select_configILj256ELj13ELNS0_17block_load_methodE3ELS4_3ELS4_3ELNS0_20block_scan_algorithmE0ELj4294967295EEENS1_25partition_config_selectorILNS1_17partition_subalgoE4EjNS0_10empty_typeEbEEZZNS1_14partition_implILS8_4ELb0ES6_15HIP_vector_typeIjLj2EENS0_17counting_iteratorIjlEEPS9_SG_NS0_5tupleIJPjSI_NS0_16reverse_iteratorISI_EEEEENSH_IJSG_SG_SG_EEES9_SI_JZNS1_25segmented_radix_sort_implINS0_14default_configELb0EPKdPdPKlPlN2at6native12_GLOBAL__N_18offset_tEEE10hipError_tPvRmT1_PNSt15iterator_traitsIS12_E10value_typeET2_T3_PNS13_IS18_E10value_typeET4_jRbjT5_S1E_jjP12ihipStream_tbEUljE_ZNSN_ISO_Lb0ESQ_SR_ST_SU_SY_EESZ_S10_S11_S12_S16_S17_S18_S1B_S1C_jS1D_jS1E_S1E_jjS1G_bEUljE0_EEESZ_S10_S11_S18_S1C_S1E_T6_T7_T9_mT8_S1G_bDpT10_ENKUlT_T0_E_clISt17integral_constantIbLb0EES1T_IbLb1EEEEDaS1P_S1Q_EUlS1P_E_NS1_11comp_targetILNS1_3genE5ELNS1_11target_archE942ELNS1_3gpuE9ELNS1_3repE0EEENS1_30default_config_static_selectorELNS0_4arch9wavefront6targetE1EEEvS12_
                                        ; -- End function
	.set _ZN7rocprim17ROCPRIM_400000_NS6detail17trampoline_kernelINS0_13select_configILj256ELj13ELNS0_17block_load_methodE3ELS4_3ELS4_3ELNS0_20block_scan_algorithmE0ELj4294967295EEENS1_25partition_config_selectorILNS1_17partition_subalgoE4EjNS0_10empty_typeEbEEZZNS1_14partition_implILS8_4ELb0ES6_15HIP_vector_typeIjLj2EENS0_17counting_iteratorIjlEEPS9_SG_NS0_5tupleIJPjSI_NS0_16reverse_iteratorISI_EEEEENSH_IJSG_SG_SG_EEES9_SI_JZNS1_25segmented_radix_sort_implINS0_14default_configELb0EPKdPdPKlPlN2at6native12_GLOBAL__N_18offset_tEEE10hipError_tPvRmT1_PNSt15iterator_traitsIS12_E10value_typeET2_T3_PNS13_IS18_E10value_typeET4_jRbjT5_S1E_jjP12ihipStream_tbEUljE_ZNSN_ISO_Lb0ESQ_SR_ST_SU_SY_EESZ_S10_S11_S12_S16_S17_S18_S1B_S1C_jS1D_jS1E_S1E_jjS1G_bEUljE0_EEESZ_S10_S11_S18_S1C_S1E_T6_T7_T9_mT8_S1G_bDpT10_ENKUlT_T0_E_clISt17integral_constantIbLb0EES1T_IbLb1EEEEDaS1P_S1Q_EUlS1P_E_NS1_11comp_targetILNS1_3genE5ELNS1_11target_archE942ELNS1_3gpuE9ELNS1_3repE0EEENS1_30default_config_static_selectorELNS0_4arch9wavefront6targetE1EEEvS12_.num_vgpr, 0
	.set _ZN7rocprim17ROCPRIM_400000_NS6detail17trampoline_kernelINS0_13select_configILj256ELj13ELNS0_17block_load_methodE3ELS4_3ELS4_3ELNS0_20block_scan_algorithmE0ELj4294967295EEENS1_25partition_config_selectorILNS1_17partition_subalgoE4EjNS0_10empty_typeEbEEZZNS1_14partition_implILS8_4ELb0ES6_15HIP_vector_typeIjLj2EENS0_17counting_iteratorIjlEEPS9_SG_NS0_5tupleIJPjSI_NS0_16reverse_iteratorISI_EEEEENSH_IJSG_SG_SG_EEES9_SI_JZNS1_25segmented_radix_sort_implINS0_14default_configELb0EPKdPdPKlPlN2at6native12_GLOBAL__N_18offset_tEEE10hipError_tPvRmT1_PNSt15iterator_traitsIS12_E10value_typeET2_T3_PNS13_IS18_E10value_typeET4_jRbjT5_S1E_jjP12ihipStream_tbEUljE_ZNSN_ISO_Lb0ESQ_SR_ST_SU_SY_EESZ_S10_S11_S12_S16_S17_S18_S1B_S1C_jS1D_jS1E_S1E_jjS1G_bEUljE0_EEESZ_S10_S11_S18_S1C_S1E_T6_T7_T9_mT8_S1G_bDpT10_ENKUlT_T0_E_clISt17integral_constantIbLb0EES1T_IbLb1EEEEDaS1P_S1Q_EUlS1P_E_NS1_11comp_targetILNS1_3genE5ELNS1_11target_archE942ELNS1_3gpuE9ELNS1_3repE0EEENS1_30default_config_static_selectorELNS0_4arch9wavefront6targetE1EEEvS12_.num_agpr, 0
	.set _ZN7rocprim17ROCPRIM_400000_NS6detail17trampoline_kernelINS0_13select_configILj256ELj13ELNS0_17block_load_methodE3ELS4_3ELS4_3ELNS0_20block_scan_algorithmE0ELj4294967295EEENS1_25partition_config_selectorILNS1_17partition_subalgoE4EjNS0_10empty_typeEbEEZZNS1_14partition_implILS8_4ELb0ES6_15HIP_vector_typeIjLj2EENS0_17counting_iteratorIjlEEPS9_SG_NS0_5tupleIJPjSI_NS0_16reverse_iteratorISI_EEEEENSH_IJSG_SG_SG_EEES9_SI_JZNS1_25segmented_radix_sort_implINS0_14default_configELb0EPKdPdPKlPlN2at6native12_GLOBAL__N_18offset_tEEE10hipError_tPvRmT1_PNSt15iterator_traitsIS12_E10value_typeET2_T3_PNS13_IS18_E10value_typeET4_jRbjT5_S1E_jjP12ihipStream_tbEUljE_ZNSN_ISO_Lb0ESQ_SR_ST_SU_SY_EESZ_S10_S11_S12_S16_S17_S18_S1B_S1C_jS1D_jS1E_S1E_jjS1G_bEUljE0_EEESZ_S10_S11_S18_S1C_S1E_T6_T7_T9_mT8_S1G_bDpT10_ENKUlT_T0_E_clISt17integral_constantIbLb0EES1T_IbLb1EEEEDaS1P_S1Q_EUlS1P_E_NS1_11comp_targetILNS1_3genE5ELNS1_11target_archE942ELNS1_3gpuE9ELNS1_3repE0EEENS1_30default_config_static_selectorELNS0_4arch9wavefront6targetE1EEEvS12_.numbered_sgpr, 0
	.set _ZN7rocprim17ROCPRIM_400000_NS6detail17trampoline_kernelINS0_13select_configILj256ELj13ELNS0_17block_load_methodE3ELS4_3ELS4_3ELNS0_20block_scan_algorithmE0ELj4294967295EEENS1_25partition_config_selectorILNS1_17partition_subalgoE4EjNS0_10empty_typeEbEEZZNS1_14partition_implILS8_4ELb0ES6_15HIP_vector_typeIjLj2EENS0_17counting_iteratorIjlEEPS9_SG_NS0_5tupleIJPjSI_NS0_16reverse_iteratorISI_EEEEENSH_IJSG_SG_SG_EEES9_SI_JZNS1_25segmented_radix_sort_implINS0_14default_configELb0EPKdPdPKlPlN2at6native12_GLOBAL__N_18offset_tEEE10hipError_tPvRmT1_PNSt15iterator_traitsIS12_E10value_typeET2_T3_PNS13_IS18_E10value_typeET4_jRbjT5_S1E_jjP12ihipStream_tbEUljE_ZNSN_ISO_Lb0ESQ_SR_ST_SU_SY_EESZ_S10_S11_S12_S16_S17_S18_S1B_S1C_jS1D_jS1E_S1E_jjS1G_bEUljE0_EEESZ_S10_S11_S18_S1C_S1E_T6_T7_T9_mT8_S1G_bDpT10_ENKUlT_T0_E_clISt17integral_constantIbLb0EES1T_IbLb1EEEEDaS1P_S1Q_EUlS1P_E_NS1_11comp_targetILNS1_3genE5ELNS1_11target_archE942ELNS1_3gpuE9ELNS1_3repE0EEENS1_30default_config_static_selectorELNS0_4arch9wavefront6targetE1EEEvS12_.num_named_barrier, 0
	.set _ZN7rocprim17ROCPRIM_400000_NS6detail17trampoline_kernelINS0_13select_configILj256ELj13ELNS0_17block_load_methodE3ELS4_3ELS4_3ELNS0_20block_scan_algorithmE0ELj4294967295EEENS1_25partition_config_selectorILNS1_17partition_subalgoE4EjNS0_10empty_typeEbEEZZNS1_14partition_implILS8_4ELb0ES6_15HIP_vector_typeIjLj2EENS0_17counting_iteratorIjlEEPS9_SG_NS0_5tupleIJPjSI_NS0_16reverse_iteratorISI_EEEEENSH_IJSG_SG_SG_EEES9_SI_JZNS1_25segmented_radix_sort_implINS0_14default_configELb0EPKdPdPKlPlN2at6native12_GLOBAL__N_18offset_tEEE10hipError_tPvRmT1_PNSt15iterator_traitsIS12_E10value_typeET2_T3_PNS13_IS18_E10value_typeET4_jRbjT5_S1E_jjP12ihipStream_tbEUljE_ZNSN_ISO_Lb0ESQ_SR_ST_SU_SY_EESZ_S10_S11_S12_S16_S17_S18_S1B_S1C_jS1D_jS1E_S1E_jjS1G_bEUljE0_EEESZ_S10_S11_S18_S1C_S1E_T6_T7_T9_mT8_S1G_bDpT10_ENKUlT_T0_E_clISt17integral_constantIbLb0EES1T_IbLb1EEEEDaS1P_S1Q_EUlS1P_E_NS1_11comp_targetILNS1_3genE5ELNS1_11target_archE942ELNS1_3gpuE9ELNS1_3repE0EEENS1_30default_config_static_selectorELNS0_4arch9wavefront6targetE1EEEvS12_.private_seg_size, 0
	.set _ZN7rocprim17ROCPRIM_400000_NS6detail17trampoline_kernelINS0_13select_configILj256ELj13ELNS0_17block_load_methodE3ELS4_3ELS4_3ELNS0_20block_scan_algorithmE0ELj4294967295EEENS1_25partition_config_selectorILNS1_17partition_subalgoE4EjNS0_10empty_typeEbEEZZNS1_14partition_implILS8_4ELb0ES6_15HIP_vector_typeIjLj2EENS0_17counting_iteratorIjlEEPS9_SG_NS0_5tupleIJPjSI_NS0_16reverse_iteratorISI_EEEEENSH_IJSG_SG_SG_EEES9_SI_JZNS1_25segmented_radix_sort_implINS0_14default_configELb0EPKdPdPKlPlN2at6native12_GLOBAL__N_18offset_tEEE10hipError_tPvRmT1_PNSt15iterator_traitsIS12_E10value_typeET2_T3_PNS13_IS18_E10value_typeET4_jRbjT5_S1E_jjP12ihipStream_tbEUljE_ZNSN_ISO_Lb0ESQ_SR_ST_SU_SY_EESZ_S10_S11_S12_S16_S17_S18_S1B_S1C_jS1D_jS1E_S1E_jjS1G_bEUljE0_EEESZ_S10_S11_S18_S1C_S1E_T6_T7_T9_mT8_S1G_bDpT10_ENKUlT_T0_E_clISt17integral_constantIbLb0EES1T_IbLb1EEEEDaS1P_S1Q_EUlS1P_E_NS1_11comp_targetILNS1_3genE5ELNS1_11target_archE942ELNS1_3gpuE9ELNS1_3repE0EEENS1_30default_config_static_selectorELNS0_4arch9wavefront6targetE1EEEvS12_.uses_vcc, 0
	.set _ZN7rocprim17ROCPRIM_400000_NS6detail17trampoline_kernelINS0_13select_configILj256ELj13ELNS0_17block_load_methodE3ELS4_3ELS4_3ELNS0_20block_scan_algorithmE0ELj4294967295EEENS1_25partition_config_selectorILNS1_17partition_subalgoE4EjNS0_10empty_typeEbEEZZNS1_14partition_implILS8_4ELb0ES6_15HIP_vector_typeIjLj2EENS0_17counting_iteratorIjlEEPS9_SG_NS0_5tupleIJPjSI_NS0_16reverse_iteratorISI_EEEEENSH_IJSG_SG_SG_EEES9_SI_JZNS1_25segmented_radix_sort_implINS0_14default_configELb0EPKdPdPKlPlN2at6native12_GLOBAL__N_18offset_tEEE10hipError_tPvRmT1_PNSt15iterator_traitsIS12_E10value_typeET2_T3_PNS13_IS18_E10value_typeET4_jRbjT5_S1E_jjP12ihipStream_tbEUljE_ZNSN_ISO_Lb0ESQ_SR_ST_SU_SY_EESZ_S10_S11_S12_S16_S17_S18_S1B_S1C_jS1D_jS1E_S1E_jjS1G_bEUljE0_EEESZ_S10_S11_S18_S1C_S1E_T6_T7_T9_mT8_S1G_bDpT10_ENKUlT_T0_E_clISt17integral_constantIbLb0EES1T_IbLb1EEEEDaS1P_S1Q_EUlS1P_E_NS1_11comp_targetILNS1_3genE5ELNS1_11target_archE942ELNS1_3gpuE9ELNS1_3repE0EEENS1_30default_config_static_selectorELNS0_4arch9wavefront6targetE1EEEvS12_.uses_flat_scratch, 0
	.set _ZN7rocprim17ROCPRIM_400000_NS6detail17trampoline_kernelINS0_13select_configILj256ELj13ELNS0_17block_load_methodE3ELS4_3ELS4_3ELNS0_20block_scan_algorithmE0ELj4294967295EEENS1_25partition_config_selectorILNS1_17partition_subalgoE4EjNS0_10empty_typeEbEEZZNS1_14partition_implILS8_4ELb0ES6_15HIP_vector_typeIjLj2EENS0_17counting_iteratorIjlEEPS9_SG_NS0_5tupleIJPjSI_NS0_16reverse_iteratorISI_EEEEENSH_IJSG_SG_SG_EEES9_SI_JZNS1_25segmented_radix_sort_implINS0_14default_configELb0EPKdPdPKlPlN2at6native12_GLOBAL__N_18offset_tEEE10hipError_tPvRmT1_PNSt15iterator_traitsIS12_E10value_typeET2_T3_PNS13_IS18_E10value_typeET4_jRbjT5_S1E_jjP12ihipStream_tbEUljE_ZNSN_ISO_Lb0ESQ_SR_ST_SU_SY_EESZ_S10_S11_S12_S16_S17_S18_S1B_S1C_jS1D_jS1E_S1E_jjS1G_bEUljE0_EEESZ_S10_S11_S18_S1C_S1E_T6_T7_T9_mT8_S1G_bDpT10_ENKUlT_T0_E_clISt17integral_constantIbLb0EES1T_IbLb1EEEEDaS1P_S1Q_EUlS1P_E_NS1_11comp_targetILNS1_3genE5ELNS1_11target_archE942ELNS1_3gpuE9ELNS1_3repE0EEENS1_30default_config_static_selectorELNS0_4arch9wavefront6targetE1EEEvS12_.has_dyn_sized_stack, 0
	.set _ZN7rocprim17ROCPRIM_400000_NS6detail17trampoline_kernelINS0_13select_configILj256ELj13ELNS0_17block_load_methodE3ELS4_3ELS4_3ELNS0_20block_scan_algorithmE0ELj4294967295EEENS1_25partition_config_selectorILNS1_17partition_subalgoE4EjNS0_10empty_typeEbEEZZNS1_14partition_implILS8_4ELb0ES6_15HIP_vector_typeIjLj2EENS0_17counting_iteratorIjlEEPS9_SG_NS0_5tupleIJPjSI_NS0_16reverse_iteratorISI_EEEEENSH_IJSG_SG_SG_EEES9_SI_JZNS1_25segmented_radix_sort_implINS0_14default_configELb0EPKdPdPKlPlN2at6native12_GLOBAL__N_18offset_tEEE10hipError_tPvRmT1_PNSt15iterator_traitsIS12_E10value_typeET2_T3_PNS13_IS18_E10value_typeET4_jRbjT5_S1E_jjP12ihipStream_tbEUljE_ZNSN_ISO_Lb0ESQ_SR_ST_SU_SY_EESZ_S10_S11_S12_S16_S17_S18_S1B_S1C_jS1D_jS1E_S1E_jjS1G_bEUljE0_EEESZ_S10_S11_S18_S1C_S1E_T6_T7_T9_mT8_S1G_bDpT10_ENKUlT_T0_E_clISt17integral_constantIbLb0EES1T_IbLb1EEEEDaS1P_S1Q_EUlS1P_E_NS1_11comp_targetILNS1_3genE5ELNS1_11target_archE942ELNS1_3gpuE9ELNS1_3repE0EEENS1_30default_config_static_selectorELNS0_4arch9wavefront6targetE1EEEvS12_.has_recursion, 0
	.set _ZN7rocprim17ROCPRIM_400000_NS6detail17trampoline_kernelINS0_13select_configILj256ELj13ELNS0_17block_load_methodE3ELS4_3ELS4_3ELNS0_20block_scan_algorithmE0ELj4294967295EEENS1_25partition_config_selectorILNS1_17partition_subalgoE4EjNS0_10empty_typeEbEEZZNS1_14partition_implILS8_4ELb0ES6_15HIP_vector_typeIjLj2EENS0_17counting_iteratorIjlEEPS9_SG_NS0_5tupleIJPjSI_NS0_16reverse_iteratorISI_EEEEENSH_IJSG_SG_SG_EEES9_SI_JZNS1_25segmented_radix_sort_implINS0_14default_configELb0EPKdPdPKlPlN2at6native12_GLOBAL__N_18offset_tEEE10hipError_tPvRmT1_PNSt15iterator_traitsIS12_E10value_typeET2_T3_PNS13_IS18_E10value_typeET4_jRbjT5_S1E_jjP12ihipStream_tbEUljE_ZNSN_ISO_Lb0ESQ_SR_ST_SU_SY_EESZ_S10_S11_S12_S16_S17_S18_S1B_S1C_jS1D_jS1E_S1E_jjS1G_bEUljE0_EEESZ_S10_S11_S18_S1C_S1E_T6_T7_T9_mT8_S1G_bDpT10_ENKUlT_T0_E_clISt17integral_constantIbLb0EES1T_IbLb1EEEEDaS1P_S1Q_EUlS1P_E_NS1_11comp_targetILNS1_3genE5ELNS1_11target_archE942ELNS1_3gpuE9ELNS1_3repE0EEENS1_30default_config_static_selectorELNS0_4arch9wavefront6targetE1EEEvS12_.has_indirect_call, 0
	.section	.AMDGPU.csdata,"",@progbits
; Kernel info:
; codeLenInByte = 0
; TotalNumSgprs: 4
; NumVgprs: 0
; ScratchSize: 0
; MemoryBound: 0
; FloatMode: 240
; IeeeMode: 1
; LDSByteSize: 0 bytes/workgroup (compile time only)
; SGPRBlocks: 0
; VGPRBlocks: 0
; NumSGPRsForWavesPerEU: 4
; NumVGPRsForWavesPerEU: 1
; Occupancy: 10
; WaveLimiterHint : 0
; COMPUTE_PGM_RSRC2:SCRATCH_EN: 0
; COMPUTE_PGM_RSRC2:USER_SGPR: 6
; COMPUTE_PGM_RSRC2:TRAP_HANDLER: 0
; COMPUTE_PGM_RSRC2:TGID_X_EN: 1
; COMPUTE_PGM_RSRC2:TGID_Y_EN: 0
; COMPUTE_PGM_RSRC2:TGID_Z_EN: 0
; COMPUTE_PGM_RSRC2:TIDIG_COMP_CNT: 0
	.section	.text._ZN7rocprim17ROCPRIM_400000_NS6detail17trampoline_kernelINS0_13select_configILj256ELj13ELNS0_17block_load_methodE3ELS4_3ELS4_3ELNS0_20block_scan_algorithmE0ELj4294967295EEENS1_25partition_config_selectorILNS1_17partition_subalgoE4EjNS0_10empty_typeEbEEZZNS1_14partition_implILS8_4ELb0ES6_15HIP_vector_typeIjLj2EENS0_17counting_iteratorIjlEEPS9_SG_NS0_5tupleIJPjSI_NS0_16reverse_iteratorISI_EEEEENSH_IJSG_SG_SG_EEES9_SI_JZNS1_25segmented_radix_sort_implINS0_14default_configELb0EPKdPdPKlPlN2at6native12_GLOBAL__N_18offset_tEEE10hipError_tPvRmT1_PNSt15iterator_traitsIS12_E10value_typeET2_T3_PNS13_IS18_E10value_typeET4_jRbjT5_S1E_jjP12ihipStream_tbEUljE_ZNSN_ISO_Lb0ESQ_SR_ST_SU_SY_EESZ_S10_S11_S12_S16_S17_S18_S1B_S1C_jS1D_jS1E_S1E_jjS1G_bEUljE0_EEESZ_S10_S11_S18_S1C_S1E_T6_T7_T9_mT8_S1G_bDpT10_ENKUlT_T0_E_clISt17integral_constantIbLb0EES1T_IbLb1EEEEDaS1P_S1Q_EUlS1P_E_NS1_11comp_targetILNS1_3genE4ELNS1_11target_archE910ELNS1_3gpuE8ELNS1_3repE0EEENS1_30default_config_static_selectorELNS0_4arch9wavefront6targetE1EEEvS12_,"axG",@progbits,_ZN7rocprim17ROCPRIM_400000_NS6detail17trampoline_kernelINS0_13select_configILj256ELj13ELNS0_17block_load_methodE3ELS4_3ELS4_3ELNS0_20block_scan_algorithmE0ELj4294967295EEENS1_25partition_config_selectorILNS1_17partition_subalgoE4EjNS0_10empty_typeEbEEZZNS1_14partition_implILS8_4ELb0ES6_15HIP_vector_typeIjLj2EENS0_17counting_iteratorIjlEEPS9_SG_NS0_5tupleIJPjSI_NS0_16reverse_iteratorISI_EEEEENSH_IJSG_SG_SG_EEES9_SI_JZNS1_25segmented_radix_sort_implINS0_14default_configELb0EPKdPdPKlPlN2at6native12_GLOBAL__N_18offset_tEEE10hipError_tPvRmT1_PNSt15iterator_traitsIS12_E10value_typeET2_T3_PNS13_IS18_E10value_typeET4_jRbjT5_S1E_jjP12ihipStream_tbEUljE_ZNSN_ISO_Lb0ESQ_SR_ST_SU_SY_EESZ_S10_S11_S12_S16_S17_S18_S1B_S1C_jS1D_jS1E_S1E_jjS1G_bEUljE0_EEESZ_S10_S11_S18_S1C_S1E_T6_T7_T9_mT8_S1G_bDpT10_ENKUlT_T0_E_clISt17integral_constantIbLb0EES1T_IbLb1EEEEDaS1P_S1Q_EUlS1P_E_NS1_11comp_targetILNS1_3genE4ELNS1_11target_archE910ELNS1_3gpuE8ELNS1_3repE0EEENS1_30default_config_static_selectorELNS0_4arch9wavefront6targetE1EEEvS12_,comdat
	.globl	_ZN7rocprim17ROCPRIM_400000_NS6detail17trampoline_kernelINS0_13select_configILj256ELj13ELNS0_17block_load_methodE3ELS4_3ELS4_3ELNS0_20block_scan_algorithmE0ELj4294967295EEENS1_25partition_config_selectorILNS1_17partition_subalgoE4EjNS0_10empty_typeEbEEZZNS1_14partition_implILS8_4ELb0ES6_15HIP_vector_typeIjLj2EENS0_17counting_iteratorIjlEEPS9_SG_NS0_5tupleIJPjSI_NS0_16reverse_iteratorISI_EEEEENSH_IJSG_SG_SG_EEES9_SI_JZNS1_25segmented_radix_sort_implINS0_14default_configELb0EPKdPdPKlPlN2at6native12_GLOBAL__N_18offset_tEEE10hipError_tPvRmT1_PNSt15iterator_traitsIS12_E10value_typeET2_T3_PNS13_IS18_E10value_typeET4_jRbjT5_S1E_jjP12ihipStream_tbEUljE_ZNSN_ISO_Lb0ESQ_SR_ST_SU_SY_EESZ_S10_S11_S12_S16_S17_S18_S1B_S1C_jS1D_jS1E_S1E_jjS1G_bEUljE0_EEESZ_S10_S11_S18_S1C_S1E_T6_T7_T9_mT8_S1G_bDpT10_ENKUlT_T0_E_clISt17integral_constantIbLb0EES1T_IbLb1EEEEDaS1P_S1Q_EUlS1P_E_NS1_11comp_targetILNS1_3genE4ELNS1_11target_archE910ELNS1_3gpuE8ELNS1_3repE0EEENS1_30default_config_static_selectorELNS0_4arch9wavefront6targetE1EEEvS12_ ; -- Begin function _ZN7rocprim17ROCPRIM_400000_NS6detail17trampoline_kernelINS0_13select_configILj256ELj13ELNS0_17block_load_methodE3ELS4_3ELS4_3ELNS0_20block_scan_algorithmE0ELj4294967295EEENS1_25partition_config_selectorILNS1_17partition_subalgoE4EjNS0_10empty_typeEbEEZZNS1_14partition_implILS8_4ELb0ES6_15HIP_vector_typeIjLj2EENS0_17counting_iteratorIjlEEPS9_SG_NS0_5tupleIJPjSI_NS0_16reverse_iteratorISI_EEEEENSH_IJSG_SG_SG_EEES9_SI_JZNS1_25segmented_radix_sort_implINS0_14default_configELb0EPKdPdPKlPlN2at6native12_GLOBAL__N_18offset_tEEE10hipError_tPvRmT1_PNSt15iterator_traitsIS12_E10value_typeET2_T3_PNS13_IS18_E10value_typeET4_jRbjT5_S1E_jjP12ihipStream_tbEUljE_ZNSN_ISO_Lb0ESQ_SR_ST_SU_SY_EESZ_S10_S11_S12_S16_S17_S18_S1B_S1C_jS1D_jS1E_S1E_jjS1G_bEUljE0_EEESZ_S10_S11_S18_S1C_S1E_T6_T7_T9_mT8_S1G_bDpT10_ENKUlT_T0_E_clISt17integral_constantIbLb0EES1T_IbLb1EEEEDaS1P_S1Q_EUlS1P_E_NS1_11comp_targetILNS1_3genE4ELNS1_11target_archE910ELNS1_3gpuE8ELNS1_3repE0EEENS1_30default_config_static_selectorELNS0_4arch9wavefront6targetE1EEEvS12_
	.p2align	8
	.type	_ZN7rocprim17ROCPRIM_400000_NS6detail17trampoline_kernelINS0_13select_configILj256ELj13ELNS0_17block_load_methodE3ELS4_3ELS4_3ELNS0_20block_scan_algorithmE0ELj4294967295EEENS1_25partition_config_selectorILNS1_17partition_subalgoE4EjNS0_10empty_typeEbEEZZNS1_14partition_implILS8_4ELb0ES6_15HIP_vector_typeIjLj2EENS0_17counting_iteratorIjlEEPS9_SG_NS0_5tupleIJPjSI_NS0_16reverse_iteratorISI_EEEEENSH_IJSG_SG_SG_EEES9_SI_JZNS1_25segmented_radix_sort_implINS0_14default_configELb0EPKdPdPKlPlN2at6native12_GLOBAL__N_18offset_tEEE10hipError_tPvRmT1_PNSt15iterator_traitsIS12_E10value_typeET2_T3_PNS13_IS18_E10value_typeET4_jRbjT5_S1E_jjP12ihipStream_tbEUljE_ZNSN_ISO_Lb0ESQ_SR_ST_SU_SY_EESZ_S10_S11_S12_S16_S17_S18_S1B_S1C_jS1D_jS1E_S1E_jjS1G_bEUljE0_EEESZ_S10_S11_S18_S1C_S1E_T6_T7_T9_mT8_S1G_bDpT10_ENKUlT_T0_E_clISt17integral_constantIbLb0EES1T_IbLb1EEEEDaS1P_S1Q_EUlS1P_E_NS1_11comp_targetILNS1_3genE4ELNS1_11target_archE910ELNS1_3gpuE8ELNS1_3repE0EEENS1_30default_config_static_selectorELNS0_4arch9wavefront6targetE1EEEvS12_,@function
_ZN7rocprim17ROCPRIM_400000_NS6detail17trampoline_kernelINS0_13select_configILj256ELj13ELNS0_17block_load_methodE3ELS4_3ELS4_3ELNS0_20block_scan_algorithmE0ELj4294967295EEENS1_25partition_config_selectorILNS1_17partition_subalgoE4EjNS0_10empty_typeEbEEZZNS1_14partition_implILS8_4ELb0ES6_15HIP_vector_typeIjLj2EENS0_17counting_iteratorIjlEEPS9_SG_NS0_5tupleIJPjSI_NS0_16reverse_iteratorISI_EEEEENSH_IJSG_SG_SG_EEES9_SI_JZNS1_25segmented_radix_sort_implINS0_14default_configELb0EPKdPdPKlPlN2at6native12_GLOBAL__N_18offset_tEEE10hipError_tPvRmT1_PNSt15iterator_traitsIS12_E10value_typeET2_T3_PNS13_IS18_E10value_typeET4_jRbjT5_S1E_jjP12ihipStream_tbEUljE_ZNSN_ISO_Lb0ESQ_SR_ST_SU_SY_EESZ_S10_S11_S12_S16_S17_S18_S1B_S1C_jS1D_jS1E_S1E_jjS1G_bEUljE0_EEESZ_S10_S11_S18_S1C_S1E_T6_T7_T9_mT8_S1G_bDpT10_ENKUlT_T0_E_clISt17integral_constantIbLb0EES1T_IbLb1EEEEDaS1P_S1Q_EUlS1P_E_NS1_11comp_targetILNS1_3genE4ELNS1_11target_archE910ELNS1_3gpuE8ELNS1_3repE0EEENS1_30default_config_static_selectorELNS0_4arch9wavefront6targetE1EEEvS12_: ; @_ZN7rocprim17ROCPRIM_400000_NS6detail17trampoline_kernelINS0_13select_configILj256ELj13ELNS0_17block_load_methodE3ELS4_3ELS4_3ELNS0_20block_scan_algorithmE0ELj4294967295EEENS1_25partition_config_selectorILNS1_17partition_subalgoE4EjNS0_10empty_typeEbEEZZNS1_14partition_implILS8_4ELb0ES6_15HIP_vector_typeIjLj2EENS0_17counting_iteratorIjlEEPS9_SG_NS0_5tupleIJPjSI_NS0_16reverse_iteratorISI_EEEEENSH_IJSG_SG_SG_EEES9_SI_JZNS1_25segmented_radix_sort_implINS0_14default_configELb0EPKdPdPKlPlN2at6native12_GLOBAL__N_18offset_tEEE10hipError_tPvRmT1_PNSt15iterator_traitsIS12_E10value_typeET2_T3_PNS13_IS18_E10value_typeET4_jRbjT5_S1E_jjP12ihipStream_tbEUljE_ZNSN_ISO_Lb0ESQ_SR_ST_SU_SY_EESZ_S10_S11_S12_S16_S17_S18_S1B_S1C_jS1D_jS1E_S1E_jjS1G_bEUljE0_EEESZ_S10_S11_S18_S1C_S1E_T6_T7_T9_mT8_S1G_bDpT10_ENKUlT_T0_E_clISt17integral_constantIbLb0EES1T_IbLb1EEEEDaS1P_S1Q_EUlS1P_E_NS1_11comp_targetILNS1_3genE4ELNS1_11target_archE910ELNS1_3gpuE8ELNS1_3repE0EEENS1_30default_config_static_selectorELNS0_4arch9wavefront6targetE1EEEvS12_
; %bb.0:
	.section	.rodata,"a",@progbits
	.p2align	6, 0x0
	.amdhsa_kernel _ZN7rocprim17ROCPRIM_400000_NS6detail17trampoline_kernelINS0_13select_configILj256ELj13ELNS0_17block_load_methodE3ELS4_3ELS4_3ELNS0_20block_scan_algorithmE0ELj4294967295EEENS1_25partition_config_selectorILNS1_17partition_subalgoE4EjNS0_10empty_typeEbEEZZNS1_14partition_implILS8_4ELb0ES6_15HIP_vector_typeIjLj2EENS0_17counting_iteratorIjlEEPS9_SG_NS0_5tupleIJPjSI_NS0_16reverse_iteratorISI_EEEEENSH_IJSG_SG_SG_EEES9_SI_JZNS1_25segmented_radix_sort_implINS0_14default_configELb0EPKdPdPKlPlN2at6native12_GLOBAL__N_18offset_tEEE10hipError_tPvRmT1_PNSt15iterator_traitsIS12_E10value_typeET2_T3_PNS13_IS18_E10value_typeET4_jRbjT5_S1E_jjP12ihipStream_tbEUljE_ZNSN_ISO_Lb0ESQ_SR_ST_SU_SY_EESZ_S10_S11_S12_S16_S17_S18_S1B_S1C_jS1D_jS1E_S1E_jjS1G_bEUljE0_EEESZ_S10_S11_S18_S1C_S1E_T6_T7_T9_mT8_S1G_bDpT10_ENKUlT_T0_E_clISt17integral_constantIbLb0EES1T_IbLb1EEEEDaS1P_S1Q_EUlS1P_E_NS1_11comp_targetILNS1_3genE4ELNS1_11target_archE910ELNS1_3gpuE8ELNS1_3repE0EEENS1_30default_config_static_selectorELNS0_4arch9wavefront6targetE1EEEvS12_
		.amdhsa_group_segment_fixed_size 0
		.amdhsa_private_segment_fixed_size 0
		.amdhsa_kernarg_size 184
		.amdhsa_user_sgpr_count 6
		.amdhsa_user_sgpr_private_segment_buffer 1
		.amdhsa_user_sgpr_dispatch_ptr 0
		.amdhsa_user_sgpr_queue_ptr 0
		.amdhsa_user_sgpr_kernarg_segment_ptr 1
		.amdhsa_user_sgpr_dispatch_id 0
		.amdhsa_user_sgpr_flat_scratch_init 0
		.amdhsa_user_sgpr_private_segment_size 0
		.amdhsa_uses_dynamic_stack 0
		.amdhsa_system_sgpr_private_segment_wavefront_offset 0
		.amdhsa_system_sgpr_workgroup_id_x 1
		.amdhsa_system_sgpr_workgroup_id_y 0
		.amdhsa_system_sgpr_workgroup_id_z 0
		.amdhsa_system_sgpr_workgroup_info 0
		.amdhsa_system_vgpr_workitem_id 0
		.amdhsa_next_free_vgpr 1
		.amdhsa_next_free_sgpr 0
		.amdhsa_reserve_vcc 0
		.amdhsa_reserve_flat_scratch 0
		.amdhsa_float_round_mode_32 0
		.amdhsa_float_round_mode_16_64 0
		.amdhsa_float_denorm_mode_32 3
		.amdhsa_float_denorm_mode_16_64 3
		.amdhsa_dx10_clamp 1
		.amdhsa_ieee_mode 1
		.amdhsa_fp16_overflow 0
		.amdhsa_exception_fp_ieee_invalid_op 0
		.amdhsa_exception_fp_denorm_src 0
		.amdhsa_exception_fp_ieee_div_zero 0
		.amdhsa_exception_fp_ieee_overflow 0
		.amdhsa_exception_fp_ieee_underflow 0
		.amdhsa_exception_fp_ieee_inexact 0
		.amdhsa_exception_int_div_zero 0
	.end_amdhsa_kernel
	.section	.text._ZN7rocprim17ROCPRIM_400000_NS6detail17trampoline_kernelINS0_13select_configILj256ELj13ELNS0_17block_load_methodE3ELS4_3ELS4_3ELNS0_20block_scan_algorithmE0ELj4294967295EEENS1_25partition_config_selectorILNS1_17partition_subalgoE4EjNS0_10empty_typeEbEEZZNS1_14partition_implILS8_4ELb0ES6_15HIP_vector_typeIjLj2EENS0_17counting_iteratorIjlEEPS9_SG_NS0_5tupleIJPjSI_NS0_16reverse_iteratorISI_EEEEENSH_IJSG_SG_SG_EEES9_SI_JZNS1_25segmented_radix_sort_implINS0_14default_configELb0EPKdPdPKlPlN2at6native12_GLOBAL__N_18offset_tEEE10hipError_tPvRmT1_PNSt15iterator_traitsIS12_E10value_typeET2_T3_PNS13_IS18_E10value_typeET4_jRbjT5_S1E_jjP12ihipStream_tbEUljE_ZNSN_ISO_Lb0ESQ_SR_ST_SU_SY_EESZ_S10_S11_S12_S16_S17_S18_S1B_S1C_jS1D_jS1E_S1E_jjS1G_bEUljE0_EEESZ_S10_S11_S18_S1C_S1E_T6_T7_T9_mT8_S1G_bDpT10_ENKUlT_T0_E_clISt17integral_constantIbLb0EES1T_IbLb1EEEEDaS1P_S1Q_EUlS1P_E_NS1_11comp_targetILNS1_3genE4ELNS1_11target_archE910ELNS1_3gpuE8ELNS1_3repE0EEENS1_30default_config_static_selectorELNS0_4arch9wavefront6targetE1EEEvS12_,"axG",@progbits,_ZN7rocprim17ROCPRIM_400000_NS6detail17trampoline_kernelINS0_13select_configILj256ELj13ELNS0_17block_load_methodE3ELS4_3ELS4_3ELNS0_20block_scan_algorithmE0ELj4294967295EEENS1_25partition_config_selectorILNS1_17partition_subalgoE4EjNS0_10empty_typeEbEEZZNS1_14partition_implILS8_4ELb0ES6_15HIP_vector_typeIjLj2EENS0_17counting_iteratorIjlEEPS9_SG_NS0_5tupleIJPjSI_NS0_16reverse_iteratorISI_EEEEENSH_IJSG_SG_SG_EEES9_SI_JZNS1_25segmented_radix_sort_implINS0_14default_configELb0EPKdPdPKlPlN2at6native12_GLOBAL__N_18offset_tEEE10hipError_tPvRmT1_PNSt15iterator_traitsIS12_E10value_typeET2_T3_PNS13_IS18_E10value_typeET4_jRbjT5_S1E_jjP12ihipStream_tbEUljE_ZNSN_ISO_Lb0ESQ_SR_ST_SU_SY_EESZ_S10_S11_S12_S16_S17_S18_S1B_S1C_jS1D_jS1E_S1E_jjS1G_bEUljE0_EEESZ_S10_S11_S18_S1C_S1E_T6_T7_T9_mT8_S1G_bDpT10_ENKUlT_T0_E_clISt17integral_constantIbLb0EES1T_IbLb1EEEEDaS1P_S1Q_EUlS1P_E_NS1_11comp_targetILNS1_3genE4ELNS1_11target_archE910ELNS1_3gpuE8ELNS1_3repE0EEENS1_30default_config_static_selectorELNS0_4arch9wavefront6targetE1EEEvS12_,comdat
.Lfunc_end1183:
	.size	_ZN7rocprim17ROCPRIM_400000_NS6detail17trampoline_kernelINS0_13select_configILj256ELj13ELNS0_17block_load_methodE3ELS4_3ELS4_3ELNS0_20block_scan_algorithmE0ELj4294967295EEENS1_25partition_config_selectorILNS1_17partition_subalgoE4EjNS0_10empty_typeEbEEZZNS1_14partition_implILS8_4ELb0ES6_15HIP_vector_typeIjLj2EENS0_17counting_iteratorIjlEEPS9_SG_NS0_5tupleIJPjSI_NS0_16reverse_iteratorISI_EEEEENSH_IJSG_SG_SG_EEES9_SI_JZNS1_25segmented_radix_sort_implINS0_14default_configELb0EPKdPdPKlPlN2at6native12_GLOBAL__N_18offset_tEEE10hipError_tPvRmT1_PNSt15iterator_traitsIS12_E10value_typeET2_T3_PNS13_IS18_E10value_typeET4_jRbjT5_S1E_jjP12ihipStream_tbEUljE_ZNSN_ISO_Lb0ESQ_SR_ST_SU_SY_EESZ_S10_S11_S12_S16_S17_S18_S1B_S1C_jS1D_jS1E_S1E_jjS1G_bEUljE0_EEESZ_S10_S11_S18_S1C_S1E_T6_T7_T9_mT8_S1G_bDpT10_ENKUlT_T0_E_clISt17integral_constantIbLb0EES1T_IbLb1EEEEDaS1P_S1Q_EUlS1P_E_NS1_11comp_targetILNS1_3genE4ELNS1_11target_archE910ELNS1_3gpuE8ELNS1_3repE0EEENS1_30default_config_static_selectorELNS0_4arch9wavefront6targetE1EEEvS12_, .Lfunc_end1183-_ZN7rocprim17ROCPRIM_400000_NS6detail17trampoline_kernelINS0_13select_configILj256ELj13ELNS0_17block_load_methodE3ELS4_3ELS4_3ELNS0_20block_scan_algorithmE0ELj4294967295EEENS1_25partition_config_selectorILNS1_17partition_subalgoE4EjNS0_10empty_typeEbEEZZNS1_14partition_implILS8_4ELb0ES6_15HIP_vector_typeIjLj2EENS0_17counting_iteratorIjlEEPS9_SG_NS0_5tupleIJPjSI_NS0_16reverse_iteratorISI_EEEEENSH_IJSG_SG_SG_EEES9_SI_JZNS1_25segmented_radix_sort_implINS0_14default_configELb0EPKdPdPKlPlN2at6native12_GLOBAL__N_18offset_tEEE10hipError_tPvRmT1_PNSt15iterator_traitsIS12_E10value_typeET2_T3_PNS13_IS18_E10value_typeET4_jRbjT5_S1E_jjP12ihipStream_tbEUljE_ZNSN_ISO_Lb0ESQ_SR_ST_SU_SY_EESZ_S10_S11_S12_S16_S17_S18_S1B_S1C_jS1D_jS1E_S1E_jjS1G_bEUljE0_EEESZ_S10_S11_S18_S1C_S1E_T6_T7_T9_mT8_S1G_bDpT10_ENKUlT_T0_E_clISt17integral_constantIbLb0EES1T_IbLb1EEEEDaS1P_S1Q_EUlS1P_E_NS1_11comp_targetILNS1_3genE4ELNS1_11target_archE910ELNS1_3gpuE8ELNS1_3repE0EEENS1_30default_config_static_selectorELNS0_4arch9wavefront6targetE1EEEvS12_
                                        ; -- End function
	.set _ZN7rocprim17ROCPRIM_400000_NS6detail17trampoline_kernelINS0_13select_configILj256ELj13ELNS0_17block_load_methodE3ELS4_3ELS4_3ELNS0_20block_scan_algorithmE0ELj4294967295EEENS1_25partition_config_selectorILNS1_17partition_subalgoE4EjNS0_10empty_typeEbEEZZNS1_14partition_implILS8_4ELb0ES6_15HIP_vector_typeIjLj2EENS0_17counting_iteratorIjlEEPS9_SG_NS0_5tupleIJPjSI_NS0_16reverse_iteratorISI_EEEEENSH_IJSG_SG_SG_EEES9_SI_JZNS1_25segmented_radix_sort_implINS0_14default_configELb0EPKdPdPKlPlN2at6native12_GLOBAL__N_18offset_tEEE10hipError_tPvRmT1_PNSt15iterator_traitsIS12_E10value_typeET2_T3_PNS13_IS18_E10value_typeET4_jRbjT5_S1E_jjP12ihipStream_tbEUljE_ZNSN_ISO_Lb0ESQ_SR_ST_SU_SY_EESZ_S10_S11_S12_S16_S17_S18_S1B_S1C_jS1D_jS1E_S1E_jjS1G_bEUljE0_EEESZ_S10_S11_S18_S1C_S1E_T6_T7_T9_mT8_S1G_bDpT10_ENKUlT_T0_E_clISt17integral_constantIbLb0EES1T_IbLb1EEEEDaS1P_S1Q_EUlS1P_E_NS1_11comp_targetILNS1_3genE4ELNS1_11target_archE910ELNS1_3gpuE8ELNS1_3repE0EEENS1_30default_config_static_selectorELNS0_4arch9wavefront6targetE1EEEvS12_.num_vgpr, 0
	.set _ZN7rocprim17ROCPRIM_400000_NS6detail17trampoline_kernelINS0_13select_configILj256ELj13ELNS0_17block_load_methodE3ELS4_3ELS4_3ELNS0_20block_scan_algorithmE0ELj4294967295EEENS1_25partition_config_selectorILNS1_17partition_subalgoE4EjNS0_10empty_typeEbEEZZNS1_14partition_implILS8_4ELb0ES6_15HIP_vector_typeIjLj2EENS0_17counting_iteratorIjlEEPS9_SG_NS0_5tupleIJPjSI_NS0_16reverse_iteratorISI_EEEEENSH_IJSG_SG_SG_EEES9_SI_JZNS1_25segmented_radix_sort_implINS0_14default_configELb0EPKdPdPKlPlN2at6native12_GLOBAL__N_18offset_tEEE10hipError_tPvRmT1_PNSt15iterator_traitsIS12_E10value_typeET2_T3_PNS13_IS18_E10value_typeET4_jRbjT5_S1E_jjP12ihipStream_tbEUljE_ZNSN_ISO_Lb0ESQ_SR_ST_SU_SY_EESZ_S10_S11_S12_S16_S17_S18_S1B_S1C_jS1D_jS1E_S1E_jjS1G_bEUljE0_EEESZ_S10_S11_S18_S1C_S1E_T6_T7_T9_mT8_S1G_bDpT10_ENKUlT_T0_E_clISt17integral_constantIbLb0EES1T_IbLb1EEEEDaS1P_S1Q_EUlS1P_E_NS1_11comp_targetILNS1_3genE4ELNS1_11target_archE910ELNS1_3gpuE8ELNS1_3repE0EEENS1_30default_config_static_selectorELNS0_4arch9wavefront6targetE1EEEvS12_.num_agpr, 0
	.set _ZN7rocprim17ROCPRIM_400000_NS6detail17trampoline_kernelINS0_13select_configILj256ELj13ELNS0_17block_load_methodE3ELS4_3ELS4_3ELNS0_20block_scan_algorithmE0ELj4294967295EEENS1_25partition_config_selectorILNS1_17partition_subalgoE4EjNS0_10empty_typeEbEEZZNS1_14partition_implILS8_4ELb0ES6_15HIP_vector_typeIjLj2EENS0_17counting_iteratorIjlEEPS9_SG_NS0_5tupleIJPjSI_NS0_16reverse_iteratorISI_EEEEENSH_IJSG_SG_SG_EEES9_SI_JZNS1_25segmented_radix_sort_implINS0_14default_configELb0EPKdPdPKlPlN2at6native12_GLOBAL__N_18offset_tEEE10hipError_tPvRmT1_PNSt15iterator_traitsIS12_E10value_typeET2_T3_PNS13_IS18_E10value_typeET4_jRbjT5_S1E_jjP12ihipStream_tbEUljE_ZNSN_ISO_Lb0ESQ_SR_ST_SU_SY_EESZ_S10_S11_S12_S16_S17_S18_S1B_S1C_jS1D_jS1E_S1E_jjS1G_bEUljE0_EEESZ_S10_S11_S18_S1C_S1E_T6_T7_T9_mT8_S1G_bDpT10_ENKUlT_T0_E_clISt17integral_constantIbLb0EES1T_IbLb1EEEEDaS1P_S1Q_EUlS1P_E_NS1_11comp_targetILNS1_3genE4ELNS1_11target_archE910ELNS1_3gpuE8ELNS1_3repE0EEENS1_30default_config_static_selectorELNS0_4arch9wavefront6targetE1EEEvS12_.numbered_sgpr, 0
	.set _ZN7rocprim17ROCPRIM_400000_NS6detail17trampoline_kernelINS0_13select_configILj256ELj13ELNS0_17block_load_methodE3ELS4_3ELS4_3ELNS0_20block_scan_algorithmE0ELj4294967295EEENS1_25partition_config_selectorILNS1_17partition_subalgoE4EjNS0_10empty_typeEbEEZZNS1_14partition_implILS8_4ELb0ES6_15HIP_vector_typeIjLj2EENS0_17counting_iteratorIjlEEPS9_SG_NS0_5tupleIJPjSI_NS0_16reverse_iteratorISI_EEEEENSH_IJSG_SG_SG_EEES9_SI_JZNS1_25segmented_radix_sort_implINS0_14default_configELb0EPKdPdPKlPlN2at6native12_GLOBAL__N_18offset_tEEE10hipError_tPvRmT1_PNSt15iterator_traitsIS12_E10value_typeET2_T3_PNS13_IS18_E10value_typeET4_jRbjT5_S1E_jjP12ihipStream_tbEUljE_ZNSN_ISO_Lb0ESQ_SR_ST_SU_SY_EESZ_S10_S11_S12_S16_S17_S18_S1B_S1C_jS1D_jS1E_S1E_jjS1G_bEUljE0_EEESZ_S10_S11_S18_S1C_S1E_T6_T7_T9_mT8_S1G_bDpT10_ENKUlT_T0_E_clISt17integral_constantIbLb0EES1T_IbLb1EEEEDaS1P_S1Q_EUlS1P_E_NS1_11comp_targetILNS1_3genE4ELNS1_11target_archE910ELNS1_3gpuE8ELNS1_3repE0EEENS1_30default_config_static_selectorELNS0_4arch9wavefront6targetE1EEEvS12_.num_named_barrier, 0
	.set _ZN7rocprim17ROCPRIM_400000_NS6detail17trampoline_kernelINS0_13select_configILj256ELj13ELNS0_17block_load_methodE3ELS4_3ELS4_3ELNS0_20block_scan_algorithmE0ELj4294967295EEENS1_25partition_config_selectorILNS1_17partition_subalgoE4EjNS0_10empty_typeEbEEZZNS1_14partition_implILS8_4ELb0ES6_15HIP_vector_typeIjLj2EENS0_17counting_iteratorIjlEEPS9_SG_NS0_5tupleIJPjSI_NS0_16reverse_iteratorISI_EEEEENSH_IJSG_SG_SG_EEES9_SI_JZNS1_25segmented_radix_sort_implINS0_14default_configELb0EPKdPdPKlPlN2at6native12_GLOBAL__N_18offset_tEEE10hipError_tPvRmT1_PNSt15iterator_traitsIS12_E10value_typeET2_T3_PNS13_IS18_E10value_typeET4_jRbjT5_S1E_jjP12ihipStream_tbEUljE_ZNSN_ISO_Lb0ESQ_SR_ST_SU_SY_EESZ_S10_S11_S12_S16_S17_S18_S1B_S1C_jS1D_jS1E_S1E_jjS1G_bEUljE0_EEESZ_S10_S11_S18_S1C_S1E_T6_T7_T9_mT8_S1G_bDpT10_ENKUlT_T0_E_clISt17integral_constantIbLb0EES1T_IbLb1EEEEDaS1P_S1Q_EUlS1P_E_NS1_11comp_targetILNS1_3genE4ELNS1_11target_archE910ELNS1_3gpuE8ELNS1_3repE0EEENS1_30default_config_static_selectorELNS0_4arch9wavefront6targetE1EEEvS12_.private_seg_size, 0
	.set _ZN7rocprim17ROCPRIM_400000_NS6detail17trampoline_kernelINS0_13select_configILj256ELj13ELNS0_17block_load_methodE3ELS4_3ELS4_3ELNS0_20block_scan_algorithmE0ELj4294967295EEENS1_25partition_config_selectorILNS1_17partition_subalgoE4EjNS0_10empty_typeEbEEZZNS1_14partition_implILS8_4ELb0ES6_15HIP_vector_typeIjLj2EENS0_17counting_iteratorIjlEEPS9_SG_NS0_5tupleIJPjSI_NS0_16reverse_iteratorISI_EEEEENSH_IJSG_SG_SG_EEES9_SI_JZNS1_25segmented_radix_sort_implINS0_14default_configELb0EPKdPdPKlPlN2at6native12_GLOBAL__N_18offset_tEEE10hipError_tPvRmT1_PNSt15iterator_traitsIS12_E10value_typeET2_T3_PNS13_IS18_E10value_typeET4_jRbjT5_S1E_jjP12ihipStream_tbEUljE_ZNSN_ISO_Lb0ESQ_SR_ST_SU_SY_EESZ_S10_S11_S12_S16_S17_S18_S1B_S1C_jS1D_jS1E_S1E_jjS1G_bEUljE0_EEESZ_S10_S11_S18_S1C_S1E_T6_T7_T9_mT8_S1G_bDpT10_ENKUlT_T0_E_clISt17integral_constantIbLb0EES1T_IbLb1EEEEDaS1P_S1Q_EUlS1P_E_NS1_11comp_targetILNS1_3genE4ELNS1_11target_archE910ELNS1_3gpuE8ELNS1_3repE0EEENS1_30default_config_static_selectorELNS0_4arch9wavefront6targetE1EEEvS12_.uses_vcc, 0
	.set _ZN7rocprim17ROCPRIM_400000_NS6detail17trampoline_kernelINS0_13select_configILj256ELj13ELNS0_17block_load_methodE3ELS4_3ELS4_3ELNS0_20block_scan_algorithmE0ELj4294967295EEENS1_25partition_config_selectorILNS1_17partition_subalgoE4EjNS0_10empty_typeEbEEZZNS1_14partition_implILS8_4ELb0ES6_15HIP_vector_typeIjLj2EENS0_17counting_iteratorIjlEEPS9_SG_NS0_5tupleIJPjSI_NS0_16reverse_iteratorISI_EEEEENSH_IJSG_SG_SG_EEES9_SI_JZNS1_25segmented_radix_sort_implINS0_14default_configELb0EPKdPdPKlPlN2at6native12_GLOBAL__N_18offset_tEEE10hipError_tPvRmT1_PNSt15iterator_traitsIS12_E10value_typeET2_T3_PNS13_IS18_E10value_typeET4_jRbjT5_S1E_jjP12ihipStream_tbEUljE_ZNSN_ISO_Lb0ESQ_SR_ST_SU_SY_EESZ_S10_S11_S12_S16_S17_S18_S1B_S1C_jS1D_jS1E_S1E_jjS1G_bEUljE0_EEESZ_S10_S11_S18_S1C_S1E_T6_T7_T9_mT8_S1G_bDpT10_ENKUlT_T0_E_clISt17integral_constantIbLb0EES1T_IbLb1EEEEDaS1P_S1Q_EUlS1P_E_NS1_11comp_targetILNS1_3genE4ELNS1_11target_archE910ELNS1_3gpuE8ELNS1_3repE0EEENS1_30default_config_static_selectorELNS0_4arch9wavefront6targetE1EEEvS12_.uses_flat_scratch, 0
	.set _ZN7rocprim17ROCPRIM_400000_NS6detail17trampoline_kernelINS0_13select_configILj256ELj13ELNS0_17block_load_methodE3ELS4_3ELS4_3ELNS0_20block_scan_algorithmE0ELj4294967295EEENS1_25partition_config_selectorILNS1_17partition_subalgoE4EjNS0_10empty_typeEbEEZZNS1_14partition_implILS8_4ELb0ES6_15HIP_vector_typeIjLj2EENS0_17counting_iteratorIjlEEPS9_SG_NS0_5tupleIJPjSI_NS0_16reverse_iteratorISI_EEEEENSH_IJSG_SG_SG_EEES9_SI_JZNS1_25segmented_radix_sort_implINS0_14default_configELb0EPKdPdPKlPlN2at6native12_GLOBAL__N_18offset_tEEE10hipError_tPvRmT1_PNSt15iterator_traitsIS12_E10value_typeET2_T3_PNS13_IS18_E10value_typeET4_jRbjT5_S1E_jjP12ihipStream_tbEUljE_ZNSN_ISO_Lb0ESQ_SR_ST_SU_SY_EESZ_S10_S11_S12_S16_S17_S18_S1B_S1C_jS1D_jS1E_S1E_jjS1G_bEUljE0_EEESZ_S10_S11_S18_S1C_S1E_T6_T7_T9_mT8_S1G_bDpT10_ENKUlT_T0_E_clISt17integral_constantIbLb0EES1T_IbLb1EEEEDaS1P_S1Q_EUlS1P_E_NS1_11comp_targetILNS1_3genE4ELNS1_11target_archE910ELNS1_3gpuE8ELNS1_3repE0EEENS1_30default_config_static_selectorELNS0_4arch9wavefront6targetE1EEEvS12_.has_dyn_sized_stack, 0
	.set _ZN7rocprim17ROCPRIM_400000_NS6detail17trampoline_kernelINS0_13select_configILj256ELj13ELNS0_17block_load_methodE3ELS4_3ELS4_3ELNS0_20block_scan_algorithmE0ELj4294967295EEENS1_25partition_config_selectorILNS1_17partition_subalgoE4EjNS0_10empty_typeEbEEZZNS1_14partition_implILS8_4ELb0ES6_15HIP_vector_typeIjLj2EENS0_17counting_iteratorIjlEEPS9_SG_NS0_5tupleIJPjSI_NS0_16reverse_iteratorISI_EEEEENSH_IJSG_SG_SG_EEES9_SI_JZNS1_25segmented_radix_sort_implINS0_14default_configELb0EPKdPdPKlPlN2at6native12_GLOBAL__N_18offset_tEEE10hipError_tPvRmT1_PNSt15iterator_traitsIS12_E10value_typeET2_T3_PNS13_IS18_E10value_typeET4_jRbjT5_S1E_jjP12ihipStream_tbEUljE_ZNSN_ISO_Lb0ESQ_SR_ST_SU_SY_EESZ_S10_S11_S12_S16_S17_S18_S1B_S1C_jS1D_jS1E_S1E_jjS1G_bEUljE0_EEESZ_S10_S11_S18_S1C_S1E_T6_T7_T9_mT8_S1G_bDpT10_ENKUlT_T0_E_clISt17integral_constantIbLb0EES1T_IbLb1EEEEDaS1P_S1Q_EUlS1P_E_NS1_11comp_targetILNS1_3genE4ELNS1_11target_archE910ELNS1_3gpuE8ELNS1_3repE0EEENS1_30default_config_static_selectorELNS0_4arch9wavefront6targetE1EEEvS12_.has_recursion, 0
	.set _ZN7rocprim17ROCPRIM_400000_NS6detail17trampoline_kernelINS0_13select_configILj256ELj13ELNS0_17block_load_methodE3ELS4_3ELS4_3ELNS0_20block_scan_algorithmE0ELj4294967295EEENS1_25partition_config_selectorILNS1_17partition_subalgoE4EjNS0_10empty_typeEbEEZZNS1_14partition_implILS8_4ELb0ES6_15HIP_vector_typeIjLj2EENS0_17counting_iteratorIjlEEPS9_SG_NS0_5tupleIJPjSI_NS0_16reverse_iteratorISI_EEEEENSH_IJSG_SG_SG_EEES9_SI_JZNS1_25segmented_radix_sort_implINS0_14default_configELb0EPKdPdPKlPlN2at6native12_GLOBAL__N_18offset_tEEE10hipError_tPvRmT1_PNSt15iterator_traitsIS12_E10value_typeET2_T3_PNS13_IS18_E10value_typeET4_jRbjT5_S1E_jjP12ihipStream_tbEUljE_ZNSN_ISO_Lb0ESQ_SR_ST_SU_SY_EESZ_S10_S11_S12_S16_S17_S18_S1B_S1C_jS1D_jS1E_S1E_jjS1G_bEUljE0_EEESZ_S10_S11_S18_S1C_S1E_T6_T7_T9_mT8_S1G_bDpT10_ENKUlT_T0_E_clISt17integral_constantIbLb0EES1T_IbLb1EEEEDaS1P_S1Q_EUlS1P_E_NS1_11comp_targetILNS1_3genE4ELNS1_11target_archE910ELNS1_3gpuE8ELNS1_3repE0EEENS1_30default_config_static_selectorELNS0_4arch9wavefront6targetE1EEEvS12_.has_indirect_call, 0
	.section	.AMDGPU.csdata,"",@progbits
; Kernel info:
; codeLenInByte = 0
; TotalNumSgprs: 4
; NumVgprs: 0
; ScratchSize: 0
; MemoryBound: 0
; FloatMode: 240
; IeeeMode: 1
; LDSByteSize: 0 bytes/workgroup (compile time only)
; SGPRBlocks: 0
; VGPRBlocks: 0
; NumSGPRsForWavesPerEU: 4
; NumVGPRsForWavesPerEU: 1
; Occupancy: 10
; WaveLimiterHint : 0
; COMPUTE_PGM_RSRC2:SCRATCH_EN: 0
; COMPUTE_PGM_RSRC2:USER_SGPR: 6
; COMPUTE_PGM_RSRC2:TRAP_HANDLER: 0
; COMPUTE_PGM_RSRC2:TGID_X_EN: 1
; COMPUTE_PGM_RSRC2:TGID_Y_EN: 0
; COMPUTE_PGM_RSRC2:TGID_Z_EN: 0
; COMPUTE_PGM_RSRC2:TIDIG_COMP_CNT: 0
	.section	.text._ZN7rocprim17ROCPRIM_400000_NS6detail17trampoline_kernelINS0_13select_configILj256ELj13ELNS0_17block_load_methodE3ELS4_3ELS4_3ELNS0_20block_scan_algorithmE0ELj4294967295EEENS1_25partition_config_selectorILNS1_17partition_subalgoE4EjNS0_10empty_typeEbEEZZNS1_14partition_implILS8_4ELb0ES6_15HIP_vector_typeIjLj2EENS0_17counting_iteratorIjlEEPS9_SG_NS0_5tupleIJPjSI_NS0_16reverse_iteratorISI_EEEEENSH_IJSG_SG_SG_EEES9_SI_JZNS1_25segmented_radix_sort_implINS0_14default_configELb0EPKdPdPKlPlN2at6native12_GLOBAL__N_18offset_tEEE10hipError_tPvRmT1_PNSt15iterator_traitsIS12_E10value_typeET2_T3_PNS13_IS18_E10value_typeET4_jRbjT5_S1E_jjP12ihipStream_tbEUljE_ZNSN_ISO_Lb0ESQ_SR_ST_SU_SY_EESZ_S10_S11_S12_S16_S17_S18_S1B_S1C_jS1D_jS1E_S1E_jjS1G_bEUljE0_EEESZ_S10_S11_S18_S1C_S1E_T6_T7_T9_mT8_S1G_bDpT10_ENKUlT_T0_E_clISt17integral_constantIbLb0EES1T_IbLb1EEEEDaS1P_S1Q_EUlS1P_E_NS1_11comp_targetILNS1_3genE3ELNS1_11target_archE908ELNS1_3gpuE7ELNS1_3repE0EEENS1_30default_config_static_selectorELNS0_4arch9wavefront6targetE1EEEvS12_,"axG",@progbits,_ZN7rocprim17ROCPRIM_400000_NS6detail17trampoline_kernelINS0_13select_configILj256ELj13ELNS0_17block_load_methodE3ELS4_3ELS4_3ELNS0_20block_scan_algorithmE0ELj4294967295EEENS1_25partition_config_selectorILNS1_17partition_subalgoE4EjNS0_10empty_typeEbEEZZNS1_14partition_implILS8_4ELb0ES6_15HIP_vector_typeIjLj2EENS0_17counting_iteratorIjlEEPS9_SG_NS0_5tupleIJPjSI_NS0_16reverse_iteratorISI_EEEEENSH_IJSG_SG_SG_EEES9_SI_JZNS1_25segmented_radix_sort_implINS0_14default_configELb0EPKdPdPKlPlN2at6native12_GLOBAL__N_18offset_tEEE10hipError_tPvRmT1_PNSt15iterator_traitsIS12_E10value_typeET2_T3_PNS13_IS18_E10value_typeET4_jRbjT5_S1E_jjP12ihipStream_tbEUljE_ZNSN_ISO_Lb0ESQ_SR_ST_SU_SY_EESZ_S10_S11_S12_S16_S17_S18_S1B_S1C_jS1D_jS1E_S1E_jjS1G_bEUljE0_EEESZ_S10_S11_S18_S1C_S1E_T6_T7_T9_mT8_S1G_bDpT10_ENKUlT_T0_E_clISt17integral_constantIbLb0EES1T_IbLb1EEEEDaS1P_S1Q_EUlS1P_E_NS1_11comp_targetILNS1_3genE3ELNS1_11target_archE908ELNS1_3gpuE7ELNS1_3repE0EEENS1_30default_config_static_selectorELNS0_4arch9wavefront6targetE1EEEvS12_,comdat
	.globl	_ZN7rocprim17ROCPRIM_400000_NS6detail17trampoline_kernelINS0_13select_configILj256ELj13ELNS0_17block_load_methodE3ELS4_3ELS4_3ELNS0_20block_scan_algorithmE0ELj4294967295EEENS1_25partition_config_selectorILNS1_17partition_subalgoE4EjNS0_10empty_typeEbEEZZNS1_14partition_implILS8_4ELb0ES6_15HIP_vector_typeIjLj2EENS0_17counting_iteratorIjlEEPS9_SG_NS0_5tupleIJPjSI_NS0_16reverse_iteratorISI_EEEEENSH_IJSG_SG_SG_EEES9_SI_JZNS1_25segmented_radix_sort_implINS0_14default_configELb0EPKdPdPKlPlN2at6native12_GLOBAL__N_18offset_tEEE10hipError_tPvRmT1_PNSt15iterator_traitsIS12_E10value_typeET2_T3_PNS13_IS18_E10value_typeET4_jRbjT5_S1E_jjP12ihipStream_tbEUljE_ZNSN_ISO_Lb0ESQ_SR_ST_SU_SY_EESZ_S10_S11_S12_S16_S17_S18_S1B_S1C_jS1D_jS1E_S1E_jjS1G_bEUljE0_EEESZ_S10_S11_S18_S1C_S1E_T6_T7_T9_mT8_S1G_bDpT10_ENKUlT_T0_E_clISt17integral_constantIbLb0EES1T_IbLb1EEEEDaS1P_S1Q_EUlS1P_E_NS1_11comp_targetILNS1_3genE3ELNS1_11target_archE908ELNS1_3gpuE7ELNS1_3repE0EEENS1_30default_config_static_selectorELNS0_4arch9wavefront6targetE1EEEvS12_ ; -- Begin function _ZN7rocprim17ROCPRIM_400000_NS6detail17trampoline_kernelINS0_13select_configILj256ELj13ELNS0_17block_load_methodE3ELS4_3ELS4_3ELNS0_20block_scan_algorithmE0ELj4294967295EEENS1_25partition_config_selectorILNS1_17partition_subalgoE4EjNS0_10empty_typeEbEEZZNS1_14partition_implILS8_4ELb0ES6_15HIP_vector_typeIjLj2EENS0_17counting_iteratorIjlEEPS9_SG_NS0_5tupleIJPjSI_NS0_16reverse_iteratorISI_EEEEENSH_IJSG_SG_SG_EEES9_SI_JZNS1_25segmented_radix_sort_implINS0_14default_configELb0EPKdPdPKlPlN2at6native12_GLOBAL__N_18offset_tEEE10hipError_tPvRmT1_PNSt15iterator_traitsIS12_E10value_typeET2_T3_PNS13_IS18_E10value_typeET4_jRbjT5_S1E_jjP12ihipStream_tbEUljE_ZNSN_ISO_Lb0ESQ_SR_ST_SU_SY_EESZ_S10_S11_S12_S16_S17_S18_S1B_S1C_jS1D_jS1E_S1E_jjS1G_bEUljE0_EEESZ_S10_S11_S18_S1C_S1E_T6_T7_T9_mT8_S1G_bDpT10_ENKUlT_T0_E_clISt17integral_constantIbLb0EES1T_IbLb1EEEEDaS1P_S1Q_EUlS1P_E_NS1_11comp_targetILNS1_3genE3ELNS1_11target_archE908ELNS1_3gpuE7ELNS1_3repE0EEENS1_30default_config_static_selectorELNS0_4arch9wavefront6targetE1EEEvS12_
	.p2align	8
	.type	_ZN7rocprim17ROCPRIM_400000_NS6detail17trampoline_kernelINS0_13select_configILj256ELj13ELNS0_17block_load_methodE3ELS4_3ELS4_3ELNS0_20block_scan_algorithmE0ELj4294967295EEENS1_25partition_config_selectorILNS1_17partition_subalgoE4EjNS0_10empty_typeEbEEZZNS1_14partition_implILS8_4ELb0ES6_15HIP_vector_typeIjLj2EENS0_17counting_iteratorIjlEEPS9_SG_NS0_5tupleIJPjSI_NS0_16reverse_iteratorISI_EEEEENSH_IJSG_SG_SG_EEES9_SI_JZNS1_25segmented_radix_sort_implINS0_14default_configELb0EPKdPdPKlPlN2at6native12_GLOBAL__N_18offset_tEEE10hipError_tPvRmT1_PNSt15iterator_traitsIS12_E10value_typeET2_T3_PNS13_IS18_E10value_typeET4_jRbjT5_S1E_jjP12ihipStream_tbEUljE_ZNSN_ISO_Lb0ESQ_SR_ST_SU_SY_EESZ_S10_S11_S12_S16_S17_S18_S1B_S1C_jS1D_jS1E_S1E_jjS1G_bEUljE0_EEESZ_S10_S11_S18_S1C_S1E_T6_T7_T9_mT8_S1G_bDpT10_ENKUlT_T0_E_clISt17integral_constantIbLb0EES1T_IbLb1EEEEDaS1P_S1Q_EUlS1P_E_NS1_11comp_targetILNS1_3genE3ELNS1_11target_archE908ELNS1_3gpuE7ELNS1_3repE0EEENS1_30default_config_static_selectorELNS0_4arch9wavefront6targetE1EEEvS12_,@function
_ZN7rocprim17ROCPRIM_400000_NS6detail17trampoline_kernelINS0_13select_configILj256ELj13ELNS0_17block_load_methodE3ELS4_3ELS4_3ELNS0_20block_scan_algorithmE0ELj4294967295EEENS1_25partition_config_selectorILNS1_17partition_subalgoE4EjNS0_10empty_typeEbEEZZNS1_14partition_implILS8_4ELb0ES6_15HIP_vector_typeIjLj2EENS0_17counting_iteratorIjlEEPS9_SG_NS0_5tupleIJPjSI_NS0_16reverse_iteratorISI_EEEEENSH_IJSG_SG_SG_EEES9_SI_JZNS1_25segmented_radix_sort_implINS0_14default_configELb0EPKdPdPKlPlN2at6native12_GLOBAL__N_18offset_tEEE10hipError_tPvRmT1_PNSt15iterator_traitsIS12_E10value_typeET2_T3_PNS13_IS18_E10value_typeET4_jRbjT5_S1E_jjP12ihipStream_tbEUljE_ZNSN_ISO_Lb0ESQ_SR_ST_SU_SY_EESZ_S10_S11_S12_S16_S17_S18_S1B_S1C_jS1D_jS1E_S1E_jjS1G_bEUljE0_EEESZ_S10_S11_S18_S1C_S1E_T6_T7_T9_mT8_S1G_bDpT10_ENKUlT_T0_E_clISt17integral_constantIbLb0EES1T_IbLb1EEEEDaS1P_S1Q_EUlS1P_E_NS1_11comp_targetILNS1_3genE3ELNS1_11target_archE908ELNS1_3gpuE7ELNS1_3repE0EEENS1_30default_config_static_selectorELNS0_4arch9wavefront6targetE1EEEvS12_: ; @_ZN7rocprim17ROCPRIM_400000_NS6detail17trampoline_kernelINS0_13select_configILj256ELj13ELNS0_17block_load_methodE3ELS4_3ELS4_3ELNS0_20block_scan_algorithmE0ELj4294967295EEENS1_25partition_config_selectorILNS1_17partition_subalgoE4EjNS0_10empty_typeEbEEZZNS1_14partition_implILS8_4ELb0ES6_15HIP_vector_typeIjLj2EENS0_17counting_iteratorIjlEEPS9_SG_NS0_5tupleIJPjSI_NS0_16reverse_iteratorISI_EEEEENSH_IJSG_SG_SG_EEES9_SI_JZNS1_25segmented_radix_sort_implINS0_14default_configELb0EPKdPdPKlPlN2at6native12_GLOBAL__N_18offset_tEEE10hipError_tPvRmT1_PNSt15iterator_traitsIS12_E10value_typeET2_T3_PNS13_IS18_E10value_typeET4_jRbjT5_S1E_jjP12ihipStream_tbEUljE_ZNSN_ISO_Lb0ESQ_SR_ST_SU_SY_EESZ_S10_S11_S12_S16_S17_S18_S1B_S1C_jS1D_jS1E_S1E_jjS1G_bEUljE0_EEESZ_S10_S11_S18_S1C_S1E_T6_T7_T9_mT8_S1G_bDpT10_ENKUlT_T0_E_clISt17integral_constantIbLb0EES1T_IbLb1EEEEDaS1P_S1Q_EUlS1P_E_NS1_11comp_targetILNS1_3genE3ELNS1_11target_archE908ELNS1_3gpuE7ELNS1_3repE0EEENS1_30default_config_static_selectorELNS0_4arch9wavefront6targetE1EEEvS12_
; %bb.0:
	.section	.rodata,"a",@progbits
	.p2align	6, 0x0
	.amdhsa_kernel _ZN7rocprim17ROCPRIM_400000_NS6detail17trampoline_kernelINS0_13select_configILj256ELj13ELNS0_17block_load_methodE3ELS4_3ELS4_3ELNS0_20block_scan_algorithmE0ELj4294967295EEENS1_25partition_config_selectorILNS1_17partition_subalgoE4EjNS0_10empty_typeEbEEZZNS1_14partition_implILS8_4ELb0ES6_15HIP_vector_typeIjLj2EENS0_17counting_iteratorIjlEEPS9_SG_NS0_5tupleIJPjSI_NS0_16reverse_iteratorISI_EEEEENSH_IJSG_SG_SG_EEES9_SI_JZNS1_25segmented_radix_sort_implINS0_14default_configELb0EPKdPdPKlPlN2at6native12_GLOBAL__N_18offset_tEEE10hipError_tPvRmT1_PNSt15iterator_traitsIS12_E10value_typeET2_T3_PNS13_IS18_E10value_typeET4_jRbjT5_S1E_jjP12ihipStream_tbEUljE_ZNSN_ISO_Lb0ESQ_SR_ST_SU_SY_EESZ_S10_S11_S12_S16_S17_S18_S1B_S1C_jS1D_jS1E_S1E_jjS1G_bEUljE0_EEESZ_S10_S11_S18_S1C_S1E_T6_T7_T9_mT8_S1G_bDpT10_ENKUlT_T0_E_clISt17integral_constantIbLb0EES1T_IbLb1EEEEDaS1P_S1Q_EUlS1P_E_NS1_11comp_targetILNS1_3genE3ELNS1_11target_archE908ELNS1_3gpuE7ELNS1_3repE0EEENS1_30default_config_static_selectorELNS0_4arch9wavefront6targetE1EEEvS12_
		.amdhsa_group_segment_fixed_size 0
		.amdhsa_private_segment_fixed_size 0
		.amdhsa_kernarg_size 184
		.amdhsa_user_sgpr_count 6
		.amdhsa_user_sgpr_private_segment_buffer 1
		.amdhsa_user_sgpr_dispatch_ptr 0
		.amdhsa_user_sgpr_queue_ptr 0
		.amdhsa_user_sgpr_kernarg_segment_ptr 1
		.amdhsa_user_sgpr_dispatch_id 0
		.amdhsa_user_sgpr_flat_scratch_init 0
		.amdhsa_user_sgpr_private_segment_size 0
		.amdhsa_uses_dynamic_stack 0
		.amdhsa_system_sgpr_private_segment_wavefront_offset 0
		.amdhsa_system_sgpr_workgroup_id_x 1
		.amdhsa_system_sgpr_workgroup_id_y 0
		.amdhsa_system_sgpr_workgroup_id_z 0
		.amdhsa_system_sgpr_workgroup_info 0
		.amdhsa_system_vgpr_workitem_id 0
		.amdhsa_next_free_vgpr 1
		.amdhsa_next_free_sgpr 0
		.amdhsa_reserve_vcc 0
		.amdhsa_reserve_flat_scratch 0
		.amdhsa_float_round_mode_32 0
		.amdhsa_float_round_mode_16_64 0
		.amdhsa_float_denorm_mode_32 3
		.amdhsa_float_denorm_mode_16_64 3
		.amdhsa_dx10_clamp 1
		.amdhsa_ieee_mode 1
		.amdhsa_fp16_overflow 0
		.amdhsa_exception_fp_ieee_invalid_op 0
		.amdhsa_exception_fp_denorm_src 0
		.amdhsa_exception_fp_ieee_div_zero 0
		.amdhsa_exception_fp_ieee_overflow 0
		.amdhsa_exception_fp_ieee_underflow 0
		.amdhsa_exception_fp_ieee_inexact 0
		.amdhsa_exception_int_div_zero 0
	.end_amdhsa_kernel
	.section	.text._ZN7rocprim17ROCPRIM_400000_NS6detail17trampoline_kernelINS0_13select_configILj256ELj13ELNS0_17block_load_methodE3ELS4_3ELS4_3ELNS0_20block_scan_algorithmE0ELj4294967295EEENS1_25partition_config_selectorILNS1_17partition_subalgoE4EjNS0_10empty_typeEbEEZZNS1_14partition_implILS8_4ELb0ES6_15HIP_vector_typeIjLj2EENS0_17counting_iteratorIjlEEPS9_SG_NS0_5tupleIJPjSI_NS0_16reverse_iteratorISI_EEEEENSH_IJSG_SG_SG_EEES9_SI_JZNS1_25segmented_radix_sort_implINS0_14default_configELb0EPKdPdPKlPlN2at6native12_GLOBAL__N_18offset_tEEE10hipError_tPvRmT1_PNSt15iterator_traitsIS12_E10value_typeET2_T3_PNS13_IS18_E10value_typeET4_jRbjT5_S1E_jjP12ihipStream_tbEUljE_ZNSN_ISO_Lb0ESQ_SR_ST_SU_SY_EESZ_S10_S11_S12_S16_S17_S18_S1B_S1C_jS1D_jS1E_S1E_jjS1G_bEUljE0_EEESZ_S10_S11_S18_S1C_S1E_T6_T7_T9_mT8_S1G_bDpT10_ENKUlT_T0_E_clISt17integral_constantIbLb0EES1T_IbLb1EEEEDaS1P_S1Q_EUlS1P_E_NS1_11comp_targetILNS1_3genE3ELNS1_11target_archE908ELNS1_3gpuE7ELNS1_3repE0EEENS1_30default_config_static_selectorELNS0_4arch9wavefront6targetE1EEEvS12_,"axG",@progbits,_ZN7rocprim17ROCPRIM_400000_NS6detail17trampoline_kernelINS0_13select_configILj256ELj13ELNS0_17block_load_methodE3ELS4_3ELS4_3ELNS0_20block_scan_algorithmE0ELj4294967295EEENS1_25partition_config_selectorILNS1_17partition_subalgoE4EjNS0_10empty_typeEbEEZZNS1_14partition_implILS8_4ELb0ES6_15HIP_vector_typeIjLj2EENS0_17counting_iteratorIjlEEPS9_SG_NS0_5tupleIJPjSI_NS0_16reverse_iteratorISI_EEEEENSH_IJSG_SG_SG_EEES9_SI_JZNS1_25segmented_radix_sort_implINS0_14default_configELb0EPKdPdPKlPlN2at6native12_GLOBAL__N_18offset_tEEE10hipError_tPvRmT1_PNSt15iterator_traitsIS12_E10value_typeET2_T3_PNS13_IS18_E10value_typeET4_jRbjT5_S1E_jjP12ihipStream_tbEUljE_ZNSN_ISO_Lb0ESQ_SR_ST_SU_SY_EESZ_S10_S11_S12_S16_S17_S18_S1B_S1C_jS1D_jS1E_S1E_jjS1G_bEUljE0_EEESZ_S10_S11_S18_S1C_S1E_T6_T7_T9_mT8_S1G_bDpT10_ENKUlT_T0_E_clISt17integral_constantIbLb0EES1T_IbLb1EEEEDaS1P_S1Q_EUlS1P_E_NS1_11comp_targetILNS1_3genE3ELNS1_11target_archE908ELNS1_3gpuE7ELNS1_3repE0EEENS1_30default_config_static_selectorELNS0_4arch9wavefront6targetE1EEEvS12_,comdat
.Lfunc_end1184:
	.size	_ZN7rocprim17ROCPRIM_400000_NS6detail17trampoline_kernelINS0_13select_configILj256ELj13ELNS0_17block_load_methodE3ELS4_3ELS4_3ELNS0_20block_scan_algorithmE0ELj4294967295EEENS1_25partition_config_selectorILNS1_17partition_subalgoE4EjNS0_10empty_typeEbEEZZNS1_14partition_implILS8_4ELb0ES6_15HIP_vector_typeIjLj2EENS0_17counting_iteratorIjlEEPS9_SG_NS0_5tupleIJPjSI_NS0_16reverse_iteratorISI_EEEEENSH_IJSG_SG_SG_EEES9_SI_JZNS1_25segmented_radix_sort_implINS0_14default_configELb0EPKdPdPKlPlN2at6native12_GLOBAL__N_18offset_tEEE10hipError_tPvRmT1_PNSt15iterator_traitsIS12_E10value_typeET2_T3_PNS13_IS18_E10value_typeET4_jRbjT5_S1E_jjP12ihipStream_tbEUljE_ZNSN_ISO_Lb0ESQ_SR_ST_SU_SY_EESZ_S10_S11_S12_S16_S17_S18_S1B_S1C_jS1D_jS1E_S1E_jjS1G_bEUljE0_EEESZ_S10_S11_S18_S1C_S1E_T6_T7_T9_mT8_S1G_bDpT10_ENKUlT_T0_E_clISt17integral_constantIbLb0EES1T_IbLb1EEEEDaS1P_S1Q_EUlS1P_E_NS1_11comp_targetILNS1_3genE3ELNS1_11target_archE908ELNS1_3gpuE7ELNS1_3repE0EEENS1_30default_config_static_selectorELNS0_4arch9wavefront6targetE1EEEvS12_, .Lfunc_end1184-_ZN7rocprim17ROCPRIM_400000_NS6detail17trampoline_kernelINS0_13select_configILj256ELj13ELNS0_17block_load_methodE3ELS4_3ELS4_3ELNS0_20block_scan_algorithmE0ELj4294967295EEENS1_25partition_config_selectorILNS1_17partition_subalgoE4EjNS0_10empty_typeEbEEZZNS1_14partition_implILS8_4ELb0ES6_15HIP_vector_typeIjLj2EENS0_17counting_iteratorIjlEEPS9_SG_NS0_5tupleIJPjSI_NS0_16reverse_iteratorISI_EEEEENSH_IJSG_SG_SG_EEES9_SI_JZNS1_25segmented_radix_sort_implINS0_14default_configELb0EPKdPdPKlPlN2at6native12_GLOBAL__N_18offset_tEEE10hipError_tPvRmT1_PNSt15iterator_traitsIS12_E10value_typeET2_T3_PNS13_IS18_E10value_typeET4_jRbjT5_S1E_jjP12ihipStream_tbEUljE_ZNSN_ISO_Lb0ESQ_SR_ST_SU_SY_EESZ_S10_S11_S12_S16_S17_S18_S1B_S1C_jS1D_jS1E_S1E_jjS1G_bEUljE0_EEESZ_S10_S11_S18_S1C_S1E_T6_T7_T9_mT8_S1G_bDpT10_ENKUlT_T0_E_clISt17integral_constantIbLb0EES1T_IbLb1EEEEDaS1P_S1Q_EUlS1P_E_NS1_11comp_targetILNS1_3genE3ELNS1_11target_archE908ELNS1_3gpuE7ELNS1_3repE0EEENS1_30default_config_static_selectorELNS0_4arch9wavefront6targetE1EEEvS12_
                                        ; -- End function
	.set _ZN7rocprim17ROCPRIM_400000_NS6detail17trampoline_kernelINS0_13select_configILj256ELj13ELNS0_17block_load_methodE3ELS4_3ELS4_3ELNS0_20block_scan_algorithmE0ELj4294967295EEENS1_25partition_config_selectorILNS1_17partition_subalgoE4EjNS0_10empty_typeEbEEZZNS1_14partition_implILS8_4ELb0ES6_15HIP_vector_typeIjLj2EENS0_17counting_iteratorIjlEEPS9_SG_NS0_5tupleIJPjSI_NS0_16reverse_iteratorISI_EEEEENSH_IJSG_SG_SG_EEES9_SI_JZNS1_25segmented_radix_sort_implINS0_14default_configELb0EPKdPdPKlPlN2at6native12_GLOBAL__N_18offset_tEEE10hipError_tPvRmT1_PNSt15iterator_traitsIS12_E10value_typeET2_T3_PNS13_IS18_E10value_typeET4_jRbjT5_S1E_jjP12ihipStream_tbEUljE_ZNSN_ISO_Lb0ESQ_SR_ST_SU_SY_EESZ_S10_S11_S12_S16_S17_S18_S1B_S1C_jS1D_jS1E_S1E_jjS1G_bEUljE0_EEESZ_S10_S11_S18_S1C_S1E_T6_T7_T9_mT8_S1G_bDpT10_ENKUlT_T0_E_clISt17integral_constantIbLb0EES1T_IbLb1EEEEDaS1P_S1Q_EUlS1P_E_NS1_11comp_targetILNS1_3genE3ELNS1_11target_archE908ELNS1_3gpuE7ELNS1_3repE0EEENS1_30default_config_static_selectorELNS0_4arch9wavefront6targetE1EEEvS12_.num_vgpr, 0
	.set _ZN7rocprim17ROCPRIM_400000_NS6detail17trampoline_kernelINS0_13select_configILj256ELj13ELNS0_17block_load_methodE3ELS4_3ELS4_3ELNS0_20block_scan_algorithmE0ELj4294967295EEENS1_25partition_config_selectorILNS1_17partition_subalgoE4EjNS0_10empty_typeEbEEZZNS1_14partition_implILS8_4ELb0ES6_15HIP_vector_typeIjLj2EENS0_17counting_iteratorIjlEEPS9_SG_NS0_5tupleIJPjSI_NS0_16reverse_iteratorISI_EEEEENSH_IJSG_SG_SG_EEES9_SI_JZNS1_25segmented_radix_sort_implINS0_14default_configELb0EPKdPdPKlPlN2at6native12_GLOBAL__N_18offset_tEEE10hipError_tPvRmT1_PNSt15iterator_traitsIS12_E10value_typeET2_T3_PNS13_IS18_E10value_typeET4_jRbjT5_S1E_jjP12ihipStream_tbEUljE_ZNSN_ISO_Lb0ESQ_SR_ST_SU_SY_EESZ_S10_S11_S12_S16_S17_S18_S1B_S1C_jS1D_jS1E_S1E_jjS1G_bEUljE0_EEESZ_S10_S11_S18_S1C_S1E_T6_T7_T9_mT8_S1G_bDpT10_ENKUlT_T0_E_clISt17integral_constantIbLb0EES1T_IbLb1EEEEDaS1P_S1Q_EUlS1P_E_NS1_11comp_targetILNS1_3genE3ELNS1_11target_archE908ELNS1_3gpuE7ELNS1_3repE0EEENS1_30default_config_static_selectorELNS0_4arch9wavefront6targetE1EEEvS12_.num_agpr, 0
	.set _ZN7rocprim17ROCPRIM_400000_NS6detail17trampoline_kernelINS0_13select_configILj256ELj13ELNS0_17block_load_methodE3ELS4_3ELS4_3ELNS0_20block_scan_algorithmE0ELj4294967295EEENS1_25partition_config_selectorILNS1_17partition_subalgoE4EjNS0_10empty_typeEbEEZZNS1_14partition_implILS8_4ELb0ES6_15HIP_vector_typeIjLj2EENS0_17counting_iteratorIjlEEPS9_SG_NS0_5tupleIJPjSI_NS0_16reverse_iteratorISI_EEEEENSH_IJSG_SG_SG_EEES9_SI_JZNS1_25segmented_radix_sort_implINS0_14default_configELb0EPKdPdPKlPlN2at6native12_GLOBAL__N_18offset_tEEE10hipError_tPvRmT1_PNSt15iterator_traitsIS12_E10value_typeET2_T3_PNS13_IS18_E10value_typeET4_jRbjT5_S1E_jjP12ihipStream_tbEUljE_ZNSN_ISO_Lb0ESQ_SR_ST_SU_SY_EESZ_S10_S11_S12_S16_S17_S18_S1B_S1C_jS1D_jS1E_S1E_jjS1G_bEUljE0_EEESZ_S10_S11_S18_S1C_S1E_T6_T7_T9_mT8_S1G_bDpT10_ENKUlT_T0_E_clISt17integral_constantIbLb0EES1T_IbLb1EEEEDaS1P_S1Q_EUlS1P_E_NS1_11comp_targetILNS1_3genE3ELNS1_11target_archE908ELNS1_3gpuE7ELNS1_3repE0EEENS1_30default_config_static_selectorELNS0_4arch9wavefront6targetE1EEEvS12_.numbered_sgpr, 0
	.set _ZN7rocprim17ROCPRIM_400000_NS6detail17trampoline_kernelINS0_13select_configILj256ELj13ELNS0_17block_load_methodE3ELS4_3ELS4_3ELNS0_20block_scan_algorithmE0ELj4294967295EEENS1_25partition_config_selectorILNS1_17partition_subalgoE4EjNS0_10empty_typeEbEEZZNS1_14partition_implILS8_4ELb0ES6_15HIP_vector_typeIjLj2EENS0_17counting_iteratorIjlEEPS9_SG_NS0_5tupleIJPjSI_NS0_16reverse_iteratorISI_EEEEENSH_IJSG_SG_SG_EEES9_SI_JZNS1_25segmented_radix_sort_implINS0_14default_configELb0EPKdPdPKlPlN2at6native12_GLOBAL__N_18offset_tEEE10hipError_tPvRmT1_PNSt15iterator_traitsIS12_E10value_typeET2_T3_PNS13_IS18_E10value_typeET4_jRbjT5_S1E_jjP12ihipStream_tbEUljE_ZNSN_ISO_Lb0ESQ_SR_ST_SU_SY_EESZ_S10_S11_S12_S16_S17_S18_S1B_S1C_jS1D_jS1E_S1E_jjS1G_bEUljE0_EEESZ_S10_S11_S18_S1C_S1E_T6_T7_T9_mT8_S1G_bDpT10_ENKUlT_T0_E_clISt17integral_constantIbLb0EES1T_IbLb1EEEEDaS1P_S1Q_EUlS1P_E_NS1_11comp_targetILNS1_3genE3ELNS1_11target_archE908ELNS1_3gpuE7ELNS1_3repE0EEENS1_30default_config_static_selectorELNS0_4arch9wavefront6targetE1EEEvS12_.num_named_barrier, 0
	.set _ZN7rocprim17ROCPRIM_400000_NS6detail17trampoline_kernelINS0_13select_configILj256ELj13ELNS0_17block_load_methodE3ELS4_3ELS4_3ELNS0_20block_scan_algorithmE0ELj4294967295EEENS1_25partition_config_selectorILNS1_17partition_subalgoE4EjNS0_10empty_typeEbEEZZNS1_14partition_implILS8_4ELb0ES6_15HIP_vector_typeIjLj2EENS0_17counting_iteratorIjlEEPS9_SG_NS0_5tupleIJPjSI_NS0_16reverse_iteratorISI_EEEEENSH_IJSG_SG_SG_EEES9_SI_JZNS1_25segmented_radix_sort_implINS0_14default_configELb0EPKdPdPKlPlN2at6native12_GLOBAL__N_18offset_tEEE10hipError_tPvRmT1_PNSt15iterator_traitsIS12_E10value_typeET2_T3_PNS13_IS18_E10value_typeET4_jRbjT5_S1E_jjP12ihipStream_tbEUljE_ZNSN_ISO_Lb0ESQ_SR_ST_SU_SY_EESZ_S10_S11_S12_S16_S17_S18_S1B_S1C_jS1D_jS1E_S1E_jjS1G_bEUljE0_EEESZ_S10_S11_S18_S1C_S1E_T6_T7_T9_mT8_S1G_bDpT10_ENKUlT_T0_E_clISt17integral_constantIbLb0EES1T_IbLb1EEEEDaS1P_S1Q_EUlS1P_E_NS1_11comp_targetILNS1_3genE3ELNS1_11target_archE908ELNS1_3gpuE7ELNS1_3repE0EEENS1_30default_config_static_selectorELNS0_4arch9wavefront6targetE1EEEvS12_.private_seg_size, 0
	.set _ZN7rocprim17ROCPRIM_400000_NS6detail17trampoline_kernelINS0_13select_configILj256ELj13ELNS0_17block_load_methodE3ELS4_3ELS4_3ELNS0_20block_scan_algorithmE0ELj4294967295EEENS1_25partition_config_selectorILNS1_17partition_subalgoE4EjNS0_10empty_typeEbEEZZNS1_14partition_implILS8_4ELb0ES6_15HIP_vector_typeIjLj2EENS0_17counting_iteratorIjlEEPS9_SG_NS0_5tupleIJPjSI_NS0_16reverse_iteratorISI_EEEEENSH_IJSG_SG_SG_EEES9_SI_JZNS1_25segmented_radix_sort_implINS0_14default_configELb0EPKdPdPKlPlN2at6native12_GLOBAL__N_18offset_tEEE10hipError_tPvRmT1_PNSt15iterator_traitsIS12_E10value_typeET2_T3_PNS13_IS18_E10value_typeET4_jRbjT5_S1E_jjP12ihipStream_tbEUljE_ZNSN_ISO_Lb0ESQ_SR_ST_SU_SY_EESZ_S10_S11_S12_S16_S17_S18_S1B_S1C_jS1D_jS1E_S1E_jjS1G_bEUljE0_EEESZ_S10_S11_S18_S1C_S1E_T6_T7_T9_mT8_S1G_bDpT10_ENKUlT_T0_E_clISt17integral_constantIbLb0EES1T_IbLb1EEEEDaS1P_S1Q_EUlS1P_E_NS1_11comp_targetILNS1_3genE3ELNS1_11target_archE908ELNS1_3gpuE7ELNS1_3repE0EEENS1_30default_config_static_selectorELNS0_4arch9wavefront6targetE1EEEvS12_.uses_vcc, 0
	.set _ZN7rocprim17ROCPRIM_400000_NS6detail17trampoline_kernelINS0_13select_configILj256ELj13ELNS0_17block_load_methodE3ELS4_3ELS4_3ELNS0_20block_scan_algorithmE0ELj4294967295EEENS1_25partition_config_selectorILNS1_17partition_subalgoE4EjNS0_10empty_typeEbEEZZNS1_14partition_implILS8_4ELb0ES6_15HIP_vector_typeIjLj2EENS0_17counting_iteratorIjlEEPS9_SG_NS0_5tupleIJPjSI_NS0_16reverse_iteratorISI_EEEEENSH_IJSG_SG_SG_EEES9_SI_JZNS1_25segmented_radix_sort_implINS0_14default_configELb0EPKdPdPKlPlN2at6native12_GLOBAL__N_18offset_tEEE10hipError_tPvRmT1_PNSt15iterator_traitsIS12_E10value_typeET2_T3_PNS13_IS18_E10value_typeET4_jRbjT5_S1E_jjP12ihipStream_tbEUljE_ZNSN_ISO_Lb0ESQ_SR_ST_SU_SY_EESZ_S10_S11_S12_S16_S17_S18_S1B_S1C_jS1D_jS1E_S1E_jjS1G_bEUljE0_EEESZ_S10_S11_S18_S1C_S1E_T6_T7_T9_mT8_S1G_bDpT10_ENKUlT_T0_E_clISt17integral_constantIbLb0EES1T_IbLb1EEEEDaS1P_S1Q_EUlS1P_E_NS1_11comp_targetILNS1_3genE3ELNS1_11target_archE908ELNS1_3gpuE7ELNS1_3repE0EEENS1_30default_config_static_selectorELNS0_4arch9wavefront6targetE1EEEvS12_.uses_flat_scratch, 0
	.set _ZN7rocprim17ROCPRIM_400000_NS6detail17trampoline_kernelINS0_13select_configILj256ELj13ELNS0_17block_load_methodE3ELS4_3ELS4_3ELNS0_20block_scan_algorithmE0ELj4294967295EEENS1_25partition_config_selectorILNS1_17partition_subalgoE4EjNS0_10empty_typeEbEEZZNS1_14partition_implILS8_4ELb0ES6_15HIP_vector_typeIjLj2EENS0_17counting_iteratorIjlEEPS9_SG_NS0_5tupleIJPjSI_NS0_16reverse_iteratorISI_EEEEENSH_IJSG_SG_SG_EEES9_SI_JZNS1_25segmented_radix_sort_implINS0_14default_configELb0EPKdPdPKlPlN2at6native12_GLOBAL__N_18offset_tEEE10hipError_tPvRmT1_PNSt15iterator_traitsIS12_E10value_typeET2_T3_PNS13_IS18_E10value_typeET4_jRbjT5_S1E_jjP12ihipStream_tbEUljE_ZNSN_ISO_Lb0ESQ_SR_ST_SU_SY_EESZ_S10_S11_S12_S16_S17_S18_S1B_S1C_jS1D_jS1E_S1E_jjS1G_bEUljE0_EEESZ_S10_S11_S18_S1C_S1E_T6_T7_T9_mT8_S1G_bDpT10_ENKUlT_T0_E_clISt17integral_constantIbLb0EES1T_IbLb1EEEEDaS1P_S1Q_EUlS1P_E_NS1_11comp_targetILNS1_3genE3ELNS1_11target_archE908ELNS1_3gpuE7ELNS1_3repE0EEENS1_30default_config_static_selectorELNS0_4arch9wavefront6targetE1EEEvS12_.has_dyn_sized_stack, 0
	.set _ZN7rocprim17ROCPRIM_400000_NS6detail17trampoline_kernelINS0_13select_configILj256ELj13ELNS0_17block_load_methodE3ELS4_3ELS4_3ELNS0_20block_scan_algorithmE0ELj4294967295EEENS1_25partition_config_selectorILNS1_17partition_subalgoE4EjNS0_10empty_typeEbEEZZNS1_14partition_implILS8_4ELb0ES6_15HIP_vector_typeIjLj2EENS0_17counting_iteratorIjlEEPS9_SG_NS0_5tupleIJPjSI_NS0_16reverse_iteratorISI_EEEEENSH_IJSG_SG_SG_EEES9_SI_JZNS1_25segmented_radix_sort_implINS0_14default_configELb0EPKdPdPKlPlN2at6native12_GLOBAL__N_18offset_tEEE10hipError_tPvRmT1_PNSt15iterator_traitsIS12_E10value_typeET2_T3_PNS13_IS18_E10value_typeET4_jRbjT5_S1E_jjP12ihipStream_tbEUljE_ZNSN_ISO_Lb0ESQ_SR_ST_SU_SY_EESZ_S10_S11_S12_S16_S17_S18_S1B_S1C_jS1D_jS1E_S1E_jjS1G_bEUljE0_EEESZ_S10_S11_S18_S1C_S1E_T6_T7_T9_mT8_S1G_bDpT10_ENKUlT_T0_E_clISt17integral_constantIbLb0EES1T_IbLb1EEEEDaS1P_S1Q_EUlS1P_E_NS1_11comp_targetILNS1_3genE3ELNS1_11target_archE908ELNS1_3gpuE7ELNS1_3repE0EEENS1_30default_config_static_selectorELNS0_4arch9wavefront6targetE1EEEvS12_.has_recursion, 0
	.set _ZN7rocprim17ROCPRIM_400000_NS6detail17trampoline_kernelINS0_13select_configILj256ELj13ELNS0_17block_load_methodE3ELS4_3ELS4_3ELNS0_20block_scan_algorithmE0ELj4294967295EEENS1_25partition_config_selectorILNS1_17partition_subalgoE4EjNS0_10empty_typeEbEEZZNS1_14partition_implILS8_4ELb0ES6_15HIP_vector_typeIjLj2EENS0_17counting_iteratorIjlEEPS9_SG_NS0_5tupleIJPjSI_NS0_16reverse_iteratorISI_EEEEENSH_IJSG_SG_SG_EEES9_SI_JZNS1_25segmented_radix_sort_implINS0_14default_configELb0EPKdPdPKlPlN2at6native12_GLOBAL__N_18offset_tEEE10hipError_tPvRmT1_PNSt15iterator_traitsIS12_E10value_typeET2_T3_PNS13_IS18_E10value_typeET4_jRbjT5_S1E_jjP12ihipStream_tbEUljE_ZNSN_ISO_Lb0ESQ_SR_ST_SU_SY_EESZ_S10_S11_S12_S16_S17_S18_S1B_S1C_jS1D_jS1E_S1E_jjS1G_bEUljE0_EEESZ_S10_S11_S18_S1C_S1E_T6_T7_T9_mT8_S1G_bDpT10_ENKUlT_T0_E_clISt17integral_constantIbLb0EES1T_IbLb1EEEEDaS1P_S1Q_EUlS1P_E_NS1_11comp_targetILNS1_3genE3ELNS1_11target_archE908ELNS1_3gpuE7ELNS1_3repE0EEENS1_30default_config_static_selectorELNS0_4arch9wavefront6targetE1EEEvS12_.has_indirect_call, 0
	.section	.AMDGPU.csdata,"",@progbits
; Kernel info:
; codeLenInByte = 0
; TotalNumSgprs: 4
; NumVgprs: 0
; ScratchSize: 0
; MemoryBound: 0
; FloatMode: 240
; IeeeMode: 1
; LDSByteSize: 0 bytes/workgroup (compile time only)
; SGPRBlocks: 0
; VGPRBlocks: 0
; NumSGPRsForWavesPerEU: 4
; NumVGPRsForWavesPerEU: 1
; Occupancy: 10
; WaveLimiterHint : 0
; COMPUTE_PGM_RSRC2:SCRATCH_EN: 0
; COMPUTE_PGM_RSRC2:USER_SGPR: 6
; COMPUTE_PGM_RSRC2:TRAP_HANDLER: 0
; COMPUTE_PGM_RSRC2:TGID_X_EN: 1
; COMPUTE_PGM_RSRC2:TGID_Y_EN: 0
; COMPUTE_PGM_RSRC2:TGID_Z_EN: 0
; COMPUTE_PGM_RSRC2:TIDIG_COMP_CNT: 0
	.section	.text._ZN7rocprim17ROCPRIM_400000_NS6detail17trampoline_kernelINS0_13select_configILj256ELj13ELNS0_17block_load_methodE3ELS4_3ELS4_3ELNS0_20block_scan_algorithmE0ELj4294967295EEENS1_25partition_config_selectorILNS1_17partition_subalgoE4EjNS0_10empty_typeEbEEZZNS1_14partition_implILS8_4ELb0ES6_15HIP_vector_typeIjLj2EENS0_17counting_iteratorIjlEEPS9_SG_NS0_5tupleIJPjSI_NS0_16reverse_iteratorISI_EEEEENSH_IJSG_SG_SG_EEES9_SI_JZNS1_25segmented_radix_sort_implINS0_14default_configELb0EPKdPdPKlPlN2at6native12_GLOBAL__N_18offset_tEEE10hipError_tPvRmT1_PNSt15iterator_traitsIS12_E10value_typeET2_T3_PNS13_IS18_E10value_typeET4_jRbjT5_S1E_jjP12ihipStream_tbEUljE_ZNSN_ISO_Lb0ESQ_SR_ST_SU_SY_EESZ_S10_S11_S12_S16_S17_S18_S1B_S1C_jS1D_jS1E_S1E_jjS1G_bEUljE0_EEESZ_S10_S11_S18_S1C_S1E_T6_T7_T9_mT8_S1G_bDpT10_ENKUlT_T0_E_clISt17integral_constantIbLb0EES1T_IbLb1EEEEDaS1P_S1Q_EUlS1P_E_NS1_11comp_targetILNS1_3genE2ELNS1_11target_archE906ELNS1_3gpuE6ELNS1_3repE0EEENS1_30default_config_static_selectorELNS0_4arch9wavefront6targetE1EEEvS12_,"axG",@progbits,_ZN7rocprim17ROCPRIM_400000_NS6detail17trampoline_kernelINS0_13select_configILj256ELj13ELNS0_17block_load_methodE3ELS4_3ELS4_3ELNS0_20block_scan_algorithmE0ELj4294967295EEENS1_25partition_config_selectorILNS1_17partition_subalgoE4EjNS0_10empty_typeEbEEZZNS1_14partition_implILS8_4ELb0ES6_15HIP_vector_typeIjLj2EENS0_17counting_iteratorIjlEEPS9_SG_NS0_5tupleIJPjSI_NS0_16reverse_iteratorISI_EEEEENSH_IJSG_SG_SG_EEES9_SI_JZNS1_25segmented_radix_sort_implINS0_14default_configELb0EPKdPdPKlPlN2at6native12_GLOBAL__N_18offset_tEEE10hipError_tPvRmT1_PNSt15iterator_traitsIS12_E10value_typeET2_T3_PNS13_IS18_E10value_typeET4_jRbjT5_S1E_jjP12ihipStream_tbEUljE_ZNSN_ISO_Lb0ESQ_SR_ST_SU_SY_EESZ_S10_S11_S12_S16_S17_S18_S1B_S1C_jS1D_jS1E_S1E_jjS1G_bEUljE0_EEESZ_S10_S11_S18_S1C_S1E_T6_T7_T9_mT8_S1G_bDpT10_ENKUlT_T0_E_clISt17integral_constantIbLb0EES1T_IbLb1EEEEDaS1P_S1Q_EUlS1P_E_NS1_11comp_targetILNS1_3genE2ELNS1_11target_archE906ELNS1_3gpuE6ELNS1_3repE0EEENS1_30default_config_static_selectorELNS0_4arch9wavefront6targetE1EEEvS12_,comdat
	.globl	_ZN7rocprim17ROCPRIM_400000_NS6detail17trampoline_kernelINS0_13select_configILj256ELj13ELNS0_17block_load_methodE3ELS4_3ELS4_3ELNS0_20block_scan_algorithmE0ELj4294967295EEENS1_25partition_config_selectorILNS1_17partition_subalgoE4EjNS0_10empty_typeEbEEZZNS1_14partition_implILS8_4ELb0ES6_15HIP_vector_typeIjLj2EENS0_17counting_iteratorIjlEEPS9_SG_NS0_5tupleIJPjSI_NS0_16reverse_iteratorISI_EEEEENSH_IJSG_SG_SG_EEES9_SI_JZNS1_25segmented_radix_sort_implINS0_14default_configELb0EPKdPdPKlPlN2at6native12_GLOBAL__N_18offset_tEEE10hipError_tPvRmT1_PNSt15iterator_traitsIS12_E10value_typeET2_T3_PNS13_IS18_E10value_typeET4_jRbjT5_S1E_jjP12ihipStream_tbEUljE_ZNSN_ISO_Lb0ESQ_SR_ST_SU_SY_EESZ_S10_S11_S12_S16_S17_S18_S1B_S1C_jS1D_jS1E_S1E_jjS1G_bEUljE0_EEESZ_S10_S11_S18_S1C_S1E_T6_T7_T9_mT8_S1G_bDpT10_ENKUlT_T0_E_clISt17integral_constantIbLb0EES1T_IbLb1EEEEDaS1P_S1Q_EUlS1P_E_NS1_11comp_targetILNS1_3genE2ELNS1_11target_archE906ELNS1_3gpuE6ELNS1_3repE0EEENS1_30default_config_static_selectorELNS0_4arch9wavefront6targetE1EEEvS12_ ; -- Begin function _ZN7rocprim17ROCPRIM_400000_NS6detail17trampoline_kernelINS0_13select_configILj256ELj13ELNS0_17block_load_methodE3ELS4_3ELS4_3ELNS0_20block_scan_algorithmE0ELj4294967295EEENS1_25partition_config_selectorILNS1_17partition_subalgoE4EjNS0_10empty_typeEbEEZZNS1_14partition_implILS8_4ELb0ES6_15HIP_vector_typeIjLj2EENS0_17counting_iteratorIjlEEPS9_SG_NS0_5tupleIJPjSI_NS0_16reverse_iteratorISI_EEEEENSH_IJSG_SG_SG_EEES9_SI_JZNS1_25segmented_radix_sort_implINS0_14default_configELb0EPKdPdPKlPlN2at6native12_GLOBAL__N_18offset_tEEE10hipError_tPvRmT1_PNSt15iterator_traitsIS12_E10value_typeET2_T3_PNS13_IS18_E10value_typeET4_jRbjT5_S1E_jjP12ihipStream_tbEUljE_ZNSN_ISO_Lb0ESQ_SR_ST_SU_SY_EESZ_S10_S11_S12_S16_S17_S18_S1B_S1C_jS1D_jS1E_S1E_jjS1G_bEUljE0_EEESZ_S10_S11_S18_S1C_S1E_T6_T7_T9_mT8_S1G_bDpT10_ENKUlT_T0_E_clISt17integral_constantIbLb0EES1T_IbLb1EEEEDaS1P_S1Q_EUlS1P_E_NS1_11comp_targetILNS1_3genE2ELNS1_11target_archE906ELNS1_3gpuE6ELNS1_3repE0EEENS1_30default_config_static_selectorELNS0_4arch9wavefront6targetE1EEEvS12_
	.p2align	8
	.type	_ZN7rocprim17ROCPRIM_400000_NS6detail17trampoline_kernelINS0_13select_configILj256ELj13ELNS0_17block_load_methodE3ELS4_3ELS4_3ELNS0_20block_scan_algorithmE0ELj4294967295EEENS1_25partition_config_selectorILNS1_17partition_subalgoE4EjNS0_10empty_typeEbEEZZNS1_14partition_implILS8_4ELb0ES6_15HIP_vector_typeIjLj2EENS0_17counting_iteratorIjlEEPS9_SG_NS0_5tupleIJPjSI_NS0_16reverse_iteratorISI_EEEEENSH_IJSG_SG_SG_EEES9_SI_JZNS1_25segmented_radix_sort_implINS0_14default_configELb0EPKdPdPKlPlN2at6native12_GLOBAL__N_18offset_tEEE10hipError_tPvRmT1_PNSt15iterator_traitsIS12_E10value_typeET2_T3_PNS13_IS18_E10value_typeET4_jRbjT5_S1E_jjP12ihipStream_tbEUljE_ZNSN_ISO_Lb0ESQ_SR_ST_SU_SY_EESZ_S10_S11_S12_S16_S17_S18_S1B_S1C_jS1D_jS1E_S1E_jjS1G_bEUljE0_EEESZ_S10_S11_S18_S1C_S1E_T6_T7_T9_mT8_S1G_bDpT10_ENKUlT_T0_E_clISt17integral_constantIbLb0EES1T_IbLb1EEEEDaS1P_S1Q_EUlS1P_E_NS1_11comp_targetILNS1_3genE2ELNS1_11target_archE906ELNS1_3gpuE6ELNS1_3repE0EEENS1_30default_config_static_selectorELNS0_4arch9wavefront6targetE1EEEvS12_,@function
_ZN7rocprim17ROCPRIM_400000_NS6detail17trampoline_kernelINS0_13select_configILj256ELj13ELNS0_17block_load_methodE3ELS4_3ELS4_3ELNS0_20block_scan_algorithmE0ELj4294967295EEENS1_25partition_config_selectorILNS1_17partition_subalgoE4EjNS0_10empty_typeEbEEZZNS1_14partition_implILS8_4ELb0ES6_15HIP_vector_typeIjLj2EENS0_17counting_iteratorIjlEEPS9_SG_NS0_5tupleIJPjSI_NS0_16reverse_iteratorISI_EEEEENSH_IJSG_SG_SG_EEES9_SI_JZNS1_25segmented_radix_sort_implINS0_14default_configELb0EPKdPdPKlPlN2at6native12_GLOBAL__N_18offset_tEEE10hipError_tPvRmT1_PNSt15iterator_traitsIS12_E10value_typeET2_T3_PNS13_IS18_E10value_typeET4_jRbjT5_S1E_jjP12ihipStream_tbEUljE_ZNSN_ISO_Lb0ESQ_SR_ST_SU_SY_EESZ_S10_S11_S12_S16_S17_S18_S1B_S1C_jS1D_jS1E_S1E_jjS1G_bEUljE0_EEESZ_S10_S11_S18_S1C_S1E_T6_T7_T9_mT8_S1G_bDpT10_ENKUlT_T0_E_clISt17integral_constantIbLb0EES1T_IbLb1EEEEDaS1P_S1Q_EUlS1P_E_NS1_11comp_targetILNS1_3genE2ELNS1_11target_archE906ELNS1_3gpuE6ELNS1_3repE0EEENS1_30default_config_static_selectorELNS0_4arch9wavefront6targetE1EEEvS12_: ; @_ZN7rocprim17ROCPRIM_400000_NS6detail17trampoline_kernelINS0_13select_configILj256ELj13ELNS0_17block_load_methodE3ELS4_3ELS4_3ELNS0_20block_scan_algorithmE0ELj4294967295EEENS1_25partition_config_selectorILNS1_17partition_subalgoE4EjNS0_10empty_typeEbEEZZNS1_14partition_implILS8_4ELb0ES6_15HIP_vector_typeIjLj2EENS0_17counting_iteratorIjlEEPS9_SG_NS0_5tupleIJPjSI_NS0_16reverse_iteratorISI_EEEEENSH_IJSG_SG_SG_EEES9_SI_JZNS1_25segmented_radix_sort_implINS0_14default_configELb0EPKdPdPKlPlN2at6native12_GLOBAL__N_18offset_tEEE10hipError_tPvRmT1_PNSt15iterator_traitsIS12_E10value_typeET2_T3_PNS13_IS18_E10value_typeET4_jRbjT5_S1E_jjP12ihipStream_tbEUljE_ZNSN_ISO_Lb0ESQ_SR_ST_SU_SY_EESZ_S10_S11_S12_S16_S17_S18_S1B_S1C_jS1D_jS1E_S1E_jjS1G_bEUljE0_EEESZ_S10_S11_S18_S1C_S1E_T6_T7_T9_mT8_S1G_bDpT10_ENKUlT_T0_E_clISt17integral_constantIbLb0EES1T_IbLb1EEEEDaS1P_S1Q_EUlS1P_E_NS1_11comp_targetILNS1_3genE2ELNS1_11target_archE906ELNS1_3gpuE6ELNS1_3repE0EEENS1_30default_config_static_selectorELNS0_4arch9wavefront6targetE1EEEvS12_
; %bb.0:
	s_load_dwordx2 s[52:53], s[4:5], 0x10
	s_load_dwordx4 s[48:51], s[4:5], 0x28
	s_load_dwordx2 s[30:31], s[4:5], 0x38
	s_load_dwordx4 s[44:47], s[4:5], 0x58
	s_load_dwordx2 s[6:7], s[4:5], 0x68
	s_load_dwordx2 s[54:55], s[4:5], 0x78
	;; [unrolled: 1-line block ×3, first 2 shown]
	s_load_dwordx8 s[36:43], s[4:5], 0x90
	v_cmp_eq_u32_e64 s[0:1], 0, v0
	s_and_saveexec_b64 s[2:3], s[0:1]
	s_cbranch_execz .LBB1185_4
; %bb.1:
	s_mov_b64 s[10:11], exec
	v_mbcnt_lo_u32_b32 v1, s10, 0
	v_mbcnt_hi_u32_b32 v1, s11, v1
	v_cmp_eq_u32_e32 vcc, 0, v1
                                        ; implicit-def: $vgpr2
	s_and_saveexec_b64 s[8:9], vcc
	s_cbranch_execz .LBB1185_3
; %bb.2:
	s_load_dwordx2 s[12:13], s[4:5], 0x88
	s_bcnt1_i32_b64 s10, s[10:11]
	v_mov_b32_e32 v2, 0
	v_mov_b32_e32 v3, s10
	s_waitcnt lgkmcnt(0)
	global_atomic_add v2, v2, v3, s[12:13] glc
.LBB1185_3:
	s_or_b64 exec, exec, s[8:9]
	s_waitcnt vmcnt(0)
	v_readfirstlane_b32 s8, v2
	v_add_u32_e32 v1, s8, v1
	v_mov_b32_e32 v2, 0
	ds_write_b32 v2, v1
.LBB1185_4:
	s_or_b64 exec, exec, s[2:3]
	v_mov_b32_e32 v1, 0
	s_load_dword s2, s[4:5], 0x8
	s_load_dword s8, s[4:5], 0x80
	s_waitcnt lgkmcnt(0)
	s_barrier
	ds_read_b32 v7, v1
	s_waitcnt lgkmcnt(0)
	s_barrier
	global_load_dwordx4 v[1:4], v1, s[46:47]
	s_add_i32 s9, s2, s52
	s_movk_i32 s2, 0xd00
	s_add_i32 s4, s8, -1
	s_mulk_i32 s8, 0xd00
	v_mul_lo_u32 v33, v7, s2
	s_add_u32 s2, s52, s8
	s_addc_u32 s3, s53, 0
	v_mov_b32_e32 v6, s3
	v_mov_b32_e32 v5, s2
	v_readfirstlane_b32 s33, v7
	v_cmp_gt_u64_e32 vcc, s[6:7], v[5:6]
	s_cmp_eq_u32 s33, s4
	v_cmp_ne_u32_e64 s[2:3], s4, v7
	s_cselect_b64 s[34:35], -1, 0
	s_or_b64 s[4:5], vcc, s[2:3]
	v_add_u32_e32 v5, s9, v33
	s_mov_b64 s[2:3], -1
	s_and_b64 vcc, exec, s[4:5]
	v_add_u32_e32 v5, v5, v0
	s_cbranch_vccz .LBB1185_6
; %bb.5:
	v_add_u32_e32 v6, 0x100, v5
	v_lshlrev_b32_e32 v18, 2, v0
	v_add_u32_e32 v7, 0x200, v5
	v_add_u32_e32 v8, 0x300, v5
	;; [unrolled: 1-line block ×11, first 2 shown]
	ds_write2st64_b32 v18, v5, v6 offset1:4
	ds_write2st64_b32 v18, v7, v8 offset0:8 offset1:12
	ds_write2st64_b32 v18, v9, v10 offset0:16 offset1:20
	;; [unrolled: 1-line block ×5, first 2 shown]
	ds_write_b32 v18, v17 offset:12288
	s_waitcnt vmcnt(0) lgkmcnt(0)
	s_barrier
	s_mov_b64 s[2:3], 0
.LBB1185_6:
	s_andn2_b64 vcc, exec, s[2:3]
	s_add_i32 s8, s8, s52
	s_cbranch_vccnz .LBB1185_8
; %bb.7:
	v_add_u32_e32 v6, 0x100, v5
	v_lshlrev_b32_e32 v18, 2, v0
	v_add_u32_e32 v7, 0x200, v5
	v_add_u32_e32 v8, 0x300, v5
	;; [unrolled: 1-line block ×11, first 2 shown]
	ds_write2st64_b32 v18, v5, v6 offset1:4
	ds_write2st64_b32 v18, v7, v8 offset0:8 offset1:12
	ds_write2st64_b32 v18, v9, v10 offset0:16 offset1:20
	;; [unrolled: 1-line block ×5, first 2 shown]
	ds_write_b32 v18, v17 offset:12288
	s_waitcnt vmcnt(0) lgkmcnt(0)
	s_barrier
.LBB1185_8:
	v_mul_u32_u24_e32 v35, 13, v0
	v_lshlrev_b32_e32 v5, 2, v35
	ds_read_b32 v34, v5 offset:48
	ds_read2_b32 v[13:14], v5 offset0:10 offset1:11
	ds_read2_b32 v[15:16], v5 offset0:8 offset1:9
	;; [unrolled: 1-line block ×4, first 2 shown]
	ds_read2_b32 v[23:24], v5 offset1:1
	ds_read2_b32 v[21:22], v5 offset0:2 offset1:3
	v_cndmask_b32_e64 v5, 0, 1, s[4:5]
	s_sub_i32 s86, s6, s8
	v_cmp_ne_u32_e64 s[2:3], 1, v5
	s_andn2_b64 vcc, exec, s[4:5]
	s_waitcnt vmcnt(0) lgkmcnt(0)
	s_barrier
	s_cbranch_vccnz .LBB1185_36
; %bb.9:
	v_add_u32_e32 v5, s37, v23
	v_add_u32_e32 v6, s39, v23
	v_mul_lo_u32 v5, v5, s36
	v_mul_lo_u32 v6, v6, s38
	s_mov_b64 s[58:59], 0
	s_mov_b64 s[46:47], 0
	v_sub_u32_e32 v5, v5, v6
	v_cmp_lt_u32_e32 vcc, s40, v5
	v_cmp_ge_u32_e64 s[4:5], s40, v5
	s_and_saveexec_b64 s[6:7], s[4:5]
	s_cbranch_execz .LBB1185_11
; %bb.10:
	v_add_u32_e32 v5, s42, v23
	v_add_u32_e32 v6, s56, v23
	v_mul_lo_u32 v5, v5, s41
	v_mul_lo_u32 v6, v6, s43
	v_sub_u32_e32 v5, v5, v6
	v_cmp_lt_u32_e64 s[4:5], s57, v5
	s_and_b64 s[46:47], s[4:5], exec
.LBB1185_11:
	s_or_b64 exec, exec, s[6:7]
	v_add_u32_e32 v5, s37, v24
	v_add_u32_e32 v6, s39, v24
	v_mul_lo_u32 v5, v5, s36
	v_mul_lo_u32 v6, v6, s38
	v_sub_u32_e32 v5, v5, v6
	v_cmp_lt_u32_e64 s[4:5], s40, v5
	v_cmp_ge_u32_e64 s[6:7], s40, v5
	s_and_saveexec_b64 s[8:9], s[6:7]
	s_cbranch_execz .LBB1185_13
; %bb.12:
	v_add_u32_e32 v5, s42, v24
	v_add_u32_e32 v6, s56, v24
	v_mul_lo_u32 v5, v5, s41
	v_mul_lo_u32 v6, v6, s43
	v_sub_u32_e32 v5, v5, v6
	v_cmp_lt_u32_e64 s[6:7], s57, v5
	s_and_b64 s[58:59], s[6:7], exec
.LBB1185_13:
	s_or_b64 exec, exec, s[8:9]
	v_add_u32_e32 v5, s37, v21
	v_add_u32_e32 v6, s39, v21
	v_mul_lo_u32 v5, v5, s36
	v_mul_lo_u32 v6, v6, s38
	s_mov_b64 s[62:63], 0
	s_mov_b64 s[60:61], 0
	v_sub_u32_e32 v5, v5, v6
	v_cmp_lt_u32_e64 s[6:7], s40, v5
	v_cmp_ge_u32_e64 s[8:9], s40, v5
	s_and_saveexec_b64 s[10:11], s[8:9]
	s_cbranch_execz .LBB1185_15
; %bb.14:
	v_add_u32_e32 v5, s42, v21
	v_add_u32_e32 v6, s56, v21
	v_mul_lo_u32 v5, v5, s41
	v_mul_lo_u32 v6, v6, s43
	v_sub_u32_e32 v5, v5, v6
	v_cmp_lt_u32_e64 s[8:9], s57, v5
	s_and_b64 s[60:61], s[8:9], exec
.LBB1185_15:
	s_or_b64 exec, exec, s[10:11]
	v_add_u32_e32 v5, s37, v22
	v_add_u32_e32 v6, s39, v22
	v_mul_lo_u32 v5, v5, s36
	v_mul_lo_u32 v6, v6, s38
	v_sub_u32_e32 v5, v5, v6
	v_cmp_lt_u32_e64 s[8:9], s40, v5
	v_cmp_ge_u32_e64 s[10:11], s40, v5
	s_and_saveexec_b64 s[12:13], s[10:11]
	s_cbranch_execz .LBB1185_17
; %bb.16:
	v_add_u32_e32 v5, s42, v22
	v_add_u32_e32 v6, s56, v22
	v_mul_lo_u32 v5, v5, s41
	v_mul_lo_u32 v6, v6, s43
	v_sub_u32_e32 v5, v5, v6
	v_cmp_lt_u32_e64 s[10:11], s57, v5
	s_and_b64 s[62:63], s[10:11], exec
.LBB1185_17:
	s_or_b64 exec, exec, s[12:13]
	v_add_u32_e32 v5, s37, v19
	v_add_u32_e32 v6, s39, v19
	v_mul_lo_u32 v5, v5, s36
	v_mul_lo_u32 v6, v6, s38
	s_mov_b64 s[66:67], 0
	s_mov_b64 s[64:65], 0
	v_sub_u32_e32 v5, v5, v6
	v_cmp_lt_u32_e64 s[10:11], s40, v5
	;; [unrolled: 40-line block ×6, first 2 shown]
	v_cmp_ge_u32_e64 s[28:29], s40, v5
	s_and_saveexec_b64 s[84:85], s[28:29]
	s_cbranch_execz .LBB1185_35
; %bb.34:
	v_add_u32_e32 v5, s42, v34
	v_add_u32_e32 v6, s56, v34
	v_mul_lo_u32 v5, v5, s41
	v_mul_lo_u32 v6, v6, s43
	v_sub_u32_e32 v5, v5, v6
	v_cmp_lt_u32_e64 s[28:29], s57, v5
	s_and_b64 s[82:83], s[28:29], exec
.LBB1185_35:
	s_or_b64 exec, exec, s[84:85]
	v_cndmask_b32_e64 v6, 0, 1, s[4:5]
	v_cndmask_b32_e64 v5, 0, 1, vcc
	v_cndmask_b32_e64 v8, 0, 1, s[8:9]
	v_lshlrev_b16_e32 v6, 8, v6
	v_cndmask_b32_e64 v7, 0, 1, s[6:7]
	v_or_b32_e32 v5, v5, v6
	v_lshlrev_b16_e32 v6, 8, v8
	v_cndmask_b32_e64 v10, 0, 1, s[12:13]
	v_cndmask_b32_e64 v12, 0, 1, s[16:17]
	v_or_b32_sdwa v6, v7, v6 dst_sel:WORD_1 dst_unused:UNUSED_PAD src0_sel:DWORD src1_sel:DWORD
	v_cndmask_b32_e64 v9, 0, 1, s[10:11]
	v_cndmask_b32_e64 v11, 0, 1, s[14:15]
	v_or_b32_sdwa v36, v5, v6 dst_sel:DWORD dst_unused:UNUSED_PAD src0_sel:WORD_0 src1_sel:DWORD
	v_lshlrev_b16_e32 v5, 8, v10
	v_lshlrev_b16_e32 v6, 8, v12
	v_cndmask_b32_e64 v26, 0, 1, s[20:21]
	v_cndmask_b32_e64 v29, 0, 1, s[24:25]
	v_or_b32_e32 v5, v9, v5
	v_or_b32_sdwa v6, v11, v6 dst_sel:WORD_1 dst_unused:UNUSED_PAD src0_sel:DWORD src1_sel:DWORD
	v_cndmask_b32_e64 v25, 0, 1, s[18:19]
	v_cndmask_b32_e64 v27, 0, 1, s[22:23]
	v_or_b32_sdwa v38, v5, v6 dst_sel:DWORD dst_unused:UNUSED_PAD src0_sel:WORD_0 src1_sel:DWORD
	v_lshlrev_b16_e32 v5, 8, v26
	v_lshlrev_b16_e32 v6, 8, v29
	v_cndmask_b32_e64 v42, 0, 1, s[60:61]
	v_cndmask_b32_e64 v47, 0, 1, s[46:47]
	v_or_b32_e32 v5, v25, v5
	;; [unrolled: 9-line block ×4, first 2 shown]
	v_or_b32_sdwa v6, v39, v6 dst_sel:WORD_1 dst_unused:UNUSED_PAD src0_sel:DWORD src1_sel:DWORD
	v_cndmask_b32_e64 v30, 0, 1, s[74:75]
	v_cndmask_b32_e64 v32, 0, 1, s[70:71]
	v_or_b32_sdwa v37, v5, v6 dst_sel:DWORD dst_unused:UNUSED_PAD src0_sel:WORD_0 src1_sel:DWORD
	v_lshlrev_b16_e32 v5, 8, v31
	v_lshlrev_b16_e32 v6, 8, v28
	v_or_b32_e32 v5, v32, v5
	v_or_b32_sdwa v6, v30, v6 dst_sel:WORD_1 dst_unused:UNUSED_PAD src0_sel:DWORD src1_sel:DWORD
	v_cndmask_b32_e64 v40, 0, 1, s[78:79]
	v_cndmask_b32_e64 v43, 0, 1, s[82:83]
	v_or_b32_sdwa v39, v5, v6 dst_sel:DWORD dst_unused:UNUSED_PAD src0_sel:WORD_0 src1_sel:DWORD
	s_add_i32 s16, s86, 0xd00
	s_and_b64 vcc, exec, s[76:77]
	s_cbranch_vccnz .LBB1185_37
	s_branch .LBB1185_114
.LBB1185_36:
                                        ; implicit-def: $vgpr43
                                        ; implicit-def: $vgpr40
                                        ; implicit-def: $vgpr39
                                        ; implicit-def: $vgpr37
                                        ; implicit-def: $vgpr42
                                        ; implicit-def: $vgpr41
                                        ; implicit-def: $vgpr38
                                        ; implicit-def: $vgpr36
	s_add_i32 s16, s86, 0xd00
	s_cbranch_execz .LBB1185_114
.LBB1185_37:
	v_cmp_gt_u32_e32 vcc, s16, v35
	v_mov_b32_e32 v6, 0
	v_mov_b32_e32 v5, 0
	s_and_saveexec_b64 s[6:7], vcc
	s_cbranch_execz .LBB1185_41
; %bb.38:
	v_add_u32_e32 v5, s37, v23
	v_add_u32_e32 v6, s39, v23
	v_mul_lo_u32 v5, v5, s36
	v_mul_lo_u32 v6, v6, s38
	s_mov_b64 s[10:11], 0
	v_sub_u32_e32 v5, v5, v6
	v_cmp_lt_u32_e32 vcc, s40, v5
	v_cmp_ge_u32_e64 s[4:5], s40, v5
	s_and_saveexec_b64 s[8:9], s[4:5]
	s_cbranch_execz .LBB1185_40
; %bb.39:
	v_add_u32_e32 v5, s42, v23
	v_add_u32_e32 v6, s56, v23
	v_mul_lo_u32 v5, v5, s41
	v_mul_lo_u32 v6, v6, s43
	v_sub_u32_e32 v5, v5, v6
	v_cmp_lt_u32_e64 s[4:5], s57, v5
	s_and_b64 s[10:11], s[4:5], exec
.LBB1185_40:
	s_or_b64 exec, exec, s[8:9]
	v_cndmask_b32_e64 v6, 0, 1, s[10:11]
	v_cndmask_b32_e64 v5, 0, 1, vcc
.LBB1185_41:
	s_or_b64 exec, exec, s[6:7]
	v_lshlrev_b16_e32 v11, 8, v6
	v_add_u32_e32 v6, 1, v35
	v_cmp_le_u32_e32 vcc, s16, v6
	v_lshlrev_b16_e64 v8, 8, 0
                                        ; implicit-def: $vgpr7
                                        ; implicit-def: $vgpr9
                                        ; implicit-def: $vgpr10
                                        ; implicit-def: $vgpr6
                                        ; implicit-def: $vgpr12
	s_and_saveexec_b64 s[4:5], vcc
	s_xor_b64 s[4:5], exec, s[4:5]
; %bb.42:
	v_mov_b32_e32 v6, 8
	v_lshrrev_b32_sdwa v7, v6, v11 dst_sel:BYTE_1 dst_unused:UNUSED_PAD src0_sel:DWORD src1_sel:DWORD
	v_and_b32_e32 v12, 0xff, v5
	v_or_b32_sdwa v5, v11, v7 dst_sel:DWORD dst_unused:UNUSED_PAD src0_sel:BYTE_0 src1_sel:DWORD
	v_mov_b32_e32 v9, 0
	v_lshlrev_b16_e64 v8, 8, 0
	v_lshlrev_b16_e64 v6, 8, 0
	v_and_b32_e32 v10, 0xffff, v5
	v_lshlrev_b16_e64 v7, 8, 0
                                        ; implicit-def: $vgpr5
                                        ; implicit-def: $vgpr11
; %bb.43:
	s_andn2_saveexec_b64 s[6:7], s[4:5]
	s_cbranch_execz .LBB1185_47
; %bb.44:
	v_add_u32_e32 v6, s37, v24
	v_add_u32_e32 v7, s39, v24
	v_mul_lo_u32 v6, v6, s36
	v_mul_lo_u32 v7, v7, s38
	s_mov_b64 s[8:9], 0
	v_sub_u32_e32 v6, v6, v7
	v_cmp_lt_u32_e32 vcc, s40, v6
	v_cmp_ge_u32_e64 s[4:5], s40, v6
	s_and_saveexec_b64 s[10:11], s[4:5]
	s_cbranch_execz .LBB1185_46
; %bb.45:
	v_add_u32_e32 v6, s42, v24
	v_add_u32_e32 v7, s56, v24
	v_mul_lo_u32 v6, v6, s41
	v_mul_lo_u32 v7, v7, s43
	v_sub_u32_e32 v6, v6, v7
	v_cmp_lt_u32_e64 s[4:5], s57, v6
	s_and_b64 s[8:9], s[4:5], exec
.LBB1185_46:
	s_or_b64 exec, exec, s[10:11]
	v_cndmask_b32_e64 v7, 0, 1, vcc
	v_lshlrev_b16_e32 v7, 8, v7
	v_or_b32_sdwa v5, v5, v7 dst_sel:DWORD dst_unused:UNUSED_PAD src0_sel:BYTE_0 src1_sel:DWORD
	v_and_b32_e32 v12, 0xffff, v5
	v_mov_b32_e32 v5, 8
	v_lshrrev_b32_sdwa v5, v5, v11 dst_sel:BYTE_1 dst_unused:UNUSED_PAD src0_sel:DWORD src1_sel:DWORD
	v_or_b32_sdwa v5, v11, v5 dst_sel:DWORD dst_unused:UNUSED_PAD src0_sel:BYTE_0 src1_sel:DWORD
	v_and_b32_e32 v5, 0xffff, v5
	v_cndmask_b32_e64 v7, 0, 1, s[8:9]
	v_mov_b32_e32 v6, 0
	v_mov_b32_e32 v9, 0
	v_lshl_or_b32 v10, v7, 16, v5
	v_lshlrev_b16_e64 v7, 8, 0
.LBB1185_47:
	s_or_b64 exec, exec, s[6:7]
	v_add_u32_e32 v5, 2, v35
	v_cmp_le_u32_e32 vcc, s16, v5
	v_lshrrev_b32_e32 v25, 24, v12
                                        ; implicit-def: $vgpr5
                                        ; implicit-def: $vgpr11
	s_and_saveexec_b64 s[4:5], vcc
	s_xor_b64 s[4:5], exec, s[4:5]
	s_cbranch_execz .LBB1185_49
; %bb.48:
	s_mov_b32 s6, 0x40c0100
	v_perm_b32 v11, v25, v12, s6
	v_mov_b32_e32 v12, 8
	v_lshrrev_b32_sdwa v12, v12, v11 dst_sel:BYTE_1 dst_unused:UNUSED_PAD src0_sel:DWORD src1_sel:DWORD
	v_or_b32_sdwa v12, v11, v12 dst_sel:DWORD dst_unused:UNUSED_PAD src0_sel:BYTE_0 src1_sel:DWORD
	v_and_b32_e32 v12, 0xffff, v12
	s_mov_b32 s6, 0xff000000
	v_and_or_b32 v11, v11, s6, v12
	s_mov_b32 s6, 0x3060504
	v_and_b32_e32 v5, 0xff0000, v10
	v_perm_b32 v8, v8, v8, s6
	s_mov_b32 s6, 0x3020504
	v_perm_b32 v5, v10, v5, s6
                                        ; implicit-def: $vgpr12
                                        ; implicit-def: $vgpr25
                                        ; implicit-def: $vgpr10
.LBB1185_49:
	s_andn2_saveexec_b64 s[6:7], s[4:5]
	s_cbranch_execz .LBB1185_53
; %bb.50:
	v_add_u32_e32 v5, s37, v21
	v_add_u32_e32 v11, s39, v21
	v_mul_lo_u32 v5, v5, s36
	v_mul_lo_u32 v11, v11, s38
	s_mov_b64 s[8:9], 0
	v_sub_u32_e32 v5, v5, v11
	v_cmp_lt_u32_e32 vcc, s40, v5
	v_cmp_ge_u32_e64 s[4:5], s40, v5
	s_and_saveexec_b64 s[10:11], s[4:5]
	s_cbranch_execz .LBB1185_52
; %bb.51:
	v_add_u32_e32 v5, s42, v21
	v_add_u32_e32 v11, s56, v21
	v_mul_lo_u32 v5, v5, s41
	v_mul_lo_u32 v11, v11, s43
	v_sub_u32_e32 v5, v5, v11
	v_cmp_lt_u32_e64 s[4:5], s57, v5
	s_and_b64 s[8:9], s[4:5], exec
.LBB1185_52:
	s_or_b64 exec, exec, s[10:11]
	v_mov_b32_e32 v27, 8
	v_lshrrev_b32_sdwa v11, v27, v12 dst_sel:BYTE_1 dst_unused:UNUSED_PAD src0_sel:DWORD src1_sel:DWORD
	v_cndmask_b32_e64 v5, 0, 1, vcc
	v_or_b32_sdwa v11, v12, v11 dst_sel:DWORD dst_unused:UNUSED_PAD src0_sel:BYTE_0 src1_sel:DWORD
	v_lshlrev_b16_e32 v12, 8, v25
	v_or_b32_sdwa v5, v5, v12 dst_sel:WORD_1 dst_unused:UNUSED_PAD src0_sel:DWORD src1_sel:DWORD
	v_cndmask_b32_e64 v26, 0, 1, s[8:9]
	s_movk_i32 s4, 0xff
	v_or_b32_sdwa v11, v11, v5 dst_sel:DWORD dst_unused:UNUSED_PAD src0_sel:WORD_0 src1_sel:DWORD
	v_lshrrev_b32_sdwa v5, v27, v10 dst_sel:BYTE_1 dst_unused:UNUSED_PAD src0_sel:DWORD src1_sel:DWORD
	v_or_b32_sdwa v5, v10, v5 dst_sel:DWORD dst_unused:UNUSED_PAD src0_sel:BYTE_0 src1_sel:DWORD
	v_lshlrev_b16_e32 v12, 8, v26
	v_and_b32_sdwa v10, v10, s4 dst_sel:DWORD dst_unused:UNUSED_PAD src0_sel:WORD_1 src1_sel:DWORD
	v_or_b32_sdwa v10, v10, v12 dst_sel:WORD_1 dst_unused:UNUSED_PAD src0_sel:DWORD src1_sel:DWORD
	v_or_b32_sdwa v5, v5, v10 dst_sel:DWORD dst_unused:UNUSED_PAD src0_sel:WORD_0 src1_sel:DWORD
.LBB1185_53:
	s_or_b64 exec, exec, s[6:7]
	v_add_u32_e32 v10, 3, v35
	v_cmp_le_u32_e32 vcc, s16, v10
	v_lshrrev_b32_e32 v12, 24, v9
                                        ; implicit-def: $vgpr10
                                        ; implicit-def: $vgpr36
	s_and_saveexec_b64 s[4:5], vcc
	s_xor_b64 s[4:5], exec, s[4:5]
	s_cbranch_execz .LBB1185_55
; %bb.54:
	v_and_b32_e32 v10, 0xff0000, v11
	s_mov_b32 s6, 0x3020504
	s_movk_i32 s7, 0xff
	v_perm_b32 v36, v11, v10, s6
	v_lshlrev_b16_e32 v10, 8, v12
	v_and_b32_sdwa v11, v9, s7 dst_sel:DWORD dst_unused:UNUSED_PAD src0_sel:WORD_1 src1_sel:DWORD
	s_mov_b32 s6, 0x3060504
	v_or_b32_sdwa v10, v11, v10 dst_sel:WORD_1 dst_unused:UNUSED_PAD src0_sel:DWORD src1_sel:DWORD
	v_mov_b32_e32 v11, 8
	v_perm_b32 v8, v8, v8, s6
	v_lshrrev_b32_sdwa v10, v11, v9 dst_sel:BYTE_1 dst_unused:UNUSED_PRESERVE src0_sel:DWORD src1_sel:DWORD
	v_perm_b32 v7, v7, v7, s6
                                        ; implicit-def: $vgpr11
                                        ; implicit-def: $vgpr12
                                        ; implicit-def: $vgpr9
.LBB1185_55:
	s_andn2_saveexec_b64 s[6:7], s[4:5]
	s_cbranch_execz .LBB1185_59
; %bb.56:
	v_add_u32_e32 v10, s37, v22
	v_add_u32_e32 v25, s39, v22
	v_mul_lo_u32 v10, v10, s36
	v_mul_lo_u32 v25, v25, s38
	s_mov_b64 s[8:9], 0
	v_sub_u32_e32 v10, v10, v25
	v_cmp_lt_u32_e32 vcc, s40, v10
	v_cmp_ge_u32_e64 s[4:5], s40, v10
	s_and_saveexec_b64 s[10:11], s[4:5]
	s_cbranch_execz .LBB1185_58
; %bb.57:
	v_add_u32_e32 v10, s42, v22
	v_add_u32_e32 v25, s56, v22
	v_mul_lo_u32 v10, v10, s41
	v_mul_lo_u32 v25, v25, s43
	v_sub_u32_e32 v10, v10, v25
	v_cmp_lt_u32_e64 s[4:5], s57, v10
	s_and_b64 s[8:9], s[4:5], exec
.LBB1185_58:
	s_or_b64 exec, exec, s[10:11]
	v_mov_b32_e32 v26, 8
	v_cndmask_b32_e64 v10, 0, 1, vcc
	s_movk_i32 s4, 0xff
	v_lshrrev_b32_sdwa v27, v26, v11 dst_sel:BYTE_1 dst_unused:UNUSED_PAD src0_sel:DWORD src1_sel:DWORD
	v_or_b32_sdwa v27, v11, v27 dst_sel:DWORD dst_unused:UNUSED_PAD src0_sel:BYTE_0 src1_sel:DWORD
	v_lshlrev_b16_e32 v10, 8, v10
	v_and_b32_sdwa v11, v11, s4 dst_sel:DWORD dst_unused:UNUSED_PAD src0_sel:WORD_1 src1_sel:DWORD
	v_or_b32_sdwa v10, v11, v10 dst_sel:WORD_1 dst_unused:UNUSED_PAD src0_sel:DWORD src1_sel:DWORD
	v_cndmask_b32_e64 v25, 0, 1, s[8:9]
	v_or_b32_sdwa v36, v27, v10 dst_sel:DWORD dst_unused:UNUSED_PAD src0_sel:WORD_0 src1_sel:DWORD
	v_lshlrev_b16_e32 v10, 8, v12
	v_and_b32_sdwa v11, v9, s4 dst_sel:DWORD dst_unused:UNUSED_PAD src0_sel:WORD_1 src1_sel:DWORD
	v_lshrrev_b32_sdwa v9, v26, v9 dst_sel:BYTE_1 dst_unused:UNUSED_PAD src0_sel:DWORD src1_sel:DWORD
	v_or_b32_sdwa v10, v11, v10 dst_sel:WORD_1 dst_unused:UNUSED_PAD src0_sel:DWORD src1_sel:DWORD
	v_or_b32_e32 v9, v25, v9
	v_or_b32_sdwa v10, v9, v10 dst_sel:DWORD dst_unused:UNUSED_PAD src0_sel:WORD_0 src1_sel:DWORD
.LBB1185_59:
	s_or_b64 exec, exec, s[6:7]
	v_add_u32_e32 v9, 4, v35
	v_cmp_le_u32_e32 vcc, s16, v9
	v_lshrrev_b32_e32 v25, 24, v8
	v_lshrrev_b32_e32 v12, 24, v10
                                        ; implicit-def: $vgpr11
                                        ; implicit-def: $vgpr9
	s_and_saveexec_b64 s[4:5], vcc
	s_xor_b64 s[4:5], exec, s[4:5]
	s_cbranch_execz .LBB1185_61
; %bb.60:
	s_movk_i32 s6, 0xff
	v_lshlrev_b16_e32 v9, 8, v25
	v_and_b32_sdwa v25, v8, s6 dst_sel:DWORD dst_unused:UNUSED_PAD src0_sel:WORD_1 src1_sel:DWORD
	v_mov_b32_e32 v11, 8
	v_or_b32_sdwa v9, v25, v9 dst_sel:WORD_1 dst_unused:UNUSED_PAD src0_sel:DWORD src1_sel:DWORD
	v_lshrrev_b32_sdwa v9, v11, v8 dst_sel:BYTE_1 dst_unused:UNUSED_PRESERVE src0_sel:DWORD src1_sel:DWORD
	v_lshlrev_b16_e32 v8, 8, v12
	v_and_b32_sdwa v11, v10, s6 dst_sel:DWORD dst_unused:UNUSED_PAD src0_sel:WORD_1 src1_sel:DWORD
	v_or_b32_e32 v8, v11, v8
	s_mov_b32 s6, 0x5040c00
	v_perm_b32 v11, v8, v10, s6
	s_mov_b32 s6, 0x3060504
	v_perm_b32 v7, v7, v7, s6
                                        ; implicit-def: $vgpr25
                                        ; implicit-def: $vgpr8
                                        ; implicit-def: $vgpr10
                                        ; implicit-def: $vgpr12
.LBB1185_61:
	s_andn2_saveexec_b64 s[6:7], s[4:5]
	s_cbranch_execz .LBB1185_65
; %bb.62:
	v_add_u32_e32 v9, s37, v19
	v_add_u32_e32 v11, s39, v19
	v_mul_lo_u32 v9, v9, s36
	v_mul_lo_u32 v11, v11, s38
	s_mov_b64 s[8:9], 0
	v_sub_u32_e32 v9, v9, v11
	v_cmp_lt_u32_e32 vcc, s40, v9
	v_cmp_ge_u32_e64 s[4:5], s40, v9
	s_and_saveexec_b64 s[10:11], s[4:5]
	s_cbranch_execz .LBB1185_64
; %bb.63:
	v_add_u32_e32 v9, s42, v19
	v_add_u32_e32 v11, s56, v19
	v_mul_lo_u32 v9, v9, s41
	v_mul_lo_u32 v11, v11, s43
	v_sub_u32_e32 v9, v9, v11
	v_cmp_lt_u32_e64 s[4:5], s57, v9
	s_and_b64 s[8:9], s[4:5], exec
.LBB1185_64:
	s_or_b64 exec, exec, s[10:11]
	s_movk_i32 s4, 0xff
	v_lshlrev_b16_e32 v25, 8, v25
	v_and_b32_sdwa v26, v8, s4 dst_sel:DWORD dst_unused:UNUSED_PAD src0_sel:WORD_1 src1_sel:DWORD
	v_or_b32_sdwa v25, v26, v25 dst_sel:WORD_1 dst_unused:UNUSED_PAD src0_sel:DWORD src1_sel:DWORD
	v_mov_b32_e32 v26, 8
	v_cndmask_b32_e64 v9, 0, 1, vcc
	v_lshrrev_b32_sdwa v8, v26, v8 dst_sel:BYTE_1 dst_unused:UNUSED_PAD src0_sel:DWORD src1_sel:DWORD
	v_cndmask_b32_e64 v11, 0, 1, s[8:9]
	v_or_b32_e32 v8, v9, v8
	v_or_b32_sdwa v9, v8, v25 dst_sel:DWORD dst_unused:UNUSED_PAD src0_sel:WORD_0 src1_sel:DWORD
	v_lshlrev_b16_e32 v8, 8, v11
	v_or_b32_sdwa v8, v10, v8 dst_sel:DWORD dst_unused:UNUSED_PAD src0_sel:BYTE_0 src1_sel:DWORD
	v_lshlrev_b16_e32 v11, 8, v12
	v_and_b32_sdwa v10, v10, s4 dst_sel:DWORD dst_unused:UNUSED_PAD src0_sel:WORD_1 src1_sel:DWORD
	v_or_b32_sdwa v10, v10, v11 dst_sel:WORD_1 dst_unused:UNUSED_PAD src0_sel:DWORD src1_sel:DWORD
	v_or_b32_sdwa v11, v8, v10 dst_sel:DWORD dst_unused:UNUSED_PAD src0_sel:WORD_0 src1_sel:DWORD
.LBB1185_65:
	s_or_b64 exec, exec, s[6:7]
	v_add_u32_e32 v8, 5, v35
	v_cmp_le_u32_e32 vcc, s16, v8
	v_lshrrev_b32_e32 v12, 24, v11
	v_lshrrev_b32_e32 v25, 24, v9
                                        ; implicit-def: $vgpr8
                                        ; implicit-def: $vgpr10
	s_and_saveexec_b64 s[4:5], vcc
	s_xor_b64 s[4:5], exec, s[4:5]
	s_cbranch_execz .LBB1185_67
; %bb.66:
	s_mov_b32 s6, 0x40c0100
	v_perm_b32 v8, v12, v11, s6
	s_movk_i32 s6, 0xff
	v_lshlrev_b16_e32 v10, 8, v25
	v_and_b32_sdwa v11, v9, s6 dst_sel:DWORD dst_unused:UNUSED_PAD src0_sel:WORD_1 src1_sel:DWORD
	v_or_b32_e32 v10, v11, v10
	s_mov_b32 s6, 0x5040c00
	v_perm_b32 v10, v10, v9, s6
	v_mov_b32_e32 v9, 8
	v_lshrrev_b32_sdwa v9, v9, v8 dst_sel:BYTE_1 dst_unused:UNUSED_PAD src0_sel:DWORD src1_sel:DWORD
	v_or_b32_sdwa v9, v8, v9 dst_sel:DWORD dst_unused:UNUSED_PAD src0_sel:BYTE_0 src1_sel:DWORD
	v_and_b32_e32 v9, 0xffff, v9
	s_mov_b32 s6, 0xff000000
	v_and_or_b32 v8, v8, s6, v9
	s_mov_b32 s6, 0x3060504
	v_perm_b32 v7, v7, v7, s6
                                        ; implicit-def: $vgpr9
                                        ; implicit-def: $vgpr25
                                        ; implicit-def: $vgpr11
                                        ; implicit-def: $vgpr12
.LBB1185_67:
	s_andn2_saveexec_b64 s[6:7], s[4:5]
	s_cbranch_execz .LBB1185_71
; %bb.68:
	v_add_u32_e32 v8, s37, v20
	v_add_u32_e32 v10, s39, v20
	v_mul_lo_u32 v8, v8, s36
	v_mul_lo_u32 v10, v10, s38
	s_mov_b64 s[8:9], 0
	v_sub_u32_e32 v8, v8, v10
	v_cmp_lt_u32_e32 vcc, s40, v8
	v_cmp_ge_u32_e64 s[4:5], s40, v8
	s_and_saveexec_b64 s[10:11], s[4:5]
	s_cbranch_execz .LBB1185_70
; %bb.69:
	v_add_u32_e32 v8, s42, v20
	v_add_u32_e32 v10, s56, v20
	v_mul_lo_u32 v8, v8, s41
	v_mul_lo_u32 v10, v10, s43
	v_sub_u32_e32 v8, v8, v10
	v_cmp_lt_u32_e64 s[4:5], s57, v8
	s_and_b64 s[8:9], s[4:5], exec
.LBB1185_70:
	s_or_b64 exec, exec, s[10:11]
	v_cndmask_b32_e64 v8, 0, 1, vcc
	v_lshlrev_b16_e32 v8, 8, v8
	s_movk_i32 s4, 0xff
	v_or_b32_sdwa v8, v9, v8 dst_sel:DWORD dst_unused:UNUSED_PAD src0_sel:BYTE_0 src1_sel:DWORD
	v_lshlrev_b16_e32 v10, 8, v25
	v_and_b32_sdwa v9, v9, s4 dst_sel:DWORD dst_unused:UNUSED_PAD src0_sel:WORD_1 src1_sel:DWORD
	v_or_b32_sdwa v9, v9, v10 dst_sel:WORD_1 dst_unused:UNUSED_PAD src0_sel:DWORD src1_sel:DWORD
	v_or_b32_sdwa v10, v8, v9 dst_sel:DWORD dst_unused:UNUSED_PAD src0_sel:WORD_0 src1_sel:DWORD
	v_mov_b32_e32 v8, 8
	v_cndmask_b32_e64 v26, 0, 1, s[8:9]
	v_lshrrev_b32_sdwa v8, v8, v11 dst_sel:BYTE_1 dst_unused:UNUSED_PAD src0_sel:DWORD src1_sel:DWORD
	v_lshlrev_b16_e32 v9, 8, v12
	v_or_b32_sdwa v8, v11, v8 dst_sel:DWORD dst_unused:UNUSED_PAD src0_sel:BYTE_0 src1_sel:DWORD
	v_or_b32_sdwa v9, v26, v9 dst_sel:WORD_1 dst_unused:UNUSED_PAD src0_sel:DWORD src1_sel:DWORD
	v_or_b32_sdwa v8, v8, v9 dst_sel:DWORD dst_unused:UNUSED_PAD src0_sel:WORD_0 src1_sel:DWORD
.LBB1185_71:
	s_or_b64 exec, exec, s[6:7]
	v_add_u32_e32 v9, 6, v35
	v_cmp_le_u32_e32 vcc, s16, v9
	v_lshrrev_b32_e32 v11, 24, v10
                                        ; implicit-def: $vgpr37
                                        ; implicit-def: $vgpr9
	s_and_saveexec_b64 s[4:5], vcc
	s_xor_b64 s[4:5], exec, s[4:5]
	s_cbranch_execz .LBB1185_73
; %bb.72:
	s_mov_b32 s6, 0x40c0100
	v_perm_b32 v9, v11, v10, s6
	v_mov_b32_e32 v10, 8
	v_lshrrev_b32_sdwa v10, v10, v9 dst_sel:BYTE_1 dst_unused:UNUSED_PAD src0_sel:DWORD src1_sel:DWORD
	v_or_b32_sdwa v10, v9, v10 dst_sel:DWORD dst_unused:UNUSED_PAD src0_sel:BYTE_0 src1_sel:DWORD
	v_and_b32_e32 v10, 0xffff, v10
	s_mov_b32 s6, 0xff000000
	v_and_b32_e32 v12, 0xff0000, v8
	v_and_or_b32 v9, v9, s6, v10
	s_mov_b32 s6, 0x3020504
	v_perm_b32 v37, v8, v12, s6
	s_mov_b32 s6, 0x3060504
	v_perm_b32 v7, v7, v7, s6
                                        ; implicit-def: $vgpr10
                                        ; implicit-def: $vgpr11
                                        ; implicit-def: $vgpr8
.LBB1185_73:
	s_andn2_saveexec_b64 s[6:7], s[4:5]
	s_cbranch_execz .LBB1185_77
; %bb.74:
	v_add_u32_e32 v9, s37, v17
	v_add_u32_e32 v12, s39, v17
	v_mul_lo_u32 v9, v9, s36
	v_mul_lo_u32 v12, v12, s38
	s_mov_b64 s[8:9], 0
	v_sub_u32_e32 v9, v9, v12
	v_cmp_lt_u32_e32 vcc, s40, v9
	v_cmp_ge_u32_e64 s[4:5], s40, v9
	s_and_saveexec_b64 s[10:11], s[4:5]
	s_cbranch_execz .LBB1185_76
; %bb.75:
	v_add_u32_e32 v9, s42, v17
	v_add_u32_e32 v12, s56, v17
	v_mul_lo_u32 v9, v9, s41
	v_mul_lo_u32 v12, v12, s43
	v_sub_u32_e32 v9, v9, v12
	v_cmp_lt_u32_e64 s[4:5], s57, v9
	s_and_b64 s[8:9], s[4:5], exec
.LBB1185_76:
	s_or_b64 exec, exec, s[10:11]
	v_mov_b32_e32 v25, 8
	v_cndmask_b32_e64 v9, 0, 1, vcc
	v_lshrrev_b32_sdwa v26, v25, v10 dst_sel:BYTE_1 dst_unused:UNUSED_PAD src0_sel:DWORD src1_sel:DWORD
	v_lshlrev_b16_e32 v11, 8, v11
	v_or_b32_sdwa v10, v10, v26 dst_sel:DWORD dst_unused:UNUSED_PAD src0_sel:BYTE_0 src1_sel:DWORD
	v_or_b32_sdwa v9, v9, v11 dst_sel:WORD_1 dst_unused:UNUSED_PAD src0_sel:DWORD src1_sel:DWORD
	v_cndmask_b32_e64 v12, 0, 1, s[8:9]
	s_movk_i32 s4, 0xff
	v_or_b32_sdwa v9, v10, v9 dst_sel:DWORD dst_unused:UNUSED_PAD src0_sel:WORD_0 src1_sel:DWORD
	v_lshrrev_b32_sdwa v10, v25, v8 dst_sel:BYTE_1 dst_unused:UNUSED_PAD src0_sel:DWORD src1_sel:DWORD
	v_or_b32_sdwa v10, v8, v10 dst_sel:DWORD dst_unused:UNUSED_PAD src0_sel:BYTE_0 src1_sel:DWORD
	v_lshlrev_b16_e32 v11, 8, v12
	v_and_b32_sdwa v8, v8, s4 dst_sel:DWORD dst_unused:UNUSED_PAD src0_sel:WORD_1 src1_sel:DWORD
	v_or_b32_sdwa v8, v8, v11 dst_sel:WORD_1 dst_unused:UNUSED_PAD src0_sel:DWORD src1_sel:DWORD
	v_or_b32_sdwa v37, v10, v8 dst_sel:DWORD dst_unused:UNUSED_PAD src0_sel:WORD_0 src1_sel:DWORD
.LBB1185_77:
	s_or_b64 exec, exec, s[6:7]
	v_add_u32_e32 v8, 7, v35
	v_cmp_le_u32_e32 vcc, s16, v8
	v_lshrrev_b32_e32 v10, 24, v7
                                        ; implicit-def: $vgpr8
                                        ; implicit-def: $vgpr38
	s_and_saveexec_b64 s[4:5], vcc
	s_xor_b64 s[4:5], exec, s[4:5]
; %bb.78:
	v_and_b32_e32 v8, 0xff0000, v9
	s_mov_b32 s6, 0x3020504
	v_perm_b32 v38, v9, v8, s6
	s_movk_i32 s6, 0xff
	v_lshlrev_b16_e32 v8, 8, v10
	v_and_b32_sdwa v9, v7, s6 dst_sel:DWORD dst_unused:UNUSED_PAD src0_sel:WORD_1 src1_sel:DWORD
	v_mov_b32_e32 v11, 8
	v_or_b32_sdwa v8, v9, v8 dst_sel:WORD_1 dst_unused:UNUSED_PAD src0_sel:DWORD src1_sel:DWORD
	v_lshrrev_b32_sdwa v8, v11, v7 dst_sel:BYTE_1 dst_unused:UNUSED_PRESERVE src0_sel:DWORD src1_sel:DWORD
                                        ; implicit-def: $vgpr9
                                        ; implicit-def: $vgpr10
                                        ; implicit-def: $vgpr7
; %bb.79:
	s_andn2_saveexec_b64 s[6:7], s[4:5]
	s_cbranch_execz .LBB1185_83
; %bb.80:
	v_add_u32_e32 v8, s37, v18
	v_add_u32_e32 v11, s39, v18
	v_mul_lo_u32 v8, v8, s36
	v_mul_lo_u32 v11, v11, s38
	s_mov_b64 s[8:9], 0
	v_sub_u32_e32 v8, v8, v11
	v_cmp_lt_u32_e32 vcc, s40, v8
	v_cmp_ge_u32_e64 s[4:5], s40, v8
	s_and_saveexec_b64 s[10:11], s[4:5]
	s_cbranch_execz .LBB1185_82
; %bb.81:
	v_add_u32_e32 v8, s42, v18
	v_add_u32_e32 v11, s56, v18
	v_mul_lo_u32 v8, v8, s41
	v_mul_lo_u32 v11, v11, s43
	v_sub_u32_e32 v8, v8, v11
	v_cmp_lt_u32_e64 s[4:5], s57, v8
	s_and_b64 s[8:9], s[4:5], exec
.LBB1185_82:
	s_or_b64 exec, exec, s[10:11]
	v_mov_b32_e32 v12, 8
	v_cndmask_b32_e64 v8, 0, 1, vcc
	s_movk_i32 s4, 0xff
	v_lshrrev_b32_sdwa v25, v12, v9 dst_sel:BYTE_1 dst_unused:UNUSED_PAD src0_sel:DWORD src1_sel:DWORD
	v_or_b32_sdwa v25, v9, v25 dst_sel:DWORD dst_unused:UNUSED_PAD src0_sel:BYTE_0 src1_sel:DWORD
	v_lshlrev_b16_e32 v8, 8, v8
	v_and_b32_sdwa v9, v9, s4 dst_sel:DWORD dst_unused:UNUSED_PAD src0_sel:WORD_1 src1_sel:DWORD
	v_or_b32_sdwa v8, v9, v8 dst_sel:WORD_1 dst_unused:UNUSED_PAD src0_sel:DWORD src1_sel:DWORD
	v_cndmask_b32_e64 v11, 0, 1, s[8:9]
	v_or_b32_sdwa v38, v25, v8 dst_sel:DWORD dst_unused:UNUSED_PAD src0_sel:WORD_0 src1_sel:DWORD
	v_lshlrev_b16_e32 v8, 8, v10
	v_and_b32_sdwa v9, v7, s4 dst_sel:DWORD dst_unused:UNUSED_PAD src0_sel:WORD_1 src1_sel:DWORD
	v_lshrrev_b32_sdwa v7, v12, v7 dst_sel:BYTE_1 dst_unused:UNUSED_PAD src0_sel:DWORD src1_sel:DWORD
	v_or_b32_sdwa v8, v9, v8 dst_sel:WORD_1 dst_unused:UNUSED_PAD src0_sel:DWORD src1_sel:DWORD
	v_or_b32_e32 v7, v11, v7
	v_or_b32_sdwa v8, v7, v8 dst_sel:DWORD dst_unused:UNUSED_PAD src0_sel:WORD_0 src1_sel:DWORD
.LBB1185_83:
	s_or_b64 exec, exec, s[6:7]
	v_add_u32_e32 v7, 8, v35
	v_cmp_le_u32_e32 vcc, s16, v7
	v_lshrrev_b32_e32 v10, 24, v8
	v_lshrrev_b32_e32 v11, 24, v6
                                        ; implicit-def: $vgpr9
                                        ; implicit-def: $vgpr7
	s_and_saveexec_b64 s[4:5], vcc
	s_xor_b64 s[4:5], exec, s[4:5]
	s_cbranch_execz .LBB1185_85
; %bb.84:
	s_movk_i32 s6, 0xff
	v_lshlrev_b16_e32 v7, 8, v11
	v_and_b32_sdwa v9, v6, s6 dst_sel:DWORD dst_unused:UNUSED_PAD src0_sel:WORD_1 src1_sel:DWORD
	v_or_b32_sdwa v7, v9, v7 dst_sel:WORD_1 dst_unused:UNUSED_PAD src0_sel:DWORD src1_sel:DWORD
	v_mov_b32_e32 v9, 8
	v_lshrrev_b32_sdwa v7, v9, v6 dst_sel:BYTE_1 dst_unused:UNUSED_PRESERVE src0_sel:DWORD src1_sel:DWORD
	v_lshlrev_b16_e32 v6, 8, v10
	v_and_b32_sdwa v9, v8, s6 dst_sel:DWORD dst_unused:UNUSED_PAD src0_sel:WORD_1 src1_sel:DWORD
	s_mov_b32 s7, 0x3060504
	v_or_b32_e32 v6, v9, v6
	s_mov_b32 s6, 0x5040c00
	v_perm_b32 v5, v5, v5, s7
	v_perm_b32 v9, v6, v8, s6
                                        ; implicit-def: $vgpr11
                                        ; implicit-def: $vgpr6
                                        ; implicit-def: $vgpr8
                                        ; implicit-def: $vgpr10
.LBB1185_85:
	s_andn2_saveexec_b64 s[6:7], s[4:5]
	s_cbranch_execz .LBB1185_89
; %bb.86:
	v_add_u32_e32 v7, s37, v15
	v_add_u32_e32 v9, s39, v15
	v_mul_lo_u32 v7, v7, s36
	v_mul_lo_u32 v9, v9, s38
	s_mov_b64 s[8:9], 0
	v_sub_u32_e32 v7, v7, v9
	v_cmp_lt_u32_e32 vcc, s40, v7
	v_cmp_ge_u32_e64 s[4:5], s40, v7
	s_and_saveexec_b64 s[10:11], s[4:5]
	s_cbranch_execz .LBB1185_88
; %bb.87:
	v_add_u32_e32 v7, s42, v15
	v_add_u32_e32 v9, s56, v15
	v_mul_lo_u32 v7, v7, s41
	v_mul_lo_u32 v9, v9, s43
	v_sub_u32_e32 v7, v7, v9
	v_cmp_lt_u32_e64 s[4:5], s57, v7
	s_and_b64 s[8:9], s[4:5], exec
.LBB1185_88:
	s_or_b64 exec, exec, s[10:11]
	s_movk_i32 s4, 0xff
	v_lshlrev_b16_e32 v11, 8, v11
	v_and_b32_sdwa v12, v6, s4 dst_sel:DWORD dst_unused:UNUSED_PAD src0_sel:WORD_1 src1_sel:DWORD
	v_or_b32_sdwa v11, v12, v11 dst_sel:WORD_1 dst_unused:UNUSED_PAD src0_sel:DWORD src1_sel:DWORD
	v_mov_b32_e32 v12, 8
	v_cndmask_b32_e64 v7, 0, 1, vcc
	v_lshrrev_b32_sdwa v6, v12, v6 dst_sel:BYTE_1 dst_unused:UNUSED_PAD src0_sel:DWORD src1_sel:DWORD
	v_cndmask_b32_e64 v9, 0, 1, s[8:9]
	v_or_b32_e32 v6, v7, v6
	v_or_b32_sdwa v7, v6, v11 dst_sel:DWORD dst_unused:UNUSED_PAD src0_sel:WORD_0 src1_sel:DWORD
	v_lshlrev_b16_e32 v6, 8, v9
	v_or_b32_sdwa v6, v8, v6 dst_sel:DWORD dst_unused:UNUSED_PAD src0_sel:BYTE_0 src1_sel:DWORD
	v_lshlrev_b16_e32 v9, 8, v10
	v_and_b32_sdwa v8, v8, s4 dst_sel:DWORD dst_unused:UNUSED_PAD src0_sel:WORD_1 src1_sel:DWORD
	v_or_b32_sdwa v8, v8, v9 dst_sel:WORD_1 dst_unused:UNUSED_PAD src0_sel:DWORD src1_sel:DWORD
	v_or_b32_sdwa v9, v6, v8 dst_sel:DWORD dst_unused:UNUSED_PAD src0_sel:WORD_0 src1_sel:DWORD
.LBB1185_89:
	s_or_b64 exec, exec, s[6:7]
	v_add_u32_e32 v6, 9, v35
	v_cmp_le_u32_e32 vcc, s16, v6
	v_lshrrev_b32_e32 v10, 24, v9
	v_lshrrev_b32_e32 v11, 24, v7
                                        ; implicit-def: $vgpr6
                                        ; implicit-def: $vgpr8
	s_and_saveexec_b64 s[4:5], vcc
	s_xor_b64 s[4:5], exec, s[4:5]
	s_cbranch_execz .LBB1185_91
; %bb.90:
	s_mov_b32 s6, 0x40c0100
	v_perm_b32 v6, v10, v9, s6
	v_mov_b32_e32 v8, 8
	s_movk_i32 s6, 0xff
	v_lshrrev_b32_sdwa v9, v8, v6 dst_sel:BYTE_1 dst_unused:UNUSED_PAD src0_sel:DWORD src1_sel:DWORD
	v_lshlrev_b16_e32 v8, 8, v11
	v_and_b32_sdwa v10, v7, s6 dst_sel:DWORD dst_unused:UNUSED_PAD src0_sel:WORD_1 src1_sel:DWORD
	v_or_b32_e32 v8, v10, v8
	s_mov_b32 s6, 0x5040c00
	v_perm_b32 v8, v8, v7, s6
	s_mov_b32 s6, 0x3060504
	v_or_b32_sdwa v7, v6, v9 dst_sel:DWORD dst_unused:UNUSED_PAD src0_sel:BYTE_0 src1_sel:DWORD
	v_perm_b32 v5, v5, v5, s6
	v_and_b32_e32 v7, 0xffff, v7
	s_mov_b32 s6, 0xff000000
	v_and_or_b32 v6, v6, s6, v7
                                        ; implicit-def: $vgpr7
                                        ; implicit-def: $vgpr11
                                        ; implicit-def: $vgpr9
                                        ; implicit-def: $vgpr10
.LBB1185_91:
	s_andn2_saveexec_b64 s[6:7], s[4:5]
	s_cbranch_execz .LBB1185_95
; %bb.92:
	v_add_u32_e32 v6, s37, v16
	v_add_u32_e32 v8, s39, v16
	v_mul_lo_u32 v6, v6, s36
	v_mul_lo_u32 v8, v8, s38
	s_mov_b64 s[8:9], 0
	v_sub_u32_e32 v6, v6, v8
	v_cmp_lt_u32_e32 vcc, s40, v6
	v_cmp_ge_u32_e64 s[4:5], s40, v6
	s_and_saveexec_b64 s[10:11], s[4:5]
	s_cbranch_execz .LBB1185_94
; %bb.93:
	v_add_u32_e32 v6, s42, v16
	v_add_u32_e32 v8, s56, v16
	v_mul_lo_u32 v6, v6, s41
	v_mul_lo_u32 v8, v8, s43
	v_sub_u32_e32 v6, v6, v8
	v_cmp_lt_u32_e64 s[4:5], s57, v6
	s_and_b64 s[8:9], s[4:5], exec
.LBB1185_94:
	s_or_b64 exec, exec, s[10:11]
	v_cndmask_b32_e64 v6, 0, 1, vcc
	v_lshlrev_b16_e32 v6, 8, v6
	s_movk_i32 s4, 0xff
	v_or_b32_sdwa v6, v7, v6 dst_sel:DWORD dst_unused:UNUSED_PAD src0_sel:BYTE_0 src1_sel:DWORD
	v_lshlrev_b16_e32 v8, 8, v11
	v_and_b32_sdwa v7, v7, s4 dst_sel:DWORD dst_unused:UNUSED_PAD src0_sel:WORD_1 src1_sel:DWORD
	v_or_b32_sdwa v7, v7, v8 dst_sel:WORD_1 dst_unused:UNUSED_PAD src0_sel:DWORD src1_sel:DWORD
	v_or_b32_sdwa v8, v6, v7 dst_sel:DWORD dst_unused:UNUSED_PAD src0_sel:WORD_0 src1_sel:DWORD
	v_mov_b32_e32 v6, 8
	v_cndmask_b32_e64 v12, 0, 1, s[8:9]
	v_lshrrev_b32_sdwa v6, v6, v9 dst_sel:BYTE_1 dst_unused:UNUSED_PAD src0_sel:DWORD src1_sel:DWORD
	v_lshlrev_b16_e32 v7, 8, v10
	v_or_b32_sdwa v6, v9, v6 dst_sel:DWORD dst_unused:UNUSED_PAD src0_sel:BYTE_0 src1_sel:DWORD
	v_or_b32_sdwa v7, v12, v7 dst_sel:WORD_1 dst_unused:UNUSED_PAD src0_sel:DWORD src1_sel:DWORD
	v_or_b32_sdwa v6, v6, v7 dst_sel:DWORD dst_unused:UNUSED_PAD src0_sel:WORD_0 src1_sel:DWORD
.LBB1185_95:
	s_or_b64 exec, exec, s[6:7]
	v_add_u32_e32 v7, 10, v35
	v_cmp_le_u32_e32 vcc, s16, v7
	v_lshrrev_b32_e32 v9, 24, v8
                                        ; implicit-def: $vgpr39
                                        ; implicit-def: $vgpr7
	s_and_saveexec_b64 s[4:5], vcc
	s_xor_b64 s[4:5], exec, s[4:5]
	s_cbranch_execz .LBB1185_97
; %bb.96:
	s_mov_b32 s6, 0x40c0100
	v_perm_b32 v7, v9, v8, s6
	v_mov_b32_e32 v8, 8
	v_lshrrev_b32_sdwa v8, v8, v7 dst_sel:BYTE_1 dst_unused:UNUSED_PAD src0_sel:DWORD src1_sel:DWORD
	v_or_b32_sdwa v8, v7, v8 dst_sel:DWORD dst_unused:UNUSED_PAD src0_sel:BYTE_0 src1_sel:DWORD
	v_and_b32_e32 v8, 0xffff, v8
	s_mov_b32 s6, 0xff000000
	v_and_or_b32 v7, v7, s6, v8
	s_mov_b32 s6, 0x3060504
	v_and_b32_e32 v10, 0xff0000, v6
	v_perm_b32 v5, v5, v5, s6
	s_mov_b32 s6, 0x3020504
	v_perm_b32 v39, v6, v10, s6
                                        ; implicit-def: $vgpr8
                                        ; implicit-def: $vgpr9
                                        ; implicit-def: $vgpr6
.LBB1185_97:
	s_andn2_saveexec_b64 s[6:7], s[4:5]
	s_cbranch_execz .LBB1185_101
; %bb.98:
	v_add_u32_e32 v7, s37, v13
	v_add_u32_e32 v10, s39, v13
	v_mul_lo_u32 v7, v7, s36
	v_mul_lo_u32 v10, v10, s38
	s_mov_b64 s[8:9], 0
	v_sub_u32_e32 v7, v7, v10
	v_cmp_lt_u32_e32 vcc, s40, v7
	v_cmp_ge_u32_e64 s[4:5], s40, v7
	s_and_saveexec_b64 s[10:11], s[4:5]
	s_cbranch_execz .LBB1185_100
; %bb.99:
	v_add_u32_e32 v7, s42, v13
	v_add_u32_e32 v10, s56, v13
	v_mul_lo_u32 v7, v7, s41
	v_mul_lo_u32 v10, v10, s43
	v_sub_u32_e32 v7, v7, v10
	v_cmp_lt_u32_e64 s[4:5], s57, v7
	s_and_b64 s[8:9], s[4:5], exec
.LBB1185_100:
	s_or_b64 exec, exec, s[10:11]
	v_mov_b32_e32 v11, 8
	v_cndmask_b32_e64 v7, 0, 1, vcc
	v_lshrrev_b32_sdwa v12, v11, v8 dst_sel:BYTE_1 dst_unused:UNUSED_PAD src0_sel:DWORD src1_sel:DWORD
	v_lshlrev_b16_e32 v9, 8, v9
	v_or_b32_sdwa v8, v8, v12 dst_sel:DWORD dst_unused:UNUSED_PAD src0_sel:BYTE_0 src1_sel:DWORD
	v_or_b32_sdwa v7, v7, v9 dst_sel:WORD_1 dst_unused:UNUSED_PAD src0_sel:DWORD src1_sel:DWORD
	v_cndmask_b32_e64 v10, 0, 1, s[8:9]
	s_movk_i32 s4, 0xff
	v_or_b32_sdwa v7, v8, v7 dst_sel:DWORD dst_unused:UNUSED_PAD src0_sel:WORD_0 src1_sel:DWORD
	v_lshrrev_b32_sdwa v8, v11, v6 dst_sel:BYTE_1 dst_unused:UNUSED_PAD src0_sel:DWORD src1_sel:DWORD
	v_or_b32_sdwa v8, v6, v8 dst_sel:DWORD dst_unused:UNUSED_PAD src0_sel:BYTE_0 src1_sel:DWORD
	v_lshlrev_b16_e32 v9, 8, v10
	v_and_b32_sdwa v6, v6, s4 dst_sel:DWORD dst_unused:UNUSED_PAD src0_sel:WORD_1 src1_sel:DWORD
	v_or_b32_sdwa v6, v6, v9 dst_sel:WORD_1 dst_unused:UNUSED_PAD src0_sel:DWORD src1_sel:DWORD
	v_or_b32_sdwa v39, v8, v6 dst_sel:DWORD dst_unused:UNUSED_PAD src0_sel:WORD_0 src1_sel:DWORD
.LBB1185_101:
	s_or_b64 exec, exec, s[6:7]
	v_add_u32_e32 v6, 11, v35
	v_mov_b32_e32 v40, 0
	v_cmp_le_u32_e32 vcc, s16, v6
                                        ; implicit-def: $vgpr41
	s_and_saveexec_b64 s[4:5], vcc
	s_xor_b64 s[4:5], exec, s[4:5]
; %bb.102:
	v_and_b32_e32 v6, 0xff0000, v7
	s_mov_b32 s6, 0x3020504
	v_perm_b32 v41, v7, v6, s6
	s_mov_b32 s6, 0x3060504
	v_perm_b32 v5, v5, v5, s6
                                        ; implicit-def: $vgpr7
; %bb.103:
	s_andn2_saveexec_b64 s[6:7], s[4:5]
	s_cbranch_execz .LBB1185_107
; %bb.104:
	v_add_u32_e32 v6, s37, v14
	v_add_u32_e32 v8, s39, v14
	v_mul_lo_u32 v6, v6, s36
	v_mul_lo_u32 v8, v8, s38
	s_mov_b64 s[8:9], 0
	v_sub_u32_e32 v6, v6, v8
	v_cmp_lt_u32_e32 vcc, s40, v6
	v_cmp_ge_u32_e64 s[4:5], s40, v6
	s_and_saveexec_b64 s[10:11], s[4:5]
	s_cbranch_execz .LBB1185_106
; %bb.105:
	v_add_u32_e32 v6, s42, v14
	v_add_u32_e32 v8, s56, v14
	v_mul_lo_u32 v6, v6, s41
	v_mul_lo_u32 v8, v8, s43
	v_sub_u32_e32 v6, v6, v8
	v_cmp_lt_u32_e64 s[4:5], s57, v6
	s_and_b64 s[8:9], s[4:5], exec
.LBB1185_106:
	s_or_b64 exec, exec, s[10:11]
	v_mov_b32_e32 v8, 8
	v_cndmask_b32_e64 v6, 0, 1, vcc
	s_movk_i32 s4, 0xff
	v_lshrrev_b32_sdwa v8, v8, v7 dst_sel:BYTE_1 dst_unused:UNUSED_PAD src0_sel:DWORD src1_sel:DWORD
	v_or_b32_sdwa v8, v7, v8 dst_sel:DWORD dst_unused:UNUSED_PAD src0_sel:BYTE_0 src1_sel:DWORD
	v_lshlrev_b16_e32 v6, 8, v6
	v_and_b32_sdwa v7, v7, s4 dst_sel:DWORD dst_unused:UNUSED_PAD src0_sel:WORD_1 src1_sel:DWORD
	v_or_b32_sdwa v6, v7, v6 dst_sel:WORD_1 dst_unused:UNUSED_PAD src0_sel:DWORD src1_sel:DWORD
	v_cndmask_b32_e64 v40, 0, 1, s[8:9]
	v_or_b32_sdwa v41, v8, v6 dst_sel:DWORD dst_unused:UNUSED_PAD src0_sel:WORD_0 src1_sel:DWORD
.LBB1185_107:
	s_or_b64 exec, exec, s[6:7]
	v_add_u32_e32 v6, 12, v35
	v_cmp_le_u32_e32 vcc, s16, v6
	v_lshrrev_b32_e32 v6, 24, v5
                                        ; implicit-def: $vgpr42
	s_and_saveexec_b64 s[4:5], vcc
	s_xor_b64 s[4:5], exec, s[4:5]
; %bb.108:
	s_movk_i32 s6, 0xff
	v_lshlrev_b16_e32 v6, 8, v6
	v_and_b32_sdwa v8, v5, s6 dst_sel:DWORD dst_unused:UNUSED_PAD src0_sel:WORD_1 src1_sel:DWORD
	v_mov_b32_e32 v7, 8
	v_or_b32_sdwa v42, v8, v6 dst_sel:WORD_1 dst_unused:UNUSED_PAD src0_sel:DWORD src1_sel:DWORD
	v_lshrrev_b32_sdwa v42, v7, v5 dst_sel:BYTE_1 dst_unused:UNUSED_PRESERVE src0_sel:DWORD src1_sel:DWORD
                                        ; implicit-def: $vgpr6
                                        ; implicit-def: $vgpr5
; %bb.109:
	s_or_saveexec_b64 s[6:7], s[4:5]
	v_mov_b32_e32 v43, 0
	s_xor_b64 exec, exec, s[6:7]
	s_cbranch_execz .LBB1185_113
; %bb.110:
	v_add_u32_e32 v7, s37, v34
	v_add_u32_e32 v8, s39, v34
	v_mul_lo_u32 v7, v7, s36
	v_mul_lo_u32 v8, v8, s38
	s_mov_b64 s[8:9], 0
	v_sub_u32_e32 v7, v7, v8
	v_cmp_lt_u32_e32 vcc, s40, v7
	v_cmp_ge_u32_e64 s[4:5], s40, v7
	s_and_saveexec_b64 s[10:11], s[4:5]
	s_cbranch_execz .LBB1185_112
; %bb.111:
	v_add_u32_e32 v7, s42, v34
	v_add_u32_e32 v8, s56, v34
	v_mul_lo_u32 v7, v7, s41
	v_mul_lo_u32 v8, v8, s43
	v_sub_u32_e32 v7, v7, v8
	v_cmp_lt_u32_e64 s[4:5], s57, v7
	s_and_b64 s[8:9], s[4:5], exec
.LBB1185_112:
	s_or_b64 exec, exec, s[10:11]
	s_movk_i32 s4, 0xff
	v_lshlrev_b16_e32 v6, 8, v6
	v_and_b32_sdwa v8, v5, s4 dst_sel:DWORD dst_unused:UNUSED_PAD src0_sel:WORD_1 src1_sel:DWORD
	v_or_b32_sdwa v6, v8, v6 dst_sel:WORD_1 dst_unused:UNUSED_PAD src0_sel:DWORD src1_sel:DWORD
	v_mov_b32_e32 v8, 8
	v_cndmask_b32_e64 v7, 0, 1, vcc
	v_lshrrev_b32_sdwa v5, v8, v5 dst_sel:BYTE_1 dst_unused:UNUSED_PAD src0_sel:DWORD src1_sel:DWORD
	v_or_b32_e32 v5, v7, v5
	v_cndmask_b32_e64 v43, 0, 1, s[8:9]
	v_or_b32_sdwa v42, v5, v6 dst_sel:DWORD dst_unused:UNUSED_PAD src0_sel:WORD_0 src1_sel:DWORD
.LBB1185_113:
	s_or_b64 exec, exec, s[6:7]
.LBB1185_114:
	v_and_b32_e32 v53, 0xff, v36
	v_bfe_u32 v50, v36, 8, 8
	v_bfe_u32 v55, v36, 16, 8
	v_lshrrev_b32_e32 v48, 24, v36
	v_and_b32_e32 v56, 0xff, v38
	v_add3_u32 v8, v50, v53, v55
	v_bfe_u32 v51, v38, 8, 8
	v_bfe_u32 v58, v38, 16, 8
	v_add3_u32 v8, v8, v48, v56
	v_bfe_u32 v54, v42, 8, 8
	v_bfe_u32 v62, v42, 16, 8
	v_lshrrev_b32_e32 v49, 24, v42
	v_lshrrev_b32_e32 v46, 24, v38
	v_and_b32_e32 v59, 0xff, v41
	v_add3_u32 v8, v8, v51, v58
	v_and_b32_e32 v63, 0xff, v37
	v_bfe_u32 v57, v37, 8, 8
	v_bfe_u32 v52, v41, 8, 8
	;; [unrolled: 1-line block ×3, first 2 shown]
	v_add3_u32 v7, v62, v54, v49
	v_add3_u32 v8, v8, v46, v59
	v_bfe_u32 v64, v37, 16, 8
	v_lshrrev_b32_e32 v47, 24, v37
	v_lshrrev_b32_e32 v44, 24, v41
	v_and_b32_e32 v5, 0xff, v42
	v_add3_u32 v7, v7, v63, v57
	v_add3_u32 v8, v8, v52, v61
	v_and_b32_e32 v65, 0xff, v39
	v_bfe_u32 v60, v39, 8, 8
	v_add3_u32 v7, v7, v64, v47
	v_add3_u32 v73, v8, v44, v5
	v_mbcnt_lo_u32_b32 v5, -1, 0
	v_bfe_u32 v66, v39, 16, 8
	v_lshrrev_b32_e32 v45, 24, v39
	v_add3_u32 v7, v7, v65, v60
	v_mbcnt_hi_u32_b32 v68, -1, v5
	v_and_b32_e32 v67, 0xff, v40
	v_and_b32_e32 v6, 0xff, v43
	v_add3_u32 v7, v7, v66, v45
	v_and_b32_e32 v72, 15, v68
	s_cmp_lg_u32 s33, 0
	v_add3_u32 v74, v7, v67, v6
	v_cmp_eq_u32_e64 s[6:7], 0, v72
	v_cmp_lt_u32_e64 s[4:5], 1, v72
	v_cmp_lt_u32_e64 s[10:11], 3, v72
	v_cmp_lt_u32_e64 s[8:9], 7, v72
	v_and_b32_e32 v71, 16, v68
	v_cmp_lt_u32_e32 vcc, 31, v68
	v_lshrrev_b32_e32 v69, 6, v0
	v_or_b32_e32 v70, 63, v0
	s_cbranch_scc0 .LBB1185_136
; %bb.115:
	v_mov_b32_dpp v5, v73 row_shr:1 row_mask:0xf bank_mask:0xf
	v_mov_b32_dpp v6, v74 row_shr:1 row_mask:0xf bank_mask:0xf
	v_add_u32_e32 v5, v5, v73
	v_add_u32_e32 v6, v6, v74
	v_cndmask_b32_e64 v6, v6, v74, s[6:7]
	v_cndmask_b32_e64 v5, v5, v73, s[6:7]
	s_nop 0
	v_mov_b32_dpp v8, v6 row_shr:2 row_mask:0xf bank_mask:0xf
	v_mov_b32_dpp v7, v5 row_shr:2 row_mask:0xf bank_mask:0xf
	v_add_u32_e32 v7, v5, v7
	v_add_u32_e32 v8, v6, v8
	v_cndmask_b32_e64 v6, v6, v8, s[4:5]
	v_cndmask_b32_e64 v5, v5, v7, s[4:5]
	s_nop 0
	;; [unrolled: 7-line block ×3, first 2 shown]
	v_mov_b32_dpp v8, v6 row_shr:8 row_mask:0xf bank_mask:0xf
	v_mov_b32_dpp v7, v5 row_shr:8 row_mask:0xf bank_mask:0xf
	v_add_u32_e32 v7, v5, v7
	v_add_u32_e32 v8, v6, v8
	v_cndmask_b32_e64 v6, v6, v8, s[8:9]
	v_cndmask_b32_e64 v7, v5, v7, s[8:9]
	v_cmp_eq_u32_e64 s[8:9], 0, v71
	v_mov_b32_dpp v8, v6 row_bcast:15 row_mask:0xf bank_mask:0xf
	v_mov_b32_dpp v5, v7 row_bcast:15 row_mask:0xf bank_mask:0xf
	v_add_u32_e32 v9, v7, v5
	v_add_u32_e32 v5, v6, v8
	v_cndmask_b32_e64 v5, v5, v6, s[8:9]
	v_cndmask_b32_e64 v6, v9, v7, s[8:9]
	v_cmp_eq_u32_e64 s[8:9], v0, v70
	v_mov_b32_dpp v7, v5 row_bcast:31 row_mask:0xf bank_mask:0xf
	v_mov_b32_dpp v8, v6 row_bcast:31 row_mask:0xf bank_mask:0xf
	v_add_u32_e32 v7, v5, v7
	v_add_u32_e32 v8, v6, v8
	s_and_saveexec_b64 s[10:11], s[8:9]
; %bb.116:
	v_lshlrev_b32_e32 v11, 3, v69
	v_cndmask_b32_e32 v10, v5, v7, vcc
	v_cndmask_b32_e32 v9, v6, v8, vcc
	ds_write_b64 v11, v[9:10]
; %bb.117:
	s_or_b64 exec, exec, s[10:11]
	v_cmp_gt_u32_e64 s[8:9], 4, v0
	s_waitcnt lgkmcnt(0)
	s_barrier
	s_and_saveexec_b64 s[10:11], s[8:9]
	s_cbranch_execz .LBB1185_119
; %bb.118:
	v_lshlrev_b32_e32 v11, 3, v0
	ds_read_b64 v[9:10], v11
	v_and_b32_e32 v12, 3, v68
	v_cmp_eq_u32_e64 s[8:9], 0, v12
	s_waitcnt lgkmcnt(0)
	v_mov_b32_dpp v25, v9 row_shr:1 row_mask:0xf bank_mask:0xf
	v_mov_b32_dpp v26, v10 row_shr:1 row_mask:0xf bank_mask:0xf
	v_add_u32_e32 v25, v25, v9
	v_add_u32_e32 v26, v26, v10
	v_cndmask_b32_e64 v10, v26, v10, s[8:9]
	v_cndmask_b32_e64 v9, v25, v9, s[8:9]
	v_cmp_lt_u32_e64 s[8:9], 1, v12
	v_mov_b32_dpp v26, v10 row_shr:2 row_mask:0xf bank_mask:0xf
	v_mov_b32_dpp v25, v9 row_shr:2 row_mask:0xf bank_mask:0xf
	v_cndmask_b32_e64 v12, 0, v25, s[8:9]
	v_cndmask_b32_e64 v25, 0, v26, s[8:9]
	v_add_u32_e32 v10, v25, v10
	v_add_u32_e32 v9, v12, v9
	ds_write_b64 v11, v[9:10]
.LBB1185_119:
	s_or_b64 exec, exec, s[10:11]
	v_cndmask_b32_e32 v5, v5, v7, vcc
	v_cndmask_b32_e32 v6, v6, v8, vcc
	v_cmp_gt_u32_e32 vcc, 64, v0
	v_cmp_lt_u32_e64 s[8:9], 63, v0
	s_waitcnt lgkmcnt(0)
	s_barrier
                                        ; implicit-def: $vgpr25
	s_and_saveexec_b64 s[10:11], s[8:9]
	s_cbranch_execz .LBB1185_121
; %bb.120:
	v_lshl_add_u32 v7, v69, 3, -8
	ds_read_b64 v[25:26], v7
	s_waitcnt lgkmcnt(0)
	v_add_u32_e32 v5, v26, v5
	v_add_u32_e32 v6, v25, v6
.LBB1185_121:
	s_or_b64 exec, exec, s[10:11]
	v_subrev_co_u32_e64 v7, s[8:9], 1, v68
	v_and_b32_e32 v8, 64, v68
	v_cmp_lt_i32_e64 s[10:11], v7, v8
	v_cndmask_b32_e64 v7, v7, v68, s[10:11]
	v_lshlrev_b32_e32 v7, 2, v7
	ds_bpermute_b32 v75, v7, v6
	ds_bpermute_b32 v76, v7, v5
	s_and_saveexec_b64 s[10:11], vcc
	s_cbranch_execz .LBB1185_141
; %bb.122:
	v_mov_b32_e32 v8, 0
	ds_read_b64 v[5:6], v8 offset:24
	s_and_saveexec_b64 s[12:13], s[8:9]
	s_cbranch_execz .LBB1185_124
; %bb.123:
	s_add_i32 s14, s33, 64
	s_mov_b32 s15, 0
	s_lshl_b64 s[14:15], s[14:15], 4
	s_add_u32 s14, s54, s14
	s_addc_u32 s15, s55, s15
	v_mov_b32_e32 v9, s14
	v_mov_b32_e32 v7, 1
	;; [unrolled: 1-line block ×3, first 2 shown]
	s_waitcnt lgkmcnt(0)
	;;#ASMSTART
	global_store_dwordx4 v[9:10], v[5:8] off	
s_waitcnt vmcnt(0)
	;;#ASMEND
.LBB1185_124:
	s_or_b64 exec, exec, s[12:13]
	v_xad_u32 v27, v68, -1, s33
	v_add_u32_e32 v7, 64, v27
	v_lshlrev_b64 v[9:10], 4, v[7:8]
	v_mov_b32_e32 v7, s55
	v_add_co_u32_e32 v28, vcc, s54, v9
	v_addc_co_u32_e32 v29, vcc, v7, v10, vcc
	;;#ASMSTART
	global_load_dwordx4 v[9:12], v[28:29] off glc	
s_waitcnt vmcnt(0)
	;;#ASMEND
	v_cmp_eq_u16_sdwa s[14:15], v11, v8 src0_sel:BYTE_0 src1_sel:DWORD
	s_and_saveexec_b64 s[12:13], s[14:15]
	s_cbranch_execz .LBB1185_128
; %bb.125:
	s_mov_b64 s[14:15], 0
	v_mov_b32_e32 v7, 0
.LBB1185_126:                           ; =>This Inner Loop Header: Depth=1
	;;#ASMSTART
	global_load_dwordx4 v[9:12], v[28:29] off glc	
s_waitcnt vmcnt(0)
	;;#ASMEND
	v_cmp_ne_u16_sdwa s[18:19], v11, v7 src0_sel:BYTE_0 src1_sel:DWORD
	s_or_b64 s[14:15], s[18:19], s[14:15]
	s_andn2_b64 exec, exec, s[14:15]
	s_cbranch_execnz .LBB1185_126
; %bb.127:
	s_or_b64 exec, exec, s[14:15]
.LBB1185_128:
	s_or_b64 exec, exec, s[12:13]
	v_and_b32_e32 v78, 63, v68
	v_cmp_ne_u32_e32 vcc, 63, v78
	v_mov_b32_e32 v77, 2
	v_lshlrev_b64 v[29:30], v68, -1
	v_addc_co_u32_e32 v12, vcc, 0, v68, vcc
	v_cmp_eq_u16_sdwa s[12:13], v11, v77 src0_sel:BYTE_0 src1_sel:DWORD
	v_lshlrev_b32_e32 v79, 2, v12
	v_and_b32_e32 v7, s13, v30
	ds_bpermute_b32 v12, v79, v9
	ds_bpermute_b32 v28, v79, v10
	v_or_b32_e32 v7, 0x80000000, v7
	v_and_b32_e32 v8, s12, v29
	v_ffbl_b32_e32 v7, v7
	v_add_u32_e32 v7, 32, v7
	v_ffbl_b32_e32 v8, v8
	v_min_u32_e32 v7, v8, v7
	s_waitcnt lgkmcnt(1)
	v_add_u32_e32 v8, v12, v9
	s_waitcnt lgkmcnt(0)
	v_add_u32_e32 v12, v28, v10
	v_cmp_lt_u32_e32 vcc, v78, v7
	v_cndmask_b32_e32 v10, v10, v12, vcc
	v_cndmask_b32_e32 v8, v9, v8, vcc
	v_cmp_gt_u32_e32 vcc, 62, v78
	v_cndmask_b32_e64 v9, 0, 2, vcc
	v_add_lshl_u32 v80, v9, v68, 2
	ds_bpermute_b32 v9, v80, v8
	ds_bpermute_b32 v12, v80, v10
	v_add_u32_e32 v81, 2, v78
	v_cmp_gt_u32_e32 vcc, v81, v7
	v_add_u32_e32 v83, 4, v78
	s_waitcnt lgkmcnt(1)
	v_add_u32_e32 v9, v8, v9
	s_waitcnt lgkmcnt(0)
	v_add_u32_e32 v12, v10, v12
	v_cndmask_b32_e32 v10, v12, v10, vcc
	v_cndmask_b32_e32 v8, v9, v8, vcc
	v_cmp_gt_u32_e32 vcc, 60, v78
	v_cndmask_b32_e64 v9, 0, 4, vcc
	v_add_lshl_u32 v82, v9, v68, 2
	ds_bpermute_b32 v9, v82, v8
	ds_bpermute_b32 v12, v82, v10
	v_cmp_gt_u32_e32 vcc, v83, v7
	v_add_u32_e32 v85, 8, v78
	v_add_u32_e32 v87, 16, v78
	s_waitcnt lgkmcnt(1)
	v_add_u32_e32 v9, v8, v9
	s_waitcnt lgkmcnt(0)
	v_add_u32_e32 v12, v10, v12
	v_cndmask_b32_e32 v10, v12, v10, vcc
	v_cndmask_b32_e32 v8, v9, v8, vcc
	v_cmp_gt_u32_e32 vcc, 56, v78
	v_cndmask_b32_e64 v9, 0, 8, vcc
	v_add_lshl_u32 v84, v9, v68, 2
	ds_bpermute_b32 v9, v84, v8
	ds_bpermute_b32 v12, v84, v10
	v_cmp_gt_u32_e32 vcc, v85, v7
	v_add_u32_e32 v89, 32, v78
	v_mov_b32_e32 v28, 0
	s_waitcnt lgkmcnt(1)
	v_add_u32_e32 v9, v8, v9
	s_waitcnt lgkmcnt(0)
	v_add_u32_e32 v12, v10, v12
	v_cndmask_b32_e32 v10, v12, v10, vcc
	v_cndmask_b32_e32 v8, v9, v8, vcc
	v_cmp_gt_u32_e32 vcc, 48, v78
	v_cndmask_b32_e64 v9, 0, 16, vcc
	v_add_lshl_u32 v86, v9, v68, 2
	ds_bpermute_b32 v9, v86, v8
	ds_bpermute_b32 v12, v86, v10
	v_cmp_gt_u32_e32 vcc, v87, v7
	s_waitcnt lgkmcnt(1)
	v_add_u32_e32 v9, v8, v9
	s_waitcnt lgkmcnt(0)
	v_add_u32_e32 v12, v10, v12
	v_cndmask_b32_e32 v8, v9, v8, vcc
	v_mov_b32_e32 v9, 0x80
	v_cndmask_b32_e32 v10, v12, v10, vcc
	v_lshl_or_b32 v88, v68, 2, v9
	ds_bpermute_b32 v9, v88, v8
	ds_bpermute_b32 v12, v88, v10
	v_cmp_le_u32_e32 vcc, v89, v7
	s_waitcnt lgkmcnt(1)
	v_cndmask_b32_e32 v7, 0, v9, vcc
	s_waitcnt lgkmcnt(0)
	v_cndmask_b32_e32 v9, 0, v12, vcc
	v_add_u32_e32 v10, v10, v9
	v_add_u32_e32 v9, v8, v7
	s_branch .LBB1185_132
.LBB1185_129:                           ;   in Loop: Header=BB1185_132 Depth=1
	s_or_b64 exec, exec, s[14:15]
.LBB1185_130:                           ;   in Loop: Header=BB1185_132 Depth=1
	s_or_b64 exec, exec, s[12:13]
	v_cmp_eq_u16_sdwa s[12:13], v11, v77 src0_sel:BYTE_0 src1_sel:DWORD
	v_and_b32_e32 v12, s13, v30
	ds_bpermute_b32 v32, v79, v9
	ds_bpermute_b32 v90, v79, v10
	v_or_b32_e32 v12, 0x80000000, v12
	v_and_b32_e32 v31, s12, v29
	v_ffbl_b32_e32 v12, v12
	v_add_u32_e32 v12, 32, v12
	v_ffbl_b32_e32 v31, v31
	v_min_u32_e32 v12, v31, v12
	s_waitcnt lgkmcnt(1)
	v_add_u32_e32 v31, v32, v9
	s_waitcnt lgkmcnt(0)
	v_add_u32_e32 v32, v90, v10
	v_cmp_lt_u32_e32 vcc, v78, v12
	v_cndmask_b32_e32 v10, v10, v32, vcc
	v_cndmask_b32_e32 v9, v9, v31, vcc
	ds_bpermute_b32 v31, v80, v9
	ds_bpermute_b32 v32, v80, v10
	v_cmp_gt_u32_e32 vcc, v81, v12
	v_subrev_u32_e32 v27, 64, v27
	s_mov_b64 s[12:13], 0
	s_waitcnt lgkmcnt(1)
	v_add_u32_e32 v31, v9, v31
	s_waitcnt lgkmcnt(0)
	v_add_u32_e32 v32, v10, v32
	v_cndmask_b32_e32 v10, v32, v10, vcc
	v_cndmask_b32_e32 v9, v31, v9, vcc
	ds_bpermute_b32 v31, v82, v9
	ds_bpermute_b32 v32, v82, v10
	v_cmp_gt_u32_e32 vcc, v83, v12
	s_waitcnt lgkmcnt(1)
	v_add_u32_e32 v31, v9, v31
	s_waitcnt lgkmcnt(0)
	v_add_u32_e32 v32, v10, v32
	v_cndmask_b32_e32 v10, v32, v10, vcc
	v_cndmask_b32_e32 v9, v31, v9, vcc
	ds_bpermute_b32 v31, v84, v9
	ds_bpermute_b32 v32, v84, v10
	v_cmp_gt_u32_e32 vcc, v85, v12
	;; [unrolled: 9-line block ×3, first 2 shown]
	s_waitcnt lgkmcnt(1)
	v_add_u32_e32 v31, v9, v31
	s_waitcnt lgkmcnt(0)
	v_add_u32_e32 v32, v10, v32
	v_cndmask_b32_e32 v10, v32, v10, vcc
	v_cndmask_b32_e32 v9, v31, v9, vcc
	ds_bpermute_b32 v31, v88, v9
	ds_bpermute_b32 v32, v88, v10
	v_cmp_le_u32_e32 vcc, v89, v12
	s_waitcnt lgkmcnt(1)
	v_cndmask_b32_e32 v12, 0, v31, vcc
	s_waitcnt lgkmcnt(0)
	v_cndmask_b32_e32 v31, 0, v32, vcc
	v_add3_u32 v10, v31, v8, v10
	v_add3_u32 v9, v12, v7, v9
.LBB1185_131:                           ;   in Loop: Header=BB1185_132 Depth=1
	s_and_b64 vcc, exec, s[12:13]
	s_cbranch_vccnz .LBB1185_137
.LBB1185_132:                           ; =>This Loop Header: Depth=1
                                        ;     Child Loop BB1185_135 Depth 2
	v_mov_b32_e32 v7, v9
	v_cmp_ne_u16_sdwa s[12:13], v11, v77 src0_sel:BYTE_0 src1_sel:DWORD
	v_mov_b32_e32 v8, v10
	s_cmp_lg_u64 s[12:13], exec
	s_mov_b64 s[12:13], -1
                                        ; implicit-def: $vgpr11
                                        ; implicit-def: $vgpr9_vgpr10
	s_cbranch_scc1 .LBB1185_131
; %bb.133:                              ;   in Loop: Header=BB1185_132 Depth=1
	v_lshlrev_b64 v[9:10], 4, v[27:28]
	v_mov_b32_e32 v11, s55
	v_add_co_u32_e32 v31, vcc, s54, v9
	v_addc_co_u32_e32 v32, vcc, v11, v10, vcc
	;;#ASMSTART
	global_load_dwordx4 v[9:12], v[31:32] off glc	
s_waitcnt vmcnt(0)
	;;#ASMEND
	v_cmp_eq_u16_sdwa s[14:15], v11, v28 src0_sel:BYTE_0 src1_sel:DWORD
	s_and_saveexec_b64 s[12:13], s[14:15]
	s_cbranch_execz .LBB1185_130
; %bb.134:                              ;   in Loop: Header=BB1185_132 Depth=1
	s_mov_b64 s[14:15], 0
.LBB1185_135:                           ;   Parent Loop BB1185_132 Depth=1
                                        ; =>  This Inner Loop Header: Depth=2
	;;#ASMSTART
	global_load_dwordx4 v[9:12], v[31:32] off glc	
s_waitcnt vmcnt(0)
	;;#ASMEND
	v_cmp_ne_u16_sdwa s[18:19], v11, v28 src0_sel:BYTE_0 src1_sel:DWORD
	s_or_b64 s[14:15], s[18:19], s[14:15]
	s_andn2_b64 exec, exec, s[14:15]
	s_cbranch_execnz .LBB1185_135
	s_branch .LBB1185_129
.LBB1185_136:
                                        ; implicit-def: $vgpr12
                                        ; implicit-def: $vgpr7
                                        ; implicit-def: $vgpr25
	s_cbranch_execnz .LBB1185_142
	s_branch .LBB1185_151
.LBB1185_137:
	s_and_saveexec_b64 s[12:13], s[8:9]
	s_cbranch_execnz .LBB1185_379
; %bb.138:
	s_or_b64 exec, exec, s[12:13]
	s_and_saveexec_b64 s[12:13], s[8:9]
	s_cbranch_execnz .LBB1185_380
.LBB1185_139:
	s_or_b64 exec, exec, s[12:13]
	s_and_b64 exec, exec, s[0:1]
.LBB1185_140:
	v_mov_b32_e32 v5, 0
	ds_write_b64 v5, v[7:8] offset:24
.LBB1185_141:
	s_or_b64 exec, exec, s[10:11]
	v_mov_b32_e32 v5, 0
	s_waitcnt lgkmcnt(0)
	s_barrier
	ds_read_b64 v[9:10], v5 offset:24
	v_cndmask_b32_e64 v6, v75, v25, s[8:9]
	s_waitcnt lgkmcnt(0)
	s_barrier
	v_add_u32_e32 v25, v9, v6
	ds_read_b128 v[5:8], v5 offset:13312
	v_cndmask_b32_e64 v11, v76, v26, s[8:9]
	v_add_u32_e32 v11, v10, v11
	v_cndmask_b32_e64 v12, v11, v10, s[0:1]
	v_cndmask_b32_e64 v25, v25, v9, s[0:1]
	s_branch .LBB1185_151
.LBB1185_142:
	s_waitcnt lgkmcnt(0)
	v_mov_b32_dpp v5, v73 row_shr:1 row_mask:0xf bank_mask:0xf
	v_mov_b32_dpp v6, v74 row_shr:1 row_mask:0xf bank_mask:0xf
	v_add_u32_e32 v5, v5, v73
	v_add_u32_e32 v6, v6, v74
	v_cndmask_b32_e64 v6, v6, v74, s[6:7]
	v_cndmask_b32_e64 v5, v5, v73, s[6:7]
	v_cmp_lt_u32_e32 vcc, 3, v72
	v_mov_b32_dpp v8, v6 row_shr:2 row_mask:0xf bank_mask:0xf
	v_mov_b32_dpp v7, v5 row_shr:2 row_mask:0xf bank_mask:0xf
	v_add_u32_e32 v7, v5, v7
	v_add_u32_e32 v8, v6, v8
	v_cndmask_b32_e64 v6, v6, v8, s[4:5]
	v_cndmask_b32_e64 v5, v5, v7, s[4:5]
	v_cmp_eq_u32_e64 s[4:5], v0, v70
	v_mov_b32_dpp v8, v6 row_shr:4 row_mask:0xf bank_mask:0xf
	v_mov_b32_dpp v7, v5 row_shr:4 row_mask:0xf bank_mask:0xf
	v_add_u32_e32 v7, v5, v7
	v_add_u32_e32 v8, v6, v8
	v_cndmask_b32_e32 v6, v6, v8, vcc
	v_cndmask_b32_e32 v5, v5, v7, vcc
	v_cmp_lt_u32_e32 vcc, 7, v72
	v_mov_b32_dpp v8, v6 row_shr:8 row_mask:0xf bank_mask:0xf
	v_mov_b32_dpp v7, v5 row_shr:8 row_mask:0xf bank_mask:0xf
	v_add_u32_e32 v7, v5, v7
	v_add_u32_e32 v8, v6, v8
	v_cndmask_b32_e32 v6, v6, v8, vcc
	v_cndmask_b32_e32 v7, v5, v7, vcc
	v_cmp_eq_u32_e32 vcc, 0, v71
	v_mov_b32_dpp v8, v6 row_bcast:15 row_mask:0xf bank_mask:0xf
	v_mov_b32_dpp v5, v7 row_bcast:15 row_mask:0xf bank_mask:0xf
	v_add_u32_e32 v9, v7, v5
	v_add_u32_e32 v5, v6, v8
	v_cndmask_b32_e32 v5, v5, v6, vcc
	v_cndmask_b32_e32 v6, v9, v7, vcc
	v_cmp_lt_u32_e32 vcc, 31, v68
	v_mov_b32_dpp v7, v5 row_bcast:31 row_mask:0xf bank_mask:0xf
	v_mov_b32_dpp v8, v6 row_bcast:31 row_mask:0xf bank_mask:0xf
	v_add_u32_e32 v7, v5, v7
	v_add_u32_e32 v8, v6, v8
	s_and_saveexec_b64 s[6:7], s[4:5]
; %bb.143:
	v_cndmask_b32_e32 v9, v6, v8, vcc
	v_cndmask_b32_e32 v10, v5, v7, vcc
	v_lshlrev_b32_e32 v11, 3, v69
	ds_write_b64 v11, v[9:10]
; %bb.144:
	s_or_b64 exec, exec, s[6:7]
	v_cmp_gt_u32_e64 s[4:5], 4, v0
	s_waitcnt lgkmcnt(0)
	s_barrier
	s_and_saveexec_b64 s[6:7], s[4:5]
	s_cbranch_execz .LBB1185_146
; %bb.145:
	v_lshlrev_b32_e32 v11, 3, v0
	ds_read_b64 v[9:10], v11
	v_and_b32_e32 v12, 3, v68
	v_cmp_eq_u32_e64 s[4:5], 0, v12
	s_waitcnt lgkmcnt(0)
	v_mov_b32_dpp v25, v9 row_shr:1 row_mask:0xf bank_mask:0xf
	v_mov_b32_dpp v26, v10 row_shr:1 row_mask:0xf bank_mask:0xf
	v_add_u32_e32 v25, v25, v9
	v_add_u32_e32 v26, v26, v10
	v_cndmask_b32_e64 v10, v26, v10, s[4:5]
	v_cndmask_b32_e64 v9, v25, v9, s[4:5]
	v_cmp_lt_u32_e64 s[4:5], 1, v12
	v_mov_b32_dpp v26, v10 row_shr:2 row_mask:0xf bank_mask:0xf
	v_mov_b32_dpp v25, v9 row_shr:2 row_mask:0xf bank_mask:0xf
	v_cndmask_b32_e64 v12, 0, v25, s[4:5]
	v_cndmask_b32_e64 v25, 0, v26, s[4:5]
	v_add_u32_e32 v10, v25, v10
	v_add_u32_e32 v9, v12, v9
	ds_write_b64 v11, v[9:10]
.LBB1185_146:
	s_or_b64 exec, exec, s[6:7]
	v_cmp_lt_u32_e64 s[4:5], 63, v0
	v_mov_b32_e32 v11, 0
	v_mov_b32_e32 v9, 0
	;; [unrolled: 1-line block ×3, first 2 shown]
	s_waitcnt lgkmcnt(0)
	s_barrier
	s_and_saveexec_b64 s[6:7], s[4:5]
; %bb.147:
	v_lshl_add_u32 v9, v69, 3, -8
	ds_read_b64 v[9:10], v9
; %bb.148:
	s_or_b64 exec, exec, s[6:7]
	v_cndmask_b32_e32 v6, v6, v8, vcc
	v_cndmask_b32_e32 v5, v5, v7, vcc
	v_subrev_co_u32_e32 v7, vcc, 1, v68
	v_and_b32_e32 v8, 64, v68
	v_cmp_lt_i32_e64 s[4:5], v7, v8
	v_cndmask_b32_e64 v7, v7, v68, s[4:5]
	s_waitcnt lgkmcnt(0)
	v_add_u32_e32 v5, v10, v5
	v_add_u32_e32 v6, v9, v6
	v_lshlrev_b32_e32 v7, 2, v7
	ds_bpermute_b32 v12, v7, v6
	ds_bpermute_b32 v25, v7, v5
	ds_read_b64 v[5:6], v11 offset:24
	s_and_saveexec_b64 s[4:5], s[0:1]
	s_cbranch_execz .LBB1185_150
; %bb.149:
	s_add_u32 s6, s54, 0x400
	s_addc_u32 s7, s55, 0
	v_mov_b32_e32 v27, s7
	v_mov_b32_e32 v7, 2
	;; [unrolled: 1-line block ×4, first 2 shown]
	s_waitcnt lgkmcnt(0)
	;;#ASMSTART
	global_store_dwordx4 v[26:27], v[5:8] off	
s_waitcnt vmcnt(0)
	;;#ASMEND
.LBB1185_150:
	s_or_b64 exec, exec, s[4:5]
	s_waitcnt lgkmcnt(2)
	v_cndmask_b32_e32 v7, v12, v9, vcc
	s_waitcnt lgkmcnt(1)
	v_cndmask_b32_e32 v8, v25, v10, vcc
	v_cndmask_b32_e64 v12, v8, 0, s[0:1]
	v_cndmask_b32_e64 v25, v7, 0, s[0:1]
	v_mov_b32_e32 v8, 0
	v_mov_b32_e32 v7, 0
	s_waitcnt lgkmcnt(0)
	s_barrier
.LBB1185_151:
	s_waitcnt lgkmcnt(0)
	v_add_co_u32_e32 v1, vcc, v1, v7
	v_addc_co_u32_e32 v2, vcc, 0, v2, vcc
	v_sub_co_u32_e32 v29, vcc, v3, v5
	v_add_u32_e32 v32, v12, v54
	v_subbrev_co_u32_e32 v30, vcc, 0, v4, vcc
	v_lshlrev_b32_e32 v72, 1, v5
	v_sub_u32_e32 v12, v12, v8
	v_lshrrev_b32_e32 v28, 8, v42
	v_add_u32_e32 v31, v25, v53
	v_add_co_u32_e32 v29, vcc, v29, v8
	v_add_u32_e32 v73, v72, v6
	v_sub_u32_e32 v25, v25, v7
	v_add_u32_e32 v12, v12, v5
	v_addc_co_u32_e32 v30, vcc, 0, v30, vcc
	v_add_u32_e32 v35, v73, v35
	v_and_b32_e32 v28, 1, v28
	v_add_u32_e32 v74, v25, v12
	v_and_b32_e32 v73, 1, v36
	v_sub_u32_e32 v74, v35, v74
	v_cmp_eq_u32_e32 vcc, 1, v28
	v_cndmask_b32_e32 v12, v74, v12, vcc
	v_cmp_eq_u32_e32 vcc, 1, v73
	v_cndmask_b32_e32 v12, v12, v25, vcc
	v_lshlrev_b32_e32 v12, 2, v12
	v_sub_u32_e32 v25, v32, v8
	v_lshrrev_b32_e32 v27, 8, v36
	ds_write_b32 v12, v23
	v_sub_u32_e32 v12, v31, v7
	v_add_u32_e32 v25, v25, v5
	v_add_u32_e32 v50, v31, v50
	v_and_b32_e32 v23, 1, v27
	v_mov_b32_e32 v27, 1
	v_add_u32_e32 v31, v25, v12
	v_and_b32_sdwa v28, v27, v42 dst_sel:DWORD dst_unused:UNUSED_PAD src0_sel:DWORD src1_sel:WORD_1
	v_sub_u32_e32 v31, v35, v31
	v_add_u32_e32 v31, 1, v31
	v_cmp_eq_u32_e32 vcc, 1, v28
	v_cndmask_b32_e32 v25, v31, v25, vcc
	v_cmp_eq_u32_e32 vcc, 1, v23
	v_cndmask_b32_e32 v12, v25, v12, vcc
	v_add_u32_e32 v53, v32, v62
	v_lshlrev_b32_e32 v12, 2, v12
	ds_write_b32 v12, v24
	v_sub_u32_e32 v24, v53, v8
	v_sub_u32_e32 v12, v50, v7
	v_add_u32_e32 v24, v24, v5
	v_add_u32_e32 v28, v24, v12
	v_and_b32_e32 v25, 1, v49
	v_sub_u32_e32 v28, v35, v28
	v_and_b32_sdwa v23, v27, v36 dst_sel:DWORD dst_unused:UNUSED_PAD src0_sel:DWORD src1_sel:WORD_1
	v_add_u32_e32 v28, 2, v28
	v_cmp_eq_u32_e32 vcc, 1, v25
	v_cndmask_b32_e32 v24, v28, v24, vcc
	v_cmp_eq_u32_e32 vcc, 1, v23
	v_add_u32_e32 v54, v50, v55
	v_add_u32_e32 v55, v53, v49
	v_cndmask_b32_e32 v12, v24, v12, vcc
	v_lshlrev_b32_e32 v12, 2, v12
	v_sub_u32_e32 v23, v55, v8
	ds_write_b32 v12, v21
	v_sub_u32_e32 v12, v54, v7
	v_add_u32_e32 v23, v23, v5
	v_add_u32_e32 v25, v12, v23
	v_and_b32_e32 v24, 1, v37
	v_sub_u32_e32 v25, v35, v25
	v_and_b32_e32 v21, 1, v48
	v_add_u32_e32 v25, 3, v25
	v_cmp_eq_u32_e32 vcc, 1, v24
	v_cndmask_b32_e32 v23, v25, v23, vcc
	v_cmp_eq_u32_e32 vcc, 1, v21
	v_cndmask_b32_e32 v12, v23, v12, vcc
	v_add_u32_e32 v62, v55, v63
	v_lshlrev_b32_e32 v12, 2, v12
	v_add_u32_e32 v63, v54, v48
	ds_write_b32 v12, v22
	v_sub_u32_e32 v22, v62, v8
	v_sub_u32_e32 v12, v63, v7
	v_add_u32_e32 v22, v22, v5
	v_lshrrev_b32_e32 v26, 8, v37
	v_add_u32_e32 v24, v12, v22
	v_and_b32_e32 v23, 1, v26
	v_sub_u32_e32 v24, v35, v24
	v_and_b32_e32 v21, 1, v38
	v_add_u32_e32 v24, 4, v24
	v_cmp_eq_u32_e32 vcc, 1, v23
	v_cndmask_b32_e32 v22, v24, v22, vcc
	v_cmp_eq_u32_e32 vcc, 1, v21
	v_cndmask_b32_e32 v12, v22, v12, vcc
	v_add_u32_e32 v57, v62, v57
	v_lshlrev_b32_e32 v12, 2, v12
	v_add_u32_e32 v56, v63, v56
	ds_write_b32 v12, v19
	v_sub_u32_e32 v19, v57, v8
	v_sub_u32_e32 v12, v56, v7
	v_add_u32_e32 v19, v19, v5
	v_add_u32_e32 v22, v12, v19
	v_lshrrev_b32_e32 v11, 8, v38
	v_and_b32_sdwa v21, v27, v37 dst_sel:DWORD dst_unused:UNUSED_PAD src0_sel:DWORD src1_sel:WORD_1
	v_sub_u32_e32 v22, v35, v22
	v_and_b32_e32 v11, 1, v11
	v_add_u32_e32 v22, 5, v22
	v_cmp_eq_u32_e32 vcc, 1, v21
	v_cndmask_b32_e32 v19, v22, v19, vcc
	v_cmp_eq_u32_e32 vcc, 1, v11
	v_add_u32_e32 v64, v57, v64
	v_cndmask_b32_e32 v11, v19, v12, vcc
	v_add_u32_e32 v51, v56, v51
	v_lshlrev_b32_e32 v11, 2, v11
	v_sub_u32_e32 v19, v64, v8
	ds_write_b32 v11, v20
	v_sub_u32_e32 v11, v51, v7
	v_add_u32_e32 v19, v19, v5
	v_add_u32_e32 v21, v11, v19
	v_and_b32_e32 v20, 1, v47
	v_sub_u32_e32 v21, v35, v21
	v_and_b32_sdwa v12, v27, v38 dst_sel:DWORD dst_unused:UNUSED_PAD src0_sel:DWORD src1_sel:WORD_1
	v_add_u32_e32 v21, 6, v21
	v_cmp_eq_u32_e32 vcc, 1, v20
	v_cndmask_b32_e32 v19, v21, v19, vcc
	v_cmp_eq_u32_e32 vcc, 1, v12
	v_cndmask_b32_e32 v11, v19, v11, vcc
	v_add_u32_e32 v68, v64, v47
	v_lshlrev_b32_e32 v11, 2, v11
	v_add_u32_e32 v58, v51, v58
	ds_write_b32 v11, v17
	v_sub_u32_e32 v17, v68, v8
	v_sub_u32_e32 v11, v58, v7
	v_add_u32_e32 v17, v17, v5
	v_add_u32_e32 v20, v11, v17
	v_and_b32_e32 v19, 1, v39
	v_sub_u32_e32 v20, v35, v20
	v_and_b32_e32 v12, 1, v46
	v_add_u32_e32 v20, 7, v20
	v_cmp_eq_u32_e32 vcc, 1, v19
	v_cndmask_b32_e32 v17, v20, v17, vcc
	v_cmp_eq_u32_e32 vcc, 1, v12
	v_add_u32_e32 v65, v68, v65
	v_cndmask_b32_e32 v11, v17, v11, vcc
	v_add_u32_e32 v69, v58, v46
	v_lshlrev_b32_e32 v11, 2, v11
	v_sub_u32_e32 v17, v65, v8
	ds_write_b32 v11, v18
	v_sub_u32_e32 v11, v69, v7
	v_add_u32_e32 v17, v17, v5
	v_lshrrev_b32_e32 v10, 8, v39
	v_add_u32_e32 v18, v11, v17
	v_and_b32_e32 v10, 1, v10
	v_sub_u32_e32 v18, v35, v18
	v_and_b32_e32 v12, 1, v41
	v_add_u32_e32 v18, 8, v18
	v_cmp_eq_u32_e32 vcc, 1, v10
	v_cndmask_b32_e32 v10, v18, v17, vcc
	v_cmp_eq_u32_e32 vcc, 1, v12
	v_add_u32_e32 v60, v65, v60
	v_cndmask_b32_e32 v10, v10, v11, vcc
	v_add_u32_e32 v59, v69, v59
	v_lshlrev_b32_e32 v10, 2, v10
	v_sub_u32_e32 v11, v60, v8
	ds_write_b32 v10, v15
	v_sub_u32_e32 v10, v59, v7
	v_add_u32_e32 v11, v11, v5
	v_add_u32_e32 v15, v10, v11
	v_lshrrev_b32_e32 v9, 8, v41
	v_and_b32_sdwa v12, v27, v39 dst_sel:DWORD dst_unused:UNUSED_PAD src0_sel:DWORD src1_sel:WORD_1
	v_sub_u32_e32 v15, v35, v15
	v_and_b32_e32 v9, 1, v9
	v_add_u32_e32 v15, 9, v15
	v_cmp_eq_u32_e32 vcc, 1, v12
	v_cndmask_b32_e32 v11, v15, v11, vcc
	v_cmp_eq_u32_e32 vcc, 1, v9
	v_add_u32_e32 v66, v60, v66
	v_cndmask_b32_e32 v9, v11, v10, vcc
	v_add_u32_e32 v52, v59, v52
	v_lshlrev_b32_e32 v9, 2, v9
	v_sub_u32_e32 v11, v66, v8
	ds_write_b32 v9, v16
	v_sub_u32_e32 v9, v52, v7
	v_add_u32_e32 v11, v11, v5
	v_add_u32_e32 v15, v9, v11
	v_and_b32_e32 v12, 1, v45
	v_sub_u32_e32 v15, v35, v15
	v_and_b32_sdwa v10, v27, v41 dst_sel:DWORD dst_unused:UNUSED_PAD src0_sel:DWORD src1_sel:WORD_1
	v_add_u32_e32 v15, 10, v15
	v_cmp_eq_u32_e32 vcc, 1, v12
	v_cndmask_b32_e32 v11, v15, v11, vcc
	v_cmp_eq_u32_e32 vcc, 1, v10
	v_add_u32_e32 v70, v66, v45
	v_cndmask_b32_e32 v9, v11, v9, vcc
	v_add_u32_e32 v61, v52, v61
	v_lshlrev_b32_e32 v9, 2, v9
	v_sub_u32_e32 v11, v70, v8
	ds_write_b32 v9, v13
	v_sub_u32_e32 v9, v61, v7
	v_add_u32_e32 v11, v11, v5
	v_add_u32_e32 v13, v9, v11
	v_and_b32_e32 v12, 1, v40
	v_sub_u32_e32 v13, v35, v13
	v_add_u32_e32 v67, v70, v67
	v_and_b32_e32 v10, 1, v44
	v_add_u32_e32 v13, 11, v13
	v_cmp_eq_u32_e32 vcc, 1, v12
	v_add_u32_e32 v71, v61, v44
	v_cndmask_b32_e32 v11, v13, v11, vcc
	v_cmp_eq_u32_e32 vcc, 1, v10
	v_sub_u32_e32 v10, v67, v8
	v_sub_u32_e32 v7, v71, v7
	v_add_u32_e32 v10, v10, v5
	v_cndmask_b32_e32 v9, v11, v9, vcc
	v_add_u32_e32 v12, v7, v10
	v_lshlrev_b32_e32 v9, 2, v9
	v_and_b32_e32 v11, 1, v43
	v_sub_u32_e32 v12, v35, v12
	ds_write_b32 v9, v14
	v_and_b32_e32 v9, 1, v42
	v_add_u32_e32 v12, 12, v12
	v_cmp_eq_u32_e32 vcc, 1, v11
	v_cndmask_b32_e32 v10, v12, v10, vcc
	v_cmp_eq_u32_e32 vcc, 1, v9
	v_cndmask_b32_e32 v7, v10, v7, vcc
	v_lshlrev_b32_e32 v7, 2, v7
	ds_write_b32 v7, v34
	v_mov_b32_e32 v7, s53
	v_add_co_u32_e32 v9, vcc, s52, v33
	v_addc_co_u32_e32 v10, vcc, 0, v7, vcc
	v_add_co_u32_e32 v7, vcc, v6, v72
	v_addc_co_u32_e64 v11, s[4:5], 0, 0, vcc
	v_add_co_u32_e32 v7, vcc, v7, v29
	v_addc_co_u32_e32 v11, vcc, v11, v30, vcc
	v_add_co_u32_e32 v7, vcc, v7, v1
	v_addc_co_u32_e32 v11, vcc, v11, v2, vcc
	v_sub_co_u32_e32 v7, vcc, v9, v7
	v_subb_co_u32_e32 v13, vcc, v10, v11, vcc
	v_lshlrev_b64 v[9:10], 2, v[29:30]
	v_mov_b32_e32 v11, s51
	v_add_co_u32_e32 v9, vcc, s50, v9
	v_addc_co_u32_e32 v10, vcc, v11, v10, vcc
	v_lshlrev_b64 v[11:12], 2, v[1:2]
	v_mov_b32_e32 v15, s49
	v_add_co_u32_e32 v11, vcc, s48, v11
	v_addc_co_u32_e32 v12, vcc, v15, v12, vcc
	v_add_u32_e32 v14, v5, v6
	s_and_b64 vcc, exec, s[2:3]
	s_mov_b64 s[2:3], -1
	s_waitcnt lgkmcnt(0)
	s_barrier
	s_cbranch_vccz .LBB1185_155
; %bb.152:
	s_and_b64 vcc, exec, s[2:3]
	s_cbranch_vccnz .LBB1185_260
.LBB1185_153:
	s_and_b64 s[0:1], s[0:1], s[34:35]
	s_and_saveexec_b64 s[2:3], s[0:1]
	s_cbranch_execnz .LBB1185_378
.LBB1185_154:
	s_endpgm
.LBB1185_155:
	v_cmp_ge_u32_e32 vcc, v0, v5
	s_and_saveexec_b64 s[2:3], vcc
	s_xor_b64 s[2:3], exec, s[2:3]
	s_cbranch_execz .LBB1185_161
; %bb.156:
	v_cmp_ge_u32_e32 vcc, v0, v14
	s_and_saveexec_b64 s[4:5], vcc
	s_xor_b64 s[4:5], exec, s[4:5]
	s_cbranch_execz .LBB1185_158
; %bb.157:
	v_add_co_u32_e32 v15, vcc, v7, v0
	v_lshlrev_b32_e32 v17, 2, v0
	v_addc_co_u32_e32 v16, vcc, 0, v13, vcc
	ds_read_b32 v17, v17
	v_lshlrev_b64 v[15:16], 2, v[15:16]
	v_mov_b32_e32 v18, s31
	v_sub_co_u32_e32 v15, vcc, s30, v15
	v_subb_co_u32_e32 v16, vcc, v18, v16, vcc
	s_waitcnt lgkmcnt(0)
	global_store_dword v[15:16], v17, off offset:-4
.LBB1185_158:
	s_andn2_saveexec_b64 s[4:5], s[4:5]
	s_cbranch_execz .LBB1185_160
; %bb.159:
	v_lshlrev_b32_e32 v15, 2, v0
	ds_read_b32 v16, v15
	v_readfirstlane_b32 s6, v9
	v_readfirstlane_b32 s7, v10
	s_waitcnt lgkmcnt(0)
	s_nop 3
	global_store_dword v15, v16, s[6:7]
.LBB1185_160:
	s_or_b64 exec, exec, s[4:5]
.LBB1185_161:
	s_andn2_saveexec_b64 s[2:3], s[2:3]
	s_cbranch_execz .LBB1185_163
; %bb.162:
	v_lshlrev_b32_e32 v15, 2, v0
	ds_read_b32 v16, v15
	v_readfirstlane_b32 s4, v11
	v_readfirstlane_b32 s5, v12
	s_waitcnt lgkmcnt(0)
	s_nop 3
	global_store_dword v15, v16, s[4:5]
.LBB1185_163:
	s_or_b64 exec, exec, s[2:3]
	v_or_b32_e32 v15, 0x100, v0
	v_cmp_ge_u32_e32 vcc, v15, v5
	s_and_saveexec_b64 s[2:3], vcc
	s_xor_b64 s[2:3], exec, s[2:3]
	s_cbranch_execz .LBB1185_169
; %bb.164:
	v_cmp_ge_u32_e32 vcc, v15, v14
	s_and_saveexec_b64 s[4:5], vcc
	s_xor_b64 s[4:5], exec, s[4:5]
	s_cbranch_execz .LBB1185_166
; %bb.165:
	v_lshlrev_b32_e32 v15, 2, v0
	ds_read_b32 v17, v15 offset:1024
	v_add_co_u32_e32 v15, vcc, v7, v0
	v_addc_co_u32_e32 v16, vcc, 0, v13, vcc
	v_lshlrev_b64 v[15:16], 2, v[15:16]
	v_mov_b32_e32 v18, s31
	v_sub_co_u32_e32 v15, vcc, s30, v15
	v_subb_co_u32_e32 v16, vcc, v18, v16, vcc
	s_waitcnt lgkmcnt(0)
	global_store_dword v[15:16], v17, off offset:-1028
.LBB1185_166:
	s_andn2_saveexec_b64 s[4:5], s[4:5]
	s_cbranch_execz .LBB1185_168
; %bb.167:
	v_lshlrev_b32_e32 v15, 2, v0
	ds_read_b32 v16, v15 offset:1024
	v_readfirstlane_b32 s6, v9
	v_readfirstlane_b32 s7, v10
	s_waitcnt lgkmcnt(0)
	s_nop 3
	global_store_dword v15, v16, s[6:7] offset:1024
.LBB1185_168:
	s_or_b64 exec, exec, s[4:5]
.LBB1185_169:
	s_andn2_saveexec_b64 s[2:3], s[2:3]
	s_cbranch_execz .LBB1185_171
; %bb.170:
	v_lshlrev_b32_e32 v15, 2, v0
	ds_read_b32 v16, v15 offset:1024
	v_readfirstlane_b32 s4, v11
	v_readfirstlane_b32 s5, v12
	s_waitcnt lgkmcnt(0)
	s_nop 3
	global_store_dword v15, v16, s[4:5] offset:1024
.LBB1185_171:
	s_or_b64 exec, exec, s[2:3]
	v_or_b32_e32 v15, 0x200, v0
	v_cmp_ge_u32_e32 vcc, v15, v5
	s_and_saveexec_b64 s[2:3], vcc
	s_xor_b64 s[2:3], exec, s[2:3]
	s_cbranch_execz .LBB1185_177
; %bb.172:
	v_cmp_ge_u32_e32 vcc, v15, v14
	s_and_saveexec_b64 s[4:5], vcc
	s_xor_b64 s[4:5], exec, s[4:5]
	s_cbranch_execz .LBB1185_174
; %bb.173:
	v_lshlrev_b32_e32 v15, 2, v0
	ds_read_b32 v17, v15 offset:2048
	v_add_co_u32_e32 v15, vcc, v7, v0
	v_addc_co_u32_e32 v16, vcc, 0, v13, vcc
	v_lshlrev_b64 v[15:16], 2, v[15:16]
	v_mov_b32_e32 v18, s31
	v_sub_co_u32_e32 v15, vcc, s30, v15
	v_subb_co_u32_e32 v16, vcc, v18, v16, vcc
	s_waitcnt lgkmcnt(0)
	global_store_dword v[15:16], v17, off offset:-2052
.LBB1185_174:
	s_andn2_saveexec_b64 s[4:5], s[4:5]
	s_cbranch_execz .LBB1185_176
; %bb.175:
	v_lshlrev_b32_e32 v15, 2, v0
	ds_read_b32 v16, v15 offset:2048
	v_readfirstlane_b32 s6, v9
	v_readfirstlane_b32 s7, v10
	s_waitcnt lgkmcnt(0)
	s_nop 3
	global_store_dword v15, v16, s[6:7] offset:2048
.LBB1185_176:
	s_or_b64 exec, exec, s[4:5]
.LBB1185_177:
	s_andn2_saveexec_b64 s[2:3], s[2:3]
	s_cbranch_execz .LBB1185_179
; %bb.178:
	v_lshlrev_b32_e32 v15, 2, v0
	ds_read_b32 v16, v15 offset:2048
	v_readfirstlane_b32 s4, v11
	v_readfirstlane_b32 s5, v12
	s_waitcnt lgkmcnt(0)
	s_nop 3
	global_store_dword v15, v16, s[4:5] offset:2048
.LBB1185_179:
	;; [unrolled: 47-line block ×3, first 2 shown]
	s_or_b64 exec, exec, s[2:3]
	v_or_b32_e32 v15, 0x400, v0
	v_cmp_ge_u32_e32 vcc, v15, v5
	s_and_saveexec_b64 s[2:3], vcc
	s_xor_b64 s[2:3], exec, s[2:3]
	s_cbranch_execz .LBB1185_193
; %bb.188:
	v_cmp_ge_u32_e32 vcc, v15, v14
	s_and_saveexec_b64 s[4:5], vcc
	s_xor_b64 s[4:5], exec, s[4:5]
	s_cbranch_execz .LBB1185_190
; %bb.189:
	v_lshlrev_b32_e32 v15, 2, v0
	ds_read_b32 v17, v15 offset:4096
	v_add_co_u32_e32 v15, vcc, v7, v0
	v_addc_co_u32_e32 v16, vcc, 0, v13, vcc
	v_lshlrev_b64 v[15:16], 2, v[15:16]
	v_mov_b32_e32 v18, s31
	v_sub_co_u32_e32 v15, vcc, s30, v15
	v_subb_co_u32_e32 v16, vcc, v18, v16, vcc
	v_add_co_u32_e32 v15, vcc, 0xfffff000, v15
	v_addc_co_u32_e32 v16, vcc, -1, v16, vcc
	s_waitcnt lgkmcnt(0)
	global_store_dword v[15:16], v17, off offset:-4
                                        ; implicit-def: $vgpr15
.LBB1185_190:
	s_andn2_saveexec_b64 s[4:5], s[4:5]
	s_cbranch_execz .LBB1185_192
; %bb.191:
	v_lshlrev_b32_e32 v16, 2, v0
	ds_read_b32 v16, v16 offset:4096
	v_lshlrev_b32_e32 v15, 2, v15
	v_readfirstlane_b32 s6, v9
	v_readfirstlane_b32 s7, v10
	s_waitcnt lgkmcnt(0)
	s_nop 3
	global_store_dword v15, v16, s[6:7]
.LBB1185_192:
	s_or_b64 exec, exec, s[4:5]
                                        ; implicit-def: $vgpr15
.LBB1185_193:
	s_andn2_saveexec_b64 s[2:3], s[2:3]
	s_cbranch_execz .LBB1185_195
; %bb.194:
	v_lshlrev_b32_e32 v16, 2, v0
	ds_read_b32 v16, v16 offset:4096
	v_lshlrev_b32_e32 v15, 2, v15
	v_readfirstlane_b32 s4, v11
	v_readfirstlane_b32 s5, v12
	s_waitcnt lgkmcnt(0)
	s_nop 3
	global_store_dword v15, v16, s[4:5]
.LBB1185_195:
	s_or_b64 exec, exec, s[2:3]
	v_or_b32_e32 v15, 0x500, v0
	v_cmp_ge_u32_e32 vcc, v15, v5
	s_and_saveexec_b64 s[2:3], vcc
	s_xor_b64 s[2:3], exec, s[2:3]
	s_cbranch_execz .LBB1185_201
; %bb.196:
	v_cmp_ge_u32_e32 vcc, v15, v14
	s_and_saveexec_b64 s[4:5], vcc
	s_xor_b64 s[4:5], exec, s[4:5]
	s_cbranch_execz .LBB1185_198
; %bb.197:
	v_add_co_u32_e32 v15, vcc, v7, v15
	v_lshlrev_b32_e32 v17, 2, v0
	v_addc_co_u32_e32 v16, vcc, 0, v13, vcc
	ds_read_b32 v17, v17 offset:5120
	v_lshlrev_b64 v[15:16], 2, v[15:16]
	v_mov_b32_e32 v18, s31
	v_sub_co_u32_e32 v15, vcc, s30, v15
	v_subb_co_u32_e32 v16, vcc, v18, v16, vcc
	s_waitcnt lgkmcnt(0)
	global_store_dword v[15:16], v17, off offset:-4
                                        ; implicit-def: $vgpr15
.LBB1185_198:
	s_andn2_saveexec_b64 s[4:5], s[4:5]
	s_cbranch_execz .LBB1185_200
; %bb.199:
	v_lshlrev_b32_e32 v16, 2, v0
	ds_read_b32 v16, v16 offset:5120
	v_lshlrev_b32_e32 v15, 2, v15
	v_readfirstlane_b32 s6, v9
	v_readfirstlane_b32 s7, v10
	s_waitcnt lgkmcnt(0)
	s_nop 3
	global_store_dword v15, v16, s[6:7]
.LBB1185_200:
	s_or_b64 exec, exec, s[4:5]
                                        ; implicit-def: $vgpr15
.LBB1185_201:
	s_andn2_saveexec_b64 s[2:3], s[2:3]
	s_cbranch_execz .LBB1185_203
; %bb.202:
	v_lshlrev_b32_e32 v16, 2, v0
	ds_read_b32 v16, v16 offset:5120
	v_lshlrev_b32_e32 v15, 2, v15
	v_readfirstlane_b32 s4, v11
	v_readfirstlane_b32 s5, v12
	s_waitcnt lgkmcnt(0)
	s_nop 3
	global_store_dword v15, v16, s[4:5]
.LBB1185_203:
	s_or_b64 exec, exec, s[2:3]
	v_or_b32_e32 v15, 0x600, v0
	v_cmp_ge_u32_e32 vcc, v15, v5
	s_and_saveexec_b64 s[2:3], vcc
	s_xor_b64 s[2:3], exec, s[2:3]
	s_cbranch_execz .LBB1185_209
; %bb.204:
	v_cmp_ge_u32_e32 vcc, v15, v14
	s_and_saveexec_b64 s[4:5], vcc
	s_xor_b64 s[4:5], exec, s[4:5]
	s_cbranch_execz .LBB1185_206
; %bb.205:
	v_add_co_u32_e32 v15, vcc, v7, v15
	v_lshlrev_b32_e32 v17, 2, v0
	v_addc_co_u32_e32 v16, vcc, 0, v13, vcc
	ds_read_b32 v17, v17 offset:6144
	v_lshlrev_b64 v[15:16], 2, v[15:16]
	v_mov_b32_e32 v18, s31
	v_sub_co_u32_e32 v15, vcc, s30, v15
	v_subb_co_u32_e32 v16, vcc, v18, v16, vcc
	s_waitcnt lgkmcnt(0)
	global_store_dword v[15:16], v17, off offset:-4
                                        ; implicit-def: $vgpr15
.LBB1185_206:
	s_andn2_saveexec_b64 s[4:5], s[4:5]
	s_cbranch_execz .LBB1185_208
; %bb.207:
	v_lshlrev_b32_e32 v16, 2, v0
	ds_read_b32 v16, v16 offset:6144
	v_lshlrev_b32_e32 v15, 2, v15
	v_readfirstlane_b32 s6, v9
	v_readfirstlane_b32 s7, v10
	s_waitcnt lgkmcnt(0)
	s_nop 3
	global_store_dword v15, v16, s[6:7]
.LBB1185_208:
	s_or_b64 exec, exec, s[4:5]
                                        ; implicit-def: $vgpr15
.LBB1185_209:
	;; [unrolled: 51-line block ×8, first 2 shown]
	s_andn2_saveexec_b64 s[2:3], s[2:3]
	s_cbranch_execz .LBB1185_259
; %bb.258:
	v_lshlrev_b32_e32 v16, 2, v0
	ds_read_b32 v16, v16 offset:12288
	v_lshlrev_b32_e32 v15, 2, v15
	v_readfirstlane_b32 s4, v11
	v_readfirstlane_b32 s5, v12
	s_waitcnt lgkmcnt(0)
	s_nop 3
	global_store_dword v15, v16, s[4:5]
.LBB1185_259:
	s_or_b64 exec, exec, s[2:3]
	s_branch .LBB1185_153
.LBB1185_260:
	v_cmp_gt_u32_e32 vcc, s16, v0
	s_and_saveexec_b64 s[2:3], vcc
	s_cbranch_execz .LBB1185_269
; %bb.261:
	v_cmp_ge_u32_e32 vcc, v0, v5
	s_and_saveexec_b64 s[4:5], vcc
	s_xor_b64 s[4:5], exec, s[4:5]
	s_cbranch_execz .LBB1185_267
; %bb.262:
	v_cmp_ge_u32_e32 vcc, v0, v14
	s_and_saveexec_b64 s[6:7], vcc
	s_xor_b64 s[6:7], exec, s[6:7]
	s_cbranch_execz .LBB1185_264
; %bb.263:
	v_add_co_u32_e32 v15, vcc, v7, v0
	v_lshlrev_b32_e32 v17, 2, v0
	v_addc_co_u32_e32 v16, vcc, 0, v13, vcc
	ds_read_b32 v17, v17
	v_lshlrev_b64 v[15:16], 2, v[15:16]
	v_mov_b32_e32 v18, s31
	v_sub_co_u32_e32 v15, vcc, s30, v15
	v_subb_co_u32_e32 v16, vcc, v18, v16, vcc
	s_waitcnt lgkmcnt(0)
	global_store_dword v[15:16], v17, off offset:-4
.LBB1185_264:
	s_andn2_saveexec_b64 s[6:7], s[6:7]
	s_cbranch_execz .LBB1185_266
; %bb.265:
	v_lshlrev_b32_e32 v15, 2, v0
	ds_read_b32 v16, v15
	v_readfirstlane_b32 s8, v9
	v_readfirstlane_b32 s9, v10
	s_waitcnt lgkmcnt(0)
	s_nop 3
	global_store_dword v15, v16, s[8:9]
.LBB1185_266:
	s_or_b64 exec, exec, s[6:7]
.LBB1185_267:
	s_andn2_saveexec_b64 s[4:5], s[4:5]
	s_cbranch_execz .LBB1185_269
; %bb.268:
	v_lshlrev_b32_e32 v15, 2, v0
	ds_read_b32 v16, v15
	v_readfirstlane_b32 s4, v11
	v_readfirstlane_b32 s5, v12
	s_waitcnt lgkmcnt(0)
	s_nop 3
	global_store_dword v15, v16, s[4:5]
.LBB1185_269:
	s_or_b64 exec, exec, s[2:3]
	v_or_b32_e32 v15, 0x100, v0
	v_cmp_gt_u32_e32 vcc, s16, v15
	s_and_saveexec_b64 s[2:3], vcc
	s_cbranch_execz .LBB1185_278
; %bb.270:
	v_cmp_ge_u32_e32 vcc, v15, v5
	s_and_saveexec_b64 s[4:5], vcc
	s_xor_b64 s[4:5], exec, s[4:5]
	s_cbranch_execz .LBB1185_276
; %bb.271:
	v_cmp_ge_u32_e32 vcc, v15, v14
	s_and_saveexec_b64 s[6:7], vcc
	s_xor_b64 s[6:7], exec, s[6:7]
	s_cbranch_execz .LBB1185_273
; %bb.272:
	v_lshlrev_b32_e32 v15, 2, v0
	ds_read_b32 v17, v15 offset:1024
	v_add_co_u32_e32 v15, vcc, v7, v0
	v_addc_co_u32_e32 v16, vcc, 0, v13, vcc
	v_lshlrev_b64 v[15:16], 2, v[15:16]
	v_mov_b32_e32 v18, s31
	v_sub_co_u32_e32 v15, vcc, s30, v15
	v_subb_co_u32_e32 v16, vcc, v18, v16, vcc
	s_waitcnt lgkmcnt(0)
	global_store_dword v[15:16], v17, off offset:-1028
.LBB1185_273:
	s_andn2_saveexec_b64 s[6:7], s[6:7]
	s_cbranch_execz .LBB1185_275
; %bb.274:
	v_lshlrev_b32_e32 v15, 2, v0
	ds_read_b32 v16, v15 offset:1024
	v_readfirstlane_b32 s8, v9
	v_readfirstlane_b32 s9, v10
	s_waitcnt lgkmcnt(0)
	s_nop 3
	global_store_dword v15, v16, s[8:9] offset:1024
.LBB1185_275:
	s_or_b64 exec, exec, s[6:7]
.LBB1185_276:
	s_andn2_saveexec_b64 s[4:5], s[4:5]
	s_cbranch_execz .LBB1185_278
; %bb.277:
	v_lshlrev_b32_e32 v15, 2, v0
	ds_read_b32 v16, v15 offset:1024
	v_readfirstlane_b32 s4, v11
	v_readfirstlane_b32 s5, v12
	s_waitcnt lgkmcnt(0)
	s_nop 3
	global_store_dword v15, v16, s[4:5] offset:1024
.LBB1185_278:
	s_or_b64 exec, exec, s[2:3]
	v_or_b32_e32 v15, 0x200, v0
	v_cmp_gt_u32_e32 vcc, s16, v15
	s_and_saveexec_b64 s[2:3], vcc
	s_cbranch_execz .LBB1185_287
; %bb.279:
	v_cmp_ge_u32_e32 vcc, v15, v5
	s_and_saveexec_b64 s[4:5], vcc
	s_xor_b64 s[4:5], exec, s[4:5]
	s_cbranch_execz .LBB1185_285
; %bb.280:
	v_cmp_ge_u32_e32 vcc, v15, v14
	s_and_saveexec_b64 s[6:7], vcc
	s_xor_b64 s[6:7], exec, s[6:7]
	s_cbranch_execz .LBB1185_282
; %bb.281:
	v_lshlrev_b32_e32 v15, 2, v0
	ds_read_b32 v17, v15 offset:2048
	v_add_co_u32_e32 v15, vcc, v7, v0
	v_addc_co_u32_e32 v16, vcc, 0, v13, vcc
	v_lshlrev_b64 v[15:16], 2, v[15:16]
	v_mov_b32_e32 v18, s31
	v_sub_co_u32_e32 v15, vcc, s30, v15
	v_subb_co_u32_e32 v16, vcc, v18, v16, vcc
	s_waitcnt lgkmcnt(0)
	global_store_dword v[15:16], v17, off offset:-2052
.LBB1185_282:
	s_andn2_saveexec_b64 s[6:7], s[6:7]
	s_cbranch_execz .LBB1185_284
; %bb.283:
	v_lshlrev_b32_e32 v15, 2, v0
	ds_read_b32 v16, v15 offset:2048
	v_readfirstlane_b32 s8, v9
	v_readfirstlane_b32 s9, v10
	s_waitcnt lgkmcnt(0)
	s_nop 3
	global_store_dword v15, v16, s[8:9] offset:2048
.LBB1185_284:
	s_or_b64 exec, exec, s[6:7]
.LBB1185_285:
	s_andn2_saveexec_b64 s[4:5], s[4:5]
	s_cbranch_execz .LBB1185_287
; %bb.286:
	v_lshlrev_b32_e32 v15, 2, v0
	ds_read_b32 v16, v15 offset:2048
	v_readfirstlane_b32 s4, v11
	v_readfirstlane_b32 s5, v12
	s_waitcnt lgkmcnt(0)
	s_nop 3
	global_store_dword v15, v16, s[4:5] offset:2048
.LBB1185_287:
	;; [unrolled: 51-line block ×3, first 2 shown]
	s_or_b64 exec, exec, s[2:3]
	v_or_b32_e32 v15, 0x400, v0
	v_cmp_gt_u32_e32 vcc, s16, v15
	s_and_saveexec_b64 s[2:3], vcc
	s_cbranch_execz .LBB1185_305
; %bb.297:
	v_cmp_ge_u32_e32 vcc, v15, v5
	s_and_saveexec_b64 s[4:5], vcc
	s_xor_b64 s[4:5], exec, s[4:5]
	s_cbranch_execz .LBB1185_303
; %bb.298:
	v_cmp_ge_u32_e32 vcc, v15, v14
	s_and_saveexec_b64 s[6:7], vcc
	s_xor_b64 s[6:7], exec, s[6:7]
	s_cbranch_execz .LBB1185_300
; %bb.299:
	v_lshlrev_b32_e32 v15, 2, v0
	ds_read_b32 v17, v15 offset:4096
	v_add_co_u32_e32 v15, vcc, v7, v0
	v_addc_co_u32_e32 v16, vcc, 0, v13, vcc
	v_lshlrev_b64 v[15:16], 2, v[15:16]
	v_mov_b32_e32 v18, s31
	v_sub_co_u32_e32 v15, vcc, s30, v15
	v_subb_co_u32_e32 v16, vcc, v18, v16, vcc
	v_add_co_u32_e32 v15, vcc, 0xfffff000, v15
	v_addc_co_u32_e32 v16, vcc, -1, v16, vcc
	s_waitcnt lgkmcnt(0)
	global_store_dword v[15:16], v17, off offset:-4
                                        ; implicit-def: $vgpr15
.LBB1185_300:
	s_andn2_saveexec_b64 s[6:7], s[6:7]
	s_cbranch_execz .LBB1185_302
; %bb.301:
	v_lshlrev_b32_e32 v16, 2, v0
	ds_read_b32 v16, v16 offset:4096
	v_lshlrev_b32_e32 v15, 2, v15
	v_readfirstlane_b32 s8, v9
	v_readfirstlane_b32 s9, v10
	s_waitcnt lgkmcnt(0)
	s_nop 3
	global_store_dword v15, v16, s[8:9]
.LBB1185_302:
	s_or_b64 exec, exec, s[6:7]
                                        ; implicit-def: $vgpr15
.LBB1185_303:
	s_andn2_saveexec_b64 s[4:5], s[4:5]
	s_cbranch_execz .LBB1185_305
; %bb.304:
	v_lshlrev_b32_e32 v16, 2, v0
	ds_read_b32 v16, v16 offset:4096
	v_lshlrev_b32_e32 v15, 2, v15
	v_readfirstlane_b32 s4, v11
	v_readfirstlane_b32 s5, v12
	s_waitcnt lgkmcnt(0)
	s_nop 3
	global_store_dword v15, v16, s[4:5]
.LBB1185_305:
	s_or_b64 exec, exec, s[2:3]
	v_or_b32_e32 v15, 0x500, v0
	v_cmp_gt_u32_e32 vcc, s16, v15
	s_and_saveexec_b64 s[2:3], vcc
	s_cbranch_execz .LBB1185_314
; %bb.306:
	v_cmp_ge_u32_e32 vcc, v15, v5
	s_and_saveexec_b64 s[4:5], vcc
	s_xor_b64 s[4:5], exec, s[4:5]
	s_cbranch_execz .LBB1185_312
; %bb.307:
	v_cmp_ge_u32_e32 vcc, v15, v14
	s_and_saveexec_b64 s[6:7], vcc
	s_xor_b64 s[6:7], exec, s[6:7]
	s_cbranch_execz .LBB1185_309
; %bb.308:
	v_add_co_u32_e32 v15, vcc, v7, v15
	v_lshlrev_b32_e32 v17, 2, v0
	v_addc_co_u32_e32 v16, vcc, 0, v13, vcc
	ds_read_b32 v17, v17 offset:5120
	v_lshlrev_b64 v[15:16], 2, v[15:16]
	v_mov_b32_e32 v18, s31
	v_sub_co_u32_e32 v15, vcc, s30, v15
	v_subb_co_u32_e32 v16, vcc, v18, v16, vcc
	s_waitcnt lgkmcnt(0)
	global_store_dword v[15:16], v17, off offset:-4
                                        ; implicit-def: $vgpr15
.LBB1185_309:
	s_andn2_saveexec_b64 s[6:7], s[6:7]
	s_cbranch_execz .LBB1185_311
; %bb.310:
	v_lshlrev_b32_e32 v16, 2, v0
	ds_read_b32 v16, v16 offset:5120
	v_lshlrev_b32_e32 v15, 2, v15
	v_readfirstlane_b32 s8, v9
	v_readfirstlane_b32 s9, v10
	s_waitcnt lgkmcnt(0)
	s_nop 3
	global_store_dword v15, v16, s[8:9]
.LBB1185_311:
	s_or_b64 exec, exec, s[6:7]
                                        ; implicit-def: $vgpr15
.LBB1185_312:
	s_andn2_saveexec_b64 s[4:5], s[4:5]
	s_cbranch_execz .LBB1185_314
; %bb.313:
	v_lshlrev_b32_e32 v16, 2, v0
	ds_read_b32 v16, v16 offset:5120
	v_lshlrev_b32_e32 v15, 2, v15
	v_readfirstlane_b32 s4, v11
	v_readfirstlane_b32 s5, v12
	s_waitcnt lgkmcnt(0)
	s_nop 3
	global_store_dword v15, v16, s[4:5]
.LBB1185_314:
	s_or_b64 exec, exec, s[2:3]
	v_or_b32_e32 v15, 0x600, v0
	v_cmp_gt_u32_e32 vcc, s16, v15
	s_and_saveexec_b64 s[2:3], vcc
	s_cbranch_execz .LBB1185_323
; %bb.315:
	v_cmp_ge_u32_e32 vcc, v15, v5
	s_and_saveexec_b64 s[4:5], vcc
	s_xor_b64 s[4:5], exec, s[4:5]
	s_cbranch_execz .LBB1185_321
; %bb.316:
	v_cmp_ge_u32_e32 vcc, v15, v14
	s_and_saveexec_b64 s[6:7], vcc
	s_xor_b64 s[6:7], exec, s[6:7]
	s_cbranch_execz .LBB1185_318
; %bb.317:
	v_add_co_u32_e32 v15, vcc, v7, v15
	v_lshlrev_b32_e32 v17, 2, v0
	v_addc_co_u32_e32 v16, vcc, 0, v13, vcc
	ds_read_b32 v17, v17 offset:6144
	v_lshlrev_b64 v[15:16], 2, v[15:16]
	v_mov_b32_e32 v18, s31
	v_sub_co_u32_e32 v15, vcc, s30, v15
	v_subb_co_u32_e32 v16, vcc, v18, v16, vcc
	s_waitcnt lgkmcnt(0)
	global_store_dword v[15:16], v17, off offset:-4
                                        ; implicit-def: $vgpr15
.LBB1185_318:
	s_andn2_saveexec_b64 s[6:7], s[6:7]
	s_cbranch_execz .LBB1185_320
; %bb.319:
	v_lshlrev_b32_e32 v16, 2, v0
	ds_read_b32 v16, v16 offset:6144
	v_lshlrev_b32_e32 v15, 2, v15
	v_readfirstlane_b32 s8, v9
	v_readfirstlane_b32 s9, v10
	s_waitcnt lgkmcnt(0)
	s_nop 3
	global_store_dword v15, v16, s[8:9]
.LBB1185_320:
	s_or_b64 exec, exec, s[6:7]
                                        ; implicit-def: $vgpr15
.LBB1185_321:
	s_andn2_saveexec_b64 s[4:5], s[4:5]
	s_cbranch_execz .LBB1185_323
; %bb.322:
	v_lshlrev_b32_e32 v16, 2, v0
	ds_read_b32 v16, v16 offset:6144
	v_lshlrev_b32_e32 v15, 2, v15
	v_readfirstlane_b32 s4, v11
	v_readfirstlane_b32 s5, v12
	s_waitcnt lgkmcnt(0)
	s_nop 3
	global_store_dword v15, v16, s[4:5]
.LBB1185_323:
	;; [unrolled: 55-line block ×7, first 2 shown]
	s_or_b64 exec, exec, s[2:3]
	v_or_b32_e32 v15, 0xc00, v0
	v_cmp_gt_u32_e32 vcc, s16, v15
	s_and_saveexec_b64 s[2:3], vcc
	s_cbranch_execz .LBB1185_377
; %bb.369:
	v_cmp_ge_u32_e32 vcc, v15, v5
	s_and_saveexec_b64 s[4:5], vcc
	s_xor_b64 s[4:5], exec, s[4:5]
	s_cbranch_execz .LBB1185_375
; %bb.370:
	v_cmp_ge_u32_e32 vcc, v15, v14
	s_and_saveexec_b64 s[6:7], vcc
	s_xor_b64 s[6:7], exec, s[6:7]
	s_cbranch_execz .LBB1185_372
; %bb.371:
	v_add_co_u32_e32 v9, vcc, v7, v15
	v_lshlrev_b32_e32 v0, 2, v0
	v_addc_co_u32_e32 v10, vcc, 0, v13, vcc
	ds_read_b32 v0, v0 offset:12288
	v_lshlrev_b64 v[9:10], 2, v[9:10]
	v_mov_b32_e32 v7, s31
	v_sub_co_u32_e32 v9, vcc, s30, v9
	v_subb_co_u32_e32 v10, vcc, v7, v10, vcc
	s_waitcnt lgkmcnt(0)
	global_store_dword v[9:10], v0, off offset:-4
                                        ; implicit-def: $vgpr0
                                        ; implicit-def: $vgpr15
                                        ; implicit-def: $vgpr9_vgpr10
.LBB1185_372:
	s_andn2_saveexec_b64 s[6:7], s[6:7]
	s_cbranch_execz .LBB1185_374
; %bb.373:
	v_lshlrev_b32_e32 v0, 2, v0
	ds_read_b32 v0, v0 offset:12288
	v_lshlrev_b32_e32 v7, 2, v15
	v_readfirstlane_b32 s8, v9
	v_readfirstlane_b32 s9, v10
	s_waitcnt lgkmcnt(0)
	s_nop 3
	global_store_dword v7, v0, s[8:9]
.LBB1185_374:
	s_or_b64 exec, exec, s[6:7]
                                        ; implicit-def: $vgpr0
                                        ; implicit-def: $vgpr15
                                        ; implicit-def: $vgpr11_vgpr12
.LBB1185_375:
	s_andn2_saveexec_b64 s[4:5], s[4:5]
	s_cbranch_execz .LBB1185_377
; %bb.376:
	v_lshlrev_b32_e32 v0, 2, v0
	ds_read_b32 v0, v0 offset:12288
	v_lshlrev_b32_e32 v7, 2, v15
	v_readfirstlane_b32 s4, v11
	v_readfirstlane_b32 s5, v12
	s_waitcnt lgkmcnt(0)
	s_nop 3
	global_store_dword v7, v0, s[4:5]
.LBB1185_377:
	s_or_b64 exec, exec, s[2:3]
	s_and_b64 s[0:1], s[0:1], s[34:35]
	s_and_saveexec_b64 s[2:3], s[0:1]
	s_cbranch_execz .LBB1185_154
.LBB1185_378:
	v_add_co_u32_e32 v3, vcc, v3, v6
	v_addc_co_u32_e32 v4, vcc, 0, v4, vcc
	v_add_co_u32_e32 v3, vcc, v3, v8
	v_addc_co_u32_e32 v4, vcc, 0, v4, vcc
	v_add_co_u32_e32 v1, vcc, v1, v5
	v_mov_b32_e32 v0, 0
	v_addc_co_u32_e32 v2, vcc, 0, v2, vcc
	global_store_dwordx4 v0, v[1:4], s[44:45]
	s_endpgm
.LBB1185_379:
	s_add_i32 s14, s33, 64
	s_mov_b32 s15, 0
	s_lshl_b64 s[14:15], s[14:15], 4
	s_add_u32 s14, s54, s14
	s_addc_u32 s15, s55, s15
	v_mov_b32_e32 v28, s15
	v_add_u32_e32 v10, v8, v6
	v_add_u32_e32 v9, v7, v5
	v_mov_b32_e32 v11, 2
	v_mov_b32_e32 v12, 0
	;; [unrolled: 1-line block ×3, first 2 shown]
	;;#ASMSTART
	global_store_dwordx4 v[27:28], v[9:12] off	
s_waitcnt vmcnt(0)
	;;#ASMEND
	s_or_b64 exec, exec, s[12:13]
	s_and_saveexec_b64 s[12:13], s[8:9]
	s_cbranch_execz .LBB1185_139
.LBB1185_380:
	v_mov_b32_e32 v9, 0
	ds_write_b128 v9, v[5:8] offset:13312
	s_or_b64 exec, exec, s[12:13]
	s_and_b64 exec, exec, s[0:1]
	s_cbranch_execnz .LBB1185_140
	s_branch .LBB1185_141
	.section	.rodata,"a",@progbits
	.p2align	6, 0x0
	.amdhsa_kernel _ZN7rocprim17ROCPRIM_400000_NS6detail17trampoline_kernelINS0_13select_configILj256ELj13ELNS0_17block_load_methodE3ELS4_3ELS4_3ELNS0_20block_scan_algorithmE0ELj4294967295EEENS1_25partition_config_selectorILNS1_17partition_subalgoE4EjNS0_10empty_typeEbEEZZNS1_14partition_implILS8_4ELb0ES6_15HIP_vector_typeIjLj2EENS0_17counting_iteratorIjlEEPS9_SG_NS0_5tupleIJPjSI_NS0_16reverse_iteratorISI_EEEEENSH_IJSG_SG_SG_EEES9_SI_JZNS1_25segmented_radix_sort_implINS0_14default_configELb0EPKdPdPKlPlN2at6native12_GLOBAL__N_18offset_tEEE10hipError_tPvRmT1_PNSt15iterator_traitsIS12_E10value_typeET2_T3_PNS13_IS18_E10value_typeET4_jRbjT5_S1E_jjP12ihipStream_tbEUljE_ZNSN_ISO_Lb0ESQ_SR_ST_SU_SY_EESZ_S10_S11_S12_S16_S17_S18_S1B_S1C_jS1D_jS1E_S1E_jjS1G_bEUljE0_EEESZ_S10_S11_S18_S1C_S1E_T6_T7_T9_mT8_S1G_bDpT10_ENKUlT_T0_E_clISt17integral_constantIbLb0EES1T_IbLb1EEEEDaS1P_S1Q_EUlS1P_E_NS1_11comp_targetILNS1_3genE2ELNS1_11target_archE906ELNS1_3gpuE6ELNS1_3repE0EEENS1_30default_config_static_selectorELNS0_4arch9wavefront6targetE1EEEvS12_
		.amdhsa_group_segment_fixed_size 13328
		.amdhsa_private_segment_fixed_size 0
		.amdhsa_kernarg_size 184
		.amdhsa_user_sgpr_count 6
		.amdhsa_user_sgpr_private_segment_buffer 1
		.amdhsa_user_sgpr_dispatch_ptr 0
		.amdhsa_user_sgpr_queue_ptr 0
		.amdhsa_user_sgpr_kernarg_segment_ptr 1
		.amdhsa_user_sgpr_dispatch_id 0
		.amdhsa_user_sgpr_flat_scratch_init 0
		.amdhsa_user_sgpr_private_segment_size 0
		.amdhsa_uses_dynamic_stack 0
		.amdhsa_system_sgpr_private_segment_wavefront_offset 0
		.amdhsa_system_sgpr_workgroup_id_x 1
		.amdhsa_system_sgpr_workgroup_id_y 0
		.amdhsa_system_sgpr_workgroup_id_z 0
		.amdhsa_system_sgpr_workgroup_info 0
		.amdhsa_system_vgpr_workitem_id 0
		.amdhsa_next_free_vgpr 91
		.amdhsa_next_free_sgpr 98
		.amdhsa_reserve_vcc 1
		.amdhsa_reserve_flat_scratch 0
		.amdhsa_float_round_mode_32 0
		.amdhsa_float_round_mode_16_64 0
		.amdhsa_float_denorm_mode_32 3
		.amdhsa_float_denorm_mode_16_64 3
		.amdhsa_dx10_clamp 1
		.amdhsa_ieee_mode 1
		.amdhsa_fp16_overflow 0
		.amdhsa_exception_fp_ieee_invalid_op 0
		.amdhsa_exception_fp_denorm_src 0
		.amdhsa_exception_fp_ieee_div_zero 0
		.amdhsa_exception_fp_ieee_overflow 0
		.amdhsa_exception_fp_ieee_underflow 0
		.amdhsa_exception_fp_ieee_inexact 0
		.amdhsa_exception_int_div_zero 0
	.end_amdhsa_kernel
	.section	.text._ZN7rocprim17ROCPRIM_400000_NS6detail17trampoline_kernelINS0_13select_configILj256ELj13ELNS0_17block_load_methodE3ELS4_3ELS4_3ELNS0_20block_scan_algorithmE0ELj4294967295EEENS1_25partition_config_selectorILNS1_17partition_subalgoE4EjNS0_10empty_typeEbEEZZNS1_14partition_implILS8_4ELb0ES6_15HIP_vector_typeIjLj2EENS0_17counting_iteratorIjlEEPS9_SG_NS0_5tupleIJPjSI_NS0_16reverse_iteratorISI_EEEEENSH_IJSG_SG_SG_EEES9_SI_JZNS1_25segmented_radix_sort_implINS0_14default_configELb0EPKdPdPKlPlN2at6native12_GLOBAL__N_18offset_tEEE10hipError_tPvRmT1_PNSt15iterator_traitsIS12_E10value_typeET2_T3_PNS13_IS18_E10value_typeET4_jRbjT5_S1E_jjP12ihipStream_tbEUljE_ZNSN_ISO_Lb0ESQ_SR_ST_SU_SY_EESZ_S10_S11_S12_S16_S17_S18_S1B_S1C_jS1D_jS1E_S1E_jjS1G_bEUljE0_EEESZ_S10_S11_S18_S1C_S1E_T6_T7_T9_mT8_S1G_bDpT10_ENKUlT_T0_E_clISt17integral_constantIbLb0EES1T_IbLb1EEEEDaS1P_S1Q_EUlS1P_E_NS1_11comp_targetILNS1_3genE2ELNS1_11target_archE906ELNS1_3gpuE6ELNS1_3repE0EEENS1_30default_config_static_selectorELNS0_4arch9wavefront6targetE1EEEvS12_,"axG",@progbits,_ZN7rocprim17ROCPRIM_400000_NS6detail17trampoline_kernelINS0_13select_configILj256ELj13ELNS0_17block_load_methodE3ELS4_3ELS4_3ELNS0_20block_scan_algorithmE0ELj4294967295EEENS1_25partition_config_selectorILNS1_17partition_subalgoE4EjNS0_10empty_typeEbEEZZNS1_14partition_implILS8_4ELb0ES6_15HIP_vector_typeIjLj2EENS0_17counting_iteratorIjlEEPS9_SG_NS0_5tupleIJPjSI_NS0_16reverse_iteratorISI_EEEEENSH_IJSG_SG_SG_EEES9_SI_JZNS1_25segmented_radix_sort_implINS0_14default_configELb0EPKdPdPKlPlN2at6native12_GLOBAL__N_18offset_tEEE10hipError_tPvRmT1_PNSt15iterator_traitsIS12_E10value_typeET2_T3_PNS13_IS18_E10value_typeET4_jRbjT5_S1E_jjP12ihipStream_tbEUljE_ZNSN_ISO_Lb0ESQ_SR_ST_SU_SY_EESZ_S10_S11_S12_S16_S17_S18_S1B_S1C_jS1D_jS1E_S1E_jjS1G_bEUljE0_EEESZ_S10_S11_S18_S1C_S1E_T6_T7_T9_mT8_S1G_bDpT10_ENKUlT_T0_E_clISt17integral_constantIbLb0EES1T_IbLb1EEEEDaS1P_S1Q_EUlS1P_E_NS1_11comp_targetILNS1_3genE2ELNS1_11target_archE906ELNS1_3gpuE6ELNS1_3repE0EEENS1_30default_config_static_selectorELNS0_4arch9wavefront6targetE1EEEvS12_,comdat
.Lfunc_end1185:
	.size	_ZN7rocprim17ROCPRIM_400000_NS6detail17trampoline_kernelINS0_13select_configILj256ELj13ELNS0_17block_load_methodE3ELS4_3ELS4_3ELNS0_20block_scan_algorithmE0ELj4294967295EEENS1_25partition_config_selectorILNS1_17partition_subalgoE4EjNS0_10empty_typeEbEEZZNS1_14partition_implILS8_4ELb0ES6_15HIP_vector_typeIjLj2EENS0_17counting_iteratorIjlEEPS9_SG_NS0_5tupleIJPjSI_NS0_16reverse_iteratorISI_EEEEENSH_IJSG_SG_SG_EEES9_SI_JZNS1_25segmented_radix_sort_implINS0_14default_configELb0EPKdPdPKlPlN2at6native12_GLOBAL__N_18offset_tEEE10hipError_tPvRmT1_PNSt15iterator_traitsIS12_E10value_typeET2_T3_PNS13_IS18_E10value_typeET4_jRbjT5_S1E_jjP12ihipStream_tbEUljE_ZNSN_ISO_Lb0ESQ_SR_ST_SU_SY_EESZ_S10_S11_S12_S16_S17_S18_S1B_S1C_jS1D_jS1E_S1E_jjS1G_bEUljE0_EEESZ_S10_S11_S18_S1C_S1E_T6_T7_T9_mT8_S1G_bDpT10_ENKUlT_T0_E_clISt17integral_constantIbLb0EES1T_IbLb1EEEEDaS1P_S1Q_EUlS1P_E_NS1_11comp_targetILNS1_3genE2ELNS1_11target_archE906ELNS1_3gpuE6ELNS1_3repE0EEENS1_30default_config_static_selectorELNS0_4arch9wavefront6targetE1EEEvS12_, .Lfunc_end1185-_ZN7rocprim17ROCPRIM_400000_NS6detail17trampoline_kernelINS0_13select_configILj256ELj13ELNS0_17block_load_methodE3ELS4_3ELS4_3ELNS0_20block_scan_algorithmE0ELj4294967295EEENS1_25partition_config_selectorILNS1_17partition_subalgoE4EjNS0_10empty_typeEbEEZZNS1_14partition_implILS8_4ELb0ES6_15HIP_vector_typeIjLj2EENS0_17counting_iteratorIjlEEPS9_SG_NS0_5tupleIJPjSI_NS0_16reverse_iteratorISI_EEEEENSH_IJSG_SG_SG_EEES9_SI_JZNS1_25segmented_radix_sort_implINS0_14default_configELb0EPKdPdPKlPlN2at6native12_GLOBAL__N_18offset_tEEE10hipError_tPvRmT1_PNSt15iterator_traitsIS12_E10value_typeET2_T3_PNS13_IS18_E10value_typeET4_jRbjT5_S1E_jjP12ihipStream_tbEUljE_ZNSN_ISO_Lb0ESQ_SR_ST_SU_SY_EESZ_S10_S11_S12_S16_S17_S18_S1B_S1C_jS1D_jS1E_S1E_jjS1G_bEUljE0_EEESZ_S10_S11_S18_S1C_S1E_T6_T7_T9_mT8_S1G_bDpT10_ENKUlT_T0_E_clISt17integral_constantIbLb0EES1T_IbLb1EEEEDaS1P_S1Q_EUlS1P_E_NS1_11comp_targetILNS1_3genE2ELNS1_11target_archE906ELNS1_3gpuE6ELNS1_3repE0EEENS1_30default_config_static_selectorELNS0_4arch9wavefront6targetE1EEEvS12_
                                        ; -- End function
	.set _ZN7rocprim17ROCPRIM_400000_NS6detail17trampoline_kernelINS0_13select_configILj256ELj13ELNS0_17block_load_methodE3ELS4_3ELS4_3ELNS0_20block_scan_algorithmE0ELj4294967295EEENS1_25partition_config_selectorILNS1_17partition_subalgoE4EjNS0_10empty_typeEbEEZZNS1_14partition_implILS8_4ELb0ES6_15HIP_vector_typeIjLj2EENS0_17counting_iteratorIjlEEPS9_SG_NS0_5tupleIJPjSI_NS0_16reverse_iteratorISI_EEEEENSH_IJSG_SG_SG_EEES9_SI_JZNS1_25segmented_radix_sort_implINS0_14default_configELb0EPKdPdPKlPlN2at6native12_GLOBAL__N_18offset_tEEE10hipError_tPvRmT1_PNSt15iterator_traitsIS12_E10value_typeET2_T3_PNS13_IS18_E10value_typeET4_jRbjT5_S1E_jjP12ihipStream_tbEUljE_ZNSN_ISO_Lb0ESQ_SR_ST_SU_SY_EESZ_S10_S11_S12_S16_S17_S18_S1B_S1C_jS1D_jS1E_S1E_jjS1G_bEUljE0_EEESZ_S10_S11_S18_S1C_S1E_T6_T7_T9_mT8_S1G_bDpT10_ENKUlT_T0_E_clISt17integral_constantIbLb0EES1T_IbLb1EEEEDaS1P_S1Q_EUlS1P_E_NS1_11comp_targetILNS1_3genE2ELNS1_11target_archE906ELNS1_3gpuE6ELNS1_3repE0EEENS1_30default_config_static_selectorELNS0_4arch9wavefront6targetE1EEEvS12_.num_vgpr, 91
	.set _ZN7rocprim17ROCPRIM_400000_NS6detail17trampoline_kernelINS0_13select_configILj256ELj13ELNS0_17block_load_methodE3ELS4_3ELS4_3ELNS0_20block_scan_algorithmE0ELj4294967295EEENS1_25partition_config_selectorILNS1_17partition_subalgoE4EjNS0_10empty_typeEbEEZZNS1_14partition_implILS8_4ELb0ES6_15HIP_vector_typeIjLj2EENS0_17counting_iteratorIjlEEPS9_SG_NS0_5tupleIJPjSI_NS0_16reverse_iteratorISI_EEEEENSH_IJSG_SG_SG_EEES9_SI_JZNS1_25segmented_radix_sort_implINS0_14default_configELb0EPKdPdPKlPlN2at6native12_GLOBAL__N_18offset_tEEE10hipError_tPvRmT1_PNSt15iterator_traitsIS12_E10value_typeET2_T3_PNS13_IS18_E10value_typeET4_jRbjT5_S1E_jjP12ihipStream_tbEUljE_ZNSN_ISO_Lb0ESQ_SR_ST_SU_SY_EESZ_S10_S11_S12_S16_S17_S18_S1B_S1C_jS1D_jS1E_S1E_jjS1G_bEUljE0_EEESZ_S10_S11_S18_S1C_S1E_T6_T7_T9_mT8_S1G_bDpT10_ENKUlT_T0_E_clISt17integral_constantIbLb0EES1T_IbLb1EEEEDaS1P_S1Q_EUlS1P_E_NS1_11comp_targetILNS1_3genE2ELNS1_11target_archE906ELNS1_3gpuE6ELNS1_3repE0EEENS1_30default_config_static_selectorELNS0_4arch9wavefront6targetE1EEEvS12_.num_agpr, 0
	.set _ZN7rocprim17ROCPRIM_400000_NS6detail17trampoline_kernelINS0_13select_configILj256ELj13ELNS0_17block_load_methodE3ELS4_3ELS4_3ELNS0_20block_scan_algorithmE0ELj4294967295EEENS1_25partition_config_selectorILNS1_17partition_subalgoE4EjNS0_10empty_typeEbEEZZNS1_14partition_implILS8_4ELb0ES6_15HIP_vector_typeIjLj2EENS0_17counting_iteratorIjlEEPS9_SG_NS0_5tupleIJPjSI_NS0_16reverse_iteratorISI_EEEEENSH_IJSG_SG_SG_EEES9_SI_JZNS1_25segmented_radix_sort_implINS0_14default_configELb0EPKdPdPKlPlN2at6native12_GLOBAL__N_18offset_tEEE10hipError_tPvRmT1_PNSt15iterator_traitsIS12_E10value_typeET2_T3_PNS13_IS18_E10value_typeET4_jRbjT5_S1E_jjP12ihipStream_tbEUljE_ZNSN_ISO_Lb0ESQ_SR_ST_SU_SY_EESZ_S10_S11_S12_S16_S17_S18_S1B_S1C_jS1D_jS1E_S1E_jjS1G_bEUljE0_EEESZ_S10_S11_S18_S1C_S1E_T6_T7_T9_mT8_S1G_bDpT10_ENKUlT_T0_E_clISt17integral_constantIbLb0EES1T_IbLb1EEEEDaS1P_S1Q_EUlS1P_E_NS1_11comp_targetILNS1_3genE2ELNS1_11target_archE906ELNS1_3gpuE6ELNS1_3repE0EEENS1_30default_config_static_selectorELNS0_4arch9wavefront6targetE1EEEvS12_.numbered_sgpr, 87
	.set _ZN7rocprim17ROCPRIM_400000_NS6detail17trampoline_kernelINS0_13select_configILj256ELj13ELNS0_17block_load_methodE3ELS4_3ELS4_3ELNS0_20block_scan_algorithmE0ELj4294967295EEENS1_25partition_config_selectorILNS1_17partition_subalgoE4EjNS0_10empty_typeEbEEZZNS1_14partition_implILS8_4ELb0ES6_15HIP_vector_typeIjLj2EENS0_17counting_iteratorIjlEEPS9_SG_NS0_5tupleIJPjSI_NS0_16reverse_iteratorISI_EEEEENSH_IJSG_SG_SG_EEES9_SI_JZNS1_25segmented_radix_sort_implINS0_14default_configELb0EPKdPdPKlPlN2at6native12_GLOBAL__N_18offset_tEEE10hipError_tPvRmT1_PNSt15iterator_traitsIS12_E10value_typeET2_T3_PNS13_IS18_E10value_typeET4_jRbjT5_S1E_jjP12ihipStream_tbEUljE_ZNSN_ISO_Lb0ESQ_SR_ST_SU_SY_EESZ_S10_S11_S12_S16_S17_S18_S1B_S1C_jS1D_jS1E_S1E_jjS1G_bEUljE0_EEESZ_S10_S11_S18_S1C_S1E_T6_T7_T9_mT8_S1G_bDpT10_ENKUlT_T0_E_clISt17integral_constantIbLb0EES1T_IbLb1EEEEDaS1P_S1Q_EUlS1P_E_NS1_11comp_targetILNS1_3genE2ELNS1_11target_archE906ELNS1_3gpuE6ELNS1_3repE0EEENS1_30default_config_static_selectorELNS0_4arch9wavefront6targetE1EEEvS12_.num_named_barrier, 0
	.set _ZN7rocprim17ROCPRIM_400000_NS6detail17trampoline_kernelINS0_13select_configILj256ELj13ELNS0_17block_load_methodE3ELS4_3ELS4_3ELNS0_20block_scan_algorithmE0ELj4294967295EEENS1_25partition_config_selectorILNS1_17partition_subalgoE4EjNS0_10empty_typeEbEEZZNS1_14partition_implILS8_4ELb0ES6_15HIP_vector_typeIjLj2EENS0_17counting_iteratorIjlEEPS9_SG_NS0_5tupleIJPjSI_NS0_16reverse_iteratorISI_EEEEENSH_IJSG_SG_SG_EEES9_SI_JZNS1_25segmented_radix_sort_implINS0_14default_configELb0EPKdPdPKlPlN2at6native12_GLOBAL__N_18offset_tEEE10hipError_tPvRmT1_PNSt15iterator_traitsIS12_E10value_typeET2_T3_PNS13_IS18_E10value_typeET4_jRbjT5_S1E_jjP12ihipStream_tbEUljE_ZNSN_ISO_Lb0ESQ_SR_ST_SU_SY_EESZ_S10_S11_S12_S16_S17_S18_S1B_S1C_jS1D_jS1E_S1E_jjS1G_bEUljE0_EEESZ_S10_S11_S18_S1C_S1E_T6_T7_T9_mT8_S1G_bDpT10_ENKUlT_T0_E_clISt17integral_constantIbLb0EES1T_IbLb1EEEEDaS1P_S1Q_EUlS1P_E_NS1_11comp_targetILNS1_3genE2ELNS1_11target_archE906ELNS1_3gpuE6ELNS1_3repE0EEENS1_30default_config_static_selectorELNS0_4arch9wavefront6targetE1EEEvS12_.private_seg_size, 0
	.set _ZN7rocprim17ROCPRIM_400000_NS6detail17trampoline_kernelINS0_13select_configILj256ELj13ELNS0_17block_load_methodE3ELS4_3ELS4_3ELNS0_20block_scan_algorithmE0ELj4294967295EEENS1_25partition_config_selectorILNS1_17partition_subalgoE4EjNS0_10empty_typeEbEEZZNS1_14partition_implILS8_4ELb0ES6_15HIP_vector_typeIjLj2EENS0_17counting_iteratorIjlEEPS9_SG_NS0_5tupleIJPjSI_NS0_16reverse_iteratorISI_EEEEENSH_IJSG_SG_SG_EEES9_SI_JZNS1_25segmented_radix_sort_implINS0_14default_configELb0EPKdPdPKlPlN2at6native12_GLOBAL__N_18offset_tEEE10hipError_tPvRmT1_PNSt15iterator_traitsIS12_E10value_typeET2_T3_PNS13_IS18_E10value_typeET4_jRbjT5_S1E_jjP12ihipStream_tbEUljE_ZNSN_ISO_Lb0ESQ_SR_ST_SU_SY_EESZ_S10_S11_S12_S16_S17_S18_S1B_S1C_jS1D_jS1E_S1E_jjS1G_bEUljE0_EEESZ_S10_S11_S18_S1C_S1E_T6_T7_T9_mT8_S1G_bDpT10_ENKUlT_T0_E_clISt17integral_constantIbLb0EES1T_IbLb1EEEEDaS1P_S1Q_EUlS1P_E_NS1_11comp_targetILNS1_3genE2ELNS1_11target_archE906ELNS1_3gpuE6ELNS1_3repE0EEENS1_30default_config_static_selectorELNS0_4arch9wavefront6targetE1EEEvS12_.uses_vcc, 1
	.set _ZN7rocprim17ROCPRIM_400000_NS6detail17trampoline_kernelINS0_13select_configILj256ELj13ELNS0_17block_load_methodE3ELS4_3ELS4_3ELNS0_20block_scan_algorithmE0ELj4294967295EEENS1_25partition_config_selectorILNS1_17partition_subalgoE4EjNS0_10empty_typeEbEEZZNS1_14partition_implILS8_4ELb0ES6_15HIP_vector_typeIjLj2EENS0_17counting_iteratorIjlEEPS9_SG_NS0_5tupleIJPjSI_NS0_16reverse_iteratorISI_EEEEENSH_IJSG_SG_SG_EEES9_SI_JZNS1_25segmented_radix_sort_implINS0_14default_configELb0EPKdPdPKlPlN2at6native12_GLOBAL__N_18offset_tEEE10hipError_tPvRmT1_PNSt15iterator_traitsIS12_E10value_typeET2_T3_PNS13_IS18_E10value_typeET4_jRbjT5_S1E_jjP12ihipStream_tbEUljE_ZNSN_ISO_Lb0ESQ_SR_ST_SU_SY_EESZ_S10_S11_S12_S16_S17_S18_S1B_S1C_jS1D_jS1E_S1E_jjS1G_bEUljE0_EEESZ_S10_S11_S18_S1C_S1E_T6_T7_T9_mT8_S1G_bDpT10_ENKUlT_T0_E_clISt17integral_constantIbLb0EES1T_IbLb1EEEEDaS1P_S1Q_EUlS1P_E_NS1_11comp_targetILNS1_3genE2ELNS1_11target_archE906ELNS1_3gpuE6ELNS1_3repE0EEENS1_30default_config_static_selectorELNS0_4arch9wavefront6targetE1EEEvS12_.uses_flat_scratch, 0
	.set _ZN7rocprim17ROCPRIM_400000_NS6detail17trampoline_kernelINS0_13select_configILj256ELj13ELNS0_17block_load_methodE3ELS4_3ELS4_3ELNS0_20block_scan_algorithmE0ELj4294967295EEENS1_25partition_config_selectorILNS1_17partition_subalgoE4EjNS0_10empty_typeEbEEZZNS1_14partition_implILS8_4ELb0ES6_15HIP_vector_typeIjLj2EENS0_17counting_iteratorIjlEEPS9_SG_NS0_5tupleIJPjSI_NS0_16reverse_iteratorISI_EEEEENSH_IJSG_SG_SG_EEES9_SI_JZNS1_25segmented_radix_sort_implINS0_14default_configELb0EPKdPdPKlPlN2at6native12_GLOBAL__N_18offset_tEEE10hipError_tPvRmT1_PNSt15iterator_traitsIS12_E10value_typeET2_T3_PNS13_IS18_E10value_typeET4_jRbjT5_S1E_jjP12ihipStream_tbEUljE_ZNSN_ISO_Lb0ESQ_SR_ST_SU_SY_EESZ_S10_S11_S12_S16_S17_S18_S1B_S1C_jS1D_jS1E_S1E_jjS1G_bEUljE0_EEESZ_S10_S11_S18_S1C_S1E_T6_T7_T9_mT8_S1G_bDpT10_ENKUlT_T0_E_clISt17integral_constantIbLb0EES1T_IbLb1EEEEDaS1P_S1Q_EUlS1P_E_NS1_11comp_targetILNS1_3genE2ELNS1_11target_archE906ELNS1_3gpuE6ELNS1_3repE0EEENS1_30default_config_static_selectorELNS0_4arch9wavefront6targetE1EEEvS12_.has_dyn_sized_stack, 0
	.set _ZN7rocprim17ROCPRIM_400000_NS6detail17trampoline_kernelINS0_13select_configILj256ELj13ELNS0_17block_load_methodE3ELS4_3ELS4_3ELNS0_20block_scan_algorithmE0ELj4294967295EEENS1_25partition_config_selectorILNS1_17partition_subalgoE4EjNS0_10empty_typeEbEEZZNS1_14partition_implILS8_4ELb0ES6_15HIP_vector_typeIjLj2EENS0_17counting_iteratorIjlEEPS9_SG_NS0_5tupleIJPjSI_NS0_16reverse_iteratorISI_EEEEENSH_IJSG_SG_SG_EEES9_SI_JZNS1_25segmented_radix_sort_implINS0_14default_configELb0EPKdPdPKlPlN2at6native12_GLOBAL__N_18offset_tEEE10hipError_tPvRmT1_PNSt15iterator_traitsIS12_E10value_typeET2_T3_PNS13_IS18_E10value_typeET4_jRbjT5_S1E_jjP12ihipStream_tbEUljE_ZNSN_ISO_Lb0ESQ_SR_ST_SU_SY_EESZ_S10_S11_S12_S16_S17_S18_S1B_S1C_jS1D_jS1E_S1E_jjS1G_bEUljE0_EEESZ_S10_S11_S18_S1C_S1E_T6_T7_T9_mT8_S1G_bDpT10_ENKUlT_T0_E_clISt17integral_constantIbLb0EES1T_IbLb1EEEEDaS1P_S1Q_EUlS1P_E_NS1_11comp_targetILNS1_3genE2ELNS1_11target_archE906ELNS1_3gpuE6ELNS1_3repE0EEENS1_30default_config_static_selectorELNS0_4arch9wavefront6targetE1EEEvS12_.has_recursion, 0
	.set _ZN7rocprim17ROCPRIM_400000_NS6detail17trampoline_kernelINS0_13select_configILj256ELj13ELNS0_17block_load_methodE3ELS4_3ELS4_3ELNS0_20block_scan_algorithmE0ELj4294967295EEENS1_25partition_config_selectorILNS1_17partition_subalgoE4EjNS0_10empty_typeEbEEZZNS1_14partition_implILS8_4ELb0ES6_15HIP_vector_typeIjLj2EENS0_17counting_iteratorIjlEEPS9_SG_NS0_5tupleIJPjSI_NS0_16reverse_iteratorISI_EEEEENSH_IJSG_SG_SG_EEES9_SI_JZNS1_25segmented_radix_sort_implINS0_14default_configELb0EPKdPdPKlPlN2at6native12_GLOBAL__N_18offset_tEEE10hipError_tPvRmT1_PNSt15iterator_traitsIS12_E10value_typeET2_T3_PNS13_IS18_E10value_typeET4_jRbjT5_S1E_jjP12ihipStream_tbEUljE_ZNSN_ISO_Lb0ESQ_SR_ST_SU_SY_EESZ_S10_S11_S12_S16_S17_S18_S1B_S1C_jS1D_jS1E_S1E_jjS1G_bEUljE0_EEESZ_S10_S11_S18_S1C_S1E_T6_T7_T9_mT8_S1G_bDpT10_ENKUlT_T0_E_clISt17integral_constantIbLb0EES1T_IbLb1EEEEDaS1P_S1Q_EUlS1P_E_NS1_11comp_targetILNS1_3genE2ELNS1_11target_archE906ELNS1_3gpuE6ELNS1_3repE0EEENS1_30default_config_static_selectorELNS0_4arch9wavefront6targetE1EEEvS12_.has_indirect_call, 0
	.section	.AMDGPU.csdata,"",@progbits
; Kernel info:
; codeLenInByte = 15580
; TotalNumSgprs: 91
; NumVgprs: 91
; ScratchSize: 0
; MemoryBound: 0
; FloatMode: 240
; IeeeMode: 1
; LDSByteSize: 13328 bytes/workgroup (compile time only)
; SGPRBlocks: 12
; VGPRBlocks: 22
; NumSGPRsForWavesPerEU: 102
; NumVGPRsForWavesPerEU: 91
; Occupancy: 2
; WaveLimiterHint : 1
; COMPUTE_PGM_RSRC2:SCRATCH_EN: 0
; COMPUTE_PGM_RSRC2:USER_SGPR: 6
; COMPUTE_PGM_RSRC2:TRAP_HANDLER: 0
; COMPUTE_PGM_RSRC2:TGID_X_EN: 1
; COMPUTE_PGM_RSRC2:TGID_Y_EN: 0
; COMPUTE_PGM_RSRC2:TGID_Z_EN: 0
; COMPUTE_PGM_RSRC2:TIDIG_COMP_CNT: 0
	.section	.text._ZN7rocprim17ROCPRIM_400000_NS6detail17trampoline_kernelINS0_13select_configILj256ELj13ELNS0_17block_load_methodE3ELS4_3ELS4_3ELNS0_20block_scan_algorithmE0ELj4294967295EEENS1_25partition_config_selectorILNS1_17partition_subalgoE4EjNS0_10empty_typeEbEEZZNS1_14partition_implILS8_4ELb0ES6_15HIP_vector_typeIjLj2EENS0_17counting_iteratorIjlEEPS9_SG_NS0_5tupleIJPjSI_NS0_16reverse_iteratorISI_EEEEENSH_IJSG_SG_SG_EEES9_SI_JZNS1_25segmented_radix_sort_implINS0_14default_configELb0EPKdPdPKlPlN2at6native12_GLOBAL__N_18offset_tEEE10hipError_tPvRmT1_PNSt15iterator_traitsIS12_E10value_typeET2_T3_PNS13_IS18_E10value_typeET4_jRbjT5_S1E_jjP12ihipStream_tbEUljE_ZNSN_ISO_Lb0ESQ_SR_ST_SU_SY_EESZ_S10_S11_S12_S16_S17_S18_S1B_S1C_jS1D_jS1E_S1E_jjS1G_bEUljE0_EEESZ_S10_S11_S18_S1C_S1E_T6_T7_T9_mT8_S1G_bDpT10_ENKUlT_T0_E_clISt17integral_constantIbLb0EES1T_IbLb1EEEEDaS1P_S1Q_EUlS1P_E_NS1_11comp_targetILNS1_3genE10ELNS1_11target_archE1200ELNS1_3gpuE4ELNS1_3repE0EEENS1_30default_config_static_selectorELNS0_4arch9wavefront6targetE1EEEvS12_,"axG",@progbits,_ZN7rocprim17ROCPRIM_400000_NS6detail17trampoline_kernelINS0_13select_configILj256ELj13ELNS0_17block_load_methodE3ELS4_3ELS4_3ELNS0_20block_scan_algorithmE0ELj4294967295EEENS1_25partition_config_selectorILNS1_17partition_subalgoE4EjNS0_10empty_typeEbEEZZNS1_14partition_implILS8_4ELb0ES6_15HIP_vector_typeIjLj2EENS0_17counting_iteratorIjlEEPS9_SG_NS0_5tupleIJPjSI_NS0_16reverse_iteratorISI_EEEEENSH_IJSG_SG_SG_EEES9_SI_JZNS1_25segmented_radix_sort_implINS0_14default_configELb0EPKdPdPKlPlN2at6native12_GLOBAL__N_18offset_tEEE10hipError_tPvRmT1_PNSt15iterator_traitsIS12_E10value_typeET2_T3_PNS13_IS18_E10value_typeET4_jRbjT5_S1E_jjP12ihipStream_tbEUljE_ZNSN_ISO_Lb0ESQ_SR_ST_SU_SY_EESZ_S10_S11_S12_S16_S17_S18_S1B_S1C_jS1D_jS1E_S1E_jjS1G_bEUljE0_EEESZ_S10_S11_S18_S1C_S1E_T6_T7_T9_mT8_S1G_bDpT10_ENKUlT_T0_E_clISt17integral_constantIbLb0EES1T_IbLb1EEEEDaS1P_S1Q_EUlS1P_E_NS1_11comp_targetILNS1_3genE10ELNS1_11target_archE1200ELNS1_3gpuE4ELNS1_3repE0EEENS1_30default_config_static_selectorELNS0_4arch9wavefront6targetE1EEEvS12_,comdat
	.globl	_ZN7rocprim17ROCPRIM_400000_NS6detail17trampoline_kernelINS0_13select_configILj256ELj13ELNS0_17block_load_methodE3ELS4_3ELS4_3ELNS0_20block_scan_algorithmE0ELj4294967295EEENS1_25partition_config_selectorILNS1_17partition_subalgoE4EjNS0_10empty_typeEbEEZZNS1_14partition_implILS8_4ELb0ES6_15HIP_vector_typeIjLj2EENS0_17counting_iteratorIjlEEPS9_SG_NS0_5tupleIJPjSI_NS0_16reverse_iteratorISI_EEEEENSH_IJSG_SG_SG_EEES9_SI_JZNS1_25segmented_radix_sort_implINS0_14default_configELb0EPKdPdPKlPlN2at6native12_GLOBAL__N_18offset_tEEE10hipError_tPvRmT1_PNSt15iterator_traitsIS12_E10value_typeET2_T3_PNS13_IS18_E10value_typeET4_jRbjT5_S1E_jjP12ihipStream_tbEUljE_ZNSN_ISO_Lb0ESQ_SR_ST_SU_SY_EESZ_S10_S11_S12_S16_S17_S18_S1B_S1C_jS1D_jS1E_S1E_jjS1G_bEUljE0_EEESZ_S10_S11_S18_S1C_S1E_T6_T7_T9_mT8_S1G_bDpT10_ENKUlT_T0_E_clISt17integral_constantIbLb0EES1T_IbLb1EEEEDaS1P_S1Q_EUlS1P_E_NS1_11comp_targetILNS1_3genE10ELNS1_11target_archE1200ELNS1_3gpuE4ELNS1_3repE0EEENS1_30default_config_static_selectorELNS0_4arch9wavefront6targetE1EEEvS12_ ; -- Begin function _ZN7rocprim17ROCPRIM_400000_NS6detail17trampoline_kernelINS0_13select_configILj256ELj13ELNS0_17block_load_methodE3ELS4_3ELS4_3ELNS0_20block_scan_algorithmE0ELj4294967295EEENS1_25partition_config_selectorILNS1_17partition_subalgoE4EjNS0_10empty_typeEbEEZZNS1_14partition_implILS8_4ELb0ES6_15HIP_vector_typeIjLj2EENS0_17counting_iteratorIjlEEPS9_SG_NS0_5tupleIJPjSI_NS0_16reverse_iteratorISI_EEEEENSH_IJSG_SG_SG_EEES9_SI_JZNS1_25segmented_radix_sort_implINS0_14default_configELb0EPKdPdPKlPlN2at6native12_GLOBAL__N_18offset_tEEE10hipError_tPvRmT1_PNSt15iterator_traitsIS12_E10value_typeET2_T3_PNS13_IS18_E10value_typeET4_jRbjT5_S1E_jjP12ihipStream_tbEUljE_ZNSN_ISO_Lb0ESQ_SR_ST_SU_SY_EESZ_S10_S11_S12_S16_S17_S18_S1B_S1C_jS1D_jS1E_S1E_jjS1G_bEUljE0_EEESZ_S10_S11_S18_S1C_S1E_T6_T7_T9_mT8_S1G_bDpT10_ENKUlT_T0_E_clISt17integral_constantIbLb0EES1T_IbLb1EEEEDaS1P_S1Q_EUlS1P_E_NS1_11comp_targetILNS1_3genE10ELNS1_11target_archE1200ELNS1_3gpuE4ELNS1_3repE0EEENS1_30default_config_static_selectorELNS0_4arch9wavefront6targetE1EEEvS12_
	.p2align	8
	.type	_ZN7rocprim17ROCPRIM_400000_NS6detail17trampoline_kernelINS0_13select_configILj256ELj13ELNS0_17block_load_methodE3ELS4_3ELS4_3ELNS0_20block_scan_algorithmE0ELj4294967295EEENS1_25partition_config_selectorILNS1_17partition_subalgoE4EjNS0_10empty_typeEbEEZZNS1_14partition_implILS8_4ELb0ES6_15HIP_vector_typeIjLj2EENS0_17counting_iteratorIjlEEPS9_SG_NS0_5tupleIJPjSI_NS0_16reverse_iteratorISI_EEEEENSH_IJSG_SG_SG_EEES9_SI_JZNS1_25segmented_radix_sort_implINS0_14default_configELb0EPKdPdPKlPlN2at6native12_GLOBAL__N_18offset_tEEE10hipError_tPvRmT1_PNSt15iterator_traitsIS12_E10value_typeET2_T3_PNS13_IS18_E10value_typeET4_jRbjT5_S1E_jjP12ihipStream_tbEUljE_ZNSN_ISO_Lb0ESQ_SR_ST_SU_SY_EESZ_S10_S11_S12_S16_S17_S18_S1B_S1C_jS1D_jS1E_S1E_jjS1G_bEUljE0_EEESZ_S10_S11_S18_S1C_S1E_T6_T7_T9_mT8_S1G_bDpT10_ENKUlT_T0_E_clISt17integral_constantIbLb0EES1T_IbLb1EEEEDaS1P_S1Q_EUlS1P_E_NS1_11comp_targetILNS1_3genE10ELNS1_11target_archE1200ELNS1_3gpuE4ELNS1_3repE0EEENS1_30default_config_static_selectorELNS0_4arch9wavefront6targetE1EEEvS12_,@function
_ZN7rocprim17ROCPRIM_400000_NS6detail17trampoline_kernelINS0_13select_configILj256ELj13ELNS0_17block_load_methodE3ELS4_3ELS4_3ELNS0_20block_scan_algorithmE0ELj4294967295EEENS1_25partition_config_selectorILNS1_17partition_subalgoE4EjNS0_10empty_typeEbEEZZNS1_14partition_implILS8_4ELb0ES6_15HIP_vector_typeIjLj2EENS0_17counting_iteratorIjlEEPS9_SG_NS0_5tupleIJPjSI_NS0_16reverse_iteratorISI_EEEEENSH_IJSG_SG_SG_EEES9_SI_JZNS1_25segmented_radix_sort_implINS0_14default_configELb0EPKdPdPKlPlN2at6native12_GLOBAL__N_18offset_tEEE10hipError_tPvRmT1_PNSt15iterator_traitsIS12_E10value_typeET2_T3_PNS13_IS18_E10value_typeET4_jRbjT5_S1E_jjP12ihipStream_tbEUljE_ZNSN_ISO_Lb0ESQ_SR_ST_SU_SY_EESZ_S10_S11_S12_S16_S17_S18_S1B_S1C_jS1D_jS1E_S1E_jjS1G_bEUljE0_EEESZ_S10_S11_S18_S1C_S1E_T6_T7_T9_mT8_S1G_bDpT10_ENKUlT_T0_E_clISt17integral_constantIbLb0EES1T_IbLb1EEEEDaS1P_S1Q_EUlS1P_E_NS1_11comp_targetILNS1_3genE10ELNS1_11target_archE1200ELNS1_3gpuE4ELNS1_3repE0EEENS1_30default_config_static_selectorELNS0_4arch9wavefront6targetE1EEEvS12_: ; @_ZN7rocprim17ROCPRIM_400000_NS6detail17trampoline_kernelINS0_13select_configILj256ELj13ELNS0_17block_load_methodE3ELS4_3ELS4_3ELNS0_20block_scan_algorithmE0ELj4294967295EEENS1_25partition_config_selectorILNS1_17partition_subalgoE4EjNS0_10empty_typeEbEEZZNS1_14partition_implILS8_4ELb0ES6_15HIP_vector_typeIjLj2EENS0_17counting_iteratorIjlEEPS9_SG_NS0_5tupleIJPjSI_NS0_16reverse_iteratorISI_EEEEENSH_IJSG_SG_SG_EEES9_SI_JZNS1_25segmented_radix_sort_implINS0_14default_configELb0EPKdPdPKlPlN2at6native12_GLOBAL__N_18offset_tEEE10hipError_tPvRmT1_PNSt15iterator_traitsIS12_E10value_typeET2_T3_PNS13_IS18_E10value_typeET4_jRbjT5_S1E_jjP12ihipStream_tbEUljE_ZNSN_ISO_Lb0ESQ_SR_ST_SU_SY_EESZ_S10_S11_S12_S16_S17_S18_S1B_S1C_jS1D_jS1E_S1E_jjS1G_bEUljE0_EEESZ_S10_S11_S18_S1C_S1E_T6_T7_T9_mT8_S1G_bDpT10_ENKUlT_T0_E_clISt17integral_constantIbLb0EES1T_IbLb1EEEEDaS1P_S1Q_EUlS1P_E_NS1_11comp_targetILNS1_3genE10ELNS1_11target_archE1200ELNS1_3gpuE4ELNS1_3repE0EEENS1_30default_config_static_selectorELNS0_4arch9wavefront6targetE1EEEvS12_
; %bb.0:
	.section	.rodata,"a",@progbits
	.p2align	6, 0x0
	.amdhsa_kernel _ZN7rocprim17ROCPRIM_400000_NS6detail17trampoline_kernelINS0_13select_configILj256ELj13ELNS0_17block_load_methodE3ELS4_3ELS4_3ELNS0_20block_scan_algorithmE0ELj4294967295EEENS1_25partition_config_selectorILNS1_17partition_subalgoE4EjNS0_10empty_typeEbEEZZNS1_14partition_implILS8_4ELb0ES6_15HIP_vector_typeIjLj2EENS0_17counting_iteratorIjlEEPS9_SG_NS0_5tupleIJPjSI_NS0_16reverse_iteratorISI_EEEEENSH_IJSG_SG_SG_EEES9_SI_JZNS1_25segmented_radix_sort_implINS0_14default_configELb0EPKdPdPKlPlN2at6native12_GLOBAL__N_18offset_tEEE10hipError_tPvRmT1_PNSt15iterator_traitsIS12_E10value_typeET2_T3_PNS13_IS18_E10value_typeET4_jRbjT5_S1E_jjP12ihipStream_tbEUljE_ZNSN_ISO_Lb0ESQ_SR_ST_SU_SY_EESZ_S10_S11_S12_S16_S17_S18_S1B_S1C_jS1D_jS1E_S1E_jjS1G_bEUljE0_EEESZ_S10_S11_S18_S1C_S1E_T6_T7_T9_mT8_S1G_bDpT10_ENKUlT_T0_E_clISt17integral_constantIbLb0EES1T_IbLb1EEEEDaS1P_S1Q_EUlS1P_E_NS1_11comp_targetILNS1_3genE10ELNS1_11target_archE1200ELNS1_3gpuE4ELNS1_3repE0EEENS1_30default_config_static_selectorELNS0_4arch9wavefront6targetE1EEEvS12_
		.amdhsa_group_segment_fixed_size 0
		.amdhsa_private_segment_fixed_size 0
		.amdhsa_kernarg_size 184
		.amdhsa_user_sgpr_count 6
		.amdhsa_user_sgpr_private_segment_buffer 1
		.amdhsa_user_sgpr_dispatch_ptr 0
		.amdhsa_user_sgpr_queue_ptr 0
		.amdhsa_user_sgpr_kernarg_segment_ptr 1
		.amdhsa_user_sgpr_dispatch_id 0
		.amdhsa_user_sgpr_flat_scratch_init 0
		.amdhsa_user_sgpr_private_segment_size 0
		.amdhsa_uses_dynamic_stack 0
		.amdhsa_system_sgpr_private_segment_wavefront_offset 0
		.amdhsa_system_sgpr_workgroup_id_x 1
		.amdhsa_system_sgpr_workgroup_id_y 0
		.amdhsa_system_sgpr_workgroup_id_z 0
		.amdhsa_system_sgpr_workgroup_info 0
		.amdhsa_system_vgpr_workitem_id 0
		.amdhsa_next_free_vgpr 1
		.amdhsa_next_free_sgpr 0
		.amdhsa_reserve_vcc 0
		.amdhsa_reserve_flat_scratch 0
		.amdhsa_float_round_mode_32 0
		.amdhsa_float_round_mode_16_64 0
		.amdhsa_float_denorm_mode_32 3
		.amdhsa_float_denorm_mode_16_64 3
		.amdhsa_dx10_clamp 1
		.amdhsa_ieee_mode 1
		.amdhsa_fp16_overflow 0
		.amdhsa_exception_fp_ieee_invalid_op 0
		.amdhsa_exception_fp_denorm_src 0
		.amdhsa_exception_fp_ieee_div_zero 0
		.amdhsa_exception_fp_ieee_overflow 0
		.amdhsa_exception_fp_ieee_underflow 0
		.amdhsa_exception_fp_ieee_inexact 0
		.amdhsa_exception_int_div_zero 0
	.end_amdhsa_kernel
	.section	.text._ZN7rocprim17ROCPRIM_400000_NS6detail17trampoline_kernelINS0_13select_configILj256ELj13ELNS0_17block_load_methodE3ELS4_3ELS4_3ELNS0_20block_scan_algorithmE0ELj4294967295EEENS1_25partition_config_selectorILNS1_17partition_subalgoE4EjNS0_10empty_typeEbEEZZNS1_14partition_implILS8_4ELb0ES6_15HIP_vector_typeIjLj2EENS0_17counting_iteratorIjlEEPS9_SG_NS0_5tupleIJPjSI_NS0_16reverse_iteratorISI_EEEEENSH_IJSG_SG_SG_EEES9_SI_JZNS1_25segmented_radix_sort_implINS0_14default_configELb0EPKdPdPKlPlN2at6native12_GLOBAL__N_18offset_tEEE10hipError_tPvRmT1_PNSt15iterator_traitsIS12_E10value_typeET2_T3_PNS13_IS18_E10value_typeET4_jRbjT5_S1E_jjP12ihipStream_tbEUljE_ZNSN_ISO_Lb0ESQ_SR_ST_SU_SY_EESZ_S10_S11_S12_S16_S17_S18_S1B_S1C_jS1D_jS1E_S1E_jjS1G_bEUljE0_EEESZ_S10_S11_S18_S1C_S1E_T6_T7_T9_mT8_S1G_bDpT10_ENKUlT_T0_E_clISt17integral_constantIbLb0EES1T_IbLb1EEEEDaS1P_S1Q_EUlS1P_E_NS1_11comp_targetILNS1_3genE10ELNS1_11target_archE1200ELNS1_3gpuE4ELNS1_3repE0EEENS1_30default_config_static_selectorELNS0_4arch9wavefront6targetE1EEEvS12_,"axG",@progbits,_ZN7rocprim17ROCPRIM_400000_NS6detail17trampoline_kernelINS0_13select_configILj256ELj13ELNS0_17block_load_methodE3ELS4_3ELS4_3ELNS0_20block_scan_algorithmE0ELj4294967295EEENS1_25partition_config_selectorILNS1_17partition_subalgoE4EjNS0_10empty_typeEbEEZZNS1_14partition_implILS8_4ELb0ES6_15HIP_vector_typeIjLj2EENS0_17counting_iteratorIjlEEPS9_SG_NS0_5tupleIJPjSI_NS0_16reverse_iteratorISI_EEEEENSH_IJSG_SG_SG_EEES9_SI_JZNS1_25segmented_radix_sort_implINS0_14default_configELb0EPKdPdPKlPlN2at6native12_GLOBAL__N_18offset_tEEE10hipError_tPvRmT1_PNSt15iterator_traitsIS12_E10value_typeET2_T3_PNS13_IS18_E10value_typeET4_jRbjT5_S1E_jjP12ihipStream_tbEUljE_ZNSN_ISO_Lb0ESQ_SR_ST_SU_SY_EESZ_S10_S11_S12_S16_S17_S18_S1B_S1C_jS1D_jS1E_S1E_jjS1G_bEUljE0_EEESZ_S10_S11_S18_S1C_S1E_T6_T7_T9_mT8_S1G_bDpT10_ENKUlT_T0_E_clISt17integral_constantIbLb0EES1T_IbLb1EEEEDaS1P_S1Q_EUlS1P_E_NS1_11comp_targetILNS1_3genE10ELNS1_11target_archE1200ELNS1_3gpuE4ELNS1_3repE0EEENS1_30default_config_static_selectorELNS0_4arch9wavefront6targetE1EEEvS12_,comdat
.Lfunc_end1186:
	.size	_ZN7rocprim17ROCPRIM_400000_NS6detail17trampoline_kernelINS0_13select_configILj256ELj13ELNS0_17block_load_methodE3ELS4_3ELS4_3ELNS0_20block_scan_algorithmE0ELj4294967295EEENS1_25partition_config_selectorILNS1_17partition_subalgoE4EjNS0_10empty_typeEbEEZZNS1_14partition_implILS8_4ELb0ES6_15HIP_vector_typeIjLj2EENS0_17counting_iteratorIjlEEPS9_SG_NS0_5tupleIJPjSI_NS0_16reverse_iteratorISI_EEEEENSH_IJSG_SG_SG_EEES9_SI_JZNS1_25segmented_radix_sort_implINS0_14default_configELb0EPKdPdPKlPlN2at6native12_GLOBAL__N_18offset_tEEE10hipError_tPvRmT1_PNSt15iterator_traitsIS12_E10value_typeET2_T3_PNS13_IS18_E10value_typeET4_jRbjT5_S1E_jjP12ihipStream_tbEUljE_ZNSN_ISO_Lb0ESQ_SR_ST_SU_SY_EESZ_S10_S11_S12_S16_S17_S18_S1B_S1C_jS1D_jS1E_S1E_jjS1G_bEUljE0_EEESZ_S10_S11_S18_S1C_S1E_T6_T7_T9_mT8_S1G_bDpT10_ENKUlT_T0_E_clISt17integral_constantIbLb0EES1T_IbLb1EEEEDaS1P_S1Q_EUlS1P_E_NS1_11comp_targetILNS1_3genE10ELNS1_11target_archE1200ELNS1_3gpuE4ELNS1_3repE0EEENS1_30default_config_static_selectorELNS0_4arch9wavefront6targetE1EEEvS12_, .Lfunc_end1186-_ZN7rocprim17ROCPRIM_400000_NS6detail17trampoline_kernelINS0_13select_configILj256ELj13ELNS0_17block_load_methodE3ELS4_3ELS4_3ELNS0_20block_scan_algorithmE0ELj4294967295EEENS1_25partition_config_selectorILNS1_17partition_subalgoE4EjNS0_10empty_typeEbEEZZNS1_14partition_implILS8_4ELb0ES6_15HIP_vector_typeIjLj2EENS0_17counting_iteratorIjlEEPS9_SG_NS0_5tupleIJPjSI_NS0_16reverse_iteratorISI_EEEEENSH_IJSG_SG_SG_EEES9_SI_JZNS1_25segmented_radix_sort_implINS0_14default_configELb0EPKdPdPKlPlN2at6native12_GLOBAL__N_18offset_tEEE10hipError_tPvRmT1_PNSt15iterator_traitsIS12_E10value_typeET2_T3_PNS13_IS18_E10value_typeET4_jRbjT5_S1E_jjP12ihipStream_tbEUljE_ZNSN_ISO_Lb0ESQ_SR_ST_SU_SY_EESZ_S10_S11_S12_S16_S17_S18_S1B_S1C_jS1D_jS1E_S1E_jjS1G_bEUljE0_EEESZ_S10_S11_S18_S1C_S1E_T6_T7_T9_mT8_S1G_bDpT10_ENKUlT_T0_E_clISt17integral_constantIbLb0EES1T_IbLb1EEEEDaS1P_S1Q_EUlS1P_E_NS1_11comp_targetILNS1_3genE10ELNS1_11target_archE1200ELNS1_3gpuE4ELNS1_3repE0EEENS1_30default_config_static_selectorELNS0_4arch9wavefront6targetE1EEEvS12_
                                        ; -- End function
	.set _ZN7rocprim17ROCPRIM_400000_NS6detail17trampoline_kernelINS0_13select_configILj256ELj13ELNS0_17block_load_methodE3ELS4_3ELS4_3ELNS0_20block_scan_algorithmE0ELj4294967295EEENS1_25partition_config_selectorILNS1_17partition_subalgoE4EjNS0_10empty_typeEbEEZZNS1_14partition_implILS8_4ELb0ES6_15HIP_vector_typeIjLj2EENS0_17counting_iteratorIjlEEPS9_SG_NS0_5tupleIJPjSI_NS0_16reverse_iteratorISI_EEEEENSH_IJSG_SG_SG_EEES9_SI_JZNS1_25segmented_radix_sort_implINS0_14default_configELb0EPKdPdPKlPlN2at6native12_GLOBAL__N_18offset_tEEE10hipError_tPvRmT1_PNSt15iterator_traitsIS12_E10value_typeET2_T3_PNS13_IS18_E10value_typeET4_jRbjT5_S1E_jjP12ihipStream_tbEUljE_ZNSN_ISO_Lb0ESQ_SR_ST_SU_SY_EESZ_S10_S11_S12_S16_S17_S18_S1B_S1C_jS1D_jS1E_S1E_jjS1G_bEUljE0_EEESZ_S10_S11_S18_S1C_S1E_T6_T7_T9_mT8_S1G_bDpT10_ENKUlT_T0_E_clISt17integral_constantIbLb0EES1T_IbLb1EEEEDaS1P_S1Q_EUlS1P_E_NS1_11comp_targetILNS1_3genE10ELNS1_11target_archE1200ELNS1_3gpuE4ELNS1_3repE0EEENS1_30default_config_static_selectorELNS0_4arch9wavefront6targetE1EEEvS12_.num_vgpr, 0
	.set _ZN7rocprim17ROCPRIM_400000_NS6detail17trampoline_kernelINS0_13select_configILj256ELj13ELNS0_17block_load_methodE3ELS4_3ELS4_3ELNS0_20block_scan_algorithmE0ELj4294967295EEENS1_25partition_config_selectorILNS1_17partition_subalgoE4EjNS0_10empty_typeEbEEZZNS1_14partition_implILS8_4ELb0ES6_15HIP_vector_typeIjLj2EENS0_17counting_iteratorIjlEEPS9_SG_NS0_5tupleIJPjSI_NS0_16reverse_iteratorISI_EEEEENSH_IJSG_SG_SG_EEES9_SI_JZNS1_25segmented_radix_sort_implINS0_14default_configELb0EPKdPdPKlPlN2at6native12_GLOBAL__N_18offset_tEEE10hipError_tPvRmT1_PNSt15iterator_traitsIS12_E10value_typeET2_T3_PNS13_IS18_E10value_typeET4_jRbjT5_S1E_jjP12ihipStream_tbEUljE_ZNSN_ISO_Lb0ESQ_SR_ST_SU_SY_EESZ_S10_S11_S12_S16_S17_S18_S1B_S1C_jS1D_jS1E_S1E_jjS1G_bEUljE0_EEESZ_S10_S11_S18_S1C_S1E_T6_T7_T9_mT8_S1G_bDpT10_ENKUlT_T0_E_clISt17integral_constantIbLb0EES1T_IbLb1EEEEDaS1P_S1Q_EUlS1P_E_NS1_11comp_targetILNS1_3genE10ELNS1_11target_archE1200ELNS1_3gpuE4ELNS1_3repE0EEENS1_30default_config_static_selectorELNS0_4arch9wavefront6targetE1EEEvS12_.num_agpr, 0
	.set _ZN7rocprim17ROCPRIM_400000_NS6detail17trampoline_kernelINS0_13select_configILj256ELj13ELNS0_17block_load_methodE3ELS4_3ELS4_3ELNS0_20block_scan_algorithmE0ELj4294967295EEENS1_25partition_config_selectorILNS1_17partition_subalgoE4EjNS0_10empty_typeEbEEZZNS1_14partition_implILS8_4ELb0ES6_15HIP_vector_typeIjLj2EENS0_17counting_iteratorIjlEEPS9_SG_NS0_5tupleIJPjSI_NS0_16reverse_iteratorISI_EEEEENSH_IJSG_SG_SG_EEES9_SI_JZNS1_25segmented_radix_sort_implINS0_14default_configELb0EPKdPdPKlPlN2at6native12_GLOBAL__N_18offset_tEEE10hipError_tPvRmT1_PNSt15iterator_traitsIS12_E10value_typeET2_T3_PNS13_IS18_E10value_typeET4_jRbjT5_S1E_jjP12ihipStream_tbEUljE_ZNSN_ISO_Lb0ESQ_SR_ST_SU_SY_EESZ_S10_S11_S12_S16_S17_S18_S1B_S1C_jS1D_jS1E_S1E_jjS1G_bEUljE0_EEESZ_S10_S11_S18_S1C_S1E_T6_T7_T9_mT8_S1G_bDpT10_ENKUlT_T0_E_clISt17integral_constantIbLb0EES1T_IbLb1EEEEDaS1P_S1Q_EUlS1P_E_NS1_11comp_targetILNS1_3genE10ELNS1_11target_archE1200ELNS1_3gpuE4ELNS1_3repE0EEENS1_30default_config_static_selectorELNS0_4arch9wavefront6targetE1EEEvS12_.numbered_sgpr, 0
	.set _ZN7rocprim17ROCPRIM_400000_NS6detail17trampoline_kernelINS0_13select_configILj256ELj13ELNS0_17block_load_methodE3ELS4_3ELS4_3ELNS0_20block_scan_algorithmE0ELj4294967295EEENS1_25partition_config_selectorILNS1_17partition_subalgoE4EjNS0_10empty_typeEbEEZZNS1_14partition_implILS8_4ELb0ES6_15HIP_vector_typeIjLj2EENS0_17counting_iteratorIjlEEPS9_SG_NS0_5tupleIJPjSI_NS0_16reverse_iteratorISI_EEEEENSH_IJSG_SG_SG_EEES9_SI_JZNS1_25segmented_radix_sort_implINS0_14default_configELb0EPKdPdPKlPlN2at6native12_GLOBAL__N_18offset_tEEE10hipError_tPvRmT1_PNSt15iterator_traitsIS12_E10value_typeET2_T3_PNS13_IS18_E10value_typeET4_jRbjT5_S1E_jjP12ihipStream_tbEUljE_ZNSN_ISO_Lb0ESQ_SR_ST_SU_SY_EESZ_S10_S11_S12_S16_S17_S18_S1B_S1C_jS1D_jS1E_S1E_jjS1G_bEUljE0_EEESZ_S10_S11_S18_S1C_S1E_T6_T7_T9_mT8_S1G_bDpT10_ENKUlT_T0_E_clISt17integral_constantIbLb0EES1T_IbLb1EEEEDaS1P_S1Q_EUlS1P_E_NS1_11comp_targetILNS1_3genE10ELNS1_11target_archE1200ELNS1_3gpuE4ELNS1_3repE0EEENS1_30default_config_static_selectorELNS0_4arch9wavefront6targetE1EEEvS12_.num_named_barrier, 0
	.set _ZN7rocprim17ROCPRIM_400000_NS6detail17trampoline_kernelINS0_13select_configILj256ELj13ELNS0_17block_load_methodE3ELS4_3ELS4_3ELNS0_20block_scan_algorithmE0ELj4294967295EEENS1_25partition_config_selectorILNS1_17partition_subalgoE4EjNS0_10empty_typeEbEEZZNS1_14partition_implILS8_4ELb0ES6_15HIP_vector_typeIjLj2EENS0_17counting_iteratorIjlEEPS9_SG_NS0_5tupleIJPjSI_NS0_16reverse_iteratorISI_EEEEENSH_IJSG_SG_SG_EEES9_SI_JZNS1_25segmented_radix_sort_implINS0_14default_configELb0EPKdPdPKlPlN2at6native12_GLOBAL__N_18offset_tEEE10hipError_tPvRmT1_PNSt15iterator_traitsIS12_E10value_typeET2_T3_PNS13_IS18_E10value_typeET4_jRbjT5_S1E_jjP12ihipStream_tbEUljE_ZNSN_ISO_Lb0ESQ_SR_ST_SU_SY_EESZ_S10_S11_S12_S16_S17_S18_S1B_S1C_jS1D_jS1E_S1E_jjS1G_bEUljE0_EEESZ_S10_S11_S18_S1C_S1E_T6_T7_T9_mT8_S1G_bDpT10_ENKUlT_T0_E_clISt17integral_constantIbLb0EES1T_IbLb1EEEEDaS1P_S1Q_EUlS1P_E_NS1_11comp_targetILNS1_3genE10ELNS1_11target_archE1200ELNS1_3gpuE4ELNS1_3repE0EEENS1_30default_config_static_selectorELNS0_4arch9wavefront6targetE1EEEvS12_.private_seg_size, 0
	.set _ZN7rocprim17ROCPRIM_400000_NS6detail17trampoline_kernelINS0_13select_configILj256ELj13ELNS0_17block_load_methodE3ELS4_3ELS4_3ELNS0_20block_scan_algorithmE0ELj4294967295EEENS1_25partition_config_selectorILNS1_17partition_subalgoE4EjNS0_10empty_typeEbEEZZNS1_14partition_implILS8_4ELb0ES6_15HIP_vector_typeIjLj2EENS0_17counting_iteratorIjlEEPS9_SG_NS0_5tupleIJPjSI_NS0_16reverse_iteratorISI_EEEEENSH_IJSG_SG_SG_EEES9_SI_JZNS1_25segmented_radix_sort_implINS0_14default_configELb0EPKdPdPKlPlN2at6native12_GLOBAL__N_18offset_tEEE10hipError_tPvRmT1_PNSt15iterator_traitsIS12_E10value_typeET2_T3_PNS13_IS18_E10value_typeET4_jRbjT5_S1E_jjP12ihipStream_tbEUljE_ZNSN_ISO_Lb0ESQ_SR_ST_SU_SY_EESZ_S10_S11_S12_S16_S17_S18_S1B_S1C_jS1D_jS1E_S1E_jjS1G_bEUljE0_EEESZ_S10_S11_S18_S1C_S1E_T6_T7_T9_mT8_S1G_bDpT10_ENKUlT_T0_E_clISt17integral_constantIbLb0EES1T_IbLb1EEEEDaS1P_S1Q_EUlS1P_E_NS1_11comp_targetILNS1_3genE10ELNS1_11target_archE1200ELNS1_3gpuE4ELNS1_3repE0EEENS1_30default_config_static_selectorELNS0_4arch9wavefront6targetE1EEEvS12_.uses_vcc, 0
	.set _ZN7rocprim17ROCPRIM_400000_NS6detail17trampoline_kernelINS0_13select_configILj256ELj13ELNS0_17block_load_methodE3ELS4_3ELS4_3ELNS0_20block_scan_algorithmE0ELj4294967295EEENS1_25partition_config_selectorILNS1_17partition_subalgoE4EjNS0_10empty_typeEbEEZZNS1_14partition_implILS8_4ELb0ES6_15HIP_vector_typeIjLj2EENS0_17counting_iteratorIjlEEPS9_SG_NS0_5tupleIJPjSI_NS0_16reverse_iteratorISI_EEEEENSH_IJSG_SG_SG_EEES9_SI_JZNS1_25segmented_radix_sort_implINS0_14default_configELb0EPKdPdPKlPlN2at6native12_GLOBAL__N_18offset_tEEE10hipError_tPvRmT1_PNSt15iterator_traitsIS12_E10value_typeET2_T3_PNS13_IS18_E10value_typeET4_jRbjT5_S1E_jjP12ihipStream_tbEUljE_ZNSN_ISO_Lb0ESQ_SR_ST_SU_SY_EESZ_S10_S11_S12_S16_S17_S18_S1B_S1C_jS1D_jS1E_S1E_jjS1G_bEUljE0_EEESZ_S10_S11_S18_S1C_S1E_T6_T7_T9_mT8_S1G_bDpT10_ENKUlT_T0_E_clISt17integral_constantIbLb0EES1T_IbLb1EEEEDaS1P_S1Q_EUlS1P_E_NS1_11comp_targetILNS1_3genE10ELNS1_11target_archE1200ELNS1_3gpuE4ELNS1_3repE0EEENS1_30default_config_static_selectorELNS0_4arch9wavefront6targetE1EEEvS12_.uses_flat_scratch, 0
	.set _ZN7rocprim17ROCPRIM_400000_NS6detail17trampoline_kernelINS0_13select_configILj256ELj13ELNS0_17block_load_methodE3ELS4_3ELS4_3ELNS0_20block_scan_algorithmE0ELj4294967295EEENS1_25partition_config_selectorILNS1_17partition_subalgoE4EjNS0_10empty_typeEbEEZZNS1_14partition_implILS8_4ELb0ES6_15HIP_vector_typeIjLj2EENS0_17counting_iteratorIjlEEPS9_SG_NS0_5tupleIJPjSI_NS0_16reverse_iteratorISI_EEEEENSH_IJSG_SG_SG_EEES9_SI_JZNS1_25segmented_radix_sort_implINS0_14default_configELb0EPKdPdPKlPlN2at6native12_GLOBAL__N_18offset_tEEE10hipError_tPvRmT1_PNSt15iterator_traitsIS12_E10value_typeET2_T3_PNS13_IS18_E10value_typeET4_jRbjT5_S1E_jjP12ihipStream_tbEUljE_ZNSN_ISO_Lb0ESQ_SR_ST_SU_SY_EESZ_S10_S11_S12_S16_S17_S18_S1B_S1C_jS1D_jS1E_S1E_jjS1G_bEUljE0_EEESZ_S10_S11_S18_S1C_S1E_T6_T7_T9_mT8_S1G_bDpT10_ENKUlT_T0_E_clISt17integral_constantIbLb0EES1T_IbLb1EEEEDaS1P_S1Q_EUlS1P_E_NS1_11comp_targetILNS1_3genE10ELNS1_11target_archE1200ELNS1_3gpuE4ELNS1_3repE0EEENS1_30default_config_static_selectorELNS0_4arch9wavefront6targetE1EEEvS12_.has_dyn_sized_stack, 0
	.set _ZN7rocprim17ROCPRIM_400000_NS6detail17trampoline_kernelINS0_13select_configILj256ELj13ELNS0_17block_load_methodE3ELS4_3ELS4_3ELNS0_20block_scan_algorithmE0ELj4294967295EEENS1_25partition_config_selectorILNS1_17partition_subalgoE4EjNS0_10empty_typeEbEEZZNS1_14partition_implILS8_4ELb0ES6_15HIP_vector_typeIjLj2EENS0_17counting_iteratorIjlEEPS9_SG_NS0_5tupleIJPjSI_NS0_16reverse_iteratorISI_EEEEENSH_IJSG_SG_SG_EEES9_SI_JZNS1_25segmented_radix_sort_implINS0_14default_configELb0EPKdPdPKlPlN2at6native12_GLOBAL__N_18offset_tEEE10hipError_tPvRmT1_PNSt15iterator_traitsIS12_E10value_typeET2_T3_PNS13_IS18_E10value_typeET4_jRbjT5_S1E_jjP12ihipStream_tbEUljE_ZNSN_ISO_Lb0ESQ_SR_ST_SU_SY_EESZ_S10_S11_S12_S16_S17_S18_S1B_S1C_jS1D_jS1E_S1E_jjS1G_bEUljE0_EEESZ_S10_S11_S18_S1C_S1E_T6_T7_T9_mT8_S1G_bDpT10_ENKUlT_T0_E_clISt17integral_constantIbLb0EES1T_IbLb1EEEEDaS1P_S1Q_EUlS1P_E_NS1_11comp_targetILNS1_3genE10ELNS1_11target_archE1200ELNS1_3gpuE4ELNS1_3repE0EEENS1_30default_config_static_selectorELNS0_4arch9wavefront6targetE1EEEvS12_.has_recursion, 0
	.set _ZN7rocprim17ROCPRIM_400000_NS6detail17trampoline_kernelINS0_13select_configILj256ELj13ELNS0_17block_load_methodE3ELS4_3ELS4_3ELNS0_20block_scan_algorithmE0ELj4294967295EEENS1_25partition_config_selectorILNS1_17partition_subalgoE4EjNS0_10empty_typeEbEEZZNS1_14partition_implILS8_4ELb0ES6_15HIP_vector_typeIjLj2EENS0_17counting_iteratorIjlEEPS9_SG_NS0_5tupleIJPjSI_NS0_16reverse_iteratorISI_EEEEENSH_IJSG_SG_SG_EEES9_SI_JZNS1_25segmented_radix_sort_implINS0_14default_configELb0EPKdPdPKlPlN2at6native12_GLOBAL__N_18offset_tEEE10hipError_tPvRmT1_PNSt15iterator_traitsIS12_E10value_typeET2_T3_PNS13_IS18_E10value_typeET4_jRbjT5_S1E_jjP12ihipStream_tbEUljE_ZNSN_ISO_Lb0ESQ_SR_ST_SU_SY_EESZ_S10_S11_S12_S16_S17_S18_S1B_S1C_jS1D_jS1E_S1E_jjS1G_bEUljE0_EEESZ_S10_S11_S18_S1C_S1E_T6_T7_T9_mT8_S1G_bDpT10_ENKUlT_T0_E_clISt17integral_constantIbLb0EES1T_IbLb1EEEEDaS1P_S1Q_EUlS1P_E_NS1_11comp_targetILNS1_3genE10ELNS1_11target_archE1200ELNS1_3gpuE4ELNS1_3repE0EEENS1_30default_config_static_selectorELNS0_4arch9wavefront6targetE1EEEvS12_.has_indirect_call, 0
	.section	.AMDGPU.csdata,"",@progbits
; Kernel info:
; codeLenInByte = 0
; TotalNumSgprs: 4
; NumVgprs: 0
; ScratchSize: 0
; MemoryBound: 0
; FloatMode: 240
; IeeeMode: 1
; LDSByteSize: 0 bytes/workgroup (compile time only)
; SGPRBlocks: 0
; VGPRBlocks: 0
; NumSGPRsForWavesPerEU: 4
; NumVGPRsForWavesPerEU: 1
; Occupancy: 10
; WaveLimiterHint : 0
; COMPUTE_PGM_RSRC2:SCRATCH_EN: 0
; COMPUTE_PGM_RSRC2:USER_SGPR: 6
; COMPUTE_PGM_RSRC2:TRAP_HANDLER: 0
; COMPUTE_PGM_RSRC2:TGID_X_EN: 1
; COMPUTE_PGM_RSRC2:TGID_Y_EN: 0
; COMPUTE_PGM_RSRC2:TGID_Z_EN: 0
; COMPUTE_PGM_RSRC2:TIDIG_COMP_CNT: 0
	.section	.text._ZN7rocprim17ROCPRIM_400000_NS6detail17trampoline_kernelINS0_13select_configILj256ELj13ELNS0_17block_load_methodE3ELS4_3ELS4_3ELNS0_20block_scan_algorithmE0ELj4294967295EEENS1_25partition_config_selectorILNS1_17partition_subalgoE4EjNS0_10empty_typeEbEEZZNS1_14partition_implILS8_4ELb0ES6_15HIP_vector_typeIjLj2EENS0_17counting_iteratorIjlEEPS9_SG_NS0_5tupleIJPjSI_NS0_16reverse_iteratorISI_EEEEENSH_IJSG_SG_SG_EEES9_SI_JZNS1_25segmented_radix_sort_implINS0_14default_configELb0EPKdPdPKlPlN2at6native12_GLOBAL__N_18offset_tEEE10hipError_tPvRmT1_PNSt15iterator_traitsIS12_E10value_typeET2_T3_PNS13_IS18_E10value_typeET4_jRbjT5_S1E_jjP12ihipStream_tbEUljE_ZNSN_ISO_Lb0ESQ_SR_ST_SU_SY_EESZ_S10_S11_S12_S16_S17_S18_S1B_S1C_jS1D_jS1E_S1E_jjS1G_bEUljE0_EEESZ_S10_S11_S18_S1C_S1E_T6_T7_T9_mT8_S1G_bDpT10_ENKUlT_T0_E_clISt17integral_constantIbLb0EES1T_IbLb1EEEEDaS1P_S1Q_EUlS1P_E_NS1_11comp_targetILNS1_3genE9ELNS1_11target_archE1100ELNS1_3gpuE3ELNS1_3repE0EEENS1_30default_config_static_selectorELNS0_4arch9wavefront6targetE1EEEvS12_,"axG",@progbits,_ZN7rocprim17ROCPRIM_400000_NS6detail17trampoline_kernelINS0_13select_configILj256ELj13ELNS0_17block_load_methodE3ELS4_3ELS4_3ELNS0_20block_scan_algorithmE0ELj4294967295EEENS1_25partition_config_selectorILNS1_17partition_subalgoE4EjNS0_10empty_typeEbEEZZNS1_14partition_implILS8_4ELb0ES6_15HIP_vector_typeIjLj2EENS0_17counting_iteratorIjlEEPS9_SG_NS0_5tupleIJPjSI_NS0_16reverse_iteratorISI_EEEEENSH_IJSG_SG_SG_EEES9_SI_JZNS1_25segmented_radix_sort_implINS0_14default_configELb0EPKdPdPKlPlN2at6native12_GLOBAL__N_18offset_tEEE10hipError_tPvRmT1_PNSt15iterator_traitsIS12_E10value_typeET2_T3_PNS13_IS18_E10value_typeET4_jRbjT5_S1E_jjP12ihipStream_tbEUljE_ZNSN_ISO_Lb0ESQ_SR_ST_SU_SY_EESZ_S10_S11_S12_S16_S17_S18_S1B_S1C_jS1D_jS1E_S1E_jjS1G_bEUljE0_EEESZ_S10_S11_S18_S1C_S1E_T6_T7_T9_mT8_S1G_bDpT10_ENKUlT_T0_E_clISt17integral_constantIbLb0EES1T_IbLb1EEEEDaS1P_S1Q_EUlS1P_E_NS1_11comp_targetILNS1_3genE9ELNS1_11target_archE1100ELNS1_3gpuE3ELNS1_3repE0EEENS1_30default_config_static_selectorELNS0_4arch9wavefront6targetE1EEEvS12_,comdat
	.globl	_ZN7rocprim17ROCPRIM_400000_NS6detail17trampoline_kernelINS0_13select_configILj256ELj13ELNS0_17block_load_methodE3ELS4_3ELS4_3ELNS0_20block_scan_algorithmE0ELj4294967295EEENS1_25partition_config_selectorILNS1_17partition_subalgoE4EjNS0_10empty_typeEbEEZZNS1_14partition_implILS8_4ELb0ES6_15HIP_vector_typeIjLj2EENS0_17counting_iteratorIjlEEPS9_SG_NS0_5tupleIJPjSI_NS0_16reverse_iteratorISI_EEEEENSH_IJSG_SG_SG_EEES9_SI_JZNS1_25segmented_radix_sort_implINS0_14default_configELb0EPKdPdPKlPlN2at6native12_GLOBAL__N_18offset_tEEE10hipError_tPvRmT1_PNSt15iterator_traitsIS12_E10value_typeET2_T3_PNS13_IS18_E10value_typeET4_jRbjT5_S1E_jjP12ihipStream_tbEUljE_ZNSN_ISO_Lb0ESQ_SR_ST_SU_SY_EESZ_S10_S11_S12_S16_S17_S18_S1B_S1C_jS1D_jS1E_S1E_jjS1G_bEUljE0_EEESZ_S10_S11_S18_S1C_S1E_T6_T7_T9_mT8_S1G_bDpT10_ENKUlT_T0_E_clISt17integral_constantIbLb0EES1T_IbLb1EEEEDaS1P_S1Q_EUlS1P_E_NS1_11comp_targetILNS1_3genE9ELNS1_11target_archE1100ELNS1_3gpuE3ELNS1_3repE0EEENS1_30default_config_static_selectorELNS0_4arch9wavefront6targetE1EEEvS12_ ; -- Begin function _ZN7rocprim17ROCPRIM_400000_NS6detail17trampoline_kernelINS0_13select_configILj256ELj13ELNS0_17block_load_methodE3ELS4_3ELS4_3ELNS0_20block_scan_algorithmE0ELj4294967295EEENS1_25partition_config_selectorILNS1_17partition_subalgoE4EjNS0_10empty_typeEbEEZZNS1_14partition_implILS8_4ELb0ES6_15HIP_vector_typeIjLj2EENS0_17counting_iteratorIjlEEPS9_SG_NS0_5tupleIJPjSI_NS0_16reverse_iteratorISI_EEEEENSH_IJSG_SG_SG_EEES9_SI_JZNS1_25segmented_radix_sort_implINS0_14default_configELb0EPKdPdPKlPlN2at6native12_GLOBAL__N_18offset_tEEE10hipError_tPvRmT1_PNSt15iterator_traitsIS12_E10value_typeET2_T3_PNS13_IS18_E10value_typeET4_jRbjT5_S1E_jjP12ihipStream_tbEUljE_ZNSN_ISO_Lb0ESQ_SR_ST_SU_SY_EESZ_S10_S11_S12_S16_S17_S18_S1B_S1C_jS1D_jS1E_S1E_jjS1G_bEUljE0_EEESZ_S10_S11_S18_S1C_S1E_T6_T7_T9_mT8_S1G_bDpT10_ENKUlT_T0_E_clISt17integral_constantIbLb0EES1T_IbLb1EEEEDaS1P_S1Q_EUlS1P_E_NS1_11comp_targetILNS1_3genE9ELNS1_11target_archE1100ELNS1_3gpuE3ELNS1_3repE0EEENS1_30default_config_static_selectorELNS0_4arch9wavefront6targetE1EEEvS12_
	.p2align	8
	.type	_ZN7rocprim17ROCPRIM_400000_NS6detail17trampoline_kernelINS0_13select_configILj256ELj13ELNS0_17block_load_methodE3ELS4_3ELS4_3ELNS0_20block_scan_algorithmE0ELj4294967295EEENS1_25partition_config_selectorILNS1_17partition_subalgoE4EjNS0_10empty_typeEbEEZZNS1_14partition_implILS8_4ELb0ES6_15HIP_vector_typeIjLj2EENS0_17counting_iteratorIjlEEPS9_SG_NS0_5tupleIJPjSI_NS0_16reverse_iteratorISI_EEEEENSH_IJSG_SG_SG_EEES9_SI_JZNS1_25segmented_radix_sort_implINS0_14default_configELb0EPKdPdPKlPlN2at6native12_GLOBAL__N_18offset_tEEE10hipError_tPvRmT1_PNSt15iterator_traitsIS12_E10value_typeET2_T3_PNS13_IS18_E10value_typeET4_jRbjT5_S1E_jjP12ihipStream_tbEUljE_ZNSN_ISO_Lb0ESQ_SR_ST_SU_SY_EESZ_S10_S11_S12_S16_S17_S18_S1B_S1C_jS1D_jS1E_S1E_jjS1G_bEUljE0_EEESZ_S10_S11_S18_S1C_S1E_T6_T7_T9_mT8_S1G_bDpT10_ENKUlT_T0_E_clISt17integral_constantIbLb0EES1T_IbLb1EEEEDaS1P_S1Q_EUlS1P_E_NS1_11comp_targetILNS1_3genE9ELNS1_11target_archE1100ELNS1_3gpuE3ELNS1_3repE0EEENS1_30default_config_static_selectorELNS0_4arch9wavefront6targetE1EEEvS12_,@function
_ZN7rocprim17ROCPRIM_400000_NS6detail17trampoline_kernelINS0_13select_configILj256ELj13ELNS0_17block_load_methodE3ELS4_3ELS4_3ELNS0_20block_scan_algorithmE0ELj4294967295EEENS1_25partition_config_selectorILNS1_17partition_subalgoE4EjNS0_10empty_typeEbEEZZNS1_14partition_implILS8_4ELb0ES6_15HIP_vector_typeIjLj2EENS0_17counting_iteratorIjlEEPS9_SG_NS0_5tupleIJPjSI_NS0_16reverse_iteratorISI_EEEEENSH_IJSG_SG_SG_EEES9_SI_JZNS1_25segmented_radix_sort_implINS0_14default_configELb0EPKdPdPKlPlN2at6native12_GLOBAL__N_18offset_tEEE10hipError_tPvRmT1_PNSt15iterator_traitsIS12_E10value_typeET2_T3_PNS13_IS18_E10value_typeET4_jRbjT5_S1E_jjP12ihipStream_tbEUljE_ZNSN_ISO_Lb0ESQ_SR_ST_SU_SY_EESZ_S10_S11_S12_S16_S17_S18_S1B_S1C_jS1D_jS1E_S1E_jjS1G_bEUljE0_EEESZ_S10_S11_S18_S1C_S1E_T6_T7_T9_mT8_S1G_bDpT10_ENKUlT_T0_E_clISt17integral_constantIbLb0EES1T_IbLb1EEEEDaS1P_S1Q_EUlS1P_E_NS1_11comp_targetILNS1_3genE9ELNS1_11target_archE1100ELNS1_3gpuE3ELNS1_3repE0EEENS1_30default_config_static_selectorELNS0_4arch9wavefront6targetE1EEEvS12_: ; @_ZN7rocprim17ROCPRIM_400000_NS6detail17trampoline_kernelINS0_13select_configILj256ELj13ELNS0_17block_load_methodE3ELS4_3ELS4_3ELNS0_20block_scan_algorithmE0ELj4294967295EEENS1_25partition_config_selectorILNS1_17partition_subalgoE4EjNS0_10empty_typeEbEEZZNS1_14partition_implILS8_4ELb0ES6_15HIP_vector_typeIjLj2EENS0_17counting_iteratorIjlEEPS9_SG_NS0_5tupleIJPjSI_NS0_16reverse_iteratorISI_EEEEENSH_IJSG_SG_SG_EEES9_SI_JZNS1_25segmented_radix_sort_implINS0_14default_configELb0EPKdPdPKlPlN2at6native12_GLOBAL__N_18offset_tEEE10hipError_tPvRmT1_PNSt15iterator_traitsIS12_E10value_typeET2_T3_PNS13_IS18_E10value_typeET4_jRbjT5_S1E_jjP12ihipStream_tbEUljE_ZNSN_ISO_Lb0ESQ_SR_ST_SU_SY_EESZ_S10_S11_S12_S16_S17_S18_S1B_S1C_jS1D_jS1E_S1E_jjS1G_bEUljE0_EEESZ_S10_S11_S18_S1C_S1E_T6_T7_T9_mT8_S1G_bDpT10_ENKUlT_T0_E_clISt17integral_constantIbLb0EES1T_IbLb1EEEEDaS1P_S1Q_EUlS1P_E_NS1_11comp_targetILNS1_3genE9ELNS1_11target_archE1100ELNS1_3gpuE3ELNS1_3repE0EEENS1_30default_config_static_selectorELNS0_4arch9wavefront6targetE1EEEvS12_
; %bb.0:
	.section	.rodata,"a",@progbits
	.p2align	6, 0x0
	.amdhsa_kernel _ZN7rocprim17ROCPRIM_400000_NS6detail17trampoline_kernelINS0_13select_configILj256ELj13ELNS0_17block_load_methodE3ELS4_3ELS4_3ELNS0_20block_scan_algorithmE0ELj4294967295EEENS1_25partition_config_selectorILNS1_17partition_subalgoE4EjNS0_10empty_typeEbEEZZNS1_14partition_implILS8_4ELb0ES6_15HIP_vector_typeIjLj2EENS0_17counting_iteratorIjlEEPS9_SG_NS0_5tupleIJPjSI_NS0_16reverse_iteratorISI_EEEEENSH_IJSG_SG_SG_EEES9_SI_JZNS1_25segmented_radix_sort_implINS0_14default_configELb0EPKdPdPKlPlN2at6native12_GLOBAL__N_18offset_tEEE10hipError_tPvRmT1_PNSt15iterator_traitsIS12_E10value_typeET2_T3_PNS13_IS18_E10value_typeET4_jRbjT5_S1E_jjP12ihipStream_tbEUljE_ZNSN_ISO_Lb0ESQ_SR_ST_SU_SY_EESZ_S10_S11_S12_S16_S17_S18_S1B_S1C_jS1D_jS1E_S1E_jjS1G_bEUljE0_EEESZ_S10_S11_S18_S1C_S1E_T6_T7_T9_mT8_S1G_bDpT10_ENKUlT_T0_E_clISt17integral_constantIbLb0EES1T_IbLb1EEEEDaS1P_S1Q_EUlS1P_E_NS1_11comp_targetILNS1_3genE9ELNS1_11target_archE1100ELNS1_3gpuE3ELNS1_3repE0EEENS1_30default_config_static_selectorELNS0_4arch9wavefront6targetE1EEEvS12_
		.amdhsa_group_segment_fixed_size 0
		.amdhsa_private_segment_fixed_size 0
		.amdhsa_kernarg_size 184
		.amdhsa_user_sgpr_count 6
		.amdhsa_user_sgpr_private_segment_buffer 1
		.amdhsa_user_sgpr_dispatch_ptr 0
		.amdhsa_user_sgpr_queue_ptr 0
		.amdhsa_user_sgpr_kernarg_segment_ptr 1
		.amdhsa_user_sgpr_dispatch_id 0
		.amdhsa_user_sgpr_flat_scratch_init 0
		.amdhsa_user_sgpr_private_segment_size 0
		.amdhsa_uses_dynamic_stack 0
		.amdhsa_system_sgpr_private_segment_wavefront_offset 0
		.amdhsa_system_sgpr_workgroup_id_x 1
		.amdhsa_system_sgpr_workgroup_id_y 0
		.amdhsa_system_sgpr_workgroup_id_z 0
		.amdhsa_system_sgpr_workgroup_info 0
		.amdhsa_system_vgpr_workitem_id 0
		.amdhsa_next_free_vgpr 1
		.amdhsa_next_free_sgpr 0
		.amdhsa_reserve_vcc 0
		.amdhsa_reserve_flat_scratch 0
		.amdhsa_float_round_mode_32 0
		.amdhsa_float_round_mode_16_64 0
		.amdhsa_float_denorm_mode_32 3
		.amdhsa_float_denorm_mode_16_64 3
		.amdhsa_dx10_clamp 1
		.amdhsa_ieee_mode 1
		.amdhsa_fp16_overflow 0
		.amdhsa_exception_fp_ieee_invalid_op 0
		.amdhsa_exception_fp_denorm_src 0
		.amdhsa_exception_fp_ieee_div_zero 0
		.amdhsa_exception_fp_ieee_overflow 0
		.amdhsa_exception_fp_ieee_underflow 0
		.amdhsa_exception_fp_ieee_inexact 0
		.amdhsa_exception_int_div_zero 0
	.end_amdhsa_kernel
	.section	.text._ZN7rocprim17ROCPRIM_400000_NS6detail17trampoline_kernelINS0_13select_configILj256ELj13ELNS0_17block_load_methodE3ELS4_3ELS4_3ELNS0_20block_scan_algorithmE0ELj4294967295EEENS1_25partition_config_selectorILNS1_17partition_subalgoE4EjNS0_10empty_typeEbEEZZNS1_14partition_implILS8_4ELb0ES6_15HIP_vector_typeIjLj2EENS0_17counting_iteratorIjlEEPS9_SG_NS0_5tupleIJPjSI_NS0_16reverse_iteratorISI_EEEEENSH_IJSG_SG_SG_EEES9_SI_JZNS1_25segmented_radix_sort_implINS0_14default_configELb0EPKdPdPKlPlN2at6native12_GLOBAL__N_18offset_tEEE10hipError_tPvRmT1_PNSt15iterator_traitsIS12_E10value_typeET2_T3_PNS13_IS18_E10value_typeET4_jRbjT5_S1E_jjP12ihipStream_tbEUljE_ZNSN_ISO_Lb0ESQ_SR_ST_SU_SY_EESZ_S10_S11_S12_S16_S17_S18_S1B_S1C_jS1D_jS1E_S1E_jjS1G_bEUljE0_EEESZ_S10_S11_S18_S1C_S1E_T6_T7_T9_mT8_S1G_bDpT10_ENKUlT_T0_E_clISt17integral_constantIbLb0EES1T_IbLb1EEEEDaS1P_S1Q_EUlS1P_E_NS1_11comp_targetILNS1_3genE9ELNS1_11target_archE1100ELNS1_3gpuE3ELNS1_3repE0EEENS1_30default_config_static_selectorELNS0_4arch9wavefront6targetE1EEEvS12_,"axG",@progbits,_ZN7rocprim17ROCPRIM_400000_NS6detail17trampoline_kernelINS0_13select_configILj256ELj13ELNS0_17block_load_methodE3ELS4_3ELS4_3ELNS0_20block_scan_algorithmE0ELj4294967295EEENS1_25partition_config_selectorILNS1_17partition_subalgoE4EjNS0_10empty_typeEbEEZZNS1_14partition_implILS8_4ELb0ES6_15HIP_vector_typeIjLj2EENS0_17counting_iteratorIjlEEPS9_SG_NS0_5tupleIJPjSI_NS0_16reverse_iteratorISI_EEEEENSH_IJSG_SG_SG_EEES9_SI_JZNS1_25segmented_radix_sort_implINS0_14default_configELb0EPKdPdPKlPlN2at6native12_GLOBAL__N_18offset_tEEE10hipError_tPvRmT1_PNSt15iterator_traitsIS12_E10value_typeET2_T3_PNS13_IS18_E10value_typeET4_jRbjT5_S1E_jjP12ihipStream_tbEUljE_ZNSN_ISO_Lb0ESQ_SR_ST_SU_SY_EESZ_S10_S11_S12_S16_S17_S18_S1B_S1C_jS1D_jS1E_S1E_jjS1G_bEUljE0_EEESZ_S10_S11_S18_S1C_S1E_T6_T7_T9_mT8_S1G_bDpT10_ENKUlT_T0_E_clISt17integral_constantIbLb0EES1T_IbLb1EEEEDaS1P_S1Q_EUlS1P_E_NS1_11comp_targetILNS1_3genE9ELNS1_11target_archE1100ELNS1_3gpuE3ELNS1_3repE0EEENS1_30default_config_static_selectorELNS0_4arch9wavefront6targetE1EEEvS12_,comdat
.Lfunc_end1187:
	.size	_ZN7rocprim17ROCPRIM_400000_NS6detail17trampoline_kernelINS0_13select_configILj256ELj13ELNS0_17block_load_methodE3ELS4_3ELS4_3ELNS0_20block_scan_algorithmE0ELj4294967295EEENS1_25partition_config_selectorILNS1_17partition_subalgoE4EjNS0_10empty_typeEbEEZZNS1_14partition_implILS8_4ELb0ES6_15HIP_vector_typeIjLj2EENS0_17counting_iteratorIjlEEPS9_SG_NS0_5tupleIJPjSI_NS0_16reverse_iteratorISI_EEEEENSH_IJSG_SG_SG_EEES9_SI_JZNS1_25segmented_radix_sort_implINS0_14default_configELb0EPKdPdPKlPlN2at6native12_GLOBAL__N_18offset_tEEE10hipError_tPvRmT1_PNSt15iterator_traitsIS12_E10value_typeET2_T3_PNS13_IS18_E10value_typeET4_jRbjT5_S1E_jjP12ihipStream_tbEUljE_ZNSN_ISO_Lb0ESQ_SR_ST_SU_SY_EESZ_S10_S11_S12_S16_S17_S18_S1B_S1C_jS1D_jS1E_S1E_jjS1G_bEUljE0_EEESZ_S10_S11_S18_S1C_S1E_T6_T7_T9_mT8_S1G_bDpT10_ENKUlT_T0_E_clISt17integral_constantIbLb0EES1T_IbLb1EEEEDaS1P_S1Q_EUlS1P_E_NS1_11comp_targetILNS1_3genE9ELNS1_11target_archE1100ELNS1_3gpuE3ELNS1_3repE0EEENS1_30default_config_static_selectorELNS0_4arch9wavefront6targetE1EEEvS12_, .Lfunc_end1187-_ZN7rocprim17ROCPRIM_400000_NS6detail17trampoline_kernelINS0_13select_configILj256ELj13ELNS0_17block_load_methodE3ELS4_3ELS4_3ELNS0_20block_scan_algorithmE0ELj4294967295EEENS1_25partition_config_selectorILNS1_17partition_subalgoE4EjNS0_10empty_typeEbEEZZNS1_14partition_implILS8_4ELb0ES6_15HIP_vector_typeIjLj2EENS0_17counting_iteratorIjlEEPS9_SG_NS0_5tupleIJPjSI_NS0_16reverse_iteratorISI_EEEEENSH_IJSG_SG_SG_EEES9_SI_JZNS1_25segmented_radix_sort_implINS0_14default_configELb0EPKdPdPKlPlN2at6native12_GLOBAL__N_18offset_tEEE10hipError_tPvRmT1_PNSt15iterator_traitsIS12_E10value_typeET2_T3_PNS13_IS18_E10value_typeET4_jRbjT5_S1E_jjP12ihipStream_tbEUljE_ZNSN_ISO_Lb0ESQ_SR_ST_SU_SY_EESZ_S10_S11_S12_S16_S17_S18_S1B_S1C_jS1D_jS1E_S1E_jjS1G_bEUljE0_EEESZ_S10_S11_S18_S1C_S1E_T6_T7_T9_mT8_S1G_bDpT10_ENKUlT_T0_E_clISt17integral_constantIbLb0EES1T_IbLb1EEEEDaS1P_S1Q_EUlS1P_E_NS1_11comp_targetILNS1_3genE9ELNS1_11target_archE1100ELNS1_3gpuE3ELNS1_3repE0EEENS1_30default_config_static_selectorELNS0_4arch9wavefront6targetE1EEEvS12_
                                        ; -- End function
	.set _ZN7rocprim17ROCPRIM_400000_NS6detail17trampoline_kernelINS0_13select_configILj256ELj13ELNS0_17block_load_methodE3ELS4_3ELS4_3ELNS0_20block_scan_algorithmE0ELj4294967295EEENS1_25partition_config_selectorILNS1_17partition_subalgoE4EjNS0_10empty_typeEbEEZZNS1_14partition_implILS8_4ELb0ES6_15HIP_vector_typeIjLj2EENS0_17counting_iteratorIjlEEPS9_SG_NS0_5tupleIJPjSI_NS0_16reverse_iteratorISI_EEEEENSH_IJSG_SG_SG_EEES9_SI_JZNS1_25segmented_radix_sort_implINS0_14default_configELb0EPKdPdPKlPlN2at6native12_GLOBAL__N_18offset_tEEE10hipError_tPvRmT1_PNSt15iterator_traitsIS12_E10value_typeET2_T3_PNS13_IS18_E10value_typeET4_jRbjT5_S1E_jjP12ihipStream_tbEUljE_ZNSN_ISO_Lb0ESQ_SR_ST_SU_SY_EESZ_S10_S11_S12_S16_S17_S18_S1B_S1C_jS1D_jS1E_S1E_jjS1G_bEUljE0_EEESZ_S10_S11_S18_S1C_S1E_T6_T7_T9_mT8_S1G_bDpT10_ENKUlT_T0_E_clISt17integral_constantIbLb0EES1T_IbLb1EEEEDaS1P_S1Q_EUlS1P_E_NS1_11comp_targetILNS1_3genE9ELNS1_11target_archE1100ELNS1_3gpuE3ELNS1_3repE0EEENS1_30default_config_static_selectorELNS0_4arch9wavefront6targetE1EEEvS12_.num_vgpr, 0
	.set _ZN7rocprim17ROCPRIM_400000_NS6detail17trampoline_kernelINS0_13select_configILj256ELj13ELNS0_17block_load_methodE3ELS4_3ELS4_3ELNS0_20block_scan_algorithmE0ELj4294967295EEENS1_25partition_config_selectorILNS1_17partition_subalgoE4EjNS0_10empty_typeEbEEZZNS1_14partition_implILS8_4ELb0ES6_15HIP_vector_typeIjLj2EENS0_17counting_iteratorIjlEEPS9_SG_NS0_5tupleIJPjSI_NS0_16reverse_iteratorISI_EEEEENSH_IJSG_SG_SG_EEES9_SI_JZNS1_25segmented_radix_sort_implINS0_14default_configELb0EPKdPdPKlPlN2at6native12_GLOBAL__N_18offset_tEEE10hipError_tPvRmT1_PNSt15iterator_traitsIS12_E10value_typeET2_T3_PNS13_IS18_E10value_typeET4_jRbjT5_S1E_jjP12ihipStream_tbEUljE_ZNSN_ISO_Lb0ESQ_SR_ST_SU_SY_EESZ_S10_S11_S12_S16_S17_S18_S1B_S1C_jS1D_jS1E_S1E_jjS1G_bEUljE0_EEESZ_S10_S11_S18_S1C_S1E_T6_T7_T9_mT8_S1G_bDpT10_ENKUlT_T0_E_clISt17integral_constantIbLb0EES1T_IbLb1EEEEDaS1P_S1Q_EUlS1P_E_NS1_11comp_targetILNS1_3genE9ELNS1_11target_archE1100ELNS1_3gpuE3ELNS1_3repE0EEENS1_30default_config_static_selectorELNS0_4arch9wavefront6targetE1EEEvS12_.num_agpr, 0
	.set _ZN7rocprim17ROCPRIM_400000_NS6detail17trampoline_kernelINS0_13select_configILj256ELj13ELNS0_17block_load_methodE3ELS4_3ELS4_3ELNS0_20block_scan_algorithmE0ELj4294967295EEENS1_25partition_config_selectorILNS1_17partition_subalgoE4EjNS0_10empty_typeEbEEZZNS1_14partition_implILS8_4ELb0ES6_15HIP_vector_typeIjLj2EENS0_17counting_iteratorIjlEEPS9_SG_NS0_5tupleIJPjSI_NS0_16reverse_iteratorISI_EEEEENSH_IJSG_SG_SG_EEES9_SI_JZNS1_25segmented_radix_sort_implINS0_14default_configELb0EPKdPdPKlPlN2at6native12_GLOBAL__N_18offset_tEEE10hipError_tPvRmT1_PNSt15iterator_traitsIS12_E10value_typeET2_T3_PNS13_IS18_E10value_typeET4_jRbjT5_S1E_jjP12ihipStream_tbEUljE_ZNSN_ISO_Lb0ESQ_SR_ST_SU_SY_EESZ_S10_S11_S12_S16_S17_S18_S1B_S1C_jS1D_jS1E_S1E_jjS1G_bEUljE0_EEESZ_S10_S11_S18_S1C_S1E_T6_T7_T9_mT8_S1G_bDpT10_ENKUlT_T0_E_clISt17integral_constantIbLb0EES1T_IbLb1EEEEDaS1P_S1Q_EUlS1P_E_NS1_11comp_targetILNS1_3genE9ELNS1_11target_archE1100ELNS1_3gpuE3ELNS1_3repE0EEENS1_30default_config_static_selectorELNS0_4arch9wavefront6targetE1EEEvS12_.numbered_sgpr, 0
	.set _ZN7rocprim17ROCPRIM_400000_NS6detail17trampoline_kernelINS0_13select_configILj256ELj13ELNS0_17block_load_methodE3ELS4_3ELS4_3ELNS0_20block_scan_algorithmE0ELj4294967295EEENS1_25partition_config_selectorILNS1_17partition_subalgoE4EjNS0_10empty_typeEbEEZZNS1_14partition_implILS8_4ELb0ES6_15HIP_vector_typeIjLj2EENS0_17counting_iteratorIjlEEPS9_SG_NS0_5tupleIJPjSI_NS0_16reverse_iteratorISI_EEEEENSH_IJSG_SG_SG_EEES9_SI_JZNS1_25segmented_radix_sort_implINS0_14default_configELb0EPKdPdPKlPlN2at6native12_GLOBAL__N_18offset_tEEE10hipError_tPvRmT1_PNSt15iterator_traitsIS12_E10value_typeET2_T3_PNS13_IS18_E10value_typeET4_jRbjT5_S1E_jjP12ihipStream_tbEUljE_ZNSN_ISO_Lb0ESQ_SR_ST_SU_SY_EESZ_S10_S11_S12_S16_S17_S18_S1B_S1C_jS1D_jS1E_S1E_jjS1G_bEUljE0_EEESZ_S10_S11_S18_S1C_S1E_T6_T7_T9_mT8_S1G_bDpT10_ENKUlT_T0_E_clISt17integral_constantIbLb0EES1T_IbLb1EEEEDaS1P_S1Q_EUlS1P_E_NS1_11comp_targetILNS1_3genE9ELNS1_11target_archE1100ELNS1_3gpuE3ELNS1_3repE0EEENS1_30default_config_static_selectorELNS0_4arch9wavefront6targetE1EEEvS12_.num_named_barrier, 0
	.set _ZN7rocprim17ROCPRIM_400000_NS6detail17trampoline_kernelINS0_13select_configILj256ELj13ELNS0_17block_load_methodE3ELS4_3ELS4_3ELNS0_20block_scan_algorithmE0ELj4294967295EEENS1_25partition_config_selectorILNS1_17partition_subalgoE4EjNS0_10empty_typeEbEEZZNS1_14partition_implILS8_4ELb0ES6_15HIP_vector_typeIjLj2EENS0_17counting_iteratorIjlEEPS9_SG_NS0_5tupleIJPjSI_NS0_16reverse_iteratorISI_EEEEENSH_IJSG_SG_SG_EEES9_SI_JZNS1_25segmented_radix_sort_implINS0_14default_configELb0EPKdPdPKlPlN2at6native12_GLOBAL__N_18offset_tEEE10hipError_tPvRmT1_PNSt15iterator_traitsIS12_E10value_typeET2_T3_PNS13_IS18_E10value_typeET4_jRbjT5_S1E_jjP12ihipStream_tbEUljE_ZNSN_ISO_Lb0ESQ_SR_ST_SU_SY_EESZ_S10_S11_S12_S16_S17_S18_S1B_S1C_jS1D_jS1E_S1E_jjS1G_bEUljE0_EEESZ_S10_S11_S18_S1C_S1E_T6_T7_T9_mT8_S1G_bDpT10_ENKUlT_T0_E_clISt17integral_constantIbLb0EES1T_IbLb1EEEEDaS1P_S1Q_EUlS1P_E_NS1_11comp_targetILNS1_3genE9ELNS1_11target_archE1100ELNS1_3gpuE3ELNS1_3repE0EEENS1_30default_config_static_selectorELNS0_4arch9wavefront6targetE1EEEvS12_.private_seg_size, 0
	.set _ZN7rocprim17ROCPRIM_400000_NS6detail17trampoline_kernelINS0_13select_configILj256ELj13ELNS0_17block_load_methodE3ELS4_3ELS4_3ELNS0_20block_scan_algorithmE0ELj4294967295EEENS1_25partition_config_selectorILNS1_17partition_subalgoE4EjNS0_10empty_typeEbEEZZNS1_14partition_implILS8_4ELb0ES6_15HIP_vector_typeIjLj2EENS0_17counting_iteratorIjlEEPS9_SG_NS0_5tupleIJPjSI_NS0_16reverse_iteratorISI_EEEEENSH_IJSG_SG_SG_EEES9_SI_JZNS1_25segmented_radix_sort_implINS0_14default_configELb0EPKdPdPKlPlN2at6native12_GLOBAL__N_18offset_tEEE10hipError_tPvRmT1_PNSt15iterator_traitsIS12_E10value_typeET2_T3_PNS13_IS18_E10value_typeET4_jRbjT5_S1E_jjP12ihipStream_tbEUljE_ZNSN_ISO_Lb0ESQ_SR_ST_SU_SY_EESZ_S10_S11_S12_S16_S17_S18_S1B_S1C_jS1D_jS1E_S1E_jjS1G_bEUljE0_EEESZ_S10_S11_S18_S1C_S1E_T6_T7_T9_mT8_S1G_bDpT10_ENKUlT_T0_E_clISt17integral_constantIbLb0EES1T_IbLb1EEEEDaS1P_S1Q_EUlS1P_E_NS1_11comp_targetILNS1_3genE9ELNS1_11target_archE1100ELNS1_3gpuE3ELNS1_3repE0EEENS1_30default_config_static_selectorELNS0_4arch9wavefront6targetE1EEEvS12_.uses_vcc, 0
	.set _ZN7rocprim17ROCPRIM_400000_NS6detail17trampoline_kernelINS0_13select_configILj256ELj13ELNS0_17block_load_methodE3ELS4_3ELS4_3ELNS0_20block_scan_algorithmE0ELj4294967295EEENS1_25partition_config_selectorILNS1_17partition_subalgoE4EjNS0_10empty_typeEbEEZZNS1_14partition_implILS8_4ELb0ES6_15HIP_vector_typeIjLj2EENS0_17counting_iteratorIjlEEPS9_SG_NS0_5tupleIJPjSI_NS0_16reverse_iteratorISI_EEEEENSH_IJSG_SG_SG_EEES9_SI_JZNS1_25segmented_radix_sort_implINS0_14default_configELb0EPKdPdPKlPlN2at6native12_GLOBAL__N_18offset_tEEE10hipError_tPvRmT1_PNSt15iterator_traitsIS12_E10value_typeET2_T3_PNS13_IS18_E10value_typeET4_jRbjT5_S1E_jjP12ihipStream_tbEUljE_ZNSN_ISO_Lb0ESQ_SR_ST_SU_SY_EESZ_S10_S11_S12_S16_S17_S18_S1B_S1C_jS1D_jS1E_S1E_jjS1G_bEUljE0_EEESZ_S10_S11_S18_S1C_S1E_T6_T7_T9_mT8_S1G_bDpT10_ENKUlT_T0_E_clISt17integral_constantIbLb0EES1T_IbLb1EEEEDaS1P_S1Q_EUlS1P_E_NS1_11comp_targetILNS1_3genE9ELNS1_11target_archE1100ELNS1_3gpuE3ELNS1_3repE0EEENS1_30default_config_static_selectorELNS0_4arch9wavefront6targetE1EEEvS12_.uses_flat_scratch, 0
	.set _ZN7rocprim17ROCPRIM_400000_NS6detail17trampoline_kernelINS0_13select_configILj256ELj13ELNS0_17block_load_methodE3ELS4_3ELS4_3ELNS0_20block_scan_algorithmE0ELj4294967295EEENS1_25partition_config_selectorILNS1_17partition_subalgoE4EjNS0_10empty_typeEbEEZZNS1_14partition_implILS8_4ELb0ES6_15HIP_vector_typeIjLj2EENS0_17counting_iteratorIjlEEPS9_SG_NS0_5tupleIJPjSI_NS0_16reverse_iteratorISI_EEEEENSH_IJSG_SG_SG_EEES9_SI_JZNS1_25segmented_radix_sort_implINS0_14default_configELb0EPKdPdPKlPlN2at6native12_GLOBAL__N_18offset_tEEE10hipError_tPvRmT1_PNSt15iterator_traitsIS12_E10value_typeET2_T3_PNS13_IS18_E10value_typeET4_jRbjT5_S1E_jjP12ihipStream_tbEUljE_ZNSN_ISO_Lb0ESQ_SR_ST_SU_SY_EESZ_S10_S11_S12_S16_S17_S18_S1B_S1C_jS1D_jS1E_S1E_jjS1G_bEUljE0_EEESZ_S10_S11_S18_S1C_S1E_T6_T7_T9_mT8_S1G_bDpT10_ENKUlT_T0_E_clISt17integral_constantIbLb0EES1T_IbLb1EEEEDaS1P_S1Q_EUlS1P_E_NS1_11comp_targetILNS1_3genE9ELNS1_11target_archE1100ELNS1_3gpuE3ELNS1_3repE0EEENS1_30default_config_static_selectorELNS0_4arch9wavefront6targetE1EEEvS12_.has_dyn_sized_stack, 0
	.set _ZN7rocprim17ROCPRIM_400000_NS6detail17trampoline_kernelINS0_13select_configILj256ELj13ELNS0_17block_load_methodE3ELS4_3ELS4_3ELNS0_20block_scan_algorithmE0ELj4294967295EEENS1_25partition_config_selectorILNS1_17partition_subalgoE4EjNS0_10empty_typeEbEEZZNS1_14partition_implILS8_4ELb0ES6_15HIP_vector_typeIjLj2EENS0_17counting_iteratorIjlEEPS9_SG_NS0_5tupleIJPjSI_NS0_16reverse_iteratorISI_EEEEENSH_IJSG_SG_SG_EEES9_SI_JZNS1_25segmented_radix_sort_implINS0_14default_configELb0EPKdPdPKlPlN2at6native12_GLOBAL__N_18offset_tEEE10hipError_tPvRmT1_PNSt15iterator_traitsIS12_E10value_typeET2_T3_PNS13_IS18_E10value_typeET4_jRbjT5_S1E_jjP12ihipStream_tbEUljE_ZNSN_ISO_Lb0ESQ_SR_ST_SU_SY_EESZ_S10_S11_S12_S16_S17_S18_S1B_S1C_jS1D_jS1E_S1E_jjS1G_bEUljE0_EEESZ_S10_S11_S18_S1C_S1E_T6_T7_T9_mT8_S1G_bDpT10_ENKUlT_T0_E_clISt17integral_constantIbLb0EES1T_IbLb1EEEEDaS1P_S1Q_EUlS1P_E_NS1_11comp_targetILNS1_3genE9ELNS1_11target_archE1100ELNS1_3gpuE3ELNS1_3repE0EEENS1_30default_config_static_selectorELNS0_4arch9wavefront6targetE1EEEvS12_.has_recursion, 0
	.set _ZN7rocprim17ROCPRIM_400000_NS6detail17trampoline_kernelINS0_13select_configILj256ELj13ELNS0_17block_load_methodE3ELS4_3ELS4_3ELNS0_20block_scan_algorithmE0ELj4294967295EEENS1_25partition_config_selectorILNS1_17partition_subalgoE4EjNS0_10empty_typeEbEEZZNS1_14partition_implILS8_4ELb0ES6_15HIP_vector_typeIjLj2EENS0_17counting_iteratorIjlEEPS9_SG_NS0_5tupleIJPjSI_NS0_16reverse_iteratorISI_EEEEENSH_IJSG_SG_SG_EEES9_SI_JZNS1_25segmented_radix_sort_implINS0_14default_configELb0EPKdPdPKlPlN2at6native12_GLOBAL__N_18offset_tEEE10hipError_tPvRmT1_PNSt15iterator_traitsIS12_E10value_typeET2_T3_PNS13_IS18_E10value_typeET4_jRbjT5_S1E_jjP12ihipStream_tbEUljE_ZNSN_ISO_Lb0ESQ_SR_ST_SU_SY_EESZ_S10_S11_S12_S16_S17_S18_S1B_S1C_jS1D_jS1E_S1E_jjS1G_bEUljE0_EEESZ_S10_S11_S18_S1C_S1E_T6_T7_T9_mT8_S1G_bDpT10_ENKUlT_T0_E_clISt17integral_constantIbLb0EES1T_IbLb1EEEEDaS1P_S1Q_EUlS1P_E_NS1_11comp_targetILNS1_3genE9ELNS1_11target_archE1100ELNS1_3gpuE3ELNS1_3repE0EEENS1_30default_config_static_selectorELNS0_4arch9wavefront6targetE1EEEvS12_.has_indirect_call, 0
	.section	.AMDGPU.csdata,"",@progbits
; Kernel info:
; codeLenInByte = 0
; TotalNumSgprs: 4
; NumVgprs: 0
; ScratchSize: 0
; MemoryBound: 0
; FloatMode: 240
; IeeeMode: 1
; LDSByteSize: 0 bytes/workgroup (compile time only)
; SGPRBlocks: 0
; VGPRBlocks: 0
; NumSGPRsForWavesPerEU: 4
; NumVGPRsForWavesPerEU: 1
; Occupancy: 10
; WaveLimiterHint : 0
; COMPUTE_PGM_RSRC2:SCRATCH_EN: 0
; COMPUTE_PGM_RSRC2:USER_SGPR: 6
; COMPUTE_PGM_RSRC2:TRAP_HANDLER: 0
; COMPUTE_PGM_RSRC2:TGID_X_EN: 1
; COMPUTE_PGM_RSRC2:TGID_Y_EN: 0
; COMPUTE_PGM_RSRC2:TGID_Z_EN: 0
; COMPUTE_PGM_RSRC2:TIDIG_COMP_CNT: 0
	.section	.text._ZN7rocprim17ROCPRIM_400000_NS6detail17trampoline_kernelINS0_13select_configILj256ELj13ELNS0_17block_load_methodE3ELS4_3ELS4_3ELNS0_20block_scan_algorithmE0ELj4294967295EEENS1_25partition_config_selectorILNS1_17partition_subalgoE4EjNS0_10empty_typeEbEEZZNS1_14partition_implILS8_4ELb0ES6_15HIP_vector_typeIjLj2EENS0_17counting_iteratorIjlEEPS9_SG_NS0_5tupleIJPjSI_NS0_16reverse_iteratorISI_EEEEENSH_IJSG_SG_SG_EEES9_SI_JZNS1_25segmented_radix_sort_implINS0_14default_configELb0EPKdPdPKlPlN2at6native12_GLOBAL__N_18offset_tEEE10hipError_tPvRmT1_PNSt15iterator_traitsIS12_E10value_typeET2_T3_PNS13_IS18_E10value_typeET4_jRbjT5_S1E_jjP12ihipStream_tbEUljE_ZNSN_ISO_Lb0ESQ_SR_ST_SU_SY_EESZ_S10_S11_S12_S16_S17_S18_S1B_S1C_jS1D_jS1E_S1E_jjS1G_bEUljE0_EEESZ_S10_S11_S18_S1C_S1E_T6_T7_T9_mT8_S1G_bDpT10_ENKUlT_T0_E_clISt17integral_constantIbLb0EES1T_IbLb1EEEEDaS1P_S1Q_EUlS1P_E_NS1_11comp_targetILNS1_3genE8ELNS1_11target_archE1030ELNS1_3gpuE2ELNS1_3repE0EEENS1_30default_config_static_selectorELNS0_4arch9wavefront6targetE1EEEvS12_,"axG",@progbits,_ZN7rocprim17ROCPRIM_400000_NS6detail17trampoline_kernelINS0_13select_configILj256ELj13ELNS0_17block_load_methodE3ELS4_3ELS4_3ELNS0_20block_scan_algorithmE0ELj4294967295EEENS1_25partition_config_selectorILNS1_17partition_subalgoE4EjNS0_10empty_typeEbEEZZNS1_14partition_implILS8_4ELb0ES6_15HIP_vector_typeIjLj2EENS0_17counting_iteratorIjlEEPS9_SG_NS0_5tupleIJPjSI_NS0_16reverse_iteratorISI_EEEEENSH_IJSG_SG_SG_EEES9_SI_JZNS1_25segmented_radix_sort_implINS0_14default_configELb0EPKdPdPKlPlN2at6native12_GLOBAL__N_18offset_tEEE10hipError_tPvRmT1_PNSt15iterator_traitsIS12_E10value_typeET2_T3_PNS13_IS18_E10value_typeET4_jRbjT5_S1E_jjP12ihipStream_tbEUljE_ZNSN_ISO_Lb0ESQ_SR_ST_SU_SY_EESZ_S10_S11_S12_S16_S17_S18_S1B_S1C_jS1D_jS1E_S1E_jjS1G_bEUljE0_EEESZ_S10_S11_S18_S1C_S1E_T6_T7_T9_mT8_S1G_bDpT10_ENKUlT_T0_E_clISt17integral_constantIbLb0EES1T_IbLb1EEEEDaS1P_S1Q_EUlS1P_E_NS1_11comp_targetILNS1_3genE8ELNS1_11target_archE1030ELNS1_3gpuE2ELNS1_3repE0EEENS1_30default_config_static_selectorELNS0_4arch9wavefront6targetE1EEEvS12_,comdat
	.globl	_ZN7rocprim17ROCPRIM_400000_NS6detail17trampoline_kernelINS0_13select_configILj256ELj13ELNS0_17block_load_methodE3ELS4_3ELS4_3ELNS0_20block_scan_algorithmE0ELj4294967295EEENS1_25partition_config_selectorILNS1_17partition_subalgoE4EjNS0_10empty_typeEbEEZZNS1_14partition_implILS8_4ELb0ES6_15HIP_vector_typeIjLj2EENS0_17counting_iteratorIjlEEPS9_SG_NS0_5tupleIJPjSI_NS0_16reverse_iteratorISI_EEEEENSH_IJSG_SG_SG_EEES9_SI_JZNS1_25segmented_radix_sort_implINS0_14default_configELb0EPKdPdPKlPlN2at6native12_GLOBAL__N_18offset_tEEE10hipError_tPvRmT1_PNSt15iterator_traitsIS12_E10value_typeET2_T3_PNS13_IS18_E10value_typeET4_jRbjT5_S1E_jjP12ihipStream_tbEUljE_ZNSN_ISO_Lb0ESQ_SR_ST_SU_SY_EESZ_S10_S11_S12_S16_S17_S18_S1B_S1C_jS1D_jS1E_S1E_jjS1G_bEUljE0_EEESZ_S10_S11_S18_S1C_S1E_T6_T7_T9_mT8_S1G_bDpT10_ENKUlT_T0_E_clISt17integral_constantIbLb0EES1T_IbLb1EEEEDaS1P_S1Q_EUlS1P_E_NS1_11comp_targetILNS1_3genE8ELNS1_11target_archE1030ELNS1_3gpuE2ELNS1_3repE0EEENS1_30default_config_static_selectorELNS0_4arch9wavefront6targetE1EEEvS12_ ; -- Begin function _ZN7rocprim17ROCPRIM_400000_NS6detail17trampoline_kernelINS0_13select_configILj256ELj13ELNS0_17block_load_methodE3ELS4_3ELS4_3ELNS0_20block_scan_algorithmE0ELj4294967295EEENS1_25partition_config_selectorILNS1_17partition_subalgoE4EjNS0_10empty_typeEbEEZZNS1_14partition_implILS8_4ELb0ES6_15HIP_vector_typeIjLj2EENS0_17counting_iteratorIjlEEPS9_SG_NS0_5tupleIJPjSI_NS0_16reverse_iteratorISI_EEEEENSH_IJSG_SG_SG_EEES9_SI_JZNS1_25segmented_radix_sort_implINS0_14default_configELb0EPKdPdPKlPlN2at6native12_GLOBAL__N_18offset_tEEE10hipError_tPvRmT1_PNSt15iterator_traitsIS12_E10value_typeET2_T3_PNS13_IS18_E10value_typeET4_jRbjT5_S1E_jjP12ihipStream_tbEUljE_ZNSN_ISO_Lb0ESQ_SR_ST_SU_SY_EESZ_S10_S11_S12_S16_S17_S18_S1B_S1C_jS1D_jS1E_S1E_jjS1G_bEUljE0_EEESZ_S10_S11_S18_S1C_S1E_T6_T7_T9_mT8_S1G_bDpT10_ENKUlT_T0_E_clISt17integral_constantIbLb0EES1T_IbLb1EEEEDaS1P_S1Q_EUlS1P_E_NS1_11comp_targetILNS1_3genE8ELNS1_11target_archE1030ELNS1_3gpuE2ELNS1_3repE0EEENS1_30default_config_static_selectorELNS0_4arch9wavefront6targetE1EEEvS12_
	.p2align	8
	.type	_ZN7rocprim17ROCPRIM_400000_NS6detail17trampoline_kernelINS0_13select_configILj256ELj13ELNS0_17block_load_methodE3ELS4_3ELS4_3ELNS0_20block_scan_algorithmE0ELj4294967295EEENS1_25partition_config_selectorILNS1_17partition_subalgoE4EjNS0_10empty_typeEbEEZZNS1_14partition_implILS8_4ELb0ES6_15HIP_vector_typeIjLj2EENS0_17counting_iteratorIjlEEPS9_SG_NS0_5tupleIJPjSI_NS0_16reverse_iteratorISI_EEEEENSH_IJSG_SG_SG_EEES9_SI_JZNS1_25segmented_radix_sort_implINS0_14default_configELb0EPKdPdPKlPlN2at6native12_GLOBAL__N_18offset_tEEE10hipError_tPvRmT1_PNSt15iterator_traitsIS12_E10value_typeET2_T3_PNS13_IS18_E10value_typeET4_jRbjT5_S1E_jjP12ihipStream_tbEUljE_ZNSN_ISO_Lb0ESQ_SR_ST_SU_SY_EESZ_S10_S11_S12_S16_S17_S18_S1B_S1C_jS1D_jS1E_S1E_jjS1G_bEUljE0_EEESZ_S10_S11_S18_S1C_S1E_T6_T7_T9_mT8_S1G_bDpT10_ENKUlT_T0_E_clISt17integral_constantIbLb0EES1T_IbLb1EEEEDaS1P_S1Q_EUlS1P_E_NS1_11comp_targetILNS1_3genE8ELNS1_11target_archE1030ELNS1_3gpuE2ELNS1_3repE0EEENS1_30default_config_static_selectorELNS0_4arch9wavefront6targetE1EEEvS12_,@function
_ZN7rocprim17ROCPRIM_400000_NS6detail17trampoline_kernelINS0_13select_configILj256ELj13ELNS0_17block_load_methodE3ELS4_3ELS4_3ELNS0_20block_scan_algorithmE0ELj4294967295EEENS1_25partition_config_selectorILNS1_17partition_subalgoE4EjNS0_10empty_typeEbEEZZNS1_14partition_implILS8_4ELb0ES6_15HIP_vector_typeIjLj2EENS0_17counting_iteratorIjlEEPS9_SG_NS0_5tupleIJPjSI_NS0_16reverse_iteratorISI_EEEEENSH_IJSG_SG_SG_EEES9_SI_JZNS1_25segmented_radix_sort_implINS0_14default_configELb0EPKdPdPKlPlN2at6native12_GLOBAL__N_18offset_tEEE10hipError_tPvRmT1_PNSt15iterator_traitsIS12_E10value_typeET2_T3_PNS13_IS18_E10value_typeET4_jRbjT5_S1E_jjP12ihipStream_tbEUljE_ZNSN_ISO_Lb0ESQ_SR_ST_SU_SY_EESZ_S10_S11_S12_S16_S17_S18_S1B_S1C_jS1D_jS1E_S1E_jjS1G_bEUljE0_EEESZ_S10_S11_S18_S1C_S1E_T6_T7_T9_mT8_S1G_bDpT10_ENKUlT_T0_E_clISt17integral_constantIbLb0EES1T_IbLb1EEEEDaS1P_S1Q_EUlS1P_E_NS1_11comp_targetILNS1_3genE8ELNS1_11target_archE1030ELNS1_3gpuE2ELNS1_3repE0EEENS1_30default_config_static_selectorELNS0_4arch9wavefront6targetE1EEEvS12_: ; @_ZN7rocprim17ROCPRIM_400000_NS6detail17trampoline_kernelINS0_13select_configILj256ELj13ELNS0_17block_load_methodE3ELS4_3ELS4_3ELNS0_20block_scan_algorithmE0ELj4294967295EEENS1_25partition_config_selectorILNS1_17partition_subalgoE4EjNS0_10empty_typeEbEEZZNS1_14partition_implILS8_4ELb0ES6_15HIP_vector_typeIjLj2EENS0_17counting_iteratorIjlEEPS9_SG_NS0_5tupleIJPjSI_NS0_16reverse_iteratorISI_EEEEENSH_IJSG_SG_SG_EEES9_SI_JZNS1_25segmented_radix_sort_implINS0_14default_configELb0EPKdPdPKlPlN2at6native12_GLOBAL__N_18offset_tEEE10hipError_tPvRmT1_PNSt15iterator_traitsIS12_E10value_typeET2_T3_PNS13_IS18_E10value_typeET4_jRbjT5_S1E_jjP12ihipStream_tbEUljE_ZNSN_ISO_Lb0ESQ_SR_ST_SU_SY_EESZ_S10_S11_S12_S16_S17_S18_S1B_S1C_jS1D_jS1E_S1E_jjS1G_bEUljE0_EEESZ_S10_S11_S18_S1C_S1E_T6_T7_T9_mT8_S1G_bDpT10_ENKUlT_T0_E_clISt17integral_constantIbLb0EES1T_IbLb1EEEEDaS1P_S1Q_EUlS1P_E_NS1_11comp_targetILNS1_3genE8ELNS1_11target_archE1030ELNS1_3gpuE2ELNS1_3repE0EEENS1_30default_config_static_selectorELNS0_4arch9wavefront6targetE1EEEvS12_
; %bb.0:
	.section	.rodata,"a",@progbits
	.p2align	6, 0x0
	.amdhsa_kernel _ZN7rocprim17ROCPRIM_400000_NS6detail17trampoline_kernelINS0_13select_configILj256ELj13ELNS0_17block_load_methodE3ELS4_3ELS4_3ELNS0_20block_scan_algorithmE0ELj4294967295EEENS1_25partition_config_selectorILNS1_17partition_subalgoE4EjNS0_10empty_typeEbEEZZNS1_14partition_implILS8_4ELb0ES6_15HIP_vector_typeIjLj2EENS0_17counting_iteratorIjlEEPS9_SG_NS0_5tupleIJPjSI_NS0_16reverse_iteratorISI_EEEEENSH_IJSG_SG_SG_EEES9_SI_JZNS1_25segmented_radix_sort_implINS0_14default_configELb0EPKdPdPKlPlN2at6native12_GLOBAL__N_18offset_tEEE10hipError_tPvRmT1_PNSt15iterator_traitsIS12_E10value_typeET2_T3_PNS13_IS18_E10value_typeET4_jRbjT5_S1E_jjP12ihipStream_tbEUljE_ZNSN_ISO_Lb0ESQ_SR_ST_SU_SY_EESZ_S10_S11_S12_S16_S17_S18_S1B_S1C_jS1D_jS1E_S1E_jjS1G_bEUljE0_EEESZ_S10_S11_S18_S1C_S1E_T6_T7_T9_mT8_S1G_bDpT10_ENKUlT_T0_E_clISt17integral_constantIbLb0EES1T_IbLb1EEEEDaS1P_S1Q_EUlS1P_E_NS1_11comp_targetILNS1_3genE8ELNS1_11target_archE1030ELNS1_3gpuE2ELNS1_3repE0EEENS1_30default_config_static_selectorELNS0_4arch9wavefront6targetE1EEEvS12_
		.amdhsa_group_segment_fixed_size 0
		.amdhsa_private_segment_fixed_size 0
		.amdhsa_kernarg_size 184
		.amdhsa_user_sgpr_count 6
		.amdhsa_user_sgpr_private_segment_buffer 1
		.amdhsa_user_sgpr_dispatch_ptr 0
		.amdhsa_user_sgpr_queue_ptr 0
		.amdhsa_user_sgpr_kernarg_segment_ptr 1
		.amdhsa_user_sgpr_dispatch_id 0
		.amdhsa_user_sgpr_flat_scratch_init 0
		.amdhsa_user_sgpr_private_segment_size 0
		.amdhsa_uses_dynamic_stack 0
		.amdhsa_system_sgpr_private_segment_wavefront_offset 0
		.amdhsa_system_sgpr_workgroup_id_x 1
		.amdhsa_system_sgpr_workgroup_id_y 0
		.amdhsa_system_sgpr_workgroup_id_z 0
		.amdhsa_system_sgpr_workgroup_info 0
		.amdhsa_system_vgpr_workitem_id 0
		.amdhsa_next_free_vgpr 1
		.amdhsa_next_free_sgpr 0
		.amdhsa_reserve_vcc 0
		.amdhsa_reserve_flat_scratch 0
		.amdhsa_float_round_mode_32 0
		.amdhsa_float_round_mode_16_64 0
		.amdhsa_float_denorm_mode_32 3
		.amdhsa_float_denorm_mode_16_64 3
		.amdhsa_dx10_clamp 1
		.amdhsa_ieee_mode 1
		.amdhsa_fp16_overflow 0
		.amdhsa_exception_fp_ieee_invalid_op 0
		.amdhsa_exception_fp_denorm_src 0
		.amdhsa_exception_fp_ieee_div_zero 0
		.amdhsa_exception_fp_ieee_overflow 0
		.amdhsa_exception_fp_ieee_underflow 0
		.amdhsa_exception_fp_ieee_inexact 0
		.amdhsa_exception_int_div_zero 0
	.end_amdhsa_kernel
	.section	.text._ZN7rocprim17ROCPRIM_400000_NS6detail17trampoline_kernelINS0_13select_configILj256ELj13ELNS0_17block_load_methodE3ELS4_3ELS4_3ELNS0_20block_scan_algorithmE0ELj4294967295EEENS1_25partition_config_selectorILNS1_17partition_subalgoE4EjNS0_10empty_typeEbEEZZNS1_14partition_implILS8_4ELb0ES6_15HIP_vector_typeIjLj2EENS0_17counting_iteratorIjlEEPS9_SG_NS0_5tupleIJPjSI_NS0_16reverse_iteratorISI_EEEEENSH_IJSG_SG_SG_EEES9_SI_JZNS1_25segmented_radix_sort_implINS0_14default_configELb0EPKdPdPKlPlN2at6native12_GLOBAL__N_18offset_tEEE10hipError_tPvRmT1_PNSt15iterator_traitsIS12_E10value_typeET2_T3_PNS13_IS18_E10value_typeET4_jRbjT5_S1E_jjP12ihipStream_tbEUljE_ZNSN_ISO_Lb0ESQ_SR_ST_SU_SY_EESZ_S10_S11_S12_S16_S17_S18_S1B_S1C_jS1D_jS1E_S1E_jjS1G_bEUljE0_EEESZ_S10_S11_S18_S1C_S1E_T6_T7_T9_mT8_S1G_bDpT10_ENKUlT_T0_E_clISt17integral_constantIbLb0EES1T_IbLb1EEEEDaS1P_S1Q_EUlS1P_E_NS1_11comp_targetILNS1_3genE8ELNS1_11target_archE1030ELNS1_3gpuE2ELNS1_3repE0EEENS1_30default_config_static_selectorELNS0_4arch9wavefront6targetE1EEEvS12_,"axG",@progbits,_ZN7rocprim17ROCPRIM_400000_NS6detail17trampoline_kernelINS0_13select_configILj256ELj13ELNS0_17block_load_methodE3ELS4_3ELS4_3ELNS0_20block_scan_algorithmE0ELj4294967295EEENS1_25partition_config_selectorILNS1_17partition_subalgoE4EjNS0_10empty_typeEbEEZZNS1_14partition_implILS8_4ELb0ES6_15HIP_vector_typeIjLj2EENS0_17counting_iteratorIjlEEPS9_SG_NS0_5tupleIJPjSI_NS0_16reverse_iteratorISI_EEEEENSH_IJSG_SG_SG_EEES9_SI_JZNS1_25segmented_radix_sort_implINS0_14default_configELb0EPKdPdPKlPlN2at6native12_GLOBAL__N_18offset_tEEE10hipError_tPvRmT1_PNSt15iterator_traitsIS12_E10value_typeET2_T3_PNS13_IS18_E10value_typeET4_jRbjT5_S1E_jjP12ihipStream_tbEUljE_ZNSN_ISO_Lb0ESQ_SR_ST_SU_SY_EESZ_S10_S11_S12_S16_S17_S18_S1B_S1C_jS1D_jS1E_S1E_jjS1G_bEUljE0_EEESZ_S10_S11_S18_S1C_S1E_T6_T7_T9_mT8_S1G_bDpT10_ENKUlT_T0_E_clISt17integral_constantIbLb0EES1T_IbLb1EEEEDaS1P_S1Q_EUlS1P_E_NS1_11comp_targetILNS1_3genE8ELNS1_11target_archE1030ELNS1_3gpuE2ELNS1_3repE0EEENS1_30default_config_static_selectorELNS0_4arch9wavefront6targetE1EEEvS12_,comdat
.Lfunc_end1188:
	.size	_ZN7rocprim17ROCPRIM_400000_NS6detail17trampoline_kernelINS0_13select_configILj256ELj13ELNS0_17block_load_methodE3ELS4_3ELS4_3ELNS0_20block_scan_algorithmE0ELj4294967295EEENS1_25partition_config_selectorILNS1_17partition_subalgoE4EjNS0_10empty_typeEbEEZZNS1_14partition_implILS8_4ELb0ES6_15HIP_vector_typeIjLj2EENS0_17counting_iteratorIjlEEPS9_SG_NS0_5tupleIJPjSI_NS0_16reverse_iteratorISI_EEEEENSH_IJSG_SG_SG_EEES9_SI_JZNS1_25segmented_radix_sort_implINS0_14default_configELb0EPKdPdPKlPlN2at6native12_GLOBAL__N_18offset_tEEE10hipError_tPvRmT1_PNSt15iterator_traitsIS12_E10value_typeET2_T3_PNS13_IS18_E10value_typeET4_jRbjT5_S1E_jjP12ihipStream_tbEUljE_ZNSN_ISO_Lb0ESQ_SR_ST_SU_SY_EESZ_S10_S11_S12_S16_S17_S18_S1B_S1C_jS1D_jS1E_S1E_jjS1G_bEUljE0_EEESZ_S10_S11_S18_S1C_S1E_T6_T7_T9_mT8_S1G_bDpT10_ENKUlT_T0_E_clISt17integral_constantIbLb0EES1T_IbLb1EEEEDaS1P_S1Q_EUlS1P_E_NS1_11comp_targetILNS1_3genE8ELNS1_11target_archE1030ELNS1_3gpuE2ELNS1_3repE0EEENS1_30default_config_static_selectorELNS0_4arch9wavefront6targetE1EEEvS12_, .Lfunc_end1188-_ZN7rocprim17ROCPRIM_400000_NS6detail17trampoline_kernelINS0_13select_configILj256ELj13ELNS0_17block_load_methodE3ELS4_3ELS4_3ELNS0_20block_scan_algorithmE0ELj4294967295EEENS1_25partition_config_selectorILNS1_17partition_subalgoE4EjNS0_10empty_typeEbEEZZNS1_14partition_implILS8_4ELb0ES6_15HIP_vector_typeIjLj2EENS0_17counting_iteratorIjlEEPS9_SG_NS0_5tupleIJPjSI_NS0_16reverse_iteratorISI_EEEEENSH_IJSG_SG_SG_EEES9_SI_JZNS1_25segmented_radix_sort_implINS0_14default_configELb0EPKdPdPKlPlN2at6native12_GLOBAL__N_18offset_tEEE10hipError_tPvRmT1_PNSt15iterator_traitsIS12_E10value_typeET2_T3_PNS13_IS18_E10value_typeET4_jRbjT5_S1E_jjP12ihipStream_tbEUljE_ZNSN_ISO_Lb0ESQ_SR_ST_SU_SY_EESZ_S10_S11_S12_S16_S17_S18_S1B_S1C_jS1D_jS1E_S1E_jjS1G_bEUljE0_EEESZ_S10_S11_S18_S1C_S1E_T6_T7_T9_mT8_S1G_bDpT10_ENKUlT_T0_E_clISt17integral_constantIbLb0EES1T_IbLb1EEEEDaS1P_S1Q_EUlS1P_E_NS1_11comp_targetILNS1_3genE8ELNS1_11target_archE1030ELNS1_3gpuE2ELNS1_3repE0EEENS1_30default_config_static_selectorELNS0_4arch9wavefront6targetE1EEEvS12_
                                        ; -- End function
	.set _ZN7rocprim17ROCPRIM_400000_NS6detail17trampoline_kernelINS0_13select_configILj256ELj13ELNS0_17block_load_methodE3ELS4_3ELS4_3ELNS0_20block_scan_algorithmE0ELj4294967295EEENS1_25partition_config_selectorILNS1_17partition_subalgoE4EjNS0_10empty_typeEbEEZZNS1_14partition_implILS8_4ELb0ES6_15HIP_vector_typeIjLj2EENS0_17counting_iteratorIjlEEPS9_SG_NS0_5tupleIJPjSI_NS0_16reverse_iteratorISI_EEEEENSH_IJSG_SG_SG_EEES9_SI_JZNS1_25segmented_radix_sort_implINS0_14default_configELb0EPKdPdPKlPlN2at6native12_GLOBAL__N_18offset_tEEE10hipError_tPvRmT1_PNSt15iterator_traitsIS12_E10value_typeET2_T3_PNS13_IS18_E10value_typeET4_jRbjT5_S1E_jjP12ihipStream_tbEUljE_ZNSN_ISO_Lb0ESQ_SR_ST_SU_SY_EESZ_S10_S11_S12_S16_S17_S18_S1B_S1C_jS1D_jS1E_S1E_jjS1G_bEUljE0_EEESZ_S10_S11_S18_S1C_S1E_T6_T7_T9_mT8_S1G_bDpT10_ENKUlT_T0_E_clISt17integral_constantIbLb0EES1T_IbLb1EEEEDaS1P_S1Q_EUlS1P_E_NS1_11comp_targetILNS1_3genE8ELNS1_11target_archE1030ELNS1_3gpuE2ELNS1_3repE0EEENS1_30default_config_static_selectorELNS0_4arch9wavefront6targetE1EEEvS12_.num_vgpr, 0
	.set _ZN7rocprim17ROCPRIM_400000_NS6detail17trampoline_kernelINS0_13select_configILj256ELj13ELNS0_17block_load_methodE3ELS4_3ELS4_3ELNS0_20block_scan_algorithmE0ELj4294967295EEENS1_25partition_config_selectorILNS1_17partition_subalgoE4EjNS0_10empty_typeEbEEZZNS1_14partition_implILS8_4ELb0ES6_15HIP_vector_typeIjLj2EENS0_17counting_iteratorIjlEEPS9_SG_NS0_5tupleIJPjSI_NS0_16reverse_iteratorISI_EEEEENSH_IJSG_SG_SG_EEES9_SI_JZNS1_25segmented_radix_sort_implINS0_14default_configELb0EPKdPdPKlPlN2at6native12_GLOBAL__N_18offset_tEEE10hipError_tPvRmT1_PNSt15iterator_traitsIS12_E10value_typeET2_T3_PNS13_IS18_E10value_typeET4_jRbjT5_S1E_jjP12ihipStream_tbEUljE_ZNSN_ISO_Lb0ESQ_SR_ST_SU_SY_EESZ_S10_S11_S12_S16_S17_S18_S1B_S1C_jS1D_jS1E_S1E_jjS1G_bEUljE0_EEESZ_S10_S11_S18_S1C_S1E_T6_T7_T9_mT8_S1G_bDpT10_ENKUlT_T0_E_clISt17integral_constantIbLb0EES1T_IbLb1EEEEDaS1P_S1Q_EUlS1P_E_NS1_11comp_targetILNS1_3genE8ELNS1_11target_archE1030ELNS1_3gpuE2ELNS1_3repE0EEENS1_30default_config_static_selectorELNS0_4arch9wavefront6targetE1EEEvS12_.num_agpr, 0
	.set _ZN7rocprim17ROCPRIM_400000_NS6detail17trampoline_kernelINS0_13select_configILj256ELj13ELNS0_17block_load_methodE3ELS4_3ELS4_3ELNS0_20block_scan_algorithmE0ELj4294967295EEENS1_25partition_config_selectorILNS1_17partition_subalgoE4EjNS0_10empty_typeEbEEZZNS1_14partition_implILS8_4ELb0ES6_15HIP_vector_typeIjLj2EENS0_17counting_iteratorIjlEEPS9_SG_NS0_5tupleIJPjSI_NS0_16reverse_iteratorISI_EEEEENSH_IJSG_SG_SG_EEES9_SI_JZNS1_25segmented_radix_sort_implINS0_14default_configELb0EPKdPdPKlPlN2at6native12_GLOBAL__N_18offset_tEEE10hipError_tPvRmT1_PNSt15iterator_traitsIS12_E10value_typeET2_T3_PNS13_IS18_E10value_typeET4_jRbjT5_S1E_jjP12ihipStream_tbEUljE_ZNSN_ISO_Lb0ESQ_SR_ST_SU_SY_EESZ_S10_S11_S12_S16_S17_S18_S1B_S1C_jS1D_jS1E_S1E_jjS1G_bEUljE0_EEESZ_S10_S11_S18_S1C_S1E_T6_T7_T9_mT8_S1G_bDpT10_ENKUlT_T0_E_clISt17integral_constantIbLb0EES1T_IbLb1EEEEDaS1P_S1Q_EUlS1P_E_NS1_11comp_targetILNS1_3genE8ELNS1_11target_archE1030ELNS1_3gpuE2ELNS1_3repE0EEENS1_30default_config_static_selectorELNS0_4arch9wavefront6targetE1EEEvS12_.numbered_sgpr, 0
	.set _ZN7rocprim17ROCPRIM_400000_NS6detail17trampoline_kernelINS0_13select_configILj256ELj13ELNS0_17block_load_methodE3ELS4_3ELS4_3ELNS0_20block_scan_algorithmE0ELj4294967295EEENS1_25partition_config_selectorILNS1_17partition_subalgoE4EjNS0_10empty_typeEbEEZZNS1_14partition_implILS8_4ELb0ES6_15HIP_vector_typeIjLj2EENS0_17counting_iteratorIjlEEPS9_SG_NS0_5tupleIJPjSI_NS0_16reverse_iteratorISI_EEEEENSH_IJSG_SG_SG_EEES9_SI_JZNS1_25segmented_radix_sort_implINS0_14default_configELb0EPKdPdPKlPlN2at6native12_GLOBAL__N_18offset_tEEE10hipError_tPvRmT1_PNSt15iterator_traitsIS12_E10value_typeET2_T3_PNS13_IS18_E10value_typeET4_jRbjT5_S1E_jjP12ihipStream_tbEUljE_ZNSN_ISO_Lb0ESQ_SR_ST_SU_SY_EESZ_S10_S11_S12_S16_S17_S18_S1B_S1C_jS1D_jS1E_S1E_jjS1G_bEUljE0_EEESZ_S10_S11_S18_S1C_S1E_T6_T7_T9_mT8_S1G_bDpT10_ENKUlT_T0_E_clISt17integral_constantIbLb0EES1T_IbLb1EEEEDaS1P_S1Q_EUlS1P_E_NS1_11comp_targetILNS1_3genE8ELNS1_11target_archE1030ELNS1_3gpuE2ELNS1_3repE0EEENS1_30default_config_static_selectorELNS0_4arch9wavefront6targetE1EEEvS12_.num_named_barrier, 0
	.set _ZN7rocprim17ROCPRIM_400000_NS6detail17trampoline_kernelINS0_13select_configILj256ELj13ELNS0_17block_load_methodE3ELS4_3ELS4_3ELNS0_20block_scan_algorithmE0ELj4294967295EEENS1_25partition_config_selectorILNS1_17partition_subalgoE4EjNS0_10empty_typeEbEEZZNS1_14partition_implILS8_4ELb0ES6_15HIP_vector_typeIjLj2EENS0_17counting_iteratorIjlEEPS9_SG_NS0_5tupleIJPjSI_NS0_16reverse_iteratorISI_EEEEENSH_IJSG_SG_SG_EEES9_SI_JZNS1_25segmented_radix_sort_implINS0_14default_configELb0EPKdPdPKlPlN2at6native12_GLOBAL__N_18offset_tEEE10hipError_tPvRmT1_PNSt15iterator_traitsIS12_E10value_typeET2_T3_PNS13_IS18_E10value_typeET4_jRbjT5_S1E_jjP12ihipStream_tbEUljE_ZNSN_ISO_Lb0ESQ_SR_ST_SU_SY_EESZ_S10_S11_S12_S16_S17_S18_S1B_S1C_jS1D_jS1E_S1E_jjS1G_bEUljE0_EEESZ_S10_S11_S18_S1C_S1E_T6_T7_T9_mT8_S1G_bDpT10_ENKUlT_T0_E_clISt17integral_constantIbLb0EES1T_IbLb1EEEEDaS1P_S1Q_EUlS1P_E_NS1_11comp_targetILNS1_3genE8ELNS1_11target_archE1030ELNS1_3gpuE2ELNS1_3repE0EEENS1_30default_config_static_selectorELNS0_4arch9wavefront6targetE1EEEvS12_.private_seg_size, 0
	.set _ZN7rocprim17ROCPRIM_400000_NS6detail17trampoline_kernelINS0_13select_configILj256ELj13ELNS0_17block_load_methodE3ELS4_3ELS4_3ELNS0_20block_scan_algorithmE0ELj4294967295EEENS1_25partition_config_selectorILNS1_17partition_subalgoE4EjNS0_10empty_typeEbEEZZNS1_14partition_implILS8_4ELb0ES6_15HIP_vector_typeIjLj2EENS0_17counting_iteratorIjlEEPS9_SG_NS0_5tupleIJPjSI_NS0_16reverse_iteratorISI_EEEEENSH_IJSG_SG_SG_EEES9_SI_JZNS1_25segmented_radix_sort_implINS0_14default_configELb0EPKdPdPKlPlN2at6native12_GLOBAL__N_18offset_tEEE10hipError_tPvRmT1_PNSt15iterator_traitsIS12_E10value_typeET2_T3_PNS13_IS18_E10value_typeET4_jRbjT5_S1E_jjP12ihipStream_tbEUljE_ZNSN_ISO_Lb0ESQ_SR_ST_SU_SY_EESZ_S10_S11_S12_S16_S17_S18_S1B_S1C_jS1D_jS1E_S1E_jjS1G_bEUljE0_EEESZ_S10_S11_S18_S1C_S1E_T6_T7_T9_mT8_S1G_bDpT10_ENKUlT_T0_E_clISt17integral_constantIbLb0EES1T_IbLb1EEEEDaS1P_S1Q_EUlS1P_E_NS1_11comp_targetILNS1_3genE8ELNS1_11target_archE1030ELNS1_3gpuE2ELNS1_3repE0EEENS1_30default_config_static_selectorELNS0_4arch9wavefront6targetE1EEEvS12_.uses_vcc, 0
	.set _ZN7rocprim17ROCPRIM_400000_NS6detail17trampoline_kernelINS0_13select_configILj256ELj13ELNS0_17block_load_methodE3ELS4_3ELS4_3ELNS0_20block_scan_algorithmE0ELj4294967295EEENS1_25partition_config_selectorILNS1_17partition_subalgoE4EjNS0_10empty_typeEbEEZZNS1_14partition_implILS8_4ELb0ES6_15HIP_vector_typeIjLj2EENS0_17counting_iteratorIjlEEPS9_SG_NS0_5tupleIJPjSI_NS0_16reverse_iteratorISI_EEEEENSH_IJSG_SG_SG_EEES9_SI_JZNS1_25segmented_radix_sort_implINS0_14default_configELb0EPKdPdPKlPlN2at6native12_GLOBAL__N_18offset_tEEE10hipError_tPvRmT1_PNSt15iterator_traitsIS12_E10value_typeET2_T3_PNS13_IS18_E10value_typeET4_jRbjT5_S1E_jjP12ihipStream_tbEUljE_ZNSN_ISO_Lb0ESQ_SR_ST_SU_SY_EESZ_S10_S11_S12_S16_S17_S18_S1B_S1C_jS1D_jS1E_S1E_jjS1G_bEUljE0_EEESZ_S10_S11_S18_S1C_S1E_T6_T7_T9_mT8_S1G_bDpT10_ENKUlT_T0_E_clISt17integral_constantIbLb0EES1T_IbLb1EEEEDaS1P_S1Q_EUlS1P_E_NS1_11comp_targetILNS1_3genE8ELNS1_11target_archE1030ELNS1_3gpuE2ELNS1_3repE0EEENS1_30default_config_static_selectorELNS0_4arch9wavefront6targetE1EEEvS12_.uses_flat_scratch, 0
	.set _ZN7rocprim17ROCPRIM_400000_NS6detail17trampoline_kernelINS0_13select_configILj256ELj13ELNS0_17block_load_methodE3ELS4_3ELS4_3ELNS0_20block_scan_algorithmE0ELj4294967295EEENS1_25partition_config_selectorILNS1_17partition_subalgoE4EjNS0_10empty_typeEbEEZZNS1_14partition_implILS8_4ELb0ES6_15HIP_vector_typeIjLj2EENS0_17counting_iteratorIjlEEPS9_SG_NS0_5tupleIJPjSI_NS0_16reverse_iteratorISI_EEEEENSH_IJSG_SG_SG_EEES9_SI_JZNS1_25segmented_radix_sort_implINS0_14default_configELb0EPKdPdPKlPlN2at6native12_GLOBAL__N_18offset_tEEE10hipError_tPvRmT1_PNSt15iterator_traitsIS12_E10value_typeET2_T3_PNS13_IS18_E10value_typeET4_jRbjT5_S1E_jjP12ihipStream_tbEUljE_ZNSN_ISO_Lb0ESQ_SR_ST_SU_SY_EESZ_S10_S11_S12_S16_S17_S18_S1B_S1C_jS1D_jS1E_S1E_jjS1G_bEUljE0_EEESZ_S10_S11_S18_S1C_S1E_T6_T7_T9_mT8_S1G_bDpT10_ENKUlT_T0_E_clISt17integral_constantIbLb0EES1T_IbLb1EEEEDaS1P_S1Q_EUlS1P_E_NS1_11comp_targetILNS1_3genE8ELNS1_11target_archE1030ELNS1_3gpuE2ELNS1_3repE0EEENS1_30default_config_static_selectorELNS0_4arch9wavefront6targetE1EEEvS12_.has_dyn_sized_stack, 0
	.set _ZN7rocprim17ROCPRIM_400000_NS6detail17trampoline_kernelINS0_13select_configILj256ELj13ELNS0_17block_load_methodE3ELS4_3ELS4_3ELNS0_20block_scan_algorithmE0ELj4294967295EEENS1_25partition_config_selectorILNS1_17partition_subalgoE4EjNS0_10empty_typeEbEEZZNS1_14partition_implILS8_4ELb0ES6_15HIP_vector_typeIjLj2EENS0_17counting_iteratorIjlEEPS9_SG_NS0_5tupleIJPjSI_NS0_16reverse_iteratorISI_EEEEENSH_IJSG_SG_SG_EEES9_SI_JZNS1_25segmented_radix_sort_implINS0_14default_configELb0EPKdPdPKlPlN2at6native12_GLOBAL__N_18offset_tEEE10hipError_tPvRmT1_PNSt15iterator_traitsIS12_E10value_typeET2_T3_PNS13_IS18_E10value_typeET4_jRbjT5_S1E_jjP12ihipStream_tbEUljE_ZNSN_ISO_Lb0ESQ_SR_ST_SU_SY_EESZ_S10_S11_S12_S16_S17_S18_S1B_S1C_jS1D_jS1E_S1E_jjS1G_bEUljE0_EEESZ_S10_S11_S18_S1C_S1E_T6_T7_T9_mT8_S1G_bDpT10_ENKUlT_T0_E_clISt17integral_constantIbLb0EES1T_IbLb1EEEEDaS1P_S1Q_EUlS1P_E_NS1_11comp_targetILNS1_3genE8ELNS1_11target_archE1030ELNS1_3gpuE2ELNS1_3repE0EEENS1_30default_config_static_selectorELNS0_4arch9wavefront6targetE1EEEvS12_.has_recursion, 0
	.set _ZN7rocprim17ROCPRIM_400000_NS6detail17trampoline_kernelINS0_13select_configILj256ELj13ELNS0_17block_load_methodE3ELS4_3ELS4_3ELNS0_20block_scan_algorithmE0ELj4294967295EEENS1_25partition_config_selectorILNS1_17partition_subalgoE4EjNS0_10empty_typeEbEEZZNS1_14partition_implILS8_4ELb0ES6_15HIP_vector_typeIjLj2EENS0_17counting_iteratorIjlEEPS9_SG_NS0_5tupleIJPjSI_NS0_16reverse_iteratorISI_EEEEENSH_IJSG_SG_SG_EEES9_SI_JZNS1_25segmented_radix_sort_implINS0_14default_configELb0EPKdPdPKlPlN2at6native12_GLOBAL__N_18offset_tEEE10hipError_tPvRmT1_PNSt15iterator_traitsIS12_E10value_typeET2_T3_PNS13_IS18_E10value_typeET4_jRbjT5_S1E_jjP12ihipStream_tbEUljE_ZNSN_ISO_Lb0ESQ_SR_ST_SU_SY_EESZ_S10_S11_S12_S16_S17_S18_S1B_S1C_jS1D_jS1E_S1E_jjS1G_bEUljE0_EEESZ_S10_S11_S18_S1C_S1E_T6_T7_T9_mT8_S1G_bDpT10_ENKUlT_T0_E_clISt17integral_constantIbLb0EES1T_IbLb1EEEEDaS1P_S1Q_EUlS1P_E_NS1_11comp_targetILNS1_3genE8ELNS1_11target_archE1030ELNS1_3gpuE2ELNS1_3repE0EEENS1_30default_config_static_selectorELNS0_4arch9wavefront6targetE1EEEvS12_.has_indirect_call, 0
	.section	.AMDGPU.csdata,"",@progbits
; Kernel info:
; codeLenInByte = 0
; TotalNumSgprs: 4
; NumVgprs: 0
; ScratchSize: 0
; MemoryBound: 0
; FloatMode: 240
; IeeeMode: 1
; LDSByteSize: 0 bytes/workgroup (compile time only)
; SGPRBlocks: 0
; VGPRBlocks: 0
; NumSGPRsForWavesPerEU: 4
; NumVGPRsForWavesPerEU: 1
; Occupancy: 10
; WaveLimiterHint : 0
; COMPUTE_PGM_RSRC2:SCRATCH_EN: 0
; COMPUTE_PGM_RSRC2:USER_SGPR: 6
; COMPUTE_PGM_RSRC2:TRAP_HANDLER: 0
; COMPUTE_PGM_RSRC2:TGID_X_EN: 1
; COMPUTE_PGM_RSRC2:TGID_Y_EN: 0
; COMPUTE_PGM_RSRC2:TGID_Z_EN: 0
; COMPUTE_PGM_RSRC2:TIDIG_COMP_CNT: 0
	.section	.text._ZN7rocprim17ROCPRIM_400000_NS6detail17trampoline_kernelINS0_13select_configILj256ELj13ELNS0_17block_load_methodE3ELS4_3ELS4_3ELNS0_20block_scan_algorithmE0ELj4294967295EEENS1_25partition_config_selectorILNS1_17partition_subalgoE3EjNS0_10empty_typeEbEEZZNS1_14partition_implILS8_3ELb0ES6_jNS0_17counting_iteratorIjlEEPS9_SE_NS0_5tupleIJPjSE_EEENSF_IJSE_SE_EEES9_SG_JZNS1_25segmented_radix_sort_implINS0_14default_configELb0EPKdPdPKlPlN2at6native12_GLOBAL__N_18offset_tEEE10hipError_tPvRmT1_PNSt15iterator_traitsISY_E10value_typeET2_T3_PNSZ_IS14_E10value_typeET4_jRbjT5_S1A_jjP12ihipStream_tbEUljE_EEESV_SW_SX_S14_S18_S1A_T6_T7_T9_mT8_S1C_bDpT10_ENKUlT_T0_E_clISt17integral_constantIbLb0EES1P_EEDaS1K_S1L_EUlS1K_E_NS1_11comp_targetILNS1_3genE0ELNS1_11target_archE4294967295ELNS1_3gpuE0ELNS1_3repE0EEENS1_30default_config_static_selectorELNS0_4arch9wavefront6targetE1EEEvSY_,"axG",@progbits,_ZN7rocprim17ROCPRIM_400000_NS6detail17trampoline_kernelINS0_13select_configILj256ELj13ELNS0_17block_load_methodE3ELS4_3ELS4_3ELNS0_20block_scan_algorithmE0ELj4294967295EEENS1_25partition_config_selectorILNS1_17partition_subalgoE3EjNS0_10empty_typeEbEEZZNS1_14partition_implILS8_3ELb0ES6_jNS0_17counting_iteratorIjlEEPS9_SE_NS0_5tupleIJPjSE_EEENSF_IJSE_SE_EEES9_SG_JZNS1_25segmented_radix_sort_implINS0_14default_configELb0EPKdPdPKlPlN2at6native12_GLOBAL__N_18offset_tEEE10hipError_tPvRmT1_PNSt15iterator_traitsISY_E10value_typeET2_T3_PNSZ_IS14_E10value_typeET4_jRbjT5_S1A_jjP12ihipStream_tbEUljE_EEESV_SW_SX_S14_S18_S1A_T6_T7_T9_mT8_S1C_bDpT10_ENKUlT_T0_E_clISt17integral_constantIbLb0EES1P_EEDaS1K_S1L_EUlS1K_E_NS1_11comp_targetILNS1_3genE0ELNS1_11target_archE4294967295ELNS1_3gpuE0ELNS1_3repE0EEENS1_30default_config_static_selectorELNS0_4arch9wavefront6targetE1EEEvSY_,comdat
	.globl	_ZN7rocprim17ROCPRIM_400000_NS6detail17trampoline_kernelINS0_13select_configILj256ELj13ELNS0_17block_load_methodE3ELS4_3ELS4_3ELNS0_20block_scan_algorithmE0ELj4294967295EEENS1_25partition_config_selectorILNS1_17partition_subalgoE3EjNS0_10empty_typeEbEEZZNS1_14partition_implILS8_3ELb0ES6_jNS0_17counting_iteratorIjlEEPS9_SE_NS0_5tupleIJPjSE_EEENSF_IJSE_SE_EEES9_SG_JZNS1_25segmented_radix_sort_implINS0_14default_configELb0EPKdPdPKlPlN2at6native12_GLOBAL__N_18offset_tEEE10hipError_tPvRmT1_PNSt15iterator_traitsISY_E10value_typeET2_T3_PNSZ_IS14_E10value_typeET4_jRbjT5_S1A_jjP12ihipStream_tbEUljE_EEESV_SW_SX_S14_S18_S1A_T6_T7_T9_mT8_S1C_bDpT10_ENKUlT_T0_E_clISt17integral_constantIbLb0EES1P_EEDaS1K_S1L_EUlS1K_E_NS1_11comp_targetILNS1_3genE0ELNS1_11target_archE4294967295ELNS1_3gpuE0ELNS1_3repE0EEENS1_30default_config_static_selectorELNS0_4arch9wavefront6targetE1EEEvSY_ ; -- Begin function _ZN7rocprim17ROCPRIM_400000_NS6detail17trampoline_kernelINS0_13select_configILj256ELj13ELNS0_17block_load_methodE3ELS4_3ELS4_3ELNS0_20block_scan_algorithmE0ELj4294967295EEENS1_25partition_config_selectorILNS1_17partition_subalgoE3EjNS0_10empty_typeEbEEZZNS1_14partition_implILS8_3ELb0ES6_jNS0_17counting_iteratorIjlEEPS9_SE_NS0_5tupleIJPjSE_EEENSF_IJSE_SE_EEES9_SG_JZNS1_25segmented_radix_sort_implINS0_14default_configELb0EPKdPdPKlPlN2at6native12_GLOBAL__N_18offset_tEEE10hipError_tPvRmT1_PNSt15iterator_traitsISY_E10value_typeET2_T3_PNSZ_IS14_E10value_typeET4_jRbjT5_S1A_jjP12ihipStream_tbEUljE_EEESV_SW_SX_S14_S18_S1A_T6_T7_T9_mT8_S1C_bDpT10_ENKUlT_T0_E_clISt17integral_constantIbLb0EES1P_EEDaS1K_S1L_EUlS1K_E_NS1_11comp_targetILNS1_3genE0ELNS1_11target_archE4294967295ELNS1_3gpuE0ELNS1_3repE0EEENS1_30default_config_static_selectorELNS0_4arch9wavefront6targetE1EEEvSY_
	.p2align	8
	.type	_ZN7rocprim17ROCPRIM_400000_NS6detail17trampoline_kernelINS0_13select_configILj256ELj13ELNS0_17block_load_methodE3ELS4_3ELS4_3ELNS0_20block_scan_algorithmE0ELj4294967295EEENS1_25partition_config_selectorILNS1_17partition_subalgoE3EjNS0_10empty_typeEbEEZZNS1_14partition_implILS8_3ELb0ES6_jNS0_17counting_iteratorIjlEEPS9_SE_NS0_5tupleIJPjSE_EEENSF_IJSE_SE_EEES9_SG_JZNS1_25segmented_radix_sort_implINS0_14default_configELb0EPKdPdPKlPlN2at6native12_GLOBAL__N_18offset_tEEE10hipError_tPvRmT1_PNSt15iterator_traitsISY_E10value_typeET2_T3_PNSZ_IS14_E10value_typeET4_jRbjT5_S1A_jjP12ihipStream_tbEUljE_EEESV_SW_SX_S14_S18_S1A_T6_T7_T9_mT8_S1C_bDpT10_ENKUlT_T0_E_clISt17integral_constantIbLb0EES1P_EEDaS1K_S1L_EUlS1K_E_NS1_11comp_targetILNS1_3genE0ELNS1_11target_archE4294967295ELNS1_3gpuE0ELNS1_3repE0EEENS1_30default_config_static_selectorELNS0_4arch9wavefront6targetE1EEEvSY_,@function
_ZN7rocprim17ROCPRIM_400000_NS6detail17trampoline_kernelINS0_13select_configILj256ELj13ELNS0_17block_load_methodE3ELS4_3ELS4_3ELNS0_20block_scan_algorithmE0ELj4294967295EEENS1_25partition_config_selectorILNS1_17partition_subalgoE3EjNS0_10empty_typeEbEEZZNS1_14partition_implILS8_3ELb0ES6_jNS0_17counting_iteratorIjlEEPS9_SE_NS0_5tupleIJPjSE_EEENSF_IJSE_SE_EEES9_SG_JZNS1_25segmented_radix_sort_implINS0_14default_configELb0EPKdPdPKlPlN2at6native12_GLOBAL__N_18offset_tEEE10hipError_tPvRmT1_PNSt15iterator_traitsISY_E10value_typeET2_T3_PNSZ_IS14_E10value_typeET4_jRbjT5_S1A_jjP12ihipStream_tbEUljE_EEESV_SW_SX_S14_S18_S1A_T6_T7_T9_mT8_S1C_bDpT10_ENKUlT_T0_E_clISt17integral_constantIbLb0EES1P_EEDaS1K_S1L_EUlS1K_E_NS1_11comp_targetILNS1_3genE0ELNS1_11target_archE4294967295ELNS1_3gpuE0ELNS1_3repE0EEENS1_30default_config_static_selectorELNS0_4arch9wavefront6targetE1EEEvSY_: ; @_ZN7rocprim17ROCPRIM_400000_NS6detail17trampoline_kernelINS0_13select_configILj256ELj13ELNS0_17block_load_methodE3ELS4_3ELS4_3ELNS0_20block_scan_algorithmE0ELj4294967295EEENS1_25partition_config_selectorILNS1_17partition_subalgoE3EjNS0_10empty_typeEbEEZZNS1_14partition_implILS8_3ELb0ES6_jNS0_17counting_iteratorIjlEEPS9_SE_NS0_5tupleIJPjSE_EEENSF_IJSE_SE_EEES9_SG_JZNS1_25segmented_radix_sort_implINS0_14default_configELb0EPKdPdPKlPlN2at6native12_GLOBAL__N_18offset_tEEE10hipError_tPvRmT1_PNSt15iterator_traitsISY_E10value_typeET2_T3_PNSZ_IS14_E10value_typeET4_jRbjT5_S1A_jjP12ihipStream_tbEUljE_EEESV_SW_SX_S14_S18_S1A_T6_T7_T9_mT8_S1C_bDpT10_ENKUlT_T0_E_clISt17integral_constantIbLb0EES1P_EEDaS1K_S1L_EUlS1K_E_NS1_11comp_targetILNS1_3genE0ELNS1_11target_archE4294967295ELNS1_3gpuE0ELNS1_3repE0EEENS1_30default_config_static_selectorELNS0_4arch9wavefront6targetE1EEEvSY_
; %bb.0:
	.section	.rodata,"a",@progbits
	.p2align	6, 0x0
	.amdhsa_kernel _ZN7rocprim17ROCPRIM_400000_NS6detail17trampoline_kernelINS0_13select_configILj256ELj13ELNS0_17block_load_methodE3ELS4_3ELS4_3ELNS0_20block_scan_algorithmE0ELj4294967295EEENS1_25partition_config_selectorILNS1_17partition_subalgoE3EjNS0_10empty_typeEbEEZZNS1_14partition_implILS8_3ELb0ES6_jNS0_17counting_iteratorIjlEEPS9_SE_NS0_5tupleIJPjSE_EEENSF_IJSE_SE_EEES9_SG_JZNS1_25segmented_radix_sort_implINS0_14default_configELb0EPKdPdPKlPlN2at6native12_GLOBAL__N_18offset_tEEE10hipError_tPvRmT1_PNSt15iterator_traitsISY_E10value_typeET2_T3_PNSZ_IS14_E10value_typeET4_jRbjT5_S1A_jjP12ihipStream_tbEUljE_EEESV_SW_SX_S14_S18_S1A_T6_T7_T9_mT8_S1C_bDpT10_ENKUlT_T0_E_clISt17integral_constantIbLb0EES1P_EEDaS1K_S1L_EUlS1K_E_NS1_11comp_targetILNS1_3genE0ELNS1_11target_archE4294967295ELNS1_3gpuE0ELNS1_3repE0EEENS1_30default_config_static_selectorELNS0_4arch9wavefront6targetE1EEEvSY_
		.amdhsa_group_segment_fixed_size 0
		.amdhsa_private_segment_fixed_size 0
		.amdhsa_kernarg_size 144
		.amdhsa_user_sgpr_count 6
		.amdhsa_user_sgpr_private_segment_buffer 1
		.amdhsa_user_sgpr_dispatch_ptr 0
		.amdhsa_user_sgpr_queue_ptr 0
		.amdhsa_user_sgpr_kernarg_segment_ptr 1
		.amdhsa_user_sgpr_dispatch_id 0
		.amdhsa_user_sgpr_flat_scratch_init 0
		.amdhsa_user_sgpr_private_segment_size 0
		.amdhsa_uses_dynamic_stack 0
		.amdhsa_system_sgpr_private_segment_wavefront_offset 0
		.amdhsa_system_sgpr_workgroup_id_x 1
		.amdhsa_system_sgpr_workgroup_id_y 0
		.amdhsa_system_sgpr_workgroup_id_z 0
		.amdhsa_system_sgpr_workgroup_info 0
		.amdhsa_system_vgpr_workitem_id 0
		.amdhsa_next_free_vgpr 1
		.amdhsa_next_free_sgpr 0
		.amdhsa_reserve_vcc 0
		.amdhsa_reserve_flat_scratch 0
		.amdhsa_float_round_mode_32 0
		.amdhsa_float_round_mode_16_64 0
		.amdhsa_float_denorm_mode_32 3
		.amdhsa_float_denorm_mode_16_64 3
		.amdhsa_dx10_clamp 1
		.amdhsa_ieee_mode 1
		.amdhsa_fp16_overflow 0
		.amdhsa_exception_fp_ieee_invalid_op 0
		.amdhsa_exception_fp_denorm_src 0
		.amdhsa_exception_fp_ieee_div_zero 0
		.amdhsa_exception_fp_ieee_overflow 0
		.amdhsa_exception_fp_ieee_underflow 0
		.amdhsa_exception_fp_ieee_inexact 0
		.amdhsa_exception_int_div_zero 0
	.end_amdhsa_kernel
	.section	.text._ZN7rocprim17ROCPRIM_400000_NS6detail17trampoline_kernelINS0_13select_configILj256ELj13ELNS0_17block_load_methodE3ELS4_3ELS4_3ELNS0_20block_scan_algorithmE0ELj4294967295EEENS1_25partition_config_selectorILNS1_17partition_subalgoE3EjNS0_10empty_typeEbEEZZNS1_14partition_implILS8_3ELb0ES6_jNS0_17counting_iteratorIjlEEPS9_SE_NS0_5tupleIJPjSE_EEENSF_IJSE_SE_EEES9_SG_JZNS1_25segmented_radix_sort_implINS0_14default_configELb0EPKdPdPKlPlN2at6native12_GLOBAL__N_18offset_tEEE10hipError_tPvRmT1_PNSt15iterator_traitsISY_E10value_typeET2_T3_PNSZ_IS14_E10value_typeET4_jRbjT5_S1A_jjP12ihipStream_tbEUljE_EEESV_SW_SX_S14_S18_S1A_T6_T7_T9_mT8_S1C_bDpT10_ENKUlT_T0_E_clISt17integral_constantIbLb0EES1P_EEDaS1K_S1L_EUlS1K_E_NS1_11comp_targetILNS1_3genE0ELNS1_11target_archE4294967295ELNS1_3gpuE0ELNS1_3repE0EEENS1_30default_config_static_selectorELNS0_4arch9wavefront6targetE1EEEvSY_,"axG",@progbits,_ZN7rocprim17ROCPRIM_400000_NS6detail17trampoline_kernelINS0_13select_configILj256ELj13ELNS0_17block_load_methodE3ELS4_3ELS4_3ELNS0_20block_scan_algorithmE0ELj4294967295EEENS1_25partition_config_selectorILNS1_17partition_subalgoE3EjNS0_10empty_typeEbEEZZNS1_14partition_implILS8_3ELb0ES6_jNS0_17counting_iteratorIjlEEPS9_SE_NS0_5tupleIJPjSE_EEENSF_IJSE_SE_EEES9_SG_JZNS1_25segmented_radix_sort_implINS0_14default_configELb0EPKdPdPKlPlN2at6native12_GLOBAL__N_18offset_tEEE10hipError_tPvRmT1_PNSt15iterator_traitsISY_E10value_typeET2_T3_PNSZ_IS14_E10value_typeET4_jRbjT5_S1A_jjP12ihipStream_tbEUljE_EEESV_SW_SX_S14_S18_S1A_T6_T7_T9_mT8_S1C_bDpT10_ENKUlT_T0_E_clISt17integral_constantIbLb0EES1P_EEDaS1K_S1L_EUlS1K_E_NS1_11comp_targetILNS1_3genE0ELNS1_11target_archE4294967295ELNS1_3gpuE0ELNS1_3repE0EEENS1_30default_config_static_selectorELNS0_4arch9wavefront6targetE1EEEvSY_,comdat
.Lfunc_end1189:
	.size	_ZN7rocprim17ROCPRIM_400000_NS6detail17trampoline_kernelINS0_13select_configILj256ELj13ELNS0_17block_load_methodE3ELS4_3ELS4_3ELNS0_20block_scan_algorithmE0ELj4294967295EEENS1_25partition_config_selectorILNS1_17partition_subalgoE3EjNS0_10empty_typeEbEEZZNS1_14partition_implILS8_3ELb0ES6_jNS0_17counting_iteratorIjlEEPS9_SE_NS0_5tupleIJPjSE_EEENSF_IJSE_SE_EEES9_SG_JZNS1_25segmented_radix_sort_implINS0_14default_configELb0EPKdPdPKlPlN2at6native12_GLOBAL__N_18offset_tEEE10hipError_tPvRmT1_PNSt15iterator_traitsISY_E10value_typeET2_T3_PNSZ_IS14_E10value_typeET4_jRbjT5_S1A_jjP12ihipStream_tbEUljE_EEESV_SW_SX_S14_S18_S1A_T6_T7_T9_mT8_S1C_bDpT10_ENKUlT_T0_E_clISt17integral_constantIbLb0EES1P_EEDaS1K_S1L_EUlS1K_E_NS1_11comp_targetILNS1_3genE0ELNS1_11target_archE4294967295ELNS1_3gpuE0ELNS1_3repE0EEENS1_30default_config_static_selectorELNS0_4arch9wavefront6targetE1EEEvSY_, .Lfunc_end1189-_ZN7rocprim17ROCPRIM_400000_NS6detail17trampoline_kernelINS0_13select_configILj256ELj13ELNS0_17block_load_methodE3ELS4_3ELS4_3ELNS0_20block_scan_algorithmE0ELj4294967295EEENS1_25partition_config_selectorILNS1_17partition_subalgoE3EjNS0_10empty_typeEbEEZZNS1_14partition_implILS8_3ELb0ES6_jNS0_17counting_iteratorIjlEEPS9_SE_NS0_5tupleIJPjSE_EEENSF_IJSE_SE_EEES9_SG_JZNS1_25segmented_radix_sort_implINS0_14default_configELb0EPKdPdPKlPlN2at6native12_GLOBAL__N_18offset_tEEE10hipError_tPvRmT1_PNSt15iterator_traitsISY_E10value_typeET2_T3_PNSZ_IS14_E10value_typeET4_jRbjT5_S1A_jjP12ihipStream_tbEUljE_EEESV_SW_SX_S14_S18_S1A_T6_T7_T9_mT8_S1C_bDpT10_ENKUlT_T0_E_clISt17integral_constantIbLb0EES1P_EEDaS1K_S1L_EUlS1K_E_NS1_11comp_targetILNS1_3genE0ELNS1_11target_archE4294967295ELNS1_3gpuE0ELNS1_3repE0EEENS1_30default_config_static_selectorELNS0_4arch9wavefront6targetE1EEEvSY_
                                        ; -- End function
	.set _ZN7rocprim17ROCPRIM_400000_NS6detail17trampoline_kernelINS0_13select_configILj256ELj13ELNS0_17block_load_methodE3ELS4_3ELS4_3ELNS0_20block_scan_algorithmE0ELj4294967295EEENS1_25partition_config_selectorILNS1_17partition_subalgoE3EjNS0_10empty_typeEbEEZZNS1_14partition_implILS8_3ELb0ES6_jNS0_17counting_iteratorIjlEEPS9_SE_NS0_5tupleIJPjSE_EEENSF_IJSE_SE_EEES9_SG_JZNS1_25segmented_radix_sort_implINS0_14default_configELb0EPKdPdPKlPlN2at6native12_GLOBAL__N_18offset_tEEE10hipError_tPvRmT1_PNSt15iterator_traitsISY_E10value_typeET2_T3_PNSZ_IS14_E10value_typeET4_jRbjT5_S1A_jjP12ihipStream_tbEUljE_EEESV_SW_SX_S14_S18_S1A_T6_T7_T9_mT8_S1C_bDpT10_ENKUlT_T0_E_clISt17integral_constantIbLb0EES1P_EEDaS1K_S1L_EUlS1K_E_NS1_11comp_targetILNS1_3genE0ELNS1_11target_archE4294967295ELNS1_3gpuE0ELNS1_3repE0EEENS1_30default_config_static_selectorELNS0_4arch9wavefront6targetE1EEEvSY_.num_vgpr, 0
	.set _ZN7rocprim17ROCPRIM_400000_NS6detail17trampoline_kernelINS0_13select_configILj256ELj13ELNS0_17block_load_methodE3ELS4_3ELS4_3ELNS0_20block_scan_algorithmE0ELj4294967295EEENS1_25partition_config_selectorILNS1_17partition_subalgoE3EjNS0_10empty_typeEbEEZZNS1_14partition_implILS8_3ELb0ES6_jNS0_17counting_iteratorIjlEEPS9_SE_NS0_5tupleIJPjSE_EEENSF_IJSE_SE_EEES9_SG_JZNS1_25segmented_radix_sort_implINS0_14default_configELb0EPKdPdPKlPlN2at6native12_GLOBAL__N_18offset_tEEE10hipError_tPvRmT1_PNSt15iterator_traitsISY_E10value_typeET2_T3_PNSZ_IS14_E10value_typeET4_jRbjT5_S1A_jjP12ihipStream_tbEUljE_EEESV_SW_SX_S14_S18_S1A_T6_T7_T9_mT8_S1C_bDpT10_ENKUlT_T0_E_clISt17integral_constantIbLb0EES1P_EEDaS1K_S1L_EUlS1K_E_NS1_11comp_targetILNS1_3genE0ELNS1_11target_archE4294967295ELNS1_3gpuE0ELNS1_3repE0EEENS1_30default_config_static_selectorELNS0_4arch9wavefront6targetE1EEEvSY_.num_agpr, 0
	.set _ZN7rocprim17ROCPRIM_400000_NS6detail17trampoline_kernelINS0_13select_configILj256ELj13ELNS0_17block_load_methodE3ELS4_3ELS4_3ELNS0_20block_scan_algorithmE0ELj4294967295EEENS1_25partition_config_selectorILNS1_17partition_subalgoE3EjNS0_10empty_typeEbEEZZNS1_14partition_implILS8_3ELb0ES6_jNS0_17counting_iteratorIjlEEPS9_SE_NS0_5tupleIJPjSE_EEENSF_IJSE_SE_EEES9_SG_JZNS1_25segmented_radix_sort_implINS0_14default_configELb0EPKdPdPKlPlN2at6native12_GLOBAL__N_18offset_tEEE10hipError_tPvRmT1_PNSt15iterator_traitsISY_E10value_typeET2_T3_PNSZ_IS14_E10value_typeET4_jRbjT5_S1A_jjP12ihipStream_tbEUljE_EEESV_SW_SX_S14_S18_S1A_T6_T7_T9_mT8_S1C_bDpT10_ENKUlT_T0_E_clISt17integral_constantIbLb0EES1P_EEDaS1K_S1L_EUlS1K_E_NS1_11comp_targetILNS1_3genE0ELNS1_11target_archE4294967295ELNS1_3gpuE0ELNS1_3repE0EEENS1_30default_config_static_selectorELNS0_4arch9wavefront6targetE1EEEvSY_.numbered_sgpr, 0
	.set _ZN7rocprim17ROCPRIM_400000_NS6detail17trampoline_kernelINS0_13select_configILj256ELj13ELNS0_17block_load_methodE3ELS4_3ELS4_3ELNS0_20block_scan_algorithmE0ELj4294967295EEENS1_25partition_config_selectorILNS1_17partition_subalgoE3EjNS0_10empty_typeEbEEZZNS1_14partition_implILS8_3ELb0ES6_jNS0_17counting_iteratorIjlEEPS9_SE_NS0_5tupleIJPjSE_EEENSF_IJSE_SE_EEES9_SG_JZNS1_25segmented_radix_sort_implINS0_14default_configELb0EPKdPdPKlPlN2at6native12_GLOBAL__N_18offset_tEEE10hipError_tPvRmT1_PNSt15iterator_traitsISY_E10value_typeET2_T3_PNSZ_IS14_E10value_typeET4_jRbjT5_S1A_jjP12ihipStream_tbEUljE_EEESV_SW_SX_S14_S18_S1A_T6_T7_T9_mT8_S1C_bDpT10_ENKUlT_T0_E_clISt17integral_constantIbLb0EES1P_EEDaS1K_S1L_EUlS1K_E_NS1_11comp_targetILNS1_3genE0ELNS1_11target_archE4294967295ELNS1_3gpuE0ELNS1_3repE0EEENS1_30default_config_static_selectorELNS0_4arch9wavefront6targetE1EEEvSY_.num_named_barrier, 0
	.set _ZN7rocprim17ROCPRIM_400000_NS6detail17trampoline_kernelINS0_13select_configILj256ELj13ELNS0_17block_load_methodE3ELS4_3ELS4_3ELNS0_20block_scan_algorithmE0ELj4294967295EEENS1_25partition_config_selectorILNS1_17partition_subalgoE3EjNS0_10empty_typeEbEEZZNS1_14partition_implILS8_3ELb0ES6_jNS0_17counting_iteratorIjlEEPS9_SE_NS0_5tupleIJPjSE_EEENSF_IJSE_SE_EEES9_SG_JZNS1_25segmented_radix_sort_implINS0_14default_configELb0EPKdPdPKlPlN2at6native12_GLOBAL__N_18offset_tEEE10hipError_tPvRmT1_PNSt15iterator_traitsISY_E10value_typeET2_T3_PNSZ_IS14_E10value_typeET4_jRbjT5_S1A_jjP12ihipStream_tbEUljE_EEESV_SW_SX_S14_S18_S1A_T6_T7_T9_mT8_S1C_bDpT10_ENKUlT_T0_E_clISt17integral_constantIbLb0EES1P_EEDaS1K_S1L_EUlS1K_E_NS1_11comp_targetILNS1_3genE0ELNS1_11target_archE4294967295ELNS1_3gpuE0ELNS1_3repE0EEENS1_30default_config_static_selectorELNS0_4arch9wavefront6targetE1EEEvSY_.private_seg_size, 0
	.set _ZN7rocprim17ROCPRIM_400000_NS6detail17trampoline_kernelINS0_13select_configILj256ELj13ELNS0_17block_load_methodE3ELS4_3ELS4_3ELNS0_20block_scan_algorithmE0ELj4294967295EEENS1_25partition_config_selectorILNS1_17partition_subalgoE3EjNS0_10empty_typeEbEEZZNS1_14partition_implILS8_3ELb0ES6_jNS0_17counting_iteratorIjlEEPS9_SE_NS0_5tupleIJPjSE_EEENSF_IJSE_SE_EEES9_SG_JZNS1_25segmented_radix_sort_implINS0_14default_configELb0EPKdPdPKlPlN2at6native12_GLOBAL__N_18offset_tEEE10hipError_tPvRmT1_PNSt15iterator_traitsISY_E10value_typeET2_T3_PNSZ_IS14_E10value_typeET4_jRbjT5_S1A_jjP12ihipStream_tbEUljE_EEESV_SW_SX_S14_S18_S1A_T6_T7_T9_mT8_S1C_bDpT10_ENKUlT_T0_E_clISt17integral_constantIbLb0EES1P_EEDaS1K_S1L_EUlS1K_E_NS1_11comp_targetILNS1_3genE0ELNS1_11target_archE4294967295ELNS1_3gpuE0ELNS1_3repE0EEENS1_30default_config_static_selectorELNS0_4arch9wavefront6targetE1EEEvSY_.uses_vcc, 0
	.set _ZN7rocprim17ROCPRIM_400000_NS6detail17trampoline_kernelINS0_13select_configILj256ELj13ELNS0_17block_load_methodE3ELS4_3ELS4_3ELNS0_20block_scan_algorithmE0ELj4294967295EEENS1_25partition_config_selectorILNS1_17partition_subalgoE3EjNS0_10empty_typeEbEEZZNS1_14partition_implILS8_3ELb0ES6_jNS0_17counting_iteratorIjlEEPS9_SE_NS0_5tupleIJPjSE_EEENSF_IJSE_SE_EEES9_SG_JZNS1_25segmented_radix_sort_implINS0_14default_configELb0EPKdPdPKlPlN2at6native12_GLOBAL__N_18offset_tEEE10hipError_tPvRmT1_PNSt15iterator_traitsISY_E10value_typeET2_T3_PNSZ_IS14_E10value_typeET4_jRbjT5_S1A_jjP12ihipStream_tbEUljE_EEESV_SW_SX_S14_S18_S1A_T6_T7_T9_mT8_S1C_bDpT10_ENKUlT_T0_E_clISt17integral_constantIbLb0EES1P_EEDaS1K_S1L_EUlS1K_E_NS1_11comp_targetILNS1_3genE0ELNS1_11target_archE4294967295ELNS1_3gpuE0ELNS1_3repE0EEENS1_30default_config_static_selectorELNS0_4arch9wavefront6targetE1EEEvSY_.uses_flat_scratch, 0
	.set _ZN7rocprim17ROCPRIM_400000_NS6detail17trampoline_kernelINS0_13select_configILj256ELj13ELNS0_17block_load_methodE3ELS4_3ELS4_3ELNS0_20block_scan_algorithmE0ELj4294967295EEENS1_25partition_config_selectorILNS1_17partition_subalgoE3EjNS0_10empty_typeEbEEZZNS1_14partition_implILS8_3ELb0ES6_jNS0_17counting_iteratorIjlEEPS9_SE_NS0_5tupleIJPjSE_EEENSF_IJSE_SE_EEES9_SG_JZNS1_25segmented_radix_sort_implINS0_14default_configELb0EPKdPdPKlPlN2at6native12_GLOBAL__N_18offset_tEEE10hipError_tPvRmT1_PNSt15iterator_traitsISY_E10value_typeET2_T3_PNSZ_IS14_E10value_typeET4_jRbjT5_S1A_jjP12ihipStream_tbEUljE_EEESV_SW_SX_S14_S18_S1A_T6_T7_T9_mT8_S1C_bDpT10_ENKUlT_T0_E_clISt17integral_constantIbLb0EES1P_EEDaS1K_S1L_EUlS1K_E_NS1_11comp_targetILNS1_3genE0ELNS1_11target_archE4294967295ELNS1_3gpuE0ELNS1_3repE0EEENS1_30default_config_static_selectorELNS0_4arch9wavefront6targetE1EEEvSY_.has_dyn_sized_stack, 0
	.set _ZN7rocprim17ROCPRIM_400000_NS6detail17trampoline_kernelINS0_13select_configILj256ELj13ELNS0_17block_load_methodE3ELS4_3ELS4_3ELNS0_20block_scan_algorithmE0ELj4294967295EEENS1_25partition_config_selectorILNS1_17partition_subalgoE3EjNS0_10empty_typeEbEEZZNS1_14partition_implILS8_3ELb0ES6_jNS0_17counting_iteratorIjlEEPS9_SE_NS0_5tupleIJPjSE_EEENSF_IJSE_SE_EEES9_SG_JZNS1_25segmented_radix_sort_implINS0_14default_configELb0EPKdPdPKlPlN2at6native12_GLOBAL__N_18offset_tEEE10hipError_tPvRmT1_PNSt15iterator_traitsISY_E10value_typeET2_T3_PNSZ_IS14_E10value_typeET4_jRbjT5_S1A_jjP12ihipStream_tbEUljE_EEESV_SW_SX_S14_S18_S1A_T6_T7_T9_mT8_S1C_bDpT10_ENKUlT_T0_E_clISt17integral_constantIbLb0EES1P_EEDaS1K_S1L_EUlS1K_E_NS1_11comp_targetILNS1_3genE0ELNS1_11target_archE4294967295ELNS1_3gpuE0ELNS1_3repE0EEENS1_30default_config_static_selectorELNS0_4arch9wavefront6targetE1EEEvSY_.has_recursion, 0
	.set _ZN7rocprim17ROCPRIM_400000_NS6detail17trampoline_kernelINS0_13select_configILj256ELj13ELNS0_17block_load_methodE3ELS4_3ELS4_3ELNS0_20block_scan_algorithmE0ELj4294967295EEENS1_25partition_config_selectorILNS1_17partition_subalgoE3EjNS0_10empty_typeEbEEZZNS1_14partition_implILS8_3ELb0ES6_jNS0_17counting_iteratorIjlEEPS9_SE_NS0_5tupleIJPjSE_EEENSF_IJSE_SE_EEES9_SG_JZNS1_25segmented_radix_sort_implINS0_14default_configELb0EPKdPdPKlPlN2at6native12_GLOBAL__N_18offset_tEEE10hipError_tPvRmT1_PNSt15iterator_traitsISY_E10value_typeET2_T3_PNSZ_IS14_E10value_typeET4_jRbjT5_S1A_jjP12ihipStream_tbEUljE_EEESV_SW_SX_S14_S18_S1A_T6_T7_T9_mT8_S1C_bDpT10_ENKUlT_T0_E_clISt17integral_constantIbLb0EES1P_EEDaS1K_S1L_EUlS1K_E_NS1_11comp_targetILNS1_3genE0ELNS1_11target_archE4294967295ELNS1_3gpuE0ELNS1_3repE0EEENS1_30default_config_static_selectorELNS0_4arch9wavefront6targetE1EEEvSY_.has_indirect_call, 0
	.section	.AMDGPU.csdata,"",@progbits
; Kernel info:
; codeLenInByte = 0
; TotalNumSgprs: 4
; NumVgprs: 0
; ScratchSize: 0
; MemoryBound: 0
; FloatMode: 240
; IeeeMode: 1
; LDSByteSize: 0 bytes/workgroup (compile time only)
; SGPRBlocks: 0
; VGPRBlocks: 0
; NumSGPRsForWavesPerEU: 4
; NumVGPRsForWavesPerEU: 1
; Occupancy: 10
; WaveLimiterHint : 0
; COMPUTE_PGM_RSRC2:SCRATCH_EN: 0
; COMPUTE_PGM_RSRC2:USER_SGPR: 6
; COMPUTE_PGM_RSRC2:TRAP_HANDLER: 0
; COMPUTE_PGM_RSRC2:TGID_X_EN: 1
; COMPUTE_PGM_RSRC2:TGID_Y_EN: 0
; COMPUTE_PGM_RSRC2:TGID_Z_EN: 0
; COMPUTE_PGM_RSRC2:TIDIG_COMP_CNT: 0
	.section	.text._ZN7rocprim17ROCPRIM_400000_NS6detail17trampoline_kernelINS0_13select_configILj256ELj13ELNS0_17block_load_methodE3ELS4_3ELS4_3ELNS0_20block_scan_algorithmE0ELj4294967295EEENS1_25partition_config_selectorILNS1_17partition_subalgoE3EjNS0_10empty_typeEbEEZZNS1_14partition_implILS8_3ELb0ES6_jNS0_17counting_iteratorIjlEEPS9_SE_NS0_5tupleIJPjSE_EEENSF_IJSE_SE_EEES9_SG_JZNS1_25segmented_radix_sort_implINS0_14default_configELb0EPKdPdPKlPlN2at6native12_GLOBAL__N_18offset_tEEE10hipError_tPvRmT1_PNSt15iterator_traitsISY_E10value_typeET2_T3_PNSZ_IS14_E10value_typeET4_jRbjT5_S1A_jjP12ihipStream_tbEUljE_EEESV_SW_SX_S14_S18_S1A_T6_T7_T9_mT8_S1C_bDpT10_ENKUlT_T0_E_clISt17integral_constantIbLb0EES1P_EEDaS1K_S1L_EUlS1K_E_NS1_11comp_targetILNS1_3genE5ELNS1_11target_archE942ELNS1_3gpuE9ELNS1_3repE0EEENS1_30default_config_static_selectorELNS0_4arch9wavefront6targetE1EEEvSY_,"axG",@progbits,_ZN7rocprim17ROCPRIM_400000_NS6detail17trampoline_kernelINS0_13select_configILj256ELj13ELNS0_17block_load_methodE3ELS4_3ELS4_3ELNS0_20block_scan_algorithmE0ELj4294967295EEENS1_25partition_config_selectorILNS1_17partition_subalgoE3EjNS0_10empty_typeEbEEZZNS1_14partition_implILS8_3ELb0ES6_jNS0_17counting_iteratorIjlEEPS9_SE_NS0_5tupleIJPjSE_EEENSF_IJSE_SE_EEES9_SG_JZNS1_25segmented_radix_sort_implINS0_14default_configELb0EPKdPdPKlPlN2at6native12_GLOBAL__N_18offset_tEEE10hipError_tPvRmT1_PNSt15iterator_traitsISY_E10value_typeET2_T3_PNSZ_IS14_E10value_typeET4_jRbjT5_S1A_jjP12ihipStream_tbEUljE_EEESV_SW_SX_S14_S18_S1A_T6_T7_T9_mT8_S1C_bDpT10_ENKUlT_T0_E_clISt17integral_constantIbLb0EES1P_EEDaS1K_S1L_EUlS1K_E_NS1_11comp_targetILNS1_3genE5ELNS1_11target_archE942ELNS1_3gpuE9ELNS1_3repE0EEENS1_30default_config_static_selectorELNS0_4arch9wavefront6targetE1EEEvSY_,comdat
	.globl	_ZN7rocprim17ROCPRIM_400000_NS6detail17trampoline_kernelINS0_13select_configILj256ELj13ELNS0_17block_load_methodE3ELS4_3ELS4_3ELNS0_20block_scan_algorithmE0ELj4294967295EEENS1_25partition_config_selectorILNS1_17partition_subalgoE3EjNS0_10empty_typeEbEEZZNS1_14partition_implILS8_3ELb0ES6_jNS0_17counting_iteratorIjlEEPS9_SE_NS0_5tupleIJPjSE_EEENSF_IJSE_SE_EEES9_SG_JZNS1_25segmented_radix_sort_implINS0_14default_configELb0EPKdPdPKlPlN2at6native12_GLOBAL__N_18offset_tEEE10hipError_tPvRmT1_PNSt15iterator_traitsISY_E10value_typeET2_T3_PNSZ_IS14_E10value_typeET4_jRbjT5_S1A_jjP12ihipStream_tbEUljE_EEESV_SW_SX_S14_S18_S1A_T6_T7_T9_mT8_S1C_bDpT10_ENKUlT_T0_E_clISt17integral_constantIbLb0EES1P_EEDaS1K_S1L_EUlS1K_E_NS1_11comp_targetILNS1_3genE5ELNS1_11target_archE942ELNS1_3gpuE9ELNS1_3repE0EEENS1_30default_config_static_selectorELNS0_4arch9wavefront6targetE1EEEvSY_ ; -- Begin function _ZN7rocprim17ROCPRIM_400000_NS6detail17trampoline_kernelINS0_13select_configILj256ELj13ELNS0_17block_load_methodE3ELS4_3ELS4_3ELNS0_20block_scan_algorithmE0ELj4294967295EEENS1_25partition_config_selectorILNS1_17partition_subalgoE3EjNS0_10empty_typeEbEEZZNS1_14partition_implILS8_3ELb0ES6_jNS0_17counting_iteratorIjlEEPS9_SE_NS0_5tupleIJPjSE_EEENSF_IJSE_SE_EEES9_SG_JZNS1_25segmented_radix_sort_implINS0_14default_configELb0EPKdPdPKlPlN2at6native12_GLOBAL__N_18offset_tEEE10hipError_tPvRmT1_PNSt15iterator_traitsISY_E10value_typeET2_T3_PNSZ_IS14_E10value_typeET4_jRbjT5_S1A_jjP12ihipStream_tbEUljE_EEESV_SW_SX_S14_S18_S1A_T6_T7_T9_mT8_S1C_bDpT10_ENKUlT_T0_E_clISt17integral_constantIbLb0EES1P_EEDaS1K_S1L_EUlS1K_E_NS1_11comp_targetILNS1_3genE5ELNS1_11target_archE942ELNS1_3gpuE9ELNS1_3repE0EEENS1_30default_config_static_selectorELNS0_4arch9wavefront6targetE1EEEvSY_
	.p2align	8
	.type	_ZN7rocprim17ROCPRIM_400000_NS6detail17trampoline_kernelINS0_13select_configILj256ELj13ELNS0_17block_load_methodE3ELS4_3ELS4_3ELNS0_20block_scan_algorithmE0ELj4294967295EEENS1_25partition_config_selectorILNS1_17partition_subalgoE3EjNS0_10empty_typeEbEEZZNS1_14partition_implILS8_3ELb0ES6_jNS0_17counting_iteratorIjlEEPS9_SE_NS0_5tupleIJPjSE_EEENSF_IJSE_SE_EEES9_SG_JZNS1_25segmented_radix_sort_implINS0_14default_configELb0EPKdPdPKlPlN2at6native12_GLOBAL__N_18offset_tEEE10hipError_tPvRmT1_PNSt15iterator_traitsISY_E10value_typeET2_T3_PNSZ_IS14_E10value_typeET4_jRbjT5_S1A_jjP12ihipStream_tbEUljE_EEESV_SW_SX_S14_S18_S1A_T6_T7_T9_mT8_S1C_bDpT10_ENKUlT_T0_E_clISt17integral_constantIbLb0EES1P_EEDaS1K_S1L_EUlS1K_E_NS1_11comp_targetILNS1_3genE5ELNS1_11target_archE942ELNS1_3gpuE9ELNS1_3repE0EEENS1_30default_config_static_selectorELNS0_4arch9wavefront6targetE1EEEvSY_,@function
_ZN7rocprim17ROCPRIM_400000_NS6detail17trampoline_kernelINS0_13select_configILj256ELj13ELNS0_17block_load_methodE3ELS4_3ELS4_3ELNS0_20block_scan_algorithmE0ELj4294967295EEENS1_25partition_config_selectorILNS1_17partition_subalgoE3EjNS0_10empty_typeEbEEZZNS1_14partition_implILS8_3ELb0ES6_jNS0_17counting_iteratorIjlEEPS9_SE_NS0_5tupleIJPjSE_EEENSF_IJSE_SE_EEES9_SG_JZNS1_25segmented_radix_sort_implINS0_14default_configELb0EPKdPdPKlPlN2at6native12_GLOBAL__N_18offset_tEEE10hipError_tPvRmT1_PNSt15iterator_traitsISY_E10value_typeET2_T3_PNSZ_IS14_E10value_typeET4_jRbjT5_S1A_jjP12ihipStream_tbEUljE_EEESV_SW_SX_S14_S18_S1A_T6_T7_T9_mT8_S1C_bDpT10_ENKUlT_T0_E_clISt17integral_constantIbLb0EES1P_EEDaS1K_S1L_EUlS1K_E_NS1_11comp_targetILNS1_3genE5ELNS1_11target_archE942ELNS1_3gpuE9ELNS1_3repE0EEENS1_30default_config_static_selectorELNS0_4arch9wavefront6targetE1EEEvSY_: ; @_ZN7rocprim17ROCPRIM_400000_NS6detail17trampoline_kernelINS0_13select_configILj256ELj13ELNS0_17block_load_methodE3ELS4_3ELS4_3ELNS0_20block_scan_algorithmE0ELj4294967295EEENS1_25partition_config_selectorILNS1_17partition_subalgoE3EjNS0_10empty_typeEbEEZZNS1_14partition_implILS8_3ELb0ES6_jNS0_17counting_iteratorIjlEEPS9_SE_NS0_5tupleIJPjSE_EEENSF_IJSE_SE_EEES9_SG_JZNS1_25segmented_radix_sort_implINS0_14default_configELb0EPKdPdPKlPlN2at6native12_GLOBAL__N_18offset_tEEE10hipError_tPvRmT1_PNSt15iterator_traitsISY_E10value_typeET2_T3_PNSZ_IS14_E10value_typeET4_jRbjT5_S1A_jjP12ihipStream_tbEUljE_EEESV_SW_SX_S14_S18_S1A_T6_T7_T9_mT8_S1C_bDpT10_ENKUlT_T0_E_clISt17integral_constantIbLb0EES1P_EEDaS1K_S1L_EUlS1K_E_NS1_11comp_targetILNS1_3genE5ELNS1_11target_archE942ELNS1_3gpuE9ELNS1_3repE0EEENS1_30default_config_static_selectorELNS0_4arch9wavefront6targetE1EEEvSY_
; %bb.0:
	.section	.rodata,"a",@progbits
	.p2align	6, 0x0
	.amdhsa_kernel _ZN7rocprim17ROCPRIM_400000_NS6detail17trampoline_kernelINS0_13select_configILj256ELj13ELNS0_17block_load_methodE3ELS4_3ELS4_3ELNS0_20block_scan_algorithmE0ELj4294967295EEENS1_25partition_config_selectorILNS1_17partition_subalgoE3EjNS0_10empty_typeEbEEZZNS1_14partition_implILS8_3ELb0ES6_jNS0_17counting_iteratorIjlEEPS9_SE_NS0_5tupleIJPjSE_EEENSF_IJSE_SE_EEES9_SG_JZNS1_25segmented_radix_sort_implINS0_14default_configELb0EPKdPdPKlPlN2at6native12_GLOBAL__N_18offset_tEEE10hipError_tPvRmT1_PNSt15iterator_traitsISY_E10value_typeET2_T3_PNSZ_IS14_E10value_typeET4_jRbjT5_S1A_jjP12ihipStream_tbEUljE_EEESV_SW_SX_S14_S18_S1A_T6_T7_T9_mT8_S1C_bDpT10_ENKUlT_T0_E_clISt17integral_constantIbLb0EES1P_EEDaS1K_S1L_EUlS1K_E_NS1_11comp_targetILNS1_3genE5ELNS1_11target_archE942ELNS1_3gpuE9ELNS1_3repE0EEENS1_30default_config_static_selectorELNS0_4arch9wavefront6targetE1EEEvSY_
		.amdhsa_group_segment_fixed_size 0
		.amdhsa_private_segment_fixed_size 0
		.amdhsa_kernarg_size 144
		.amdhsa_user_sgpr_count 6
		.amdhsa_user_sgpr_private_segment_buffer 1
		.amdhsa_user_sgpr_dispatch_ptr 0
		.amdhsa_user_sgpr_queue_ptr 0
		.amdhsa_user_sgpr_kernarg_segment_ptr 1
		.amdhsa_user_sgpr_dispatch_id 0
		.amdhsa_user_sgpr_flat_scratch_init 0
		.amdhsa_user_sgpr_private_segment_size 0
		.amdhsa_uses_dynamic_stack 0
		.amdhsa_system_sgpr_private_segment_wavefront_offset 0
		.amdhsa_system_sgpr_workgroup_id_x 1
		.amdhsa_system_sgpr_workgroup_id_y 0
		.amdhsa_system_sgpr_workgroup_id_z 0
		.amdhsa_system_sgpr_workgroup_info 0
		.amdhsa_system_vgpr_workitem_id 0
		.amdhsa_next_free_vgpr 1
		.amdhsa_next_free_sgpr 0
		.amdhsa_reserve_vcc 0
		.amdhsa_reserve_flat_scratch 0
		.amdhsa_float_round_mode_32 0
		.amdhsa_float_round_mode_16_64 0
		.amdhsa_float_denorm_mode_32 3
		.amdhsa_float_denorm_mode_16_64 3
		.amdhsa_dx10_clamp 1
		.amdhsa_ieee_mode 1
		.amdhsa_fp16_overflow 0
		.amdhsa_exception_fp_ieee_invalid_op 0
		.amdhsa_exception_fp_denorm_src 0
		.amdhsa_exception_fp_ieee_div_zero 0
		.amdhsa_exception_fp_ieee_overflow 0
		.amdhsa_exception_fp_ieee_underflow 0
		.amdhsa_exception_fp_ieee_inexact 0
		.amdhsa_exception_int_div_zero 0
	.end_amdhsa_kernel
	.section	.text._ZN7rocprim17ROCPRIM_400000_NS6detail17trampoline_kernelINS0_13select_configILj256ELj13ELNS0_17block_load_methodE3ELS4_3ELS4_3ELNS0_20block_scan_algorithmE0ELj4294967295EEENS1_25partition_config_selectorILNS1_17partition_subalgoE3EjNS0_10empty_typeEbEEZZNS1_14partition_implILS8_3ELb0ES6_jNS0_17counting_iteratorIjlEEPS9_SE_NS0_5tupleIJPjSE_EEENSF_IJSE_SE_EEES9_SG_JZNS1_25segmented_radix_sort_implINS0_14default_configELb0EPKdPdPKlPlN2at6native12_GLOBAL__N_18offset_tEEE10hipError_tPvRmT1_PNSt15iterator_traitsISY_E10value_typeET2_T3_PNSZ_IS14_E10value_typeET4_jRbjT5_S1A_jjP12ihipStream_tbEUljE_EEESV_SW_SX_S14_S18_S1A_T6_T7_T9_mT8_S1C_bDpT10_ENKUlT_T0_E_clISt17integral_constantIbLb0EES1P_EEDaS1K_S1L_EUlS1K_E_NS1_11comp_targetILNS1_3genE5ELNS1_11target_archE942ELNS1_3gpuE9ELNS1_3repE0EEENS1_30default_config_static_selectorELNS0_4arch9wavefront6targetE1EEEvSY_,"axG",@progbits,_ZN7rocprim17ROCPRIM_400000_NS6detail17trampoline_kernelINS0_13select_configILj256ELj13ELNS0_17block_load_methodE3ELS4_3ELS4_3ELNS0_20block_scan_algorithmE0ELj4294967295EEENS1_25partition_config_selectorILNS1_17partition_subalgoE3EjNS0_10empty_typeEbEEZZNS1_14partition_implILS8_3ELb0ES6_jNS0_17counting_iteratorIjlEEPS9_SE_NS0_5tupleIJPjSE_EEENSF_IJSE_SE_EEES9_SG_JZNS1_25segmented_radix_sort_implINS0_14default_configELb0EPKdPdPKlPlN2at6native12_GLOBAL__N_18offset_tEEE10hipError_tPvRmT1_PNSt15iterator_traitsISY_E10value_typeET2_T3_PNSZ_IS14_E10value_typeET4_jRbjT5_S1A_jjP12ihipStream_tbEUljE_EEESV_SW_SX_S14_S18_S1A_T6_T7_T9_mT8_S1C_bDpT10_ENKUlT_T0_E_clISt17integral_constantIbLb0EES1P_EEDaS1K_S1L_EUlS1K_E_NS1_11comp_targetILNS1_3genE5ELNS1_11target_archE942ELNS1_3gpuE9ELNS1_3repE0EEENS1_30default_config_static_selectorELNS0_4arch9wavefront6targetE1EEEvSY_,comdat
.Lfunc_end1190:
	.size	_ZN7rocprim17ROCPRIM_400000_NS6detail17trampoline_kernelINS0_13select_configILj256ELj13ELNS0_17block_load_methodE3ELS4_3ELS4_3ELNS0_20block_scan_algorithmE0ELj4294967295EEENS1_25partition_config_selectorILNS1_17partition_subalgoE3EjNS0_10empty_typeEbEEZZNS1_14partition_implILS8_3ELb0ES6_jNS0_17counting_iteratorIjlEEPS9_SE_NS0_5tupleIJPjSE_EEENSF_IJSE_SE_EEES9_SG_JZNS1_25segmented_radix_sort_implINS0_14default_configELb0EPKdPdPKlPlN2at6native12_GLOBAL__N_18offset_tEEE10hipError_tPvRmT1_PNSt15iterator_traitsISY_E10value_typeET2_T3_PNSZ_IS14_E10value_typeET4_jRbjT5_S1A_jjP12ihipStream_tbEUljE_EEESV_SW_SX_S14_S18_S1A_T6_T7_T9_mT8_S1C_bDpT10_ENKUlT_T0_E_clISt17integral_constantIbLb0EES1P_EEDaS1K_S1L_EUlS1K_E_NS1_11comp_targetILNS1_3genE5ELNS1_11target_archE942ELNS1_3gpuE9ELNS1_3repE0EEENS1_30default_config_static_selectorELNS0_4arch9wavefront6targetE1EEEvSY_, .Lfunc_end1190-_ZN7rocprim17ROCPRIM_400000_NS6detail17trampoline_kernelINS0_13select_configILj256ELj13ELNS0_17block_load_methodE3ELS4_3ELS4_3ELNS0_20block_scan_algorithmE0ELj4294967295EEENS1_25partition_config_selectorILNS1_17partition_subalgoE3EjNS0_10empty_typeEbEEZZNS1_14partition_implILS8_3ELb0ES6_jNS0_17counting_iteratorIjlEEPS9_SE_NS0_5tupleIJPjSE_EEENSF_IJSE_SE_EEES9_SG_JZNS1_25segmented_radix_sort_implINS0_14default_configELb0EPKdPdPKlPlN2at6native12_GLOBAL__N_18offset_tEEE10hipError_tPvRmT1_PNSt15iterator_traitsISY_E10value_typeET2_T3_PNSZ_IS14_E10value_typeET4_jRbjT5_S1A_jjP12ihipStream_tbEUljE_EEESV_SW_SX_S14_S18_S1A_T6_T7_T9_mT8_S1C_bDpT10_ENKUlT_T0_E_clISt17integral_constantIbLb0EES1P_EEDaS1K_S1L_EUlS1K_E_NS1_11comp_targetILNS1_3genE5ELNS1_11target_archE942ELNS1_3gpuE9ELNS1_3repE0EEENS1_30default_config_static_selectorELNS0_4arch9wavefront6targetE1EEEvSY_
                                        ; -- End function
	.set _ZN7rocprim17ROCPRIM_400000_NS6detail17trampoline_kernelINS0_13select_configILj256ELj13ELNS0_17block_load_methodE3ELS4_3ELS4_3ELNS0_20block_scan_algorithmE0ELj4294967295EEENS1_25partition_config_selectorILNS1_17partition_subalgoE3EjNS0_10empty_typeEbEEZZNS1_14partition_implILS8_3ELb0ES6_jNS0_17counting_iteratorIjlEEPS9_SE_NS0_5tupleIJPjSE_EEENSF_IJSE_SE_EEES9_SG_JZNS1_25segmented_radix_sort_implINS0_14default_configELb0EPKdPdPKlPlN2at6native12_GLOBAL__N_18offset_tEEE10hipError_tPvRmT1_PNSt15iterator_traitsISY_E10value_typeET2_T3_PNSZ_IS14_E10value_typeET4_jRbjT5_S1A_jjP12ihipStream_tbEUljE_EEESV_SW_SX_S14_S18_S1A_T6_T7_T9_mT8_S1C_bDpT10_ENKUlT_T0_E_clISt17integral_constantIbLb0EES1P_EEDaS1K_S1L_EUlS1K_E_NS1_11comp_targetILNS1_3genE5ELNS1_11target_archE942ELNS1_3gpuE9ELNS1_3repE0EEENS1_30default_config_static_selectorELNS0_4arch9wavefront6targetE1EEEvSY_.num_vgpr, 0
	.set _ZN7rocprim17ROCPRIM_400000_NS6detail17trampoline_kernelINS0_13select_configILj256ELj13ELNS0_17block_load_methodE3ELS4_3ELS4_3ELNS0_20block_scan_algorithmE0ELj4294967295EEENS1_25partition_config_selectorILNS1_17partition_subalgoE3EjNS0_10empty_typeEbEEZZNS1_14partition_implILS8_3ELb0ES6_jNS0_17counting_iteratorIjlEEPS9_SE_NS0_5tupleIJPjSE_EEENSF_IJSE_SE_EEES9_SG_JZNS1_25segmented_radix_sort_implINS0_14default_configELb0EPKdPdPKlPlN2at6native12_GLOBAL__N_18offset_tEEE10hipError_tPvRmT1_PNSt15iterator_traitsISY_E10value_typeET2_T3_PNSZ_IS14_E10value_typeET4_jRbjT5_S1A_jjP12ihipStream_tbEUljE_EEESV_SW_SX_S14_S18_S1A_T6_T7_T9_mT8_S1C_bDpT10_ENKUlT_T0_E_clISt17integral_constantIbLb0EES1P_EEDaS1K_S1L_EUlS1K_E_NS1_11comp_targetILNS1_3genE5ELNS1_11target_archE942ELNS1_3gpuE9ELNS1_3repE0EEENS1_30default_config_static_selectorELNS0_4arch9wavefront6targetE1EEEvSY_.num_agpr, 0
	.set _ZN7rocprim17ROCPRIM_400000_NS6detail17trampoline_kernelINS0_13select_configILj256ELj13ELNS0_17block_load_methodE3ELS4_3ELS4_3ELNS0_20block_scan_algorithmE0ELj4294967295EEENS1_25partition_config_selectorILNS1_17partition_subalgoE3EjNS0_10empty_typeEbEEZZNS1_14partition_implILS8_3ELb0ES6_jNS0_17counting_iteratorIjlEEPS9_SE_NS0_5tupleIJPjSE_EEENSF_IJSE_SE_EEES9_SG_JZNS1_25segmented_radix_sort_implINS0_14default_configELb0EPKdPdPKlPlN2at6native12_GLOBAL__N_18offset_tEEE10hipError_tPvRmT1_PNSt15iterator_traitsISY_E10value_typeET2_T3_PNSZ_IS14_E10value_typeET4_jRbjT5_S1A_jjP12ihipStream_tbEUljE_EEESV_SW_SX_S14_S18_S1A_T6_T7_T9_mT8_S1C_bDpT10_ENKUlT_T0_E_clISt17integral_constantIbLb0EES1P_EEDaS1K_S1L_EUlS1K_E_NS1_11comp_targetILNS1_3genE5ELNS1_11target_archE942ELNS1_3gpuE9ELNS1_3repE0EEENS1_30default_config_static_selectorELNS0_4arch9wavefront6targetE1EEEvSY_.numbered_sgpr, 0
	.set _ZN7rocprim17ROCPRIM_400000_NS6detail17trampoline_kernelINS0_13select_configILj256ELj13ELNS0_17block_load_methodE3ELS4_3ELS4_3ELNS0_20block_scan_algorithmE0ELj4294967295EEENS1_25partition_config_selectorILNS1_17partition_subalgoE3EjNS0_10empty_typeEbEEZZNS1_14partition_implILS8_3ELb0ES6_jNS0_17counting_iteratorIjlEEPS9_SE_NS0_5tupleIJPjSE_EEENSF_IJSE_SE_EEES9_SG_JZNS1_25segmented_radix_sort_implINS0_14default_configELb0EPKdPdPKlPlN2at6native12_GLOBAL__N_18offset_tEEE10hipError_tPvRmT1_PNSt15iterator_traitsISY_E10value_typeET2_T3_PNSZ_IS14_E10value_typeET4_jRbjT5_S1A_jjP12ihipStream_tbEUljE_EEESV_SW_SX_S14_S18_S1A_T6_T7_T9_mT8_S1C_bDpT10_ENKUlT_T0_E_clISt17integral_constantIbLb0EES1P_EEDaS1K_S1L_EUlS1K_E_NS1_11comp_targetILNS1_3genE5ELNS1_11target_archE942ELNS1_3gpuE9ELNS1_3repE0EEENS1_30default_config_static_selectorELNS0_4arch9wavefront6targetE1EEEvSY_.num_named_barrier, 0
	.set _ZN7rocprim17ROCPRIM_400000_NS6detail17trampoline_kernelINS0_13select_configILj256ELj13ELNS0_17block_load_methodE3ELS4_3ELS4_3ELNS0_20block_scan_algorithmE0ELj4294967295EEENS1_25partition_config_selectorILNS1_17partition_subalgoE3EjNS0_10empty_typeEbEEZZNS1_14partition_implILS8_3ELb0ES6_jNS0_17counting_iteratorIjlEEPS9_SE_NS0_5tupleIJPjSE_EEENSF_IJSE_SE_EEES9_SG_JZNS1_25segmented_radix_sort_implINS0_14default_configELb0EPKdPdPKlPlN2at6native12_GLOBAL__N_18offset_tEEE10hipError_tPvRmT1_PNSt15iterator_traitsISY_E10value_typeET2_T3_PNSZ_IS14_E10value_typeET4_jRbjT5_S1A_jjP12ihipStream_tbEUljE_EEESV_SW_SX_S14_S18_S1A_T6_T7_T9_mT8_S1C_bDpT10_ENKUlT_T0_E_clISt17integral_constantIbLb0EES1P_EEDaS1K_S1L_EUlS1K_E_NS1_11comp_targetILNS1_3genE5ELNS1_11target_archE942ELNS1_3gpuE9ELNS1_3repE0EEENS1_30default_config_static_selectorELNS0_4arch9wavefront6targetE1EEEvSY_.private_seg_size, 0
	.set _ZN7rocprim17ROCPRIM_400000_NS6detail17trampoline_kernelINS0_13select_configILj256ELj13ELNS0_17block_load_methodE3ELS4_3ELS4_3ELNS0_20block_scan_algorithmE0ELj4294967295EEENS1_25partition_config_selectorILNS1_17partition_subalgoE3EjNS0_10empty_typeEbEEZZNS1_14partition_implILS8_3ELb0ES6_jNS0_17counting_iteratorIjlEEPS9_SE_NS0_5tupleIJPjSE_EEENSF_IJSE_SE_EEES9_SG_JZNS1_25segmented_radix_sort_implINS0_14default_configELb0EPKdPdPKlPlN2at6native12_GLOBAL__N_18offset_tEEE10hipError_tPvRmT1_PNSt15iterator_traitsISY_E10value_typeET2_T3_PNSZ_IS14_E10value_typeET4_jRbjT5_S1A_jjP12ihipStream_tbEUljE_EEESV_SW_SX_S14_S18_S1A_T6_T7_T9_mT8_S1C_bDpT10_ENKUlT_T0_E_clISt17integral_constantIbLb0EES1P_EEDaS1K_S1L_EUlS1K_E_NS1_11comp_targetILNS1_3genE5ELNS1_11target_archE942ELNS1_3gpuE9ELNS1_3repE0EEENS1_30default_config_static_selectorELNS0_4arch9wavefront6targetE1EEEvSY_.uses_vcc, 0
	.set _ZN7rocprim17ROCPRIM_400000_NS6detail17trampoline_kernelINS0_13select_configILj256ELj13ELNS0_17block_load_methodE3ELS4_3ELS4_3ELNS0_20block_scan_algorithmE0ELj4294967295EEENS1_25partition_config_selectorILNS1_17partition_subalgoE3EjNS0_10empty_typeEbEEZZNS1_14partition_implILS8_3ELb0ES6_jNS0_17counting_iteratorIjlEEPS9_SE_NS0_5tupleIJPjSE_EEENSF_IJSE_SE_EEES9_SG_JZNS1_25segmented_radix_sort_implINS0_14default_configELb0EPKdPdPKlPlN2at6native12_GLOBAL__N_18offset_tEEE10hipError_tPvRmT1_PNSt15iterator_traitsISY_E10value_typeET2_T3_PNSZ_IS14_E10value_typeET4_jRbjT5_S1A_jjP12ihipStream_tbEUljE_EEESV_SW_SX_S14_S18_S1A_T6_T7_T9_mT8_S1C_bDpT10_ENKUlT_T0_E_clISt17integral_constantIbLb0EES1P_EEDaS1K_S1L_EUlS1K_E_NS1_11comp_targetILNS1_3genE5ELNS1_11target_archE942ELNS1_3gpuE9ELNS1_3repE0EEENS1_30default_config_static_selectorELNS0_4arch9wavefront6targetE1EEEvSY_.uses_flat_scratch, 0
	.set _ZN7rocprim17ROCPRIM_400000_NS6detail17trampoline_kernelINS0_13select_configILj256ELj13ELNS0_17block_load_methodE3ELS4_3ELS4_3ELNS0_20block_scan_algorithmE0ELj4294967295EEENS1_25partition_config_selectorILNS1_17partition_subalgoE3EjNS0_10empty_typeEbEEZZNS1_14partition_implILS8_3ELb0ES6_jNS0_17counting_iteratorIjlEEPS9_SE_NS0_5tupleIJPjSE_EEENSF_IJSE_SE_EEES9_SG_JZNS1_25segmented_radix_sort_implINS0_14default_configELb0EPKdPdPKlPlN2at6native12_GLOBAL__N_18offset_tEEE10hipError_tPvRmT1_PNSt15iterator_traitsISY_E10value_typeET2_T3_PNSZ_IS14_E10value_typeET4_jRbjT5_S1A_jjP12ihipStream_tbEUljE_EEESV_SW_SX_S14_S18_S1A_T6_T7_T9_mT8_S1C_bDpT10_ENKUlT_T0_E_clISt17integral_constantIbLb0EES1P_EEDaS1K_S1L_EUlS1K_E_NS1_11comp_targetILNS1_3genE5ELNS1_11target_archE942ELNS1_3gpuE9ELNS1_3repE0EEENS1_30default_config_static_selectorELNS0_4arch9wavefront6targetE1EEEvSY_.has_dyn_sized_stack, 0
	.set _ZN7rocprim17ROCPRIM_400000_NS6detail17trampoline_kernelINS0_13select_configILj256ELj13ELNS0_17block_load_methodE3ELS4_3ELS4_3ELNS0_20block_scan_algorithmE0ELj4294967295EEENS1_25partition_config_selectorILNS1_17partition_subalgoE3EjNS0_10empty_typeEbEEZZNS1_14partition_implILS8_3ELb0ES6_jNS0_17counting_iteratorIjlEEPS9_SE_NS0_5tupleIJPjSE_EEENSF_IJSE_SE_EEES9_SG_JZNS1_25segmented_radix_sort_implINS0_14default_configELb0EPKdPdPKlPlN2at6native12_GLOBAL__N_18offset_tEEE10hipError_tPvRmT1_PNSt15iterator_traitsISY_E10value_typeET2_T3_PNSZ_IS14_E10value_typeET4_jRbjT5_S1A_jjP12ihipStream_tbEUljE_EEESV_SW_SX_S14_S18_S1A_T6_T7_T9_mT8_S1C_bDpT10_ENKUlT_T0_E_clISt17integral_constantIbLb0EES1P_EEDaS1K_S1L_EUlS1K_E_NS1_11comp_targetILNS1_3genE5ELNS1_11target_archE942ELNS1_3gpuE9ELNS1_3repE0EEENS1_30default_config_static_selectorELNS0_4arch9wavefront6targetE1EEEvSY_.has_recursion, 0
	.set _ZN7rocprim17ROCPRIM_400000_NS6detail17trampoline_kernelINS0_13select_configILj256ELj13ELNS0_17block_load_methodE3ELS4_3ELS4_3ELNS0_20block_scan_algorithmE0ELj4294967295EEENS1_25partition_config_selectorILNS1_17partition_subalgoE3EjNS0_10empty_typeEbEEZZNS1_14partition_implILS8_3ELb0ES6_jNS0_17counting_iteratorIjlEEPS9_SE_NS0_5tupleIJPjSE_EEENSF_IJSE_SE_EEES9_SG_JZNS1_25segmented_radix_sort_implINS0_14default_configELb0EPKdPdPKlPlN2at6native12_GLOBAL__N_18offset_tEEE10hipError_tPvRmT1_PNSt15iterator_traitsISY_E10value_typeET2_T3_PNSZ_IS14_E10value_typeET4_jRbjT5_S1A_jjP12ihipStream_tbEUljE_EEESV_SW_SX_S14_S18_S1A_T6_T7_T9_mT8_S1C_bDpT10_ENKUlT_T0_E_clISt17integral_constantIbLb0EES1P_EEDaS1K_S1L_EUlS1K_E_NS1_11comp_targetILNS1_3genE5ELNS1_11target_archE942ELNS1_3gpuE9ELNS1_3repE0EEENS1_30default_config_static_selectorELNS0_4arch9wavefront6targetE1EEEvSY_.has_indirect_call, 0
	.section	.AMDGPU.csdata,"",@progbits
; Kernel info:
; codeLenInByte = 0
; TotalNumSgprs: 4
; NumVgprs: 0
; ScratchSize: 0
; MemoryBound: 0
; FloatMode: 240
; IeeeMode: 1
; LDSByteSize: 0 bytes/workgroup (compile time only)
; SGPRBlocks: 0
; VGPRBlocks: 0
; NumSGPRsForWavesPerEU: 4
; NumVGPRsForWavesPerEU: 1
; Occupancy: 10
; WaveLimiterHint : 0
; COMPUTE_PGM_RSRC2:SCRATCH_EN: 0
; COMPUTE_PGM_RSRC2:USER_SGPR: 6
; COMPUTE_PGM_RSRC2:TRAP_HANDLER: 0
; COMPUTE_PGM_RSRC2:TGID_X_EN: 1
; COMPUTE_PGM_RSRC2:TGID_Y_EN: 0
; COMPUTE_PGM_RSRC2:TGID_Z_EN: 0
; COMPUTE_PGM_RSRC2:TIDIG_COMP_CNT: 0
	.section	.text._ZN7rocprim17ROCPRIM_400000_NS6detail17trampoline_kernelINS0_13select_configILj256ELj13ELNS0_17block_load_methodE3ELS4_3ELS4_3ELNS0_20block_scan_algorithmE0ELj4294967295EEENS1_25partition_config_selectorILNS1_17partition_subalgoE3EjNS0_10empty_typeEbEEZZNS1_14partition_implILS8_3ELb0ES6_jNS0_17counting_iteratorIjlEEPS9_SE_NS0_5tupleIJPjSE_EEENSF_IJSE_SE_EEES9_SG_JZNS1_25segmented_radix_sort_implINS0_14default_configELb0EPKdPdPKlPlN2at6native12_GLOBAL__N_18offset_tEEE10hipError_tPvRmT1_PNSt15iterator_traitsISY_E10value_typeET2_T3_PNSZ_IS14_E10value_typeET4_jRbjT5_S1A_jjP12ihipStream_tbEUljE_EEESV_SW_SX_S14_S18_S1A_T6_T7_T9_mT8_S1C_bDpT10_ENKUlT_T0_E_clISt17integral_constantIbLb0EES1P_EEDaS1K_S1L_EUlS1K_E_NS1_11comp_targetILNS1_3genE4ELNS1_11target_archE910ELNS1_3gpuE8ELNS1_3repE0EEENS1_30default_config_static_selectorELNS0_4arch9wavefront6targetE1EEEvSY_,"axG",@progbits,_ZN7rocprim17ROCPRIM_400000_NS6detail17trampoline_kernelINS0_13select_configILj256ELj13ELNS0_17block_load_methodE3ELS4_3ELS4_3ELNS0_20block_scan_algorithmE0ELj4294967295EEENS1_25partition_config_selectorILNS1_17partition_subalgoE3EjNS0_10empty_typeEbEEZZNS1_14partition_implILS8_3ELb0ES6_jNS0_17counting_iteratorIjlEEPS9_SE_NS0_5tupleIJPjSE_EEENSF_IJSE_SE_EEES9_SG_JZNS1_25segmented_radix_sort_implINS0_14default_configELb0EPKdPdPKlPlN2at6native12_GLOBAL__N_18offset_tEEE10hipError_tPvRmT1_PNSt15iterator_traitsISY_E10value_typeET2_T3_PNSZ_IS14_E10value_typeET4_jRbjT5_S1A_jjP12ihipStream_tbEUljE_EEESV_SW_SX_S14_S18_S1A_T6_T7_T9_mT8_S1C_bDpT10_ENKUlT_T0_E_clISt17integral_constantIbLb0EES1P_EEDaS1K_S1L_EUlS1K_E_NS1_11comp_targetILNS1_3genE4ELNS1_11target_archE910ELNS1_3gpuE8ELNS1_3repE0EEENS1_30default_config_static_selectorELNS0_4arch9wavefront6targetE1EEEvSY_,comdat
	.globl	_ZN7rocprim17ROCPRIM_400000_NS6detail17trampoline_kernelINS0_13select_configILj256ELj13ELNS0_17block_load_methodE3ELS4_3ELS4_3ELNS0_20block_scan_algorithmE0ELj4294967295EEENS1_25partition_config_selectorILNS1_17partition_subalgoE3EjNS0_10empty_typeEbEEZZNS1_14partition_implILS8_3ELb0ES6_jNS0_17counting_iteratorIjlEEPS9_SE_NS0_5tupleIJPjSE_EEENSF_IJSE_SE_EEES9_SG_JZNS1_25segmented_radix_sort_implINS0_14default_configELb0EPKdPdPKlPlN2at6native12_GLOBAL__N_18offset_tEEE10hipError_tPvRmT1_PNSt15iterator_traitsISY_E10value_typeET2_T3_PNSZ_IS14_E10value_typeET4_jRbjT5_S1A_jjP12ihipStream_tbEUljE_EEESV_SW_SX_S14_S18_S1A_T6_T7_T9_mT8_S1C_bDpT10_ENKUlT_T0_E_clISt17integral_constantIbLb0EES1P_EEDaS1K_S1L_EUlS1K_E_NS1_11comp_targetILNS1_3genE4ELNS1_11target_archE910ELNS1_3gpuE8ELNS1_3repE0EEENS1_30default_config_static_selectorELNS0_4arch9wavefront6targetE1EEEvSY_ ; -- Begin function _ZN7rocprim17ROCPRIM_400000_NS6detail17trampoline_kernelINS0_13select_configILj256ELj13ELNS0_17block_load_methodE3ELS4_3ELS4_3ELNS0_20block_scan_algorithmE0ELj4294967295EEENS1_25partition_config_selectorILNS1_17partition_subalgoE3EjNS0_10empty_typeEbEEZZNS1_14partition_implILS8_3ELb0ES6_jNS0_17counting_iteratorIjlEEPS9_SE_NS0_5tupleIJPjSE_EEENSF_IJSE_SE_EEES9_SG_JZNS1_25segmented_radix_sort_implINS0_14default_configELb0EPKdPdPKlPlN2at6native12_GLOBAL__N_18offset_tEEE10hipError_tPvRmT1_PNSt15iterator_traitsISY_E10value_typeET2_T3_PNSZ_IS14_E10value_typeET4_jRbjT5_S1A_jjP12ihipStream_tbEUljE_EEESV_SW_SX_S14_S18_S1A_T6_T7_T9_mT8_S1C_bDpT10_ENKUlT_T0_E_clISt17integral_constantIbLb0EES1P_EEDaS1K_S1L_EUlS1K_E_NS1_11comp_targetILNS1_3genE4ELNS1_11target_archE910ELNS1_3gpuE8ELNS1_3repE0EEENS1_30default_config_static_selectorELNS0_4arch9wavefront6targetE1EEEvSY_
	.p2align	8
	.type	_ZN7rocprim17ROCPRIM_400000_NS6detail17trampoline_kernelINS0_13select_configILj256ELj13ELNS0_17block_load_methodE3ELS4_3ELS4_3ELNS0_20block_scan_algorithmE0ELj4294967295EEENS1_25partition_config_selectorILNS1_17partition_subalgoE3EjNS0_10empty_typeEbEEZZNS1_14partition_implILS8_3ELb0ES6_jNS0_17counting_iteratorIjlEEPS9_SE_NS0_5tupleIJPjSE_EEENSF_IJSE_SE_EEES9_SG_JZNS1_25segmented_radix_sort_implINS0_14default_configELb0EPKdPdPKlPlN2at6native12_GLOBAL__N_18offset_tEEE10hipError_tPvRmT1_PNSt15iterator_traitsISY_E10value_typeET2_T3_PNSZ_IS14_E10value_typeET4_jRbjT5_S1A_jjP12ihipStream_tbEUljE_EEESV_SW_SX_S14_S18_S1A_T6_T7_T9_mT8_S1C_bDpT10_ENKUlT_T0_E_clISt17integral_constantIbLb0EES1P_EEDaS1K_S1L_EUlS1K_E_NS1_11comp_targetILNS1_3genE4ELNS1_11target_archE910ELNS1_3gpuE8ELNS1_3repE0EEENS1_30default_config_static_selectorELNS0_4arch9wavefront6targetE1EEEvSY_,@function
_ZN7rocprim17ROCPRIM_400000_NS6detail17trampoline_kernelINS0_13select_configILj256ELj13ELNS0_17block_load_methodE3ELS4_3ELS4_3ELNS0_20block_scan_algorithmE0ELj4294967295EEENS1_25partition_config_selectorILNS1_17partition_subalgoE3EjNS0_10empty_typeEbEEZZNS1_14partition_implILS8_3ELb0ES6_jNS0_17counting_iteratorIjlEEPS9_SE_NS0_5tupleIJPjSE_EEENSF_IJSE_SE_EEES9_SG_JZNS1_25segmented_radix_sort_implINS0_14default_configELb0EPKdPdPKlPlN2at6native12_GLOBAL__N_18offset_tEEE10hipError_tPvRmT1_PNSt15iterator_traitsISY_E10value_typeET2_T3_PNSZ_IS14_E10value_typeET4_jRbjT5_S1A_jjP12ihipStream_tbEUljE_EEESV_SW_SX_S14_S18_S1A_T6_T7_T9_mT8_S1C_bDpT10_ENKUlT_T0_E_clISt17integral_constantIbLb0EES1P_EEDaS1K_S1L_EUlS1K_E_NS1_11comp_targetILNS1_3genE4ELNS1_11target_archE910ELNS1_3gpuE8ELNS1_3repE0EEENS1_30default_config_static_selectorELNS0_4arch9wavefront6targetE1EEEvSY_: ; @_ZN7rocprim17ROCPRIM_400000_NS6detail17trampoline_kernelINS0_13select_configILj256ELj13ELNS0_17block_load_methodE3ELS4_3ELS4_3ELNS0_20block_scan_algorithmE0ELj4294967295EEENS1_25partition_config_selectorILNS1_17partition_subalgoE3EjNS0_10empty_typeEbEEZZNS1_14partition_implILS8_3ELb0ES6_jNS0_17counting_iteratorIjlEEPS9_SE_NS0_5tupleIJPjSE_EEENSF_IJSE_SE_EEES9_SG_JZNS1_25segmented_radix_sort_implINS0_14default_configELb0EPKdPdPKlPlN2at6native12_GLOBAL__N_18offset_tEEE10hipError_tPvRmT1_PNSt15iterator_traitsISY_E10value_typeET2_T3_PNSZ_IS14_E10value_typeET4_jRbjT5_S1A_jjP12ihipStream_tbEUljE_EEESV_SW_SX_S14_S18_S1A_T6_T7_T9_mT8_S1C_bDpT10_ENKUlT_T0_E_clISt17integral_constantIbLb0EES1P_EEDaS1K_S1L_EUlS1K_E_NS1_11comp_targetILNS1_3genE4ELNS1_11target_archE910ELNS1_3gpuE8ELNS1_3repE0EEENS1_30default_config_static_selectorELNS0_4arch9wavefront6targetE1EEEvSY_
; %bb.0:
	.section	.rodata,"a",@progbits
	.p2align	6, 0x0
	.amdhsa_kernel _ZN7rocprim17ROCPRIM_400000_NS6detail17trampoline_kernelINS0_13select_configILj256ELj13ELNS0_17block_load_methodE3ELS4_3ELS4_3ELNS0_20block_scan_algorithmE0ELj4294967295EEENS1_25partition_config_selectorILNS1_17partition_subalgoE3EjNS0_10empty_typeEbEEZZNS1_14partition_implILS8_3ELb0ES6_jNS0_17counting_iteratorIjlEEPS9_SE_NS0_5tupleIJPjSE_EEENSF_IJSE_SE_EEES9_SG_JZNS1_25segmented_radix_sort_implINS0_14default_configELb0EPKdPdPKlPlN2at6native12_GLOBAL__N_18offset_tEEE10hipError_tPvRmT1_PNSt15iterator_traitsISY_E10value_typeET2_T3_PNSZ_IS14_E10value_typeET4_jRbjT5_S1A_jjP12ihipStream_tbEUljE_EEESV_SW_SX_S14_S18_S1A_T6_T7_T9_mT8_S1C_bDpT10_ENKUlT_T0_E_clISt17integral_constantIbLb0EES1P_EEDaS1K_S1L_EUlS1K_E_NS1_11comp_targetILNS1_3genE4ELNS1_11target_archE910ELNS1_3gpuE8ELNS1_3repE0EEENS1_30default_config_static_selectorELNS0_4arch9wavefront6targetE1EEEvSY_
		.amdhsa_group_segment_fixed_size 0
		.amdhsa_private_segment_fixed_size 0
		.amdhsa_kernarg_size 144
		.amdhsa_user_sgpr_count 6
		.amdhsa_user_sgpr_private_segment_buffer 1
		.amdhsa_user_sgpr_dispatch_ptr 0
		.amdhsa_user_sgpr_queue_ptr 0
		.amdhsa_user_sgpr_kernarg_segment_ptr 1
		.amdhsa_user_sgpr_dispatch_id 0
		.amdhsa_user_sgpr_flat_scratch_init 0
		.amdhsa_user_sgpr_private_segment_size 0
		.amdhsa_uses_dynamic_stack 0
		.amdhsa_system_sgpr_private_segment_wavefront_offset 0
		.amdhsa_system_sgpr_workgroup_id_x 1
		.amdhsa_system_sgpr_workgroup_id_y 0
		.amdhsa_system_sgpr_workgroup_id_z 0
		.amdhsa_system_sgpr_workgroup_info 0
		.amdhsa_system_vgpr_workitem_id 0
		.amdhsa_next_free_vgpr 1
		.amdhsa_next_free_sgpr 0
		.amdhsa_reserve_vcc 0
		.amdhsa_reserve_flat_scratch 0
		.amdhsa_float_round_mode_32 0
		.amdhsa_float_round_mode_16_64 0
		.amdhsa_float_denorm_mode_32 3
		.amdhsa_float_denorm_mode_16_64 3
		.amdhsa_dx10_clamp 1
		.amdhsa_ieee_mode 1
		.amdhsa_fp16_overflow 0
		.amdhsa_exception_fp_ieee_invalid_op 0
		.amdhsa_exception_fp_denorm_src 0
		.amdhsa_exception_fp_ieee_div_zero 0
		.amdhsa_exception_fp_ieee_overflow 0
		.amdhsa_exception_fp_ieee_underflow 0
		.amdhsa_exception_fp_ieee_inexact 0
		.amdhsa_exception_int_div_zero 0
	.end_amdhsa_kernel
	.section	.text._ZN7rocprim17ROCPRIM_400000_NS6detail17trampoline_kernelINS0_13select_configILj256ELj13ELNS0_17block_load_methodE3ELS4_3ELS4_3ELNS0_20block_scan_algorithmE0ELj4294967295EEENS1_25partition_config_selectorILNS1_17partition_subalgoE3EjNS0_10empty_typeEbEEZZNS1_14partition_implILS8_3ELb0ES6_jNS0_17counting_iteratorIjlEEPS9_SE_NS0_5tupleIJPjSE_EEENSF_IJSE_SE_EEES9_SG_JZNS1_25segmented_radix_sort_implINS0_14default_configELb0EPKdPdPKlPlN2at6native12_GLOBAL__N_18offset_tEEE10hipError_tPvRmT1_PNSt15iterator_traitsISY_E10value_typeET2_T3_PNSZ_IS14_E10value_typeET4_jRbjT5_S1A_jjP12ihipStream_tbEUljE_EEESV_SW_SX_S14_S18_S1A_T6_T7_T9_mT8_S1C_bDpT10_ENKUlT_T0_E_clISt17integral_constantIbLb0EES1P_EEDaS1K_S1L_EUlS1K_E_NS1_11comp_targetILNS1_3genE4ELNS1_11target_archE910ELNS1_3gpuE8ELNS1_3repE0EEENS1_30default_config_static_selectorELNS0_4arch9wavefront6targetE1EEEvSY_,"axG",@progbits,_ZN7rocprim17ROCPRIM_400000_NS6detail17trampoline_kernelINS0_13select_configILj256ELj13ELNS0_17block_load_methodE3ELS4_3ELS4_3ELNS0_20block_scan_algorithmE0ELj4294967295EEENS1_25partition_config_selectorILNS1_17partition_subalgoE3EjNS0_10empty_typeEbEEZZNS1_14partition_implILS8_3ELb0ES6_jNS0_17counting_iteratorIjlEEPS9_SE_NS0_5tupleIJPjSE_EEENSF_IJSE_SE_EEES9_SG_JZNS1_25segmented_radix_sort_implINS0_14default_configELb0EPKdPdPKlPlN2at6native12_GLOBAL__N_18offset_tEEE10hipError_tPvRmT1_PNSt15iterator_traitsISY_E10value_typeET2_T3_PNSZ_IS14_E10value_typeET4_jRbjT5_S1A_jjP12ihipStream_tbEUljE_EEESV_SW_SX_S14_S18_S1A_T6_T7_T9_mT8_S1C_bDpT10_ENKUlT_T0_E_clISt17integral_constantIbLb0EES1P_EEDaS1K_S1L_EUlS1K_E_NS1_11comp_targetILNS1_3genE4ELNS1_11target_archE910ELNS1_3gpuE8ELNS1_3repE0EEENS1_30default_config_static_selectorELNS0_4arch9wavefront6targetE1EEEvSY_,comdat
.Lfunc_end1191:
	.size	_ZN7rocprim17ROCPRIM_400000_NS6detail17trampoline_kernelINS0_13select_configILj256ELj13ELNS0_17block_load_methodE3ELS4_3ELS4_3ELNS0_20block_scan_algorithmE0ELj4294967295EEENS1_25partition_config_selectorILNS1_17partition_subalgoE3EjNS0_10empty_typeEbEEZZNS1_14partition_implILS8_3ELb0ES6_jNS0_17counting_iteratorIjlEEPS9_SE_NS0_5tupleIJPjSE_EEENSF_IJSE_SE_EEES9_SG_JZNS1_25segmented_radix_sort_implINS0_14default_configELb0EPKdPdPKlPlN2at6native12_GLOBAL__N_18offset_tEEE10hipError_tPvRmT1_PNSt15iterator_traitsISY_E10value_typeET2_T3_PNSZ_IS14_E10value_typeET4_jRbjT5_S1A_jjP12ihipStream_tbEUljE_EEESV_SW_SX_S14_S18_S1A_T6_T7_T9_mT8_S1C_bDpT10_ENKUlT_T0_E_clISt17integral_constantIbLb0EES1P_EEDaS1K_S1L_EUlS1K_E_NS1_11comp_targetILNS1_3genE4ELNS1_11target_archE910ELNS1_3gpuE8ELNS1_3repE0EEENS1_30default_config_static_selectorELNS0_4arch9wavefront6targetE1EEEvSY_, .Lfunc_end1191-_ZN7rocprim17ROCPRIM_400000_NS6detail17trampoline_kernelINS0_13select_configILj256ELj13ELNS0_17block_load_methodE3ELS4_3ELS4_3ELNS0_20block_scan_algorithmE0ELj4294967295EEENS1_25partition_config_selectorILNS1_17partition_subalgoE3EjNS0_10empty_typeEbEEZZNS1_14partition_implILS8_3ELb0ES6_jNS0_17counting_iteratorIjlEEPS9_SE_NS0_5tupleIJPjSE_EEENSF_IJSE_SE_EEES9_SG_JZNS1_25segmented_radix_sort_implINS0_14default_configELb0EPKdPdPKlPlN2at6native12_GLOBAL__N_18offset_tEEE10hipError_tPvRmT1_PNSt15iterator_traitsISY_E10value_typeET2_T3_PNSZ_IS14_E10value_typeET4_jRbjT5_S1A_jjP12ihipStream_tbEUljE_EEESV_SW_SX_S14_S18_S1A_T6_T7_T9_mT8_S1C_bDpT10_ENKUlT_T0_E_clISt17integral_constantIbLb0EES1P_EEDaS1K_S1L_EUlS1K_E_NS1_11comp_targetILNS1_3genE4ELNS1_11target_archE910ELNS1_3gpuE8ELNS1_3repE0EEENS1_30default_config_static_selectorELNS0_4arch9wavefront6targetE1EEEvSY_
                                        ; -- End function
	.set _ZN7rocprim17ROCPRIM_400000_NS6detail17trampoline_kernelINS0_13select_configILj256ELj13ELNS0_17block_load_methodE3ELS4_3ELS4_3ELNS0_20block_scan_algorithmE0ELj4294967295EEENS1_25partition_config_selectorILNS1_17partition_subalgoE3EjNS0_10empty_typeEbEEZZNS1_14partition_implILS8_3ELb0ES6_jNS0_17counting_iteratorIjlEEPS9_SE_NS0_5tupleIJPjSE_EEENSF_IJSE_SE_EEES9_SG_JZNS1_25segmented_radix_sort_implINS0_14default_configELb0EPKdPdPKlPlN2at6native12_GLOBAL__N_18offset_tEEE10hipError_tPvRmT1_PNSt15iterator_traitsISY_E10value_typeET2_T3_PNSZ_IS14_E10value_typeET4_jRbjT5_S1A_jjP12ihipStream_tbEUljE_EEESV_SW_SX_S14_S18_S1A_T6_T7_T9_mT8_S1C_bDpT10_ENKUlT_T0_E_clISt17integral_constantIbLb0EES1P_EEDaS1K_S1L_EUlS1K_E_NS1_11comp_targetILNS1_3genE4ELNS1_11target_archE910ELNS1_3gpuE8ELNS1_3repE0EEENS1_30default_config_static_selectorELNS0_4arch9wavefront6targetE1EEEvSY_.num_vgpr, 0
	.set _ZN7rocprim17ROCPRIM_400000_NS6detail17trampoline_kernelINS0_13select_configILj256ELj13ELNS0_17block_load_methodE3ELS4_3ELS4_3ELNS0_20block_scan_algorithmE0ELj4294967295EEENS1_25partition_config_selectorILNS1_17partition_subalgoE3EjNS0_10empty_typeEbEEZZNS1_14partition_implILS8_3ELb0ES6_jNS0_17counting_iteratorIjlEEPS9_SE_NS0_5tupleIJPjSE_EEENSF_IJSE_SE_EEES9_SG_JZNS1_25segmented_radix_sort_implINS0_14default_configELb0EPKdPdPKlPlN2at6native12_GLOBAL__N_18offset_tEEE10hipError_tPvRmT1_PNSt15iterator_traitsISY_E10value_typeET2_T3_PNSZ_IS14_E10value_typeET4_jRbjT5_S1A_jjP12ihipStream_tbEUljE_EEESV_SW_SX_S14_S18_S1A_T6_T7_T9_mT8_S1C_bDpT10_ENKUlT_T0_E_clISt17integral_constantIbLb0EES1P_EEDaS1K_S1L_EUlS1K_E_NS1_11comp_targetILNS1_3genE4ELNS1_11target_archE910ELNS1_3gpuE8ELNS1_3repE0EEENS1_30default_config_static_selectorELNS0_4arch9wavefront6targetE1EEEvSY_.num_agpr, 0
	.set _ZN7rocprim17ROCPRIM_400000_NS6detail17trampoline_kernelINS0_13select_configILj256ELj13ELNS0_17block_load_methodE3ELS4_3ELS4_3ELNS0_20block_scan_algorithmE0ELj4294967295EEENS1_25partition_config_selectorILNS1_17partition_subalgoE3EjNS0_10empty_typeEbEEZZNS1_14partition_implILS8_3ELb0ES6_jNS0_17counting_iteratorIjlEEPS9_SE_NS0_5tupleIJPjSE_EEENSF_IJSE_SE_EEES9_SG_JZNS1_25segmented_radix_sort_implINS0_14default_configELb0EPKdPdPKlPlN2at6native12_GLOBAL__N_18offset_tEEE10hipError_tPvRmT1_PNSt15iterator_traitsISY_E10value_typeET2_T3_PNSZ_IS14_E10value_typeET4_jRbjT5_S1A_jjP12ihipStream_tbEUljE_EEESV_SW_SX_S14_S18_S1A_T6_T7_T9_mT8_S1C_bDpT10_ENKUlT_T0_E_clISt17integral_constantIbLb0EES1P_EEDaS1K_S1L_EUlS1K_E_NS1_11comp_targetILNS1_3genE4ELNS1_11target_archE910ELNS1_3gpuE8ELNS1_3repE0EEENS1_30default_config_static_selectorELNS0_4arch9wavefront6targetE1EEEvSY_.numbered_sgpr, 0
	.set _ZN7rocprim17ROCPRIM_400000_NS6detail17trampoline_kernelINS0_13select_configILj256ELj13ELNS0_17block_load_methodE3ELS4_3ELS4_3ELNS0_20block_scan_algorithmE0ELj4294967295EEENS1_25partition_config_selectorILNS1_17partition_subalgoE3EjNS0_10empty_typeEbEEZZNS1_14partition_implILS8_3ELb0ES6_jNS0_17counting_iteratorIjlEEPS9_SE_NS0_5tupleIJPjSE_EEENSF_IJSE_SE_EEES9_SG_JZNS1_25segmented_radix_sort_implINS0_14default_configELb0EPKdPdPKlPlN2at6native12_GLOBAL__N_18offset_tEEE10hipError_tPvRmT1_PNSt15iterator_traitsISY_E10value_typeET2_T3_PNSZ_IS14_E10value_typeET4_jRbjT5_S1A_jjP12ihipStream_tbEUljE_EEESV_SW_SX_S14_S18_S1A_T6_T7_T9_mT8_S1C_bDpT10_ENKUlT_T0_E_clISt17integral_constantIbLb0EES1P_EEDaS1K_S1L_EUlS1K_E_NS1_11comp_targetILNS1_3genE4ELNS1_11target_archE910ELNS1_3gpuE8ELNS1_3repE0EEENS1_30default_config_static_selectorELNS0_4arch9wavefront6targetE1EEEvSY_.num_named_barrier, 0
	.set _ZN7rocprim17ROCPRIM_400000_NS6detail17trampoline_kernelINS0_13select_configILj256ELj13ELNS0_17block_load_methodE3ELS4_3ELS4_3ELNS0_20block_scan_algorithmE0ELj4294967295EEENS1_25partition_config_selectorILNS1_17partition_subalgoE3EjNS0_10empty_typeEbEEZZNS1_14partition_implILS8_3ELb0ES6_jNS0_17counting_iteratorIjlEEPS9_SE_NS0_5tupleIJPjSE_EEENSF_IJSE_SE_EEES9_SG_JZNS1_25segmented_radix_sort_implINS0_14default_configELb0EPKdPdPKlPlN2at6native12_GLOBAL__N_18offset_tEEE10hipError_tPvRmT1_PNSt15iterator_traitsISY_E10value_typeET2_T3_PNSZ_IS14_E10value_typeET4_jRbjT5_S1A_jjP12ihipStream_tbEUljE_EEESV_SW_SX_S14_S18_S1A_T6_T7_T9_mT8_S1C_bDpT10_ENKUlT_T0_E_clISt17integral_constantIbLb0EES1P_EEDaS1K_S1L_EUlS1K_E_NS1_11comp_targetILNS1_3genE4ELNS1_11target_archE910ELNS1_3gpuE8ELNS1_3repE0EEENS1_30default_config_static_selectorELNS0_4arch9wavefront6targetE1EEEvSY_.private_seg_size, 0
	.set _ZN7rocprim17ROCPRIM_400000_NS6detail17trampoline_kernelINS0_13select_configILj256ELj13ELNS0_17block_load_methodE3ELS4_3ELS4_3ELNS0_20block_scan_algorithmE0ELj4294967295EEENS1_25partition_config_selectorILNS1_17partition_subalgoE3EjNS0_10empty_typeEbEEZZNS1_14partition_implILS8_3ELb0ES6_jNS0_17counting_iteratorIjlEEPS9_SE_NS0_5tupleIJPjSE_EEENSF_IJSE_SE_EEES9_SG_JZNS1_25segmented_radix_sort_implINS0_14default_configELb0EPKdPdPKlPlN2at6native12_GLOBAL__N_18offset_tEEE10hipError_tPvRmT1_PNSt15iterator_traitsISY_E10value_typeET2_T3_PNSZ_IS14_E10value_typeET4_jRbjT5_S1A_jjP12ihipStream_tbEUljE_EEESV_SW_SX_S14_S18_S1A_T6_T7_T9_mT8_S1C_bDpT10_ENKUlT_T0_E_clISt17integral_constantIbLb0EES1P_EEDaS1K_S1L_EUlS1K_E_NS1_11comp_targetILNS1_3genE4ELNS1_11target_archE910ELNS1_3gpuE8ELNS1_3repE0EEENS1_30default_config_static_selectorELNS0_4arch9wavefront6targetE1EEEvSY_.uses_vcc, 0
	.set _ZN7rocprim17ROCPRIM_400000_NS6detail17trampoline_kernelINS0_13select_configILj256ELj13ELNS0_17block_load_methodE3ELS4_3ELS4_3ELNS0_20block_scan_algorithmE0ELj4294967295EEENS1_25partition_config_selectorILNS1_17partition_subalgoE3EjNS0_10empty_typeEbEEZZNS1_14partition_implILS8_3ELb0ES6_jNS0_17counting_iteratorIjlEEPS9_SE_NS0_5tupleIJPjSE_EEENSF_IJSE_SE_EEES9_SG_JZNS1_25segmented_radix_sort_implINS0_14default_configELb0EPKdPdPKlPlN2at6native12_GLOBAL__N_18offset_tEEE10hipError_tPvRmT1_PNSt15iterator_traitsISY_E10value_typeET2_T3_PNSZ_IS14_E10value_typeET4_jRbjT5_S1A_jjP12ihipStream_tbEUljE_EEESV_SW_SX_S14_S18_S1A_T6_T7_T9_mT8_S1C_bDpT10_ENKUlT_T0_E_clISt17integral_constantIbLb0EES1P_EEDaS1K_S1L_EUlS1K_E_NS1_11comp_targetILNS1_3genE4ELNS1_11target_archE910ELNS1_3gpuE8ELNS1_3repE0EEENS1_30default_config_static_selectorELNS0_4arch9wavefront6targetE1EEEvSY_.uses_flat_scratch, 0
	.set _ZN7rocprim17ROCPRIM_400000_NS6detail17trampoline_kernelINS0_13select_configILj256ELj13ELNS0_17block_load_methodE3ELS4_3ELS4_3ELNS0_20block_scan_algorithmE0ELj4294967295EEENS1_25partition_config_selectorILNS1_17partition_subalgoE3EjNS0_10empty_typeEbEEZZNS1_14partition_implILS8_3ELb0ES6_jNS0_17counting_iteratorIjlEEPS9_SE_NS0_5tupleIJPjSE_EEENSF_IJSE_SE_EEES9_SG_JZNS1_25segmented_radix_sort_implINS0_14default_configELb0EPKdPdPKlPlN2at6native12_GLOBAL__N_18offset_tEEE10hipError_tPvRmT1_PNSt15iterator_traitsISY_E10value_typeET2_T3_PNSZ_IS14_E10value_typeET4_jRbjT5_S1A_jjP12ihipStream_tbEUljE_EEESV_SW_SX_S14_S18_S1A_T6_T7_T9_mT8_S1C_bDpT10_ENKUlT_T0_E_clISt17integral_constantIbLb0EES1P_EEDaS1K_S1L_EUlS1K_E_NS1_11comp_targetILNS1_3genE4ELNS1_11target_archE910ELNS1_3gpuE8ELNS1_3repE0EEENS1_30default_config_static_selectorELNS0_4arch9wavefront6targetE1EEEvSY_.has_dyn_sized_stack, 0
	.set _ZN7rocprim17ROCPRIM_400000_NS6detail17trampoline_kernelINS0_13select_configILj256ELj13ELNS0_17block_load_methodE3ELS4_3ELS4_3ELNS0_20block_scan_algorithmE0ELj4294967295EEENS1_25partition_config_selectorILNS1_17partition_subalgoE3EjNS0_10empty_typeEbEEZZNS1_14partition_implILS8_3ELb0ES6_jNS0_17counting_iteratorIjlEEPS9_SE_NS0_5tupleIJPjSE_EEENSF_IJSE_SE_EEES9_SG_JZNS1_25segmented_radix_sort_implINS0_14default_configELb0EPKdPdPKlPlN2at6native12_GLOBAL__N_18offset_tEEE10hipError_tPvRmT1_PNSt15iterator_traitsISY_E10value_typeET2_T3_PNSZ_IS14_E10value_typeET4_jRbjT5_S1A_jjP12ihipStream_tbEUljE_EEESV_SW_SX_S14_S18_S1A_T6_T7_T9_mT8_S1C_bDpT10_ENKUlT_T0_E_clISt17integral_constantIbLb0EES1P_EEDaS1K_S1L_EUlS1K_E_NS1_11comp_targetILNS1_3genE4ELNS1_11target_archE910ELNS1_3gpuE8ELNS1_3repE0EEENS1_30default_config_static_selectorELNS0_4arch9wavefront6targetE1EEEvSY_.has_recursion, 0
	.set _ZN7rocprim17ROCPRIM_400000_NS6detail17trampoline_kernelINS0_13select_configILj256ELj13ELNS0_17block_load_methodE3ELS4_3ELS4_3ELNS0_20block_scan_algorithmE0ELj4294967295EEENS1_25partition_config_selectorILNS1_17partition_subalgoE3EjNS0_10empty_typeEbEEZZNS1_14partition_implILS8_3ELb0ES6_jNS0_17counting_iteratorIjlEEPS9_SE_NS0_5tupleIJPjSE_EEENSF_IJSE_SE_EEES9_SG_JZNS1_25segmented_radix_sort_implINS0_14default_configELb0EPKdPdPKlPlN2at6native12_GLOBAL__N_18offset_tEEE10hipError_tPvRmT1_PNSt15iterator_traitsISY_E10value_typeET2_T3_PNSZ_IS14_E10value_typeET4_jRbjT5_S1A_jjP12ihipStream_tbEUljE_EEESV_SW_SX_S14_S18_S1A_T6_T7_T9_mT8_S1C_bDpT10_ENKUlT_T0_E_clISt17integral_constantIbLb0EES1P_EEDaS1K_S1L_EUlS1K_E_NS1_11comp_targetILNS1_3genE4ELNS1_11target_archE910ELNS1_3gpuE8ELNS1_3repE0EEENS1_30default_config_static_selectorELNS0_4arch9wavefront6targetE1EEEvSY_.has_indirect_call, 0
	.section	.AMDGPU.csdata,"",@progbits
; Kernel info:
; codeLenInByte = 0
; TotalNumSgprs: 4
; NumVgprs: 0
; ScratchSize: 0
; MemoryBound: 0
; FloatMode: 240
; IeeeMode: 1
; LDSByteSize: 0 bytes/workgroup (compile time only)
; SGPRBlocks: 0
; VGPRBlocks: 0
; NumSGPRsForWavesPerEU: 4
; NumVGPRsForWavesPerEU: 1
; Occupancy: 10
; WaveLimiterHint : 0
; COMPUTE_PGM_RSRC2:SCRATCH_EN: 0
; COMPUTE_PGM_RSRC2:USER_SGPR: 6
; COMPUTE_PGM_RSRC2:TRAP_HANDLER: 0
; COMPUTE_PGM_RSRC2:TGID_X_EN: 1
; COMPUTE_PGM_RSRC2:TGID_Y_EN: 0
; COMPUTE_PGM_RSRC2:TGID_Z_EN: 0
; COMPUTE_PGM_RSRC2:TIDIG_COMP_CNT: 0
	.section	.text._ZN7rocprim17ROCPRIM_400000_NS6detail17trampoline_kernelINS0_13select_configILj256ELj13ELNS0_17block_load_methodE3ELS4_3ELS4_3ELNS0_20block_scan_algorithmE0ELj4294967295EEENS1_25partition_config_selectorILNS1_17partition_subalgoE3EjNS0_10empty_typeEbEEZZNS1_14partition_implILS8_3ELb0ES6_jNS0_17counting_iteratorIjlEEPS9_SE_NS0_5tupleIJPjSE_EEENSF_IJSE_SE_EEES9_SG_JZNS1_25segmented_radix_sort_implINS0_14default_configELb0EPKdPdPKlPlN2at6native12_GLOBAL__N_18offset_tEEE10hipError_tPvRmT1_PNSt15iterator_traitsISY_E10value_typeET2_T3_PNSZ_IS14_E10value_typeET4_jRbjT5_S1A_jjP12ihipStream_tbEUljE_EEESV_SW_SX_S14_S18_S1A_T6_T7_T9_mT8_S1C_bDpT10_ENKUlT_T0_E_clISt17integral_constantIbLb0EES1P_EEDaS1K_S1L_EUlS1K_E_NS1_11comp_targetILNS1_3genE3ELNS1_11target_archE908ELNS1_3gpuE7ELNS1_3repE0EEENS1_30default_config_static_selectorELNS0_4arch9wavefront6targetE1EEEvSY_,"axG",@progbits,_ZN7rocprim17ROCPRIM_400000_NS6detail17trampoline_kernelINS0_13select_configILj256ELj13ELNS0_17block_load_methodE3ELS4_3ELS4_3ELNS0_20block_scan_algorithmE0ELj4294967295EEENS1_25partition_config_selectorILNS1_17partition_subalgoE3EjNS0_10empty_typeEbEEZZNS1_14partition_implILS8_3ELb0ES6_jNS0_17counting_iteratorIjlEEPS9_SE_NS0_5tupleIJPjSE_EEENSF_IJSE_SE_EEES9_SG_JZNS1_25segmented_radix_sort_implINS0_14default_configELb0EPKdPdPKlPlN2at6native12_GLOBAL__N_18offset_tEEE10hipError_tPvRmT1_PNSt15iterator_traitsISY_E10value_typeET2_T3_PNSZ_IS14_E10value_typeET4_jRbjT5_S1A_jjP12ihipStream_tbEUljE_EEESV_SW_SX_S14_S18_S1A_T6_T7_T9_mT8_S1C_bDpT10_ENKUlT_T0_E_clISt17integral_constantIbLb0EES1P_EEDaS1K_S1L_EUlS1K_E_NS1_11comp_targetILNS1_3genE3ELNS1_11target_archE908ELNS1_3gpuE7ELNS1_3repE0EEENS1_30default_config_static_selectorELNS0_4arch9wavefront6targetE1EEEvSY_,comdat
	.globl	_ZN7rocprim17ROCPRIM_400000_NS6detail17trampoline_kernelINS0_13select_configILj256ELj13ELNS0_17block_load_methodE3ELS4_3ELS4_3ELNS0_20block_scan_algorithmE0ELj4294967295EEENS1_25partition_config_selectorILNS1_17partition_subalgoE3EjNS0_10empty_typeEbEEZZNS1_14partition_implILS8_3ELb0ES6_jNS0_17counting_iteratorIjlEEPS9_SE_NS0_5tupleIJPjSE_EEENSF_IJSE_SE_EEES9_SG_JZNS1_25segmented_radix_sort_implINS0_14default_configELb0EPKdPdPKlPlN2at6native12_GLOBAL__N_18offset_tEEE10hipError_tPvRmT1_PNSt15iterator_traitsISY_E10value_typeET2_T3_PNSZ_IS14_E10value_typeET4_jRbjT5_S1A_jjP12ihipStream_tbEUljE_EEESV_SW_SX_S14_S18_S1A_T6_T7_T9_mT8_S1C_bDpT10_ENKUlT_T0_E_clISt17integral_constantIbLb0EES1P_EEDaS1K_S1L_EUlS1K_E_NS1_11comp_targetILNS1_3genE3ELNS1_11target_archE908ELNS1_3gpuE7ELNS1_3repE0EEENS1_30default_config_static_selectorELNS0_4arch9wavefront6targetE1EEEvSY_ ; -- Begin function _ZN7rocprim17ROCPRIM_400000_NS6detail17trampoline_kernelINS0_13select_configILj256ELj13ELNS0_17block_load_methodE3ELS4_3ELS4_3ELNS0_20block_scan_algorithmE0ELj4294967295EEENS1_25partition_config_selectorILNS1_17partition_subalgoE3EjNS0_10empty_typeEbEEZZNS1_14partition_implILS8_3ELb0ES6_jNS0_17counting_iteratorIjlEEPS9_SE_NS0_5tupleIJPjSE_EEENSF_IJSE_SE_EEES9_SG_JZNS1_25segmented_radix_sort_implINS0_14default_configELb0EPKdPdPKlPlN2at6native12_GLOBAL__N_18offset_tEEE10hipError_tPvRmT1_PNSt15iterator_traitsISY_E10value_typeET2_T3_PNSZ_IS14_E10value_typeET4_jRbjT5_S1A_jjP12ihipStream_tbEUljE_EEESV_SW_SX_S14_S18_S1A_T6_T7_T9_mT8_S1C_bDpT10_ENKUlT_T0_E_clISt17integral_constantIbLb0EES1P_EEDaS1K_S1L_EUlS1K_E_NS1_11comp_targetILNS1_3genE3ELNS1_11target_archE908ELNS1_3gpuE7ELNS1_3repE0EEENS1_30default_config_static_selectorELNS0_4arch9wavefront6targetE1EEEvSY_
	.p2align	8
	.type	_ZN7rocprim17ROCPRIM_400000_NS6detail17trampoline_kernelINS0_13select_configILj256ELj13ELNS0_17block_load_methodE3ELS4_3ELS4_3ELNS0_20block_scan_algorithmE0ELj4294967295EEENS1_25partition_config_selectorILNS1_17partition_subalgoE3EjNS0_10empty_typeEbEEZZNS1_14partition_implILS8_3ELb0ES6_jNS0_17counting_iteratorIjlEEPS9_SE_NS0_5tupleIJPjSE_EEENSF_IJSE_SE_EEES9_SG_JZNS1_25segmented_radix_sort_implINS0_14default_configELb0EPKdPdPKlPlN2at6native12_GLOBAL__N_18offset_tEEE10hipError_tPvRmT1_PNSt15iterator_traitsISY_E10value_typeET2_T3_PNSZ_IS14_E10value_typeET4_jRbjT5_S1A_jjP12ihipStream_tbEUljE_EEESV_SW_SX_S14_S18_S1A_T6_T7_T9_mT8_S1C_bDpT10_ENKUlT_T0_E_clISt17integral_constantIbLb0EES1P_EEDaS1K_S1L_EUlS1K_E_NS1_11comp_targetILNS1_3genE3ELNS1_11target_archE908ELNS1_3gpuE7ELNS1_3repE0EEENS1_30default_config_static_selectorELNS0_4arch9wavefront6targetE1EEEvSY_,@function
_ZN7rocprim17ROCPRIM_400000_NS6detail17trampoline_kernelINS0_13select_configILj256ELj13ELNS0_17block_load_methodE3ELS4_3ELS4_3ELNS0_20block_scan_algorithmE0ELj4294967295EEENS1_25partition_config_selectorILNS1_17partition_subalgoE3EjNS0_10empty_typeEbEEZZNS1_14partition_implILS8_3ELb0ES6_jNS0_17counting_iteratorIjlEEPS9_SE_NS0_5tupleIJPjSE_EEENSF_IJSE_SE_EEES9_SG_JZNS1_25segmented_radix_sort_implINS0_14default_configELb0EPKdPdPKlPlN2at6native12_GLOBAL__N_18offset_tEEE10hipError_tPvRmT1_PNSt15iterator_traitsISY_E10value_typeET2_T3_PNSZ_IS14_E10value_typeET4_jRbjT5_S1A_jjP12ihipStream_tbEUljE_EEESV_SW_SX_S14_S18_S1A_T6_T7_T9_mT8_S1C_bDpT10_ENKUlT_T0_E_clISt17integral_constantIbLb0EES1P_EEDaS1K_S1L_EUlS1K_E_NS1_11comp_targetILNS1_3genE3ELNS1_11target_archE908ELNS1_3gpuE7ELNS1_3repE0EEENS1_30default_config_static_selectorELNS0_4arch9wavefront6targetE1EEEvSY_: ; @_ZN7rocprim17ROCPRIM_400000_NS6detail17trampoline_kernelINS0_13select_configILj256ELj13ELNS0_17block_load_methodE3ELS4_3ELS4_3ELNS0_20block_scan_algorithmE0ELj4294967295EEENS1_25partition_config_selectorILNS1_17partition_subalgoE3EjNS0_10empty_typeEbEEZZNS1_14partition_implILS8_3ELb0ES6_jNS0_17counting_iteratorIjlEEPS9_SE_NS0_5tupleIJPjSE_EEENSF_IJSE_SE_EEES9_SG_JZNS1_25segmented_radix_sort_implINS0_14default_configELb0EPKdPdPKlPlN2at6native12_GLOBAL__N_18offset_tEEE10hipError_tPvRmT1_PNSt15iterator_traitsISY_E10value_typeET2_T3_PNSZ_IS14_E10value_typeET4_jRbjT5_S1A_jjP12ihipStream_tbEUljE_EEESV_SW_SX_S14_S18_S1A_T6_T7_T9_mT8_S1C_bDpT10_ENKUlT_T0_E_clISt17integral_constantIbLb0EES1P_EEDaS1K_S1L_EUlS1K_E_NS1_11comp_targetILNS1_3genE3ELNS1_11target_archE908ELNS1_3gpuE7ELNS1_3repE0EEENS1_30default_config_static_selectorELNS0_4arch9wavefront6targetE1EEEvSY_
; %bb.0:
	.section	.rodata,"a",@progbits
	.p2align	6, 0x0
	.amdhsa_kernel _ZN7rocprim17ROCPRIM_400000_NS6detail17trampoline_kernelINS0_13select_configILj256ELj13ELNS0_17block_load_methodE3ELS4_3ELS4_3ELNS0_20block_scan_algorithmE0ELj4294967295EEENS1_25partition_config_selectorILNS1_17partition_subalgoE3EjNS0_10empty_typeEbEEZZNS1_14partition_implILS8_3ELb0ES6_jNS0_17counting_iteratorIjlEEPS9_SE_NS0_5tupleIJPjSE_EEENSF_IJSE_SE_EEES9_SG_JZNS1_25segmented_radix_sort_implINS0_14default_configELb0EPKdPdPKlPlN2at6native12_GLOBAL__N_18offset_tEEE10hipError_tPvRmT1_PNSt15iterator_traitsISY_E10value_typeET2_T3_PNSZ_IS14_E10value_typeET4_jRbjT5_S1A_jjP12ihipStream_tbEUljE_EEESV_SW_SX_S14_S18_S1A_T6_T7_T9_mT8_S1C_bDpT10_ENKUlT_T0_E_clISt17integral_constantIbLb0EES1P_EEDaS1K_S1L_EUlS1K_E_NS1_11comp_targetILNS1_3genE3ELNS1_11target_archE908ELNS1_3gpuE7ELNS1_3repE0EEENS1_30default_config_static_selectorELNS0_4arch9wavefront6targetE1EEEvSY_
		.amdhsa_group_segment_fixed_size 0
		.amdhsa_private_segment_fixed_size 0
		.amdhsa_kernarg_size 144
		.amdhsa_user_sgpr_count 6
		.amdhsa_user_sgpr_private_segment_buffer 1
		.amdhsa_user_sgpr_dispatch_ptr 0
		.amdhsa_user_sgpr_queue_ptr 0
		.amdhsa_user_sgpr_kernarg_segment_ptr 1
		.amdhsa_user_sgpr_dispatch_id 0
		.amdhsa_user_sgpr_flat_scratch_init 0
		.amdhsa_user_sgpr_private_segment_size 0
		.amdhsa_uses_dynamic_stack 0
		.amdhsa_system_sgpr_private_segment_wavefront_offset 0
		.amdhsa_system_sgpr_workgroup_id_x 1
		.amdhsa_system_sgpr_workgroup_id_y 0
		.amdhsa_system_sgpr_workgroup_id_z 0
		.amdhsa_system_sgpr_workgroup_info 0
		.amdhsa_system_vgpr_workitem_id 0
		.amdhsa_next_free_vgpr 1
		.amdhsa_next_free_sgpr 0
		.amdhsa_reserve_vcc 0
		.amdhsa_reserve_flat_scratch 0
		.amdhsa_float_round_mode_32 0
		.amdhsa_float_round_mode_16_64 0
		.amdhsa_float_denorm_mode_32 3
		.amdhsa_float_denorm_mode_16_64 3
		.amdhsa_dx10_clamp 1
		.amdhsa_ieee_mode 1
		.amdhsa_fp16_overflow 0
		.amdhsa_exception_fp_ieee_invalid_op 0
		.amdhsa_exception_fp_denorm_src 0
		.amdhsa_exception_fp_ieee_div_zero 0
		.amdhsa_exception_fp_ieee_overflow 0
		.amdhsa_exception_fp_ieee_underflow 0
		.amdhsa_exception_fp_ieee_inexact 0
		.amdhsa_exception_int_div_zero 0
	.end_amdhsa_kernel
	.section	.text._ZN7rocprim17ROCPRIM_400000_NS6detail17trampoline_kernelINS0_13select_configILj256ELj13ELNS0_17block_load_methodE3ELS4_3ELS4_3ELNS0_20block_scan_algorithmE0ELj4294967295EEENS1_25partition_config_selectorILNS1_17partition_subalgoE3EjNS0_10empty_typeEbEEZZNS1_14partition_implILS8_3ELb0ES6_jNS0_17counting_iteratorIjlEEPS9_SE_NS0_5tupleIJPjSE_EEENSF_IJSE_SE_EEES9_SG_JZNS1_25segmented_radix_sort_implINS0_14default_configELb0EPKdPdPKlPlN2at6native12_GLOBAL__N_18offset_tEEE10hipError_tPvRmT1_PNSt15iterator_traitsISY_E10value_typeET2_T3_PNSZ_IS14_E10value_typeET4_jRbjT5_S1A_jjP12ihipStream_tbEUljE_EEESV_SW_SX_S14_S18_S1A_T6_T7_T9_mT8_S1C_bDpT10_ENKUlT_T0_E_clISt17integral_constantIbLb0EES1P_EEDaS1K_S1L_EUlS1K_E_NS1_11comp_targetILNS1_3genE3ELNS1_11target_archE908ELNS1_3gpuE7ELNS1_3repE0EEENS1_30default_config_static_selectorELNS0_4arch9wavefront6targetE1EEEvSY_,"axG",@progbits,_ZN7rocprim17ROCPRIM_400000_NS6detail17trampoline_kernelINS0_13select_configILj256ELj13ELNS0_17block_load_methodE3ELS4_3ELS4_3ELNS0_20block_scan_algorithmE0ELj4294967295EEENS1_25partition_config_selectorILNS1_17partition_subalgoE3EjNS0_10empty_typeEbEEZZNS1_14partition_implILS8_3ELb0ES6_jNS0_17counting_iteratorIjlEEPS9_SE_NS0_5tupleIJPjSE_EEENSF_IJSE_SE_EEES9_SG_JZNS1_25segmented_radix_sort_implINS0_14default_configELb0EPKdPdPKlPlN2at6native12_GLOBAL__N_18offset_tEEE10hipError_tPvRmT1_PNSt15iterator_traitsISY_E10value_typeET2_T3_PNSZ_IS14_E10value_typeET4_jRbjT5_S1A_jjP12ihipStream_tbEUljE_EEESV_SW_SX_S14_S18_S1A_T6_T7_T9_mT8_S1C_bDpT10_ENKUlT_T0_E_clISt17integral_constantIbLb0EES1P_EEDaS1K_S1L_EUlS1K_E_NS1_11comp_targetILNS1_3genE3ELNS1_11target_archE908ELNS1_3gpuE7ELNS1_3repE0EEENS1_30default_config_static_selectorELNS0_4arch9wavefront6targetE1EEEvSY_,comdat
.Lfunc_end1192:
	.size	_ZN7rocprim17ROCPRIM_400000_NS6detail17trampoline_kernelINS0_13select_configILj256ELj13ELNS0_17block_load_methodE3ELS4_3ELS4_3ELNS0_20block_scan_algorithmE0ELj4294967295EEENS1_25partition_config_selectorILNS1_17partition_subalgoE3EjNS0_10empty_typeEbEEZZNS1_14partition_implILS8_3ELb0ES6_jNS0_17counting_iteratorIjlEEPS9_SE_NS0_5tupleIJPjSE_EEENSF_IJSE_SE_EEES9_SG_JZNS1_25segmented_radix_sort_implINS0_14default_configELb0EPKdPdPKlPlN2at6native12_GLOBAL__N_18offset_tEEE10hipError_tPvRmT1_PNSt15iterator_traitsISY_E10value_typeET2_T3_PNSZ_IS14_E10value_typeET4_jRbjT5_S1A_jjP12ihipStream_tbEUljE_EEESV_SW_SX_S14_S18_S1A_T6_T7_T9_mT8_S1C_bDpT10_ENKUlT_T0_E_clISt17integral_constantIbLb0EES1P_EEDaS1K_S1L_EUlS1K_E_NS1_11comp_targetILNS1_3genE3ELNS1_11target_archE908ELNS1_3gpuE7ELNS1_3repE0EEENS1_30default_config_static_selectorELNS0_4arch9wavefront6targetE1EEEvSY_, .Lfunc_end1192-_ZN7rocprim17ROCPRIM_400000_NS6detail17trampoline_kernelINS0_13select_configILj256ELj13ELNS0_17block_load_methodE3ELS4_3ELS4_3ELNS0_20block_scan_algorithmE0ELj4294967295EEENS1_25partition_config_selectorILNS1_17partition_subalgoE3EjNS0_10empty_typeEbEEZZNS1_14partition_implILS8_3ELb0ES6_jNS0_17counting_iteratorIjlEEPS9_SE_NS0_5tupleIJPjSE_EEENSF_IJSE_SE_EEES9_SG_JZNS1_25segmented_radix_sort_implINS0_14default_configELb0EPKdPdPKlPlN2at6native12_GLOBAL__N_18offset_tEEE10hipError_tPvRmT1_PNSt15iterator_traitsISY_E10value_typeET2_T3_PNSZ_IS14_E10value_typeET4_jRbjT5_S1A_jjP12ihipStream_tbEUljE_EEESV_SW_SX_S14_S18_S1A_T6_T7_T9_mT8_S1C_bDpT10_ENKUlT_T0_E_clISt17integral_constantIbLb0EES1P_EEDaS1K_S1L_EUlS1K_E_NS1_11comp_targetILNS1_3genE3ELNS1_11target_archE908ELNS1_3gpuE7ELNS1_3repE0EEENS1_30default_config_static_selectorELNS0_4arch9wavefront6targetE1EEEvSY_
                                        ; -- End function
	.set _ZN7rocprim17ROCPRIM_400000_NS6detail17trampoline_kernelINS0_13select_configILj256ELj13ELNS0_17block_load_methodE3ELS4_3ELS4_3ELNS0_20block_scan_algorithmE0ELj4294967295EEENS1_25partition_config_selectorILNS1_17partition_subalgoE3EjNS0_10empty_typeEbEEZZNS1_14partition_implILS8_3ELb0ES6_jNS0_17counting_iteratorIjlEEPS9_SE_NS0_5tupleIJPjSE_EEENSF_IJSE_SE_EEES9_SG_JZNS1_25segmented_radix_sort_implINS0_14default_configELb0EPKdPdPKlPlN2at6native12_GLOBAL__N_18offset_tEEE10hipError_tPvRmT1_PNSt15iterator_traitsISY_E10value_typeET2_T3_PNSZ_IS14_E10value_typeET4_jRbjT5_S1A_jjP12ihipStream_tbEUljE_EEESV_SW_SX_S14_S18_S1A_T6_T7_T9_mT8_S1C_bDpT10_ENKUlT_T0_E_clISt17integral_constantIbLb0EES1P_EEDaS1K_S1L_EUlS1K_E_NS1_11comp_targetILNS1_3genE3ELNS1_11target_archE908ELNS1_3gpuE7ELNS1_3repE0EEENS1_30default_config_static_selectorELNS0_4arch9wavefront6targetE1EEEvSY_.num_vgpr, 0
	.set _ZN7rocprim17ROCPRIM_400000_NS6detail17trampoline_kernelINS0_13select_configILj256ELj13ELNS0_17block_load_methodE3ELS4_3ELS4_3ELNS0_20block_scan_algorithmE0ELj4294967295EEENS1_25partition_config_selectorILNS1_17partition_subalgoE3EjNS0_10empty_typeEbEEZZNS1_14partition_implILS8_3ELb0ES6_jNS0_17counting_iteratorIjlEEPS9_SE_NS0_5tupleIJPjSE_EEENSF_IJSE_SE_EEES9_SG_JZNS1_25segmented_radix_sort_implINS0_14default_configELb0EPKdPdPKlPlN2at6native12_GLOBAL__N_18offset_tEEE10hipError_tPvRmT1_PNSt15iterator_traitsISY_E10value_typeET2_T3_PNSZ_IS14_E10value_typeET4_jRbjT5_S1A_jjP12ihipStream_tbEUljE_EEESV_SW_SX_S14_S18_S1A_T6_T7_T9_mT8_S1C_bDpT10_ENKUlT_T0_E_clISt17integral_constantIbLb0EES1P_EEDaS1K_S1L_EUlS1K_E_NS1_11comp_targetILNS1_3genE3ELNS1_11target_archE908ELNS1_3gpuE7ELNS1_3repE0EEENS1_30default_config_static_selectorELNS0_4arch9wavefront6targetE1EEEvSY_.num_agpr, 0
	.set _ZN7rocprim17ROCPRIM_400000_NS6detail17trampoline_kernelINS0_13select_configILj256ELj13ELNS0_17block_load_methodE3ELS4_3ELS4_3ELNS0_20block_scan_algorithmE0ELj4294967295EEENS1_25partition_config_selectorILNS1_17partition_subalgoE3EjNS0_10empty_typeEbEEZZNS1_14partition_implILS8_3ELb0ES6_jNS0_17counting_iteratorIjlEEPS9_SE_NS0_5tupleIJPjSE_EEENSF_IJSE_SE_EEES9_SG_JZNS1_25segmented_radix_sort_implINS0_14default_configELb0EPKdPdPKlPlN2at6native12_GLOBAL__N_18offset_tEEE10hipError_tPvRmT1_PNSt15iterator_traitsISY_E10value_typeET2_T3_PNSZ_IS14_E10value_typeET4_jRbjT5_S1A_jjP12ihipStream_tbEUljE_EEESV_SW_SX_S14_S18_S1A_T6_T7_T9_mT8_S1C_bDpT10_ENKUlT_T0_E_clISt17integral_constantIbLb0EES1P_EEDaS1K_S1L_EUlS1K_E_NS1_11comp_targetILNS1_3genE3ELNS1_11target_archE908ELNS1_3gpuE7ELNS1_3repE0EEENS1_30default_config_static_selectorELNS0_4arch9wavefront6targetE1EEEvSY_.numbered_sgpr, 0
	.set _ZN7rocprim17ROCPRIM_400000_NS6detail17trampoline_kernelINS0_13select_configILj256ELj13ELNS0_17block_load_methodE3ELS4_3ELS4_3ELNS0_20block_scan_algorithmE0ELj4294967295EEENS1_25partition_config_selectorILNS1_17partition_subalgoE3EjNS0_10empty_typeEbEEZZNS1_14partition_implILS8_3ELb0ES6_jNS0_17counting_iteratorIjlEEPS9_SE_NS0_5tupleIJPjSE_EEENSF_IJSE_SE_EEES9_SG_JZNS1_25segmented_radix_sort_implINS0_14default_configELb0EPKdPdPKlPlN2at6native12_GLOBAL__N_18offset_tEEE10hipError_tPvRmT1_PNSt15iterator_traitsISY_E10value_typeET2_T3_PNSZ_IS14_E10value_typeET4_jRbjT5_S1A_jjP12ihipStream_tbEUljE_EEESV_SW_SX_S14_S18_S1A_T6_T7_T9_mT8_S1C_bDpT10_ENKUlT_T0_E_clISt17integral_constantIbLb0EES1P_EEDaS1K_S1L_EUlS1K_E_NS1_11comp_targetILNS1_3genE3ELNS1_11target_archE908ELNS1_3gpuE7ELNS1_3repE0EEENS1_30default_config_static_selectorELNS0_4arch9wavefront6targetE1EEEvSY_.num_named_barrier, 0
	.set _ZN7rocprim17ROCPRIM_400000_NS6detail17trampoline_kernelINS0_13select_configILj256ELj13ELNS0_17block_load_methodE3ELS4_3ELS4_3ELNS0_20block_scan_algorithmE0ELj4294967295EEENS1_25partition_config_selectorILNS1_17partition_subalgoE3EjNS0_10empty_typeEbEEZZNS1_14partition_implILS8_3ELb0ES6_jNS0_17counting_iteratorIjlEEPS9_SE_NS0_5tupleIJPjSE_EEENSF_IJSE_SE_EEES9_SG_JZNS1_25segmented_radix_sort_implINS0_14default_configELb0EPKdPdPKlPlN2at6native12_GLOBAL__N_18offset_tEEE10hipError_tPvRmT1_PNSt15iterator_traitsISY_E10value_typeET2_T3_PNSZ_IS14_E10value_typeET4_jRbjT5_S1A_jjP12ihipStream_tbEUljE_EEESV_SW_SX_S14_S18_S1A_T6_T7_T9_mT8_S1C_bDpT10_ENKUlT_T0_E_clISt17integral_constantIbLb0EES1P_EEDaS1K_S1L_EUlS1K_E_NS1_11comp_targetILNS1_3genE3ELNS1_11target_archE908ELNS1_3gpuE7ELNS1_3repE0EEENS1_30default_config_static_selectorELNS0_4arch9wavefront6targetE1EEEvSY_.private_seg_size, 0
	.set _ZN7rocprim17ROCPRIM_400000_NS6detail17trampoline_kernelINS0_13select_configILj256ELj13ELNS0_17block_load_methodE3ELS4_3ELS4_3ELNS0_20block_scan_algorithmE0ELj4294967295EEENS1_25partition_config_selectorILNS1_17partition_subalgoE3EjNS0_10empty_typeEbEEZZNS1_14partition_implILS8_3ELb0ES6_jNS0_17counting_iteratorIjlEEPS9_SE_NS0_5tupleIJPjSE_EEENSF_IJSE_SE_EEES9_SG_JZNS1_25segmented_radix_sort_implINS0_14default_configELb0EPKdPdPKlPlN2at6native12_GLOBAL__N_18offset_tEEE10hipError_tPvRmT1_PNSt15iterator_traitsISY_E10value_typeET2_T3_PNSZ_IS14_E10value_typeET4_jRbjT5_S1A_jjP12ihipStream_tbEUljE_EEESV_SW_SX_S14_S18_S1A_T6_T7_T9_mT8_S1C_bDpT10_ENKUlT_T0_E_clISt17integral_constantIbLb0EES1P_EEDaS1K_S1L_EUlS1K_E_NS1_11comp_targetILNS1_3genE3ELNS1_11target_archE908ELNS1_3gpuE7ELNS1_3repE0EEENS1_30default_config_static_selectorELNS0_4arch9wavefront6targetE1EEEvSY_.uses_vcc, 0
	.set _ZN7rocprim17ROCPRIM_400000_NS6detail17trampoline_kernelINS0_13select_configILj256ELj13ELNS0_17block_load_methodE3ELS4_3ELS4_3ELNS0_20block_scan_algorithmE0ELj4294967295EEENS1_25partition_config_selectorILNS1_17partition_subalgoE3EjNS0_10empty_typeEbEEZZNS1_14partition_implILS8_3ELb0ES6_jNS0_17counting_iteratorIjlEEPS9_SE_NS0_5tupleIJPjSE_EEENSF_IJSE_SE_EEES9_SG_JZNS1_25segmented_radix_sort_implINS0_14default_configELb0EPKdPdPKlPlN2at6native12_GLOBAL__N_18offset_tEEE10hipError_tPvRmT1_PNSt15iterator_traitsISY_E10value_typeET2_T3_PNSZ_IS14_E10value_typeET4_jRbjT5_S1A_jjP12ihipStream_tbEUljE_EEESV_SW_SX_S14_S18_S1A_T6_T7_T9_mT8_S1C_bDpT10_ENKUlT_T0_E_clISt17integral_constantIbLb0EES1P_EEDaS1K_S1L_EUlS1K_E_NS1_11comp_targetILNS1_3genE3ELNS1_11target_archE908ELNS1_3gpuE7ELNS1_3repE0EEENS1_30default_config_static_selectorELNS0_4arch9wavefront6targetE1EEEvSY_.uses_flat_scratch, 0
	.set _ZN7rocprim17ROCPRIM_400000_NS6detail17trampoline_kernelINS0_13select_configILj256ELj13ELNS0_17block_load_methodE3ELS4_3ELS4_3ELNS0_20block_scan_algorithmE0ELj4294967295EEENS1_25partition_config_selectorILNS1_17partition_subalgoE3EjNS0_10empty_typeEbEEZZNS1_14partition_implILS8_3ELb0ES6_jNS0_17counting_iteratorIjlEEPS9_SE_NS0_5tupleIJPjSE_EEENSF_IJSE_SE_EEES9_SG_JZNS1_25segmented_radix_sort_implINS0_14default_configELb0EPKdPdPKlPlN2at6native12_GLOBAL__N_18offset_tEEE10hipError_tPvRmT1_PNSt15iterator_traitsISY_E10value_typeET2_T3_PNSZ_IS14_E10value_typeET4_jRbjT5_S1A_jjP12ihipStream_tbEUljE_EEESV_SW_SX_S14_S18_S1A_T6_T7_T9_mT8_S1C_bDpT10_ENKUlT_T0_E_clISt17integral_constantIbLb0EES1P_EEDaS1K_S1L_EUlS1K_E_NS1_11comp_targetILNS1_3genE3ELNS1_11target_archE908ELNS1_3gpuE7ELNS1_3repE0EEENS1_30default_config_static_selectorELNS0_4arch9wavefront6targetE1EEEvSY_.has_dyn_sized_stack, 0
	.set _ZN7rocprim17ROCPRIM_400000_NS6detail17trampoline_kernelINS0_13select_configILj256ELj13ELNS0_17block_load_methodE3ELS4_3ELS4_3ELNS0_20block_scan_algorithmE0ELj4294967295EEENS1_25partition_config_selectorILNS1_17partition_subalgoE3EjNS0_10empty_typeEbEEZZNS1_14partition_implILS8_3ELb0ES6_jNS0_17counting_iteratorIjlEEPS9_SE_NS0_5tupleIJPjSE_EEENSF_IJSE_SE_EEES9_SG_JZNS1_25segmented_radix_sort_implINS0_14default_configELb0EPKdPdPKlPlN2at6native12_GLOBAL__N_18offset_tEEE10hipError_tPvRmT1_PNSt15iterator_traitsISY_E10value_typeET2_T3_PNSZ_IS14_E10value_typeET4_jRbjT5_S1A_jjP12ihipStream_tbEUljE_EEESV_SW_SX_S14_S18_S1A_T6_T7_T9_mT8_S1C_bDpT10_ENKUlT_T0_E_clISt17integral_constantIbLb0EES1P_EEDaS1K_S1L_EUlS1K_E_NS1_11comp_targetILNS1_3genE3ELNS1_11target_archE908ELNS1_3gpuE7ELNS1_3repE0EEENS1_30default_config_static_selectorELNS0_4arch9wavefront6targetE1EEEvSY_.has_recursion, 0
	.set _ZN7rocprim17ROCPRIM_400000_NS6detail17trampoline_kernelINS0_13select_configILj256ELj13ELNS0_17block_load_methodE3ELS4_3ELS4_3ELNS0_20block_scan_algorithmE0ELj4294967295EEENS1_25partition_config_selectorILNS1_17partition_subalgoE3EjNS0_10empty_typeEbEEZZNS1_14partition_implILS8_3ELb0ES6_jNS0_17counting_iteratorIjlEEPS9_SE_NS0_5tupleIJPjSE_EEENSF_IJSE_SE_EEES9_SG_JZNS1_25segmented_radix_sort_implINS0_14default_configELb0EPKdPdPKlPlN2at6native12_GLOBAL__N_18offset_tEEE10hipError_tPvRmT1_PNSt15iterator_traitsISY_E10value_typeET2_T3_PNSZ_IS14_E10value_typeET4_jRbjT5_S1A_jjP12ihipStream_tbEUljE_EEESV_SW_SX_S14_S18_S1A_T6_T7_T9_mT8_S1C_bDpT10_ENKUlT_T0_E_clISt17integral_constantIbLb0EES1P_EEDaS1K_S1L_EUlS1K_E_NS1_11comp_targetILNS1_3genE3ELNS1_11target_archE908ELNS1_3gpuE7ELNS1_3repE0EEENS1_30default_config_static_selectorELNS0_4arch9wavefront6targetE1EEEvSY_.has_indirect_call, 0
	.section	.AMDGPU.csdata,"",@progbits
; Kernel info:
; codeLenInByte = 0
; TotalNumSgprs: 4
; NumVgprs: 0
; ScratchSize: 0
; MemoryBound: 0
; FloatMode: 240
; IeeeMode: 1
; LDSByteSize: 0 bytes/workgroup (compile time only)
; SGPRBlocks: 0
; VGPRBlocks: 0
; NumSGPRsForWavesPerEU: 4
; NumVGPRsForWavesPerEU: 1
; Occupancy: 10
; WaveLimiterHint : 0
; COMPUTE_PGM_RSRC2:SCRATCH_EN: 0
; COMPUTE_PGM_RSRC2:USER_SGPR: 6
; COMPUTE_PGM_RSRC2:TRAP_HANDLER: 0
; COMPUTE_PGM_RSRC2:TGID_X_EN: 1
; COMPUTE_PGM_RSRC2:TGID_Y_EN: 0
; COMPUTE_PGM_RSRC2:TGID_Z_EN: 0
; COMPUTE_PGM_RSRC2:TIDIG_COMP_CNT: 0
	.section	.text._ZN7rocprim17ROCPRIM_400000_NS6detail17trampoline_kernelINS0_13select_configILj256ELj13ELNS0_17block_load_methodE3ELS4_3ELS4_3ELNS0_20block_scan_algorithmE0ELj4294967295EEENS1_25partition_config_selectorILNS1_17partition_subalgoE3EjNS0_10empty_typeEbEEZZNS1_14partition_implILS8_3ELb0ES6_jNS0_17counting_iteratorIjlEEPS9_SE_NS0_5tupleIJPjSE_EEENSF_IJSE_SE_EEES9_SG_JZNS1_25segmented_radix_sort_implINS0_14default_configELb0EPKdPdPKlPlN2at6native12_GLOBAL__N_18offset_tEEE10hipError_tPvRmT1_PNSt15iterator_traitsISY_E10value_typeET2_T3_PNSZ_IS14_E10value_typeET4_jRbjT5_S1A_jjP12ihipStream_tbEUljE_EEESV_SW_SX_S14_S18_S1A_T6_T7_T9_mT8_S1C_bDpT10_ENKUlT_T0_E_clISt17integral_constantIbLb0EES1P_EEDaS1K_S1L_EUlS1K_E_NS1_11comp_targetILNS1_3genE2ELNS1_11target_archE906ELNS1_3gpuE6ELNS1_3repE0EEENS1_30default_config_static_selectorELNS0_4arch9wavefront6targetE1EEEvSY_,"axG",@progbits,_ZN7rocprim17ROCPRIM_400000_NS6detail17trampoline_kernelINS0_13select_configILj256ELj13ELNS0_17block_load_methodE3ELS4_3ELS4_3ELNS0_20block_scan_algorithmE0ELj4294967295EEENS1_25partition_config_selectorILNS1_17partition_subalgoE3EjNS0_10empty_typeEbEEZZNS1_14partition_implILS8_3ELb0ES6_jNS0_17counting_iteratorIjlEEPS9_SE_NS0_5tupleIJPjSE_EEENSF_IJSE_SE_EEES9_SG_JZNS1_25segmented_radix_sort_implINS0_14default_configELb0EPKdPdPKlPlN2at6native12_GLOBAL__N_18offset_tEEE10hipError_tPvRmT1_PNSt15iterator_traitsISY_E10value_typeET2_T3_PNSZ_IS14_E10value_typeET4_jRbjT5_S1A_jjP12ihipStream_tbEUljE_EEESV_SW_SX_S14_S18_S1A_T6_T7_T9_mT8_S1C_bDpT10_ENKUlT_T0_E_clISt17integral_constantIbLb0EES1P_EEDaS1K_S1L_EUlS1K_E_NS1_11comp_targetILNS1_3genE2ELNS1_11target_archE906ELNS1_3gpuE6ELNS1_3repE0EEENS1_30default_config_static_selectorELNS0_4arch9wavefront6targetE1EEEvSY_,comdat
	.globl	_ZN7rocprim17ROCPRIM_400000_NS6detail17trampoline_kernelINS0_13select_configILj256ELj13ELNS0_17block_load_methodE3ELS4_3ELS4_3ELNS0_20block_scan_algorithmE0ELj4294967295EEENS1_25partition_config_selectorILNS1_17partition_subalgoE3EjNS0_10empty_typeEbEEZZNS1_14partition_implILS8_3ELb0ES6_jNS0_17counting_iteratorIjlEEPS9_SE_NS0_5tupleIJPjSE_EEENSF_IJSE_SE_EEES9_SG_JZNS1_25segmented_radix_sort_implINS0_14default_configELb0EPKdPdPKlPlN2at6native12_GLOBAL__N_18offset_tEEE10hipError_tPvRmT1_PNSt15iterator_traitsISY_E10value_typeET2_T3_PNSZ_IS14_E10value_typeET4_jRbjT5_S1A_jjP12ihipStream_tbEUljE_EEESV_SW_SX_S14_S18_S1A_T6_T7_T9_mT8_S1C_bDpT10_ENKUlT_T0_E_clISt17integral_constantIbLb0EES1P_EEDaS1K_S1L_EUlS1K_E_NS1_11comp_targetILNS1_3genE2ELNS1_11target_archE906ELNS1_3gpuE6ELNS1_3repE0EEENS1_30default_config_static_selectorELNS0_4arch9wavefront6targetE1EEEvSY_ ; -- Begin function _ZN7rocprim17ROCPRIM_400000_NS6detail17trampoline_kernelINS0_13select_configILj256ELj13ELNS0_17block_load_methodE3ELS4_3ELS4_3ELNS0_20block_scan_algorithmE0ELj4294967295EEENS1_25partition_config_selectorILNS1_17partition_subalgoE3EjNS0_10empty_typeEbEEZZNS1_14partition_implILS8_3ELb0ES6_jNS0_17counting_iteratorIjlEEPS9_SE_NS0_5tupleIJPjSE_EEENSF_IJSE_SE_EEES9_SG_JZNS1_25segmented_radix_sort_implINS0_14default_configELb0EPKdPdPKlPlN2at6native12_GLOBAL__N_18offset_tEEE10hipError_tPvRmT1_PNSt15iterator_traitsISY_E10value_typeET2_T3_PNSZ_IS14_E10value_typeET4_jRbjT5_S1A_jjP12ihipStream_tbEUljE_EEESV_SW_SX_S14_S18_S1A_T6_T7_T9_mT8_S1C_bDpT10_ENKUlT_T0_E_clISt17integral_constantIbLb0EES1P_EEDaS1K_S1L_EUlS1K_E_NS1_11comp_targetILNS1_3genE2ELNS1_11target_archE906ELNS1_3gpuE6ELNS1_3repE0EEENS1_30default_config_static_selectorELNS0_4arch9wavefront6targetE1EEEvSY_
	.p2align	8
	.type	_ZN7rocprim17ROCPRIM_400000_NS6detail17trampoline_kernelINS0_13select_configILj256ELj13ELNS0_17block_load_methodE3ELS4_3ELS4_3ELNS0_20block_scan_algorithmE0ELj4294967295EEENS1_25partition_config_selectorILNS1_17partition_subalgoE3EjNS0_10empty_typeEbEEZZNS1_14partition_implILS8_3ELb0ES6_jNS0_17counting_iteratorIjlEEPS9_SE_NS0_5tupleIJPjSE_EEENSF_IJSE_SE_EEES9_SG_JZNS1_25segmented_radix_sort_implINS0_14default_configELb0EPKdPdPKlPlN2at6native12_GLOBAL__N_18offset_tEEE10hipError_tPvRmT1_PNSt15iterator_traitsISY_E10value_typeET2_T3_PNSZ_IS14_E10value_typeET4_jRbjT5_S1A_jjP12ihipStream_tbEUljE_EEESV_SW_SX_S14_S18_S1A_T6_T7_T9_mT8_S1C_bDpT10_ENKUlT_T0_E_clISt17integral_constantIbLb0EES1P_EEDaS1K_S1L_EUlS1K_E_NS1_11comp_targetILNS1_3genE2ELNS1_11target_archE906ELNS1_3gpuE6ELNS1_3repE0EEENS1_30default_config_static_selectorELNS0_4arch9wavefront6targetE1EEEvSY_,@function
_ZN7rocprim17ROCPRIM_400000_NS6detail17trampoline_kernelINS0_13select_configILj256ELj13ELNS0_17block_load_methodE3ELS4_3ELS4_3ELNS0_20block_scan_algorithmE0ELj4294967295EEENS1_25partition_config_selectorILNS1_17partition_subalgoE3EjNS0_10empty_typeEbEEZZNS1_14partition_implILS8_3ELb0ES6_jNS0_17counting_iteratorIjlEEPS9_SE_NS0_5tupleIJPjSE_EEENSF_IJSE_SE_EEES9_SG_JZNS1_25segmented_radix_sort_implINS0_14default_configELb0EPKdPdPKlPlN2at6native12_GLOBAL__N_18offset_tEEE10hipError_tPvRmT1_PNSt15iterator_traitsISY_E10value_typeET2_T3_PNSZ_IS14_E10value_typeET4_jRbjT5_S1A_jjP12ihipStream_tbEUljE_EEESV_SW_SX_S14_S18_S1A_T6_T7_T9_mT8_S1C_bDpT10_ENKUlT_T0_E_clISt17integral_constantIbLb0EES1P_EEDaS1K_S1L_EUlS1K_E_NS1_11comp_targetILNS1_3genE2ELNS1_11target_archE906ELNS1_3gpuE6ELNS1_3repE0EEENS1_30default_config_static_selectorELNS0_4arch9wavefront6targetE1EEEvSY_: ; @_ZN7rocprim17ROCPRIM_400000_NS6detail17trampoline_kernelINS0_13select_configILj256ELj13ELNS0_17block_load_methodE3ELS4_3ELS4_3ELNS0_20block_scan_algorithmE0ELj4294967295EEENS1_25partition_config_selectorILNS1_17partition_subalgoE3EjNS0_10empty_typeEbEEZZNS1_14partition_implILS8_3ELb0ES6_jNS0_17counting_iteratorIjlEEPS9_SE_NS0_5tupleIJPjSE_EEENSF_IJSE_SE_EEES9_SG_JZNS1_25segmented_radix_sort_implINS0_14default_configELb0EPKdPdPKlPlN2at6native12_GLOBAL__N_18offset_tEEE10hipError_tPvRmT1_PNSt15iterator_traitsISY_E10value_typeET2_T3_PNSZ_IS14_E10value_typeET4_jRbjT5_S1A_jjP12ihipStream_tbEUljE_EEESV_SW_SX_S14_S18_S1A_T6_T7_T9_mT8_S1C_bDpT10_ENKUlT_T0_E_clISt17integral_constantIbLb0EES1P_EEDaS1K_S1L_EUlS1K_E_NS1_11comp_targetILNS1_3genE2ELNS1_11target_archE906ELNS1_3gpuE6ELNS1_3repE0EEENS1_30default_config_static_selectorELNS0_4arch9wavefront6targetE1EEEvSY_
; %bb.0:
	s_load_dwordx2 s[28:29], s[4:5], 0x58
	s_load_dwordx4 s[24:27], s[4:5], 0x48
	s_load_dword s12, s[4:5], 0x8
	s_load_dwordx2 s[30:31], s[4:5], 0x10
	s_load_dword s0, s[4:5], 0x70
	s_load_dword s7, s[4:5], 0x88
	s_load_dwordx4 s[8:11], s[4:5], 0x78
	s_waitcnt lgkmcnt(0)
	s_load_dwordx2 s[34:35], s[26:27], 0x0
	s_mul_i32 s44, s6, 0xd00
	s_add_i32 s2, s0, -1
	s_mulk_i32 s0, 0xd00
	s_add_i32 s1, s0, s30
	s_sub_i32 s33, s28, s1
	s_addk_i32 s33, 0xd00
	s_add_u32 s0, s30, s0
	s_addc_u32 s1, s31, 0
	v_mov_b32_e32 v2, s1
	v_mov_b32_e32 v1, s0
	s_cmp_eq_u32 s6, s2
	v_cmp_gt_u64_e32 vcc, s[28:29], v[1:2]
	s_cselect_b64 s[22:23], -1, 0
	s_cmp_lg_u32 s6, s2
	s_cselect_b64 s[0:1], -1, 0
	s_add_i32 s12, s12, s44
	s_or_b64 s[2:3], s[0:1], vcc
	s_add_i32 s12, s12, s30
	s_mov_b64 s[0:1], -1
	s_and_b64 vcc, exec, s[2:3]
	v_add_u32_e32 v1, s12, v0
	v_lshlrev_b32_e32 v23, 2, v0
	s_cbranch_vccz .LBB1193_2
; %bb.1:
	v_add_u32_e32 v2, 0x100, v1
	v_add_u32_e32 v3, 0x200, v1
	;; [unrolled: 1-line block ×12, first 2 shown]
	ds_write2st64_b32 v23, v1, v2 offset1:4
	ds_write2st64_b32 v23, v3, v4 offset0:8 offset1:12
	ds_write2st64_b32 v23, v5, v6 offset0:16 offset1:20
	;; [unrolled: 1-line block ×5, first 2 shown]
	ds_write_b32 v23, v13 offset:12288
	s_waitcnt lgkmcnt(0)
	s_barrier
	s_mov_b64 s[0:1], 0
.LBB1193_2:
	s_andn2_b64 vcc, exec, s[0:1]
	v_cmp_gt_u32_e64 s[0:1], s33, v0
	s_cbranch_vccnz .LBB1193_4
; %bb.3:
	v_or_b32_e32 v2, 0x100, v0
	v_add_u32_e32 v3, s12, v2
	v_cmp_gt_u32_e32 vcc, s33, v2
	v_cndmask_b32_e32 v2, 0, v3, vcc
	v_or_b32_e32 v3, 0x200, v0
	v_add_u32_e32 v4, s12, v3
	v_cmp_gt_u32_e32 vcc, s33, v3
	v_cndmask_b32_e32 v3, 0, v4, vcc
	;; [unrolled: 4-line block ×11, first 2 shown]
	v_or_b32_e32 v13, 0xc00, v0
	v_cndmask_b32_e64 v1, 0, v1, s[0:1]
	v_add_u32_e32 v14, s12, v13
	v_cmp_gt_u32_e32 vcc, s33, v13
	v_cndmask_b32_e32 v13, 0, v14, vcc
	ds_write2st64_b32 v23, v1, v2 offset1:4
	ds_write2st64_b32 v23, v3, v4 offset0:8 offset1:12
	ds_write2st64_b32 v23, v5, v6 offset0:16 offset1:20
	;; [unrolled: 1-line block ×5, first 2 shown]
	ds_write_b32 v23, v13 offset:12288
	s_waitcnt lgkmcnt(0)
	s_barrier
.LBB1193_4:
	v_mul_u32_u24_e32 v25, 13, v0
	v_lshlrev_b32_e32 v1, 2, v25
	s_waitcnt lgkmcnt(0)
	ds_read2_b32 v[13:14], v1 offset1:1
	ds_read2_b32 v[11:12], v1 offset0:2 offset1:3
	ds_read2_b32 v[9:10], v1 offset0:4 offset1:5
	;; [unrolled: 1-line block ×5, first 2 shown]
	ds_read_b32 v24, v1 offset:48
	v_cndmask_b32_e64 v1, 0, 1, s[2:3]
	v_cmp_ne_u32_e64 s[0:1], 1, v1
	s_andn2_b64 vcc, exec, s[2:3]
	s_waitcnt lgkmcnt(0)
	s_barrier
	s_cbranch_vccnz .LBB1193_6
; %bb.5:
	v_add_u32_e32 v1, s9, v13
	v_add_u32_e32 v2, s11, v13
	v_mul_lo_u32 v1, v1, s8
	v_mul_lo_u32 v2, v2, s10
	v_add_u32_e32 v15, s9, v11
	v_add_u32_e32 v16, s11, v11
	v_mul_lo_u32 v15, v15, s8
	v_sub_u32_e32 v1, v1, v2
	v_cmp_lt_u32_e32 vcc, s7, v1
	v_add_u32_e32 v1, s9, v14
	v_add_u32_e32 v2, s11, v14
	v_mul_lo_u32 v1, v1, s8
	v_mul_lo_u32 v2, v2, s10
	v_mul_lo_u32 v16, v16, s10
	v_cndmask_b32_e64 v26, 0, 1, vcc
	v_sub_u32_e32 v1, v1, v2
	v_cmp_lt_u32_e32 vcc, s7, v1
	v_sub_u32_e32 v1, v15, v16
	v_cndmask_b32_e64 v27, 0, 1, vcc
	v_cmp_lt_u32_e32 vcc, s7, v1
	v_add_u32_e32 v1, s9, v12
	v_add_u32_e32 v2, s11, v12
	v_mul_lo_u32 v1, v1, s8
	v_mul_lo_u32 v2, v2, s10
	v_add_u32_e32 v15, s9, v9
	v_add_u32_e32 v16, s11, v9
	v_mul_lo_u32 v15, v15, s8
	v_mul_lo_u32 v16, v16, s10
	v_sub_u32_e32 v1, v1, v2
	v_cndmask_b32_e64 v28, 0, 1, vcc
	v_cmp_lt_u32_e32 vcc, s7, v1
	v_sub_u32_e32 v1, v15, v16
	v_cndmask_b32_e64 v29, 0, 1, vcc
	v_cmp_lt_u32_e32 vcc, s7, v1
	v_add_u32_e32 v1, s9, v10
	v_add_u32_e32 v2, s11, v10
	v_mul_lo_u32 v1, v1, s8
	v_mul_lo_u32 v2, v2, s10
	v_add_u32_e32 v15, s9, v7
	v_add_u32_e32 v16, s11, v7
	v_mul_lo_u32 v15, v15, s8
	v_mul_lo_u32 v16, v16, s10
	v_sub_u32_e32 v1, v1, v2
	v_cndmask_b32_e64 v30, 0, 1, vcc
	;; [unrolled: 14-line block ×5, first 2 shown]
	v_cmp_lt_u32_e32 vcc, s7, v1
	v_sub_u32_e32 v1, v15, v16
	v_cndmask_b32_e64 v37, 0, 1, vcc
	v_cmp_lt_u32_e64 s[38:39], s7, v1
	s_load_dwordx2 s[26:27], s[4:5], 0x28
	s_load_dwordx2 s[36:37], s[4:5], 0x68
	s_cbranch_execz .LBB1193_7
	s_branch .LBB1193_34
.LBB1193_6:
                                        ; implicit-def: $sgpr38_sgpr39
                                        ; implicit-def: $vgpr37
                                        ; implicit-def: $vgpr36
                                        ; implicit-def: $vgpr35
                                        ; implicit-def: $vgpr34
                                        ; implicit-def: $vgpr33
                                        ; implicit-def: $vgpr32
                                        ; implicit-def: $vgpr31
                                        ; implicit-def: $vgpr30
                                        ; implicit-def: $vgpr26
                                        ; implicit-def: $vgpr27
                                        ; implicit-def: $vgpr28
                                        ; implicit-def: $vgpr29
	s_load_dwordx2 s[26:27], s[4:5], 0x28
	s_load_dwordx2 s[36:37], s[4:5], 0x68
.LBB1193_7:
	v_cmp_gt_u32_e32 vcc, s33, v25
	v_mov_b32_e32 v27, 0
	v_mov_b32_e32 v26, 0
	s_and_saveexec_b64 s[2:3], vcc
	s_cbranch_execz .LBB1193_9
; %bb.8:
	v_add_u32_e32 v1, s9, v13
	v_add_u32_e32 v2, s11, v13
	v_mul_lo_u32 v1, v1, s8
	v_mul_lo_u32 v2, v2, s10
	v_sub_u32_e32 v1, v1, v2
	v_cmp_lt_u32_e32 vcc, s7, v1
	v_cndmask_b32_e64 v26, 0, 1, vcc
.LBB1193_9:
	s_or_b64 exec, exec, s[2:3]
	v_add_u32_e32 v1, 1, v25
	v_cmp_gt_u32_e32 vcc, s33, v1
	s_and_saveexec_b64 s[2:3], vcc
	s_cbranch_execz .LBB1193_11
; %bb.10:
	v_add_u32_e32 v1, s9, v14
	v_add_u32_e32 v2, s11, v14
	v_mul_lo_u32 v1, v1, s8
	v_mul_lo_u32 v2, v2, s10
	v_sub_u32_e32 v1, v1, v2
	v_cmp_lt_u32_e32 vcc, s7, v1
	v_cndmask_b32_e64 v27, 0, 1, vcc
.LBB1193_11:
	s_or_b64 exec, exec, s[2:3]
	v_add_u32_e32 v1, 2, v25
	v_cmp_gt_u32_e32 vcc, s33, v1
	v_mov_b32_e32 v29, 0
	v_mov_b32_e32 v28, 0
	s_and_saveexec_b64 s[2:3], vcc
	s_cbranch_execz .LBB1193_13
; %bb.12:
	v_add_u32_e32 v1, s9, v11
	v_add_u32_e32 v2, s11, v11
	v_mul_lo_u32 v1, v1, s8
	v_mul_lo_u32 v2, v2, s10
	v_sub_u32_e32 v1, v1, v2
	v_cmp_lt_u32_e32 vcc, s7, v1
	v_cndmask_b32_e64 v28, 0, 1, vcc
.LBB1193_13:
	s_or_b64 exec, exec, s[2:3]
	v_add_u32_e32 v1, 3, v25
	v_cmp_gt_u32_e32 vcc, s33, v1
	s_and_saveexec_b64 s[2:3], vcc
	s_cbranch_execz .LBB1193_15
; %bb.14:
	v_add_u32_e32 v1, s9, v12
	v_add_u32_e32 v2, s11, v12
	v_mul_lo_u32 v1, v1, s8
	v_mul_lo_u32 v2, v2, s10
	v_sub_u32_e32 v1, v1, v2
	v_cmp_lt_u32_e32 vcc, s7, v1
	v_cndmask_b32_e64 v29, 0, 1, vcc
.LBB1193_15:
	s_or_b64 exec, exec, s[2:3]
	v_add_u32_e32 v1, 4, v25
	;; [unrolled: 30-line block ×6, first 2 shown]
	v_cmp_gt_u32_e32 vcc, s33, v1
	s_mov_b64 s[38:39], 0
	s_and_saveexec_b64 s[2:3], vcc
	s_cbranch_execz .LBB1193_33
; %bb.32:
	v_add_u32_e32 v1, s9, v24
	v_add_u32_e32 v2, s11, v24
	v_mul_lo_u32 v1, v1, s8
	v_mul_lo_u32 v2, v2, s10
	v_sub_u32_e32 v1, v1, v2
	v_cmp_lt_u32_e32 vcc, s7, v1
	s_and_b64 s[38:39], vcc, exec
.LBB1193_33:
	s_or_b64 exec, exec, s[2:3]
.LBB1193_34:
	v_and_b32_e32 v40, 0xff, v27
	v_and_b32_e32 v41, 0xff, v28
	;; [unrolled: 1-line block ×5, first 2 shown]
	v_add3_u32 v2, v41, v42, v40
	v_and_b32_e32 v44, 0xff, v31
	v_and_b32_e32 v45, 0xff, v32
	v_add3_u32 v2, v2, v39, v43
	v_and_b32_e32 v46, 0xff, v33
	v_and_b32_e32 v47, 0xff, v34
	v_add3_u32 v2, v2, v44, v45
	v_and_b32_e32 v48, 0xff, v35
	v_and_b32_e32 v49, 0xff, v36
	v_add3_u32 v2, v2, v46, v47
	v_and_b32_e32 v38, 0xff, v37
	v_cndmask_b32_e64 v1, 0, 1, s[38:39]
	v_add3_u32 v2, v2, v48, v49
	v_add3_u32 v52, v2, v38, v1
	v_mbcnt_lo_u32_b32 v1, -1, 0
	v_mbcnt_hi_u32_b32 v50, -1, v1
	v_and_b32_e32 v1, 15, v50
	v_cmp_eq_u32_e64 s[14:15], 0, v1
	v_cmp_lt_u32_e64 s[12:13], 1, v1
	v_cmp_lt_u32_e64 s[10:11], 3, v1
	v_cmp_lt_u32_e64 s[8:9], 7, v1
	v_and_b32_e32 v1, 16, v50
	v_cmp_eq_u32_e64 s[18:19], 0, v1
	v_or_b32_e32 v1, 63, v0
	s_cmp_lg_u32 s6, 0
	v_cmp_lt_u32_e64 s[2:3], 31, v50
	v_lshrrev_b32_e32 v51, 6, v0
	v_cmp_eq_u32_e64 s[4:5], v0, v1
	s_cbranch_scc0 .LBB1193_56
; %bb.35:
	v_mov_b32_dpp v1, v52 row_shr:1 row_mask:0xf bank_mask:0xf
	v_cndmask_b32_e64 v1, v1, 0, s[14:15]
	v_add_u32_e32 v1, v1, v52
	s_nop 1
	v_mov_b32_dpp v2, v1 row_shr:2 row_mask:0xf bank_mask:0xf
	v_cndmask_b32_e64 v2, 0, v2, s[12:13]
	v_add_u32_e32 v1, v1, v2
	s_nop 1
	;; [unrolled: 4-line block ×4, first 2 shown]
	v_mov_b32_dpp v2, v1 row_bcast:15 row_mask:0xf bank_mask:0xf
	v_cndmask_b32_e64 v2, v2, 0, s[18:19]
	v_add_u32_e32 v1, v1, v2
	s_nop 1
	v_mov_b32_dpp v2, v1 row_bcast:31 row_mask:0xf bank_mask:0xf
	v_cndmask_b32_e64 v2, 0, v2, s[2:3]
	v_add_u32_e32 v1, v1, v2
	s_and_saveexec_b64 s[16:17], s[4:5]
; %bb.36:
	v_lshlrev_b32_e32 v2, 2, v51
	ds_write_b32 v2, v1
; %bb.37:
	s_or_b64 exec, exec, s[16:17]
	v_cmp_gt_u32_e32 vcc, 4, v0
	s_waitcnt lgkmcnt(0)
	s_barrier
	s_and_saveexec_b64 s[16:17], vcc
	s_cbranch_execz .LBB1193_39
; %bb.38:
	ds_read_b32 v2, v23
	v_and_b32_e32 v15, 3, v50
	v_cmp_ne_u32_e32 vcc, 0, v15
	s_waitcnt lgkmcnt(0)
	v_mov_b32_dpp v16, v2 row_shr:1 row_mask:0xf bank_mask:0xf
	v_cndmask_b32_e32 v16, 0, v16, vcc
	v_add_u32_e32 v2, v16, v2
	v_cmp_lt_u32_e32 vcc, 1, v15
	s_nop 0
	v_mov_b32_dpp v16, v2 row_shr:2 row_mask:0xf bank_mask:0xf
	v_cndmask_b32_e32 v15, 0, v16, vcc
	v_add_u32_e32 v2, v2, v15
	ds_write_b32 v23, v2
.LBB1193_39:
	s_or_b64 exec, exec, s[16:17]
	v_cmp_gt_u32_e32 vcc, 64, v0
	v_cmp_lt_u32_e64 s[16:17], 63, v0
	s_waitcnt lgkmcnt(0)
	s_barrier
                                        ; implicit-def: $vgpr53
	s_and_saveexec_b64 s[20:21], s[16:17]
	s_cbranch_execz .LBB1193_41
; %bb.40:
	v_lshl_add_u32 v2, v51, 2, -4
	ds_read_b32 v53, v2
	s_waitcnt lgkmcnt(0)
	v_add_u32_e32 v1, v53, v1
.LBB1193_41:
	s_or_b64 exec, exec, s[20:21]
	v_subrev_co_u32_e64 v2, s[16:17], 1, v50
	v_and_b32_e32 v15, 64, v50
	v_cmp_lt_i32_e64 s[20:21], v2, v15
	v_cndmask_b32_e64 v2, v2, v50, s[20:21]
	v_lshlrev_b32_e32 v2, 2, v2
	ds_bpermute_b32 v54, v2, v1
	s_and_saveexec_b64 s[20:21], vcc
	s_cbranch_execz .LBB1193_61
; %bb.42:
	v_mov_b32_e32 v19, 0
	ds_read_b32 v1, v19 offset:12
	s_and_saveexec_b64 s[40:41], s[16:17]
	s_cbranch_execz .LBB1193_44
; %bb.43:
	s_add_i32 s42, s6, 64
	s_mov_b32 s43, 0
	s_lshl_b64 s[42:43], s[42:43], 3
	s_add_u32 s42, s36, s42
	v_mov_b32_e32 v2, 1
	s_addc_u32 s43, s37, s43
	s_waitcnt lgkmcnt(0)
	global_store_dwordx2 v19, v[1:2], s[42:43]
.LBB1193_44:
	s_or_b64 exec, exec, s[40:41]
	v_xad_u32 v15, v50, -1, s6
	v_add_u32_e32 v18, 64, v15
	v_lshlrev_b64 v[16:17], 3, v[18:19]
	v_mov_b32_e32 v2, s37
	v_add_co_u32_e32 v20, vcc, s36, v16
	v_addc_co_u32_e32 v21, vcc, v2, v17, vcc
	global_load_dwordx2 v[17:18], v[20:21], off glc
	s_waitcnt vmcnt(0)
	v_cmp_eq_u16_sdwa s[42:43], v18, v19 src0_sel:BYTE_0 src1_sel:DWORD
	s_and_saveexec_b64 s[40:41], s[42:43]
	s_cbranch_execz .LBB1193_48
; %bb.45:
	s_mov_b64 s[42:43], 0
	v_mov_b32_e32 v2, 0
.LBB1193_46:                            ; =>This Inner Loop Header: Depth=1
	global_load_dwordx2 v[17:18], v[20:21], off glc
	s_waitcnt vmcnt(0)
	v_cmp_ne_u16_sdwa s[46:47], v18, v2 src0_sel:BYTE_0 src1_sel:DWORD
	s_or_b64 s[42:43], s[46:47], s[42:43]
	s_andn2_b64 exec, exec, s[42:43]
	s_cbranch_execnz .LBB1193_46
; %bb.47:
	s_or_b64 exec, exec, s[42:43]
.LBB1193_48:
	s_or_b64 exec, exec, s[40:41]
	v_and_b32_e32 v56, 63, v50
	v_mov_b32_e32 v55, 2
	v_lshlrev_b64 v[19:20], v50, -1
	v_cmp_ne_u32_e32 vcc, 63, v56
	v_cmp_eq_u16_sdwa s[40:41], v18, v55 src0_sel:BYTE_0 src1_sel:DWORD
	v_addc_co_u32_e32 v21, vcc, 0, v50, vcc
	v_and_b32_e32 v2, s41, v20
	v_lshlrev_b32_e32 v57, 2, v21
	v_or_b32_e32 v2, 0x80000000, v2
	ds_bpermute_b32 v21, v57, v17
	v_and_b32_e32 v16, s40, v19
	v_ffbl_b32_e32 v2, v2
	v_add_u32_e32 v2, 32, v2
	v_ffbl_b32_e32 v16, v16
	v_min_u32_e32 v2, v16, v2
	v_cmp_lt_u32_e32 vcc, v56, v2
	s_waitcnt lgkmcnt(0)
	v_cndmask_b32_e32 v16, 0, v21, vcc
	v_cmp_gt_u32_e32 vcc, 62, v56
	v_add_u32_e32 v16, v16, v17
	v_cndmask_b32_e64 v17, 0, 2, vcc
	v_add_lshl_u32 v58, v17, v50, 2
	ds_bpermute_b32 v17, v58, v16
	v_add_u32_e32 v59, 2, v56
	v_cmp_le_u32_e32 vcc, v59, v2
	v_add_u32_e32 v61, 4, v56
	v_add_u32_e32 v63, 8, v56
	s_waitcnt lgkmcnt(0)
	v_cndmask_b32_e32 v17, 0, v17, vcc
	v_cmp_gt_u32_e32 vcc, 60, v56
	v_add_u32_e32 v16, v16, v17
	v_cndmask_b32_e64 v17, 0, 4, vcc
	v_add_lshl_u32 v60, v17, v50, 2
	ds_bpermute_b32 v17, v60, v16
	v_cmp_le_u32_e32 vcc, v61, v2
	v_add_u32_e32 v65, 16, v56
	v_add_u32_e32 v67, 32, v56
	s_waitcnt lgkmcnt(0)
	v_cndmask_b32_e32 v17, 0, v17, vcc
	v_cmp_gt_u32_e32 vcc, 56, v56
	v_add_u32_e32 v16, v16, v17
	v_cndmask_b32_e64 v17, 0, 8, vcc
	v_add_lshl_u32 v62, v17, v50, 2
	ds_bpermute_b32 v17, v62, v16
	v_cmp_le_u32_e32 vcc, v63, v2
	s_waitcnt lgkmcnt(0)
	v_cndmask_b32_e32 v17, 0, v17, vcc
	v_cmp_gt_u32_e32 vcc, 48, v56
	v_add_u32_e32 v16, v16, v17
	v_cndmask_b32_e64 v17, 0, 16, vcc
	v_add_lshl_u32 v64, v17, v50, 2
	ds_bpermute_b32 v17, v64, v16
	v_cmp_le_u32_e32 vcc, v65, v2
	s_waitcnt lgkmcnt(0)
	v_cndmask_b32_e32 v17, 0, v17, vcc
	v_add_u32_e32 v16, v16, v17
	v_mov_b32_e32 v17, 0x80
	v_lshl_or_b32 v66, v50, 2, v17
	ds_bpermute_b32 v17, v66, v16
	v_cmp_le_u32_e32 vcc, v67, v2
	s_waitcnt lgkmcnt(0)
	v_cndmask_b32_e32 v2, 0, v17, vcc
	v_add_u32_e32 v17, v16, v2
	v_mov_b32_e32 v16, 0
	s_branch .LBB1193_52
.LBB1193_49:                            ;   in Loop: Header=BB1193_52 Depth=1
	s_or_b64 exec, exec, s[42:43]
.LBB1193_50:                            ;   in Loop: Header=BB1193_52 Depth=1
	s_or_b64 exec, exec, s[40:41]
	v_cmp_eq_u16_sdwa s[40:41], v18, v55 src0_sel:BYTE_0 src1_sel:DWORD
	v_and_b32_e32 v21, s41, v20
	v_or_b32_e32 v21, 0x80000000, v21
	ds_bpermute_b32 v68, v57, v17
	v_and_b32_e32 v22, s40, v19
	v_ffbl_b32_e32 v21, v21
	v_add_u32_e32 v21, 32, v21
	v_ffbl_b32_e32 v22, v22
	v_min_u32_e32 v21, v22, v21
	v_cmp_lt_u32_e32 vcc, v56, v21
	s_waitcnt lgkmcnt(0)
	v_cndmask_b32_e32 v22, 0, v68, vcc
	v_add_u32_e32 v17, v22, v17
	ds_bpermute_b32 v22, v58, v17
	v_cmp_le_u32_e32 vcc, v59, v21
	v_subrev_u32_e32 v15, 64, v15
	s_mov_b64 s[40:41], 0
	s_waitcnt lgkmcnt(0)
	v_cndmask_b32_e32 v22, 0, v22, vcc
	v_add_u32_e32 v17, v17, v22
	ds_bpermute_b32 v22, v60, v17
	v_cmp_le_u32_e32 vcc, v61, v21
	s_waitcnt lgkmcnt(0)
	v_cndmask_b32_e32 v22, 0, v22, vcc
	v_add_u32_e32 v17, v17, v22
	ds_bpermute_b32 v22, v62, v17
	v_cmp_le_u32_e32 vcc, v63, v21
	;; [unrolled: 5-line block ×4, first 2 shown]
	s_waitcnt lgkmcnt(0)
	v_cndmask_b32_e32 v21, 0, v22, vcc
	v_add3_u32 v17, v21, v2, v17
.LBB1193_51:                            ;   in Loop: Header=BB1193_52 Depth=1
	s_and_b64 vcc, exec, s[40:41]
	s_cbranch_vccnz .LBB1193_57
.LBB1193_52:                            ; =>This Loop Header: Depth=1
                                        ;     Child Loop BB1193_55 Depth 2
	v_cmp_ne_u16_sdwa s[40:41], v18, v55 src0_sel:BYTE_0 src1_sel:DWORD
	v_mov_b32_e32 v2, v17
	s_cmp_lg_u64 s[40:41], exec
	s_mov_b64 s[40:41], -1
                                        ; implicit-def: $vgpr17
                                        ; implicit-def: $vgpr18
	s_cbranch_scc1 .LBB1193_51
; %bb.53:                               ;   in Loop: Header=BB1193_52 Depth=1
	v_lshlrev_b64 v[17:18], 3, v[15:16]
	v_mov_b32_e32 v22, s37
	v_add_co_u32_e32 v21, vcc, s36, v17
	v_addc_co_u32_e32 v22, vcc, v22, v18, vcc
	global_load_dwordx2 v[17:18], v[21:22], off glc
	s_waitcnt vmcnt(0)
	v_cmp_eq_u16_sdwa s[42:43], v18, v16 src0_sel:BYTE_0 src1_sel:DWORD
	s_and_saveexec_b64 s[40:41], s[42:43]
	s_cbranch_execz .LBB1193_50
; %bb.54:                               ;   in Loop: Header=BB1193_52 Depth=1
	s_mov_b64 s[42:43], 0
.LBB1193_55:                            ;   Parent Loop BB1193_52 Depth=1
                                        ; =>  This Inner Loop Header: Depth=2
	global_load_dwordx2 v[17:18], v[21:22], off glc
	s_waitcnt vmcnt(0)
	v_cmp_ne_u16_sdwa s[46:47], v18, v16 src0_sel:BYTE_0 src1_sel:DWORD
	s_or_b64 s[42:43], s[46:47], s[42:43]
	s_andn2_b64 exec, exec, s[42:43]
	s_cbranch_execnz .LBB1193_55
	s_branch .LBB1193_49
.LBB1193_56:
                                        ; implicit-def: $vgpr2
                                        ; implicit-def: $vgpr15
	s_cbranch_execnz .LBB1193_62
	s_branch .LBB1193_71
.LBB1193_57:
	s_and_saveexec_b64 s[40:41], s[16:17]
	s_cbranch_execz .LBB1193_59
; %bb.58:
	s_add_i32 s6, s6, 64
	s_mov_b32 s7, 0
	s_lshl_b64 s[6:7], s[6:7], 3
	s_add_u32 s6, s36, s6
	v_add_u32_e32 v15, v2, v1
	v_mov_b32_e32 v16, 2
	s_addc_u32 s7, s37, s7
	v_mov_b32_e32 v17, 0
	global_store_dwordx2 v17, v[15:16], s[6:7]
	ds_write_b64 v17, v[1:2] offset:13312
.LBB1193_59:
	s_or_b64 exec, exec, s[40:41]
	v_cmp_eq_u32_e32 vcc, 0, v0
	s_and_b64 exec, exec, vcc
; %bb.60:
	v_mov_b32_e32 v1, 0
	ds_write_b32 v1, v2 offset:12
.LBB1193_61:
	s_or_b64 exec, exec, s[20:21]
	v_mov_b32_e32 v1, 0
	s_waitcnt vmcnt(0) lgkmcnt(0)
	s_barrier
	ds_read_b32 v16, v1 offset:12
	s_waitcnt lgkmcnt(0)
	s_barrier
	ds_read_b64 v[1:2], v1 offset:13312
	v_cndmask_b32_e64 v15, v54, v53, s[16:17]
	v_cmp_ne_u32_e32 vcc, 0, v0
	v_cndmask_b32_e32 v15, 0, v15, vcc
	v_add_u32_e32 v15, v16, v15
	s_branch .LBB1193_71
.LBB1193_62:
	s_waitcnt lgkmcnt(0)
	v_mov_b32_dpp v1, v52 row_shr:1 row_mask:0xf bank_mask:0xf
	v_cndmask_b32_e64 v1, v1, 0, s[14:15]
	v_add_u32_e32 v1, v1, v52
	s_nop 1
	v_mov_b32_dpp v2, v1 row_shr:2 row_mask:0xf bank_mask:0xf
	v_cndmask_b32_e64 v2, 0, v2, s[12:13]
	v_add_u32_e32 v1, v1, v2
	s_nop 1
	;; [unrolled: 4-line block ×4, first 2 shown]
	v_mov_b32_dpp v2, v1 row_bcast:15 row_mask:0xf bank_mask:0xf
	v_cndmask_b32_e64 v2, v2, 0, s[18:19]
	v_add_u32_e32 v1, v1, v2
	s_nop 1
	v_mov_b32_dpp v2, v1 row_bcast:31 row_mask:0xf bank_mask:0xf
	v_cndmask_b32_e64 v2, 0, v2, s[2:3]
	v_add_u32_e32 v1, v1, v2
	s_and_saveexec_b64 s[2:3], s[4:5]
; %bb.63:
	v_lshlrev_b32_e32 v2, 2, v51
	ds_write_b32 v2, v1
; %bb.64:
	s_or_b64 exec, exec, s[2:3]
	v_cmp_gt_u32_e32 vcc, 4, v0
	s_waitcnt lgkmcnt(0)
	s_barrier
	s_and_saveexec_b64 s[2:3], vcc
	s_cbranch_execz .LBB1193_66
; %bb.65:
	ds_read_b32 v2, v23
	v_and_b32_e32 v15, 3, v50
	v_cmp_ne_u32_e32 vcc, 0, v15
	s_waitcnt lgkmcnt(0)
	v_mov_b32_dpp v16, v2 row_shr:1 row_mask:0xf bank_mask:0xf
	v_cndmask_b32_e32 v16, 0, v16, vcc
	v_add_u32_e32 v2, v16, v2
	v_cmp_lt_u32_e32 vcc, 1, v15
	s_nop 0
	v_mov_b32_dpp v16, v2 row_shr:2 row_mask:0xf bank_mask:0xf
	v_cndmask_b32_e32 v15, 0, v16, vcc
	v_add_u32_e32 v2, v2, v15
	ds_write_b32 v23, v2
.LBB1193_66:
	s_or_b64 exec, exec, s[2:3]
	v_cmp_lt_u32_e32 vcc, 63, v0
	v_mov_b32_e32 v2, 0
	v_mov_b32_e32 v15, 0
	s_waitcnt lgkmcnt(0)
	s_barrier
	s_and_saveexec_b64 s[2:3], vcc
; %bb.67:
	v_lshl_add_u32 v15, v51, 2, -4
	ds_read_b32 v15, v15
; %bb.68:
	s_or_b64 exec, exec, s[2:3]
	v_subrev_co_u32_e32 v16, vcc, 1, v50
	v_and_b32_e32 v17, 64, v50
	v_cmp_lt_i32_e64 s[2:3], v16, v17
	v_cndmask_b32_e64 v16, v16, v50, s[2:3]
	s_waitcnt lgkmcnt(0)
	v_add_u32_e32 v1, v15, v1
	v_lshlrev_b32_e32 v16, 2, v16
	ds_bpermute_b32 v16, v16, v1
	ds_read_b32 v1, v2 offset:12
	v_cmp_eq_u32_e64 s[2:3], 0, v0
	s_and_saveexec_b64 s[4:5], s[2:3]
	s_cbranch_execz .LBB1193_70
; %bb.69:
	v_mov_b32_e32 v17, 0
	v_mov_b32_e32 v2, 2
	s_waitcnt lgkmcnt(0)
	global_store_dwordx2 v17, v[1:2], s[36:37] offset:512
.LBB1193_70:
	s_or_b64 exec, exec, s[4:5]
	s_waitcnt lgkmcnt(1)
	v_cndmask_b32_e32 v2, v16, v15, vcc
	v_cndmask_b32_e64 v15, v2, 0, s[2:3]
	s_waitcnt vmcnt(0) lgkmcnt(0)
	s_barrier
	v_mov_b32_e32 v2, 0
.LBB1193_71:
	v_add_u32_e32 v16, v15, v39
	v_add_u32_e32 v17, v16, v40
	;; [unrolled: 1-line block ×4, first 2 shown]
	s_waitcnt lgkmcnt(0)
	v_add_u32_e32 v25, v1, v25
	v_sub_u32_e32 v15, v15, v2
	v_and_b32_e32 v26, 1, v26
	v_add_u32_e32 v20, v19, v43
	v_sub_u32_e32 v43, v25, v15
	v_cmp_eq_u32_e32 vcc, 1, v26
	v_cndmask_b32_e32 v15, v43, v15, vcc
	v_lshlrev_b32_e32 v15, 2, v15
	ds_write_b32 v15, v13
	v_sub_u32_e32 v13, v16, v2
	v_sub_u32_e32 v15, v25, v13
	v_and_b32_e32 v16, 1, v27
	v_add_u32_e32 v15, 1, v15
	v_cmp_eq_u32_e32 vcc, 1, v16
	v_cndmask_b32_e32 v13, v15, v13, vcc
	v_lshlrev_b32_e32 v13, 2, v13
	ds_write_b32 v13, v14
	v_sub_u32_e32 v13, v17, v2
	v_sub_u32_e32 v14, v25, v13
	v_and_b32_e32 v15, 1, v28
	v_add_u32_e32 v14, 2, v14
	;; [unrolled: 8-line block ×5, first 2 shown]
	v_cmp_eq_u32_e32 vcc, 1, v12
	v_cndmask_b32_e32 v9, v11, v9, vcc
	v_add_u32_e32 v21, v20, v44
	v_lshlrev_b32_e32 v9, 2, v9
	ds_write_b32 v9, v10
	v_sub_u32_e32 v9, v21, v2
	v_sub_u32_e32 v10, v25, v9
	v_and_b32_e32 v11, 1, v32
	v_add_u32_e32 v10, 6, v10
	v_cmp_eq_u32_e32 vcc, 1, v11
	v_cndmask_b32_e32 v9, v10, v9, vcc
	v_add_u32_e32 v22, v21, v45
	v_lshlrev_b32_e32 v9, 2, v9
	ds_write_b32 v9, v7
	v_sub_u32_e32 v7, v22, v2
	v_sub_u32_e32 v9, v25, v7
	v_and_b32_e32 v10, 1, v33
	v_add_u32_e32 v9, 7, v9
	;; [unrolled: 9-line block ×6, first 2 shown]
	v_cmp_eq_u32_e32 vcc, 1, v6
	v_cndmask_b32_e32 v3, v5, v3, vcc
	v_lshlrev_b32_e32 v3, 2, v3
	ds_write_b32 v3, v4
	v_sub_u32_e32 v3, v38, v2
	v_add_u32_e32 v3, v42, v3
	v_sub_u32_e32 v4, v25, v3
	v_add_u32_e32 v4, 12, v4
	v_cndmask_b32_e64 v3, v4, v3, s[38:39]
	v_lshlrev_b32_e32 v3, 2, v3
	ds_write_b32 v3, v24
	s_waitcnt lgkmcnt(0)
	s_barrier
	ds_read2st64_b32 v[13:14], v23 offset1:4
	ds_read2st64_b32 v[11:12], v23 offset0:8 offset1:12
	ds_read2st64_b32 v[9:10], v23 offset0:16 offset1:20
	;; [unrolled: 1-line block ×5, first 2 shown]
	ds_read_b32 v19, v23 offset:12288
	v_mov_b32_e32 v15, s35
	s_and_b64 vcc, exec, s[0:1]
	v_add_co_u32_e64 v17, s[0:1], s34, v2
	v_or_b32_e32 v33, 0x100, v0
	v_or_b32_e32 v31, 0x200, v0
	;; [unrolled: 1-line block ×12, first 2 shown]
	v_addc_co_u32_e64 v18, s[0:1], 0, v15, s[0:1]
	s_cbranch_vccnz .LBB1193_125
; %bb.72:
	v_mov_b32_e32 v2, s31
	v_subrev_co_u32_e32 v15, vcc, s30, v17
	s_sub_u32 s0, s28, s44
	v_subb_co_u32_e32 v16, vcc, v18, v2, vcc
	s_subb_u32 s1, s29, 0
	v_mov_b32_e32 v2, s1
	v_add_co_u32_e32 v23, vcc, s0, v1
	v_addc_co_u32_e32 v32, vcc, 0, v2, vcc
	v_add_co_u32_e32 v2, vcc, v23, v15
	v_addc_co_u32_e32 v23, vcc, v32, v16, vcc
	v_cmp_ge_u32_e32 vcc, v0, v1
                                        ; implicit-def: $vgpr15_vgpr16
	s_and_saveexec_b64 s[0:1], vcc
	s_xor_b64 s[0:1], exec, s[0:1]
; %bb.73:
	v_not_b32_e32 v15, v0
	v_ashrrev_i32_e32 v16, 31, v15
	v_add_co_u32_e32 v15, vcc, v2, v15
	v_addc_co_u32_e32 v16, vcc, v23, v16, vcc
; %bb.74:
	s_andn2_saveexec_b64 s[0:1], s[0:1]
; %bb.75:
	v_add_co_u32_e32 v15, vcc, v17, v0
	v_addc_co_u32_e32 v16, vcc, 0, v18, vcc
; %bb.76:
	s_or_b64 exec, exec, s[0:1]
	v_lshlrev_b64 v[15:16], 2, v[15:16]
	v_mov_b32_e32 v32, s27
	v_add_co_u32_e32 v15, vcc, s26, v15
	v_addc_co_u32_e32 v16, vcc, v32, v16, vcc
	v_cmp_ge_u32_e32 vcc, v33, v1
	s_waitcnt lgkmcnt(6)
	global_store_dword v[15:16], v13, off
                                        ; implicit-def: $vgpr15_vgpr16
	s_and_saveexec_b64 s[0:1], vcc
	s_xor_b64 s[0:1], exec, s[0:1]
; %bb.77:
	v_xor_b32_e32 v15, 0xfffffeff, v0
	v_ashrrev_i32_e32 v16, 31, v15
	v_add_co_u32_e32 v15, vcc, v2, v15
	v_addc_co_u32_e32 v16, vcc, v23, v16, vcc
; %bb.78:
	s_andn2_saveexec_b64 s[0:1], s[0:1]
; %bb.79:
	v_add_co_u32_e32 v15, vcc, v17, v33
	v_addc_co_u32_e32 v16, vcc, 0, v18, vcc
; %bb.80:
	s_or_b64 exec, exec, s[0:1]
	v_lshlrev_b64 v[15:16], 2, v[15:16]
	v_mov_b32_e32 v32, s27
	v_add_co_u32_e32 v15, vcc, s26, v15
	v_addc_co_u32_e32 v16, vcc, v32, v16, vcc
	v_cmp_ge_u32_e32 vcc, v31, v1
	global_store_dword v[15:16], v14, off
                                        ; implicit-def: $vgpr15_vgpr16
	s_and_saveexec_b64 s[0:1], vcc
	s_xor_b64 s[0:1], exec, s[0:1]
; %bb.81:
	v_xor_b32_e32 v15, 0xfffffdff, v0
	v_ashrrev_i32_e32 v16, 31, v15
	v_add_co_u32_e32 v15, vcc, v2, v15
	v_addc_co_u32_e32 v16, vcc, v23, v16, vcc
; %bb.82:
	s_andn2_saveexec_b64 s[0:1], s[0:1]
; %bb.83:
	v_add_co_u32_e32 v15, vcc, v17, v31
	v_addc_co_u32_e32 v16, vcc, 0, v18, vcc
; %bb.84:
	s_or_b64 exec, exec, s[0:1]
	v_lshlrev_b64 v[15:16], 2, v[15:16]
	v_mov_b32_e32 v32, s27
	v_add_co_u32_e32 v15, vcc, s26, v15
	v_addc_co_u32_e32 v16, vcc, v32, v16, vcc
	v_cmp_ge_u32_e32 vcc, v30, v1
	s_waitcnt lgkmcnt(5)
	global_store_dword v[15:16], v11, off
                                        ; implicit-def: $vgpr15_vgpr16
	s_and_saveexec_b64 s[0:1], vcc
	s_xor_b64 s[0:1], exec, s[0:1]
; %bb.85:
	v_xor_b32_e32 v15, 0xfffffcff, v0
	v_ashrrev_i32_e32 v16, 31, v15
	v_add_co_u32_e32 v15, vcc, v2, v15
	v_addc_co_u32_e32 v16, vcc, v23, v16, vcc
; %bb.86:
	s_andn2_saveexec_b64 s[0:1], s[0:1]
; %bb.87:
	v_add_co_u32_e32 v15, vcc, v17, v30
	v_addc_co_u32_e32 v16, vcc, 0, v18, vcc
; %bb.88:
	s_or_b64 exec, exec, s[0:1]
	v_lshlrev_b64 v[15:16], 2, v[15:16]
	v_mov_b32_e32 v32, s27
	v_add_co_u32_e32 v15, vcc, s26, v15
	v_addc_co_u32_e32 v16, vcc, v32, v16, vcc
	v_cmp_ge_u32_e32 vcc, v29, v1
	global_store_dword v[15:16], v12, off
                                        ; implicit-def: $vgpr15_vgpr16
	s_and_saveexec_b64 s[0:1], vcc
	s_xor_b64 s[0:1], exec, s[0:1]
; %bb.89:
	v_xor_b32_e32 v15, 0xfffffbff, v0
	;; [unrolled: 43-line block ×6, first 2 shown]
	v_ashrrev_i32_e32 v16, 31, v15
	v_add_co_u32_e32 v15, vcc, v2, v15
	v_addc_co_u32_e32 v16, vcc, v23, v16, vcc
; %bb.122:
	s_andn2_saveexec_b64 s[0:1], s[0:1]
; %bb.123:
	v_add_co_u32_e32 v15, vcc, v17, v20
	v_addc_co_u32_e32 v16, vcc, 0, v18, vcc
; %bb.124:
	s_or_b64 exec, exec, s[0:1]
	s_mov_b64 s[0:1], -1
	s_branch .LBB1193_205
.LBB1193_125:
	s_mov_b64 s[0:1], 0
                                        ; implicit-def: $vgpr15_vgpr16
	s_cbranch_execz .LBB1193_205
; %bb.126:
	s_add_u32 s2, s30, s44
	s_addc_u32 s3, s31, 0
	s_sub_u32 s2, s28, s2
	s_subb_u32 s3, s29, s3
	v_mov_b32_e32 v2, s3
	v_add_co_u32_e32 v15, vcc, s2, v1
	v_addc_co_u32_e32 v2, vcc, 0, v2, vcc
	v_add_co_u32_e32 v23, vcc, v15, v17
	v_addc_co_u32_e32 v32, vcc, v2, v18, vcc
	v_cmp_gt_u32_e32 vcc, s33, v0
	s_and_saveexec_b64 s[2:3], vcc
	s_cbranch_execz .LBB1193_162
; %bb.127:
	v_cmp_ge_u32_e32 vcc, v0, v1
                                        ; implicit-def: $vgpr15_vgpr16
	s_and_saveexec_b64 s[4:5], vcc
	s_xor_b64 s[4:5], exec, s[4:5]
; %bb.128:
	v_not_b32_e32 v2, v0
	v_ashrrev_i32_e32 v16, 31, v2
	v_add_co_u32_e32 v15, vcc, v23, v2
	v_addc_co_u32_e32 v16, vcc, v32, v16, vcc
; %bb.129:
	s_andn2_saveexec_b64 s[4:5], s[4:5]
; %bb.130:
	v_add_co_u32_e32 v15, vcc, v17, v0
	v_addc_co_u32_e32 v16, vcc, 0, v18, vcc
; %bb.131:
	s_or_b64 exec, exec, s[4:5]
	v_lshlrev_b64 v[15:16], 2, v[15:16]
	v_mov_b32_e32 v2, s27
	v_add_co_u32_e32 v15, vcc, s26, v15
	v_addc_co_u32_e32 v16, vcc, v2, v16, vcc
	s_waitcnt lgkmcnt(6)
	global_store_dword v[15:16], v13, off
	s_or_b64 exec, exec, s[2:3]
	v_cmp_gt_u32_e32 vcc, s33, v33
	s_and_saveexec_b64 s[2:3], vcc
	s_cbranch_execnz .LBB1193_163
.LBB1193_132:
	s_or_b64 exec, exec, s[2:3]
	v_cmp_gt_u32_e32 vcc, s33, v31
	s_and_saveexec_b64 s[2:3], vcc
	s_cbranch_execz .LBB1193_168
.LBB1193_133:
	v_cmp_ge_u32_e32 vcc, v31, v1
                                        ; implicit-def: $vgpr13_vgpr14
	s_and_saveexec_b64 s[4:5], vcc
	s_xor_b64 s[4:5], exec, s[4:5]
	s_cbranch_execz .LBB1193_135
; %bb.134:
	v_xor_b32_e32 v2, 0xfffffdff, v0
	s_waitcnt lgkmcnt(6)
	v_ashrrev_i32_e32 v14, 31, v2
	v_add_co_u32_e32 v13, vcc, v23, v2
	v_addc_co_u32_e32 v14, vcc, v32, v14, vcc
                                        ; implicit-def: $vgpr31
.LBB1193_135:
	s_andn2_saveexec_b64 s[4:5], s[4:5]
	s_cbranch_execz .LBB1193_137
; %bb.136:
	s_waitcnt lgkmcnt(6)
	v_add_co_u32_e32 v13, vcc, v17, v31
	v_addc_co_u32_e32 v14, vcc, 0, v18, vcc
.LBB1193_137:
	s_or_b64 exec, exec, s[4:5]
	s_waitcnt lgkmcnt(6)
	v_lshlrev_b64 v[13:14], 2, v[13:14]
	v_mov_b32_e32 v2, s27
	v_add_co_u32_e32 v13, vcc, s26, v13
	v_addc_co_u32_e32 v14, vcc, v2, v14, vcc
	s_waitcnt lgkmcnt(5)
	global_store_dword v[13:14], v11, off
	s_or_b64 exec, exec, s[2:3]
	v_cmp_gt_u32_e32 vcc, s33, v30
	s_and_saveexec_b64 s[2:3], vcc
	s_cbranch_execnz .LBB1193_169
.LBB1193_138:
	s_or_b64 exec, exec, s[2:3]
	v_cmp_gt_u32_e32 vcc, s33, v29
	s_and_saveexec_b64 s[2:3], vcc
	s_cbranch_execz .LBB1193_174
.LBB1193_139:
	v_cmp_ge_u32_e32 vcc, v29, v1
                                        ; implicit-def: $vgpr11_vgpr12
	s_and_saveexec_b64 s[4:5], vcc
	s_xor_b64 s[4:5], exec, s[4:5]
	s_cbranch_execz .LBB1193_141
; %bb.140:
	v_xor_b32_e32 v2, 0xfffffbff, v0
	s_waitcnt lgkmcnt(5)
	v_ashrrev_i32_e32 v12, 31, v2
	v_add_co_u32_e32 v11, vcc, v23, v2
	v_addc_co_u32_e32 v12, vcc, v32, v12, vcc
                                        ; implicit-def: $vgpr29
.LBB1193_141:
	s_andn2_saveexec_b64 s[4:5], s[4:5]
	s_cbranch_execz .LBB1193_143
; %bb.142:
	s_waitcnt lgkmcnt(5)
	v_add_co_u32_e32 v11, vcc, v17, v29
	v_addc_co_u32_e32 v12, vcc, 0, v18, vcc
.LBB1193_143:
	s_or_b64 exec, exec, s[4:5]
	s_waitcnt lgkmcnt(5)
	v_lshlrev_b64 v[11:12], 2, v[11:12]
	v_mov_b32_e32 v2, s27
	v_add_co_u32_e32 v11, vcc, s26, v11
	v_addc_co_u32_e32 v12, vcc, v2, v12, vcc
	s_waitcnt lgkmcnt(4)
	global_store_dword v[11:12], v9, off
	s_or_b64 exec, exec, s[2:3]
	v_cmp_gt_u32_e32 vcc, s33, v28
	s_and_saveexec_b64 s[2:3], vcc
	s_cbranch_execnz .LBB1193_175
.LBB1193_144:
	s_or_b64 exec, exec, s[2:3]
	v_cmp_gt_u32_e32 vcc, s33, v27
	s_and_saveexec_b64 s[2:3], vcc
	s_cbranch_execz .LBB1193_180
.LBB1193_145:
	v_cmp_ge_u32_e32 vcc, v27, v1
                                        ; implicit-def: $vgpr9_vgpr10
	s_and_saveexec_b64 s[4:5], vcc
	s_xor_b64 s[4:5], exec, s[4:5]
	s_cbranch_execz .LBB1193_147
; %bb.146:
	v_xor_b32_e32 v2, 0xfffff9ff, v0
	s_waitcnt lgkmcnt(4)
	v_ashrrev_i32_e32 v10, 31, v2
	v_add_co_u32_e32 v9, vcc, v23, v2
	v_addc_co_u32_e32 v10, vcc, v32, v10, vcc
                                        ; implicit-def: $vgpr27
.LBB1193_147:
	s_andn2_saveexec_b64 s[4:5], s[4:5]
	s_cbranch_execz .LBB1193_149
; %bb.148:
	s_waitcnt lgkmcnt(4)
	v_add_co_u32_e32 v9, vcc, v17, v27
	v_addc_co_u32_e32 v10, vcc, 0, v18, vcc
.LBB1193_149:
	s_or_b64 exec, exec, s[4:5]
	s_waitcnt lgkmcnt(4)
	v_lshlrev_b64 v[9:10], 2, v[9:10]
	v_mov_b32_e32 v2, s27
	v_add_co_u32_e32 v9, vcc, s26, v9
	v_addc_co_u32_e32 v10, vcc, v2, v10, vcc
	s_waitcnt lgkmcnt(3)
	global_store_dword v[9:10], v7, off
	s_or_b64 exec, exec, s[2:3]
	v_cmp_gt_u32_e32 vcc, s33, v26
	s_and_saveexec_b64 s[2:3], vcc
	s_cbranch_execnz .LBB1193_181
.LBB1193_150:
	s_or_b64 exec, exec, s[2:3]
	v_cmp_gt_u32_e32 vcc, s33, v25
	s_and_saveexec_b64 s[2:3], vcc
	s_cbranch_execz .LBB1193_186
.LBB1193_151:
	v_cmp_ge_u32_e32 vcc, v25, v1
                                        ; implicit-def: $vgpr7_vgpr8
	s_and_saveexec_b64 s[4:5], vcc
	s_xor_b64 s[4:5], exec, s[4:5]
	s_cbranch_execz .LBB1193_153
; %bb.152:
	v_xor_b32_e32 v2, 0xfffff7ff, v0
	s_waitcnt lgkmcnt(3)
	v_ashrrev_i32_e32 v8, 31, v2
	v_add_co_u32_e32 v7, vcc, v23, v2
	v_addc_co_u32_e32 v8, vcc, v32, v8, vcc
                                        ; implicit-def: $vgpr25
.LBB1193_153:
	s_andn2_saveexec_b64 s[4:5], s[4:5]
	s_cbranch_execz .LBB1193_155
; %bb.154:
	s_waitcnt lgkmcnt(3)
	v_add_co_u32_e32 v7, vcc, v17, v25
	v_addc_co_u32_e32 v8, vcc, 0, v18, vcc
.LBB1193_155:
	s_or_b64 exec, exec, s[4:5]
	s_waitcnt lgkmcnt(3)
	v_lshlrev_b64 v[7:8], 2, v[7:8]
	v_mov_b32_e32 v2, s27
	v_add_co_u32_e32 v7, vcc, s26, v7
	v_addc_co_u32_e32 v8, vcc, v2, v8, vcc
	s_waitcnt lgkmcnt(2)
	global_store_dword v[7:8], v5, off
	s_or_b64 exec, exec, s[2:3]
	v_cmp_gt_u32_e32 vcc, s33, v24
	s_and_saveexec_b64 s[2:3], vcc
	s_cbranch_execnz .LBB1193_187
.LBB1193_156:
	s_or_b64 exec, exec, s[2:3]
	v_cmp_gt_u32_e32 vcc, s33, v22
	s_and_saveexec_b64 s[2:3], vcc
	s_cbranch_execz .LBB1193_192
.LBB1193_157:
	v_cmp_ge_u32_e32 vcc, v22, v1
                                        ; implicit-def: $vgpr5_vgpr6
	s_and_saveexec_b64 s[4:5], vcc
	s_xor_b64 s[4:5], exec, s[4:5]
	s_cbranch_execz .LBB1193_159
; %bb.158:
	v_xor_b32_e32 v2, 0xfffff5ff, v0
	s_waitcnt lgkmcnt(2)
	v_ashrrev_i32_e32 v6, 31, v2
	v_add_co_u32_e32 v5, vcc, v23, v2
	v_addc_co_u32_e32 v6, vcc, v32, v6, vcc
                                        ; implicit-def: $vgpr22
.LBB1193_159:
	s_andn2_saveexec_b64 s[4:5], s[4:5]
	s_cbranch_execz .LBB1193_161
; %bb.160:
	s_waitcnt lgkmcnt(2)
	v_add_co_u32_e32 v5, vcc, v17, v22
	v_addc_co_u32_e32 v6, vcc, 0, v18, vcc
.LBB1193_161:
	s_or_b64 exec, exec, s[4:5]
	s_waitcnt lgkmcnt(2)
	v_lshlrev_b64 v[5:6], 2, v[5:6]
	v_mov_b32_e32 v2, s27
	v_add_co_u32_e32 v5, vcc, s26, v5
	v_addc_co_u32_e32 v6, vcc, v2, v6, vcc
	s_waitcnt lgkmcnt(1)
	global_store_dword v[5:6], v3, off
	s_or_b64 exec, exec, s[2:3]
	v_cmp_gt_u32_e32 vcc, s33, v21
	s_and_saveexec_b64 s[2:3], vcc
	s_cbranch_execz .LBB1193_198
	s_branch .LBB1193_193
.LBB1193_162:
	s_or_b64 exec, exec, s[2:3]
	v_cmp_gt_u32_e32 vcc, s33, v33
	s_and_saveexec_b64 s[2:3], vcc
	s_cbranch_execz .LBB1193_132
.LBB1193_163:
	v_cmp_ge_u32_e32 vcc, v33, v1
                                        ; implicit-def: $vgpr15_vgpr16
	s_and_saveexec_b64 s[4:5], vcc
	s_xor_b64 s[4:5], exec, s[4:5]
	s_cbranch_execz .LBB1193_165
; %bb.164:
	v_xor_b32_e32 v2, 0xfffffeff, v0
	s_waitcnt lgkmcnt(6)
	v_ashrrev_i32_e32 v13, 31, v2
	v_add_co_u32_e32 v15, vcc, v23, v2
	v_addc_co_u32_e32 v16, vcc, v32, v13, vcc
                                        ; implicit-def: $vgpr33
.LBB1193_165:
	s_andn2_saveexec_b64 s[4:5], s[4:5]
; %bb.166:
	v_add_co_u32_e32 v15, vcc, v17, v33
	v_addc_co_u32_e32 v16, vcc, 0, v18, vcc
; %bb.167:
	s_or_b64 exec, exec, s[4:5]
	v_lshlrev_b64 v[15:16], 2, v[15:16]
	v_mov_b32_e32 v2, s27
	v_add_co_u32_e32 v15, vcc, s26, v15
	v_addc_co_u32_e32 v16, vcc, v2, v16, vcc
	s_waitcnt lgkmcnt(6)
	global_store_dword v[15:16], v14, off
	s_or_b64 exec, exec, s[2:3]
	v_cmp_gt_u32_e32 vcc, s33, v31
	s_and_saveexec_b64 s[2:3], vcc
	s_cbranch_execnz .LBB1193_133
.LBB1193_168:
	s_or_b64 exec, exec, s[2:3]
	v_cmp_gt_u32_e32 vcc, s33, v30
	s_and_saveexec_b64 s[2:3], vcc
	s_cbranch_execz .LBB1193_138
.LBB1193_169:
	v_cmp_ge_u32_e32 vcc, v30, v1
                                        ; implicit-def: $vgpr13_vgpr14
	s_and_saveexec_b64 s[4:5], vcc
	s_xor_b64 s[4:5], exec, s[4:5]
	s_cbranch_execz .LBB1193_171
; %bb.170:
	v_xor_b32_e32 v2, 0xfffffcff, v0
	s_waitcnt lgkmcnt(5)
	v_ashrrev_i32_e32 v11, 31, v2
	v_add_co_u32_e32 v13, vcc, v23, v2
	v_addc_co_u32_e32 v14, vcc, v32, v11, vcc
                                        ; implicit-def: $vgpr30
.LBB1193_171:
	s_andn2_saveexec_b64 s[4:5], s[4:5]
	s_cbranch_execz .LBB1193_173
; %bb.172:
	s_waitcnt lgkmcnt(6)
	v_add_co_u32_e32 v13, vcc, v17, v30
	v_addc_co_u32_e32 v14, vcc, 0, v18, vcc
.LBB1193_173:
	s_or_b64 exec, exec, s[4:5]
	s_waitcnt lgkmcnt(6)
	v_lshlrev_b64 v[13:14], 2, v[13:14]
	v_mov_b32_e32 v2, s27
	v_add_co_u32_e32 v13, vcc, s26, v13
	v_addc_co_u32_e32 v14, vcc, v2, v14, vcc
	s_waitcnt lgkmcnt(5)
	global_store_dword v[13:14], v12, off
	s_or_b64 exec, exec, s[2:3]
	v_cmp_gt_u32_e32 vcc, s33, v29
	s_and_saveexec_b64 s[2:3], vcc
	s_cbranch_execnz .LBB1193_139
.LBB1193_174:
	s_or_b64 exec, exec, s[2:3]
	v_cmp_gt_u32_e32 vcc, s33, v28
	s_and_saveexec_b64 s[2:3], vcc
	s_cbranch_execz .LBB1193_144
.LBB1193_175:
	v_cmp_ge_u32_e32 vcc, v28, v1
                                        ; implicit-def: $vgpr11_vgpr12
	s_and_saveexec_b64 s[4:5], vcc
	s_xor_b64 s[4:5], exec, s[4:5]
	s_cbranch_execz .LBB1193_177
; %bb.176:
	v_xor_b32_e32 v2, 0xfffffaff, v0
	s_waitcnt lgkmcnt(4)
	v_ashrrev_i32_e32 v9, 31, v2
	v_add_co_u32_e32 v11, vcc, v23, v2
	v_addc_co_u32_e32 v12, vcc, v32, v9, vcc
                                        ; implicit-def: $vgpr28
.LBB1193_177:
	s_andn2_saveexec_b64 s[4:5], s[4:5]
	s_cbranch_execz .LBB1193_179
; %bb.178:
	s_waitcnt lgkmcnt(5)
	v_add_co_u32_e32 v11, vcc, v17, v28
	v_addc_co_u32_e32 v12, vcc, 0, v18, vcc
.LBB1193_179:
	s_or_b64 exec, exec, s[4:5]
	s_waitcnt lgkmcnt(5)
	v_lshlrev_b64 v[11:12], 2, v[11:12]
	v_mov_b32_e32 v2, s27
	v_add_co_u32_e32 v11, vcc, s26, v11
	v_addc_co_u32_e32 v12, vcc, v2, v12, vcc
	s_waitcnt lgkmcnt(4)
	global_store_dword v[11:12], v10, off
	s_or_b64 exec, exec, s[2:3]
	v_cmp_gt_u32_e32 vcc, s33, v27
	s_and_saveexec_b64 s[2:3], vcc
	s_cbranch_execnz .LBB1193_145
.LBB1193_180:
	s_or_b64 exec, exec, s[2:3]
	v_cmp_gt_u32_e32 vcc, s33, v26
	s_and_saveexec_b64 s[2:3], vcc
	s_cbranch_execz .LBB1193_150
.LBB1193_181:
	v_cmp_ge_u32_e32 vcc, v26, v1
                                        ; implicit-def: $vgpr9_vgpr10
	s_and_saveexec_b64 s[4:5], vcc
	s_xor_b64 s[4:5], exec, s[4:5]
	s_cbranch_execz .LBB1193_183
; %bb.182:
	v_xor_b32_e32 v2, 0xfffff8ff, v0
	s_waitcnt lgkmcnt(3)
	v_ashrrev_i32_e32 v7, 31, v2
	v_add_co_u32_e32 v9, vcc, v23, v2
	v_addc_co_u32_e32 v10, vcc, v32, v7, vcc
                                        ; implicit-def: $vgpr26
.LBB1193_183:
	s_andn2_saveexec_b64 s[4:5], s[4:5]
	s_cbranch_execz .LBB1193_185
; %bb.184:
	s_waitcnt lgkmcnt(4)
	v_add_co_u32_e32 v9, vcc, v17, v26
	v_addc_co_u32_e32 v10, vcc, 0, v18, vcc
.LBB1193_185:
	s_or_b64 exec, exec, s[4:5]
	s_waitcnt lgkmcnt(4)
	v_lshlrev_b64 v[9:10], 2, v[9:10]
	v_mov_b32_e32 v2, s27
	v_add_co_u32_e32 v9, vcc, s26, v9
	v_addc_co_u32_e32 v10, vcc, v2, v10, vcc
	s_waitcnt lgkmcnt(3)
	global_store_dword v[9:10], v8, off
	s_or_b64 exec, exec, s[2:3]
	v_cmp_gt_u32_e32 vcc, s33, v25
	s_and_saveexec_b64 s[2:3], vcc
	s_cbranch_execnz .LBB1193_151
.LBB1193_186:
	s_or_b64 exec, exec, s[2:3]
	v_cmp_gt_u32_e32 vcc, s33, v24
	s_and_saveexec_b64 s[2:3], vcc
	s_cbranch_execz .LBB1193_156
.LBB1193_187:
	v_cmp_ge_u32_e32 vcc, v24, v1
                                        ; implicit-def: $vgpr7_vgpr8
	s_and_saveexec_b64 s[4:5], vcc
	s_xor_b64 s[4:5], exec, s[4:5]
	s_cbranch_execz .LBB1193_189
; %bb.188:
	v_xor_b32_e32 v2, 0xfffff6ff, v0
	s_waitcnt lgkmcnt(2)
	v_ashrrev_i32_e32 v5, 31, v2
	v_add_co_u32_e32 v7, vcc, v23, v2
	v_addc_co_u32_e32 v8, vcc, v32, v5, vcc
                                        ; implicit-def: $vgpr24
.LBB1193_189:
	s_andn2_saveexec_b64 s[4:5], s[4:5]
	s_cbranch_execz .LBB1193_191
; %bb.190:
	s_waitcnt lgkmcnt(3)
	v_add_co_u32_e32 v7, vcc, v17, v24
	v_addc_co_u32_e32 v8, vcc, 0, v18, vcc
.LBB1193_191:
	s_or_b64 exec, exec, s[4:5]
	s_waitcnt lgkmcnt(3)
	v_lshlrev_b64 v[7:8], 2, v[7:8]
	v_mov_b32_e32 v2, s27
	v_add_co_u32_e32 v7, vcc, s26, v7
	v_addc_co_u32_e32 v8, vcc, v2, v8, vcc
	s_waitcnt lgkmcnt(2)
	global_store_dword v[7:8], v6, off
	s_or_b64 exec, exec, s[2:3]
	v_cmp_gt_u32_e32 vcc, s33, v22
	s_and_saveexec_b64 s[2:3], vcc
	s_cbranch_execnz .LBB1193_157
.LBB1193_192:
	s_or_b64 exec, exec, s[2:3]
	v_cmp_gt_u32_e32 vcc, s33, v21
	s_and_saveexec_b64 s[2:3], vcc
	s_cbranch_execz .LBB1193_198
.LBB1193_193:
	v_cmp_ge_u32_e32 vcc, v21, v1
                                        ; implicit-def: $vgpr2_vgpr3
	s_and_saveexec_b64 s[4:5], vcc
	s_xor_b64 s[4:5], exec, s[4:5]
	s_cbranch_execz .LBB1193_195
; %bb.194:
	v_xor_b32_e32 v2, 0xfffff4ff, v0
	s_waitcnt lgkmcnt(1)
	v_ashrrev_i32_e32 v3, 31, v2
	v_add_co_u32_e32 v2, vcc, v23, v2
	v_addc_co_u32_e32 v3, vcc, v32, v3, vcc
                                        ; implicit-def: $vgpr21
.LBB1193_195:
	s_andn2_saveexec_b64 s[4:5], s[4:5]
	s_cbranch_execz .LBB1193_197
; %bb.196:
	v_add_co_u32_e32 v2, vcc, v17, v21
	s_waitcnt lgkmcnt(1)
	v_addc_co_u32_e32 v3, vcc, 0, v18, vcc
.LBB1193_197:
	s_or_b64 exec, exec, s[4:5]
	s_waitcnt lgkmcnt(1)
	v_lshlrev_b64 v[2:3], 2, v[2:3]
	v_mov_b32_e32 v5, s27
	v_add_co_u32_e32 v2, vcc, s26, v2
	v_addc_co_u32_e32 v3, vcc, v5, v3, vcc
	global_store_dword v[2:3], v4, off
.LBB1193_198:
	s_or_b64 exec, exec, s[2:3]
	v_cmp_gt_u32_e32 vcc, s33, v20
                                        ; implicit-def: $vgpr15_vgpr16
	s_and_saveexec_b64 s[2:3], vcc
	s_cbranch_execz .LBB1193_204
; %bb.199:
	v_cmp_ge_u32_e32 vcc, v20, v1
                                        ; implicit-def: $vgpr15_vgpr16
	s_and_saveexec_b64 s[4:5], vcc
	s_xor_b64 s[4:5], exec, s[4:5]
	s_cbranch_execz .LBB1193_201
; %bb.200:
	v_xor_b32_e32 v2, 0xfffff3ff, v0
	s_waitcnt lgkmcnt(1)
	v_ashrrev_i32_e32 v3, 31, v2
	v_add_co_u32_e32 v15, vcc, v23, v2
	v_addc_co_u32_e32 v16, vcc, v32, v3, vcc
                                        ; implicit-def: $vgpr20
.LBB1193_201:
	s_andn2_saveexec_b64 s[4:5], s[4:5]
; %bb.202:
	v_add_co_u32_e32 v15, vcc, v17, v20
	v_addc_co_u32_e32 v16, vcc, 0, v18, vcc
; %bb.203:
	s_or_b64 exec, exec, s[4:5]
	s_or_b64 s[0:1], s[0:1], exec
.LBB1193_204:
	s_or_b64 exec, exec, s[2:3]
.LBB1193_205:
	s_and_saveexec_b64 s[2:3], s[0:1]
	s_cbranch_execz .LBB1193_207
; %bb.206:
	s_waitcnt lgkmcnt(1)
	v_lshlrev_b64 v[2:3], 2, v[15:16]
	v_mov_b32_e32 v4, s27
	v_add_co_u32_e32 v2, vcc, s26, v2
	v_addc_co_u32_e32 v3, vcc, v4, v3, vcc
	s_waitcnt lgkmcnt(0)
	global_store_dword v[2:3], v19, off
.LBB1193_207:
	s_or_b64 exec, exec, s[2:3]
	v_cmp_eq_u32_e32 vcc, 0, v0
	s_and_b64 s[0:1], vcc, s[22:23]
	s_and_saveexec_b64 s[2:3], s[0:1]
	s_cbranch_execz .LBB1193_209
; %bb.208:
	v_add_co_u32_e32 v0, vcc, v17, v1
	v_mov_b32_e32 v2, 0
	v_addc_co_u32_e32 v1, vcc, 0, v18, vcc
	global_store_dwordx2 v2, v[0:1], s[24:25]
.LBB1193_209:
	s_endpgm
	.section	.rodata,"a",@progbits
	.p2align	6, 0x0
	.amdhsa_kernel _ZN7rocprim17ROCPRIM_400000_NS6detail17trampoline_kernelINS0_13select_configILj256ELj13ELNS0_17block_load_methodE3ELS4_3ELS4_3ELNS0_20block_scan_algorithmE0ELj4294967295EEENS1_25partition_config_selectorILNS1_17partition_subalgoE3EjNS0_10empty_typeEbEEZZNS1_14partition_implILS8_3ELb0ES6_jNS0_17counting_iteratorIjlEEPS9_SE_NS0_5tupleIJPjSE_EEENSF_IJSE_SE_EEES9_SG_JZNS1_25segmented_radix_sort_implINS0_14default_configELb0EPKdPdPKlPlN2at6native12_GLOBAL__N_18offset_tEEE10hipError_tPvRmT1_PNSt15iterator_traitsISY_E10value_typeET2_T3_PNSZ_IS14_E10value_typeET4_jRbjT5_S1A_jjP12ihipStream_tbEUljE_EEESV_SW_SX_S14_S18_S1A_T6_T7_T9_mT8_S1C_bDpT10_ENKUlT_T0_E_clISt17integral_constantIbLb0EES1P_EEDaS1K_S1L_EUlS1K_E_NS1_11comp_targetILNS1_3genE2ELNS1_11target_archE906ELNS1_3gpuE6ELNS1_3repE0EEENS1_30default_config_static_selectorELNS0_4arch9wavefront6targetE1EEEvSY_
		.amdhsa_group_segment_fixed_size 13320
		.amdhsa_private_segment_fixed_size 0
		.amdhsa_kernarg_size 144
		.amdhsa_user_sgpr_count 6
		.amdhsa_user_sgpr_private_segment_buffer 1
		.amdhsa_user_sgpr_dispatch_ptr 0
		.amdhsa_user_sgpr_queue_ptr 0
		.amdhsa_user_sgpr_kernarg_segment_ptr 1
		.amdhsa_user_sgpr_dispatch_id 0
		.amdhsa_user_sgpr_flat_scratch_init 0
		.amdhsa_user_sgpr_private_segment_size 0
		.amdhsa_uses_dynamic_stack 0
		.amdhsa_system_sgpr_private_segment_wavefront_offset 0
		.amdhsa_system_sgpr_workgroup_id_x 1
		.amdhsa_system_sgpr_workgroup_id_y 0
		.amdhsa_system_sgpr_workgroup_id_z 0
		.amdhsa_system_sgpr_workgroup_info 0
		.amdhsa_system_vgpr_workitem_id 0
		.amdhsa_next_free_vgpr 69
		.amdhsa_next_free_sgpr 98
		.amdhsa_reserve_vcc 1
		.amdhsa_reserve_flat_scratch 0
		.amdhsa_float_round_mode_32 0
		.amdhsa_float_round_mode_16_64 0
		.amdhsa_float_denorm_mode_32 3
		.amdhsa_float_denorm_mode_16_64 3
		.amdhsa_dx10_clamp 1
		.amdhsa_ieee_mode 1
		.amdhsa_fp16_overflow 0
		.amdhsa_exception_fp_ieee_invalid_op 0
		.amdhsa_exception_fp_denorm_src 0
		.amdhsa_exception_fp_ieee_div_zero 0
		.amdhsa_exception_fp_ieee_overflow 0
		.amdhsa_exception_fp_ieee_underflow 0
		.amdhsa_exception_fp_ieee_inexact 0
		.amdhsa_exception_int_div_zero 0
	.end_amdhsa_kernel
	.section	.text._ZN7rocprim17ROCPRIM_400000_NS6detail17trampoline_kernelINS0_13select_configILj256ELj13ELNS0_17block_load_methodE3ELS4_3ELS4_3ELNS0_20block_scan_algorithmE0ELj4294967295EEENS1_25partition_config_selectorILNS1_17partition_subalgoE3EjNS0_10empty_typeEbEEZZNS1_14partition_implILS8_3ELb0ES6_jNS0_17counting_iteratorIjlEEPS9_SE_NS0_5tupleIJPjSE_EEENSF_IJSE_SE_EEES9_SG_JZNS1_25segmented_radix_sort_implINS0_14default_configELb0EPKdPdPKlPlN2at6native12_GLOBAL__N_18offset_tEEE10hipError_tPvRmT1_PNSt15iterator_traitsISY_E10value_typeET2_T3_PNSZ_IS14_E10value_typeET4_jRbjT5_S1A_jjP12ihipStream_tbEUljE_EEESV_SW_SX_S14_S18_S1A_T6_T7_T9_mT8_S1C_bDpT10_ENKUlT_T0_E_clISt17integral_constantIbLb0EES1P_EEDaS1K_S1L_EUlS1K_E_NS1_11comp_targetILNS1_3genE2ELNS1_11target_archE906ELNS1_3gpuE6ELNS1_3repE0EEENS1_30default_config_static_selectorELNS0_4arch9wavefront6targetE1EEEvSY_,"axG",@progbits,_ZN7rocprim17ROCPRIM_400000_NS6detail17trampoline_kernelINS0_13select_configILj256ELj13ELNS0_17block_load_methodE3ELS4_3ELS4_3ELNS0_20block_scan_algorithmE0ELj4294967295EEENS1_25partition_config_selectorILNS1_17partition_subalgoE3EjNS0_10empty_typeEbEEZZNS1_14partition_implILS8_3ELb0ES6_jNS0_17counting_iteratorIjlEEPS9_SE_NS0_5tupleIJPjSE_EEENSF_IJSE_SE_EEES9_SG_JZNS1_25segmented_radix_sort_implINS0_14default_configELb0EPKdPdPKlPlN2at6native12_GLOBAL__N_18offset_tEEE10hipError_tPvRmT1_PNSt15iterator_traitsISY_E10value_typeET2_T3_PNSZ_IS14_E10value_typeET4_jRbjT5_S1A_jjP12ihipStream_tbEUljE_EEESV_SW_SX_S14_S18_S1A_T6_T7_T9_mT8_S1C_bDpT10_ENKUlT_T0_E_clISt17integral_constantIbLb0EES1P_EEDaS1K_S1L_EUlS1K_E_NS1_11comp_targetILNS1_3genE2ELNS1_11target_archE906ELNS1_3gpuE6ELNS1_3repE0EEENS1_30default_config_static_selectorELNS0_4arch9wavefront6targetE1EEEvSY_,comdat
.Lfunc_end1193:
	.size	_ZN7rocprim17ROCPRIM_400000_NS6detail17trampoline_kernelINS0_13select_configILj256ELj13ELNS0_17block_load_methodE3ELS4_3ELS4_3ELNS0_20block_scan_algorithmE0ELj4294967295EEENS1_25partition_config_selectorILNS1_17partition_subalgoE3EjNS0_10empty_typeEbEEZZNS1_14partition_implILS8_3ELb0ES6_jNS0_17counting_iteratorIjlEEPS9_SE_NS0_5tupleIJPjSE_EEENSF_IJSE_SE_EEES9_SG_JZNS1_25segmented_radix_sort_implINS0_14default_configELb0EPKdPdPKlPlN2at6native12_GLOBAL__N_18offset_tEEE10hipError_tPvRmT1_PNSt15iterator_traitsISY_E10value_typeET2_T3_PNSZ_IS14_E10value_typeET4_jRbjT5_S1A_jjP12ihipStream_tbEUljE_EEESV_SW_SX_S14_S18_S1A_T6_T7_T9_mT8_S1C_bDpT10_ENKUlT_T0_E_clISt17integral_constantIbLb0EES1P_EEDaS1K_S1L_EUlS1K_E_NS1_11comp_targetILNS1_3genE2ELNS1_11target_archE906ELNS1_3gpuE6ELNS1_3repE0EEENS1_30default_config_static_selectorELNS0_4arch9wavefront6targetE1EEEvSY_, .Lfunc_end1193-_ZN7rocprim17ROCPRIM_400000_NS6detail17trampoline_kernelINS0_13select_configILj256ELj13ELNS0_17block_load_methodE3ELS4_3ELS4_3ELNS0_20block_scan_algorithmE0ELj4294967295EEENS1_25partition_config_selectorILNS1_17partition_subalgoE3EjNS0_10empty_typeEbEEZZNS1_14partition_implILS8_3ELb0ES6_jNS0_17counting_iteratorIjlEEPS9_SE_NS0_5tupleIJPjSE_EEENSF_IJSE_SE_EEES9_SG_JZNS1_25segmented_radix_sort_implINS0_14default_configELb0EPKdPdPKlPlN2at6native12_GLOBAL__N_18offset_tEEE10hipError_tPvRmT1_PNSt15iterator_traitsISY_E10value_typeET2_T3_PNSZ_IS14_E10value_typeET4_jRbjT5_S1A_jjP12ihipStream_tbEUljE_EEESV_SW_SX_S14_S18_S1A_T6_T7_T9_mT8_S1C_bDpT10_ENKUlT_T0_E_clISt17integral_constantIbLb0EES1P_EEDaS1K_S1L_EUlS1K_E_NS1_11comp_targetILNS1_3genE2ELNS1_11target_archE906ELNS1_3gpuE6ELNS1_3repE0EEENS1_30default_config_static_selectorELNS0_4arch9wavefront6targetE1EEEvSY_
                                        ; -- End function
	.set _ZN7rocprim17ROCPRIM_400000_NS6detail17trampoline_kernelINS0_13select_configILj256ELj13ELNS0_17block_load_methodE3ELS4_3ELS4_3ELNS0_20block_scan_algorithmE0ELj4294967295EEENS1_25partition_config_selectorILNS1_17partition_subalgoE3EjNS0_10empty_typeEbEEZZNS1_14partition_implILS8_3ELb0ES6_jNS0_17counting_iteratorIjlEEPS9_SE_NS0_5tupleIJPjSE_EEENSF_IJSE_SE_EEES9_SG_JZNS1_25segmented_radix_sort_implINS0_14default_configELb0EPKdPdPKlPlN2at6native12_GLOBAL__N_18offset_tEEE10hipError_tPvRmT1_PNSt15iterator_traitsISY_E10value_typeET2_T3_PNSZ_IS14_E10value_typeET4_jRbjT5_S1A_jjP12ihipStream_tbEUljE_EEESV_SW_SX_S14_S18_S1A_T6_T7_T9_mT8_S1C_bDpT10_ENKUlT_T0_E_clISt17integral_constantIbLb0EES1P_EEDaS1K_S1L_EUlS1K_E_NS1_11comp_targetILNS1_3genE2ELNS1_11target_archE906ELNS1_3gpuE6ELNS1_3repE0EEENS1_30default_config_static_selectorELNS0_4arch9wavefront6targetE1EEEvSY_.num_vgpr, 69
	.set _ZN7rocprim17ROCPRIM_400000_NS6detail17trampoline_kernelINS0_13select_configILj256ELj13ELNS0_17block_load_methodE3ELS4_3ELS4_3ELNS0_20block_scan_algorithmE0ELj4294967295EEENS1_25partition_config_selectorILNS1_17partition_subalgoE3EjNS0_10empty_typeEbEEZZNS1_14partition_implILS8_3ELb0ES6_jNS0_17counting_iteratorIjlEEPS9_SE_NS0_5tupleIJPjSE_EEENSF_IJSE_SE_EEES9_SG_JZNS1_25segmented_radix_sort_implINS0_14default_configELb0EPKdPdPKlPlN2at6native12_GLOBAL__N_18offset_tEEE10hipError_tPvRmT1_PNSt15iterator_traitsISY_E10value_typeET2_T3_PNSZ_IS14_E10value_typeET4_jRbjT5_S1A_jjP12ihipStream_tbEUljE_EEESV_SW_SX_S14_S18_S1A_T6_T7_T9_mT8_S1C_bDpT10_ENKUlT_T0_E_clISt17integral_constantIbLb0EES1P_EEDaS1K_S1L_EUlS1K_E_NS1_11comp_targetILNS1_3genE2ELNS1_11target_archE906ELNS1_3gpuE6ELNS1_3repE0EEENS1_30default_config_static_selectorELNS0_4arch9wavefront6targetE1EEEvSY_.num_agpr, 0
	.set _ZN7rocprim17ROCPRIM_400000_NS6detail17trampoline_kernelINS0_13select_configILj256ELj13ELNS0_17block_load_methodE3ELS4_3ELS4_3ELNS0_20block_scan_algorithmE0ELj4294967295EEENS1_25partition_config_selectorILNS1_17partition_subalgoE3EjNS0_10empty_typeEbEEZZNS1_14partition_implILS8_3ELb0ES6_jNS0_17counting_iteratorIjlEEPS9_SE_NS0_5tupleIJPjSE_EEENSF_IJSE_SE_EEES9_SG_JZNS1_25segmented_radix_sort_implINS0_14default_configELb0EPKdPdPKlPlN2at6native12_GLOBAL__N_18offset_tEEE10hipError_tPvRmT1_PNSt15iterator_traitsISY_E10value_typeET2_T3_PNSZ_IS14_E10value_typeET4_jRbjT5_S1A_jjP12ihipStream_tbEUljE_EEESV_SW_SX_S14_S18_S1A_T6_T7_T9_mT8_S1C_bDpT10_ENKUlT_T0_E_clISt17integral_constantIbLb0EES1P_EEDaS1K_S1L_EUlS1K_E_NS1_11comp_targetILNS1_3genE2ELNS1_11target_archE906ELNS1_3gpuE6ELNS1_3repE0EEENS1_30default_config_static_selectorELNS0_4arch9wavefront6targetE1EEEvSY_.numbered_sgpr, 48
	.set _ZN7rocprim17ROCPRIM_400000_NS6detail17trampoline_kernelINS0_13select_configILj256ELj13ELNS0_17block_load_methodE3ELS4_3ELS4_3ELNS0_20block_scan_algorithmE0ELj4294967295EEENS1_25partition_config_selectorILNS1_17partition_subalgoE3EjNS0_10empty_typeEbEEZZNS1_14partition_implILS8_3ELb0ES6_jNS0_17counting_iteratorIjlEEPS9_SE_NS0_5tupleIJPjSE_EEENSF_IJSE_SE_EEES9_SG_JZNS1_25segmented_radix_sort_implINS0_14default_configELb0EPKdPdPKlPlN2at6native12_GLOBAL__N_18offset_tEEE10hipError_tPvRmT1_PNSt15iterator_traitsISY_E10value_typeET2_T3_PNSZ_IS14_E10value_typeET4_jRbjT5_S1A_jjP12ihipStream_tbEUljE_EEESV_SW_SX_S14_S18_S1A_T6_T7_T9_mT8_S1C_bDpT10_ENKUlT_T0_E_clISt17integral_constantIbLb0EES1P_EEDaS1K_S1L_EUlS1K_E_NS1_11comp_targetILNS1_3genE2ELNS1_11target_archE906ELNS1_3gpuE6ELNS1_3repE0EEENS1_30default_config_static_selectorELNS0_4arch9wavefront6targetE1EEEvSY_.num_named_barrier, 0
	.set _ZN7rocprim17ROCPRIM_400000_NS6detail17trampoline_kernelINS0_13select_configILj256ELj13ELNS0_17block_load_methodE3ELS4_3ELS4_3ELNS0_20block_scan_algorithmE0ELj4294967295EEENS1_25partition_config_selectorILNS1_17partition_subalgoE3EjNS0_10empty_typeEbEEZZNS1_14partition_implILS8_3ELb0ES6_jNS0_17counting_iteratorIjlEEPS9_SE_NS0_5tupleIJPjSE_EEENSF_IJSE_SE_EEES9_SG_JZNS1_25segmented_radix_sort_implINS0_14default_configELb0EPKdPdPKlPlN2at6native12_GLOBAL__N_18offset_tEEE10hipError_tPvRmT1_PNSt15iterator_traitsISY_E10value_typeET2_T3_PNSZ_IS14_E10value_typeET4_jRbjT5_S1A_jjP12ihipStream_tbEUljE_EEESV_SW_SX_S14_S18_S1A_T6_T7_T9_mT8_S1C_bDpT10_ENKUlT_T0_E_clISt17integral_constantIbLb0EES1P_EEDaS1K_S1L_EUlS1K_E_NS1_11comp_targetILNS1_3genE2ELNS1_11target_archE906ELNS1_3gpuE6ELNS1_3repE0EEENS1_30default_config_static_selectorELNS0_4arch9wavefront6targetE1EEEvSY_.private_seg_size, 0
	.set _ZN7rocprim17ROCPRIM_400000_NS6detail17trampoline_kernelINS0_13select_configILj256ELj13ELNS0_17block_load_methodE3ELS4_3ELS4_3ELNS0_20block_scan_algorithmE0ELj4294967295EEENS1_25partition_config_selectorILNS1_17partition_subalgoE3EjNS0_10empty_typeEbEEZZNS1_14partition_implILS8_3ELb0ES6_jNS0_17counting_iteratorIjlEEPS9_SE_NS0_5tupleIJPjSE_EEENSF_IJSE_SE_EEES9_SG_JZNS1_25segmented_radix_sort_implINS0_14default_configELb0EPKdPdPKlPlN2at6native12_GLOBAL__N_18offset_tEEE10hipError_tPvRmT1_PNSt15iterator_traitsISY_E10value_typeET2_T3_PNSZ_IS14_E10value_typeET4_jRbjT5_S1A_jjP12ihipStream_tbEUljE_EEESV_SW_SX_S14_S18_S1A_T6_T7_T9_mT8_S1C_bDpT10_ENKUlT_T0_E_clISt17integral_constantIbLb0EES1P_EEDaS1K_S1L_EUlS1K_E_NS1_11comp_targetILNS1_3genE2ELNS1_11target_archE906ELNS1_3gpuE6ELNS1_3repE0EEENS1_30default_config_static_selectorELNS0_4arch9wavefront6targetE1EEEvSY_.uses_vcc, 1
	.set _ZN7rocprim17ROCPRIM_400000_NS6detail17trampoline_kernelINS0_13select_configILj256ELj13ELNS0_17block_load_methodE3ELS4_3ELS4_3ELNS0_20block_scan_algorithmE0ELj4294967295EEENS1_25partition_config_selectorILNS1_17partition_subalgoE3EjNS0_10empty_typeEbEEZZNS1_14partition_implILS8_3ELb0ES6_jNS0_17counting_iteratorIjlEEPS9_SE_NS0_5tupleIJPjSE_EEENSF_IJSE_SE_EEES9_SG_JZNS1_25segmented_radix_sort_implINS0_14default_configELb0EPKdPdPKlPlN2at6native12_GLOBAL__N_18offset_tEEE10hipError_tPvRmT1_PNSt15iterator_traitsISY_E10value_typeET2_T3_PNSZ_IS14_E10value_typeET4_jRbjT5_S1A_jjP12ihipStream_tbEUljE_EEESV_SW_SX_S14_S18_S1A_T6_T7_T9_mT8_S1C_bDpT10_ENKUlT_T0_E_clISt17integral_constantIbLb0EES1P_EEDaS1K_S1L_EUlS1K_E_NS1_11comp_targetILNS1_3genE2ELNS1_11target_archE906ELNS1_3gpuE6ELNS1_3repE0EEENS1_30default_config_static_selectorELNS0_4arch9wavefront6targetE1EEEvSY_.uses_flat_scratch, 0
	.set _ZN7rocprim17ROCPRIM_400000_NS6detail17trampoline_kernelINS0_13select_configILj256ELj13ELNS0_17block_load_methodE3ELS4_3ELS4_3ELNS0_20block_scan_algorithmE0ELj4294967295EEENS1_25partition_config_selectorILNS1_17partition_subalgoE3EjNS0_10empty_typeEbEEZZNS1_14partition_implILS8_3ELb0ES6_jNS0_17counting_iteratorIjlEEPS9_SE_NS0_5tupleIJPjSE_EEENSF_IJSE_SE_EEES9_SG_JZNS1_25segmented_radix_sort_implINS0_14default_configELb0EPKdPdPKlPlN2at6native12_GLOBAL__N_18offset_tEEE10hipError_tPvRmT1_PNSt15iterator_traitsISY_E10value_typeET2_T3_PNSZ_IS14_E10value_typeET4_jRbjT5_S1A_jjP12ihipStream_tbEUljE_EEESV_SW_SX_S14_S18_S1A_T6_T7_T9_mT8_S1C_bDpT10_ENKUlT_T0_E_clISt17integral_constantIbLb0EES1P_EEDaS1K_S1L_EUlS1K_E_NS1_11comp_targetILNS1_3genE2ELNS1_11target_archE906ELNS1_3gpuE6ELNS1_3repE0EEENS1_30default_config_static_selectorELNS0_4arch9wavefront6targetE1EEEvSY_.has_dyn_sized_stack, 0
	.set _ZN7rocprim17ROCPRIM_400000_NS6detail17trampoline_kernelINS0_13select_configILj256ELj13ELNS0_17block_load_methodE3ELS4_3ELS4_3ELNS0_20block_scan_algorithmE0ELj4294967295EEENS1_25partition_config_selectorILNS1_17partition_subalgoE3EjNS0_10empty_typeEbEEZZNS1_14partition_implILS8_3ELb0ES6_jNS0_17counting_iteratorIjlEEPS9_SE_NS0_5tupleIJPjSE_EEENSF_IJSE_SE_EEES9_SG_JZNS1_25segmented_radix_sort_implINS0_14default_configELb0EPKdPdPKlPlN2at6native12_GLOBAL__N_18offset_tEEE10hipError_tPvRmT1_PNSt15iterator_traitsISY_E10value_typeET2_T3_PNSZ_IS14_E10value_typeET4_jRbjT5_S1A_jjP12ihipStream_tbEUljE_EEESV_SW_SX_S14_S18_S1A_T6_T7_T9_mT8_S1C_bDpT10_ENKUlT_T0_E_clISt17integral_constantIbLb0EES1P_EEDaS1K_S1L_EUlS1K_E_NS1_11comp_targetILNS1_3genE2ELNS1_11target_archE906ELNS1_3gpuE6ELNS1_3repE0EEENS1_30default_config_static_selectorELNS0_4arch9wavefront6targetE1EEEvSY_.has_recursion, 0
	.set _ZN7rocprim17ROCPRIM_400000_NS6detail17trampoline_kernelINS0_13select_configILj256ELj13ELNS0_17block_load_methodE3ELS4_3ELS4_3ELNS0_20block_scan_algorithmE0ELj4294967295EEENS1_25partition_config_selectorILNS1_17partition_subalgoE3EjNS0_10empty_typeEbEEZZNS1_14partition_implILS8_3ELb0ES6_jNS0_17counting_iteratorIjlEEPS9_SE_NS0_5tupleIJPjSE_EEENSF_IJSE_SE_EEES9_SG_JZNS1_25segmented_radix_sort_implINS0_14default_configELb0EPKdPdPKlPlN2at6native12_GLOBAL__N_18offset_tEEE10hipError_tPvRmT1_PNSt15iterator_traitsISY_E10value_typeET2_T3_PNSZ_IS14_E10value_typeET4_jRbjT5_S1A_jjP12ihipStream_tbEUljE_EEESV_SW_SX_S14_S18_S1A_T6_T7_T9_mT8_S1C_bDpT10_ENKUlT_T0_E_clISt17integral_constantIbLb0EES1P_EEDaS1K_S1L_EUlS1K_E_NS1_11comp_targetILNS1_3genE2ELNS1_11target_archE906ELNS1_3gpuE6ELNS1_3repE0EEENS1_30default_config_static_selectorELNS0_4arch9wavefront6targetE1EEEvSY_.has_indirect_call, 0
	.section	.AMDGPU.csdata,"",@progbits
; Kernel info:
; codeLenInByte = 7612
; TotalNumSgprs: 52
; NumVgprs: 69
; ScratchSize: 0
; MemoryBound: 0
; FloatMode: 240
; IeeeMode: 1
; LDSByteSize: 13320 bytes/workgroup (compile time only)
; SGPRBlocks: 12
; VGPRBlocks: 17
; NumSGPRsForWavesPerEU: 102
; NumVGPRsForWavesPerEU: 69
; Occupancy: 3
; WaveLimiterHint : 0
; COMPUTE_PGM_RSRC2:SCRATCH_EN: 0
; COMPUTE_PGM_RSRC2:USER_SGPR: 6
; COMPUTE_PGM_RSRC2:TRAP_HANDLER: 0
; COMPUTE_PGM_RSRC2:TGID_X_EN: 1
; COMPUTE_PGM_RSRC2:TGID_Y_EN: 0
; COMPUTE_PGM_RSRC2:TGID_Z_EN: 0
; COMPUTE_PGM_RSRC2:TIDIG_COMP_CNT: 0
	.section	.text._ZN7rocprim17ROCPRIM_400000_NS6detail17trampoline_kernelINS0_13select_configILj256ELj13ELNS0_17block_load_methodE3ELS4_3ELS4_3ELNS0_20block_scan_algorithmE0ELj4294967295EEENS1_25partition_config_selectorILNS1_17partition_subalgoE3EjNS0_10empty_typeEbEEZZNS1_14partition_implILS8_3ELb0ES6_jNS0_17counting_iteratorIjlEEPS9_SE_NS0_5tupleIJPjSE_EEENSF_IJSE_SE_EEES9_SG_JZNS1_25segmented_radix_sort_implINS0_14default_configELb0EPKdPdPKlPlN2at6native12_GLOBAL__N_18offset_tEEE10hipError_tPvRmT1_PNSt15iterator_traitsISY_E10value_typeET2_T3_PNSZ_IS14_E10value_typeET4_jRbjT5_S1A_jjP12ihipStream_tbEUljE_EEESV_SW_SX_S14_S18_S1A_T6_T7_T9_mT8_S1C_bDpT10_ENKUlT_T0_E_clISt17integral_constantIbLb0EES1P_EEDaS1K_S1L_EUlS1K_E_NS1_11comp_targetILNS1_3genE10ELNS1_11target_archE1200ELNS1_3gpuE4ELNS1_3repE0EEENS1_30default_config_static_selectorELNS0_4arch9wavefront6targetE1EEEvSY_,"axG",@progbits,_ZN7rocprim17ROCPRIM_400000_NS6detail17trampoline_kernelINS0_13select_configILj256ELj13ELNS0_17block_load_methodE3ELS4_3ELS4_3ELNS0_20block_scan_algorithmE0ELj4294967295EEENS1_25partition_config_selectorILNS1_17partition_subalgoE3EjNS0_10empty_typeEbEEZZNS1_14partition_implILS8_3ELb0ES6_jNS0_17counting_iteratorIjlEEPS9_SE_NS0_5tupleIJPjSE_EEENSF_IJSE_SE_EEES9_SG_JZNS1_25segmented_radix_sort_implINS0_14default_configELb0EPKdPdPKlPlN2at6native12_GLOBAL__N_18offset_tEEE10hipError_tPvRmT1_PNSt15iterator_traitsISY_E10value_typeET2_T3_PNSZ_IS14_E10value_typeET4_jRbjT5_S1A_jjP12ihipStream_tbEUljE_EEESV_SW_SX_S14_S18_S1A_T6_T7_T9_mT8_S1C_bDpT10_ENKUlT_T0_E_clISt17integral_constantIbLb0EES1P_EEDaS1K_S1L_EUlS1K_E_NS1_11comp_targetILNS1_3genE10ELNS1_11target_archE1200ELNS1_3gpuE4ELNS1_3repE0EEENS1_30default_config_static_selectorELNS0_4arch9wavefront6targetE1EEEvSY_,comdat
	.globl	_ZN7rocprim17ROCPRIM_400000_NS6detail17trampoline_kernelINS0_13select_configILj256ELj13ELNS0_17block_load_methodE3ELS4_3ELS4_3ELNS0_20block_scan_algorithmE0ELj4294967295EEENS1_25partition_config_selectorILNS1_17partition_subalgoE3EjNS0_10empty_typeEbEEZZNS1_14partition_implILS8_3ELb0ES6_jNS0_17counting_iteratorIjlEEPS9_SE_NS0_5tupleIJPjSE_EEENSF_IJSE_SE_EEES9_SG_JZNS1_25segmented_radix_sort_implINS0_14default_configELb0EPKdPdPKlPlN2at6native12_GLOBAL__N_18offset_tEEE10hipError_tPvRmT1_PNSt15iterator_traitsISY_E10value_typeET2_T3_PNSZ_IS14_E10value_typeET4_jRbjT5_S1A_jjP12ihipStream_tbEUljE_EEESV_SW_SX_S14_S18_S1A_T6_T7_T9_mT8_S1C_bDpT10_ENKUlT_T0_E_clISt17integral_constantIbLb0EES1P_EEDaS1K_S1L_EUlS1K_E_NS1_11comp_targetILNS1_3genE10ELNS1_11target_archE1200ELNS1_3gpuE4ELNS1_3repE0EEENS1_30default_config_static_selectorELNS0_4arch9wavefront6targetE1EEEvSY_ ; -- Begin function _ZN7rocprim17ROCPRIM_400000_NS6detail17trampoline_kernelINS0_13select_configILj256ELj13ELNS0_17block_load_methodE3ELS4_3ELS4_3ELNS0_20block_scan_algorithmE0ELj4294967295EEENS1_25partition_config_selectorILNS1_17partition_subalgoE3EjNS0_10empty_typeEbEEZZNS1_14partition_implILS8_3ELb0ES6_jNS0_17counting_iteratorIjlEEPS9_SE_NS0_5tupleIJPjSE_EEENSF_IJSE_SE_EEES9_SG_JZNS1_25segmented_radix_sort_implINS0_14default_configELb0EPKdPdPKlPlN2at6native12_GLOBAL__N_18offset_tEEE10hipError_tPvRmT1_PNSt15iterator_traitsISY_E10value_typeET2_T3_PNSZ_IS14_E10value_typeET4_jRbjT5_S1A_jjP12ihipStream_tbEUljE_EEESV_SW_SX_S14_S18_S1A_T6_T7_T9_mT8_S1C_bDpT10_ENKUlT_T0_E_clISt17integral_constantIbLb0EES1P_EEDaS1K_S1L_EUlS1K_E_NS1_11comp_targetILNS1_3genE10ELNS1_11target_archE1200ELNS1_3gpuE4ELNS1_3repE0EEENS1_30default_config_static_selectorELNS0_4arch9wavefront6targetE1EEEvSY_
	.p2align	8
	.type	_ZN7rocprim17ROCPRIM_400000_NS6detail17trampoline_kernelINS0_13select_configILj256ELj13ELNS0_17block_load_methodE3ELS4_3ELS4_3ELNS0_20block_scan_algorithmE0ELj4294967295EEENS1_25partition_config_selectorILNS1_17partition_subalgoE3EjNS0_10empty_typeEbEEZZNS1_14partition_implILS8_3ELb0ES6_jNS0_17counting_iteratorIjlEEPS9_SE_NS0_5tupleIJPjSE_EEENSF_IJSE_SE_EEES9_SG_JZNS1_25segmented_radix_sort_implINS0_14default_configELb0EPKdPdPKlPlN2at6native12_GLOBAL__N_18offset_tEEE10hipError_tPvRmT1_PNSt15iterator_traitsISY_E10value_typeET2_T3_PNSZ_IS14_E10value_typeET4_jRbjT5_S1A_jjP12ihipStream_tbEUljE_EEESV_SW_SX_S14_S18_S1A_T6_T7_T9_mT8_S1C_bDpT10_ENKUlT_T0_E_clISt17integral_constantIbLb0EES1P_EEDaS1K_S1L_EUlS1K_E_NS1_11comp_targetILNS1_3genE10ELNS1_11target_archE1200ELNS1_3gpuE4ELNS1_3repE0EEENS1_30default_config_static_selectorELNS0_4arch9wavefront6targetE1EEEvSY_,@function
_ZN7rocprim17ROCPRIM_400000_NS6detail17trampoline_kernelINS0_13select_configILj256ELj13ELNS0_17block_load_methodE3ELS4_3ELS4_3ELNS0_20block_scan_algorithmE0ELj4294967295EEENS1_25partition_config_selectorILNS1_17partition_subalgoE3EjNS0_10empty_typeEbEEZZNS1_14partition_implILS8_3ELb0ES6_jNS0_17counting_iteratorIjlEEPS9_SE_NS0_5tupleIJPjSE_EEENSF_IJSE_SE_EEES9_SG_JZNS1_25segmented_radix_sort_implINS0_14default_configELb0EPKdPdPKlPlN2at6native12_GLOBAL__N_18offset_tEEE10hipError_tPvRmT1_PNSt15iterator_traitsISY_E10value_typeET2_T3_PNSZ_IS14_E10value_typeET4_jRbjT5_S1A_jjP12ihipStream_tbEUljE_EEESV_SW_SX_S14_S18_S1A_T6_T7_T9_mT8_S1C_bDpT10_ENKUlT_T0_E_clISt17integral_constantIbLb0EES1P_EEDaS1K_S1L_EUlS1K_E_NS1_11comp_targetILNS1_3genE10ELNS1_11target_archE1200ELNS1_3gpuE4ELNS1_3repE0EEENS1_30default_config_static_selectorELNS0_4arch9wavefront6targetE1EEEvSY_: ; @_ZN7rocprim17ROCPRIM_400000_NS6detail17trampoline_kernelINS0_13select_configILj256ELj13ELNS0_17block_load_methodE3ELS4_3ELS4_3ELNS0_20block_scan_algorithmE0ELj4294967295EEENS1_25partition_config_selectorILNS1_17partition_subalgoE3EjNS0_10empty_typeEbEEZZNS1_14partition_implILS8_3ELb0ES6_jNS0_17counting_iteratorIjlEEPS9_SE_NS0_5tupleIJPjSE_EEENSF_IJSE_SE_EEES9_SG_JZNS1_25segmented_radix_sort_implINS0_14default_configELb0EPKdPdPKlPlN2at6native12_GLOBAL__N_18offset_tEEE10hipError_tPvRmT1_PNSt15iterator_traitsISY_E10value_typeET2_T3_PNSZ_IS14_E10value_typeET4_jRbjT5_S1A_jjP12ihipStream_tbEUljE_EEESV_SW_SX_S14_S18_S1A_T6_T7_T9_mT8_S1C_bDpT10_ENKUlT_T0_E_clISt17integral_constantIbLb0EES1P_EEDaS1K_S1L_EUlS1K_E_NS1_11comp_targetILNS1_3genE10ELNS1_11target_archE1200ELNS1_3gpuE4ELNS1_3repE0EEENS1_30default_config_static_selectorELNS0_4arch9wavefront6targetE1EEEvSY_
; %bb.0:
	.section	.rodata,"a",@progbits
	.p2align	6, 0x0
	.amdhsa_kernel _ZN7rocprim17ROCPRIM_400000_NS6detail17trampoline_kernelINS0_13select_configILj256ELj13ELNS0_17block_load_methodE3ELS4_3ELS4_3ELNS0_20block_scan_algorithmE0ELj4294967295EEENS1_25partition_config_selectorILNS1_17partition_subalgoE3EjNS0_10empty_typeEbEEZZNS1_14partition_implILS8_3ELb0ES6_jNS0_17counting_iteratorIjlEEPS9_SE_NS0_5tupleIJPjSE_EEENSF_IJSE_SE_EEES9_SG_JZNS1_25segmented_radix_sort_implINS0_14default_configELb0EPKdPdPKlPlN2at6native12_GLOBAL__N_18offset_tEEE10hipError_tPvRmT1_PNSt15iterator_traitsISY_E10value_typeET2_T3_PNSZ_IS14_E10value_typeET4_jRbjT5_S1A_jjP12ihipStream_tbEUljE_EEESV_SW_SX_S14_S18_S1A_T6_T7_T9_mT8_S1C_bDpT10_ENKUlT_T0_E_clISt17integral_constantIbLb0EES1P_EEDaS1K_S1L_EUlS1K_E_NS1_11comp_targetILNS1_3genE10ELNS1_11target_archE1200ELNS1_3gpuE4ELNS1_3repE0EEENS1_30default_config_static_selectorELNS0_4arch9wavefront6targetE1EEEvSY_
		.amdhsa_group_segment_fixed_size 0
		.amdhsa_private_segment_fixed_size 0
		.amdhsa_kernarg_size 144
		.amdhsa_user_sgpr_count 6
		.amdhsa_user_sgpr_private_segment_buffer 1
		.amdhsa_user_sgpr_dispatch_ptr 0
		.amdhsa_user_sgpr_queue_ptr 0
		.amdhsa_user_sgpr_kernarg_segment_ptr 1
		.amdhsa_user_sgpr_dispatch_id 0
		.amdhsa_user_sgpr_flat_scratch_init 0
		.amdhsa_user_sgpr_private_segment_size 0
		.amdhsa_uses_dynamic_stack 0
		.amdhsa_system_sgpr_private_segment_wavefront_offset 0
		.amdhsa_system_sgpr_workgroup_id_x 1
		.amdhsa_system_sgpr_workgroup_id_y 0
		.amdhsa_system_sgpr_workgroup_id_z 0
		.amdhsa_system_sgpr_workgroup_info 0
		.amdhsa_system_vgpr_workitem_id 0
		.amdhsa_next_free_vgpr 1
		.amdhsa_next_free_sgpr 0
		.amdhsa_reserve_vcc 0
		.amdhsa_reserve_flat_scratch 0
		.amdhsa_float_round_mode_32 0
		.amdhsa_float_round_mode_16_64 0
		.amdhsa_float_denorm_mode_32 3
		.amdhsa_float_denorm_mode_16_64 3
		.amdhsa_dx10_clamp 1
		.amdhsa_ieee_mode 1
		.amdhsa_fp16_overflow 0
		.amdhsa_exception_fp_ieee_invalid_op 0
		.amdhsa_exception_fp_denorm_src 0
		.amdhsa_exception_fp_ieee_div_zero 0
		.amdhsa_exception_fp_ieee_overflow 0
		.amdhsa_exception_fp_ieee_underflow 0
		.amdhsa_exception_fp_ieee_inexact 0
		.amdhsa_exception_int_div_zero 0
	.end_amdhsa_kernel
	.section	.text._ZN7rocprim17ROCPRIM_400000_NS6detail17trampoline_kernelINS0_13select_configILj256ELj13ELNS0_17block_load_methodE3ELS4_3ELS4_3ELNS0_20block_scan_algorithmE0ELj4294967295EEENS1_25partition_config_selectorILNS1_17partition_subalgoE3EjNS0_10empty_typeEbEEZZNS1_14partition_implILS8_3ELb0ES6_jNS0_17counting_iteratorIjlEEPS9_SE_NS0_5tupleIJPjSE_EEENSF_IJSE_SE_EEES9_SG_JZNS1_25segmented_radix_sort_implINS0_14default_configELb0EPKdPdPKlPlN2at6native12_GLOBAL__N_18offset_tEEE10hipError_tPvRmT1_PNSt15iterator_traitsISY_E10value_typeET2_T3_PNSZ_IS14_E10value_typeET4_jRbjT5_S1A_jjP12ihipStream_tbEUljE_EEESV_SW_SX_S14_S18_S1A_T6_T7_T9_mT8_S1C_bDpT10_ENKUlT_T0_E_clISt17integral_constantIbLb0EES1P_EEDaS1K_S1L_EUlS1K_E_NS1_11comp_targetILNS1_3genE10ELNS1_11target_archE1200ELNS1_3gpuE4ELNS1_3repE0EEENS1_30default_config_static_selectorELNS0_4arch9wavefront6targetE1EEEvSY_,"axG",@progbits,_ZN7rocprim17ROCPRIM_400000_NS6detail17trampoline_kernelINS0_13select_configILj256ELj13ELNS0_17block_load_methodE3ELS4_3ELS4_3ELNS0_20block_scan_algorithmE0ELj4294967295EEENS1_25partition_config_selectorILNS1_17partition_subalgoE3EjNS0_10empty_typeEbEEZZNS1_14partition_implILS8_3ELb0ES6_jNS0_17counting_iteratorIjlEEPS9_SE_NS0_5tupleIJPjSE_EEENSF_IJSE_SE_EEES9_SG_JZNS1_25segmented_radix_sort_implINS0_14default_configELb0EPKdPdPKlPlN2at6native12_GLOBAL__N_18offset_tEEE10hipError_tPvRmT1_PNSt15iterator_traitsISY_E10value_typeET2_T3_PNSZ_IS14_E10value_typeET4_jRbjT5_S1A_jjP12ihipStream_tbEUljE_EEESV_SW_SX_S14_S18_S1A_T6_T7_T9_mT8_S1C_bDpT10_ENKUlT_T0_E_clISt17integral_constantIbLb0EES1P_EEDaS1K_S1L_EUlS1K_E_NS1_11comp_targetILNS1_3genE10ELNS1_11target_archE1200ELNS1_3gpuE4ELNS1_3repE0EEENS1_30default_config_static_selectorELNS0_4arch9wavefront6targetE1EEEvSY_,comdat
.Lfunc_end1194:
	.size	_ZN7rocprim17ROCPRIM_400000_NS6detail17trampoline_kernelINS0_13select_configILj256ELj13ELNS0_17block_load_methodE3ELS4_3ELS4_3ELNS0_20block_scan_algorithmE0ELj4294967295EEENS1_25partition_config_selectorILNS1_17partition_subalgoE3EjNS0_10empty_typeEbEEZZNS1_14partition_implILS8_3ELb0ES6_jNS0_17counting_iteratorIjlEEPS9_SE_NS0_5tupleIJPjSE_EEENSF_IJSE_SE_EEES9_SG_JZNS1_25segmented_radix_sort_implINS0_14default_configELb0EPKdPdPKlPlN2at6native12_GLOBAL__N_18offset_tEEE10hipError_tPvRmT1_PNSt15iterator_traitsISY_E10value_typeET2_T3_PNSZ_IS14_E10value_typeET4_jRbjT5_S1A_jjP12ihipStream_tbEUljE_EEESV_SW_SX_S14_S18_S1A_T6_T7_T9_mT8_S1C_bDpT10_ENKUlT_T0_E_clISt17integral_constantIbLb0EES1P_EEDaS1K_S1L_EUlS1K_E_NS1_11comp_targetILNS1_3genE10ELNS1_11target_archE1200ELNS1_3gpuE4ELNS1_3repE0EEENS1_30default_config_static_selectorELNS0_4arch9wavefront6targetE1EEEvSY_, .Lfunc_end1194-_ZN7rocprim17ROCPRIM_400000_NS6detail17trampoline_kernelINS0_13select_configILj256ELj13ELNS0_17block_load_methodE3ELS4_3ELS4_3ELNS0_20block_scan_algorithmE0ELj4294967295EEENS1_25partition_config_selectorILNS1_17partition_subalgoE3EjNS0_10empty_typeEbEEZZNS1_14partition_implILS8_3ELb0ES6_jNS0_17counting_iteratorIjlEEPS9_SE_NS0_5tupleIJPjSE_EEENSF_IJSE_SE_EEES9_SG_JZNS1_25segmented_radix_sort_implINS0_14default_configELb0EPKdPdPKlPlN2at6native12_GLOBAL__N_18offset_tEEE10hipError_tPvRmT1_PNSt15iterator_traitsISY_E10value_typeET2_T3_PNSZ_IS14_E10value_typeET4_jRbjT5_S1A_jjP12ihipStream_tbEUljE_EEESV_SW_SX_S14_S18_S1A_T6_T7_T9_mT8_S1C_bDpT10_ENKUlT_T0_E_clISt17integral_constantIbLb0EES1P_EEDaS1K_S1L_EUlS1K_E_NS1_11comp_targetILNS1_3genE10ELNS1_11target_archE1200ELNS1_3gpuE4ELNS1_3repE0EEENS1_30default_config_static_selectorELNS0_4arch9wavefront6targetE1EEEvSY_
                                        ; -- End function
	.set _ZN7rocprim17ROCPRIM_400000_NS6detail17trampoline_kernelINS0_13select_configILj256ELj13ELNS0_17block_load_methodE3ELS4_3ELS4_3ELNS0_20block_scan_algorithmE0ELj4294967295EEENS1_25partition_config_selectorILNS1_17partition_subalgoE3EjNS0_10empty_typeEbEEZZNS1_14partition_implILS8_3ELb0ES6_jNS0_17counting_iteratorIjlEEPS9_SE_NS0_5tupleIJPjSE_EEENSF_IJSE_SE_EEES9_SG_JZNS1_25segmented_radix_sort_implINS0_14default_configELb0EPKdPdPKlPlN2at6native12_GLOBAL__N_18offset_tEEE10hipError_tPvRmT1_PNSt15iterator_traitsISY_E10value_typeET2_T3_PNSZ_IS14_E10value_typeET4_jRbjT5_S1A_jjP12ihipStream_tbEUljE_EEESV_SW_SX_S14_S18_S1A_T6_T7_T9_mT8_S1C_bDpT10_ENKUlT_T0_E_clISt17integral_constantIbLb0EES1P_EEDaS1K_S1L_EUlS1K_E_NS1_11comp_targetILNS1_3genE10ELNS1_11target_archE1200ELNS1_3gpuE4ELNS1_3repE0EEENS1_30default_config_static_selectorELNS0_4arch9wavefront6targetE1EEEvSY_.num_vgpr, 0
	.set _ZN7rocprim17ROCPRIM_400000_NS6detail17trampoline_kernelINS0_13select_configILj256ELj13ELNS0_17block_load_methodE3ELS4_3ELS4_3ELNS0_20block_scan_algorithmE0ELj4294967295EEENS1_25partition_config_selectorILNS1_17partition_subalgoE3EjNS0_10empty_typeEbEEZZNS1_14partition_implILS8_3ELb0ES6_jNS0_17counting_iteratorIjlEEPS9_SE_NS0_5tupleIJPjSE_EEENSF_IJSE_SE_EEES9_SG_JZNS1_25segmented_radix_sort_implINS0_14default_configELb0EPKdPdPKlPlN2at6native12_GLOBAL__N_18offset_tEEE10hipError_tPvRmT1_PNSt15iterator_traitsISY_E10value_typeET2_T3_PNSZ_IS14_E10value_typeET4_jRbjT5_S1A_jjP12ihipStream_tbEUljE_EEESV_SW_SX_S14_S18_S1A_T6_T7_T9_mT8_S1C_bDpT10_ENKUlT_T0_E_clISt17integral_constantIbLb0EES1P_EEDaS1K_S1L_EUlS1K_E_NS1_11comp_targetILNS1_3genE10ELNS1_11target_archE1200ELNS1_3gpuE4ELNS1_3repE0EEENS1_30default_config_static_selectorELNS0_4arch9wavefront6targetE1EEEvSY_.num_agpr, 0
	.set _ZN7rocprim17ROCPRIM_400000_NS6detail17trampoline_kernelINS0_13select_configILj256ELj13ELNS0_17block_load_methodE3ELS4_3ELS4_3ELNS0_20block_scan_algorithmE0ELj4294967295EEENS1_25partition_config_selectorILNS1_17partition_subalgoE3EjNS0_10empty_typeEbEEZZNS1_14partition_implILS8_3ELb0ES6_jNS0_17counting_iteratorIjlEEPS9_SE_NS0_5tupleIJPjSE_EEENSF_IJSE_SE_EEES9_SG_JZNS1_25segmented_radix_sort_implINS0_14default_configELb0EPKdPdPKlPlN2at6native12_GLOBAL__N_18offset_tEEE10hipError_tPvRmT1_PNSt15iterator_traitsISY_E10value_typeET2_T3_PNSZ_IS14_E10value_typeET4_jRbjT5_S1A_jjP12ihipStream_tbEUljE_EEESV_SW_SX_S14_S18_S1A_T6_T7_T9_mT8_S1C_bDpT10_ENKUlT_T0_E_clISt17integral_constantIbLb0EES1P_EEDaS1K_S1L_EUlS1K_E_NS1_11comp_targetILNS1_3genE10ELNS1_11target_archE1200ELNS1_3gpuE4ELNS1_3repE0EEENS1_30default_config_static_selectorELNS0_4arch9wavefront6targetE1EEEvSY_.numbered_sgpr, 0
	.set _ZN7rocprim17ROCPRIM_400000_NS6detail17trampoline_kernelINS0_13select_configILj256ELj13ELNS0_17block_load_methodE3ELS4_3ELS4_3ELNS0_20block_scan_algorithmE0ELj4294967295EEENS1_25partition_config_selectorILNS1_17partition_subalgoE3EjNS0_10empty_typeEbEEZZNS1_14partition_implILS8_3ELb0ES6_jNS0_17counting_iteratorIjlEEPS9_SE_NS0_5tupleIJPjSE_EEENSF_IJSE_SE_EEES9_SG_JZNS1_25segmented_radix_sort_implINS0_14default_configELb0EPKdPdPKlPlN2at6native12_GLOBAL__N_18offset_tEEE10hipError_tPvRmT1_PNSt15iterator_traitsISY_E10value_typeET2_T3_PNSZ_IS14_E10value_typeET4_jRbjT5_S1A_jjP12ihipStream_tbEUljE_EEESV_SW_SX_S14_S18_S1A_T6_T7_T9_mT8_S1C_bDpT10_ENKUlT_T0_E_clISt17integral_constantIbLb0EES1P_EEDaS1K_S1L_EUlS1K_E_NS1_11comp_targetILNS1_3genE10ELNS1_11target_archE1200ELNS1_3gpuE4ELNS1_3repE0EEENS1_30default_config_static_selectorELNS0_4arch9wavefront6targetE1EEEvSY_.num_named_barrier, 0
	.set _ZN7rocprim17ROCPRIM_400000_NS6detail17trampoline_kernelINS0_13select_configILj256ELj13ELNS0_17block_load_methodE3ELS4_3ELS4_3ELNS0_20block_scan_algorithmE0ELj4294967295EEENS1_25partition_config_selectorILNS1_17partition_subalgoE3EjNS0_10empty_typeEbEEZZNS1_14partition_implILS8_3ELb0ES6_jNS0_17counting_iteratorIjlEEPS9_SE_NS0_5tupleIJPjSE_EEENSF_IJSE_SE_EEES9_SG_JZNS1_25segmented_radix_sort_implINS0_14default_configELb0EPKdPdPKlPlN2at6native12_GLOBAL__N_18offset_tEEE10hipError_tPvRmT1_PNSt15iterator_traitsISY_E10value_typeET2_T3_PNSZ_IS14_E10value_typeET4_jRbjT5_S1A_jjP12ihipStream_tbEUljE_EEESV_SW_SX_S14_S18_S1A_T6_T7_T9_mT8_S1C_bDpT10_ENKUlT_T0_E_clISt17integral_constantIbLb0EES1P_EEDaS1K_S1L_EUlS1K_E_NS1_11comp_targetILNS1_3genE10ELNS1_11target_archE1200ELNS1_3gpuE4ELNS1_3repE0EEENS1_30default_config_static_selectorELNS0_4arch9wavefront6targetE1EEEvSY_.private_seg_size, 0
	.set _ZN7rocprim17ROCPRIM_400000_NS6detail17trampoline_kernelINS0_13select_configILj256ELj13ELNS0_17block_load_methodE3ELS4_3ELS4_3ELNS0_20block_scan_algorithmE0ELj4294967295EEENS1_25partition_config_selectorILNS1_17partition_subalgoE3EjNS0_10empty_typeEbEEZZNS1_14partition_implILS8_3ELb0ES6_jNS0_17counting_iteratorIjlEEPS9_SE_NS0_5tupleIJPjSE_EEENSF_IJSE_SE_EEES9_SG_JZNS1_25segmented_radix_sort_implINS0_14default_configELb0EPKdPdPKlPlN2at6native12_GLOBAL__N_18offset_tEEE10hipError_tPvRmT1_PNSt15iterator_traitsISY_E10value_typeET2_T3_PNSZ_IS14_E10value_typeET4_jRbjT5_S1A_jjP12ihipStream_tbEUljE_EEESV_SW_SX_S14_S18_S1A_T6_T7_T9_mT8_S1C_bDpT10_ENKUlT_T0_E_clISt17integral_constantIbLb0EES1P_EEDaS1K_S1L_EUlS1K_E_NS1_11comp_targetILNS1_3genE10ELNS1_11target_archE1200ELNS1_3gpuE4ELNS1_3repE0EEENS1_30default_config_static_selectorELNS0_4arch9wavefront6targetE1EEEvSY_.uses_vcc, 0
	.set _ZN7rocprim17ROCPRIM_400000_NS6detail17trampoline_kernelINS0_13select_configILj256ELj13ELNS0_17block_load_methodE3ELS4_3ELS4_3ELNS0_20block_scan_algorithmE0ELj4294967295EEENS1_25partition_config_selectorILNS1_17partition_subalgoE3EjNS0_10empty_typeEbEEZZNS1_14partition_implILS8_3ELb0ES6_jNS0_17counting_iteratorIjlEEPS9_SE_NS0_5tupleIJPjSE_EEENSF_IJSE_SE_EEES9_SG_JZNS1_25segmented_radix_sort_implINS0_14default_configELb0EPKdPdPKlPlN2at6native12_GLOBAL__N_18offset_tEEE10hipError_tPvRmT1_PNSt15iterator_traitsISY_E10value_typeET2_T3_PNSZ_IS14_E10value_typeET4_jRbjT5_S1A_jjP12ihipStream_tbEUljE_EEESV_SW_SX_S14_S18_S1A_T6_T7_T9_mT8_S1C_bDpT10_ENKUlT_T0_E_clISt17integral_constantIbLb0EES1P_EEDaS1K_S1L_EUlS1K_E_NS1_11comp_targetILNS1_3genE10ELNS1_11target_archE1200ELNS1_3gpuE4ELNS1_3repE0EEENS1_30default_config_static_selectorELNS0_4arch9wavefront6targetE1EEEvSY_.uses_flat_scratch, 0
	.set _ZN7rocprim17ROCPRIM_400000_NS6detail17trampoline_kernelINS0_13select_configILj256ELj13ELNS0_17block_load_methodE3ELS4_3ELS4_3ELNS0_20block_scan_algorithmE0ELj4294967295EEENS1_25partition_config_selectorILNS1_17partition_subalgoE3EjNS0_10empty_typeEbEEZZNS1_14partition_implILS8_3ELb0ES6_jNS0_17counting_iteratorIjlEEPS9_SE_NS0_5tupleIJPjSE_EEENSF_IJSE_SE_EEES9_SG_JZNS1_25segmented_radix_sort_implINS0_14default_configELb0EPKdPdPKlPlN2at6native12_GLOBAL__N_18offset_tEEE10hipError_tPvRmT1_PNSt15iterator_traitsISY_E10value_typeET2_T3_PNSZ_IS14_E10value_typeET4_jRbjT5_S1A_jjP12ihipStream_tbEUljE_EEESV_SW_SX_S14_S18_S1A_T6_T7_T9_mT8_S1C_bDpT10_ENKUlT_T0_E_clISt17integral_constantIbLb0EES1P_EEDaS1K_S1L_EUlS1K_E_NS1_11comp_targetILNS1_3genE10ELNS1_11target_archE1200ELNS1_3gpuE4ELNS1_3repE0EEENS1_30default_config_static_selectorELNS0_4arch9wavefront6targetE1EEEvSY_.has_dyn_sized_stack, 0
	.set _ZN7rocprim17ROCPRIM_400000_NS6detail17trampoline_kernelINS0_13select_configILj256ELj13ELNS0_17block_load_methodE3ELS4_3ELS4_3ELNS0_20block_scan_algorithmE0ELj4294967295EEENS1_25partition_config_selectorILNS1_17partition_subalgoE3EjNS0_10empty_typeEbEEZZNS1_14partition_implILS8_3ELb0ES6_jNS0_17counting_iteratorIjlEEPS9_SE_NS0_5tupleIJPjSE_EEENSF_IJSE_SE_EEES9_SG_JZNS1_25segmented_radix_sort_implINS0_14default_configELb0EPKdPdPKlPlN2at6native12_GLOBAL__N_18offset_tEEE10hipError_tPvRmT1_PNSt15iterator_traitsISY_E10value_typeET2_T3_PNSZ_IS14_E10value_typeET4_jRbjT5_S1A_jjP12ihipStream_tbEUljE_EEESV_SW_SX_S14_S18_S1A_T6_T7_T9_mT8_S1C_bDpT10_ENKUlT_T0_E_clISt17integral_constantIbLb0EES1P_EEDaS1K_S1L_EUlS1K_E_NS1_11comp_targetILNS1_3genE10ELNS1_11target_archE1200ELNS1_3gpuE4ELNS1_3repE0EEENS1_30default_config_static_selectorELNS0_4arch9wavefront6targetE1EEEvSY_.has_recursion, 0
	.set _ZN7rocprim17ROCPRIM_400000_NS6detail17trampoline_kernelINS0_13select_configILj256ELj13ELNS0_17block_load_methodE3ELS4_3ELS4_3ELNS0_20block_scan_algorithmE0ELj4294967295EEENS1_25partition_config_selectorILNS1_17partition_subalgoE3EjNS0_10empty_typeEbEEZZNS1_14partition_implILS8_3ELb0ES6_jNS0_17counting_iteratorIjlEEPS9_SE_NS0_5tupleIJPjSE_EEENSF_IJSE_SE_EEES9_SG_JZNS1_25segmented_radix_sort_implINS0_14default_configELb0EPKdPdPKlPlN2at6native12_GLOBAL__N_18offset_tEEE10hipError_tPvRmT1_PNSt15iterator_traitsISY_E10value_typeET2_T3_PNSZ_IS14_E10value_typeET4_jRbjT5_S1A_jjP12ihipStream_tbEUljE_EEESV_SW_SX_S14_S18_S1A_T6_T7_T9_mT8_S1C_bDpT10_ENKUlT_T0_E_clISt17integral_constantIbLb0EES1P_EEDaS1K_S1L_EUlS1K_E_NS1_11comp_targetILNS1_3genE10ELNS1_11target_archE1200ELNS1_3gpuE4ELNS1_3repE0EEENS1_30default_config_static_selectorELNS0_4arch9wavefront6targetE1EEEvSY_.has_indirect_call, 0
	.section	.AMDGPU.csdata,"",@progbits
; Kernel info:
; codeLenInByte = 0
; TotalNumSgprs: 4
; NumVgprs: 0
; ScratchSize: 0
; MemoryBound: 0
; FloatMode: 240
; IeeeMode: 1
; LDSByteSize: 0 bytes/workgroup (compile time only)
; SGPRBlocks: 0
; VGPRBlocks: 0
; NumSGPRsForWavesPerEU: 4
; NumVGPRsForWavesPerEU: 1
; Occupancy: 10
; WaveLimiterHint : 0
; COMPUTE_PGM_RSRC2:SCRATCH_EN: 0
; COMPUTE_PGM_RSRC2:USER_SGPR: 6
; COMPUTE_PGM_RSRC2:TRAP_HANDLER: 0
; COMPUTE_PGM_RSRC2:TGID_X_EN: 1
; COMPUTE_PGM_RSRC2:TGID_Y_EN: 0
; COMPUTE_PGM_RSRC2:TGID_Z_EN: 0
; COMPUTE_PGM_RSRC2:TIDIG_COMP_CNT: 0
	.section	.text._ZN7rocprim17ROCPRIM_400000_NS6detail17trampoline_kernelINS0_13select_configILj256ELj13ELNS0_17block_load_methodE3ELS4_3ELS4_3ELNS0_20block_scan_algorithmE0ELj4294967295EEENS1_25partition_config_selectorILNS1_17partition_subalgoE3EjNS0_10empty_typeEbEEZZNS1_14partition_implILS8_3ELb0ES6_jNS0_17counting_iteratorIjlEEPS9_SE_NS0_5tupleIJPjSE_EEENSF_IJSE_SE_EEES9_SG_JZNS1_25segmented_radix_sort_implINS0_14default_configELb0EPKdPdPKlPlN2at6native12_GLOBAL__N_18offset_tEEE10hipError_tPvRmT1_PNSt15iterator_traitsISY_E10value_typeET2_T3_PNSZ_IS14_E10value_typeET4_jRbjT5_S1A_jjP12ihipStream_tbEUljE_EEESV_SW_SX_S14_S18_S1A_T6_T7_T9_mT8_S1C_bDpT10_ENKUlT_T0_E_clISt17integral_constantIbLb0EES1P_EEDaS1K_S1L_EUlS1K_E_NS1_11comp_targetILNS1_3genE9ELNS1_11target_archE1100ELNS1_3gpuE3ELNS1_3repE0EEENS1_30default_config_static_selectorELNS0_4arch9wavefront6targetE1EEEvSY_,"axG",@progbits,_ZN7rocprim17ROCPRIM_400000_NS6detail17trampoline_kernelINS0_13select_configILj256ELj13ELNS0_17block_load_methodE3ELS4_3ELS4_3ELNS0_20block_scan_algorithmE0ELj4294967295EEENS1_25partition_config_selectorILNS1_17partition_subalgoE3EjNS0_10empty_typeEbEEZZNS1_14partition_implILS8_3ELb0ES6_jNS0_17counting_iteratorIjlEEPS9_SE_NS0_5tupleIJPjSE_EEENSF_IJSE_SE_EEES9_SG_JZNS1_25segmented_radix_sort_implINS0_14default_configELb0EPKdPdPKlPlN2at6native12_GLOBAL__N_18offset_tEEE10hipError_tPvRmT1_PNSt15iterator_traitsISY_E10value_typeET2_T3_PNSZ_IS14_E10value_typeET4_jRbjT5_S1A_jjP12ihipStream_tbEUljE_EEESV_SW_SX_S14_S18_S1A_T6_T7_T9_mT8_S1C_bDpT10_ENKUlT_T0_E_clISt17integral_constantIbLb0EES1P_EEDaS1K_S1L_EUlS1K_E_NS1_11comp_targetILNS1_3genE9ELNS1_11target_archE1100ELNS1_3gpuE3ELNS1_3repE0EEENS1_30default_config_static_selectorELNS0_4arch9wavefront6targetE1EEEvSY_,comdat
	.globl	_ZN7rocprim17ROCPRIM_400000_NS6detail17trampoline_kernelINS0_13select_configILj256ELj13ELNS0_17block_load_methodE3ELS4_3ELS4_3ELNS0_20block_scan_algorithmE0ELj4294967295EEENS1_25partition_config_selectorILNS1_17partition_subalgoE3EjNS0_10empty_typeEbEEZZNS1_14partition_implILS8_3ELb0ES6_jNS0_17counting_iteratorIjlEEPS9_SE_NS0_5tupleIJPjSE_EEENSF_IJSE_SE_EEES9_SG_JZNS1_25segmented_radix_sort_implINS0_14default_configELb0EPKdPdPKlPlN2at6native12_GLOBAL__N_18offset_tEEE10hipError_tPvRmT1_PNSt15iterator_traitsISY_E10value_typeET2_T3_PNSZ_IS14_E10value_typeET4_jRbjT5_S1A_jjP12ihipStream_tbEUljE_EEESV_SW_SX_S14_S18_S1A_T6_T7_T9_mT8_S1C_bDpT10_ENKUlT_T0_E_clISt17integral_constantIbLb0EES1P_EEDaS1K_S1L_EUlS1K_E_NS1_11comp_targetILNS1_3genE9ELNS1_11target_archE1100ELNS1_3gpuE3ELNS1_3repE0EEENS1_30default_config_static_selectorELNS0_4arch9wavefront6targetE1EEEvSY_ ; -- Begin function _ZN7rocprim17ROCPRIM_400000_NS6detail17trampoline_kernelINS0_13select_configILj256ELj13ELNS0_17block_load_methodE3ELS4_3ELS4_3ELNS0_20block_scan_algorithmE0ELj4294967295EEENS1_25partition_config_selectorILNS1_17partition_subalgoE3EjNS0_10empty_typeEbEEZZNS1_14partition_implILS8_3ELb0ES6_jNS0_17counting_iteratorIjlEEPS9_SE_NS0_5tupleIJPjSE_EEENSF_IJSE_SE_EEES9_SG_JZNS1_25segmented_radix_sort_implINS0_14default_configELb0EPKdPdPKlPlN2at6native12_GLOBAL__N_18offset_tEEE10hipError_tPvRmT1_PNSt15iterator_traitsISY_E10value_typeET2_T3_PNSZ_IS14_E10value_typeET4_jRbjT5_S1A_jjP12ihipStream_tbEUljE_EEESV_SW_SX_S14_S18_S1A_T6_T7_T9_mT8_S1C_bDpT10_ENKUlT_T0_E_clISt17integral_constantIbLb0EES1P_EEDaS1K_S1L_EUlS1K_E_NS1_11comp_targetILNS1_3genE9ELNS1_11target_archE1100ELNS1_3gpuE3ELNS1_3repE0EEENS1_30default_config_static_selectorELNS0_4arch9wavefront6targetE1EEEvSY_
	.p2align	8
	.type	_ZN7rocprim17ROCPRIM_400000_NS6detail17trampoline_kernelINS0_13select_configILj256ELj13ELNS0_17block_load_methodE3ELS4_3ELS4_3ELNS0_20block_scan_algorithmE0ELj4294967295EEENS1_25partition_config_selectorILNS1_17partition_subalgoE3EjNS0_10empty_typeEbEEZZNS1_14partition_implILS8_3ELb0ES6_jNS0_17counting_iteratorIjlEEPS9_SE_NS0_5tupleIJPjSE_EEENSF_IJSE_SE_EEES9_SG_JZNS1_25segmented_radix_sort_implINS0_14default_configELb0EPKdPdPKlPlN2at6native12_GLOBAL__N_18offset_tEEE10hipError_tPvRmT1_PNSt15iterator_traitsISY_E10value_typeET2_T3_PNSZ_IS14_E10value_typeET4_jRbjT5_S1A_jjP12ihipStream_tbEUljE_EEESV_SW_SX_S14_S18_S1A_T6_T7_T9_mT8_S1C_bDpT10_ENKUlT_T0_E_clISt17integral_constantIbLb0EES1P_EEDaS1K_S1L_EUlS1K_E_NS1_11comp_targetILNS1_3genE9ELNS1_11target_archE1100ELNS1_3gpuE3ELNS1_3repE0EEENS1_30default_config_static_selectorELNS0_4arch9wavefront6targetE1EEEvSY_,@function
_ZN7rocprim17ROCPRIM_400000_NS6detail17trampoline_kernelINS0_13select_configILj256ELj13ELNS0_17block_load_methodE3ELS4_3ELS4_3ELNS0_20block_scan_algorithmE0ELj4294967295EEENS1_25partition_config_selectorILNS1_17partition_subalgoE3EjNS0_10empty_typeEbEEZZNS1_14partition_implILS8_3ELb0ES6_jNS0_17counting_iteratorIjlEEPS9_SE_NS0_5tupleIJPjSE_EEENSF_IJSE_SE_EEES9_SG_JZNS1_25segmented_radix_sort_implINS0_14default_configELb0EPKdPdPKlPlN2at6native12_GLOBAL__N_18offset_tEEE10hipError_tPvRmT1_PNSt15iterator_traitsISY_E10value_typeET2_T3_PNSZ_IS14_E10value_typeET4_jRbjT5_S1A_jjP12ihipStream_tbEUljE_EEESV_SW_SX_S14_S18_S1A_T6_T7_T9_mT8_S1C_bDpT10_ENKUlT_T0_E_clISt17integral_constantIbLb0EES1P_EEDaS1K_S1L_EUlS1K_E_NS1_11comp_targetILNS1_3genE9ELNS1_11target_archE1100ELNS1_3gpuE3ELNS1_3repE0EEENS1_30default_config_static_selectorELNS0_4arch9wavefront6targetE1EEEvSY_: ; @_ZN7rocprim17ROCPRIM_400000_NS6detail17trampoline_kernelINS0_13select_configILj256ELj13ELNS0_17block_load_methodE3ELS4_3ELS4_3ELNS0_20block_scan_algorithmE0ELj4294967295EEENS1_25partition_config_selectorILNS1_17partition_subalgoE3EjNS0_10empty_typeEbEEZZNS1_14partition_implILS8_3ELb0ES6_jNS0_17counting_iteratorIjlEEPS9_SE_NS0_5tupleIJPjSE_EEENSF_IJSE_SE_EEES9_SG_JZNS1_25segmented_radix_sort_implINS0_14default_configELb0EPKdPdPKlPlN2at6native12_GLOBAL__N_18offset_tEEE10hipError_tPvRmT1_PNSt15iterator_traitsISY_E10value_typeET2_T3_PNSZ_IS14_E10value_typeET4_jRbjT5_S1A_jjP12ihipStream_tbEUljE_EEESV_SW_SX_S14_S18_S1A_T6_T7_T9_mT8_S1C_bDpT10_ENKUlT_T0_E_clISt17integral_constantIbLb0EES1P_EEDaS1K_S1L_EUlS1K_E_NS1_11comp_targetILNS1_3genE9ELNS1_11target_archE1100ELNS1_3gpuE3ELNS1_3repE0EEENS1_30default_config_static_selectorELNS0_4arch9wavefront6targetE1EEEvSY_
; %bb.0:
	.section	.rodata,"a",@progbits
	.p2align	6, 0x0
	.amdhsa_kernel _ZN7rocprim17ROCPRIM_400000_NS6detail17trampoline_kernelINS0_13select_configILj256ELj13ELNS0_17block_load_methodE3ELS4_3ELS4_3ELNS0_20block_scan_algorithmE0ELj4294967295EEENS1_25partition_config_selectorILNS1_17partition_subalgoE3EjNS0_10empty_typeEbEEZZNS1_14partition_implILS8_3ELb0ES6_jNS0_17counting_iteratorIjlEEPS9_SE_NS0_5tupleIJPjSE_EEENSF_IJSE_SE_EEES9_SG_JZNS1_25segmented_radix_sort_implINS0_14default_configELb0EPKdPdPKlPlN2at6native12_GLOBAL__N_18offset_tEEE10hipError_tPvRmT1_PNSt15iterator_traitsISY_E10value_typeET2_T3_PNSZ_IS14_E10value_typeET4_jRbjT5_S1A_jjP12ihipStream_tbEUljE_EEESV_SW_SX_S14_S18_S1A_T6_T7_T9_mT8_S1C_bDpT10_ENKUlT_T0_E_clISt17integral_constantIbLb0EES1P_EEDaS1K_S1L_EUlS1K_E_NS1_11comp_targetILNS1_3genE9ELNS1_11target_archE1100ELNS1_3gpuE3ELNS1_3repE0EEENS1_30default_config_static_selectorELNS0_4arch9wavefront6targetE1EEEvSY_
		.amdhsa_group_segment_fixed_size 0
		.amdhsa_private_segment_fixed_size 0
		.amdhsa_kernarg_size 144
		.amdhsa_user_sgpr_count 6
		.amdhsa_user_sgpr_private_segment_buffer 1
		.amdhsa_user_sgpr_dispatch_ptr 0
		.amdhsa_user_sgpr_queue_ptr 0
		.amdhsa_user_sgpr_kernarg_segment_ptr 1
		.amdhsa_user_sgpr_dispatch_id 0
		.amdhsa_user_sgpr_flat_scratch_init 0
		.amdhsa_user_sgpr_private_segment_size 0
		.amdhsa_uses_dynamic_stack 0
		.amdhsa_system_sgpr_private_segment_wavefront_offset 0
		.amdhsa_system_sgpr_workgroup_id_x 1
		.amdhsa_system_sgpr_workgroup_id_y 0
		.amdhsa_system_sgpr_workgroup_id_z 0
		.amdhsa_system_sgpr_workgroup_info 0
		.amdhsa_system_vgpr_workitem_id 0
		.amdhsa_next_free_vgpr 1
		.amdhsa_next_free_sgpr 0
		.amdhsa_reserve_vcc 0
		.amdhsa_reserve_flat_scratch 0
		.amdhsa_float_round_mode_32 0
		.amdhsa_float_round_mode_16_64 0
		.amdhsa_float_denorm_mode_32 3
		.amdhsa_float_denorm_mode_16_64 3
		.amdhsa_dx10_clamp 1
		.amdhsa_ieee_mode 1
		.amdhsa_fp16_overflow 0
		.amdhsa_exception_fp_ieee_invalid_op 0
		.amdhsa_exception_fp_denorm_src 0
		.amdhsa_exception_fp_ieee_div_zero 0
		.amdhsa_exception_fp_ieee_overflow 0
		.amdhsa_exception_fp_ieee_underflow 0
		.amdhsa_exception_fp_ieee_inexact 0
		.amdhsa_exception_int_div_zero 0
	.end_amdhsa_kernel
	.section	.text._ZN7rocprim17ROCPRIM_400000_NS6detail17trampoline_kernelINS0_13select_configILj256ELj13ELNS0_17block_load_methodE3ELS4_3ELS4_3ELNS0_20block_scan_algorithmE0ELj4294967295EEENS1_25partition_config_selectorILNS1_17partition_subalgoE3EjNS0_10empty_typeEbEEZZNS1_14partition_implILS8_3ELb0ES6_jNS0_17counting_iteratorIjlEEPS9_SE_NS0_5tupleIJPjSE_EEENSF_IJSE_SE_EEES9_SG_JZNS1_25segmented_radix_sort_implINS0_14default_configELb0EPKdPdPKlPlN2at6native12_GLOBAL__N_18offset_tEEE10hipError_tPvRmT1_PNSt15iterator_traitsISY_E10value_typeET2_T3_PNSZ_IS14_E10value_typeET4_jRbjT5_S1A_jjP12ihipStream_tbEUljE_EEESV_SW_SX_S14_S18_S1A_T6_T7_T9_mT8_S1C_bDpT10_ENKUlT_T0_E_clISt17integral_constantIbLb0EES1P_EEDaS1K_S1L_EUlS1K_E_NS1_11comp_targetILNS1_3genE9ELNS1_11target_archE1100ELNS1_3gpuE3ELNS1_3repE0EEENS1_30default_config_static_selectorELNS0_4arch9wavefront6targetE1EEEvSY_,"axG",@progbits,_ZN7rocprim17ROCPRIM_400000_NS6detail17trampoline_kernelINS0_13select_configILj256ELj13ELNS0_17block_load_methodE3ELS4_3ELS4_3ELNS0_20block_scan_algorithmE0ELj4294967295EEENS1_25partition_config_selectorILNS1_17partition_subalgoE3EjNS0_10empty_typeEbEEZZNS1_14partition_implILS8_3ELb0ES6_jNS0_17counting_iteratorIjlEEPS9_SE_NS0_5tupleIJPjSE_EEENSF_IJSE_SE_EEES9_SG_JZNS1_25segmented_radix_sort_implINS0_14default_configELb0EPKdPdPKlPlN2at6native12_GLOBAL__N_18offset_tEEE10hipError_tPvRmT1_PNSt15iterator_traitsISY_E10value_typeET2_T3_PNSZ_IS14_E10value_typeET4_jRbjT5_S1A_jjP12ihipStream_tbEUljE_EEESV_SW_SX_S14_S18_S1A_T6_T7_T9_mT8_S1C_bDpT10_ENKUlT_T0_E_clISt17integral_constantIbLb0EES1P_EEDaS1K_S1L_EUlS1K_E_NS1_11comp_targetILNS1_3genE9ELNS1_11target_archE1100ELNS1_3gpuE3ELNS1_3repE0EEENS1_30default_config_static_selectorELNS0_4arch9wavefront6targetE1EEEvSY_,comdat
.Lfunc_end1195:
	.size	_ZN7rocprim17ROCPRIM_400000_NS6detail17trampoline_kernelINS0_13select_configILj256ELj13ELNS0_17block_load_methodE3ELS4_3ELS4_3ELNS0_20block_scan_algorithmE0ELj4294967295EEENS1_25partition_config_selectorILNS1_17partition_subalgoE3EjNS0_10empty_typeEbEEZZNS1_14partition_implILS8_3ELb0ES6_jNS0_17counting_iteratorIjlEEPS9_SE_NS0_5tupleIJPjSE_EEENSF_IJSE_SE_EEES9_SG_JZNS1_25segmented_radix_sort_implINS0_14default_configELb0EPKdPdPKlPlN2at6native12_GLOBAL__N_18offset_tEEE10hipError_tPvRmT1_PNSt15iterator_traitsISY_E10value_typeET2_T3_PNSZ_IS14_E10value_typeET4_jRbjT5_S1A_jjP12ihipStream_tbEUljE_EEESV_SW_SX_S14_S18_S1A_T6_T7_T9_mT8_S1C_bDpT10_ENKUlT_T0_E_clISt17integral_constantIbLb0EES1P_EEDaS1K_S1L_EUlS1K_E_NS1_11comp_targetILNS1_3genE9ELNS1_11target_archE1100ELNS1_3gpuE3ELNS1_3repE0EEENS1_30default_config_static_selectorELNS0_4arch9wavefront6targetE1EEEvSY_, .Lfunc_end1195-_ZN7rocprim17ROCPRIM_400000_NS6detail17trampoline_kernelINS0_13select_configILj256ELj13ELNS0_17block_load_methodE3ELS4_3ELS4_3ELNS0_20block_scan_algorithmE0ELj4294967295EEENS1_25partition_config_selectorILNS1_17partition_subalgoE3EjNS0_10empty_typeEbEEZZNS1_14partition_implILS8_3ELb0ES6_jNS0_17counting_iteratorIjlEEPS9_SE_NS0_5tupleIJPjSE_EEENSF_IJSE_SE_EEES9_SG_JZNS1_25segmented_radix_sort_implINS0_14default_configELb0EPKdPdPKlPlN2at6native12_GLOBAL__N_18offset_tEEE10hipError_tPvRmT1_PNSt15iterator_traitsISY_E10value_typeET2_T3_PNSZ_IS14_E10value_typeET4_jRbjT5_S1A_jjP12ihipStream_tbEUljE_EEESV_SW_SX_S14_S18_S1A_T6_T7_T9_mT8_S1C_bDpT10_ENKUlT_T0_E_clISt17integral_constantIbLb0EES1P_EEDaS1K_S1L_EUlS1K_E_NS1_11comp_targetILNS1_3genE9ELNS1_11target_archE1100ELNS1_3gpuE3ELNS1_3repE0EEENS1_30default_config_static_selectorELNS0_4arch9wavefront6targetE1EEEvSY_
                                        ; -- End function
	.set _ZN7rocprim17ROCPRIM_400000_NS6detail17trampoline_kernelINS0_13select_configILj256ELj13ELNS0_17block_load_methodE3ELS4_3ELS4_3ELNS0_20block_scan_algorithmE0ELj4294967295EEENS1_25partition_config_selectorILNS1_17partition_subalgoE3EjNS0_10empty_typeEbEEZZNS1_14partition_implILS8_3ELb0ES6_jNS0_17counting_iteratorIjlEEPS9_SE_NS0_5tupleIJPjSE_EEENSF_IJSE_SE_EEES9_SG_JZNS1_25segmented_radix_sort_implINS0_14default_configELb0EPKdPdPKlPlN2at6native12_GLOBAL__N_18offset_tEEE10hipError_tPvRmT1_PNSt15iterator_traitsISY_E10value_typeET2_T3_PNSZ_IS14_E10value_typeET4_jRbjT5_S1A_jjP12ihipStream_tbEUljE_EEESV_SW_SX_S14_S18_S1A_T6_T7_T9_mT8_S1C_bDpT10_ENKUlT_T0_E_clISt17integral_constantIbLb0EES1P_EEDaS1K_S1L_EUlS1K_E_NS1_11comp_targetILNS1_3genE9ELNS1_11target_archE1100ELNS1_3gpuE3ELNS1_3repE0EEENS1_30default_config_static_selectorELNS0_4arch9wavefront6targetE1EEEvSY_.num_vgpr, 0
	.set _ZN7rocprim17ROCPRIM_400000_NS6detail17trampoline_kernelINS0_13select_configILj256ELj13ELNS0_17block_load_methodE3ELS4_3ELS4_3ELNS0_20block_scan_algorithmE0ELj4294967295EEENS1_25partition_config_selectorILNS1_17partition_subalgoE3EjNS0_10empty_typeEbEEZZNS1_14partition_implILS8_3ELb0ES6_jNS0_17counting_iteratorIjlEEPS9_SE_NS0_5tupleIJPjSE_EEENSF_IJSE_SE_EEES9_SG_JZNS1_25segmented_radix_sort_implINS0_14default_configELb0EPKdPdPKlPlN2at6native12_GLOBAL__N_18offset_tEEE10hipError_tPvRmT1_PNSt15iterator_traitsISY_E10value_typeET2_T3_PNSZ_IS14_E10value_typeET4_jRbjT5_S1A_jjP12ihipStream_tbEUljE_EEESV_SW_SX_S14_S18_S1A_T6_T7_T9_mT8_S1C_bDpT10_ENKUlT_T0_E_clISt17integral_constantIbLb0EES1P_EEDaS1K_S1L_EUlS1K_E_NS1_11comp_targetILNS1_3genE9ELNS1_11target_archE1100ELNS1_3gpuE3ELNS1_3repE0EEENS1_30default_config_static_selectorELNS0_4arch9wavefront6targetE1EEEvSY_.num_agpr, 0
	.set _ZN7rocprim17ROCPRIM_400000_NS6detail17trampoline_kernelINS0_13select_configILj256ELj13ELNS0_17block_load_methodE3ELS4_3ELS4_3ELNS0_20block_scan_algorithmE0ELj4294967295EEENS1_25partition_config_selectorILNS1_17partition_subalgoE3EjNS0_10empty_typeEbEEZZNS1_14partition_implILS8_3ELb0ES6_jNS0_17counting_iteratorIjlEEPS9_SE_NS0_5tupleIJPjSE_EEENSF_IJSE_SE_EEES9_SG_JZNS1_25segmented_radix_sort_implINS0_14default_configELb0EPKdPdPKlPlN2at6native12_GLOBAL__N_18offset_tEEE10hipError_tPvRmT1_PNSt15iterator_traitsISY_E10value_typeET2_T3_PNSZ_IS14_E10value_typeET4_jRbjT5_S1A_jjP12ihipStream_tbEUljE_EEESV_SW_SX_S14_S18_S1A_T6_T7_T9_mT8_S1C_bDpT10_ENKUlT_T0_E_clISt17integral_constantIbLb0EES1P_EEDaS1K_S1L_EUlS1K_E_NS1_11comp_targetILNS1_3genE9ELNS1_11target_archE1100ELNS1_3gpuE3ELNS1_3repE0EEENS1_30default_config_static_selectorELNS0_4arch9wavefront6targetE1EEEvSY_.numbered_sgpr, 0
	.set _ZN7rocprim17ROCPRIM_400000_NS6detail17trampoline_kernelINS0_13select_configILj256ELj13ELNS0_17block_load_methodE3ELS4_3ELS4_3ELNS0_20block_scan_algorithmE0ELj4294967295EEENS1_25partition_config_selectorILNS1_17partition_subalgoE3EjNS0_10empty_typeEbEEZZNS1_14partition_implILS8_3ELb0ES6_jNS0_17counting_iteratorIjlEEPS9_SE_NS0_5tupleIJPjSE_EEENSF_IJSE_SE_EEES9_SG_JZNS1_25segmented_radix_sort_implINS0_14default_configELb0EPKdPdPKlPlN2at6native12_GLOBAL__N_18offset_tEEE10hipError_tPvRmT1_PNSt15iterator_traitsISY_E10value_typeET2_T3_PNSZ_IS14_E10value_typeET4_jRbjT5_S1A_jjP12ihipStream_tbEUljE_EEESV_SW_SX_S14_S18_S1A_T6_T7_T9_mT8_S1C_bDpT10_ENKUlT_T0_E_clISt17integral_constantIbLb0EES1P_EEDaS1K_S1L_EUlS1K_E_NS1_11comp_targetILNS1_3genE9ELNS1_11target_archE1100ELNS1_3gpuE3ELNS1_3repE0EEENS1_30default_config_static_selectorELNS0_4arch9wavefront6targetE1EEEvSY_.num_named_barrier, 0
	.set _ZN7rocprim17ROCPRIM_400000_NS6detail17trampoline_kernelINS0_13select_configILj256ELj13ELNS0_17block_load_methodE3ELS4_3ELS4_3ELNS0_20block_scan_algorithmE0ELj4294967295EEENS1_25partition_config_selectorILNS1_17partition_subalgoE3EjNS0_10empty_typeEbEEZZNS1_14partition_implILS8_3ELb0ES6_jNS0_17counting_iteratorIjlEEPS9_SE_NS0_5tupleIJPjSE_EEENSF_IJSE_SE_EEES9_SG_JZNS1_25segmented_radix_sort_implINS0_14default_configELb0EPKdPdPKlPlN2at6native12_GLOBAL__N_18offset_tEEE10hipError_tPvRmT1_PNSt15iterator_traitsISY_E10value_typeET2_T3_PNSZ_IS14_E10value_typeET4_jRbjT5_S1A_jjP12ihipStream_tbEUljE_EEESV_SW_SX_S14_S18_S1A_T6_T7_T9_mT8_S1C_bDpT10_ENKUlT_T0_E_clISt17integral_constantIbLb0EES1P_EEDaS1K_S1L_EUlS1K_E_NS1_11comp_targetILNS1_3genE9ELNS1_11target_archE1100ELNS1_3gpuE3ELNS1_3repE0EEENS1_30default_config_static_selectorELNS0_4arch9wavefront6targetE1EEEvSY_.private_seg_size, 0
	.set _ZN7rocprim17ROCPRIM_400000_NS6detail17trampoline_kernelINS0_13select_configILj256ELj13ELNS0_17block_load_methodE3ELS4_3ELS4_3ELNS0_20block_scan_algorithmE0ELj4294967295EEENS1_25partition_config_selectorILNS1_17partition_subalgoE3EjNS0_10empty_typeEbEEZZNS1_14partition_implILS8_3ELb0ES6_jNS0_17counting_iteratorIjlEEPS9_SE_NS0_5tupleIJPjSE_EEENSF_IJSE_SE_EEES9_SG_JZNS1_25segmented_radix_sort_implINS0_14default_configELb0EPKdPdPKlPlN2at6native12_GLOBAL__N_18offset_tEEE10hipError_tPvRmT1_PNSt15iterator_traitsISY_E10value_typeET2_T3_PNSZ_IS14_E10value_typeET4_jRbjT5_S1A_jjP12ihipStream_tbEUljE_EEESV_SW_SX_S14_S18_S1A_T6_T7_T9_mT8_S1C_bDpT10_ENKUlT_T0_E_clISt17integral_constantIbLb0EES1P_EEDaS1K_S1L_EUlS1K_E_NS1_11comp_targetILNS1_3genE9ELNS1_11target_archE1100ELNS1_3gpuE3ELNS1_3repE0EEENS1_30default_config_static_selectorELNS0_4arch9wavefront6targetE1EEEvSY_.uses_vcc, 0
	.set _ZN7rocprim17ROCPRIM_400000_NS6detail17trampoline_kernelINS0_13select_configILj256ELj13ELNS0_17block_load_methodE3ELS4_3ELS4_3ELNS0_20block_scan_algorithmE0ELj4294967295EEENS1_25partition_config_selectorILNS1_17partition_subalgoE3EjNS0_10empty_typeEbEEZZNS1_14partition_implILS8_3ELb0ES6_jNS0_17counting_iteratorIjlEEPS9_SE_NS0_5tupleIJPjSE_EEENSF_IJSE_SE_EEES9_SG_JZNS1_25segmented_radix_sort_implINS0_14default_configELb0EPKdPdPKlPlN2at6native12_GLOBAL__N_18offset_tEEE10hipError_tPvRmT1_PNSt15iterator_traitsISY_E10value_typeET2_T3_PNSZ_IS14_E10value_typeET4_jRbjT5_S1A_jjP12ihipStream_tbEUljE_EEESV_SW_SX_S14_S18_S1A_T6_T7_T9_mT8_S1C_bDpT10_ENKUlT_T0_E_clISt17integral_constantIbLb0EES1P_EEDaS1K_S1L_EUlS1K_E_NS1_11comp_targetILNS1_3genE9ELNS1_11target_archE1100ELNS1_3gpuE3ELNS1_3repE0EEENS1_30default_config_static_selectorELNS0_4arch9wavefront6targetE1EEEvSY_.uses_flat_scratch, 0
	.set _ZN7rocprim17ROCPRIM_400000_NS6detail17trampoline_kernelINS0_13select_configILj256ELj13ELNS0_17block_load_methodE3ELS4_3ELS4_3ELNS0_20block_scan_algorithmE0ELj4294967295EEENS1_25partition_config_selectorILNS1_17partition_subalgoE3EjNS0_10empty_typeEbEEZZNS1_14partition_implILS8_3ELb0ES6_jNS0_17counting_iteratorIjlEEPS9_SE_NS0_5tupleIJPjSE_EEENSF_IJSE_SE_EEES9_SG_JZNS1_25segmented_radix_sort_implINS0_14default_configELb0EPKdPdPKlPlN2at6native12_GLOBAL__N_18offset_tEEE10hipError_tPvRmT1_PNSt15iterator_traitsISY_E10value_typeET2_T3_PNSZ_IS14_E10value_typeET4_jRbjT5_S1A_jjP12ihipStream_tbEUljE_EEESV_SW_SX_S14_S18_S1A_T6_T7_T9_mT8_S1C_bDpT10_ENKUlT_T0_E_clISt17integral_constantIbLb0EES1P_EEDaS1K_S1L_EUlS1K_E_NS1_11comp_targetILNS1_3genE9ELNS1_11target_archE1100ELNS1_3gpuE3ELNS1_3repE0EEENS1_30default_config_static_selectorELNS0_4arch9wavefront6targetE1EEEvSY_.has_dyn_sized_stack, 0
	.set _ZN7rocprim17ROCPRIM_400000_NS6detail17trampoline_kernelINS0_13select_configILj256ELj13ELNS0_17block_load_methodE3ELS4_3ELS4_3ELNS0_20block_scan_algorithmE0ELj4294967295EEENS1_25partition_config_selectorILNS1_17partition_subalgoE3EjNS0_10empty_typeEbEEZZNS1_14partition_implILS8_3ELb0ES6_jNS0_17counting_iteratorIjlEEPS9_SE_NS0_5tupleIJPjSE_EEENSF_IJSE_SE_EEES9_SG_JZNS1_25segmented_radix_sort_implINS0_14default_configELb0EPKdPdPKlPlN2at6native12_GLOBAL__N_18offset_tEEE10hipError_tPvRmT1_PNSt15iterator_traitsISY_E10value_typeET2_T3_PNSZ_IS14_E10value_typeET4_jRbjT5_S1A_jjP12ihipStream_tbEUljE_EEESV_SW_SX_S14_S18_S1A_T6_T7_T9_mT8_S1C_bDpT10_ENKUlT_T0_E_clISt17integral_constantIbLb0EES1P_EEDaS1K_S1L_EUlS1K_E_NS1_11comp_targetILNS1_3genE9ELNS1_11target_archE1100ELNS1_3gpuE3ELNS1_3repE0EEENS1_30default_config_static_selectorELNS0_4arch9wavefront6targetE1EEEvSY_.has_recursion, 0
	.set _ZN7rocprim17ROCPRIM_400000_NS6detail17trampoline_kernelINS0_13select_configILj256ELj13ELNS0_17block_load_methodE3ELS4_3ELS4_3ELNS0_20block_scan_algorithmE0ELj4294967295EEENS1_25partition_config_selectorILNS1_17partition_subalgoE3EjNS0_10empty_typeEbEEZZNS1_14partition_implILS8_3ELb0ES6_jNS0_17counting_iteratorIjlEEPS9_SE_NS0_5tupleIJPjSE_EEENSF_IJSE_SE_EEES9_SG_JZNS1_25segmented_radix_sort_implINS0_14default_configELb0EPKdPdPKlPlN2at6native12_GLOBAL__N_18offset_tEEE10hipError_tPvRmT1_PNSt15iterator_traitsISY_E10value_typeET2_T3_PNSZ_IS14_E10value_typeET4_jRbjT5_S1A_jjP12ihipStream_tbEUljE_EEESV_SW_SX_S14_S18_S1A_T6_T7_T9_mT8_S1C_bDpT10_ENKUlT_T0_E_clISt17integral_constantIbLb0EES1P_EEDaS1K_S1L_EUlS1K_E_NS1_11comp_targetILNS1_3genE9ELNS1_11target_archE1100ELNS1_3gpuE3ELNS1_3repE0EEENS1_30default_config_static_selectorELNS0_4arch9wavefront6targetE1EEEvSY_.has_indirect_call, 0
	.section	.AMDGPU.csdata,"",@progbits
; Kernel info:
; codeLenInByte = 0
; TotalNumSgprs: 4
; NumVgprs: 0
; ScratchSize: 0
; MemoryBound: 0
; FloatMode: 240
; IeeeMode: 1
; LDSByteSize: 0 bytes/workgroup (compile time only)
; SGPRBlocks: 0
; VGPRBlocks: 0
; NumSGPRsForWavesPerEU: 4
; NumVGPRsForWavesPerEU: 1
; Occupancy: 10
; WaveLimiterHint : 0
; COMPUTE_PGM_RSRC2:SCRATCH_EN: 0
; COMPUTE_PGM_RSRC2:USER_SGPR: 6
; COMPUTE_PGM_RSRC2:TRAP_HANDLER: 0
; COMPUTE_PGM_RSRC2:TGID_X_EN: 1
; COMPUTE_PGM_RSRC2:TGID_Y_EN: 0
; COMPUTE_PGM_RSRC2:TGID_Z_EN: 0
; COMPUTE_PGM_RSRC2:TIDIG_COMP_CNT: 0
	.section	.text._ZN7rocprim17ROCPRIM_400000_NS6detail17trampoline_kernelINS0_13select_configILj256ELj13ELNS0_17block_load_methodE3ELS4_3ELS4_3ELNS0_20block_scan_algorithmE0ELj4294967295EEENS1_25partition_config_selectorILNS1_17partition_subalgoE3EjNS0_10empty_typeEbEEZZNS1_14partition_implILS8_3ELb0ES6_jNS0_17counting_iteratorIjlEEPS9_SE_NS0_5tupleIJPjSE_EEENSF_IJSE_SE_EEES9_SG_JZNS1_25segmented_radix_sort_implINS0_14default_configELb0EPKdPdPKlPlN2at6native12_GLOBAL__N_18offset_tEEE10hipError_tPvRmT1_PNSt15iterator_traitsISY_E10value_typeET2_T3_PNSZ_IS14_E10value_typeET4_jRbjT5_S1A_jjP12ihipStream_tbEUljE_EEESV_SW_SX_S14_S18_S1A_T6_T7_T9_mT8_S1C_bDpT10_ENKUlT_T0_E_clISt17integral_constantIbLb0EES1P_EEDaS1K_S1L_EUlS1K_E_NS1_11comp_targetILNS1_3genE8ELNS1_11target_archE1030ELNS1_3gpuE2ELNS1_3repE0EEENS1_30default_config_static_selectorELNS0_4arch9wavefront6targetE1EEEvSY_,"axG",@progbits,_ZN7rocprim17ROCPRIM_400000_NS6detail17trampoline_kernelINS0_13select_configILj256ELj13ELNS0_17block_load_methodE3ELS4_3ELS4_3ELNS0_20block_scan_algorithmE0ELj4294967295EEENS1_25partition_config_selectorILNS1_17partition_subalgoE3EjNS0_10empty_typeEbEEZZNS1_14partition_implILS8_3ELb0ES6_jNS0_17counting_iteratorIjlEEPS9_SE_NS0_5tupleIJPjSE_EEENSF_IJSE_SE_EEES9_SG_JZNS1_25segmented_radix_sort_implINS0_14default_configELb0EPKdPdPKlPlN2at6native12_GLOBAL__N_18offset_tEEE10hipError_tPvRmT1_PNSt15iterator_traitsISY_E10value_typeET2_T3_PNSZ_IS14_E10value_typeET4_jRbjT5_S1A_jjP12ihipStream_tbEUljE_EEESV_SW_SX_S14_S18_S1A_T6_T7_T9_mT8_S1C_bDpT10_ENKUlT_T0_E_clISt17integral_constantIbLb0EES1P_EEDaS1K_S1L_EUlS1K_E_NS1_11comp_targetILNS1_3genE8ELNS1_11target_archE1030ELNS1_3gpuE2ELNS1_3repE0EEENS1_30default_config_static_selectorELNS0_4arch9wavefront6targetE1EEEvSY_,comdat
	.globl	_ZN7rocprim17ROCPRIM_400000_NS6detail17trampoline_kernelINS0_13select_configILj256ELj13ELNS0_17block_load_methodE3ELS4_3ELS4_3ELNS0_20block_scan_algorithmE0ELj4294967295EEENS1_25partition_config_selectorILNS1_17partition_subalgoE3EjNS0_10empty_typeEbEEZZNS1_14partition_implILS8_3ELb0ES6_jNS0_17counting_iteratorIjlEEPS9_SE_NS0_5tupleIJPjSE_EEENSF_IJSE_SE_EEES9_SG_JZNS1_25segmented_radix_sort_implINS0_14default_configELb0EPKdPdPKlPlN2at6native12_GLOBAL__N_18offset_tEEE10hipError_tPvRmT1_PNSt15iterator_traitsISY_E10value_typeET2_T3_PNSZ_IS14_E10value_typeET4_jRbjT5_S1A_jjP12ihipStream_tbEUljE_EEESV_SW_SX_S14_S18_S1A_T6_T7_T9_mT8_S1C_bDpT10_ENKUlT_T0_E_clISt17integral_constantIbLb0EES1P_EEDaS1K_S1L_EUlS1K_E_NS1_11comp_targetILNS1_3genE8ELNS1_11target_archE1030ELNS1_3gpuE2ELNS1_3repE0EEENS1_30default_config_static_selectorELNS0_4arch9wavefront6targetE1EEEvSY_ ; -- Begin function _ZN7rocprim17ROCPRIM_400000_NS6detail17trampoline_kernelINS0_13select_configILj256ELj13ELNS0_17block_load_methodE3ELS4_3ELS4_3ELNS0_20block_scan_algorithmE0ELj4294967295EEENS1_25partition_config_selectorILNS1_17partition_subalgoE3EjNS0_10empty_typeEbEEZZNS1_14partition_implILS8_3ELb0ES6_jNS0_17counting_iteratorIjlEEPS9_SE_NS0_5tupleIJPjSE_EEENSF_IJSE_SE_EEES9_SG_JZNS1_25segmented_radix_sort_implINS0_14default_configELb0EPKdPdPKlPlN2at6native12_GLOBAL__N_18offset_tEEE10hipError_tPvRmT1_PNSt15iterator_traitsISY_E10value_typeET2_T3_PNSZ_IS14_E10value_typeET4_jRbjT5_S1A_jjP12ihipStream_tbEUljE_EEESV_SW_SX_S14_S18_S1A_T6_T7_T9_mT8_S1C_bDpT10_ENKUlT_T0_E_clISt17integral_constantIbLb0EES1P_EEDaS1K_S1L_EUlS1K_E_NS1_11comp_targetILNS1_3genE8ELNS1_11target_archE1030ELNS1_3gpuE2ELNS1_3repE0EEENS1_30default_config_static_selectorELNS0_4arch9wavefront6targetE1EEEvSY_
	.p2align	8
	.type	_ZN7rocprim17ROCPRIM_400000_NS6detail17trampoline_kernelINS0_13select_configILj256ELj13ELNS0_17block_load_methodE3ELS4_3ELS4_3ELNS0_20block_scan_algorithmE0ELj4294967295EEENS1_25partition_config_selectorILNS1_17partition_subalgoE3EjNS0_10empty_typeEbEEZZNS1_14partition_implILS8_3ELb0ES6_jNS0_17counting_iteratorIjlEEPS9_SE_NS0_5tupleIJPjSE_EEENSF_IJSE_SE_EEES9_SG_JZNS1_25segmented_radix_sort_implINS0_14default_configELb0EPKdPdPKlPlN2at6native12_GLOBAL__N_18offset_tEEE10hipError_tPvRmT1_PNSt15iterator_traitsISY_E10value_typeET2_T3_PNSZ_IS14_E10value_typeET4_jRbjT5_S1A_jjP12ihipStream_tbEUljE_EEESV_SW_SX_S14_S18_S1A_T6_T7_T9_mT8_S1C_bDpT10_ENKUlT_T0_E_clISt17integral_constantIbLb0EES1P_EEDaS1K_S1L_EUlS1K_E_NS1_11comp_targetILNS1_3genE8ELNS1_11target_archE1030ELNS1_3gpuE2ELNS1_3repE0EEENS1_30default_config_static_selectorELNS0_4arch9wavefront6targetE1EEEvSY_,@function
_ZN7rocprim17ROCPRIM_400000_NS6detail17trampoline_kernelINS0_13select_configILj256ELj13ELNS0_17block_load_methodE3ELS4_3ELS4_3ELNS0_20block_scan_algorithmE0ELj4294967295EEENS1_25partition_config_selectorILNS1_17partition_subalgoE3EjNS0_10empty_typeEbEEZZNS1_14partition_implILS8_3ELb0ES6_jNS0_17counting_iteratorIjlEEPS9_SE_NS0_5tupleIJPjSE_EEENSF_IJSE_SE_EEES9_SG_JZNS1_25segmented_radix_sort_implINS0_14default_configELb0EPKdPdPKlPlN2at6native12_GLOBAL__N_18offset_tEEE10hipError_tPvRmT1_PNSt15iterator_traitsISY_E10value_typeET2_T3_PNSZ_IS14_E10value_typeET4_jRbjT5_S1A_jjP12ihipStream_tbEUljE_EEESV_SW_SX_S14_S18_S1A_T6_T7_T9_mT8_S1C_bDpT10_ENKUlT_T0_E_clISt17integral_constantIbLb0EES1P_EEDaS1K_S1L_EUlS1K_E_NS1_11comp_targetILNS1_3genE8ELNS1_11target_archE1030ELNS1_3gpuE2ELNS1_3repE0EEENS1_30default_config_static_selectorELNS0_4arch9wavefront6targetE1EEEvSY_: ; @_ZN7rocprim17ROCPRIM_400000_NS6detail17trampoline_kernelINS0_13select_configILj256ELj13ELNS0_17block_load_methodE3ELS4_3ELS4_3ELNS0_20block_scan_algorithmE0ELj4294967295EEENS1_25partition_config_selectorILNS1_17partition_subalgoE3EjNS0_10empty_typeEbEEZZNS1_14partition_implILS8_3ELb0ES6_jNS0_17counting_iteratorIjlEEPS9_SE_NS0_5tupleIJPjSE_EEENSF_IJSE_SE_EEES9_SG_JZNS1_25segmented_radix_sort_implINS0_14default_configELb0EPKdPdPKlPlN2at6native12_GLOBAL__N_18offset_tEEE10hipError_tPvRmT1_PNSt15iterator_traitsISY_E10value_typeET2_T3_PNSZ_IS14_E10value_typeET4_jRbjT5_S1A_jjP12ihipStream_tbEUljE_EEESV_SW_SX_S14_S18_S1A_T6_T7_T9_mT8_S1C_bDpT10_ENKUlT_T0_E_clISt17integral_constantIbLb0EES1P_EEDaS1K_S1L_EUlS1K_E_NS1_11comp_targetILNS1_3genE8ELNS1_11target_archE1030ELNS1_3gpuE2ELNS1_3repE0EEENS1_30default_config_static_selectorELNS0_4arch9wavefront6targetE1EEEvSY_
; %bb.0:
	.section	.rodata,"a",@progbits
	.p2align	6, 0x0
	.amdhsa_kernel _ZN7rocprim17ROCPRIM_400000_NS6detail17trampoline_kernelINS0_13select_configILj256ELj13ELNS0_17block_load_methodE3ELS4_3ELS4_3ELNS0_20block_scan_algorithmE0ELj4294967295EEENS1_25partition_config_selectorILNS1_17partition_subalgoE3EjNS0_10empty_typeEbEEZZNS1_14partition_implILS8_3ELb0ES6_jNS0_17counting_iteratorIjlEEPS9_SE_NS0_5tupleIJPjSE_EEENSF_IJSE_SE_EEES9_SG_JZNS1_25segmented_radix_sort_implINS0_14default_configELb0EPKdPdPKlPlN2at6native12_GLOBAL__N_18offset_tEEE10hipError_tPvRmT1_PNSt15iterator_traitsISY_E10value_typeET2_T3_PNSZ_IS14_E10value_typeET4_jRbjT5_S1A_jjP12ihipStream_tbEUljE_EEESV_SW_SX_S14_S18_S1A_T6_T7_T9_mT8_S1C_bDpT10_ENKUlT_T0_E_clISt17integral_constantIbLb0EES1P_EEDaS1K_S1L_EUlS1K_E_NS1_11comp_targetILNS1_3genE8ELNS1_11target_archE1030ELNS1_3gpuE2ELNS1_3repE0EEENS1_30default_config_static_selectorELNS0_4arch9wavefront6targetE1EEEvSY_
		.amdhsa_group_segment_fixed_size 0
		.amdhsa_private_segment_fixed_size 0
		.amdhsa_kernarg_size 144
		.amdhsa_user_sgpr_count 6
		.amdhsa_user_sgpr_private_segment_buffer 1
		.amdhsa_user_sgpr_dispatch_ptr 0
		.amdhsa_user_sgpr_queue_ptr 0
		.amdhsa_user_sgpr_kernarg_segment_ptr 1
		.amdhsa_user_sgpr_dispatch_id 0
		.amdhsa_user_sgpr_flat_scratch_init 0
		.amdhsa_user_sgpr_private_segment_size 0
		.amdhsa_uses_dynamic_stack 0
		.amdhsa_system_sgpr_private_segment_wavefront_offset 0
		.amdhsa_system_sgpr_workgroup_id_x 1
		.amdhsa_system_sgpr_workgroup_id_y 0
		.amdhsa_system_sgpr_workgroup_id_z 0
		.amdhsa_system_sgpr_workgroup_info 0
		.amdhsa_system_vgpr_workitem_id 0
		.amdhsa_next_free_vgpr 1
		.amdhsa_next_free_sgpr 0
		.amdhsa_reserve_vcc 0
		.amdhsa_reserve_flat_scratch 0
		.amdhsa_float_round_mode_32 0
		.amdhsa_float_round_mode_16_64 0
		.amdhsa_float_denorm_mode_32 3
		.amdhsa_float_denorm_mode_16_64 3
		.amdhsa_dx10_clamp 1
		.amdhsa_ieee_mode 1
		.amdhsa_fp16_overflow 0
		.amdhsa_exception_fp_ieee_invalid_op 0
		.amdhsa_exception_fp_denorm_src 0
		.amdhsa_exception_fp_ieee_div_zero 0
		.amdhsa_exception_fp_ieee_overflow 0
		.amdhsa_exception_fp_ieee_underflow 0
		.amdhsa_exception_fp_ieee_inexact 0
		.amdhsa_exception_int_div_zero 0
	.end_amdhsa_kernel
	.section	.text._ZN7rocprim17ROCPRIM_400000_NS6detail17trampoline_kernelINS0_13select_configILj256ELj13ELNS0_17block_load_methodE3ELS4_3ELS4_3ELNS0_20block_scan_algorithmE0ELj4294967295EEENS1_25partition_config_selectorILNS1_17partition_subalgoE3EjNS0_10empty_typeEbEEZZNS1_14partition_implILS8_3ELb0ES6_jNS0_17counting_iteratorIjlEEPS9_SE_NS0_5tupleIJPjSE_EEENSF_IJSE_SE_EEES9_SG_JZNS1_25segmented_radix_sort_implINS0_14default_configELb0EPKdPdPKlPlN2at6native12_GLOBAL__N_18offset_tEEE10hipError_tPvRmT1_PNSt15iterator_traitsISY_E10value_typeET2_T3_PNSZ_IS14_E10value_typeET4_jRbjT5_S1A_jjP12ihipStream_tbEUljE_EEESV_SW_SX_S14_S18_S1A_T6_T7_T9_mT8_S1C_bDpT10_ENKUlT_T0_E_clISt17integral_constantIbLb0EES1P_EEDaS1K_S1L_EUlS1K_E_NS1_11comp_targetILNS1_3genE8ELNS1_11target_archE1030ELNS1_3gpuE2ELNS1_3repE0EEENS1_30default_config_static_selectorELNS0_4arch9wavefront6targetE1EEEvSY_,"axG",@progbits,_ZN7rocprim17ROCPRIM_400000_NS6detail17trampoline_kernelINS0_13select_configILj256ELj13ELNS0_17block_load_methodE3ELS4_3ELS4_3ELNS0_20block_scan_algorithmE0ELj4294967295EEENS1_25partition_config_selectorILNS1_17partition_subalgoE3EjNS0_10empty_typeEbEEZZNS1_14partition_implILS8_3ELb0ES6_jNS0_17counting_iteratorIjlEEPS9_SE_NS0_5tupleIJPjSE_EEENSF_IJSE_SE_EEES9_SG_JZNS1_25segmented_radix_sort_implINS0_14default_configELb0EPKdPdPKlPlN2at6native12_GLOBAL__N_18offset_tEEE10hipError_tPvRmT1_PNSt15iterator_traitsISY_E10value_typeET2_T3_PNSZ_IS14_E10value_typeET4_jRbjT5_S1A_jjP12ihipStream_tbEUljE_EEESV_SW_SX_S14_S18_S1A_T6_T7_T9_mT8_S1C_bDpT10_ENKUlT_T0_E_clISt17integral_constantIbLb0EES1P_EEDaS1K_S1L_EUlS1K_E_NS1_11comp_targetILNS1_3genE8ELNS1_11target_archE1030ELNS1_3gpuE2ELNS1_3repE0EEENS1_30default_config_static_selectorELNS0_4arch9wavefront6targetE1EEEvSY_,comdat
.Lfunc_end1196:
	.size	_ZN7rocprim17ROCPRIM_400000_NS6detail17trampoline_kernelINS0_13select_configILj256ELj13ELNS0_17block_load_methodE3ELS4_3ELS4_3ELNS0_20block_scan_algorithmE0ELj4294967295EEENS1_25partition_config_selectorILNS1_17partition_subalgoE3EjNS0_10empty_typeEbEEZZNS1_14partition_implILS8_3ELb0ES6_jNS0_17counting_iteratorIjlEEPS9_SE_NS0_5tupleIJPjSE_EEENSF_IJSE_SE_EEES9_SG_JZNS1_25segmented_radix_sort_implINS0_14default_configELb0EPKdPdPKlPlN2at6native12_GLOBAL__N_18offset_tEEE10hipError_tPvRmT1_PNSt15iterator_traitsISY_E10value_typeET2_T3_PNSZ_IS14_E10value_typeET4_jRbjT5_S1A_jjP12ihipStream_tbEUljE_EEESV_SW_SX_S14_S18_S1A_T6_T7_T9_mT8_S1C_bDpT10_ENKUlT_T0_E_clISt17integral_constantIbLb0EES1P_EEDaS1K_S1L_EUlS1K_E_NS1_11comp_targetILNS1_3genE8ELNS1_11target_archE1030ELNS1_3gpuE2ELNS1_3repE0EEENS1_30default_config_static_selectorELNS0_4arch9wavefront6targetE1EEEvSY_, .Lfunc_end1196-_ZN7rocprim17ROCPRIM_400000_NS6detail17trampoline_kernelINS0_13select_configILj256ELj13ELNS0_17block_load_methodE3ELS4_3ELS4_3ELNS0_20block_scan_algorithmE0ELj4294967295EEENS1_25partition_config_selectorILNS1_17partition_subalgoE3EjNS0_10empty_typeEbEEZZNS1_14partition_implILS8_3ELb0ES6_jNS0_17counting_iteratorIjlEEPS9_SE_NS0_5tupleIJPjSE_EEENSF_IJSE_SE_EEES9_SG_JZNS1_25segmented_radix_sort_implINS0_14default_configELb0EPKdPdPKlPlN2at6native12_GLOBAL__N_18offset_tEEE10hipError_tPvRmT1_PNSt15iterator_traitsISY_E10value_typeET2_T3_PNSZ_IS14_E10value_typeET4_jRbjT5_S1A_jjP12ihipStream_tbEUljE_EEESV_SW_SX_S14_S18_S1A_T6_T7_T9_mT8_S1C_bDpT10_ENKUlT_T0_E_clISt17integral_constantIbLb0EES1P_EEDaS1K_S1L_EUlS1K_E_NS1_11comp_targetILNS1_3genE8ELNS1_11target_archE1030ELNS1_3gpuE2ELNS1_3repE0EEENS1_30default_config_static_selectorELNS0_4arch9wavefront6targetE1EEEvSY_
                                        ; -- End function
	.set _ZN7rocprim17ROCPRIM_400000_NS6detail17trampoline_kernelINS0_13select_configILj256ELj13ELNS0_17block_load_methodE3ELS4_3ELS4_3ELNS0_20block_scan_algorithmE0ELj4294967295EEENS1_25partition_config_selectorILNS1_17partition_subalgoE3EjNS0_10empty_typeEbEEZZNS1_14partition_implILS8_3ELb0ES6_jNS0_17counting_iteratorIjlEEPS9_SE_NS0_5tupleIJPjSE_EEENSF_IJSE_SE_EEES9_SG_JZNS1_25segmented_radix_sort_implINS0_14default_configELb0EPKdPdPKlPlN2at6native12_GLOBAL__N_18offset_tEEE10hipError_tPvRmT1_PNSt15iterator_traitsISY_E10value_typeET2_T3_PNSZ_IS14_E10value_typeET4_jRbjT5_S1A_jjP12ihipStream_tbEUljE_EEESV_SW_SX_S14_S18_S1A_T6_T7_T9_mT8_S1C_bDpT10_ENKUlT_T0_E_clISt17integral_constantIbLb0EES1P_EEDaS1K_S1L_EUlS1K_E_NS1_11comp_targetILNS1_3genE8ELNS1_11target_archE1030ELNS1_3gpuE2ELNS1_3repE0EEENS1_30default_config_static_selectorELNS0_4arch9wavefront6targetE1EEEvSY_.num_vgpr, 0
	.set _ZN7rocprim17ROCPRIM_400000_NS6detail17trampoline_kernelINS0_13select_configILj256ELj13ELNS0_17block_load_methodE3ELS4_3ELS4_3ELNS0_20block_scan_algorithmE0ELj4294967295EEENS1_25partition_config_selectorILNS1_17partition_subalgoE3EjNS0_10empty_typeEbEEZZNS1_14partition_implILS8_3ELb0ES6_jNS0_17counting_iteratorIjlEEPS9_SE_NS0_5tupleIJPjSE_EEENSF_IJSE_SE_EEES9_SG_JZNS1_25segmented_radix_sort_implINS0_14default_configELb0EPKdPdPKlPlN2at6native12_GLOBAL__N_18offset_tEEE10hipError_tPvRmT1_PNSt15iterator_traitsISY_E10value_typeET2_T3_PNSZ_IS14_E10value_typeET4_jRbjT5_S1A_jjP12ihipStream_tbEUljE_EEESV_SW_SX_S14_S18_S1A_T6_T7_T9_mT8_S1C_bDpT10_ENKUlT_T0_E_clISt17integral_constantIbLb0EES1P_EEDaS1K_S1L_EUlS1K_E_NS1_11comp_targetILNS1_3genE8ELNS1_11target_archE1030ELNS1_3gpuE2ELNS1_3repE0EEENS1_30default_config_static_selectorELNS0_4arch9wavefront6targetE1EEEvSY_.num_agpr, 0
	.set _ZN7rocprim17ROCPRIM_400000_NS6detail17trampoline_kernelINS0_13select_configILj256ELj13ELNS0_17block_load_methodE3ELS4_3ELS4_3ELNS0_20block_scan_algorithmE0ELj4294967295EEENS1_25partition_config_selectorILNS1_17partition_subalgoE3EjNS0_10empty_typeEbEEZZNS1_14partition_implILS8_3ELb0ES6_jNS0_17counting_iteratorIjlEEPS9_SE_NS0_5tupleIJPjSE_EEENSF_IJSE_SE_EEES9_SG_JZNS1_25segmented_radix_sort_implINS0_14default_configELb0EPKdPdPKlPlN2at6native12_GLOBAL__N_18offset_tEEE10hipError_tPvRmT1_PNSt15iterator_traitsISY_E10value_typeET2_T3_PNSZ_IS14_E10value_typeET4_jRbjT5_S1A_jjP12ihipStream_tbEUljE_EEESV_SW_SX_S14_S18_S1A_T6_T7_T9_mT8_S1C_bDpT10_ENKUlT_T0_E_clISt17integral_constantIbLb0EES1P_EEDaS1K_S1L_EUlS1K_E_NS1_11comp_targetILNS1_3genE8ELNS1_11target_archE1030ELNS1_3gpuE2ELNS1_3repE0EEENS1_30default_config_static_selectorELNS0_4arch9wavefront6targetE1EEEvSY_.numbered_sgpr, 0
	.set _ZN7rocprim17ROCPRIM_400000_NS6detail17trampoline_kernelINS0_13select_configILj256ELj13ELNS0_17block_load_methodE3ELS4_3ELS4_3ELNS0_20block_scan_algorithmE0ELj4294967295EEENS1_25partition_config_selectorILNS1_17partition_subalgoE3EjNS0_10empty_typeEbEEZZNS1_14partition_implILS8_3ELb0ES6_jNS0_17counting_iteratorIjlEEPS9_SE_NS0_5tupleIJPjSE_EEENSF_IJSE_SE_EEES9_SG_JZNS1_25segmented_radix_sort_implINS0_14default_configELb0EPKdPdPKlPlN2at6native12_GLOBAL__N_18offset_tEEE10hipError_tPvRmT1_PNSt15iterator_traitsISY_E10value_typeET2_T3_PNSZ_IS14_E10value_typeET4_jRbjT5_S1A_jjP12ihipStream_tbEUljE_EEESV_SW_SX_S14_S18_S1A_T6_T7_T9_mT8_S1C_bDpT10_ENKUlT_T0_E_clISt17integral_constantIbLb0EES1P_EEDaS1K_S1L_EUlS1K_E_NS1_11comp_targetILNS1_3genE8ELNS1_11target_archE1030ELNS1_3gpuE2ELNS1_3repE0EEENS1_30default_config_static_selectorELNS0_4arch9wavefront6targetE1EEEvSY_.num_named_barrier, 0
	.set _ZN7rocprim17ROCPRIM_400000_NS6detail17trampoline_kernelINS0_13select_configILj256ELj13ELNS0_17block_load_methodE3ELS4_3ELS4_3ELNS0_20block_scan_algorithmE0ELj4294967295EEENS1_25partition_config_selectorILNS1_17partition_subalgoE3EjNS0_10empty_typeEbEEZZNS1_14partition_implILS8_3ELb0ES6_jNS0_17counting_iteratorIjlEEPS9_SE_NS0_5tupleIJPjSE_EEENSF_IJSE_SE_EEES9_SG_JZNS1_25segmented_radix_sort_implINS0_14default_configELb0EPKdPdPKlPlN2at6native12_GLOBAL__N_18offset_tEEE10hipError_tPvRmT1_PNSt15iterator_traitsISY_E10value_typeET2_T3_PNSZ_IS14_E10value_typeET4_jRbjT5_S1A_jjP12ihipStream_tbEUljE_EEESV_SW_SX_S14_S18_S1A_T6_T7_T9_mT8_S1C_bDpT10_ENKUlT_T0_E_clISt17integral_constantIbLb0EES1P_EEDaS1K_S1L_EUlS1K_E_NS1_11comp_targetILNS1_3genE8ELNS1_11target_archE1030ELNS1_3gpuE2ELNS1_3repE0EEENS1_30default_config_static_selectorELNS0_4arch9wavefront6targetE1EEEvSY_.private_seg_size, 0
	.set _ZN7rocprim17ROCPRIM_400000_NS6detail17trampoline_kernelINS0_13select_configILj256ELj13ELNS0_17block_load_methodE3ELS4_3ELS4_3ELNS0_20block_scan_algorithmE0ELj4294967295EEENS1_25partition_config_selectorILNS1_17partition_subalgoE3EjNS0_10empty_typeEbEEZZNS1_14partition_implILS8_3ELb0ES6_jNS0_17counting_iteratorIjlEEPS9_SE_NS0_5tupleIJPjSE_EEENSF_IJSE_SE_EEES9_SG_JZNS1_25segmented_radix_sort_implINS0_14default_configELb0EPKdPdPKlPlN2at6native12_GLOBAL__N_18offset_tEEE10hipError_tPvRmT1_PNSt15iterator_traitsISY_E10value_typeET2_T3_PNSZ_IS14_E10value_typeET4_jRbjT5_S1A_jjP12ihipStream_tbEUljE_EEESV_SW_SX_S14_S18_S1A_T6_T7_T9_mT8_S1C_bDpT10_ENKUlT_T0_E_clISt17integral_constantIbLb0EES1P_EEDaS1K_S1L_EUlS1K_E_NS1_11comp_targetILNS1_3genE8ELNS1_11target_archE1030ELNS1_3gpuE2ELNS1_3repE0EEENS1_30default_config_static_selectorELNS0_4arch9wavefront6targetE1EEEvSY_.uses_vcc, 0
	.set _ZN7rocprim17ROCPRIM_400000_NS6detail17trampoline_kernelINS0_13select_configILj256ELj13ELNS0_17block_load_methodE3ELS4_3ELS4_3ELNS0_20block_scan_algorithmE0ELj4294967295EEENS1_25partition_config_selectorILNS1_17partition_subalgoE3EjNS0_10empty_typeEbEEZZNS1_14partition_implILS8_3ELb0ES6_jNS0_17counting_iteratorIjlEEPS9_SE_NS0_5tupleIJPjSE_EEENSF_IJSE_SE_EEES9_SG_JZNS1_25segmented_radix_sort_implINS0_14default_configELb0EPKdPdPKlPlN2at6native12_GLOBAL__N_18offset_tEEE10hipError_tPvRmT1_PNSt15iterator_traitsISY_E10value_typeET2_T3_PNSZ_IS14_E10value_typeET4_jRbjT5_S1A_jjP12ihipStream_tbEUljE_EEESV_SW_SX_S14_S18_S1A_T6_T7_T9_mT8_S1C_bDpT10_ENKUlT_T0_E_clISt17integral_constantIbLb0EES1P_EEDaS1K_S1L_EUlS1K_E_NS1_11comp_targetILNS1_3genE8ELNS1_11target_archE1030ELNS1_3gpuE2ELNS1_3repE0EEENS1_30default_config_static_selectorELNS0_4arch9wavefront6targetE1EEEvSY_.uses_flat_scratch, 0
	.set _ZN7rocprim17ROCPRIM_400000_NS6detail17trampoline_kernelINS0_13select_configILj256ELj13ELNS0_17block_load_methodE3ELS4_3ELS4_3ELNS0_20block_scan_algorithmE0ELj4294967295EEENS1_25partition_config_selectorILNS1_17partition_subalgoE3EjNS0_10empty_typeEbEEZZNS1_14partition_implILS8_3ELb0ES6_jNS0_17counting_iteratorIjlEEPS9_SE_NS0_5tupleIJPjSE_EEENSF_IJSE_SE_EEES9_SG_JZNS1_25segmented_radix_sort_implINS0_14default_configELb0EPKdPdPKlPlN2at6native12_GLOBAL__N_18offset_tEEE10hipError_tPvRmT1_PNSt15iterator_traitsISY_E10value_typeET2_T3_PNSZ_IS14_E10value_typeET4_jRbjT5_S1A_jjP12ihipStream_tbEUljE_EEESV_SW_SX_S14_S18_S1A_T6_T7_T9_mT8_S1C_bDpT10_ENKUlT_T0_E_clISt17integral_constantIbLb0EES1P_EEDaS1K_S1L_EUlS1K_E_NS1_11comp_targetILNS1_3genE8ELNS1_11target_archE1030ELNS1_3gpuE2ELNS1_3repE0EEENS1_30default_config_static_selectorELNS0_4arch9wavefront6targetE1EEEvSY_.has_dyn_sized_stack, 0
	.set _ZN7rocprim17ROCPRIM_400000_NS6detail17trampoline_kernelINS0_13select_configILj256ELj13ELNS0_17block_load_methodE3ELS4_3ELS4_3ELNS0_20block_scan_algorithmE0ELj4294967295EEENS1_25partition_config_selectorILNS1_17partition_subalgoE3EjNS0_10empty_typeEbEEZZNS1_14partition_implILS8_3ELb0ES6_jNS0_17counting_iteratorIjlEEPS9_SE_NS0_5tupleIJPjSE_EEENSF_IJSE_SE_EEES9_SG_JZNS1_25segmented_radix_sort_implINS0_14default_configELb0EPKdPdPKlPlN2at6native12_GLOBAL__N_18offset_tEEE10hipError_tPvRmT1_PNSt15iterator_traitsISY_E10value_typeET2_T3_PNSZ_IS14_E10value_typeET4_jRbjT5_S1A_jjP12ihipStream_tbEUljE_EEESV_SW_SX_S14_S18_S1A_T6_T7_T9_mT8_S1C_bDpT10_ENKUlT_T0_E_clISt17integral_constantIbLb0EES1P_EEDaS1K_S1L_EUlS1K_E_NS1_11comp_targetILNS1_3genE8ELNS1_11target_archE1030ELNS1_3gpuE2ELNS1_3repE0EEENS1_30default_config_static_selectorELNS0_4arch9wavefront6targetE1EEEvSY_.has_recursion, 0
	.set _ZN7rocprim17ROCPRIM_400000_NS6detail17trampoline_kernelINS0_13select_configILj256ELj13ELNS0_17block_load_methodE3ELS4_3ELS4_3ELNS0_20block_scan_algorithmE0ELj4294967295EEENS1_25partition_config_selectorILNS1_17partition_subalgoE3EjNS0_10empty_typeEbEEZZNS1_14partition_implILS8_3ELb0ES6_jNS0_17counting_iteratorIjlEEPS9_SE_NS0_5tupleIJPjSE_EEENSF_IJSE_SE_EEES9_SG_JZNS1_25segmented_radix_sort_implINS0_14default_configELb0EPKdPdPKlPlN2at6native12_GLOBAL__N_18offset_tEEE10hipError_tPvRmT1_PNSt15iterator_traitsISY_E10value_typeET2_T3_PNSZ_IS14_E10value_typeET4_jRbjT5_S1A_jjP12ihipStream_tbEUljE_EEESV_SW_SX_S14_S18_S1A_T6_T7_T9_mT8_S1C_bDpT10_ENKUlT_T0_E_clISt17integral_constantIbLb0EES1P_EEDaS1K_S1L_EUlS1K_E_NS1_11comp_targetILNS1_3genE8ELNS1_11target_archE1030ELNS1_3gpuE2ELNS1_3repE0EEENS1_30default_config_static_selectorELNS0_4arch9wavefront6targetE1EEEvSY_.has_indirect_call, 0
	.section	.AMDGPU.csdata,"",@progbits
; Kernel info:
; codeLenInByte = 0
; TotalNumSgprs: 4
; NumVgprs: 0
; ScratchSize: 0
; MemoryBound: 0
; FloatMode: 240
; IeeeMode: 1
; LDSByteSize: 0 bytes/workgroup (compile time only)
; SGPRBlocks: 0
; VGPRBlocks: 0
; NumSGPRsForWavesPerEU: 4
; NumVGPRsForWavesPerEU: 1
; Occupancy: 10
; WaveLimiterHint : 0
; COMPUTE_PGM_RSRC2:SCRATCH_EN: 0
; COMPUTE_PGM_RSRC2:USER_SGPR: 6
; COMPUTE_PGM_RSRC2:TRAP_HANDLER: 0
; COMPUTE_PGM_RSRC2:TGID_X_EN: 1
; COMPUTE_PGM_RSRC2:TGID_Y_EN: 0
; COMPUTE_PGM_RSRC2:TGID_Z_EN: 0
; COMPUTE_PGM_RSRC2:TIDIG_COMP_CNT: 0
	.section	.text._ZN7rocprim17ROCPRIM_400000_NS6detail17trampoline_kernelINS0_13select_configILj256ELj13ELNS0_17block_load_methodE3ELS4_3ELS4_3ELNS0_20block_scan_algorithmE0ELj4294967295EEENS1_25partition_config_selectorILNS1_17partition_subalgoE3EjNS0_10empty_typeEbEEZZNS1_14partition_implILS8_3ELb0ES6_jNS0_17counting_iteratorIjlEEPS9_SE_NS0_5tupleIJPjSE_EEENSF_IJSE_SE_EEES9_SG_JZNS1_25segmented_radix_sort_implINS0_14default_configELb0EPKdPdPKlPlN2at6native12_GLOBAL__N_18offset_tEEE10hipError_tPvRmT1_PNSt15iterator_traitsISY_E10value_typeET2_T3_PNSZ_IS14_E10value_typeET4_jRbjT5_S1A_jjP12ihipStream_tbEUljE_EEESV_SW_SX_S14_S18_S1A_T6_T7_T9_mT8_S1C_bDpT10_ENKUlT_T0_E_clISt17integral_constantIbLb1EES1P_EEDaS1K_S1L_EUlS1K_E_NS1_11comp_targetILNS1_3genE0ELNS1_11target_archE4294967295ELNS1_3gpuE0ELNS1_3repE0EEENS1_30default_config_static_selectorELNS0_4arch9wavefront6targetE1EEEvSY_,"axG",@progbits,_ZN7rocprim17ROCPRIM_400000_NS6detail17trampoline_kernelINS0_13select_configILj256ELj13ELNS0_17block_load_methodE3ELS4_3ELS4_3ELNS0_20block_scan_algorithmE0ELj4294967295EEENS1_25partition_config_selectorILNS1_17partition_subalgoE3EjNS0_10empty_typeEbEEZZNS1_14partition_implILS8_3ELb0ES6_jNS0_17counting_iteratorIjlEEPS9_SE_NS0_5tupleIJPjSE_EEENSF_IJSE_SE_EEES9_SG_JZNS1_25segmented_radix_sort_implINS0_14default_configELb0EPKdPdPKlPlN2at6native12_GLOBAL__N_18offset_tEEE10hipError_tPvRmT1_PNSt15iterator_traitsISY_E10value_typeET2_T3_PNSZ_IS14_E10value_typeET4_jRbjT5_S1A_jjP12ihipStream_tbEUljE_EEESV_SW_SX_S14_S18_S1A_T6_T7_T9_mT8_S1C_bDpT10_ENKUlT_T0_E_clISt17integral_constantIbLb1EES1P_EEDaS1K_S1L_EUlS1K_E_NS1_11comp_targetILNS1_3genE0ELNS1_11target_archE4294967295ELNS1_3gpuE0ELNS1_3repE0EEENS1_30default_config_static_selectorELNS0_4arch9wavefront6targetE1EEEvSY_,comdat
	.globl	_ZN7rocprim17ROCPRIM_400000_NS6detail17trampoline_kernelINS0_13select_configILj256ELj13ELNS0_17block_load_methodE3ELS4_3ELS4_3ELNS0_20block_scan_algorithmE0ELj4294967295EEENS1_25partition_config_selectorILNS1_17partition_subalgoE3EjNS0_10empty_typeEbEEZZNS1_14partition_implILS8_3ELb0ES6_jNS0_17counting_iteratorIjlEEPS9_SE_NS0_5tupleIJPjSE_EEENSF_IJSE_SE_EEES9_SG_JZNS1_25segmented_radix_sort_implINS0_14default_configELb0EPKdPdPKlPlN2at6native12_GLOBAL__N_18offset_tEEE10hipError_tPvRmT1_PNSt15iterator_traitsISY_E10value_typeET2_T3_PNSZ_IS14_E10value_typeET4_jRbjT5_S1A_jjP12ihipStream_tbEUljE_EEESV_SW_SX_S14_S18_S1A_T6_T7_T9_mT8_S1C_bDpT10_ENKUlT_T0_E_clISt17integral_constantIbLb1EES1P_EEDaS1K_S1L_EUlS1K_E_NS1_11comp_targetILNS1_3genE0ELNS1_11target_archE4294967295ELNS1_3gpuE0ELNS1_3repE0EEENS1_30default_config_static_selectorELNS0_4arch9wavefront6targetE1EEEvSY_ ; -- Begin function _ZN7rocprim17ROCPRIM_400000_NS6detail17trampoline_kernelINS0_13select_configILj256ELj13ELNS0_17block_load_methodE3ELS4_3ELS4_3ELNS0_20block_scan_algorithmE0ELj4294967295EEENS1_25partition_config_selectorILNS1_17partition_subalgoE3EjNS0_10empty_typeEbEEZZNS1_14partition_implILS8_3ELb0ES6_jNS0_17counting_iteratorIjlEEPS9_SE_NS0_5tupleIJPjSE_EEENSF_IJSE_SE_EEES9_SG_JZNS1_25segmented_radix_sort_implINS0_14default_configELb0EPKdPdPKlPlN2at6native12_GLOBAL__N_18offset_tEEE10hipError_tPvRmT1_PNSt15iterator_traitsISY_E10value_typeET2_T3_PNSZ_IS14_E10value_typeET4_jRbjT5_S1A_jjP12ihipStream_tbEUljE_EEESV_SW_SX_S14_S18_S1A_T6_T7_T9_mT8_S1C_bDpT10_ENKUlT_T0_E_clISt17integral_constantIbLb1EES1P_EEDaS1K_S1L_EUlS1K_E_NS1_11comp_targetILNS1_3genE0ELNS1_11target_archE4294967295ELNS1_3gpuE0ELNS1_3repE0EEENS1_30default_config_static_selectorELNS0_4arch9wavefront6targetE1EEEvSY_
	.p2align	8
	.type	_ZN7rocprim17ROCPRIM_400000_NS6detail17trampoline_kernelINS0_13select_configILj256ELj13ELNS0_17block_load_methodE3ELS4_3ELS4_3ELNS0_20block_scan_algorithmE0ELj4294967295EEENS1_25partition_config_selectorILNS1_17partition_subalgoE3EjNS0_10empty_typeEbEEZZNS1_14partition_implILS8_3ELb0ES6_jNS0_17counting_iteratorIjlEEPS9_SE_NS0_5tupleIJPjSE_EEENSF_IJSE_SE_EEES9_SG_JZNS1_25segmented_radix_sort_implINS0_14default_configELb0EPKdPdPKlPlN2at6native12_GLOBAL__N_18offset_tEEE10hipError_tPvRmT1_PNSt15iterator_traitsISY_E10value_typeET2_T3_PNSZ_IS14_E10value_typeET4_jRbjT5_S1A_jjP12ihipStream_tbEUljE_EEESV_SW_SX_S14_S18_S1A_T6_T7_T9_mT8_S1C_bDpT10_ENKUlT_T0_E_clISt17integral_constantIbLb1EES1P_EEDaS1K_S1L_EUlS1K_E_NS1_11comp_targetILNS1_3genE0ELNS1_11target_archE4294967295ELNS1_3gpuE0ELNS1_3repE0EEENS1_30default_config_static_selectorELNS0_4arch9wavefront6targetE1EEEvSY_,@function
_ZN7rocprim17ROCPRIM_400000_NS6detail17trampoline_kernelINS0_13select_configILj256ELj13ELNS0_17block_load_methodE3ELS4_3ELS4_3ELNS0_20block_scan_algorithmE0ELj4294967295EEENS1_25partition_config_selectorILNS1_17partition_subalgoE3EjNS0_10empty_typeEbEEZZNS1_14partition_implILS8_3ELb0ES6_jNS0_17counting_iteratorIjlEEPS9_SE_NS0_5tupleIJPjSE_EEENSF_IJSE_SE_EEES9_SG_JZNS1_25segmented_radix_sort_implINS0_14default_configELb0EPKdPdPKlPlN2at6native12_GLOBAL__N_18offset_tEEE10hipError_tPvRmT1_PNSt15iterator_traitsISY_E10value_typeET2_T3_PNSZ_IS14_E10value_typeET4_jRbjT5_S1A_jjP12ihipStream_tbEUljE_EEESV_SW_SX_S14_S18_S1A_T6_T7_T9_mT8_S1C_bDpT10_ENKUlT_T0_E_clISt17integral_constantIbLb1EES1P_EEDaS1K_S1L_EUlS1K_E_NS1_11comp_targetILNS1_3genE0ELNS1_11target_archE4294967295ELNS1_3gpuE0ELNS1_3repE0EEENS1_30default_config_static_selectorELNS0_4arch9wavefront6targetE1EEEvSY_: ; @_ZN7rocprim17ROCPRIM_400000_NS6detail17trampoline_kernelINS0_13select_configILj256ELj13ELNS0_17block_load_methodE3ELS4_3ELS4_3ELNS0_20block_scan_algorithmE0ELj4294967295EEENS1_25partition_config_selectorILNS1_17partition_subalgoE3EjNS0_10empty_typeEbEEZZNS1_14partition_implILS8_3ELb0ES6_jNS0_17counting_iteratorIjlEEPS9_SE_NS0_5tupleIJPjSE_EEENSF_IJSE_SE_EEES9_SG_JZNS1_25segmented_radix_sort_implINS0_14default_configELb0EPKdPdPKlPlN2at6native12_GLOBAL__N_18offset_tEEE10hipError_tPvRmT1_PNSt15iterator_traitsISY_E10value_typeET2_T3_PNSZ_IS14_E10value_typeET4_jRbjT5_S1A_jjP12ihipStream_tbEUljE_EEESV_SW_SX_S14_S18_S1A_T6_T7_T9_mT8_S1C_bDpT10_ENKUlT_T0_E_clISt17integral_constantIbLb1EES1P_EEDaS1K_S1L_EUlS1K_E_NS1_11comp_targetILNS1_3genE0ELNS1_11target_archE4294967295ELNS1_3gpuE0ELNS1_3repE0EEENS1_30default_config_static_selectorELNS0_4arch9wavefront6targetE1EEEvSY_
; %bb.0:
	.section	.rodata,"a",@progbits
	.p2align	6, 0x0
	.amdhsa_kernel _ZN7rocprim17ROCPRIM_400000_NS6detail17trampoline_kernelINS0_13select_configILj256ELj13ELNS0_17block_load_methodE3ELS4_3ELS4_3ELNS0_20block_scan_algorithmE0ELj4294967295EEENS1_25partition_config_selectorILNS1_17partition_subalgoE3EjNS0_10empty_typeEbEEZZNS1_14partition_implILS8_3ELb0ES6_jNS0_17counting_iteratorIjlEEPS9_SE_NS0_5tupleIJPjSE_EEENSF_IJSE_SE_EEES9_SG_JZNS1_25segmented_radix_sort_implINS0_14default_configELb0EPKdPdPKlPlN2at6native12_GLOBAL__N_18offset_tEEE10hipError_tPvRmT1_PNSt15iterator_traitsISY_E10value_typeET2_T3_PNSZ_IS14_E10value_typeET4_jRbjT5_S1A_jjP12ihipStream_tbEUljE_EEESV_SW_SX_S14_S18_S1A_T6_T7_T9_mT8_S1C_bDpT10_ENKUlT_T0_E_clISt17integral_constantIbLb1EES1P_EEDaS1K_S1L_EUlS1K_E_NS1_11comp_targetILNS1_3genE0ELNS1_11target_archE4294967295ELNS1_3gpuE0ELNS1_3repE0EEENS1_30default_config_static_selectorELNS0_4arch9wavefront6targetE1EEEvSY_
		.amdhsa_group_segment_fixed_size 0
		.amdhsa_private_segment_fixed_size 0
		.amdhsa_kernarg_size 152
		.amdhsa_user_sgpr_count 6
		.amdhsa_user_sgpr_private_segment_buffer 1
		.amdhsa_user_sgpr_dispatch_ptr 0
		.amdhsa_user_sgpr_queue_ptr 0
		.amdhsa_user_sgpr_kernarg_segment_ptr 1
		.amdhsa_user_sgpr_dispatch_id 0
		.amdhsa_user_sgpr_flat_scratch_init 0
		.amdhsa_user_sgpr_private_segment_size 0
		.amdhsa_uses_dynamic_stack 0
		.amdhsa_system_sgpr_private_segment_wavefront_offset 0
		.amdhsa_system_sgpr_workgroup_id_x 1
		.amdhsa_system_sgpr_workgroup_id_y 0
		.amdhsa_system_sgpr_workgroup_id_z 0
		.amdhsa_system_sgpr_workgroup_info 0
		.amdhsa_system_vgpr_workitem_id 0
		.amdhsa_next_free_vgpr 1
		.amdhsa_next_free_sgpr 0
		.amdhsa_reserve_vcc 0
		.amdhsa_reserve_flat_scratch 0
		.amdhsa_float_round_mode_32 0
		.amdhsa_float_round_mode_16_64 0
		.amdhsa_float_denorm_mode_32 3
		.amdhsa_float_denorm_mode_16_64 3
		.amdhsa_dx10_clamp 1
		.amdhsa_ieee_mode 1
		.amdhsa_fp16_overflow 0
		.amdhsa_exception_fp_ieee_invalid_op 0
		.amdhsa_exception_fp_denorm_src 0
		.amdhsa_exception_fp_ieee_div_zero 0
		.amdhsa_exception_fp_ieee_overflow 0
		.amdhsa_exception_fp_ieee_underflow 0
		.amdhsa_exception_fp_ieee_inexact 0
		.amdhsa_exception_int_div_zero 0
	.end_amdhsa_kernel
	.section	.text._ZN7rocprim17ROCPRIM_400000_NS6detail17trampoline_kernelINS0_13select_configILj256ELj13ELNS0_17block_load_methodE3ELS4_3ELS4_3ELNS0_20block_scan_algorithmE0ELj4294967295EEENS1_25partition_config_selectorILNS1_17partition_subalgoE3EjNS0_10empty_typeEbEEZZNS1_14partition_implILS8_3ELb0ES6_jNS0_17counting_iteratorIjlEEPS9_SE_NS0_5tupleIJPjSE_EEENSF_IJSE_SE_EEES9_SG_JZNS1_25segmented_radix_sort_implINS0_14default_configELb0EPKdPdPKlPlN2at6native12_GLOBAL__N_18offset_tEEE10hipError_tPvRmT1_PNSt15iterator_traitsISY_E10value_typeET2_T3_PNSZ_IS14_E10value_typeET4_jRbjT5_S1A_jjP12ihipStream_tbEUljE_EEESV_SW_SX_S14_S18_S1A_T6_T7_T9_mT8_S1C_bDpT10_ENKUlT_T0_E_clISt17integral_constantIbLb1EES1P_EEDaS1K_S1L_EUlS1K_E_NS1_11comp_targetILNS1_3genE0ELNS1_11target_archE4294967295ELNS1_3gpuE0ELNS1_3repE0EEENS1_30default_config_static_selectorELNS0_4arch9wavefront6targetE1EEEvSY_,"axG",@progbits,_ZN7rocprim17ROCPRIM_400000_NS6detail17trampoline_kernelINS0_13select_configILj256ELj13ELNS0_17block_load_methodE3ELS4_3ELS4_3ELNS0_20block_scan_algorithmE0ELj4294967295EEENS1_25partition_config_selectorILNS1_17partition_subalgoE3EjNS0_10empty_typeEbEEZZNS1_14partition_implILS8_3ELb0ES6_jNS0_17counting_iteratorIjlEEPS9_SE_NS0_5tupleIJPjSE_EEENSF_IJSE_SE_EEES9_SG_JZNS1_25segmented_radix_sort_implINS0_14default_configELb0EPKdPdPKlPlN2at6native12_GLOBAL__N_18offset_tEEE10hipError_tPvRmT1_PNSt15iterator_traitsISY_E10value_typeET2_T3_PNSZ_IS14_E10value_typeET4_jRbjT5_S1A_jjP12ihipStream_tbEUljE_EEESV_SW_SX_S14_S18_S1A_T6_T7_T9_mT8_S1C_bDpT10_ENKUlT_T0_E_clISt17integral_constantIbLb1EES1P_EEDaS1K_S1L_EUlS1K_E_NS1_11comp_targetILNS1_3genE0ELNS1_11target_archE4294967295ELNS1_3gpuE0ELNS1_3repE0EEENS1_30default_config_static_selectorELNS0_4arch9wavefront6targetE1EEEvSY_,comdat
.Lfunc_end1197:
	.size	_ZN7rocprim17ROCPRIM_400000_NS6detail17trampoline_kernelINS0_13select_configILj256ELj13ELNS0_17block_load_methodE3ELS4_3ELS4_3ELNS0_20block_scan_algorithmE0ELj4294967295EEENS1_25partition_config_selectorILNS1_17partition_subalgoE3EjNS0_10empty_typeEbEEZZNS1_14partition_implILS8_3ELb0ES6_jNS0_17counting_iteratorIjlEEPS9_SE_NS0_5tupleIJPjSE_EEENSF_IJSE_SE_EEES9_SG_JZNS1_25segmented_radix_sort_implINS0_14default_configELb0EPKdPdPKlPlN2at6native12_GLOBAL__N_18offset_tEEE10hipError_tPvRmT1_PNSt15iterator_traitsISY_E10value_typeET2_T3_PNSZ_IS14_E10value_typeET4_jRbjT5_S1A_jjP12ihipStream_tbEUljE_EEESV_SW_SX_S14_S18_S1A_T6_T7_T9_mT8_S1C_bDpT10_ENKUlT_T0_E_clISt17integral_constantIbLb1EES1P_EEDaS1K_S1L_EUlS1K_E_NS1_11comp_targetILNS1_3genE0ELNS1_11target_archE4294967295ELNS1_3gpuE0ELNS1_3repE0EEENS1_30default_config_static_selectorELNS0_4arch9wavefront6targetE1EEEvSY_, .Lfunc_end1197-_ZN7rocprim17ROCPRIM_400000_NS6detail17trampoline_kernelINS0_13select_configILj256ELj13ELNS0_17block_load_methodE3ELS4_3ELS4_3ELNS0_20block_scan_algorithmE0ELj4294967295EEENS1_25partition_config_selectorILNS1_17partition_subalgoE3EjNS0_10empty_typeEbEEZZNS1_14partition_implILS8_3ELb0ES6_jNS0_17counting_iteratorIjlEEPS9_SE_NS0_5tupleIJPjSE_EEENSF_IJSE_SE_EEES9_SG_JZNS1_25segmented_radix_sort_implINS0_14default_configELb0EPKdPdPKlPlN2at6native12_GLOBAL__N_18offset_tEEE10hipError_tPvRmT1_PNSt15iterator_traitsISY_E10value_typeET2_T3_PNSZ_IS14_E10value_typeET4_jRbjT5_S1A_jjP12ihipStream_tbEUljE_EEESV_SW_SX_S14_S18_S1A_T6_T7_T9_mT8_S1C_bDpT10_ENKUlT_T0_E_clISt17integral_constantIbLb1EES1P_EEDaS1K_S1L_EUlS1K_E_NS1_11comp_targetILNS1_3genE0ELNS1_11target_archE4294967295ELNS1_3gpuE0ELNS1_3repE0EEENS1_30default_config_static_selectorELNS0_4arch9wavefront6targetE1EEEvSY_
                                        ; -- End function
	.set _ZN7rocprim17ROCPRIM_400000_NS6detail17trampoline_kernelINS0_13select_configILj256ELj13ELNS0_17block_load_methodE3ELS4_3ELS4_3ELNS0_20block_scan_algorithmE0ELj4294967295EEENS1_25partition_config_selectorILNS1_17partition_subalgoE3EjNS0_10empty_typeEbEEZZNS1_14partition_implILS8_3ELb0ES6_jNS0_17counting_iteratorIjlEEPS9_SE_NS0_5tupleIJPjSE_EEENSF_IJSE_SE_EEES9_SG_JZNS1_25segmented_radix_sort_implINS0_14default_configELb0EPKdPdPKlPlN2at6native12_GLOBAL__N_18offset_tEEE10hipError_tPvRmT1_PNSt15iterator_traitsISY_E10value_typeET2_T3_PNSZ_IS14_E10value_typeET4_jRbjT5_S1A_jjP12ihipStream_tbEUljE_EEESV_SW_SX_S14_S18_S1A_T6_T7_T9_mT8_S1C_bDpT10_ENKUlT_T0_E_clISt17integral_constantIbLb1EES1P_EEDaS1K_S1L_EUlS1K_E_NS1_11comp_targetILNS1_3genE0ELNS1_11target_archE4294967295ELNS1_3gpuE0ELNS1_3repE0EEENS1_30default_config_static_selectorELNS0_4arch9wavefront6targetE1EEEvSY_.num_vgpr, 0
	.set _ZN7rocprim17ROCPRIM_400000_NS6detail17trampoline_kernelINS0_13select_configILj256ELj13ELNS0_17block_load_methodE3ELS4_3ELS4_3ELNS0_20block_scan_algorithmE0ELj4294967295EEENS1_25partition_config_selectorILNS1_17partition_subalgoE3EjNS0_10empty_typeEbEEZZNS1_14partition_implILS8_3ELb0ES6_jNS0_17counting_iteratorIjlEEPS9_SE_NS0_5tupleIJPjSE_EEENSF_IJSE_SE_EEES9_SG_JZNS1_25segmented_radix_sort_implINS0_14default_configELb0EPKdPdPKlPlN2at6native12_GLOBAL__N_18offset_tEEE10hipError_tPvRmT1_PNSt15iterator_traitsISY_E10value_typeET2_T3_PNSZ_IS14_E10value_typeET4_jRbjT5_S1A_jjP12ihipStream_tbEUljE_EEESV_SW_SX_S14_S18_S1A_T6_T7_T9_mT8_S1C_bDpT10_ENKUlT_T0_E_clISt17integral_constantIbLb1EES1P_EEDaS1K_S1L_EUlS1K_E_NS1_11comp_targetILNS1_3genE0ELNS1_11target_archE4294967295ELNS1_3gpuE0ELNS1_3repE0EEENS1_30default_config_static_selectorELNS0_4arch9wavefront6targetE1EEEvSY_.num_agpr, 0
	.set _ZN7rocprim17ROCPRIM_400000_NS6detail17trampoline_kernelINS0_13select_configILj256ELj13ELNS0_17block_load_methodE3ELS4_3ELS4_3ELNS0_20block_scan_algorithmE0ELj4294967295EEENS1_25partition_config_selectorILNS1_17partition_subalgoE3EjNS0_10empty_typeEbEEZZNS1_14partition_implILS8_3ELb0ES6_jNS0_17counting_iteratorIjlEEPS9_SE_NS0_5tupleIJPjSE_EEENSF_IJSE_SE_EEES9_SG_JZNS1_25segmented_radix_sort_implINS0_14default_configELb0EPKdPdPKlPlN2at6native12_GLOBAL__N_18offset_tEEE10hipError_tPvRmT1_PNSt15iterator_traitsISY_E10value_typeET2_T3_PNSZ_IS14_E10value_typeET4_jRbjT5_S1A_jjP12ihipStream_tbEUljE_EEESV_SW_SX_S14_S18_S1A_T6_T7_T9_mT8_S1C_bDpT10_ENKUlT_T0_E_clISt17integral_constantIbLb1EES1P_EEDaS1K_S1L_EUlS1K_E_NS1_11comp_targetILNS1_3genE0ELNS1_11target_archE4294967295ELNS1_3gpuE0ELNS1_3repE0EEENS1_30default_config_static_selectorELNS0_4arch9wavefront6targetE1EEEvSY_.numbered_sgpr, 0
	.set _ZN7rocprim17ROCPRIM_400000_NS6detail17trampoline_kernelINS0_13select_configILj256ELj13ELNS0_17block_load_methodE3ELS4_3ELS4_3ELNS0_20block_scan_algorithmE0ELj4294967295EEENS1_25partition_config_selectorILNS1_17partition_subalgoE3EjNS0_10empty_typeEbEEZZNS1_14partition_implILS8_3ELb0ES6_jNS0_17counting_iteratorIjlEEPS9_SE_NS0_5tupleIJPjSE_EEENSF_IJSE_SE_EEES9_SG_JZNS1_25segmented_radix_sort_implINS0_14default_configELb0EPKdPdPKlPlN2at6native12_GLOBAL__N_18offset_tEEE10hipError_tPvRmT1_PNSt15iterator_traitsISY_E10value_typeET2_T3_PNSZ_IS14_E10value_typeET4_jRbjT5_S1A_jjP12ihipStream_tbEUljE_EEESV_SW_SX_S14_S18_S1A_T6_T7_T9_mT8_S1C_bDpT10_ENKUlT_T0_E_clISt17integral_constantIbLb1EES1P_EEDaS1K_S1L_EUlS1K_E_NS1_11comp_targetILNS1_3genE0ELNS1_11target_archE4294967295ELNS1_3gpuE0ELNS1_3repE0EEENS1_30default_config_static_selectorELNS0_4arch9wavefront6targetE1EEEvSY_.num_named_barrier, 0
	.set _ZN7rocprim17ROCPRIM_400000_NS6detail17trampoline_kernelINS0_13select_configILj256ELj13ELNS0_17block_load_methodE3ELS4_3ELS4_3ELNS0_20block_scan_algorithmE0ELj4294967295EEENS1_25partition_config_selectorILNS1_17partition_subalgoE3EjNS0_10empty_typeEbEEZZNS1_14partition_implILS8_3ELb0ES6_jNS0_17counting_iteratorIjlEEPS9_SE_NS0_5tupleIJPjSE_EEENSF_IJSE_SE_EEES9_SG_JZNS1_25segmented_radix_sort_implINS0_14default_configELb0EPKdPdPKlPlN2at6native12_GLOBAL__N_18offset_tEEE10hipError_tPvRmT1_PNSt15iterator_traitsISY_E10value_typeET2_T3_PNSZ_IS14_E10value_typeET4_jRbjT5_S1A_jjP12ihipStream_tbEUljE_EEESV_SW_SX_S14_S18_S1A_T6_T7_T9_mT8_S1C_bDpT10_ENKUlT_T0_E_clISt17integral_constantIbLb1EES1P_EEDaS1K_S1L_EUlS1K_E_NS1_11comp_targetILNS1_3genE0ELNS1_11target_archE4294967295ELNS1_3gpuE0ELNS1_3repE0EEENS1_30default_config_static_selectorELNS0_4arch9wavefront6targetE1EEEvSY_.private_seg_size, 0
	.set _ZN7rocprim17ROCPRIM_400000_NS6detail17trampoline_kernelINS0_13select_configILj256ELj13ELNS0_17block_load_methodE3ELS4_3ELS4_3ELNS0_20block_scan_algorithmE0ELj4294967295EEENS1_25partition_config_selectorILNS1_17partition_subalgoE3EjNS0_10empty_typeEbEEZZNS1_14partition_implILS8_3ELb0ES6_jNS0_17counting_iteratorIjlEEPS9_SE_NS0_5tupleIJPjSE_EEENSF_IJSE_SE_EEES9_SG_JZNS1_25segmented_radix_sort_implINS0_14default_configELb0EPKdPdPKlPlN2at6native12_GLOBAL__N_18offset_tEEE10hipError_tPvRmT1_PNSt15iterator_traitsISY_E10value_typeET2_T3_PNSZ_IS14_E10value_typeET4_jRbjT5_S1A_jjP12ihipStream_tbEUljE_EEESV_SW_SX_S14_S18_S1A_T6_T7_T9_mT8_S1C_bDpT10_ENKUlT_T0_E_clISt17integral_constantIbLb1EES1P_EEDaS1K_S1L_EUlS1K_E_NS1_11comp_targetILNS1_3genE0ELNS1_11target_archE4294967295ELNS1_3gpuE0ELNS1_3repE0EEENS1_30default_config_static_selectorELNS0_4arch9wavefront6targetE1EEEvSY_.uses_vcc, 0
	.set _ZN7rocprim17ROCPRIM_400000_NS6detail17trampoline_kernelINS0_13select_configILj256ELj13ELNS0_17block_load_methodE3ELS4_3ELS4_3ELNS0_20block_scan_algorithmE0ELj4294967295EEENS1_25partition_config_selectorILNS1_17partition_subalgoE3EjNS0_10empty_typeEbEEZZNS1_14partition_implILS8_3ELb0ES6_jNS0_17counting_iteratorIjlEEPS9_SE_NS0_5tupleIJPjSE_EEENSF_IJSE_SE_EEES9_SG_JZNS1_25segmented_radix_sort_implINS0_14default_configELb0EPKdPdPKlPlN2at6native12_GLOBAL__N_18offset_tEEE10hipError_tPvRmT1_PNSt15iterator_traitsISY_E10value_typeET2_T3_PNSZ_IS14_E10value_typeET4_jRbjT5_S1A_jjP12ihipStream_tbEUljE_EEESV_SW_SX_S14_S18_S1A_T6_T7_T9_mT8_S1C_bDpT10_ENKUlT_T0_E_clISt17integral_constantIbLb1EES1P_EEDaS1K_S1L_EUlS1K_E_NS1_11comp_targetILNS1_3genE0ELNS1_11target_archE4294967295ELNS1_3gpuE0ELNS1_3repE0EEENS1_30default_config_static_selectorELNS0_4arch9wavefront6targetE1EEEvSY_.uses_flat_scratch, 0
	.set _ZN7rocprim17ROCPRIM_400000_NS6detail17trampoline_kernelINS0_13select_configILj256ELj13ELNS0_17block_load_methodE3ELS4_3ELS4_3ELNS0_20block_scan_algorithmE0ELj4294967295EEENS1_25partition_config_selectorILNS1_17partition_subalgoE3EjNS0_10empty_typeEbEEZZNS1_14partition_implILS8_3ELb0ES6_jNS0_17counting_iteratorIjlEEPS9_SE_NS0_5tupleIJPjSE_EEENSF_IJSE_SE_EEES9_SG_JZNS1_25segmented_radix_sort_implINS0_14default_configELb0EPKdPdPKlPlN2at6native12_GLOBAL__N_18offset_tEEE10hipError_tPvRmT1_PNSt15iterator_traitsISY_E10value_typeET2_T3_PNSZ_IS14_E10value_typeET4_jRbjT5_S1A_jjP12ihipStream_tbEUljE_EEESV_SW_SX_S14_S18_S1A_T6_T7_T9_mT8_S1C_bDpT10_ENKUlT_T0_E_clISt17integral_constantIbLb1EES1P_EEDaS1K_S1L_EUlS1K_E_NS1_11comp_targetILNS1_3genE0ELNS1_11target_archE4294967295ELNS1_3gpuE0ELNS1_3repE0EEENS1_30default_config_static_selectorELNS0_4arch9wavefront6targetE1EEEvSY_.has_dyn_sized_stack, 0
	.set _ZN7rocprim17ROCPRIM_400000_NS6detail17trampoline_kernelINS0_13select_configILj256ELj13ELNS0_17block_load_methodE3ELS4_3ELS4_3ELNS0_20block_scan_algorithmE0ELj4294967295EEENS1_25partition_config_selectorILNS1_17partition_subalgoE3EjNS0_10empty_typeEbEEZZNS1_14partition_implILS8_3ELb0ES6_jNS0_17counting_iteratorIjlEEPS9_SE_NS0_5tupleIJPjSE_EEENSF_IJSE_SE_EEES9_SG_JZNS1_25segmented_radix_sort_implINS0_14default_configELb0EPKdPdPKlPlN2at6native12_GLOBAL__N_18offset_tEEE10hipError_tPvRmT1_PNSt15iterator_traitsISY_E10value_typeET2_T3_PNSZ_IS14_E10value_typeET4_jRbjT5_S1A_jjP12ihipStream_tbEUljE_EEESV_SW_SX_S14_S18_S1A_T6_T7_T9_mT8_S1C_bDpT10_ENKUlT_T0_E_clISt17integral_constantIbLb1EES1P_EEDaS1K_S1L_EUlS1K_E_NS1_11comp_targetILNS1_3genE0ELNS1_11target_archE4294967295ELNS1_3gpuE0ELNS1_3repE0EEENS1_30default_config_static_selectorELNS0_4arch9wavefront6targetE1EEEvSY_.has_recursion, 0
	.set _ZN7rocprim17ROCPRIM_400000_NS6detail17trampoline_kernelINS0_13select_configILj256ELj13ELNS0_17block_load_methodE3ELS4_3ELS4_3ELNS0_20block_scan_algorithmE0ELj4294967295EEENS1_25partition_config_selectorILNS1_17partition_subalgoE3EjNS0_10empty_typeEbEEZZNS1_14partition_implILS8_3ELb0ES6_jNS0_17counting_iteratorIjlEEPS9_SE_NS0_5tupleIJPjSE_EEENSF_IJSE_SE_EEES9_SG_JZNS1_25segmented_radix_sort_implINS0_14default_configELb0EPKdPdPKlPlN2at6native12_GLOBAL__N_18offset_tEEE10hipError_tPvRmT1_PNSt15iterator_traitsISY_E10value_typeET2_T3_PNSZ_IS14_E10value_typeET4_jRbjT5_S1A_jjP12ihipStream_tbEUljE_EEESV_SW_SX_S14_S18_S1A_T6_T7_T9_mT8_S1C_bDpT10_ENKUlT_T0_E_clISt17integral_constantIbLb1EES1P_EEDaS1K_S1L_EUlS1K_E_NS1_11comp_targetILNS1_3genE0ELNS1_11target_archE4294967295ELNS1_3gpuE0ELNS1_3repE0EEENS1_30default_config_static_selectorELNS0_4arch9wavefront6targetE1EEEvSY_.has_indirect_call, 0
	.section	.AMDGPU.csdata,"",@progbits
; Kernel info:
; codeLenInByte = 0
; TotalNumSgprs: 4
; NumVgprs: 0
; ScratchSize: 0
; MemoryBound: 0
; FloatMode: 240
; IeeeMode: 1
; LDSByteSize: 0 bytes/workgroup (compile time only)
; SGPRBlocks: 0
; VGPRBlocks: 0
; NumSGPRsForWavesPerEU: 4
; NumVGPRsForWavesPerEU: 1
; Occupancy: 10
; WaveLimiterHint : 0
; COMPUTE_PGM_RSRC2:SCRATCH_EN: 0
; COMPUTE_PGM_RSRC2:USER_SGPR: 6
; COMPUTE_PGM_RSRC2:TRAP_HANDLER: 0
; COMPUTE_PGM_RSRC2:TGID_X_EN: 1
; COMPUTE_PGM_RSRC2:TGID_Y_EN: 0
; COMPUTE_PGM_RSRC2:TGID_Z_EN: 0
; COMPUTE_PGM_RSRC2:TIDIG_COMP_CNT: 0
	.section	.text._ZN7rocprim17ROCPRIM_400000_NS6detail17trampoline_kernelINS0_13select_configILj256ELj13ELNS0_17block_load_methodE3ELS4_3ELS4_3ELNS0_20block_scan_algorithmE0ELj4294967295EEENS1_25partition_config_selectorILNS1_17partition_subalgoE3EjNS0_10empty_typeEbEEZZNS1_14partition_implILS8_3ELb0ES6_jNS0_17counting_iteratorIjlEEPS9_SE_NS0_5tupleIJPjSE_EEENSF_IJSE_SE_EEES9_SG_JZNS1_25segmented_radix_sort_implINS0_14default_configELb0EPKdPdPKlPlN2at6native12_GLOBAL__N_18offset_tEEE10hipError_tPvRmT1_PNSt15iterator_traitsISY_E10value_typeET2_T3_PNSZ_IS14_E10value_typeET4_jRbjT5_S1A_jjP12ihipStream_tbEUljE_EEESV_SW_SX_S14_S18_S1A_T6_T7_T9_mT8_S1C_bDpT10_ENKUlT_T0_E_clISt17integral_constantIbLb1EES1P_EEDaS1K_S1L_EUlS1K_E_NS1_11comp_targetILNS1_3genE5ELNS1_11target_archE942ELNS1_3gpuE9ELNS1_3repE0EEENS1_30default_config_static_selectorELNS0_4arch9wavefront6targetE1EEEvSY_,"axG",@progbits,_ZN7rocprim17ROCPRIM_400000_NS6detail17trampoline_kernelINS0_13select_configILj256ELj13ELNS0_17block_load_methodE3ELS4_3ELS4_3ELNS0_20block_scan_algorithmE0ELj4294967295EEENS1_25partition_config_selectorILNS1_17partition_subalgoE3EjNS0_10empty_typeEbEEZZNS1_14partition_implILS8_3ELb0ES6_jNS0_17counting_iteratorIjlEEPS9_SE_NS0_5tupleIJPjSE_EEENSF_IJSE_SE_EEES9_SG_JZNS1_25segmented_radix_sort_implINS0_14default_configELb0EPKdPdPKlPlN2at6native12_GLOBAL__N_18offset_tEEE10hipError_tPvRmT1_PNSt15iterator_traitsISY_E10value_typeET2_T3_PNSZ_IS14_E10value_typeET4_jRbjT5_S1A_jjP12ihipStream_tbEUljE_EEESV_SW_SX_S14_S18_S1A_T6_T7_T9_mT8_S1C_bDpT10_ENKUlT_T0_E_clISt17integral_constantIbLb1EES1P_EEDaS1K_S1L_EUlS1K_E_NS1_11comp_targetILNS1_3genE5ELNS1_11target_archE942ELNS1_3gpuE9ELNS1_3repE0EEENS1_30default_config_static_selectorELNS0_4arch9wavefront6targetE1EEEvSY_,comdat
	.globl	_ZN7rocprim17ROCPRIM_400000_NS6detail17trampoline_kernelINS0_13select_configILj256ELj13ELNS0_17block_load_methodE3ELS4_3ELS4_3ELNS0_20block_scan_algorithmE0ELj4294967295EEENS1_25partition_config_selectorILNS1_17partition_subalgoE3EjNS0_10empty_typeEbEEZZNS1_14partition_implILS8_3ELb0ES6_jNS0_17counting_iteratorIjlEEPS9_SE_NS0_5tupleIJPjSE_EEENSF_IJSE_SE_EEES9_SG_JZNS1_25segmented_radix_sort_implINS0_14default_configELb0EPKdPdPKlPlN2at6native12_GLOBAL__N_18offset_tEEE10hipError_tPvRmT1_PNSt15iterator_traitsISY_E10value_typeET2_T3_PNSZ_IS14_E10value_typeET4_jRbjT5_S1A_jjP12ihipStream_tbEUljE_EEESV_SW_SX_S14_S18_S1A_T6_T7_T9_mT8_S1C_bDpT10_ENKUlT_T0_E_clISt17integral_constantIbLb1EES1P_EEDaS1K_S1L_EUlS1K_E_NS1_11comp_targetILNS1_3genE5ELNS1_11target_archE942ELNS1_3gpuE9ELNS1_3repE0EEENS1_30default_config_static_selectorELNS0_4arch9wavefront6targetE1EEEvSY_ ; -- Begin function _ZN7rocprim17ROCPRIM_400000_NS6detail17trampoline_kernelINS0_13select_configILj256ELj13ELNS0_17block_load_methodE3ELS4_3ELS4_3ELNS0_20block_scan_algorithmE0ELj4294967295EEENS1_25partition_config_selectorILNS1_17partition_subalgoE3EjNS0_10empty_typeEbEEZZNS1_14partition_implILS8_3ELb0ES6_jNS0_17counting_iteratorIjlEEPS9_SE_NS0_5tupleIJPjSE_EEENSF_IJSE_SE_EEES9_SG_JZNS1_25segmented_radix_sort_implINS0_14default_configELb0EPKdPdPKlPlN2at6native12_GLOBAL__N_18offset_tEEE10hipError_tPvRmT1_PNSt15iterator_traitsISY_E10value_typeET2_T3_PNSZ_IS14_E10value_typeET4_jRbjT5_S1A_jjP12ihipStream_tbEUljE_EEESV_SW_SX_S14_S18_S1A_T6_T7_T9_mT8_S1C_bDpT10_ENKUlT_T0_E_clISt17integral_constantIbLb1EES1P_EEDaS1K_S1L_EUlS1K_E_NS1_11comp_targetILNS1_3genE5ELNS1_11target_archE942ELNS1_3gpuE9ELNS1_3repE0EEENS1_30default_config_static_selectorELNS0_4arch9wavefront6targetE1EEEvSY_
	.p2align	8
	.type	_ZN7rocprim17ROCPRIM_400000_NS6detail17trampoline_kernelINS0_13select_configILj256ELj13ELNS0_17block_load_methodE3ELS4_3ELS4_3ELNS0_20block_scan_algorithmE0ELj4294967295EEENS1_25partition_config_selectorILNS1_17partition_subalgoE3EjNS0_10empty_typeEbEEZZNS1_14partition_implILS8_3ELb0ES6_jNS0_17counting_iteratorIjlEEPS9_SE_NS0_5tupleIJPjSE_EEENSF_IJSE_SE_EEES9_SG_JZNS1_25segmented_radix_sort_implINS0_14default_configELb0EPKdPdPKlPlN2at6native12_GLOBAL__N_18offset_tEEE10hipError_tPvRmT1_PNSt15iterator_traitsISY_E10value_typeET2_T3_PNSZ_IS14_E10value_typeET4_jRbjT5_S1A_jjP12ihipStream_tbEUljE_EEESV_SW_SX_S14_S18_S1A_T6_T7_T9_mT8_S1C_bDpT10_ENKUlT_T0_E_clISt17integral_constantIbLb1EES1P_EEDaS1K_S1L_EUlS1K_E_NS1_11comp_targetILNS1_3genE5ELNS1_11target_archE942ELNS1_3gpuE9ELNS1_3repE0EEENS1_30default_config_static_selectorELNS0_4arch9wavefront6targetE1EEEvSY_,@function
_ZN7rocprim17ROCPRIM_400000_NS6detail17trampoline_kernelINS0_13select_configILj256ELj13ELNS0_17block_load_methodE3ELS4_3ELS4_3ELNS0_20block_scan_algorithmE0ELj4294967295EEENS1_25partition_config_selectorILNS1_17partition_subalgoE3EjNS0_10empty_typeEbEEZZNS1_14partition_implILS8_3ELb0ES6_jNS0_17counting_iteratorIjlEEPS9_SE_NS0_5tupleIJPjSE_EEENSF_IJSE_SE_EEES9_SG_JZNS1_25segmented_radix_sort_implINS0_14default_configELb0EPKdPdPKlPlN2at6native12_GLOBAL__N_18offset_tEEE10hipError_tPvRmT1_PNSt15iterator_traitsISY_E10value_typeET2_T3_PNSZ_IS14_E10value_typeET4_jRbjT5_S1A_jjP12ihipStream_tbEUljE_EEESV_SW_SX_S14_S18_S1A_T6_T7_T9_mT8_S1C_bDpT10_ENKUlT_T0_E_clISt17integral_constantIbLb1EES1P_EEDaS1K_S1L_EUlS1K_E_NS1_11comp_targetILNS1_3genE5ELNS1_11target_archE942ELNS1_3gpuE9ELNS1_3repE0EEENS1_30default_config_static_selectorELNS0_4arch9wavefront6targetE1EEEvSY_: ; @_ZN7rocprim17ROCPRIM_400000_NS6detail17trampoline_kernelINS0_13select_configILj256ELj13ELNS0_17block_load_methodE3ELS4_3ELS4_3ELNS0_20block_scan_algorithmE0ELj4294967295EEENS1_25partition_config_selectorILNS1_17partition_subalgoE3EjNS0_10empty_typeEbEEZZNS1_14partition_implILS8_3ELb0ES6_jNS0_17counting_iteratorIjlEEPS9_SE_NS0_5tupleIJPjSE_EEENSF_IJSE_SE_EEES9_SG_JZNS1_25segmented_radix_sort_implINS0_14default_configELb0EPKdPdPKlPlN2at6native12_GLOBAL__N_18offset_tEEE10hipError_tPvRmT1_PNSt15iterator_traitsISY_E10value_typeET2_T3_PNSZ_IS14_E10value_typeET4_jRbjT5_S1A_jjP12ihipStream_tbEUljE_EEESV_SW_SX_S14_S18_S1A_T6_T7_T9_mT8_S1C_bDpT10_ENKUlT_T0_E_clISt17integral_constantIbLb1EES1P_EEDaS1K_S1L_EUlS1K_E_NS1_11comp_targetILNS1_3genE5ELNS1_11target_archE942ELNS1_3gpuE9ELNS1_3repE0EEENS1_30default_config_static_selectorELNS0_4arch9wavefront6targetE1EEEvSY_
; %bb.0:
	.section	.rodata,"a",@progbits
	.p2align	6, 0x0
	.amdhsa_kernel _ZN7rocprim17ROCPRIM_400000_NS6detail17trampoline_kernelINS0_13select_configILj256ELj13ELNS0_17block_load_methodE3ELS4_3ELS4_3ELNS0_20block_scan_algorithmE0ELj4294967295EEENS1_25partition_config_selectorILNS1_17partition_subalgoE3EjNS0_10empty_typeEbEEZZNS1_14partition_implILS8_3ELb0ES6_jNS0_17counting_iteratorIjlEEPS9_SE_NS0_5tupleIJPjSE_EEENSF_IJSE_SE_EEES9_SG_JZNS1_25segmented_radix_sort_implINS0_14default_configELb0EPKdPdPKlPlN2at6native12_GLOBAL__N_18offset_tEEE10hipError_tPvRmT1_PNSt15iterator_traitsISY_E10value_typeET2_T3_PNSZ_IS14_E10value_typeET4_jRbjT5_S1A_jjP12ihipStream_tbEUljE_EEESV_SW_SX_S14_S18_S1A_T6_T7_T9_mT8_S1C_bDpT10_ENKUlT_T0_E_clISt17integral_constantIbLb1EES1P_EEDaS1K_S1L_EUlS1K_E_NS1_11comp_targetILNS1_3genE5ELNS1_11target_archE942ELNS1_3gpuE9ELNS1_3repE0EEENS1_30default_config_static_selectorELNS0_4arch9wavefront6targetE1EEEvSY_
		.amdhsa_group_segment_fixed_size 0
		.amdhsa_private_segment_fixed_size 0
		.amdhsa_kernarg_size 152
		.amdhsa_user_sgpr_count 6
		.amdhsa_user_sgpr_private_segment_buffer 1
		.amdhsa_user_sgpr_dispatch_ptr 0
		.amdhsa_user_sgpr_queue_ptr 0
		.amdhsa_user_sgpr_kernarg_segment_ptr 1
		.amdhsa_user_sgpr_dispatch_id 0
		.amdhsa_user_sgpr_flat_scratch_init 0
		.amdhsa_user_sgpr_private_segment_size 0
		.amdhsa_uses_dynamic_stack 0
		.amdhsa_system_sgpr_private_segment_wavefront_offset 0
		.amdhsa_system_sgpr_workgroup_id_x 1
		.amdhsa_system_sgpr_workgroup_id_y 0
		.amdhsa_system_sgpr_workgroup_id_z 0
		.amdhsa_system_sgpr_workgroup_info 0
		.amdhsa_system_vgpr_workitem_id 0
		.amdhsa_next_free_vgpr 1
		.amdhsa_next_free_sgpr 0
		.amdhsa_reserve_vcc 0
		.amdhsa_reserve_flat_scratch 0
		.amdhsa_float_round_mode_32 0
		.amdhsa_float_round_mode_16_64 0
		.amdhsa_float_denorm_mode_32 3
		.amdhsa_float_denorm_mode_16_64 3
		.amdhsa_dx10_clamp 1
		.amdhsa_ieee_mode 1
		.amdhsa_fp16_overflow 0
		.amdhsa_exception_fp_ieee_invalid_op 0
		.amdhsa_exception_fp_denorm_src 0
		.amdhsa_exception_fp_ieee_div_zero 0
		.amdhsa_exception_fp_ieee_overflow 0
		.amdhsa_exception_fp_ieee_underflow 0
		.amdhsa_exception_fp_ieee_inexact 0
		.amdhsa_exception_int_div_zero 0
	.end_amdhsa_kernel
	.section	.text._ZN7rocprim17ROCPRIM_400000_NS6detail17trampoline_kernelINS0_13select_configILj256ELj13ELNS0_17block_load_methodE3ELS4_3ELS4_3ELNS0_20block_scan_algorithmE0ELj4294967295EEENS1_25partition_config_selectorILNS1_17partition_subalgoE3EjNS0_10empty_typeEbEEZZNS1_14partition_implILS8_3ELb0ES6_jNS0_17counting_iteratorIjlEEPS9_SE_NS0_5tupleIJPjSE_EEENSF_IJSE_SE_EEES9_SG_JZNS1_25segmented_radix_sort_implINS0_14default_configELb0EPKdPdPKlPlN2at6native12_GLOBAL__N_18offset_tEEE10hipError_tPvRmT1_PNSt15iterator_traitsISY_E10value_typeET2_T3_PNSZ_IS14_E10value_typeET4_jRbjT5_S1A_jjP12ihipStream_tbEUljE_EEESV_SW_SX_S14_S18_S1A_T6_T7_T9_mT8_S1C_bDpT10_ENKUlT_T0_E_clISt17integral_constantIbLb1EES1P_EEDaS1K_S1L_EUlS1K_E_NS1_11comp_targetILNS1_3genE5ELNS1_11target_archE942ELNS1_3gpuE9ELNS1_3repE0EEENS1_30default_config_static_selectorELNS0_4arch9wavefront6targetE1EEEvSY_,"axG",@progbits,_ZN7rocprim17ROCPRIM_400000_NS6detail17trampoline_kernelINS0_13select_configILj256ELj13ELNS0_17block_load_methodE3ELS4_3ELS4_3ELNS0_20block_scan_algorithmE0ELj4294967295EEENS1_25partition_config_selectorILNS1_17partition_subalgoE3EjNS0_10empty_typeEbEEZZNS1_14partition_implILS8_3ELb0ES6_jNS0_17counting_iteratorIjlEEPS9_SE_NS0_5tupleIJPjSE_EEENSF_IJSE_SE_EEES9_SG_JZNS1_25segmented_radix_sort_implINS0_14default_configELb0EPKdPdPKlPlN2at6native12_GLOBAL__N_18offset_tEEE10hipError_tPvRmT1_PNSt15iterator_traitsISY_E10value_typeET2_T3_PNSZ_IS14_E10value_typeET4_jRbjT5_S1A_jjP12ihipStream_tbEUljE_EEESV_SW_SX_S14_S18_S1A_T6_T7_T9_mT8_S1C_bDpT10_ENKUlT_T0_E_clISt17integral_constantIbLb1EES1P_EEDaS1K_S1L_EUlS1K_E_NS1_11comp_targetILNS1_3genE5ELNS1_11target_archE942ELNS1_3gpuE9ELNS1_3repE0EEENS1_30default_config_static_selectorELNS0_4arch9wavefront6targetE1EEEvSY_,comdat
.Lfunc_end1198:
	.size	_ZN7rocprim17ROCPRIM_400000_NS6detail17trampoline_kernelINS0_13select_configILj256ELj13ELNS0_17block_load_methodE3ELS4_3ELS4_3ELNS0_20block_scan_algorithmE0ELj4294967295EEENS1_25partition_config_selectorILNS1_17partition_subalgoE3EjNS0_10empty_typeEbEEZZNS1_14partition_implILS8_3ELb0ES6_jNS0_17counting_iteratorIjlEEPS9_SE_NS0_5tupleIJPjSE_EEENSF_IJSE_SE_EEES9_SG_JZNS1_25segmented_radix_sort_implINS0_14default_configELb0EPKdPdPKlPlN2at6native12_GLOBAL__N_18offset_tEEE10hipError_tPvRmT1_PNSt15iterator_traitsISY_E10value_typeET2_T3_PNSZ_IS14_E10value_typeET4_jRbjT5_S1A_jjP12ihipStream_tbEUljE_EEESV_SW_SX_S14_S18_S1A_T6_T7_T9_mT8_S1C_bDpT10_ENKUlT_T0_E_clISt17integral_constantIbLb1EES1P_EEDaS1K_S1L_EUlS1K_E_NS1_11comp_targetILNS1_3genE5ELNS1_11target_archE942ELNS1_3gpuE9ELNS1_3repE0EEENS1_30default_config_static_selectorELNS0_4arch9wavefront6targetE1EEEvSY_, .Lfunc_end1198-_ZN7rocprim17ROCPRIM_400000_NS6detail17trampoline_kernelINS0_13select_configILj256ELj13ELNS0_17block_load_methodE3ELS4_3ELS4_3ELNS0_20block_scan_algorithmE0ELj4294967295EEENS1_25partition_config_selectorILNS1_17partition_subalgoE3EjNS0_10empty_typeEbEEZZNS1_14partition_implILS8_3ELb0ES6_jNS0_17counting_iteratorIjlEEPS9_SE_NS0_5tupleIJPjSE_EEENSF_IJSE_SE_EEES9_SG_JZNS1_25segmented_radix_sort_implINS0_14default_configELb0EPKdPdPKlPlN2at6native12_GLOBAL__N_18offset_tEEE10hipError_tPvRmT1_PNSt15iterator_traitsISY_E10value_typeET2_T3_PNSZ_IS14_E10value_typeET4_jRbjT5_S1A_jjP12ihipStream_tbEUljE_EEESV_SW_SX_S14_S18_S1A_T6_T7_T9_mT8_S1C_bDpT10_ENKUlT_T0_E_clISt17integral_constantIbLb1EES1P_EEDaS1K_S1L_EUlS1K_E_NS1_11comp_targetILNS1_3genE5ELNS1_11target_archE942ELNS1_3gpuE9ELNS1_3repE0EEENS1_30default_config_static_selectorELNS0_4arch9wavefront6targetE1EEEvSY_
                                        ; -- End function
	.set _ZN7rocprim17ROCPRIM_400000_NS6detail17trampoline_kernelINS0_13select_configILj256ELj13ELNS0_17block_load_methodE3ELS4_3ELS4_3ELNS0_20block_scan_algorithmE0ELj4294967295EEENS1_25partition_config_selectorILNS1_17partition_subalgoE3EjNS0_10empty_typeEbEEZZNS1_14partition_implILS8_3ELb0ES6_jNS0_17counting_iteratorIjlEEPS9_SE_NS0_5tupleIJPjSE_EEENSF_IJSE_SE_EEES9_SG_JZNS1_25segmented_radix_sort_implINS0_14default_configELb0EPKdPdPKlPlN2at6native12_GLOBAL__N_18offset_tEEE10hipError_tPvRmT1_PNSt15iterator_traitsISY_E10value_typeET2_T3_PNSZ_IS14_E10value_typeET4_jRbjT5_S1A_jjP12ihipStream_tbEUljE_EEESV_SW_SX_S14_S18_S1A_T6_T7_T9_mT8_S1C_bDpT10_ENKUlT_T0_E_clISt17integral_constantIbLb1EES1P_EEDaS1K_S1L_EUlS1K_E_NS1_11comp_targetILNS1_3genE5ELNS1_11target_archE942ELNS1_3gpuE9ELNS1_3repE0EEENS1_30default_config_static_selectorELNS0_4arch9wavefront6targetE1EEEvSY_.num_vgpr, 0
	.set _ZN7rocprim17ROCPRIM_400000_NS6detail17trampoline_kernelINS0_13select_configILj256ELj13ELNS0_17block_load_methodE3ELS4_3ELS4_3ELNS0_20block_scan_algorithmE0ELj4294967295EEENS1_25partition_config_selectorILNS1_17partition_subalgoE3EjNS0_10empty_typeEbEEZZNS1_14partition_implILS8_3ELb0ES6_jNS0_17counting_iteratorIjlEEPS9_SE_NS0_5tupleIJPjSE_EEENSF_IJSE_SE_EEES9_SG_JZNS1_25segmented_radix_sort_implINS0_14default_configELb0EPKdPdPKlPlN2at6native12_GLOBAL__N_18offset_tEEE10hipError_tPvRmT1_PNSt15iterator_traitsISY_E10value_typeET2_T3_PNSZ_IS14_E10value_typeET4_jRbjT5_S1A_jjP12ihipStream_tbEUljE_EEESV_SW_SX_S14_S18_S1A_T6_T7_T9_mT8_S1C_bDpT10_ENKUlT_T0_E_clISt17integral_constantIbLb1EES1P_EEDaS1K_S1L_EUlS1K_E_NS1_11comp_targetILNS1_3genE5ELNS1_11target_archE942ELNS1_3gpuE9ELNS1_3repE0EEENS1_30default_config_static_selectorELNS0_4arch9wavefront6targetE1EEEvSY_.num_agpr, 0
	.set _ZN7rocprim17ROCPRIM_400000_NS6detail17trampoline_kernelINS0_13select_configILj256ELj13ELNS0_17block_load_methodE3ELS4_3ELS4_3ELNS0_20block_scan_algorithmE0ELj4294967295EEENS1_25partition_config_selectorILNS1_17partition_subalgoE3EjNS0_10empty_typeEbEEZZNS1_14partition_implILS8_3ELb0ES6_jNS0_17counting_iteratorIjlEEPS9_SE_NS0_5tupleIJPjSE_EEENSF_IJSE_SE_EEES9_SG_JZNS1_25segmented_radix_sort_implINS0_14default_configELb0EPKdPdPKlPlN2at6native12_GLOBAL__N_18offset_tEEE10hipError_tPvRmT1_PNSt15iterator_traitsISY_E10value_typeET2_T3_PNSZ_IS14_E10value_typeET4_jRbjT5_S1A_jjP12ihipStream_tbEUljE_EEESV_SW_SX_S14_S18_S1A_T6_T7_T9_mT8_S1C_bDpT10_ENKUlT_T0_E_clISt17integral_constantIbLb1EES1P_EEDaS1K_S1L_EUlS1K_E_NS1_11comp_targetILNS1_3genE5ELNS1_11target_archE942ELNS1_3gpuE9ELNS1_3repE0EEENS1_30default_config_static_selectorELNS0_4arch9wavefront6targetE1EEEvSY_.numbered_sgpr, 0
	.set _ZN7rocprim17ROCPRIM_400000_NS6detail17trampoline_kernelINS0_13select_configILj256ELj13ELNS0_17block_load_methodE3ELS4_3ELS4_3ELNS0_20block_scan_algorithmE0ELj4294967295EEENS1_25partition_config_selectorILNS1_17partition_subalgoE3EjNS0_10empty_typeEbEEZZNS1_14partition_implILS8_3ELb0ES6_jNS0_17counting_iteratorIjlEEPS9_SE_NS0_5tupleIJPjSE_EEENSF_IJSE_SE_EEES9_SG_JZNS1_25segmented_radix_sort_implINS0_14default_configELb0EPKdPdPKlPlN2at6native12_GLOBAL__N_18offset_tEEE10hipError_tPvRmT1_PNSt15iterator_traitsISY_E10value_typeET2_T3_PNSZ_IS14_E10value_typeET4_jRbjT5_S1A_jjP12ihipStream_tbEUljE_EEESV_SW_SX_S14_S18_S1A_T6_T7_T9_mT8_S1C_bDpT10_ENKUlT_T0_E_clISt17integral_constantIbLb1EES1P_EEDaS1K_S1L_EUlS1K_E_NS1_11comp_targetILNS1_3genE5ELNS1_11target_archE942ELNS1_3gpuE9ELNS1_3repE0EEENS1_30default_config_static_selectorELNS0_4arch9wavefront6targetE1EEEvSY_.num_named_barrier, 0
	.set _ZN7rocprim17ROCPRIM_400000_NS6detail17trampoline_kernelINS0_13select_configILj256ELj13ELNS0_17block_load_methodE3ELS4_3ELS4_3ELNS0_20block_scan_algorithmE0ELj4294967295EEENS1_25partition_config_selectorILNS1_17partition_subalgoE3EjNS0_10empty_typeEbEEZZNS1_14partition_implILS8_3ELb0ES6_jNS0_17counting_iteratorIjlEEPS9_SE_NS0_5tupleIJPjSE_EEENSF_IJSE_SE_EEES9_SG_JZNS1_25segmented_radix_sort_implINS0_14default_configELb0EPKdPdPKlPlN2at6native12_GLOBAL__N_18offset_tEEE10hipError_tPvRmT1_PNSt15iterator_traitsISY_E10value_typeET2_T3_PNSZ_IS14_E10value_typeET4_jRbjT5_S1A_jjP12ihipStream_tbEUljE_EEESV_SW_SX_S14_S18_S1A_T6_T7_T9_mT8_S1C_bDpT10_ENKUlT_T0_E_clISt17integral_constantIbLb1EES1P_EEDaS1K_S1L_EUlS1K_E_NS1_11comp_targetILNS1_3genE5ELNS1_11target_archE942ELNS1_3gpuE9ELNS1_3repE0EEENS1_30default_config_static_selectorELNS0_4arch9wavefront6targetE1EEEvSY_.private_seg_size, 0
	.set _ZN7rocprim17ROCPRIM_400000_NS6detail17trampoline_kernelINS0_13select_configILj256ELj13ELNS0_17block_load_methodE3ELS4_3ELS4_3ELNS0_20block_scan_algorithmE0ELj4294967295EEENS1_25partition_config_selectorILNS1_17partition_subalgoE3EjNS0_10empty_typeEbEEZZNS1_14partition_implILS8_3ELb0ES6_jNS0_17counting_iteratorIjlEEPS9_SE_NS0_5tupleIJPjSE_EEENSF_IJSE_SE_EEES9_SG_JZNS1_25segmented_radix_sort_implINS0_14default_configELb0EPKdPdPKlPlN2at6native12_GLOBAL__N_18offset_tEEE10hipError_tPvRmT1_PNSt15iterator_traitsISY_E10value_typeET2_T3_PNSZ_IS14_E10value_typeET4_jRbjT5_S1A_jjP12ihipStream_tbEUljE_EEESV_SW_SX_S14_S18_S1A_T6_T7_T9_mT8_S1C_bDpT10_ENKUlT_T0_E_clISt17integral_constantIbLb1EES1P_EEDaS1K_S1L_EUlS1K_E_NS1_11comp_targetILNS1_3genE5ELNS1_11target_archE942ELNS1_3gpuE9ELNS1_3repE0EEENS1_30default_config_static_selectorELNS0_4arch9wavefront6targetE1EEEvSY_.uses_vcc, 0
	.set _ZN7rocprim17ROCPRIM_400000_NS6detail17trampoline_kernelINS0_13select_configILj256ELj13ELNS0_17block_load_methodE3ELS4_3ELS4_3ELNS0_20block_scan_algorithmE0ELj4294967295EEENS1_25partition_config_selectorILNS1_17partition_subalgoE3EjNS0_10empty_typeEbEEZZNS1_14partition_implILS8_3ELb0ES6_jNS0_17counting_iteratorIjlEEPS9_SE_NS0_5tupleIJPjSE_EEENSF_IJSE_SE_EEES9_SG_JZNS1_25segmented_radix_sort_implINS0_14default_configELb0EPKdPdPKlPlN2at6native12_GLOBAL__N_18offset_tEEE10hipError_tPvRmT1_PNSt15iterator_traitsISY_E10value_typeET2_T3_PNSZ_IS14_E10value_typeET4_jRbjT5_S1A_jjP12ihipStream_tbEUljE_EEESV_SW_SX_S14_S18_S1A_T6_T7_T9_mT8_S1C_bDpT10_ENKUlT_T0_E_clISt17integral_constantIbLb1EES1P_EEDaS1K_S1L_EUlS1K_E_NS1_11comp_targetILNS1_3genE5ELNS1_11target_archE942ELNS1_3gpuE9ELNS1_3repE0EEENS1_30default_config_static_selectorELNS0_4arch9wavefront6targetE1EEEvSY_.uses_flat_scratch, 0
	.set _ZN7rocprim17ROCPRIM_400000_NS6detail17trampoline_kernelINS0_13select_configILj256ELj13ELNS0_17block_load_methodE3ELS4_3ELS4_3ELNS0_20block_scan_algorithmE0ELj4294967295EEENS1_25partition_config_selectorILNS1_17partition_subalgoE3EjNS0_10empty_typeEbEEZZNS1_14partition_implILS8_3ELb0ES6_jNS0_17counting_iteratorIjlEEPS9_SE_NS0_5tupleIJPjSE_EEENSF_IJSE_SE_EEES9_SG_JZNS1_25segmented_radix_sort_implINS0_14default_configELb0EPKdPdPKlPlN2at6native12_GLOBAL__N_18offset_tEEE10hipError_tPvRmT1_PNSt15iterator_traitsISY_E10value_typeET2_T3_PNSZ_IS14_E10value_typeET4_jRbjT5_S1A_jjP12ihipStream_tbEUljE_EEESV_SW_SX_S14_S18_S1A_T6_T7_T9_mT8_S1C_bDpT10_ENKUlT_T0_E_clISt17integral_constantIbLb1EES1P_EEDaS1K_S1L_EUlS1K_E_NS1_11comp_targetILNS1_3genE5ELNS1_11target_archE942ELNS1_3gpuE9ELNS1_3repE0EEENS1_30default_config_static_selectorELNS0_4arch9wavefront6targetE1EEEvSY_.has_dyn_sized_stack, 0
	.set _ZN7rocprim17ROCPRIM_400000_NS6detail17trampoline_kernelINS0_13select_configILj256ELj13ELNS0_17block_load_methodE3ELS4_3ELS4_3ELNS0_20block_scan_algorithmE0ELj4294967295EEENS1_25partition_config_selectorILNS1_17partition_subalgoE3EjNS0_10empty_typeEbEEZZNS1_14partition_implILS8_3ELb0ES6_jNS0_17counting_iteratorIjlEEPS9_SE_NS0_5tupleIJPjSE_EEENSF_IJSE_SE_EEES9_SG_JZNS1_25segmented_radix_sort_implINS0_14default_configELb0EPKdPdPKlPlN2at6native12_GLOBAL__N_18offset_tEEE10hipError_tPvRmT1_PNSt15iterator_traitsISY_E10value_typeET2_T3_PNSZ_IS14_E10value_typeET4_jRbjT5_S1A_jjP12ihipStream_tbEUljE_EEESV_SW_SX_S14_S18_S1A_T6_T7_T9_mT8_S1C_bDpT10_ENKUlT_T0_E_clISt17integral_constantIbLb1EES1P_EEDaS1K_S1L_EUlS1K_E_NS1_11comp_targetILNS1_3genE5ELNS1_11target_archE942ELNS1_3gpuE9ELNS1_3repE0EEENS1_30default_config_static_selectorELNS0_4arch9wavefront6targetE1EEEvSY_.has_recursion, 0
	.set _ZN7rocprim17ROCPRIM_400000_NS6detail17trampoline_kernelINS0_13select_configILj256ELj13ELNS0_17block_load_methodE3ELS4_3ELS4_3ELNS0_20block_scan_algorithmE0ELj4294967295EEENS1_25partition_config_selectorILNS1_17partition_subalgoE3EjNS0_10empty_typeEbEEZZNS1_14partition_implILS8_3ELb0ES6_jNS0_17counting_iteratorIjlEEPS9_SE_NS0_5tupleIJPjSE_EEENSF_IJSE_SE_EEES9_SG_JZNS1_25segmented_radix_sort_implINS0_14default_configELb0EPKdPdPKlPlN2at6native12_GLOBAL__N_18offset_tEEE10hipError_tPvRmT1_PNSt15iterator_traitsISY_E10value_typeET2_T3_PNSZ_IS14_E10value_typeET4_jRbjT5_S1A_jjP12ihipStream_tbEUljE_EEESV_SW_SX_S14_S18_S1A_T6_T7_T9_mT8_S1C_bDpT10_ENKUlT_T0_E_clISt17integral_constantIbLb1EES1P_EEDaS1K_S1L_EUlS1K_E_NS1_11comp_targetILNS1_3genE5ELNS1_11target_archE942ELNS1_3gpuE9ELNS1_3repE0EEENS1_30default_config_static_selectorELNS0_4arch9wavefront6targetE1EEEvSY_.has_indirect_call, 0
	.section	.AMDGPU.csdata,"",@progbits
; Kernel info:
; codeLenInByte = 0
; TotalNumSgprs: 4
; NumVgprs: 0
; ScratchSize: 0
; MemoryBound: 0
; FloatMode: 240
; IeeeMode: 1
; LDSByteSize: 0 bytes/workgroup (compile time only)
; SGPRBlocks: 0
; VGPRBlocks: 0
; NumSGPRsForWavesPerEU: 4
; NumVGPRsForWavesPerEU: 1
; Occupancy: 10
; WaveLimiterHint : 0
; COMPUTE_PGM_RSRC2:SCRATCH_EN: 0
; COMPUTE_PGM_RSRC2:USER_SGPR: 6
; COMPUTE_PGM_RSRC2:TRAP_HANDLER: 0
; COMPUTE_PGM_RSRC2:TGID_X_EN: 1
; COMPUTE_PGM_RSRC2:TGID_Y_EN: 0
; COMPUTE_PGM_RSRC2:TGID_Z_EN: 0
; COMPUTE_PGM_RSRC2:TIDIG_COMP_CNT: 0
	.section	.text._ZN7rocprim17ROCPRIM_400000_NS6detail17trampoline_kernelINS0_13select_configILj256ELj13ELNS0_17block_load_methodE3ELS4_3ELS4_3ELNS0_20block_scan_algorithmE0ELj4294967295EEENS1_25partition_config_selectorILNS1_17partition_subalgoE3EjNS0_10empty_typeEbEEZZNS1_14partition_implILS8_3ELb0ES6_jNS0_17counting_iteratorIjlEEPS9_SE_NS0_5tupleIJPjSE_EEENSF_IJSE_SE_EEES9_SG_JZNS1_25segmented_radix_sort_implINS0_14default_configELb0EPKdPdPKlPlN2at6native12_GLOBAL__N_18offset_tEEE10hipError_tPvRmT1_PNSt15iterator_traitsISY_E10value_typeET2_T3_PNSZ_IS14_E10value_typeET4_jRbjT5_S1A_jjP12ihipStream_tbEUljE_EEESV_SW_SX_S14_S18_S1A_T6_T7_T9_mT8_S1C_bDpT10_ENKUlT_T0_E_clISt17integral_constantIbLb1EES1P_EEDaS1K_S1L_EUlS1K_E_NS1_11comp_targetILNS1_3genE4ELNS1_11target_archE910ELNS1_3gpuE8ELNS1_3repE0EEENS1_30default_config_static_selectorELNS0_4arch9wavefront6targetE1EEEvSY_,"axG",@progbits,_ZN7rocprim17ROCPRIM_400000_NS6detail17trampoline_kernelINS0_13select_configILj256ELj13ELNS0_17block_load_methodE3ELS4_3ELS4_3ELNS0_20block_scan_algorithmE0ELj4294967295EEENS1_25partition_config_selectorILNS1_17partition_subalgoE3EjNS0_10empty_typeEbEEZZNS1_14partition_implILS8_3ELb0ES6_jNS0_17counting_iteratorIjlEEPS9_SE_NS0_5tupleIJPjSE_EEENSF_IJSE_SE_EEES9_SG_JZNS1_25segmented_radix_sort_implINS0_14default_configELb0EPKdPdPKlPlN2at6native12_GLOBAL__N_18offset_tEEE10hipError_tPvRmT1_PNSt15iterator_traitsISY_E10value_typeET2_T3_PNSZ_IS14_E10value_typeET4_jRbjT5_S1A_jjP12ihipStream_tbEUljE_EEESV_SW_SX_S14_S18_S1A_T6_T7_T9_mT8_S1C_bDpT10_ENKUlT_T0_E_clISt17integral_constantIbLb1EES1P_EEDaS1K_S1L_EUlS1K_E_NS1_11comp_targetILNS1_3genE4ELNS1_11target_archE910ELNS1_3gpuE8ELNS1_3repE0EEENS1_30default_config_static_selectorELNS0_4arch9wavefront6targetE1EEEvSY_,comdat
	.globl	_ZN7rocprim17ROCPRIM_400000_NS6detail17trampoline_kernelINS0_13select_configILj256ELj13ELNS0_17block_load_methodE3ELS4_3ELS4_3ELNS0_20block_scan_algorithmE0ELj4294967295EEENS1_25partition_config_selectorILNS1_17partition_subalgoE3EjNS0_10empty_typeEbEEZZNS1_14partition_implILS8_3ELb0ES6_jNS0_17counting_iteratorIjlEEPS9_SE_NS0_5tupleIJPjSE_EEENSF_IJSE_SE_EEES9_SG_JZNS1_25segmented_radix_sort_implINS0_14default_configELb0EPKdPdPKlPlN2at6native12_GLOBAL__N_18offset_tEEE10hipError_tPvRmT1_PNSt15iterator_traitsISY_E10value_typeET2_T3_PNSZ_IS14_E10value_typeET4_jRbjT5_S1A_jjP12ihipStream_tbEUljE_EEESV_SW_SX_S14_S18_S1A_T6_T7_T9_mT8_S1C_bDpT10_ENKUlT_T0_E_clISt17integral_constantIbLb1EES1P_EEDaS1K_S1L_EUlS1K_E_NS1_11comp_targetILNS1_3genE4ELNS1_11target_archE910ELNS1_3gpuE8ELNS1_3repE0EEENS1_30default_config_static_selectorELNS0_4arch9wavefront6targetE1EEEvSY_ ; -- Begin function _ZN7rocprim17ROCPRIM_400000_NS6detail17trampoline_kernelINS0_13select_configILj256ELj13ELNS0_17block_load_methodE3ELS4_3ELS4_3ELNS0_20block_scan_algorithmE0ELj4294967295EEENS1_25partition_config_selectorILNS1_17partition_subalgoE3EjNS0_10empty_typeEbEEZZNS1_14partition_implILS8_3ELb0ES6_jNS0_17counting_iteratorIjlEEPS9_SE_NS0_5tupleIJPjSE_EEENSF_IJSE_SE_EEES9_SG_JZNS1_25segmented_radix_sort_implINS0_14default_configELb0EPKdPdPKlPlN2at6native12_GLOBAL__N_18offset_tEEE10hipError_tPvRmT1_PNSt15iterator_traitsISY_E10value_typeET2_T3_PNSZ_IS14_E10value_typeET4_jRbjT5_S1A_jjP12ihipStream_tbEUljE_EEESV_SW_SX_S14_S18_S1A_T6_T7_T9_mT8_S1C_bDpT10_ENKUlT_T0_E_clISt17integral_constantIbLb1EES1P_EEDaS1K_S1L_EUlS1K_E_NS1_11comp_targetILNS1_3genE4ELNS1_11target_archE910ELNS1_3gpuE8ELNS1_3repE0EEENS1_30default_config_static_selectorELNS0_4arch9wavefront6targetE1EEEvSY_
	.p2align	8
	.type	_ZN7rocprim17ROCPRIM_400000_NS6detail17trampoline_kernelINS0_13select_configILj256ELj13ELNS0_17block_load_methodE3ELS4_3ELS4_3ELNS0_20block_scan_algorithmE0ELj4294967295EEENS1_25partition_config_selectorILNS1_17partition_subalgoE3EjNS0_10empty_typeEbEEZZNS1_14partition_implILS8_3ELb0ES6_jNS0_17counting_iteratorIjlEEPS9_SE_NS0_5tupleIJPjSE_EEENSF_IJSE_SE_EEES9_SG_JZNS1_25segmented_radix_sort_implINS0_14default_configELb0EPKdPdPKlPlN2at6native12_GLOBAL__N_18offset_tEEE10hipError_tPvRmT1_PNSt15iterator_traitsISY_E10value_typeET2_T3_PNSZ_IS14_E10value_typeET4_jRbjT5_S1A_jjP12ihipStream_tbEUljE_EEESV_SW_SX_S14_S18_S1A_T6_T7_T9_mT8_S1C_bDpT10_ENKUlT_T0_E_clISt17integral_constantIbLb1EES1P_EEDaS1K_S1L_EUlS1K_E_NS1_11comp_targetILNS1_3genE4ELNS1_11target_archE910ELNS1_3gpuE8ELNS1_3repE0EEENS1_30default_config_static_selectorELNS0_4arch9wavefront6targetE1EEEvSY_,@function
_ZN7rocprim17ROCPRIM_400000_NS6detail17trampoline_kernelINS0_13select_configILj256ELj13ELNS0_17block_load_methodE3ELS4_3ELS4_3ELNS0_20block_scan_algorithmE0ELj4294967295EEENS1_25partition_config_selectorILNS1_17partition_subalgoE3EjNS0_10empty_typeEbEEZZNS1_14partition_implILS8_3ELb0ES6_jNS0_17counting_iteratorIjlEEPS9_SE_NS0_5tupleIJPjSE_EEENSF_IJSE_SE_EEES9_SG_JZNS1_25segmented_radix_sort_implINS0_14default_configELb0EPKdPdPKlPlN2at6native12_GLOBAL__N_18offset_tEEE10hipError_tPvRmT1_PNSt15iterator_traitsISY_E10value_typeET2_T3_PNSZ_IS14_E10value_typeET4_jRbjT5_S1A_jjP12ihipStream_tbEUljE_EEESV_SW_SX_S14_S18_S1A_T6_T7_T9_mT8_S1C_bDpT10_ENKUlT_T0_E_clISt17integral_constantIbLb1EES1P_EEDaS1K_S1L_EUlS1K_E_NS1_11comp_targetILNS1_3genE4ELNS1_11target_archE910ELNS1_3gpuE8ELNS1_3repE0EEENS1_30default_config_static_selectorELNS0_4arch9wavefront6targetE1EEEvSY_: ; @_ZN7rocprim17ROCPRIM_400000_NS6detail17trampoline_kernelINS0_13select_configILj256ELj13ELNS0_17block_load_methodE3ELS4_3ELS4_3ELNS0_20block_scan_algorithmE0ELj4294967295EEENS1_25partition_config_selectorILNS1_17partition_subalgoE3EjNS0_10empty_typeEbEEZZNS1_14partition_implILS8_3ELb0ES6_jNS0_17counting_iteratorIjlEEPS9_SE_NS0_5tupleIJPjSE_EEENSF_IJSE_SE_EEES9_SG_JZNS1_25segmented_radix_sort_implINS0_14default_configELb0EPKdPdPKlPlN2at6native12_GLOBAL__N_18offset_tEEE10hipError_tPvRmT1_PNSt15iterator_traitsISY_E10value_typeET2_T3_PNSZ_IS14_E10value_typeET4_jRbjT5_S1A_jjP12ihipStream_tbEUljE_EEESV_SW_SX_S14_S18_S1A_T6_T7_T9_mT8_S1C_bDpT10_ENKUlT_T0_E_clISt17integral_constantIbLb1EES1P_EEDaS1K_S1L_EUlS1K_E_NS1_11comp_targetILNS1_3genE4ELNS1_11target_archE910ELNS1_3gpuE8ELNS1_3repE0EEENS1_30default_config_static_selectorELNS0_4arch9wavefront6targetE1EEEvSY_
; %bb.0:
	.section	.rodata,"a",@progbits
	.p2align	6, 0x0
	.amdhsa_kernel _ZN7rocprim17ROCPRIM_400000_NS6detail17trampoline_kernelINS0_13select_configILj256ELj13ELNS0_17block_load_methodE3ELS4_3ELS4_3ELNS0_20block_scan_algorithmE0ELj4294967295EEENS1_25partition_config_selectorILNS1_17partition_subalgoE3EjNS0_10empty_typeEbEEZZNS1_14partition_implILS8_3ELb0ES6_jNS0_17counting_iteratorIjlEEPS9_SE_NS0_5tupleIJPjSE_EEENSF_IJSE_SE_EEES9_SG_JZNS1_25segmented_radix_sort_implINS0_14default_configELb0EPKdPdPKlPlN2at6native12_GLOBAL__N_18offset_tEEE10hipError_tPvRmT1_PNSt15iterator_traitsISY_E10value_typeET2_T3_PNSZ_IS14_E10value_typeET4_jRbjT5_S1A_jjP12ihipStream_tbEUljE_EEESV_SW_SX_S14_S18_S1A_T6_T7_T9_mT8_S1C_bDpT10_ENKUlT_T0_E_clISt17integral_constantIbLb1EES1P_EEDaS1K_S1L_EUlS1K_E_NS1_11comp_targetILNS1_3genE4ELNS1_11target_archE910ELNS1_3gpuE8ELNS1_3repE0EEENS1_30default_config_static_selectorELNS0_4arch9wavefront6targetE1EEEvSY_
		.amdhsa_group_segment_fixed_size 0
		.amdhsa_private_segment_fixed_size 0
		.amdhsa_kernarg_size 152
		.amdhsa_user_sgpr_count 6
		.amdhsa_user_sgpr_private_segment_buffer 1
		.amdhsa_user_sgpr_dispatch_ptr 0
		.amdhsa_user_sgpr_queue_ptr 0
		.amdhsa_user_sgpr_kernarg_segment_ptr 1
		.amdhsa_user_sgpr_dispatch_id 0
		.amdhsa_user_sgpr_flat_scratch_init 0
		.amdhsa_user_sgpr_private_segment_size 0
		.amdhsa_uses_dynamic_stack 0
		.amdhsa_system_sgpr_private_segment_wavefront_offset 0
		.amdhsa_system_sgpr_workgroup_id_x 1
		.amdhsa_system_sgpr_workgroup_id_y 0
		.amdhsa_system_sgpr_workgroup_id_z 0
		.amdhsa_system_sgpr_workgroup_info 0
		.amdhsa_system_vgpr_workitem_id 0
		.amdhsa_next_free_vgpr 1
		.amdhsa_next_free_sgpr 0
		.amdhsa_reserve_vcc 0
		.amdhsa_reserve_flat_scratch 0
		.amdhsa_float_round_mode_32 0
		.amdhsa_float_round_mode_16_64 0
		.amdhsa_float_denorm_mode_32 3
		.amdhsa_float_denorm_mode_16_64 3
		.amdhsa_dx10_clamp 1
		.amdhsa_ieee_mode 1
		.amdhsa_fp16_overflow 0
		.amdhsa_exception_fp_ieee_invalid_op 0
		.amdhsa_exception_fp_denorm_src 0
		.amdhsa_exception_fp_ieee_div_zero 0
		.amdhsa_exception_fp_ieee_overflow 0
		.amdhsa_exception_fp_ieee_underflow 0
		.amdhsa_exception_fp_ieee_inexact 0
		.amdhsa_exception_int_div_zero 0
	.end_amdhsa_kernel
	.section	.text._ZN7rocprim17ROCPRIM_400000_NS6detail17trampoline_kernelINS0_13select_configILj256ELj13ELNS0_17block_load_methodE3ELS4_3ELS4_3ELNS0_20block_scan_algorithmE0ELj4294967295EEENS1_25partition_config_selectorILNS1_17partition_subalgoE3EjNS0_10empty_typeEbEEZZNS1_14partition_implILS8_3ELb0ES6_jNS0_17counting_iteratorIjlEEPS9_SE_NS0_5tupleIJPjSE_EEENSF_IJSE_SE_EEES9_SG_JZNS1_25segmented_radix_sort_implINS0_14default_configELb0EPKdPdPKlPlN2at6native12_GLOBAL__N_18offset_tEEE10hipError_tPvRmT1_PNSt15iterator_traitsISY_E10value_typeET2_T3_PNSZ_IS14_E10value_typeET4_jRbjT5_S1A_jjP12ihipStream_tbEUljE_EEESV_SW_SX_S14_S18_S1A_T6_T7_T9_mT8_S1C_bDpT10_ENKUlT_T0_E_clISt17integral_constantIbLb1EES1P_EEDaS1K_S1L_EUlS1K_E_NS1_11comp_targetILNS1_3genE4ELNS1_11target_archE910ELNS1_3gpuE8ELNS1_3repE0EEENS1_30default_config_static_selectorELNS0_4arch9wavefront6targetE1EEEvSY_,"axG",@progbits,_ZN7rocprim17ROCPRIM_400000_NS6detail17trampoline_kernelINS0_13select_configILj256ELj13ELNS0_17block_load_methodE3ELS4_3ELS4_3ELNS0_20block_scan_algorithmE0ELj4294967295EEENS1_25partition_config_selectorILNS1_17partition_subalgoE3EjNS0_10empty_typeEbEEZZNS1_14partition_implILS8_3ELb0ES6_jNS0_17counting_iteratorIjlEEPS9_SE_NS0_5tupleIJPjSE_EEENSF_IJSE_SE_EEES9_SG_JZNS1_25segmented_radix_sort_implINS0_14default_configELb0EPKdPdPKlPlN2at6native12_GLOBAL__N_18offset_tEEE10hipError_tPvRmT1_PNSt15iterator_traitsISY_E10value_typeET2_T3_PNSZ_IS14_E10value_typeET4_jRbjT5_S1A_jjP12ihipStream_tbEUljE_EEESV_SW_SX_S14_S18_S1A_T6_T7_T9_mT8_S1C_bDpT10_ENKUlT_T0_E_clISt17integral_constantIbLb1EES1P_EEDaS1K_S1L_EUlS1K_E_NS1_11comp_targetILNS1_3genE4ELNS1_11target_archE910ELNS1_3gpuE8ELNS1_3repE0EEENS1_30default_config_static_selectorELNS0_4arch9wavefront6targetE1EEEvSY_,comdat
.Lfunc_end1199:
	.size	_ZN7rocprim17ROCPRIM_400000_NS6detail17trampoline_kernelINS0_13select_configILj256ELj13ELNS0_17block_load_methodE3ELS4_3ELS4_3ELNS0_20block_scan_algorithmE0ELj4294967295EEENS1_25partition_config_selectorILNS1_17partition_subalgoE3EjNS0_10empty_typeEbEEZZNS1_14partition_implILS8_3ELb0ES6_jNS0_17counting_iteratorIjlEEPS9_SE_NS0_5tupleIJPjSE_EEENSF_IJSE_SE_EEES9_SG_JZNS1_25segmented_radix_sort_implINS0_14default_configELb0EPKdPdPKlPlN2at6native12_GLOBAL__N_18offset_tEEE10hipError_tPvRmT1_PNSt15iterator_traitsISY_E10value_typeET2_T3_PNSZ_IS14_E10value_typeET4_jRbjT5_S1A_jjP12ihipStream_tbEUljE_EEESV_SW_SX_S14_S18_S1A_T6_T7_T9_mT8_S1C_bDpT10_ENKUlT_T0_E_clISt17integral_constantIbLb1EES1P_EEDaS1K_S1L_EUlS1K_E_NS1_11comp_targetILNS1_3genE4ELNS1_11target_archE910ELNS1_3gpuE8ELNS1_3repE0EEENS1_30default_config_static_selectorELNS0_4arch9wavefront6targetE1EEEvSY_, .Lfunc_end1199-_ZN7rocprim17ROCPRIM_400000_NS6detail17trampoline_kernelINS0_13select_configILj256ELj13ELNS0_17block_load_methodE3ELS4_3ELS4_3ELNS0_20block_scan_algorithmE0ELj4294967295EEENS1_25partition_config_selectorILNS1_17partition_subalgoE3EjNS0_10empty_typeEbEEZZNS1_14partition_implILS8_3ELb0ES6_jNS0_17counting_iteratorIjlEEPS9_SE_NS0_5tupleIJPjSE_EEENSF_IJSE_SE_EEES9_SG_JZNS1_25segmented_radix_sort_implINS0_14default_configELb0EPKdPdPKlPlN2at6native12_GLOBAL__N_18offset_tEEE10hipError_tPvRmT1_PNSt15iterator_traitsISY_E10value_typeET2_T3_PNSZ_IS14_E10value_typeET4_jRbjT5_S1A_jjP12ihipStream_tbEUljE_EEESV_SW_SX_S14_S18_S1A_T6_T7_T9_mT8_S1C_bDpT10_ENKUlT_T0_E_clISt17integral_constantIbLb1EES1P_EEDaS1K_S1L_EUlS1K_E_NS1_11comp_targetILNS1_3genE4ELNS1_11target_archE910ELNS1_3gpuE8ELNS1_3repE0EEENS1_30default_config_static_selectorELNS0_4arch9wavefront6targetE1EEEvSY_
                                        ; -- End function
	.set _ZN7rocprim17ROCPRIM_400000_NS6detail17trampoline_kernelINS0_13select_configILj256ELj13ELNS0_17block_load_methodE3ELS4_3ELS4_3ELNS0_20block_scan_algorithmE0ELj4294967295EEENS1_25partition_config_selectorILNS1_17partition_subalgoE3EjNS0_10empty_typeEbEEZZNS1_14partition_implILS8_3ELb0ES6_jNS0_17counting_iteratorIjlEEPS9_SE_NS0_5tupleIJPjSE_EEENSF_IJSE_SE_EEES9_SG_JZNS1_25segmented_radix_sort_implINS0_14default_configELb0EPKdPdPKlPlN2at6native12_GLOBAL__N_18offset_tEEE10hipError_tPvRmT1_PNSt15iterator_traitsISY_E10value_typeET2_T3_PNSZ_IS14_E10value_typeET4_jRbjT5_S1A_jjP12ihipStream_tbEUljE_EEESV_SW_SX_S14_S18_S1A_T6_T7_T9_mT8_S1C_bDpT10_ENKUlT_T0_E_clISt17integral_constantIbLb1EES1P_EEDaS1K_S1L_EUlS1K_E_NS1_11comp_targetILNS1_3genE4ELNS1_11target_archE910ELNS1_3gpuE8ELNS1_3repE0EEENS1_30default_config_static_selectorELNS0_4arch9wavefront6targetE1EEEvSY_.num_vgpr, 0
	.set _ZN7rocprim17ROCPRIM_400000_NS6detail17trampoline_kernelINS0_13select_configILj256ELj13ELNS0_17block_load_methodE3ELS4_3ELS4_3ELNS0_20block_scan_algorithmE0ELj4294967295EEENS1_25partition_config_selectorILNS1_17partition_subalgoE3EjNS0_10empty_typeEbEEZZNS1_14partition_implILS8_3ELb0ES6_jNS0_17counting_iteratorIjlEEPS9_SE_NS0_5tupleIJPjSE_EEENSF_IJSE_SE_EEES9_SG_JZNS1_25segmented_radix_sort_implINS0_14default_configELb0EPKdPdPKlPlN2at6native12_GLOBAL__N_18offset_tEEE10hipError_tPvRmT1_PNSt15iterator_traitsISY_E10value_typeET2_T3_PNSZ_IS14_E10value_typeET4_jRbjT5_S1A_jjP12ihipStream_tbEUljE_EEESV_SW_SX_S14_S18_S1A_T6_T7_T9_mT8_S1C_bDpT10_ENKUlT_T0_E_clISt17integral_constantIbLb1EES1P_EEDaS1K_S1L_EUlS1K_E_NS1_11comp_targetILNS1_3genE4ELNS1_11target_archE910ELNS1_3gpuE8ELNS1_3repE0EEENS1_30default_config_static_selectorELNS0_4arch9wavefront6targetE1EEEvSY_.num_agpr, 0
	.set _ZN7rocprim17ROCPRIM_400000_NS6detail17trampoline_kernelINS0_13select_configILj256ELj13ELNS0_17block_load_methodE3ELS4_3ELS4_3ELNS0_20block_scan_algorithmE0ELj4294967295EEENS1_25partition_config_selectorILNS1_17partition_subalgoE3EjNS0_10empty_typeEbEEZZNS1_14partition_implILS8_3ELb0ES6_jNS0_17counting_iteratorIjlEEPS9_SE_NS0_5tupleIJPjSE_EEENSF_IJSE_SE_EEES9_SG_JZNS1_25segmented_radix_sort_implINS0_14default_configELb0EPKdPdPKlPlN2at6native12_GLOBAL__N_18offset_tEEE10hipError_tPvRmT1_PNSt15iterator_traitsISY_E10value_typeET2_T3_PNSZ_IS14_E10value_typeET4_jRbjT5_S1A_jjP12ihipStream_tbEUljE_EEESV_SW_SX_S14_S18_S1A_T6_T7_T9_mT8_S1C_bDpT10_ENKUlT_T0_E_clISt17integral_constantIbLb1EES1P_EEDaS1K_S1L_EUlS1K_E_NS1_11comp_targetILNS1_3genE4ELNS1_11target_archE910ELNS1_3gpuE8ELNS1_3repE0EEENS1_30default_config_static_selectorELNS0_4arch9wavefront6targetE1EEEvSY_.numbered_sgpr, 0
	.set _ZN7rocprim17ROCPRIM_400000_NS6detail17trampoline_kernelINS0_13select_configILj256ELj13ELNS0_17block_load_methodE3ELS4_3ELS4_3ELNS0_20block_scan_algorithmE0ELj4294967295EEENS1_25partition_config_selectorILNS1_17partition_subalgoE3EjNS0_10empty_typeEbEEZZNS1_14partition_implILS8_3ELb0ES6_jNS0_17counting_iteratorIjlEEPS9_SE_NS0_5tupleIJPjSE_EEENSF_IJSE_SE_EEES9_SG_JZNS1_25segmented_radix_sort_implINS0_14default_configELb0EPKdPdPKlPlN2at6native12_GLOBAL__N_18offset_tEEE10hipError_tPvRmT1_PNSt15iterator_traitsISY_E10value_typeET2_T3_PNSZ_IS14_E10value_typeET4_jRbjT5_S1A_jjP12ihipStream_tbEUljE_EEESV_SW_SX_S14_S18_S1A_T6_T7_T9_mT8_S1C_bDpT10_ENKUlT_T0_E_clISt17integral_constantIbLb1EES1P_EEDaS1K_S1L_EUlS1K_E_NS1_11comp_targetILNS1_3genE4ELNS1_11target_archE910ELNS1_3gpuE8ELNS1_3repE0EEENS1_30default_config_static_selectorELNS0_4arch9wavefront6targetE1EEEvSY_.num_named_barrier, 0
	.set _ZN7rocprim17ROCPRIM_400000_NS6detail17trampoline_kernelINS0_13select_configILj256ELj13ELNS0_17block_load_methodE3ELS4_3ELS4_3ELNS0_20block_scan_algorithmE0ELj4294967295EEENS1_25partition_config_selectorILNS1_17partition_subalgoE3EjNS0_10empty_typeEbEEZZNS1_14partition_implILS8_3ELb0ES6_jNS0_17counting_iteratorIjlEEPS9_SE_NS0_5tupleIJPjSE_EEENSF_IJSE_SE_EEES9_SG_JZNS1_25segmented_radix_sort_implINS0_14default_configELb0EPKdPdPKlPlN2at6native12_GLOBAL__N_18offset_tEEE10hipError_tPvRmT1_PNSt15iterator_traitsISY_E10value_typeET2_T3_PNSZ_IS14_E10value_typeET4_jRbjT5_S1A_jjP12ihipStream_tbEUljE_EEESV_SW_SX_S14_S18_S1A_T6_T7_T9_mT8_S1C_bDpT10_ENKUlT_T0_E_clISt17integral_constantIbLb1EES1P_EEDaS1K_S1L_EUlS1K_E_NS1_11comp_targetILNS1_3genE4ELNS1_11target_archE910ELNS1_3gpuE8ELNS1_3repE0EEENS1_30default_config_static_selectorELNS0_4arch9wavefront6targetE1EEEvSY_.private_seg_size, 0
	.set _ZN7rocprim17ROCPRIM_400000_NS6detail17trampoline_kernelINS0_13select_configILj256ELj13ELNS0_17block_load_methodE3ELS4_3ELS4_3ELNS0_20block_scan_algorithmE0ELj4294967295EEENS1_25partition_config_selectorILNS1_17partition_subalgoE3EjNS0_10empty_typeEbEEZZNS1_14partition_implILS8_3ELb0ES6_jNS0_17counting_iteratorIjlEEPS9_SE_NS0_5tupleIJPjSE_EEENSF_IJSE_SE_EEES9_SG_JZNS1_25segmented_radix_sort_implINS0_14default_configELb0EPKdPdPKlPlN2at6native12_GLOBAL__N_18offset_tEEE10hipError_tPvRmT1_PNSt15iterator_traitsISY_E10value_typeET2_T3_PNSZ_IS14_E10value_typeET4_jRbjT5_S1A_jjP12ihipStream_tbEUljE_EEESV_SW_SX_S14_S18_S1A_T6_T7_T9_mT8_S1C_bDpT10_ENKUlT_T0_E_clISt17integral_constantIbLb1EES1P_EEDaS1K_S1L_EUlS1K_E_NS1_11comp_targetILNS1_3genE4ELNS1_11target_archE910ELNS1_3gpuE8ELNS1_3repE0EEENS1_30default_config_static_selectorELNS0_4arch9wavefront6targetE1EEEvSY_.uses_vcc, 0
	.set _ZN7rocprim17ROCPRIM_400000_NS6detail17trampoline_kernelINS0_13select_configILj256ELj13ELNS0_17block_load_methodE3ELS4_3ELS4_3ELNS0_20block_scan_algorithmE0ELj4294967295EEENS1_25partition_config_selectorILNS1_17partition_subalgoE3EjNS0_10empty_typeEbEEZZNS1_14partition_implILS8_3ELb0ES6_jNS0_17counting_iteratorIjlEEPS9_SE_NS0_5tupleIJPjSE_EEENSF_IJSE_SE_EEES9_SG_JZNS1_25segmented_radix_sort_implINS0_14default_configELb0EPKdPdPKlPlN2at6native12_GLOBAL__N_18offset_tEEE10hipError_tPvRmT1_PNSt15iterator_traitsISY_E10value_typeET2_T3_PNSZ_IS14_E10value_typeET4_jRbjT5_S1A_jjP12ihipStream_tbEUljE_EEESV_SW_SX_S14_S18_S1A_T6_T7_T9_mT8_S1C_bDpT10_ENKUlT_T0_E_clISt17integral_constantIbLb1EES1P_EEDaS1K_S1L_EUlS1K_E_NS1_11comp_targetILNS1_3genE4ELNS1_11target_archE910ELNS1_3gpuE8ELNS1_3repE0EEENS1_30default_config_static_selectorELNS0_4arch9wavefront6targetE1EEEvSY_.uses_flat_scratch, 0
	.set _ZN7rocprim17ROCPRIM_400000_NS6detail17trampoline_kernelINS0_13select_configILj256ELj13ELNS0_17block_load_methodE3ELS4_3ELS4_3ELNS0_20block_scan_algorithmE0ELj4294967295EEENS1_25partition_config_selectorILNS1_17partition_subalgoE3EjNS0_10empty_typeEbEEZZNS1_14partition_implILS8_3ELb0ES6_jNS0_17counting_iteratorIjlEEPS9_SE_NS0_5tupleIJPjSE_EEENSF_IJSE_SE_EEES9_SG_JZNS1_25segmented_radix_sort_implINS0_14default_configELb0EPKdPdPKlPlN2at6native12_GLOBAL__N_18offset_tEEE10hipError_tPvRmT1_PNSt15iterator_traitsISY_E10value_typeET2_T3_PNSZ_IS14_E10value_typeET4_jRbjT5_S1A_jjP12ihipStream_tbEUljE_EEESV_SW_SX_S14_S18_S1A_T6_T7_T9_mT8_S1C_bDpT10_ENKUlT_T0_E_clISt17integral_constantIbLb1EES1P_EEDaS1K_S1L_EUlS1K_E_NS1_11comp_targetILNS1_3genE4ELNS1_11target_archE910ELNS1_3gpuE8ELNS1_3repE0EEENS1_30default_config_static_selectorELNS0_4arch9wavefront6targetE1EEEvSY_.has_dyn_sized_stack, 0
	.set _ZN7rocprim17ROCPRIM_400000_NS6detail17trampoline_kernelINS0_13select_configILj256ELj13ELNS0_17block_load_methodE3ELS4_3ELS4_3ELNS0_20block_scan_algorithmE0ELj4294967295EEENS1_25partition_config_selectorILNS1_17partition_subalgoE3EjNS0_10empty_typeEbEEZZNS1_14partition_implILS8_3ELb0ES6_jNS0_17counting_iteratorIjlEEPS9_SE_NS0_5tupleIJPjSE_EEENSF_IJSE_SE_EEES9_SG_JZNS1_25segmented_radix_sort_implINS0_14default_configELb0EPKdPdPKlPlN2at6native12_GLOBAL__N_18offset_tEEE10hipError_tPvRmT1_PNSt15iterator_traitsISY_E10value_typeET2_T3_PNSZ_IS14_E10value_typeET4_jRbjT5_S1A_jjP12ihipStream_tbEUljE_EEESV_SW_SX_S14_S18_S1A_T6_T7_T9_mT8_S1C_bDpT10_ENKUlT_T0_E_clISt17integral_constantIbLb1EES1P_EEDaS1K_S1L_EUlS1K_E_NS1_11comp_targetILNS1_3genE4ELNS1_11target_archE910ELNS1_3gpuE8ELNS1_3repE0EEENS1_30default_config_static_selectorELNS0_4arch9wavefront6targetE1EEEvSY_.has_recursion, 0
	.set _ZN7rocprim17ROCPRIM_400000_NS6detail17trampoline_kernelINS0_13select_configILj256ELj13ELNS0_17block_load_methodE3ELS4_3ELS4_3ELNS0_20block_scan_algorithmE0ELj4294967295EEENS1_25partition_config_selectorILNS1_17partition_subalgoE3EjNS0_10empty_typeEbEEZZNS1_14partition_implILS8_3ELb0ES6_jNS0_17counting_iteratorIjlEEPS9_SE_NS0_5tupleIJPjSE_EEENSF_IJSE_SE_EEES9_SG_JZNS1_25segmented_radix_sort_implINS0_14default_configELb0EPKdPdPKlPlN2at6native12_GLOBAL__N_18offset_tEEE10hipError_tPvRmT1_PNSt15iterator_traitsISY_E10value_typeET2_T3_PNSZ_IS14_E10value_typeET4_jRbjT5_S1A_jjP12ihipStream_tbEUljE_EEESV_SW_SX_S14_S18_S1A_T6_T7_T9_mT8_S1C_bDpT10_ENKUlT_T0_E_clISt17integral_constantIbLb1EES1P_EEDaS1K_S1L_EUlS1K_E_NS1_11comp_targetILNS1_3genE4ELNS1_11target_archE910ELNS1_3gpuE8ELNS1_3repE0EEENS1_30default_config_static_selectorELNS0_4arch9wavefront6targetE1EEEvSY_.has_indirect_call, 0
	.section	.AMDGPU.csdata,"",@progbits
; Kernel info:
; codeLenInByte = 0
; TotalNumSgprs: 4
; NumVgprs: 0
; ScratchSize: 0
; MemoryBound: 0
; FloatMode: 240
; IeeeMode: 1
; LDSByteSize: 0 bytes/workgroup (compile time only)
; SGPRBlocks: 0
; VGPRBlocks: 0
; NumSGPRsForWavesPerEU: 4
; NumVGPRsForWavesPerEU: 1
; Occupancy: 10
; WaveLimiterHint : 0
; COMPUTE_PGM_RSRC2:SCRATCH_EN: 0
; COMPUTE_PGM_RSRC2:USER_SGPR: 6
; COMPUTE_PGM_RSRC2:TRAP_HANDLER: 0
; COMPUTE_PGM_RSRC2:TGID_X_EN: 1
; COMPUTE_PGM_RSRC2:TGID_Y_EN: 0
; COMPUTE_PGM_RSRC2:TGID_Z_EN: 0
; COMPUTE_PGM_RSRC2:TIDIG_COMP_CNT: 0
	.section	.text._ZN7rocprim17ROCPRIM_400000_NS6detail17trampoline_kernelINS0_13select_configILj256ELj13ELNS0_17block_load_methodE3ELS4_3ELS4_3ELNS0_20block_scan_algorithmE0ELj4294967295EEENS1_25partition_config_selectorILNS1_17partition_subalgoE3EjNS0_10empty_typeEbEEZZNS1_14partition_implILS8_3ELb0ES6_jNS0_17counting_iteratorIjlEEPS9_SE_NS0_5tupleIJPjSE_EEENSF_IJSE_SE_EEES9_SG_JZNS1_25segmented_radix_sort_implINS0_14default_configELb0EPKdPdPKlPlN2at6native12_GLOBAL__N_18offset_tEEE10hipError_tPvRmT1_PNSt15iterator_traitsISY_E10value_typeET2_T3_PNSZ_IS14_E10value_typeET4_jRbjT5_S1A_jjP12ihipStream_tbEUljE_EEESV_SW_SX_S14_S18_S1A_T6_T7_T9_mT8_S1C_bDpT10_ENKUlT_T0_E_clISt17integral_constantIbLb1EES1P_EEDaS1K_S1L_EUlS1K_E_NS1_11comp_targetILNS1_3genE3ELNS1_11target_archE908ELNS1_3gpuE7ELNS1_3repE0EEENS1_30default_config_static_selectorELNS0_4arch9wavefront6targetE1EEEvSY_,"axG",@progbits,_ZN7rocprim17ROCPRIM_400000_NS6detail17trampoline_kernelINS0_13select_configILj256ELj13ELNS0_17block_load_methodE3ELS4_3ELS4_3ELNS0_20block_scan_algorithmE0ELj4294967295EEENS1_25partition_config_selectorILNS1_17partition_subalgoE3EjNS0_10empty_typeEbEEZZNS1_14partition_implILS8_3ELb0ES6_jNS0_17counting_iteratorIjlEEPS9_SE_NS0_5tupleIJPjSE_EEENSF_IJSE_SE_EEES9_SG_JZNS1_25segmented_radix_sort_implINS0_14default_configELb0EPKdPdPKlPlN2at6native12_GLOBAL__N_18offset_tEEE10hipError_tPvRmT1_PNSt15iterator_traitsISY_E10value_typeET2_T3_PNSZ_IS14_E10value_typeET4_jRbjT5_S1A_jjP12ihipStream_tbEUljE_EEESV_SW_SX_S14_S18_S1A_T6_T7_T9_mT8_S1C_bDpT10_ENKUlT_T0_E_clISt17integral_constantIbLb1EES1P_EEDaS1K_S1L_EUlS1K_E_NS1_11comp_targetILNS1_3genE3ELNS1_11target_archE908ELNS1_3gpuE7ELNS1_3repE0EEENS1_30default_config_static_selectorELNS0_4arch9wavefront6targetE1EEEvSY_,comdat
	.globl	_ZN7rocprim17ROCPRIM_400000_NS6detail17trampoline_kernelINS0_13select_configILj256ELj13ELNS0_17block_load_methodE3ELS4_3ELS4_3ELNS0_20block_scan_algorithmE0ELj4294967295EEENS1_25partition_config_selectorILNS1_17partition_subalgoE3EjNS0_10empty_typeEbEEZZNS1_14partition_implILS8_3ELb0ES6_jNS0_17counting_iteratorIjlEEPS9_SE_NS0_5tupleIJPjSE_EEENSF_IJSE_SE_EEES9_SG_JZNS1_25segmented_radix_sort_implINS0_14default_configELb0EPKdPdPKlPlN2at6native12_GLOBAL__N_18offset_tEEE10hipError_tPvRmT1_PNSt15iterator_traitsISY_E10value_typeET2_T3_PNSZ_IS14_E10value_typeET4_jRbjT5_S1A_jjP12ihipStream_tbEUljE_EEESV_SW_SX_S14_S18_S1A_T6_T7_T9_mT8_S1C_bDpT10_ENKUlT_T0_E_clISt17integral_constantIbLb1EES1P_EEDaS1K_S1L_EUlS1K_E_NS1_11comp_targetILNS1_3genE3ELNS1_11target_archE908ELNS1_3gpuE7ELNS1_3repE0EEENS1_30default_config_static_selectorELNS0_4arch9wavefront6targetE1EEEvSY_ ; -- Begin function _ZN7rocprim17ROCPRIM_400000_NS6detail17trampoline_kernelINS0_13select_configILj256ELj13ELNS0_17block_load_methodE3ELS4_3ELS4_3ELNS0_20block_scan_algorithmE0ELj4294967295EEENS1_25partition_config_selectorILNS1_17partition_subalgoE3EjNS0_10empty_typeEbEEZZNS1_14partition_implILS8_3ELb0ES6_jNS0_17counting_iteratorIjlEEPS9_SE_NS0_5tupleIJPjSE_EEENSF_IJSE_SE_EEES9_SG_JZNS1_25segmented_radix_sort_implINS0_14default_configELb0EPKdPdPKlPlN2at6native12_GLOBAL__N_18offset_tEEE10hipError_tPvRmT1_PNSt15iterator_traitsISY_E10value_typeET2_T3_PNSZ_IS14_E10value_typeET4_jRbjT5_S1A_jjP12ihipStream_tbEUljE_EEESV_SW_SX_S14_S18_S1A_T6_T7_T9_mT8_S1C_bDpT10_ENKUlT_T0_E_clISt17integral_constantIbLb1EES1P_EEDaS1K_S1L_EUlS1K_E_NS1_11comp_targetILNS1_3genE3ELNS1_11target_archE908ELNS1_3gpuE7ELNS1_3repE0EEENS1_30default_config_static_selectorELNS0_4arch9wavefront6targetE1EEEvSY_
	.p2align	8
	.type	_ZN7rocprim17ROCPRIM_400000_NS6detail17trampoline_kernelINS0_13select_configILj256ELj13ELNS0_17block_load_methodE3ELS4_3ELS4_3ELNS0_20block_scan_algorithmE0ELj4294967295EEENS1_25partition_config_selectorILNS1_17partition_subalgoE3EjNS0_10empty_typeEbEEZZNS1_14partition_implILS8_3ELb0ES6_jNS0_17counting_iteratorIjlEEPS9_SE_NS0_5tupleIJPjSE_EEENSF_IJSE_SE_EEES9_SG_JZNS1_25segmented_radix_sort_implINS0_14default_configELb0EPKdPdPKlPlN2at6native12_GLOBAL__N_18offset_tEEE10hipError_tPvRmT1_PNSt15iterator_traitsISY_E10value_typeET2_T3_PNSZ_IS14_E10value_typeET4_jRbjT5_S1A_jjP12ihipStream_tbEUljE_EEESV_SW_SX_S14_S18_S1A_T6_T7_T9_mT8_S1C_bDpT10_ENKUlT_T0_E_clISt17integral_constantIbLb1EES1P_EEDaS1K_S1L_EUlS1K_E_NS1_11comp_targetILNS1_3genE3ELNS1_11target_archE908ELNS1_3gpuE7ELNS1_3repE0EEENS1_30default_config_static_selectorELNS0_4arch9wavefront6targetE1EEEvSY_,@function
_ZN7rocprim17ROCPRIM_400000_NS6detail17trampoline_kernelINS0_13select_configILj256ELj13ELNS0_17block_load_methodE3ELS4_3ELS4_3ELNS0_20block_scan_algorithmE0ELj4294967295EEENS1_25partition_config_selectorILNS1_17partition_subalgoE3EjNS0_10empty_typeEbEEZZNS1_14partition_implILS8_3ELb0ES6_jNS0_17counting_iteratorIjlEEPS9_SE_NS0_5tupleIJPjSE_EEENSF_IJSE_SE_EEES9_SG_JZNS1_25segmented_radix_sort_implINS0_14default_configELb0EPKdPdPKlPlN2at6native12_GLOBAL__N_18offset_tEEE10hipError_tPvRmT1_PNSt15iterator_traitsISY_E10value_typeET2_T3_PNSZ_IS14_E10value_typeET4_jRbjT5_S1A_jjP12ihipStream_tbEUljE_EEESV_SW_SX_S14_S18_S1A_T6_T7_T9_mT8_S1C_bDpT10_ENKUlT_T0_E_clISt17integral_constantIbLb1EES1P_EEDaS1K_S1L_EUlS1K_E_NS1_11comp_targetILNS1_3genE3ELNS1_11target_archE908ELNS1_3gpuE7ELNS1_3repE0EEENS1_30default_config_static_selectorELNS0_4arch9wavefront6targetE1EEEvSY_: ; @_ZN7rocprim17ROCPRIM_400000_NS6detail17trampoline_kernelINS0_13select_configILj256ELj13ELNS0_17block_load_methodE3ELS4_3ELS4_3ELNS0_20block_scan_algorithmE0ELj4294967295EEENS1_25partition_config_selectorILNS1_17partition_subalgoE3EjNS0_10empty_typeEbEEZZNS1_14partition_implILS8_3ELb0ES6_jNS0_17counting_iteratorIjlEEPS9_SE_NS0_5tupleIJPjSE_EEENSF_IJSE_SE_EEES9_SG_JZNS1_25segmented_radix_sort_implINS0_14default_configELb0EPKdPdPKlPlN2at6native12_GLOBAL__N_18offset_tEEE10hipError_tPvRmT1_PNSt15iterator_traitsISY_E10value_typeET2_T3_PNSZ_IS14_E10value_typeET4_jRbjT5_S1A_jjP12ihipStream_tbEUljE_EEESV_SW_SX_S14_S18_S1A_T6_T7_T9_mT8_S1C_bDpT10_ENKUlT_T0_E_clISt17integral_constantIbLb1EES1P_EEDaS1K_S1L_EUlS1K_E_NS1_11comp_targetILNS1_3genE3ELNS1_11target_archE908ELNS1_3gpuE7ELNS1_3repE0EEENS1_30default_config_static_selectorELNS0_4arch9wavefront6targetE1EEEvSY_
; %bb.0:
	.section	.rodata,"a",@progbits
	.p2align	6, 0x0
	.amdhsa_kernel _ZN7rocprim17ROCPRIM_400000_NS6detail17trampoline_kernelINS0_13select_configILj256ELj13ELNS0_17block_load_methodE3ELS4_3ELS4_3ELNS0_20block_scan_algorithmE0ELj4294967295EEENS1_25partition_config_selectorILNS1_17partition_subalgoE3EjNS0_10empty_typeEbEEZZNS1_14partition_implILS8_3ELb0ES6_jNS0_17counting_iteratorIjlEEPS9_SE_NS0_5tupleIJPjSE_EEENSF_IJSE_SE_EEES9_SG_JZNS1_25segmented_radix_sort_implINS0_14default_configELb0EPKdPdPKlPlN2at6native12_GLOBAL__N_18offset_tEEE10hipError_tPvRmT1_PNSt15iterator_traitsISY_E10value_typeET2_T3_PNSZ_IS14_E10value_typeET4_jRbjT5_S1A_jjP12ihipStream_tbEUljE_EEESV_SW_SX_S14_S18_S1A_T6_T7_T9_mT8_S1C_bDpT10_ENKUlT_T0_E_clISt17integral_constantIbLb1EES1P_EEDaS1K_S1L_EUlS1K_E_NS1_11comp_targetILNS1_3genE3ELNS1_11target_archE908ELNS1_3gpuE7ELNS1_3repE0EEENS1_30default_config_static_selectorELNS0_4arch9wavefront6targetE1EEEvSY_
		.amdhsa_group_segment_fixed_size 0
		.amdhsa_private_segment_fixed_size 0
		.amdhsa_kernarg_size 152
		.amdhsa_user_sgpr_count 6
		.amdhsa_user_sgpr_private_segment_buffer 1
		.amdhsa_user_sgpr_dispatch_ptr 0
		.amdhsa_user_sgpr_queue_ptr 0
		.amdhsa_user_sgpr_kernarg_segment_ptr 1
		.amdhsa_user_sgpr_dispatch_id 0
		.amdhsa_user_sgpr_flat_scratch_init 0
		.amdhsa_user_sgpr_private_segment_size 0
		.amdhsa_uses_dynamic_stack 0
		.amdhsa_system_sgpr_private_segment_wavefront_offset 0
		.amdhsa_system_sgpr_workgroup_id_x 1
		.amdhsa_system_sgpr_workgroup_id_y 0
		.amdhsa_system_sgpr_workgroup_id_z 0
		.amdhsa_system_sgpr_workgroup_info 0
		.amdhsa_system_vgpr_workitem_id 0
		.amdhsa_next_free_vgpr 1
		.amdhsa_next_free_sgpr 0
		.amdhsa_reserve_vcc 0
		.amdhsa_reserve_flat_scratch 0
		.amdhsa_float_round_mode_32 0
		.amdhsa_float_round_mode_16_64 0
		.amdhsa_float_denorm_mode_32 3
		.amdhsa_float_denorm_mode_16_64 3
		.amdhsa_dx10_clamp 1
		.amdhsa_ieee_mode 1
		.amdhsa_fp16_overflow 0
		.amdhsa_exception_fp_ieee_invalid_op 0
		.amdhsa_exception_fp_denorm_src 0
		.amdhsa_exception_fp_ieee_div_zero 0
		.amdhsa_exception_fp_ieee_overflow 0
		.amdhsa_exception_fp_ieee_underflow 0
		.amdhsa_exception_fp_ieee_inexact 0
		.amdhsa_exception_int_div_zero 0
	.end_amdhsa_kernel
	.section	.text._ZN7rocprim17ROCPRIM_400000_NS6detail17trampoline_kernelINS0_13select_configILj256ELj13ELNS0_17block_load_methodE3ELS4_3ELS4_3ELNS0_20block_scan_algorithmE0ELj4294967295EEENS1_25partition_config_selectorILNS1_17partition_subalgoE3EjNS0_10empty_typeEbEEZZNS1_14partition_implILS8_3ELb0ES6_jNS0_17counting_iteratorIjlEEPS9_SE_NS0_5tupleIJPjSE_EEENSF_IJSE_SE_EEES9_SG_JZNS1_25segmented_radix_sort_implINS0_14default_configELb0EPKdPdPKlPlN2at6native12_GLOBAL__N_18offset_tEEE10hipError_tPvRmT1_PNSt15iterator_traitsISY_E10value_typeET2_T3_PNSZ_IS14_E10value_typeET4_jRbjT5_S1A_jjP12ihipStream_tbEUljE_EEESV_SW_SX_S14_S18_S1A_T6_T7_T9_mT8_S1C_bDpT10_ENKUlT_T0_E_clISt17integral_constantIbLb1EES1P_EEDaS1K_S1L_EUlS1K_E_NS1_11comp_targetILNS1_3genE3ELNS1_11target_archE908ELNS1_3gpuE7ELNS1_3repE0EEENS1_30default_config_static_selectorELNS0_4arch9wavefront6targetE1EEEvSY_,"axG",@progbits,_ZN7rocprim17ROCPRIM_400000_NS6detail17trampoline_kernelINS0_13select_configILj256ELj13ELNS0_17block_load_methodE3ELS4_3ELS4_3ELNS0_20block_scan_algorithmE0ELj4294967295EEENS1_25partition_config_selectorILNS1_17partition_subalgoE3EjNS0_10empty_typeEbEEZZNS1_14partition_implILS8_3ELb0ES6_jNS0_17counting_iteratorIjlEEPS9_SE_NS0_5tupleIJPjSE_EEENSF_IJSE_SE_EEES9_SG_JZNS1_25segmented_radix_sort_implINS0_14default_configELb0EPKdPdPKlPlN2at6native12_GLOBAL__N_18offset_tEEE10hipError_tPvRmT1_PNSt15iterator_traitsISY_E10value_typeET2_T3_PNSZ_IS14_E10value_typeET4_jRbjT5_S1A_jjP12ihipStream_tbEUljE_EEESV_SW_SX_S14_S18_S1A_T6_T7_T9_mT8_S1C_bDpT10_ENKUlT_T0_E_clISt17integral_constantIbLb1EES1P_EEDaS1K_S1L_EUlS1K_E_NS1_11comp_targetILNS1_3genE3ELNS1_11target_archE908ELNS1_3gpuE7ELNS1_3repE0EEENS1_30default_config_static_selectorELNS0_4arch9wavefront6targetE1EEEvSY_,comdat
.Lfunc_end1200:
	.size	_ZN7rocprim17ROCPRIM_400000_NS6detail17trampoline_kernelINS0_13select_configILj256ELj13ELNS0_17block_load_methodE3ELS4_3ELS4_3ELNS0_20block_scan_algorithmE0ELj4294967295EEENS1_25partition_config_selectorILNS1_17partition_subalgoE3EjNS0_10empty_typeEbEEZZNS1_14partition_implILS8_3ELb0ES6_jNS0_17counting_iteratorIjlEEPS9_SE_NS0_5tupleIJPjSE_EEENSF_IJSE_SE_EEES9_SG_JZNS1_25segmented_radix_sort_implINS0_14default_configELb0EPKdPdPKlPlN2at6native12_GLOBAL__N_18offset_tEEE10hipError_tPvRmT1_PNSt15iterator_traitsISY_E10value_typeET2_T3_PNSZ_IS14_E10value_typeET4_jRbjT5_S1A_jjP12ihipStream_tbEUljE_EEESV_SW_SX_S14_S18_S1A_T6_T7_T9_mT8_S1C_bDpT10_ENKUlT_T0_E_clISt17integral_constantIbLb1EES1P_EEDaS1K_S1L_EUlS1K_E_NS1_11comp_targetILNS1_3genE3ELNS1_11target_archE908ELNS1_3gpuE7ELNS1_3repE0EEENS1_30default_config_static_selectorELNS0_4arch9wavefront6targetE1EEEvSY_, .Lfunc_end1200-_ZN7rocprim17ROCPRIM_400000_NS6detail17trampoline_kernelINS0_13select_configILj256ELj13ELNS0_17block_load_methodE3ELS4_3ELS4_3ELNS0_20block_scan_algorithmE0ELj4294967295EEENS1_25partition_config_selectorILNS1_17partition_subalgoE3EjNS0_10empty_typeEbEEZZNS1_14partition_implILS8_3ELb0ES6_jNS0_17counting_iteratorIjlEEPS9_SE_NS0_5tupleIJPjSE_EEENSF_IJSE_SE_EEES9_SG_JZNS1_25segmented_radix_sort_implINS0_14default_configELb0EPKdPdPKlPlN2at6native12_GLOBAL__N_18offset_tEEE10hipError_tPvRmT1_PNSt15iterator_traitsISY_E10value_typeET2_T3_PNSZ_IS14_E10value_typeET4_jRbjT5_S1A_jjP12ihipStream_tbEUljE_EEESV_SW_SX_S14_S18_S1A_T6_T7_T9_mT8_S1C_bDpT10_ENKUlT_T0_E_clISt17integral_constantIbLb1EES1P_EEDaS1K_S1L_EUlS1K_E_NS1_11comp_targetILNS1_3genE3ELNS1_11target_archE908ELNS1_3gpuE7ELNS1_3repE0EEENS1_30default_config_static_selectorELNS0_4arch9wavefront6targetE1EEEvSY_
                                        ; -- End function
	.set _ZN7rocprim17ROCPRIM_400000_NS6detail17trampoline_kernelINS0_13select_configILj256ELj13ELNS0_17block_load_methodE3ELS4_3ELS4_3ELNS0_20block_scan_algorithmE0ELj4294967295EEENS1_25partition_config_selectorILNS1_17partition_subalgoE3EjNS0_10empty_typeEbEEZZNS1_14partition_implILS8_3ELb0ES6_jNS0_17counting_iteratorIjlEEPS9_SE_NS0_5tupleIJPjSE_EEENSF_IJSE_SE_EEES9_SG_JZNS1_25segmented_radix_sort_implINS0_14default_configELb0EPKdPdPKlPlN2at6native12_GLOBAL__N_18offset_tEEE10hipError_tPvRmT1_PNSt15iterator_traitsISY_E10value_typeET2_T3_PNSZ_IS14_E10value_typeET4_jRbjT5_S1A_jjP12ihipStream_tbEUljE_EEESV_SW_SX_S14_S18_S1A_T6_T7_T9_mT8_S1C_bDpT10_ENKUlT_T0_E_clISt17integral_constantIbLb1EES1P_EEDaS1K_S1L_EUlS1K_E_NS1_11comp_targetILNS1_3genE3ELNS1_11target_archE908ELNS1_3gpuE7ELNS1_3repE0EEENS1_30default_config_static_selectorELNS0_4arch9wavefront6targetE1EEEvSY_.num_vgpr, 0
	.set _ZN7rocprim17ROCPRIM_400000_NS6detail17trampoline_kernelINS0_13select_configILj256ELj13ELNS0_17block_load_methodE3ELS4_3ELS4_3ELNS0_20block_scan_algorithmE0ELj4294967295EEENS1_25partition_config_selectorILNS1_17partition_subalgoE3EjNS0_10empty_typeEbEEZZNS1_14partition_implILS8_3ELb0ES6_jNS0_17counting_iteratorIjlEEPS9_SE_NS0_5tupleIJPjSE_EEENSF_IJSE_SE_EEES9_SG_JZNS1_25segmented_radix_sort_implINS0_14default_configELb0EPKdPdPKlPlN2at6native12_GLOBAL__N_18offset_tEEE10hipError_tPvRmT1_PNSt15iterator_traitsISY_E10value_typeET2_T3_PNSZ_IS14_E10value_typeET4_jRbjT5_S1A_jjP12ihipStream_tbEUljE_EEESV_SW_SX_S14_S18_S1A_T6_T7_T9_mT8_S1C_bDpT10_ENKUlT_T0_E_clISt17integral_constantIbLb1EES1P_EEDaS1K_S1L_EUlS1K_E_NS1_11comp_targetILNS1_3genE3ELNS1_11target_archE908ELNS1_3gpuE7ELNS1_3repE0EEENS1_30default_config_static_selectorELNS0_4arch9wavefront6targetE1EEEvSY_.num_agpr, 0
	.set _ZN7rocprim17ROCPRIM_400000_NS6detail17trampoline_kernelINS0_13select_configILj256ELj13ELNS0_17block_load_methodE3ELS4_3ELS4_3ELNS0_20block_scan_algorithmE0ELj4294967295EEENS1_25partition_config_selectorILNS1_17partition_subalgoE3EjNS0_10empty_typeEbEEZZNS1_14partition_implILS8_3ELb0ES6_jNS0_17counting_iteratorIjlEEPS9_SE_NS0_5tupleIJPjSE_EEENSF_IJSE_SE_EEES9_SG_JZNS1_25segmented_radix_sort_implINS0_14default_configELb0EPKdPdPKlPlN2at6native12_GLOBAL__N_18offset_tEEE10hipError_tPvRmT1_PNSt15iterator_traitsISY_E10value_typeET2_T3_PNSZ_IS14_E10value_typeET4_jRbjT5_S1A_jjP12ihipStream_tbEUljE_EEESV_SW_SX_S14_S18_S1A_T6_T7_T9_mT8_S1C_bDpT10_ENKUlT_T0_E_clISt17integral_constantIbLb1EES1P_EEDaS1K_S1L_EUlS1K_E_NS1_11comp_targetILNS1_3genE3ELNS1_11target_archE908ELNS1_3gpuE7ELNS1_3repE0EEENS1_30default_config_static_selectorELNS0_4arch9wavefront6targetE1EEEvSY_.numbered_sgpr, 0
	.set _ZN7rocprim17ROCPRIM_400000_NS6detail17trampoline_kernelINS0_13select_configILj256ELj13ELNS0_17block_load_methodE3ELS4_3ELS4_3ELNS0_20block_scan_algorithmE0ELj4294967295EEENS1_25partition_config_selectorILNS1_17partition_subalgoE3EjNS0_10empty_typeEbEEZZNS1_14partition_implILS8_3ELb0ES6_jNS0_17counting_iteratorIjlEEPS9_SE_NS0_5tupleIJPjSE_EEENSF_IJSE_SE_EEES9_SG_JZNS1_25segmented_radix_sort_implINS0_14default_configELb0EPKdPdPKlPlN2at6native12_GLOBAL__N_18offset_tEEE10hipError_tPvRmT1_PNSt15iterator_traitsISY_E10value_typeET2_T3_PNSZ_IS14_E10value_typeET4_jRbjT5_S1A_jjP12ihipStream_tbEUljE_EEESV_SW_SX_S14_S18_S1A_T6_T7_T9_mT8_S1C_bDpT10_ENKUlT_T0_E_clISt17integral_constantIbLb1EES1P_EEDaS1K_S1L_EUlS1K_E_NS1_11comp_targetILNS1_3genE3ELNS1_11target_archE908ELNS1_3gpuE7ELNS1_3repE0EEENS1_30default_config_static_selectorELNS0_4arch9wavefront6targetE1EEEvSY_.num_named_barrier, 0
	.set _ZN7rocprim17ROCPRIM_400000_NS6detail17trampoline_kernelINS0_13select_configILj256ELj13ELNS0_17block_load_methodE3ELS4_3ELS4_3ELNS0_20block_scan_algorithmE0ELj4294967295EEENS1_25partition_config_selectorILNS1_17partition_subalgoE3EjNS0_10empty_typeEbEEZZNS1_14partition_implILS8_3ELb0ES6_jNS0_17counting_iteratorIjlEEPS9_SE_NS0_5tupleIJPjSE_EEENSF_IJSE_SE_EEES9_SG_JZNS1_25segmented_radix_sort_implINS0_14default_configELb0EPKdPdPKlPlN2at6native12_GLOBAL__N_18offset_tEEE10hipError_tPvRmT1_PNSt15iterator_traitsISY_E10value_typeET2_T3_PNSZ_IS14_E10value_typeET4_jRbjT5_S1A_jjP12ihipStream_tbEUljE_EEESV_SW_SX_S14_S18_S1A_T6_T7_T9_mT8_S1C_bDpT10_ENKUlT_T0_E_clISt17integral_constantIbLb1EES1P_EEDaS1K_S1L_EUlS1K_E_NS1_11comp_targetILNS1_3genE3ELNS1_11target_archE908ELNS1_3gpuE7ELNS1_3repE0EEENS1_30default_config_static_selectorELNS0_4arch9wavefront6targetE1EEEvSY_.private_seg_size, 0
	.set _ZN7rocprim17ROCPRIM_400000_NS6detail17trampoline_kernelINS0_13select_configILj256ELj13ELNS0_17block_load_methodE3ELS4_3ELS4_3ELNS0_20block_scan_algorithmE0ELj4294967295EEENS1_25partition_config_selectorILNS1_17partition_subalgoE3EjNS0_10empty_typeEbEEZZNS1_14partition_implILS8_3ELb0ES6_jNS0_17counting_iteratorIjlEEPS9_SE_NS0_5tupleIJPjSE_EEENSF_IJSE_SE_EEES9_SG_JZNS1_25segmented_radix_sort_implINS0_14default_configELb0EPKdPdPKlPlN2at6native12_GLOBAL__N_18offset_tEEE10hipError_tPvRmT1_PNSt15iterator_traitsISY_E10value_typeET2_T3_PNSZ_IS14_E10value_typeET4_jRbjT5_S1A_jjP12ihipStream_tbEUljE_EEESV_SW_SX_S14_S18_S1A_T6_T7_T9_mT8_S1C_bDpT10_ENKUlT_T0_E_clISt17integral_constantIbLb1EES1P_EEDaS1K_S1L_EUlS1K_E_NS1_11comp_targetILNS1_3genE3ELNS1_11target_archE908ELNS1_3gpuE7ELNS1_3repE0EEENS1_30default_config_static_selectorELNS0_4arch9wavefront6targetE1EEEvSY_.uses_vcc, 0
	.set _ZN7rocprim17ROCPRIM_400000_NS6detail17trampoline_kernelINS0_13select_configILj256ELj13ELNS0_17block_load_methodE3ELS4_3ELS4_3ELNS0_20block_scan_algorithmE0ELj4294967295EEENS1_25partition_config_selectorILNS1_17partition_subalgoE3EjNS0_10empty_typeEbEEZZNS1_14partition_implILS8_3ELb0ES6_jNS0_17counting_iteratorIjlEEPS9_SE_NS0_5tupleIJPjSE_EEENSF_IJSE_SE_EEES9_SG_JZNS1_25segmented_radix_sort_implINS0_14default_configELb0EPKdPdPKlPlN2at6native12_GLOBAL__N_18offset_tEEE10hipError_tPvRmT1_PNSt15iterator_traitsISY_E10value_typeET2_T3_PNSZ_IS14_E10value_typeET4_jRbjT5_S1A_jjP12ihipStream_tbEUljE_EEESV_SW_SX_S14_S18_S1A_T6_T7_T9_mT8_S1C_bDpT10_ENKUlT_T0_E_clISt17integral_constantIbLb1EES1P_EEDaS1K_S1L_EUlS1K_E_NS1_11comp_targetILNS1_3genE3ELNS1_11target_archE908ELNS1_3gpuE7ELNS1_3repE0EEENS1_30default_config_static_selectorELNS0_4arch9wavefront6targetE1EEEvSY_.uses_flat_scratch, 0
	.set _ZN7rocprim17ROCPRIM_400000_NS6detail17trampoline_kernelINS0_13select_configILj256ELj13ELNS0_17block_load_methodE3ELS4_3ELS4_3ELNS0_20block_scan_algorithmE0ELj4294967295EEENS1_25partition_config_selectorILNS1_17partition_subalgoE3EjNS0_10empty_typeEbEEZZNS1_14partition_implILS8_3ELb0ES6_jNS0_17counting_iteratorIjlEEPS9_SE_NS0_5tupleIJPjSE_EEENSF_IJSE_SE_EEES9_SG_JZNS1_25segmented_radix_sort_implINS0_14default_configELb0EPKdPdPKlPlN2at6native12_GLOBAL__N_18offset_tEEE10hipError_tPvRmT1_PNSt15iterator_traitsISY_E10value_typeET2_T3_PNSZ_IS14_E10value_typeET4_jRbjT5_S1A_jjP12ihipStream_tbEUljE_EEESV_SW_SX_S14_S18_S1A_T6_T7_T9_mT8_S1C_bDpT10_ENKUlT_T0_E_clISt17integral_constantIbLb1EES1P_EEDaS1K_S1L_EUlS1K_E_NS1_11comp_targetILNS1_3genE3ELNS1_11target_archE908ELNS1_3gpuE7ELNS1_3repE0EEENS1_30default_config_static_selectorELNS0_4arch9wavefront6targetE1EEEvSY_.has_dyn_sized_stack, 0
	.set _ZN7rocprim17ROCPRIM_400000_NS6detail17trampoline_kernelINS0_13select_configILj256ELj13ELNS0_17block_load_methodE3ELS4_3ELS4_3ELNS0_20block_scan_algorithmE0ELj4294967295EEENS1_25partition_config_selectorILNS1_17partition_subalgoE3EjNS0_10empty_typeEbEEZZNS1_14partition_implILS8_3ELb0ES6_jNS0_17counting_iteratorIjlEEPS9_SE_NS0_5tupleIJPjSE_EEENSF_IJSE_SE_EEES9_SG_JZNS1_25segmented_radix_sort_implINS0_14default_configELb0EPKdPdPKlPlN2at6native12_GLOBAL__N_18offset_tEEE10hipError_tPvRmT1_PNSt15iterator_traitsISY_E10value_typeET2_T3_PNSZ_IS14_E10value_typeET4_jRbjT5_S1A_jjP12ihipStream_tbEUljE_EEESV_SW_SX_S14_S18_S1A_T6_T7_T9_mT8_S1C_bDpT10_ENKUlT_T0_E_clISt17integral_constantIbLb1EES1P_EEDaS1K_S1L_EUlS1K_E_NS1_11comp_targetILNS1_3genE3ELNS1_11target_archE908ELNS1_3gpuE7ELNS1_3repE0EEENS1_30default_config_static_selectorELNS0_4arch9wavefront6targetE1EEEvSY_.has_recursion, 0
	.set _ZN7rocprim17ROCPRIM_400000_NS6detail17trampoline_kernelINS0_13select_configILj256ELj13ELNS0_17block_load_methodE3ELS4_3ELS4_3ELNS0_20block_scan_algorithmE0ELj4294967295EEENS1_25partition_config_selectorILNS1_17partition_subalgoE3EjNS0_10empty_typeEbEEZZNS1_14partition_implILS8_3ELb0ES6_jNS0_17counting_iteratorIjlEEPS9_SE_NS0_5tupleIJPjSE_EEENSF_IJSE_SE_EEES9_SG_JZNS1_25segmented_radix_sort_implINS0_14default_configELb0EPKdPdPKlPlN2at6native12_GLOBAL__N_18offset_tEEE10hipError_tPvRmT1_PNSt15iterator_traitsISY_E10value_typeET2_T3_PNSZ_IS14_E10value_typeET4_jRbjT5_S1A_jjP12ihipStream_tbEUljE_EEESV_SW_SX_S14_S18_S1A_T6_T7_T9_mT8_S1C_bDpT10_ENKUlT_T0_E_clISt17integral_constantIbLb1EES1P_EEDaS1K_S1L_EUlS1K_E_NS1_11comp_targetILNS1_3genE3ELNS1_11target_archE908ELNS1_3gpuE7ELNS1_3repE0EEENS1_30default_config_static_selectorELNS0_4arch9wavefront6targetE1EEEvSY_.has_indirect_call, 0
	.section	.AMDGPU.csdata,"",@progbits
; Kernel info:
; codeLenInByte = 0
; TotalNumSgprs: 4
; NumVgprs: 0
; ScratchSize: 0
; MemoryBound: 0
; FloatMode: 240
; IeeeMode: 1
; LDSByteSize: 0 bytes/workgroup (compile time only)
; SGPRBlocks: 0
; VGPRBlocks: 0
; NumSGPRsForWavesPerEU: 4
; NumVGPRsForWavesPerEU: 1
; Occupancy: 10
; WaveLimiterHint : 0
; COMPUTE_PGM_RSRC2:SCRATCH_EN: 0
; COMPUTE_PGM_RSRC2:USER_SGPR: 6
; COMPUTE_PGM_RSRC2:TRAP_HANDLER: 0
; COMPUTE_PGM_RSRC2:TGID_X_EN: 1
; COMPUTE_PGM_RSRC2:TGID_Y_EN: 0
; COMPUTE_PGM_RSRC2:TGID_Z_EN: 0
; COMPUTE_PGM_RSRC2:TIDIG_COMP_CNT: 0
	.section	.text._ZN7rocprim17ROCPRIM_400000_NS6detail17trampoline_kernelINS0_13select_configILj256ELj13ELNS0_17block_load_methodE3ELS4_3ELS4_3ELNS0_20block_scan_algorithmE0ELj4294967295EEENS1_25partition_config_selectorILNS1_17partition_subalgoE3EjNS0_10empty_typeEbEEZZNS1_14partition_implILS8_3ELb0ES6_jNS0_17counting_iteratorIjlEEPS9_SE_NS0_5tupleIJPjSE_EEENSF_IJSE_SE_EEES9_SG_JZNS1_25segmented_radix_sort_implINS0_14default_configELb0EPKdPdPKlPlN2at6native12_GLOBAL__N_18offset_tEEE10hipError_tPvRmT1_PNSt15iterator_traitsISY_E10value_typeET2_T3_PNSZ_IS14_E10value_typeET4_jRbjT5_S1A_jjP12ihipStream_tbEUljE_EEESV_SW_SX_S14_S18_S1A_T6_T7_T9_mT8_S1C_bDpT10_ENKUlT_T0_E_clISt17integral_constantIbLb1EES1P_EEDaS1K_S1L_EUlS1K_E_NS1_11comp_targetILNS1_3genE2ELNS1_11target_archE906ELNS1_3gpuE6ELNS1_3repE0EEENS1_30default_config_static_selectorELNS0_4arch9wavefront6targetE1EEEvSY_,"axG",@progbits,_ZN7rocprim17ROCPRIM_400000_NS6detail17trampoline_kernelINS0_13select_configILj256ELj13ELNS0_17block_load_methodE3ELS4_3ELS4_3ELNS0_20block_scan_algorithmE0ELj4294967295EEENS1_25partition_config_selectorILNS1_17partition_subalgoE3EjNS0_10empty_typeEbEEZZNS1_14partition_implILS8_3ELb0ES6_jNS0_17counting_iteratorIjlEEPS9_SE_NS0_5tupleIJPjSE_EEENSF_IJSE_SE_EEES9_SG_JZNS1_25segmented_radix_sort_implINS0_14default_configELb0EPKdPdPKlPlN2at6native12_GLOBAL__N_18offset_tEEE10hipError_tPvRmT1_PNSt15iterator_traitsISY_E10value_typeET2_T3_PNSZ_IS14_E10value_typeET4_jRbjT5_S1A_jjP12ihipStream_tbEUljE_EEESV_SW_SX_S14_S18_S1A_T6_T7_T9_mT8_S1C_bDpT10_ENKUlT_T0_E_clISt17integral_constantIbLb1EES1P_EEDaS1K_S1L_EUlS1K_E_NS1_11comp_targetILNS1_3genE2ELNS1_11target_archE906ELNS1_3gpuE6ELNS1_3repE0EEENS1_30default_config_static_selectorELNS0_4arch9wavefront6targetE1EEEvSY_,comdat
	.globl	_ZN7rocprim17ROCPRIM_400000_NS6detail17trampoline_kernelINS0_13select_configILj256ELj13ELNS0_17block_load_methodE3ELS4_3ELS4_3ELNS0_20block_scan_algorithmE0ELj4294967295EEENS1_25partition_config_selectorILNS1_17partition_subalgoE3EjNS0_10empty_typeEbEEZZNS1_14partition_implILS8_3ELb0ES6_jNS0_17counting_iteratorIjlEEPS9_SE_NS0_5tupleIJPjSE_EEENSF_IJSE_SE_EEES9_SG_JZNS1_25segmented_radix_sort_implINS0_14default_configELb0EPKdPdPKlPlN2at6native12_GLOBAL__N_18offset_tEEE10hipError_tPvRmT1_PNSt15iterator_traitsISY_E10value_typeET2_T3_PNSZ_IS14_E10value_typeET4_jRbjT5_S1A_jjP12ihipStream_tbEUljE_EEESV_SW_SX_S14_S18_S1A_T6_T7_T9_mT8_S1C_bDpT10_ENKUlT_T0_E_clISt17integral_constantIbLb1EES1P_EEDaS1K_S1L_EUlS1K_E_NS1_11comp_targetILNS1_3genE2ELNS1_11target_archE906ELNS1_3gpuE6ELNS1_3repE0EEENS1_30default_config_static_selectorELNS0_4arch9wavefront6targetE1EEEvSY_ ; -- Begin function _ZN7rocprim17ROCPRIM_400000_NS6detail17trampoline_kernelINS0_13select_configILj256ELj13ELNS0_17block_load_methodE3ELS4_3ELS4_3ELNS0_20block_scan_algorithmE0ELj4294967295EEENS1_25partition_config_selectorILNS1_17partition_subalgoE3EjNS0_10empty_typeEbEEZZNS1_14partition_implILS8_3ELb0ES6_jNS0_17counting_iteratorIjlEEPS9_SE_NS0_5tupleIJPjSE_EEENSF_IJSE_SE_EEES9_SG_JZNS1_25segmented_radix_sort_implINS0_14default_configELb0EPKdPdPKlPlN2at6native12_GLOBAL__N_18offset_tEEE10hipError_tPvRmT1_PNSt15iterator_traitsISY_E10value_typeET2_T3_PNSZ_IS14_E10value_typeET4_jRbjT5_S1A_jjP12ihipStream_tbEUljE_EEESV_SW_SX_S14_S18_S1A_T6_T7_T9_mT8_S1C_bDpT10_ENKUlT_T0_E_clISt17integral_constantIbLb1EES1P_EEDaS1K_S1L_EUlS1K_E_NS1_11comp_targetILNS1_3genE2ELNS1_11target_archE906ELNS1_3gpuE6ELNS1_3repE0EEENS1_30default_config_static_selectorELNS0_4arch9wavefront6targetE1EEEvSY_
	.p2align	8
	.type	_ZN7rocprim17ROCPRIM_400000_NS6detail17trampoline_kernelINS0_13select_configILj256ELj13ELNS0_17block_load_methodE3ELS4_3ELS4_3ELNS0_20block_scan_algorithmE0ELj4294967295EEENS1_25partition_config_selectorILNS1_17partition_subalgoE3EjNS0_10empty_typeEbEEZZNS1_14partition_implILS8_3ELb0ES6_jNS0_17counting_iteratorIjlEEPS9_SE_NS0_5tupleIJPjSE_EEENSF_IJSE_SE_EEES9_SG_JZNS1_25segmented_radix_sort_implINS0_14default_configELb0EPKdPdPKlPlN2at6native12_GLOBAL__N_18offset_tEEE10hipError_tPvRmT1_PNSt15iterator_traitsISY_E10value_typeET2_T3_PNSZ_IS14_E10value_typeET4_jRbjT5_S1A_jjP12ihipStream_tbEUljE_EEESV_SW_SX_S14_S18_S1A_T6_T7_T9_mT8_S1C_bDpT10_ENKUlT_T0_E_clISt17integral_constantIbLb1EES1P_EEDaS1K_S1L_EUlS1K_E_NS1_11comp_targetILNS1_3genE2ELNS1_11target_archE906ELNS1_3gpuE6ELNS1_3repE0EEENS1_30default_config_static_selectorELNS0_4arch9wavefront6targetE1EEEvSY_,@function
_ZN7rocprim17ROCPRIM_400000_NS6detail17trampoline_kernelINS0_13select_configILj256ELj13ELNS0_17block_load_methodE3ELS4_3ELS4_3ELNS0_20block_scan_algorithmE0ELj4294967295EEENS1_25partition_config_selectorILNS1_17partition_subalgoE3EjNS0_10empty_typeEbEEZZNS1_14partition_implILS8_3ELb0ES6_jNS0_17counting_iteratorIjlEEPS9_SE_NS0_5tupleIJPjSE_EEENSF_IJSE_SE_EEES9_SG_JZNS1_25segmented_radix_sort_implINS0_14default_configELb0EPKdPdPKlPlN2at6native12_GLOBAL__N_18offset_tEEE10hipError_tPvRmT1_PNSt15iterator_traitsISY_E10value_typeET2_T3_PNSZ_IS14_E10value_typeET4_jRbjT5_S1A_jjP12ihipStream_tbEUljE_EEESV_SW_SX_S14_S18_S1A_T6_T7_T9_mT8_S1C_bDpT10_ENKUlT_T0_E_clISt17integral_constantIbLb1EES1P_EEDaS1K_S1L_EUlS1K_E_NS1_11comp_targetILNS1_3genE2ELNS1_11target_archE906ELNS1_3gpuE6ELNS1_3repE0EEENS1_30default_config_static_selectorELNS0_4arch9wavefront6targetE1EEEvSY_: ; @_ZN7rocprim17ROCPRIM_400000_NS6detail17trampoline_kernelINS0_13select_configILj256ELj13ELNS0_17block_load_methodE3ELS4_3ELS4_3ELNS0_20block_scan_algorithmE0ELj4294967295EEENS1_25partition_config_selectorILNS1_17partition_subalgoE3EjNS0_10empty_typeEbEEZZNS1_14partition_implILS8_3ELb0ES6_jNS0_17counting_iteratorIjlEEPS9_SE_NS0_5tupleIJPjSE_EEENSF_IJSE_SE_EEES9_SG_JZNS1_25segmented_radix_sort_implINS0_14default_configELb0EPKdPdPKlPlN2at6native12_GLOBAL__N_18offset_tEEE10hipError_tPvRmT1_PNSt15iterator_traitsISY_E10value_typeET2_T3_PNSZ_IS14_E10value_typeET4_jRbjT5_S1A_jjP12ihipStream_tbEUljE_EEESV_SW_SX_S14_S18_S1A_T6_T7_T9_mT8_S1C_bDpT10_ENKUlT_T0_E_clISt17integral_constantIbLb1EES1P_EEDaS1K_S1L_EUlS1K_E_NS1_11comp_targetILNS1_3genE2ELNS1_11target_archE906ELNS1_3gpuE6ELNS1_3repE0EEENS1_30default_config_static_selectorELNS0_4arch9wavefront6targetE1EEEvSY_
; %bb.0:
	s_endpgm
	.section	.rodata,"a",@progbits
	.p2align	6, 0x0
	.amdhsa_kernel _ZN7rocprim17ROCPRIM_400000_NS6detail17trampoline_kernelINS0_13select_configILj256ELj13ELNS0_17block_load_methodE3ELS4_3ELS4_3ELNS0_20block_scan_algorithmE0ELj4294967295EEENS1_25partition_config_selectorILNS1_17partition_subalgoE3EjNS0_10empty_typeEbEEZZNS1_14partition_implILS8_3ELb0ES6_jNS0_17counting_iteratorIjlEEPS9_SE_NS0_5tupleIJPjSE_EEENSF_IJSE_SE_EEES9_SG_JZNS1_25segmented_radix_sort_implINS0_14default_configELb0EPKdPdPKlPlN2at6native12_GLOBAL__N_18offset_tEEE10hipError_tPvRmT1_PNSt15iterator_traitsISY_E10value_typeET2_T3_PNSZ_IS14_E10value_typeET4_jRbjT5_S1A_jjP12ihipStream_tbEUljE_EEESV_SW_SX_S14_S18_S1A_T6_T7_T9_mT8_S1C_bDpT10_ENKUlT_T0_E_clISt17integral_constantIbLb1EES1P_EEDaS1K_S1L_EUlS1K_E_NS1_11comp_targetILNS1_3genE2ELNS1_11target_archE906ELNS1_3gpuE6ELNS1_3repE0EEENS1_30default_config_static_selectorELNS0_4arch9wavefront6targetE1EEEvSY_
		.amdhsa_group_segment_fixed_size 0
		.amdhsa_private_segment_fixed_size 0
		.amdhsa_kernarg_size 152
		.amdhsa_user_sgpr_count 6
		.amdhsa_user_sgpr_private_segment_buffer 1
		.amdhsa_user_sgpr_dispatch_ptr 0
		.amdhsa_user_sgpr_queue_ptr 0
		.amdhsa_user_sgpr_kernarg_segment_ptr 1
		.amdhsa_user_sgpr_dispatch_id 0
		.amdhsa_user_sgpr_flat_scratch_init 0
		.amdhsa_user_sgpr_private_segment_size 0
		.amdhsa_uses_dynamic_stack 0
		.amdhsa_system_sgpr_private_segment_wavefront_offset 0
		.amdhsa_system_sgpr_workgroup_id_x 1
		.amdhsa_system_sgpr_workgroup_id_y 0
		.amdhsa_system_sgpr_workgroup_id_z 0
		.amdhsa_system_sgpr_workgroup_info 0
		.amdhsa_system_vgpr_workitem_id 0
		.amdhsa_next_free_vgpr 1
		.amdhsa_next_free_sgpr 0
		.amdhsa_reserve_vcc 0
		.amdhsa_reserve_flat_scratch 0
		.amdhsa_float_round_mode_32 0
		.amdhsa_float_round_mode_16_64 0
		.amdhsa_float_denorm_mode_32 3
		.amdhsa_float_denorm_mode_16_64 3
		.amdhsa_dx10_clamp 1
		.amdhsa_ieee_mode 1
		.amdhsa_fp16_overflow 0
		.amdhsa_exception_fp_ieee_invalid_op 0
		.amdhsa_exception_fp_denorm_src 0
		.amdhsa_exception_fp_ieee_div_zero 0
		.amdhsa_exception_fp_ieee_overflow 0
		.amdhsa_exception_fp_ieee_underflow 0
		.amdhsa_exception_fp_ieee_inexact 0
		.amdhsa_exception_int_div_zero 0
	.end_amdhsa_kernel
	.section	.text._ZN7rocprim17ROCPRIM_400000_NS6detail17trampoline_kernelINS0_13select_configILj256ELj13ELNS0_17block_load_methodE3ELS4_3ELS4_3ELNS0_20block_scan_algorithmE0ELj4294967295EEENS1_25partition_config_selectorILNS1_17partition_subalgoE3EjNS0_10empty_typeEbEEZZNS1_14partition_implILS8_3ELb0ES6_jNS0_17counting_iteratorIjlEEPS9_SE_NS0_5tupleIJPjSE_EEENSF_IJSE_SE_EEES9_SG_JZNS1_25segmented_radix_sort_implINS0_14default_configELb0EPKdPdPKlPlN2at6native12_GLOBAL__N_18offset_tEEE10hipError_tPvRmT1_PNSt15iterator_traitsISY_E10value_typeET2_T3_PNSZ_IS14_E10value_typeET4_jRbjT5_S1A_jjP12ihipStream_tbEUljE_EEESV_SW_SX_S14_S18_S1A_T6_T7_T9_mT8_S1C_bDpT10_ENKUlT_T0_E_clISt17integral_constantIbLb1EES1P_EEDaS1K_S1L_EUlS1K_E_NS1_11comp_targetILNS1_3genE2ELNS1_11target_archE906ELNS1_3gpuE6ELNS1_3repE0EEENS1_30default_config_static_selectorELNS0_4arch9wavefront6targetE1EEEvSY_,"axG",@progbits,_ZN7rocprim17ROCPRIM_400000_NS6detail17trampoline_kernelINS0_13select_configILj256ELj13ELNS0_17block_load_methodE3ELS4_3ELS4_3ELNS0_20block_scan_algorithmE0ELj4294967295EEENS1_25partition_config_selectorILNS1_17partition_subalgoE3EjNS0_10empty_typeEbEEZZNS1_14partition_implILS8_3ELb0ES6_jNS0_17counting_iteratorIjlEEPS9_SE_NS0_5tupleIJPjSE_EEENSF_IJSE_SE_EEES9_SG_JZNS1_25segmented_radix_sort_implINS0_14default_configELb0EPKdPdPKlPlN2at6native12_GLOBAL__N_18offset_tEEE10hipError_tPvRmT1_PNSt15iterator_traitsISY_E10value_typeET2_T3_PNSZ_IS14_E10value_typeET4_jRbjT5_S1A_jjP12ihipStream_tbEUljE_EEESV_SW_SX_S14_S18_S1A_T6_T7_T9_mT8_S1C_bDpT10_ENKUlT_T0_E_clISt17integral_constantIbLb1EES1P_EEDaS1K_S1L_EUlS1K_E_NS1_11comp_targetILNS1_3genE2ELNS1_11target_archE906ELNS1_3gpuE6ELNS1_3repE0EEENS1_30default_config_static_selectorELNS0_4arch9wavefront6targetE1EEEvSY_,comdat
.Lfunc_end1201:
	.size	_ZN7rocprim17ROCPRIM_400000_NS6detail17trampoline_kernelINS0_13select_configILj256ELj13ELNS0_17block_load_methodE3ELS4_3ELS4_3ELNS0_20block_scan_algorithmE0ELj4294967295EEENS1_25partition_config_selectorILNS1_17partition_subalgoE3EjNS0_10empty_typeEbEEZZNS1_14partition_implILS8_3ELb0ES6_jNS0_17counting_iteratorIjlEEPS9_SE_NS0_5tupleIJPjSE_EEENSF_IJSE_SE_EEES9_SG_JZNS1_25segmented_radix_sort_implINS0_14default_configELb0EPKdPdPKlPlN2at6native12_GLOBAL__N_18offset_tEEE10hipError_tPvRmT1_PNSt15iterator_traitsISY_E10value_typeET2_T3_PNSZ_IS14_E10value_typeET4_jRbjT5_S1A_jjP12ihipStream_tbEUljE_EEESV_SW_SX_S14_S18_S1A_T6_T7_T9_mT8_S1C_bDpT10_ENKUlT_T0_E_clISt17integral_constantIbLb1EES1P_EEDaS1K_S1L_EUlS1K_E_NS1_11comp_targetILNS1_3genE2ELNS1_11target_archE906ELNS1_3gpuE6ELNS1_3repE0EEENS1_30default_config_static_selectorELNS0_4arch9wavefront6targetE1EEEvSY_, .Lfunc_end1201-_ZN7rocprim17ROCPRIM_400000_NS6detail17trampoline_kernelINS0_13select_configILj256ELj13ELNS0_17block_load_methodE3ELS4_3ELS4_3ELNS0_20block_scan_algorithmE0ELj4294967295EEENS1_25partition_config_selectorILNS1_17partition_subalgoE3EjNS0_10empty_typeEbEEZZNS1_14partition_implILS8_3ELb0ES6_jNS0_17counting_iteratorIjlEEPS9_SE_NS0_5tupleIJPjSE_EEENSF_IJSE_SE_EEES9_SG_JZNS1_25segmented_radix_sort_implINS0_14default_configELb0EPKdPdPKlPlN2at6native12_GLOBAL__N_18offset_tEEE10hipError_tPvRmT1_PNSt15iterator_traitsISY_E10value_typeET2_T3_PNSZ_IS14_E10value_typeET4_jRbjT5_S1A_jjP12ihipStream_tbEUljE_EEESV_SW_SX_S14_S18_S1A_T6_T7_T9_mT8_S1C_bDpT10_ENKUlT_T0_E_clISt17integral_constantIbLb1EES1P_EEDaS1K_S1L_EUlS1K_E_NS1_11comp_targetILNS1_3genE2ELNS1_11target_archE906ELNS1_3gpuE6ELNS1_3repE0EEENS1_30default_config_static_selectorELNS0_4arch9wavefront6targetE1EEEvSY_
                                        ; -- End function
	.set _ZN7rocprim17ROCPRIM_400000_NS6detail17trampoline_kernelINS0_13select_configILj256ELj13ELNS0_17block_load_methodE3ELS4_3ELS4_3ELNS0_20block_scan_algorithmE0ELj4294967295EEENS1_25partition_config_selectorILNS1_17partition_subalgoE3EjNS0_10empty_typeEbEEZZNS1_14partition_implILS8_3ELb0ES6_jNS0_17counting_iteratorIjlEEPS9_SE_NS0_5tupleIJPjSE_EEENSF_IJSE_SE_EEES9_SG_JZNS1_25segmented_radix_sort_implINS0_14default_configELb0EPKdPdPKlPlN2at6native12_GLOBAL__N_18offset_tEEE10hipError_tPvRmT1_PNSt15iterator_traitsISY_E10value_typeET2_T3_PNSZ_IS14_E10value_typeET4_jRbjT5_S1A_jjP12ihipStream_tbEUljE_EEESV_SW_SX_S14_S18_S1A_T6_T7_T9_mT8_S1C_bDpT10_ENKUlT_T0_E_clISt17integral_constantIbLb1EES1P_EEDaS1K_S1L_EUlS1K_E_NS1_11comp_targetILNS1_3genE2ELNS1_11target_archE906ELNS1_3gpuE6ELNS1_3repE0EEENS1_30default_config_static_selectorELNS0_4arch9wavefront6targetE1EEEvSY_.num_vgpr, 0
	.set _ZN7rocprim17ROCPRIM_400000_NS6detail17trampoline_kernelINS0_13select_configILj256ELj13ELNS0_17block_load_methodE3ELS4_3ELS4_3ELNS0_20block_scan_algorithmE0ELj4294967295EEENS1_25partition_config_selectorILNS1_17partition_subalgoE3EjNS0_10empty_typeEbEEZZNS1_14partition_implILS8_3ELb0ES6_jNS0_17counting_iteratorIjlEEPS9_SE_NS0_5tupleIJPjSE_EEENSF_IJSE_SE_EEES9_SG_JZNS1_25segmented_radix_sort_implINS0_14default_configELb0EPKdPdPKlPlN2at6native12_GLOBAL__N_18offset_tEEE10hipError_tPvRmT1_PNSt15iterator_traitsISY_E10value_typeET2_T3_PNSZ_IS14_E10value_typeET4_jRbjT5_S1A_jjP12ihipStream_tbEUljE_EEESV_SW_SX_S14_S18_S1A_T6_T7_T9_mT8_S1C_bDpT10_ENKUlT_T0_E_clISt17integral_constantIbLb1EES1P_EEDaS1K_S1L_EUlS1K_E_NS1_11comp_targetILNS1_3genE2ELNS1_11target_archE906ELNS1_3gpuE6ELNS1_3repE0EEENS1_30default_config_static_selectorELNS0_4arch9wavefront6targetE1EEEvSY_.num_agpr, 0
	.set _ZN7rocprim17ROCPRIM_400000_NS6detail17trampoline_kernelINS0_13select_configILj256ELj13ELNS0_17block_load_methodE3ELS4_3ELS4_3ELNS0_20block_scan_algorithmE0ELj4294967295EEENS1_25partition_config_selectorILNS1_17partition_subalgoE3EjNS0_10empty_typeEbEEZZNS1_14partition_implILS8_3ELb0ES6_jNS0_17counting_iteratorIjlEEPS9_SE_NS0_5tupleIJPjSE_EEENSF_IJSE_SE_EEES9_SG_JZNS1_25segmented_radix_sort_implINS0_14default_configELb0EPKdPdPKlPlN2at6native12_GLOBAL__N_18offset_tEEE10hipError_tPvRmT1_PNSt15iterator_traitsISY_E10value_typeET2_T3_PNSZ_IS14_E10value_typeET4_jRbjT5_S1A_jjP12ihipStream_tbEUljE_EEESV_SW_SX_S14_S18_S1A_T6_T7_T9_mT8_S1C_bDpT10_ENKUlT_T0_E_clISt17integral_constantIbLb1EES1P_EEDaS1K_S1L_EUlS1K_E_NS1_11comp_targetILNS1_3genE2ELNS1_11target_archE906ELNS1_3gpuE6ELNS1_3repE0EEENS1_30default_config_static_selectorELNS0_4arch9wavefront6targetE1EEEvSY_.numbered_sgpr, 0
	.set _ZN7rocprim17ROCPRIM_400000_NS6detail17trampoline_kernelINS0_13select_configILj256ELj13ELNS0_17block_load_methodE3ELS4_3ELS4_3ELNS0_20block_scan_algorithmE0ELj4294967295EEENS1_25partition_config_selectorILNS1_17partition_subalgoE3EjNS0_10empty_typeEbEEZZNS1_14partition_implILS8_3ELb0ES6_jNS0_17counting_iteratorIjlEEPS9_SE_NS0_5tupleIJPjSE_EEENSF_IJSE_SE_EEES9_SG_JZNS1_25segmented_radix_sort_implINS0_14default_configELb0EPKdPdPKlPlN2at6native12_GLOBAL__N_18offset_tEEE10hipError_tPvRmT1_PNSt15iterator_traitsISY_E10value_typeET2_T3_PNSZ_IS14_E10value_typeET4_jRbjT5_S1A_jjP12ihipStream_tbEUljE_EEESV_SW_SX_S14_S18_S1A_T6_T7_T9_mT8_S1C_bDpT10_ENKUlT_T0_E_clISt17integral_constantIbLb1EES1P_EEDaS1K_S1L_EUlS1K_E_NS1_11comp_targetILNS1_3genE2ELNS1_11target_archE906ELNS1_3gpuE6ELNS1_3repE0EEENS1_30default_config_static_selectorELNS0_4arch9wavefront6targetE1EEEvSY_.num_named_barrier, 0
	.set _ZN7rocprim17ROCPRIM_400000_NS6detail17trampoline_kernelINS0_13select_configILj256ELj13ELNS0_17block_load_methodE3ELS4_3ELS4_3ELNS0_20block_scan_algorithmE0ELj4294967295EEENS1_25partition_config_selectorILNS1_17partition_subalgoE3EjNS0_10empty_typeEbEEZZNS1_14partition_implILS8_3ELb0ES6_jNS0_17counting_iteratorIjlEEPS9_SE_NS0_5tupleIJPjSE_EEENSF_IJSE_SE_EEES9_SG_JZNS1_25segmented_radix_sort_implINS0_14default_configELb0EPKdPdPKlPlN2at6native12_GLOBAL__N_18offset_tEEE10hipError_tPvRmT1_PNSt15iterator_traitsISY_E10value_typeET2_T3_PNSZ_IS14_E10value_typeET4_jRbjT5_S1A_jjP12ihipStream_tbEUljE_EEESV_SW_SX_S14_S18_S1A_T6_T7_T9_mT8_S1C_bDpT10_ENKUlT_T0_E_clISt17integral_constantIbLb1EES1P_EEDaS1K_S1L_EUlS1K_E_NS1_11comp_targetILNS1_3genE2ELNS1_11target_archE906ELNS1_3gpuE6ELNS1_3repE0EEENS1_30default_config_static_selectorELNS0_4arch9wavefront6targetE1EEEvSY_.private_seg_size, 0
	.set _ZN7rocprim17ROCPRIM_400000_NS6detail17trampoline_kernelINS0_13select_configILj256ELj13ELNS0_17block_load_methodE3ELS4_3ELS4_3ELNS0_20block_scan_algorithmE0ELj4294967295EEENS1_25partition_config_selectorILNS1_17partition_subalgoE3EjNS0_10empty_typeEbEEZZNS1_14partition_implILS8_3ELb0ES6_jNS0_17counting_iteratorIjlEEPS9_SE_NS0_5tupleIJPjSE_EEENSF_IJSE_SE_EEES9_SG_JZNS1_25segmented_radix_sort_implINS0_14default_configELb0EPKdPdPKlPlN2at6native12_GLOBAL__N_18offset_tEEE10hipError_tPvRmT1_PNSt15iterator_traitsISY_E10value_typeET2_T3_PNSZ_IS14_E10value_typeET4_jRbjT5_S1A_jjP12ihipStream_tbEUljE_EEESV_SW_SX_S14_S18_S1A_T6_T7_T9_mT8_S1C_bDpT10_ENKUlT_T0_E_clISt17integral_constantIbLb1EES1P_EEDaS1K_S1L_EUlS1K_E_NS1_11comp_targetILNS1_3genE2ELNS1_11target_archE906ELNS1_3gpuE6ELNS1_3repE0EEENS1_30default_config_static_selectorELNS0_4arch9wavefront6targetE1EEEvSY_.uses_vcc, 0
	.set _ZN7rocprim17ROCPRIM_400000_NS6detail17trampoline_kernelINS0_13select_configILj256ELj13ELNS0_17block_load_methodE3ELS4_3ELS4_3ELNS0_20block_scan_algorithmE0ELj4294967295EEENS1_25partition_config_selectorILNS1_17partition_subalgoE3EjNS0_10empty_typeEbEEZZNS1_14partition_implILS8_3ELb0ES6_jNS0_17counting_iteratorIjlEEPS9_SE_NS0_5tupleIJPjSE_EEENSF_IJSE_SE_EEES9_SG_JZNS1_25segmented_radix_sort_implINS0_14default_configELb0EPKdPdPKlPlN2at6native12_GLOBAL__N_18offset_tEEE10hipError_tPvRmT1_PNSt15iterator_traitsISY_E10value_typeET2_T3_PNSZ_IS14_E10value_typeET4_jRbjT5_S1A_jjP12ihipStream_tbEUljE_EEESV_SW_SX_S14_S18_S1A_T6_T7_T9_mT8_S1C_bDpT10_ENKUlT_T0_E_clISt17integral_constantIbLb1EES1P_EEDaS1K_S1L_EUlS1K_E_NS1_11comp_targetILNS1_3genE2ELNS1_11target_archE906ELNS1_3gpuE6ELNS1_3repE0EEENS1_30default_config_static_selectorELNS0_4arch9wavefront6targetE1EEEvSY_.uses_flat_scratch, 0
	.set _ZN7rocprim17ROCPRIM_400000_NS6detail17trampoline_kernelINS0_13select_configILj256ELj13ELNS0_17block_load_methodE3ELS4_3ELS4_3ELNS0_20block_scan_algorithmE0ELj4294967295EEENS1_25partition_config_selectorILNS1_17partition_subalgoE3EjNS0_10empty_typeEbEEZZNS1_14partition_implILS8_3ELb0ES6_jNS0_17counting_iteratorIjlEEPS9_SE_NS0_5tupleIJPjSE_EEENSF_IJSE_SE_EEES9_SG_JZNS1_25segmented_radix_sort_implINS0_14default_configELb0EPKdPdPKlPlN2at6native12_GLOBAL__N_18offset_tEEE10hipError_tPvRmT1_PNSt15iterator_traitsISY_E10value_typeET2_T3_PNSZ_IS14_E10value_typeET4_jRbjT5_S1A_jjP12ihipStream_tbEUljE_EEESV_SW_SX_S14_S18_S1A_T6_T7_T9_mT8_S1C_bDpT10_ENKUlT_T0_E_clISt17integral_constantIbLb1EES1P_EEDaS1K_S1L_EUlS1K_E_NS1_11comp_targetILNS1_3genE2ELNS1_11target_archE906ELNS1_3gpuE6ELNS1_3repE0EEENS1_30default_config_static_selectorELNS0_4arch9wavefront6targetE1EEEvSY_.has_dyn_sized_stack, 0
	.set _ZN7rocprim17ROCPRIM_400000_NS6detail17trampoline_kernelINS0_13select_configILj256ELj13ELNS0_17block_load_methodE3ELS4_3ELS4_3ELNS0_20block_scan_algorithmE0ELj4294967295EEENS1_25partition_config_selectorILNS1_17partition_subalgoE3EjNS0_10empty_typeEbEEZZNS1_14partition_implILS8_3ELb0ES6_jNS0_17counting_iteratorIjlEEPS9_SE_NS0_5tupleIJPjSE_EEENSF_IJSE_SE_EEES9_SG_JZNS1_25segmented_radix_sort_implINS0_14default_configELb0EPKdPdPKlPlN2at6native12_GLOBAL__N_18offset_tEEE10hipError_tPvRmT1_PNSt15iterator_traitsISY_E10value_typeET2_T3_PNSZ_IS14_E10value_typeET4_jRbjT5_S1A_jjP12ihipStream_tbEUljE_EEESV_SW_SX_S14_S18_S1A_T6_T7_T9_mT8_S1C_bDpT10_ENKUlT_T0_E_clISt17integral_constantIbLb1EES1P_EEDaS1K_S1L_EUlS1K_E_NS1_11comp_targetILNS1_3genE2ELNS1_11target_archE906ELNS1_3gpuE6ELNS1_3repE0EEENS1_30default_config_static_selectorELNS0_4arch9wavefront6targetE1EEEvSY_.has_recursion, 0
	.set _ZN7rocprim17ROCPRIM_400000_NS6detail17trampoline_kernelINS0_13select_configILj256ELj13ELNS0_17block_load_methodE3ELS4_3ELS4_3ELNS0_20block_scan_algorithmE0ELj4294967295EEENS1_25partition_config_selectorILNS1_17partition_subalgoE3EjNS0_10empty_typeEbEEZZNS1_14partition_implILS8_3ELb0ES6_jNS0_17counting_iteratorIjlEEPS9_SE_NS0_5tupleIJPjSE_EEENSF_IJSE_SE_EEES9_SG_JZNS1_25segmented_radix_sort_implINS0_14default_configELb0EPKdPdPKlPlN2at6native12_GLOBAL__N_18offset_tEEE10hipError_tPvRmT1_PNSt15iterator_traitsISY_E10value_typeET2_T3_PNSZ_IS14_E10value_typeET4_jRbjT5_S1A_jjP12ihipStream_tbEUljE_EEESV_SW_SX_S14_S18_S1A_T6_T7_T9_mT8_S1C_bDpT10_ENKUlT_T0_E_clISt17integral_constantIbLb1EES1P_EEDaS1K_S1L_EUlS1K_E_NS1_11comp_targetILNS1_3genE2ELNS1_11target_archE906ELNS1_3gpuE6ELNS1_3repE0EEENS1_30default_config_static_selectorELNS0_4arch9wavefront6targetE1EEEvSY_.has_indirect_call, 0
	.section	.AMDGPU.csdata,"",@progbits
; Kernel info:
; codeLenInByte = 4
; TotalNumSgprs: 4
; NumVgprs: 0
; ScratchSize: 0
; MemoryBound: 0
; FloatMode: 240
; IeeeMode: 1
; LDSByteSize: 0 bytes/workgroup (compile time only)
; SGPRBlocks: 0
; VGPRBlocks: 0
; NumSGPRsForWavesPerEU: 4
; NumVGPRsForWavesPerEU: 1
; Occupancy: 10
; WaveLimiterHint : 0
; COMPUTE_PGM_RSRC2:SCRATCH_EN: 0
; COMPUTE_PGM_RSRC2:USER_SGPR: 6
; COMPUTE_PGM_RSRC2:TRAP_HANDLER: 0
; COMPUTE_PGM_RSRC2:TGID_X_EN: 1
; COMPUTE_PGM_RSRC2:TGID_Y_EN: 0
; COMPUTE_PGM_RSRC2:TGID_Z_EN: 0
; COMPUTE_PGM_RSRC2:TIDIG_COMP_CNT: 0
	.section	.text._ZN7rocprim17ROCPRIM_400000_NS6detail17trampoline_kernelINS0_13select_configILj256ELj13ELNS0_17block_load_methodE3ELS4_3ELS4_3ELNS0_20block_scan_algorithmE0ELj4294967295EEENS1_25partition_config_selectorILNS1_17partition_subalgoE3EjNS0_10empty_typeEbEEZZNS1_14partition_implILS8_3ELb0ES6_jNS0_17counting_iteratorIjlEEPS9_SE_NS0_5tupleIJPjSE_EEENSF_IJSE_SE_EEES9_SG_JZNS1_25segmented_radix_sort_implINS0_14default_configELb0EPKdPdPKlPlN2at6native12_GLOBAL__N_18offset_tEEE10hipError_tPvRmT1_PNSt15iterator_traitsISY_E10value_typeET2_T3_PNSZ_IS14_E10value_typeET4_jRbjT5_S1A_jjP12ihipStream_tbEUljE_EEESV_SW_SX_S14_S18_S1A_T6_T7_T9_mT8_S1C_bDpT10_ENKUlT_T0_E_clISt17integral_constantIbLb1EES1P_EEDaS1K_S1L_EUlS1K_E_NS1_11comp_targetILNS1_3genE10ELNS1_11target_archE1200ELNS1_3gpuE4ELNS1_3repE0EEENS1_30default_config_static_selectorELNS0_4arch9wavefront6targetE1EEEvSY_,"axG",@progbits,_ZN7rocprim17ROCPRIM_400000_NS6detail17trampoline_kernelINS0_13select_configILj256ELj13ELNS0_17block_load_methodE3ELS4_3ELS4_3ELNS0_20block_scan_algorithmE0ELj4294967295EEENS1_25partition_config_selectorILNS1_17partition_subalgoE3EjNS0_10empty_typeEbEEZZNS1_14partition_implILS8_3ELb0ES6_jNS0_17counting_iteratorIjlEEPS9_SE_NS0_5tupleIJPjSE_EEENSF_IJSE_SE_EEES9_SG_JZNS1_25segmented_radix_sort_implINS0_14default_configELb0EPKdPdPKlPlN2at6native12_GLOBAL__N_18offset_tEEE10hipError_tPvRmT1_PNSt15iterator_traitsISY_E10value_typeET2_T3_PNSZ_IS14_E10value_typeET4_jRbjT5_S1A_jjP12ihipStream_tbEUljE_EEESV_SW_SX_S14_S18_S1A_T6_T7_T9_mT8_S1C_bDpT10_ENKUlT_T0_E_clISt17integral_constantIbLb1EES1P_EEDaS1K_S1L_EUlS1K_E_NS1_11comp_targetILNS1_3genE10ELNS1_11target_archE1200ELNS1_3gpuE4ELNS1_3repE0EEENS1_30default_config_static_selectorELNS0_4arch9wavefront6targetE1EEEvSY_,comdat
	.globl	_ZN7rocprim17ROCPRIM_400000_NS6detail17trampoline_kernelINS0_13select_configILj256ELj13ELNS0_17block_load_methodE3ELS4_3ELS4_3ELNS0_20block_scan_algorithmE0ELj4294967295EEENS1_25partition_config_selectorILNS1_17partition_subalgoE3EjNS0_10empty_typeEbEEZZNS1_14partition_implILS8_3ELb0ES6_jNS0_17counting_iteratorIjlEEPS9_SE_NS0_5tupleIJPjSE_EEENSF_IJSE_SE_EEES9_SG_JZNS1_25segmented_radix_sort_implINS0_14default_configELb0EPKdPdPKlPlN2at6native12_GLOBAL__N_18offset_tEEE10hipError_tPvRmT1_PNSt15iterator_traitsISY_E10value_typeET2_T3_PNSZ_IS14_E10value_typeET4_jRbjT5_S1A_jjP12ihipStream_tbEUljE_EEESV_SW_SX_S14_S18_S1A_T6_T7_T9_mT8_S1C_bDpT10_ENKUlT_T0_E_clISt17integral_constantIbLb1EES1P_EEDaS1K_S1L_EUlS1K_E_NS1_11comp_targetILNS1_3genE10ELNS1_11target_archE1200ELNS1_3gpuE4ELNS1_3repE0EEENS1_30default_config_static_selectorELNS0_4arch9wavefront6targetE1EEEvSY_ ; -- Begin function _ZN7rocprim17ROCPRIM_400000_NS6detail17trampoline_kernelINS0_13select_configILj256ELj13ELNS0_17block_load_methodE3ELS4_3ELS4_3ELNS0_20block_scan_algorithmE0ELj4294967295EEENS1_25partition_config_selectorILNS1_17partition_subalgoE3EjNS0_10empty_typeEbEEZZNS1_14partition_implILS8_3ELb0ES6_jNS0_17counting_iteratorIjlEEPS9_SE_NS0_5tupleIJPjSE_EEENSF_IJSE_SE_EEES9_SG_JZNS1_25segmented_radix_sort_implINS0_14default_configELb0EPKdPdPKlPlN2at6native12_GLOBAL__N_18offset_tEEE10hipError_tPvRmT1_PNSt15iterator_traitsISY_E10value_typeET2_T3_PNSZ_IS14_E10value_typeET4_jRbjT5_S1A_jjP12ihipStream_tbEUljE_EEESV_SW_SX_S14_S18_S1A_T6_T7_T9_mT8_S1C_bDpT10_ENKUlT_T0_E_clISt17integral_constantIbLb1EES1P_EEDaS1K_S1L_EUlS1K_E_NS1_11comp_targetILNS1_3genE10ELNS1_11target_archE1200ELNS1_3gpuE4ELNS1_3repE0EEENS1_30default_config_static_selectorELNS0_4arch9wavefront6targetE1EEEvSY_
	.p2align	8
	.type	_ZN7rocprim17ROCPRIM_400000_NS6detail17trampoline_kernelINS0_13select_configILj256ELj13ELNS0_17block_load_methodE3ELS4_3ELS4_3ELNS0_20block_scan_algorithmE0ELj4294967295EEENS1_25partition_config_selectorILNS1_17partition_subalgoE3EjNS0_10empty_typeEbEEZZNS1_14partition_implILS8_3ELb0ES6_jNS0_17counting_iteratorIjlEEPS9_SE_NS0_5tupleIJPjSE_EEENSF_IJSE_SE_EEES9_SG_JZNS1_25segmented_radix_sort_implINS0_14default_configELb0EPKdPdPKlPlN2at6native12_GLOBAL__N_18offset_tEEE10hipError_tPvRmT1_PNSt15iterator_traitsISY_E10value_typeET2_T3_PNSZ_IS14_E10value_typeET4_jRbjT5_S1A_jjP12ihipStream_tbEUljE_EEESV_SW_SX_S14_S18_S1A_T6_T7_T9_mT8_S1C_bDpT10_ENKUlT_T0_E_clISt17integral_constantIbLb1EES1P_EEDaS1K_S1L_EUlS1K_E_NS1_11comp_targetILNS1_3genE10ELNS1_11target_archE1200ELNS1_3gpuE4ELNS1_3repE0EEENS1_30default_config_static_selectorELNS0_4arch9wavefront6targetE1EEEvSY_,@function
_ZN7rocprim17ROCPRIM_400000_NS6detail17trampoline_kernelINS0_13select_configILj256ELj13ELNS0_17block_load_methodE3ELS4_3ELS4_3ELNS0_20block_scan_algorithmE0ELj4294967295EEENS1_25partition_config_selectorILNS1_17partition_subalgoE3EjNS0_10empty_typeEbEEZZNS1_14partition_implILS8_3ELb0ES6_jNS0_17counting_iteratorIjlEEPS9_SE_NS0_5tupleIJPjSE_EEENSF_IJSE_SE_EEES9_SG_JZNS1_25segmented_radix_sort_implINS0_14default_configELb0EPKdPdPKlPlN2at6native12_GLOBAL__N_18offset_tEEE10hipError_tPvRmT1_PNSt15iterator_traitsISY_E10value_typeET2_T3_PNSZ_IS14_E10value_typeET4_jRbjT5_S1A_jjP12ihipStream_tbEUljE_EEESV_SW_SX_S14_S18_S1A_T6_T7_T9_mT8_S1C_bDpT10_ENKUlT_T0_E_clISt17integral_constantIbLb1EES1P_EEDaS1K_S1L_EUlS1K_E_NS1_11comp_targetILNS1_3genE10ELNS1_11target_archE1200ELNS1_3gpuE4ELNS1_3repE0EEENS1_30default_config_static_selectorELNS0_4arch9wavefront6targetE1EEEvSY_: ; @_ZN7rocprim17ROCPRIM_400000_NS6detail17trampoline_kernelINS0_13select_configILj256ELj13ELNS0_17block_load_methodE3ELS4_3ELS4_3ELNS0_20block_scan_algorithmE0ELj4294967295EEENS1_25partition_config_selectorILNS1_17partition_subalgoE3EjNS0_10empty_typeEbEEZZNS1_14partition_implILS8_3ELb0ES6_jNS0_17counting_iteratorIjlEEPS9_SE_NS0_5tupleIJPjSE_EEENSF_IJSE_SE_EEES9_SG_JZNS1_25segmented_radix_sort_implINS0_14default_configELb0EPKdPdPKlPlN2at6native12_GLOBAL__N_18offset_tEEE10hipError_tPvRmT1_PNSt15iterator_traitsISY_E10value_typeET2_T3_PNSZ_IS14_E10value_typeET4_jRbjT5_S1A_jjP12ihipStream_tbEUljE_EEESV_SW_SX_S14_S18_S1A_T6_T7_T9_mT8_S1C_bDpT10_ENKUlT_T0_E_clISt17integral_constantIbLb1EES1P_EEDaS1K_S1L_EUlS1K_E_NS1_11comp_targetILNS1_3genE10ELNS1_11target_archE1200ELNS1_3gpuE4ELNS1_3repE0EEENS1_30default_config_static_selectorELNS0_4arch9wavefront6targetE1EEEvSY_
; %bb.0:
	.section	.rodata,"a",@progbits
	.p2align	6, 0x0
	.amdhsa_kernel _ZN7rocprim17ROCPRIM_400000_NS6detail17trampoline_kernelINS0_13select_configILj256ELj13ELNS0_17block_load_methodE3ELS4_3ELS4_3ELNS0_20block_scan_algorithmE0ELj4294967295EEENS1_25partition_config_selectorILNS1_17partition_subalgoE3EjNS0_10empty_typeEbEEZZNS1_14partition_implILS8_3ELb0ES6_jNS0_17counting_iteratorIjlEEPS9_SE_NS0_5tupleIJPjSE_EEENSF_IJSE_SE_EEES9_SG_JZNS1_25segmented_radix_sort_implINS0_14default_configELb0EPKdPdPKlPlN2at6native12_GLOBAL__N_18offset_tEEE10hipError_tPvRmT1_PNSt15iterator_traitsISY_E10value_typeET2_T3_PNSZ_IS14_E10value_typeET4_jRbjT5_S1A_jjP12ihipStream_tbEUljE_EEESV_SW_SX_S14_S18_S1A_T6_T7_T9_mT8_S1C_bDpT10_ENKUlT_T0_E_clISt17integral_constantIbLb1EES1P_EEDaS1K_S1L_EUlS1K_E_NS1_11comp_targetILNS1_3genE10ELNS1_11target_archE1200ELNS1_3gpuE4ELNS1_3repE0EEENS1_30default_config_static_selectorELNS0_4arch9wavefront6targetE1EEEvSY_
		.amdhsa_group_segment_fixed_size 0
		.amdhsa_private_segment_fixed_size 0
		.amdhsa_kernarg_size 152
		.amdhsa_user_sgpr_count 6
		.amdhsa_user_sgpr_private_segment_buffer 1
		.amdhsa_user_sgpr_dispatch_ptr 0
		.amdhsa_user_sgpr_queue_ptr 0
		.amdhsa_user_sgpr_kernarg_segment_ptr 1
		.amdhsa_user_sgpr_dispatch_id 0
		.amdhsa_user_sgpr_flat_scratch_init 0
		.amdhsa_user_sgpr_private_segment_size 0
		.amdhsa_uses_dynamic_stack 0
		.amdhsa_system_sgpr_private_segment_wavefront_offset 0
		.amdhsa_system_sgpr_workgroup_id_x 1
		.amdhsa_system_sgpr_workgroup_id_y 0
		.amdhsa_system_sgpr_workgroup_id_z 0
		.amdhsa_system_sgpr_workgroup_info 0
		.amdhsa_system_vgpr_workitem_id 0
		.amdhsa_next_free_vgpr 1
		.amdhsa_next_free_sgpr 0
		.amdhsa_reserve_vcc 0
		.amdhsa_reserve_flat_scratch 0
		.amdhsa_float_round_mode_32 0
		.amdhsa_float_round_mode_16_64 0
		.amdhsa_float_denorm_mode_32 3
		.amdhsa_float_denorm_mode_16_64 3
		.amdhsa_dx10_clamp 1
		.amdhsa_ieee_mode 1
		.amdhsa_fp16_overflow 0
		.amdhsa_exception_fp_ieee_invalid_op 0
		.amdhsa_exception_fp_denorm_src 0
		.amdhsa_exception_fp_ieee_div_zero 0
		.amdhsa_exception_fp_ieee_overflow 0
		.amdhsa_exception_fp_ieee_underflow 0
		.amdhsa_exception_fp_ieee_inexact 0
		.amdhsa_exception_int_div_zero 0
	.end_amdhsa_kernel
	.section	.text._ZN7rocprim17ROCPRIM_400000_NS6detail17trampoline_kernelINS0_13select_configILj256ELj13ELNS0_17block_load_methodE3ELS4_3ELS4_3ELNS0_20block_scan_algorithmE0ELj4294967295EEENS1_25partition_config_selectorILNS1_17partition_subalgoE3EjNS0_10empty_typeEbEEZZNS1_14partition_implILS8_3ELb0ES6_jNS0_17counting_iteratorIjlEEPS9_SE_NS0_5tupleIJPjSE_EEENSF_IJSE_SE_EEES9_SG_JZNS1_25segmented_radix_sort_implINS0_14default_configELb0EPKdPdPKlPlN2at6native12_GLOBAL__N_18offset_tEEE10hipError_tPvRmT1_PNSt15iterator_traitsISY_E10value_typeET2_T3_PNSZ_IS14_E10value_typeET4_jRbjT5_S1A_jjP12ihipStream_tbEUljE_EEESV_SW_SX_S14_S18_S1A_T6_T7_T9_mT8_S1C_bDpT10_ENKUlT_T0_E_clISt17integral_constantIbLb1EES1P_EEDaS1K_S1L_EUlS1K_E_NS1_11comp_targetILNS1_3genE10ELNS1_11target_archE1200ELNS1_3gpuE4ELNS1_3repE0EEENS1_30default_config_static_selectorELNS0_4arch9wavefront6targetE1EEEvSY_,"axG",@progbits,_ZN7rocprim17ROCPRIM_400000_NS6detail17trampoline_kernelINS0_13select_configILj256ELj13ELNS0_17block_load_methodE3ELS4_3ELS4_3ELNS0_20block_scan_algorithmE0ELj4294967295EEENS1_25partition_config_selectorILNS1_17partition_subalgoE3EjNS0_10empty_typeEbEEZZNS1_14partition_implILS8_3ELb0ES6_jNS0_17counting_iteratorIjlEEPS9_SE_NS0_5tupleIJPjSE_EEENSF_IJSE_SE_EEES9_SG_JZNS1_25segmented_radix_sort_implINS0_14default_configELb0EPKdPdPKlPlN2at6native12_GLOBAL__N_18offset_tEEE10hipError_tPvRmT1_PNSt15iterator_traitsISY_E10value_typeET2_T3_PNSZ_IS14_E10value_typeET4_jRbjT5_S1A_jjP12ihipStream_tbEUljE_EEESV_SW_SX_S14_S18_S1A_T6_T7_T9_mT8_S1C_bDpT10_ENKUlT_T0_E_clISt17integral_constantIbLb1EES1P_EEDaS1K_S1L_EUlS1K_E_NS1_11comp_targetILNS1_3genE10ELNS1_11target_archE1200ELNS1_3gpuE4ELNS1_3repE0EEENS1_30default_config_static_selectorELNS0_4arch9wavefront6targetE1EEEvSY_,comdat
.Lfunc_end1202:
	.size	_ZN7rocprim17ROCPRIM_400000_NS6detail17trampoline_kernelINS0_13select_configILj256ELj13ELNS0_17block_load_methodE3ELS4_3ELS4_3ELNS0_20block_scan_algorithmE0ELj4294967295EEENS1_25partition_config_selectorILNS1_17partition_subalgoE3EjNS0_10empty_typeEbEEZZNS1_14partition_implILS8_3ELb0ES6_jNS0_17counting_iteratorIjlEEPS9_SE_NS0_5tupleIJPjSE_EEENSF_IJSE_SE_EEES9_SG_JZNS1_25segmented_radix_sort_implINS0_14default_configELb0EPKdPdPKlPlN2at6native12_GLOBAL__N_18offset_tEEE10hipError_tPvRmT1_PNSt15iterator_traitsISY_E10value_typeET2_T3_PNSZ_IS14_E10value_typeET4_jRbjT5_S1A_jjP12ihipStream_tbEUljE_EEESV_SW_SX_S14_S18_S1A_T6_T7_T9_mT8_S1C_bDpT10_ENKUlT_T0_E_clISt17integral_constantIbLb1EES1P_EEDaS1K_S1L_EUlS1K_E_NS1_11comp_targetILNS1_3genE10ELNS1_11target_archE1200ELNS1_3gpuE4ELNS1_3repE0EEENS1_30default_config_static_selectorELNS0_4arch9wavefront6targetE1EEEvSY_, .Lfunc_end1202-_ZN7rocprim17ROCPRIM_400000_NS6detail17trampoline_kernelINS0_13select_configILj256ELj13ELNS0_17block_load_methodE3ELS4_3ELS4_3ELNS0_20block_scan_algorithmE0ELj4294967295EEENS1_25partition_config_selectorILNS1_17partition_subalgoE3EjNS0_10empty_typeEbEEZZNS1_14partition_implILS8_3ELb0ES6_jNS0_17counting_iteratorIjlEEPS9_SE_NS0_5tupleIJPjSE_EEENSF_IJSE_SE_EEES9_SG_JZNS1_25segmented_radix_sort_implINS0_14default_configELb0EPKdPdPKlPlN2at6native12_GLOBAL__N_18offset_tEEE10hipError_tPvRmT1_PNSt15iterator_traitsISY_E10value_typeET2_T3_PNSZ_IS14_E10value_typeET4_jRbjT5_S1A_jjP12ihipStream_tbEUljE_EEESV_SW_SX_S14_S18_S1A_T6_T7_T9_mT8_S1C_bDpT10_ENKUlT_T0_E_clISt17integral_constantIbLb1EES1P_EEDaS1K_S1L_EUlS1K_E_NS1_11comp_targetILNS1_3genE10ELNS1_11target_archE1200ELNS1_3gpuE4ELNS1_3repE0EEENS1_30default_config_static_selectorELNS0_4arch9wavefront6targetE1EEEvSY_
                                        ; -- End function
	.set _ZN7rocprim17ROCPRIM_400000_NS6detail17trampoline_kernelINS0_13select_configILj256ELj13ELNS0_17block_load_methodE3ELS4_3ELS4_3ELNS0_20block_scan_algorithmE0ELj4294967295EEENS1_25partition_config_selectorILNS1_17partition_subalgoE3EjNS0_10empty_typeEbEEZZNS1_14partition_implILS8_3ELb0ES6_jNS0_17counting_iteratorIjlEEPS9_SE_NS0_5tupleIJPjSE_EEENSF_IJSE_SE_EEES9_SG_JZNS1_25segmented_radix_sort_implINS0_14default_configELb0EPKdPdPKlPlN2at6native12_GLOBAL__N_18offset_tEEE10hipError_tPvRmT1_PNSt15iterator_traitsISY_E10value_typeET2_T3_PNSZ_IS14_E10value_typeET4_jRbjT5_S1A_jjP12ihipStream_tbEUljE_EEESV_SW_SX_S14_S18_S1A_T6_T7_T9_mT8_S1C_bDpT10_ENKUlT_T0_E_clISt17integral_constantIbLb1EES1P_EEDaS1K_S1L_EUlS1K_E_NS1_11comp_targetILNS1_3genE10ELNS1_11target_archE1200ELNS1_3gpuE4ELNS1_3repE0EEENS1_30default_config_static_selectorELNS0_4arch9wavefront6targetE1EEEvSY_.num_vgpr, 0
	.set _ZN7rocprim17ROCPRIM_400000_NS6detail17trampoline_kernelINS0_13select_configILj256ELj13ELNS0_17block_load_methodE3ELS4_3ELS4_3ELNS0_20block_scan_algorithmE0ELj4294967295EEENS1_25partition_config_selectorILNS1_17partition_subalgoE3EjNS0_10empty_typeEbEEZZNS1_14partition_implILS8_3ELb0ES6_jNS0_17counting_iteratorIjlEEPS9_SE_NS0_5tupleIJPjSE_EEENSF_IJSE_SE_EEES9_SG_JZNS1_25segmented_radix_sort_implINS0_14default_configELb0EPKdPdPKlPlN2at6native12_GLOBAL__N_18offset_tEEE10hipError_tPvRmT1_PNSt15iterator_traitsISY_E10value_typeET2_T3_PNSZ_IS14_E10value_typeET4_jRbjT5_S1A_jjP12ihipStream_tbEUljE_EEESV_SW_SX_S14_S18_S1A_T6_T7_T9_mT8_S1C_bDpT10_ENKUlT_T0_E_clISt17integral_constantIbLb1EES1P_EEDaS1K_S1L_EUlS1K_E_NS1_11comp_targetILNS1_3genE10ELNS1_11target_archE1200ELNS1_3gpuE4ELNS1_3repE0EEENS1_30default_config_static_selectorELNS0_4arch9wavefront6targetE1EEEvSY_.num_agpr, 0
	.set _ZN7rocprim17ROCPRIM_400000_NS6detail17trampoline_kernelINS0_13select_configILj256ELj13ELNS0_17block_load_methodE3ELS4_3ELS4_3ELNS0_20block_scan_algorithmE0ELj4294967295EEENS1_25partition_config_selectorILNS1_17partition_subalgoE3EjNS0_10empty_typeEbEEZZNS1_14partition_implILS8_3ELb0ES6_jNS0_17counting_iteratorIjlEEPS9_SE_NS0_5tupleIJPjSE_EEENSF_IJSE_SE_EEES9_SG_JZNS1_25segmented_radix_sort_implINS0_14default_configELb0EPKdPdPKlPlN2at6native12_GLOBAL__N_18offset_tEEE10hipError_tPvRmT1_PNSt15iterator_traitsISY_E10value_typeET2_T3_PNSZ_IS14_E10value_typeET4_jRbjT5_S1A_jjP12ihipStream_tbEUljE_EEESV_SW_SX_S14_S18_S1A_T6_T7_T9_mT8_S1C_bDpT10_ENKUlT_T0_E_clISt17integral_constantIbLb1EES1P_EEDaS1K_S1L_EUlS1K_E_NS1_11comp_targetILNS1_3genE10ELNS1_11target_archE1200ELNS1_3gpuE4ELNS1_3repE0EEENS1_30default_config_static_selectorELNS0_4arch9wavefront6targetE1EEEvSY_.numbered_sgpr, 0
	.set _ZN7rocprim17ROCPRIM_400000_NS6detail17trampoline_kernelINS0_13select_configILj256ELj13ELNS0_17block_load_methodE3ELS4_3ELS4_3ELNS0_20block_scan_algorithmE0ELj4294967295EEENS1_25partition_config_selectorILNS1_17partition_subalgoE3EjNS0_10empty_typeEbEEZZNS1_14partition_implILS8_3ELb0ES6_jNS0_17counting_iteratorIjlEEPS9_SE_NS0_5tupleIJPjSE_EEENSF_IJSE_SE_EEES9_SG_JZNS1_25segmented_radix_sort_implINS0_14default_configELb0EPKdPdPKlPlN2at6native12_GLOBAL__N_18offset_tEEE10hipError_tPvRmT1_PNSt15iterator_traitsISY_E10value_typeET2_T3_PNSZ_IS14_E10value_typeET4_jRbjT5_S1A_jjP12ihipStream_tbEUljE_EEESV_SW_SX_S14_S18_S1A_T6_T7_T9_mT8_S1C_bDpT10_ENKUlT_T0_E_clISt17integral_constantIbLb1EES1P_EEDaS1K_S1L_EUlS1K_E_NS1_11comp_targetILNS1_3genE10ELNS1_11target_archE1200ELNS1_3gpuE4ELNS1_3repE0EEENS1_30default_config_static_selectorELNS0_4arch9wavefront6targetE1EEEvSY_.num_named_barrier, 0
	.set _ZN7rocprim17ROCPRIM_400000_NS6detail17trampoline_kernelINS0_13select_configILj256ELj13ELNS0_17block_load_methodE3ELS4_3ELS4_3ELNS0_20block_scan_algorithmE0ELj4294967295EEENS1_25partition_config_selectorILNS1_17partition_subalgoE3EjNS0_10empty_typeEbEEZZNS1_14partition_implILS8_3ELb0ES6_jNS0_17counting_iteratorIjlEEPS9_SE_NS0_5tupleIJPjSE_EEENSF_IJSE_SE_EEES9_SG_JZNS1_25segmented_radix_sort_implINS0_14default_configELb0EPKdPdPKlPlN2at6native12_GLOBAL__N_18offset_tEEE10hipError_tPvRmT1_PNSt15iterator_traitsISY_E10value_typeET2_T3_PNSZ_IS14_E10value_typeET4_jRbjT5_S1A_jjP12ihipStream_tbEUljE_EEESV_SW_SX_S14_S18_S1A_T6_T7_T9_mT8_S1C_bDpT10_ENKUlT_T0_E_clISt17integral_constantIbLb1EES1P_EEDaS1K_S1L_EUlS1K_E_NS1_11comp_targetILNS1_3genE10ELNS1_11target_archE1200ELNS1_3gpuE4ELNS1_3repE0EEENS1_30default_config_static_selectorELNS0_4arch9wavefront6targetE1EEEvSY_.private_seg_size, 0
	.set _ZN7rocprim17ROCPRIM_400000_NS6detail17trampoline_kernelINS0_13select_configILj256ELj13ELNS0_17block_load_methodE3ELS4_3ELS4_3ELNS0_20block_scan_algorithmE0ELj4294967295EEENS1_25partition_config_selectorILNS1_17partition_subalgoE3EjNS0_10empty_typeEbEEZZNS1_14partition_implILS8_3ELb0ES6_jNS0_17counting_iteratorIjlEEPS9_SE_NS0_5tupleIJPjSE_EEENSF_IJSE_SE_EEES9_SG_JZNS1_25segmented_radix_sort_implINS0_14default_configELb0EPKdPdPKlPlN2at6native12_GLOBAL__N_18offset_tEEE10hipError_tPvRmT1_PNSt15iterator_traitsISY_E10value_typeET2_T3_PNSZ_IS14_E10value_typeET4_jRbjT5_S1A_jjP12ihipStream_tbEUljE_EEESV_SW_SX_S14_S18_S1A_T6_T7_T9_mT8_S1C_bDpT10_ENKUlT_T0_E_clISt17integral_constantIbLb1EES1P_EEDaS1K_S1L_EUlS1K_E_NS1_11comp_targetILNS1_3genE10ELNS1_11target_archE1200ELNS1_3gpuE4ELNS1_3repE0EEENS1_30default_config_static_selectorELNS0_4arch9wavefront6targetE1EEEvSY_.uses_vcc, 0
	.set _ZN7rocprim17ROCPRIM_400000_NS6detail17trampoline_kernelINS0_13select_configILj256ELj13ELNS0_17block_load_methodE3ELS4_3ELS4_3ELNS0_20block_scan_algorithmE0ELj4294967295EEENS1_25partition_config_selectorILNS1_17partition_subalgoE3EjNS0_10empty_typeEbEEZZNS1_14partition_implILS8_3ELb0ES6_jNS0_17counting_iteratorIjlEEPS9_SE_NS0_5tupleIJPjSE_EEENSF_IJSE_SE_EEES9_SG_JZNS1_25segmented_radix_sort_implINS0_14default_configELb0EPKdPdPKlPlN2at6native12_GLOBAL__N_18offset_tEEE10hipError_tPvRmT1_PNSt15iterator_traitsISY_E10value_typeET2_T3_PNSZ_IS14_E10value_typeET4_jRbjT5_S1A_jjP12ihipStream_tbEUljE_EEESV_SW_SX_S14_S18_S1A_T6_T7_T9_mT8_S1C_bDpT10_ENKUlT_T0_E_clISt17integral_constantIbLb1EES1P_EEDaS1K_S1L_EUlS1K_E_NS1_11comp_targetILNS1_3genE10ELNS1_11target_archE1200ELNS1_3gpuE4ELNS1_3repE0EEENS1_30default_config_static_selectorELNS0_4arch9wavefront6targetE1EEEvSY_.uses_flat_scratch, 0
	.set _ZN7rocprim17ROCPRIM_400000_NS6detail17trampoline_kernelINS0_13select_configILj256ELj13ELNS0_17block_load_methodE3ELS4_3ELS4_3ELNS0_20block_scan_algorithmE0ELj4294967295EEENS1_25partition_config_selectorILNS1_17partition_subalgoE3EjNS0_10empty_typeEbEEZZNS1_14partition_implILS8_3ELb0ES6_jNS0_17counting_iteratorIjlEEPS9_SE_NS0_5tupleIJPjSE_EEENSF_IJSE_SE_EEES9_SG_JZNS1_25segmented_radix_sort_implINS0_14default_configELb0EPKdPdPKlPlN2at6native12_GLOBAL__N_18offset_tEEE10hipError_tPvRmT1_PNSt15iterator_traitsISY_E10value_typeET2_T3_PNSZ_IS14_E10value_typeET4_jRbjT5_S1A_jjP12ihipStream_tbEUljE_EEESV_SW_SX_S14_S18_S1A_T6_T7_T9_mT8_S1C_bDpT10_ENKUlT_T0_E_clISt17integral_constantIbLb1EES1P_EEDaS1K_S1L_EUlS1K_E_NS1_11comp_targetILNS1_3genE10ELNS1_11target_archE1200ELNS1_3gpuE4ELNS1_3repE0EEENS1_30default_config_static_selectorELNS0_4arch9wavefront6targetE1EEEvSY_.has_dyn_sized_stack, 0
	.set _ZN7rocprim17ROCPRIM_400000_NS6detail17trampoline_kernelINS0_13select_configILj256ELj13ELNS0_17block_load_methodE3ELS4_3ELS4_3ELNS0_20block_scan_algorithmE0ELj4294967295EEENS1_25partition_config_selectorILNS1_17partition_subalgoE3EjNS0_10empty_typeEbEEZZNS1_14partition_implILS8_3ELb0ES6_jNS0_17counting_iteratorIjlEEPS9_SE_NS0_5tupleIJPjSE_EEENSF_IJSE_SE_EEES9_SG_JZNS1_25segmented_radix_sort_implINS0_14default_configELb0EPKdPdPKlPlN2at6native12_GLOBAL__N_18offset_tEEE10hipError_tPvRmT1_PNSt15iterator_traitsISY_E10value_typeET2_T3_PNSZ_IS14_E10value_typeET4_jRbjT5_S1A_jjP12ihipStream_tbEUljE_EEESV_SW_SX_S14_S18_S1A_T6_T7_T9_mT8_S1C_bDpT10_ENKUlT_T0_E_clISt17integral_constantIbLb1EES1P_EEDaS1K_S1L_EUlS1K_E_NS1_11comp_targetILNS1_3genE10ELNS1_11target_archE1200ELNS1_3gpuE4ELNS1_3repE0EEENS1_30default_config_static_selectorELNS0_4arch9wavefront6targetE1EEEvSY_.has_recursion, 0
	.set _ZN7rocprim17ROCPRIM_400000_NS6detail17trampoline_kernelINS0_13select_configILj256ELj13ELNS0_17block_load_methodE3ELS4_3ELS4_3ELNS0_20block_scan_algorithmE0ELj4294967295EEENS1_25partition_config_selectorILNS1_17partition_subalgoE3EjNS0_10empty_typeEbEEZZNS1_14partition_implILS8_3ELb0ES6_jNS0_17counting_iteratorIjlEEPS9_SE_NS0_5tupleIJPjSE_EEENSF_IJSE_SE_EEES9_SG_JZNS1_25segmented_radix_sort_implINS0_14default_configELb0EPKdPdPKlPlN2at6native12_GLOBAL__N_18offset_tEEE10hipError_tPvRmT1_PNSt15iterator_traitsISY_E10value_typeET2_T3_PNSZ_IS14_E10value_typeET4_jRbjT5_S1A_jjP12ihipStream_tbEUljE_EEESV_SW_SX_S14_S18_S1A_T6_T7_T9_mT8_S1C_bDpT10_ENKUlT_T0_E_clISt17integral_constantIbLb1EES1P_EEDaS1K_S1L_EUlS1K_E_NS1_11comp_targetILNS1_3genE10ELNS1_11target_archE1200ELNS1_3gpuE4ELNS1_3repE0EEENS1_30default_config_static_selectorELNS0_4arch9wavefront6targetE1EEEvSY_.has_indirect_call, 0
	.section	.AMDGPU.csdata,"",@progbits
; Kernel info:
; codeLenInByte = 0
; TotalNumSgprs: 4
; NumVgprs: 0
; ScratchSize: 0
; MemoryBound: 0
; FloatMode: 240
; IeeeMode: 1
; LDSByteSize: 0 bytes/workgroup (compile time only)
; SGPRBlocks: 0
; VGPRBlocks: 0
; NumSGPRsForWavesPerEU: 4
; NumVGPRsForWavesPerEU: 1
; Occupancy: 10
; WaveLimiterHint : 0
; COMPUTE_PGM_RSRC2:SCRATCH_EN: 0
; COMPUTE_PGM_RSRC2:USER_SGPR: 6
; COMPUTE_PGM_RSRC2:TRAP_HANDLER: 0
; COMPUTE_PGM_RSRC2:TGID_X_EN: 1
; COMPUTE_PGM_RSRC2:TGID_Y_EN: 0
; COMPUTE_PGM_RSRC2:TGID_Z_EN: 0
; COMPUTE_PGM_RSRC2:TIDIG_COMP_CNT: 0
	.section	.text._ZN7rocprim17ROCPRIM_400000_NS6detail17trampoline_kernelINS0_13select_configILj256ELj13ELNS0_17block_load_methodE3ELS4_3ELS4_3ELNS0_20block_scan_algorithmE0ELj4294967295EEENS1_25partition_config_selectorILNS1_17partition_subalgoE3EjNS0_10empty_typeEbEEZZNS1_14partition_implILS8_3ELb0ES6_jNS0_17counting_iteratorIjlEEPS9_SE_NS0_5tupleIJPjSE_EEENSF_IJSE_SE_EEES9_SG_JZNS1_25segmented_radix_sort_implINS0_14default_configELb0EPKdPdPKlPlN2at6native12_GLOBAL__N_18offset_tEEE10hipError_tPvRmT1_PNSt15iterator_traitsISY_E10value_typeET2_T3_PNSZ_IS14_E10value_typeET4_jRbjT5_S1A_jjP12ihipStream_tbEUljE_EEESV_SW_SX_S14_S18_S1A_T6_T7_T9_mT8_S1C_bDpT10_ENKUlT_T0_E_clISt17integral_constantIbLb1EES1P_EEDaS1K_S1L_EUlS1K_E_NS1_11comp_targetILNS1_3genE9ELNS1_11target_archE1100ELNS1_3gpuE3ELNS1_3repE0EEENS1_30default_config_static_selectorELNS0_4arch9wavefront6targetE1EEEvSY_,"axG",@progbits,_ZN7rocprim17ROCPRIM_400000_NS6detail17trampoline_kernelINS0_13select_configILj256ELj13ELNS0_17block_load_methodE3ELS4_3ELS4_3ELNS0_20block_scan_algorithmE0ELj4294967295EEENS1_25partition_config_selectorILNS1_17partition_subalgoE3EjNS0_10empty_typeEbEEZZNS1_14partition_implILS8_3ELb0ES6_jNS0_17counting_iteratorIjlEEPS9_SE_NS0_5tupleIJPjSE_EEENSF_IJSE_SE_EEES9_SG_JZNS1_25segmented_radix_sort_implINS0_14default_configELb0EPKdPdPKlPlN2at6native12_GLOBAL__N_18offset_tEEE10hipError_tPvRmT1_PNSt15iterator_traitsISY_E10value_typeET2_T3_PNSZ_IS14_E10value_typeET4_jRbjT5_S1A_jjP12ihipStream_tbEUljE_EEESV_SW_SX_S14_S18_S1A_T6_T7_T9_mT8_S1C_bDpT10_ENKUlT_T0_E_clISt17integral_constantIbLb1EES1P_EEDaS1K_S1L_EUlS1K_E_NS1_11comp_targetILNS1_3genE9ELNS1_11target_archE1100ELNS1_3gpuE3ELNS1_3repE0EEENS1_30default_config_static_selectorELNS0_4arch9wavefront6targetE1EEEvSY_,comdat
	.globl	_ZN7rocprim17ROCPRIM_400000_NS6detail17trampoline_kernelINS0_13select_configILj256ELj13ELNS0_17block_load_methodE3ELS4_3ELS4_3ELNS0_20block_scan_algorithmE0ELj4294967295EEENS1_25partition_config_selectorILNS1_17partition_subalgoE3EjNS0_10empty_typeEbEEZZNS1_14partition_implILS8_3ELb0ES6_jNS0_17counting_iteratorIjlEEPS9_SE_NS0_5tupleIJPjSE_EEENSF_IJSE_SE_EEES9_SG_JZNS1_25segmented_radix_sort_implINS0_14default_configELb0EPKdPdPKlPlN2at6native12_GLOBAL__N_18offset_tEEE10hipError_tPvRmT1_PNSt15iterator_traitsISY_E10value_typeET2_T3_PNSZ_IS14_E10value_typeET4_jRbjT5_S1A_jjP12ihipStream_tbEUljE_EEESV_SW_SX_S14_S18_S1A_T6_T7_T9_mT8_S1C_bDpT10_ENKUlT_T0_E_clISt17integral_constantIbLb1EES1P_EEDaS1K_S1L_EUlS1K_E_NS1_11comp_targetILNS1_3genE9ELNS1_11target_archE1100ELNS1_3gpuE3ELNS1_3repE0EEENS1_30default_config_static_selectorELNS0_4arch9wavefront6targetE1EEEvSY_ ; -- Begin function _ZN7rocprim17ROCPRIM_400000_NS6detail17trampoline_kernelINS0_13select_configILj256ELj13ELNS0_17block_load_methodE3ELS4_3ELS4_3ELNS0_20block_scan_algorithmE0ELj4294967295EEENS1_25partition_config_selectorILNS1_17partition_subalgoE3EjNS0_10empty_typeEbEEZZNS1_14partition_implILS8_3ELb0ES6_jNS0_17counting_iteratorIjlEEPS9_SE_NS0_5tupleIJPjSE_EEENSF_IJSE_SE_EEES9_SG_JZNS1_25segmented_radix_sort_implINS0_14default_configELb0EPKdPdPKlPlN2at6native12_GLOBAL__N_18offset_tEEE10hipError_tPvRmT1_PNSt15iterator_traitsISY_E10value_typeET2_T3_PNSZ_IS14_E10value_typeET4_jRbjT5_S1A_jjP12ihipStream_tbEUljE_EEESV_SW_SX_S14_S18_S1A_T6_T7_T9_mT8_S1C_bDpT10_ENKUlT_T0_E_clISt17integral_constantIbLb1EES1P_EEDaS1K_S1L_EUlS1K_E_NS1_11comp_targetILNS1_3genE9ELNS1_11target_archE1100ELNS1_3gpuE3ELNS1_3repE0EEENS1_30default_config_static_selectorELNS0_4arch9wavefront6targetE1EEEvSY_
	.p2align	8
	.type	_ZN7rocprim17ROCPRIM_400000_NS6detail17trampoline_kernelINS0_13select_configILj256ELj13ELNS0_17block_load_methodE3ELS4_3ELS4_3ELNS0_20block_scan_algorithmE0ELj4294967295EEENS1_25partition_config_selectorILNS1_17partition_subalgoE3EjNS0_10empty_typeEbEEZZNS1_14partition_implILS8_3ELb0ES6_jNS0_17counting_iteratorIjlEEPS9_SE_NS0_5tupleIJPjSE_EEENSF_IJSE_SE_EEES9_SG_JZNS1_25segmented_radix_sort_implINS0_14default_configELb0EPKdPdPKlPlN2at6native12_GLOBAL__N_18offset_tEEE10hipError_tPvRmT1_PNSt15iterator_traitsISY_E10value_typeET2_T3_PNSZ_IS14_E10value_typeET4_jRbjT5_S1A_jjP12ihipStream_tbEUljE_EEESV_SW_SX_S14_S18_S1A_T6_T7_T9_mT8_S1C_bDpT10_ENKUlT_T0_E_clISt17integral_constantIbLb1EES1P_EEDaS1K_S1L_EUlS1K_E_NS1_11comp_targetILNS1_3genE9ELNS1_11target_archE1100ELNS1_3gpuE3ELNS1_3repE0EEENS1_30default_config_static_selectorELNS0_4arch9wavefront6targetE1EEEvSY_,@function
_ZN7rocprim17ROCPRIM_400000_NS6detail17trampoline_kernelINS0_13select_configILj256ELj13ELNS0_17block_load_methodE3ELS4_3ELS4_3ELNS0_20block_scan_algorithmE0ELj4294967295EEENS1_25partition_config_selectorILNS1_17partition_subalgoE3EjNS0_10empty_typeEbEEZZNS1_14partition_implILS8_3ELb0ES6_jNS0_17counting_iteratorIjlEEPS9_SE_NS0_5tupleIJPjSE_EEENSF_IJSE_SE_EEES9_SG_JZNS1_25segmented_radix_sort_implINS0_14default_configELb0EPKdPdPKlPlN2at6native12_GLOBAL__N_18offset_tEEE10hipError_tPvRmT1_PNSt15iterator_traitsISY_E10value_typeET2_T3_PNSZ_IS14_E10value_typeET4_jRbjT5_S1A_jjP12ihipStream_tbEUljE_EEESV_SW_SX_S14_S18_S1A_T6_T7_T9_mT8_S1C_bDpT10_ENKUlT_T0_E_clISt17integral_constantIbLb1EES1P_EEDaS1K_S1L_EUlS1K_E_NS1_11comp_targetILNS1_3genE9ELNS1_11target_archE1100ELNS1_3gpuE3ELNS1_3repE0EEENS1_30default_config_static_selectorELNS0_4arch9wavefront6targetE1EEEvSY_: ; @_ZN7rocprim17ROCPRIM_400000_NS6detail17trampoline_kernelINS0_13select_configILj256ELj13ELNS0_17block_load_methodE3ELS4_3ELS4_3ELNS0_20block_scan_algorithmE0ELj4294967295EEENS1_25partition_config_selectorILNS1_17partition_subalgoE3EjNS0_10empty_typeEbEEZZNS1_14partition_implILS8_3ELb0ES6_jNS0_17counting_iteratorIjlEEPS9_SE_NS0_5tupleIJPjSE_EEENSF_IJSE_SE_EEES9_SG_JZNS1_25segmented_radix_sort_implINS0_14default_configELb0EPKdPdPKlPlN2at6native12_GLOBAL__N_18offset_tEEE10hipError_tPvRmT1_PNSt15iterator_traitsISY_E10value_typeET2_T3_PNSZ_IS14_E10value_typeET4_jRbjT5_S1A_jjP12ihipStream_tbEUljE_EEESV_SW_SX_S14_S18_S1A_T6_T7_T9_mT8_S1C_bDpT10_ENKUlT_T0_E_clISt17integral_constantIbLb1EES1P_EEDaS1K_S1L_EUlS1K_E_NS1_11comp_targetILNS1_3genE9ELNS1_11target_archE1100ELNS1_3gpuE3ELNS1_3repE0EEENS1_30default_config_static_selectorELNS0_4arch9wavefront6targetE1EEEvSY_
; %bb.0:
	.section	.rodata,"a",@progbits
	.p2align	6, 0x0
	.amdhsa_kernel _ZN7rocprim17ROCPRIM_400000_NS6detail17trampoline_kernelINS0_13select_configILj256ELj13ELNS0_17block_load_methodE3ELS4_3ELS4_3ELNS0_20block_scan_algorithmE0ELj4294967295EEENS1_25partition_config_selectorILNS1_17partition_subalgoE3EjNS0_10empty_typeEbEEZZNS1_14partition_implILS8_3ELb0ES6_jNS0_17counting_iteratorIjlEEPS9_SE_NS0_5tupleIJPjSE_EEENSF_IJSE_SE_EEES9_SG_JZNS1_25segmented_radix_sort_implINS0_14default_configELb0EPKdPdPKlPlN2at6native12_GLOBAL__N_18offset_tEEE10hipError_tPvRmT1_PNSt15iterator_traitsISY_E10value_typeET2_T3_PNSZ_IS14_E10value_typeET4_jRbjT5_S1A_jjP12ihipStream_tbEUljE_EEESV_SW_SX_S14_S18_S1A_T6_T7_T9_mT8_S1C_bDpT10_ENKUlT_T0_E_clISt17integral_constantIbLb1EES1P_EEDaS1K_S1L_EUlS1K_E_NS1_11comp_targetILNS1_3genE9ELNS1_11target_archE1100ELNS1_3gpuE3ELNS1_3repE0EEENS1_30default_config_static_selectorELNS0_4arch9wavefront6targetE1EEEvSY_
		.amdhsa_group_segment_fixed_size 0
		.amdhsa_private_segment_fixed_size 0
		.amdhsa_kernarg_size 152
		.amdhsa_user_sgpr_count 6
		.amdhsa_user_sgpr_private_segment_buffer 1
		.amdhsa_user_sgpr_dispatch_ptr 0
		.amdhsa_user_sgpr_queue_ptr 0
		.amdhsa_user_sgpr_kernarg_segment_ptr 1
		.amdhsa_user_sgpr_dispatch_id 0
		.amdhsa_user_sgpr_flat_scratch_init 0
		.amdhsa_user_sgpr_private_segment_size 0
		.amdhsa_uses_dynamic_stack 0
		.amdhsa_system_sgpr_private_segment_wavefront_offset 0
		.amdhsa_system_sgpr_workgroup_id_x 1
		.amdhsa_system_sgpr_workgroup_id_y 0
		.amdhsa_system_sgpr_workgroup_id_z 0
		.amdhsa_system_sgpr_workgroup_info 0
		.amdhsa_system_vgpr_workitem_id 0
		.amdhsa_next_free_vgpr 1
		.amdhsa_next_free_sgpr 0
		.amdhsa_reserve_vcc 0
		.amdhsa_reserve_flat_scratch 0
		.amdhsa_float_round_mode_32 0
		.amdhsa_float_round_mode_16_64 0
		.amdhsa_float_denorm_mode_32 3
		.amdhsa_float_denorm_mode_16_64 3
		.amdhsa_dx10_clamp 1
		.amdhsa_ieee_mode 1
		.amdhsa_fp16_overflow 0
		.amdhsa_exception_fp_ieee_invalid_op 0
		.amdhsa_exception_fp_denorm_src 0
		.amdhsa_exception_fp_ieee_div_zero 0
		.amdhsa_exception_fp_ieee_overflow 0
		.amdhsa_exception_fp_ieee_underflow 0
		.amdhsa_exception_fp_ieee_inexact 0
		.amdhsa_exception_int_div_zero 0
	.end_amdhsa_kernel
	.section	.text._ZN7rocprim17ROCPRIM_400000_NS6detail17trampoline_kernelINS0_13select_configILj256ELj13ELNS0_17block_load_methodE3ELS4_3ELS4_3ELNS0_20block_scan_algorithmE0ELj4294967295EEENS1_25partition_config_selectorILNS1_17partition_subalgoE3EjNS0_10empty_typeEbEEZZNS1_14partition_implILS8_3ELb0ES6_jNS0_17counting_iteratorIjlEEPS9_SE_NS0_5tupleIJPjSE_EEENSF_IJSE_SE_EEES9_SG_JZNS1_25segmented_radix_sort_implINS0_14default_configELb0EPKdPdPKlPlN2at6native12_GLOBAL__N_18offset_tEEE10hipError_tPvRmT1_PNSt15iterator_traitsISY_E10value_typeET2_T3_PNSZ_IS14_E10value_typeET4_jRbjT5_S1A_jjP12ihipStream_tbEUljE_EEESV_SW_SX_S14_S18_S1A_T6_T7_T9_mT8_S1C_bDpT10_ENKUlT_T0_E_clISt17integral_constantIbLb1EES1P_EEDaS1K_S1L_EUlS1K_E_NS1_11comp_targetILNS1_3genE9ELNS1_11target_archE1100ELNS1_3gpuE3ELNS1_3repE0EEENS1_30default_config_static_selectorELNS0_4arch9wavefront6targetE1EEEvSY_,"axG",@progbits,_ZN7rocprim17ROCPRIM_400000_NS6detail17trampoline_kernelINS0_13select_configILj256ELj13ELNS0_17block_load_methodE3ELS4_3ELS4_3ELNS0_20block_scan_algorithmE0ELj4294967295EEENS1_25partition_config_selectorILNS1_17partition_subalgoE3EjNS0_10empty_typeEbEEZZNS1_14partition_implILS8_3ELb0ES6_jNS0_17counting_iteratorIjlEEPS9_SE_NS0_5tupleIJPjSE_EEENSF_IJSE_SE_EEES9_SG_JZNS1_25segmented_radix_sort_implINS0_14default_configELb0EPKdPdPKlPlN2at6native12_GLOBAL__N_18offset_tEEE10hipError_tPvRmT1_PNSt15iterator_traitsISY_E10value_typeET2_T3_PNSZ_IS14_E10value_typeET4_jRbjT5_S1A_jjP12ihipStream_tbEUljE_EEESV_SW_SX_S14_S18_S1A_T6_T7_T9_mT8_S1C_bDpT10_ENKUlT_T0_E_clISt17integral_constantIbLb1EES1P_EEDaS1K_S1L_EUlS1K_E_NS1_11comp_targetILNS1_3genE9ELNS1_11target_archE1100ELNS1_3gpuE3ELNS1_3repE0EEENS1_30default_config_static_selectorELNS0_4arch9wavefront6targetE1EEEvSY_,comdat
.Lfunc_end1203:
	.size	_ZN7rocprim17ROCPRIM_400000_NS6detail17trampoline_kernelINS0_13select_configILj256ELj13ELNS0_17block_load_methodE3ELS4_3ELS4_3ELNS0_20block_scan_algorithmE0ELj4294967295EEENS1_25partition_config_selectorILNS1_17partition_subalgoE3EjNS0_10empty_typeEbEEZZNS1_14partition_implILS8_3ELb0ES6_jNS0_17counting_iteratorIjlEEPS9_SE_NS0_5tupleIJPjSE_EEENSF_IJSE_SE_EEES9_SG_JZNS1_25segmented_radix_sort_implINS0_14default_configELb0EPKdPdPKlPlN2at6native12_GLOBAL__N_18offset_tEEE10hipError_tPvRmT1_PNSt15iterator_traitsISY_E10value_typeET2_T3_PNSZ_IS14_E10value_typeET4_jRbjT5_S1A_jjP12ihipStream_tbEUljE_EEESV_SW_SX_S14_S18_S1A_T6_T7_T9_mT8_S1C_bDpT10_ENKUlT_T0_E_clISt17integral_constantIbLb1EES1P_EEDaS1K_S1L_EUlS1K_E_NS1_11comp_targetILNS1_3genE9ELNS1_11target_archE1100ELNS1_3gpuE3ELNS1_3repE0EEENS1_30default_config_static_selectorELNS0_4arch9wavefront6targetE1EEEvSY_, .Lfunc_end1203-_ZN7rocprim17ROCPRIM_400000_NS6detail17trampoline_kernelINS0_13select_configILj256ELj13ELNS0_17block_load_methodE3ELS4_3ELS4_3ELNS0_20block_scan_algorithmE0ELj4294967295EEENS1_25partition_config_selectorILNS1_17partition_subalgoE3EjNS0_10empty_typeEbEEZZNS1_14partition_implILS8_3ELb0ES6_jNS0_17counting_iteratorIjlEEPS9_SE_NS0_5tupleIJPjSE_EEENSF_IJSE_SE_EEES9_SG_JZNS1_25segmented_radix_sort_implINS0_14default_configELb0EPKdPdPKlPlN2at6native12_GLOBAL__N_18offset_tEEE10hipError_tPvRmT1_PNSt15iterator_traitsISY_E10value_typeET2_T3_PNSZ_IS14_E10value_typeET4_jRbjT5_S1A_jjP12ihipStream_tbEUljE_EEESV_SW_SX_S14_S18_S1A_T6_T7_T9_mT8_S1C_bDpT10_ENKUlT_T0_E_clISt17integral_constantIbLb1EES1P_EEDaS1K_S1L_EUlS1K_E_NS1_11comp_targetILNS1_3genE9ELNS1_11target_archE1100ELNS1_3gpuE3ELNS1_3repE0EEENS1_30default_config_static_selectorELNS0_4arch9wavefront6targetE1EEEvSY_
                                        ; -- End function
	.set _ZN7rocprim17ROCPRIM_400000_NS6detail17trampoline_kernelINS0_13select_configILj256ELj13ELNS0_17block_load_methodE3ELS4_3ELS4_3ELNS0_20block_scan_algorithmE0ELj4294967295EEENS1_25partition_config_selectorILNS1_17partition_subalgoE3EjNS0_10empty_typeEbEEZZNS1_14partition_implILS8_3ELb0ES6_jNS0_17counting_iteratorIjlEEPS9_SE_NS0_5tupleIJPjSE_EEENSF_IJSE_SE_EEES9_SG_JZNS1_25segmented_radix_sort_implINS0_14default_configELb0EPKdPdPKlPlN2at6native12_GLOBAL__N_18offset_tEEE10hipError_tPvRmT1_PNSt15iterator_traitsISY_E10value_typeET2_T3_PNSZ_IS14_E10value_typeET4_jRbjT5_S1A_jjP12ihipStream_tbEUljE_EEESV_SW_SX_S14_S18_S1A_T6_T7_T9_mT8_S1C_bDpT10_ENKUlT_T0_E_clISt17integral_constantIbLb1EES1P_EEDaS1K_S1L_EUlS1K_E_NS1_11comp_targetILNS1_3genE9ELNS1_11target_archE1100ELNS1_3gpuE3ELNS1_3repE0EEENS1_30default_config_static_selectorELNS0_4arch9wavefront6targetE1EEEvSY_.num_vgpr, 0
	.set _ZN7rocprim17ROCPRIM_400000_NS6detail17trampoline_kernelINS0_13select_configILj256ELj13ELNS0_17block_load_methodE3ELS4_3ELS4_3ELNS0_20block_scan_algorithmE0ELj4294967295EEENS1_25partition_config_selectorILNS1_17partition_subalgoE3EjNS0_10empty_typeEbEEZZNS1_14partition_implILS8_3ELb0ES6_jNS0_17counting_iteratorIjlEEPS9_SE_NS0_5tupleIJPjSE_EEENSF_IJSE_SE_EEES9_SG_JZNS1_25segmented_radix_sort_implINS0_14default_configELb0EPKdPdPKlPlN2at6native12_GLOBAL__N_18offset_tEEE10hipError_tPvRmT1_PNSt15iterator_traitsISY_E10value_typeET2_T3_PNSZ_IS14_E10value_typeET4_jRbjT5_S1A_jjP12ihipStream_tbEUljE_EEESV_SW_SX_S14_S18_S1A_T6_T7_T9_mT8_S1C_bDpT10_ENKUlT_T0_E_clISt17integral_constantIbLb1EES1P_EEDaS1K_S1L_EUlS1K_E_NS1_11comp_targetILNS1_3genE9ELNS1_11target_archE1100ELNS1_3gpuE3ELNS1_3repE0EEENS1_30default_config_static_selectorELNS0_4arch9wavefront6targetE1EEEvSY_.num_agpr, 0
	.set _ZN7rocprim17ROCPRIM_400000_NS6detail17trampoline_kernelINS0_13select_configILj256ELj13ELNS0_17block_load_methodE3ELS4_3ELS4_3ELNS0_20block_scan_algorithmE0ELj4294967295EEENS1_25partition_config_selectorILNS1_17partition_subalgoE3EjNS0_10empty_typeEbEEZZNS1_14partition_implILS8_3ELb0ES6_jNS0_17counting_iteratorIjlEEPS9_SE_NS0_5tupleIJPjSE_EEENSF_IJSE_SE_EEES9_SG_JZNS1_25segmented_radix_sort_implINS0_14default_configELb0EPKdPdPKlPlN2at6native12_GLOBAL__N_18offset_tEEE10hipError_tPvRmT1_PNSt15iterator_traitsISY_E10value_typeET2_T3_PNSZ_IS14_E10value_typeET4_jRbjT5_S1A_jjP12ihipStream_tbEUljE_EEESV_SW_SX_S14_S18_S1A_T6_T7_T9_mT8_S1C_bDpT10_ENKUlT_T0_E_clISt17integral_constantIbLb1EES1P_EEDaS1K_S1L_EUlS1K_E_NS1_11comp_targetILNS1_3genE9ELNS1_11target_archE1100ELNS1_3gpuE3ELNS1_3repE0EEENS1_30default_config_static_selectorELNS0_4arch9wavefront6targetE1EEEvSY_.numbered_sgpr, 0
	.set _ZN7rocprim17ROCPRIM_400000_NS6detail17trampoline_kernelINS0_13select_configILj256ELj13ELNS0_17block_load_methodE3ELS4_3ELS4_3ELNS0_20block_scan_algorithmE0ELj4294967295EEENS1_25partition_config_selectorILNS1_17partition_subalgoE3EjNS0_10empty_typeEbEEZZNS1_14partition_implILS8_3ELb0ES6_jNS0_17counting_iteratorIjlEEPS9_SE_NS0_5tupleIJPjSE_EEENSF_IJSE_SE_EEES9_SG_JZNS1_25segmented_radix_sort_implINS0_14default_configELb0EPKdPdPKlPlN2at6native12_GLOBAL__N_18offset_tEEE10hipError_tPvRmT1_PNSt15iterator_traitsISY_E10value_typeET2_T3_PNSZ_IS14_E10value_typeET4_jRbjT5_S1A_jjP12ihipStream_tbEUljE_EEESV_SW_SX_S14_S18_S1A_T6_T7_T9_mT8_S1C_bDpT10_ENKUlT_T0_E_clISt17integral_constantIbLb1EES1P_EEDaS1K_S1L_EUlS1K_E_NS1_11comp_targetILNS1_3genE9ELNS1_11target_archE1100ELNS1_3gpuE3ELNS1_3repE0EEENS1_30default_config_static_selectorELNS0_4arch9wavefront6targetE1EEEvSY_.num_named_barrier, 0
	.set _ZN7rocprim17ROCPRIM_400000_NS6detail17trampoline_kernelINS0_13select_configILj256ELj13ELNS0_17block_load_methodE3ELS4_3ELS4_3ELNS0_20block_scan_algorithmE0ELj4294967295EEENS1_25partition_config_selectorILNS1_17partition_subalgoE3EjNS0_10empty_typeEbEEZZNS1_14partition_implILS8_3ELb0ES6_jNS0_17counting_iteratorIjlEEPS9_SE_NS0_5tupleIJPjSE_EEENSF_IJSE_SE_EEES9_SG_JZNS1_25segmented_radix_sort_implINS0_14default_configELb0EPKdPdPKlPlN2at6native12_GLOBAL__N_18offset_tEEE10hipError_tPvRmT1_PNSt15iterator_traitsISY_E10value_typeET2_T3_PNSZ_IS14_E10value_typeET4_jRbjT5_S1A_jjP12ihipStream_tbEUljE_EEESV_SW_SX_S14_S18_S1A_T6_T7_T9_mT8_S1C_bDpT10_ENKUlT_T0_E_clISt17integral_constantIbLb1EES1P_EEDaS1K_S1L_EUlS1K_E_NS1_11comp_targetILNS1_3genE9ELNS1_11target_archE1100ELNS1_3gpuE3ELNS1_3repE0EEENS1_30default_config_static_selectorELNS0_4arch9wavefront6targetE1EEEvSY_.private_seg_size, 0
	.set _ZN7rocprim17ROCPRIM_400000_NS6detail17trampoline_kernelINS0_13select_configILj256ELj13ELNS0_17block_load_methodE3ELS4_3ELS4_3ELNS0_20block_scan_algorithmE0ELj4294967295EEENS1_25partition_config_selectorILNS1_17partition_subalgoE3EjNS0_10empty_typeEbEEZZNS1_14partition_implILS8_3ELb0ES6_jNS0_17counting_iteratorIjlEEPS9_SE_NS0_5tupleIJPjSE_EEENSF_IJSE_SE_EEES9_SG_JZNS1_25segmented_radix_sort_implINS0_14default_configELb0EPKdPdPKlPlN2at6native12_GLOBAL__N_18offset_tEEE10hipError_tPvRmT1_PNSt15iterator_traitsISY_E10value_typeET2_T3_PNSZ_IS14_E10value_typeET4_jRbjT5_S1A_jjP12ihipStream_tbEUljE_EEESV_SW_SX_S14_S18_S1A_T6_T7_T9_mT8_S1C_bDpT10_ENKUlT_T0_E_clISt17integral_constantIbLb1EES1P_EEDaS1K_S1L_EUlS1K_E_NS1_11comp_targetILNS1_3genE9ELNS1_11target_archE1100ELNS1_3gpuE3ELNS1_3repE0EEENS1_30default_config_static_selectorELNS0_4arch9wavefront6targetE1EEEvSY_.uses_vcc, 0
	.set _ZN7rocprim17ROCPRIM_400000_NS6detail17trampoline_kernelINS0_13select_configILj256ELj13ELNS0_17block_load_methodE3ELS4_3ELS4_3ELNS0_20block_scan_algorithmE0ELj4294967295EEENS1_25partition_config_selectorILNS1_17partition_subalgoE3EjNS0_10empty_typeEbEEZZNS1_14partition_implILS8_3ELb0ES6_jNS0_17counting_iteratorIjlEEPS9_SE_NS0_5tupleIJPjSE_EEENSF_IJSE_SE_EEES9_SG_JZNS1_25segmented_radix_sort_implINS0_14default_configELb0EPKdPdPKlPlN2at6native12_GLOBAL__N_18offset_tEEE10hipError_tPvRmT1_PNSt15iterator_traitsISY_E10value_typeET2_T3_PNSZ_IS14_E10value_typeET4_jRbjT5_S1A_jjP12ihipStream_tbEUljE_EEESV_SW_SX_S14_S18_S1A_T6_T7_T9_mT8_S1C_bDpT10_ENKUlT_T0_E_clISt17integral_constantIbLb1EES1P_EEDaS1K_S1L_EUlS1K_E_NS1_11comp_targetILNS1_3genE9ELNS1_11target_archE1100ELNS1_3gpuE3ELNS1_3repE0EEENS1_30default_config_static_selectorELNS0_4arch9wavefront6targetE1EEEvSY_.uses_flat_scratch, 0
	.set _ZN7rocprim17ROCPRIM_400000_NS6detail17trampoline_kernelINS0_13select_configILj256ELj13ELNS0_17block_load_methodE3ELS4_3ELS4_3ELNS0_20block_scan_algorithmE0ELj4294967295EEENS1_25partition_config_selectorILNS1_17partition_subalgoE3EjNS0_10empty_typeEbEEZZNS1_14partition_implILS8_3ELb0ES6_jNS0_17counting_iteratorIjlEEPS9_SE_NS0_5tupleIJPjSE_EEENSF_IJSE_SE_EEES9_SG_JZNS1_25segmented_radix_sort_implINS0_14default_configELb0EPKdPdPKlPlN2at6native12_GLOBAL__N_18offset_tEEE10hipError_tPvRmT1_PNSt15iterator_traitsISY_E10value_typeET2_T3_PNSZ_IS14_E10value_typeET4_jRbjT5_S1A_jjP12ihipStream_tbEUljE_EEESV_SW_SX_S14_S18_S1A_T6_T7_T9_mT8_S1C_bDpT10_ENKUlT_T0_E_clISt17integral_constantIbLb1EES1P_EEDaS1K_S1L_EUlS1K_E_NS1_11comp_targetILNS1_3genE9ELNS1_11target_archE1100ELNS1_3gpuE3ELNS1_3repE0EEENS1_30default_config_static_selectorELNS0_4arch9wavefront6targetE1EEEvSY_.has_dyn_sized_stack, 0
	.set _ZN7rocprim17ROCPRIM_400000_NS6detail17trampoline_kernelINS0_13select_configILj256ELj13ELNS0_17block_load_methodE3ELS4_3ELS4_3ELNS0_20block_scan_algorithmE0ELj4294967295EEENS1_25partition_config_selectorILNS1_17partition_subalgoE3EjNS0_10empty_typeEbEEZZNS1_14partition_implILS8_3ELb0ES6_jNS0_17counting_iteratorIjlEEPS9_SE_NS0_5tupleIJPjSE_EEENSF_IJSE_SE_EEES9_SG_JZNS1_25segmented_radix_sort_implINS0_14default_configELb0EPKdPdPKlPlN2at6native12_GLOBAL__N_18offset_tEEE10hipError_tPvRmT1_PNSt15iterator_traitsISY_E10value_typeET2_T3_PNSZ_IS14_E10value_typeET4_jRbjT5_S1A_jjP12ihipStream_tbEUljE_EEESV_SW_SX_S14_S18_S1A_T6_T7_T9_mT8_S1C_bDpT10_ENKUlT_T0_E_clISt17integral_constantIbLb1EES1P_EEDaS1K_S1L_EUlS1K_E_NS1_11comp_targetILNS1_3genE9ELNS1_11target_archE1100ELNS1_3gpuE3ELNS1_3repE0EEENS1_30default_config_static_selectorELNS0_4arch9wavefront6targetE1EEEvSY_.has_recursion, 0
	.set _ZN7rocprim17ROCPRIM_400000_NS6detail17trampoline_kernelINS0_13select_configILj256ELj13ELNS0_17block_load_methodE3ELS4_3ELS4_3ELNS0_20block_scan_algorithmE0ELj4294967295EEENS1_25partition_config_selectorILNS1_17partition_subalgoE3EjNS0_10empty_typeEbEEZZNS1_14partition_implILS8_3ELb0ES6_jNS0_17counting_iteratorIjlEEPS9_SE_NS0_5tupleIJPjSE_EEENSF_IJSE_SE_EEES9_SG_JZNS1_25segmented_radix_sort_implINS0_14default_configELb0EPKdPdPKlPlN2at6native12_GLOBAL__N_18offset_tEEE10hipError_tPvRmT1_PNSt15iterator_traitsISY_E10value_typeET2_T3_PNSZ_IS14_E10value_typeET4_jRbjT5_S1A_jjP12ihipStream_tbEUljE_EEESV_SW_SX_S14_S18_S1A_T6_T7_T9_mT8_S1C_bDpT10_ENKUlT_T0_E_clISt17integral_constantIbLb1EES1P_EEDaS1K_S1L_EUlS1K_E_NS1_11comp_targetILNS1_3genE9ELNS1_11target_archE1100ELNS1_3gpuE3ELNS1_3repE0EEENS1_30default_config_static_selectorELNS0_4arch9wavefront6targetE1EEEvSY_.has_indirect_call, 0
	.section	.AMDGPU.csdata,"",@progbits
; Kernel info:
; codeLenInByte = 0
; TotalNumSgprs: 4
; NumVgprs: 0
; ScratchSize: 0
; MemoryBound: 0
; FloatMode: 240
; IeeeMode: 1
; LDSByteSize: 0 bytes/workgroup (compile time only)
; SGPRBlocks: 0
; VGPRBlocks: 0
; NumSGPRsForWavesPerEU: 4
; NumVGPRsForWavesPerEU: 1
; Occupancy: 10
; WaveLimiterHint : 0
; COMPUTE_PGM_RSRC2:SCRATCH_EN: 0
; COMPUTE_PGM_RSRC2:USER_SGPR: 6
; COMPUTE_PGM_RSRC2:TRAP_HANDLER: 0
; COMPUTE_PGM_RSRC2:TGID_X_EN: 1
; COMPUTE_PGM_RSRC2:TGID_Y_EN: 0
; COMPUTE_PGM_RSRC2:TGID_Z_EN: 0
; COMPUTE_PGM_RSRC2:TIDIG_COMP_CNT: 0
	.section	.text._ZN7rocprim17ROCPRIM_400000_NS6detail17trampoline_kernelINS0_13select_configILj256ELj13ELNS0_17block_load_methodE3ELS4_3ELS4_3ELNS0_20block_scan_algorithmE0ELj4294967295EEENS1_25partition_config_selectorILNS1_17partition_subalgoE3EjNS0_10empty_typeEbEEZZNS1_14partition_implILS8_3ELb0ES6_jNS0_17counting_iteratorIjlEEPS9_SE_NS0_5tupleIJPjSE_EEENSF_IJSE_SE_EEES9_SG_JZNS1_25segmented_radix_sort_implINS0_14default_configELb0EPKdPdPKlPlN2at6native12_GLOBAL__N_18offset_tEEE10hipError_tPvRmT1_PNSt15iterator_traitsISY_E10value_typeET2_T3_PNSZ_IS14_E10value_typeET4_jRbjT5_S1A_jjP12ihipStream_tbEUljE_EEESV_SW_SX_S14_S18_S1A_T6_T7_T9_mT8_S1C_bDpT10_ENKUlT_T0_E_clISt17integral_constantIbLb1EES1P_EEDaS1K_S1L_EUlS1K_E_NS1_11comp_targetILNS1_3genE8ELNS1_11target_archE1030ELNS1_3gpuE2ELNS1_3repE0EEENS1_30default_config_static_selectorELNS0_4arch9wavefront6targetE1EEEvSY_,"axG",@progbits,_ZN7rocprim17ROCPRIM_400000_NS6detail17trampoline_kernelINS0_13select_configILj256ELj13ELNS0_17block_load_methodE3ELS4_3ELS4_3ELNS0_20block_scan_algorithmE0ELj4294967295EEENS1_25partition_config_selectorILNS1_17partition_subalgoE3EjNS0_10empty_typeEbEEZZNS1_14partition_implILS8_3ELb0ES6_jNS0_17counting_iteratorIjlEEPS9_SE_NS0_5tupleIJPjSE_EEENSF_IJSE_SE_EEES9_SG_JZNS1_25segmented_radix_sort_implINS0_14default_configELb0EPKdPdPKlPlN2at6native12_GLOBAL__N_18offset_tEEE10hipError_tPvRmT1_PNSt15iterator_traitsISY_E10value_typeET2_T3_PNSZ_IS14_E10value_typeET4_jRbjT5_S1A_jjP12ihipStream_tbEUljE_EEESV_SW_SX_S14_S18_S1A_T6_T7_T9_mT8_S1C_bDpT10_ENKUlT_T0_E_clISt17integral_constantIbLb1EES1P_EEDaS1K_S1L_EUlS1K_E_NS1_11comp_targetILNS1_3genE8ELNS1_11target_archE1030ELNS1_3gpuE2ELNS1_3repE0EEENS1_30default_config_static_selectorELNS0_4arch9wavefront6targetE1EEEvSY_,comdat
	.globl	_ZN7rocprim17ROCPRIM_400000_NS6detail17trampoline_kernelINS0_13select_configILj256ELj13ELNS0_17block_load_methodE3ELS4_3ELS4_3ELNS0_20block_scan_algorithmE0ELj4294967295EEENS1_25partition_config_selectorILNS1_17partition_subalgoE3EjNS0_10empty_typeEbEEZZNS1_14partition_implILS8_3ELb0ES6_jNS0_17counting_iteratorIjlEEPS9_SE_NS0_5tupleIJPjSE_EEENSF_IJSE_SE_EEES9_SG_JZNS1_25segmented_radix_sort_implINS0_14default_configELb0EPKdPdPKlPlN2at6native12_GLOBAL__N_18offset_tEEE10hipError_tPvRmT1_PNSt15iterator_traitsISY_E10value_typeET2_T3_PNSZ_IS14_E10value_typeET4_jRbjT5_S1A_jjP12ihipStream_tbEUljE_EEESV_SW_SX_S14_S18_S1A_T6_T7_T9_mT8_S1C_bDpT10_ENKUlT_T0_E_clISt17integral_constantIbLb1EES1P_EEDaS1K_S1L_EUlS1K_E_NS1_11comp_targetILNS1_3genE8ELNS1_11target_archE1030ELNS1_3gpuE2ELNS1_3repE0EEENS1_30default_config_static_selectorELNS0_4arch9wavefront6targetE1EEEvSY_ ; -- Begin function _ZN7rocprim17ROCPRIM_400000_NS6detail17trampoline_kernelINS0_13select_configILj256ELj13ELNS0_17block_load_methodE3ELS4_3ELS4_3ELNS0_20block_scan_algorithmE0ELj4294967295EEENS1_25partition_config_selectorILNS1_17partition_subalgoE3EjNS0_10empty_typeEbEEZZNS1_14partition_implILS8_3ELb0ES6_jNS0_17counting_iteratorIjlEEPS9_SE_NS0_5tupleIJPjSE_EEENSF_IJSE_SE_EEES9_SG_JZNS1_25segmented_radix_sort_implINS0_14default_configELb0EPKdPdPKlPlN2at6native12_GLOBAL__N_18offset_tEEE10hipError_tPvRmT1_PNSt15iterator_traitsISY_E10value_typeET2_T3_PNSZ_IS14_E10value_typeET4_jRbjT5_S1A_jjP12ihipStream_tbEUljE_EEESV_SW_SX_S14_S18_S1A_T6_T7_T9_mT8_S1C_bDpT10_ENKUlT_T0_E_clISt17integral_constantIbLb1EES1P_EEDaS1K_S1L_EUlS1K_E_NS1_11comp_targetILNS1_3genE8ELNS1_11target_archE1030ELNS1_3gpuE2ELNS1_3repE0EEENS1_30default_config_static_selectorELNS0_4arch9wavefront6targetE1EEEvSY_
	.p2align	8
	.type	_ZN7rocprim17ROCPRIM_400000_NS6detail17trampoline_kernelINS0_13select_configILj256ELj13ELNS0_17block_load_methodE3ELS4_3ELS4_3ELNS0_20block_scan_algorithmE0ELj4294967295EEENS1_25partition_config_selectorILNS1_17partition_subalgoE3EjNS0_10empty_typeEbEEZZNS1_14partition_implILS8_3ELb0ES6_jNS0_17counting_iteratorIjlEEPS9_SE_NS0_5tupleIJPjSE_EEENSF_IJSE_SE_EEES9_SG_JZNS1_25segmented_radix_sort_implINS0_14default_configELb0EPKdPdPKlPlN2at6native12_GLOBAL__N_18offset_tEEE10hipError_tPvRmT1_PNSt15iterator_traitsISY_E10value_typeET2_T3_PNSZ_IS14_E10value_typeET4_jRbjT5_S1A_jjP12ihipStream_tbEUljE_EEESV_SW_SX_S14_S18_S1A_T6_T7_T9_mT8_S1C_bDpT10_ENKUlT_T0_E_clISt17integral_constantIbLb1EES1P_EEDaS1K_S1L_EUlS1K_E_NS1_11comp_targetILNS1_3genE8ELNS1_11target_archE1030ELNS1_3gpuE2ELNS1_3repE0EEENS1_30default_config_static_selectorELNS0_4arch9wavefront6targetE1EEEvSY_,@function
_ZN7rocprim17ROCPRIM_400000_NS6detail17trampoline_kernelINS0_13select_configILj256ELj13ELNS0_17block_load_methodE3ELS4_3ELS4_3ELNS0_20block_scan_algorithmE0ELj4294967295EEENS1_25partition_config_selectorILNS1_17partition_subalgoE3EjNS0_10empty_typeEbEEZZNS1_14partition_implILS8_3ELb0ES6_jNS0_17counting_iteratorIjlEEPS9_SE_NS0_5tupleIJPjSE_EEENSF_IJSE_SE_EEES9_SG_JZNS1_25segmented_radix_sort_implINS0_14default_configELb0EPKdPdPKlPlN2at6native12_GLOBAL__N_18offset_tEEE10hipError_tPvRmT1_PNSt15iterator_traitsISY_E10value_typeET2_T3_PNSZ_IS14_E10value_typeET4_jRbjT5_S1A_jjP12ihipStream_tbEUljE_EEESV_SW_SX_S14_S18_S1A_T6_T7_T9_mT8_S1C_bDpT10_ENKUlT_T0_E_clISt17integral_constantIbLb1EES1P_EEDaS1K_S1L_EUlS1K_E_NS1_11comp_targetILNS1_3genE8ELNS1_11target_archE1030ELNS1_3gpuE2ELNS1_3repE0EEENS1_30default_config_static_selectorELNS0_4arch9wavefront6targetE1EEEvSY_: ; @_ZN7rocprim17ROCPRIM_400000_NS6detail17trampoline_kernelINS0_13select_configILj256ELj13ELNS0_17block_load_methodE3ELS4_3ELS4_3ELNS0_20block_scan_algorithmE0ELj4294967295EEENS1_25partition_config_selectorILNS1_17partition_subalgoE3EjNS0_10empty_typeEbEEZZNS1_14partition_implILS8_3ELb0ES6_jNS0_17counting_iteratorIjlEEPS9_SE_NS0_5tupleIJPjSE_EEENSF_IJSE_SE_EEES9_SG_JZNS1_25segmented_radix_sort_implINS0_14default_configELb0EPKdPdPKlPlN2at6native12_GLOBAL__N_18offset_tEEE10hipError_tPvRmT1_PNSt15iterator_traitsISY_E10value_typeET2_T3_PNSZ_IS14_E10value_typeET4_jRbjT5_S1A_jjP12ihipStream_tbEUljE_EEESV_SW_SX_S14_S18_S1A_T6_T7_T9_mT8_S1C_bDpT10_ENKUlT_T0_E_clISt17integral_constantIbLb1EES1P_EEDaS1K_S1L_EUlS1K_E_NS1_11comp_targetILNS1_3genE8ELNS1_11target_archE1030ELNS1_3gpuE2ELNS1_3repE0EEENS1_30default_config_static_selectorELNS0_4arch9wavefront6targetE1EEEvSY_
; %bb.0:
	.section	.rodata,"a",@progbits
	.p2align	6, 0x0
	.amdhsa_kernel _ZN7rocprim17ROCPRIM_400000_NS6detail17trampoline_kernelINS0_13select_configILj256ELj13ELNS0_17block_load_methodE3ELS4_3ELS4_3ELNS0_20block_scan_algorithmE0ELj4294967295EEENS1_25partition_config_selectorILNS1_17partition_subalgoE3EjNS0_10empty_typeEbEEZZNS1_14partition_implILS8_3ELb0ES6_jNS0_17counting_iteratorIjlEEPS9_SE_NS0_5tupleIJPjSE_EEENSF_IJSE_SE_EEES9_SG_JZNS1_25segmented_radix_sort_implINS0_14default_configELb0EPKdPdPKlPlN2at6native12_GLOBAL__N_18offset_tEEE10hipError_tPvRmT1_PNSt15iterator_traitsISY_E10value_typeET2_T3_PNSZ_IS14_E10value_typeET4_jRbjT5_S1A_jjP12ihipStream_tbEUljE_EEESV_SW_SX_S14_S18_S1A_T6_T7_T9_mT8_S1C_bDpT10_ENKUlT_T0_E_clISt17integral_constantIbLb1EES1P_EEDaS1K_S1L_EUlS1K_E_NS1_11comp_targetILNS1_3genE8ELNS1_11target_archE1030ELNS1_3gpuE2ELNS1_3repE0EEENS1_30default_config_static_selectorELNS0_4arch9wavefront6targetE1EEEvSY_
		.amdhsa_group_segment_fixed_size 0
		.amdhsa_private_segment_fixed_size 0
		.amdhsa_kernarg_size 152
		.amdhsa_user_sgpr_count 6
		.amdhsa_user_sgpr_private_segment_buffer 1
		.amdhsa_user_sgpr_dispatch_ptr 0
		.amdhsa_user_sgpr_queue_ptr 0
		.amdhsa_user_sgpr_kernarg_segment_ptr 1
		.amdhsa_user_sgpr_dispatch_id 0
		.amdhsa_user_sgpr_flat_scratch_init 0
		.amdhsa_user_sgpr_private_segment_size 0
		.amdhsa_uses_dynamic_stack 0
		.amdhsa_system_sgpr_private_segment_wavefront_offset 0
		.amdhsa_system_sgpr_workgroup_id_x 1
		.amdhsa_system_sgpr_workgroup_id_y 0
		.amdhsa_system_sgpr_workgroup_id_z 0
		.amdhsa_system_sgpr_workgroup_info 0
		.amdhsa_system_vgpr_workitem_id 0
		.amdhsa_next_free_vgpr 1
		.amdhsa_next_free_sgpr 0
		.amdhsa_reserve_vcc 0
		.amdhsa_reserve_flat_scratch 0
		.amdhsa_float_round_mode_32 0
		.amdhsa_float_round_mode_16_64 0
		.amdhsa_float_denorm_mode_32 3
		.amdhsa_float_denorm_mode_16_64 3
		.amdhsa_dx10_clamp 1
		.amdhsa_ieee_mode 1
		.amdhsa_fp16_overflow 0
		.amdhsa_exception_fp_ieee_invalid_op 0
		.amdhsa_exception_fp_denorm_src 0
		.amdhsa_exception_fp_ieee_div_zero 0
		.amdhsa_exception_fp_ieee_overflow 0
		.amdhsa_exception_fp_ieee_underflow 0
		.amdhsa_exception_fp_ieee_inexact 0
		.amdhsa_exception_int_div_zero 0
	.end_amdhsa_kernel
	.section	.text._ZN7rocprim17ROCPRIM_400000_NS6detail17trampoline_kernelINS0_13select_configILj256ELj13ELNS0_17block_load_methodE3ELS4_3ELS4_3ELNS0_20block_scan_algorithmE0ELj4294967295EEENS1_25partition_config_selectorILNS1_17partition_subalgoE3EjNS0_10empty_typeEbEEZZNS1_14partition_implILS8_3ELb0ES6_jNS0_17counting_iteratorIjlEEPS9_SE_NS0_5tupleIJPjSE_EEENSF_IJSE_SE_EEES9_SG_JZNS1_25segmented_radix_sort_implINS0_14default_configELb0EPKdPdPKlPlN2at6native12_GLOBAL__N_18offset_tEEE10hipError_tPvRmT1_PNSt15iterator_traitsISY_E10value_typeET2_T3_PNSZ_IS14_E10value_typeET4_jRbjT5_S1A_jjP12ihipStream_tbEUljE_EEESV_SW_SX_S14_S18_S1A_T6_T7_T9_mT8_S1C_bDpT10_ENKUlT_T0_E_clISt17integral_constantIbLb1EES1P_EEDaS1K_S1L_EUlS1K_E_NS1_11comp_targetILNS1_3genE8ELNS1_11target_archE1030ELNS1_3gpuE2ELNS1_3repE0EEENS1_30default_config_static_selectorELNS0_4arch9wavefront6targetE1EEEvSY_,"axG",@progbits,_ZN7rocprim17ROCPRIM_400000_NS6detail17trampoline_kernelINS0_13select_configILj256ELj13ELNS0_17block_load_methodE3ELS4_3ELS4_3ELNS0_20block_scan_algorithmE0ELj4294967295EEENS1_25partition_config_selectorILNS1_17partition_subalgoE3EjNS0_10empty_typeEbEEZZNS1_14partition_implILS8_3ELb0ES6_jNS0_17counting_iteratorIjlEEPS9_SE_NS0_5tupleIJPjSE_EEENSF_IJSE_SE_EEES9_SG_JZNS1_25segmented_radix_sort_implINS0_14default_configELb0EPKdPdPKlPlN2at6native12_GLOBAL__N_18offset_tEEE10hipError_tPvRmT1_PNSt15iterator_traitsISY_E10value_typeET2_T3_PNSZ_IS14_E10value_typeET4_jRbjT5_S1A_jjP12ihipStream_tbEUljE_EEESV_SW_SX_S14_S18_S1A_T6_T7_T9_mT8_S1C_bDpT10_ENKUlT_T0_E_clISt17integral_constantIbLb1EES1P_EEDaS1K_S1L_EUlS1K_E_NS1_11comp_targetILNS1_3genE8ELNS1_11target_archE1030ELNS1_3gpuE2ELNS1_3repE0EEENS1_30default_config_static_selectorELNS0_4arch9wavefront6targetE1EEEvSY_,comdat
.Lfunc_end1204:
	.size	_ZN7rocprim17ROCPRIM_400000_NS6detail17trampoline_kernelINS0_13select_configILj256ELj13ELNS0_17block_load_methodE3ELS4_3ELS4_3ELNS0_20block_scan_algorithmE0ELj4294967295EEENS1_25partition_config_selectorILNS1_17partition_subalgoE3EjNS0_10empty_typeEbEEZZNS1_14partition_implILS8_3ELb0ES6_jNS0_17counting_iteratorIjlEEPS9_SE_NS0_5tupleIJPjSE_EEENSF_IJSE_SE_EEES9_SG_JZNS1_25segmented_radix_sort_implINS0_14default_configELb0EPKdPdPKlPlN2at6native12_GLOBAL__N_18offset_tEEE10hipError_tPvRmT1_PNSt15iterator_traitsISY_E10value_typeET2_T3_PNSZ_IS14_E10value_typeET4_jRbjT5_S1A_jjP12ihipStream_tbEUljE_EEESV_SW_SX_S14_S18_S1A_T6_T7_T9_mT8_S1C_bDpT10_ENKUlT_T0_E_clISt17integral_constantIbLb1EES1P_EEDaS1K_S1L_EUlS1K_E_NS1_11comp_targetILNS1_3genE8ELNS1_11target_archE1030ELNS1_3gpuE2ELNS1_3repE0EEENS1_30default_config_static_selectorELNS0_4arch9wavefront6targetE1EEEvSY_, .Lfunc_end1204-_ZN7rocprim17ROCPRIM_400000_NS6detail17trampoline_kernelINS0_13select_configILj256ELj13ELNS0_17block_load_methodE3ELS4_3ELS4_3ELNS0_20block_scan_algorithmE0ELj4294967295EEENS1_25partition_config_selectorILNS1_17partition_subalgoE3EjNS0_10empty_typeEbEEZZNS1_14partition_implILS8_3ELb0ES6_jNS0_17counting_iteratorIjlEEPS9_SE_NS0_5tupleIJPjSE_EEENSF_IJSE_SE_EEES9_SG_JZNS1_25segmented_radix_sort_implINS0_14default_configELb0EPKdPdPKlPlN2at6native12_GLOBAL__N_18offset_tEEE10hipError_tPvRmT1_PNSt15iterator_traitsISY_E10value_typeET2_T3_PNSZ_IS14_E10value_typeET4_jRbjT5_S1A_jjP12ihipStream_tbEUljE_EEESV_SW_SX_S14_S18_S1A_T6_T7_T9_mT8_S1C_bDpT10_ENKUlT_T0_E_clISt17integral_constantIbLb1EES1P_EEDaS1K_S1L_EUlS1K_E_NS1_11comp_targetILNS1_3genE8ELNS1_11target_archE1030ELNS1_3gpuE2ELNS1_3repE0EEENS1_30default_config_static_selectorELNS0_4arch9wavefront6targetE1EEEvSY_
                                        ; -- End function
	.set _ZN7rocprim17ROCPRIM_400000_NS6detail17trampoline_kernelINS0_13select_configILj256ELj13ELNS0_17block_load_methodE3ELS4_3ELS4_3ELNS0_20block_scan_algorithmE0ELj4294967295EEENS1_25partition_config_selectorILNS1_17partition_subalgoE3EjNS0_10empty_typeEbEEZZNS1_14partition_implILS8_3ELb0ES6_jNS0_17counting_iteratorIjlEEPS9_SE_NS0_5tupleIJPjSE_EEENSF_IJSE_SE_EEES9_SG_JZNS1_25segmented_radix_sort_implINS0_14default_configELb0EPKdPdPKlPlN2at6native12_GLOBAL__N_18offset_tEEE10hipError_tPvRmT1_PNSt15iterator_traitsISY_E10value_typeET2_T3_PNSZ_IS14_E10value_typeET4_jRbjT5_S1A_jjP12ihipStream_tbEUljE_EEESV_SW_SX_S14_S18_S1A_T6_T7_T9_mT8_S1C_bDpT10_ENKUlT_T0_E_clISt17integral_constantIbLb1EES1P_EEDaS1K_S1L_EUlS1K_E_NS1_11comp_targetILNS1_3genE8ELNS1_11target_archE1030ELNS1_3gpuE2ELNS1_3repE0EEENS1_30default_config_static_selectorELNS0_4arch9wavefront6targetE1EEEvSY_.num_vgpr, 0
	.set _ZN7rocprim17ROCPRIM_400000_NS6detail17trampoline_kernelINS0_13select_configILj256ELj13ELNS0_17block_load_methodE3ELS4_3ELS4_3ELNS0_20block_scan_algorithmE0ELj4294967295EEENS1_25partition_config_selectorILNS1_17partition_subalgoE3EjNS0_10empty_typeEbEEZZNS1_14partition_implILS8_3ELb0ES6_jNS0_17counting_iteratorIjlEEPS9_SE_NS0_5tupleIJPjSE_EEENSF_IJSE_SE_EEES9_SG_JZNS1_25segmented_radix_sort_implINS0_14default_configELb0EPKdPdPKlPlN2at6native12_GLOBAL__N_18offset_tEEE10hipError_tPvRmT1_PNSt15iterator_traitsISY_E10value_typeET2_T3_PNSZ_IS14_E10value_typeET4_jRbjT5_S1A_jjP12ihipStream_tbEUljE_EEESV_SW_SX_S14_S18_S1A_T6_T7_T9_mT8_S1C_bDpT10_ENKUlT_T0_E_clISt17integral_constantIbLb1EES1P_EEDaS1K_S1L_EUlS1K_E_NS1_11comp_targetILNS1_3genE8ELNS1_11target_archE1030ELNS1_3gpuE2ELNS1_3repE0EEENS1_30default_config_static_selectorELNS0_4arch9wavefront6targetE1EEEvSY_.num_agpr, 0
	.set _ZN7rocprim17ROCPRIM_400000_NS6detail17trampoline_kernelINS0_13select_configILj256ELj13ELNS0_17block_load_methodE3ELS4_3ELS4_3ELNS0_20block_scan_algorithmE0ELj4294967295EEENS1_25partition_config_selectorILNS1_17partition_subalgoE3EjNS0_10empty_typeEbEEZZNS1_14partition_implILS8_3ELb0ES6_jNS0_17counting_iteratorIjlEEPS9_SE_NS0_5tupleIJPjSE_EEENSF_IJSE_SE_EEES9_SG_JZNS1_25segmented_radix_sort_implINS0_14default_configELb0EPKdPdPKlPlN2at6native12_GLOBAL__N_18offset_tEEE10hipError_tPvRmT1_PNSt15iterator_traitsISY_E10value_typeET2_T3_PNSZ_IS14_E10value_typeET4_jRbjT5_S1A_jjP12ihipStream_tbEUljE_EEESV_SW_SX_S14_S18_S1A_T6_T7_T9_mT8_S1C_bDpT10_ENKUlT_T0_E_clISt17integral_constantIbLb1EES1P_EEDaS1K_S1L_EUlS1K_E_NS1_11comp_targetILNS1_3genE8ELNS1_11target_archE1030ELNS1_3gpuE2ELNS1_3repE0EEENS1_30default_config_static_selectorELNS0_4arch9wavefront6targetE1EEEvSY_.numbered_sgpr, 0
	.set _ZN7rocprim17ROCPRIM_400000_NS6detail17trampoline_kernelINS0_13select_configILj256ELj13ELNS0_17block_load_methodE3ELS4_3ELS4_3ELNS0_20block_scan_algorithmE0ELj4294967295EEENS1_25partition_config_selectorILNS1_17partition_subalgoE3EjNS0_10empty_typeEbEEZZNS1_14partition_implILS8_3ELb0ES6_jNS0_17counting_iteratorIjlEEPS9_SE_NS0_5tupleIJPjSE_EEENSF_IJSE_SE_EEES9_SG_JZNS1_25segmented_radix_sort_implINS0_14default_configELb0EPKdPdPKlPlN2at6native12_GLOBAL__N_18offset_tEEE10hipError_tPvRmT1_PNSt15iterator_traitsISY_E10value_typeET2_T3_PNSZ_IS14_E10value_typeET4_jRbjT5_S1A_jjP12ihipStream_tbEUljE_EEESV_SW_SX_S14_S18_S1A_T6_T7_T9_mT8_S1C_bDpT10_ENKUlT_T0_E_clISt17integral_constantIbLb1EES1P_EEDaS1K_S1L_EUlS1K_E_NS1_11comp_targetILNS1_3genE8ELNS1_11target_archE1030ELNS1_3gpuE2ELNS1_3repE0EEENS1_30default_config_static_selectorELNS0_4arch9wavefront6targetE1EEEvSY_.num_named_barrier, 0
	.set _ZN7rocprim17ROCPRIM_400000_NS6detail17trampoline_kernelINS0_13select_configILj256ELj13ELNS0_17block_load_methodE3ELS4_3ELS4_3ELNS0_20block_scan_algorithmE0ELj4294967295EEENS1_25partition_config_selectorILNS1_17partition_subalgoE3EjNS0_10empty_typeEbEEZZNS1_14partition_implILS8_3ELb0ES6_jNS0_17counting_iteratorIjlEEPS9_SE_NS0_5tupleIJPjSE_EEENSF_IJSE_SE_EEES9_SG_JZNS1_25segmented_radix_sort_implINS0_14default_configELb0EPKdPdPKlPlN2at6native12_GLOBAL__N_18offset_tEEE10hipError_tPvRmT1_PNSt15iterator_traitsISY_E10value_typeET2_T3_PNSZ_IS14_E10value_typeET4_jRbjT5_S1A_jjP12ihipStream_tbEUljE_EEESV_SW_SX_S14_S18_S1A_T6_T7_T9_mT8_S1C_bDpT10_ENKUlT_T0_E_clISt17integral_constantIbLb1EES1P_EEDaS1K_S1L_EUlS1K_E_NS1_11comp_targetILNS1_3genE8ELNS1_11target_archE1030ELNS1_3gpuE2ELNS1_3repE0EEENS1_30default_config_static_selectorELNS0_4arch9wavefront6targetE1EEEvSY_.private_seg_size, 0
	.set _ZN7rocprim17ROCPRIM_400000_NS6detail17trampoline_kernelINS0_13select_configILj256ELj13ELNS0_17block_load_methodE3ELS4_3ELS4_3ELNS0_20block_scan_algorithmE0ELj4294967295EEENS1_25partition_config_selectorILNS1_17partition_subalgoE3EjNS0_10empty_typeEbEEZZNS1_14partition_implILS8_3ELb0ES6_jNS0_17counting_iteratorIjlEEPS9_SE_NS0_5tupleIJPjSE_EEENSF_IJSE_SE_EEES9_SG_JZNS1_25segmented_radix_sort_implINS0_14default_configELb0EPKdPdPKlPlN2at6native12_GLOBAL__N_18offset_tEEE10hipError_tPvRmT1_PNSt15iterator_traitsISY_E10value_typeET2_T3_PNSZ_IS14_E10value_typeET4_jRbjT5_S1A_jjP12ihipStream_tbEUljE_EEESV_SW_SX_S14_S18_S1A_T6_T7_T9_mT8_S1C_bDpT10_ENKUlT_T0_E_clISt17integral_constantIbLb1EES1P_EEDaS1K_S1L_EUlS1K_E_NS1_11comp_targetILNS1_3genE8ELNS1_11target_archE1030ELNS1_3gpuE2ELNS1_3repE0EEENS1_30default_config_static_selectorELNS0_4arch9wavefront6targetE1EEEvSY_.uses_vcc, 0
	.set _ZN7rocprim17ROCPRIM_400000_NS6detail17trampoline_kernelINS0_13select_configILj256ELj13ELNS0_17block_load_methodE3ELS4_3ELS4_3ELNS0_20block_scan_algorithmE0ELj4294967295EEENS1_25partition_config_selectorILNS1_17partition_subalgoE3EjNS0_10empty_typeEbEEZZNS1_14partition_implILS8_3ELb0ES6_jNS0_17counting_iteratorIjlEEPS9_SE_NS0_5tupleIJPjSE_EEENSF_IJSE_SE_EEES9_SG_JZNS1_25segmented_radix_sort_implINS0_14default_configELb0EPKdPdPKlPlN2at6native12_GLOBAL__N_18offset_tEEE10hipError_tPvRmT1_PNSt15iterator_traitsISY_E10value_typeET2_T3_PNSZ_IS14_E10value_typeET4_jRbjT5_S1A_jjP12ihipStream_tbEUljE_EEESV_SW_SX_S14_S18_S1A_T6_T7_T9_mT8_S1C_bDpT10_ENKUlT_T0_E_clISt17integral_constantIbLb1EES1P_EEDaS1K_S1L_EUlS1K_E_NS1_11comp_targetILNS1_3genE8ELNS1_11target_archE1030ELNS1_3gpuE2ELNS1_3repE0EEENS1_30default_config_static_selectorELNS0_4arch9wavefront6targetE1EEEvSY_.uses_flat_scratch, 0
	.set _ZN7rocprim17ROCPRIM_400000_NS6detail17trampoline_kernelINS0_13select_configILj256ELj13ELNS0_17block_load_methodE3ELS4_3ELS4_3ELNS0_20block_scan_algorithmE0ELj4294967295EEENS1_25partition_config_selectorILNS1_17partition_subalgoE3EjNS0_10empty_typeEbEEZZNS1_14partition_implILS8_3ELb0ES6_jNS0_17counting_iteratorIjlEEPS9_SE_NS0_5tupleIJPjSE_EEENSF_IJSE_SE_EEES9_SG_JZNS1_25segmented_radix_sort_implINS0_14default_configELb0EPKdPdPKlPlN2at6native12_GLOBAL__N_18offset_tEEE10hipError_tPvRmT1_PNSt15iterator_traitsISY_E10value_typeET2_T3_PNSZ_IS14_E10value_typeET4_jRbjT5_S1A_jjP12ihipStream_tbEUljE_EEESV_SW_SX_S14_S18_S1A_T6_T7_T9_mT8_S1C_bDpT10_ENKUlT_T0_E_clISt17integral_constantIbLb1EES1P_EEDaS1K_S1L_EUlS1K_E_NS1_11comp_targetILNS1_3genE8ELNS1_11target_archE1030ELNS1_3gpuE2ELNS1_3repE0EEENS1_30default_config_static_selectorELNS0_4arch9wavefront6targetE1EEEvSY_.has_dyn_sized_stack, 0
	.set _ZN7rocprim17ROCPRIM_400000_NS6detail17trampoline_kernelINS0_13select_configILj256ELj13ELNS0_17block_load_methodE3ELS4_3ELS4_3ELNS0_20block_scan_algorithmE0ELj4294967295EEENS1_25partition_config_selectorILNS1_17partition_subalgoE3EjNS0_10empty_typeEbEEZZNS1_14partition_implILS8_3ELb0ES6_jNS0_17counting_iteratorIjlEEPS9_SE_NS0_5tupleIJPjSE_EEENSF_IJSE_SE_EEES9_SG_JZNS1_25segmented_radix_sort_implINS0_14default_configELb0EPKdPdPKlPlN2at6native12_GLOBAL__N_18offset_tEEE10hipError_tPvRmT1_PNSt15iterator_traitsISY_E10value_typeET2_T3_PNSZ_IS14_E10value_typeET4_jRbjT5_S1A_jjP12ihipStream_tbEUljE_EEESV_SW_SX_S14_S18_S1A_T6_T7_T9_mT8_S1C_bDpT10_ENKUlT_T0_E_clISt17integral_constantIbLb1EES1P_EEDaS1K_S1L_EUlS1K_E_NS1_11comp_targetILNS1_3genE8ELNS1_11target_archE1030ELNS1_3gpuE2ELNS1_3repE0EEENS1_30default_config_static_selectorELNS0_4arch9wavefront6targetE1EEEvSY_.has_recursion, 0
	.set _ZN7rocprim17ROCPRIM_400000_NS6detail17trampoline_kernelINS0_13select_configILj256ELj13ELNS0_17block_load_methodE3ELS4_3ELS4_3ELNS0_20block_scan_algorithmE0ELj4294967295EEENS1_25partition_config_selectorILNS1_17partition_subalgoE3EjNS0_10empty_typeEbEEZZNS1_14partition_implILS8_3ELb0ES6_jNS0_17counting_iteratorIjlEEPS9_SE_NS0_5tupleIJPjSE_EEENSF_IJSE_SE_EEES9_SG_JZNS1_25segmented_radix_sort_implINS0_14default_configELb0EPKdPdPKlPlN2at6native12_GLOBAL__N_18offset_tEEE10hipError_tPvRmT1_PNSt15iterator_traitsISY_E10value_typeET2_T3_PNSZ_IS14_E10value_typeET4_jRbjT5_S1A_jjP12ihipStream_tbEUljE_EEESV_SW_SX_S14_S18_S1A_T6_T7_T9_mT8_S1C_bDpT10_ENKUlT_T0_E_clISt17integral_constantIbLb1EES1P_EEDaS1K_S1L_EUlS1K_E_NS1_11comp_targetILNS1_3genE8ELNS1_11target_archE1030ELNS1_3gpuE2ELNS1_3repE0EEENS1_30default_config_static_selectorELNS0_4arch9wavefront6targetE1EEEvSY_.has_indirect_call, 0
	.section	.AMDGPU.csdata,"",@progbits
; Kernel info:
; codeLenInByte = 0
; TotalNumSgprs: 4
; NumVgprs: 0
; ScratchSize: 0
; MemoryBound: 0
; FloatMode: 240
; IeeeMode: 1
; LDSByteSize: 0 bytes/workgroup (compile time only)
; SGPRBlocks: 0
; VGPRBlocks: 0
; NumSGPRsForWavesPerEU: 4
; NumVGPRsForWavesPerEU: 1
; Occupancy: 10
; WaveLimiterHint : 0
; COMPUTE_PGM_RSRC2:SCRATCH_EN: 0
; COMPUTE_PGM_RSRC2:USER_SGPR: 6
; COMPUTE_PGM_RSRC2:TRAP_HANDLER: 0
; COMPUTE_PGM_RSRC2:TGID_X_EN: 1
; COMPUTE_PGM_RSRC2:TGID_Y_EN: 0
; COMPUTE_PGM_RSRC2:TGID_Z_EN: 0
; COMPUTE_PGM_RSRC2:TIDIG_COMP_CNT: 0
	.section	.text._ZN7rocprim17ROCPRIM_400000_NS6detail17trampoline_kernelINS0_13select_configILj256ELj13ELNS0_17block_load_methodE3ELS4_3ELS4_3ELNS0_20block_scan_algorithmE0ELj4294967295EEENS1_25partition_config_selectorILNS1_17partition_subalgoE3EjNS0_10empty_typeEbEEZZNS1_14partition_implILS8_3ELb0ES6_jNS0_17counting_iteratorIjlEEPS9_SE_NS0_5tupleIJPjSE_EEENSF_IJSE_SE_EEES9_SG_JZNS1_25segmented_radix_sort_implINS0_14default_configELb0EPKdPdPKlPlN2at6native12_GLOBAL__N_18offset_tEEE10hipError_tPvRmT1_PNSt15iterator_traitsISY_E10value_typeET2_T3_PNSZ_IS14_E10value_typeET4_jRbjT5_S1A_jjP12ihipStream_tbEUljE_EEESV_SW_SX_S14_S18_S1A_T6_T7_T9_mT8_S1C_bDpT10_ENKUlT_T0_E_clISt17integral_constantIbLb1EES1O_IbLb0EEEEDaS1K_S1L_EUlS1K_E_NS1_11comp_targetILNS1_3genE0ELNS1_11target_archE4294967295ELNS1_3gpuE0ELNS1_3repE0EEENS1_30default_config_static_selectorELNS0_4arch9wavefront6targetE1EEEvSY_,"axG",@progbits,_ZN7rocprim17ROCPRIM_400000_NS6detail17trampoline_kernelINS0_13select_configILj256ELj13ELNS0_17block_load_methodE3ELS4_3ELS4_3ELNS0_20block_scan_algorithmE0ELj4294967295EEENS1_25partition_config_selectorILNS1_17partition_subalgoE3EjNS0_10empty_typeEbEEZZNS1_14partition_implILS8_3ELb0ES6_jNS0_17counting_iteratorIjlEEPS9_SE_NS0_5tupleIJPjSE_EEENSF_IJSE_SE_EEES9_SG_JZNS1_25segmented_radix_sort_implINS0_14default_configELb0EPKdPdPKlPlN2at6native12_GLOBAL__N_18offset_tEEE10hipError_tPvRmT1_PNSt15iterator_traitsISY_E10value_typeET2_T3_PNSZ_IS14_E10value_typeET4_jRbjT5_S1A_jjP12ihipStream_tbEUljE_EEESV_SW_SX_S14_S18_S1A_T6_T7_T9_mT8_S1C_bDpT10_ENKUlT_T0_E_clISt17integral_constantIbLb1EES1O_IbLb0EEEEDaS1K_S1L_EUlS1K_E_NS1_11comp_targetILNS1_3genE0ELNS1_11target_archE4294967295ELNS1_3gpuE0ELNS1_3repE0EEENS1_30default_config_static_selectorELNS0_4arch9wavefront6targetE1EEEvSY_,comdat
	.globl	_ZN7rocprim17ROCPRIM_400000_NS6detail17trampoline_kernelINS0_13select_configILj256ELj13ELNS0_17block_load_methodE3ELS4_3ELS4_3ELNS0_20block_scan_algorithmE0ELj4294967295EEENS1_25partition_config_selectorILNS1_17partition_subalgoE3EjNS0_10empty_typeEbEEZZNS1_14partition_implILS8_3ELb0ES6_jNS0_17counting_iteratorIjlEEPS9_SE_NS0_5tupleIJPjSE_EEENSF_IJSE_SE_EEES9_SG_JZNS1_25segmented_radix_sort_implINS0_14default_configELb0EPKdPdPKlPlN2at6native12_GLOBAL__N_18offset_tEEE10hipError_tPvRmT1_PNSt15iterator_traitsISY_E10value_typeET2_T3_PNSZ_IS14_E10value_typeET4_jRbjT5_S1A_jjP12ihipStream_tbEUljE_EEESV_SW_SX_S14_S18_S1A_T6_T7_T9_mT8_S1C_bDpT10_ENKUlT_T0_E_clISt17integral_constantIbLb1EES1O_IbLb0EEEEDaS1K_S1L_EUlS1K_E_NS1_11comp_targetILNS1_3genE0ELNS1_11target_archE4294967295ELNS1_3gpuE0ELNS1_3repE0EEENS1_30default_config_static_selectorELNS0_4arch9wavefront6targetE1EEEvSY_ ; -- Begin function _ZN7rocprim17ROCPRIM_400000_NS6detail17trampoline_kernelINS0_13select_configILj256ELj13ELNS0_17block_load_methodE3ELS4_3ELS4_3ELNS0_20block_scan_algorithmE0ELj4294967295EEENS1_25partition_config_selectorILNS1_17partition_subalgoE3EjNS0_10empty_typeEbEEZZNS1_14partition_implILS8_3ELb0ES6_jNS0_17counting_iteratorIjlEEPS9_SE_NS0_5tupleIJPjSE_EEENSF_IJSE_SE_EEES9_SG_JZNS1_25segmented_radix_sort_implINS0_14default_configELb0EPKdPdPKlPlN2at6native12_GLOBAL__N_18offset_tEEE10hipError_tPvRmT1_PNSt15iterator_traitsISY_E10value_typeET2_T3_PNSZ_IS14_E10value_typeET4_jRbjT5_S1A_jjP12ihipStream_tbEUljE_EEESV_SW_SX_S14_S18_S1A_T6_T7_T9_mT8_S1C_bDpT10_ENKUlT_T0_E_clISt17integral_constantIbLb1EES1O_IbLb0EEEEDaS1K_S1L_EUlS1K_E_NS1_11comp_targetILNS1_3genE0ELNS1_11target_archE4294967295ELNS1_3gpuE0ELNS1_3repE0EEENS1_30default_config_static_selectorELNS0_4arch9wavefront6targetE1EEEvSY_
	.p2align	8
	.type	_ZN7rocprim17ROCPRIM_400000_NS6detail17trampoline_kernelINS0_13select_configILj256ELj13ELNS0_17block_load_methodE3ELS4_3ELS4_3ELNS0_20block_scan_algorithmE0ELj4294967295EEENS1_25partition_config_selectorILNS1_17partition_subalgoE3EjNS0_10empty_typeEbEEZZNS1_14partition_implILS8_3ELb0ES6_jNS0_17counting_iteratorIjlEEPS9_SE_NS0_5tupleIJPjSE_EEENSF_IJSE_SE_EEES9_SG_JZNS1_25segmented_radix_sort_implINS0_14default_configELb0EPKdPdPKlPlN2at6native12_GLOBAL__N_18offset_tEEE10hipError_tPvRmT1_PNSt15iterator_traitsISY_E10value_typeET2_T3_PNSZ_IS14_E10value_typeET4_jRbjT5_S1A_jjP12ihipStream_tbEUljE_EEESV_SW_SX_S14_S18_S1A_T6_T7_T9_mT8_S1C_bDpT10_ENKUlT_T0_E_clISt17integral_constantIbLb1EES1O_IbLb0EEEEDaS1K_S1L_EUlS1K_E_NS1_11comp_targetILNS1_3genE0ELNS1_11target_archE4294967295ELNS1_3gpuE0ELNS1_3repE0EEENS1_30default_config_static_selectorELNS0_4arch9wavefront6targetE1EEEvSY_,@function
_ZN7rocprim17ROCPRIM_400000_NS6detail17trampoline_kernelINS0_13select_configILj256ELj13ELNS0_17block_load_methodE3ELS4_3ELS4_3ELNS0_20block_scan_algorithmE0ELj4294967295EEENS1_25partition_config_selectorILNS1_17partition_subalgoE3EjNS0_10empty_typeEbEEZZNS1_14partition_implILS8_3ELb0ES6_jNS0_17counting_iteratorIjlEEPS9_SE_NS0_5tupleIJPjSE_EEENSF_IJSE_SE_EEES9_SG_JZNS1_25segmented_radix_sort_implINS0_14default_configELb0EPKdPdPKlPlN2at6native12_GLOBAL__N_18offset_tEEE10hipError_tPvRmT1_PNSt15iterator_traitsISY_E10value_typeET2_T3_PNSZ_IS14_E10value_typeET4_jRbjT5_S1A_jjP12ihipStream_tbEUljE_EEESV_SW_SX_S14_S18_S1A_T6_T7_T9_mT8_S1C_bDpT10_ENKUlT_T0_E_clISt17integral_constantIbLb1EES1O_IbLb0EEEEDaS1K_S1L_EUlS1K_E_NS1_11comp_targetILNS1_3genE0ELNS1_11target_archE4294967295ELNS1_3gpuE0ELNS1_3repE0EEENS1_30default_config_static_selectorELNS0_4arch9wavefront6targetE1EEEvSY_: ; @_ZN7rocprim17ROCPRIM_400000_NS6detail17trampoline_kernelINS0_13select_configILj256ELj13ELNS0_17block_load_methodE3ELS4_3ELS4_3ELNS0_20block_scan_algorithmE0ELj4294967295EEENS1_25partition_config_selectorILNS1_17partition_subalgoE3EjNS0_10empty_typeEbEEZZNS1_14partition_implILS8_3ELb0ES6_jNS0_17counting_iteratorIjlEEPS9_SE_NS0_5tupleIJPjSE_EEENSF_IJSE_SE_EEES9_SG_JZNS1_25segmented_radix_sort_implINS0_14default_configELb0EPKdPdPKlPlN2at6native12_GLOBAL__N_18offset_tEEE10hipError_tPvRmT1_PNSt15iterator_traitsISY_E10value_typeET2_T3_PNSZ_IS14_E10value_typeET4_jRbjT5_S1A_jjP12ihipStream_tbEUljE_EEESV_SW_SX_S14_S18_S1A_T6_T7_T9_mT8_S1C_bDpT10_ENKUlT_T0_E_clISt17integral_constantIbLb1EES1O_IbLb0EEEEDaS1K_S1L_EUlS1K_E_NS1_11comp_targetILNS1_3genE0ELNS1_11target_archE4294967295ELNS1_3gpuE0ELNS1_3repE0EEENS1_30default_config_static_selectorELNS0_4arch9wavefront6targetE1EEEvSY_
; %bb.0:
	.section	.rodata,"a",@progbits
	.p2align	6, 0x0
	.amdhsa_kernel _ZN7rocprim17ROCPRIM_400000_NS6detail17trampoline_kernelINS0_13select_configILj256ELj13ELNS0_17block_load_methodE3ELS4_3ELS4_3ELNS0_20block_scan_algorithmE0ELj4294967295EEENS1_25partition_config_selectorILNS1_17partition_subalgoE3EjNS0_10empty_typeEbEEZZNS1_14partition_implILS8_3ELb0ES6_jNS0_17counting_iteratorIjlEEPS9_SE_NS0_5tupleIJPjSE_EEENSF_IJSE_SE_EEES9_SG_JZNS1_25segmented_radix_sort_implINS0_14default_configELb0EPKdPdPKlPlN2at6native12_GLOBAL__N_18offset_tEEE10hipError_tPvRmT1_PNSt15iterator_traitsISY_E10value_typeET2_T3_PNSZ_IS14_E10value_typeET4_jRbjT5_S1A_jjP12ihipStream_tbEUljE_EEESV_SW_SX_S14_S18_S1A_T6_T7_T9_mT8_S1C_bDpT10_ENKUlT_T0_E_clISt17integral_constantIbLb1EES1O_IbLb0EEEEDaS1K_S1L_EUlS1K_E_NS1_11comp_targetILNS1_3genE0ELNS1_11target_archE4294967295ELNS1_3gpuE0ELNS1_3repE0EEENS1_30default_config_static_selectorELNS0_4arch9wavefront6targetE1EEEvSY_
		.amdhsa_group_segment_fixed_size 0
		.amdhsa_private_segment_fixed_size 0
		.amdhsa_kernarg_size 144
		.amdhsa_user_sgpr_count 6
		.amdhsa_user_sgpr_private_segment_buffer 1
		.amdhsa_user_sgpr_dispatch_ptr 0
		.amdhsa_user_sgpr_queue_ptr 0
		.amdhsa_user_sgpr_kernarg_segment_ptr 1
		.amdhsa_user_sgpr_dispatch_id 0
		.amdhsa_user_sgpr_flat_scratch_init 0
		.amdhsa_user_sgpr_private_segment_size 0
		.amdhsa_uses_dynamic_stack 0
		.amdhsa_system_sgpr_private_segment_wavefront_offset 0
		.amdhsa_system_sgpr_workgroup_id_x 1
		.amdhsa_system_sgpr_workgroup_id_y 0
		.amdhsa_system_sgpr_workgroup_id_z 0
		.amdhsa_system_sgpr_workgroup_info 0
		.amdhsa_system_vgpr_workitem_id 0
		.amdhsa_next_free_vgpr 1
		.amdhsa_next_free_sgpr 0
		.amdhsa_reserve_vcc 0
		.amdhsa_reserve_flat_scratch 0
		.amdhsa_float_round_mode_32 0
		.amdhsa_float_round_mode_16_64 0
		.amdhsa_float_denorm_mode_32 3
		.amdhsa_float_denorm_mode_16_64 3
		.amdhsa_dx10_clamp 1
		.amdhsa_ieee_mode 1
		.amdhsa_fp16_overflow 0
		.amdhsa_exception_fp_ieee_invalid_op 0
		.amdhsa_exception_fp_denorm_src 0
		.amdhsa_exception_fp_ieee_div_zero 0
		.amdhsa_exception_fp_ieee_overflow 0
		.amdhsa_exception_fp_ieee_underflow 0
		.amdhsa_exception_fp_ieee_inexact 0
		.amdhsa_exception_int_div_zero 0
	.end_amdhsa_kernel
	.section	.text._ZN7rocprim17ROCPRIM_400000_NS6detail17trampoline_kernelINS0_13select_configILj256ELj13ELNS0_17block_load_methodE3ELS4_3ELS4_3ELNS0_20block_scan_algorithmE0ELj4294967295EEENS1_25partition_config_selectorILNS1_17partition_subalgoE3EjNS0_10empty_typeEbEEZZNS1_14partition_implILS8_3ELb0ES6_jNS0_17counting_iteratorIjlEEPS9_SE_NS0_5tupleIJPjSE_EEENSF_IJSE_SE_EEES9_SG_JZNS1_25segmented_radix_sort_implINS0_14default_configELb0EPKdPdPKlPlN2at6native12_GLOBAL__N_18offset_tEEE10hipError_tPvRmT1_PNSt15iterator_traitsISY_E10value_typeET2_T3_PNSZ_IS14_E10value_typeET4_jRbjT5_S1A_jjP12ihipStream_tbEUljE_EEESV_SW_SX_S14_S18_S1A_T6_T7_T9_mT8_S1C_bDpT10_ENKUlT_T0_E_clISt17integral_constantIbLb1EES1O_IbLb0EEEEDaS1K_S1L_EUlS1K_E_NS1_11comp_targetILNS1_3genE0ELNS1_11target_archE4294967295ELNS1_3gpuE0ELNS1_3repE0EEENS1_30default_config_static_selectorELNS0_4arch9wavefront6targetE1EEEvSY_,"axG",@progbits,_ZN7rocprim17ROCPRIM_400000_NS6detail17trampoline_kernelINS0_13select_configILj256ELj13ELNS0_17block_load_methodE3ELS4_3ELS4_3ELNS0_20block_scan_algorithmE0ELj4294967295EEENS1_25partition_config_selectorILNS1_17partition_subalgoE3EjNS0_10empty_typeEbEEZZNS1_14partition_implILS8_3ELb0ES6_jNS0_17counting_iteratorIjlEEPS9_SE_NS0_5tupleIJPjSE_EEENSF_IJSE_SE_EEES9_SG_JZNS1_25segmented_radix_sort_implINS0_14default_configELb0EPKdPdPKlPlN2at6native12_GLOBAL__N_18offset_tEEE10hipError_tPvRmT1_PNSt15iterator_traitsISY_E10value_typeET2_T3_PNSZ_IS14_E10value_typeET4_jRbjT5_S1A_jjP12ihipStream_tbEUljE_EEESV_SW_SX_S14_S18_S1A_T6_T7_T9_mT8_S1C_bDpT10_ENKUlT_T0_E_clISt17integral_constantIbLb1EES1O_IbLb0EEEEDaS1K_S1L_EUlS1K_E_NS1_11comp_targetILNS1_3genE0ELNS1_11target_archE4294967295ELNS1_3gpuE0ELNS1_3repE0EEENS1_30default_config_static_selectorELNS0_4arch9wavefront6targetE1EEEvSY_,comdat
.Lfunc_end1205:
	.size	_ZN7rocprim17ROCPRIM_400000_NS6detail17trampoline_kernelINS0_13select_configILj256ELj13ELNS0_17block_load_methodE3ELS4_3ELS4_3ELNS0_20block_scan_algorithmE0ELj4294967295EEENS1_25partition_config_selectorILNS1_17partition_subalgoE3EjNS0_10empty_typeEbEEZZNS1_14partition_implILS8_3ELb0ES6_jNS0_17counting_iteratorIjlEEPS9_SE_NS0_5tupleIJPjSE_EEENSF_IJSE_SE_EEES9_SG_JZNS1_25segmented_radix_sort_implINS0_14default_configELb0EPKdPdPKlPlN2at6native12_GLOBAL__N_18offset_tEEE10hipError_tPvRmT1_PNSt15iterator_traitsISY_E10value_typeET2_T3_PNSZ_IS14_E10value_typeET4_jRbjT5_S1A_jjP12ihipStream_tbEUljE_EEESV_SW_SX_S14_S18_S1A_T6_T7_T9_mT8_S1C_bDpT10_ENKUlT_T0_E_clISt17integral_constantIbLb1EES1O_IbLb0EEEEDaS1K_S1L_EUlS1K_E_NS1_11comp_targetILNS1_3genE0ELNS1_11target_archE4294967295ELNS1_3gpuE0ELNS1_3repE0EEENS1_30default_config_static_selectorELNS0_4arch9wavefront6targetE1EEEvSY_, .Lfunc_end1205-_ZN7rocprim17ROCPRIM_400000_NS6detail17trampoline_kernelINS0_13select_configILj256ELj13ELNS0_17block_load_methodE3ELS4_3ELS4_3ELNS0_20block_scan_algorithmE0ELj4294967295EEENS1_25partition_config_selectorILNS1_17partition_subalgoE3EjNS0_10empty_typeEbEEZZNS1_14partition_implILS8_3ELb0ES6_jNS0_17counting_iteratorIjlEEPS9_SE_NS0_5tupleIJPjSE_EEENSF_IJSE_SE_EEES9_SG_JZNS1_25segmented_radix_sort_implINS0_14default_configELb0EPKdPdPKlPlN2at6native12_GLOBAL__N_18offset_tEEE10hipError_tPvRmT1_PNSt15iterator_traitsISY_E10value_typeET2_T3_PNSZ_IS14_E10value_typeET4_jRbjT5_S1A_jjP12ihipStream_tbEUljE_EEESV_SW_SX_S14_S18_S1A_T6_T7_T9_mT8_S1C_bDpT10_ENKUlT_T0_E_clISt17integral_constantIbLb1EES1O_IbLb0EEEEDaS1K_S1L_EUlS1K_E_NS1_11comp_targetILNS1_3genE0ELNS1_11target_archE4294967295ELNS1_3gpuE0ELNS1_3repE0EEENS1_30default_config_static_selectorELNS0_4arch9wavefront6targetE1EEEvSY_
                                        ; -- End function
	.set _ZN7rocprim17ROCPRIM_400000_NS6detail17trampoline_kernelINS0_13select_configILj256ELj13ELNS0_17block_load_methodE3ELS4_3ELS4_3ELNS0_20block_scan_algorithmE0ELj4294967295EEENS1_25partition_config_selectorILNS1_17partition_subalgoE3EjNS0_10empty_typeEbEEZZNS1_14partition_implILS8_3ELb0ES6_jNS0_17counting_iteratorIjlEEPS9_SE_NS0_5tupleIJPjSE_EEENSF_IJSE_SE_EEES9_SG_JZNS1_25segmented_radix_sort_implINS0_14default_configELb0EPKdPdPKlPlN2at6native12_GLOBAL__N_18offset_tEEE10hipError_tPvRmT1_PNSt15iterator_traitsISY_E10value_typeET2_T3_PNSZ_IS14_E10value_typeET4_jRbjT5_S1A_jjP12ihipStream_tbEUljE_EEESV_SW_SX_S14_S18_S1A_T6_T7_T9_mT8_S1C_bDpT10_ENKUlT_T0_E_clISt17integral_constantIbLb1EES1O_IbLb0EEEEDaS1K_S1L_EUlS1K_E_NS1_11comp_targetILNS1_3genE0ELNS1_11target_archE4294967295ELNS1_3gpuE0ELNS1_3repE0EEENS1_30default_config_static_selectorELNS0_4arch9wavefront6targetE1EEEvSY_.num_vgpr, 0
	.set _ZN7rocprim17ROCPRIM_400000_NS6detail17trampoline_kernelINS0_13select_configILj256ELj13ELNS0_17block_load_methodE3ELS4_3ELS4_3ELNS0_20block_scan_algorithmE0ELj4294967295EEENS1_25partition_config_selectorILNS1_17partition_subalgoE3EjNS0_10empty_typeEbEEZZNS1_14partition_implILS8_3ELb0ES6_jNS0_17counting_iteratorIjlEEPS9_SE_NS0_5tupleIJPjSE_EEENSF_IJSE_SE_EEES9_SG_JZNS1_25segmented_radix_sort_implINS0_14default_configELb0EPKdPdPKlPlN2at6native12_GLOBAL__N_18offset_tEEE10hipError_tPvRmT1_PNSt15iterator_traitsISY_E10value_typeET2_T3_PNSZ_IS14_E10value_typeET4_jRbjT5_S1A_jjP12ihipStream_tbEUljE_EEESV_SW_SX_S14_S18_S1A_T6_T7_T9_mT8_S1C_bDpT10_ENKUlT_T0_E_clISt17integral_constantIbLb1EES1O_IbLb0EEEEDaS1K_S1L_EUlS1K_E_NS1_11comp_targetILNS1_3genE0ELNS1_11target_archE4294967295ELNS1_3gpuE0ELNS1_3repE0EEENS1_30default_config_static_selectorELNS0_4arch9wavefront6targetE1EEEvSY_.num_agpr, 0
	.set _ZN7rocprim17ROCPRIM_400000_NS6detail17trampoline_kernelINS0_13select_configILj256ELj13ELNS0_17block_load_methodE3ELS4_3ELS4_3ELNS0_20block_scan_algorithmE0ELj4294967295EEENS1_25partition_config_selectorILNS1_17partition_subalgoE3EjNS0_10empty_typeEbEEZZNS1_14partition_implILS8_3ELb0ES6_jNS0_17counting_iteratorIjlEEPS9_SE_NS0_5tupleIJPjSE_EEENSF_IJSE_SE_EEES9_SG_JZNS1_25segmented_radix_sort_implINS0_14default_configELb0EPKdPdPKlPlN2at6native12_GLOBAL__N_18offset_tEEE10hipError_tPvRmT1_PNSt15iterator_traitsISY_E10value_typeET2_T3_PNSZ_IS14_E10value_typeET4_jRbjT5_S1A_jjP12ihipStream_tbEUljE_EEESV_SW_SX_S14_S18_S1A_T6_T7_T9_mT8_S1C_bDpT10_ENKUlT_T0_E_clISt17integral_constantIbLb1EES1O_IbLb0EEEEDaS1K_S1L_EUlS1K_E_NS1_11comp_targetILNS1_3genE0ELNS1_11target_archE4294967295ELNS1_3gpuE0ELNS1_3repE0EEENS1_30default_config_static_selectorELNS0_4arch9wavefront6targetE1EEEvSY_.numbered_sgpr, 0
	.set _ZN7rocprim17ROCPRIM_400000_NS6detail17trampoline_kernelINS0_13select_configILj256ELj13ELNS0_17block_load_methodE3ELS4_3ELS4_3ELNS0_20block_scan_algorithmE0ELj4294967295EEENS1_25partition_config_selectorILNS1_17partition_subalgoE3EjNS0_10empty_typeEbEEZZNS1_14partition_implILS8_3ELb0ES6_jNS0_17counting_iteratorIjlEEPS9_SE_NS0_5tupleIJPjSE_EEENSF_IJSE_SE_EEES9_SG_JZNS1_25segmented_radix_sort_implINS0_14default_configELb0EPKdPdPKlPlN2at6native12_GLOBAL__N_18offset_tEEE10hipError_tPvRmT1_PNSt15iterator_traitsISY_E10value_typeET2_T3_PNSZ_IS14_E10value_typeET4_jRbjT5_S1A_jjP12ihipStream_tbEUljE_EEESV_SW_SX_S14_S18_S1A_T6_T7_T9_mT8_S1C_bDpT10_ENKUlT_T0_E_clISt17integral_constantIbLb1EES1O_IbLb0EEEEDaS1K_S1L_EUlS1K_E_NS1_11comp_targetILNS1_3genE0ELNS1_11target_archE4294967295ELNS1_3gpuE0ELNS1_3repE0EEENS1_30default_config_static_selectorELNS0_4arch9wavefront6targetE1EEEvSY_.num_named_barrier, 0
	.set _ZN7rocprim17ROCPRIM_400000_NS6detail17trampoline_kernelINS0_13select_configILj256ELj13ELNS0_17block_load_methodE3ELS4_3ELS4_3ELNS0_20block_scan_algorithmE0ELj4294967295EEENS1_25partition_config_selectorILNS1_17partition_subalgoE3EjNS0_10empty_typeEbEEZZNS1_14partition_implILS8_3ELb0ES6_jNS0_17counting_iteratorIjlEEPS9_SE_NS0_5tupleIJPjSE_EEENSF_IJSE_SE_EEES9_SG_JZNS1_25segmented_radix_sort_implINS0_14default_configELb0EPKdPdPKlPlN2at6native12_GLOBAL__N_18offset_tEEE10hipError_tPvRmT1_PNSt15iterator_traitsISY_E10value_typeET2_T3_PNSZ_IS14_E10value_typeET4_jRbjT5_S1A_jjP12ihipStream_tbEUljE_EEESV_SW_SX_S14_S18_S1A_T6_T7_T9_mT8_S1C_bDpT10_ENKUlT_T0_E_clISt17integral_constantIbLb1EES1O_IbLb0EEEEDaS1K_S1L_EUlS1K_E_NS1_11comp_targetILNS1_3genE0ELNS1_11target_archE4294967295ELNS1_3gpuE0ELNS1_3repE0EEENS1_30default_config_static_selectorELNS0_4arch9wavefront6targetE1EEEvSY_.private_seg_size, 0
	.set _ZN7rocprim17ROCPRIM_400000_NS6detail17trampoline_kernelINS0_13select_configILj256ELj13ELNS0_17block_load_methodE3ELS4_3ELS4_3ELNS0_20block_scan_algorithmE0ELj4294967295EEENS1_25partition_config_selectorILNS1_17partition_subalgoE3EjNS0_10empty_typeEbEEZZNS1_14partition_implILS8_3ELb0ES6_jNS0_17counting_iteratorIjlEEPS9_SE_NS0_5tupleIJPjSE_EEENSF_IJSE_SE_EEES9_SG_JZNS1_25segmented_radix_sort_implINS0_14default_configELb0EPKdPdPKlPlN2at6native12_GLOBAL__N_18offset_tEEE10hipError_tPvRmT1_PNSt15iterator_traitsISY_E10value_typeET2_T3_PNSZ_IS14_E10value_typeET4_jRbjT5_S1A_jjP12ihipStream_tbEUljE_EEESV_SW_SX_S14_S18_S1A_T6_T7_T9_mT8_S1C_bDpT10_ENKUlT_T0_E_clISt17integral_constantIbLb1EES1O_IbLb0EEEEDaS1K_S1L_EUlS1K_E_NS1_11comp_targetILNS1_3genE0ELNS1_11target_archE4294967295ELNS1_3gpuE0ELNS1_3repE0EEENS1_30default_config_static_selectorELNS0_4arch9wavefront6targetE1EEEvSY_.uses_vcc, 0
	.set _ZN7rocprim17ROCPRIM_400000_NS6detail17trampoline_kernelINS0_13select_configILj256ELj13ELNS0_17block_load_methodE3ELS4_3ELS4_3ELNS0_20block_scan_algorithmE0ELj4294967295EEENS1_25partition_config_selectorILNS1_17partition_subalgoE3EjNS0_10empty_typeEbEEZZNS1_14partition_implILS8_3ELb0ES6_jNS0_17counting_iteratorIjlEEPS9_SE_NS0_5tupleIJPjSE_EEENSF_IJSE_SE_EEES9_SG_JZNS1_25segmented_radix_sort_implINS0_14default_configELb0EPKdPdPKlPlN2at6native12_GLOBAL__N_18offset_tEEE10hipError_tPvRmT1_PNSt15iterator_traitsISY_E10value_typeET2_T3_PNSZ_IS14_E10value_typeET4_jRbjT5_S1A_jjP12ihipStream_tbEUljE_EEESV_SW_SX_S14_S18_S1A_T6_T7_T9_mT8_S1C_bDpT10_ENKUlT_T0_E_clISt17integral_constantIbLb1EES1O_IbLb0EEEEDaS1K_S1L_EUlS1K_E_NS1_11comp_targetILNS1_3genE0ELNS1_11target_archE4294967295ELNS1_3gpuE0ELNS1_3repE0EEENS1_30default_config_static_selectorELNS0_4arch9wavefront6targetE1EEEvSY_.uses_flat_scratch, 0
	.set _ZN7rocprim17ROCPRIM_400000_NS6detail17trampoline_kernelINS0_13select_configILj256ELj13ELNS0_17block_load_methodE3ELS4_3ELS4_3ELNS0_20block_scan_algorithmE0ELj4294967295EEENS1_25partition_config_selectorILNS1_17partition_subalgoE3EjNS0_10empty_typeEbEEZZNS1_14partition_implILS8_3ELb0ES6_jNS0_17counting_iteratorIjlEEPS9_SE_NS0_5tupleIJPjSE_EEENSF_IJSE_SE_EEES9_SG_JZNS1_25segmented_radix_sort_implINS0_14default_configELb0EPKdPdPKlPlN2at6native12_GLOBAL__N_18offset_tEEE10hipError_tPvRmT1_PNSt15iterator_traitsISY_E10value_typeET2_T3_PNSZ_IS14_E10value_typeET4_jRbjT5_S1A_jjP12ihipStream_tbEUljE_EEESV_SW_SX_S14_S18_S1A_T6_T7_T9_mT8_S1C_bDpT10_ENKUlT_T0_E_clISt17integral_constantIbLb1EES1O_IbLb0EEEEDaS1K_S1L_EUlS1K_E_NS1_11comp_targetILNS1_3genE0ELNS1_11target_archE4294967295ELNS1_3gpuE0ELNS1_3repE0EEENS1_30default_config_static_selectorELNS0_4arch9wavefront6targetE1EEEvSY_.has_dyn_sized_stack, 0
	.set _ZN7rocprim17ROCPRIM_400000_NS6detail17trampoline_kernelINS0_13select_configILj256ELj13ELNS0_17block_load_methodE3ELS4_3ELS4_3ELNS0_20block_scan_algorithmE0ELj4294967295EEENS1_25partition_config_selectorILNS1_17partition_subalgoE3EjNS0_10empty_typeEbEEZZNS1_14partition_implILS8_3ELb0ES6_jNS0_17counting_iteratorIjlEEPS9_SE_NS0_5tupleIJPjSE_EEENSF_IJSE_SE_EEES9_SG_JZNS1_25segmented_radix_sort_implINS0_14default_configELb0EPKdPdPKlPlN2at6native12_GLOBAL__N_18offset_tEEE10hipError_tPvRmT1_PNSt15iterator_traitsISY_E10value_typeET2_T3_PNSZ_IS14_E10value_typeET4_jRbjT5_S1A_jjP12ihipStream_tbEUljE_EEESV_SW_SX_S14_S18_S1A_T6_T7_T9_mT8_S1C_bDpT10_ENKUlT_T0_E_clISt17integral_constantIbLb1EES1O_IbLb0EEEEDaS1K_S1L_EUlS1K_E_NS1_11comp_targetILNS1_3genE0ELNS1_11target_archE4294967295ELNS1_3gpuE0ELNS1_3repE0EEENS1_30default_config_static_selectorELNS0_4arch9wavefront6targetE1EEEvSY_.has_recursion, 0
	.set _ZN7rocprim17ROCPRIM_400000_NS6detail17trampoline_kernelINS0_13select_configILj256ELj13ELNS0_17block_load_methodE3ELS4_3ELS4_3ELNS0_20block_scan_algorithmE0ELj4294967295EEENS1_25partition_config_selectorILNS1_17partition_subalgoE3EjNS0_10empty_typeEbEEZZNS1_14partition_implILS8_3ELb0ES6_jNS0_17counting_iteratorIjlEEPS9_SE_NS0_5tupleIJPjSE_EEENSF_IJSE_SE_EEES9_SG_JZNS1_25segmented_radix_sort_implINS0_14default_configELb0EPKdPdPKlPlN2at6native12_GLOBAL__N_18offset_tEEE10hipError_tPvRmT1_PNSt15iterator_traitsISY_E10value_typeET2_T3_PNSZ_IS14_E10value_typeET4_jRbjT5_S1A_jjP12ihipStream_tbEUljE_EEESV_SW_SX_S14_S18_S1A_T6_T7_T9_mT8_S1C_bDpT10_ENKUlT_T0_E_clISt17integral_constantIbLb1EES1O_IbLb0EEEEDaS1K_S1L_EUlS1K_E_NS1_11comp_targetILNS1_3genE0ELNS1_11target_archE4294967295ELNS1_3gpuE0ELNS1_3repE0EEENS1_30default_config_static_selectorELNS0_4arch9wavefront6targetE1EEEvSY_.has_indirect_call, 0
	.section	.AMDGPU.csdata,"",@progbits
; Kernel info:
; codeLenInByte = 0
; TotalNumSgprs: 4
; NumVgprs: 0
; ScratchSize: 0
; MemoryBound: 0
; FloatMode: 240
; IeeeMode: 1
; LDSByteSize: 0 bytes/workgroup (compile time only)
; SGPRBlocks: 0
; VGPRBlocks: 0
; NumSGPRsForWavesPerEU: 4
; NumVGPRsForWavesPerEU: 1
; Occupancy: 10
; WaveLimiterHint : 0
; COMPUTE_PGM_RSRC2:SCRATCH_EN: 0
; COMPUTE_PGM_RSRC2:USER_SGPR: 6
; COMPUTE_PGM_RSRC2:TRAP_HANDLER: 0
; COMPUTE_PGM_RSRC2:TGID_X_EN: 1
; COMPUTE_PGM_RSRC2:TGID_Y_EN: 0
; COMPUTE_PGM_RSRC2:TGID_Z_EN: 0
; COMPUTE_PGM_RSRC2:TIDIG_COMP_CNT: 0
	.section	.text._ZN7rocprim17ROCPRIM_400000_NS6detail17trampoline_kernelINS0_13select_configILj256ELj13ELNS0_17block_load_methodE3ELS4_3ELS4_3ELNS0_20block_scan_algorithmE0ELj4294967295EEENS1_25partition_config_selectorILNS1_17partition_subalgoE3EjNS0_10empty_typeEbEEZZNS1_14partition_implILS8_3ELb0ES6_jNS0_17counting_iteratorIjlEEPS9_SE_NS0_5tupleIJPjSE_EEENSF_IJSE_SE_EEES9_SG_JZNS1_25segmented_radix_sort_implINS0_14default_configELb0EPKdPdPKlPlN2at6native12_GLOBAL__N_18offset_tEEE10hipError_tPvRmT1_PNSt15iterator_traitsISY_E10value_typeET2_T3_PNSZ_IS14_E10value_typeET4_jRbjT5_S1A_jjP12ihipStream_tbEUljE_EEESV_SW_SX_S14_S18_S1A_T6_T7_T9_mT8_S1C_bDpT10_ENKUlT_T0_E_clISt17integral_constantIbLb1EES1O_IbLb0EEEEDaS1K_S1L_EUlS1K_E_NS1_11comp_targetILNS1_3genE5ELNS1_11target_archE942ELNS1_3gpuE9ELNS1_3repE0EEENS1_30default_config_static_selectorELNS0_4arch9wavefront6targetE1EEEvSY_,"axG",@progbits,_ZN7rocprim17ROCPRIM_400000_NS6detail17trampoline_kernelINS0_13select_configILj256ELj13ELNS0_17block_load_methodE3ELS4_3ELS4_3ELNS0_20block_scan_algorithmE0ELj4294967295EEENS1_25partition_config_selectorILNS1_17partition_subalgoE3EjNS0_10empty_typeEbEEZZNS1_14partition_implILS8_3ELb0ES6_jNS0_17counting_iteratorIjlEEPS9_SE_NS0_5tupleIJPjSE_EEENSF_IJSE_SE_EEES9_SG_JZNS1_25segmented_radix_sort_implINS0_14default_configELb0EPKdPdPKlPlN2at6native12_GLOBAL__N_18offset_tEEE10hipError_tPvRmT1_PNSt15iterator_traitsISY_E10value_typeET2_T3_PNSZ_IS14_E10value_typeET4_jRbjT5_S1A_jjP12ihipStream_tbEUljE_EEESV_SW_SX_S14_S18_S1A_T6_T7_T9_mT8_S1C_bDpT10_ENKUlT_T0_E_clISt17integral_constantIbLb1EES1O_IbLb0EEEEDaS1K_S1L_EUlS1K_E_NS1_11comp_targetILNS1_3genE5ELNS1_11target_archE942ELNS1_3gpuE9ELNS1_3repE0EEENS1_30default_config_static_selectorELNS0_4arch9wavefront6targetE1EEEvSY_,comdat
	.globl	_ZN7rocprim17ROCPRIM_400000_NS6detail17trampoline_kernelINS0_13select_configILj256ELj13ELNS0_17block_load_methodE3ELS4_3ELS4_3ELNS0_20block_scan_algorithmE0ELj4294967295EEENS1_25partition_config_selectorILNS1_17partition_subalgoE3EjNS0_10empty_typeEbEEZZNS1_14partition_implILS8_3ELb0ES6_jNS0_17counting_iteratorIjlEEPS9_SE_NS0_5tupleIJPjSE_EEENSF_IJSE_SE_EEES9_SG_JZNS1_25segmented_radix_sort_implINS0_14default_configELb0EPKdPdPKlPlN2at6native12_GLOBAL__N_18offset_tEEE10hipError_tPvRmT1_PNSt15iterator_traitsISY_E10value_typeET2_T3_PNSZ_IS14_E10value_typeET4_jRbjT5_S1A_jjP12ihipStream_tbEUljE_EEESV_SW_SX_S14_S18_S1A_T6_T7_T9_mT8_S1C_bDpT10_ENKUlT_T0_E_clISt17integral_constantIbLb1EES1O_IbLb0EEEEDaS1K_S1L_EUlS1K_E_NS1_11comp_targetILNS1_3genE5ELNS1_11target_archE942ELNS1_3gpuE9ELNS1_3repE0EEENS1_30default_config_static_selectorELNS0_4arch9wavefront6targetE1EEEvSY_ ; -- Begin function _ZN7rocprim17ROCPRIM_400000_NS6detail17trampoline_kernelINS0_13select_configILj256ELj13ELNS0_17block_load_methodE3ELS4_3ELS4_3ELNS0_20block_scan_algorithmE0ELj4294967295EEENS1_25partition_config_selectorILNS1_17partition_subalgoE3EjNS0_10empty_typeEbEEZZNS1_14partition_implILS8_3ELb0ES6_jNS0_17counting_iteratorIjlEEPS9_SE_NS0_5tupleIJPjSE_EEENSF_IJSE_SE_EEES9_SG_JZNS1_25segmented_radix_sort_implINS0_14default_configELb0EPKdPdPKlPlN2at6native12_GLOBAL__N_18offset_tEEE10hipError_tPvRmT1_PNSt15iterator_traitsISY_E10value_typeET2_T3_PNSZ_IS14_E10value_typeET4_jRbjT5_S1A_jjP12ihipStream_tbEUljE_EEESV_SW_SX_S14_S18_S1A_T6_T7_T9_mT8_S1C_bDpT10_ENKUlT_T0_E_clISt17integral_constantIbLb1EES1O_IbLb0EEEEDaS1K_S1L_EUlS1K_E_NS1_11comp_targetILNS1_3genE5ELNS1_11target_archE942ELNS1_3gpuE9ELNS1_3repE0EEENS1_30default_config_static_selectorELNS0_4arch9wavefront6targetE1EEEvSY_
	.p2align	8
	.type	_ZN7rocprim17ROCPRIM_400000_NS6detail17trampoline_kernelINS0_13select_configILj256ELj13ELNS0_17block_load_methodE3ELS4_3ELS4_3ELNS0_20block_scan_algorithmE0ELj4294967295EEENS1_25partition_config_selectorILNS1_17partition_subalgoE3EjNS0_10empty_typeEbEEZZNS1_14partition_implILS8_3ELb0ES6_jNS0_17counting_iteratorIjlEEPS9_SE_NS0_5tupleIJPjSE_EEENSF_IJSE_SE_EEES9_SG_JZNS1_25segmented_radix_sort_implINS0_14default_configELb0EPKdPdPKlPlN2at6native12_GLOBAL__N_18offset_tEEE10hipError_tPvRmT1_PNSt15iterator_traitsISY_E10value_typeET2_T3_PNSZ_IS14_E10value_typeET4_jRbjT5_S1A_jjP12ihipStream_tbEUljE_EEESV_SW_SX_S14_S18_S1A_T6_T7_T9_mT8_S1C_bDpT10_ENKUlT_T0_E_clISt17integral_constantIbLb1EES1O_IbLb0EEEEDaS1K_S1L_EUlS1K_E_NS1_11comp_targetILNS1_3genE5ELNS1_11target_archE942ELNS1_3gpuE9ELNS1_3repE0EEENS1_30default_config_static_selectorELNS0_4arch9wavefront6targetE1EEEvSY_,@function
_ZN7rocprim17ROCPRIM_400000_NS6detail17trampoline_kernelINS0_13select_configILj256ELj13ELNS0_17block_load_methodE3ELS4_3ELS4_3ELNS0_20block_scan_algorithmE0ELj4294967295EEENS1_25partition_config_selectorILNS1_17partition_subalgoE3EjNS0_10empty_typeEbEEZZNS1_14partition_implILS8_3ELb0ES6_jNS0_17counting_iteratorIjlEEPS9_SE_NS0_5tupleIJPjSE_EEENSF_IJSE_SE_EEES9_SG_JZNS1_25segmented_radix_sort_implINS0_14default_configELb0EPKdPdPKlPlN2at6native12_GLOBAL__N_18offset_tEEE10hipError_tPvRmT1_PNSt15iterator_traitsISY_E10value_typeET2_T3_PNSZ_IS14_E10value_typeET4_jRbjT5_S1A_jjP12ihipStream_tbEUljE_EEESV_SW_SX_S14_S18_S1A_T6_T7_T9_mT8_S1C_bDpT10_ENKUlT_T0_E_clISt17integral_constantIbLb1EES1O_IbLb0EEEEDaS1K_S1L_EUlS1K_E_NS1_11comp_targetILNS1_3genE5ELNS1_11target_archE942ELNS1_3gpuE9ELNS1_3repE0EEENS1_30default_config_static_selectorELNS0_4arch9wavefront6targetE1EEEvSY_: ; @_ZN7rocprim17ROCPRIM_400000_NS6detail17trampoline_kernelINS0_13select_configILj256ELj13ELNS0_17block_load_methodE3ELS4_3ELS4_3ELNS0_20block_scan_algorithmE0ELj4294967295EEENS1_25partition_config_selectorILNS1_17partition_subalgoE3EjNS0_10empty_typeEbEEZZNS1_14partition_implILS8_3ELb0ES6_jNS0_17counting_iteratorIjlEEPS9_SE_NS0_5tupleIJPjSE_EEENSF_IJSE_SE_EEES9_SG_JZNS1_25segmented_radix_sort_implINS0_14default_configELb0EPKdPdPKlPlN2at6native12_GLOBAL__N_18offset_tEEE10hipError_tPvRmT1_PNSt15iterator_traitsISY_E10value_typeET2_T3_PNSZ_IS14_E10value_typeET4_jRbjT5_S1A_jjP12ihipStream_tbEUljE_EEESV_SW_SX_S14_S18_S1A_T6_T7_T9_mT8_S1C_bDpT10_ENKUlT_T0_E_clISt17integral_constantIbLb1EES1O_IbLb0EEEEDaS1K_S1L_EUlS1K_E_NS1_11comp_targetILNS1_3genE5ELNS1_11target_archE942ELNS1_3gpuE9ELNS1_3repE0EEENS1_30default_config_static_selectorELNS0_4arch9wavefront6targetE1EEEvSY_
; %bb.0:
	.section	.rodata,"a",@progbits
	.p2align	6, 0x0
	.amdhsa_kernel _ZN7rocprim17ROCPRIM_400000_NS6detail17trampoline_kernelINS0_13select_configILj256ELj13ELNS0_17block_load_methodE3ELS4_3ELS4_3ELNS0_20block_scan_algorithmE0ELj4294967295EEENS1_25partition_config_selectorILNS1_17partition_subalgoE3EjNS0_10empty_typeEbEEZZNS1_14partition_implILS8_3ELb0ES6_jNS0_17counting_iteratorIjlEEPS9_SE_NS0_5tupleIJPjSE_EEENSF_IJSE_SE_EEES9_SG_JZNS1_25segmented_radix_sort_implINS0_14default_configELb0EPKdPdPKlPlN2at6native12_GLOBAL__N_18offset_tEEE10hipError_tPvRmT1_PNSt15iterator_traitsISY_E10value_typeET2_T3_PNSZ_IS14_E10value_typeET4_jRbjT5_S1A_jjP12ihipStream_tbEUljE_EEESV_SW_SX_S14_S18_S1A_T6_T7_T9_mT8_S1C_bDpT10_ENKUlT_T0_E_clISt17integral_constantIbLb1EES1O_IbLb0EEEEDaS1K_S1L_EUlS1K_E_NS1_11comp_targetILNS1_3genE5ELNS1_11target_archE942ELNS1_3gpuE9ELNS1_3repE0EEENS1_30default_config_static_selectorELNS0_4arch9wavefront6targetE1EEEvSY_
		.amdhsa_group_segment_fixed_size 0
		.amdhsa_private_segment_fixed_size 0
		.amdhsa_kernarg_size 144
		.amdhsa_user_sgpr_count 6
		.amdhsa_user_sgpr_private_segment_buffer 1
		.amdhsa_user_sgpr_dispatch_ptr 0
		.amdhsa_user_sgpr_queue_ptr 0
		.amdhsa_user_sgpr_kernarg_segment_ptr 1
		.amdhsa_user_sgpr_dispatch_id 0
		.amdhsa_user_sgpr_flat_scratch_init 0
		.amdhsa_user_sgpr_private_segment_size 0
		.amdhsa_uses_dynamic_stack 0
		.amdhsa_system_sgpr_private_segment_wavefront_offset 0
		.amdhsa_system_sgpr_workgroup_id_x 1
		.amdhsa_system_sgpr_workgroup_id_y 0
		.amdhsa_system_sgpr_workgroup_id_z 0
		.amdhsa_system_sgpr_workgroup_info 0
		.amdhsa_system_vgpr_workitem_id 0
		.amdhsa_next_free_vgpr 1
		.amdhsa_next_free_sgpr 0
		.amdhsa_reserve_vcc 0
		.amdhsa_reserve_flat_scratch 0
		.amdhsa_float_round_mode_32 0
		.amdhsa_float_round_mode_16_64 0
		.amdhsa_float_denorm_mode_32 3
		.amdhsa_float_denorm_mode_16_64 3
		.amdhsa_dx10_clamp 1
		.amdhsa_ieee_mode 1
		.amdhsa_fp16_overflow 0
		.amdhsa_exception_fp_ieee_invalid_op 0
		.amdhsa_exception_fp_denorm_src 0
		.amdhsa_exception_fp_ieee_div_zero 0
		.amdhsa_exception_fp_ieee_overflow 0
		.amdhsa_exception_fp_ieee_underflow 0
		.amdhsa_exception_fp_ieee_inexact 0
		.amdhsa_exception_int_div_zero 0
	.end_amdhsa_kernel
	.section	.text._ZN7rocprim17ROCPRIM_400000_NS6detail17trampoline_kernelINS0_13select_configILj256ELj13ELNS0_17block_load_methodE3ELS4_3ELS4_3ELNS0_20block_scan_algorithmE0ELj4294967295EEENS1_25partition_config_selectorILNS1_17partition_subalgoE3EjNS0_10empty_typeEbEEZZNS1_14partition_implILS8_3ELb0ES6_jNS0_17counting_iteratorIjlEEPS9_SE_NS0_5tupleIJPjSE_EEENSF_IJSE_SE_EEES9_SG_JZNS1_25segmented_radix_sort_implINS0_14default_configELb0EPKdPdPKlPlN2at6native12_GLOBAL__N_18offset_tEEE10hipError_tPvRmT1_PNSt15iterator_traitsISY_E10value_typeET2_T3_PNSZ_IS14_E10value_typeET4_jRbjT5_S1A_jjP12ihipStream_tbEUljE_EEESV_SW_SX_S14_S18_S1A_T6_T7_T9_mT8_S1C_bDpT10_ENKUlT_T0_E_clISt17integral_constantIbLb1EES1O_IbLb0EEEEDaS1K_S1L_EUlS1K_E_NS1_11comp_targetILNS1_3genE5ELNS1_11target_archE942ELNS1_3gpuE9ELNS1_3repE0EEENS1_30default_config_static_selectorELNS0_4arch9wavefront6targetE1EEEvSY_,"axG",@progbits,_ZN7rocprim17ROCPRIM_400000_NS6detail17trampoline_kernelINS0_13select_configILj256ELj13ELNS0_17block_load_methodE3ELS4_3ELS4_3ELNS0_20block_scan_algorithmE0ELj4294967295EEENS1_25partition_config_selectorILNS1_17partition_subalgoE3EjNS0_10empty_typeEbEEZZNS1_14partition_implILS8_3ELb0ES6_jNS0_17counting_iteratorIjlEEPS9_SE_NS0_5tupleIJPjSE_EEENSF_IJSE_SE_EEES9_SG_JZNS1_25segmented_radix_sort_implINS0_14default_configELb0EPKdPdPKlPlN2at6native12_GLOBAL__N_18offset_tEEE10hipError_tPvRmT1_PNSt15iterator_traitsISY_E10value_typeET2_T3_PNSZ_IS14_E10value_typeET4_jRbjT5_S1A_jjP12ihipStream_tbEUljE_EEESV_SW_SX_S14_S18_S1A_T6_T7_T9_mT8_S1C_bDpT10_ENKUlT_T0_E_clISt17integral_constantIbLb1EES1O_IbLb0EEEEDaS1K_S1L_EUlS1K_E_NS1_11comp_targetILNS1_3genE5ELNS1_11target_archE942ELNS1_3gpuE9ELNS1_3repE0EEENS1_30default_config_static_selectorELNS0_4arch9wavefront6targetE1EEEvSY_,comdat
.Lfunc_end1206:
	.size	_ZN7rocprim17ROCPRIM_400000_NS6detail17trampoline_kernelINS0_13select_configILj256ELj13ELNS0_17block_load_methodE3ELS4_3ELS4_3ELNS0_20block_scan_algorithmE0ELj4294967295EEENS1_25partition_config_selectorILNS1_17partition_subalgoE3EjNS0_10empty_typeEbEEZZNS1_14partition_implILS8_3ELb0ES6_jNS0_17counting_iteratorIjlEEPS9_SE_NS0_5tupleIJPjSE_EEENSF_IJSE_SE_EEES9_SG_JZNS1_25segmented_radix_sort_implINS0_14default_configELb0EPKdPdPKlPlN2at6native12_GLOBAL__N_18offset_tEEE10hipError_tPvRmT1_PNSt15iterator_traitsISY_E10value_typeET2_T3_PNSZ_IS14_E10value_typeET4_jRbjT5_S1A_jjP12ihipStream_tbEUljE_EEESV_SW_SX_S14_S18_S1A_T6_T7_T9_mT8_S1C_bDpT10_ENKUlT_T0_E_clISt17integral_constantIbLb1EES1O_IbLb0EEEEDaS1K_S1L_EUlS1K_E_NS1_11comp_targetILNS1_3genE5ELNS1_11target_archE942ELNS1_3gpuE9ELNS1_3repE0EEENS1_30default_config_static_selectorELNS0_4arch9wavefront6targetE1EEEvSY_, .Lfunc_end1206-_ZN7rocprim17ROCPRIM_400000_NS6detail17trampoline_kernelINS0_13select_configILj256ELj13ELNS0_17block_load_methodE3ELS4_3ELS4_3ELNS0_20block_scan_algorithmE0ELj4294967295EEENS1_25partition_config_selectorILNS1_17partition_subalgoE3EjNS0_10empty_typeEbEEZZNS1_14partition_implILS8_3ELb0ES6_jNS0_17counting_iteratorIjlEEPS9_SE_NS0_5tupleIJPjSE_EEENSF_IJSE_SE_EEES9_SG_JZNS1_25segmented_radix_sort_implINS0_14default_configELb0EPKdPdPKlPlN2at6native12_GLOBAL__N_18offset_tEEE10hipError_tPvRmT1_PNSt15iterator_traitsISY_E10value_typeET2_T3_PNSZ_IS14_E10value_typeET4_jRbjT5_S1A_jjP12ihipStream_tbEUljE_EEESV_SW_SX_S14_S18_S1A_T6_T7_T9_mT8_S1C_bDpT10_ENKUlT_T0_E_clISt17integral_constantIbLb1EES1O_IbLb0EEEEDaS1K_S1L_EUlS1K_E_NS1_11comp_targetILNS1_3genE5ELNS1_11target_archE942ELNS1_3gpuE9ELNS1_3repE0EEENS1_30default_config_static_selectorELNS0_4arch9wavefront6targetE1EEEvSY_
                                        ; -- End function
	.set _ZN7rocprim17ROCPRIM_400000_NS6detail17trampoline_kernelINS0_13select_configILj256ELj13ELNS0_17block_load_methodE3ELS4_3ELS4_3ELNS0_20block_scan_algorithmE0ELj4294967295EEENS1_25partition_config_selectorILNS1_17partition_subalgoE3EjNS0_10empty_typeEbEEZZNS1_14partition_implILS8_3ELb0ES6_jNS0_17counting_iteratorIjlEEPS9_SE_NS0_5tupleIJPjSE_EEENSF_IJSE_SE_EEES9_SG_JZNS1_25segmented_radix_sort_implINS0_14default_configELb0EPKdPdPKlPlN2at6native12_GLOBAL__N_18offset_tEEE10hipError_tPvRmT1_PNSt15iterator_traitsISY_E10value_typeET2_T3_PNSZ_IS14_E10value_typeET4_jRbjT5_S1A_jjP12ihipStream_tbEUljE_EEESV_SW_SX_S14_S18_S1A_T6_T7_T9_mT8_S1C_bDpT10_ENKUlT_T0_E_clISt17integral_constantIbLb1EES1O_IbLb0EEEEDaS1K_S1L_EUlS1K_E_NS1_11comp_targetILNS1_3genE5ELNS1_11target_archE942ELNS1_3gpuE9ELNS1_3repE0EEENS1_30default_config_static_selectorELNS0_4arch9wavefront6targetE1EEEvSY_.num_vgpr, 0
	.set _ZN7rocprim17ROCPRIM_400000_NS6detail17trampoline_kernelINS0_13select_configILj256ELj13ELNS0_17block_load_methodE3ELS4_3ELS4_3ELNS0_20block_scan_algorithmE0ELj4294967295EEENS1_25partition_config_selectorILNS1_17partition_subalgoE3EjNS0_10empty_typeEbEEZZNS1_14partition_implILS8_3ELb0ES6_jNS0_17counting_iteratorIjlEEPS9_SE_NS0_5tupleIJPjSE_EEENSF_IJSE_SE_EEES9_SG_JZNS1_25segmented_radix_sort_implINS0_14default_configELb0EPKdPdPKlPlN2at6native12_GLOBAL__N_18offset_tEEE10hipError_tPvRmT1_PNSt15iterator_traitsISY_E10value_typeET2_T3_PNSZ_IS14_E10value_typeET4_jRbjT5_S1A_jjP12ihipStream_tbEUljE_EEESV_SW_SX_S14_S18_S1A_T6_T7_T9_mT8_S1C_bDpT10_ENKUlT_T0_E_clISt17integral_constantIbLb1EES1O_IbLb0EEEEDaS1K_S1L_EUlS1K_E_NS1_11comp_targetILNS1_3genE5ELNS1_11target_archE942ELNS1_3gpuE9ELNS1_3repE0EEENS1_30default_config_static_selectorELNS0_4arch9wavefront6targetE1EEEvSY_.num_agpr, 0
	.set _ZN7rocprim17ROCPRIM_400000_NS6detail17trampoline_kernelINS0_13select_configILj256ELj13ELNS0_17block_load_methodE3ELS4_3ELS4_3ELNS0_20block_scan_algorithmE0ELj4294967295EEENS1_25partition_config_selectorILNS1_17partition_subalgoE3EjNS0_10empty_typeEbEEZZNS1_14partition_implILS8_3ELb0ES6_jNS0_17counting_iteratorIjlEEPS9_SE_NS0_5tupleIJPjSE_EEENSF_IJSE_SE_EEES9_SG_JZNS1_25segmented_radix_sort_implINS0_14default_configELb0EPKdPdPKlPlN2at6native12_GLOBAL__N_18offset_tEEE10hipError_tPvRmT1_PNSt15iterator_traitsISY_E10value_typeET2_T3_PNSZ_IS14_E10value_typeET4_jRbjT5_S1A_jjP12ihipStream_tbEUljE_EEESV_SW_SX_S14_S18_S1A_T6_T7_T9_mT8_S1C_bDpT10_ENKUlT_T0_E_clISt17integral_constantIbLb1EES1O_IbLb0EEEEDaS1K_S1L_EUlS1K_E_NS1_11comp_targetILNS1_3genE5ELNS1_11target_archE942ELNS1_3gpuE9ELNS1_3repE0EEENS1_30default_config_static_selectorELNS0_4arch9wavefront6targetE1EEEvSY_.numbered_sgpr, 0
	.set _ZN7rocprim17ROCPRIM_400000_NS6detail17trampoline_kernelINS0_13select_configILj256ELj13ELNS0_17block_load_methodE3ELS4_3ELS4_3ELNS0_20block_scan_algorithmE0ELj4294967295EEENS1_25partition_config_selectorILNS1_17partition_subalgoE3EjNS0_10empty_typeEbEEZZNS1_14partition_implILS8_3ELb0ES6_jNS0_17counting_iteratorIjlEEPS9_SE_NS0_5tupleIJPjSE_EEENSF_IJSE_SE_EEES9_SG_JZNS1_25segmented_radix_sort_implINS0_14default_configELb0EPKdPdPKlPlN2at6native12_GLOBAL__N_18offset_tEEE10hipError_tPvRmT1_PNSt15iterator_traitsISY_E10value_typeET2_T3_PNSZ_IS14_E10value_typeET4_jRbjT5_S1A_jjP12ihipStream_tbEUljE_EEESV_SW_SX_S14_S18_S1A_T6_T7_T9_mT8_S1C_bDpT10_ENKUlT_T0_E_clISt17integral_constantIbLb1EES1O_IbLb0EEEEDaS1K_S1L_EUlS1K_E_NS1_11comp_targetILNS1_3genE5ELNS1_11target_archE942ELNS1_3gpuE9ELNS1_3repE0EEENS1_30default_config_static_selectorELNS0_4arch9wavefront6targetE1EEEvSY_.num_named_barrier, 0
	.set _ZN7rocprim17ROCPRIM_400000_NS6detail17trampoline_kernelINS0_13select_configILj256ELj13ELNS0_17block_load_methodE3ELS4_3ELS4_3ELNS0_20block_scan_algorithmE0ELj4294967295EEENS1_25partition_config_selectorILNS1_17partition_subalgoE3EjNS0_10empty_typeEbEEZZNS1_14partition_implILS8_3ELb0ES6_jNS0_17counting_iteratorIjlEEPS9_SE_NS0_5tupleIJPjSE_EEENSF_IJSE_SE_EEES9_SG_JZNS1_25segmented_radix_sort_implINS0_14default_configELb0EPKdPdPKlPlN2at6native12_GLOBAL__N_18offset_tEEE10hipError_tPvRmT1_PNSt15iterator_traitsISY_E10value_typeET2_T3_PNSZ_IS14_E10value_typeET4_jRbjT5_S1A_jjP12ihipStream_tbEUljE_EEESV_SW_SX_S14_S18_S1A_T6_T7_T9_mT8_S1C_bDpT10_ENKUlT_T0_E_clISt17integral_constantIbLb1EES1O_IbLb0EEEEDaS1K_S1L_EUlS1K_E_NS1_11comp_targetILNS1_3genE5ELNS1_11target_archE942ELNS1_3gpuE9ELNS1_3repE0EEENS1_30default_config_static_selectorELNS0_4arch9wavefront6targetE1EEEvSY_.private_seg_size, 0
	.set _ZN7rocprim17ROCPRIM_400000_NS6detail17trampoline_kernelINS0_13select_configILj256ELj13ELNS0_17block_load_methodE3ELS4_3ELS4_3ELNS0_20block_scan_algorithmE0ELj4294967295EEENS1_25partition_config_selectorILNS1_17partition_subalgoE3EjNS0_10empty_typeEbEEZZNS1_14partition_implILS8_3ELb0ES6_jNS0_17counting_iteratorIjlEEPS9_SE_NS0_5tupleIJPjSE_EEENSF_IJSE_SE_EEES9_SG_JZNS1_25segmented_radix_sort_implINS0_14default_configELb0EPKdPdPKlPlN2at6native12_GLOBAL__N_18offset_tEEE10hipError_tPvRmT1_PNSt15iterator_traitsISY_E10value_typeET2_T3_PNSZ_IS14_E10value_typeET4_jRbjT5_S1A_jjP12ihipStream_tbEUljE_EEESV_SW_SX_S14_S18_S1A_T6_T7_T9_mT8_S1C_bDpT10_ENKUlT_T0_E_clISt17integral_constantIbLb1EES1O_IbLb0EEEEDaS1K_S1L_EUlS1K_E_NS1_11comp_targetILNS1_3genE5ELNS1_11target_archE942ELNS1_3gpuE9ELNS1_3repE0EEENS1_30default_config_static_selectorELNS0_4arch9wavefront6targetE1EEEvSY_.uses_vcc, 0
	.set _ZN7rocprim17ROCPRIM_400000_NS6detail17trampoline_kernelINS0_13select_configILj256ELj13ELNS0_17block_load_methodE3ELS4_3ELS4_3ELNS0_20block_scan_algorithmE0ELj4294967295EEENS1_25partition_config_selectorILNS1_17partition_subalgoE3EjNS0_10empty_typeEbEEZZNS1_14partition_implILS8_3ELb0ES6_jNS0_17counting_iteratorIjlEEPS9_SE_NS0_5tupleIJPjSE_EEENSF_IJSE_SE_EEES9_SG_JZNS1_25segmented_radix_sort_implINS0_14default_configELb0EPKdPdPKlPlN2at6native12_GLOBAL__N_18offset_tEEE10hipError_tPvRmT1_PNSt15iterator_traitsISY_E10value_typeET2_T3_PNSZ_IS14_E10value_typeET4_jRbjT5_S1A_jjP12ihipStream_tbEUljE_EEESV_SW_SX_S14_S18_S1A_T6_T7_T9_mT8_S1C_bDpT10_ENKUlT_T0_E_clISt17integral_constantIbLb1EES1O_IbLb0EEEEDaS1K_S1L_EUlS1K_E_NS1_11comp_targetILNS1_3genE5ELNS1_11target_archE942ELNS1_3gpuE9ELNS1_3repE0EEENS1_30default_config_static_selectorELNS0_4arch9wavefront6targetE1EEEvSY_.uses_flat_scratch, 0
	.set _ZN7rocprim17ROCPRIM_400000_NS6detail17trampoline_kernelINS0_13select_configILj256ELj13ELNS0_17block_load_methodE3ELS4_3ELS4_3ELNS0_20block_scan_algorithmE0ELj4294967295EEENS1_25partition_config_selectorILNS1_17partition_subalgoE3EjNS0_10empty_typeEbEEZZNS1_14partition_implILS8_3ELb0ES6_jNS0_17counting_iteratorIjlEEPS9_SE_NS0_5tupleIJPjSE_EEENSF_IJSE_SE_EEES9_SG_JZNS1_25segmented_radix_sort_implINS0_14default_configELb0EPKdPdPKlPlN2at6native12_GLOBAL__N_18offset_tEEE10hipError_tPvRmT1_PNSt15iterator_traitsISY_E10value_typeET2_T3_PNSZ_IS14_E10value_typeET4_jRbjT5_S1A_jjP12ihipStream_tbEUljE_EEESV_SW_SX_S14_S18_S1A_T6_T7_T9_mT8_S1C_bDpT10_ENKUlT_T0_E_clISt17integral_constantIbLb1EES1O_IbLb0EEEEDaS1K_S1L_EUlS1K_E_NS1_11comp_targetILNS1_3genE5ELNS1_11target_archE942ELNS1_3gpuE9ELNS1_3repE0EEENS1_30default_config_static_selectorELNS0_4arch9wavefront6targetE1EEEvSY_.has_dyn_sized_stack, 0
	.set _ZN7rocprim17ROCPRIM_400000_NS6detail17trampoline_kernelINS0_13select_configILj256ELj13ELNS0_17block_load_methodE3ELS4_3ELS4_3ELNS0_20block_scan_algorithmE0ELj4294967295EEENS1_25partition_config_selectorILNS1_17partition_subalgoE3EjNS0_10empty_typeEbEEZZNS1_14partition_implILS8_3ELb0ES6_jNS0_17counting_iteratorIjlEEPS9_SE_NS0_5tupleIJPjSE_EEENSF_IJSE_SE_EEES9_SG_JZNS1_25segmented_radix_sort_implINS0_14default_configELb0EPKdPdPKlPlN2at6native12_GLOBAL__N_18offset_tEEE10hipError_tPvRmT1_PNSt15iterator_traitsISY_E10value_typeET2_T3_PNSZ_IS14_E10value_typeET4_jRbjT5_S1A_jjP12ihipStream_tbEUljE_EEESV_SW_SX_S14_S18_S1A_T6_T7_T9_mT8_S1C_bDpT10_ENKUlT_T0_E_clISt17integral_constantIbLb1EES1O_IbLb0EEEEDaS1K_S1L_EUlS1K_E_NS1_11comp_targetILNS1_3genE5ELNS1_11target_archE942ELNS1_3gpuE9ELNS1_3repE0EEENS1_30default_config_static_selectorELNS0_4arch9wavefront6targetE1EEEvSY_.has_recursion, 0
	.set _ZN7rocprim17ROCPRIM_400000_NS6detail17trampoline_kernelINS0_13select_configILj256ELj13ELNS0_17block_load_methodE3ELS4_3ELS4_3ELNS0_20block_scan_algorithmE0ELj4294967295EEENS1_25partition_config_selectorILNS1_17partition_subalgoE3EjNS0_10empty_typeEbEEZZNS1_14partition_implILS8_3ELb0ES6_jNS0_17counting_iteratorIjlEEPS9_SE_NS0_5tupleIJPjSE_EEENSF_IJSE_SE_EEES9_SG_JZNS1_25segmented_radix_sort_implINS0_14default_configELb0EPKdPdPKlPlN2at6native12_GLOBAL__N_18offset_tEEE10hipError_tPvRmT1_PNSt15iterator_traitsISY_E10value_typeET2_T3_PNSZ_IS14_E10value_typeET4_jRbjT5_S1A_jjP12ihipStream_tbEUljE_EEESV_SW_SX_S14_S18_S1A_T6_T7_T9_mT8_S1C_bDpT10_ENKUlT_T0_E_clISt17integral_constantIbLb1EES1O_IbLb0EEEEDaS1K_S1L_EUlS1K_E_NS1_11comp_targetILNS1_3genE5ELNS1_11target_archE942ELNS1_3gpuE9ELNS1_3repE0EEENS1_30default_config_static_selectorELNS0_4arch9wavefront6targetE1EEEvSY_.has_indirect_call, 0
	.section	.AMDGPU.csdata,"",@progbits
; Kernel info:
; codeLenInByte = 0
; TotalNumSgprs: 4
; NumVgprs: 0
; ScratchSize: 0
; MemoryBound: 0
; FloatMode: 240
; IeeeMode: 1
; LDSByteSize: 0 bytes/workgroup (compile time only)
; SGPRBlocks: 0
; VGPRBlocks: 0
; NumSGPRsForWavesPerEU: 4
; NumVGPRsForWavesPerEU: 1
; Occupancy: 10
; WaveLimiterHint : 0
; COMPUTE_PGM_RSRC2:SCRATCH_EN: 0
; COMPUTE_PGM_RSRC2:USER_SGPR: 6
; COMPUTE_PGM_RSRC2:TRAP_HANDLER: 0
; COMPUTE_PGM_RSRC2:TGID_X_EN: 1
; COMPUTE_PGM_RSRC2:TGID_Y_EN: 0
; COMPUTE_PGM_RSRC2:TGID_Z_EN: 0
; COMPUTE_PGM_RSRC2:TIDIG_COMP_CNT: 0
	.section	.text._ZN7rocprim17ROCPRIM_400000_NS6detail17trampoline_kernelINS0_13select_configILj256ELj13ELNS0_17block_load_methodE3ELS4_3ELS4_3ELNS0_20block_scan_algorithmE0ELj4294967295EEENS1_25partition_config_selectorILNS1_17partition_subalgoE3EjNS0_10empty_typeEbEEZZNS1_14partition_implILS8_3ELb0ES6_jNS0_17counting_iteratorIjlEEPS9_SE_NS0_5tupleIJPjSE_EEENSF_IJSE_SE_EEES9_SG_JZNS1_25segmented_radix_sort_implINS0_14default_configELb0EPKdPdPKlPlN2at6native12_GLOBAL__N_18offset_tEEE10hipError_tPvRmT1_PNSt15iterator_traitsISY_E10value_typeET2_T3_PNSZ_IS14_E10value_typeET4_jRbjT5_S1A_jjP12ihipStream_tbEUljE_EEESV_SW_SX_S14_S18_S1A_T6_T7_T9_mT8_S1C_bDpT10_ENKUlT_T0_E_clISt17integral_constantIbLb1EES1O_IbLb0EEEEDaS1K_S1L_EUlS1K_E_NS1_11comp_targetILNS1_3genE4ELNS1_11target_archE910ELNS1_3gpuE8ELNS1_3repE0EEENS1_30default_config_static_selectorELNS0_4arch9wavefront6targetE1EEEvSY_,"axG",@progbits,_ZN7rocprim17ROCPRIM_400000_NS6detail17trampoline_kernelINS0_13select_configILj256ELj13ELNS0_17block_load_methodE3ELS4_3ELS4_3ELNS0_20block_scan_algorithmE0ELj4294967295EEENS1_25partition_config_selectorILNS1_17partition_subalgoE3EjNS0_10empty_typeEbEEZZNS1_14partition_implILS8_3ELb0ES6_jNS0_17counting_iteratorIjlEEPS9_SE_NS0_5tupleIJPjSE_EEENSF_IJSE_SE_EEES9_SG_JZNS1_25segmented_radix_sort_implINS0_14default_configELb0EPKdPdPKlPlN2at6native12_GLOBAL__N_18offset_tEEE10hipError_tPvRmT1_PNSt15iterator_traitsISY_E10value_typeET2_T3_PNSZ_IS14_E10value_typeET4_jRbjT5_S1A_jjP12ihipStream_tbEUljE_EEESV_SW_SX_S14_S18_S1A_T6_T7_T9_mT8_S1C_bDpT10_ENKUlT_T0_E_clISt17integral_constantIbLb1EES1O_IbLb0EEEEDaS1K_S1L_EUlS1K_E_NS1_11comp_targetILNS1_3genE4ELNS1_11target_archE910ELNS1_3gpuE8ELNS1_3repE0EEENS1_30default_config_static_selectorELNS0_4arch9wavefront6targetE1EEEvSY_,comdat
	.globl	_ZN7rocprim17ROCPRIM_400000_NS6detail17trampoline_kernelINS0_13select_configILj256ELj13ELNS0_17block_load_methodE3ELS4_3ELS4_3ELNS0_20block_scan_algorithmE0ELj4294967295EEENS1_25partition_config_selectorILNS1_17partition_subalgoE3EjNS0_10empty_typeEbEEZZNS1_14partition_implILS8_3ELb0ES6_jNS0_17counting_iteratorIjlEEPS9_SE_NS0_5tupleIJPjSE_EEENSF_IJSE_SE_EEES9_SG_JZNS1_25segmented_radix_sort_implINS0_14default_configELb0EPKdPdPKlPlN2at6native12_GLOBAL__N_18offset_tEEE10hipError_tPvRmT1_PNSt15iterator_traitsISY_E10value_typeET2_T3_PNSZ_IS14_E10value_typeET4_jRbjT5_S1A_jjP12ihipStream_tbEUljE_EEESV_SW_SX_S14_S18_S1A_T6_T7_T9_mT8_S1C_bDpT10_ENKUlT_T0_E_clISt17integral_constantIbLb1EES1O_IbLb0EEEEDaS1K_S1L_EUlS1K_E_NS1_11comp_targetILNS1_3genE4ELNS1_11target_archE910ELNS1_3gpuE8ELNS1_3repE0EEENS1_30default_config_static_selectorELNS0_4arch9wavefront6targetE1EEEvSY_ ; -- Begin function _ZN7rocprim17ROCPRIM_400000_NS6detail17trampoline_kernelINS0_13select_configILj256ELj13ELNS0_17block_load_methodE3ELS4_3ELS4_3ELNS0_20block_scan_algorithmE0ELj4294967295EEENS1_25partition_config_selectorILNS1_17partition_subalgoE3EjNS0_10empty_typeEbEEZZNS1_14partition_implILS8_3ELb0ES6_jNS0_17counting_iteratorIjlEEPS9_SE_NS0_5tupleIJPjSE_EEENSF_IJSE_SE_EEES9_SG_JZNS1_25segmented_radix_sort_implINS0_14default_configELb0EPKdPdPKlPlN2at6native12_GLOBAL__N_18offset_tEEE10hipError_tPvRmT1_PNSt15iterator_traitsISY_E10value_typeET2_T3_PNSZ_IS14_E10value_typeET4_jRbjT5_S1A_jjP12ihipStream_tbEUljE_EEESV_SW_SX_S14_S18_S1A_T6_T7_T9_mT8_S1C_bDpT10_ENKUlT_T0_E_clISt17integral_constantIbLb1EES1O_IbLb0EEEEDaS1K_S1L_EUlS1K_E_NS1_11comp_targetILNS1_3genE4ELNS1_11target_archE910ELNS1_3gpuE8ELNS1_3repE0EEENS1_30default_config_static_selectorELNS0_4arch9wavefront6targetE1EEEvSY_
	.p2align	8
	.type	_ZN7rocprim17ROCPRIM_400000_NS6detail17trampoline_kernelINS0_13select_configILj256ELj13ELNS0_17block_load_methodE3ELS4_3ELS4_3ELNS0_20block_scan_algorithmE0ELj4294967295EEENS1_25partition_config_selectorILNS1_17partition_subalgoE3EjNS0_10empty_typeEbEEZZNS1_14partition_implILS8_3ELb0ES6_jNS0_17counting_iteratorIjlEEPS9_SE_NS0_5tupleIJPjSE_EEENSF_IJSE_SE_EEES9_SG_JZNS1_25segmented_radix_sort_implINS0_14default_configELb0EPKdPdPKlPlN2at6native12_GLOBAL__N_18offset_tEEE10hipError_tPvRmT1_PNSt15iterator_traitsISY_E10value_typeET2_T3_PNSZ_IS14_E10value_typeET4_jRbjT5_S1A_jjP12ihipStream_tbEUljE_EEESV_SW_SX_S14_S18_S1A_T6_T7_T9_mT8_S1C_bDpT10_ENKUlT_T0_E_clISt17integral_constantIbLb1EES1O_IbLb0EEEEDaS1K_S1L_EUlS1K_E_NS1_11comp_targetILNS1_3genE4ELNS1_11target_archE910ELNS1_3gpuE8ELNS1_3repE0EEENS1_30default_config_static_selectorELNS0_4arch9wavefront6targetE1EEEvSY_,@function
_ZN7rocprim17ROCPRIM_400000_NS6detail17trampoline_kernelINS0_13select_configILj256ELj13ELNS0_17block_load_methodE3ELS4_3ELS4_3ELNS0_20block_scan_algorithmE0ELj4294967295EEENS1_25partition_config_selectorILNS1_17partition_subalgoE3EjNS0_10empty_typeEbEEZZNS1_14partition_implILS8_3ELb0ES6_jNS0_17counting_iteratorIjlEEPS9_SE_NS0_5tupleIJPjSE_EEENSF_IJSE_SE_EEES9_SG_JZNS1_25segmented_radix_sort_implINS0_14default_configELb0EPKdPdPKlPlN2at6native12_GLOBAL__N_18offset_tEEE10hipError_tPvRmT1_PNSt15iterator_traitsISY_E10value_typeET2_T3_PNSZ_IS14_E10value_typeET4_jRbjT5_S1A_jjP12ihipStream_tbEUljE_EEESV_SW_SX_S14_S18_S1A_T6_T7_T9_mT8_S1C_bDpT10_ENKUlT_T0_E_clISt17integral_constantIbLb1EES1O_IbLb0EEEEDaS1K_S1L_EUlS1K_E_NS1_11comp_targetILNS1_3genE4ELNS1_11target_archE910ELNS1_3gpuE8ELNS1_3repE0EEENS1_30default_config_static_selectorELNS0_4arch9wavefront6targetE1EEEvSY_: ; @_ZN7rocprim17ROCPRIM_400000_NS6detail17trampoline_kernelINS0_13select_configILj256ELj13ELNS0_17block_load_methodE3ELS4_3ELS4_3ELNS0_20block_scan_algorithmE0ELj4294967295EEENS1_25partition_config_selectorILNS1_17partition_subalgoE3EjNS0_10empty_typeEbEEZZNS1_14partition_implILS8_3ELb0ES6_jNS0_17counting_iteratorIjlEEPS9_SE_NS0_5tupleIJPjSE_EEENSF_IJSE_SE_EEES9_SG_JZNS1_25segmented_radix_sort_implINS0_14default_configELb0EPKdPdPKlPlN2at6native12_GLOBAL__N_18offset_tEEE10hipError_tPvRmT1_PNSt15iterator_traitsISY_E10value_typeET2_T3_PNSZ_IS14_E10value_typeET4_jRbjT5_S1A_jjP12ihipStream_tbEUljE_EEESV_SW_SX_S14_S18_S1A_T6_T7_T9_mT8_S1C_bDpT10_ENKUlT_T0_E_clISt17integral_constantIbLb1EES1O_IbLb0EEEEDaS1K_S1L_EUlS1K_E_NS1_11comp_targetILNS1_3genE4ELNS1_11target_archE910ELNS1_3gpuE8ELNS1_3repE0EEENS1_30default_config_static_selectorELNS0_4arch9wavefront6targetE1EEEvSY_
; %bb.0:
	.section	.rodata,"a",@progbits
	.p2align	6, 0x0
	.amdhsa_kernel _ZN7rocprim17ROCPRIM_400000_NS6detail17trampoline_kernelINS0_13select_configILj256ELj13ELNS0_17block_load_methodE3ELS4_3ELS4_3ELNS0_20block_scan_algorithmE0ELj4294967295EEENS1_25partition_config_selectorILNS1_17partition_subalgoE3EjNS0_10empty_typeEbEEZZNS1_14partition_implILS8_3ELb0ES6_jNS0_17counting_iteratorIjlEEPS9_SE_NS0_5tupleIJPjSE_EEENSF_IJSE_SE_EEES9_SG_JZNS1_25segmented_radix_sort_implINS0_14default_configELb0EPKdPdPKlPlN2at6native12_GLOBAL__N_18offset_tEEE10hipError_tPvRmT1_PNSt15iterator_traitsISY_E10value_typeET2_T3_PNSZ_IS14_E10value_typeET4_jRbjT5_S1A_jjP12ihipStream_tbEUljE_EEESV_SW_SX_S14_S18_S1A_T6_T7_T9_mT8_S1C_bDpT10_ENKUlT_T0_E_clISt17integral_constantIbLb1EES1O_IbLb0EEEEDaS1K_S1L_EUlS1K_E_NS1_11comp_targetILNS1_3genE4ELNS1_11target_archE910ELNS1_3gpuE8ELNS1_3repE0EEENS1_30default_config_static_selectorELNS0_4arch9wavefront6targetE1EEEvSY_
		.amdhsa_group_segment_fixed_size 0
		.amdhsa_private_segment_fixed_size 0
		.amdhsa_kernarg_size 144
		.amdhsa_user_sgpr_count 6
		.amdhsa_user_sgpr_private_segment_buffer 1
		.amdhsa_user_sgpr_dispatch_ptr 0
		.amdhsa_user_sgpr_queue_ptr 0
		.amdhsa_user_sgpr_kernarg_segment_ptr 1
		.amdhsa_user_sgpr_dispatch_id 0
		.amdhsa_user_sgpr_flat_scratch_init 0
		.amdhsa_user_sgpr_private_segment_size 0
		.amdhsa_uses_dynamic_stack 0
		.amdhsa_system_sgpr_private_segment_wavefront_offset 0
		.amdhsa_system_sgpr_workgroup_id_x 1
		.amdhsa_system_sgpr_workgroup_id_y 0
		.amdhsa_system_sgpr_workgroup_id_z 0
		.amdhsa_system_sgpr_workgroup_info 0
		.amdhsa_system_vgpr_workitem_id 0
		.amdhsa_next_free_vgpr 1
		.amdhsa_next_free_sgpr 0
		.amdhsa_reserve_vcc 0
		.amdhsa_reserve_flat_scratch 0
		.amdhsa_float_round_mode_32 0
		.amdhsa_float_round_mode_16_64 0
		.amdhsa_float_denorm_mode_32 3
		.amdhsa_float_denorm_mode_16_64 3
		.amdhsa_dx10_clamp 1
		.amdhsa_ieee_mode 1
		.amdhsa_fp16_overflow 0
		.amdhsa_exception_fp_ieee_invalid_op 0
		.amdhsa_exception_fp_denorm_src 0
		.amdhsa_exception_fp_ieee_div_zero 0
		.amdhsa_exception_fp_ieee_overflow 0
		.amdhsa_exception_fp_ieee_underflow 0
		.amdhsa_exception_fp_ieee_inexact 0
		.amdhsa_exception_int_div_zero 0
	.end_amdhsa_kernel
	.section	.text._ZN7rocprim17ROCPRIM_400000_NS6detail17trampoline_kernelINS0_13select_configILj256ELj13ELNS0_17block_load_methodE3ELS4_3ELS4_3ELNS0_20block_scan_algorithmE0ELj4294967295EEENS1_25partition_config_selectorILNS1_17partition_subalgoE3EjNS0_10empty_typeEbEEZZNS1_14partition_implILS8_3ELb0ES6_jNS0_17counting_iteratorIjlEEPS9_SE_NS0_5tupleIJPjSE_EEENSF_IJSE_SE_EEES9_SG_JZNS1_25segmented_radix_sort_implINS0_14default_configELb0EPKdPdPKlPlN2at6native12_GLOBAL__N_18offset_tEEE10hipError_tPvRmT1_PNSt15iterator_traitsISY_E10value_typeET2_T3_PNSZ_IS14_E10value_typeET4_jRbjT5_S1A_jjP12ihipStream_tbEUljE_EEESV_SW_SX_S14_S18_S1A_T6_T7_T9_mT8_S1C_bDpT10_ENKUlT_T0_E_clISt17integral_constantIbLb1EES1O_IbLb0EEEEDaS1K_S1L_EUlS1K_E_NS1_11comp_targetILNS1_3genE4ELNS1_11target_archE910ELNS1_3gpuE8ELNS1_3repE0EEENS1_30default_config_static_selectorELNS0_4arch9wavefront6targetE1EEEvSY_,"axG",@progbits,_ZN7rocprim17ROCPRIM_400000_NS6detail17trampoline_kernelINS0_13select_configILj256ELj13ELNS0_17block_load_methodE3ELS4_3ELS4_3ELNS0_20block_scan_algorithmE0ELj4294967295EEENS1_25partition_config_selectorILNS1_17partition_subalgoE3EjNS0_10empty_typeEbEEZZNS1_14partition_implILS8_3ELb0ES6_jNS0_17counting_iteratorIjlEEPS9_SE_NS0_5tupleIJPjSE_EEENSF_IJSE_SE_EEES9_SG_JZNS1_25segmented_radix_sort_implINS0_14default_configELb0EPKdPdPKlPlN2at6native12_GLOBAL__N_18offset_tEEE10hipError_tPvRmT1_PNSt15iterator_traitsISY_E10value_typeET2_T3_PNSZ_IS14_E10value_typeET4_jRbjT5_S1A_jjP12ihipStream_tbEUljE_EEESV_SW_SX_S14_S18_S1A_T6_T7_T9_mT8_S1C_bDpT10_ENKUlT_T0_E_clISt17integral_constantIbLb1EES1O_IbLb0EEEEDaS1K_S1L_EUlS1K_E_NS1_11comp_targetILNS1_3genE4ELNS1_11target_archE910ELNS1_3gpuE8ELNS1_3repE0EEENS1_30default_config_static_selectorELNS0_4arch9wavefront6targetE1EEEvSY_,comdat
.Lfunc_end1207:
	.size	_ZN7rocprim17ROCPRIM_400000_NS6detail17trampoline_kernelINS0_13select_configILj256ELj13ELNS0_17block_load_methodE3ELS4_3ELS4_3ELNS0_20block_scan_algorithmE0ELj4294967295EEENS1_25partition_config_selectorILNS1_17partition_subalgoE3EjNS0_10empty_typeEbEEZZNS1_14partition_implILS8_3ELb0ES6_jNS0_17counting_iteratorIjlEEPS9_SE_NS0_5tupleIJPjSE_EEENSF_IJSE_SE_EEES9_SG_JZNS1_25segmented_radix_sort_implINS0_14default_configELb0EPKdPdPKlPlN2at6native12_GLOBAL__N_18offset_tEEE10hipError_tPvRmT1_PNSt15iterator_traitsISY_E10value_typeET2_T3_PNSZ_IS14_E10value_typeET4_jRbjT5_S1A_jjP12ihipStream_tbEUljE_EEESV_SW_SX_S14_S18_S1A_T6_T7_T9_mT8_S1C_bDpT10_ENKUlT_T0_E_clISt17integral_constantIbLb1EES1O_IbLb0EEEEDaS1K_S1L_EUlS1K_E_NS1_11comp_targetILNS1_3genE4ELNS1_11target_archE910ELNS1_3gpuE8ELNS1_3repE0EEENS1_30default_config_static_selectorELNS0_4arch9wavefront6targetE1EEEvSY_, .Lfunc_end1207-_ZN7rocprim17ROCPRIM_400000_NS6detail17trampoline_kernelINS0_13select_configILj256ELj13ELNS0_17block_load_methodE3ELS4_3ELS4_3ELNS0_20block_scan_algorithmE0ELj4294967295EEENS1_25partition_config_selectorILNS1_17partition_subalgoE3EjNS0_10empty_typeEbEEZZNS1_14partition_implILS8_3ELb0ES6_jNS0_17counting_iteratorIjlEEPS9_SE_NS0_5tupleIJPjSE_EEENSF_IJSE_SE_EEES9_SG_JZNS1_25segmented_radix_sort_implINS0_14default_configELb0EPKdPdPKlPlN2at6native12_GLOBAL__N_18offset_tEEE10hipError_tPvRmT1_PNSt15iterator_traitsISY_E10value_typeET2_T3_PNSZ_IS14_E10value_typeET4_jRbjT5_S1A_jjP12ihipStream_tbEUljE_EEESV_SW_SX_S14_S18_S1A_T6_T7_T9_mT8_S1C_bDpT10_ENKUlT_T0_E_clISt17integral_constantIbLb1EES1O_IbLb0EEEEDaS1K_S1L_EUlS1K_E_NS1_11comp_targetILNS1_3genE4ELNS1_11target_archE910ELNS1_3gpuE8ELNS1_3repE0EEENS1_30default_config_static_selectorELNS0_4arch9wavefront6targetE1EEEvSY_
                                        ; -- End function
	.set _ZN7rocprim17ROCPRIM_400000_NS6detail17trampoline_kernelINS0_13select_configILj256ELj13ELNS0_17block_load_methodE3ELS4_3ELS4_3ELNS0_20block_scan_algorithmE0ELj4294967295EEENS1_25partition_config_selectorILNS1_17partition_subalgoE3EjNS0_10empty_typeEbEEZZNS1_14partition_implILS8_3ELb0ES6_jNS0_17counting_iteratorIjlEEPS9_SE_NS0_5tupleIJPjSE_EEENSF_IJSE_SE_EEES9_SG_JZNS1_25segmented_radix_sort_implINS0_14default_configELb0EPKdPdPKlPlN2at6native12_GLOBAL__N_18offset_tEEE10hipError_tPvRmT1_PNSt15iterator_traitsISY_E10value_typeET2_T3_PNSZ_IS14_E10value_typeET4_jRbjT5_S1A_jjP12ihipStream_tbEUljE_EEESV_SW_SX_S14_S18_S1A_T6_T7_T9_mT8_S1C_bDpT10_ENKUlT_T0_E_clISt17integral_constantIbLb1EES1O_IbLb0EEEEDaS1K_S1L_EUlS1K_E_NS1_11comp_targetILNS1_3genE4ELNS1_11target_archE910ELNS1_3gpuE8ELNS1_3repE0EEENS1_30default_config_static_selectorELNS0_4arch9wavefront6targetE1EEEvSY_.num_vgpr, 0
	.set _ZN7rocprim17ROCPRIM_400000_NS6detail17trampoline_kernelINS0_13select_configILj256ELj13ELNS0_17block_load_methodE3ELS4_3ELS4_3ELNS0_20block_scan_algorithmE0ELj4294967295EEENS1_25partition_config_selectorILNS1_17partition_subalgoE3EjNS0_10empty_typeEbEEZZNS1_14partition_implILS8_3ELb0ES6_jNS0_17counting_iteratorIjlEEPS9_SE_NS0_5tupleIJPjSE_EEENSF_IJSE_SE_EEES9_SG_JZNS1_25segmented_radix_sort_implINS0_14default_configELb0EPKdPdPKlPlN2at6native12_GLOBAL__N_18offset_tEEE10hipError_tPvRmT1_PNSt15iterator_traitsISY_E10value_typeET2_T3_PNSZ_IS14_E10value_typeET4_jRbjT5_S1A_jjP12ihipStream_tbEUljE_EEESV_SW_SX_S14_S18_S1A_T6_T7_T9_mT8_S1C_bDpT10_ENKUlT_T0_E_clISt17integral_constantIbLb1EES1O_IbLb0EEEEDaS1K_S1L_EUlS1K_E_NS1_11comp_targetILNS1_3genE4ELNS1_11target_archE910ELNS1_3gpuE8ELNS1_3repE0EEENS1_30default_config_static_selectorELNS0_4arch9wavefront6targetE1EEEvSY_.num_agpr, 0
	.set _ZN7rocprim17ROCPRIM_400000_NS6detail17trampoline_kernelINS0_13select_configILj256ELj13ELNS0_17block_load_methodE3ELS4_3ELS4_3ELNS0_20block_scan_algorithmE0ELj4294967295EEENS1_25partition_config_selectorILNS1_17partition_subalgoE3EjNS0_10empty_typeEbEEZZNS1_14partition_implILS8_3ELb0ES6_jNS0_17counting_iteratorIjlEEPS9_SE_NS0_5tupleIJPjSE_EEENSF_IJSE_SE_EEES9_SG_JZNS1_25segmented_radix_sort_implINS0_14default_configELb0EPKdPdPKlPlN2at6native12_GLOBAL__N_18offset_tEEE10hipError_tPvRmT1_PNSt15iterator_traitsISY_E10value_typeET2_T3_PNSZ_IS14_E10value_typeET4_jRbjT5_S1A_jjP12ihipStream_tbEUljE_EEESV_SW_SX_S14_S18_S1A_T6_T7_T9_mT8_S1C_bDpT10_ENKUlT_T0_E_clISt17integral_constantIbLb1EES1O_IbLb0EEEEDaS1K_S1L_EUlS1K_E_NS1_11comp_targetILNS1_3genE4ELNS1_11target_archE910ELNS1_3gpuE8ELNS1_3repE0EEENS1_30default_config_static_selectorELNS0_4arch9wavefront6targetE1EEEvSY_.numbered_sgpr, 0
	.set _ZN7rocprim17ROCPRIM_400000_NS6detail17trampoline_kernelINS0_13select_configILj256ELj13ELNS0_17block_load_methodE3ELS4_3ELS4_3ELNS0_20block_scan_algorithmE0ELj4294967295EEENS1_25partition_config_selectorILNS1_17partition_subalgoE3EjNS0_10empty_typeEbEEZZNS1_14partition_implILS8_3ELb0ES6_jNS0_17counting_iteratorIjlEEPS9_SE_NS0_5tupleIJPjSE_EEENSF_IJSE_SE_EEES9_SG_JZNS1_25segmented_radix_sort_implINS0_14default_configELb0EPKdPdPKlPlN2at6native12_GLOBAL__N_18offset_tEEE10hipError_tPvRmT1_PNSt15iterator_traitsISY_E10value_typeET2_T3_PNSZ_IS14_E10value_typeET4_jRbjT5_S1A_jjP12ihipStream_tbEUljE_EEESV_SW_SX_S14_S18_S1A_T6_T7_T9_mT8_S1C_bDpT10_ENKUlT_T0_E_clISt17integral_constantIbLb1EES1O_IbLb0EEEEDaS1K_S1L_EUlS1K_E_NS1_11comp_targetILNS1_3genE4ELNS1_11target_archE910ELNS1_3gpuE8ELNS1_3repE0EEENS1_30default_config_static_selectorELNS0_4arch9wavefront6targetE1EEEvSY_.num_named_barrier, 0
	.set _ZN7rocprim17ROCPRIM_400000_NS6detail17trampoline_kernelINS0_13select_configILj256ELj13ELNS0_17block_load_methodE3ELS4_3ELS4_3ELNS0_20block_scan_algorithmE0ELj4294967295EEENS1_25partition_config_selectorILNS1_17partition_subalgoE3EjNS0_10empty_typeEbEEZZNS1_14partition_implILS8_3ELb0ES6_jNS0_17counting_iteratorIjlEEPS9_SE_NS0_5tupleIJPjSE_EEENSF_IJSE_SE_EEES9_SG_JZNS1_25segmented_radix_sort_implINS0_14default_configELb0EPKdPdPKlPlN2at6native12_GLOBAL__N_18offset_tEEE10hipError_tPvRmT1_PNSt15iterator_traitsISY_E10value_typeET2_T3_PNSZ_IS14_E10value_typeET4_jRbjT5_S1A_jjP12ihipStream_tbEUljE_EEESV_SW_SX_S14_S18_S1A_T6_T7_T9_mT8_S1C_bDpT10_ENKUlT_T0_E_clISt17integral_constantIbLb1EES1O_IbLb0EEEEDaS1K_S1L_EUlS1K_E_NS1_11comp_targetILNS1_3genE4ELNS1_11target_archE910ELNS1_3gpuE8ELNS1_3repE0EEENS1_30default_config_static_selectorELNS0_4arch9wavefront6targetE1EEEvSY_.private_seg_size, 0
	.set _ZN7rocprim17ROCPRIM_400000_NS6detail17trampoline_kernelINS0_13select_configILj256ELj13ELNS0_17block_load_methodE3ELS4_3ELS4_3ELNS0_20block_scan_algorithmE0ELj4294967295EEENS1_25partition_config_selectorILNS1_17partition_subalgoE3EjNS0_10empty_typeEbEEZZNS1_14partition_implILS8_3ELb0ES6_jNS0_17counting_iteratorIjlEEPS9_SE_NS0_5tupleIJPjSE_EEENSF_IJSE_SE_EEES9_SG_JZNS1_25segmented_radix_sort_implINS0_14default_configELb0EPKdPdPKlPlN2at6native12_GLOBAL__N_18offset_tEEE10hipError_tPvRmT1_PNSt15iterator_traitsISY_E10value_typeET2_T3_PNSZ_IS14_E10value_typeET4_jRbjT5_S1A_jjP12ihipStream_tbEUljE_EEESV_SW_SX_S14_S18_S1A_T6_T7_T9_mT8_S1C_bDpT10_ENKUlT_T0_E_clISt17integral_constantIbLb1EES1O_IbLb0EEEEDaS1K_S1L_EUlS1K_E_NS1_11comp_targetILNS1_3genE4ELNS1_11target_archE910ELNS1_3gpuE8ELNS1_3repE0EEENS1_30default_config_static_selectorELNS0_4arch9wavefront6targetE1EEEvSY_.uses_vcc, 0
	.set _ZN7rocprim17ROCPRIM_400000_NS6detail17trampoline_kernelINS0_13select_configILj256ELj13ELNS0_17block_load_methodE3ELS4_3ELS4_3ELNS0_20block_scan_algorithmE0ELj4294967295EEENS1_25partition_config_selectorILNS1_17partition_subalgoE3EjNS0_10empty_typeEbEEZZNS1_14partition_implILS8_3ELb0ES6_jNS0_17counting_iteratorIjlEEPS9_SE_NS0_5tupleIJPjSE_EEENSF_IJSE_SE_EEES9_SG_JZNS1_25segmented_radix_sort_implINS0_14default_configELb0EPKdPdPKlPlN2at6native12_GLOBAL__N_18offset_tEEE10hipError_tPvRmT1_PNSt15iterator_traitsISY_E10value_typeET2_T3_PNSZ_IS14_E10value_typeET4_jRbjT5_S1A_jjP12ihipStream_tbEUljE_EEESV_SW_SX_S14_S18_S1A_T6_T7_T9_mT8_S1C_bDpT10_ENKUlT_T0_E_clISt17integral_constantIbLb1EES1O_IbLb0EEEEDaS1K_S1L_EUlS1K_E_NS1_11comp_targetILNS1_3genE4ELNS1_11target_archE910ELNS1_3gpuE8ELNS1_3repE0EEENS1_30default_config_static_selectorELNS0_4arch9wavefront6targetE1EEEvSY_.uses_flat_scratch, 0
	.set _ZN7rocprim17ROCPRIM_400000_NS6detail17trampoline_kernelINS0_13select_configILj256ELj13ELNS0_17block_load_methodE3ELS4_3ELS4_3ELNS0_20block_scan_algorithmE0ELj4294967295EEENS1_25partition_config_selectorILNS1_17partition_subalgoE3EjNS0_10empty_typeEbEEZZNS1_14partition_implILS8_3ELb0ES6_jNS0_17counting_iteratorIjlEEPS9_SE_NS0_5tupleIJPjSE_EEENSF_IJSE_SE_EEES9_SG_JZNS1_25segmented_radix_sort_implINS0_14default_configELb0EPKdPdPKlPlN2at6native12_GLOBAL__N_18offset_tEEE10hipError_tPvRmT1_PNSt15iterator_traitsISY_E10value_typeET2_T3_PNSZ_IS14_E10value_typeET4_jRbjT5_S1A_jjP12ihipStream_tbEUljE_EEESV_SW_SX_S14_S18_S1A_T6_T7_T9_mT8_S1C_bDpT10_ENKUlT_T0_E_clISt17integral_constantIbLb1EES1O_IbLb0EEEEDaS1K_S1L_EUlS1K_E_NS1_11comp_targetILNS1_3genE4ELNS1_11target_archE910ELNS1_3gpuE8ELNS1_3repE0EEENS1_30default_config_static_selectorELNS0_4arch9wavefront6targetE1EEEvSY_.has_dyn_sized_stack, 0
	.set _ZN7rocprim17ROCPRIM_400000_NS6detail17trampoline_kernelINS0_13select_configILj256ELj13ELNS0_17block_load_methodE3ELS4_3ELS4_3ELNS0_20block_scan_algorithmE0ELj4294967295EEENS1_25partition_config_selectorILNS1_17partition_subalgoE3EjNS0_10empty_typeEbEEZZNS1_14partition_implILS8_3ELb0ES6_jNS0_17counting_iteratorIjlEEPS9_SE_NS0_5tupleIJPjSE_EEENSF_IJSE_SE_EEES9_SG_JZNS1_25segmented_radix_sort_implINS0_14default_configELb0EPKdPdPKlPlN2at6native12_GLOBAL__N_18offset_tEEE10hipError_tPvRmT1_PNSt15iterator_traitsISY_E10value_typeET2_T3_PNSZ_IS14_E10value_typeET4_jRbjT5_S1A_jjP12ihipStream_tbEUljE_EEESV_SW_SX_S14_S18_S1A_T6_T7_T9_mT8_S1C_bDpT10_ENKUlT_T0_E_clISt17integral_constantIbLb1EES1O_IbLb0EEEEDaS1K_S1L_EUlS1K_E_NS1_11comp_targetILNS1_3genE4ELNS1_11target_archE910ELNS1_3gpuE8ELNS1_3repE0EEENS1_30default_config_static_selectorELNS0_4arch9wavefront6targetE1EEEvSY_.has_recursion, 0
	.set _ZN7rocprim17ROCPRIM_400000_NS6detail17trampoline_kernelINS0_13select_configILj256ELj13ELNS0_17block_load_methodE3ELS4_3ELS4_3ELNS0_20block_scan_algorithmE0ELj4294967295EEENS1_25partition_config_selectorILNS1_17partition_subalgoE3EjNS0_10empty_typeEbEEZZNS1_14partition_implILS8_3ELb0ES6_jNS0_17counting_iteratorIjlEEPS9_SE_NS0_5tupleIJPjSE_EEENSF_IJSE_SE_EEES9_SG_JZNS1_25segmented_radix_sort_implINS0_14default_configELb0EPKdPdPKlPlN2at6native12_GLOBAL__N_18offset_tEEE10hipError_tPvRmT1_PNSt15iterator_traitsISY_E10value_typeET2_T3_PNSZ_IS14_E10value_typeET4_jRbjT5_S1A_jjP12ihipStream_tbEUljE_EEESV_SW_SX_S14_S18_S1A_T6_T7_T9_mT8_S1C_bDpT10_ENKUlT_T0_E_clISt17integral_constantIbLb1EES1O_IbLb0EEEEDaS1K_S1L_EUlS1K_E_NS1_11comp_targetILNS1_3genE4ELNS1_11target_archE910ELNS1_3gpuE8ELNS1_3repE0EEENS1_30default_config_static_selectorELNS0_4arch9wavefront6targetE1EEEvSY_.has_indirect_call, 0
	.section	.AMDGPU.csdata,"",@progbits
; Kernel info:
; codeLenInByte = 0
; TotalNumSgprs: 4
; NumVgprs: 0
; ScratchSize: 0
; MemoryBound: 0
; FloatMode: 240
; IeeeMode: 1
; LDSByteSize: 0 bytes/workgroup (compile time only)
; SGPRBlocks: 0
; VGPRBlocks: 0
; NumSGPRsForWavesPerEU: 4
; NumVGPRsForWavesPerEU: 1
; Occupancy: 10
; WaveLimiterHint : 0
; COMPUTE_PGM_RSRC2:SCRATCH_EN: 0
; COMPUTE_PGM_RSRC2:USER_SGPR: 6
; COMPUTE_PGM_RSRC2:TRAP_HANDLER: 0
; COMPUTE_PGM_RSRC2:TGID_X_EN: 1
; COMPUTE_PGM_RSRC2:TGID_Y_EN: 0
; COMPUTE_PGM_RSRC2:TGID_Z_EN: 0
; COMPUTE_PGM_RSRC2:TIDIG_COMP_CNT: 0
	.section	.text._ZN7rocprim17ROCPRIM_400000_NS6detail17trampoline_kernelINS0_13select_configILj256ELj13ELNS0_17block_load_methodE3ELS4_3ELS4_3ELNS0_20block_scan_algorithmE0ELj4294967295EEENS1_25partition_config_selectorILNS1_17partition_subalgoE3EjNS0_10empty_typeEbEEZZNS1_14partition_implILS8_3ELb0ES6_jNS0_17counting_iteratorIjlEEPS9_SE_NS0_5tupleIJPjSE_EEENSF_IJSE_SE_EEES9_SG_JZNS1_25segmented_radix_sort_implINS0_14default_configELb0EPKdPdPKlPlN2at6native12_GLOBAL__N_18offset_tEEE10hipError_tPvRmT1_PNSt15iterator_traitsISY_E10value_typeET2_T3_PNSZ_IS14_E10value_typeET4_jRbjT5_S1A_jjP12ihipStream_tbEUljE_EEESV_SW_SX_S14_S18_S1A_T6_T7_T9_mT8_S1C_bDpT10_ENKUlT_T0_E_clISt17integral_constantIbLb1EES1O_IbLb0EEEEDaS1K_S1L_EUlS1K_E_NS1_11comp_targetILNS1_3genE3ELNS1_11target_archE908ELNS1_3gpuE7ELNS1_3repE0EEENS1_30default_config_static_selectorELNS0_4arch9wavefront6targetE1EEEvSY_,"axG",@progbits,_ZN7rocprim17ROCPRIM_400000_NS6detail17trampoline_kernelINS0_13select_configILj256ELj13ELNS0_17block_load_methodE3ELS4_3ELS4_3ELNS0_20block_scan_algorithmE0ELj4294967295EEENS1_25partition_config_selectorILNS1_17partition_subalgoE3EjNS0_10empty_typeEbEEZZNS1_14partition_implILS8_3ELb0ES6_jNS0_17counting_iteratorIjlEEPS9_SE_NS0_5tupleIJPjSE_EEENSF_IJSE_SE_EEES9_SG_JZNS1_25segmented_radix_sort_implINS0_14default_configELb0EPKdPdPKlPlN2at6native12_GLOBAL__N_18offset_tEEE10hipError_tPvRmT1_PNSt15iterator_traitsISY_E10value_typeET2_T3_PNSZ_IS14_E10value_typeET4_jRbjT5_S1A_jjP12ihipStream_tbEUljE_EEESV_SW_SX_S14_S18_S1A_T6_T7_T9_mT8_S1C_bDpT10_ENKUlT_T0_E_clISt17integral_constantIbLb1EES1O_IbLb0EEEEDaS1K_S1L_EUlS1K_E_NS1_11comp_targetILNS1_3genE3ELNS1_11target_archE908ELNS1_3gpuE7ELNS1_3repE0EEENS1_30default_config_static_selectorELNS0_4arch9wavefront6targetE1EEEvSY_,comdat
	.globl	_ZN7rocprim17ROCPRIM_400000_NS6detail17trampoline_kernelINS0_13select_configILj256ELj13ELNS0_17block_load_methodE3ELS4_3ELS4_3ELNS0_20block_scan_algorithmE0ELj4294967295EEENS1_25partition_config_selectorILNS1_17partition_subalgoE3EjNS0_10empty_typeEbEEZZNS1_14partition_implILS8_3ELb0ES6_jNS0_17counting_iteratorIjlEEPS9_SE_NS0_5tupleIJPjSE_EEENSF_IJSE_SE_EEES9_SG_JZNS1_25segmented_radix_sort_implINS0_14default_configELb0EPKdPdPKlPlN2at6native12_GLOBAL__N_18offset_tEEE10hipError_tPvRmT1_PNSt15iterator_traitsISY_E10value_typeET2_T3_PNSZ_IS14_E10value_typeET4_jRbjT5_S1A_jjP12ihipStream_tbEUljE_EEESV_SW_SX_S14_S18_S1A_T6_T7_T9_mT8_S1C_bDpT10_ENKUlT_T0_E_clISt17integral_constantIbLb1EES1O_IbLb0EEEEDaS1K_S1L_EUlS1K_E_NS1_11comp_targetILNS1_3genE3ELNS1_11target_archE908ELNS1_3gpuE7ELNS1_3repE0EEENS1_30default_config_static_selectorELNS0_4arch9wavefront6targetE1EEEvSY_ ; -- Begin function _ZN7rocprim17ROCPRIM_400000_NS6detail17trampoline_kernelINS0_13select_configILj256ELj13ELNS0_17block_load_methodE3ELS4_3ELS4_3ELNS0_20block_scan_algorithmE0ELj4294967295EEENS1_25partition_config_selectorILNS1_17partition_subalgoE3EjNS0_10empty_typeEbEEZZNS1_14partition_implILS8_3ELb0ES6_jNS0_17counting_iteratorIjlEEPS9_SE_NS0_5tupleIJPjSE_EEENSF_IJSE_SE_EEES9_SG_JZNS1_25segmented_radix_sort_implINS0_14default_configELb0EPKdPdPKlPlN2at6native12_GLOBAL__N_18offset_tEEE10hipError_tPvRmT1_PNSt15iterator_traitsISY_E10value_typeET2_T3_PNSZ_IS14_E10value_typeET4_jRbjT5_S1A_jjP12ihipStream_tbEUljE_EEESV_SW_SX_S14_S18_S1A_T6_T7_T9_mT8_S1C_bDpT10_ENKUlT_T0_E_clISt17integral_constantIbLb1EES1O_IbLb0EEEEDaS1K_S1L_EUlS1K_E_NS1_11comp_targetILNS1_3genE3ELNS1_11target_archE908ELNS1_3gpuE7ELNS1_3repE0EEENS1_30default_config_static_selectorELNS0_4arch9wavefront6targetE1EEEvSY_
	.p2align	8
	.type	_ZN7rocprim17ROCPRIM_400000_NS6detail17trampoline_kernelINS0_13select_configILj256ELj13ELNS0_17block_load_methodE3ELS4_3ELS4_3ELNS0_20block_scan_algorithmE0ELj4294967295EEENS1_25partition_config_selectorILNS1_17partition_subalgoE3EjNS0_10empty_typeEbEEZZNS1_14partition_implILS8_3ELb0ES6_jNS0_17counting_iteratorIjlEEPS9_SE_NS0_5tupleIJPjSE_EEENSF_IJSE_SE_EEES9_SG_JZNS1_25segmented_radix_sort_implINS0_14default_configELb0EPKdPdPKlPlN2at6native12_GLOBAL__N_18offset_tEEE10hipError_tPvRmT1_PNSt15iterator_traitsISY_E10value_typeET2_T3_PNSZ_IS14_E10value_typeET4_jRbjT5_S1A_jjP12ihipStream_tbEUljE_EEESV_SW_SX_S14_S18_S1A_T6_T7_T9_mT8_S1C_bDpT10_ENKUlT_T0_E_clISt17integral_constantIbLb1EES1O_IbLb0EEEEDaS1K_S1L_EUlS1K_E_NS1_11comp_targetILNS1_3genE3ELNS1_11target_archE908ELNS1_3gpuE7ELNS1_3repE0EEENS1_30default_config_static_selectorELNS0_4arch9wavefront6targetE1EEEvSY_,@function
_ZN7rocprim17ROCPRIM_400000_NS6detail17trampoline_kernelINS0_13select_configILj256ELj13ELNS0_17block_load_methodE3ELS4_3ELS4_3ELNS0_20block_scan_algorithmE0ELj4294967295EEENS1_25partition_config_selectorILNS1_17partition_subalgoE3EjNS0_10empty_typeEbEEZZNS1_14partition_implILS8_3ELb0ES6_jNS0_17counting_iteratorIjlEEPS9_SE_NS0_5tupleIJPjSE_EEENSF_IJSE_SE_EEES9_SG_JZNS1_25segmented_radix_sort_implINS0_14default_configELb0EPKdPdPKlPlN2at6native12_GLOBAL__N_18offset_tEEE10hipError_tPvRmT1_PNSt15iterator_traitsISY_E10value_typeET2_T3_PNSZ_IS14_E10value_typeET4_jRbjT5_S1A_jjP12ihipStream_tbEUljE_EEESV_SW_SX_S14_S18_S1A_T6_T7_T9_mT8_S1C_bDpT10_ENKUlT_T0_E_clISt17integral_constantIbLb1EES1O_IbLb0EEEEDaS1K_S1L_EUlS1K_E_NS1_11comp_targetILNS1_3genE3ELNS1_11target_archE908ELNS1_3gpuE7ELNS1_3repE0EEENS1_30default_config_static_selectorELNS0_4arch9wavefront6targetE1EEEvSY_: ; @_ZN7rocprim17ROCPRIM_400000_NS6detail17trampoline_kernelINS0_13select_configILj256ELj13ELNS0_17block_load_methodE3ELS4_3ELS4_3ELNS0_20block_scan_algorithmE0ELj4294967295EEENS1_25partition_config_selectorILNS1_17partition_subalgoE3EjNS0_10empty_typeEbEEZZNS1_14partition_implILS8_3ELb0ES6_jNS0_17counting_iteratorIjlEEPS9_SE_NS0_5tupleIJPjSE_EEENSF_IJSE_SE_EEES9_SG_JZNS1_25segmented_radix_sort_implINS0_14default_configELb0EPKdPdPKlPlN2at6native12_GLOBAL__N_18offset_tEEE10hipError_tPvRmT1_PNSt15iterator_traitsISY_E10value_typeET2_T3_PNSZ_IS14_E10value_typeET4_jRbjT5_S1A_jjP12ihipStream_tbEUljE_EEESV_SW_SX_S14_S18_S1A_T6_T7_T9_mT8_S1C_bDpT10_ENKUlT_T0_E_clISt17integral_constantIbLb1EES1O_IbLb0EEEEDaS1K_S1L_EUlS1K_E_NS1_11comp_targetILNS1_3genE3ELNS1_11target_archE908ELNS1_3gpuE7ELNS1_3repE0EEENS1_30default_config_static_selectorELNS0_4arch9wavefront6targetE1EEEvSY_
; %bb.0:
	.section	.rodata,"a",@progbits
	.p2align	6, 0x0
	.amdhsa_kernel _ZN7rocprim17ROCPRIM_400000_NS6detail17trampoline_kernelINS0_13select_configILj256ELj13ELNS0_17block_load_methodE3ELS4_3ELS4_3ELNS0_20block_scan_algorithmE0ELj4294967295EEENS1_25partition_config_selectorILNS1_17partition_subalgoE3EjNS0_10empty_typeEbEEZZNS1_14partition_implILS8_3ELb0ES6_jNS0_17counting_iteratorIjlEEPS9_SE_NS0_5tupleIJPjSE_EEENSF_IJSE_SE_EEES9_SG_JZNS1_25segmented_radix_sort_implINS0_14default_configELb0EPKdPdPKlPlN2at6native12_GLOBAL__N_18offset_tEEE10hipError_tPvRmT1_PNSt15iterator_traitsISY_E10value_typeET2_T3_PNSZ_IS14_E10value_typeET4_jRbjT5_S1A_jjP12ihipStream_tbEUljE_EEESV_SW_SX_S14_S18_S1A_T6_T7_T9_mT8_S1C_bDpT10_ENKUlT_T0_E_clISt17integral_constantIbLb1EES1O_IbLb0EEEEDaS1K_S1L_EUlS1K_E_NS1_11comp_targetILNS1_3genE3ELNS1_11target_archE908ELNS1_3gpuE7ELNS1_3repE0EEENS1_30default_config_static_selectorELNS0_4arch9wavefront6targetE1EEEvSY_
		.amdhsa_group_segment_fixed_size 0
		.amdhsa_private_segment_fixed_size 0
		.amdhsa_kernarg_size 144
		.amdhsa_user_sgpr_count 6
		.amdhsa_user_sgpr_private_segment_buffer 1
		.amdhsa_user_sgpr_dispatch_ptr 0
		.amdhsa_user_sgpr_queue_ptr 0
		.amdhsa_user_sgpr_kernarg_segment_ptr 1
		.amdhsa_user_sgpr_dispatch_id 0
		.amdhsa_user_sgpr_flat_scratch_init 0
		.amdhsa_user_sgpr_private_segment_size 0
		.amdhsa_uses_dynamic_stack 0
		.amdhsa_system_sgpr_private_segment_wavefront_offset 0
		.amdhsa_system_sgpr_workgroup_id_x 1
		.amdhsa_system_sgpr_workgroup_id_y 0
		.amdhsa_system_sgpr_workgroup_id_z 0
		.amdhsa_system_sgpr_workgroup_info 0
		.amdhsa_system_vgpr_workitem_id 0
		.amdhsa_next_free_vgpr 1
		.amdhsa_next_free_sgpr 0
		.amdhsa_reserve_vcc 0
		.amdhsa_reserve_flat_scratch 0
		.amdhsa_float_round_mode_32 0
		.amdhsa_float_round_mode_16_64 0
		.amdhsa_float_denorm_mode_32 3
		.amdhsa_float_denorm_mode_16_64 3
		.amdhsa_dx10_clamp 1
		.amdhsa_ieee_mode 1
		.amdhsa_fp16_overflow 0
		.amdhsa_exception_fp_ieee_invalid_op 0
		.amdhsa_exception_fp_denorm_src 0
		.amdhsa_exception_fp_ieee_div_zero 0
		.amdhsa_exception_fp_ieee_overflow 0
		.amdhsa_exception_fp_ieee_underflow 0
		.amdhsa_exception_fp_ieee_inexact 0
		.amdhsa_exception_int_div_zero 0
	.end_amdhsa_kernel
	.section	.text._ZN7rocprim17ROCPRIM_400000_NS6detail17trampoline_kernelINS0_13select_configILj256ELj13ELNS0_17block_load_methodE3ELS4_3ELS4_3ELNS0_20block_scan_algorithmE0ELj4294967295EEENS1_25partition_config_selectorILNS1_17partition_subalgoE3EjNS0_10empty_typeEbEEZZNS1_14partition_implILS8_3ELb0ES6_jNS0_17counting_iteratorIjlEEPS9_SE_NS0_5tupleIJPjSE_EEENSF_IJSE_SE_EEES9_SG_JZNS1_25segmented_radix_sort_implINS0_14default_configELb0EPKdPdPKlPlN2at6native12_GLOBAL__N_18offset_tEEE10hipError_tPvRmT1_PNSt15iterator_traitsISY_E10value_typeET2_T3_PNSZ_IS14_E10value_typeET4_jRbjT5_S1A_jjP12ihipStream_tbEUljE_EEESV_SW_SX_S14_S18_S1A_T6_T7_T9_mT8_S1C_bDpT10_ENKUlT_T0_E_clISt17integral_constantIbLb1EES1O_IbLb0EEEEDaS1K_S1L_EUlS1K_E_NS1_11comp_targetILNS1_3genE3ELNS1_11target_archE908ELNS1_3gpuE7ELNS1_3repE0EEENS1_30default_config_static_selectorELNS0_4arch9wavefront6targetE1EEEvSY_,"axG",@progbits,_ZN7rocprim17ROCPRIM_400000_NS6detail17trampoline_kernelINS0_13select_configILj256ELj13ELNS0_17block_load_methodE3ELS4_3ELS4_3ELNS0_20block_scan_algorithmE0ELj4294967295EEENS1_25partition_config_selectorILNS1_17partition_subalgoE3EjNS0_10empty_typeEbEEZZNS1_14partition_implILS8_3ELb0ES6_jNS0_17counting_iteratorIjlEEPS9_SE_NS0_5tupleIJPjSE_EEENSF_IJSE_SE_EEES9_SG_JZNS1_25segmented_radix_sort_implINS0_14default_configELb0EPKdPdPKlPlN2at6native12_GLOBAL__N_18offset_tEEE10hipError_tPvRmT1_PNSt15iterator_traitsISY_E10value_typeET2_T3_PNSZ_IS14_E10value_typeET4_jRbjT5_S1A_jjP12ihipStream_tbEUljE_EEESV_SW_SX_S14_S18_S1A_T6_T7_T9_mT8_S1C_bDpT10_ENKUlT_T0_E_clISt17integral_constantIbLb1EES1O_IbLb0EEEEDaS1K_S1L_EUlS1K_E_NS1_11comp_targetILNS1_3genE3ELNS1_11target_archE908ELNS1_3gpuE7ELNS1_3repE0EEENS1_30default_config_static_selectorELNS0_4arch9wavefront6targetE1EEEvSY_,comdat
.Lfunc_end1208:
	.size	_ZN7rocprim17ROCPRIM_400000_NS6detail17trampoline_kernelINS0_13select_configILj256ELj13ELNS0_17block_load_methodE3ELS4_3ELS4_3ELNS0_20block_scan_algorithmE0ELj4294967295EEENS1_25partition_config_selectorILNS1_17partition_subalgoE3EjNS0_10empty_typeEbEEZZNS1_14partition_implILS8_3ELb0ES6_jNS0_17counting_iteratorIjlEEPS9_SE_NS0_5tupleIJPjSE_EEENSF_IJSE_SE_EEES9_SG_JZNS1_25segmented_radix_sort_implINS0_14default_configELb0EPKdPdPKlPlN2at6native12_GLOBAL__N_18offset_tEEE10hipError_tPvRmT1_PNSt15iterator_traitsISY_E10value_typeET2_T3_PNSZ_IS14_E10value_typeET4_jRbjT5_S1A_jjP12ihipStream_tbEUljE_EEESV_SW_SX_S14_S18_S1A_T6_T7_T9_mT8_S1C_bDpT10_ENKUlT_T0_E_clISt17integral_constantIbLb1EES1O_IbLb0EEEEDaS1K_S1L_EUlS1K_E_NS1_11comp_targetILNS1_3genE3ELNS1_11target_archE908ELNS1_3gpuE7ELNS1_3repE0EEENS1_30default_config_static_selectorELNS0_4arch9wavefront6targetE1EEEvSY_, .Lfunc_end1208-_ZN7rocprim17ROCPRIM_400000_NS6detail17trampoline_kernelINS0_13select_configILj256ELj13ELNS0_17block_load_methodE3ELS4_3ELS4_3ELNS0_20block_scan_algorithmE0ELj4294967295EEENS1_25partition_config_selectorILNS1_17partition_subalgoE3EjNS0_10empty_typeEbEEZZNS1_14partition_implILS8_3ELb0ES6_jNS0_17counting_iteratorIjlEEPS9_SE_NS0_5tupleIJPjSE_EEENSF_IJSE_SE_EEES9_SG_JZNS1_25segmented_radix_sort_implINS0_14default_configELb0EPKdPdPKlPlN2at6native12_GLOBAL__N_18offset_tEEE10hipError_tPvRmT1_PNSt15iterator_traitsISY_E10value_typeET2_T3_PNSZ_IS14_E10value_typeET4_jRbjT5_S1A_jjP12ihipStream_tbEUljE_EEESV_SW_SX_S14_S18_S1A_T6_T7_T9_mT8_S1C_bDpT10_ENKUlT_T0_E_clISt17integral_constantIbLb1EES1O_IbLb0EEEEDaS1K_S1L_EUlS1K_E_NS1_11comp_targetILNS1_3genE3ELNS1_11target_archE908ELNS1_3gpuE7ELNS1_3repE0EEENS1_30default_config_static_selectorELNS0_4arch9wavefront6targetE1EEEvSY_
                                        ; -- End function
	.set _ZN7rocprim17ROCPRIM_400000_NS6detail17trampoline_kernelINS0_13select_configILj256ELj13ELNS0_17block_load_methodE3ELS4_3ELS4_3ELNS0_20block_scan_algorithmE0ELj4294967295EEENS1_25partition_config_selectorILNS1_17partition_subalgoE3EjNS0_10empty_typeEbEEZZNS1_14partition_implILS8_3ELb0ES6_jNS0_17counting_iteratorIjlEEPS9_SE_NS0_5tupleIJPjSE_EEENSF_IJSE_SE_EEES9_SG_JZNS1_25segmented_radix_sort_implINS0_14default_configELb0EPKdPdPKlPlN2at6native12_GLOBAL__N_18offset_tEEE10hipError_tPvRmT1_PNSt15iterator_traitsISY_E10value_typeET2_T3_PNSZ_IS14_E10value_typeET4_jRbjT5_S1A_jjP12ihipStream_tbEUljE_EEESV_SW_SX_S14_S18_S1A_T6_T7_T9_mT8_S1C_bDpT10_ENKUlT_T0_E_clISt17integral_constantIbLb1EES1O_IbLb0EEEEDaS1K_S1L_EUlS1K_E_NS1_11comp_targetILNS1_3genE3ELNS1_11target_archE908ELNS1_3gpuE7ELNS1_3repE0EEENS1_30default_config_static_selectorELNS0_4arch9wavefront6targetE1EEEvSY_.num_vgpr, 0
	.set _ZN7rocprim17ROCPRIM_400000_NS6detail17trampoline_kernelINS0_13select_configILj256ELj13ELNS0_17block_load_methodE3ELS4_3ELS4_3ELNS0_20block_scan_algorithmE0ELj4294967295EEENS1_25partition_config_selectorILNS1_17partition_subalgoE3EjNS0_10empty_typeEbEEZZNS1_14partition_implILS8_3ELb0ES6_jNS0_17counting_iteratorIjlEEPS9_SE_NS0_5tupleIJPjSE_EEENSF_IJSE_SE_EEES9_SG_JZNS1_25segmented_radix_sort_implINS0_14default_configELb0EPKdPdPKlPlN2at6native12_GLOBAL__N_18offset_tEEE10hipError_tPvRmT1_PNSt15iterator_traitsISY_E10value_typeET2_T3_PNSZ_IS14_E10value_typeET4_jRbjT5_S1A_jjP12ihipStream_tbEUljE_EEESV_SW_SX_S14_S18_S1A_T6_T7_T9_mT8_S1C_bDpT10_ENKUlT_T0_E_clISt17integral_constantIbLb1EES1O_IbLb0EEEEDaS1K_S1L_EUlS1K_E_NS1_11comp_targetILNS1_3genE3ELNS1_11target_archE908ELNS1_3gpuE7ELNS1_3repE0EEENS1_30default_config_static_selectorELNS0_4arch9wavefront6targetE1EEEvSY_.num_agpr, 0
	.set _ZN7rocprim17ROCPRIM_400000_NS6detail17trampoline_kernelINS0_13select_configILj256ELj13ELNS0_17block_load_methodE3ELS4_3ELS4_3ELNS0_20block_scan_algorithmE0ELj4294967295EEENS1_25partition_config_selectorILNS1_17partition_subalgoE3EjNS0_10empty_typeEbEEZZNS1_14partition_implILS8_3ELb0ES6_jNS0_17counting_iteratorIjlEEPS9_SE_NS0_5tupleIJPjSE_EEENSF_IJSE_SE_EEES9_SG_JZNS1_25segmented_radix_sort_implINS0_14default_configELb0EPKdPdPKlPlN2at6native12_GLOBAL__N_18offset_tEEE10hipError_tPvRmT1_PNSt15iterator_traitsISY_E10value_typeET2_T3_PNSZ_IS14_E10value_typeET4_jRbjT5_S1A_jjP12ihipStream_tbEUljE_EEESV_SW_SX_S14_S18_S1A_T6_T7_T9_mT8_S1C_bDpT10_ENKUlT_T0_E_clISt17integral_constantIbLb1EES1O_IbLb0EEEEDaS1K_S1L_EUlS1K_E_NS1_11comp_targetILNS1_3genE3ELNS1_11target_archE908ELNS1_3gpuE7ELNS1_3repE0EEENS1_30default_config_static_selectorELNS0_4arch9wavefront6targetE1EEEvSY_.numbered_sgpr, 0
	.set _ZN7rocprim17ROCPRIM_400000_NS6detail17trampoline_kernelINS0_13select_configILj256ELj13ELNS0_17block_load_methodE3ELS4_3ELS4_3ELNS0_20block_scan_algorithmE0ELj4294967295EEENS1_25partition_config_selectorILNS1_17partition_subalgoE3EjNS0_10empty_typeEbEEZZNS1_14partition_implILS8_3ELb0ES6_jNS0_17counting_iteratorIjlEEPS9_SE_NS0_5tupleIJPjSE_EEENSF_IJSE_SE_EEES9_SG_JZNS1_25segmented_radix_sort_implINS0_14default_configELb0EPKdPdPKlPlN2at6native12_GLOBAL__N_18offset_tEEE10hipError_tPvRmT1_PNSt15iterator_traitsISY_E10value_typeET2_T3_PNSZ_IS14_E10value_typeET4_jRbjT5_S1A_jjP12ihipStream_tbEUljE_EEESV_SW_SX_S14_S18_S1A_T6_T7_T9_mT8_S1C_bDpT10_ENKUlT_T0_E_clISt17integral_constantIbLb1EES1O_IbLb0EEEEDaS1K_S1L_EUlS1K_E_NS1_11comp_targetILNS1_3genE3ELNS1_11target_archE908ELNS1_3gpuE7ELNS1_3repE0EEENS1_30default_config_static_selectorELNS0_4arch9wavefront6targetE1EEEvSY_.num_named_barrier, 0
	.set _ZN7rocprim17ROCPRIM_400000_NS6detail17trampoline_kernelINS0_13select_configILj256ELj13ELNS0_17block_load_methodE3ELS4_3ELS4_3ELNS0_20block_scan_algorithmE0ELj4294967295EEENS1_25partition_config_selectorILNS1_17partition_subalgoE3EjNS0_10empty_typeEbEEZZNS1_14partition_implILS8_3ELb0ES6_jNS0_17counting_iteratorIjlEEPS9_SE_NS0_5tupleIJPjSE_EEENSF_IJSE_SE_EEES9_SG_JZNS1_25segmented_radix_sort_implINS0_14default_configELb0EPKdPdPKlPlN2at6native12_GLOBAL__N_18offset_tEEE10hipError_tPvRmT1_PNSt15iterator_traitsISY_E10value_typeET2_T3_PNSZ_IS14_E10value_typeET4_jRbjT5_S1A_jjP12ihipStream_tbEUljE_EEESV_SW_SX_S14_S18_S1A_T6_T7_T9_mT8_S1C_bDpT10_ENKUlT_T0_E_clISt17integral_constantIbLb1EES1O_IbLb0EEEEDaS1K_S1L_EUlS1K_E_NS1_11comp_targetILNS1_3genE3ELNS1_11target_archE908ELNS1_3gpuE7ELNS1_3repE0EEENS1_30default_config_static_selectorELNS0_4arch9wavefront6targetE1EEEvSY_.private_seg_size, 0
	.set _ZN7rocprim17ROCPRIM_400000_NS6detail17trampoline_kernelINS0_13select_configILj256ELj13ELNS0_17block_load_methodE3ELS4_3ELS4_3ELNS0_20block_scan_algorithmE0ELj4294967295EEENS1_25partition_config_selectorILNS1_17partition_subalgoE3EjNS0_10empty_typeEbEEZZNS1_14partition_implILS8_3ELb0ES6_jNS0_17counting_iteratorIjlEEPS9_SE_NS0_5tupleIJPjSE_EEENSF_IJSE_SE_EEES9_SG_JZNS1_25segmented_radix_sort_implINS0_14default_configELb0EPKdPdPKlPlN2at6native12_GLOBAL__N_18offset_tEEE10hipError_tPvRmT1_PNSt15iterator_traitsISY_E10value_typeET2_T3_PNSZ_IS14_E10value_typeET4_jRbjT5_S1A_jjP12ihipStream_tbEUljE_EEESV_SW_SX_S14_S18_S1A_T6_T7_T9_mT8_S1C_bDpT10_ENKUlT_T0_E_clISt17integral_constantIbLb1EES1O_IbLb0EEEEDaS1K_S1L_EUlS1K_E_NS1_11comp_targetILNS1_3genE3ELNS1_11target_archE908ELNS1_3gpuE7ELNS1_3repE0EEENS1_30default_config_static_selectorELNS0_4arch9wavefront6targetE1EEEvSY_.uses_vcc, 0
	.set _ZN7rocprim17ROCPRIM_400000_NS6detail17trampoline_kernelINS0_13select_configILj256ELj13ELNS0_17block_load_methodE3ELS4_3ELS4_3ELNS0_20block_scan_algorithmE0ELj4294967295EEENS1_25partition_config_selectorILNS1_17partition_subalgoE3EjNS0_10empty_typeEbEEZZNS1_14partition_implILS8_3ELb0ES6_jNS0_17counting_iteratorIjlEEPS9_SE_NS0_5tupleIJPjSE_EEENSF_IJSE_SE_EEES9_SG_JZNS1_25segmented_radix_sort_implINS0_14default_configELb0EPKdPdPKlPlN2at6native12_GLOBAL__N_18offset_tEEE10hipError_tPvRmT1_PNSt15iterator_traitsISY_E10value_typeET2_T3_PNSZ_IS14_E10value_typeET4_jRbjT5_S1A_jjP12ihipStream_tbEUljE_EEESV_SW_SX_S14_S18_S1A_T6_T7_T9_mT8_S1C_bDpT10_ENKUlT_T0_E_clISt17integral_constantIbLb1EES1O_IbLb0EEEEDaS1K_S1L_EUlS1K_E_NS1_11comp_targetILNS1_3genE3ELNS1_11target_archE908ELNS1_3gpuE7ELNS1_3repE0EEENS1_30default_config_static_selectorELNS0_4arch9wavefront6targetE1EEEvSY_.uses_flat_scratch, 0
	.set _ZN7rocprim17ROCPRIM_400000_NS6detail17trampoline_kernelINS0_13select_configILj256ELj13ELNS0_17block_load_methodE3ELS4_3ELS4_3ELNS0_20block_scan_algorithmE0ELj4294967295EEENS1_25partition_config_selectorILNS1_17partition_subalgoE3EjNS0_10empty_typeEbEEZZNS1_14partition_implILS8_3ELb0ES6_jNS0_17counting_iteratorIjlEEPS9_SE_NS0_5tupleIJPjSE_EEENSF_IJSE_SE_EEES9_SG_JZNS1_25segmented_radix_sort_implINS0_14default_configELb0EPKdPdPKlPlN2at6native12_GLOBAL__N_18offset_tEEE10hipError_tPvRmT1_PNSt15iterator_traitsISY_E10value_typeET2_T3_PNSZ_IS14_E10value_typeET4_jRbjT5_S1A_jjP12ihipStream_tbEUljE_EEESV_SW_SX_S14_S18_S1A_T6_T7_T9_mT8_S1C_bDpT10_ENKUlT_T0_E_clISt17integral_constantIbLb1EES1O_IbLb0EEEEDaS1K_S1L_EUlS1K_E_NS1_11comp_targetILNS1_3genE3ELNS1_11target_archE908ELNS1_3gpuE7ELNS1_3repE0EEENS1_30default_config_static_selectorELNS0_4arch9wavefront6targetE1EEEvSY_.has_dyn_sized_stack, 0
	.set _ZN7rocprim17ROCPRIM_400000_NS6detail17trampoline_kernelINS0_13select_configILj256ELj13ELNS0_17block_load_methodE3ELS4_3ELS4_3ELNS0_20block_scan_algorithmE0ELj4294967295EEENS1_25partition_config_selectorILNS1_17partition_subalgoE3EjNS0_10empty_typeEbEEZZNS1_14partition_implILS8_3ELb0ES6_jNS0_17counting_iteratorIjlEEPS9_SE_NS0_5tupleIJPjSE_EEENSF_IJSE_SE_EEES9_SG_JZNS1_25segmented_radix_sort_implINS0_14default_configELb0EPKdPdPKlPlN2at6native12_GLOBAL__N_18offset_tEEE10hipError_tPvRmT1_PNSt15iterator_traitsISY_E10value_typeET2_T3_PNSZ_IS14_E10value_typeET4_jRbjT5_S1A_jjP12ihipStream_tbEUljE_EEESV_SW_SX_S14_S18_S1A_T6_T7_T9_mT8_S1C_bDpT10_ENKUlT_T0_E_clISt17integral_constantIbLb1EES1O_IbLb0EEEEDaS1K_S1L_EUlS1K_E_NS1_11comp_targetILNS1_3genE3ELNS1_11target_archE908ELNS1_3gpuE7ELNS1_3repE0EEENS1_30default_config_static_selectorELNS0_4arch9wavefront6targetE1EEEvSY_.has_recursion, 0
	.set _ZN7rocprim17ROCPRIM_400000_NS6detail17trampoline_kernelINS0_13select_configILj256ELj13ELNS0_17block_load_methodE3ELS4_3ELS4_3ELNS0_20block_scan_algorithmE0ELj4294967295EEENS1_25partition_config_selectorILNS1_17partition_subalgoE3EjNS0_10empty_typeEbEEZZNS1_14partition_implILS8_3ELb0ES6_jNS0_17counting_iteratorIjlEEPS9_SE_NS0_5tupleIJPjSE_EEENSF_IJSE_SE_EEES9_SG_JZNS1_25segmented_radix_sort_implINS0_14default_configELb0EPKdPdPKlPlN2at6native12_GLOBAL__N_18offset_tEEE10hipError_tPvRmT1_PNSt15iterator_traitsISY_E10value_typeET2_T3_PNSZ_IS14_E10value_typeET4_jRbjT5_S1A_jjP12ihipStream_tbEUljE_EEESV_SW_SX_S14_S18_S1A_T6_T7_T9_mT8_S1C_bDpT10_ENKUlT_T0_E_clISt17integral_constantIbLb1EES1O_IbLb0EEEEDaS1K_S1L_EUlS1K_E_NS1_11comp_targetILNS1_3genE3ELNS1_11target_archE908ELNS1_3gpuE7ELNS1_3repE0EEENS1_30default_config_static_selectorELNS0_4arch9wavefront6targetE1EEEvSY_.has_indirect_call, 0
	.section	.AMDGPU.csdata,"",@progbits
; Kernel info:
; codeLenInByte = 0
; TotalNumSgprs: 4
; NumVgprs: 0
; ScratchSize: 0
; MemoryBound: 0
; FloatMode: 240
; IeeeMode: 1
; LDSByteSize: 0 bytes/workgroup (compile time only)
; SGPRBlocks: 0
; VGPRBlocks: 0
; NumSGPRsForWavesPerEU: 4
; NumVGPRsForWavesPerEU: 1
; Occupancy: 10
; WaveLimiterHint : 0
; COMPUTE_PGM_RSRC2:SCRATCH_EN: 0
; COMPUTE_PGM_RSRC2:USER_SGPR: 6
; COMPUTE_PGM_RSRC2:TRAP_HANDLER: 0
; COMPUTE_PGM_RSRC2:TGID_X_EN: 1
; COMPUTE_PGM_RSRC2:TGID_Y_EN: 0
; COMPUTE_PGM_RSRC2:TGID_Z_EN: 0
; COMPUTE_PGM_RSRC2:TIDIG_COMP_CNT: 0
	.section	.text._ZN7rocprim17ROCPRIM_400000_NS6detail17trampoline_kernelINS0_13select_configILj256ELj13ELNS0_17block_load_methodE3ELS4_3ELS4_3ELNS0_20block_scan_algorithmE0ELj4294967295EEENS1_25partition_config_selectorILNS1_17partition_subalgoE3EjNS0_10empty_typeEbEEZZNS1_14partition_implILS8_3ELb0ES6_jNS0_17counting_iteratorIjlEEPS9_SE_NS0_5tupleIJPjSE_EEENSF_IJSE_SE_EEES9_SG_JZNS1_25segmented_radix_sort_implINS0_14default_configELb0EPKdPdPKlPlN2at6native12_GLOBAL__N_18offset_tEEE10hipError_tPvRmT1_PNSt15iterator_traitsISY_E10value_typeET2_T3_PNSZ_IS14_E10value_typeET4_jRbjT5_S1A_jjP12ihipStream_tbEUljE_EEESV_SW_SX_S14_S18_S1A_T6_T7_T9_mT8_S1C_bDpT10_ENKUlT_T0_E_clISt17integral_constantIbLb1EES1O_IbLb0EEEEDaS1K_S1L_EUlS1K_E_NS1_11comp_targetILNS1_3genE2ELNS1_11target_archE906ELNS1_3gpuE6ELNS1_3repE0EEENS1_30default_config_static_selectorELNS0_4arch9wavefront6targetE1EEEvSY_,"axG",@progbits,_ZN7rocprim17ROCPRIM_400000_NS6detail17trampoline_kernelINS0_13select_configILj256ELj13ELNS0_17block_load_methodE3ELS4_3ELS4_3ELNS0_20block_scan_algorithmE0ELj4294967295EEENS1_25partition_config_selectorILNS1_17partition_subalgoE3EjNS0_10empty_typeEbEEZZNS1_14partition_implILS8_3ELb0ES6_jNS0_17counting_iteratorIjlEEPS9_SE_NS0_5tupleIJPjSE_EEENSF_IJSE_SE_EEES9_SG_JZNS1_25segmented_radix_sort_implINS0_14default_configELb0EPKdPdPKlPlN2at6native12_GLOBAL__N_18offset_tEEE10hipError_tPvRmT1_PNSt15iterator_traitsISY_E10value_typeET2_T3_PNSZ_IS14_E10value_typeET4_jRbjT5_S1A_jjP12ihipStream_tbEUljE_EEESV_SW_SX_S14_S18_S1A_T6_T7_T9_mT8_S1C_bDpT10_ENKUlT_T0_E_clISt17integral_constantIbLb1EES1O_IbLb0EEEEDaS1K_S1L_EUlS1K_E_NS1_11comp_targetILNS1_3genE2ELNS1_11target_archE906ELNS1_3gpuE6ELNS1_3repE0EEENS1_30default_config_static_selectorELNS0_4arch9wavefront6targetE1EEEvSY_,comdat
	.globl	_ZN7rocprim17ROCPRIM_400000_NS6detail17trampoline_kernelINS0_13select_configILj256ELj13ELNS0_17block_load_methodE3ELS4_3ELS4_3ELNS0_20block_scan_algorithmE0ELj4294967295EEENS1_25partition_config_selectorILNS1_17partition_subalgoE3EjNS0_10empty_typeEbEEZZNS1_14partition_implILS8_3ELb0ES6_jNS0_17counting_iteratorIjlEEPS9_SE_NS0_5tupleIJPjSE_EEENSF_IJSE_SE_EEES9_SG_JZNS1_25segmented_radix_sort_implINS0_14default_configELb0EPKdPdPKlPlN2at6native12_GLOBAL__N_18offset_tEEE10hipError_tPvRmT1_PNSt15iterator_traitsISY_E10value_typeET2_T3_PNSZ_IS14_E10value_typeET4_jRbjT5_S1A_jjP12ihipStream_tbEUljE_EEESV_SW_SX_S14_S18_S1A_T6_T7_T9_mT8_S1C_bDpT10_ENKUlT_T0_E_clISt17integral_constantIbLb1EES1O_IbLb0EEEEDaS1K_S1L_EUlS1K_E_NS1_11comp_targetILNS1_3genE2ELNS1_11target_archE906ELNS1_3gpuE6ELNS1_3repE0EEENS1_30default_config_static_selectorELNS0_4arch9wavefront6targetE1EEEvSY_ ; -- Begin function _ZN7rocprim17ROCPRIM_400000_NS6detail17trampoline_kernelINS0_13select_configILj256ELj13ELNS0_17block_load_methodE3ELS4_3ELS4_3ELNS0_20block_scan_algorithmE0ELj4294967295EEENS1_25partition_config_selectorILNS1_17partition_subalgoE3EjNS0_10empty_typeEbEEZZNS1_14partition_implILS8_3ELb0ES6_jNS0_17counting_iteratorIjlEEPS9_SE_NS0_5tupleIJPjSE_EEENSF_IJSE_SE_EEES9_SG_JZNS1_25segmented_radix_sort_implINS0_14default_configELb0EPKdPdPKlPlN2at6native12_GLOBAL__N_18offset_tEEE10hipError_tPvRmT1_PNSt15iterator_traitsISY_E10value_typeET2_T3_PNSZ_IS14_E10value_typeET4_jRbjT5_S1A_jjP12ihipStream_tbEUljE_EEESV_SW_SX_S14_S18_S1A_T6_T7_T9_mT8_S1C_bDpT10_ENKUlT_T0_E_clISt17integral_constantIbLb1EES1O_IbLb0EEEEDaS1K_S1L_EUlS1K_E_NS1_11comp_targetILNS1_3genE2ELNS1_11target_archE906ELNS1_3gpuE6ELNS1_3repE0EEENS1_30default_config_static_selectorELNS0_4arch9wavefront6targetE1EEEvSY_
	.p2align	8
	.type	_ZN7rocprim17ROCPRIM_400000_NS6detail17trampoline_kernelINS0_13select_configILj256ELj13ELNS0_17block_load_methodE3ELS4_3ELS4_3ELNS0_20block_scan_algorithmE0ELj4294967295EEENS1_25partition_config_selectorILNS1_17partition_subalgoE3EjNS0_10empty_typeEbEEZZNS1_14partition_implILS8_3ELb0ES6_jNS0_17counting_iteratorIjlEEPS9_SE_NS0_5tupleIJPjSE_EEENSF_IJSE_SE_EEES9_SG_JZNS1_25segmented_radix_sort_implINS0_14default_configELb0EPKdPdPKlPlN2at6native12_GLOBAL__N_18offset_tEEE10hipError_tPvRmT1_PNSt15iterator_traitsISY_E10value_typeET2_T3_PNSZ_IS14_E10value_typeET4_jRbjT5_S1A_jjP12ihipStream_tbEUljE_EEESV_SW_SX_S14_S18_S1A_T6_T7_T9_mT8_S1C_bDpT10_ENKUlT_T0_E_clISt17integral_constantIbLb1EES1O_IbLb0EEEEDaS1K_S1L_EUlS1K_E_NS1_11comp_targetILNS1_3genE2ELNS1_11target_archE906ELNS1_3gpuE6ELNS1_3repE0EEENS1_30default_config_static_selectorELNS0_4arch9wavefront6targetE1EEEvSY_,@function
_ZN7rocprim17ROCPRIM_400000_NS6detail17trampoline_kernelINS0_13select_configILj256ELj13ELNS0_17block_load_methodE3ELS4_3ELS4_3ELNS0_20block_scan_algorithmE0ELj4294967295EEENS1_25partition_config_selectorILNS1_17partition_subalgoE3EjNS0_10empty_typeEbEEZZNS1_14partition_implILS8_3ELb0ES6_jNS0_17counting_iteratorIjlEEPS9_SE_NS0_5tupleIJPjSE_EEENSF_IJSE_SE_EEES9_SG_JZNS1_25segmented_radix_sort_implINS0_14default_configELb0EPKdPdPKlPlN2at6native12_GLOBAL__N_18offset_tEEE10hipError_tPvRmT1_PNSt15iterator_traitsISY_E10value_typeET2_T3_PNSZ_IS14_E10value_typeET4_jRbjT5_S1A_jjP12ihipStream_tbEUljE_EEESV_SW_SX_S14_S18_S1A_T6_T7_T9_mT8_S1C_bDpT10_ENKUlT_T0_E_clISt17integral_constantIbLb1EES1O_IbLb0EEEEDaS1K_S1L_EUlS1K_E_NS1_11comp_targetILNS1_3genE2ELNS1_11target_archE906ELNS1_3gpuE6ELNS1_3repE0EEENS1_30default_config_static_selectorELNS0_4arch9wavefront6targetE1EEEvSY_: ; @_ZN7rocprim17ROCPRIM_400000_NS6detail17trampoline_kernelINS0_13select_configILj256ELj13ELNS0_17block_load_methodE3ELS4_3ELS4_3ELNS0_20block_scan_algorithmE0ELj4294967295EEENS1_25partition_config_selectorILNS1_17partition_subalgoE3EjNS0_10empty_typeEbEEZZNS1_14partition_implILS8_3ELb0ES6_jNS0_17counting_iteratorIjlEEPS9_SE_NS0_5tupleIJPjSE_EEENSF_IJSE_SE_EEES9_SG_JZNS1_25segmented_radix_sort_implINS0_14default_configELb0EPKdPdPKlPlN2at6native12_GLOBAL__N_18offset_tEEE10hipError_tPvRmT1_PNSt15iterator_traitsISY_E10value_typeET2_T3_PNSZ_IS14_E10value_typeET4_jRbjT5_S1A_jjP12ihipStream_tbEUljE_EEESV_SW_SX_S14_S18_S1A_T6_T7_T9_mT8_S1C_bDpT10_ENKUlT_T0_E_clISt17integral_constantIbLb1EES1O_IbLb0EEEEDaS1K_S1L_EUlS1K_E_NS1_11comp_targetILNS1_3genE2ELNS1_11target_archE906ELNS1_3gpuE6ELNS1_3repE0EEENS1_30default_config_static_selectorELNS0_4arch9wavefront6targetE1EEEvSY_
; %bb.0:
	s_endpgm
	.section	.rodata,"a",@progbits
	.p2align	6, 0x0
	.amdhsa_kernel _ZN7rocprim17ROCPRIM_400000_NS6detail17trampoline_kernelINS0_13select_configILj256ELj13ELNS0_17block_load_methodE3ELS4_3ELS4_3ELNS0_20block_scan_algorithmE0ELj4294967295EEENS1_25partition_config_selectorILNS1_17partition_subalgoE3EjNS0_10empty_typeEbEEZZNS1_14partition_implILS8_3ELb0ES6_jNS0_17counting_iteratorIjlEEPS9_SE_NS0_5tupleIJPjSE_EEENSF_IJSE_SE_EEES9_SG_JZNS1_25segmented_radix_sort_implINS0_14default_configELb0EPKdPdPKlPlN2at6native12_GLOBAL__N_18offset_tEEE10hipError_tPvRmT1_PNSt15iterator_traitsISY_E10value_typeET2_T3_PNSZ_IS14_E10value_typeET4_jRbjT5_S1A_jjP12ihipStream_tbEUljE_EEESV_SW_SX_S14_S18_S1A_T6_T7_T9_mT8_S1C_bDpT10_ENKUlT_T0_E_clISt17integral_constantIbLb1EES1O_IbLb0EEEEDaS1K_S1L_EUlS1K_E_NS1_11comp_targetILNS1_3genE2ELNS1_11target_archE906ELNS1_3gpuE6ELNS1_3repE0EEENS1_30default_config_static_selectorELNS0_4arch9wavefront6targetE1EEEvSY_
		.amdhsa_group_segment_fixed_size 0
		.amdhsa_private_segment_fixed_size 0
		.amdhsa_kernarg_size 144
		.amdhsa_user_sgpr_count 6
		.amdhsa_user_sgpr_private_segment_buffer 1
		.amdhsa_user_sgpr_dispatch_ptr 0
		.amdhsa_user_sgpr_queue_ptr 0
		.amdhsa_user_sgpr_kernarg_segment_ptr 1
		.amdhsa_user_sgpr_dispatch_id 0
		.amdhsa_user_sgpr_flat_scratch_init 0
		.amdhsa_user_sgpr_private_segment_size 0
		.amdhsa_uses_dynamic_stack 0
		.amdhsa_system_sgpr_private_segment_wavefront_offset 0
		.amdhsa_system_sgpr_workgroup_id_x 1
		.amdhsa_system_sgpr_workgroup_id_y 0
		.amdhsa_system_sgpr_workgroup_id_z 0
		.amdhsa_system_sgpr_workgroup_info 0
		.amdhsa_system_vgpr_workitem_id 0
		.amdhsa_next_free_vgpr 1
		.amdhsa_next_free_sgpr 0
		.amdhsa_reserve_vcc 0
		.amdhsa_reserve_flat_scratch 0
		.amdhsa_float_round_mode_32 0
		.amdhsa_float_round_mode_16_64 0
		.amdhsa_float_denorm_mode_32 3
		.amdhsa_float_denorm_mode_16_64 3
		.amdhsa_dx10_clamp 1
		.amdhsa_ieee_mode 1
		.amdhsa_fp16_overflow 0
		.amdhsa_exception_fp_ieee_invalid_op 0
		.amdhsa_exception_fp_denorm_src 0
		.amdhsa_exception_fp_ieee_div_zero 0
		.amdhsa_exception_fp_ieee_overflow 0
		.amdhsa_exception_fp_ieee_underflow 0
		.amdhsa_exception_fp_ieee_inexact 0
		.amdhsa_exception_int_div_zero 0
	.end_amdhsa_kernel
	.section	.text._ZN7rocprim17ROCPRIM_400000_NS6detail17trampoline_kernelINS0_13select_configILj256ELj13ELNS0_17block_load_methodE3ELS4_3ELS4_3ELNS0_20block_scan_algorithmE0ELj4294967295EEENS1_25partition_config_selectorILNS1_17partition_subalgoE3EjNS0_10empty_typeEbEEZZNS1_14partition_implILS8_3ELb0ES6_jNS0_17counting_iteratorIjlEEPS9_SE_NS0_5tupleIJPjSE_EEENSF_IJSE_SE_EEES9_SG_JZNS1_25segmented_radix_sort_implINS0_14default_configELb0EPKdPdPKlPlN2at6native12_GLOBAL__N_18offset_tEEE10hipError_tPvRmT1_PNSt15iterator_traitsISY_E10value_typeET2_T3_PNSZ_IS14_E10value_typeET4_jRbjT5_S1A_jjP12ihipStream_tbEUljE_EEESV_SW_SX_S14_S18_S1A_T6_T7_T9_mT8_S1C_bDpT10_ENKUlT_T0_E_clISt17integral_constantIbLb1EES1O_IbLb0EEEEDaS1K_S1L_EUlS1K_E_NS1_11comp_targetILNS1_3genE2ELNS1_11target_archE906ELNS1_3gpuE6ELNS1_3repE0EEENS1_30default_config_static_selectorELNS0_4arch9wavefront6targetE1EEEvSY_,"axG",@progbits,_ZN7rocprim17ROCPRIM_400000_NS6detail17trampoline_kernelINS0_13select_configILj256ELj13ELNS0_17block_load_methodE3ELS4_3ELS4_3ELNS0_20block_scan_algorithmE0ELj4294967295EEENS1_25partition_config_selectorILNS1_17partition_subalgoE3EjNS0_10empty_typeEbEEZZNS1_14partition_implILS8_3ELb0ES6_jNS0_17counting_iteratorIjlEEPS9_SE_NS0_5tupleIJPjSE_EEENSF_IJSE_SE_EEES9_SG_JZNS1_25segmented_radix_sort_implINS0_14default_configELb0EPKdPdPKlPlN2at6native12_GLOBAL__N_18offset_tEEE10hipError_tPvRmT1_PNSt15iterator_traitsISY_E10value_typeET2_T3_PNSZ_IS14_E10value_typeET4_jRbjT5_S1A_jjP12ihipStream_tbEUljE_EEESV_SW_SX_S14_S18_S1A_T6_T7_T9_mT8_S1C_bDpT10_ENKUlT_T0_E_clISt17integral_constantIbLb1EES1O_IbLb0EEEEDaS1K_S1L_EUlS1K_E_NS1_11comp_targetILNS1_3genE2ELNS1_11target_archE906ELNS1_3gpuE6ELNS1_3repE0EEENS1_30default_config_static_selectorELNS0_4arch9wavefront6targetE1EEEvSY_,comdat
.Lfunc_end1209:
	.size	_ZN7rocprim17ROCPRIM_400000_NS6detail17trampoline_kernelINS0_13select_configILj256ELj13ELNS0_17block_load_methodE3ELS4_3ELS4_3ELNS0_20block_scan_algorithmE0ELj4294967295EEENS1_25partition_config_selectorILNS1_17partition_subalgoE3EjNS0_10empty_typeEbEEZZNS1_14partition_implILS8_3ELb0ES6_jNS0_17counting_iteratorIjlEEPS9_SE_NS0_5tupleIJPjSE_EEENSF_IJSE_SE_EEES9_SG_JZNS1_25segmented_radix_sort_implINS0_14default_configELb0EPKdPdPKlPlN2at6native12_GLOBAL__N_18offset_tEEE10hipError_tPvRmT1_PNSt15iterator_traitsISY_E10value_typeET2_T3_PNSZ_IS14_E10value_typeET4_jRbjT5_S1A_jjP12ihipStream_tbEUljE_EEESV_SW_SX_S14_S18_S1A_T6_T7_T9_mT8_S1C_bDpT10_ENKUlT_T0_E_clISt17integral_constantIbLb1EES1O_IbLb0EEEEDaS1K_S1L_EUlS1K_E_NS1_11comp_targetILNS1_3genE2ELNS1_11target_archE906ELNS1_3gpuE6ELNS1_3repE0EEENS1_30default_config_static_selectorELNS0_4arch9wavefront6targetE1EEEvSY_, .Lfunc_end1209-_ZN7rocprim17ROCPRIM_400000_NS6detail17trampoline_kernelINS0_13select_configILj256ELj13ELNS0_17block_load_methodE3ELS4_3ELS4_3ELNS0_20block_scan_algorithmE0ELj4294967295EEENS1_25partition_config_selectorILNS1_17partition_subalgoE3EjNS0_10empty_typeEbEEZZNS1_14partition_implILS8_3ELb0ES6_jNS0_17counting_iteratorIjlEEPS9_SE_NS0_5tupleIJPjSE_EEENSF_IJSE_SE_EEES9_SG_JZNS1_25segmented_radix_sort_implINS0_14default_configELb0EPKdPdPKlPlN2at6native12_GLOBAL__N_18offset_tEEE10hipError_tPvRmT1_PNSt15iterator_traitsISY_E10value_typeET2_T3_PNSZ_IS14_E10value_typeET4_jRbjT5_S1A_jjP12ihipStream_tbEUljE_EEESV_SW_SX_S14_S18_S1A_T6_T7_T9_mT8_S1C_bDpT10_ENKUlT_T0_E_clISt17integral_constantIbLb1EES1O_IbLb0EEEEDaS1K_S1L_EUlS1K_E_NS1_11comp_targetILNS1_3genE2ELNS1_11target_archE906ELNS1_3gpuE6ELNS1_3repE0EEENS1_30default_config_static_selectorELNS0_4arch9wavefront6targetE1EEEvSY_
                                        ; -- End function
	.set _ZN7rocprim17ROCPRIM_400000_NS6detail17trampoline_kernelINS0_13select_configILj256ELj13ELNS0_17block_load_methodE3ELS4_3ELS4_3ELNS0_20block_scan_algorithmE0ELj4294967295EEENS1_25partition_config_selectorILNS1_17partition_subalgoE3EjNS0_10empty_typeEbEEZZNS1_14partition_implILS8_3ELb0ES6_jNS0_17counting_iteratorIjlEEPS9_SE_NS0_5tupleIJPjSE_EEENSF_IJSE_SE_EEES9_SG_JZNS1_25segmented_radix_sort_implINS0_14default_configELb0EPKdPdPKlPlN2at6native12_GLOBAL__N_18offset_tEEE10hipError_tPvRmT1_PNSt15iterator_traitsISY_E10value_typeET2_T3_PNSZ_IS14_E10value_typeET4_jRbjT5_S1A_jjP12ihipStream_tbEUljE_EEESV_SW_SX_S14_S18_S1A_T6_T7_T9_mT8_S1C_bDpT10_ENKUlT_T0_E_clISt17integral_constantIbLb1EES1O_IbLb0EEEEDaS1K_S1L_EUlS1K_E_NS1_11comp_targetILNS1_3genE2ELNS1_11target_archE906ELNS1_3gpuE6ELNS1_3repE0EEENS1_30default_config_static_selectorELNS0_4arch9wavefront6targetE1EEEvSY_.num_vgpr, 0
	.set _ZN7rocprim17ROCPRIM_400000_NS6detail17trampoline_kernelINS0_13select_configILj256ELj13ELNS0_17block_load_methodE3ELS4_3ELS4_3ELNS0_20block_scan_algorithmE0ELj4294967295EEENS1_25partition_config_selectorILNS1_17partition_subalgoE3EjNS0_10empty_typeEbEEZZNS1_14partition_implILS8_3ELb0ES6_jNS0_17counting_iteratorIjlEEPS9_SE_NS0_5tupleIJPjSE_EEENSF_IJSE_SE_EEES9_SG_JZNS1_25segmented_radix_sort_implINS0_14default_configELb0EPKdPdPKlPlN2at6native12_GLOBAL__N_18offset_tEEE10hipError_tPvRmT1_PNSt15iterator_traitsISY_E10value_typeET2_T3_PNSZ_IS14_E10value_typeET4_jRbjT5_S1A_jjP12ihipStream_tbEUljE_EEESV_SW_SX_S14_S18_S1A_T6_T7_T9_mT8_S1C_bDpT10_ENKUlT_T0_E_clISt17integral_constantIbLb1EES1O_IbLb0EEEEDaS1K_S1L_EUlS1K_E_NS1_11comp_targetILNS1_3genE2ELNS1_11target_archE906ELNS1_3gpuE6ELNS1_3repE0EEENS1_30default_config_static_selectorELNS0_4arch9wavefront6targetE1EEEvSY_.num_agpr, 0
	.set _ZN7rocprim17ROCPRIM_400000_NS6detail17trampoline_kernelINS0_13select_configILj256ELj13ELNS0_17block_load_methodE3ELS4_3ELS4_3ELNS0_20block_scan_algorithmE0ELj4294967295EEENS1_25partition_config_selectorILNS1_17partition_subalgoE3EjNS0_10empty_typeEbEEZZNS1_14partition_implILS8_3ELb0ES6_jNS0_17counting_iteratorIjlEEPS9_SE_NS0_5tupleIJPjSE_EEENSF_IJSE_SE_EEES9_SG_JZNS1_25segmented_radix_sort_implINS0_14default_configELb0EPKdPdPKlPlN2at6native12_GLOBAL__N_18offset_tEEE10hipError_tPvRmT1_PNSt15iterator_traitsISY_E10value_typeET2_T3_PNSZ_IS14_E10value_typeET4_jRbjT5_S1A_jjP12ihipStream_tbEUljE_EEESV_SW_SX_S14_S18_S1A_T6_T7_T9_mT8_S1C_bDpT10_ENKUlT_T0_E_clISt17integral_constantIbLb1EES1O_IbLb0EEEEDaS1K_S1L_EUlS1K_E_NS1_11comp_targetILNS1_3genE2ELNS1_11target_archE906ELNS1_3gpuE6ELNS1_3repE0EEENS1_30default_config_static_selectorELNS0_4arch9wavefront6targetE1EEEvSY_.numbered_sgpr, 0
	.set _ZN7rocprim17ROCPRIM_400000_NS6detail17trampoline_kernelINS0_13select_configILj256ELj13ELNS0_17block_load_methodE3ELS4_3ELS4_3ELNS0_20block_scan_algorithmE0ELj4294967295EEENS1_25partition_config_selectorILNS1_17partition_subalgoE3EjNS0_10empty_typeEbEEZZNS1_14partition_implILS8_3ELb0ES6_jNS0_17counting_iteratorIjlEEPS9_SE_NS0_5tupleIJPjSE_EEENSF_IJSE_SE_EEES9_SG_JZNS1_25segmented_radix_sort_implINS0_14default_configELb0EPKdPdPKlPlN2at6native12_GLOBAL__N_18offset_tEEE10hipError_tPvRmT1_PNSt15iterator_traitsISY_E10value_typeET2_T3_PNSZ_IS14_E10value_typeET4_jRbjT5_S1A_jjP12ihipStream_tbEUljE_EEESV_SW_SX_S14_S18_S1A_T6_T7_T9_mT8_S1C_bDpT10_ENKUlT_T0_E_clISt17integral_constantIbLb1EES1O_IbLb0EEEEDaS1K_S1L_EUlS1K_E_NS1_11comp_targetILNS1_3genE2ELNS1_11target_archE906ELNS1_3gpuE6ELNS1_3repE0EEENS1_30default_config_static_selectorELNS0_4arch9wavefront6targetE1EEEvSY_.num_named_barrier, 0
	.set _ZN7rocprim17ROCPRIM_400000_NS6detail17trampoline_kernelINS0_13select_configILj256ELj13ELNS0_17block_load_methodE3ELS4_3ELS4_3ELNS0_20block_scan_algorithmE0ELj4294967295EEENS1_25partition_config_selectorILNS1_17partition_subalgoE3EjNS0_10empty_typeEbEEZZNS1_14partition_implILS8_3ELb0ES6_jNS0_17counting_iteratorIjlEEPS9_SE_NS0_5tupleIJPjSE_EEENSF_IJSE_SE_EEES9_SG_JZNS1_25segmented_radix_sort_implINS0_14default_configELb0EPKdPdPKlPlN2at6native12_GLOBAL__N_18offset_tEEE10hipError_tPvRmT1_PNSt15iterator_traitsISY_E10value_typeET2_T3_PNSZ_IS14_E10value_typeET4_jRbjT5_S1A_jjP12ihipStream_tbEUljE_EEESV_SW_SX_S14_S18_S1A_T6_T7_T9_mT8_S1C_bDpT10_ENKUlT_T0_E_clISt17integral_constantIbLb1EES1O_IbLb0EEEEDaS1K_S1L_EUlS1K_E_NS1_11comp_targetILNS1_3genE2ELNS1_11target_archE906ELNS1_3gpuE6ELNS1_3repE0EEENS1_30default_config_static_selectorELNS0_4arch9wavefront6targetE1EEEvSY_.private_seg_size, 0
	.set _ZN7rocprim17ROCPRIM_400000_NS6detail17trampoline_kernelINS0_13select_configILj256ELj13ELNS0_17block_load_methodE3ELS4_3ELS4_3ELNS0_20block_scan_algorithmE0ELj4294967295EEENS1_25partition_config_selectorILNS1_17partition_subalgoE3EjNS0_10empty_typeEbEEZZNS1_14partition_implILS8_3ELb0ES6_jNS0_17counting_iteratorIjlEEPS9_SE_NS0_5tupleIJPjSE_EEENSF_IJSE_SE_EEES9_SG_JZNS1_25segmented_radix_sort_implINS0_14default_configELb0EPKdPdPKlPlN2at6native12_GLOBAL__N_18offset_tEEE10hipError_tPvRmT1_PNSt15iterator_traitsISY_E10value_typeET2_T3_PNSZ_IS14_E10value_typeET4_jRbjT5_S1A_jjP12ihipStream_tbEUljE_EEESV_SW_SX_S14_S18_S1A_T6_T7_T9_mT8_S1C_bDpT10_ENKUlT_T0_E_clISt17integral_constantIbLb1EES1O_IbLb0EEEEDaS1K_S1L_EUlS1K_E_NS1_11comp_targetILNS1_3genE2ELNS1_11target_archE906ELNS1_3gpuE6ELNS1_3repE0EEENS1_30default_config_static_selectorELNS0_4arch9wavefront6targetE1EEEvSY_.uses_vcc, 0
	.set _ZN7rocprim17ROCPRIM_400000_NS6detail17trampoline_kernelINS0_13select_configILj256ELj13ELNS0_17block_load_methodE3ELS4_3ELS4_3ELNS0_20block_scan_algorithmE0ELj4294967295EEENS1_25partition_config_selectorILNS1_17partition_subalgoE3EjNS0_10empty_typeEbEEZZNS1_14partition_implILS8_3ELb0ES6_jNS0_17counting_iteratorIjlEEPS9_SE_NS0_5tupleIJPjSE_EEENSF_IJSE_SE_EEES9_SG_JZNS1_25segmented_radix_sort_implINS0_14default_configELb0EPKdPdPKlPlN2at6native12_GLOBAL__N_18offset_tEEE10hipError_tPvRmT1_PNSt15iterator_traitsISY_E10value_typeET2_T3_PNSZ_IS14_E10value_typeET4_jRbjT5_S1A_jjP12ihipStream_tbEUljE_EEESV_SW_SX_S14_S18_S1A_T6_T7_T9_mT8_S1C_bDpT10_ENKUlT_T0_E_clISt17integral_constantIbLb1EES1O_IbLb0EEEEDaS1K_S1L_EUlS1K_E_NS1_11comp_targetILNS1_3genE2ELNS1_11target_archE906ELNS1_3gpuE6ELNS1_3repE0EEENS1_30default_config_static_selectorELNS0_4arch9wavefront6targetE1EEEvSY_.uses_flat_scratch, 0
	.set _ZN7rocprim17ROCPRIM_400000_NS6detail17trampoline_kernelINS0_13select_configILj256ELj13ELNS0_17block_load_methodE3ELS4_3ELS4_3ELNS0_20block_scan_algorithmE0ELj4294967295EEENS1_25partition_config_selectorILNS1_17partition_subalgoE3EjNS0_10empty_typeEbEEZZNS1_14partition_implILS8_3ELb0ES6_jNS0_17counting_iteratorIjlEEPS9_SE_NS0_5tupleIJPjSE_EEENSF_IJSE_SE_EEES9_SG_JZNS1_25segmented_radix_sort_implINS0_14default_configELb0EPKdPdPKlPlN2at6native12_GLOBAL__N_18offset_tEEE10hipError_tPvRmT1_PNSt15iterator_traitsISY_E10value_typeET2_T3_PNSZ_IS14_E10value_typeET4_jRbjT5_S1A_jjP12ihipStream_tbEUljE_EEESV_SW_SX_S14_S18_S1A_T6_T7_T9_mT8_S1C_bDpT10_ENKUlT_T0_E_clISt17integral_constantIbLb1EES1O_IbLb0EEEEDaS1K_S1L_EUlS1K_E_NS1_11comp_targetILNS1_3genE2ELNS1_11target_archE906ELNS1_3gpuE6ELNS1_3repE0EEENS1_30default_config_static_selectorELNS0_4arch9wavefront6targetE1EEEvSY_.has_dyn_sized_stack, 0
	.set _ZN7rocprim17ROCPRIM_400000_NS6detail17trampoline_kernelINS0_13select_configILj256ELj13ELNS0_17block_load_methodE3ELS4_3ELS4_3ELNS0_20block_scan_algorithmE0ELj4294967295EEENS1_25partition_config_selectorILNS1_17partition_subalgoE3EjNS0_10empty_typeEbEEZZNS1_14partition_implILS8_3ELb0ES6_jNS0_17counting_iteratorIjlEEPS9_SE_NS0_5tupleIJPjSE_EEENSF_IJSE_SE_EEES9_SG_JZNS1_25segmented_radix_sort_implINS0_14default_configELb0EPKdPdPKlPlN2at6native12_GLOBAL__N_18offset_tEEE10hipError_tPvRmT1_PNSt15iterator_traitsISY_E10value_typeET2_T3_PNSZ_IS14_E10value_typeET4_jRbjT5_S1A_jjP12ihipStream_tbEUljE_EEESV_SW_SX_S14_S18_S1A_T6_T7_T9_mT8_S1C_bDpT10_ENKUlT_T0_E_clISt17integral_constantIbLb1EES1O_IbLb0EEEEDaS1K_S1L_EUlS1K_E_NS1_11comp_targetILNS1_3genE2ELNS1_11target_archE906ELNS1_3gpuE6ELNS1_3repE0EEENS1_30default_config_static_selectorELNS0_4arch9wavefront6targetE1EEEvSY_.has_recursion, 0
	.set _ZN7rocprim17ROCPRIM_400000_NS6detail17trampoline_kernelINS0_13select_configILj256ELj13ELNS0_17block_load_methodE3ELS4_3ELS4_3ELNS0_20block_scan_algorithmE0ELj4294967295EEENS1_25partition_config_selectorILNS1_17partition_subalgoE3EjNS0_10empty_typeEbEEZZNS1_14partition_implILS8_3ELb0ES6_jNS0_17counting_iteratorIjlEEPS9_SE_NS0_5tupleIJPjSE_EEENSF_IJSE_SE_EEES9_SG_JZNS1_25segmented_radix_sort_implINS0_14default_configELb0EPKdPdPKlPlN2at6native12_GLOBAL__N_18offset_tEEE10hipError_tPvRmT1_PNSt15iterator_traitsISY_E10value_typeET2_T3_PNSZ_IS14_E10value_typeET4_jRbjT5_S1A_jjP12ihipStream_tbEUljE_EEESV_SW_SX_S14_S18_S1A_T6_T7_T9_mT8_S1C_bDpT10_ENKUlT_T0_E_clISt17integral_constantIbLb1EES1O_IbLb0EEEEDaS1K_S1L_EUlS1K_E_NS1_11comp_targetILNS1_3genE2ELNS1_11target_archE906ELNS1_3gpuE6ELNS1_3repE0EEENS1_30default_config_static_selectorELNS0_4arch9wavefront6targetE1EEEvSY_.has_indirect_call, 0
	.section	.AMDGPU.csdata,"",@progbits
; Kernel info:
; codeLenInByte = 4
; TotalNumSgprs: 4
; NumVgprs: 0
; ScratchSize: 0
; MemoryBound: 0
; FloatMode: 240
; IeeeMode: 1
; LDSByteSize: 0 bytes/workgroup (compile time only)
; SGPRBlocks: 0
; VGPRBlocks: 0
; NumSGPRsForWavesPerEU: 4
; NumVGPRsForWavesPerEU: 1
; Occupancy: 10
; WaveLimiterHint : 0
; COMPUTE_PGM_RSRC2:SCRATCH_EN: 0
; COMPUTE_PGM_RSRC2:USER_SGPR: 6
; COMPUTE_PGM_RSRC2:TRAP_HANDLER: 0
; COMPUTE_PGM_RSRC2:TGID_X_EN: 1
; COMPUTE_PGM_RSRC2:TGID_Y_EN: 0
; COMPUTE_PGM_RSRC2:TGID_Z_EN: 0
; COMPUTE_PGM_RSRC2:TIDIG_COMP_CNT: 0
	.section	.text._ZN7rocprim17ROCPRIM_400000_NS6detail17trampoline_kernelINS0_13select_configILj256ELj13ELNS0_17block_load_methodE3ELS4_3ELS4_3ELNS0_20block_scan_algorithmE0ELj4294967295EEENS1_25partition_config_selectorILNS1_17partition_subalgoE3EjNS0_10empty_typeEbEEZZNS1_14partition_implILS8_3ELb0ES6_jNS0_17counting_iteratorIjlEEPS9_SE_NS0_5tupleIJPjSE_EEENSF_IJSE_SE_EEES9_SG_JZNS1_25segmented_radix_sort_implINS0_14default_configELb0EPKdPdPKlPlN2at6native12_GLOBAL__N_18offset_tEEE10hipError_tPvRmT1_PNSt15iterator_traitsISY_E10value_typeET2_T3_PNSZ_IS14_E10value_typeET4_jRbjT5_S1A_jjP12ihipStream_tbEUljE_EEESV_SW_SX_S14_S18_S1A_T6_T7_T9_mT8_S1C_bDpT10_ENKUlT_T0_E_clISt17integral_constantIbLb1EES1O_IbLb0EEEEDaS1K_S1L_EUlS1K_E_NS1_11comp_targetILNS1_3genE10ELNS1_11target_archE1200ELNS1_3gpuE4ELNS1_3repE0EEENS1_30default_config_static_selectorELNS0_4arch9wavefront6targetE1EEEvSY_,"axG",@progbits,_ZN7rocprim17ROCPRIM_400000_NS6detail17trampoline_kernelINS0_13select_configILj256ELj13ELNS0_17block_load_methodE3ELS4_3ELS4_3ELNS0_20block_scan_algorithmE0ELj4294967295EEENS1_25partition_config_selectorILNS1_17partition_subalgoE3EjNS0_10empty_typeEbEEZZNS1_14partition_implILS8_3ELb0ES6_jNS0_17counting_iteratorIjlEEPS9_SE_NS0_5tupleIJPjSE_EEENSF_IJSE_SE_EEES9_SG_JZNS1_25segmented_radix_sort_implINS0_14default_configELb0EPKdPdPKlPlN2at6native12_GLOBAL__N_18offset_tEEE10hipError_tPvRmT1_PNSt15iterator_traitsISY_E10value_typeET2_T3_PNSZ_IS14_E10value_typeET4_jRbjT5_S1A_jjP12ihipStream_tbEUljE_EEESV_SW_SX_S14_S18_S1A_T6_T7_T9_mT8_S1C_bDpT10_ENKUlT_T0_E_clISt17integral_constantIbLb1EES1O_IbLb0EEEEDaS1K_S1L_EUlS1K_E_NS1_11comp_targetILNS1_3genE10ELNS1_11target_archE1200ELNS1_3gpuE4ELNS1_3repE0EEENS1_30default_config_static_selectorELNS0_4arch9wavefront6targetE1EEEvSY_,comdat
	.globl	_ZN7rocprim17ROCPRIM_400000_NS6detail17trampoline_kernelINS0_13select_configILj256ELj13ELNS0_17block_load_methodE3ELS4_3ELS4_3ELNS0_20block_scan_algorithmE0ELj4294967295EEENS1_25partition_config_selectorILNS1_17partition_subalgoE3EjNS0_10empty_typeEbEEZZNS1_14partition_implILS8_3ELb0ES6_jNS0_17counting_iteratorIjlEEPS9_SE_NS0_5tupleIJPjSE_EEENSF_IJSE_SE_EEES9_SG_JZNS1_25segmented_radix_sort_implINS0_14default_configELb0EPKdPdPKlPlN2at6native12_GLOBAL__N_18offset_tEEE10hipError_tPvRmT1_PNSt15iterator_traitsISY_E10value_typeET2_T3_PNSZ_IS14_E10value_typeET4_jRbjT5_S1A_jjP12ihipStream_tbEUljE_EEESV_SW_SX_S14_S18_S1A_T6_T7_T9_mT8_S1C_bDpT10_ENKUlT_T0_E_clISt17integral_constantIbLb1EES1O_IbLb0EEEEDaS1K_S1L_EUlS1K_E_NS1_11comp_targetILNS1_3genE10ELNS1_11target_archE1200ELNS1_3gpuE4ELNS1_3repE0EEENS1_30default_config_static_selectorELNS0_4arch9wavefront6targetE1EEEvSY_ ; -- Begin function _ZN7rocprim17ROCPRIM_400000_NS6detail17trampoline_kernelINS0_13select_configILj256ELj13ELNS0_17block_load_methodE3ELS4_3ELS4_3ELNS0_20block_scan_algorithmE0ELj4294967295EEENS1_25partition_config_selectorILNS1_17partition_subalgoE3EjNS0_10empty_typeEbEEZZNS1_14partition_implILS8_3ELb0ES6_jNS0_17counting_iteratorIjlEEPS9_SE_NS0_5tupleIJPjSE_EEENSF_IJSE_SE_EEES9_SG_JZNS1_25segmented_radix_sort_implINS0_14default_configELb0EPKdPdPKlPlN2at6native12_GLOBAL__N_18offset_tEEE10hipError_tPvRmT1_PNSt15iterator_traitsISY_E10value_typeET2_T3_PNSZ_IS14_E10value_typeET4_jRbjT5_S1A_jjP12ihipStream_tbEUljE_EEESV_SW_SX_S14_S18_S1A_T6_T7_T9_mT8_S1C_bDpT10_ENKUlT_T0_E_clISt17integral_constantIbLb1EES1O_IbLb0EEEEDaS1K_S1L_EUlS1K_E_NS1_11comp_targetILNS1_3genE10ELNS1_11target_archE1200ELNS1_3gpuE4ELNS1_3repE0EEENS1_30default_config_static_selectorELNS0_4arch9wavefront6targetE1EEEvSY_
	.p2align	8
	.type	_ZN7rocprim17ROCPRIM_400000_NS6detail17trampoline_kernelINS0_13select_configILj256ELj13ELNS0_17block_load_methodE3ELS4_3ELS4_3ELNS0_20block_scan_algorithmE0ELj4294967295EEENS1_25partition_config_selectorILNS1_17partition_subalgoE3EjNS0_10empty_typeEbEEZZNS1_14partition_implILS8_3ELb0ES6_jNS0_17counting_iteratorIjlEEPS9_SE_NS0_5tupleIJPjSE_EEENSF_IJSE_SE_EEES9_SG_JZNS1_25segmented_radix_sort_implINS0_14default_configELb0EPKdPdPKlPlN2at6native12_GLOBAL__N_18offset_tEEE10hipError_tPvRmT1_PNSt15iterator_traitsISY_E10value_typeET2_T3_PNSZ_IS14_E10value_typeET4_jRbjT5_S1A_jjP12ihipStream_tbEUljE_EEESV_SW_SX_S14_S18_S1A_T6_T7_T9_mT8_S1C_bDpT10_ENKUlT_T0_E_clISt17integral_constantIbLb1EES1O_IbLb0EEEEDaS1K_S1L_EUlS1K_E_NS1_11comp_targetILNS1_3genE10ELNS1_11target_archE1200ELNS1_3gpuE4ELNS1_3repE0EEENS1_30default_config_static_selectorELNS0_4arch9wavefront6targetE1EEEvSY_,@function
_ZN7rocprim17ROCPRIM_400000_NS6detail17trampoline_kernelINS0_13select_configILj256ELj13ELNS0_17block_load_methodE3ELS4_3ELS4_3ELNS0_20block_scan_algorithmE0ELj4294967295EEENS1_25partition_config_selectorILNS1_17partition_subalgoE3EjNS0_10empty_typeEbEEZZNS1_14partition_implILS8_3ELb0ES6_jNS0_17counting_iteratorIjlEEPS9_SE_NS0_5tupleIJPjSE_EEENSF_IJSE_SE_EEES9_SG_JZNS1_25segmented_radix_sort_implINS0_14default_configELb0EPKdPdPKlPlN2at6native12_GLOBAL__N_18offset_tEEE10hipError_tPvRmT1_PNSt15iterator_traitsISY_E10value_typeET2_T3_PNSZ_IS14_E10value_typeET4_jRbjT5_S1A_jjP12ihipStream_tbEUljE_EEESV_SW_SX_S14_S18_S1A_T6_T7_T9_mT8_S1C_bDpT10_ENKUlT_T0_E_clISt17integral_constantIbLb1EES1O_IbLb0EEEEDaS1K_S1L_EUlS1K_E_NS1_11comp_targetILNS1_3genE10ELNS1_11target_archE1200ELNS1_3gpuE4ELNS1_3repE0EEENS1_30default_config_static_selectorELNS0_4arch9wavefront6targetE1EEEvSY_: ; @_ZN7rocprim17ROCPRIM_400000_NS6detail17trampoline_kernelINS0_13select_configILj256ELj13ELNS0_17block_load_methodE3ELS4_3ELS4_3ELNS0_20block_scan_algorithmE0ELj4294967295EEENS1_25partition_config_selectorILNS1_17partition_subalgoE3EjNS0_10empty_typeEbEEZZNS1_14partition_implILS8_3ELb0ES6_jNS0_17counting_iteratorIjlEEPS9_SE_NS0_5tupleIJPjSE_EEENSF_IJSE_SE_EEES9_SG_JZNS1_25segmented_radix_sort_implINS0_14default_configELb0EPKdPdPKlPlN2at6native12_GLOBAL__N_18offset_tEEE10hipError_tPvRmT1_PNSt15iterator_traitsISY_E10value_typeET2_T3_PNSZ_IS14_E10value_typeET4_jRbjT5_S1A_jjP12ihipStream_tbEUljE_EEESV_SW_SX_S14_S18_S1A_T6_T7_T9_mT8_S1C_bDpT10_ENKUlT_T0_E_clISt17integral_constantIbLb1EES1O_IbLb0EEEEDaS1K_S1L_EUlS1K_E_NS1_11comp_targetILNS1_3genE10ELNS1_11target_archE1200ELNS1_3gpuE4ELNS1_3repE0EEENS1_30default_config_static_selectorELNS0_4arch9wavefront6targetE1EEEvSY_
; %bb.0:
	.section	.rodata,"a",@progbits
	.p2align	6, 0x0
	.amdhsa_kernel _ZN7rocprim17ROCPRIM_400000_NS6detail17trampoline_kernelINS0_13select_configILj256ELj13ELNS0_17block_load_methodE3ELS4_3ELS4_3ELNS0_20block_scan_algorithmE0ELj4294967295EEENS1_25partition_config_selectorILNS1_17partition_subalgoE3EjNS0_10empty_typeEbEEZZNS1_14partition_implILS8_3ELb0ES6_jNS0_17counting_iteratorIjlEEPS9_SE_NS0_5tupleIJPjSE_EEENSF_IJSE_SE_EEES9_SG_JZNS1_25segmented_radix_sort_implINS0_14default_configELb0EPKdPdPKlPlN2at6native12_GLOBAL__N_18offset_tEEE10hipError_tPvRmT1_PNSt15iterator_traitsISY_E10value_typeET2_T3_PNSZ_IS14_E10value_typeET4_jRbjT5_S1A_jjP12ihipStream_tbEUljE_EEESV_SW_SX_S14_S18_S1A_T6_T7_T9_mT8_S1C_bDpT10_ENKUlT_T0_E_clISt17integral_constantIbLb1EES1O_IbLb0EEEEDaS1K_S1L_EUlS1K_E_NS1_11comp_targetILNS1_3genE10ELNS1_11target_archE1200ELNS1_3gpuE4ELNS1_3repE0EEENS1_30default_config_static_selectorELNS0_4arch9wavefront6targetE1EEEvSY_
		.amdhsa_group_segment_fixed_size 0
		.amdhsa_private_segment_fixed_size 0
		.amdhsa_kernarg_size 144
		.amdhsa_user_sgpr_count 6
		.amdhsa_user_sgpr_private_segment_buffer 1
		.amdhsa_user_sgpr_dispatch_ptr 0
		.amdhsa_user_sgpr_queue_ptr 0
		.amdhsa_user_sgpr_kernarg_segment_ptr 1
		.amdhsa_user_sgpr_dispatch_id 0
		.amdhsa_user_sgpr_flat_scratch_init 0
		.amdhsa_user_sgpr_private_segment_size 0
		.amdhsa_uses_dynamic_stack 0
		.amdhsa_system_sgpr_private_segment_wavefront_offset 0
		.amdhsa_system_sgpr_workgroup_id_x 1
		.amdhsa_system_sgpr_workgroup_id_y 0
		.amdhsa_system_sgpr_workgroup_id_z 0
		.amdhsa_system_sgpr_workgroup_info 0
		.amdhsa_system_vgpr_workitem_id 0
		.amdhsa_next_free_vgpr 1
		.amdhsa_next_free_sgpr 0
		.amdhsa_reserve_vcc 0
		.amdhsa_reserve_flat_scratch 0
		.amdhsa_float_round_mode_32 0
		.amdhsa_float_round_mode_16_64 0
		.amdhsa_float_denorm_mode_32 3
		.amdhsa_float_denorm_mode_16_64 3
		.amdhsa_dx10_clamp 1
		.amdhsa_ieee_mode 1
		.amdhsa_fp16_overflow 0
		.amdhsa_exception_fp_ieee_invalid_op 0
		.amdhsa_exception_fp_denorm_src 0
		.amdhsa_exception_fp_ieee_div_zero 0
		.amdhsa_exception_fp_ieee_overflow 0
		.amdhsa_exception_fp_ieee_underflow 0
		.amdhsa_exception_fp_ieee_inexact 0
		.amdhsa_exception_int_div_zero 0
	.end_amdhsa_kernel
	.section	.text._ZN7rocprim17ROCPRIM_400000_NS6detail17trampoline_kernelINS0_13select_configILj256ELj13ELNS0_17block_load_methodE3ELS4_3ELS4_3ELNS0_20block_scan_algorithmE0ELj4294967295EEENS1_25partition_config_selectorILNS1_17partition_subalgoE3EjNS0_10empty_typeEbEEZZNS1_14partition_implILS8_3ELb0ES6_jNS0_17counting_iteratorIjlEEPS9_SE_NS0_5tupleIJPjSE_EEENSF_IJSE_SE_EEES9_SG_JZNS1_25segmented_radix_sort_implINS0_14default_configELb0EPKdPdPKlPlN2at6native12_GLOBAL__N_18offset_tEEE10hipError_tPvRmT1_PNSt15iterator_traitsISY_E10value_typeET2_T3_PNSZ_IS14_E10value_typeET4_jRbjT5_S1A_jjP12ihipStream_tbEUljE_EEESV_SW_SX_S14_S18_S1A_T6_T7_T9_mT8_S1C_bDpT10_ENKUlT_T0_E_clISt17integral_constantIbLb1EES1O_IbLb0EEEEDaS1K_S1L_EUlS1K_E_NS1_11comp_targetILNS1_3genE10ELNS1_11target_archE1200ELNS1_3gpuE4ELNS1_3repE0EEENS1_30default_config_static_selectorELNS0_4arch9wavefront6targetE1EEEvSY_,"axG",@progbits,_ZN7rocprim17ROCPRIM_400000_NS6detail17trampoline_kernelINS0_13select_configILj256ELj13ELNS0_17block_load_methodE3ELS4_3ELS4_3ELNS0_20block_scan_algorithmE0ELj4294967295EEENS1_25partition_config_selectorILNS1_17partition_subalgoE3EjNS0_10empty_typeEbEEZZNS1_14partition_implILS8_3ELb0ES6_jNS0_17counting_iteratorIjlEEPS9_SE_NS0_5tupleIJPjSE_EEENSF_IJSE_SE_EEES9_SG_JZNS1_25segmented_radix_sort_implINS0_14default_configELb0EPKdPdPKlPlN2at6native12_GLOBAL__N_18offset_tEEE10hipError_tPvRmT1_PNSt15iterator_traitsISY_E10value_typeET2_T3_PNSZ_IS14_E10value_typeET4_jRbjT5_S1A_jjP12ihipStream_tbEUljE_EEESV_SW_SX_S14_S18_S1A_T6_T7_T9_mT8_S1C_bDpT10_ENKUlT_T0_E_clISt17integral_constantIbLb1EES1O_IbLb0EEEEDaS1K_S1L_EUlS1K_E_NS1_11comp_targetILNS1_3genE10ELNS1_11target_archE1200ELNS1_3gpuE4ELNS1_3repE0EEENS1_30default_config_static_selectorELNS0_4arch9wavefront6targetE1EEEvSY_,comdat
.Lfunc_end1210:
	.size	_ZN7rocprim17ROCPRIM_400000_NS6detail17trampoline_kernelINS0_13select_configILj256ELj13ELNS0_17block_load_methodE3ELS4_3ELS4_3ELNS0_20block_scan_algorithmE0ELj4294967295EEENS1_25partition_config_selectorILNS1_17partition_subalgoE3EjNS0_10empty_typeEbEEZZNS1_14partition_implILS8_3ELb0ES6_jNS0_17counting_iteratorIjlEEPS9_SE_NS0_5tupleIJPjSE_EEENSF_IJSE_SE_EEES9_SG_JZNS1_25segmented_radix_sort_implINS0_14default_configELb0EPKdPdPKlPlN2at6native12_GLOBAL__N_18offset_tEEE10hipError_tPvRmT1_PNSt15iterator_traitsISY_E10value_typeET2_T3_PNSZ_IS14_E10value_typeET4_jRbjT5_S1A_jjP12ihipStream_tbEUljE_EEESV_SW_SX_S14_S18_S1A_T6_T7_T9_mT8_S1C_bDpT10_ENKUlT_T0_E_clISt17integral_constantIbLb1EES1O_IbLb0EEEEDaS1K_S1L_EUlS1K_E_NS1_11comp_targetILNS1_3genE10ELNS1_11target_archE1200ELNS1_3gpuE4ELNS1_3repE0EEENS1_30default_config_static_selectorELNS0_4arch9wavefront6targetE1EEEvSY_, .Lfunc_end1210-_ZN7rocprim17ROCPRIM_400000_NS6detail17trampoline_kernelINS0_13select_configILj256ELj13ELNS0_17block_load_methodE3ELS4_3ELS4_3ELNS0_20block_scan_algorithmE0ELj4294967295EEENS1_25partition_config_selectorILNS1_17partition_subalgoE3EjNS0_10empty_typeEbEEZZNS1_14partition_implILS8_3ELb0ES6_jNS0_17counting_iteratorIjlEEPS9_SE_NS0_5tupleIJPjSE_EEENSF_IJSE_SE_EEES9_SG_JZNS1_25segmented_radix_sort_implINS0_14default_configELb0EPKdPdPKlPlN2at6native12_GLOBAL__N_18offset_tEEE10hipError_tPvRmT1_PNSt15iterator_traitsISY_E10value_typeET2_T3_PNSZ_IS14_E10value_typeET4_jRbjT5_S1A_jjP12ihipStream_tbEUljE_EEESV_SW_SX_S14_S18_S1A_T6_T7_T9_mT8_S1C_bDpT10_ENKUlT_T0_E_clISt17integral_constantIbLb1EES1O_IbLb0EEEEDaS1K_S1L_EUlS1K_E_NS1_11comp_targetILNS1_3genE10ELNS1_11target_archE1200ELNS1_3gpuE4ELNS1_3repE0EEENS1_30default_config_static_selectorELNS0_4arch9wavefront6targetE1EEEvSY_
                                        ; -- End function
	.set _ZN7rocprim17ROCPRIM_400000_NS6detail17trampoline_kernelINS0_13select_configILj256ELj13ELNS0_17block_load_methodE3ELS4_3ELS4_3ELNS0_20block_scan_algorithmE0ELj4294967295EEENS1_25partition_config_selectorILNS1_17partition_subalgoE3EjNS0_10empty_typeEbEEZZNS1_14partition_implILS8_3ELb0ES6_jNS0_17counting_iteratorIjlEEPS9_SE_NS0_5tupleIJPjSE_EEENSF_IJSE_SE_EEES9_SG_JZNS1_25segmented_radix_sort_implINS0_14default_configELb0EPKdPdPKlPlN2at6native12_GLOBAL__N_18offset_tEEE10hipError_tPvRmT1_PNSt15iterator_traitsISY_E10value_typeET2_T3_PNSZ_IS14_E10value_typeET4_jRbjT5_S1A_jjP12ihipStream_tbEUljE_EEESV_SW_SX_S14_S18_S1A_T6_T7_T9_mT8_S1C_bDpT10_ENKUlT_T0_E_clISt17integral_constantIbLb1EES1O_IbLb0EEEEDaS1K_S1L_EUlS1K_E_NS1_11comp_targetILNS1_3genE10ELNS1_11target_archE1200ELNS1_3gpuE4ELNS1_3repE0EEENS1_30default_config_static_selectorELNS0_4arch9wavefront6targetE1EEEvSY_.num_vgpr, 0
	.set _ZN7rocprim17ROCPRIM_400000_NS6detail17trampoline_kernelINS0_13select_configILj256ELj13ELNS0_17block_load_methodE3ELS4_3ELS4_3ELNS0_20block_scan_algorithmE0ELj4294967295EEENS1_25partition_config_selectorILNS1_17partition_subalgoE3EjNS0_10empty_typeEbEEZZNS1_14partition_implILS8_3ELb0ES6_jNS0_17counting_iteratorIjlEEPS9_SE_NS0_5tupleIJPjSE_EEENSF_IJSE_SE_EEES9_SG_JZNS1_25segmented_radix_sort_implINS0_14default_configELb0EPKdPdPKlPlN2at6native12_GLOBAL__N_18offset_tEEE10hipError_tPvRmT1_PNSt15iterator_traitsISY_E10value_typeET2_T3_PNSZ_IS14_E10value_typeET4_jRbjT5_S1A_jjP12ihipStream_tbEUljE_EEESV_SW_SX_S14_S18_S1A_T6_T7_T9_mT8_S1C_bDpT10_ENKUlT_T0_E_clISt17integral_constantIbLb1EES1O_IbLb0EEEEDaS1K_S1L_EUlS1K_E_NS1_11comp_targetILNS1_3genE10ELNS1_11target_archE1200ELNS1_3gpuE4ELNS1_3repE0EEENS1_30default_config_static_selectorELNS0_4arch9wavefront6targetE1EEEvSY_.num_agpr, 0
	.set _ZN7rocprim17ROCPRIM_400000_NS6detail17trampoline_kernelINS0_13select_configILj256ELj13ELNS0_17block_load_methodE3ELS4_3ELS4_3ELNS0_20block_scan_algorithmE0ELj4294967295EEENS1_25partition_config_selectorILNS1_17partition_subalgoE3EjNS0_10empty_typeEbEEZZNS1_14partition_implILS8_3ELb0ES6_jNS0_17counting_iteratorIjlEEPS9_SE_NS0_5tupleIJPjSE_EEENSF_IJSE_SE_EEES9_SG_JZNS1_25segmented_radix_sort_implINS0_14default_configELb0EPKdPdPKlPlN2at6native12_GLOBAL__N_18offset_tEEE10hipError_tPvRmT1_PNSt15iterator_traitsISY_E10value_typeET2_T3_PNSZ_IS14_E10value_typeET4_jRbjT5_S1A_jjP12ihipStream_tbEUljE_EEESV_SW_SX_S14_S18_S1A_T6_T7_T9_mT8_S1C_bDpT10_ENKUlT_T0_E_clISt17integral_constantIbLb1EES1O_IbLb0EEEEDaS1K_S1L_EUlS1K_E_NS1_11comp_targetILNS1_3genE10ELNS1_11target_archE1200ELNS1_3gpuE4ELNS1_3repE0EEENS1_30default_config_static_selectorELNS0_4arch9wavefront6targetE1EEEvSY_.numbered_sgpr, 0
	.set _ZN7rocprim17ROCPRIM_400000_NS6detail17trampoline_kernelINS0_13select_configILj256ELj13ELNS0_17block_load_methodE3ELS4_3ELS4_3ELNS0_20block_scan_algorithmE0ELj4294967295EEENS1_25partition_config_selectorILNS1_17partition_subalgoE3EjNS0_10empty_typeEbEEZZNS1_14partition_implILS8_3ELb0ES6_jNS0_17counting_iteratorIjlEEPS9_SE_NS0_5tupleIJPjSE_EEENSF_IJSE_SE_EEES9_SG_JZNS1_25segmented_radix_sort_implINS0_14default_configELb0EPKdPdPKlPlN2at6native12_GLOBAL__N_18offset_tEEE10hipError_tPvRmT1_PNSt15iterator_traitsISY_E10value_typeET2_T3_PNSZ_IS14_E10value_typeET4_jRbjT5_S1A_jjP12ihipStream_tbEUljE_EEESV_SW_SX_S14_S18_S1A_T6_T7_T9_mT8_S1C_bDpT10_ENKUlT_T0_E_clISt17integral_constantIbLb1EES1O_IbLb0EEEEDaS1K_S1L_EUlS1K_E_NS1_11comp_targetILNS1_3genE10ELNS1_11target_archE1200ELNS1_3gpuE4ELNS1_3repE0EEENS1_30default_config_static_selectorELNS0_4arch9wavefront6targetE1EEEvSY_.num_named_barrier, 0
	.set _ZN7rocprim17ROCPRIM_400000_NS6detail17trampoline_kernelINS0_13select_configILj256ELj13ELNS0_17block_load_methodE3ELS4_3ELS4_3ELNS0_20block_scan_algorithmE0ELj4294967295EEENS1_25partition_config_selectorILNS1_17partition_subalgoE3EjNS0_10empty_typeEbEEZZNS1_14partition_implILS8_3ELb0ES6_jNS0_17counting_iteratorIjlEEPS9_SE_NS0_5tupleIJPjSE_EEENSF_IJSE_SE_EEES9_SG_JZNS1_25segmented_radix_sort_implINS0_14default_configELb0EPKdPdPKlPlN2at6native12_GLOBAL__N_18offset_tEEE10hipError_tPvRmT1_PNSt15iterator_traitsISY_E10value_typeET2_T3_PNSZ_IS14_E10value_typeET4_jRbjT5_S1A_jjP12ihipStream_tbEUljE_EEESV_SW_SX_S14_S18_S1A_T6_T7_T9_mT8_S1C_bDpT10_ENKUlT_T0_E_clISt17integral_constantIbLb1EES1O_IbLb0EEEEDaS1K_S1L_EUlS1K_E_NS1_11comp_targetILNS1_3genE10ELNS1_11target_archE1200ELNS1_3gpuE4ELNS1_3repE0EEENS1_30default_config_static_selectorELNS0_4arch9wavefront6targetE1EEEvSY_.private_seg_size, 0
	.set _ZN7rocprim17ROCPRIM_400000_NS6detail17trampoline_kernelINS0_13select_configILj256ELj13ELNS0_17block_load_methodE3ELS4_3ELS4_3ELNS0_20block_scan_algorithmE0ELj4294967295EEENS1_25partition_config_selectorILNS1_17partition_subalgoE3EjNS0_10empty_typeEbEEZZNS1_14partition_implILS8_3ELb0ES6_jNS0_17counting_iteratorIjlEEPS9_SE_NS0_5tupleIJPjSE_EEENSF_IJSE_SE_EEES9_SG_JZNS1_25segmented_radix_sort_implINS0_14default_configELb0EPKdPdPKlPlN2at6native12_GLOBAL__N_18offset_tEEE10hipError_tPvRmT1_PNSt15iterator_traitsISY_E10value_typeET2_T3_PNSZ_IS14_E10value_typeET4_jRbjT5_S1A_jjP12ihipStream_tbEUljE_EEESV_SW_SX_S14_S18_S1A_T6_T7_T9_mT8_S1C_bDpT10_ENKUlT_T0_E_clISt17integral_constantIbLb1EES1O_IbLb0EEEEDaS1K_S1L_EUlS1K_E_NS1_11comp_targetILNS1_3genE10ELNS1_11target_archE1200ELNS1_3gpuE4ELNS1_3repE0EEENS1_30default_config_static_selectorELNS0_4arch9wavefront6targetE1EEEvSY_.uses_vcc, 0
	.set _ZN7rocprim17ROCPRIM_400000_NS6detail17trampoline_kernelINS0_13select_configILj256ELj13ELNS0_17block_load_methodE3ELS4_3ELS4_3ELNS0_20block_scan_algorithmE0ELj4294967295EEENS1_25partition_config_selectorILNS1_17partition_subalgoE3EjNS0_10empty_typeEbEEZZNS1_14partition_implILS8_3ELb0ES6_jNS0_17counting_iteratorIjlEEPS9_SE_NS0_5tupleIJPjSE_EEENSF_IJSE_SE_EEES9_SG_JZNS1_25segmented_radix_sort_implINS0_14default_configELb0EPKdPdPKlPlN2at6native12_GLOBAL__N_18offset_tEEE10hipError_tPvRmT1_PNSt15iterator_traitsISY_E10value_typeET2_T3_PNSZ_IS14_E10value_typeET4_jRbjT5_S1A_jjP12ihipStream_tbEUljE_EEESV_SW_SX_S14_S18_S1A_T6_T7_T9_mT8_S1C_bDpT10_ENKUlT_T0_E_clISt17integral_constantIbLb1EES1O_IbLb0EEEEDaS1K_S1L_EUlS1K_E_NS1_11comp_targetILNS1_3genE10ELNS1_11target_archE1200ELNS1_3gpuE4ELNS1_3repE0EEENS1_30default_config_static_selectorELNS0_4arch9wavefront6targetE1EEEvSY_.uses_flat_scratch, 0
	.set _ZN7rocprim17ROCPRIM_400000_NS6detail17trampoline_kernelINS0_13select_configILj256ELj13ELNS0_17block_load_methodE3ELS4_3ELS4_3ELNS0_20block_scan_algorithmE0ELj4294967295EEENS1_25partition_config_selectorILNS1_17partition_subalgoE3EjNS0_10empty_typeEbEEZZNS1_14partition_implILS8_3ELb0ES6_jNS0_17counting_iteratorIjlEEPS9_SE_NS0_5tupleIJPjSE_EEENSF_IJSE_SE_EEES9_SG_JZNS1_25segmented_radix_sort_implINS0_14default_configELb0EPKdPdPKlPlN2at6native12_GLOBAL__N_18offset_tEEE10hipError_tPvRmT1_PNSt15iterator_traitsISY_E10value_typeET2_T3_PNSZ_IS14_E10value_typeET4_jRbjT5_S1A_jjP12ihipStream_tbEUljE_EEESV_SW_SX_S14_S18_S1A_T6_T7_T9_mT8_S1C_bDpT10_ENKUlT_T0_E_clISt17integral_constantIbLb1EES1O_IbLb0EEEEDaS1K_S1L_EUlS1K_E_NS1_11comp_targetILNS1_3genE10ELNS1_11target_archE1200ELNS1_3gpuE4ELNS1_3repE0EEENS1_30default_config_static_selectorELNS0_4arch9wavefront6targetE1EEEvSY_.has_dyn_sized_stack, 0
	.set _ZN7rocprim17ROCPRIM_400000_NS6detail17trampoline_kernelINS0_13select_configILj256ELj13ELNS0_17block_load_methodE3ELS4_3ELS4_3ELNS0_20block_scan_algorithmE0ELj4294967295EEENS1_25partition_config_selectorILNS1_17partition_subalgoE3EjNS0_10empty_typeEbEEZZNS1_14partition_implILS8_3ELb0ES6_jNS0_17counting_iteratorIjlEEPS9_SE_NS0_5tupleIJPjSE_EEENSF_IJSE_SE_EEES9_SG_JZNS1_25segmented_radix_sort_implINS0_14default_configELb0EPKdPdPKlPlN2at6native12_GLOBAL__N_18offset_tEEE10hipError_tPvRmT1_PNSt15iterator_traitsISY_E10value_typeET2_T3_PNSZ_IS14_E10value_typeET4_jRbjT5_S1A_jjP12ihipStream_tbEUljE_EEESV_SW_SX_S14_S18_S1A_T6_T7_T9_mT8_S1C_bDpT10_ENKUlT_T0_E_clISt17integral_constantIbLb1EES1O_IbLb0EEEEDaS1K_S1L_EUlS1K_E_NS1_11comp_targetILNS1_3genE10ELNS1_11target_archE1200ELNS1_3gpuE4ELNS1_3repE0EEENS1_30default_config_static_selectorELNS0_4arch9wavefront6targetE1EEEvSY_.has_recursion, 0
	.set _ZN7rocprim17ROCPRIM_400000_NS6detail17trampoline_kernelINS0_13select_configILj256ELj13ELNS0_17block_load_methodE3ELS4_3ELS4_3ELNS0_20block_scan_algorithmE0ELj4294967295EEENS1_25partition_config_selectorILNS1_17partition_subalgoE3EjNS0_10empty_typeEbEEZZNS1_14partition_implILS8_3ELb0ES6_jNS0_17counting_iteratorIjlEEPS9_SE_NS0_5tupleIJPjSE_EEENSF_IJSE_SE_EEES9_SG_JZNS1_25segmented_radix_sort_implINS0_14default_configELb0EPKdPdPKlPlN2at6native12_GLOBAL__N_18offset_tEEE10hipError_tPvRmT1_PNSt15iterator_traitsISY_E10value_typeET2_T3_PNSZ_IS14_E10value_typeET4_jRbjT5_S1A_jjP12ihipStream_tbEUljE_EEESV_SW_SX_S14_S18_S1A_T6_T7_T9_mT8_S1C_bDpT10_ENKUlT_T0_E_clISt17integral_constantIbLb1EES1O_IbLb0EEEEDaS1K_S1L_EUlS1K_E_NS1_11comp_targetILNS1_3genE10ELNS1_11target_archE1200ELNS1_3gpuE4ELNS1_3repE0EEENS1_30default_config_static_selectorELNS0_4arch9wavefront6targetE1EEEvSY_.has_indirect_call, 0
	.section	.AMDGPU.csdata,"",@progbits
; Kernel info:
; codeLenInByte = 0
; TotalNumSgprs: 4
; NumVgprs: 0
; ScratchSize: 0
; MemoryBound: 0
; FloatMode: 240
; IeeeMode: 1
; LDSByteSize: 0 bytes/workgroup (compile time only)
; SGPRBlocks: 0
; VGPRBlocks: 0
; NumSGPRsForWavesPerEU: 4
; NumVGPRsForWavesPerEU: 1
; Occupancy: 10
; WaveLimiterHint : 0
; COMPUTE_PGM_RSRC2:SCRATCH_EN: 0
; COMPUTE_PGM_RSRC2:USER_SGPR: 6
; COMPUTE_PGM_RSRC2:TRAP_HANDLER: 0
; COMPUTE_PGM_RSRC2:TGID_X_EN: 1
; COMPUTE_PGM_RSRC2:TGID_Y_EN: 0
; COMPUTE_PGM_RSRC2:TGID_Z_EN: 0
; COMPUTE_PGM_RSRC2:TIDIG_COMP_CNT: 0
	.section	.text._ZN7rocprim17ROCPRIM_400000_NS6detail17trampoline_kernelINS0_13select_configILj256ELj13ELNS0_17block_load_methodE3ELS4_3ELS4_3ELNS0_20block_scan_algorithmE0ELj4294967295EEENS1_25partition_config_selectorILNS1_17partition_subalgoE3EjNS0_10empty_typeEbEEZZNS1_14partition_implILS8_3ELb0ES6_jNS0_17counting_iteratorIjlEEPS9_SE_NS0_5tupleIJPjSE_EEENSF_IJSE_SE_EEES9_SG_JZNS1_25segmented_radix_sort_implINS0_14default_configELb0EPKdPdPKlPlN2at6native12_GLOBAL__N_18offset_tEEE10hipError_tPvRmT1_PNSt15iterator_traitsISY_E10value_typeET2_T3_PNSZ_IS14_E10value_typeET4_jRbjT5_S1A_jjP12ihipStream_tbEUljE_EEESV_SW_SX_S14_S18_S1A_T6_T7_T9_mT8_S1C_bDpT10_ENKUlT_T0_E_clISt17integral_constantIbLb1EES1O_IbLb0EEEEDaS1K_S1L_EUlS1K_E_NS1_11comp_targetILNS1_3genE9ELNS1_11target_archE1100ELNS1_3gpuE3ELNS1_3repE0EEENS1_30default_config_static_selectorELNS0_4arch9wavefront6targetE1EEEvSY_,"axG",@progbits,_ZN7rocprim17ROCPRIM_400000_NS6detail17trampoline_kernelINS0_13select_configILj256ELj13ELNS0_17block_load_methodE3ELS4_3ELS4_3ELNS0_20block_scan_algorithmE0ELj4294967295EEENS1_25partition_config_selectorILNS1_17partition_subalgoE3EjNS0_10empty_typeEbEEZZNS1_14partition_implILS8_3ELb0ES6_jNS0_17counting_iteratorIjlEEPS9_SE_NS0_5tupleIJPjSE_EEENSF_IJSE_SE_EEES9_SG_JZNS1_25segmented_radix_sort_implINS0_14default_configELb0EPKdPdPKlPlN2at6native12_GLOBAL__N_18offset_tEEE10hipError_tPvRmT1_PNSt15iterator_traitsISY_E10value_typeET2_T3_PNSZ_IS14_E10value_typeET4_jRbjT5_S1A_jjP12ihipStream_tbEUljE_EEESV_SW_SX_S14_S18_S1A_T6_T7_T9_mT8_S1C_bDpT10_ENKUlT_T0_E_clISt17integral_constantIbLb1EES1O_IbLb0EEEEDaS1K_S1L_EUlS1K_E_NS1_11comp_targetILNS1_3genE9ELNS1_11target_archE1100ELNS1_3gpuE3ELNS1_3repE0EEENS1_30default_config_static_selectorELNS0_4arch9wavefront6targetE1EEEvSY_,comdat
	.globl	_ZN7rocprim17ROCPRIM_400000_NS6detail17trampoline_kernelINS0_13select_configILj256ELj13ELNS0_17block_load_methodE3ELS4_3ELS4_3ELNS0_20block_scan_algorithmE0ELj4294967295EEENS1_25partition_config_selectorILNS1_17partition_subalgoE3EjNS0_10empty_typeEbEEZZNS1_14partition_implILS8_3ELb0ES6_jNS0_17counting_iteratorIjlEEPS9_SE_NS0_5tupleIJPjSE_EEENSF_IJSE_SE_EEES9_SG_JZNS1_25segmented_radix_sort_implINS0_14default_configELb0EPKdPdPKlPlN2at6native12_GLOBAL__N_18offset_tEEE10hipError_tPvRmT1_PNSt15iterator_traitsISY_E10value_typeET2_T3_PNSZ_IS14_E10value_typeET4_jRbjT5_S1A_jjP12ihipStream_tbEUljE_EEESV_SW_SX_S14_S18_S1A_T6_T7_T9_mT8_S1C_bDpT10_ENKUlT_T0_E_clISt17integral_constantIbLb1EES1O_IbLb0EEEEDaS1K_S1L_EUlS1K_E_NS1_11comp_targetILNS1_3genE9ELNS1_11target_archE1100ELNS1_3gpuE3ELNS1_3repE0EEENS1_30default_config_static_selectorELNS0_4arch9wavefront6targetE1EEEvSY_ ; -- Begin function _ZN7rocprim17ROCPRIM_400000_NS6detail17trampoline_kernelINS0_13select_configILj256ELj13ELNS0_17block_load_methodE3ELS4_3ELS4_3ELNS0_20block_scan_algorithmE0ELj4294967295EEENS1_25partition_config_selectorILNS1_17partition_subalgoE3EjNS0_10empty_typeEbEEZZNS1_14partition_implILS8_3ELb0ES6_jNS0_17counting_iteratorIjlEEPS9_SE_NS0_5tupleIJPjSE_EEENSF_IJSE_SE_EEES9_SG_JZNS1_25segmented_radix_sort_implINS0_14default_configELb0EPKdPdPKlPlN2at6native12_GLOBAL__N_18offset_tEEE10hipError_tPvRmT1_PNSt15iterator_traitsISY_E10value_typeET2_T3_PNSZ_IS14_E10value_typeET4_jRbjT5_S1A_jjP12ihipStream_tbEUljE_EEESV_SW_SX_S14_S18_S1A_T6_T7_T9_mT8_S1C_bDpT10_ENKUlT_T0_E_clISt17integral_constantIbLb1EES1O_IbLb0EEEEDaS1K_S1L_EUlS1K_E_NS1_11comp_targetILNS1_3genE9ELNS1_11target_archE1100ELNS1_3gpuE3ELNS1_3repE0EEENS1_30default_config_static_selectorELNS0_4arch9wavefront6targetE1EEEvSY_
	.p2align	8
	.type	_ZN7rocprim17ROCPRIM_400000_NS6detail17trampoline_kernelINS0_13select_configILj256ELj13ELNS0_17block_load_methodE3ELS4_3ELS4_3ELNS0_20block_scan_algorithmE0ELj4294967295EEENS1_25partition_config_selectorILNS1_17partition_subalgoE3EjNS0_10empty_typeEbEEZZNS1_14partition_implILS8_3ELb0ES6_jNS0_17counting_iteratorIjlEEPS9_SE_NS0_5tupleIJPjSE_EEENSF_IJSE_SE_EEES9_SG_JZNS1_25segmented_radix_sort_implINS0_14default_configELb0EPKdPdPKlPlN2at6native12_GLOBAL__N_18offset_tEEE10hipError_tPvRmT1_PNSt15iterator_traitsISY_E10value_typeET2_T3_PNSZ_IS14_E10value_typeET4_jRbjT5_S1A_jjP12ihipStream_tbEUljE_EEESV_SW_SX_S14_S18_S1A_T6_T7_T9_mT8_S1C_bDpT10_ENKUlT_T0_E_clISt17integral_constantIbLb1EES1O_IbLb0EEEEDaS1K_S1L_EUlS1K_E_NS1_11comp_targetILNS1_3genE9ELNS1_11target_archE1100ELNS1_3gpuE3ELNS1_3repE0EEENS1_30default_config_static_selectorELNS0_4arch9wavefront6targetE1EEEvSY_,@function
_ZN7rocprim17ROCPRIM_400000_NS6detail17trampoline_kernelINS0_13select_configILj256ELj13ELNS0_17block_load_methodE3ELS4_3ELS4_3ELNS0_20block_scan_algorithmE0ELj4294967295EEENS1_25partition_config_selectorILNS1_17partition_subalgoE3EjNS0_10empty_typeEbEEZZNS1_14partition_implILS8_3ELb0ES6_jNS0_17counting_iteratorIjlEEPS9_SE_NS0_5tupleIJPjSE_EEENSF_IJSE_SE_EEES9_SG_JZNS1_25segmented_radix_sort_implINS0_14default_configELb0EPKdPdPKlPlN2at6native12_GLOBAL__N_18offset_tEEE10hipError_tPvRmT1_PNSt15iterator_traitsISY_E10value_typeET2_T3_PNSZ_IS14_E10value_typeET4_jRbjT5_S1A_jjP12ihipStream_tbEUljE_EEESV_SW_SX_S14_S18_S1A_T6_T7_T9_mT8_S1C_bDpT10_ENKUlT_T0_E_clISt17integral_constantIbLb1EES1O_IbLb0EEEEDaS1K_S1L_EUlS1K_E_NS1_11comp_targetILNS1_3genE9ELNS1_11target_archE1100ELNS1_3gpuE3ELNS1_3repE0EEENS1_30default_config_static_selectorELNS0_4arch9wavefront6targetE1EEEvSY_: ; @_ZN7rocprim17ROCPRIM_400000_NS6detail17trampoline_kernelINS0_13select_configILj256ELj13ELNS0_17block_load_methodE3ELS4_3ELS4_3ELNS0_20block_scan_algorithmE0ELj4294967295EEENS1_25partition_config_selectorILNS1_17partition_subalgoE3EjNS0_10empty_typeEbEEZZNS1_14partition_implILS8_3ELb0ES6_jNS0_17counting_iteratorIjlEEPS9_SE_NS0_5tupleIJPjSE_EEENSF_IJSE_SE_EEES9_SG_JZNS1_25segmented_radix_sort_implINS0_14default_configELb0EPKdPdPKlPlN2at6native12_GLOBAL__N_18offset_tEEE10hipError_tPvRmT1_PNSt15iterator_traitsISY_E10value_typeET2_T3_PNSZ_IS14_E10value_typeET4_jRbjT5_S1A_jjP12ihipStream_tbEUljE_EEESV_SW_SX_S14_S18_S1A_T6_T7_T9_mT8_S1C_bDpT10_ENKUlT_T0_E_clISt17integral_constantIbLb1EES1O_IbLb0EEEEDaS1K_S1L_EUlS1K_E_NS1_11comp_targetILNS1_3genE9ELNS1_11target_archE1100ELNS1_3gpuE3ELNS1_3repE0EEENS1_30default_config_static_selectorELNS0_4arch9wavefront6targetE1EEEvSY_
; %bb.0:
	.section	.rodata,"a",@progbits
	.p2align	6, 0x0
	.amdhsa_kernel _ZN7rocprim17ROCPRIM_400000_NS6detail17trampoline_kernelINS0_13select_configILj256ELj13ELNS0_17block_load_methodE3ELS4_3ELS4_3ELNS0_20block_scan_algorithmE0ELj4294967295EEENS1_25partition_config_selectorILNS1_17partition_subalgoE3EjNS0_10empty_typeEbEEZZNS1_14partition_implILS8_3ELb0ES6_jNS0_17counting_iteratorIjlEEPS9_SE_NS0_5tupleIJPjSE_EEENSF_IJSE_SE_EEES9_SG_JZNS1_25segmented_radix_sort_implINS0_14default_configELb0EPKdPdPKlPlN2at6native12_GLOBAL__N_18offset_tEEE10hipError_tPvRmT1_PNSt15iterator_traitsISY_E10value_typeET2_T3_PNSZ_IS14_E10value_typeET4_jRbjT5_S1A_jjP12ihipStream_tbEUljE_EEESV_SW_SX_S14_S18_S1A_T6_T7_T9_mT8_S1C_bDpT10_ENKUlT_T0_E_clISt17integral_constantIbLb1EES1O_IbLb0EEEEDaS1K_S1L_EUlS1K_E_NS1_11comp_targetILNS1_3genE9ELNS1_11target_archE1100ELNS1_3gpuE3ELNS1_3repE0EEENS1_30default_config_static_selectorELNS0_4arch9wavefront6targetE1EEEvSY_
		.amdhsa_group_segment_fixed_size 0
		.amdhsa_private_segment_fixed_size 0
		.amdhsa_kernarg_size 144
		.amdhsa_user_sgpr_count 6
		.amdhsa_user_sgpr_private_segment_buffer 1
		.amdhsa_user_sgpr_dispatch_ptr 0
		.amdhsa_user_sgpr_queue_ptr 0
		.amdhsa_user_sgpr_kernarg_segment_ptr 1
		.amdhsa_user_sgpr_dispatch_id 0
		.amdhsa_user_sgpr_flat_scratch_init 0
		.amdhsa_user_sgpr_private_segment_size 0
		.amdhsa_uses_dynamic_stack 0
		.amdhsa_system_sgpr_private_segment_wavefront_offset 0
		.amdhsa_system_sgpr_workgroup_id_x 1
		.amdhsa_system_sgpr_workgroup_id_y 0
		.amdhsa_system_sgpr_workgroup_id_z 0
		.amdhsa_system_sgpr_workgroup_info 0
		.amdhsa_system_vgpr_workitem_id 0
		.amdhsa_next_free_vgpr 1
		.amdhsa_next_free_sgpr 0
		.amdhsa_reserve_vcc 0
		.amdhsa_reserve_flat_scratch 0
		.amdhsa_float_round_mode_32 0
		.amdhsa_float_round_mode_16_64 0
		.amdhsa_float_denorm_mode_32 3
		.amdhsa_float_denorm_mode_16_64 3
		.amdhsa_dx10_clamp 1
		.amdhsa_ieee_mode 1
		.amdhsa_fp16_overflow 0
		.amdhsa_exception_fp_ieee_invalid_op 0
		.amdhsa_exception_fp_denorm_src 0
		.amdhsa_exception_fp_ieee_div_zero 0
		.amdhsa_exception_fp_ieee_overflow 0
		.amdhsa_exception_fp_ieee_underflow 0
		.amdhsa_exception_fp_ieee_inexact 0
		.amdhsa_exception_int_div_zero 0
	.end_amdhsa_kernel
	.section	.text._ZN7rocprim17ROCPRIM_400000_NS6detail17trampoline_kernelINS0_13select_configILj256ELj13ELNS0_17block_load_methodE3ELS4_3ELS4_3ELNS0_20block_scan_algorithmE0ELj4294967295EEENS1_25partition_config_selectorILNS1_17partition_subalgoE3EjNS0_10empty_typeEbEEZZNS1_14partition_implILS8_3ELb0ES6_jNS0_17counting_iteratorIjlEEPS9_SE_NS0_5tupleIJPjSE_EEENSF_IJSE_SE_EEES9_SG_JZNS1_25segmented_radix_sort_implINS0_14default_configELb0EPKdPdPKlPlN2at6native12_GLOBAL__N_18offset_tEEE10hipError_tPvRmT1_PNSt15iterator_traitsISY_E10value_typeET2_T3_PNSZ_IS14_E10value_typeET4_jRbjT5_S1A_jjP12ihipStream_tbEUljE_EEESV_SW_SX_S14_S18_S1A_T6_T7_T9_mT8_S1C_bDpT10_ENKUlT_T0_E_clISt17integral_constantIbLb1EES1O_IbLb0EEEEDaS1K_S1L_EUlS1K_E_NS1_11comp_targetILNS1_3genE9ELNS1_11target_archE1100ELNS1_3gpuE3ELNS1_3repE0EEENS1_30default_config_static_selectorELNS0_4arch9wavefront6targetE1EEEvSY_,"axG",@progbits,_ZN7rocprim17ROCPRIM_400000_NS6detail17trampoline_kernelINS0_13select_configILj256ELj13ELNS0_17block_load_methodE3ELS4_3ELS4_3ELNS0_20block_scan_algorithmE0ELj4294967295EEENS1_25partition_config_selectorILNS1_17partition_subalgoE3EjNS0_10empty_typeEbEEZZNS1_14partition_implILS8_3ELb0ES6_jNS0_17counting_iteratorIjlEEPS9_SE_NS0_5tupleIJPjSE_EEENSF_IJSE_SE_EEES9_SG_JZNS1_25segmented_radix_sort_implINS0_14default_configELb0EPKdPdPKlPlN2at6native12_GLOBAL__N_18offset_tEEE10hipError_tPvRmT1_PNSt15iterator_traitsISY_E10value_typeET2_T3_PNSZ_IS14_E10value_typeET4_jRbjT5_S1A_jjP12ihipStream_tbEUljE_EEESV_SW_SX_S14_S18_S1A_T6_T7_T9_mT8_S1C_bDpT10_ENKUlT_T0_E_clISt17integral_constantIbLb1EES1O_IbLb0EEEEDaS1K_S1L_EUlS1K_E_NS1_11comp_targetILNS1_3genE9ELNS1_11target_archE1100ELNS1_3gpuE3ELNS1_3repE0EEENS1_30default_config_static_selectorELNS0_4arch9wavefront6targetE1EEEvSY_,comdat
.Lfunc_end1211:
	.size	_ZN7rocprim17ROCPRIM_400000_NS6detail17trampoline_kernelINS0_13select_configILj256ELj13ELNS0_17block_load_methodE3ELS4_3ELS4_3ELNS0_20block_scan_algorithmE0ELj4294967295EEENS1_25partition_config_selectorILNS1_17partition_subalgoE3EjNS0_10empty_typeEbEEZZNS1_14partition_implILS8_3ELb0ES6_jNS0_17counting_iteratorIjlEEPS9_SE_NS0_5tupleIJPjSE_EEENSF_IJSE_SE_EEES9_SG_JZNS1_25segmented_radix_sort_implINS0_14default_configELb0EPKdPdPKlPlN2at6native12_GLOBAL__N_18offset_tEEE10hipError_tPvRmT1_PNSt15iterator_traitsISY_E10value_typeET2_T3_PNSZ_IS14_E10value_typeET4_jRbjT5_S1A_jjP12ihipStream_tbEUljE_EEESV_SW_SX_S14_S18_S1A_T6_T7_T9_mT8_S1C_bDpT10_ENKUlT_T0_E_clISt17integral_constantIbLb1EES1O_IbLb0EEEEDaS1K_S1L_EUlS1K_E_NS1_11comp_targetILNS1_3genE9ELNS1_11target_archE1100ELNS1_3gpuE3ELNS1_3repE0EEENS1_30default_config_static_selectorELNS0_4arch9wavefront6targetE1EEEvSY_, .Lfunc_end1211-_ZN7rocprim17ROCPRIM_400000_NS6detail17trampoline_kernelINS0_13select_configILj256ELj13ELNS0_17block_load_methodE3ELS4_3ELS4_3ELNS0_20block_scan_algorithmE0ELj4294967295EEENS1_25partition_config_selectorILNS1_17partition_subalgoE3EjNS0_10empty_typeEbEEZZNS1_14partition_implILS8_3ELb0ES6_jNS0_17counting_iteratorIjlEEPS9_SE_NS0_5tupleIJPjSE_EEENSF_IJSE_SE_EEES9_SG_JZNS1_25segmented_radix_sort_implINS0_14default_configELb0EPKdPdPKlPlN2at6native12_GLOBAL__N_18offset_tEEE10hipError_tPvRmT1_PNSt15iterator_traitsISY_E10value_typeET2_T3_PNSZ_IS14_E10value_typeET4_jRbjT5_S1A_jjP12ihipStream_tbEUljE_EEESV_SW_SX_S14_S18_S1A_T6_T7_T9_mT8_S1C_bDpT10_ENKUlT_T0_E_clISt17integral_constantIbLb1EES1O_IbLb0EEEEDaS1K_S1L_EUlS1K_E_NS1_11comp_targetILNS1_3genE9ELNS1_11target_archE1100ELNS1_3gpuE3ELNS1_3repE0EEENS1_30default_config_static_selectorELNS0_4arch9wavefront6targetE1EEEvSY_
                                        ; -- End function
	.set _ZN7rocprim17ROCPRIM_400000_NS6detail17trampoline_kernelINS0_13select_configILj256ELj13ELNS0_17block_load_methodE3ELS4_3ELS4_3ELNS0_20block_scan_algorithmE0ELj4294967295EEENS1_25partition_config_selectorILNS1_17partition_subalgoE3EjNS0_10empty_typeEbEEZZNS1_14partition_implILS8_3ELb0ES6_jNS0_17counting_iteratorIjlEEPS9_SE_NS0_5tupleIJPjSE_EEENSF_IJSE_SE_EEES9_SG_JZNS1_25segmented_radix_sort_implINS0_14default_configELb0EPKdPdPKlPlN2at6native12_GLOBAL__N_18offset_tEEE10hipError_tPvRmT1_PNSt15iterator_traitsISY_E10value_typeET2_T3_PNSZ_IS14_E10value_typeET4_jRbjT5_S1A_jjP12ihipStream_tbEUljE_EEESV_SW_SX_S14_S18_S1A_T6_T7_T9_mT8_S1C_bDpT10_ENKUlT_T0_E_clISt17integral_constantIbLb1EES1O_IbLb0EEEEDaS1K_S1L_EUlS1K_E_NS1_11comp_targetILNS1_3genE9ELNS1_11target_archE1100ELNS1_3gpuE3ELNS1_3repE0EEENS1_30default_config_static_selectorELNS0_4arch9wavefront6targetE1EEEvSY_.num_vgpr, 0
	.set _ZN7rocprim17ROCPRIM_400000_NS6detail17trampoline_kernelINS0_13select_configILj256ELj13ELNS0_17block_load_methodE3ELS4_3ELS4_3ELNS0_20block_scan_algorithmE0ELj4294967295EEENS1_25partition_config_selectorILNS1_17partition_subalgoE3EjNS0_10empty_typeEbEEZZNS1_14partition_implILS8_3ELb0ES6_jNS0_17counting_iteratorIjlEEPS9_SE_NS0_5tupleIJPjSE_EEENSF_IJSE_SE_EEES9_SG_JZNS1_25segmented_radix_sort_implINS0_14default_configELb0EPKdPdPKlPlN2at6native12_GLOBAL__N_18offset_tEEE10hipError_tPvRmT1_PNSt15iterator_traitsISY_E10value_typeET2_T3_PNSZ_IS14_E10value_typeET4_jRbjT5_S1A_jjP12ihipStream_tbEUljE_EEESV_SW_SX_S14_S18_S1A_T6_T7_T9_mT8_S1C_bDpT10_ENKUlT_T0_E_clISt17integral_constantIbLb1EES1O_IbLb0EEEEDaS1K_S1L_EUlS1K_E_NS1_11comp_targetILNS1_3genE9ELNS1_11target_archE1100ELNS1_3gpuE3ELNS1_3repE0EEENS1_30default_config_static_selectorELNS0_4arch9wavefront6targetE1EEEvSY_.num_agpr, 0
	.set _ZN7rocprim17ROCPRIM_400000_NS6detail17trampoline_kernelINS0_13select_configILj256ELj13ELNS0_17block_load_methodE3ELS4_3ELS4_3ELNS0_20block_scan_algorithmE0ELj4294967295EEENS1_25partition_config_selectorILNS1_17partition_subalgoE3EjNS0_10empty_typeEbEEZZNS1_14partition_implILS8_3ELb0ES6_jNS0_17counting_iteratorIjlEEPS9_SE_NS0_5tupleIJPjSE_EEENSF_IJSE_SE_EEES9_SG_JZNS1_25segmented_radix_sort_implINS0_14default_configELb0EPKdPdPKlPlN2at6native12_GLOBAL__N_18offset_tEEE10hipError_tPvRmT1_PNSt15iterator_traitsISY_E10value_typeET2_T3_PNSZ_IS14_E10value_typeET4_jRbjT5_S1A_jjP12ihipStream_tbEUljE_EEESV_SW_SX_S14_S18_S1A_T6_T7_T9_mT8_S1C_bDpT10_ENKUlT_T0_E_clISt17integral_constantIbLb1EES1O_IbLb0EEEEDaS1K_S1L_EUlS1K_E_NS1_11comp_targetILNS1_3genE9ELNS1_11target_archE1100ELNS1_3gpuE3ELNS1_3repE0EEENS1_30default_config_static_selectorELNS0_4arch9wavefront6targetE1EEEvSY_.numbered_sgpr, 0
	.set _ZN7rocprim17ROCPRIM_400000_NS6detail17trampoline_kernelINS0_13select_configILj256ELj13ELNS0_17block_load_methodE3ELS4_3ELS4_3ELNS0_20block_scan_algorithmE0ELj4294967295EEENS1_25partition_config_selectorILNS1_17partition_subalgoE3EjNS0_10empty_typeEbEEZZNS1_14partition_implILS8_3ELb0ES6_jNS0_17counting_iteratorIjlEEPS9_SE_NS0_5tupleIJPjSE_EEENSF_IJSE_SE_EEES9_SG_JZNS1_25segmented_radix_sort_implINS0_14default_configELb0EPKdPdPKlPlN2at6native12_GLOBAL__N_18offset_tEEE10hipError_tPvRmT1_PNSt15iterator_traitsISY_E10value_typeET2_T3_PNSZ_IS14_E10value_typeET4_jRbjT5_S1A_jjP12ihipStream_tbEUljE_EEESV_SW_SX_S14_S18_S1A_T6_T7_T9_mT8_S1C_bDpT10_ENKUlT_T0_E_clISt17integral_constantIbLb1EES1O_IbLb0EEEEDaS1K_S1L_EUlS1K_E_NS1_11comp_targetILNS1_3genE9ELNS1_11target_archE1100ELNS1_3gpuE3ELNS1_3repE0EEENS1_30default_config_static_selectorELNS0_4arch9wavefront6targetE1EEEvSY_.num_named_barrier, 0
	.set _ZN7rocprim17ROCPRIM_400000_NS6detail17trampoline_kernelINS0_13select_configILj256ELj13ELNS0_17block_load_methodE3ELS4_3ELS4_3ELNS0_20block_scan_algorithmE0ELj4294967295EEENS1_25partition_config_selectorILNS1_17partition_subalgoE3EjNS0_10empty_typeEbEEZZNS1_14partition_implILS8_3ELb0ES6_jNS0_17counting_iteratorIjlEEPS9_SE_NS0_5tupleIJPjSE_EEENSF_IJSE_SE_EEES9_SG_JZNS1_25segmented_radix_sort_implINS0_14default_configELb0EPKdPdPKlPlN2at6native12_GLOBAL__N_18offset_tEEE10hipError_tPvRmT1_PNSt15iterator_traitsISY_E10value_typeET2_T3_PNSZ_IS14_E10value_typeET4_jRbjT5_S1A_jjP12ihipStream_tbEUljE_EEESV_SW_SX_S14_S18_S1A_T6_T7_T9_mT8_S1C_bDpT10_ENKUlT_T0_E_clISt17integral_constantIbLb1EES1O_IbLb0EEEEDaS1K_S1L_EUlS1K_E_NS1_11comp_targetILNS1_3genE9ELNS1_11target_archE1100ELNS1_3gpuE3ELNS1_3repE0EEENS1_30default_config_static_selectorELNS0_4arch9wavefront6targetE1EEEvSY_.private_seg_size, 0
	.set _ZN7rocprim17ROCPRIM_400000_NS6detail17trampoline_kernelINS0_13select_configILj256ELj13ELNS0_17block_load_methodE3ELS4_3ELS4_3ELNS0_20block_scan_algorithmE0ELj4294967295EEENS1_25partition_config_selectorILNS1_17partition_subalgoE3EjNS0_10empty_typeEbEEZZNS1_14partition_implILS8_3ELb0ES6_jNS0_17counting_iteratorIjlEEPS9_SE_NS0_5tupleIJPjSE_EEENSF_IJSE_SE_EEES9_SG_JZNS1_25segmented_radix_sort_implINS0_14default_configELb0EPKdPdPKlPlN2at6native12_GLOBAL__N_18offset_tEEE10hipError_tPvRmT1_PNSt15iterator_traitsISY_E10value_typeET2_T3_PNSZ_IS14_E10value_typeET4_jRbjT5_S1A_jjP12ihipStream_tbEUljE_EEESV_SW_SX_S14_S18_S1A_T6_T7_T9_mT8_S1C_bDpT10_ENKUlT_T0_E_clISt17integral_constantIbLb1EES1O_IbLb0EEEEDaS1K_S1L_EUlS1K_E_NS1_11comp_targetILNS1_3genE9ELNS1_11target_archE1100ELNS1_3gpuE3ELNS1_3repE0EEENS1_30default_config_static_selectorELNS0_4arch9wavefront6targetE1EEEvSY_.uses_vcc, 0
	.set _ZN7rocprim17ROCPRIM_400000_NS6detail17trampoline_kernelINS0_13select_configILj256ELj13ELNS0_17block_load_methodE3ELS4_3ELS4_3ELNS0_20block_scan_algorithmE0ELj4294967295EEENS1_25partition_config_selectorILNS1_17partition_subalgoE3EjNS0_10empty_typeEbEEZZNS1_14partition_implILS8_3ELb0ES6_jNS0_17counting_iteratorIjlEEPS9_SE_NS0_5tupleIJPjSE_EEENSF_IJSE_SE_EEES9_SG_JZNS1_25segmented_radix_sort_implINS0_14default_configELb0EPKdPdPKlPlN2at6native12_GLOBAL__N_18offset_tEEE10hipError_tPvRmT1_PNSt15iterator_traitsISY_E10value_typeET2_T3_PNSZ_IS14_E10value_typeET4_jRbjT5_S1A_jjP12ihipStream_tbEUljE_EEESV_SW_SX_S14_S18_S1A_T6_T7_T9_mT8_S1C_bDpT10_ENKUlT_T0_E_clISt17integral_constantIbLb1EES1O_IbLb0EEEEDaS1K_S1L_EUlS1K_E_NS1_11comp_targetILNS1_3genE9ELNS1_11target_archE1100ELNS1_3gpuE3ELNS1_3repE0EEENS1_30default_config_static_selectorELNS0_4arch9wavefront6targetE1EEEvSY_.uses_flat_scratch, 0
	.set _ZN7rocprim17ROCPRIM_400000_NS6detail17trampoline_kernelINS0_13select_configILj256ELj13ELNS0_17block_load_methodE3ELS4_3ELS4_3ELNS0_20block_scan_algorithmE0ELj4294967295EEENS1_25partition_config_selectorILNS1_17partition_subalgoE3EjNS0_10empty_typeEbEEZZNS1_14partition_implILS8_3ELb0ES6_jNS0_17counting_iteratorIjlEEPS9_SE_NS0_5tupleIJPjSE_EEENSF_IJSE_SE_EEES9_SG_JZNS1_25segmented_radix_sort_implINS0_14default_configELb0EPKdPdPKlPlN2at6native12_GLOBAL__N_18offset_tEEE10hipError_tPvRmT1_PNSt15iterator_traitsISY_E10value_typeET2_T3_PNSZ_IS14_E10value_typeET4_jRbjT5_S1A_jjP12ihipStream_tbEUljE_EEESV_SW_SX_S14_S18_S1A_T6_T7_T9_mT8_S1C_bDpT10_ENKUlT_T0_E_clISt17integral_constantIbLb1EES1O_IbLb0EEEEDaS1K_S1L_EUlS1K_E_NS1_11comp_targetILNS1_3genE9ELNS1_11target_archE1100ELNS1_3gpuE3ELNS1_3repE0EEENS1_30default_config_static_selectorELNS0_4arch9wavefront6targetE1EEEvSY_.has_dyn_sized_stack, 0
	.set _ZN7rocprim17ROCPRIM_400000_NS6detail17trampoline_kernelINS0_13select_configILj256ELj13ELNS0_17block_load_methodE3ELS4_3ELS4_3ELNS0_20block_scan_algorithmE0ELj4294967295EEENS1_25partition_config_selectorILNS1_17partition_subalgoE3EjNS0_10empty_typeEbEEZZNS1_14partition_implILS8_3ELb0ES6_jNS0_17counting_iteratorIjlEEPS9_SE_NS0_5tupleIJPjSE_EEENSF_IJSE_SE_EEES9_SG_JZNS1_25segmented_radix_sort_implINS0_14default_configELb0EPKdPdPKlPlN2at6native12_GLOBAL__N_18offset_tEEE10hipError_tPvRmT1_PNSt15iterator_traitsISY_E10value_typeET2_T3_PNSZ_IS14_E10value_typeET4_jRbjT5_S1A_jjP12ihipStream_tbEUljE_EEESV_SW_SX_S14_S18_S1A_T6_T7_T9_mT8_S1C_bDpT10_ENKUlT_T0_E_clISt17integral_constantIbLb1EES1O_IbLb0EEEEDaS1K_S1L_EUlS1K_E_NS1_11comp_targetILNS1_3genE9ELNS1_11target_archE1100ELNS1_3gpuE3ELNS1_3repE0EEENS1_30default_config_static_selectorELNS0_4arch9wavefront6targetE1EEEvSY_.has_recursion, 0
	.set _ZN7rocprim17ROCPRIM_400000_NS6detail17trampoline_kernelINS0_13select_configILj256ELj13ELNS0_17block_load_methodE3ELS4_3ELS4_3ELNS0_20block_scan_algorithmE0ELj4294967295EEENS1_25partition_config_selectorILNS1_17partition_subalgoE3EjNS0_10empty_typeEbEEZZNS1_14partition_implILS8_3ELb0ES6_jNS0_17counting_iteratorIjlEEPS9_SE_NS0_5tupleIJPjSE_EEENSF_IJSE_SE_EEES9_SG_JZNS1_25segmented_radix_sort_implINS0_14default_configELb0EPKdPdPKlPlN2at6native12_GLOBAL__N_18offset_tEEE10hipError_tPvRmT1_PNSt15iterator_traitsISY_E10value_typeET2_T3_PNSZ_IS14_E10value_typeET4_jRbjT5_S1A_jjP12ihipStream_tbEUljE_EEESV_SW_SX_S14_S18_S1A_T6_T7_T9_mT8_S1C_bDpT10_ENKUlT_T0_E_clISt17integral_constantIbLb1EES1O_IbLb0EEEEDaS1K_S1L_EUlS1K_E_NS1_11comp_targetILNS1_3genE9ELNS1_11target_archE1100ELNS1_3gpuE3ELNS1_3repE0EEENS1_30default_config_static_selectorELNS0_4arch9wavefront6targetE1EEEvSY_.has_indirect_call, 0
	.section	.AMDGPU.csdata,"",@progbits
; Kernel info:
; codeLenInByte = 0
; TotalNumSgprs: 4
; NumVgprs: 0
; ScratchSize: 0
; MemoryBound: 0
; FloatMode: 240
; IeeeMode: 1
; LDSByteSize: 0 bytes/workgroup (compile time only)
; SGPRBlocks: 0
; VGPRBlocks: 0
; NumSGPRsForWavesPerEU: 4
; NumVGPRsForWavesPerEU: 1
; Occupancy: 10
; WaveLimiterHint : 0
; COMPUTE_PGM_RSRC2:SCRATCH_EN: 0
; COMPUTE_PGM_RSRC2:USER_SGPR: 6
; COMPUTE_PGM_RSRC2:TRAP_HANDLER: 0
; COMPUTE_PGM_RSRC2:TGID_X_EN: 1
; COMPUTE_PGM_RSRC2:TGID_Y_EN: 0
; COMPUTE_PGM_RSRC2:TGID_Z_EN: 0
; COMPUTE_PGM_RSRC2:TIDIG_COMP_CNT: 0
	.section	.text._ZN7rocprim17ROCPRIM_400000_NS6detail17trampoline_kernelINS0_13select_configILj256ELj13ELNS0_17block_load_methodE3ELS4_3ELS4_3ELNS0_20block_scan_algorithmE0ELj4294967295EEENS1_25partition_config_selectorILNS1_17partition_subalgoE3EjNS0_10empty_typeEbEEZZNS1_14partition_implILS8_3ELb0ES6_jNS0_17counting_iteratorIjlEEPS9_SE_NS0_5tupleIJPjSE_EEENSF_IJSE_SE_EEES9_SG_JZNS1_25segmented_radix_sort_implINS0_14default_configELb0EPKdPdPKlPlN2at6native12_GLOBAL__N_18offset_tEEE10hipError_tPvRmT1_PNSt15iterator_traitsISY_E10value_typeET2_T3_PNSZ_IS14_E10value_typeET4_jRbjT5_S1A_jjP12ihipStream_tbEUljE_EEESV_SW_SX_S14_S18_S1A_T6_T7_T9_mT8_S1C_bDpT10_ENKUlT_T0_E_clISt17integral_constantIbLb1EES1O_IbLb0EEEEDaS1K_S1L_EUlS1K_E_NS1_11comp_targetILNS1_3genE8ELNS1_11target_archE1030ELNS1_3gpuE2ELNS1_3repE0EEENS1_30default_config_static_selectorELNS0_4arch9wavefront6targetE1EEEvSY_,"axG",@progbits,_ZN7rocprim17ROCPRIM_400000_NS6detail17trampoline_kernelINS0_13select_configILj256ELj13ELNS0_17block_load_methodE3ELS4_3ELS4_3ELNS0_20block_scan_algorithmE0ELj4294967295EEENS1_25partition_config_selectorILNS1_17partition_subalgoE3EjNS0_10empty_typeEbEEZZNS1_14partition_implILS8_3ELb0ES6_jNS0_17counting_iteratorIjlEEPS9_SE_NS0_5tupleIJPjSE_EEENSF_IJSE_SE_EEES9_SG_JZNS1_25segmented_radix_sort_implINS0_14default_configELb0EPKdPdPKlPlN2at6native12_GLOBAL__N_18offset_tEEE10hipError_tPvRmT1_PNSt15iterator_traitsISY_E10value_typeET2_T3_PNSZ_IS14_E10value_typeET4_jRbjT5_S1A_jjP12ihipStream_tbEUljE_EEESV_SW_SX_S14_S18_S1A_T6_T7_T9_mT8_S1C_bDpT10_ENKUlT_T0_E_clISt17integral_constantIbLb1EES1O_IbLb0EEEEDaS1K_S1L_EUlS1K_E_NS1_11comp_targetILNS1_3genE8ELNS1_11target_archE1030ELNS1_3gpuE2ELNS1_3repE0EEENS1_30default_config_static_selectorELNS0_4arch9wavefront6targetE1EEEvSY_,comdat
	.globl	_ZN7rocprim17ROCPRIM_400000_NS6detail17trampoline_kernelINS0_13select_configILj256ELj13ELNS0_17block_load_methodE3ELS4_3ELS4_3ELNS0_20block_scan_algorithmE0ELj4294967295EEENS1_25partition_config_selectorILNS1_17partition_subalgoE3EjNS0_10empty_typeEbEEZZNS1_14partition_implILS8_3ELb0ES6_jNS0_17counting_iteratorIjlEEPS9_SE_NS0_5tupleIJPjSE_EEENSF_IJSE_SE_EEES9_SG_JZNS1_25segmented_radix_sort_implINS0_14default_configELb0EPKdPdPKlPlN2at6native12_GLOBAL__N_18offset_tEEE10hipError_tPvRmT1_PNSt15iterator_traitsISY_E10value_typeET2_T3_PNSZ_IS14_E10value_typeET4_jRbjT5_S1A_jjP12ihipStream_tbEUljE_EEESV_SW_SX_S14_S18_S1A_T6_T7_T9_mT8_S1C_bDpT10_ENKUlT_T0_E_clISt17integral_constantIbLb1EES1O_IbLb0EEEEDaS1K_S1L_EUlS1K_E_NS1_11comp_targetILNS1_3genE8ELNS1_11target_archE1030ELNS1_3gpuE2ELNS1_3repE0EEENS1_30default_config_static_selectorELNS0_4arch9wavefront6targetE1EEEvSY_ ; -- Begin function _ZN7rocprim17ROCPRIM_400000_NS6detail17trampoline_kernelINS0_13select_configILj256ELj13ELNS0_17block_load_methodE3ELS4_3ELS4_3ELNS0_20block_scan_algorithmE0ELj4294967295EEENS1_25partition_config_selectorILNS1_17partition_subalgoE3EjNS0_10empty_typeEbEEZZNS1_14partition_implILS8_3ELb0ES6_jNS0_17counting_iteratorIjlEEPS9_SE_NS0_5tupleIJPjSE_EEENSF_IJSE_SE_EEES9_SG_JZNS1_25segmented_radix_sort_implINS0_14default_configELb0EPKdPdPKlPlN2at6native12_GLOBAL__N_18offset_tEEE10hipError_tPvRmT1_PNSt15iterator_traitsISY_E10value_typeET2_T3_PNSZ_IS14_E10value_typeET4_jRbjT5_S1A_jjP12ihipStream_tbEUljE_EEESV_SW_SX_S14_S18_S1A_T6_T7_T9_mT8_S1C_bDpT10_ENKUlT_T0_E_clISt17integral_constantIbLb1EES1O_IbLb0EEEEDaS1K_S1L_EUlS1K_E_NS1_11comp_targetILNS1_3genE8ELNS1_11target_archE1030ELNS1_3gpuE2ELNS1_3repE0EEENS1_30default_config_static_selectorELNS0_4arch9wavefront6targetE1EEEvSY_
	.p2align	8
	.type	_ZN7rocprim17ROCPRIM_400000_NS6detail17trampoline_kernelINS0_13select_configILj256ELj13ELNS0_17block_load_methodE3ELS4_3ELS4_3ELNS0_20block_scan_algorithmE0ELj4294967295EEENS1_25partition_config_selectorILNS1_17partition_subalgoE3EjNS0_10empty_typeEbEEZZNS1_14partition_implILS8_3ELb0ES6_jNS0_17counting_iteratorIjlEEPS9_SE_NS0_5tupleIJPjSE_EEENSF_IJSE_SE_EEES9_SG_JZNS1_25segmented_radix_sort_implINS0_14default_configELb0EPKdPdPKlPlN2at6native12_GLOBAL__N_18offset_tEEE10hipError_tPvRmT1_PNSt15iterator_traitsISY_E10value_typeET2_T3_PNSZ_IS14_E10value_typeET4_jRbjT5_S1A_jjP12ihipStream_tbEUljE_EEESV_SW_SX_S14_S18_S1A_T6_T7_T9_mT8_S1C_bDpT10_ENKUlT_T0_E_clISt17integral_constantIbLb1EES1O_IbLb0EEEEDaS1K_S1L_EUlS1K_E_NS1_11comp_targetILNS1_3genE8ELNS1_11target_archE1030ELNS1_3gpuE2ELNS1_3repE0EEENS1_30default_config_static_selectorELNS0_4arch9wavefront6targetE1EEEvSY_,@function
_ZN7rocprim17ROCPRIM_400000_NS6detail17trampoline_kernelINS0_13select_configILj256ELj13ELNS0_17block_load_methodE3ELS4_3ELS4_3ELNS0_20block_scan_algorithmE0ELj4294967295EEENS1_25partition_config_selectorILNS1_17partition_subalgoE3EjNS0_10empty_typeEbEEZZNS1_14partition_implILS8_3ELb0ES6_jNS0_17counting_iteratorIjlEEPS9_SE_NS0_5tupleIJPjSE_EEENSF_IJSE_SE_EEES9_SG_JZNS1_25segmented_radix_sort_implINS0_14default_configELb0EPKdPdPKlPlN2at6native12_GLOBAL__N_18offset_tEEE10hipError_tPvRmT1_PNSt15iterator_traitsISY_E10value_typeET2_T3_PNSZ_IS14_E10value_typeET4_jRbjT5_S1A_jjP12ihipStream_tbEUljE_EEESV_SW_SX_S14_S18_S1A_T6_T7_T9_mT8_S1C_bDpT10_ENKUlT_T0_E_clISt17integral_constantIbLb1EES1O_IbLb0EEEEDaS1K_S1L_EUlS1K_E_NS1_11comp_targetILNS1_3genE8ELNS1_11target_archE1030ELNS1_3gpuE2ELNS1_3repE0EEENS1_30default_config_static_selectorELNS0_4arch9wavefront6targetE1EEEvSY_: ; @_ZN7rocprim17ROCPRIM_400000_NS6detail17trampoline_kernelINS0_13select_configILj256ELj13ELNS0_17block_load_methodE3ELS4_3ELS4_3ELNS0_20block_scan_algorithmE0ELj4294967295EEENS1_25partition_config_selectorILNS1_17partition_subalgoE3EjNS0_10empty_typeEbEEZZNS1_14partition_implILS8_3ELb0ES6_jNS0_17counting_iteratorIjlEEPS9_SE_NS0_5tupleIJPjSE_EEENSF_IJSE_SE_EEES9_SG_JZNS1_25segmented_radix_sort_implINS0_14default_configELb0EPKdPdPKlPlN2at6native12_GLOBAL__N_18offset_tEEE10hipError_tPvRmT1_PNSt15iterator_traitsISY_E10value_typeET2_T3_PNSZ_IS14_E10value_typeET4_jRbjT5_S1A_jjP12ihipStream_tbEUljE_EEESV_SW_SX_S14_S18_S1A_T6_T7_T9_mT8_S1C_bDpT10_ENKUlT_T0_E_clISt17integral_constantIbLb1EES1O_IbLb0EEEEDaS1K_S1L_EUlS1K_E_NS1_11comp_targetILNS1_3genE8ELNS1_11target_archE1030ELNS1_3gpuE2ELNS1_3repE0EEENS1_30default_config_static_selectorELNS0_4arch9wavefront6targetE1EEEvSY_
; %bb.0:
	.section	.rodata,"a",@progbits
	.p2align	6, 0x0
	.amdhsa_kernel _ZN7rocprim17ROCPRIM_400000_NS6detail17trampoline_kernelINS0_13select_configILj256ELj13ELNS0_17block_load_methodE3ELS4_3ELS4_3ELNS0_20block_scan_algorithmE0ELj4294967295EEENS1_25partition_config_selectorILNS1_17partition_subalgoE3EjNS0_10empty_typeEbEEZZNS1_14partition_implILS8_3ELb0ES6_jNS0_17counting_iteratorIjlEEPS9_SE_NS0_5tupleIJPjSE_EEENSF_IJSE_SE_EEES9_SG_JZNS1_25segmented_radix_sort_implINS0_14default_configELb0EPKdPdPKlPlN2at6native12_GLOBAL__N_18offset_tEEE10hipError_tPvRmT1_PNSt15iterator_traitsISY_E10value_typeET2_T3_PNSZ_IS14_E10value_typeET4_jRbjT5_S1A_jjP12ihipStream_tbEUljE_EEESV_SW_SX_S14_S18_S1A_T6_T7_T9_mT8_S1C_bDpT10_ENKUlT_T0_E_clISt17integral_constantIbLb1EES1O_IbLb0EEEEDaS1K_S1L_EUlS1K_E_NS1_11comp_targetILNS1_3genE8ELNS1_11target_archE1030ELNS1_3gpuE2ELNS1_3repE0EEENS1_30default_config_static_selectorELNS0_4arch9wavefront6targetE1EEEvSY_
		.amdhsa_group_segment_fixed_size 0
		.amdhsa_private_segment_fixed_size 0
		.amdhsa_kernarg_size 144
		.amdhsa_user_sgpr_count 6
		.amdhsa_user_sgpr_private_segment_buffer 1
		.amdhsa_user_sgpr_dispatch_ptr 0
		.amdhsa_user_sgpr_queue_ptr 0
		.amdhsa_user_sgpr_kernarg_segment_ptr 1
		.amdhsa_user_sgpr_dispatch_id 0
		.amdhsa_user_sgpr_flat_scratch_init 0
		.amdhsa_user_sgpr_private_segment_size 0
		.amdhsa_uses_dynamic_stack 0
		.amdhsa_system_sgpr_private_segment_wavefront_offset 0
		.amdhsa_system_sgpr_workgroup_id_x 1
		.amdhsa_system_sgpr_workgroup_id_y 0
		.amdhsa_system_sgpr_workgroup_id_z 0
		.amdhsa_system_sgpr_workgroup_info 0
		.amdhsa_system_vgpr_workitem_id 0
		.amdhsa_next_free_vgpr 1
		.amdhsa_next_free_sgpr 0
		.amdhsa_reserve_vcc 0
		.amdhsa_reserve_flat_scratch 0
		.amdhsa_float_round_mode_32 0
		.amdhsa_float_round_mode_16_64 0
		.amdhsa_float_denorm_mode_32 3
		.amdhsa_float_denorm_mode_16_64 3
		.amdhsa_dx10_clamp 1
		.amdhsa_ieee_mode 1
		.amdhsa_fp16_overflow 0
		.amdhsa_exception_fp_ieee_invalid_op 0
		.amdhsa_exception_fp_denorm_src 0
		.amdhsa_exception_fp_ieee_div_zero 0
		.amdhsa_exception_fp_ieee_overflow 0
		.amdhsa_exception_fp_ieee_underflow 0
		.amdhsa_exception_fp_ieee_inexact 0
		.amdhsa_exception_int_div_zero 0
	.end_amdhsa_kernel
	.section	.text._ZN7rocprim17ROCPRIM_400000_NS6detail17trampoline_kernelINS0_13select_configILj256ELj13ELNS0_17block_load_methodE3ELS4_3ELS4_3ELNS0_20block_scan_algorithmE0ELj4294967295EEENS1_25partition_config_selectorILNS1_17partition_subalgoE3EjNS0_10empty_typeEbEEZZNS1_14partition_implILS8_3ELb0ES6_jNS0_17counting_iteratorIjlEEPS9_SE_NS0_5tupleIJPjSE_EEENSF_IJSE_SE_EEES9_SG_JZNS1_25segmented_radix_sort_implINS0_14default_configELb0EPKdPdPKlPlN2at6native12_GLOBAL__N_18offset_tEEE10hipError_tPvRmT1_PNSt15iterator_traitsISY_E10value_typeET2_T3_PNSZ_IS14_E10value_typeET4_jRbjT5_S1A_jjP12ihipStream_tbEUljE_EEESV_SW_SX_S14_S18_S1A_T6_T7_T9_mT8_S1C_bDpT10_ENKUlT_T0_E_clISt17integral_constantIbLb1EES1O_IbLb0EEEEDaS1K_S1L_EUlS1K_E_NS1_11comp_targetILNS1_3genE8ELNS1_11target_archE1030ELNS1_3gpuE2ELNS1_3repE0EEENS1_30default_config_static_selectorELNS0_4arch9wavefront6targetE1EEEvSY_,"axG",@progbits,_ZN7rocprim17ROCPRIM_400000_NS6detail17trampoline_kernelINS0_13select_configILj256ELj13ELNS0_17block_load_methodE3ELS4_3ELS4_3ELNS0_20block_scan_algorithmE0ELj4294967295EEENS1_25partition_config_selectorILNS1_17partition_subalgoE3EjNS0_10empty_typeEbEEZZNS1_14partition_implILS8_3ELb0ES6_jNS0_17counting_iteratorIjlEEPS9_SE_NS0_5tupleIJPjSE_EEENSF_IJSE_SE_EEES9_SG_JZNS1_25segmented_radix_sort_implINS0_14default_configELb0EPKdPdPKlPlN2at6native12_GLOBAL__N_18offset_tEEE10hipError_tPvRmT1_PNSt15iterator_traitsISY_E10value_typeET2_T3_PNSZ_IS14_E10value_typeET4_jRbjT5_S1A_jjP12ihipStream_tbEUljE_EEESV_SW_SX_S14_S18_S1A_T6_T7_T9_mT8_S1C_bDpT10_ENKUlT_T0_E_clISt17integral_constantIbLb1EES1O_IbLb0EEEEDaS1K_S1L_EUlS1K_E_NS1_11comp_targetILNS1_3genE8ELNS1_11target_archE1030ELNS1_3gpuE2ELNS1_3repE0EEENS1_30default_config_static_selectorELNS0_4arch9wavefront6targetE1EEEvSY_,comdat
.Lfunc_end1212:
	.size	_ZN7rocprim17ROCPRIM_400000_NS6detail17trampoline_kernelINS0_13select_configILj256ELj13ELNS0_17block_load_methodE3ELS4_3ELS4_3ELNS0_20block_scan_algorithmE0ELj4294967295EEENS1_25partition_config_selectorILNS1_17partition_subalgoE3EjNS0_10empty_typeEbEEZZNS1_14partition_implILS8_3ELb0ES6_jNS0_17counting_iteratorIjlEEPS9_SE_NS0_5tupleIJPjSE_EEENSF_IJSE_SE_EEES9_SG_JZNS1_25segmented_radix_sort_implINS0_14default_configELb0EPKdPdPKlPlN2at6native12_GLOBAL__N_18offset_tEEE10hipError_tPvRmT1_PNSt15iterator_traitsISY_E10value_typeET2_T3_PNSZ_IS14_E10value_typeET4_jRbjT5_S1A_jjP12ihipStream_tbEUljE_EEESV_SW_SX_S14_S18_S1A_T6_T7_T9_mT8_S1C_bDpT10_ENKUlT_T0_E_clISt17integral_constantIbLb1EES1O_IbLb0EEEEDaS1K_S1L_EUlS1K_E_NS1_11comp_targetILNS1_3genE8ELNS1_11target_archE1030ELNS1_3gpuE2ELNS1_3repE0EEENS1_30default_config_static_selectorELNS0_4arch9wavefront6targetE1EEEvSY_, .Lfunc_end1212-_ZN7rocprim17ROCPRIM_400000_NS6detail17trampoline_kernelINS0_13select_configILj256ELj13ELNS0_17block_load_methodE3ELS4_3ELS4_3ELNS0_20block_scan_algorithmE0ELj4294967295EEENS1_25partition_config_selectorILNS1_17partition_subalgoE3EjNS0_10empty_typeEbEEZZNS1_14partition_implILS8_3ELb0ES6_jNS0_17counting_iteratorIjlEEPS9_SE_NS0_5tupleIJPjSE_EEENSF_IJSE_SE_EEES9_SG_JZNS1_25segmented_radix_sort_implINS0_14default_configELb0EPKdPdPKlPlN2at6native12_GLOBAL__N_18offset_tEEE10hipError_tPvRmT1_PNSt15iterator_traitsISY_E10value_typeET2_T3_PNSZ_IS14_E10value_typeET4_jRbjT5_S1A_jjP12ihipStream_tbEUljE_EEESV_SW_SX_S14_S18_S1A_T6_T7_T9_mT8_S1C_bDpT10_ENKUlT_T0_E_clISt17integral_constantIbLb1EES1O_IbLb0EEEEDaS1K_S1L_EUlS1K_E_NS1_11comp_targetILNS1_3genE8ELNS1_11target_archE1030ELNS1_3gpuE2ELNS1_3repE0EEENS1_30default_config_static_selectorELNS0_4arch9wavefront6targetE1EEEvSY_
                                        ; -- End function
	.set _ZN7rocprim17ROCPRIM_400000_NS6detail17trampoline_kernelINS0_13select_configILj256ELj13ELNS0_17block_load_methodE3ELS4_3ELS4_3ELNS0_20block_scan_algorithmE0ELj4294967295EEENS1_25partition_config_selectorILNS1_17partition_subalgoE3EjNS0_10empty_typeEbEEZZNS1_14partition_implILS8_3ELb0ES6_jNS0_17counting_iteratorIjlEEPS9_SE_NS0_5tupleIJPjSE_EEENSF_IJSE_SE_EEES9_SG_JZNS1_25segmented_radix_sort_implINS0_14default_configELb0EPKdPdPKlPlN2at6native12_GLOBAL__N_18offset_tEEE10hipError_tPvRmT1_PNSt15iterator_traitsISY_E10value_typeET2_T3_PNSZ_IS14_E10value_typeET4_jRbjT5_S1A_jjP12ihipStream_tbEUljE_EEESV_SW_SX_S14_S18_S1A_T6_T7_T9_mT8_S1C_bDpT10_ENKUlT_T0_E_clISt17integral_constantIbLb1EES1O_IbLb0EEEEDaS1K_S1L_EUlS1K_E_NS1_11comp_targetILNS1_3genE8ELNS1_11target_archE1030ELNS1_3gpuE2ELNS1_3repE0EEENS1_30default_config_static_selectorELNS0_4arch9wavefront6targetE1EEEvSY_.num_vgpr, 0
	.set _ZN7rocprim17ROCPRIM_400000_NS6detail17trampoline_kernelINS0_13select_configILj256ELj13ELNS0_17block_load_methodE3ELS4_3ELS4_3ELNS0_20block_scan_algorithmE0ELj4294967295EEENS1_25partition_config_selectorILNS1_17partition_subalgoE3EjNS0_10empty_typeEbEEZZNS1_14partition_implILS8_3ELb0ES6_jNS0_17counting_iteratorIjlEEPS9_SE_NS0_5tupleIJPjSE_EEENSF_IJSE_SE_EEES9_SG_JZNS1_25segmented_radix_sort_implINS0_14default_configELb0EPKdPdPKlPlN2at6native12_GLOBAL__N_18offset_tEEE10hipError_tPvRmT1_PNSt15iterator_traitsISY_E10value_typeET2_T3_PNSZ_IS14_E10value_typeET4_jRbjT5_S1A_jjP12ihipStream_tbEUljE_EEESV_SW_SX_S14_S18_S1A_T6_T7_T9_mT8_S1C_bDpT10_ENKUlT_T0_E_clISt17integral_constantIbLb1EES1O_IbLb0EEEEDaS1K_S1L_EUlS1K_E_NS1_11comp_targetILNS1_3genE8ELNS1_11target_archE1030ELNS1_3gpuE2ELNS1_3repE0EEENS1_30default_config_static_selectorELNS0_4arch9wavefront6targetE1EEEvSY_.num_agpr, 0
	.set _ZN7rocprim17ROCPRIM_400000_NS6detail17trampoline_kernelINS0_13select_configILj256ELj13ELNS0_17block_load_methodE3ELS4_3ELS4_3ELNS0_20block_scan_algorithmE0ELj4294967295EEENS1_25partition_config_selectorILNS1_17partition_subalgoE3EjNS0_10empty_typeEbEEZZNS1_14partition_implILS8_3ELb0ES6_jNS0_17counting_iteratorIjlEEPS9_SE_NS0_5tupleIJPjSE_EEENSF_IJSE_SE_EEES9_SG_JZNS1_25segmented_radix_sort_implINS0_14default_configELb0EPKdPdPKlPlN2at6native12_GLOBAL__N_18offset_tEEE10hipError_tPvRmT1_PNSt15iterator_traitsISY_E10value_typeET2_T3_PNSZ_IS14_E10value_typeET4_jRbjT5_S1A_jjP12ihipStream_tbEUljE_EEESV_SW_SX_S14_S18_S1A_T6_T7_T9_mT8_S1C_bDpT10_ENKUlT_T0_E_clISt17integral_constantIbLb1EES1O_IbLb0EEEEDaS1K_S1L_EUlS1K_E_NS1_11comp_targetILNS1_3genE8ELNS1_11target_archE1030ELNS1_3gpuE2ELNS1_3repE0EEENS1_30default_config_static_selectorELNS0_4arch9wavefront6targetE1EEEvSY_.numbered_sgpr, 0
	.set _ZN7rocprim17ROCPRIM_400000_NS6detail17trampoline_kernelINS0_13select_configILj256ELj13ELNS0_17block_load_methodE3ELS4_3ELS4_3ELNS0_20block_scan_algorithmE0ELj4294967295EEENS1_25partition_config_selectorILNS1_17partition_subalgoE3EjNS0_10empty_typeEbEEZZNS1_14partition_implILS8_3ELb0ES6_jNS0_17counting_iteratorIjlEEPS9_SE_NS0_5tupleIJPjSE_EEENSF_IJSE_SE_EEES9_SG_JZNS1_25segmented_radix_sort_implINS0_14default_configELb0EPKdPdPKlPlN2at6native12_GLOBAL__N_18offset_tEEE10hipError_tPvRmT1_PNSt15iterator_traitsISY_E10value_typeET2_T3_PNSZ_IS14_E10value_typeET4_jRbjT5_S1A_jjP12ihipStream_tbEUljE_EEESV_SW_SX_S14_S18_S1A_T6_T7_T9_mT8_S1C_bDpT10_ENKUlT_T0_E_clISt17integral_constantIbLb1EES1O_IbLb0EEEEDaS1K_S1L_EUlS1K_E_NS1_11comp_targetILNS1_3genE8ELNS1_11target_archE1030ELNS1_3gpuE2ELNS1_3repE0EEENS1_30default_config_static_selectorELNS0_4arch9wavefront6targetE1EEEvSY_.num_named_barrier, 0
	.set _ZN7rocprim17ROCPRIM_400000_NS6detail17trampoline_kernelINS0_13select_configILj256ELj13ELNS0_17block_load_methodE3ELS4_3ELS4_3ELNS0_20block_scan_algorithmE0ELj4294967295EEENS1_25partition_config_selectorILNS1_17partition_subalgoE3EjNS0_10empty_typeEbEEZZNS1_14partition_implILS8_3ELb0ES6_jNS0_17counting_iteratorIjlEEPS9_SE_NS0_5tupleIJPjSE_EEENSF_IJSE_SE_EEES9_SG_JZNS1_25segmented_radix_sort_implINS0_14default_configELb0EPKdPdPKlPlN2at6native12_GLOBAL__N_18offset_tEEE10hipError_tPvRmT1_PNSt15iterator_traitsISY_E10value_typeET2_T3_PNSZ_IS14_E10value_typeET4_jRbjT5_S1A_jjP12ihipStream_tbEUljE_EEESV_SW_SX_S14_S18_S1A_T6_T7_T9_mT8_S1C_bDpT10_ENKUlT_T0_E_clISt17integral_constantIbLb1EES1O_IbLb0EEEEDaS1K_S1L_EUlS1K_E_NS1_11comp_targetILNS1_3genE8ELNS1_11target_archE1030ELNS1_3gpuE2ELNS1_3repE0EEENS1_30default_config_static_selectorELNS0_4arch9wavefront6targetE1EEEvSY_.private_seg_size, 0
	.set _ZN7rocprim17ROCPRIM_400000_NS6detail17trampoline_kernelINS0_13select_configILj256ELj13ELNS0_17block_load_methodE3ELS4_3ELS4_3ELNS0_20block_scan_algorithmE0ELj4294967295EEENS1_25partition_config_selectorILNS1_17partition_subalgoE3EjNS0_10empty_typeEbEEZZNS1_14partition_implILS8_3ELb0ES6_jNS0_17counting_iteratorIjlEEPS9_SE_NS0_5tupleIJPjSE_EEENSF_IJSE_SE_EEES9_SG_JZNS1_25segmented_radix_sort_implINS0_14default_configELb0EPKdPdPKlPlN2at6native12_GLOBAL__N_18offset_tEEE10hipError_tPvRmT1_PNSt15iterator_traitsISY_E10value_typeET2_T3_PNSZ_IS14_E10value_typeET4_jRbjT5_S1A_jjP12ihipStream_tbEUljE_EEESV_SW_SX_S14_S18_S1A_T6_T7_T9_mT8_S1C_bDpT10_ENKUlT_T0_E_clISt17integral_constantIbLb1EES1O_IbLb0EEEEDaS1K_S1L_EUlS1K_E_NS1_11comp_targetILNS1_3genE8ELNS1_11target_archE1030ELNS1_3gpuE2ELNS1_3repE0EEENS1_30default_config_static_selectorELNS0_4arch9wavefront6targetE1EEEvSY_.uses_vcc, 0
	.set _ZN7rocprim17ROCPRIM_400000_NS6detail17trampoline_kernelINS0_13select_configILj256ELj13ELNS0_17block_load_methodE3ELS4_3ELS4_3ELNS0_20block_scan_algorithmE0ELj4294967295EEENS1_25partition_config_selectorILNS1_17partition_subalgoE3EjNS0_10empty_typeEbEEZZNS1_14partition_implILS8_3ELb0ES6_jNS0_17counting_iteratorIjlEEPS9_SE_NS0_5tupleIJPjSE_EEENSF_IJSE_SE_EEES9_SG_JZNS1_25segmented_radix_sort_implINS0_14default_configELb0EPKdPdPKlPlN2at6native12_GLOBAL__N_18offset_tEEE10hipError_tPvRmT1_PNSt15iterator_traitsISY_E10value_typeET2_T3_PNSZ_IS14_E10value_typeET4_jRbjT5_S1A_jjP12ihipStream_tbEUljE_EEESV_SW_SX_S14_S18_S1A_T6_T7_T9_mT8_S1C_bDpT10_ENKUlT_T0_E_clISt17integral_constantIbLb1EES1O_IbLb0EEEEDaS1K_S1L_EUlS1K_E_NS1_11comp_targetILNS1_3genE8ELNS1_11target_archE1030ELNS1_3gpuE2ELNS1_3repE0EEENS1_30default_config_static_selectorELNS0_4arch9wavefront6targetE1EEEvSY_.uses_flat_scratch, 0
	.set _ZN7rocprim17ROCPRIM_400000_NS6detail17trampoline_kernelINS0_13select_configILj256ELj13ELNS0_17block_load_methodE3ELS4_3ELS4_3ELNS0_20block_scan_algorithmE0ELj4294967295EEENS1_25partition_config_selectorILNS1_17partition_subalgoE3EjNS0_10empty_typeEbEEZZNS1_14partition_implILS8_3ELb0ES6_jNS0_17counting_iteratorIjlEEPS9_SE_NS0_5tupleIJPjSE_EEENSF_IJSE_SE_EEES9_SG_JZNS1_25segmented_radix_sort_implINS0_14default_configELb0EPKdPdPKlPlN2at6native12_GLOBAL__N_18offset_tEEE10hipError_tPvRmT1_PNSt15iterator_traitsISY_E10value_typeET2_T3_PNSZ_IS14_E10value_typeET4_jRbjT5_S1A_jjP12ihipStream_tbEUljE_EEESV_SW_SX_S14_S18_S1A_T6_T7_T9_mT8_S1C_bDpT10_ENKUlT_T0_E_clISt17integral_constantIbLb1EES1O_IbLb0EEEEDaS1K_S1L_EUlS1K_E_NS1_11comp_targetILNS1_3genE8ELNS1_11target_archE1030ELNS1_3gpuE2ELNS1_3repE0EEENS1_30default_config_static_selectorELNS0_4arch9wavefront6targetE1EEEvSY_.has_dyn_sized_stack, 0
	.set _ZN7rocprim17ROCPRIM_400000_NS6detail17trampoline_kernelINS0_13select_configILj256ELj13ELNS0_17block_load_methodE3ELS4_3ELS4_3ELNS0_20block_scan_algorithmE0ELj4294967295EEENS1_25partition_config_selectorILNS1_17partition_subalgoE3EjNS0_10empty_typeEbEEZZNS1_14partition_implILS8_3ELb0ES6_jNS0_17counting_iteratorIjlEEPS9_SE_NS0_5tupleIJPjSE_EEENSF_IJSE_SE_EEES9_SG_JZNS1_25segmented_radix_sort_implINS0_14default_configELb0EPKdPdPKlPlN2at6native12_GLOBAL__N_18offset_tEEE10hipError_tPvRmT1_PNSt15iterator_traitsISY_E10value_typeET2_T3_PNSZ_IS14_E10value_typeET4_jRbjT5_S1A_jjP12ihipStream_tbEUljE_EEESV_SW_SX_S14_S18_S1A_T6_T7_T9_mT8_S1C_bDpT10_ENKUlT_T0_E_clISt17integral_constantIbLb1EES1O_IbLb0EEEEDaS1K_S1L_EUlS1K_E_NS1_11comp_targetILNS1_3genE8ELNS1_11target_archE1030ELNS1_3gpuE2ELNS1_3repE0EEENS1_30default_config_static_selectorELNS0_4arch9wavefront6targetE1EEEvSY_.has_recursion, 0
	.set _ZN7rocprim17ROCPRIM_400000_NS6detail17trampoline_kernelINS0_13select_configILj256ELj13ELNS0_17block_load_methodE3ELS4_3ELS4_3ELNS0_20block_scan_algorithmE0ELj4294967295EEENS1_25partition_config_selectorILNS1_17partition_subalgoE3EjNS0_10empty_typeEbEEZZNS1_14partition_implILS8_3ELb0ES6_jNS0_17counting_iteratorIjlEEPS9_SE_NS0_5tupleIJPjSE_EEENSF_IJSE_SE_EEES9_SG_JZNS1_25segmented_radix_sort_implINS0_14default_configELb0EPKdPdPKlPlN2at6native12_GLOBAL__N_18offset_tEEE10hipError_tPvRmT1_PNSt15iterator_traitsISY_E10value_typeET2_T3_PNSZ_IS14_E10value_typeET4_jRbjT5_S1A_jjP12ihipStream_tbEUljE_EEESV_SW_SX_S14_S18_S1A_T6_T7_T9_mT8_S1C_bDpT10_ENKUlT_T0_E_clISt17integral_constantIbLb1EES1O_IbLb0EEEEDaS1K_S1L_EUlS1K_E_NS1_11comp_targetILNS1_3genE8ELNS1_11target_archE1030ELNS1_3gpuE2ELNS1_3repE0EEENS1_30default_config_static_selectorELNS0_4arch9wavefront6targetE1EEEvSY_.has_indirect_call, 0
	.section	.AMDGPU.csdata,"",@progbits
; Kernel info:
; codeLenInByte = 0
; TotalNumSgprs: 4
; NumVgprs: 0
; ScratchSize: 0
; MemoryBound: 0
; FloatMode: 240
; IeeeMode: 1
; LDSByteSize: 0 bytes/workgroup (compile time only)
; SGPRBlocks: 0
; VGPRBlocks: 0
; NumSGPRsForWavesPerEU: 4
; NumVGPRsForWavesPerEU: 1
; Occupancy: 10
; WaveLimiterHint : 0
; COMPUTE_PGM_RSRC2:SCRATCH_EN: 0
; COMPUTE_PGM_RSRC2:USER_SGPR: 6
; COMPUTE_PGM_RSRC2:TRAP_HANDLER: 0
; COMPUTE_PGM_RSRC2:TGID_X_EN: 1
; COMPUTE_PGM_RSRC2:TGID_Y_EN: 0
; COMPUTE_PGM_RSRC2:TGID_Z_EN: 0
; COMPUTE_PGM_RSRC2:TIDIG_COMP_CNT: 0
	.section	.text._ZN7rocprim17ROCPRIM_400000_NS6detail17trampoline_kernelINS0_13select_configILj256ELj13ELNS0_17block_load_methodE3ELS4_3ELS4_3ELNS0_20block_scan_algorithmE0ELj4294967295EEENS1_25partition_config_selectorILNS1_17partition_subalgoE3EjNS0_10empty_typeEbEEZZNS1_14partition_implILS8_3ELb0ES6_jNS0_17counting_iteratorIjlEEPS9_SE_NS0_5tupleIJPjSE_EEENSF_IJSE_SE_EEES9_SG_JZNS1_25segmented_radix_sort_implINS0_14default_configELb0EPKdPdPKlPlN2at6native12_GLOBAL__N_18offset_tEEE10hipError_tPvRmT1_PNSt15iterator_traitsISY_E10value_typeET2_T3_PNSZ_IS14_E10value_typeET4_jRbjT5_S1A_jjP12ihipStream_tbEUljE_EEESV_SW_SX_S14_S18_S1A_T6_T7_T9_mT8_S1C_bDpT10_ENKUlT_T0_E_clISt17integral_constantIbLb0EES1O_IbLb1EEEEDaS1K_S1L_EUlS1K_E_NS1_11comp_targetILNS1_3genE0ELNS1_11target_archE4294967295ELNS1_3gpuE0ELNS1_3repE0EEENS1_30default_config_static_selectorELNS0_4arch9wavefront6targetE1EEEvSY_,"axG",@progbits,_ZN7rocprim17ROCPRIM_400000_NS6detail17trampoline_kernelINS0_13select_configILj256ELj13ELNS0_17block_load_methodE3ELS4_3ELS4_3ELNS0_20block_scan_algorithmE0ELj4294967295EEENS1_25partition_config_selectorILNS1_17partition_subalgoE3EjNS0_10empty_typeEbEEZZNS1_14partition_implILS8_3ELb0ES6_jNS0_17counting_iteratorIjlEEPS9_SE_NS0_5tupleIJPjSE_EEENSF_IJSE_SE_EEES9_SG_JZNS1_25segmented_radix_sort_implINS0_14default_configELb0EPKdPdPKlPlN2at6native12_GLOBAL__N_18offset_tEEE10hipError_tPvRmT1_PNSt15iterator_traitsISY_E10value_typeET2_T3_PNSZ_IS14_E10value_typeET4_jRbjT5_S1A_jjP12ihipStream_tbEUljE_EEESV_SW_SX_S14_S18_S1A_T6_T7_T9_mT8_S1C_bDpT10_ENKUlT_T0_E_clISt17integral_constantIbLb0EES1O_IbLb1EEEEDaS1K_S1L_EUlS1K_E_NS1_11comp_targetILNS1_3genE0ELNS1_11target_archE4294967295ELNS1_3gpuE0ELNS1_3repE0EEENS1_30default_config_static_selectorELNS0_4arch9wavefront6targetE1EEEvSY_,comdat
	.globl	_ZN7rocprim17ROCPRIM_400000_NS6detail17trampoline_kernelINS0_13select_configILj256ELj13ELNS0_17block_load_methodE3ELS4_3ELS4_3ELNS0_20block_scan_algorithmE0ELj4294967295EEENS1_25partition_config_selectorILNS1_17partition_subalgoE3EjNS0_10empty_typeEbEEZZNS1_14partition_implILS8_3ELb0ES6_jNS0_17counting_iteratorIjlEEPS9_SE_NS0_5tupleIJPjSE_EEENSF_IJSE_SE_EEES9_SG_JZNS1_25segmented_radix_sort_implINS0_14default_configELb0EPKdPdPKlPlN2at6native12_GLOBAL__N_18offset_tEEE10hipError_tPvRmT1_PNSt15iterator_traitsISY_E10value_typeET2_T3_PNSZ_IS14_E10value_typeET4_jRbjT5_S1A_jjP12ihipStream_tbEUljE_EEESV_SW_SX_S14_S18_S1A_T6_T7_T9_mT8_S1C_bDpT10_ENKUlT_T0_E_clISt17integral_constantIbLb0EES1O_IbLb1EEEEDaS1K_S1L_EUlS1K_E_NS1_11comp_targetILNS1_3genE0ELNS1_11target_archE4294967295ELNS1_3gpuE0ELNS1_3repE0EEENS1_30default_config_static_selectorELNS0_4arch9wavefront6targetE1EEEvSY_ ; -- Begin function _ZN7rocprim17ROCPRIM_400000_NS6detail17trampoline_kernelINS0_13select_configILj256ELj13ELNS0_17block_load_methodE3ELS4_3ELS4_3ELNS0_20block_scan_algorithmE0ELj4294967295EEENS1_25partition_config_selectorILNS1_17partition_subalgoE3EjNS0_10empty_typeEbEEZZNS1_14partition_implILS8_3ELb0ES6_jNS0_17counting_iteratorIjlEEPS9_SE_NS0_5tupleIJPjSE_EEENSF_IJSE_SE_EEES9_SG_JZNS1_25segmented_radix_sort_implINS0_14default_configELb0EPKdPdPKlPlN2at6native12_GLOBAL__N_18offset_tEEE10hipError_tPvRmT1_PNSt15iterator_traitsISY_E10value_typeET2_T3_PNSZ_IS14_E10value_typeET4_jRbjT5_S1A_jjP12ihipStream_tbEUljE_EEESV_SW_SX_S14_S18_S1A_T6_T7_T9_mT8_S1C_bDpT10_ENKUlT_T0_E_clISt17integral_constantIbLb0EES1O_IbLb1EEEEDaS1K_S1L_EUlS1K_E_NS1_11comp_targetILNS1_3genE0ELNS1_11target_archE4294967295ELNS1_3gpuE0ELNS1_3repE0EEENS1_30default_config_static_selectorELNS0_4arch9wavefront6targetE1EEEvSY_
	.p2align	8
	.type	_ZN7rocprim17ROCPRIM_400000_NS6detail17trampoline_kernelINS0_13select_configILj256ELj13ELNS0_17block_load_methodE3ELS4_3ELS4_3ELNS0_20block_scan_algorithmE0ELj4294967295EEENS1_25partition_config_selectorILNS1_17partition_subalgoE3EjNS0_10empty_typeEbEEZZNS1_14partition_implILS8_3ELb0ES6_jNS0_17counting_iteratorIjlEEPS9_SE_NS0_5tupleIJPjSE_EEENSF_IJSE_SE_EEES9_SG_JZNS1_25segmented_radix_sort_implINS0_14default_configELb0EPKdPdPKlPlN2at6native12_GLOBAL__N_18offset_tEEE10hipError_tPvRmT1_PNSt15iterator_traitsISY_E10value_typeET2_T3_PNSZ_IS14_E10value_typeET4_jRbjT5_S1A_jjP12ihipStream_tbEUljE_EEESV_SW_SX_S14_S18_S1A_T6_T7_T9_mT8_S1C_bDpT10_ENKUlT_T0_E_clISt17integral_constantIbLb0EES1O_IbLb1EEEEDaS1K_S1L_EUlS1K_E_NS1_11comp_targetILNS1_3genE0ELNS1_11target_archE4294967295ELNS1_3gpuE0ELNS1_3repE0EEENS1_30default_config_static_selectorELNS0_4arch9wavefront6targetE1EEEvSY_,@function
_ZN7rocprim17ROCPRIM_400000_NS6detail17trampoline_kernelINS0_13select_configILj256ELj13ELNS0_17block_load_methodE3ELS4_3ELS4_3ELNS0_20block_scan_algorithmE0ELj4294967295EEENS1_25partition_config_selectorILNS1_17partition_subalgoE3EjNS0_10empty_typeEbEEZZNS1_14partition_implILS8_3ELb0ES6_jNS0_17counting_iteratorIjlEEPS9_SE_NS0_5tupleIJPjSE_EEENSF_IJSE_SE_EEES9_SG_JZNS1_25segmented_radix_sort_implINS0_14default_configELb0EPKdPdPKlPlN2at6native12_GLOBAL__N_18offset_tEEE10hipError_tPvRmT1_PNSt15iterator_traitsISY_E10value_typeET2_T3_PNSZ_IS14_E10value_typeET4_jRbjT5_S1A_jjP12ihipStream_tbEUljE_EEESV_SW_SX_S14_S18_S1A_T6_T7_T9_mT8_S1C_bDpT10_ENKUlT_T0_E_clISt17integral_constantIbLb0EES1O_IbLb1EEEEDaS1K_S1L_EUlS1K_E_NS1_11comp_targetILNS1_3genE0ELNS1_11target_archE4294967295ELNS1_3gpuE0ELNS1_3repE0EEENS1_30default_config_static_selectorELNS0_4arch9wavefront6targetE1EEEvSY_: ; @_ZN7rocprim17ROCPRIM_400000_NS6detail17trampoline_kernelINS0_13select_configILj256ELj13ELNS0_17block_load_methodE3ELS4_3ELS4_3ELNS0_20block_scan_algorithmE0ELj4294967295EEENS1_25partition_config_selectorILNS1_17partition_subalgoE3EjNS0_10empty_typeEbEEZZNS1_14partition_implILS8_3ELb0ES6_jNS0_17counting_iteratorIjlEEPS9_SE_NS0_5tupleIJPjSE_EEENSF_IJSE_SE_EEES9_SG_JZNS1_25segmented_radix_sort_implINS0_14default_configELb0EPKdPdPKlPlN2at6native12_GLOBAL__N_18offset_tEEE10hipError_tPvRmT1_PNSt15iterator_traitsISY_E10value_typeET2_T3_PNSZ_IS14_E10value_typeET4_jRbjT5_S1A_jjP12ihipStream_tbEUljE_EEESV_SW_SX_S14_S18_S1A_T6_T7_T9_mT8_S1C_bDpT10_ENKUlT_T0_E_clISt17integral_constantIbLb0EES1O_IbLb1EEEEDaS1K_S1L_EUlS1K_E_NS1_11comp_targetILNS1_3genE0ELNS1_11target_archE4294967295ELNS1_3gpuE0ELNS1_3repE0EEENS1_30default_config_static_selectorELNS0_4arch9wavefront6targetE1EEEvSY_
; %bb.0:
	.section	.rodata,"a",@progbits
	.p2align	6, 0x0
	.amdhsa_kernel _ZN7rocprim17ROCPRIM_400000_NS6detail17trampoline_kernelINS0_13select_configILj256ELj13ELNS0_17block_load_methodE3ELS4_3ELS4_3ELNS0_20block_scan_algorithmE0ELj4294967295EEENS1_25partition_config_selectorILNS1_17partition_subalgoE3EjNS0_10empty_typeEbEEZZNS1_14partition_implILS8_3ELb0ES6_jNS0_17counting_iteratorIjlEEPS9_SE_NS0_5tupleIJPjSE_EEENSF_IJSE_SE_EEES9_SG_JZNS1_25segmented_radix_sort_implINS0_14default_configELb0EPKdPdPKlPlN2at6native12_GLOBAL__N_18offset_tEEE10hipError_tPvRmT1_PNSt15iterator_traitsISY_E10value_typeET2_T3_PNSZ_IS14_E10value_typeET4_jRbjT5_S1A_jjP12ihipStream_tbEUljE_EEESV_SW_SX_S14_S18_S1A_T6_T7_T9_mT8_S1C_bDpT10_ENKUlT_T0_E_clISt17integral_constantIbLb0EES1O_IbLb1EEEEDaS1K_S1L_EUlS1K_E_NS1_11comp_targetILNS1_3genE0ELNS1_11target_archE4294967295ELNS1_3gpuE0ELNS1_3repE0EEENS1_30default_config_static_selectorELNS0_4arch9wavefront6targetE1EEEvSY_
		.amdhsa_group_segment_fixed_size 0
		.amdhsa_private_segment_fixed_size 0
		.amdhsa_kernarg_size 152
		.amdhsa_user_sgpr_count 6
		.amdhsa_user_sgpr_private_segment_buffer 1
		.amdhsa_user_sgpr_dispatch_ptr 0
		.amdhsa_user_sgpr_queue_ptr 0
		.amdhsa_user_sgpr_kernarg_segment_ptr 1
		.amdhsa_user_sgpr_dispatch_id 0
		.amdhsa_user_sgpr_flat_scratch_init 0
		.amdhsa_user_sgpr_private_segment_size 0
		.amdhsa_uses_dynamic_stack 0
		.amdhsa_system_sgpr_private_segment_wavefront_offset 0
		.amdhsa_system_sgpr_workgroup_id_x 1
		.amdhsa_system_sgpr_workgroup_id_y 0
		.amdhsa_system_sgpr_workgroup_id_z 0
		.amdhsa_system_sgpr_workgroup_info 0
		.amdhsa_system_vgpr_workitem_id 0
		.amdhsa_next_free_vgpr 1
		.amdhsa_next_free_sgpr 0
		.amdhsa_reserve_vcc 0
		.amdhsa_reserve_flat_scratch 0
		.amdhsa_float_round_mode_32 0
		.amdhsa_float_round_mode_16_64 0
		.amdhsa_float_denorm_mode_32 3
		.amdhsa_float_denorm_mode_16_64 3
		.amdhsa_dx10_clamp 1
		.amdhsa_ieee_mode 1
		.amdhsa_fp16_overflow 0
		.amdhsa_exception_fp_ieee_invalid_op 0
		.amdhsa_exception_fp_denorm_src 0
		.amdhsa_exception_fp_ieee_div_zero 0
		.amdhsa_exception_fp_ieee_overflow 0
		.amdhsa_exception_fp_ieee_underflow 0
		.amdhsa_exception_fp_ieee_inexact 0
		.amdhsa_exception_int_div_zero 0
	.end_amdhsa_kernel
	.section	.text._ZN7rocprim17ROCPRIM_400000_NS6detail17trampoline_kernelINS0_13select_configILj256ELj13ELNS0_17block_load_methodE3ELS4_3ELS4_3ELNS0_20block_scan_algorithmE0ELj4294967295EEENS1_25partition_config_selectorILNS1_17partition_subalgoE3EjNS0_10empty_typeEbEEZZNS1_14partition_implILS8_3ELb0ES6_jNS0_17counting_iteratorIjlEEPS9_SE_NS0_5tupleIJPjSE_EEENSF_IJSE_SE_EEES9_SG_JZNS1_25segmented_radix_sort_implINS0_14default_configELb0EPKdPdPKlPlN2at6native12_GLOBAL__N_18offset_tEEE10hipError_tPvRmT1_PNSt15iterator_traitsISY_E10value_typeET2_T3_PNSZ_IS14_E10value_typeET4_jRbjT5_S1A_jjP12ihipStream_tbEUljE_EEESV_SW_SX_S14_S18_S1A_T6_T7_T9_mT8_S1C_bDpT10_ENKUlT_T0_E_clISt17integral_constantIbLb0EES1O_IbLb1EEEEDaS1K_S1L_EUlS1K_E_NS1_11comp_targetILNS1_3genE0ELNS1_11target_archE4294967295ELNS1_3gpuE0ELNS1_3repE0EEENS1_30default_config_static_selectorELNS0_4arch9wavefront6targetE1EEEvSY_,"axG",@progbits,_ZN7rocprim17ROCPRIM_400000_NS6detail17trampoline_kernelINS0_13select_configILj256ELj13ELNS0_17block_load_methodE3ELS4_3ELS4_3ELNS0_20block_scan_algorithmE0ELj4294967295EEENS1_25partition_config_selectorILNS1_17partition_subalgoE3EjNS0_10empty_typeEbEEZZNS1_14partition_implILS8_3ELb0ES6_jNS0_17counting_iteratorIjlEEPS9_SE_NS0_5tupleIJPjSE_EEENSF_IJSE_SE_EEES9_SG_JZNS1_25segmented_radix_sort_implINS0_14default_configELb0EPKdPdPKlPlN2at6native12_GLOBAL__N_18offset_tEEE10hipError_tPvRmT1_PNSt15iterator_traitsISY_E10value_typeET2_T3_PNSZ_IS14_E10value_typeET4_jRbjT5_S1A_jjP12ihipStream_tbEUljE_EEESV_SW_SX_S14_S18_S1A_T6_T7_T9_mT8_S1C_bDpT10_ENKUlT_T0_E_clISt17integral_constantIbLb0EES1O_IbLb1EEEEDaS1K_S1L_EUlS1K_E_NS1_11comp_targetILNS1_3genE0ELNS1_11target_archE4294967295ELNS1_3gpuE0ELNS1_3repE0EEENS1_30default_config_static_selectorELNS0_4arch9wavefront6targetE1EEEvSY_,comdat
.Lfunc_end1213:
	.size	_ZN7rocprim17ROCPRIM_400000_NS6detail17trampoline_kernelINS0_13select_configILj256ELj13ELNS0_17block_load_methodE3ELS4_3ELS4_3ELNS0_20block_scan_algorithmE0ELj4294967295EEENS1_25partition_config_selectorILNS1_17partition_subalgoE3EjNS0_10empty_typeEbEEZZNS1_14partition_implILS8_3ELb0ES6_jNS0_17counting_iteratorIjlEEPS9_SE_NS0_5tupleIJPjSE_EEENSF_IJSE_SE_EEES9_SG_JZNS1_25segmented_radix_sort_implINS0_14default_configELb0EPKdPdPKlPlN2at6native12_GLOBAL__N_18offset_tEEE10hipError_tPvRmT1_PNSt15iterator_traitsISY_E10value_typeET2_T3_PNSZ_IS14_E10value_typeET4_jRbjT5_S1A_jjP12ihipStream_tbEUljE_EEESV_SW_SX_S14_S18_S1A_T6_T7_T9_mT8_S1C_bDpT10_ENKUlT_T0_E_clISt17integral_constantIbLb0EES1O_IbLb1EEEEDaS1K_S1L_EUlS1K_E_NS1_11comp_targetILNS1_3genE0ELNS1_11target_archE4294967295ELNS1_3gpuE0ELNS1_3repE0EEENS1_30default_config_static_selectorELNS0_4arch9wavefront6targetE1EEEvSY_, .Lfunc_end1213-_ZN7rocprim17ROCPRIM_400000_NS6detail17trampoline_kernelINS0_13select_configILj256ELj13ELNS0_17block_load_methodE3ELS4_3ELS4_3ELNS0_20block_scan_algorithmE0ELj4294967295EEENS1_25partition_config_selectorILNS1_17partition_subalgoE3EjNS0_10empty_typeEbEEZZNS1_14partition_implILS8_3ELb0ES6_jNS0_17counting_iteratorIjlEEPS9_SE_NS0_5tupleIJPjSE_EEENSF_IJSE_SE_EEES9_SG_JZNS1_25segmented_radix_sort_implINS0_14default_configELb0EPKdPdPKlPlN2at6native12_GLOBAL__N_18offset_tEEE10hipError_tPvRmT1_PNSt15iterator_traitsISY_E10value_typeET2_T3_PNSZ_IS14_E10value_typeET4_jRbjT5_S1A_jjP12ihipStream_tbEUljE_EEESV_SW_SX_S14_S18_S1A_T6_T7_T9_mT8_S1C_bDpT10_ENKUlT_T0_E_clISt17integral_constantIbLb0EES1O_IbLb1EEEEDaS1K_S1L_EUlS1K_E_NS1_11comp_targetILNS1_3genE0ELNS1_11target_archE4294967295ELNS1_3gpuE0ELNS1_3repE0EEENS1_30default_config_static_selectorELNS0_4arch9wavefront6targetE1EEEvSY_
                                        ; -- End function
	.set _ZN7rocprim17ROCPRIM_400000_NS6detail17trampoline_kernelINS0_13select_configILj256ELj13ELNS0_17block_load_methodE3ELS4_3ELS4_3ELNS0_20block_scan_algorithmE0ELj4294967295EEENS1_25partition_config_selectorILNS1_17partition_subalgoE3EjNS0_10empty_typeEbEEZZNS1_14partition_implILS8_3ELb0ES6_jNS0_17counting_iteratorIjlEEPS9_SE_NS0_5tupleIJPjSE_EEENSF_IJSE_SE_EEES9_SG_JZNS1_25segmented_radix_sort_implINS0_14default_configELb0EPKdPdPKlPlN2at6native12_GLOBAL__N_18offset_tEEE10hipError_tPvRmT1_PNSt15iterator_traitsISY_E10value_typeET2_T3_PNSZ_IS14_E10value_typeET4_jRbjT5_S1A_jjP12ihipStream_tbEUljE_EEESV_SW_SX_S14_S18_S1A_T6_T7_T9_mT8_S1C_bDpT10_ENKUlT_T0_E_clISt17integral_constantIbLb0EES1O_IbLb1EEEEDaS1K_S1L_EUlS1K_E_NS1_11comp_targetILNS1_3genE0ELNS1_11target_archE4294967295ELNS1_3gpuE0ELNS1_3repE0EEENS1_30default_config_static_selectorELNS0_4arch9wavefront6targetE1EEEvSY_.num_vgpr, 0
	.set _ZN7rocprim17ROCPRIM_400000_NS6detail17trampoline_kernelINS0_13select_configILj256ELj13ELNS0_17block_load_methodE3ELS4_3ELS4_3ELNS0_20block_scan_algorithmE0ELj4294967295EEENS1_25partition_config_selectorILNS1_17partition_subalgoE3EjNS0_10empty_typeEbEEZZNS1_14partition_implILS8_3ELb0ES6_jNS0_17counting_iteratorIjlEEPS9_SE_NS0_5tupleIJPjSE_EEENSF_IJSE_SE_EEES9_SG_JZNS1_25segmented_radix_sort_implINS0_14default_configELb0EPKdPdPKlPlN2at6native12_GLOBAL__N_18offset_tEEE10hipError_tPvRmT1_PNSt15iterator_traitsISY_E10value_typeET2_T3_PNSZ_IS14_E10value_typeET4_jRbjT5_S1A_jjP12ihipStream_tbEUljE_EEESV_SW_SX_S14_S18_S1A_T6_T7_T9_mT8_S1C_bDpT10_ENKUlT_T0_E_clISt17integral_constantIbLb0EES1O_IbLb1EEEEDaS1K_S1L_EUlS1K_E_NS1_11comp_targetILNS1_3genE0ELNS1_11target_archE4294967295ELNS1_3gpuE0ELNS1_3repE0EEENS1_30default_config_static_selectorELNS0_4arch9wavefront6targetE1EEEvSY_.num_agpr, 0
	.set _ZN7rocprim17ROCPRIM_400000_NS6detail17trampoline_kernelINS0_13select_configILj256ELj13ELNS0_17block_load_methodE3ELS4_3ELS4_3ELNS0_20block_scan_algorithmE0ELj4294967295EEENS1_25partition_config_selectorILNS1_17partition_subalgoE3EjNS0_10empty_typeEbEEZZNS1_14partition_implILS8_3ELb0ES6_jNS0_17counting_iteratorIjlEEPS9_SE_NS0_5tupleIJPjSE_EEENSF_IJSE_SE_EEES9_SG_JZNS1_25segmented_radix_sort_implINS0_14default_configELb0EPKdPdPKlPlN2at6native12_GLOBAL__N_18offset_tEEE10hipError_tPvRmT1_PNSt15iterator_traitsISY_E10value_typeET2_T3_PNSZ_IS14_E10value_typeET4_jRbjT5_S1A_jjP12ihipStream_tbEUljE_EEESV_SW_SX_S14_S18_S1A_T6_T7_T9_mT8_S1C_bDpT10_ENKUlT_T0_E_clISt17integral_constantIbLb0EES1O_IbLb1EEEEDaS1K_S1L_EUlS1K_E_NS1_11comp_targetILNS1_3genE0ELNS1_11target_archE4294967295ELNS1_3gpuE0ELNS1_3repE0EEENS1_30default_config_static_selectorELNS0_4arch9wavefront6targetE1EEEvSY_.numbered_sgpr, 0
	.set _ZN7rocprim17ROCPRIM_400000_NS6detail17trampoline_kernelINS0_13select_configILj256ELj13ELNS0_17block_load_methodE3ELS4_3ELS4_3ELNS0_20block_scan_algorithmE0ELj4294967295EEENS1_25partition_config_selectorILNS1_17partition_subalgoE3EjNS0_10empty_typeEbEEZZNS1_14partition_implILS8_3ELb0ES6_jNS0_17counting_iteratorIjlEEPS9_SE_NS0_5tupleIJPjSE_EEENSF_IJSE_SE_EEES9_SG_JZNS1_25segmented_radix_sort_implINS0_14default_configELb0EPKdPdPKlPlN2at6native12_GLOBAL__N_18offset_tEEE10hipError_tPvRmT1_PNSt15iterator_traitsISY_E10value_typeET2_T3_PNSZ_IS14_E10value_typeET4_jRbjT5_S1A_jjP12ihipStream_tbEUljE_EEESV_SW_SX_S14_S18_S1A_T6_T7_T9_mT8_S1C_bDpT10_ENKUlT_T0_E_clISt17integral_constantIbLb0EES1O_IbLb1EEEEDaS1K_S1L_EUlS1K_E_NS1_11comp_targetILNS1_3genE0ELNS1_11target_archE4294967295ELNS1_3gpuE0ELNS1_3repE0EEENS1_30default_config_static_selectorELNS0_4arch9wavefront6targetE1EEEvSY_.num_named_barrier, 0
	.set _ZN7rocprim17ROCPRIM_400000_NS6detail17trampoline_kernelINS0_13select_configILj256ELj13ELNS0_17block_load_methodE3ELS4_3ELS4_3ELNS0_20block_scan_algorithmE0ELj4294967295EEENS1_25partition_config_selectorILNS1_17partition_subalgoE3EjNS0_10empty_typeEbEEZZNS1_14partition_implILS8_3ELb0ES6_jNS0_17counting_iteratorIjlEEPS9_SE_NS0_5tupleIJPjSE_EEENSF_IJSE_SE_EEES9_SG_JZNS1_25segmented_radix_sort_implINS0_14default_configELb0EPKdPdPKlPlN2at6native12_GLOBAL__N_18offset_tEEE10hipError_tPvRmT1_PNSt15iterator_traitsISY_E10value_typeET2_T3_PNSZ_IS14_E10value_typeET4_jRbjT5_S1A_jjP12ihipStream_tbEUljE_EEESV_SW_SX_S14_S18_S1A_T6_T7_T9_mT8_S1C_bDpT10_ENKUlT_T0_E_clISt17integral_constantIbLb0EES1O_IbLb1EEEEDaS1K_S1L_EUlS1K_E_NS1_11comp_targetILNS1_3genE0ELNS1_11target_archE4294967295ELNS1_3gpuE0ELNS1_3repE0EEENS1_30default_config_static_selectorELNS0_4arch9wavefront6targetE1EEEvSY_.private_seg_size, 0
	.set _ZN7rocprim17ROCPRIM_400000_NS6detail17trampoline_kernelINS0_13select_configILj256ELj13ELNS0_17block_load_methodE3ELS4_3ELS4_3ELNS0_20block_scan_algorithmE0ELj4294967295EEENS1_25partition_config_selectorILNS1_17partition_subalgoE3EjNS0_10empty_typeEbEEZZNS1_14partition_implILS8_3ELb0ES6_jNS0_17counting_iteratorIjlEEPS9_SE_NS0_5tupleIJPjSE_EEENSF_IJSE_SE_EEES9_SG_JZNS1_25segmented_radix_sort_implINS0_14default_configELb0EPKdPdPKlPlN2at6native12_GLOBAL__N_18offset_tEEE10hipError_tPvRmT1_PNSt15iterator_traitsISY_E10value_typeET2_T3_PNSZ_IS14_E10value_typeET4_jRbjT5_S1A_jjP12ihipStream_tbEUljE_EEESV_SW_SX_S14_S18_S1A_T6_T7_T9_mT8_S1C_bDpT10_ENKUlT_T0_E_clISt17integral_constantIbLb0EES1O_IbLb1EEEEDaS1K_S1L_EUlS1K_E_NS1_11comp_targetILNS1_3genE0ELNS1_11target_archE4294967295ELNS1_3gpuE0ELNS1_3repE0EEENS1_30default_config_static_selectorELNS0_4arch9wavefront6targetE1EEEvSY_.uses_vcc, 0
	.set _ZN7rocprim17ROCPRIM_400000_NS6detail17trampoline_kernelINS0_13select_configILj256ELj13ELNS0_17block_load_methodE3ELS4_3ELS4_3ELNS0_20block_scan_algorithmE0ELj4294967295EEENS1_25partition_config_selectorILNS1_17partition_subalgoE3EjNS0_10empty_typeEbEEZZNS1_14partition_implILS8_3ELb0ES6_jNS0_17counting_iteratorIjlEEPS9_SE_NS0_5tupleIJPjSE_EEENSF_IJSE_SE_EEES9_SG_JZNS1_25segmented_radix_sort_implINS0_14default_configELb0EPKdPdPKlPlN2at6native12_GLOBAL__N_18offset_tEEE10hipError_tPvRmT1_PNSt15iterator_traitsISY_E10value_typeET2_T3_PNSZ_IS14_E10value_typeET4_jRbjT5_S1A_jjP12ihipStream_tbEUljE_EEESV_SW_SX_S14_S18_S1A_T6_T7_T9_mT8_S1C_bDpT10_ENKUlT_T0_E_clISt17integral_constantIbLb0EES1O_IbLb1EEEEDaS1K_S1L_EUlS1K_E_NS1_11comp_targetILNS1_3genE0ELNS1_11target_archE4294967295ELNS1_3gpuE0ELNS1_3repE0EEENS1_30default_config_static_selectorELNS0_4arch9wavefront6targetE1EEEvSY_.uses_flat_scratch, 0
	.set _ZN7rocprim17ROCPRIM_400000_NS6detail17trampoline_kernelINS0_13select_configILj256ELj13ELNS0_17block_load_methodE3ELS4_3ELS4_3ELNS0_20block_scan_algorithmE0ELj4294967295EEENS1_25partition_config_selectorILNS1_17partition_subalgoE3EjNS0_10empty_typeEbEEZZNS1_14partition_implILS8_3ELb0ES6_jNS0_17counting_iteratorIjlEEPS9_SE_NS0_5tupleIJPjSE_EEENSF_IJSE_SE_EEES9_SG_JZNS1_25segmented_radix_sort_implINS0_14default_configELb0EPKdPdPKlPlN2at6native12_GLOBAL__N_18offset_tEEE10hipError_tPvRmT1_PNSt15iterator_traitsISY_E10value_typeET2_T3_PNSZ_IS14_E10value_typeET4_jRbjT5_S1A_jjP12ihipStream_tbEUljE_EEESV_SW_SX_S14_S18_S1A_T6_T7_T9_mT8_S1C_bDpT10_ENKUlT_T0_E_clISt17integral_constantIbLb0EES1O_IbLb1EEEEDaS1K_S1L_EUlS1K_E_NS1_11comp_targetILNS1_3genE0ELNS1_11target_archE4294967295ELNS1_3gpuE0ELNS1_3repE0EEENS1_30default_config_static_selectorELNS0_4arch9wavefront6targetE1EEEvSY_.has_dyn_sized_stack, 0
	.set _ZN7rocprim17ROCPRIM_400000_NS6detail17trampoline_kernelINS0_13select_configILj256ELj13ELNS0_17block_load_methodE3ELS4_3ELS4_3ELNS0_20block_scan_algorithmE0ELj4294967295EEENS1_25partition_config_selectorILNS1_17partition_subalgoE3EjNS0_10empty_typeEbEEZZNS1_14partition_implILS8_3ELb0ES6_jNS0_17counting_iteratorIjlEEPS9_SE_NS0_5tupleIJPjSE_EEENSF_IJSE_SE_EEES9_SG_JZNS1_25segmented_radix_sort_implINS0_14default_configELb0EPKdPdPKlPlN2at6native12_GLOBAL__N_18offset_tEEE10hipError_tPvRmT1_PNSt15iterator_traitsISY_E10value_typeET2_T3_PNSZ_IS14_E10value_typeET4_jRbjT5_S1A_jjP12ihipStream_tbEUljE_EEESV_SW_SX_S14_S18_S1A_T6_T7_T9_mT8_S1C_bDpT10_ENKUlT_T0_E_clISt17integral_constantIbLb0EES1O_IbLb1EEEEDaS1K_S1L_EUlS1K_E_NS1_11comp_targetILNS1_3genE0ELNS1_11target_archE4294967295ELNS1_3gpuE0ELNS1_3repE0EEENS1_30default_config_static_selectorELNS0_4arch9wavefront6targetE1EEEvSY_.has_recursion, 0
	.set _ZN7rocprim17ROCPRIM_400000_NS6detail17trampoline_kernelINS0_13select_configILj256ELj13ELNS0_17block_load_methodE3ELS4_3ELS4_3ELNS0_20block_scan_algorithmE0ELj4294967295EEENS1_25partition_config_selectorILNS1_17partition_subalgoE3EjNS0_10empty_typeEbEEZZNS1_14partition_implILS8_3ELb0ES6_jNS0_17counting_iteratorIjlEEPS9_SE_NS0_5tupleIJPjSE_EEENSF_IJSE_SE_EEES9_SG_JZNS1_25segmented_radix_sort_implINS0_14default_configELb0EPKdPdPKlPlN2at6native12_GLOBAL__N_18offset_tEEE10hipError_tPvRmT1_PNSt15iterator_traitsISY_E10value_typeET2_T3_PNSZ_IS14_E10value_typeET4_jRbjT5_S1A_jjP12ihipStream_tbEUljE_EEESV_SW_SX_S14_S18_S1A_T6_T7_T9_mT8_S1C_bDpT10_ENKUlT_T0_E_clISt17integral_constantIbLb0EES1O_IbLb1EEEEDaS1K_S1L_EUlS1K_E_NS1_11comp_targetILNS1_3genE0ELNS1_11target_archE4294967295ELNS1_3gpuE0ELNS1_3repE0EEENS1_30default_config_static_selectorELNS0_4arch9wavefront6targetE1EEEvSY_.has_indirect_call, 0
	.section	.AMDGPU.csdata,"",@progbits
; Kernel info:
; codeLenInByte = 0
; TotalNumSgprs: 4
; NumVgprs: 0
; ScratchSize: 0
; MemoryBound: 0
; FloatMode: 240
; IeeeMode: 1
; LDSByteSize: 0 bytes/workgroup (compile time only)
; SGPRBlocks: 0
; VGPRBlocks: 0
; NumSGPRsForWavesPerEU: 4
; NumVGPRsForWavesPerEU: 1
; Occupancy: 10
; WaveLimiterHint : 0
; COMPUTE_PGM_RSRC2:SCRATCH_EN: 0
; COMPUTE_PGM_RSRC2:USER_SGPR: 6
; COMPUTE_PGM_RSRC2:TRAP_HANDLER: 0
; COMPUTE_PGM_RSRC2:TGID_X_EN: 1
; COMPUTE_PGM_RSRC2:TGID_Y_EN: 0
; COMPUTE_PGM_RSRC2:TGID_Z_EN: 0
; COMPUTE_PGM_RSRC2:TIDIG_COMP_CNT: 0
	.section	.text._ZN7rocprim17ROCPRIM_400000_NS6detail17trampoline_kernelINS0_13select_configILj256ELj13ELNS0_17block_load_methodE3ELS4_3ELS4_3ELNS0_20block_scan_algorithmE0ELj4294967295EEENS1_25partition_config_selectorILNS1_17partition_subalgoE3EjNS0_10empty_typeEbEEZZNS1_14partition_implILS8_3ELb0ES6_jNS0_17counting_iteratorIjlEEPS9_SE_NS0_5tupleIJPjSE_EEENSF_IJSE_SE_EEES9_SG_JZNS1_25segmented_radix_sort_implINS0_14default_configELb0EPKdPdPKlPlN2at6native12_GLOBAL__N_18offset_tEEE10hipError_tPvRmT1_PNSt15iterator_traitsISY_E10value_typeET2_T3_PNSZ_IS14_E10value_typeET4_jRbjT5_S1A_jjP12ihipStream_tbEUljE_EEESV_SW_SX_S14_S18_S1A_T6_T7_T9_mT8_S1C_bDpT10_ENKUlT_T0_E_clISt17integral_constantIbLb0EES1O_IbLb1EEEEDaS1K_S1L_EUlS1K_E_NS1_11comp_targetILNS1_3genE5ELNS1_11target_archE942ELNS1_3gpuE9ELNS1_3repE0EEENS1_30default_config_static_selectorELNS0_4arch9wavefront6targetE1EEEvSY_,"axG",@progbits,_ZN7rocprim17ROCPRIM_400000_NS6detail17trampoline_kernelINS0_13select_configILj256ELj13ELNS0_17block_load_methodE3ELS4_3ELS4_3ELNS0_20block_scan_algorithmE0ELj4294967295EEENS1_25partition_config_selectorILNS1_17partition_subalgoE3EjNS0_10empty_typeEbEEZZNS1_14partition_implILS8_3ELb0ES6_jNS0_17counting_iteratorIjlEEPS9_SE_NS0_5tupleIJPjSE_EEENSF_IJSE_SE_EEES9_SG_JZNS1_25segmented_radix_sort_implINS0_14default_configELb0EPKdPdPKlPlN2at6native12_GLOBAL__N_18offset_tEEE10hipError_tPvRmT1_PNSt15iterator_traitsISY_E10value_typeET2_T3_PNSZ_IS14_E10value_typeET4_jRbjT5_S1A_jjP12ihipStream_tbEUljE_EEESV_SW_SX_S14_S18_S1A_T6_T7_T9_mT8_S1C_bDpT10_ENKUlT_T0_E_clISt17integral_constantIbLb0EES1O_IbLb1EEEEDaS1K_S1L_EUlS1K_E_NS1_11comp_targetILNS1_3genE5ELNS1_11target_archE942ELNS1_3gpuE9ELNS1_3repE0EEENS1_30default_config_static_selectorELNS0_4arch9wavefront6targetE1EEEvSY_,comdat
	.globl	_ZN7rocprim17ROCPRIM_400000_NS6detail17trampoline_kernelINS0_13select_configILj256ELj13ELNS0_17block_load_methodE3ELS4_3ELS4_3ELNS0_20block_scan_algorithmE0ELj4294967295EEENS1_25partition_config_selectorILNS1_17partition_subalgoE3EjNS0_10empty_typeEbEEZZNS1_14partition_implILS8_3ELb0ES6_jNS0_17counting_iteratorIjlEEPS9_SE_NS0_5tupleIJPjSE_EEENSF_IJSE_SE_EEES9_SG_JZNS1_25segmented_radix_sort_implINS0_14default_configELb0EPKdPdPKlPlN2at6native12_GLOBAL__N_18offset_tEEE10hipError_tPvRmT1_PNSt15iterator_traitsISY_E10value_typeET2_T3_PNSZ_IS14_E10value_typeET4_jRbjT5_S1A_jjP12ihipStream_tbEUljE_EEESV_SW_SX_S14_S18_S1A_T6_T7_T9_mT8_S1C_bDpT10_ENKUlT_T0_E_clISt17integral_constantIbLb0EES1O_IbLb1EEEEDaS1K_S1L_EUlS1K_E_NS1_11comp_targetILNS1_3genE5ELNS1_11target_archE942ELNS1_3gpuE9ELNS1_3repE0EEENS1_30default_config_static_selectorELNS0_4arch9wavefront6targetE1EEEvSY_ ; -- Begin function _ZN7rocprim17ROCPRIM_400000_NS6detail17trampoline_kernelINS0_13select_configILj256ELj13ELNS0_17block_load_methodE3ELS4_3ELS4_3ELNS0_20block_scan_algorithmE0ELj4294967295EEENS1_25partition_config_selectorILNS1_17partition_subalgoE3EjNS0_10empty_typeEbEEZZNS1_14partition_implILS8_3ELb0ES6_jNS0_17counting_iteratorIjlEEPS9_SE_NS0_5tupleIJPjSE_EEENSF_IJSE_SE_EEES9_SG_JZNS1_25segmented_radix_sort_implINS0_14default_configELb0EPKdPdPKlPlN2at6native12_GLOBAL__N_18offset_tEEE10hipError_tPvRmT1_PNSt15iterator_traitsISY_E10value_typeET2_T3_PNSZ_IS14_E10value_typeET4_jRbjT5_S1A_jjP12ihipStream_tbEUljE_EEESV_SW_SX_S14_S18_S1A_T6_T7_T9_mT8_S1C_bDpT10_ENKUlT_T0_E_clISt17integral_constantIbLb0EES1O_IbLb1EEEEDaS1K_S1L_EUlS1K_E_NS1_11comp_targetILNS1_3genE5ELNS1_11target_archE942ELNS1_3gpuE9ELNS1_3repE0EEENS1_30default_config_static_selectorELNS0_4arch9wavefront6targetE1EEEvSY_
	.p2align	8
	.type	_ZN7rocprim17ROCPRIM_400000_NS6detail17trampoline_kernelINS0_13select_configILj256ELj13ELNS0_17block_load_methodE3ELS4_3ELS4_3ELNS0_20block_scan_algorithmE0ELj4294967295EEENS1_25partition_config_selectorILNS1_17partition_subalgoE3EjNS0_10empty_typeEbEEZZNS1_14partition_implILS8_3ELb0ES6_jNS0_17counting_iteratorIjlEEPS9_SE_NS0_5tupleIJPjSE_EEENSF_IJSE_SE_EEES9_SG_JZNS1_25segmented_radix_sort_implINS0_14default_configELb0EPKdPdPKlPlN2at6native12_GLOBAL__N_18offset_tEEE10hipError_tPvRmT1_PNSt15iterator_traitsISY_E10value_typeET2_T3_PNSZ_IS14_E10value_typeET4_jRbjT5_S1A_jjP12ihipStream_tbEUljE_EEESV_SW_SX_S14_S18_S1A_T6_T7_T9_mT8_S1C_bDpT10_ENKUlT_T0_E_clISt17integral_constantIbLb0EES1O_IbLb1EEEEDaS1K_S1L_EUlS1K_E_NS1_11comp_targetILNS1_3genE5ELNS1_11target_archE942ELNS1_3gpuE9ELNS1_3repE0EEENS1_30default_config_static_selectorELNS0_4arch9wavefront6targetE1EEEvSY_,@function
_ZN7rocprim17ROCPRIM_400000_NS6detail17trampoline_kernelINS0_13select_configILj256ELj13ELNS0_17block_load_methodE3ELS4_3ELS4_3ELNS0_20block_scan_algorithmE0ELj4294967295EEENS1_25partition_config_selectorILNS1_17partition_subalgoE3EjNS0_10empty_typeEbEEZZNS1_14partition_implILS8_3ELb0ES6_jNS0_17counting_iteratorIjlEEPS9_SE_NS0_5tupleIJPjSE_EEENSF_IJSE_SE_EEES9_SG_JZNS1_25segmented_radix_sort_implINS0_14default_configELb0EPKdPdPKlPlN2at6native12_GLOBAL__N_18offset_tEEE10hipError_tPvRmT1_PNSt15iterator_traitsISY_E10value_typeET2_T3_PNSZ_IS14_E10value_typeET4_jRbjT5_S1A_jjP12ihipStream_tbEUljE_EEESV_SW_SX_S14_S18_S1A_T6_T7_T9_mT8_S1C_bDpT10_ENKUlT_T0_E_clISt17integral_constantIbLb0EES1O_IbLb1EEEEDaS1K_S1L_EUlS1K_E_NS1_11comp_targetILNS1_3genE5ELNS1_11target_archE942ELNS1_3gpuE9ELNS1_3repE0EEENS1_30default_config_static_selectorELNS0_4arch9wavefront6targetE1EEEvSY_: ; @_ZN7rocprim17ROCPRIM_400000_NS6detail17trampoline_kernelINS0_13select_configILj256ELj13ELNS0_17block_load_methodE3ELS4_3ELS4_3ELNS0_20block_scan_algorithmE0ELj4294967295EEENS1_25partition_config_selectorILNS1_17partition_subalgoE3EjNS0_10empty_typeEbEEZZNS1_14partition_implILS8_3ELb0ES6_jNS0_17counting_iteratorIjlEEPS9_SE_NS0_5tupleIJPjSE_EEENSF_IJSE_SE_EEES9_SG_JZNS1_25segmented_radix_sort_implINS0_14default_configELb0EPKdPdPKlPlN2at6native12_GLOBAL__N_18offset_tEEE10hipError_tPvRmT1_PNSt15iterator_traitsISY_E10value_typeET2_T3_PNSZ_IS14_E10value_typeET4_jRbjT5_S1A_jjP12ihipStream_tbEUljE_EEESV_SW_SX_S14_S18_S1A_T6_T7_T9_mT8_S1C_bDpT10_ENKUlT_T0_E_clISt17integral_constantIbLb0EES1O_IbLb1EEEEDaS1K_S1L_EUlS1K_E_NS1_11comp_targetILNS1_3genE5ELNS1_11target_archE942ELNS1_3gpuE9ELNS1_3repE0EEENS1_30default_config_static_selectorELNS0_4arch9wavefront6targetE1EEEvSY_
; %bb.0:
	.section	.rodata,"a",@progbits
	.p2align	6, 0x0
	.amdhsa_kernel _ZN7rocprim17ROCPRIM_400000_NS6detail17trampoline_kernelINS0_13select_configILj256ELj13ELNS0_17block_load_methodE3ELS4_3ELS4_3ELNS0_20block_scan_algorithmE0ELj4294967295EEENS1_25partition_config_selectorILNS1_17partition_subalgoE3EjNS0_10empty_typeEbEEZZNS1_14partition_implILS8_3ELb0ES6_jNS0_17counting_iteratorIjlEEPS9_SE_NS0_5tupleIJPjSE_EEENSF_IJSE_SE_EEES9_SG_JZNS1_25segmented_radix_sort_implINS0_14default_configELb0EPKdPdPKlPlN2at6native12_GLOBAL__N_18offset_tEEE10hipError_tPvRmT1_PNSt15iterator_traitsISY_E10value_typeET2_T3_PNSZ_IS14_E10value_typeET4_jRbjT5_S1A_jjP12ihipStream_tbEUljE_EEESV_SW_SX_S14_S18_S1A_T6_T7_T9_mT8_S1C_bDpT10_ENKUlT_T0_E_clISt17integral_constantIbLb0EES1O_IbLb1EEEEDaS1K_S1L_EUlS1K_E_NS1_11comp_targetILNS1_3genE5ELNS1_11target_archE942ELNS1_3gpuE9ELNS1_3repE0EEENS1_30default_config_static_selectorELNS0_4arch9wavefront6targetE1EEEvSY_
		.amdhsa_group_segment_fixed_size 0
		.amdhsa_private_segment_fixed_size 0
		.amdhsa_kernarg_size 152
		.amdhsa_user_sgpr_count 6
		.amdhsa_user_sgpr_private_segment_buffer 1
		.amdhsa_user_sgpr_dispatch_ptr 0
		.amdhsa_user_sgpr_queue_ptr 0
		.amdhsa_user_sgpr_kernarg_segment_ptr 1
		.amdhsa_user_sgpr_dispatch_id 0
		.amdhsa_user_sgpr_flat_scratch_init 0
		.amdhsa_user_sgpr_private_segment_size 0
		.amdhsa_uses_dynamic_stack 0
		.amdhsa_system_sgpr_private_segment_wavefront_offset 0
		.amdhsa_system_sgpr_workgroup_id_x 1
		.amdhsa_system_sgpr_workgroup_id_y 0
		.amdhsa_system_sgpr_workgroup_id_z 0
		.amdhsa_system_sgpr_workgroup_info 0
		.amdhsa_system_vgpr_workitem_id 0
		.amdhsa_next_free_vgpr 1
		.amdhsa_next_free_sgpr 0
		.amdhsa_reserve_vcc 0
		.amdhsa_reserve_flat_scratch 0
		.amdhsa_float_round_mode_32 0
		.amdhsa_float_round_mode_16_64 0
		.amdhsa_float_denorm_mode_32 3
		.amdhsa_float_denorm_mode_16_64 3
		.amdhsa_dx10_clamp 1
		.amdhsa_ieee_mode 1
		.amdhsa_fp16_overflow 0
		.amdhsa_exception_fp_ieee_invalid_op 0
		.amdhsa_exception_fp_denorm_src 0
		.amdhsa_exception_fp_ieee_div_zero 0
		.amdhsa_exception_fp_ieee_overflow 0
		.amdhsa_exception_fp_ieee_underflow 0
		.amdhsa_exception_fp_ieee_inexact 0
		.amdhsa_exception_int_div_zero 0
	.end_amdhsa_kernel
	.section	.text._ZN7rocprim17ROCPRIM_400000_NS6detail17trampoline_kernelINS0_13select_configILj256ELj13ELNS0_17block_load_methodE3ELS4_3ELS4_3ELNS0_20block_scan_algorithmE0ELj4294967295EEENS1_25partition_config_selectorILNS1_17partition_subalgoE3EjNS0_10empty_typeEbEEZZNS1_14partition_implILS8_3ELb0ES6_jNS0_17counting_iteratorIjlEEPS9_SE_NS0_5tupleIJPjSE_EEENSF_IJSE_SE_EEES9_SG_JZNS1_25segmented_radix_sort_implINS0_14default_configELb0EPKdPdPKlPlN2at6native12_GLOBAL__N_18offset_tEEE10hipError_tPvRmT1_PNSt15iterator_traitsISY_E10value_typeET2_T3_PNSZ_IS14_E10value_typeET4_jRbjT5_S1A_jjP12ihipStream_tbEUljE_EEESV_SW_SX_S14_S18_S1A_T6_T7_T9_mT8_S1C_bDpT10_ENKUlT_T0_E_clISt17integral_constantIbLb0EES1O_IbLb1EEEEDaS1K_S1L_EUlS1K_E_NS1_11comp_targetILNS1_3genE5ELNS1_11target_archE942ELNS1_3gpuE9ELNS1_3repE0EEENS1_30default_config_static_selectorELNS0_4arch9wavefront6targetE1EEEvSY_,"axG",@progbits,_ZN7rocprim17ROCPRIM_400000_NS6detail17trampoline_kernelINS0_13select_configILj256ELj13ELNS0_17block_load_methodE3ELS4_3ELS4_3ELNS0_20block_scan_algorithmE0ELj4294967295EEENS1_25partition_config_selectorILNS1_17partition_subalgoE3EjNS0_10empty_typeEbEEZZNS1_14partition_implILS8_3ELb0ES6_jNS0_17counting_iteratorIjlEEPS9_SE_NS0_5tupleIJPjSE_EEENSF_IJSE_SE_EEES9_SG_JZNS1_25segmented_radix_sort_implINS0_14default_configELb0EPKdPdPKlPlN2at6native12_GLOBAL__N_18offset_tEEE10hipError_tPvRmT1_PNSt15iterator_traitsISY_E10value_typeET2_T3_PNSZ_IS14_E10value_typeET4_jRbjT5_S1A_jjP12ihipStream_tbEUljE_EEESV_SW_SX_S14_S18_S1A_T6_T7_T9_mT8_S1C_bDpT10_ENKUlT_T0_E_clISt17integral_constantIbLb0EES1O_IbLb1EEEEDaS1K_S1L_EUlS1K_E_NS1_11comp_targetILNS1_3genE5ELNS1_11target_archE942ELNS1_3gpuE9ELNS1_3repE0EEENS1_30default_config_static_selectorELNS0_4arch9wavefront6targetE1EEEvSY_,comdat
.Lfunc_end1214:
	.size	_ZN7rocprim17ROCPRIM_400000_NS6detail17trampoline_kernelINS0_13select_configILj256ELj13ELNS0_17block_load_methodE3ELS4_3ELS4_3ELNS0_20block_scan_algorithmE0ELj4294967295EEENS1_25partition_config_selectorILNS1_17partition_subalgoE3EjNS0_10empty_typeEbEEZZNS1_14partition_implILS8_3ELb0ES6_jNS0_17counting_iteratorIjlEEPS9_SE_NS0_5tupleIJPjSE_EEENSF_IJSE_SE_EEES9_SG_JZNS1_25segmented_radix_sort_implINS0_14default_configELb0EPKdPdPKlPlN2at6native12_GLOBAL__N_18offset_tEEE10hipError_tPvRmT1_PNSt15iterator_traitsISY_E10value_typeET2_T3_PNSZ_IS14_E10value_typeET4_jRbjT5_S1A_jjP12ihipStream_tbEUljE_EEESV_SW_SX_S14_S18_S1A_T6_T7_T9_mT8_S1C_bDpT10_ENKUlT_T0_E_clISt17integral_constantIbLb0EES1O_IbLb1EEEEDaS1K_S1L_EUlS1K_E_NS1_11comp_targetILNS1_3genE5ELNS1_11target_archE942ELNS1_3gpuE9ELNS1_3repE0EEENS1_30default_config_static_selectorELNS0_4arch9wavefront6targetE1EEEvSY_, .Lfunc_end1214-_ZN7rocprim17ROCPRIM_400000_NS6detail17trampoline_kernelINS0_13select_configILj256ELj13ELNS0_17block_load_methodE3ELS4_3ELS4_3ELNS0_20block_scan_algorithmE0ELj4294967295EEENS1_25partition_config_selectorILNS1_17partition_subalgoE3EjNS0_10empty_typeEbEEZZNS1_14partition_implILS8_3ELb0ES6_jNS0_17counting_iteratorIjlEEPS9_SE_NS0_5tupleIJPjSE_EEENSF_IJSE_SE_EEES9_SG_JZNS1_25segmented_radix_sort_implINS0_14default_configELb0EPKdPdPKlPlN2at6native12_GLOBAL__N_18offset_tEEE10hipError_tPvRmT1_PNSt15iterator_traitsISY_E10value_typeET2_T3_PNSZ_IS14_E10value_typeET4_jRbjT5_S1A_jjP12ihipStream_tbEUljE_EEESV_SW_SX_S14_S18_S1A_T6_T7_T9_mT8_S1C_bDpT10_ENKUlT_T0_E_clISt17integral_constantIbLb0EES1O_IbLb1EEEEDaS1K_S1L_EUlS1K_E_NS1_11comp_targetILNS1_3genE5ELNS1_11target_archE942ELNS1_3gpuE9ELNS1_3repE0EEENS1_30default_config_static_selectorELNS0_4arch9wavefront6targetE1EEEvSY_
                                        ; -- End function
	.set _ZN7rocprim17ROCPRIM_400000_NS6detail17trampoline_kernelINS0_13select_configILj256ELj13ELNS0_17block_load_methodE3ELS4_3ELS4_3ELNS0_20block_scan_algorithmE0ELj4294967295EEENS1_25partition_config_selectorILNS1_17partition_subalgoE3EjNS0_10empty_typeEbEEZZNS1_14partition_implILS8_3ELb0ES6_jNS0_17counting_iteratorIjlEEPS9_SE_NS0_5tupleIJPjSE_EEENSF_IJSE_SE_EEES9_SG_JZNS1_25segmented_radix_sort_implINS0_14default_configELb0EPKdPdPKlPlN2at6native12_GLOBAL__N_18offset_tEEE10hipError_tPvRmT1_PNSt15iterator_traitsISY_E10value_typeET2_T3_PNSZ_IS14_E10value_typeET4_jRbjT5_S1A_jjP12ihipStream_tbEUljE_EEESV_SW_SX_S14_S18_S1A_T6_T7_T9_mT8_S1C_bDpT10_ENKUlT_T0_E_clISt17integral_constantIbLb0EES1O_IbLb1EEEEDaS1K_S1L_EUlS1K_E_NS1_11comp_targetILNS1_3genE5ELNS1_11target_archE942ELNS1_3gpuE9ELNS1_3repE0EEENS1_30default_config_static_selectorELNS0_4arch9wavefront6targetE1EEEvSY_.num_vgpr, 0
	.set _ZN7rocprim17ROCPRIM_400000_NS6detail17trampoline_kernelINS0_13select_configILj256ELj13ELNS0_17block_load_methodE3ELS4_3ELS4_3ELNS0_20block_scan_algorithmE0ELj4294967295EEENS1_25partition_config_selectorILNS1_17partition_subalgoE3EjNS0_10empty_typeEbEEZZNS1_14partition_implILS8_3ELb0ES6_jNS0_17counting_iteratorIjlEEPS9_SE_NS0_5tupleIJPjSE_EEENSF_IJSE_SE_EEES9_SG_JZNS1_25segmented_radix_sort_implINS0_14default_configELb0EPKdPdPKlPlN2at6native12_GLOBAL__N_18offset_tEEE10hipError_tPvRmT1_PNSt15iterator_traitsISY_E10value_typeET2_T3_PNSZ_IS14_E10value_typeET4_jRbjT5_S1A_jjP12ihipStream_tbEUljE_EEESV_SW_SX_S14_S18_S1A_T6_T7_T9_mT8_S1C_bDpT10_ENKUlT_T0_E_clISt17integral_constantIbLb0EES1O_IbLb1EEEEDaS1K_S1L_EUlS1K_E_NS1_11comp_targetILNS1_3genE5ELNS1_11target_archE942ELNS1_3gpuE9ELNS1_3repE0EEENS1_30default_config_static_selectorELNS0_4arch9wavefront6targetE1EEEvSY_.num_agpr, 0
	.set _ZN7rocprim17ROCPRIM_400000_NS6detail17trampoline_kernelINS0_13select_configILj256ELj13ELNS0_17block_load_methodE3ELS4_3ELS4_3ELNS0_20block_scan_algorithmE0ELj4294967295EEENS1_25partition_config_selectorILNS1_17partition_subalgoE3EjNS0_10empty_typeEbEEZZNS1_14partition_implILS8_3ELb0ES6_jNS0_17counting_iteratorIjlEEPS9_SE_NS0_5tupleIJPjSE_EEENSF_IJSE_SE_EEES9_SG_JZNS1_25segmented_radix_sort_implINS0_14default_configELb0EPKdPdPKlPlN2at6native12_GLOBAL__N_18offset_tEEE10hipError_tPvRmT1_PNSt15iterator_traitsISY_E10value_typeET2_T3_PNSZ_IS14_E10value_typeET4_jRbjT5_S1A_jjP12ihipStream_tbEUljE_EEESV_SW_SX_S14_S18_S1A_T6_T7_T9_mT8_S1C_bDpT10_ENKUlT_T0_E_clISt17integral_constantIbLb0EES1O_IbLb1EEEEDaS1K_S1L_EUlS1K_E_NS1_11comp_targetILNS1_3genE5ELNS1_11target_archE942ELNS1_3gpuE9ELNS1_3repE0EEENS1_30default_config_static_selectorELNS0_4arch9wavefront6targetE1EEEvSY_.numbered_sgpr, 0
	.set _ZN7rocprim17ROCPRIM_400000_NS6detail17trampoline_kernelINS0_13select_configILj256ELj13ELNS0_17block_load_methodE3ELS4_3ELS4_3ELNS0_20block_scan_algorithmE0ELj4294967295EEENS1_25partition_config_selectorILNS1_17partition_subalgoE3EjNS0_10empty_typeEbEEZZNS1_14partition_implILS8_3ELb0ES6_jNS0_17counting_iteratorIjlEEPS9_SE_NS0_5tupleIJPjSE_EEENSF_IJSE_SE_EEES9_SG_JZNS1_25segmented_radix_sort_implINS0_14default_configELb0EPKdPdPKlPlN2at6native12_GLOBAL__N_18offset_tEEE10hipError_tPvRmT1_PNSt15iterator_traitsISY_E10value_typeET2_T3_PNSZ_IS14_E10value_typeET4_jRbjT5_S1A_jjP12ihipStream_tbEUljE_EEESV_SW_SX_S14_S18_S1A_T6_T7_T9_mT8_S1C_bDpT10_ENKUlT_T0_E_clISt17integral_constantIbLb0EES1O_IbLb1EEEEDaS1K_S1L_EUlS1K_E_NS1_11comp_targetILNS1_3genE5ELNS1_11target_archE942ELNS1_3gpuE9ELNS1_3repE0EEENS1_30default_config_static_selectorELNS0_4arch9wavefront6targetE1EEEvSY_.num_named_barrier, 0
	.set _ZN7rocprim17ROCPRIM_400000_NS6detail17trampoline_kernelINS0_13select_configILj256ELj13ELNS0_17block_load_methodE3ELS4_3ELS4_3ELNS0_20block_scan_algorithmE0ELj4294967295EEENS1_25partition_config_selectorILNS1_17partition_subalgoE3EjNS0_10empty_typeEbEEZZNS1_14partition_implILS8_3ELb0ES6_jNS0_17counting_iteratorIjlEEPS9_SE_NS0_5tupleIJPjSE_EEENSF_IJSE_SE_EEES9_SG_JZNS1_25segmented_radix_sort_implINS0_14default_configELb0EPKdPdPKlPlN2at6native12_GLOBAL__N_18offset_tEEE10hipError_tPvRmT1_PNSt15iterator_traitsISY_E10value_typeET2_T3_PNSZ_IS14_E10value_typeET4_jRbjT5_S1A_jjP12ihipStream_tbEUljE_EEESV_SW_SX_S14_S18_S1A_T6_T7_T9_mT8_S1C_bDpT10_ENKUlT_T0_E_clISt17integral_constantIbLb0EES1O_IbLb1EEEEDaS1K_S1L_EUlS1K_E_NS1_11comp_targetILNS1_3genE5ELNS1_11target_archE942ELNS1_3gpuE9ELNS1_3repE0EEENS1_30default_config_static_selectorELNS0_4arch9wavefront6targetE1EEEvSY_.private_seg_size, 0
	.set _ZN7rocprim17ROCPRIM_400000_NS6detail17trampoline_kernelINS0_13select_configILj256ELj13ELNS0_17block_load_methodE3ELS4_3ELS4_3ELNS0_20block_scan_algorithmE0ELj4294967295EEENS1_25partition_config_selectorILNS1_17partition_subalgoE3EjNS0_10empty_typeEbEEZZNS1_14partition_implILS8_3ELb0ES6_jNS0_17counting_iteratorIjlEEPS9_SE_NS0_5tupleIJPjSE_EEENSF_IJSE_SE_EEES9_SG_JZNS1_25segmented_radix_sort_implINS0_14default_configELb0EPKdPdPKlPlN2at6native12_GLOBAL__N_18offset_tEEE10hipError_tPvRmT1_PNSt15iterator_traitsISY_E10value_typeET2_T3_PNSZ_IS14_E10value_typeET4_jRbjT5_S1A_jjP12ihipStream_tbEUljE_EEESV_SW_SX_S14_S18_S1A_T6_T7_T9_mT8_S1C_bDpT10_ENKUlT_T0_E_clISt17integral_constantIbLb0EES1O_IbLb1EEEEDaS1K_S1L_EUlS1K_E_NS1_11comp_targetILNS1_3genE5ELNS1_11target_archE942ELNS1_3gpuE9ELNS1_3repE0EEENS1_30default_config_static_selectorELNS0_4arch9wavefront6targetE1EEEvSY_.uses_vcc, 0
	.set _ZN7rocprim17ROCPRIM_400000_NS6detail17trampoline_kernelINS0_13select_configILj256ELj13ELNS0_17block_load_methodE3ELS4_3ELS4_3ELNS0_20block_scan_algorithmE0ELj4294967295EEENS1_25partition_config_selectorILNS1_17partition_subalgoE3EjNS0_10empty_typeEbEEZZNS1_14partition_implILS8_3ELb0ES6_jNS0_17counting_iteratorIjlEEPS9_SE_NS0_5tupleIJPjSE_EEENSF_IJSE_SE_EEES9_SG_JZNS1_25segmented_radix_sort_implINS0_14default_configELb0EPKdPdPKlPlN2at6native12_GLOBAL__N_18offset_tEEE10hipError_tPvRmT1_PNSt15iterator_traitsISY_E10value_typeET2_T3_PNSZ_IS14_E10value_typeET4_jRbjT5_S1A_jjP12ihipStream_tbEUljE_EEESV_SW_SX_S14_S18_S1A_T6_T7_T9_mT8_S1C_bDpT10_ENKUlT_T0_E_clISt17integral_constantIbLb0EES1O_IbLb1EEEEDaS1K_S1L_EUlS1K_E_NS1_11comp_targetILNS1_3genE5ELNS1_11target_archE942ELNS1_3gpuE9ELNS1_3repE0EEENS1_30default_config_static_selectorELNS0_4arch9wavefront6targetE1EEEvSY_.uses_flat_scratch, 0
	.set _ZN7rocprim17ROCPRIM_400000_NS6detail17trampoline_kernelINS0_13select_configILj256ELj13ELNS0_17block_load_methodE3ELS4_3ELS4_3ELNS0_20block_scan_algorithmE0ELj4294967295EEENS1_25partition_config_selectorILNS1_17partition_subalgoE3EjNS0_10empty_typeEbEEZZNS1_14partition_implILS8_3ELb0ES6_jNS0_17counting_iteratorIjlEEPS9_SE_NS0_5tupleIJPjSE_EEENSF_IJSE_SE_EEES9_SG_JZNS1_25segmented_radix_sort_implINS0_14default_configELb0EPKdPdPKlPlN2at6native12_GLOBAL__N_18offset_tEEE10hipError_tPvRmT1_PNSt15iterator_traitsISY_E10value_typeET2_T3_PNSZ_IS14_E10value_typeET4_jRbjT5_S1A_jjP12ihipStream_tbEUljE_EEESV_SW_SX_S14_S18_S1A_T6_T7_T9_mT8_S1C_bDpT10_ENKUlT_T0_E_clISt17integral_constantIbLb0EES1O_IbLb1EEEEDaS1K_S1L_EUlS1K_E_NS1_11comp_targetILNS1_3genE5ELNS1_11target_archE942ELNS1_3gpuE9ELNS1_3repE0EEENS1_30default_config_static_selectorELNS0_4arch9wavefront6targetE1EEEvSY_.has_dyn_sized_stack, 0
	.set _ZN7rocprim17ROCPRIM_400000_NS6detail17trampoline_kernelINS0_13select_configILj256ELj13ELNS0_17block_load_methodE3ELS4_3ELS4_3ELNS0_20block_scan_algorithmE0ELj4294967295EEENS1_25partition_config_selectorILNS1_17partition_subalgoE3EjNS0_10empty_typeEbEEZZNS1_14partition_implILS8_3ELb0ES6_jNS0_17counting_iteratorIjlEEPS9_SE_NS0_5tupleIJPjSE_EEENSF_IJSE_SE_EEES9_SG_JZNS1_25segmented_radix_sort_implINS0_14default_configELb0EPKdPdPKlPlN2at6native12_GLOBAL__N_18offset_tEEE10hipError_tPvRmT1_PNSt15iterator_traitsISY_E10value_typeET2_T3_PNSZ_IS14_E10value_typeET4_jRbjT5_S1A_jjP12ihipStream_tbEUljE_EEESV_SW_SX_S14_S18_S1A_T6_T7_T9_mT8_S1C_bDpT10_ENKUlT_T0_E_clISt17integral_constantIbLb0EES1O_IbLb1EEEEDaS1K_S1L_EUlS1K_E_NS1_11comp_targetILNS1_3genE5ELNS1_11target_archE942ELNS1_3gpuE9ELNS1_3repE0EEENS1_30default_config_static_selectorELNS0_4arch9wavefront6targetE1EEEvSY_.has_recursion, 0
	.set _ZN7rocprim17ROCPRIM_400000_NS6detail17trampoline_kernelINS0_13select_configILj256ELj13ELNS0_17block_load_methodE3ELS4_3ELS4_3ELNS0_20block_scan_algorithmE0ELj4294967295EEENS1_25partition_config_selectorILNS1_17partition_subalgoE3EjNS0_10empty_typeEbEEZZNS1_14partition_implILS8_3ELb0ES6_jNS0_17counting_iteratorIjlEEPS9_SE_NS0_5tupleIJPjSE_EEENSF_IJSE_SE_EEES9_SG_JZNS1_25segmented_radix_sort_implINS0_14default_configELb0EPKdPdPKlPlN2at6native12_GLOBAL__N_18offset_tEEE10hipError_tPvRmT1_PNSt15iterator_traitsISY_E10value_typeET2_T3_PNSZ_IS14_E10value_typeET4_jRbjT5_S1A_jjP12ihipStream_tbEUljE_EEESV_SW_SX_S14_S18_S1A_T6_T7_T9_mT8_S1C_bDpT10_ENKUlT_T0_E_clISt17integral_constantIbLb0EES1O_IbLb1EEEEDaS1K_S1L_EUlS1K_E_NS1_11comp_targetILNS1_3genE5ELNS1_11target_archE942ELNS1_3gpuE9ELNS1_3repE0EEENS1_30default_config_static_selectorELNS0_4arch9wavefront6targetE1EEEvSY_.has_indirect_call, 0
	.section	.AMDGPU.csdata,"",@progbits
; Kernel info:
; codeLenInByte = 0
; TotalNumSgprs: 4
; NumVgprs: 0
; ScratchSize: 0
; MemoryBound: 0
; FloatMode: 240
; IeeeMode: 1
; LDSByteSize: 0 bytes/workgroup (compile time only)
; SGPRBlocks: 0
; VGPRBlocks: 0
; NumSGPRsForWavesPerEU: 4
; NumVGPRsForWavesPerEU: 1
; Occupancy: 10
; WaveLimiterHint : 0
; COMPUTE_PGM_RSRC2:SCRATCH_EN: 0
; COMPUTE_PGM_RSRC2:USER_SGPR: 6
; COMPUTE_PGM_RSRC2:TRAP_HANDLER: 0
; COMPUTE_PGM_RSRC2:TGID_X_EN: 1
; COMPUTE_PGM_RSRC2:TGID_Y_EN: 0
; COMPUTE_PGM_RSRC2:TGID_Z_EN: 0
; COMPUTE_PGM_RSRC2:TIDIG_COMP_CNT: 0
	.section	.text._ZN7rocprim17ROCPRIM_400000_NS6detail17trampoline_kernelINS0_13select_configILj256ELj13ELNS0_17block_load_methodE3ELS4_3ELS4_3ELNS0_20block_scan_algorithmE0ELj4294967295EEENS1_25partition_config_selectorILNS1_17partition_subalgoE3EjNS0_10empty_typeEbEEZZNS1_14partition_implILS8_3ELb0ES6_jNS0_17counting_iteratorIjlEEPS9_SE_NS0_5tupleIJPjSE_EEENSF_IJSE_SE_EEES9_SG_JZNS1_25segmented_radix_sort_implINS0_14default_configELb0EPKdPdPKlPlN2at6native12_GLOBAL__N_18offset_tEEE10hipError_tPvRmT1_PNSt15iterator_traitsISY_E10value_typeET2_T3_PNSZ_IS14_E10value_typeET4_jRbjT5_S1A_jjP12ihipStream_tbEUljE_EEESV_SW_SX_S14_S18_S1A_T6_T7_T9_mT8_S1C_bDpT10_ENKUlT_T0_E_clISt17integral_constantIbLb0EES1O_IbLb1EEEEDaS1K_S1L_EUlS1K_E_NS1_11comp_targetILNS1_3genE4ELNS1_11target_archE910ELNS1_3gpuE8ELNS1_3repE0EEENS1_30default_config_static_selectorELNS0_4arch9wavefront6targetE1EEEvSY_,"axG",@progbits,_ZN7rocprim17ROCPRIM_400000_NS6detail17trampoline_kernelINS0_13select_configILj256ELj13ELNS0_17block_load_methodE3ELS4_3ELS4_3ELNS0_20block_scan_algorithmE0ELj4294967295EEENS1_25partition_config_selectorILNS1_17partition_subalgoE3EjNS0_10empty_typeEbEEZZNS1_14partition_implILS8_3ELb0ES6_jNS0_17counting_iteratorIjlEEPS9_SE_NS0_5tupleIJPjSE_EEENSF_IJSE_SE_EEES9_SG_JZNS1_25segmented_radix_sort_implINS0_14default_configELb0EPKdPdPKlPlN2at6native12_GLOBAL__N_18offset_tEEE10hipError_tPvRmT1_PNSt15iterator_traitsISY_E10value_typeET2_T3_PNSZ_IS14_E10value_typeET4_jRbjT5_S1A_jjP12ihipStream_tbEUljE_EEESV_SW_SX_S14_S18_S1A_T6_T7_T9_mT8_S1C_bDpT10_ENKUlT_T0_E_clISt17integral_constantIbLb0EES1O_IbLb1EEEEDaS1K_S1L_EUlS1K_E_NS1_11comp_targetILNS1_3genE4ELNS1_11target_archE910ELNS1_3gpuE8ELNS1_3repE0EEENS1_30default_config_static_selectorELNS0_4arch9wavefront6targetE1EEEvSY_,comdat
	.globl	_ZN7rocprim17ROCPRIM_400000_NS6detail17trampoline_kernelINS0_13select_configILj256ELj13ELNS0_17block_load_methodE3ELS4_3ELS4_3ELNS0_20block_scan_algorithmE0ELj4294967295EEENS1_25partition_config_selectorILNS1_17partition_subalgoE3EjNS0_10empty_typeEbEEZZNS1_14partition_implILS8_3ELb0ES6_jNS0_17counting_iteratorIjlEEPS9_SE_NS0_5tupleIJPjSE_EEENSF_IJSE_SE_EEES9_SG_JZNS1_25segmented_radix_sort_implINS0_14default_configELb0EPKdPdPKlPlN2at6native12_GLOBAL__N_18offset_tEEE10hipError_tPvRmT1_PNSt15iterator_traitsISY_E10value_typeET2_T3_PNSZ_IS14_E10value_typeET4_jRbjT5_S1A_jjP12ihipStream_tbEUljE_EEESV_SW_SX_S14_S18_S1A_T6_T7_T9_mT8_S1C_bDpT10_ENKUlT_T0_E_clISt17integral_constantIbLb0EES1O_IbLb1EEEEDaS1K_S1L_EUlS1K_E_NS1_11comp_targetILNS1_3genE4ELNS1_11target_archE910ELNS1_3gpuE8ELNS1_3repE0EEENS1_30default_config_static_selectorELNS0_4arch9wavefront6targetE1EEEvSY_ ; -- Begin function _ZN7rocprim17ROCPRIM_400000_NS6detail17trampoline_kernelINS0_13select_configILj256ELj13ELNS0_17block_load_methodE3ELS4_3ELS4_3ELNS0_20block_scan_algorithmE0ELj4294967295EEENS1_25partition_config_selectorILNS1_17partition_subalgoE3EjNS0_10empty_typeEbEEZZNS1_14partition_implILS8_3ELb0ES6_jNS0_17counting_iteratorIjlEEPS9_SE_NS0_5tupleIJPjSE_EEENSF_IJSE_SE_EEES9_SG_JZNS1_25segmented_radix_sort_implINS0_14default_configELb0EPKdPdPKlPlN2at6native12_GLOBAL__N_18offset_tEEE10hipError_tPvRmT1_PNSt15iterator_traitsISY_E10value_typeET2_T3_PNSZ_IS14_E10value_typeET4_jRbjT5_S1A_jjP12ihipStream_tbEUljE_EEESV_SW_SX_S14_S18_S1A_T6_T7_T9_mT8_S1C_bDpT10_ENKUlT_T0_E_clISt17integral_constantIbLb0EES1O_IbLb1EEEEDaS1K_S1L_EUlS1K_E_NS1_11comp_targetILNS1_3genE4ELNS1_11target_archE910ELNS1_3gpuE8ELNS1_3repE0EEENS1_30default_config_static_selectorELNS0_4arch9wavefront6targetE1EEEvSY_
	.p2align	8
	.type	_ZN7rocprim17ROCPRIM_400000_NS6detail17trampoline_kernelINS0_13select_configILj256ELj13ELNS0_17block_load_methodE3ELS4_3ELS4_3ELNS0_20block_scan_algorithmE0ELj4294967295EEENS1_25partition_config_selectorILNS1_17partition_subalgoE3EjNS0_10empty_typeEbEEZZNS1_14partition_implILS8_3ELb0ES6_jNS0_17counting_iteratorIjlEEPS9_SE_NS0_5tupleIJPjSE_EEENSF_IJSE_SE_EEES9_SG_JZNS1_25segmented_radix_sort_implINS0_14default_configELb0EPKdPdPKlPlN2at6native12_GLOBAL__N_18offset_tEEE10hipError_tPvRmT1_PNSt15iterator_traitsISY_E10value_typeET2_T3_PNSZ_IS14_E10value_typeET4_jRbjT5_S1A_jjP12ihipStream_tbEUljE_EEESV_SW_SX_S14_S18_S1A_T6_T7_T9_mT8_S1C_bDpT10_ENKUlT_T0_E_clISt17integral_constantIbLb0EES1O_IbLb1EEEEDaS1K_S1L_EUlS1K_E_NS1_11comp_targetILNS1_3genE4ELNS1_11target_archE910ELNS1_3gpuE8ELNS1_3repE0EEENS1_30default_config_static_selectorELNS0_4arch9wavefront6targetE1EEEvSY_,@function
_ZN7rocprim17ROCPRIM_400000_NS6detail17trampoline_kernelINS0_13select_configILj256ELj13ELNS0_17block_load_methodE3ELS4_3ELS4_3ELNS0_20block_scan_algorithmE0ELj4294967295EEENS1_25partition_config_selectorILNS1_17partition_subalgoE3EjNS0_10empty_typeEbEEZZNS1_14partition_implILS8_3ELb0ES6_jNS0_17counting_iteratorIjlEEPS9_SE_NS0_5tupleIJPjSE_EEENSF_IJSE_SE_EEES9_SG_JZNS1_25segmented_radix_sort_implINS0_14default_configELb0EPKdPdPKlPlN2at6native12_GLOBAL__N_18offset_tEEE10hipError_tPvRmT1_PNSt15iterator_traitsISY_E10value_typeET2_T3_PNSZ_IS14_E10value_typeET4_jRbjT5_S1A_jjP12ihipStream_tbEUljE_EEESV_SW_SX_S14_S18_S1A_T6_T7_T9_mT8_S1C_bDpT10_ENKUlT_T0_E_clISt17integral_constantIbLb0EES1O_IbLb1EEEEDaS1K_S1L_EUlS1K_E_NS1_11comp_targetILNS1_3genE4ELNS1_11target_archE910ELNS1_3gpuE8ELNS1_3repE0EEENS1_30default_config_static_selectorELNS0_4arch9wavefront6targetE1EEEvSY_: ; @_ZN7rocprim17ROCPRIM_400000_NS6detail17trampoline_kernelINS0_13select_configILj256ELj13ELNS0_17block_load_methodE3ELS4_3ELS4_3ELNS0_20block_scan_algorithmE0ELj4294967295EEENS1_25partition_config_selectorILNS1_17partition_subalgoE3EjNS0_10empty_typeEbEEZZNS1_14partition_implILS8_3ELb0ES6_jNS0_17counting_iteratorIjlEEPS9_SE_NS0_5tupleIJPjSE_EEENSF_IJSE_SE_EEES9_SG_JZNS1_25segmented_radix_sort_implINS0_14default_configELb0EPKdPdPKlPlN2at6native12_GLOBAL__N_18offset_tEEE10hipError_tPvRmT1_PNSt15iterator_traitsISY_E10value_typeET2_T3_PNSZ_IS14_E10value_typeET4_jRbjT5_S1A_jjP12ihipStream_tbEUljE_EEESV_SW_SX_S14_S18_S1A_T6_T7_T9_mT8_S1C_bDpT10_ENKUlT_T0_E_clISt17integral_constantIbLb0EES1O_IbLb1EEEEDaS1K_S1L_EUlS1K_E_NS1_11comp_targetILNS1_3genE4ELNS1_11target_archE910ELNS1_3gpuE8ELNS1_3repE0EEENS1_30default_config_static_selectorELNS0_4arch9wavefront6targetE1EEEvSY_
; %bb.0:
	.section	.rodata,"a",@progbits
	.p2align	6, 0x0
	.amdhsa_kernel _ZN7rocprim17ROCPRIM_400000_NS6detail17trampoline_kernelINS0_13select_configILj256ELj13ELNS0_17block_load_methodE3ELS4_3ELS4_3ELNS0_20block_scan_algorithmE0ELj4294967295EEENS1_25partition_config_selectorILNS1_17partition_subalgoE3EjNS0_10empty_typeEbEEZZNS1_14partition_implILS8_3ELb0ES6_jNS0_17counting_iteratorIjlEEPS9_SE_NS0_5tupleIJPjSE_EEENSF_IJSE_SE_EEES9_SG_JZNS1_25segmented_radix_sort_implINS0_14default_configELb0EPKdPdPKlPlN2at6native12_GLOBAL__N_18offset_tEEE10hipError_tPvRmT1_PNSt15iterator_traitsISY_E10value_typeET2_T3_PNSZ_IS14_E10value_typeET4_jRbjT5_S1A_jjP12ihipStream_tbEUljE_EEESV_SW_SX_S14_S18_S1A_T6_T7_T9_mT8_S1C_bDpT10_ENKUlT_T0_E_clISt17integral_constantIbLb0EES1O_IbLb1EEEEDaS1K_S1L_EUlS1K_E_NS1_11comp_targetILNS1_3genE4ELNS1_11target_archE910ELNS1_3gpuE8ELNS1_3repE0EEENS1_30default_config_static_selectorELNS0_4arch9wavefront6targetE1EEEvSY_
		.amdhsa_group_segment_fixed_size 0
		.amdhsa_private_segment_fixed_size 0
		.amdhsa_kernarg_size 152
		.amdhsa_user_sgpr_count 6
		.amdhsa_user_sgpr_private_segment_buffer 1
		.amdhsa_user_sgpr_dispatch_ptr 0
		.amdhsa_user_sgpr_queue_ptr 0
		.amdhsa_user_sgpr_kernarg_segment_ptr 1
		.amdhsa_user_sgpr_dispatch_id 0
		.amdhsa_user_sgpr_flat_scratch_init 0
		.amdhsa_user_sgpr_private_segment_size 0
		.amdhsa_uses_dynamic_stack 0
		.amdhsa_system_sgpr_private_segment_wavefront_offset 0
		.amdhsa_system_sgpr_workgroup_id_x 1
		.amdhsa_system_sgpr_workgroup_id_y 0
		.amdhsa_system_sgpr_workgroup_id_z 0
		.amdhsa_system_sgpr_workgroup_info 0
		.amdhsa_system_vgpr_workitem_id 0
		.amdhsa_next_free_vgpr 1
		.amdhsa_next_free_sgpr 0
		.amdhsa_reserve_vcc 0
		.amdhsa_reserve_flat_scratch 0
		.amdhsa_float_round_mode_32 0
		.amdhsa_float_round_mode_16_64 0
		.amdhsa_float_denorm_mode_32 3
		.amdhsa_float_denorm_mode_16_64 3
		.amdhsa_dx10_clamp 1
		.amdhsa_ieee_mode 1
		.amdhsa_fp16_overflow 0
		.amdhsa_exception_fp_ieee_invalid_op 0
		.amdhsa_exception_fp_denorm_src 0
		.amdhsa_exception_fp_ieee_div_zero 0
		.amdhsa_exception_fp_ieee_overflow 0
		.amdhsa_exception_fp_ieee_underflow 0
		.amdhsa_exception_fp_ieee_inexact 0
		.amdhsa_exception_int_div_zero 0
	.end_amdhsa_kernel
	.section	.text._ZN7rocprim17ROCPRIM_400000_NS6detail17trampoline_kernelINS0_13select_configILj256ELj13ELNS0_17block_load_methodE3ELS4_3ELS4_3ELNS0_20block_scan_algorithmE0ELj4294967295EEENS1_25partition_config_selectorILNS1_17partition_subalgoE3EjNS0_10empty_typeEbEEZZNS1_14partition_implILS8_3ELb0ES6_jNS0_17counting_iteratorIjlEEPS9_SE_NS0_5tupleIJPjSE_EEENSF_IJSE_SE_EEES9_SG_JZNS1_25segmented_radix_sort_implINS0_14default_configELb0EPKdPdPKlPlN2at6native12_GLOBAL__N_18offset_tEEE10hipError_tPvRmT1_PNSt15iterator_traitsISY_E10value_typeET2_T3_PNSZ_IS14_E10value_typeET4_jRbjT5_S1A_jjP12ihipStream_tbEUljE_EEESV_SW_SX_S14_S18_S1A_T6_T7_T9_mT8_S1C_bDpT10_ENKUlT_T0_E_clISt17integral_constantIbLb0EES1O_IbLb1EEEEDaS1K_S1L_EUlS1K_E_NS1_11comp_targetILNS1_3genE4ELNS1_11target_archE910ELNS1_3gpuE8ELNS1_3repE0EEENS1_30default_config_static_selectorELNS0_4arch9wavefront6targetE1EEEvSY_,"axG",@progbits,_ZN7rocprim17ROCPRIM_400000_NS6detail17trampoline_kernelINS0_13select_configILj256ELj13ELNS0_17block_load_methodE3ELS4_3ELS4_3ELNS0_20block_scan_algorithmE0ELj4294967295EEENS1_25partition_config_selectorILNS1_17partition_subalgoE3EjNS0_10empty_typeEbEEZZNS1_14partition_implILS8_3ELb0ES6_jNS0_17counting_iteratorIjlEEPS9_SE_NS0_5tupleIJPjSE_EEENSF_IJSE_SE_EEES9_SG_JZNS1_25segmented_radix_sort_implINS0_14default_configELb0EPKdPdPKlPlN2at6native12_GLOBAL__N_18offset_tEEE10hipError_tPvRmT1_PNSt15iterator_traitsISY_E10value_typeET2_T3_PNSZ_IS14_E10value_typeET4_jRbjT5_S1A_jjP12ihipStream_tbEUljE_EEESV_SW_SX_S14_S18_S1A_T6_T7_T9_mT8_S1C_bDpT10_ENKUlT_T0_E_clISt17integral_constantIbLb0EES1O_IbLb1EEEEDaS1K_S1L_EUlS1K_E_NS1_11comp_targetILNS1_3genE4ELNS1_11target_archE910ELNS1_3gpuE8ELNS1_3repE0EEENS1_30default_config_static_selectorELNS0_4arch9wavefront6targetE1EEEvSY_,comdat
.Lfunc_end1215:
	.size	_ZN7rocprim17ROCPRIM_400000_NS6detail17trampoline_kernelINS0_13select_configILj256ELj13ELNS0_17block_load_methodE3ELS4_3ELS4_3ELNS0_20block_scan_algorithmE0ELj4294967295EEENS1_25partition_config_selectorILNS1_17partition_subalgoE3EjNS0_10empty_typeEbEEZZNS1_14partition_implILS8_3ELb0ES6_jNS0_17counting_iteratorIjlEEPS9_SE_NS0_5tupleIJPjSE_EEENSF_IJSE_SE_EEES9_SG_JZNS1_25segmented_radix_sort_implINS0_14default_configELb0EPKdPdPKlPlN2at6native12_GLOBAL__N_18offset_tEEE10hipError_tPvRmT1_PNSt15iterator_traitsISY_E10value_typeET2_T3_PNSZ_IS14_E10value_typeET4_jRbjT5_S1A_jjP12ihipStream_tbEUljE_EEESV_SW_SX_S14_S18_S1A_T6_T7_T9_mT8_S1C_bDpT10_ENKUlT_T0_E_clISt17integral_constantIbLb0EES1O_IbLb1EEEEDaS1K_S1L_EUlS1K_E_NS1_11comp_targetILNS1_3genE4ELNS1_11target_archE910ELNS1_3gpuE8ELNS1_3repE0EEENS1_30default_config_static_selectorELNS0_4arch9wavefront6targetE1EEEvSY_, .Lfunc_end1215-_ZN7rocprim17ROCPRIM_400000_NS6detail17trampoline_kernelINS0_13select_configILj256ELj13ELNS0_17block_load_methodE3ELS4_3ELS4_3ELNS0_20block_scan_algorithmE0ELj4294967295EEENS1_25partition_config_selectorILNS1_17partition_subalgoE3EjNS0_10empty_typeEbEEZZNS1_14partition_implILS8_3ELb0ES6_jNS0_17counting_iteratorIjlEEPS9_SE_NS0_5tupleIJPjSE_EEENSF_IJSE_SE_EEES9_SG_JZNS1_25segmented_radix_sort_implINS0_14default_configELb0EPKdPdPKlPlN2at6native12_GLOBAL__N_18offset_tEEE10hipError_tPvRmT1_PNSt15iterator_traitsISY_E10value_typeET2_T3_PNSZ_IS14_E10value_typeET4_jRbjT5_S1A_jjP12ihipStream_tbEUljE_EEESV_SW_SX_S14_S18_S1A_T6_T7_T9_mT8_S1C_bDpT10_ENKUlT_T0_E_clISt17integral_constantIbLb0EES1O_IbLb1EEEEDaS1K_S1L_EUlS1K_E_NS1_11comp_targetILNS1_3genE4ELNS1_11target_archE910ELNS1_3gpuE8ELNS1_3repE0EEENS1_30default_config_static_selectorELNS0_4arch9wavefront6targetE1EEEvSY_
                                        ; -- End function
	.set _ZN7rocprim17ROCPRIM_400000_NS6detail17trampoline_kernelINS0_13select_configILj256ELj13ELNS0_17block_load_methodE3ELS4_3ELS4_3ELNS0_20block_scan_algorithmE0ELj4294967295EEENS1_25partition_config_selectorILNS1_17partition_subalgoE3EjNS0_10empty_typeEbEEZZNS1_14partition_implILS8_3ELb0ES6_jNS0_17counting_iteratorIjlEEPS9_SE_NS0_5tupleIJPjSE_EEENSF_IJSE_SE_EEES9_SG_JZNS1_25segmented_radix_sort_implINS0_14default_configELb0EPKdPdPKlPlN2at6native12_GLOBAL__N_18offset_tEEE10hipError_tPvRmT1_PNSt15iterator_traitsISY_E10value_typeET2_T3_PNSZ_IS14_E10value_typeET4_jRbjT5_S1A_jjP12ihipStream_tbEUljE_EEESV_SW_SX_S14_S18_S1A_T6_T7_T9_mT8_S1C_bDpT10_ENKUlT_T0_E_clISt17integral_constantIbLb0EES1O_IbLb1EEEEDaS1K_S1L_EUlS1K_E_NS1_11comp_targetILNS1_3genE4ELNS1_11target_archE910ELNS1_3gpuE8ELNS1_3repE0EEENS1_30default_config_static_selectorELNS0_4arch9wavefront6targetE1EEEvSY_.num_vgpr, 0
	.set _ZN7rocprim17ROCPRIM_400000_NS6detail17trampoline_kernelINS0_13select_configILj256ELj13ELNS0_17block_load_methodE3ELS4_3ELS4_3ELNS0_20block_scan_algorithmE0ELj4294967295EEENS1_25partition_config_selectorILNS1_17partition_subalgoE3EjNS0_10empty_typeEbEEZZNS1_14partition_implILS8_3ELb0ES6_jNS0_17counting_iteratorIjlEEPS9_SE_NS0_5tupleIJPjSE_EEENSF_IJSE_SE_EEES9_SG_JZNS1_25segmented_radix_sort_implINS0_14default_configELb0EPKdPdPKlPlN2at6native12_GLOBAL__N_18offset_tEEE10hipError_tPvRmT1_PNSt15iterator_traitsISY_E10value_typeET2_T3_PNSZ_IS14_E10value_typeET4_jRbjT5_S1A_jjP12ihipStream_tbEUljE_EEESV_SW_SX_S14_S18_S1A_T6_T7_T9_mT8_S1C_bDpT10_ENKUlT_T0_E_clISt17integral_constantIbLb0EES1O_IbLb1EEEEDaS1K_S1L_EUlS1K_E_NS1_11comp_targetILNS1_3genE4ELNS1_11target_archE910ELNS1_3gpuE8ELNS1_3repE0EEENS1_30default_config_static_selectorELNS0_4arch9wavefront6targetE1EEEvSY_.num_agpr, 0
	.set _ZN7rocprim17ROCPRIM_400000_NS6detail17trampoline_kernelINS0_13select_configILj256ELj13ELNS0_17block_load_methodE3ELS4_3ELS4_3ELNS0_20block_scan_algorithmE0ELj4294967295EEENS1_25partition_config_selectorILNS1_17partition_subalgoE3EjNS0_10empty_typeEbEEZZNS1_14partition_implILS8_3ELb0ES6_jNS0_17counting_iteratorIjlEEPS9_SE_NS0_5tupleIJPjSE_EEENSF_IJSE_SE_EEES9_SG_JZNS1_25segmented_radix_sort_implINS0_14default_configELb0EPKdPdPKlPlN2at6native12_GLOBAL__N_18offset_tEEE10hipError_tPvRmT1_PNSt15iterator_traitsISY_E10value_typeET2_T3_PNSZ_IS14_E10value_typeET4_jRbjT5_S1A_jjP12ihipStream_tbEUljE_EEESV_SW_SX_S14_S18_S1A_T6_T7_T9_mT8_S1C_bDpT10_ENKUlT_T0_E_clISt17integral_constantIbLb0EES1O_IbLb1EEEEDaS1K_S1L_EUlS1K_E_NS1_11comp_targetILNS1_3genE4ELNS1_11target_archE910ELNS1_3gpuE8ELNS1_3repE0EEENS1_30default_config_static_selectorELNS0_4arch9wavefront6targetE1EEEvSY_.numbered_sgpr, 0
	.set _ZN7rocprim17ROCPRIM_400000_NS6detail17trampoline_kernelINS0_13select_configILj256ELj13ELNS0_17block_load_methodE3ELS4_3ELS4_3ELNS0_20block_scan_algorithmE0ELj4294967295EEENS1_25partition_config_selectorILNS1_17partition_subalgoE3EjNS0_10empty_typeEbEEZZNS1_14partition_implILS8_3ELb0ES6_jNS0_17counting_iteratorIjlEEPS9_SE_NS0_5tupleIJPjSE_EEENSF_IJSE_SE_EEES9_SG_JZNS1_25segmented_radix_sort_implINS0_14default_configELb0EPKdPdPKlPlN2at6native12_GLOBAL__N_18offset_tEEE10hipError_tPvRmT1_PNSt15iterator_traitsISY_E10value_typeET2_T3_PNSZ_IS14_E10value_typeET4_jRbjT5_S1A_jjP12ihipStream_tbEUljE_EEESV_SW_SX_S14_S18_S1A_T6_T7_T9_mT8_S1C_bDpT10_ENKUlT_T0_E_clISt17integral_constantIbLb0EES1O_IbLb1EEEEDaS1K_S1L_EUlS1K_E_NS1_11comp_targetILNS1_3genE4ELNS1_11target_archE910ELNS1_3gpuE8ELNS1_3repE0EEENS1_30default_config_static_selectorELNS0_4arch9wavefront6targetE1EEEvSY_.num_named_barrier, 0
	.set _ZN7rocprim17ROCPRIM_400000_NS6detail17trampoline_kernelINS0_13select_configILj256ELj13ELNS0_17block_load_methodE3ELS4_3ELS4_3ELNS0_20block_scan_algorithmE0ELj4294967295EEENS1_25partition_config_selectorILNS1_17partition_subalgoE3EjNS0_10empty_typeEbEEZZNS1_14partition_implILS8_3ELb0ES6_jNS0_17counting_iteratorIjlEEPS9_SE_NS0_5tupleIJPjSE_EEENSF_IJSE_SE_EEES9_SG_JZNS1_25segmented_radix_sort_implINS0_14default_configELb0EPKdPdPKlPlN2at6native12_GLOBAL__N_18offset_tEEE10hipError_tPvRmT1_PNSt15iterator_traitsISY_E10value_typeET2_T3_PNSZ_IS14_E10value_typeET4_jRbjT5_S1A_jjP12ihipStream_tbEUljE_EEESV_SW_SX_S14_S18_S1A_T6_T7_T9_mT8_S1C_bDpT10_ENKUlT_T0_E_clISt17integral_constantIbLb0EES1O_IbLb1EEEEDaS1K_S1L_EUlS1K_E_NS1_11comp_targetILNS1_3genE4ELNS1_11target_archE910ELNS1_3gpuE8ELNS1_3repE0EEENS1_30default_config_static_selectorELNS0_4arch9wavefront6targetE1EEEvSY_.private_seg_size, 0
	.set _ZN7rocprim17ROCPRIM_400000_NS6detail17trampoline_kernelINS0_13select_configILj256ELj13ELNS0_17block_load_methodE3ELS4_3ELS4_3ELNS0_20block_scan_algorithmE0ELj4294967295EEENS1_25partition_config_selectorILNS1_17partition_subalgoE3EjNS0_10empty_typeEbEEZZNS1_14partition_implILS8_3ELb0ES6_jNS0_17counting_iteratorIjlEEPS9_SE_NS0_5tupleIJPjSE_EEENSF_IJSE_SE_EEES9_SG_JZNS1_25segmented_radix_sort_implINS0_14default_configELb0EPKdPdPKlPlN2at6native12_GLOBAL__N_18offset_tEEE10hipError_tPvRmT1_PNSt15iterator_traitsISY_E10value_typeET2_T3_PNSZ_IS14_E10value_typeET4_jRbjT5_S1A_jjP12ihipStream_tbEUljE_EEESV_SW_SX_S14_S18_S1A_T6_T7_T9_mT8_S1C_bDpT10_ENKUlT_T0_E_clISt17integral_constantIbLb0EES1O_IbLb1EEEEDaS1K_S1L_EUlS1K_E_NS1_11comp_targetILNS1_3genE4ELNS1_11target_archE910ELNS1_3gpuE8ELNS1_3repE0EEENS1_30default_config_static_selectorELNS0_4arch9wavefront6targetE1EEEvSY_.uses_vcc, 0
	.set _ZN7rocprim17ROCPRIM_400000_NS6detail17trampoline_kernelINS0_13select_configILj256ELj13ELNS0_17block_load_methodE3ELS4_3ELS4_3ELNS0_20block_scan_algorithmE0ELj4294967295EEENS1_25partition_config_selectorILNS1_17partition_subalgoE3EjNS0_10empty_typeEbEEZZNS1_14partition_implILS8_3ELb0ES6_jNS0_17counting_iteratorIjlEEPS9_SE_NS0_5tupleIJPjSE_EEENSF_IJSE_SE_EEES9_SG_JZNS1_25segmented_radix_sort_implINS0_14default_configELb0EPKdPdPKlPlN2at6native12_GLOBAL__N_18offset_tEEE10hipError_tPvRmT1_PNSt15iterator_traitsISY_E10value_typeET2_T3_PNSZ_IS14_E10value_typeET4_jRbjT5_S1A_jjP12ihipStream_tbEUljE_EEESV_SW_SX_S14_S18_S1A_T6_T7_T9_mT8_S1C_bDpT10_ENKUlT_T0_E_clISt17integral_constantIbLb0EES1O_IbLb1EEEEDaS1K_S1L_EUlS1K_E_NS1_11comp_targetILNS1_3genE4ELNS1_11target_archE910ELNS1_3gpuE8ELNS1_3repE0EEENS1_30default_config_static_selectorELNS0_4arch9wavefront6targetE1EEEvSY_.uses_flat_scratch, 0
	.set _ZN7rocprim17ROCPRIM_400000_NS6detail17trampoline_kernelINS0_13select_configILj256ELj13ELNS0_17block_load_methodE3ELS4_3ELS4_3ELNS0_20block_scan_algorithmE0ELj4294967295EEENS1_25partition_config_selectorILNS1_17partition_subalgoE3EjNS0_10empty_typeEbEEZZNS1_14partition_implILS8_3ELb0ES6_jNS0_17counting_iteratorIjlEEPS9_SE_NS0_5tupleIJPjSE_EEENSF_IJSE_SE_EEES9_SG_JZNS1_25segmented_radix_sort_implINS0_14default_configELb0EPKdPdPKlPlN2at6native12_GLOBAL__N_18offset_tEEE10hipError_tPvRmT1_PNSt15iterator_traitsISY_E10value_typeET2_T3_PNSZ_IS14_E10value_typeET4_jRbjT5_S1A_jjP12ihipStream_tbEUljE_EEESV_SW_SX_S14_S18_S1A_T6_T7_T9_mT8_S1C_bDpT10_ENKUlT_T0_E_clISt17integral_constantIbLb0EES1O_IbLb1EEEEDaS1K_S1L_EUlS1K_E_NS1_11comp_targetILNS1_3genE4ELNS1_11target_archE910ELNS1_3gpuE8ELNS1_3repE0EEENS1_30default_config_static_selectorELNS0_4arch9wavefront6targetE1EEEvSY_.has_dyn_sized_stack, 0
	.set _ZN7rocprim17ROCPRIM_400000_NS6detail17trampoline_kernelINS0_13select_configILj256ELj13ELNS0_17block_load_methodE3ELS4_3ELS4_3ELNS0_20block_scan_algorithmE0ELj4294967295EEENS1_25partition_config_selectorILNS1_17partition_subalgoE3EjNS0_10empty_typeEbEEZZNS1_14partition_implILS8_3ELb0ES6_jNS0_17counting_iteratorIjlEEPS9_SE_NS0_5tupleIJPjSE_EEENSF_IJSE_SE_EEES9_SG_JZNS1_25segmented_radix_sort_implINS0_14default_configELb0EPKdPdPKlPlN2at6native12_GLOBAL__N_18offset_tEEE10hipError_tPvRmT1_PNSt15iterator_traitsISY_E10value_typeET2_T3_PNSZ_IS14_E10value_typeET4_jRbjT5_S1A_jjP12ihipStream_tbEUljE_EEESV_SW_SX_S14_S18_S1A_T6_T7_T9_mT8_S1C_bDpT10_ENKUlT_T0_E_clISt17integral_constantIbLb0EES1O_IbLb1EEEEDaS1K_S1L_EUlS1K_E_NS1_11comp_targetILNS1_3genE4ELNS1_11target_archE910ELNS1_3gpuE8ELNS1_3repE0EEENS1_30default_config_static_selectorELNS0_4arch9wavefront6targetE1EEEvSY_.has_recursion, 0
	.set _ZN7rocprim17ROCPRIM_400000_NS6detail17trampoline_kernelINS0_13select_configILj256ELj13ELNS0_17block_load_methodE3ELS4_3ELS4_3ELNS0_20block_scan_algorithmE0ELj4294967295EEENS1_25partition_config_selectorILNS1_17partition_subalgoE3EjNS0_10empty_typeEbEEZZNS1_14partition_implILS8_3ELb0ES6_jNS0_17counting_iteratorIjlEEPS9_SE_NS0_5tupleIJPjSE_EEENSF_IJSE_SE_EEES9_SG_JZNS1_25segmented_radix_sort_implINS0_14default_configELb0EPKdPdPKlPlN2at6native12_GLOBAL__N_18offset_tEEE10hipError_tPvRmT1_PNSt15iterator_traitsISY_E10value_typeET2_T3_PNSZ_IS14_E10value_typeET4_jRbjT5_S1A_jjP12ihipStream_tbEUljE_EEESV_SW_SX_S14_S18_S1A_T6_T7_T9_mT8_S1C_bDpT10_ENKUlT_T0_E_clISt17integral_constantIbLb0EES1O_IbLb1EEEEDaS1K_S1L_EUlS1K_E_NS1_11comp_targetILNS1_3genE4ELNS1_11target_archE910ELNS1_3gpuE8ELNS1_3repE0EEENS1_30default_config_static_selectorELNS0_4arch9wavefront6targetE1EEEvSY_.has_indirect_call, 0
	.section	.AMDGPU.csdata,"",@progbits
; Kernel info:
; codeLenInByte = 0
; TotalNumSgprs: 4
; NumVgprs: 0
; ScratchSize: 0
; MemoryBound: 0
; FloatMode: 240
; IeeeMode: 1
; LDSByteSize: 0 bytes/workgroup (compile time only)
; SGPRBlocks: 0
; VGPRBlocks: 0
; NumSGPRsForWavesPerEU: 4
; NumVGPRsForWavesPerEU: 1
; Occupancy: 10
; WaveLimiterHint : 0
; COMPUTE_PGM_RSRC2:SCRATCH_EN: 0
; COMPUTE_PGM_RSRC2:USER_SGPR: 6
; COMPUTE_PGM_RSRC2:TRAP_HANDLER: 0
; COMPUTE_PGM_RSRC2:TGID_X_EN: 1
; COMPUTE_PGM_RSRC2:TGID_Y_EN: 0
; COMPUTE_PGM_RSRC2:TGID_Z_EN: 0
; COMPUTE_PGM_RSRC2:TIDIG_COMP_CNT: 0
	.section	.text._ZN7rocprim17ROCPRIM_400000_NS6detail17trampoline_kernelINS0_13select_configILj256ELj13ELNS0_17block_load_methodE3ELS4_3ELS4_3ELNS0_20block_scan_algorithmE0ELj4294967295EEENS1_25partition_config_selectorILNS1_17partition_subalgoE3EjNS0_10empty_typeEbEEZZNS1_14partition_implILS8_3ELb0ES6_jNS0_17counting_iteratorIjlEEPS9_SE_NS0_5tupleIJPjSE_EEENSF_IJSE_SE_EEES9_SG_JZNS1_25segmented_radix_sort_implINS0_14default_configELb0EPKdPdPKlPlN2at6native12_GLOBAL__N_18offset_tEEE10hipError_tPvRmT1_PNSt15iterator_traitsISY_E10value_typeET2_T3_PNSZ_IS14_E10value_typeET4_jRbjT5_S1A_jjP12ihipStream_tbEUljE_EEESV_SW_SX_S14_S18_S1A_T6_T7_T9_mT8_S1C_bDpT10_ENKUlT_T0_E_clISt17integral_constantIbLb0EES1O_IbLb1EEEEDaS1K_S1L_EUlS1K_E_NS1_11comp_targetILNS1_3genE3ELNS1_11target_archE908ELNS1_3gpuE7ELNS1_3repE0EEENS1_30default_config_static_selectorELNS0_4arch9wavefront6targetE1EEEvSY_,"axG",@progbits,_ZN7rocprim17ROCPRIM_400000_NS6detail17trampoline_kernelINS0_13select_configILj256ELj13ELNS0_17block_load_methodE3ELS4_3ELS4_3ELNS0_20block_scan_algorithmE0ELj4294967295EEENS1_25partition_config_selectorILNS1_17partition_subalgoE3EjNS0_10empty_typeEbEEZZNS1_14partition_implILS8_3ELb0ES6_jNS0_17counting_iteratorIjlEEPS9_SE_NS0_5tupleIJPjSE_EEENSF_IJSE_SE_EEES9_SG_JZNS1_25segmented_radix_sort_implINS0_14default_configELb0EPKdPdPKlPlN2at6native12_GLOBAL__N_18offset_tEEE10hipError_tPvRmT1_PNSt15iterator_traitsISY_E10value_typeET2_T3_PNSZ_IS14_E10value_typeET4_jRbjT5_S1A_jjP12ihipStream_tbEUljE_EEESV_SW_SX_S14_S18_S1A_T6_T7_T9_mT8_S1C_bDpT10_ENKUlT_T0_E_clISt17integral_constantIbLb0EES1O_IbLb1EEEEDaS1K_S1L_EUlS1K_E_NS1_11comp_targetILNS1_3genE3ELNS1_11target_archE908ELNS1_3gpuE7ELNS1_3repE0EEENS1_30default_config_static_selectorELNS0_4arch9wavefront6targetE1EEEvSY_,comdat
	.globl	_ZN7rocprim17ROCPRIM_400000_NS6detail17trampoline_kernelINS0_13select_configILj256ELj13ELNS0_17block_load_methodE3ELS4_3ELS4_3ELNS0_20block_scan_algorithmE0ELj4294967295EEENS1_25partition_config_selectorILNS1_17partition_subalgoE3EjNS0_10empty_typeEbEEZZNS1_14partition_implILS8_3ELb0ES6_jNS0_17counting_iteratorIjlEEPS9_SE_NS0_5tupleIJPjSE_EEENSF_IJSE_SE_EEES9_SG_JZNS1_25segmented_radix_sort_implINS0_14default_configELb0EPKdPdPKlPlN2at6native12_GLOBAL__N_18offset_tEEE10hipError_tPvRmT1_PNSt15iterator_traitsISY_E10value_typeET2_T3_PNSZ_IS14_E10value_typeET4_jRbjT5_S1A_jjP12ihipStream_tbEUljE_EEESV_SW_SX_S14_S18_S1A_T6_T7_T9_mT8_S1C_bDpT10_ENKUlT_T0_E_clISt17integral_constantIbLb0EES1O_IbLb1EEEEDaS1K_S1L_EUlS1K_E_NS1_11comp_targetILNS1_3genE3ELNS1_11target_archE908ELNS1_3gpuE7ELNS1_3repE0EEENS1_30default_config_static_selectorELNS0_4arch9wavefront6targetE1EEEvSY_ ; -- Begin function _ZN7rocprim17ROCPRIM_400000_NS6detail17trampoline_kernelINS0_13select_configILj256ELj13ELNS0_17block_load_methodE3ELS4_3ELS4_3ELNS0_20block_scan_algorithmE0ELj4294967295EEENS1_25partition_config_selectorILNS1_17partition_subalgoE3EjNS0_10empty_typeEbEEZZNS1_14partition_implILS8_3ELb0ES6_jNS0_17counting_iteratorIjlEEPS9_SE_NS0_5tupleIJPjSE_EEENSF_IJSE_SE_EEES9_SG_JZNS1_25segmented_radix_sort_implINS0_14default_configELb0EPKdPdPKlPlN2at6native12_GLOBAL__N_18offset_tEEE10hipError_tPvRmT1_PNSt15iterator_traitsISY_E10value_typeET2_T3_PNSZ_IS14_E10value_typeET4_jRbjT5_S1A_jjP12ihipStream_tbEUljE_EEESV_SW_SX_S14_S18_S1A_T6_T7_T9_mT8_S1C_bDpT10_ENKUlT_T0_E_clISt17integral_constantIbLb0EES1O_IbLb1EEEEDaS1K_S1L_EUlS1K_E_NS1_11comp_targetILNS1_3genE3ELNS1_11target_archE908ELNS1_3gpuE7ELNS1_3repE0EEENS1_30default_config_static_selectorELNS0_4arch9wavefront6targetE1EEEvSY_
	.p2align	8
	.type	_ZN7rocprim17ROCPRIM_400000_NS6detail17trampoline_kernelINS0_13select_configILj256ELj13ELNS0_17block_load_methodE3ELS4_3ELS4_3ELNS0_20block_scan_algorithmE0ELj4294967295EEENS1_25partition_config_selectorILNS1_17partition_subalgoE3EjNS0_10empty_typeEbEEZZNS1_14partition_implILS8_3ELb0ES6_jNS0_17counting_iteratorIjlEEPS9_SE_NS0_5tupleIJPjSE_EEENSF_IJSE_SE_EEES9_SG_JZNS1_25segmented_radix_sort_implINS0_14default_configELb0EPKdPdPKlPlN2at6native12_GLOBAL__N_18offset_tEEE10hipError_tPvRmT1_PNSt15iterator_traitsISY_E10value_typeET2_T3_PNSZ_IS14_E10value_typeET4_jRbjT5_S1A_jjP12ihipStream_tbEUljE_EEESV_SW_SX_S14_S18_S1A_T6_T7_T9_mT8_S1C_bDpT10_ENKUlT_T0_E_clISt17integral_constantIbLb0EES1O_IbLb1EEEEDaS1K_S1L_EUlS1K_E_NS1_11comp_targetILNS1_3genE3ELNS1_11target_archE908ELNS1_3gpuE7ELNS1_3repE0EEENS1_30default_config_static_selectorELNS0_4arch9wavefront6targetE1EEEvSY_,@function
_ZN7rocprim17ROCPRIM_400000_NS6detail17trampoline_kernelINS0_13select_configILj256ELj13ELNS0_17block_load_methodE3ELS4_3ELS4_3ELNS0_20block_scan_algorithmE0ELj4294967295EEENS1_25partition_config_selectorILNS1_17partition_subalgoE3EjNS0_10empty_typeEbEEZZNS1_14partition_implILS8_3ELb0ES6_jNS0_17counting_iteratorIjlEEPS9_SE_NS0_5tupleIJPjSE_EEENSF_IJSE_SE_EEES9_SG_JZNS1_25segmented_radix_sort_implINS0_14default_configELb0EPKdPdPKlPlN2at6native12_GLOBAL__N_18offset_tEEE10hipError_tPvRmT1_PNSt15iterator_traitsISY_E10value_typeET2_T3_PNSZ_IS14_E10value_typeET4_jRbjT5_S1A_jjP12ihipStream_tbEUljE_EEESV_SW_SX_S14_S18_S1A_T6_T7_T9_mT8_S1C_bDpT10_ENKUlT_T0_E_clISt17integral_constantIbLb0EES1O_IbLb1EEEEDaS1K_S1L_EUlS1K_E_NS1_11comp_targetILNS1_3genE3ELNS1_11target_archE908ELNS1_3gpuE7ELNS1_3repE0EEENS1_30default_config_static_selectorELNS0_4arch9wavefront6targetE1EEEvSY_: ; @_ZN7rocprim17ROCPRIM_400000_NS6detail17trampoline_kernelINS0_13select_configILj256ELj13ELNS0_17block_load_methodE3ELS4_3ELS4_3ELNS0_20block_scan_algorithmE0ELj4294967295EEENS1_25partition_config_selectorILNS1_17partition_subalgoE3EjNS0_10empty_typeEbEEZZNS1_14partition_implILS8_3ELb0ES6_jNS0_17counting_iteratorIjlEEPS9_SE_NS0_5tupleIJPjSE_EEENSF_IJSE_SE_EEES9_SG_JZNS1_25segmented_radix_sort_implINS0_14default_configELb0EPKdPdPKlPlN2at6native12_GLOBAL__N_18offset_tEEE10hipError_tPvRmT1_PNSt15iterator_traitsISY_E10value_typeET2_T3_PNSZ_IS14_E10value_typeET4_jRbjT5_S1A_jjP12ihipStream_tbEUljE_EEESV_SW_SX_S14_S18_S1A_T6_T7_T9_mT8_S1C_bDpT10_ENKUlT_T0_E_clISt17integral_constantIbLb0EES1O_IbLb1EEEEDaS1K_S1L_EUlS1K_E_NS1_11comp_targetILNS1_3genE3ELNS1_11target_archE908ELNS1_3gpuE7ELNS1_3repE0EEENS1_30default_config_static_selectorELNS0_4arch9wavefront6targetE1EEEvSY_
; %bb.0:
	.section	.rodata,"a",@progbits
	.p2align	6, 0x0
	.amdhsa_kernel _ZN7rocprim17ROCPRIM_400000_NS6detail17trampoline_kernelINS0_13select_configILj256ELj13ELNS0_17block_load_methodE3ELS4_3ELS4_3ELNS0_20block_scan_algorithmE0ELj4294967295EEENS1_25partition_config_selectorILNS1_17partition_subalgoE3EjNS0_10empty_typeEbEEZZNS1_14partition_implILS8_3ELb0ES6_jNS0_17counting_iteratorIjlEEPS9_SE_NS0_5tupleIJPjSE_EEENSF_IJSE_SE_EEES9_SG_JZNS1_25segmented_radix_sort_implINS0_14default_configELb0EPKdPdPKlPlN2at6native12_GLOBAL__N_18offset_tEEE10hipError_tPvRmT1_PNSt15iterator_traitsISY_E10value_typeET2_T3_PNSZ_IS14_E10value_typeET4_jRbjT5_S1A_jjP12ihipStream_tbEUljE_EEESV_SW_SX_S14_S18_S1A_T6_T7_T9_mT8_S1C_bDpT10_ENKUlT_T0_E_clISt17integral_constantIbLb0EES1O_IbLb1EEEEDaS1K_S1L_EUlS1K_E_NS1_11comp_targetILNS1_3genE3ELNS1_11target_archE908ELNS1_3gpuE7ELNS1_3repE0EEENS1_30default_config_static_selectorELNS0_4arch9wavefront6targetE1EEEvSY_
		.amdhsa_group_segment_fixed_size 0
		.amdhsa_private_segment_fixed_size 0
		.amdhsa_kernarg_size 152
		.amdhsa_user_sgpr_count 6
		.amdhsa_user_sgpr_private_segment_buffer 1
		.amdhsa_user_sgpr_dispatch_ptr 0
		.amdhsa_user_sgpr_queue_ptr 0
		.amdhsa_user_sgpr_kernarg_segment_ptr 1
		.amdhsa_user_sgpr_dispatch_id 0
		.amdhsa_user_sgpr_flat_scratch_init 0
		.amdhsa_user_sgpr_private_segment_size 0
		.amdhsa_uses_dynamic_stack 0
		.amdhsa_system_sgpr_private_segment_wavefront_offset 0
		.amdhsa_system_sgpr_workgroup_id_x 1
		.amdhsa_system_sgpr_workgroup_id_y 0
		.amdhsa_system_sgpr_workgroup_id_z 0
		.amdhsa_system_sgpr_workgroup_info 0
		.amdhsa_system_vgpr_workitem_id 0
		.amdhsa_next_free_vgpr 1
		.amdhsa_next_free_sgpr 0
		.amdhsa_reserve_vcc 0
		.amdhsa_reserve_flat_scratch 0
		.amdhsa_float_round_mode_32 0
		.amdhsa_float_round_mode_16_64 0
		.amdhsa_float_denorm_mode_32 3
		.amdhsa_float_denorm_mode_16_64 3
		.amdhsa_dx10_clamp 1
		.amdhsa_ieee_mode 1
		.amdhsa_fp16_overflow 0
		.amdhsa_exception_fp_ieee_invalid_op 0
		.amdhsa_exception_fp_denorm_src 0
		.amdhsa_exception_fp_ieee_div_zero 0
		.amdhsa_exception_fp_ieee_overflow 0
		.amdhsa_exception_fp_ieee_underflow 0
		.amdhsa_exception_fp_ieee_inexact 0
		.amdhsa_exception_int_div_zero 0
	.end_amdhsa_kernel
	.section	.text._ZN7rocprim17ROCPRIM_400000_NS6detail17trampoline_kernelINS0_13select_configILj256ELj13ELNS0_17block_load_methodE3ELS4_3ELS4_3ELNS0_20block_scan_algorithmE0ELj4294967295EEENS1_25partition_config_selectorILNS1_17partition_subalgoE3EjNS0_10empty_typeEbEEZZNS1_14partition_implILS8_3ELb0ES6_jNS0_17counting_iteratorIjlEEPS9_SE_NS0_5tupleIJPjSE_EEENSF_IJSE_SE_EEES9_SG_JZNS1_25segmented_radix_sort_implINS0_14default_configELb0EPKdPdPKlPlN2at6native12_GLOBAL__N_18offset_tEEE10hipError_tPvRmT1_PNSt15iterator_traitsISY_E10value_typeET2_T3_PNSZ_IS14_E10value_typeET4_jRbjT5_S1A_jjP12ihipStream_tbEUljE_EEESV_SW_SX_S14_S18_S1A_T6_T7_T9_mT8_S1C_bDpT10_ENKUlT_T0_E_clISt17integral_constantIbLb0EES1O_IbLb1EEEEDaS1K_S1L_EUlS1K_E_NS1_11comp_targetILNS1_3genE3ELNS1_11target_archE908ELNS1_3gpuE7ELNS1_3repE0EEENS1_30default_config_static_selectorELNS0_4arch9wavefront6targetE1EEEvSY_,"axG",@progbits,_ZN7rocprim17ROCPRIM_400000_NS6detail17trampoline_kernelINS0_13select_configILj256ELj13ELNS0_17block_load_methodE3ELS4_3ELS4_3ELNS0_20block_scan_algorithmE0ELj4294967295EEENS1_25partition_config_selectorILNS1_17partition_subalgoE3EjNS0_10empty_typeEbEEZZNS1_14partition_implILS8_3ELb0ES6_jNS0_17counting_iteratorIjlEEPS9_SE_NS0_5tupleIJPjSE_EEENSF_IJSE_SE_EEES9_SG_JZNS1_25segmented_radix_sort_implINS0_14default_configELb0EPKdPdPKlPlN2at6native12_GLOBAL__N_18offset_tEEE10hipError_tPvRmT1_PNSt15iterator_traitsISY_E10value_typeET2_T3_PNSZ_IS14_E10value_typeET4_jRbjT5_S1A_jjP12ihipStream_tbEUljE_EEESV_SW_SX_S14_S18_S1A_T6_T7_T9_mT8_S1C_bDpT10_ENKUlT_T0_E_clISt17integral_constantIbLb0EES1O_IbLb1EEEEDaS1K_S1L_EUlS1K_E_NS1_11comp_targetILNS1_3genE3ELNS1_11target_archE908ELNS1_3gpuE7ELNS1_3repE0EEENS1_30default_config_static_selectorELNS0_4arch9wavefront6targetE1EEEvSY_,comdat
.Lfunc_end1216:
	.size	_ZN7rocprim17ROCPRIM_400000_NS6detail17trampoline_kernelINS0_13select_configILj256ELj13ELNS0_17block_load_methodE3ELS4_3ELS4_3ELNS0_20block_scan_algorithmE0ELj4294967295EEENS1_25partition_config_selectorILNS1_17partition_subalgoE3EjNS0_10empty_typeEbEEZZNS1_14partition_implILS8_3ELb0ES6_jNS0_17counting_iteratorIjlEEPS9_SE_NS0_5tupleIJPjSE_EEENSF_IJSE_SE_EEES9_SG_JZNS1_25segmented_radix_sort_implINS0_14default_configELb0EPKdPdPKlPlN2at6native12_GLOBAL__N_18offset_tEEE10hipError_tPvRmT1_PNSt15iterator_traitsISY_E10value_typeET2_T3_PNSZ_IS14_E10value_typeET4_jRbjT5_S1A_jjP12ihipStream_tbEUljE_EEESV_SW_SX_S14_S18_S1A_T6_T7_T9_mT8_S1C_bDpT10_ENKUlT_T0_E_clISt17integral_constantIbLb0EES1O_IbLb1EEEEDaS1K_S1L_EUlS1K_E_NS1_11comp_targetILNS1_3genE3ELNS1_11target_archE908ELNS1_3gpuE7ELNS1_3repE0EEENS1_30default_config_static_selectorELNS0_4arch9wavefront6targetE1EEEvSY_, .Lfunc_end1216-_ZN7rocprim17ROCPRIM_400000_NS6detail17trampoline_kernelINS0_13select_configILj256ELj13ELNS0_17block_load_methodE3ELS4_3ELS4_3ELNS0_20block_scan_algorithmE0ELj4294967295EEENS1_25partition_config_selectorILNS1_17partition_subalgoE3EjNS0_10empty_typeEbEEZZNS1_14partition_implILS8_3ELb0ES6_jNS0_17counting_iteratorIjlEEPS9_SE_NS0_5tupleIJPjSE_EEENSF_IJSE_SE_EEES9_SG_JZNS1_25segmented_radix_sort_implINS0_14default_configELb0EPKdPdPKlPlN2at6native12_GLOBAL__N_18offset_tEEE10hipError_tPvRmT1_PNSt15iterator_traitsISY_E10value_typeET2_T3_PNSZ_IS14_E10value_typeET4_jRbjT5_S1A_jjP12ihipStream_tbEUljE_EEESV_SW_SX_S14_S18_S1A_T6_T7_T9_mT8_S1C_bDpT10_ENKUlT_T0_E_clISt17integral_constantIbLb0EES1O_IbLb1EEEEDaS1K_S1L_EUlS1K_E_NS1_11comp_targetILNS1_3genE3ELNS1_11target_archE908ELNS1_3gpuE7ELNS1_3repE0EEENS1_30default_config_static_selectorELNS0_4arch9wavefront6targetE1EEEvSY_
                                        ; -- End function
	.set _ZN7rocprim17ROCPRIM_400000_NS6detail17trampoline_kernelINS0_13select_configILj256ELj13ELNS0_17block_load_methodE3ELS4_3ELS4_3ELNS0_20block_scan_algorithmE0ELj4294967295EEENS1_25partition_config_selectorILNS1_17partition_subalgoE3EjNS0_10empty_typeEbEEZZNS1_14partition_implILS8_3ELb0ES6_jNS0_17counting_iteratorIjlEEPS9_SE_NS0_5tupleIJPjSE_EEENSF_IJSE_SE_EEES9_SG_JZNS1_25segmented_radix_sort_implINS0_14default_configELb0EPKdPdPKlPlN2at6native12_GLOBAL__N_18offset_tEEE10hipError_tPvRmT1_PNSt15iterator_traitsISY_E10value_typeET2_T3_PNSZ_IS14_E10value_typeET4_jRbjT5_S1A_jjP12ihipStream_tbEUljE_EEESV_SW_SX_S14_S18_S1A_T6_T7_T9_mT8_S1C_bDpT10_ENKUlT_T0_E_clISt17integral_constantIbLb0EES1O_IbLb1EEEEDaS1K_S1L_EUlS1K_E_NS1_11comp_targetILNS1_3genE3ELNS1_11target_archE908ELNS1_3gpuE7ELNS1_3repE0EEENS1_30default_config_static_selectorELNS0_4arch9wavefront6targetE1EEEvSY_.num_vgpr, 0
	.set _ZN7rocprim17ROCPRIM_400000_NS6detail17trampoline_kernelINS0_13select_configILj256ELj13ELNS0_17block_load_methodE3ELS4_3ELS4_3ELNS0_20block_scan_algorithmE0ELj4294967295EEENS1_25partition_config_selectorILNS1_17partition_subalgoE3EjNS0_10empty_typeEbEEZZNS1_14partition_implILS8_3ELb0ES6_jNS0_17counting_iteratorIjlEEPS9_SE_NS0_5tupleIJPjSE_EEENSF_IJSE_SE_EEES9_SG_JZNS1_25segmented_radix_sort_implINS0_14default_configELb0EPKdPdPKlPlN2at6native12_GLOBAL__N_18offset_tEEE10hipError_tPvRmT1_PNSt15iterator_traitsISY_E10value_typeET2_T3_PNSZ_IS14_E10value_typeET4_jRbjT5_S1A_jjP12ihipStream_tbEUljE_EEESV_SW_SX_S14_S18_S1A_T6_T7_T9_mT8_S1C_bDpT10_ENKUlT_T0_E_clISt17integral_constantIbLb0EES1O_IbLb1EEEEDaS1K_S1L_EUlS1K_E_NS1_11comp_targetILNS1_3genE3ELNS1_11target_archE908ELNS1_3gpuE7ELNS1_3repE0EEENS1_30default_config_static_selectorELNS0_4arch9wavefront6targetE1EEEvSY_.num_agpr, 0
	.set _ZN7rocprim17ROCPRIM_400000_NS6detail17trampoline_kernelINS0_13select_configILj256ELj13ELNS0_17block_load_methodE3ELS4_3ELS4_3ELNS0_20block_scan_algorithmE0ELj4294967295EEENS1_25partition_config_selectorILNS1_17partition_subalgoE3EjNS0_10empty_typeEbEEZZNS1_14partition_implILS8_3ELb0ES6_jNS0_17counting_iteratorIjlEEPS9_SE_NS0_5tupleIJPjSE_EEENSF_IJSE_SE_EEES9_SG_JZNS1_25segmented_radix_sort_implINS0_14default_configELb0EPKdPdPKlPlN2at6native12_GLOBAL__N_18offset_tEEE10hipError_tPvRmT1_PNSt15iterator_traitsISY_E10value_typeET2_T3_PNSZ_IS14_E10value_typeET4_jRbjT5_S1A_jjP12ihipStream_tbEUljE_EEESV_SW_SX_S14_S18_S1A_T6_T7_T9_mT8_S1C_bDpT10_ENKUlT_T0_E_clISt17integral_constantIbLb0EES1O_IbLb1EEEEDaS1K_S1L_EUlS1K_E_NS1_11comp_targetILNS1_3genE3ELNS1_11target_archE908ELNS1_3gpuE7ELNS1_3repE0EEENS1_30default_config_static_selectorELNS0_4arch9wavefront6targetE1EEEvSY_.numbered_sgpr, 0
	.set _ZN7rocprim17ROCPRIM_400000_NS6detail17trampoline_kernelINS0_13select_configILj256ELj13ELNS0_17block_load_methodE3ELS4_3ELS4_3ELNS0_20block_scan_algorithmE0ELj4294967295EEENS1_25partition_config_selectorILNS1_17partition_subalgoE3EjNS0_10empty_typeEbEEZZNS1_14partition_implILS8_3ELb0ES6_jNS0_17counting_iteratorIjlEEPS9_SE_NS0_5tupleIJPjSE_EEENSF_IJSE_SE_EEES9_SG_JZNS1_25segmented_radix_sort_implINS0_14default_configELb0EPKdPdPKlPlN2at6native12_GLOBAL__N_18offset_tEEE10hipError_tPvRmT1_PNSt15iterator_traitsISY_E10value_typeET2_T3_PNSZ_IS14_E10value_typeET4_jRbjT5_S1A_jjP12ihipStream_tbEUljE_EEESV_SW_SX_S14_S18_S1A_T6_T7_T9_mT8_S1C_bDpT10_ENKUlT_T0_E_clISt17integral_constantIbLb0EES1O_IbLb1EEEEDaS1K_S1L_EUlS1K_E_NS1_11comp_targetILNS1_3genE3ELNS1_11target_archE908ELNS1_3gpuE7ELNS1_3repE0EEENS1_30default_config_static_selectorELNS0_4arch9wavefront6targetE1EEEvSY_.num_named_barrier, 0
	.set _ZN7rocprim17ROCPRIM_400000_NS6detail17trampoline_kernelINS0_13select_configILj256ELj13ELNS0_17block_load_methodE3ELS4_3ELS4_3ELNS0_20block_scan_algorithmE0ELj4294967295EEENS1_25partition_config_selectorILNS1_17partition_subalgoE3EjNS0_10empty_typeEbEEZZNS1_14partition_implILS8_3ELb0ES6_jNS0_17counting_iteratorIjlEEPS9_SE_NS0_5tupleIJPjSE_EEENSF_IJSE_SE_EEES9_SG_JZNS1_25segmented_radix_sort_implINS0_14default_configELb0EPKdPdPKlPlN2at6native12_GLOBAL__N_18offset_tEEE10hipError_tPvRmT1_PNSt15iterator_traitsISY_E10value_typeET2_T3_PNSZ_IS14_E10value_typeET4_jRbjT5_S1A_jjP12ihipStream_tbEUljE_EEESV_SW_SX_S14_S18_S1A_T6_T7_T9_mT8_S1C_bDpT10_ENKUlT_T0_E_clISt17integral_constantIbLb0EES1O_IbLb1EEEEDaS1K_S1L_EUlS1K_E_NS1_11comp_targetILNS1_3genE3ELNS1_11target_archE908ELNS1_3gpuE7ELNS1_3repE0EEENS1_30default_config_static_selectorELNS0_4arch9wavefront6targetE1EEEvSY_.private_seg_size, 0
	.set _ZN7rocprim17ROCPRIM_400000_NS6detail17trampoline_kernelINS0_13select_configILj256ELj13ELNS0_17block_load_methodE3ELS4_3ELS4_3ELNS0_20block_scan_algorithmE0ELj4294967295EEENS1_25partition_config_selectorILNS1_17partition_subalgoE3EjNS0_10empty_typeEbEEZZNS1_14partition_implILS8_3ELb0ES6_jNS0_17counting_iteratorIjlEEPS9_SE_NS0_5tupleIJPjSE_EEENSF_IJSE_SE_EEES9_SG_JZNS1_25segmented_radix_sort_implINS0_14default_configELb0EPKdPdPKlPlN2at6native12_GLOBAL__N_18offset_tEEE10hipError_tPvRmT1_PNSt15iterator_traitsISY_E10value_typeET2_T3_PNSZ_IS14_E10value_typeET4_jRbjT5_S1A_jjP12ihipStream_tbEUljE_EEESV_SW_SX_S14_S18_S1A_T6_T7_T9_mT8_S1C_bDpT10_ENKUlT_T0_E_clISt17integral_constantIbLb0EES1O_IbLb1EEEEDaS1K_S1L_EUlS1K_E_NS1_11comp_targetILNS1_3genE3ELNS1_11target_archE908ELNS1_3gpuE7ELNS1_3repE0EEENS1_30default_config_static_selectorELNS0_4arch9wavefront6targetE1EEEvSY_.uses_vcc, 0
	.set _ZN7rocprim17ROCPRIM_400000_NS6detail17trampoline_kernelINS0_13select_configILj256ELj13ELNS0_17block_load_methodE3ELS4_3ELS4_3ELNS0_20block_scan_algorithmE0ELj4294967295EEENS1_25partition_config_selectorILNS1_17partition_subalgoE3EjNS0_10empty_typeEbEEZZNS1_14partition_implILS8_3ELb0ES6_jNS0_17counting_iteratorIjlEEPS9_SE_NS0_5tupleIJPjSE_EEENSF_IJSE_SE_EEES9_SG_JZNS1_25segmented_radix_sort_implINS0_14default_configELb0EPKdPdPKlPlN2at6native12_GLOBAL__N_18offset_tEEE10hipError_tPvRmT1_PNSt15iterator_traitsISY_E10value_typeET2_T3_PNSZ_IS14_E10value_typeET4_jRbjT5_S1A_jjP12ihipStream_tbEUljE_EEESV_SW_SX_S14_S18_S1A_T6_T7_T9_mT8_S1C_bDpT10_ENKUlT_T0_E_clISt17integral_constantIbLb0EES1O_IbLb1EEEEDaS1K_S1L_EUlS1K_E_NS1_11comp_targetILNS1_3genE3ELNS1_11target_archE908ELNS1_3gpuE7ELNS1_3repE0EEENS1_30default_config_static_selectorELNS0_4arch9wavefront6targetE1EEEvSY_.uses_flat_scratch, 0
	.set _ZN7rocprim17ROCPRIM_400000_NS6detail17trampoline_kernelINS0_13select_configILj256ELj13ELNS0_17block_load_methodE3ELS4_3ELS4_3ELNS0_20block_scan_algorithmE0ELj4294967295EEENS1_25partition_config_selectorILNS1_17partition_subalgoE3EjNS0_10empty_typeEbEEZZNS1_14partition_implILS8_3ELb0ES6_jNS0_17counting_iteratorIjlEEPS9_SE_NS0_5tupleIJPjSE_EEENSF_IJSE_SE_EEES9_SG_JZNS1_25segmented_radix_sort_implINS0_14default_configELb0EPKdPdPKlPlN2at6native12_GLOBAL__N_18offset_tEEE10hipError_tPvRmT1_PNSt15iterator_traitsISY_E10value_typeET2_T3_PNSZ_IS14_E10value_typeET4_jRbjT5_S1A_jjP12ihipStream_tbEUljE_EEESV_SW_SX_S14_S18_S1A_T6_T7_T9_mT8_S1C_bDpT10_ENKUlT_T0_E_clISt17integral_constantIbLb0EES1O_IbLb1EEEEDaS1K_S1L_EUlS1K_E_NS1_11comp_targetILNS1_3genE3ELNS1_11target_archE908ELNS1_3gpuE7ELNS1_3repE0EEENS1_30default_config_static_selectorELNS0_4arch9wavefront6targetE1EEEvSY_.has_dyn_sized_stack, 0
	.set _ZN7rocprim17ROCPRIM_400000_NS6detail17trampoline_kernelINS0_13select_configILj256ELj13ELNS0_17block_load_methodE3ELS4_3ELS4_3ELNS0_20block_scan_algorithmE0ELj4294967295EEENS1_25partition_config_selectorILNS1_17partition_subalgoE3EjNS0_10empty_typeEbEEZZNS1_14partition_implILS8_3ELb0ES6_jNS0_17counting_iteratorIjlEEPS9_SE_NS0_5tupleIJPjSE_EEENSF_IJSE_SE_EEES9_SG_JZNS1_25segmented_radix_sort_implINS0_14default_configELb0EPKdPdPKlPlN2at6native12_GLOBAL__N_18offset_tEEE10hipError_tPvRmT1_PNSt15iterator_traitsISY_E10value_typeET2_T3_PNSZ_IS14_E10value_typeET4_jRbjT5_S1A_jjP12ihipStream_tbEUljE_EEESV_SW_SX_S14_S18_S1A_T6_T7_T9_mT8_S1C_bDpT10_ENKUlT_T0_E_clISt17integral_constantIbLb0EES1O_IbLb1EEEEDaS1K_S1L_EUlS1K_E_NS1_11comp_targetILNS1_3genE3ELNS1_11target_archE908ELNS1_3gpuE7ELNS1_3repE0EEENS1_30default_config_static_selectorELNS0_4arch9wavefront6targetE1EEEvSY_.has_recursion, 0
	.set _ZN7rocprim17ROCPRIM_400000_NS6detail17trampoline_kernelINS0_13select_configILj256ELj13ELNS0_17block_load_methodE3ELS4_3ELS4_3ELNS0_20block_scan_algorithmE0ELj4294967295EEENS1_25partition_config_selectorILNS1_17partition_subalgoE3EjNS0_10empty_typeEbEEZZNS1_14partition_implILS8_3ELb0ES6_jNS0_17counting_iteratorIjlEEPS9_SE_NS0_5tupleIJPjSE_EEENSF_IJSE_SE_EEES9_SG_JZNS1_25segmented_radix_sort_implINS0_14default_configELb0EPKdPdPKlPlN2at6native12_GLOBAL__N_18offset_tEEE10hipError_tPvRmT1_PNSt15iterator_traitsISY_E10value_typeET2_T3_PNSZ_IS14_E10value_typeET4_jRbjT5_S1A_jjP12ihipStream_tbEUljE_EEESV_SW_SX_S14_S18_S1A_T6_T7_T9_mT8_S1C_bDpT10_ENKUlT_T0_E_clISt17integral_constantIbLb0EES1O_IbLb1EEEEDaS1K_S1L_EUlS1K_E_NS1_11comp_targetILNS1_3genE3ELNS1_11target_archE908ELNS1_3gpuE7ELNS1_3repE0EEENS1_30default_config_static_selectorELNS0_4arch9wavefront6targetE1EEEvSY_.has_indirect_call, 0
	.section	.AMDGPU.csdata,"",@progbits
; Kernel info:
; codeLenInByte = 0
; TotalNumSgprs: 4
; NumVgprs: 0
; ScratchSize: 0
; MemoryBound: 0
; FloatMode: 240
; IeeeMode: 1
; LDSByteSize: 0 bytes/workgroup (compile time only)
; SGPRBlocks: 0
; VGPRBlocks: 0
; NumSGPRsForWavesPerEU: 4
; NumVGPRsForWavesPerEU: 1
; Occupancy: 10
; WaveLimiterHint : 0
; COMPUTE_PGM_RSRC2:SCRATCH_EN: 0
; COMPUTE_PGM_RSRC2:USER_SGPR: 6
; COMPUTE_PGM_RSRC2:TRAP_HANDLER: 0
; COMPUTE_PGM_RSRC2:TGID_X_EN: 1
; COMPUTE_PGM_RSRC2:TGID_Y_EN: 0
; COMPUTE_PGM_RSRC2:TGID_Z_EN: 0
; COMPUTE_PGM_RSRC2:TIDIG_COMP_CNT: 0
	.section	.text._ZN7rocprim17ROCPRIM_400000_NS6detail17trampoline_kernelINS0_13select_configILj256ELj13ELNS0_17block_load_methodE3ELS4_3ELS4_3ELNS0_20block_scan_algorithmE0ELj4294967295EEENS1_25partition_config_selectorILNS1_17partition_subalgoE3EjNS0_10empty_typeEbEEZZNS1_14partition_implILS8_3ELb0ES6_jNS0_17counting_iteratorIjlEEPS9_SE_NS0_5tupleIJPjSE_EEENSF_IJSE_SE_EEES9_SG_JZNS1_25segmented_radix_sort_implINS0_14default_configELb0EPKdPdPKlPlN2at6native12_GLOBAL__N_18offset_tEEE10hipError_tPvRmT1_PNSt15iterator_traitsISY_E10value_typeET2_T3_PNSZ_IS14_E10value_typeET4_jRbjT5_S1A_jjP12ihipStream_tbEUljE_EEESV_SW_SX_S14_S18_S1A_T6_T7_T9_mT8_S1C_bDpT10_ENKUlT_T0_E_clISt17integral_constantIbLb0EES1O_IbLb1EEEEDaS1K_S1L_EUlS1K_E_NS1_11comp_targetILNS1_3genE2ELNS1_11target_archE906ELNS1_3gpuE6ELNS1_3repE0EEENS1_30default_config_static_selectorELNS0_4arch9wavefront6targetE1EEEvSY_,"axG",@progbits,_ZN7rocprim17ROCPRIM_400000_NS6detail17trampoline_kernelINS0_13select_configILj256ELj13ELNS0_17block_load_methodE3ELS4_3ELS4_3ELNS0_20block_scan_algorithmE0ELj4294967295EEENS1_25partition_config_selectorILNS1_17partition_subalgoE3EjNS0_10empty_typeEbEEZZNS1_14partition_implILS8_3ELb0ES6_jNS0_17counting_iteratorIjlEEPS9_SE_NS0_5tupleIJPjSE_EEENSF_IJSE_SE_EEES9_SG_JZNS1_25segmented_radix_sort_implINS0_14default_configELb0EPKdPdPKlPlN2at6native12_GLOBAL__N_18offset_tEEE10hipError_tPvRmT1_PNSt15iterator_traitsISY_E10value_typeET2_T3_PNSZ_IS14_E10value_typeET4_jRbjT5_S1A_jjP12ihipStream_tbEUljE_EEESV_SW_SX_S14_S18_S1A_T6_T7_T9_mT8_S1C_bDpT10_ENKUlT_T0_E_clISt17integral_constantIbLb0EES1O_IbLb1EEEEDaS1K_S1L_EUlS1K_E_NS1_11comp_targetILNS1_3genE2ELNS1_11target_archE906ELNS1_3gpuE6ELNS1_3repE0EEENS1_30default_config_static_selectorELNS0_4arch9wavefront6targetE1EEEvSY_,comdat
	.globl	_ZN7rocprim17ROCPRIM_400000_NS6detail17trampoline_kernelINS0_13select_configILj256ELj13ELNS0_17block_load_methodE3ELS4_3ELS4_3ELNS0_20block_scan_algorithmE0ELj4294967295EEENS1_25partition_config_selectorILNS1_17partition_subalgoE3EjNS0_10empty_typeEbEEZZNS1_14partition_implILS8_3ELb0ES6_jNS0_17counting_iteratorIjlEEPS9_SE_NS0_5tupleIJPjSE_EEENSF_IJSE_SE_EEES9_SG_JZNS1_25segmented_radix_sort_implINS0_14default_configELb0EPKdPdPKlPlN2at6native12_GLOBAL__N_18offset_tEEE10hipError_tPvRmT1_PNSt15iterator_traitsISY_E10value_typeET2_T3_PNSZ_IS14_E10value_typeET4_jRbjT5_S1A_jjP12ihipStream_tbEUljE_EEESV_SW_SX_S14_S18_S1A_T6_T7_T9_mT8_S1C_bDpT10_ENKUlT_T0_E_clISt17integral_constantIbLb0EES1O_IbLb1EEEEDaS1K_S1L_EUlS1K_E_NS1_11comp_targetILNS1_3genE2ELNS1_11target_archE906ELNS1_3gpuE6ELNS1_3repE0EEENS1_30default_config_static_selectorELNS0_4arch9wavefront6targetE1EEEvSY_ ; -- Begin function _ZN7rocprim17ROCPRIM_400000_NS6detail17trampoline_kernelINS0_13select_configILj256ELj13ELNS0_17block_load_methodE3ELS4_3ELS4_3ELNS0_20block_scan_algorithmE0ELj4294967295EEENS1_25partition_config_selectorILNS1_17partition_subalgoE3EjNS0_10empty_typeEbEEZZNS1_14partition_implILS8_3ELb0ES6_jNS0_17counting_iteratorIjlEEPS9_SE_NS0_5tupleIJPjSE_EEENSF_IJSE_SE_EEES9_SG_JZNS1_25segmented_radix_sort_implINS0_14default_configELb0EPKdPdPKlPlN2at6native12_GLOBAL__N_18offset_tEEE10hipError_tPvRmT1_PNSt15iterator_traitsISY_E10value_typeET2_T3_PNSZ_IS14_E10value_typeET4_jRbjT5_S1A_jjP12ihipStream_tbEUljE_EEESV_SW_SX_S14_S18_S1A_T6_T7_T9_mT8_S1C_bDpT10_ENKUlT_T0_E_clISt17integral_constantIbLb0EES1O_IbLb1EEEEDaS1K_S1L_EUlS1K_E_NS1_11comp_targetILNS1_3genE2ELNS1_11target_archE906ELNS1_3gpuE6ELNS1_3repE0EEENS1_30default_config_static_selectorELNS0_4arch9wavefront6targetE1EEEvSY_
	.p2align	8
	.type	_ZN7rocprim17ROCPRIM_400000_NS6detail17trampoline_kernelINS0_13select_configILj256ELj13ELNS0_17block_load_methodE3ELS4_3ELS4_3ELNS0_20block_scan_algorithmE0ELj4294967295EEENS1_25partition_config_selectorILNS1_17partition_subalgoE3EjNS0_10empty_typeEbEEZZNS1_14partition_implILS8_3ELb0ES6_jNS0_17counting_iteratorIjlEEPS9_SE_NS0_5tupleIJPjSE_EEENSF_IJSE_SE_EEES9_SG_JZNS1_25segmented_radix_sort_implINS0_14default_configELb0EPKdPdPKlPlN2at6native12_GLOBAL__N_18offset_tEEE10hipError_tPvRmT1_PNSt15iterator_traitsISY_E10value_typeET2_T3_PNSZ_IS14_E10value_typeET4_jRbjT5_S1A_jjP12ihipStream_tbEUljE_EEESV_SW_SX_S14_S18_S1A_T6_T7_T9_mT8_S1C_bDpT10_ENKUlT_T0_E_clISt17integral_constantIbLb0EES1O_IbLb1EEEEDaS1K_S1L_EUlS1K_E_NS1_11comp_targetILNS1_3genE2ELNS1_11target_archE906ELNS1_3gpuE6ELNS1_3repE0EEENS1_30default_config_static_selectorELNS0_4arch9wavefront6targetE1EEEvSY_,@function
_ZN7rocprim17ROCPRIM_400000_NS6detail17trampoline_kernelINS0_13select_configILj256ELj13ELNS0_17block_load_methodE3ELS4_3ELS4_3ELNS0_20block_scan_algorithmE0ELj4294967295EEENS1_25partition_config_selectorILNS1_17partition_subalgoE3EjNS0_10empty_typeEbEEZZNS1_14partition_implILS8_3ELb0ES6_jNS0_17counting_iteratorIjlEEPS9_SE_NS0_5tupleIJPjSE_EEENSF_IJSE_SE_EEES9_SG_JZNS1_25segmented_radix_sort_implINS0_14default_configELb0EPKdPdPKlPlN2at6native12_GLOBAL__N_18offset_tEEE10hipError_tPvRmT1_PNSt15iterator_traitsISY_E10value_typeET2_T3_PNSZ_IS14_E10value_typeET4_jRbjT5_S1A_jjP12ihipStream_tbEUljE_EEESV_SW_SX_S14_S18_S1A_T6_T7_T9_mT8_S1C_bDpT10_ENKUlT_T0_E_clISt17integral_constantIbLb0EES1O_IbLb1EEEEDaS1K_S1L_EUlS1K_E_NS1_11comp_targetILNS1_3genE2ELNS1_11target_archE906ELNS1_3gpuE6ELNS1_3repE0EEENS1_30default_config_static_selectorELNS0_4arch9wavefront6targetE1EEEvSY_: ; @_ZN7rocprim17ROCPRIM_400000_NS6detail17trampoline_kernelINS0_13select_configILj256ELj13ELNS0_17block_load_methodE3ELS4_3ELS4_3ELNS0_20block_scan_algorithmE0ELj4294967295EEENS1_25partition_config_selectorILNS1_17partition_subalgoE3EjNS0_10empty_typeEbEEZZNS1_14partition_implILS8_3ELb0ES6_jNS0_17counting_iteratorIjlEEPS9_SE_NS0_5tupleIJPjSE_EEENSF_IJSE_SE_EEES9_SG_JZNS1_25segmented_radix_sort_implINS0_14default_configELb0EPKdPdPKlPlN2at6native12_GLOBAL__N_18offset_tEEE10hipError_tPvRmT1_PNSt15iterator_traitsISY_E10value_typeET2_T3_PNSZ_IS14_E10value_typeET4_jRbjT5_S1A_jjP12ihipStream_tbEUljE_EEESV_SW_SX_S14_S18_S1A_T6_T7_T9_mT8_S1C_bDpT10_ENKUlT_T0_E_clISt17integral_constantIbLb0EES1O_IbLb1EEEEDaS1K_S1L_EUlS1K_E_NS1_11comp_targetILNS1_3genE2ELNS1_11target_archE906ELNS1_3gpuE6ELNS1_3repE0EEENS1_30default_config_static_selectorELNS0_4arch9wavefront6targetE1EEEvSY_
; %bb.0:
	s_load_dwordx2 s[28:29], s[4:5], 0x10
	s_load_dwordx2 s[22:23], s[4:5], 0x28
	;; [unrolled: 1-line block ×3, first 2 shown]
	s_load_dwordx4 s[24:27], s[4:5], 0x48
	s_load_dword s14, s[4:5], 0x90
	s_load_dwordx2 s[34:35], s[4:5], 0x68
	s_load_dwordx4 s[8:11], s[4:5], 0x80
	v_cmp_eq_u32_e64 s[0:1], 0, v0
	s_and_saveexec_b64 s[2:3], s[0:1]
	s_cbranch_execz .LBB1217_4
; %bb.1:
	s_mov_b64 s[12:13], exec
	v_mbcnt_lo_u32_b32 v1, s12, 0
	v_mbcnt_hi_u32_b32 v1, s13, v1
	v_cmp_eq_u32_e32 vcc, 0, v1
                                        ; implicit-def: $vgpr2
	s_and_saveexec_b64 s[6:7], vcc
	s_cbranch_execz .LBB1217_3
; %bb.2:
	s_load_dwordx2 s[16:17], s[4:5], 0x78
	s_bcnt1_i32_b64 s12, s[12:13]
	v_mov_b32_e32 v2, 0
	v_mov_b32_e32 v3, s12
	s_waitcnt lgkmcnt(0)
	global_atomic_add v2, v2, v3, s[16:17] glc
.LBB1217_3:
	s_or_b64 exec, exec, s[6:7]
	s_waitcnt vmcnt(0)
	v_readfirstlane_b32 s6, v2
	v_add_u32_e32 v1, s6, v1
	v_mov_b32_e32 v2, 0
	ds_write_b32 v2, v1
.LBB1217_4:
	s_or_b64 exec, exec, s[2:3]
	v_mov_b32_e32 v1, 0
	s_load_dword s6, s[4:5], 0x8
	s_load_dword s2, s[4:5], 0x70
	s_waitcnt lgkmcnt(0)
	s_barrier
	ds_read_b32 v5, v1
	s_waitcnt lgkmcnt(0)
	s_barrier
	global_load_dwordx2 v[3:4], v1, s[26:27]
	s_add_i32 s4, s2, -1
	s_mulk_i32 s2, 0xd00
	s_add_i32 s3, s2, s28
	s_sub_i32 s33, s30, s3
	s_add_i32 s6, s6, s28
	s_addk_i32 s33, 0xd00
	s_add_u32 s2, s28, s2
	s_addc_u32 s3, s29, 0
	v_mov_b32_e32 v1, s2
	v_mov_b32_e32 v2, s3
	v_readfirstlane_b32 s43, v5
	v_cmp_gt_u64_e32 vcc, s[30:31], v[1:2]
	s_cmp_eq_u32 s43, s4
	v_cmp_ne_u32_e64 s[2:3], s4, v5
	s_cselect_b64 s[26:27], -1, 0
	s_or_b64 s[4:5], vcc, s[2:3]
	s_mul_i32 s42, s43, 0xd00
	s_mov_b64 s[2:3], -1
	s_and_b64 vcc, exec, s[4:5]
	v_lshlrev_b32_e32 v25, 2, v0
	s_cbranch_vccz .LBB1217_6
; %bb.5:
	s_add_i32 s2, s42, s6
	v_add_u32_e32 v1, s2, v0
	v_add_u32_e32 v2, 0x100, v1
	v_add_u32_e32 v5, 0x200, v1
	v_add_u32_e32 v6, 0x300, v1
	v_add_u32_e32 v7, 0x400, v1
	v_add_u32_e32 v8, 0x500, v1
	v_add_u32_e32 v9, 0x600, v1
	v_add_u32_e32 v10, 0x700, v1
	v_add_u32_e32 v11, 0x800, v1
	v_add_u32_e32 v12, 0x900, v1
	v_add_u32_e32 v13, 0xa00, v1
	v_add_u32_e32 v14, 0xb00, v1
	v_add_u32_e32 v15, 0xc00, v1
	ds_write2st64_b32 v25, v1, v2 offset1:4
	ds_write2st64_b32 v25, v5, v6 offset0:8 offset1:12
	ds_write2st64_b32 v25, v7, v8 offset0:16 offset1:20
	;; [unrolled: 1-line block ×5, first 2 shown]
	ds_write_b32 v25, v15 offset:12288
	s_waitcnt vmcnt(0) lgkmcnt(0)
	s_barrier
	s_mov_b64 s[2:3], 0
.LBB1217_6:
	s_andn2_b64 vcc, exec, s[2:3]
	v_cmp_gt_u32_e64 s[2:3], s33, v0
	s_cbranch_vccnz .LBB1217_8
; %bb.7:
	s_add_i32 s6, s42, s6
	v_or_b32_e32 v2, 0x100, v0
	v_add_u32_e32 v5, s6, v2
	v_cmp_gt_u32_e32 vcc, s33, v2
	v_cndmask_b32_e32 v2, 0, v5, vcc
	v_or_b32_e32 v5, 0x200, v0
	v_add_u32_e32 v6, s6, v5
	v_cmp_gt_u32_e32 vcc, s33, v5
	v_cndmask_b32_e32 v5, 0, v6, vcc
	;; [unrolled: 4-line block ×10, first 2 shown]
	v_or_b32_e32 v14, 0xb00, v0
	v_add_u32_e32 v15, s6, v14
	v_cmp_gt_u32_e32 vcc, s33, v14
	v_add_u32_e32 v1, s6, v0
	v_cndmask_b32_e32 v14, 0, v15, vcc
	v_or_b32_e32 v15, 0xc00, v0
	v_cndmask_b32_e64 v1, 0, v1, s[2:3]
	v_add_u32_e32 v16, s6, v15
	v_cmp_gt_u32_e32 vcc, s33, v15
	v_cndmask_b32_e32 v15, 0, v16, vcc
	ds_write2st64_b32 v25, v1, v2 offset1:4
	ds_write2st64_b32 v25, v5, v6 offset0:8 offset1:12
	ds_write2st64_b32 v25, v7, v8 offset0:16 offset1:20
	;; [unrolled: 1-line block ×5, first 2 shown]
	ds_write_b32 v25, v15 offset:12288
	s_waitcnt vmcnt(0) lgkmcnt(0)
	s_barrier
.LBB1217_8:
	v_mul_u32_u24_e32 v27, 13, v0
	v_lshlrev_b32_e32 v1, 2, v27
	ds_read2_b32 v[15:16], v1 offset1:1
	ds_read2_b32 v[13:14], v1 offset0:2 offset1:3
	ds_read2_b32 v[11:12], v1 offset0:4 offset1:5
	;; [unrolled: 1-line block ×5, first 2 shown]
	ds_read_b32 v26, v1 offset:48
	v_cndmask_b32_e64 v1, 0, 1, s[4:5]
	v_cmp_ne_u32_e64 s[2:3], 1, v1
	s_andn2_b64 vcc, exec, s[4:5]
	s_waitcnt vmcnt(0) lgkmcnt(0)
	s_barrier
	s_cbranch_vccnz .LBB1217_10
; %bb.9:
	v_add_u32_e32 v1, s9, v15
	v_add_u32_e32 v2, s11, v15
	v_mul_lo_u32 v1, v1, s8
	v_mul_lo_u32 v2, v2, s10
	v_add_u32_e32 v17, s9, v13
	v_add_u32_e32 v18, s11, v13
	v_mul_lo_u32 v17, v17, s8
	v_sub_u32_e32 v1, v1, v2
	v_cmp_lt_u32_e32 vcc, s14, v1
	v_add_u32_e32 v1, s9, v16
	v_add_u32_e32 v2, s11, v16
	v_mul_lo_u32 v1, v1, s8
	v_mul_lo_u32 v2, v2, s10
	v_mul_lo_u32 v18, v18, s10
	v_cndmask_b32_e64 v28, 0, 1, vcc
	v_sub_u32_e32 v1, v1, v2
	v_cmp_lt_u32_e32 vcc, s14, v1
	v_sub_u32_e32 v1, v17, v18
	v_cndmask_b32_e64 v29, 0, 1, vcc
	v_cmp_lt_u32_e32 vcc, s14, v1
	v_add_u32_e32 v1, s9, v14
	v_add_u32_e32 v2, s11, v14
	v_mul_lo_u32 v1, v1, s8
	v_mul_lo_u32 v2, v2, s10
	v_add_u32_e32 v17, s9, v11
	v_add_u32_e32 v18, s11, v11
	v_mul_lo_u32 v17, v17, s8
	v_mul_lo_u32 v18, v18, s10
	v_sub_u32_e32 v1, v1, v2
	v_cndmask_b32_e64 v30, 0, 1, vcc
	v_cmp_lt_u32_e32 vcc, s14, v1
	v_sub_u32_e32 v1, v17, v18
	v_cndmask_b32_e64 v31, 0, 1, vcc
	v_cmp_lt_u32_e32 vcc, s14, v1
	v_add_u32_e32 v1, s9, v12
	v_add_u32_e32 v2, s11, v12
	v_mul_lo_u32 v1, v1, s8
	v_mul_lo_u32 v2, v2, s10
	v_add_u32_e32 v17, s9, v9
	v_add_u32_e32 v18, s11, v9
	v_mul_lo_u32 v17, v17, s8
	v_mul_lo_u32 v18, v18, s10
	v_sub_u32_e32 v1, v1, v2
	v_cndmask_b32_e64 v32, 0, 1, vcc
	;; [unrolled: 14-line block ×5, first 2 shown]
	v_cmp_lt_u32_e32 vcc, s14, v1
	v_sub_u32_e32 v1, v17, v18
	v_cndmask_b32_e64 v39, 0, 1, vcc
	v_cmp_lt_u32_e64 s[36:37], s14, v1
	s_cbranch_execz .LBB1217_11
	s_branch .LBB1217_38
.LBB1217_10:
                                        ; implicit-def: $sgpr36_sgpr37
                                        ; implicit-def: $vgpr39
                                        ; implicit-def: $vgpr38
                                        ; implicit-def: $vgpr37
                                        ; implicit-def: $vgpr36
                                        ; implicit-def: $vgpr35
                                        ; implicit-def: $vgpr34
                                        ; implicit-def: $vgpr33
                                        ; implicit-def: $vgpr32
                                        ; implicit-def: $vgpr28
                                        ; implicit-def: $vgpr29
                                        ; implicit-def: $vgpr30
                                        ; implicit-def: $vgpr31
.LBB1217_11:
	v_cmp_gt_u32_e32 vcc, s33, v27
	v_mov_b32_e32 v29, 0
	v_mov_b32_e32 v28, 0
	s_and_saveexec_b64 s[4:5], vcc
	s_cbranch_execz .LBB1217_13
; %bb.12:
	v_add_u32_e32 v1, s9, v15
	v_add_u32_e32 v2, s11, v15
	v_mul_lo_u32 v1, v1, s8
	v_mul_lo_u32 v2, v2, s10
	v_sub_u32_e32 v1, v1, v2
	v_cmp_lt_u32_e32 vcc, s14, v1
	v_cndmask_b32_e64 v28, 0, 1, vcc
.LBB1217_13:
	s_or_b64 exec, exec, s[4:5]
	v_add_u32_e32 v1, 1, v27
	v_cmp_gt_u32_e32 vcc, s33, v1
	s_and_saveexec_b64 s[4:5], vcc
	s_cbranch_execz .LBB1217_15
; %bb.14:
	v_add_u32_e32 v1, s9, v16
	v_add_u32_e32 v2, s11, v16
	v_mul_lo_u32 v1, v1, s8
	v_mul_lo_u32 v2, v2, s10
	v_sub_u32_e32 v1, v1, v2
	v_cmp_lt_u32_e32 vcc, s14, v1
	v_cndmask_b32_e64 v29, 0, 1, vcc
.LBB1217_15:
	s_or_b64 exec, exec, s[4:5]
	v_add_u32_e32 v1, 2, v27
	v_cmp_gt_u32_e32 vcc, s33, v1
	v_mov_b32_e32 v31, 0
	v_mov_b32_e32 v30, 0
	s_and_saveexec_b64 s[4:5], vcc
	s_cbranch_execz .LBB1217_17
; %bb.16:
	v_add_u32_e32 v1, s9, v13
	v_add_u32_e32 v2, s11, v13
	v_mul_lo_u32 v1, v1, s8
	v_mul_lo_u32 v2, v2, s10
	v_sub_u32_e32 v1, v1, v2
	v_cmp_lt_u32_e32 vcc, s14, v1
	v_cndmask_b32_e64 v30, 0, 1, vcc
.LBB1217_17:
	s_or_b64 exec, exec, s[4:5]
	v_add_u32_e32 v1, 3, v27
	v_cmp_gt_u32_e32 vcc, s33, v1
	s_and_saveexec_b64 s[4:5], vcc
	s_cbranch_execz .LBB1217_19
; %bb.18:
	v_add_u32_e32 v1, s9, v14
	v_add_u32_e32 v2, s11, v14
	v_mul_lo_u32 v1, v1, s8
	v_mul_lo_u32 v2, v2, s10
	v_sub_u32_e32 v1, v1, v2
	v_cmp_lt_u32_e32 vcc, s14, v1
	v_cndmask_b32_e64 v31, 0, 1, vcc
.LBB1217_19:
	s_or_b64 exec, exec, s[4:5]
	v_add_u32_e32 v1, 4, v27
	;; [unrolled: 30-line block ×6, first 2 shown]
	v_cmp_gt_u32_e32 vcc, s33, v1
	s_mov_b64 s[36:37], 0
	s_and_saveexec_b64 s[4:5], vcc
	s_cbranch_execz .LBB1217_37
; %bb.36:
	v_add_u32_e32 v1, s9, v26
	v_add_u32_e32 v2, s11, v26
	v_mul_lo_u32 v1, v1, s8
	v_mul_lo_u32 v2, v2, s10
	v_sub_u32_e32 v1, v1, v2
	v_cmp_lt_u32_e32 vcc, s14, v1
	s_and_b64 s[36:37], vcc, exec
.LBB1217_37:
	s_or_b64 exec, exec, s[4:5]
.LBB1217_38:
	v_and_b32_e32 v42, 0xff, v29
	v_and_b32_e32 v43, 0xff, v30
	;; [unrolled: 1-line block ×5, first 2 shown]
	v_add3_u32 v2, v43, v44, v42
	v_and_b32_e32 v46, 0xff, v33
	v_and_b32_e32 v47, 0xff, v34
	v_add3_u32 v2, v2, v41, v45
	v_and_b32_e32 v48, 0xff, v35
	v_and_b32_e32 v49, 0xff, v36
	;; [unrolled: 3-line block ×3, first 2 shown]
	v_add3_u32 v2, v2, v48, v49
	v_and_b32_e32 v40, 0xff, v39
	v_cndmask_b32_e64 v1, 0, 1, s[36:37]
	v_add3_u32 v2, v2, v50, v51
	v_add3_u32 v54, v2, v40, v1
	v_mbcnt_lo_u32_b32 v1, -1, 0
	v_mbcnt_hi_u32_b32 v52, -1, v1
	v_and_b32_e32 v1, 15, v52
	v_cmp_eq_u32_e64 s[16:17], 0, v1
	v_cmp_lt_u32_e64 s[14:15], 1, v1
	v_cmp_lt_u32_e64 s[12:13], 3, v1
	;; [unrolled: 1-line block ×3, first 2 shown]
	v_and_b32_e32 v1, 16, v52
	v_cmp_eq_u32_e64 s[8:9], 0, v1
	v_or_b32_e32 v1, 63, v0
	s_cmp_lg_u32 s43, 0
	v_cmp_lt_u32_e64 s[4:5], 31, v52
	v_lshrrev_b32_e32 v53, 6, v0
	v_cmp_eq_u32_e64 s[6:7], v0, v1
	s_cbranch_scc0 .LBB1217_60
; %bb.39:
	v_mov_b32_dpp v1, v54 row_shr:1 row_mask:0xf bank_mask:0xf
	v_cndmask_b32_e64 v1, v1, 0, s[16:17]
	v_add_u32_e32 v1, v1, v54
	s_nop 1
	v_mov_b32_dpp v2, v1 row_shr:2 row_mask:0xf bank_mask:0xf
	v_cndmask_b32_e64 v2, 0, v2, s[14:15]
	v_add_u32_e32 v1, v1, v2
	s_nop 1
	;; [unrolled: 4-line block ×4, first 2 shown]
	v_mov_b32_dpp v2, v1 row_bcast:15 row_mask:0xf bank_mask:0xf
	v_cndmask_b32_e64 v2, v2, 0, s[8:9]
	v_add_u32_e32 v1, v1, v2
	s_nop 1
	v_mov_b32_dpp v2, v1 row_bcast:31 row_mask:0xf bank_mask:0xf
	v_cndmask_b32_e64 v2, 0, v2, s[4:5]
	v_add_u32_e32 v1, v1, v2
	s_and_saveexec_b64 s[18:19], s[6:7]
; %bb.40:
	v_lshlrev_b32_e32 v2, 2, v53
	ds_write_b32 v2, v1
; %bb.41:
	s_or_b64 exec, exec, s[18:19]
	v_cmp_gt_u32_e32 vcc, 4, v0
	s_waitcnt lgkmcnt(0)
	s_barrier
	s_and_saveexec_b64 s[18:19], vcc
	s_cbranch_execz .LBB1217_43
; %bb.42:
	ds_read_b32 v2, v25
	v_and_b32_e32 v17, 3, v52
	v_cmp_ne_u32_e32 vcc, 0, v17
	s_waitcnt lgkmcnt(0)
	v_mov_b32_dpp v18, v2 row_shr:1 row_mask:0xf bank_mask:0xf
	v_cndmask_b32_e32 v18, 0, v18, vcc
	v_add_u32_e32 v2, v18, v2
	v_cmp_lt_u32_e32 vcc, 1, v17
	s_nop 0
	v_mov_b32_dpp v18, v2 row_shr:2 row_mask:0xf bank_mask:0xf
	v_cndmask_b32_e32 v17, 0, v18, vcc
	v_add_u32_e32 v2, v2, v17
	ds_write_b32 v25, v2
.LBB1217_43:
	s_or_b64 exec, exec, s[18:19]
	v_cmp_gt_u32_e32 vcc, 64, v0
	v_cmp_lt_u32_e64 s[18:19], 63, v0
	s_waitcnt lgkmcnt(0)
	s_barrier
                                        ; implicit-def: $vgpr55
	s_and_saveexec_b64 s[20:21], s[18:19]
	s_cbranch_execz .LBB1217_45
; %bb.44:
	v_lshl_add_u32 v2, v53, 2, -4
	ds_read_b32 v55, v2
	s_waitcnt lgkmcnt(0)
	v_add_u32_e32 v1, v55, v1
.LBB1217_45:
	s_or_b64 exec, exec, s[20:21]
	v_subrev_co_u32_e64 v2, s[18:19], 1, v52
	v_and_b32_e32 v17, 64, v52
	v_cmp_lt_i32_e64 s[20:21], v2, v17
	v_cndmask_b32_e64 v2, v2, v52, s[20:21]
	v_lshlrev_b32_e32 v2, 2, v2
	ds_bpermute_b32 v56, v2, v1
	s_and_saveexec_b64 s[20:21], vcc
	s_cbranch_execz .LBB1217_65
; %bb.46:
	v_mov_b32_e32 v21, 0
	ds_read_b32 v1, v21 offset:12
	s_and_saveexec_b64 s[38:39], s[18:19]
	s_cbranch_execz .LBB1217_48
; %bb.47:
	s_add_i32 s40, s43, 64
	s_mov_b32 s41, 0
	s_lshl_b64 s[40:41], s[40:41], 3
	s_add_u32 s40, s34, s40
	v_mov_b32_e32 v2, 1
	s_addc_u32 s41, s35, s41
	s_waitcnt lgkmcnt(0)
	global_store_dwordx2 v21, v[1:2], s[40:41]
.LBB1217_48:
	s_or_b64 exec, exec, s[38:39]
	v_xad_u32 v17, v52, -1, s43
	v_add_u32_e32 v20, 64, v17
	v_lshlrev_b64 v[18:19], 3, v[20:21]
	v_mov_b32_e32 v2, s35
	v_add_co_u32_e32 v22, vcc, s34, v18
	v_addc_co_u32_e32 v23, vcc, v2, v19, vcc
	global_load_dwordx2 v[19:20], v[22:23], off glc
	s_waitcnt vmcnt(0)
	v_cmp_eq_u16_sdwa s[40:41], v20, v21 src0_sel:BYTE_0 src1_sel:DWORD
	s_and_saveexec_b64 s[38:39], s[40:41]
	s_cbranch_execz .LBB1217_52
; %bb.49:
	s_mov_b64 s[40:41], 0
	v_mov_b32_e32 v2, 0
.LBB1217_50:                            ; =>This Inner Loop Header: Depth=1
	global_load_dwordx2 v[19:20], v[22:23], off glc
	s_waitcnt vmcnt(0)
	v_cmp_ne_u16_sdwa s[44:45], v20, v2 src0_sel:BYTE_0 src1_sel:DWORD
	s_or_b64 s[40:41], s[44:45], s[40:41]
	s_andn2_b64 exec, exec, s[40:41]
	s_cbranch_execnz .LBB1217_50
; %bb.51:
	s_or_b64 exec, exec, s[40:41]
.LBB1217_52:
	s_or_b64 exec, exec, s[38:39]
	v_and_b32_e32 v58, 63, v52
	v_mov_b32_e32 v57, 2
	v_lshlrev_b64 v[21:22], v52, -1
	v_cmp_ne_u32_e32 vcc, 63, v58
	v_cmp_eq_u16_sdwa s[38:39], v20, v57 src0_sel:BYTE_0 src1_sel:DWORD
	v_addc_co_u32_e32 v23, vcc, 0, v52, vcc
	v_and_b32_e32 v2, s39, v22
	v_lshlrev_b32_e32 v59, 2, v23
	v_or_b32_e32 v2, 0x80000000, v2
	ds_bpermute_b32 v23, v59, v19
	v_and_b32_e32 v18, s38, v21
	v_ffbl_b32_e32 v2, v2
	v_add_u32_e32 v2, 32, v2
	v_ffbl_b32_e32 v18, v18
	v_min_u32_e32 v2, v18, v2
	v_cmp_lt_u32_e32 vcc, v58, v2
	s_waitcnt lgkmcnt(0)
	v_cndmask_b32_e32 v18, 0, v23, vcc
	v_cmp_gt_u32_e32 vcc, 62, v58
	v_add_u32_e32 v18, v18, v19
	v_cndmask_b32_e64 v19, 0, 2, vcc
	v_add_lshl_u32 v60, v19, v52, 2
	ds_bpermute_b32 v19, v60, v18
	v_add_u32_e32 v61, 2, v58
	v_cmp_le_u32_e32 vcc, v61, v2
	v_add_u32_e32 v63, 4, v58
	v_add_u32_e32 v65, 8, v58
	s_waitcnt lgkmcnt(0)
	v_cndmask_b32_e32 v19, 0, v19, vcc
	v_cmp_gt_u32_e32 vcc, 60, v58
	v_add_u32_e32 v18, v18, v19
	v_cndmask_b32_e64 v19, 0, 4, vcc
	v_add_lshl_u32 v62, v19, v52, 2
	ds_bpermute_b32 v19, v62, v18
	v_cmp_le_u32_e32 vcc, v63, v2
	v_add_u32_e32 v67, 16, v58
	v_add_u32_e32 v69, 32, v58
	s_waitcnt lgkmcnt(0)
	v_cndmask_b32_e32 v19, 0, v19, vcc
	v_cmp_gt_u32_e32 vcc, 56, v58
	v_add_u32_e32 v18, v18, v19
	v_cndmask_b32_e64 v19, 0, 8, vcc
	v_add_lshl_u32 v64, v19, v52, 2
	ds_bpermute_b32 v19, v64, v18
	v_cmp_le_u32_e32 vcc, v65, v2
	s_waitcnt lgkmcnt(0)
	v_cndmask_b32_e32 v19, 0, v19, vcc
	v_cmp_gt_u32_e32 vcc, 48, v58
	v_add_u32_e32 v18, v18, v19
	v_cndmask_b32_e64 v19, 0, 16, vcc
	v_add_lshl_u32 v66, v19, v52, 2
	ds_bpermute_b32 v19, v66, v18
	v_cmp_le_u32_e32 vcc, v67, v2
	s_waitcnt lgkmcnt(0)
	v_cndmask_b32_e32 v19, 0, v19, vcc
	v_add_u32_e32 v18, v18, v19
	v_mov_b32_e32 v19, 0x80
	v_lshl_or_b32 v68, v52, 2, v19
	ds_bpermute_b32 v19, v68, v18
	v_cmp_le_u32_e32 vcc, v69, v2
	s_waitcnt lgkmcnt(0)
	v_cndmask_b32_e32 v2, 0, v19, vcc
	v_add_u32_e32 v19, v18, v2
	v_mov_b32_e32 v18, 0
	s_branch .LBB1217_56
.LBB1217_53:                            ;   in Loop: Header=BB1217_56 Depth=1
	s_or_b64 exec, exec, s[40:41]
.LBB1217_54:                            ;   in Loop: Header=BB1217_56 Depth=1
	s_or_b64 exec, exec, s[38:39]
	v_cmp_eq_u16_sdwa s[38:39], v20, v57 src0_sel:BYTE_0 src1_sel:DWORD
	v_and_b32_e32 v23, s39, v22
	v_or_b32_e32 v23, 0x80000000, v23
	ds_bpermute_b32 v70, v59, v19
	v_and_b32_e32 v24, s38, v21
	v_ffbl_b32_e32 v23, v23
	v_add_u32_e32 v23, 32, v23
	v_ffbl_b32_e32 v24, v24
	v_min_u32_e32 v23, v24, v23
	v_cmp_lt_u32_e32 vcc, v58, v23
	s_waitcnt lgkmcnt(0)
	v_cndmask_b32_e32 v24, 0, v70, vcc
	v_add_u32_e32 v19, v24, v19
	ds_bpermute_b32 v24, v60, v19
	v_cmp_le_u32_e32 vcc, v61, v23
	v_subrev_u32_e32 v17, 64, v17
	s_mov_b64 s[38:39], 0
	s_waitcnt lgkmcnt(0)
	v_cndmask_b32_e32 v24, 0, v24, vcc
	v_add_u32_e32 v19, v19, v24
	ds_bpermute_b32 v24, v62, v19
	v_cmp_le_u32_e32 vcc, v63, v23
	s_waitcnt lgkmcnt(0)
	v_cndmask_b32_e32 v24, 0, v24, vcc
	v_add_u32_e32 v19, v19, v24
	ds_bpermute_b32 v24, v64, v19
	v_cmp_le_u32_e32 vcc, v65, v23
	;; [unrolled: 5-line block ×4, first 2 shown]
	s_waitcnt lgkmcnt(0)
	v_cndmask_b32_e32 v23, 0, v24, vcc
	v_add3_u32 v19, v23, v2, v19
.LBB1217_55:                            ;   in Loop: Header=BB1217_56 Depth=1
	s_and_b64 vcc, exec, s[38:39]
	s_cbranch_vccnz .LBB1217_61
.LBB1217_56:                            ; =>This Loop Header: Depth=1
                                        ;     Child Loop BB1217_59 Depth 2
	v_cmp_ne_u16_sdwa s[38:39], v20, v57 src0_sel:BYTE_0 src1_sel:DWORD
	v_mov_b32_e32 v2, v19
	s_cmp_lg_u64 s[38:39], exec
	s_mov_b64 s[38:39], -1
                                        ; implicit-def: $vgpr19
                                        ; implicit-def: $vgpr20
	s_cbranch_scc1 .LBB1217_55
; %bb.57:                               ;   in Loop: Header=BB1217_56 Depth=1
	v_lshlrev_b64 v[19:20], 3, v[17:18]
	v_mov_b32_e32 v24, s35
	v_add_co_u32_e32 v23, vcc, s34, v19
	v_addc_co_u32_e32 v24, vcc, v24, v20, vcc
	global_load_dwordx2 v[19:20], v[23:24], off glc
	s_waitcnt vmcnt(0)
	v_cmp_eq_u16_sdwa s[40:41], v20, v18 src0_sel:BYTE_0 src1_sel:DWORD
	s_and_saveexec_b64 s[38:39], s[40:41]
	s_cbranch_execz .LBB1217_54
; %bb.58:                               ;   in Loop: Header=BB1217_56 Depth=1
	s_mov_b64 s[40:41], 0
.LBB1217_59:                            ;   Parent Loop BB1217_56 Depth=1
                                        ; =>  This Inner Loop Header: Depth=2
	global_load_dwordx2 v[19:20], v[23:24], off glc
	s_waitcnt vmcnt(0)
	v_cmp_ne_u16_sdwa s[44:45], v20, v18 src0_sel:BYTE_0 src1_sel:DWORD
	s_or_b64 s[40:41], s[44:45], s[40:41]
	s_andn2_b64 exec, exec, s[40:41]
	s_cbranch_execnz .LBB1217_59
	s_branch .LBB1217_53
.LBB1217_60:
                                        ; implicit-def: $vgpr2
                                        ; implicit-def: $vgpr17
	s_cbranch_execnz .LBB1217_66
	s_branch .LBB1217_75
.LBB1217_61:
	s_and_saveexec_b64 s[38:39], s[18:19]
	s_cbranch_execz .LBB1217_63
; %bb.62:
	s_add_i32 s40, s43, 64
	s_mov_b32 s41, 0
	s_lshl_b64 s[40:41], s[40:41], 3
	s_add_u32 s40, s34, s40
	v_add_u32_e32 v17, v2, v1
	v_mov_b32_e32 v18, 2
	s_addc_u32 s41, s35, s41
	v_mov_b32_e32 v19, 0
	global_store_dwordx2 v19, v[17:18], s[40:41]
	ds_write_b64 v19, v[1:2] offset:13312
.LBB1217_63:
	s_or_b64 exec, exec, s[38:39]
	s_and_b64 exec, exec, s[0:1]
; %bb.64:
	v_mov_b32_e32 v1, 0
	ds_write_b32 v1, v2 offset:12
.LBB1217_65:
	s_or_b64 exec, exec, s[20:21]
	v_mov_b32_e32 v1, 0
	s_waitcnt vmcnt(0) lgkmcnt(0)
	s_barrier
	ds_read_b32 v17, v1 offset:12
	s_waitcnt lgkmcnt(0)
	s_barrier
	ds_read_b64 v[1:2], v1 offset:13312
	v_cndmask_b32_e64 v18, v56, v55, s[18:19]
	v_cndmask_b32_e64 v18, v18, 0, s[0:1]
	v_add_u32_e32 v17, v17, v18
	s_branch .LBB1217_75
.LBB1217_66:
	s_waitcnt lgkmcnt(0)
	v_mov_b32_dpp v1, v54 row_shr:1 row_mask:0xf bank_mask:0xf
	v_cndmask_b32_e64 v1, v1, 0, s[16:17]
	v_add_u32_e32 v1, v1, v54
	s_nop 1
	v_mov_b32_dpp v2, v1 row_shr:2 row_mask:0xf bank_mask:0xf
	v_cndmask_b32_e64 v2, 0, v2, s[14:15]
	v_add_u32_e32 v1, v1, v2
	s_nop 1
	;; [unrolled: 4-line block ×4, first 2 shown]
	v_mov_b32_dpp v2, v1 row_bcast:15 row_mask:0xf bank_mask:0xf
	v_cndmask_b32_e64 v2, v2, 0, s[8:9]
	v_add_u32_e32 v1, v1, v2
	s_nop 1
	v_mov_b32_dpp v2, v1 row_bcast:31 row_mask:0xf bank_mask:0xf
	v_cndmask_b32_e64 v2, 0, v2, s[4:5]
	v_add_u32_e32 v1, v1, v2
	s_and_saveexec_b64 s[4:5], s[6:7]
; %bb.67:
	v_lshlrev_b32_e32 v2, 2, v53
	ds_write_b32 v2, v1
; %bb.68:
	s_or_b64 exec, exec, s[4:5]
	v_cmp_gt_u32_e32 vcc, 4, v0
	s_waitcnt lgkmcnt(0)
	s_barrier
	s_and_saveexec_b64 s[4:5], vcc
	s_cbranch_execz .LBB1217_70
; %bb.69:
	ds_read_b32 v2, v25
	v_and_b32_e32 v17, 3, v52
	v_cmp_ne_u32_e32 vcc, 0, v17
	s_waitcnt lgkmcnt(0)
	v_mov_b32_dpp v18, v2 row_shr:1 row_mask:0xf bank_mask:0xf
	v_cndmask_b32_e32 v18, 0, v18, vcc
	v_add_u32_e32 v2, v18, v2
	v_cmp_lt_u32_e32 vcc, 1, v17
	s_nop 0
	v_mov_b32_dpp v18, v2 row_shr:2 row_mask:0xf bank_mask:0xf
	v_cndmask_b32_e32 v17, 0, v18, vcc
	v_add_u32_e32 v2, v2, v17
	ds_write_b32 v25, v2
.LBB1217_70:
	s_or_b64 exec, exec, s[4:5]
	v_cmp_lt_u32_e32 vcc, 63, v0
	v_mov_b32_e32 v2, 0
	v_mov_b32_e32 v17, 0
	s_waitcnt lgkmcnt(0)
	s_barrier
	s_and_saveexec_b64 s[4:5], vcc
; %bb.71:
	v_lshl_add_u32 v17, v53, 2, -4
	ds_read_b32 v17, v17
; %bb.72:
	s_or_b64 exec, exec, s[4:5]
	v_subrev_co_u32_e32 v18, vcc, 1, v52
	v_and_b32_e32 v19, 64, v52
	v_cmp_lt_i32_e64 s[4:5], v18, v19
	v_cndmask_b32_e64 v18, v18, v52, s[4:5]
	s_waitcnt lgkmcnt(0)
	v_add_u32_e32 v1, v17, v1
	v_lshlrev_b32_e32 v18, 2, v18
	ds_bpermute_b32 v18, v18, v1
	ds_read_b32 v1, v2 offset:12
	s_and_saveexec_b64 s[4:5], s[0:1]
	s_cbranch_execz .LBB1217_74
; %bb.73:
	v_mov_b32_e32 v19, 0
	v_mov_b32_e32 v2, 2
	s_waitcnt lgkmcnt(0)
	global_store_dwordx2 v19, v[1:2], s[34:35] offset:512
.LBB1217_74:
	s_or_b64 exec, exec, s[4:5]
	s_waitcnt lgkmcnt(1)
	v_cndmask_b32_e32 v2, v18, v17, vcc
	v_cndmask_b32_e64 v17, v2, 0, s[0:1]
	s_waitcnt vmcnt(0) lgkmcnt(0)
	s_barrier
	v_mov_b32_e32 v2, 0
.LBB1217_75:
	v_add_u32_e32 v18, v17, v41
	v_add_u32_e32 v19, v18, v42
	;; [unrolled: 1-line block ×4, first 2 shown]
	s_waitcnt lgkmcnt(0)
	v_add_u32_e32 v27, v1, v27
	v_sub_u32_e32 v17, v17, v2
	v_and_b32_e32 v28, 1, v28
	v_add_u32_e32 v22, v21, v45
	v_sub_u32_e32 v45, v27, v17
	v_cmp_eq_u32_e32 vcc, 1, v28
	v_cndmask_b32_e32 v17, v45, v17, vcc
	v_lshlrev_b32_e32 v17, 2, v17
	ds_write_b32 v17, v15
	v_sub_u32_e32 v15, v18, v2
	v_sub_u32_e32 v17, v27, v15
	v_and_b32_e32 v18, 1, v29
	v_add_u32_e32 v17, 1, v17
	v_cmp_eq_u32_e32 vcc, 1, v18
	v_cndmask_b32_e32 v15, v17, v15, vcc
	v_lshlrev_b32_e32 v15, 2, v15
	ds_write_b32 v15, v16
	v_sub_u32_e32 v15, v19, v2
	v_sub_u32_e32 v16, v27, v15
	v_and_b32_e32 v17, 1, v30
	v_add_u32_e32 v16, 2, v16
	;; [unrolled: 8-line block ×5, first 2 shown]
	v_cmp_eq_u32_e32 vcc, 1, v14
	v_cndmask_b32_e32 v11, v13, v11, vcc
	v_add_u32_e32 v23, v22, v46
	v_lshlrev_b32_e32 v11, 2, v11
	ds_write_b32 v11, v12
	v_sub_u32_e32 v11, v23, v2
	v_sub_u32_e32 v12, v27, v11
	v_and_b32_e32 v13, 1, v34
	v_add_u32_e32 v12, 6, v12
	v_cmp_eq_u32_e32 vcc, 1, v13
	v_cndmask_b32_e32 v11, v12, v11, vcc
	v_add_u32_e32 v24, v23, v47
	v_lshlrev_b32_e32 v11, 2, v11
	ds_write_b32 v11, v9
	v_sub_u32_e32 v9, v24, v2
	v_sub_u32_e32 v11, v27, v9
	v_and_b32_e32 v12, 1, v35
	v_add_u32_e32 v11, 7, v11
	;; [unrolled: 9-line block ×6, first 2 shown]
	v_cmp_eq_u32_e32 vcc, 1, v8
	v_cndmask_b32_e32 v5, v7, v5, vcc
	v_lshlrev_b32_e32 v5, 2, v5
	ds_write_b32 v5, v6
	v_sub_u32_e32 v5, v40, v2
	v_add_u32_e32 v5, v44, v5
	v_sub_u32_e32 v6, v27, v5
	v_add_u32_e32 v6, 12, v6
	v_cndmask_b32_e64 v5, v6, v5, s[36:37]
	v_lshlrev_b32_e32 v5, 2, v5
	ds_write_b32 v5, v26
	s_waitcnt lgkmcnt(0)
	s_barrier
	ds_read2st64_b32 v[15:16], v25 offset1:4
	ds_read2st64_b32 v[13:14], v25 offset0:8 offset1:12
	ds_read2st64_b32 v[11:12], v25 offset0:16 offset1:20
	;; [unrolled: 1-line block ×5, first 2 shown]
	ds_read_b32 v18, v25 offset:12288
	s_and_b64 vcc, exec, s[2:3]
	v_add_co_u32_e64 v17, s[2:3], v3, v2
	v_or_b32_e32 v32, 0x100, v0
	v_or_b32_e32 v30, 0x200, v0
	v_or_b32_e32 v29, 0x300, v0
	v_or_b32_e32 v28, 0x400, v0
	v_or_b32_e32 v27, 0x500, v0
	v_or_b32_e32 v26, 0x600, v0
	v_or_b32_e32 v24, 0x700, v0
	v_or_b32_e32 v23, 0x800, v0
	v_or_b32_e32 v22, 0x900, v0
	v_or_b32_e32 v21, 0xa00, v0
	v_or_b32_e32 v20, 0xb00, v0
	v_or_b32_e32 v19, 0xc00, v0
	v_addc_co_u32_e64 v4, s[2:3], 0, v4, s[2:3]
	s_cbranch_vccnz .LBB1217_132
; %bb.76:
	v_mov_b32_e32 v2, s29
	v_subrev_co_u32_e32 v3, vcc, s28, v17
	s_sub_u32 s2, s30, s42
	v_subb_co_u32_e32 v2, vcc, v4, v2, vcc
	s_subb_u32 s3, s31, 0
	v_mov_b32_e32 v25, s3
	v_add_co_u32_e32 v31, vcc, s2, v1
	v_addc_co_u32_e32 v33, vcc, 0, v25, vcc
	v_add_co_u32_e32 v25, vcc, v31, v3
	v_addc_co_u32_e32 v31, vcc, v33, v2, vcc
	v_cmp_ge_u32_e32 vcc, v0, v1
                                        ; implicit-def: $vgpr2_vgpr3
	s_and_saveexec_b64 s[2:3], vcc
	s_xor_b64 s[2:3], exec, s[2:3]
; %bb.77:
	v_not_b32_e32 v2, v0
	v_ashrrev_i32_e32 v3, 31, v2
	v_add_co_u32_e32 v2, vcc, v25, v2
	v_addc_co_u32_e32 v3, vcc, v31, v3, vcc
; %bb.78:
	s_andn2_saveexec_b64 s[2:3], s[2:3]
; %bb.79:
	v_add_co_u32_e32 v2, vcc, v17, v0
	v_addc_co_u32_e32 v3, vcc, 0, v4, vcc
; %bb.80:
	s_or_b64 exec, exec, s[2:3]
	v_lshlrev_b64 v[2:3], 2, v[2:3]
	v_mov_b32_e32 v33, s23
	v_add_co_u32_e32 v2, vcc, s22, v2
	v_addc_co_u32_e32 v3, vcc, v33, v3, vcc
	v_cmp_ge_u32_e32 vcc, v32, v1
	s_waitcnt lgkmcnt(6)
	global_store_dword v[2:3], v15, off
                                        ; implicit-def: $vgpr2_vgpr3
	s_and_saveexec_b64 s[2:3], vcc
	s_xor_b64 s[2:3], exec, s[2:3]
; %bb.81:
	v_xor_b32_e32 v2, 0xfffffeff, v0
	v_ashrrev_i32_e32 v3, 31, v2
	v_add_co_u32_e32 v2, vcc, v25, v2
	v_addc_co_u32_e32 v3, vcc, v31, v3, vcc
; %bb.82:
	s_andn2_saveexec_b64 s[2:3], s[2:3]
; %bb.83:
	v_add_co_u32_e32 v2, vcc, v17, v32
	v_addc_co_u32_e32 v3, vcc, 0, v4, vcc
; %bb.84:
	s_or_b64 exec, exec, s[2:3]
	v_lshlrev_b64 v[2:3], 2, v[2:3]
	v_mov_b32_e32 v33, s23
	v_add_co_u32_e32 v2, vcc, s22, v2
	v_addc_co_u32_e32 v3, vcc, v33, v3, vcc
	v_cmp_ge_u32_e32 vcc, v30, v1
	global_store_dword v[2:3], v16, off
                                        ; implicit-def: $vgpr2_vgpr3
	s_and_saveexec_b64 s[2:3], vcc
	s_xor_b64 s[2:3], exec, s[2:3]
; %bb.85:
	v_xor_b32_e32 v2, 0xfffffdff, v0
	v_ashrrev_i32_e32 v3, 31, v2
	v_add_co_u32_e32 v2, vcc, v25, v2
	v_addc_co_u32_e32 v3, vcc, v31, v3, vcc
; %bb.86:
	s_andn2_saveexec_b64 s[2:3], s[2:3]
; %bb.87:
	v_add_co_u32_e32 v2, vcc, v17, v30
	v_addc_co_u32_e32 v3, vcc, 0, v4, vcc
; %bb.88:
	s_or_b64 exec, exec, s[2:3]
	v_lshlrev_b64 v[2:3], 2, v[2:3]
	v_mov_b32_e32 v33, s23
	v_add_co_u32_e32 v2, vcc, s22, v2
	v_addc_co_u32_e32 v3, vcc, v33, v3, vcc
	v_cmp_ge_u32_e32 vcc, v29, v1
	s_waitcnt lgkmcnt(5)
	global_store_dword v[2:3], v13, off
                                        ; implicit-def: $vgpr2_vgpr3
	s_and_saveexec_b64 s[2:3], vcc
	s_xor_b64 s[2:3], exec, s[2:3]
; %bb.89:
	v_xor_b32_e32 v2, 0xfffffcff, v0
	v_ashrrev_i32_e32 v3, 31, v2
	v_add_co_u32_e32 v2, vcc, v25, v2
	v_addc_co_u32_e32 v3, vcc, v31, v3, vcc
; %bb.90:
	s_andn2_saveexec_b64 s[2:3], s[2:3]
; %bb.91:
	v_add_co_u32_e32 v2, vcc, v17, v29
	v_addc_co_u32_e32 v3, vcc, 0, v4, vcc
; %bb.92:
	s_or_b64 exec, exec, s[2:3]
	v_lshlrev_b64 v[2:3], 2, v[2:3]
	v_mov_b32_e32 v33, s23
	v_add_co_u32_e32 v2, vcc, s22, v2
	v_addc_co_u32_e32 v3, vcc, v33, v3, vcc
	v_cmp_ge_u32_e32 vcc, v28, v1
	global_store_dword v[2:3], v14, off
                                        ; implicit-def: $vgpr2_vgpr3
	s_and_saveexec_b64 s[2:3], vcc
	s_xor_b64 s[2:3], exec, s[2:3]
; %bb.93:
	v_xor_b32_e32 v2, 0xfffffbff, v0
	;; [unrolled: 43-line block ×6, first 2 shown]
	v_ashrrev_i32_e32 v3, 31, v2
	v_add_co_u32_e32 v2, vcc, v25, v2
	v_addc_co_u32_e32 v3, vcc, v31, v3, vcc
; %bb.126:
	s_andn2_saveexec_b64 s[2:3], s[2:3]
; %bb.127:
	v_add_co_u32_e32 v2, vcc, v17, v19
	v_addc_co_u32_e32 v3, vcc, 0, v4, vcc
; %bb.128:
	s_or_b64 exec, exec, s[2:3]
	s_mov_b64 s[2:3], -1
.LBB1217_129:
	s_and_saveexec_b64 s[4:5], s[2:3]
	s_cbranch_execz .LBB1217_212
.LBB1217_130:
	v_lshlrev_b64 v[2:3], 2, v[2:3]
	v_mov_b32_e32 v0, s23
	v_add_co_u32_e32 v2, vcc, s22, v2
	v_addc_co_u32_e32 v3, vcc, v0, v3, vcc
	s_waitcnt lgkmcnt(0)
	global_store_dword v[2:3], v18, off
	s_or_b64 exec, exec, s[4:5]
	s_and_b64 s[0:1], s[0:1], s[26:27]
	s_and_saveexec_b64 s[2:3], s[0:1]
	s_cbranch_execnz .LBB1217_213
.LBB1217_131:
	s_endpgm
.LBB1217_132:
	s_mov_b64 s[2:3], 0
                                        ; implicit-def: $vgpr2_vgpr3
	s_cbranch_execz .LBB1217_129
; %bb.133:
	s_add_u32 s4, s28, s42
	s_addc_u32 s5, s29, 0
	s_sub_u32 s4, s30, s4
	s_subb_u32 s5, s31, s5
	v_mov_b32_e32 v2, s5
	v_add_co_u32_e32 v3, vcc, s4, v1
	v_addc_co_u32_e32 v2, vcc, 0, v2, vcc
	v_add_co_u32_e32 v25, vcc, v3, v17
	v_addc_co_u32_e32 v31, vcc, v2, v4, vcc
	v_cmp_gt_u32_e32 vcc, s33, v0
	s_and_saveexec_b64 s[4:5], vcc
	s_cbranch_execz .LBB1217_169
; %bb.134:
	v_cmp_ge_u32_e32 vcc, v0, v1
                                        ; implicit-def: $vgpr2_vgpr3
	s_and_saveexec_b64 s[6:7], vcc
	s_xor_b64 s[6:7], exec, s[6:7]
; %bb.135:
	v_not_b32_e32 v2, v0
	v_ashrrev_i32_e32 v3, 31, v2
	v_add_co_u32_e32 v2, vcc, v25, v2
	v_addc_co_u32_e32 v3, vcc, v31, v3, vcc
; %bb.136:
	s_andn2_saveexec_b64 s[6:7], s[6:7]
; %bb.137:
	v_add_co_u32_e32 v2, vcc, v17, v0
	v_addc_co_u32_e32 v3, vcc, 0, v4, vcc
; %bb.138:
	s_or_b64 exec, exec, s[6:7]
	v_lshlrev_b64 v[2:3], 2, v[2:3]
	v_mov_b32_e32 v33, s23
	v_add_co_u32_e32 v2, vcc, s22, v2
	v_addc_co_u32_e32 v3, vcc, v33, v3, vcc
	s_waitcnt lgkmcnt(6)
	global_store_dword v[2:3], v15, off
	s_or_b64 exec, exec, s[4:5]
	v_cmp_gt_u32_e32 vcc, s33, v32
	s_and_saveexec_b64 s[4:5], vcc
	s_cbranch_execnz .LBB1217_170
.LBB1217_139:
	s_or_b64 exec, exec, s[4:5]
	v_cmp_gt_u32_e32 vcc, s33, v30
	s_and_saveexec_b64 s[4:5], vcc
	s_cbranch_execz .LBB1217_175
.LBB1217_140:
	v_cmp_ge_u32_e32 vcc, v30, v1
                                        ; implicit-def: $vgpr2_vgpr3
	s_and_saveexec_b64 s[6:7], vcc
	s_xor_b64 s[6:7], exec, s[6:7]
; %bb.141:
	v_xor_b32_e32 v2, 0xfffffdff, v0
	v_ashrrev_i32_e32 v3, 31, v2
	v_add_co_u32_e32 v2, vcc, v25, v2
	v_addc_co_u32_e32 v3, vcc, v31, v3, vcc
                                        ; implicit-def: $vgpr30
; %bb.142:
	s_andn2_saveexec_b64 s[6:7], s[6:7]
; %bb.143:
	v_add_co_u32_e32 v2, vcc, v17, v30
	v_addc_co_u32_e32 v3, vcc, 0, v4, vcc
; %bb.144:
	s_or_b64 exec, exec, s[6:7]
	v_lshlrev_b64 v[2:3], 2, v[2:3]
	s_waitcnt lgkmcnt(6)
	v_mov_b32_e32 v15, s23
	v_add_co_u32_e32 v2, vcc, s22, v2
	v_addc_co_u32_e32 v3, vcc, v15, v3, vcc
	s_waitcnt lgkmcnt(5)
	global_store_dword v[2:3], v13, off
	s_or_b64 exec, exec, s[4:5]
	v_cmp_gt_u32_e32 vcc, s33, v29
	s_and_saveexec_b64 s[4:5], vcc
	s_cbranch_execnz .LBB1217_176
.LBB1217_145:
	s_or_b64 exec, exec, s[4:5]
	v_cmp_gt_u32_e32 vcc, s33, v28
	s_and_saveexec_b64 s[4:5], vcc
	s_cbranch_execz .LBB1217_181
.LBB1217_146:
	v_cmp_ge_u32_e32 vcc, v28, v1
                                        ; implicit-def: $vgpr2_vgpr3
	s_and_saveexec_b64 s[6:7], vcc
	s_xor_b64 s[6:7], exec, s[6:7]
; %bb.147:
	v_xor_b32_e32 v2, 0xfffffbff, v0
	v_ashrrev_i32_e32 v3, 31, v2
	v_add_co_u32_e32 v2, vcc, v25, v2
	v_addc_co_u32_e32 v3, vcc, v31, v3, vcc
                                        ; implicit-def: $vgpr28
; %bb.148:
	s_andn2_saveexec_b64 s[6:7], s[6:7]
; %bb.149:
	v_add_co_u32_e32 v2, vcc, v17, v28
	v_addc_co_u32_e32 v3, vcc, 0, v4, vcc
; %bb.150:
	s_or_b64 exec, exec, s[6:7]
	v_lshlrev_b64 v[2:3], 2, v[2:3]
	s_waitcnt lgkmcnt(5)
	v_mov_b32_e32 v13, s23
	v_add_co_u32_e32 v2, vcc, s22, v2
	v_addc_co_u32_e32 v3, vcc, v13, v3, vcc
	s_waitcnt lgkmcnt(4)
	global_store_dword v[2:3], v11, off
	s_or_b64 exec, exec, s[4:5]
	v_cmp_gt_u32_e32 vcc, s33, v27
	s_and_saveexec_b64 s[4:5], vcc
	s_cbranch_execnz .LBB1217_182
.LBB1217_151:
	s_or_b64 exec, exec, s[4:5]
	v_cmp_gt_u32_e32 vcc, s33, v26
	s_and_saveexec_b64 s[4:5], vcc
	s_cbranch_execz .LBB1217_187
.LBB1217_152:
	v_cmp_ge_u32_e32 vcc, v26, v1
                                        ; implicit-def: $vgpr2_vgpr3
	s_and_saveexec_b64 s[6:7], vcc
	s_xor_b64 s[6:7], exec, s[6:7]
; %bb.153:
	v_xor_b32_e32 v2, 0xfffff9ff, v0
	v_ashrrev_i32_e32 v3, 31, v2
	v_add_co_u32_e32 v2, vcc, v25, v2
	v_addc_co_u32_e32 v3, vcc, v31, v3, vcc
                                        ; implicit-def: $vgpr26
; %bb.154:
	s_andn2_saveexec_b64 s[6:7], s[6:7]
; %bb.155:
	v_add_co_u32_e32 v2, vcc, v17, v26
	v_addc_co_u32_e32 v3, vcc, 0, v4, vcc
; %bb.156:
	s_or_b64 exec, exec, s[6:7]
	v_lshlrev_b64 v[2:3], 2, v[2:3]
	s_waitcnt lgkmcnt(4)
	v_mov_b32_e32 v11, s23
	v_add_co_u32_e32 v2, vcc, s22, v2
	v_addc_co_u32_e32 v3, vcc, v11, v3, vcc
	s_waitcnt lgkmcnt(3)
	global_store_dword v[2:3], v9, off
	s_or_b64 exec, exec, s[4:5]
	v_cmp_gt_u32_e32 vcc, s33, v24
	s_and_saveexec_b64 s[4:5], vcc
	s_cbranch_execnz .LBB1217_188
.LBB1217_157:
	s_or_b64 exec, exec, s[4:5]
	v_cmp_gt_u32_e32 vcc, s33, v23
	s_and_saveexec_b64 s[4:5], vcc
	s_cbranch_execz .LBB1217_193
.LBB1217_158:
	v_cmp_ge_u32_e32 vcc, v23, v1
                                        ; implicit-def: $vgpr2_vgpr3
	s_and_saveexec_b64 s[6:7], vcc
	s_xor_b64 s[6:7], exec, s[6:7]
; %bb.159:
	v_xor_b32_e32 v2, 0xfffff7ff, v0
	v_ashrrev_i32_e32 v3, 31, v2
	v_add_co_u32_e32 v2, vcc, v25, v2
	v_addc_co_u32_e32 v3, vcc, v31, v3, vcc
                                        ; implicit-def: $vgpr23
; %bb.160:
	s_andn2_saveexec_b64 s[6:7], s[6:7]
; %bb.161:
	v_add_co_u32_e32 v2, vcc, v17, v23
	v_addc_co_u32_e32 v3, vcc, 0, v4, vcc
; %bb.162:
	s_or_b64 exec, exec, s[6:7]
	v_lshlrev_b64 v[2:3], 2, v[2:3]
	s_waitcnt lgkmcnt(3)
	v_mov_b32_e32 v9, s23
	v_add_co_u32_e32 v2, vcc, s22, v2
	v_addc_co_u32_e32 v3, vcc, v9, v3, vcc
	s_waitcnt lgkmcnt(2)
	global_store_dword v[2:3], v7, off
	s_or_b64 exec, exec, s[4:5]
	v_cmp_gt_u32_e32 vcc, s33, v22
	s_and_saveexec_b64 s[4:5], vcc
	s_cbranch_execnz .LBB1217_194
.LBB1217_163:
	s_or_b64 exec, exec, s[4:5]
	v_cmp_gt_u32_e32 vcc, s33, v21
	s_and_saveexec_b64 s[4:5], vcc
	s_cbranch_execz .LBB1217_199
.LBB1217_164:
	v_cmp_ge_u32_e32 vcc, v21, v1
                                        ; implicit-def: $vgpr2_vgpr3
	s_and_saveexec_b64 s[6:7], vcc
	s_xor_b64 s[6:7], exec, s[6:7]
; %bb.165:
	v_xor_b32_e32 v2, 0xfffff5ff, v0
	v_ashrrev_i32_e32 v3, 31, v2
	v_add_co_u32_e32 v2, vcc, v25, v2
	v_addc_co_u32_e32 v3, vcc, v31, v3, vcc
                                        ; implicit-def: $vgpr21
; %bb.166:
	s_andn2_saveexec_b64 s[6:7], s[6:7]
; %bb.167:
	v_add_co_u32_e32 v2, vcc, v17, v21
	v_addc_co_u32_e32 v3, vcc, 0, v4, vcc
; %bb.168:
	s_or_b64 exec, exec, s[6:7]
	v_lshlrev_b64 v[2:3], 2, v[2:3]
	s_waitcnt lgkmcnt(2)
	v_mov_b32_e32 v7, s23
	v_add_co_u32_e32 v2, vcc, s22, v2
	v_addc_co_u32_e32 v3, vcc, v7, v3, vcc
	s_waitcnt lgkmcnt(1)
	global_store_dword v[2:3], v5, off
	s_or_b64 exec, exec, s[4:5]
	v_cmp_gt_u32_e32 vcc, s33, v20
	s_and_saveexec_b64 s[4:5], vcc
	s_cbranch_execz .LBB1217_205
	s_branch .LBB1217_200
.LBB1217_169:
	s_or_b64 exec, exec, s[4:5]
	v_cmp_gt_u32_e32 vcc, s33, v32
	s_and_saveexec_b64 s[4:5], vcc
	s_cbranch_execz .LBB1217_139
.LBB1217_170:
	v_cmp_ge_u32_e32 vcc, v32, v1
                                        ; implicit-def: $vgpr2_vgpr3
	s_and_saveexec_b64 s[6:7], vcc
	s_xor_b64 s[6:7], exec, s[6:7]
; %bb.171:
	v_xor_b32_e32 v2, 0xfffffeff, v0
	v_ashrrev_i32_e32 v3, 31, v2
	v_add_co_u32_e32 v2, vcc, v25, v2
	v_addc_co_u32_e32 v3, vcc, v31, v3, vcc
                                        ; implicit-def: $vgpr32
; %bb.172:
	s_andn2_saveexec_b64 s[6:7], s[6:7]
; %bb.173:
	v_add_co_u32_e32 v2, vcc, v17, v32
	v_addc_co_u32_e32 v3, vcc, 0, v4, vcc
; %bb.174:
	s_or_b64 exec, exec, s[6:7]
	v_lshlrev_b64 v[2:3], 2, v[2:3]
	s_waitcnt lgkmcnt(6)
	v_mov_b32_e32 v15, s23
	v_add_co_u32_e32 v2, vcc, s22, v2
	v_addc_co_u32_e32 v3, vcc, v15, v3, vcc
	global_store_dword v[2:3], v16, off
	s_or_b64 exec, exec, s[4:5]
	v_cmp_gt_u32_e32 vcc, s33, v30
	s_and_saveexec_b64 s[4:5], vcc
	s_cbranch_execnz .LBB1217_140
.LBB1217_175:
	s_or_b64 exec, exec, s[4:5]
	v_cmp_gt_u32_e32 vcc, s33, v29
	s_and_saveexec_b64 s[4:5], vcc
	s_cbranch_execz .LBB1217_145
.LBB1217_176:
	v_cmp_ge_u32_e32 vcc, v29, v1
                                        ; implicit-def: $vgpr2_vgpr3
	s_and_saveexec_b64 s[6:7], vcc
	s_xor_b64 s[6:7], exec, s[6:7]
; %bb.177:
	v_xor_b32_e32 v2, 0xfffffcff, v0
	v_ashrrev_i32_e32 v3, 31, v2
	v_add_co_u32_e32 v2, vcc, v25, v2
	v_addc_co_u32_e32 v3, vcc, v31, v3, vcc
                                        ; implicit-def: $vgpr29
; %bb.178:
	s_andn2_saveexec_b64 s[6:7], s[6:7]
; %bb.179:
	v_add_co_u32_e32 v2, vcc, v17, v29
	v_addc_co_u32_e32 v3, vcc, 0, v4, vcc
; %bb.180:
	s_or_b64 exec, exec, s[6:7]
	v_lshlrev_b64 v[2:3], 2, v[2:3]
	s_waitcnt lgkmcnt(5)
	v_mov_b32_e32 v13, s23
	v_add_co_u32_e32 v2, vcc, s22, v2
	v_addc_co_u32_e32 v3, vcc, v13, v3, vcc
	global_store_dword v[2:3], v14, off
	s_or_b64 exec, exec, s[4:5]
	v_cmp_gt_u32_e32 vcc, s33, v28
	s_and_saveexec_b64 s[4:5], vcc
	s_cbranch_execnz .LBB1217_146
.LBB1217_181:
	s_or_b64 exec, exec, s[4:5]
	v_cmp_gt_u32_e32 vcc, s33, v27
	s_and_saveexec_b64 s[4:5], vcc
	s_cbranch_execz .LBB1217_151
.LBB1217_182:
	v_cmp_ge_u32_e32 vcc, v27, v1
                                        ; implicit-def: $vgpr2_vgpr3
	s_and_saveexec_b64 s[6:7], vcc
	s_xor_b64 s[6:7], exec, s[6:7]
; %bb.183:
	v_xor_b32_e32 v2, 0xfffffaff, v0
	v_ashrrev_i32_e32 v3, 31, v2
	v_add_co_u32_e32 v2, vcc, v25, v2
	v_addc_co_u32_e32 v3, vcc, v31, v3, vcc
                                        ; implicit-def: $vgpr27
; %bb.184:
	s_andn2_saveexec_b64 s[6:7], s[6:7]
; %bb.185:
	v_add_co_u32_e32 v2, vcc, v17, v27
	v_addc_co_u32_e32 v3, vcc, 0, v4, vcc
; %bb.186:
	s_or_b64 exec, exec, s[6:7]
	v_lshlrev_b64 v[2:3], 2, v[2:3]
	s_waitcnt lgkmcnt(4)
	v_mov_b32_e32 v11, s23
	v_add_co_u32_e32 v2, vcc, s22, v2
	v_addc_co_u32_e32 v3, vcc, v11, v3, vcc
	global_store_dword v[2:3], v12, off
	s_or_b64 exec, exec, s[4:5]
	v_cmp_gt_u32_e32 vcc, s33, v26
	s_and_saveexec_b64 s[4:5], vcc
	s_cbranch_execnz .LBB1217_152
.LBB1217_187:
	s_or_b64 exec, exec, s[4:5]
	v_cmp_gt_u32_e32 vcc, s33, v24
	s_and_saveexec_b64 s[4:5], vcc
	s_cbranch_execz .LBB1217_157
.LBB1217_188:
	v_cmp_ge_u32_e32 vcc, v24, v1
                                        ; implicit-def: $vgpr2_vgpr3
	s_and_saveexec_b64 s[6:7], vcc
	s_xor_b64 s[6:7], exec, s[6:7]
; %bb.189:
	v_xor_b32_e32 v2, 0xfffff8ff, v0
	v_ashrrev_i32_e32 v3, 31, v2
	v_add_co_u32_e32 v2, vcc, v25, v2
	v_addc_co_u32_e32 v3, vcc, v31, v3, vcc
                                        ; implicit-def: $vgpr24
; %bb.190:
	s_andn2_saveexec_b64 s[6:7], s[6:7]
; %bb.191:
	v_add_co_u32_e32 v2, vcc, v17, v24
	v_addc_co_u32_e32 v3, vcc, 0, v4, vcc
; %bb.192:
	s_or_b64 exec, exec, s[6:7]
	v_lshlrev_b64 v[2:3], 2, v[2:3]
	s_waitcnt lgkmcnt(3)
	v_mov_b32_e32 v9, s23
	v_add_co_u32_e32 v2, vcc, s22, v2
	v_addc_co_u32_e32 v3, vcc, v9, v3, vcc
	global_store_dword v[2:3], v10, off
	s_or_b64 exec, exec, s[4:5]
	v_cmp_gt_u32_e32 vcc, s33, v23
	s_and_saveexec_b64 s[4:5], vcc
	s_cbranch_execnz .LBB1217_158
.LBB1217_193:
	s_or_b64 exec, exec, s[4:5]
	v_cmp_gt_u32_e32 vcc, s33, v22
	s_and_saveexec_b64 s[4:5], vcc
	s_cbranch_execz .LBB1217_163
.LBB1217_194:
	v_cmp_ge_u32_e32 vcc, v22, v1
                                        ; implicit-def: $vgpr2_vgpr3
	s_and_saveexec_b64 s[6:7], vcc
	s_xor_b64 s[6:7], exec, s[6:7]
; %bb.195:
	v_xor_b32_e32 v2, 0xfffff6ff, v0
	v_ashrrev_i32_e32 v3, 31, v2
	v_add_co_u32_e32 v2, vcc, v25, v2
	v_addc_co_u32_e32 v3, vcc, v31, v3, vcc
                                        ; implicit-def: $vgpr22
; %bb.196:
	s_andn2_saveexec_b64 s[6:7], s[6:7]
; %bb.197:
	v_add_co_u32_e32 v2, vcc, v17, v22
	v_addc_co_u32_e32 v3, vcc, 0, v4, vcc
; %bb.198:
	s_or_b64 exec, exec, s[6:7]
	v_lshlrev_b64 v[2:3], 2, v[2:3]
	s_waitcnt lgkmcnt(2)
	v_mov_b32_e32 v7, s23
	v_add_co_u32_e32 v2, vcc, s22, v2
	v_addc_co_u32_e32 v3, vcc, v7, v3, vcc
	global_store_dword v[2:3], v8, off
	s_or_b64 exec, exec, s[4:5]
	v_cmp_gt_u32_e32 vcc, s33, v21
	s_and_saveexec_b64 s[4:5], vcc
	s_cbranch_execnz .LBB1217_164
.LBB1217_199:
	s_or_b64 exec, exec, s[4:5]
	v_cmp_gt_u32_e32 vcc, s33, v20
	s_and_saveexec_b64 s[4:5], vcc
	s_cbranch_execz .LBB1217_205
.LBB1217_200:
	v_cmp_ge_u32_e32 vcc, v20, v1
                                        ; implicit-def: $vgpr2_vgpr3
	s_and_saveexec_b64 s[6:7], vcc
	s_xor_b64 s[6:7], exec, s[6:7]
; %bb.201:
	v_xor_b32_e32 v2, 0xfffff4ff, v0
	v_ashrrev_i32_e32 v3, 31, v2
	v_add_co_u32_e32 v2, vcc, v25, v2
	v_addc_co_u32_e32 v3, vcc, v31, v3, vcc
                                        ; implicit-def: $vgpr20
; %bb.202:
	s_andn2_saveexec_b64 s[6:7], s[6:7]
; %bb.203:
	v_add_co_u32_e32 v2, vcc, v17, v20
	v_addc_co_u32_e32 v3, vcc, 0, v4, vcc
; %bb.204:
	s_or_b64 exec, exec, s[6:7]
	v_lshlrev_b64 v[2:3], 2, v[2:3]
	s_waitcnt lgkmcnt(1)
	v_mov_b32_e32 v5, s23
	v_add_co_u32_e32 v2, vcc, s22, v2
	v_addc_co_u32_e32 v3, vcc, v5, v3, vcc
	global_store_dword v[2:3], v6, off
.LBB1217_205:
	s_or_b64 exec, exec, s[4:5]
	v_cmp_gt_u32_e32 vcc, s33, v19
                                        ; implicit-def: $vgpr2_vgpr3
	s_and_saveexec_b64 s[4:5], vcc
	s_cbranch_execz .LBB1217_211
; %bb.206:
	v_cmp_ge_u32_e32 vcc, v19, v1
                                        ; implicit-def: $vgpr2_vgpr3
	s_and_saveexec_b64 s[6:7], vcc
	s_xor_b64 s[6:7], exec, s[6:7]
; %bb.207:
	v_xor_b32_e32 v0, 0xfffff3ff, v0
	v_ashrrev_i32_e32 v3, 31, v0
	v_add_co_u32_e32 v2, vcc, v25, v0
	v_addc_co_u32_e32 v3, vcc, v31, v3, vcc
                                        ; implicit-def: $vgpr19
; %bb.208:
	s_andn2_saveexec_b64 s[6:7], s[6:7]
; %bb.209:
	v_add_co_u32_e32 v2, vcc, v17, v19
	v_addc_co_u32_e32 v3, vcc, 0, v4, vcc
; %bb.210:
	s_or_b64 exec, exec, s[6:7]
	s_or_b64 s[2:3], s[2:3], exec
.LBB1217_211:
	s_or_b64 exec, exec, s[4:5]
	s_and_saveexec_b64 s[4:5], s[2:3]
	s_cbranch_execnz .LBB1217_130
.LBB1217_212:
	s_or_b64 exec, exec, s[4:5]
	s_and_b64 s[0:1], s[0:1], s[26:27]
	s_and_saveexec_b64 s[2:3], s[0:1]
	s_cbranch_execz .LBB1217_131
.LBB1217_213:
	v_add_co_u32_e32 v0, vcc, v17, v1
	v_mov_b32_e32 v2, 0
	v_addc_co_u32_e32 v1, vcc, 0, v4, vcc
	global_store_dwordx2 v2, v[0:1], s[24:25]
	s_endpgm
	.section	.rodata,"a",@progbits
	.p2align	6, 0x0
	.amdhsa_kernel _ZN7rocprim17ROCPRIM_400000_NS6detail17trampoline_kernelINS0_13select_configILj256ELj13ELNS0_17block_load_methodE3ELS4_3ELS4_3ELNS0_20block_scan_algorithmE0ELj4294967295EEENS1_25partition_config_selectorILNS1_17partition_subalgoE3EjNS0_10empty_typeEbEEZZNS1_14partition_implILS8_3ELb0ES6_jNS0_17counting_iteratorIjlEEPS9_SE_NS0_5tupleIJPjSE_EEENSF_IJSE_SE_EEES9_SG_JZNS1_25segmented_radix_sort_implINS0_14default_configELb0EPKdPdPKlPlN2at6native12_GLOBAL__N_18offset_tEEE10hipError_tPvRmT1_PNSt15iterator_traitsISY_E10value_typeET2_T3_PNSZ_IS14_E10value_typeET4_jRbjT5_S1A_jjP12ihipStream_tbEUljE_EEESV_SW_SX_S14_S18_S1A_T6_T7_T9_mT8_S1C_bDpT10_ENKUlT_T0_E_clISt17integral_constantIbLb0EES1O_IbLb1EEEEDaS1K_S1L_EUlS1K_E_NS1_11comp_targetILNS1_3genE2ELNS1_11target_archE906ELNS1_3gpuE6ELNS1_3repE0EEENS1_30default_config_static_selectorELNS0_4arch9wavefront6targetE1EEEvSY_
		.amdhsa_group_segment_fixed_size 13320
		.amdhsa_private_segment_fixed_size 0
		.amdhsa_kernarg_size 152
		.amdhsa_user_sgpr_count 6
		.amdhsa_user_sgpr_private_segment_buffer 1
		.amdhsa_user_sgpr_dispatch_ptr 0
		.amdhsa_user_sgpr_queue_ptr 0
		.amdhsa_user_sgpr_kernarg_segment_ptr 1
		.amdhsa_user_sgpr_dispatch_id 0
		.amdhsa_user_sgpr_flat_scratch_init 0
		.amdhsa_user_sgpr_private_segment_size 0
		.amdhsa_uses_dynamic_stack 0
		.amdhsa_system_sgpr_private_segment_wavefront_offset 0
		.amdhsa_system_sgpr_workgroup_id_x 1
		.amdhsa_system_sgpr_workgroup_id_y 0
		.amdhsa_system_sgpr_workgroup_id_z 0
		.amdhsa_system_sgpr_workgroup_info 0
		.amdhsa_system_vgpr_workitem_id 0
		.amdhsa_next_free_vgpr 71
		.amdhsa_next_free_sgpr 98
		.amdhsa_reserve_vcc 1
		.amdhsa_reserve_flat_scratch 0
		.amdhsa_float_round_mode_32 0
		.amdhsa_float_round_mode_16_64 0
		.amdhsa_float_denorm_mode_32 3
		.amdhsa_float_denorm_mode_16_64 3
		.amdhsa_dx10_clamp 1
		.amdhsa_ieee_mode 1
		.amdhsa_fp16_overflow 0
		.amdhsa_exception_fp_ieee_invalid_op 0
		.amdhsa_exception_fp_denorm_src 0
		.amdhsa_exception_fp_ieee_div_zero 0
		.amdhsa_exception_fp_ieee_overflow 0
		.amdhsa_exception_fp_ieee_underflow 0
		.amdhsa_exception_fp_ieee_inexact 0
		.amdhsa_exception_int_div_zero 0
	.end_amdhsa_kernel
	.section	.text._ZN7rocprim17ROCPRIM_400000_NS6detail17trampoline_kernelINS0_13select_configILj256ELj13ELNS0_17block_load_methodE3ELS4_3ELS4_3ELNS0_20block_scan_algorithmE0ELj4294967295EEENS1_25partition_config_selectorILNS1_17partition_subalgoE3EjNS0_10empty_typeEbEEZZNS1_14partition_implILS8_3ELb0ES6_jNS0_17counting_iteratorIjlEEPS9_SE_NS0_5tupleIJPjSE_EEENSF_IJSE_SE_EEES9_SG_JZNS1_25segmented_radix_sort_implINS0_14default_configELb0EPKdPdPKlPlN2at6native12_GLOBAL__N_18offset_tEEE10hipError_tPvRmT1_PNSt15iterator_traitsISY_E10value_typeET2_T3_PNSZ_IS14_E10value_typeET4_jRbjT5_S1A_jjP12ihipStream_tbEUljE_EEESV_SW_SX_S14_S18_S1A_T6_T7_T9_mT8_S1C_bDpT10_ENKUlT_T0_E_clISt17integral_constantIbLb0EES1O_IbLb1EEEEDaS1K_S1L_EUlS1K_E_NS1_11comp_targetILNS1_3genE2ELNS1_11target_archE906ELNS1_3gpuE6ELNS1_3repE0EEENS1_30default_config_static_selectorELNS0_4arch9wavefront6targetE1EEEvSY_,"axG",@progbits,_ZN7rocprim17ROCPRIM_400000_NS6detail17trampoline_kernelINS0_13select_configILj256ELj13ELNS0_17block_load_methodE3ELS4_3ELS4_3ELNS0_20block_scan_algorithmE0ELj4294967295EEENS1_25partition_config_selectorILNS1_17partition_subalgoE3EjNS0_10empty_typeEbEEZZNS1_14partition_implILS8_3ELb0ES6_jNS0_17counting_iteratorIjlEEPS9_SE_NS0_5tupleIJPjSE_EEENSF_IJSE_SE_EEES9_SG_JZNS1_25segmented_radix_sort_implINS0_14default_configELb0EPKdPdPKlPlN2at6native12_GLOBAL__N_18offset_tEEE10hipError_tPvRmT1_PNSt15iterator_traitsISY_E10value_typeET2_T3_PNSZ_IS14_E10value_typeET4_jRbjT5_S1A_jjP12ihipStream_tbEUljE_EEESV_SW_SX_S14_S18_S1A_T6_T7_T9_mT8_S1C_bDpT10_ENKUlT_T0_E_clISt17integral_constantIbLb0EES1O_IbLb1EEEEDaS1K_S1L_EUlS1K_E_NS1_11comp_targetILNS1_3genE2ELNS1_11target_archE906ELNS1_3gpuE6ELNS1_3repE0EEENS1_30default_config_static_selectorELNS0_4arch9wavefront6targetE1EEEvSY_,comdat
.Lfunc_end1217:
	.size	_ZN7rocprim17ROCPRIM_400000_NS6detail17trampoline_kernelINS0_13select_configILj256ELj13ELNS0_17block_load_methodE3ELS4_3ELS4_3ELNS0_20block_scan_algorithmE0ELj4294967295EEENS1_25partition_config_selectorILNS1_17partition_subalgoE3EjNS0_10empty_typeEbEEZZNS1_14partition_implILS8_3ELb0ES6_jNS0_17counting_iteratorIjlEEPS9_SE_NS0_5tupleIJPjSE_EEENSF_IJSE_SE_EEES9_SG_JZNS1_25segmented_radix_sort_implINS0_14default_configELb0EPKdPdPKlPlN2at6native12_GLOBAL__N_18offset_tEEE10hipError_tPvRmT1_PNSt15iterator_traitsISY_E10value_typeET2_T3_PNSZ_IS14_E10value_typeET4_jRbjT5_S1A_jjP12ihipStream_tbEUljE_EEESV_SW_SX_S14_S18_S1A_T6_T7_T9_mT8_S1C_bDpT10_ENKUlT_T0_E_clISt17integral_constantIbLb0EES1O_IbLb1EEEEDaS1K_S1L_EUlS1K_E_NS1_11comp_targetILNS1_3genE2ELNS1_11target_archE906ELNS1_3gpuE6ELNS1_3repE0EEENS1_30default_config_static_selectorELNS0_4arch9wavefront6targetE1EEEvSY_, .Lfunc_end1217-_ZN7rocprim17ROCPRIM_400000_NS6detail17trampoline_kernelINS0_13select_configILj256ELj13ELNS0_17block_load_methodE3ELS4_3ELS4_3ELNS0_20block_scan_algorithmE0ELj4294967295EEENS1_25partition_config_selectorILNS1_17partition_subalgoE3EjNS0_10empty_typeEbEEZZNS1_14partition_implILS8_3ELb0ES6_jNS0_17counting_iteratorIjlEEPS9_SE_NS0_5tupleIJPjSE_EEENSF_IJSE_SE_EEES9_SG_JZNS1_25segmented_radix_sort_implINS0_14default_configELb0EPKdPdPKlPlN2at6native12_GLOBAL__N_18offset_tEEE10hipError_tPvRmT1_PNSt15iterator_traitsISY_E10value_typeET2_T3_PNSZ_IS14_E10value_typeET4_jRbjT5_S1A_jjP12ihipStream_tbEUljE_EEESV_SW_SX_S14_S18_S1A_T6_T7_T9_mT8_S1C_bDpT10_ENKUlT_T0_E_clISt17integral_constantIbLb0EES1O_IbLb1EEEEDaS1K_S1L_EUlS1K_E_NS1_11comp_targetILNS1_3genE2ELNS1_11target_archE906ELNS1_3gpuE6ELNS1_3repE0EEENS1_30default_config_static_selectorELNS0_4arch9wavefront6targetE1EEEvSY_
                                        ; -- End function
	.set _ZN7rocprim17ROCPRIM_400000_NS6detail17trampoline_kernelINS0_13select_configILj256ELj13ELNS0_17block_load_methodE3ELS4_3ELS4_3ELNS0_20block_scan_algorithmE0ELj4294967295EEENS1_25partition_config_selectorILNS1_17partition_subalgoE3EjNS0_10empty_typeEbEEZZNS1_14partition_implILS8_3ELb0ES6_jNS0_17counting_iteratorIjlEEPS9_SE_NS0_5tupleIJPjSE_EEENSF_IJSE_SE_EEES9_SG_JZNS1_25segmented_radix_sort_implINS0_14default_configELb0EPKdPdPKlPlN2at6native12_GLOBAL__N_18offset_tEEE10hipError_tPvRmT1_PNSt15iterator_traitsISY_E10value_typeET2_T3_PNSZ_IS14_E10value_typeET4_jRbjT5_S1A_jjP12ihipStream_tbEUljE_EEESV_SW_SX_S14_S18_S1A_T6_T7_T9_mT8_S1C_bDpT10_ENKUlT_T0_E_clISt17integral_constantIbLb0EES1O_IbLb1EEEEDaS1K_S1L_EUlS1K_E_NS1_11comp_targetILNS1_3genE2ELNS1_11target_archE906ELNS1_3gpuE6ELNS1_3repE0EEENS1_30default_config_static_selectorELNS0_4arch9wavefront6targetE1EEEvSY_.num_vgpr, 71
	.set _ZN7rocprim17ROCPRIM_400000_NS6detail17trampoline_kernelINS0_13select_configILj256ELj13ELNS0_17block_load_methodE3ELS4_3ELS4_3ELNS0_20block_scan_algorithmE0ELj4294967295EEENS1_25partition_config_selectorILNS1_17partition_subalgoE3EjNS0_10empty_typeEbEEZZNS1_14partition_implILS8_3ELb0ES6_jNS0_17counting_iteratorIjlEEPS9_SE_NS0_5tupleIJPjSE_EEENSF_IJSE_SE_EEES9_SG_JZNS1_25segmented_radix_sort_implINS0_14default_configELb0EPKdPdPKlPlN2at6native12_GLOBAL__N_18offset_tEEE10hipError_tPvRmT1_PNSt15iterator_traitsISY_E10value_typeET2_T3_PNSZ_IS14_E10value_typeET4_jRbjT5_S1A_jjP12ihipStream_tbEUljE_EEESV_SW_SX_S14_S18_S1A_T6_T7_T9_mT8_S1C_bDpT10_ENKUlT_T0_E_clISt17integral_constantIbLb0EES1O_IbLb1EEEEDaS1K_S1L_EUlS1K_E_NS1_11comp_targetILNS1_3genE2ELNS1_11target_archE906ELNS1_3gpuE6ELNS1_3repE0EEENS1_30default_config_static_selectorELNS0_4arch9wavefront6targetE1EEEvSY_.num_agpr, 0
	.set _ZN7rocprim17ROCPRIM_400000_NS6detail17trampoline_kernelINS0_13select_configILj256ELj13ELNS0_17block_load_methodE3ELS4_3ELS4_3ELNS0_20block_scan_algorithmE0ELj4294967295EEENS1_25partition_config_selectorILNS1_17partition_subalgoE3EjNS0_10empty_typeEbEEZZNS1_14partition_implILS8_3ELb0ES6_jNS0_17counting_iteratorIjlEEPS9_SE_NS0_5tupleIJPjSE_EEENSF_IJSE_SE_EEES9_SG_JZNS1_25segmented_radix_sort_implINS0_14default_configELb0EPKdPdPKlPlN2at6native12_GLOBAL__N_18offset_tEEE10hipError_tPvRmT1_PNSt15iterator_traitsISY_E10value_typeET2_T3_PNSZ_IS14_E10value_typeET4_jRbjT5_S1A_jjP12ihipStream_tbEUljE_EEESV_SW_SX_S14_S18_S1A_T6_T7_T9_mT8_S1C_bDpT10_ENKUlT_T0_E_clISt17integral_constantIbLb0EES1O_IbLb1EEEEDaS1K_S1L_EUlS1K_E_NS1_11comp_targetILNS1_3genE2ELNS1_11target_archE906ELNS1_3gpuE6ELNS1_3repE0EEENS1_30default_config_static_selectorELNS0_4arch9wavefront6targetE1EEEvSY_.numbered_sgpr, 46
	.set _ZN7rocprim17ROCPRIM_400000_NS6detail17trampoline_kernelINS0_13select_configILj256ELj13ELNS0_17block_load_methodE3ELS4_3ELS4_3ELNS0_20block_scan_algorithmE0ELj4294967295EEENS1_25partition_config_selectorILNS1_17partition_subalgoE3EjNS0_10empty_typeEbEEZZNS1_14partition_implILS8_3ELb0ES6_jNS0_17counting_iteratorIjlEEPS9_SE_NS0_5tupleIJPjSE_EEENSF_IJSE_SE_EEES9_SG_JZNS1_25segmented_radix_sort_implINS0_14default_configELb0EPKdPdPKlPlN2at6native12_GLOBAL__N_18offset_tEEE10hipError_tPvRmT1_PNSt15iterator_traitsISY_E10value_typeET2_T3_PNSZ_IS14_E10value_typeET4_jRbjT5_S1A_jjP12ihipStream_tbEUljE_EEESV_SW_SX_S14_S18_S1A_T6_T7_T9_mT8_S1C_bDpT10_ENKUlT_T0_E_clISt17integral_constantIbLb0EES1O_IbLb1EEEEDaS1K_S1L_EUlS1K_E_NS1_11comp_targetILNS1_3genE2ELNS1_11target_archE906ELNS1_3gpuE6ELNS1_3repE0EEENS1_30default_config_static_selectorELNS0_4arch9wavefront6targetE1EEEvSY_.num_named_barrier, 0
	.set _ZN7rocprim17ROCPRIM_400000_NS6detail17trampoline_kernelINS0_13select_configILj256ELj13ELNS0_17block_load_methodE3ELS4_3ELS4_3ELNS0_20block_scan_algorithmE0ELj4294967295EEENS1_25partition_config_selectorILNS1_17partition_subalgoE3EjNS0_10empty_typeEbEEZZNS1_14partition_implILS8_3ELb0ES6_jNS0_17counting_iteratorIjlEEPS9_SE_NS0_5tupleIJPjSE_EEENSF_IJSE_SE_EEES9_SG_JZNS1_25segmented_radix_sort_implINS0_14default_configELb0EPKdPdPKlPlN2at6native12_GLOBAL__N_18offset_tEEE10hipError_tPvRmT1_PNSt15iterator_traitsISY_E10value_typeET2_T3_PNSZ_IS14_E10value_typeET4_jRbjT5_S1A_jjP12ihipStream_tbEUljE_EEESV_SW_SX_S14_S18_S1A_T6_T7_T9_mT8_S1C_bDpT10_ENKUlT_T0_E_clISt17integral_constantIbLb0EES1O_IbLb1EEEEDaS1K_S1L_EUlS1K_E_NS1_11comp_targetILNS1_3genE2ELNS1_11target_archE906ELNS1_3gpuE6ELNS1_3repE0EEENS1_30default_config_static_selectorELNS0_4arch9wavefront6targetE1EEEvSY_.private_seg_size, 0
	.set _ZN7rocprim17ROCPRIM_400000_NS6detail17trampoline_kernelINS0_13select_configILj256ELj13ELNS0_17block_load_methodE3ELS4_3ELS4_3ELNS0_20block_scan_algorithmE0ELj4294967295EEENS1_25partition_config_selectorILNS1_17partition_subalgoE3EjNS0_10empty_typeEbEEZZNS1_14partition_implILS8_3ELb0ES6_jNS0_17counting_iteratorIjlEEPS9_SE_NS0_5tupleIJPjSE_EEENSF_IJSE_SE_EEES9_SG_JZNS1_25segmented_radix_sort_implINS0_14default_configELb0EPKdPdPKlPlN2at6native12_GLOBAL__N_18offset_tEEE10hipError_tPvRmT1_PNSt15iterator_traitsISY_E10value_typeET2_T3_PNSZ_IS14_E10value_typeET4_jRbjT5_S1A_jjP12ihipStream_tbEUljE_EEESV_SW_SX_S14_S18_S1A_T6_T7_T9_mT8_S1C_bDpT10_ENKUlT_T0_E_clISt17integral_constantIbLb0EES1O_IbLb1EEEEDaS1K_S1L_EUlS1K_E_NS1_11comp_targetILNS1_3genE2ELNS1_11target_archE906ELNS1_3gpuE6ELNS1_3repE0EEENS1_30default_config_static_selectorELNS0_4arch9wavefront6targetE1EEEvSY_.uses_vcc, 1
	.set _ZN7rocprim17ROCPRIM_400000_NS6detail17trampoline_kernelINS0_13select_configILj256ELj13ELNS0_17block_load_methodE3ELS4_3ELS4_3ELNS0_20block_scan_algorithmE0ELj4294967295EEENS1_25partition_config_selectorILNS1_17partition_subalgoE3EjNS0_10empty_typeEbEEZZNS1_14partition_implILS8_3ELb0ES6_jNS0_17counting_iteratorIjlEEPS9_SE_NS0_5tupleIJPjSE_EEENSF_IJSE_SE_EEES9_SG_JZNS1_25segmented_radix_sort_implINS0_14default_configELb0EPKdPdPKlPlN2at6native12_GLOBAL__N_18offset_tEEE10hipError_tPvRmT1_PNSt15iterator_traitsISY_E10value_typeET2_T3_PNSZ_IS14_E10value_typeET4_jRbjT5_S1A_jjP12ihipStream_tbEUljE_EEESV_SW_SX_S14_S18_S1A_T6_T7_T9_mT8_S1C_bDpT10_ENKUlT_T0_E_clISt17integral_constantIbLb0EES1O_IbLb1EEEEDaS1K_S1L_EUlS1K_E_NS1_11comp_targetILNS1_3genE2ELNS1_11target_archE906ELNS1_3gpuE6ELNS1_3repE0EEENS1_30default_config_static_selectorELNS0_4arch9wavefront6targetE1EEEvSY_.uses_flat_scratch, 0
	.set _ZN7rocprim17ROCPRIM_400000_NS6detail17trampoline_kernelINS0_13select_configILj256ELj13ELNS0_17block_load_methodE3ELS4_3ELS4_3ELNS0_20block_scan_algorithmE0ELj4294967295EEENS1_25partition_config_selectorILNS1_17partition_subalgoE3EjNS0_10empty_typeEbEEZZNS1_14partition_implILS8_3ELb0ES6_jNS0_17counting_iteratorIjlEEPS9_SE_NS0_5tupleIJPjSE_EEENSF_IJSE_SE_EEES9_SG_JZNS1_25segmented_radix_sort_implINS0_14default_configELb0EPKdPdPKlPlN2at6native12_GLOBAL__N_18offset_tEEE10hipError_tPvRmT1_PNSt15iterator_traitsISY_E10value_typeET2_T3_PNSZ_IS14_E10value_typeET4_jRbjT5_S1A_jjP12ihipStream_tbEUljE_EEESV_SW_SX_S14_S18_S1A_T6_T7_T9_mT8_S1C_bDpT10_ENKUlT_T0_E_clISt17integral_constantIbLb0EES1O_IbLb1EEEEDaS1K_S1L_EUlS1K_E_NS1_11comp_targetILNS1_3genE2ELNS1_11target_archE906ELNS1_3gpuE6ELNS1_3repE0EEENS1_30default_config_static_selectorELNS0_4arch9wavefront6targetE1EEEvSY_.has_dyn_sized_stack, 0
	.set _ZN7rocprim17ROCPRIM_400000_NS6detail17trampoline_kernelINS0_13select_configILj256ELj13ELNS0_17block_load_methodE3ELS4_3ELS4_3ELNS0_20block_scan_algorithmE0ELj4294967295EEENS1_25partition_config_selectorILNS1_17partition_subalgoE3EjNS0_10empty_typeEbEEZZNS1_14partition_implILS8_3ELb0ES6_jNS0_17counting_iteratorIjlEEPS9_SE_NS0_5tupleIJPjSE_EEENSF_IJSE_SE_EEES9_SG_JZNS1_25segmented_radix_sort_implINS0_14default_configELb0EPKdPdPKlPlN2at6native12_GLOBAL__N_18offset_tEEE10hipError_tPvRmT1_PNSt15iterator_traitsISY_E10value_typeET2_T3_PNSZ_IS14_E10value_typeET4_jRbjT5_S1A_jjP12ihipStream_tbEUljE_EEESV_SW_SX_S14_S18_S1A_T6_T7_T9_mT8_S1C_bDpT10_ENKUlT_T0_E_clISt17integral_constantIbLb0EES1O_IbLb1EEEEDaS1K_S1L_EUlS1K_E_NS1_11comp_targetILNS1_3genE2ELNS1_11target_archE906ELNS1_3gpuE6ELNS1_3repE0EEENS1_30default_config_static_selectorELNS0_4arch9wavefront6targetE1EEEvSY_.has_recursion, 0
	.set _ZN7rocprim17ROCPRIM_400000_NS6detail17trampoline_kernelINS0_13select_configILj256ELj13ELNS0_17block_load_methodE3ELS4_3ELS4_3ELNS0_20block_scan_algorithmE0ELj4294967295EEENS1_25partition_config_selectorILNS1_17partition_subalgoE3EjNS0_10empty_typeEbEEZZNS1_14partition_implILS8_3ELb0ES6_jNS0_17counting_iteratorIjlEEPS9_SE_NS0_5tupleIJPjSE_EEENSF_IJSE_SE_EEES9_SG_JZNS1_25segmented_radix_sort_implINS0_14default_configELb0EPKdPdPKlPlN2at6native12_GLOBAL__N_18offset_tEEE10hipError_tPvRmT1_PNSt15iterator_traitsISY_E10value_typeET2_T3_PNSZ_IS14_E10value_typeET4_jRbjT5_S1A_jjP12ihipStream_tbEUljE_EEESV_SW_SX_S14_S18_S1A_T6_T7_T9_mT8_S1C_bDpT10_ENKUlT_T0_E_clISt17integral_constantIbLb0EES1O_IbLb1EEEEDaS1K_S1L_EUlS1K_E_NS1_11comp_targetILNS1_3genE2ELNS1_11target_archE906ELNS1_3gpuE6ELNS1_3repE0EEENS1_30default_config_static_selectorELNS0_4arch9wavefront6targetE1EEEvSY_.has_indirect_call, 0
	.section	.AMDGPU.csdata,"",@progbits
; Kernel info:
; codeLenInByte = 7548
; TotalNumSgprs: 50
; NumVgprs: 71
; ScratchSize: 0
; MemoryBound: 0
; FloatMode: 240
; IeeeMode: 1
; LDSByteSize: 13320 bytes/workgroup (compile time only)
; SGPRBlocks: 12
; VGPRBlocks: 17
; NumSGPRsForWavesPerEU: 102
; NumVGPRsForWavesPerEU: 71
; Occupancy: 3
; WaveLimiterHint : 0
; COMPUTE_PGM_RSRC2:SCRATCH_EN: 0
; COMPUTE_PGM_RSRC2:USER_SGPR: 6
; COMPUTE_PGM_RSRC2:TRAP_HANDLER: 0
; COMPUTE_PGM_RSRC2:TGID_X_EN: 1
; COMPUTE_PGM_RSRC2:TGID_Y_EN: 0
; COMPUTE_PGM_RSRC2:TGID_Z_EN: 0
; COMPUTE_PGM_RSRC2:TIDIG_COMP_CNT: 0
	.section	.text._ZN7rocprim17ROCPRIM_400000_NS6detail17trampoline_kernelINS0_13select_configILj256ELj13ELNS0_17block_load_methodE3ELS4_3ELS4_3ELNS0_20block_scan_algorithmE0ELj4294967295EEENS1_25partition_config_selectorILNS1_17partition_subalgoE3EjNS0_10empty_typeEbEEZZNS1_14partition_implILS8_3ELb0ES6_jNS0_17counting_iteratorIjlEEPS9_SE_NS0_5tupleIJPjSE_EEENSF_IJSE_SE_EEES9_SG_JZNS1_25segmented_radix_sort_implINS0_14default_configELb0EPKdPdPKlPlN2at6native12_GLOBAL__N_18offset_tEEE10hipError_tPvRmT1_PNSt15iterator_traitsISY_E10value_typeET2_T3_PNSZ_IS14_E10value_typeET4_jRbjT5_S1A_jjP12ihipStream_tbEUljE_EEESV_SW_SX_S14_S18_S1A_T6_T7_T9_mT8_S1C_bDpT10_ENKUlT_T0_E_clISt17integral_constantIbLb0EES1O_IbLb1EEEEDaS1K_S1L_EUlS1K_E_NS1_11comp_targetILNS1_3genE10ELNS1_11target_archE1200ELNS1_3gpuE4ELNS1_3repE0EEENS1_30default_config_static_selectorELNS0_4arch9wavefront6targetE1EEEvSY_,"axG",@progbits,_ZN7rocprim17ROCPRIM_400000_NS6detail17trampoline_kernelINS0_13select_configILj256ELj13ELNS0_17block_load_methodE3ELS4_3ELS4_3ELNS0_20block_scan_algorithmE0ELj4294967295EEENS1_25partition_config_selectorILNS1_17partition_subalgoE3EjNS0_10empty_typeEbEEZZNS1_14partition_implILS8_3ELb0ES6_jNS0_17counting_iteratorIjlEEPS9_SE_NS0_5tupleIJPjSE_EEENSF_IJSE_SE_EEES9_SG_JZNS1_25segmented_radix_sort_implINS0_14default_configELb0EPKdPdPKlPlN2at6native12_GLOBAL__N_18offset_tEEE10hipError_tPvRmT1_PNSt15iterator_traitsISY_E10value_typeET2_T3_PNSZ_IS14_E10value_typeET4_jRbjT5_S1A_jjP12ihipStream_tbEUljE_EEESV_SW_SX_S14_S18_S1A_T6_T7_T9_mT8_S1C_bDpT10_ENKUlT_T0_E_clISt17integral_constantIbLb0EES1O_IbLb1EEEEDaS1K_S1L_EUlS1K_E_NS1_11comp_targetILNS1_3genE10ELNS1_11target_archE1200ELNS1_3gpuE4ELNS1_3repE0EEENS1_30default_config_static_selectorELNS0_4arch9wavefront6targetE1EEEvSY_,comdat
	.globl	_ZN7rocprim17ROCPRIM_400000_NS6detail17trampoline_kernelINS0_13select_configILj256ELj13ELNS0_17block_load_methodE3ELS4_3ELS4_3ELNS0_20block_scan_algorithmE0ELj4294967295EEENS1_25partition_config_selectorILNS1_17partition_subalgoE3EjNS0_10empty_typeEbEEZZNS1_14partition_implILS8_3ELb0ES6_jNS0_17counting_iteratorIjlEEPS9_SE_NS0_5tupleIJPjSE_EEENSF_IJSE_SE_EEES9_SG_JZNS1_25segmented_radix_sort_implINS0_14default_configELb0EPKdPdPKlPlN2at6native12_GLOBAL__N_18offset_tEEE10hipError_tPvRmT1_PNSt15iterator_traitsISY_E10value_typeET2_T3_PNSZ_IS14_E10value_typeET4_jRbjT5_S1A_jjP12ihipStream_tbEUljE_EEESV_SW_SX_S14_S18_S1A_T6_T7_T9_mT8_S1C_bDpT10_ENKUlT_T0_E_clISt17integral_constantIbLb0EES1O_IbLb1EEEEDaS1K_S1L_EUlS1K_E_NS1_11comp_targetILNS1_3genE10ELNS1_11target_archE1200ELNS1_3gpuE4ELNS1_3repE0EEENS1_30default_config_static_selectorELNS0_4arch9wavefront6targetE1EEEvSY_ ; -- Begin function _ZN7rocprim17ROCPRIM_400000_NS6detail17trampoline_kernelINS0_13select_configILj256ELj13ELNS0_17block_load_methodE3ELS4_3ELS4_3ELNS0_20block_scan_algorithmE0ELj4294967295EEENS1_25partition_config_selectorILNS1_17partition_subalgoE3EjNS0_10empty_typeEbEEZZNS1_14partition_implILS8_3ELb0ES6_jNS0_17counting_iteratorIjlEEPS9_SE_NS0_5tupleIJPjSE_EEENSF_IJSE_SE_EEES9_SG_JZNS1_25segmented_radix_sort_implINS0_14default_configELb0EPKdPdPKlPlN2at6native12_GLOBAL__N_18offset_tEEE10hipError_tPvRmT1_PNSt15iterator_traitsISY_E10value_typeET2_T3_PNSZ_IS14_E10value_typeET4_jRbjT5_S1A_jjP12ihipStream_tbEUljE_EEESV_SW_SX_S14_S18_S1A_T6_T7_T9_mT8_S1C_bDpT10_ENKUlT_T0_E_clISt17integral_constantIbLb0EES1O_IbLb1EEEEDaS1K_S1L_EUlS1K_E_NS1_11comp_targetILNS1_3genE10ELNS1_11target_archE1200ELNS1_3gpuE4ELNS1_3repE0EEENS1_30default_config_static_selectorELNS0_4arch9wavefront6targetE1EEEvSY_
	.p2align	8
	.type	_ZN7rocprim17ROCPRIM_400000_NS6detail17trampoline_kernelINS0_13select_configILj256ELj13ELNS0_17block_load_methodE3ELS4_3ELS4_3ELNS0_20block_scan_algorithmE0ELj4294967295EEENS1_25partition_config_selectorILNS1_17partition_subalgoE3EjNS0_10empty_typeEbEEZZNS1_14partition_implILS8_3ELb0ES6_jNS0_17counting_iteratorIjlEEPS9_SE_NS0_5tupleIJPjSE_EEENSF_IJSE_SE_EEES9_SG_JZNS1_25segmented_radix_sort_implINS0_14default_configELb0EPKdPdPKlPlN2at6native12_GLOBAL__N_18offset_tEEE10hipError_tPvRmT1_PNSt15iterator_traitsISY_E10value_typeET2_T3_PNSZ_IS14_E10value_typeET4_jRbjT5_S1A_jjP12ihipStream_tbEUljE_EEESV_SW_SX_S14_S18_S1A_T6_T7_T9_mT8_S1C_bDpT10_ENKUlT_T0_E_clISt17integral_constantIbLb0EES1O_IbLb1EEEEDaS1K_S1L_EUlS1K_E_NS1_11comp_targetILNS1_3genE10ELNS1_11target_archE1200ELNS1_3gpuE4ELNS1_3repE0EEENS1_30default_config_static_selectorELNS0_4arch9wavefront6targetE1EEEvSY_,@function
_ZN7rocprim17ROCPRIM_400000_NS6detail17trampoline_kernelINS0_13select_configILj256ELj13ELNS0_17block_load_methodE3ELS4_3ELS4_3ELNS0_20block_scan_algorithmE0ELj4294967295EEENS1_25partition_config_selectorILNS1_17partition_subalgoE3EjNS0_10empty_typeEbEEZZNS1_14partition_implILS8_3ELb0ES6_jNS0_17counting_iteratorIjlEEPS9_SE_NS0_5tupleIJPjSE_EEENSF_IJSE_SE_EEES9_SG_JZNS1_25segmented_radix_sort_implINS0_14default_configELb0EPKdPdPKlPlN2at6native12_GLOBAL__N_18offset_tEEE10hipError_tPvRmT1_PNSt15iterator_traitsISY_E10value_typeET2_T3_PNSZ_IS14_E10value_typeET4_jRbjT5_S1A_jjP12ihipStream_tbEUljE_EEESV_SW_SX_S14_S18_S1A_T6_T7_T9_mT8_S1C_bDpT10_ENKUlT_T0_E_clISt17integral_constantIbLb0EES1O_IbLb1EEEEDaS1K_S1L_EUlS1K_E_NS1_11comp_targetILNS1_3genE10ELNS1_11target_archE1200ELNS1_3gpuE4ELNS1_3repE0EEENS1_30default_config_static_selectorELNS0_4arch9wavefront6targetE1EEEvSY_: ; @_ZN7rocprim17ROCPRIM_400000_NS6detail17trampoline_kernelINS0_13select_configILj256ELj13ELNS0_17block_load_methodE3ELS4_3ELS4_3ELNS0_20block_scan_algorithmE0ELj4294967295EEENS1_25partition_config_selectorILNS1_17partition_subalgoE3EjNS0_10empty_typeEbEEZZNS1_14partition_implILS8_3ELb0ES6_jNS0_17counting_iteratorIjlEEPS9_SE_NS0_5tupleIJPjSE_EEENSF_IJSE_SE_EEES9_SG_JZNS1_25segmented_radix_sort_implINS0_14default_configELb0EPKdPdPKlPlN2at6native12_GLOBAL__N_18offset_tEEE10hipError_tPvRmT1_PNSt15iterator_traitsISY_E10value_typeET2_T3_PNSZ_IS14_E10value_typeET4_jRbjT5_S1A_jjP12ihipStream_tbEUljE_EEESV_SW_SX_S14_S18_S1A_T6_T7_T9_mT8_S1C_bDpT10_ENKUlT_T0_E_clISt17integral_constantIbLb0EES1O_IbLb1EEEEDaS1K_S1L_EUlS1K_E_NS1_11comp_targetILNS1_3genE10ELNS1_11target_archE1200ELNS1_3gpuE4ELNS1_3repE0EEENS1_30default_config_static_selectorELNS0_4arch9wavefront6targetE1EEEvSY_
; %bb.0:
	.section	.rodata,"a",@progbits
	.p2align	6, 0x0
	.amdhsa_kernel _ZN7rocprim17ROCPRIM_400000_NS6detail17trampoline_kernelINS0_13select_configILj256ELj13ELNS0_17block_load_methodE3ELS4_3ELS4_3ELNS0_20block_scan_algorithmE0ELj4294967295EEENS1_25partition_config_selectorILNS1_17partition_subalgoE3EjNS0_10empty_typeEbEEZZNS1_14partition_implILS8_3ELb0ES6_jNS0_17counting_iteratorIjlEEPS9_SE_NS0_5tupleIJPjSE_EEENSF_IJSE_SE_EEES9_SG_JZNS1_25segmented_radix_sort_implINS0_14default_configELb0EPKdPdPKlPlN2at6native12_GLOBAL__N_18offset_tEEE10hipError_tPvRmT1_PNSt15iterator_traitsISY_E10value_typeET2_T3_PNSZ_IS14_E10value_typeET4_jRbjT5_S1A_jjP12ihipStream_tbEUljE_EEESV_SW_SX_S14_S18_S1A_T6_T7_T9_mT8_S1C_bDpT10_ENKUlT_T0_E_clISt17integral_constantIbLb0EES1O_IbLb1EEEEDaS1K_S1L_EUlS1K_E_NS1_11comp_targetILNS1_3genE10ELNS1_11target_archE1200ELNS1_3gpuE4ELNS1_3repE0EEENS1_30default_config_static_selectorELNS0_4arch9wavefront6targetE1EEEvSY_
		.amdhsa_group_segment_fixed_size 0
		.amdhsa_private_segment_fixed_size 0
		.amdhsa_kernarg_size 152
		.amdhsa_user_sgpr_count 6
		.amdhsa_user_sgpr_private_segment_buffer 1
		.amdhsa_user_sgpr_dispatch_ptr 0
		.amdhsa_user_sgpr_queue_ptr 0
		.amdhsa_user_sgpr_kernarg_segment_ptr 1
		.amdhsa_user_sgpr_dispatch_id 0
		.amdhsa_user_sgpr_flat_scratch_init 0
		.amdhsa_user_sgpr_private_segment_size 0
		.amdhsa_uses_dynamic_stack 0
		.amdhsa_system_sgpr_private_segment_wavefront_offset 0
		.amdhsa_system_sgpr_workgroup_id_x 1
		.amdhsa_system_sgpr_workgroup_id_y 0
		.amdhsa_system_sgpr_workgroup_id_z 0
		.amdhsa_system_sgpr_workgroup_info 0
		.amdhsa_system_vgpr_workitem_id 0
		.amdhsa_next_free_vgpr 1
		.amdhsa_next_free_sgpr 0
		.amdhsa_reserve_vcc 0
		.amdhsa_reserve_flat_scratch 0
		.amdhsa_float_round_mode_32 0
		.amdhsa_float_round_mode_16_64 0
		.amdhsa_float_denorm_mode_32 3
		.amdhsa_float_denorm_mode_16_64 3
		.amdhsa_dx10_clamp 1
		.amdhsa_ieee_mode 1
		.amdhsa_fp16_overflow 0
		.amdhsa_exception_fp_ieee_invalid_op 0
		.amdhsa_exception_fp_denorm_src 0
		.amdhsa_exception_fp_ieee_div_zero 0
		.amdhsa_exception_fp_ieee_overflow 0
		.amdhsa_exception_fp_ieee_underflow 0
		.amdhsa_exception_fp_ieee_inexact 0
		.amdhsa_exception_int_div_zero 0
	.end_amdhsa_kernel
	.section	.text._ZN7rocprim17ROCPRIM_400000_NS6detail17trampoline_kernelINS0_13select_configILj256ELj13ELNS0_17block_load_methodE3ELS4_3ELS4_3ELNS0_20block_scan_algorithmE0ELj4294967295EEENS1_25partition_config_selectorILNS1_17partition_subalgoE3EjNS0_10empty_typeEbEEZZNS1_14partition_implILS8_3ELb0ES6_jNS0_17counting_iteratorIjlEEPS9_SE_NS0_5tupleIJPjSE_EEENSF_IJSE_SE_EEES9_SG_JZNS1_25segmented_radix_sort_implINS0_14default_configELb0EPKdPdPKlPlN2at6native12_GLOBAL__N_18offset_tEEE10hipError_tPvRmT1_PNSt15iterator_traitsISY_E10value_typeET2_T3_PNSZ_IS14_E10value_typeET4_jRbjT5_S1A_jjP12ihipStream_tbEUljE_EEESV_SW_SX_S14_S18_S1A_T6_T7_T9_mT8_S1C_bDpT10_ENKUlT_T0_E_clISt17integral_constantIbLb0EES1O_IbLb1EEEEDaS1K_S1L_EUlS1K_E_NS1_11comp_targetILNS1_3genE10ELNS1_11target_archE1200ELNS1_3gpuE4ELNS1_3repE0EEENS1_30default_config_static_selectorELNS0_4arch9wavefront6targetE1EEEvSY_,"axG",@progbits,_ZN7rocprim17ROCPRIM_400000_NS6detail17trampoline_kernelINS0_13select_configILj256ELj13ELNS0_17block_load_methodE3ELS4_3ELS4_3ELNS0_20block_scan_algorithmE0ELj4294967295EEENS1_25partition_config_selectorILNS1_17partition_subalgoE3EjNS0_10empty_typeEbEEZZNS1_14partition_implILS8_3ELb0ES6_jNS0_17counting_iteratorIjlEEPS9_SE_NS0_5tupleIJPjSE_EEENSF_IJSE_SE_EEES9_SG_JZNS1_25segmented_radix_sort_implINS0_14default_configELb0EPKdPdPKlPlN2at6native12_GLOBAL__N_18offset_tEEE10hipError_tPvRmT1_PNSt15iterator_traitsISY_E10value_typeET2_T3_PNSZ_IS14_E10value_typeET4_jRbjT5_S1A_jjP12ihipStream_tbEUljE_EEESV_SW_SX_S14_S18_S1A_T6_T7_T9_mT8_S1C_bDpT10_ENKUlT_T0_E_clISt17integral_constantIbLb0EES1O_IbLb1EEEEDaS1K_S1L_EUlS1K_E_NS1_11comp_targetILNS1_3genE10ELNS1_11target_archE1200ELNS1_3gpuE4ELNS1_3repE0EEENS1_30default_config_static_selectorELNS0_4arch9wavefront6targetE1EEEvSY_,comdat
.Lfunc_end1218:
	.size	_ZN7rocprim17ROCPRIM_400000_NS6detail17trampoline_kernelINS0_13select_configILj256ELj13ELNS0_17block_load_methodE3ELS4_3ELS4_3ELNS0_20block_scan_algorithmE0ELj4294967295EEENS1_25partition_config_selectorILNS1_17partition_subalgoE3EjNS0_10empty_typeEbEEZZNS1_14partition_implILS8_3ELb0ES6_jNS0_17counting_iteratorIjlEEPS9_SE_NS0_5tupleIJPjSE_EEENSF_IJSE_SE_EEES9_SG_JZNS1_25segmented_radix_sort_implINS0_14default_configELb0EPKdPdPKlPlN2at6native12_GLOBAL__N_18offset_tEEE10hipError_tPvRmT1_PNSt15iterator_traitsISY_E10value_typeET2_T3_PNSZ_IS14_E10value_typeET4_jRbjT5_S1A_jjP12ihipStream_tbEUljE_EEESV_SW_SX_S14_S18_S1A_T6_T7_T9_mT8_S1C_bDpT10_ENKUlT_T0_E_clISt17integral_constantIbLb0EES1O_IbLb1EEEEDaS1K_S1L_EUlS1K_E_NS1_11comp_targetILNS1_3genE10ELNS1_11target_archE1200ELNS1_3gpuE4ELNS1_3repE0EEENS1_30default_config_static_selectorELNS0_4arch9wavefront6targetE1EEEvSY_, .Lfunc_end1218-_ZN7rocprim17ROCPRIM_400000_NS6detail17trampoline_kernelINS0_13select_configILj256ELj13ELNS0_17block_load_methodE3ELS4_3ELS4_3ELNS0_20block_scan_algorithmE0ELj4294967295EEENS1_25partition_config_selectorILNS1_17partition_subalgoE3EjNS0_10empty_typeEbEEZZNS1_14partition_implILS8_3ELb0ES6_jNS0_17counting_iteratorIjlEEPS9_SE_NS0_5tupleIJPjSE_EEENSF_IJSE_SE_EEES9_SG_JZNS1_25segmented_radix_sort_implINS0_14default_configELb0EPKdPdPKlPlN2at6native12_GLOBAL__N_18offset_tEEE10hipError_tPvRmT1_PNSt15iterator_traitsISY_E10value_typeET2_T3_PNSZ_IS14_E10value_typeET4_jRbjT5_S1A_jjP12ihipStream_tbEUljE_EEESV_SW_SX_S14_S18_S1A_T6_T7_T9_mT8_S1C_bDpT10_ENKUlT_T0_E_clISt17integral_constantIbLb0EES1O_IbLb1EEEEDaS1K_S1L_EUlS1K_E_NS1_11comp_targetILNS1_3genE10ELNS1_11target_archE1200ELNS1_3gpuE4ELNS1_3repE0EEENS1_30default_config_static_selectorELNS0_4arch9wavefront6targetE1EEEvSY_
                                        ; -- End function
	.set _ZN7rocprim17ROCPRIM_400000_NS6detail17trampoline_kernelINS0_13select_configILj256ELj13ELNS0_17block_load_methodE3ELS4_3ELS4_3ELNS0_20block_scan_algorithmE0ELj4294967295EEENS1_25partition_config_selectorILNS1_17partition_subalgoE3EjNS0_10empty_typeEbEEZZNS1_14partition_implILS8_3ELb0ES6_jNS0_17counting_iteratorIjlEEPS9_SE_NS0_5tupleIJPjSE_EEENSF_IJSE_SE_EEES9_SG_JZNS1_25segmented_radix_sort_implINS0_14default_configELb0EPKdPdPKlPlN2at6native12_GLOBAL__N_18offset_tEEE10hipError_tPvRmT1_PNSt15iterator_traitsISY_E10value_typeET2_T3_PNSZ_IS14_E10value_typeET4_jRbjT5_S1A_jjP12ihipStream_tbEUljE_EEESV_SW_SX_S14_S18_S1A_T6_T7_T9_mT8_S1C_bDpT10_ENKUlT_T0_E_clISt17integral_constantIbLb0EES1O_IbLb1EEEEDaS1K_S1L_EUlS1K_E_NS1_11comp_targetILNS1_3genE10ELNS1_11target_archE1200ELNS1_3gpuE4ELNS1_3repE0EEENS1_30default_config_static_selectorELNS0_4arch9wavefront6targetE1EEEvSY_.num_vgpr, 0
	.set _ZN7rocprim17ROCPRIM_400000_NS6detail17trampoline_kernelINS0_13select_configILj256ELj13ELNS0_17block_load_methodE3ELS4_3ELS4_3ELNS0_20block_scan_algorithmE0ELj4294967295EEENS1_25partition_config_selectorILNS1_17partition_subalgoE3EjNS0_10empty_typeEbEEZZNS1_14partition_implILS8_3ELb0ES6_jNS0_17counting_iteratorIjlEEPS9_SE_NS0_5tupleIJPjSE_EEENSF_IJSE_SE_EEES9_SG_JZNS1_25segmented_radix_sort_implINS0_14default_configELb0EPKdPdPKlPlN2at6native12_GLOBAL__N_18offset_tEEE10hipError_tPvRmT1_PNSt15iterator_traitsISY_E10value_typeET2_T3_PNSZ_IS14_E10value_typeET4_jRbjT5_S1A_jjP12ihipStream_tbEUljE_EEESV_SW_SX_S14_S18_S1A_T6_T7_T9_mT8_S1C_bDpT10_ENKUlT_T0_E_clISt17integral_constantIbLb0EES1O_IbLb1EEEEDaS1K_S1L_EUlS1K_E_NS1_11comp_targetILNS1_3genE10ELNS1_11target_archE1200ELNS1_3gpuE4ELNS1_3repE0EEENS1_30default_config_static_selectorELNS0_4arch9wavefront6targetE1EEEvSY_.num_agpr, 0
	.set _ZN7rocprim17ROCPRIM_400000_NS6detail17trampoline_kernelINS0_13select_configILj256ELj13ELNS0_17block_load_methodE3ELS4_3ELS4_3ELNS0_20block_scan_algorithmE0ELj4294967295EEENS1_25partition_config_selectorILNS1_17partition_subalgoE3EjNS0_10empty_typeEbEEZZNS1_14partition_implILS8_3ELb0ES6_jNS0_17counting_iteratorIjlEEPS9_SE_NS0_5tupleIJPjSE_EEENSF_IJSE_SE_EEES9_SG_JZNS1_25segmented_radix_sort_implINS0_14default_configELb0EPKdPdPKlPlN2at6native12_GLOBAL__N_18offset_tEEE10hipError_tPvRmT1_PNSt15iterator_traitsISY_E10value_typeET2_T3_PNSZ_IS14_E10value_typeET4_jRbjT5_S1A_jjP12ihipStream_tbEUljE_EEESV_SW_SX_S14_S18_S1A_T6_T7_T9_mT8_S1C_bDpT10_ENKUlT_T0_E_clISt17integral_constantIbLb0EES1O_IbLb1EEEEDaS1K_S1L_EUlS1K_E_NS1_11comp_targetILNS1_3genE10ELNS1_11target_archE1200ELNS1_3gpuE4ELNS1_3repE0EEENS1_30default_config_static_selectorELNS0_4arch9wavefront6targetE1EEEvSY_.numbered_sgpr, 0
	.set _ZN7rocprim17ROCPRIM_400000_NS6detail17trampoline_kernelINS0_13select_configILj256ELj13ELNS0_17block_load_methodE3ELS4_3ELS4_3ELNS0_20block_scan_algorithmE0ELj4294967295EEENS1_25partition_config_selectorILNS1_17partition_subalgoE3EjNS0_10empty_typeEbEEZZNS1_14partition_implILS8_3ELb0ES6_jNS0_17counting_iteratorIjlEEPS9_SE_NS0_5tupleIJPjSE_EEENSF_IJSE_SE_EEES9_SG_JZNS1_25segmented_radix_sort_implINS0_14default_configELb0EPKdPdPKlPlN2at6native12_GLOBAL__N_18offset_tEEE10hipError_tPvRmT1_PNSt15iterator_traitsISY_E10value_typeET2_T3_PNSZ_IS14_E10value_typeET4_jRbjT5_S1A_jjP12ihipStream_tbEUljE_EEESV_SW_SX_S14_S18_S1A_T6_T7_T9_mT8_S1C_bDpT10_ENKUlT_T0_E_clISt17integral_constantIbLb0EES1O_IbLb1EEEEDaS1K_S1L_EUlS1K_E_NS1_11comp_targetILNS1_3genE10ELNS1_11target_archE1200ELNS1_3gpuE4ELNS1_3repE0EEENS1_30default_config_static_selectorELNS0_4arch9wavefront6targetE1EEEvSY_.num_named_barrier, 0
	.set _ZN7rocprim17ROCPRIM_400000_NS6detail17trampoline_kernelINS0_13select_configILj256ELj13ELNS0_17block_load_methodE3ELS4_3ELS4_3ELNS0_20block_scan_algorithmE0ELj4294967295EEENS1_25partition_config_selectorILNS1_17partition_subalgoE3EjNS0_10empty_typeEbEEZZNS1_14partition_implILS8_3ELb0ES6_jNS0_17counting_iteratorIjlEEPS9_SE_NS0_5tupleIJPjSE_EEENSF_IJSE_SE_EEES9_SG_JZNS1_25segmented_radix_sort_implINS0_14default_configELb0EPKdPdPKlPlN2at6native12_GLOBAL__N_18offset_tEEE10hipError_tPvRmT1_PNSt15iterator_traitsISY_E10value_typeET2_T3_PNSZ_IS14_E10value_typeET4_jRbjT5_S1A_jjP12ihipStream_tbEUljE_EEESV_SW_SX_S14_S18_S1A_T6_T7_T9_mT8_S1C_bDpT10_ENKUlT_T0_E_clISt17integral_constantIbLb0EES1O_IbLb1EEEEDaS1K_S1L_EUlS1K_E_NS1_11comp_targetILNS1_3genE10ELNS1_11target_archE1200ELNS1_3gpuE4ELNS1_3repE0EEENS1_30default_config_static_selectorELNS0_4arch9wavefront6targetE1EEEvSY_.private_seg_size, 0
	.set _ZN7rocprim17ROCPRIM_400000_NS6detail17trampoline_kernelINS0_13select_configILj256ELj13ELNS0_17block_load_methodE3ELS4_3ELS4_3ELNS0_20block_scan_algorithmE0ELj4294967295EEENS1_25partition_config_selectorILNS1_17partition_subalgoE3EjNS0_10empty_typeEbEEZZNS1_14partition_implILS8_3ELb0ES6_jNS0_17counting_iteratorIjlEEPS9_SE_NS0_5tupleIJPjSE_EEENSF_IJSE_SE_EEES9_SG_JZNS1_25segmented_radix_sort_implINS0_14default_configELb0EPKdPdPKlPlN2at6native12_GLOBAL__N_18offset_tEEE10hipError_tPvRmT1_PNSt15iterator_traitsISY_E10value_typeET2_T3_PNSZ_IS14_E10value_typeET4_jRbjT5_S1A_jjP12ihipStream_tbEUljE_EEESV_SW_SX_S14_S18_S1A_T6_T7_T9_mT8_S1C_bDpT10_ENKUlT_T0_E_clISt17integral_constantIbLb0EES1O_IbLb1EEEEDaS1K_S1L_EUlS1K_E_NS1_11comp_targetILNS1_3genE10ELNS1_11target_archE1200ELNS1_3gpuE4ELNS1_3repE0EEENS1_30default_config_static_selectorELNS0_4arch9wavefront6targetE1EEEvSY_.uses_vcc, 0
	.set _ZN7rocprim17ROCPRIM_400000_NS6detail17trampoline_kernelINS0_13select_configILj256ELj13ELNS0_17block_load_methodE3ELS4_3ELS4_3ELNS0_20block_scan_algorithmE0ELj4294967295EEENS1_25partition_config_selectorILNS1_17partition_subalgoE3EjNS0_10empty_typeEbEEZZNS1_14partition_implILS8_3ELb0ES6_jNS0_17counting_iteratorIjlEEPS9_SE_NS0_5tupleIJPjSE_EEENSF_IJSE_SE_EEES9_SG_JZNS1_25segmented_radix_sort_implINS0_14default_configELb0EPKdPdPKlPlN2at6native12_GLOBAL__N_18offset_tEEE10hipError_tPvRmT1_PNSt15iterator_traitsISY_E10value_typeET2_T3_PNSZ_IS14_E10value_typeET4_jRbjT5_S1A_jjP12ihipStream_tbEUljE_EEESV_SW_SX_S14_S18_S1A_T6_T7_T9_mT8_S1C_bDpT10_ENKUlT_T0_E_clISt17integral_constantIbLb0EES1O_IbLb1EEEEDaS1K_S1L_EUlS1K_E_NS1_11comp_targetILNS1_3genE10ELNS1_11target_archE1200ELNS1_3gpuE4ELNS1_3repE0EEENS1_30default_config_static_selectorELNS0_4arch9wavefront6targetE1EEEvSY_.uses_flat_scratch, 0
	.set _ZN7rocprim17ROCPRIM_400000_NS6detail17trampoline_kernelINS0_13select_configILj256ELj13ELNS0_17block_load_methodE3ELS4_3ELS4_3ELNS0_20block_scan_algorithmE0ELj4294967295EEENS1_25partition_config_selectorILNS1_17partition_subalgoE3EjNS0_10empty_typeEbEEZZNS1_14partition_implILS8_3ELb0ES6_jNS0_17counting_iteratorIjlEEPS9_SE_NS0_5tupleIJPjSE_EEENSF_IJSE_SE_EEES9_SG_JZNS1_25segmented_radix_sort_implINS0_14default_configELb0EPKdPdPKlPlN2at6native12_GLOBAL__N_18offset_tEEE10hipError_tPvRmT1_PNSt15iterator_traitsISY_E10value_typeET2_T3_PNSZ_IS14_E10value_typeET4_jRbjT5_S1A_jjP12ihipStream_tbEUljE_EEESV_SW_SX_S14_S18_S1A_T6_T7_T9_mT8_S1C_bDpT10_ENKUlT_T0_E_clISt17integral_constantIbLb0EES1O_IbLb1EEEEDaS1K_S1L_EUlS1K_E_NS1_11comp_targetILNS1_3genE10ELNS1_11target_archE1200ELNS1_3gpuE4ELNS1_3repE0EEENS1_30default_config_static_selectorELNS0_4arch9wavefront6targetE1EEEvSY_.has_dyn_sized_stack, 0
	.set _ZN7rocprim17ROCPRIM_400000_NS6detail17trampoline_kernelINS0_13select_configILj256ELj13ELNS0_17block_load_methodE3ELS4_3ELS4_3ELNS0_20block_scan_algorithmE0ELj4294967295EEENS1_25partition_config_selectorILNS1_17partition_subalgoE3EjNS0_10empty_typeEbEEZZNS1_14partition_implILS8_3ELb0ES6_jNS0_17counting_iteratorIjlEEPS9_SE_NS0_5tupleIJPjSE_EEENSF_IJSE_SE_EEES9_SG_JZNS1_25segmented_radix_sort_implINS0_14default_configELb0EPKdPdPKlPlN2at6native12_GLOBAL__N_18offset_tEEE10hipError_tPvRmT1_PNSt15iterator_traitsISY_E10value_typeET2_T3_PNSZ_IS14_E10value_typeET4_jRbjT5_S1A_jjP12ihipStream_tbEUljE_EEESV_SW_SX_S14_S18_S1A_T6_T7_T9_mT8_S1C_bDpT10_ENKUlT_T0_E_clISt17integral_constantIbLb0EES1O_IbLb1EEEEDaS1K_S1L_EUlS1K_E_NS1_11comp_targetILNS1_3genE10ELNS1_11target_archE1200ELNS1_3gpuE4ELNS1_3repE0EEENS1_30default_config_static_selectorELNS0_4arch9wavefront6targetE1EEEvSY_.has_recursion, 0
	.set _ZN7rocprim17ROCPRIM_400000_NS6detail17trampoline_kernelINS0_13select_configILj256ELj13ELNS0_17block_load_methodE3ELS4_3ELS4_3ELNS0_20block_scan_algorithmE0ELj4294967295EEENS1_25partition_config_selectorILNS1_17partition_subalgoE3EjNS0_10empty_typeEbEEZZNS1_14partition_implILS8_3ELb0ES6_jNS0_17counting_iteratorIjlEEPS9_SE_NS0_5tupleIJPjSE_EEENSF_IJSE_SE_EEES9_SG_JZNS1_25segmented_radix_sort_implINS0_14default_configELb0EPKdPdPKlPlN2at6native12_GLOBAL__N_18offset_tEEE10hipError_tPvRmT1_PNSt15iterator_traitsISY_E10value_typeET2_T3_PNSZ_IS14_E10value_typeET4_jRbjT5_S1A_jjP12ihipStream_tbEUljE_EEESV_SW_SX_S14_S18_S1A_T6_T7_T9_mT8_S1C_bDpT10_ENKUlT_T0_E_clISt17integral_constantIbLb0EES1O_IbLb1EEEEDaS1K_S1L_EUlS1K_E_NS1_11comp_targetILNS1_3genE10ELNS1_11target_archE1200ELNS1_3gpuE4ELNS1_3repE0EEENS1_30default_config_static_selectorELNS0_4arch9wavefront6targetE1EEEvSY_.has_indirect_call, 0
	.section	.AMDGPU.csdata,"",@progbits
; Kernel info:
; codeLenInByte = 0
; TotalNumSgprs: 4
; NumVgprs: 0
; ScratchSize: 0
; MemoryBound: 0
; FloatMode: 240
; IeeeMode: 1
; LDSByteSize: 0 bytes/workgroup (compile time only)
; SGPRBlocks: 0
; VGPRBlocks: 0
; NumSGPRsForWavesPerEU: 4
; NumVGPRsForWavesPerEU: 1
; Occupancy: 10
; WaveLimiterHint : 0
; COMPUTE_PGM_RSRC2:SCRATCH_EN: 0
; COMPUTE_PGM_RSRC2:USER_SGPR: 6
; COMPUTE_PGM_RSRC2:TRAP_HANDLER: 0
; COMPUTE_PGM_RSRC2:TGID_X_EN: 1
; COMPUTE_PGM_RSRC2:TGID_Y_EN: 0
; COMPUTE_PGM_RSRC2:TGID_Z_EN: 0
; COMPUTE_PGM_RSRC2:TIDIG_COMP_CNT: 0
	.section	.text._ZN7rocprim17ROCPRIM_400000_NS6detail17trampoline_kernelINS0_13select_configILj256ELj13ELNS0_17block_load_methodE3ELS4_3ELS4_3ELNS0_20block_scan_algorithmE0ELj4294967295EEENS1_25partition_config_selectorILNS1_17partition_subalgoE3EjNS0_10empty_typeEbEEZZNS1_14partition_implILS8_3ELb0ES6_jNS0_17counting_iteratorIjlEEPS9_SE_NS0_5tupleIJPjSE_EEENSF_IJSE_SE_EEES9_SG_JZNS1_25segmented_radix_sort_implINS0_14default_configELb0EPKdPdPKlPlN2at6native12_GLOBAL__N_18offset_tEEE10hipError_tPvRmT1_PNSt15iterator_traitsISY_E10value_typeET2_T3_PNSZ_IS14_E10value_typeET4_jRbjT5_S1A_jjP12ihipStream_tbEUljE_EEESV_SW_SX_S14_S18_S1A_T6_T7_T9_mT8_S1C_bDpT10_ENKUlT_T0_E_clISt17integral_constantIbLb0EES1O_IbLb1EEEEDaS1K_S1L_EUlS1K_E_NS1_11comp_targetILNS1_3genE9ELNS1_11target_archE1100ELNS1_3gpuE3ELNS1_3repE0EEENS1_30default_config_static_selectorELNS0_4arch9wavefront6targetE1EEEvSY_,"axG",@progbits,_ZN7rocprim17ROCPRIM_400000_NS6detail17trampoline_kernelINS0_13select_configILj256ELj13ELNS0_17block_load_methodE3ELS4_3ELS4_3ELNS0_20block_scan_algorithmE0ELj4294967295EEENS1_25partition_config_selectorILNS1_17partition_subalgoE3EjNS0_10empty_typeEbEEZZNS1_14partition_implILS8_3ELb0ES6_jNS0_17counting_iteratorIjlEEPS9_SE_NS0_5tupleIJPjSE_EEENSF_IJSE_SE_EEES9_SG_JZNS1_25segmented_radix_sort_implINS0_14default_configELb0EPKdPdPKlPlN2at6native12_GLOBAL__N_18offset_tEEE10hipError_tPvRmT1_PNSt15iterator_traitsISY_E10value_typeET2_T3_PNSZ_IS14_E10value_typeET4_jRbjT5_S1A_jjP12ihipStream_tbEUljE_EEESV_SW_SX_S14_S18_S1A_T6_T7_T9_mT8_S1C_bDpT10_ENKUlT_T0_E_clISt17integral_constantIbLb0EES1O_IbLb1EEEEDaS1K_S1L_EUlS1K_E_NS1_11comp_targetILNS1_3genE9ELNS1_11target_archE1100ELNS1_3gpuE3ELNS1_3repE0EEENS1_30default_config_static_selectorELNS0_4arch9wavefront6targetE1EEEvSY_,comdat
	.globl	_ZN7rocprim17ROCPRIM_400000_NS6detail17trampoline_kernelINS0_13select_configILj256ELj13ELNS0_17block_load_methodE3ELS4_3ELS4_3ELNS0_20block_scan_algorithmE0ELj4294967295EEENS1_25partition_config_selectorILNS1_17partition_subalgoE3EjNS0_10empty_typeEbEEZZNS1_14partition_implILS8_3ELb0ES6_jNS0_17counting_iteratorIjlEEPS9_SE_NS0_5tupleIJPjSE_EEENSF_IJSE_SE_EEES9_SG_JZNS1_25segmented_radix_sort_implINS0_14default_configELb0EPKdPdPKlPlN2at6native12_GLOBAL__N_18offset_tEEE10hipError_tPvRmT1_PNSt15iterator_traitsISY_E10value_typeET2_T3_PNSZ_IS14_E10value_typeET4_jRbjT5_S1A_jjP12ihipStream_tbEUljE_EEESV_SW_SX_S14_S18_S1A_T6_T7_T9_mT8_S1C_bDpT10_ENKUlT_T0_E_clISt17integral_constantIbLb0EES1O_IbLb1EEEEDaS1K_S1L_EUlS1K_E_NS1_11comp_targetILNS1_3genE9ELNS1_11target_archE1100ELNS1_3gpuE3ELNS1_3repE0EEENS1_30default_config_static_selectorELNS0_4arch9wavefront6targetE1EEEvSY_ ; -- Begin function _ZN7rocprim17ROCPRIM_400000_NS6detail17trampoline_kernelINS0_13select_configILj256ELj13ELNS0_17block_load_methodE3ELS4_3ELS4_3ELNS0_20block_scan_algorithmE0ELj4294967295EEENS1_25partition_config_selectorILNS1_17partition_subalgoE3EjNS0_10empty_typeEbEEZZNS1_14partition_implILS8_3ELb0ES6_jNS0_17counting_iteratorIjlEEPS9_SE_NS0_5tupleIJPjSE_EEENSF_IJSE_SE_EEES9_SG_JZNS1_25segmented_radix_sort_implINS0_14default_configELb0EPKdPdPKlPlN2at6native12_GLOBAL__N_18offset_tEEE10hipError_tPvRmT1_PNSt15iterator_traitsISY_E10value_typeET2_T3_PNSZ_IS14_E10value_typeET4_jRbjT5_S1A_jjP12ihipStream_tbEUljE_EEESV_SW_SX_S14_S18_S1A_T6_T7_T9_mT8_S1C_bDpT10_ENKUlT_T0_E_clISt17integral_constantIbLb0EES1O_IbLb1EEEEDaS1K_S1L_EUlS1K_E_NS1_11comp_targetILNS1_3genE9ELNS1_11target_archE1100ELNS1_3gpuE3ELNS1_3repE0EEENS1_30default_config_static_selectorELNS0_4arch9wavefront6targetE1EEEvSY_
	.p2align	8
	.type	_ZN7rocprim17ROCPRIM_400000_NS6detail17trampoline_kernelINS0_13select_configILj256ELj13ELNS0_17block_load_methodE3ELS4_3ELS4_3ELNS0_20block_scan_algorithmE0ELj4294967295EEENS1_25partition_config_selectorILNS1_17partition_subalgoE3EjNS0_10empty_typeEbEEZZNS1_14partition_implILS8_3ELb0ES6_jNS0_17counting_iteratorIjlEEPS9_SE_NS0_5tupleIJPjSE_EEENSF_IJSE_SE_EEES9_SG_JZNS1_25segmented_radix_sort_implINS0_14default_configELb0EPKdPdPKlPlN2at6native12_GLOBAL__N_18offset_tEEE10hipError_tPvRmT1_PNSt15iterator_traitsISY_E10value_typeET2_T3_PNSZ_IS14_E10value_typeET4_jRbjT5_S1A_jjP12ihipStream_tbEUljE_EEESV_SW_SX_S14_S18_S1A_T6_T7_T9_mT8_S1C_bDpT10_ENKUlT_T0_E_clISt17integral_constantIbLb0EES1O_IbLb1EEEEDaS1K_S1L_EUlS1K_E_NS1_11comp_targetILNS1_3genE9ELNS1_11target_archE1100ELNS1_3gpuE3ELNS1_3repE0EEENS1_30default_config_static_selectorELNS0_4arch9wavefront6targetE1EEEvSY_,@function
_ZN7rocprim17ROCPRIM_400000_NS6detail17trampoline_kernelINS0_13select_configILj256ELj13ELNS0_17block_load_methodE3ELS4_3ELS4_3ELNS0_20block_scan_algorithmE0ELj4294967295EEENS1_25partition_config_selectorILNS1_17partition_subalgoE3EjNS0_10empty_typeEbEEZZNS1_14partition_implILS8_3ELb0ES6_jNS0_17counting_iteratorIjlEEPS9_SE_NS0_5tupleIJPjSE_EEENSF_IJSE_SE_EEES9_SG_JZNS1_25segmented_radix_sort_implINS0_14default_configELb0EPKdPdPKlPlN2at6native12_GLOBAL__N_18offset_tEEE10hipError_tPvRmT1_PNSt15iterator_traitsISY_E10value_typeET2_T3_PNSZ_IS14_E10value_typeET4_jRbjT5_S1A_jjP12ihipStream_tbEUljE_EEESV_SW_SX_S14_S18_S1A_T6_T7_T9_mT8_S1C_bDpT10_ENKUlT_T0_E_clISt17integral_constantIbLb0EES1O_IbLb1EEEEDaS1K_S1L_EUlS1K_E_NS1_11comp_targetILNS1_3genE9ELNS1_11target_archE1100ELNS1_3gpuE3ELNS1_3repE0EEENS1_30default_config_static_selectorELNS0_4arch9wavefront6targetE1EEEvSY_: ; @_ZN7rocprim17ROCPRIM_400000_NS6detail17trampoline_kernelINS0_13select_configILj256ELj13ELNS0_17block_load_methodE3ELS4_3ELS4_3ELNS0_20block_scan_algorithmE0ELj4294967295EEENS1_25partition_config_selectorILNS1_17partition_subalgoE3EjNS0_10empty_typeEbEEZZNS1_14partition_implILS8_3ELb0ES6_jNS0_17counting_iteratorIjlEEPS9_SE_NS0_5tupleIJPjSE_EEENSF_IJSE_SE_EEES9_SG_JZNS1_25segmented_radix_sort_implINS0_14default_configELb0EPKdPdPKlPlN2at6native12_GLOBAL__N_18offset_tEEE10hipError_tPvRmT1_PNSt15iterator_traitsISY_E10value_typeET2_T3_PNSZ_IS14_E10value_typeET4_jRbjT5_S1A_jjP12ihipStream_tbEUljE_EEESV_SW_SX_S14_S18_S1A_T6_T7_T9_mT8_S1C_bDpT10_ENKUlT_T0_E_clISt17integral_constantIbLb0EES1O_IbLb1EEEEDaS1K_S1L_EUlS1K_E_NS1_11comp_targetILNS1_3genE9ELNS1_11target_archE1100ELNS1_3gpuE3ELNS1_3repE0EEENS1_30default_config_static_selectorELNS0_4arch9wavefront6targetE1EEEvSY_
; %bb.0:
	.section	.rodata,"a",@progbits
	.p2align	6, 0x0
	.amdhsa_kernel _ZN7rocprim17ROCPRIM_400000_NS6detail17trampoline_kernelINS0_13select_configILj256ELj13ELNS0_17block_load_methodE3ELS4_3ELS4_3ELNS0_20block_scan_algorithmE0ELj4294967295EEENS1_25partition_config_selectorILNS1_17partition_subalgoE3EjNS0_10empty_typeEbEEZZNS1_14partition_implILS8_3ELb0ES6_jNS0_17counting_iteratorIjlEEPS9_SE_NS0_5tupleIJPjSE_EEENSF_IJSE_SE_EEES9_SG_JZNS1_25segmented_radix_sort_implINS0_14default_configELb0EPKdPdPKlPlN2at6native12_GLOBAL__N_18offset_tEEE10hipError_tPvRmT1_PNSt15iterator_traitsISY_E10value_typeET2_T3_PNSZ_IS14_E10value_typeET4_jRbjT5_S1A_jjP12ihipStream_tbEUljE_EEESV_SW_SX_S14_S18_S1A_T6_T7_T9_mT8_S1C_bDpT10_ENKUlT_T0_E_clISt17integral_constantIbLb0EES1O_IbLb1EEEEDaS1K_S1L_EUlS1K_E_NS1_11comp_targetILNS1_3genE9ELNS1_11target_archE1100ELNS1_3gpuE3ELNS1_3repE0EEENS1_30default_config_static_selectorELNS0_4arch9wavefront6targetE1EEEvSY_
		.amdhsa_group_segment_fixed_size 0
		.amdhsa_private_segment_fixed_size 0
		.amdhsa_kernarg_size 152
		.amdhsa_user_sgpr_count 6
		.amdhsa_user_sgpr_private_segment_buffer 1
		.amdhsa_user_sgpr_dispatch_ptr 0
		.amdhsa_user_sgpr_queue_ptr 0
		.amdhsa_user_sgpr_kernarg_segment_ptr 1
		.amdhsa_user_sgpr_dispatch_id 0
		.amdhsa_user_sgpr_flat_scratch_init 0
		.amdhsa_user_sgpr_private_segment_size 0
		.amdhsa_uses_dynamic_stack 0
		.amdhsa_system_sgpr_private_segment_wavefront_offset 0
		.amdhsa_system_sgpr_workgroup_id_x 1
		.amdhsa_system_sgpr_workgroup_id_y 0
		.amdhsa_system_sgpr_workgroup_id_z 0
		.amdhsa_system_sgpr_workgroup_info 0
		.amdhsa_system_vgpr_workitem_id 0
		.amdhsa_next_free_vgpr 1
		.amdhsa_next_free_sgpr 0
		.amdhsa_reserve_vcc 0
		.amdhsa_reserve_flat_scratch 0
		.amdhsa_float_round_mode_32 0
		.amdhsa_float_round_mode_16_64 0
		.amdhsa_float_denorm_mode_32 3
		.amdhsa_float_denorm_mode_16_64 3
		.amdhsa_dx10_clamp 1
		.amdhsa_ieee_mode 1
		.amdhsa_fp16_overflow 0
		.amdhsa_exception_fp_ieee_invalid_op 0
		.amdhsa_exception_fp_denorm_src 0
		.amdhsa_exception_fp_ieee_div_zero 0
		.amdhsa_exception_fp_ieee_overflow 0
		.amdhsa_exception_fp_ieee_underflow 0
		.amdhsa_exception_fp_ieee_inexact 0
		.amdhsa_exception_int_div_zero 0
	.end_amdhsa_kernel
	.section	.text._ZN7rocprim17ROCPRIM_400000_NS6detail17trampoline_kernelINS0_13select_configILj256ELj13ELNS0_17block_load_methodE3ELS4_3ELS4_3ELNS0_20block_scan_algorithmE0ELj4294967295EEENS1_25partition_config_selectorILNS1_17partition_subalgoE3EjNS0_10empty_typeEbEEZZNS1_14partition_implILS8_3ELb0ES6_jNS0_17counting_iteratorIjlEEPS9_SE_NS0_5tupleIJPjSE_EEENSF_IJSE_SE_EEES9_SG_JZNS1_25segmented_radix_sort_implINS0_14default_configELb0EPKdPdPKlPlN2at6native12_GLOBAL__N_18offset_tEEE10hipError_tPvRmT1_PNSt15iterator_traitsISY_E10value_typeET2_T3_PNSZ_IS14_E10value_typeET4_jRbjT5_S1A_jjP12ihipStream_tbEUljE_EEESV_SW_SX_S14_S18_S1A_T6_T7_T9_mT8_S1C_bDpT10_ENKUlT_T0_E_clISt17integral_constantIbLb0EES1O_IbLb1EEEEDaS1K_S1L_EUlS1K_E_NS1_11comp_targetILNS1_3genE9ELNS1_11target_archE1100ELNS1_3gpuE3ELNS1_3repE0EEENS1_30default_config_static_selectorELNS0_4arch9wavefront6targetE1EEEvSY_,"axG",@progbits,_ZN7rocprim17ROCPRIM_400000_NS6detail17trampoline_kernelINS0_13select_configILj256ELj13ELNS0_17block_load_methodE3ELS4_3ELS4_3ELNS0_20block_scan_algorithmE0ELj4294967295EEENS1_25partition_config_selectorILNS1_17partition_subalgoE3EjNS0_10empty_typeEbEEZZNS1_14partition_implILS8_3ELb0ES6_jNS0_17counting_iteratorIjlEEPS9_SE_NS0_5tupleIJPjSE_EEENSF_IJSE_SE_EEES9_SG_JZNS1_25segmented_radix_sort_implINS0_14default_configELb0EPKdPdPKlPlN2at6native12_GLOBAL__N_18offset_tEEE10hipError_tPvRmT1_PNSt15iterator_traitsISY_E10value_typeET2_T3_PNSZ_IS14_E10value_typeET4_jRbjT5_S1A_jjP12ihipStream_tbEUljE_EEESV_SW_SX_S14_S18_S1A_T6_T7_T9_mT8_S1C_bDpT10_ENKUlT_T0_E_clISt17integral_constantIbLb0EES1O_IbLb1EEEEDaS1K_S1L_EUlS1K_E_NS1_11comp_targetILNS1_3genE9ELNS1_11target_archE1100ELNS1_3gpuE3ELNS1_3repE0EEENS1_30default_config_static_selectorELNS0_4arch9wavefront6targetE1EEEvSY_,comdat
.Lfunc_end1219:
	.size	_ZN7rocprim17ROCPRIM_400000_NS6detail17trampoline_kernelINS0_13select_configILj256ELj13ELNS0_17block_load_methodE3ELS4_3ELS4_3ELNS0_20block_scan_algorithmE0ELj4294967295EEENS1_25partition_config_selectorILNS1_17partition_subalgoE3EjNS0_10empty_typeEbEEZZNS1_14partition_implILS8_3ELb0ES6_jNS0_17counting_iteratorIjlEEPS9_SE_NS0_5tupleIJPjSE_EEENSF_IJSE_SE_EEES9_SG_JZNS1_25segmented_radix_sort_implINS0_14default_configELb0EPKdPdPKlPlN2at6native12_GLOBAL__N_18offset_tEEE10hipError_tPvRmT1_PNSt15iterator_traitsISY_E10value_typeET2_T3_PNSZ_IS14_E10value_typeET4_jRbjT5_S1A_jjP12ihipStream_tbEUljE_EEESV_SW_SX_S14_S18_S1A_T6_T7_T9_mT8_S1C_bDpT10_ENKUlT_T0_E_clISt17integral_constantIbLb0EES1O_IbLb1EEEEDaS1K_S1L_EUlS1K_E_NS1_11comp_targetILNS1_3genE9ELNS1_11target_archE1100ELNS1_3gpuE3ELNS1_3repE0EEENS1_30default_config_static_selectorELNS0_4arch9wavefront6targetE1EEEvSY_, .Lfunc_end1219-_ZN7rocprim17ROCPRIM_400000_NS6detail17trampoline_kernelINS0_13select_configILj256ELj13ELNS0_17block_load_methodE3ELS4_3ELS4_3ELNS0_20block_scan_algorithmE0ELj4294967295EEENS1_25partition_config_selectorILNS1_17partition_subalgoE3EjNS0_10empty_typeEbEEZZNS1_14partition_implILS8_3ELb0ES6_jNS0_17counting_iteratorIjlEEPS9_SE_NS0_5tupleIJPjSE_EEENSF_IJSE_SE_EEES9_SG_JZNS1_25segmented_radix_sort_implINS0_14default_configELb0EPKdPdPKlPlN2at6native12_GLOBAL__N_18offset_tEEE10hipError_tPvRmT1_PNSt15iterator_traitsISY_E10value_typeET2_T3_PNSZ_IS14_E10value_typeET4_jRbjT5_S1A_jjP12ihipStream_tbEUljE_EEESV_SW_SX_S14_S18_S1A_T6_T7_T9_mT8_S1C_bDpT10_ENKUlT_T0_E_clISt17integral_constantIbLb0EES1O_IbLb1EEEEDaS1K_S1L_EUlS1K_E_NS1_11comp_targetILNS1_3genE9ELNS1_11target_archE1100ELNS1_3gpuE3ELNS1_3repE0EEENS1_30default_config_static_selectorELNS0_4arch9wavefront6targetE1EEEvSY_
                                        ; -- End function
	.set _ZN7rocprim17ROCPRIM_400000_NS6detail17trampoline_kernelINS0_13select_configILj256ELj13ELNS0_17block_load_methodE3ELS4_3ELS4_3ELNS0_20block_scan_algorithmE0ELj4294967295EEENS1_25partition_config_selectorILNS1_17partition_subalgoE3EjNS0_10empty_typeEbEEZZNS1_14partition_implILS8_3ELb0ES6_jNS0_17counting_iteratorIjlEEPS9_SE_NS0_5tupleIJPjSE_EEENSF_IJSE_SE_EEES9_SG_JZNS1_25segmented_radix_sort_implINS0_14default_configELb0EPKdPdPKlPlN2at6native12_GLOBAL__N_18offset_tEEE10hipError_tPvRmT1_PNSt15iterator_traitsISY_E10value_typeET2_T3_PNSZ_IS14_E10value_typeET4_jRbjT5_S1A_jjP12ihipStream_tbEUljE_EEESV_SW_SX_S14_S18_S1A_T6_T7_T9_mT8_S1C_bDpT10_ENKUlT_T0_E_clISt17integral_constantIbLb0EES1O_IbLb1EEEEDaS1K_S1L_EUlS1K_E_NS1_11comp_targetILNS1_3genE9ELNS1_11target_archE1100ELNS1_3gpuE3ELNS1_3repE0EEENS1_30default_config_static_selectorELNS0_4arch9wavefront6targetE1EEEvSY_.num_vgpr, 0
	.set _ZN7rocprim17ROCPRIM_400000_NS6detail17trampoline_kernelINS0_13select_configILj256ELj13ELNS0_17block_load_methodE3ELS4_3ELS4_3ELNS0_20block_scan_algorithmE0ELj4294967295EEENS1_25partition_config_selectorILNS1_17partition_subalgoE3EjNS0_10empty_typeEbEEZZNS1_14partition_implILS8_3ELb0ES6_jNS0_17counting_iteratorIjlEEPS9_SE_NS0_5tupleIJPjSE_EEENSF_IJSE_SE_EEES9_SG_JZNS1_25segmented_radix_sort_implINS0_14default_configELb0EPKdPdPKlPlN2at6native12_GLOBAL__N_18offset_tEEE10hipError_tPvRmT1_PNSt15iterator_traitsISY_E10value_typeET2_T3_PNSZ_IS14_E10value_typeET4_jRbjT5_S1A_jjP12ihipStream_tbEUljE_EEESV_SW_SX_S14_S18_S1A_T6_T7_T9_mT8_S1C_bDpT10_ENKUlT_T0_E_clISt17integral_constantIbLb0EES1O_IbLb1EEEEDaS1K_S1L_EUlS1K_E_NS1_11comp_targetILNS1_3genE9ELNS1_11target_archE1100ELNS1_3gpuE3ELNS1_3repE0EEENS1_30default_config_static_selectorELNS0_4arch9wavefront6targetE1EEEvSY_.num_agpr, 0
	.set _ZN7rocprim17ROCPRIM_400000_NS6detail17trampoline_kernelINS0_13select_configILj256ELj13ELNS0_17block_load_methodE3ELS4_3ELS4_3ELNS0_20block_scan_algorithmE0ELj4294967295EEENS1_25partition_config_selectorILNS1_17partition_subalgoE3EjNS0_10empty_typeEbEEZZNS1_14partition_implILS8_3ELb0ES6_jNS0_17counting_iteratorIjlEEPS9_SE_NS0_5tupleIJPjSE_EEENSF_IJSE_SE_EEES9_SG_JZNS1_25segmented_radix_sort_implINS0_14default_configELb0EPKdPdPKlPlN2at6native12_GLOBAL__N_18offset_tEEE10hipError_tPvRmT1_PNSt15iterator_traitsISY_E10value_typeET2_T3_PNSZ_IS14_E10value_typeET4_jRbjT5_S1A_jjP12ihipStream_tbEUljE_EEESV_SW_SX_S14_S18_S1A_T6_T7_T9_mT8_S1C_bDpT10_ENKUlT_T0_E_clISt17integral_constantIbLb0EES1O_IbLb1EEEEDaS1K_S1L_EUlS1K_E_NS1_11comp_targetILNS1_3genE9ELNS1_11target_archE1100ELNS1_3gpuE3ELNS1_3repE0EEENS1_30default_config_static_selectorELNS0_4arch9wavefront6targetE1EEEvSY_.numbered_sgpr, 0
	.set _ZN7rocprim17ROCPRIM_400000_NS6detail17trampoline_kernelINS0_13select_configILj256ELj13ELNS0_17block_load_methodE3ELS4_3ELS4_3ELNS0_20block_scan_algorithmE0ELj4294967295EEENS1_25partition_config_selectorILNS1_17partition_subalgoE3EjNS0_10empty_typeEbEEZZNS1_14partition_implILS8_3ELb0ES6_jNS0_17counting_iteratorIjlEEPS9_SE_NS0_5tupleIJPjSE_EEENSF_IJSE_SE_EEES9_SG_JZNS1_25segmented_radix_sort_implINS0_14default_configELb0EPKdPdPKlPlN2at6native12_GLOBAL__N_18offset_tEEE10hipError_tPvRmT1_PNSt15iterator_traitsISY_E10value_typeET2_T3_PNSZ_IS14_E10value_typeET4_jRbjT5_S1A_jjP12ihipStream_tbEUljE_EEESV_SW_SX_S14_S18_S1A_T6_T7_T9_mT8_S1C_bDpT10_ENKUlT_T0_E_clISt17integral_constantIbLb0EES1O_IbLb1EEEEDaS1K_S1L_EUlS1K_E_NS1_11comp_targetILNS1_3genE9ELNS1_11target_archE1100ELNS1_3gpuE3ELNS1_3repE0EEENS1_30default_config_static_selectorELNS0_4arch9wavefront6targetE1EEEvSY_.num_named_barrier, 0
	.set _ZN7rocprim17ROCPRIM_400000_NS6detail17trampoline_kernelINS0_13select_configILj256ELj13ELNS0_17block_load_methodE3ELS4_3ELS4_3ELNS0_20block_scan_algorithmE0ELj4294967295EEENS1_25partition_config_selectorILNS1_17partition_subalgoE3EjNS0_10empty_typeEbEEZZNS1_14partition_implILS8_3ELb0ES6_jNS0_17counting_iteratorIjlEEPS9_SE_NS0_5tupleIJPjSE_EEENSF_IJSE_SE_EEES9_SG_JZNS1_25segmented_radix_sort_implINS0_14default_configELb0EPKdPdPKlPlN2at6native12_GLOBAL__N_18offset_tEEE10hipError_tPvRmT1_PNSt15iterator_traitsISY_E10value_typeET2_T3_PNSZ_IS14_E10value_typeET4_jRbjT5_S1A_jjP12ihipStream_tbEUljE_EEESV_SW_SX_S14_S18_S1A_T6_T7_T9_mT8_S1C_bDpT10_ENKUlT_T0_E_clISt17integral_constantIbLb0EES1O_IbLb1EEEEDaS1K_S1L_EUlS1K_E_NS1_11comp_targetILNS1_3genE9ELNS1_11target_archE1100ELNS1_3gpuE3ELNS1_3repE0EEENS1_30default_config_static_selectorELNS0_4arch9wavefront6targetE1EEEvSY_.private_seg_size, 0
	.set _ZN7rocprim17ROCPRIM_400000_NS6detail17trampoline_kernelINS0_13select_configILj256ELj13ELNS0_17block_load_methodE3ELS4_3ELS4_3ELNS0_20block_scan_algorithmE0ELj4294967295EEENS1_25partition_config_selectorILNS1_17partition_subalgoE3EjNS0_10empty_typeEbEEZZNS1_14partition_implILS8_3ELb0ES6_jNS0_17counting_iteratorIjlEEPS9_SE_NS0_5tupleIJPjSE_EEENSF_IJSE_SE_EEES9_SG_JZNS1_25segmented_radix_sort_implINS0_14default_configELb0EPKdPdPKlPlN2at6native12_GLOBAL__N_18offset_tEEE10hipError_tPvRmT1_PNSt15iterator_traitsISY_E10value_typeET2_T3_PNSZ_IS14_E10value_typeET4_jRbjT5_S1A_jjP12ihipStream_tbEUljE_EEESV_SW_SX_S14_S18_S1A_T6_T7_T9_mT8_S1C_bDpT10_ENKUlT_T0_E_clISt17integral_constantIbLb0EES1O_IbLb1EEEEDaS1K_S1L_EUlS1K_E_NS1_11comp_targetILNS1_3genE9ELNS1_11target_archE1100ELNS1_3gpuE3ELNS1_3repE0EEENS1_30default_config_static_selectorELNS0_4arch9wavefront6targetE1EEEvSY_.uses_vcc, 0
	.set _ZN7rocprim17ROCPRIM_400000_NS6detail17trampoline_kernelINS0_13select_configILj256ELj13ELNS0_17block_load_methodE3ELS4_3ELS4_3ELNS0_20block_scan_algorithmE0ELj4294967295EEENS1_25partition_config_selectorILNS1_17partition_subalgoE3EjNS0_10empty_typeEbEEZZNS1_14partition_implILS8_3ELb0ES6_jNS0_17counting_iteratorIjlEEPS9_SE_NS0_5tupleIJPjSE_EEENSF_IJSE_SE_EEES9_SG_JZNS1_25segmented_radix_sort_implINS0_14default_configELb0EPKdPdPKlPlN2at6native12_GLOBAL__N_18offset_tEEE10hipError_tPvRmT1_PNSt15iterator_traitsISY_E10value_typeET2_T3_PNSZ_IS14_E10value_typeET4_jRbjT5_S1A_jjP12ihipStream_tbEUljE_EEESV_SW_SX_S14_S18_S1A_T6_T7_T9_mT8_S1C_bDpT10_ENKUlT_T0_E_clISt17integral_constantIbLb0EES1O_IbLb1EEEEDaS1K_S1L_EUlS1K_E_NS1_11comp_targetILNS1_3genE9ELNS1_11target_archE1100ELNS1_3gpuE3ELNS1_3repE0EEENS1_30default_config_static_selectorELNS0_4arch9wavefront6targetE1EEEvSY_.uses_flat_scratch, 0
	.set _ZN7rocprim17ROCPRIM_400000_NS6detail17trampoline_kernelINS0_13select_configILj256ELj13ELNS0_17block_load_methodE3ELS4_3ELS4_3ELNS0_20block_scan_algorithmE0ELj4294967295EEENS1_25partition_config_selectorILNS1_17partition_subalgoE3EjNS0_10empty_typeEbEEZZNS1_14partition_implILS8_3ELb0ES6_jNS0_17counting_iteratorIjlEEPS9_SE_NS0_5tupleIJPjSE_EEENSF_IJSE_SE_EEES9_SG_JZNS1_25segmented_radix_sort_implINS0_14default_configELb0EPKdPdPKlPlN2at6native12_GLOBAL__N_18offset_tEEE10hipError_tPvRmT1_PNSt15iterator_traitsISY_E10value_typeET2_T3_PNSZ_IS14_E10value_typeET4_jRbjT5_S1A_jjP12ihipStream_tbEUljE_EEESV_SW_SX_S14_S18_S1A_T6_T7_T9_mT8_S1C_bDpT10_ENKUlT_T0_E_clISt17integral_constantIbLb0EES1O_IbLb1EEEEDaS1K_S1L_EUlS1K_E_NS1_11comp_targetILNS1_3genE9ELNS1_11target_archE1100ELNS1_3gpuE3ELNS1_3repE0EEENS1_30default_config_static_selectorELNS0_4arch9wavefront6targetE1EEEvSY_.has_dyn_sized_stack, 0
	.set _ZN7rocprim17ROCPRIM_400000_NS6detail17trampoline_kernelINS0_13select_configILj256ELj13ELNS0_17block_load_methodE3ELS4_3ELS4_3ELNS0_20block_scan_algorithmE0ELj4294967295EEENS1_25partition_config_selectorILNS1_17partition_subalgoE3EjNS0_10empty_typeEbEEZZNS1_14partition_implILS8_3ELb0ES6_jNS0_17counting_iteratorIjlEEPS9_SE_NS0_5tupleIJPjSE_EEENSF_IJSE_SE_EEES9_SG_JZNS1_25segmented_radix_sort_implINS0_14default_configELb0EPKdPdPKlPlN2at6native12_GLOBAL__N_18offset_tEEE10hipError_tPvRmT1_PNSt15iterator_traitsISY_E10value_typeET2_T3_PNSZ_IS14_E10value_typeET4_jRbjT5_S1A_jjP12ihipStream_tbEUljE_EEESV_SW_SX_S14_S18_S1A_T6_T7_T9_mT8_S1C_bDpT10_ENKUlT_T0_E_clISt17integral_constantIbLb0EES1O_IbLb1EEEEDaS1K_S1L_EUlS1K_E_NS1_11comp_targetILNS1_3genE9ELNS1_11target_archE1100ELNS1_3gpuE3ELNS1_3repE0EEENS1_30default_config_static_selectorELNS0_4arch9wavefront6targetE1EEEvSY_.has_recursion, 0
	.set _ZN7rocprim17ROCPRIM_400000_NS6detail17trampoline_kernelINS0_13select_configILj256ELj13ELNS0_17block_load_methodE3ELS4_3ELS4_3ELNS0_20block_scan_algorithmE0ELj4294967295EEENS1_25partition_config_selectorILNS1_17partition_subalgoE3EjNS0_10empty_typeEbEEZZNS1_14partition_implILS8_3ELb0ES6_jNS0_17counting_iteratorIjlEEPS9_SE_NS0_5tupleIJPjSE_EEENSF_IJSE_SE_EEES9_SG_JZNS1_25segmented_radix_sort_implINS0_14default_configELb0EPKdPdPKlPlN2at6native12_GLOBAL__N_18offset_tEEE10hipError_tPvRmT1_PNSt15iterator_traitsISY_E10value_typeET2_T3_PNSZ_IS14_E10value_typeET4_jRbjT5_S1A_jjP12ihipStream_tbEUljE_EEESV_SW_SX_S14_S18_S1A_T6_T7_T9_mT8_S1C_bDpT10_ENKUlT_T0_E_clISt17integral_constantIbLb0EES1O_IbLb1EEEEDaS1K_S1L_EUlS1K_E_NS1_11comp_targetILNS1_3genE9ELNS1_11target_archE1100ELNS1_3gpuE3ELNS1_3repE0EEENS1_30default_config_static_selectorELNS0_4arch9wavefront6targetE1EEEvSY_.has_indirect_call, 0
	.section	.AMDGPU.csdata,"",@progbits
; Kernel info:
; codeLenInByte = 0
; TotalNumSgprs: 4
; NumVgprs: 0
; ScratchSize: 0
; MemoryBound: 0
; FloatMode: 240
; IeeeMode: 1
; LDSByteSize: 0 bytes/workgroup (compile time only)
; SGPRBlocks: 0
; VGPRBlocks: 0
; NumSGPRsForWavesPerEU: 4
; NumVGPRsForWavesPerEU: 1
; Occupancy: 10
; WaveLimiterHint : 0
; COMPUTE_PGM_RSRC2:SCRATCH_EN: 0
; COMPUTE_PGM_RSRC2:USER_SGPR: 6
; COMPUTE_PGM_RSRC2:TRAP_HANDLER: 0
; COMPUTE_PGM_RSRC2:TGID_X_EN: 1
; COMPUTE_PGM_RSRC2:TGID_Y_EN: 0
; COMPUTE_PGM_RSRC2:TGID_Z_EN: 0
; COMPUTE_PGM_RSRC2:TIDIG_COMP_CNT: 0
	.section	.text._ZN7rocprim17ROCPRIM_400000_NS6detail17trampoline_kernelINS0_13select_configILj256ELj13ELNS0_17block_load_methodE3ELS4_3ELS4_3ELNS0_20block_scan_algorithmE0ELj4294967295EEENS1_25partition_config_selectorILNS1_17partition_subalgoE3EjNS0_10empty_typeEbEEZZNS1_14partition_implILS8_3ELb0ES6_jNS0_17counting_iteratorIjlEEPS9_SE_NS0_5tupleIJPjSE_EEENSF_IJSE_SE_EEES9_SG_JZNS1_25segmented_radix_sort_implINS0_14default_configELb0EPKdPdPKlPlN2at6native12_GLOBAL__N_18offset_tEEE10hipError_tPvRmT1_PNSt15iterator_traitsISY_E10value_typeET2_T3_PNSZ_IS14_E10value_typeET4_jRbjT5_S1A_jjP12ihipStream_tbEUljE_EEESV_SW_SX_S14_S18_S1A_T6_T7_T9_mT8_S1C_bDpT10_ENKUlT_T0_E_clISt17integral_constantIbLb0EES1O_IbLb1EEEEDaS1K_S1L_EUlS1K_E_NS1_11comp_targetILNS1_3genE8ELNS1_11target_archE1030ELNS1_3gpuE2ELNS1_3repE0EEENS1_30default_config_static_selectorELNS0_4arch9wavefront6targetE1EEEvSY_,"axG",@progbits,_ZN7rocprim17ROCPRIM_400000_NS6detail17trampoline_kernelINS0_13select_configILj256ELj13ELNS0_17block_load_methodE3ELS4_3ELS4_3ELNS0_20block_scan_algorithmE0ELj4294967295EEENS1_25partition_config_selectorILNS1_17partition_subalgoE3EjNS0_10empty_typeEbEEZZNS1_14partition_implILS8_3ELb0ES6_jNS0_17counting_iteratorIjlEEPS9_SE_NS0_5tupleIJPjSE_EEENSF_IJSE_SE_EEES9_SG_JZNS1_25segmented_radix_sort_implINS0_14default_configELb0EPKdPdPKlPlN2at6native12_GLOBAL__N_18offset_tEEE10hipError_tPvRmT1_PNSt15iterator_traitsISY_E10value_typeET2_T3_PNSZ_IS14_E10value_typeET4_jRbjT5_S1A_jjP12ihipStream_tbEUljE_EEESV_SW_SX_S14_S18_S1A_T6_T7_T9_mT8_S1C_bDpT10_ENKUlT_T0_E_clISt17integral_constantIbLb0EES1O_IbLb1EEEEDaS1K_S1L_EUlS1K_E_NS1_11comp_targetILNS1_3genE8ELNS1_11target_archE1030ELNS1_3gpuE2ELNS1_3repE0EEENS1_30default_config_static_selectorELNS0_4arch9wavefront6targetE1EEEvSY_,comdat
	.globl	_ZN7rocprim17ROCPRIM_400000_NS6detail17trampoline_kernelINS0_13select_configILj256ELj13ELNS0_17block_load_methodE3ELS4_3ELS4_3ELNS0_20block_scan_algorithmE0ELj4294967295EEENS1_25partition_config_selectorILNS1_17partition_subalgoE3EjNS0_10empty_typeEbEEZZNS1_14partition_implILS8_3ELb0ES6_jNS0_17counting_iteratorIjlEEPS9_SE_NS0_5tupleIJPjSE_EEENSF_IJSE_SE_EEES9_SG_JZNS1_25segmented_radix_sort_implINS0_14default_configELb0EPKdPdPKlPlN2at6native12_GLOBAL__N_18offset_tEEE10hipError_tPvRmT1_PNSt15iterator_traitsISY_E10value_typeET2_T3_PNSZ_IS14_E10value_typeET4_jRbjT5_S1A_jjP12ihipStream_tbEUljE_EEESV_SW_SX_S14_S18_S1A_T6_T7_T9_mT8_S1C_bDpT10_ENKUlT_T0_E_clISt17integral_constantIbLb0EES1O_IbLb1EEEEDaS1K_S1L_EUlS1K_E_NS1_11comp_targetILNS1_3genE8ELNS1_11target_archE1030ELNS1_3gpuE2ELNS1_3repE0EEENS1_30default_config_static_selectorELNS0_4arch9wavefront6targetE1EEEvSY_ ; -- Begin function _ZN7rocprim17ROCPRIM_400000_NS6detail17trampoline_kernelINS0_13select_configILj256ELj13ELNS0_17block_load_methodE3ELS4_3ELS4_3ELNS0_20block_scan_algorithmE0ELj4294967295EEENS1_25partition_config_selectorILNS1_17partition_subalgoE3EjNS0_10empty_typeEbEEZZNS1_14partition_implILS8_3ELb0ES6_jNS0_17counting_iteratorIjlEEPS9_SE_NS0_5tupleIJPjSE_EEENSF_IJSE_SE_EEES9_SG_JZNS1_25segmented_radix_sort_implINS0_14default_configELb0EPKdPdPKlPlN2at6native12_GLOBAL__N_18offset_tEEE10hipError_tPvRmT1_PNSt15iterator_traitsISY_E10value_typeET2_T3_PNSZ_IS14_E10value_typeET4_jRbjT5_S1A_jjP12ihipStream_tbEUljE_EEESV_SW_SX_S14_S18_S1A_T6_T7_T9_mT8_S1C_bDpT10_ENKUlT_T0_E_clISt17integral_constantIbLb0EES1O_IbLb1EEEEDaS1K_S1L_EUlS1K_E_NS1_11comp_targetILNS1_3genE8ELNS1_11target_archE1030ELNS1_3gpuE2ELNS1_3repE0EEENS1_30default_config_static_selectorELNS0_4arch9wavefront6targetE1EEEvSY_
	.p2align	8
	.type	_ZN7rocprim17ROCPRIM_400000_NS6detail17trampoline_kernelINS0_13select_configILj256ELj13ELNS0_17block_load_methodE3ELS4_3ELS4_3ELNS0_20block_scan_algorithmE0ELj4294967295EEENS1_25partition_config_selectorILNS1_17partition_subalgoE3EjNS0_10empty_typeEbEEZZNS1_14partition_implILS8_3ELb0ES6_jNS0_17counting_iteratorIjlEEPS9_SE_NS0_5tupleIJPjSE_EEENSF_IJSE_SE_EEES9_SG_JZNS1_25segmented_radix_sort_implINS0_14default_configELb0EPKdPdPKlPlN2at6native12_GLOBAL__N_18offset_tEEE10hipError_tPvRmT1_PNSt15iterator_traitsISY_E10value_typeET2_T3_PNSZ_IS14_E10value_typeET4_jRbjT5_S1A_jjP12ihipStream_tbEUljE_EEESV_SW_SX_S14_S18_S1A_T6_T7_T9_mT8_S1C_bDpT10_ENKUlT_T0_E_clISt17integral_constantIbLb0EES1O_IbLb1EEEEDaS1K_S1L_EUlS1K_E_NS1_11comp_targetILNS1_3genE8ELNS1_11target_archE1030ELNS1_3gpuE2ELNS1_3repE0EEENS1_30default_config_static_selectorELNS0_4arch9wavefront6targetE1EEEvSY_,@function
_ZN7rocprim17ROCPRIM_400000_NS6detail17trampoline_kernelINS0_13select_configILj256ELj13ELNS0_17block_load_methodE3ELS4_3ELS4_3ELNS0_20block_scan_algorithmE0ELj4294967295EEENS1_25partition_config_selectorILNS1_17partition_subalgoE3EjNS0_10empty_typeEbEEZZNS1_14partition_implILS8_3ELb0ES6_jNS0_17counting_iteratorIjlEEPS9_SE_NS0_5tupleIJPjSE_EEENSF_IJSE_SE_EEES9_SG_JZNS1_25segmented_radix_sort_implINS0_14default_configELb0EPKdPdPKlPlN2at6native12_GLOBAL__N_18offset_tEEE10hipError_tPvRmT1_PNSt15iterator_traitsISY_E10value_typeET2_T3_PNSZ_IS14_E10value_typeET4_jRbjT5_S1A_jjP12ihipStream_tbEUljE_EEESV_SW_SX_S14_S18_S1A_T6_T7_T9_mT8_S1C_bDpT10_ENKUlT_T0_E_clISt17integral_constantIbLb0EES1O_IbLb1EEEEDaS1K_S1L_EUlS1K_E_NS1_11comp_targetILNS1_3genE8ELNS1_11target_archE1030ELNS1_3gpuE2ELNS1_3repE0EEENS1_30default_config_static_selectorELNS0_4arch9wavefront6targetE1EEEvSY_: ; @_ZN7rocprim17ROCPRIM_400000_NS6detail17trampoline_kernelINS0_13select_configILj256ELj13ELNS0_17block_load_methodE3ELS4_3ELS4_3ELNS0_20block_scan_algorithmE0ELj4294967295EEENS1_25partition_config_selectorILNS1_17partition_subalgoE3EjNS0_10empty_typeEbEEZZNS1_14partition_implILS8_3ELb0ES6_jNS0_17counting_iteratorIjlEEPS9_SE_NS0_5tupleIJPjSE_EEENSF_IJSE_SE_EEES9_SG_JZNS1_25segmented_radix_sort_implINS0_14default_configELb0EPKdPdPKlPlN2at6native12_GLOBAL__N_18offset_tEEE10hipError_tPvRmT1_PNSt15iterator_traitsISY_E10value_typeET2_T3_PNSZ_IS14_E10value_typeET4_jRbjT5_S1A_jjP12ihipStream_tbEUljE_EEESV_SW_SX_S14_S18_S1A_T6_T7_T9_mT8_S1C_bDpT10_ENKUlT_T0_E_clISt17integral_constantIbLb0EES1O_IbLb1EEEEDaS1K_S1L_EUlS1K_E_NS1_11comp_targetILNS1_3genE8ELNS1_11target_archE1030ELNS1_3gpuE2ELNS1_3repE0EEENS1_30default_config_static_selectorELNS0_4arch9wavefront6targetE1EEEvSY_
; %bb.0:
	.section	.rodata,"a",@progbits
	.p2align	6, 0x0
	.amdhsa_kernel _ZN7rocprim17ROCPRIM_400000_NS6detail17trampoline_kernelINS0_13select_configILj256ELj13ELNS0_17block_load_methodE3ELS4_3ELS4_3ELNS0_20block_scan_algorithmE0ELj4294967295EEENS1_25partition_config_selectorILNS1_17partition_subalgoE3EjNS0_10empty_typeEbEEZZNS1_14partition_implILS8_3ELb0ES6_jNS0_17counting_iteratorIjlEEPS9_SE_NS0_5tupleIJPjSE_EEENSF_IJSE_SE_EEES9_SG_JZNS1_25segmented_radix_sort_implINS0_14default_configELb0EPKdPdPKlPlN2at6native12_GLOBAL__N_18offset_tEEE10hipError_tPvRmT1_PNSt15iterator_traitsISY_E10value_typeET2_T3_PNSZ_IS14_E10value_typeET4_jRbjT5_S1A_jjP12ihipStream_tbEUljE_EEESV_SW_SX_S14_S18_S1A_T6_T7_T9_mT8_S1C_bDpT10_ENKUlT_T0_E_clISt17integral_constantIbLb0EES1O_IbLb1EEEEDaS1K_S1L_EUlS1K_E_NS1_11comp_targetILNS1_3genE8ELNS1_11target_archE1030ELNS1_3gpuE2ELNS1_3repE0EEENS1_30default_config_static_selectorELNS0_4arch9wavefront6targetE1EEEvSY_
		.amdhsa_group_segment_fixed_size 0
		.amdhsa_private_segment_fixed_size 0
		.amdhsa_kernarg_size 152
		.amdhsa_user_sgpr_count 6
		.amdhsa_user_sgpr_private_segment_buffer 1
		.amdhsa_user_sgpr_dispatch_ptr 0
		.amdhsa_user_sgpr_queue_ptr 0
		.amdhsa_user_sgpr_kernarg_segment_ptr 1
		.amdhsa_user_sgpr_dispatch_id 0
		.amdhsa_user_sgpr_flat_scratch_init 0
		.amdhsa_user_sgpr_private_segment_size 0
		.amdhsa_uses_dynamic_stack 0
		.amdhsa_system_sgpr_private_segment_wavefront_offset 0
		.amdhsa_system_sgpr_workgroup_id_x 1
		.amdhsa_system_sgpr_workgroup_id_y 0
		.amdhsa_system_sgpr_workgroup_id_z 0
		.amdhsa_system_sgpr_workgroup_info 0
		.amdhsa_system_vgpr_workitem_id 0
		.amdhsa_next_free_vgpr 1
		.amdhsa_next_free_sgpr 0
		.amdhsa_reserve_vcc 0
		.amdhsa_reserve_flat_scratch 0
		.amdhsa_float_round_mode_32 0
		.amdhsa_float_round_mode_16_64 0
		.amdhsa_float_denorm_mode_32 3
		.amdhsa_float_denorm_mode_16_64 3
		.amdhsa_dx10_clamp 1
		.amdhsa_ieee_mode 1
		.amdhsa_fp16_overflow 0
		.amdhsa_exception_fp_ieee_invalid_op 0
		.amdhsa_exception_fp_denorm_src 0
		.amdhsa_exception_fp_ieee_div_zero 0
		.amdhsa_exception_fp_ieee_overflow 0
		.amdhsa_exception_fp_ieee_underflow 0
		.amdhsa_exception_fp_ieee_inexact 0
		.amdhsa_exception_int_div_zero 0
	.end_amdhsa_kernel
	.section	.text._ZN7rocprim17ROCPRIM_400000_NS6detail17trampoline_kernelINS0_13select_configILj256ELj13ELNS0_17block_load_methodE3ELS4_3ELS4_3ELNS0_20block_scan_algorithmE0ELj4294967295EEENS1_25partition_config_selectorILNS1_17partition_subalgoE3EjNS0_10empty_typeEbEEZZNS1_14partition_implILS8_3ELb0ES6_jNS0_17counting_iteratorIjlEEPS9_SE_NS0_5tupleIJPjSE_EEENSF_IJSE_SE_EEES9_SG_JZNS1_25segmented_radix_sort_implINS0_14default_configELb0EPKdPdPKlPlN2at6native12_GLOBAL__N_18offset_tEEE10hipError_tPvRmT1_PNSt15iterator_traitsISY_E10value_typeET2_T3_PNSZ_IS14_E10value_typeET4_jRbjT5_S1A_jjP12ihipStream_tbEUljE_EEESV_SW_SX_S14_S18_S1A_T6_T7_T9_mT8_S1C_bDpT10_ENKUlT_T0_E_clISt17integral_constantIbLb0EES1O_IbLb1EEEEDaS1K_S1L_EUlS1K_E_NS1_11comp_targetILNS1_3genE8ELNS1_11target_archE1030ELNS1_3gpuE2ELNS1_3repE0EEENS1_30default_config_static_selectorELNS0_4arch9wavefront6targetE1EEEvSY_,"axG",@progbits,_ZN7rocprim17ROCPRIM_400000_NS6detail17trampoline_kernelINS0_13select_configILj256ELj13ELNS0_17block_load_methodE3ELS4_3ELS4_3ELNS0_20block_scan_algorithmE0ELj4294967295EEENS1_25partition_config_selectorILNS1_17partition_subalgoE3EjNS0_10empty_typeEbEEZZNS1_14partition_implILS8_3ELb0ES6_jNS0_17counting_iteratorIjlEEPS9_SE_NS0_5tupleIJPjSE_EEENSF_IJSE_SE_EEES9_SG_JZNS1_25segmented_radix_sort_implINS0_14default_configELb0EPKdPdPKlPlN2at6native12_GLOBAL__N_18offset_tEEE10hipError_tPvRmT1_PNSt15iterator_traitsISY_E10value_typeET2_T3_PNSZ_IS14_E10value_typeET4_jRbjT5_S1A_jjP12ihipStream_tbEUljE_EEESV_SW_SX_S14_S18_S1A_T6_T7_T9_mT8_S1C_bDpT10_ENKUlT_T0_E_clISt17integral_constantIbLb0EES1O_IbLb1EEEEDaS1K_S1L_EUlS1K_E_NS1_11comp_targetILNS1_3genE8ELNS1_11target_archE1030ELNS1_3gpuE2ELNS1_3repE0EEENS1_30default_config_static_selectorELNS0_4arch9wavefront6targetE1EEEvSY_,comdat
.Lfunc_end1220:
	.size	_ZN7rocprim17ROCPRIM_400000_NS6detail17trampoline_kernelINS0_13select_configILj256ELj13ELNS0_17block_load_methodE3ELS4_3ELS4_3ELNS0_20block_scan_algorithmE0ELj4294967295EEENS1_25partition_config_selectorILNS1_17partition_subalgoE3EjNS0_10empty_typeEbEEZZNS1_14partition_implILS8_3ELb0ES6_jNS0_17counting_iteratorIjlEEPS9_SE_NS0_5tupleIJPjSE_EEENSF_IJSE_SE_EEES9_SG_JZNS1_25segmented_radix_sort_implINS0_14default_configELb0EPKdPdPKlPlN2at6native12_GLOBAL__N_18offset_tEEE10hipError_tPvRmT1_PNSt15iterator_traitsISY_E10value_typeET2_T3_PNSZ_IS14_E10value_typeET4_jRbjT5_S1A_jjP12ihipStream_tbEUljE_EEESV_SW_SX_S14_S18_S1A_T6_T7_T9_mT8_S1C_bDpT10_ENKUlT_T0_E_clISt17integral_constantIbLb0EES1O_IbLb1EEEEDaS1K_S1L_EUlS1K_E_NS1_11comp_targetILNS1_3genE8ELNS1_11target_archE1030ELNS1_3gpuE2ELNS1_3repE0EEENS1_30default_config_static_selectorELNS0_4arch9wavefront6targetE1EEEvSY_, .Lfunc_end1220-_ZN7rocprim17ROCPRIM_400000_NS6detail17trampoline_kernelINS0_13select_configILj256ELj13ELNS0_17block_load_methodE3ELS4_3ELS4_3ELNS0_20block_scan_algorithmE0ELj4294967295EEENS1_25partition_config_selectorILNS1_17partition_subalgoE3EjNS0_10empty_typeEbEEZZNS1_14partition_implILS8_3ELb0ES6_jNS0_17counting_iteratorIjlEEPS9_SE_NS0_5tupleIJPjSE_EEENSF_IJSE_SE_EEES9_SG_JZNS1_25segmented_radix_sort_implINS0_14default_configELb0EPKdPdPKlPlN2at6native12_GLOBAL__N_18offset_tEEE10hipError_tPvRmT1_PNSt15iterator_traitsISY_E10value_typeET2_T3_PNSZ_IS14_E10value_typeET4_jRbjT5_S1A_jjP12ihipStream_tbEUljE_EEESV_SW_SX_S14_S18_S1A_T6_T7_T9_mT8_S1C_bDpT10_ENKUlT_T0_E_clISt17integral_constantIbLb0EES1O_IbLb1EEEEDaS1K_S1L_EUlS1K_E_NS1_11comp_targetILNS1_3genE8ELNS1_11target_archE1030ELNS1_3gpuE2ELNS1_3repE0EEENS1_30default_config_static_selectorELNS0_4arch9wavefront6targetE1EEEvSY_
                                        ; -- End function
	.set _ZN7rocprim17ROCPRIM_400000_NS6detail17trampoline_kernelINS0_13select_configILj256ELj13ELNS0_17block_load_methodE3ELS4_3ELS4_3ELNS0_20block_scan_algorithmE0ELj4294967295EEENS1_25partition_config_selectorILNS1_17partition_subalgoE3EjNS0_10empty_typeEbEEZZNS1_14partition_implILS8_3ELb0ES6_jNS0_17counting_iteratorIjlEEPS9_SE_NS0_5tupleIJPjSE_EEENSF_IJSE_SE_EEES9_SG_JZNS1_25segmented_radix_sort_implINS0_14default_configELb0EPKdPdPKlPlN2at6native12_GLOBAL__N_18offset_tEEE10hipError_tPvRmT1_PNSt15iterator_traitsISY_E10value_typeET2_T3_PNSZ_IS14_E10value_typeET4_jRbjT5_S1A_jjP12ihipStream_tbEUljE_EEESV_SW_SX_S14_S18_S1A_T6_T7_T9_mT8_S1C_bDpT10_ENKUlT_T0_E_clISt17integral_constantIbLb0EES1O_IbLb1EEEEDaS1K_S1L_EUlS1K_E_NS1_11comp_targetILNS1_3genE8ELNS1_11target_archE1030ELNS1_3gpuE2ELNS1_3repE0EEENS1_30default_config_static_selectorELNS0_4arch9wavefront6targetE1EEEvSY_.num_vgpr, 0
	.set _ZN7rocprim17ROCPRIM_400000_NS6detail17trampoline_kernelINS0_13select_configILj256ELj13ELNS0_17block_load_methodE3ELS4_3ELS4_3ELNS0_20block_scan_algorithmE0ELj4294967295EEENS1_25partition_config_selectorILNS1_17partition_subalgoE3EjNS0_10empty_typeEbEEZZNS1_14partition_implILS8_3ELb0ES6_jNS0_17counting_iteratorIjlEEPS9_SE_NS0_5tupleIJPjSE_EEENSF_IJSE_SE_EEES9_SG_JZNS1_25segmented_radix_sort_implINS0_14default_configELb0EPKdPdPKlPlN2at6native12_GLOBAL__N_18offset_tEEE10hipError_tPvRmT1_PNSt15iterator_traitsISY_E10value_typeET2_T3_PNSZ_IS14_E10value_typeET4_jRbjT5_S1A_jjP12ihipStream_tbEUljE_EEESV_SW_SX_S14_S18_S1A_T6_T7_T9_mT8_S1C_bDpT10_ENKUlT_T0_E_clISt17integral_constantIbLb0EES1O_IbLb1EEEEDaS1K_S1L_EUlS1K_E_NS1_11comp_targetILNS1_3genE8ELNS1_11target_archE1030ELNS1_3gpuE2ELNS1_3repE0EEENS1_30default_config_static_selectorELNS0_4arch9wavefront6targetE1EEEvSY_.num_agpr, 0
	.set _ZN7rocprim17ROCPRIM_400000_NS6detail17trampoline_kernelINS0_13select_configILj256ELj13ELNS0_17block_load_methodE3ELS4_3ELS4_3ELNS0_20block_scan_algorithmE0ELj4294967295EEENS1_25partition_config_selectorILNS1_17partition_subalgoE3EjNS0_10empty_typeEbEEZZNS1_14partition_implILS8_3ELb0ES6_jNS0_17counting_iteratorIjlEEPS9_SE_NS0_5tupleIJPjSE_EEENSF_IJSE_SE_EEES9_SG_JZNS1_25segmented_radix_sort_implINS0_14default_configELb0EPKdPdPKlPlN2at6native12_GLOBAL__N_18offset_tEEE10hipError_tPvRmT1_PNSt15iterator_traitsISY_E10value_typeET2_T3_PNSZ_IS14_E10value_typeET4_jRbjT5_S1A_jjP12ihipStream_tbEUljE_EEESV_SW_SX_S14_S18_S1A_T6_T7_T9_mT8_S1C_bDpT10_ENKUlT_T0_E_clISt17integral_constantIbLb0EES1O_IbLb1EEEEDaS1K_S1L_EUlS1K_E_NS1_11comp_targetILNS1_3genE8ELNS1_11target_archE1030ELNS1_3gpuE2ELNS1_3repE0EEENS1_30default_config_static_selectorELNS0_4arch9wavefront6targetE1EEEvSY_.numbered_sgpr, 0
	.set _ZN7rocprim17ROCPRIM_400000_NS6detail17trampoline_kernelINS0_13select_configILj256ELj13ELNS0_17block_load_methodE3ELS4_3ELS4_3ELNS0_20block_scan_algorithmE0ELj4294967295EEENS1_25partition_config_selectorILNS1_17partition_subalgoE3EjNS0_10empty_typeEbEEZZNS1_14partition_implILS8_3ELb0ES6_jNS0_17counting_iteratorIjlEEPS9_SE_NS0_5tupleIJPjSE_EEENSF_IJSE_SE_EEES9_SG_JZNS1_25segmented_radix_sort_implINS0_14default_configELb0EPKdPdPKlPlN2at6native12_GLOBAL__N_18offset_tEEE10hipError_tPvRmT1_PNSt15iterator_traitsISY_E10value_typeET2_T3_PNSZ_IS14_E10value_typeET4_jRbjT5_S1A_jjP12ihipStream_tbEUljE_EEESV_SW_SX_S14_S18_S1A_T6_T7_T9_mT8_S1C_bDpT10_ENKUlT_T0_E_clISt17integral_constantIbLb0EES1O_IbLb1EEEEDaS1K_S1L_EUlS1K_E_NS1_11comp_targetILNS1_3genE8ELNS1_11target_archE1030ELNS1_3gpuE2ELNS1_3repE0EEENS1_30default_config_static_selectorELNS0_4arch9wavefront6targetE1EEEvSY_.num_named_barrier, 0
	.set _ZN7rocprim17ROCPRIM_400000_NS6detail17trampoline_kernelINS0_13select_configILj256ELj13ELNS0_17block_load_methodE3ELS4_3ELS4_3ELNS0_20block_scan_algorithmE0ELj4294967295EEENS1_25partition_config_selectorILNS1_17partition_subalgoE3EjNS0_10empty_typeEbEEZZNS1_14partition_implILS8_3ELb0ES6_jNS0_17counting_iteratorIjlEEPS9_SE_NS0_5tupleIJPjSE_EEENSF_IJSE_SE_EEES9_SG_JZNS1_25segmented_radix_sort_implINS0_14default_configELb0EPKdPdPKlPlN2at6native12_GLOBAL__N_18offset_tEEE10hipError_tPvRmT1_PNSt15iterator_traitsISY_E10value_typeET2_T3_PNSZ_IS14_E10value_typeET4_jRbjT5_S1A_jjP12ihipStream_tbEUljE_EEESV_SW_SX_S14_S18_S1A_T6_T7_T9_mT8_S1C_bDpT10_ENKUlT_T0_E_clISt17integral_constantIbLb0EES1O_IbLb1EEEEDaS1K_S1L_EUlS1K_E_NS1_11comp_targetILNS1_3genE8ELNS1_11target_archE1030ELNS1_3gpuE2ELNS1_3repE0EEENS1_30default_config_static_selectorELNS0_4arch9wavefront6targetE1EEEvSY_.private_seg_size, 0
	.set _ZN7rocprim17ROCPRIM_400000_NS6detail17trampoline_kernelINS0_13select_configILj256ELj13ELNS0_17block_load_methodE3ELS4_3ELS4_3ELNS0_20block_scan_algorithmE0ELj4294967295EEENS1_25partition_config_selectorILNS1_17partition_subalgoE3EjNS0_10empty_typeEbEEZZNS1_14partition_implILS8_3ELb0ES6_jNS0_17counting_iteratorIjlEEPS9_SE_NS0_5tupleIJPjSE_EEENSF_IJSE_SE_EEES9_SG_JZNS1_25segmented_radix_sort_implINS0_14default_configELb0EPKdPdPKlPlN2at6native12_GLOBAL__N_18offset_tEEE10hipError_tPvRmT1_PNSt15iterator_traitsISY_E10value_typeET2_T3_PNSZ_IS14_E10value_typeET4_jRbjT5_S1A_jjP12ihipStream_tbEUljE_EEESV_SW_SX_S14_S18_S1A_T6_T7_T9_mT8_S1C_bDpT10_ENKUlT_T0_E_clISt17integral_constantIbLb0EES1O_IbLb1EEEEDaS1K_S1L_EUlS1K_E_NS1_11comp_targetILNS1_3genE8ELNS1_11target_archE1030ELNS1_3gpuE2ELNS1_3repE0EEENS1_30default_config_static_selectorELNS0_4arch9wavefront6targetE1EEEvSY_.uses_vcc, 0
	.set _ZN7rocprim17ROCPRIM_400000_NS6detail17trampoline_kernelINS0_13select_configILj256ELj13ELNS0_17block_load_methodE3ELS4_3ELS4_3ELNS0_20block_scan_algorithmE0ELj4294967295EEENS1_25partition_config_selectorILNS1_17partition_subalgoE3EjNS0_10empty_typeEbEEZZNS1_14partition_implILS8_3ELb0ES6_jNS0_17counting_iteratorIjlEEPS9_SE_NS0_5tupleIJPjSE_EEENSF_IJSE_SE_EEES9_SG_JZNS1_25segmented_radix_sort_implINS0_14default_configELb0EPKdPdPKlPlN2at6native12_GLOBAL__N_18offset_tEEE10hipError_tPvRmT1_PNSt15iterator_traitsISY_E10value_typeET2_T3_PNSZ_IS14_E10value_typeET4_jRbjT5_S1A_jjP12ihipStream_tbEUljE_EEESV_SW_SX_S14_S18_S1A_T6_T7_T9_mT8_S1C_bDpT10_ENKUlT_T0_E_clISt17integral_constantIbLb0EES1O_IbLb1EEEEDaS1K_S1L_EUlS1K_E_NS1_11comp_targetILNS1_3genE8ELNS1_11target_archE1030ELNS1_3gpuE2ELNS1_3repE0EEENS1_30default_config_static_selectorELNS0_4arch9wavefront6targetE1EEEvSY_.uses_flat_scratch, 0
	.set _ZN7rocprim17ROCPRIM_400000_NS6detail17trampoline_kernelINS0_13select_configILj256ELj13ELNS0_17block_load_methodE3ELS4_3ELS4_3ELNS0_20block_scan_algorithmE0ELj4294967295EEENS1_25partition_config_selectorILNS1_17partition_subalgoE3EjNS0_10empty_typeEbEEZZNS1_14partition_implILS8_3ELb0ES6_jNS0_17counting_iteratorIjlEEPS9_SE_NS0_5tupleIJPjSE_EEENSF_IJSE_SE_EEES9_SG_JZNS1_25segmented_radix_sort_implINS0_14default_configELb0EPKdPdPKlPlN2at6native12_GLOBAL__N_18offset_tEEE10hipError_tPvRmT1_PNSt15iterator_traitsISY_E10value_typeET2_T3_PNSZ_IS14_E10value_typeET4_jRbjT5_S1A_jjP12ihipStream_tbEUljE_EEESV_SW_SX_S14_S18_S1A_T6_T7_T9_mT8_S1C_bDpT10_ENKUlT_T0_E_clISt17integral_constantIbLb0EES1O_IbLb1EEEEDaS1K_S1L_EUlS1K_E_NS1_11comp_targetILNS1_3genE8ELNS1_11target_archE1030ELNS1_3gpuE2ELNS1_3repE0EEENS1_30default_config_static_selectorELNS0_4arch9wavefront6targetE1EEEvSY_.has_dyn_sized_stack, 0
	.set _ZN7rocprim17ROCPRIM_400000_NS6detail17trampoline_kernelINS0_13select_configILj256ELj13ELNS0_17block_load_methodE3ELS4_3ELS4_3ELNS0_20block_scan_algorithmE0ELj4294967295EEENS1_25partition_config_selectorILNS1_17partition_subalgoE3EjNS0_10empty_typeEbEEZZNS1_14partition_implILS8_3ELb0ES6_jNS0_17counting_iteratorIjlEEPS9_SE_NS0_5tupleIJPjSE_EEENSF_IJSE_SE_EEES9_SG_JZNS1_25segmented_radix_sort_implINS0_14default_configELb0EPKdPdPKlPlN2at6native12_GLOBAL__N_18offset_tEEE10hipError_tPvRmT1_PNSt15iterator_traitsISY_E10value_typeET2_T3_PNSZ_IS14_E10value_typeET4_jRbjT5_S1A_jjP12ihipStream_tbEUljE_EEESV_SW_SX_S14_S18_S1A_T6_T7_T9_mT8_S1C_bDpT10_ENKUlT_T0_E_clISt17integral_constantIbLb0EES1O_IbLb1EEEEDaS1K_S1L_EUlS1K_E_NS1_11comp_targetILNS1_3genE8ELNS1_11target_archE1030ELNS1_3gpuE2ELNS1_3repE0EEENS1_30default_config_static_selectorELNS0_4arch9wavefront6targetE1EEEvSY_.has_recursion, 0
	.set _ZN7rocprim17ROCPRIM_400000_NS6detail17trampoline_kernelINS0_13select_configILj256ELj13ELNS0_17block_load_methodE3ELS4_3ELS4_3ELNS0_20block_scan_algorithmE0ELj4294967295EEENS1_25partition_config_selectorILNS1_17partition_subalgoE3EjNS0_10empty_typeEbEEZZNS1_14partition_implILS8_3ELb0ES6_jNS0_17counting_iteratorIjlEEPS9_SE_NS0_5tupleIJPjSE_EEENSF_IJSE_SE_EEES9_SG_JZNS1_25segmented_radix_sort_implINS0_14default_configELb0EPKdPdPKlPlN2at6native12_GLOBAL__N_18offset_tEEE10hipError_tPvRmT1_PNSt15iterator_traitsISY_E10value_typeET2_T3_PNSZ_IS14_E10value_typeET4_jRbjT5_S1A_jjP12ihipStream_tbEUljE_EEESV_SW_SX_S14_S18_S1A_T6_T7_T9_mT8_S1C_bDpT10_ENKUlT_T0_E_clISt17integral_constantIbLb0EES1O_IbLb1EEEEDaS1K_S1L_EUlS1K_E_NS1_11comp_targetILNS1_3genE8ELNS1_11target_archE1030ELNS1_3gpuE2ELNS1_3repE0EEENS1_30default_config_static_selectorELNS0_4arch9wavefront6targetE1EEEvSY_.has_indirect_call, 0
	.section	.AMDGPU.csdata,"",@progbits
; Kernel info:
; codeLenInByte = 0
; TotalNumSgprs: 4
; NumVgprs: 0
; ScratchSize: 0
; MemoryBound: 0
; FloatMode: 240
; IeeeMode: 1
; LDSByteSize: 0 bytes/workgroup (compile time only)
; SGPRBlocks: 0
; VGPRBlocks: 0
; NumSGPRsForWavesPerEU: 4
; NumVGPRsForWavesPerEU: 1
; Occupancy: 10
; WaveLimiterHint : 0
; COMPUTE_PGM_RSRC2:SCRATCH_EN: 0
; COMPUTE_PGM_RSRC2:USER_SGPR: 6
; COMPUTE_PGM_RSRC2:TRAP_HANDLER: 0
; COMPUTE_PGM_RSRC2:TGID_X_EN: 1
; COMPUTE_PGM_RSRC2:TGID_Y_EN: 0
; COMPUTE_PGM_RSRC2:TGID_Z_EN: 0
; COMPUTE_PGM_RSRC2:TIDIG_COMP_CNT: 0
	.section	.text._ZN7rocprim17ROCPRIM_400000_NS6detail17trampoline_kernelINS0_14default_configENS1_36segmented_radix_sort_config_selectorIdlEEZNS1_25segmented_radix_sort_implIS3_Lb0EPKdPdPKlPlN2at6native12_GLOBAL__N_18offset_tEEE10hipError_tPvRmT1_PNSt15iterator_traitsISK_E10value_typeET2_T3_PNSL_ISQ_E10value_typeET4_jRbjT5_SW_jjP12ihipStream_tbEUlT_E_NS1_11comp_targetILNS1_3genE0ELNS1_11target_archE4294967295ELNS1_3gpuE0ELNS1_3repE0EEENS1_30default_config_static_selectorELNS0_4arch9wavefront6targetE1EEEvSK_,"axG",@progbits,_ZN7rocprim17ROCPRIM_400000_NS6detail17trampoline_kernelINS0_14default_configENS1_36segmented_radix_sort_config_selectorIdlEEZNS1_25segmented_radix_sort_implIS3_Lb0EPKdPdPKlPlN2at6native12_GLOBAL__N_18offset_tEEE10hipError_tPvRmT1_PNSt15iterator_traitsISK_E10value_typeET2_T3_PNSL_ISQ_E10value_typeET4_jRbjT5_SW_jjP12ihipStream_tbEUlT_E_NS1_11comp_targetILNS1_3genE0ELNS1_11target_archE4294967295ELNS1_3gpuE0ELNS1_3repE0EEENS1_30default_config_static_selectorELNS0_4arch9wavefront6targetE1EEEvSK_,comdat
	.globl	_ZN7rocprim17ROCPRIM_400000_NS6detail17trampoline_kernelINS0_14default_configENS1_36segmented_radix_sort_config_selectorIdlEEZNS1_25segmented_radix_sort_implIS3_Lb0EPKdPdPKlPlN2at6native12_GLOBAL__N_18offset_tEEE10hipError_tPvRmT1_PNSt15iterator_traitsISK_E10value_typeET2_T3_PNSL_ISQ_E10value_typeET4_jRbjT5_SW_jjP12ihipStream_tbEUlT_E_NS1_11comp_targetILNS1_3genE0ELNS1_11target_archE4294967295ELNS1_3gpuE0ELNS1_3repE0EEENS1_30default_config_static_selectorELNS0_4arch9wavefront6targetE1EEEvSK_ ; -- Begin function _ZN7rocprim17ROCPRIM_400000_NS6detail17trampoline_kernelINS0_14default_configENS1_36segmented_radix_sort_config_selectorIdlEEZNS1_25segmented_radix_sort_implIS3_Lb0EPKdPdPKlPlN2at6native12_GLOBAL__N_18offset_tEEE10hipError_tPvRmT1_PNSt15iterator_traitsISK_E10value_typeET2_T3_PNSL_ISQ_E10value_typeET4_jRbjT5_SW_jjP12ihipStream_tbEUlT_E_NS1_11comp_targetILNS1_3genE0ELNS1_11target_archE4294967295ELNS1_3gpuE0ELNS1_3repE0EEENS1_30default_config_static_selectorELNS0_4arch9wavefront6targetE1EEEvSK_
	.p2align	8
	.type	_ZN7rocprim17ROCPRIM_400000_NS6detail17trampoline_kernelINS0_14default_configENS1_36segmented_radix_sort_config_selectorIdlEEZNS1_25segmented_radix_sort_implIS3_Lb0EPKdPdPKlPlN2at6native12_GLOBAL__N_18offset_tEEE10hipError_tPvRmT1_PNSt15iterator_traitsISK_E10value_typeET2_T3_PNSL_ISQ_E10value_typeET4_jRbjT5_SW_jjP12ihipStream_tbEUlT_E_NS1_11comp_targetILNS1_3genE0ELNS1_11target_archE4294967295ELNS1_3gpuE0ELNS1_3repE0EEENS1_30default_config_static_selectorELNS0_4arch9wavefront6targetE1EEEvSK_,@function
_ZN7rocprim17ROCPRIM_400000_NS6detail17trampoline_kernelINS0_14default_configENS1_36segmented_radix_sort_config_selectorIdlEEZNS1_25segmented_radix_sort_implIS3_Lb0EPKdPdPKlPlN2at6native12_GLOBAL__N_18offset_tEEE10hipError_tPvRmT1_PNSt15iterator_traitsISK_E10value_typeET2_T3_PNSL_ISQ_E10value_typeET4_jRbjT5_SW_jjP12ihipStream_tbEUlT_E_NS1_11comp_targetILNS1_3genE0ELNS1_11target_archE4294967295ELNS1_3gpuE0ELNS1_3repE0EEENS1_30default_config_static_selectorELNS0_4arch9wavefront6targetE1EEEvSK_: ; @_ZN7rocprim17ROCPRIM_400000_NS6detail17trampoline_kernelINS0_14default_configENS1_36segmented_radix_sort_config_selectorIdlEEZNS1_25segmented_radix_sort_implIS3_Lb0EPKdPdPKlPlN2at6native12_GLOBAL__N_18offset_tEEE10hipError_tPvRmT1_PNSt15iterator_traitsISK_E10value_typeET2_T3_PNSL_ISQ_E10value_typeET4_jRbjT5_SW_jjP12ihipStream_tbEUlT_E_NS1_11comp_targetILNS1_3genE0ELNS1_11target_archE4294967295ELNS1_3gpuE0ELNS1_3repE0EEENS1_30default_config_static_selectorELNS0_4arch9wavefront6targetE1EEEvSK_
; %bb.0:
	.section	.rodata,"a",@progbits
	.p2align	6, 0x0
	.amdhsa_kernel _ZN7rocprim17ROCPRIM_400000_NS6detail17trampoline_kernelINS0_14default_configENS1_36segmented_radix_sort_config_selectorIdlEEZNS1_25segmented_radix_sort_implIS3_Lb0EPKdPdPKlPlN2at6native12_GLOBAL__N_18offset_tEEE10hipError_tPvRmT1_PNSt15iterator_traitsISK_E10value_typeET2_T3_PNSL_ISQ_E10value_typeET4_jRbjT5_SW_jjP12ihipStream_tbEUlT_E_NS1_11comp_targetILNS1_3genE0ELNS1_11target_archE4294967295ELNS1_3gpuE0ELNS1_3repE0EEENS1_30default_config_static_selectorELNS0_4arch9wavefront6targetE1EEEvSK_
		.amdhsa_group_segment_fixed_size 0
		.amdhsa_private_segment_fixed_size 0
		.amdhsa_kernarg_size 96
		.amdhsa_user_sgpr_count 6
		.amdhsa_user_sgpr_private_segment_buffer 1
		.amdhsa_user_sgpr_dispatch_ptr 0
		.amdhsa_user_sgpr_queue_ptr 0
		.amdhsa_user_sgpr_kernarg_segment_ptr 1
		.amdhsa_user_sgpr_dispatch_id 0
		.amdhsa_user_sgpr_flat_scratch_init 0
		.amdhsa_user_sgpr_private_segment_size 0
		.amdhsa_uses_dynamic_stack 0
		.amdhsa_system_sgpr_private_segment_wavefront_offset 0
		.amdhsa_system_sgpr_workgroup_id_x 1
		.amdhsa_system_sgpr_workgroup_id_y 0
		.amdhsa_system_sgpr_workgroup_id_z 0
		.amdhsa_system_sgpr_workgroup_info 0
		.amdhsa_system_vgpr_workitem_id 0
		.amdhsa_next_free_vgpr 1
		.amdhsa_next_free_sgpr 0
		.amdhsa_reserve_vcc 0
		.amdhsa_reserve_flat_scratch 0
		.amdhsa_float_round_mode_32 0
		.amdhsa_float_round_mode_16_64 0
		.amdhsa_float_denorm_mode_32 3
		.amdhsa_float_denorm_mode_16_64 3
		.amdhsa_dx10_clamp 1
		.amdhsa_ieee_mode 1
		.amdhsa_fp16_overflow 0
		.amdhsa_exception_fp_ieee_invalid_op 0
		.amdhsa_exception_fp_denorm_src 0
		.amdhsa_exception_fp_ieee_div_zero 0
		.amdhsa_exception_fp_ieee_overflow 0
		.amdhsa_exception_fp_ieee_underflow 0
		.amdhsa_exception_fp_ieee_inexact 0
		.amdhsa_exception_int_div_zero 0
	.end_amdhsa_kernel
	.section	.text._ZN7rocprim17ROCPRIM_400000_NS6detail17trampoline_kernelINS0_14default_configENS1_36segmented_radix_sort_config_selectorIdlEEZNS1_25segmented_radix_sort_implIS3_Lb0EPKdPdPKlPlN2at6native12_GLOBAL__N_18offset_tEEE10hipError_tPvRmT1_PNSt15iterator_traitsISK_E10value_typeET2_T3_PNSL_ISQ_E10value_typeET4_jRbjT5_SW_jjP12ihipStream_tbEUlT_E_NS1_11comp_targetILNS1_3genE0ELNS1_11target_archE4294967295ELNS1_3gpuE0ELNS1_3repE0EEENS1_30default_config_static_selectorELNS0_4arch9wavefront6targetE1EEEvSK_,"axG",@progbits,_ZN7rocprim17ROCPRIM_400000_NS6detail17trampoline_kernelINS0_14default_configENS1_36segmented_radix_sort_config_selectorIdlEEZNS1_25segmented_radix_sort_implIS3_Lb0EPKdPdPKlPlN2at6native12_GLOBAL__N_18offset_tEEE10hipError_tPvRmT1_PNSt15iterator_traitsISK_E10value_typeET2_T3_PNSL_ISQ_E10value_typeET4_jRbjT5_SW_jjP12ihipStream_tbEUlT_E_NS1_11comp_targetILNS1_3genE0ELNS1_11target_archE4294967295ELNS1_3gpuE0ELNS1_3repE0EEENS1_30default_config_static_selectorELNS0_4arch9wavefront6targetE1EEEvSK_,comdat
.Lfunc_end1221:
	.size	_ZN7rocprim17ROCPRIM_400000_NS6detail17trampoline_kernelINS0_14default_configENS1_36segmented_radix_sort_config_selectorIdlEEZNS1_25segmented_radix_sort_implIS3_Lb0EPKdPdPKlPlN2at6native12_GLOBAL__N_18offset_tEEE10hipError_tPvRmT1_PNSt15iterator_traitsISK_E10value_typeET2_T3_PNSL_ISQ_E10value_typeET4_jRbjT5_SW_jjP12ihipStream_tbEUlT_E_NS1_11comp_targetILNS1_3genE0ELNS1_11target_archE4294967295ELNS1_3gpuE0ELNS1_3repE0EEENS1_30default_config_static_selectorELNS0_4arch9wavefront6targetE1EEEvSK_, .Lfunc_end1221-_ZN7rocprim17ROCPRIM_400000_NS6detail17trampoline_kernelINS0_14default_configENS1_36segmented_radix_sort_config_selectorIdlEEZNS1_25segmented_radix_sort_implIS3_Lb0EPKdPdPKlPlN2at6native12_GLOBAL__N_18offset_tEEE10hipError_tPvRmT1_PNSt15iterator_traitsISK_E10value_typeET2_T3_PNSL_ISQ_E10value_typeET4_jRbjT5_SW_jjP12ihipStream_tbEUlT_E_NS1_11comp_targetILNS1_3genE0ELNS1_11target_archE4294967295ELNS1_3gpuE0ELNS1_3repE0EEENS1_30default_config_static_selectorELNS0_4arch9wavefront6targetE1EEEvSK_
                                        ; -- End function
	.set _ZN7rocprim17ROCPRIM_400000_NS6detail17trampoline_kernelINS0_14default_configENS1_36segmented_radix_sort_config_selectorIdlEEZNS1_25segmented_radix_sort_implIS3_Lb0EPKdPdPKlPlN2at6native12_GLOBAL__N_18offset_tEEE10hipError_tPvRmT1_PNSt15iterator_traitsISK_E10value_typeET2_T3_PNSL_ISQ_E10value_typeET4_jRbjT5_SW_jjP12ihipStream_tbEUlT_E_NS1_11comp_targetILNS1_3genE0ELNS1_11target_archE4294967295ELNS1_3gpuE0ELNS1_3repE0EEENS1_30default_config_static_selectorELNS0_4arch9wavefront6targetE1EEEvSK_.num_vgpr, 0
	.set _ZN7rocprim17ROCPRIM_400000_NS6detail17trampoline_kernelINS0_14default_configENS1_36segmented_radix_sort_config_selectorIdlEEZNS1_25segmented_radix_sort_implIS3_Lb0EPKdPdPKlPlN2at6native12_GLOBAL__N_18offset_tEEE10hipError_tPvRmT1_PNSt15iterator_traitsISK_E10value_typeET2_T3_PNSL_ISQ_E10value_typeET4_jRbjT5_SW_jjP12ihipStream_tbEUlT_E_NS1_11comp_targetILNS1_3genE0ELNS1_11target_archE4294967295ELNS1_3gpuE0ELNS1_3repE0EEENS1_30default_config_static_selectorELNS0_4arch9wavefront6targetE1EEEvSK_.num_agpr, 0
	.set _ZN7rocprim17ROCPRIM_400000_NS6detail17trampoline_kernelINS0_14default_configENS1_36segmented_radix_sort_config_selectorIdlEEZNS1_25segmented_radix_sort_implIS3_Lb0EPKdPdPKlPlN2at6native12_GLOBAL__N_18offset_tEEE10hipError_tPvRmT1_PNSt15iterator_traitsISK_E10value_typeET2_T3_PNSL_ISQ_E10value_typeET4_jRbjT5_SW_jjP12ihipStream_tbEUlT_E_NS1_11comp_targetILNS1_3genE0ELNS1_11target_archE4294967295ELNS1_3gpuE0ELNS1_3repE0EEENS1_30default_config_static_selectorELNS0_4arch9wavefront6targetE1EEEvSK_.numbered_sgpr, 0
	.set _ZN7rocprim17ROCPRIM_400000_NS6detail17trampoline_kernelINS0_14default_configENS1_36segmented_radix_sort_config_selectorIdlEEZNS1_25segmented_radix_sort_implIS3_Lb0EPKdPdPKlPlN2at6native12_GLOBAL__N_18offset_tEEE10hipError_tPvRmT1_PNSt15iterator_traitsISK_E10value_typeET2_T3_PNSL_ISQ_E10value_typeET4_jRbjT5_SW_jjP12ihipStream_tbEUlT_E_NS1_11comp_targetILNS1_3genE0ELNS1_11target_archE4294967295ELNS1_3gpuE0ELNS1_3repE0EEENS1_30default_config_static_selectorELNS0_4arch9wavefront6targetE1EEEvSK_.num_named_barrier, 0
	.set _ZN7rocprim17ROCPRIM_400000_NS6detail17trampoline_kernelINS0_14default_configENS1_36segmented_radix_sort_config_selectorIdlEEZNS1_25segmented_radix_sort_implIS3_Lb0EPKdPdPKlPlN2at6native12_GLOBAL__N_18offset_tEEE10hipError_tPvRmT1_PNSt15iterator_traitsISK_E10value_typeET2_T3_PNSL_ISQ_E10value_typeET4_jRbjT5_SW_jjP12ihipStream_tbEUlT_E_NS1_11comp_targetILNS1_3genE0ELNS1_11target_archE4294967295ELNS1_3gpuE0ELNS1_3repE0EEENS1_30default_config_static_selectorELNS0_4arch9wavefront6targetE1EEEvSK_.private_seg_size, 0
	.set _ZN7rocprim17ROCPRIM_400000_NS6detail17trampoline_kernelINS0_14default_configENS1_36segmented_radix_sort_config_selectorIdlEEZNS1_25segmented_radix_sort_implIS3_Lb0EPKdPdPKlPlN2at6native12_GLOBAL__N_18offset_tEEE10hipError_tPvRmT1_PNSt15iterator_traitsISK_E10value_typeET2_T3_PNSL_ISQ_E10value_typeET4_jRbjT5_SW_jjP12ihipStream_tbEUlT_E_NS1_11comp_targetILNS1_3genE0ELNS1_11target_archE4294967295ELNS1_3gpuE0ELNS1_3repE0EEENS1_30default_config_static_selectorELNS0_4arch9wavefront6targetE1EEEvSK_.uses_vcc, 0
	.set _ZN7rocprim17ROCPRIM_400000_NS6detail17trampoline_kernelINS0_14default_configENS1_36segmented_radix_sort_config_selectorIdlEEZNS1_25segmented_radix_sort_implIS3_Lb0EPKdPdPKlPlN2at6native12_GLOBAL__N_18offset_tEEE10hipError_tPvRmT1_PNSt15iterator_traitsISK_E10value_typeET2_T3_PNSL_ISQ_E10value_typeET4_jRbjT5_SW_jjP12ihipStream_tbEUlT_E_NS1_11comp_targetILNS1_3genE0ELNS1_11target_archE4294967295ELNS1_3gpuE0ELNS1_3repE0EEENS1_30default_config_static_selectorELNS0_4arch9wavefront6targetE1EEEvSK_.uses_flat_scratch, 0
	.set _ZN7rocprim17ROCPRIM_400000_NS6detail17trampoline_kernelINS0_14default_configENS1_36segmented_radix_sort_config_selectorIdlEEZNS1_25segmented_radix_sort_implIS3_Lb0EPKdPdPKlPlN2at6native12_GLOBAL__N_18offset_tEEE10hipError_tPvRmT1_PNSt15iterator_traitsISK_E10value_typeET2_T3_PNSL_ISQ_E10value_typeET4_jRbjT5_SW_jjP12ihipStream_tbEUlT_E_NS1_11comp_targetILNS1_3genE0ELNS1_11target_archE4294967295ELNS1_3gpuE0ELNS1_3repE0EEENS1_30default_config_static_selectorELNS0_4arch9wavefront6targetE1EEEvSK_.has_dyn_sized_stack, 0
	.set _ZN7rocprim17ROCPRIM_400000_NS6detail17trampoline_kernelINS0_14default_configENS1_36segmented_radix_sort_config_selectorIdlEEZNS1_25segmented_radix_sort_implIS3_Lb0EPKdPdPKlPlN2at6native12_GLOBAL__N_18offset_tEEE10hipError_tPvRmT1_PNSt15iterator_traitsISK_E10value_typeET2_T3_PNSL_ISQ_E10value_typeET4_jRbjT5_SW_jjP12ihipStream_tbEUlT_E_NS1_11comp_targetILNS1_3genE0ELNS1_11target_archE4294967295ELNS1_3gpuE0ELNS1_3repE0EEENS1_30default_config_static_selectorELNS0_4arch9wavefront6targetE1EEEvSK_.has_recursion, 0
	.set _ZN7rocprim17ROCPRIM_400000_NS6detail17trampoline_kernelINS0_14default_configENS1_36segmented_radix_sort_config_selectorIdlEEZNS1_25segmented_radix_sort_implIS3_Lb0EPKdPdPKlPlN2at6native12_GLOBAL__N_18offset_tEEE10hipError_tPvRmT1_PNSt15iterator_traitsISK_E10value_typeET2_T3_PNSL_ISQ_E10value_typeET4_jRbjT5_SW_jjP12ihipStream_tbEUlT_E_NS1_11comp_targetILNS1_3genE0ELNS1_11target_archE4294967295ELNS1_3gpuE0ELNS1_3repE0EEENS1_30default_config_static_selectorELNS0_4arch9wavefront6targetE1EEEvSK_.has_indirect_call, 0
	.section	.AMDGPU.csdata,"",@progbits
; Kernel info:
; codeLenInByte = 0
; TotalNumSgprs: 4
; NumVgprs: 0
; ScratchSize: 0
; MemoryBound: 0
; FloatMode: 240
; IeeeMode: 1
; LDSByteSize: 0 bytes/workgroup (compile time only)
; SGPRBlocks: 0
; VGPRBlocks: 0
; NumSGPRsForWavesPerEU: 4
; NumVGPRsForWavesPerEU: 1
; Occupancy: 10
; WaveLimiterHint : 0
; COMPUTE_PGM_RSRC2:SCRATCH_EN: 0
; COMPUTE_PGM_RSRC2:USER_SGPR: 6
; COMPUTE_PGM_RSRC2:TRAP_HANDLER: 0
; COMPUTE_PGM_RSRC2:TGID_X_EN: 1
; COMPUTE_PGM_RSRC2:TGID_Y_EN: 0
; COMPUTE_PGM_RSRC2:TGID_Z_EN: 0
; COMPUTE_PGM_RSRC2:TIDIG_COMP_CNT: 0
	.section	.text._ZN7rocprim17ROCPRIM_400000_NS6detail17trampoline_kernelINS0_14default_configENS1_36segmented_radix_sort_config_selectorIdlEEZNS1_25segmented_radix_sort_implIS3_Lb0EPKdPdPKlPlN2at6native12_GLOBAL__N_18offset_tEEE10hipError_tPvRmT1_PNSt15iterator_traitsISK_E10value_typeET2_T3_PNSL_ISQ_E10value_typeET4_jRbjT5_SW_jjP12ihipStream_tbEUlT_E_NS1_11comp_targetILNS1_3genE5ELNS1_11target_archE942ELNS1_3gpuE9ELNS1_3repE0EEENS1_30default_config_static_selectorELNS0_4arch9wavefront6targetE1EEEvSK_,"axG",@progbits,_ZN7rocprim17ROCPRIM_400000_NS6detail17trampoline_kernelINS0_14default_configENS1_36segmented_radix_sort_config_selectorIdlEEZNS1_25segmented_radix_sort_implIS3_Lb0EPKdPdPKlPlN2at6native12_GLOBAL__N_18offset_tEEE10hipError_tPvRmT1_PNSt15iterator_traitsISK_E10value_typeET2_T3_PNSL_ISQ_E10value_typeET4_jRbjT5_SW_jjP12ihipStream_tbEUlT_E_NS1_11comp_targetILNS1_3genE5ELNS1_11target_archE942ELNS1_3gpuE9ELNS1_3repE0EEENS1_30default_config_static_selectorELNS0_4arch9wavefront6targetE1EEEvSK_,comdat
	.globl	_ZN7rocprim17ROCPRIM_400000_NS6detail17trampoline_kernelINS0_14default_configENS1_36segmented_radix_sort_config_selectorIdlEEZNS1_25segmented_radix_sort_implIS3_Lb0EPKdPdPKlPlN2at6native12_GLOBAL__N_18offset_tEEE10hipError_tPvRmT1_PNSt15iterator_traitsISK_E10value_typeET2_T3_PNSL_ISQ_E10value_typeET4_jRbjT5_SW_jjP12ihipStream_tbEUlT_E_NS1_11comp_targetILNS1_3genE5ELNS1_11target_archE942ELNS1_3gpuE9ELNS1_3repE0EEENS1_30default_config_static_selectorELNS0_4arch9wavefront6targetE1EEEvSK_ ; -- Begin function _ZN7rocprim17ROCPRIM_400000_NS6detail17trampoline_kernelINS0_14default_configENS1_36segmented_radix_sort_config_selectorIdlEEZNS1_25segmented_radix_sort_implIS3_Lb0EPKdPdPKlPlN2at6native12_GLOBAL__N_18offset_tEEE10hipError_tPvRmT1_PNSt15iterator_traitsISK_E10value_typeET2_T3_PNSL_ISQ_E10value_typeET4_jRbjT5_SW_jjP12ihipStream_tbEUlT_E_NS1_11comp_targetILNS1_3genE5ELNS1_11target_archE942ELNS1_3gpuE9ELNS1_3repE0EEENS1_30default_config_static_selectorELNS0_4arch9wavefront6targetE1EEEvSK_
	.p2align	8
	.type	_ZN7rocprim17ROCPRIM_400000_NS6detail17trampoline_kernelINS0_14default_configENS1_36segmented_radix_sort_config_selectorIdlEEZNS1_25segmented_radix_sort_implIS3_Lb0EPKdPdPKlPlN2at6native12_GLOBAL__N_18offset_tEEE10hipError_tPvRmT1_PNSt15iterator_traitsISK_E10value_typeET2_T3_PNSL_ISQ_E10value_typeET4_jRbjT5_SW_jjP12ihipStream_tbEUlT_E_NS1_11comp_targetILNS1_3genE5ELNS1_11target_archE942ELNS1_3gpuE9ELNS1_3repE0EEENS1_30default_config_static_selectorELNS0_4arch9wavefront6targetE1EEEvSK_,@function
_ZN7rocprim17ROCPRIM_400000_NS6detail17trampoline_kernelINS0_14default_configENS1_36segmented_radix_sort_config_selectorIdlEEZNS1_25segmented_radix_sort_implIS3_Lb0EPKdPdPKlPlN2at6native12_GLOBAL__N_18offset_tEEE10hipError_tPvRmT1_PNSt15iterator_traitsISK_E10value_typeET2_T3_PNSL_ISQ_E10value_typeET4_jRbjT5_SW_jjP12ihipStream_tbEUlT_E_NS1_11comp_targetILNS1_3genE5ELNS1_11target_archE942ELNS1_3gpuE9ELNS1_3repE0EEENS1_30default_config_static_selectorELNS0_4arch9wavefront6targetE1EEEvSK_: ; @_ZN7rocprim17ROCPRIM_400000_NS6detail17trampoline_kernelINS0_14default_configENS1_36segmented_radix_sort_config_selectorIdlEEZNS1_25segmented_radix_sort_implIS3_Lb0EPKdPdPKlPlN2at6native12_GLOBAL__N_18offset_tEEE10hipError_tPvRmT1_PNSt15iterator_traitsISK_E10value_typeET2_T3_PNSL_ISQ_E10value_typeET4_jRbjT5_SW_jjP12ihipStream_tbEUlT_E_NS1_11comp_targetILNS1_3genE5ELNS1_11target_archE942ELNS1_3gpuE9ELNS1_3repE0EEENS1_30default_config_static_selectorELNS0_4arch9wavefront6targetE1EEEvSK_
; %bb.0:
	.section	.rodata,"a",@progbits
	.p2align	6, 0x0
	.amdhsa_kernel _ZN7rocprim17ROCPRIM_400000_NS6detail17trampoline_kernelINS0_14default_configENS1_36segmented_radix_sort_config_selectorIdlEEZNS1_25segmented_radix_sort_implIS3_Lb0EPKdPdPKlPlN2at6native12_GLOBAL__N_18offset_tEEE10hipError_tPvRmT1_PNSt15iterator_traitsISK_E10value_typeET2_T3_PNSL_ISQ_E10value_typeET4_jRbjT5_SW_jjP12ihipStream_tbEUlT_E_NS1_11comp_targetILNS1_3genE5ELNS1_11target_archE942ELNS1_3gpuE9ELNS1_3repE0EEENS1_30default_config_static_selectorELNS0_4arch9wavefront6targetE1EEEvSK_
		.amdhsa_group_segment_fixed_size 0
		.amdhsa_private_segment_fixed_size 0
		.amdhsa_kernarg_size 96
		.amdhsa_user_sgpr_count 6
		.amdhsa_user_sgpr_private_segment_buffer 1
		.amdhsa_user_sgpr_dispatch_ptr 0
		.amdhsa_user_sgpr_queue_ptr 0
		.amdhsa_user_sgpr_kernarg_segment_ptr 1
		.amdhsa_user_sgpr_dispatch_id 0
		.amdhsa_user_sgpr_flat_scratch_init 0
		.amdhsa_user_sgpr_private_segment_size 0
		.amdhsa_uses_dynamic_stack 0
		.amdhsa_system_sgpr_private_segment_wavefront_offset 0
		.amdhsa_system_sgpr_workgroup_id_x 1
		.amdhsa_system_sgpr_workgroup_id_y 0
		.amdhsa_system_sgpr_workgroup_id_z 0
		.amdhsa_system_sgpr_workgroup_info 0
		.amdhsa_system_vgpr_workitem_id 0
		.amdhsa_next_free_vgpr 1
		.amdhsa_next_free_sgpr 0
		.amdhsa_reserve_vcc 0
		.amdhsa_reserve_flat_scratch 0
		.amdhsa_float_round_mode_32 0
		.amdhsa_float_round_mode_16_64 0
		.amdhsa_float_denorm_mode_32 3
		.amdhsa_float_denorm_mode_16_64 3
		.amdhsa_dx10_clamp 1
		.amdhsa_ieee_mode 1
		.amdhsa_fp16_overflow 0
		.amdhsa_exception_fp_ieee_invalid_op 0
		.amdhsa_exception_fp_denorm_src 0
		.amdhsa_exception_fp_ieee_div_zero 0
		.amdhsa_exception_fp_ieee_overflow 0
		.amdhsa_exception_fp_ieee_underflow 0
		.amdhsa_exception_fp_ieee_inexact 0
		.amdhsa_exception_int_div_zero 0
	.end_amdhsa_kernel
	.section	.text._ZN7rocprim17ROCPRIM_400000_NS6detail17trampoline_kernelINS0_14default_configENS1_36segmented_radix_sort_config_selectorIdlEEZNS1_25segmented_radix_sort_implIS3_Lb0EPKdPdPKlPlN2at6native12_GLOBAL__N_18offset_tEEE10hipError_tPvRmT1_PNSt15iterator_traitsISK_E10value_typeET2_T3_PNSL_ISQ_E10value_typeET4_jRbjT5_SW_jjP12ihipStream_tbEUlT_E_NS1_11comp_targetILNS1_3genE5ELNS1_11target_archE942ELNS1_3gpuE9ELNS1_3repE0EEENS1_30default_config_static_selectorELNS0_4arch9wavefront6targetE1EEEvSK_,"axG",@progbits,_ZN7rocprim17ROCPRIM_400000_NS6detail17trampoline_kernelINS0_14default_configENS1_36segmented_radix_sort_config_selectorIdlEEZNS1_25segmented_radix_sort_implIS3_Lb0EPKdPdPKlPlN2at6native12_GLOBAL__N_18offset_tEEE10hipError_tPvRmT1_PNSt15iterator_traitsISK_E10value_typeET2_T3_PNSL_ISQ_E10value_typeET4_jRbjT5_SW_jjP12ihipStream_tbEUlT_E_NS1_11comp_targetILNS1_3genE5ELNS1_11target_archE942ELNS1_3gpuE9ELNS1_3repE0EEENS1_30default_config_static_selectorELNS0_4arch9wavefront6targetE1EEEvSK_,comdat
.Lfunc_end1222:
	.size	_ZN7rocprim17ROCPRIM_400000_NS6detail17trampoline_kernelINS0_14default_configENS1_36segmented_radix_sort_config_selectorIdlEEZNS1_25segmented_radix_sort_implIS3_Lb0EPKdPdPKlPlN2at6native12_GLOBAL__N_18offset_tEEE10hipError_tPvRmT1_PNSt15iterator_traitsISK_E10value_typeET2_T3_PNSL_ISQ_E10value_typeET4_jRbjT5_SW_jjP12ihipStream_tbEUlT_E_NS1_11comp_targetILNS1_3genE5ELNS1_11target_archE942ELNS1_3gpuE9ELNS1_3repE0EEENS1_30default_config_static_selectorELNS0_4arch9wavefront6targetE1EEEvSK_, .Lfunc_end1222-_ZN7rocprim17ROCPRIM_400000_NS6detail17trampoline_kernelINS0_14default_configENS1_36segmented_radix_sort_config_selectorIdlEEZNS1_25segmented_radix_sort_implIS3_Lb0EPKdPdPKlPlN2at6native12_GLOBAL__N_18offset_tEEE10hipError_tPvRmT1_PNSt15iterator_traitsISK_E10value_typeET2_T3_PNSL_ISQ_E10value_typeET4_jRbjT5_SW_jjP12ihipStream_tbEUlT_E_NS1_11comp_targetILNS1_3genE5ELNS1_11target_archE942ELNS1_3gpuE9ELNS1_3repE0EEENS1_30default_config_static_selectorELNS0_4arch9wavefront6targetE1EEEvSK_
                                        ; -- End function
	.set _ZN7rocprim17ROCPRIM_400000_NS6detail17trampoline_kernelINS0_14default_configENS1_36segmented_radix_sort_config_selectorIdlEEZNS1_25segmented_radix_sort_implIS3_Lb0EPKdPdPKlPlN2at6native12_GLOBAL__N_18offset_tEEE10hipError_tPvRmT1_PNSt15iterator_traitsISK_E10value_typeET2_T3_PNSL_ISQ_E10value_typeET4_jRbjT5_SW_jjP12ihipStream_tbEUlT_E_NS1_11comp_targetILNS1_3genE5ELNS1_11target_archE942ELNS1_3gpuE9ELNS1_3repE0EEENS1_30default_config_static_selectorELNS0_4arch9wavefront6targetE1EEEvSK_.num_vgpr, 0
	.set _ZN7rocprim17ROCPRIM_400000_NS6detail17trampoline_kernelINS0_14default_configENS1_36segmented_radix_sort_config_selectorIdlEEZNS1_25segmented_radix_sort_implIS3_Lb0EPKdPdPKlPlN2at6native12_GLOBAL__N_18offset_tEEE10hipError_tPvRmT1_PNSt15iterator_traitsISK_E10value_typeET2_T3_PNSL_ISQ_E10value_typeET4_jRbjT5_SW_jjP12ihipStream_tbEUlT_E_NS1_11comp_targetILNS1_3genE5ELNS1_11target_archE942ELNS1_3gpuE9ELNS1_3repE0EEENS1_30default_config_static_selectorELNS0_4arch9wavefront6targetE1EEEvSK_.num_agpr, 0
	.set _ZN7rocprim17ROCPRIM_400000_NS6detail17trampoline_kernelINS0_14default_configENS1_36segmented_radix_sort_config_selectorIdlEEZNS1_25segmented_radix_sort_implIS3_Lb0EPKdPdPKlPlN2at6native12_GLOBAL__N_18offset_tEEE10hipError_tPvRmT1_PNSt15iterator_traitsISK_E10value_typeET2_T3_PNSL_ISQ_E10value_typeET4_jRbjT5_SW_jjP12ihipStream_tbEUlT_E_NS1_11comp_targetILNS1_3genE5ELNS1_11target_archE942ELNS1_3gpuE9ELNS1_3repE0EEENS1_30default_config_static_selectorELNS0_4arch9wavefront6targetE1EEEvSK_.numbered_sgpr, 0
	.set _ZN7rocprim17ROCPRIM_400000_NS6detail17trampoline_kernelINS0_14default_configENS1_36segmented_radix_sort_config_selectorIdlEEZNS1_25segmented_radix_sort_implIS3_Lb0EPKdPdPKlPlN2at6native12_GLOBAL__N_18offset_tEEE10hipError_tPvRmT1_PNSt15iterator_traitsISK_E10value_typeET2_T3_PNSL_ISQ_E10value_typeET4_jRbjT5_SW_jjP12ihipStream_tbEUlT_E_NS1_11comp_targetILNS1_3genE5ELNS1_11target_archE942ELNS1_3gpuE9ELNS1_3repE0EEENS1_30default_config_static_selectorELNS0_4arch9wavefront6targetE1EEEvSK_.num_named_barrier, 0
	.set _ZN7rocprim17ROCPRIM_400000_NS6detail17trampoline_kernelINS0_14default_configENS1_36segmented_radix_sort_config_selectorIdlEEZNS1_25segmented_radix_sort_implIS3_Lb0EPKdPdPKlPlN2at6native12_GLOBAL__N_18offset_tEEE10hipError_tPvRmT1_PNSt15iterator_traitsISK_E10value_typeET2_T3_PNSL_ISQ_E10value_typeET4_jRbjT5_SW_jjP12ihipStream_tbEUlT_E_NS1_11comp_targetILNS1_3genE5ELNS1_11target_archE942ELNS1_3gpuE9ELNS1_3repE0EEENS1_30default_config_static_selectorELNS0_4arch9wavefront6targetE1EEEvSK_.private_seg_size, 0
	.set _ZN7rocprim17ROCPRIM_400000_NS6detail17trampoline_kernelINS0_14default_configENS1_36segmented_radix_sort_config_selectorIdlEEZNS1_25segmented_radix_sort_implIS3_Lb0EPKdPdPKlPlN2at6native12_GLOBAL__N_18offset_tEEE10hipError_tPvRmT1_PNSt15iterator_traitsISK_E10value_typeET2_T3_PNSL_ISQ_E10value_typeET4_jRbjT5_SW_jjP12ihipStream_tbEUlT_E_NS1_11comp_targetILNS1_3genE5ELNS1_11target_archE942ELNS1_3gpuE9ELNS1_3repE0EEENS1_30default_config_static_selectorELNS0_4arch9wavefront6targetE1EEEvSK_.uses_vcc, 0
	.set _ZN7rocprim17ROCPRIM_400000_NS6detail17trampoline_kernelINS0_14default_configENS1_36segmented_radix_sort_config_selectorIdlEEZNS1_25segmented_radix_sort_implIS3_Lb0EPKdPdPKlPlN2at6native12_GLOBAL__N_18offset_tEEE10hipError_tPvRmT1_PNSt15iterator_traitsISK_E10value_typeET2_T3_PNSL_ISQ_E10value_typeET4_jRbjT5_SW_jjP12ihipStream_tbEUlT_E_NS1_11comp_targetILNS1_3genE5ELNS1_11target_archE942ELNS1_3gpuE9ELNS1_3repE0EEENS1_30default_config_static_selectorELNS0_4arch9wavefront6targetE1EEEvSK_.uses_flat_scratch, 0
	.set _ZN7rocprim17ROCPRIM_400000_NS6detail17trampoline_kernelINS0_14default_configENS1_36segmented_radix_sort_config_selectorIdlEEZNS1_25segmented_radix_sort_implIS3_Lb0EPKdPdPKlPlN2at6native12_GLOBAL__N_18offset_tEEE10hipError_tPvRmT1_PNSt15iterator_traitsISK_E10value_typeET2_T3_PNSL_ISQ_E10value_typeET4_jRbjT5_SW_jjP12ihipStream_tbEUlT_E_NS1_11comp_targetILNS1_3genE5ELNS1_11target_archE942ELNS1_3gpuE9ELNS1_3repE0EEENS1_30default_config_static_selectorELNS0_4arch9wavefront6targetE1EEEvSK_.has_dyn_sized_stack, 0
	.set _ZN7rocprim17ROCPRIM_400000_NS6detail17trampoline_kernelINS0_14default_configENS1_36segmented_radix_sort_config_selectorIdlEEZNS1_25segmented_radix_sort_implIS3_Lb0EPKdPdPKlPlN2at6native12_GLOBAL__N_18offset_tEEE10hipError_tPvRmT1_PNSt15iterator_traitsISK_E10value_typeET2_T3_PNSL_ISQ_E10value_typeET4_jRbjT5_SW_jjP12ihipStream_tbEUlT_E_NS1_11comp_targetILNS1_3genE5ELNS1_11target_archE942ELNS1_3gpuE9ELNS1_3repE0EEENS1_30default_config_static_selectorELNS0_4arch9wavefront6targetE1EEEvSK_.has_recursion, 0
	.set _ZN7rocprim17ROCPRIM_400000_NS6detail17trampoline_kernelINS0_14default_configENS1_36segmented_radix_sort_config_selectorIdlEEZNS1_25segmented_radix_sort_implIS3_Lb0EPKdPdPKlPlN2at6native12_GLOBAL__N_18offset_tEEE10hipError_tPvRmT1_PNSt15iterator_traitsISK_E10value_typeET2_T3_PNSL_ISQ_E10value_typeET4_jRbjT5_SW_jjP12ihipStream_tbEUlT_E_NS1_11comp_targetILNS1_3genE5ELNS1_11target_archE942ELNS1_3gpuE9ELNS1_3repE0EEENS1_30default_config_static_selectorELNS0_4arch9wavefront6targetE1EEEvSK_.has_indirect_call, 0
	.section	.AMDGPU.csdata,"",@progbits
; Kernel info:
; codeLenInByte = 0
; TotalNumSgprs: 4
; NumVgprs: 0
; ScratchSize: 0
; MemoryBound: 0
; FloatMode: 240
; IeeeMode: 1
; LDSByteSize: 0 bytes/workgroup (compile time only)
; SGPRBlocks: 0
; VGPRBlocks: 0
; NumSGPRsForWavesPerEU: 4
; NumVGPRsForWavesPerEU: 1
; Occupancy: 10
; WaveLimiterHint : 0
; COMPUTE_PGM_RSRC2:SCRATCH_EN: 0
; COMPUTE_PGM_RSRC2:USER_SGPR: 6
; COMPUTE_PGM_RSRC2:TRAP_HANDLER: 0
; COMPUTE_PGM_RSRC2:TGID_X_EN: 1
; COMPUTE_PGM_RSRC2:TGID_Y_EN: 0
; COMPUTE_PGM_RSRC2:TGID_Z_EN: 0
; COMPUTE_PGM_RSRC2:TIDIG_COMP_CNT: 0
	.section	.text._ZN7rocprim17ROCPRIM_400000_NS6detail17trampoline_kernelINS0_14default_configENS1_36segmented_radix_sort_config_selectorIdlEEZNS1_25segmented_radix_sort_implIS3_Lb0EPKdPdPKlPlN2at6native12_GLOBAL__N_18offset_tEEE10hipError_tPvRmT1_PNSt15iterator_traitsISK_E10value_typeET2_T3_PNSL_ISQ_E10value_typeET4_jRbjT5_SW_jjP12ihipStream_tbEUlT_E_NS1_11comp_targetILNS1_3genE4ELNS1_11target_archE910ELNS1_3gpuE8ELNS1_3repE0EEENS1_30default_config_static_selectorELNS0_4arch9wavefront6targetE1EEEvSK_,"axG",@progbits,_ZN7rocprim17ROCPRIM_400000_NS6detail17trampoline_kernelINS0_14default_configENS1_36segmented_radix_sort_config_selectorIdlEEZNS1_25segmented_radix_sort_implIS3_Lb0EPKdPdPKlPlN2at6native12_GLOBAL__N_18offset_tEEE10hipError_tPvRmT1_PNSt15iterator_traitsISK_E10value_typeET2_T3_PNSL_ISQ_E10value_typeET4_jRbjT5_SW_jjP12ihipStream_tbEUlT_E_NS1_11comp_targetILNS1_3genE4ELNS1_11target_archE910ELNS1_3gpuE8ELNS1_3repE0EEENS1_30default_config_static_selectorELNS0_4arch9wavefront6targetE1EEEvSK_,comdat
	.globl	_ZN7rocprim17ROCPRIM_400000_NS6detail17trampoline_kernelINS0_14default_configENS1_36segmented_radix_sort_config_selectorIdlEEZNS1_25segmented_radix_sort_implIS3_Lb0EPKdPdPKlPlN2at6native12_GLOBAL__N_18offset_tEEE10hipError_tPvRmT1_PNSt15iterator_traitsISK_E10value_typeET2_T3_PNSL_ISQ_E10value_typeET4_jRbjT5_SW_jjP12ihipStream_tbEUlT_E_NS1_11comp_targetILNS1_3genE4ELNS1_11target_archE910ELNS1_3gpuE8ELNS1_3repE0EEENS1_30default_config_static_selectorELNS0_4arch9wavefront6targetE1EEEvSK_ ; -- Begin function _ZN7rocprim17ROCPRIM_400000_NS6detail17trampoline_kernelINS0_14default_configENS1_36segmented_radix_sort_config_selectorIdlEEZNS1_25segmented_radix_sort_implIS3_Lb0EPKdPdPKlPlN2at6native12_GLOBAL__N_18offset_tEEE10hipError_tPvRmT1_PNSt15iterator_traitsISK_E10value_typeET2_T3_PNSL_ISQ_E10value_typeET4_jRbjT5_SW_jjP12ihipStream_tbEUlT_E_NS1_11comp_targetILNS1_3genE4ELNS1_11target_archE910ELNS1_3gpuE8ELNS1_3repE0EEENS1_30default_config_static_selectorELNS0_4arch9wavefront6targetE1EEEvSK_
	.p2align	8
	.type	_ZN7rocprim17ROCPRIM_400000_NS6detail17trampoline_kernelINS0_14default_configENS1_36segmented_radix_sort_config_selectorIdlEEZNS1_25segmented_radix_sort_implIS3_Lb0EPKdPdPKlPlN2at6native12_GLOBAL__N_18offset_tEEE10hipError_tPvRmT1_PNSt15iterator_traitsISK_E10value_typeET2_T3_PNSL_ISQ_E10value_typeET4_jRbjT5_SW_jjP12ihipStream_tbEUlT_E_NS1_11comp_targetILNS1_3genE4ELNS1_11target_archE910ELNS1_3gpuE8ELNS1_3repE0EEENS1_30default_config_static_selectorELNS0_4arch9wavefront6targetE1EEEvSK_,@function
_ZN7rocprim17ROCPRIM_400000_NS6detail17trampoline_kernelINS0_14default_configENS1_36segmented_radix_sort_config_selectorIdlEEZNS1_25segmented_radix_sort_implIS3_Lb0EPKdPdPKlPlN2at6native12_GLOBAL__N_18offset_tEEE10hipError_tPvRmT1_PNSt15iterator_traitsISK_E10value_typeET2_T3_PNSL_ISQ_E10value_typeET4_jRbjT5_SW_jjP12ihipStream_tbEUlT_E_NS1_11comp_targetILNS1_3genE4ELNS1_11target_archE910ELNS1_3gpuE8ELNS1_3repE0EEENS1_30default_config_static_selectorELNS0_4arch9wavefront6targetE1EEEvSK_: ; @_ZN7rocprim17ROCPRIM_400000_NS6detail17trampoline_kernelINS0_14default_configENS1_36segmented_radix_sort_config_selectorIdlEEZNS1_25segmented_radix_sort_implIS3_Lb0EPKdPdPKlPlN2at6native12_GLOBAL__N_18offset_tEEE10hipError_tPvRmT1_PNSt15iterator_traitsISK_E10value_typeET2_T3_PNSL_ISQ_E10value_typeET4_jRbjT5_SW_jjP12ihipStream_tbEUlT_E_NS1_11comp_targetILNS1_3genE4ELNS1_11target_archE910ELNS1_3gpuE8ELNS1_3repE0EEENS1_30default_config_static_selectorELNS0_4arch9wavefront6targetE1EEEvSK_
; %bb.0:
	.section	.rodata,"a",@progbits
	.p2align	6, 0x0
	.amdhsa_kernel _ZN7rocprim17ROCPRIM_400000_NS6detail17trampoline_kernelINS0_14default_configENS1_36segmented_radix_sort_config_selectorIdlEEZNS1_25segmented_radix_sort_implIS3_Lb0EPKdPdPKlPlN2at6native12_GLOBAL__N_18offset_tEEE10hipError_tPvRmT1_PNSt15iterator_traitsISK_E10value_typeET2_T3_PNSL_ISQ_E10value_typeET4_jRbjT5_SW_jjP12ihipStream_tbEUlT_E_NS1_11comp_targetILNS1_3genE4ELNS1_11target_archE910ELNS1_3gpuE8ELNS1_3repE0EEENS1_30default_config_static_selectorELNS0_4arch9wavefront6targetE1EEEvSK_
		.amdhsa_group_segment_fixed_size 0
		.amdhsa_private_segment_fixed_size 0
		.amdhsa_kernarg_size 96
		.amdhsa_user_sgpr_count 6
		.amdhsa_user_sgpr_private_segment_buffer 1
		.amdhsa_user_sgpr_dispatch_ptr 0
		.amdhsa_user_sgpr_queue_ptr 0
		.amdhsa_user_sgpr_kernarg_segment_ptr 1
		.amdhsa_user_sgpr_dispatch_id 0
		.amdhsa_user_sgpr_flat_scratch_init 0
		.amdhsa_user_sgpr_private_segment_size 0
		.amdhsa_uses_dynamic_stack 0
		.amdhsa_system_sgpr_private_segment_wavefront_offset 0
		.amdhsa_system_sgpr_workgroup_id_x 1
		.amdhsa_system_sgpr_workgroup_id_y 0
		.amdhsa_system_sgpr_workgroup_id_z 0
		.amdhsa_system_sgpr_workgroup_info 0
		.amdhsa_system_vgpr_workitem_id 0
		.amdhsa_next_free_vgpr 1
		.amdhsa_next_free_sgpr 0
		.amdhsa_reserve_vcc 0
		.amdhsa_reserve_flat_scratch 0
		.amdhsa_float_round_mode_32 0
		.amdhsa_float_round_mode_16_64 0
		.amdhsa_float_denorm_mode_32 3
		.amdhsa_float_denorm_mode_16_64 3
		.amdhsa_dx10_clamp 1
		.amdhsa_ieee_mode 1
		.amdhsa_fp16_overflow 0
		.amdhsa_exception_fp_ieee_invalid_op 0
		.amdhsa_exception_fp_denorm_src 0
		.amdhsa_exception_fp_ieee_div_zero 0
		.amdhsa_exception_fp_ieee_overflow 0
		.amdhsa_exception_fp_ieee_underflow 0
		.amdhsa_exception_fp_ieee_inexact 0
		.amdhsa_exception_int_div_zero 0
	.end_amdhsa_kernel
	.section	.text._ZN7rocprim17ROCPRIM_400000_NS6detail17trampoline_kernelINS0_14default_configENS1_36segmented_radix_sort_config_selectorIdlEEZNS1_25segmented_radix_sort_implIS3_Lb0EPKdPdPKlPlN2at6native12_GLOBAL__N_18offset_tEEE10hipError_tPvRmT1_PNSt15iterator_traitsISK_E10value_typeET2_T3_PNSL_ISQ_E10value_typeET4_jRbjT5_SW_jjP12ihipStream_tbEUlT_E_NS1_11comp_targetILNS1_3genE4ELNS1_11target_archE910ELNS1_3gpuE8ELNS1_3repE0EEENS1_30default_config_static_selectorELNS0_4arch9wavefront6targetE1EEEvSK_,"axG",@progbits,_ZN7rocprim17ROCPRIM_400000_NS6detail17trampoline_kernelINS0_14default_configENS1_36segmented_radix_sort_config_selectorIdlEEZNS1_25segmented_radix_sort_implIS3_Lb0EPKdPdPKlPlN2at6native12_GLOBAL__N_18offset_tEEE10hipError_tPvRmT1_PNSt15iterator_traitsISK_E10value_typeET2_T3_PNSL_ISQ_E10value_typeET4_jRbjT5_SW_jjP12ihipStream_tbEUlT_E_NS1_11comp_targetILNS1_3genE4ELNS1_11target_archE910ELNS1_3gpuE8ELNS1_3repE0EEENS1_30default_config_static_selectorELNS0_4arch9wavefront6targetE1EEEvSK_,comdat
.Lfunc_end1223:
	.size	_ZN7rocprim17ROCPRIM_400000_NS6detail17trampoline_kernelINS0_14default_configENS1_36segmented_radix_sort_config_selectorIdlEEZNS1_25segmented_radix_sort_implIS3_Lb0EPKdPdPKlPlN2at6native12_GLOBAL__N_18offset_tEEE10hipError_tPvRmT1_PNSt15iterator_traitsISK_E10value_typeET2_T3_PNSL_ISQ_E10value_typeET4_jRbjT5_SW_jjP12ihipStream_tbEUlT_E_NS1_11comp_targetILNS1_3genE4ELNS1_11target_archE910ELNS1_3gpuE8ELNS1_3repE0EEENS1_30default_config_static_selectorELNS0_4arch9wavefront6targetE1EEEvSK_, .Lfunc_end1223-_ZN7rocprim17ROCPRIM_400000_NS6detail17trampoline_kernelINS0_14default_configENS1_36segmented_radix_sort_config_selectorIdlEEZNS1_25segmented_radix_sort_implIS3_Lb0EPKdPdPKlPlN2at6native12_GLOBAL__N_18offset_tEEE10hipError_tPvRmT1_PNSt15iterator_traitsISK_E10value_typeET2_T3_PNSL_ISQ_E10value_typeET4_jRbjT5_SW_jjP12ihipStream_tbEUlT_E_NS1_11comp_targetILNS1_3genE4ELNS1_11target_archE910ELNS1_3gpuE8ELNS1_3repE0EEENS1_30default_config_static_selectorELNS0_4arch9wavefront6targetE1EEEvSK_
                                        ; -- End function
	.set _ZN7rocprim17ROCPRIM_400000_NS6detail17trampoline_kernelINS0_14default_configENS1_36segmented_radix_sort_config_selectorIdlEEZNS1_25segmented_radix_sort_implIS3_Lb0EPKdPdPKlPlN2at6native12_GLOBAL__N_18offset_tEEE10hipError_tPvRmT1_PNSt15iterator_traitsISK_E10value_typeET2_T3_PNSL_ISQ_E10value_typeET4_jRbjT5_SW_jjP12ihipStream_tbEUlT_E_NS1_11comp_targetILNS1_3genE4ELNS1_11target_archE910ELNS1_3gpuE8ELNS1_3repE0EEENS1_30default_config_static_selectorELNS0_4arch9wavefront6targetE1EEEvSK_.num_vgpr, 0
	.set _ZN7rocprim17ROCPRIM_400000_NS6detail17trampoline_kernelINS0_14default_configENS1_36segmented_radix_sort_config_selectorIdlEEZNS1_25segmented_radix_sort_implIS3_Lb0EPKdPdPKlPlN2at6native12_GLOBAL__N_18offset_tEEE10hipError_tPvRmT1_PNSt15iterator_traitsISK_E10value_typeET2_T3_PNSL_ISQ_E10value_typeET4_jRbjT5_SW_jjP12ihipStream_tbEUlT_E_NS1_11comp_targetILNS1_3genE4ELNS1_11target_archE910ELNS1_3gpuE8ELNS1_3repE0EEENS1_30default_config_static_selectorELNS0_4arch9wavefront6targetE1EEEvSK_.num_agpr, 0
	.set _ZN7rocprim17ROCPRIM_400000_NS6detail17trampoline_kernelINS0_14default_configENS1_36segmented_radix_sort_config_selectorIdlEEZNS1_25segmented_radix_sort_implIS3_Lb0EPKdPdPKlPlN2at6native12_GLOBAL__N_18offset_tEEE10hipError_tPvRmT1_PNSt15iterator_traitsISK_E10value_typeET2_T3_PNSL_ISQ_E10value_typeET4_jRbjT5_SW_jjP12ihipStream_tbEUlT_E_NS1_11comp_targetILNS1_3genE4ELNS1_11target_archE910ELNS1_3gpuE8ELNS1_3repE0EEENS1_30default_config_static_selectorELNS0_4arch9wavefront6targetE1EEEvSK_.numbered_sgpr, 0
	.set _ZN7rocprim17ROCPRIM_400000_NS6detail17trampoline_kernelINS0_14default_configENS1_36segmented_radix_sort_config_selectorIdlEEZNS1_25segmented_radix_sort_implIS3_Lb0EPKdPdPKlPlN2at6native12_GLOBAL__N_18offset_tEEE10hipError_tPvRmT1_PNSt15iterator_traitsISK_E10value_typeET2_T3_PNSL_ISQ_E10value_typeET4_jRbjT5_SW_jjP12ihipStream_tbEUlT_E_NS1_11comp_targetILNS1_3genE4ELNS1_11target_archE910ELNS1_3gpuE8ELNS1_3repE0EEENS1_30default_config_static_selectorELNS0_4arch9wavefront6targetE1EEEvSK_.num_named_barrier, 0
	.set _ZN7rocprim17ROCPRIM_400000_NS6detail17trampoline_kernelINS0_14default_configENS1_36segmented_radix_sort_config_selectorIdlEEZNS1_25segmented_radix_sort_implIS3_Lb0EPKdPdPKlPlN2at6native12_GLOBAL__N_18offset_tEEE10hipError_tPvRmT1_PNSt15iterator_traitsISK_E10value_typeET2_T3_PNSL_ISQ_E10value_typeET4_jRbjT5_SW_jjP12ihipStream_tbEUlT_E_NS1_11comp_targetILNS1_3genE4ELNS1_11target_archE910ELNS1_3gpuE8ELNS1_3repE0EEENS1_30default_config_static_selectorELNS0_4arch9wavefront6targetE1EEEvSK_.private_seg_size, 0
	.set _ZN7rocprim17ROCPRIM_400000_NS6detail17trampoline_kernelINS0_14default_configENS1_36segmented_radix_sort_config_selectorIdlEEZNS1_25segmented_radix_sort_implIS3_Lb0EPKdPdPKlPlN2at6native12_GLOBAL__N_18offset_tEEE10hipError_tPvRmT1_PNSt15iterator_traitsISK_E10value_typeET2_T3_PNSL_ISQ_E10value_typeET4_jRbjT5_SW_jjP12ihipStream_tbEUlT_E_NS1_11comp_targetILNS1_3genE4ELNS1_11target_archE910ELNS1_3gpuE8ELNS1_3repE0EEENS1_30default_config_static_selectorELNS0_4arch9wavefront6targetE1EEEvSK_.uses_vcc, 0
	.set _ZN7rocprim17ROCPRIM_400000_NS6detail17trampoline_kernelINS0_14default_configENS1_36segmented_radix_sort_config_selectorIdlEEZNS1_25segmented_radix_sort_implIS3_Lb0EPKdPdPKlPlN2at6native12_GLOBAL__N_18offset_tEEE10hipError_tPvRmT1_PNSt15iterator_traitsISK_E10value_typeET2_T3_PNSL_ISQ_E10value_typeET4_jRbjT5_SW_jjP12ihipStream_tbEUlT_E_NS1_11comp_targetILNS1_3genE4ELNS1_11target_archE910ELNS1_3gpuE8ELNS1_3repE0EEENS1_30default_config_static_selectorELNS0_4arch9wavefront6targetE1EEEvSK_.uses_flat_scratch, 0
	.set _ZN7rocprim17ROCPRIM_400000_NS6detail17trampoline_kernelINS0_14default_configENS1_36segmented_radix_sort_config_selectorIdlEEZNS1_25segmented_radix_sort_implIS3_Lb0EPKdPdPKlPlN2at6native12_GLOBAL__N_18offset_tEEE10hipError_tPvRmT1_PNSt15iterator_traitsISK_E10value_typeET2_T3_PNSL_ISQ_E10value_typeET4_jRbjT5_SW_jjP12ihipStream_tbEUlT_E_NS1_11comp_targetILNS1_3genE4ELNS1_11target_archE910ELNS1_3gpuE8ELNS1_3repE0EEENS1_30default_config_static_selectorELNS0_4arch9wavefront6targetE1EEEvSK_.has_dyn_sized_stack, 0
	.set _ZN7rocprim17ROCPRIM_400000_NS6detail17trampoline_kernelINS0_14default_configENS1_36segmented_radix_sort_config_selectorIdlEEZNS1_25segmented_radix_sort_implIS3_Lb0EPKdPdPKlPlN2at6native12_GLOBAL__N_18offset_tEEE10hipError_tPvRmT1_PNSt15iterator_traitsISK_E10value_typeET2_T3_PNSL_ISQ_E10value_typeET4_jRbjT5_SW_jjP12ihipStream_tbEUlT_E_NS1_11comp_targetILNS1_3genE4ELNS1_11target_archE910ELNS1_3gpuE8ELNS1_3repE0EEENS1_30default_config_static_selectorELNS0_4arch9wavefront6targetE1EEEvSK_.has_recursion, 0
	.set _ZN7rocprim17ROCPRIM_400000_NS6detail17trampoline_kernelINS0_14default_configENS1_36segmented_radix_sort_config_selectorIdlEEZNS1_25segmented_radix_sort_implIS3_Lb0EPKdPdPKlPlN2at6native12_GLOBAL__N_18offset_tEEE10hipError_tPvRmT1_PNSt15iterator_traitsISK_E10value_typeET2_T3_PNSL_ISQ_E10value_typeET4_jRbjT5_SW_jjP12ihipStream_tbEUlT_E_NS1_11comp_targetILNS1_3genE4ELNS1_11target_archE910ELNS1_3gpuE8ELNS1_3repE0EEENS1_30default_config_static_selectorELNS0_4arch9wavefront6targetE1EEEvSK_.has_indirect_call, 0
	.section	.AMDGPU.csdata,"",@progbits
; Kernel info:
; codeLenInByte = 0
; TotalNumSgprs: 4
; NumVgprs: 0
; ScratchSize: 0
; MemoryBound: 0
; FloatMode: 240
; IeeeMode: 1
; LDSByteSize: 0 bytes/workgroup (compile time only)
; SGPRBlocks: 0
; VGPRBlocks: 0
; NumSGPRsForWavesPerEU: 4
; NumVGPRsForWavesPerEU: 1
; Occupancy: 10
; WaveLimiterHint : 0
; COMPUTE_PGM_RSRC2:SCRATCH_EN: 0
; COMPUTE_PGM_RSRC2:USER_SGPR: 6
; COMPUTE_PGM_RSRC2:TRAP_HANDLER: 0
; COMPUTE_PGM_RSRC2:TGID_X_EN: 1
; COMPUTE_PGM_RSRC2:TGID_Y_EN: 0
; COMPUTE_PGM_RSRC2:TGID_Z_EN: 0
; COMPUTE_PGM_RSRC2:TIDIG_COMP_CNT: 0
	.section	.text._ZN7rocprim17ROCPRIM_400000_NS6detail17trampoline_kernelINS0_14default_configENS1_36segmented_radix_sort_config_selectorIdlEEZNS1_25segmented_radix_sort_implIS3_Lb0EPKdPdPKlPlN2at6native12_GLOBAL__N_18offset_tEEE10hipError_tPvRmT1_PNSt15iterator_traitsISK_E10value_typeET2_T3_PNSL_ISQ_E10value_typeET4_jRbjT5_SW_jjP12ihipStream_tbEUlT_E_NS1_11comp_targetILNS1_3genE3ELNS1_11target_archE908ELNS1_3gpuE7ELNS1_3repE0EEENS1_30default_config_static_selectorELNS0_4arch9wavefront6targetE1EEEvSK_,"axG",@progbits,_ZN7rocprim17ROCPRIM_400000_NS6detail17trampoline_kernelINS0_14default_configENS1_36segmented_radix_sort_config_selectorIdlEEZNS1_25segmented_radix_sort_implIS3_Lb0EPKdPdPKlPlN2at6native12_GLOBAL__N_18offset_tEEE10hipError_tPvRmT1_PNSt15iterator_traitsISK_E10value_typeET2_T3_PNSL_ISQ_E10value_typeET4_jRbjT5_SW_jjP12ihipStream_tbEUlT_E_NS1_11comp_targetILNS1_3genE3ELNS1_11target_archE908ELNS1_3gpuE7ELNS1_3repE0EEENS1_30default_config_static_selectorELNS0_4arch9wavefront6targetE1EEEvSK_,comdat
	.globl	_ZN7rocprim17ROCPRIM_400000_NS6detail17trampoline_kernelINS0_14default_configENS1_36segmented_radix_sort_config_selectorIdlEEZNS1_25segmented_radix_sort_implIS3_Lb0EPKdPdPKlPlN2at6native12_GLOBAL__N_18offset_tEEE10hipError_tPvRmT1_PNSt15iterator_traitsISK_E10value_typeET2_T3_PNSL_ISQ_E10value_typeET4_jRbjT5_SW_jjP12ihipStream_tbEUlT_E_NS1_11comp_targetILNS1_3genE3ELNS1_11target_archE908ELNS1_3gpuE7ELNS1_3repE0EEENS1_30default_config_static_selectorELNS0_4arch9wavefront6targetE1EEEvSK_ ; -- Begin function _ZN7rocprim17ROCPRIM_400000_NS6detail17trampoline_kernelINS0_14default_configENS1_36segmented_radix_sort_config_selectorIdlEEZNS1_25segmented_radix_sort_implIS3_Lb0EPKdPdPKlPlN2at6native12_GLOBAL__N_18offset_tEEE10hipError_tPvRmT1_PNSt15iterator_traitsISK_E10value_typeET2_T3_PNSL_ISQ_E10value_typeET4_jRbjT5_SW_jjP12ihipStream_tbEUlT_E_NS1_11comp_targetILNS1_3genE3ELNS1_11target_archE908ELNS1_3gpuE7ELNS1_3repE0EEENS1_30default_config_static_selectorELNS0_4arch9wavefront6targetE1EEEvSK_
	.p2align	8
	.type	_ZN7rocprim17ROCPRIM_400000_NS6detail17trampoline_kernelINS0_14default_configENS1_36segmented_radix_sort_config_selectorIdlEEZNS1_25segmented_radix_sort_implIS3_Lb0EPKdPdPKlPlN2at6native12_GLOBAL__N_18offset_tEEE10hipError_tPvRmT1_PNSt15iterator_traitsISK_E10value_typeET2_T3_PNSL_ISQ_E10value_typeET4_jRbjT5_SW_jjP12ihipStream_tbEUlT_E_NS1_11comp_targetILNS1_3genE3ELNS1_11target_archE908ELNS1_3gpuE7ELNS1_3repE0EEENS1_30default_config_static_selectorELNS0_4arch9wavefront6targetE1EEEvSK_,@function
_ZN7rocprim17ROCPRIM_400000_NS6detail17trampoline_kernelINS0_14default_configENS1_36segmented_radix_sort_config_selectorIdlEEZNS1_25segmented_radix_sort_implIS3_Lb0EPKdPdPKlPlN2at6native12_GLOBAL__N_18offset_tEEE10hipError_tPvRmT1_PNSt15iterator_traitsISK_E10value_typeET2_T3_PNSL_ISQ_E10value_typeET4_jRbjT5_SW_jjP12ihipStream_tbEUlT_E_NS1_11comp_targetILNS1_3genE3ELNS1_11target_archE908ELNS1_3gpuE7ELNS1_3repE0EEENS1_30default_config_static_selectorELNS0_4arch9wavefront6targetE1EEEvSK_: ; @_ZN7rocprim17ROCPRIM_400000_NS6detail17trampoline_kernelINS0_14default_configENS1_36segmented_radix_sort_config_selectorIdlEEZNS1_25segmented_radix_sort_implIS3_Lb0EPKdPdPKlPlN2at6native12_GLOBAL__N_18offset_tEEE10hipError_tPvRmT1_PNSt15iterator_traitsISK_E10value_typeET2_T3_PNSL_ISQ_E10value_typeET4_jRbjT5_SW_jjP12ihipStream_tbEUlT_E_NS1_11comp_targetILNS1_3genE3ELNS1_11target_archE908ELNS1_3gpuE7ELNS1_3repE0EEENS1_30default_config_static_selectorELNS0_4arch9wavefront6targetE1EEEvSK_
; %bb.0:
	.section	.rodata,"a",@progbits
	.p2align	6, 0x0
	.amdhsa_kernel _ZN7rocprim17ROCPRIM_400000_NS6detail17trampoline_kernelINS0_14default_configENS1_36segmented_radix_sort_config_selectorIdlEEZNS1_25segmented_radix_sort_implIS3_Lb0EPKdPdPKlPlN2at6native12_GLOBAL__N_18offset_tEEE10hipError_tPvRmT1_PNSt15iterator_traitsISK_E10value_typeET2_T3_PNSL_ISQ_E10value_typeET4_jRbjT5_SW_jjP12ihipStream_tbEUlT_E_NS1_11comp_targetILNS1_3genE3ELNS1_11target_archE908ELNS1_3gpuE7ELNS1_3repE0EEENS1_30default_config_static_selectorELNS0_4arch9wavefront6targetE1EEEvSK_
		.amdhsa_group_segment_fixed_size 0
		.amdhsa_private_segment_fixed_size 0
		.amdhsa_kernarg_size 96
		.amdhsa_user_sgpr_count 6
		.amdhsa_user_sgpr_private_segment_buffer 1
		.amdhsa_user_sgpr_dispatch_ptr 0
		.amdhsa_user_sgpr_queue_ptr 0
		.amdhsa_user_sgpr_kernarg_segment_ptr 1
		.amdhsa_user_sgpr_dispatch_id 0
		.amdhsa_user_sgpr_flat_scratch_init 0
		.amdhsa_user_sgpr_private_segment_size 0
		.amdhsa_uses_dynamic_stack 0
		.amdhsa_system_sgpr_private_segment_wavefront_offset 0
		.amdhsa_system_sgpr_workgroup_id_x 1
		.amdhsa_system_sgpr_workgroup_id_y 0
		.amdhsa_system_sgpr_workgroup_id_z 0
		.amdhsa_system_sgpr_workgroup_info 0
		.amdhsa_system_vgpr_workitem_id 0
		.amdhsa_next_free_vgpr 1
		.amdhsa_next_free_sgpr 0
		.amdhsa_reserve_vcc 0
		.amdhsa_reserve_flat_scratch 0
		.amdhsa_float_round_mode_32 0
		.amdhsa_float_round_mode_16_64 0
		.amdhsa_float_denorm_mode_32 3
		.amdhsa_float_denorm_mode_16_64 3
		.amdhsa_dx10_clamp 1
		.amdhsa_ieee_mode 1
		.amdhsa_fp16_overflow 0
		.amdhsa_exception_fp_ieee_invalid_op 0
		.amdhsa_exception_fp_denorm_src 0
		.amdhsa_exception_fp_ieee_div_zero 0
		.amdhsa_exception_fp_ieee_overflow 0
		.amdhsa_exception_fp_ieee_underflow 0
		.amdhsa_exception_fp_ieee_inexact 0
		.amdhsa_exception_int_div_zero 0
	.end_amdhsa_kernel
	.section	.text._ZN7rocprim17ROCPRIM_400000_NS6detail17trampoline_kernelINS0_14default_configENS1_36segmented_radix_sort_config_selectorIdlEEZNS1_25segmented_radix_sort_implIS3_Lb0EPKdPdPKlPlN2at6native12_GLOBAL__N_18offset_tEEE10hipError_tPvRmT1_PNSt15iterator_traitsISK_E10value_typeET2_T3_PNSL_ISQ_E10value_typeET4_jRbjT5_SW_jjP12ihipStream_tbEUlT_E_NS1_11comp_targetILNS1_3genE3ELNS1_11target_archE908ELNS1_3gpuE7ELNS1_3repE0EEENS1_30default_config_static_selectorELNS0_4arch9wavefront6targetE1EEEvSK_,"axG",@progbits,_ZN7rocprim17ROCPRIM_400000_NS6detail17trampoline_kernelINS0_14default_configENS1_36segmented_radix_sort_config_selectorIdlEEZNS1_25segmented_radix_sort_implIS3_Lb0EPKdPdPKlPlN2at6native12_GLOBAL__N_18offset_tEEE10hipError_tPvRmT1_PNSt15iterator_traitsISK_E10value_typeET2_T3_PNSL_ISQ_E10value_typeET4_jRbjT5_SW_jjP12ihipStream_tbEUlT_E_NS1_11comp_targetILNS1_3genE3ELNS1_11target_archE908ELNS1_3gpuE7ELNS1_3repE0EEENS1_30default_config_static_selectorELNS0_4arch9wavefront6targetE1EEEvSK_,comdat
.Lfunc_end1224:
	.size	_ZN7rocprim17ROCPRIM_400000_NS6detail17trampoline_kernelINS0_14default_configENS1_36segmented_radix_sort_config_selectorIdlEEZNS1_25segmented_radix_sort_implIS3_Lb0EPKdPdPKlPlN2at6native12_GLOBAL__N_18offset_tEEE10hipError_tPvRmT1_PNSt15iterator_traitsISK_E10value_typeET2_T3_PNSL_ISQ_E10value_typeET4_jRbjT5_SW_jjP12ihipStream_tbEUlT_E_NS1_11comp_targetILNS1_3genE3ELNS1_11target_archE908ELNS1_3gpuE7ELNS1_3repE0EEENS1_30default_config_static_selectorELNS0_4arch9wavefront6targetE1EEEvSK_, .Lfunc_end1224-_ZN7rocprim17ROCPRIM_400000_NS6detail17trampoline_kernelINS0_14default_configENS1_36segmented_radix_sort_config_selectorIdlEEZNS1_25segmented_radix_sort_implIS3_Lb0EPKdPdPKlPlN2at6native12_GLOBAL__N_18offset_tEEE10hipError_tPvRmT1_PNSt15iterator_traitsISK_E10value_typeET2_T3_PNSL_ISQ_E10value_typeET4_jRbjT5_SW_jjP12ihipStream_tbEUlT_E_NS1_11comp_targetILNS1_3genE3ELNS1_11target_archE908ELNS1_3gpuE7ELNS1_3repE0EEENS1_30default_config_static_selectorELNS0_4arch9wavefront6targetE1EEEvSK_
                                        ; -- End function
	.set _ZN7rocprim17ROCPRIM_400000_NS6detail17trampoline_kernelINS0_14default_configENS1_36segmented_radix_sort_config_selectorIdlEEZNS1_25segmented_radix_sort_implIS3_Lb0EPKdPdPKlPlN2at6native12_GLOBAL__N_18offset_tEEE10hipError_tPvRmT1_PNSt15iterator_traitsISK_E10value_typeET2_T3_PNSL_ISQ_E10value_typeET4_jRbjT5_SW_jjP12ihipStream_tbEUlT_E_NS1_11comp_targetILNS1_3genE3ELNS1_11target_archE908ELNS1_3gpuE7ELNS1_3repE0EEENS1_30default_config_static_selectorELNS0_4arch9wavefront6targetE1EEEvSK_.num_vgpr, 0
	.set _ZN7rocprim17ROCPRIM_400000_NS6detail17trampoline_kernelINS0_14default_configENS1_36segmented_radix_sort_config_selectorIdlEEZNS1_25segmented_radix_sort_implIS3_Lb0EPKdPdPKlPlN2at6native12_GLOBAL__N_18offset_tEEE10hipError_tPvRmT1_PNSt15iterator_traitsISK_E10value_typeET2_T3_PNSL_ISQ_E10value_typeET4_jRbjT5_SW_jjP12ihipStream_tbEUlT_E_NS1_11comp_targetILNS1_3genE3ELNS1_11target_archE908ELNS1_3gpuE7ELNS1_3repE0EEENS1_30default_config_static_selectorELNS0_4arch9wavefront6targetE1EEEvSK_.num_agpr, 0
	.set _ZN7rocprim17ROCPRIM_400000_NS6detail17trampoline_kernelINS0_14default_configENS1_36segmented_radix_sort_config_selectorIdlEEZNS1_25segmented_radix_sort_implIS3_Lb0EPKdPdPKlPlN2at6native12_GLOBAL__N_18offset_tEEE10hipError_tPvRmT1_PNSt15iterator_traitsISK_E10value_typeET2_T3_PNSL_ISQ_E10value_typeET4_jRbjT5_SW_jjP12ihipStream_tbEUlT_E_NS1_11comp_targetILNS1_3genE3ELNS1_11target_archE908ELNS1_3gpuE7ELNS1_3repE0EEENS1_30default_config_static_selectorELNS0_4arch9wavefront6targetE1EEEvSK_.numbered_sgpr, 0
	.set _ZN7rocprim17ROCPRIM_400000_NS6detail17trampoline_kernelINS0_14default_configENS1_36segmented_radix_sort_config_selectorIdlEEZNS1_25segmented_radix_sort_implIS3_Lb0EPKdPdPKlPlN2at6native12_GLOBAL__N_18offset_tEEE10hipError_tPvRmT1_PNSt15iterator_traitsISK_E10value_typeET2_T3_PNSL_ISQ_E10value_typeET4_jRbjT5_SW_jjP12ihipStream_tbEUlT_E_NS1_11comp_targetILNS1_3genE3ELNS1_11target_archE908ELNS1_3gpuE7ELNS1_3repE0EEENS1_30default_config_static_selectorELNS0_4arch9wavefront6targetE1EEEvSK_.num_named_barrier, 0
	.set _ZN7rocprim17ROCPRIM_400000_NS6detail17trampoline_kernelINS0_14default_configENS1_36segmented_radix_sort_config_selectorIdlEEZNS1_25segmented_radix_sort_implIS3_Lb0EPKdPdPKlPlN2at6native12_GLOBAL__N_18offset_tEEE10hipError_tPvRmT1_PNSt15iterator_traitsISK_E10value_typeET2_T3_PNSL_ISQ_E10value_typeET4_jRbjT5_SW_jjP12ihipStream_tbEUlT_E_NS1_11comp_targetILNS1_3genE3ELNS1_11target_archE908ELNS1_3gpuE7ELNS1_3repE0EEENS1_30default_config_static_selectorELNS0_4arch9wavefront6targetE1EEEvSK_.private_seg_size, 0
	.set _ZN7rocprim17ROCPRIM_400000_NS6detail17trampoline_kernelINS0_14default_configENS1_36segmented_radix_sort_config_selectorIdlEEZNS1_25segmented_radix_sort_implIS3_Lb0EPKdPdPKlPlN2at6native12_GLOBAL__N_18offset_tEEE10hipError_tPvRmT1_PNSt15iterator_traitsISK_E10value_typeET2_T3_PNSL_ISQ_E10value_typeET4_jRbjT5_SW_jjP12ihipStream_tbEUlT_E_NS1_11comp_targetILNS1_3genE3ELNS1_11target_archE908ELNS1_3gpuE7ELNS1_3repE0EEENS1_30default_config_static_selectorELNS0_4arch9wavefront6targetE1EEEvSK_.uses_vcc, 0
	.set _ZN7rocprim17ROCPRIM_400000_NS6detail17trampoline_kernelINS0_14default_configENS1_36segmented_radix_sort_config_selectorIdlEEZNS1_25segmented_radix_sort_implIS3_Lb0EPKdPdPKlPlN2at6native12_GLOBAL__N_18offset_tEEE10hipError_tPvRmT1_PNSt15iterator_traitsISK_E10value_typeET2_T3_PNSL_ISQ_E10value_typeET4_jRbjT5_SW_jjP12ihipStream_tbEUlT_E_NS1_11comp_targetILNS1_3genE3ELNS1_11target_archE908ELNS1_3gpuE7ELNS1_3repE0EEENS1_30default_config_static_selectorELNS0_4arch9wavefront6targetE1EEEvSK_.uses_flat_scratch, 0
	.set _ZN7rocprim17ROCPRIM_400000_NS6detail17trampoline_kernelINS0_14default_configENS1_36segmented_radix_sort_config_selectorIdlEEZNS1_25segmented_radix_sort_implIS3_Lb0EPKdPdPKlPlN2at6native12_GLOBAL__N_18offset_tEEE10hipError_tPvRmT1_PNSt15iterator_traitsISK_E10value_typeET2_T3_PNSL_ISQ_E10value_typeET4_jRbjT5_SW_jjP12ihipStream_tbEUlT_E_NS1_11comp_targetILNS1_3genE3ELNS1_11target_archE908ELNS1_3gpuE7ELNS1_3repE0EEENS1_30default_config_static_selectorELNS0_4arch9wavefront6targetE1EEEvSK_.has_dyn_sized_stack, 0
	.set _ZN7rocprim17ROCPRIM_400000_NS6detail17trampoline_kernelINS0_14default_configENS1_36segmented_radix_sort_config_selectorIdlEEZNS1_25segmented_radix_sort_implIS3_Lb0EPKdPdPKlPlN2at6native12_GLOBAL__N_18offset_tEEE10hipError_tPvRmT1_PNSt15iterator_traitsISK_E10value_typeET2_T3_PNSL_ISQ_E10value_typeET4_jRbjT5_SW_jjP12ihipStream_tbEUlT_E_NS1_11comp_targetILNS1_3genE3ELNS1_11target_archE908ELNS1_3gpuE7ELNS1_3repE0EEENS1_30default_config_static_selectorELNS0_4arch9wavefront6targetE1EEEvSK_.has_recursion, 0
	.set _ZN7rocprim17ROCPRIM_400000_NS6detail17trampoline_kernelINS0_14default_configENS1_36segmented_radix_sort_config_selectorIdlEEZNS1_25segmented_radix_sort_implIS3_Lb0EPKdPdPKlPlN2at6native12_GLOBAL__N_18offset_tEEE10hipError_tPvRmT1_PNSt15iterator_traitsISK_E10value_typeET2_T3_PNSL_ISQ_E10value_typeET4_jRbjT5_SW_jjP12ihipStream_tbEUlT_E_NS1_11comp_targetILNS1_3genE3ELNS1_11target_archE908ELNS1_3gpuE7ELNS1_3repE0EEENS1_30default_config_static_selectorELNS0_4arch9wavefront6targetE1EEEvSK_.has_indirect_call, 0
	.section	.AMDGPU.csdata,"",@progbits
; Kernel info:
; codeLenInByte = 0
; TotalNumSgprs: 4
; NumVgprs: 0
; ScratchSize: 0
; MemoryBound: 0
; FloatMode: 240
; IeeeMode: 1
; LDSByteSize: 0 bytes/workgroup (compile time only)
; SGPRBlocks: 0
; VGPRBlocks: 0
; NumSGPRsForWavesPerEU: 4
; NumVGPRsForWavesPerEU: 1
; Occupancy: 10
; WaveLimiterHint : 0
; COMPUTE_PGM_RSRC2:SCRATCH_EN: 0
; COMPUTE_PGM_RSRC2:USER_SGPR: 6
; COMPUTE_PGM_RSRC2:TRAP_HANDLER: 0
; COMPUTE_PGM_RSRC2:TGID_X_EN: 1
; COMPUTE_PGM_RSRC2:TGID_Y_EN: 0
; COMPUTE_PGM_RSRC2:TGID_Z_EN: 0
; COMPUTE_PGM_RSRC2:TIDIG_COMP_CNT: 0
	.text
	.p2align	2                               ; -- Begin function _ZN7rocprim17ROCPRIM_400000_NS6detail40segmented_radix_sort_single_block_helperIdlLj256ELj16ELb0EE4sortIPKdPdPKlPlEEbT_T0_T1_T2_jjjjRNS3_12storage_typeE
	.type	_ZN7rocprim17ROCPRIM_400000_NS6detail40segmented_radix_sort_single_block_helperIdlLj256ELj16ELb0EE4sortIPKdPdPKlPlEEbT_T0_T1_T2_jjjjRNS3_12storage_typeE,@function
_ZN7rocprim17ROCPRIM_400000_NS6detail40segmented_radix_sort_single_block_helperIdlLj256ELj16ELb0EE4sortIPKdPdPKlPlEEbT_T0_T1_T2_jjjjRNS3_12storage_typeE: ; @_ZN7rocprim17ROCPRIM_400000_NS6detail40segmented_radix_sort_single_block_helperIdlLj256ELj16ELb0EE4sortIPKdPdPKlPlEEbT_T0_T1_T2_jjjjRNS3_12storage_typeE
; %bb.0:
	s_waitcnt vmcnt(0) expcnt(0) lgkmcnt(0)
	buffer_store_dword v40, off, s[0:3], s32 offset:156 ; 4-byte Folded Spill
	buffer_store_dword v41, off, s[0:3], s32 offset:152 ; 4-byte Folded Spill
	buffer_store_dword v42, off, s[0:3], s32 offset:148 ; 4-byte Folded Spill
	buffer_store_dword v43, off, s[0:3], s32 offset:144 ; 4-byte Folded Spill
	buffer_store_dword v44, off, s[0:3], s32 offset:140 ; 4-byte Folded Spill
	buffer_store_dword v45, off, s[0:3], s32 offset:136 ; 4-byte Folded Spill
	buffer_store_dword v46, off, s[0:3], s32 offset:132 ; 4-byte Folded Spill
	buffer_store_dword v47, off, s[0:3], s32 offset:128 ; 4-byte Folded Spill
	buffer_store_dword v56, off, s[0:3], s32 offset:124 ; 4-byte Folded Spill
	buffer_store_dword v57, off, s[0:3], s32 offset:120 ; 4-byte Folded Spill
	buffer_store_dword v58, off, s[0:3], s32 offset:116 ; 4-byte Folded Spill
	buffer_store_dword v59, off, s[0:3], s32 offset:112 ; 4-byte Folded Spill
	buffer_store_dword v60, off, s[0:3], s32 offset:108 ; 4-byte Folded Spill
	buffer_store_dword v61, off, s[0:3], s32 offset:104 ; 4-byte Folded Spill
	buffer_store_dword v62, off, s[0:3], s32 offset:100 ; 4-byte Folded Spill
	buffer_store_dword v63, off, s[0:3], s32 offset:96 ; 4-byte Folded Spill
	buffer_store_dword v72, off, s[0:3], s32 offset:92 ; 4-byte Folded Spill
	buffer_store_dword v73, off, s[0:3], s32 offset:88 ; 4-byte Folded Spill
	buffer_store_dword v74, off, s[0:3], s32 offset:84 ; 4-byte Folded Spill
	buffer_store_dword v75, off, s[0:3], s32 offset:80 ; 4-byte Folded Spill
	buffer_store_dword v76, off, s[0:3], s32 offset:76 ; 4-byte Folded Spill
	buffer_store_dword v77, off, s[0:3], s32 offset:72 ; 4-byte Folded Spill
	buffer_store_dword v78, off, s[0:3], s32 offset:68 ; 4-byte Folded Spill
	buffer_store_dword v79, off, s[0:3], s32 offset:64 ; 4-byte Folded Spill
	buffer_store_dword v88, off, s[0:3], s32 offset:60 ; 4-byte Folded Spill
	buffer_store_dword v89, off, s[0:3], s32 offset:56 ; 4-byte Folded Spill
	buffer_store_dword v90, off, s[0:3], s32 offset:52 ; 4-byte Folded Spill
	buffer_store_dword v91, off, s[0:3], s32 offset:48 ; 4-byte Folded Spill
	buffer_store_dword v92, off, s[0:3], s32 offset:44 ; 4-byte Folded Spill
	buffer_store_dword v93, off, s[0:3], s32 offset:40 ; 4-byte Folded Spill
	buffer_store_dword v94, off, s[0:3], s32 offset:36 ; 4-byte Folded Spill
	buffer_store_dword v95, off, s[0:3], s32 offset:32 ; 4-byte Folded Spill
	buffer_store_dword v104, off, s[0:3], s32 offset:28 ; 4-byte Folded Spill
	buffer_store_dword v105, off, s[0:3], s32 offset:24 ; 4-byte Folded Spill
	buffer_store_dword v106, off, s[0:3], s32 offset:20 ; 4-byte Folded Spill
	buffer_store_dword v107, off, s[0:3], s32 offset:16 ; 4-byte Folded Spill
	buffer_store_dword v108, off, s[0:3], s32 offset:12 ; 4-byte Folded Spill
	buffer_store_dword v109, off, s[0:3], s32 offset:8 ; 4-byte Folded Spill
	buffer_store_dword v110, off, s[0:3], s32 offset:4 ; 4-byte Folded Spill
	buffer_store_dword v111, off, s[0:3], s32 ; 4-byte Folded Spill
	v_sub_u32_e32 v246, v9, v8
	s_movk_i32 s4, 0x1001
	v_cmp_gt_u32_e32 vcc, s4, v246
	s_and_saveexec_b64 s[58:59], vcc
	s_cbranch_execz .LBB1225_372
; %bb.1:
	s_movk_i32 s4, 0x800
	v_cmp_lt_u32_e32 vcc, s4, v246
	v_bfe_u32 v20, v31, 10, 10
	v_bfe_u32 v22, v31, 20, 10
	v_mbcnt_lo_u32_b32 v14, -1, 0
	s_and_saveexec_b64 s[4:5], vcc
	s_xor_b64 s[60:61], exec, s[4:5]
	s_cbranch_execz .LBB1225_143
; %bb.2:
	s_load_dwordx2 s[4:5], s[8:9], 0x0
	v_mov_b32_e32 v9, 0
	v_lshlrev_b64 v[112:113], 3, v[8:9]
	v_and_b32_e32 v13, 0x3ff, v31
	v_mbcnt_hi_u32_b32 v64, -1, v14
	s_waitcnt lgkmcnt(0)
	s_cmp_lt_u32 s13, s5
	s_cselect_b32 s5, 14, 20
	s_add_u32 s6, s8, s5
	s_addc_u32 s7, s9, 0
	s_cmp_lt_u32 s12, s4
	s_cselect_b32 s4, 12, 18
	s_add_u32 s4, s8, s4
	global_load_ushort v16, v9, s[6:7]
	s_addc_u32 s5, s9, 0
	global_load_ushort v17, v9, s[4:5]
	v_mov_b32_e32 v14, -1
	v_add_co_u32_e32 v8, vcc, v0, v112
	v_addc_co_u32_e32 v18, vcc, v1, v113, vcc
	v_and_b32_e32 v65, 63, v64
	v_lshlrev_b32_e32 v66, 3, v65
	v_bfrev_b32_e32 v15, -2
	s_waitcnt vmcnt(1)
	v_mad_u32_u24 v0, v22, v16, v20
	v_add_co_u32_e32 v16, vcc, v8, v66
	s_waitcnt vmcnt(0)
	v_mad_u64_u32 v[0:1], s[4:5], v0, v17, v[13:14]
	v_addc_co_u32_e32 v17, vcc, 0, v18, vcc
	v_lshlrev_b32_e32 v1, 4, v0
	v_and_b32_e32 v8, 0xfffffc00, v1
	v_lshlrev_b64 v[52:53], 3, v[8:9]
	v_or_b32_e32 v1, v8, v65
	v_add_co_u32_e32 v54, vcc, v16, v52
	v_mov_b32_e32 v8, v14
	v_cmp_lt_u32_e64 s[4:5], v1, v246
	v_addc_co_u32_e32 v55, vcc, v17, v53, vcc
	v_mov_b32_e32 v9, v15
	s_and_saveexec_b64 s[6:7], s[4:5]
	s_cbranch_execz .LBB1225_4
; %bb.3:
	flat_load_dwordx2 v[8:9], v[54:55]
.LBB1225_4:
	s_or_b64 exec, exec, s[6:7]
	v_or_b32_e32 v16, 64, v1
	v_cmp_lt_u32_e64 s[6:7], v16, v246
	s_and_saveexec_b64 s[10:11], s[6:7]
	s_cbranch_execz .LBB1225_6
; %bb.5:
	flat_load_dwordx2 v[14:15], v[54:55] offset:512
.LBB1225_6:
	s_or_b64 exec, exec, s[10:11]
	v_or_b32_e32 v16, 0x80, v1
	v_bfrev_b32_e32 v17, -2
	v_cmp_lt_u32_e64 s[10:11], v16, v246
	v_mov_b32_e32 v16, -1
	v_mov_b32_e32 v19, v17
	v_mov_b32_e32 v18, v16
	s_and_saveexec_b64 s[14:15], s[10:11]
	s_cbranch_execz .LBB1225_8
; %bb.7:
	flat_load_dwordx2 v[18:19], v[54:55] offset:1024
.LBB1225_8:
	s_or_b64 exec, exec, s[14:15]
	v_or_b32_e32 v20, 0xc0, v1
	v_cmp_lt_u32_e64 s[56:57], v20, v246
	s_and_saveexec_b64 s[14:15], s[56:57]
	s_cbranch_execz .LBB1225_10
; %bb.9:
	flat_load_dwordx2 v[16:17], v[54:55] offset:1536
.LBB1225_10:
	s_or_b64 exec, exec, s[14:15]
	v_or_b32_e32 v20, 0x100, v1
	v_bfrev_b32_e32 v21, -2
	v_cmp_lt_u32_e64 s[14:15], v20, v246
	v_mov_b32_e32 v20, -1
	v_mov_b32_e32 v23, v21
	v_mov_b32_e32 v22, v20
	s_and_saveexec_b64 s[16:17], s[14:15]
	s_cbranch_execz .LBB1225_12
; %bb.11:
	flat_load_dwordx2 v[22:23], v[54:55] offset:2048
.LBB1225_12:
	;; [unrolled: 20-line block ×3, first 2 shown]
	s_or_b64 exec, exec, s[20:21]
	v_or_b32_e32 v28, 0x1c0, v1
	v_cmp_lt_u32_e64 s[20:21], v28, v246
	s_and_saveexec_b64 s[22:23], s[20:21]
	s_cbranch_execz .LBB1225_18
; %bb.17:
	flat_load_dwordx2 v[24:25], v[54:55] offset:3584
.LBB1225_18:
	s_or_b64 exec, exec, s[22:23]
	v_or_b32_e32 v28, 0x200, v1
	v_bfrev_b32_e32 v29, -2
	v_cmp_lt_u32_e64 s[22:23], v28, v246
	v_mov_b32_e32 v28, -1
	v_mov_b32_e32 v31, v29
	v_mov_b32_e32 v30, v28
	s_and_saveexec_b64 s[24:25], s[22:23]
	s_cbranch_execz .LBB1225_20
; %bb.19:
	v_add_co_u32_e32 v30, vcc, 0x1000, v54
	v_addc_co_u32_e32 v31, vcc, 0, v55, vcc
	flat_load_dwordx2 v[30:31], v[30:31]
.LBB1225_20:
	s_or_b64 exec, exec, s[24:25]
	v_or_b32_e32 v32, 0x240, v1
	v_cmp_lt_u32_e64 s[24:25], v32, v246
	s_and_saveexec_b64 s[26:27], s[24:25]
	s_cbranch_execz .LBB1225_22
; %bb.21:
	v_add_co_u32_e32 v28, vcc, 0x1000, v54
	v_addc_co_u32_e32 v29, vcc, 0, v55, vcc
	flat_load_dwordx2 v[28:29], v[28:29] offset:512
.LBB1225_22:
	s_or_b64 exec, exec, s[26:27]
	v_or_b32_e32 v32, 0x280, v1
	v_bfrev_b32_e32 v33, -2
	v_cmp_lt_u32_e64 s[26:27], v32, v246
	v_mov_b32_e32 v32, -1
	v_mov_b32_e32 v35, v33
	v_mov_b32_e32 v34, v32
	s_and_saveexec_b64 s[28:29], s[26:27]
	s_cbranch_execz .LBB1225_24
; %bb.23:
	v_add_co_u32_e32 v34, vcc, 0x1000, v54
	v_addc_co_u32_e32 v35, vcc, 0, v55, vcc
	flat_load_dwordx2 v[34:35], v[34:35] offset:1024
.LBB1225_24:
	s_or_b64 exec, exec, s[28:29]
	v_or_b32_e32 v36, 0x2c0, v1
	v_cmp_lt_u32_e64 s[28:29], v36, v246
	s_and_saveexec_b64 s[40:41], s[28:29]
	s_cbranch_execz .LBB1225_26
; %bb.25:
	v_add_co_u32_e32 v32, vcc, 0x1000, v54
	v_addc_co_u32_e32 v33, vcc, 0, v55, vcc
	flat_load_dwordx2 v[32:33], v[32:33] offset:1536
.LBB1225_26:
	s_or_b64 exec, exec, s[40:41]
	v_or_b32_e32 v36, 0x300, v1
	v_bfrev_b32_e32 v37, -2
	v_cmp_lt_u32_e64 s[40:41], v36, v246
	v_mov_b32_e32 v36, -1
	v_mov_b32_e32 v39, v37
	v_mov_b32_e32 v38, v36
	s_and_saveexec_b64 s[42:43], s[40:41]
	s_cbranch_execz .LBB1225_28
; %bb.27:
	v_add_co_u32_e32 v38, vcc, 0x1000, v54
	v_addc_co_u32_e32 v39, vcc, 0, v55, vcc
	flat_load_dwordx2 v[38:39], v[38:39] offset:2048
.LBB1225_28:
	;; [unrolled: 24-line block ×3, first 2 shown]
	s_or_b64 exec, exec, s[46:47]
	v_or_b32_e32 v1, 0x3c0, v1
	v_cmp_lt_u32_e64 s[46:47], v1, v246
	s_and_saveexec_b64 s[62:63], s[46:47]
	s_cbranch_execz .LBB1225_34
; %bb.33:
	v_add_co_u32_e32 v48, vcc, 0x1000, v54
	v_addc_co_u32_e32 v49, vcc, 0, v55, vcc
	flat_load_dwordx2 v[48:49], v[48:49] offset:3584
.LBB1225_34:
	s_or_b64 exec, exec, s[62:63]
	v_add_co_u32_e32 v1, vcc, v4, v112
	v_addc_co_u32_e32 v4, vcc, v5, v113, vcc
	v_add_co_u32_e32 v1, vcc, v1, v66
	v_addc_co_u32_e32 v5, vcc, 0, v4, vcc
	;; [unrolled: 2-line block ×3, first 2 shown]
                                        ; implicit-def: $vgpr118_vgpr119
	s_and_saveexec_b64 s[62:63], s[4:5]
	s_cbranch_execnz .LBB1225_196
; %bb.35:
	s_or_b64 exec, exec, s[62:63]
                                        ; implicit-def: $vgpr128_vgpr129
	s_and_saveexec_b64 s[4:5], s[6:7]
	s_cbranch_execnz .LBB1225_197
.LBB1225_36:
	s_or_b64 exec, exec, s[4:5]
                                        ; implicit-def: $vgpr130_vgpr131
	s_and_saveexec_b64 s[4:5], s[10:11]
	s_cbranch_execnz .LBB1225_198
.LBB1225_37:
	s_or_b64 exec, exec, s[4:5]
                                        ; implicit-def: $vgpr132_vgpr133
	s_and_saveexec_b64 s[4:5], s[56:57]
	s_cbranch_execnz .LBB1225_199
.LBB1225_38:
	s_or_b64 exec, exec, s[4:5]
                                        ; implicit-def: $vgpr134_vgpr135
	s_and_saveexec_b64 s[4:5], s[14:15]
	s_cbranch_execnz .LBB1225_200
.LBB1225_39:
	s_or_b64 exec, exec, s[4:5]
                                        ; implicit-def: $vgpr144_vgpr145
	s_and_saveexec_b64 s[4:5], s[16:17]
	s_cbranch_execnz .LBB1225_201
.LBB1225_40:
	s_or_b64 exec, exec, s[4:5]
                                        ; implicit-def: $vgpr146_vgpr147
	s_and_saveexec_b64 s[4:5], s[18:19]
	s_cbranch_execnz .LBB1225_202
.LBB1225_41:
	s_or_b64 exec, exec, s[4:5]
                                        ; implicit-def: $vgpr148_vgpr149
	s_and_saveexec_b64 s[4:5], s[20:21]
	s_cbranch_execnz .LBB1225_203
.LBB1225_42:
	s_or_b64 exec, exec, s[4:5]
                                        ; implicit-def: $vgpr150_vgpr151
	s_and_saveexec_b64 s[4:5], s[22:23]
	s_cbranch_execnz .LBB1225_204
.LBB1225_43:
	s_or_b64 exec, exec, s[4:5]
                                        ; implicit-def: $vgpr160_vgpr161
	s_and_saveexec_b64 s[4:5], s[24:25]
	s_cbranch_execnz .LBB1225_205
.LBB1225_44:
	s_or_b64 exec, exec, s[4:5]
                                        ; implicit-def: $vgpr162_vgpr163
	s_and_saveexec_b64 s[4:5], s[26:27]
	s_cbranch_execnz .LBB1225_206
.LBB1225_45:
	s_or_b64 exec, exec, s[4:5]
                                        ; implicit-def: $vgpr164_vgpr165
	s_and_saveexec_b64 s[4:5], s[28:29]
	s_cbranch_execnz .LBB1225_207
.LBB1225_46:
	s_or_b64 exec, exec, s[4:5]
                                        ; implicit-def: $vgpr166_vgpr167
	s_and_saveexec_b64 s[4:5], s[40:41]
	s_cbranch_execnz .LBB1225_208
.LBB1225_47:
	s_or_b64 exec, exec, s[4:5]
                                        ; implicit-def: $vgpr176_vgpr177
	s_and_saveexec_b64 s[4:5], s[42:43]
	s_cbranch_execnz .LBB1225_209
.LBB1225_48:
	s_or_b64 exec, exec, s[4:5]
                                        ; implicit-def: $vgpr182_vgpr183
	s_and_saveexec_b64 s[4:5], s[44:45]
	s_cbranch_execnz .LBB1225_210
.LBB1225_49:
	s_or_b64 exec, exec, s[4:5]
                                        ; implicit-def: $vgpr196_vgpr197
	s_and_saveexec_b64 s[4:5], s[46:47]
	s_cbranch_execz .LBB1225_51
.LBB1225_50:
	v_add_co_u32_e32 v4, vcc, 0x1000, v4
	v_addc_co_u32_e32 v5, vcc, 0, v5, vcc
	flat_load_dwordx2 v[196:197], v[4:5] offset:3584
.LBB1225_51:
	s_or_b64 exec, exec, s[4:5]
	s_waitcnt vmcnt(0) lgkmcnt(0)
	v_cmp_lt_i64_e32 vcc, -1, v[8:9]
	v_bfrev_b32_e32 v1, 1
	v_cndmask_b32_e32 v4, -1, v1, vcc
	v_cmp_lt_i64_e32 vcc, -1, v[14:15]
	v_xor_b32_e32 v179, v4, v9
	v_cndmask_b32_e32 v4, -1, v1, vcc
	v_cmp_lt_i64_e32 vcc, -1, v[18:19]
	v_xor_b32_e32 v181, v4, v15
	;; [unrolled: 3-line block ×7, first 2 shown]
	v_cndmask_b32_e32 v4, -1, v1, vcc
	v_cmp_lt_i64_e32 vcc, -1, v[30:31]
	v_ashrrev_i32_e32 v5, 31, v9
	v_xor_b32_e32 v213, v4, v25
	v_cndmask_b32_e32 v4, -1, v1, vcc
	v_cmp_lt_i64_e32 vcc, -1, v[28:29]
	v_xor_b32_e32 v178, v5, v8
	v_ashrrev_i32_e32 v5, 31, v15
	v_xor_b32_e32 v180, v5, v14
	v_ashrrev_i32_e32 v5, 31, v19
	v_xor_b32_e32 v215, v4, v31
	v_cndmask_b32_e32 v4, -1, v1, vcc
	v_cmp_lt_i64_e32 vcc, -1, v[34:35]
	v_xor_b32_e32 v192, v5, v18
	v_ashrrev_i32_e32 v5, 31, v17
	v_xor_b32_e32 v194, v5, v16
	;; [unrolled: 7-line block ×7, first 2 shown]
	v_ashrrev_i32_e32 v5, 31, v51
	v_xor_b32_e32 v243, v4, v51
	v_cndmask_b32_e32 v4, -1, v1, vcc
	v_xor_b32_e32 v242, v5, v50
	v_ashrrev_i32_e32 v5, 31, v49
	v_xor_b32_e32 v245, v4, v49
	v_lshlrev_b32_e32 v4, 4, v13
	v_xor_b32_e32 v244, v5, v48
	v_add_u32_e32 v5, v12, v4
	s_getpc_b64 s[4:5]
	s_add_u32 s4, s4, _ZN7rocprim17ROCPRIM_400000_NS16block_radix_sortIdLj256ELj16ElLj1ELj1ELj8ELNS0_26block_radix_rank_algorithmE2ELNS0_18block_padding_hintE2ELNS0_4arch9wavefront6targetE1EE19radix_bits_per_passE@rel32@lo+4
	s_addc_u32 s5, s5, _ZN7rocprim17ROCPRIM_400000_NS16block_radix_sortIdLj256ELj16ElLj1ELj1ELj8ELNS0_26block_radix_rank_algorithmE2ELNS0_18block_padding_hintE2ELNS0_4arch9wavefront6targetE1EE19radix_bits_per_passE@rel32@hi+12
	v_add_u32_e32 v247, 16, v5
	v_add_u32_e32 v40, 20, v5
	;; [unrolled: 1-line block ×4, first 2 shown]
	v_and_b32_e32 v5, 15, v64
	s_load_dword s72, s[4:5], 0x0
	v_cmp_eq_u32_e32 vcc, 0, v5
	v_cmp_lt_u32_e64 s[4:5], 1, v5
	v_cmp_lt_u32_e64 s[6:7], 3, v5
	v_cmp_lt_u32_e64 s[10:11], 7, v5
	v_and_b32_e32 v5, 16, v64
	v_cmp_eq_u32_e64 s[42:43], 0, v5
	v_and_b32_e32 v5, 0x3c0, v13
	v_min_u32_e32 v5, 0xc0, v5
	v_or_b32_e32 v5, 63, v5
	v_cmp_eq_u32_e64 s[16:17], v13, v5
	v_subrev_co_u32_e64 v5, s[22:23], 1, v64
	v_and_b32_e32 v8, 64, v64
	v_cmp_lt_i32_e64 s[24:25], v5, v8
	v_cndmask_b32_e64 v5, v5, v64, s[24:25]
	v_lshlrev_b32_e32 v44, 2, v5
	v_lshrrev_b32_e32 v5, 4, v13
	s_movk_i32 s40, 0x3c00
	v_and_b32_e32 v5, 60, v5
	v_and_or_b32 v4, v4, s40, v65
	s_mov_b32 s46, -1
	v_add_u32_e32 v45, v12, v5
	v_and_b32_e32 v8, 3, v64
	v_lshl_add_u32 v56, v4, 3, v12
	s_brev_b32 s47, -2
	v_lshrrev_b32_e32 v43, 6, v0
	v_cmp_lt_u32_e64 s[14:15], 31, v64
	v_cmp_gt_u32_e64 s[18:19], 4, v13
	v_cmp_lt_u32_e64 s[20:21], 63, v13
	v_cmp_eq_u32_e64 s[24:25], 0, v13
	v_mov_b32_e32 v5, 0
	v_lshl_add_u32 v46, v13, 2, v12
	v_cmp_eq_u32_e64 s[26:27], 0, v8
	v_cmp_lt_u32_e64 s[28:29], 1, v8
	v_add_u32_e32 v47, -4, v45
	v_add_u32_e32 v57, 0x200, v56
	v_add_u32_e32 v58, 0x400, v56
	;; [unrolled: 1-line block ×15, first 2 shown]
	v_sub_u32_e32 v88, v11, v10
	s_mov_b64 s[56:57], 0
	s_waitcnt lgkmcnt(0)
	s_barrier
	s_branch .LBB1225_53
.LBB1225_52:                            ;   in Loop: Header=BB1225_53 Depth=1
	s_or_b64 exec, exec, s[44:45]
	s_and_b64 s[40:41], exec, s[62:63]
	s_or_b64 s[56:57], s[40:41], s[56:57]
	s_andn2_b64 exec, exec, s[56:57]
	s_cbranch_execz .LBB1225_93
.LBB1225_53:                            ; =>This Inner Loop Header: Depth=1
	v_mov_b32_e32 v102, v178
	v_mov_b32_e32 v103, v179
	v_cmp_ne_u64_e64 s[40:41], s[46:47], v[102:103]
	v_mov_b32_e32 v116, v118
	v_mov_b32_e32 v117, v119
	v_min_u32_e32 v4, s72, v88
	v_cndmask_b32_e64 v119, v1, v103, s[40:41]
	v_cndmask_b32_e64 v118, 0, v102, s[40:41]
	v_mov_b32_e32 v38, v130
	v_lshlrev_b32_e64 v4, v4, -1
	v_lshrrev_b64 v[118:119], v10, v[118:119]
	v_mov_b32_e32 v114, v128
	v_mov_b32_e32 v39, v131
	v_not_b32_e32 v131, v4
	v_mov_b32_e32 v115, v129
	v_and_b32_e32 v128, v118, v131
	v_lshl_add_u32 v4, v128, 2, v43
	v_lshlrev_b64 v[118:119], 2, v[4:5]
	v_mov_b32_e32 v36, v132
	v_add_co_u32_e64 v4, s[40:41], v12, v118
	v_add_co_u32_e64 v4, s[40:41], 16, v4
	v_and_b32_e32 v118, 1, v128
	v_add_co_u32_e64 v119, s[40:41], -1, v118
	v_addc_co_u32_e64 v129, s[40:41], 0, -1, s[40:41]
	v_cmp_ne_u32_e64 s[40:41], 0, v118
	v_xor_b32_e32 v118, s41, v129
	v_xor_b32_e32 v119, s40, v119
	v_and_b32_e32 v129, exec_hi, v118
	v_and_b32_e32 v130, exec_lo, v119
	v_lshlrev_b32_e32 v119, 30, v128
	v_mov_b32_e32 v118, v5
	v_cmp_gt_i64_e64 s[40:41], 0, v[118:119]
	v_not_b32_e32 v118, v119
	v_ashrrev_i32_e32 v118, 31, v118
	v_xor_b32_e32 v119, s41, v118
	v_xor_b32_e32 v118, s40, v118
	v_and_b32_e32 v129, v129, v119
	v_and_b32_e32 v130, v130, v118
	v_lshlrev_b32_e32 v119, 29, v128
	v_mov_b32_e32 v118, v5
	v_cmp_gt_i64_e64 s[40:41], 0, v[118:119]
	v_not_b32_e32 v118, v119
	v_ashrrev_i32_e32 v118, 31, v118
	v_xor_b32_e32 v119, s41, v118
	v_xor_b32_e32 v118, s40, v118
	v_and_b32_e32 v129, v129, v119
	v_and_b32_e32 v130, v130, v118
	;; [unrolled: 9-line block ×7, first 2 shown]
	v_mbcnt_lo_u32_b32 v128, v118, 0
	v_mbcnt_hi_u32_b32 v128, v119, v128
	v_cmp_ne_u64_e64 s[40:41], 0, v[118:119]
	v_mov_b32_e32 v34, v134
	v_mov_b32_e32 v32, v144
	;; [unrolled: 1-line block ×27, first 2 shown]
	v_cmp_eq_u32_e64 s[44:45], 0, v128
	v_mov_b32_e32 v37, v133
	v_mov_b32_e32 v35, v135
	;; [unrolled: 1-line block ×28, first 2 shown]
	s_and_b64 s[44:45], s[40:41], s[44:45]
	ds_write_b32 v247, v5
	ds_write_b32 v40, v5
	;; [unrolled: 1-line block ×4, first 2 shown]
	s_waitcnt lgkmcnt(0)
	s_barrier
	; wave barrier
	s_and_saveexec_b64 s[40:41], s[44:45]
; %bb.54:                               ;   in Loop: Header=BB1225_53 Depth=1
	v_bcnt_u32_b32 v118, v118, 0
	v_bcnt_u32_b32 v118, v119, v118
	ds_write_b32 v4, v118
; %bb.55:                               ;   in Loop: Header=BB1225_53 Depth=1
	s_or_b64 exec, exec, s[40:41]
	v_cmp_ne_u64_e64 s[40:41], s[46:47], v[100:101]
	v_cndmask_b32_e64 v119, v1, v101, s[40:41]
	v_cndmask_b32_e64 v118, 0, v100, s[40:41]
	v_lshrrev_b64 v[118:119], v10, v[118:119]
	; wave barrier
	v_and_b32_e32 v132, v118, v131
	v_lshl_add_u32 v118, v132, 2, v43
	v_lshl_add_u32 v118, v118, 2, v12
	v_add_u32_e32 v130, 16, v118
	ds_read_b32 v129, v118 offset:16
	v_and_b32_e32 v118, 1, v132
	v_add_co_u32_e64 v119, s[40:41], -1, v118
	v_addc_co_u32_e64 v133, s[40:41], 0, -1, s[40:41]
	v_cmp_ne_u32_e64 s[40:41], 0, v118
	v_xor_b32_e32 v118, s41, v133
	v_xor_b32_e32 v119, s40, v119
	v_and_b32_e32 v133, exec_hi, v118
	v_and_b32_e32 v134, exec_lo, v119
	v_lshlrev_b32_e32 v119, 30, v132
	v_mov_b32_e32 v118, v5
	v_cmp_gt_i64_e64 s[40:41], 0, v[118:119]
	v_not_b32_e32 v118, v119
	v_ashrrev_i32_e32 v118, 31, v118
	v_xor_b32_e32 v119, s41, v118
	v_xor_b32_e32 v118, s40, v118
	v_and_b32_e32 v133, v133, v119
	v_and_b32_e32 v134, v134, v118
	v_lshlrev_b32_e32 v119, 29, v132
	v_mov_b32_e32 v118, v5
	v_cmp_gt_i64_e64 s[40:41], 0, v[118:119]
	v_not_b32_e32 v118, v119
	v_ashrrev_i32_e32 v118, 31, v118
	v_xor_b32_e32 v119, s41, v118
	v_xor_b32_e32 v118, s40, v118
	v_and_b32_e32 v133, v133, v119
	v_and_b32_e32 v134, v134, v118
	;; [unrolled: 9-line block ×7, first 2 shown]
	v_mbcnt_lo_u32_b32 v132, v118, 0
	v_mbcnt_hi_u32_b32 v132, v119, v132
	v_cmp_ne_u64_e64 s[40:41], 0, v[118:119]
	v_cmp_eq_u32_e64 s[44:45], 0, v132
	s_and_b64 s[44:45], s[40:41], s[44:45]
	; wave barrier
	s_and_saveexec_b64 s[40:41], s[44:45]
	s_cbranch_execz .LBB1225_57
; %bb.56:                               ;   in Loop: Header=BB1225_53 Depth=1
	v_bcnt_u32_b32 v118, v118, 0
	v_bcnt_u32_b32 v118, v119, v118
	s_waitcnt lgkmcnt(0)
	v_add_u32_e32 v118, v129, v118
	ds_write_b32 v130, v118
.LBB1225_57:                            ;   in Loop: Header=BB1225_53 Depth=1
	s_or_b64 exec, exec, s[40:41]
	v_cmp_ne_u64_e64 s[40:41], s[46:47], v[98:99]
	v_cndmask_b32_e64 v119, v1, v99, s[40:41]
	v_cndmask_b32_e64 v118, 0, v98, s[40:41]
	v_lshrrev_b64 v[118:119], v10, v[118:119]
	; wave barrier
	v_and_b32_e32 v135, v118, v131
	v_lshl_add_u32 v118, v135, 2, v43
	v_lshl_add_u32 v118, v118, 2, v12
	v_add_u32_e32 v134, 16, v118
	ds_read_b32 v133, v118 offset:16
	v_and_b32_e32 v118, 1, v135
	v_add_co_u32_e64 v119, s[40:41], -1, v118
	v_addc_co_u32_e64 v144, s[40:41], 0, -1, s[40:41]
	v_cmp_ne_u32_e64 s[40:41], 0, v118
	v_xor_b32_e32 v118, s41, v144
	v_xor_b32_e32 v119, s40, v119
	v_and_b32_e32 v144, exec_hi, v118
	v_and_b32_e32 v145, exec_lo, v119
	v_lshlrev_b32_e32 v119, 30, v135
	v_mov_b32_e32 v118, v5
	v_cmp_gt_i64_e64 s[40:41], 0, v[118:119]
	v_not_b32_e32 v118, v119
	v_ashrrev_i32_e32 v118, 31, v118
	v_xor_b32_e32 v119, s41, v118
	v_xor_b32_e32 v118, s40, v118
	v_and_b32_e32 v144, v144, v119
	v_and_b32_e32 v145, v145, v118
	v_lshlrev_b32_e32 v119, 29, v135
	v_mov_b32_e32 v118, v5
	v_cmp_gt_i64_e64 s[40:41], 0, v[118:119]
	v_not_b32_e32 v118, v119
	v_ashrrev_i32_e32 v118, 31, v118
	v_xor_b32_e32 v119, s41, v118
	v_xor_b32_e32 v118, s40, v118
	v_and_b32_e32 v144, v144, v119
	v_and_b32_e32 v145, v145, v118
	;; [unrolled: 9-line block ×7, first 2 shown]
	v_mbcnt_lo_u32_b32 v135, v118, 0
	v_mbcnt_hi_u32_b32 v135, v119, v135
	v_cmp_ne_u64_e64 s[40:41], 0, v[118:119]
	v_cmp_eq_u32_e64 s[44:45], 0, v135
	s_and_b64 s[44:45], s[40:41], s[44:45]
	; wave barrier
	s_and_saveexec_b64 s[40:41], s[44:45]
	s_cbranch_execz .LBB1225_59
; %bb.58:                               ;   in Loop: Header=BB1225_53 Depth=1
	v_bcnt_u32_b32 v118, v118, 0
	v_bcnt_u32_b32 v118, v119, v118
	s_waitcnt lgkmcnt(0)
	v_add_u32_e32 v118, v133, v118
	ds_write_b32 v134, v118
.LBB1225_59:                            ;   in Loop: Header=BB1225_53 Depth=1
	s_or_b64 exec, exec, s[40:41]
	v_cmp_ne_u64_e64 s[40:41], s[46:47], v[96:97]
	v_cndmask_b32_e64 v119, v1, v97, s[40:41]
	v_cndmask_b32_e64 v118, 0, v96, s[40:41]
	v_lshrrev_b64 v[118:119], v10, v[118:119]
	; wave barrier
	v_and_b32_e32 v146, v118, v131
	v_lshl_add_u32 v118, v146, 2, v43
	v_lshl_add_u32 v118, v118, 2, v12
	v_add_u32_e32 v145, 16, v118
	ds_read_b32 v144, v118 offset:16
	v_and_b32_e32 v118, 1, v146
	v_add_co_u32_e64 v119, s[40:41], -1, v118
	v_addc_co_u32_e64 v147, s[40:41], 0, -1, s[40:41]
	v_cmp_ne_u32_e64 s[40:41], 0, v118
	v_xor_b32_e32 v118, s41, v147
	v_xor_b32_e32 v119, s40, v119
	v_and_b32_e32 v147, exec_hi, v118
	v_and_b32_e32 v148, exec_lo, v119
	v_lshlrev_b32_e32 v119, 30, v146
	v_mov_b32_e32 v118, v5
	v_cmp_gt_i64_e64 s[40:41], 0, v[118:119]
	v_not_b32_e32 v118, v119
	v_ashrrev_i32_e32 v118, 31, v118
	v_xor_b32_e32 v119, s41, v118
	v_xor_b32_e32 v118, s40, v118
	v_and_b32_e32 v147, v147, v119
	v_and_b32_e32 v148, v148, v118
	v_lshlrev_b32_e32 v119, 29, v146
	v_mov_b32_e32 v118, v5
	v_cmp_gt_i64_e64 s[40:41], 0, v[118:119]
	v_not_b32_e32 v118, v119
	v_ashrrev_i32_e32 v118, 31, v118
	v_xor_b32_e32 v119, s41, v118
	v_xor_b32_e32 v118, s40, v118
	v_and_b32_e32 v147, v147, v119
	v_and_b32_e32 v148, v148, v118
	;; [unrolled: 9-line block ×7, first 2 shown]
	v_mbcnt_lo_u32_b32 v146, v118, 0
	v_mbcnt_hi_u32_b32 v146, v119, v146
	v_cmp_ne_u64_e64 s[40:41], 0, v[118:119]
	v_cmp_eq_u32_e64 s[44:45], 0, v146
	s_and_b64 s[44:45], s[40:41], s[44:45]
	; wave barrier
	s_and_saveexec_b64 s[40:41], s[44:45]
	s_cbranch_execz .LBB1225_61
; %bb.60:                               ;   in Loop: Header=BB1225_53 Depth=1
	v_bcnt_u32_b32 v118, v118, 0
	v_bcnt_u32_b32 v118, v119, v118
	s_waitcnt lgkmcnt(0)
	v_add_u32_e32 v118, v144, v118
	ds_write_b32 v145, v118
.LBB1225_61:                            ;   in Loop: Header=BB1225_53 Depth=1
	s_or_b64 exec, exec, s[40:41]
	v_cmp_ne_u64_e64 s[40:41], s[46:47], v[86:87]
	v_cndmask_b32_e64 v119, v1, v87, s[40:41]
	v_cndmask_b32_e64 v118, 0, v86, s[40:41]
	v_lshrrev_b64 v[118:119], v10, v[118:119]
	; wave barrier
	v_and_b32_e32 v149, v118, v131
	v_lshl_add_u32 v118, v149, 2, v43
	v_lshl_add_u32 v118, v118, 2, v12
	v_add_u32_e32 v148, 16, v118
	ds_read_b32 v147, v118 offset:16
	v_and_b32_e32 v118, 1, v149
	v_add_co_u32_e64 v119, s[40:41], -1, v118
	v_addc_co_u32_e64 v150, s[40:41], 0, -1, s[40:41]
	v_cmp_ne_u32_e64 s[40:41], 0, v118
	v_xor_b32_e32 v118, s41, v150
	v_xor_b32_e32 v119, s40, v119
	v_and_b32_e32 v150, exec_hi, v118
	v_and_b32_e32 v151, exec_lo, v119
	v_lshlrev_b32_e32 v119, 30, v149
	v_mov_b32_e32 v118, v5
	v_cmp_gt_i64_e64 s[40:41], 0, v[118:119]
	v_not_b32_e32 v118, v119
	v_ashrrev_i32_e32 v118, 31, v118
	v_xor_b32_e32 v119, s41, v118
	v_xor_b32_e32 v118, s40, v118
	v_and_b32_e32 v150, v150, v119
	v_and_b32_e32 v151, v151, v118
	v_lshlrev_b32_e32 v119, 29, v149
	v_mov_b32_e32 v118, v5
	v_cmp_gt_i64_e64 s[40:41], 0, v[118:119]
	v_not_b32_e32 v118, v119
	v_ashrrev_i32_e32 v118, 31, v118
	v_xor_b32_e32 v119, s41, v118
	v_xor_b32_e32 v118, s40, v118
	v_and_b32_e32 v150, v150, v119
	v_and_b32_e32 v151, v151, v118
	;; [unrolled: 9-line block ×7, first 2 shown]
	v_mbcnt_lo_u32_b32 v149, v118, 0
	v_mbcnt_hi_u32_b32 v149, v119, v149
	v_cmp_ne_u64_e64 s[40:41], 0, v[118:119]
	v_cmp_eq_u32_e64 s[44:45], 0, v149
	s_and_b64 s[44:45], s[40:41], s[44:45]
	; wave barrier
	s_and_saveexec_b64 s[40:41], s[44:45]
	s_cbranch_execz .LBB1225_63
; %bb.62:                               ;   in Loop: Header=BB1225_53 Depth=1
	v_bcnt_u32_b32 v118, v118, 0
	v_bcnt_u32_b32 v118, v119, v118
	s_waitcnt lgkmcnt(0)
	v_add_u32_e32 v118, v147, v118
	ds_write_b32 v148, v118
.LBB1225_63:                            ;   in Loop: Header=BB1225_53 Depth=1
	s_or_b64 exec, exec, s[40:41]
	v_cmp_ne_u64_e64 s[40:41], s[46:47], v[84:85]
	v_cndmask_b32_e64 v119, v1, v85, s[40:41]
	v_cndmask_b32_e64 v118, 0, v84, s[40:41]
	v_lshrrev_b64 v[118:119], v10, v[118:119]
	; wave barrier
	v_and_b32_e32 v160, v118, v131
	v_lshl_add_u32 v118, v160, 2, v43
	v_lshl_add_u32 v118, v118, 2, v12
	v_add_u32_e32 v151, 16, v118
	ds_read_b32 v150, v118 offset:16
	v_and_b32_e32 v118, 1, v160
	v_add_co_u32_e64 v119, s[40:41], -1, v118
	v_addc_co_u32_e64 v161, s[40:41], 0, -1, s[40:41]
	v_cmp_ne_u32_e64 s[40:41], 0, v118
	v_xor_b32_e32 v118, s41, v161
	v_xor_b32_e32 v119, s40, v119
	v_and_b32_e32 v161, exec_hi, v118
	v_and_b32_e32 v162, exec_lo, v119
	v_lshlrev_b32_e32 v119, 30, v160
	v_mov_b32_e32 v118, v5
	v_cmp_gt_i64_e64 s[40:41], 0, v[118:119]
	v_not_b32_e32 v118, v119
	v_ashrrev_i32_e32 v118, 31, v118
	v_xor_b32_e32 v119, s41, v118
	v_xor_b32_e32 v118, s40, v118
	v_and_b32_e32 v161, v161, v119
	v_and_b32_e32 v162, v162, v118
	v_lshlrev_b32_e32 v119, 29, v160
	v_mov_b32_e32 v118, v5
	v_cmp_gt_i64_e64 s[40:41], 0, v[118:119]
	v_not_b32_e32 v118, v119
	v_ashrrev_i32_e32 v118, 31, v118
	v_xor_b32_e32 v119, s41, v118
	v_xor_b32_e32 v118, s40, v118
	v_and_b32_e32 v161, v161, v119
	v_and_b32_e32 v162, v162, v118
	;; [unrolled: 9-line block ×7, first 2 shown]
	v_mbcnt_lo_u32_b32 v160, v118, 0
	v_mbcnt_hi_u32_b32 v160, v119, v160
	v_cmp_ne_u64_e64 s[40:41], 0, v[118:119]
	v_cmp_eq_u32_e64 s[44:45], 0, v160
	s_and_b64 s[44:45], s[40:41], s[44:45]
	; wave barrier
	s_and_saveexec_b64 s[40:41], s[44:45]
	s_cbranch_execz .LBB1225_65
; %bb.64:                               ;   in Loop: Header=BB1225_53 Depth=1
	v_bcnt_u32_b32 v118, v118, 0
	v_bcnt_u32_b32 v118, v119, v118
	s_waitcnt lgkmcnt(0)
	v_add_u32_e32 v118, v150, v118
	ds_write_b32 v151, v118
.LBB1225_65:                            ;   in Loop: Header=BB1225_53 Depth=1
	s_or_b64 exec, exec, s[40:41]
	v_cmp_ne_u64_e64 s[40:41], s[46:47], v[82:83]
	v_cndmask_b32_e64 v119, v1, v83, s[40:41]
	v_cndmask_b32_e64 v118, 0, v82, s[40:41]
	v_lshrrev_b64 v[118:119], v10, v[118:119]
	; wave barrier
	v_and_b32_e32 v163, v118, v131
	v_lshl_add_u32 v118, v163, 2, v43
	v_lshl_add_u32 v118, v118, 2, v12
	v_add_u32_e32 v162, 16, v118
	ds_read_b32 v161, v118 offset:16
	v_and_b32_e32 v118, 1, v163
	v_add_co_u32_e64 v119, s[40:41], -1, v118
	v_addc_co_u32_e64 v164, s[40:41], 0, -1, s[40:41]
	v_cmp_ne_u32_e64 s[40:41], 0, v118
	v_xor_b32_e32 v118, s41, v164
	v_xor_b32_e32 v119, s40, v119
	v_and_b32_e32 v164, exec_hi, v118
	v_and_b32_e32 v165, exec_lo, v119
	v_lshlrev_b32_e32 v119, 30, v163
	v_mov_b32_e32 v118, v5
	v_cmp_gt_i64_e64 s[40:41], 0, v[118:119]
	v_not_b32_e32 v118, v119
	v_ashrrev_i32_e32 v118, 31, v118
	v_xor_b32_e32 v119, s41, v118
	v_xor_b32_e32 v118, s40, v118
	v_and_b32_e32 v164, v164, v119
	v_and_b32_e32 v165, v165, v118
	v_lshlrev_b32_e32 v119, 29, v163
	v_mov_b32_e32 v118, v5
	v_cmp_gt_i64_e64 s[40:41], 0, v[118:119]
	v_not_b32_e32 v118, v119
	v_ashrrev_i32_e32 v118, 31, v118
	v_xor_b32_e32 v119, s41, v118
	v_xor_b32_e32 v118, s40, v118
	v_and_b32_e32 v164, v164, v119
	v_and_b32_e32 v165, v165, v118
	;; [unrolled: 9-line block ×7, first 2 shown]
	v_mbcnt_lo_u32_b32 v163, v118, 0
	v_mbcnt_hi_u32_b32 v163, v119, v163
	v_cmp_ne_u64_e64 s[40:41], 0, v[118:119]
	v_cmp_eq_u32_e64 s[44:45], 0, v163
	s_and_b64 s[44:45], s[40:41], s[44:45]
	; wave barrier
	s_and_saveexec_b64 s[40:41], s[44:45]
	s_cbranch_execz .LBB1225_67
; %bb.66:                               ;   in Loop: Header=BB1225_53 Depth=1
	v_bcnt_u32_b32 v118, v118, 0
	v_bcnt_u32_b32 v118, v119, v118
	s_waitcnt lgkmcnt(0)
	v_add_u32_e32 v118, v161, v118
	ds_write_b32 v162, v118
.LBB1225_67:                            ;   in Loop: Header=BB1225_53 Depth=1
	s_or_b64 exec, exec, s[40:41]
	v_cmp_ne_u64_e64 s[40:41], s[46:47], v[80:81]
	v_cndmask_b32_e64 v119, v1, v81, s[40:41]
	v_cndmask_b32_e64 v118, 0, v80, s[40:41]
	v_lshrrev_b64 v[118:119], v10, v[118:119]
	; wave barrier
	v_and_b32_e32 v166, v118, v131
	v_lshl_add_u32 v118, v166, 2, v43
	v_lshl_add_u32 v118, v118, 2, v12
	v_add_u32_e32 v165, 16, v118
	ds_read_b32 v164, v118 offset:16
	v_and_b32_e32 v118, 1, v166
	v_add_co_u32_e64 v119, s[40:41], -1, v118
	v_addc_co_u32_e64 v167, s[40:41], 0, -1, s[40:41]
	v_cmp_ne_u32_e64 s[40:41], 0, v118
	v_xor_b32_e32 v118, s41, v167
	v_xor_b32_e32 v119, s40, v119
	v_and_b32_e32 v167, exec_hi, v118
	v_and_b32_e32 v176, exec_lo, v119
	v_lshlrev_b32_e32 v119, 30, v166
	v_mov_b32_e32 v118, v5
	v_cmp_gt_i64_e64 s[40:41], 0, v[118:119]
	v_not_b32_e32 v118, v119
	v_ashrrev_i32_e32 v118, 31, v118
	v_xor_b32_e32 v119, s41, v118
	v_xor_b32_e32 v118, s40, v118
	v_and_b32_e32 v167, v167, v119
	v_and_b32_e32 v176, v176, v118
	v_lshlrev_b32_e32 v119, 29, v166
	v_mov_b32_e32 v118, v5
	v_cmp_gt_i64_e64 s[40:41], 0, v[118:119]
	v_not_b32_e32 v118, v119
	v_ashrrev_i32_e32 v118, 31, v118
	v_xor_b32_e32 v119, s41, v118
	v_xor_b32_e32 v118, s40, v118
	v_and_b32_e32 v167, v167, v119
	v_and_b32_e32 v176, v176, v118
	;; [unrolled: 9-line block ×7, first 2 shown]
	v_mbcnt_lo_u32_b32 v166, v118, 0
	v_mbcnt_hi_u32_b32 v166, v119, v166
	v_cmp_ne_u64_e64 s[40:41], 0, v[118:119]
	v_cmp_eq_u32_e64 s[44:45], 0, v166
	s_and_b64 s[44:45], s[40:41], s[44:45]
	; wave barrier
	s_and_saveexec_b64 s[40:41], s[44:45]
	s_cbranch_execz .LBB1225_69
; %bb.68:                               ;   in Loop: Header=BB1225_53 Depth=1
	v_bcnt_u32_b32 v118, v118, 0
	v_bcnt_u32_b32 v118, v119, v118
	s_waitcnt lgkmcnt(0)
	v_add_u32_e32 v118, v164, v118
	ds_write_b32 v165, v118
.LBB1225_69:                            ;   in Loop: Header=BB1225_53 Depth=1
	s_or_b64 exec, exec, s[40:41]
	v_cmp_ne_u64_e64 s[40:41], s[46:47], v[70:71]
	v_cndmask_b32_e64 v119, v1, v71, s[40:41]
	v_cndmask_b32_e64 v118, 0, v70, s[40:41]
	v_lshrrev_b64 v[118:119], v10, v[118:119]
	; wave barrier
	v_and_b32_e32 v177, v118, v131
	v_lshl_add_u32 v118, v177, 2, v43
	v_lshl_add_u32 v118, v118, 2, v12
	v_add_u32_e32 v176, 16, v118
	ds_read_b32 v167, v118 offset:16
	v_and_b32_e32 v118, 1, v177
	v_add_co_u32_e64 v119, s[40:41], -1, v118
	v_addc_co_u32_e64 v178, s[40:41], 0, -1, s[40:41]
	v_cmp_ne_u32_e64 s[40:41], 0, v118
	v_xor_b32_e32 v118, s41, v178
	v_xor_b32_e32 v119, s40, v119
	v_and_b32_e32 v178, exec_hi, v118
	v_and_b32_e32 v179, exec_lo, v119
	v_lshlrev_b32_e32 v119, 30, v177
	v_mov_b32_e32 v118, v5
	v_cmp_gt_i64_e64 s[40:41], 0, v[118:119]
	v_not_b32_e32 v118, v119
	v_ashrrev_i32_e32 v118, 31, v118
	v_xor_b32_e32 v119, s41, v118
	v_xor_b32_e32 v118, s40, v118
	v_and_b32_e32 v178, v178, v119
	v_and_b32_e32 v179, v179, v118
	v_lshlrev_b32_e32 v119, 29, v177
	v_mov_b32_e32 v118, v5
	v_cmp_gt_i64_e64 s[40:41], 0, v[118:119]
	v_not_b32_e32 v118, v119
	v_ashrrev_i32_e32 v118, 31, v118
	v_xor_b32_e32 v119, s41, v118
	v_xor_b32_e32 v118, s40, v118
	v_and_b32_e32 v178, v178, v119
	v_and_b32_e32 v179, v179, v118
	;; [unrolled: 9-line block ×7, first 2 shown]
	v_mbcnt_lo_u32_b32 v177, v118, 0
	v_mbcnt_hi_u32_b32 v177, v119, v177
	v_cmp_ne_u64_e64 s[40:41], 0, v[118:119]
	v_cmp_eq_u32_e64 s[44:45], 0, v177
	s_and_b64 s[44:45], s[40:41], s[44:45]
	; wave barrier
	s_and_saveexec_b64 s[40:41], s[44:45]
	s_cbranch_execz .LBB1225_71
; %bb.70:                               ;   in Loop: Header=BB1225_53 Depth=1
	v_bcnt_u32_b32 v118, v118, 0
	v_bcnt_u32_b32 v118, v119, v118
	s_waitcnt lgkmcnt(0)
	v_add_u32_e32 v118, v167, v118
	ds_write_b32 v176, v118
.LBB1225_71:                            ;   in Loop: Header=BB1225_53 Depth=1
	s_or_b64 exec, exec, s[40:41]
	v_cmp_ne_u64_e64 s[40:41], s[46:47], v[68:69]
	v_cndmask_b32_e64 v119, v1, v69, s[40:41]
	v_cndmask_b32_e64 v118, 0, v68, s[40:41]
	v_lshrrev_b64 v[118:119], v10, v[118:119]
	; wave barrier
	v_and_b32_e32 v180, v118, v131
	v_lshl_add_u32 v118, v180, 2, v43
	v_lshl_add_u32 v118, v118, 2, v12
	v_add_u32_e32 v179, 16, v118
	ds_read_b32 v178, v118 offset:16
	v_and_b32_e32 v118, 1, v180
	v_add_co_u32_e64 v119, s[40:41], -1, v118
	v_addc_co_u32_e64 v181, s[40:41], 0, -1, s[40:41]
	v_cmp_ne_u32_e64 s[40:41], 0, v118
	v_xor_b32_e32 v118, s41, v181
	v_xor_b32_e32 v119, s40, v119
	v_and_b32_e32 v181, exec_hi, v118
	v_and_b32_e32 v182, exec_lo, v119
	v_lshlrev_b32_e32 v119, 30, v180
	v_mov_b32_e32 v118, v5
	v_cmp_gt_i64_e64 s[40:41], 0, v[118:119]
	v_not_b32_e32 v118, v119
	v_ashrrev_i32_e32 v118, 31, v118
	v_xor_b32_e32 v119, s41, v118
	v_xor_b32_e32 v118, s40, v118
	v_and_b32_e32 v181, v181, v119
	v_and_b32_e32 v182, v182, v118
	v_lshlrev_b32_e32 v119, 29, v180
	v_mov_b32_e32 v118, v5
	v_cmp_gt_i64_e64 s[40:41], 0, v[118:119]
	v_not_b32_e32 v118, v119
	v_ashrrev_i32_e32 v118, 31, v118
	v_xor_b32_e32 v119, s41, v118
	v_xor_b32_e32 v118, s40, v118
	v_and_b32_e32 v181, v181, v119
	v_and_b32_e32 v182, v182, v118
	;; [unrolled: 9-line block ×7, first 2 shown]
	v_mbcnt_lo_u32_b32 v180, v118, 0
	v_mbcnt_hi_u32_b32 v180, v119, v180
	v_cmp_ne_u64_e64 s[40:41], 0, v[118:119]
	v_cmp_eq_u32_e64 s[44:45], 0, v180
	s_and_b64 s[44:45], s[40:41], s[44:45]
	; wave barrier
	s_and_saveexec_b64 s[40:41], s[44:45]
	s_cbranch_execz .LBB1225_73
; %bb.72:                               ;   in Loop: Header=BB1225_53 Depth=1
	v_bcnt_u32_b32 v118, v118, 0
	v_bcnt_u32_b32 v118, v119, v118
	s_waitcnt lgkmcnt(0)
	v_add_u32_e32 v118, v178, v118
	ds_write_b32 v179, v118
.LBB1225_73:                            ;   in Loop: Header=BB1225_53 Depth=1
	s_or_b64 exec, exec, s[40:41]
	v_cmp_ne_u64_e64 s[40:41], s[46:47], v[66:67]
	v_cndmask_b32_e64 v119, v1, v67, s[40:41]
	v_cndmask_b32_e64 v118, 0, v66, s[40:41]
	v_lshrrev_b64 v[118:119], v10, v[118:119]
	; wave barrier
	v_and_b32_e32 v183, v118, v131
	v_lshl_add_u32 v118, v183, 2, v43
	v_lshl_add_u32 v118, v118, 2, v12
	v_add_u32_e32 v182, 16, v118
	ds_read_b32 v181, v118 offset:16
	v_and_b32_e32 v118, 1, v183
	v_add_co_u32_e64 v119, s[40:41], -1, v118
	v_addc_co_u32_e64 v192, s[40:41], 0, -1, s[40:41]
	v_cmp_ne_u32_e64 s[40:41], 0, v118
	v_xor_b32_e32 v118, s41, v192
	v_xor_b32_e32 v119, s40, v119
	v_and_b32_e32 v192, exec_hi, v118
	v_and_b32_e32 v193, exec_lo, v119
	v_lshlrev_b32_e32 v119, 30, v183
	v_mov_b32_e32 v118, v5
	v_cmp_gt_i64_e64 s[40:41], 0, v[118:119]
	v_not_b32_e32 v118, v119
	v_ashrrev_i32_e32 v118, 31, v118
	v_xor_b32_e32 v119, s41, v118
	v_xor_b32_e32 v118, s40, v118
	v_and_b32_e32 v192, v192, v119
	v_and_b32_e32 v193, v193, v118
	v_lshlrev_b32_e32 v119, 29, v183
	v_mov_b32_e32 v118, v5
	v_cmp_gt_i64_e64 s[40:41], 0, v[118:119]
	v_not_b32_e32 v118, v119
	v_ashrrev_i32_e32 v118, 31, v118
	v_xor_b32_e32 v119, s41, v118
	v_xor_b32_e32 v118, s40, v118
	v_and_b32_e32 v192, v192, v119
	v_and_b32_e32 v193, v193, v118
	;; [unrolled: 9-line block ×7, first 2 shown]
	v_mbcnt_lo_u32_b32 v183, v118, 0
	v_mbcnt_hi_u32_b32 v183, v119, v183
	v_cmp_ne_u64_e64 s[40:41], 0, v[118:119]
	v_cmp_eq_u32_e64 s[44:45], 0, v183
	s_and_b64 s[44:45], s[40:41], s[44:45]
	; wave barrier
	s_and_saveexec_b64 s[40:41], s[44:45]
	s_cbranch_execz .LBB1225_75
; %bb.74:                               ;   in Loop: Header=BB1225_53 Depth=1
	v_bcnt_u32_b32 v118, v118, 0
	v_bcnt_u32_b32 v118, v119, v118
	s_waitcnt lgkmcnt(0)
	v_add_u32_e32 v118, v181, v118
	ds_write_b32 v182, v118
.LBB1225_75:                            ;   in Loop: Header=BB1225_53 Depth=1
	s_or_b64 exec, exec, s[40:41]
	v_cmp_ne_u64_e64 s[40:41], s[46:47], v[64:65]
	v_cndmask_b32_e64 v119, v1, v65, s[40:41]
	v_cndmask_b32_e64 v118, 0, v64, s[40:41]
	v_lshrrev_b64 v[118:119], v10, v[118:119]
	; wave barrier
	v_and_b32_e32 v194, v118, v131
	v_lshl_add_u32 v118, v194, 2, v43
	v_lshl_add_u32 v118, v118, 2, v12
	v_add_u32_e32 v193, 16, v118
	ds_read_b32 v192, v118 offset:16
	v_and_b32_e32 v118, 1, v194
	v_add_co_u32_e64 v119, s[40:41], -1, v118
	v_addc_co_u32_e64 v195, s[40:41], 0, -1, s[40:41]
	v_cmp_ne_u32_e64 s[40:41], 0, v118
	v_xor_b32_e32 v118, s41, v195
	v_xor_b32_e32 v119, s40, v119
	v_and_b32_e32 v195, exec_hi, v118
	v_and_b32_e32 v196, exec_lo, v119
	v_lshlrev_b32_e32 v119, 30, v194
	v_mov_b32_e32 v118, v5
	v_cmp_gt_i64_e64 s[40:41], 0, v[118:119]
	v_not_b32_e32 v118, v119
	v_ashrrev_i32_e32 v118, 31, v118
	v_xor_b32_e32 v119, s41, v118
	v_xor_b32_e32 v118, s40, v118
	v_and_b32_e32 v195, v195, v119
	v_and_b32_e32 v196, v196, v118
	v_lshlrev_b32_e32 v119, 29, v194
	v_mov_b32_e32 v118, v5
	v_cmp_gt_i64_e64 s[40:41], 0, v[118:119]
	v_not_b32_e32 v118, v119
	v_ashrrev_i32_e32 v118, 31, v118
	v_xor_b32_e32 v119, s41, v118
	v_xor_b32_e32 v118, s40, v118
	v_and_b32_e32 v195, v195, v119
	v_and_b32_e32 v196, v196, v118
	;; [unrolled: 9-line block ×7, first 2 shown]
	v_mbcnt_lo_u32_b32 v194, v118, 0
	v_mbcnt_hi_u32_b32 v194, v119, v194
	v_cmp_ne_u64_e64 s[40:41], 0, v[118:119]
	v_cmp_eq_u32_e64 s[44:45], 0, v194
	s_and_b64 s[44:45], s[40:41], s[44:45]
	; wave barrier
	s_and_saveexec_b64 s[40:41], s[44:45]
	s_cbranch_execz .LBB1225_77
; %bb.76:                               ;   in Loop: Header=BB1225_53 Depth=1
	v_bcnt_u32_b32 v118, v118, 0
	v_bcnt_u32_b32 v118, v119, v118
	s_waitcnt lgkmcnt(0)
	v_add_u32_e32 v118, v192, v118
	ds_write_b32 v193, v118
.LBB1225_77:                            ;   in Loop: Header=BB1225_53 Depth=1
	s_or_b64 exec, exec, s[40:41]
	v_cmp_ne_u64_e64 s[40:41], s[46:47], v[54:55]
	v_cndmask_b32_e64 v119, v1, v55, s[40:41]
	v_cndmask_b32_e64 v118, 0, v54, s[40:41]
	v_lshrrev_b64 v[118:119], v10, v[118:119]
	; wave barrier
	v_and_b32_e32 v197, v118, v131
	v_lshl_add_u32 v118, v197, 2, v43
	v_lshl_add_u32 v118, v118, 2, v12
	v_add_u32_e32 v196, 16, v118
	ds_read_b32 v195, v118 offset:16
	v_and_b32_e32 v118, 1, v197
	v_add_co_u32_e64 v119, s[40:41], -1, v118
	v_addc_co_u32_e64 v198, s[40:41], 0, -1, s[40:41]
	v_cmp_ne_u32_e64 s[40:41], 0, v118
	v_xor_b32_e32 v118, s41, v198
	v_xor_b32_e32 v119, s40, v119
	v_and_b32_e32 v198, exec_hi, v118
	v_and_b32_e32 v199, exec_lo, v119
	v_lshlrev_b32_e32 v119, 30, v197
	v_mov_b32_e32 v118, v5
	v_cmp_gt_i64_e64 s[40:41], 0, v[118:119]
	v_not_b32_e32 v118, v119
	v_ashrrev_i32_e32 v118, 31, v118
	v_xor_b32_e32 v119, s41, v118
	v_xor_b32_e32 v118, s40, v118
	v_and_b32_e32 v198, v198, v119
	v_and_b32_e32 v199, v199, v118
	v_lshlrev_b32_e32 v119, 29, v197
	v_mov_b32_e32 v118, v5
	v_cmp_gt_i64_e64 s[40:41], 0, v[118:119]
	v_not_b32_e32 v118, v119
	v_ashrrev_i32_e32 v118, 31, v118
	v_xor_b32_e32 v119, s41, v118
	v_xor_b32_e32 v118, s40, v118
	v_and_b32_e32 v198, v198, v119
	v_and_b32_e32 v199, v199, v118
	;; [unrolled: 9-line block ×7, first 2 shown]
	v_mbcnt_lo_u32_b32 v197, v118, 0
	v_mbcnt_hi_u32_b32 v197, v119, v197
	v_cmp_ne_u64_e64 s[40:41], 0, v[118:119]
	v_cmp_eq_u32_e64 s[44:45], 0, v197
	s_and_b64 s[44:45], s[40:41], s[44:45]
	; wave barrier
	s_and_saveexec_b64 s[40:41], s[44:45]
	s_cbranch_execz .LBB1225_79
; %bb.78:                               ;   in Loop: Header=BB1225_53 Depth=1
	v_bcnt_u32_b32 v118, v118, 0
	v_bcnt_u32_b32 v118, v119, v118
	s_waitcnt lgkmcnt(0)
	v_add_u32_e32 v118, v195, v118
	ds_write_b32 v196, v118
.LBB1225_79:                            ;   in Loop: Header=BB1225_53 Depth=1
	s_or_b64 exec, exec, s[40:41]
	v_cmp_ne_u64_e64 s[40:41], s[46:47], v[52:53]
	v_cndmask_b32_e64 v119, v1, v53, s[40:41]
	v_cndmask_b32_e64 v118, 0, v52, s[40:41]
	v_lshrrev_b64 v[118:119], v10, v[118:119]
	; wave barrier
	v_and_b32_e32 v208, v118, v131
	v_lshl_add_u32 v118, v208, 2, v43
	v_lshl_add_u32 v118, v118, 2, v12
	v_add_u32_e32 v199, 16, v118
	ds_read_b32 v198, v118 offset:16
	v_and_b32_e32 v118, 1, v208
	v_add_co_u32_e64 v119, s[40:41], -1, v118
	v_addc_co_u32_e64 v209, s[40:41], 0, -1, s[40:41]
	v_cmp_ne_u32_e64 s[40:41], 0, v118
	v_xor_b32_e32 v118, s41, v209
	v_xor_b32_e32 v119, s40, v119
	v_and_b32_e32 v209, exec_hi, v118
	v_and_b32_e32 v210, exec_lo, v119
	v_lshlrev_b32_e32 v119, 30, v208
	v_mov_b32_e32 v118, v5
	v_cmp_gt_i64_e64 s[40:41], 0, v[118:119]
	v_not_b32_e32 v118, v119
	v_ashrrev_i32_e32 v118, 31, v118
	v_xor_b32_e32 v119, s41, v118
	v_xor_b32_e32 v118, s40, v118
	v_and_b32_e32 v209, v209, v119
	v_and_b32_e32 v210, v210, v118
	v_lshlrev_b32_e32 v119, 29, v208
	v_mov_b32_e32 v118, v5
	v_cmp_gt_i64_e64 s[40:41], 0, v[118:119]
	v_not_b32_e32 v118, v119
	v_ashrrev_i32_e32 v118, 31, v118
	v_xor_b32_e32 v119, s41, v118
	v_xor_b32_e32 v118, s40, v118
	v_and_b32_e32 v209, v209, v119
	v_and_b32_e32 v210, v210, v118
	;; [unrolled: 9-line block ×7, first 2 shown]
	v_mbcnt_lo_u32_b32 v208, v118, 0
	v_mbcnt_hi_u32_b32 v208, v119, v208
	v_cmp_ne_u64_e64 s[40:41], 0, v[118:119]
	v_cmp_eq_u32_e64 s[44:45], 0, v208
	s_and_b64 s[44:45], s[40:41], s[44:45]
	; wave barrier
	s_and_saveexec_b64 s[40:41], s[44:45]
	s_cbranch_execz .LBB1225_81
; %bb.80:                               ;   in Loop: Header=BB1225_53 Depth=1
	v_bcnt_u32_b32 v118, v118, 0
	v_bcnt_u32_b32 v118, v119, v118
	s_waitcnt lgkmcnt(0)
	v_add_u32_e32 v118, v198, v118
	ds_write_b32 v199, v118
.LBB1225_81:                            ;   in Loop: Header=BB1225_53 Depth=1
	s_or_b64 exec, exec, s[40:41]
	v_cmp_ne_u64_e64 s[40:41], s[46:47], v[50:51]
	v_cndmask_b32_e64 v119, v1, v51, s[40:41]
	v_cndmask_b32_e64 v118, 0, v50, s[40:41]
	v_lshrrev_b64 v[118:119], v10, v[118:119]
	; wave barrier
	v_and_b32_e32 v211, v118, v131
	v_lshl_add_u32 v118, v211, 2, v43
	v_lshl_add_u32 v118, v118, 2, v12
	v_add_u32_e32 v210, 16, v118
	ds_read_b32 v209, v118 offset:16
	v_and_b32_e32 v118, 1, v211
	v_add_co_u32_e64 v119, s[40:41], -1, v118
	v_addc_co_u32_e64 v212, s[40:41], 0, -1, s[40:41]
	v_cmp_ne_u32_e64 s[40:41], 0, v118
	v_xor_b32_e32 v118, s41, v212
	v_xor_b32_e32 v119, s40, v119
	v_and_b32_e32 v212, exec_hi, v118
	v_and_b32_e32 v213, exec_lo, v119
	v_lshlrev_b32_e32 v119, 30, v211
	v_mov_b32_e32 v118, v5
	v_cmp_gt_i64_e64 s[40:41], 0, v[118:119]
	v_not_b32_e32 v118, v119
	v_ashrrev_i32_e32 v118, 31, v118
	v_xor_b32_e32 v119, s41, v118
	v_xor_b32_e32 v118, s40, v118
	v_and_b32_e32 v212, v212, v119
	v_and_b32_e32 v213, v213, v118
	v_lshlrev_b32_e32 v119, 29, v211
	v_mov_b32_e32 v118, v5
	v_cmp_gt_i64_e64 s[40:41], 0, v[118:119]
	v_not_b32_e32 v118, v119
	v_ashrrev_i32_e32 v118, 31, v118
	v_xor_b32_e32 v119, s41, v118
	v_xor_b32_e32 v118, s40, v118
	v_and_b32_e32 v212, v212, v119
	v_and_b32_e32 v213, v213, v118
	v_lshlrev_b32_e32 v119, 28, v211
	v_mov_b32_e32 v118, v5
	v_cmp_gt_i64_e64 s[40:41], 0, v[118:119]
	v_not_b32_e32 v118, v119
	v_ashrrev_i32_e32 v118, 31, v118
	v_xor_b32_e32 v119, s41, v118
	v_xor_b32_e32 v118, s40, v118
	v_and_b32_e32 v212, v212, v119
	v_and_b32_e32 v213, v213, v118
	v_lshlrev_b32_e32 v119, 27, v211
	v_mov_b32_e32 v118, v5
	v_cmp_gt_i64_e64 s[40:41], 0, v[118:119]
	v_not_b32_e32 v118, v119
	v_ashrrev_i32_e32 v118, 31, v118
	v_xor_b32_e32 v119, s41, v118
	v_xor_b32_e32 v118, s40, v118
	v_and_b32_e32 v212, v212, v119
	v_and_b32_e32 v213, v213, v118
	v_lshlrev_b32_e32 v119, 26, v211
	v_mov_b32_e32 v118, v5
	v_cmp_gt_i64_e64 s[40:41], 0, v[118:119]
	v_not_b32_e32 v118, v119
	v_ashrrev_i32_e32 v118, 31, v118
	v_xor_b32_e32 v119, s41, v118
	v_xor_b32_e32 v118, s40, v118
	v_and_b32_e32 v212, v212, v119
	v_and_b32_e32 v213, v213, v118
	v_lshlrev_b32_e32 v119, 25, v211
	v_mov_b32_e32 v118, v5
	v_cmp_gt_i64_e64 s[40:41], 0, v[118:119]
	v_not_b32_e32 v118, v119
	v_ashrrev_i32_e32 v118, 31, v118
	v_xor_b32_e32 v119, s41, v118
	v_xor_b32_e32 v118, s40, v118
	v_and_b32_e32 v212, v212, v119
	v_and_b32_e32 v213, v213, v118
	v_lshlrev_b32_e32 v119, 24, v211
	v_mov_b32_e32 v118, v5
	v_cmp_gt_i64_e64 s[40:41], 0, v[118:119]
	v_not_b32_e32 v118, v119
	v_ashrrev_i32_e32 v118, 31, v118
	v_xor_b32_e32 v119, s41, v118
	v_xor_b32_e32 v118, s40, v118
	v_and_b32_e32 v118, v213, v118
	v_and_b32_e32 v119, v212, v119
	v_mbcnt_lo_u32_b32 v211, v118, 0
	v_mbcnt_hi_u32_b32 v211, v119, v211
	v_cmp_ne_u64_e64 s[40:41], 0, v[118:119]
	v_cmp_eq_u32_e64 s[44:45], 0, v211
	s_and_b64 s[44:45], s[40:41], s[44:45]
	; wave barrier
	s_and_saveexec_b64 s[40:41], s[44:45]
	s_cbranch_execz .LBB1225_83
; %bb.82:                               ;   in Loop: Header=BB1225_53 Depth=1
	v_bcnt_u32_b32 v118, v118, 0
	v_bcnt_u32_b32 v118, v119, v118
	s_waitcnt lgkmcnt(0)
	v_add_u32_e32 v118, v209, v118
	ds_write_b32 v210, v118
.LBB1225_83:                            ;   in Loop: Header=BB1225_53 Depth=1
	s_or_b64 exec, exec, s[40:41]
	v_cmp_ne_u64_e64 s[40:41], s[46:47], v[48:49]
	v_cndmask_b32_e64 v119, v1, v49, s[40:41]
	v_cndmask_b32_e64 v118, 0, v48, s[40:41]
	v_lshrrev_b64 v[118:119], v10, v[118:119]
	; wave barrier
	v_and_b32_e32 v213, v118, v131
	v_lshl_add_u32 v118, v213, 2, v43
	v_lshl_add_u32 v118, v118, 2, v12
	v_add_u32_e32 v212, 16, v118
	ds_read_b32 v131, v118 offset:16
	v_and_b32_e32 v118, 1, v213
	v_add_co_u32_e64 v119, s[40:41], -1, v118
	v_addc_co_u32_e64 v214, s[40:41], 0, -1, s[40:41]
	v_cmp_ne_u32_e64 s[40:41], 0, v118
	v_xor_b32_e32 v118, s41, v214
	v_xor_b32_e32 v119, s40, v119
	v_and_b32_e32 v214, exec_hi, v118
	v_and_b32_e32 v215, exec_lo, v119
	v_lshlrev_b32_e32 v119, 30, v213
	v_mov_b32_e32 v118, v5
	v_cmp_gt_i64_e64 s[40:41], 0, v[118:119]
	v_not_b32_e32 v118, v119
	v_ashrrev_i32_e32 v118, 31, v118
	v_xor_b32_e32 v119, s41, v118
	v_xor_b32_e32 v118, s40, v118
	v_and_b32_e32 v214, v214, v119
	v_and_b32_e32 v215, v215, v118
	v_lshlrev_b32_e32 v119, 29, v213
	v_mov_b32_e32 v118, v5
	v_cmp_gt_i64_e64 s[40:41], 0, v[118:119]
	v_not_b32_e32 v118, v119
	v_ashrrev_i32_e32 v118, 31, v118
	v_xor_b32_e32 v119, s41, v118
	v_xor_b32_e32 v118, s40, v118
	v_and_b32_e32 v214, v214, v119
	v_and_b32_e32 v215, v215, v118
	;; [unrolled: 9-line block ×7, first 2 shown]
	v_mbcnt_lo_u32_b32 v213, v118, 0
	v_mbcnt_hi_u32_b32 v213, v119, v213
	v_cmp_ne_u64_e64 s[40:41], 0, v[118:119]
	v_cmp_eq_u32_e64 s[44:45], 0, v213
	s_and_b64 s[44:45], s[40:41], s[44:45]
	; wave barrier
	s_and_saveexec_b64 s[40:41], s[44:45]
	s_cbranch_execz .LBB1225_85
; %bb.84:                               ;   in Loop: Header=BB1225_53 Depth=1
	v_bcnt_u32_b32 v118, v118, 0
	v_bcnt_u32_b32 v118, v119, v118
	s_waitcnt lgkmcnt(0)
	v_add_u32_e32 v118, v131, v118
	ds_write_b32 v212, v118
.LBB1225_85:                            ;   in Loop: Header=BB1225_53 Depth=1
	s_or_b64 exec, exec, s[40:41]
	; wave barrier
	s_waitcnt lgkmcnt(0)
	s_barrier
	ds_read_b32 v214, v247
	ds_read_b32 v119, v40
	;; [unrolled: 1-line block ×4, first 2 shown]
	s_waitcnt lgkmcnt(2)
	v_add_u32_e32 v224, v119, v214
	s_waitcnt lgkmcnt(0)
	v_add3_u32 v215, v224, v118, v215
	s_nop 1
	v_mov_b32_dpp v224, v215 row_shr:1 row_mask:0xf bank_mask:0xf
	v_cndmask_b32_e64 v224, v224, 0, vcc
	v_add_u32_e32 v215, v224, v215
	s_nop 1
	v_mov_b32_dpp v224, v215 row_shr:2 row_mask:0xf bank_mask:0xf
	v_cndmask_b32_e64 v224, 0, v224, s[4:5]
	v_add_u32_e32 v215, v215, v224
	s_nop 1
	v_mov_b32_dpp v224, v215 row_shr:4 row_mask:0xf bank_mask:0xf
	v_cndmask_b32_e64 v224, 0, v224, s[6:7]
	;; [unrolled: 4-line block ×3, first 2 shown]
	v_add_u32_e32 v215, v215, v224
	s_nop 1
	v_mov_b32_dpp v224, v215 row_bcast:15 row_mask:0xf bank_mask:0xf
	v_cndmask_b32_e64 v224, v224, 0, s[42:43]
	v_add_u32_e32 v215, v215, v224
	s_nop 1
	v_mov_b32_dpp v224, v215 row_bcast:31 row_mask:0xf bank_mask:0xf
	v_cndmask_b32_e64 v224, 0, v224, s[14:15]
	v_add_u32_e32 v215, v215, v224
	s_and_saveexec_b64 s[40:41], s[16:17]
; %bb.86:                               ;   in Loop: Header=BB1225_53 Depth=1
	ds_write_b32 v45, v215
; %bb.87:                               ;   in Loop: Header=BB1225_53 Depth=1
	s_or_b64 exec, exec, s[40:41]
	s_waitcnt lgkmcnt(0)
	s_barrier
	s_and_saveexec_b64 s[40:41], s[18:19]
	s_cbranch_execz .LBB1225_89
; %bb.88:                               ;   in Loop: Header=BB1225_53 Depth=1
	ds_read_b32 v224, v46
	s_waitcnt lgkmcnt(0)
	s_nop 0
	v_mov_b32_dpp v225, v224 row_shr:1 row_mask:0xf bank_mask:0xf
	v_cndmask_b32_e64 v225, v225, 0, s[26:27]
	v_add_u32_e32 v224, v225, v224
	s_nop 1
	v_mov_b32_dpp v225, v224 row_shr:2 row_mask:0xf bank_mask:0xf
	v_cndmask_b32_e64 v225, 0, v225, s[28:29]
	v_add_u32_e32 v224, v224, v225
	ds_write_b32 v46, v224
.LBB1225_89:                            ;   in Loop: Header=BB1225_53 Depth=1
	s_or_b64 exec, exec, s[40:41]
	v_mov_b32_e32 v224, 0
	s_waitcnt lgkmcnt(0)
	s_barrier
	s_and_saveexec_b64 s[40:41], s[20:21]
; %bb.90:                               ;   in Loop: Header=BB1225_53 Depth=1
	ds_read_b32 v224, v47
; %bb.91:                               ;   in Loop: Header=BB1225_53 Depth=1
	s_or_b64 exec, exec, s[40:41]
	s_waitcnt lgkmcnt(0)
	v_add_u32_e32 v215, v224, v215
	ds_bpermute_b32 v215, v44, v215
	v_add_u32_e32 v10, 8, v10
	v_cmp_lt_u32_e64 s[40:41], v10, v11
	s_mov_b64 s[62:63], -1
                                        ; implicit-def: $vgpr226_vgpr227
                                        ; implicit-def: $vgpr228_vgpr229
                                        ; implicit-def: $vgpr230_vgpr231
                                        ; implicit-def: $vgpr240_vgpr241
                                        ; implicit-def: $vgpr242_vgpr243
                                        ; implicit-def: $vgpr244_vgpr245
	s_waitcnt lgkmcnt(0)
	v_cndmask_b32_e64 v215, v215, v224, s[22:23]
	v_cndmask_b32_e64 v215, v215, 0, s[24:25]
	v_add_u32_e32 v214, v215, v214
	v_add_u32_e32 v119, v214, v119
	;; [unrolled: 1-line block ×3, first 2 shown]
	ds_write_b32 v247, v215
	ds_write_b32 v40, v214
	;; [unrolled: 1-line block ×4, first 2 shown]
	s_waitcnt lgkmcnt(0)
	s_barrier
	ds_read_b32 v4, v4
	ds_read_b32 v118, v130
	;; [unrolled: 1-line block ×6, first 2 shown]
	v_mov_b32_e32 v151, v5
                                        ; implicit-def: $vgpr214_vgpr215
                                        ; implicit-def: $vgpr224_vgpr225
	s_waitcnt lgkmcnt(5)
	v_add_u32_e32 v4, v4, v128
	s_waitcnt lgkmcnt(4)
	v_add3_u32 v118, v132, v129, v118
	s_waitcnt lgkmcnt(3)
	v_add3_u32 v128, v135, v133, v119
	;; [unrolled: 2-line block ×4, first 2 shown]
	ds_read_b32 v119, v162
	ds_read_b32 v129, v165
	;; [unrolled: 1-line block ×5, first 2 shown]
	v_add3_u32 v130, v146, v144, v130
	s_waitcnt lgkmcnt(4)
	v_add3_u32 v144, v163, v161, v119
	s_waitcnt lgkmcnt(3)
	;; [unrolled: 2-line block ×5, first 2 shown]
	v_add3_u32 v160, v183, v181, v145
	ds_read_b32 v119, v193
	ds_read_b32 v129, v196
	;; [unrolled: 1-line block ×5, first 2 shown]
	s_waitcnt lgkmcnt(4)
	v_add3_u32 v162, v194, v192, v119
	v_mov_b32_e32 v119, v5
	v_lshlrev_b64 v[118:119], 3, v[118:119]
	s_waitcnt lgkmcnt(3)
	v_add3_u32 v164, v197, v195, v129
	v_mov_b32_e32 v129, v5
	v_add_co_u32_e64 v89, s[44:45], v12, v118
	v_lshlrev_b64 v[118:119], 3, v[128:129]
	s_waitcnt lgkmcnt(0)
	v_add3_u32 v178, v213, v131, v145
	v_mov_b32_e32 v131, v5
	v_add_co_u32_e64 v90, s[44:45], v12, v118
	v_lshlrev_b64 v[118:119], 3, v[130:131]
	v_add3_u32 v166, v208, v198, v133
	v_mov_b32_e32 v133, v5
	v_add_co_u32_e64 v91, s[44:45], v12, v118
	v_lshlrev_b64 v[118:119], 3, v[132:133]
	v_add3_u32 v176, v211, v209, v135
	v_mov_b32_e32 v135, v5
	v_add_co_u32_e64 v92, s[44:45], v12, v118
	v_lshlrev_b64 v[118:119], 3, v[134:135]
	v_mov_b32_e32 v145, v5
	v_add_co_u32_e64 v93, s[44:45], v12, v118
	v_lshlrev_b64 v[118:119], 3, v[144:145]
	v_mov_b32_e32 v147, v5
	v_add_co_u32_e64 v94, s[44:45], v12, v118
	v_lshlrev_b64 v[118:119], 3, v[146:147]
	;; [unrolled: 3-line block ×7, first 2 shown]
	v_lshlrev_b64 v[179:180], 3, v[4:5]
	v_add_co_u32_e64 v108, s[44:45], v12, v118
	v_lshlrev_b64 v[118:119], 3, v[166:167]
	v_mov_b32_e32 v177, v5
	v_add_co_u32_e64 v109, s[44:45], v12, v118
	v_lshlrev_b64 v[118:119], 3, v[176:177]
	v_add_co_u32_e64 v4, s[44:45], v12, v179
	v_mov_b32_e32 v179, v5
	v_add_co_u32_e64 v110, s[44:45], v12, v118
	v_lshlrev_b64 v[118:119], 3, v[178:179]
	v_add_co_u32_e64 v111, s[44:45], v12, v118
                                        ; implicit-def: $vgpr118_vgpr119
                                        ; implicit-def: $vgpr128_vgpr129
                                        ; implicit-def: $vgpr130_vgpr131
                                        ; implicit-def: $vgpr132_vgpr133
                                        ; implicit-def: $vgpr134_vgpr135
                                        ; implicit-def: $vgpr144_vgpr145
                                        ; implicit-def: $vgpr146_vgpr147
                                        ; implicit-def: $vgpr148_vgpr149
                                        ; implicit-def: $vgpr150_vgpr151
                                        ; implicit-def: $vgpr160_vgpr161
                                        ; implicit-def: $vgpr162_vgpr163
                                        ; implicit-def: $vgpr164_vgpr165
                                        ; implicit-def: $vgpr166_vgpr167
                                        ; implicit-def: $vgpr176_vgpr177
                                        ; implicit-def: $vgpr182_vgpr183
                                        ; implicit-def: $vgpr196_vgpr197
                                        ; implicit-def: $vgpr178_vgpr179
                                        ; implicit-def: $vgpr180_vgpr181
                                        ; implicit-def: $vgpr192_vgpr193
                                        ; implicit-def: $vgpr194_vgpr195
                                        ; implicit-def: $vgpr198_vgpr199
                                        ; implicit-def: $vgpr208_vgpr209
                                        ; implicit-def: $vgpr210_vgpr211
                                        ; implicit-def: $vgpr212_vgpr213
	s_and_saveexec_b64 s[44:45], s[40:41]
	s_cbranch_execz .LBB1225_52
; %bb.92:                               ;   in Loop: Header=BB1225_53 Depth=1
	s_barrier
	ds_write_b64 v4, v[102:103]
	ds_write_b64 v89, v[100:101]
	;; [unrolled: 1-line block ×16, first 2 shown]
	s_waitcnt lgkmcnt(0)
	s_barrier
	ds_read_b64 v[178:179], v56
	ds_read_b64 v[180:181], v57
	;; [unrolled: 1-line block ×16, first 2 shown]
	s_waitcnt lgkmcnt(0)
	s_barrier
	ds_write_b64 v4, v[116:117]
	ds_write_b64 v89, v[114:115]
	;; [unrolled: 1-line block ×16, first 2 shown]
	s_waitcnt lgkmcnt(0)
	s_barrier
	ds_read_b64 v[118:119], v56
	ds_read_b64 v[128:129], v57
	;; [unrolled: 1-line block ×16, first 2 shown]
	v_add_u32_e32 v88, -8, v88
	s_xor_b64 s[62:63], exec, -1
	s_waitcnt lgkmcnt(0)
	s_barrier
	s_branch .LBB1225_52
.LBB1225_93:
	s_or_b64 exec, exec, s[56:57]
	v_lshl_add_u32 v1, v13, 3, v12
	s_barrier
	ds_write_b64 v4, v[102:103]
	ds_write_b64 v89, v[100:101]
	;; [unrolled: 1-line block ×16, first 2 shown]
	s_waitcnt lgkmcnt(0)
	s_barrier
	ds_read2st64_b64 v[100:103], v1 offset1:4
	ds_read2st64_b64 v[96:99], v1 offset0:8 offset1:12
	ds_read2st64_b64 v[84:87], v1 offset0:16 offset1:20
	ds_read2st64_b64 v[80:83], v1 offset0:24 offset1:28
	ds_read2st64_b64 v[68:71], v1 offset0:32 offset1:36
	ds_read2st64_b64 v[64:67], v1 offset0:40 offset1:44
	ds_read2st64_b64 v[52:55], v1 offset0:48 offset1:52
	ds_read2st64_b64 v[48:51], v1 offset0:56 offset1:60
	s_waitcnt lgkmcnt(0)
	s_barrier
	ds_write_b64 v4, v[116:117]
	ds_write_b64 v89, v[114:115]
	ds_write_b64 v90, v[38:39]
	ds_write_b64 v91, v[36:37]
	ds_write_b64 v92, v[34:35]
	ds_write_b64 v93, v[32:33]
	ds_write_b64 v94, v[30:31]
	ds_write_b64 v95, v[28:29]
	ds_write_b64 v104, v[26:27]
	ds_write_b64 v105, v[24:25]
	ds_write_b64 v106, v[22:23]
	ds_write_b64 v107, v[20:21]
	ds_write_b64 v108, v[18:19]
	ds_write_b64 v109, v[16:17]
	ds_write_b64 v110, v[14:15]
	ds_write_b64 v111, v[8:9]
	s_waitcnt lgkmcnt(0)
	s_barrier
	ds_read2st64_b64 v[36:39], v1 offset1:4
	ds_read2st64_b64 v[32:35], v1 offset0:8 offset1:12
	ds_read2st64_b64 v[28:31], v1 offset0:16 offset1:20
	;; [unrolled: 1-line block ×7, first 2 shown]
	v_mov_b32_e32 v1, 0
	v_add_co_u32_e32 v4, vcc, v2, v112
	v_lshlrev_b64 v[1:2], 3, v[0:1]
	v_addc_co_u32_e32 v5, vcc, v3, v113, vcc
	v_add_co_u32_e32 v3, vcc, v4, v1
	v_addc_co_u32_e32 v4, vcc, v5, v2, vcc
	v_cmp_lt_u32_e64 s[4:5], v0, v246
	s_waitcnt lgkmcnt(0)
	s_barrier
	s_and_saveexec_b64 s[6:7], s[4:5]
	s_cbranch_execz .LBB1225_95
; %bb.94:
	v_cmp_lt_i64_e32 vcc, -1, v[100:101]
	v_bfrev_b32_e32 v5, 1
	v_ashrrev_i32_e32 v114, 31, v101
	v_cndmask_b32_e64 v5, v5, -1, vcc
	v_not_b32_e32 v114, v114
	v_xor_b32_e32 v101, v5, v101
	v_xor_b32_e32 v100, v114, v100
	flat_store_dwordx2 v[3:4], v[100:101]
.LBB1225_95:
	s_or_b64 exec, exec, s[6:7]
	v_add_u32_e32 v5, 0x100, v0
	v_cmp_lt_u32_e64 s[6:7], v5, v246
	s_and_saveexec_b64 s[10:11], s[6:7]
	s_cbranch_execz .LBB1225_97
; %bb.96:
	v_cmp_lt_i64_e32 vcc, -1, v[102:103]
	v_bfrev_b32_e32 v5, 1
	v_ashrrev_i32_e32 v100, 31, v103
	v_cndmask_b32_e64 v5, v5, -1, vcc
	v_not_b32_e32 v100, v100
	v_xor_b32_e32 v101, v5, v103
	v_xor_b32_e32 v100, v100, v102
	flat_store_dwordx2 v[3:4], v[100:101] offset:2048
.LBB1225_97:
	s_or_b64 exec, exec, s[10:11]
	v_add_u32_e32 v5, 0x200, v0
	v_cmp_lt_u32_e64 s[10:11], v5, v246
	s_and_saveexec_b64 s[14:15], s[10:11]
	s_cbranch_execz .LBB1225_99
; %bb.98:
	v_cmp_lt_i64_e32 vcc, -1, v[96:97]
	v_ashrrev_i32_e32 v100, 31, v97
	v_bfrev_b32_e32 v5, 1
	v_not_b32_e32 v100, v100
	v_cndmask_b32_e64 v5, v5, -1, vcc
	v_xor_b32_e32 v96, v100, v96
	v_add_co_u32_e32 v100, vcc, 0x1000, v3
	v_xor_b32_e32 v97, v5, v97
	v_addc_co_u32_e32 v101, vcc, 0, v4, vcc
	flat_store_dwordx2 v[100:101], v[96:97]
.LBB1225_99:
	s_or_b64 exec, exec, s[14:15]
	v_add_u32_e32 v5, 0x300, v0
	v_cmp_lt_u32_e64 s[56:57], v5, v246
	s_and_saveexec_b64 s[14:15], s[56:57]
	s_cbranch_execz .LBB1225_101
; %bb.100:
	v_cmp_lt_i64_e32 vcc, -1, v[98:99]
	v_ashrrev_i32_e32 v96, 31, v99
	v_bfrev_b32_e32 v5, 1
	v_not_b32_e32 v96, v96
	v_cndmask_b32_e64 v5, v5, -1, vcc
	v_xor_b32_e32 v96, v96, v98
	v_add_co_u32_e32 v98, vcc, 0x1000, v3
	v_xor_b32_e32 v97, v5, v99
	v_addc_co_u32_e32 v99, vcc, 0, v4, vcc
	flat_store_dwordx2 v[98:99], v[96:97] offset:2048
.LBB1225_101:
	s_or_b64 exec, exec, s[14:15]
	v_add_u32_e32 v5, 0x400, v0
	v_cmp_lt_u32_e64 s[14:15], v5, v246
	s_and_saveexec_b64 s[16:17], s[14:15]
	s_cbranch_execz .LBB1225_103
; %bb.102:
	v_cmp_lt_i64_e32 vcc, -1, v[84:85]
	v_ashrrev_i32_e32 v96, 31, v85
	v_bfrev_b32_e32 v5, 1
	v_not_b32_e32 v96, v96
	v_cndmask_b32_e64 v5, v5, -1, vcc
	v_xor_b32_e32 v84, v96, v84
	v_add_co_u32_e32 v96, vcc, 0x2000, v3
	v_xor_b32_e32 v85, v5, v85
	v_addc_co_u32_e32 v97, vcc, 0, v4, vcc
	flat_store_dwordx2 v[96:97], v[84:85]
.LBB1225_103:
	s_or_b64 exec, exec, s[16:17]
	v_add_u32_e32 v5, 0x500, v0
	v_cmp_lt_u32_e64 s[16:17], v5, v246
	s_and_saveexec_b64 s[18:19], s[16:17]
	s_cbranch_execz .LBB1225_105
; %bb.104:
	v_cmp_lt_i64_e32 vcc, -1, v[86:87]
	v_ashrrev_i32_e32 v84, 31, v87
	v_bfrev_b32_e32 v5, 1
	v_not_b32_e32 v84, v84
	v_cndmask_b32_e64 v5, v5, -1, vcc
	v_xor_b32_e32 v84, v84, v86
	v_add_co_u32_e32 v86, vcc, 0x2000, v3
	v_xor_b32_e32 v85, v5, v87
	v_addc_co_u32_e32 v87, vcc, 0, v4, vcc
	flat_store_dwordx2 v[86:87], v[84:85] offset:2048
.LBB1225_105:
	;; [unrolled: 34-line block ×6, first 2 shown]
	s_or_b64 exec, exec, s[44:45]
	v_add_u32_e32 v5, 0xe00, v0
	v_cmp_lt_u32_e64 s[44:45], v5, v246
	s_and_saveexec_b64 s[46:47], s[44:45]
	s_cbranch_execz .LBB1225_123
; %bb.122:
	v_cmp_lt_i64_e32 vcc, -1, v[48:49]
	v_ashrrev_i32_e32 v52, 31, v49
	v_bfrev_b32_e32 v5, 1
	v_not_b32_e32 v52, v52
	v_cndmask_b32_e64 v5, v5, -1, vcc
	v_xor_b32_e32 v48, v52, v48
	v_add_co_u32_e32 v52, vcc, 0x7000, v3
	v_xor_b32_e32 v49, v5, v49
	v_addc_co_u32_e32 v53, vcc, 0, v4, vcc
	flat_store_dwordx2 v[52:53], v[48:49]
.LBB1225_123:
	s_or_b64 exec, exec, s[46:47]
	v_add_u32_e32 v0, 0xf00, v0
	v_cmp_lt_u32_e64 s[46:47], v0, v246
	s_and_saveexec_b64 s[62:63], s[46:47]
	s_cbranch_execz .LBB1225_125
; %bb.124:
	v_cmp_lt_i64_e32 vcc, -1, v[50:51]
	v_bfrev_b32_e32 v0, 1
	v_ashrrev_i32_e32 v5, 31, v51
	v_cndmask_b32_e64 v0, v0, -1, vcc
	v_not_b32_e32 v5, v5
	v_add_co_u32_e32 v3, vcc, 0x7000, v3
	v_xor_b32_e32 v49, v0, v51
	v_xor_b32_e32 v48, v5, v50
	v_addc_co_u32_e32 v4, vcc, 0, v4, vcc
	flat_store_dwordx2 v[3:4], v[48:49] offset:2048
.LBB1225_125:
	s_or_b64 exec, exec, s[62:63]
	v_add_co_u32_e32 v0, vcc, v6, v112
	v_addc_co_u32_e32 v3, vcc, v7, v113, vcc
	v_add_co_u32_e32 v0, vcc, v0, v1
	v_addc_co_u32_e32 v1, vcc, v3, v2, vcc
	s_and_saveexec_b64 s[62:63], s[4:5]
	s_cbranch_execnz .LBB1225_211
; %bb.126:
	s_or_b64 exec, exec, s[62:63]
	s_and_saveexec_b64 s[4:5], s[6:7]
	s_cbranch_execnz .LBB1225_212
.LBB1225_127:
	s_or_b64 exec, exec, s[4:5]
	s_and_saveexec_b64 s[4:5], s[10:11]
	s_cbranch_execnz .LBB1225_213
.LBB1225_128:
	s_or_b64 exec, exec, s[4:5]
	s_and_saveexec_b64 s[4:5], s[56:57]
	s_cbranch_execnz .LBB1225_214
.LBB1225_129:
	s_or_b64 exec, exec, s[4:5]
	s_and_saveexec_b64 s[4:5], s[14:15]
	s_cbranch_execnz .LBB1225_215
.LBB1225_130:
	s_or_b64 exec, exec, s[4:5]
	s_and_saveexec_b64 s[4:5], s[16:17]
	s_cbranch_execnz .LBB1225_216
.LBB1225_131:
	s_or_b64 exec, exec, s[4:5]
	s_and_saveexec_b64 s[4:5], s[18:19]
	s_cbranch_execnz .LBB1225_217
.LBB1225_132:
	s_or_b64 exec, exec, s[4:5]
	s_and_saveexec_b64 s[4:5], s[20:21]
	s_cbranch_execnz .LBB1225_218
.LBB1225_133:
	s_or_b64 exec, exec, s[4:5]
	s_and_saveexec_b64 s[4:5], s[22:23]
	s_cbranch_execnz .LBB1225_219
.LBB1225_134:
	s_or_b64 exec, exec, s[4:5]
	s_and_saveexec_b64 s[4:5], s[24:25]
	s_cbranch_execnz .LBB1225_220
.LBB1225_135:
	s_or_b64 exec, exec, s[4:5]
	s_and_saveexec_b64 s[4:5], s[26:27]
	s_cbranch_execnz .LBB1225_221
.LBB1225_136:
	s_or_b64 exec, exec, s[4:5]
	s_and_saveexec_b64 s[4:5], s[28:29]
	s_cbranch_execnz .LBB1225_222
.LBB1225_137:
	s_or_b64 exec, exec, s[4:5]
	s_and_saveexec_b64 s[4:5], s[40:41]
	s_cbranch_execnz .LBB1225_223
.LBB1225_138:
	s_or_b64 exec, exec, s[4:5]
	s_and_saveexec_b64 s[4:5], s[42:43]
	s_cbranch_execnz .LBB1225_224
.LBB1225_139:
	s_or_b64 exec, exec, s[4:5]
	s_and_saveexec_b64 s[4:5], s[44:45]
	s_cbranch_execnz .LBB1225_225
.LBB1225_140:
	s_or_b64 exec, exec, s[4:5]
	s_and_saveexec_b64 s[4:5], s[46:47]
	s_cbranch_execz .LBB1225_142
.LBB1225_141:
	v_add_co_u32_e32 v0, vcc, 0x7000, v0
	v_addc_co_u32_e32 v1, vcc, 0, v1, vcc
	flat_store_dwordx2 v[0:1], v[10:11] offset:2048
.LBB1225_142:
	s_or_b64 exec, exec, s[4:5]
                                        ; implicit-def: $vgpr246
                                        ; implicit-def: $vgpr0
                                        ; implicit-def: $vgpr1
                                        ; implicit-def: $vgpr2
                                        ; implicit-def: $vgpr3
                                        ; implicit-def: $vgpr4
                                        ; implicit-def: $vgpr5
                                        ; implicit-def: $vgpr6
                                        ; implicit-def: $vgpr7
                                        ; implicit-def: $vgpr8
                                        ; implicit-def: $vgpr10
                                        ; implicit-def: $vgpr11
                                        ; implicit-def: $vgpr12
                                        ; implicit-def: $vgpr31
                                        ; implicit-def: $vgpr20
                                        ; implicit-def: $vgpr22
                                        ; implicit-def: $vgpr14
.LBB1225_143:
	s_andn2_saveexec_b64 s[4:5], s[60:61]
	s_cbranch_execz .LBB1225_372
; %bb.144:
	s_movk_i32 s4, 0x400
	v_cmp_lt_u32_e32 vcc, s4, v246
	s_and_saveexec_b64 s[4:5], vcc
	s_xor_b64 s[46:47], exec, s[4:5]
	s_cbranch_execz .LBB1225_252
; %bb.145:
	s_load_dwordx2 s[4:5], s[8:9], 0x0
	v_mov_b32_e32 v9, 0
	v_lshlrev_b64 v[48:49], 3, v[8:9]
	v_and_b32_e32 v13, 0x3ff, v31
	v_mbcnt_hi_u32_b32 v32, -1, v14
	s_waitcnt lgkmcnt(0)
	s_cmp_lt_u32 s13, s5
	s_cselect_b32 s5, 14, 20
	s_add_u32 s6, s8, s5
	s_addc_u32 s7, s9, 0
	s_cmp_lt_u32 s12, s4
	s_cselect_b32 s4, 12, 18
	s_add_u32 s4, s8, s4
	global_load_ushort v16, v9, s[6:7]
	s_addc_u32 s5, s9, 0
	global_load_ushort v17, v9, s[4:5]
	v_mov_b32_e32 v14, -1
	v_add_co_u32_e32 v8, vcc, v0, v48
	v_addc_co_u32_e32 v18, vcc, v1, v49, vcc
	v_and_b32_e32 v33, 63, v32
	v_lshlrev_b32_e32 v34, 3, v33
	v_bfrev_b32_e32 v15, -2
	s_waitcnt vmcnt(0)
	v_mad_u32_u24 v0, v22, v16, v20
	v_add_co_u32_e32 v16, vcc, v8, v34
	v_mad_u64_u32 v[0:1], s[4:5], v0, v17, v[13:14]
	v_addc_co_u32_e32 v17, vcc, 0, v18, vcc
	v_lshlrev_b32_e32 v1, 3, v0
	v_and_b32_e32 v8, 0xfffffe00, v1
	v_lshlrev_b64 v[28:29], 3, v[8:9]
	v_or_b32_e32 v1, v8, v33
	v_add_co_u32_e64 v30, s[4:5], v16, v28
	v_mov_b32_e32 v8, v14
	v_cmp_lt_u32_e32 vcc, v1, v246
	v_addc_co_u32_e64 v31, s[4:5], v17, v29, s[4:5]
	v_mov_b32_e32 v9, v15
	s_and_saveexec_b64 s[4:5], vcc
	s_cbranch_execz .LBB1225_147
; %bb.146:
	flat_load_dwordx2 v[8:9], v[30:31]
.LBB1225_147:
	s_or_b64 exec, exec, s[4:5]
	v_or_b32_e32 v16, 64, v1
	v_cmp_lt_u32_e64 s[4:5], v16, v246
	s_and_saveexec_b64 s[6:7], s[4:5]
	s_cbranch_execz .LBB1225_149
; %bb.148:
	flat_load_dwordx2 v[14:15], v[30:31] offset:512
.LBB1225_149:
	s_or_b64 exec, exec, s[6:7]
	v_or_b32_e32 v16, 0x80, v1
	v_bfrev_b32_e32 v17, -2
	v_cmp_lt_u32_e64 s[6:7], v16, v246
	v_mov_b32_e32 v16, -1
	v_mov_b32_e32 v19, v17
	v_mov_b32_e32 v18, v16
	s_and_saveexec_b64 s[10:11], s[6:7]
	s_cbranch_execz .LBB1225_151
; %bb.150:
	flat_load_dwordx2 v[18:19], v[30:31] offset:1024
.LBB1225_151:
	s_or_b64 exec, exec, s[10:11]
	v_or_b32_e32 v20, 0xc0, v1
	v_cmp_lt_u32_e64 s[10:11], v20, v246
	s_and_saveexec_b64 s[14:15], s[10:11]
	s_cbranch_execz .LBB1225_153
; %bb.152:
	flat_load_dwordx2 v[16:17], v[30:31] offset:1536
.LBB1225_153:
	s_or_b64 exec, exec, s[14:15]
	v_or_b32_e32 v20, 0x100, v1
	v_bfrev_b32_e32 v21, -2
	v_cmp_lt_u32_e64 s[20:21], v20, v246
	v_mov_b32_e32 v20, -1
	v_mov_b32_e32 v23, v21
	v_mov_b32_e32 v22, v20
	s_and_saveexec_b64 s[14:15], s[20:21]
	s_cbranch_execz .LBB1225_155
; %bb.154:
	flat_load_dwordx2 v[22:23], v[30:31] offset:2048
.LBB1225_155:
	;; [unrolled: 20-line block ×3, first 2 shown]
	s_or_b64 exec, exec, s[18:19]
	v_or_b32_e32 v1, 0x1c0, v1
	v_cmp_lt_u32_e64 s[18:19], v1, v246
	s_and_saveexec_b64 s[22:23], s[18:19]
	s_cbranch_execz .LBB1225_161
; %bb.160:
	flat_load_dwordx2 v[24:25], v[30:31] offset:3584
.LBB1225_161:
	s_or_b64 exec, exec, s[22:23]
	v_add_co_u32_e64 v1, s[22:23], v4, v48
	v_addc_co_u32_e64 v4, s[22:23], v5, v49, s[22:23]
	v_add_co_u32_e64 v1, s[22:23], v1, v34
	v_addc_co_u32_e64 v5, s[22:23], 0, v4, s[22:23]
	;; [unrolled: 2-line block ×3, first 2 shown]
                                        ; implicit-def: $vgpr54_vgpr55
	s_and_saveexec_b64 s[22:23], vcc
	s_cbranch_execnz .LBB1225_285
; %bb.162:
	s_or_b64 exec, exec, s[22:23]
                                        ; implicit-def: $vgpr64_vgpr65
	s_and_saveexec_b64 s[22:23], s[4:5]
	s_cbranch_execnz .LBB1225_286
.LBB1225_163:
	s_or_b64 exec, exec, s[22:23]
                                        ; implicit-def: $vgpr66_vgpr67
	s_and_saveexec_b64 s[4:5], s[6:7]
	s_cbranch_execnz .LBB1225_287
.LBB1225_164:
	s_or_b64 exec, exec, s[4:5]
                                        ; implicit-def: $vgpr68_vgpr69
	s_and_saveexec_b64 s[4:5], s[10:11]
	s_cbranch_execnz .LBB1225_288
.LBB1225_165:
	s_or_b64 exec, exec, s[4:5]
                                        ; implicit-def: $vgpr70_vgpr71
	s_and_saveexec_b64 s[4:5], s[20:21]
	s_cbranch_execnz .LBB1225_289
.LBB1225_166:
	s_or_b64 exec, exec, s[4:5]
                                        ; implicit-def: $vgpr80_vgpr81
	s_and_saveexec_b64 s[4:5], s[14:15]
	s_cbranch_execnz .LBB1225_290
.LBB1225_167:
	s_or_b64 exec, exec, s[4:5]
                                        ; implicit-def: $vgpr82_vgpr83
	s_and_saveexec_b64 s[4:5], s[16:17]
	s_cbranch_execnz .LBB1225_291
.LBB1225_168:
	s_or_b64 exec, exec, s[4:5]
                                        ; implicit-def: $vgpr86_vgpr87
	s_and_saveexec_b64 s[4:5], s[18:19]
	s_cbranch_execz .LBB1225_170
.LBB1225_169:
	flat_load_dwordx2 v[86:87], v[4:5] offset:3584
.LBB1225_170:
	s_or_b64 exec, exec, s[4:5]
	s_waitcnt vmcnt(0) lgkmcnt(0)
	v_cmp_lt_i64_e32 vcc, -1, v[8:9]
	v_bfrev_b32_e32 v1, 1
	v_cndmask_b32_e32 v4, -1, v1, vcc
	v_cmp_lt_i64_e32 vcc, -1, v[14:15]
	v_xor_b32_e32 v85, v4, v9
	v_cndmask_b32_e32 v4, -1, v1, vcc
	v_cmp_lt_i64_e32 vcc, -1, v[18:19]
	v_xor_b32_e32 v97, v4, v15
	;; [unrolled: 3-line block ×6, first 2 shown]
	v_cndmask_b32_e32 v4, -1, v1, vcc
	v_cmp_lt_i64_e32 vcc, -1, v[24:25]
	v_ashrrev_i32_e32 v5, 31, v9
	v_xor_b32_e32 v84, v5, v8
	v_ashrrev_i32_e32 v5, 31, v15
	v_xor_b32_e32 v115, v4, v27
	v_cndmask_b32_e32 v4, -1, v1, vcc
	v_xor_b32_e32 v96, v5, v14
	v_ashrrev_i32_e32 v5, 31, v19
	v_xor_b32_e32 v117, v4, v25
	v_lshl_add_u32 v4, v13, 4, v12
	v_xor_b32_e32 v98, v5, v18
	v_ashrrev_i32_e32 v5, 31, v17
	s_getpc_b64 s[4:5]
	s_add_u32 s4, s4, _ZN7rocprim17ROCPRIM_400000_NS16block_radix_sortIdLj256ELj8ElLj1ELj1ELj8ELNS0_26block_radix_rank_algorithmE2ELNS0_18block_padding_hintE2ELNS0_4arch9wavefront6targetE1EE19radix_bits_per_passE@rel32@lo+4
	s_addc_u32 s5, s5, _ZN7rocprim17ROCPRIM_400000_NS16block_radix_sortIdLj256ELj8ElLj1ELj1ELj8ELNS0_26block_radix_rank_algorithmE2ELNS0_18block_padding_hintE2ELNS0_4arch9wavefront6targetE1EE19radix_bits_per_passE@rel32@hi+12
	v_add_u32_e32 v118, 16, v4
	v_add_u32_e32 v119, 20, v4
	;; [unrolled: 1-line block ×4, first 2 shown]
	v_and_b32_e32 v4, 15, v32
	v_xor_b32_e32 v100, v5, v16
	v_ashrrev_i32_e32 v5, 31, v23
	s_load_dword s72, s[4:5], 0x0
	v_cmp_eq_u32_e32 vcc, 0, v4
	v_cmp_lt_u32_e64 s[4:5], 1, v4
	v_cmp_lt_u32_e64 s[6:7], 3, v4
	;; [unrolled: 1-line block ×3, first 2 shown]
	v_and_b32_e32 v4, 16, v32
	v_xor_b32_e32 v102, v5, v22
	v_ashrrev_i32_e32 v5, 31, v21
	v_cmp_eq_u32_e64 s[40:41], 0, v4
	v_and_b32_e32 v4, 0x3c0, v13
	v_xor_b32_e32 v112, v5, v20
	v_ashrrev_i32_e32 v5, 31, v27
	v_min_u32_e32 v4, 0xc0, v4
	v_xor_b32_e32 v114, v5, v26
	v_ashrrev_i32_e32 v5, 31, v25
	v_or_b32_e32 v4, 63, v4
	v_xor_b32_e32 v116, v5, v24
	v_cmp_eq_u32_e64 s[16:17], v13, v4
	v_subrev_co_u32_e64 v4, s[22:23], 1, v32
	v_and_b32_e32 v5, 64, v32
	v_cmp_lt_i32_e64 s[24:25], v4, v5
	v_cndmask_b32_e64 v4, v4, v32, s[24:25]
	v_lshlrev_b32_e32 v131, 2, v4
	v_lshrrev_b32_e32 v4, 4, v13
	v_and_b32_e32 v4, 60, v4
	v_add_u32_e32 v132, v12, v4
	v_and_b32_e32 v4, 3, v32
	v_cmp_eq_u32_e64 s[26:27], 0, v4
	v_cmp_lt_u32_e64 s[28:29], 1, v4
	v_lshlrev_b32_e32 v4, 3, v13
	s_movk_i32 s42, 0x1e00
	v_and_or_b32 v4, v4, s42, v33
	s_mov_b32 s56, -1
	v_lshl_add_u32 v135, v4, 3, v12
	s_brev_b32 s57, -2
	v_lshrrev_b32_e32 v130, 6, v0
	v_cmp_lt_u32_e64 s[14:15], 31, v32
	v_cmp_gt_u32_e64 s[18:19], 4, v13
	v_cmp_lt_u32_e64 s[20:21], 63, v13
	v_cmp_eq_u32_e64 s[24:25], 0, v13
	v_mov_b32_e32 v5, 0
	v_lshl_add_u32 v133, v13, 2, v12
	v_add_u32_e32 v134, -4, v132
	v_add_u32_e32 v144, 0x200, v135
	v_add_u32_e32 v145, 0x400, v135
	;; [unrolled: 1-line block ×7, first 2 shown]
	v_sub_u32_e32 v151, v11, v10
	s_mov_b64 s[60:61], 0
	s_waitcnt lgkmcnt(0)
	s_barrier
	s_branch .LBB1225_172
.LBB1225_171:                           ;   in Loop: Header=BB1225_172 Depth=1
	s_or_b64 exec, exec, s[44:45]
	s_and_b64 s[42:43], exec, s[62:63]
	s_or_b64 s[60:61], s[42:43], s[60:61]
	s_andn2_b64 exec, exec, s[60:61]
	s_cbranch_execz .LBB1225_226
.LBB1225_172:                           ; =>This Inner Loop Header: Depth=1
	v_mov_b32_e32 v38, v84
	v_mov_b32_e32 v39, v85
	v_cmp_ne_u64_e64 s[42:43], s[56:57], v[38:39]
	v_mov_b32_e32 v52, v54
	v_mov_b32_e32 v53, v55
	v_min_u32_e32 v4, s72, v151
	v_cndmask_b32_e64 v55, v1, v39, s[42:43]
	v_cndmask_b32_e64 v54, 0, v38, s[42:43]
	v_mov_b32_e32 v22, v66
	v_lshlrev_b32_e64 v4, v4, -1
	v_lshrrev_b64 v[54:55], v10, v[54:55]
	v_mov_b32_e32 v50, v64
	v_mov_b32_e32 v23, v67
	v_not_b32_e32 v67, v4
	v_mov_b32_e32 v51, v65
	v_and_b32_e32 v64, v54, v67
	v_lshl_add_u32 v4, v64, 2, v130
	v_lshlrev_b64 v[54:55], 2, v[4:5]
	v_mov_b32_e32 v20, v68
	v_add_co_u32_e64 v4, s[42:43], v12, v54
	v_add_co_u32_e64 v4, s[42:43], 16, v4
	v_and_b32_e32 v54, 1, v64
	v_add_co_u32_e64 v55, s[42:43], -1, v54
	v_addc_co_u32_e64 v65, s[42:43], 0, -1, s[42:43]
	v_cmp_ne_u32_e64 s[42:43], 0, v54
	v_xor_b32_e32 v54, s43, v65
	v_xor_b32_e32 v55, s42, v55
	v_and_b32_e32 v65, exec_hi, v54
	v_and_b32_e32 v66, exec_lo, v55
	v_lshlrev_b32_e32 v55, 30, v64
	v_mov_b32_e32 v54, v5
	v_cmp_gt_i64_e64 s[42:43], 0, v[54:55]
	v_not_b32_e32 v54, v55
	v_ashrrev_i32_e32 v54, 31, v54
	v_xor_b32_e32 v55, s43, v54
	v_xor_b32_e32 v54, s42, v54
	v_and_b32_e32 v65, v65, v55
	v_and_b32_e32 v66, v66, v54
	v_lshlrev_b32_e32 v55, 29, v64
	v_mov_b32_e32 v54, v5
	v_cmp_gt_i64_e64 s[42:43], 0, v[54:55]
	v_not_b32_e32 v54, v55
	v_ashrrev_i32_e32 v54, 31, v54
	v_xor_b32_e32 v55, s43, v54
	v_xor_b32_e32 v54, s42, v54
	v_and_b32_e32 v65, v65, v55
	v_and_b32_e32 v66, v66, v54
	;; [unrolled: 9-line block ×7, first 2 shown]
	v_mbcnt_lo_u32_b32 v64, v54, 0
	v_mbcnt_hi_u32_b32 v64, v55, v64
	v_cmp_ne_u64_e64 s[42:43], 0, v[54:55]
	v_mov_b32_e32 v18, v70
	v_mov_b32_e32 v16, v80
	;; [unrolled: 1-line block ×11, first 2 shown]
	v_cmp_eq_u32_e64 s[44:45], 0, v64
	v_mov_b32_e32 v21, v69
	v_mov_b32_e32 v19, v71
	;; [unrolled: 1-line block ×12, first 2 shown]
	s_and_b64 s[44:45], s[42:43], s[44:45]
	ds_write_b32 v118, v5
	ds_write_b32 v119, v5
	;; [unrolled: 1-line block ×4, first 2 shown]
	s_waitcnt lgkmcnt(0)
	s_barrier
	; wave barrier
	s_and_saveexec_b64 s[42:43], s[44:45]
; %bb.173:                              ;   in Loop: Header=BB1225_172 Depth=1
	v_bcnt_u32_b32 v54, v54, 0
	v_bcnt_u32_b32 v54, v55, v54
	ds_write_b32 v4, v54
; %bb.174:                              ;   in Loop: Header=BB1225_172 Depth=1
	s_or_b64 exec, exec, s[42:43]
	v_cmp_ne_u64_e64 s[42:43], s[56:57], v[36:37]
	v_cndmask_b32_e64 v55, v1, v37, s[42:43]
	v_cndmask_b32_e64 v54, 0, v36, s[42:43]
	v_lshrrev_b64 v[54:55], v10, v[54:55]
	; wave barrier
	v_and_b32_e32 v68, v54, v67
	v_lshl_add_u32 v54, v68, 2, v130
	v_lshl_add_u32 v54, v54, 2, v12
	v_add_u32_e32 v66, 16, v54
	ds_read_b32 v65, v54 offset:16
	v_and_b32_e32 v54, 1, v68
	v_add_co_u32_e64 v55, s[42:43], -1, v54
	v_addc_co_u32_e64 v69, s[42:43], 0, -1, s[42:43]
	v_cmp_ne_u32_e64 s[42:43], 0, v54
	v_xor_b32_e32 v54, s43, v69
	v_xor_b32_e32 v55, s42, v55
	v_and_b32_e32 v69, exec_hi, v54
	v_and_b32_e32 v70, exec_lo, v55
	v_lshlrev_b32_e32 v55, 30, v68
	v_mov_b32_e32 v54, v5
	v_cmp_gt_i64_e64 s[42:43], 0, v[54:55]
	v_not_b32_e32 v54, v55
	v_ashrrev_i32_e32 v54, 31, v54
	v_xor_b32_e32 v55, s43, v54
	v_xor_b32_e32 v54, s42, v54
	v_and_b32_e32 v69, v69, v55
	v_and_b32_e32 v70, v70, v54
	v_lshlrev_b32_e32 v55, 29, v68
	v_mov_b32_e32 v54, v5
	v_cmp_gt_i64_e64 s[42:43], 0, v[54:55]
	v_not_b32_e32 v54, v55
	v_ashrrev_i32_e32 v54, 31, v54
	v_xor_b32_e32 v55, s43, v54
	v_xor_b32_e32 v54, s42, v54
	v_and_b32_e32 v69, v69, v55
	v_and_b32_e32 v70, v70, v54
	;; [unrolled: 9-line block ×7, first 2 shown]
	v_mbcnt_lo_u32_b32 v68, v54, 0
	v_mbcnt_hi_u32_b32 v68, v55, v68
	v_cmp_ne_u64_e64 s[42:43], 0, v[54:55]
	v_cmp_eq_u32_e64 s[44:45], 0, v68
	s_and_b64 s[44:45], s[42:43], s[44:45]
	; wave barrier
	s_and_saveexec_b64 s[42:43], s[44:45]
	s_cbranch_execz .LBB1225_176
; %bb.175:                              ;   in Loop: Header=BB1225_172 Depth=1
	v_bcnt_u32_b32 v54, v54, 0
	v_bcnt_u32_b32 v54, v55, v54
	s_waitcnt lgkmcnt(0)
	v_add_u32_e32 v54, v65, v54
	ds_write_b32 v66, v54
.LBB1225_176:                           ;   in Loop: Header=BB1225_172 Depth=1
	s_or_b64 exec, exec, s[42:43]
	v_cmp_ne_u64_e64 s[42:43], s[56:57], v[34:35]
	v_cndmask_b32_e64 v55, v1, v35, s[42:43]
	v_cndmask_b32_e64 v54, 0, v34, s[42:43]
	v_lshrrev_b64 v[54:55], v10, v[54:55]
	; wave barrier
	v_and_b32_e32 v71, v54, v67
	v_lshl_add_u32 v54, v71, 2, v130
	v_lshl_add_u32 v54, v54, 2, v12
	v_add_u32_e32 v70, 16, v54
	ds_read_b32 v69, v54 offset:16
	v_and_b32_e32 v54, 1, v71
	v_add_co_u32_e64 v55, s[42:43], -1, v54
	v_addc_co_u32_e64 v80, s[42:43], 0, -1, s[42:43]
	v_cmp_ne_u32_e64 s[42:43], 0, v54
	v_xor_b32_e32 v54, s43, v80
	v_xor_b32_e32 v55, s42, v55
	v_and_b32_e32 v80, exec_hi, v54
	v_and_b32_e32 v81, exec_lo, v55
	v_lshlrev_b32_e32 v55, 30, v71
	v_mov_b32_e32 v54, v5
	v_cmp_gt_i64_e64 s[42:43], 0, v[54:55]
	v_not_b32_e32 v54, v55
	v_ashrrev_i32_e32 v54, 31, v54
	v_xor_b32_e32 v55, s43, v54
	v_xor_b32_e32 v54, s42, v54
	v_and_b32_e32 v80, v80, v55
	v_and_b32_e32 v81, v81, v54
	v_lshlrev_b32_e32 v55, 29, v71
	v_mov_b32_e32 v54, v5
	v_cmp_gt_i64_e64 s[42:43], 0, v[54:55]
	v_not_b32_e32 v54, v55
	v_ashrrev_i32_e32 v54, 31, v54
	v_xor_b32_e32 v55, s43, v54
	v_xor_b32_e32 v54, s42, v54
	v_and_b32_e32 v80, v80, v55
	v_and_b32_e32 v81, v81, v54
	;; [unrolled: 9-line block ×7, first 2 shown]
	v_mbcnt_lo_u32_b32 v71, v54, 0
	v_mbcnt_hi_u32_b32 v71, v55, v71
	v_cmp_ne_u64_e64 s[42:43], 0, v[54:55]
	v_cmp_eq_u32_e64 s[44:45], 0, v71
	s_and_b64 s[44:45], s[42:43], s[44:45]
	; wave barrier
	s_and_saveexec_b64 s[42:43], s[44:45]
	s_cbranch_execz .LBB1225_178
; %bb.177:                              ;   in Loop: Header=BB1225_172 Depth=1
	v_bcnt_u32_b32 v54, v54, 0
	v_bcnt_u32_b32 v54, v55, v54
	s_waitcnt lgkmcnt(0)
	v_add_u32_e32 v54, v69, v54
	ds_write_b32 v70, v54
.LBB1225_178:                           ;   in Loop: Header=BB1225_172 Depth=1
	s_or_b64 exec, exec, s[42:43]
	v_cmp_ne_u64_e64 s[42:43], s[56:57], v[32:33]
	v_cndmask_b32_e64 v55, v1, v33, s[42:43]
	v_cndmask_b32_e64 v54, 0, v32, s[42:43]
	v_lshrrev_b64 v[54:55], v10, v[54:55]
	; wave barrier
	v_and_b32_e32 v82, v54, v67
	v_lshl_add_u32 v54, v82, 2, v130
	v_lshl_add_u32 v54, v54, 2, v12
	v_add_u32_e32 v81, 16, v54
	ds_read_b32 v80, v54 offset:16
	v_and_b32_e32 v54, 1, v82
	v_add_co_u32_e64 v55, s[42:43], -1, v54
	v_addc_co_u32_e64 v83, s[42:43], 0, -1, s[42:43]
	v_cmp_ne_u32_e64 s[42:43], 0, v54
	v_xor_b32_e32 v54, s43, v83
	v_xor_b32_e32 v55, s42, v55
	v_and_b32_e32 v83, exec_hi, v54
	v_and_b32_e32 v84, exec_lo, v55
	v_lshlrev_b32_e32 v55, 30, v82
	v_mov_b32_e32 v54, v5
	v_cmp_gt_i64_e64 s[42:43], 0, v[54:55]
	v_not_b32_e32 v54, v55
	v_ashrrev_i32_e32 v54, 31, v54
	v_xor_b32_e32 v55, s43, v54
	v_xor_b32_e32 v54, s42, v54
	v_and_b32_e32 v83, v83, v55
	v_and_b32_e32 v84, v84, v54
	v_lshlrev_b32_e32 v55, 29, v82
	v_mov_b32_e32 v54, v5
	v_cmp_gt_i64_e64 s[42:43], 0, v[54:55]
	v_not_b32_e32 v54, v55
	v_ashrrev_i32_e32 v54, 31, v54
	v_xor_b32_e32 v55, s43, v54
	v_xor_b32_e32 v54, s42, v54
	v_and_b32_e32 v83, v83, v55
	v_and_b32_e32 v84, v84, v54
	;; [unrolled: 9-line block ×7, first 2 shown]
	v_mbcnt_lo_u32_b32 v82, v54, 0
	v_mbcnt_hi_u32_b32 v82, v55, v82
	v_cmp_ne_u64_e64 s[42:43], 0, v[54:55]
	v_cmp_eq_u32_e64 s[44:45], 0, v82
	s_and_b64 s[44:45], s[42:43], s[44:45]
	; wave barrier
	s_and_saveexec_b64 s[42:43], s[44:45]
	s_cbranch_execz .LBB1225_180
; %bb.179:                              ;   in Loop: Header=BB1225_172 Depth=1
	v_bcnt_u32_b32 v54, v54, 0
	v_bcnt_u32_b32 v54, v55, v54
	s_waitcnt lgkmcnt(0)
	v_add_u32_e32 v54, v80, v54
	ds_write_b32 v81, v54
.LBB1225_180:                           ;   in Loop: Header=BB1225_172 Depth=1
	s_or_b64 exec, exec, s[42:43]
	v_cmp_ne_u64_e64 s[42:43], s[56:57], v[30:31]
	v_cndmask_b32_e64 v55, v1, v31, s[42:43]
	v_cndmask_b32_e64 v54, 0, v30, s[42:43]
	v_lshrrev_b64 v[54:55], v10, v[54:55]
	; wave barrier
	v_and_b32_e32 v85, v54, v67
	v_lshl_add_u32 v54, v85, 2, v130
	v_lshl_add_u32 v54, v54, 2, v12
	v_add_u32_e32 v84, 16, v54
	ds_read_b32 v83, v54 offset:16
	v_and_b32_e32 v54, 1, v85
	v_add_co_u32_e64 v55, s[42:43], -1, v54
	v_addc_co_u32_e64 v86, s[42:43], 0, -1, s[42:43]
	v_cmp_ne_u32_e64 s[42:43], 0, v54
	v_xor_b32_e32 v54, s43, v86
	v_xor_b32_e32 v55, s42, v55
	v_and_b32_e32 v86, exec_hi, v54
	v_and_b32_e32 v87, exec_lo, v55
	v_lshlrev_b32_e32 v55, 30, v85
	v_mov_b32_e32 v54, v5
	v_cmp_gt_i64_e64 s[42:43], 0, v[54:55]
	v_not_b32_e32 v54, v55
	v_ashrrev_i32_e32 v54, 31, v54
	v_xor_b32_e32 v55, s43, v54
	v_xor_b32_e32 v54, s42, v54
	v_and_b32_e32 v86, v86, v55
	v_and_b32_e32 v87, v87, v54
	v_lshlrev_b32_e32 v55, 29, v85
	v_mov_b32_e32 v54, v5
	v_cmp_gt_i64_e64 s[42:43], 0, v[54:55]
	v_not_b32_e32 v54, v55
	v_ashrrev_i32_e32 v54, 31, v54
	v_xor_b32_e32 v55, s43, v54
	v_xor_b32_e32 v54, s42, v54
	v_and_b32_e32 v86, v86, v55
	v_and_b32_e32 v87, v87, v54
	;; [unrolled: 9-line block ×7, first 2 shown]
	v_mbcnt_lo_u32_b32 v85, v54, 0
	v_mbcnt_hi_u32_b32 v85, v55, v85
	v_cmp_ne_u64_e64 s[42:43], 0, v[54:55]
	v_cmp_eq_u32_e64 s[44:45], 0, v85
	s_and_b64 s[44:45], s[42:43], s[44:45]
	; wave barrier
	s_and_saveexec_b64 s[42:43], s[44:45]
	s_cbranch_execz .LBB1225_182
; %bb.181:                              ;   in Loop: Header=BB1225_172 Depth=1
	v_bcnt_u32_b32 v54, v54, 0
	v_bcnt_u32_b32 v54, v55, v54
	s_waitcnt lgkmcnt(0)
	v_add_u32_e32 v54, v83, v54
	ds_write_b32 v84, v54
.LBB1225_182:                           ;   in Loop: Header=BB1225_172 Depth=1
	s_or_b64 exec, exec, s[42:43]
	v_cmp_ne_u64_e64 s[42:43], s[56:57], v[28:29]
	v_cndmask_b32_e64 v55, v1, v29, s[42:43]
	v_cndmask_b32_e64 v54, 0, v28, s[42:43]
	v_lshrrev_b64 v[54:55], v10, v[54:55]
	; wave barrier
	v_and_b32_e32 v96, v54, v67
	v_lshl_add_u32 v54, v96, 2, v130
	v_lshl_add_u32 v54, v54, 2, v12
	v_add_u32_e32 v87, 16, v54
	ds_read_b32 v86, v54 offset:16
	v_and_b32_e32 v54, 1, v96
	v_add_co_u32_e64 v55, s[42:43], -1, v54
	v_addc_co_u32_e64 v97, s[42:43], 0, -1, s[42:43]
	v_cmp_ne_u32_e64 s[42:43], 0, v54
	v_xor_b32_e32 v54, s43, v97
	v_xor_b32_e32 v55, s42, v55
	v_and_b32_e32 v97, exec_hi, v54
	v_and_b32_e32 v98, exec_lo, v55
	v_lshlrev_b32_e32 v55, 30, v96
	v_mov_b32_e32 v54, v5
	v_cmp_gt_i64_e64 s[42:43], 0, v[54:55]
	v_not_b32_e32 v54, v55
	v_ashrrev_i32_e32 v54, 31, v54
	v_xor_b32_e32 v55, s43, v54
	v_xor_b32_e32 v54, s42, v54
	v_and_b32_e32 v97, v97, v55
	v_and_b32_e32 v98, v98, v54
	v_lshlrev_b32_e32 v55, 29, v96
	v_mov_b32_e32 v54, v5
	v_cmp_gt_i64_e64 s[42:43], 0, v[54:55]
	v_not_b32_e32 v54, v55
	v_ashrrev_i32_e32 v54, 31, v54
	v_xor_b32_e32 v55, s43, v54
	v_xor_b32_e32 v54, s42, v54
	v_and_b32_e32 v97, v97, v55
	v_and_b32_e32 v98, v98, v54
	;; [unrolled: 9-line block ×7, first 2 shown]
	v_mbcnt_lo_u32_b32 v96, v54, 0
	v_mbcnt_hi_u32_b32 v96, v55, v96
	v_cmp_ne_u64_e64 s[42:43], 0, v[54:55]
	v_cmp_eq_u32_e64 s[44:45], 0, v96
	s_and_b64 s[44:45], s[42:43], s[44:45]
	; wave barrier
	s_and_saveexec_b64 s[42:43], s[44:45]
	s_cbranch_execz .LBB1225_184
; %bb.183:                              ;   in Loop: Header=BB1225_172 Depth=1
	v_bcnt_u32_b32 v54, v54, 0
	v_bcnt_u32_b32 v54, v55, v54
	s_waitcnt lgkmcnt(0)
	v_add_u32_e32 v54, v86, v54
	ds_write_b32 v87, v54
.LBB1225_184:                           ;   in Loop: Header=BB1225_172 Depth=1
	s_or_b64 exec, exec, s[42:43]
	v_cmp_ne_u64_e64 s[42:43], s[56:57], v[26:27]
	v_cndmask_b32_e64 v55, v1, v27, s[42:43]
	v_cndmask_b32_e64 v54, 0, v26, s[42:43]
	v_lshrrev_b64 v[54:55], v10, v[54:55]
	; wave barrier
	v_and_b32_e32 v99, v54, v67
	v_lshl_add_u32 v54, v99, 2, v130
	v_lshl_add_u32 v54, v54, 2, v12
	v_add_u32_e32 v98, 16, v54
	ds_read_b32 v97, v54 offset:16
	v_and_b32_e32 v54, 1, v99
	v_add_co_u32_e64 v55, s[42:43], -1, v54
	v_addc_co_u32_e64 v100, s[42:43], 0, -1, s[42:43]
	v_cmp_ne_u32_e64 s[42:43], 0, v54
	v_xor_b32_e32 v54, s43, v100
	v_xor_b32_e32 v55, s42, v55
	v_and_b32_e32 v100, exec_hi, v54
	v_and_b32_e32 v101, exec_lo, v55
	v_lshlrev_b32_e32 v55, 30, v99
	v_mov_b32_e32 v54, v5
	v_cmp_gt_i64_e64 s[42:43], 0, v[54:55]
	v_not_b32_e32 v54, v55
	v_ashrrev_i32_e32 v54, 31, v54
	v_xor_b32_e32 v55, s43, v54
	v_xor_b32_e32 v54, s42, v54
	v_and_b32_e32 v100, v100, v55
	v_and_b32_e32 v101, v101, v54
	v_lshlrev_b32_e32 v55, 29, v99
	v_mov_b32_e32 v54, v5
	v_cmp_gt_i64_e64 s[42:43], 0, v[54:55]
	v_not_b32_e32 v54, v55
	v_ashrrev_i32_e32 v54, 31, v54
	v_xor_b32_e32 v55, s43, v54
	v_xor_b32_e32 v54, s42, v54
	v_and_b32_e32 v100, v100, v55
	v_and_b32_e32 v101, v101, v54
	;; [unrolled: 9-line block ×7, first 2 shown]
	v_mbcnt_lo_u32_b32 v99, v54, 0
	v_mbcnt_hi_u32_b32 v99, v55, v99
	v_cmp_ne_u64_e64 s[42:43], 0, v[54:55]
	v_cmp_eq_u32_e64 s[44:45], 0, v99
	s_and_b64 s[44:45], s[42:43], s[44:45]
	; wave barrier
	s_and_saveexec_b64 s[42:43], s[44:45]
	s_cbranch_execz .LBB1225_186
; %bb.185:                              ;   in Loop: Header=BB1225_172 Depth=1
	v_bcnt_u32_b32 v54, v54, 0
	v_bcnt_u32_b32 v54, v55, v54
	s_waitcnt lgkmcnt(0)
	v_add_u32_e32 v54, v97, v54
	ds_write_b32 v98, v54
.LBB1225_186:                           ;   in Loop: Header=BB1225_172 Depth=1
	s_or_b64 exec, exec, s[42:43]
	v_cmp_ne_u64_e64 s[42:43], s[56:57], v[24:25]
	v_cndmask_b32_e64 v55, v1, v25, s[42:43]
	v_cndmask_b32_e64 v54, 0, v24, s[42:43]
	v_lshrrev_b64 v[54:55], v10, v[54:55]
	; wave barrier
	v_and_b32_e32 v101, v54, v67
	v_lshl_add_u32 v54, v101, 2, v130
	v_lshl_add_u32 v54, v54, 2, v12
	v_add_u32_e32 v100, 16, v54
	ds_read_b32 v67, v54 offset:16
	v_and_b32_e32 v54, 1, v101
	v_add_co_u32_e64 v55, s[42:43], -1, v54
	v_addc_co_u32_e64 v102, s[42:43], 0, -1, s[42:43]
	v_cmp_ne_u32_e64 s[42:43], 0, v54
	v_xor_b32_e32 v54, s43, v102
	v_xor_b32_e32 v55, s42, v55
	v_and_b32_e32 v102, exec_hi, v54
	v_and_b32_e32 v103, exec_lo, v55
	v_lshlrev_b32_e32 v55, 30, v101
	v_mov_b32_e32 v54, v5
	v_cmp_gt_i64_e64 s[42:43], 0, v[54:55]
	v_not_b32_e32 v54, v55
	v_ashrrev_i32_e32 v54, 31, v54
	v_xor_b32_e32 v55, s43, v54
	v_xor_b32_e32 v54, s42, v54
	v_and_b32_e32 v102, v102, v55
	v_and_b32_e32 v103, v103, v54
	v_lshlrev_b32_e32 v55, 29, v101
	v_mov_b32_e32 v54, v5
	v_cmp_gt_i64_e64 s[42:43], 0, v[54:55]
	v_not_b32_e32 v54, v55
	v_ashrrev_i32_e32 v54, 31, v54
	v_xor_b32_e32 v55, s43, v54
	v_xor_b32_e32 v54, s42, v54
	v_and_b32_e32 v102, v102, v55
	v_and_b32_e32 v103, v103, v54
	;; [unrolled: 9-line block ×7, first 2 shown]
	v_mbcnt_lo_u32_b32 v101, v54, 0
	v_mbcnt_hi_u32_b32 v101, v55, v101
	v_cmp_ne_u64_e64 s[42:43], 0, v[54:55]
	v_cmp_eq_u32_e64 s[44:45], 0, v101
	s_and_b64 s[44:45], s[42:43], s[44:45]
	; wave barrier
	s_and_saveexec_b64 s[42:43], s[44:45]
	s_cbranch_execz .LBB1225_188
; %bb.187:                              ;   in Loop: Header=BB1225_172 Depth=1
	v_bcnt_u32_b32 v54, v54, 0
	v_bcnt_u32_b32 v54, v55, v54
	s_waitcnt lgkmcnt(0)
	v_add_u32_e32 v54, v67, v54
	ds_write_b32 v100, v54
.LBB1225_188:                           ;   in Loop: Header=BB1225_172 Depth=1
	s_or_b64 exec, exec, s[42:43]
	; wave barrier
	s_waitcnt lgkmcnt(0)
	s_barrier
	ds_read_b32 v102, v118
	ds_read_b32 v55, v119
	;; [unrolled: 1-line block ×4, first 2 shown]
	s_waitcnt lgkmcnt(2)
	v_add_u32_e32 v112, v55, v102
	s_waitcnt lgkmcnt(0)
	v_add3_u32 v103, v112, v54, v103
	s_nop 1
	v_mov_b32_dpp v112, v103 row_shr:1 row_mask:0xf bank_mask:0xf
	v_cndmask_b32_e64 v112, v112, 0, vcc
	v_add_u32_e32 v103, v112, v103
	s_nop 1
	v_mov_b32_dpp v112, v103 row_shr:2 row_mask:0xf bank_mask:0xf
	v_cndmask_b32_e64 v112, 0, v112, s[4:5]
	v_add_u32_e32 v103, v103, v112
	s_nop 1
	v_mov_b32_dpp v112, v103 row_shr:4 row_mask:0xf bank_mask:0xf
	v_cndmask_b32_e64 v112, 0, v112, s[6:7]
	;; [unrolled: 4-line block ×3, first 2 shown]
	v_add_u32_e32 v103, v103, v112
	s_nop 1
	v_mov_b32_dpp v112, v103 row_bcast:15 row_mask:0xf bank_mask:0xf
	v_cndmask_b32_e64 v112, v112, 0, s[40:41]
	v_add_u32_e32 v103, v103, v112
	s_nop 1
	v_mov_b32_dpp v112, v103 row_bcast:31 row_mask:0xf bank_mask:0xf
	v_cndmask_b32_e64 v112, 0, v112, s[14:15]
	v_add_u32_e32 v103, v103, v112
	s_and_saveexec_b64 s[42:43], s[16:17]
; %bb.189:                              ;   in Loop: Header=BB1225_172 Depth=1
	ds_write_b32 v132, v103
; %bb.190:                              ;   in Loop: Header=BB1225_172 Depth=1
	s_or_b64 exec, exec, s[42:43]
	s_waitcnt lgkmcnt(0)
	s_barrier
	s_and_saveexec_b64 s[42:43], s[18:19]
	s_cbranch_execz .LBB1225_192
; %bb.191:                              ;   in Loop: Header=BB1225_172 Depth=1
	ds_read_b32 v112, v133
	s_waitcnt lgkmcnt(0)
	s_nop 0
	v_mov_b32_dpp v113, v112 row_shr:1 row_mask:0xf bank_mask:0xf
	v_cndmask_b32_e64 v113, v113, 0, s[26:27]
	v_add_u32_e32 v112, v113, v112
	s_nop 1
	v_mov_b32_dpp v113, v112 row_shr:2 row_mask:0xf bank_mask:0xf
	v_cndmask_b32_e64 v113, 0, v113, s[28:29]
	v_add_u32_e32 v112, v112, v113
	ds_write_b32 v133, v112
.LBB1225_192:                           ;   in Loop: Header=BB1225_172 Depth=1
	s_or_b64 exec, exec, s[42:43]
	v_mov_b32_e32 v112, 0
	s_waitcnt lgkmcnt(0)
	s_barrier
	s_and_saveexec_b64 s[42:43], s[20:21]
; %bb.193:                              ;   in Loop: Header=BB1225_172 Depth=1
	ds_read_b32 v112, v134
; %bb.194:                              ;   in Loop: Header=BB1225_172 Depth=1
	s_or_b64 exec, exec, s[42:43]
	s_waitcnt lgkmcnt(0)
	v_add_u32_e32 v103, v112, v103
	ds_bpermute_b32 v103, v131, v103
	v_add_u32_e32 v10, 8, v10
	v_cmp_lt_u32_e64 s[42:43], v10, v11
	s_mov_b64 s[62:63], -1
                                        ; implicit-def: $vgpr114_vgpr115
                                        ; implicit-def: $vgpr116_vgpr117
	s_waitcnt lgkmcnt(0)
	v_cndmask_b32_e64 v103, v103, v112, s[22:23]
	v_cndmask_b32_e64 v103, v103, 0, s[24:25]
	v_add_u32_e32 v102, v103, v102
	v_add_u32_e32 v55, v102, v55
	;; [unrolled: 1-line block ×3, first 2 shown]
	ds_write_b32 v118, v103
	ds_write_b32 v119, v102
	;; [unrolled: 1-line block ×4, first 2 shown]
	s_waitcnt lgkmcnt(0)
	s_barrier
	ds_read_b32 v4, v4
	ds_read_b32 v54, v66
	;; [unrolled: 1-line block ×3, first 2 shown]
                                        ; implicit-def: $vgpr102_vgpr103
                                        ; implicit-def: $vgpr112_vgpr113
	s_waitcnt lgkmcnt(2)
	v_add_u32_e32 v4, v4, v64
	s_waitcnt lgkmcnt(1)
	v_add3_u32 v54, v68, v65, v54
	s_waitcnt lgkmcnt(0)
	v_add3_u32 v64, v71, v69, v55
	ds_read_b32 v55, v81
	ds_read_b32 v65, v84
	;; [unrolled: 1-line block ×5, first 2 shown]
	s_waitcnt lgkmcnt(4)
	v_add3_u32 v66, v82, v80, v55
	v_mov_b32_e32 v55, v5
	v_lshlrev_b64 v[54:55], 3, v[54:55]
	s_waitcnt lgkmcnt(3)
	v_add3_u32 v68, v85, v83, v65
	v_mov_b32_e32 v65, v5
	v_add_co_u32_e64 v160, s[44:45], v12, v54
	v_lshlrev_b64 v[54:55], 3, v[64:65]
	s_waitcnt lgkmcnt(0)
	v_add3_u32 v82, v101, v67, v81
	v_mov_b32_e32 v67, v5
	v_add_co_u32_e64 v161, s[44:45], v12, v54
	v_lshlrev_b64 v[54:55], 3, v[66:67]
	v_add3_u32 v70, v96, v86, v69
	v_mov_b32_e32 v69, v5
	v_add_co_u32_e64 v162, s[44:45], v12, v54
	v_lshlrev_b64 v[54:55], 3, v[68:69]
	;; [unrolled: 4-line block ×3, first 2 shown]
	v_lshlrev_b64 v[83:84], 3, v[4:5]
	v_mov_b32_e32 v81, v5
	v_add_co_u32_e64 v164, s[44:45], v12, v54
	v_lshlrev_b64 v[54:55], 3, v[80:81]
	v_add_co_u32_e64 v4, s[44:45], v12, v83
	v_mov_b32_e32 v83, v5
	v_add_co_u32_e64 v165, s[44:45], v12, v54
	v_lshlrev_b64 v[54:55], 3, v[82:83]
	v_add_co_u32_e64 v166, s[44:45], v12, v54
                                        ; implicit-def: $vgpr54_vgpr55
                                        ; implicit-def: $vgpr64_vgpr65
                                        ; implicit-def: $vgpr66_vgpr67
                                        ; implicit-def: $vgpr68_vgpr69
                                        ; implicit-def: $vgpr70_vgpr71
                                        ; implicit-def: $vgpr80_vgpr81
                                        ; implicit-def: $vgpr82_vgpr83
                                        ; implicit-def: $vgpr86_vgpr87
                                        ; implicit-def: $vgpr84_vgpr85
                                        ; implicit-def: $vgpr96_vgpr97
                                        ; implicit-def: $vgpr98_vgpr99
                                        ; implicit-def: $vgpr100_vgpr101
	s_and_saveexec_b64 s[44:45], s[42:43]
	s_cbranch_execz .LBB1225_171
; %bb.195:                              ;   in Loop: Header=BB1225_172 Depth=1
	s_barrier
	ds_write_b64 v4, v[38:39]
	ds_write_b64 v160, v[36:37]
	;; [unrolled: 1-line block ×8, first 2 shown]
	s_waitcnt lgkmcnt(0)
	s_barrier
	ds_read_b64 v[84:85], v135
	ds_read_b64 v[96:97], v144
	;; [unrolled: 1-line block ×8, first 2 shown]
	s_waitcnt lgkmcnt(0)
	s_barrier
	ds_write_b64 v4, v[52:53]
	ds_write_b64 v160, v[50:51]
	;; [unrolled: 1-line block ×8, first 2 shown]
	s_waitcnt lgkmcnt(0)
	s_barrier
	ds_read_b64 v[54:55], v135
	ds_read_b64 v[64:65], v144
	;; [unrolled: 1-line block ×8, first 2 shown]
	v_add_u32_e32 v151, -8, v151
	s_xor_b64 s[62:63], exec, -1
	s_waitcnt lgkmcnt(0)
	s_barrier
	s_branch .LBB1225_171
.LBB1225_196:
	flat_load_dwordx2 v[118:119], v[4:5]
	s_or_b64 exec, exec, s[62:63]
                                        ; implicit-def: $vgpr128_vgpr129
	s_and_saveexec_b64 s[4:5], s[6:7]
	s_cbranch_execz .LBB1225_36
.LBB1225_197:
	flat_load_dwordx2 v[128:129], v[4:5] offset:512
	s_or_b64 exec, exec, s[4:5]
                                        ; implicit-def: $vgpr130_vgpr131
	s_and_saveexec_b64 s[4:5], s[10:11]
	s_cbranch_execz .LBB1225_37
.LBB1225_198:
	flat_load_dwordx2 v[130:131], v[4:5] offset:1024
	s_or_b64 exec, exec, s[4:5]
                                        ; implicit-def: $vgpr132_vgpr133
	s_and_saveexec_b64 s[4:5], s[56:57]
	s_cbranch_execz .LBB1225_38
.LBB1225_199:
	flat_load_dwordx2 v[132:133], v[4:5] offset:1536
	s_or_b64 exec, exec, s[4:5]
                                        ; implicit-def: $vgpr134_vgpr135
	s_and_saveexec_b64 s[4:5], s[14:15]
	s_cbranch_execz .LBB1225_39
.LBB1225_200:
	flat_load_dwordx2 v[134:135], v[4:5] offset:2048
	s_or_b64 exec, exec, s[4:5]
                                        ; implicit-def: $vgpr144_vgpr145
	s_and_saveexec_b64 s[4:5], s[16:17]
	s_cbranch_execz .LBB1225_40
.LBB1225_201:
	flat_load_dwordx2 v[144:145], v[4:5] offset:2560
	s_or_b64 exec, exec, s[4:5]
                                        ; implicit-def: $vgpr146_vgpr147
	s_and_saveexec_b64 s[4:5], s[18:19]
	s_cbranch_execz .LBB1225_41
.LBB1225_202:
	flat_load_dwordx2 v[146:147], v[4:5] offset:3072
	s_or_b64 exec, exec, s[4:5]
                                        ; implicit-def: $vgpr148_vgpr149
	s_and_saveexec_b64 s[4:5], s[20:21]
	s_cbranch_execz .LBB1225_42
.LBB1225_203:
	flat_load_dwordx2 v[148:149], v[4:5] offset:3584
	s_or_b64 exec, exec, s[4:5]
                                        ; implicit-def: $vgpr150_vgpr151
	s_and_saveexec_b64 s[4:5], s[22:23]
	s_cbranch_execz .LBB1225_43
.LBB1225_204:
	v_add_co_u32_e32 v52, vcc, 0x1000, v4
	v_addc_co_u32_e32 v53, vcc, 0, v5, vcc
	flat_load_dwordx2 v[150:151], v[52:53]
	s_or_b64 exec, exec, s[4:5]
                                        ; implicit-def: $vgpr160_vgpr161
	s_and_saveexec_b64 s[4:5], s[24:25]
	s_cbranch_execz .LBB1225_44
.LBB1225_205:
	v_add_co_u32_e32 v52, vcc, 0x1000, v4
	v_addc_co_u32_e32 v53, vcc, 0, v5, vcc
	flat_load_dwordx2 v[160:161], v[52:53] offset:512
	s_or_b64 exec, exec, s[4:5]
                                        ; implicit-def: $vgpr162_vgpr163
	s_and_saveexec_b64 s[4:5], s[26:27]
	s_cbranch_execz .LBB1225_45
.LBB1225_206:
	v_add_co_u32_e32 v52, vcc, 0x1000, v4
	v_addc_co_u32_e32 v53, vcc, 0, v5, vcc
	flat_load_dwordx2 v[162:163], v[52:53] offset:1024
	s_or_b64 exec, exec, s[4:5]
                                        ; implicit-def: $vgpr164_vgpr165
	s_and_saveexec_b64 s[4:5], s[28:29]
	s_cbranch_execz .LBB1225_46
.LBB1225_207:
	v_add_co_u32_e32 v52, vcc, 0x1000, v4
	v_addc_co_u32_e32 v53, vcc, 0, v5, vcc
	flat_load_dwordx2 v[164:165], v[52:53] offset:1536
	s_or_b64 exec, exec, s[4:5]
                                        ; implicit-def: $vgpr166_vgpr167
	s_and_saveexec_b64 s[4:5], s[40:41]
	s_cbranch_execz .LBB1225_47
.LBB1225_208:
	v_add_co_u32_e32 v52, vcc, 0x1000, v4
	v_addc_co_u32_e32 v53, vcc, 0, v5, vcc
	flat_load_dwordx2 v[166:167], v[52:53] offset:2048
	s_or_b64 exec, exec, s[4:5]
                                        ; implicit-def: $vgpr176_vgpr177
	s_and_saveexec_b64 s[4:5], s[42:43]
	s_cbranch_execz .LBB1225_48
.LBB1225_209:
	v_add_co_u32_e32 v52, vcc, 0x1000, v4
	v_addc_co_u32_e32 v53, vcc, 0, v5, vcc
	flat_load_dwordx2 v[176:177], v[52:53] offset:2560
	s_or_b64 exec, exec, s[4:5]
                                        ; implicit-def: $vgpr182_vgpr183
	s_and_saveexec_b64 s[4:5], s[44:45]
	s_cbranch_execz .LBB1225_49
.LBB1225_210:
	v_add_co_u32_e32 v52, vcc, 0x1000, v4
	v_addc_co_u32_e32 v53, vcc, 0, v5, vcc
	flat_load_dwordx2 v[182:183], v[52:53] offset:3072
	s_or_b64 exec, exec, s[4:5]
                                        ; implicit-def: $vgpr196_vgpr197
	s_and_saveexec_b64 s[4:5], s[46:47]
	s_cbranch_execnz .LBB1225_50
	s_branch .LBB1225_51
.LBB1225_211:
	flat_store_dwordx2 v[0:1], v[36:37]
	s_or_b64 exec, exec, s[62:63]
	s_and_saveexec_b64 s[4:5], s[6:7]
	s_cbranch_execz .LBB1225_127
.LBB1225_212:
	flat_store_dwordx2 v[0:1], v[38:39] offset:2048
	s_or_b64 exec, exec, s[4:5]
	s_and_saveexec_b64 s[4:5], s[10:11]
	s_cbranch_execz .LBB1225_128
.LBB1225_213:
	v_add_co_u32_e32 v2, vcc, 0x1000, v0
	v_addc_co_u32_e32 v3, vcc, 0, v1, vcc
	flat_store_dwordx2 v[2:3], v[32:33]
	s_or_b64 exec, exec, s[4:5]
	s_and_saveexec_b64 s[4:5], s[56:57]
	s_cbranch_execz .LBB1225_129
.LBB1225_214:
	v_add_co_u32_e32 v2, vcc, 0x1000, v0
	v_addc_co_u32_e32 v3, vcc, 0, v1, vcc
	flat_store_dwordx2 v[2:3], v[34:35] offset:2048
	s_or_b64 exec, exec, s[4:5]
	s_and_saveexec_b64 s[4:5], s[14:15]
	s_cbranch_execz .LBB1225_130
.LBB1225_215:
	v_add_co_u32_e32 v2, vcc, 0x2000, v0
	v_addc_co_u32_e32 v3, vcc, 0, v1, vcc
	flat_store_dwordx2 v[2:3], v[28:29]
	s_or_b64 exec, exec, s[4:5]
	s_and_saveexec_b64 s[4:5], s[16:17]
	s_cbranch_execz .LBB1225_131
.LBB1225_216:
	v_add_co_u32_e32 v2, vcc, 0x2000, v0
	v_addc_co_u32_e32 v3, vcc, 0, v1, vcc
	flat_store_dwordx2 v[2:3], v[30:31] offset:2048
	s_or_b64 exec, exec, s[4:5]
	s_and_saveexec_b64 s[4:5], s[18:19]
	s_cbranch_execz .LBB1225_132
.LBB1225_217:
	v_add_co_u32_e32 v2, vcc, 0x3000, v0
	v_addc_co_u32_e32 v3, vcc, 0, v1, vcc
	flat_store_dwordx2 v[2:3], v[24:25]
	s_or_b64 exec, exec, s[4:5]
	s_and_saveexec_b64 s[4:5], s[20:21]
	s_cbranch_execz .LBB1225_133
.LBB1225_218:
	v_add_co_u32_e32 v2, vcc, 0x3000, v0
	v_addc_co_u32_e32 v3, vcc, 0, v1, vcc
	flat_store_dwordx2 v[2:3], v[26:27] offset:2048
	s_or_b64 exec, exec, s[4:5]
	s_and_saveexec_b64 s[4:5], s[22:23]
	s_cbranch_execz .LBB1225_134
.LBB1225_219:
	v_add_co_u32_e32 v2, vcc, 0x4000, v0
	v_addc_co_u32_e32 v3, vcc, 0, v1, vcc
	flat_store_dwordx2 v[2:3], v[20:21]
	s_or_b64 exec, exec, s[4:5]
	s_and_saveexec_b64 s[4:5], s[24:25]
	s_cbranch_execz .LBB1225_135
.LBB1225_220:
	v_add_co_u32_e32 v2, vcc, 0x4000, v0
	v_addc_co_u32_e32 v3, vcc, 0, v1, vcc
	flat_store_dwordx2 v[2:3], v[22:23] offset:2048
	s_or_b64 exec, exec, s[4:5]
	s_and_saveexec_b64 s[4:5], s[26:27]
	s_cbranch_execz .LBB1225_136
.LBB1225_221:
	v_add_co_u32_e32 v2, vcc, 0x5000, v0
	v_addc_co_u32_e32 v3, vcc, 0, v1, vcc
	flat_store_dwordx2 v[2:3], v[16:17]
	s_or_b64 exec, exec, s[4:5]
	s_and_saveexec_b64 s[4:5], s[28:29]
	s_cbranch_execz .LBB1225_137
.LBB1225_222:
	v_add_co_u32_e32 v2, vcc, 0x5000, v0
	v_addc_co_u32_e32 v3, vcc, 0, v1, vcc
	flat_store_dwordx2 v[2:3], v[18:19] offset:2048
	s_or_b64 exec, exec, s[4:5]
	s_and_saveexec_b64 s[4:5], s[40:41]
	s_cbranch_execz .LBB1225_138
.LBB1225_223:
	v_add_co_u32_e32 v2, vcc, 0x6000, v0
	v_addc_co_u32_e32 v3, vcc, 0, v1, vcc
	flat_store_dwordx2 v[2:3], v[12:13]
	s_or_b64 exec, exec, s[4:5]
	s_and_saveexec_b64 s[4:5], s[42:43]
	s_cbranch_execz .LBB1225_139
.LBB1225_224:
	v_add_co_u32_e32 v2, vcc, 0x6000, v0
	v_addc_co_u32_e32 v3, vcc, 0, v1, vcc
	flat_store_dwordx2 v[2:3], v[14:15] offset:2048
	s_or_b64 exec, exec, s[4:5]
	s_and_saveexec_b64 s[4:5], s[44:45]
	s_cbranch_execz .LBB1225_140
.LBB1225_225:
	v_add_co_u32_e32 v2, vcc, 0x7000, v0
	v_addc_co_u32_e32 v3, vcc, 0, v1, vcc
	flat_store_dwordx2 v[2:3], v[8:9]
	s_or_b64 exec, exec, s[4:5]
	s_and_saveexec_b64 s[4:5], s[46:47]
	s_cbranch_execnz .LBB1225_141
	s_branch .LBB1225_142
.LBB1225_226:
	s_or_b64 exec, exec, s[60:61]
	v_lshl_add_u32 v1, v13, 3, v12
	s_barrier
	ds_write_b64 v4, v[38:39]
	ds_write_b64 v160, v[36:37]
	;; [unrolled: 1-line block ×8, first 2 shown]
	s_waitcnt lgkmcnt(0)
	s_barrier
	ds_read2st64_b64 v[36:39], v1 offset1:4
	ds_read2st64_b64 v[32:35], v1 offset0:8 offset1:12
	ds_read2st64_b64 v[28:31], v1 offset0:16 offset1:20
	;; [unrolled: 1-line block ×3, first 2 shown]
	s_waitcnt lgkmcnt(0)
	s_barrier
	ds_write_b64 v4, v[52:53]
	ds_write_b64 v160, v[50:51]
	;; [unrolled: 1-line block ×8, first 2 shown]
	s_waitcnt lgkmcnt(0)
	s_barrier
	ds_read2st64_b64 v[20:23], v1 offset1:4
	ds_read2st64_b64 v[16:19], v1 offset0:8 offset1:12
	ds_read2st64_b64 v[12:15], v1 offset0:16 offset1:20
	;; [unrolled: 1-line block ×3, first 2 shown]
	v_mov_b32_e32 v1, 0
	v_add_co_u32_e32 v4, vcc, v2, v48
	v_lshlrev_b64 v[1:2], 3, v[0:1]
	v_addc_co_u32_e32 v5, vcc, v3, v49, vcc
	v_add_co_u32_e32 v3, vcc, v4, v1
	v_addc_co_u32_e32 v4, vcc, v5, v2, vcc
	v_cmp_lt_u32_e64 s[4:5], v0, v246
	s_waitcnt lgkmcnt(0)
	s_barrier
	s_and_saveexec_b64 s[6:7], s[4:5]
	s_cbranch_execz .LBB1225_228
; %bb.227:
	v_cmp_lt_i64_e32 vcc, -1, v[36:37]
	v_bfrev_b32_e32 v5, 1
	v_ashrrev_i32_e32 v50, 31, v37
	v_cndmask_b32_e64 v5, v5, -1, vcc
	v_not_b32_e32 v50, v50
	v_xor_b32_e32 v37, v5, v37
	v_xor_b32_e32 v36, v50, v36
	flat_store_dwordx2 v[3:4], v[36:37]
.LBB1225_228:
	s_or_b64 exec, exec, s[6:7]
	v_add_u32_e32 v5, 0x100, v0
	v_cmp_lt_u32_e64 s[6:7], v5, v246
	s_and_saveexec_b64 s[10:11], s[6:7]
	s_cbranch_execz .LBB1225_230
; %bb.229:
	v_cmp_lt_i64_e32 vcc, -1, v[38:39]
	v_bfrev_b32_e32 v5, 1
	v_ashrrev_i32_e32 v36, 31, v39
	v_cndmask_b32_e64 v5, v5, -1, vcc
	v_not_b32_e32 v36, v36
	v_xor_b32_e32 v37, v5, v39
	v_xor_b32_e32 v36, v36, v38
	flat_store_dwordx2 v[3:4], v[36:37] offset:2048
.LBB1225_230:
	s_or_b64 exec, exec, s[10:11]
	v_add_u32_e32 v5, 0x200, v0
	v_cmp_lt_u32_e64 s[10:11], v5, v246
	s_and_saveexec_b64 s[14:15], s[10:11]
	s_cbranch_execz .LBB1225_232
; %bb.231:
	v_cmp_lt_i64_e32 vcc, -1, v[32:33]
	v_ashrrev_i32_e32 v36, 31, v33
	v_bfrev_b32_e32 v5, 1
	v_not_b32_e32 v36, v36
	v_cndmask_b32_e64 v5, v5, -1, vcc
	v_xor_b32_e32 v32, v36, v32
	v_add_co_u32_e32 v36, vcc, 0x1000, v3
	v_xor_b32_e32 v33, v5, v33
	v_addc_co_u32_e32 v37, vcc, 0, v4, vcc
	flat_store_dwordx2 v[36:37], v[32:33]
.LBB1225_232:
	s_or_b64 exec, exec, s[14:15]
	v_add_u32_e32 v5, 0x300, v0
	v_cmp_lt_u32_e64 s[22:23], v5, v246
	s_and_saveexec_b64 s[14:15], s[22:23]
	s_cbranch_execz .LBB1225_234
; %bb.233:
	v_cmp_lt_i64_e32 vcc, -1, v[34:35]
	v_ashrrev_i32_e32 v32, 31, v35
	v_bfrev_b32_e32 v5, 1
	v_not_b32_e32 v32, v32
	v_cndmask_b32_e64 v5, v5, -1, vcc
	v_xor_b32_e32 v32, v32, v34
	v_add_co_u32_e32 v34, vcc, 0x1000, v3
	v_xor_b32_e32 v33, v5, v35
	v_addc_co_u32_e32 v35, vcc, 0, v4, vcc
	flat_store_dwordx2 v[34:35], v[32:33] offset:2048
.LBB1225_234:
	s_or_b64 exec, exec, s[14:15]
	v_add_u32_e32 v5, 0x400, v0
	v_cmp_lt_u32_e64 s[14:15], v5, v246
	s_and_saveexec_b64 s[16:17], s[14:15]
	s_cbranch_execz .LBB1225_236
; %bb.235:
	v_cmp_lt_i64_e32 vcc, -1, v[28:29]
	v_ashrrev_i32_e32 v32, 31, v29
	v_bfrev_b32_e32 v5, 1
	v_not_b32_e32 v32, v32
	v_cndmask_b32_e64 v5, v5, -1, vcc
	v_xor_b32_e32 v28, v32, v28
	v_add_co_u32_e32 v32, vcc, 0x2000, v3
	v_xor_b32_e32 v29, v5, v29
	v_addc_co_u32_e32 v33, vcc, 0, v4, vcc
	flat_store_dwordx2 v[32:33], v[28:29]
.LBB1225_236:
	s_or_b64 exec, exec, s[16:17]
	v_add_u32_e32 v5, 0x500, v0
	v_cmp_lt_u32_e64 s[16:17], v5, v246
	s_and_saveexec_b64 s[18:19], s[16:17]
	s_cbranch_execz .LBB1225_238
; %bb.237:
	v_cmp_lt_i64_e32 vcc, -1, v[30:31]
	v_ashrrev_i32_e32 v28, 31, v31
	v_bfrev_b32_e32 v5, 1
	v_not_b32_e32 v28, v28
	v_cndmask_b32_e64 v5, v5, -1, vcc
	v_xor_b32_e32 v28, v28, v30
	v_add_co_u32_e32 v30, vcc, 0x2000, v3
	v_xor_b32_e32 v29, v5, v31
	v_addc_co_u32_e32 v31, vcc, 0, v4, vcc
	flat_store_dwordx2 v[30:31], v[28:29] offset:2048
.LBB1225_238:
	s_or_b64 exec, exec, s[18:19]
	v_add_u32_e32 v5, 0x600, v0
	v_cmp_lt_u32_e64 s[18:19], v5, v246
	s_and_saveexec_b64 s[20:21], s[18:19]
	s_cbranch_execz .LBB1225_240
; %bb.239:
	v_cmp_lt_i64_e32 vcc, -1, v[24:25]
	v_ashrrev_i32_e32 v28, 31, v25
	v_bfrev_b32_e32 v5, 1
	v_not_b32_e32 v28, v28
	v_cndmask_b32_e64 v5, v5, -1, vcc
	v_xor_b32_e32 v24, v28, v24
	v_add_co_u32_e32 v28, vcc, 0x3000, v3
	v_xor_b32_e32 v25, v5, v25
	v_addc_co_u32_e32 v29, vcc, 0, v4, vcc
	flat_store_dwordx2 v[28:29], v[24:25]
.LBB1225_240:
	s_or_b64 exec, exec, s[20:21]
	v_add_u32_e32 v0, 0x700, v0
	v_cmp_lt_u32_e64 s[20:21], v0, v246
	s_and_saveexec_b64 s[24:25], s[20:21]
	s_cbranch_execz .LBB1225_242
; %bb.241:
	v_cmp_lt_i64_e32 vcc, -1, v[26:27]
	v_bfrev_b32_e32 v0, 1
	v_ashrrev_i32_e32 v5, 31, v27
	v_cndmask_b32_e64 v0, v0, -1, vcc
	v_not_b32_e32 v5, v5
	v_add_co_u32_e32 v3, vcc, 0x3000, v3
	v_xor_b32_e32 v25, v0, v27
	v_xor_b32_e32 v24, v5, v26
	v_addc_co_u32_e32 v4, vcc, 0, v4, vcc
	flat_store_dwordx2 v[3:4], v[24:25] offset:2048
.LBB1225_242:
	s_or_b64 exec, exec, s[24:25]
	v_add_co_u32_e32 v0, vcc, v6, v48
	v_addc_co_u32_e32 v3, vcc, v7, v49, vcc
	v_add_co_u32_e32 v0, vcc, v0, v1
	v_addc_co_u32_e32 v1, vcc, v3, v2, vcc
	s_and_saveexec_b64 s[24:25], s[4:5]
	s_cbranch_execnz .LBB1225_292
; %bb.243:
	s_or_b64 exec, exec, s[24:25]
	s_and_saveexec_b64 s[4:5], s[6:7]
	s_cbranch_execnz .LBB1225_293
.LBB1225_244:
	s_or_b64 exec, exec, s[4:5]
	s_and_saveexec_b64 s[4:5], s[10:11]
	s_cbranch_execnz .LBB1225_294
.LBB1225_245:
	s_or_b64 exec, exec, s[4:5]
	s_and_saveexec_b64 s[4:5], s[22:23]
	s_cbranch_execnz .LBB1225_295
.LBB1225_246:
	s_or_b64 exec, exec, s[4:5]
	s_and_saveexec_b64 s[4:5], s[14:15]
	s_cbranch_execnz .LBB1225_296
.LBB1225_247:
	s_or_b64 exec, exec, s[4:5]
	s_and_saveexec_b64 s[4:5], s[16:17]
	s_cbranch_execnz .LBB1225_297
.LBB1225_248:
	s_or_b64 exec, exec, s[4:5]
	s_and_saveexec_b64 s[4:5], s[18:19]
	s_cbranch_execnz .LBB1225_298
.LBB1225_249:
	s_or_b64 exec, exec, s[4:5]
	s_and_saveexec_b64 s[4:5], s[20:21]
	s_cbranch_execz .LBB1225_251
.LBB1225_250:
	v_add_co_u32_e32 v0, vcc, 0x3000, v0
	v_addc_co_u32_e32 v1, vcc, 0, v1, vcc
	flat_store_dwordx2 v[0:1], v[10:11] offset:2048
.LBB1225_251:
	s_or_b64 exec, exec, s[4:5]
                                        ; implicit-def: $vgpr246
                                        ; implicit-def: $vgpr0
                                        ; implicit-def: $vgpr1
                                        ; implicit-def: $vgpr2
                                        ; implicit-def: $vgpr3
                                        ; implicit-def: $vgpr4
                                        ; implicit-def: $vgpr5
                                        ; implicit-def: $vgpr6
                                        ; implicit-def: $vgpr7
                                        ; implicit-def: $vgpr8
                                        ; implicit-def: $vgpr10
                                        ; implicit-def: $vgpr11
                                        ; implicit-def: $vgpr12
                                        ; implicit-def: $vgpr31
                                        ; implicit-def: $vgpr20
                                        ; implicit-def: $vgpr22
                                        ; implicit-def: $vgpr14
.LBB1225_252:
	s_andn2_saveexec_b64 s[4:5], s[46:47]
	s_cbranch_execz .LBB1225_372
; %bb.253:
	s_movk_i32 s4, 0x200
	v_cmp_lt_u32_e32 vcc, s4, v246
	s_and_saveexec_b64 s[4:5], vcc
	s_xor_b64 s[46:47], exec, s[4:5]
	s_cbranch_execz .LBB1225_313
; %bb.254:
	s_load_dwordx2 s[4:5], s[8:9], 0x0
	v_mov_b32_e32 v9, 0
	v_lshlrev_b64 v[24:25], 3, v[8:9]
	v_and_b32_e32 v21, 0x3ff, v31
	v_add_co_u32_e32 v8, vcc, v0, v24
	s_waitcnt lgkmcnt(0)
	s_cmp_lt_u32 s13, s5
	s_cselect_b32 s5, 14, 20
	s_add_u32 s6, s8, s5
	s_addc_u32 s7, s9, 0
	s_cmp_lt_u32 s12, s4
	s_cselect_b32 s4, 12, 18
	s_add_u32 s4, s8, s4
	global_load_ushort v23, v9, s[6:7]
	s_addc_u32 s5, s9, 0
	global_load_ushort v29, v9, s[4:5]
	v_addc_co_u32_e32 v30, vcc, v1, v25, vcc
	v_mbcnt_hi_u32_b32 v26, -1, v14
	v_and_b32_e32 v27, 63, v26
	v_lshlrev_b32_e32 v28, 3, v27
	v_mov_b32_e32 v13, -1
	v_bfrev_b32_e32 v14, -2
	v_mov_b32_e32 v15, v13
	v_mov_b32_e32 v16, v14
	;; [unrolled: 1-line block ×5, first 2 shown]
	s_waitcnt vmcnt(0)
	v_mad_u32_u24 v0, v22, v23, v20
	v_add_co_u32_e32 v20, vcc, v8, v28
	v_mad_u64_u32 v[0:1], s[4:5], v0, v29, v[21:22]
	v_addc_co_u32_e32 v29, vcc, 0, v30, vcc
	v_lshlrev_b32_e32 v1, 2, v0
	v_and_b32_e32 v8, 0xffffff00, v1
	v_lshlrev_b64 v[22:23], 3, v[8:9]
	v_or_b32_e32 v1, v8, v27
	v_add_co_u32_e64 v8, s[4:5], v20, v22
	v_cmp_lt_u32_e32 vcc, v1, v246
	v_addc_co_u32_e64 v9, s[4:5], v29, v23, s[4:5]
	v_mov_b32_e32 v20, v14
	s_and_saveexec_b64 s[4:5], vcc
	s_cbranch_execz .LBB1225_256
; %bb.255:
	flat_load_dwordx2 v[29:30], v[8:9]
	v_mov_b32_e32 v31, v13
	v_mov_b32_e32 v32, v14
	;; [unrolled: 1-line block ×6, first 2 shown]
	s_waitcnt vmcnt(0) lgkmcnt(0)
	v_mov_b32_e32 v13, v29
	v_mov_b32_e32 v14, v30
	;; [unrolled: 1-line block ×8, first 2 shown]
.LBB1225_256:
	s_or_b64 exec, exec, s[4:5]
	v_or_b32_e32 v29, 64, v1
	v_cmp_lt_u32_e64 s[4:5], v29, v246
	s_and_saveexec_b64 s[6:7], s[4:5]
	s_cbranch_execz .LBB1225_258
; %bb.257:
	flat_load_dwordx2 v[15:16], v[8:9] offset:512
.LBB1225_258:
	s_or_b64 exec, exec, s[6:7]
	v_or_b32_e32 v29, 0x80, v1
	v_cmp_lt_u32_e64 s[6:7], v29, v246
	s_and_saveexec_b64 s[10:11], s[6:7]
	s_cbranch_execz .LBB1225_260
; %bb.259:
	flat_load_dwordx2 v[17:18], v[8:9] offset:1024
.LBB1225_260:
	;; [unrolled: 8-line block ×3, first 2 shown]
	s_or_b64 exec, exec, s[14:15]
	v_add_co_u32_e64 v1, s[14:15], v4, v24
	v_addc_co_u32_e64 v4, s[14:15], v5, v25, s[14:15]
	v_add_co_u32_e64 v1, s[14:15], v1, v28
	v_addc_co_u32_e64 v5, s[14:15], 0, v4, s[14:15]
	;; [unrolled: 2-line block ×3, first 2 shown]
                                        ; implicit-def: $vgpr30_vgpr31
	s_and_saveexec_b64 s[14:15], vcc
	s_cbranch_execnz .LBB1225_337
; %bb.263:
	s_or_b64 exec, exec, s[14:15]
                                        ; implicit-def: $vgpr32_vgpr33
	s_and_saveexec_b64 s[14:15], s[4:5]
	s_cbranch_execnz .LBB1225_338
.LBB1225_264:
	s_or_b64 exec, exec, s[14:15]
                                        ; implicit-def: $vgpr34_vgpr35
	s_and_saveexec_b64 s[4:5], s[6:7]
	s_cbranch_execnz .LBB1225_339
.LBB1225_265:
	s_or_b64 exec, exec, s[4:5]
                                        ; implicit-def: $vgpr36_vgpr37
	s_and_saveexec_b64 s[4:5], s[10:11]
	s_cbranch_execz .LBB1225_267
.LBB1225_266:
	flat_load_dwordx2 v[36:37], v[4:5] offset:1536
.LBB1225_267:
	s_or_b64 exec, exec, s[4:5]
	v_cmp_lt_i64_e32 vcc, -1, v[13:14]
	v_bfrev_b32_e32 v1, 1
	v_cndmask_b32_e32 v4, -1, v1, vcc
	v_ashrrev_i32_e32 v5, 31, v14
	s_waitcnt vmcnt(0) lgkmcnt(0)
	v_cmp_lt_i64_e32 vcc, -1, v[15:16]
	v_xor_b32_e32 v38, v5, v13
	v_ashrrev_i32_e32 v5, 31, v16
	v_xor_b32_e32 v39, v4, v14
	v_cndmask_b32_e32 v4, -1, v1, vcc
	v_xor_b32_e32 v48, v5, v15
	v_cmp_lt_i64_e32 vcc, -1, v[17:18]
	v_ashrrev_i32_e32 v5, 31, v18
	v_xor_b32_e32 v50, v5, v17
	v_ashrrev_i32_e32 v5, 31, v20
	v_xor_b32_e32 v49, v4, v16
	v_cndmask_b32_e32 v4, -1, v1, vcc
	v_cmp_lt_i64_e32 vcc, -1, v[19:20]
	v_xor_b32_e32 v52, v5, v19
	v_lshl_add_u32 v5, v21, 4, v12
	s_getpc_b64 s[4:5]
	s_add_u32 s4, s4, _ZN7rocprim17ROCPRIM_400000_NS16block_radix_sortIdLj256ELj4ElLj1ELj1ELj8ELNS0_26block_radix_rank_algorithmE2ELNS0_18block_padding_hintE2ELNS0_4arch9wavefront6targetE1EE19radix_bits_per_passE@rel32@lo+4
	s_addc_u32 s5, s5, _ZN7rocprim17ROCPRIM_400000_NS16block_radix_sortIdLj256ELj4ElLj1ELj1ELj8ELNS0_26block_radix_rank_algorithmE2ELNS0_18block_padding_hintE2ELNS0_4arch9wavefront6targetE1EE19radix_bits_per_passE@rel32@hi+12
	v_add_u32_e32 v54, 16, v5
	v_add_u32_e32 v55, 20, v5
	;; [unrolled: 1-line block ×4, first 2 shown]
	v_and_b32_e32 v5, 15, v26
	v_xor_b32_e32 v51, v4, v18
	v_cndmask_b32_e32 v4, -1, v1, vcc
	s_load_dword s72, s[4:5], 0x0
	v_cmp_eq_u32_e32 vcc, 0, v5
	v_cmp_lt_u32_e64 s[4:5], 1, v5
	v_cmp_lt_u32_e64 s[6:7], 3, v5
	;; [unrolled: 1-line block ×3, first 2 shown]
	v_and_b32_e32 v5, 16, v26
	v_cmp_eq_u32_e64 s[40:41], 0, v5
	v_and_b32_e32 v5, 0x3c0, v21
	v_min_u32_e32 v5, 0xc0, v5
	v_or_b32_e32 v5, 63, v5
	v_cmp_eq_u32_e64 s[16:17], v21, v5
	v_subrev_co_u32_e64 v5, s[22:23], 1, v26
	v_and_b32_e32 v8, 64, v26
	v_cmp_lt_i32_e64 s[24:25], v5, v8
	v_cndmask_b32_e64 v5, v5, v26, s[24:25]
	v_xor_b32_e32 v53, v4, v20
	v_lshlrev_b32_e32 v4, 2, v21
	v_lshlrev_b32_e32 v67, 2, v5
	v_lshrrev_b32_e32 v5, 4, v21
	s_movk_i32 s42, 0xf00
	v_and_b32_e32 v5, 60, v5
	v_add_u32_e32 v69, v12, v4
	v_and_or_b32 v4, v4, s42, v27
	s_mov_b32 s56, -1
	v_add_u32_e32 v68, v12, v5
	v_and_b32_e32 v8, 3, v26
	v_lshl_add_u32 v71, v4, 3, v12
	s_brev_b32 s57, -2
	v_lshrrev_b32_e32 v66, 6, v0
	v_cmp_lt_u32_e64 s[14:15], 31, v26
	v_cmp_gt_u32_e64 s[18:19], 4, v21
	v_cmp_lt_u32_e64 s[20:21], 63, v21
	v_cmp_eq_u32_e64 s[24:25], 0, v21
	v_mov_b32_e32 v5, 0
	v_cmp_eq_u32_e64 s[26:27], 0, v8
	v_cmp_lt_u32_e64 s[28:29], 1, v8
	v_add_u32_e32 v70, -4, v68
	v_add_u32_e32 v80, 0x200, v71
	v_add_u32_e32 v81, 0x400, v71
	;; [unrolled: 1-line block ×3, first 2 shown]
	v_sub_u32_e32 v83, v11, v10
	s_mov_b64 s[60:61], 0
	s_waitcnt lgkmcnt(0)
	s_barrier
	s_branch .LBB1225_269
.LBB1225_268:                           ;   in Loop: Header=BB1225_269 Depth=1
	s_or_b64 exec, exec, s[44:45]
	s_and_b64 s[42:43], exec, s[62:63]
	s_or_b64 s[60:61], s[42:43], s[60:61]
	s_andn2_b64 exec, exec, s[60:61]
	s_cbranch_execz .LBB1225_299
.LBB1225_269:                           ; =>This Inner Loop Header: Depth=1
	v_mov_b32_e32 v22, v38
	v_mov_b32_e32 v23, v39
	v_cmp_ne_u64_e64 s[42:43], s[56:57], v[22:23]
	v_mov_b32_e32 v28, v30
	v_mov_b32_e32 v29, v31
	v_min_u32_e32 v4, s72, v83
	v_cndmask_b32_e64 v31, v1, v23, s[42:43]
	v_cndmask_b32_e64 v30, 0, v22, s[42:43]
	v_mov_b32_e32 v13, v34
	v_lshlrev_b32_e64 v4, v4, -1
	v_lshrrev_b64 v[30:31], v10, v[30:31]
	v_mov_b32_e32 v26, v32
	v_mov_b32_e32 v14, v35
	v_not_b32_e32 v35, v4
	v_mov_b32_e32 v27, v33
	v_and_b32_e32 v32, v30, v35
	v_lshl_add_u32 v4, v32, 2, v66
	v_lshlrev_b64 v[30:31], 2, v[4:5]
	v_mov_b32_e32 v15, v52
	v_add_co_u32_e64 v4, s[42:43], v12, v30
	v_add_co_u32_e64 v4, s[42:43], 16, v4
	v_and_b32_e32 v30, 1, v32
	v_add_co_u32_e64 v31, s[42:43], -1, v30
	v_addc_co_u32_e64 v33, s[42:43], 0, -1, s[42:43]
	v_cmp_ne_u32_e64 s[42:43], 0, v30
	v_xor_b32_e32 v30, s43, v33
	v_xor_b32_e32 v31, s42, v31
	v_and_b32_e32 v33, exec_hi, v30
	v_and_b32_e32 v34, exec_lo, v31
	v_lshlrev_b32_e32 v31, 30, v32
	v_mov_b32_e32 v30, v5
	v_cmp_gt_i64_e64 s[42:43], 0, v[30:31]
	v_not_b32_e32 v30, v31
	v_ashrrev_i32_e32 v30, 31, v30
	v_xor_b32_e32 v31, s43, v30
	v_xor_b32_e32 v30, s42, v30
	v_and_b32_e32 v33, v33, v31
	v_and_b32_e32 v34, v34, v30
	v_lshlrev_b32_e32 v31, 29, v32
	v_mov_b32_e32 v30, v5
	v_cmp_gt_i64_e64 s[42:43], 0, v[30:31]
	v_not_b32_e32 v30, v31
	v_ashrrev_i32_e32 v30, 31, v30
	v_xor_b32_e32 v31, s43, v30
	v_xor_b32_e32 v30, s42, v30
	v_and_b32_e32 v33, v33, v31
	v_and_b32_e32 v34, v34, v30
	;; [unrolled: 9-line block ×7, first 2 shown]
	v_mbcnt_lo_u32_b32 v32, v30, 0
	v_mbcnt_hi_u32_b32 v32, v31, v32
	v_cmp_ne_u64_e64 s[42:43], 0, v[30:31]
	v_mov_b32_e32 v17, v50
	v_mov_b32_e32 v19, v48
	;; [unrolled: 1-line block ×3, first 2 shown]
	v_cmp_eq_u32_e64 s[44:45], 0, v32
	v_mov_b32_e32 v16, v53
	v_mov_b32_e32 v18, v51
	;; [unrolled: 1-line block ×4, first 2 shown]
	s_and_b64 s[44:45], s[42:43], s[44:45]
	ds_write_b32 v54, v5
	ds_write_b32 v55, v5
	ds_write_b32 v64, v5
	ds_write_b32 v65, v5
	s_waitcnt lgkmcnt(0)
	s_barrier
	; wave barrier
	s_and_saveexec_b64 s[42:43], s[44:45]
; %bb.270:                              ;   in Loop: Header=BB1225_269 Depth=1
	v_bcnt_u32_b32 v30, v30, 0
	v_bcnt_u32_b32 v30, v31, v30
	ds_write_b32 v4, v30
; %bb.271:                              ;   in Loop: Header=BB1225_269 Depth=1
	s_or_b64 exec, exec, s[42:43]
	v_cmp_ne_u64_e64 s[42:43], s[56:57], v[19:20]
	v_cndmask_b32_e64 v31, v1, v20, s[42:43]
	v_cndmask_b32_e64 v30, 0, v19, s[42:43]
	v_lshrrev_b64 v[30:31], v10, v[30:31]
	; wave barrier
	v_and_b32_e32 v36, v30, v35
	v_lshl_add_u32 v30, v36, 2, v66
	v_lshl_add_u32 v30, v30, 2, v12
	v_add_u32_e32 v34, 16, v30
	ds_read_b32 v33, v30 offset:16
	v_and_b32_e32 v30, 1, v36
	v_add_co_u32_e64 v31, s[42:43], -1, v30
	v_addc_co_u32_e64 v37, s[42:43], 0, -1, s[42:43]
	v_cmp_ne_u32_e64 s[42:43], 0, v30
	v_xor_b32_e32 v30, s43, v37
	v_xor_b32_e32 v31, s42, v31
	v_and_b32_e32 v37, exec_hi, v30
	v_and_b32_e32 v38, exec_lo, v31
	v_lshlrev_b32_e32 v31, 30, v36
	v_mov_b32_e32 v30, v5
	v_cmp_gt_i64_e64 s[42:43], 0, v[30:31]
	v_not_b32_e32 v30, v31
	v_ashrrev_i32_e32 v30, 31, v30
	v_xor_b32_e32 v31, s43, v30
	v_xor_b32_e32 v30, s42, v30
	v_and_b32_e32 v37, v37, v31
	v_and_b32_e32 v38, v38, v30
	v_lshlrev_b32_e32 v31, 29, v36
	v_mov_b32_e32 v30, v5
	v_cmp_gt_i64_e64 s[42:43], 0, v[30:31]
	v_not_b32_e32 v30, v31
	v_ashrrev_i32_e32 v30, 31, v30
	v_xor_b32_e32 v31, s43, v30
	v_xor_b32_e32 v30, s42, v30
	v_and_b32_e32 v37, v37, v31
	v_and_b32_e32 v38, v38, v30
	;; [unrolled: 9-line block ×7, first 2 shown]
	v_mbcnt_lo_u32_b32 v36, v30, 0
	v_mbcnt_hi_u32_b32 v36, v31, v36
	v_cmp_ne_u64_e64 s[42:43], 0, v[30:31]
	v_cmp_eq_u32_e64 s[44:45], 0, v36
	s_and_b64 s[44:45], s[42:43], s[44:45]
	; wave barrier
	s_and_saveexec_b64 s[42:43], s[44:45]
	s_cbranch_execz .LBB1225_273
; %bb.272:                              ;   in Loop: Header=BB1225_269 Depth=1
	v_bcnt_u32_b32 v30, v30, 0
	v_bcnt_u32_b32 v30, v31, v30
	s_waitcnt lgkmcnt(0)
	v_add_u32_e32 v30, v33, v30
	ds_write_b32 v34, v30
.LBB1225_273:                           ;   in Loop: Header=BB1225_269 Depth=1
	s_or_b64 exec, exec, s[42:43]
	v_cmp_ne_u64_e64 s[42:43], s[56:57], v[17:18]
	v_cndmask_b32_e64 v31, v1, v18, s[42:43]
	v_cndmask_b32_e64 v30, 0, v17, s[42:43]
	v_lshrrev_b64 v[30:31], v10, v[30:31]
	; wave barrier
	v_and_b32_e32 v39, v30, v35
	v_lshl_add_u32 v30, v39, 2, v66
	v_lshl_add_u32 v30, v30, 2, v12
	v_add_u32_e32 v38, 16, v30
	ds_read_b32 v37, v30 offset:16
	v_and_b32_e32 v30, 1, v39
	v_add_co_u32_e64 v31, s[42:43], -1, v30
	v_addc_co_u32_e64 v48, s[42:43], 0, -1, s[42:43]
	v_cmp_ne_u32_e64 s[42:43], 0, v30
	v_xor_b32_e32 v30, s43, v48
	v_xor_b32_e32 v31, s42, v31
	v_and_b32_e32 v48, exec_hi, v30
	v_and_b32_e32 v49, exec_lo, v31
	v_lshlrev_b32_e32 v31, 30, v39
	v_mov_b32_e32 v30, v5
	v_cmp_gt_i64_e64 s[42:43], 0, v[30:31]
	v_not_b32_e32 v30, v31
	v_ashrrev_i32_e32 v30, 31, v30
	v_xor_b32_e32 v31, s43, v30
	v_xor_b32_e32 v30, s42, v30
	v_and_b32_e32 v48, v48, v31
	v_and_b32_e32 v49, v49, v30
	v_lshlrev_b32_e32 v31, 29, v39
	v_mov_b32_e32 v30, v5
	v_cmp_gt_i64_e64 s[42:43], 0, v[30:31]
	v_not_b32_e32 v30, v31
	v_ashrrev_i32_e32 v30, 31, v30
	v_xor_b32_e32 v31, s43, v30
	v_xor_b32_e32 v30, s42, v30
	v_and_b32_e32 v48, v48, v31
	v_and_b32_e32 v49, v49, v30
	;; [unrolled: 9-line block ×7, first 2 shown]
	v_mbcnt_lo_u32_b32 v39, v30, 0
	v_mbcnt_hi_u32_b32 v39, v31, v39
	v_cmp_ne_u64_e64 s[42:43], 0, v[30:31]
	v_cmp_eq_u32_e64 s[44:45], 0, v39
	s_and_b64 s[44:45], s[42:43], s[44:45]
	; wave barrier
	s_and_saveexec_b64 s[42:43], s[44:45]
	s_cbranch_execz .LBB1225_275
; %bb.274:                              ;   in Loop: Header=BB1225_269 Depth=1
	v_bcnt_u32_b32 v30, v30, 0
	v_bcnt_u32_b32 v30, v31, v30
	s_waitcnt lgkmcnt(0)
	v_add_u32_e32 v30, v37, v30
	ds_write_b32 v38, v30
.LBB1225_275:                           ;   in Loop: Header=BB1225_269 Depth=1
	s_or_b64 exec, exec, s[42:43]
	v_cmp_ne_u64_e64 s[42:43], s[56:57], v[15:16]
	v_cndmask_b32_e64 v31, v1, v16, s[42:43]
	v_cndmask_b32_e64 v30, 0, v15, s[42:43]
	v_lshrrev_b64 v[30:31], v10, v[30:31]
	; wave barrier
	v_and_b32_e32 v49, v30, v35
	v_lshl_add_u32 v30, v49, 2, v66
	v_lshl_add_u32 v30, v30, 2, v12
	v_add_u32_e32 v48, 16, v30
	ds_read_b32 v35, v30 offset:16
	v_and_b32_e32 v30, 1, v49
	v_add_co_u32_e64 v31, s[42:43], -1, v30
	v_addc_co_u32_e64 v50, s[42:43], 0, -1, s[42:43]
	v_cmp_ne_u32_e64 s[42:43], 0, v30
	v_xor_b32_e32 v30, s43, v50
	v_xor_b32_e32 v31, s42, v31
	v_and_b32_e32 v50, exec_hi, v30
	v_and_b32_e32 v51, exec_lo, v31
	v_lshlrev_b32_e32 v31, 30, v49
	v_mov_b32_e32 v30, v5
	v_cmp_gt_i64_e64 s[42:43], 0, v[30:31]
	v_not_b32_e32 v30, v31
	v_ashrrev_i32_e32 v30, 31, v30
	v_xor_b32_e32 v31, s43, v30
	v_xor_b32_e32 v30, s42, v30
	v_and_b32_e32 v50, v50, v31
	v_and_b32_e32 v51, v51, v30
	v_lshlrev_b32_e32 v31, 29, v49
	v_mov_b32_e32 v30, v5
	v_cmp_gt_i64_e64 s[42:43], 0, v[30:31]
	v_not_b32_e32 v30, v31
	v_ashrrev_i32_e32 v30, 31, v30
	v_xor_b32_e32 v31, s43, v30
	v_xor_b32_e32 v30, s42, v30
	v_and_b32_e32 v50, v50, v31
	v_and_b32_e32 v51, v51, v30
	;; [unrolled: 9-line block ×7, first 2 shown]
	v_mbcnt_lo_u32_b32 v49, v30, 0
	v_mbcnt_hi_u32_b32 v49, v31, v49
	v_cmp_ne_u64_e64 s[42:43], 0, v[30:31]
	v_cmp_eq_u32_e64 s[44:45], 0, v49
	s_and_b64 s[44:45], s[42:43], s[44:45]
	; wave barrier
	s_and_saveexec_b64 s[42:43], s[44:45]
	s_cbranch_execz .LBB1225_277
; %bb.276:                              ;   in Loop: Header=BB1225_269 Depth=1
	v_bcnt_u32_b32 v30, v30, 0
	v_bcnt_u32_b32 v30, v31, v30
	s_waitcnt lgkmcnt(0)
	v_add_u32_e32 v30, v35, v30
	ds_write_b32 v48, v30
.LBB1225_277:                           ;   in Loop: Header=BB1225_269 Depth=1
	s_or_b64 exec, exec, s[42:43]
	; wave barrier
	s_waitcnt lgkmcnt(0)
	s_barrier
	ds_read_b32 v50, v54
	ds_read_b32 v31, v55
	;; [unrolled: 1-line block ×4, first 2 shown]
	s_waitcnt lgkmcnt(2)
	v_add_u32_e32 v52, v31, v50
	s_waitcnt lgkmcnt(0)
	v_add3_u32 v51, v52, v30, v51
	s_nop 1
	v_mov_b32_dpp v52, v51 row_shr:1 row_mask:0xf bank_mask:0xf
	v_cndmask_b32_e64 v52, v52, 0, vcc
	v_add_u32_e32 v51, v52, v51
	s_nop 1
	v_mov_b32_dpp v52, v51 row_shr:2 row_mask:0xf bank_mask:0xf
	v_cndmask_b32_e64 v52, 0, v52, s[4:5]
	v_add_u32_e32 v51, v51, v52
	s_nop 1
	v_mov_b32_dpp v52, v51 row_shr:4 row_mask:0xf bank_mask:0xf
	v_cndmask_b32_e64 v52, 0, v52, s[6:7]
	;; [unrolled: 4-line block ×3, first 2 shown]
	v_add_u32_e32 v51, v51, v52
	s_nop 1
	v_mov_b32_dpp v52, v51 row_bcast:15 row_mask:0xf bank_mask:0xf
	v_cndmask_b32_e64 v52, v52, 0, s[40:41]
	v_add_u32_e32 v51, v51, v52
	s_nop 1
	v_mov_b32_dpp v52, v51 row_bcast:31 row_mask:0xf bank_mask:0xf
	v_cndmask_b32_e64 v52, 0, v52, s[14:15]
	v_add_u32_e32 v51, v51, v52
	s_and_saveexec_b64 s[42:43], s[16:17]
; %bb.278:                              ;   in Loop: Header=BB1225_269 Depth=1
	ds_write_b32 v68, v51
; %bb.279:                              ;   in Loop: Header=BB1225_269 Depth=1
	s_or_b64 exec, exec, s[42:43]
	s_waitcnt lgkmcnt(0)
	s_barrier
	s_and_saveexec_b64 s[42:43], s[18:19]
	s_cbranch_execz .LBB1225_281
; %bb.280:                              ;   in Loop: Header=BB1225_269 Depth=1
	ds_read_b32 v52, v69
	s_waitcnt lgkmcnt(0)
	s_nop 0
	v_mov_b32_dpp v53, v52 row_shr:1 row_mask:0xf bank_mask:0xf
	v_cndmask_b32_e64 v53, v53, 0, s[26:27]
	v_add_u32_e32 v52, v53, v52
	s_nop 1
	v_mov_b32_dpp v53, v52 row_shr:2 row_mask:0xf bank_mask:0xf
	v_cndmask_b32_e64 v53, 0, v53, s[28:29]
	v_add_u32_e32 v52, v52, v53
	ds_write_b32 v69, v52
.LBB1225_281:                           ;   in Loop: Header=BB1225_269 Depth=1
	s_or_b64 exec, exec, s[42:43]
	v_mov_b32_e32 v52, 0
	s_waitcnt lgkmcnt(0)
	s_barrier
	s_and_saveexec_b64 s[42:43], s[20:21]
; %bb.282:                              ;   in Loop: Header=BB1225_269 Depth=1
	ds_read_b32 v52, v70
; %bb.283:                              ;   in Loop: Header=BB1225_269 Depth=1
	s_or_b64 exec, exec, s[42:43]
	s_waitcnt lgkmcnt(0)
	v_add_u32_e32 v51, v52, v51
	ds_bpermute_b32 v51, v67, v51
	v_add_u32_e32 v10, 8, v10
	v_cmp_lt_u32_e64 s[42:43], v10, v11
	s_mov_b64 s[62:63], -1
	s_waitcnt lgkmcnt(0)
	v_cndmask_b32_e64 v51, v51, v52, s[22:23]
	v_cndmask_b32_e64 v51, v51, 0, s[24:25]
	v_add_u32_e32 v50, v51, v50
	v_add_u32_e32 v31, v50, v31
	;; [unrolled: 1-line block ×3, first 2 shown]
	ds_write_b32 v54, v51
	ds_write_b32 v55, v50
	;; [unrolled: 1-line block ×4, first 2 shown]
	s_waitcnt lgkmcnt(0)
	s_barrier
	ds_read_b32 v4, v4
	ds_read_b32 v30, v34
	;; [unrolled: 1-line block ×4, first 2 shown]
	s_waitcnt lgkmcnt(0)
	v_add_u32_e32 v4, v4, v32
	v_add3_u32 v30, v36, v33, v30
	v_add3_u32 v32, v39, v37, v31
	v_mov_b32_e32 v31, v5
	v_lshlrev_b64 v[30:31], 3, v[30:31]
	v_add3_u32 v34, v49, v35, v34
	v_lshlrev_b64 v[35:36], 3, v[4:5]
	v_mov_b32_e32 v33, v5
	v_add_co_u32_e64 v84, s[44:45], v12, v30
	v_lshlrev_b64 v[30:31], 3, v[32:33]
	v_add_co_u32_e64 v4, s[44:45], v12, v35
	v_mov_b32_e32 v35, v5
	v_add_co_u32_e64 v85, s[44:45], v12, v30
	v_lshlrev_b64 v[30:31], 3, v[34:35]
                                        ; implicit-def: $vgpr52_vgpr53
                                        ; implicit-def: $vgpr50_vgpr51
                                        ; implicit-def: $vgpr48_vgpr49
                                        ; implicit-def: $vgpr38_vgpr39
                                        ; implicit-def: $vgpr32_vgpr33
                                        ; implicit-def: $vgpr34_vgpr35
                                        ; implicit-def: $vgpr36_vgpr37
	v_add_co_u32_e64 v86, s[44:45], v12, v30
                                        ; implicit-def: $vgpr30_vgpr31
	s_and_saveexec_b64 s[44:45], s[42:43]
	s_cbranch_execz .LBB1225_268
; %bb.284:                              ;   in Loop: Header=BB1225_269 Depth=1
	s_barrier
	ds_write_b64 v4, v[22:23]
	ds_write_b64 v84, v[19:20]
	;; [unrolled: 1-line block ×4, first 2 shown]
	s_waitcnt lgkmcnt(0)
	s_barrier
	ds_read_b64 v[38:39], v71
	ds_read_b64 v[48:49], v80
	;; [unrolled: 1-line block ×4, first 2 shown]
	s_waitcnt lgkmcnt(0)
	s_barrier
	ds_write_b64 v4, v[28:29]
	ds_write_b64 v84, v[26:27]
	;; [unrolled: 1-line block ×4, first 2 shown]
	s_waitcnt lgkmcnt(0)
	s_barrier
	ds_read_b64 v[30:31], v71
	ds_read_b64 v[32:33], v80
	;; [unrolled: 1-line block ×4, first 2 shown]
	v_add_u32_e32 v83, -8, v83
	s_xor_b64 s[62:63], exec, -1
	s_waitcnt lgkmcnt(0)
	s_barrier
	s_branch .LBB1225_268
.LBB1225_285:
	flat_load_dwordx2 v[54:55], v[4:5]
	s_or_b64 exec, exec, s[22:23]
                                        ; implicit-def: $vgpr64_vgpr65
	s_and_saveexec_b64 s[22:23], s[4:5]
	s_cbranch_execz .LBB1225_163
.LBB1225_286:
	flat_load_dwordx2 v[64:65], v[4:5] offset:512
	s_or_b64 exec, exec, s[22:23]
                                        ; implicit-def: $vgpr66_vgpr67
	s_and_saveexec_b64 s[4:5], s[6:7]
	s_cbranch_execz .LBB1225_164
.LBB1225_287:
	flat_load_dwordx2 v[66:67], v[4:5] offset:1024
	s_or_b64 exec, exec, s[4:5]
                                        ; implicit-def: $vgpr68_vgpr69
	s_and_saveexec_b64 s[4:5], s[10:11]
	s_cbranch_execz .LBB1225_165
.LBB1225_288:
	flat_load_dwordx2 v[68:69], v[4:5] offset:1536
	s_or_b64 exec, exec, s[4:5]
                                        ; implicit-def: $vgpr70_vgpr71
	s_and_saveexec_b64 s[4:5], s[20:21]
	s_cbranch_execz .LBB1225_166
.LBB1225_289:
	flat_load_dwordx2 v[70:71], v[4:5] offset:2048
	s_or_b64 exec, exec, s[4:5]
                                        ; implicit-def: $vgpr80_vgpr81
	s_and_saveexec_b64 s[4:5], s[14:15]
	s_cbranch_execz .LBB1225_167
.LBB1225_290:
	flat_load_dwordx2 v[80:81], v[4:5] offset:2560
	s_or_b64 exec, exec, s[4:5]
                                        ; implicit-def: $vgpr82_vgpr83
	s_and_saveexec_b64 s[4:5], s[16:17]
	s_cbranch_execz .LBB1225_168
.LBB1225_291:
	flat_load_dwordx2 v[82:83], v[4:5] offset:3072
	s_or_b64 exec, exec, s[4:5]
                                        ; implicit-def: $vgpr86_vgpr87
	s_and_saveexec_b64 s[4:5], s[18:19]
	s_cbranch_execnz .LBB1225_169
	s_branch .LBB1225_170
.LBB1225_292:
	flat_store_dwordx2 v[0:1], v[20:21]
	s_or_b64 exec, exec, s[24:25]
	s_and_saveexec_b64 s[4:5], s[6:7]
	s_cbranch_execz .LBB1225_244
.LBB1225_293:
	flat_store_dwordx2 v[0:1], v[22:23] offset:2048
	s_or_b64 exec, exec, s[4:5]
	s_and_saveexec_b64 s[4:5], s[10:11]
	s_cbranch_execz .LBB1225_245
.LBB1225_294:
	v_add_co_u32_e32 v2, vcc, 0x1000, v0
	v_addc_co_u32_e32 v3, vcc, 0, v1, vcc
	flat_store_dwordx2 v[2:3], v[16:17]
	s_or_b64 exec, exec, s[4:5]
	s_and_saveexec_b64 s[4:5], s[22:23]
	s_cbranch_execz .LBB1225_246
.LBB1225_295:
	v_add_co_u32_e32 v2, vcc, 0x1000, v0
	v_addc_co_u32_e32 v3, vcc, 0, v1, vcc
	flat_store_dwordx2 v[2:3], v[18:19] offset:2048
	s_or_b64 exec, exec, s[4:5]
	s_and_saveexec_b64 s[4:5], s[14:15]
	s_cbranch_execz .LBB1225_247
.LBB1225_296:
	v_add_co_u32_e32 v2, vcc, 0x2000, v0
	v_addc_co_u32_e32 v3, vcc, 0, v1, vcc
	flat_store_dwordx2 v[2:3], v[12:13]
	s_or_b64 exec, exec, s[4:5]
	s_and_saveexec_b64 s[4:5], s[16:17]
	s_cbranch_execz .LBB1225_248
.LBB1225_297:
	v_add_co_u32_e32 v2, vcc, 0x2000, v0
	v_addc_co_u32_e32 v3, vcc, 0, v1, vcc
	flat_store_dwordx2 v[2:3], v[14:15] offset:2048
	s_or_b64 exec, exec, s[4:5]
	s_and_saveexec_b64 s[4:5], s[18:19]
	s_cbranch_execz .LBB1225_249
.LBB1225_298:
	v_add_co_u32_e32 v2, vcc, 0x3000, v0
	v_addc_co_u32_e32 v3, vcc, 0, v1, vcc
	flat_store_dwordx2 v[2:3], v[8:9]
	s_or_b64 exec, exec, s[4:5]
	s_and_saveexec_b64 s[4:5], s[20:21]
	s_cbranch_execnz .LBB1225_250
	s_branch .LBB1225_251
.LBB1225_299:
	s_or_b64 exec, exec, s[60:61]
	v_lshl_add_u32 v1, v21, 3, v12
	s_barrier
	ds_write_b64 v4, v[22:23]
	ds_write_b64 v84, v[19:20]
	;; [unrolled: 1-line block ×4, first 2 shown]
	s_waitcnt lgkmcnt(0)
	s_barrier
	ds_read2st64_b64 v[20:23], v1 offset1:4
	ds_read2st64_b64 v[16:19], v1 offset0:8 offset1:12
	s_waitcnt lgkmcnt(0)
	s_barrier
	ds_write_b64 v4, v[28:29]
	ds_write_b64 v84, v[26:27]
	;; [unrolled: 1-line block ×4, first 2 shown]
	s_waitcnt lgkmcnt(0)
	s_barrier
	ds_read2st64_b64 v[12:15], v1 offset1:4
	ds_read2st64_b64 v[8:11], v1 offset0:8 offset1:12
	v_mov_b32_e32 v1, 0
	v_add_co_u32_e32 v4, vcc, v2, v24
	v_lshlrev_b64 v[1:2], 3, v[0:1]
	v_addc_co_u32_e32 v5, vcc, v3, v25, vcc
	v_add_co_u32_e32 v3, vcc, v4, v1
	v_addc_co_u32_e32 v4, vcc, v5, v2, vcc
	v_cmp_lt_u32_e64 s[4:5], v0, v246
	s_waitcnt lgkmcnt(0)
	s_barrier
	s_and_saveexec_b64 s[6:7], s[4:5]
	s_cbranch_execz .LBB1225_301
; %bb.300:
	v_cmp_lt_i64_e32 vcc, -1, v[20:21]
	v_bfrev_b32_e32 v5, 1
	v_ashrrev_i32_e32 v26, 31, v21
	v_cndmask_b32_e64 v5, v5, -1, vcc
	v_not_b32_e32 v26, v26
	v_xor_b32_e32 v21, v5, v21
	v_xor_b32_e32 v20, v26, v20
	flat_store_dwordx2 v[3:4], v[20:21]
.LBB1225_301:
	s_or_b64 exec, exec, s[6:7]
	v_add_u32_e32 v5, 0x100, v0
	v_cmp_lt_u32_e64 s[6:7], v5, v246
	s_and_saveexec_b64 s[10:11], s[6:7]
	s_cbranch_execz .LBB1225_303
; %bb.302:
	v_cmp_lt_i64_e32 vcc, -1, v[22:23]
	v_bfrev_b32_e32 v5, 1
	v_ashrrev_i32_e32 v20, 31, v23
	v_cndmask_b32_e64 v5, v5, -1, vcc
	v_not_b32_e32 v20, v20
	v_xor_b32_e32 v21, v5, v23
	v_xor_b32_e32 v20, v20, v22
	flat_store_dwordx2 v[3:4], v[20:21] offset:2048
.LBB1225_303:
	s_or_b64 exec, exec, s[10:11]
	v_add_u32_e32 v5, 0x200, v0
	v_cmp_lt_u32_e64 s[10:11], v5, v246
	s_and_saveexec_b64 s[14:15], s[10:11]
	s_cbranch_execz .LBB1225_305
; %bb.304:
	v_cmp_lt_i64_e32 vcc, -1, v[16:17]
	v_ashrrev_i32_e32 v20, 31, v17
	v_bfrev_b32_e32 v5, 1
	v_not_b32_e32 v20, v20
	v_cndmask_b32_e64 v5, v5, -1, vcc
	v_xor_b32_e32 v16, v20, v16
	v_add_co_u32_e32 v20, vcc, 0x1000, v3
	v_xor_b32_e32 v17, v5, v17
	v_addc_co_u32_e32 v21, vcc, 0, v4, vcc
	flat_store_dwordx2 v[20:21], v[16:17]
.LBB1225_305:
	s_or_b64 exec, exec, s[14:15]
	v_add_u32_e32 v0, 0x300, v0
	v_cmp_lt_u32_e64 s[14:15], v0, v246
	s_and_saveexec_b64 s[16:17], s[14:15]
	s_cbranch_execz .LBB1225_307
; %bb.306:
	v_cmp_lt_i64_e32 vcc, -1, v[18:19]
	v_bfrev_b32_e32 v0, 1
	v_ashrrev_i32_e32 v5, 31, v19
	v_cndmask_b32_e64 v0, v0, -1, vcc
	v_not_b32_e32 v5, v5
	v_add_co_u32_e32 v3, vcc, 0x1000, v3
	v_xor_b32_e32 v17, v0, v19
	v_xor_b32_e32 v16, v5, v18
	v_addc_co_u32_e32 v4, vcc, 0, v4, vcc
	flat_store_dwordx2 v[3:4], v[16:17] offset:2048
.LBB1225_307:
	s_or_b64 exec, exec, s[16:17]
	v_add_co_u32_e32 v0, vcc, v6, v24
	v_addc_co_u32_e32 v3, vcc, v7, v25, vcc
	v_add_co_u32_e32 v0, vcc, v0, v1
	v_addc_co_u32_e32 v1, vcc, v3, v2, vcc
	s_and_saveexec_b64 s[16:17], s[4:5]
	s_cbranch_execnz .LBB1225_340
; %bb.308:
	s_or_b64 exec, exec, s[16:17]
	s_and_saveexec_b64 s[4:5], s[6:7]
	s_cbranch_execnz .LBB1225_341
.LBB1225_309:
	s_or_b64 exec, exec, s[4:5]
	s_and_saveexec_b64 s[4:5], s[10:11]
	s_cbranch_execnz .LBB1225_342
.LBB1225_310:
	s_or_b64 exec, exec, s[4:5]
	s_and_saveexec_b64 s[4:5], s[14:15]
	s_cbranch_execz .LBB1225_312
.LBB1225_311:
	v_add_co_u32_e32 v0, vcc, 0x1000, v0
	v_addc_co_u32_e32 v1, vcc, 0, v1, vcc
	flat_store_dwordx2 v[0:1], v[10:11] offset:2048
.LBB1225_312:
	s_or_b64 exec, exec, s[4:5]
                                        ; implicit-def: $vgpr246
                                        ; implicit-def: $vgpr0
                                        ; implicit-def: $vgpr1
                                        ; implicit-def: $vgpr2
                                        ; implicit-def: $vgpr3
                                        ; implicit-def: $vgpr4
                                        ; implicit-def: $vgpr5
                                        ; implicit-def: $vgpr6
                                        ; implicit-def: $vgpr7
                                        ; implicit-def: $vgpr8
                                        ; implicit-def: $vgpr10
                                        ; implicit-def: $vgpr11
                                        ; implicit-def: $vgpr12
                                        ; implicit-def: $vgpr31
                                        ; implicit-def: $vgpr20
                                        ; implicit-def: $vgpr22
                                        ; implicit-def: $vgpr14
.LBB1225_313:
	s_andn2_saveexec_b64 s[4:5], s[46:47]
	s_cbranch_execz .LBB1225_372
; %bb.314:
	s_load_dwordx2 s[4:5], s[8:9], 0x0
	v_mov_b32_e32 v9, 0
	v_and_b32_e32 v21, 0x3ff, v31
	v_lshlrev_b64 v[17:18], 3, v[8:9]
	s_waitcnt lgkmcnt(0)
	s_cmp_lt_u32 s13, s5
	s_cselect_b32 s5, 14, 20
	s_add_u32 s6, s8, s5
	s_addc_u32 s7, s9, 0
	s_cmp_lt_u32 s12, s4
	s_cselect_b32 s4, 12, 18
	s_add_u32 s4, s8, s4
	global_load_ushort v13, v9, s[6:7]
	s_addc_u32 s5, s9, 0
	global_load_ushort v15, v9, s[4:5]
	s_waitcnt vmcnt(0)
	v_mad_u32_u24 v13, v22, v13, v20
	v_mad_u64_u32 v[19:20], s[4:5], v13, v15, v[21:22]
	s_movk_i32 s4, 0x100
	v_cmp_lt_u32_e32 vcc, s4, v246
	s_and_saveexec_b64 s[4:5], vcc
	s_xor_b64 s[42:43], exec, s[4:5]
	s_cbranch_execz .LBB1225_352
; %bb.315:
	v_mbcnt_hi_u32_b32 v38, -1, v14
	v_add_co_u32_e32 v0, vcc, v0, v17
	v_and_b32_e32 v39, 63, v38
	v_addc_co_u32_e32 v1, vcc, v1, v18, vcc
	v_lshlrev_b32_e32 v8, 1, v19
	v_lshlrev_b32_e32 v20, 3, v39
	v_and_b32_e32 v8, 0xffffff80, v8
	v_add_co_u32_e32 v13, vcc, v0, v20
	v_addc_co_u32_e32 v14, vcc, 0, v1, vcc
	v_lshlrev_b64 v[0:1], 3, v[8:9]
	v_or_b32_e32 v8, v39, v8
	v_add_co_u32_e32 v22, vcc, v13, v0
	v_addc_co_u32_e32 v23, vcc, v14, v1, vcc
	v_mov_b32_e32 v13, -1
	v_bfrev_b32_e32 v14, -2
	v_cmp_lt_u32_e32 vcc, v8, v246
	v_mov_b32_e32 v15, v13
	v_mov_b32_e32 v16, v14
	s_and_saveexec_b64 s[4:5], vcc
	s_cbranch_execz .LBB1225_317
; %bb.316:
	flat_load_dwordx2 v[24:25], v[22:23]
	v_mov_b32_e32 v26, v13
	v_mov_b32_e32 v27, v14
	s_waitcnt vmcnt(0) lgkmcnt(0)
	v_mov_b32_e32 v13, v24
	v_mov_b32_e32 v14, v25
	;; [unrolled: 1-line block ×4, first 2 shown]
.LBB1225_317:
	s_or_b64 exec, exec, s[4:5]
	v_or_b32_e32 v8, 64, v8
	v_cmp_lt_u32_e64 s[4:5], v8, v246
	s_and_saveexec_b64 s[6:7], s[4:5]
	s_cbranch_execz .LBB1225_319
; %bb.318:
	flat_load_dwordx2 v[15:16], v[22:23] offset:512
.LBB1225_319:
	s_or_b64 exec, exec, s[6:7]
	v_add_co_u32_e64 v4, s[6:7], v4, v17
	v_addc_co_u32_e64 v5, s[6:7], v5, v18, s[6:7]
	v_add_co_u32_e64 v4, s[6:7], v4, v20
	v_addc_co_u32_e64 v5, s[6:7], 0, v5, s[6:7]
	v_mov_b32_e32 v24, 0
	v_mov_b32_e32 v22, 0
	v_add_co_u32_e64 v0, s[6:7], v4, v0
	v_mov_b32_e32 v25, 0
	v_mov_b32_e32 v23, 0
	v_addc_co_u32_e64 v1, s[6:7], v5, v1, s[6:7]
	s_and_saveexec_b64 s[6:7], vcc
	s_cbranch_execz .LBB1225_321
; %bb.320:
	flat_load_dwordx2 v[22:23], v[0:1]
.LBB1225_321:
	s_or_b64 exec, exec, s[6:7]
	s_and_saveexec_b64 s[6:7], s[4:5]
	s_cbranch_execz .LBB1225_323
; %bb.322:
	flat_load_dwordx2 v[24:25], v[0:1] offset:512
.LBB1225_323:
	s_or_b64 exec, exec, s[6:7]
	v_cmp_lt_i64_e32 vcc, -1, v[13:14]
	v_bfrev_b32_e32 v20, 1
	v_cndmask_b32_e32 v0, -1, v20, vcc
	s_waitcnt vmcnt(0) lgkmcnt(0)
	v_cmp_lt_i64_e32 vcc, -1, v[15:16]
	v_xor_b32_e32 v27, v0, v14
	v_cndmask_b32_e32 v0, -1, v20, vcc
	v_xor_b32_e32 v29, v0, v16
	v_lshl_add_u32 v0, v21, 4, v12
	s_getpc_b64 s[4:5]
	s_add_u32 s4, s4, _ZN7rocprim17ROCPRIM_400000_NS16block_radix_sortIdLj256ELj2ElLj1ELj1ELj8ELNS0_26block_radix_rank_algorithmE2ELNS0_18block_padding_hintE2ELNS0_4arch9wavefront6targetE1EE19radix_bits_per_passE@rel32@lo+4
	s_addc_u32 s5, s5, _ZN7rocprim17ROCPRIM_400000_NS16block_radix_sortIdLj256ELj2ElLj1ELj1ELj8ELNS0_26block_radix_rank_algorithmE2ELNS0_18block_padding_hintE2ELNS0_4arch9wavefront6targetE1EE19radix_bits_per_passE@rel32@hi+12
	v_add_u32_e32 v30, 16, v0
	v_add_u32_e32 v31, 20, v0
	;; [unrolled: 1-line block ×4, first 2 shown]
	v_and_b32_e32 v0, 15, v38
	s_load_dword s60, s[4:5], 0x0
	v_cmp_eq_u32_e32 vcc, 0, v0
	v_cmp_lt_u32_e64 s[4:5], 1, v0
	v_cmp_lt_u32_e64 s[6:7], 3, v0
	v_cmp_lt_u32_e64 s[8:9], 7, v0
	v_and_b32_e32 v0, 16, v38
	v_cmp_eq_u32_e64 s[10:11], 0, v0
	v_and_b32_e32 v0, 0x3c0, v21
	v_ashrrev_i32_e32 v1, 31, v14
	v_min_u32_e32 v0, 0xc0, v0
	v_xor_b32_e32 v26, v1, v13
	v_ashrrev_i32_e32 v1, 31, v16
	v_or_b32_e32 v0, 63, v0
	v_xor_b32_e32 v28, v1, v15
	v_cmp_eq_u32_e64 s[14:15], v21, v0
	v_subrev_co_u32_e64 v0, s[20:21], 1, v38
	v_and_b32_e32 v1, 64, v38
	v_cmp_lt_i32_e64 s[22:23], v0, v1
	v_cndmask_b32_e64 v0, v0, v38, s[22:23]
	v_lshlrev_b32_e32 v35, 2, v0
	v_lshrrev_b32_e32 v0, 4, v21
	v_and_b32_e32 v0, 60, v0
	v_add_u32_e32 v36, v12, v0
	v_and_b32_e32 v0, 3, v38
	v_cmp_eq_u32_e64 s[24:25], 0, v0
	v_cmp_lt_u32_e64 s[26:27], 1, v0
	v_lshlrev_b32_e32 v0, 1, v21
	s_movk_i32 s28, 0x780
	v_and_or_b32 v0, v0, s28, v39
	s_mov_b32 s44, -1
	v_lshl_add_u32 v39, v0, 3, v12
	s_brev_b32 s45, -2
	v_lshrrev_b32_e32 v34, 6, v19
	v_cmp_lt_u32_e64 s[12:13], 31, v38
	v_cmp_gt_u32_e64 s[16:17], 4, v21
	v_cmp_lt_u32_e64 s[18:19], 63, v21
	v_cmp_eq_u32_e64 s[22:23], 0, v21
	v_mov_b32_e32 v1, 0
	v_lshl_add_u32 v37, v21, 2, v12
	v_add_u32_e32 v38, -4, v36
	v_add_u32_e32 v48, 0x200, v39
	v_sub_u32_e32 v49, v11, v10
	s_mov_b64 s[46:47], 0
	s_waitcnt lgkmcnt(0)
	s_barrier
	s_branch .LBB1225_325
.LBB1225_324:                           ;   in Loop: Header=BB1225_325 Depth=1
	s_or_b64 exec, exec, s[40:41]
	s_and_b64 s[28:29], exec, s[56:57]
	s_or_b64 s[46:47], s[28:29], s[46:47]
	s_andn2_b64 exec, exec, s[46:47]
	s_cbranch_execz .LBB1225_343
.LBB1225_325:                           ; =>This Inner Loop Header: Depth=1
	v_mov_b32_e32 v15, v26
	v_mov_b32_e32 v16, v27
	v_cmp_ne_u64_e64 s[28:29], s[44:45], v[15:16]
	v_mov_b32_e32 v8, v22
	v_mov_b32_e32 v9, v23
	v_min_u32_e32 v0, s60, v49
	v_cndmask_b32_e64 v23, v20, v16, s[28:29]
	v_cndmask_b32_e64 v22, 0, v15, s[28:29]
	v_mov_b32_e32 v4, v24
	v_lshlrev_b32_e64 v0, v0, -1
	v_lshrrev_b64 v[22:23], v10, v[22:23]
	v_mov_b32_e32 v5, v25
	v_not_b32_e32 v25, v0
	v_and_b32_e32 v24, v22, v25
	v_lshl_add_u32 v0, v24, 2, v34
	v_lshlrev_b64 v[22:23], 2, v[0:1]
	v_mov_b32_e32 v13, v28
	v_add_co_u32_e64 v0, s[28:29], v12, v22
	v_add_co_u32_e64 v0, s[28:29], 16, v0
	v_and_b32_e32 v22, 1, v24
	v_add_co_u32_e64 v23, s[28:29], -1, v22
	v_addc_co_u32_e64 v26, s[28:29], 0, -1, s[28:29]
	v_cmp_ne_u32_e64 s[28:29], 0, v22
	v_xor_b32_e32 v22, s29, v26
	v_xor_b32_e32 v23, s28, v23
	v_and_b32_e32 v26, exec_hi, v22
	v_and_b32_e32 v27, exec_lo, v23
	v_lshlrev_b32_e32 v23, 30, v24
	v_mov_b32_e32 v22, v1
	v_cmp_gt_i64_e64 s[28:29], 0, v[22:23]
	v_not_b32_e32 v22, v23
	v_ashrrev_i32_e32 v22, 31, v22
	v_xor_b32_e32 v23, s29, v22
	v_xor_b32_e32 v22, s28, v22
	v_and_b32_e32 v26, v26, v23
	v_and_b32_e32 v27, v27, v22
	v_lshlrev_b32_e32 v23, 29, v24
	v_mov_b32_e32 v22, v1
	v_cmp_gt_i64_e64 s[28:29], 0, v[22:23]
	v_not_b32_e32 v22, v23
	v_ashrrev_i32_e32 v22, 31, v22
	v_xor_b32_e32 v23, s29, v22
	v_xor_b32_e32 v22, s28, v22
	v_and_b32_e32 v26, v26, v23
	v_and_b32_e32 v27, v27, v22
	;; [unrolled: 9-line block ×7, first 2 shown]
	v_mbcnt_lo_u32_b32 v24, v22, 0
	v_mbcnt_hi_u32_b32 v24, v23, v24
	v_cmp_ne_u64_e64 s[28:29], 0, v[22:23]
	v_cmp_eq_u32_e64 s[40:41], 0, v24
	v_mov_b32_e32 v14, v29
	s_and_b64 s[40:41], s[28:29], s[40:41]
	ds_write_b32 v30, v1
	ds_write_b32 v31, v1
	;; [unrolled: 1-line block ×4, first 2 shown]
	s_waitcnt lgkmcnt(0)
	s_barrier
	; wave barrier
	s_and_saveexec_b64 s[28:29], s[40:41]
; %bb.326:                              ;   in Loop: Header=BB1225_325 Depth=1
	v_bcnt_u32_b32 v22, v22, 0
	v_bcnt_u32_b32 v22, v23, v22
	ds_write_b32 v0, v22
; %bb.327:                              ;   in Loop: Header=BB1225_325 Depth=1
	s_or_b64 exec, exec, s[28:29]
	v_cmp_ne_u64_e64 s[28:29], s[44:45], v[13:14]
	v_cndmask_b32_e64 v23, v20, v14, s[28:29]
	v_cndmask_b32_e64 v22, 0, v13, s[28:29]
	v_lshrrev_b64 v[22:23], v10, v[22:23]
	; wave barrier
	v_and_b32_e32 v27, v22, v25
	v_lshl_add_u32 v22, v27, 2, v34
	v_lshl_add_u32 v22, v22, 2, v12
	v_add_u32_e32 v26, 16, v22
	ds_read_b32 v25, v22 offset:16
	v_and_b32_e32 v22, 1, v27
	v_add_co_u32_e64 v23, s[28:29], -1, v22
	v_addc_co_u32_e64 v28, s[28:29], 0, -1, s[28:29]
	v_cmp_ne_u32_e64 s[28:29], 0, v22
	v_xor_b32_e32 v22, s29, v28
	v_xor_b32_e32 v23, s28, v23
	v_and_b32_e32 v28, exec_hi, v22
	v_and_b32_e32 v29, exec_lo, v23
	v_lshlrev_b32_e32 v23, 30, v27
	v_mov_b32_e32 v22, v1
	v_cmp_gt_i64_e64 s[28:29], 0, v[22:23]
	v_not_b32_e32 v22, v23
	v_ashrrev_i32_e32 v22, 31, v22
	v_xor_b32_e32 v23, s29, v22
	v_xor_b32_e32 v22, s28, v22
	v_and_b32_e32 v28, v28, v23
	v_and_b32_e32 v29, v29, v22
	v_lshlrev_b32_e32 v23, 29, v27
	v_mov_b32_e32 v22, v1
	v_cmp_gt_i64_e64 s[28:29], 0, v[22:23]
	v_not_b32_e32 v22, v23
	v_ashrrev_i32_e32 v22, 31, v22
	v_xor_b32_e32 v23, s29, v22
	v_xor_b32_e32 v22, s28, v22
	v_and_b32_e32 v28, v28, v23
	v_and_b32_e32 v29, v29, v22
	;; [unrolled: 9-line block ×7, first 2 shown]
	v_mbcnt_lo_u32_b32 v27, v22, 0
	v_mbcnt_hi_u32_b32 v27, v23, v27
	v_cmp_ne_u64_e64 s[28:29], 0, v[22:23]
	v_cmp_eq_u32_e64 s[40:41], 0, v27
	s_and_b64 s[40:41], s[28:29], s[40:41]
	; wave barrier
	s_and_saveexec_b64 s[28:29], s[40:41]
	s_cbranch_execz .LBB1225_329
; %bb.328:                              ;   in Loop: Header=BB1225_325 Depth=1
	v_bcnt_u32_b32 v22, v22, 0
	v_bcnt_u32_b32 v22, v23, v22
	s_waitcnt lgkmcnt(0)
	v_add_u32_e32 v22, v25, v22
	ds_write_b32 v26, v22
.LBB1225_329:                           ;   in Loop: Header=BB1225_325 Depth=1
	s_or_b64 exec, exec, s[28:29]
	; wave barrier
	s_waitcnt lgkmcnt(0)
	s_barrier
	ds_read_b32 v28, v30
	ds_read_b32 v23, v31
	;; [unrolled: 1-line block ×4, first 2 shown]
	s_waitcnt lgkmcnt(2)
	v_add_u32_e32 v50, v23, v28
	s_waitcnt lgkmcnt(0)
	v_add3_u32 v29, v50, v22, v29
	s_nop 1
	v_mov_b32_dpp v50, v29 row_shr:1 row_mask:0xf bank_mask:0xf
	v_cndmask_b32_e64 v50, v50, 0, vcc
	v_add_u32_e32 v29, v50, v29
	s_nop 1
	v_mov_b32_dpp v50, v29 row_shr:2 row_mask:0xf bank_mask:0xf
	v_cndmask_b32_e64 v50, 0, v50, s[4:5]
	v_add_u32_e32 v29, v29, v50
	s_nop 1
	v_mov_b32_dpp v50, v29 row_shr:4 row_mask:0xf bank_mask:0xf
	v_cndmask_b32_e64 v50, 0, v50, s[6:7]
	;; [unrolled: 4-line block ×3, first 2 shown]
	v_add_u32_e32 v29, v29, v50
	s_nop 1
	v_mov_b32_dpp v50, v29 row_bcast:15 row_mask:0xf bank_mask:0xf
	v_cndmask_b32_e64 v50, v50, 0, s[10:11]
	v_add_u32_e32 v29, v29, v50
	s_nop 1
	v_mov_b32_dpp v50, v29 row_bcast:31 row_mask:0xf bank_mask:0xf
	v_cndmask_b32_e64 v50, 0, v50, s[12:13]
	v_add_u32_e32 v29, v29, v50
	s_and_saveexec_b64 s[28:29], s[14:15]
; %bb.330:                              ;   in Loop: Header=BB1225_325 Depth=1
	ds_write_b32 v36, v29
; %bb.331:                              ;   in Loop: Header=BB1225_325 Depth=1
	s_or_b64 exec, exec, s[28:29]
	s_waitcnt lgkmcnt(0)
	s_barrier
	s_and_saveexec_b64 s[28:29], s[16:17]
	s_cbranch_execz .LBB1225_333
; %bb.332:                              ;   in Loop: Header=BB1225_325 Depth=1
	ds_read_b32 v50, v37
	s_waitcnt lgkmcnt(0)
	s_nop 0
	v_mov_b32_dpp v51, v50 row_shr:1 row_mask:0xf bank_mask:0xf
	v_cndmask_b32_e64 v51, v51, 0, s[24:25]
	v_add_u32_e32 v50, v51, v50
	s_nop 1
	v_mov_b32_dpp v51, v50 row_shr:2 row_mask:0xf bank_mask:0xf
	v_cndmask_b32_e64 v51, 0, v51, s[26:27]
	v_add_u32_e32 v50, v50, v51
	ds_write_b32 v37, v50
.LBB1225_333:                           ;   in Loop: Header=BB1225_325 Depth=1
	s_or_b64 exec, exec, s[28:29]
	v_mov_b32_e32 v50, 0
	s_waitcnt lgkmcnt(0)
	s_barrier
	s_and_saveexec_b64 s[28:29], s[18:19]
; %bb.334:                              ;   in Loop: Header=BB1225_325 Depth=1
	ds_read_b32 v50, v38
; %bb.335:                              ;   in Loop: Header=BB1225_325 Depth=1
	s_or_b64 exec, exec, s[28:29]
	s_waitcnt lgkmcnt(0)
	v_add_u32_e32 v29, v50, v29
	ds_bpermute_b32 v29, v35, v29
	v_add_u32_e32 v10, 8, v10
	v_cmp_lt_u32_e64 s[28:29], v10, v11
	s_mov_b64 s[56:57], -1
	s_waitcnt lgkmcnt(0)
	v_cndmask_b32_e64 v29, v29, v50, s[20:21]
	v_cndmask_b32_e64 v29, v29, 0, s[22:23]
	v_add_u32_e32 v28, v29, v28
	v_add_u32_e32 v23, v28, v23
	;; [unrolled: 1-line block ×3, first 2 shown]
	ds_write_b32 v30, v29
	ds_write_b32 v31, v28
	;; [unrolled: 1-line block ×4, first 2 shown]
	s_waitcnt lgkmcnt(0)
	s_barrier
	ds_read_b32 v0, v0
	ds_read_b32 v22, v26
	s_waitcnt lgkmcnt(0)
                                        ; implicit-def: $vgpr28_vgpr29
	v_add_u32_e32 v0, v0, v24
	v_lshlrev_b64 v[23:24], 3, v[0:1]
	v_add3_u32 v22, v27, v25, v22
	v_add_co_u32_e64 v0, s[40:41], v12, v23
	v_mov_b32_e32 v23, v1
	v_lshlrev_b64 v[22:23], 3, v[22:23]
                                        ; implicit-def: $vgpr26_vgpr27
                                        ; implicit-def: $vgpr24_vgpr25
	v_add_co_u32_e64 v50, s[40:41], v12, v22
                                        ; implicit-def: $vgpr22_vgpr23
	s_and_saveexec_b64 s[40:41], s[28:29]
	s_cbranch_execz .LBB1225_324
; %bb.336:                              ;   in Loop: Header=BB1225_325 Depth=1
	s_barrier
	ds_write_b64 v0, v[15:16]
	ds_write_b64 v50, v[13:14]
	s_waitcnt lgkmcnt(0)
	s_barrier
	ds_read_b64 v[26:27], v39
	ds_read_b64 v[28:29], v48
	s_waitcnt lgkmcnt(0)
	s_barrier
	ds_write_b64 v0, v[8:9]
	ds_write_b64 v50, v[4:5]
	s_waitcnt lgkmcnt(0)
	s_barrier
	ds_read_b64 v[22:23], v39
	ds_read_b64 v[24:25], v48
	v_add_u32_e32 v49, -8, v49
	s_xor_b64 s[56:57], exec, -1
	s_waitcnt lgkmcnt(0)
	s_barrier
	s_branch .LBB1225_324
.LBB1225_337:
	flat_load_dwordx2 v[30:31], v[4:5]
	s_or_b64 exec, exec, s[14:15]
                                        ; implicit-def: $vgpr32_vgpr33
	s_and_saveexec_b64 s[14:15], s[4:5]
	s_cbranch_execz .LBB1225_264
.LBB1225_338:
	flat_load_dwordx2 v[32:33], v[4:5] offset:512
	s_or_b64 exec, exec, s[14:15]
                                        ; implicit-def: $vgpr34_vgpr35
	s_and_saveexec_b64 s[4:5], s[6:7]
	s_cbranch_execz .LBB1225_265
.LBB1225_339:
	flat_load_dwordx2 v[34:35], v[4:5] offset:1024
	s_or_b64 exec, exec, s[4:5]
                                        ; implicit-def: $vgpr36_vgpr37
	s_and_saveexec_b64 s[4:5], s[10:11]
	s_cbranch_execnz .LBB1225_266
	s_branch .LBB1225_267
.LBB1225_340:
	flat_store_dwordx2 v[0:1], v[12:13]
	s_or_b64 exec, exec, s[16:17]
	s_and_saveexec_b64 s[4:5], s[6:7]
	s_cbranch_execz .LBB1225_309
.LBB1225_341:
	flat_store_dwordx2 v[0:1], v[14:15] offset:2048
	s_or_b64 exec, exec, s[4:5]
	s_and_saveexec_b64 s[4:5], s[10:11]
	s_cbranch_execz .LBB1225_310
.LBB1225_342:
	v_add_co_u32_e32 v2, vcc, 0x1000, v0
	v_addc_co_u32_e32 v3, vcc, 0, v1, vcc
	flat_store_dwordx2 v[2:3], v[8:9]
	s_or_b64 exec, exec, s[4:5]
	s_and_saveexec_b64 s[4:5], s[14:15]
	s_cbranch_execnz .LBB1225_311
	s_branch .LBB1225_312
.LBB1225_343:
	s_or_b64 exec, exec, s[46:47]
	v_lshl_add_u32 v1, v21, 3, v12
	v_mov_b32_e32 v20, 0
	s_barrier
	ds_write_b64 v0, v[15:16]
	ds_write_b64 v50, v[13:14]
	s_waitcnt lgkmcnt(0)
	s_barrier
	ds_read2st64_b64 v[12:15], v1 offset1:4
	s_waitcnt lgkmcnt(0)
	s_barrier
	ds_write_b64 v0, v[8:9]
	ds_write_b64 v50, v[4:5]
	s_waitcnt lgkmcnt(0)
	s_barrier
	ds_read2st64_b64 v[8:11], v1 offset1:4
	v_add_co_u32_e32 v2, vcc, v2, v17
	v_lshlrev_b64 v[0:1], 3, v[19:20]
	v_addc_co_u32_e32 v3, vcc, v3, v18, vcc
	v_add_co_u32_e32 v2, vcc, v2, v0
	v_addc_co_u32_e32 v3, vcc, v3, v1, vcc
	v_cmp_lt_u32_e32 vcc, v19, v246
	s_waitcnt lgkmcnt(0)
	s_barrier
	s_and_saveexec_b64 s[6:7], vcc
	s_cbranch_execz .LBB1225_345
; %bb.344:
	v_cmp_lt_i64_e64 s[4:5], -1, v[12:13]
	v_bfrev_b32_e32 v4, 1
	v_ashrrev_i32_e32 v5, 31, v13
	v_cndmask_b32_e64 v4, v4, -1, s[4:5]
	v_not_b32_e32 v16, v5
	v_xor_b32_e32 v5, v4, v13
	v_xor_b32_e32 v4, v16, v12
	flat_store_dwordx2 v[2:3], v[4:5]
.LBB1225_345:
	s_or_b64 exec, exec, s[6:7]
	v_add_u32_e32 v4, 0x100, v19
	v_cmp_lt_u32_e64 s[4:5], v4, v246
	s_and_saveexec_b64 s[8:9], s[4:5]
	s_cbranch_execz .LBB1225_347
; %bb.346:
	v_cmp_lt_i64_e64 s[6:7], -1, v[14:15]
	v_bfrev_b32_e32 v4, 1
	v_ashrrev_i32_e32 v5, 31, v15
	v_cndmask_b32_e64 v4, v4, -1, s[6:7]
	v_not_b32_e32 v12, v5
	v_xor_b32_e32 v5, v4, v15
	v_xor_b32_e32 v4, v12, v14
	flat_store_dwordx2 v[2:3], v[4:5] offset:2048
.LBB1225_347:
	s_or_b64 exec, exec, s[8:9]
	v_add_co_u32_e64 v2, s[6:7], v6, v17
	v_addc_co_u32_e64 v3, s[6:7], v7, v18, s[6:7]
	v_add_co_u32_e64 v0, s[6:7], v2, v0
	v_addc_co_u32_e64 v1, s[6:7], v3, v1, s[6:7]
	s_and_saveexec_b64 s[6:7], vcc
	s_cbranch_execz .LBB1225_349
; %bb.348:
	flat_store_dwordx2 v[0:1], v[8:9]
.LBB1225_349:
	s_or_b64 exec, exec, s[6:7]
	s_and_saveexec_b64 s[6:7], s[4:5]
	s_cbranch_execz .LBB1225_351
; %bb.350:
	flat_store_dwordx2 v[0:1], v[10:11] offset:2048
.LBB1225_351:
	s_or_b64 exec, exec, s[6:7]
                                        ; implicit-def: $vgpr21
                                        ; implicit-def: $vgpr19_vgpr20
                                        ; implicit-def: $vgpr17_vgpr18
                                        ; implicit-def: $vgpr246
                                        ; implicit-def: $vgpr0
                                        ; implicit-def: $vgpr1
                                        ; implicit-def: $vgpr2
                                        ; implicit-def: $vgpr3
                                        ; implicit-def: $vgpr4
                                        ; implicit-def: $vgpr5
                                        ; implicit-def: $vgpr6
                                        ; implicit-def: $vgpr7
                                        ; implicit-def: $vgpr10
                                        ; implicit-def: $vgpr11
                                        ; implicit-def: $vgpr12
                                        ; implicit-def: $vgpr14
.LBB1225_352:
	s_andn2_saveexec_b64 s[4:5], s[42:43]
	s_cbranch_execz .LBB1225_372
; %bb.353:
	v_mbcnt_hi_u32_b32 v28, -1, v14
	v_and_b32_e32 v30, 63, v28
	v_bfi_b32 v8, 63, v28, v19
	v_and_b32_e32 v15, 0xffffffc0, v19
	v_cmp_lt_u32_e32 vcc, v8, v246
	v_mov_b32_e32 v8, -1
	v_bfrev_b32_e32 v9, -2
	v_lshlrev_b32_e32 v20, 3, v30
	s_and_saveexec_b64 s[6:7], vcc
	s_cbranch_execz .LBB1225_355
; %bb.354:
	v_add_co_u32_e64 v0, s[4:5], v0, v17
	v_addc_co_u32_e64 v1, s[4:5], v1, v18, s[4:5]
	v_mov_b32_e32 v16, 0
	v_add_co_u32_e64 v8, s[4:5], v0, v20
	v_addc_co_u32_e64 v9, s[4:5], 0, v1, s[4:5]
	v_lshlrev_b64 v[0:1], 3, v[15:16]
	v_add_co_u32_e64 v0, s[4:5], v8, v0
	v_addc_co_u32_e64 v1, s[4:5], v9, v1, s[4:5]
	flat_load_dwordx2 v[8:9], v[0:1]
.LBB1225_355:
	s_or_b64 exec, exec, s[6:7]
                                        ; implicit-def: $vgpr13_vgpr14
	s_and_saveexec_b64 s[4:5], vcc
	s_cbranch_execz .LBB1225_357
; %bb.356:
	v_add_co_u32_e32 v0, vcc, v4, v17
	v_addc_co_u32_e32 v1, vcc, v5, v18, vcc
	v_mov_b32_e32 v16, 0
	v_add_co_u32_e32 v4, vcc, v0, v20
	v_addc_co_u32_e32 v5, vcc, 0, v1, vcc
	v_lshlrev_b64 v[0:1], 3, v[15:16]
	v_add_co_u32_e32 v0, vcc, v4, v0
	v_addc_co_u32_e32 v1, vcc, v5, v1, vcc
	flat_load_dwordx2 v[13:14], v[0:1]
.LBB1225_357:
	s_or_b64 exec, exec, s[4:5]
	s_waitcnt vmcnt(0) lgkmcnt(0)
	v_ashrrev_i32_e32 v1, 31, v9
	v_cmp_lt_i64_e32 vcc, -1, v[8:9]
	v_xor_b32_e32 v15, v1, v8
	v_lshl_add_u32 v1, v21, 4, v12
	v_bfrev_b32_e32 v20, 1
	s_getpc_b64 s[4:5]
	s_add_u32 s4, s4, _ZN7rocprim17ROCPRIM_400000_NS16block_radix_sortIdLj256ELj1ElLj1ELj1ELj8ELNS0_26block_radix_rank_algorithmE2ELNS0_18block_padding_hintE2ELNS0_4arch9wavefront6targetE1EE19radix_bits_per_passE@rel32@lo+4
	s_addc_u32 s5, s5, _ZN7rocprim17ROCPRIM_400000_NS16block_radix_sortIdLj256ELj1ElLj1ELj1ELj8ELNS0_26block_radix_rank_algorithmE2ELNS0_18block_padding_hintE2ELNS0_4arch9wavefront6targetE1EE19radix_bits_per_passE@rel32@hi+12
	v_add_u32_e32 v22, 16, v1
	v_add_u32_e32 v23, 20, v1
	v_add_u32_e32 v24, 24, v1
	v_add_u32_e32 v25, 28, v1
	v_and_b32_e32 v1, 15, v28
	v_cndmask_b32_e32 v0, -1, v20, vcc
	s_load_dword s56, s[4:5], 0x0
	v_cmp_eq_u32_e32 vcc, 0, v1
	v_cmp_lt_u32_e64 s[4:5], 1, v1
	v_cmp_lt_u32_e64 s[6:7], 3, v1
	;; [unrolled: 1-line block ×3, first 2 shown]
	v_and_b32_e32 v1, 16, v28
	v_cmp_eq_u32_e64 s[10:11], 0, v1
	v_and_b32_e32 v1, 0x3c0, v21
	v_min_u32_e32 v4, 0xc0, v1
	v_or_b32_e32 v4, 63, v4
	v_cmp_eq_u32_e64 s[12:13], v21, v4
	v_subrev_co_u32_e64 v4, s[14:15], 1, v28
	v_and_b32_e32 v5, 64, v28
	v_cmp_lt_i32_e64 s[22:23], v4, v5
	v_cndmask_b32_e64 v4, v4, v28, s[22:23]
	v_lshlrev_b32_e32 v27, 2, v4
	v_and_b32_e32 v4, 3, v28
	v_cmp_eq_u32_e64 s[24:25], 0, v4
	v_cmp_lt_u32_e64 s[26:27], 1, v4
	v_lshrrev_b32_e32 v4, 4, v21
	v_xor_b32_e32 v16, v0, v9
	v_lshlrev_b32_e32 v0, 2, v21
	v_and_b32_e32 v4, 60, v4
	s_mov_b32 s42, -1
	v_cmp_lt_u32_e64 s[16:17], 31, v28
	v_add_u32_e32 v29, v12, v4
	v_add_co_u32_e64 v28, s[28:29], v12, v0
	v_or_b32_e32 v0, v30, v1
	s_brev_b32 s43, -2
	v_lshrrev_b32_e32 v26, 6, v19
	v_cmp_gt_u32_e64 s[18:19], 4, v21
	v_cmp_lt_u32_e64 s[20:21], 63, v21
	v_cmp_eq_u32_e64 s[22:23], 0, v21
	v_add_u32_e32 v30, -4, v29
	v_lshl_add_u32 v31, v0, 3, v12
	s_mov_b64 s[44:45], 0
	v_sub_u32_e32 v32, v11, v10
	v_mov_b32_e32 v5, 0
	s_waitcnt lgkmcnt(0)
	s_barrier
	s_branch .LBB1225_359
.LBB1225_358:                           ;   in Loop: Header=BB1225_359 Depth=1
	s_or_b64 exec, exec, s[40:41]
	s_and_b64 s[28:29], exec, s[46:47]
	s_or_b64 s[44:45], s[28:29], s[44:45]
	s_andn2_b64 exec, exec, s[44:45]
	s_cbranch_execz .LBB1225_369
.LBB1225_359:                           ; =>This Inner Loop Header: Depth=1
	v_mov_b32_e32 v8, v15
	v_mov_b32_e32 v9, v16
	v_cmp_ne_u64_e64 s[28:29], s[42:43], v[8:9]
	v_mov_b32_e32 v0, v13
	v_mov_b32_e32 v1, v14
	v_cndmask_b32_e64 v14, v20, v9, s[28:29]
	v_cndmask_b32_e64 v13, 0, v8, s[28:29]
	v_lshrrev_b64 v[13:14], v10, v[13:14]
	v_min_u32_e32 v4, s56, v32
	v_bfe_u32 v15, v13, 0, v4
	v_lshl_add_u32 v4, v15, 2, v26
	v_lshlrev_b64 v[13:14], 2, v[4:5]
	ds_write_b32 v22, v5
	ds_write_b32 v23, v5
	;; [unrolled: 1-line block ×4, first 2 shown]
	v_add_co_u32_e64 v4, s[28:29], v12, v13
	v_add_co_u32_e64 v4, s[28:29], 16, v4
	v_and_b32_e32 v13, 1, v15
	v_add_co_u32_e64 v14, s[28:29], -1, v13
	v_addc_co_u32_e64 v16, s[28:29], 0, -1, s[28:29]
	v_cmp_ne_u32_e64 s[28:29], 0, v13
	v_xor_b32_e32 v13, s29, v16
	v_xor_b32_e32 v14, s28, v14
	v_and_b32_e32 v16, exec_hi, v13
	v_and_b32_e32 v33, exec_lo, v14
	v_lshlrev_b32_e32 v14, 30, v15
	v_mov_b32_e32 v13, v5
	v_cmp_gt_i64_e64 s[28:29], 0, v[13:14]
	v_not_b32_e32 v13, v14
	v_ashrrev_i32_e32 v13, 31, v13
	v_xor_b32_e32 v14, s29, v13
	v_xor_b32_e32 v13, s28, v13
	v_and_b32_e32 v16, v16, v14
	v_and_b32_e32 v33, v33, v13
	v_lshlrev_b32_e32 v14, 29, v15
	v_mov_b32_e32 v13, v5
	v_cmp_gt_i64_e64 s[28:29], 0, v[13:14]
	v_not_b32_e32 v13, v14
	v_ashrrev_i32_e32 v13, 31, v13
	v_xor_b32_e32 v14, s29, v13
	v_xor_b32_e32 v13, s28, v13
	v_and_b32_e32 v16, v16, v14
	v_and_b32_e32 v33, v33, v13
	;; [unrolled: 9-line block ×7, first 2 shown]
	v_mbcnt_lo_u32_b32 v15, v13, 0
	v_mbcnt_hi_u32_b32 v15, v14, v15
	v_cmp_ne_u64_e64 s[28:29], 0, v[13:14]
	v_cmp_eq_u32_e64 s[40:41], 0, v15
	s_and_b64 s[40:41], s[28:29], s[40:41]
	s_waitcnt lgkmcnt(0)
	s_barrier
	; wave barrier
	s_and_saveexec_b64 s[28:29], s[40:41]
; %bb.360:                              ;   in Loop: Header=BB1225_359 Depth=1
	v_bcnt_u32_b32 v13, v13, 0
	v_bcnt_u32_b32 v13, v14, v13
	ds_write_b32 v4, v13
; %bb.361:                              ;   in Loop: Header=BB1225_359 Depth=1
	s_or_b64 exec, exec, s[28:29]
	; wave barrier
	s_waitcnt lgkmcnt(0)
	s_barrier
	ds_read_b32 v16, v22
	ds_read_b32 v14, v23
	;; [unrolled: 1-line block ×4, first 2 shown]
	s_waitcnt lgkmcnt(2)
	v_add_u32_e32 v34, v14, v16
	s_waitcnt lgkmcnt(0)
	v_add3_u32 v33, v34, v13, v33
	s_nop 1
	v_mov_b32_dpp v34, v33 row_shr:1 row_mask:0xf bank_mask:0xf
	v_cndmask_b32_e64 v34, v34, 0, vcc
	v_add_u32_e32 v33, v34, v33
	s_nop 1
	v_mov_b32_dpp v34, v33 row_shr:2 row_mask:0xf bank_mask:0xf
	v_cndmask_b32_e64 v34, 0, v34, s[4:5]
	v_add_u32_e32 v33, v33, v34
	s_nop 1
	v_mov_b32_dpp v34, v33 row_shr:4 row_mask:0xf bank_mask:0xf
	v_cndmask_b32_e64 v34, 0, v34, s[6:7]
	;; [unrolled: 4-line block ×3, first 2 shown]
	v_add_u32_e32 v33, v33, v34
	s_nop 1
	v_mov_b32_dpp v34, v33 row_bcast:15 row_mask:0xf bank_mask:0xf
	v_cndmask_b32_e64 v34, v34, 0, s[10:11]
	v_add_u32_e32 v33, v33, v34
	s_nop 1
	v_mov_b32_dpp v34, v33 row_bcast:31 row_mask:0xf bank_mask:0xf
	v_cndmask_b32_e64 v34, 0, v34, s[16:17]
	v_add_u32_e32 v33, v33, v34
	s_and_saveexec_b64 s[28:29], s[12:13]
; %bb.362:                              ;   in Loop: Header=BB1225_359 Depth=1
	ds_write_b32 v29, v33
; %bb.363:                              ;   in Loop: Header=BB1225_359 Depth=1
	s_or_b64 exec, exec, s[28:29]
	s_waitcnt lgkmcnt(0)
	s_barrier
	s_and_saveexec_b64 s[28:29], s[18:19]
	s_cbranch_execz .LBB1225_365
; %bb.364:                              ;   in Loop: Header=BB1225_359 Depth=1
	ds_read_b32 v34, v28
	s_waitcnt lgkmcnt(0)
	s_nop 0
	v_mov_b32_dpp v35, v34 row_shr:1 row_mask:0xf bank_mask:0xf
	v_cndmask_b32_e64 v35, v35, 0, s[24:25]
	v_add_u32_e32 v34, v35, v34
	s_nop 1
	v_mov_b32_dpp v35, v34 row_shr:2 row_mask:0xf bank_mask:0xf
	v_cndmask_b32_e64 v35, 0, v35, s[26:27]
	v_add_u32_e32 v34, v34, v35
	ds_write_b32 v28, v34
.LBB1225_365:                           ;   in Loop: Header=BB1225_359 Depth=1
	s_or_b64 exec, exec, s[28:29]
	v_mov_b32_e32 v34, 0
	s_waitcnt lgkmcnt(0)
	s_barrier
	s_and_saveexec_b64 s[28:29], s[20:21]
; %bb.366:                              ;   in Loop: Header=BB1225_359 Depth=1
	ds_read_b32 v34, v30
; %bb.367:                              ;   in Loop: Header=BB1225_359 Depth=1
	s_or_b64 exec, exec, s[28:29]
	s_waitcnt lgkmcnt(0)
	v_add_u32_e32 v33, v34, v33
	ds_bpermute_b32 v33, v27, v33
	v_add_u32_e32 v10, 8, v10
	v_cmp_lt_u32_e64 s[28:29], v10, v11
	s_mov_b64 s[46:47], -1
	s_waitcnt lgkmcnt(0)
	v_cndmask_b32_e64 v33, v33, v34, s[14:15]
	v_cndmask_b32_e64 v33, v33, 0, s[22:23]
	v_add_u32_e32 v16, v33, v16
	v_add_u32_e32 v14, v16, v14
	ds_write_b32 v22, v33
	ds_write_b32 v23, v16
	v_add_u32_e32 v13, v14, v13
	ds_write_b32 v24, v14
	ds_write_b32 v25, v13
	s_waitcnt lgkmcnt(0)
	s_barrier
	ds_read_b32 v4, v4
	s_waitcnt lgkmcnt(0)
	v_add_u32_e32 v4, v4, v15
	v_lshlrev_b64 v[13:14], 3, v[4:5]
                                        ; implicit-def: $vgpr15_vgpr16
	v_add_co_u32_e64 v33, s[40:41], v12, v13
                                        ; implicit-def: $vgpr13_vgpr14
	s_and_saveexec_b64 s[40:41], s[28:29]
	s_cbranch_execz .LBB1225_358
; %bb.368:                              ;   in Loop: Header=BB1225_359 Depth=1
	s_barrier
	ds_write_b64 v33, v[8:9]
	s_waitcnt lgkmcnt(0)
	s_barrier
	ds_read_b64 v[15:16], v31
	s_waitcnt lgkmcnt(0)
	s_barrier
	ds_write_b64 v33, v[0:1]
	s_waitcnt lgkmcnt(0)
	s_barrier
	ds_read_b64 v[13:14], v31
	v_add_u32_e32 v32, -8, v32
	s_xor_b64 s[46:47], exec, -1
	s_waitcnt lgkmcnt(0)
	s_barrier
	s_branch .LBB1225_358
.LBB1225_369:
	s_or_b64 exec, exec, s[44:45]
	s_barrier
	ds_write_b64 v33, v[8:9]
	v_lshl_add_u32 v8, v21, 2, v28
	s_waitcnt lgkmcnt(0)
	s_barrier
	ds_read_b64 v[4:5], v8
	s_waitcnt lgkmcnt(0)
	s_barrier
	ds_write_b64 v33, v[0:1]
	s_waitcnt lgkmcnt(0)
	s_barrier
	ds_read_b64 v[0:1], v8
	v_cmp_lt_u32_e32 vcc, v19, v246
	s_waitcnt lgkmcnt(0)
	s_barrier
	s_and_saveexec_b64 s[4:5], vcc
	s_cbranch_execz .LBB1225_371
; %bb.370:
	v_add_co_u32_e32 v8, vcc, v2, v17
	v_mov_b32_e32 v20, 0
	v_addc_co_u32_e32 v9, vcc, v3, v18, vcc
	v_lshlrev_b64 v[2:3], 3, v[19:20]
	v_bfrev_b32_e32 v10, 1
	v_add_co_u32_e32 v8, vcc, v8, v2
	v_addc_co_u32_e32 v9, vcc, v9, v3, vcc
	v_cmp_lt_i64_e32 vcc, -1, v[4:5]
	v_ashrrev_i32_e32 v11, 31, v5
	v_cndmask_b32_e64 v10, v10, -1, vcc
	v_not_b32_e32 v11, v11
	v_xor_b32_e32 v5, v10, v5
	v_xor_b32_e32 v4, v11, v4
	flat_store_dwordx2 v[8:9], v[4:5]
	v_add_co_u32_e32 v4, vcc, v6, v17
	v_addc_co_u32_e32 v5, vcc, v7, v18, vcc
	v_add_co_u32_e32 v2, vcc, v4, v2
	v_addc_co_u32_e32 v3, vcc, v5, v3, vcc
	flat_store_dwordx2 v[2:3], v[0:1]
.LBB1225_371:
	s_or_b64 exec, exec, s[4:5]
.LBB1225_372:
	s_or_b64 exec, exec, s[58:59]
	buffer_load_dword v111, off, s[0:3], s32 ; 4-byte Folded Reload
	buffer_load_dword v110, off, s[0:3], s32 offset:4 ; 4-byte Folded Reload
	buffer_load_dword v109, off, s[0:3], s32 offset:8 ; 4-byte Folded Reload
	;; [unrolled: 1-line block ×39, first 2 shown]
	s_waitcnt vmcnt(0) lgkmcnt(0)
	s_setpc_b64 s[30:31]
.Lfunc_end1225:
	.size	_ZN7rocprim17ROCPRIM_400000_NS6detail40segmented_radix_sort_single_block_helperIdlLj256ELj16ELb0EE4sortIPKdPdPKlPlEEbT_T0_T1_T2_jjjjRNS3_12storage_typeE, .Lfunc_end1225-_ZN7rocprim17ROCPRIM_400000_NS6detail40segmented_radix_sort_single_block_helperIdlLj256ELj16ELb0EE4sortIPKdPdPKlPlEEbT_T0_T1_T2_jjjjRNS3_12storage_typeE
                                        ; -- End function
	.set .L_ZN7rocprim17ROCPRIM_400000_NS6detail40segmented_radix_sort_single_block_helperIdlLj256ELj16ELb0EE4sortIPKdPdPKlPlEEbT_T0_T1_T2_jjjjRNS3_12storage_typeE.num_vgpr, 248
	.set .L_ZN7rocprim17ROCPRIM_400000_NS6detail40segmented_radix_sort_single_block_helperIdlLj256ELj16ELb0EE4sortIPKdPdPKlPlEEbT_T0_T1_T2_jjjjRNS3_12storage_typeE.num_agpr, 0
	.set .L_ZN7rocprim17ROCPRIM_400000_NS6detail40segmented_radix_sort_single_block_helperIdlLj256ELj16ELb0EE4sortIPKdPdPKlPlEEbT_T0_T1_T2_jjjjRNS3_12storage_typeE.numbered_sgpr, 73
	.set .L_ZN7rocprim17ROCPRIM_400000_NS6detail40segmented_radix_sort_single_block_helperIdlLj256ELj16ELb0EE4sortIPKdPdPKlPlEEbT_T0_T1_T2_jjjjRNS3_12storage_typeE.num_named_barrier, 0
	.set .L_ZN7rocprim17ROCPRIM_400000_NS6detail40segmented_radix_sort_single_block_helperIdlLj256ELj16ELb0EE4sortIPKdPdPKlPlEEbT_T0_T1_T2_jjjjRNS3_12storage_typeE.private_seg_size, 164
	.set .L_ZN7rocprim17ROCPRIM_400000_NS6detail40segmented_radix_sort_single_block_helperIdlLj256ELj16ELb0EE4sortIPKdPdPKlPlEEbT_T0_T1_T2_jjjjRNS3_12storage_typeE.uses_vcc, 1
	.set .L_ZN7rocprim17ROCPRIM_400000_NS6detail40segmented_radix_sort_single_block_helperIdlLj256ELj16ELb0EE4sortIPKdPdPKlPlEEbT_T0_T1_T2_jjjjRNS3_12storage_typeE.uses_flat_scratch, 0
	.set .L_ZN7rocprim17ROCPRIM_400000_NS6detail40segmented_radix_sort_single_block_helperIdlLj256ELj16ELb0EE4sortIPKdPdPKlPlEEbT_T0_T1_T2_jjjjRNS3_12storage_typeE.has_dyn_sized_stack, 0
	.set .L_ZN7rocprim17ROCPRIM_400000_NS6detail40segmented_radix_sort_single_block_helperIdlLj256ELj16ELb0EE4sortIPKdPdPKlPlEEbT_T0_T1_T2_jjjjRNS3_12storage_typeE.has_recursion, 0
	.set .L_ZN7rocprim17ROCPRIM_400000_NS6detail40segmented_radix_sort_single_block_helperIdlLj256ELj16ELb0EE4sortIPKdPdPKlPlEEbT_T0_T1_T2_jjjjRNS3_12storage_typeE.has_indirect_call, 0
	.section	.AMDGPU.csdata,"",@progbits
; Function info:
; codeLenInByte = 31332
; TotalNumSgprs: 77
; NumVgprs: 248
; ScratchSize: 164
; MemoryBound: 1
	.section	.text._ZN7rocprim17ROCPRIM_400000_NS6detail17trampoline_kernelINS0_14default_configENS1_36segmented_radix_sort_config_selectorIdlEEZNS1_25segmented_radix_sort_implIS3_Lb0EPKdPdPKlPlN2at6native12_GLOBAL__N_18offset_tEEE10hipError_tPvRmT1_PNSt15iterator_traitsISK_E10value_typeET2_T3_PNSL_ISQ_E10value_typeET4_jRbjT5_SW_jjP12ihipStream_tbEUlT_E_NS1_11comp_targetILNS1_3genE2ELNS1_11target_archE906ELNS1_3gpuE6ELNS1_3repE0EEENS1_30default_config_static_selectorELNS0_4arch9wavefront6targetE1EEEvSK_,"axG",@progbits,_ZN7rocprim17ROCPRIM_400000_NS6detail17trampoline_kernelINS0_14default_configENS1_36segmented_radix_sort_config_selectorIdlEEZNS1_25segmented_radix_sort_implIS3_Lb0EPKdPdPKlPlN2at6native12_GLOBAL__N_18offset_tEEE10hipError_tPvRmT1_PNSt15iterator_traitsISK_E10value_typeET2_T3_PNSL_ISQ_E10value_typeET4_jRbjT5_SW_jjP12ihipStream_tbEUlT_E_NS1_11comp_targetILNS1_3genE2ELNS1_11target_archE906ELNS1_3gpuE6ELNS1_3repE0EEENS1_30default_config_static_selectorELNS0_4arch9wavefront6targetE1EEEvSK_,comdat
	.globl	_ZN7rocprim17ROCPRIM_400000_NS6detail17trampoline_kernelINS0_14default_configENS1_36segmented_radix_sort_config_selectorIdlEEZNS1_25segmented_radix_sort_implIS3_Lb0EPKdPdPKlPlN2at6native12_GLOBAL__N_18offset_tEEE10hipError_tPvRmT1_PNSt15iterator_traitsISK_E10value_typeET2_T3_PNSL_ISQ_E10value_typeET4_jRbjT5_SW_jjP12ihipStream_tbEUlT_E_NS1_11comp_targetILNS1_3genE2ELNS1_11target_archE906ELNS1_3gpuE6ELNS1_3repE0EEENS1_30default_config_static_selectorELNS0_4arch9wavefront6targetE1EEEvSK_ ; -- Begin function _ZN7rocprim17ROCPRIM_400000_NS6detail17trampoline_kernelINS0_14default_configENS1_36segmented_radix_sort_config_selectorIdlEEZNS1_25segmented_radix_sort_implIS3_Lb0EPKdPdPKlPlN2at6native12_GLOBAL__N_18offset_tEEE10hipError_tPvRmT1_PNSt15iterator_traitsISK_E10value_typeET2_T3_PNSL_ISQ_E10value_typeET4_jRbjT5_SW_jjP12ihipStream_tbEUlT_E_NS1_11comp_targetILNS1_3genE2ELNS1_11target_archE906ELNS1_3gpuE6ELNS1_3repE0EEENS1_30default_config_static_selectorELNS0_4arch9wavefront6targetE1EEEvSK_
	.p2align	8
	.type	_ZN7rocprim17ROCPRIM_400000_NS6detail17trampoline_kernelINS0_14default_configENS1_36segmented_radix_sort_config_selectorIdlEEZNS1_25segmented_radix_sort_implIS3_Lb0EPKdPdPKlPlN2at6native12_GLOBAL__N_18offset_tEEE10hipError_tPvRmT1_PNSt15iterator_traitsISK_E10value_typeET2_T3_PNSL_ISQ_E10value_typeET4_jRbjT5_SW_jjP12ihipStream_tbEUlT_E_NS1_11comp_targetILNS1_3genE2ELNS1_11target_archE906ELNS1_3gpuE6ELNS1_3repE0EEENS1_30default_config_static_selectorELNS0_4arch9wavefront6targetE1EEEvSK_,@function
_ZN7rocprim17ROCPRIM_400000_NS6detail17trampoline_kernelINS0_14default_configENS1_36segmented_radix_sort_config_selectorIdlEEZNS1_25segmented_radix_sort_implIS3_Lb0EPKdPdPKlPlN2at6native12_GLOBAL__N_18offset_tEEE10hipError_tPvRmT1_PNSt15iterator_traitsISK_E10value_typeET2_T3_PNSL_ISQ_E10value_typeET4_jRbjT5_SW_jjP12ihipStream_tbEUlT_E_NS1_11comp_targetILNS1_3genE2ELNS1_11target_archE906ELNS1_3gpuE6ELNS1_3repE0EEENS1_30default_config_static_selectorELNS0_4arch9wavefront6targetE1EEEvSK_: ; @_ZN7rocprim17ROCPRIM_400000_NS6detail17trampoline_kernelINS0_14default_configENS1_36segmented_radix_sort_config_selectorIdlEEZNS1_25segmented_radix_sort_implIS3_Lb0EPKdPdPKlPlN2at6native12_GLOBAL__N_18offset_tEEE10hipError_tPvRmT1_PNSt15iterator_traitsISK_E10value_typeET2_T3_PNSL_ISQ_E10value_typeET4_jRbjT5_SW_jjP12ihipStream_tbEUlT_E_NS1_11comp_targetILNS1_3genE2ELNS1_11target_archE906ELNS1_3gpuE6ELNS1_3repE0EEENS1_30default_config_static_selectorELNS0_4arch9wavefront6targetE1EEEvSK_
; %bb.0:
	s_add_u32 s0, s0, s8
	s_mov_b64 s[34:35], s[4:5]
	s_load_dwordx2 s[4:5], s[4:5], 0x38
	s_nop 0
	s_load_dwordx4 s[8:11], s[34:35], 0x40
	s_mov_b32 s33, s7
	s_mov_b32 s7, 0
	s_addc_u32 s1, s1, 0
	s_lshl_b64 s[12:13], s[6:7], 2
	s_waitcnt lgkmcnt(0)
	s_add_u32 s4, s4, s12
	s_addc_u32 s5, s5, s13
	s_load_dword s4, s[4:5], 0x0
	s_mov_b32 s32, 0
	s_waitcnt lgkmcnt(0)
	s_add_i32 s94, s4, s9
	s_add_i32 s95, s4, s11
	s_mul_i32 s94, s94, s8
	s_mul_i32 s95, s95, s10
	s_cmp_le_u32 s95, s94
	s_cbranch_scc1 .LBB1226_1182
; %bb.1:
	s_load_dword s4, s[34:35], 0x30
	s_load_dwordx4 s[84:87], s[34:35], 0x20
	s_load_dwordx4 s[88:91], s[34:35], 0x50
	s_load_dwordx8 s[76:83], s[34:35], 0x0
	s_waitcnt lgkmcnt(0)
	s_bitcmp1_b32 s4, 0
	s_cselect_b64 s[70:71], -1, 0
	s_sub_i32 s91, s95, s94
	s_cmpk_lt_u32 s91, 0x1001
	s_mov_b64 s[4:5], -1
	s_cbranch_scc0 .LBB1226_7
; %bb.2:
	s_and_b32 s4, s88, 1
	v_cndmask_b32_e64 v3, 0, 1, s[70:71]
	v_cmp_ne_u32_e32 vcc, s4, v3
	s_mov_b64 s[4:5], -1
	v_lshlrev_b32_e32 v41, 20, v2
	v_lshlrev_b32_e32 v42, 10, v1
	s_cbranch_vccnz .LBB1226_4
; %bb.3:
	s_add_u32 s8, s34, 0x60
	s_mov_b64 s[4:5], src_shared_base
	s_addc_u32 s9, s35, 0
	s_getpc_b64 s[10:11]
	s_add_u32 s10, s10, _ZN7rocprim17ROCPRIM_400000_NS6detail40segmented_radix_sort_single_block_helperIdlLj256ELj16ELb0EE4sortIPKdPdPKlPlEEbT_T0_T1_T2_jjjjRNS3_12storage_typeE@rel32@lo+4
	s_addc_u32 s11, s11, _ZN7rocprim17ROCPRIM_400000_NS6detail40segmented_radix_sort_single_block_helperIdlLj256ELj16ELb0EE4sortIPKdPdPKlPlEEbT_T0_T1_T2_jjjjRNS3_12storage_typeE@rel32@hi+12
	v_or3_b32 v31, v0, v42, v41
	s_mov_b32 s12, s6
	s_mov_b32 s13, s33
	v_mov_b32_e32 v40, v0
	v_mov_b32_e32 v0, s76
	;; [unrolled: 1-line block ×17, first 2 shown]
	s_mov_b32 s36, s6
	s_swappc_b64 s[30:31], s[10:11]
	v_mov_b32_e32 v1, v43
	v_mov_b32_e32 v2, v44
	;; [unrolled: 1-line block ×3, first 2 shown]
	s_mov_b32 s6, s36
	s_mov_b64 s[4:5], 0
.LBB1226_4:
	s_andn2_b64 vcc, exec, s[4:5]
	s_cbranch_vccnz .LBB1226_6
; %bb.5:
	s_add_u32 s8, s34, 0x60
	s_mov_b64 s[4:5], src_shared_base
	s_addc_u32 s9, s35, 0
	s_getpc_b64 s[10:11]
	s_add_u32 s10, s10, _ZN7rocprim17ROCPRIM_400000_NS6detail40segmented_radix_sort_single_block_helperIdlLj256ELj16ELb0EE4sortIPKdPdPKlPlEEbT_T0_T1_T2_jjjjRNS3_12storage_typeE@rel32@lo+4
	s_addc_u32 s11, s11, _ZN7rocprim17ROCPRIM_400000_NS6detail40segmented_radix_sort_single_block_helperIdlLj256ELj16ELb0EE4sortIPKdPdPKlPlEEbT_T0_T1_T2_jjjjRNS3_12storage_typeE@rel32@hi+12
	v_or3_b32 v31, v0, v42, v41
	s_mov_b32 s12, s6
	s_mov_b32 s13, s33
	v_mov_b32_e32 v40, v0
	v_mov_b32_e32 v0, s76
	;; [unrolled: 1-line block ×17, first 2 shown]
	s_mov_b32 s36, s6
	s_swappc_b64 s[30:31], s[10:11]
	v_mov_b32_e32 v1, v41
	v_mov_b32_e32 v2, v42
	;; [unrolled: 1-line block ×3, first 2 shown]
	s_mov_b32 s6, s36
.LBB1226_6:
	s_mov_b64 s[4:5], 0
.LBB1226_7:
	s_andn2_b64 vcc, exec, s[4:5]
	s_cbranch_vccnz .LBB1226_1182
; %bb.8:
	s_cmp_ge_u32 s89, s90
	s_cbranch_scc1 .LBB1226_1182
; %bb.9:
	v_lshlrev_b32_e32 v75, 2, v0
	v_and_b32_e32 v4, 3, v0
	v_lshlrev_b32_e32 v5, 3, v0
	v_mov_b32_e32 v6, s81
	v_add_co_u32_e32 v79, vcc, s80, v5
	v_lshlrev_b32_e32 v93, 2, v4
	v_lshlrev_b32_e32 v4, 4, v0
	v_mad_u32_u24 v94, v0, 12, v75
	v_addc_co_u32_e32 v80, vcc, 0, v6, vcc
	v_or_b32_e32 v6, 63, v0
	v_and_b32_e32 v99, 0xc00, v4
	v_add_u32_e32 v100, v94, v75
	v_cmp_eq_u32_e64 s[8:9], v0, v6
	v_lshrrev_b32_e32 v6, 4, v0
	v_sub_u32_e32 v101, v100, v4
	v_lshlrev_b32_e32 v4, 3, v99
	v_and_b32_e32 v95, 12, v6
	v_mov_b32_e32 v6, s87
	v_add_co_u32_e32 v102, vcc, s86, v4
	v_addc_co_u32_e32 v103, vcc, 0, v6, vcc
	v_mov_b32_e32 v6, s81
	v_add_co_u32_e32 v104, vcc, s80, v4
	v_addc_co_u32_e32 v105, vcc, 0, v6, vcc
	;; [unrolled: 3-line block ×7, first 2 shown]
	s_movk_i32 s4, 0x100
	v_or_b32_e32 v77, 0x200, v0
	v_or_b32_e32 v78, 0x300, v0
	;; [unrolled: 1-line block ×14, first 2 shown]
	s_add_u32 s74, s34, 0x60
	s_movk_i32 s7, 0xff
	v_mov_b32_e32 v5, s77
	v_add_co_u32_e32 v117, vcc, s76, v4
	s_mov_b32 s82, -1
	v_mbcnt_lo_u32_b32 v4, -1, 0
	s_mov_b32 s73, 0
	v_mov_b32_e32 v3, 0
	v_or_b32_e32 v76, 0x100, v0
	v_cmp_gt_u32_e64 s[4:5], s4, v0
	v_or_b32_e32 v96, 0x8400, v95
	v_cmp_gt_u32_e64 s[10:11], 4, v0
	v_or_b32_e32 v97, 0x8400, v75
	v_cmp_lt_u32_e64 s[12:13], 63, v0
	v_add_u32_e32 v98, 0x83fc, v95
	s_addc_u32 s75, s35, 0
	v_cmp_eq_u32_e64 s[14:15], 0, v0
	v_cmp_ne_u32_e64 s[16:17], s7, v0
	v_add_u32_e32 v106, v101, v75
	v_addc_co_u32_e32 v118, vcc, 0, v5, vcc
	s_mov_b32 s7, s89
	s_brev_b32 s83, -2
	v_mov_b32_e32 v119, 1
	v_lshlrev_b32_e32 v120, 3, v0
	v_lshlrev_b32_e32 v121, 3, v77
	;; [unrolled: 1-line block ×15, first 2 shown]
	v_bfrev_b32_e32 v135, 1
	v_mbcnt_hi_u32_b32 v136, -1, v4
	v_mov_b32_e32 v5, -1
	v_bfrev_b32_e32 v6, -2
	s_mov_b32 s88, s89
	s_branch .LBB1226_12
.LBB1226_10:                            ;   in Loop: Header=BB1226_12 Depth=1
	s_waitcnt lgkmcnt(0)
	s_barrier
.LBB1226_11:                            ;   in Loop: Header=BB1226_12 Depth=1
	s_add_i32 s88, s88, 8
	s_cmp_ge_u32 s88, s90
	s_cbranch_scc1 .LBB1226_1182
.LBB1226_12:                            ; =>This Loop Header: Depth=1
                                        ;     Child Loop BB1226_16 Depth 2
                                        ;     Child Loop BB1226_96 Depth 2
	;; [unrolled: 1-line block ×8, first 2 shown]
	s_sub_i32 s18, s90, s88
	s_xor_b64 s[70:71], s[70:71], -1
	s_min_u32 s96, s18, 8
	s_cmp_lg_u32 s88, s89
	s_mov_b64 s[18:19], -1
	ds_write2st64_b32 v75, v3, v3 offset1:4
	ds_write2st64_b32 v75, v3, v3 offset0:8 offset1:12
	s_waitcnt lgkmcnt(0)
	s_cbranch_scc0 .LBB1226_598
; %bb.13:                               ;   in Loop: Header=BB1226_12 Depth=1
	s_lshl_b32 s18, -1, s96
	s_not_b32 s97, s18
	s_mov_b64 s[18:19], -1
	s_and_b64 vcc, exec, s[70:71]
	s_cbranch_vccz .LBB1226_305
; %bb.14:                               ;   in Loop: Header=BB1226_12 Depth=1
	s_mov_b32 s22, s91
	s_mov_b32 s72, s94
	s_barrier
                                        ; implicit-def: $vgpr7_vgpr8
                                        ; implicit-def: $vgpr9_vgpr10
                                        ; implicit-def: $vgpr11_vgpr12
                                        ; implicit-def: $vgpr13_vgpr14
                                        ; implicit-def: $vgpr15_vgpr16
                                        ; implicit-def: $vgpr17_vgpr18
                                        ; implicit-def: $vgpr19_vgpr20
                                        ; implicit-def: $vgpr21_vgpr22
                                        ; implicit-def: $vgpr23_vgpr24
                                        ; implicit-def: $vgpr25_vgpr26
                                        ; implicit-def: $vgpr27_vgpr28
                                        ; implicit-def: $vgpr29_vgpr30
                                        ; implicit-def: $vgpr31_vgpr32
                                        ; implicit-def: $vgpr33_vgpr34
                                        ; implicit-def: $vgpr35_vgpr36
                                        ; implicit-def: $vgpr37_vgpr38
	s_branch .LBB1226_16
.LBB1226_15:                            ;   in Loop: Header=BB1226_16 Depth=2
	s_or_b64 exec, exec, s[18:19]
	s_addk_i32 s22, 0xf000
	s_cmp_ge_u32 s23, s95
	s_mov_b32 s72, s23
	s_cbranch_scc1 .LBB1226_84
.LBB1226_16:                            ;   Parent Loop BB1226_12 Depth=1
                                        ; =>  This Inner Loop Header: Depth=2
	s_add_i32 s23, s72, 0x1000
	s_cmp_gt_u32 s23, s95
	s_mov_b64 s[18:19], -1
                                        ; implicit-def: $vgpr39_vgpr40
                                        ; implicit-def: $vgpr41_vgpr42
                                        ; implicit-def: $vgpr43_vgpr44
                                        ; implicit-def: $vgpr45_vgpr46
                                        ; implicit-def: $vgpr47_vgpr48
                                        ; implicit-def: $vgpr49_vgpr50
                                        ; implicit-def: $vgpr51_vgpr52
                                        ; implicit-def: $vgpr53_vgpr54
                                        ; implicit-def: $vgpr55_vgpr56
                                        ; implicit-def: $vgpr57_vgpr58
                                        ; implicit-def: $vgpr59_vgpr60
                                        ; implicit-def: $vgpr61_vgpr62
                                        ; implicit-def: $vgpr63_vgpr64
                                        ; implicit-def: $vgpr65_vgpr66
                                        ; implicit-def: $vgpr67_vgpr68
                                        ; implicit-def: $vgpr69_vgpr70
	s_cbranch_scc1 .LBB1226_18
; %bb.17:                               ;   in Loop: Header=BB1226_16 Depth=2
	s_lshl_b64 s[18:19], s[72:73], 3
	v_mov_b32_e32 v4, s19
	v_add_co_u32_e32 v63, vcc, s18, v79
	v_addc_co_u32_e32 v64, vcc, v80, v4, vcc
	v_add_co_u32_e32 v47, vcc, 0x1000, v63
	v_addc_co_u32_e32 v48, vcc, 0, v64, vcc
	;; [unrolled: 2-line block ×6, first 2 shown]
	global_load_dwordx2 v[39:40], v[63:64], off
	global_load_dwordx2 v[41:42], v[63:64], off offset:2048
	global_load_dwordx2 v[43:44], v[47:48], off
	global_load_dwordx2 v[45:46], v[47:48], off offset:2048
	s_nop 0
	global_load_dwordx2 v[47:48], v[55:56], off
	global_load_dwordx2 v[49:50], v[55:56], off offset:2048
	global_load_dwordx2 v[51:52], v[57:58], off
	global_load_dwordx2 v[53:54], v[57:58], off offset:2048
	s_nop 0
	global_load_dwordx2 v[55:56], v[61:62], off
	global_load_dwordx2 v[57:58], v[61:62], off offset:2048
	global_load_dwordx2 v[59:60], v[65:66], off
                                        ; kill: killed $vgpr61 killed $vgpr62
	s_nop 0
	global_load_dwordx2 v[61:62], v[65:66], off offset:2048
	v_add_co_u32_e32 v65, vcc, 0x6000, v63
	v_addc_co_u32_e32 v66, vcc, 0, v64, vcc
	v_add_co_u32_e32 v69, vcc, 0x7000, v63
	v_addc_co_u32_e32 v70, vcc, 0, v64, vcc
	global_load_dwordx2 v[63:64], v[65:66], off
	s_nop 0
	global_load_dwordx2 v[65:66], v[65:66], off offset:2048
	s_nop 0
	global_load_dwordx2 v[67:68], v[69:70], off
	s_nop 0
	global_load_dwordx2 v[69:70], v[69:70], off offset:2048
	s_mov_b64 s[18:19], 0
.LBB1226_18:                            ;   in Loop: Header=BB1226_16 Depth=2
	s_andn2_b64 vcc, exec, s[18:19]
	s_movk_i32 s20, 0x1000
	s_cbranch_vccnz .LBB1226_37
; %bb.19:                               ;   in Loop: Header=BB1226_16 Depth=2
	s_lshl_b64 s[18:19], s[72:73], 3
	s_add_u32 s18, s80, s18
	s_addc_u32 s19, s81, s19
	v_cmp_gt_u32_e32 vcc, s22, v0
	s_and_saveexec_b64 s[20:21], vcc
	s_cbranch_execnz .LBB1226_69
; %bb.20:                               ;   in Loop: Header=BB1226_16 Depth=2
	s_or_b64 exec, exec, s[20:21]
	v_cmp_gt_u32_e32 vcc, s22, v76
	s_and_saveexec_b64 s[20:21], vcc
	s_cbranch_execnz .LBB1226_70
.LBB1226_21:                            ;   in Loop: Header=BB1226_16 Depth=2
	s_or_b64 exec, exec, s[20:21]
	v_cmp_gt_u32_e32 vcc, s22, v77
	s_and_saveexec_b64 s[20:21], vcc
	s_cbranch_execnz .LBB1226_71
.LBB1226_22:                            ;   in Loop: Header=BB1226_16 Depth=2
	s_or_b64 exec, exec, s[20:21]
	v_cmp_gt_u32_e32 vcc, s22, v78
	s_and_saveexec_b64 s[20:21], vcc
	s_cbranch_execnz .LBB1226_72
.LBB1226_23:                            ;   in Loop: Header=BB1226_16 Depth=2
	s_or_b64 exec, exec, s[20:21]
	v_cmp_gt_u32_e32 vcc, s22, v81
	s_and_saveexec_b64 s[20:21], vcc
	s_cbranch_execnz .LBB1226_73
.LBB1226_24:                            ;   in Loop: Header=BB1226_16 Depth=2
	s_or_b64 exec, exec, s[20:21]
	v_cmp_gt_u32_e32 vcc, s22, v82
	s_and_saveexec_b64 s[20:21], vcc
	s_cbranch_execnz .LBB1226_74
.LBB1226_25:                            ;   in Loop: Header=BB1226_16 Depth=2
	s_or_b64 exec, exec, s[20:21]
	v_cmp_gt_u32_e32 vcc, s22, v83
	s_and_saveexec_b64 s[20:21], vcc
	s_cbranch_execnz .LBB1226_75
.LBB1226_26:                            ;   in Loop: Header=BB1226_16 Depth=2
	s_or_b64 exec, exec, s[20:21]
	v_cmp_gt_u32_e32 vcc, s22, v84
	s_and_saveexec_b64 s[20:21], vcc
	s_cbranch_execnz .LBB1226_76
.LBB1226_27:                            ;   in Loop: Header=BB1226_16 Depth=2
	s_or_b64 exec, exec, s[20:21]
	v_cmp_gt_u32_e32 vcc, s22, v85
	s_and_saveexec_b64 s[20:21], vcc
	s_cbranch_execnz .LBB1226_77
.LBB1226_28:                            ;   in Loop: Header=BB1226_16 Depth=2
	s_or_b64 exec, exec, s[20:21]
	v_cmp_gt_u32_e32 vcc, s22, v86
	s_and_saveexec_b64 s[20:21], vcc
	s_cbranch_execnz .LBB1226_78
.LBB1226_29:                            ;   in Loop: Header=BB1226_16 Depth=2
	s_or_b64 exec, exec, s[20:21]
	v_cmp_gt_u32_e32 vcc, s22, v87
	s_and_saveexec_b64 s[20:21], vcc
	s_cbranch_execnz .LBB1226_79
.LBB1226_30:                            ;   in Loop: Header=BB1226_16 Depth=2
	s_or_b64 exec, exec, s[20:21]
	v_cmp_gt_u32_e32 vcc, s22, v88
	s_and_saveexec_b64 s[20:21], vcc
	s_cbranch_execnz .LBB1226_80
.LBB1226_31:                            ;   in Loop: Header=BB1226_16 Depth=2
	s_or_b64 exec, exec, s[20:21]
	v_cmp_gt_u32_e32 vcc, s22, v89
	s_and_saveexec_b64 s[20:21], vcc
	s_cbranch_execnz .LBB1226_81
.LBB1226_32:                            ;   in Loop: Header=BB1226_16 Depth=2
	s_or_b64 exec, exec, s[20:21]
	v_cmp_gt_u32_e32 vcc, s22, v90
	s_and_saveexec_b64 s[20:21], vcc
	s_cbranch_execnz .LBB1226_82
.LBB1226_33:                            ;   in Loop: Header=BB1226_16 Depth=2
	s_or_b64 exec, exec, s[20:21]
	v_cmp_gt_u32_e32 vcc, s22, v91
	s_and_saveexec_b64 s[20:21], vcc
	s_cbranch_execnz .LBB1226_83
.LBB1226_34:                            ;   in Loop: Header=BB1226_16 Depth=2
	s_or_b64 exec, exec, s[20:21]
	v_cmp_gt_u32_e32 vcc, s22, v92
	s_and_saveexec_b64 s[20:21], vcc
	s_cbranch_execz .LBB1226_36
.LBB1226_35:                            ;   in Loop: Header=BB1226_16 Depth=2
	global_load_dwordx2 v[7:8], v134, s[18:19]
.LBB1226_36:                            ;   in Loop: Header=BB1226_16 Depth=2
	s_or_b64 exec, exec, s[20:21]
	s_waitcnt vmcnt(0)
	v_mov_b32_e32 v40, v38
	v_mov_b32_e32 v42, v36
	;; [unrolled: 1-line block ×16, first 2 shown]
	s_mov_b32 s20, s22
	v_mov_b32_e32 v39, v37
	v_mov_b32_e32 v41, v35
	;; [unrolled: 1-line block ×16, first 2 shown]
.LBB1226_37:                            ;   in Loop: Header=BB1226_16 Depth=2
	s_waitcnt vmcnt(0)
	v_mov_b32_e32 v7, v69
	v_mov_b32_e32 v9, v67
	;; [unrolled: 1-line block ×32, first 2 shown]
	v_cmp_gt_u32_e32 vcc, s20, v0
	s_and_saveexec_b64 s[18:19], vcc
	s_cbranch_execnz .LBB1226_53
; %bb.38:                               ;   in Loop: Header=BB1226_16 Depth=2
	s_or_b64 exec, exec, s[18:19]
	v_cmp_gt_u32_e32 vcc, s20, v76
	s_and_saveexec_b64 s[18:19], vcc
	s_cbranch_execnz .LBB1226_54
.LBB1226_39:                            ;   in Loop: Header=BB1226_16 Depth=2
	s_or_b64 exec, exec, s[18:19]
	v_cmp_gt_u32_e32 vcc, s20, v77
	s_and_saveexec_b64 s[18:19], vcc
	s_cbranch_execnz .LBB1226_55
.LBB1226_40:                            ;   in Loop: Header=BB1226_16 Depth=2
	s_or_b64 exec, exec, s[18:19]
	v_cmp_gt_u32_e32 vcc, s20, v78
	s_and_saveexec_b64 s[18:19], vcc
	s_cbranch_execnz .LBB1226_56
.LBB1226_41:                            ;   in Loop: Header=BB1226_16 Depth=2
	s_or_b64 exec, exec, s[18:19]
	v_cmp_gt_u32_e32 vcc, s20, v81
	s_and_saveexec_b64 s[18:19], vcc
	s_cbranch_execnz .LBB1226_57
.LBB1226_42:                            ;   in Loop: Header=BB1226_16 Depth=2
	s_or_b64 exec, exec, s[18:19]
	v_cmp_gt_u32_e32 vcc, s20, v82
	s_and_saveexec_b64 s[18:19], vcc
	s_cbranch_execnz .LBB1226_58
.LBB1226_43:                            ;   in Loop: Header=BB1226_16 Depth=2
	s_or_b64 exec, exec, s[18:19]
	v_cmp_gt_u32_e32 vcc, s20, v83
	s_and_saveexec_b64 s[18:19], vcc
	s_cbranch_execnz .LBB1226_59
.LBB1226_44:                            ;   in Loop: Header=BB1226_16 Depth=2
	s_or_b64 exec, exec, s[18:19]
	v_cmp_gt_u32_e32 vcc, s20, v84
	s_and_saveexec_b64 s[18:19], vcc
	s_cbranch_execnz .LBB1226_60
.LBB1226_45:                            ;   in Loop: Header=BB1226_16 Depth=2
	s_or_b64 exec, exec, s[18:19]
	v_cmp_gt_u32_e32 vcc, s20, v85
	s_and_saveexec_b64 s[18:19], vcc
	s_cbranch_execnz .LBB1226_61
.LBB1226_46:                            ;   in Loop: Header=BB1226_16 Depth=2
	s_or_b64 exec, exec, s[18:19]
	v_cmp_gt_u32_e32 vcc, s20, v86
	s_and_saveexec_b64 s[18:19], vcc
	s_cbranch_execnz .LBB1226_62
.LBB1226_47:                            ;   in Loop: Header=BB1226_16 Depth=2
	s_or_b64 exec, exec, s[18:19]
	v_cmp_gt_u32_e32 vcc, s20, v87
	s_and_saveexec_b64 s[18:19], vcc
	s_cbranch_execnz .LBB1226_63
.LBB1226_48:                            ;   in Loop: Header=BB1226_16 Depth=2
	s_or_b64 exec, exec, s[18:19]
	v_cmp_gt_u32_e32 vcc, s20, v88
	s_and_saveexec_b64 s[18:19], vcc
	s_cbranch_execnz .LBB1226_64
.LBB1226_49:                            ;   in Loop: Header=BB1226_16 Depth=2
	s_or_b64 exec, exec, s[18:19]
	v_cmp_gt_u32_e32 vcc, s20, v89
	s_and_saveexec_b64 s[18:19], vcc
	s_cbranch_execnz .LBB1226_65
.LBB1226_50:                            ;   in Loop: Header=BB1226_16 Depth=2
	s_or_b64 exec, exec, s[18:19]
	v_cmp_gt_u32_e32 vcc, s20, v90
	s_and_saveexec_b64 s[18:19], vcc
	s_cbranch_execnz .LBB1226_66
.LBB1226_51:                            ;   in Loop: Header=BB1226_16 Depth=2
	s_or_b64 exec, exec, s[18:19]
	v_cmp_gt_u32_e32 vcc, s20, v91
	s_and_saveexec_b64 s[18:19], vcc
	s_cbranch_execnz .LBB1226_67
.LBB1226_52:                            ;   in Loop: Header=BB1226_16 Depth=2
	s_or_b64 exec, exec, s[18:19]
	v_cmp_gt_u32_e32 vcc, s20, v92
	s_and_saveexec_b64 s[18:19], vcc
	s_cbranch_execz .LBB1226_15
	s_branch .LBB1226_68
.LBB1226_53:                            ;   in Loop: Header=BB1226_16 Depth=2
	v_cmp_lt_i64_e32 vcc, -1, v[37:38]
	v_ashrrev_i32_e32 v39, 31, v38
	v_cndmask_b32_e32 v4, -1, v135, vcc
	v_xor_b32_e32 v40, v4, v38
	v_xor_b32_e32 v39, v39, v37
	v_cmp_ne_u64_e32 vcc, s[82:83], v[39:40]
	v_cndmask_b32_e32 v40, v135, v40, vcc
	v_cndmask_b32_e32 v39, 0, v39, vcc
	v_lshrrev_b64 v[39:40], s88, v[39:40]
	v_and_b32_e32 v4, s97, v39
	v_lshl_or_b32 v4, v4, 4, v93
	ds_add_u32 v4, v119
	s_or_b64 exec, exec, s[18:19]
	v_cmp_gt_u32_e32 vcc, s20, v76
	s_and_saveexec_b64 s[18:19], vcc
	s_cbranch_execz .LBB1226_39
.LBB1226_54:                            ;   in Loop: Header=BB1226_16 Depth=2
	v_cmp_lt_i64_e32 vcc, -1, v[35:36]
	v_ashrrev_i32_e32 v39, 31, v36
	v_cndmask_b32_e32 v4, -1, v135, vcc
	v_xor_b32_e32 v40, v4, v36
	v_xor_b32_e32 v39, v39, v35
	v_cmp_ne_u64_e32 vcc, s[82:83], v[39:40]
	v_cndmask_b32_e32 v40, v135, v40, vcc
	v_cndmask_b32_e32 v39, 0, v39, vcc
	v_lshrrev_b64 v[39:40], s88, v[39:40]
	v_and_b32_e32 v4, s97, v39
	v_lshl_or_b32 v4, v4, 4, v93
	ds_add_u32 v4, v119
	s_or_b64 exec, exec, s[18:19]
	v_cmp_gt_u32_e32 vcc, s20, v77
	s_and_saveexec_b64 s[18:19], vcc
	s_cbranch_execz .LBB1226_40
.LBB1226_55:                            ;   in Loop: Header=BB1226_16 Depth=2
	v_cmp_lt_i64_e32 vcc, -1, v[33:34]
	v_ashrrev_i32_e32 v39, 31, v34
	v_cndmask_b32_e32 v4, -1, v135, vcc
	v_xor_b32_e32 v40, v4, v34
	v_xor_b32_e32 v39, v39, v33
	v_cmp_ne_u64_e32 vcc, s[82:83], v[39:40]
	v_cndmask_b32_e32 v40, v135, v40, vcc
	v_cndmask_b32_e32 v39, 0, v39, vcc
	v_lshrrev_b64 v[39:40], s88, v[39:40]
	v_and_b32_e32 v4, s97, v39
	v_lshl_or_b32 v4, v4, 4, v93
	ds_add_u32 v4, v119
	s_or_b64 exec, exec, s[18:19]
	v_cmp_gt_u32_e32 vcc, s20, v78
	s_and_saveexec_b64 s[18:19], vcc
	s_cbranch_execz .LBB1226_41
.LBB1226_56:                            ;   in Loop: Header=BB1226_16 Depth=2
	v_cmp_lt_i64_e32 vcc, -1, v[31:32]
	v_ashrrev_i32_e32 v39, 31, v32
	v_cndmask_b32_e32 v4, -1, v135, vcc
	v_xor_b32_e32 v40, v4, v32
	v_xor_b32_e32 v39, v39, v31
	v_cmp_ne_u64_e32 vcc, s[82:83], v[39:40]
	v_cndmask_b32_e32 v40, v135, v40, vcc
	v_cndmask_b32_e32 v39, 0, v39, vcc
	v_lshrrev_b64 v[39:40], s88, v[39:40]
	v_and_b32_e32 v4, s97, v39
	v_lshl_or_b32 v4, v4, 4, v93
	ds_add_u32 v4, v119
	s_or_b64 exec, exec, s[18:19]
	v_cmp_gt_u32_e32 vcc, s20, v81
	s_and_saveexec_b64 s[18:19], vcc
	s_cbranch_execz .LBB1226_42
.LBB1226_57:                            ;   in Loop: Header=BB1226_16 Depth=2
	v_cmp_lt_i64_e32 vcc, -1, v[29:30]
	v_ashrrev_i32_e32 v39, 31, v30
	v_cndmask_b32_e32 v4, -1, v135, vcc
	v_xor_b32_e32 v40, v4, v30
	v_xor_b32_e32 v39, v39, v29
	v_cmp_ne_u64_e32 vcc, s[82:83], v[39:40]
	v_cndmask_b32_e32 v40, v135, v40, vcc
	v_cndmask_b32_e32 v39, 0, v39, vcc
	v_lshrrev_b64 v[39:40], s88, v[39:40]
	v_and_b32_e32 v4, s97, v39
	v_lshl_or_b32 v4, v4, 4, v93
	ds_add_u32 v4, v119
	s_or_b64 exec, exec, s[18:19]
	v_cmp_gt_u32_e32 vcc, s20, v82
	s_and_saveexec_b64 s[18:19], vcc
	s_cbranch_execz .LBB1226_43
.LBB1226_58:                            ;   in Loop: Header=BB1226_16 Depth=2
	v_cmp_lt_i64_e32 vcc, -1, v[27:28]
	v_ashrrev_i32_e32 v39, 31, v28
	v_cndmask_b32_e32 v4, -1, v135, vcc
	v_xor_b32_e32 v40, v4, v28
	v_xor_b32_e32 v39, v39, v27
	v_cmp_ne_u64_e32 vcc, s[82:83], v[39:40]
	v_cndmask_b32_e32 v40, v135, v40, vcc
	v_cndmask_b32_e32 v39, 0, v39, vcc
	v_lshrrev_b64 v[39:40], s88, v[39:40]
	v_and_b32_e32 v4, s97, v39
	v_lshl_or_b32 v4, v4, 4, v93
	ds_add_u32 v4, v119
	s_or_b64 exec, exec, s[18:19]
	v_cmp_gt_u32_e32 vcc, s20, v83
	s_and_saveexec_b64 s[18:19], vcc
	s_cbranch_execz .LBB1226_44
.LBB1226_59:                            ;   in Loop: Header=BB1226_16 Depth=2
	v_cmp_lt_i64_e32 vcc, -1, v[25:26]
	v_ashrrev_i32_e32 v39, 31, v26
	v_cndmask_b32_e32 v4, -1, v135, vcc
	v_xor_b32_e32 v40, v4, v26
	v_xor_b32_e32 v39, v39, v25
	v_cmp_ne_u64_e32 vcc, s[82:83], v[39:40]
	v_cndmask_b32_e32 v40, v135, v40, vcc
	v_cndmask_b32_e32 v39, 0, v39, vcc
	v_lshrrev_b64 v[39:40], s88, v[39:40]
	v_and_b32_e32 v4, s97, v39
	v_lshl_or_b32 v4, v4, 4, v93
	ds_add_u32 v4, v119
	s_or_b64 exec, exec, s[18:19]
	v_cmp_gt_u32_e32 vcc, s20, v84
	s_and_saveexec_b64 s[18:19], vcc
	s_cbranch_execz .LBB1226_45
.LBB1226_60:                            ;   in Loop: Header=BB1226_16 Depth=2
	v_cmp_lt_i64_e32 vcc, -1, v[23:24]
	v_ashrrev_i32_e32 v39, 31, v24
	v_cndmask_b32_e32 v4, -1, v135, vcc
	v_xor_b32_e32 v40, v4, v24
	v_xor_b32_e32 v39, v39, v23
	v_cmp_ne_u64_e32 vcc, s[82:83], v[39:40]
	v_cndmask_b32_e32 v40, v135, v40, vcc
	v_cndmask_b32_e32 v39, 0, v39, vcc
	v_lshrrev_b64 v[39:40], s88, v[39:40]
	v_and_b32_e32 v4, s97, v39
	v_lshl_or_b32 v4, v4, 4, v93
	ds_add_u32 v4, v119
	s_or_b64 exec, exec, s[18:19]
	v_cmp_gt_u32_e32 vcc, s20, v85
	s_and_saveexec_b64 s[18:19], vcc
	s_cbranch_execz .LBB1226_46
.LBB1226_61:                            ;   in Loop: Header=BB1226_16 Depth=2
	v_cmp_lt_i64_e32 vcc, -1, v[21:22]
	v_ashrrev_i32_e32 v39, 31, v22
	v_cndmask_b32_e32 v4, -1, v135, vcc
	v_xor_b32_e32 v40, v4, v22
	v_xor_b32_e32 v39, v39, v21
	v_cmp_ne_u64_e32 vcc, s[82:83], v[39:40]
	v_cndmask_b32_e32 v40, v135, v40, vcc
	v_cndmask_b32_e32 v39, 0, v39, vcc
	v_lshrrev_b64 v[39:40], s88, v[39:40]
	v_and_b32_e32 v4, s97, v39
	v_lshl_or_b32 v4, v4, 4, v93
	ds_add_u32 v4, v119
	s_or_b64 exec, exec, s[18:19]
	v_cmp_gt_u32_e32 vcc, s20, v86
	s_and_saveexec_b64 s[18:19], vcc
	s_cbranch_execz .LBB1226_47
.LBB1226_62:                            ;   in Loop: Header=BB1226_16 Depth=2
	v_cmp_lt_i64_e32 vcc, -1, v[19:20]
	v_ashrrev_i32_e32 v39, 31, v20
	v_cndmask_b32_e32 v4, -1, v135, vcc
	v_xor_b32_e32 v40, v4, v20
	v_xor_b32_e32 v39, v39, v19
	v_cmp_ne_u64_e32 vcc, s[82:83], v[39:40]
	v_cndmask_b32_e32 v40, v135, v40, vcc
	v_cndmask_b32_e32 v39, 0, v39, vcc
	v_lshrrev_b64 v[39:40], s88, v[39:40]
	v_and_b32_e32 v4, s97, v39
	v_lshl_or_b32 v4, v4, 4, v93
	ds_add_u32 v4, v119
	s_or_b64 exec, exec, s[18:19]
	v_cmp_gt_u32_e32 vcc, s20, v87
	s_and_saveexec_b64 s[18:19], vcc
	s_cbranch_execz .LBB1226_48
.LBB1226_63:                            ;   in Loop: Header=BB1226_16 Depth=2
	v_cmp_lt_i64_e32 vcc, -1, v[17:18]
	v_ashrrev_i32_e32 v39, 31, v18
	v_cndmask_b32_e32 v4, -1, v135, vcc
	v_xor_b32_e32 v40, v4, v18
	v_xor_b32_e32 v39, v39, v17
	v_cmp_ne_u64_e32 vcc, s[82:83], v[39:40]
	v_cndmask_b32_e32 v40, v135, v40, vcc
	v_cndmask_b32_e32 v39, 0, v39, vcc
	v_lshrrev_b64 v[39:40], s88, v[39:40]
	v_and_b32_e32 v4, s97, v39
	v_lshl_or_b32 v4, v4, 4, v93
	ds_add_u32 v4, v119
	s_or_b64 exec, exec, s[18:19]
	v_cmp_gt_u32_e32 vcc, s20, v88
	s_and_saveexec_b64 s[18:19], vcc
	s_cbranch_execz .LBB1226_49
.LBB1226_64:                            ;   in Loop: Header=BB1226_16 Depth=2
	v_cmp_lt_i64_e32 vcc, -1, v[15:16]
	v_ashrrev_i32_e32 v39, 31, v16
	v_cndmask_b32_e32 v4, -1, v135, vcc
	v_xor_b32_e32 v40, v4, v16
	v_xor_b32_e32 v39, v39, v15
	v_cmp_ne_u64_e32 vcc, s[82:83], v[39:40]
	v_cndmask_b32_e32 v40, v135, v40, vcc
	v_cndmask_b32_e32 v39, 0, v39, vcc
	v_lshrrev_b64 v[39:40], s88, v[39:40]
	v_and_b32_e32 v4, s97, v39
	v_lshl_or_b32 v4, v4, 4, v93
	ds_add_u32 v4, v119
	s_or_b64 exec, exec, s[18:19]
	v_cmp_gt_u32_e32 vcc, s20, v89
	s_and_saveexec_b64 s[18:19], vcc
	s_cbranch_execz .LBB1226_50
.LBB1226_65:                            ;   in Loop: Header=BB1226_16 Depth=2
	v_cmp_lt_i64_e32 vcc, -1, v[13:14]
	v_ashrrev_i32_e32 v39, 31, v14
	v_cndmask_b32_e32 v4, -1, v135, vcc
	v_xor_b32_e32 v40, v4, v14
	v_xor_b32_e32 v39, v39, v13
	v_cmp_ne_u64_e32 vcc, s[82:83], v[39:40]
	v_cndmask_b32_e32 v40, v135, v40, vcc
	v_cndmask_b32_e32 v39, 0, v39, vcc
	v_lshrrev_b64 v[39:40], s88, v[39:40]
	v_and_b32_e32 v4, s97, v39
	v_lshl_or_b32 v4, v4, 4, v93
	ds_add_u32 v4, v119
	s_or_b64 exec, exec, s[18:19]
	v_cmp_gt_u32_e32 vcc, s20, v90
	s_and_saveexec_b64 s[18:19], vcc
	s_cbranch_execz .LBB1226_51
.LBB1226_66:                            ;   in Loop: Header=BB1226_16 Depth=2
	v_cmp_lt_i64_e32 vcc, -1, v[11:12]
	v_ashrrev_i32_e32 v39, 31, v12
	v_cndmask_b32_e32 v4, -1, v135, vcc
	v_xor_b32_e32 v40, v4, v12
	v_xor_b32_e32 v39, v39, v11
	v_cmp_ne_u64_e32 vcc, s[82:83], v[39:40]
	v_cndmask_b32_e32 v40, v135, v40, vcc
	v_cndmask_b32_e32 v39, 0, v39, vcc
	v_lshrrev_b64 v[39:40], s88, v[39:40]
	v_and_b32_e32 v4, s97, v39
	v_lshl_or_b32 v4, v4, 4, v93
	ds_add_u32 v4, v119
	s_or_b64 exec, exec, s[18:19]
	v_cmp_gt_u32_e32 vcc, s20, v91
	s_and_saveexec_b64 s[18:19], vcc
	s_cbranch_execz .LBB1226_52
.LBB1226_67:                            ;   in Loop: Header=BB1226_16 Depth=2
	v_cmp_lt_i64_e32 vcc, -1, v[9:10]
	v_ashrrev_i32_e32 v39, 31, v10
	v_cndmask_b32_e32 v4, -1, v135, vcc
	v_xor_b32_e32 v40, v4, v10
	v_xor_b32_e32 v39, v39, v9
	v_cmp_ne_u64_e32 vcc, s[82:83], v[39:40]
	v_cndmask_b32_e32 v40, v135, v40, vcc
	v_cndmask_b32_e32 v39, 0, v39, vcc
	v_lshrrev_b64 v[39:40], s88, v[39:40]
	v_and_b32_e32 v4, s97, v39
	v_lshl_or_b32 v4, v4, 4, v93
	ds_add_u32 v4, v119
	s_or_b64 exec, exec, s[18:19]
	v_cmp_gt_u32_e32 vcc, s20, v92
	s_and_saveexec_b64 s[18:19], vcc
	s_cbranch_execz .LBB1226_15
.LBB1226_68:                            ;   in Loop: Header=BB1226_16 Depth=2
	v_cmp_lt_i64_e32 vcc, -1, v[7:8]
	v_ashrrev_i32_e32 v39, 31, v8
	v_cndmask_b32_e32 v4, -1, v135, vcc
	v_xor_b32_e32 v40, v4, v8
	v_xor_b32_e32 v39, v39, v7
	v_cmp_ne_u64_e32 vcc, s[82:83], v[39:40]
	v_cndmask_b32_e32 v40, v135, v40, vcc
	v_cndmask_b32_e32 v39, 0, v39, vcc
	v_lshrrev_b64 v[39:40], s88, v[39:40]
	v_and_b32_e32 v4, s97, v39
	v_lshl_or_b32 v4, v4, 4, v93
	ds_add_u32 v4, v119
	s_branch .LBB1226_15
.LBB1226_69:                            ;   in Loop: Header=BB1226_16 Depth=2
	global_load_dwordx2 v[37:38], v120, s[18:19]
	s_or_b64 exec, exec, s[20:21]
	v_cmp_gt_u32_e32 vcc, s22, v76
	s_and_saveexec_b64 s[20:21], vcc
	s_cbranch_execz .LBB1226_21
.LBB1226_70:                            ;   in Loop: Header=BB1226_16 Depth=2
	global_load_dwordx2 v[35:36], v120, s[18:19] offset:2048
	s_or_b64 exec, exec, s[20:21]
	v_cmp_gt_u32_e32 vcc, s22, v77
	s_and_saveexec_b64 s[20:21], vcc
	s_cbranch_execz .LBB1226_22
.LBB1226_71:                            ;   in Loop: Header=BB1226_16 Depth=2
	global_load_dwordx2 v[33:34], v121, s[18:19]
	s_or_b64 exec, exec, s[20:21]
	v_cmp_gt_u32_e32 vcc, s22, v78
	s_and_saveexec_b64 s[20:21], vcc
	s_cbranch_execz .LBB1226_23
.LBB1226_72:                            ;   in Loop: Header=BB1226_16 Depth=2
	global_load_dwordx2 v[31:32], v122, s[18:19]
	s_or_b64 exec, exec, s[20:21]
	v_cmp_gt_u32_e32 vcc, s22, v81
	s_and_saveexec_b64 s[20:21], vcc
	s_cbranch_execz .LBB1226_24
.LBB1226_73:                            ;   in Loop: Header=BB1226_16 Depth=2
	global_load_dwordx2 v[29:30], v123, s[18:19]
	s_or_b64 exec, exec, s[20:21]
	v_cmp_gt_u32_e32 vcc, s22, v82
	s_and_saveexec_b64 s[20:21], vcc
	s_cbranch_execz .LBB1226_25
.LBB1226_74:                            ;   in Loop: Header=BB1226_16 Depth=2
	global_load_dwordx2 v[27:28], v124, s[18:19]
	s_or_b64 exec, exec, s[20:21]
	v_cmp_gt_u32_e32 vcc, s22, v83
	s_and_saveexec_b64 s[20:21], vcc
	s_cbranch_execz .LBB1226_26
.LBB1226_75:                            ;   in Loop: Header=BB1226_16 Depth=2
	global_load_dwordx2 v[25:26], v125, s[18:19]
	s_or_b64 exec, exec, s[20:21]
	v_cmp_gt_u32_e32 vcc, s22, v84
	s_and_saveexec_b64 s[20:21], vcc
	s_cbranch_execz .LBB1226_27
.LBB1226_76:                            ;   in Loop: Header=BB1226_16 Depth=2
	global_load_dwordx2 v[23:24], v126, s[18:19]
	s_or_b64 exec, exec, s[20:21]
	v_cmp_gt_u32_e32 vcc, s22, v85
	s_and_saveexec_b64 s[20:21], vcc
	s_cbranch_execz .LBB1226_28
.LBB1226_77:                            ;   in Loop: Header=BB1226_16 Depth=2
	global_load_dwordx2 v[21:22], v127, s[18:19]
	s_or_b64 exec, exec, s[20:21]
	v_cmp_gt_u32_e32 vcc, s22, v86
	s_and_saveexec_b64 s[20:21], vcc
	s_cbranch_execz .LBB1226_29
.LBB1226_78:                            ;   in Loop: Header=BB1226_16 Depth=2
	global_load_dwordx2 v[19:20], v128, s[18:19]
	s_or_b64 exec, exec, s[20:21]
	v_cmp_gt_u32_e32 vcc, s22, v87
	s_and_saveexec_b64 s[20:21], vcc
	s_cbranch_execz .LBB1226_30
.LBB1226_79:                            ;   in Loop: Header=BB1226_16 Depth=2
	global_load_dwordx2 v[17:18], v129, s[18:19]
	s_or_b64 exec, exec, s[20:21]
	v_cmp_gt_u32_e32 vcc, s22, v88
	s_and_saveexec_b64 s[20:21], vcc
	s_cbranch_execz .LBB1226_31
.LBB1226_80:                            ;   in Loop: Header=BB1226_16 Depth=2
	global_load_dwordx2 v[15:16], v130, s[18:19]
	s_or_b64 exec, exec, s[20:21]
	v_cmp_gt_u32_e32 vcc, s22, v89
	s_and_saveexec_b64 s[20:21], vcc
	s_cbranch_execz .LBB1226_32
.LBB1226_81:                            ;   in Loop: Header=BB1226_16 Depth=2
	global_load_dwordx2 v[13:14], v131, s[18:19]
	s_or_b64 exec, exec, s[20:21]
	v_cmp_gt_u32_e32 vcc, s22, v90
	s_and_saveexec_b64 s[20:21], vcc
	s_cbranch_execz .LBB1226_33
.LBB1226_82:                            ;   in Loop: Header=BB1226_16 Depth=2
	global_load_dwordx2 v[11:12], v132, s[18:19]
	s_or_b64 exec, exec, s[20:21]
	v_cmp_gt_u32_e32 vcc, s22, v91
	s_and_saveexec_b64 s[20:21], vcc
	s_cbranch_execz .LBB1226_34
.LBB1226_83:                            ;   in Loop: Header=BB1226_16 Depth=2
	global_load_dwordx2 v[9:10], v133, s[18:19]
	s_or_b64 exec, exec, s[20:21]
	v_cmp_gt_u32_e32 vcc, s22, v92
	s_and_saveexec_b64 s[20:21], vcc
	s_cbranch_execnz .LBB1226_35
	s_branch .LBB1226_36
.LBB1226_84:                            ;   in Loop: Header=BB1226_12 Depth=1
	v_mov_b32_e32 v4, 0
	s_waitcnt lgkmcnt(0)
	s_barrier
	s_and_saveexec_b64 s[18:19], s[4:5]
	s_cbranch_execz .LBB1226_86
; %bb.85:                               ;   in Loop: Header=BB1226_12 Depth=1
	ds_read2_b64 v[7:10], v94 offset1:1
	s_waitcnt lgkmcnt(0)
	v_add_u32_e32 v4, v8, v7
	v_add3_u32 v4, v4, v9, v10
.LBB1226_86:                            ;   in Loop: Header=BB1226_12 Depth=1
	s_or_b64 exec, exec, s[18:19]
	v_and_b32_e32 v7, 15, v136
	v_mov_b32_dpp v8, v4 row_shr:1 row_mask:0xf bank_mask:0xf
	v_cmp_eq_u32_e64 s[18:19], 0, v7
	v_cndmask_b32_e64 v8, v8, 0, s[18:19]
	v_add_u32_e32 v4, v8, v4
	v_cmp_lt_u32_e64 s[20:21], 1, v7
	v_cmp_lt_u32_e64 s[22:23], 3, v7
	v_mov_b32_dpp v8, v4 row_shr:2 row_mask:0xf bank_mask:0xf
	v_cndmask_b32_e64 v8, 0, v8, s[20:21]
	v_add_u32_e32 v4, v4, v8
	v_cmp_lt_u32_e64 s[24:25], 7, v7
	v_cmp_lt_u32_e64 s[28:29], 31, v136
	v_mov_b32_dpp v8, v4 row_shr:4 row_mask:0xf bank_mask:0xf
	v_cndmask_b32_e64 v8, 0, v8, s[22:23]
	v_add_u32_e32 v4, v4, v8
	v_and_b32_e32 v9, 16, v136
	v_cmp_eq_u32_e64 s[26:27], 0, v9
	v_mov_b32_dpp v8, v4 row_shr:8 row_mask:0xf bank_mask:0xf
	v_cndmask_b32_e64 v7, 0, v8, s[24:25]
	v_add_u32_e32 v4, v4, v7
	v_bfe_i32 v8, v136, 4, 1
	s_nop 0
	v_mov_b32_dpp v7, v4 row_bcast:15 row_mask:0xf bank_mask:0xf
	v_and_b32_e32 v7, v8, v7
	v_add_u32_e32 v4, v4, v7
	s_nop 1
	v_mov_b32_dpp v7, v4 row_bcast:31 row_mask:0xf bank_mask:0xf
	v_cndmask_b32_e64 v7, 0, v7, s[28:29]
	v_add_u32_e32 v7, v4, v7
	s_and_saveexec_b64 s[30:31], s[8:9]
; %bb.87:                               ;   in Loop: Header=BB1226_12 Depth=1
	ds_write_b32 v96, v7
; %bb.88:                               ;   in Loop: Header=BB1226_12 Depth=1
	s_or_b64 exec, exec, s[30:31]
	v_and_b32_e32 v4, 3, v136
	s_waitcnt lgkmcnt(0)
	s_barrier
	s_and_saveexec_b64 s[30:31], s[10:11]
	s_cbranch_execz .LBB1226_90
; %bb.89:                               ;   in Loop: Header=BB1226_12 Depth=1
	ds_read_b32 v8, v97
	v_cmp_ne_u32_e32 vcc, 0, v4
	s_waitcnt lgkmcnt(0)
	v_mov_b32_dpp v9, v8 row_shr:1 row_mask:0xf bank_mask:0xf
	v_cndmask_b32_e32 v9, 0, v9, vcc
	v_add_u32_e32 v8, v9, v8
	v_cmp_lt_u32_e32 vcc, 1, v4
	s_nop 0
	v_mov_b32_dpp v9, v8 row_shr:2 row_mask:0xf bank_mask:0xf
	v_cndmask_b32_e32 v9, 0, v9, vcc
	v_add_u32_e32 v8, v8, v9
	ds_write_b32 v97, v8
.LBB1226_90:                            ;   in Loop: Header=BB1226_12 Depth=1
	s_or_b64 exec, exec, s[30:31]
	v_mov_b32_e32 v8, 0
	s_waitcnt lgkmcnt(0)
	s_barrier
	s_and_saveexec_b64 s[30:31], s[12:13]
; %bb.91:                               ;   in Loop: Header=BB1226_12 Depth=1
	ds_read_b32 v8, v98
; %bb.92:                               ;   in Loop: Header=BB1226_12 Depth=1
	s_or_b64 exec, exec, s[30:31]
	v_subrev_co_u32_e64 v9, s[30:31], 1, v136
	v_and_b32_e32 v10, 64, v136
	v_cmp_lt_i32_e32 vcc, v9, v10
	v_cndmask_b32_e32 v9, v9, v136, vcc
	s_waitcnt lgkmcnt(0)
	v_add_u32_e32 v7, v8, v7
	v_lshlrev_b32_e32 v137, 2, v9
	ds_bpermute_b32 v7, v137, v7
	s_waitcnt lgkmcnt(0)
	s_barrier
	s_and_saveexec_b64 s[34:35], s[4:5]
; %bb.93:                               ;   in Loop: Header=BB1226_12 Depth=1
	v_cndmask_b32_e64 v7, v7, v8, s[30:31]
	v_add_u32_e32 v7, s94, v7
	ds_write_b32 v75, v7
; %bb.94:                               ;   in Loop: Header=BB1226_12 Depth=1
	s_or_b64 exec, exec, s[34:35]
	s_load_dword s34, s[74:75], 0x4
	s_load_dword s38, s[74:75], 0xc
	v_cmp_lt_u32_e64 s[36:37], 1, v4
	s_mov_b32 s98, s91
	s_mov_b32 s72, s94
	s_waitcnt lgkmcnt(0)
	s_cmp_lt_u32 s33, s34
	s_cselect_b32 s34, 14, 20
	s_add_u32 s34, s74, s34
	s_addc_u32 s35, s75, 0
	global_load_ushort v39, v3, s[34:35]
	v_cmp_eq_u32_e64 s[34:35], 0, v4
	v_and_b32_e32 v4, 63, v136
	v_lshlrev_b32_e32 v41, 3, v4
	v_or_b32_e32 v145, v4, v99
	s_and_b32 s38, s38, 0xffff
	v_add_co_u32_e32 v147, vcc, v102, v41
	v_addc_co_u32_e32 v149, vcc, 0, v103, vcc
	v_add_co_u32_e32 v172, vcc, v104, v41
	v_or_b32_e32 v151, 64, v145
	v_or_b32_e32 v153, 0x80, v145
	;; [unrolled: 1-line block ×15, first 2 shown]
	v_addc_co_u32_e32 v173, vcc, 0, v105, vcc
                                        ; implicit-def: $vgpr7_vgpr8
                                        ; implicit-def: $vgpr9_vgpr10
                                        ; implicit-def: $vgpr11_vgpr12
                                        ; implicit-def: $vgpr15_vgpr16
                                        ; implicit-def: $vgpr19_vgpr20
                                        ; implicit-def: $vgpr23_vgpr24
                                        ; implicit-def: $vgpr27_vgpr28
                                        ; implicit-def: $vgpr31_vgpr32
                                        ; implicit-def: $vgpr13_vgpr14
                                        ; implicit-def: $vgpr17_vgpr18
                                        ; implicit-def: $vgpr21_vgpr22
                                        ; implicit-def: $vgpr25_vgpr26
                                        ; implicit-def: $vgpr29_vgpr30
                                        ; implicit-def: $vgpr33_vgpr34
                                        ; implicit-def: $vgpr35_vgpr36
                                        ; implicit-def: $vgpr37_vgpr38
                                        ; implicit-def: $vgpr138
                                        ; implicit-def: $vgpr139
                                        ; implicit-def: $vgpr140
                                        ; implicit-def: $vgpr141
                                        ; implicit-def: $vgpr142
                                        ; implicit-def: $vgpr143
                                        ; implicit-def: $vgpr144
                                        ; implicit-def: $vgpr146
                                        ; implicit-def: $vgpr148
                                        ; implicit-def: $vgpr150
                                        ; implicit-def: $vgpr152
                                        ; implicit-def: $vgpr154
                                        ; implicit-def: $vgpr156
                                        ; implicit-def: $vgpr158
                                        ; implicit-def: $vgpr160
                                        ; implicit-def: $vgpr162
	s_waitcnt vmcnt(0)
	v_mad_u32_u24 v4, v2, v39, v1
	v_mad_u64_u32 v[39:40], s[38:39], v4, s38, v[0:1]
	v_lshrrev_b32_e32 v4, 4, v39
	v_and_b32_e32 v174, 0xffffffc, v4
	s_branch .LBB1226_96
.LBB1226_95:                            ;   in Loop: Header=BB1226_96 Depth=2
	s_or_b64 exec, exec, s[38:39]
	s_addk_i32 s98, 0xf000
	s_cmp_lt_u32 s99, s95
	s_mov_b32 s72, s99
	s_cbranch_scc0 .LBB1226_304
.LBB1226_96:                            ;   Parent Loop BB1226_12 Depth=1
                                        ; =>  This Inner Loop Header: Depth=2
	s_add_i32 s99, s72, 0x1000
	s_cmp_gt_u32 s99, s95
	s_cbranch_scc1 .LBB1226_98
; %bb.97:                               ;   in Loop: Header=BB1226_96 Depth=2
	s_lshl_b64 s[38:39], s[72:73], 3
	v_mov_b32_e32 v4, s39
	v_add_co_u32_e32 v43, vcc, s38, v172
	v_addc_co_u32_e32 v44, vcc, v173, v4, vcc
	global_load_dwordx2 v[39:40], v[43:44], off
	global_load_dwordx2 v[41:42], v[43:44], off offset:512
	global_load_dwordx2 v[47:48], v[43:44], off offset:1024
	;; [unrolled: 1-line block ×7, first 2 shown]
	v_add_co_u32_e32 v43, vcc, 0x1000, v43
	v_addc_co_u32_e32 v44, vcc, 0, v44, vcc
	global_load_dwordx2 v[69:70], v[43:44], off
	global_load_dwordx2 v[65:66], v[43:44], off offset:512
	global_load_dwordx2 v[61:62], v[43:44], off offset:1024
	;; [unrolled: 1-line block ×5, first 2 shown]
	s_nop 0
	global_load_dwordx2 v[43:44], v[43:44], off offset:3072
	s_mov_b64 s[38:39], -1
	s_movk_i32 s42, 0x1000
	s_cbranch_execz .LBB1226_99
	s_branch .LBB1226_130
.LBB1226_98:                            ;   in Loop: Header=BB1226_96 Depth=2
	s_mov_b64 s[38:39], 0
                                        ; implicit-def: $vgpr39_vgpr40
                                        ; implicit-def: $vgpr41_vgpr42
                                        ; implicit-def: $vgpr47_vgpr48
                                        ; implicit-def: $vgpr51_vgpr52
                                        ; implicit-def: $vgpr55_vgpr56
                                        ; implicit-def: $vgpr59_vgpr60
                                        ; implicit-def: $vgpr63_vgpr64
                                        ; implicit-def: $vgpr67_vgpr68
                                        ; implicit-def: $vgpr69_vgpr70
                                        ; implicit-def: $vgpr65_vgpr66
                                        ; implicit-def: $vgpr61_vgpr62
                                        ; implicit-def: $vgpr57_vgpr58
                                        ; implicit-def: $vgpr53_vgpr54
                                        ; implicit-def: $vgpr49_vgpr50
                                        ; implicit-def: $vgpr43_vgpr44
	s_movk_i32 s42, 0x1000
.LBB1226_99:                            ;   in Loop: Header=BB1226_96 Depth=2
	s_lshl_b64 s[38:39], s[72:73], 3
	v_mov_b32_e32 v4, s39
	v_add_co_u32_e32 v45, vcc, s38, v172
	s_waitcnt vmcnt(13)
	v_mov_b32_e32 v41, v5
	v_addc_co_u32_e32 v46, vcc, v173, v4, vcc
	v_mov_b32_e32 v42, v6
	v_mov_b32_e32 v39, v41
	v_cmp_gt_u32_e32 vcc, s98, v145
	v_mov_b32_e32 v40, v42
	s_and_saveexec_b64 s[38:39], vcc
	s_cbranch_execz .LBB1226_101
; %bb.100:                              ;   in Loop: Header=BB1226_96 Depth=2
	global_load_dwordx2 v[39:40], v[45:46], off
.LBB1226_101:                           ;   in Loop: Header=BB1226_96 Depth=2
	s_or_b64 exec, exec, s[38:39]
	v_cmp_gt_u32_e32 vcc, s98, v151
	s_and_saveexec_b64 s[38:39], vcc
	s_cbranch_execz .LBB1226_103
; %bb.102:                              ;   in Loop: Header=BB1226_96 Depth=2
	global_load_dwordx2 v[41:42], v[45:46], off offset:512
.LBB1226_103:                           ;   in Loop: Header=BB1226_96 Depth=2
	s_or_b64 exec, exec, s[38:39]
	s_waitcnt vmcnt(12)
	v_mov_b32_e32 v48, v6
	v_cmp_gt_u32_e32 vcc, s98, v153
	v_mov_b32_e32 v47, v5
	s_and_saveexec_b64 s[38:39], vcc
	s_cbranch_execz .LBB1226_105
; %bb.104:                              ;   in Loop: Header=BB1226_96 Depth=2
	global_load_dwordx2 v[47:48], v[45:46], off offset:1024
.LBB1226_105:                           ;   in Loop: Header=BB1226_96 Depth=2
	s_or_b64 exec, exec, s[38:39]
	s_waitcnt vmcnt(11)
	v_mov_b32_e32 v52, v6
	v_cmp_gt_u32_e32 vcc, s98, v155
	v_mov_b32_e32 v51, v5
	;; [unrolled: 10-line block ×7, first 2 shown]
	s_and_saveexec_b64 s[38:39], vcc
	s_cbranch_execz .LBB1226_117
; %bb.116:                              ;   in Loop: Header=BB1226_96 Depth=2
	s_waitcnt vmcnt(0)
	v_add_co_u32_e32 v43, vcc, 0x1000, v45
	v_addc_co_u32_e32 v44, vcc, 0, v46, vcc
	global_load_dwordx2 v[69:70], v[43:44], off
.LBB1226_117:                           ;   in Loop: Header=BB1226_96 Depth=2
	s_or_b64 exec, exec, s[38:39]
	s_waitcnt vmcnt(5)
	v_mov_b32_e32 v66, v6
	v_cmp_gt_u32_e32 vcc, s98, v165
	v_mov_b32_e32 v65, v5
	s_and_saveexec_b64 s[38:39], vcc
	s_cbranch_execz .LBB1226_119
; %bb.118:                              ;   in Loop: Header=BB1226_96 Depth=2
	s_waitcnt vmcnt(0)
	v_add_co_u32_e32 v43, vcc, 0x1000, v45
	v_addc_co_u32_e32 v44, vcc, 0, v46, vcc
	global_load_dwordx2 v[65:66], v[43:44], off offset:512
.LBB1226_119:                           ;   in Loop: Header=BB1226_96 Depth=2
	s_or_b64 exec, exec, s[38:39]
	s_waitcnt vmcnt(4)
	v_mov_b32_e32 v62, v6
	v_cmp_gt_u32_e32 vcc, s98, v166
	v_mov_b32_e32 v61, v5
	s_and_saveexec_b64 s[38:39], vcc
	s_cbranch_execz .LBB1226_121
; %bb.120:                              ;   in Loop: Header=BB1226_96 Depth=2
	s_waitcnt vmcnt(0)
	v_add_co_u32_e32 v43, vcc, 0x1000, v45
	v_addc_co_u32_e32 v44, vcc, 0, v46, vcc
	global_load_dwordx2 v[61:62], v[43:44], off offset:1024
.LBB1226_121:                           ;   in Loop: Header=BB1226_96 Depth=2
	;; [unrolled: 13-line block ×5, first 2 shown]
	s_or_b64 exec, exec, s[38:39]
	s_waitcnt vmcnt(0)
	v_mov_b32_e32 v44, v6
	v_cmp_gt_u32_e32 vcc, s98, v170
	v_mov_b32_e32 v43, v5
	s_and_saveexec_b64 s[38:39], vcc
	s_cbranch_execz .LBB1226_129
; %bb.128:                              ;   in Loop: Header=BB1226_96 Depth=2
	v_add_co_u32_e32 v43, vcc, 0x1000, v45
	v_addc_co_u32_e32 v44, vcc, 0, v46, vcc
	global_load_dwordx2 v[43:44], v[43:44], off offset:3072
.LBB1226_129:                           ;   in Loop: Header=BB1226_96 Depth=2
	s_or_b64 exec, exec, s[38:39]
	s_sub_i32 s42, s95, s72
	v_cmp_gt_u32_e64 s[38:39], s98, v171
.LBB1226_130:                           ;   in Loop: Header=BB1226_96 Depth=2
	v_mov_b32_e32 v46, v6
	v_mov_b32_e32 v175, s98
	;; [unrolled: 1-line block ×3, first 2 shown]
	s_and_saveexec_b64 s[40:41], s[38:39]
	s_cbranch_execz .LBB1226_132
; %bb.131:                              ;   in Loop: Header=BB1226_96 Depth=2
	s_lshl_b64 s[38:39], s[72:73], 3
	v_mov_b32_e32 v4, s39
	v_add_co_u32_e32 v45, vcc, s38, v172
	v_addc_co_u32_e32 v4, vcc, v173, v4, vcc
	v_add_co_u32_e32 v45, vcc, 0x1000, v45
	v_addc_co_u32_e32 v46, vcc, 0, v4, vcc
	global_load_dwordx2 v[45:46], v[45:46], off offset:3584
	v_mov_b32_e32 v175, s42
.LBB1226_132:                           ;   in Loop: Header=BB1226_96 Depth=2
	s_or_b64 exec, exec, s[40:41]
	s_waitcnt vmcnt(14)
	v_cmp_lt_i64_e32 vcc, -1, v[39:40]
	v_ashrrev_i32_e32 v71, 31, v40
	v_cndmask_b32_e32 v4, -1, v135, vcc
	v_xor_b32_e32 v40, v4, v40
	v_xor_b32_e32 v39, v71, v39
	v_cmp_ne_u64_e32 vcc, s[82:83], v[39:40]
	v_add_u32_e32 v177, 0x410, v100
	v_cndmask_b32_e32 v72, v135, v40, vcc
	v_cndmask_b32_e32 v71, 0, v39, vcc
	v_lshrrev_b64 v[71:72], s88, v[71:72]
	v_add_u32_e32 v176, 0x418, v100
	v_and_b32_e32 v71, s97, v71
	v_and_b32_e32 v4, 1, v71
	v_add_co_u32_e32 v72, vcc, -1, v4
	v_addc_co_u32_e64 v74, s[38:39], 0, -1, vcc
	v_cmp_ne_u32_e32 vcc, 0, v4
	v_xor_b32_e32 v4, vcc_hi, v74
	v_and_b32_e32 v74, exec_hi, v4
	v_lshlrev_b32_e32 v4, 30, v71
	v_xor_b32_e32 v72, vcc_lo, v72
	v_cmp_gt_i64_e32 vcc, 0, v[3:4]
	v_not_b32_e32 v4, v4
	v_ashrrev_i32_e32 v4, 31, v4
	v_and_b32_e32 v72, exec_lo, v72
	v_xor_b32_e32 v178, vcc_hi, v4
	v_xor_b32_e32 v4, vcc_lo, v4
	v_and_b32_e32 v72, v72, v4
	v_lshlrev_b32_e32 v4, 29, v71
	v_cmp_gt_i64_e32 vcc, 0, v[3:4]
	v_not_b32_e32 v4, v4
	v_ashrrev_i32_e32 v4, 31, v4
	v_and_b32_e32 v74, v74, v178
	v_xor_b32_e32 v178, vcc_hi, v4
	v_xor_b32_e32 v4, vcc_lo, v4
	v_and_b32_e32 v72, v72, v4
	v_lshlrev_b32_e32 v4, 28, v71
	v_cmp_gt_i64_e32 vcc, 0, v[3:4]
	v_not_b32_e32 v4, v4
	v_ashrrev_i32_e32 v4, 31, v4
	v_and_b32_e32 v74, v74, v178
	;; [unrolled: 8-line block ×5, first 2 shown]
	v_xor_b32_e32 v178, vcc_hi, v4
	v_xor_b32_e32 v4, vcc_lo, v4
	v_and_b32_e32 v74, v74, v178
	v_and_b32_e32 v178, v72, v4
	v_lshlrev_b32_e32 v4, 24, v71
	v_cmp_gt_i64_e32 vcc, 0, v[3:4]
	v_not_b32_e32 v4, v4
	v_ashrrev_i32_e32 v4, 31, v4
	v_mul_u32_u24_e32 v73, 20, v71
	v_xor_b32_e32 v71, vcc_hi, v4
	v_xor_b32_e32 v4, vcc_lo, v4
	v_and_b32_e32 v72, v74, v71
	v_and_b32_e32 v71, v178, v4
	v_mbcnt_lo_u32_b32 v4, v71, 0
	v_mbcnt_hi_u32_b32 v178, v72, v4
	v_cmp_ne_u64_e32 vcc, 0, v[71:72]
	v_cmp_eq_u32_e64 s[38:39], 0, v178
	s_and_b64 s[40:41], vcc, s[38:39]
	v_add_u32_e32 v180, v174, v73
	ds_write2_b32 v177, v3, v3 offset1:1
	ds_write2_b32 v176, v3, v3 offset1:1
	ds_write_b32 v100, v3 offset:1056
	s_waitcnt vmcnt(0) lgkmcnt(0)
	s_barrier
	; wave barrier
	s_and_saveexec_b64 s[38:39], s[40:41]
; %bb.133:                              ;   in Loop: Header=BB1226_96 Depth=2
	v_bcnt_u32_b32 v4, v71, 0
	v_bcnt_u32_b32 v4, v72, v4
	ds_write_b32 v180, v4 offset:1040
; %bb.134:                              ;   in Loop: Header=BB1226_96 Depth=2
	s_or_b64 exec, exec, s[38:39]
	v_cmp_lt_i64_e32 vcc, -1, v[41:42]
	v_ashrrev_i32_e32 v71, 31, v42
	v_cndmask_b32_e32 v4, -1, v135, vcc
	v_xor_b32_e32 v42, v4, v42
	v_xor_b32_e32 v41, v71, v41
	v_cmp_ne_u64_e32 vcc, s[82:83], v[41:42]
	v_cndmask_b32_e32 v72, v135, v42, vcc
	v_cndmask_b32_e32 v71, 0, v41, vcc
	v_lshrrev_b64 v[71:72], s88, v[71:72]
	; wave barrier
	v_and_b32_e32 v71, s97, v71
	v_mad_u32_u24 v4, v71, 20, v174
	ds_read_b32 v179, v4 offset:1040
	v_and_b32_e32 v4, 1, v71
	v_add_co_u32_e32 v72, vcc, -1, v4
	v_addc_co_u32_e64 v74, s[38:39], 0, -1, vcc
	v_cmp_ne_u32_e32 vcc, 0, v4
	v_xor_b32_e32 v4, vcc_hi, v74
	v_and_b32_e32 v74, exec_hi, v4
	v_lshlrev_b32_e32 v4, 30, v71
	v_xor_b32_e32 v72, vcc_lo, v72
	v_cmp_gt_i64_e32 vcc, 0, v[3:4]
	v_not_b32_e32 v4, v4
	v_ashrrev_i32_e32 v4, 31, v4
	v_and_b32_e32 v72, exec_lo, v72
	v_xor_b32_e32 v181, vcc_hi, v4
	v_xor_b32_e32 v4, vcc_lo, v4
	v_and_b32_e32 v72, v72, v4
	v_lshlrev_b32_e32 v4, 29, v71
	v_cmp_gt_i64_e32 vcc, 0, v[3:4]
	v_not_b32_e32 v4, v4
	v_ashrrev_i32_e32 v4, 31, v4
	v_and_b32_e32 v74, v74, v181
	v_xor_b32_e32 v181, vcc_hi, v4
	v_xor_b32_e32 v4, vcc_lo, v4
	v_and_b32_e32 v72, v72, v4
	v_lshlrev_b32_e32 v4, 28, v71
	v_cmp_gt_i64_e32 vcc, 0, v[3:4]
	v_not_b32_e32 v4, v4
	v_ashrrev_i32_e32 v4, 31, v4
	v_and_b32_e32 v74, v74, v181
	;; [unrolled: 8-line block ×5, first 2 shown]
	v_xor_b32_e32 v181, vcc_hi, v4
	v_xor_b32_e32 v4, vcc_lo, v4
	v_and_b32_e32 v74, v74, v181
	v_and_b32_e32 v181, v72, v4
	v_lshlrev_b32_e32 v4, 24, v71
	v_cmp_gt_i64_e32 vcc, 0, v[3:4]
	v_not_b32_e32 v4, v4
	v_ashrrev_i32_e32 v4, 31, v4
	v_mul_u32_u24_e32 v73, 20, v71
	v_xor_b32_e32 v71, vcc_hi, v4
	v_xor_b32_e32 v4, vcc_lo, v4
	v_and_b32_e32 v72, v74, v71
	v_and_b32_e32 v71, v181, v4
	v_mbcnt_lo_u32_b32 v4, v71, 0
	v_mbcnt_hi_u32_b32 v181, v72, v4
	v_cmp_ne_u64_e32 vcc, 0, v[71:72]
	v_cmp_eq_u32_e64 s[38:39], 0, v181
	s_and_b64 s[40:41], vcc, s[38:39]
	v_add_u32_e32 v183, v174, v73
	; wave barrier
	s_and_saveexec_b64 s[38:39], s[40:41]
	s_cbranch_execz .LBB1226_136
; %bb.135:                              ;   in Loop: Header=BB1226_96 Depth=2
	v_bcnt_u32_b32 v4, v71, 0
	v_bcnt_u32_b32 v4, v72, v4
	s_waitcnt lgkmcnt(0)
	v_add_u32_e32 v4, v179, v4
	ds_write_b32 v183, v4 offset:1040
.LBB1226_136:                           ;   in Loop: Header=BB1226_96 Depth=2
	s_or_b64 exec, exec, s[38:39]
	v_cmp_lt_i64_e32 vcc, -1, v[47:48]
	v_ashrrev_i32_e32 v71, 31, v48
	v_cndmask_b32_e32 v4, -1, v135, vcc
	v_xor_b32_e32 v48, v4, v48
	v_xor_b32_e32 v47, v71, v47
	v_cmp_ne_u64_e32 vcc, s[82:83], v[47:48]
	v_cndmask_b32_e32 v72, v135, v48, vcc
	v_cndmask_b32_e32 v71, 0, v47, vcc
	v_lshrrev_b64 v[71:72], s88, v[71:72]
	; wave barrier
	v_and_b32_e32 v71, s97, v71
	v_mad_u32_u24 v4, v71, 20, v174
	ds_read_b32 v182, v4 offset:1040
	v_and_b32_e32 v4, 1, v71
	v_add_co_u32_e32 v72, vcc, -1, v4
	v_addc_co_u32_e64 v74, s[38:39], 0, -1, vcc
	v_cmp_ne_u32_e32 vcc, 0, v4
	v_xor_b32_e32 v4, vcc_hi, v74
	v_and_b32_e32 v74, exec_hi, v4
	v_lshlrev_b32_e32 v4, 30, v71
	v_xor_b32_e32 v72, vcc_lo, v72
	v_cmp_gt_i64_e32 vcc, 0, v[3:4]
	v_not_b32_e32 v4, v4
	v_ashrrev_i32_e32 v4, 31, v4
	v_and_b32_e32 v72, exec_lo, v72
	v_xor_b32_e32 v184, vcc_hi, v4
	v_xor_b32_e32 v4, vcc_lo, v4
	v_and_b32_e32 v72, v72, v4
	v_lshlrev_b32_e32 v4, 29, v71
	v_cmp_gt_i64_e32 vcc, 0, v[3:4]
	v_not_b32_e32 v4, v4
	v_ashrrev_i32_e32 v4, 31, v4
	v_and_b32_e32 v74, v74, v184
	v_xor_b32_e32 v184, vcc_hi, v4
	v_xor_b32_e32 v4, vcc_lo, v4
	v_and_b32_e32 v72, v72, v4
	v_lshlrev_b32_e32 v4, 28, v71
	v_cmp_gt_i64_e32 vcc, 0, v[3:4]
	v_not_b32_e32 v4, v4
	v_ashrrev_i32_e32 v4, 31, v4
	v_and_b32_e32 v74, v74, v184
	;; [unrolled: 8-line block ×5, first 2 shown]
	v_xor_b32_e32 v184, vcc_hi, v4
	v_xor_b32_e32 v4, vcc_lo, v4
	v_and_b32_e32 v74, v74, v184
	v_and_b32_e32 v184, v72, v4
	v_lshlrev_b32_e32 v4, 24, v71
	v_cmp_gt_i64_e32 vcc, 0, v[3:4]
	v_not_b32_e32 v4, v4
	v_ashrrev_i32_e32 v4, 31, v4
	v_mul_u32_u24_e32 v73, 20, v71
	v_xor_b32_e32 v71, vcc_hi, v4
	v_xor_b32_e32 v4, vcc_lo, v4
	v_and_b32_e32 v72, v74, v71
	v_and_b32_e32 v71, v184, v4
	v_mbcnt_lo_u32_b32 v4, v71, 0
	v_mbcnt_hi_u32_b32 v184, v72, v4
	v_cmp_ne_u64_e32 vcc, 0, v[71:72]
	v_cmp_eq_u32_e64 s[38:39], 0, v184
	s_and_b64 s[40:41], vcc, s[38:39]
	v_add_u32_e32 v186, v174, v73
	; wave barrier
	s_and_saveexec_b64 s[38:39], s[40:41]
	s_cbranch_execz .LBB1226_138
; %bb.137:                              ;   in Loop: Header=BB1226_96 Depth=2
	v_bcnt_u32_b32 v4, v71, 0
	v_bcnt_u32_b32 v4, v72, v4
	s_waitcnt lgkmcnt(0)
	v_add_u32_e32 v4, v182, v4
	ds_write_b32 v186, v4 offset:1040
.LBB1226_138:                           ;   in Loop: Header=BB1226_96 Depth=2
	s_or_b64 exec, exec, s[38:39]
	v_cmp_lt_i64_e32 vcc, -1, v[51:52]
	v_ashrrev_i32_e32 v71, 31, v52
	v_cndmask_b32_e32 v4, -1, v135, vcc
	v_xor_b32_e32 v52, v4, v52
	v_xor_b32_e32 v51, v71, v51
	v_cmp_ne_u64_e32 vcc, s[82:83], v[51:52]
	v_cndmask_b32_e32 v72, v135, v52, vcc
	v_cndmask_b32_e32 v71, 0, v51, vcc
	v_lshrrev_b64 v[71:72], s88, v[71:72]
	; wave barrier
	v_and_b32_e32 v71, s97, v71
	v_mad_u32_u24 v4, v71, 20, v174
	ds_read_b32 v185, v4 offset:1040
	v_and_b32_e32 v4, 1, v71
	v_add_co_u32_e32 v72, vcc, -1, v4
	v_addc_co_u32_e64 v74, s[38:39], 0, -1, vcc
	v_cmp_ne_u32_e32 vcc, 0, v4
	v_xor_b32_e32 v4, vcc_hi, v74
	v_and_b32_e32 v74, exec_hi, v4
	v_lshlrev_b32_e32 v4, 30, v71
	v_xor_b32_e32 v72, vcc_lo, v72
	v_cmp_gt_i64_e32 vcc, 0, v[3:4]
	v_not_b32_e32 v4, v4
	v_ashrrev_i32_e32 v4, 31, v4
	v_and_b32_e32 v72, exec_lo, v72
	v_xor_b32_e32 v187, vcc_hi, v4
	v_xor_b32_e32 v4, vcc_lo, v4
	v_and_b32_e32 v72, v72, v4
	v_lshlrev_b32_e32 v4, 29, v71
	v_cmp_gt_i64_e32 vcc, 0, v[3:4]
	v_not_b32_e32 v4, v4
	v_ashrrev_i32_e32 v4, 31, v4
	v_and_b32_e32 v74, v74, v187
	v_xor_b32_e32 v187, vcc_hi, v4
	v_xor_b32_e32 v4, vcc_lo, v4
	v_and_b32_e32 v72, v72, v4
	v_lshlrev_b32_e32 v4, 28, v71
	v_cmp_gt_i64_e32 vcc, 0, v[3:4]
	v_not_b32_e32 v4, v4
	v_ashrrev_i32_e32 v4, 31, v4
	v_and_b32_e32 v74, v74, v187
	;; [unrolled: 8-line block ×5, first 2 shown]
	v_xor_b32_e32 v187, vcc_hi, v4
	v_xor_b32_e32 v4, vcc_lo, v4
	v_and_b32_e32 v74, v74, v187
	v_and_b32_e32 v187, v72, v4
	v_lshlrev_b32_e32 v4, 24, v71
	v_cmp_gt_i64_e32 vcc, 0, v[3:4]
	v_not_b32_e32 v4, v4
	v_ashrrev_i32_e32 v4, 31, v4
	v_mul_u32_u24_e32 v73, 20, v71
	v_xor_b32_e32 v71, vcc_hi, v4
	v_xor_b32_e32 v4, vcc_lo, v4
	v_and_b32_e32 v72, v74, v71
	v_and_b32_e32 v71, v187, v4
	v_mbcnt_lo_u32_b32 v4, v71, 0
	v_mbcnt_hi_u32_b32 v187, v72, v4
	v_cmp_ne_u64_e32 vcc, 0, v[71:72]
	v_cmp_eq_u32_e64 s[38:39], 0, v187
	s_and_b64 s[40:41], vcc, s[38:39]
	v_add_u32_e32 v189, v174, v73
	; wave barrier
	s_and_saveexec_b64 s[38:39], s[40:41]
	s_cbranch_execz .LBB1226_140
; %bb.139:                              ;   in Loop: Header=BB1226_96 Depth=2
	v_bcnt_u32_b32 v4, v71, 0
	v_bcnt_u32_b32 v4, v72, v4
	s_waitcnt lgkmcnt(0)
	v_add_u32_e32 v4, v185, v4
	ds_write_b32 v189, v4 offset:1040
.LBB1226_140:                           ;   in Loop: Header=BB1226_96 Depth=2
	s_or_b64 exec, exec, s[38:39]
	v_cmp_lt_i64_e32 vcc, -1, v[55:56]
	v_ashrrev_i32_e32 v71, 31, v56
	v_cndmask_b32_e32 v4, -1, v135, vcc
	v_xor_b32_e32 v56, v4, v56
	v_xor_b32_e32 v55, v71, v55
	v_cmp_ne_u64_e32 vcc, s[82:83], v[55:56]
	v_cndmask_b32_e32 v72, v135, v56, vcc
	v_cndmask_b32_e32 v71, 0, v55, vcc
	v_lshrrev_b64 v[71:72], s88, v[71:72]
	; wave barrier
	v_and_b32_e32 v71, s97, v71
	v_mad_u32_u24 v4, v71, 20, v174
	ds_read_b32 v188, v4 offset:1040
	v_and_b32_e32 v4, 1, v71
	v_add_co_u32_e32 v72, vcc, -1, v4
	v_addc_co_u32_e64 v74, s[38:39], 0, -1, vcc
	v_cmp_ne_u32_e32 vcc, 0, v4
	v_xor_b32_e32 v4, vcc_hi, v74
	v_and_b32_e32 v74, exec_hi, v4
	v_lshlrev_b32_e32 v4, 30, v71
	v_xor_b32_e32 v72, vcc_lo, v72
	v_cmp_gt_i64_e32 vcc, 0, v[3:4]
	v_not_b32_e32 v4, v4
	v_ashrrev_i32_e32 v4, 31, v4
	v_and_b32_e32 v72, exec_lo, v72
	v_xor_b32_e32 v190, vcc_hi, v4
	v_xor_b32_e32 v4, vcc_lo, v4
	v_and_b32_e32 v72, v72, v4
	v_lshlrev_b32_e32 v4, 29, v71
	v_cmp_gt_i64_e32 vcc, 0, v[3:4]
	v_not_b32_e32 v4, v4
	v_ashrrev_i32_e32 v4, 31, v4
	v_and_b32_e32 v74, v74, v190
	v_xor_b32_e32 v190, vcc_hi, v4
	v_xor_b32_e32 v4, vcc_lo, v4
	v_and_b32_e32 v72, v72, v4
	v_lshlrev_b32_e32 v4, 28, v71
	v_cmp_gt_i64_e32 vcc, 0, v[3:4]
	v_not_b32_e32 v4, v4
	v_ashrrev_i32_e32 v4, 31, v4
	v_and_b32_e32 v74, v74, v190
	;; [unrolled: 8-line block ×5, first 2 shown]
	v_xor_b32_e32 v190, vcc_hi, v4
	v_xor_b32_e32 v4, vcc_lo, v4
	v_and_b32_e32 v74, v74, v190
	v_and_b32_e32 v190, v72, v4
	v_lshlrev_b32_e32 v4, 24, v71
	v_cmp_gt_i64_e32 vcc, 0, v[3:4]
	v_not_b32_e32 v4, v4
	v_ashrrev_i32_e32 v4, 31, v4
	v_mul_u32_u24_e32 v73, 20, v71
	v_xor_b32_e32 v71, vcc_hi, v4
	v_xor_b32_e32 v4, vcc_lo, v4
	v_and_b32_e32 v72, v74, v71
	v_and_b32_e32 v71, v190, v4
	v_mbcnt_lo_u32_b32 v4, v71, 0
	v_mbcnt_hi_u32_b32 v190, v72, v4
	v_cmp_ne_u64_e32 vcc, 0, v[71:72]
	v_cmp_eq_u32_e64 s[38:39], 0, v190
	s_and_b64 s[40:41], vcc, s[38:39]
	v_add_u32_e32 v192, v174, v73
	; wave barrier
	s_and_saveexec_b64 s[38:39], s[40:41]
	s_cbranch_execz .LBB1226_142
; %bb.141:                              ;   in Loop: Header=BB1226_96 Depth=2
	v_bcnt_u32_b32 v4, v71, 0
	v_bcnt_u32_b32 v4, v72, v4
	s_waitcnt lgkmcnt(0)
	v_add_u32_e32 v4, v188, v4
	ds_write_b32 v192, v4 offset:1040
.LBB1226_142:                           ;   in Loop: Header=BB1226_96 Depth=2
	s_or_b64 exec, exec, s[38:39]
	v_cmp_lt_i64_e32 vcc, -1, v[59:60]
	v_ashrrev_i32_e32 v71, 31, v60
	v_cndmask_b32_e32 v4, -1, v135, vcc
	v_xor_b32_e32 v60, v4, v60
	v_xor_b32_e32 v59, v71, v59
	v_cmp_ne_u64_e32 vcc, s[82:83], v[59:60]
	v_cndmask_b32_e32 v72, v135, v60, vcc
	v_cndmask_b32_e32 v71, 0, v59, vcc
	v_lshrrev_b64 v[71:72], s88, v[71:72]
	; wave barrier
	v_and_b32_e32 v71, s97, v71
	v_mad_u32_u24 v4, v71, 20, v174
	ds_read_b32 v191, v4 offset:1040
	v_and_b32_e32 v4, 1, v71
	v_add_co_u32_e32 v72, vcc, -1, v4
	v_addc_co_u32_e64 v74, s[38:39], 0, -1, vcc
	v_cmp_ne_u32_e32 vcc, 0, v4
	v_xor_b32_e32 v4, vcc_hi, v74
	v_and_b32_e32 v74, exec_hi, v4
	v_lshlrev_b32_e32 v4, 30, v71
	v_xor_b32_e32 v72, vcc_lo, v72
	v_cmp_gt_i64_e32 vcc, 0, v[3:4]
	v_not_b32_e32 v4, v4
	v_ashrrev_i32_e32 v4, 31, v4
	v_and_b32_e32 v72, exec_lo, v72
	v_xor_b32_e32 v193, vcc_hi, v4
	v_xor_b32_e32 v4, vcc_lo, v4
	v_and_b32_e32 v72, v72, v4
	v_lshlrev_b32_e32 v4, 29, v71
	v_cmp_gt_i64_e32 vcc, 0, v[3:4]
	v_not_b32_e32 v4, v4
	v_ashrrev_i32_e32 v4, 31, v4
	v_and_b32_e32 v74, v74, v193
	v_xor_b32_e32 v193, vcc_hi, v4
	v_xor_b32_e32 v4, vcc_lo, v4
	v_and_b32_e32 v72, v72, v4
	v_lshlrev_b32_e32 v4, 28, v71
	v_cmp_gt_i64_e32 vcc, 0, v[3:4]
	v_not_b32_e32 v4, v4
	v_ashrrev_i32_e32 v4, 31, v4
	v_and_b32_e32 v74, v74, v193
	;; [unrolled: 8-line block ×5, first 2 shown]
	v_xor_b32_e32 v193, vcc_hi, v4
	v_xor_b32_e32 v4, vcc_lo, v4
	v_and_b32_e32 v74, v74, v193
	v_and_b32_e32 v193, v72, v4
	v_lshlrev_b32_e32 v4, 24, v71
	v_cmp_gt_i64_e32 vcc, 0, v[3:4]
	v_not_b32_e32 v4, v4
	v_ashrrev_i32_e32 v4, 31, v4
	v_mul_u32_u24_e32 v73, 20, v71
	v_xor_b32_e32 v71, vcc_hi, v4
	v_xor_b32_e32 v4, vcc_lo, v4
	v_and_b32_e32 v72, v74, v71
	v_and_b32_e32 v71, v193, v4
	v_mbcnt_lo_u32_b32 v4, v71, 0
	v_mbcnt_hi_u32_b32 v193, v72, v4
	v_cmp_ne_u64_e32 vcc, 0, v[71:72]
	v_cmp_eq_u32_e64 s[38:39], 0, v193
	s_and_b64 s[40:41], vcc, s[38:39]
	v_add_u32_e32 v195, v174, v73
	; wave barrier
	s_and_saveexec_b64 s[38:39], s[40:41]
	s_cbranch_execz .LBB1226_144
; %bb.143:                              ;   in Loop: Header=BB1226_96 Depth=2
	v_bcnt_u32_b32 v4, v71, 0
	v_bcnt_u32_b32 v4, v72, v4
	s_waitcnt lgkmcnt(0)
	v_add_u32_e32 v4, v191, v4
	ds_write_b32 v195, v4 offset:1040
.LBB1226_144:                           ;   in Loop: Header=BB1226_96 Depth=2
	s_or_b64 exec, exec, s[38:39]
	v_cmp_lt_i64_e32 vcc, -1, v[63:64]
	v_ashrrev_i32_e32 v71, 31, v64
	v_cndmask_b32_e32 v4, -1, v135, vcc
	v_xor_b32_e32 v64, v4, v64
	v_xor_b32_e32 v63, v71, v63
	v_cmp_ne_u64_e32 vcc, s[82:83], v[63:64]
	v_cndmask_b32_e32 v72, v135, v64, vcc
	v_cndmask_b32_e32 v71, 0, v63, vcc
	v_lshrrev_b64 v[71:72], s88, v[71:72]
	; wave barrier
	v_and_b32_e32 v71, s97, v71
	v_mad_u32_u24 v4, v71, 20, v174
	ds_read_b32 v194, v4 offset:1040
	v_and_b32_e32 v4, 1, v71
	v_add_co_u32_e32 v72, vcc, -1, v4
	v_addc_co_u32_e64 v74, s[38:39], 0, -1, vcc
	v_cmp_ne_u32_e32 vcc, 0, v4
	v_xor_b32_e32 v4, vcc_hi, v74
	v_and_b32_e32 v74, exec_hi, v4
	v_lshlrev_b32_e32 v4, 30, v71
	v_xor_b32_e32 v72, vcc_lo, v72
	v_cmp_gt_i64_e32 vcc, 0, v[3:4]
	v_not_b32_e32 v4, v4
	v_ashrrev_i32_e32 v4, 31, v4
	v_and_b32_e32 v72, exec_lo, v72
	v_xor_b32_e32 v196, vcc_hi, v4
	v_xor_b32_e32 v4, vcc_lo, v4
	v_and_b32_e32 v72, v72, v4
	v_lshlrev_b32_e32 v4, 29, v71
	v_cmp_gt_i64_e32 vcc, 0, v[3:4]
	v_not_b32_e32 v4, v4
	v_ashrrev_i32_e32 v4, 31, v4
	v_and_b32_e32 v74, v74, v196
	v_xor_b32_e32 v196, vcc_hi, v4
	v_xor_b32_e32 v4, vcc_lo, v4
	v_and_b32_e32 v72, v72, v4
	v_lshlrev_b32_e32 v4, 28, v71
	v_cmp_gt_i64_e32 vcc, 0, v[3:4]
	v_not_b32_e32 v4, v4
	v_ashrrev_i32_e32 v4, 31, v4
	v_and_b32_e32 v74, v74, v196
	;; [unrolled: 8-line block ×5, first 2 shown]
	v_xor_b32_e32 v196, vcc_hi, v4
	v_xor_b32_e32 v4, vcc_lo, v4
	v_and_b32_e32 v74, v74, v196
	v_and_b32_e32 v196, v72, v4
	v_lshlrev_b32_e32 v4, 24, v71
	v_cmp_gt_i64_e32 vcc, 0, v[3:4]
	v_not_b32_e32 v4, v4
	v_ashrrev_i32_e32 v4, 31, v4
	v_mul_u32_u24_e32 v73, 20, v71
	v_xor_b32_e32 v71, vcc_hi, v4
	v_xor_b32_e32 v4, vcc_lo, v4
	v_and_b32_e32 v72, v74, v71
	v_and_b32_e32 v71, v196, v4
	v_mbcnt_lo_u32_b32 v4, v71, 0
	v_mbcnt_hi_u32_b32 v196, v72, v4
	v_cmp_ne_u64_e32 vcc, 0, v[71:72]
	v_cmp_eq_u32_e64 s[38:39], 0, v196
	s_and_b64 s[40:41], vcc, s[38:39]
	v_add_u32_e32 v198, v174, v73
	; wave barrier
	s_and_saveexec_b64 s[38:39], s[40:41]
	s_cbranch_execz .LBB1226_146
; %bb.145:                              ;   in Loop: Header=BB1226_96 Depth=2
	v_bcnt_u32_b32 v4, v71, 0
	v_bcnt_u32_b32 v4, v72, v4
	s_waitcnt lgkmcnt(0)
	v_add_u32_e32 v4, v194, v4
	ds_write_b32 v198, v4 offset:1040
.LBB1226_146:                           ;   in Loop: Header=BB1226_96 Depth=2
	s_or_b64 exec, exec, s[38:39]
	v_cmp_lt_i64_e32 vcc, -1, v[67:68]
	v_ashrrev_i32_e32 v71, 31, v68
	v_cndmask_b32_e32 v4, -1, v135, vcc
	v_xor_b32_e32 v68, v4, v68
	v_xor_b32_e32 v67, v71, v67
	v_cmp_ne_u64_e32 vcc, s[82:83], v[67:68]
	v_cndmask_b32_e32 v72, v135, v68, vcc
	v_cndmask_b32_e32 v71, 0, v67, vcc
	v_lshrrev_b64 v[71:72], s88, v[71:72]
	; wave barrier
	v_and_b32_e32 v71, s97, v71
	v_mad_u32_u24 v4, v71, 20, v174
	ds_read_b32 v197, v4 offset:1040
	v_and_b32_e32 v4, 1, v71
	v_add_co_u32_e32 v72, vcc, -1, v4
	v_addc_co_u32_e64 v74, s[38:39], 0, -1, vcc
	v_cmp_ne_u32_e32 vcc, 0, v4
	v_xor_b32_e32 v4, vcc_hi, v74
	v_and_b32_e32 v74, exec_hi, v4
	v_lshlrev_b32_e32 v4, 30, v71
	v_xor_b32_e32 v72, vcc_lo, v72
	v_cmp_gt_i64_e32 vcc, 0, v[3:4]
	v_not_b32_e32 v4, v4
	v_ashrrev_i32_e32 v4, 31, v4
	v_and_b32_e32 v72, exec_lo, v72
	v_xor_b32_e32 v199, vcc_hi, v4
	v_xor_b32_e32 v4, vcc_lo, v4
	v_and_b32_e32 v72, v72, v4
	v_lshlrev_b32_e32 v4, 29, v71
	v_cmp_gt_i64_e32 vcc, 0, v[3:4]
	v_not_b32_e32 v4, v4
	v_ashrrev_i32_e32 v4, 31, v4
	v_and_b32_e32 v74, v74, v199
	v_xor_b32_e32 v199, vcc_hi, v4
	v_xor_b32_e32 v4, vcc_lo, v4
	v_and_b32_e32 v72, v72, v4
	v_lshlrev_b32_e32 v4, 28, v71
	v_cmp_gt_i64_e32 vcc, 0, v[3:4]
	v_not_b32_e32 v4, v4
	v_ashrrev_i32_e32 v4, 31, v4
	v_and_b32_e32 v74, v74, v199
	;; [unrolled: 8-line block ×5, first 2 shown]
	v_xor_b32_e32 v199, vcc_hi, v4
	v_xor_b32_e32 v4, vcc_lo, v4
	v_and_b32_e32 v74, v74, v199
	v_and_b32_e32 v199, v72, v4
	v_lshlrev_b32_e32 v4, 24, v71
	v_cmp_gt_i64_e32 vcc, 0, v[3:4]
	v_not_b32_e32 v4, v4
	v_ashrrev_i32_e32 v4, 31, v4
	v_mul_u32_u24_e32 v73, 20, v71
	v_xor_b32_e32 v71, vcc_hi, v4
	v_xor_b32_e32 v4, vcc_lo, v4
	v_and_b32_e32 v72, v74, v71
	v_and_b32_e32 v71, v199, v4
	v_mbcnt_lo_u32_b32 v4, v71, 0
	v_mbcnt_hi_u32_b32 v199, v72, v4
	v_cmp_ne_u64_e32 vcc, 0, v[71:72]
	v_cmp_eq_u32_e64 s[38:39], 0, v199
	s_and_b64 s[40:41], vcc, s[38:39]
	v_add_u32_e32 v201, v174, v73
	; wave barrier
	s_and_saveexec_b64 s[38:39], s[40:41]
	s_cbranch_execz .LBB1226_148
; %bb.147:                              ;   in Loop: Header=BB1226_96 Depth=2
	v_bcnt_u32_b32 v4, v71, 0
	v_bcnt_u32_b32 v4, v72, v4
	s_waitcnt lgkmcnt(0)
	v_add_u32_e32 v4, v197, v4
	ds_write_b32 v201, v4 offset:1040
.LBB1226_148:                           ;   in Loop: Header=BB1226_96 Depth=2
	s_or_b64 exec, exec, s[38:39]
	v_cmp_lt_i64_e32 vcc, -1, v[69:70]
	v_ashrrev_i32_e32 v71, 31, v70
	v_cndmask_b32_e32 v4, -1, v135, vcc
	v_xor_b32_e32 v70, v4, v70
	v_xor_b32_e32 v69, v71, v69
	v_cmp_ne_u64_e32 vcc, s[82:83], v[69:70]
	v_cndmask_b32_e32 v72, v135, v70, vcc
	v_cndmask_b32_e32 v71, 0, v69, vcc
	v_lshrrev_b64 v[71:72], s88, v[71:72]
	; wave barrier
	v_and_b32_e32 v71, s97, v71
	v_mad_u32_u24 v4, v71, 20, v174
	ds_read_b32 v200, v4 offset:1040
	v_and_b32_e32 v4, 1, v71
	v_add_co_u32_e32 v72, vcc, -1, v4
	v_addc_co_u32_e64 v74, s[38:39], 0, -1, vcc
	v_cmp_ne_u32_e32 vcc, 0, v4
	v_xor_b32_e32 v4, vcc_hi, v74
	v_and_b32_e32 v74, exec_hi, v4
	v_lshlrev_b32_e32 v4, 30, v71
	v_xor_b32_e32 v72, vcc_lo, v72
	v_cmp_gt_i64_e32 vcc, 0, v[3:4]
	v_not_b32_e32 v4, v4
	v_ashrrev_i32_e32 v4, 31, v4
	v_and_b32_e32 v72, exec_lo, v72
	v_xor_b32_e32 v202, vcc_hi, v4
	v_xor_b32_e32 v4, vcc_lo, v4
	v_and_b32_e32 v72, v72, v4
	v_lshlrev_b32_e32 v4, 29, v71
	v_cmp_gt_i64_e32 vcc, 0, v[3:4]
	v_not_b32_e32 v4, v4
	v_ashrrev_i32_e32 v4, 31, v4
	v_and_b32_e32 v74, v74, v202
	v_xor_b32_e32 v202, vcc_hi, v4
	v_xor_b32_e32 v4, vcc_lo, v4
	v_and_b32_e32 v72, v72, v4
	v_lshlrev_b32_e32 v4, 28, v71
	v_cmp_gt_i64_e32 vcc, 0, v[3:4]
	v_not_b32_e32 v4, v4
	v_ashrrev_i32_e32 v4, 31, v4
	v_and_b32_e32 v74, v74, v202
	;; [unrolled: 8-line block ×5, first 2 shown]
	v_xor_b32_e32 v202, vcc_hi, v4
	v_xor_b32_e32 v4, vcc_lo, v4
	v_and_b32_e32 v74, v74, v202
	v_and_b32_e32 v202, v72, v4
	v_lshlrev_b32_e32 v4, 24, v71
	v_cmp_gt_i64_e32 vcc, 0, v[3:4]
	v_not_b32_e32 v4, v4
	v_ashrrev_i32_e32 v4, 31, v4
	v_mul_u32_u24_e32 v73, 20, v71
	v_xor_b32_e32 v71, vcc_hi, v4
	v_xor_b32_e32 v4, vcc_lo, v4
	v_and_b32_e32 v72, v74, v71
	v_and_b32_e32 v71, v202, v4
	v_mbcnt_lo_u32_b32 v4, v71, 0
	v_mbcnt_hi_u32_b32 v202, v72, v4
	v_cmp_ne_u64_e32 vcc, 0, v[71:72]
	v_cmp_eq_u32_e64 s[38:39], 0, v202
	s_and_b64 s[40:41], vcc, s[38:39]
	v_add_u32_e32 v204, v174, v73
	; wave barrier
	s_and_saveexec_b64 s[38:39], s[40:41]
	s_cbranch_execz .LBB1226_150
; %bb.149:                              ;   in Loop: Header=BB1226_96 Depth=2
	v_bcnt_u32_b32 v4, v71, 0
	v_bcnt_u32_b32 v4, v72, v4
	s_waitcnt lgkmcnt(0)
	v_add_u32_e32 v4, v200, v4
	ds_write_b32 v204, v4 offset:1040
.LBB1226_150:                           ;   in Loop: Header=BB1226_96 Depth=2
	s_or_b64 exec, exec, s[38:39]
	v_cmp_lt_i64_e32 vcc, -1, v[65:66]
	v_ashrrev_i32_e32 v71, 31, v66
	v_cndmask_b32_e32 v4, -1, v135, vcc
	v_xor_b32_e32 v66, v4, v66
	v_xor_b32_e32 v65, v71, v65
	v_cmp_ne_u64_e32 vcc, s[82:83], v[65:66]
	v_cndmask_b32_e32 v72, v135, v66, vcc
	v_cndmask_b32_e32 v71, 0, v65, vcc
	v_lshrrev_b64 v[71:72], s88, v[71:72]
	; wave barrier
	v_and_b32_e32 v71, s97, v71
	v_mad_u32_u24 v4, v71, 20, v174
	ds_read_b32 v203, v4 offset:1040
	v_and_b32_e32 v4, 1, v71
	v_add_co_u32_e32 v72, vcc, -1, v4
	v_addc_co_u32_e64 v74, s[38:39], 0, -1, vcc
	v_cmp_ne_u32_e32 vcc, 0, v4
	v_xor_b32_e32 v4, vcc_hi, v74
	v_and_b32_e32 v74, exec_hi, v4
	v_lshlrev_b32_e32 v4, 30, v71
	v_xor_b32_e32 v72, vcc_lo, v72
	v_cmp_gt_i64_e32 vcc, 0, v[3:4]
	v_not_b32_e32 v4, v4
	v_ashrrev_i32_e32 v4, 31, v4
	v_and_b32_e32 v72, exec_lo, v72
	v_xor_b32_e32 v205, vcc_hi, v4
	v_xor_b32_e32 v4, vcc_lo, v4
	v_and_b32_e32 v72, v72, v4
	v_lshlrev_b32_e32 v4, 29, v71
	v_cmp_gt_i64_e32 vcc, 0, v[3:4]
	v_not_b32_e32 v4, v4
	v_ashrrev_i32_e32 v4, 31, v4
	v_and_b32_e32 v74, v74, v205
	v_xor_b32_e32 v205, vcc_hi, v4
	v_xor_b32_e32 v4, vcc_lo, v4
	v_and_b32_e32 v72, v72, v4
	v_lshlrev_b32_e32 v4, 28, v71
	v_cmp_gt_i64_e32 vcc, 0, v[3:4]
	v_not_b32_e32 v4, v4
	v_ashrrev_i32_e32 v4, 31, v4
	v_and_b32_e32 v74, v74, v205
	;; [unrolled: 8-line block ×5, first 2 shown]
	v_xor_b32_e32 v205, vcc_hi, v4
	v_xor_b32_e32 v4, vcc_lo, v4
	v_and_b32_e32 v74, v74, v205
	v_and_b32_e32 v205, v72, v4
	v_lshlrev_b32_e32 v4, 24, v71
	v_cmp_gt_i64_e32 vcc, 0, v[3:4]
	v_not_b32_e32 v4, v4
	v_ashrrev_i32_e32 v4, 31, v4
	v_mul_u32_u24_e32 v73, 20, v71
	v_xor_b32_e32 v71, vcc_hi, v4
	v_xor_b32_e32 v4, vcc_lo, v4
	v_and_b32_e32 v72, v74, v71
	v_and_b32_e32 v71, v205, v4
	v_mbcnt_lo_u32_b32 v4, v71, 0
	v_mbcnt_hi_u32_b32 v205, v72, v4
	v_cmp_ne_u64_e32 vcc, 0, v[71:72]
	v_cmp_eq_u32_e64 s[38:39], 0, v205
	s_and_b64 s[40:41], vcc, s[38:39]
	v_add_u32_e32 v207, v174, v73
	; wave barrier
	s_and_saveexec_b64 s[38:39], s[40:41]
	s_cbranch_execz .LBB1226_152
; %bb.151:                              ;   in Loop: Header=BB1226_96 Depth=2
	v_bcnt_u32_b32 v4, v71, 0
	v_bcnt_u32_b32 v4, v72, v4
	s_waitcnt lgkmcnt(0)
	v_add_u32_e32 v4, v203, v4
	ds_write_b32 v207, v4 offset:1040
.LBB1226_152:                           ;   in Loop: Header=BB1226_96 Depth=2
	s_or_b64 exec, exec, s[38:39]
	v_cmp_lt_i64_e32 vcc, -1, v[61:62]
	v_ashrrev_i32_e32 v71, 31, v62
	v_cndmask_b32_e32 v4, -1, v135, vcc
	v_xor_b32_e32 v62, v4, v62
	v_xor_b32_e32 v61, v71, v61
	v_cmp_ne_u64_e32 vcc, s[82:83], v[61:62]
	v_cndmask_b32_e32 v72, v135, v62, vcc
	v_cndmask_b32_e32 v71, 0, v61, vcc
	v_lshrrev_b64 v[71:72], s88, v[71:72]
	; wave barrier
	v_and_b32_e32 v71, s97, v71
	v_mad_u32_u24 v4, v71, 20, v174
	ds_read_b32 v206, v4 offset:1040
	v_and_b32_e32 v4, 1, v71
	v_add_co_u32_e32 v72, vcc, -1, v4
	v_addc_co_u32_e64 v74, s[38:39], 0, -1, vcc
	v_cmp_ne_u32_e32 vcc, 0, v4
	v_xor_b32_e32 v4, vcc_hi, v74
	v_and_b32_e32 v74, exec_hi, v4
	v_lshlrev_b32_e32 v4, 30, v71
	v_xor_b32_e32 v72, vcc_lo, v72
	v_cmp_gt_i64_e32 vcc, 0, v[3:4]
	v_not_b32_e32 v4, v4
	v_ashrrev_i32_e32 v4, 31, v4
	v_and_b32_e32 v72, exec_lo, v72
	v_xor_b32_e32 v208, vcc_hi, v4
	v_xor_b32_e32 v4, vcc_lo, v4
	v_and_b32_e32 v72, v72, v4
	v_lshlrev_b32_e32 v4, 29, v71
	v_cmp_gt_i64_e32 vcc, 0, v[3:4]
	v_not_b32_e32 v4, v4
	v_ashrrev_i32_e32 v4, 31, v4
	v_and_b32_e32 v74, v74, v208
	v_xor_b32_e32 v208, vcc_hi, v4
	v_xor_b32_e32 v4, vcc_lo, v4
	v_and_b32_e32 v72, v72, v4
	v_lshlrev_b32_e32 v4, 28, v71
	v_cmp_gt_i64_e32 vcc, 0, v[3:4]
	v_not_b32_e32 v4, v4
	v_ashrrev_i32_e32 v4, 31, v4
	v_and_b32_e32 v74, v74, v208
	;; [unrolled: 8-line block ×5, first 2 shown]
	v_xor_b32_e32 v208, vcc_hi, v4
	v_xor_b32_e32 v4, vcc_lo, v4
	v_and_b32_e32 v74, v74, v208
	v_and_b32_e32 v208, v72, v4
	v_lshlrev_b32_e32 v4, 24, v71
	v_cmp_gt_i64_e32 vcc, 0, v[3:4]
	v_not_b32_e32 v4, v4
	v_ashrrev_i32_e32 v4, 31, v4
	v_mul_u32_u24_e32 v73, 20, v71
	v_xor_b32_e32 v71, vcc_hi, v4
	v_xor_b32_e32 v4, vcc_lo, v4
	v_and_b32_e32 v72, v74, v71
	v_and_b32_e32 v71, v208, v4
	v_mbcnt_lo_u32_b32 v4, v71, 0
	v_mbcnt_hi_u32_b32 v208, v72, v4
	v_cmp_ne_u64_e32 vcc, 0, v[71:72]
	v_cmp_eq_u32_e64 s[38:39], 0, v208
	s_and_b64 s[40:41], vcc, s[38:39]
	v_add_u32_e32 v210, v174, v73
	; wave barrier
	s_and_saveexec_b64 s[38:39], s[40:41]
	s_cbranch_execz .LBB1226_154
; %bb.153:                              ;   in Loop: Header=BB1226_96 Depth=2
	v_bcnt_u32_b32 v4, v71, 0
	v_bcnt_u32_b32 v4, v72, v4
	s_waitcnt lgkmcnt(0)
	v_add_u32_e32 v4, v206, v4
	ds_write_b32 v210, v4 offset:1040
.LBB1226_154:                           ;   in Loop: Header=BB1226_96 Depth=2
	s_or_b64 exec, exec, s[38:39]
	v_cmp_lt_i64_e32 vcc, -1, v[57:58]
	v_ashrrev_i32_e32 v71, 31, v58
	v_cndmask_b32_e32 v4, -1, v135, vcc
	v_xor_b32_e32 v58, v4, v58
	v_xor_b32_e32 v57, v71, v57
	v_cmp_ne_u64_e32 vcc, s[82:83], v[57:58]
	v_cndmask_b32_e32 v72, v135, v58, vcc
	v_cndmask_b32_e32 v71, 0, v57, vcc
	v_lshrrev_b64 v[71:72], s88, v[71:72]
	; wave barrier
	v_and_b32_e32 v71, s97, v71
	v_mad_u32_u24 v4, v71, 20, v174
	ds_read_b32 v209, v4 offset:1040
	v_and_b32_e32 v4, 1, v71
	v_add_co_u32_e32 v72, vcc, -1, v4
	v_addc_co_u32_e64 v74, s[38:39], 0, -1, vcc
	v_cmp_ne_u32_e32 vcc, 0, v4
	v_xor_b32_e32 v4, vcc_hi, v74
	v_and_b32_e32 v74, exec_hi, v4
	v_lshlrev_b32_e32 v4, 30, v71
	v_xor_b32_e32 v72, vcc_lo, v72
	v_cmp_gt_i64_e32 vcc, 0, v[3:4]
	v_not_b32_e32 v4, v4
	v_ashrrev_i32_e32 v4, 31, v4
	v_and_b32_e32 v72, exec_lo, v72
	v_xor_b32_e32 v211, vcc_hi, v4
	v_xor_b32_e32 v4, vcc_lo, v4
	v_and_b32_e32 v72, v72, v4
	v_lshlrev_b32_e32 v4, 29, v71
	v_cmp_gt_i64_e32 vcc, 0, v[3:4]
	v_not_b32_e32 v4, v4
	v_ashrrev_i32_e32 v4, 31, v4
	v_and_b32_e32 v74, v74, v211
	v_xor_b32_e32 v211, vcc_hi, v4
	v_xor_b32_e32 v4, vcc_lo, v4
	v_and_b32_e32 v72, v72, v4
	v_lshlrev_b32_e32 v4, 28, v71
	v_cmp_gt_i64_e32 vcc, 0, v[3:4]
	v_not_b32_e32 v4, v4
	v_ashrrev_i32_e32 v4, 31, v4
	v_and_b32_e32 v74, v74, v211
	;; [unrolled: 8-line block ×5, first 2 shown]
	v_xor_b32_e32 v211, vcc_hi, v4
	v_xor_b32_e32 v4, vcc_lo, v4
	v_and_b32_e32 v74, v74, v211
	v_and_b32_e32 v211, v72, v4
	v_lshlrev_b32_e32 v4, 24, v71
	v_cmp_gt_i64_e32 vcc, 0, v[3:4]
	v_not_b32_e32 v4, v4
	v_ashrrev_i32_e32 v4, 31, v4
	v_mul_u32_u24_e32 v73, 20, v71
	v_xor_b32_e32 v71, vcc_hi, v4
	v_xor_b32_e32 v4, vcc_lo, v4
	v_and_b32_e32 v72, v74, v71
	v_and_b32_e32 v71, v211, v4
	v_mbcnt_lo_u32_b32 v4, v71, 0
	v_mbcnt_hi_u32_b32 v211, v72, v4
	v_cmp_ne_u64_e32 vcc, 0, v[71:72]
	v_cmp_eq_u32_e64 s[38:39], 0, v211
	s_and_b64 s[40:41], vcc, s[38:39]
	v_add_u32_e32 v213, v174, v73
	; wave barrier
	s_and_saveexec_b64 s[38:39], s[40:41]
	s_cbranch_execz .LBB1226_156
; %bb.155:                              ;   in Loop: Header=BB1226_96 Depth=2
	v_bcnt_u32_b32 v4, v71, 0
	v_bcnt_u32_b32 v4, v72, v4
	s_waitcnt lgkmcnt(0)
	v_add_u32_e32 v4, v209, v4
	ds_write_b32 v213, v4 offset:1040
.LBB1226_156:                           ;   in Loop: Header=BB1226_96 Depth=2
	s_or_b64 exec, exec, s[38:39]
	v_cmp_lt_i64_e32 vcc, -1, v[53:54]
	v_ashrrev_i32_e32 v71, 31, v54
	v_cndmask_b32_e32 v4, -1, v135, vcc
	v_xor_b32_e32 v54, v4, v54
	v_xor_b32_e32 v53, v71, v53
	v_cmp_ne_u64_e32 vcc, s[82:83], v[53:54]
	v_cndmask_b32_e32 v72, v135, v54, vcc
	v_cndmask_b32_e32 v71, 0, v53, vcc
	v_lshrrev_b64 v[71:72], s88, v[71:72]
	; wave barrier
	v_and_b32_e32 v71, s97, v71
	v_mad_u32_u24 v4, v71, 20, v174
	ds_read_b32 v212, v4 offset:1040
	v_and_b32_e32 v4, 1, v71
	v_add_co_u32_e32 v72, vcc, -1, v4
	v_addc_co_u32_e64 v74, s[38:39], 0, -1, vcc
	v_cmp_ne_u32_e32 vcc, 0, v4
	v_xor_b32_e32 v4, vcc_hi, v74
	v_and_b32_e32 v74, exec_hi, v4
	v_lshlrev_b32_e32 v4, 30, v71
	v_xor_b32_e32 v72, vcc_lo, v72
	v_cmp_gt_i64_e32 vcc, 0, v[3:4]
	v_not_b32_e32 v4, v4
	v_ashrrev_i32_e32 v4, 31, v4
	v_and_b32_e32 v72, exec_lo, v72
	v_xor_b32_e32 v214, vcc_hi, v4
	v_xor_b32_e32 v4, vcc_lo, v4
	v_and_b32_e32 v72, v72, v4
	v_lshlrev_b32_e32 v4, 29, v71
	v_cmp_gt_i64_e32 vcc, 0, v[3:4]
	v_not_b32_e32 v4, v4
	v_ashrrev_i32_e32 v4, 31, v4
	v_and_b32_e32 v74, v74, v214
	v_xor_b32_e32 v214, vcc_hi, v4
	v_xor_b32_e32 v4, vcc_lo, v4
	v_and_b32_e32 v72, v72, v4
	v_lshlrev_b32_e32 v4, 28, v71
	v_cmp_gt_i64_e32 vcc, 0, v[3:4]
	v_not_b32_e32 v4, v4
	v_ashrrev_i32_e32 v4, 31, v4
	v_and_b32_e32 v74, v74, v214
	;; [unrolled: 8-line block ×5, first 2 shown]
	v_xor_b32_e32 v214, vcc_hi, v4
	v_xor_b32_e32 v4, vcc_lo, v4
	v_and_b32_e32 v74, v74, v214
	v_and_b32_e32 v214, v72, v4
	v_lshlrev_b32_e32 v4, 24, v71
	v_cmp_gt_i64_e32 vcc, 0, v[3:4]
	v_not_b32_e32 v4, v4
	v_ashrrev_i32_e32 v4, 31, v4
	v_mul_u32_u24_e32 v73, 20, v71
	v_xor_b32_e32 v71, vcc_hi, v4
	v_xor_b32_e32 v4, vcc_lo, v4
	v_and_b32_e32 v72, v74, v71
	v_and_b32_e32 v71, v214, v4
	v_mbcnt_lo_u32_b32 v4, v71, 0
	v_mbcnt_hi_u32_b32 v214, v72, v4
	v_cmp_ne_u64_e32 vcc, 0, v[71:72]
	v_cmp_eq_u32_e64 s[38:39], 0, v214
	s_and_b64 s[40:41], vcc, s[38:39]
	v_add_u32_e32 v216, v174, v73
	; wave barrier
	s_and_saveexec_b64 s[38:39], s[40:41]
	s_cbranch_execz .LBB1226_158
; %bb.157:                              ;   in Loop: Header=BB1226_96 Depth=2
	v_bcnt_u32_b32 v4, v71, 0
	v_bcnt_u32_b32 v4, v72, v4
	s_waitcnt lgkmcnt(0)
	v_add_u32_e32 v4, v212, v4
	ds_write_b32 v216, v4 offset:1040
.LBB1226_158:                           ;   in Loop: Header=BB1226_96 Depth=2
	s_or_b64 exec, exec, s[38:39]
	v_cmp_lt_i64_e32 vcc, -1, v[49:50]
	v_ashrrev_i32_e32 v71, 31, v50
	v_cndmask_b32_e32 v4, -1, v135, vcc
	v_xor_b32_e32 v50, v4, v50
	v_xor_b32_e32 v49, v71, v49
	v_cmp_ne_u64_e32 vcc, s[82:83], v[49:50]
	v_cndmask_b32_e32 v72, v135, v50, vcc
	v_cndmask_b32_e32 v71, 0, v49, vcc
	v_lshrrev_b64 v[71:72], s88, v[71:72]
	; wave barrier
	v_and_b32_e32 v71, s97, v71
	v_mad_u32_u24 v4, v71, 20, v174
	ds_read_b32 v215, v4 offset:1040
	v_and_b32_e32 v4, 1, v71
	v_add_co_u32_e32 v72, vcc, -1, v4
	v_addc_co_u32_e64 v74, s[38:39], 0, -1, vcc
	v_cmp_ne_u32_e32 vcc, 0, v4
	v_xor_b32_e32 v4, vcc_hi, v74
	v_and_b32_e32 v74, exec_hi, v4
	v_lshlrev_b32_e32 v4, 30, v71
	v_xor_b32_e32 v72, vcc_lo, v72
	v_cmp_gt_i64_e32 vcc, 0, v[3:4]
	v_not_b32_e32 v4, v4
	v_ashrrev_i32_e32 v4, 31, v4
	v_and_b32_e32 v72, exec_lo, v72
	v_xor_b32_e32 v217, vcc_hi, v4
	v_xor_b32_e32 v4, vcc_lo, v4
	v_and_b32_e32 v72, v72, v4
	v_lshlrev_b32_e32 v4, 29, v71
	v_cmp_gt_i64_e32 vcc, 0, v[3:4]
	v_not_b32_e32 v4, v4
	v_ashrrev_i32_e32 v4, 31, v4
	v_and_b32_e32 v74, v74, v217
	v_xor_b32_e32 v217, vcc_hi, v4
	v_xor_b32_e32 v4, vcc_lo, v4
	v_and_b32_e32 v72, v72, v4
	v_lshlrev_b32_e32 v4, 28, v71
	v_cmp_gt_i64_e32 vcc, 0, v[3:4]
	v_not_b32_e32 v4, v4
	v_ashrrev_i32_e32 v4, 31, v4
	v_and_b32_e32 v74, v74, v217
	;; [unrolled: 8-line block ×5, first 2 shown]
	v_xor_b32_e32 v217, vcc_hi, v4
	v_xor_b32_e32 v4, vcc_lo, v4
	v_and_b32_e32 v74, v74, v217
	v_and_b32_e32 v217, v72, v4
	v_lshlrev_b32_e32 v4, 24, v71
	v_cmp_gt_i64_e32 vcc, 0, v[3:4]
	v_not_b32_e32 v4, v4
	v_ashrrev_i32_e32 v4, 31, v4
	v_mul_u32_u24_e32 v73, 20, v71
	v_xor_b32_e32 v71, vcc_hi, v4
	v_xor_b32_e32 v4, vcc_lo, v4
	v_and_b32_e32 v72, v74, v71
	v_and_b32_e32 v71, v217, v4
	v_mbcnt_lo_u32_b32 v4, v71, 0
	v_mbcnt_hi_u32_b32 v217, v72, v4
	v_cmp_ne_u64_e32 vcc, 0, v[71:72]
	v_cmp_eq_u32_e64 s[38:39], 0, v217
	s_and_b64 s[40:41], vcc, s[38:39]
	v_add_u32_e32 v219, v174, v73
	; wave barrier
	s_and_saveexec_b64 s[38:39], s[40:41]
	s_cbranch_execz .LBB1226_160
; %bb.159:                              ;   in Loop: Header=BB1226_96 Depth=2
	v_bcnt_u32_b32 v4, v71, 0
	v_bcnt_u32_b32 v4, v72, v4
	s_waitcnt lgkmcnt(0)
	v_add_u32_e32 v4, v215, v4
	ds_write_b32 v219, v4 offset:1040
.LBB1226_160:                           ;   in Loop: Header=BB1226_96 Depth=2
	s_or_b64 exec, exec, s[38:39]
	v_cmp_lt_i64_e32 vcc, -1, v[43:44]
	v_ashrrev_i32_e32 v71, 31, v44
	v_cndmask_b32_e32 v4, -1, v135, vcc
	v_xor_b32_e32 v44, v4, v44
	v_xor_b32_e32 v43, v71, v43
	v_cmp_ne_u64_e32 vcc, s[82:83], v[43:44]
	v_cndmask_b32_e32 v72, v135, v44, vcc
	v_cndmask_b32_e32 v71, 0, v43, vcc
	v_lshrrev_b64 v[71:72], s88, v[71:72]
	; wave barrier
	v_and_b32_e32 v71, s97, v71
	v_mad_u32_u24 v4, v71, 20, v174
	ds_read_b32 v218, v4 offset:1040
	v_and_b32_e32 v4, 1, v71
	v_add_co_u32_e32 v72, vcc, -1, v4
	v_addc_co_u32_e64 v74, s[38:39], 0, -1, vcc
	v_cmp_ne_u32_e32 vcc, 0, v4
	v_xor_b32_e32 v4, vcc_hi, v74
	v_and_b32_e32 v74, exec_hi, v4
	v_lshlrev_b32_e32 v4, 30, v71
	v_xor_b32_e32 v72, vcc_lo, v72
	v_cmp_gt_i64_e32 vcc, 0, v[3:4]
	v_not_b32_e32 v4, v4
	v_ashrrev_i32_e32 v4, 31, v4
	v_and_b32_e32 v72, exec_lo, v72
	v_xor_b32_e32 v220, vcc_hi, v4
	v_xor_b32_e32 v4, vcc_lo, v4
	v_and_b32_e32 v72, v72, v4
	v_lshlrev_b32_e32 v4, 29, v71
	v_cmp_gt_i64_e32 vcc, 0, v[3:4]
	v_not_b32_e32 v4, v4
	v_ashrrev_i32_e32 v4, 31, v4
	v_and_b32_e32 v74, v74, v220
	v_xor_b32_e32 v220, vcc_hi, v4
	v_xor_b32_e32 v4, vcc_lo, v4
	v_and_b32_e32 v72, v72, v4
	v_lshlrev_b32_e32 v4, 28, v71
	v_cmp_gt_i64_e32 vcc, 0, v[3:4]
	v_not_b32_e32 v4, v4
	v_ashrrev_i32_e32 v4, 31, v4
	v_and_b32_e32 v74, v74, v220
	;; [unrolled: 8-line block ×5, first 2 shown]
	v_xor_b32_e32 v220, vcc_hi, v4
	v_xor_b32_e32 v4, vcc_lo, v4
	v_and_b32_e32 v74, v74, v220
	v_and_b32_e32 v220, v72, v4
	v_lshlrev_b32_e32 v4, 24, v71
	v_cmp_gt_i64_e32 vcc, 0, v[3:4]
	v_not_b32_e32 v4, v4
	v_ashrrev_i32_e32 v4, 31, v4
	v_mul_u32_u24_e32 v73, 20, v71
	v_xor_b32_e32 v71, vcc_hi, v4
	v_xor_b32_e32 v4, vcc_lo, v4
	v_and_b32_e32 v72, v74, v71
	v_and_b32_e32 v71, v220, v4
	v_mbcnt_lo_u32_b32 v4, v71, 0
	v_mbcnt_hi_u32_b32 v220, v72, v4
	v_cmp_ne_u64_e32 vcc, 0, v[71:72]
	v_cmp_eq_u32_e64 s[38:39], 0, v220
	s_and_b64 s[40:41], vcc, s[38:39]
	v_add_u32_e32 v222, v174, v73
	; wave barrier
	s_and_saveexec_b64 s[38:39], s[40:41]
	s_cbranch_execz .LBB1226_162
; %bb.161:                              ;   in Loop: Header=BB1226_96 Depth=2
	v_bcnt_u32_b32 v4, v71, 0
	v_bcnt_u32_b32 v4, v72, v4
	s_waitcnt lgkmcnt(0)
	v_add_u32_e32 v4, v218, v4
	ds_write_b32 v222, v4 offset:1040
.LBB1226_162:                           ;   in Loop: Header=BB1226_96 Depth=2
	s_or_b64 exec, exec, s[38:39]
	v_cmp_lt_i64_e32 vcc, -1, v[45:46]
	v_ashrrev_i32_e32 v71, 31, v46
	v_cndmask_b32_e32 v4, -1, v135, vcc
	v_xor_b32_e32 v46, v4, v46
	v_xor_b32_e32 v45, v71, v45
	v_cmp_ne_u64_e32 vcc, s[82:83], v[45:46]
	v_cndmask_b32_e32 v72, v135, v46, vcc
	v_cndmask_b32_e32 v71, 0, v45, vcc
	v_lshrrev_b64 v[71:72], s88, v[71:72]
	; wave barrier
	v_and_b32_e32 v71, s97, v71
	v_mad_u32_u24 v4, v71, 20, v174
	ds_read_b32 v221, v4 offset:1040
	v_and_b32_e32 v4, 1, v71
	v_add_co_u32_e32 v72, vcc, -1, v4
	v_addc_co_u32_e64 v74, s[38:39], 0, -1, vcc
	v_cmp_ne_u32_e32 vcc, 0, v4
	v_xor_b32_e32 v4, vcc_hi, v74
	v_and_b32_e32 v74, exec_hi, v4
	v_lshlrev_b32_e32 v4, 30, v71
	v_xor_b32_e32 v72, vcc_lo, v72
	v_cmp_gt_i64_e32 vcc, 0, v[3:4]
	v_not_b32_e32 v4, v4
	v_ashrrev_i32_e32 v4, 31, v4
	v_and_b32_e32 v72, exec_lo, v72
	v_xor_b32_e32 v223, vcc_hi, v4
	v_xor_b32_e32 v4, vcc_lo, v4
	v_and_b32_e32 v72, v72, v4
	v_lshlrev_b32_e32 v4, 29, v71
	v_cmp_gt_i64_e32 vcc, 0, v[3:4]
	v_not_b32_e32 v4, v4
	v_ashrrev_i32_e32 v4, 31, v4
	v_and_b32_e32 v74, v74, v223
	v_xor_b32_e32 v223, vcc_hi, v4
	v_xor_b32_e32 v4, vcc_lo, v4
	v_and_b32_e32 v72, v72, v4
	v_lshlrev_b32_e32 v4, 28, v71
	v_cmp_gt_i64_e32 vcc, 0, v[3:4]
	v_not_b32_e32 v4, v4
	v_ashrrev_i32_e32 v4, 31, v4
	v_and_b32_e32 v74, v74, v223
	;; [unrolled: 8-line block ×5, first 2 shown]
	v_xor_b32_e32 v223, vcc_hi, v4
	v_xor_b32_e32 v4, vcc_lo, v4
	v_and_b32_e32 v74, v74, v223
	v_and_b32_e32 v223, v72, v4
	v_lshlrev_b32_e32 v4, 24, v71
	v_cmp_gt_i64_e32 vcc, 0, v[3:4]
	v_not_b32_e32 v4, v4
	v_ashrrev_i32_e32 v4, 31, v4
	v_mul_u32_u24_e32 v73, 20, v71
	v_xor_b32_e32 v71, vcc_hi, v4
	v_xor_b32_e32 v4, vcc_lo, v4
	v_and_b32_e32 v72, v74, v71
	v_and_b32_e32 v71, v223, v4
	v_mbcnt_lo_u32_b32 v4, v71, 0
	v_mbcnt_hi_u32_b32 v223, v72, v4
	v_cmp_ne_u64_e32 vcc, 0, v[71:72]
	v_cmp_eq_u32_e64 s[38:39], 0, v223
	s_and_b64 s[40:41], vcc, s[38:39]
	v_add_u32_e32 v4, v174, v73
	; wave barrier
	s_and_saveexec_b64 s[38:39], s[40:41]
	s_cbranch_execz .LBB1226_164
; %bb.163:                              ;   in Loop: Header=BB1226_96 Depth=2
	v_bcnt_u32_b32 v71, v71, 0
	v_bcnt_u32_b32 v71, v72, v71
	s_waitcnt lgkmcnt(0)
	v_add_u32_e32 v71, v221, v71
	ds_write_b32 v4, v71 offset:1040
.LBB1226_164:                           ;   in Loop: Header=BB1226_96 Depth=2
	s_or_b64 exec, exec, s[38:39]
	; wave barrier
	s_waitcnt lgkmcnt(0)
	s_barrier
	ds_read2_b32 v[73:74], v177 offset1:1
	ds_read2_b32 v[71:72], v176 offset1:1
	ds_read_b32 v224, v100 offset:1056
	s_waitcnt lgkmcnt(1)
	v_add3_u32 v225, v74, v73, v71
	s_waitcnt lgkmcnt(0)
	v_add3_u32 v224, v225, v72, v224
	s_nop 1
	v_mov_b32_dpp v225, v224 row_shr:1 row_mask:0xf bank_mask:0xf
	v_cndmask_b32_e64 v225, v225, 0, s[18:19]
	v_add_u32_e32 v224, v225, v224
	s_nop 1
	v_mov_b32_dpp v225, v224 row_shr:2 row_mask:0xf bank_mask:0xf
	v_cndmask_b32_e64 v225, 0, v225, s[20:21]
	v_add_u32_e32 v224, v224, v225
	;; [unrolled: 4-line block ×4, first 2 shown]
	s_nop 1
	v_mov_b32_dpp v225, v224 row_bcast:15 row_mask:0xf bank_mask:0xf
	v_cndmask_b32_e64 v225, v225, 0, s[26:27]
	v_add_u32_e32 v224, v224, v225
	s_nop 1
	v_mov_b32_dpp v225, v224 row_bcast:31 row_mask:0xf bank_mask:0xf
	v_cndmask_b32_e64 v225, 0, v225, s[28:29]
	v_add_u32_e32 v224, v224, v225
	s_and_saveexec_b64 s[38:39], s[8:9]
; %bb.165:                              ;   in Loop: Header=BB1226_96 Depth=2
	ds_write_b32 v95, v224 offset:1024
; %bb.166:                              ;   in Loop: Header=BB1226_96 Depth=2
	s_or_b64 exec, exec, s[38:39]
	s_waitcnt lgkmcnt(0)
	s_barrier
	s_and_saveexec_b64 s[38:39], s[10:11]
	s_cbranch_execz .LBB1226_168
; %bb.167:                              ;   in Loop: Header=BB1226_96 Depth=2
	ds_read_b32 v225, v101 offset:1024
	s_waitcnt lgkmcnt(0)
	s_nop 0
	v_mov_b32_dpp v226, v225 row_shr:1 row_mask:0xf bank_mask:0xf
	v_cndmask_b32_e64 v226, v226, 0, s[34:35]
	v_add_u32_e32 v225, v226, v225
	s_nop 1
	v_mov_b32_dpp v226, v225 row_shr:2 row_mask:0xf bank_mask:0xf
	v_cndmask_b32_e64 v226, 0, v226, s[36:37]
	v_add_u32_e32 v225, v225, v226
	ds_write_b32 v101, v225 offset:1024
.LBB1226_168:                           ;   in Loop: Header=BB1226_96 Depth=2
	s_or_b64 exec, exec, s[38:39]
	v_mov_b32_e32 v225, 0
	s_waitcnt lgkmcnt(0)
	s_barrier
	s_and_saveexec_b64 s[38:39], s[12:13]
; %bb.169:                              ;   in Loop: Header=BB1226_96 Depth=2
	ds_read_b32 v225, v95 offset:1020
; %bb.170:                              ;   in Loop: Header=BB1226_96 Depth=2
	s_or_b64 exec, exec, s[38:39]
	s_waitcnt lgkmcnt(0)
	v_add_u32_e32 v224, v225, v224
	ds_bpermute_b32 v224, v137, v224
	s_waitcnt lgkmcnt(0)
	v_cndmask_b32_e64 v224, v224, v225, s[30:31]
	v_cndmask_b32_e64 v224, v224, 0, s[14:15]
	v_add_u32_e32 v73, v224, v73
	v_add_u32_e32 v74, v73, v74
	;; [unrolled: 1-line block ×4, first 2 shown]
	ds_write2_b32 v177, v224, v73 offset1:1
	ds_write2_b32 v176, v74, v71 offset1:1
	ds_write_b32 v100, v72 offset:1056
	s_waitcnt lgkmcnt(0)
	s_barrier
	ds_read_b32 v71, v180 offset:1040
	ds_read_b32 v72, v183 offset:1040
	;; [unrolled: 1-line block ×17, first 2 shown]
	v_mov_b32_e32 v4, 0x1000
	s_and_saveexec_b64 s[38:39], s[16:17]
; %bb.171:                              ;   in Loop: Header=BB1226_96 Depth=2
	ds_read_b32 v4, v100 offset:1060
; %bb.172:                              ;   in Loop: Header=BB1226_96 Depth=2
	s_or_b64 exec, exec, s[38:39]
	s_waitcnt lgkmcnt(0)
	s_barrier
	s_and_saveexec_b64 s[38:39], s[4:5]
	s_cbranch_execz .LBB1226_174
; %bb.173:                              ;   in Loop: Header=BB1226_96 Depth=2
	ds_read_b32 v201, v75
	s_waitcnt lgkmcnt(0)
	v_sub_u32_e32 v198, v201, v198
	ds_write_b32 v75, v198
.LBB1226_174:                           ;   in Loop: Header=BB1226_96 Depth=2
	s_or_b64 exec, exec, s[38:39]
	v_lshlrev_b32_e32 v178, 3, v178
	v_lshl_add_u32 v71, v71, 3, v178
	ds_write_b64 v71, v[39:40] offset:1024
	v_lshlrev_b32_e32 v39, 3, v181
	v_lshlrev_b32_e32 v40, 3, v179
	;; [unrolled: 1-line block ×3, first 2 shown]
	v_add3_u32 v72, v39, v40, v72
	ds_write_b64 v72, v[41:42] offset:1024
	v_lshlrev_b32_e32 v39, 3, v184
	v_lshlrev_b32_e32 v40, 3, v182
	v_lshlrev_b32_e32 v41, 3, v227
	v_add3_u32 v41, v39, v40, v41
	v_lshlrev_b32_e32 v39, 3, v187
	v_lshlrev_b32_e32 v40, 3, v185
	v_lshlrev_b32_e32 v42, 3, v226
	ds_write_b64 v41, v[47:48] offset:1024
	v_add3_u32 v42, v39, v40, v42
	v_lshlrev_b32_e32 v39, 3, v190
	v_lshlrev_b32_e32 v40, 3, v188
	v_lshlrev_b32_e32 v47, 3, v225
	v_add3_u32 v47, v39, v40, v47
	v_lshlrev_b32_e32 v39, 3, v193
	v_lshlrev_b32_e32 v40, 3, v191
	v_lshlrev_b32_e32 v48, 3, v224
	ds_write_b64 v42, v[51:52] offset:1024
	v_add3_u32 v48, v39, v40, v48
	;; [unrolled: 9-line block ×4, first 2 shown]
	v_lshlrev_b32_e32 v39, 3, v208
	v_lshlrev_b32_e32 v40, 3, v206
	;; [unrolled: 1-line block ×3, first 2 shown]
	v_add3_u32 v59, v39, v40, v59
	v_lshlrev_b32_e32 v39, 3, v211
	v_lshlrev_b32_e32 v40, 3, v209
	;; [unrolled: 1-line block ×3, first 2 shown]
	v_add3_u32 v60, v39, v40, v60
	ds_write_b64 v51, v[63:64] offset:1024
	ds_write_b64 v52, v[67:68] offset:1024
	;; [unrolled: 1-line block ×6, first 2 shown]
	v_lshlrev_b32_e32 v39, 3, v214
	v_lshlrev_b32_e32 v40, 3, v212
	v_lshlrev_b32_e32 v57, 3, v177
	v_add3_u32 v57, v39, v40, v57
	ds_write_b64 v57, v[53:54] offset:1024
	v_lshlrev_b32_e32 v39, 3, v217
	v_lshlrev_b32_e32 v40, 3, v215
	v_lshlrev_b32_e32 v53, 3, v176
	v_add3_u32 v53, v39, v40, v53
	ds_write_b64 v53, v[49:50] offset:1024
	;; [unrolled: 5-line block ×3, first 2 shown]
	v_lshlrev_b32_e32 v39, 3, v223
	v_lshlrev_b32_e32 v40, 3, v221
	;; [unrolled: 1-line block ×3, first 2 shown]
	v_add3_u32 v43, v39, v40, v43
	v_cmp_lt_u32_e64 s[38:39], v0, v175
	ds_write_b64 v43, v[45:46] offset:1024
	s_waitcnt lgkmcnt(0)
	s_barrier
	s_and_saveexec_b64 s[40:41], s[38:39]
	s_cbranch_execnz .LBB1226_243
; %bb.175:                              ;   in Loop: Header=BB1226_96 Depth=2
	s_or_b64 exec, exec, s[40:41]
	v_cmp_lt_u32_e64 s[40:41], v76, v175
	s_and_saveexec_b64 s[42:43], s[40:41]
	s_cbranch_execnz .LBB1226_244
.LBB1226_176:                           ;   in Loop: Header=BB1226_96 Depth=2
	s_or_b64 exec, exec, s[42:43]
	v_cmp_lt_u32_e64 s[42:43], v77, v175
	s_and_saveexec_b64 s[44:45], s[42:43]
	s_cbranch_execnz .LBB1226_245
.LBB1226_177:                           ;   in Loop: Header=BB1226_96 Depth=2
	s_or_b64 exec, exec, s[44:45]
	v_cmp_lt_u32_e64 s[44:45], v78, v175
	s_and_saveexec_b64 s[46:47], s[44:45]
	s_cbranch_execnz .LBB1226_246
.LBB1226_178:                           ;   in Loop: Header=BB1226_96 Depth=2
	s_or_b64 exec, exec, s[46:47]
	v_cmp_lt_u32_e64 s[46:47], v81, v175
	s_and_saveexec_b64 s[48:49], s[46:47]
	s_cbranch_execnz .LBB1226_247
.LBB1226_179:                           ;   in Loop: Header=BB1226_96 Depth=2
	s_or_b64 exec, exec, s[48:49]
	v_cmp_lt_u32_e64 s[48:49], v82, v175
	s_and_saveexec_b64 s[50:51], s[48:49]
	s_cbranch_execnz .LBB1226_248
.LBB1226_180:                           ;   in Loop: Header=BB1226_96 Depth=2
	s_or_b64 exec, exec, s[50:51]
	v_cmp_lt_u32_e64 s[50:51], v83, v175
	s_and_saveexec_b64 s[52:53], s[50:51]
	s_cbranch_execnz .LBB1226_249
.LBB1226_181:                           ;   in Loop: Header=BB1226_96 Depth=2
	s_or_b64 exec, exec, s[52:53]
	v_cmp_lt_u32_e64 s[52:53], v84, v175
	s_and_saveexec_b64 s[54:55], s[52:53]
	s_cbranch_execnz .LBB1226_250
.LBB1226_182:                           ;   in Loop: Header=BB1226_96 Depth=2
	s_or_b64 exec, exec, s[54:55]
	v_cmp_lt_u32_e64 s[54:55], v85, v175
	s_and_saveexec_b64 s[56:57], s[54:55]
	s_cbranch_execnz .LBB1226_251
.LBB1226_183:                           ;   in Loop: Header=BB1226_96 Depth=2
	s_or_b64 exec, exec, s[56:57]
	v_cmp_lt_u32_e64 s[56:57], v86, v175
	s_and_saveexec_b64 s[58:59], s[56:57]
	s_cbranch_execnz .LBB1226_252
.LBB1226_184:                           ;   in Loop: Header=BB1226_96 Depth=2
	s_or_b64 exec, exec, s[58:59]
	v_cmp_lt_u32_e64 s[58:59], v87, v175
	s_and_saveexec_b64 s[60:61], s[58:59]
	s_cbranch_execnz .LBB1226_253
.LBB1226_185:                           ;   in Loop: Header=BB1226_96 Depth=2
	s_or_b64 exec, exec, s[60:61]
	v_cmp_lt_u32_e64 s[60:61], v88, v175
	s_and_saveexec_b64 s[62:63], s[60:61]
	s_cbranch_execnz .LBB1226_254
.LBB1226_186:                           ;   in Loop: Header=BB1226_96 Depth=2
	s_or_b64 exec, exec, s[62:63]
	v_cmp_lt_u32_e64 s[62:63], v89, v175
	s_and_saveexec_b64 s[64:65], s[62:63]
	s_cbranch_execnz .LBB1226_255
.LBB1226_187:                           ;   in Loop: Header=BB1226_96 Depth=2
	s_or_b64 exec, exec, s[64:65]
	v_cmp_lt_u32_e64 s[64:65], v90, v175
	s_and_saveexec_b64 s[66:67], s[64:65]
	s_cbranch_execnz .LBB1226_256
.LBB1226_188:                           ;   in Loop: Header=BB1226_96 Depth=2
	s_or_b64 exec, exec, s[66:67]
	v_cmp_lt_u32_e64 s[66:67], v91, v175
	s_and_saveexec_b64 s[68:69], s[66:67]
	s_cbranch_execnz .LBB1226_257
.LBB1226_189:                           ;   in Loop: Header=BB1226_96 Depth=2
	s_or_b64 exec, exec, s[68:69]
	v_cmp_lt_u32_e64 s[68:69], v92, v175
	s_and_saveexec_b64 s[92:93], s[68:69]
	s_cbranch_execz .LBB1226_191
.LBB1226_190:                           ;   in Loop: Header=BB1226_96 Depth=2
	ds_read_b64 v[39:40], v106 offset:31744
	v_mov_b32_e32 v45, v3
	v_mov_b32_e32 v46, s79
	s_waitcnt lgkmcnt(0)
	v_cmp_ne_u64_e32 vcc, s[82:83], v[39:40]
	v_ashrrev_i32_e32 v54, 31, v40
	v_cndmask_b32_e32 v62, v135, v40, vcc
	v_cndmask_b32_e32 v61, 0, v39, vcc
	v_lshrrev_b64 v[61:62], s88, v[61:62]
	v_cmp_lt_i64_e32 vcc, -1, v[39:40]
	v_and_b32_e32 v50, s97, v61
	v_lshlrev_b32_e32 v50, 2, v50
	ds_read_b32 v50, v50
	v_cndmask_b32_e64 v44, v135, -1, vcc
	v_xor_b32_e32 v40, v44, v40
	v_not_b32_e32 v54, v54
	v_xor_b32_e32 v39, v54, v39
	s_waitcnt lgkmcnt(0)
	v_add_u32_e32 v44, v50, v92
	v_lshlrev_b64 v[44:45], 3, v[44:45]
	v_add_co_u32_e32 v44, vcc, s78, v44
	v_addc_co_u32_e32 v45, vcc, v46, v45, vcc
	global_store_dwordx2 v[44:45], v[39:40], off
.LBB1226_191:                           ;   in Loop: Header=BB1226_96 Depth=2
	s_or_b64 exec, exec, s[92:93]
	s_lshl_b64 s[92:93], s[72:73], 3
	v_mov_b32_e32 v40, s93
	v_add_co_u32_e32 v39, vcc, s92, v147
	v_addc_co_u32_e32 v40, vcc, v149, v40, vcc
	v_cmp_lt_u32_e32 vcc, v145, v175
	s_and_saveexec_b64 s[92:93], vcc
	s_xor_b64 s[92:93], exec, s[92:93]
	s_cbranch_execnz .LBB1226_258
; %bb.192:                              ;   in Loop: Header=BB1226_96 Depth=2
	s_or_b64 exec, exec, s[92:93]
	v_cmp_lt_u32_e32 vcc, v151, v175
	s_and_saveexec_b64 s[92:93], vcc
	s_cbranch_execnz .LBB1226_259
.LBB1226_193:                           ;   in Loop: Header=BB1226_96 Depth=2
	s_or_b64 exec, exec, s[92:93]
	v_cmp_lt_u32_e32 vcc, v153, v175
	s_and_saveexec_b64 s[92:93], vcc
	s_cbranch_execnz .LBB1226_260
.LBB1226_194:                           ;   in Loop: Header=BB1226_96 Depth=2
	s_or_b64 exec, exec, s[92:93]
	v_cmp_lt_u32_e32 vcc, v155, v175
	s_and_saveexec_b64 s[92:93], vcc
	s_cbranch_execnz .LBB1226_261
.LBB1226_195:                           ;   in Loop: Header=BB1226_96 Depth=2
	s_or_b64 exec, exec, s[92:93]
	v_cmp_lt_u32_e32 vcc, v157, v175
	s_and_saveexec_b64 s[92:93], vcc
	s_cbranch_execnz .LBB1226_262
.LBB1226_196:                           ;   in Loop: Header=BB1226_96 Depth=2
	s_or_b64 exec, exec, s[92:93]
	v_cmp_lt_u32_e32 vcc, v159, v175
	s_and_saveexec_b64 s[92:93], vcc
	s_cbranch_execnz .LBB1226_263
.LBB1226_197:                           ;   in Loop: Header=BB1226_96 Depth=2
	s_or_b64 exec, exec, s[92:93]
	v_cmp_lt_u32_e32 vcc, v161, v175
	s_and_saveexec_b64 s[92:93], vcc
	s_cbranch_execnz .LBB1226_264
.LBB1226_198:                           ;   in Loop: Header=BB1226_96 Depth=2
	s_or_b64 exec, exec, s[92:93]
	v_cmp_lt_u32_e32 vcc, v163, v175
	s_and_saveexec_b64 s[92:93], vcc
	s_cbranch_execnz .LBB1226_265
.LBB1226_199:                           ;   in Loop: Header=BB1226_96 Depth=2
	s_or_b64 exec, exec, s[92:93]
	v_cmp_lt_u32_e32 vcc, v164, v175
	s_and_saveexec_b64 s[92:93], vcc
	s_cbranch_execnz .LBB1226_266
.LBB1226_200:                           ;   in Loop: Header=BB1226_96 Depth=2
	s_or_b64 exec, exec, s[92:93]
	v_cmp_lt_u32_e32 vcc, v165, v175
	s_and_saveexec_b64 s[92:93], vcc
	s_cbranch_execnz .LBB1226_267
.LBB1226_201:                           ;   in Loop: Header=BB1226_96 Depth=2
	s_or_b64 exec, exec, s[92:93]
	v_cmp_lt_u32_e32 vcc, v166, v175
	s_and_saveexec_b64 s[92:93], vcc
	s_cbranch_execnz .LBB1226_268
.LBB1226_202:                           ;   in Loop: Header=BB1226_96 Depth=2
	s_or_b64 exec, exec, s[92:93]
	v_cmp_lt_u32_e32 vcc, v167, v175
	s_and_saveexec_b64 s[92:93], vcc
	s_cbranch_execnz .LBB1226_269
.LBB1226_203:                           ;   in Loop: Header=BB1226_96 Depth=2
	s_or_b64 exec, exec, s[92:93]
	v_cmp_lt_u32_e32 vcc, v168, v175
	s_and_saveexec_b64 s[92:93], vcc
	s_cbranch_execnz .LBB1226_270
.LBB1226_204:                           ;   in Loop: Header=BB1226_96 Depth=2
	s_or_b64 exec, exec, s[92:93]
	v_cmp_lt_u32_e32 vcc, v169, v175
	s_and_saveexec_b64 s[92:93], vcc
	s_cbranch_execnz .LBB1226_271
.LBB1226_205:                           ;   in Loop: Header=BB1226_96 Depth=2
	s_or_b64 exec, exec, s[92:93]
	v_cmp_lt_u32_e32 vcc, v170, v175
	s_and_saveexec_b64 s[92:93], vcc
	s_cbranch_execnz .LBB1226_272
.LBB1226_206:                           ;   in Loop: Header=BB1226_96 Depth=2
	s_or_b64 exec, exec, s[92:93]
	v_cmp_lt_u32_e32 vcc, v171, v175
	s_and_saveexec_b64 s[92:93], vcc
	s_cbranch_execnz .LBB1226_273
.LBB1226_207:                           ;   in Loop: Header=BB1226_96 Depth=2
	s_or_b64 exec, exec, s[92:93]
	s_and_saveexec_b64 s[92:93], s[38:39]
	s_cbranch_execnz .LBB1226_274
.LBB1226_208:                           ;   in Loop: Header=BB1226_96 Depth=2
	s_or_b64 exec, exec, s[92:93]
	s_and_saveexec_b64 s[92:93], s[40:41]
	s_cbranch_execnz .LBB1226_275
.LBB1226_209:                           ;   in Loop: Header=BB1226_96 Depth=2
	s_or_b64 exec, exec, s[92:93]
	s_and_saveexec_b64 s[92:93], s[42:43]
	s_cbranch_execnz .LBB1226_276
.LBB1226_210:                           ;   in Loop: Header=BB1226_96 Depth=2
	s_or_b64 exec, exec, s[92:93]
	s_and_saveexec_b64 s[92:93], s[44:45]
	s_cbranch_execnz .LBB1226_277
.LBB1226_211:                           ;   in Loop: Header=BB1226_96 Depth=2
	s_or_b64 exec, exec, s[92:93]
	s_and_saveexec_b64 s[92:93], s[46:47]
	s_cbranch_execnz .LBB1226_278
.LBB1226_212:                           ;   in Loop: Header=BB1226_96 Depth=2
	s_or_b64 exec, exec, s[92:93]
	s_and_saveexec_b64 s[92:93], s[48:49]
	s_cbranch_execnz .LBB1226_279
.LBB1226_213:                           ;   in Loop: Header=BB1226_96 Depth=2
	s_or_b64 exec, exec, s[92:93]
	s_and_saveexec_b64 s[92:93], s[50:51]
	s_cbranch_execnz .LBB1226_280
.LBB1226_214:                           ;   in Loop: Header=BB1226_96 Depth=2
	s_or_b64 exec, exec, s[92:93]
	s_and_saveexec_b64 s[92:93], s[52:53]
	s_cbranch_execnz .LBB1226_281
.LBB1226_215:                           ;   in Loop: Header=BB1226_96 Depth=2
	s_or_b64 exec, exec, s[92:93]
	s_and_saveexec_b64 s[92:93], s[54:55]
	s_cbranch_execnz .LBB1226_282
.LBB1226_216:                           ;   in Loop: Header=BB1226_96 Depth=2
	s_or_b64 exec, exec, s[92:93]
	s_and_saveexec_b64 s[92:93], s[56:57]
	s_cbranch_execnz .LBB1226_283
.LBB1226_217:                           ;   in Loop: Header=BB1226_96 Depth=2
	s_or_b64 exec, exec, s[92:93]
	s_and_saveexec_b64 s[92:93], s[58:59]
	s_cbranch_execnz .LBB1226_284
.LBB1226_218:                           ;   in Loop: Header=BB1226_96 Depth=2
	s_or_b64 exec, exec, s[92:93]
	s_and_saveexec_b64 s[92:93], s[60:61]
	s_cbranch_execnz .LBB1226_285
.LBB1226_219:                           ;   in Loop: Header=BB1226_96 Depth=2
	s_or_b64 exec, exec, s[92:93]
	s_and_saveexec_b64 s[92:93], s[62:63]
	s_cbranch_execnz .LBB1226_286
.LBB1226_220:                           ;   in Loop: Header=BB1226_96 Depth=2
	s_or_b64 exec, exec, s[92:93]
	s_and_saveexec_b64 s[92:93], s[64:65]
	s_cbranch_execnz .LBB1226_287
.LBB1226_221:                           ;   in Loop: Header=BB1226_96 Depth=2
	s_or_b64 exec, exec, s[92:93]
	s_and_saveexec_b64 s[92:93], s[66:67]
	s_cbranch_execnz .LBB1226_288
.LBB1226_222:                           ;   in Loop: Header=BB1226_96 Depth=2
	s_or_b64 exec, exec, s[92:93]
	s_and_saveexec_b64 s[92:93], s[68:69]
	s_cbranch_execz .LBB1226_224
.LBB1226_223:                           ;   in Loop: Header=BB1226_96 Depth=2
	ds_read_b64 v[39:40], v106 offset:31744
	s_waitcnt lgkmcnt(0)
	v_cmp_ne_u64_e32 vcc, s[82:83], v[39:40]
	v_cndmask_b32_e32 v40, v135, v40, vcc
	v_cndmask_b32_e32 v39, 0, v39, vcc
	v_lshrrev_b64 v[39:40], s88, v[39:40]
	v_and_b32_e32 v138, s97, v39
.LBB1226_224:                           ;   in Loop: Header=BB1226_96 Depth=2
	s_or_b64 exec, exec, s[92:93]
	s_waitcnt vmcnt(0)
	s_barrier
	ds_write_b64 v71, v[37:38] offset:1024
	ds_write_b64 v72, v[35:36] offset:1024
	;; [unrolled: 1-line block ×16, first 2 shown]
	s_waitcnt lgkmcnt(0)
	s_barrier
	s_and_saveexec_b64 s[92:93], s[38:39]
	s_cbranch_execnz .LBB1226_289
; %bb.225:                              ;   in Loop: Header=BB1226_96 Depth=2
	s_or_b64 exec, exec, s[92:93]
	s_and_saveexec_b64 s[38:39], s[40:41]
	s_cbranch_execnz .LBB1226_290
.LBB1226_226:                           ;   in Loop: Header=BB1226_96 Depth=2
	s_or_b64 exec, exec, s[38:39]
	s_and_saveexec_b64 s[38:39], s[42:43]
	s_cbranch_execnz .LBB1226_291
.LBB1226_227:                           ;   in Loop: Header=BB1226_96 Depth=2
	s_or_b64 exec, exec, s[38:39]
	s_and_saveexec_b64 s[38:39], s[44:45]
	s_cbranch_execnz .LBB1226_292
.LBB1226_228:                           ;   in Loop: Header=BB1226_96 Depth=2
	s_or_b64 exec, exec, s[38:39]
	s_and_saveexec_b64 s[38:39], s[46:47]
	s_cbranch_execnz .LBB1226_293
.LBB1226_229:                           ;   in Loop: Header=BB1226_96 Depth=2
	s_or_b64 exec, exec, s[38:39]
	s_and_saveexec_b64 s[38:39], s[48:49]
	s_cbranch_execnz .LBB1226_294
.LBB1226_230:                           ;   in Loop: Header=BB1226_96 Depth=2
	s_or_b64 exec, exec, s[38:39]
	s_and_saveexec_b64 s[38:39], s[50:51]
	s_cbranch_execnz .LBB1226_295
.LBB1226_231:                           ;   in Loop: Header=BB1226_96 Depth=2
	s_or_b64 exec, exec, s[38:39]
	s_and_saveexec_b64 s[38:39], s[52:53]
	s_cbranch_execnz .LBB1226_296
.LBB1226_232:                           ;   in Loop: Header=BB1226_96 Depth=2
	s_or_b64 exec, exec, s[38:39]
	s_and_saveexec_b64 s[38:39], s[54:55]
	s_cbranch_execnz .LBB1226_297
.LBB1226_233:                           ;   in Loop: Header=BB1226_96 Depth=2
	s_or_b64 exec, exec, s[38:39]
	s_and_saveexec_b64 s[38:39], s[56:57]
	s_cbranch_execnz .LBB1226_298
.LBB1226_234:                           ;   in Loop: Header=BB1226_96 Depth=2
	s_or_b64 exec, exec, s[38:39]
	s_and_saveexec_b64 s[38:39], s[58:59]
	s_cbranch_execnz .LBB1226_299
.LBB1226_235:                           ;   in Loop: Header=BB1226_96 Depth=2
	s_or_b64 exec, exec, s[38:39]
	s_and_saveexec_b64 s[38:39], s[60:61]
	s_cbranch_execnz .LBB1226_300
.LBB1226_236:                           ;   in Loop: Header=BB1226_96 Depth=2
	s_or_b64 exec, exec, s[38:39]
	s_and_saveexec_b64 s[38:39], s[62:63]
	s_cbranch_execnz .LBB1226_301
.LBB1226_237:                           ;   in Loop: Header=BB1226_96 Depth=2
	s_or_b64 exec, exec, s[38:39]
	s_and_saveexec_b64 s[38:39], s[64:65]
	s_cbranch_execnz .LBB1226_302
.LBB1226_238:                           ;   in Loop: Header=BB1226_96 Depth=2
	s_or_b64 exec, exec, s[38:39]
	s_and_saveexec_b64 s[38:39], s[66:67]
	s_cbranch_execnz .LBB1226_303
.LBB1226_239:                           ;   in Loop: Header=BB1226_96 Depth=2
	s_or_b64 exec, exec, s[38:39]
	s_and_saveexec_b64 s[38:39], s[68:69]
	s_cbranch_execz .LBB1226_241
.LBB1226_240:                           ;   in Loop: Header=BB1226_96 Depth=2
	v_lshlrev_b32_e32 v39, 2, v138
	ds_read_b32 v41, v39
	ds_read_b64 v[39:40], v106 offset:31744
	v_mov_b32_e32 v42, v3
	v_mov_b32_e32 v43, s85
	s_waitcnt lgkmcnt(1)
	v_add_u32_e32 v41, v41, v92
	v_lshlrev_b64 v[41:42], 3, v[41:42]
	v_add_co_u32_e32 v41, vcc, s84, v41
	v_addc_co_u32_e32 v42, vcc, v43, v42, vcc
	s_waitcnt lgkmcnt(0)
	global_store_dwordx2 v[41:42], v[39:40], off
.LBB1226_241:                           ;   in Loop: Header=BB1226_96 Depth=2
	s_or_b64 exec, exec, s[38:39]
	s_waitcnt vmcnt(0)
	s_barrier
	s_and_saveexec_b64 s[38:39], s[4:5]
	s_cbranch_execz .LBB1226_95
; %bb.242:                              ;   in Loop: Header=BB1226_96 Depth=2
	ds_read_b32 v39, v75
	s_waitcnt lgkmcnt(0)
	v_add_u32_e32 v4, v39, v4
	ds_write_b32 v75, v4
	s_branch .LBB1226_95
.LBB1226_243:                           ;   in Loop: Header=BB1226_96 Depth=2
	ds_read_b64 v[39:40], v106 offset:1024
	v_mov_b32_e32 v45, v3
	v_mov_b32_e32 v46, s79
	s_waitcnt lgkmcnt(0)
	v_cmp_ne_u64_e32 vcc, s[82:83], v[39:40]
	v_ashrrev_i32_e32 v54, 31, v40
	v_cndmask_b32_e32 v62, v135, v40, vcc
	v_cndmask_b32_e32 v61, 0, v39, vcc
	v_lshrrev_b64 v[61:62], s88, v[61:62]
	v_cmp_lt_i64_e32 vcc, -1, v[39:40]
	v_and_b32_e32 v50, s97, v61
	v_lshlrev_b32_e32 v50, 2, v50
	ds_read_b32 v50, v50
	v_cndmask_b32_e64 v44, v135, -1, vcc
	v_xor_b32_e32 v40, v44, v40
	v_not_b32_e32 v54, v54
	v_xor_b32_e32 v39, v54, v39
	s_waitcnt lgkmcnt(0)
	v_add_u32_e32 v44, v50, v0
	v_lshlrev_b64 v[44:45], 3, v[44:45]
	v_add_co_u32_e32 v44, vcc, s78, v44
	v_addc_co_u32_e32 v45, vcc, v46, v45, vcc
	global_store_dwordx2 v[44:45], v[39:40], off
	s_or_b64 exec, exec, s[40:41]
	v_cmp_lt_u32_e64 s[40:41], v76, v175
	s_and_saveexec_b64 s[42:43], s[40:41]
	s_cbranch_execz .LBB1226_176
.LBB1226_244:                           ;   in Loop: Header=BB1226_96 Depth=2
	ds_read_b64 v[39:40], v106 offset:3072
	v_mov_b32_e32 v45, v3
	v_mov_b32_e32 v46, s79
	s_waitcnt lgkmcnt(0)
	v_cmp_ne_u64_e32 vcc, s[82:83], v[39:40]
	v_ashrrev_i32_e32 v54, 31, v40
	v_cndmask_b32_e32 v62, v135, v40, vcc
	v_cndmask_b32_e32 v61, 0, v39, vcc
	v_lshrrev_b64 v[61:62], s88, v[61:62]
	v_cmp_lt_i64_e32 vcc, -1, v[39:40]
	v_and_b32_e32 v50, s97, v61
	v_lshlrev_b32_e32 v50, 2, v50
	ds_read_b32 v50, v50
	v_cndmask_b32_e64 v44, v135, -1, vcc
	v_xor_b32_e32 v40, v44, v40
	v_not_b32_e32 v54, v54
	v_xor_b32_e32 v39, v54, v39
	s_waitcnt lgkmcnt(0)
	v_add_u32_e32 v44, v50, v76
	v_lshlrev_b64 v[44:45], 3, v[44:45]
	v_add_co_u32_e32 v44, vcc, s78, v44
	v_addc_co_u32_e32 v45, vcc, v46, v45, vcc
	global_store_dwordx2 v[44:45], v[39:40], off
	s_or_b64 exec, exec, s[42:43]
	v_cmp_lt_u32_e64 s[42:43], v77, v175
	s_and_saveexec_b64 s[44:45], s[42:43]
	s_cbranch_execz .LBB1226_177
.LBB1226_245:                           ;   in Loop: Header=BB1226_96 Depth=2
	ds_read_b64 v[39:40], v106 offset:5120
	v_mov_b32_e32 v45, v3
	v_mov_b32_e32 v46, s79
	s_waitcnt lgkmcnt(0)
	v_cmp_ne_u64_e32 vcc, s[82:83], v[39:40]
	v_ashrrev_i32_e32 v54, 31, v40
	v_cndmask_b32_e32 v62, v135, v40, vcc
	v_cndmask_b32_e32 v61, 0, v39, vcc
	v_lshrrev_b64 v[61:62], s88, v[61:62]
	v_cmp_lt_i64_e32 vcc, -1, v[39:40]
	v_and_b32_e32 v50, s97, v61
	v_lshlrev_b32_e32 v50, 2, v50
	ds_read_b32 v50, v50
	v_cndmask_b32_e64 v44, v135, -1, vcc
	v_xor_b32_e32 v40, v44, v40
	v_not_b32_e32 v54, v54
	v_xor_b32_e32 v39, v54, v39
	s_waitcnt lgkmcnt(0)
	v_add_u32_e32 v44, v50, v77
	v_lshlrev_b64 v[44:45], 3, v[44:45]
	v_add_co_u32_e32 v44, vcc, s78, v44
	v_addc_co_u32_e32 v45, vcc, v46, v45, vcc
	global_store_dwordx2 v[44:45], v[39:40], off
	s_or_b64 exec, exec, s[44:45]
	v_cmp_lt_u32_e64 s[44:45], v78, v175
	s_and_saveexec_b64 s[46:47], s[44:45]
	s_cbranch_execz .LBB1226_178
.LBB1226_246:                           ;   in Loop: Header=BB1226_96 Depth=2
	ds_read_b64 v[39:40], v106 offset:7168
	v_mov_b32_e32 v45, v3
	v_mov_b32_e32 v46, s79
	s_waitcnt lgkmcnt(0)
	v_cmp_ne_u64_e32 vcc, s[82:83], v[39:40]
	v_ashrrev_i32_e32 v54, 31, v40
	v_cndmask_b32_e32 v62, v135, v40, vcc
	v_cndmask_b32_e32 v61, 0, v39, vcc
	v_lshrrev_b64 v[61:62], s88, v[61:62]
	v_cmp_lt_i64_e32 vcc, -1, v[39:40]
	v_and_b32_e32 v50, s97, v61
	v_lshlrev_b32_e32 v50, 2, v50
	ds_read_b32 v50, v50
	v_cndmask_b32_e64 v44, v135, -1, vcc
	v_xor_b32_e32 v40, v44, v40
	v_not_b32_e32 v54, v54
	v_xor_b32_e32 v39, v54, v39
	s_waitcnt lgkmcnt(0)
	v_add_u32_e32 v44, v50, v78
	v_lshlrev_b64 v[44:45], 3, v[44:45]
	v_add_co_u32_e32 v44, vcc, s78, v44
	v_addc_co_u32_e32 v45, vcc, v46, v45, vcc
	global_store_dwordx2 v[44:45], v[39:40], off
	s_or_b64 exec, exec, s[46:47]
	v_cmp_lt_u32_e64 s[46:47], v81, v175
	s_and_saveexec_b64 s[48:49], s[46:47]
	s_cbranch_execz .LBB1226_179
.LBB1226_247:                           ;   in Loop: Header=BB1226_96 Depth=2
	ds_read_b64 v[39:40], v106 offset:9216
	v_mov_b32_e32 v45, v3
	v_mov_b32_e32 v46, s79
	s_waitcnt lgkmcnt(0)
	v_cmp_ne_u64_e32 vcc, s[82:83], v[39:40]
	v_ashrrev_i32_e32 v54, 31, v40
	v_cndmask_b32_e32 v62, v135, v40, vcc
	v_cndmask_b32_e32 v61, 0, v39, vcc
	v_lshrrev_b64 v[61:62], s88, v[61:62]
	v_cmp_lt_i64_e32 vcc, -1, v[39:40]
	v_and_b32_e32 v50, s97, v61
	v_lshlrev_b32_e32 v50, 2, v50
	ds_read_b32 v50, v50
	v_cndmask_b32_e64 v44, v135, -1, vcc
	v_xor_b32_e32 v40, v44, v40
	v_not_b32_e32 v54, v54
	v_xor_b32_e32 v39, v54, v39
	s_waitcnt lgkmcnt(0)
	v_add_u32_e32 v44, v50, v81
	v_lshlrev_b64 v[44:45], 3, v[44:45]
	v_add_co_u32_e32 v44, vcc, s78, v44
	v_addc_co_u32_e32 v45, vcc, v46, v45, vcc
	global_store_dwordx2 v[44:45], v[39:40], off
	s_or_b64 exec, exec, s[48:49]
	v_cmp_lt_u32_e64 s[48:49], v82, v175
	s_and_saveexec_b64 s[50:51], s[48:49]
	s_cbranch_execz .LBB1226_180
.LBB1226_248:                           ;   in Loop: Header=BB1226_96 Depth=2
	ds_read_b64 v[39:40], v106 offset:11264
	v_mov_b32_e32 v45, v3
	v_mov_b32_e32 v46, s79
	s_waitcnt lgkmcnt(0)
	v_cmp_ne_u64_e32 vcc, s[82:83], v[39:40]
	v_ashrrev_i32_e32 v54, 31, v40
	v_cndmask_b32_e32 v62, v135, v40, vcc
	v_cndmask_b32_e32 v61, 0, v39, vcc
	v_lshrrev_b64 v[61:62], s88, v[61:62]
	v_cmp_lt_i64_e32 vcc, -1, v[39:40]
	v_and_b32_e32 v50, s97, v61
	v_lshlrev_b32_e32 v50, 2, v50
	ds_read_b32 v50, v50
	v_cndmask_b32_e64 v44, v135, -1, vcc
	v_xor_b32_e32 v40, v44, v40
	v_not_b32_e32 v54, v54
	v_xor_b32_e32 v39, v54, v39
	s_waitcnt lgkmcnt(0)
	v_add_u32_e32 v44, v50, v82
	v_lshlrev_b64 v[44:45], 3, v[44:45]
	v_add_co_u32_e32 v44, vcc, s78, v44
	v_addc_co_u32_e32 v45, vcc, v46, v45, vcc
	global_store_dwordx2 v[44:45], v[39:40], off
	s_or_b64 exec, exec, s[50:51]
	v_cmp_lt_u32_e64 s[50:51], v83, v175
	s_and_saveexec_b64 s[52:53], s[50:51]
	s_cbranch_execz .LBB1226_181
.LBB1226_249:                           ;   in Loop: Header=BB1226_96 Depth=2
	ds_read_b64 v[39:40], v106 offset:13312
	v_mov_b32_e32 v45, v3
	v_mov_b32_e32 v46, s79
	s_waitcnt lgkmcnt(0)
	v_cmp_ne_u64_e32 vcc, s[82:83], v[39:40]
	v_ashrrev_i32_e32 v54, 31, v40
	v_cndmask_b32_e32 v62, v135, v40, vcc
	v_cndmask_b32_e32 v61, 0, v39, vcc
	v_lshrrev_b64 v[61:62], s88, v[61:62]
	v_cmp_lt_i64_e32 vcc, -1, v[39:40]
	v_and_b32_e32 v50, s97, v61
	v_lshlrev_b32_e32 v50, 2, v50
	ds_read_b32 v50, v50
	v_cndmask_b32_e64 v44, v135, -1, vcc
	v_xor_b32_e32 v40, v44, v40
	v_not_b32_e32 v54, v54
	v_xor_b32_e32 v39, v54, v39
	s_waitcnt lgkmcnt(0)
	v_add_u32_e32 v44, v50, v83
	v_lshlrev_b64 v[44:45], 3, v[44:45]
	v_add_co_u32_e32 v44, vcc, s78, v44
	v_addc_co_u32_e32 v45, vcc, v46, v45, vcc
	global_store_dwordx2 v[44:45], v[39:40], off
	s_or_b64 exec, exec, s[52:53]
	v_cmp_lt_u32_e64 s[52:53], v84, v175
	s_and_saveexec_b64 s[54:55], s[52:53]
	s_cbranch_execz .LBB1226_182
.LBB1226_250:                           ;   in Loop: Header=BB1226_96 Depth=2
	ds_read_b64 v[39:40], v106 offset:15360
	v_mov_b32_e32 v45, v3
	v_mov_b32_e32 v46, s79
	s_waitcnt lgkmcnt(0)
	v_cmp_ne_u64_e32 vcc, s[82:83], v[39:40]
	v_ashrrev_i32_e32 v54, 31, v40
	v_cndmask_b32_e32 v62, v135, v40, vcc
	v_cndmask_b32_e32 v61, 0, v39, vcc
	v_lshrrev_b64 v[61:62], s88, v[61:62]
	v_cmp_lt_i64_e32 vcc, -1, v[39:40]
	v_and_b32_e32 v50, s97, v61
	v_lshlrev_b32_e32 v50, 2, v50
	ds_read_b32 v50, v50
	v_cndmask_b32_e64 v44, v135, -1, vcc
	v_xor_b32_e32 v40, v44, v40
	v_not_b32_e32 v54, v54
	v_xor_b32_e32 v39, v54, v39
	s_waitcnt lgkmcnt(0)
	v_add_u32_e32 v44, v50, v84
	v_lshlrev_b64 v[44:45], 3, v[44:45]
	v_add_co_u32_e32 v44, vcc, s78, v44
	v_addc_co_u32_e32 v45, vcc, v46, v45, vcc
	global_store_dwordx2 v[44:45], v[39:40], off
	s_or_b64 exec, exec, s[54:55]
	v_cmp_lt_u32_e64 s[54:55], v85, v175
	s_and_saveexec_b64 s[56:57], s[54:55]
	s_cbranch_execz .LBB1226_183
.LBB1226_251:                           ;   in Loop: Header=BB1226_96 Depth=2
	ds_read_b64 v[39:40], v106 offset:17408
	v_mov_b32_e32 v45, v3
	v_mov_b32_e32 v46, s79
	s_waitcnt lgkmcnt(0)
	v_cmp_ne_u64_e32 vcc, s[82:83], v[39:40]
	v_ashrrev_i32_e32 v54, 31, v40
	v_cndmask_b32_e32 v62, v135, v40, vcc
	v_cndmask_b32_e32 v61, 0, v39, vcc
	v_lshrrev_b64 v[61:62], s88, v[61:62]
	v_cmp_lt_i64_e32 vcc, -1, v[39:40]
	v_and_b32_e32 v50, s97, v61
	v_lshlrev_b32_e32 v50, 2, v50
	ds_read_b32 v50, v50
	v_cndmask_b32_e64 v44, v135, -1, vcc
	v_xor_b32_e32 v40, v44, v40
	v_not_b32_e32 v54, v54
	v_xor_b32_e32 v39, v54, v39
	s_waitcnt lgkmcnt(0)
	v_add_u32_e32 v44, v50, v85
	v_lshlrev_b64 v[44:45], 3, v[44:45]
	v_add_co_u32_e32 v44, vcc, s78, v44
	v_addc_co_u32_e32 v45, vcc, v46, v45, vcc
	global_store_dwordx2 v[44:45], v[39:40], off
	s_or_b64 exec, exec, s[56:57]
	v_cmp_lt_u32_e64 s[56:57], v86, v175
	s_and_saveexec_b64 s[58:59], s[56:57]
	s_cbranch_execz .LBB1226_184
.LBB1226_252:                           ;   in Loop: Header=BB1226_96 Depth=2
	ds_read_b64 v[39:40], v106 offset:19456
	v_mov_b32_e32 v45, v3
	v_mov_b32_e32 v46, s79
	s_waitcnt lgkmcnt(0)
	v_cmp_ne_u64_e32 vcc, s[82:83], v[39:40]
	v_ashrrev_i32_e32 v54, 31, v40
	v_cndmask_b32_e32 v62, v135, v40, vcc
	v_cndmask_b32_e32 v61, 0, v39, vcc
	v_lshrrev_b64 v[61:62], s88, v[61:62]
	v_cmp_lt_i64_e32 vcc, -1, v[39:40]
	v_and_b32_e32 v50, s97, v61
	v_lshlrev_b32_e32 v50, 2, v50
	ds_read_b32 v50, v50
	v_cndmask_b32_e64 v44, v135, -1, vcc
	v_xor_b32_e32 v40, v44, v40
	v_not_b32_e32 v54, v54
	v_xor_b32_e32 v39, v54, v39
	s_waitcnt lgkmcnt(0)
	v_add_u32_e32 v44, v50, v86
	v_lshlrev_b64 v[44:45], 3, v[44:45]
	v_add_co_u32_e32 v44, vcc, s78, v44
	v_addc_co_u32_e32 v45, vcc, v46, v45, vcc
	global_store_dwordx2 v[44:45], v[39:40], off
	s_or_b64 exec, exec, s[58:59]
	v_cmp_lt_u32_e64 s[58:59], v87, v175
	s_and_saveexec_b64 s[60:61], s[58:59]
	s_cbranch_execz .LBB1226_185
.LBB1226_253:                           ;   in Loop: Header=BB1226_96 Depth=2
	ds_read_b64 v[39:40], v106 offset:21504
	v_mov_b32_e32 v45, v3
	v_mov_b32_e32 v46, s79
	s_waitcnt lgkmcnt(0)
	v_cmp_ne_u64_e32 vcc, s[82:83], v[39:40]
	v_ashrrev_i32_e32 v54, 31, v40
	v_cndmask_b32_e32 v62, v135, v40, vcc
	v_cndmask_b32_e32 v61, 0, v39, vcc
	v_lshrrev_b64 v[61:62], s88, v[61:62]
	v_cmp_lt_i64_e32 vcc, -1, v[39:40]
	v_and_b32_e32 v50, s97, v61
	v_lshlrev_b32_e32 v50, 2, v50
	ds_read_b32 v50, v50
	v_cndmask_b32_e64 v44, v135, -1, vcc
	v_xor_b32_e32 v40, v44, v40
	v_not_b32_e32 v54, v54
	v_xor_b32_e32 v39, v54, v39
	s_waitcnt lgkmcnt(0)
	v_add_u32_e32 v44, v50, v87
	v_lshlrev_b64 v[44:45], 3, v[44:45]
	v_add_co_u32_e32 v44, vcc, s78, v44
	v_addc_co_u32_e32 v45, vcc, v46, v45, vcc
	global_store_dwordx2 v[44:45], v[39:40], off
	s_or_b64 exec, exec, s[60:61]
	v_cmp_lt_u32_e64 s[60:61], v88, v175
	s_and_saveexec_b64 s[62:63], s[60:61]
	s_cbranch_execz .LBB1226_186
.LBB1226_254:                           ;   in Loop: Header=BB1226_96 Depth=2
	ds_read_b64 v[39:40], v106 offset:23552
	v_mov_b32_e32 v45, v3
	v_mov_b32_e32 v46, s79
	s_waitcnt lgkmcnt(0)
	v_cmp_ne_u64_e32 vcc, s[82:83], v[39:40]
	v_ashrrev_i32_e32 v54, 31, v40
	v_cndmask_b32_e32 v62, v135, v40, vcc
	v_cndmask_b32_e32 v61, 0, v39, vcc
	v_lshrrev_b64 v[61:62], s88, v[61:62]
	v_cmp_lt_i64_e32 vcc, -1, v[39:40]
	v_and_b32_e32 v50, s97, v61
	v_lshlrev_b32_e32 v50, 2, v50
	ds_read_b32 v50, v50
	v_cndmask_b32_e64 v44, v135, -1, vcc
	v_xor_b32_e32 v40, v44, v40
	v_not_b32_e32 v54, v54
	v_xor_b32_e32 v39, v54, v39
	s_waitcnt lgkmcnt(0)
	v_add_u32_e32 v44, v50, v88
	v_lshlrev_b64 v[44:45], 3, v[44:45]
	v_add_co_u32_e32 v44, vcc, s78, v44
	v_addc_co_u32_e32 v45, vcc, v46, v45, vcc
	global_store_dwordx2 v[44:45], v[39:40], off
	s_or_b64 exec, exec, s[62:63]
	v_cmp_lt_u32_e64 s[62:63], v89, v175
	s_and_saveexec_b64 s[64:65], s[62:63]
	s_cbranch_execz .LBB1226_187
.LBB1226_255:                           ;   in Loop: Header=BB1226_96 Depth=2
	ds_read_b64 v[39:40], v106 offset:25600
	v_mov_b32_e32 v45, v3
	v_mov_b32_e32 v46, s79
	s_waitcnt lgkmcnt(0)
	v_cmp_ne_u64_e32 vcc, s[82:83], v[39:40]
	v_ashrrev_i32_e32 v54, 31, v40
	v_cndmask_b32_e32 v62, v135, v40, vcc
	v_cndmask_b32_e32 v61, 0, v39, vcc
	v_lshrrev_b64 v[61:62], s88, v[61:62]
	v_cmp_lt_i64_e32 vcc, -1, v[39:40]
	v_and_b32_e32 v50, s97, v61
	v_lshlrev_b32_e32 v50, 2, v50
	ds_read_b32 v50, v50
	v_cndmask_b32_e64 v44, v135, -1, vcc
	v_xor_b32_e32 v40, v44, v40
	v_not_b32_e32 v54, v54
	v_xor_b32_e32 v39, v54, v39
	s_waitcnt lgkmcnt(0)
	v_add_u32_e32 v44, v50, v89
	v_lshlrev_b64 v[44:45], 3, v[44:45]
	v_add_co_u32_e32 v44, vcc, s78, v44
	v_addc_co_u32_e32 v45, vcc, v46, v45, vcc
	global_store_dwordx2 v[44:45], v[39:40], off
	s_or_b64 exec, exec, s[64:65]
	v_cmp_lt_u32_e64 s[64:65], v90, v175
	s_and_saveexec_b64 s[66:67], s[64:65]
	s_cbranch_execz .LBB1226_188
.LBB1226_256:                           ;   in Loop: Header=BB1226_96 Depth=2
	ds_read_b64 v[39:40], v106 offset:27648
	v_mov_b32_e32 v45, v3
	v_mov_b32_e32 v46, s79
	s_waitcnt lgkmcnt(0)
	v_cmp_ne_u64_e32 vcc, s[82:83], v[39:40]
	v_ashrrev_i32_e32 v54, 31, v40
	v_cndmask_b32_e32 v62, v135, v40, vcc
	v_cndmask_b32_e32 v61, 0, v39, vcc
	v_lshrrev_b64 v[61:62], s88, v[61:62]
	v_cmp_lt_i64_e32 vcc, -1, v[39:40]
	v_and_b32_e32 v50, s97, v61
	v_lshlrev_b32_e32 v50, 2, v50
	ds_read_b32 v50, v50
	v_cndmask_b32_e64 v44, v135, -1, vcc
	v_xor_b32_e32 v40, v44, v40
	v_not_b32_e32 v54, v54
	v_xor_b32_e32 v39, v54, v39
	s_waitcnt lgkmcnt(0)
	v_add_u32_e32 v44, v50, v90
	v_lshlrev_b64 v[44:45], 3, v[44:45]
	v_add_co_u32_e32 v44, vcc, s78, v44
	v_addc_co_u32_e32 v45, vcc, v46, v45, vcc
	global_store_dwordx2 v[44:45], v[39:40], off
	s_or_b64 exec, exec, s[66:67]
	v_cmp_lt_u32_e64 s[66:67], v91, v175
	s_and_saveexec_b64 s[68:69], s[66:67]
	s_cbranch_execz .LBB1226_189
.LBB1226_257:                           ;   in Loop: Header=BB1226_96 Depth=2
	ds_read_b64 v[39:40], v106 offset:29696
	v_mov_b32_e32 v45, v3
	v_mov_b32_e32 v46, s79
	s_waitcnt lgkmcnt(0)
	v_cmp_ne_u64_e32 vcc, s[82:83], v[39:40]
	v_ashrrev_i32_e32 v54, 31, v40
	v_cndmask_b32_e32 v62, v135, v40, vcc
	v_cndmask_b32_e32 v61, 0, v39, vcc
	v_lshrrev_b64 v[61:62], s88, v[61:62]
	v_cmp_lt_i64_e32 vcc, -1, v[39:40]
	v_and_b32_e32 v50, s97, v61
	v_lshlrev_b32_e32 v50, 2, v50
	ds_read_b32 v50, v50
	v_cndmask_b32_e64 v44, v135, -1, vcc
	v_xor_b32_e32 v40, v44, v40
	v_not_b32_e32 v54, v54
	v_xor_b32_e32 v39, v54, v39
	s_waitcnt lgkmcnt(0)
	v_add_u32_e32 v44, v50, v91
	v_lshlrev_b64 v[44:45], 3, v[44:45]
	v_add_co_u32_e32 v44, vcc, s78, v44
	v_addc_co_u32_e32 v45, vcc, v46, v45, vcc
	global_store_dwordx2 v[44:45], v[39:40], off
	s_or_b64 exec, exec, s[68:69]
	v_cmp_lt_u32_e64 s[68:69], v92, v175
	s_and_saveexec_b64 s[92:93], s[68:69]
	s_cbranch_execnz .LBB1226_190
	s_branch .LBB1226_191
.LBB1226_258:                           ;   in Loop: Header=BB1226_96 Depth=2
	global_load_dwordx2 v[37:38], v[39:40], off
	s_or_b64 exec, exec, s[92:93]
	v_cmp_lt_u32_e32 vcc, v151, v175
	s_and_saveexec_b64 s[92:93], vcc
	s_cbranch_execz .LBB1226_193
.LBB1226_259:                           ;   in Loop: Header=BB1226_96 Depth=2
	global_load_dwordx2 v[35:36], v[39:40], off offset:512
	s_or_b64 exec, exec, s[92:93]
	v_cmp_lt_u32_e32 vcc, v153, v175
	s_and_saveexec_b64 s[92:93], vcc
	s_cbranch_execz .LBB1226_194
.LBB1226_260:                           ;   in Loop: Header=BB1226_96 Depth=2
	global_load_dwordx2 v[33:34], v[39:40], off offset:1024
	s_or_b64 exec, exec, s[92:93]
	v_cmp_lt_u32_e32 vcc, v155, v175
	s_and_saveexec_b64 s[92:93], vcc
	s_cbranch_execz .LBB1226_195
.LBB1226_261:                           ;   in Loop: Header=BB1226_96 Depth=2
	global_load_dwordx2 v[29:30], v[39:40], off offset:1536
	s_or_b64 exec, exec, s[92:93]
	v_cmp_lt_u32_e32 vcc, v157, v175
	s_and_saveexec_b64 s[92:93], vcc
	s_cbranch_execz .LBB1226_196
.LBB1226_262:                           ;   in Loop: Header=BB1226_96 Depth=2
	global_load_dwordx2 v[25:26], v[39:40], off offset:2048
	s_or_b64 exec, exec, s[92:93]
	v_cmp_lt_u32_e32 vcc, v159, v175
	s_and_saveexec_b64 s[92:93], vcc
	s_cbranch_execz .LBB1226_197
.LBB1226_263:                           ;   in Loop: Header=BB1226_96 Depth=2
	global_load_dwordx2 v[21:22], v[39:40], off offset:2560
	s_or_b64 exec, exec, s[92:93]
	v_cmp_lt_u32_e32 vcc, v161, v175
	s_and_saveexec_b64 s[92:93], vcc
	s_cbranch_execz .LBB1226_198
.LBB1226_264:                           ;   in Loop: Header=BB1226_96 Depth=2
	global_load_dwordx2 v[17:18], v[39:40], off offset:3072
	s_or_b64 exec, exec, s[92:93]
	v_cmp_lt_u32_e32 vcc, v163, v175
	s_and_saveexec_b64 s[92:93], vcc
	s_cbranch_execz .LBB1226_199
.LBB1226_265:                           ;   in Loop: Header=BB1226_96 Depth=2
	global_load_dwordx2 v[13:14], v[39:40], off offset:3584
	s_or_b64 exec, exec, s[92:93]
	v_cmp_lt_u32_e32 vcc, v164, v175
	s_and_saveexec_b64 s[92:93], vcc
	s_cbranch_execz .LBB1226_200
.LBB1226_266:                           ;   in Loop: Header=BB1226_96 Depth=2
	v_add_co_u32_e32 v31, vcc, 0x1000, v39
	v_addc_co_u32_e32 v32, vcc, 0, v40, vcc
	global_load_dwordx2 v[31:32], v[31:32], off
	s_or_b64 exec, exec, s[92:93]
	v_cmp_lt_u32_e32 vcc, v165, v175
	s_and_saveexec_b64 s[92:93], vcc
	s_cbranch_execz .LBB1226_201
.LBB1226_267:                           ;   in Loop: Header=BB1226_96 Depth=2
	v_add_co_u32_e32 v27, vcc, 0x1000, v39
	v_addc_co_u32_e32 v28, vcc, 0, v40, vcc
	global_load_dwordx2 v[27:28], v[27:28], off offset:512
	s_or_b64 exec, exec, s[92:93]
	v_cmp_lt_u32_e32 vcc, v166, v175
	s_and_saveexec_b64 s[92:93], vcc
	s_cbranch_execz .LBB1226_202
.LBB1226_268:                           ;   in Loop: Header=BB1226_96 Depth=2
	v_add_co_u32_e32 v23, vcc, 0x1000, v39
	v_addc_co_u32_e32 v24, vcc, 0, v40, vcc
	global_load_dwordx2 v[23:24], v[23:24], off offset:1024
	s_or_b64 exec, exec, s[92:93]
	v_cmp_lt_u32_e32 vcc, v167, v175
	s_and_saveexec_b64 s[92:93], vcc
	s_cbranch_execz .LBB1226_203
.LBB1226_269:                           ;   in Loop: Header=BB1226_96 Depth=2
	v_add_co_u32_e32 v19, vcc, 0x1000, v39
	v_addc_co_u32_e32 v20, vcc, 0, v40, vcc
	global_load_dwordx2 v[19:20], v[19:20], off offset:1536
	s_or_b64 exec, exec, s[92:93]
	v_cmp_lt_u32_e32 vcc, v168, v175
	s_and_saveexec_b64 s[92:93], vcc
	s_cbranch_execz .LBB1226_204
.LBB1226_270:                           ;   in Loop: Header=BB1226_96 Depth=2
	v_add_co_u32_e32 v15, vcc, 0x1000, v39
	v_addc_co_u32_e32 v16, vcc, 0, v40, vcc
	global_load_dwordx2 v[15:16], v[15:16], off offset:2048
	s_or_b64 exec, exec, s[92:93]
	v_cmp_lt_u32_e32 vcc, v169, v175
	s_and_saveexec_b64 s[92:93], vcc
	s_cbranch_execz .LBB1226_205
.LBB1226_271:                           ;   in Loop: Header=BB1226_96 Depth=2
	v_add_co_u32_e32 v11, vcc, 0x1000, v39
	v_addc_co_u32_e32 v12, vcc, 0, v40, vcc
	global_load_dwordx2 v[11:12], v[11:12], off offset:2560
	s_or_b64 exec, exec, s[92:93]
	v_cmp_lt_u32_e32 vcc, v170, v175
	s_and_saveexec_b64 s[92:93], vcc
	s_cbranch_execz .LBB1226_206
.LBB1226_272:                           ;   in Loop: Header=BB1226_96 Depth=2
	v_add_co_u32_e32 v9, vcc, 0x1000, v39
	v_addc_co_u32_e32 v10, vcc, 0, v40, vcc
	global_load_dwordx2 v[9:10], v[9:10], off offset:3072
	s_or_b64 exec, exec, s[92:93]
	v_cmp_lt_u32_e32 vcc, v171, v175
	s_and_saveexec_b64 s[92:93], vcc
	s_cbranch_execz .LBB1226_207
.LBB1226_273:                           ;   in Loop: Header=BB1226_96 Depth=2
	v_add_co_u32_e32 v7, vcc, 0x1000, v39
	v_addc_co_u32_e32 v8, vcc, 0, v40, vcc
	global_load_dwordx2 v[7:8], v[7:8], off offset:3584
	s_or_b64 exec, exec, s[92:93]
	s_and_saveexec_b64 s[92:93], s[38:39]
	s_cbranch_execz .LBB1226_208
.LBB1226_274:                           ;   in Loop: Header=BB1226_96 Depth=2
	ds_read_b64 v[39:40], v106 offset:1024
	s_waitcnt lgkmcnt(0)
	v_cmp_ne_u64_e32 vcc, s[82:83], v[39:40]
	v_cndmask_b32_e32 v40, v135, v40, vcc
	v_cndmask_b32_e32 v39, 0, v39, vcc
	v_lshrrev_b64 v[39:40], s88, v[39:40]
	v_and_b32_e32 v162, s97, v39
	s_or_b64 exec, exec, s[92:93]
	s_and_saveexec_b64 s[92:93], s[40:41]
	s_cbranch_execz .LBB1226_209
.LBB1226_275:                           ;   in Loop: Header=BB1226_96 Depth=2
	ds_read_b64 v[39:40], v106 offset:3072
	s_waitcnt lgkmcnt(0)
	v_cmp_ne_u64_e32 vcc, s[82:83], v[39:40]
	v_cndmask_b32_e32 v40, v135, v40, vcc
	v_cndmask_b32_e32 v39, 0, v39, vcc
	v_lshrrev_b64 v[39:40], s88, v[39:40]
	v_and_b32_e32 v160, s97, v39
	s_or_b64 exec, exec, s[92:93]
	s_and_saveexec_b64 s[92:93], s[42:43]
	s_cbranch_execz .LBB1226_210
.LBB1226_276:                           ;   in Loop: Header=BB1226_96 Depth=2
	ds_read_b64 v[39:40], v106 offset:5120
	s_waitcnt lgkmcnt(0)
	v_cmp_ne_u64_e32 vcc, s[82:83], v[39:40]
	v_cndmask_b32_e32 v40, v135, v40, vcc
	v_cndmask_b32_e32 v39, 0, v39, vcc
	v_lshrrev_b64 v[39:40], s88, v[39:40]
	v_and_b32_e32 v158, s97, v39
	s_or_b64 exec, exec, s[92:93]
	s_and_saveexec_b64 s[92:93], s[44:45]
	s_cbranch_execz .LBB1226_211
.LBB1226_277:                           ;   in Loop: Header=BB1226_96 Depth=2
	ds_read_b64 v[39:40], v106 offset:7168
	s_waitcnt lgkmcnt(0)
	v_cmp_ne_u64_e32 vcc, s[82:83], v[39:40]
	v_cndmask_b32_e32 v40, v135, v40, vcc
	v_cndmask_b32_e32 v39, 0, v39, vcc
	v_lshrrev_b64 v[39:40], s88, v[39:40]
	v_and_b32_e32 v156, s97, v39
	s_or_b64 exec, exec, s[92:93]
	s_and_saveexec_b64 s[92:93], s[46:47]
	s_cbranch_execz .LBB1226_212
.LBB1226_278:                           ;   in Loop: Header=BB1226_96 Depth=2
	ds_read_b64 v[39:40], v106 offset:9216
	s_waitcnt lgkmcnt(0)
	v_cmp_ne_u64_e32 vcc, s[82:83], v[39:40]
	v_cndmask_b32_e32 v40, v135, v40, vcc
	v_cndmask_b32_e32 v39, 0, v39, vcc
	v_lshrrev_b64 v[39:40], s88, v[39:40]
	v_and_b32_e32 v154, s97, v39
	s_or_b64 exec, exec, s[92:93]
	s_and_saveexec_b64 s[92:93], s[48:49]
	s_cbranch_execz .LBB1226_213
.LBB1226_279:                           ;   in Loop: Header=BB1226_96 Depth=2
	ds_read_b64 v[39:40], v106 offset:11264
	s_waitcnt lgkmcnt(0)
	v_cmp_ne_u64_e32 vcc, s[82:83], v[39:40]
	v_cndmask_b32_e32 v40, v135, v40, vcc
	v_cndmask_b32_e32 v39, 0, v39, vcc
	v_lshrrev_b64 v[39:40], s88, v[39:40]
	v_and_b32_e32 v152, s97, v39
	s_or_b64 exec, exec, s[92:93]
	s_and_saveexec_b64 s[92:93], s[50:51]
	s_cbranch_execz .LBB1226_214
.LBB1226_280:                           ;   in Loop: Header=BB1226_96 Depth=2
	ds_read_b64 v[39:40], v106 offset:13312
	s_waitcnt lgkmcnt(0)
	v_cmp_ne_u64_e32 vcc, s[82:83], v[39:40]
	v_cndmask_b32_e32 v40, v135, v40, vcc
	v_cndmask_b32_e32 v39, 0, v39, vcc
	v_lshrrev_b64 v[39:40], s88, v[39:40]
	v_and_b32_e32 v150, s97, v39
	s_or_b64 exec, exec, s[92:93]
	s_and_saveexec_b64 s[92:93], s[52:53]
	s_cbranch_execz .LBB1226_215
.LBB1226_281:                           ;   in Loop: Header=BB1226_96 Depth=2
	ds_read_b64 v[39:40], v106 offset:15360
	s_waitcnt lgkmcnt(0)
	v_cmp_ne_u64_e32 vcc, s[82:83], v[39:40]
	v_cndmask_b32_e32 v40, v135, v40, vcc
	v_cndmask_b32_e32 v39, 0, v39, vcc
	v_lshrrev_b64 v[39:40], s88, v[39:40]
	v_and_b32_e32 v148, s97, v39
	s_or_b64 exec, exec, s[92:93]
	s_and_saveexec_b64 s[92:93], s[54:55]
	s_cbranch_execz .LBB1226_216
.LBB1226_282:                           ;   in Loop: Header=BB1226_96 Depth=2
	ds_read_b64 v[39:40], v106 offset:17408
	s_waitcnt lgkmcnt(0)
	v_cmp_ne_u64_e32 vcc, s[82:83], v[39:40]
	v_cndmask_b32_e32 v40, v135, v40, vcc
	v_cndmask_b32_e32 v39, 0, v39, vcc
	v_lshrrev_b64 v[39:40], s88, v[39:40]
	v_and_b32_e32 v146, s97, v39
	s_or_b64 exec, exec, s[92:93]
	s_and_saveexec_b64 s[92:93], s[56:57]
	s_cbranch_execz .LBB1226_217
.LBB1226_283:                           ;   in Loop: Header=BB1226_96 Depth=2
	ds_read_b64 v[39:40], v106 offset:19456
	s_waitcnt lgkmcnt(0)
	v_cmp_ne_u64_e32 vcc, s[82:83], v[39:40]
	v_cndmask_b32_e32 v40, v135, v40, vcc
	v_cndmask_b32_e32 v39, 0, v39, vcc
	v_lshrrev_b64 v[39:40], s88, v[39:40]
	v_and_b32_e32 v144, s97, v39
	s_or_b64 exec, exec, s[92:93]
	s_and_saveexec_b64 s[92:93], s[58:59]
	s_cbranch_execz .LBB1226_218
.LBB1226_284:                           ;   in Loop: Header=BB1226_96 Depth=2
	ds_read_b64 v[39:40], v106 offset:21504
	s_waitcnt lgkmcnt(0)
	v_cmp_ne_u64_e32 vcc, s[82:83], v[39:40]
	v_cndmask_b32_e32 v40, v135, v40, vcc
	v_cndmask_b32_e32 v39, 0, v39, vcc
	v_lshrrev_b64 v[39:40], s88, v[39:40]
	v_and_b32_e32 v143, s97, v39
	s_or_b64 exec, exec, s[92:93]
	s_and_saveexec_b64 s[92:93], s[60:61]
	s_cbranch_execz .LBB1226_219
.LBB1226_285:                           ;   in Loop: Header=BB1226_96 Depth=2
	ds_read_b64 v[39:40], v106 offset:23552
	s_waitcnt lgkmcnt(0)
	v_cmp_ne_u64_e32 vcc, s[82:83], v[39:40]
	v_cndmask_b32_e32 v40, v135, v40, vcc
	v_cndmask_b32_e32 v39, 0, v39, vcc
	v_lshrrev_b64 v[39:40], s88, v[39:40]
	v_and_b32_e32 v142, s97, v39
	s_or_b64 exec, exec, s[92:93]
	s_and_saveexec_b64 s[92:93], s[62:63]
	s_cbranch_execz .LBB1226_220
.LBB1226_286:                           ;   in Loop: Header=BB1226_96 Depth=2
	ds_read_b64 v[39:40], v106 offset:25600
	s_waitcnt lgkmcnt(0)
	v_cmp_ne_u64_e32 vcc, s[82:83], v[39:40]
	v_cndmask_b32_e32 v40, v135, v40, vcc
	v_cndmask_b32_e32 v39, 0, v39, vcc
	v_lshrrev_b64 v[39:40], s88, v[39:40]
	v_and_b32_e32 v141, s97, v39
	s_or_b64 exec, exec, s[92:93]
	s_and_saveexec_b64 s[92:93], s[64:65]
	s_cbranch_execz .LBB1226_221
.LBB1226_287:                           ;   in Loop: Header=BB1226_96 Depth=2
	ds_read_b64 v[39:40], v106 offset:27648
	s_waitcnt lgkmcnt(0)
	v_cmp_ne_u64_e32 vcc, s[82:83], v[39:40]
	v_cndmask_b32_e32 v40, v135, v40, vcc
	v_cndmask_b32_e32 v39, 0, v39, vcc
	v_lshrrev_b64 v[39:40], s88, v[39:40]
	v_and_b32_e32 v140, s97, v39
	s_or_b64 exec, exec, s[92:93]
	s_and_saveexec_b64 s[92:93], s[66:67]
	s_cbranch_execz .LBB1226_222
.LBB1226_288:                           ;   in Loop: Header=BB1226_96 Depth=2
	ds_read_b64 v[39:40], v106 offset:29696
	s_waitcnt lgkmcnt(0)
	v_cmp_ne_u64_e32 vcc, s[82:83], v[39:40]
	v_cndmask_b32_e32 v40, v135, v40, vcc
	v_cndmask_b32_e32 v39, 0, v39, vcc
	v_lshrrev_b64 v[39:40], s88, v[39:40]
	v_and_b32_e32 v139, s97, v39
	s_or_b64 exec, exec, s[92:93]
	s_and_saveexec_b64 s[92:93], s[68:69]
	s_cbranch_execnz .LBB1226_223
	s_branch .LBB1226_224
.LBB1226_289:                           ;   in Loop: Header=BB1226_96 Depth=2
	v_lshlrev_b32_e32 v39, 2, v162
	ds_read_b32 v41, v39
	ds_read_b64 v[39:40], v106 offset:1024
	v_mov_b32_e32 v42, v3
	v_mov_b32_e32 v43, s85
	s_waitcnt lgkmcnt(1)
	v_add_u32_e32 v41, v41, v0
	v_lshlrev_b64 v[41:42], 3, v[41:42]
	v_add_co_u32_e32 v41, vcc, s84, v41
	v_addc_co_u32_e32 v42, vcc, v43, v42, vcc
	s_waitcnt lgkmcnt(0)
	global_store_dwordx2 v[41:42], v[39:40], off
	s_or_b64 exec, exec, s[92:93]
	s_and_saveexec_b64 s[38:39], s[40:41]
	s_cbranch_execz .LBB1226_226
.LBB1226_290:                           ;   in Loop: Header=BB1226_96 Depth=2
	v_lshlrev_b32_e32 v39, 2, v160
	ds_read_b32 v41, v39
	ds_read_b64 v[39:40], v106 offset:3072
	v_mov_b32_e32 v42, v3
	v_mov_b32_e32 v43, s85
	s_waitcnt lgkmcnt(1)
	v_add_u32_e32 v41, v41, v76
	v_lshlrev_b64 v[41:42], 3, v[41:42]
	v_add_co_u32_e32 v41, vcc, s84, v41
	v_addc_co_u32_e32 v42, vcc, v43, v42, vcc
	s_waitcnt lgkmcnt(0)
	global_store_dwordx2 v[41:42], v[39:40], off
	s_or_b64 exec, exec, s[38:39]
	s_and_saveexec_b64 s[38:39], s[42:43]
	s_cbranch_execz .LBB1226_227
.LBB1226_291:                           ;   in Loop: Header=BB1226_96 Depth=2
	v_lshlrev_b32_e32 v39, 2, v158
	ds_read_b32 v41, v39
	ds_read_b64 v[39:40], v106 offset:5120
	v_mov_b32_e32 v42, v3
	v_mov_b32_e32 v43, s85
	s_waitcnt lgkmcnt(1)
	v_add_u32_e32 v41, v41, v77
	v_lshlrev_b64 v[41:42], 3, v[41:42]
	v_add_co_u32_e32 v41, vcc, s84, v41
	v_addc_co_u32_e32 v42, vcc, v43, v42, vcc
	s_waitcnt lgkmcnt(0)
	global_store_dwordx2 v[41:42], v[39:40], off
	s_or_b64 exec, exec, s[38:39]
	s_and_saveexec_b64 s[38:39], s[44:45]
	s_cbranch_execz .LBB1226_228
.LBB1226_292:                           ;   in Loop: Header=BB1226_96 Depth=2
	v_lshlrev_b32_e32 v39, 2, v156
	ds_read_b32 v41, v39
	ds_read_b64 v[39:40], v106 offset:7168
	v_mov_b32_e32 v42, v3
	v_mov_b32_e32 v43, s85
	s_waitcnt lgkmcnt(1)
	v_add_u32_e32 v41, v41, v78
	v_lshlrev_b64 v[41:42], 3, v[41:42]
	v_add_co_u32_e32 v41, vcc, s84, v41
	v_addc_co_u32_e32 v42, vcc, v43, v42, vcc
	s_waitcnt lgkmcnt(0)
	global_store_dwordx2 v[41:42], v[39:40], off
	s_or_b64 exec, exec, s[38:39]
	s_and_saveexec_b64 s[38:39], s[46:47]
	s_cbranch_execz .LBB1226_229
.LBB1226_293:                           ;   in Loop: Header=BB1226_96 Depth=2
	v_lshlrev_b32_e32 v39, 2, v154
	ds_read_b32 v41, v39
	ds_read_b64 v[39:40], v106 offset:9216
	v_mov_b32_e32 v42, v3
	v_mov_b32_e32 v43, s85
	s_waitcnt lgkmcnt(1)
	v_add_u32_e32 v41, v41, v81
	v_lshlrev_b64 v[41:42], 3, v[41:42]
	v_add_co_u32_e32 v41, vcc, s84, v41
	v_addc_co_u32_e32 v42, vcc, v43, v42, vcc
	s_waitcnt lgkmcnt(0)
	global_store_dwordx2 v[41:42], v[39:40], off
	s_or_b64 exec, exec, s[38:39]
	s_and_saveexec_b64 s[38:39], s[48:49]
	s_cbranch_execz .LBB1226_230
.LBB1226_294:                           ;   in Loop: Header=BB1226_96 Depth=2
	v_lshlrev_b32_e32 v39, 2, v152
	ds_read_b32 v41, v39
	ds_read_b64 v[39:40], v106 offset:11264
	v_mov_b32_e32 v42, v3
	v_mov_b32_e32 v43, s85
	s_waitcnt lgkmcnt(1)
	v_add_u32_e32 v41, v41, v82
	v_lshlrev_b64 v[41:42], 3, v[41:42]
	v_add_co_u32_e32 v41, vcc, s84, v41
	v_addc_co_u32_e32 v42, vcc, v43, v42, vcc
	s_waitcnt lgkmcnt(0)
	global_store_dwordx2 v[41:42], v[39:40], off
	s_or_b64 exec, exec, s[38:39]
	s_and_saveexec_b64 s[38:39], s[50:51]
	s_cbranch_execz .LBB1226_231
.LBB1226_295:                           ;   in Loop: Header=BB1226_96 Depth=2
	v_lshlrev_b32_e32 v39, 2, v150
	ds_read_b32 v41, v39
	ds_read_b64 v[39:40], v106 offset:13312
	v_mov_b32_e32 v42, v3
	v_mov_b32_e32 v43, s85
	s_waitcnt lgkmcnt(1)
	v_add_u32_e32 v41, v41, v83
	v_lshlrev_b64 v[41:42], 3, v[41:42]
	v_add_co_u32_e32 v41, vcc, s84, v41
	v_addc_co_u32_e32 v42, vcc, v43, v42, vcc
	s_waitcnt lgkmcnt(0)
	global_store_dwordx2 v[41:42], v[39:40], off
	s_or_b64 exec, exec, s[38:39]
	s_and_saveexec_b64 s[38:39], s[52:53]
	s_cbranch_execz .LBB1226_232
.LBB1226_296:                           ;   in Loop: Header=BB1226_96 Depth=2
	v_lshlrev_b32_e32 v39, 2, v148
	ds_read_b32 v41, v39
	ds_read_b64 v[39:40], v106 offset:15360
	v_mov_b32_e32 v42, v3
	v_mov_b32_e32 v43, s85
	s_waitcnt lgkmcnt(1)
	v_add_u32_e32 v41, v41, v84
	v_lshlrev_b64 v[41:42], 3, v[41:42]
	v_add_co_u32_e32 v41, vcc, s84, v41
	v_addc_co_u32_e32 v42, vcc, v43, v42, vcc
	s_waitcnt lgkmcnt(0)
	global_store_dwordx2 v[41:42], v[39:40], off
	s_or_b64 exec, exec, s[38:39]
	s_and_saveexec_b64 s[38:39], s[54:55]
	s_cbranch_execz .LBB1226_233
.LBB1226_297:                           ;   in Loop: Header=BB1226_96 Depth=2
	v_lshlrev_b32_e32 v39, 2, v146
	ds_read_b32 v41, v39
	ds_read_b64 v[39:40], v106 offset:17408
	v_mov_b32_e32 v42, v3
	v_mov_b32_e32 v43, s85
	s_waitcnt lgkmcnt(1)
	v_add_u32_e32 v41, v41, v85
	v_lshlrev_b64 v[41:42], 3, v[41:42]
	v_add_co_u32_e32 v41, vcc, s84, v41
	v_addc_co_u32_e32 v42, vcc, v43, v42, vcc
	s_waitcnt lgkmcnt(0)
	global_store_dwordx2 v[41:42], v[39:40], off
	s_or_b64 exec, exec, s[38:39]
	s_and_saveexec_b64 s[38:39], s[56:57]
	s_cbranch_execz .LBB1226_234
.LBB1226_298:                           ;   in Loop: Header=BB1226_96 Depth=2
	v_lshlrev_b32_e32 v39, 2, v144
	ds_read_b32 v41, v39
	ds_read_b64 v[39:40], v106 offset:19456
	v_mov_b32_e32 v42, v3
	v_mov_b32_e32 v43, s85
	s_waitcnt lgkmcnt(1)
	v_add_u32_e32 v41, v41, v86
	v_lshlrev_b64 v[41:42], 3, v[41:42]
	v_add_co_u32_e32 v41, vcc, s84, v41
	v_addc_co_u32_e32 v42, vcc, v43, v42, vcc
	s_waitcnt lgkmcnt(0)
	global_store_dwordx2 v[41:42], v[39:40], off
	s_or_b64 exec, exec, s[38:39]
	s_and_saveexec_b64 s[38:39], s[58:59]
	s_cbranch_execz .LBB1226_235
.LBB1226_299:                           ;   in Loop: Header=BB1226_96 Depth=2
	v_lshlrev_b32_e32 v39, 2, v143
	ds_read_b32 v41, v39
	ds_read_b64 v[39:40], v106 offset:21504
	v_mov_b32_e32 v42, v3
	v_mov_b32_e32 v43, s85
	s_waitcnt lgkmcnt(1)
	v_add_u32_e32 v41, v41, v87
	v_lshlrev_b64 v[41:42], 3, v[41:42]
	v_add_co_u32_e32 v41, vcc, s84, v41
	v_addc_co_u32_e32 v42, vcc, v43, v42, vcc
	s_waitcnt lgkmcnt(0)
	global_store_dwordx2 v[41:42], v[39:40], off
	s_or_b64 exec, exec, s[38:39]
	s_and_saveexec_b64 s[38:39], s[60:61]
	s_cbranch_execz .LBB1226_236
.LBB1226_300:                           ;   in Loop: Header=BB1226_96 Depth=2
	v_lshlrev_b32_e32 v39, 2, v142
	ds_read_b32 v41, v39
	ds_read_b64 v[39:40], v106 offset:23552
	v_mov_b32_e32 v42, v3
	v_mov_b32_e32 v43, s85
	s_waitcnt lgkmcnt(1)
	v_add_u32_e32 v41, v41, v88
	v_lshlrev_b64 v[41:42], 3, v[41:42]
	v_add_co_u32_e32 v41, vcc, s84, v41
	v_addc_co_u32_e32 v42, vcc, v43, v42, vcc
	s_waitcnt lgkmcnt(0)
	global_store_dwordx2 v[41:42], v[39:40], off
	s_or_b64 exec, exec, s[38:39]
	s_and_saveexec_b64 s[38:39], s[62:63]
	s_cbranch_execz .LBB1226_237
.LBB1226_301:                           ;   in Loop: Header=BB1226_96 Depth=2
	v_lshlrev_b32_e32 v39, 2, v141
	ds_read_b32 v41, v39
	ds_read_b64 v[39:40], v106 offset:25600
	v_mov_b32_e32 v42, v3
	v_mov_b32_e32 v43, s85
	s_waitcnt lgkmcnt(1)
	v_add_u32_e32 v41, v41, v89
	v_lshlrev_b64 v[41:42], 3, v[41:42]
	v_add_co_u32_e32 v41, vcc, s84, v41
	v_addc_co_u32_e32 v42, vcc, v43, v42, vcc
	s_waitcnt lgkmcnt(0)
	global_store_dwordx2 v[41:42], v[39:40], off
	s_or_b64 exec, exec, s[38:39]
	s_and_saveexec_b64 s[38:39], s[64:65]
	s_cbranch_execz .LBB1226_238
.LBB1226_302:                           ;   in Loop: Header=BB1226_96 Depth=2
	v_lshlrev_b32_e32 v39, 2, v140
	ds_read_b32 v41, v39
	ds_read_b64 v[39:40], v106 offset:27648
	v_mov_b32_e32 v42, v3
	v_mov_b32_e32 v43, s85
	s_waitcnt lgkmcnt(1)
	v_add_u32_e32 v41, v41, v90
	v_lshlrev_b64 v[41:42], 3, v[41:42]
	v_add_co_u32_e32 v41, vcc, s84, v41
	v_addc_co_u32_e32 v42, vcc, v43, v42, vcc
	s_waitcnt lgkmcnt(0)
	global_store_dwordx2 v[41:42], v[39:40], off
	s_or_b64 exec, exec, s[38:39]
	s_and_saveexec_b64 s[38:39], s[66:67]
	s_cbranch_execz .LBB1226_239
.LBB1226_303:                           ;   in Loop: Header=BB1226_96 Depth=2
	v_lshlrev_b32_e32 v39, 2, v139
	ds_read_b32 v41, v39
	ds_read_b64 v[39:40], v106 offset:29696
	v_mov_b32_e32 v42, v3
	v_mov_b32_e32 v43, s85
	s_waitcnt lgkmcnt(1)
	v_add_u32_e32 v41, v41, v91
	v_lshlrev_b64 v[41:42], 3, v[41:42]
	v_add_co_u32_e32 v41, vcc, s84, v41
	v_addc_co_u32_e32 v42, vcc, v43, v42, vcc
	s_waitcnt lgkmcnt(0)
	global_store_dwordx2 v[41:42], v[39:40], off
	s_or_b64 exec, exec, s[38:39]
	s_and_saveexec_b64 s[38:39], s[68:69]
	s_cbranch_execnz .LBB1226_240
	s_branch .LBB1226_241
.LBB1226_304:                           ;   in Loop: Header=BB1226_12 Depth=1
	s_waitcnt lgkmcnt(0)
	s_barrier
	s_mov_b64 s[18:19], 0
.LBB1226_305:                           ;   in Loop: Header=BB1226_12 Depth=1
	s_and_b64 vcc, exec, s[18:19]
	s_cbranch_vccz .LBB1226_597
; %bb.306:                              ;   in Loop: Header=BB1226_12 Depth=1
	s_mov_b32 s22, s91
	s_mov_b32 s72, s94
	s_barrier
                                        ; implicit-def: $vgpr7_vgpr8
                                        ; implicit-def: $vgpr9_vgpr10
                                        ; implicit-def: $vgpr11_vgpr12
                                        ; implicit-def: $vgpr13_vgpr14
                                        ; implicit-def: $vgpr15_vgpr16
                                        ; implicit-def: $vgpr17_vgpr18
                                        ; implicit-def: $vgpr19_vgpr20
                                        ; implicit-def: $vgpr21_vgpr22
                                        ; implicit-def: $vgpr23_vgpr24
                                        ; implicit-def: $vgpr25_vgpr26
                                        ; implicit-def: $vgpr27_vgpr28
                                        ; implicit-def: $vgpr29_vgpr30
                                        ; implicit-def: $vgpr31_vgpr32
                                        ; implicit-def: $vgpr33_vgpr34
                                        ; implicit-def: $vgpr35_vgpr36
                                        ; implicit-def: $vgpr37_vgpr38
	s_branch .LBB1226_308
.LBB1226_307:                           ;   in Loop: Header=BB1226_308 Depth=2
	s_or_b64 exec, exec, s[18:19]
	s_addk_i32 s22, 0xf000
	s_cmp_ge_u32 s23, s95
	s_mov_b32 s72, s23
	s_cbranch_scc1 .LBB1226_376
.LBB1226_308:                           ;   Parent Loop BB1226_12 Depth=1
                                        ; =>  This Inner Loop Header: Depth=2
	s_add_i32 s23, s72, 0x1000
	s_cmp_gt_u32 s23, s95
	s_mov_b64 s[18:19], -1
                                        ; implicit-def: $vgpr39_vgpr40
                                        ; implicit-def: $vgpr41_vgpr42
                                        ; implicit-def: $vgpr43_vgpr44
                                        ; implicit-def: $vgpr45_vgpr46
                                        ; implicit-def: $vgpr47_vgpr48
                                        ; implicit-def: $vgpr49_vgpr50
                                        ; implicit-def: $vgpr51_vgpr52
                                        ; implicit-def: $vgpr53_vgpr54
                                        ; implicit-def: $vgpr55_vgpr56
                                        ; implicit-def: $vgpr57_vgpr58
                                        ; implicit-def: $vgpr59_vgpr60
                                        ; implicit-def: $vgpr61_vgpr62
                                        ; implicit-def: $vgpr63_vgpr64
                                        ; implicit-def: $vgpr65_vgpr66
                                        ; implicit-def: $vgpr67_vgpr68
                                        ; implicit-def: $vgpr69_vgpr70
	s_cbranch_scc1 .LBB1226_310
; %bb.309:                              ;   in Loop: Header=BB1226_308 Depth=2
	s_lshl_b64 s[18:19], s[72:73], 3
	v_mov_b32_e32 v4, s19
	v_add_co_u32_e32 v63, vcc, s18, v107
	v_addc_co_u32_e32 v64, vcc, v108, v4, vcc
	v_add_co_u32_e32 v47, vcc, 0x1000, v63
	v_addc_co_u32_e32 v48, vcc, 0, v64, vcc
	;; [unrolled: 2-line block ×6, first 2 shown]
	global_load_dwordx2 v[39:40], v[63:64], off
	global_load_dwordx2 v[41:42], v[63:64], off offset:2048
	global_load_dwordx2 v[43:44], v[47:48], off
	global_load_dwordx2 v[45:46], v[47:48], off offset:2048
	s_nop 0
	global_load_dwordx2 v[47:48], v[55:56], off
	global_load_dwordx2 v[49:50], v[55:56], off offset:2048
	global_load_dwordx2 v[51:52], v[57:58], off
	global_load_dwordx2 v[53:54], v[57:58], off offset:2048
	s_nop 0
	global_load_dwordx2 v[55:56], v[61:62], off
	global_load_dwordx2 v[57:58], v[61:62], off offset:2048
	global_load_dwordx2 v[59:60], v[65:66], off
                                        ; kill: killed $vgpr61 killed $vgpr62
	s_nop 0
	global_load_dwordx2 v[61:62], v[65:66], off offset:2048
	v_add_co_u32_e32 v65, vcc, 0x6000, v63
	v_addc_co_u32_e32 v66, vcc, 0, v64, vcc
	v_add_co_u32_e32 v69, vcc, 0x7000, v63
	v_addc_co_u32_e32 v70, vcc, 0, v64, vcc
	global_load_dwordx2 v[63:64], v[65:66], off
	s_nop 0
	global_load_dwordx2 v[65:66], v[65:66], off offset:2048
	s_nop 0
	global_load_dwordx2 v[67:68], v[69:70], off
	s_nop 0
	global_load_dwordx2 v[69:70], v[69:70], off offset:2048
	s_mov_b64 s[18:19], 0
.LBB1226_310:                           ;   in Loop: Header=BB1226_308 Depth=2
	s_andn2_b64 vcc, exec, s[18:19]
	s_movk_i32 s20, 0x1000
	s_cbranch_vccnz .LBB1226_329
; %bb.311:                              ;   in Loop: Header=BB1226_308 Depth=2
	s_lshl_b64 s[18:19], s[72:73], 3
	s_add_u32 s18, s78, s18
	s_addc_u32 s19, s79, s19
	v_cmp_gt_u32_e32 vcc, s22, v0
	s_and_saveexec_b64 s[20:21], vcc
	s_cbranch_execnz .LBB1226_361
; %bb.312:                              ;   in Loop: Header=BB1226_308 Depth=2
	s_or_b64 exec, exec, s[20:21]
	v_cmp_gt_u32_e32 vcc, s22, v76
	s_and_saveexec_b64 s[20:21], vcc
	s_cbranch_execnz .LBB1226_362
.LBB1226_313:                           ;   in Loop: Header=BB1226_308 Depth=2
	s_or_b64 exec, exec, s[20:21]
	v_cmp_gt_u32_e32 vcc, s22, v77
	s_and_saveexec_b64 s[20:21], vcc
	s_cbranch_execnz .LBB1226_363
.LBB1226_314:                           ;   in Loop: Header=BB1226_308 Depth=2
	s_or_b64 exec, exec, s[20:21]
	v_cmp_gt_u32_e32 vcc, s22, v78
	s_and_saveexec_b64 s[20:21], vcc
	s_cbranch_execnz .LBB1226_364
.LBB1226_315:                           ;   in Loop: Header=BB1226_308 Depth=2
	s_or_b64 exec, exec, s[20:21]
	v_cmp_gt_u32_e32 vcc, s22, v81
	s_and_saveexec_b64 s[20:21], vcc
	s_cbranch_execnz .LBB1226_365
.LBB1226_316:                           ;   in Loop: Header=BB1226_308 Depth=2
	s_or_b64 exec, exec, s[20:21]
	v_cmp_gt_u32_e32 vcc, s22, v82
	s_and_saveexec_b64 s[20:21], vcc
	s_cbranch_execnz .LBB1226_366
.LBB1226_317:                           ;   in Loop: Header=BB1226_308 Depth=2
	s_or_b64 exec, exec, s[20:21]
	v_cmp_gt_u32_e32 vcc, s22, v83
	s_and_saveexec_b64 s[20:21], vcc
	s_cbranch_execnz .LBB1226_367
.LBB1226_318:                           ;   in Loop: Header=BB1226_308 Depth=2
	s_or_b64 exec, exec, s[20:21]
	v_cmp_gt_u32_e32 vcc, s22, v84
	s_and_saveexec_b64 s[20:21], vcc
	s_cbranch_execnz .LBB1226_368
.LBB1226_319:                           ;   in Loop: Header=BB1226_308 Depth=2
	s_or_b64 exec, exec, s[20:21]
	v_cmp_gt_u32_e32 vcc, s22, v85
	s_and_saveexec_b64 s[20:21], vcc
	s_cbranch_execnz .LBB1226_369
.LBB1226_320:                           ;   in Loop: Header=BB1226_308 Depth=2
	s_or_b64 exec, exec, s[20:21]
	v_cmp_gt_u32_e32 vcc, s22, v86
	s_and_saveexec_b64 s[20:21], vcc
	s_cbranch_execnz .LBB1226_370
.LBB1226_321:                           ;   in Loop: Header=BB1226_308 Depth=2
	s_or_b64 exec, exec, s[20:21]
	v_cmp_gt_u32_e32 vcc, s22, v87
	s_and_saveexec_b64 s[20:21], vcc
	s_cbranch_execnz .LBB1226_371
.LBB1226_322:                           ;   in Loop: Header=BB1226_308 Depth=2
	s_or_b64 exec, exec, s[20:21]
	v_cmp_gt_u32_e32 vcc, s22, v88
	s_and_saveexec_b64 s[20:21], vcc
	s_cbranch_execnz .LBB1226_372
.LBB1226_323:                           ;   in Loop: Header=BB1226_308 Depth=2
	s_or_b64 exec, exec, s[20:21]
	v_cmp_gt_u32_e32 vcc, s22, v89
	s_and_saveexec_b64 s[20:21], vcc
	s_cbranch_execnz .LBB1226_373
.LBB1226_324:                           ;   in Loop: Header=BB1226_308 Depth=2
	s_or_b64 exec, exec, s[20:21]
	v_cmp_gt_u32_e32 vcc, s22, v90
	s_and_saveexec_b64 s[20:21], vcc
	s_cbranch_execnz .LBB1226_374
.LBB1226_325:                           ;   in Loop: Header=BB1226_308 Depth=2
	s_or_b64 exec, exec, s[20:21]
	v_cmp_gt_u32_e32 vcc, s22, v91
	s_and_saveexec_b64 s[20:21], vcc
	s_cbranch_execnz .LBB1226_375
.LBB1226_326:                           ;   in Loop: Header=BB1226_308 Depth=2
	s_or_b64 exec, exec, s[20:21]
	v_cmp_gt_u32_e32 vcc, s22, v92
	s_and_saveexec_b64 s[20:21], vcc
	s_cbranch_execz .LBB1226_328
.LBB1226_327:                           ;   in Loop: Header=BB1226_308 Depth=2
	global_load_dwordx2 v[7:8], v134, s[18:19]
.LBB1226_328:                           ;   in Loop: Header=BB1226_308 Depth=2
	s_or_b64 exec, exec, s[20:21]
	s_waitcnt vmcnt(0)
	v_mov_b32_e32 v40, v38
	v_mov_b32_e32 v42, v36
	;; [unrolled: 1-line block ×16, first 2 shown]
	s_mov_b32 s20, s22
	v_mov_b32_e32 v39, v37
	v_mov_b32_e32 v41, v35
	;; [unrolled: 1-line block ×16, first 2 shown]
.LBB1226_329:                           ;   in Loop: Header=BB1226_308 Depth=2
	s_waitcnt vmcnt(0)
	v_mov_b32_e32 v7, v69
	v_mov_b32_e32 v9, v67
	;; [unrolled: 1-line block ×32, first 2 shown]
	v_cmp_gt_u32_e32 vcc, s20, v0
	s_and_saveexec_b64 s[18:19], vcc
	s_cbranch_execnz .LBB1226_345
; %bb.330:                              ;   in Loop: Header=BB1226_308 Depth=2
	s_or_b64 exec, exec, s[18:19]
	v_cmp_gt_u32_e32 vcc, s20, v76
	s_and_saveexec_b64 s[18:19], vcc
	s_cbranch_execnz .LBB1226_346
.LBB1226_331:                           ;   in Loop: Header=BB1226_308 Depth=2
	s_or_b64 exec, exec, s[18:19]
	v_cmp_gt_u32_e32 vcc, s20, v77
	s_and_saveexec_b64 s[18:19], vcc
	s_cbranch_execnz .LBB1226_347
.LBB1226_332:                           ;   in Loop: Header=BB1226_308 Depth=2
	s_or_b64 exec, exec, s[18:19]
	v_cmp_gt_u32_e32 vcc, s20, v78
	s_and_saveexec_b64 s[18:19], vcc
	s_cbranch_execnz .LBB1226_348
.LBB1226_333:                           ;   in Loop: Header=BB1226_308 Depth=2
	s_or_b64 exec, exec, s[18:19]
	v_cmp_gt_u32_e32 vcc, s20, v81
	s_and_saveexec_b64 s[18:19], vcc
	s_cbranch_execnz .LBB1226_349
.LBB1226_334:                           ;   in Loop: Header=BB1226_308 Depth=2
	s_or_b64 exec, exec, s[18:19]
	v_cmp_gt_u32_e32 vcc, s20, v82
	s_and_saveexec_b64 s[18:19], vcc
	s_cbranch_execnz .LBB1226_350
.LBB1226_335:                           ;   in Loop: Header=BB1226_308 Depth=2
	s_or_b64 exec, exec, s[18:19]
	v_cmp_gt_u32_e32 vcc, s20, v83
	s_and_saveexec_b64 s[18:19], vcc
	s_cbranch_execnz .LBB1226_351
.LBB1226_336:                           ;   in Loop: Header=BB1226_308 Depth=2
	s_or_b64 exec, exec, s[18:19]
	v_cmp_gt_u32_e32 vcc, s20, v84
	s_and_saveexec_b64 s[18:19], vcc
	s_cbranch_execnz .LBB1226_352
.LBB1226_337:                           ;   in Loop: Header=BB1226_308 Depth=2
	s_or_b64 exec, exec, s[18:19]
	v_cmp_gt_u32_e32 vcc, s20, v85
	s_and_saveexec_b64 s[18:19], vcc
	s_cbranch_execnz .LBB1226_353
.LBB1226_338:                           ;   in Loop: Header=BB1226_308 Depth=2
	s_or_b64 exec, exec, s[18:19]
	v_cmp_gt_u32_e32 vcc, s20, v86
	s_and_saveexec_b64 s[18:19], vcc
	s_cbranch_execnz .LBB1226_354
.LBB1226_339:                           ;   in Loop: Header=BB1226_308 Depth=2
	s_or_b64 exec, exec, s[18:19]
	v_cmp_gt_u32_e32 vcc, s20, v87
	s_and_saveexec_b64 s[18:19], vcc
	s_cbranch_execnz .LBB1226_355
.LBB1226_340:                           ;   in Loop: Header=BB1226_308 Depth=2
	s_or_b64 exec, exec, s[18:19]
	v_cmp_gt_u32_e32 vcc, s20, v88
	s_and_saveexec_b64 s[18:19], vcc
	s_cbranch_execnz .LBB1226_356
.LBB1226_341:                           ;   in Loop: Header=BB1226_308 Depth=2
	s_or_b64 exec, exec, s[18:19]
	v_cmp_gt_u32_e32 vcc, s20, v89
	s_and_saveexec_b64 s[18:19], vcc
	s_cbranch_execnz .LBB1226_357
.LBB1226_342:                           ;   in Loop: Header=BB1226_308 Depth=2
	s_or_b64 exec, exec, s[18:19]
	v_cmp_gt_u32_e32 vcc, s20, v90
	s_and_saveexec_b64 s[18:19], vcc
	s_cbranch_execnz .LBB1226_358
.LBB1226_343:                           ;   in Loop: Header=BB1226_308 Depth=2
	s_or_b64 exec, exec, s[18:19]
	v_cmp_gt_u32_e32 vcc, s20, v91
	s_and_saveexec_b64 s[18:19], vcc
	s_cbranch_execnz .LBB1226_359
.LBB1226_344:                           ;   in Loop: Header=BB1226_308 Depth=2
	s_or_b64 exec, exec, s[18:19]
	v_cmp_gt_u32_e32 vcc, s20, v92
	s_and_saveexec_b64 s[18:19], vcc
	s_cbranch_execz .LBB1226_307
	s_branch .LBB1226_360
.LBB1226_345:                           ;   in Loop: Header=BB1226_308 Depth=2
	v_cmp_lt_i64_e32 vcc, -1, v[37:38]
	v_ashrrev_i32_e32 v39, 31, v38
	v_cndmask_b32_e32 v4, -1, v135, vcc
	v_xor_b32_e32 v40, v4, v38
	v_xor_b32_e32 v39, v39, v37
	v_cmp_ne_u64_e32 vcc, s[82:83], v[39:40]
	v_cndmask_b32_e32 v40, v135, v40, vcc
	v_cndmask_b32_e32 v39, 0, v39, vcc
	v_lshrrev_b64 v[39:40], s88, v[39:40]
	v_and_b32_e32 v4, s97, v39
	v_lshl_or_b32 v4, v4, 4, v93
	ds_add_u32 v4, v119
	s_or_b64 exec, exec, s[18:19]
	v_cmp_gt_u32_e32 vcc, s20, v76
	s_and_saveexec_b64 s[18:19], vcc
	s_cbranch_execz .LBB1226_331
.LBB1226_346:                           ;   in Loop: Header=BB1226_308 Depth=2
	v_cmp_lt_i64_e32 vcc, -1, v[35:36]
	v_ashrrev_i32_e32 v39, 31, v36
	v_cndmask_b32_e32 v4, -1, v135, vcc
	v_xor_b32_e32 v40, v4, v36
	v_xor_b32_e32 v39, v39, v35
	v_cmp_ne_u64_e32 vcc, s[82:83], v[39:40]
	v_cndmask_b32_e32 v40, v135, v40, vcc
	v_cndmask_b32_e32 v39, 0, v39, vcc
	v_lshrrev_b64 v[39:40], s88, v[39:40]
	v_and_b32_e32 v4, s97, v39
	v_lshl_or_b32 v4, v4, 4, v93
	ds_add_u32 v4, v119
	s_or_b64 exec, exec, s[18:19]
	v_cmp_gt_u32_e32 vcc, s20, v77
	s_and_saveexec_b64 s[18:19], vcc
	s_cbranch_execz .LBB1226_332
.LBB1226_347:                           ;   in Loop: Header=BB1226_308 Depth=2
	v_cmp_lt_i64_e32 vcc, -1, v[33:34]
	v_ashrrev_i32_e32 v39, 31, v34
	v_cndmask_b32_e32 v4, -1, v135, vcc
	v_xor_b32_e32 v40, v4, v34
	v_xor_b32_e32 v39, v39, v33
	v_cmp_ne_u64_e32 vcc, s[82:83], v[39:40]
	v_cndmask_b32_e32 v40, v135, v40, vcc
	v_cndmask_b32_e32 v39, 0, v39, vcc
	v_lshrrev_b64 v[39:40], s88, v[39:40]
	v_and_b32_e32 v4, s97, v39
	v_lshl_or_b32 v4, v4, 4, v93
	ds_add_u32 v4, v119
	s_or_b64 exec, exec, s[18:19]
	v_cmp_gt_u32_e32 vcc, s20, v78
	s_and_saveexec_b64 s[18:19], vcc
	s_cbranch_execz .LBB1226_333
.LBB1226_348:                           ;   in Loop: Header=BB1226_308 Depth=2
	v_cmp_lt_i64_e32 vcc, -1, v[31:32]
	v_ashrrev_i32_e32 v39, 31, v32
	v_cndmask_b32_e32 v4, -1, v135, vcc
	v_xor_b32_e32 v40, v4, v32
	v_xor_b32_e32 v39, v39, v31
	v_cmp_ne_u64_e32 vcc, s[82:83], v[39:40]
	v_cndmask_b32_e32 v40, v135, v40, vcc
	v_cndmask_b32_e32 v39, 0, v39, vcc
	v_lshrrev_b64 v[39:40], s88, v[39:40]
	v_and_b32_e32 v4, s97, v39
	v_lshl_or_b32 v4, v4, 4, v93
	ds_add_u32 v4, v119
	s_or_b64 exec, exec, s[18:19]
	v_cmp_gt_u32_e32 vcc, s20, v81
	s_and_saveexec_b64 s[18:19], vcc
	s_cbranch_execz .LBB1226_334
.LBB1226_349:                           ;   in Loop: Header=BB1226_308 Depth=2
	v_cmp_lt_i64_e32 vcc, -1, v[29:30]
	v_ashrrev_i32_e32 v39, 31, v30
	v_cndmask_b32_e32 v4, -1, v135, vcc
	v_xor_b32_e32 v40, v4, v30
	v_xor_b32_e32 v39, v39, v29
	v_cmp_ne_u64_e32 vcc, s[82:83], v[39:40]
	v_cndmask_b32_e32 v40, v135, v40, vcc
	v_cndmask_b32_e32 v39, 0, v39, vcc
	v_lshrrev_b64 v[39:40], s88, v[39:40]
	v_and_b32_e32 v4, s97, v39
	v_lshl_or_b32 v4, v4, 4, v93
	ds_add_u32 v4, v119
	s_or_b64 exec, exec, s[18:19]
	v_cmp_gt_u32_e32 vcc, s20, v82
	s_and_saveexec_b64 s[18:19], vcc
	s_cbranch_execz .LBB1226_335
.LBB1226_350:                           ;   in Loop: Header=BB1226_308 Depth=2
	v_cmp_lt_i64_e32 vcc, -1, v[27:28]
	v_ashrrev_i32_e32 v39, 31, v28
	v_cndmask_b32_e32 v4, -1, v135, vcc
	v_xor_b32_e32 v40, v4, v28
	v_xor_b32_e32 v39, v39, v27
	v_cmp_ne_u64_e32 vcc, s[82:83], v[39:40]
	v_cndmask_b32_e32 v40, v135, v40, vcc
	v_cndmask_b32_e32 v39, 0, v39, vcc
	v_lshrrev_b64 v[39:40], s88, v[39:40]
	v_and_b32_e32 v4, s97, v39
	v_lshl_or_b32 v4, v4, 4, v93
	ds_add_u32 v4, v119
	s_or_b64 exec, exec, s[18:19]
	v_cmp_gt_u32_e32 vcc, s20, v83
	s_and_saveexec_b64 s[18:19], vcc
	s_cbranch_execz .LBB1226_336
.LBB1226_351:                           ;   in Loop: Header=BB1226_308 Depth=2
	v_cmp_lt_i64_e32 vcc, -1, v[25:26]
	v_ashrrev_i32_e32 v39, 31, v26
	v_cndmask_b32_e32 v4, -1, v135, vcc
	v_xor_b32_e32 v40, v4, v26
	v_xor_b32_e32 v39, v39, v25
	v_cmp_ne_u64_e32 vcc, s[82:83], v[39:40]
	v_cndmask_b32_e32 v40, v135, v40, vcc
	v_cndmask_b32_e32 v39, 0, v39, vcc
	v_lshrrev_b64 v[39:40], s88, v[39:40]
	v_and_b32_e32 v4, s97, v39
	v_lshl_or_b32 v4, v4, 4, v93
	ds_add_u32 v4, v119
	s_or_b64 exec, exec, s[18:19]
	v_cmp_gt_u32_e32 vcc, s20, v84
	s_and_saveexec_b64 s[18:19], vcc
	s_cbranch_execz .LBB1226_337
.LBB1226_352:                           ;   in Loop: Header=BB1226_308 Depth=2
	v_cmp_lt_i64_e32 vcc, -1, v[23:24]
	v_ashrrev_i32_e32 v39, 31, v24
	v_cndmask_b32_e32 v4, -1, v135, vcc
	v_xor_b32_e32 v40, v4, v24
	v_xor_b32_e32 v39, v39, v23
	v_cmp_ne_u64_e32 vcc, s[82:83], v[39:40]
	v_cndmask_b32_e32 v40, v135, v40, vcc
	v_cndmask_b32_e32 v39, 0, v39, vcc
	v_lshrrev_b64 v[39:40], s88, v[39:40]
	v_and_b32_e32 v4, s97, v39
	v_lshl_or_b32 v4, v4, 4, v93
	ds_add_u32 v4, v119
	s_or_b64 exec, exec, s[18:19]
	v_cmp_gt_u32_e32 vcc, s20, v85
	s_and_saveexec_b64 s[18:19], vcc
	s_cbranch_execz .LBB1226_338
.LBB1226_353:                           ;   in Loop: Header=BB1226_308 Depth=2
	v_cmp_lt_i64_e32 vcc, -1, v[21:22]
	v_ashrrev_i32_e32 v39, 31, v22
	v_cndmask_b32_e32 v4, -1, v135, vcc
	v_xor_b32_e32 v40, v4, v22
	v_xor_b32_e32 v39, v39, v21
	v_cmp_ne_u64_e32 vcc, s[82:83], v[39:40]
	v_cndmask_b32_e32 v40, v135, v40, vcc
	v_cndmask_b32_e32 v39, 0, v39, vcc
	v_lshrrev_b64 v[39:40], s88, v[39:40]
	v_and_b32_e32 v4, s97, v39
	v_lshl_or_b32 v4, v4, 4, v93
	ds_add_u32 v4, v119
	s_or_b64 exec, exec, s[18:19]
	v_cmp_gt_u32_e32 vcc, s20, v86
	s_and_saveexec_b64 s[18:19], vcc
	s_cbranch_execz .LBB1226_339
.LBB1226_354:                           ;   in Loop: Header=BB1226_308 Depth=2
	v_cmp_lt_i64_e32 vcc, -1, v[19:20]
	v_ashrrev_i32_e32 v39, 31, v20
	v_cndmask_b32_e32 v4, -1, v135, vcc
	v_xor_b32_e32 v40, v4, v20
	v_xor_b32_e32 v39, v39, v19
	v_cmp_ne_u64_e32 vcc, s[82:83], v[39:40]
	v_cndmask_b32_e32 v40, v135, v40, vcc
	v_cndmask_b32_e32 v39, 0, v39, vcc
	v_lshrrev_b64 v[39:40], s88, v[39:40]
	v_and_b32_e32 v4, s97, v39
	v_lshl_or_b32 v4, v4, 4, v93
	ds_add_u32 v4, v119
	s_or_b64 exec, exec, s[18:19]
	v_cmp_gt_u32_e32 vcc, s20, v87
	s_and_saveexec_b64 s[18:19], vcc
	s_cbranch_execz .LBB1226_340
.LBB1226_355:                           ;   in Loop: Header=BB1226_308 Depth=2
	v_cmp_lt_i64_e32 vcc, -1, v[17:18]
	v_ashrrev_i32_e32 v39, 31, v18
	v_cndmask_b32_e32 v4, -1, v135, vcc
	v_xor_b32_e32 v40, v4, v18
	v_xor_b32_e32 v39, v39, v17
	v_cmp_ne_u64_e32 vcc, s[82:83], v[39:40]
	v_cndmask_b32_e32 v40, v135, v40, vcc
	v_cndmask_b32_e32 v39, 0, v39, vcc
	v_lshrrev_b64 v[39:40], s88, v[39:40]
	v_and_b32_e32 v4, s97, v39
	v_lshl_or_b32 v4, v4, 4, v93
	ds_add_u32 v4, v119
	s_or_b64 exec, exec, s[18:19]
	v_cmp_gt_u32_e32 vcc, s20, v88
	s_and_saveexec_b64 s[18:19], vcc
	s_cbranch_execz .LBB1226_341
.LBB1226_356:                           ;   in Loop: Header=BB1226_308 Depth=2
	v_cmp_lt_i64_e32 vcc, -1, v[15:16]
	v_ashrrev_i32_e32 v39, 31, v16
	v_cndmask_b32_e32 v4, -1, v135, vcc
	v_xor_b32_e32 v40, v4, v16
	v_xor_b32_e32 v39, v39, v15
	v_cmp_ne_u64_e32 vcc, s[82:83], v[39:40]
	v_cndmask_b32_e32 v40, v135, v40, vcc
	v_cndmask_b32_e32 v39, 0, v39, vcc
	v_lshrrev_b64 v[39:40], s88, v[39:40]
	v_and_b32_e32 v4, s97, v39
	v_lshl_or_b32 v4, v4, 4, v93
	ds_add_u32 v4, v119
	s_or_b64 exec, exec, s[18:19]
	v_cmp_gt_u32_e32 vcc, s20, v89
	s_and_saveexec_b64 s[18:19], vcc
	s_cbranch_execz .LBB1226_342
.LBB1226_357:                           ;   in Loop: Header=BB1226_308 Depth=2
	v_cmp_lt_i64_e32 vcc, -1, v[13:14]
	v_ashrrev_i32_e32 v39, 31, v14
	v_cndmask_b32_e32 v4, -1, v135, vcc
	v_xor_b32_e32 v40, v4, v14
	v_xor_b32_e32 v39, v39, v13
	v_cmp_ne_u64_e32 vcc, s[82:83], v[39:40]
	v_cndmask_b32_e32 v40, v135, v40, vcc
	v_cndmask_b32_e32 v39, 0, v39, vcc
	v_lshrrev_b64 v[39:40], s88, v[39:40]
	v_and_b32_e32 v4, s97, v39
	v_lshl_or_b32 v4, v4, 4, v93
	ds_add_u32 v4, v119
	s_or_b64 exec, exec, s[18:19]
	v_cmp_gt_u32_e32 vcc, s20, v90
	s_and_saveexec_b64 s[18:19], vcc
	s_cbranch_execz .LBB1226_343
.LBB1226_358:                           ;   in Loop: Header=BB1226_308 Depth=2
	v_cmp_lt_i64_e32 vcc, -1, v[11:12]
	v_ashrrev_i32_e32 v39, 31, v12
	v_cndmask_b32_e32 v4, -1, v135, vcc
	v_xor_b32_e32 v40, v4, v12
	v_xor_b32_e32 v39, v39, v11
	v_cmp_ne_u64_e32 vcc, s[82:83], v[39:40]
	v_cndmask_b32_e32 v40, v135, v40, vcc
	v_cndmask_b32_e32 v39, 0, v39, vcc
	v_lshrrev_b64 v[39:40], s88, v[39:40]
	v_and_b32_e32 v4, s97, v39
	v_lshl_or_b32 v4, v4, 4, v93
	ds_add_u32 v4, v119
	s_or_b64 exec, exec, s[18:19]
	v_cmp_gt_u32_e32 vcc, s20, v91
	s_and_saveexec_b64 s[18:19], vcc
	s_cbranch_execz .LBB1226_344
.LBB1226_359:                           ;   in Loop: Header=BB1226_308 Depth=2
	v_cmp_lt_i64_e32 vcc, -1, v[9:10]
	v_ashrrev_i32_e32 v39, 31, v10
	v_cndmask_b32_e32 v4, -1, v135, vcc
	v_xor_b32_e32 v40, v4, v10
	v_xor_b32_e32 v39, v39, v9
	v_cmp_ne_u64_e32 vcc, s[82:83], v[39:40]
	v_cndmask_b32_e32 v40, v135, v40, vcc
	v_cndmask_b32_e32 v39, 0, v39, vcc
	v_lshrrev_b64 v[39:40], s88, v[39:40]
	v_and_b32_e32 v4, s97, v39
	v_lshl_or_b32 v4, v4, 4, v93
	ds_add_u32 v4, v119
	s_or_b64 exec, exec, s[18:19]
	v_cmp_gt_u32_e32 vcc, s20, v92
	s_and_saveexec_b64 s[18:19], vcc
	s_cbranch_execz .LBB1226_307
.LBB1226_360:                           ;   in Loop: Header=BB1226_308 Depth=2
	v_cmp_lt_i64_e32 vcc, -1, v[7:8]
	v_ashrrev_i32_e32 v39, 31, v8
	v_cndmask_b32_e32 v4, -1, v135, vcc
	v_xor_b32_e32 v40, v4, v8
	v_xor_b32_e32 v39, v39, v7
	v_cmp_ne_u64_e32 vcc, s[82:83], v[39:40]
	v_cndmask_b32_e32 v40, v135, v40, vcc
	v_cndmask_b32_e32 v39, 0, v39, vcc
	v_lshrrev_b64 v[39:40], s88, v[39:40]
	v_and_b32_e32 v4, s97, v39
	v_lshl_or_b32 v4, v4, 4, v93
	ds_add_u32 v4, v119
	s_branch .LBB1226_307
.LBB1226_361:                           ;   in Loop: Header=BB1226_308 Depth=2
	global_load_dwordx2 v[37:38], v120, s[18:19]
	s_or_b64 exec, exec, s[20:21]
	v_cmp_gt_u32_e32 vcc, s22, v76
	s_and_saveexec_b64 s[20:21], vcc
	s_cbranch_execz .LBB1226_313
.LBB1226_362:                           ;   in Loop: Header=BB1226_308 Depth=2
	global_load_dwordx2 v[35:36], v120, s[18:19] offset:2048
	s_or_b64 exec, exec, s[20:21]
	v_cmp_gt_u32_e32 vcc, s22, v77
	s_and_saveexec_b64 s[20:21], vcc
	s_cbranch_execz .LBB1226_314
.LBB1226_363:                           ;   in Loop: Header=BB1226_308 Depth=2
	global_load_dwordx2 v[33:34], v121, s[18:19]
	s_or_b64 exec, exec, s[20:21]
	v_cmp_gt_u32_e32 vcc, s22, v78
	s_and_saveexec_b64 s[20:21], vcc
	s_cbranch_execz .LBB1226_315
.LBB1226_364:                           ;   in Loop: Header=BB1226_308 Depth=2
	global_load_dwordx2 v[31:32], v122, s[18:19]
	s_or_b64 exec, exec, s[20:21]
	v_cmp_gt_u32_e32 vcc, s22, v81
	s_and_saveexec_b64 s[20:21], vcc
	s_cbranch_execz .LBB1226_316
.LBB1226_365:                           ;   in Loop: Header=BB1226_308 Depth=2
	global_load_dwordx2 v[29:30], v123, s[18:19]
	s_or_b64 exec, exec, s[20:21]
	v_cmp_gt_u32_e32 vcc, s22, v82
	s_and_saveexec_b64 s[20:21], vcc
	s_cbranch_execz .LBB1226_317
.LBB1226_366:                           ;   in Loop: Header=BB1226_308 Depth=2
	global_load_dwordx2 v[27:28], v124, s[18:19]
	s_or_b64 exec, exec, s[20:21]
	v_cmp_gt_u32_e32 vcc, s22, v83
	s_and_saveexec_b64 s[20:21], vcc
	s_cbranch_execz .LBB1226_318
.LBB1226_367:                           ;   in Loop: Header=BB1226_308 Depth=2
	global_load_dwordx2 v[25:26], v125, s[18:19]
	s_or_b64 exec, exec, s[20:21]
	v_cmp_gt_u32_e32 vcc, s22, v84
	s_and_saveexec_b64 s[20:21], vcc
	s_cbranch_execz .LBB1226_319
.LBB1226_368:                           ;   in Loop: Header=BB1226_308 Depth=2
	global_load_dwordx2 v[23:24], v126, s[18:19]
	s_or_b64 exec, exec, s[20:21]
	v_cmp_gt_u32_e32 vcc, s22, v85
	s_and_saveexec_b64 s[20:21], vcc
	s_cbranch_execz .LBB1226_320
.LBB1226_369:                           ;   in Loop: Header=BB1226_308 Depth=2
	global_load_dwordx2 v[21:22], v127, s[18:19]
	s_or_b64 exec, exec, s[20:21]
	v_cmp_gt_u32_e32 vcc, s22, v86
	s_and_saveexec_b64 s[20:21], vcc
	s_cbranch_execz .LBB1226_321
.LBB1226_370:                           ;   in Loop: Header=BB1226_308 Depth=2
	global_load_dwordx2 v[19:20], v128, s[18:19]
	s_or_b64 exec, exec, s[20:21]
	v_cmp_gt_u32_e32 vcc, s22, v87
	s_and_saveexec_b64 s[20:21], vcc
	s_cbranch_execz .LBB1226_322
.LBB1226_371:                           ;   in Loop: Header=BB1226_308 Depth=2
	global_load_dwordx2 v[17:18], v129, s[18:19]
	s_or_b64 exec, exec, s[20:21]
	v_cmp_gt_u32_e32 vcc, s22, v88
	s_and_saveexec_b64 s[20:21], vcc
	s_cbranch_execz .LBB1226_323
.LBB1226_372:                           ;   in Loop: Header=BB1226_308 Depth=2
	global_load_dwordx2 v[15:16], v130, s[18:19]
	s_or_b64 exec, exec, s[20:21]
	v_cmp_gt_u32_e32 vcc, s22, v89
	s_and_saveexec_b64 s[20:21], vcc
	s_cbranch_execz .LBB1226_324
.LBB1226_373:                           ;   in Loop: Header=BB1226_308 Depth=2
	global_load_dwordx2 v[13:14], v131, s[18:19]
	s_or_b64 exec, exec, s[20:21]
	v_cmp_gt_u32_e32 vcc, s22, v90
	s_and_saveexec_b64 s[20:21], vcc
	s_cbranch_execz .LBB1226_325
.LBB1226_374:                           ;   in Loop: Header=BB1226_308 Depth=2
	global_load_dwordx2 v[11:12], v132, s[18:19]
	s_or_b64 exec, exec, s[20:21]
	v_cmp_gt_u32_e32 vcc, s22, v91
	s_and_saveexec_b64 s[20:21], vcc
	s_cbranch_execz .LBB1226_326
.LBB1226_375:                           ;   in Loop: Header=BB1226_308 Depth=2
	global_load_dwordx2 v[9:10], v133, s[18:19]
	s_or_b64 exec, exec, s[20:21]
	v_cmp_gt_u32_e32 vcc, s22, v92
	s_and_saveexec_b64 s[20:21], vcc
	s_cbranch_execnz .LBB1226_327
	s_branch .LBB1226_328
.LBB1226_376:                           ;   in Loop: Header=BB1226_12 Depth=1
	v_mov_b32_e32 v4, 0
	s_waitcnt lgkmcnt(0)
	s_barrier
	s_and_saveexec_b64 s[18:19], s[4:5]
	s_cbranch_execz .LBB1226_378
; %bb.377:                              ;   in Loop: Header=BB1226_12 Depth=1
	ds_read2_b64 v[7:10], v94 offset1:1
	s_waitcnt lgkmcnt(0)
	v_add_u32_e32 v4, v8, v7
	v_add3_u32 v4, v4, v9, v10
.LBB1226_378:                           ;   in Loop: Header=BB1226_12 Depth=1
	s_or_b64 exec, exec, s[18:19]
	v_and_b32_e32 v7, 15, v136
	v_mov_b32_dpp v8, v4 row_shr:1 row_mask:0xf bank_mask:0xf
	v_cmp_eq_u32_e64 s[18:19], 0, v7
	v_cndmask_b32_e64 v8, v8, 0, s[18:19]
	v_add_u32_e32 v4, v8, v4
	v_cmp_lt_u32_e64 s[20:21], 1, v7
	v_cmp_lt_u32_e64 s[22:23], 3, v7
	v_mov_b32_dpp v8, v4 row_shr:2 row_mask:0xf bank_mask:0xf
	v_cndmask_b32_e64 v8, 0, v8, s[20:21]
	v_add_u32_e32 v4, v4, v8
	v_cmp_lt_u32_e64 s[24:25], 7, v7
	v_cmp_lt_u32_e64 s[28:29], 31, v136
	v_mov_b32_dpp v8, v4 row_shr:4 row_mask:0xf bank_mask:0xf
	v_cndmask_b32_e64 v8, 0, v8, s[22:23]
	v_add_u32_e32 v4, v4, v8
	v_and_b32_e32 v9, 16, v136
	v_cmp_eq_u32_e64 s[26:27], 0, v9
	v_mov_b32_dpp v8, v4 row_shr:8 row_mask:0xf bank_mask:0xf
	v_cndmask_b32_e64 v7, 0, v8, s[24:25]
	v_add_u32_e32 v4, v4, v7
	v_bfe_i32 v8, v136, 4, 1
	s_nop 0
	v_mov_b32_dpp v7, v4 row_bcast:15 row_mask:0xf bank_mask:0xf
	v_and_b32_e32 v7, v8, v7
	v_add_u32_e32 v4, v4, v7
	s_nop 1
	v_mov_b32_dpp v7, v4 row_bcast:31 row_mask:0xf bank_mask:0xf
	v_cndmask_b32_e64 v7, 0, v7, s[28:29]
	v_add_u32_e32 v7, v4, v7
	s_and_saveexec_b64 s[30:31], s[8:9]
; %bb.379:                              ;   in Loop: Header=BB1226_12 Depth=1
	ds_write_b32 v96, v7
; %bb.380:                              ;   in Loop: Header=BB1226_12 Depth=1
	s_or_b64 exec, exec, s[30:31]
	v_and_b32_e32 v4, 3, v136
	s_waitcnt lgkmcnt(0)
	s_barrier
	s_and_saveexec_b64 s[30:31], s[10:11]
	s_cbranch_execz .LBB1226_382
; %bb.381:                              ;   in Loop: Header=BB1226_12 Depth=1
	ds_read_b32 v8, v97
	v_cmp_ne_u32_e32 vcc, 0, v4
	s_waitcnt lgkmcnt(0)
	v_mov_b32_dpp v9, v8 row_shr:1 row_mask:0xf bank_mask:0xf
	v_cndmask_b32_e32 v9, 0, v9, vcc
	v_add_u32_e32 v8, v9, v8
	v_cmp_lt_u32_e32 vcc, 1, v4
	s_nop 0
	v_mov_b32_dpp v9, v8 row_shr:2 row_mask:0xf bank_mask:0xf
	v_cndmask_b32_e32 v9, 0, v9, vcc
	v_add_u32_e32 v8, v8, v9
	ds_write_b32 v97, v8
.LBB1226_382:                           ;   in Loop: Header=BB1226_12 Depth=1
	s_or_b64 exec, exec, s[30:31]
	v_mov_b32_e32 v8, 0
	s_waitcnt lgkmcnt(0)
	s_barrier
	s_and_saveexec_b64 s[30:31], s[12:13]
; %bb.383:                              ;   in Loop: Header=BB1226_12 Depth=1
	ds_read_b32 v8, v98
; %bb.384:                              ;   in Loop: Header=BB1226_12 Depth=1
	s_or_b64 exec, exec, s[30:31]
	v_subrev_co_u32_e64 v9, s[30:31], 1, v136
	v_and_b32_e32 v10, 64, v136
	v_cmp_lt_i32_e32 vcc, v9, v10
	v_cndmask_b32_e32 v9, v9, v136, vcc
	s_waitcnt lgkmcnt(0)
	v_add_u32_e32 v7, v8, v7
	v_lshlrev_b32_e32 v137, 2, v9
	ds_bpermute_b32 v7, v137, v7
	s_waitcnt lgkmcnt(0)
	s_barrier
	s_and_saveexec_b64 s[34:35], s[4:5]
; %bb.385:                              ;   in Loop: Header=BB1226_12 Depth=1
	v_cndmask_b32_e64 v7, v7, v8, s[30:31]
	v_add_u32_e32 v7, s94, v7
	ds_write_b32 v75, v7
; %bb.386:                              ;   in Loop: Header=BB1226_12 Depth=1
	s_or_b64 exec, exec, s[34:35]
	s_load_dwordx2 s[34:35], s[74:75], 0x0
	s_mov_b32 s98, s91
	s_mov_b32 s72, s94
                                        ; implicit-def: $vgpr7_vgpr8
                                        ; implicit-def: $vgpr9_vgpr10
                                        ; implicit-def: $vgpr11_vgpr12
                                        ; implicit-def: $vgpr15_vgpr16
                                        ; implicit-def: $vgpr19_vgpr20
                                        ; implicit-def: $vgpr23_vgpr24
                                        ; implicit-def: $vgpr27_vgpr28
                                        ; implicit-def: $vgpr31_vgpr32
                                        ; implicit-def: $vgpr13_vgpr14
                                        ; implicit-def: $vgpr17_vgpr18
                                        ; implicit-def: $vgpr21_vgpr22
                                        ; implicit-def: $vgpr25_vgpr26
                                        ; implicit-def: $vgpr29_vgpr30
                                        ; implicit-def: $vgpr33_vgpr34
                                        ; implicit-def: $vgpr35_vgpr36
                                        ; implicit-def: $vgpr37_vgpr38
                                        ; implicit-def: $vgpr138
                                        ; implicit-def: $vgpr139
                                        ; implicit-def: $vgpr140
                                        ; implicit-def: $vgpr141
                                        ; implicit-def: $vgpr142
                                        ; implicit-def: $vgpr143
                                        ; implicit-def: $vgpr144
                                        ; implicit-def: $vgpr146
                                        ; implicit-def: $vgpr148
                                        ; implicit-def: $vgpr150
                                        ; implicit-def: $vgpr152
                                        ; implicit-def: $vgpr154
                                        ; implicit-def: $vgpr156
                                        ; implicit-def: $vgpr158
                                        ; implicit-def: $vgpr160
                                        ; implicit-def: $vgpr162
	s_waitcnt lgkmcnt(0)
	s_cmp_lt_u32 s33, s35
	s_cselect_b32 s35, 14, 20
	s_add_u32 s36, s74, s35
	s_addc_u32 s37, s75, 0
	s_cmp_lt_u32 s6, s34
	s_cselect_b32 s34, 12, 18
	s_add_u32 s34, s74, s34
	global_load_ushort v39, v3, s[36:37]
	s_addc_u32 s35, s75, 0
	global_load_ushort v40, v3, s[34:35]
	v_cmp_eq_u32_e64 s[34:35], 0, v4
	v_cmp_lt_u32_e64 s[36:37], 1, v4
	v_and_b32_e32 v4, 63, v136
	v_lshlrev_b32_e32 v41, 3, v4
	v_or_b32_e32 v145, v4, v99
	v_add_co_u32_e32 v147, vcc, v109, v41
	v_addc_co_u32_e32 v149, vcc, 0, v110, vcc
	v_add_co_u32_e32 v172, vcc, v111, v41
	v_or_b32_e32 v151, 64, v145
	v_or_b32_e32 v153, 0x80, v145
	;; [unrolled: 1-line block ×15, first 2 shown]
	v_addc_co_u32_e32 v173, vcc, 0, v112, vcc
	s_waitcnt vmcnt(1)
	v_mad_u32_u24 v4, v2, v39, v1
	s_waitcnt vmcnt(0)
	v_mad_u64_u32 v[39:40], s[38:39], v4, v40, v[0:1]
	v_lshrrev_b32_e32 v4, 4, v39
	v_and_b32_e32 v174, 0xffffffc, v4
	s_branch .LBB1226_388
.LBB1226_387:                           ;   in Loop: Header=BB1226_388 Depth=2
	s_or_b64 exec, exec, s[38:39]
	s_addk_i32 s98, 0xf000
	s_cmp_lt_u32 s99, s95
	s_mov_b32 s72, s99
	s_cbranch_scc0 .LBB1226_596
.LBB1226_388:                           ;   Parent Loop BB1226_12 Depth=1
                                        ; =>  This Inner Loop Header: Depth=2
	s_add_i32 s99, s72, 0x1000
	s_cmp_gt_u32 s99, s95
	s_cbranch_scc1 .LBB1226_390
; %bb.389:                              ;   in Loop: Header=BB1226_388 Depth=2
	s_lshl_b64 s[38:39], s[72:73], 3
	v_mov_b32_e32 v4, s39
	v_add_co_u32_e32 v43, vcc, s38, v172
	v_addc_co_u32_e32 v44, vcc, v173, v4, vcc
	global_load_dwordx2 v[39:40], v[43:44], off
	global_load_dwordx2 v[41:42], v[43:44], off offset:512
	global_load_dwordx2 v[47:48], v[43:44], off offset:1024
	;; [unrolled: 1-line block ×7, first 2 shown]
	v_add_co_u32_e32 v43, vcc, 0x1000, v43
	v_addc_co_u32_e32 v44, vcc, 0, v44, vcc
	global_load_dwordx2 v[69:70], v[43:44], off
	global_load_dwordx2 v[65:66], v[43:44], off offset:512
	global_load_dwordx2 v[61:62], v[43:44], off offset:1024
	;; [unrolled: 1-line block ×5, first 2 shown]
	s_nop 0
	global_load_dwordx2 v[43:44], v[43:44], off offset:3072
	s_mov_b64 s[38:39], -1
	s_movk_i32 s42, 0x1000
	s_cbranch_execz .LBB1226_391
	s_branch .LBB1226_422
.LBB1226_390:                           ;   in Loop: Header=BB1226_388 Depth=2
	s_mov_b64 s[38:39], 0
                                        ; implicit-def: $vgpr39_vgpr40
                                        ; implicit-def: $vgpr41_vgpr42
                                        ; implicit-def: $vgpr47_vgpr48
                                        ; implicit-def: $vgpr51_vgpr52
                                        ; implicit-def: $vgpr55_vgpr56
                                        ; implicit-def: $vgpr59_vgpr60
                                        ; implicit-def: $vgpr63_vgpr64
                                        ; implicit-def: $vgpr67_vgpr68
                                        ; implicit-def: $vgpr69_vgpr70
                                        ; implicit-def: $vgpr65_vgpr66
                                        ; implicit-def: $vgpr61_vgpr62
                                        ; implicit-def: $vgpr57_vgpr58
                                        ; implicit-def: $vgpr53_vgpr54
                                        ; implicit-def: $vgpr49_vgpr50
                                        ; implicit-def: $vgpr43_vgpr44
	s_movk_i32 s42, 0x1000
.LBB1226_391:                           ;   in Loop: Header=BB1226_388 Depth=2
	s_lshl_b64 s[38:39], s[72:73], 3
	v_mov_b32_e32 v4, s39
	v_add_co_u32_e32 v45, vcc, s38, v172
	s_waitcnt vmcnt(13)
	v_mov_b32_e32 v41, v5
	v_addc_co_u32_e32 v46, vcc, v173, v4, vcc
	v_mov_b32_e32 v42, v6
	v_mov_b32_e32 v39, v41
	v_cmp_gt_u32_e32 vcc, s98, v145
	v_mov_b32_e32 v40, v42
	s_and_saveexec_b64 s[38:39], vcc
	s_cbranch_execz .LBB1226_393
; %bb.392:                              ;   in Loop: Header=BB1226_388 Depth=2
	global_load_dwordx2 v[39:40], v[45:46], off
.LBB1226_393:                           ;   in Loop: Header=BB1226_388 Depth=2
	s_or_b64 exec, exec, s[38:39]
	v_cmp_gt_u32_e32 vcc, s98, v151
	s_and_saveexec_b64 s[38:39], vcc
	s_cbranch_execz .LBB1226_395
; %bb.394:                              ;   in Loop: Header=BB1226_388 Depth=2
	global_load_dwordx2 v[41:42], v[45:46], off offset:512
.LBB1226_395:                           ;   in Loop: Header=BB1226_388 Depth=2
	s_or_b64 exec, exec, s[38:39]
	s_waitcnt vmcnt(12)
	v_mov_b32_e32 v48, v6
	v_cmp_gt_u32_e32 vcc, s98, v153
	v_mov_b32_e32 v47, v5
	s_and_saveexec_b64 s[38:39], vcc
	s_cbranch_execz .LBB1226_397
; %bb.396:                              ;   in Loop: Header=BB1226_388 Depth=2
	global_load_dwordx2 v[47:48], v[45:46], off offset:1024
.LBB1226_397:                           ;   in Loop: Header=BB1226_388 Depth=2
	s_or_b64 exec, exec, s[38:39]
	s_waitcnt vmcnt(11)
	v_mov_b32_e32 v52, v6
	v_cmp_gt_u32_e32 vcc, s98, v155
	v_mov_b32_e32 v51, v5
	;; [unrolled: 10-line block ×7, first 2 shown]
	s_and_saveexec_b64 s[38:39], vcc
	s_cbranch_execz .LBB1226_409
; %bb.408:                              ;   in Loop: Header=BB1226_388 Depth=2
	s_waitcnt vmcnt(0)
	v_add_co_u32_e32 v43, vcc, 0x1000, v45
	v_addc_co_u32_e32 v44, vcc, 0, v46, vcc
	global_load_dwordx2 v[69:70], v[43:44], off
.LBB1226_409:                           ;   in Loop: Header=BB1226_388 Depth=2
	s_or_b64 exec, exec, s[38:39]
	s_waitcnt vmcnt(5)
	v_mov_b32_e32 v66, v6
	v_cmp_gt_u32_e32 vcc, s98, v165
	v_mov_b32_e32 v65, v5
	s_and_saveexec_b64 s[38:39], vcc
	s_cbranch_execz .LBB1226_411
; %bb.410:                              ;   in Loop: Header=BB1226_388 Depth=2
	s_waitcnt vmcnt(0)
	v_add_co_u32_e32 v43, vcc, 0x1000, v45
	v_addc_co_u32_e32 v44, vcc, 0, v46, vcc
	global_load_dwordx2 v[65:66], v[43:44], off offset:512
.LBB1226_411:                           ;   in Loop: Header=BB1226_388 Depth=2
	s_or_b64 exec, exec, s[38:39]
	s_waitcnt vmcnt(4)
	v_mov_b32_e32 v62, v6
	v_cmp_gt_u32_e32 vcc, s98, v166
	v_mov_b32_e32 v61, v5
	s_and_saveexec_b64 s[38:39], vcc
	s_cbranch_execz .LBB1226_413
; %bb.412:                              ;   in Loop: Header=BB1226_388 Depth=2
	s_waitcnt vmcnt(0)
	v_add_co_u32_e32 v43, vcc, 0x1000, v45
	v_addc_co_u32_e32 v44, vcc, 0, v46, vcc
	global_load_dwordx2 v[61:62], v[43:44], off offset:1024
.LBB1226_413:                           ;   in Loop: Header=BB1226_388 Depth=2
	;; [unrolled: 13-line block ×5, first 2 shown]
	s_or_b64 exec, exec, s[38:39]
	s_waitcnt vmcnt(0)
	v_mov_b32_e32 v44, v6
	v_cmp_gt_u32_e32 vcc, s98, v170
	v_mov_b32_e32 v43, v5
	s_and_saveexec_b64 s[38:39], vcc
	s_cbranch_execz .LBB1226_421
; %bb.420:                              ;   in Loop: Header=BB1226_388 Depth=2
	v_add_co_u32_e32 v43, vcc, 0x1000, v45
	v_addc_co_u32_e32 v44, vcc, 0, v46, vcc
	global_load_dwordx2 v[43:44], v[43:44], off offset:3072
.LBB1226_421:                           ;   in Loop: Header=BB1226_388 Depth=2
	s_or_b64 exec, exec, s[38:39]
	s_sub_i32 s42, s95, s72
	v_cmp_gt_u32_e64 s[38:39], s98, v171
.LBB1226_422:                           ;   in Loop: Header=BB1226_388 Depth=2
	v_mov_b32_e32 v46, v6
	v_mov_b32_e32 v175, s98
	;; [unrolled: 1-line block ×3, first 2 shown]
	s_and_saveexec_b64 s[40:41], s[38:39]
	s_cbranch_execz .LBB1226_424
; %bb.423:                              ;   in Loop: Header=BB1226_388 Depth=2
	s_lshl_b64 s[38:39], s[72:73], 3
	v_mov_b32_e32 v4, s39
	v_add_co_u32_e32 v45, vcc, s38, v172
	v_addc_co_u32_e32 v4, vcc, v173, v4, vcc
	v_add_co_u32_e32 v45, vcc, 0x1000, v45
	v_addc_co_u32_e32 v46, vcc, 0, v4, vcc
	global_load_dwordx2 v[45:46], v[45:46], off offset:3584
	v_mov_b32_e32 v175, s42
.LBB1226_424:                           ;   in Loop: Header=BB1226_388 Depth=2
	s_or_b64 exec, exec, s[40:41]
	s_waitcnt vmcnt(14)
	v_cmp_lt_i64_e32 vcc, -1, v[39:40]
	v_ashrrev_i32_e32 v71, 31, v40
	v_cndmask_b32_e32 v4, -1, v135, vcc
	v_xor_b32_e32 v40, v4, v40
	v_xor_b32_e32 v39, v71, v39
	v_cmp_ne_u64_e32 vcc, s[82:83], v[39:40]
	v_add_u32_e32 v177, 0x410, v100
	v_cndmask_b32_e32 v72, v135, v40, vcc
	v_cndmask_b32_e32 v71, 0, v39, vcc
	v_lshrrev_b64 v[71:72], s88, v[71:72]
	v_add_u32_e32 v176, 0x418, v100
	v_and_b32_e32 v71, s97, v71
	v_and_b32_e32 v4, 1, v71
	v_add_co_u32_e32 v72, vcc, -1, v4
	v_addc_co_u32_e64 v74, s[38:39], 0, -1, vcc
	v_cmp_ne_u32_e32 vcc, 0, v4
	v_xor_b32_e32 v4, vcc_hi, v74
	v_and_b32_e32 v74, exec_hi, v4
	v_lshlrev_b32_e32 v4, 30, v71
	v_xor_b32_e32 v72, vcc_lo, v72
	v_cmp_gt_i64_e32 vcc, 0, v[3:4]
	v_not_b32_e32 v4, v4
	v_ashrrev_i32_e32 v4, 31, v4
	v_and_b32_e32 v72, exec_lo, v72
	v_xor_b32_e32 v178, vcc_hi, v4
	v_xor_b32_e32 v4, vcc_lo, v4
	v_and_b32_e32 v72, v72, v4
	v_lshlrev_b32_e32 v4, 29, v71
	v_cmp_gt_i64_e32 vcc, 0, v[3:4]
	v_not_b32_e32 v4, v4
	v_ashrrev_i32_e32 v4, 31, v4
	v_and_b32_e32 v74, v74, v178
	v_xor_b32_e32 v178, vcc_hi, v4
	v_xor_b32_e32 v4, vcc_lo, v4
	v_and_b32_e32 v72, v72, v4
	v_lshlrev_b32_e32 v4, 28, v71
	v_cmp_gt_i64_e32 vcc, 0, v[3:4]
	v_not_b32_e32 v4, v4
	v_ashrrev_i32_e32 v4, 31, v4
	v_and_b32_e32 v74, v74, v178
	;; [unrolled: 8-line block ×5, first 2 shown]
	v_xor_b32_e32 v178, vcc_hi, v4
	v_xor_b32_e32 v4, vcc_lo, v4
	v_and_b32_e32 v74, v74, v178
	v_and_b32_e32 v178, v72, v4
	v_lshlrev_b32_e32 v4, 24, v71
	v_cmp_gt_i64_e32 vcc, 0, v[3:4]
	v_not_b32_e32 v4, v4
	v_ashrrev_i32_e32 v4, 31, v4
	v_mul_u32_u24_e32 v73, 20, v71
	v_xor_b32_e32 v71, vcc_hi, v4
	v_xor_b32_e32 v4, vcc_lo, v4
	v_and_b32_e32 v72, v74, v71
	v_and_b32_e32 v71, v178, v4
	v_mbcnt_lo_u32_b32 v4, v71, 0
	v_mbcnt_hi_u32_b32 v178, v72, v4
	v_cmp_ne_u64_e32 vcc, 0, v[71:72]
	v_cmp_eq_u32_e64 s[38:39], 0, v178
	s_and_b64 s[40:41], vcc, s[38:39]
	v_add_u32_e32 v180, v174, v73
	ds_write2_b32 v177, v3, v3 offset1:1
	ds_write2_b32 v176, v3, v3 offset1:1
	ds_write_b32 v100, v3 offset:1056
	s_waitcnt vmcnt(0) lgkmcnt(0)
	s_barrier
	; wave barrier
	s_and_saveexec_b64 s[38:39], s[40:41]
; %bb.425:                              ;   in Loop: Header=BB1226_388 Depth=2
	v_bcnt_u32_b32 v4, v71, 0
	v_bcnt_u32_b32 v4, v72, v4
	ds_write_b32 v180, v4 offset:1040
; %bb.426:                              ;   in Loop: Header=BB1226_388 Depth=2
	s_or_b64 exec, exec, s[38:39]
	v_cmp_lt_i64_e32 vcc, -1, v[41:42]
	v_ashrrev_i32_e32 v71, 31, v42
	v_cndmask_b32_e32 v4, -1, v135, vcc
	v_xor_b32_e32 v42, v4, v42
	v_xor_b32_e32 v41, v71, v41
	v_cmp_ne_u64_e32 vcc, s[82:83], v[41:42]
	v_cndmask_b32_e32 v72, v135, v42, vcc
	v_cndmask_b32_e32 v71, 0, v41, vcc
	v_lshrrev_b64 v[71:72], s88, v[71:72]
	; wave barrier
	v_and_b32_e32 v71, s97, v71
	v_mad_u32_u24 v4, v71, 20, v174
	ds_read_b32 v179, v4 offset:1040
	v_and_b32_e32 v4, 1, v71
	v_add_co_u32_e32 v72, vcc, -1, v4
	v_addc_co_u32_e64 v74, s[38:39], 0, -1, vcc
	v_cmp_ne_u32_e32 vcc, 0, v4
	v_xor_b32_e32 v4, vcc_hi, v74
	v_and_b32_e32 v74, exec_hi, v4
	v_lshlrev_b32_e32 v4, 30, v71
	v_xor_b32_e32 v72, vcc_lo, v72
	v_cmp_gt_i64_e32 vcc, 0, v[3:4]
	v_not_b32_e32 v4, v4
	v_ashrrev_i32_e32 v4, 31, v4
	v_and_b32_e32 v72, exec_lo, v72
	v_xor_b32_e32 v181, vcc_hi, v4
	v_xor_b32_e32 v4, vcc_lo, v4
	v_and_b32_e32 v72, v72, v4
	v_lshlrev_b32_e32 v4, 29, v71
	v_cmp_gt_i64_e32 vcc, 0, v[3:4]
	v_not_b32_e32 v4, v4
	v_ashrrev_i32_e32 v4, 31, v4
	v_and_b32_e32 v74, v74, v181
	v_xor_b32_e32 v181, vcc_hi, v4
	v_xor_b32_e32 v4, vcc_lo, v4
	v_and_b32_e32 v72, v72, v4
	v_lshlrev_b32_e32 v4, 28, v71
	v_cmp_gt_i64_e32 vcc, 0, v[3:4]
	v_not_b32_e32 v4, v4
	v_ashrrev_i32_e32 v4, 31, v4
	v_and_b32_e32 v74, v74, v181
	;; [unrolled: 8-line block ×5, first 2 shown]
	v_xor_b32_e32 v181, vcc_hi, v4
	v_xor_b32_e32 v4, vcc_lo, v4
	v_and_b32_e32 v74, v74, v181
	v_and_b32_e32 v181, v72, v4
	v_lshlrev_b32_e32 v4, 24, v71
	v_cmp_gt_i64_e32 vcc, 0, v[3:4]
	v_not_b32_e32 v4, v4
	v_ashrrev_i32_e32 v4, 31, v4
	v_mul_u32_u24_e32 v73, 20, v71
	v_xor_b32_e32 v71, vcc_hi, v4
	v_xor_b32_e32 v4, vcc_lo, v4
	v_and_b32_e32 v72, v74, v71
	v_and_b32_e32 v71, v181, v4
	v_mbcnt_lo_u32_b32 v4, v71, 0
	v_mbcnt_hi_u32_b32 v181, v72, v4
	v_cmp_ne_u64_e32 vcc, 0, v[71:72]
	v_cmp_eq_u32_e64 s[38:39], 0, v181
	s_and_b64 s[40:41], vcc, s[38:39]
	v_add_u32_e32 v183, v174, v73
	; wave barrier
	s_and_saveexec_b64 s[38:39], s[40:41]
	s_cbranch_execz .LBB1226_428
; %bb.427:                              ;   in Loop: Header=BB1226_388 Depth=2
	v_bcnt_u32_b32 v4, v71, 0
	v_bcnt_u32_b32 v4, v72, v4
	s_waitcnt lgkmcnt(0)
	v_add_u32_e32 v4, v179, v4
	ds_write_b32 v183, v4 offset:1040
.LBB1226_428:                           ;   in Loop: Header=BB1226_388 Depth=2
	s_or_b64 exec, exec, s[38:39]
	v_cmp_lt_i64_e32 vcc, -1, v[47:48]
	v_ashrrev_i32_e32 v71, 31, v48
	v_cndmask_b32_e32 v4, -1, v135, vcc
	v_xor_b32_e32 v48, v4, v48
	v_xor_b32_e32 v47, v71, v47
	v_cmp_ne_u64_e32 vcc, s[82:83], v[47:48]
	v_cndmask_b32_e32 v72, v135, v48, vcc
	v_cndmask_b32_e32 v71, 0, v47, vcc
	v_lshrrev_b64 v[71:72], s88, v[71:72]
	; wave barrier
	v_and_b32_e32 v71, s97, v71
	v_mad_u32_u24 v4, v71, 20, v174
	ds_read_b32 v182, v4 offset:1040
	v_and_b32_e32 v4, 1, v71
	v_add_co_u32_e32 v72, vcc, -1, v4
	v_addc_co_u32_e64 v74, s[38:39], 0, -1, vcc
	v_cmp_ne_u32_e32 vcc, 0, v4
	v_xor_b32_e32 v4, vcc_hi, v74
	v_and_b32_e32 v74, exec_hi, v4
	v_lshlrev_b32_e32 v4, 30, v71
	v_xor_b32_e32 v72, vcc_lo, v72
	v_cmp_gt_i64_e32 vcc, 0, v[3:4]
	v_not_b32_e32 v4, v4
	v_ashrrev_i32_e32 v4, 31, v4
	v_and_b32_e32 v72, exec_lo, v72
	v_xor_b32_e32 v184, vcc_hi, v4
	v_xor_b32_e32 v4, vcc_lo, v4
	v_and_b32_e32 v72, v72, v4
	v_lshlrev_b32_e32 v4, 29, v71
	v_cmp_gt_i64_e32 vcc, 0, v[3:4]
	v_not_b32_e32 v4, v4
	v_ashrrev_i32_e32 v4, 31, v4
	v_and_b32_e32 v74, v74, v184
	v_xor_b32_e32 v184, vcc_hi, v4
	v_xor_b32_e32 v4, vcc_lo, v4
	v_and_b32_e32 v72, v72, v4
	v_lshlrev_b32_e32 v4, 28, v71
	v_cmp_gt_i64_e32 vcc, 0, v[3:4]
	v_not_b32_e32 v4, v4
	v_ashrrev_i32_e32 v4, 31, v4
	v_and_b32_e32 v74, v74, v184
	;; [unrolled: 8-line block ×5, first 2 shown]
	v_xor_b32_e32 v184, vcc_hi, v4
	v_xor_b32_e32 v4, vcc_lo, v4
	v_and_b32_e32 v74, v74, v184
	v_and_b32_e32 v184, v72, v4
	v_lshlrev_b32_e32 v4, 24, v71
	v_cmp_gt_i64_e32 vcc, 0, v[3:4]
	v_not_b32_e32 v4, v4
	v_ashrrev_i32_e32 v4, 31, v4
	v_mul_u32_u24_e32 v73, 20, v71
	v_xor_b32_e32 v71, vcc_hi, v4
	v_xor_b32_e32 v4, vcc_lo, v4
	v_and_b32_e32 v72, v74, v71
	v_and_b32_e32 v71, v184, v4
	v_mbcnt_lo_u32_b32 v4, v71, 0
	v_mbcnt_hi_u32_b32 v184, v72, v4
	v_cmp_ne_u64_e32 vcc, 0, v[71:72]
	v_cmp_eq_u32_e64 s[38:39], 0, v184
	s_and_b64 s[40:41], vcc, s[38:39]
	v_add_u32_e32 v186, v174, v73
	; wave barrier
	s_and_saveexec_b64 s[38:39], s[40:41]
	s_cbranch_execz .LBB1226_430
; %bb.429:                              ;   in Loop: Header=BB1226_388 Depth=2
	v_bcnt_u32_b32 v4, v71, 0
	v_bcnt_u32_b32 v4, v72, v4
	s_waitcnt lgkmcnt(0)
	v_add_u32_e32 v4, v182, v4
	ds_write_b32 v186, v4 offset:1040
.LBB1226_430:                           ;   in Loop: Header=BB1226_388 Depth=2
	s_or_b64 exec, exec, s[38:39]
	v_cmp_lt_i64_e32 vcc, -1, v[51:52]
	v_ashrrev_i32_e32 v71, 31, v52
	v_cndmask_b32_e32 v4, -1, v135, vcc
	v_xor_b32_e32 v52, v4, v52
	v_xor_b32_e32 v51, v71, v51
	v_cmp_ne_u64_e32 vcc, s[82:83], v[51:52]
	v_cndmask_b32_e32 v72, v135, v52, vcc
	v_cndmask_b32_e32 v71, 0, v51, vcc
	v_lshrrev_b64 v[71:72], s88, v[71:72]
	; wave barrier
	v_and_b32_e32 v71, s97, v71
	v_mad_u32_u24 v4, v71, 20, v174
	ds_read_b32 v185, v4 offset:1040
	v_and_b32_e32 v4, 1, v71
	v_add_co_u32_e32 v72, vcc, -1, v4
	v_addc_co_u32_e64 v74, s[38:39], 0, -1, vcc
	v_cmp_ne_u32_e32 vcc, 0, v4
	v_xor_b32_e32 v4, vcc_hi, v74
	v_and_b32_e32 v74, exec_hi, v4
	v_lshlrev_b32_e32 v4, 30, v71
	v_xor_b32_e32 v72, vcc_lo, v72
	v_cmp_gt_i64_e32 vcc, 0, v[3:4]
	v_not_b32_e32 v4, v4
	v_ashrrev_i32_e32 v4, 31, v4
	v_and_b32_e32 v72, exec_lo, v72
	v_xor_b32_e32 v187, vcc_hi, v4
	v_xor_b32_e32 v4, vcc_lo, v4
	v_and_b32_e32 v72, v72, v4
	v_lshlrev_b32_e32 v4, 29, v71
	v_cmp_gt_i64_e32 vcc, 0, v[3:4]
	v_not_b32_e32 v4, v4
	v_ashrrev_i32_e32 v4, 31, v4
	v_and_b32_e32 v74, v74, v187
	v_xor_b32_e32 v187, vcc_hi, v4
	v_xor_b32_e32 v4, vcc_lo, v4
	v_and_b32_e32 v72, v72, v4
	v_lshlrev_b32_e32 v4, 28, v71
	v_cmp_gt_i64_e32 vcc, 0, v[3:4]
	v_not_b32_e32 v4, v4
	v_ashrrev_i32_e32 v4, 31, v4
	v_and_b32_e32 v74, v74, v187
	;; [unrolled: 8-line block ×5, first 2 shown]
	v_xor_b32_e32 v187, vcc_hi, v4
	v_xor_b32_e32 v4, vcc_lo, v4
	v_and_b32_e32 v74, v74, v187
	v_and_b32_e32 v187, v72, v4
	v_lshlrev_b32_e32 v4, 24, v71
	v_cmp_gt_i64_e32 vcc, 0, v[3:4]
	v_not_b32_e32 v4, v4
	v_ashrrev_i32_e32 v4, 31, v4
	v_mul_u32_u24_e32 v73, 20, v71
	v_xor_b32_e32 v71, vcc_hi, v4
	v_xor_b32_e32 v4, vcc_lo, v4
	v_and_b32_e32 v72, v74, v71
	v_and_b32_e32 v71, v187, v4
	v_mbcnt_lo_u32_b32 v4, v71, 0
	v_mbcnt_hi_u32_b32 v187, v72, v4
	v_cmp_ne_u64_e32 vcc, 0, v[71:72]
	v_cmp_eq_u32_e64 s[38:39], 0, v187
	s_and_b64 s[40:41], vcc, s[38:39]
	v_add_u32_e32 v189, v174, v73
	; wave barrier
	s_and_saveexec_b64 s[38:39], s[40:41]
	s_cbranch_execz .LBB1226_432
; %bb.431:                              ;   in Loop: Header=BB1226_388 Depth=2
	v_bcnt_u32_b32 v4, v71, 0
	v_bcnt_u32_b32 v4, v72, v4
	s_waitcnt lgkmcnt(0)
	v_add_u32_e32 v4, v185, v4
	ds_write_b32 v189, v4 offset:1040
.LBB1226_432:                           ;   in Loop: Header=BB1226_388 Depth=2
	s_or_b64 exec, exec, s[38:39]
	v_cmp_lt_i64_e32 vcc, -1, v[55:56]
	v_ashrrev_i32_e32 v71, 31, v56
	v_cndmask_b32_e32 v4, -1, v135, vcc
	v_xor_b32_e32 v56, v4, v56
	v_xor_b32_e32 v55, v71, v55
	v_cmp_ne_u64_e32 vcc, s[82:83], v[55:56]
	v_cndmask_b32_e32 v72, v135, v56, vcc
	v_cndmask_b32_e32 v71, 0, v55, vcc
	v_lshrrev_b64 v[71:72], s88, v[71:72]
	; wave barrier
	v_and_b32_e32 v71, s97, v71
	v_mad_u32_u24 v4, v71, 20, v174
	ds_read_b32 v188, v4 offset:1040
	v_and_b32_e32 v4, 1, v71
	v_add_co_u32_e32 v72, vcc, -1, v4
	v_addc_co_u32_e64 v74, s[38:39], 0, -1, vcc
	v_cmp_ne_u32_e32 vcc, 0, v4
	v_xor_b32_e32 v4, vcc_hi, v74
	v_and_b32_e32 v74, exec_hi, v4
	v_lshlrev_b32_e32 v4, 30, v71
	v_xor_b32_e32 v72, vcc_lo, v72
	v_cmp_gt_i64_e32 vcc, 0, v[3:4]
	v_not_b32_e32 v4, v4
	v_ashrrev_i32_e32 v4, 31, v4
	v_and_b32_e32 v72, exec_lo, v72
	v_xor_b32_e32 v190, vcc_hi, v4
	v_xor_b32_e32 v4, vcc_lo, v4
	v_and_b32_e32 v72, v72, v4
	v_lshlrev_b32_e32 v4, 29, v71
	v_cmp_gt_i64_e32 vcc, 0, v[3:4]
	v_not_b32_e32 v4, v4
	v_ashrrev_i32_e32 v4, 31, v4
	v_and_b32_e32 v74, v74, v190
	v_xor_b32_e32 v190, vcc_hi, v4
	v_xor_b32_e32 v4, vcc_lo, v4
	v_and_b32_e32 v72, v72, v4
	v_lshlrev_b32_e32 v4, 28, v71
	v_cmp_gt_i64_e32 vcc, 0, v[3:4]
	v_not_b32_e32 v4, v4
	v_ashrrev_i32_e32 v4, 31, v4
	v_and_b32_e32 v74, v74, v190
	;; [unrolled: 8-line block ×5, first 2 shown]
	v_xor_b32_e32 v190, vcc_hi, v4
	v_xor_b32_e32 v4, vcc_lo, v4
	v_and_b32_e32 v74, v74, v190
	v_and_b32_e32 v190, v72, v4
	v_lshlrev_b32_e32 v4, 24, v71
	v_cmp_gt_i64_e32 vcc, 0, v[3:4]
	v_not_b32_e32 v4, v4
	v_ashrrev_i32_e32 v4, 31, v4
	v_mul_u32_u24_e32 v73, 20, v71
	v_xor_b32_e32 v71, vcc_hi, v4
	v_xor_b32_e32 v4, vcc_lo, v4
	v_and_b32_e32 v72, v74, v71
	v_and_b32_e32 v71, v190, v4
	v_mbcnt_lo_u32_b32 v4, v71, 0
	v_mbcnt_hi_u32_b32 v190, v72, v4
	v_cmp_ne_u64_e32 vcc, 0, v[71:72]
	v_cmp_eq_u32_e64 s[38:39], 0, v190
	s_and_b64 s[40:41], vcc, s[38:39]
	v_add_u32_e32 v192, v174, v73
	; wave barrier
	s_and_saveexec_b64 s[38:39], s[40:41]
	s_cbranch_execz .LBB1226_434
; %bb.433:                              ;   in Loop: Header=BB1226_388 Depth=2
	v_bcnt_u32_b32 v4, v71, 0
	v_bcnt_u32_b32 v4, v72, v4
	s_waitcnt lgkmcnt(0)
	v_add_u32_e32 v4, v188, v4
	ds_write_b32 v192, v4 offset:1040
.LBB1226_434:                           ;   in Loop: Header=BB1226_388 Depth=2
	s_or_b64 exec, exec, s[38:39]
	v_cmp_lt_i64_e32 vcc, -1, v[59:60]
	v_ashrrev_i32_e32 v71, 31, v60
	v_cndmask_b32_e32 v4, -1, v135, vcc
	v_xor_b32_e32 v60, v4, v60
	v_xor_b32_e32 v59, v71, v59
	v_cmp_ne_u64_e32 vcc, s[82:83], v[59:60]
	v_cndmask_b32_e32 v72, v135, v60, vcc
	v_cndmask_b32_e32 v71, 0, v59, vcc
	v_lshrrev_b64 v[71:72], s88, v[71:72]
	; wave barrier
	v_and_b32_e32 v71, s97, v71
	v_mad_u32_u24 v4, v71, 20, v174
	ds_read_b32 v191, v4 offset:1040
	v_and_b32_e32 v4, 1, v71
	v_add_co_u32_e32 v72, vcc, -1, v4
	v_addc_co_u32_e64 v74, s[38:39], 0, -1, vcc
	v_cmp_ne_u32_e32 vcc, 0, v4
	v_xor_b32_e32 v4, vcc_hi, v74
	v_and_b32_e32 v74, exec_hi, v4
	v_lshlrev_b32_e32 v4, 30, v71
	v_xor_b32_e32 v72, vcc_lo, v72
	v_cmp_gt_i64_e32 vcc, 0, v[3:4]
	v_not_b32_e32 v4, v4
	v_ashrrev_i32_e32 v4, 31, v4
	v_and_b32_e32 v72, exec_lo, v72
	v_xor_b32_e32 v193, vcc_hi, v4
	v_xor_b32_e32 v4, vcc_lo, v4
	v_and_b32_e32 v72, v72, v4
	v_lshlrev_b32_e32 v4, 29, v71
	v_cmp_gt_i64_e32 vcc, 0, v[3:4]
	v_not_b32_e32 v4, v4
	v_ashrrev_i32_e32 v4, 31, v4
	v_and_b32_e32 v74, v74, v193
	v_xor_b32_e32 v193, vcc_hi, v4
	v_xor_b32_e32 v4, vcc_lo, v4
	v_and_b32_e32 v72, v72, v4
	v_lshlrev_b32_e32 v4, 28, v71
	v_cmp_gt_i64_e32 vcc, 0, v[3:4]
	v_not_b32_e32 v4, v4
	v_ashrrev_i32_e32 v4, 31, v4
	v_and_b32_e32 v74, v74, v193
	;; [unrolled: 8-line block ×5, first 2 shown]
	v_xor_b32_e32 v193, vcc_hi, v4
	v_xor_b32_e32 v4, vcc_lo, v4
	v_and_b32_e32 v74, v74, v193
	v_and_b32_e32 v193, v72, v4
	v_lshlrev_b32_e32 v4, 24, v71
	v_cmp_gt_i64_e32 vcc, 0, v[3:4]
	v_not_b32_e32 v4, v4
	v_ashrrev_i32_e32 v4, 31, v4
	v_mul_u32_u24_e32 v73, 20, v71
	v_xor_b32_e32 v71, vcc_hi, v4
	v_xor_b32_e32 v4, vcc_lo, v4
	v_and_b32_e32 v72, v74, v71
	v_and_b32_e32 v71, v193, v4
	v_mbcnt_lo_u32_b32 v4, v71, 0
	v_mbcnt_hi_u32_b32 v193, v72, v4
	v_cmp_ne_u64_e32 vcc, 0, v[71:72]
	v_cmp_eq_u32_e64 s[38:39], 0, v193
	s_and_b64 s[40:41], vcc, s[38:39]
	v_add_u32_e32 v195, v174, v73
	; wave barrier
	s_and_saveexec_b64 s[38:39], s[40:41]
	s_cbranch_execz .LBB1226_436
; %bb.435:                              ;   in Loop: Header=BB1226_388 Depth=2
	v_bcnt_u32_b32 v4, v71, 0
	v_bcnt_u32_b32 v4, v72, v4
	s_waitcnt lgkmcnt(0)
	v_add_u32_e32 v4, v191, v4
	ds_write_b32 v195, v4 offset:1040
.LBB1226_436:                           ;   in Loop: Header=BB1226_388 Depth=2
	s_or_b64 exec, exec, s[38:39]
	v_cmp_lt_i64_e32 vcc, -1, v[63:64]
	v_ashrrev_i32_e32 v71, 31, v64
	v_cndmask_b32_e32 v4, -1, v135, vcc
	v_xor_b32_e32 v64, v4, v64
	v_xor_b32_e32 v63, v71, v63
	v_cmp_ne_u64_e32 vcc, s[82:83], v[63:64]
	v_cndmask_b32_e32 v72, v135, v64, vcc
	v_cndmask_b32_e32 v71, 0, v63, vcc
	v_lshrrev_b64 v[71:72], s88, v[71:72]
	; wave barrier
	v_and_b32_e32 v71, s97, v71
	v_mad_u32_u24 v4, v71, 20, v174
	ds_read_b32 v194, v4 offset:1040
	v_and_b32_e32 v4, 1, v71
	v_add_co_u32_e32 v72, vcc, -1, v4
	v_addc_co_u32_e64 v74, s[38:39], 0, -1, vcc
	v_cmp_ne_u32_e32 vcc, 0, v4
	v_xor_b32_e32 v4, vcc_hi, v74
	v_and_b32_e32 v74, exec_hi, v4
	v_lshlrev_b32_e32 v4, 30, v71
	v_xor_b32_e32 v72, vcc_lo, v72
	v_cmp_gt_i64_e32 vcc, 0, v[3:4]
	v_not_b32_e32 v4, v4
	v_ashrrev_i32_e32 v4, 31, v4
	v_and_b32_e32 v72, exec_lo, v72
	v_xor_b32_e32 v196, vcc_hi, v4
	v_xor_b32_e32 v4, vcc_lo, v4
	v_and_b32_e32 v72, v72, v4
	v_lshlrev_b32_e32 v4, 29, v71
	v_cmp_gt_i64_e32 vcc, 0, v[3:4]
	v_not_b32_e32 v4, v4
	v_ashrrev_i32_e32 v4, 31, v4
	v_and_b32_e32 v74, v74, v196
	v_xor_b32_e32 v196, vcc_hi, v4
	v_xor_b32_e32 v4, vcc_lo, v4
	v_and_b32_e32 v72, v72, v4
	v_lshlrev_b32_e32 v4, 28, v71
	v_cmp_gt_i64_e32 vcc, 0, v[3:4]
	v_not_b32_e32 v4, v4
	v_ashrrev_i32_e32 v4, 31, v4
	v_and_b32_e32 v74, v74, v196
	;; [unrolled: 8-line block ×5, first 2 shown]
	v_xor_b32_e32 v196, vcc_hi, v4
	v_xor_b32_e32 v4, vcc_lo, v4
	v_and_b32_e32 v74, v74, v196
	v_and_b32_e32 v196, v72, v4
	v_lshlrev_b32_e32 v4, 24, v71
	v_cmp_gt_i64_e32 vcc, 0, v[3:4]
	v_not_b32_e32 v4, v4
	v_ashrrev_i32_e32 v4, 31, v4
	v_mul_u32_u24_e32 v73, 20, v71
	v_xor_b32_e32 v71, vcc_hi, v4
	v_xor_b32_e32 v4, vcc_lo, v4
	v_and_b32_e32 v72, v74, v71
	v_and_b32_e32 v71, v196, v4
	v_mbcnt_lo_u32_b32 v4, v71, 0
	v_mbcnt_hi_u32_b32 v196, v72, v4
	v_cmp_ne_u64_e32 vcc, 0, v[71:72]
	v_cmp_eq_u32_e64 s[38:39], 0, v196
	s_and_b64 s[40:41], vcc, s[38:39]
	v_add_u32_e32 v198, v174, v73
	; wave barrier
	s_and_saveexec_b64 s[38:39], s[40:41]
	s_cbranch_execz .LBB1226_438
; %bb.437:                              ;   in Loop: Header=BB1226_388 Depth=2
	v_bcnt_u32_b32 v4, v71, 0
	v_bcnt_u32_b32 v4, v72, v4
	s_waitcnt lgkmcnt(0)
	v_add_u32_e32 v4, v194, v4
	ds_write_b32 v198, v4 offset:1040
.LBB1226_438:                           ;   in Loop: Header=BB1226_388 Depth=2
	s_or_b64 exec, exec, s[38:39]
	v_cmp_lt_i64_e32 vcc, -1, v[67:68]
	v_ashrrev_i32_e32 v71, 31, v68
	v_cndmask_b32_e32 v4, -1, v135, vcc
	v_xor_b32_e32 v68, v4, v68
	v_xor_b32_e32 v67, v71, v67
	v_cmp_ne_u64_e32 vcc, s[82:83], v[67:68]
	v_cndmask_b32_e32 v72, v135, v68, vcc
	v_cndmask_b32_e32 v71, 0, v67, vcc
	v_lshrrev_b64 v[71:72], s88, v[71:72]
	; wave barrier
	v_and_b32_e32 v71, s97, v71
	v_mad_u32_u24 v4, v71, 20, v174
	ds_read_b32 v197, v4 offset:1040
	v_and_b32_e32 v4, 1, v71
	v_add_co_u32_e32 v72, vcc, -1, v4
	v_addc_co_u32_e64 v74, s[38:39], 0, -1, vcc
	v_cmp_ne_u32_e32 vcc, 0, v4
	v_xor_b32_e32 v4, vcc_hi, v74
	v_and_b32_e32 v74, exec_hi, v4
	v_lshlrev_b32_e32 v4, 30, v71
	v_xor_b32_e32 v72, vcc_lo, v72
	v_cmp_gt_i64_e32 vcc, 0, v[3:4]
	v_not_b32_e32 v4, v4
	v_ashrrev_i32_e32 v4, 31, v4
	v_and_b32_e32 v72, exec_lo, v72
	v_xor_b32_e32 v199, vcc_hi, v4
	v_xor_b32_e32 v4, vcc_lo, v4
	v_and_b32_e32 v72, v72, v4
	v_lshlrev_b32_e32 v4, 29, v71
	v_cmp_gt_i64_e32 vcc, 0, v[3:4]
	v_not_b32_e32 v4, v4
	v_ashrrev_i32_e32 v4, 31, v4
	v_and_b32_e32 v74, v74, v199
	v_xor_b32_e32 v199, vcc_hi, v4
	v_xor_b32_e32 v4, vcc_lo, v4
	v_and_b32_e32 v72, v72, v4
	v_lshlrev_b32_e32 v4, 28, v71
	v_cmp_gt_i64_e32 vcc, 0, v[3:4]
	v_not_b32_e32 v4, v4
	v_ashrrev_i32_e32 v4, 31, v4
	v_and_b32_e32 v74, v74, v199
	;; [unrolled: 8-line block ×5, first 2 shown]
	v_xor_b32_e32 v199, vcc_hi, v4
	v_xor_b32_e32 v4, vcc_lo, v4
	v_and_b32_e32 v74, v74, v199
	v_and_b32_e32 v199, v72, v4
	v_lshlrev_b32_e32 v4, 24, v71
	v_cmp_gt_i64_e32 vcc, 0, v[3:4]
	v_not_b32_e32 v4, v4
	v_ashrrev_i32_e32 v4, 31, v4
	v_mul_u32_u24_e32 v73, 20, v71
	v_xor_b32_e32 v71, vcc_hi, v4
	v_xor_b32_e32 v4, vcc_lo, v4
	v_and_b32_e32 v72, v74, v71
	v_and_b32_e32 v71, v199, v4
	v_mbcnt_lo_u32_b32 v4, v71, 0
	v_mbcnt_hi_u32_b32 v199, v72, v4
	v_cmp_ne_u64_e32 vcc, 0, v[71:72]
	v_cmp_eq_u32_e64 s[38:39], 0, v199
	s_and_b64 s[40:41], vcc, s[38:39]
	v_add_u32_e32 v201, v174, v73
	; wave barrier
	s_and_saveexec_b64 s[38:39], s[40:41]
	s_cbranch_execz .LBB1226_440
; %bb.439:                              ;   in Loop: Header=BB1226_388 Depth=2
	v_bcnt_u32_b32 v4, v71, 0
	v_bcnt_u32_b32 v4, v72, v4
	s_waitcnt lgkmcnt(0)
	v_add_u32_e32 v4, v197, v4
	ds_write_b32 v201, v4 offset:1040
.LBB1226_440:                           ;   in Loop: Header=BB1226_388 Depth=2
	s_or_b64 exec, exec, s[38:39]
	v_cmp_lt_i64_e32 vcc, -1, v[69:70]
	v_ashrrev_i32_e32 v71, 31, v70
	v_cndmask_b32_e32 v4, -1, v135, vcc
	v_xor_b32_e32 v70, v4, v70
	v_xor_b32_e32 v69, v71, v69
	v_cmp_ne_u64_e32 vcc, s[82:83], v[69:70]
	v_cndmask_b32_e32 v72, v135, v70, vcc
	v_cndmask_b32_e32 v71, 0, v69, vcc
	v_lshrrev_b64 v[71:72], s88, v[71:72]
	; wave barrier
	v_and_b32_e32 v71, s97, v71
	v_mad_u32_u24 v4, v71, 20, v174
	ds_read_b32 v200, v4 offset:1040
	v_and_b32_e32 v4, 1, v71
	v_add_co_u32_e32 v72, vcc, -1, v4
	v_addc_co_u32_e64 v74, s[38:39], 0, -1, vcc
	v_cmp_ne_u32_e32 vcc, 0, v4
	v_xor_b32_e32 v4, vcc_hi, v74
	v_and_b32_e32 v74, exec_hi, v4
	v_lshlrev_b32_e32 v4, 30, v71
	v_xor_b32_e32 v72, vcc_lo, v72
	v_cmp_gt_i64_e32 vcc, 0, v[3:4]
	v_not_b32_e32 v4, v4
	v_ashrrev_i32_e32 v4, 31, v4
	v_and_b32_e32 v72, exec_lo, v72
	v_xor_b32_e32 v202, vcc_hi, v4
	v_xor_b32_e32 v4, vcc_lo, v4
	v_and_b32_e32 v72, v72, v4
	v_lshlrev_b32_e32 v4, 29, v71
	v_cmp_gt_i64_e32 vcc, 0, v[3:4]
	v_not_b32_e32 v4, v4
	v_ashrrev_i32_e32 v4, 31, v4
	v_and_b32_e32 v74, v74, v202
	v_xor_b32_e32 v202, vcc_hi, v4
	v_xor_b32_e32 v4, vcc_lo, v4
	v_and_b32_e32 v72, v72, v4
	v_lshlrev_b32_e32 v4, 28, v71
	v_cmp_gt_i64_e32 vcc, 0, v[3:4]
	v_not_b32_e32 v4, v4
	v_ashrrev_i32_e32 v4, 31, v4
	v_and_b32_e32 v74, v74, v202
	;; [unrolled: 8-line block ×5, first 2 shown]
	v_xor_b32_e32 v202, vcc_hi, v4
	v_xor_b32_e32 v4, vcc_lo, v4
	v_and_b32_e32 v74, v74, v202
	v_and_b32_e32 v202, v72, v4
	v_lshlrev_b32_e32 v4, 24, v71
	v_cmp_gt_i64_e32 vcc, 0, v[3:4]
	v_not_b32_e32 v4, v4
	v_ashrrev_i32_e32 v4, 31, v4
	v_mul_u32_u24_e32 v73, 20, v71
	v_xor_b32_e32 v71, vcc_hi, v4
	v_xor_b32_e32 v4, vcc_lo, v4
	v_and_b32_e32 v72, v74, v71
	v_and_b32_e32 v71, v202, v4
	v_mbcnt_lo_u32_b32 v4, v71, 0
	v_mbcnt_hi_u32_b32 v202, v72, v4
	v_cmp_ne_u64_e32 vcc, 0, v[71:72]
	v_cmp_eq_u32_e64 s[38:39], 0, v202
	s_and_b64 s[40:41], vcc, s[38:39]
	v_add_u32_e32 v204, v174, v73
	; wave barrier
	s_and_saveexec_b64 s[38:39], s[40:41]
	s_cbranch_execz .LBB1226_442
; %bb.441:                              ;   in Loop: Header=BB1226_388 Depth=2
	v_bcnt_u32_b32 v4, v71, 0
	v_bcnt_u32_b32 v4, v72, v4
	s_waitcnt lgkmcnt(0)
	v_add_u32_e32 v4, v200, v4
	ds_write_b32 v204, v4 offset:1040
.LBB1226_442:                           ;   in Loop: Header=BB1226_388 Depth=2
	s_or_b64 exec, exec, s[38:39]
	v_cmp_lt_i64_e32 vcc, -1, v[65:66]
	v_ashrrev_i32_e32 v71, 31, v66
	v_cndmask_b32_e32 v4, -1, v135, vcc
	v_xor_b32_e32 v66, v4, v66
	v_xor_b32_e32 v65, v71, v65
	v_cmp_ne_u64_e32 vcc, s[82:83], v[65:66]
	v_cndmask_b32_e32 v72, v135, v66, vcc
	v_cndmask_b32_e32 v71, 0, v65, vcc
	v_lshrrev_b64 v[71:72], s88, v[71:72]
	; wave barrier
	v_and_b32_e32 v71, s97, v71
	v_mad_u32_u24 v4, v71, 20, v174
	ds_read_b32 v203, v4 offset:1040
	v_and_b32_e32 v4, 1, v71
	v_add_co_u32_e32 v72, vcc, -1, v4
	v_addc_co_u32_e64 v74, s[38:39], 0, -1, vcc
	v_cmp_ne_u32_e32 vcc, 0, v4
	v_xor_b32_e32 v4, vcc_hi, v74
	v_and_b32_e32 v74, exec_hi, v4
	v_lshlrev_b32_e32 v4, 30, v71
	v_xor_b32_e32 v72, vcc_lo, v72
	v_cmp_gt_i64_e32 vcc, 0, v[3:4]
	v_not_b32_e32 v4, v4
	v_ashrrev_i32_e32 v4, 31, v4
	v_and_b32_e32 v72, exec_lo, v72
	v_xor_b32_e32 v205, vcc_hi, v4
	v_xor_b32_e32 v4, vcc_lo, v4
	v_and_b32_e32 v72, v72, v4
	v_lshlrev_b32_e32 v4, 29, v71
	v_cmp_gt_i64_e32 vcc, 0, v[3:4]
	v_not_b32_e32 v4, v4
	v_ashrrev_i32_e32 v4, 31, v4
	v_and_b32_e32 v74, v74, v205
	v_xor_b32_e32 v205, vcc_hi, v4
	v_xor_b32_e32 v4, vcc_lo, v4
	v_and_b32_e32 v72, v72, v4
	v_lshlrev_b32_e32 v4, 28, v71
	v_cmp_gt_i64_e32 vcc, 0, v[3:4]
	v_not_b32_e32 v4, v4
	v_ashrrev_i32_e32 v4, 31, v4
	v_and_b32_e32 v74, v74, v205
	;; [unrolled: 8-line block ×5, first 2 shown]
	v_xor_b32_e32 v205, vcc_hi, v4
	v_xor_b32_e32 v4, vcc_lo, v4
	v_and_b32_e32 v74, v74, v205
	v_and_b32_e32 v205, v72, v4
	v_lshlrev_b32_e32 v4, 24, v71
	v_cmp_gt_i64_e32 vcc, 0, v[3:4]
	v_not_b32_e32 v4, v4
	v_ashrrev_i32_e32 v4, 31, v4
	v_mul_u32_u24_e32 v73, 20, v71
	v_xor_b32_e32 v71, vcc_hi, v4
	v_xor_b32_e32 v4, vcc_lo, v4
	v_and_b32_e32 v72, v74, v71
	v_and_b32_e32 v71, v205, v4
	v_mbcnt_lo_u32_b32 v4, v71, 0
	v_mbcnt_hi_u32_b32 v205, v72, v4
	v_cmp_ne_u64_e32 vcc, 0, v[71:72]
	v_cmp_eq_u32_e64 s[38:39], 0, v205
	s_and_b64 s[40:41], vcc, s[38:39]
	v_add_u32_e32 v207, v174, v73
	; wave barrier
	s_and_saveexec_b64 s[38:39], s[40:41]
	s_cbranch_execz .LBB1226_444
; %bb.443:                              ;   in Loop: Header=BB1226_388 Depth=2
	v_bcnt_u32_b32 v4, v71, 0
	v_bcnt_u32_b32 v4, v72, v4
	s_waitcnt lgkmcnt(0)
	v_add_u32_e32 v4, v203, v4
	ds_write_b32 v207, v4 offset:1040
.LBB1226_444:                           ;   in Loop: Header=BB1226_388 Depth=2
	s_or_b64 exec, exec, s[38:39]
	v_cmp_lt_i64_e32 vcc, -1, v[61:62]
	v_ashrrev_i32_e32 v71, 31, v62
	v_cndmask_b32_e32 v4, -1, v135, vcc
	v_xor_b32_e32 v62, v4, v62
	v_xor_b32_e32 v61, v71, v61
	v_cmp_ne_u64_e32 vcc, s[82:83], v[61:62]
	v_cndmask_b32_e32 v72, v135, v62, vcc
	v_cndmask_b32_e32 v71, 0, v61, vcc
	v_lshrrev_b64 v[71:72], s88, v[71:72]
	; wave barrier
	v_and_b32_e32 v71, s97, v71
	v_mad_u32_u24 v4, v71, 20, v174
	ds_read_b32 v206, v4 offset:1040
	v_and_b32_e32 v4, 1, v71
	v_add_co_u32_e32 v72, vcc, -1, v4
	v_addc_co_u32_e64 v74, s[38:39], 0, -1, vcc
	v_cmp_ne_u32_e32 vcc, 0, v4
	v_xor_b32_e32 v4, vcc_hi, v74
	v_and_b32_e32 v74, exec_hi, v4
	v_lshlrev_b32_e32 v4, 30, v71
	v_xor_b32_e32 v72, vcc_lo, v72
	v_cmp_gt_i64_e32 vcc, 0, v[3:4]
	v_not_b32_e32 v4, v4
	v_ashrrev_i32_e32 v4, 31, v4
	v_and_b32_e32 v72, exec_lo, v72
	v_xor_b32_e32 v208, vcc_hi, v4
	v_xor_b32_e32 v4, vcc_lo, v4
	v_and_b32_e32 v72, v72, v4
	v_lshlrev_b32_e32 v4, 29, v71
	v_cmp_gt_i64_e32 vcc, 0, v[3:4]
	v_not_b32_e32 v4, v4
	v_ashrrev_i32_e32 v4, 31, v4
	v_and_b32_e32 v74, v74, v208
	v_xor_b32_e32 v208, vcc_hi, v4
	v_xor_b32_e32 v4, vcc_lo, v4
	v_and_b32_e32 v72, v72, v4
	v_lshlrev_b32_e32 v4, 28, v71
	v_cmp_gt_i64_e32 vcc, 0, v[3:4]
	v_not_b32_e32 v4, v4
	v_ashrrev_i32_e32 v4, 31, v4
	v_and_b32_e32 v74, v74, v208
	;; [unrolled: 8-line block ×5, first 2 shown]
	v_xor_b32_e32 v208, vcc_hi, v4
	v_xor_b32_e32 v4, vcc_lo, v4
	v_and_b32_e32 v74, v74, v208
	v_and_b32_e32 v208, v72, v4
	v_lshlrev_b32_e32 v4, 24, v71
	v_cmp_gt_i64_e32 vcc, 0, v[3:4]
	v_not_b32_e32 v4, v4
	v_ashrrev_i32_e32 v4, 31, v4
	v_mul_u32_u24_e32 v73, 20, v71
	v_xor_b32_e32 v71, vcc_hi, v4
	v_xor_b32_e32 v4, vcc_lo, v4
	v_and_b32_e32 v72, v74, v71
	v_and_b32_e32 v71, v208, v4
	v_mbcnt_lo_u32_b32 v4, v71, 0
	v_mbcnt_hi_u32_b32 v208, v72, v4
	v_cmp_ne_u64_e32 vcc, 0, v[71:72]
	v_cmp_eq_u32_e64 s[38:39], 0, v208
	s_and_b64 s[40:41], vcc, s[38:39]
	v_add_u32_e32 v210, v174, v73
	; wave barrier
	s_and_saveexec_b64 s[38:39], s[40:41]
	s_cbranch_execz .LBB1226_446
; %bb.445:                              ;   in Loop: Header=BB1226_388 Depth=2
	v_bcnt_u32_b32 v4, v71, 0
	v_bcnt_u32_b32 v4, v72, v4
	s_waitcnt lgkmcnt(0)
	v_add_u32_e32 v4, v206, v4
	ds_write_b32 v210, v4 offset:1040
.LBB1226_446:                           ;   in Loop: Header=BB1226_388 Depth=2
	s_or_b64 exec, exec, s[38:39]
	v_cmp_lt_i64_e32 vcc, -1, v[57:58]
	v_ashrrev_i32_e32 v71, 31, v58
	v_cndmask_b32_e32 v4, -1, v135, vcc
	v_xor_b32_e32 v58, v4, v58
	v_xor_b32_e32 v57, v71, v57
	v_cmp_ne_u64_e32 vcc, s[82:83], v[57:58]
	v_cndmask_b32_e32 v72, v135, v58, vcc
	v_cndmask_b32_e32 v71, 0, v57, vcc
	v_lshrrev_b64 v[71:72], s88, v[71:72]
	; wave barrier
	v_and_b32_e32 v71, s97, v71
	v_mad_u32_u24 v4, v71, 20, v174
	ds_read_b32 v209, v4 offset:1040
	v_and_b32_e32 v4, 1, v71
	v_add_co_u32_e32 v72, vcc, -1, v4
	v_addc_co_u32_e64 v74, s[38:39], 0, -1, vcc
	v_cmp_ne_u32_e32 vcc, 0, v4
	v_xor_b32_e32 v4, vcc_hi, v74
	v_and_b32_e32 v74, exec_hi, v4
	v_lshlrev_b32_e32 v4, 30, v71
	v_xor_b32_e32 v72, vcc_lo, v72
	v_cmp_gt_i64_e32 vcc, 0, v[3:4]
	v_not_b32_e32 v4, v4
	v_ashrrev_i32_e32 v4, 31, v4
	v_and_b32_e32 v72, exec_lo, v72
	v_xor_b32_e32 v211, vcc_hi, v4
	v_xor_b32_e32 v4, vcc_lo, v4
	v_and_b32_e32 v72, v72, v4
	v_lshlrev_b32_e32 v4, 29, v71
	v_cmp_gt_i64_e32 vcc, 0, v[3:4]
	v_not_b32_e32 v4, v4
	v_ashrrev_i32_e32 v4, 31, v4
	v_and_b32_e32 v74, v74, v211
	v_xor_b32_e32 v211, vcc_hi, v4
	v_xor_b32_e32 v4, vcc_lo, v4
	v_and_b32_e32 v72, v72, v4
	v_lshlrev_b32_e32 v4, 28, v71
	v_cmp_gt_i64_e32 vcc, 0, v[3:4]
	v_not_b32_e32 v4, v4
	v_ashrrev_i32_e32 v4, 31, v4
	v_and_b32_e32 v74, v74, v211
	;; [unrolled: 8-line block ×5, first 2 shown]
	v_xor_b32_e32 v211, vcc_hi, v4
	v_xor_b32_e32 v4, vcc_lo, v4
	v_and_b32_e32 v74, v74, v211
	v_and_b32_e32 v211, v72, v4
	v_lshlrev_b32_e32 v4, 24, v71
	v_cmp_gt_i64_e32 vcc, 0, v[3:4]
	v_not_b32_e32 v4, v4
	v_ashrrev_i32_e32 v4, 31, v4
	v_mul_u32_u24_e32 v73, 20, v71
	v_xor_b32_e32 v71, vcc_hi, v4
	v_xor_b32_e32 v4, vcc_lo, v4
	v_and_b32_e32 v72, v74, v71
	v_and_b32_e32 v71, v211, v4
	v_mbcnt_lo_u32_b32 v4, v71, 0
	v_mbcnt_hi_u32_b32 v211, v72, v4
	v_cmp_ne_u64_e32 vcc, 0, v[71:72]
	v_cmp_eq_u32_e64 s[38:39], 0, v211
	s_and_b64 s[40:41], vcc, s[38:39]
	v_add_u32_e32 v213, v174, v73
	; wave barrier
	s_and_saveexec_b64 s[38:39], s[40:41]
	s_cbranch_execz .LBB1226_448
; %bb.447:                              ;   in Loop: Header=BB1226_388 Depth=2
	v_bcnt_u32_b32 v4, v71, 0
	v_bcnt_u32_b32 v4, v72, v4
	s_waitcnt lgkmcnt(0)
	v_add_u32_e32 v4, v209, v4
	ds_write_b32 v213, v4 offset:1040
.LBB1226_448:                           ;   in Loop: Header=BB1226_388 Depth=2
	s_or_b64 exec, exec, s[38:39]
	v_cmp_lt_i64_e32 vcc, -1, v[53:54]
	v_ashrrev_i32_e32 v71, 31, v54
	v_cndmask_b32_e32 v4, -1, v135, vcc
	v_xor_b32_e32 v54, v4, v54
	v_xor_b32_e32 v53, v71, v53
	v_cmp_ne_u64_e32 vcc, s[82:83], v[53:54]
	v_cndmask_b32_e32 v72, v135, v54, vcc
	v_cndmask_b32_e32 v71, 0, v53, vcc
	v_lshrrev_b64 v[71:72], s88, v[71:72]
	; wave barrier
	v_and_b32_e32 v71, s97, v71
	v_mad_u32_u24 v4, v71, 20, v174
	ds_read_b32 v212, v4 offset:1040
	v_and_b32_e32 v4, 1, v71
	v_add_co_u32_e32 v72, vcc, -1, v4
	v_addc_co_u32_e64 v74, s[38:39], 0, -1, vcc
	v_cmp_ne_u32_e32 vcc, 0, v4
	v_xor_b32_e32 v4, vcc_hi, v74
	v_and_b32_e32 v74, exec_hi, v4
	v_lshlrev_b32_e32 v4, 30, v71
	v_xor_b32_e32 v72, vcc_lo, v72
	v_cmp_gt_i64_e32 vcc, 0, v[3:4]
	v_not_b32_e32 v4, v4
	v_ashrrev_i32_e32 v4, 31, v4
	v_and_b32_e32 v72, exec_lo, v72
	v_xor_b32_e32 v214, vcc_hi, v4
	v_xor_b32_e32 v4, vcc_lo, v4
	v_and_b32_e32 v72, v72, v4
	v_lshlrev_b32_e32 v4, 29, v71
	v_cmp_gt_i64_e32 vcc, 0, v[3:4]
	v_not_b32_e32 v4, v4
	v_ashrrev_i32_e32 v4, 31, v4
	v_and_b32_e32 v74, v74, v214
	v_xor_b32_e32 v214, vcc_hi, v4
	v_xor_b32_e32 v4, vcc_lo, v4
	v_and_b32_e32 v72, v72, v4
	v_lshlrev_b32_e32 v4, 28, v71
	v_cmp_gt_i64_e32 vcc, 0, v[3:4]
	v_not_b32_e32 v4, v4
	v_ashrrev_i32_e32 v4, 31, v4
	v_and_b32_e32 v74, v74, v214
	;; [unrolled: 8-line block ×5, first 2 shown]
	v_xor_b32_e32 v214, vcc_hi, v4
	v_xor_b32_e32 v4, vcc_lo, v4
	v_and_b32_e32 v74, v74, v214
	v_and_b32_e32 v214, v72, v4
	v_lshlrev_b32_e32 v4, 24, v71
	v_cmp_gt_i64_e32 vcc, 0, v[3:4]
	v_not_b32_e32 v4, v4
	v_ashrrev_i32_e32 v4, 31, v4
	v_mul_u32_u24_e32 v73, 20, v71
	v_xor_b32_e32 v71, vcc_hi, v4
	v_xor_b32_e32 v4, vcc_lo, v4
	v_and_b32_e32 v72, v74, v71
	v_and_b32_e32 v71, v214, v4
	v_mbcnt_lo_u32_b32 v4, v71, 0
	v_mbcnt_hi_u32_b32 v214, v72, v4
	v_cmp_ne_u64_e32 vcc, 0, v[71:72]
	v_cmp_eq_u32_e64 s[38:39], 0, v214
	s_and_b64 s[40:41], vcc, s[38:39]
	v_add_u32_e32 v216, v174, v73
	; wave barrier
	s_and_saveexec_b64 s[38:39], s[40:41]
	s_cbranch_execz .LBB1226_450
; %bb.449:                              ;   in Loop: Header=BB1226_388 Depth=2
	v_bcnt_u32_b32 v4, v71, 0
	v_bcnt_u32_b32 v4, v72, v4
	s_waitcnt lgkmcnt(0)
	v_add_u32_e32 v4, v212, v4
	ds_write_b32 v216, v4 offset:1040
.LBB1226_450:                           ;   in Loop: Header=BB1226_388 Depth=2
	s_or_b64 exec, exec, s[38:39]
	v_cmp_lt_i64_e32 vcc, -1, v[49:50]
	v_ashrrev_i32_e32 v71, 31, v50
	v_cndmask_b32_e32 v4, -1, v135, vcc
	v_xor_b32_e32 v50, v4, v50
	v_xor_b32_e32 v49, v71, v49
	v_cmp_ne_u64_e32 vcc, s[82:83], v[49:50]
	v_cndmask_b32_e32 v72, v135, v50, vcc
	v_cndmask_b32_e32 v71, 0, v49, vcc
	v_lshrrev_b64 v[71:72], s88, v[71:72]
	; wave barrier
	v_and_b32_e32 v71, s97, v71
	v_mad_u32_u24 v4, v71, 20, v174
	ds_read_b32 v215, v4 offset:1040
	v_and_b32_e32 v4, 1, v71
	v_add_co_u32_e32 v72, vcc, -1, v4
	v_addc_co_u32_e64 v74, s[38:39], 0, -1, vcc
	v_cmp_ne_u32_e32 vcc, 0, v4
	v_xor_b32_e32 v4, vcc_hi, v74
	v_and_b32_e32 v74, exec_hi, v4
	v_lshlrev_b32_e32 v4, 30, v71
	v_xor_b32_e32 v72, vcc_lo, v72
	v_cmp_gt_i64_e32 vcc, 0, v[3:4]
	v_not_b32_e32 v4, v4
	v_ashrrev_i32_e32 v4, 31, v4
	v_and_b32_e32 v72, exec_lo, v72
	v_xor_b32_e32 v217, vcc_hi, v4
	v_xor_b32_e32 v4, vcc_lo, v4
	v_and_b32_e32 v72, v72, v4
	v_lshlrev_b32_e32 v4, 29, v71
	v_cmp_gt_i64_e32 vcc, 0, v[3:4]
	v_not_b32_e32 v4, v4
	v_ashrrev_i32_e32 v4, 31, v4
	v_and_b32_e32 v74, v74, v217
	v_xor_b32_e32 v217, vcc_hi, v4
	v_xor_b32_e32 v4, vcc_lo, v4
	v_and_b32_e32 v72, v72, v4
	v_lshlrev_b32_e32 v4, 28, v71
	v_cmp_gt_i64_e32 vcc, 0, v[3:4]
	v_not_b32_e32 v4, v4
	v_ashrrev_i32_e32 v4, 31, v4
	v_and_b32_e32 v74, v74, v217
	;; [unrolled: 8-line block ×5, first 2 shown]
	v_xor_b32_e32 v217, vcc_hi, v4
	v_xor_b32_e32 v4, vcc_lo, v4
	v_and_b32_e32 v74, v74, v217
	v_and_b32_e32 v217, v72, v4
	v_lshlrev_b32_e32 v4, 24, v71
	v_cmp_gt_i64_e32 vcc, 0, v[3:4]
	v_not_b32_e32 v4, v4
	v_ashrrev_i32_e32 v4, 31, v4
	v_mul_u32_u24_e32 v73, 20, v71
	v_xor_b32_e32 v71, vcc_hi, v4
	v_xor_b32_e32 v4, vcc_lo, v4
	v_and_b32_e32 v72, v74, v71
	v_and_b32_e32 v71, v217, v4
	v_mbcnt_lo_u32_b32 v4, v71, 0
	v_mbcnt_hi_u32_b32 v217, v72, v4
	v_cmp_ne_u64_e32 vcc, 0, v[71:72]
	v_cmp_eq_u32_e64 s[38:39], 0, v217
	s_and_b64 s[40:41], vcc, s[38:39]
	v_add_u32_e32 v219, v174, v73
	; wave barrier
	s_and_saveexec_b64 s[38:39], s[40:41]
	s_cbranch_execz .LBB1226_452
; %bb.451:                              ;   in Loop: Header=BB1226_388 Depth=2
	v_bcnt_u32_b32 v4, v71, 0
	v_bcnt_u32_b32 v4, v72, v4
	s_waitcnt lgkmcnt(0)
	v_add_u32_e32 v4, v215, v4
	ds_write_b32 v219, v4 offset:1040
.LBB1226_452:                           ;   in Loop: Header=BB1226_388 Depth=2
	s_or_b64 exec, exec, s[38:39]
	v_cmp_lt_i64_e32 vcc, -1, v[43:44]
	v_ashrrev_i32_e32 v71, 31, v44
	v_cndmask_b32_e32 v4, -1, v135, vcc
	v_xor_b32_e32 v44, v4, v44
	v_xor_b32_e32 v43, v71, v43
	v_cmp_ne_u64_e32 vcc, s[82:83], v[43:44]
	v_cndmask_b32_e32 v72, v135, v44, vcc
	v_cndmask_b32_e32 v71, 0, v43, vcc
	v_lshrrev_b64 v[71:72], s88, v[71:72]
	; wave barrier
	v_and_b32_e32 v71, s97, v71
	v_mad_u32_u24 v4, v71, 20, v174
	ds_read_b32 v218, v4 offset:1040
	v_and_b32_e32 v4, 1, v71
	v_add_co_u32_e32 v72, vcc, -1, v4
	v_addc_co_u32_e64 v74, s[38:39], 0, -1, vcc
	v_cmp_ne_u32_e32 vcc, 0, v4
	v_xor_b32_e32 v4, vcc_hi, v74
	v_and_b32_e32 v74, exec_hi, v4
	v_lshlrev_b32_e32 v4, 30, v71
	v_xor_b32_e32 v72, vcc_lo, v72
	v_cmp_gt_i64_e32 vcc, 0, v[3:4]
	v_not_b32_e32 v4, v4
	v_ashrrev_i32_e32 v4, 31, v4
	v_and_b32_e32 v72, exec_lo, v72
	v_xor_b32_e32 v220, vcc_hi, v4
	v_xor_b32_e32 v4, vcc_lo, v4
	v_and_b32_e32 v72, v72, v4
	v_lshlrev_b32_e32 v4, 29, v71
	v_cmp_gt_i64_e32 vcc, 0, v[3:4]
	v_not_b32_e32 v4, v4
	v_ashrrev_i32_e32 v4, 31, v4
	v_and_b32_e32 v74, v74, v220
	v_xor_b32_e32 v220, vcc_hi, v4
	v_xor_b32_e32 v4, vcc_lo, v4
	v_and_b32_e32 v72, v72, v4
	v_lshlrev_b32_e32 v4, 28, v71
	v_cmp_gt_i64_e32 vcc, 0, v[3:4]
	v_not_b32_e32 v4, v4
	v_ashrrev_i32_e32 v4, 31, v4
	v_and_b32_e32 v74, v74, v220
	;; [unrolled: 8-line block ×5, first 2 shown]
	v_xor_b32_e32 v220, vcc_hi, v4
	v_xor_b32_e32 v4, vcc_lo, v4
	v_and_b32_e32 v74, v74, v220
	v_and_b32_e32 v220, v72, v4
	v_lshlrev_b32_e32 v4, 24, v71
	v_cmp_gt_i64_e32 vcc, 0, v[3:4]
	v_not_b32_e32 v4, v4
	v_ashrrev_i32_e32 v4, 31, v4
	v_mul_u32_u24_e32 v73, 20, v71
	v_xor_b32_e32 v71, vcc_hi, v4
	v_xor_b32_e32 v4, vcc_lo, v4
	v_and_b32_e32 v72, v74, v71
	v_and_b32_e32 v71, v220, v4
	v_mbcnt_lo_u32_b32 v4, v71, 0
	v_mbcnt_hi_u32_b32 v220, v72, v4
	v_cmp_ne_u64_e32 vcc, 0, v[71:72]
	v_cmp_eq_u32_e64 s[38:39], 0, v220
	s_and_b64 s[40:41], vcc, s[38:39]
	v_add_u32_e32 v222, v174, v73
	; wave barrier
	s_and_saveexec_b64 s[38:39], s[40:41]
	s_cbranch_execz .LBB1226_454
; %bb.453:                              ;   in Loop: Header=BB1226_388 Depth=2
	v_bcnt_u32_b32 v4, v71, 0
	v_bcnt_u32_b32 v4, v72, v4
	s_waitcnt lgkmcnt(0)
	v_add_u32_e32 v4, v218, v4
	ds_write_b32 v222, v4 offset:1040
.LBB1226_454:                           ;   in Loop: Header=BB1226_388 Depth=2
	s_or_b64 exec, exec, s[38:39]
	v_cmp_lt_i64_e32 vcc, -1, v[45:46]
	v_ashrrev_i32_e32 v71, 31, v46
	v_cndmask_b32_e32 v4, -1, v135, vcc
	v_xor_b32_e32 v46, v4, v46
	v_xor_b32_e32 v45, v71, v45
	v_cmp_ne_u64_e32 vcc, s[82:83], v[45:46]
	v_cndmask_b32_e32 v72, v135, v46, vcc
	v_cndmask_b32_e32 v71, 0, v45, vcc
	v_lshrrev_b64 v[71:72], s88, v[71:72]
	; wave barrier
	v_and_b32_e32 v71, s97, v71
	v_mad_u32_u24 v4, v71, 20, v174
	ds_read_b32 v221, v4 offset:1040
	v_and_b32_e32 v4, 1, v71
	v_add_co_u32_e32 v72, vcc, -1, v4
	v_addc_co_u32_e64 v74, s[38:39], 0, -1, vcc
	v_cmp_ne_u32_e32 vcc, 0, v4
	v_xor_b32_e32 v4, vcc_hi, v74
	v_and_b32_e32 v74, exec_hi, v4
	v_lshlrev_b32_e32 v4, 30, v71
	v_xor_b32_e32 v72, vcc_lo, v72
	v_cmp_gt_i64_e32 vcc, 0, v[3:4]
	v_not_b32_e32 v4, v4
	v_ashrrev_i32_e32 v4, 31, v4
	v_and_b32_e32 v72, exec_lo, v72
	v_xor_b32_e32 v223, vcc_hi, v4
	v_xor_b32_e32 v4, vcc_lo, v4
	v_and_b32_e32 v72, v72, v4
	v_lshlrev_b32_e32 v4, 29, v71
	v_cmp_gt_i64_e32 vcc, 0, v[3:4]
	v_not_b32_e32 v4, v4
	v_ashrrev_i32_e32 v4, 31, v4
	v_and_b32_e32 v74, v74, v223
	v_xor_b32_e32 v223, vcc_hi, v4
	v_xor_b32_e32 v4, vcc_lo, v4
	v_and_b32_e32 v72, v72, v4
	v_lshlrev_b32_e32 v4, 28, v71
	v_cmp_gt_i64_e32 vcc, 0, v[3:4]
	v_not_b32_e32 v4, v4
	v_ashrrev_i32_e32 v4, 31, v4
	v_and_b32_e32 v74, v74, v223
	;; [unrolled: 8-line block ×5, first 2 shown]
	v_xor_b32_e32 v223, vcc_hi, v4
	v_xor_b32_e32 v4, vcc_lo, v4
	v_and_b32_e32 v74, v74, v223
	v_and_b32_e32 v223, v72, v4
	v_lshlrev_b32_e32 v4, 24, v71
	v_cmp_gt_i64_e32 vcc, 0, v[3:4]
	v_not_b32_e32 v4, v4
	v_ashrrev_i32_e32 v4, 31, v4
	v_mul_u32_u24_e32 v73, 20, v71
	v_xor_b32_e32 v71, vcc_hi, v4
	v_xor_b32_e32 v4, vcc_lo, v4
	v_and_b32_e32 v72, v74, v71
	v_and_b32_e32 v71, v223, v4
	v_mbcnt_lo_u32_b32 v4, v71, 0
	v_mbcnt_hi_u32_b32 v223, v72, v4
	v_cmp_ne_u64_e32 vcc, 0, v[71:72]
	v_cmp_eq_u32_e64 s[38:39], 0, v223
	s_and_b64 s[40:41], vcc, s[38:39]
	v_add_u32_e32 v4, v174, v73
	; wave barrier
	s_and_saveexec_b64 s[38:39], s[40:41]
	s_cbranch_execz .LBB1226_456
; %bb.455:                              ;   in Loop: Header=BB1226_388 Depth=2
	v_bcnt_u32_b32 v71, v71, 0
	v_bcnt_u32_b32 v71, v72, v71
	s_waitcnt lgkmcnt(0)
	v_add_u32_e32 v71, v221, v71
	ds_write_b32 v4, v71 offset:1040
.LBB1226_456:                           ;   in Loop: Header=BB1226_388 Depth=2
	s_or_b64 exec, exec, s[38:39]
	; wave barrier
	s_waitcnt lgkmcnt(0)
	s_barrier
	ds_read2_b32 v[73:74], v177 offset1:1
	ds_read2_b32 v[71:72], v176 offset1:1
	ds_read_b32 v224, v100 offset:1056
	s_waitcnt lgkmcnt(1)
	v_add3_u32 v225, v74, v73, v71
	s_waitcnt lgkmcnt(0)
	v_add3_u32 v224, v225, v72, v224
	s_nop 1
	v_mov_b32_dpp v225, v224 row_shr:1 row_mask:0xf bank_mask:0xf
	v_cndmask_b32_e64 v225, v225, 0, s[18:19]
	v_add_u32_e32 v224, v225, v224
	s_nop 1
	v_mov_b32_dpp v225, v224 row_shr:2 row_mask:0xf bank_mask:0xf
	v_cndmask_b32_e64 v225, 0, v225, s[20:21]
	v_add_u32_e32 v224, v224, v225
	;; [unrolled: 4-line block ×4, first 2 shown]
	s_nop 1
	v_mov_b32_dpp v225, v224 row_bcast:15 row_mask:0xf bank_mask:0xf
	v_cndmask_b32_e64 v225, v225, 0, s[26:27]
	v_add_u32_e32 v224, v224, v225
	s_nop 1
	v_mov_b32_dpp v225, v224 row_bcast:31 row_mask:0xf bank_mask:0xf
	v_cndmask_b32_e64 v225, 0, v225, s[28:29]
	v_add_u32_e32 v224, v224, v225
	s_and_saveexec_b64 s[38:39], s[8:9]
; %bb.457:                              ;   in Loop: Header=BB1226_388 Depth=2
	ds_write_b32 v95, v224 offset:1024
; %bb.458:                              ;   in Loop: Header=BB1226_388 Depth=2
	s_or_b64 exec, exec, s[38:39]
	s_waitcnt lgkmcnt(0)
	s_barrier
	s_and_saveexec_b64 s[38:39], s[10:11]
	s_cbranch_execz .LBB1226_460
; %bb.459:                              ;   in Loop: Header=BB1226_388 Depth=2
	ds_read_b32 v225, v101 offset:1024
	s_waitcnt lgkmcnt(0)
	s_nop 0
	v_mov_b32_dpp v226, v225 row_shr:1 row_mask:0xf bank_mask:0xf
	v_cndmask_b32_e64 v226, v226, 0, s[34:35]
	v_add_u32_e32 v225, v226, v225
	s_nop 1
	v_mov_b32_dpp v226, v225 row_shr:2 row_mask:0xf bank_mask:0xf
	v_cndmask_b32_e64 v226, 0, v226, s[36:37]
	v_add_u32_e32 v225, v225, v226
	ds_write_b32 v101, v225 offset:1024
.LBB1226_460:                           ;   in Loop: Header=BB1226_388 Depth=2
	s_or_b64 exec, exec, s[38:39]
	v_mov_b32_e32 v225, 0
	s_waitcnt lgkmcnt(0)
	s_barrier
	s_and_saveexec_b64 s[38:39], s[12:13]
; %bb.461:                              ;   in Loop: Header=BB1226_388 Depth=2
	ds_read_b32 v225, v95 offset:1020
; %bb.462:                              ;   in Loop: Header=BB1226_388 Depth=2
	s_or_b64 exec, exec, s[38:39]
	s_waitcnt lgkmcnt(0)
	v_add_u32_e32 v224, v225, v224
	ds_bpermute_b32 v224, v137, v224
	s_waitcnt lgkmcnt(0)
	v_cndmask_b32_e64 v224, v224, v225, s[30:31]
	v_cndmask_b32_e64 v224, v224, 0, s[14:15]
	v_add_u32_e32 v73, v224, v73
	v_add_u32_e32 v74, v73, v74
	;; [unrolled: 1-line block ×4, first 2 shown]
	ds_write2_b32 v177, v224, v73 offset1:1
	ds_write2_b32 v176, v74, v71 offset1:1
	ds_write_b32 v100, v72 offset:1056
	s_waitcnt lgkmcnt(0)
	s_barrier
	ds_read_b32 v71, v180 offset:1040
	ds_read_b32 v72, v183 offset:1040
	;; [unrolled: 1-line block ×17, first 2 shown]
	v_mov_b32_e32 v4, 0x1000
	s_and_saveexec_b64 s[38:39], s[16:17]
; %bb.463:                              ;   in Loop: Header=BB1226_388 Depth=2
	ds_read_b32 v4, v100 offset:1060
; %bb.464:                              ;   in Loop: Header=BB1226_388 Depth=2
	s_or_b64 exec, exec, s[38:39]
	s_waitcnt lgkmcnt(0)
	s_barrier
	s_and_saveexec_b64 s[38:39], s[4:5]
	s_cbranch_execz .LBB1226_466
; %bb.465:                              ;   in Loop: Header=BB1226_388 Depth=2
	ds_read_b32 v201, v75
	s_waitcnt lgkmcnt(0)
	v_sub_u32_e32 v198, v201, v198
	ds_write_b32 v75, v198
.LBB1226_466:                           ;   in Loop: Header=BB1226_388 Depth=2
	s_or_b64 exec, exec, s[38:39]
	v_lshlrev_b32_e32 v178, 3, v178
	v_lshl_add_u32 v71, v71, 3, v178
	ds_write_b64 v71, v[39:40] offset:1024
	v_lshlrev_b32_e32 v39, 3, v181
	v_lshlrev_b32_e32 v40, 3, v179
	;; [unrolled: 1-line block ×3, first 2 shown]
	v_add3_u32 v72, v39, v40, v72
	ds_write_b64 v72, v[41:42] offset:1024
	v_lshlrev_b32_e32 v39, 3, v184
	v_lshlrev_b32_e32 v40, 3, v182
	v_lshlrev_b32_e32 v41, 3, v227
	v_add3_u32 v41, v39, v40, v41
	v_lshlrev_b32_e32 v39, 3, v187
	v_lshlrev_b32_e32 v40, 3, v185
	v_lshlrev_b32_e32 v42, 3, v226
	ds_write_b64 v41, v[47:48] offset:1024
	v_add3_u32 v42, v39, v40, v42
	v_lshlrev_b32_e32 v39, 3, v190
	v_lshlrev_b32_e32 v40, 3, v188
	v_lshlrev_b32_e32 v47, 3, v225
	v_add3_u32 v47, v39, v40, v47
	v_lshlrev_b32_e32 v39, 3, v193
	v_lshlrev_b32_e32 v40, 3, v191
	v_lshlrev_b32_e32 v48, 3, v224
	ds_write_b64 v42, v[51:52] offset:1024
	v_add3_u32 v48, v39, v40, v48
	;; [unrolled: 9-line block ×4, first 2 shown]
	v_lshlrev_b32_e32 v39, 3, v208
	v_lshlrev_b32_e32 v40, 3, v206
	;; [unrolled: 1-line block ×3, first 2 shown]
	v_add3_u32 v59, v39, v40, v59
	v_lshlrev_b32_e32 v39, 3, v211
	v_lshlrev_b32_e32 v40, 3, v209
	;; [unrolled: 1-line block ×3, first 2 shown]
	v_add3_u32 v60, v39, v40, v60
	ds_write_b64 v51, v[63:64] offset:1024
	ds_write_b64 v52, v[67:68] offset:1024
	;; [unrolled: 1-line block ×6, first 2 shown]
	v_lshlrev_b32_e32 v39, 3, v214
	v_lshlrev_b32_e32 v40, 3, v212
	v_lshlrev_b32_e32 v57, 3, v177
	v_add3_u32 v57, v39, v40, v57
	ds_write_b64 v57, v[53:54] offset:1024
	v_lshlrev_b32_e32 v39, 3, v217
	v_lshlrev_b32_e32 v40, 3, v215
	v_lshlrev_b32_e32 v53, 3, v176
	v_add3_u32 v53, v39, v40, v53
	ds_write_b64 v53, v[49:50] offset:1024
	;; [unrolled: 5-line block ×3, first 2 shown]
	v_lshlrev_b32_e32 v39, 3, v223
	v_lshlrev_b32_e32 v40, 3, v221
	;; [unrolled: 1-line block ×3, first 2 shown]
	v_add3_u32 v43, v39, v40, v43
	v_cmp_lt_u32_e64 s[38:39], v0, v175
	ds_write_b64 v43, v[45:46] offset:1024
	s_waitcnt lgkmcnt(0)
	s_barrier
	s_and_saveexec_b64 s[40:41], s[38:39]
	s_cbranch_execnz .LBB1226_535
; %bb.467:                              ;   in Loop: Header=BB1226_388 Depth=2
	s_or_b64 exec, exec, s[40:41]
	v_cmp_lt_u32_e64 s[40:41], v76, v175
	s_and_saveexec_b64 s[42:43], s[40:41]
	s_cbranch_execnz .LBB1226_536
.LBB1226_468:                           ;   in Loop: Header=BB1226_388 Depth=2
	s_or_b64 exec, exec, s[42:43]
	v_cmp_lt_u32_e64 s[42:43], v77, v175
	s_and_saveexec_b64 s[44:45], s[42:43]
	s_cbranch_execnz .LBB1226_537
.LBB1226_469:                           ;   in Loop: Header=BB1226_388 Depth=2
	s_or_b64 exec, exec, s[44:45]
	v_cmp_lt_u32_e64 s[44:45], v78, v175
	s_and_saveexec_b64 s[46:47], s[44:45]
	s_cbranch_execnz .LBB1226_538
.LBB1226_470:                           ;   in Loop: Header=BB1226_388 Depth=2
	s_or_b64 exec, exec, s[46:47]
	v_cmp_lt_u32_e64 s[46:47], v81, v175
	s_and_saveexec_b64 s[48:49], s[46:47]
	s_cbranch_execnz .LBB1226_539
.LBB1226_471:                           ;   in Loop: Header=BB1226_388 Depth=2
	s_or_b64 exec, exec, s[48:49]
	v_cmp_lt_u32_e64 s[48:49], v82, v175
	s_and_saveexec_b64 s[50:51], s[48:49]
	s_cbranch_execnz .LBB1226_540
.LBB1226_472:                           ;   in Loop: Header=BB1226_388 Depth=2
	s_or_b64 exec, exec, s[50:51]
	v_cmp_lt_u32_e64 s[50:51], v83, v175
	s_and_saveexec_b64 s[52:53], s[50:51]
	s_cbranch_execnz .LBB1226_541
.LBB1226_473:                           ;   in Loop: Header=BB1226_388 Depth=2
	s_or_b64 exec, exec, s[52:53]
	v_cmp_lt_u32_e64 s[52:53], v84, v175
	s_and_saveexec_b64 s[54:55], s[52:53]
	s_cbranch_execnz .LBB1226_542
.LBB1226_474:                           ;   in Loop: Header=BB1226_388 Depth=2
	s_or_b64 exec, exec, s[54:55]
	v_cmp_lt_u32_e64 s[54:55], v85, v175
	s_and_saveexec_b64 s[56:57], s[54:55]
	s_cbranch_execnz .LBB1226_543
.LBB1226_475:                           ;   in Loop: Header=BB1226_388 Depth=2
	s_or_b64 exec, exec, s[56:57]
	v_cmp_lt_u32_e64 s[56:57], v86, v175
	s_and_saveexec_b64 s[58:59], s[56:57]
	s_cbranch_execnz .LBB1226_544
.LBB1226_476:                           ;   in Loop: Header=BB1226_388 Depth=2
	s_or_b64 exec, exec, s[58:59]
	v_cmp_lt_u32_e64 s[58:59], v87, v175
	s_and_saveexec_b64 s[60:61], s[58:59]
	s_cbranch_execnz .LBB1226_545
.LBB1226_477:                           ;   in Loop: Header=BB1226_388 Depth=2
	s_or_b64 exec, exec, s[60:61]
	v_cmp_lt_u32_e64 s[60:61], v88, v175
	s_and_saveexec_b64 s[62:63], s[60:61]
	s_cbranch_execnz .LBB1226_546
.LBB1226_478:                           ;   in Loop: Header=BB1226_388 Depth=2
	s_or_b64 exec, exec, s[62:63]
	v_cmp_lt_u32_e64 s[62:63], v89, v175
	s_and_saveexec_b64 s[64:65], s[62:63]
	s_cbranch_execnz .LBB1226_547
.LBB1226_479:                           ;   in Loop: Header=BB1226_388 Depth=2
	s_or_b64 exec, exec, s[64:65]
	v_cmp_lt_u32_e64 s[64:65], v90, v175
	s_and_saveexec_b64 s[66:67], s[64:65]
	s_cbranch_execnz .LBB1226_548
.LBB1226_480:                           ;   in Loop: Header=BB1226_388 Depth=2
	s_or_b64 exec, exec, s[66:67]
	v_cmp_lt_u32_e64 s[66:67], v91, v175
	s_and_saveexec_b64 s[68:69], s[66:67]
	s_cbranch_execnz .LBB1226_549
.LBB1226_481:                           ;   in Loop: Header=BB1226_388 Depth=2
	s_or_b64 exec, exec, s[68:69]
	v_cmp_lt_u32_e64 s[68:69], v92, v175
	s_and_saveexec_b64 s[92:93], s[68:69]
	s_cbranch_execz .LBB1226_483
.LBB1226_482:                           ;   in Loop: Header=BB1226_388 Depth=2
	ds_read_b64 v[39:40], v106 offset:31744
	v_mov_b32_e32 v45, v3
	v_mov_b32_e32 v46, s81
	s_waitcnt lgkmcnt(0)
	v_cmp_ne_u64_e32 vcc, s[82:83], v[39:40]
	v_ashrrev_i32_e32 v54, 31, v40
	v_cndmask_b32_e32 v62, v135, v40, vcc
	v_cndmask_b32_e32 v61, 0, v39, vcc
	v_lshrrev_b64 v[61:62], s88, v[61:62]
	v_cmp_lt_i64_e32 vcc, -1, v[39:40]
	v_and_b32_e32 v50, s97, v61
	v_lshlrev_b32_e32 v50, 2, v50
	ds_read_b32 v50, v50
	v_cndmask_b32_e64 v44, v135, -1, vcc
	v_xor_b32_e32 v40, v44, v40
	v_not_b32_e32 v54, v54
	v_xor_b32_e32 v39, v54, v39
	s_waitcnt lgkmcnt(0)
	v_add_u32_e32 v44, v50, v92
	v_lshlrev_b64 v[44:45], 3, v[44:45]
	v_add_co_u32_e32 v44, vcc, s80, v44
	v_addc_co_u32_e32 v45, vcc, v46, v45, vcc
	global_store_dwordx2 v[44:45], v[39:40], off
.LBB1226_483:                           ;   in Loop: Header=BB1226_388 Depth=2
	s_or_b64 exec, exec, s[92:93]
	s_lshl_b64 s[92:93], s[72:73], 3
	v_mov_b32_e32 v40, s93
	v_add_co_u32_e32 v39, vcc, s92, v147
	v_addc_co_u32_e32 v40, vcc, v149, v40, vcc
	v_cmp_lt_u32_e32 vcc, v145, v175
	s_and_saveexec_b64 s[92:93], vcc
	s_xor_b64 s[92:93], exec, s[92:93]
	s_cbranch_execnz .LBB1226_550
; %bb.484:                              ;   in Loop: Header=BB1226_388 Depth=2
	s_or_b64 exec, exec, s[92:93]
	v_cmp_lt_u32_e32 vcc, v151, v175
	s_and_saveexec_b64 s[92:93], vcc
	s_cbranch_execnz .LBB1226_551
.LBB1226_485:                           ;   in Loop: Header=BB1226_388 Depth=2
	s_or_b64 exec, exec, s[92:93]
	v_cmp_lt_u32_e32 vcc, v153, v175
	s_and_saveexec_b64 s[92:93], vcc
	s_cbranch_execnz .LBB1226_552
.LBB1226_486:                           ;   in Loop: Header=BB1226_388 Depth=2
	s_or_b64 exec, exec, s[92:93]
	v_cmp_lt_u32_e32 vcc, v155, v175
	s_and_saveexec_b64 s[92:93], vcc
	s_cbranch_execnz .LBB1226_553
.LBB1226_487:                           ;   in Loop: Header=BB1226_388 Depth=2
	s_or_b64 exec, exec, s[92:93]
	v_cmp_lt_u32_e32 vcc, v157, v175
	s_and_saveexec_b64 s[92:93], vcc
	s_cbranch_execnz .LBB1226_554
.LBB1226_488:                           ;   in Loop: Header=BB1226_388 Depth=2
	s_or_b64 exec, exec, s[92:93]
	v_cmp_lt_u32_e32 vcc, v159, v175
	s_and_saveexec_b64 s[92:93], vcc
	s_cbranch_execnz .LBB1226_555
.LBB1226_489:                           ;   in Loop: Header=BB1226_388 Depth=2
	s_or_b64 exec, exec, s[92:93]
	v_cmp_lt_u32_e32 vcc, v161, v175
	s_and_saveexec_b64 s[92:93], vcc
	s_cbranch_execnz .LBB1226_556
.LBB1226_490:                           ;   in Loop: Header=BB1226_388 Depth=2
	s_or_b64 exec, exec, s[92:93]
	v_cmp_lt_u32_e32 vcc, v163, v175
	s_and_saveexec_b64 s[92:93], vcc
	s_cbranch_execnz .LBB1226_557
.LBB1226_491:                           ;   in Loop: Header=BB1226_388 Depth=2
	s_or_b64 exec, exec, s[92:93]
	v_cmp_lt_u32_e32 vcc, v164, v175
	s_and_saveexec_b64 s[92:93], vcc
	s_cbranch_execnz .LBB1226_558
.LBB1226_492:                           ;   in Loop: Header=BB1226_388 Depth=2
	s_or_b64 exec, exec, s[92:93]
	v_cmp_lt_u32_e32 vcc, v165, v175
	s_and_saveexec_b64 s[92:93], vcc
	s_cbranch_execnz .LBB1226_559
.LBB1226_493:                           ;   in Loop: Header=BB1226_388 Depth=2
	s_or_b64 exec, exec, s[92:93]
	v_cmp_lt_u32_e32 vcc, v166, v175
	s_and_saveexec_b64 s[92:93], vcc
	s_cbranch_execnz .LBB1226_560
.LBB1226_494:                           ;   in Loop: Header=BB1226_388 Depth=2
	s_or_b64 exec, exec, s[92:93]
	v_cmp_lt_u32_e32 vcc, v167, v175
	s_and_saveexec_b64 s[92:93], vcc
	s_cbranch_execnz .LBB1226_561
.LBB1226_495:                           ;   in Loop: Header=BB1226_388 Depth=2
	s_or_b64 exec, exec, s[92:93]
	v_cmp_lt_u32_e32 vcc, v168, v175
	s_and_saveexec_b64 s[92:93], vcc
	s_cbranch_execnz .LBB1226_562
.LBB1226_496:                           ;   in Loop: Header=BB1226_388 Depth=2
	s_or_b64 exec, exec, s[92:93]
	v_cmp_lt_u32_e32 vcc, v169, v175
	s_and_saveexec_b64 s[92:93], vcc
	s_cbranch_execnz .LBB1226_563
.LBB1226_497:                           ;   in Loop: Header=BB1226_388 Depth=2
	s_or_b64 exec, exec, s[92:93]
	v_cmp_lt_u32_e32 vcc, v170, v175
	s_and_saveexec_b64 s[92:93], vcc
	s_cbranch_execnz .LBB1226_564
.LBB1226_498:                           ;   in Loop: Header=BB1226_388 Depth=2
	s_or_b64 exec, exec, s[92:93]
	v_cmp_lt_u32_e32 vcc, v171, v175
	s_and_saveexec_b64 s[92:93], vcc
	s_cbranch_execnz .LBB1226_565
.LBB1226_499:                           ;   in Loop: Header=BB1226_388 Depth=2
	s_or_b64 exec, exec, s[92:93]
	s_and_saveexec_b64 s[92:93], s[38:39]
	s_cbranch_execnz .LBB1226_566
.LBB1226_500:                           ;   in Loop: Header=BB1226_388 Depth=2
	s_or_b64 exec, exec, s[92:93]
	s_and_saveexec_b64 s[92:93], s[40:41]
	s_cbranch_execnz .LBB1226_567
.LBB1226_501:                           ;   in Loop: Header=BB1226_388 Depth=2
	s_or_b64 exec, exec, s[92:93]
	s_and_saveexec_b64 s[92:93], s[42:43]
	s_cbranch_execnz .LBB1226_568
.LBB1226_502:                           ;   in Loop: Header=BB1226_388 Depth=2
	s_or_b64 exec, exec, s[92:93]
	s_and_saveexec_b64 s[92:93], s[44:45]
	s_cbranch_execnz .LBB1226_569
.LBB1226_503:                           ;   in Loop: Header=BB1226_388 Depth=2
	s_or_b64 exec, exec, s[92:93]
	s_and_saveexec_b64 s[92:93], s[46:47]
	s_cbranch_execnz .LBB1226_570
.LBB1226_504:                           ;   in Loop: Header=BB1226_388 Depth=2
	s_or_b64 exec, exec, s[92:93]
	s_and_saveexec_b64 s[92:93], s[48:49]
	s_cbranch_execnz .LBB1226_571
.LBB1226_505:                           ;   in Loop: Header=BB1226_388 Depth=2
	s_or_b64 exec, exec, s[92:93]
	s_and_saveexec_b64 s[92:93], s[50:51]
	s_cbranch_execnz .LBB1226_572
.LBB1226_506:                           ;   in Loop: Header=BB1226_388 Depth=2
	s_or_b64 exec, exec, s[92:93]
	s_and_saveexec_b64 s[92:93], s[52:53]
	s_cbranch_execnz .LBB1226_573
.LBB1226_507:                           ;   in Loop: Header=BB1226_388 Depth=2
	s_or_b64 exec, exec, s[92:93]
	s_and_saveexec_b64 s[92:93], s[54:55]
	s_cbranch_execnz .LBB1226_574
.LBB1226_508:                           ;   in Loop: Header=BB1226_388 Depth=2
	s_or_b64 exec, exec, s[92:93]
	s_and_saveexec_b64 s[92:93], s[56:57]
	s_cbranch_execnz .LBB1226_575
.LBB1226_509:                           ;   in Loop: Header=BB1226_388 Depth=2
	s_or_b64 exec, exec, s[92:93]
	s_and_saveexec_b64 s[92:93], s[58:59]
	s_cbranch_execnz .LBB1226_576
.LBB1226_510:                           ;   in Loop: Header=BB1226_388 Depth=2
	s_or_b64 exec, exec, s[92:93]
	s_and_saveexec_b64 s[92:93], s[60:61]
	s_cbranch_execnz .LBB1226_577
.LBB1226_511:                           ;   in Loop: Header=BB1226_388 Depth=2
	s_or_b64 exec, exec, s[92:93]
	s_and_saveexec_b64 s[92:93], s[62:63]
	s_cbranch_execnz .LBB1226_578
.LBB1226_512:                           ;   in Loop: Header=BB1226_388 Depth=2
	s_or_b64 exec, exec, s[92:93]
	s_and_saveexec_b64 s[92:93], s[64:65]
	s_cbranch_execnz .LBB1226_579
.LBB1226_513:                           ;   in Loop: Header=BB1226_388 Depth=2
	s_or_b64 exec, exec, s[92:93]
	s_and_saveexec_b64 s[92:93], s[66:67]
	s_cbranch_execnz .LBB1226_580
.LBB1226_514:                           ;   in Loop: Header=BB1226_388 Depth=2
	s_or_b64 exec, exec, s[92:93]
	s_and_saveexec_b64 s[92:93], s[68:69]
	s_cbranch_execz .LBB1226_516
.LBB1226_515:                           ;   in Loop: Header=BB1226_388 Depth=2
	ds_read_b64 v[39:40], v106 offset:31744
	s_waitcnt lgkmcnt(0)
	v_cmp_ne_u64_e32 vcc, s[82:83], v[39:40]
	v_cndmask_b32_e32 v40, v135, v40, vcc
	v_cndmask_b32_e32 v39, 0, v39, vcc
	v_lshrrev_b64 v[39:40], s88, v[39:40]
	v_and_b32_e32 v138, s97, v39
.LBB1226_516:                           ;   in Loop: Header=BB1226_388 Depth=2
	s_or_b64 exec, exec, s[92:93]
	s_waitcnt vmcnt(0)
	s_barrier
	ds_write_b64 v71, v[37:38] offset:1024
	ds_write_b64 v72, v[35:36] offset:1024
	;; [unrolled: 1-line block ×16, first 2 shown]
	s_waitcnt lgkmcnt(0)
	s_barrier
	s_and_saveexec_b64 s[92:93], s[38:39]
	s_cbranch_execnz .LBB1226_581
; %bb.517:                              ;   in Loop: Header=BB1226_388 Depth=2
	s_or_b64 exec, exec, s[92:93]
	s_and_saveexec_b64 s[38:39], s[40:41]
	s_cbranch_execnz .LBB1226_582
.LBB1226_518:                           ;   in Loop: Header=BB1226_388 Depth=2
	s_or_b64 exec, exec, s[38:39]
	s_and_saveexec_b64 s[38:39], s[42:43]
	s_cbranch_execnz .LBB1226_583
.LBB1226_519:                           ;   in Loop: Header=BB1226_388 Depth=2
	s_or_b64 exec, exec, s[38:39]
	s_and_saveexec_b64 s[38:39], s[44:45]
	s_cbranch_execnz .LBB1226_584
.LBB1226_520:                           ;   in Loop: Header=BB1226_388 Depth=2
	s_or_b64 exec, exec, s[38:39]
	s_and_saveexec_b64 s[38:39], s[46:47]
	s_cbranch_execnz .LBB1226_585
.LBB1226_521:                           ;   in Loop: Header=BB1226_388 Depth=2
	s_or_b64 exec, exec, s[38:39]
	s_and_saveexec_b64 s[38:39], s[48:49]
	s_cbranch_execnz .LBB1226_586
.LBB1226_522:                           ;   in Loop: Header=BB1226_388 Depth=2
	s_or_b64 exec, exec, s[38:39]
	s_and_saveexec_b64 s[38:39], s[50:51]
	s_cbranch_execnz .LBB1226_587
.LBB1226_523:                           ;   in Loop: Header=BB1226_388 Depth=2
	s_or_b64 exec, exec, s[38:39]
	s_and_saveexec_b64 s[38:39], s[52:53]
	s_cbranch_execnz .LBB1226_588
.LBB1226_524:                           ;   in Loop: Header=BB1226_388 Depth=2
	s_or_b64 exec, exec, s[38:39]
	s_and_saveexec_b64 s[38:39], s[54:55]
	s_cbranch_execnz .LBB1226_589
.LBB1226_525:                           ;   in Loop: Header=BB1226_388 Depth=2
	s_or_b64 exec, exec, s[38:39]
	s_and_saveexec_b64 s[38:39], s[56:57]
	s_cbranch_execnz .LBB1226_590
.LBB1226_526:                           ;   in Loop: Header=BB1226_388 Depth=2
	s_or_b64 exec, exec, s[38:39]
	s_and_saveexec_b64 s[38:39], s[58:59]
	s_cbranch_execnz .LBB1226_591
.LBB1226_527:                           ;   in Loop: Header=BB1226_388 Depth=2
	s_or_b64 exec, exec, s[38:39]
	s_and_saveexec_b64 s[38:39], s[60:61]
	s_cbranch_execnz .LBB1226_592
.LBB1226_528:                           ;   in Loop: Header=BB1226_388 Depth=2
	s_or_b64 exec, exec, s[38:39]
	s_and_saveexec_b64 s[38:39], s[62:63]
	s_cbranch_execnz .LBB1226_593
.LBB1226_529:                           ;   in Loop: Header=BB1226_388 Depth=2
	s_or_b64 exec, exec, s[38:39]
	s_and_saveexec_b64 s[38:39], s[64:65]
	s_cbranch_execnz .LBB1226_594
.LBB1226_530:                           ;   in Loop: Header=BB1226_388 Depth=2
	s_or_b64 exec, exec, s[38:39]
	s_and_saveexec_b64 s[38:39], s[66:67]
	s_cbranch_execnz .LBB1226_595
.LBB1226_531:                           ;   in Loop: Header=BB1226_388 Depth=2
	s_or_b64 exec, exec, s[38:39]
	s_and_saveexec_b64 s[38:39], s[68:69]
	s_cbranch_execz .LBB1226_533
.LBB1226_532:                           ;   in Loop: Header=BB1226_388 Depth=2
	v_lshlrev_b32_e32 v39, 2, v138
	ds_read_b32 v41, v39
	ds_read_b64 v[39:40], v106 offset:31744
	v_mov_b32_e32 v42, v3
	v_mov_b32_e32 v43, s87
	s_waitcnt lgkmcnt(1)
	v_add_u32_e32 v41, v41, v92
	v_lshlrev_b64 v[41:42], 3, v[41:42]
	v_add_co_u32_e32 v41, vcc, s86, v41
	v_addc_co_u32_e32 v42, vcc, v43, v42, vcc
	s_waitcnt lgkmcnt(0)
	global_store_dwordx2 v[41:42], v[39:40], off
.LBB1226_533:                           ;   in Loop: Header=BB1226_388 Depth=2
	s_or_b64 exec, exec, s[38:39]
	s_waitcnt vmcnt(0)
	s_barrier
	s_and_saveexec_b64 s[38:39], s[4:5]
	s_cbranch_execz .LBB1226_387
; %bb.534:                              ;   in Loop: Header=BB1226_388 Depth=2
	ds_read_b32 v39, v75
	s_waitcnt lgkmcnt(0)
	v_add_u32_e32 v4, v39, v4
	ds_write_b32 v75, v4
	s_branch .LBB1226_387
.LBB1226_535:                           ;   in Loop: Header=BB1226_388 Depth=2
	ds_read_b64 v[39:40], v106 offset:1024
	v_mov_b32_e32 v45, v3
	v_mov_b32_e32 v46, s81
	s_waitcnt lgkmcnt(0)
	v_cmp_ne_u64_e32 vcc, s[82:83], v[39:40]
	v_ashrrev_i32_e32 v54, 31, v40
	v_cndmask_b32_e32 v62, v135, v40, vcc
	v_cndmask_b32_e32 v61, 0, v39, vcc
	v_lshrrev_b64 v[61:62], s88, v[61:62]
	v_cmp_lt_i64_e32 vcc, -1, v[39:40]
	v_and_b32_e32 v50, s97, v61
	v_lshlrev_b32_e32 v50, 2, v50
	ds_read_b32 v50, v50
	v_cndmask_b32_e64 v44, v135, -1, vcc
	v_xor_b32_e32 v40, v44, v40
	v_not_b32_e32 v54, v54
	v_xor_b32_e32 v39, v54, v39
	s_waitcnt lgkmcnt(0)
	v_add_u32_e32 v44, v50, v0
	v_lshlrev_b64 v[44:45], 3, v[44:45]
	v_add_co_u32_e32 v44, vcc, s80, v44
	v_addc_co_u32_e32 v45, vcc, v46, v45, vcc
	global_store_dwordx2 v[44:45], v[39:40], off
	s_or_b64 exec, exec, s[40:41]
	v_cmp_lt_u32_e64 s[40:41], v76, v175
	s_and_saveexec_b64 s[42:43], s[40:41]
	s_cbranch_execz .LBB1226_468
.LBB1226_536:                           ;   in Loop: Header=BB1226_388 Depth=2
	ds_read_b64 v[39:40], v106 offset:3072
	v_mov_b32_e32 v45, v3
	v_mov_b32_e32 v46, s81
	s_waitcnt lgkmcnt(0)
	v_cmp_ne_u64_e32 vcc, s[82:83], v[39:40]
	v_ashrrev_i32_e32 v54, 31, v40
	v_cndmask_b32_e32 v62, v135, v40, vcc
	v_cndmask_b32_e32 v61, 0, v39, vcc
	v_lshrrev_b64 v[61:62], s88, v[61:62]
	v_cmp_lt_i64_e32 vcc, -1, v[39:40]
	v_and_b32_e32 v50, s97, v61
	v_lshlrev_b32_e32 v50, 2, v50
	ds_read_b32 v50, v50
	v_cndmask_b32_e64 v44, v135, -1, vcc
	v_xor_b32_e32 v40, v44, v40
	v_not_b32_e32 v54, v54
	v_xor_b32_e32 v39, v54, v39
	s_waitcnt lgkmcnt(0)
	v_add_u32_e32 v44, v50, v76
	v_lshlrev_b64 v[44:45], 3, v[44:45]
	v_add_co_u32_e32 v44, vcc, s80, v44
	v_addc_co_u32_e32 v45, vcc, v46, v45, vcc
	global_store_dwordx2 v[44:45], v[39:40], off
	s_or_b64 exec, exec, s[42:43]
	v_cmp_lt_u32_e64 s[42:43], v77, v175
	s_and_saveexec_b64 s[44:45], s[42:43]
	s_cbranch_execz .LBB1226_469
.LBB1226_537:                           ;   in Loop: Header=BB1226_388 Depth=2
	ds_read_b64 v[39:40], v106 offset:5120
	v_mov_b32_e32 v45, v3
	v_mov_b32_e32 v46, s81
	s_waitcnt lgkmcnt(0)
	v_cmp_ne_u64_e32 vcc, s[82:83], v[39:40]
	v_ashrrev_i32_e32 v54, 31, v40
	v_cndmask_b32_e32 v62, v135, v40, vcc
	v_cndmask_b32_e32 v61, 0, v39, vcc
	v_lshrrev_b64 v[61:62], s88, v[61:62]
	v_cmp_lt_i64_e32 vcc, -1, v[39:40]
	v_and_b32_e32 v50, s97, v61
	v_lshlrev_b32_e32 v50, 2, v50
	ds_read_b32 v50, v50
	v_cndmask_b32_e64 v44, v135, -1, vcc
	v_xor_b32_e32 v40, v44, v40
	v_not_b32_e32 v54, v54
	v_xor_b32_e32 v39, v54, v39
	s_waitcnt lgkmcnt(0)
	v_add_u32_e32 v44, v50, v77
	v_lshlrev_b64 v[44:45], 3, v[44:45]
	v_add_co_u32_e32 v44, vcc, s80, v44
	v_addc_co_u32_e32 v45, vcc, v46, v45, vcc
	global_store_dwordx2 v[44:45], v[39:40], off
	s_or_b64 exec, exec, s[44:45]
	v_cmp_lt_u32_e64 s[44:45], v78, v175
	s_and_saveexec_b64 s[46:47], s[44:45]
	s_cbranch_execz .LBB1226_470
.LBB1226_538:                           ;   in Loop: Header=BB1226_388 Depth=2
	ds_read_b64 v[39:40], v106 offset:7168
	v_mov_b32_e32 v45, v3
	v_mov_b32_e32 v46, s81
	s_waitcnt lgkmcnt(0)
	v_cmp_ne_u64_e32 vcc, s[82:83], v[39:40]
	v_ashrrev_i32_e32 v54, 31, v40
	v_cndmask_b32_e32 v62, v135, v40, vcc
	v_cndmask_b32_e32 v61, 0, v39, vcc
	v_lshrrev_b64 v[61:62], s88, v[61:62]
	v_cmp_lt_i64_e32 vcc, -1, v[39:40]
	v_and_b32_e32 v50, s97, v61
	v_lshlrev_b32_e32 v50, 2, v50
	ds_read_b32 v50, v50
	v_cndmask_b32_e64 v44, v135, -1, vcc
	v_xor_b32_e32 v40, v44, v40
	v_not_b32_e32 v54, v54
	v_xor_b32_e32 v39, v54, v39
	s_waitcnt lgkmcnt(0)
	v_add_u32_e32 v44, v50, v78
	v_lshlrev_b64 v[44:45], 3, v[44:45]
	v_add_co_u32_e32 v44, vcc, s80, v44
	v_addc_co_u32_e32 v45, vcc, v46, v45, vcc
	global_store_dwordx2 v[44:45], v[39:40], off
	s_or_b64 exec, exec, s[46:47]
	v_cmp_lt_u32_e64 s[46:47], v81, v175
	s_and_saveexec_b64 s[48:49], s[46:47]
	s_cbranch_execz .LBB1226_471
.LBB1226_539:                           ;   in Loop: Header=BB1226_388 Depth=2
	ds_read_b64 v[39:40], v106 offset:9216
	v_mov_b32_e32 v45, v3
	v_mov_b32_e32 v46, s81
	s_waitcnt lgkmcnt(0)
	v_cmp_ne_u64_e32 vcc, s[82:83], v[39:40]
	v_ashrrev_i32_e32 v54, 31, v40
	v_cndmask_b32_e32 v62, v135, v40, vcc
	v_cndmask_b32_e32 v61, 0, v39, vcc
	v_lshrrev_b64 v[61:62], s88, v[61:62]
	v_cmp_lt_i64_e32 vcc, -1, v[39:40]
	v_and_b32_e32 v50, s97, v61
	v_lshlrev_b32_e32 v50, 2, v50
	ds_read_b32 v50, v50
	v_cndmask_b32_e64 v44, v135, -1, vcc
	v_xor_b32_e32 v40, v44, v40
	v_not_b32_e32 v54, v54
	v_xor_b32_e32 v39, v54, v39
	s_waitcnt lgkmcnt(0)
	v_add_u32_e32 v44, v50, v81
	v_lshlrev_b64 v[44:45], 3, v[44:45]
	v_add_co_u32_e32 v44, vcc, s80, v44
	v_addc_co_u32_e32 v45, vcc, v46, v45, vcc
	global_store_dwordx2 v[44:45], v[39:40], off
	s_or_b64 exec, exec, s[48:49]
	v_cmp_lt_u32_e64 s[48:49], v82, v175
	s_and_saveexec_b64 s[50:51], s[48:49]
	s_cbranch_execz .LBB1226_472
.LBB1226_540:                           ;   in Loop: Header=BB1226_388 Depth=2
	ds_read_b64 v[39:40], v106 offset:11264
	v_mov_b32_e32 v45, v3
	v_mov_b32_e32 v46, s81
	s_waitcnt lgkmcnt(0)
	v_cmp_ne_u64_e32 vcc, s[82:83], v[39:40]
	v_ashrrev_i32_e32 v54, 31, v40
	v_cndmask_b32_e32 v62, v135, v40, vcc
	v_cndmask_b32_e32 v61, 0, v39, vcc
	v_lshrrev_b64 v[61:62], s88, v[61:62]
	v_cmp_lt_i64_e32 vcc, -1, v[39:40]
	v_and_b32_e32 v50, s97, v61
	v_lshlrev_b32_e32 v50, 2, v50
	ds_read_b32 v50, v50
	v_cndmask_b32_e64 v44, v135, -1, vcc
	v_xor_b32_e32 v40, v44, v40
	v_not_b32_e32 v54, v54
	v_xor_b32_e32 v39, v54, v39
	s_waitcnt lgkmcnt(0)
	v_add_u32_e32 v44, v50, v82
	v_lshlrev_b64 v[44:45], 3, v[44:45]
	v_add_co_u32_e32 v44, vcc, s80, v44
	v_addc_co_u32_e32 v45, vcc, v46, v45, vcc
	global_store_dwordx2 v[44:45], v[39:40], off
	s_or_b64 exec, exec, s[50:51]
	v_cmp_lt_u32_e64 s[50:51], v83, v175
	s_and_saveexec_b64 s[52:53], s[50:51]
	s_cbranch_execz .LBB1226_473
.LBB1226_541:                           ;   in Loop: Header=BB1226_388 Depth=2
	ds_read_b64 v[39:40], v106 offset:13312
	v_mov_b32_e32 v45, v3
	v_mov_b32_e32 v46, s81
	s_waitcnt lgkmcnt(0)
	v_cmp_ne_u64_e32 vcc, s[82:83], v[39:40]
	v_ashrrev_i32_e32 v54, 31, v40
	v_cndmask_b32_e32 v62, v135, v40, vcc
	v_cndmask_b32_e32 v61, 0, v39, vcc
	v_lshrrev_b64 v[61:62], s88, v[61:62]
	v_cmp_lt_i64_e32 vcc, -1, v[39:40]
	v_and_b32_e32 v50, s97, v61
	v_lshlrev_b32_e32 v50, 2, v50
	ds_read_b32 v50, v50
	v_cndmask_b32_e64 v44, v135, -1, vcc
	v_xor_b32_e32 v40, v44, v40
	v_not_b32_e32 v54, v54
	v_xor_b32_e32 v39, v54, v39
	s_waitcnt lgkmcnt(0)
	v_add_u32_e32 v44, v50, v83
	v_lshlrev_b64 v[44:45], 3, v[44:45]
	v_add_co_u32_e32 v44, vcc, s80, v44
	v_addc_co_u32_e32 v45, vcc, v46, v45, vcc
	global_store_dwordx2 v[44:45], v[39:40], off
	s_or_b64 exec, exec, s[52:53]
	v_cmp_lt_u32_e64 s[52:53], v84, v175
	s_and_saveexec_b64 s[54:55], s[52:53]
	s_cbranch_execz .LBB1226_474
.LBB1226_542:                           ;   in Loop: Header=BB1226_388 Depth=2
	ds_read_b64 v[39:40], v106 offset:15360
	v_mov_b32_e32 v45, v3
	v_mov_b32_e32 v46, s81
	s_waitcnt lgkmcnt(0)
	v_cmp_ne_u64_e32 vcc, s[82:83], v[39:40]
	v_ashrrev_i32_e32 v54, 31, v40
	v_cndmask_b32_e32 v62, v135, v40, vcc
	v_cndmask_b32_e32 v61, 0, v39, vcc
	v_lshrrev_b64 v[61:62], s88, v[61:62]
	v_cmp_lt_i64_e32 vcc, -1, v[39:40]
	v_and_b32_e32 v50, s97, v61
	v_lshlrev_b32_e32 v50, 2, v50
	ds_read_b32 v50, v50
	v_cndmask_b32_e64 v44, v135, -1, vcc
	v_xor_b32_e32 v40, v44, v40
	v_not_b32_e32 v54, v54
	v_xor_b32_e32 v39, v54, v39
	s_waitcnt lgkmcnt(0)
	v_add_u32_e32 v44, v50, v84
	v_lshlrev_b64 v[44:45], 3, v[44:45]
	v_add_co_u32_e32 v44, vcc, s80, v44
	v_addc_co_u32_e32 v45, vcc, v46, v45, vcc
	global_store_dwordx2 v[44:45], v[39:40], off
	s_or_b64 exec, exec, s[54:55]
	v_cmp_lt_u32_e64 s[54:55], v85, v175
	s_and_saveexec_b64 s[56:57], s[54:55]
	s_cbranch_execz .LBB1226_475
.LBB1226_543:                           ;   in Loop: Header=BB1226_388 Depth=2
	ds_read_b64 v[39:40], v106 offset:17408
	v_mov_b32_e32 v45, v3
	v_mov_b32_e32 v46, s81
	s_waitcnt lgkmcnt(0)
	v_cmp_ne_u64_e32 vcc, s[82:83], v[39:40]
	v_ashrrev_i32_e32 v54, 31, v40
	v_cndmask_b32_e32 v62, v135, v40, vcc
	v_cndmask_b32_e32 v61, 0, v39, vcc
	v_lshrrev_b64 v[61:62], s88, v[61:62]
	v_cmp_lt_i64_e32 vcc, -1, v[39:40]
	v_and_b32_e32 v50, s97, v61
	v_lshlrev_b32_e32 v50, 2, v50
	ds_read_b32 v50, v50
	v_cndmask_b32_e64 v44, v135, -1, vcc
	v_xor_b32_e32 v40, v44, v40
	v_not_b32_e32 v54, v54
	v_xor_b32_e32 v39, v54, v39
	s_waitcnt lgkmcnt(0)
	v_add_u32_e32 v44, v50, v85
	v_lshlrev_b64 v[44:45], 3, v[44:45]
	v_add_co_u32_e32 v44, vcc, s80, v44
	v_addc_co_u32_e32 v45, vcc, v46, v45, vcc
	global_store_dwordx2 v[44:45], v[39:40], off
	s_or_b64 exec, exec, s[56:57]
	v_cmp_lt_u32_e64 s[56:57], v86, v175
	s_and_saveexec_b64 s[58:59], s[56:57]
	s_cbranch_execz .LBB1226_476
.LBB1226_544:                           ;   in Loop: Header=BB1226_388 Depth=2
	ds_read_b64 v[39:40], v106 offset:19456
	v_mov_b32_e32 v45, v3
	v_mov_b32_e32 v46, s81
	s_waitcnt lgkmcnt(0)
	v_cmp_ne_u64_e32 vcc, s[82:83], v[39:40]
	v_ashrrev_i32_e32 v54, 31, v40
	v_cndmask_b32_e32 v62, v135, v40, vcc
	v_cndmask_b32_e32 v61, 0, v39, vcc
	v_lshrrev_b64 v[61:62], s88, v[61:62]
	v_cmp_lt_i64_e32 vcc, -1, v[39:40]
	v_and_b32_e32 v50, s97, v61
	v_lshlrev_b32_e32 v50, 2, v50
	ds_read_b32 v50, v50
	v_cndmask_b32_e64 v44, v135, -1, vcc
	v_xor_b32_e32 v40, v44, v40
	v_not_b32_e32 v54, v54
	v_xor_b32_e32 v39, v54, v39
	s_waitcnt lgkmcnt(0)
	v_add_u32_e32 v44, v50, v86
	v_lshlrev_b64 v[44:45], 3, v[44:45]
	v_add_co_u32_e32 v44, vcc, s80, v44
	v_addc_co_u32_e32 v45, vcc, v46, v45, vcc
	global_store_dwordx2 v[44:45], v[39:40], off
	s_or_b64 exec, exec, s[58:59]
	v_cmp_lt_u32_e64 s[58:59], v87, v175
	s_and_saveexec_b64 s[60:61], s[58:59]
	s_cbranch_execz .LBB1226_477
.LBB1226_545:                           ;   in Loop: Header=BB1226_388 Depth=2
	ds_read_b64 v[39:40], v106 offset:21504
	v_mov_b32_e32 v45, v3
	v_mov_b32_e32 v46, s81
	s_waitcnt lgkmcnt(0)
	v_cmp_ne_u64_e32 vcc, s[82:83], v[39:40]
	v_ashrrev_i32_e32 v54, 31, v40
	v_cndmask_b32_e32 v62, v135, v40, vcc
	v_cndmask_b32_e32 v61, 0, v39, vcc
	v_lshrrev_b64 v[61:62], s88, v[61:62]
	v_cmp_lt_i64_e32 vcc, -1, v[39:40]
	v_and_b32_e32 v50, s97, v61
	v_lshlrev_b32_e32 v50, 2, v50
	ds_read_b32 v50, v50
	v_cndmask_b32_e64 v44, v135, -1, vcc
	v_xor_b32_e32 v40, v44, v40
	v_not_b32_e32 v54, v54
	v_xor_b32_e32 v39, v54, v39
	s_waitcnt lgkmcnt(0)
	v_add_u32_e32 v44, v50, v87
	v_lshlrev_b64 v[44:45], 3, v[44:45]
	v_add_co_u32_e32 v44, vcc, s80, v44
	v_addc_co_u32_e32 v45, vcc, v46, v45, vcc
	global_store_dwordx2 v[44:45], v[39:40], off
	s_or_b64 exec, exec, s[60:61]
	v_cmp_lt_u32_e64 s[60:61], v88, v175
	s_and_saveexec_b64 s[62:63], s[60:61]
	s_cbranch_execz .LBB1226_478
.LBB1226_546:                           ;   in Loop: Header=BB1226_388 Depth=2
	ds_read_b64 v[39:40], v106 offset:23552
	v_mov_b32_e32 v45, v3
	v_mov_b32_e32 v46, s81
	s_waitcnt lgkmcnt(0)
	v_cmp_ne_u64_e32 vcc, s[82:83], v[39:40]
	v_ashrrev_i32_e32 v54, 31, v40
	v_cndmask_b32_e32 v62, v135, v40, vcc
	v_cndmask_b32_e32 v61, 0, v39, vcc
	v_lshrrev_b64 v[61:62], s88, v[61:62]
	v_cmp_lt_i64_e32 vcc, -1, v[39:40]
	v_and_b32_e32 v50, s97, v61
	v_lshlrev_b32_e32 v50, 2, v50
	ds_read_b32 v50, v50
	v_cndmask_b32_e64 v44, v135, -1, vcc
	v_xor_b32_e32 v40, v44, v40
	v_not_b32_e32 v54, v54
	v_xor_b32_e32 v39, v54, v39
	s_waitcnt lgkmcnt(0)
	v_add_u32_e32 v44, v50, v88
	v_lshlrev_b64 v[44:45], 3, v[44:45]
	v_add_co_u32_e32 v44, vcc, s80, v44
	v_addc_co_u32_e32 v45, vcc, v46, v45, vcc
	global_store_dwordx2 v[44:45], v[39:40], off
	s_or_b64 exec, exec, s[62:63]
	v_cmp_lt_u32_e64 s[62:63], v89, v175
	s_and_saveexec_b64 s[64:65], s[62:63]
	s_cbranch_execz .LBB1226_479
.LBB1226_547:                           ;   in Loop: Header=BB1226_388 Depth=2
	ds_read_b64 v[39:40], v106 offset:25600
	v_mov_b32_e32 v45, v3
	v_mov_b32_e32 v46, s81
	s_waitcnt lgkmcnt(0)
	v_cmp_ne_u64_e32 vcc, s[82:83], v[39:40]
	v_ashrrev_i32_e32 v54, 31, v40
	v_cndmask_b32_e32 v62, v135, v40, vcc
	v_cndmask_b32_e32 v61, 0, v39, vcc
	v_lshrrev_b64 v[61:62], s88, v[61:62]
	v_cmp_lt_i64_e32 vcc, -1, v[39:40]
	v_and_b32_e32 v50, s97, v61
	v_lshlrev_b32_e32 v50, 2, v50
	ds_read_b32 v50, v50
	v_cndmask_b32_e64 v44, v135, -1, vcc
	v_xor_b32_e32 v40, v44, v40
	v_not_b32_e32 v54, v54
	v_xor_b32_e32 v39, v54, v39
	s_waitcnt lgkmcnt(0)
	v_add_u32_e32 v44, v50, v89
	v_lshlrev_b64 v[44:45], 3, v[44:45]
	v_add_co_u32_e32 v44, vcc, s80, v44
	v_addc_co_u32_e32 v45, vcc, v46, v45, vcc
	global_store_dwordx2 v[44:45], v[39:40], off
	s_or_b64 exec, exec, s[64:65]
	v_cmp_lt_u32_e64 s[64:65], v90, v175
	s_and_saveexec_b64 s[66:67], s[64:65]
	s_cbranch_execz .LBB1226_480
.LBB1226_548:                           ;   in Loop: Header=BB1226_388 Depth=2
	ds_read_b64 v[39:40], v106 offset:27648
	v_mov_b32_e32 v45, v3
	v_mov_b32_e32 v46, s81
	s_waitcnt lgkmcnt(0)
	v_cmp_ne_u64_e32 vcc, s[82:83], v[39:40]
	v_ashrrev_i32_e32 v54, 31, v40
	v_cndmask_b32_e32 v62, v135, v40, vcc
	v_cndmask_b32_e32 v61, 0, v39, vcc
	v_lshrrev_b64 v[61:62], s88, v[61:62]
	v_cmp_lt_i64_e32 vcc, -1, v[39:40]
	v_and_b32_e32 v50, s97, v61
	v_lshlrev_b32_e32 v50, 2, v50
	ds_read_b32 v50, v50
	v_cndmask_b32_e64 v44, v135, -1, vcc
	v_xor_b32_e32 v40, v44, v40
	v_not_b32_e32 v54, v54
	v_xor_b32_e32 v39, v54, v39
	s_waitcnt lgkmcnt(0)
	v_add_u32_e32 v44, v50, v90
	v_lshlrev_b64 v[44:45], 3, v[44:45]
	v_add_co_u32_e32 v44, vcc, s80, v44
	v_addc_co_u32_e32 v45, vcc, v46, v45, vcc
	global_store_dwordx2 v[44:45], v[39:40], off
	s_or_b64 exec, exec, s[66:67]
	v_cmp_lt_u32_e64 s[66:67], v91, v175
	s_and_saveexec_b64 s[68:69], s[66:67]
	s_cbranch_execz .LBB1226_481
.LBB1226_549:                           ;   in Loop: Header=BB1226_388 Depth=2
	ds_read_b64 v[39:40], v106 offset:29696
	v_mov_b32_e32 v45, v3
	v_mov_b32_e32 v46, s81
	s_waitcnt lgkmcnt(0)
	v_cmp_ne_u64_e32 vcc, s[82:83], v[39:40]
	v_ashrrev_i32_e32 v54, 31, v40
	v_cndmask_b32_e32 v62, v135, v40, vcc
	v_cndmask_b32_e32 v61, 0, v39, vcc
	v_lshrrev_b64 v[61:62], s88, v[61:62]
	v_cmp_lt_i64_e32 vcc, -1, v[39:40]
	v_and_b32_e32 v50, s97, v61
	v_lshlrev_b32_e32 v50, 2, v50
	ds_read_b32 v50, v50
	v_cndmask_b32_e64 v44, v135, -1, vcc
	v_xor_b32_e32 v40, v44, v40
	v_not_b32_e32 v54, v54
	v_xor_b32_e32 v39, v54, v39
	s_waitcnt lgkmcnt(0)
	v_add_u32_e32 v44, v50, v91
	v_lshlrev_b64 v[44:45], 3, v[44:45]
	v_add_co_u32_e32 v44, vcc, s80, v44
	v_addc_co_u32_e32 v45, vcc, v46, v45, vcc
	global_store_dwordx2 v[44:45], v[39:40], off
	s_or_b64 exec, exec, s[68:69]
	v_cmp_lt_u32_e64 s[68:69], v92, v175
	s_and_saveexec_b64 s[92:93], s[68:69]
	s_cbranch_execnz .LBB1226_482
	s_branch .LBB1226_483
.LBB1226_550:                           ;   in Loop: Header=BB1226_388 Depth=2
	global_load_dwordx2 v[37:38], v[39:40], off
	s_or_b64 exec, exec, s[92:93]
	v_cmp_lt_u32_e32 vcc, v151, v175
	s_and_saveexec_b64 s[92:93], vcc
	s_cbranch_execz .LBB1226_485
.LBB1226_551:                           ;   in Loop: Header=BB1226_388 Depth=2
	global_load_dwordx2 v[35:36], v[39:40], off offset:512
	s_or_b64 exec, exec, s[92:93]
	v_cmp_lt_u32_e32 vcc, v153, v175
	s_and_saveexec_b64 s[92:93], vcc
	s_cbranch_execz .LBB1226_486
.LBB1226_552:                           ;   in Loop: Header=BB1226_388 Depth=2
	global_load_dwordx2 v[33:34], v[39:40], off offset:1024
	s_or_b64 exec, exec, s[92:93]
	v_cmp_lt_u32_e32 vcc, v155, v175
	s_and_saveexec_b64 s[92:93], vcc
	s_cbranch_execz .LBB1226_487
.LBB1226_553:                           ;   in Loop: Header=BB1226_388 Depth=2
	global_load_dwordx2 v[29:30], v[39:40], off offset:1536
	s_or_b64 exec, exec, s[92:93]
	v_cmp_lt_u32_e32 vcc, v157, v175
	s_and_saveexec_b64 s[92:93], vcc
	s_cbranch_execz .LBB1226_488
.LBB1226_554:                           ;   in Loop: Header=BB1226_388 Depth=2
	global_load_dwordx2 v[25:26], v[39:40], off offset:2048
	s_or_b64 exec, exec, s[92:93]
	v_cmp_lt_u32_e32 vcc, v159, v175
	s_and_saveexec_b64 s[92:93], vcc
	s_cbranch_execz .LBB1226_489
.LBB1226_555:                           ;   in Loop: Header=BB1226_388 Depth=2
	global_load_dwordx2 v[21:22], v[39:40], off offset:2560
	s_or_b64 exec, exec, s[92:93]
	v_cmp_lt_u32_e32 vcc, v161, v175
	s_and_saveexec_b64 s[92:93], vcc
	s_cbranch_execz .LBB1226_490
.LBB1226_556:                           ;   in Loop: Header=BB1226_388 Depth=2
	global_load_dwordx2 v[17:18], v[39:40], off offset:3072
	s_or_b64 exec, exec, s[92:93]
	v_cmp_lt_u32_e32 vcc, v163, v175
	s_and_saveexec_b64 s[92:93], vcc
	s_cbranch_execz .LBB1226_491
.LBB1226_557:                           ;   in Loop: Header=BB1226_388 Depth=2
	global_load_dwordx2 v[13:14], v[39:40], off offset:3584
	s_or_b64 exec, exec, s[92:93]
	v_cmp_lt_u32_e32 vcc, v164, v175
	s_and_saveexec_b64 s[92:93], vcc
	s_cbranch_execz .LBB1226_492
.LBB1226_558:                           ;   in Loop: Header=BB1226_388 Depth=2
	v_add_co_u32_e32 v31, vcc, 0x1000, v39
	v_addc_co_u32_e32 v32, vcc, 0, v40, vcc
	global_load_dwordx2 v[31:32], v[31:32], off
	s_or_b64 exec, exec, s[92:93]
	v_cmp_lt_u32_e32 vcc, v165, v175
	s_and_saveexec_b64 s[92:93], vcc
	s_cbranch_execz .LBB1226_493
.LBB1226_559:                           ;   in Loop: Header=BB1226_388 Depth=2
	v_add_co_u32_e32 v27, vcc, 0x1000, v39
	v_addc_co_u32_e32 v28, vcc, 0, v40, vcc
	global_load_dwordx2 v[27:28], v[27:28], off offset:512
	s_or_b64 exec, exec, s[92:93]
	v_cmp_lt_u32_e32 vcc, v166, v175
	s_and_saveexec_b64 s[92:93], vcc
	s_cbranch_execz .LBB1226_494
.LBB1226_560:                           ;   in Loop: Header=BB1226_388 Depth=2
	v_add_co_u32_e32 v23, vcc, 0x1000, v39
	v_addc_co_u32_e32 v24, vcc, 0, v40, vcc
	global_load_dwordx2 v[23:24], v[23:24], off offset:1024
	s_or_b64 exec, exec, s[92:93]
	v_cmp_lt_u32_e32 vcc, v167, v175
	s_and_saveexec_b64 s[92:93], vcc
	s_cbranch_execz .LBB1226_495
.LBB1226_561:                           ;   in Loop: Header=BB1226_388 Depth=2
	v_add_co_u32_e32 v19, vcc, 0x1000, v39
	v_addc_co_u32_e32 v20, vcc, 0, v40, vcc
	global_load_dwordx2 v[19:20], v[19:20], off offset:1536
	s_or_b64 exec, exec, s[92:93]
	v_cmp_lt_u32_e32 vcc, v168, v175
	s_and_saveexec_b64 s[92:93], vcc
	s_cbranch_execz .LBB1226_496
.LBB1226_562:                           ;   in Loop: Header=BB1226_388 Depth=2
	v_add_co_u32_e32 v15, vcc, 0x1000, v39
	v_addc_co_u32_e32 v16, vcc, 0, v40, vcc
	global_load_dwordx2 v[15:16], v[15:16], off offset:2048
	s_or_b64 exec, exec, s[92:93]
	v_cmp_lt_u32_e32 vcc, v169, v175
	s_and_saveexec_b64 s[92:93], vcc
	s_cbranch_execz .LBB1226_497
.LBB1226_563:                           ;   in Loop: Header=BB1226_388 Depth=2
	v_add_co_u32_e32 v11, vcc, 0x1000, v39
	v_addc_co_u32_e32 v12, vcc, 0, v40, vcc
	global_load_dwordx2 v[11:12], v[11:12], off offset:2560
	s_or_b64 exec, exec, s[92:93]
	v_cmp_lt_u32_e32 vcc, v170, v175
	s_and_saveexec_b64 s[92:93], vcc
	s_cbranch_execz .LBB1226_498
.LBB1226_564:                           ;   in Loop: Header=BB1226_388 Depth=2
	v_add_co_u32_e32 v9, vcc, 0x1000, v39
	v_addc_co_u32_e32 v10, vcc, 0, v40, vcc
	global_load_dwordx2 v[9:10], v[9:10], off offset:3072
	s_or_b64 exec, exec, s[92:93]
	v_cmp_lt_u32_e32 vcc, v171, v175
	s_and_saveexec_b64 s[92:93], vcc
	s_cbranch_execz .LBB1226_499
.LBB1226_565:                           ;   in Loop: Header=BB1226_388 Depth=2
	v_add_co_u32_e32 v7, vcc, 0x1000, v39
	v_addc_co_u32_e32 v8, vcc, 0, v40, vcc
	global_load_dwordx2 v[7:8], v[7:8], off offset:3584
	s_or_b64 exec, exec, s[92:93]
	s_and_saveexec_b64 s[92:93], s[38:39]
	s_cbranch_execz .LBB1226_500
.LBB1226_566:                           ;   in Loop: Header=BB1226_388 Depth=2
	ds_read_b64 v[39:40], v106 offset:1024
	s_waitcnt lgkmcnt(0)
	v_cmp_ne_u64_e32 vcc, s[82:83], v[39:40]
	v_cndmask_b32_e32 v40, v135, v40, vcc
	v_cndmask_b32_e32 v39, 0, v39, vcc
	v_lshrrev_b64 v[39:40], s88, v[39:40]
	v_and_b32_e32 v162, s97, v39
	s_or_b64 exec, exec, s[92:93]
	s_and_saveexec_b64 s[92:93], s[40:41]
	s_cbranch_execz .LBB1226_501
.LBB1226_567:                           ;   in Loop: Header=BB1226_388 Depth=2
	ds_read_b64 v[39:40], v106 offset:3072
	s_waitcnt lgkmcnt(0)
	v_cmp_ne_u64_e32 vcc, s[82:83], v[39:40]
	v_cndmask_b32_e32 v40, v135, v40, vcc
	v_cndmask_b32_e32 v39, 0, v39, vcc
	v_lshrrev_b64 v[39:40], s88, v[39:40]
	v_and_b32_e32 v160, s97, v39
	s_or_b64 exec, exec, s[92:93]
	s_and_saveexec_b64 s[92:93], s[42:43]
	s_cbranch_execz .LBB1226_502
.LBB1226_568:                           ;   in Loop: Header=BB1226_388 Depth=2
	ds_read_b64 v[39:40], v106 offset:5120
	s_waitcnt lgkmcnt(0)
	v_cmp_ne_u64_e32 vcc, s[82:83], v[39:40]
	v_cndmask_b32_e32 v40, v135, v40, vcc
	v_cndmask_b32_e32 v39, 0, v39, vcc
	v_lshrrev_b64 v[39:40], s88, v[39:40]
	v_and_b32_e32 v158, s97, v39
	s_or_b64 exec, exec, s[92:93]
	s_and_saveexec_b64 s[92:93], s[44:45]
	s_cbranch_execz .LBB1226_503
.LBB1226_569:                           ;   in Loop: Header=BB1226_388 Depth=2
	ds_read_b64 v[39:40], v106 offset:7168
	s_waitcnt lgkmcnt(0)
	v_cmp_ne_u64_e32 vcc, s[82:83], v[39:40]
	v_cndmask_b32_e32 v40, v135, v40, vcc
	v_cndmask_b32_e32 v39, 0, v39, vcc
	v_lshrrev_b64 v[39:40], s88, v[39:40]
	v_and_b32_e32 v156, s97, v39
	s_or_b64 exec, exec, s[92:93]
	s_and_saveexec_b64 s[92:93], s[46:47]
	s_cbranch_execz .LBB1226_504
.LBB1226_570:                           ;   in Loop: Header=BB1226_388 Depth=2
	ds_read_b64 v[39:40], v106 offset:9216
	s_waitcnt lgkmcnt(0)
	v_cmp_ne_u64_e32 vcc, s[82:83], v[39:40]
	v_cndmask_b32_e32 v40, v135, v40, vcc
	v_cndmask_b32_e32 v39, 0, v39, vcc
	v_lshrrev_b64 v[39:40], s88, v[39:40]
	v_and_b32_e32 v154, s97, v39
	s_or_b64 exec, exec, s[92:93]
	s_and_saveexec_b64 s[92:93], s[48:49]
	s_cbranch_execz .LBB1226_505
.LBB1226_571:                           ;   in Loop: Header=BB1226_388 Depth=2
	ds_read_b64 v[39:40], v106 offset:11264
	s_waitcnt lgkmcnt(0)
	v_cmp_ne_u64_e32 vcc, s[82:83], v[39:40]
	v_cndmask_b32_e32 v40, v135, v40, vcc
	v_cndmask_b32_e32 v39, 0, v39, vcc
	v_lshrrev_b64 v[39:40], s88, v[39:40]
	v_and_b32_e32 v152, s97, v39
	s_or_b64 exec, exec, s[92:93]
	s_and_saveexec_b64 s[92:93], s[50:51]
	s_cbranch_execz .LBB1226_506
.LBB1226_572:                           ;   in Loop: Header=BB1226_388 Depth=2
	ds_read_b64 v[39:40], v106 offset:13312
	s_waitcnt lgkmcnt(0)
	v_cmp_ne_u64_e32 vcc, s[82:83], v[39:40]
	v_cndmask_b32_e32 v40, v135, v40, vcc
	v_cndmask_b32_e32 v39, 0, v39, vcc
	v_lshrrev_b64 v[39:40], s88, v[39:40]
	v_and_b32_e32 v150, s97, v39
	s_or_b64 exec, exec, s[92:93]
	s_and_saveexec_b64 s[92:93], s[52:53]
	s_cbranch_execz .LBB1226_507
.LBB1226_573:                           ;   in Loop: Header=BB1226_388 Depth=2
	ds_read_b64 v[39:40], v106 offset:15360
	s_waitcnt lgkmcnt(0)
	v_cmp_ne_u64_e32 vcc, s[82:83], v[39:40]
	v_cndmask_b32_e32 v40, v135, v40, vcc
	v_cndmask_b32_e32 v39, 0, v39, vcc
	v_lshrrev_b64 v[39:40], s88, v[39:40]
	v_and_b32_e32 v148, s97, v39
	s_or_b64 exec, exec, s[92:93]
	s_and_saveexec_b64 s[92:93], s[54:55]
	s_cbranch_execz .LBB1226_508
.LBB1226_574:                           ;   in Loop: Header=BB1226_388 Depth=2
	ds_read_b64 v[39:40], v106 offset:17408
	s_waitcnt lgkmcnt(0)
	v_cmp_ne_u64_e32 vcc, s[82:83], v[39:40]
	v_cndmask_b32_e32 v40, v135, v40, vcc
	v_cndmask_b32_e32 v39, 0, v39, vcc
	v_lshrrev_b64 v[39:40], s88, v[39:40]
	v_and_b32_e32 v146, s97, v39
	s_or_b64 exec, exec, s[92:93]
	s_and_saveexec_b64 s[92:93], s[56:57]
	s_cbranch_execz .LBB1226_509
.LBB1226_575:                           ;   in Loop: Header=BB1226_388 Depth=2
	ds_read_b64 v[39:40], v106 offset:19456
	s_waitcnt lgkmcnt(0)
	v_cmp_ne_u64_e32 vcc, s[82:83], v[39:40]
	v_cndmask_b32_e32 v40, v135, v40, vcc
	v_cndmask_b32_e32 v39, 0, v39, vcc
	v_lshrrev_b64 v[39:40], s88, v[39:40]
	v_and_b32_e32 v144, s97, v39
	s_or_b64 exec, exec, s[92:93]
	s_and_saveexec_b64 s[92:93], s[58:59]
	s_cbranch_execz .LBB1226_510
.LBB1226_576:                           ;   in Loop: Header=BB1226_388 Depth=2
	ds_read_b64 v[39:40], v106 offset:21504
	s_waitcnt lgkmcnt(0)
	v_cmp_ne_u64_e32 vcc, s[82:83], v[39:40]
	v_cndmask_b32_e32 v40, v135, v40, vcc
	v_cndmask_b32_e32 v39, 0, v39, vcc
	v_lshrrev_b64 v[39:40], s88, v[39:40]
	v_and_b32_e32 v143, s97, v39
	s_or_b64 exec, exec, s[92:93]
	s_and_saveexec_b64 s[92:93], s[60:61]
	s_cbranch_execz .LBB1226_511
.LBB1226_577:                           ;   in Loop: Header=BB1226_388 Depth=2
	ds_read_b64 v[39:40], v106 offset:23552
	s_waitcnt lgkmcnt(0)
	v_cmp_ne_u64_e32 vcc, s[82:83], v[39:40]
	v_cndmask_b32_e32 v40, v135, v40, vcc
	v_cndmask_b32_e32 v39, 0, v39, vcc
	v_lshrrev_b64 v[39:40], s88, v[39:40]
	v_and_b32_e32 v142, s97, v39
	s_or_b64 exec, exec, s[92:93]
	s_and_saveexec_b64 s[92:93], s[62:63]
	s_cbranch_execz .LBB1226_512
.LBB1226_578:                           ;   in Loop: Header=BB1226_388 Depth=2
	ds_read_b64 v[39:40], v106 offset:25600
	s_waitcnt lgkmcnt(0)
	v_cmp_ne_u64_e32 vcc, s[82:83], v[39:40]
	v_cndmask_b32_e32 v40, v135, v40, vcc
	v_cndmask_b32_e32 v39, 0, v39, vcc
	v_lshrrev_b64 v[39:40], s88, v[39:40]
	v_and_b32_e32 v141, s97, v39
	s_or_b64 exec, exec, s[92:93]
	s_and_saveexec_b64 s[92:93], s[64:65]
	s_cbranch_execz .LBB1226_513
.LBB1226_579:                           ;   in Loop: Header=BB1226_388 Depth=2
	ds_read_b64 v[39:40], v106 offset:27648
	s_waitcnt lgkmcnt(0)
	v_cmp_ne_u64_e32 vcc, s[82:83], v[39:40]
	v_cndmask_b32_e32 v40, v135, v40, vcc
	v_cndmask_b32_e32 v39, 0, v39, vcc
	v_lshrrev_b64 v[39:40], s88, v[39:40]
	v_and_b32_e32 v140, s97, v39
	s_or_b64 exec, exec, s[92:93]
	s_and_saveexec_b64 s[92:93], s[66:67]
	s_cbranch_execz .LBB1226_514
.LBB1226_580:                           ;   in Loop: Header=BB1226_388 Depth=2
	ds_read_b64 v[39:40], v106 offset:29696
	s_waitcnt lgkmcnt(0)
	v_cmp_ne_u64_e32 vcc, s[82:83], v[39:40]
	v_cndmask_b32_e32 v40, v135, v40, vcc
	v_cndmask_b32_e32 v39, 0, v39, vcc
	v_lshrrev_b64 v[39:40], s88, v[39:40]
	v_and_b32_e32 v139, s97, v39
	s_or_b64 exec, exec, s[92:93]
	s_and_saveexec_b64 s[92:93], s[68:69]
	s_cbranch_execnz .LBB1226_515
	s_branch .LBB1226_516
.LBB1226_581:                           ;   in Loop: Header=BB1226_388 Depth=2
	v_lshlrev_b32_e32 v39, 2, v162
	ds_read_b32 v41, v39
	ds_read_b64 v[39:40], v106 offset:1024
	v_mov_b32_e32 v42, v3
	v_mov_b32_e32 v43, s87
	s_waitcnt lgkmcnt(1)
	v_add_u32_e32 v41, v41, v0
	v_lshlrev_b64 v[41:42], 3, v[41:42]
	v_add_co_u32_e32 v41, vcc, s86, v41
	v_addc_co_u32_e32 v42, vcc, v43, v42, vcc
	s_waitcnt lgkmcnt(0)
	global_store_dwordx2 v[41:42], v[39:40], off
	s_or_b64 exec, exec, s[92:93]
	s_and_saveexec_b64 s[38:39], s[40:41]
	s_cbranch_execz .LBB1226_518
.LBB1226_582:                           ;   in Loop: Header=BB1226_388 Depth=2
	v_lshlrev_b32_e32 v39, 2, v160
	ds_read_b32 v41, v39
	ds_read_b64 v[39:40], v106 offset:3072
	v_mov_b32_e32 v42, v3
	v_mov_b32_e32 v43, s87
	s_waitcnt lgkmcnt(1)
	v_add_u32_e32 v41, v41, v76
	v_lshlrev_b64 v[41:42], 3, v[41:42]
	v_add_co_u32_e32 v41, vcc, s86, v41
	v_addc_co_u32_e32 v42, vcc, v43, v42, vcc
	s_waitcnt lgkmcnt(0)
	global_store_dwordx2 v[41:42], v[39:40], off
	s_or_b64 exec, exec, s[38:39]
	s_and_saveexec_b64 s[38:39], s[42:43]
	s_cbranch_execz .LBB1226_519
.LBB1226_583:                           ;   in Loop: Header=BB1226_388 Depth=2
	v_lshlrev_b32_e32 v39, 2, v158
	ds_read_b32 v41, v39
	ds_read_b64 v[39:40], v106 offset:5120
	v_mov_b32_e32 v42, v3
	v_mov_b32_e32 v43, s87
	s_waitcnt lgkmcnt(1)
	v_add_u32_e32 v41, v41, v77
	v_lshlrev_b64 v[41:42], 3, v[41:42]
	v_add_co_u32_e32 v41, vcc, s86, v41
	v_addc_co_u32_e32 v42, vcc, v43, v42, vcc
	s_waitcnt lgkmcnt(0)
	global_store_dwordx2 v[41:42], v[39:40], off
	s_or_b64 exec, exec, s[38:39]
	s_and_saveexec_b64 s[38:39], s[44:45]
	s_cbranch_execz .LBB1226_520
.LBB1226_584:                           ;   in Loop: Header=BB1226_388 Depth=2
	v_lshlrev_b32_e32 v39, 2, v156
	ds_read_b32 v41, v39
	ds_read_b64 v[39:40], v106 offset:7168
	v_mov_b32_e32 v42, v3
	v_mov_b32_e32 v43, s87
	s_waitcnt lgkmcnt(1)
	v_add_u32_e32 v41, v41, v78
	v_lshlrev_b64 v[41:42], 3, v[41:42]
	v_add_co_u32_e32 v41, vcc, s86, v41
	v_addc_co_u32_e32 v42, vcc, v43, v42, vcc
	s_waitcnt lgkmcnt(0)
	global_store_dwordx2 v[41:42], v[39:40], off
	s_or_b64 exec, exec, s[38:39]
	s_and_saveexec_b64 s[38:39], s[46:47]
	s_cbranch_execz .LBB1226_521
.LBB1226_585:                           ;   in Loop: Header=BB1226_388 Depth=2
	v_lshlrev_b32_e32 v39, 2, v154
	ds_read_b32 v41, v39
	ds_read_b64 v[39:40], v106 offset:9216
	v_mov_b32_e32 v42, v3
	v_mov_b32_e32 v43, s87
	s_waitcnt lgkmcnt(1)
	v_add_u32_e32 v41, v41, v81
	v_lshlrev_b64 v[41:42], 3, v[41:42]
	v_add_co_u32_e32 v41, vcc, s86, v41
	v_addc_co_u32_e32 v42, vcc, v43, v42, vcc
	s_waitcnt lgkmcnt(0)
	global_store_dwordx2 v[41:42], v[39:40], off
	s_or_b64 exec, exec, s[38:39]
	s_and_saveexec_b64 s[38:39], s[48:49]
	s_cbranch_execz .LBB1226_522
.LBB1226_586:                           ;   in Loop: Header=BB1226_388 Depth=2
	v_lshlrev_b32_e32 v39, 2, v152
	ds_read_b32 v41, v39
	ds_read_b64 v[39:40], v106 offset:11264
	v_mov_b32_e32 v42, v3
	v_mov_b32_e32 v43, s87
	s_waitcnt lgkmcnt(1)
	v_add_u32_e32 v41, v41, v82
	v_lshlrev_b64 v[41:42], 3, v[41:42]
	v_add_co_u32_e32 v41, vcc, s86, v41
	v_addc_co_u32_e32 v42, vcc, v43, v42, vcc
	s_waitcnt lgkmcnt(0)
	global_store_dwordx2 v[41:42], v[39:40], off
	s_or_b64 exec, exec, s[38:39]
	s_and_saveexec_b64 s[38:39], s[50:51]
	s_cbranch_execz .LBB1226_523
.LBB1226_587:                           ;   in Loop: Header=BB1226_388 Depth=2
	v_lshlrev_b32_e32 v39, 2, v150
	ds_read_b32 v41, v39
	ds_read_b64 v[39:40], v106 offset:13312
	v_mov_b32_e32 v42, v3
	v_mov_b32_e32 v43, s87
	s_waitcnt lgkmcnt(1)
	v_add_u32_e32 v41, v41, v83
	v_lshlrev_b64 v[41:42], 3, v[41:42]
	v_add_co_u32_e32 v41, vcc, s86, v41
	v_addc_co_u32_e32 v42, vcc, v43, v42, vcc
	s_waitcnt lgkmcnt(0)
	global_store_dwordx2 v[41:42], v[39:40], off
	s_or_b64 exec, exec, s[38:39]
	s_and_saveexec_b64 s[38:39], s[52:53]
	s_cbranch_execz .LBB1226_524
.LBB1226_588:                           ;   in Loop: Header=BB1226_388 Depth=2
	v_lshlrev_b32_e32 v39, 2, v148
	ds_read_b32 v41, v39
	ds_read_b64 v[39:40], v106 offset:15360
	v_mov_b32_e32 v42, v3
	v_mov_b32_e32 v43, s87
	s_waitcnt lgkmcnt(1)
	v_add_u32_e32 v41, v41, v84
	v_lshlrev_b64 v[41:42], 3, v[41:42]
	v_add_co_u32_e32 v41, vcc, s86, v41
	v_addc_co_u32_e32 v42, vcc, v43, v42, vcc
	s_waitcnt lgkmcnt(0)
	global_store_dwordx2 v[41:42], v[39:40], off
	s_or_b64 exec, exec, s[38:39]
	s_and_saveexec_b64 s[38:39], s[54:55]
	s_cbranch_execz .LBB1226_525
.LBB1226_589:                           ;   in Loop: Header=BB1226_388 Depth=2
	v_lshlrev_b32_e32 v39, 2, v146
	ds_read_b32 v41, v39
	ds_read_b64 v[39:40], v106 offset:17408
	v_mov_b32_e32 v42, v3
	v_mov_b32_e32 v43, s87
	s_waitcnt lgkmcnt(1)
	v_add_u32_e32 v41, v41, v85
	v_lshlrev_b64 v[41:42], 3, v[41:42]
	v_add_co_u32_e32 v41, vcc, s86, v41
	v_addc_co_u32_e32 v42, vcc, v43, v42, vcc
	s_waitcnt lgkmcnt(0)
	global_store_dwordx2 v[41:42], v[39:40], off
	s_or_b64 exec, exec, s[38:39]
	s_and_saveexec_b64 s[38:39], s[56:57]
	s_cbranch_execz .LBB1226_526
.LBB1226_590:                           ;   in Loop: Header=BB1226_388 Depth=2
	v_lshlrev_b32_e32 v39, 2, v144
	ds_read_b32 v41, v39
	ds_read_b64 v[39:40], v106 offset:19456
	v_mov_b32_e32 v42, v3
	v_mov_b32_e32 v43, s87
	s_waitcnt lgkmcnt(1)
	v_add_u32_e32 v41, v41, v86
	v_lshlrev_b64 v[41:42], 3, v[41:42]
	v_add_co_u32_e32 v41, vcc, s86, v41
	v_addc_co_u32_e32 v42, vcc, v43, v42, vcc
	s_waitcnt lgkmcnt(0)
	global_store_dwordx2 v[41:42], v[39:40], off
	s_or_b64 exec, exec, s[38:39]
	s_and_saveexec_b64 s[38:39], s[58:59]
	s_cbranch_execz .LBB1226_527
.LBB1226_591:                           ;   in Loop: Header=BB1226_388 Depth=2
	v_lshlrev_b32_e32 v39, 2, v143
	ds_read_b32 v41, v39
	ds_read_b64 v[39:40], v106 offset:21504
	v_mov_b32_e32 v42, v3
	v_mov_b32_e32 v43, s87
	s_waitcnt lgkmcnt(1)
	v_add_u32_e32 v41, v41, v87
	v_lshlrev_b64 v[41:42], 3, v[41:42]
	v_add_co_u32_e32 v41, vcc, s86, v41
	v_addc_co_u32_e32 v42, vcc, v43, v42, vcc
	s_waitcnt lgkmcnt(0)
	global_store_dwordx2 v[41:42], v[39:40], off
	s_or_b64 exec, exec, s[38:39]
	s_and_saveexec_b64 s[38:39], s[60:61]
	s_cbranch_execz .LBB1226_528
.LBB1226_592:                           ;   in Loop: Header=BB1226_388 Depth=2
	v_lshlrev_b32_e32 v39, 2, v142
	ds_read_b32 v41, v39
	ds_read_b64 v[39:40], v106 offset:23552
	v_mov_b32_e32 v42, v3
	v_mov_b32_e32 v43, s87
	s_waitcnt lgkmcnt(1)
	v_add_u32_e32 v41, v41, v88
	v_lshlrev_b64 v[41:42], 3, v[41:42]
	v_add_co_u32_e32 v41, vcc, s86, v41
	v_addc_co_u32_e32 v42, vcc, v43, v42, vcc
	s_waitcnt lgkmcnt(0)
	global_store_dwordx2 v[41:42], v[39:40], off
	s_or_b64 exec, exec, s[38:39]
	s_and_saveexec_b64 s[38:39], s[62:63]
	s_cbranch_execz .LBB1226_529
.LBB1226_593:                           ;   in Loop: Header=BB1226_388 Depth=2
	v_lshlrev_b32_e32 v39, 2, v141
	ds_read_b32 v41, v39
	ds_read_b64 v[39:40], v106 offset:25600
	v_mov_b32_e32 v42, v3
	v_mov_b32_e32 v43, s87
	s_waitcnt lgkmcnt(1)
	v_add_u32_e32 v41, v41, v89
	v_lshlrev_b64 v[41:42], 3, v[41:42]
	v_add_co_u32_e32 v41, vcc, s86, v41
	v_addc_co_u32_e32 v42, vcc, v43, v42, vcc
	s_waitcnt lgkmcnt(0)
	global_store_dwordx2 v[41:42], v[39:40], off
	s_or_b64 exec, exec, s[38:39]
	s_and_saveexec_b64 s[38:39], s[64:65]
	s_cbranch_execz .LBB1226_530
.LBB1226_594:                           ;   in Loop: Header=BB1226_388 Depth=2
	v_lshlrev_b32_e32 v39, 2, v140
	ds_read_b32 v41, v39
	ds_read_b64 v[39:40], v106 offset:27648
	v_mov_b32_e32 v42, v3
	v_mov_b32_e32 v43, s87
	s_waitcnt lgkmcnt(1)
	v_add_u32_e32 v41, v41, v90
	v_lshlrev_b64 v[41:42], 3, v[41:42]
	v_add_co_u32_e32 v41, vcc, s86, v41
	v_addc_co_u32_e32 v42, vcc, v43, v42, vcc
	s_waitcnt lgkmcnt(0)
	global_store_dwordx2 v[41:42], v[39:40], off
	s_or_b64 exec, exec, s[38:39]
	s_and_saveexec_b64 s[38:39], s[66:67]
	s_cbranch_execz .LBB1226_531
.LBB1226_595:                           ;   in Loop: Header=BB1226_388 Depth=2
	v_lshlrev_b32_e32 v39, 2, v139
	ds_read_b32 v41, v39
	ds_read_b64 v[39:40], v106 offset:29696
	v_mov_b32_e32 v42, v3
	v_mov_b32_e32 v43, s87
	s_waitcnt lgkmcnt(1)
	v_add_u32_e32 v41, v41, v91
	v_lshlrev_b64 v[41:42], 3, v[41:42]
	v_add_co_u32_e32 v41, vcc, s86, v41
	v_addc_co_u32_e32 v42, vcc, v43, v42, vcc
	s_waitcnt lgkmcnt(0)
	global_store_dwordx2 v[41:42], v[39:40], off
	s_or_b64 exec, exec, s[38:39]
	s_and_saveexec_b64 s[38:39], s[68:69]
	s_cbranch_execnz .LBB1226_532
	s_branch .LBB1226_533
.LBB1226_596:                           ;   in Loop: Header=BB1226_12 Depth=1
	s_waitcnt lgkmcnt(0)
	s_barrier
.LBB1226_597:                           ;   in Loop: Header=BB1226_12 Depth=1
	s_mov_b64 s[18:19], 0
.LBB1226_598:                           ;   in Loop: Header=BB1226_12 Depth=1
	s_andn2_b64 vcc, exec, s[18:19]
	s_cbranch_vccnz .LBB1226_11
; %bb.599:                              ;   in Loop: Header=BB1226_12 Depth=1
	s_lshl_b32 s18, -1, s96
	s_not_b32 s96, s18
	s_mov_b64 s[18:19], -1
	s_and_b64 vcc, exec, s[70:71]
	s_cbranch_vccz .LBB1226_891
; %bb.600:                              ;   in Loop: Header=BB1226_12 Depth=1
	s_mov_b32 s22, s91
	s_mov_b32 s72, s94
	s_barrier
                                        ; implicit-def: $vgpr7_vgpr8
                                        ; implicit-def: $vgpr9_vgpr10
                                        ; implicit-def: $vgpr11_vgpr12
                                        ; implicit-def: $vgpr13_vgpr14
                                        ; implicit-def: $vgpr15_vgpr16
                                        ; implicit-def: $vgpr17_vgpr18
                                        ; implicit-def: $vgpr19_vgpr20
                                        ; implicit-def: $vgpr21_vgpr22
                                        ; implicit-def: $vgpr23_vgpr24
                                        ; implicit-def: $vgpr25_vgpr26
                                        ; implicit-def: $vgpr27_vgpr28
                                        ; implicit-def: $vgpr29_vgpr30
                                        ; implicit-def: $vgpr31_vgpr32
                                        ; implicit-def: $vgpr33_vgpr34
                                        ; implicit-def: $vgpr35_vgpr36
                                        ; implicit-def: $vgpr37_vgpr38
	s_branch .LBB1226_602
.LBB1226_601:                           ;   in Loop: Header=BB1226_602 Depth=2
	s_or_b64 exec, exec, s[18:19]
	s_addk_i32 s22, 0xf000
	s_cmp_ge_u32 s23, s95
	s_mov_b32 s72, s23
	s_cbranch_scc1 .LBB1226_670
.LBB1226_602:                           ;   Parent Loop BB1226_12 Depth=1
                                        ; =>  This Inner Loop Header: Depth=2
	s_add_i32 s23, s72, 0x1000
	s_cmp_gt_u32 s23, s95
	s_mov_b64 s[18:19], -1
                                        ; implicit-def: $vgpr39_vgpr40
                                        ; implicit-def: $vgpr41_vgpr42
                                        ; implicit-def: $vgpr43_vgpr44
                                        ; implicit-def: $vgpr45_vgpr46
                                        ; implicit-def: $vgpr47_vgpr48
                                        ; implicit-def: $vgpr49_vgpr50
                                        ; implicit-def: $vgpr51_vgpr52
                                        ; implicit-def: $vgpr53_vgpr54
                                        ; implicit-def: $vgpr55_vgpr56
                                        ; implicit-def: $vgpr57_vgpr58
                                        ; implicit-def: $vgpr59_vgpr60
                                        ; implicit-def: $vgpr61_vgpr62
                                        ; implicit-def: $vgpr63_vgpr64
                                        ; implicit-def: $vgpr65_vgpr66
                                        ; implicit-def: $vgpr67_vgpr68
                                        ; implicit-def: $vgpr69_vgpr70
	s_cbranch_scc1 .LBB1226_604
; %bb.603:                              ;   in Loop: Header=BB1226_602 Depth=2
	s_lshl_b64 s[18:19], s[72:73], 3
	v_mov_b32_e32 v4, s19
	v_add_co_u32_e32 v63, vcc, s18, v113
	v_addc_co_u32_e32 v64, vcc, v114, v4, vcc
	v_add_co_u32_e32 v47, vcc, 0x1000, v63
	v_addc_co_u32_e32 v48, vcc, 0, v64, vcc
	;; [unrolled: 2-line block ×6, first 2 shown]
	global_load_dwordx2 v[39:40], v[63:64], off
	global_load_dwordx2 v[41:42], v[63:64], off offset:2048
	global_load_dwordx2 v[43:44], v[47:48], off
	global_load_dwordx2 v[45:46], v[47:48], off offset:2048
	s_nop 0
	global_load_dwordx2 v[47:48], v[55:56], off
	global_load_dwordx2 v[49:50], v[55:56], off offset:2048
	global_load_dwordx2 v[51:52], v[57:58], off
	global_load_dwordx2 v[53:54], v[57:58], off offset:2048
	s_nop 0
	global_load_dwordx2 v[55:56], v[61:62], off
	global_load_dwordx2 v[57:58], v[61:62], off offset:2048
	global_load_dwordx2 v[59:60], v[65:66], off
                                        ; kill: killed $vgpr61 killed $vgpr62
	s_nop 0
	global_load_dwordx2 v[61:62], v[65:66], off offset:2048
	v_add_co_u32_e32 v65, vcc, 0x6000, v63
	v_addc_co_u32_e32 v66, vcc, 0, v64, vcc
	v_add_co_u32_e32 v69, vcc, 0x7000, v63
	v_addc_co_u32_e32 v70, vcc, 0, v64, vcc
	global_load_dwordx2 v[63:64], v[65:66], off
	s_nop 0
	global_load_dwordx2 v[65:66], v[65:66], off offset:2048
	s_nop 0
	global_load_dwordx2 v[67:68], v[69:70], off
	s_nop 0
	global_load_dwordx2 v[69:70], v[69:70], off offset:2048
	s_mov_b64 s[18:19], 0
.LBB1226_604:                           ;   in Loop: Header=BB1226_602 Depth=2
	s_andn2_b64 vcc, exec, s[18:19]
	s_movk_i32 s20, 0x1000
	s_cbranch_vccnz .LBB1226_623
; %bb.605:                              ;   in Loop: Header=BB1226_602 Depth=2
	s_lshl_b64 s[18:19], s[72:73], 3
	s_add_u32 s18, s76, s18
	s_addc_u32 s19, s77, s19
	v_cmp_gt_u32_e32 vcc, s22, v0
	s_and_saveexec_b64 s[20:21], vcc
	s_cbranch_execnz .LBB1226_655
; %bb.606:                              ;   in Loop: Header=BB1226_602 Depth=2
	s_or_b64 exec, exec, s[20:21]
	v_cmp_gt_u32_e32 vcc, s22, v76
	s_and_saveexec_b64 s[20:21], vcc
	s_cbranch_execnz .LBB1226_656
.LBB1226_607:                           ;   in Loop: Header=BB1226_602 Depth=2
	s_or_b64 exec, exec, s[20:21]
	v_cmp_gt_u32_e32 vcc, s22, v77
	s_and_saveexec_b64 s[20:21], vcc
	s_cbranch_execnz .LBB1226_657
.LBB1226_608:                           ;   in Loop: Header=BB1226_602 Depth=2
	s_or_b64 exec, exec, s[20:21]
	v_cmp_gt_u32_e32 vcc, s22, v78
	s_and_saveexec_b64 s[20:21], vcc
	s_cbranch_execnz .LBB1226_658
.LBB1226_609:                           ;   in Loop: Header=BB1226_602 Depth=2
	s_or_b64 exec, exec, s[20:21]
	v_cmp_gt_u32_e32 vcc, s22, v81
	s_and_saveexec_b64 s[20:21], vcc
	s_cbranch_execnz .LBB1226_659
.LBB1226_610:                           ;   in Loop: Header=BB1226_602 Depth=2
	s_or_b64 exec, exec, s[20:21]
	v_cmp_gt_u32_e32 vcc, s22, v82
	s_and_saveexec_b64 s[20:21], vcc
	s_cbranch_execnz .LBB1226_660
.LBB1226_611:                           ;   in Loop: Header=BB1226_602 Depth=2
	s_or_b64 exec, exec, s[20:21]
	v_cmp_gt_u32_e32 vcc, s22, v83
	s_and_saveexec_b64 s[20:21], vcc
	s_cbranch_execnz .LBB1226_661
.LBB1226_612:                           ;   in Loop: Header=BB1226_602 Depth=2
	s_or_b64 exec, exec, s[20:21]
	v_cmp_gt_u32_e32 vcc, s22, v84
	s_and_saveexec_b64 s[20:21], vcc
	s_cbranch_execnz .LBB1226_662
.LBB1226_613:                           ;   in Loop: Header=BB1226_602 Depth=2
	s_or_b64 exec, exec, s[20:21]
	v_cmp_gt_u32_e32 vcc, s22, v85
	s_and_saveexec_b64 s[20:21], vcc
	s_cbranch_execnz .LBB1226_663
.LBB1226_614:                           ;   in Loop: Header=BB1226_602 Depth=2
	s_or_b64 exec, exec, s[20:21]
	v_cmp_gt_u32_e32 vcc, s22, v86
	s_and_saveexec_b64 s[20:21], vcc
	s_cbranch_execnz .LBB1226_664
.LBB1226_615:                           ;   in Loop: Header=BB1226_602 Depth=2
	s_or_b64 exec, exec, s[20:21]
	v_cmp_gt_u32_e32 vcc, s22, v87
	s_and_saveexec_b64 s[20:21], vcc
	s_cbranch_execnz .LBB1226_665
.LBB1226_616:                           ;   in Loop: Header=BB1226_602 Depth=2
	s_or_b64 exec, exec, s[20:21]
	v_cmp_gt_u32_e32 vcc, s22, v88
	s_and_saveexec_b64 s[20:21], vcc
	s_cbranch_execnz .LBB1226_666
.LBB1226_617:                           ;   in Loop: Header=BB1226_602 Depth=2
	s_or_b64 exec, exec, s[20:21]
	v_cmp_gt_u32_e32 vcc, s22, v89
	s_and_saveexec_b64 s[20:21], vcc
	s_cbranch_execnz .LBB1226_667
.LBB1226_618:                           ;   in Loop: Header=BB1226_602 Depth=2
	s_or_b64 exec, exec, s[20:21]
	v_cmp_gt_u32_e32 vcc, s22, v90
	s_and_saveexec_b64 s[20:21], vcc
	s_cbranch_execnz .LBB1226_668
.LBB1226_619:                           ;   in Loop: Header=BB1226_602 Depth=2
	s_or_b64 exec, exec, s[20:21]
	v_cmp_gt_u32_e32 vcc, s22, v91
	s_and_saveexec_b64 s[20:21], vcc
	s_cbranch_execnz .LBB1226_669
.LBB1226_620:                           ;   in Loop: Header=BB1226_602 Depth=2
	s_or_b64 exec, exec, s[20:21]
	v_cmp_gt_u32_e32 vcc, s22, v92
	s_and_saveexec_b64 s[20:21], vcc
	s_cbranch_execz .LBB1226_622
.LBB1226_621:                           ;   in Loop: Header=BB1226_602 Depth=2
	global_load_dwordx2 v[7:8], v134, s[18:19]
.LBB1226_622:                           ;   in Loop: Header=BB1226_602 Depth=2
	s_or_b64 exec, exec, s[20:21]
	s_waitcnt vmcnt(0)
	v_mov_b32_e32 v40, v38
	v_mov_b32_e32 v42, v36
	v_mov_b32_e32 v44, v34
	v_mov_b32_e32 v46, v32
	v_mov_b32_e32 v48, v30
	v_mov_b32_e32 v50, v28
	v_mov_b32_e32 v52, v26
	v_mov_b32_e32 v54, v24
	v_mov_b32_e32 v56, v22
	v_mov_b32_e32 v58, v20
	v_mov_b32_e32 v60, v18
	v_mov_b32_e32 v62, v16
	v_mov_b32_e32 v64, v14
	v_mov_b32_e32 v66, v12
	v_mov_b32_e32 v68, v10
	v_mov_b32_e32 v70, v8
	s_mov_b32 s20, s22
	v_mov_b32_e32 v39, v37
	v_mov_b32_e32 v41, v35
	;; [unrolled: 1-line block ×16, first 2 shown]
.LBB1226_623:                           ;   in Loop: Header=BB1226_602 Depth=2
	s_waitcnt vmcnt(0)
	v_mov_b32_e32 v7, v69
	v_mov_b32_e32 v9, v67
	;; [unrolled: 1-line block ×32, first 2 shown]
	v_cmp_gt_u32_e32 vcc, s20, v0
	s_and_saveexec_b64 s[18:19], vcc
	s_cbranch_execnz .LBB1226_639
; %bb.624:                              ;   in Loop: Header=BB1226_602 Depth=2
	s_or_b64 exec, exec, s[18:19]
	v_cmp_gt_u32_e32 vcc, s20, v76
	s_and_saveexec_b64 s[18:19], vcc
	s_cbranch_execnz .LBB1226_640
.LBB1226_625:                           ;   in Loop: Header=BB1226_602 Depth=2
	s_or_b64 exec, exec, s[18:19]
	v_cmp_gt_u32_e32 vcc, s20, v77
	s_and_saveexec_b64 s[18:19], vcc
	s_cbranch_execnz .LBB1226_641
.LBB1226_626:                           ;   in Loop: Header=BB1226_602 Depth=2
	s_or_b64 exec, exec, s[18:19]
	v_cmp_gt_u32_e32 vcc, s20, v78
	s_and_saveexec_b64 s[18:19], vcc
	s_cbranch_execnz .LBB1226_642
.LBB1226_627:                           ;   in Loop: Header=BB1226_602 Depth=2
	s_or_b64 exec, exec, s[18:19]
	v_cmp_gt_u32_e32 vcc, s20, v81
	s_and_saveexec_b64 s[18:19], vcc
	s_cbranch_execnz .LBB1226_643
.LBB1226_628:                           ;   in Loop: Header=BB1226_602 Depth=2
	s_or_b64 exec, exec, s[18:19]
	v_cmp_gt_u32_e32 vcc, s20, v82
	s_and_saveexec_b64 s[18:19], vcc
	s_cbranch_execnz .LBB1226_644
.LBB1226_629:                           ;   in Loop: Header=BB1226_602 Depth=2
	s_or_b64 exec, exec, s[18:19]
	v_cmp_gt_u32_e32 vcc, s20, v83
	s_and_saveexec_b64 s[18:19], vcc
	s_cbranch_execnz .LBB1226_645
.LBB1226_630:                           ;   in Loop: Header=BB1226_602 Depth=2
	s_or_b64 exec, exec, s[18:19]
	v_cmp_gt_u32_e32 vcc, s20, v84
	s_and_saveexec_b64 s[18:19], vcc
	s_cbranch_execnz .LBB1226_646
.LBB1226_631:                           ;   in Loop: Header=BB1226_602 Depth=2
	s_or_b64 exec, exec, s[18:19]
	v_cmp_gt_u32_e32 vcc, s20, v85
	s_and_saveexec_b64 s[18:19], vcc
	s_cbranch_execnz .LBB1226_647
.LBB1226_632:                           ;   in Loop: Header=BB1226_602 Depth=2
	s_or_b64 exec, exec, s[18:19]
	v_cmp_gt_u32_e32 vcc, s20, v86
	s_and_saveexec_b64 s[18:19], vcc
	s_cbranch_execnz .LBB1226_648
.LBB1226_633:                           ;   in Loop: Header=BB1226_602 Depth=2
	s_or_b64 exec, exec, s[18:19]
	v_cmp_gt_u32_e32 vcc, s20, v87
	s_and_saveexec_b64 s[18:19], vcc
	s_cbranch_execnz .LBB1226_649
.LBB1226_634:                           ;   in Loop: Header=BB1226_602 Depth=2
	s_or_b64 exec, exec, s[18:19]
	v_cmp_gt_u32_e32 vcc, s20, v88
	s_and_saveexec_b64 s[18:19], vcc
	s_cbranch_execnz .LBB1226_650
.LBB1226_635:                           ;   in Loop: Header=BB1226_602 Depth=2
	s_or_b64 exec, exec, s[18:19]
	v_cmp_gt_u32_e32 vcc, s20, v89
	s_and_saveexec_b64 s[18:19], vcc
	s_cbranch_execnz .LBB1226_651
.LBB1226_636:                           ;   in Loop: Header=BB1226_602 Depth=2
	s_or_b64 exec, exec, s[18:19]
	v_cmp_gt_u32_e32 vcc, s20, v90
	s_and_saveexec_b64 s[18:19], vcc
	s_cbranch_execnz .LBB1226_652
.LBB1226_637:                           ;   in Loop: Header=BB1226_602 Depth=2
	s_or_b64 exec, exec, s[18:19]
	v_cmp_gt_u32_e32 vcc, s20, v91
	s_and_saveexec_b64 s[18:19], vcc
	s_cbranch_execnz .LBB1226_653
.LBB1226_638:                           ;   in Loop: Header=BB1226_602 Depth=2
	s_or_b64 exec, exec, s[18:19]
	v_cmp_gt_u32_e32 vcc, s20, v92
	s_and_saveexec_b64 s[18:19], vcc
	s_cbranch_execz .LBB1226_601
	s_branch .LBB1226_654
.LBB1226_639:                           ;   in Loop: Header=BB1226_602 Depth=2
	v_cmp_lt_i64_e32 vcc, -1, v[37:38]
	v_ashrrev_i32_e32 v39, 31, v38
	v_cndmask_b32_e32 v4, -1, v135, vcc
	v_xor_b32_e32 v40, v4, v38
	v_xor_b32_e32 v39, v39, v37
	v_cmp_ne_u64_e32 vcc, s[82:83], v[39:40]
	v_cndmask_b32_e32 v40, v135, v40, vcc
	v_cndmask_b32_e32 v39, 0, v39, vcc
	v_lshrrev_b64 v[39:40], s7, v[39:40]
	v_and_b32_e32 v4, s96, v39
	v_lshl_or_b32 v4, v4, 4, v93
	ds_add_u32 v4, v119
	s_or_b64 exec, exec, s[18:19]
	v_cmp_gt_u32_e32 vcc, s20, v76
	s_and_saveexec_b64 s[18:19], vcc
	s_cbranch_execz .LBB1226_625
.LBB1226_640:                           ;   in Loop: Header=BB1226_602 Depth=2
	v_cmp_lt_i64_e32 vcc, -1, v[35:36]
	v_ashrrev_i32_e32 v39, 31, v36
	v_cndmask_b32_e32 v4, -1, v135, vcc
	v_xor_b32_e32 v40, v4, v36
	v_xor_b32_e32 v39, v39, v35
	v_cmp_ne_u64_e32 vcc, s[82:83], v[39:40]
	v_cndmask_b32_e32 v40, v135, v40, vcc
	v_cndmask_b32_e32 v39, 0, v39, vcc
	v_lshrrev_b64 v[39:40], s7, v[39:40]
	v_and_b32_e32 v4, s96, v39
	v_lshl_or_b32 v4, v4, 4, v93
	ds_add_u32 v4, v119
	s_or_b64 exec, exec, s[18:19]
	v_cmp_gt_u32_e32 vcc, s20, v77
	s_and_saveexec_b64 s[18:19], vcc
	s_cbranch_execz .LBB1226_626
.LBB1226_641:                           ;   in Loop: Header=BB1226_602 Depth=2
	v_cmp_lt_i64_e32 vcc, -1, v[33:34]
	v_ashrrev_i32_e32 v39, 31, v34
	v_cndmask_b32_e32 v4, -1, v135, vcc
	v_xor_b32_e32 v40, v4, v34
	v_xor_b32_e32 v39, v39, v33
	v_cmp_ne_u64_e32 vcc, s[82:83], v[39:40]
	v_cndmask_b32_e32 v40, v135, v40, vcc
	v_cndmask_b32_e32 v39, 0, v39, vcc
	v_lshrrev_b64 v[39:40], s7, v[39:40]
	v_and_b32_e32 v4, s96, v39
	v_lshl_or_b32 v4, v4, 4, v93
	ds_add_u32 v4, v119
	s_or_b64 exec, exec, s[18:19]
	v_cmp_gt_u32_e32 vcc, s20, v78
	s_and_saveexec_b64 s[18:19], vcc
	s_cbranch_execz .LBB1226_627
.LBB1226_642:                           ;   in Loop: Header=BB1226_602 Depth=2
	v_cmp_lt_i64_e32 vcc, -1, v[31:32]
	v_ashrrev_i32_e32 v39, 31, v32
	v_cndmask_b32_e32 v4, -1, v135, vcc
	v_xor_b32_e32 v40, v4, v32
	v_xor_b32_e32 v39, v39, v31
	v_cmp_ne_u64_e32 vcc, s[82:83], v[39:40]
	v_cndmask_b32_e32 v40, v135, v40, vcc
	v_cndmask_b32_e32 v39, 0, v39, vcc
	v_lshrrev_b64 v[39:40], s7, v[39:40]
	v_and_b32_e32 v4, s96, v39
	v_lshl_or_b32 v4, v4, 4, v93
	ds_add_u32 v4, v119
	s_or_b64 exec, exec, s[18:19]
	v_cmp_gt_u32_e32 vcc, s20, v81
	s_and_saveexec_b64 s[18:19], vcc
	s_cbranch_execz .LBB1226_628
.LBB1226_643:                           ;   in Loop: Header=BB1226_602 Depth=2
	v_cmp_lt_i64_e32 vcc, -1, v[29:30]
	v_ashrrev_i32_e32 v39, 31, v30
	v_cndmask_b32_e32 v4, -1, v135, vcc
	v_xor_b32_e32 v40, v4, v30
	v_xor_b32_e32 v39, v39, v29
	v_cmp_ne_u64_e32 vcc, s[82:83], v[39:40]
	v_cndmask_b32_e32 v40, v135, v40, vcc
	v_cndmask_b32_e32 v39, 0, v39, vcc
	v_lshrrev_b64 v[39:40], s7, v[39:40]
	v_and_b32_e32 v4, s96, v39
	v_lshl_or_b32 v4, v4, 4, v93
	ds_add_u32 v4, v119
	s_or_b64 exec, exec, s[18:19]
	v_cmp_gt_u32_e32 vcc, s20, v82
	s_and_saveexec_b64 s[18:19], vcc
	s_cbranch_execz .LBB1226_629
.LBB1226_644:                           ;   in Loop: Header=BB1226_602 Depth=2
	v_cmp_lt_i64_e32 vcc, -1, v[27:28]
	v_ashrrev_i32_e32 v39, 31, v28
	v_cndmask_b32_e32 v4, -1, v135, vcc
	v_xor_b32_e32 v40, v4, v28
	v_xor_b32_e32 v39, v39, v27
	v_cmp_ne_u64_e32 vcc, s[82:83], v[39:40]
	v_cndmask_b32_e32 v40, v135, v40, vcc
	v_cndmask_b32_e32 v39, 0, v39, vcc
	v_lshrrev_b64 v[39:40], s7, v[39:40]
	v_and_b32_e32 v4, s96, v39
	v_lshl_or_b32 v4, v4, 4, v93
	ds_add_u32 v4, v119
	s_or_b64 exec, exec, s[18:19]
	v_cmp_gt_u32_e32 vcc, s20, v83
	s_and_saveexec_b64 s[18:19], vcc
	s_cbranch_execz .LBB1226_630
.LBB1226_645:                           ;   in Loop: Header=BB1226_602 Depth=2
	v_cmp_lt_i64_e32 vcc, -1, v[25:26]
	v_ashrrev_i32_e32 v39, 31, v26
	v_cndmask_b32_e32 v4, -1, v135, vcc
	v_xor_b32_e32 v40, v4, v26
	v_xor_b32_e32 v39, v39, v25
	v_cmp_ne_u64_e32 vcc, s[82:83], v[39:40]
	v_cndmask_b32_e32 v40, v135, v40, vcc
	v_cndmask_b32_e32 v39, 0, v39, vcc
	v_lshrrev_b64 v[39:40], s7, v[39:40]
	v_and_b32_e32 v4, s96, v39
	v_lshl_or_b32 v4, v4, 4, v93
	ds_add_u32 v4, v119
	s_or_b64 exec, exec, s[18:19]
	v_cmp_gt_u32_e32 vcc, s20, v84
	s_and_saveexec_b64 s[18:19], vcc
	s_cbranch_execz .LBB1226_631
.LBB1226_646:                           ;   in Loop: Header=BB1226_602 Depth=2
	v_cmp_lt_i64_e32 vcc, -1, v[23:24]
	v_ashrrev_i32_e32 v39, 31, v24
	v_cndmask_b32_e32 v4, -1, v135, vcc
	v_xor_b32_e32 v40, v4, v24
	v_xor_b32_e32 v39, v39, v23
	v_cmp_ne_u64_e32 vcc, s[82:83], v[39:40]
	v_cndmask_b32_e32 v40, v135, v40, vcc
	v_cndmask_b32_e32 v39, 0, v39, vcc
	v_lshrrev_b64 v[39:40], s7, v[39:40]
	v_and_b32_e32 v4, s96, v39
	v_lshl_or_b32 v4, v4, 4, v93
	ds_add_u32 v4, v119
	s_or_b64 exec, exec, s[18:19]
	v_cmp_gt_u32_e32 vcc, s20, v85
	s_and_saveexec_b64 s[18:19], vcc
	s_cbranch_execz .LBB1226_632
.LBB1226_647:                           ;   in Loop: Header=BB1226_602 Depth=2
	v_cmp_lt_i64_e32 vcc, -1, v[21:22]
	v_ashrrev_i32_e32 v39, 31, v22
	v_cndmask_b32_e32 v4, -1, v135, vcc
	v_xor_b32_e32 v40, v4, v22
	v_xor_b32_e32 v39, v39, v21
	v_cmp_ne_u64_e32 vcc, s[82:83], v[39:40]
	v_cndmask_b32_e32 v40, v135, v40, vcc
	v_cndmask_b32_e32 v39, 0, v39, vcc
	v_lshrrev_b64 v[39:40], s7, v[39:40]
	v_and_b32_e32 v4, s96, v39
	v_lshl_or_b32 v4, v4, 4, v93
	ds_add_u32 v4, v119
	s_or_b64 exec, exec, s[18:19]
	v_cmp_gt_u32_e32 vcc, s20, v86
	s_and_saveexec_b64 s[18:19], vcc
	s_cbranch_execz .LBB1226_633
.LBB1226_648:                           ;   in Loop: Header=BB1226_602 Depth=2
	v_cmp_lt_i64_e32 vcc, -1, v[19:20]
	v_ashrrev_i32_e32 v39, 31, v20
	v_cndmask_b32_e32 v4, -1, v135, vcc
	v_xor_b32_e32 v40, v4, v20
	v_xor_b32_e32 v39, v39, v19
	v_cmp_ne_u64_e32 vcc, s[82:83], v[39:40]
	v_cndmask_b32_e32 v40, v135, v40, vcc
	v_cndmask_b32_e32 v39, 0, v39, vcc
	v_lshrrev_b64 v[39:40], s7, v[39:40]
	v_and_b32_e32 v4, s96, v39
	v_lshl_or_b32 v4, v4, 4, v93
	ds_add_u32 v4, v119
	s_or_b64 exec, exec, s[18:19]
	v_cmp_gt_u32_e32 vcc, s20, v87
	s_and_saveexec_b64 s[18:19], vcc
	s_cbranch_execz .LBB1226_634
.LBB1226_649:                           ;   in Loop: Header=BB1226_602 Depth=2
	v_cmp_lt_i64_e32 vcc, -1, v[17:18]
	v_ashrrev_i32_e32 v39, 31, v18
	v_cndmask_b32_e32 v4, -1, v135, vcc
	v_xor_b32_e32 v40, v4, v18
	v_xor_b32_e32 v39, v39, v17
	v_cmp_ne_u64_e32 vcc, s[82:83], v[39:40]
	v_cndmask_b32_e32 v40, v135, v40, vcc
	v_cndmask_b32_e32 v39, 0, v39, vcc
	v_lshrrev_b64 v[39:40], s7, v[39:40]
	v_and_b32_e32 v4, s96, v39
	v_lshl_or_b32 v4, v4, 4, v93
	ds_add_u32 v4, v119
	s_or_b64 exec, exec, s[18:19]
	v_cmp_gt_u32_e32 vcc, s20, v88
	s_and_saveexec_b64 s[18:19], vcc
	s_cbranch_execz .LBB1226_635
.LBB1226_650:                           ;   in Loop: Header=BB1226_602 Depth=2
	v_cmp_lt_i64_e32 vcc, -1, v[15:16]
	v_ashrrev_i32_e32 v39, 31, v16
	v_cndmask_b32_e32 v4, -1, v135, vcc
	v_xor_b32_e32 v40, v4, v16
	v_xor_b32_e32 v39, v39, v15
	v_cmp_ne_u64_e32 vcc, s[82:83], v[39:40]
	v_cndmask_b32_e32 v40, v135, v40, vcc
	v_cndmask_b32_e32 v39, 0, v39, vcc
	v_lshrrev_b64 v[39:40], s7, v[39:40]
	v_and_b32_e32 v4, s96, v39
	v_lshl_or_b32 v4, v4, 4, v93
	ds_add_u32 v4, v119
	s_or_b64 exec, exec, s[18:19]
	v_cmp_gt_u32_e32 vcc, s20, v89
	s_and_saveexec_b64 s[18:19], vcc
	s_cbranch_execz .LBB1226_636
.LBB1226_651:                           ;   in Loop: Header=BB1226_602 Depth=2
	v_cmp_lt_i64_e32 vcc, -1, v[13:14]
	v_ashrrev_i32_e32 v39, 31, v14
	v_cndmask_b32_e32 v4, -1, v135, vcc
	v_xor_b32_e32 v40, v4, v14
	v_xor_b32_e32 v39, v39, v13
	v_cmp_ne_u64_e32 vcc, s[82:83], v[39:40]
	v_cndmask_b32_e32 v40, v135, v40, vcc
	v_cndmask_b32_e32 v39, 0, v39, vcc
	v_lshrrev_b64 v[39:40], s7, v[39:40]
	v_and_b32_e32 v4, s96, v39
	v_lshl_or_b32 v4, v4, 4, v93
	ds_add_u32 v4, v119
	s_or_b64 exec, exec, s[18:19]
	v_cmp_gt_u32_e32 vcc, s20, v90
	s_and_saveexec_b64 s[18:19], vcc
	s_cbranch_execz .LBB1226_637
.LBB1226_652:                           ;   in Loop: Header=BB1226_602 Depth=2
	v_cmp_lt_i64_e32 vcc, -1, v[11:12]
	v_ashrrev_i32_e32 v39, 31, v12
	v_cndmask_b32_e32 v4, -1, v135, vcc
	v_xor_b32_e32 v40, v4, v12
	v_xor_b32_e32 v39, v39, v11
	v_cmp_ne_u64_e32 vcc, s[82:83], v[39:40]
	v_cndmask_b32_e32 v40, v135, v40, vcc
	v_cndmask_b32_e32 v39, 0, v39, vcc
	v_lshrrev_b64 v[39:40], s7, v[39:40]
	v_and_b32_e32 v4, s96, v39
	v_lshl_or_b32 v4, v4, 4, v93
	ds_add_u32 v4, v119
	s_or_b64 exec, exec, s[18:19]
	v_cmp_gt_u32_e32 vcc, s20, v91
	s_and_saveexec_b64 s[18:19], vcc
	s_cbranch_execz .LBB1226_638
.LBB1226_653:                           ;   in Loop: Header=BB1226_602 Depth=2
	v_cmp_lt_i64_e32 vcc, -1, v[9:10]
	v_ashrrev_i32_e32 v39, 31, v10
	v_cndmask_b32_e32 v4, -1, v135, vcc
	v_xor_b32_e32 v40, v4, v10
	v_xor_b32_e32 v39, v39, v9
	v_cmp_ne_u64_e32 vcc, s[82:83], v[39:40]
	v_cndmask_b32_e32 v40, v135, v40, vcc
	v_cndmask_b32_e32 v39, 0, v39, vcc
	v_lshrrev_b64 v[39:40], s7, v[39:40]
	v_and_b32_e32 v4, s96, v39
	v_lshl_or_b32 v4, v4, 4, v93
	ds_add_u32 v4, v119
	s_or_b64 exec, exec, s[18:19]
	v_cmp_gt_u32_e32 vcc, s20, v92
	s_and_saveexec_b64 s[18:19], vcc
	s_cbranch_execz .LBB1226_601
.LBB1226_654:                           ;   in Loop: Header=BB1226_602 Depth=2
	v_cmp_lt_i64_e32 vcc, -1, v[7:8]
	v_ashrrev_i32_e32 v39, 31, v8
	v_cndmask_b32_e32 v4, -1, v135, vcc
	v_xor_b32_e32 v40, v4, v8
	v_xor_b32_e32 v39, v39, v7
	v_cmp_ne_u64_e32 vcc, s[82:83], v[39:40]
	v_cndmask_b32_e32 v40, v135, v40, vcc
	v_cndmask_b32_e32 v39, 0, v39, vcc
	v_lshrrev_b64 v[39:40], s7, v[39:40]
	v_and_b32_e32 v4, s96, v39
	v_lshl_or_b32 v4, v4, 4, v93
	ds_add_u32 v4, v119
	s_branch .LBB1226_601
.LBB1226_655:                           ;   in Loop: Header=BB1226_602 Depth=2
	global_load_dwordx2 v[37:38], v120, s[18:19]
	s_or_b64 exec, exec, s[20:21]
	v_cmp_gt_u32_e32 vcc, s22, v76
	s_and_saveexec_b64 s[20:21], vcc
	s_cbranch_execz .LBB1226_607
.LBB1226_656:                           ;   in Loop: Header=BB1226_602 Depth=2
	global_load_dwordx2 v[35:36], v120, s[18:19] offset:2048
	s_or_b64 exec, exec, s[20:21]
	v_cmp_gt_u32_e32 vcc, s22, v77
	s_and_saveexec_b64 s[20:21], vcc
	s_cbranch_execz .LBB1226_608
.LBB1226_657:                           ;   in Loop: Header=BB1226_602 Depth=2
	global_load_dwordx2 v[33:34], v121, s[18:19]
	s_or_b64 exec, exec, s[20:21]
	v_cmp_gt_u32_e32 vcc, s22, v78
	s_and_saveexec_b64 s[20:21], vcc
	s_cbranch_execz .LBB1226_609
.LBB1226_658:                           ;   in Loop: Header=BB1226_602 Depth=2
	global_load_dwordx2 v[31:32], v122, s[18:19]
	s_or_b64 exec, exec, s[20:21]
	v_cmp_gt_u32_e32 vcc, s22, v81
	s_and_saveexec_b64 s[20:21], vcc
	s_cbranch_execz .LBB1226_610
.LBB1226_659:                           ;   in Loop: Header=BB1226_602 Depth=2
	global_load_dwordx2 v[29:30], v123, s[18:19]
	s_or_b64 exec, exec, s[20:21]
	v_cmp_gt_u32_e32 vcc, s22, v82
	s_and_saveexec_b64 s[20:21], vcc
	s_cbranch_execz .LBB1226_611
.LBB1226_660:                           ;   in Loop: Header=BB1226_602 Depth=2
	global_load_dwordx2 v[27:28], v124, s[18:19]
	s_or_b64 exec, exec, s[20:21]
	v_cmp_gt_u32_e32 vcc, s22, v83
	s_and_saveexec_b64 s[20:21], vcc
	s_cbranch_execz .LBB1226_612
.LBB1226_661:                           ;   in Loop: Header=BB1226_602 Depth=2
	global_load_dwordx2 v[25:26], v125, s[18:19]
	s_or_b64 exec, exec, s[20:21]
	v_cmp_gt_u32_e32 vcc, s22, v84
	s_and_saveexec_b64 s[20:21], vcc
	s_cbranch_execz .LBB1226_613
.LBB1226_662:                           ;   in Loop: Header=BB1226_602 Depth=2
	global_load_dwordx2 v[23:24], v126, s[18:19]
	s_or_b64 exec, exec, s[20:21]
	v_cmp_gt_u32_e32 vcc, s22, v85
	s_and_saveexec_b64 s[20:21], vcc
	s_cbranch_execz .LBB1226_614
.LBB1226_663:                           ;   in Loop: Header=BB1226_602 Depth=2
	global_load_dwordx2 v[21:22], v127, s[18:19]
	s_or_b64 exec, exec, s[20:21]
	v_cmp_gt_u32_e32 vcc, s22, v86
	s_and_saveexec_b64 s[20:21], vcc
	s_cbranch_execz .LBB1226_615
.LBB1226_664:                           ;   in Loop: Header=BB1226_602 Depth=2
	global_load_dwordx2 v[19:20], v128, s[18:19]
	s_or_b64 exec, exec, s[20:21]
	v_cmp_gt_u32_e32 vcc, s22, v87
	s_and_saveexec_b64 s[20:21], vcc
	s_cbranch_execz .LBB1226_616
.LBB1226_665:                           ;   in Loop: Header=BB1226_602 Depth=2
	global_load_dwordx2 v[17:18], v129, s[18:19]
	s_or_b64 exec, exec, s[20:21]
	v_cmp_gt_u32_e32 vcc, s22, v88
	s_and_saveexec_b64 s[20:21], vcc
	s_cbranch_execz .LBB1226_617
.LBB1226_666:                           ;   in Loop: Header=BB1226_602 Depth=2
	global_load_dwordx2 v[15:16], v130, s[18:19]
	s_or_b64 exec, exec, s[20:21]
	v_cmp_gt_u32_e32 vcc, s22, v89
	s_and_saveexec_b64 s[20:21], vcc
	s_cbranch_execz .LBB1226_618
.LBB1226_667:                           ;   in Loop: Header=BB1226_602 Depth=2
	global_load_dwordx2 v[13:14], v131, s[18:19]
	s_or_b64 exec, exec, s[20:21]
	v_cmp_gt_u32_e32 vcc, s22, v90
	s_and_saveexec_b64 s[20:21], vcc
	s_cbranch_execz .LBB1226_619
.LBB1226_668:                           ;   in Loop: Header=BB1226_602 Depth=2
	global_load_dwordx2 v[11:12], v132, s[18:19]
	s_or_b64 exec, exec, s[20:21]
	v_cmp_gt_u32_e32 vcc, s22, v91
	s_and_saveexec_b64 s[20:21], vcc
	s_cbranch_execz .LBB1226_620
.LBB1226_669:                           ;   in Loop: Header=BB1226_602 Depth=2
	global_load_dwordx2 v[9:10], v133, s[18:19]
	s_or_b64 exec, exec, s[20:21]
	v_cmp_gt_u32_e32 vcc, s22, v92
	s_and_saveexec_b64 s[20:21], vcc
	s_cbranch_execnz .LBB1226_621
	s_branch .LBB1226_622
.LBB1226_670:                           ;   in Loop: Header=BB1226_12 Depth=1
	v_mov_b32_e32 v4, 0
	s_waitcnt lgkmcnt(0)
	s_barrier
	s_and_saveexec_b64 s[18:19], s[4:5]
	s_cbranch_execz .LBB1226_672
; %bb.671:                              ;   in Loop: Header=BB1226_12 Depth=1
	ds_read2_b64 v[7:10], v94 offset1:1
	s_waitcnt lgkmcnt(0)
	v_add_u32_e32 v4, v8, v7
	v_add3_u32 v4, v4, v9, v10
.LBB1226_672:                           ;   in Loop: Header=BB1226_12 Depth=1
	s_or_b64 exec, exec, s[18:19]
	v_and_b32_e32 v7, 15, v136
	v_mov_b32_dpp v8, v4 row_shr:1 row_mask:0xf bank_mask:0xf
	v_cmp_eq_u32_e64 s[18:19], 0, v7
	v_cndmask_b32_e64 v8, v8, 0, s[18:19]
	v_add_u32_e32 v4, v8, v4
	v_cmp_lt_u32_e64 s[20:21], 1, v7
	v_cmp_lt_u32_e64 s[22:23], 3, v7
	v_mov_b32_dpp v8, v4 row_shr:2 row_mask:0xf bank_mask:0xf
	v_cndmask_b32_e64 v8, 0, v8, s[20:21]
	v_add_u32_e32 v4, v4, v8
	v_cmp_lt_u32_e64 s[24:25], 7, v7
	v_cmp_lt_u32_e64 s[28:29], 31, v136
	v_mov_b32_dpp v8, v4 row_shr:4 row_mask:0xf bank_mask:0xf
	v_cndmask_b32_e64 v8, 0, v8, s[22:23]
	v_add_u32_e32 v4, v4, v8
	v_and_b32_e32 v9, 16, v136
	v_cmp_eq_u32_e64 s[26:27], 0, v9
	v_mov_b32_dpp v8, v4 row_shr:8 row_mask:0xf bank_mask:0xf
	v_cndmask_b32_e64 v7, 0, v8, s[24:25]
	v_add_u32_e32 v4, v4, v7
	v_bfe_i32 v8, v136, 4, 1
	s_nop 0
	v_mov_b32_dpp v7, v4 row_bcast:15 row_mask:0xf bank_mask:0xf
	v_and_b32_e32 v7, v8, v7
	v_add_u32_e32 v4, v4, v7
	s_nop 1
	v_mov_b32_dpp v7, v4 row_bcast:31 row_mask:0xf bank_mask:0xf
	v_cndmask_b32_e64 v7, 0, v7, s[28:29]
	v_add_u32_e32 v7, v4, v7
	s_and_saveexec_b64 s[30:31], s[8:9]
; %bb.673:                              ;   in Loop: Header=BB1226_12 Depth=1
	ds_write_b32 v96, v7
; %bb.674:                              ;   in Loop: Header=BB1226_12 Depth=1
	s_or_b64 exec, exec, s[30:31]
	v_and_b32_e32 v4, 3, v136
	s_waitcnt lgkmcnt(0)
	s_barrier
	s_and_saveexec_b64 s[30:31], s[10:11]
	s_cbranch_execz .LBB1226_676
; %bb.675:                              ;   in Loop: Header=BB1226_12 Depth=1
	ds_read_b32 v8, v97
	v_cmp_ne_u32_e32 vcc, 0, v4
	s_waitcnt lgkmcnt(0)
	v_mov_b32_dpp v9, v8 row_shr:1 row_mask:0xf bank_mask:0xf
	v_cndmask_b32_e32 v9, 0, v9, vcc
	v_add_u32_e32 v8, v9, v8
	v_cmp_lt_u32_e32 vcc, 1, v4
	s_nop 0
	v_mov_b32_dpp v9, v8 row_shr:2 row_mask:0xf bank_mask:0xf
	v_cndmask_b32_e32 v9, 0, v9, vcc
	v_add_u32_e32 v8, v8, v9
	ds_write_b32 v97, v8
.LBB1226_676:                           ;   in Loop: Header=BB1226_12 Depth=1
	s_or_b64 exec, exec, s[30:31]
	v_mov_b32_e32 v8, 0
	s_waitcnt lgkmcnt(0)
	s_barrier
	s_and_saveexec_b64 s[30:31], s[12:13]
; %bb.677:                              ;   in Loop: Header=BB1226_12 Depth=1
	ds_read_b32 v8, v98
; %bb.678:                              ;   in Loop: Header=BB1226_12 Depth=1
	s_or_b64 exec, exec, s[30:31]
	v_subrev_co_u32_e64 v9, s[30:31], 1, v136
	v_and_b32_e32 v10, 64, v136
	v_cmp_lt_i32_e32 vcc, v9, v10
	v_cndmask_b32_e32 v9, v9, v136, vcc
	s_waitcnt lgkmcnt(0)
	v_add_u32_e32 v7, v8, v7
	v_lshlrev_b32_e32 v137, 2, v9
	ds_bpermute_b32 v7, v137, v7
	s_waitcnt lgkmcnt(0)
	s_barrier
	s_and_saveexec_b64 s[34:35], s[4:5]
; %bb.679:                              ;   in Loop: Header=BB1226_12 Depth=1
	v_cndmask_b32_e64 v7, v7, v8, s[30:31]
	v_add_u32_e32 v7, s94, v7
	ds_write_b32 v75, v7
; %bb.680:                              ;   in Loop: Header=BB1226_12 Depth=1
	s_or_b64 exec, exec, s[34:35]
	s_load_dwordx2 s[34:35], s[74:75], 0x0
	s_mov_b32 s97, s91
	s_mov_b32 s72, s94
                                        ; implicit-def: $vgpr7_vgpr8
                                        ; implicit-def: $vgpr9_vgpr10
                                        ; implicit-def: $vgpr11_vgpr12
                                        ; implicit-def: $vgpr15_vgpr16
                                        ; implicit-def: $vgpr19_vgpr20
                                        ; implicit-def: $vgpr23_vgpr24
                                        ; implicit-def: $vgpr27_vgpr28
                                        ; implicit-def: $vgpr31_vgpr32
                                        ; implicit-def: $vgpr13_vgpr14
                                        ; implicit-def: $vgpr17_vgpr18
                                        ; implicit-def: $vgpr21_vgpr22
                                        ; implicit-def: $vgpr25_vgpr26
                                        ; implicit-def: $vgpr29_vgpr30
                                        ; implicit-def: $vgpr33_vgpr34
                                        ; implicit-def: $vgpr35_vgpr36
                                        ; implicit-def: $vgpr37_vgpr38
                                        ; implicit-def: $vgpr138
                                        ; implicit-def: $vgpr139
                                        ; implicit-def: $vgpr140
                                        ; implicit-def: $vgpr141
                                        ; implicit-def: $vgpr142
                                        ; implicit-def: $vgpr143
                                        ; implicit-def: $vgpr144
                                        ; implicit-def: $vgpr146
                                        ; implicit-def: $vgpr148
                                        ; implicit-def: $vgpr150
                                        ; implicit-def: $vgpr152
                                        ; implicit-def: $vgpr154
                                        ; implicit-def: $vgpr156
                                        ; implicit-def: $vgpr158
                                        ; implicit-def: $vgpr160
                                        ; implicit-def: $vgpr162
	s_waitcnt lgkmcnt(0)
	s_cmp_lt_u32 s33, s35
	s_cselect_b32 s35, 14, 20
	s_add_u32 s36, s74, s35
	s_addc_u32 s37, s75, 0
	s_cmp_lt_u32 s6, s34
	s_cselect_b32 s34, 12, 18
	s_add_u32 s34, s74, s34
	global_load_ushort v39, v3, s[36:37]
	s_addc_u32 s35, s75, 0
	global_load_ushort v40, v3, s[34:35]
	v_cmp_eq_u32_e64 s[34:35], 0, v4
	v_cmp_lt_u32_e64 s[36:37], 1, v4
	v_and_b32_e32 v4, 63, v136
	v_lshlrev_b32_e32 v41, 3, v4
	v_or_b32_e32 v145, v4, v99
	v_add_co_u32_e32 v147, vcc, v115, v41
	v_addc_co_u32_e32 v149, vcc, 0, v116, vcc
	v_add_co_u32_e32 v172, vcc, v117, v41
	v_or_b32_e32 v151, 64, v145
	v_or_b32_e32 v153, 0x80, v145
	;; [unrolled: 1-line block ×15, first 2 shown]
	v_addc_co_u32_e32 v173, vcc, 0, v118, vcc
	s_waitcnt vmcnt(1)
	v_mad_u32_u24 v4, v2, v39, v1
	s_waitcnt vmcnt(0)
	v_mad_u64_u32 v[39:40], s[38:39], v4, v40, v[0:1]
	v_lshrrev_b32_e32 v4, 4, v39
	v_and_b32_e32 v174, 0xffffffc, v4
	s_branch .LBB1226_682
.LBB1226_681:                           ;   in Loop: Header=BB1226_682 Depth=2
	s_or_b64 exec, exec, s[38:39]
	s_addk_i32 s97, 0xf000
	s_cmp_lt_u32 s98, s95
	s_mov_b32 s72, s98
	s_cbranch_scc0 .LBB1226_890
.LBB1226_682:                           ;   Parent Loop BB1226_12 Depth=1
                                        ; =>  This Inner Loop Header: Depth=2
	s_add_i32 s98, s72, 0x1000
	s_cmp_gt_u32 s98, s95
	s_cbranch_scc1 .LBB1226_684
; %bb.683:                              ;   in Loop: Header=BB1226_682 Depth=2
	s_lshl_b64 s[38:39], s[72:73], 3
	v_mov_b32_e32 v4, s39
	v_add_co_u32_e32 v43, vcc, s38, v172
	v_addc_co_u32_e32 v44, vcc, v173, v4, vcc
	global_load_dwordx2 v[39:40], v[43:44], off
	global_load_dwordx2 v[41:42], v[43:44], off offset:512
	global_load_dwordx2 v[47:48], v[43:44], off offset:1024
	;; [unrolled: 1-line block ×7, first 2 shown]
	v_add_co_u32_e32 v43, vcc, 0x1000, v43
	v_addc_co_u32_e32 v44, vcc, 0, v44, vcc
	global_load_dwordx2 v[69:70], v[43:44], off
	global_load_dwordx2 v[65:66], v[43:44], off offset:512
	global_load_dwordx2 v[61:62], v[43:44], off offset:1024
	;; [unrolled: 1-line block ×5, first 2 shown]
	s_nop 0
	global_load_dwordx2 v[43:44], v[43:44], off offset:3072
	s_mov_b64 s[38:39], -1
	s_movk_i32 s42, 0x1000
	s_cbranch_execz .LBB1226_685
	s_branch .LBB1226_716
.LBB1226_684:                           ;   in Loop: Header=BB1226_682 Depth=2
	s_mov_b64 s[38:39], 0
                                        ; implicit-def: $vgpr39_vgpr40
                                        ; implicit-def: $vgpr41_vgpr42
                                        ; implicit-def: $vgpr47_vgpr48
                                        ; implicit-def: $vgpr51_vgpr52
                                        ; implicit-def: $vgpr55_vgpr56
                                        ; implicit-def: $vgpr59_vgpr60
                                        ; implicit-def: $vgpr63_vgpr64
                                        ; implicit-def: $vgpr67_vgpr68
                                        ; implicit-def: $vgpr69_vgpr70
                                        ; implicit-def: $vgpr65_vgpr66
                                        ; implicit-def: $vgpr61_vgpr62
                                        ; implicit-def: $vgpr57_vgpr58
                                        ; implicit-def: $vgpr53_vgpr54
                                        ; implicit-def: $vgpr49_vgpr50
                                        ; implicit-def: $vgpr43_vgpr44
	s_movk_i32 s42, 0x1000
.LBB1226_685:                           ;   in Loop: Header=BB1226_682 Depth=2
	s_lshl_b64 s[38:39], s[72:73], 3
	v_mov_b32_e32 v4, s39
	v_add_co_u32_e32 v45, vcc, s38, v172
	s_waitcnt vmcnt(13)
	v_mov_b32_e32 v41, v5
	v_addc_co_u32_e32 v46, vcc, v173, v4, vcc
	v_mov_b32_e32 v42, v6
	v_mov_b32_e32 v39, v41
	v_cmp_gt_u32_e32 vcc, s97, v145
	v_mov_b32_e32 v40, v42
	s_and_saveexec_b64 s[38:39], vcc
	s_cbranch_execz .LBB1226_687
; %bb.686:                              ;   in Loop: Header=BB1226_682 Depth=2
	global_load_dwordx2 v[39:40], v[45:46], off
.LBB1226_687:                           ;   in Loop: Header=BB1226_682 Depth=2
	s_or_b64 exec, exec, s[38:39]
	v_cmp_gt_u32_e32 vcc, s97, v151
	s_and_saveexec_b64 s[38:39], vcc
	s_cbranch_execz .LBB1226_689
; %bb.688:                              ;   in Loop: Header=BB1226_682 Depth=2
	global_load_dwordx2 v[41:42], v[45:46], off offset:512
.LBB1226_689:                           ;   in Loop: Header=BB1226_682 Depth=2
	s_or_b64 exec, exec, s[38:39]
	s_waitcnt vmcnt(12)
	v_mov_b32_e32 v48, v6
	v_cmp_gt_u32_e32 vcc, s97, v153
	v_mov_b32_e32 v47, v5
	s_and_saveexec_b64 s[38:39], vcc
	s_cbranch_execz .LBB1226_691
; %bb.690:                              ;   in Loop: Header=BB1226_682 Depth=2
	global_load_dwordx2 v[47:48], v[45:46], off offset:1024
.LBB1226_691:                           ;   in Loop: Header=BB1226_682 Depth=2
	s_or_b64 exec, exec, s[38:39]
	s_waitcnt vmcnt(11)
	v_mov_b32_e32 v52, v6
	v_cmp_gt_u32_e32 vcc, s97, v155
	v_mov_b32_e32 v51, v5
	;; [unrolled: 10-line block ×7, first 2 shown]
	s_and_saveexec_b64 s[38:39], vcc
	s_cbranch_execz .LBB1226_703
; %bb.702:                              ;   in Loop: Header=BB1226_682 Depth=2
	s_waitcnt vmcnt(0)
	v_add_co_u32_e32 v43, vcc, 0x1000, v45
	v_addc_co_u32_e32 v44, vcc, 0, v46, vcc
	global_load_dwordx2 v[69:70], v[43:44], off
.LBB1226_703:                           ;   in Loop: Header=BB1226_682 Depth=2
	s_or_b64 exec, exec, s[38:39]
	s_waitcnt vmcnt(5)
	v_mov_b32_e32 v66, v6
	v_cmp_gt_u32_e32 vcc, s97, v165
	v_mov_b32_e32 v65, v5
	s_and_saveexec_b64 s[38:39], vcc
	s_cbranch_execz .LBB1226_705
; %bb.704:                              ;   in Loop: Header=BB1226_682 Depth=2
	s_waitcnt vmcnt(0)
	v_add_co_u32_e32 v43, vcc, 0x1000, v45
	v_addc_co_u32_e32 v44, vcc, 0, v46, vcc
	global_load_dwordx2 v[65:66], v[43:44], off offset:512
.LBB1226_705:                           ;   in Loop: Header=BB1226_682 Depth=2
	s_or_b64 exec, exec, s[38:39]
	s_waitcnt vmcnt(4)
	v_mov_b32_e32 v62, v6
	v_cmp_gt_u32_e32 vcc, s97, v166
	v_mov_b32_e32 v61, v5
	s_and_saveexec_b64 s[38:39], vcc
	s_cbranch_execz .LBB1226_707
; %bb.706:                              ;   in Loop: Header=BB1226_682 Depth=2
	s_waitcnt vmcnt(0)
	v_add_co_u32_e32 v43, vcc, 0x1000, v45
	v_addc_co_u32_e32 v44, vcc, 0, v46, vcc
	global_load_dwordx2 v[61:62], v[43:44], off offset:1024
.LBB1226_707:                           ;   in Loop: Header=BB1226_682 Depth=2
	;; [unrolled: 13-line block ×5, first 2 shown]
	s_or_b64 exec, exec, s[38:39]
	s_waitcnt vmcnt(0)
	v_mov_b32_e32 v44, v6
	v_cmp_gt_u32_e32 vcc, s97, v170
	v_mov_b32_e32 v43, v5
	s_and_saveexec_b64 s[38:39], vcc
	s_cbranch_execz .LBB1226_715
; %bb.714:                              ;   in Loop: Header=BB1226_682 Depth=2
	v_add_co_u32_e32 v43, vcc, 0x1000, v45
	v_addc_co_u32_e32 v44, vcc, 0, v46, vcc
	global_load_dwordx2 v[43:44], v[43:44], off offset:3072
.LBB1226_715:                           ;   in Loop: Header=BB1226_682 Depth=2
	s_or_b64 exec, exec, s[38:39]
	s_sub_i32 s42, s95, s72
	v_cmp_gt_u32_e64 s[38:39], s97, v171
.LBB1226_716:                           ;   in Loop: Header=BB1226_682 Depth=2
	v_mov_b32_e32 v46, v6
	v_mov_b32_e32 v175, s97
	;; [unrolled: 1-line block ×3, first 2 shown]
	s_and_saveexec_b64 s[40:41], s[38:39]
	s_cbranch_execz .LBB1226_718
; %bb.717:                              ;   in Loop: Header=BB1226_682 Depth=2
	s_lshl_b64 s[38:39], s[72:73], 3
	v_mov_b32_e32 v4, s39
	v_add_co_u32_e32 v45, vcc, s38, v172
	v_addc_co_u32_e32 v4, vcc, v173, v4, vcc
	v_add_co_u32_e32 v45, vcc, 0x1000, v45
	v_addc_co_u32_e32 v46, vcc, 0, v4, vcc
	global_load_dwordx2 v[45:46], v[45:46], off offset:3584
	v_mov_b32_e32 v175, s42
.LBB1226_718:                           ;   in Loop: Header=BB1226_682 Depth=2
	s_or_b64 exec, exec, s[40:41]
	s_waitcnt vmcnt(14)
	v_cmp_lt_i64_e32 vcc, -1, v[39:40]
	v_ashrrev_i32_e32 v71, 31, v40
	v_cndmask_b32_e32 v4, -1, v135, vcc
	v_xor_b32_e32 v40, v4, v40
	v_xor_b32_e32 v39, v71, v39
	v_cmp_ne_u64_e32 vcc, s[82:83], v[39:40]
	v_add_u32_e32 v177, 0x410, v100
	v_cndmask_b32_e32 v72, v135, v40, vcc
	v_cndmask_b32_e32 v71, 0, v39, vcc
	v_lshrrev_b64 v[71:72], s7, v[71:72]
	v_add_u32_e32 v176, 0x418, v100
	v_and_b32_e32 v71, s96, v71
	v_and_b32_e32 v4, 1, v71
	v_add_co_u32_e32 v72, vcc, -1, v4
	v_addc_co_u32_e64 v74, s[38:39], 0, -1, vcc
	v_cmp_ne_u32_e32 vcc, 0, v4
	v_xor_b32_e32 v4, vcc_hi, v74
	v_and_b32_e32 v74, exec_hi, v4
	v_lshlrev_b32_e32 v4, 30, v71
	v_xor_b32_e32 v72, vcc_lo, v72
	v_cmp_gt_i64_e32 vcc, 0, v[3:4]
	v_not_b32_e32 v4, v4
	v_ashrrev_i32_e32 v4, 31, v4
	v_and_b32_e32 v72, exec_lo, v72
	v_xor_b32_e32 v178, vcc_hi, v4
	v_xor_b32_e32 v4, vcc_lo, v4
	v_and_b32_e32 v72, v72, v4
	v_lshlrev_b32_e32 v4, 29, v71
	v_cmp_gt_i64_e32 vcc, 0, v[3:4]
	v_not_b32_e32 v4, v4
	v_ashrrev_i32_e32 v4, 31, v4
	v_and_b32_e32 v74, v74, v178
	v_xor_b32_e32 v178, vcc_hi, v4
	v_xor_b32_e32 v4, vcc_lo, v4
	v_and_b32_e32 v72, v72, v4
	v_lshlrev_b32_e32 v4, 28, v71
	v_cmp_gt_i64_e32 vcc, 0, v[3:4]
	v_not_b32_e32 v4, v4
	v_ashrrev_i32_e32 v4, 31, v4
	v_and_b32_e32 v74, v74, v178
	;; [unrolled: 8-line block ×5, first 2 shown]
	v_xor_b32_e32 v178, vcc_hi, v4
	v_xor_b32_e32 v4, vcc_lo, v4
	v_and_b32_e32 v74, v74, v178
	v_and_b32_e32 v178, v72, v4
	v_lshlrev_b32_e32 v4, 24, v71
	v_cmp_gt_i64_e32 vcc, 0, v[3:4]
	v_not_b32_e32 v4, v4
	v_ashrrev_i32_e32 v4, 31, v4
	v_mul_u32_u24_e32 v73, 20, v71
	v_xor_b32_e32 v71, vcc_hi, v4
	v_xor_b32_e32 v4, vcc_lo, v4
	v_and_b32_e32 v72, v74, v71
	v_and_b32_e32 v71, v178, v4
	v_mbcnt_lo_u32_b32 v4, v71, 0
	v_mbcnt_hi_u32_b32 v178, v72, v4
	v_cmp_ne_u64_e32 vcc, 0, v[71:72]
	v_cmp_eq_u32_e64 s[38:39], 0, v178
	s_and_b64 s[40:41], vcc, s[38:39]
	v_add_u32_e32 v180, v174, v73
	ds_write2_b32 v177, v3, v3 offset1:1
	ds_write2_b32 v176, v3, v3 offset1:1
	ds_write_b32 v100, v3 offset:1056
	s_waitcnt vmcnt(0) lgkmcnt(0)
	s_barrier
	; wave barrier
	s_and_saveexec_b64 s[38:39], s[40:41]
; %bb.719:                              ;   in Loop: Header=BB1226_682 Depth=2
	v_bcnt_u32_b32 v4, v71, 0
	v_bcnt_u32_b32 v4, v72, v4
	ds_write_b32 v180, v4 offset:1040
; %bb.720:                              ;   in Loop: Header=BB1226_682 Depth=2
	s_or_b64 exec, exec, s[38:39]
	v_cmp_lt_i64_e32 vcc, -1, v[41:42]
	v_ashrrev_i32_e32 v71, 31, v42
	v_cndmask_b32_e32 v4, -1, v135, vcc
	v_xor_b32_e32 v42, v4, v42
	v_xor_b32_e32 v41, v71, v41
	v_cmp_ne_u64_e32 vcc, s[82:83], v[41:42]
	v_cndmask_b32_e32 v72, v135, v42, vcc
	v_cndmask_b32_e32 v71, 0, v41, vcc
	v_lshrrev_b64 v[71:72], s7, v[71:72]
	; wave barrier
	v_and_b32_e32 v71, s96, v71
	v_mad_u32_u24 v4, v71, 20, v174
	ds_read_b32 v179, v4 offset:1040
	v_and_b32_e32 v4, 1, v71
	v_add_co_u32_e32 v72, vcc, -1, v4
	v_addc_co_u32_e64 v74, s[38:39], 0, -1, vcc
	v_cmp_ne_u32_e32 vcc, 0, v4
	v_xor_b32_e32 v4, vcc_hi, v74
	v_and_b32_e32 v74, exec_hi, v4
	v_lshlrev_b32_e32 v4, 30, v71
	v_xor_b32_e32 v72, vcc_lo, v72
	v_cmp_gt_i64_e32 vcc, 0, v[3:4]
	v_not_b32_e32 v4, v4
	v_ashrrev_i32_e32 v4, 31, v4
	v_and_b32_e32 v72, exec_lo, v72
	v_xor_b32_e32 v181, vcc_hi, v4
	v_xor_b32_e32 v4, vcc_lo, v4
	v_and_b32_e32 v72, v72, v4
	v_lshlrev_b32_e32 v4, 29, v71
	v_cmp_gt_i64_e32 vcc, 0, v[3:4]
	v_not_b32_e32 v4, v4
	v_ashrrev_i32_e32 v4, 31, v4
	v_and_b32_e32 v74, v74, v181
	v_xor_b32_e32 v181, vcc_hi, v4
	v_xor_b32_e32 v4, vcc_lo, v4
	v_and_b32_e32 v72, v72, v4
	v_lshlrev_b32_e32 v4, 28, v71
	v_cmp_gt_i64_e32 vcc, 0, v[3:4]
	v_not_b32_e32 v4, v4
	v_ashrrev_i32_e32 v4, 31, v4
	v_and_b32_e32 v74, v74, v181
	;; [unrolled: 8-line block ×5, first 2 shown]
	v_xor_b32_e32 v181, vcc_hi, v4
	v_xor_b32_e32 v4, vcc_lo, v4
	v_and_b32_e32 v74, v74, v181
	v_and_b32_e32 v181, v72, v4
	v_lshlrev_b32_e32 v4, 24, v71
	v_cmp_gt_i64_e32 vcc, 0, v[3:4]
	v_not_b32_e32 v4, v4
	v_ashrrev_i32_e32 v4, 31, v4
	v_mul_u32_u24_e32 v73, 20, v71
	v_xor_b32_e32 v71, vcc_hi, v4
	v_xor_b32_e32 v4, vcc_lo, v4
	v_and_b32_e32 v72, v74, v71
	v_and_b32_e32 v71, v181, v4
	v_mbcnt_lo_u32_b32 v4, v71, 0
	v_mbcnt_hi_u32_b32 v181, v72, v4
	v_cmp_ne_u64_e32 vcc, 0, v[71:72]
	v_cmp_eq_u32_e64 s[38:39], 0, v181
	s_and_b64 s[40:41], vcc, s[38:39]
	v_add_u32_e32 v183, v174, v73
	; wave barrier
	s_and_saveexec_b64 s[38:39], s[40:41]
	s_cbranch_execz .LBB1226_722
; %bb.721:                              ;   in Loop: Header=BB1226_682 Depth=2
	v_bcnt_u32_b32 v4, v71, 0
	v_bcnt_u32_b32 v4, v72, v4
	s_waitcnt lgkmcnt(0)
	v_add_u32_e32 v4, v179, v4
	ds_write_b32 v183, v4 offset:1040
.LBB1226_722:                           ;   in Loop: Header=BB1226_682 Depth=2
	s_or_b64 exec, exec, s[38:39]
	v_cmp_lt_i64_e32 vcc, -1, v[47:48]
	v_ashrrev_i32_e32 v71, 31, v48
	v_cndmask_b32_e32 v4, -1, v135, vcc
	v_xor_b32_e32 v48, v4, v48
	v_xor_b32_e32 v47, v71, v47
	v_cmp_ne_u64_e32 vcc, s[82:83], v[47:48]
	v_cndmask_b32_e32 v72, v135, v48, vcc
	v_cndmask_b32_e32 v71, 0, v47, vcc
	v_lshrrev_b64 v[71:72], s7, v[71:72]
	; wave barrier
	v_and_b32_e32 v71, s96, v71
	v_mad_u32_u24 v4, v71, 20, v174
	ds_read_b32 v182, v4 offset:1040
	v_and_b32_e32 v4, 1, v71
	v_add_co_u32_e32 v72, vcc, -1, v4
	v_addc_co_u32_e64 v74, s[38:39], 0, -1, vcc
	v_cmp_ne_u32_e32 vcc, 0, v4
	v_xor_b32_e32 v4, vcc_hi, v74
	v_and_b32_e32 v74, exec_hi, v4
	v_lshlrev_b32_e32 v4, 30, v71
	v_xor_b32_e32 v72, vcc_lo, v72
	v_cmp_gt_i64_e32 vcc, 0, v[3:4]
	v_not_b32_e32 v4, v4
	v_ashrrev_i32_e32 v4, 31, v4
	v_and_b32_e32 v72, exec_lo, v72
	v_xor_b32_e32 v184, vcc_hi, v4
	v_xor_b32_e32 v4, vcc_lo, v4
	v_and_b32_e32 v72, v72, v4
	v_lshlrev_b32_e32 v4, 29, v71
	v_cmp_gt_i64_e32 vcc, 0, v[3:4]
	v_not_b32_e32 v4, v4
	v_ashrrev_i32_e32 v4, 31, v4
	v_and_b32_e32 v74, v74, v184
	v_xor_b32_e32 v184, vcc_hi, v4
	v_xor_b32_e32 v4, vcc_lo, v4
	v_and_b32_e32 v72, v72, v4
	v_lshlrev_b32_e32 v4, 28, v71
	v_cmp_gt_i64_e32 vcc, 0, v[3:4]
	v_not_b32_e32 v4, v4
	v_ashrrev_i32_e32 v4, 31, v4
	v_and_b32_e32 v74, v74, v184
	;; [unrolled: 8-line block ×5, first 2 shown]
	v_xor_b32_e32 v184, vcc_hi, v4
	v_xor_b32_e32 v4, vcc_lo, v4
	v_and_b32_e32 v74, v74, v184
	v_and_b32_e32 v184, v72, v4
	v_lshlrev_b32_e32 v4, 24, v71
	v_cmp_gt_i64_e32 vcc, 0, v[3:4]
	v_not_b32_e32 v4, v4
	v_ashrrev_i32_e32 v4, 31, v4
	v_mul_u32_u24_e32 v73, 20, v71
	v_xor_b32_e32 v71, vcc_hi, v4
	v_xor_b32_e32 v4, vcc_lo, v4
	v_and_b32_e32 v72, v74, v71
	v_and_b32_e32 v71, v184, v4
	v_mbcnt_lo_u32_b32 v4, v71, 0
	v_mbcnt_hi_u32_b32 v184, v72, v4
	v_cmp_ne_u64_e32 vcc, 0, v[71:72]
	v_cmp_eq_u32_e64 s[38:39], 0, v184
	s_and_b64 s[40:41], vcc, s[38:39]
	v_add_u32_e32 v186, v174, v73
	; wave barrier
	s_and_saveexec_b64 s[38:39], s[40:41]
	s_cbranch_execz .LBB1226_724
; %bb.723:                              ;   in Loop: Header=BB1226_682 Depth=2
	v_bcnt_u32_b32 v4, v71, 0
	v_bcnt_u32_b32 v4, v72, v4
	s_waitcnt lgkmcnt(0)
	v_add_u32_e32 v4, v182, v4
	ds_write_b32 v186, v4 offset:1040
.LBB1226_724:                           ;   in Loop: Header=BB1226_682 Depth=2
	s_or_b64 exec, exec, s[38:39]
	v_cmp_lt_i64_e32 vcc, -1, v[51:52]
	v_ashrrev_i32_e32 v71, 31, v52
	v_cndmask_b32_e32 v4, -1, v135, vcc
	v_xor_b32_e32 v52, v4, v52
	v_xor_b32_e32 v51, v71, v51
	v_cmp_ne_u64_e32 vcc, s[82:83], v[51:52]
	v_cndmask_b32_e32 v72, v135, v52, vcc
	v_cndmask_b32_e32 v71, 0, v51, vcc
	v_lshrrev_b64 v[71:72], s7, v[71:72]
	; wave barrier
	v_and_b32_e32 v71, s96, v71
	v_mad_u32_u24 v4, v71, 20, v174
	ds_read_b32 v185, v4 offset:1040
	v_and_b32_e32 v4, 1, v71
	v_add_co_u32_e32 v72, vcc, -1, v4
	v_addc_co_u32_e64 v74, s[38:39], 0, -1, vcc
	v_cmp_ne_u32_e32 vcc, 0, v4
	v_xor_b32_e32 v4, vcc_hi, v74
	v_and_b32_e32 v74, exec_hi, v4
	v_lshlrev_b32_e32 v4, 30, v71
	v_xor_b32_e32 v72, vcc_lo, v72
	v_cmp_gt_i64_e32 vcc, 0, v[3:4]
	v_not_b32_e32 v4, v4
	v_ashrrev_i32_e32 v4, 31, v4
	v_and_b32_e32 v72, exec_lo, v72
	v_xor_b32_e32 v187, vcc_hi, v4
	v_xor_b32_e32 v4, vcc_lo, v4
	v_and_b32_e32 v72, v72, v4
	v_lshlrev_b32_e32 v4, 29, v71
	v_cmp_gt_i64_e32 vcc, 0, v[3:4]
	v_not_b32_e32 v4, v4
	v_ashrrev_i32_e32 v4, 31, v4
	v_and_b32_e32 v74, v74, v187
	v_xor_b32_e32 v187, vcc_hi, v4
	v_xor_b32_e32 v4, vcc_lo, v4
	v_and_b32_e32 v72, v72, v4
	v_lshlrev_b32_e32 v4, 28, v71
	v_cmp_gt_i64_e32 vcc, 0, v[3:4]
	v_not_b32_e32 v4, v4
	v_ashrrev_i32_e32 v4, 31, v4
	v_and_b32_e32 v74, v74, v187
	;; [unrolled: 8-line block ×5, first 2 shown]
	v_xor_b32_e32 v187, vcc_hi, v4
	v_xor_b32_e32 v4, vcc_lo, v4
	v_and_b32_e32 v74, v74, v187
	v_and_b32_e32 v187, v72, v4
	v_lshlrev_b32_e32 v4, 24, v71
	v_cmp_gt_i64_e32 vcc, 0, v[3:4]
	v_not_b32_e32 v4, v4
	v_ashrrev_i32_e32 v4, 31, v4
	v_mul_u32_u24_e32 v73, 20, v71
	v_xor_b32_e32 v71, vcc_hi, v4
	v_xor_b32_e32 v4, vcc_lo, v4
	v_and_b32_e32 v72, v74, v71
	v_and_b32_e32 v71, v187, v4
	v_mbcnt_lo_u32_b32 v4, v71, 0
	v_mbcnt_hi_u32_b32 v187, v72, v4
	v_cmp_ne_u64_e32 vcc, 0, v[71:72]
	v_cmp_eq_u32_e64 s[38:39], 0, v187
	s_and_b64 s[40:41], vcc, s[38:39]
	v_add_u32_e32 v189, v174, v73
	; wave barrier
	s_and_saveexec_b64 s[38:39], s[40:41]
	s_cbranch_execz .LBB1226_726
; %bb.725:                              ;   in Loop: Header=BB1226_682 Depth=2
	v_bcnt_u32_b32 v4, v71, 0
	v_bcnt_u32_b32 v4, v72, v4
	s_waitcnt lgkmcnt(0)
	v_add_u32_e32 v4, v185, v4
	ds_write_b32 v189, v4 offset:1040
.LBB1226_726:                           ;   in Loop: Header=BB1226_682 Depth=2
	s_or_b64 exec, exec, s[38:39]
	v_cmp_lt_i64_e32 vcc, -1, v[55:56]
	v_ashrrev_i32_e32 v71, 31, v56
	v_cndmask_b32_e32 v4, -1, v135, vcc
	v_xor_b32_e32 v56, v4, v56
	v_xor_b32_e32 v55, v71, v55
	v_cmp_ne_u64_e32 vcc, s[82:83], v[55:56]
	v_cndmask_b32_e32 v72, v135, v56, vcc
	v_cndmask_b32_e32 v71, 0, v55, vcc
	v_lshrrev_b64 v[71:72], s7, v[71:72]
	; wave barrier
	v_and_b32_e32 v71, s96, v71
	v_mad_u32_u24 v4, v71, 20, v174
	ds_read_b32 v188, v4 offset:1040
	v_and_b32_e32 v4, 1, v71
	v_add_co_u32_e32 v72, vcc, -1, v4
	v_addc_co_u32_e64 v74, s[38:39], 0, -1, vcc
	v_cmp_ne_u32_e32 vcc, 0, v4
	v_xor_b32_e32 v4, vcc_hi, v74
	v_and_b32_e32 v74, exec_hi, v4
	v_lshlrev_b32_e32 v4, 30, v71
	v_xor_b32_e32 v72, vcc_lo, v72
	v_cmp_gt_i64_e32 vcc, 0, v[3:4]
	v_not_b32_e32 v4, v4
	v_ashrrev_i32_e32 v4, 31, v4
	v_and_b32_e32 v72, exec_lo, v72
	v_xor_b32_e32 v190, vcc_hi, v4
	v_xor_b32_e32 v4, vcc_lo, v4
	v_and_b32_e32 v72, v72, v4
	v_lshlrev_b32_e32 v4, 29, v71
	v_cmp_gt_i64_e32 vcc, 0, v[3:4]
	v_not_b32_e32 v4, v4
	v_ashrrev_i32_e32 v4, 31, v4
	v_and_b32_e32 v74, v74, v190
	v_xor_b32_e32 v190, vcc_hi, v4
	v_xor_b32_e32 v4, vcc_lo, v4
	v_and_b32_e32 v72, v72, v4
	v_lshlrev_b32_e32 v4, 28, v71
	v_cmp_gt_i64_e32 vcc, 0, v[3:4]
	v_not_b32_e32 v4, v4
	v_ashrrev_i32_e32 v4, 31, v4
	v_and_b32_e32 v74, v74, v190
	;; [unrolled: 8-line block ×5, first 2 shown]
	v_xor_b32_e32 v190, vcc_hi, v4
	v_xor_b32_e32 v4, vcc_lo, v4
	v_and_b32_e32 v74, v74, v190
	v_and_b32_e32 v190, v72, v4
	v_lshlrev_b32_e32 v4, 24, v71
	v_cmp_gt_i64_e32 vcc, 0, v[3:4]
	v_not_b32_e32 v4, v4
	v_ashrrev_i32_e32 v4, 31, v4
	v_mul_u32_u24_e32 v73, 20, v71
	v_xor_b32_e32 v71, vcc_hi, v4
	v_xor_b32_e32 v4, vcc_lo, v4
	v_and_b32_e32 v72, v74, v71
	v_and_b32_e32 v71, v190, v4
	v_mbcnt_lo_u32_b32 v4, v71, 0
	v_mbcnt_hi_u32_b32 v190, v72, v4
	v_cmp_ne_u64_e32 vcc, 0, v[71:72]
	v_cmp_eq_u32_e64 s[38:39], 0, v190
	s_and_b64 s[40:41], vcc, s[38:39]
	v_add_u32_e32 v192, v174, v73
	; wave barrier
	s_and_saveexec_b64 s[38:39], s[40:41]
	s_cbranch_execz .LBB1226_728
; %bb.727:                              ;   in Loop: Header=BB1226_682 Depth=2
	v_bcnt_u32_b32 v4, v71, 0
	v_bcnt_u32_b32 v4, v72, v4
	s_waitcnt lgkmcnt(0)
	v_add_u32_e32 v4, v188, v4
	ds_write_b32 v192, v4 offset:1040
.LBB1226_728:                           ;   in Loop: Header=BB1226_682 Depth=2
	s_or_b64 exec, exec, s[38:39]
	v_cmp_lt_i64_e32 vcc, -1, v[59:60]
	v_ashrrev_i32_e32 v71, 31, v60
	v_cndmask_b32_e32 v4, -1, v135, vcc
	v_xor_b32_e32 v60, v4, v60
	v_xor_b32_e32 v59, v71, v59
	v_cmp_ne_u64_e32 vcc, s[82:83], v[59:60]
	v_cndmask_b32_e32 v72, v135, v60, vcc
	v_cndmask_b32_e32 v71, 0, v59, vcc
	v_lshrrev_b64 v[71:72], s7, v[71:72]
	; wave barrier
	v_and_b32_e32 v71, s96, v71
	v_mad_u32_u24 v4, v71, 20, v174
	ds_read_b32 v191, v4 offset:1040
	v_and_b32_e32 v4, 1, v71
	v_add_co_u32_e32 v72, vcc, -1, v4
	v_addc_co_u32_e64 v74, s[38:39], 0, -1, vcc
	v_cmp_ne_u32_e32 vcc, 0, v4
	v_xor_b32_e32 v4, vcc_hi, v74
	v_and_b32_e32 v74, exec_hi, v4
	v_lshlrev_b32_e32 v4, 30, v71
	v_xor_b32_e32 v72, vcc_lo, v72
	v_cmp_gt_i64_e32 vcc, 0, v[3:4]
	v_not_b32_e32 v4, v4
	v_ashrrev_i32_e32 v4, 31, v4
	v_and_b32_e32 v72, exec_lo, v72
	v_xor_b32_e32 v193, vcc_hi, v4
	v_xor_b32_e32 v4, vcc_lo, v4
	v_and_b32_e32 v72, v72, v4
	v_lshlrev_b32_e32 v4, 29, v71
	v_cmp_gt_i64_e32 vcc, 0, v[3:4]
	v_not_b32_e32 v4, v4
	v_ashrrev_i32_e32 v4, 31, v4
	v_and_b32_e32 v74, v74, v193
	v_xor_b32_e32 v193, vcc_hi, v4
	v_xor_b32_e32 v4, vcc_lo, v4
	v_and_b32_e32 v72, v72, v4
	v_lshlrev_b32_e32 v4, 28, v71
	v_cmp_gt_i64_e32 vcc, 0, v[3:4]
	v_not_b32_e32 v4, v4
	v_ashrrev_i32_e32 v4, 31, v4
	v_and_b32_e32 v74, v74, v193
	;; [unrolled: 8-line block ×5, first 2 shown]
	v_xor_b32_e32 v193, vcc_hi, v4
	v_xor_b32_e32 v4, vcc_lo, v4
	v_and_b32_e32 v74, v74, v193
	v_and_b32_e32 v193, v72, v4
	v_lshlrev_b32_e32 v4, 24, v71
	v_cmp_gt_i64_e32 vcc, 0, v[3:4]
	v_not_b32_e32 v4, v4
	v_ashrrev_i32_e32 v4, 31, v4
	v_mul_u32_u24_e32 v73, 20, v71
	v_xor_b32_e32 v71, vcc_hi, v4
	v_xor_b32_e32 v4, vcc_lo, v4
	v_and_b32_e32 v72, v74, v71
	v_and_b32_e32 v71, v193, v4
	v_mbcnt_lo_u32_b32 v4, v71, 0
	v_mbcnt_hi_u32_b32 v193, v72, v4
	v_cmp_ne_u64_e32 vcc, 0, v[71:72]
	v_cmp_eq_u32_e64 s[38:39], 0, v193
	s_and_b64 s[40:41], vcc, s[38:39]
	v_add_u32_e32 v195, v174, v73
	; wave barrier
	s_and_saveexec_b64 s[38:39], s[40:41]
	s_cbranch_execz .LBB1226_730
; %bb.729:                              ;   in Loop: Header=BB1226_682 Depth=2
	v_bcnt_u32_b32 v4, v71, 0
	v_bcnt_u32_b32 v4, v72, v4
	s_waitcnt lgkmcnt(0)
	v_add_u32_e32 v4, v191, v4
	ds_write_b32 v195, v4 offset:1040
.LBB1226_730:                           ;   in Loop: Header=BB1226_682 Depth=2
	s_or_b64 exec, exec, s[38:39]
	v_cmp_lt_i64_e32 vcc, -1, v[63:64]
	v_ashrrev_i32_e32 v71, 31, v64
	v_cndmask_b32_e32 v4, -1, v135, vcc
	v_xor_b32_e32 v64, v4, v64
	v_xor_b32_e32 v63, v71, v63
	v_cmp_ne_u64_e32 vcc, s[82:83], v[63:64]
	v_cndmask_b32_e32 v72, v135, v64, vcc
	v_cndmask_b32_e32 v71, 0, v63, vcc
	v_lshrrev_b64 v[71:72], s7, v[71:72]
	; wave barrier
	v_and_b32_e32 v71, s96, v71
	v_mad_u32_u24 v4, v71, 20, v174
	ds_read_b32 v194, v4 offset:1040
	v_and_b32_e32 v4, 1, v71
	v_add_co_u32_e32 v72, vcc, -1, v4
	v_addc_co_u32_e64 v74, s[38:39], 0, -1, vcc
	v_cmp_ne_u32_e32 vcc, 0, v4
	v_xor_b32_e32 v4, vcc_hi, v74
	v_and_b32_e32 v74, exec_hi, v4
	v_lshlrev_b32_e32 v4, 30, v71
	v_xor_b32_e32 v72, vcc_lo, v72
	v_cmp_gt_i64_e32 vcc, 0, v[3:4]
	v_not_b32_e32 v4, v4
	v_ashrrev_i32_e32 v4, 31, v4
	v_and_b32_e32 v72, exec_lo, v72
	v_xor_b32_e32 v196, vcc_hi, v4
	v_xor_b32_e32 v4, vcc_lo, v4
	v_and_b32_e32 v72, v72, v4
	v_lshlrev_b32_e32 v4, 29, v71
	v_cmp_gt_i64_e32 vcc, 0, v[3:4]
	v_not_b32_e32 v4, v4
	v_ashrrev_i32_e32 v4, 31, v4
	v_and_b32_e32 v74, v74, v196
	v_xor_b32_e32 v196, vcc_hi, v4
	v_xor_b32_e32 v4, vcc_lo, v4
	v_and_b32_e32 v72, v72, v4
	v_lshlrev_b32_e32 v4, 28, v71
	v_cmp_gt_i64_e32 vcc, 0, v[3:4]
	v_not_b32_e32 v4, v4
	v_ashrrev_i32_e32 v4, 31, v4
	v_and_b32_e32 v74, v74, v196
	;; [unrolled: 8-line block ×5, first 2 shown]
	v_xor_b32_e32 v196, vcc_hi, v4
	v_xor_b32_e32 v4, vcc_lo, v4
	v_and_b32_e32 v74, v74, v196
	v_and_b32_e32 v196, v72, v4
	v_lshlrev_b32_e32 v4, 24, v71
	v_cmp_gt_i64_e32 vcc, 0, v[3:4]
	v_not_b32_e32 v4, v4
	v_ashrrev_i32_e32 v4, 31, v4
	v_mul_u32_u24_e32 v73, 20, v71
	v_xor_b32_e32 v71, vcc_hi, v4
	v_xor_b32_e32 v4, vcc_lo, v4
	v_and_b32_e32 v72, v74, v71
	v_and_b32_e32 v71, v196, v4
	v_mbcnt_lo_u32_b32 v4, v71, 0
	v_mbcnt_hi_u32_b32 v196, v72, v4
	v_cmp_ne_u64_e32 vcc, 0, v[71:72]
	v_cmp_eq_u32_e64 s[38:39], 0, v196
	s_and_b64 s[40:41], vcc, s[38:39]
	v_add_u32_e32 v198, v174, v73
	; wave barrier
	s_and_saveexec_b64 s[38:39], s[40:41]
	s_cbranch_execz .LBB1226_732
; %bb.731:                              ;   in Loop: Header=BB1226_682 Depth=2
	v_bcnt_u32_b32 v4, v71, 0
	v_bcnt_u32_b32 v4, v72, v4
	s_waitcnt lgkmcnt(0)
	v_add_u32_e32 v4, v194, v4
	ds_write_b32 v198, v4 offset:1040
.LBB1226_732:                           ;   in Loop: Header=BB1226_682 Depth=2
	s_or_b64 exec, exec, s[38:39]
	v_cmp_lt_i64_e32 vcc, -1, v[67:68]
	v_ashrrev_i32_e32 v71, 31, v68
	v_cndmask_b32_e32 v4, -1, v135, vcc
	v_xor_b32_e32 v68, v4, v68
	v_xor_b32_e32 v67, v71, v67
	v_cmp_ne_u64_e32 vcc, s[82:83], v[67:68]
	v_cndmask_b32_e32 v72, v135, v68, vcc
	v_cndmask_b32_e32 v71, 0, v67, vcc
	v_lshrrev_b64 v[71:72], s7, v[71:72]
	; wave barrier
	v_and_b32_e32 v71, s96, v71
	v_mad_u32_u24 v4, v71, 20, v174
	ds_read_b32 v197, v4 offset:1040
	v_and_b32_e32 v4, 1, v71
	v_add_co_u32_e32 v72, vcc, -1, v4
	v_addc_co_u32_e64 v74, s[38:39], 0, -1, vcc
	v_cmp_ne_u32_e32 vcc, 0, v4
	v_xor_b32_e32 v4, vcc_hi, v74
	v_and_b32_e32 v74, exec_hi, v4
	v_lshlrev_b32_e32 v4, 30, v71
	v_xor_b32_e32 v72, vcc_lo, v72
	v_cmp_gt_i64_e32 vcc, 0, v[3:4]
	v_not_b32_e32 v4, v4
	v_ashrrev_i32_e32 v4, 31, v4
	v_and_b32_e32 v72, exec_lo, v72
	v_xor_b32_e32 v199, vcc_hi, v4
	v_xor_b32_e32 v4, vcc_lo, v4
	v_and_b32_e32 v72, v72, v4
	v_lshlrev_b32_e32 v4, 29, v71
	v_cmp_gt_i64_e32 vcc, 0, v[3:4]
	v_not_b32_e32 v4, v4
	v_ashrrev_i32_e32 v4, 31, v4
	v_and_b32_e32 v74, v74, v199
	v_xor_b32_e32 v199, vcc_hi, v4
	v_xor_b32_e32 v4, vcc_lo, v4
	v_and_b32_e32 v72, v72, v4
	v_lshlrev_b32_e32 v4, 28, v71
	v_cmp_gt_i64_e32 vcc, 0, v[3:4]
	v_not_b32_e32 v4, v4
	v_ashrrev_i32_e32 v4, 31, v4
	v_and_b32_e32 v74, v74, v199
	;; [unrolled: 8-line block ×5, first 2 shown]
	v_xor_b32_e32 v199, vcc_hi, v4
	v_xor_b32_e32 v4, vcc_lo, v4
	v_and_b32_e32 v74, v74, v199
	v_and_b32_e32 v199, v72, v4
	v_lshlrev_b32_e32 v4, 24, v71
	v_cmp_gt_i64_e32 vcc, 0, v[3:4]
	v_not_b32_e32 v4, v4
	v_ashrrev_i32_e32 v4, 31, v4
	v_mul_u32_u24_e32 v73, 20, v71
	v_xor_b32_e32 v71, vcc_hi, v4
	v_xor_b32_e32 v4, vcc_lo, v4
	v_and_b32_e32 v72, v74, v71
	v_and_b32_e32 v71, v199, v4
	v_mbcnt_lo_u32_b32 v4, v71, 0
	v_mbcnt_hi_u32_b32 v199, v72, v4
	v_cmp_ne_u64_e32 vcc, 0, v[71:72]
	v_cmp_eq_u32_e64 s[38:39], 0, v199
	s_and_b64 s[40:41], vcc, s[38:39]
	v_add_u32_e32 v201, v174, v73
	; wave barrier
	s_and_saveexec_b64 s[38:39], s[40:41]
	s_cbranch_execz .LBB1226_734
; %bb.733:                              ;   in Loop: Header=BB1226_682 Depth=2
	v_bcnt_u32_b32 v4, v71, 0
	v_bcnt_u32_b32 v4, v72, v4
	s_waitcnt lgkmcnt(0)
	v_add_u32_e32 v4, v197, v4
	ds_write_b32 v201, v4 offset:1040
.LBB1226_734:                           ;   in Loop: Header=BB1226_682 Depth=2
	s_or_b64 exec, exec, s[38:39]
	v_cmp_lt_i64_e32 vcc, -1, v[69:70]
	v_ashrrev_i32_e32 v71, 31, v70
	v_cndmask_b32_e32 v4, -1, v135, vcc
	v_xor_b32_e32 v70, v4, v70
	v_xor_b32_e32 v69, v71, v69
	v_cmp_ne_u64_e32 vcc, s[82:83], v[69:70]
	v_cndmask_b32_e32 v72, v135, v70, vcc
	v_cndmask_b32_e32 v71, 0, v69, vcc
	v_lshrrev_b64 v[71:72], s7, v[71:72]
	; wave barrier
	v_and_b32_e32 v71, s96, v71
	v_mad_u32_u24 v4, v71, 20, v174
	ds_read_b32 v200, v4 offset:1040
	v_and_b32_e32 v4, 1, v71
	v_add_co_u32_e32 v72, vcc, -1, v4
	v_addc_co_u32_e64 v74, s[38:39], 0, -1, vcc
	v_cmp_ne_u32_e32 vcc, 0, v4
	v_xor_b32_e32 v4, vcc_hi, v74
	v_and_b32_e32 v74, exec_hi, v4
	v_lshlrev_b32_e32 v4, 30, v71
	v_xor_b32_e32 v72, vcc_lo, v72
	v_cmp_gt_i64_e32 vcc, 0, v[3:4]
	v_not_b32_e32 v4, v4
	v_ashrrev_i32_e32 v4, 31, v4
	v_and_b32_e32 v72, exec_lo, v72
	v_xor_b32_e32 v202, vcc_hi, v4
	v_xor_b32_e32 v4, vcc_lo, v4
	v_and_b32_e32 v72, v72, v4
	v_lshlrev_b32_e32 v4, 29, v71
	v_cmp_gt_i64_e32 vcc, 0, v[3:4]
	v_not_b32_e32 v4, v4
	v_ashrrev_i32_e32 v4, 31, v4
	v_and_b32_e32 v74, v74, v202
	v_xor_b32_e32 v202, vcc_hi, v4
	v_xor_b32_e32 v4, vcc_lo, v4
	v_and_b32_e32 v72, v72, v4
	v_lshlrev_b32_e32 v4, 28, v71
	v_cmp_gt_i64_e32 vcc, 0, v[3:4]
	v_not_b32_e32 v4, v4
	v_ashrrev_i32_e32 v4, 31, v4
	v_and_b32_e32 v74, v74, v202
	;; [unrolled: 8-line block ×5, first 2 shown]
	v_xor_b32_e32 v202, vcc_hi, v4
	v_xor_b32_e32 v4, vcc_lo, v4
	v_and_b32_e32 v74, v74, v202
	v_and_b32_e32 v202, v72, v4
	v_lshlrev_b32_e32 v4, 24, v71
	v_cmp_gt_i64_e32 vcc, 0, v[3:4]
	v_not_b32_e32 v4, v4
	v_ashrrev_i32_e32 v4, 31, v4
	v_mul_u32_u24_e32 v73, 20, v71
	v_xor_b32_e32 v71, vcc_hi, v4
	v_xor_b32_e32 v4, vcc_lo, v4
	v_and_b32_e32 v72, v74, v71
	v_and_b32_e32 v71, v202, v4
	v_mbcnt_lo_u32_b32 v4, v71, 0
	v_mbcnt_hi_u32_b32 v202, v72, v4
	v_cmp_ne_u64_e32 vcc, 0, v[71:72]
	v_cmp_eq_u32_e64 s[38:39], 0, v202
	s_and_b64 s[40:41], vcc, s[38:39]
	v_add_u32_e32 v204, v174, v73
	; wave barrier
	s_and_saveexec_b64 s[38:39], s[40:41]
	s_cbranch_execz .LBB1226_736
; %bb.735:                              ;   in Loop: Header=BB1226_682 Depth=2
	v_bcnt_u32_b32 v4, v71, 0
	v_bcnt_u32_b32 v4, v72, v4
	s_waitcnt lgkmcnt(0)
	v_add_u32_e32 v4, v200, v4
	ds_write_b32 v204, v4 offset:1040
.LBB1226_736:                           ;   in Loop: Header=BB1226_682 Depth=2
	s_or_b64 exec, exec, s[38:39]
	v_cmp_lt_i64_e32 vcc, -1, v[65:66]
	v_ashrrev_i32_e32 v71, 31, v66
	v_cndmask_b32_e32 v4, -1, v135, vcc
	v_xor_b32_e32 v66, v4, v66
	v_xor_b32_e32 v65, v71, v65
	v_cmp_ne_u64_e32 vcc, s[82:83], v[65:66]
	v_cndmask_b32_e32 v72, v135, v66, vcc
	v_cndmask_b32_e32 v71, 0, v65, vcc
	v_lshrrev_b64 v[71:72], s7, v[71:72]
	; wave barrier
	v_and_b32_e32 v71, s96, v71
	v_mad_u32_u24 v4, v71, 20, v174
	ds_read_b32 v203, v4 offset:1040
	v_and_b32_e32 v4, 1, v71
	v_add_co_u32_e32 v72, vcc, -1, v4
	v_addc_co_u32_e64 v74, s[38:39], 0, -1, vcc
	v_cmp_ne_u32_e32 vcc, 0, v4
	v_xor_b32_e32 v4, vcc_hi, v74
	v_and_b32_e32 v74, exec_hi, v4
	v_lshlrev_b32_e32 v4, 30, v71
	v_xor_b32_e32 v72, vcc_lo, v72
	v_cmp_gt_i64_e32 vcc, 0, v[3:4]
	v_not_b32_e32 v4, v4
	v_ashrrev_i32_e32 v4, 31, v4
	v_and_b32_e32 v72, exec_lo, v72
	v_xor_b32_e32 v205, vcc_hi, v4
	v_xor_b32_e32 v4, vcc_lo, v4
	v_and_b32_e32 v72, v72, v4
	v_lshlrev_b32_e32 v4, 29, v71
	v_cmp_gt_i64_e32 vcc, 0, v[3:4]
	v_not_b32_e32 v4, v4
	v_ashrrev_i32_e32 v4, 31, v4
	v_and_b32_e32 v74, v74, v205
	v_xor_b32_e32 v205, vcc_hi, v4
	v_xor_b32_e32 v4, vcc_lo, v4
	v_and_b32_e32 v72, v72, v4
	v_lshlrev_b32_e32 v4, 28, v71
	v_cmp_gt_i64_e32 vcc, 0, v[3:4]
	v_not_b32_e32 v4, v4
	v_ashrrev_i32_e32 v4, 31, v4
	v_and_b32_e32 v74, v74, v205
	;; [unrolled: 8-line block ×5, first 2 shown]
	v_xor_b32_e32 v205, vcc_hi, v4
	v_xor_b32_e32 v4, vcc_lo, v4
	v_and_b32_e32 v74, v74, v205
	v_and_b32_e32 v205, v72, v4
	v_lshlrev_b32_e32 v4, 24, v71
	v_cmp_gt_i64_e32 vcc, 0, v[3:4]
	v_not_b32_e32 v4, v4
	v_ashrrev_i32_e32 v4, 31, v4
	v_mul_u32_u24_e32 v73, 20, v71
	v_xor_b32_e32 v71, vcc_hi, v4
	v_xor_b32_e32 v4, vcc_lo, v4
	v_and_b32_e32 v72, v74, v71
	v_and_b32_e32 v71, v205, v4
	v_mbcnt_lo_u32_b32 v4, v71, 0
	v_mbcnt_hi_u32_b32 v205, v72, v4
	v_cmp_ne_u64_e32 vcc, 0, v[71:72]
	v_cmp_eq_u32_e64 s[38:39], 0, v205
	s_and_b64 s[40:41], vcc, s[38:39]
	v_add_u32_e32 v207, v174, v73
	; wave barrier
	s_and_saveexec_b64 s[38:39], s[40:41]
	s_cbranch_execz .LBB1226_738
; %bb.737:                              ;   in Loop: Header=BB1226_682 Depth=2
	v_bcnt_u32_b32 v4, v71, 0
	v_bcnt_u32_b32 v4, v72, v4
	s_waitcnt lgkmcnt(0)
	v_add_u32_e32 v4, v203, v4
	ds_write_b32 v207, v4 offset:1040
.LBB1226_738:                           ;   in Loop: Header=BB1226_682 Depth=2
	s_or_b64 exec, exec, s[38:39]
	v_cmp_lt_i64_e32 vcc, -1, v[61:62]
	v_ashrrev_i32_e32 v71, 31, v62
	v_cndmask_b32_e32 v4, -1, v135, vcc
	v_xor_b32_e32 v62, v4, v62
	v_xor_b32_e32 v61, v71, v61
	v_cmp_ne_u64_e32 vcc, s[82:83], v[61:62]
	v_cndmask_b32_e32 v72, v135, v62, vcc
	v_cndmask_b32_e32 v71, 0, v61, vcc
	v_lshrrev_b64 v[71:72], s7, v[71:72]
	; wave barrier
	v_and_b32_e32 v71, s96, v71
	v_mad_u32_u24 v4, v71, 20, v174
	ds_read_b32 v206, v4 offset:1040
	v_and_b32_e32 v4, 1, v71
	v_add_co_u32_e32 v72, vcc, -1, v4
	v_addc_co_u32_e64 v74, s[38:39], 0, -1, vcc
	v_cmp_ne_u32_e32 vcc, 0, v4
	v_xor_b32_e32 v4, vcc_hi, v74
	v_and_b32_e32 v74, exec_hi, v4
	v_lshlrev_b32_e32 v4, 30, v71
	v_xor_b32_e32 v72, vcc_lo, v72
	v_cmp_gt_i64_e32 vcc, 0, v[3:4]
	v_not_b32_e32 v4, v4
	v_ashrrev_i32_e32 v4, 31, v4
	v_and_b32_e32 v72, exec_lo, v72
	v_xor_b32_e32 v208, vcc_hi, v4
	v_xor_b32_e32 v4, vcc_lo, v4
	v_and_b32_e32 v72, v72, v4
	v_lshlrev_b32_e32 v4, 29, v71
	v_cmp_gt_i64_e32 vcc, 0, v[3:4]
	v_not_b32_e32 v4, v4
	v_ashrrev_i32_e32 v4, 31, v4
	v_and_b32_e32 v74, v74, v208
	v_xor_b32_e32 v208, vcc_hi, v4
	v_xor_b32_e32 v4, vcc_lo, v4
	v_and_b32_e32 v72, v72, v4
	v_lshlrev_b32_e32 v4, 28, v71
	v_cmp_gt_i64_e32 vcc, 0, v[3:4]
	v_not_b32_e32 v4, v4
	v_ashrrev_i32_e32 v4, 31, v4
	v_and_b32_e32 v74, v74, v208
	;; [unrolled: 8-line block ×5, first 2 shown]
	v_xor_b32_e32 v208, vcc_hi, v4
	v_xor_b32_e32 v4, vcc_lo, v4
	v_and_b32_e32 v74, v74, v208
	v_and_b32_e32 v208, v72, v4
	v_lshlrev_b32_e32 v4, 24, v71
	v_cmp_gt_i64_e32 vcc, 0, v[3:4]
	v_not_b32_e32 v4, v4
	v_ashrrev_i32_e32 v4, 31, v4
	v_mul_u32_u24_e32 v73, 20, v71
	v_xor_b32_e32 v71, vcc_hi, v4
	v_xor_b32_e32 v4, vcc_lo, v4
	v_and_b32_e32 v72, v74, v71
	v_and_b32_e32 v71, v208, v4
	v_mbcnt_lo_u32_b32 v4, v71, 0
	v_mbcnt_hi_u32_b32 v208, v72, v4
	v_cmp_ne_u64_e32 vcc, 0, v[71:72]
	v_cmp_eq_u32_e64 s[38:39], 0, v208
	s_and_b64 s[40:41], vcc, s[38:39]
	v_add_u32_e32 v210, v174, v73
	; wave barrier
	s_and_saveexec_b64 s[38:39], s[40:41]
	s_cbranch_execz .LBB1226_740
; %bb.739:                              ;   in Loop: Header=BB1226_682 Depth=2
	v_bcnt_u32_b32 v4, v71, 0
	v_bcnt_u32_b32 v4, v72, v4
	s_waitcnt lgkmcnt(0)
	v_add_u32_e32 v4, v206, v4
	ds_write_b32 v210, v4 offset:1040
.LBB1226_740:                           ;   in Loop: Header=BB1226_682 Depth=2
	s_or_b64 exec, exec, s[38:39]
	v_cmp_lt_i64_e32 vcc, -1, v[57:58]
	v_ashrrev_i32_e32 v71, 31, v58
	v_cndmask_b32_e32 v4, -1, v135, vcc
	v_xor_b32_e32 v58, v4, v58
	v_xor_b32_e32 v57, v71, v57
	v_cmp_ne_u64_e32 vcc, s[82:83], v[57:58]
	v_cndmask_b32_e32 v72, v135, v58, vcc
	v_cndmask_b32_e32 v71, 0, v57, vcc
	v_lshrrev_b64 v[71:72], s7, v[71:72]
	; wave barrier
	v_and_b32_e32 v71, s96, v71
	v_mad_u32_u24 v4, v71, 20, v174
	ds_read_b32 v209, v4 offset:1040
	v_and_b32_e32 v4, 1, v71
	v_add_co_u32_e32 v72, vcc, -1, v4
	v_addc_co_u32_e64 v74, s[38:39], 0, -1, vcc
	v_cmp_ne_u32_e32 vcc, 0, v4
	v_xor_b32_e32 v4, vcc_hi, v74
	v_and_b32_e32 v74, exec_hi, v4
	v_lshlrev_b32_e32 v4, 30, v71
	v_xor_b32_e32 v72, vcc_lo, v72
	v_cmp_gt_i64_e32 vcc, 0, v[3:4]
	v_not_b32_e32 v4, v4
	v_ashrrev_i32_e32 v4, 31, v4
	v_and_b32_e32 v72, exec_lo, v72
	v_xor_b32_e32 v211, vcc_hi, v4
	v_xor_b32_e32 v4, vcc_lo, v4
	v_and_b32_e32 v72, v72, v4
	v_lshlrev_b32_e32 v4, 29, v71
	v_cmp_gt_i64_e32 vcc, 0, v[3:4]
	v_not_b32_e32 v4, v4
	v_ashrrev_i32_e32 v4, 31, v4
	v_and_b32_e32 v74, v74, v211
	v_xor_b32_e32 v211, vcc_hi, v4
	v_xor_b32_e32 v4, vcc_lo, v4
	v_and_b32_e32 v72, v72, v4
	v_lshlrev_b32_e32 v4, 28, v71
	v_cmp_gt_i64_e32 vcc, 0, v[3:4]
	v_not_b32_e32 v4, v4
	v_ashrrev_i32_e32 v4, 31, v4
	v_and_b32_e32 v74, v74, v211
	;; [unrolled: 8-line block ×5, first 2 shown]
	v_xor_b32_e32 v211, vcc_hi, v4
	v_xor_b32_e32 v4, vcc_lo, v4
	v_and_b32_e32 v74, v74, v211
	v_and_b32_e32 v211, v72, v4
	v_lshlrev_b32_e32 v4, 24, v71
	v_cmp_gt_i64_e32 vcc, 0, v[3:4]
	v_not_b32_e32 v4, v4
	v_ashrrev_i32_e32 v4, 31, v4
	v_mul_u32_u24_e32 v73, 20, v71
	v_xor_b32_e32 v71, vcc_hi, v4
	v_xor_b32_e32 v4, vcc_lo, v4
	v_and_b32_e32 v72, v74, v71
	v_and_b32_e32 v71, v211, v4
	v_mbcnt_lo_u32_b32 v4, v71, 0
	v_mbcnt_hi_u32_b32 v211, v72, v4
	v_cmp_ne_u64_e32 vcc, 0, v[71:72]
	v_cmp_eq_u32_e64 s[38:39], 0, v211
	s_and_b64 s[40:41], vcc, s[38:39]
	v_add_u32_e32 v213, v174, v73
	; wave barrier
	s_and_saveexec_b64 s[38:39], s[40:41]
	s_cbranch_execz .LBB1226_742
; %bb.741:                              ;   in Loop: Header=BB1226_682 Depth=2
	v_bcnt_u32_b32 v4, v71, 0
	v_bcnt_u32_b32 v4, v72, v4
	s_waitcnt lgkmcnt(0)
	v_add_u32_e32 v4, v209, v4
	ds_write_b32 v213, v4 offset:1040
.LBB1226_742:                           ;   in Loop: Header=BB1226_682 Depth=2
	s_or_b64 exec, exec, s[38:39]
	v_cmp_lt_i64_e32 vcc, -1, v[53:54]
	v_ashrrev_i32_e32 v71, 31, v54
	v_cndmask_b32_e32 v4, -1, v135, vcc
	v_xor_b32_e32 v54, v4, v54
	v_xor_b32_e32 v53, v71, v53
	v_cmp_ne_u64_e32 vcc, s[82:83], v[53:54]
	v_cndmask_b32_e32 v72, v135, v54, vcc
	v_cndmask_b32_e32 v71, 0, v53, vcc
	v_lshrrev_b64 v[71:72], s7, v[71:72]
	; wave barrier
	v_and_b32_e32 v71, s96, v71
	v_mad_u32_u24 v4, v71, 20, v174
	ds_read_b32 v212, v4 offset:1040
	v_and_b32_e32 v4, 1, v71
	v_add_co_u32_e32 v72, vcc, -1, v4
	v_addc_co_u32_e64 v74, s[38:39], 0, -1, vcc
	v_cmp_ne_u32_e32 vcc, 0, v4
	v_xor_b32_e32 v4, vcc_hi, v74
	v_and_b32_e32 v74, exec_hi, v4
	v_lshlrev_b32_e32 v4, 30, v71
	v_xor_b32_e32 v72, vcc_lo, v72
	v_cmp_gt_i64_e32 vcc, 0, v[3:4]
	v_not_b32_e32 v4, v4
	v_ashrrev_i32_e32 v4, 31, v4
	v_and_b32_e32 v72, exec_lo, v72
	v_xor_b32_e32 v214, vcc_hi, v4
	v_xor_b32_e32 v4, vcc_lo, v4
	v_and_b32_e32 v72, v72, v4
	v_lshlrev_b32_e32 v4, 29, v71
	v_cmp_gt_i64_e32 vcc, 0, v[3:4]
	v_not_b32_e32 v4, v4
	v_ashrrev_i32_e32 v4, 31, v4
	v_and_b32_e32 v74, v74, v214
	v_xor_b32_e32 v214, vcc_hi, v4
	v_xor_b32_e32 v4, vcc_lo, v4
	v_and_b32_e32 v72, v72, v4
	v_lshlrev_b32_e32 v4, 28, v71
	v_cmp_gt_i64_e32 vcc, 0, v[3:4]
	v_not_b32_e32 v4, v4
	v_ashrrev_i32_e32 v4, 31, v4
	v_and_b32_e32 v74, v74, v214
	;; [unrolled: 8-line block ×5, first 2 shown]
	v_xor_b32_e32 v214, vcc_hi, v4
	v_xor_b32_e32 v4, vcc_lo, v4
	v_and_b32_e32 v74, v74, v214
	v_and_b32_e32 v214, v72, v4
	v_lshlrev_b32_e32 v4, 24, v71
	v_cmp_gt_i64_e32 vcc, 0, v[3:4]
	v_not_b32_e32 v4, v4
	v_ashrrev_i32_e32 v4, 31, v4
	v_mul_u32_u24_e32 v73, 20, v71
	v_xor_b32_e32 v71, vcc_hi, v4
	v_xor_b32_e32 v4, vcc_lo, v4
	v_and_b32_e32 v72, v74, v71
	v_and_b32_e32 v71, v214, v4
	v_mbcnt_lo_u32_b32 v4, v71, 0
	v_mbcnt_hi_u32_b32 v214, v72, v4
	v_cmp_ne_u64_e32 vcc, 0, v[71:72]
	v_cmp_eq_u32_e64 s[38:39], 0, v214
	s_and_b64 s[40:41], vcc, s[38:39]
	v_add_u32_e32 v216, v174, v73
	; wave barrier
	s_and_saveexec_b64 s[38:39], s[40:41]
	s_cbranch_execz .LBB1226_744
; %bb.743:                              ;   in Loop: Header=BB1226_682 Depth=2
	v_bcnt_u32_b32 v4, v71, 0
	v_bcnt_u32_b32 v4, v72, v4
	s_waitcnt lgkmcnt(0)
	v_add_u32_e32 v4, v212, v4
	ds_write_b32 v216, v4 offset:1040
.LBB1226_744:                           ;   in Loop: Header=BB1226_682 Depth=2
	s_or_b64 exec, exec, s[38:39]
	v_cmp_lt_i64_e32 vcc, -1, v[49:50]
	v_ashrrev_i32_e32 v71, 31, v50
	v_cndmask_b32_e32 v4, -1, v135, vcc
	v_xor_b32_e32 v50, v4, v50
	v_xor_b32_e32 v49, v71, v49
	v_cmp_ne_u64_e32 vcc, s[82:83], v[49:50]
	v_cndmask_b32_e32 v72, v135, v50, vcc
	v_cndmask_b32_e32 v71, 0, v49, vcc
	v_lshrrev_b64 v[71:72], s7, v[71:72]
	; wave barrier
	v_and_b32_e32 v71, s96, v71
	v_mad_u32_u24 v4, v71, 20, v174
	ds_read_b32 v215, v4 offset:1040
	v_and_b32_e32 v4, 1, v71
	v_add_co_u32_e32 v72, vcc, -1, v4
	v_addc_co_u32_e64 v74, s[38:39], 0, -1, vcc
	v_cmp_ne_u32_e32 vcc, 0, v4
	v_xor_b32_e32 v4, vcc_hi, v74
	v_and_b32_e32 v74, exec_hi, v4
	v_lshlrev_b32_e32 v4, 30, v71
	v_xor_b32_e32 v72, vcc_lo, v72
	v_cmp_gt_i64_e32 vcc, 0, v[3:4]
	v_not_b32_e32 v4, v4
	v_ashrrev_i32_e32 v4, 31, v4
	v_and_b32_e32 v72, exec_lo, v72
	v_xor_b32_e32 v217, vcc_hi, v4
	v_xor_b32_e32 v4, vcc_lo, v4
	v_and_b32_e32 v72, v72, v4
	v_lshlrev_b32_e32 v4, 29, v71
	v_cmp_gt_i64_e32 vcc, 0, v[3:4]
	v_not_b32_e32 v4, v4
	v_ashrrev_i32_e32 v4, 31, v4
	v_and_b32_e32 v74, v74, v217
	v_xor_b32_e32 v217, vcc_hi, v4
	v_xor_b32_e32 v4, vcc_lo, v4
	v_and_b32_e32 v72, v72, v4
	v_lshlrev_b32_e32 v4, 28, v71
	v_cmp_gt_i64_e32 vcc, 0, v[3:4]
	v_not_b32_e32 v4, v4
	v_ashrrev_i32_e32 v4, 31, v4
	v_and_b32_e32 v74, v74, v217
	;; [unrolled: 8-line block ×5, first 2 shown]
	v_xor_b32_e32 v217, vcc_hi, v4
	v_xor_b32_e32 v4, vcc_lo, v4
	v_and_b32_e32 v74, v74, v217
	v_and_b32_e32 v217, v72, v4
	v_lshlrev_b32_e32 v4, 24, v71
	v_cmp_gt_i64_e32 vcc, 0, v[3:4]
	v_not_b32_e32 v4, v4
	v_ashrrev_i32_e32 v4, 31, v4
	v_mul_u32_u24_e32 v73, 20, v71
	v_xor_b32_e32 v71, vcc_hi, v4
	v_xor_b32_e32 v4, vcc_lo, v4
	v_and_b32_e32 v72, v74, v71
	v_and_b32_e32 v71, v217, v4
	v_mbcnt_lo_u32_b32 v4, v71, 0
	v_mbcnt_hi_u32_b32 v217, v72, v4
	v_cmp_ne_u64_e32 vcc, 0, v[71:72]
	v_cmp_eq_u32_e64 s[38:39], 0, v217
	s_and_b64 s[40:41], vcc, s[38:39]
	v_add_u32_e32 v219, v174, v73
	; wave barrier
	s_and_saveexec_b64 s[38:39], s[40:41]
	s_cbranch_execz .LBB1226_746
; %bb.745:                              ;   in Loop: Header=BB1226_682 Depth=2
	v_bcnt_u32_b32 v4, v71, 0
	v_bcnt_u32_b32 v4, v72, v4
	s_waitcnt lgkmcnt(0)
	v_add_u32_e32 v4, v215, v4
	ds_write_b32 v219, v4 offset:1040
.LBB1226_746:                           ;   in Loop: Header=BB1226_682 Depth=2
	s_or_b64 exec, exec, s[38:39]
	v_cmp_lt_i64_e32 vcc, -1, v[43:44]
	v_ashrrev_i32_e32 v71, 31, v44
	v_cndmask_b32_e32 v4, -1, v135, vcc
	v_xor_b32_e32 v44, v4, v44
	v_xor_b32_e32 v43, v71, v43
	v_cmp_ne_u64_e32 vcc, s[82:83], v[43:44]
	v_cndmask_b32_e32 v72, v135, v44, vcc
	v_cndmask_b32_e32 v71, 0, v43, vcc
	v_lshrrev_b64 v[71:72], s7, v[71:72]
	; wave barrier
	v_and_b32_e32 v71, s96, v71
	v_mad_u32_u24 v4, v71, 20, v174
	ds_read_b32 v218, v4 offset:1040
	v_and_b32_e32 v4, 1, v71
	v_add_co_u32_e32 v72, vcc, -1, v4
	v_addc_co_u32_e64 v74, s[38:39], 0, -1, vcc
	v_cmp_ne_u32_e32 vcc, 0, v4
	v_xor_b32_e32 v4, vcc_hi, v74
	v_and_b32_e32 v74, exec_hi, v4
	v_lshlrev_b32_e32 v4, 30, v71
	v_xor_b32_e32 v72, vcc_lo, v72
	v_cmp_gt_i64_e32 vcc, 0, v[3:4]
	v_not_b32_e32 v4, v4
	v_ashrrev_i32_e32 v4, 31, v4
	v_and_b32_e32 v72, exec_lo, v72
	v_xor_b32_e32 v220, vcc_hi, v4
	v_xor_b32_e32 v4, vcc_lo, v4
	v_and_b32_e32 v72, v72, v4
	v_lshlrev_b32_e32 v4, 29, v71
	v_cmp_gt_i64_e32 vcc, 0, v[3:4]
	v_not_b32_e32 v4, v4
	v_ashrrev_i32_e32 v4, 31, v4
	v_and_b32_e32 v74, v74, v220
	v_xor_b32_e32 v220, vcc_hi, v4
	v_xor_b32_e32 v4, vcc_lo, v4
	v_and_b32_e32 v72, v72, v4
	v_lshlrev_b32_e32 v4, 28, v71
	v_cmp_gt_i64_e32 vcc, 0, v[3:4]
	v_not_b32_e32 v4, v4
	v_ashrrev_i32_e32 v4, 31, v4
	v_and_b32_e32 v74, v74, v220
	;; [unrolled: 8-line block ×5, first 2 shown]
	v_xor_b32_e32 v220, vcc_hi, v4
	v_xor_b32_e32 v4, vcc_lo, v4
	v_and_b32_e32 v74, v74, v220
	v_and_b32_e32 v220, v72, v4
	v_lshlrev_b32_e32 v4, 24, v71
	v_cmp_gt_i64_e32 vcc, 0, v[3:4]
	v_not_b32_e32 v4, v4
	v_ashrrev_i32_e32 v4, 31, v4
	v_mul_u32_u24_e32 v73, 20, v71
	v_xor_b32_e32 v71, vcc_hi, v4
	v_xor_b32_e32 v4, vcc_lo, v4
	v_and_b32_e32 v72, v74, v71
	v_and_b32_e32 v71, v220, v4
	v_mbcnt_lo_u32_b32 v4, v71, 0
	v_mbcnt_hi_u32_b32 v220, v72, v4
	v_cmp_ne_u64_e32 vcc, 0, v[71:72]
	v_cmp_eq_u32_e64 s[38:39], 0, v220
	s_and_b64 s[40:41], vcc, s[38:39]
	v_add_u32_e32 v222, v174, v73
	; wave barrier
	s_and_saveexec_b64 s[38:39], s[40:41]
	s_cbranch_execz .LBB1226_748
; %bb.747:                              ;   in Loop: Header=BB1226_682 Depth=2
	v_bcnt_u32_b32 v4, v71, 0
	v_bcnt_u32_b32 v4, v72, v4
	s_waitcnt lgkmcnt(0)
	v_add_u32_e32 v4, v218, v4
	ds_write_b32 v222, v4 offset:1040
.LBB1226_748:                           ;   in Loop: Header=BB1226_682 Depth=2
	s_or_b64 exec, exec, s[38:39]
	v_cmp_lt_i64_e32 vcc, -1, v[45:46]
	v_ashrrev_i32_e32 v71, 31, v46
	v_cndmask_b32_e32 v4, -1, v135, vcc
	v_xor_b32_e32 v46, v4, v46
	v_xor_b32_e32 v45, v71, v45
	v_cmp_ne_u64_e32 vcc, s[82:83], v[45:46]
	v_cndmask_b32_e32 v72, v135, v46, vcc
	v_cndmask_b32_e32 v71, 0, v45, vcc
	v_lshrrev_b64 v[71:72], s7, v[71:72]
	; wave barrier
	v_and_b32_e32 v71, s96, v71
	v_mad_u32_u24 v4, v71, 20, v174
	ds_read_b32 v221, v4 offset:1040
	v_and_b32_e32 v4, 1, v71
	v_add_co_u32_e32 v72, vcc, -1, v4
	v_addc_co_u32_e64 v74, s[38:39], 0, -1, vcc
	v_cmp_ne_u32_e32 vcc, 0, v4
	v_xor_b32_e32 v4, vcc_hi, v74
	v_and_b32_e32 v74, exec_hi, v4
	v_lshlrev_b32_e32 v4, 30, v71
	v_xor_b32_e32 v72, vcc_lo, v72
	v_cmp_gt_i64_e32 vcc, 0, v[3:4]
	v_not_b32_e32 v4, v4
	v_ashrrev_i32_e32 v4, 31, v4
	v_and_b32_e32 v72, exec_lo, v72
	v_xor_b32_e32 v223, vcc_hi, v4
	v_xor_b32_e32 v4, vcc_lo, v4
	v_and_b32_e32 v72, v72, v4
	v_lshlrev_b32_e32 v4, 29, v71
	v_cmp_gt_i64_e32 vcc, 0, v[3:4]
	v_not_b32_e32 v4, v4
	v_ashrrev_i32_e32 v4, 31, v4
	v_and_b32_e32 v74, v74, v223
	v_xor_b32_e32 v223, vcc_hi, v4
	v_xor_b32_e32 v4, vcc_lo, v4
	v_and_b32_e32 v72, v72, v4
	v_lshlrev_b32_e32 v4, 28, v71
	v_cmp_gt_i64_e32 vcc, 0, v[3:4]
	v_not_b32_e32 v4, v4
	v_ashrrev_i32_e32 v4, 31, v4
	v_and_b32_e32 v74, v74, v223
	;; [unrolled: 8-line block ×5, first 2 shown]
	v_xor_b32_e32 v223, vcc_hi, v4
	v_xor_b32_e32 v4, vcc_lo, v4
	v_and_b32_e32 v74, v74, v223
	v_and_b32_e32 v223, v72, v4
	v_lshlrev_b32_e32 v4, 24, v71
	v_cmp_gt_i64_e32 vcc, 0, v[3:4]
	v_not_b32_e32 v4, v4
	v_ashrrev_i32_e32 v4, 31, v4
	v_mul_u32_u24_e32 v73, 20, v71
	v_xor_b32_e32 v71, vcc_hi, v4
	v_xor_b32_e32 v4, vcc_lo, v4
	v_and_b32_e32 v72, v74, v71
	v_and_b32_e32 v71, v223, v4
	v_mbcnt_lo_u32_b32 v4, v71, 0
	v_mbcnt_hi_u32_b32 v223, v72, v4
	v_cmp_ne_u64_e32 vcc, 0, v[71:72]
	v_cmp_eq_u32_e64 s[38:39], 0, v223
	s_and_b64 s[40:41], vcc, s[38:39]
	v_add_u32_e32 v4, v174, v73
	; wave barrier
	s_and_saveexec_b64 s[38:39], s[40:41]
	s_cbranch_execz .LBB1226_750
; %bb.749:                              ;   in Loop: Header=BB1226_682 Depth=2
	v_bcnt_u32_b32 v71, v71, 0
	v_bcnt_u32_b32 v71, v72, v71
	s_waitcnt lgkmcnt(0)
	v_add_u32_e32 v71, v221, v71
	ds_write_b32 v4, v71 offset:1040
.LBB1226_750:                           ;   in Loop: Header=BB1226_682 Depth=2
	s_or_b64 exec, exec, s[38:39]
	; wave barrier
	s_waitcnt lgkmcnt(0)
	s_barrier
	ds_read2_b32 v[73:74], v177 offset1:1
	ds_read2_b32 v[71:72], v176 offset1:1
	ds_read_b32 v224, v100 offset:1056
	s_waitcnt lgkmcnt(1)
	v_add3_u32 v225, v74, v73, v71
	s_waitcnt lgkmcnt(0)
	v_add3_u32 v224, v225, v72, v224
	s_nop 1
	v_mov_b32_dpp v225, v224 row_shr:1 row_mask:0xf bank_mask:0xf
	v_cndmask_b32_e64 v225, v225, 0, s[18:19]
	v_add_u32_e32 v224, v225, v224
	s_nop 1
	v_mov_b32_dpp v225, v224 row_shr:2 row_mask:0xf bank_mask:0xf
	v_cndmask_b32_e64 v225, 0, v225, s[20:21]
	v_add_u32_e32 v224, v224, v225
	;; [unrolled: 4-line block ×4, first 2 shown]
	s_nop 1
	v_mov_b32_dpp v225, v224 row_bcast:15 row_mask:0xf bank_mask:0xf
	v_cndmask_b32_e64 v225, v225, 0, s[26:27]
	v_add_u32_e32 v224, v224, v225
	s_nop 1
	v_mov_b32_dpp v225, v224 row_bcast:31 row_mask:0xf bank_mask:0xf
	v_cndmask_b32_e64 v225, 0, v225, s[28:29]
	v_add_u32_e32 v224, v224, v225
	s_and_saveexec_b64 s[38:39], s[8:9]
; %bb.751:                              ;   in Loop: Header=BB1226_682 Depth=2
	ds_write_b32 v95, v224 offset:1024
; %bb.752:                              ;   in Loop: Header=BB1226_682 Depth=2
	s_or_b64 exec, exec, s[38:39]
	s_waitcnt lgkmcnt(0)
	s_barrier
	s_and_saveexec_b64 s[38:39], s[10:11]
	s_cbranch_execz .LBB1226_754
; %bb.753:                              ;   in Loop: Header=BB1226_682 Depth=2
	ds_read_b32 v225, v101 offset:1024
	s_waitcnt lgkmcnt(0)
	s_nop 0
	v_mov_b32_dpp v226, v225 row_shr:1 row_mask:0xf bank_mask:0xf
	v_cndmask_b32_e64 v226, v226, 0, s[34:35]
	v_add_u32_e32 v225, v226, v225
	s_nop 1
	v_mov_b32_dpp v226, v225 row_shr:2 row_mask:0xf bank_mask:0xf
	v_cndmask_b32_e64 v226, 0, v226, s[36:37]
	v_add_u32_e32 v225, v225, v226
	ds_write_b32 v101, v225 offset:1024
.LBB1226_754:                           ;   in Loop: Header=BB1226_682 Depth=2
	s_or_b64 exec, exec, s[38:39]
	v_mov_b32_e32 v225, 0
	s_waitcnt lgkmcnt(0)
	s_barrier
	s_and_saveexec_b64 s[38:39], s[12:13]
; %bb.755:                              ;   in Loop: Header=BB1226_682 Depth=2
	ds_read_b32 v225, v95 offset:1020
; %bb.756:                              ;   in Loop: Header=BB1226_682 Depth=2
	s_or_b64 exec, exec, s[38:39]
	s_waitcnt lgkmcnt(0)
	v_add_u32_e32 v224, v225, v224
	ds_bpermute_b32 v224, v137, v224
	s_waitcnt lgkmcnt(0)
	v_cndmask_b32_e64 v224, v224, v225, s[30:31]
	v_cndmask_b32_e64 v224, v224, 0, s[14:15]
	v_add_u32_e32 v73, v224, v73
	v_add_u32_e32 v74, v73, v74
	;; [unrolled: 1-line block ×4, first 2 shown]
	ds_write2_b32 v177, v224, v73 offset1:1
	ds_write2_b32 v176, v74, v71 offset1:1
	ds_write_b32 v100, v72 offset:1056
	s_waitcnt lgkmcnt(0)
	s_barrier
	ds_read_b32 v71, v180 offset:1040
	ds_read_b32 v72, v183 offset:1040
	;; [unrolled: 1-line block ×17, first 2 shown]
	v_mov_b32_e32 v4, 0x1000
	s_and_saveexec_b64 s[38:39], s[16:17]
; %bb.757:                              ;   in Loop: Header=BB1226_682 Depth=2
	ds_read_b32 v4, v100 offset:1060
; %bb.758:                              ;   in Loop: Header=BB1226_682 Depth=2
	s_or_b64 exec, exec, s[38:39]
	s_waitcnt lgkmcnt(0)
	s_barrier
	s_and_saveexec_b64 s[38:39], s[4:5]
	s_cbranch_execz .LBB1226_760
; %bb.759:                              ;   in Loop: Header=BB1226_682 Depth=2
	ds_read_b32 v201, v75
	s_waitcnt lgkmcnt(0)
	v_sub_u32_e32 v198, v201, v198
	ds_write_b32 v75, v198
.LBB1226_760:                           ;   in Loop: Header=BB1226_682 Depth=2
	s_or_b64 exec, exec, s[38:39]
	v_lshlrev_b32_e32 v178, 3, v178
	v_lshl_add_u32 v71, v71, 3, v178
	ds_write_b64 v71, v[39:40] offset:1024
	v_lshlrev_b32_e32 v39, 3, v181
	v_lshlrev_b32_e32 v40, 3, v179
	;; [unrolled: 1-line block ×3, first 2 shown]
	v_add3_u32 v72, v39, v40, v72
	ds_write_b64 v72, v[41:42] offset:1024
	v_lshlrev_b32_e32 v39, 3, v184
	v_lshlrev_b32_e32 v40, 3, v182
	v_lshlrev_b32_e32 v41, 3, v227
	v_add3_u32 v41, v39, v40, v41
	v_lshlrev_b32_e32 v39, 3, v187
	v_lshlrev_b32_e32 v40, 3, v185
	v_lshlrev_b32_e32 v42, 3, v226
	ds_write_b64 v41, v[47:48] offset:1024
	v_add3_u32 v42, v39, v40, v42
	v_lshlrev_b32_e32 v39, 3, v190
	v_lshlrev_b32_e32 v40, 3, v188
	v_lshlrev_b32_e32 v47, 3, v225
	v_add3_u32 v47, v39, v40, v47
	v_lshlrev_b32_e32 v39, 3, v193
	v_lshlrev_b32_e32 v40, 3, v191
	v_lshlrev_b32_e32 v48, 3, v224
	ds_write_b64 v42, v[51:52] offset:1024
	v_add3_u32 v48, v39, v40, v48
	;; [unrolled: 9-line block ×4, first 2 shown]
	v_lshlrev_b32_e32 v39, 3, v208
	v_lshlrev_b32_e32 v40, 3, v206
	;; [unrolled: 1-line block ×3, first 2 shown]
	v_add3_u32 v59, v39, v40, v59
	v_lshlrev_b32_e32 v39, 3, v211
	v_lshlrev_b32_e32 v40, 3, v209
	;; [unrolled: 1-line block ×3, first 2 shown]
	v_add3_u32 v60, v39, v40, v60
	ds_write_b64 v51, v[63:64] offset:1024
	ds_write_b64 v52, v[67:68] offset:1024
	;; [unrolled: 1-line block ×6, first 2 shown]
	v_lshlrev_b32_e32 v39, 3, v214
	v_lshlrev_b32_e32 v40, 3, v212
	v_lshlrev_b32_e32 v57, 3, v177
	v_add3_u32 v57, v39, v40, v57
	ds_write_b64 v57, v[53:54] offset:1024
	v_lshlrev_b32_e32 v39, 3, v217
	v_lshlrev_b32_e32 v40, 3, v215
	v_lshlrev_b32_e32 v53, 3, v176
	v_add3_u32 v53, v39, v40, v53
	ds_write_b64 v53, v[49:50] offset:1024
	;; [unrolled: 5-line block ×3, first 2 shown]
	v_lshlrev_b32_e32 v39, 3, v223
	v_lshlrev_b32_e32 v40, 3, v221
	;; [unrolled: 1-line block ×3, first 2 shown]
	v_add3_u32 v43, v39, v40, v43
	v_cmp_lt_u32_e64 s[38:39], v0, v175
	ds_write_b64 v43, v[45:46] offset:1024
	s_waitcnt lgkmcnt(0)
	s_barrier
	s_and_saveexec_b64 s[40:41], s[38:39]
	s_cbranch_execnz .LBB1226_829
; %bb.761:                              ;   in Loop: Header=BB1226_682 Depth=2
	s_or_b64 exec, exec, s[40:41]
	v_cmp_lt_u32_e64 s[40:41], v76, v175
	s_and_saveexec_b64 s[42:43], s[40:41]
	s_cbranch_execnz .LBB1226_830
.LBB1226_762:                           ;   in Loop: Header=BB1226_682 Depth=2
	s_or_b64 exec, exec, s[42:43]
	v_cmp_lt_u32_e64 s[42:43], v77, v175
	s_and_saveexec_b64 s[44:45], s[42:43]
	s_cbranch_execnz .LBB1226_831
.LBB1226_763:                           ;   in Loop: Header=BB1226_682 Depth=2
	s_or_b64 exec, exec, s[44:45]
	v_cmp_lt_u32_e64 s[44:45], v78, v175
	s_and_saveexec_b64 s[46:47], s[44:45]
	s_cbranch_execnz .LBB1226_832
.LBB1226_764:                           ;   in Loop: Header=BB1226_682 Depth=2
	s_or_b64 exec, exec, s[46:47]
	v_cmp_lt_u32_e64 s[46:47], v81, v175
	s_and_saveexec_b64 s[48:49], s[46:47]
	s_cbranch_execnz .LBB1226_833
.LBB1226_765:                           ;   in Loop: Header=BB1226_682 Depth=2
	s_or_b64 exec, exec, s[48:49]
	v_cmp_lt_u32_e64 s[48:49], v82, v175
	s_and_saveexec_b64 s[50:51], s[48:49]
	s_cbranch_execnz .LBB1226_834
.LBB1226_766:                           ;   in Loop: Header=BB1226_682 Depth=2
	s_or_b64 exec, exec, s[50:51]
	v_cmp_lt_u32_e64 s[50:51], v83, v175
	s_and_saveexec_b64 s[52:53], s[50:51]
	s_cbranch_execnz .LBB1226_835
.LBB1226_767:                           ;   in Loop: Header=BB1226_682 Depth=2
	s_or_b64 exec, exec, s[52:53]
	v_cmp_lt_u32_e64 s[52:53], v84, v175
	s_and_saveexec_b64 s[54:55], s[52:53]
	s_cbranch_execnz .LBB1226_836
.LBB1226_768:                           ;   in Loop: Header=BB1226_682 Depth=2
	s_or_b64 exec, exec, s[54:55]
	v_cmp_lt_u32_e64 s[54:55], v85, v175
	s_and_saveexec_b64 s[56:57], s[54:55]
	s_cbranch_execnz .LBB1226_837
.LBB1226_769:                           ;   in Loop: Header=BB1226_682 Depth=2
	s_or_b64 exec, exec, s[56:57]
	v_cmp_lt_u32_e64 s[56:57], v86, v175
	s_and_saveexec_b64 s[58:59], s[56:57]
	s_cbranch_execnz .LBB1226_838
.LBB1226_770:                           ;   in Loop: Header=BB1226_682 Depth=2
	s_or_b64 exec, exec, s[58:59]
	v_cmp_lt_u32_e64 s[58:59], v87, v175
	s_and_saveexec_b64 s[60:61], s[58:59]
	s_cbranch_execnz .LBB1226_839
.LBB1226_771:                           ;   in Loop: Header=BB1226_682 Depth=2
	s_or_b64 exec, exec, s[60:61]
	v_cmp_lt_u32_e64 s[60:61], v88, v175
	s_and_saveexec_b64 s[62:63], s[60:61]
	s_cbranch_execnz .LBB1226_840
.LBB1226_772:                           ;   in Loop: Header=BB1226_682 Depth=2
	s_or_b64 exec, exec, s[62:63]
	v_cmp_lt_u32_e64 s[62:63], v89, v175
	s_and_saveexec_b64 s[64:65], s[62:63]
	s_cbranch_execnz .LBB1226_841
.LBB1226_773:                           ;   in Loop: Header=BB1226_682 Depth=2
	s_or_b64 exec, exec, s[64:65]
	v_cmp_lt_u32_e64 s[64:65], v90, v175
	s_and_saveexec_b64 s[66:67], s[64:65]
	s_cbranch_execnz .LBB1226_842
.LBB1226_774:                           ;   in Loop: Header=BB1226_682 Depth=2
	s_or_b64 exec, exec, s[66:67]
	v_cmp_lt_u32_e64 s[66:67], v91, v175
	s_and_saveexec_b64 s[68:69], s[66:67]
	s_cbranch_execnz .LBB1226_843
.LBB1226_775:                           ;   in Loop: Header=BB1226_682 Depth=2
	s_or_b64 exec, exec, s[68:69]
	v_cmp_lt_u32_e64 s[68:69], v92, v175
	s_and_saveexec_b64 s[92:93], s[68:69]
	s_cbranch_execz .LBB1226_777
.LBB1226_776:                           ;   in Loop: Header=BB1226_682 Depth=2
	ds_read_b64 v[39:40], v106 offset:31744
	v_mov_b32_e32 v45, v3
	v_mov_b32_e32 v46, s79
	s_waitcnt lgkmcnt(0)
	v_cmp_ne_u64_e32 vcc, s[82:83], v[39:40]
	v_ashrrev_i32_e32 v54, 31, v40
	v_cndmask_b32_e32 v62, v135, v40, vcc
	v_cndmask_b32_e32 v61, 0, v39, vcc
	v_lshrrev_b64 v[61:62], s7, v[61:62]
	v_cmp_lt_i64_e32 vcc, -1, v[39:40]
	v_and_b32_e32 v50, s96, v61
	v_lshlrev_b32_e32 v50, 2, v50
	ds_read_b32 v50, v50
	v_cndmask_b32_e64 v44, v135, -1, vcc
	v_xor_b32_e32 v40, v44, v40
	v_not_b32_e32 v54, v54
	v_xor_b32_e32 v39, v54, v39
	s_waitcnt lgkmcnt(0)
	v_add_u32_e32 v44, v50, v92
	v_lshlrev_b64 v[44:45], 3, v[44:45]
	v_add_co_u32_e32 v44, vcc, s78, v44
	v_addc_co_u32_e32 v45, vcc, v46, v45, vcc
	global_store_dwordx2 v[44:45], v[39:40], off
.LBB1226_777:                           ;   in Loop: Header=BB1226_682 Depth=2
	s_or_b64 exec, exec, s[92:93]
	s_lshl_b64 s[92:93], s[72:73], 3
	v_mov_b32_e32 v40, s93
	v_add_co_u32_e32 v39, vcc, s92, v147
	v_addc_co_u32_e32 v40, vcc, v149, v40, vcc
	v_cmp_lt_u32_e32 vcc, v145, v175
	s_and_saveexec_b64 s[92:93], vcc
	s_xor_b64 s[92:93], exec, s[92:93]
	s_cbranch_execnz .LBB1226_844
; %bb.778:                              ;   in Loop: Header=BB1226_682 Depth=2
	s_or_b64 exec, exec, s[92:93]
	v_cmp_lt_u32_e32 vcc, v151, v175
	s_and_saveexec_b64 s[92:93], vcc
	s_cbranch_execnz .LBB1226_845
.LBB1226_779:                           ;   in Loop: Header=BB1226_682 Depth=2
	s_or_b64 exec, exec, s[92:93]
	v_cmp_lt_u32_e32 vcc, v153, v175
	s_and_saveexec_b64 s[92:93], vcc
	s_cbranch_execnz .LBB1226_846
.LBB1226_780:                           ;   in Loop: Header=BB1226_682 Depth=2
	s_or_b64 exec, exec, s[92:93]
	v_cmp_lt_u32_e32 vcc, v155, v175
	s_and_saveexec_b64 s[92:93], vcc
	s_cbranch_execnz .LBB1226_847
.LBB1226_781:                           ;   in Loop: Header=BB1226_682 Depth=2
	s_or_b64 exec, exec, s[92:93]
	v_cmp_lt_u32_e32 vcc, v157, v175
	s_and_saveexec_b64 s[92:93], vcc
	s_cbranch_execnz .LBB1226_848
.LBB1226_782:                           ;   in Loop: Header=BB1226_682 Depth=2
	s_or_b64 exec, exec, s[92:93]
	v_cmp_lt_u32_e32 vcc, v159, v175
	s_and_saveexec_b64 s[92:93], vcc
	s_cbranch_execnz .LBB1226_849
.LBB1226_783:                           ;   in Loop: Header=BB1226_682 Depth=2
	s_or_b64 exec, exec, s[92:93]
	v_cmp_lt_u32_e32 vcc, v161, v175
	s_and_saveexec_b64 s[92:93], vcc
	s_cbranch_execnz .LBB1226_850
.LBB1226_784:                           ;   in Loop: Header=BB1226_682 Depth=2
	s_or_b64 exec, exec, s[92:93]
	v_cmp_lt_u32_e32 vcc, v163, v175
	s_and_saveexec_b64 s[92:93], vcc
	s_cbranch_execnz .LBB1226_851
.LBB1226_785:                           ;   in Loop: Header=BB1226_682 Depth=2
	s_or_b64 exec, exec, s[92:93]
	v_cmp_lt_u32_e32 vcc, v164, v175
	s_and_saveexec_b64 s[92:93], vcc
	s_cbranch_execnz .LBB1226_852
.LBB1226_786:                           ;   in Loop: Header=BB1226_682 Depth=2
	s_or_b64 exec, exec, s[92:93]
	v_cmp_lt_u32_e32 vcc, v165, v175
	s_and_saveexec_b64 s[92:93], vcc
	s_cbranch_execnz .LBB1226_853
.LBB1226_787:                           ;   in Loop: Header=BB1226_682 Depth=2
	s_or_b64 exec, exec, s[92:93]
	v_cmp_lt_u32_e32 vcc, v166, v175
	s_and_saveexec_b64 s[92:93], vcc
	s_cbranch_execnz .LBB1226_854
.LBB1226_788:                           ;   in Loop: Header=BB1226_682 Depth=2
	s_or_b64 exec, exec, s[92:93]
	v_cmp_lt_u32_e32 vcc, v167, v175
	s_and_saveexec_b64 s[92:93], vcc
	s_cbranch_execnz .LBB1226_855
.LBB1226_789:                           ;   in Loop: Header=BB1226_682 Depth=2
	s_or_b64 exec, exec, s[92:93]
	v_cmp_lt_u32_e32 vcc, v168, v175
	s_and_saveexec_b64 s[92:93], vcc
	s_cbranch_execnz .LBB1226_856
.LBB1226_790:                           ;   in Loop: Header=BB1226_682 Depth=2
	s_or_b64 exec, exec, s[92:93]
	v_cmp_lt_u32_e32 vcc, v169, v175
	s_and_saveexec_b64 s[92:93], vcc
	s_cbranch_execnz .LBB1226_857
.LBB1226_791:                           ;   in Loop: Header=BB1226_682 Depth=2
	s_or_b64 exec, exec, s[92:93]
	v_cmp_lt_u32_e32 vcc, v170, v175
	s_and_saveexec_b64 s[92:93], vcc
	s_cbranch_execnz .LBB1226_858
.LBB1226_792:                           ;   in Loop: Header=BB1226_682 Depth=2
	s_or_b64 exec, exec, s[92:93]
	v_cmp_lt_u32_e32 vcc, v171, v175
	s_and_saveexec_b64 s[92:93], vcc
	s_cbranch_execnz .LBB1226_859
.LBB1226_793:                           ;   in Loop: Header=BB1226_682 Depth=2
	s_or_b64 exec, exec, s[92:93]
	s_and_saveexec_b64 s[92:93], s[38:39]
	s_cbranch_execnz .LBB1226_860
.LBB1226_794:                           ;   in Loop: Header=BB1226_682 Depth=2
	s_or_b64 exec, exec, s[92:93]
	s_and_saveexec_b64 s[92:93], s[40:41]
	s_cbranch_execnz .LBB1226_861
.LBB1226_795:                           ;   in Loop: Header=BB1226_682 Depth=2
	s_or_b64 exec, exec, s[92:93]
	s_and_saveexec_b64 s[92:93], s[42:43]
	s_cbranch_execnz .LBB1226_862
.LBB1226_796:                           ;   in Loop: Header=BB1226_682 Depth=2
	s_or_b64 exec, exec, s[92:93]
	s_and_saveexec_b64 s[92:93], s[44:45]
	s_cbranch_execnz .LBB1226_863
.LBB1226_797:                           ;   in Loop: Header=BB1226_682 Depth=2
	s_or_b64 exec, exec, s[92:93]
	s_and_saveexec_b64 s[92:93], s[46:47]
	s_cbranch_execnz .LBB1226_864
.LBB1226_798:                           ;   in Loop: Header=BB1226_682 Depth=2
	s_or_b64 exec, exec, s[92:93]
	s_and_saveexec_b64 s[92:93], s[48:49]
	s_cbranch_execnz .LBB1226_865
.LBB1226_799:                           ;   in Loop: Header=BB1226_682 Depth=2
	s_or_b64 exec, exec, s[92:93]
	s_and_saveexec_b64 s[92:93], s[50:51]
	s_cbranch_execnz .LBB1226_866
.LBB1226_800:                           ;   in Loop: Header=BB1226_682 Depth=2
	s_or_b64 exec, exec, s[92:93]
	s_and_saveexec_b64 s[92:93], s[52:53]
	s_cbranch_execnz .LBB1226_867
.LBB1226_801:                           ;   in Loop: Header=BB1226_682 Depth=2
	s_or_b64 exec, exec, s[92:93]
	s_and_saveexec_b64 s[92:93], s[54:55]
	s_cbranch_execnz .LBB1226_868
.LBB1226_802:                           ;   in Loop: Header=BB1226_682 Depth=2
	s_or_b64 exec, exec, s[92:93]
	s_and_saveexec_b64 s[92:93], s[56:57]
	s_cbranch_execnz .LBB1226_869
.LBB1226_803:                           ;   in Loop: Header=BB1226_682 Depth=2
	s_or_b64 exec, exec, s[92:93]
	s_and_saveexec_b64 s[92:93], s[58:59]
	s_cbranch_execnz .LBB1226_870
.LBB1226_804:                           ;   in Loop: Header=BB1226_682 Depth=2
	s_or_b64 exec, exec, s[92:93]
	s_and_saveexec_b64 s[92:93], s[60:61]
	s_cbranch_execnz .LBB1226_871
.LBB1226_805:                           ;   in Loop: Header=BB1226_682 Depth=2
	s_or_b64 exec, exec, s[92:93]
	s_and_saveexec_b64 s[92:93], s[62:63]
	s_cbranch_execnz .LBB1226_872
.LBB1226_806:                           ;   in Loop: Header=BB1226_682 Depth=2
	s_or_b64 exec, exec, s[92:93]
	s_and_saveexec_b64 s[92:93], s[64:65]
	s_cbranch_execnz .LBB1226_873
.LBB1226_807:                           ;   in Loop: Header=BB1226_682 Depth=2
	s_or_b64 exec, exec, s[92:93]
	s_and_saveexec_b64 s[92:93], s[66:67]
	s_cbranch_execnz .LBB1226_874
.LBB1226_808:                           ;   in Loop: Header=BB1226_682 Depth=2
	s_or_b64 exec, exec, s[92:93]
	s_and_saveexec_b64 s[92:93], s[68:69]
	s_cbranch_execz .LBB1226_810
.LBB1226_809:                           ;   in Loop: Header=BB1226_682 Depth=2
	ds_read_b64 v[39:40], v106 offset:31744
	s_waitcnt lgkmcnt(0)
	v_cmp_ne_u64_e32 vcc, s[82:83], v[39:40]
	v_cndmask_b32_e32 v40, v135, v40, vcc
	v_cndmask_b32_e32 v39, 0, v39, vcc
	v_lshrrev_b64 v[39:40], s7, v[39:40]
	v_and_b32_e32 v138, s96, v39
.LBB1226_810:                           ;   in Loop: Header=BB1226_682 Depth=2
	s_or_b64 exec, exec, s[92:93]
	s_waitcnt vmcnt(0)
	s_barrier
	ds_write_b64 v71, v[37:38] offset:1024
	ds_write_b64 v72, v[35:36] offset:1024
	;; [unrolled: 1-line block ×16, first 2 shown]
	s_waitcnt lgkmcnt(0)
	s_barrier
	s_and_saveexec_b64 s[92:93], s[38:39]
	s_cbranch_execnz .LBB1226_875
; %bb.811:                              ;   in Loop: Header=BB1226_682 Depth=2
	s_or_b64 exec, exec, s[92:93]
	s_and_saveexec_b64 s[38:39], s[40:41]
	s_cbranch_execnz .LBB1226_876
.LBB1226_812:                           ;   in Loop: Header=BB1226_682 Depth=2
	s_or_b64 exec, exec, s[38:39]
	s_and_saveexec_b64 s[38:39], s[42:43]
	s_cbranch_execnz .LBB1226_877
.LBB1226_813:                           ;   in Loop: Header=BB1226_682 Depth=2
	s_or_b64 exec, exec, s[38:39]
	s_and_saveexec_b64 s[38:39], s[44:45]
	s_cbranch_execnz .LBB1226_878
.LBB1226_814:                           ;   in Loop: Header=BB1226_682 Depth=2
	s_or_b64 exec, exec, s[38:39]
	s_and_saveexec_b64 s[38:39], s[46:47]
	s_cbranch_execnz .LBB1226_879
.LBB1226_815:                           ;   in Loop: Header=BB1226_682 Depth=2
	s_or_b64 exec, exec, s[38:39]
	s_and_saveexec_b64 s[38:39], s[48:49]
	s_cbranch_execnz .LBB1226_880
.LBB1226_816:                           ;   in Loop: Header=BB1226_682 Depth=2
	s_or_b64 exec, exec, s[38:39]
	s_and_saveexec_b64 s[38:39], s[50:51]
	s_cbranch_execnz .LBB1226_881
.LBB1226_817:                           ;   in Loop: Header=BB1226_682 Depth=2
	s_or_b64 exec, exec, s[38:39]
	s_and_saveexec_b64 s[38:39], s[52:53]
	s_cbranch_execnz .LBB1226_882
.LBB1226_818:                           ;   in Loop: Header=BB1226_682 Depth=2
	s_or_b64 exec, exec, s[38:39]
	s_and_saveexec_b64 s[38:39], s[54:55]
	s_cbranch_execnz .LBB1226_883
.LBB1226_819:                           ;   in Loop: Header=BB1226_682 Depth=2
	s_or_b64 exec, exec, s[38:39]
	s_and_saveexec_b64 s[38:39], s[56:57]
	s_cbranch_execnz .LBB1226_884
.LBB1226_820:                           ;   in Loop: Header=BB1226_682 Depth=2
	s_or_b64 exec, exec, s[38:39]
	s_and_saveexec_b64 s[38:39], s[58:59]
	s_cbranch_execnz .LBB1226_885
.LBB1226_821:                           ;   in Loop: Header=BB1226_682 Depth=2
	s_or_b64 exec, exec, s[38:39]
	s_and_saveexec_b64 s[38:39], s[60:61]
	s_cbranch_execnz .LBB1226_886
.LBB1226_822:                           ;   in Loop: Header=BB1226_682 Depth=2
	s_or_b64 exec, exec, s[38:39]
	s_and_saveexec_b64 s[38:39], s[62:63]
	s_cbranch_execnz .LBB1226_887
.LBB1226_823:                           ;   in Loop: Header=BB1226_682 Depth=2
	s_or_b64 exec, exec, s[38:39]
	s_and_saveexec_b64 s[38:39], s[64:65]
	s_cbranch_execnz .LBB1226_888
.LBB1226_824:                           ;   in Loop: Header=BB1226_682 Depth=2
	s_or_b64 exec, exec, s[38:39]
	s_and_saveexec_b64 s[38:39], s[66:67]
	s_cbranch_execnz .LBB1226_889
.LBB1226_825:                           ;   in Loop: Header=BB1226_682 Depth=2
	s_or_b64 exec, exec, s[38:39]
	s_and_saveexec_b64 s[38:39], s[68:69]
	s_cbranch_execz .LBB1226_827
.LBB1226_826:                           ;   in Loop: Header=BB1226_682 Depth=2
	v_lshlrev_b32_e32 v39, 2, v138
	ds_read_b32 v41, v39
	ds_read_b64 v[39:40], v106 offset:31744
	v_mov_b32_e32 v42, v3
	v_mov_b32_e32 v43, s85
	s_waitcnt lgkmcnt(1)
	v_add_u32_e32 v41, v41, v92
	v_lshlrev_b64 v[41:42], 3, v[41:42]
	v_add_co_u32_e32 v41, vcc, s84, v41
	v_addc_co_u32_e32 v42, vcc, v43, v42, vcc
	s_waitcnt lgkmcnt(0)
	global_store_dwordx2 v[41:42], v[39:40], off
.LBB1226_827:                           ;   in Loop: Header=BB1226_682 Depth=2
	s_or_b64 exec, exec, s[38:39]
	s_waitcnt vmcnt(0)
	s_barrier
	s_and_saveexec_b64 s[38:39], s[4:5]
	s_cbranch_execz .LBB1226_681
; %bb.828:                              ;   in Loop: Header=BB1226_682 Depth=2
	ds_read_b32 v39, v75
	s_waitcnt lgkmcnt(0)
	v_add_u32_e32 v4, v39, v4
	ds_write_b32 v75, v4
	s_branch .LBB1226_681
.LBB1226_829:                           ;   in Loop: Header=BB1226_682 Depth=2
	ds_read_b64 v[39:40], v106 offset:1024
	v_mov_b32_e32 v45, v3
	v_mov_b32_e32 v46, s79
	s_waitcnt lgkmcnt(0)
	v_cmp_ne_u64_e32 vcc, s[82:83], v[39:40]
	v_ashrrev_i32_e32 v54, 31, v40
	v_cndmask_b32_e32 v62, v135, v40, vcc
	v_cndmask_b32_e32 v61, 0, v39, vcc
	v_lshrrev_b64 v[61:62], s7, v[61:62]
	v_cmp_lt_i64_e32 vcc, -1, v[39:40]
	v_and_b32_e32 v50, s96, v61
	v_lshlrev_b32_e32 v50, 2, v50
	ds_read_b32 v50, v50
	v_cndmask_b32_e64 v44, v135, -1, vcc
	v_xor_b32_e32 v40, v44, v40
	v_not_b32_e32 v54, v54
	v_xor_b32_e32 v39, v54, v39
	s_waitcnt lgkmcnt(0)
	v_add_u32_e32 v44, v50, v0
	v_lshlrev_b64 v[44:45], 3, v[44:45]
	v_add_co_u32_e32 v44, vcc, s78, v44
	v_addc_co_u32_e32 v45, vcc, v46, v45, vcc
	global_store_dwordx2 v[44:45], v[39:40], off
	s_or_b64 exec, exec, s[40:41]
	v_cmp_lt_u32_e64 s[40:41], v76, v175
	s_and_saveexec_b64 s[42:43], s[40:41]
	s_cbranch_execz .LBB1226_762
.LBB1226_830:                           ;   in Loop: Header=BB1226_682 Depth=2
	ds_read_b64 v[39:40], v106 offset:3072
	v_mov_b32_e32 v45, v3
	v_mov_b32_e32 v46, s79
	s_waitcnt lgkmcnt(0)
	v_cmp_ne_u64_e32 vcc, s[82:83], v[39:40]
	v_ashrrev_i32_e32 v54, 31, v40
	v_cndmask_b32_e32 v62, v135, v40, vcc
	v_cndmask_b32_e32 v61, 0, v39, vcc
	v_lshrrev_b64 v[61:62], s7, v[61:62]
	v_cmp_lt_i64_e32 vcc, -1, v[39:40]
	v_and_b32_e32 v50, s96, v61
	v_lshlrev_b32_e32 v50, 2, v50
	ds_read_b32 v50, v50
	v_cndmask_b32_e64 v44, v135, -1, vcc
	v_xor_b32_e32 v40, v44, v40
	v_not_b32_e32 v54, v54
	v_xor_b32_e32 v39, v54, v39
	s_waitcnt lgkmcnt(0)
	v_add_u32_e32 v44, v50, v76
	v_lshlrev_b64 v[44:45], 3, v[44:45]
	v_add_co_u32_e32 v44, vcc, s78, v44
	v_addc_co_u32_e32 v45, vcc, v46, v45, vcc
	global_store_dwordx2 v[44:45], v[39:40], off
	s_or_b64 exec, exec, s[42:43]
	v_cmp_lt_u32_e64 s[42:43], v77, v175
	s_and_saveexec_b64 s[44:45], s[42:43]
	s_cbranch_execz .LBB1226_763
.LBB1226_831:                           ;   in Loop: Header=BB1226_682 Depth=2
	ds_read_b64 v[39:40], v106 offset:5120
	v_mov_b32_e32 v45, v3
	v_mov_b32_e32 v46, s79
	s_waitcnt lgkmcnt(0)
	v_cmp_ne_u64_e32 vcc, s[82:83], v[39:40]
	v_ashrrev_i32_e32 v54, 31, v40
	v_cndmask_b32_e32 v62, v135, v40, vcc
	v_cndmask_b32_e32 v61, 0, v39, vcc
	v_lshrrev_b64 v[61:62], s7, v[61:62]
	v_cmp_lt_i64_e32 vcc, -1, v[39:40]
	v_and_b32_e32 v50, s96, v61
	v_lshlrev_b32_e32 v50, 2, v50
	ds_read_b32 v50, v50
	v_cndmask_b32_e64 v44, v135, -1, vcc
	v_xor_b32_e32 v40, v44, v40
	v_not_b32_e32 v54, v54
	v_xor_b32_e32 v39, v54, v39
	s_waitcnt lgkmcnt(0)
	v_add_u32_e32 v44, v50, v77
	v_lshlrev_b64 v[44:45], 3, v[44:45]
	v_add_co_u32_e32 v44, vcc, s78, v44
	v_addc_co_u32_e32 v45, vcc, v46, v45, vcc
	global_store_dwordx2 v[44:45], v[39:40], off
	s_or_b64 exec, exec, s[44:45]
	v_cmp_lt_u32_e64 s[44:45], v78, v175
	s_and_saveexec_b64 s[46:47], s[44:45]
	s_cbranch_execz .LBB1226_764
.LBB1226_832:                           ;   in Loop: Header=BB1226_682 Depth=2
	ds_read_b64 v[39:40], v106 offset:7168
	v_mov_b32_e32 v45, v3
	v_mov_b32_e32 v46, s79
	s_waitcnt lgkmcnt(0)
	v_cmp_ne_u64_e32 vcc, s[82:83], v[39:40]
	v_ashrrev_i32_e32 v54, 31, v40
	v_cndmask_b32_e32 v62, v135, v40, vcc
	v_cndmask_b32_e32 v61, 0, v39, vcc
	v_lshrrev_b64 v[61:62], s7, v[61:62]
	v_cmp_lt_i64_e32 vcc, -1, v[39:40]
	v_and_b32_e32 v50, s96, v61
	v_lshlrev_b32_e32 v50, 2, v50
	ds_read_b32 v50, v50
	v_cndmask_b32_e64 v44, v135, -1, vcc
	v_xor_b32_e32 v40, v44, v40
	v_not_b32_e32 v54, v54
	v_xor_b32_e32 v39, v54, v39
	s_waitcnt lgkmcnt(0)
	v_add_u32_e32 v44, v50, v78
	v_lshlrev_b64 v[44:45], 3, v[44:45]
	v_add_co_u32_e32 v44, vcc, s78, v44
	v_addc_co_u32_e32 v45, vcc, v46, v45, vcc
	global_store_dwordx2 v[44:45], v[39:40], off
	s_or_b64 exec, exec, s[46:47]
	v_cmp_lt_u32_e64 s[46:47], v81, v175
	s_and_saveexec_b64 s[48:49], s[46:47]
	s_cbranch_execz .LBB1226_765
.LBB1226_833:                           ;   in Loop: Header=BB1226_682 Depth=2
	ds_read_b64 v[39:40], v106 offset:9216
	v_mov_b32_e32 v45, v3
	v_mov_b32_e32 v46, s79
	s_waitcnt lgkmcnt(0)
	v_cmp_ne_u64_e32 vcc, s[82:83], v[39:40]
	v_ashrrev_i32_e32 v54, 31, v40
	v_cndmask_b32_e32 v62, v135, v40, vcc
	v_cndmask_b32_e32 v61, 0, v39, vcc
	v_lshrrev_b64 v[61:62], s7, v[61:62]
	v_cmp_lt_i64_e32 vcc, -1, v[39:40]
	v_and_b32_e32 v50, s96, v61
	v_lshlrev_b32_e32 v50, 2, v50
	ds_read_b32 v50, v50
	v_cndmask_b32_e64 v44, v135, -1, vcc
	v_xor_b32_e32 v40, v44, v40
	v_not_b32_e32 v54, v54
	v_xor_b32_e32 v39, v54, v39
	s_waitcnt lgkmcnt(0)
	v_add_u32_e32 v44, v50, v81
	v_lshlrev_b64 v[44:45], 3, v[44:45]
	v_add_co_u32_e32 v44, vcc, s78, v44
	v_addc_co_u32_e32 v45, vcc, v46, v45, vcc
	global_store_dwordx2 v[44:45], v[39:40], off
	s_or_b64 exec, exec, s[48:49]
	v_cmp_lt_u32_e64 s[48:49], v82, v175
	s_and_saveexec_b64 s[50:51], s[48:49]
	s_cbranch_execz .LBB1226_766
.LBB1226_834:                           ;   in Loop: Header=BB1226_682 Depth=2
	ds_read_b64 v[39:40], v106 offset:11264
	v_mov_b32_e32 v45, v3
	v_mov_b32_e32 v46, s79
	s_waitcnt lgkmcnt(0)
	v_cmp_ne_u64_e32 vcc, s[82:83], v[39:40]
	v_ashrrev_i32_e32 v54, 31, v40
	v_cndmask_b32_e32 v62, v135, v40, vcc
	v_cndmask_b32_e32 v61, 0, v39, vcc
	v_lshrrev_b64 v[61:62], s7, v[61:62]
	v_cmp_lt_i64_e32 vcc, -1, v[39:40]
	v_and_b32_e32 v50, s96, v61
	v_lshlrev_b32_e32 v50, 2, v50
	ds_read_b32 v50, v50
	v_cndmask_b32_e64 v44, v135, -1, vcc
	v_xor_b32_e32 v40, v44, v40
	v_not_b32_e32 v54, v54
	v_xor_b32_e32 v39, v54, v39
	s_waitcnt lgkmcnt(0)
	v_add_u32_e32 v44, v50, v82
	v_lshlrev_b64 v[44:45], 3, v[44:45]
	v_add_co_u32_e32 v44, vcc, s78, v44
	v_addc_co_u32_e32 v45, vcc, v46, v45, vcc
	global_store_dwordx2 v[44:45], v[39:40], off
	s_or_b64 exec, exec, s[50:51]
	v_cmp_lt_u32_e64 s[50:51], v83, v175
	s_and_saveexec_b64 s[52:53], s[50:51]
	s_cbranch_execz .LBB1226_767
.LBB1226_835:                           ;   in Loop: Header=BB1226_682 Depth=2
	ds_read_b64 v[39:40], v106 offset:13312
	v_mov_b32_e32 v45, v3
	v_mov_b32_e32 v46, s79
	s_waitcnt lgkmcnt(0)
	v_cmp_ne_u64_e32 vcc, s[82:83], v[39:40]
	v_ashrrev_i32_e32 v54, 31, v40
	v_cndmask_b32_e32 v62, v135, v40, vcc
	v_cndmask_b32_e32 v61, 0, v39, vcc
	v_lshrrev_b64 v[61:62], s7, v[61:62]
	v_cmp_lt_i64_e32 vcc, -1, v[39:40]
	v_and_b32_e32 v50, s96, v61
	v_lshlrev_b32_e32 v50, 2, v50
	ds_read_b32 v50, v50
	v_cndmask_b32_e64 v44, v135, -1, vcc
	v_xor_b32_e32 v40, v44, v40
	v_not_b32_e32 v54, v54
	v_xor_b32_e32 v39, v54, v39
	s_waitcnt lgkmcnt(0)
	v_add_u32_e32 v44, v50, v83
	v_lshlrev_b64 v[44:45], 3, v[44:45]
	v_add_co_u32_e32 v44, vcc, s78, v44
	v_addc_co_u32_e32 v45, vcc, v46, v45, vcc
	global_store_dwordx2 v[44:45], v[39:40], off
	s_or_b64 exec, exec, s[52:53]
	v_cmp_lt_u32_e64 s[52:53], v84, v175
	s_and_saveexec_b64 s[54:55], s[52:53]
	s_cbranch_execz .LBB1226_768
.LBB1226_836:                           ;   in Loop: Header=BB1226_682 Depth=2
	ds_read_b64 v[39:40], v106 offset:15360
	v_mov_b32_e32 v45, v3
	v_mov_b32_e32 v46, s79
	s_waitcnt lgkmcnt(0)
	v_cmp_ne_u64_e32 vcc, s[82:83], v[39:40]
	v_ashrrev_i32_e32 v54, 31, v40
	v_cndmask_b32_e32 v62, v135, v40, vcc
	v_cndmask_b32_e32 v61, 0, v39, vcc
	v_lshrrev_b64 v[61:62], s7, v[61:62]
	v_cmp_lt_i64_e32 vcc, -1, v[39:40]
	v_and_b32_e32 v50, s96, v61
	v_lshlrev_b32_e32 v50, 2, v50
	ds_read_b32 v50, v50
	v_cndmask_b32_e64 v44, v135, -1, vcc
	v_xor_b32_e32 v40, v44, v40
	v_not_b32_e32 v54, v54
	v_xor_b32_e32 v39, v54, v39
	s_waitcnt lgkmcnt(0)
	v_add_u32_e32 v44, v50, v84
	v_lshlrev_b64 v[44:45], 3, v[44:45]
	v_add_co_u32_e32 v44, vcc, s78, v44
	v_addc_co_u32_e32 v45, vcc, v46, v45, vcc
	global_store_dwordx2 v[44:45], v[39:40], off
	s_or_b64 exec, exec, s[54:55]
	v_cmp_lt_u32_e64 s[54:55], v85, v175
	s_and_saveexec_b64 s[56:57], s[54:55]
	s_cbranch_execz .LBB1226_769
.LBB1226_837:                           ;   in Loop: Header=BB1226_682 Depth=2
	ds_read_b64 v[39:40], v106 offset:17408
	v_mov_b32_e32 v45, v3
	v_mov_b32_e32 v46, s79
	s_waitcnt lgkmcnt(0)
	v_cmp_ne_u64_e32 vcc, s[82:83], v[39:40]
	v_ashrrev_i32_e32 v54, 31, v40
	v_cndmask_b32_e32 v62, v135, v40, vcc
	v_cndmask_b32_e32 v61, 0, v39, vcc
	v_lshrrev_b64 v[61:62], s7, v[61:62]
	v_cmp_lt_i64_e32 vcc, -1, v[39:40]
	v_and_b32_e32 v50, s96, v61
	v_lshlrev_b32_e32 v50, 2, v50
	ds_read_b32 v50, v50
	v_cndmask_b32_e64 v44, v135, -1, vcc
	v_xor_b32_e32 v40, v44, v40
	v_not_b32_e32 v54, v54
	v_xor_b32_e32 v39, v54, v39
	s_waitcnt lgkmcnt(0)
	v_add_u32_e32 v44, v50, v85
	v_lshlrev_b64 v[44:45], 3, v[44:45]
	v_add_co_u32_e32 v44, vcc, s78, v44
	v_addc_co_u32_e32 v45, vcc, v46, v45, vcc
	global_store_dwordx2 v[44:45], v[39:40], off
	s_or_b64 exec, exec, s[56:57]
	v_cmp_lt_u32_e64 s[56:57], v86, v175
	s_and_saveexec_b64 s[58:59], s[56:57]
	s_cbranch_execz .LBB1226_770
.LBB1226_838:                           ;   in Loop: Header=BB1226_682 Depth=2
	ds_read_b64 v[39:40], v106 offset:19456
	v_mov_b32_e32 v45, v3
	v_mov_b32_e32 v46, s79
	s_waitcnt lgkmcnt(0)
	v_cmp_ne_u64_e32 vcc, s[82:83], v[39:40]
	v_ashrrev_i32_e32 v54, 31, v40
	v_cndmask_b32_e32 v62, v135, v40, vcc
	v_cndmask_b32_e32 v61, 0, v39, vcc
	v_lshrrev_b64 v[61:62], s7, v[61:62]
	v_cmp_lt_i64_e32 vcc, -1, v[39:40]
	v_and_b32_e32 v50, s96, v61
	v_lshlrev_b32_e32 v50, 2, v50
	ds_read_b32 v50, v50
	v_cndmask_b32_e64 v44, v135, -1, vcc
	v_xor_b32_e32 v40, v44, v40
	v_not_b32_e32 v54, v54
	v_xor_b32_e32 v39, v54, v39
	s_waitcnt lgkmcnt(0)
	v_add_u32_e32 v44, v50, v86
	v_lshlrev_b64 v[44:45], 3, v[44:45]
	v_add_co_u32_e32 v44, vcc, s78, v44
	v_addc_co_u32_e32 v45, vcc, v46, v45, vcc
	global_store_dwordx2 v[44:45], v[39:40], off
	s_or_b64 exec, exec, s[58:59]
	v_cmp_lt_u32_e64 s[58:59], v87, v175
	s_and_saveexec_b64 s[60:61], s[58:59]
	s_cbranch_execz .LBB1226_771
.LBB1226_839:                           ;   in Loop: Header=BB1226_682 Depth=2
	ds_read_b64 v[39:40], v106 offset:21504
	v_mov_b32_e32 v45, v3
	v_mov_b32_e32 v46, s79
	s_waitcnt lgkmcnt(0)
	v_cmp_ne_u64_e32 vcc, s[82:83], v[39:40]
	v_ashrrev_i32_e32 v54, 31, v40
	v_cndmask_b32_e32 v62, v135, v40, vcc
	v_cndmask_b32_e32 v61, 0, v39, vcc
	v_lshrrev_b64 v[61:62], s7, v[61:62]
	v_cmp_lt_i64_e32 vcc, -1, v[39:40]
	v_and_b32_e32 v50, s96, v61
	v_lshlrev_b32_e32 v50, 2, v50
	ds_read_b32 v50, v50
	v_cndmask_b32_e64 v44, v135, -1, vcc
	v_xor_b32_e32 v40, v44, v40
	v_not_b32_e32 v54, v54
	v_xor_b32_e32 v39, v54, v39
	s_waitcnt lgkmcnt(0)
	v_add_u32_e32 v44, v50, v87
	v_lshlrev_b64 v[44:45], 3, v[44:45]
	v_add_co_u32_e32 v44, vcc, s78, v44
	v_addc_co_u32_e32 v45, vcc, v46, v45, vcc
	global_store_dwordx2 v[44:45], v[39:40], off
	s_or_b64 exec, exec, s[60:61]
	v_cmp_lt_u32_e64 s[60:61], v88, v175
	s_and_saveexec_b64 s[62:63], s[60:61]
	s_cbranch_execz .LBB1226_772
.LBB1226_840:                           ;   in Loop: Header=BB1226_682 Depth=2
	ds_read_b64 v[39:40], v106 offset:23552
	v_mov_b32_e32 v45, v3
	v_mov_b32_e32 v46, s79
	s_waitcnt lgkmcnt(0)
	v_cmp_ne_u64_e32 vcc, s[82:83], v[39:40]
	v_ashrrev_i32_e32 v54, 31, v40
	v_cndmask_b32_e32 v62, v135, v40, vcc
	v_cndmask_b32_e32 v61, 0, v39, vcc
	v_lshrrev_b64 v[61:62], s7, v[61:62]
	v_cmp_lt_i64_e32 vcc, -1, v[39:40]
	v_and_b32_e32 v50, s96, v61
	v_lshlrev_b32_e32 v50, 2, v50
	ds_read_b32 v50, v50
	v_cndmask_b32_e64 v44, v135, -1, vcc
	v_xor_b32_e32 v40, v44, v40
	v_not_b32_e32 v54, v54
	v_xor_b32_e32 v39, v54, v39
	s_waitcnt lgkmcnt(0)
	v_add_u32_e32 v44, v50, v88
	v_lshlrev_b64 v[44:45], 3, v[44:45]
	v_add_co_u32_e32 v44, vcc, s78, v44
	v_addc_co_u32_e32 v45, vcc, v46, v45, vcc
	global_store_dwordx2 v[44:45], v[39:40], off
	s_or_b64 exec, exec, s[62:63]
	v_cmp_lt_u32_e64 s[62:63], v89, v175
	s_and_saveexec_b64 s[64:65], s[62:63]
	s_cbranch_execz .LBB1226_773
.LBB1226_841:                           ;   in Loop: Header=BB1226_682 Depth=2
	ds_read_b64 v[39:40], v106 offset:25600
	v_mov_b32_e32 v45, v3
	v_mov_b32_e32 v46, s79
	s_waitcnt lgkmcnt(0)
	v_cmp_ne_u64_e32 vcc, s[82:83], v[39:40]
	v_ashrrev_i32_e32 v54, 31, v40
	v_cndmask_b32_e32 v62, v135, v40, vcc
	v_cndmask_b32_e32 v61, 0, v39, vcc
	v_lshrrev_b64 v[61:62], s7, v[61:62]
	v_cmp_lt_i64_e32 vcc, -1, v[39:40]
	v_and_b32_e32 v50, s96, v61
	v_lshlrev_b32_e32 v50, 2, v50
	ds_read_b32 v50, v50
	v_cndmask_b32_e64 v44, v135, -1, vcc
	v_xor_b32_e32 v40, v44, v40
	v_not_b32_e32 v54, v54
	v_xor_b32_e32 v39, v54, v39
	s_waitcnt lgkmcnt(0)
	v_add_u32_e32 v44, v50, v89
	v_lshlrev_b64 v[44:45], 3, v[44:45]
	v_add_co_u32_e32 v44, vcc, s78, v44
	v_addc_co_u32_e32 v45, vcc, v46, v45, vcc
	global_store_dwordx2 v[44:45], v[39:40], off
	s_or_b64 exec, exec, s[64:65]
	v_cmp_lt_u32_e64 s[64:65], v90, v175
	s_and_saveexec_b64 s[66:67], s[64:65]
	s_cbranch_execz .LBB1226_774
.LBB1226_842:                           ;   in Loop: Header=BB1226_682 Depth=2
	ds_read_b64 v[39:40], v106 offset:27648
	v_mov_b32_e32 v45, v3
	v_mov_b32_e32 v46, s79
	s_waitcnt lgkmcnt(0)
	v_cmp_ne_u64_e32 vcc, s[82:83], v[39:40]
	v_ashrrev_i32_e32 v54, 31, v40
	v_cndmask_b32_e32 v62, v135, v40, vcc
	v_cndmask_b32_e32 v61, 0, v39, vcc
	v_lshrrev_b64 v[61:62], s7, v[61:62]
	v_cmp_lt_i64_e32 vcc, -1, v[39:40]
	v_and_b32_e32 v50, s96, v61
	v_lshlrev_b32_e32 v50, 2, v50
	ds_read_b32 v50, v50
	v_cndmask_b32_e64 v44, v135, -1, vcc
	v_xor_b32_e32 v40, v44, v40
	v_not_b32_e32 v54, v54
	v_xor_b32_e32 v39, v54, v39
	s_waitcnt lgkmcnt(0)
	v_add_u32_e32 v44, v50, v90
	v_lshlrev_b64 v[44:45], 3, v[44:45]
	v_add_co_u32_e32 v44, vcc, s78, v44
	v_addc_co_u32_e32 v45, vcc, v46, v45, vcc
	global_store_dwordx2 v[44:45], v[39:40], off
	s_or_b64 exec, exec, s[66:67]
	v_cmp_lt_u32_e64 s[66:67], v91, v175
	s_and_saveexec_b64 s[68:69], s[66:67]
	s_cbranch_execz .LBB1226_775
.LBB1226_843:                           ;   in Loop: Header=BB1226_682 Depth=2
	ds_read_b64 v[39:40], v106 offset:29696
	v_mov_b32_e32 v45, v3
	v_mov_b32_e32 v46, s79
	s_waitcnt lgkmcnt(0)
	v_cmp_ne_u64_e32 vcc, s[82:83], v[39:40]
	v_ashrrev_i32_e32 v54, 31, v40
	v_cndmask_b32_e32 v62, v135, v40, vcc
	v_cndmask_b32_e32 v61, 0, v39, vcc
	v_lshrrev_b64 v[61:62], s7, v[61:62]
	v_cmp_lt_i64_e32 vcc, -1, v[39:40]
	v_and_b32_e32 v50, s96, v61
	v_lshlrev_b32_e32 v50, 2, v50
	ds_read_b32 v50, v50
	v_cndmask_b32_e64 v44, v135, -1, vcc
	v_xor_b32_e32 v40, v44, v40
	v_not_b32_e32 v54, v54
	v_xor_b32_e32 v39, v54, v39
	s_waitcnt lgkmcnt(0)
	v_add_u32_e32 v44, v50, v91
	v_lshlrev_b64 v[44:45], 3, v[44:45]
	v_add_co_u32_e32 v44, vcc, s78, v44
	v_addc_co_u32_e32 v45, vcc, v46, v45, vcc
	global_store_dwordx2 v[44:45], v[39:40], off
	s_or_b64 exec, exec, s[68:69]
	v_cmp_lt_u32_e64 s[68:69], v92, v175
	s_and_saveexec_b64 s[92:93], s[68:69]
	s_cbranch_execnz .LBB1226_776
	s_branch .LBB1226_777
.LBB1226_844:                           ;   in Loop: Header=BB1226_682 Depth=2
	global_load_dwordx2 v[37:38], v[39:40], off
	s_or_b64 exec, exec, s[92:93]
	v_cmp_lt_u32_e32 vcc, v151, v175
	s_and_saveexec_b64 s[92:93], vcc
	s_cbranch_execz .LBB1226_779
.LBB1226_845:                           ;   in Loop: Header=BB1226_682 Depth=2
	global_load_dwordx2 v[35:36], v[39:40], off offset:512
	s_or_b64 exec, exec, s[92:93]
	v_cmp_lt_u32_e32 vcc, v153, v175
	s_and_saveexec_b64 s[92:93], vcc
	s_cbranch_execz .LBB1226_780
.LBB1226_846:                           ;   in Loop: Header=BB1226_682 Depth=2
	global_load_dwordx2 v[33:34], v[39:40], off offset:1024
	s_or_b64 exec, exec, s[92:93]
	v_cmp_lt_u32_e32 vcc, v155, v175
	s_and_saveexec_b64 s[92:93], vcc
	s_cbranch_execz .LBB1226_781
.LBB1226_847:                           ;   in Loop: Header=BB1226_682 Depth=2
	global_load_dwordx2 v[29:30], v[39:40], off offset:1536
	s_or_b64 exec, exec, s[92:93]
	v_cmp_lt_u32_e32 vcc, v157, v175
	s_and_saveexec_b64 s[92:93], vcc
	s_cbranch_execz .LBB1226_782
.LBB1226_848:                           ;   in Loop: Header=BB1226_682 Depth=2
	global_load_dwordx2 v[25:26], v[39:40], off offset:2048
	s_or_b64 exec, exec, s[92:93]
	v_cmp_lt_u32_e32 vcc, v159, v175
	s_and_saveexec_b64 s[92:93], vcc
	s_cbranch_execz .LBB1226_783
.LBB1226_849:                           ;   in Loop: Header=BB1226_682 Depth=2
	global_load_dwordx2 v[21:22], v[39:40], off offset:2560
	s_or_b64 exec, exec, s[92:93]
	v_cmp_lt_u32_e32 vcc, v161, v175
	s_and_saveexec_b64 s[92:93], vcc
	s_cbranch_execz .LBB1226_784
.LBB1226_850:                           ;   in Loop: Header=BB1226_682 Depth=2
	global_load_dwordx2 v[17:18], v[39:40], off offset:3072
	s_or_b64 exec, exec, s[92:93]
	v_cmp_lt_u32_e32 vcc, v163, v175
	s_and_saveexec_b64 s[92:93], vcc
	s_cbranch_execz .LBB1226_785
.LBB1226_851:                           ;   in Loop: Header=BB1226_682 Depth=2
	global_load_dwordx2 v[13:14], v[39:40], off offset:3584
	s_or_b64 exec, exec, s[92:93]
	v_cmp_lt_u32_e32 vcc, v164, v175
	s_and_saveexec_b64 s[92:93], vcc
	s_cbranch_execz .LBB1226_786
.LBB1226_852:                           ;   in Loop: Header=BB1226_682 Depth=2
	v_add_co_u32_e32 v31, vcc, 0x1000, v39
	v_addc_co_u32_e32 v32, vcc, 0, v40, vcc
	global_load_dwordx2 v[31:32], v[31:32], off
	s_or_b64 exec, exec, s[92:93]
	v_cmp_lt_u32_e32 vcc, v165, v175
	s_and_saveexec_b64 s[92:93], vcc
	s_cbranch_execz .LBB1226_787
.LBB1226_853:                           ;   in Loop: Header=BB1226_682 Depth=2
	v_add_co_u32_e32 v27, vcc, 0x1000, v39
	v_addc_co_u32_e32 v28, vcc, 0, v40, vcc
	global_load_dwordx2 v[27:28], v[27:28], off offset:512
	s_or_b64 exec, exec, s[92:93]
	v_cmp_lt_u32_e32 vcc, v166, v175
	s_and_saveexec_b64 s[92:93], vcc
	s_cbranch_execz .LBB1226_788
.LBB1226_854:                           ;   in Loop: Header=BB1226_682 Depth=2
	v_add_co_u32_e32 v23, vcc, 0x1000, v39
	v_addc_co_u32_e32 v24, vcc, 0, v40, vcc
	global_load_dwordx2 v[23:24], v[23:24], off offset:1024
	s_or_b64 exec, exec, s[92:93]
	v_cmp_lt_u32_e32 vcc, v167, v175
	s_and_saveexec_b64 s[92:93], vcc
	s_cbranch_execz .LBB1226_789
.LBB1226_855:                           ;   in Loop: Header=BB1226_682 Depth=2
	v_add_co_u32_e32 v19, vcc, 0x1000, v39
	v_addc_co_u32_e32 v20, vcc, 0, v40, vcc
	global_load_dwordx2 v[19:20], v[19:20], off offset:1536
	s_or_b64 exec, exec, s[92:93]
	v_cmp_lt_u32_e32 vcc, v168, v175
	s_and_saveexec_b64 s[92:93], vcc
	s_cbranch_execz .LBB1226_790
.LBB1226_856:                           ;   in Loop: Header=BB1226_682 Depth=2
	v_add_co_u32_e32 v15, vcc, 0x1000, v39
	v_addc_co_u32_e32 v16, vcc, 0, v40, vcc
	global_load_dwordx2 v[15:16], v[15:16], off offset:2048
	s_or_b64 exec, exec, s[92:93]
	v_cmp_lt_u32_e32 vcc, v169, v175
	s_and_saveexec_b64 s[92:93], vcc
	s_cbranch_execz .LBB1226_791
.LBB1226_857:                           ;   in Loop: Header=BB1226_682 Depth=2
	v_add_co_u32_e32 v11, vcc, 0x1000, v39
	v_addc_co_u32_e32 v12, vcc, 0, v40, vcc
	global_load_dwordx2 v[11:12], v[11:12], off offset:2560
	s_or_b64 exec, exec, s[92:93]
	v_cmp_lt_u32_e32 vcc, v170, v175
	s_and_saveexec_b64 s[92:93], vcc
	s_cbranch_execz .LBB1226_792
.LBB1226_858:                           ;   in Loop: Header=BB1226_682 Depth=2
	v_add_co_u32_e32 v9, vcc, 0x1000, v39
	v_addc_co_u32_e32 v10, vcc, 0, v40, vcc
	global_load_dwordx2 v[9:10], v[9:10], off offset:3072
	s_or_b64 exec, exec, s[92:93]
	v_cmp_lt_u32_e32 vcc, v171, v175
	s_and_saveexec_b64 s[92:93], vcc
	s_cbranch_execz .LBB1226_793
.LBB1226_859:                           ;   in Loop: Header=BB1226_682 Depth=2
	v_add_co_u32_e32 v7, vcc, 0x1000, v39
	v_addc_co_u32_e32 v8, vcc, 0, v40, vcc
	global_load_dwordx2 v[7:8], v[7:8], off offset:3584
	s_or_b64 exec, exec, s[92:93]
	s_and_saveexec_b64 s[92:93], s[38:39]
	s_cbranch_execz .LBB1226_794
.LBB1226_860:                           ;   in Loop: Header=BB1226_682 Depth=2
	ds_read_b64 v[39:40], v106 offset:1024
	s_waitcnt lgkmcnt(0)
	v_cmp_ne_u64_e32 vcc, s[82:83], v[39:40]
	v_cndmask_b32_e32 v40, v135, v40, vcc
	v_cndmask_b32_e32 v39, 0, v39, vcc
	v_lshrrev_b64 v[39:40], s7, v[39:40]
	v_and_b32_e32 v162, s96, v39
	s_or_b64 exec, exec, s[92:93]
	s_and_saveexec_b64 s[92:93], s[40:41]
	s_cbranch_execz .LBB1226_795
.LBB1226_861:                           ;   in Loop: Header=BB1226_682 Depth=2
	ds_read_b64 v[39:40], v106 offset:3072
	s_waitcnt lgkmcnt(0)
	v_cmp_ne_u64_e32 vcc, s[82:83], v[39:40]
	v_cndmask_b32_e32 v40, v135, v40, vcc
	v_cndmask_b32_e32 v39, 0, v39, vcc
	v_lshrrev_b64 v[39:40], s7, v[39:40]
	v_and_b32_e32 v160, s96, v39
	s_or_b64 exec, exec, s[92:93]
	s_and_saveexec_b64 s[92:93], s[42:43]
	s_cbranch_execz .LBB1226_796
.LBB1226_862:                           ;   in Loop: Header=BB1226_682 Depth=2
	ds_read_b64 v[39:40], v106 offset:5120
	s_waitcnt lgkmcnt(0)
	v_cmp_ne_u64_e32 vcc, s[82:83], v[39:40]
	v_cndmask_b32_e32 v40, v135, v40, vcc
	v_cndmask_b32_e32 v39, 0, v39, vcc
	v_lshrrev_b64 v[39:40], s7, v[39:40]
	v_and_b32_e32 v158, s96, v39
	s_or_b64 exec, exec, s[92:93]
	s_and_saveexec_b64 s[92:93], s[44:45]
	s_cbranch_execz .LBB1226_797
.LBB1226_863:                           ;   in Loop: Header=BB1226_682 Depth=2
	ds_read_b64 v[39:40], v106 offset:7168
	s_waitcnt lgkmcnt(0)
	v_cmp_ne_u64_e32 vcc, s[82:83], v[39:40]
	v_cndmask_b32_e32 v40, v135, v40, vcc
	v_cndmask_b32_e32 v39, 0, v39, vcc
	v_lshrrev_b64 v[39:40], s7, v[39:40]
	v_and_b32_e32 v156, s96, v39
	s_or_b64 exec, exec, s[92:93]
	s_and_saveexec_b64 s[92:93], s[46:47]
	s_cbranch_execz .LBB1226_798
.LBB1226_864:                           ;   in Loop: Header=BB1226_682 Depth=2
	ds_read_b64 v[39:40], v106 offset:9216
	s_waitcnt lgkmcnt(0)
	v_cmp_ne_u64_e32 vcc, s[82:83], v[39:40]
	v_cndmask_b32_e32 v40, v135, v40, vcc
	v_cndmask_b32_e32 v39, 0, v39, vcc
	v_lshrrev_b64 v[39:40], s7, v[39:40]
	v_and_b32_e32 v154, s96, v39
	s_or_b64 exec, exec, s[92:93]
	s_and_saveexec_b64 s[92:93], s[48:49]
	s_cbranch_execz .LBB1226_799
.LBB1226_865:                           ;   in Loop: Header=BB1226_682 Depth=2
	ds_read_b64 v[39:40], v106 offset:11264
	s_waitcnt lgkmcnt(0)
	v_cmp_ne_u64_e32 vcc, s[82:83], v[39:40]
	v_cndmask_b32_e32 v40, v135, v40, vcc
	v_cndmask_b32_e32 v39, 0, v39, vcc
	v_lshrrev_b64 v[39:40], s7, v[39:40]
	v_and_b32_e32 v152, s96, v39
	s_or_b64 exec, exec, s[92:93]
	s_and_saveexec_b64 s[92:93], s[50:51]
	s_cbranch_execz .LBB1226_800
.LBB1226_866:                           ;   in Loop: Header=BB1226_682 Depth=2
	ds_read_b64 v[39:40], v106 offset:13312
	s_waitcnt lgkmcnt(0)
	v_cmp_ne_u64_e32 vcc, s[82:83], v[39:40]
	v_cndmask_b32_e32 v40, v135, v40, vcc
	v_cndmask_b32_e32 v39, 0, v39, vcc
	v_lshrrev_b64 v[39:40], s7, v[39:40]
	v_and_b32_e32 v150, s96, v39
	s_or_b64 exec, exec, s[92:93]
	s_and_saveexec_b64 s[92:93], s[52:53]
	s_cbranch_execz .LBB1226_801
.LBB1226_867:                           ;   in Loop: Header=BB1226_682 Depth=2
	ds_read_b64 v[39:40], v106 offset:15360
	s_waitcnt lgkmcnt(0)
	v_cmp_ne_u64_e32 vcc, s[82:83], v[39:40]
	v_cndmask_b32_e32 v40, v135, v40, vcc
	v_cndmask_b32_e32 v39, 0, v39, vcc
	v_lshrrev_b64 v[39:40], s7, v[39:40]
	v_and_b32_e32 v148, s96, v39
	s_or_b64 exec, exec, s[92:93]
	s_and_saveexec_b64 s[92:93], s[54:55]
	s_cbranch_execz .LBB1226_802
.LBB1226_868:                           ;   in Loop: Header=BB1226_682 Depth=2
	ds_read_b64 v[39:40], v106 offset:17408
	s_waitcnt lgkmcnt(0)
	v_cmp_ne_u64_e32 vcc, s[82:83], v[39:40]
	v_cndmask_b32_e32 v40, v135, v40, vcc
	v_cndmask_b32_e32 v39, 0, v39, vcc
	v_lshrrev_b64 v[39:40], s7, v[39:40]
	v_and_b32_e32 v146, s96, v39
	s_or_b64 exec, exec, s[92:93]
	s_and_saveexec_b64 s[92:93], s[56:57]
	s_cbranch_execz .LBB1226_803
.LBB1226_869:                           ;   in Loop: Header=BB1226_682 Depth=2
	ds_read_b64 v[39:40], v106 offset:19456
	s_waitcnt lgkmcnt(0)
	v_cmp_ne_u64_e32 vcc, s[82:83], v[39:40]
	v_cndmask_b32_e32 v40, v135, v40, vcc
	v_cndmask_b32_e32 v39, 0, v39, vcc
	v_lshrrev_b64 v[39:40], s7, v[39:40]
	v_and_b32_e32 v144, s96, v39
	s_or_b64 exec, exec, s[92:93]
	s_and_saveexec_b64 s[92:93], s[58:59]
	s_cbranch_execz .LBB1226_804
.LBB1226_870:                           ;   in Loop: Header=BB1226_682 Depth=2
	ds_read_b64 v[39:40], v106 offset:21504
	s_waitcnt lgkmcnt(0)
	v_cmp_ne_u64_e32 vcc, s[82:83], v[39:40]
	v_cndmask_b32_e32 v40, v135, v40, vcc
	v_cndmask_b32_e32 v39, 0, v39, vcc
	v_lshrrev_b64 v[39:40], s7, v[39:40]
	v_and_b32_e32 v143, s96, v39
	s_or_b64 exec, exec, s[92:93]
	s_and_saveexec_b64 s[92:93], s[60:61]
	s_cbranch_execz .LBB1226_805
.LBB1226_871:                           ;   in Loop: Header=BB1226_682 Depth=2
	ds_read_b64 v[39:40], v106 offset:23552
	s_waitcnt lgkmcnt(0)
	v_cmp_ne_u64_e32 vcc, s[82:83], v[39:40]
	v_cndmask_b32_e32 v40, v135, v40, vcc
	v_cndmask_b32_e32 v39, 0, v39, vcc
	v_lshrrev_b64 v[39:40], s7, v[39:40]
	v_and_b32_e32 v142, s96, v39
	s_or_b64 exec, exec, s[92:93]
	s_and_saveexec_b64 s[92:93], s[62:63]
	s_cbranch_execz .LBB1226_806
.LBB1226_872:                           ;   in Loop: Header=BB1226_682 Depth=2
	ds_read_b64 v[39:40], v106 offset:25600
	s_waitcnt lgkmcnt(0)
	v_cmp_ne_u64_e32 vcc, s[82:83], v[39:40]
	v_cndmask_b32_e32 v40, v135, v40, vcc
	v_cndmask_b32_e32 v39, 0, v39, vcc
	v_lshrrev_b64 v[39:40], s7, v[39:40]
	v_and_b32_e32 v141, s96, v39
	s_or_b64 exec, exec, s[92:93]
	s_and_saveexec_b64 s[92:93], s[64:65]
	s_cbranch_execz .LBB1226_807
.LBB1226_873:                           ;   in Loop: Header=BB1226_682 Depth=2
	ds_read_b64 v[39:40], v106 offset:27648
	s_waitcnt lgkmcnt(0)
	v_cmp_ne_u64_e32 vcc, s[82:83], v[39:40]
	v_cndmask_b32_e32 v40, v135, v40, vcc
	v_cndmask_b32_e32 v39, 0, v39, vcc
	v_lshrrev_b64 v[39:40], s7, v[39:40]
	v_and_b32_e32 v140, s96, v39
	s_or_b64 exec, exec, s[92:93]
	s_and_saveexec_b64 s[92:93], s[66:67]
	s_cbranch_execz .LBB1226_808
.LBB1226_874:                           ;   in Loop: Header=BB1226_682 Depth=2
	ds_read_b64 v[39:40], v106 offset:29696
	s_waitcnt lgkmcnt(0)
	v_cmp_ne_u64_e32 vcc, s[82:83], v[39:40]
	v_cndmask_b32_e32 v40, v135, v40, vcc
	v_cndmask_b32_e32 v39, 0, v39, vcc
	v_lshrrev_b64 v[39:40], s7, v[39:40]
	v_and_b32_e32 v139, s96, v39
	s_or_b64 exec, exec, s[92:93]
	s_and_saveexec_b64 s[92:93], s[68:69]
	s_cbranch_execnz .LBB1226_809
	s_branch .LBB1226_810
.LBB1226_875:                           ;   in Loop: Header=BB1226_682 Depth=2
	v_lshlrev_b32_e32 v39, 2, v162
	ds_read_b32 v41, v39
	ds_read_b64 v[39:40], v106 offset:1024
	v_mov_b32_e32 v42, v3
	v_mov_b32_e32 v43, s85
	s_waitcnt lgkmcnt(1)
	v_add_u32_e32 v41, v41, v0
	v_lshlrev_b64 v[41:42], 3, v[41:42]
	v_add_co_u32_e32 v41, vcc, s84, v41
	v_addc_co_u32_e32 v42, vcc, v43, v42, vcc
	s_waitcnt lgkmcnt(0)
	global_store_dwordx2 v[41:42], v[39:40], off
	s_or_b64 exec, exec, s[92:93]
	s_and_saveexec_b64 s[38:39], s[40:41]
	s_cbranch_execz .LBB1226_812
.LBB1226_876:                           ;   in Loop: Header=BB1226_682 Depth=2
	v_lshlrev_b32_e32 v39, 2, v160
	ds_read_b32 v41, v39
	ds_read_b64 v[39:40], v106 offset:3072
	v_mov_b32_e32 v42, v3
	v_mov_b32_e32 v43, s85
	s_waitcnt lgkmcnt(1)
	v_add_u32_e32 v41, v41, v76
	v_lshlrev_b64 v[41:42], 3, v[41:42]
	v_add_co_u32_e32 v41, vcc, s84, v41
	v_addc_co_u32_e32 v42, vcc, v43, v42, vcc
	s_waitcnt lgkmcnt(0)
	global_store_dwordx2 v[41:42], v[39:40], off
	s_or_b64 exec, exec, s[38:39]
	s_and_saveexec_b64 s[38:39], s[42:43]
	s_cbranch_execz .LBB1226_813
.LBB1226_877:                           ;   in Loop: Header=BB1226_682 Depth=2
	v_lshlrev_b32_e32 v39, 2, v158
	ds_read_b32 v41, v39
	ds_read_b64 v[39:40], v106 offset:5120
	v_mov_b32_e32 v42, v3
	v_mov_b32_e32 v43, s85
	s_waitcnt lgkmcnt(1)
	v_add_u32_e32 v41, v41, v77
	v_lshlrev_b64 v[41:42], 3, v[41:42]
	v_add_co_u32_e32 v41, vcc, s84, v41
	v_addc_co_u32_e32 v42, vcc, v43, v42, vcc
	s_waitcnt lgkmcnt(0)
	global_store_dwordx2 v[41:42], v[39:40], off
	s_or_b64 exec, exec, s[38:39]
	s_and_saveexec_b64 s[38:39], s[44:45]
	s_cbranch_execz .LBB1226_814
.LBB1226_878:                           ;   in Loop: Header=BB1226_682 Depth=2
	v_lshlrev_b32_e32 v39, 2, v156
	ds_read_b32 v41, v39
	ds_read_b64 v[39:40], v106 offset:7168
	v_mov_b32_e32 v42, v3
	v_mov_b32_e32 v43, s85
	s_waitcnt lgkmcnt(1)
	v_add_u32_e32 v41, v41, v78
	v_lshlrev_b64 v[41:42], 3, v[41:42]
	v_add_co_u32_e32 v41, vcc, s84, v41
	v_addc_co_u32_e32 v42, vcc, v43, v42, vcc
	s_waitcnt lgkmcnt(0)
	global_store_dwordx2 v[41:42], v[39:40], off
	s_or_b64 exec, exec, s[38:39]
	s_and_saveexec_b64 s[38:39], s[46:47]
	s_cbranch_execz .LBB1226_815
.LBB1226_879:                           ;   in Loop: Header=BB1226_682 Depth=2
	v_lshlrev_b32_e32 v39, 2, v154
	ds_read_b32 v41, v39
	ds_read_b64 v[39:40], v106 offset:9216
	v_mov_b32_e32 v42, v3
	v_mov_b32_e32 v43, s85
	s_waitcnt lgkmcnt(1)
	v_add_u32_e32 v41, v41, v81
	v_lshlrev_b64 v[41:42], 3, v[41:42]
	v_add_co_u32_e32 v41, vcc, s84, v41
	v_addc_co_u32_e32 v42, vcc, v43, v42, vcc
	s_waitcnt lgkmcnt(0)
	global_store_dwordx2 v[41:42], v[39:40], off
	s_or_b64 exec, exec, s[38:39]
	s_and_saveexec_b64 s[38:39], s[48:49]
	s_cbranch_execz .LBB1226_816
.LBB1226_880:                           ;   in Loop: Header=BB1226_682 Depth=2
	v_lshlrev_b32_e32 v39, 2, v152
	ds_read_b32 v41, v39
	ds_read_b64 v[39:40], v106 offset:11264
	v_mov_b32_e32 v42, v3
	v_mov_b32_e32 v43, s85
	s_waitcnt lgkmcnt(1)
	v_add_u32_e32 v41, v41, v82
	v_lshlrev_b64 v[41:42], 3, v[41:42]
	v_add_co_u32_e32 v41, vcc, s84, v41
	v_addc_co_u32_e32 v42, vcc, v43, v42, vcc
	s_waitcnt lgkmcnt(0)
	global_store_dwordx2 v[41:42], v[39:40], off
	s_or_b64 exec, exec, s[38:39]
	s_and_saveexec_b64 s[38:39], s[50:51]
	s_cbranch_execz .LBB1226_817
.LBB1226_881:                           ;   in Loop: Header=BB1226_682 Depth=2
	v_lshlrev_b32_e32 v39, 2, v150
	ds_read_b32 v41, v39
	ds_read_b64 v[39:40], v106 offset:13312
	v_mov_b32_e32 v42, v3
	v_mov_b32_e32 v43, s85
	s_waitcnt lgkmcnt(1)
	v_add_u32_e32 v41, v41, v83
	v_lshlrev_b64 v[41:42], 3, v[41:42]
	v_add_co_u32_e32 v41, vcc, s84, v41
	v_addc_co_u32_e32 v42, vcc, v43, v42, vcc
	s_waitcnt lgkmcnt(0)
	global_store_dwordx2 v[41:42], v[39:40], off
	s_or_b64 exec, exec, s[38:39]
	s_and_saveexec_b64 s[38:39], s[52:53]
	s_cbranch_execz .LBB1226_818
.LBB1226_882:                           ;   in Loop: Header=BB1226_682 Depth=2
	v_lshlrev_b32_e32 v39, 2, v148
	ds_read_b32 v41, v39
	ds_read_b64 v[39:40], v106 offset:15360
	v_mov_b32_e32 v42, v3
	v_mov_b32_e32 v43, s85
	s_waitcnt lgkmcnt(1)
	v_add_u32_e32 v41, v41, v84
	v_lshlrev_b64 v[41:42], 3, v[41:42]
	v_add_co_u32_e32 v41, vcc, s84, v41
	v_addc_co_u32_e32 v42, vcc, v43, v42, vcc
	s_waitcnt lgkmcnt(0)
	global_store_dwordx2 v[41:42], v[39:40], off
	s_or_b64 exec, exec, s[38:39]
	s_and_saveexec_b64 s[38:39], s[54:55]
	s_cbranch_execz .LBB1226_819
.LBB1226_883:                           ;   in Loop: Header=BB1226_682 Depth=2
	v_lshlrev_b32_e32 v39, 2, v146
	ds_read_b32 v41, v39
	ds_read_b64 v[39:40], v106 offset:17408
	v_mov_b32_e32 v42, v3
	v_mov_b32_e32 v43, s85
	s_waitcnt lgkmcnt(1)
	v_add_u32_e32 v41, v41, v85
	v_lshlrev_b64 v[41:42], 3, v[41:42]
	v_add_co_u32_e32 v41, vcc, s84, v41
	v_addc_co_u32_e32 v42, vcc, v43, v42, vcc
	s_waitcnt lgkmcnt(0)
	global_store_dwordx2 v[41:42], v[39:40], off
	s_or_b64 exec, exec, s[38:39]
	s_and_saveexec_b64 s[38:39], s[56:57]
	s_cbranch_execz .LBB1226_820
.LBB1226_884:                           ;   in Loop: Header=BB1226_682 Depth=2
	v_lshlrev_b32_e32 v39, 2, v144
	ds_read_b32 v41, v39
	ds_read_b64 v[39:40], v106 offset:19456
	v_mov_b32_e32 v42, v3
	v_mov_b32_e32 v43, s85
	s_waitcnt lgkmcnt(1)
	v_add_u32_e32 v41, v41, v86
	v_lshlrev_b64 v[41:42], 3, v[41:42]
	v_add_co_u32_e32 v41, vcc, s84, v41
	v_addc_co_u32_e32 v42, vcc, v43, v42, vcc
	s_waitcnt lgkmcnt(0)
	global_store_dwordx2 v[41:42], v[39:40], off
	s_or_b64 exec, exec, s[38:39]
	s_and_saveexec_b64 s[38:39], s[58:59]
	s_cbranch_execz .LBB1226_821
.LBB1226_885:                           ;   in Loop: Header=BB1226_682 Depth=2
	v_lshlrev_b32_e32 v39, 2, v143
	ds_read_b32 v41, v39
	ds_read_b64 v[39:40], v106 offset:21504
	v_mov_b32_e32 v42, v3
	v_mov_b32_e32 v43, s85
	s_waitcnt lgkmcnt(1)
	v_add_u32_e32 v41, v41, v87
	v_lshlrev_b64 v[41:42], 3, v[41:42]
	v_add_co_u32_e32 v41, vcc, s84, v41
	v_addc_co_u32_e32 v42, vcc, v43, v42, vcc
	s_waitcnt lgkmcnt(0)
	global_store_dwordx2 v[41:42], v[39:40], off
	s_or_b64 exec, exec, s[38:39]
	s_and_saveexec_b64 s[38:39], s[60:61]
	s_cbranch_execz .LBB1226_822
.LBB1226_886:                           ;   in Loop: Header=BB1226_682 Depth=2
	v_lshlrev_b32_e32 v39, 2, v142
	ds_read_b32 v41, v39
	ds_read_b64 v[39:40], v106 offset:23552
	v_mov_b32_e32 v42, v3
	v_mov_b32_e32 v43, s85
	s_waitcnt lgkmcnt(1)
	v_add_u32_e32 v41, v41, v88
	v_lshlrev_b64 v[41:42], 3, v[41:42]
	v_add_co_u32_e32 v41, vcc, s84, v41
	v_addc_co_u32_e32 v42, vcc, v43, v42, vcc
	s_waitcnt lgkmcnt(0)
	global_store_dwordx2 v[41:42], v[39:40], off
	s_or_b64 exec, exec, s[38:39]
	s_and_saveexec_b64 s[38:39], s[62:63]
	s_cbranch_execz .LBB1226_823
.LBB1226_887:                           ;   in Loop: Header=BB1226_682 Depth=2
	v_lshlrev_b32_e32 v39, 2, v141
	ds_read_b32 v41, v39
	ds_read_b64 v[39:40], v106 offset:25600
	v_mov_b32_e32 v42, v3
	v_mov_b32_e32 v43, s85
	s_waitcnt lgkmcnt(1)
	v_add_u32_e32 v41, v41, v89
	v_lshlrev_b64 v[41:42], 3, v[41:42]
	v_add_co_u32_e32 v41, vcc, s84, v41
	v_addc_co_u32_e32 v42, vcc, v43, v42, vcc
	s_waitcnt lgkmcnt(0)
	global_store_dwordx2 v[41:42], v[39:40], off
	s_or_b64 exec, exec, s[38:39]
	s_and_saveexec_b64 s[38:39], s[64:65]
	s_cbranch_execz .LBB1226_824
.LBB1226_888:                           ;   in Loop: Header=BB1226_682 Depth=2
	v_lshlrev_b32_e32 v39, 2, v140
	ds_read_b32 v41, v39
	ds_read_b64 v[39:40], v106 offset:27648
	v_mov_b32_e32 v42, v3
	v_mov_b32_e32 v43, s85
	s_waitcnt lgkmcnt(1)
	v_add_u32_e32 v41, v41, v90
	v_lshlrev_b64 v[41:42], 3, v[41:42]
	v_add_co_u32_e32 v41, vcc, s84, v41
	v_addc_co_u32_e32 v42, vcc, v43, v42, vcc
	s_waitcnt lgkmcnt(0)
	global_store_dwordx2 v[41:42], v[39:40], off
	s_or_b64 exec, exec, s[38:39]
	s_and_saveexec_b64 s[38:39], s[66:67]
	s_cbranch_execz .LBB1226_825
.LBB1226_889:                           ;   in Loop: Header=BB1226_682 Depth=2
	v_lshlrev_b32_e32 v39, 2, v139
	ds_read_b32 v41, v39
	ds_read_b64 v[39:40], v106 offset:29696
	v_mov_b32_e32 v42, v3
	v_mov_b32_e32 v43, s85
	s_waitcnt lgkmcnt(1)
	v_add_u32_e32 v41, v41, v91
	v_lshlrev_b64 v[41:42], 3, v[41:42]
	v_add_co_u32_e32 v41, vcc, s84, v41
	v_addc_co_u32_e32 v42, vcc, v43, v42, vcc
	s_waitcnt lgkmcnt(0)
	global_store_dwordx2 v[41:42], v[39:40], off
	s_or_b64 exec, exec, s[38:39]
	s_and_saveexec_b64 s[38:39], s[68:69]
	s_cbranch_execnz .LBB1226_826
	s_branch .LBB1226_827
.LBB1226_890:                           ;   in Loop: Header=BB1226_12 Depth=1
	s_waitcnt lgkmcnt(0)
	s_barrier
	s_mov_b64 s[18:19], 0
.LBB1226_891:                           ;   in Loop: Header=BB1226_12 Depth=1
	s_and_b64 vcc, exec, s[18:19]
	s_cbranch_vccz .LBB1226_11
; %bb.892:                              ;   in Loop: Header=BB1226_12 Depth=1
	s_mov_b32 s22, s91
	s_mov_b32 s72, s94
	s_barrier
                                        ; implicit-def: $vgpr7_vgpr8
                                        ; implicit-def: $vgpr9_vgpr10
                                        ; implicit-def: $vgpr11_vgpr12
                                        ; implicit-def: $vgpr13_vgpr14
                                        ; implicit-def: $vgpr15_vgpr16
                                        ; implicit-def: $vgpr17_vgpr18
                                        ; implicit-def: $vgpr19_vgpr20
                                        ; implicit-def: $vgpr21_vgpr22
                                        ; implicit-def: $vgpr23_vgpr24
                                        ; implicit-def: $vgpr25_vgpr26
                                        ; implicit-def: $vgpr27_vgpr28
                                        ; implicit-def: $vgpr29_vgpr30
                                        ; implicit-def: $vgpr31_vgpr32
                                        ; implicit-def: $vgpr33_vgpr34
                                        ; implicit-def: $vgpr35_vgpr36
                                        ; implicit-def: $vgpr37_vgpr38
	s_branch .LBB1226_894
.LBB1226_893:                           ;   in Loop: Header=BB1226_894 Depth=2
	s_or_b64 exec, exec, s[18:19]
	s_addk_i32 s22, 0xf000
	s_cmp_ge_u32 s23, s95
	s_mov_b32 s72, s23
	s_cbranch_scc1 .LBB1226_962
.LBB1226_894:                           ;   Parent Loop BB1226_12 Depth=1
                                        ; =>  This Inner Loop Header: Depth=2
	s_add_i32 s23, s72, 0x1000
	s_cmp_gt_u32 s23, s95
	s_mov_b64 s[18:19], -1
                                        ; implicit-def: $vgpr39_vgpr40
                                        ; implicit-def: $vgpr41_vgpr42
                                        ; implicit-def: $vgpr43_vgpr44
                                        ; implicit-def: $vgpr45_vgpr46
                                        ; implicit-def: $vgpr47_vgpr48
                                        ; implicit-def: $vgpr49_vgpr50
                                        ; implicit-def: $vgpr51_vgpr52
                                        ; implicit-def: $vgpr53_vgpr54
                                        ; implicit-def: $vgpr55_vgpr56
                                        ; implicit-def: $vgpr57_vgpr58
                                        ; implicit-def: $vgpr59_vgpr60
                                        ; implicit-def: $vgpr61_vgpr62
                                        ; implicit-def: $vgpr63_vgpr64
                                        ; implicit-def: $vgpr65_vgpr66
                                        ; implicit-def: $vgpr67_vgpr68
                                        ; implicit-def: $vgpr69_vgpr70
	s_cbranch_scc1 .LBB1226_896
; %bb.895:                              ;   in Loop: Header=BB1226_894 Depth=2
	s_lshl_b64 s[18:19], s[72:73], 3
	v_mov_b32_e32 v4, s19
	v_add_co_u32_e32 v63, vcc, s18, v113
	v_addc_co_u32_e32 v64, vcc, v114, v4, vcc
	v_add_co_u32_e32 v47, vcc, 0x1000, v63
	v_addc_co_u32_e32 v48, vcc, 0, v64, vcc
	;; [unrolled: 2-line block ×6, first 2 shown]
	global_load_dwordx2 v[39:40], v[63:64], off
	global_load_dwordx2 v[41:42], v[63:64], off offset:2048
	global_load_dwordx2 v[43:44], v[47:48], off
	global_load_dwordx2 v[45:46], v[47:48], off offset:2048
	s_nop 0
	global_load_dwordx2 v[47:48], v[55:56], off
	global_load_dwordx2 v[49:50], v[55:56], off offset:2048
	global_load_dwordx2 v[51:52], v[57:58], off
	global_load_dwordx2 v[53:54], v[57:58], off offset:2048
	s_nop 0
	global_load_dwordx2 v[55:56], v[61:62], off
	global_load_dwordx2 v[57:58], v[61:62], off offset:2048
	global_load_dwordx2 v[59:60], v[65:66], off
                                        ; kill: killed $vgpr61 killed $vgpr62
	s_nop 0
	global_load_dwordx2 v[61:62], v[65:66], off offset:2048
	v_add_co_u32_e32 v65, vcc, 0x6000, v63
	v_addc_co_u32_e32 v66, vcc, 0, v64, vcc
	v_add_co_u32_e32 v69, vcc, 0x7000, v63
	v_addc_co_u32_e32 v70, vcc, 0, v64, vcc
	global_load_dwordx2 v[63:64], v[65:66], off
	s_nop 0
	global_load_dwordx2 v[65:66], v[65:66], off offset:2048
	s_nop 0
	global_load_dwordx2 v[67:68], v[69:70], off
	s_nop 0
	global_load_dwordx2 v[69:70], v[69:70], off offset:2048
	s_mov_b64 s[18:19], 0
.LBB1226_896:                           ;   in Loop: Header=BB1226_894 Depth=2
	s_andn2_b64 vcc, exec, s[18:19]
	s_movk_i32 s20, 0x1000
	s_cbranch_vccnz .LBB1226_915
; %bb.897:                              ;   in Loop: Header=BB1226_894 Depth=2
	s_lshl_b64 s[18:19], s[72:73], 3
	s_add_u32 s18, s76, s18
	s_addc_u32 s19, s77, s19
	v_cmp_gt_u32_e32 vcc, s22, v0
	s_and_saveexec_b64 s[20:21], vcc
	s_cbranch_execnz .LBB1226_947
; %bb.898:                              ;   in Loop: Header=BB1226_894 Depth=2
	s_or_b64 exec, exec, s[20:21]
	v_cmp_gt_u32_e32 vcc, s22, v76
	s_and_saveexec_b64 s[20:21], vcc
	s_cbranch_execnz .LBB1226_948
.LBB1226_899:                           ;   in Loop: Header=BB1226_894 Depth=2
	s_or_b64 exec, exec, s[20:21]
	v_cmp_gt_u32_e32 vcc, s22, v77
	s_and_saveexec_b64 s[20:21], vcc
	s_cbranch_execnz .LBB1226_949
.LBB1226_900:                           ;   in Loop: Header=BB1226_894 Depth=2
	s_or_b64 exec, exec, s[20:21]
	v_cmp_gt_u32_e32 vcc, s22, v78
	s_and_saveexec_b64 s[20:21], vcc
	s_cbranch_execnz .LBB1226_950
.LBB1226_901:                           ;   in Loop: Header=BB1226_894 Depth=2
	s_or_b64 exec, exec, s[20:21]
	v_cmp_gt_u32_e32 vcc, s22, v81
	s_and_saveexec_b64 s[20:21], vcc
	s_cbranch_execnz .LBB1226_951
.LBB1226_902:                           ;   in Loop: Header=BB1226_894 Depth=2
	s_or_b64 exec, exec, s[20:21]
	v_cmp_gt_u32_e32 vcc, s22, v82
	s_and_saveexec_b64 s[20:21], vcc
	s_cbranch_execnz .LBB1226_952
.LBB1226_903:                           ;   in Loop: Header=BB1226_894 Depth=2
	s_or_b64 exec, exec, s[20:21]
	v_cmp_gt_u32_e32 vcc, s22, v83
	s_and_saveexec_b64 s[20:21], vcc
	s_cbranch_execnz .LBB1226_953
.LBB1226_904:                           ;   in Loop: Header=BB1226_894 Depth=2
	s_or_b64 exec, exec, s[20:21]
	v_cmp_gt_u32_e32 vcc, s22, v84
	s_and_saveexec_b64 s[20:21], vcc
	s_cbranch_execnz .LBB1226_954
.LBB1226_905:                           ;   in Loop: Header=BB1226_894 Depth=2
	s_or_b64 exec, exec, s[20:21]
	v_cmp_gt_u32_e32 vcc, s22, v85
	s_and_saveexec_b64 s[20:21], vcc
	s_cbranch_execnz .LBB1226_955
.LBB1226_906:                           ;   in Loop: Header=BB1226_894 Depth=2
	s_or_b64 exec, exec, s[20:21]
	v_cmp_gt_u32_e32 vcc, s22, v86
	s_and_saveexec_b64 s[20:21], vcc
	s_cbranch_execnz .LBB1226_956
.LBB1226_907:                           ;   in Loop: Header=BB1226_894 Depth=2
	s_or_b64 exec, exec, s[20:21]
	v_cmp_gt_u32_e32 vcc, s22, v87
	s_and_saveexec_b64 s[20:21], vcc
	s_cbranch_execnz .LBB1226_957
.LBB1226_908:                           ;   in Loop: Header=BB1226_894 Depth=2
	s_or_b64 exec, exec, s[20:21]
	v_cmp_gt_u32_e32 vcc, s22, v88
	s_and_saveexec_b64 s[20:21], vcc
	s_cbranch_execnz .LBB1226_958
.LBB1226_909:                           ;   in Loop: Header=BB1226_894 Depth=2
	s_or_b64 exec, exec, s[20:21]
	v_cmp_gt_u32_e32 vcc, s22, v89
	s_and_saveexec_b64 s[20:21], vcc
	s_cbranch_execnz .LBB1226_959
.LBB1226_910:                           ;   in Loop: Header=BB1226_894 Depth=2
	s_or_b64 exec, exec, s[20:21]
	v_cmp_gt_u32_e32 vcc, s22, v90
	s_and_saveexec_b64 s[20:21], vcc
	s_cbranch_execnz .LBB1226_960
.LBB1226_911:                           ;   in Loop: Header=BB1226_894 Depth=2
	s_or_b64 exec, exec, s[20:21]
	v_cmp_gt_u32_e32 vcc, s22, v91
	s_and_saveexec_b64 s[20:21], vcc
	s_cbranch_execnz .LBB1226_961
.LBB1226_912:                           ;   in Loop: Header=BB1226_894 Depth=2
	s_or_b64 exec, exec, s[20:21]
	v_cmp_gt_u32_e32 vcc, s22, v92
	s_and_saveexec_b64 s[20:21], vcc
	s_cbranch_execz .LBB1226_914
.LBB1226_913:                           ;   in Loop: Header=BB1226_894 Depth=2
	global_load_dwordx2 v[7:8], v134, s[18:19]
.LBB1226_914:                           ;   in Loop: Header=BB1226_894 Depth=2
	s_or_b64 exec, exec, s[20:21]
	s_waitcnt vmcnt(0)
	v_mov_b32_e32 v40, v38
	v_mov_b32_e32 v42, v36
	;; [unrolled: 1-line block ×16, first 2 shown]
	s_mov_b32 s20, s22
	v_mov_b32_e32 v39, v37
	v_mov_b32_e32 v41, v35
	;; [unrolled: 1-line block ×16, first 2 shown]
.LBB1226_915:                           ;   in Loop: Header=BB1226_894 Depth=2
	s_waitcnt vmcnt(0)
	v_mov_b32_e32 v7, v69
	v_mov_b32_e32 v9, v67
	;; [unrolled: 1-line block ×32, first 2 shown]
	v_cmp_gt_u32_e32 vcc, s20, v0
	s_and_saveexec_b64 s[18:19], vcc
	s_cbranch_execnz .LBB1226_931
; %bb.916:                              ;   in Loop: Header=BB1226_894 Depth=2
	s_or_b64 exec, exec, s[18:19]
	v_cmp_gt_u32_e32 vcc, s20, v76
	s_and_saveexec_b64 s[18:19], vcc
	s_cbranch_execnz .LBB1226_932
.LBB1226_917:                           ;   in Loop: Header=BB1226_894 Depth=2
	s_or_b64 exec, exec, s[18:19]
	v_cmp_gt_u32_e32 vcc, s20, v77
	s_and_saveexec_b64 s[18:19], vcc
	s_cbranch_execnz .LBB1226_933
.LBB1226_918:                           ;   in Loop: Header=BB1226_894 Depth=2
	s_or_b64 exec, exec, s[18:19]
	v_cmp_gt_u32_e32 vcc, s20, v78
	s_and_saveexec_b64 s[18:19], vcc
	s_cbranch_execnz .LBB1226_934
.LBB1226_919:                           ;   in Loop: Header=BB1226_894 Depth=2
	s_or_b64 exec, exec, s[18:19]
	v_cmp_gt_u32_e32 vcc, s20, v81
	s_and_saveexec_b64 s[18:19], vcc
	s_cbranch_execnz .LBB1226_935
.LBB1226_920:                           ;   in Loop: Header=BB1226_894 Depth=2
	s_or_b64 exec, exec, s[18:19]
	v_cmp_gt_u32_e32 vcc, s20, v82
	s_and_saveexec_b64 s[18:19], vcc
	s_cbranch_execnz .LBB1226_936
.LBB1226_921:                           ;   in Loop: Header=BB1226_894 Depth=2
	s_or_b64 exec, exec, s[18:19]
	v_cmp_gt_u32_e32 vcc, s20, v83
	s_and_saveexec_b64 s[18:19], vcc
	s_cbranch_execnz .LBB1226_937
.LBB1226_922:                           ;   in Loop: Header=BB1226_894 Depth=2
	s_or_b64 exec, exec, s[18:19]
	v_cmp_gt_u32_e32 vcc, s20, v84
	s_and_saveexec_b64 s[18:19], vcc
	s_cbranch_execnz .LBB1226_938
.LBB1226_923:                           ;   in Loop: Header=BB1226_894 Depth=2
	s_or_b64 exec, exec, s[18:19]
	v_cmp_gt_u32_e32 vcc, s20, v85
	s_and_saveexec_b64 s[18:19], vcc
	s_cbranch_execnz .LBB1226_939
.LBB1226_924:                           ;   in Loop: Header=BB1226_894 Depth=2
	s_or_b64 exec, exec, s[18:19]
	v_cmp_gt_u32_e32 vcc, s20, v86
	s_and_saveexec_b64 s[18:19], vcc
	s_cbranch_execnz .LBB1226_940
.LBB1226_925:                           ;   in Loop: Header=BB1226_894 Depth=2
	s_or_b64 exec, exec, s[18:19]
	v_cmp_gt_u32_e32 vcc, s20, v87
	s_and_saveexec_b64 s[18:19], vcc
	s_cbranch_execnz .LBB1226_941
.LBB1226_926:                           ;   in Loop: Header=BB1226_894 Depth=2
	s_or_b64 exec, exec, s[18:19]
	v_cmp_gt_u32_e32 vcc, s20, v88
	s_and_saveexec_b64 s[18:19], vcc
	s_cbranch_execnz .LBB1226_942
.LBB1226_927:                           ;   in Loop: Header=BB1226_894 Depth=2
	s_or_b64 exec, exec, s[18:19]
	v_cmp_gt_u32_e32 vcc, s20, v89
	s_and_saveexec_b64 s[18:19], vcc
	s_cbranch_execnz .LBB1226_943
.LBB1226_928:                           ;   in Loop: Header=BB1226_894 Depth=2
	s_or_b64 exec, exec, s[18:19]
	v_cmp_gt_u32_e32 vcc, s20, v90
	s_and_saveexec_b64 s[18:19], vcc
	s_cbranch_execnz .LBB1226_944
.LBB1226_929:                           ;   in Loop: Header=BB1226_894 Depth=2
	s_or_b64 exec, exec, s[18:19]
	v_cmp_gt_u32_e32 vcc, s20, v91
	s_and_saveexec_b64 s[18:19], vcc
	s_cbranch_execnz .LBB1226_945
.LBB1226_930:                           ;   in Loop: Header=BB1226_894 Depth=2
	s_or_b64 exec, exec, s[18:19]
	v_cmp_gt_u32_e32 vcc, s20, v92
	s_and_saveexec_b64 s[18:19], vcc
	s_cbranch_execz .LBB1226_893
	s_branch .LBB1226_946
.LBB1226_931:                           ;   in Loop: Header=BB1226_894 Depth=2
	v_cmp_lt_i64_e32 vcc, -1, v[37:38]
	v_ashrrev_i32_e32 v39, 31, v38
	v_cndmask_b32_e32 v4, -1, v135, vcc
	v_xor_b32_e32 v40, v4, v38
	v_xor_b32_e32 v39, v39, v37
	v_cmp_ne_u64_e32 vcc, s[82:83], v[39:40]
	v_cndmask_b32_e32 v40, v135, v40, vcc
	v_cndmask_b32_e32 v39, 0, v39, vcc
	v_lshrrev_b64 v[39:40], s7, v[39:40]
	v_and_b32_e32 v4, s96, v39
	v_lshl_or_b32 v4, v4, 4, v93
	ds_add_u32 v4, v119
	s_or_b64 exec, exec, s[18:19]
	v_cmp_gt_u32_e32 vcc, s20, v76
	s_and_saveexec_b64 s[18:19], vcc
	s_cbranch_execz .LBB1226_917
.LBB1226_932:                           ;   in Loop: Header=BB1226_894 Depth=2
	v_cmp_lt_i64_e32 vcc, -1, v[35:36]
	v_ashrrev_i32_e32 v39, 31, v36
	v_cndmask_b32_e32 v4, -1, v135, vcc
	v_xor_b32_e32 v40, v4, v36
	v_xor_b32_e32 v39, v39, v35
	v_cmp_ne_u64_e32 vcc, s[82:83], v[39:40]
	v_cndmask_b32_e32 v40, v135, v40, vcc
	v_cndmask_b32_e32 v39, 0, v39, vcc
	v_lshrrev_b64 v[39:40], s7, v[39:40]
	v_and_b32_e32 v4, s96, v39
	v_lshl_or_b32 v4, v4, 4, v93
	ds_add_u32 v4, v119
	s_or_b64 exec, exec, s[18:19]
	v_cmp_gt_u32_e32 vcc, s20, v77
	s_and_saveexec_b64 s[18:19], vcc
	s_cbranch_execz .LBB1226_918
.LBB1226_933:                           ;   in Loop: Header=BB1226_894 Depth=2
	v_cmp_lt_i64_e32 vcc, -1, v[33:34]
	v_ashrrev_i32_e32 v39, 31, v34
	v_cndmask_b32_e32 v4, -1, v135, vcc
	v_xor_b32_e32 v40, v4, v34
	v_xor_b32_e32 v39, v39, v33
	v_cmp_ne_u64_e32 vcc, s[82:83], v[39:40]
	v_cndmask_b32_e32 v40, v135, v40, vcc
	v_cndmask_b32_e32 v39, 0, v39, vcc
	v_lshrrev_b64 v[39:40], s7, v[39:40]
	v_and_b32_e32 v4, s96, v39
	v_lshl_or_b32 v4, v4, 4, v93
	ds_add_u32 v4, v119
	s_or_b64 exec, exec, s[18:19]
	v_cmp_gt_u32_e32 vcc, s20, v78
	s_and_saveexec_b64 s[18:19], vcc
	s_cbranch_execz .LBB1226_919
.LBB1226_934:                           ;   in Loop: Header=BB1226_894 Depth=2
	v_cmp_lt_i64_e32 vcc, -1, v[31:32]
	v_ashrrev_i32_e32 v39, 31, v32
	v_cndmask_b32_e32 v4, -1, v135, vcc
	v_xor_b32_e32 v40, v4, v32
	v_xor_b32_e32 v39, v39, v31
	v_cmp_ne_u64_e32 vcc, s[82:83], v[39:40]
	v_cndmask_b32_e32 v40, v135, v40, vcc
	v_cndmask_b32_e32 v39, 0, v39, vcc
	v_lshrrev_b64 v[39:40], s7, v[39:40]
	v_and_b32_e32 v4, s96, v39
	v_lshl_or_b32 v4, v4, 4, v93
	ds_add_u32 v4, v119
	s_or_b64 exec, exec, s[18:19]
	v_cmp_gt_u32_e32 vcc, s20, v81
	s_and_saveexec_b64 s[18:19], vcc
	s_cbranch_execz .LBB1226_920
.LBB1226_935:                           ;   in Loop: Header=BB1226_894 Depth=2
	v_cmp_lt_i64_e32 vcc, -1, v[29:30]
	v_ashrrev_i32_e32 v39, 31, v30
	v_cndmask_b32_e32 v4, -1, v135, vcc
	v_xor_b32_e32 v40, v4, v30
	v_xor_b32_e32 v39, v39, v29
	v_cmp_ne_u64_e32 vcc, s[82:83], v[39:40]
	v_cndmask_b32_e32 v40, v135, v40, vcc
	v_cndmask_b32_e32 v39, 0, v39, vcc
	v_lshrrev_b64 v[39:40], s7, v[39:40]
	v_and_b32_e32 v4, s96, v39
	v_lshl_or_b32 v4, v4, 4, v93
	ds_add_u32 v4, v119
	s_or_b64 exec, exec, s[18:19]
	v_cmp_gt_u32_e32 vcc, s20, v82
	s_and_saveexec_b64 s[18:19], vcc
	s_cbranch_execz .LBB1226_921
.LBB1226_936:                           ;   in Loop: Header=BB1226_894 Depth=2
	v_cmp_lt_i64_e32 vcc, -1, v[27:28]
	v_ashrrev_i32_e32 v39, 31, v28
	v_cndmask_b32_e32 v4, -1, v135, vcc
	v_xor_b32_e32 v40, v4, v28
	v_xor_b32_e32 v39, v39, v27
	v_cmp_ne_u64_e32 vcc, s[82:83], v[39:40]
	v_cndmask_b32_e32 v40, v135, v40, vcc
	v_cndmask_b32_e32 v39, 0, v39, vcc
	v_lshrrev_b64 v[39:40], s7, v[39:40]
	v_and_b32_e32 v4, s96, v39
	v_lshl_or_b32 v4, v4, 4, v93
	ds_add_u32 v4, v119
	s_or_b64 exec, exec, s[18:19]
	v_cmp_gt_u32_e32 vcc, s20, v83
	s_and_saveexec_b64 s[18:19], vcc
	s_cbranch_execz .LBB1226_922
.LBB1226_937:                           ;   in Loop: Header=BB1226_894 Depth=2
	v_cmp_lt_i64_e32 vcc, -1, v[25:26]
	v_ashrrev_i32_e32 v39, 31, v26
	v_cndmask_b32_e32 v4, -1, v135, vcc
	v_xor_b32_e32 v40, v4, v26
	v_xor_b32_e32 v39, v39, v25
	v_cmp_ne_u64_e32 vcc, s[82:83], v[39:40]
	v_cndmask_b32_e32 v40, v135, v40, vcc
	v_cndmask_b32_e32 v39, 0, v39, vcc
	v_lshrrev_b64 v[39:40], s7, v[39:40]
	v_and_b32_e32 v4, s96, v39
	v_lshl_or_b32 v4, v4, 4, v93
	ds_add_u32 v4, v119
	s_or_b64 exec, exec, s[18:19]
	v_cmp_gt_u32_e32 vcc, s20, v84
	s_and_saveexec_b64 s[18:19], vcc
	s_cbranch_execz .LBB1226_923
.LBB1226_938:                           ;   in Loop: Header=BB1226_894 Depth=2
	v_cmp_lt_i64_e32 vcc, -1, v[23:24]
	v_ashrrev_i32_e32 v39, 31, v24
	v_cndmask_b32_e32 v4, -1, v135, vcc
	v_xor_b32_e32 v40, v4, v24
	v_xor_b32_e32 v39, v39, v23
	v_cmp_ne_u64_e32 vcc, s[82:83], v[39:40]
	v_cndmask_b32_e32 v40, v135, v40, vcc
	v_cndmask_b32_e32 v39, 0, v39, vcc
	v_lshrrev_b64 v[39:40], s7, v[39:40]
	v_and_b32_e32 v4, s96, v39
	v_lshl_or_b32 v4, v4, 4, v93
	ds_add_u32 v4, v119
	s_or_b64 exec, exec, s[18:19]
	v_cmp_gt_u32_e32 vcc, s20, v85
	s_and_saveexec_b64 s[18:19], vcc
	s_cbranch_execz .LBB1226_924
.LBB1226_939:                           ;   in Loop: Header=BB1226_894 Depth=2
	v_cmp_lt_i64_e32 vcc, -1, v[21:22]
	v_ashrrev_i32_e32 v39, 31, v22
	v_cndmask_b32_e32 v4, -1, v135, vcc
	v_xor_b32_e32 v40, v4, v22
	v_xor_b32_e32 v39, v39, v21
	v_cmp_ne_u64_e32 vcc, s[82:83], v[39:40]
	v_cndmask_b32_e32 v40, v135, v40, vcc
	v_cndmask_b32_e32 v39, 0, v39, vcc
	v_lshrrev_b64 v[39:40], s7, v[39:40]
	v_and_b32_e32 v4, s96, v39
	v_lshl_or_b32 v4, v4, 4, v93
	ds_add_u32 v4, v119
	s_or_b64 exec, exec, s[18:19]
	v_cmp_gt_u32_e32 vcc, s20, v86
	s_and_saveexec_b64 s[18:19], vcc
	s_cbranch_execz .LBB1226_925
.LBB1226_940:                           ;   in Loop: Header=BB1226_894 Depth=2
	v_cmp_lt_i64_e32 vcc, -1, v[19:20]
	v_ashrrev_i32_e32 v39, 31, v20
	v_cndmask_b32_e32 v4, -1, v135, vcc
	v_xor_b32_e32 v40, v4, v20
	v_xor_b32_e32 v39, v39, v19
	v_cmp_ne_u64_e32 vcc, s[82:83], v[39:40]
	v_cndmask_b32_e32 v40, v135, v40, vcc
	v_cndmask_b32_e32 v39, 0, v39, vcc
	v_lshrrev_b64 v[39:40], s7, v[39:40]
	v_and_b32_e32 v4, s96, v39
	v_lshl_or_b32 v4, v4, 4, v93
	ds_add_u32 v4, v119
	s_or_b64 exec, exec, s[18:19]
	v_cmp_gt_u32_e32 vcc, s20, v87
	s_and_saveexec_b64 s[18:19], vcc
	s_cbranch_execz .LBB1226_926
.LBB1226_941:                           ;   in Loop: Header=BB1226_894 Depth=2
	v_cmp_lt_i64_e32 vcc, -1, v[17:18]
	v_ashrrev_i32_e32 v39, 31, v18
	v_cndmask_b32_e32 v4, -1, v135, vcc
	v_xor_b32_e32 v40, v4, v18
	v_xor_b32_e32 v39, v39, v17
	v_cmp_ne_u64_e32 vcc, s[82:83], v[39:40]
	v_cndmask_b32_e32 v40, v135, v40, vcc
	v_cndmask_b32_e32 v39, 0, v39, vcc
	v_lshrrev_b64 v[39:40], s7, v[39:40]
	v_and_b32_e32 v4, s96, v39
	v_lshl_or_b32 v4, v4, 4, v93
	ds_add_u32 v4, v119
	s_or_b64 exec, exec, s[18:19]
	v_cmp_gt_u32_e32 vcc, s20, v88
	s_and_saveexec_b64 s[18:19], vcc
	s_cbranch_execz .LBB1226_927
.LBB1226_942:                           ;   in Loop: Header=BB1226_894 Depth=2
	v_cmp_lt_i64_e32 vcc, -1, v[15:16]
	v_ashrrev_i32_e32 v39, 31, v16
	v_cndmask_b32_e32 v4, -1, v135, vcc
	v_xor_b32_e32 v40, v4, v16
	v_xor_b32_e32 v39, v39, v15
	v_cmp_ne_u64_e32 vcc, s[82:83], v[39:40]
	v_cndmask_b32_e32 v40, v135, v40, vcc
	v_cndmask_b32_e32 v39, 0, v39, vcc
	v_lshrrev_b64 v[39:40], s7, v[39:40]
	v_and_b32_e32 v4, s96, v39
	v_lshl_or_b32 v4, v4, 4, v93
	ds_add_u32 v4, v119
	s_or_b64 exec, exec, s[18:19]
	v_cmp_gt_u32_e32 vcc, s20, v89
	s_and_saveexec_b64 s[18:19], vcc
	s_cbranch_execz .LBB1226_928
.LBB1226_943:                           ;   in Loop: Header=BB1226_894 Depth=2
	v_cmp_lt_i64_e32 vcc, -1, v[13:14]
	v_ashrrev_i32_e32 v39, 31, v14
	v_cndmask_b32_e32 v4, -1, v135, vcc
	v_xor_b32_e32 v40, v4, v14
	v_xor_b32_e32 v39, v39, v13
	v_cmp_ne_u64_e32 vcc, s[82:83], v[39:40]
	v_cndmask_b32_e32 v40, v135, v40, vcc
	v_cndmask_b32_e32 v39, 0, v39, vcc
	v_lshrrev_b64 v[39:40], s7, v[39:40]
	v_and_b32_e32 v4, s96, v39
	v_lshl_or_b32 v4, v4, 4, v93
	ds_add_u32 v4, v119
	s_or_b64 exec, exec, s[18:19]
	v_cmp_gt_u32_e32 vcc, s20, v90
	s_and_saveexec_b64 s[18:19], vcc
	s_cbranch_execz .LBB1226_929
.LBB1226_944:                           ;   in Loop: Header=BB1226_894 Depth=2
	v_cmp_lt_i64_e32 vcc, -1, v[11:12]
	v_ashrrev_i32_e32 v39, 31, v12
	v_cndmask_b32_e32 v4, -1, v135, vcc
	v_xor_b32_e32 v40, v4, v12
	v_xor_b32_e32 v39, v39, v11
	v_cmp_ne_u64_e32 vcc, s[82:83], v[39:40]
	v_cndmask_b32_e32 v40, v135, v40, vcc
	v_cndmask_b32_e32 v39, 0, v39, vcc
	v_lshrrev_b64 v[39:40], s7, v[39:40]
	v_and_b32_e32 v4, s96, v39
	v_lshl_or_b32 v4, v4, 4, v93
	ds_add_u32 v4, v119
	s_or_b64 exec, exec, s[18:19]
	v_cmp_gt_u32_e32 vcc, s20, v91
	s_and_saveexec_b64 s[18:19], vcc
	s_cbranch_execz .LBB1226_930
.LBB1226_945:                           ;   in Loop: Header=BB1226_894 Depth=2
	v_cmp_lt_i64_e32 vcc, -1, v[9:10]
	v_ashrrev_i32_e32 v39, 31, v10
	v_cndmask_b32_e32 v4, -1, v135, vcc
	v_xor_b32_e32 v40, v4, v10
	v_xor_b32_e32 v39, v39, v9
	v_cmp_ne_u64_e32 vcc, s[82:83], v[39:40]
	v_cndmask_b32_e32 v40, v135, v40, vcc
	v_cndmask_b32_e32 v39, 0, v39, vcc
	v_lshrrev_b64 v[39:40], s7, v[39:40]
	v_and_b32_e32 v4, s96, v39
	v_lshl_or_b32 v4, v4, 4, v93
	ds_add_u32 v4, v119
	s_or_b64 exec, exec, s[18:19]
	v_cmp_gt_u32_e32 vcc, s20, v92
	s_and_saveexec_b64 s[18:19], vcc
	s_cbranch_execz .LBB1226_893
.LBB1226_946:                           ;   in Loop: Header=BB1226_894 Depth=2
	v_cmp_lt_i64_e32 vcc, -1, v[7:8]
	v_ashrrev_i32_e32 v39, 31, v8
	v_cndmask_b32_e32 v4, -1, v135, vcc
	v_xor_b32_e32 v40, v4, v8
	v_xor_b32_e32 v39, v39, v7
	v_cmp_ne_u64_e32 vcc, s[82:83], v[39:40]
	v_cndmask_b32_e32 v40, v135, v40, vcc
	v_cndmask_b32_e32 v39, 0, v39, vcc
	v_lshrrev_b64 v[39:40], s7, v[39:40]
	v_and_b32_e32 v4, s96, v39
	v_lshl_or_b32 v4, v4, 4, v93
	ds_add_u32 v4, v119
	s_branch .LBB1226_893
.LBB1226_947:                           ;   in Loop: Header=BB1226_894 Depth=2
	global_load_dwordx2 v[37:38], v120, s[18:19]
	s_or_b64 exec, exec, s[20:21]
	v_cmp_gt_u32_e32 vcc, s22, v76
	s_and_saveexec_b64 s[20:21], vcc
	s_cbranch_execz .LBB1226_899
.LBB1226_948:                           ;   in Loop: Header=BB1226_894 Depth=2
	global_load_dwordx2 v[35:36], v120, s[18:19] offset:2048
	s_or_b64 exec, exec, s[20:21]
	v_cmp_gt_u32_e32 vcc, s22, v77
	s_and_saveexec_b64 s[20:21], vcc
	s_cbranch_execz .LBB1226_900
.LBB1226_949:                           ;   in Loop: Header=BB1226_894 Depth=2
	global_load_dwordx2 v[33:34], v121, s[18:19]
	s_or_b64 exec, exec, s[20:21]
	v_cmp_gt_u32_e32 vcc, s22, v78
	s_and_saveexec_b64 s[20:21], vcc
	s_cbranch_execz .LBB1226_901
.LBB1226_950:                           ;   in Loop: Header=BB1226_894 Depth=2
	global_load_dwordx2 v[31:32], v122, s[18:19]
	s_or_b64 exec, exec, s[20:21]
	v_cmp_gt_u32_e32 vcc, s22, v81
	s_and_saveexec_b64 s[20:21], vcc
	s_cbranch_execz .LBB1226_902
.LBB1226_951:                           ;   in Loop: Header=BB1226_894 Depth=2
	global_load_dwordx2 v[29:30], v123, s[18:19]
	s_or_b64 exec, exec, s[20:21]
	v_cmp_gt_u32_e32 vcc, s22, v82
	s_and_saveexec_b64 s[20:21], vcc
	s_cbranch_execz .LBB1226_903
.LBB1226_952:                           ;   in Loop: Header=BB1226_894 Depth=2
	global_load_dwordx2 v[27:28], v124, s[18:19]
	s_or_b64 exec, exec, s[20:21]
	v_cmp_gt_u32_e32 vcc, s22, v83
	s_and_saveexec_b64 s[20:21], vcc
	s_cbranch_execz .LBB1226_904
.LBB1226_953:                           ;   in Loop: Header=BB1226_894 Depth=2
	global_load_dwordx2 v[25:26], v125, s[18:19]
	s_or_b64 exec, exec, s[20:21]
	v_cmp_gt_u32_e32 vcc, s22, v84
	s_and_saveexec_b64 s[20:21], vcc
	s_cbranch_execz .LBB1226_905
.LBB1226_954:                           ;   in Loop: Header=BB1226_894 Depth=2
	global_load_dwordx2 v[23:24], v126, s[18:19]
	s_or_b64 exec, exec, s[20:21]
	v_cmp_gt_u32_e32 vcc, s22, v85
	s_and_saveexec_b64 s[20:21], vcc
	s_cbranch_execz .LBB1226_906
.LBB1226_955:                           ;   in Loop: Header=BB1226_894 Depth=2
	global_load_dwordx2 v[21:22], v127, s[18:19]
	s_or_b64 exec, exec, s[20:21]
	v_cmp_gt_u32_e32 vcc, s22, v86
	s_and_saveexec_b64 s[20:21], vcc
	s_cbranch_execz .LBB1226_907
.LBB1226_956:                           ;   in Loop: Header=BB1226_894 Depth=2
	global_load_dwordx2 v[19:20], v128, s[18:19]
	s_or_b64 exec, exec, s[20:21]
	v_cmp_gt_u32_e32 vcc, s22, v87
	s_and_saveexec_b64 s[20:21], vcc
	s_cbranch_execz .LBB1226_908
.LBB1226_957:                           ;   in Loop: Header=BB1226_894 Depth=2
	global_load_dwordx2 v[17:18], v129, s[18:19]
	s_or_b64 exec, exec, s[20:21]
	v_cmp_gt_u32_e32 vcc, s22, v88
	s_and_saveexec_b64 s[20:21], vcc
	s_cbranch_execz .LBB1226_909
.LBB1226_958:                           ;   in Loop: Header=BB1226_894 Depth=2
	global_load_dwordx2 v[15:16], v130, s[18:19]
	s_or_b64 exec, exec, s[20:21]
	v_cmp_gt_u32_e32 vcc, s22, v89
	s_and_saveexec_b64 s[20:21], vcc
	s_cbranch_execz .LBB1226_910
.LBB1226_959:                           ;   in Loop: Header=BB1226_894 Depth=2
	global_load_dwordx2 v[13:14], v131, s[18:19]
	s_or_b64 exec, exec, s[20:21]
	v_cmp_gt_u32_e32 vcc, s22, v90
	s_and_saveexec_b64 s[20:21], vcc
	s_cbranch_execz .LBB1226_911
.LBB1226_960:                           ;   in Loop: Header=BB1226_894 Depth=2
	global_load_dwordx2 v[11:12], v132, s[18:19]
	s_or_b64 exec, exec, s[20:21]
	v_cmp_gt_u32_e32 vcc, s22, v91
	s_and_saveexec_b64 s[20:21], vcc
	s_cbranch_execz .LBB1226_912
.LBB1226_961:                           ;   in Loop: Header=BB1226_894 Depth=2
	global_load_dwordx2 v[9:10], v133, s[18:19]
	s_or_b64 exec, exec, s[20:21]
	v_cmp_gt_u32_e32 vcc, s22, v92
	s_and_saveexec_b64 s[20:21], vcc
	s_cbranch_execnz .LBB1226_913
	s_branch .LBB1226_914
.LBB1226_962:                           ;   in Loop: Header=BB1226_12 Depth=1
	v_mov_b32_e32 v4, 0
	s_waitcnt lgkmcnt(0)
	s_barrier
	s_and_saveexec_b64 s[18:19], s[4:5]
	s_cbranch_execz .LBB1226_964
; %bb.963:                              ;   in Loop: Header=BB1226_12 Depth=1
	ds_read2_b64 v[7:10], v94 offset1:1
	s_waitcnt lgkmcnt(0)
	v_add_u32_e32 v4, v8, v7
	v_add3_u32 v4, v4, v9, v10
.LBB1226_964:                           ;   in Loop: Header=BB1226_12 Depth=1
	s_or_b64 exec, exec, s[18:19]
	v_and_b32_e32 v7, 15, v136
	v_mov_b32_dpp v8, v4 row_shr:1 row_mask:0xf bank_mask:0xf
	v_cmp_eq_u32_e64 s[18:19], 0, v7
	v_cndmask_b32_e64 v8, v8, 0, s[18:19]
	v_add_u32_e32 v4, v8, v4
	v_cmp_lt_u32_e64 s[20:21], 1, v7
	v_cmp_lt_u32_e64 s[22:23], 3, v7
	v_mov_b32_dpp v8, v4 row_shr:2 row_mask:0xf bank_mask:0xf
	v_cndmask_b32_e64 v8, 0, v8, s[20:21]
	v_add_u32_e32 v4, v4, v8
	v_cmp_lt_u32_e64 s[24:25], 7, v7
	v_cmp_lt_u32_e64 s[28:29], 31, v136
	v_mov_b32_dpp v8, v4 row_shr:4 row_mask:0xf bank_mask:0xf
	v_cndmask_b32_e64 v8, 0, v8, s[22:23]
	v_add_u32_e32 v4, v4, v8
	v_and_b32_e32 v9, 16, v136
	v_cmp_eq_u32_e64 s[26:27], 0, v9
	v_mov_b32_dpp v8, v4 row_shr:8 row_mask:0xf bank_mask:0xf
	v_cndmask_b32_e64 v7, 0, v8, s[24:25]
	v_add_u32_e32 v4, v4, v7
	v_bfe_i32 v8, v136, 4, 1
	s_nop 0
	v_mov_b32_dpp v7, v4 row_bcast:15 row_mask:0xf bank_mask:0xf
	v_and_b32_e32 v7, v8, v7
	v_add_u32_e32 v4, v4, v7
	s_nop 1
	v_mov_b32_dpp v7, v4 row_bcast:31 row_mask:0xf bank_mask:0xf
	v_cndmask_b32_e64 v7, 0, v7, s[28:29]
	v_add_u32_e32 v7, v4, v7
	s_and_saveexec_b64 s[30:31], s[8:9]
; %bb.965:                              ;   in Loop: Header=BB1226_12 Depth=1
	ds_write_b32 v96, v7
; %bb.966:                              ;   in Loop: Header=BB1226_12 Depth=1
	s_or_b64 exec, exec, s[30:31]
	v_and_b32_e32 v4, 3, v136
	s_waitcnt lgkmcnt(0)
	s_barrier
	s_and_saveexec_b64 s[30:31], s[10:11]
	s_cbranch_execz .LBB1226_968
; %bb.967:                              ;   in Loop: Header=BB1226_12 Depth=1
	ds_read_b32 v8, v97
	v_cmp_ne_u32_e32 vcc, 0, v4
	s_waitcnt lgkmcnt(0)
	v_mov_b32_dpp v9, v8 row_shr:1 row_mask:0xf bank_mask:0xf
	v_cndmask_b32_e32 v9, 0, v9, vcc
	v_add_u32_e32 v8, v9, v8
	v_cmp_lt_u32_e32 vcc, 1, v4
	s_nop 0
	v_mov_b32_dpp v9, v8 row_shr:2 row_mask:0xf bank_mask:0xf
	v_cndmask_b32_e32 v9, 0, v9, vcc
	v_add_u32_e32 v8, v8, v9
	ds_write_b32 v97, v8
.LBB1226_968:                           ;   in Loop: Header=BB1226_12 Depth=1
	s_or_b64 exec, exec, s[30:31]
	v_mov_b32_e32 v8, 0
	s_waitcnt lgkmcnt(0)
	s_barrier
	s_and_saveexec_b64 s[30:31], s[12:13]
; %bb.969:                              ;   in Loop: Header=BB1226_12 Depth=1
	ds_read_b32 v8, v98
; %bb.970:                              ;   in Loop: Header=BB1226_12 Depth=1
	s_or_b64 exec, exec, s[30:31]
	v_subrev_co_u32_e64 v9, s[30:31], 1, v136
	v_and_b32_e32 v10, 64, v136
	v_cmp_lt_i32_e32 vcc, v9, v10
	v_cndmask_b32_e32 v9, v9, v136, vcc
	s_waitcnt lgkmcnt(0)
	v_add_u32_e32 v7, v8, v7
	v_lshlrev_b32_e32 v137, 2, v9
	ds_bpermute_b32 v7, v137, v7
	s_waitcnt lgkmcnt(0)
	s_barrier
	s_and_saveexec_b64 s[34:35], s[4:5]
; %bb.971:                              ;   in Loop: Header=BB1226_12 Depth=1
	v_cndmask_b32_e64 v7, v7, v8, s[30:31]
	v_add_u32_e32 v7, s94, v7
	ds_write_b32 v75, v7
; %bb.972:                              ;   in Loop: Header=BB1226_12 Depth=1
	s_or_b64 exec, exec, s[34:35]
	s_load_dwordx2 s[34:35], s[74:75], 0x0
	s_mov_b32 s97, s91
	s_mov_b32 s72, s94
                                        ; implicit-def: $vgpr7_vgpr8
                                        ; implicit-def: $vgpr9_vgpr10
                                        ; implicit-def: $vgpr11_vgpr12
                                        ; implicit-def: $vgpr15_vgpr16
                                        ; implicit-def: $vgpr19_vgpr20
                                        ; implicit-def: $vgpr23_vgpr24
                                        ; implicit-def: $vgpr27_vgpr28
                                        ; implicit-def: $vgpr31_vgpr32
                                        ; implicit-def: $vgpr13_vgpr14
                                        ; implicit-def: $vgpr17_vgpr18
                                        ; implicit-def: $vgpr21_vgpr22
                                        ; implicit-def: $vgpr25_vgpr26
                                        ; implicit-def: $vgpr29_vgpr30
                                        ; implicit-def: $vgpr33_vgpr34
                                        ; implicit-def: $vgpr35_vgpr36
                                        ; implicit-def: $vgpr37_vgpr38
                                        ; implicit-def: $vgpr138
                                        ; implicit-def: $vgpr139
                                        ; implicit-def: $vgpr140
                                        ; implicit-def: $vgpr141
                                        ; implicit-def: $vgpr142
                                        ; implicit-def: $vgpr143
                                        ; implicit-def: $vgpr144
                                        ; implicit-def: $vgpr146
                                        ; implicit-def: $vgpr148
                                        ; implicit-def: $vgpr150
                                        ; implicit-def: $vgpr152
                                        ; implicit-def: $vgpr154
                                        ; implicit-def: $vgpr156
                                        ; implicit-def: $vgpr158
                                        ; implicit-def: $vgpr160
                                        ; implicit-def: $vgpr162
	s_waitcnt lgkmcnt(0)
	s_cmp_lt_u32 s33, s35
	s_cselect_b32 s35, 14, 20
	s_add_u32 s36, s74, s35
	s_addc_u32 s37, s75, 0
	s_cmp_lt_u32 s6, s34
	s_cselect_b32 s34, 12, 18
	s_add_u32 s34, s74, s34
	global_load_ushort v39, v3, s[36:37]
	s_addc_u32 s35, s75, 0
	global_load_ushort v40, v3, s[34:35]
	v_cmp_eq_u32_e64 s[34:35], 0, v4
	v_cmp_lt_u32_e64 s[36:37], 1, v4
	v_and_b32_e32 v4, 63, v136
	v_lshlrev_b32_e32 v41, 3, v4
	v_or_b32_e32 v145, v4, v99
	v_add_co_u32_e32 v147, vcc, v115, v41
	v_addc_co_u32_e32 v149, vcc, 0, v116, vcc
	v_add_co_u32_e32 v172, vcc, v117, v41
	v_or_b32_e32 v151, 64, v145
	v_or_b32_e32 v153, 0x80, v145
	;; [unrolled: 1-line block ×15, first 2 shown]
	v_addc_co_u32_e32 v173, vcc, 0, v118, vcc
	s_waitcnt vmcnt(1)
	v_mad_u32_u24 v4, v2, v39, v1
	s_waitcnt vmcnt(0)
	v_mad_u64_u32 v[39:40], s[38:39], v4, v40, v[0:1]
	v_lshrrev_b32_e32 v4, 4, v39
	v_and_b32_e32 v174, 0xffffffc, v4
	s_branch .LBB1226_974
.LBB1226_973:                           ;   in Loop: Header=BB1226_974 Depth=2
	s_or_b64 exec, exec, s[38:39]
	s_addk_i32 s97, 0xf000
	s_cmp_lt_u32 s98, s95
	s_mov_b32 s72, s98
	s_cbranch_scc0 .LBB1226_10
.LBB1226_974:                           ;   Parent Loop BB1226_12 Depth=1
                                        ; =>  This Inner Loop Header: Depth=2
	s_add_i32 s98, s72, 0x1000
	s_cmp_gt_u32 s98, s95
	s_cbranch_scc1 .LBB1226_976
; %bb.975:                              ;   in Loop: Header=BB1226_974 Depth=2
	s_lshl_b64 s[38:39], s[72:73], 3
	v_mov_b32_e32 v4, s39
	v_add_co_u32_e32 v43, vcc, s38, v172
	v_addc_co_u32_e32 v44, vcc, v173, v4, vcc
	global_load_dwordx2 v[39:40], v[43:44], off
	global_load_dwordx2 v[41:42], v[43:44], off offset:512
	global_load_dwordx2 v[47:48], v[43:44], off offset:1024
	;; [unrolled: 1-line block ×7, first 2 shown]
	v_add_co_u32_e32 v43, vcc, 0x1000, v43
	v_addc_co_u32_e32 v44, vcc, 0, v44, vcc
	global_load_dwordx2 v[69:70], v[43:44], off
	global_load_dwordx2 v[65:66], v[43:44], off offset:512
	global_load_dwordx2 v[61:62], v[43:44], off offset:1024
	global_load_dwordx2 v[57:58], v[43:44], off offset:1536
	global_load_dwordx2 v[53:54], v[43:44], off offset:2048
	global_load_dwordx2 v[49:50], v[43:44], off offset:2560
	s_nop 0
	global_load_dwordx2 v[43:44], v[43:44], off offset:3072
	s_mov_b64 s[38:39], -1
	s_movk_i32 s42, 0x1000
	s_cbranch_execz .LBB1226_977
	s_branch .LBB1226_1008
.LBB1226_976:                           ;   in Loop: Header=BB1226_974 Depth=2
	s_mov_b64 s[38:39], 0
                                        ; implicit-def: $vgpr39_vgpr40
                                        ; implicit-def: $vgpr41_vgpr42
                                        ; implicit-def: $vgpr47_vgpr48
                                        ; implicit-def: $vgpr51_vgpr52
                                        ; implicit-def: $vgpr55_vgpr56
                                        ; implicit-def: $vgpr59_vgpr60
                                        ; implicit-def: $vgpr63_vgpr64
                                        ; implicit-def: $vgpr67_vgpr68
                                        ; implicit-def: $vgpr69_vgpr70
                                        ; implicit-def: $vgpr65_vgpr66
                                        ; implicit-def: $vgpr61_vgpr62
                                        ; implicit-def: $vgpr57_vgpr58
                                        ; implicit-def: $vgpr53_vgpr54
                                        ; implicit-def: $vgpr49_vgpr50
                                        ; implicit-def: $vgpr43_vgpr44
	s_movk_i32 s42, 0x1000
.LBB1226_977:                           ;   in Loop: Header=BB1226_974 Depth=2
	s_lshl_b64 s[38:39], s[72:73], 3
	v_mov_b32_e32 v4, s39
	v_add_co_u32_e32 v45, vcc, s38, v172
	s_waitcnt vmcnt(13)
	v_mov_b32_e32 v41, v5
	v_addc_co_u32_e32 v46, vcc, v173, v4, vcc
	v_mov_b32_e32 v42, v6
	v_mov_b32_e32 v39, v41
	v_cmp_gt_u32_e32 vcc, s97, v145
	v_mov_b32_e32 v40, v42
	s_and_saveexec_b64 s[38:39], vcc
	s_cbranch_execz .LBB1226_979
; %bb.978:                              ;   in Loop: Header=BB1226_974 Depth=2
	global_load_dwordx2 v[39:40], v[45:46], off
.LBB1226_979:                           ;   in Loop: Header=BB1226_974 Depth=2
	s_or_b64 exec, exec, s[38:39]
	v_cmp_gt_u32_e32 vcc, s97, v151
	s_and_saveexec_b64 s[38:39], vcc
	s_cbranch_execz .LBB1226_981
; %bb.980:                              ;   in Loop: Header=BB1226_974 Depth=2
	global_load_dwordx2 v[41:42], v[45:46], off offset:512
.LBB1226_981:                           ;   in Loop: Header=BB1226_974 Depth=2
	s_or_b64 exec, exec, s[38:39]
	s_waitcnt vmcnt(12)
	v_mov_b32_e32 v48, v6
	v_cmp_gt_u32_e32 vcc, s97, v153
	v_mov_b32_e32 v47, v5
	s_and_saveexec_b64 s[38:39], vcc
	s_cbranch_execz .LBB1226_983
; %bb.982:                              ;   in Loop: Header=BB1226_974 Depth=2
	global_load_dwordx2 v[47:48], v[45:46], off offset:1024
.LBB1226_983:                           ;   in Loop: Header=BB1226_974 Depth=2
	s_or_b64 exec, exec, s[38:39]
	s_waitcnt vmcnt(11)
	v_mov_b32_e32 v52, v6
	v_cmp_gt_u32_e32 vcc, s97, v155
	v_mov_b32_e32 v51, v5
	;; [unrolled: 10-line block ×7, first 2 shown]
	s_and_saveexec_b64 s[38:39], vcc
	s_cbranch_execz .LBB1226_995
; %bb.994:                              ;   in Loop: Header=BB1226_974 Depth=2
	s_waitcnt vmcnt(0)
	v_add_co_u32_e32 v43, vcc, 0x1000, v45
	v_addc_co_u32_e32 v44, vcc, 0, v46, vcc
	global_load_dwordx2 v[69:70], v[43:44], off
.LBB1226_995:                           ;   in Loop: Header=BB1226_974 Depth=2
	s_or_b64 exec, exec, s[38:39]
	s_waitcnt vmcnt(5)
	v_mov_b32_e32 v66, v6
	v_cmp_gt_u32_e32 vcc, s97, v165
	v_mov_b32_e32 v65, v5
	s_and_saveexec_b64 s[38:39], vcc
	s_cbranch_execz .LBB1226_997
; %bb.996:                              ;   in Loop: Header=BB1226_974 Depth=2
	s_waitcnt vmcnt(0)
	v_add_co_u32_e32 v43, vcc, 0x1000, v45
	v_addc_co_u32_e32 v44, vcc, 0, v46, vcc
	global_load_dwordx2 v[65:66], v[43:44], off offset:512
.LBB1226_997:                           ;   in Loop: Header=BB1226_974 Depth=2
	s_or_b64 exec, exec, s[38:39]
	s_waitcnt vmcnt(4)
	v_mov_b32_e32 v62, v6
	v_cmp_gt_u32_e32 vcc, s97, v166
	v_mov_b32_e32 v61, v5
	s_and_saveexec_b64 s[38:39], vcc
	s_cbranch_execz .LBB1226_999
; %bb.998:                              ;   in Loop: Header=BB1226_974 Depth=2
	s_waitcnt vmcnt(0)
	v_add_co_u32_e32 v43, vcc, 0x1000, v45
	v_addc_co_u32_e32 v44, vcc, 0, v46, vcc
	global_load_dwordx2 v[61:62], v[43:44], off offset:1024
.LBB1226_999:                           ;   in Loop: Header=BB1226_974 Depth=2
	s_or_b64 exec, exec, s[38:39]
	s_waitcnt vmcnt(3)
	v_mov_b32_e32 v58, v6
	v_cmp_gt_u32_e32 vcc, s97, v167
	v_mov_b32_e32 v57, v5
	s_and_saveexec_b64 s[38:39], vcc
	s_cbranch_execz .LBB1226_1001
; %bb.1000:                             ;   in Loop: Header=BB1226_974 Depth=2
	s_waitcnt vmcnt(0)
	v_add_co_u32_e32 v43, vcc, 0x1000, v45
	v_addc_co_u32_e32 v44, vcc, 0, v46, vcc
	global_load_dwordx2 v[57:58], v[43:44], off offset:1536
.LBB1226_1001:                          ;   in Loop: Header=BB1226_974 Depth=2
	s_or_b64 exec, exec, s[38:39]
	s_waitcnt vmcnt(2)
	v_mov_b32_e32 v54, v6
	v_cmp_gt_u32_e32 vcc, s97, v168
	v_mov_b32_e32 v53, v5
	s_and_saveexec_b64 s[38:39], vcc
	s_cbranch_execz .LBB1226_1003
; %bb.1002:                             ;   in Loop: Header=BB1226_974 Depth=2
	s_waitcnt vmcnt(0)
	v_add_co_u32_e32 v43, vcc, 0x1000, v45
	v_addc_co_u32_e32 v44, vcc, 0, v46, vcc
	global_load_dwordx2 v[53:54], v[43:44], off offset:2048
.LBB1226_1003:                          ;   in Loop: Header=BB1226_974 Depth=2
	;; [unrolled: 13-line block ×3, first 2 shown]
	s_or_b64 exec, exec, s[38:39]
	s_waitcnt vmcnt(0)
	v_mov_b32_e32 v44, v6
	v_cmp_gt_u32_e32 vcc, s97, v170
	v_mov_b32_e32 v43, v5
	s_and_saveexec_b64 s[38:39], vcc
	s_cbranch_execz .LBB1226_1007
; %bb.1006:                             ;   in Loop: Header=BB1226_974 Depth=2
	v_add_co_u32_e32 v43, vcc, 0x1000, v45
	v_addc_co_u32_e32 v44, vcc, 0, v46, vcc
	global_load_dwordx2 v[43:44], v[43:44], off offset:3072
.LBB1226_1007:                          ;   in Loop: Header=BB1226_974 Depth=2
	s_or_b64 exec, exec, s[38:39]
	s_sub_i32 s42, s95, s72
	v_cmp_gt_u32_e64 s[38:39], s97, v171
.LBB1226_1008:                          ;   in Loop: Header=BB1226_974 Depth=2
	v_mov_b32_e32 v46, v6
	v_mov_b32_e32 v175, s97
	;; [unrolled: 1-line block ×3, first 2 shown]
	s_and_saveexec_b64 s[40:41], s[38:39]
	s_cbranch_execz .LBB1226_1010
; %bb.1009:                             ;   in Loop: Header=BB1226_974 Depth=2
	s_lshl_b64 s[38:39], s[72:73], 3
	v_mov_b32_e32 v4, s39
	v_add_co_u32_e32 v45, vcc, s38, v172
	v_addc_co_u32_e32 v4, vcc, v173, v4, vcc
	v_add_co_u32_e32 v45, vcc, 0x1000, v45
	v_addc_co_u32_e32 v46, vcc, 0, v4, vcc
	global_load_dwordx2 v[45:46], v[45:46], off offset:3584
	v_mov_b32_e32 v175, s42
.LBB1226_1010:                          ;   in Loop: Header=BB1226_974 Depth=2
	s_or_b64 exec, exec, s[40:41]
	s_waitcnt vmcnt(14)
	v_cmp_lt_i64_e32 vcc, -1, v[39:40]
	v_ashrrev_i32_e32 v71, 31, v40
	v_cndmask_b32_e32 v4, -1, v135, vcc
	v_xor_b32_e32 v40, v4, v40
	v_xor_b32_e32 v39, v71, v39
	v_cmp_ne_u64_e32 vcc, s[82:83], v[39:40]
	v_add_u32_e32 v177, 0x410, v100
	v_cndmask_b32_e32 v72, v135, v40, vcc
	v_cndmask_b32_e32 v71, 0, v39, vcc
	v_lshrrev_b64 v[71:72], s7, v[71:72]
	v_add_u32_e32 v176, 0x418, v100
	v_and_b32_e32 v71, s96, v71
	v_and_b32_e32 v4, 1, v71
	v_add_co_u32_e32 v72, vcc, -1, v4
	v_addc_co_u32_e64 v74, s[38:39], 0, -1, vcc
	v_cmp_ne_u32_e32 vcc, 0, v4
	v_xor_b32_e32 v4, vcc_hi, v74
	v_and_b32_e32 v74, exec_hi, v4
	v_lshlrev_b32_e32 v4, 30, v71
	v_xor_b32_e32 v72, vcc_lo, v72
	v_cmp_gt_i64_e32 vcc, 0, v[3:4]
	v_not_b32_e32 v4, v4
	v_ashrrev_i32_e32 v4, 31, v4
	v_and_b32_e32 v72, exec_lo, v72
	v_xor_b32_e32 v178, vcc_hi, v4
	v_xor_b32_e32 v4, vcc_lo, v4
	v_and_b32_e32 v72, v72, v4
	v_lshlrev_b32_e32 v4, 29, v71
	v_cmp_gt_i64_e32 vcc, 0, v[3:4]
	v_not_b32_e32 v4, v4
	v_ashrrev_i32_e32 v4, 31, v4
	v_and_b32_e32 v74, v74, v178
	v_xor_b32_e32 v178, vcc_hi, v4
	v_xor_b32_e32 v4, vcc_lo, v4
	v_and_b32_e32 v72, v72, v4
	v_lshlrev_b32_e32 v4, 28, v71
	v_cmp_gt_i64_e32 vcc, 0, v[3:4]
	v_not_b32_e32 v4, v4
	v_ashrrev_i32_e32 v4, 31, v4
	v_and_b32_e32 v74, v74, v178
	;; [unrolled: 8-line block ×5, first 2 shown]
	v_xor_b32_e32 v178, vcc_hi, v4
	v_xor_b32_e32 v4, vcc_lo, v4
	v_and_b32_e32 v74, v74, v178
	v_and_b32_e32 v178, v72, v4
	v_lshlrev_b32_e32 v4, 24, v71
	v_cmp_gt_i64_e32 vcc, 0, v[3:4]
	v_not_b32_e32 v4, v4
	v_ashrrev_i32_e32 v4, 31, v4
	v_mul_u32_u24_e32 v73, 20, v71
	v_xor_b32_e32 v71, vcc_hi, v4
	v_xor_b32_e32 v4, vcc_lo, v4
	v_and_b32_e32 v72, v74, v71
	v_and_b32_e32 v71, v178, v4
	v_mbcnt_lo_u32_b32 v4, v71, 0
	v_mbcnt_hi_u32_b32 v178, v72, v4
	v_cmp_ne_u64_e32 vcc, 0, v[71:72]
	v_cmp_eq_u32_e64 s[38:39], 0, v178
	s_and_b64 s[40:41], vcc, s[38:39]
	v_add_u32_e32 v180, v174, v73
	ds_write2_b32 v177, v3, v3 offset1:1
	ds_write2_b32 v176, v3, v3 offset1:1
	ds_write_b32 v100, v3 offset:1056
	s_waitcnt vmcnt(0) lgkmcnt(0)
	s_barrier
	; wave barrier
	s_and_saveexec_b64 s[38:39], s[40:41]
; %bb.1011:                             ;   in Loop: Header=BB1226_974 Depth=2
	v_bcnt_u32_b32 v4, v71, 0
	v_bcnt_u32_b32 v4, v72, v4
	ds_write_b32 v180, v4 offset:1040
; %bb.1012:                             ;   in Loop: Header=BB1226_974 Depth=2
	s_or_b64 exec, exec, s[38:39]
	v_cmp_lt_i64_e32 vcc, -1, v[41:42]
	v_ashrrev_i32_e32 v71, 31, v42
	v_cndmask_b32_e32 v4, -1, v135, vcc
	v_xor_b32_e32 v42, v4, v42
	v_xor_b32_e32 v41, v71, v41
	v_cmp_ne_u64_e32 vcc, s[82:83], v[41:42]
	v_cndmask_b32_e32 v72, v135, v42, vcc
	v_cndmask_b32_e32 v71, 0, v41, vcc
	v_lshrrev_b64 v[71:72], s7, v[71:72]
	; wave barrier
	v_and_b32_e32 v71, s96, v71
	v_mad_u32_u24 v4, v71, 20, v174
	ds_read_b32 v179, v4 offset:1040
	v_and_b32_e32 v4, 1, v71
	v_add_co_u32_e32 v72, vcc, -1, v4
	v_addc_co_u32_e64 v74, s[38:39], 0, -1, vcc
	v_cmp_ne_u32_e32 vcc, 0, v4
	v_xor_b32_e32 v4, vcc_hi, v74
	v_and_b32_e32 v74, exec_hi, v4
	v_lshlrev_b32_e32 v4, 30, v71
	v_xor_b32_e32 v72, vcc_lo, v72
	v_cmp_gt_i64_e32 vcc, 0, v[3:4]
	v_not_b32_e32 v4, v4
	v_ashrrev_i32_e32 v4, 31, v4
	v_and_b32_e32 v72, exec_lo, v72
	v_xor_b32_e32 v181, vcc_hi, v4
	v_xor_b32_e32 v4, vcc_lo, v4
	v_and_b32_e32 v72, v72, v4
	v_lshlrev_b32_e32 v4, 29, v71
	v_cmp_gt_i64_e32 vcc, 0, v[3:4]
	v_not_b32_e32 v4, v4
	v_ashrrev_i32_e32 v4, 31, v4
	v_and_b32_e32 v74, v74, v181
	v_xor_b32_e32 v181, vcc_hi, v4
	v_xor_b32_e32 v4, vcc_lo, v4
	v_and_b32_e32 v72, v72, v4
	v_lshlrev_b32_e32 v4, 28, v71
	v_cmp_gt_i64_e32 vcc, 0, v[3:4]
	v_not_b32_e32 v4, v4
	v_ashrrev_i32_e32 v4, 31, v4
	v_and_b32_e32 v74, v74, v181
	;; [unrolled: 8-line block ×5, first 2 shown]
	v_xor_b32_e32 v181, vcc_hi, v4
	v_xor_b32_e32 v4, vcc_lo, v4
	v_and_b32_e32 v74, v74, v181
	v_and_b32_e32 v181, v72, v4
	v_lshlrev_b32_e32 v4, 24, v71
	v_cmp_gt_i64_e32 vcc, 0, v[3:4]
	v_not_b32_e32 v4, v4
	v_ashrrev_i32_e32 v4, 31, v4
	v_mul_u32_u24_e32 v73, 20, v71
	v_xor_b32_e32 v71, vcc_hi, v4
	v_xor_b32_e32 v4, vcc_lo, v4
	v_and_b32_e32 v72, v74, v71
	v_and_b32_e32 v71, v181, v4
	v_mbcnt_lo_u32_b32 v4, v71, 0
	v_mbcnt_hi_u32_b32 v181, v72, v4
	v_cmp_ne_u64_e32 vcc, 0, v[71:72]
	v_cmp_eq_u32_e64 s[38:39], 0, v181
	s_and_b64 s[40:41], vcc, s[38:39]
	v_add_u32_e32 v183, v174, v73
	; wave barrier
	s_and_saveexec_b64 s[38:39], s[40:41]
	s_cbranch_execz .LBB1226_1014
; %bb.1013:                             ;   in Loop: Header=BB1226_974 Depth=2
	v_bcnt_u32_b32 v4, v71, 0
	v_bcnt_u32_b32 v4, v72, v4
	s_waitcnt lgkmcnt(0)
	v_add_u32_e32 v4, v179, v4
	ds_write_b32 v183, v4 offset:1040
.LBB1226_1014:                          ;   in Loop: Header=BB1226_974 Depth=2
	s_or_b64 exec, exec, s[38:39]
	v_cmp_lt_i64_e32 vcc, -1, v[47:48]
	v_ashrrev_i32_e32 v71, 31, v48
	v_cndmask_b32_e32 v4, -1, v135, vcc
	v_xor_b32_e32 v48, v4, v48
	v_xor_b32_e32 v47, v71, v47
	v_cmp_ne_u64_e32 vcc, s[82:83], v[47:48]
	v_cndmask_b32_e32 v72, v135, v48, vcc
	v_cndmask_b32_e32 v71, 0, v47, vcc
	v_lshrrev_b64 v[71:72], s7, v[71:72]
	; wave barrier
	v_and_b32_e32 v71, s96, v71
	v_mad_u32_u24 v4, v71, 20, v174
	ds_read_b32 v182, v4 offset:1040
	v_and_b32_e32 v4, 1, v71
	v_add_co_u32_e32 v72, vcc, -1, v4
	v_addc_co_u32_e64 v74, s[38:39], 0, -1, vcc
	v_cmp_ne_u32_e32 vcc, 0, v4
	v_xor_b32_e32 v4, vcc_hi, v74
	v_and_b32_e32 v74, exec_hi, v4
	v_lshlrev_b32_e32 v4, 30, v71
	v_xor_b32_e32 v72, vcc_lo, v72
	v_cmp_gt_i64_e32 vcc, 0, v[3:4]
	v_not_b32_e32 v4, v4
	v_ashrrev_i32_e32 v4, 31, v4
	v_and_b32_e32 v72, exec_lo, v72
	v_xor_b32_e32 v184, vcc_hi, v4
	v_xor_b32_e32 v4, vcc_lo, v4
	v_and_b32_e32 v72, v72, v4
	v_lshlrev_b32_e32 v4, 29, v71
	v_cmp_gt_i64_e32 vcc, 0, v[3:4]
	v_not_b32_e32 v4, v4
	v_ashrrev_i32_e32 v4, 31, v4
	v_and_b32_e32 v74, v74, v184
	v_xor_b32_e32 v184, vcc_hi, v4
	v_xor_b32_e32 v4, vcc_lo, v4
	v_and_b32_e32 v72, v72, v4
	v_lshlrev_b32_e32 v4, 28, v71
	v_cmp_gt_i64_e32 vcc, 0, v[3:4]
	v_not_b32_e32 v4, v4
	v_ashrrev_i32_e32 v4, 31, v4
	v_and_b32_e32 v74, v74, v184
	;; [unrolled: 8-line block ×5, first 2 shown]
	v_xor_b32_e32 v184, vcc_hi, v4
	v_xor_b32_e32 v4, vcc_lo, v4
	v_and_b32_e32 v74, v74, v184
	v_and_b32_e32 v184, v72, v4
	v_lshlrev_b32_e32 v4, 24, v71
	v_cmp_gt_i64_e32 vcc, 0, v[3:4]
	v_not_b32_e32 v4, v4
	v_ashrrev_i32_e32 v4, 31, v4
	v_mul_u32_u24_e32 v73, 20, v71
	v_xor_b32_e32 v71, vcc_hi, v4
	v_xor_b32_e32 v4, vcc_lo, v4
	v_and_b32_e32 v72, v74, v71
	v_and_b32_e32 v71, v184, v4
	v_mbcnt_lo_u32_b32 v4, v71, 0
	v_mbcnt_hi_u32_b32 v184, v72, v4
	v_cmp_ne_u64_e32 vcc, 0, v[71:72]
	v_cmp_eq_u32_e64 s[38:39], 0, v184
	s_and_b64 s[40:41], vcc, s[38:39]
	v_add_u32_e32 v186, v174, v73
	; wave barrier
	s_and_saveexec_b64 s[38:39], s[40:41]
	s_cbranch_execz .LBB1226_1016
; %bb.1015:                             ;   in Loop: Header=BB1226_974 Depth=2
	v_bcnt_u32_b32 v4, v71, 0
	v_bcnt_u32_b32 v4, v72, v4
	s_waitcnt lgkmcnt(0)
	v_add_u32_e32 v4, v182, v4
	ds_write_b32 v186, v4 offset:1040
.LBB1226_1016:                          ;   in Loop: Header=BB1226_974 Depth=2
	s_or_b64 exec, exec, s[38:39]
	v_cmp_lt_i64_e32 vcc, -1, v[51:52]
	v_ashrrev_i32_e32 v71, 31, v52
	v_cndmask_b32_e32 v4, -1, v135, vcc
	v_xor_b32_e32 v52, v4, v52
	v_xor_b32_e32 v51, v71, v51
	v_cmp_ne_u64_e32 vcc, s[82:83], v[51:52]
	v_cndmask_b32_e32 v72, v135, v52, vcc
	v_cndmask_b32_e32 v71, 0, v51, vcc
	v_lshrrev_b64 v[71:72], s7, v[71:72]
	; wave barrier
	v_and_b32_e32 v71, s96, v71
	v_mad_u32_u24 v4, v71, 20, v174
	ds_read_b32 v185, v4 offset:1040
	v_and_b32_e32 v4, 1, v71
	v_add_co_u32_e32 v72, vcc, -1, v4
	v_addc_co_u32_e64 v74, s[38:39], 0, -1, vcc
	v_cmp_ne_u32_e32 vcc, 0, v4
	v_xor_b32_e32 v4, vcc_hi, v74
	v_and_b32_e32 v74, exec_hi, v4
	v_lshlrev_b32_e32 v4, 30, v71
	v_xor_b32_e32 v72, vcc_lo, v72
	v_cmp_gt_i64_e32 vcc, 0, v[3:4]
	v_not_b32_e32 v4, v4
	v_ashrrev_i32_e32 v4, 31, v4
	v_and_b32_e32 v72, exec_lo, v72
	v_xor_b32_e32 v187, vcc_hi, v4
	v_xor_b32_e32 v4, vcc_lo, v4
	v_and_b32_e32 v72, v72, v4
	v_lshlrev_b32_e32 v4, 29, v71
	v_cmp_gt_i64_e32 vcc, 0, v[3:4]
	v_not_b32_e32 v4, v4
	v_ashrrev_i32_e32 v4, 31, v4
	v_and_b32_e32 v74, v74, v187
	v_xor_b32_e32 v187, vcc_hi, v4
	v_xor_b32_e32 v4, vcc_lo, v4
	v_and_b32_e32 v72, v72, v4
	v_lshlrev_b32_e32 v4, 28, v71
	v_cmp_gt_i64_e32 vcc, 0, v[3:4]
	v_not_b32_e32 v4, v4
	v_ashrrev_i32_e32 v4, 31, v4
	v_and_b32_e32 v74, v74, v187
	v_xor_b32_e32 v187, vcc_hi, v4
	v_xor_b32_e32 v4, vcc_lo, v4
	v_and_b32_e32 v72, v72, v4
	v_lshlrev_b32_e32 v4, 27, v71
	v_cmp_gt_i64_e32 vcc, 0, v[3:4]
	v_not_b32_e32 v4, v4
	v_ashrrev_i32_e32 v4, 31, v4
	v_and_b32_e32 v74, v74, v187
	v_xor_b32_e32 v187, vcc_hi, v4
	v_xor_b32_e32 v4, vcc_lo, v4
	v_and_b32_e32 v72, v72, v4
	v_lshlrev_b32_e32 v4, 26, v71
	v_cmp_gt_i64_e32 vcc, 0, v[3:4]
	v_not_b32_e32 v4, v4
	v_ashrrev_i32_e32 v4, 31, v4
	v_and_b32_e32 v74, v74, v187
	v_xor_b32_e32 v187, vcc_hi, v4
	v_xor_b32_e32 v4, vcc_lo, v4
	v_and_b32_e32 v72, v72, v4
	v_lshlrev_b32_e32 v4, 25, v71
	v_cmp_gt_i64_e32 vcc, 0, v[3:4]
	v_not_b32_e32 v4, v4
	v_ashrrev_i32_e32 v4, 31, v4
	v_and_b32_e32 v74, v74, v187
	v_xor_b32_e32 v187, vcc_hi, v4
	v_xor_b32_e32 v4, vcc_lo, v4
	v_and_b32_e32 v74, v74, v187
	v_and_b32_e32 v187, v72, v4
	v_lshlrev_b32_e32 v4, 24, v71
	v_cmp_gt_i64_e32 vcc, 0, v[3:4]
	v_not_b32_e32 v4, v4
	v_ashrrev_i32_e32 v4, 31, v4
	v_mul_u32_u24_e32 v73, 20, v71
	v_xor_b32_e32 v71, vcc_hi, v4
	v_xor_b32_e32 v4, vcc_lo, v4
	v_and_b32_e32 v72, v74, v71
	v_and_b32_e32 v71, v187, v4
	v_mbcnt_lo_u32_b32 v4, v71, 0
	v_mbcnt_hi_u32_b32 v187, v72, v4
	v_cmp_ne_u64_e32 vcc, 0, v[71:72]
	v_cmp_eq_u32_e64 s[38:39], 0, v187
	s_and_b64 s[40:41], vcc, s[38:39]
	v_add_u32_e32 v189, v174, v73
	; wave barrier
	s_and_saveexec_b64 s[38:39], s[40:41]
	s_cbranch_execz .LBB1226_1018
; %bb.1017:                             ;   in Loop: Header=BB1226_974 Depth=2
	v_bcnt_u32_b32 v4, v71, 0
	v_bcnt_u32_b32 v4, v72, v4
	s_waitcnt lgkmcnt(0)
	v_add_u32_e32 v4, v185, v4
	ds_write_b32 v189, v4 offset:1040
.LBB1226_1018:                          ;   in Loop: Header=BB1226_974 Depth=2
	s_or_b64 exec, exec, s[38:39]
	v_cmp_lt_i64_e32 vcc, -1, v[55:56]
	v_ashrrev_i32_e32 v71, 31, v56
	v_cndmask_b32_e32 v4, -1, v135, vcc
	v_xor_b32_e32 v56, v4, v56
	v_xor_b32_e32 v55, v71, v55
	v_cmp_ne_u64_e32 vcc, s[82:83], v[55:56]
	v_cndmask_b32_e32 v72, v135, v56, vcc
	v_cndmask_b32_e32 v71, 0, v55, vcc
	v_lshrrev_b64 v[71:72], s7, v[71:72]
	; wave barrier
	v_and_b32_e32 v71, s96, v71
	v_mad_u32_u24 v4, v71, 20, v174
	ds_read_b32 v188, v4 offset:1040
	v_and_b32_e32 v4, 1, v71
	v_add_co_u32_e32 v72, vcc, -1, v4
	v_addc_co_u32_e64 v74, s[38:39], 0, -1, vcc
	v_cmp_ne_u32_e32 vcc, 0, v4
	v_xor_b32_e32 v4, vcc_hi, v74
	v_and_b32_e32 v74, exec_hi, v4
	v_lshlrev_b32_e32 v4, 30, v71
	v_xor_b32_e32 v72, vcc_lo, v72
	v_cmp_gt_i64_e32 vcc, 0, v[3:4]
	v_not_b32_e32 v4, v4
	v_ashrrev_i32_e32 v4, 31, v4
	v_and_b32_e32 v72, exec_lo, v72
	v_xor_b32_e32 v190, vcc_hi, v4
	v_xor_b32_e32 v4, vcc_lo, v4
	v_and_b32_e32 v72, v72, v4
	v_lshlrev_b32_e32 v4, 29, v71
	v_cmp_gt_i64_e32 vcc, 0, v[3:4]
	v_not_b32_e32 v4, v4
	v_ashrrev_i32_e32 v4, 31, v4
	v_and_b32_e32 v74, v74, v190
	v_xor_b32_e32 v190, vcc_hi, v4
	v_xor_b32_e32 v4, vcc_lo, v4
	v_and_b32_e32 v72, v72, v4
	v_lshlrev_b32_e32 v4, 28, v71
	v_cmp_gt_i64_e32 vcc, 0, v[3:4]
	v_not_b32_e32 v4, v4
	v_ashrrev_i32_e32 v4, 31, v4
	v_and_b32_e32 v74, v74, v190
	;; [unrolled: 8-line block ×5, first 2 shown]
	v_xor_b32_e32 v190, vcc_hi, v4
	v_xor_b32_e32 v4, vcc_lo, v4
	v_and_b32_e32 v74, v74, v190
	v_and_b32_e32 v190, v72, v4
	v_lshlrev_b32_e32 v4, 24, v71
	v_cmp_gt_i64_e32 vcc, 0, v[3:4]
	v_not_b32_e32 v4, v4
	v_ashrrev_i32_e32 v4, 31, v4
	v_mul_u32_u24_e32 v73, 20, v71
	v_xor_b32_e32 v71, vcc_hi, v4
	v_xor_b32_e32 v4, vcc_lo, v4
	v_and_b32_e32 v72, v74, v71
	v_and_b32_e32 v71, v190, v4
	v_mbcnt_lo_u32_b32 v4, v71, 0
	v_mbcnt_hi_u32_b32 v190, v72, v4
	v_cmp_ne_u64_e32 vcc, 0, v[71:72]
	v_cmp_eq_u32_e64 s[38:39], 0, v190
	s_and_b64 s[40:41], vcc, s[38:39]
	v_add_u32_e32 v192, v174, v73
	; wave barrier
	s_and_saveexec_b64 s[38:39], s[40:41]
	s_cbranch_execz .LBB1226_1020
; %bb.1019:                             ;   in Loop: Header=BB1226_974 Depth=2
	v_bcnt_u32_b32 v4, v71, 0
	v_bcnt_u32_b32 v4, v72, v4
	s_waitcnt lgkmcnt(0)
	v_add_u32_e32 v4, v188, v4
	ds_write_b32 v192, v4 offset:1040
.LBB1226_1020:                          ;   in Loop: Header=BB1226_974 Depth=2
	s_or_b64 exec, exec, s[38:39]
	v_cmp_lt_i64_e32 vcc, -1, v[59:60]
	v_ashrrev_i32_e32 v71, 31, v60
	v_cndmask_b32_e32 v4, -1, v135, vcc
	v_xor_b32_e32 v60, v4, v60
	v_xor_b32_e32 v59, v71, v59
	v_cmp_ne_u64_e32 vcc, s[82:83], v[59:60]
	v_cndmask_b32_e32 v72, v135, v60, vcc
	v_cndmask_b32_e32 v71, 0, v59, vcc
	v_lshrrev_b64 v[71:72], s7, v[71:72]
	; wave barrier
	v_and_b32_e32 v71, s96, v71
	v_mad_u32_u24 v4, v71, 20, v174
	ds_read_b32 v191, v4 offset:1040
	v_and_b32_e32 v4, 1, v71
	v_add_co_u32_e32 v72, vcc, -1, v4
	v_addc_co_u32_e64 v74, s[38:39], 0, -1, vcc
	v_cmp_ne_u32_e32 vcc, 0, v4
	v_xor_b32_e32 v4, vcc_hi, v74
	v_and_b32_e32 v74, exec_hi, v4
	v_lshlrev_b32_e32 v4, 30, v71
	v_xor_b32_e32 v72, vcc_lo, v72
	v_cmp_gt_i64_e32 vcc, 0, v[3:4]
	v_not_b32_e32 v4, v4
	v_ashrrev_i32_e32 v4, 31, v4
	v_and_b32_e32 v72, exec_lo, v72
	v_xor_b32_e32 v193, vcc_hi, v4
	v_xor_b32_e32 v4, vcc_lo, v4
	v_and_b32_e32 v72, v72, v4
	v_lshlrev_b32_e32 v4, 29, v71
	v_cmp_gt_i64_e32 vcc, 0, v[3:4]
	v_not_b32_e32 v4, v4
	v_ashrrev_i32_e32 v4, 31, v4
	v_and_b32_e32 v74, v74, v193
	v_xor_b32_e32 v193, vcc_hi, v4
	v_xor_b32_e32 v4, vcc_lo, v4
	v_and_b32_e32 v72, v72, v4
	v_lshlrev_b32_e32 v4, 28, v71
	v_cmp_gt_i64_e32 vcc, 0, v[3:4]
	v_not_b32_e32 v4, v4
	v_ashrrev_i32_e32 v4, 31, v4
	v_and_b32_e32 v74, v74, v193
	;; [unrolled: 8-line block ×5, first 2 shown]
	v_xor_b32_e32 v193, vcc_hi, v4
	v_xor_b32_e32 v4, vcc_lo, v4
	v_and_b32_e32 v74, v74, v193
	v_and_b32_e32 v193, v72, v4
	v_lshlrev_b32_e32 v4, 24, v71
	v_cmp_gt_i64_e32 vcc, 0, v[3:4]
	v_not_b32_e32 v4, v4
	v_ashrrev_i32_e32 v4, 31, v4
	v_mul_u32_u24_e32 v73, 20, v71
	v_xor_b32_e32 v71, vcc_hi, v4
	v_xor_b32_e32 v4, vcc_lo, v4
	v_and_b32_e32 v72, v74, v71
	v_and_b32_e32 v71, v193, v4
	v_mbcnt_lo_u32_b32 v4, v71, 0
	v_mbcnt_hi_u32_b32 v193, v72, v4
	v_cmp_ne_u64_e32 vcc, 0, v[71:72]
	v_cmp_eq_u32_e64 s[38:39], 0, v193
	s_and_b64 s[40:41], vcc, s[38:39]
	v_add_u32_e32 v195, v174, v73
	; wave barrier
	s_and_saveexec_b64 s[38:39], s[40:41]
	s_cbranch_execz .LBB1226_1022
; %bb.1021:                             ;   in Loop: Header=BB1226_974 Depth=2
	v_bcnt_u32_b32 v4, v71, 0
	v_bcnt_u32_b32 v4, v72, v4
	s_waitcnt lgkmcnt(0)
	v_add_u32_e32 v4, v191, v4
	ds_write_b32 v195, v4 offset:1040
.LBB1226_1022:                          ;   in Loop: Header=BB1226_974 Depth=2
	s_or_b64 exec, exec, s[38:39]
	v_cmp_lt_i64_e32 vcc, -1, v[63:64]
	v_ashrrev_i32_e32 v71, 31, v64
	v_cndmask_b32_e32 v4, -1, v135, vcc
	v_xor_b32_e32 v64, v4, v64
	v_xor_b32_e32 v63, v71, v63
	v_cmp_ne_u64_e32 vcc, s[82:83], v[63:64]
	v_cndmask_b32_e32 v72, v135, v64, vcc
	v_cndmask_b32_e32 v71, 0, v63, vcc
	v_lshrrev_b64 v[71:72], s7, v[71:72]
	; wave barrier
	v_and_b32_e32 v71, s96, v71
	v_mad_u32_u24 v4, v71, 20, v174
	ds_read_b32 v194, v4 offset:1040
	v_and_b32_e32 v4, 1, v71
	v_add_co_u32_e32 v72, vcc, -1, v4
	v_addc_co_u32_e64 v74, s[38:39], 0, -1, vcc
	v_cmp_ne_u32_e32 vcc, 0, v4
	v_xor_b32_e32 v4, vcc_hi, v74
	v_and_b32_e32 v74, exec_hi, v4
	v_lshlrev_b32_e32 v4, 30, v71
	v_xor_b32_e32 v72, vcc_lo, v72
	v_cmp_gt_i64_e32 vcc, 0, v[3:4]
	v_not_b32_e32 v4, v4
	v_ashrrev_i32_e32 v4, 31, v4
	v_and_b32_e32 v72, exec_lo, v72
	v_xor_b32_e32 v196, vcc_hi, v4
	v_xor_b32_e32 v4, vcc_lo, v4
	v_and_b32_e32 v72, v72, v4
	v_lshlrev_b32_e32 v4, 29, v71
	v_cmp_gt_i64_e32 vcc, 0, v[3:4]
	v_not_b32_e32 v4, v4
	v_ashrrev_i32_e32 v4, 31, v4
	v_and_b32_e32 v74, v74, v196
	v_xor_b32_e32 v196, vcc_hi, v4
	v_xor_b32_e32 v4, vcc_lo, v4
	v_and_b32_e32 v72, v72, v4
	v_lshlrev_b32_e32 v4, 28, v71
	v_cmp_gt_i64_e32 vcc, 0, v[3:4]
	v_not_b32_e32 v4, v4
	v_ashrrev_i32_e32 v4, 31, v4
	v_and_b32_e32 v74, v74, v196
	;; [unrolled: 8-line block ×5, first 2 shown]
	v_xor_b32_e32 v196, vcc_hi, v4
	v_xor_b32_e32 v4, vcc_lo, v4
	v_and_b32_e32 v74, v74, v196
	v_and_b32_e32 v196, v72, v4
	v_lshlrev_b32_e32 v4, 24, v71
	v_cmp_gt_i64_e32 vcc, 0, v[3:4]
	v_not_b32_e32 v4, v4
	v_ashrrev_i32_e32 v4, 31, v4
	v_mul_u32_u24_e32 v73, 20, v71
	v_xor_b32_e32 v71, vcc_hi, v4
	v_xor_b32_e32 v4, vcc_lo, v4
	v_and_b32_e32 v72, v74, v71
	v_and_b32_e32 v71, v196, v4
	v_mbcnt_lo_u32_b32 v4, v71, 0
	v_mbcnt_hi_u32_b32 v196, v72, v4
	v_cmp_ne_u64_e32 vcc, 0, v[71:72]
	v_cmp_eq_u32_e64 s[38:39], 0, v196
	s_and_b64 s[40:41], vcc, s[38:39]
	v_add_u32_e32 v198, v174, v73
	; wave barrier
	s_and_saveexec_b64 s[38:39], s[40:41]
	s_cbranch_execz .LBB1226_1024
; %bb.1023:                             ;   in Loop: Header=BB1226_974 Depth=2
	v_bcnt_u32_b32 v4, v71, 0
	v_bcnt_u32_b32 v4, v72, v4
	s_waitcnt lgkmcnt(0)
	v_add_u32_e32 v4, v194, v4
	ds_write_b32 v198, v4 offset:1040
.LBB1226_1024:                          ;   in Loop: Header=BB1226_974 Depth=2
	s_or_b64 exec, exec, s[38:39]
	v_cmp_lt_i64_e32 vcc, -1, v[67:68]
	v_ashrrev_i32_e32 v71, 31, v68
	v_cndmask_b32_e32 v4, -1, v135, vcc
	v_xor_b32_e32 v68, v4, v68
	v_xor_b32_e32 v67, v71, v67
	v_cmp_ne_u64_e32 vcc, s[82:83], v[67:68]
	v_cndmask_b32_e32 v72, v135, v68, vcc
	v_cndmask_b32_e32 v71, 0, v67, vcc
	v_lshrrev_b64 v[71:72], s7, v[71:72]
	; wave barrier
	v_and_b32_e32 v71, s96, v71
	v_mad_u32_u24 v4, v71, 20, v174
	ds_read_b32 v197, v4 offset:1040
	v_and_b32_e32 v4, 1, v71
	v_add_co_u32_e32 v72, vcc, -1, v4
	v_addc_co_u32_e64 v74, s[38:39], 0, -1, vcc
	v_cmp_ne_u32_e32 vcc, 0, v4
	v_xor_b32_e32 v4, vcc_hi, v74
	v_and_b32_e32 v74, exec_hi, v4
	v_lshlrev_b32_e32 v4, 30, v71
	v_xor_b32_e32 v72, vcc_lo, v72
	v_cmp_gt_i64_e32 vcc, 0, v[3:4]
	v_not_b32_e32 v4, v4
	v_ashrrev_i32_e32 v4, 31, v4
	v_and_b32_e32 v72, exec_lo, v72
	v_xor_b32_e32 v199, vcc_hi, v4
	v_xor_b32_e32 v4, vcc_lo, v4
	v_and_b32_e32 v72, v72, v4
	v_lshlrev_b32_e32 v4, 29, v71
	v_cmp_gt_i64_e32 vcc, 0, v[3:4]
	v_not_b32_e32 v4, v4
	v_ashrrev_i32_e32 v4, 31, v4
	v_and_b32_e32 v74, v74, v199
	v_xor_b32_e32 v199, vcc_hi, v4
	v_xor_b32_e32 v4, vcc_lo, v4
	v_and_b32_e32 v72, v72, v4
	v_lshlrev_b32_e32 v4, 28, v71
	v_cmp_gt_i64_e32 vcc, 0, v[3:4]
	v_not_b32_e32 v4, v4
	v_ashrrev_i32_e32 v4, 31, v4
	v_and_b32_e32 v74, v74, v199
	;; [unrolled: 8-line block ×5, first 2 shown]
	v_xor_b32_e32 v199, vcc_hi, v4
	v_xor_b32_e32 v4, vcc_lo, v4
	v_and_b32_e32 v74, v74, v199
	v_and_b32_e32 v199, v72, v4
	v_lshlrev_b32_e32 v4, 24, v71
	v_cmp_gt_i64_e32 vcc, 0, v[3:4]
	v_not_b32_e32 v4, v4
	v_ashrrev_i32_e32 v4, 31, v4
	v_mul_u32_u24_e32 v73, 20, v71
	v_xor_b32_e32 v71, vcc_hi, v4
	v_xor_b32_e32 v4, vcc_lo, v4
	v_and_b32_e32 v72, v74, v71
	v_and_b32_e32 v71, v199, v4
	v_mbcnt_lo_u32_b32 v4, v71, 0
	v_mbcnt_hi_u32_b32 v199, v72, v4
	v_cmp_ne_u64_e32 vcc, 0, v[71:72]
	v_cmp_eq_u32_e64 s[38:39], 0, v199
	s_and_b64 s[40:41], vcc, s[38:39]
	v_add_u32_e32 v201, v174, v73
	; wave barrier
	s_and_saveexec_b64 s[38:39], s[40:41]
	s_cbranch_execz .LBB1226_1026
; %bb.1025:                             ;   in Loop: Header=BB1226_974 Depth=2
	v_bcnt_u32_b32 v4, v71, 0
	v_bcnt_u32_b32 v4, v72, v4
	s_waitcnt lgkmcnt(0)
	v_add_u32_e32 v4, v197, v4
	ds_write_b32 v201, v4 offset:1040
.LBB1226_1026:                          ;   in Loop: Header=BB1226_974 Depth=2
	s_or_b64 exec, exec, s[38:39]
	v_cmp_lt_i64_e32 vcc, -1, v[69:70]
	v_ashrrev_i32_e32 v71, 31, v70
	v_cndmask_b32_e32 v4, -1, v135, vcc
	v_xor_b32_e32 v70, v4, v70
	v_xor_b32_e32 v69, v71, v69
	v_cmp_ne_u64_e32 vcc, s[82:83], v[69:70]
	v_cndmask_b32_e32 v72, v135, v70, vcc
	v_cndmask_b32_e32 v71, 0, v69, vcc
	v_lshrrev_b64 v[71:72], s7, v[71:72]
	; wave barrier
	v_and_b32_e32 v71, s96, v71
	v_mad_u32_u24 v4, v71, 20, v174
	ds_read_b32 v200, v4 offset:1040
	v_and_b32_e32 v4, 1, v71
	v_add_co_u32_e32 v72, vcc, -1, v4
	v_addc_co_u32_e64 v74, s[38:39], 0, -1, vcc
	v_cmp_ne_u32_e32 vcc, 0, v4
	v_xor_b32_e32 v4, vcc_hi, v74
	v_and_b32_e32 v74, exec_hi, v4
	v_lshlrev_b32_e32 v4, 30, v71
	v_xor_b32_e32 v72, vcc_lo, v72
	v_cmp_gt_i64_e32 vcc, 0, v[3:4]
	v_not_b32_e32 v4, v4
	v_ashrrev_i32_e32 v4, 31, v4
	v_and_b32_e32 v72, exec_lo, v72
	v_xor_b32_e32 v202, vcc_hi, v4
	v_xor_b32_e32 v4, vcc_lo, v4
	v_and_b32_e32 v72, v72, v4
	v_lshlrev_b32_e32 v4, 29, v71
	v_cmp_gt_i64_e32 vcc, 0, v[3:4]
	v_not_b32_e32 v4, v4
	v_ashrrev_i32_e32 v4, 31, v4
	v_and_b32_e32 v74, v74, v202
	v_xor_b32_e32 v202, vcc_hi, v4
	v_xor_b32_e32 v4, vcc_lo, v4
	v_and_b32_e32 v72, v72, v4
	v_lshlrev_b32_e32 v4, 28, v71
	v_cmp_gt_i64_e32 vcc, 0, v[3:4]
	v_not_b32_e32 v4, v4
	v_ashrrev_i32_e32 v4, 31, v4
	v_and_b32_e32 v74, v74, v202
	;; [unrolled: 8-line block ×5, first 2 shown]
	v_xor_b32_e32 v202, vcc_hi, v4
	v_xor_b32_e32 v4, vcc_lo, v4
	v_and_b32_e32 v74, v74, v202
	v_and_b32_e32 v202, v72, v4
	v_lshlrev_b32_e32 v4, 24, v71
	v_cmp_gt_i64_e32 vcc, 0, v[3:4]
	v_not_b32_e32 v4, v4
	v_ashrrev_i32_e32 v4, 31, v4
	v_mul_u32_u24_e32 v73, 20, v71
	v_xor_b32_e32 v71, vcc_hi, v4
	v_xor_b32_e32 v4, vcc_lo, v4
	v_and_b32_e32 v72, v74, v71
	v_and_b32_e32 v71, v202, v4
	v_mbcnt_lo_u32_b32 v4, v71, 0
	v_mbcnt_hi_u32_b32 v202, v72, v4
	v_cmp_ne_u64_e32 vcc, 0, v[71:72]
	v_cmp_eq_u32_e64 s[38:39], 0, v202
	s_and_b64 s[40:41], vcc, s[38:39]
	v_add_u32_e32 v204, v174, v73
	; wave barrier
	s_and_saveexec_b64 s[38:39], s[40:41]
	s_cbranch_execz .LBB1226_1028
; %bb.1027:                             ;   in Loop: Header=BB1226_974 Depth=2
	v_bcnt_u32_b32 v4, v71, 0
	v_bcnt_u32_b32 v4, v72, v4
	s_waitcnt lgkmcnt(0)
	v_add_u32_e32 v4, v200, v4
	ds_write_b32 v204, v4 offset:1040
.LBB1226_1028:                          ;   in Loop: Header=BB1226_974 Depth=2
	s_or_b64 exec, exec, s[38:39]
	v_cmp_lt_i64_e32 vcc, -1, v[65:66]
	v_ashrrev_i32_e32 v71, 31, v66
	v_cndmask_b32_e32 v4, -1, v135, vcc
	v_xor_b32_e32 v66, v4, v66
	v_xor_b32_e32 v65, v71, v65
	v_cmp_ne_u64_e32 vcc, s[82:83], v[65:66]
	v_cndmask_b32_e32 v72, v135, v66, vcc
	v_cndmask_b32_e32 v71, 0, v65, vcc
	v_lshrrev_b64 v[71:72], s7, v[71:72]
	; wave barrier
	v_and_b32_e32 v71, s96, v71
	v_mad_u32_u24 v4, v71, 20, v174
	ds_read_b32 v203, v4 offset:1040
	v_and_b32_e32 v4, 1, v71
	v_add_co_u32_e32 v72, vcc, -1, v4
	v_addc_co_u32_e64 v74, s[38:39], 0, -1, vcc
	v_cmp_ne_u32_e32 vcc, 0, v4
	v_xor_b32_e32 v4, vcc_hi, v74
	v_and_b32_e32 v74, exec_hi, v4
	v_lshlrev_b32_e32 v4, 30, v71
	v_xor_b32_e32 v72, vcc_lo, v72
	v_cmp_gt_i64_e32 vcc, 0, v[3:4]
	v_not_b32_e32 v4, v4
	v_ashrrev_i32_e32 v4, 31, v4
	v_and_b32_e32 v72, exec_lo, v72
	v_xor_b32_e32 v205, vcc_hi, v4
	v_xor_b32_e32 v4, vcc_lo, v4
	v_and_b32_e32 v72, v72, v4
	v_lshlrev_b32_e32 v4, 29, v71
	v_cmp_gt_i64_e32 vcc, 0, v[3:4]
	v_not_b32_e32 v4, v4
	v_ashrrev_i32_e32 v4, 31, v4
	v_and_b32_e32 v74, v74, v205
	v_xor_b32_e32 v205, vcc_hi, v4
	v_xor_b32_e32 v4, vcc_lo, v4
	v_and_b32_e32 v72, v72, v4
	v_lshlrev_b32_e32 v4, 28, v71
	v_cmp_gt_i64_e32 vcc, 0, v[3:4]
	v_not_b32_e32 v4, v4
	v_ashrrev_i32_e32 v4, 31, v4
	v_and_b32_e32 v74, v74, v205
	;; [unrolled: 8-line block ×5, first 2 shown]
	v_xor_b32_e32 v205, vcc_hi, v4
	v_xor_b32_e32 v4, vcc_lo, v4
	v_and_b32_e32 v74, v74, v205
	v_and_b32_e32 v205, v72, v4
	v_lshlrev_b32_e32 v4, 24, v71
	v_cmp_gt_i64_e32 vcc, 0, v[3:4]
	v_not_b32_e32 v4, v4
	v_ashrrev_i32_e32 v4, 31, v4
	v_mul_u32_u24_e32 v73, 20, v71
	v_xor_b32_e32 v71, vcc_hi, v4
	v_xor_b32_e32 v4, vcc_lo, v4
	v_and_b32_e32 v72, v74, v71
	v_and_b32_e32 v71, v205, v4
	v_mbcnt_lo_u32_b32 v4, v71, 0
	v_mbcnt_hi_u32_b32 v205, v72, v4
	v_cmp_ne_u64_e32 vcc, 0, v[71:72]
	v_cmp_eq_u32_e64 s[38:39], 0, v205
	s_and_b64 s[40:41], vcc, s[38:39]
	v_add_u32_e32 v207, v174, v73
	; wave barrier
	s_and_saveexec_b64 s[38:39], s[40:41]
	s_cbranch_execz .LBB1226_1030
; %bb.1029:                             ;   in Loop: Header=BB1226_974 Depth=2
	v_bcnt_u32_b32 v4, v71, 0
	v_bcnt_u32_b32 v4, v72, v4
	s_waitcnt lgkmcnt(0)
	v_add_u32_e32 v4, v203, v4
	ds_write_b32 v207, v4 offset:1040
.LBB1226_1030:                          ;   in Loop: Header=BB1226_974 Depth=2
	s_or_b64 exec, exec, s[38:39]
	v_cmp_lt_i64_e32 vcc, -1, v[61:62]
	v_ashrrev_i32_e32 v71, 31, v62
	v_cndmask_b32_e32 v4, -1, v135, vcc
	v_xor_b32_e32 v62, v4, v62
	v_xor_b32_e32 v61, v71, v61
	v_cmp_ne_u64_e32 vcc, s[82:83], v[61:62]
	v_cndmask_b32_e32 v72, v135, v62, vcc
	v_cndmask_b32_e32 v71, 0, v61, vcc
	v_lshrrev_b64 v[71:72], s7, v[71:72]
	; wave barrier
	v_and_b32_e32 v71, s96, v71
	v_mad_u32_u24 v4, v71, 20, v174
	ds_read_b32 v206, v4 offset:1040
	v_and_b32_e32 v4, 1, v71
	v_add_co_u32_e32 v72, vcc, -1, v4
	v_addc_co_u32_e64 v74, s[38:39], 0, -1, vcc
	v_cmp_ne_u32_e32 vcc, 0, v4
	v_xor_b32_e32 v4, vcc_hi, v74
	v_and_b32_e32 v74, exec_hi, v4
	v_lshlrev_b32_e32 v4, 30, v71
	v_xor_b32_e32 v72, vcc_lo, v72
	v_cmp_gt_i64_e32 vcc, 0, v[3:4]
	v_not_b32_e32 v4, v4
	v_ashrrev_i32_e32 v4, 31, v4
	v_and_b32_e32 v72, exec_lo, v72
	v_xor_b32_e32 v208, vcc_hi, v4
	v_xor_b32_e32 v4, vcc_lo, v4
	v_and_b32_e32 v72, v72, v4
	v_lshlrev_b32_e32 v4, 29, v71
	v_cmp_gt_i64_e32 vcc, 0, v[3:4]
	v_not_b32_e32 v4, v4
	v_ashrrev_i32_e32 v4, 31, v4
	v_and_b32_e32 v74, v74, v208
	v_xor_b32_e32 v208, vcc_hi, v4
	v_xor_b32_e32 v4, vcc_lo, v4
	v_and_b32_e32 v72, v72, v4
	v_lshlrev_b32_e32 v4, 28, v71
	v_cmp_gt_i64_e32 vcc, 0, v[3:4]
	v_not_b32_e32 v4, v4
	v_ashrrev_i32_e32 v4, 31, v4
	v_and_b32_e32 v74, v74, v208
	;; [unrolled: 8-line block ×5, first 2 shown]
	v_xor_b32_e32 v208, vcc_hi, v4
	v_xor_b32_e32 v4, vcc_lo, v4
	v_and_b32_e32 v74, v74, v208
	v_and_b32_e32 v208, v72, v4
	v_lshlrev_b32_e32 v4, 24, v71
	v_cmp_gt_i64_e32 vcc, 0, v[3:4]
	v_not_b32_e32 v4, v4
	v_ashrrev_i32_e32 v4, 31, v4
	v_mul_u32_u24_e32 v73, 20, v71
	v_xor_b32_e32 v71, vcc_hi, v4
	v_xor_b32_e32 v4, vcc_lo, v4
	v_and_b32_e32 v72, v74, v71
	v_and_b32_e32 v71, v208, v4
	v_mbcnt_lo_u32_b32 v4, v71, 0
	v_mbcnt_hi_u32_b32 v208, v72, v4
	v_cmp_ne_u64_e32 vcc, 0, v[71:72]
	v_cmp_eq_u32_e64 s[38:39], 0, v208
	s_and_b64 s[40:41], vcc, s[38:39]
	v_add_u32_e32 v210, v174, v73
	; wave barrier
	s_and_saveexec_b64 s[38:39], s[40:41]
	s_cbranch_execz .LBB1226_1032
; %bb.1031:                             ;   in Loop: Header=BB1226_974 Depth=2
	v_bcnt_u32_b32 v4, v71, 0
	v_bcnt_u32_b32 v4, v72, v4
	s_waitcnt lgkmcnt(0)
	v_add_u32_e32 v4, v206, v4
	ds_write_b32 v210, v4 offset:1040
.LBB1226_1032:                          ;   in Loop: Header=BB1226_974 Depth=2
	s_or_b64 exec, exec, s[38:39]
	v_cmp_lt_i64_e32 vcc, -1, v[57:58]
	v_ashrrev_i32_e32 v71, 31, v58
	v_cndmask_b32_e32 v4, -1, v135, vcc
	v_xor_b32_e32 v58, v4, v58
	v_xor_b32_e32 v57, v71, v57
	v_cmp_ne_u64_e32 vcc, s[82:83], v[57:58]
	v_cndmask_b32_e32 v72, v135, v58, vcc
	v_cndmask_b32_e32 v71, 0, v57, vcc
	v_lshrrev_b64 v[71:72], s7, v[71:72]
	; wave barrier
	v_and_b32_e32 v71, s96, v71
	v_mad_u32_u24 v4, v71, 20, v174
	ds_read_b32 v209, v4 offset:1040
	v_and_b32_e32 v4, 1, v71
	v_add_co_u32_e32 v72, vcc, -1, v4
	v_addc_co_u32_e64 v74, s[38:39], 0, -1, vcc
	v_cmp_ne_u32_e32 vcc, 0, v4
	v_xor_b32_e32 v4, vcc_hi, v74
	v_and_b32_e32 v74, exec_hi, v4
	v_lshlrev_b32_e32 v4, 30, v71
	v_xor_b32_e32 v72, vcc_lo, v72
	v_cmp_gt_i64_e32 vcc, 0, v[3:4]
	v_not_b32_e32 v4, v4
	v_ashrrev_i32_e32 v4, 31, v4
	v_and_b32_e32 v72, exec_lo, v72
	v_xor_b32_e32 v211, vcc_hi, v4
	v_xor_b32_e32 v4, vcc_lo, v4
	v_and_b32_e32 v72, v72, v4
	v_lshlrev_b32_e32 v4, 29, v71
	v_cmp_gt_i64_e32 vcc, 0, v[3:4]
	v_not_b32_e32 v4, v4
	v_ashrrev_i32_e32 v4, 31, v4
	v_and_b32_e32 v74, v74, v211
	v_xor_b32_e32 v211, vcc_hi, v4
	v_xor_b32_e32 v4, vcc_lo, v4
	v_and_b32_e32 v72, v72, v4
	v_lshlrev_b32_e32 v4, 28, v71
	v_cmp_gt_i64_e32 vcc, 0, v[3:4]
	v_not_b32_e32 v4, v4
	v_ashrrev_i32_e32 v4, 31, v4
	v_and_b32_e32 v74, v74, v211
	;; [unrolled: 8-line block ×5, first 2 shown]
	v_xor_b32_e32 v211, vcc_hi, v4
	v_xor_b32_e32 v4, vcc_lo, v4
	v_and_b32_e32 v74, v74, v211
	v_and_b32_e32 v211, v72, v4
	v_lshlrev_b32_e32 v4, 24, v71
	v_cmp_gt_i64_e32 vcc, 0, v[3:4]
	v_not_b32_e32 v4, v4
	v_ashrrev_i32_e32 v4, 31, v4
	v_mul_u32_u24_e32 v73, 20, v71
	v_xor_b32_e32 v71, vcc_hi, v4
	v_xor_b32_e32 v4, vcc_lo, v4
	v_and_b32_e32 v72, v74, v71
	v_and_b32_e32 v71, v211, v4
	v_mbcnt_lo_u32_b32 v4, v71, 0
	v_mbcnt_hi_u32_b32 v211, v72, v4
	v_cmp_ne_u64_e32 vcc, 0, v[71:72]
	v_cmp_eq_u32_e64 s[38:39], 0, v211
	s_and_b64 s[40:41], vcc, s[38:39]
	v_add_u32_e32 v213, v174, v73
	; wave barrier
	s_and_saveexec_b64 s[38:39], s[40:41]
	s_cbranch_execz .LBB1226_1034
; %bb.1033:                             ;   in Loop: Header=BB1226_974 Depth=2
	v_bcnt_u32_b32 v4, v71, 0
	v_bcnt_u32_b32 v4, v72, v4
	s_waitcnt lgkmcnt(0)
	v_add_u32_e32 v4, v209, v4
	ds_write_b32 v213, v4 offset:1040
.LBB1226_1034:                          ;   in Loop: Header=BB1226_974 Depth=2
	s_or_b64 exec, exec, s[38:39]
	v_cmp_lt_i64_e32 vcc, -1, v[53:54]
	v_ashrrev_i32_e32 v71, 31, v54
	v_cndmask_b32_e32 v4, -1, v135, vcc
	v_xor_b32_e32 v54, v4, v54
	v_xor_b32_e32 v53, v71, v53
	v_cmp_ne_u64_e32 vcc, s[82:83], v[53:54]
	v_cndmask_b32_e32 v72, v135, v54, vcc
	v_cndmask_b32_e32 v71, 0, v53, vcc
	v_lshrrev_b64 v[71:72], s7, v[71:72]
	; wave barrier
	v_and_b32_e32 v71, s96, v71
	v_mad_u32_u24 v4, v71, 20, v174
	ds_read_b32 v212, v4 offset:1040
	v_and_b32_e32 v4, 1, v71
	v_add_co_u32_e32 v72, vcc, -1, v4
	v_addc_co_u32_e64 v74, s[38:39], 0, -1, vcc
	v_cmp_ne_u32_e32 vcc, 0, v4
	v_xor_b32_e32 v4, vcc_hi, v74
	v_and_b32_e32 v74, exec_hi, v4
	v_lshlrev_b32_e32 v4, 30, v71
	v_xor_b32_e32 v72, vcc_lo, v72
	v_cmp_gt_i64_e32 vcc, 0, v[3:4]
	v_not_b32_e32 v4, v4
	v_ashrrev_i32_e32 v4, 31, v4
	v_and_b32_e32 v72, exec_lo, v72
	v_xor_b32_e32 v214, vcc_hi, v4
	v_xor_b32_e32 v4, vcc_lo, v4
	v_and_b32_e32 v72, v72, v4
	v_lshlrev_b32_e32 v4, 29, v71
	v_cmp_gt_i64_e32 vcc, 0, v[3:4]
	v_not_b32_e32 v4, v4
	v_ashrrev_i32_e32 v4, 31, v4
	v_and_b32_e32 v74, v74, v214
	v_xor_b32_e32 v214, vcc_hi, v4
	v_xor_b32_e32 v4, vcc_lo, v4
	v_and_b32_e32 v72, v72, v4
	v_lshlrev_b32_e32 v4, 28, v71
	v_cmp_gt_i64_e32 vcc, 0, v[3:4]
	v_not_b32_e32 v4, v4
	v_ashrrev_i32_e32 v4, 31, v4
	v_and_b32_e32 v74, v74, v214
	;; [unrolled: 8-line block ×5, first 2 shown]
	v_xor_b32_e32 v214, vcc_hi, v4
	v_xor_b32_e32 v4, vcc_lo, v4
	v_and_b32_e32 v74, v74, v214
	v_and_b32_e32 v214, v72, v4
	v_lshlrev_b32_e32 v4, 24, v71
	v_cmp_gt_i64_e32 vcc, 0, v[3:4]
	v_not_b32_e32 v4, v4
	v_ashrrev_i32_e32 v4, 31, v4
	v_mul_u32_u24_e32 v73, 20, v71
	v_xor_b32_e32 v71, vcc_hi, v4
	v_xor_b32_e32 v4, vcc_lo, v4
	v_and_b32_e32 v72, v74, v71
	v_and_b32_e32 v71, v214, v4
	v_mbcnt_lo_u32_b32 v4, v71, 0
	v_mbcnt_hi_u32_b32 v214, v72, v4
	v_cmp_ne_u64_e32 vcc, 0, v[71:72]
	v_cmp_eq_u32_e64 s[38:39], 0, v214
	s_and_b64 s[40:41], vcc, s[38:39]
	v_add_u32_e32 v216, v174, v73
	; wave barrier
	s_and_saveexec_b64 s[38:39], s[40:41]
	s_cbranch_execz .LBB1226_1036
; %bb.1035:                             ;   in Loop: Header=BB1226_974 Depth=2
	v_bcnt_u32_b32 v4, v71, 0
	v_bcnt_u32_b32 v4, v72, v4
	s_waitcnt lgkmcnt(0)
	v_add_u32_e32 v4, v212, v4
	ds_write_b32 v216, v4 offset:1040
.LBB1226_1036:                          ;   in Loop: Header=BB1226_974 Depth=2
	s_or_b64 exec, exec, s[38:39]
	v_cmp_lt_i64_e32 vcc, -1, v[49:50]
	v_ashrrev_i32_e32 v71, 31, v50
	v_cndmask_b32_e32 v4, -1, v135, vcc
	v_xor_b32_e32 v50, v4, v50
	v_xor_b32_e32 v49, v71, v49
	v_cmp_ne_u64_e32 vcc, s[82:83], v[49:50]
	v_cndmask_b32_e32 v72, v135, v50, vcc
	v_cndmask_b32_e32 v71, 0, v49, vcc
	v_lshrrev_b64 v[71:72], s7, v[71:72]
	; wave barrier
	v_and_b32_e32 v71, s96, v71
	v_mad_u32_u24 v4, v71, 20, v174
	ds_read_b32 v215, v4 offset:1040
	v_and_b32_e32 v4, 1, v71
	v_add_co_u32_e32 v72, vcc, -1, v4
	v_addc_co_u32_e64 v74, s[38:39], 0, -1, vcc
	v_cmp_ne_u32_e32 vcc, 0, v4
	v_xor_b32_e32 v4, vcc_hi, v74
	v_and_b32_e32 v74, exec_hi, v4
	v_lshlrev_b32_e32 v4, 30, v71
	v_xor_b32_e32 v72, vcc_lo, v72
	v_cmp_gt_i64_e32 vcc, 0, v[3:4]
	v_not_b32_e32 v4, v4
	v_ashrrev_i32_e32 v4, 31, v4
	v_and_b32_e32 v72, exec_lo, v72
	v_xor_b32_e32 v217, vcc_hi, v4
	v_xor_b32_e32 v4, vcc_lo, v4
	v_and_b32_e32 v72, v72, v4
	v_lshlrev_b32_e32 v4, 29, v71
	v_cmp_gt_i64_e32 vcc, 0, v[3:4]
	v_not_b32_e32 v4, v4
	v_ashrrev_i32_e32 v4, 31, v4
	v_and_b32_e32 v74, v74, v217
	v_xor_b32_e32 v217, vcc_hi, v4
	v_xor_b32_e32 v4, vcc_lo, v4
	v_and_b32_e32 v72, v72, v4
	v_lshlrev_b32_e32 v4, 28, v71
	v_cmp_gt_i64_e32 vcc, 0, v[3:4]
	v_not_b32_e32 v4, v4
	v_ashrrev_i32_e32 v4, 31, v4
	v_and_b32_e32 v74, v74, v217
	;; [unrolled: 8-line block ×5, first 2 shown]
	v_xor_b32_e32 v217, vcc_hi, v4
	v_xor_b32_e32 v4, vcc_lo, v4
	v_and_b32_e32 v74, v74, v217
	v_and_b32_e32 v217, v72, v4
	v_lshlrev_b32_e32 v4, 24, v71
	v_cmp_gt_i64_e32 vcc, 0, v[3:4]
	v_not_b32_e32 v4, v4
	v_ashrrev_i32_e32 v4, 31, v4
	v_mul_u32_u24_e32 v73, 20, v71
	v_xor_b32_e32 v71, vcc_hi, v4
	v_xor_b32_e32 v4, vcc_lo, v4
	v_and_b32_e32 v72, v74, v71
	v_and_b32_e32 v71, v217, v4
	v_mbcnt_lo_u32_b32 v4, v71, 0
	v_mbcnt_hi_u32_b32 v217, v72, v4
	v_cmp_ne_u64_e32 vcc, 0, v[71:72]
	v_cmp_eq_u32_e64 s[38:39], 0, v217
	s_and_b64 s[40:41], vcc, s[38:39]
	v_add_u32_e32 v219, v174, v73
	; wave barrier
	s_and_saveexec_b64 s[38:39], s[40:41]
	s_cbranch_execz .LBB1226_1038
; %bb.1037:                             ;   in Loop: Header=BB1226_974 Depth=2
	v_bcnt_u32_b32 v4, v71, 0
	v_bcnt_u32_b32 v4, v72, v4
	s_waitcnt lgkmcnt(0)
	v_add_u32_e32 v4, v215, v4
	ds_write_b32 v219, v4 offset:1040
.LBB1226_1038:                          ;   in Loop: Header=BB1226_974 Depth=2
	s_or_b64 exec, exec, s[38:39]
	v_cmp_lt_i64_e32 vcc, -1, v[43:44]
	v_ashrrev_i32_e32 v71, 31, v44
	v_cndmask_b32_e32 v4, -1, v135, vcc
	v_xor_b32_e32 v44, v4, v44
	v_xor_b32_e32 v43, v71, v43
	v_cmp_ne_u64_e32 vcc, s[82:83], v[43:44]
	v_cndmask_b32_e32 v72, v135, v44, vcc
	v_cndmask_b32_e32 v71, 0, v43, vcc
	v_lshrrev_b64 v[71:72], s7, v[71:72]
	; wave barrier
	v_and_b32_e32 v71, s96, v71
	v_mad_u32_u24 v4, v71, 20, v174
	ds_read_b32 v218, v4 offset:1040
	v_and_b32_e32 v4, 1, v71
	v_add_co_u32_e32 v72, vcc, -1, v4
	v_addc_co_u32_e64 v74, s[38:39], 0, -1, vcc
	v_cmp_ne_u32_e32 vcc, 0, v4
	v_xor_b32_e32 v4, vcc_hi, v74
	v_and_b32_e32 v74, exec_hi, v4
	v_lshlrev_b32_e32 v4, 30, v71
	v_xor_b32_e32 v72, vcc_lo, v72
	v_cmp_gt_i64_e32 vcc, 0, v[3:4]
	v_not_b32_e32 v4, v4
	v_ashrrev_i32_e32 v4, 31, v4
	v_and_b32_e32 v72, exec_lo, v72
	v_xor_b32_e32 v220, vcc_hi, v4
	v_xor_b32_e32 v4, vcc_lo, v4
	v_and_b32_e32 v72, v72, v4
	v_lshlrev_b32_e32 v4, 29, v71
	v_cmp_gt_i64_e32 vcc, 0, v[3:4]
	v_not_b32_e32 v4, v4
	v_ashrrev_i32_e32 v4, 31, v4
	v_and_b32_e32 v74, v74, v220
	v_xor_b32_e32 v220, vcc_hi, v4
	v_xor_b32_e32 v4, vcc_lo, v4
	v_and_b32_e32 v72, v72, v4
	v_lshlrev_b32_e32 v4, 28, v71
	v_cmp_gt_i64_e32 vcc, 0, v[3:4]
	v_not_b32_e32 v4, v4
	v_ashrrev_i32_e32 v4, 31, v4
	v_and_b32_e32 v74, v74, v220
	;; [unrolled: 8-line block ×5, first 2 shown]
	v_xor_b32_e32 v220, vcc_hi, v4
	v_xor_b32_e32 v4, vcc_lo, v4
	v_and_b32_e32 v74, v74, v220
	v_and_b32_e32 v220, v72, v4
	v_lshlrev_b32_e32 v4, 24, v71
	v_cmp_gt_i64_e32 vcc, 0, v[3:4]
	v_not_b32_e32 v4, v4
	v_ashrrev_i32_e32 v4, 31, v4
	v_mul_u32_u24_e32 v73, 20, v71
	v_xor_b32_e32 v71, vcc_hi, v4
	v_xor_b32_e32 v4, vcc_lo, v4
	v_and_b32_e32 v72, v74, v71
	v_and_b32_e32 v71, v220, v4
	v_mbcnt_lo_u32_b32 v4, v71, 0
	v_mbcnt_hi_u32_b32 v220, v72, v4
	v_cmp_ne_u64_e32 vcc, 0, v[71:72]
	v_cmp_eq_u32_e64 s[38:39], 0, v220
	s_and_b64 s[40:41], vcc, s[38:39]
	v_add_u32_e32 v222, v174, v73
	; wave barrier
	s_and_saveexec_b64 s[38:39], s[40:41]
	s_cbranch_execz .LBB1226_1040
; %bb.1039:                             ;   in Loop: Header=BB1226_974 Depth=2
	v_bcnt_u32_b32 v4, v71, 0
	v_bcnt_u32_b32 v4, v72, v4
	s_waitcnt lgkmcnt(0)
	v_add_u32_e32 v4, v218, v4
	ds_write_b32 v222, v4 offset:1040
.LBB1226_1040:                          ;   in Loop: Header=BB1226_974 Depth=2
	s_or_b64 exec, exec, s[38:39]
	v_cmp_lt_i64_e32 vcc, -1, v[45:46]
	v_ashrrev_i32_e32 v71, 31, v46
	v_cndmask_b32_e32 v4, -1, v135, vcc
	v_xor_b32_e32 v46, v4, v46
	v_xor_b32_e32 v45, v71, v45
	v_cmp_ne_u64_e32 vcc, s[82:83], v[45:46]
	v_cndmask_b32_e32 v72, v135, v46, vcc
	v_cndmask_b32_e32 v71, 0, v45, vcc
	v_lshrrev_b64 v[71:72], s7, v[71:72]
	; wave barrier
	v_and_b32_e32 v71, s96, v71
	v_mad_u32_u24 v4, v71, 20, v174
	ds_read_b32 v221, v4 offset:1040
	v_and_b32_e32 v4, 1, v71
	v_add_co_u32_e32 v72, vcc, -1, v4
	v_addc_co_u32_e64 v74, s[38:39], 0, -1, vcc
	v_cmp_ne_u32_e32 vcc, 0, v4
	v_xor_b32_e32 v4, vcc_hi, v74
	v_and_b32_e32 v74, exec_hi, v4
	v_lshlrev_b32_e32 v4, 30, v71
	v_xor_b32_e32 v72, vcc_lo, v72
	v_cmp_gt_i64_e32 vcc, 0, v[3:4]
	v_not_b32_e32 v4, v4
	v_ashrrev_i32_e32 v4, 31, v4
	v_and_b32_e32 v72, exec_lo, v72
	v_xor_b32_e32 v223, vcc_hi, v4
	v_xor_b32_e32 v4, vcc_lo, v4
	v_and_b32_e32 v72, v72, v4
	v_lshlrev_b32_e32 v4, 29, v71
	v_cmp_gt_i64_e32 vcc, 0, v[3:4]
	v_not_b32_e32 v4, v4
	v_ashrrev_i32_e32 v4, 31, v4
	v_and_b32_e32 v74, v74, v223
	v_xor_b32_e32 v223, vcc_hi, v4
	v_xor_b32_e32 v4, vcc_lo, v4
	v_and_b32_e32 v72, v72, v4
	v_lshlrev_b32_e32 v4, 28, v71
	v_cmp_gt_i64_e32 vcc, 0, v[3:4]
	v_not_b32_e32 v4, v4
	v_ashrrev_i32_e32 v4, 31, v4
	v_and_b32_e32 v74, v74, v223
	;; [unrolled: 8-line block ×5, first 2 shown]
	v_xor_b32_e32 v223, vcc_hi, v4
	v_xor_b32_e32 v4, vcc_lo, v4
	v_and_b32_e32 v74, v74, v223
	v_and_b32_e32 v223, v72, v4
	v_lshlrev_b32_e32 v4, 24, v71
	v_cmp_gt_i64_e32 vcc, 0, v[3:4]
	v_not_b32_e32 v4, v4
	v_ashrrev_i32_e32 v4, 31, v4
	v_mul_u32_u24_e32 v73, 20, v71
	v_xor_b32_e32 v71, vcc_hi, v4
	v_xor_b32_e32 v4, vcc_lo, v4
	v_and_b32_e32 v72, v74, v71
	v_and_b32_e32 v71, v223, v4
	v_mbcnt_lo_u32_b32 v4, v71, 0
	v_mbcnt_hi_u32_b32 v223, v72, v4
	v_cmp_ne_u64_e32 vcc, 0, v[71:72]
	v_cmp_eq_u32_e64 s[38:39], 0, v223
	s_and_b64 s[40:41], vcc, s[38:39]
	v_add_u32_e32 v4, v174, v73
	; wave barrier
	s_and_saveexec_b64 s[38:39], s[40:41]
	s_cbranch_execz .LBB1226_1042
; %bb.1041:                             ;   in Loop: Header=BB1226_974 Depth=2
	v_bcnt_u32_b32 v71, v71, 0
	v_bcnt_u32_b32 v71, v72, v71
	s_waitcnt lgkmcnt(0)
	v_add_u32_e32 v71, v221, v71
	ds_write_b32 v4, v71 offset:1040
.LBB1226_1042:                          ;   in Loop: Header=BB1226_974 Depth=2
	s_or_b64 exec, exec, s[38:39]
	; wave barrier
	s_waitcnt lgkmcnt(0)
	s_barrier
	ds_read2_b32 v[73:74], v177 offset1:1
	ds_read2_b32 v[71:72], v176 offset1:1
	ds_read_b32 v224, v100 offset:1056
	s_waitcnt lgkmcnt(1)
	v_add3_u32 v225, v74, v73, v71
	s_waitcnt lgkmcnt(0)
	v_add3_u32 v224, v225, v72, v224
	s_nop 1
	v_mov_b32_dpp v225, v224 row_shr:1 row_mask:0xf bank_mask:0xf
	v_cndmask_b32_e64 v225, v225, 0, s[18:19]
	v_add_u32_e32 v224, v225, v224
	s_nop 1
	v_mov_b32_dpp v225, v224 row_shr:2 row_mask:0xf bank_mask:0xf
	v_cndmask_b32_e64 v225, 0, v225, s[20:21]
	v_add_u32_e32 v224, v224, v225
	;; [unrolled: 4-line block ×4, first 2 shown]
	s_nop 1
	v_mov_b32_dpp v225, v224 row_bcast:15 row_mask:0xf bank_mask:0xf
	v_cndmask_b32_e64 v225, v225, 0, s[26:27]
	v_add_u32_e32 v224, v224, v225
	s_nop 1
	v_mov_b32_dpp v225, v224 row_bcast:31 row_mask:0xf bank_mask:0xf
	v_cndmask_b32_e64 v225, 0, v225, s[28:29]
	v_add_u32_e32 v224, v224, v225
	s_and_saveexec_b64 s[38:39], s[8:9]
; %bb.1043:                             ;   in Loop: Header=BB1226_974 Depth=2
	ds_write_b32 v95, v224 offset:1024
; %bb.1044:                             ;   in Loop: Header=BB1226_974 Depth=2
	s_or_b64 exec, exec, s[38:39]
	s_waitcnt lgkmcnt(0)
	s_barrier
	s_and_saveexec_b64 s[38:39], s[10:11]
	s_cbranch_execz .LBB1226_1046
; %bb.1045:                             ;   in Loop: Header=BB1226_974 Depth=2
	ds_read_b32 v225, v101 offset:1024
	s_waitcnt lgkmcnt(0)
	s_nop 0
	v_mov_b32_dpp v226, v225 row_shr:1 row_mask:0xf bank_mask:0xf
	v_cndmask_b32_e64 v226, v226, 0, s[34:35]
	v_add_u32_e32 v225, v226, v225
	s_nop 1
	v_mov_b32_dpp v226, v225 row_shr:2 row_mask:0xf bank_mask:0xf
	v_cndmask_b32_e64 v226, 0, v226, s[36:37]
	v_add_u32_e32 v225, v225, v226
	ds_write_b32 v101, v225 offset:1024
.LBB1226_1046:                          ;   in Loop: Header=BB1226_974 Depth=2
	s_or_b64 exec, exec, s[38:39]
	v_mov_b32_e32 v225, 0
	s_waitcnt lgkmcnt(0)
	s_barrier
	s_and_saveexec_b64 s[38:39], s[12:13]
; %bb.1047:                             ;   in Loop: Header=BB1226_974 Depth=2
	ds_read_b32 v225, v95 offset:1020
; %bb.1048:                             ;   in Loop: Header=BB1226_974 Depth=2
	s_or_b64 exec, exec, s[38:39]
	s_waitcnt lgkmcnt(0)
	v_add_u32_e32 v224, v225, v224
	ds_bpermute_b32 v224, v137, v224
	s_waitcnt lgkmcnt(0)
	v_cndmask_b32_e64 v224, v224, v225, s[30:31]
	v_cndmask_b32_e64 v224, v224, 0, s[14:15]
	v_add_u32_e32 v73, v224, v73
	v_add_u32_e32 v74, v73, v74
	;; [unrolled: 1-line block ×4, first 2 shown]
	ds_write2_b32 v177, v224, v73 offset1:1
	ds_write2_b32 v176, v74, v71 offset1:1
	ds_write_b32 v100, v72 offset:1056
	s_waitcnt lgkmcnt(0)
	s_barrier
	ds_read_b32 v71, v180 offset:1040
	ds_read_b32 v72, v183 offset:1040
	;; [unrolled: 1-line block ×17, first 2 shown]
	v_mov_b32_e32 v4, 0x1000
	s_and_saveexec_b64 s[38:39], s[16:17]
; %bb.1049:                             ;   in Loop: Header=BB1226_974 Depth=2
	ds_read_b32 v4, v100 offset:1060
; %bb.1050:                             ;   in Loop: Header=BB1226_974 Depth=2
	s_or_b64 exec, exec, s[38:39]
	s_waitcnt lgkmcnt(0)
	s_barrier
	s_and_saveexec_b64 s[38:39], s[4:5]
	s_cbranch_execz .LBB1226_1052
; %bb.1051:                             ;   in Loop: Header=BB1226_974 Depth=2
	ds_read_b32 v201, v75
	s_waitcnt lgkmcnt(0)
	v_sub_u32_e32 v198, v201, v198
	ds_write_b32 v75, v198
.LBB1226_1052:                          ;   in Loop: Header=BB1226_974 Depth=2
	s_or_b64 exec, exec, s[38:39]
	v_lshlrev_b32_e32 v178, 3, v178
	v_lshl_add_u32 v71, v71, 3, v178
	ds_write_b64 v71, v[39:40] offset:1024
	v_lshlrev_b32_e32 v39, 3, v181
	v_lshlrev_b32_e32 v40, 3, v179
	;; [unrolled: 1-line block ×3, first 2 shown]
	v_add3_u32 v72, v39, v40, v72
	ds_write_b64 v72, v[41:42] offset:1024
	v_lshlrev_b32_e32 v39, 3, v184
	v_lshlrev_b32_e32 v40, 3, v182
	v_lshlrev_b32_e32 v41, 3, v227
	v_add3_u32 v41, v39, v40, v41
	v_lshlrev_b32_e32 v39, 3, v187
	v_lshlrev_b32_e32 v40, 3, v185
	v_lshlrev_b32_e32 v42, 3, v226
	ds_write_b64 v41, v[47:48] offset:1024
	v_add3_u32 v42, v39, v40, v42
	v_lshlrev_b32_e32 v39, 3, v190
	v_lshlrev_b32_e32 v40, 3, v188
	v_lshlrev_b32_e32 v47, 3, v225
	v_add3_u32 v47, v39, v40, v47
	v_lshlrev_b32_e32 v39, 3, v193
	v_lshlrev_b32_e32 v40, 3, v191
	v_lshlrev_b32_e32 v48, 3, v224
	ds_write_b64 v42, v[51:52] offset:1024
	v_add3_u32 v48, v39, v40, v48
	;; [unrolled: 9-line block ×4, first 2 shown]
	v_lshlrev_b32_e32 v39, 3, v208
	v_lshlrev_b32_e32 v40, 3, v206
	;; [unrolled: 1-line block ×3, first 2 shown]
	v_add3_u32 v59, v39, v40, v59
	v_lshlrev_b32_e32 v39, 3, v211
	v_lshlrev_b32_e32 v40, 3, v209
	;; [unrolled: 1-line block ×3, first 2 shown]
	v_add3_u32 v60, v39, v40, v60
	ds_write_b64 v51, v[63:64] offset:1024
	ds_write_b64 v52, v[67:68] offset:1024
	;; [unrolled: 1-line block ×6, first 2 shown]
	v_lshlrev_b32_e32 v39, 3, v214
	v_lshlrev_b32_e32 v40, 3, v212
	v_lshlrev_b32_e32 v57, 3, v177
	v_add3_u32 v57, v39, v40, v57
	ds_write_b64 v57, v[53:54] offset:1024
	v_lshlrev_b32_e32 v39, 3, v217
	v_lshlrev_b32_e32 v40, 3, v215
	v_lshlrev_b32_e32 v53, 3, v176
	v_add3_u32 v53, v39, v40, v53
	ds_write_b64 v53, v[49:50] offset:1024
	;; [unrolled: 5-line block ×3, first 2 shown]
	v_lshlrev_b32_e32 v39, 3, v223
	v_lshlrev_b32_e32 v40, 3, v221
	;; [unrolled: 1-line block ×3, first 2 shown]
	v_add3_u32 v43, v39, v40, v43
	v_cmp_lt_u32_e64 s[38:39], v0, v175
	ds_write_b64 v43, v[45:46] offset:1024
	s_waitcnt lgkmcnt(0)
	s_barrier
	s_and_saveexec_b64 s[40:41], s[38:39]
	s_cbranch_execnz .LBB1226_1121
; %bb.1053:                             ;   in Loop: Header=BB1226_974 Depth=2
	s_or_b64 exec, exec, s[40:41]
	v_cmp_lt_u32_e64 s[40:41], v76, v175
	s_and_saveexec_b64 s[42:43], s[40:41]
	s_cbranch_execnz .LBB1226_1122
.LBB1226_1054:                          ;   in Loop: Header=BB1226_974 Depth=2
	s_or_b64 exec, exec, s[42:43]
	v_cmp_lt_u32_e64 s[42:43], v77, v175
	s_and_saveexec_b64 s[44:45], s[42:43]
	s_cbranch_execnz .LBB1226_1123
.LBB1226_1055:                          ;   in Loop: Header=BB1226_974 Depth=2
	s_or_b64 exec, exec, s[44:45]
	v_cmp_lt_u32_e64 s[44:45], v78, v175
	s_and_saveexec_b64 s[46:47], s[44:45]
	s_cbranch_execnz .LBB1226_1124
.LBB1226_1056:                          ;   in Loop: Header=BB1226_974 Depth=2
	s_or_b64 exec, exec, s[46:47]
	v_cmp_lt_u32_e64 s[46:47], v81, v175
	s_and_saveexec_b64 s[48:49], s[46:47]
	s_cbranch_execnz .LBB1226_1125
.LBB1226_1057:                          ;   in Loop: Header=BB1226_974 Depth=2
	s_or_b64 exec, exec, s[48:49]
	v_cmp_lt_u32_e64 s[48:49], v82, v175
	s_and_saveexec_b64 s[50:51], s[48:49]
	s_cbranch_execnz .LBB1226_1126
.LBB1226_1058:                          ;   in Loop: Header=BB1226_974 Depth=2
	s_or_b64 exec, exec, s[50:51]
	v_cmp_lt_u32_e64 s[50:51], v83, v175
	s_and_saveexec_b64 s[52:53], s[50:51]
	s_cbranch_execnz .LBB1226_1127
.LBB1226_1059:                          ;   in Loop: Header=BB1226_974 Depth=2
	s_or_b64 exec, exec, s[52:53]
	v_cmp_lt_u32_e64 s[52:53], v84, v175
	s_and_saveexec_b64 s[54:55], s[52:53]
	s_cbranch_execnz .LBB1226_1128
.LBB1226_1060:                          ;   in Loop: Header=BB1226_974 Depth=2
	s_or_b64 exec, exec, s[54:55]
	v_cmp_lt_u32_e64 s[54:55], v85, v175
	s_and_saveexec_b64 s[56:57], s[54:55]
	s_cbranch_execnz .LBB1226_1129
.LBB1226_1061:                          ;   in Loop: Header=BB1226_974 Depth=2
	s_or_b64 exec, exec, s[56:57]
	v_cmp_lt_u32_e64 s[56:57], v86, v175
	s_and_saveexec_b64 s[58:59], s[56:57]
	s_cbranch_execnz .LBB1226_1130
.LBB1226_1062:                          ;   in Loop: Header=BB1226_974 Depth=2
	s_or_b64 exec, exec, s[58:59]
	v_cmp_lt_u32_e64 s[58:59], v87, v175
	s_and_saveexec_b64 s[60:61], s[58:59]
	s_cbranch_execnz .LBB1226_1131
.LBB1226_1063:                          ;   in Loop: Header=BB1226_974 Depth=2
	s_or_b64 exec, exec, s[60:61]
	v_cmp_lt_u32_e64 s[60:61], v88, v175
	s_and_saveexec_b64 s[62:63], s[60:61]
	s_cbranch_execnz .LBB1226_1132
.LBB1226_1064:                          ;   in Loop: Header=BB1226_974 Depth=2
	s_or_b64 exec, exec, s[62:63]
	v_cmp_lt_u32_e64 s[62:63], v89, v175
	s_and_saveexec_b64 s[64:65], s[62:63]
	s_cbranch_execnz .LBB1226_1133
.LBB1226_1065:                          ;   in Loop: Header=BB1226_974 Depth=2
	s_or_b64 exec, exec, s[64:65]
	v_cmp_lt_u32_e64 s[64:65], v90, v175
	s_and_saveexec_b64 s[66:67], s[64:65]
	s_cbranch_execnz .LBB1226_1134
.LBB1226_1066:                          ;   in Loop: Header=BB1226_974 Depth=2
	s_or_b64 exec, exec, s[66:67]
	v_cmp_lt_u32_e64 s[66:67], v91, v175
	s_and_saveexec_b64 s[68:69], s[66:67]
	s_cbranch_execnz .LBB1226_1135
.LBB1226_1067:                          ;   in Loop: Header=BB1226_974 Depth=2
	s_or_b64 exec, exec, s[68:69]
	v_cmp_lt_u32_e64 s[68:69], v92, v175
	s_and_saveexec_b64 s[92:93], s[68:69]
	s_cbranch_execz .LBB1226_1069
.LBB1226_1068:                          ;   in Loop: Header=BB1226_974 Depth=2
	ds_read_b64 v[39:40], v106 offset:31744
	v_mov_b32_e32 v45, v3
	v_mov_b32_e32 v46, s81
	s_waitcnt lgkmcnt(0)
	v_cmp_ne_u64_e32 vcc, s[82:83], v[39:40]
	v_ashrrev_i32_e32 v54, 31, v40
	v_cndmask_b32_e32 v62, v135, v40, vcc
	v_cndmask_b32_e32 v61, 0, v39, vcc
	v_lshrrev_b64 v[61:62], s7, v[61:62]
	v_cmp_lt_i64_e32 vcc, -1, v[39:40]
	v_and_b32_e32 v50, s96, v61
	v_lshlrev_b32_e32 v50, 2, v50
	ds_read_b32 v50, v50
	v_cndmask_b32_e64 v44, v135, -1, vcc
	v_xor_b32_e32 v40, v44, v40
	v_not_b32_e32 v54, v54
	v_xor_b32_e32 v39, v54, v39
	s_waitcnt lgkmcnt(0)
	v_add_u32_e32 v44, v50, v92
	v_lshlrev_b64 v[44:45], 3, v[44:45]
	v_add_co_u32_e32 v44, vcc, s80, v44
	v_addc_co_u32_e32 v45, vcc, v46, v45, vcc
	global_store_dwordx2 v[44:45], v[39:40], off
.LBB1226_1069:                          ;   in Loop: Header=BB1226_974 Depth=2
	s_or_b64 exec, exec, s[92:93]
	s_lshl_b64 s[92:93], s[72:73], 3
	v_mov_b32_e32 v40, s93
	v_add_co_u32_e32 v39, vcc, s92, v147
	v_addc_co_u32_e32 v40, vcc, v149, v40, vcc
	v_cmp_lt_u32_e32 vcc, v145, v175
	s_and_saveexec_b64 s[92:93], vcc
	s_xor_b64 s[92:93], exec, s[92:93]
	s_cbranch_execnz .LBB1226_1136
; %bb.1070:                             ;   in Loop: Header=BB1226_974 Depth=2
	s_or_b64 exec, exec, s[92:93]
	v_cmp_lt_u32_e32 vcc, v151, v175
	s_and_saveexec_b64 s[92:93], vcc
	s_cbranch_execnz .LBB1226_1137
.LBB1226_1071:                          ;   in Loop: Header=BB1226_974 Depth=2
	s_or_b64 exec, exec, s[92:93]
	v_cmp_lt_u32_e32 vcc, v153, v175
	s_and_saveexec_b64 s[92:93], vcc
	s_cbranch_execnz .LBB1226_1138
.LBB1226_1072:                          ;   in Loop: Header=BB1226_974 Depth=2
	s_or_b64 exec, exec, s[92:93]
	v_cmp_lt_u32_e32 vcc, v155, v175
	s_and_saveexec_b64 s[92:93], vcc
	s_cbranch_execnz .LBB1226_1139
.LBB1226_1073:                          ;   in Loop: Header=BB1226_974 Depth=2
	s_or_b64 exec, exec, s[92:93]
	v_cmp_lt_u32_e32 vcc, v157, v175
	s_and_saveexec_b64 s[92:93], vcc
	s_cbranch_execnz .LBB1226_1140
.LBB1226_1074:                          ;   in Loop: Header=BB1226_974 Depth=2
	s_or_b64 exec, exec, s[92:93]
	v_cmp_lt_u32_e32 vcc, v159, v175
	s_and_saveexec_b64 s[92:93], vcc
	s_cbranch_execnz .LBB1226_1141
.LBB1226_1075:                          ;   in Loop: Header=BB1226_974 Depth=2
	s_or_b64 exec, exec, s[92:93]
	v_cmp_lt_u32_e32 vcc, v161, v175
	s_and_saveexec_b64 s[92:93], vcc
	s_cbranch_execnz .LBB1226_1142
.LBB1226_1076:                          ;   in Loop: Header=BB1226_974 Depth=2
	s_or_b64 exec, exec, s[92:93]
	v_cmp_lt_u32_e32 vcc, v163, v175
	s_and_saveexec_b64 s[92:93], vcc
	s_cbranch_execnz .LBB1226_1143
.LBB1226_1077:                          ;   in Loop: Header=BB1226_974 Depth=2
	s_or_b64 exec, exec, s[92:93]
	v_cmp_lt_u32_e32 vcc, v164, v175
	s_and_saveexec_b64 s[92:93], vcc
	s_cbranch_execnz .LBB1226_1144
.LBB1226_1078:                          ;   in Loop: Header=BB1226_974 Depth=2
	s_or_b64 exec, exec, s[92:93]
	v_cmp_lt_u32_e32 vcc, v165, v175
	s_and_saveexec_b64 s[92:93], vcc
	s_cbranch_execnz .LBB1226_1145
.LBB1226_1079:                          ;   in Loop: Header=BB1226_974 Depth=2
	s_or_b64 exec, exec, s[92:93]
	v_cmp_lt_u32_e32 vcc, v166, v175
	s_and_saveexec_b64 s[92:93], vcc
	s_cbranch_execnz .LBB1226_1146
.LBB1226_1080:                          ;   in Loop: Header=BB1226_974 Depth=2
	s_or_b64 exec, exec, s[92:93]
	v_cmp_lt_u32_e32 vcc, v167, v175
	s_and_saveexec_b64 s[92:93], vcc
	s_cbranch_execnz .LBB1226_1147
.LBB1226_1081:                          ;   in Loop: Header=BB1226_974 Depth=2
	s_or_b64 exec, exec, s[92:93]
	v_cmp_lt_u32_e32 vcc, v168, v175
	s_and_saveexec_b64 s[92:93], vcc
	s_cbranch_execnz .LBB1226_1148
.LBB1226_1082:                          ;   in Loop: Header=BB1226_974 Depth=2
	s_or_b64 exec, exec, s[92:93]
	v_cmp_lt_u32_e32 vcc, v169, v175
	s_and_saveexec_b64 s[92:93], vcc
	s_cbranch_execnz .LBB1226_1149
.LBB1226_1083:                          ;   in Loop: Header=BB1226_974 Depth=2
	s_or_b64 exec, exec, s[92:93]
	v_cmp_lt_u32_e32 vcc, v170, v175
	s_and_saveexec_b64 s[92:93], vcc
	s_cbranch_execnz .LBB1226_1150
.LBB1226_1084:                          ;   in Loop: Header=BB1226_974 Depth=2
	s_or_b64 exec, exec, s[92:93]
	v_cmp_lt_u32_e32 vcc, v171, v175
	s_and_saveexec_b64 s[92:93], vcc
	s_cbranch_execnz .LBB1226_1151
.LBB1226_1085:                          ;   in Loop: Header=BB1226_974 Depth=2
	s_or_b64 exec, exec, s[92:93]
	s_and_saveexec_b64 s[92:93], s[38:39]
	s_cbranch_execnz .LBB1226_1152
.LBB1226_1086:                          ;   in Loop: Header=BB1226_974 Depth=2
	s_or_b64 exec, exec, s[92:93]
	s_and_saveexec_b64 s[92:93], s[40:41]
	s_cbranch_execnz .LBB1226_1153
.LBB1226_1087:                          ;   in Loop: Header=BB1226_974 Depth=2
	s_or_b64 exec, exec, s[92:93]
	s_and_saveexec_b64 s[92:93], s[42:43]
	s_cbranch_execnz .LBB1226_1154
.LBB1226_1088:                          ;   in Loop: Header=BB1226_974 Depth=2
	s_or_b64 exec, exec, s[92:93]
	s_and_saveexec_b64 s[92:93], s[44:45]
	s_cbranch_execnz .LBB1226_1155
.LBB1226_1089:                          ;   in Loop: Header=BB1226_974 Depth=2
	s_or_b64 exec, exec, s[92:93]
	s_and_saveexec_b64 s[92:93], s[46:47]
	s_cbranch_execnz .LBB1226_1156
.LBB1226_1090:                          ;   in Loop: Header=BB1226_974 Depth=2
	s_or_b64 exec, exec, s[92:93]
	s_and_saveexec_b64 s[92:93], s[48:49]
	s_cbranch_execnz .LBB1226_1157
.LBB1226_1091:                          ;   in Loop: Header=BB1226_974 Depth=2
	s_or_b64 exec, exec, s[92:93]
	s_and_saveexec_b64 s[92:93], s[50:51]
	s_cbranch_execnz .LBB1226_1158
.LBB1226_1092:                          ;   in Loop: Header=BB1226_974 Depth=2
	s_or_b64 exec, exec, s[92:93]
	s_and_saveexec_b64 s[92:93], s[52:53]
	s_cbranch_execnz .LBB1226_1159
.LBB1226_1093:                          ;   in Loop: Header=BB1226_974 Depth=2
	s_or_b64 exec, exec, s[92:93]
	s_and_saveexec_b64 s[92:93], s[54:55]
	s_cbranch_execnz .LBB1226_1160
.LBB1226_1094:                          ;   in Loop: Header=BB1226_974 Depth=2
	s_or_b64 exec, exec, s[92:93]
	s_and_saveexec_b64 s[92:93], s[56:57]
	s_cbranch_execnz .LBB1226_1161
.LBB1226_1095:                          ;   in Loop: Header=BB1226_974 Depth=2
	s_or_b64 exec, exec, s[92:93]
	s_and_saveexec_b64 s[92:93], s[58:59]
	s_cbranch_execnz .LBB1226_1162
.LBB1226_1096:                          ;   in Loop: Header=BB1226_974 Depth=2
	s_or_b64 exec, exec, s[92:93]
	s_and_saveexec_b64 s[92:93], s[60:61]
	s_cbranch_execnz .LBB1226_1163
.LBB1226_1097:                          ;   in Loop: Header=BB1226_974 Depth=2
	s_or_b64 exec, exec, s[92:93]
	s_and_saveexec_b64 s[92:93], s[62:63]
	s_cbranch_execnz .LBB1226_1164
.LBB1226_1098:                          ;   in Loop: Header=BB1226_974 Depth=2
	s_or_b64 exec, exec, s[92:93]
	s_and_saveexec_b64 s[92:93], s[64:65]
	s_cbranch_execnz .LBB1226_1165
.LBB1226_1099:                          ;   in Loop: Header=BB1226_974 Depth=2
	s_or_b64 exec, exec, s[92:93]
	s_and_saveexec_b64 s[92:93], s[66:67]
	s_cbranch_execnz .LBB1226_1166
.LBB1226_1100:                          ;   in Loop: Header=BB1226_974 Depth=2
	s_or_b64 exec, exec, s[92:93]
	s_and_saveexec_b64 s[92:93], s[68:69]
	s_cbranch_execz .LBB1226_1102
.LBB1226_1101:                          ;   in Loop: Header=BB1226_974 Depth=2
	ds_read_b64 v[39:40], v106 offset:31744
	s_waitcnt lgkmcnt(0)
	v_cmp_ne_u64_e32 vcc, s[82:83], v[39:40]
	v_cndmask_b32_e32 v40, v135, v40, vcc
	v_cndmask_b32_e32 v39, 0, v39, vcc
	v_lshrrev_b64 v[39:40], s7, v[39:40]
	v_and_b32_e32 v138, s96, v39
.LBB1226_1102:                          ;   in Loop: Header=BB1226_974 Depth=2
	s_or_b64 exec, exec, s[92:93]
	s_waitcnt vmcnt(0)
	s_barrier
	ds_write_b64 v71, v[37:38] offset:1024
	ds_write_b64 v72, v[35:36] offset:1024
	;; [unrolled: 1-line block ×16, first 2 shown]
	s_waitcnt lgkmcnt(0)
	s_barrier
	s_and_saveexec_b64 s[92:93], s[38:39]
	s_cbranch_execnz .LBB1226_1167
; %bb.1103:                             ;   in Loop: Header=BB1226_974 Depth=2
	s_or_b64 exec, exec, s[92:93]
	s_and_saveexec_b64 s[38:39], s[40:41]
	s_cbranch_execnz .LBB1226_1168
.LBB1226_1104:                          ;   in Loop: Header=BB1226_974 Depth=2
	s_or_b64 exec, exec, s[38:39]
	s_and_saveexec_b64 s[38:39], s[42:43]
	s_cbranch_execnz .LBB1226_1169
.LBB1226_1105:                          ;   in Loop: Header=BB1226_974 Depth=2
	s_or_b64 exec, exec, s[38:39]
	s_and_saveexec_b64 s[38:39], s[44:45]
	s_cbranch_execnz .LBB1226_1170
.LBB1226_1106:                          ;   in Loop: Header=BB1226_974 Depth=2
	s_or_b64 exec, exec, s[38:39]
	s_and_saveexec_b64 s[38:39], s[46:47]
	s_cbranch_execnz .LBB1226_1171
.LBB1226_1107:                          ;   in Loop: Header=BB1226_974 Depth=2
	s_or_b64 exec, exec, s[38:39]
	s_and_saveexec_b64 s[38:39], s[48:49]
	s_cbranch_execnz .LBB1226_1172
.LBB1226_1108:                          ;   in Loop: Header=BB1226_974 Depth=2
	s_or_b64 exec, exec, s[38:39]
	s_and_saveexec_b64 s[38:39], s[50:51]
	s_cbranch_execnz .LBB1226_1173
.LBB1226_1109:                          ;   in Loop: Header=BB1226_974 Depth=2
	s_or_b64 exec, exec, s[38:39]
	s_and_saveexec_b64 s[38:39], s[52:53]
	s_cbranch_execnz .LBB1226_1174
.LBB1226_1110:                          ;   in Loop: Header=BB1226_974 Depth=2
	s_or_b64 exec, exec, s[38:39]
	s_and_saveexec_b64 s[38:39], s[54:55]
	s_cbranch_execnz .LBB1226_1175
.LBB1226_1111:                          ;   in Loop: Header=BB1226_974 Depth=2
	s_or_b64 exec, exec, s[38:39]
	s_and_saveexec_b64 s[38:39], s[56:57]
	s_cbranch_execnz .LBB1226_1176
.LBB1226_1112:                          ;   in Loop: Header=BB1226_974 Depth=2
	s_or_b64 exec, exec, s[38:39]
	s_and_saveexec_b64 s[38:39], s[58:59]
	s_cbranch_execnz .LBB1226_1177
.LBB1226_1113:                          ;   in Loop: Header=BB1226_974 Depth=2
	s_or_b64 exec, exec, s[38:39]
	s_and_saveexec_b64 s[38:39], s[60:61]
	s_cbranch_execnz .LBB1226_1178
.LBB1226_1114:                          ;   in Loop: Header=BB1226_974 Depth=2
	s_or_b64 exec, exec, s[38:39]
	s_and_saveexec_b64 s[38:39], s[62:63]
	s_cbranch_execnz .LBB1226_1179
.LBB1226_1115:                          ;   in Loop: Header=BB1226_974 Depth=2
	s_or_b64 exec, exec, s[38:39]
	s_and_saveexec_b64 s[38:39], s[64:65]
	s_cbranch_execnz .LBB1226_1180
.LBB1226_1116:                          ;   in Loop: Header=BB1226_974 Depth=2
	s_or_b64 exec, exec, s[38:39]
	s_and_saveexec_b64 s[38:39], s[66:67]
	s_cbranch_execnz .LBB1226_1181
.LBB1226_1117:                          ;   in Loop: Header=BB1226_974 Depth=2
	s_or_b64 exec, exec, s[38:39]
	s_and_saveexec_b64 s[38:39], s[68:69]
	s_cbranch_execz .LBB1226_1119
.LBB1226_1118:                          ;   in Loop: Header=BB1226_974 Depth=2
	v_lshlrev_b32_e32 v39, 2, v138
	ds_read_b32 v41, v39
	ds_read_b64 v[39:40], v106 offset:31744
	v_mov_b32_e32 v42, v3
	v_mov_b32_e32 v43, s87
	s_waitcnt lgkmcnt(1)
	v_add_u32_e32 v41, v41, v92
	v_lshlrev_b64 v[41:42], 3, v[41:42]
	v_add_co_u32_e32 v41, vcc, s86, v41
	v_addc_co_u32_e32 v42, vcc, v43, v42, vcc
	s_waitcnt lgkmcnt(0)
	global_store_dwordx2 v[41:42], v[39:40], off
.LBB1226_1119:                          ;   in Loop: Header=BB1226_974 Depth=2
	s_or_b64 exec, exec, s[38:39]
	s_waitcnt vmcnt(0)
	s_barrier
	s_and_saveexec_b64 s[38:39], s[4:5]
	s_cbranch_execz .LBB1226_973
; %bb.1120:                             ;   in Loop: Header=BB1226_974 Depth=2
	ds_read_b32 v39, v75
	s_waitcnt lgkmcnt(0)
	v_add_u32_e32 v4, v39, v4
	ds_write_b32 v75, v4
	s_branch .LBB1226_973
.LBB1226_1121:                          ;   in Loop: Header=BB1226_974 Depth=2
	ds_read_b64 v[39:40], v106 offset:1024
	v_mov_b32_e32 v45, v3
	v_mov_b32_e32 v46, s81
	s_waitcnt lgkmcnt(0)
	v_cmp_ne_u64_e32 vcc, s[82:83], v[39:40]
	v_ashrrev_i32_e32 v54, 31, v40
	v_cndmask_b32_e32 v62, v135, v40, vcc
	v_cndmask_b32_e32 v61, 0, v39, vcc
	v_lshrrev_b64 v[61:62], s7, v[61:62]
	v_cmp_lt_i64_e32 vcc, -1, v[39:40]
	v_and_b32_e32 v50, s96, v61
	v_lshlrev_b32_e32 v50, 2, v50
	ds_read_b32 v50, v50
	v_cndmask_b32_e64 v44, v135, -1, vcc
	v_xor_b32_e32 v40, v44, v40
	v_not_b32_e32 v54, v54
	v_xor_b32_e32 v39, v54, v39
	s_waitcnt lgkmcnt(0)
	v_add_u32_e32 v44, v50, v0
	v_lshlrev_b64 v[44:45], 3, v[44:45]
	v_add_co_u32_e32 v44, vcc, s80, v44
	v_addc_co_u32_e32 v45, vcc, v46, v45, vcc
	global_store_dwordx2 v[44:45], v[39:40], off
	s_or_b64 exec, exec, s[40:41]
	v_cmp_lt_u32_e64 s[40:41], v76, v175
	s_and_saveexec_b64 s[42:43], s[40:41]
	s_cbranch_execz .LBB1226_1054
.LBB1226_1122:                          ;   in Loop: Header=BB1226_974 Depth=2
	ds_read_b64 v[39:40], v106 offset:3072
	v_mov_b32_e32 v45, v3
	v_mov_b32_e32 v46, s81
	s_waitcnt lgkmcnt(0)
	v_cmp_ne_u64_e32 vcc, s[82:83], v[39:40]
	v_ashrrev_i32_e32 v54, 31, v40
	v_cndmask_b32_e32 v62, v135, v40, vcc
	v_cndmask_b32_e32 v61, 0, v39, vcc
	v_lshrrev_b64 v[61:62], s7, v[61:62]
	v_cmp_lt_i64_e32 vcc, -1, v[39:40]
	v_and_b32_e32 v50, s96, v61
	v_lshlrev_b32_e32 v50, 2, v50
	ds_read_b32 v50, v50
	v_cndmask_b32_e64 v44, v135, -1, vcc
	v_xor_b32_e32 v40, v44, v40
	v_not_b32_e32 v54, v54
	v_xor_b32_e32 v39, v54, v39
	s_waitcnt lgkmcnt(0)
	v_add_u32_e32 v44, v50, v76
	v_lshlrev_b64 v[44:45], 3, v[44:45]
	v_add_co_u32_e32 v44, vcc, s80, v44
	v_addc_co_u32_e32 v45, vcc, v46, v45, vcc
	global_store_dwordx2 v[44:45], v[39:40], off
	s_or_b64 exec, exec, s[42:43]
	v_cmp_lt_u32_e64 s[42:43], v77, v175
	s_and_saveexec_b64 s[44:45], s[42:43]
	s_cbranch_execz .LBB1226_1055
.LBB1226_1123:                          ;   in Loop: Header=BB1226_974 Depth=2
	ds_read_b64 v[39:40], v106 offset:5120
	v_mov_b32_e32 v45, v3
	v_mov_b32_e32 v46, s81
	s_waitcnt lgkmcnt(0)
	v_cmp_ne_u64_e32 vcc, s[82:83], v[39:40]
	v_ashrrev_i32_e32 v54, 31, v40
	v_cndmask_b32_e32 v62, v135, v40, vcc
	v_cndmask_b32_e32 v61, 0, v39, vcc
	v_lshrrev_b64 v[61:62], s7, v[61:62]
	v_cmp_lt_i64_e32 vcc, -1, v[39:40]
	v_and_b32_e32 v50, s96, v61
	v_lshlrev_b32_e32 v50, 2, v50
	ds_read_b32 v50, v50
	v_cndmask_b32_e64 v44, v135, -1, vcc
	v_xor_b32_e32 v40, v44, v40
	v_not_b32_e32 v54, v54
	v_xor_b32_e32 v39, v54, v39
	s_waitcnt lgkmcnt(0)
	v_add_u32_e32 v44, v50, v77
	v_lshlrev_b64 v[44:45], 3, v[44:45]
	v_add_co_u32_e32 v44, vcc, s80, v44
	v_addc_co_u32_e32 v45, vcc, v46, v45, vcc
	global_store_dwordx2 v[44:45], v[39:40], off
	s_or_b64 exec, exec, s[44:45]
	v_cmp_lt_u32_e64 s[44:45], v78, v175
	s_and_saveexec_b64 s[46:47], s[44:45]
	s_cbranch_execz .LBB1226_1056
.LBB1226_1124:                          ;   in Loop: Header=BB1226_974 Depth=2
	ds_read_b64 v[39:40], v106 offset:7168
	v_mov_b32_e32 v45, v3
	v_mov_b32_e32 v46, s81
	s_waitcnt lgkmcnt(0)
	v_cmp_ne_u64_e32 vcc, s[82:83], v[39:40]
	v_ashrrev_i32_e32 v54, 31, v40
	v_cndmask_b32_e32 v62, v135, v40, vcc
	v_cndmask_b32_e32 v61, 0, v39, vcc
	v_lshrrev_b64 v[61:62], s7, v[61:62]
	v_cmp_lt_i64_e32 vcc, -1, v[39:40]
	v_and_b32_e32 v50, s96, v61
	v_lshlrev_b32_e32 v50, 2, v50
	ds_read_b32 v50, v50
	v_cndmask_b32_e64 v44, v135, -1, vcc
	v_xor_b32_e32 v40, v44, v40
	v_not_b32_e32 v54, v54
	v_xor_b32_e32 v39, v54, v39
	s_waitcnt lgkmcnt(0)
	v_add_u32_e32 v44, v50, v78
	v_lshlrev_b64 v[44:45], 3, v[44:45]
	v_add_co_u32_e32 v44, vcc, s80, v44
	v_addc_co_u32_e32 v45, vcc, v46, v45, vcc
	global_store_dwordx2 v[44:45], v[39:40], off
	s_or_b64 exec, exec, s[46:47]
	v_cmp_lt_u32_e64 s[46:47], v81, v175
	s_and_saveexec_b64 s[48:49], s[46:47]
	s_cbranch_execz .LBB1226_1057
.LBB1226_1125:                          ;   in Loop: Header=BB1226_974 Depth=2
	ds_read_b64 v[39:40], v106 offset:9216
	v_mov_b32_e32 v45, v3
	v_mov_b32_e32 v46, s81
	s_waitcnt lgkmcnt(0)
	v_cmp_ne_u64_e32 vcc, s[82:83], v[39:40]
	v_ashrrev_i32_e32 v54, 31, v40
	v_cndmask_b32_e32 v62, v135, v40, vcc
	v_cndmask_b32_e32 v61, 0, v39, vcc
	v_lshrrev_b64 v[61:62], s7, v[61:62]
	v_cmp_lt_i64_e32 vcc, -1, v[39:40]
	v_and_b32_e32 v50, s96, v61
	v_lshlrev_b32_e32 v50, 2, v50
	ds_read_b32 v50, v50
	v_cndmask_b32_e64 v44, v135, -1, vcc
	v_xor_b32_e32 v40, v44, v40
	v_not_b32_e32 v54, v54
	v_xor_b32_e32 v39, v54, v39
	s_waitcnt lgkmcnt(0)
	v_add_u32_e32 v44, v50, v81
	v_lshlrev_b64 v[44:45], 3, v[44:45]
	v_add_co_u32_e32 v44, vcc, s80, v44
	v_addc_co_u32_e32 v45, vcc, v46, v45, vcc
	global_store_dwordx2 v[44:45], v[39:40], off
	s_or_b64 exec, exec, s[48:49]
	v_cmp_lt_u32_e64 s[48:49], v82, v175
	s_and_saveexec_b64 s[50:51], s[48:49]
	s_cbranch_execz .LBB1226_1058
.LBB1226_1126:                          ;   in Loop: Header=BB1226_974 Depth=2
	ds_read_b64 v[39:40], v106 offset:11264
	v_mov_b32_e32 v45, v3
	v_mov_b32_e32 v46, s81
	s_waitcnt lgkmcnt(0)
	v_cmp_ne_u64_e32 vcc, s[82:83], v[39:40]
	v_ashrrev_i32_e32 v54, 31, v40
	v_cndmask_b32_e32 v62, v135, v40, vcc
	v_cndmask_b32_e32 v61, 0, v39, vcc
	v_lshrrev_b64 v[61:62], s7, v[61:62]
	v_cmp_lt_i64_e32 vcc, -1, v[39:40]
	v_and_b32_e32 v50, s96, v61
	v_lshlrev_b32_e32 v50, 2, v50
	ds_read_b32 v50, v50
	v_cndmask_b32_e64 v44, v135, -1, vcc
	v_xor_b32_e32 v40, v44, v40
	v_not_b32_e32 v54, v54
	v_xor_b32_e32 v39, v54, v39
	s_waitcnt lgkmcnt(0)
	v_add_u32_e32 v44, v50, v82
	v_lshlrev_b64 v[44:45], 3, v[44:45]
	v_add_co_u32_e32 v44, vcc, s80, v44
	v_addc_co_u32_e32 v45, vcc, v46, v45, vcc
	global_store_dwordx2 v[44:45], v[39:40], off
	s_or_b64 exec, exec, s[50:51]
	v_cmp_lt_u32_e64 s[50:51], v83, v175
	s_and_saveexec_b64 s[52:53], s[50:51]
	s_cbranch_execz .LBB1226_1059
.LBB1226_1127:                          ;   in Loop: Header=BB1226_974 Depth=2
	ds_read_b64 v[39:40], v106 offset:13312
	v_mov_b32_e32 v45, v3
	v_mov_b32_e32 v46, s81
	s_waitcnt lgkmcnt(0)
	v_cmp_ne_u64_e32 vcc, s[82:83], v[39:40]
	v_ashrrev_i32_e32 v54, 31, v40
	v_cndmask_b32_e32 v62, v135, v40, vcc
	v_cndmask_b32_e32 v61, 0, v39, vcc
	v_lshrrev_b64 v[61:62], s7, v[61:62]
	v_cmp_lt_i64_e32 vcc, -1, v[39:40]
	v_and_b32_e32 v50, s96, v61
	v_lshlrev_b32_e32 v50, 2, v50
	ds_read_b32 v50, v50
	v_cndmask_b32_e64 v44, v135, -1, vcc
	v_xor_b32_e32 v40, v44, v40
	v_not_b32_e32 v54, v54
	v_xor_b32_e32 v39, v54, v39
	s_waitcnt lgkmcnt(0)
	v_add_u32_e32 v44, v50, v83
	v_lshlrev_b64 v[44:45], 3, v[44:45]
	v_add_co_u32_e32 v44, vcc, s80, v44
	v_addc_co_u32_e32 v45, vcc, v46, v45, vcc
	global_store_dwordx2 v[44:45], v[39:40], off
	s_or_b64 exec, exec, s[52:53]
	v_cmp_lt_u32_e64 s[52:53], v84, v175
	s_and_saveexec_b64 s[54:55], s[52:53]
	s_cbranch_execz .LBB1226_1060
.LBB1226_1128:                          ;   in Loop: Header=BB1226_974 Depth=2
	ds_read_b64 v[39:40], v106 offset:15360
	v_mov_b32_e32 v45, v3
	v_mov_b32_e32 v46, s81
	s_waitcnt lgkmcnt(0)
	v_cmp_ne_u64_e32 vcc, s[82:83], v[39:40]
	v_ashrrev_i32_e32 v54, 31, v40
	v_cndmask_b32_e32 v62, v135, v40, vcc
	v_cndmask_b32_e32 v61, 0, v39, vcc
	v_lshrrev_b64 v[61:62], s7, v[61:62]
	v_cmp_lt_i64_e32 vcc, -1, v[39:40]
	v_and_b32_e32 v50, s96, v61
	v_lshlrev_b32_e32 v50, 2, v50
	ds_read_b32 v50, v50
	v_cndmask_b32_e64 v44, v135, -1, vcc
	v_xor_b32_e32 v40, v44, v40
	v_not_b32_e32 v54, v54
	v_xor_b32_e32 v39, v54, v39
	s_waitcnt lgkmcnt(0)
	v_add_u32_e32 v44, v50, v84
	v_lshlrev_b64 v[44:45], 3, v[44:45]
	v_add_co_u32_e32 v44, vcc, s80, v44
	v_addc_co_u32_e32 v45, vcc, v46, v45, vcc
	global_store_dwordx2 v[44:45], v[39:40], off
	s_or_b64 exec, exec, s[54:55]
	v_cmp_lt_u32_e64 s[54:55], v85, v175
	s_and_saveexec_b64 s[56:57], s[54:55]
	s_cbranch_execz .LBB1226_1061
.LBB1226_1129:                          ;   in Loop: Header=BB1226_974 Depth=2
	ds_read_b64 v[39:40], v106 offset:17408
	v_mov_b32_e32 v45, v3
	v_mov_b32_e32 v46, s81
	s_waitcnt lgkmcnt(0)
	v_cmp_ne_u64_e32 vcc, s[82:83], v[39:40]
	v_ashrrev_i32_e32 v54, 31, v40
	v_cndmask_b32_e32 v62, v135, v40, vcc
	v_cndmask_b32_e32 v61, 0, v39, vcc
	v_lshrrev_b64 v[61:62], s7, v[61:62]
	v_cmp_lt_i64_e32 vcc, -1, v[39:40]
	v_and_b32_e32 v50, s96, v61
	v_lshlrev_b32_e32 v50, 2, v50
	ds_read_b32 v50, v50
	v_cndmask_b32_e64 v44, v135, -1, vcc
	v_xor_b32_e32 v40, v44, v40
	v_not_b32_e32 v54, v54
	v_xor_b32_e32 v39, v54, v39
	s_waitcnt lgkmcnt(0)
	v_add_u32_e32 v44, v50, v85
	v_lshlrev_b64 v[44:45], 3, v[44:45]
	v_add_co_u32_e32 v44, vcc, s80, v44
	v_addc_co_u32_e32 v45, vcc, v46, v45, vcc
	global_store_dwordx2 v[44:45], v[39:40], off
	s_or_b64 exec, exec, s[56:57]
	v_cmp_lt_u32_e64 s[56:57], v86, v175
	s_and_saveexec_b64 s[58:59], s[56:57]
	s_cbranch_execz .LBB1226_1062
.LBB1226_1130:                          ;   in Loop: Header=BB1226_974 Depth=2
	ds_read_b64 v[39:40], v106 offset:19456
	v_mov_b32_e32 v45, v3
	v_mov_b32_e32 v46, s81
	s_waitcnt lgkmcnt(0)
	v_cmp_ne_u64_e32 vcc, s[82:83], v[39:40]
	v_ashrrev_i32_e32 v54, 31, v40
	v_cndmask_b32_e32 v62, v135, v40, vcc
	v_cndmask_b32_e32 v61, 0, v39, vcc
	v_lshrrev_b64 v[61:62], s7, v[61:62]
	v_cmp_lt_i64_e32 vcc, -1, v[39:40]
	v_and_b32_e32 v50, s96, v61
	v_lshlrev_b32_e32 v50, 2, v50
	ds_read_b32 v50, v50
	v_cndmask_b32_e64 v44, v135, -1, vcc
	v_xor_b32_e32 v40, v44, v40
	v_not_b32_e32 v54, v54
	v_xor_b32_e32 v39, v54, v39
	s_waitcnt lgkmcnt(0)
	v_add_u32_e32 v44, v50, v86
	v_lshlrev_b64 v[44:45], 3, v[44:45]
	v_add_co_u32_e32 v44, vcc, s80, v44
	v_addc_co_u32_e32 v45, vcc, v46, v45, vcc
	global_store_dwordx2 v[44:45], v[39:40], off
	s_or_b64 exec, exec, s[58:59]
	v_cmp_lt_u32_e64 s[58:59], v87, v175
	s_and_saveexec_b64 s[60:61], s[58:59]
	s_cbranch_execz .LBB1226_1063
.LBB1226_1131:                          ;   in Loop: Header=BB1226_974 Depth=2
	ds_read_b64 v[39:40], v106 offset:21504
	v_mov_b32_e32 v45, v3
	v_mov_b32_e32 v46, s81
	s_waitcnt lgkmcnt(0)
	v_cmp_ne_u64_e32 vcc, s[82:83], v[39:40]
	v_ashrrev_i32_e32 v54, 31, v40
	v_cndmask_b32_e32 v62, v135, v40, vcc
	v_cndmask_b32_e32 v61, 0, v39, vcc
	v_lshrrev_b64 v[61:62], s7, v[61:62]
	v_cmp_lt_i64_e32 vcc, -1, v[39:40]
	v_and_b32_e32 v50, s96, v61
	v_lshlrev_b32_e32 v50, 2, v50
	ds_read_b32 v50, v50
	v_cndmask_b32_e64 v44, v135, -1, vcc
	v_xor_b32_e32 v40, v44, v40
	v_not_b32_e32 v54, v54
	v_xor_b32_e32 v39, v54, v39
	s_waitcnt lgkmcnt(0)
	v_add_u32_e32 v44, v50, v87
	v_lshlrev_b64 v[44:45], 3, v[44:45]
	v_add_co_u32_e32 v44, vcc, s80, v44
	v_addc_co_u32_e32 v45, vcc, v46, v45, vcc
	global_store_dwordx2 v[44:45], v[39:40], off
	s_or_b64 exec, exec, s[60:61]
	v_cmp_lt_u32_e64 s[60:61], v88, v175
	s_and_saveexec_b64 s[62:63], s[60:61]
	s_cbranch_execz .LBB1226_1064
.LBB1226_1132:                          ;   in Loop: Header=BB1226_974 Depth=2
	ds_read_b64 v[39:40], v106 offset:23552
	v_mov_b32_e32 v45, v3
	v_mov_b32_e32 v46, s81
	s_waitcnt lgkmcnt(0)
	v_cmp_ne_u64_e32 vcc, s[82:83], v[39:40]
	v_ashrrev_i32_e32 v54, 31, v40
	v_cndmask_b32_e32 v62, v135, v40, vcc
	v_cndmask_b32_e32 v61, 0, v39, vcc
	v_lshrrev_b64 v[61:62], s7, v[61:62]
	v_cmp_lt_i64_e32 vcc, -1, v[39:40]
	v_and_b32_e32 v50, s96, v61
	v_lshlrev_b32_e32 v50, 2, v50
	ds_read_b32 v50, v50
	v_cndmask_b32_e64 v44, v135, -1, vcc
	v_xor_b32_e32 v40, v44, v40
	v_not_b32_e32 v54, v54
	v_xor_b32_e32 v39, v54, v39
	s_waitcnt lgkmcnt(0)
	v_add_u32_e32 v44, v50, v88
	v_lshlrev_b64 v[44:45], 3, v[44:45]
	v_add_co_u32_e32 v44, vcc, s80, v44
	v_addc_co_u32_e32 v45, vcc, v46, v45, vcc
	global_store_dwordx2 v[44:45], v[39:40], off
	s_or_b64 exec, exec, s[62:63]
	v_cmp_lt_u32_e64 s[62:63], v89, v175
	s_and_saveexec_b64 s[64:65], s[62:63]
	s_cbranch_execz .LBB1226_1065
.LBB1226_1133:                          ;   in Loop: Header=BB1226_974 Depth=2
	ds_read_b64 v[39:40], v106 offset:25600
	v_mov_b32_e32 v45, v3
	v_mov_b32_e32 v46, s81
	s_waitcnt lgkmcnt(0)
	v_cmp_ne_u64_e32 vcc, s[82:83], v[39:40]
	v_ashrrev_i32_e32 v54, 31, v40
	v_cndmask_b32_e32 v62, v135, v40, vcc
	v_cndmask_b32_e32 v61, 0, v39, vcc
	v_lshrrev_b64 v[61:62], s7, v[61:62]
	v_cmp_lt_i64_e32 vcc, -1, v[39:40]
	v_and_b32_e32 v50, s96, v61
	v_lshlrev_b32_e32 v50, 2, v50
	ds_read_b32 v50, v50
	v_cndmask_b32_e64 v44, v135, -1, vcc
	v_xor_b32_e32 v40, v44, v40
	v_not_b32_e32 v54, v54
	v_xor_b32_e32 v39, v54, v39
	s_waitcnt lgkmcnt(0)
	v_add_u32_e32 v44, v50, v89
	v_lshlrev_b64 v[44:45], 3, v[44:45]
	v_add_co_u32_e32 v44, vcc, s80, v44
	v_addc_co_u32_e32 v45, vcc, v46, v45, vcc
	global_store_dwordx2 v[44:45], v[39:40], off
	s_or_b64 exec, exec, s[64:65]
	v_cmp_lt_u32_e64 s[64:65], v90, v175
	s_and_saveexec_b64 s[66:67], s[64:65]
	s_cbranch_execz .LBB1226_1066
.LBB1226_1134:                          ;   in Loop: Header=BB1226_974 Depth=2
	ds_read_b64 v[39:40], v106 offset:27648
	v_mov_b32_e32 v45, v3
	v_mov_b32_e32 v46, s81
	s_waitcnt lgkmcnt(0)
	v_cmp_ne_u64_e32 vcc, s[82:83], v[39:40]
	v_ashrrev_i32_e32 v54, 31, v40
	v_cndmask_b32_e32 v62, v135, v40, vcc
	v_cndmask_b32_e32 v61, 0, v39, vcc
	v_lshrrev_b64 v[61:62], s7, v[61:62]
	v_cmp_lt_i64_e32 vcc, -1, v[39:40]
	v_and_b32_e32 v50, s96, v61
	v_lshlrev_b32_e32 v50, 2, v50
	ds_read_b32 v50, v50
	v_cndmask_b32_e64 v44, v135, -1, vcc
	v_xor_b32_e32 v40, v44, v40
	v_not_b32_e32 v54, v54
	v_xor_b32_e32 v39, v54, v39
	s_waitcnt lgkmcnt(0)
	v_add_u32_e32 v44, v50, v90
	v_lshlrev_b64 v[44:45], 3, v[44:45]
	v_add_co_u32_e32 v44, vcc, s80, v44
	v_addc_co_u32_e32 v45, vcc, v46, v45, vcc
	global_store_dwordx2 v[44:45], v[39:40], off
	s_or_b64 exec, exec, s[66:67]
	v_cmp_lt_u32_e64 s[66:67], v91, v175
	s_and_saveexec_b64 s[68:69], s[66:67]
	s_cbranch_execz .LBB1226_1067
.LBB1226_1135:                          ;   in Loop: Header=BB1226_974 Depth=2
	ds_read_b64 v[39:40], v106 offset:29696
	v_mov_b32_e32 v45, v3
	v_mov_b32_e32 v46, s81
	s_waitcnt lgkmcnt(0)
	v_cmp_ne_u64_e32 vcc, s[82:83], v[39:40]
	v_ashrrev_i32_e32 v54, 31, v40
	v_cndmask_b32_e32 v62, v135, v40, vcc
	v_cndmask_b32_e32 v61, 0, v39, vcc
	v_lshrrev_b64 v[61:62], s7, v[61:62]
	v_cmp_lt_i64_e32 vcc, -1, v[39:40]
	v_and_b32_e32 v50, s96, v61
	v_lshlrev_b32_e32 v50, 2, v50
	ds_read_b32 v50, v50
	v_cndmask_b32_e64 v44, v135, -1, vcc
	v_xor_b32_e32 v40, v44, v40
	v_not_b32_e32 v54, v54
	v_xor_b32_e32 v39, v54, v39
	s_waitcnt lgkmcnt(0)
	v_add_u32_e32 v44, v50, v91
	v_lshlrev_b64 v[44:45], 3, v[44:45]
	v_add_co_u32_e32 v44, vcc, s80, v44
	v_addc_co_u32_e32 v45, vcc, v46, v45, vcc
	global_store_dwordx2 v[44:45], v[39:40], off
	s_or_b64 exec, exec, s[68:69]
	v_cmp_lt_u32_e64 s[68:69], v92, v175
	s_and_saveexec_b64 s[92:93], s[68:69]
	s_cbranch_execnz .LBB1226_1068
	s_branch .LBB1226_1069
.LBB1226_1136:                          ;   in Loop: Header=BB1226_974 Depth=2
	global_load_dwordx2 v[37:38], v[39:40], off
	s_or_b64 exec, exec, s[92:93]
	v_cmp_lt_u32_e32 vcc, v151, v175
	s_and_saveexec_b64 s[92:93], vcc
	s_cbranch_execz .LBB1226_1071
.LBB1226_1137:                          ;   in Loop: Header=BB1226_974 Depth=2
	global_load_dwordx2 v[35:36], v[39:40], off offset:512
	s_or_b64 exec, exec, s[92:93]
	v_cmp_lt_u32_e32 vcc, v153, v175
	s_and_saveexec_b64 s[92:93], vcc
	s_cbranch_execz .LBB1226_1072
.LBB1226_1138:                          ;   in Loop: Header=BB1226_974 Depth=2
	global_load_dwordx2 v[33:34], v[39:40], off offset:1024
	s_or_b64 exec, exec, s[92:93]
	v_cmp_lt_u32_e32 vcc, v155, v175
	s_and_saveexec_b64 s[92:93], vcc
	s_cbranch_execz .LBB1226_1073
.LBB1226_1139:                          ;   in Loop: Header=BB1226_974 Depth=2
	global_load_dwordx2 v[29:30], v[39:40], off offset:1536
	s_or_b64 exec, exec, s[92:93]
	v_cmp_lt_u32_e32 vcc, v157, v175
	s_and_saveexec_b64 s[92:93], vcc
	s_cbranch_execz .LBB1226_1074
.LBB1226_1140:                          ;   in Loop: Header=BB1226_974 Depth=2
	global_load_dwordx2 v[25:26], v[39:40], off offset:2048
	s_or_b64 exec, exec, s[92:93]
	v_cmp_lt_u32_e32 vcc, v159, v175
	s_and_saveexec_b64 s[92:93], vcc
	s_cbranch_execz .LBB1226_1075
.LBB1226_1141:                          ;   in Loop: Header=BB1226_974 Depth=2
	global_load_dwordx2 v[21:22], v[39:40], off offset:2560
	s_or_b64 exec, exec, s[92:93]
	v_cmp_lt_u32_e32 vcc, v161, v175
	s_and_saveexec_b64 s[92:93], vcc
	s_cbranch_execz .LBB1226_1076
.LBB1226_1142:                          ;   in Loop: Header=BB1226_974 Depth=2
	global_load_dwordx2 v[17:18], v[39:40], off offset:3072
	s_or_b64 exec, exec, s[92:93]
	v_cmp_lt_u32_e32 vcc, v163, v175
	s_and_saveexec_b64 s[92:93], vcc
	s_cbranch_execz .LBB1226_1077
.LBB1226_1143:                          ;   in Loop: Header=BB1226_974 Depth=2
	global_load_dwordx2 v[13:14], v[39:40], off offset:3584
	s_or_b64 exec, exec, s[92:93]
	v_cmp_lt_u32_e32 vcc, v164, v175
	s_and_saveexec_b64 s[92:93], vcc
	s_cbranch_execz .LBB1226_1078
.LBB1226_1144:                          ;   in Loop: Header=BB1226_974 Depth=2
	v_add_co_u32_e32 v31, vcc, 0x1000, v39
	v_addc_co_u32_e32 v32, vcc, 0, v40, vcc
	global_load_dwordx2 v[31:32], v[31:32], off
	s_or_b64 exec, exec, s[92:93]
	v_cmp_lt_u32_e32 vcc, v165, v175
	s_and_saveexec_b64 s[92:93], vcc
	s_cbranch_execz .LBB1226_1079
.LBB1226_1145:                          ;   in Loop: Header=BB1226_974 Depth=2
	v_add_co_u32_e32 v27, vcc, 0x1000, v39
	v_addc_co_u32_e32 v28, vcc, 0, v40, vcc
	global_load_dwordx2 v[27:28], v[27:28], off offset:512
	s_or_b64 exec, exec, s[92:93]
	v_cmp_lt_u32_e32 vcc, v166, v175
	s_and_saveexec_b64 s[92:93], vcc
	s_cbranch_execz .LBB1226_1080
.LBB1226_1146:                          ;   in Loop: Header=BB1226_974 Depth=2
	v_add_co_u32_e32 v23, vcc, 0x1000, v39
	v_addc_co_u32_e32 v24, vcc, 0, v40, vcc
	global_load_dwordx2 v[23:24], v[23:24], off offset:1024
	s_or_b64 exec, exec, s[92:93]
	v_cmp_lt_u32_e32 vcc, v167, v175
	s_and_saveexec_b64 s[92:93], vcc
	s_cbranch_execz .LBB1226_1081
.LBB1226_1147:                          ;   in Loop: Header=BB1226_974 Depth=2
	v_add_co_u32_e32 v19, vcc, 0x1000, v39
	v_addc_co_u32_e32 v20, vcc, 0, v40, vcc
	global_load_dwordx2 v[19:20], v[19:20], off offset:1536
	s_or_b64 exec, exec, s[92:93]
	v_cmp_lt_u32_e32 vcc, v168, v175
	s_and_saveexec_b64 s[92:93], vcc
	s_cbranch_execz .LBB1226_1082
.LBB1226_1148:                          ;   in Loop: Header=BB1226_974 Depth=2
	v_add_co_u32_e32 v15, vcc, 0x1000, v39
	v_addc_co_u32_e32 v16, vcc, 0, v40, vcc
	global_load_dwordx2 v[15:16], v[15:16], off offset:2048
	s_or_b64 exec, exec, s[92:93]
	v_cmp_lt_u32_e32 vcc, v169, v175
	s_and_saveexec_b64 s[92:93], vcc
	s_cbranch_execz .LBB1226_1083
.LBB1226_1149:                          ;   in Loop: Header=BB1226_974 Depth=2
	v_add_co_u32_e32 v11, vcc, 0x1000, v39
	v_addc_co_u32_e32 v12, vcc, 0, v40, vcc
	global_load_dwordx2 v[11:12], v[11:12], off offset:2560
	s_or_b64 exec, exec, s[92:93]
	v_cmp_lt_u32_e32 vcc, v170, v175
	s_and_saveexec_b64 s[92:93], vcc
	s_cbranch_execz .LBB1226_1084
.LBB1226_1150:                          ;   in Loop: Header=BB1226_974 Depth=2
	v_add_co_u32_e32 v9, vcc, 0x1000, v39
	v_addc_co_u32_e32 v10, vcc, 0, v40, vcc
	global_load_dwordx2 v[9:10], v[9:10], off offset:3072
	s_or_b64 exec, exec, s[92:93]
	v_cmp_lt_u32_e32 vcc, v171, v175
	s_and_saveexec_b64 s[92:93], vcc
	s_cbranch_execz .LBB1226_1085
.LBB1226_1151:                          ;   in Loop: Header=BB1226_974 Depth=2
	v_add_co_u32_e32 v7, vcc, 0x1000, v39
	v_addc_co_u32_e32 v8, vcc, 0, v40, vcc
	global_load_dwordx2 v[7:8], v[7:8], off offset:3584
	s_or_b64 exec, exec, s[92:93]
	s_and_saveexec_b64 s[92:93], s[38:39]
	s_cbranch_execz .LBB1226_1086
.LBB1226_1152:                          ;   in Loop: Header=BB1226_974 Depth=2
	ds_read_b64 v[39:40], v106 offset:1024
	s_waitcnt lgkmcnt(0)
	v_cmp_ne_u64_e32 vcc, s[82:83], v[39:40]
	v_cndmask_b32_e32 v40, v135, v40, vcc
	v_cndmask_b32_e32 v39, 0, v39, vcc
	v_lshrrev_b64 v[39:40], s7, v[39:40]
	v_and_b32_e32 v162, s96, v39
	s_or_b64 exec, exec, s[92:93]
	s_and_saveexec_b64 s[92:93], s[40:41]
	s_cbranch_execz .LBB1226_1087
.LBB1226_1153:                          ;   in Loop: Header=BB1226_974 Depth=2
	ds_read_b64 v[39:40], v106 offset:3072
	s_waitcnt lgkmcnt(0)
	v_cmp_ne_u64_e32 vcc, s[82:83], v[39:40]
	v_cndmask_b32_e32 v40, v135, v40, vcc
	v_cndmask_b32_e32 v39, 0, v39, vcc
	v_lshrrev_b64 v[39:40], s7, v[39:40]
	v_and_b32_e32 v160, s96, v39
	s_or_b64 exec, exec, s[92:93]
	s_and_saveexec_b64 s[92:93], s[42:43]
	s_cbranch_execz .LBB1226_1088
.LBB1226_1154:                          ;   in Loop: Header=BB1226_974 Depth=2
	ds_read_b64 v[39:40], v106 offset:5120
	s_waitcnt lgkmcnt(0)
	v_cmp_ne_u64_e32 vcc, s[82:83], v[39:40]
	v_cndmask_b32_e32 v40, v135, v40, vcc
	v_cndmask_b32_e32 v39, 0, v39, vcc
	v_lshrrev_b64 v[39:40], s7, v[39:40]
	v_and_b32_e32 v158, s96, v39
	s_or_b64 exec, exec, s[92:93]
	s_and_saveexec_b64 s[92:93], s[44:45]
	s_cbranch_execz .LBB1226_1089
.LBB1226_1155:                          ;   in Loop: Header=BB1226_974 Depth=2
	ds_read_b64 v[39:40], v106 offset:7168
	s_waitcnt lgkmcnt(0)
	v_cmp_ne_u64_e32 vcc, s[82:83], v[39:40]
	v_cndmask_b32_e32 v40, v135, v40, vcc
	v_cndmask_b32_e32 v39, 0, v39, vcc
	v_lshrrev_b64 v[39:40], s7, v[39:40]
	v_and_b32_e32 v156, s96, v39
	s_or_b64 exec, exec, s[92:93]
	s_and_saveexec_b64 s[92:93], s[46:47]
	s_cbranch_execz .LBB1226_1090
.LBB1226_1156:                          ;   in Loop: Header=BB1226_974 Depth=2
	ds_read_b64 v[39:40], v106 offset:9216
	s_waitcnt lgkmcnt(0)
	v_cmp_ne_u64_e32 vcc, s[82:83], v[39:40]
	v_cndmask_b32_e32 v40, v135, v40, vcc
	v_cndmask_b32_e32 v39, 0, v39, vcc
	v_lshrrev_b64 v[39:40], s7, v[39:40]
	v_and_b32_e32 v154, s96, v39
	s_or_b64 exec, exec, s[92:93]
	s_and_saveexec_b64 s[92:93], s[48:49]
	s_cbranch_execz .LBB1226_1091
.LBB1226_1157:                          ;   in Loop: Header=BB1226_974 Depth=2
	ds_read_b64 v[39:40], v106 offset:11264
	s_waitcnt lgkmcnt(0)
	v_cmp_ne_u64_e32 vcc, s[82:83], v[39:40]
	v_cndmask_b32_e32 v40, v135, v40, vcc
	v_cndmask_b32_e32 v39, 0, v39, vcc
	v_lshrrev_b64 v[39:40], s7, v[39:40]
	v_and_b32_e32 v152, s96, v39
	s_or_b64 exec, exec, s[92:93]
	s_and_saveexec_b64 s[92:93], s[50:51]
	s_cbranch_execz .LBB1226_1092
.LBB1226_1158:                          ;   in Loop: Header=BB1226_974 Depth=2
	ds_read_b64 v[39:40], v106 offset:13312
	s_waitcnt lgkmcnt(0)
	v_cmp_ne_u64_e32 vcc, s[82:83], v[39:40]
	v_cndmask_b32_e32 v40, v135, v40, vcc
	v_cndmask_b32_e32 v39, 0, v39, vcc
	v_lshrrev_b64 v[39:40], s7, v[39:40]
	v_and_b32_e32 v150, s96, v39
	s_or_b64 exec, exec, s[92:93]
	s_and_saveexec_b64 s[92:93], s[52:53]
	s_cbranch_execz .LBB1226_1093
.LBB1226_1159:                          ;   in Loop: Header=BB1226_974 Depth=2
	ds_read_b64 v[39:40], v106 offset:15360
	s_waitcnt lgkmcnt(0)
	v_cmp_ne_u64_e32 vcc, s[82:83], v[39:40]
	v_cndmask_b32_e32 v40, v135, v40, vcc
	v_cndmask_b32_e32 v39, 0, v39, vcc
	v_lshrrev_b64 v[39:40], s7, v[39:40]
	v_and_b32_e32 v148, s96, v39
	s_or_b64 exec, exec, s[92:93]
	s_and_saveexec_b64 s[92:93], s[54:55]
	s_cbranch_execz .LBB1226_1094
.LBB1226_1160:                          ;   in Loop: Header=BB1226_974 Depth=2
	ds_read_b64 v[39:40], v106 offset:17408
	s_waitcnt lgkmcnt(0)
	v_cmp_ne_u64_e32 vcc, s[82:83], v[39:40]
	v_cndmask_b32_e32 v40, v135, v40, vcc
	v_cndmask_b32_e32 v39, 0, v39, vcc
	v_lshrrev_b64 v[39:40], s7, v[39:40]
	v_and_b32_e32 v146, s96, v39
	s_or_b64 exec, exec, s[92:93]
	s_and_saveexec_b64 s[92:93], s[56:57]
	s_cbranch_execz .LBB1226_1095
.LBB1226_1161:                          ;   in Loop: Header=BB1226_974 Depth=2
	ds_read_b64 v[39:40], v106 offset:19456
	s_waitcnt lgkmcnt(0)
	v_cmp_ne_u64_e32 vcc, s[82:83], v[39:40]
	v_cndmask_b32_e32 v40, v135, v40, vcc
	v_cndmask_b32_e32 v39, 0, v39, vcc
	v_lshrrev_b64 v[39:40], s7, v[39:40]
	v_and_b32_e32 v144, s96, v39
	s_or_b64 exec, exec, s[92:93]
	s_and_saveexec_b64 s[92:93], s[58:59]
	s_cbranch_execz .LBB1226_1096
.LBB1226_1162:                          ;   in Loop: Header=BB1226_974 Depth=2
	ds_read_b64 v[39:40], v106 offset:21504
	s_waitcnt lgkmcnt(0)
	v_cmp_ne_u64_e32 vcc, s[82:83], v[39:40]
	v_cndmask_b32_e32 v40, v135, v40, vcc
	v_cndmask_b32_e32 v39, 0, v39, vcc
	v_lshrrev_b64 v[39:40], s7, v[39:40]
	v_and_b32_e32 v143, s96, v39
	s_or_b64 exec, exec, s[92:93]
	s_and_saveexec_b64 s[92:93], s[60:61]
	s_cbranch_execz .LBB1226_1097
.LBB1226_1163:                          ;   in Loop: Header=BB1226_974 Depth=2
	ds_read_b64 v[39:40], v106 offset:23552
	s_waitcnt lgkmcnt(0)
	v_cmp_ne_u64_e32 vcc, s[82:83], v[39:40]
	v_cndmask_b32_e32 v40, v135, v40, vcc
	v_cndmask_b32_e32 v39, 0, v39, vcc
	v_lshrrev_b64 v[39:40], s7, v[39:40]
	v_and_b32_e32 v142, s96, v39
	s_or_b64 exec, exec, s[92:93]
	s_and_saveexec_b64 s[92:93], s[62:63]
	s_cbranch_execz .LBB1226_1098
.LBB1226_1164:                          ;   in Loop: Header=BB1226_974 Depth=2
	ds_read_b64 v[39:40], v106 offset:25600
	s_waitcnt lgkmcnt(0)
	v_cmp_ne_u64_e32 vcc, s[82:83], v[39:40]
	v_cndmask_b32_e32 v40, v135, v40, vcc
	v_cndmask_b32_e32 v39, 0, v39, vcc
	v_lshrrev_b64 v[39:40], s7, v[39:40]
	v_and_b32_e32 v141, s96, v39
	s_or_b64 exec, exec, s[92:93]
	s_and_saveexec_b64 s[92:93], s[64:65]
	s_cbranch_execz .LBB1226_1099
.LBB1226_1165:                          ;   in Loop: Header=BB1226_974 Depth=2
	ds_read_b64 v[39:40], v106 offset:27648
	s_waitcnt lgkmcnt(0)
	v_cmp_ne_u64_e32 vcc, s[82:83], v[39:40]
	v_cndmask_b32_e32 v40, v135, v40, vcc
	v_cndmask_b32_e32 v39, 0, v39, vcc
	v_lshrrev_b64 v[39:40], s7, v[39:40]
	v_and_b32_e32 v140, s96, v39
	s_or_b64 exec, exec, s[92:93]
	s_and_saveexec_b64 s[92:93], s[66:67]
	s_cbranch_execz .LBB1226_1100
.LBB1226_1166:                          ;   in Loop: Header=BB1226_974 Depth=2
	ds_read_b64 v[39:40], v106 offset:29696
	s_waitcnt lgkmcnt(0)
	v_cmp_ne_u64_e32 vcc, s[82:83], v[39:40]
	v_cndmask_b32_e32 v40, v135, v40, vcc
	v_cndmask_b32_e32 v39, 0, v39, vcc
	v_lshrrev_b64 v[39:40], s7, v[39:40]
	v_and_b32_e32 v139, s96, v39
	s_or_b64 exec, exec, s[92:93]
	s_and_saveexec_b64 s[92:93], s[68:69]
	s_cbranch_execnz .LBB1226_1101
	s_branch .LBB1226_1102
.LBB1226_1167:                          ;   in Loop: Header=BB1226_974 Depth=2
	v_lshlrev_b32_e32 v39, 2, v162
	ds_read_b32 v41, v39
	ds_read_b64 v[39:40], v106 offset:1024
	v_mov_b32_e32 v42, v3
	v_mov_b32_e32 v43, s87
	s_waitcnt lgkmcnt(1)
	v_add_u32_e32 v41, v41, v0
	v_lshlrev_b64 v[41:42], 3, v[41:42]
	v_add_co_u32_e32 v41, vcc, s86, v41
	v_addc_co_u32_e32 v42, vcc, v43, v42, vcc
	s_waitcnt lgkmcnt(0)
	global_store_dwordx2 v[41:42], v[39:40], off
	s_or_b64 exec, exec, s[92:93]
	s_and_saveexec_b64 s[38:39], s[40:41]
	s_cbranch_execz .LBB1226_1104
.LBB1226_1168:                          ;   in Loop: Header=BB1226_974 Depth=2
	v_lshlrev_b32_e32 v39, 2, v160
	ds_read_b32 v41, v39
	ds_read_b64 v[39:40], v106 offset:3072
	v_mov_b32_e32 v42, v3
	v_mov_b32_e32 v43, s87
	s_waitcnt lgkmcnt(1)
	v_add_u32_e32 v41, v41, v76
	v_lshlrev_b64 v[41:42], 3, v[41:42]
	v_add_co_u32_e32 v41, vcc, s86, v41
	v_addc_co_u32_e32 v42, vcc, v43, v42, vcc
	s_waitcnt lgkmcnt(0)
	global_store_dwordx2 v[41:42], v[39:40], off
	s_or_b64 exec, exec, s[38:39]
	s_and_saveexec_b64 s[38:39], s[42:43]
	s_cbranch_execz .LBB1226_1105
.LBB1226_1169:                          ;   in Loop: Header=BB1226_974 Depth=2
	v_lshlrev_b32_e32 v39, 2, v158
	ds_read_b32 v41, v39
	ds_read_b64 v[39:40], v106 offset:5120
	v_mov_b32_e32 v42, v3
	v_mov_b32_e32 v43, s87
	s_waitcnt lgkmcnt(1)
	v_add_u32_e32 v41, v41, v77
	v_lshlrev_b64 v[41:42], 3, v[41:42]
	v_add_co_u32_e32 v41, vcc, s86, v41
	v_addc_co_u32_e32 v42, vcc, v43, v42, vcc
	s_waitcnt lgkmcnt(0)
	global_store_dwordx2 v[41:42], v[39:40], off
	s_or_b64 exec, exec, s[38:39]
	s_and_saveexec_b64 s[38:39], s[44:45]
	s_cbranch_execz .LBB1226_1106
.LBB1226_1170:                          ;   in Loop: Header=BB1226_974 Depth=2
	v_lshlrev_b32_e32 v39, 2, v156
	ds_read_b32 v41, v39
	ds_read_b64 v[39:40], v106 offset:7168
	v_mov_b32_e32 v42, v3
	v_mov_b32_e32 v43, s87
	s_waitcnt lgkmcnt(1)
	v_add_u32_e32 v41, v41, v78
	v_lshlrev_b64 v[41:42], 3, v[41:42]
	v_add_co_u32_e32 v41, vcc, s86, v41
	v_addc_co_u32_e32 v42, vcc, v43, v42, vcc
	s_waitcnt lgkmcnt(0)
	global_store_dwordx2 v[41:42], v[39:40], off
	s_or_b64 exec, exec, s[38:39]
	s_and_saveexec_b64 s[38:39], s[46:47]
	s_cbranch_execz .LBB1226_1107
.LBB1226_1171:                          ;   in Loop: Header=BB1226_974 Depth=2
	v_lshlrev_b32_e32 v39, 2, v154
	ds_read_b32 v41, v39
	ds_read_b64 v[39:40], v106 offset:9216
	v_mov_b32_e32 v42, v3
	v_mov_b32_e32 v43, s87
	s_waitcnt lgkmcnt(1)
	v_add_u32_e32 v41, v41, v81
	v_lshlrev_b64 v[41:42], 3, v[41:42]
	v_add_co_u32_e32 v41, vcc, s86, v41
	v_addc_co_u32_e32 v42, vcc, v43, v42, vcc
	s_waitcnt lgkmcnt(0)
	global_store_dwordx2 v[41:42], v[39:40], off
	s_or_b64 exec, exec, s[38:39]
	s_and_saveexec_b64 s[38:39], s[48:49]
	s_cbranch_execz .LBB1226_1108
.LBB1226_1172:                          ;   in Loop: Header=BB1226_974 Depth=2
	v_lshlrev_b32_e32 v39, 2, v152
	ds_read_b32 v41, v39
	ds_read_b64 v[39:40], v106 offset:11264
	v_mov_b32_e32 v42, v3
	v_mov_b32_e32 v43, s87
	s_waitcnt lgkmcnt(1)
	v_add_u32_e32 v41, v41, v82
	v_lshlrev_b64 v[41:42], 3, v[41:42]
	v_add_co_u32_e32 v41, vcc, s86, v41
	v_addc_co_u32_e32 v42, vcc, v43, v42, vcc
	s_waitcnt lgkmcnt(0)
	global_store_dwordx2 v[41:42], v[39:40], off
	s_or_b64 exec, exec, s[38:39]
	s_and_saveexec_b64 s[38:39], s[50:51]
	s_cbranch_execz .LBB1226_1109
.LBB1226_1173:                          ;   in Loop: Header=BB1226_974 Depth=2
	v_lshlrev_b32_e32 v39, 2, v150
	ds_read_b32 v41, v39
	ds_read_b64 v[39:40], v106 offset:13312
	v_mov_b32_e32 v42, v3
	v_mov_b32_e32 v43, s87
	s_waitcnt lgkmcnt(1)
	v_add_u32_e32 v41, v41, v83
	v_lshlrev_b64 v[41:42], 3, v[41:42]
	v_add_co_u32_e32 v41, vcc, s86, v41
	v_addc_co_u32_e32 v42, vcc, v43, v42, vcc
	s_waitcnt lgkmcnt(0)
	global_store_dwordx2 v[41:42], v[39:40], off
	s_or_b64 exec, exec, s[38:39]
	s_and_saveexec_b64 s[38:39], s[52:53]
	s_cbranch_execz .LBB1226_1110
.LBB1226_1174:                          ;   in Loop: Header=BB1226_974 Depth=2
	v_lshlrev_b32_e32 v39, 2, v148
	ds_read_b32 v41, v39
	ds_read_b64 v[39:40], v106 offset:15360
	v_mov_b32_e32 v42, v3
	v_mov_b32_e32 v43, s87
	s_waitcnt lgkmcnt(1)
	v_add_u32_e32 v41, v41, v84
	v_lshlrev_b64 v[41:42], 3, v[41:42]
	v_add_co_u32_e32 v41, vcc, s86, v41
	v_addc_co_u32_e32 v42, vcc, v43, v42, vcc
	s_waitcnt lgkmcnt(0)
	global_store_dwordx2 v[41:42], v[39:40], off
	s_or_b64 exec, exec, s[38:39]
	s_and_saveexec_b64 s[38:39], s[54:55]
	s_cbranch_execz .LBB1226_1111
.LBB1226_1175:                          ;   in Loop: Header=BB1226_974 Depth=2
	v_lshlrev_b32_e32 v39, 2, v146
	ds_read_b32 v41, v39
	ds_read_b64 v[39:40], v106 offset:17408
	v_mov_b32_e32 v42, v3
	v_mov_b32_e32 v43, s87
	s_waitcnt lgkmcnt(1)
	v_add_u32_e32 v41, v41, v85
	v_lshlrev_b64 v[41:42], 3, v[41:42]
	v_add_co_u32_e32 v41, vcc, s86, v41
	v_addc_co_u32_e32 v42, vcc, v43, v42, vcc
	s_waitcnt lgkmcnt(0)
	global_store_dwordx2 v[41:42], v[39:40], off
	s_or_b64 exec, exec, s[38:39]
	s_and_saveexec_b64 s[38:39], s[56:57]
	s_cbranch_execz .LBB1226_1112
.LBB1226_1176:                          ;   in Loop: Header=BB1226_974 Depth=2
	v_lshlrev_b32_e32 v39, 2, v144
	ds_read_b32 v41, v39
	ds_read_b64 v[39:40], v106 offset:19456
	v_mov_b32_e32 v42, v3
	v_mov_b32_e32 v43, s87
	s_waitcnt lgkmcnt(1)
	v_add_u32_e32 v41, v41, v86
	v_lshlrev_b64 v[41:42], 3, v[41:42]
	v_add_co_u32_e32 v41, vcc, s86, v41
	v_addc_co_u32_e32 v42, vcc, v43, v42, vcc
	s_waitcnt lgkmcnt(0)
	global_store_dwordx2 v[41:42], v[39:40], off
	s_or_b64 exec, exec, s[38:39]
	s_and_saveexec_b64 s[38:39], s[58:59]
	s_cbranch_execz .LBB1226_1113
.LBB1226_1177:                          ;   in Loop: Header=BB1226_974 Depth=2
	v_lshlrev_b32_e32 v39, 2, v143
	ds_read_b32 v41, v39
	ds_read_b64 v[39:40], v106 offset:21504
	v_mov_b32_e32 v42, v3
	v_mov_b32_e32 v43, s87
	s_waitcnt lgkmcnt(1)
	v_add_u32_e32 v41, v41, v87
	v_lshlrev_b64 v[41:42], 3, v[41:42]
	v_add_co_u32_e32 v41, vcc, s86, v41
	v_addc_co_u32_e32 v42, vcc, v43, v42, vcc
	s_waitcnt lgkmcnt(0)
	global_store_dwordx2 v[41:42], v[39:40], off
	s_or_b64 exec, exec, s[38:39]
	s_and_saveexec_b64 s[38:39], s[60:61]
	s_cbranch_execz .LBB1226_1114
.LBB1226_1178:                          ;   in Loop: Header=BB1226_974 Depth=2
	v_lshlrev_b32_e32 v39, 2, v142
	ds_read_b32 v41, v39
	ds_read_b64 v[39:40], v106 offset:23552
	v_mov_b32_e32 v42, v3
	v_mov_b32_e32 v43, s87
	s_waitcnt lgkmcnt(1)
	v_add_u32_e32 v41, v41, v88
	v_lshlrev_b64 v[41:42], 3, v[41:42]
	v_add_co_u32_e32 v41, vcc, s86, v41
	v_addc_co_u32_e32 v42, vcc, v43, v42, vcc
	s_waitcnt lgkmcnt(0)
	global_store_dwordx2 v[41:42], v[39:40], off
	s_or_b64 exec, exec, s[38:39]
	s_and_saveexec_b64 s[38:39], s[62:63]
	s_cbranch_execz .LBB1226_1115
.LBB1226_1179:                          ;   in Loop: Header=BB1226_974 Depth=2
	v_lshlrev_b32_e32 v39, 2, v141
	ds_read_b32 v41, v39
	ds_read_b64 v[39:40], v106 offset:25600
	v_mov_b32_e32 v42, v3
	v_mov_b32_e32 v43, s87
	s_waitcnt lgkmcnt(1)
	v_add_u32_e32 v41, v41, v89
	v_lshlrev_b64 v[41:42], 3, v[41:42]
	v_add_co_u32_e32 v41, vcc, s86, v41
	v_addc_co_u32_e32 v42, vcc, v43, v42, vcc
	s_waitcnt lgkmcnt(0)
	global_store_dwordx2 v[41:42], v[39:40], off
	s_or_b64 exec, exec, s[38:39]
	s_and_saveexec_b64 s[38:39], s[64:65]
	s_cbranch_execz .LBB1226_1116
.LBB1226_1180:                          ;   in Loop: Header=BB1226_974 Depth=2
	v_lshlrev_b32_e32 v39, 2, v140
	ds_read_b32 v41, v39
	ds_read_b64 v[39:40], v106 offset:27648
	v_mov_b32_e32 v42, v3
	v_mov_b32_e32 v43, s87
	s_waitcnt lgkmcnt(1)
	v_add_u32_e32 v41, v41, v90
	v_lshlrev_b64 v[41:42], 3, v[41:42]
	v_add_co_u32_e32 v41, vcc, s86, v41
	v_addc_co_u32_e32 v42, vcc, v43, v42, vcc
	s_waitcnt lgkmcnt(0)
	global_store_dwordx2 v[41:42], v[39:40], off
	s_or_b64 exec, exec, s[38:39]
	s_and_saveexec_b64 s[38:39], s[66:67]
	s_cbranch_execz .LBB1226_1117
.LBB1226_1181:                          ;   in Loop: Header=BB1226_974 Depth=2
	v_lshlrev_b32_e32 v39, 2, v139
	ds_read_b32 v41, v39
	ds_read_b64 v[39:40], v106 offset:29696
	v_mov_b32_e32 v42, v3
	v_mov_b32_e32 v43, s87
	s_waitcnt lgkmcnt(1)
	v_add_u32_e32 v41, v41, v91
	v_lshlrev_b64 v[41:42], 3, v[41:42]
	v_add_co_u32_e32 v41, vcc, s86, v41
	v_addc_co_u32_e32 v42, vcc, v43, v42, vcc
	s_waitcnt lgkmcnt(0)
	global_store_dwordx2 v[41:42], v[39:40], off
	s_or_b64 exec, exec, s[38:39]
	s_and_saveexec_b64 s[38:39], s[68:69]
	s_cbranch_execnz .LBB1226_1118
	s_branch .LBB1226_1119
.LBB1226_1182:
	s_endpgm
	.section	.rodata,"a",@progbits
	.p2align	6, 0x0
	.amdhsa_kernel _ZN7rocprim17ROCPRIM_400000_NS6detail17trampoline_kernelINS0_14default_configENS1_36segmented_radix_sort_config_selectorIdlEEZNS1_25segmented_radix_sort_implIS3_Lb0EPKdPdPKlPlN2at6native12_GLOBAL__N_18offset_tEEE10hipError_tPvRmT1_PNSt15iterator_traitsISK_E10value_typeET2_T3_PNSL_ISQ_E10value_typeET4_jRbjT5_SW_jjP12ihipStream_tbEUlT_E_NS1_11comp_targetILNS1_3genE2ELNS1_11target_archE906ELNS1_3gpuE6ELNS1_3repE0EEENS1_30default_config_static_selectorELNS0_4arch9wavefront6targetE1EEEvSK_
		.amdhsa_group_segment_fixed_size 33808
		.amdhsa_private_segment_fixed_size 164
		.amdhsa_kernarg_size 352
		.amdhsa_user_sgpr_count 6
		.amdhsa_user_sgpr_private_segment_buffer 1
		.amdhsa_user_sgpr_dispatch_ptr 0
		.amdhsa_user_sgpr_queue_ptr 0
		.amdhsa_user_sgpr_kernarg_segment_ptr 1
		.amdhsa_user_sgpr_dispatch_id 0
		.amdhsa_user_sgpr_flat_scratch_init 0
		.amdhsa_user_sgpr_private_segment_size 0
		.amdhsa_uses_dynamic_stack 0
		.amdhsa_system_sgpr_private_segment_wavefront_offset 1
		.amdhsa_system_sgpr_workgroup_id_x 1
		.amdhsa_system_sgpr_workgroup_id_y 1
		.amdhsa_system_sgpr_workgroup_id_z 0
		.amdhsa_system_sgpr_workgroup_info 0
		.amdhsa_system_vgpr_workitem_id 2
		.amdhsa_next_free_vgpr 248
		.amdhsa_next_free_sgpr 100
		.amdhsa_reserve_vcc 1
		.amdhsa_reserve_flat_scratch 0
		.amdhsa_float_round_mode_32 0
		.amdhsa_float_round_mode_16_64 0
		.amdhsa_float_denorm_mode_32 3
		.amdhsa_float_denorm_mode_16_64 3
		.amdhsa_dx10_clamp 1
		.amdhsa_ieee_mode 1
		.amdhsa_fp16_overflow 0
		.amdhsa_exception_fp_ieee_invalid_op 0
		.amdhsa_exception_fp_denorm_src 0
		.amdhsa_exception_fp_ieee_div_zero 0
		.amdhsa_exception_fp_ieee_overflow 0
		.amdhsa_exception_fp_ieee_underflow 0
		.amdhsa_exception_fp_ieee_inexact 0
		.amdhsa_exception_int_div_zero 0
	.end_amdhsa_kernel
	.section	.text._ZN7rocprim17ROCPRIM_400000_NS6detail17trampoline_kernelINS0_14default_configENS1_36segmented_radix_sort_config_selectorIdlEEZNS1_25segmented_radix_sort_implIS3_Lb0EPKdPdPKlPlN2at6native12_GLOBAL__N_18offset_tEEE10hipError_tPvRmT1_PNSt15iterator_traitsISK_E10value_typeET2_T3_PNSL_ISQ_E10value_typeET4_jRbjT5_SW_jjP12ihipStream_tbEUlT_E_NS1_11comp_targetILNS1_3genE2ELNS1_11target_archE906ELNS1_3gpuE6ELNS1_3repE0EEENS1_30default_config_static_selectorELNS0_4arch9wavefront6targetE1EEEvSK_,"axG",@progbits,_ZN7rocprim17ROCPRIM_400000_NS6detail17trampoline_kernelINS0_14default_configENS1_36segmented_radix_sort_config_selectorIdlEEZNS1_25segmented_radix_sort_implIS3_Lb0EPKdPdPKlPlN2at6native12_GLOBAL__N_18offset_tEEE10hipError_tPvRmT1_PNSt15iterator_traitsISK_E10value_typeET2_T3_PNSL_ISQ_E10value_typeET4_jRbjT5_SW_jjP12ihipStream_tbEUlT_E_NS1_11comp_targetILNS1_3genE2ELNS1_11target_archE906ELNS1_3gpuE6ELNS1_3repE0EEENS1_30default_config_static_selectorELNS0_4arch9wavefront6targetE1EEEvSK_,comdat
.Lfunc_end1226:
	.size	_ZN7rocprim17ROCPRIM_400000_NS6detail17trampoline_kernelINS0_14default_configENS1_36segmented_radix_sort_config_selectorIdlEEZNS1_25segmented_radix_sort_implIS3_Lb0EPKdPdPKlPlN2at6native12_GLOBAL__N_18offset_tEEE10hipError_tPvRmT1_PNSt15iterator_traitsISK_E10value_typeET2_T3_PNSL_ISQ_E10value_typeET4_jRbjT5_SW_jjP12ihipStream_tbEUlT_E_NS1_11comp_targetILNS1_3genE2ELNS1_11target_archE906ELNS1_3gpuE6ELNS1_3repE0EEENS1_30default_config_static_selectorELNS0_4arch9wavefront6targetE1EEEvSK_, .Lfunc_end1226-_ZN7rocprim17ROCPRIM_400000_NS6detail17trampoline_kernelINS0_14default_configENS1_36segmented_radix_sort_config_selectorIdlEEZNS1_25segmented_radix_sort_implIS3_Lb0EPKdPdPKlPlN2at6native12_GLOBAL__N_18offset_tEEE10hipError_tPvRmT1_PNSt15iterator_traitsISK_E10value_typeET2_T3_PNSL_ISQ_E10value_typeET4_jRbjT5_SW_jjP12ihipStream_tbEUlT_E_NS1_11comp_targetILNS1_3genE2ELNS1_11target_archE906ELNS1_3gpuE6ELNS1_3repE0EEENS1_30default_config_static_selectorELNS0_4arch9wavefront6targetE1EEEvSK_
                                        ; -- End function
	.set _ZN7rocprim17ROCPRIM_400000_NS6detail17trampoline_kernelINS0_14default_configENS1_36segmented_radix_sort_config_selectorIdlEEZNS1_25segmented_radix_sort_implIS3_Lb0EPKdPdPKlPlN2at6native12_GLOBAL__N_18offset_tEEE10hipError_tPvRmT1_PNSt15iterator_traitsISK_E10value_typeET2_T3_PNSL_ISQ_E10value_typeET4_jRbjT5_SW_jjP12ihipStream_tbEUlT_E_NS1_11comp_targetILNS1_3genE2ELNS1_11target_archE906ELNS1_3gpuE6ELNS1_3repE0EEENS1_30default_config_static_selectorELNS0_4arch9wavefront6targetE1EEEvSK_.num_vgpr, max(228, .L_ZN7rocprim17ROCPRIM_400000_NS6detail40segmented_radix_sort_single_block_helperIdlLj256ELj16ELb0EE4sortIPKdPdPKlPlEEbT_T0_T1_T2_jjjjRNS3_12storage_typeE.num_vgpr)
	.set _ZN7rocprim17ROCPRIM_400000_NS6detail17trampoline_kernelINS0_14default_configENS1_36segmented_radix_sort_config_selectorIdlEEZNS1_25segmented_radix_sort_implIS3_Lb0EPKdPdPKlPlN2at6native12_GLOBAL__N_18offset_tEEE10hipError_tPvRmT1_PNSt15iterator_traitsISK_E10value_typeET2_T3_PNSL_ISQ_E10value_typeET4_jRbjT5_SW_jjP12ihipStream_tbEUlT_E_NS1_11comp_targetILNS1_3genE2ELNS1_11target_archE906ELNS1_3gpuE6ELNS1_3repE0EEENS1_30default_config_static_selectorELNS0_4arch9wavefront6targetE1EEEvSK_.num_agpr, max(0, .L_ZN7rocprim17ROCPRIM_400000_NS6detail40segmented_radix_sort_single_block_helperIdlLj256ELj16ELb0EE4sortIPKdPdPKlPlEEbT_T0_T1_T2_jjjjRNS3_12storage_typeE.num_agpr)
	.set _ZN7rocprim17ROCPRIM_400000_NS6detail17trampoline_kernelINS0_14default_configENS1_36segmented_radix_sort_config_selectorIdlEEZNS1_25segmented_radix_sort_implIS3_Lb0EPKdPdPKlPlN2at6native12_GLOBAL__N_18offset_tEEE10hipError_tPvRmT1_PNSt15iterator_traitsISK_E10value_typeET2_T3_PNSL_ISQ_E10value_typeET4_jRbjT5_SW_jjP12ihipStream_tbEUlT_E_NS1_11comp_targetILNS1_3genE2ELNS1_11target_archE906ELNS1_3gpuE6ELNS1_3repE0EEENS1_30default_config_static_selectorELNS0_4arch9wavefront6targetE1EEEvSK_.numbered_sgpr, max(100, .L_ZN7rocprim17ROCPRIM_400000_NS6detail40segmented_radix_sort_single_block_helperIdlLj256ELj16ELb0EE4sortIPKdPdPKlPlEEbT_T0_T1_T2_jjjjRNS3_12storage_typeE.numbered_sgpr)
	.set _ZN7rocprim17ROCPRIM_400000_NS6detail17trampoline_kernelINS0_14default_configENS1_36segmented_radix_sort_config_selectorIdlEEZNS1_25segmented_radix_sort_implIS3_Lb0EPKdPdPKlPlN2at6native12_GLOBAL__N_18offset_tEEE10hipError_tPvRmT1_PNSt15iterator_traitsISK_E10value_typeET2_T3_PNSL_ISQ_E10value_typeET4_jRbjT5_SW_jjP12ihipStream_tbEUlT_E_NS1_11comp_targetILNS1_3genE2ELNS1_11target_archE906ELNS1_3gpuE6ELNS1_3repE0EEENS1_30default_config_static_selectorELNS0_4arch9wavefront6targetE1EEEvSK_.num_named_barrier, max(0, .L_ZN7rocprim17ROCPRIM_400000_NS6detail40segmented_radix_sort_single_block_helperIdlLj256ELj16ELb0EE4sortIPKdPdPKlPlEEbT_T0_T1_T2_jjjjRNS3_12storage_typeE.num_named_barrier)
	.set _ZN7rocprim17ROCPRIM_400000_NS6detail17trampoline_kernelINS0_14default_configENS1_36segmented_radix_sort_config_selectorIdlEEZNS1_25segmented_radix_sort_implIS3_Lb0EPKdPdPKlPlN2at6native12_GLOBAL__N_18offset_tEEE10hipError_tPvRmT1_PNSt15iterator_traitsISK_E10value_typeET2_T3_PNSL_ISQ_E10value_typeET4_jRbjT5_SW_jjP12ihipStream_tbEUlT_E_NS1_11comp_targetILNS1_3genE2ELNS1_11target_archE906ELNS1_3gpuE6ELNS1_3repE0EEENS1_30default_config_static_selectorELNS0_4arch9wavefront6targetE1EEEvSK_.private_seg_size, 0+max(.L_ZN7rocprim17ROCPRIM_400000_NS6detail40segmented_radix_sort_single_block_helperIdlLj256ELj16ELb0EE4sortIPKdPdPKlPlEEbT_T0_T1_T2_jjjjRNS3_12storage_typeE.private_seg_size)
	.set _ZN7rocprim17ROCPRIM_400000_NS6detail17trampoline_kernelINS0_14default_configENS1_36segmented_radix_sort_config_selectorIdlEEZNS1_25segmented_radix_sort_implIS3_Lb0EPKdPdPKlPlN2at6native12_GLOBAL__N_18offset_tEEE10hipError_tPvRmT1_PNSt15iterator_traitsISK_E10value_typeET2_T3_PNSL_ISQ_E10value_typeET4_jRbjT5_SW_jjP12ihipStream_tbEUlT_E_NS1_11comp_targetILNS1_3genE2ELNS1_11target_archE906ELNS1_3gpuE6ELNS1_3repE0EEENS1_30default_config_static_selectorELNS0_4arch9wavefront6targetE1EEEvSK_.uses_vcc, or(1, .L_ZN7rocprim17ROCPRIM_400000_NS6detail40segmented_radix_sort_single_block_helperIdlLj256ELj16ELb0EE4sortIPKdPdPKlPlEEbT_T0_T1_T2_jjjjRNS3_12storage_typeE.uses_vcc)
	.set _ZN7rocprim17ROCPRIM_400000_NS6detail17trampoline_kernelINS0_14default_configENS1_36segmented_radix_sort_config_selectorIdlEEZNS1_25segmented_radix_sort_implIS3_Lb0EPKdPdPKlPlN2at6native12_GLOBAL__N_18offset_tEEE10hipError_tPvRmT1_PNSt15iterator_traitsISK_E10value_typeET2_T3_PNSL_ISQ_E10value_typeET4_jRbjT5_SW_jjP12ihipStream_tbEUlT_E_NS1_11comp_targetILNS1_3genE2ELNS1_11target_archE906ELNS1_3gpuE6ELNS1_3repE0EEENS1_30default_config_static_selectorELNS0_4arch9wavefront6targetE1EEEvSK_.uses_flat_scratch, or(0, .L_ZN7rocprim17ROCPRIM_400000_NS6detail40segmented_radix_sort_single_block_helperIdlLj256ELj16ELb0EE4sortIPKdPdPKlPlEEbT_T0_T1_T2_jjjjRNS3_12storage_typeE.uses_flat_scratch)
	.set _ZN7rocprim17ROCPRIM_400000_NS6detail17trampoline_kernelINS0_14default_configENS1_36segmented_radix_sort_config_selectorIdlEEZNS1_25segmented_radix_sort_implIS3_Lb0EPKdPdPKlPlN2at6native12_GLOBAL__N_18offset_tEEE10hipError_tPvRmT1_PNSt15iterator_traitsISK_E10value_typeET2_T3_PNSL_ISQ_E10value_typeET4_jRbjT5_SW_jjP12ihipStream_tbEUlT_E_NS1_11comp_targetILNS1_3genE2ELNS1_11target_archE906ELNS1_3gpuE6ELNS1_3repE0EEENS1_30default_config_static_selectorELNS0_4arch9wavefront6targetE1EEEvSK_.has_dyn_sized_stack, or(0, .L_ZN7rocprim17ROCPRIM_400000_NS6detail40segmented_radix_sort_single_block_helperIdlLj256ELj16ELb0EE4sortIPKdPdPKlPlEEbT_T0_T1_T2_jjjjRNS3_12storage_typeE.has_dyn_sized_stack)
	.set _ZN7rocprim17ROCPRIM_400000_NS6detail17trampoline_kernelINS0_14default_configENS1_36segmented_radix_sort_config_selectorIdlEEZNS1_25segmented_radix_sort_implIS3_Lb0EPKdPdPKlPlN2at6native12_GLOBAL__N_18offset_tEEE10hipError_tPvRmT1_PNSt15iterator_traitsISK_E10value_typeET2_T3_PNSL_ISQ_E10value_typeET4_jRbjT5_SW_jjP12ihipStream_tbEUlT_E_NS1_11comp_targetILNS1_3genE2ELNS1_11target_archE906ELNS1_3gpuE6ELNS1_3repE0EEENS1_30default_config_static_selectorELNS0_4arch9wavefront6targetE1EEEvSK_.has_recursion, or(0, .L_ZN7rocprim17ROCPRIM_400000_NS6detail40segmented_radix_sort_single_block_helperIdlLj256ELj16ELb0EE4sortIPKdPdPKlPlEEbT_T0_T1_T2_jjjjRNS3_12storage_typeE.has_recursion)
	.set _ZN7rocprim17ROCPRIM_400000_NS6detail17trampoline_kernelINS0_14default_configENS1_36segmented_radix_sort_config_selectorIdlEEZNS1_25segmented_radix_sort_implIS3_Lb0EPKdPdPKlPlN2at6native12_GLOBAL__N_18offset_tEEE10hipError_tPvRmT1_PNSt15iterator_traitsISK_E10value_typeET2_T3_PNSL_ISQ_E10value_typeET4_jRbjT5_SW_jjP12ihipStream_tbEUlT_E_NS1_11comp_targetILNS1_3genE2ELNS1_11target_archE906ELNS1_3gpuE6ELNS1_3repE0EEENS1_30default_config_static_selectorELNS0_4arch9wavefront6targetE1EEEvSK_.has_indirect_call, or(0, .L_ZN7rocprim17ROCPRIM_400000_NS6detail40segmented_radix_sort_single_block_helperIdlLj256ELj16ELb0EE4sortIPKdPdPKlPlEEbT_T0_T1_T2_jjjjRNS3_12storage_typeE.has_indirect_call)
	.section	.AMDGPU.csdata,"",@progbits
; Kernel info:
; codeLenInByte = 71888
; TotalNumSgprs: 104
; NumVgprs: 248
; ScratchSize: 164
; MemoryBound: 0
; FloatMode: 240
; IeeeMode: 1
; LDSByteSize: 33808 bytes/workgroup (compile time only)
; SGPRBlocks: 12
; VGPRBlocks: 61
; NumSGPRsForWavesPerEU: 104
; NumVGPRsForWavesPerEU: 248
; Occupancy: 1
; WaveLimiterHint : 1
; COMPUTE_PGM_RSRC2:SCRATCH_EN: 1
; COMPUTE_PGM_RSRC2:USER_SGPR: 6
; COMPUTE_PGM_RSRC2:TRAP_HANDLER: 0
; COMPUTE_PGM_RSRC2:TGID_X_EN: 1
; COMPUTE_PGM_RSRC2:TGID_Y_EN: 1
; COMPUTE_PGM_RSRC2:TGID_Z_EN: 0
; COMPUTE_PGM_RSRC2:TIDIG_COMP_CNT: 2
	.section	.text._ZN7rocprim17ROCPRIM_400000_NS6detail17trampoline_kernelINS0_14default_configENS1_36segmented_radix_sort_config_selectorIdlEEZNS1_25segmented_radix_sort_implIS3_Lb0EPKdPdPKlPlN2at6native12_GLOBAL__N_18offset_tEEE10hipError_tPvRmT1_PNSt15iterator_traitsISK_E10value_typeET2_T3_PNSL_ISQ_E10value_typeET4_jRbjT5_SW_jjP12ihipStream_tbEUlT_E_NS1_11comp_targetILNS1_3genE10ELNS1_11target_archE1201ELNS1_3gpuE5ELNS1_3repE0EEENS1_30default_config_static_selectorELNS0_4arch9wavefront6targetE1EEEvSK_,"axG",@progbits,_ZN7rocprim17ROCPRIM_400000_NS6detail17trampoline_kernelINS0_14default_configENS1_36segmented_radix_sort_config_selectorIdlEEZNS1_25segmented_radix_sort_implIS3_Lb0EPKdPdPKlPlN2at6native12_GLOBAL__N_18offset_tEEE10hipError_tPvRmT1_PNSt15iterator_traitsISK_E10value_typeET2_T3_PNSL_ISQ_E10value_typeET4_jRbjT5_SW_jjP12ihipStream_tbEUlT_E_NS1_11comp_targetILNS1_3genE10ELNS1_11target_archE1201ELNS1_3gpuE5ELNS1_3repE0EEENS1_30default_config_static_selectorELNS0_4arch9wavefront6targetE1EEEvSK_,comdat
	.globl	_ZN7rocprim17ROCPRIM_400000_NS6detail17trampoline_kernelINS0_14default_configENS1_36segmented_radix_sort_config_selectorIdlEEZNS1_25segmented_radix_sort_implIS3_Lb0EPKdPdPKlPlN2at6native12_GLOBAL__N_18offset_tEEE10hipError_tPvRmT1_PNSt15iterator_traitsISK_E10value_typeET2_T3_PNSL_ISQ_E10value_typeET4_jRbjT5_SW_jjP12ihipStream_tbEUlT_E_NS1_11comp_targetILNS1_3genE10ELNS1_11target_archE1201ELNS1_3gpuE5ELNS1_3repE0EEENS1_30default_config_static_selectorELNS0_4arch9wavefront6targetE1EEEvSK_ ; -- Begin function _ZN7rocprim17ROCPRIM_400000_NS6detail17trampoline_kernelINS0_14default_configENS1_36segmented_radix_sort_config_selectorIdlEEZNS1_25segmented_radix_sort_implIS3_Lb0EPKdPdPKlPlN2at6native12_GLOBAL__N_18offset_tEEE10hipError_tPvRmT1_PNSt15iterator_traitsISK_E10value_typeET2_T3_PNSL_ISQ_E10value_typeET4_jRbjT5_SW_jjP12ihipStream_tbEUlT_E_NS1_11comp_targetILNS1_3genE10ELNS1_11target_archE1201ELNS1_3gpuE5ELNS1_3repE0EEENS1_30default_config_static_selectorELNS0_4arch9wavefront6targetE1EEEvSK_
	.p2align	8
	.type	_ZN7rocprim17ROCPRIM_400000_NS6detail17trampoline_kernelINS0_14default_configENS1_36segmented_radix_sort_config_selectorIdlEEZNS1_25segmented_radix_sort_implIS3_Lb0EPKdPdPKlPlN2at6native12_GLOBAL__N_18offset_tEEE10hipError_tPvRmT1_PNSt15iterator_traitsISK_E10value_typeET2_T3_PNSL_ISQ_E10value_typeET4_jRbjT5_SW_jjP12ihipStream_tbEUlT_E_NS1_11comp_targetILNS1_3genE10ELNS1_11target_archE1201ELNS1_3gpuE5ELNS1_3repE0EEENS1_30default_config_static_selectorELNS0_4arch9wavefront6targetE1EEEvSK_,@function
_ZN7rocprim17ROCPRIM_400000_NS6detail17trampoline_kernelINS0_14default_configENS1_36segmented_radix_sort_config_selectorIdlEEZNS1_25segmented_radix_sort_implIS3_Lb0EPKdPdPKlPlN2at6native12_GLOBAL__N_18offset_tEEE10hipError_tPvRmT1_PNSt15iterator_traitsISK_E10value_typeET2_T3_PNSL_ISQ_E10value_typeET4_jRbjT5_SW_jjP12ihipStream_tbEUlT_E_NS1_11comp_targetILNS1_3genE10ELNS1_11target_archE1201ELNS1_3gpuE5ELNS1_3repE0EEENS1_30default_config_static_selectorELNS0_4arch9wavefront6targetE1EEEvSK_: ; @_ZN7rocprim17ROCPRIM_400000_NS6detail17trampoline_kernelINS0_14default_configENS1_36segmented_radix_sort_config_selectorIdlEEZNS1_25segmented_radix_sort_implIS3_Lb0EPKdPdPKlPlN2at6native12_GLOBAL__N_18offset_tEEE10hipError_tPvRmT1_PNSt15iterator_traitsISK_E10value_typeET2_T3_PNSL_ISQ_E10value_typeET4_jRbjT5_SW_jjP12ihipStream_tbEUlT_E_NS1_11comp_targetILNS1_3genE10ELNS1_11target_archE1201ELNS1_3gpuE5ELNS1_3repE0EEENS1_30default_config_static_selectorELNS0_4arch9wavefront6targetE1EEEvSK_
; %bb.0:
	.section	.rodata,"a",@progbits
	.p2align	6, 0x0
	.amdhsa_kernel _ZN7rocprim17ROCPRIM_400000_NS6detail17trampoline_kernelINS0_14default_configENS1_36segmented_radix_sort_config_selectorIdlEEZNS1_25segmented_radix_sort_implIS3_Lb0EPKdPdPKlPlN2at6native12_GLOBAL__N_18offset_tEEE10hipError_tPvRmT1_PNSt15iterator_traitsISK_E10value_typeET2_T3_PNSL_ISQ_E10value_typeET4_jRbjT5_SW_jjP12ihipStream_tbEUlT_E_NS1_11comp_targetILNS1_3genE10ELNS1_11target_archE1201ELNS1_3gpuE5ELNS1_3repE0EEENS1_30default_config_static_selectorELNS0_4arch9wavefront6targetE1EEEvSK_
		.amdhsa_group_segment_fixed_size 0
		.amdhsa_private_segment_fixed_size 0
		.amdhsa_kernarg_size 96
		.amdhsa_user_sgpr_count 6
		.amdhsa_user_sgpr_private_segment_buffer 1
		.amdhsa_user_sgpr_dispatch_ptr 0
		.amdhsa_user_sgpr_queue_ptr 0
		.amdhsa_user_sgpr_kernarg_segment_ptr 1
		.amdhsa_user_sgpr_dispatch_id 0
		.amdhsa_user_sgpr_flat_scratch_init 0
		.amdhsa_user_sgpr_private_segment_size 0
		.amdhsa_uses_dynamic_stack 0
		.amdhsa_system_sgpr_private_segment_wavefront_offset 0
		.amdhsa_system_sgpr_workgroup_id_x 1
		.amdhsa_system_sgpr_workgroup_id_y 0
		.amdhsa_system_sgpr_workgroup_id_z 0
		.amdhsa_system_sgpr_workgroup_info 0
		.amdhsa_system_vgpr_workitem_id 0
		.amdhsa_next_free_vgpr 1
		.amdhsa_next_free_sgpr 0
		.amdhsa_reserve_vcc 0
		.amdhsa_reserve_flat_scratch 0
		.amdhsa_float_round_mode_32 0
		.amdhsa_float_round_mode_16_64 0
		.amdhsa_float_denorm_mode_32 3
		.amdhsa_float_denorm_mode_16_64 3
		.amdhsa_dx10_clamp 1
		.amdhsa_ieee_mode 1
		.amdhsa_fp16_overflow 0
		.amdhsa_exception_fp_ieee_invalid_op 0
		.amdhsa_exception_fp_denorm_src 0
		.amdhsa_exception_fp_ieee_div_zero 0
		.amdhsa_exception_fp_ieee_overflow 0
		.amdhsa_exception_fp_ieee_underflow 0
		.amdhsa_exception_fp_ieee_inexact 0
		.amdhsa_exception_int_div_zero 0
	.end_amdhsa_kernel
	.section	.text._ZN7rocprim17ROCPRIM_400000_NS6detail17trampoline_kernelINS0_14default_configENS1_36segmented_radix_sort_config_selectorIdlEEZNS1_25segmented_radix_sort_implIS3_Lb0EPKdPdPKlPlN2at6native12_GLOBAL__N_18offset_tEEE10hipError_tPvRmT1_PNSt15iterator_traitsISK_E10value_typeET2_T3_PNSL_ISQ_E10value_typeET4_jRbjT5_SW_jjP12ihipStream_tbEUlT_E_NS1_11comp_targetILNS1_3genE10ELNS1_11target_archE1201ELNS1_3gpuE5ELNS1_3repE0EEENS1_30default_config_static_selectorELNS0_4arch9wavefront6targetE1EEEvSK_,"axG",@progbits,_ZN7rocprim17ROCPRIM_400000_NS6detail17trampoline_kernelINS0_14default_configENS1_36segmented_radix_sort_config_selectorIdlEEZNS1_25segmented_radix_sort_implIS3_Lb0EPKdPdPKlPlN2at6native12_GLOBAL__N_18offset_tEEE10hipError_tPvRmT1_PNSt15iterator_traitsISK_E10value_typeET2_T3_PNSL_ISQ_E10value_typeET4_jRbjT5_SW_jjP12ihipStream_tbEUlT_E_NS1_11comp_targetILNS1_3genE10ELNS1_11target_archE1201ELNS1_3gpuE5ELNS1_3repE0EEENS1_30default_config_static_selectorELNS0_4arch9wavefront6targetE1EEEvSK_,comdat
.Lfunc_end1227:
	.size	_ZN7rocprim17ROCPRIM_400000_NS6detail17trampoline_kernelINS0_14default_configENS1_36segmented_radix_sort_config_selectorIdlEEZNS1_25segmented_radix_sort_implIS3_Lb0EPKdPdPKlPlN2at6native12_GLOBAL__N_18offset_tEEE10hipError_tPvRmT1_PNSt15iterator_traitsISK_E10value_typeET2_T3_PNSL_ISQ_E10value_typeET4_jRbjT5_SW_jjP12ihipStream_tbEUlT_E_NS1_11comp_targetILNS1_3genE10ELNS1_11target_archE1201ELNS1_3gpuE5ELNS1_3repE0EEENS1_30default_config_static_selectorELNS0_4arch9wavefront6targetE1EEEvSK_, .Lfunc_end1227-_ZN7rocprim17ROCPRIM_400000_NS6detail17trampoline_kernelINS0_14default_configENS1_36segmented_radix_sort_config_selectorIdlEEZNS1_25segmented_radix_sort_implIS3_Lb0EPKdPdPKlPlN2at6native12_GLOBAL__N_18offset_tEEE10hipError_tPvRmT1_PNSt15iterator_traitsISK_E10value_typeET2_T3_PNSL_ISQ_E10value_typeET4_jRbjT5_SW_jjP12ihipStream_tbEUlT_E_NS1_11comp_targetILNS1_3genE10ELNS1_11target_archE1201ELNS1_3gpuE5ELNS1_3repE0EEENS1_30default_config_static_selectorELNS0_4arch9wavefront6targetE1EEEvSK_
                                        ; -- End function
	.set _ZN7rocprim17ROCPRIM_400000_NS6detail17trampoline_kernelINS0_14default_configENS1_36segmented_radix_sort_config_selectorIdlEEZNS1_25segmented_radix_sort_implIS3_Lb0EPKdPdPKlPlN2at6native12_GLOBAL__N_18offset_tEEE10hipError_tPvRmT1_PNSt15iterator_traitsISK_E10value_typeET2_T3_PNSL_ISQ_E10value_typeET4_jRbjT5_SW_jjP12ihipStream_tbEUlT_E_NS1_11comp_targetILNS1_3genE10ELNS1_11target_archE1201ELNS1_3gpuE5ELNS1_3repE0EEENS1_30default_config_static_selectorELNS0_4arch9wavefront6targetE1EEEvSK_.num_vgpr, 0
	.set _ZN7rocprim17ROCPRIM_400000_NS6detail17trampoline_kernelINS0_14default_configENS1_36segmented_radix_sort_config_selectorIdlEEZNS1_25segmented_radix_sort_implIS3_Lb0EPKdPdPKlPlN2at6native12_GLOBAL__N_18offset_tEEE10hipError_tPvRmT1_PNSt15iterator_traitsISK_E10value_typeET2_T3_PNSL_ISQ_E10value_typeET4_jRbjT5_SW_jjP12ihipStream_tbEUlT_E_NS1_11comp_targetILNS1_3genE10ELNS1_11target_archE1201ELNS1_3gpuE5ELNS1_3repE0EEENS1_30default_config_static_selectorELNS0_4arch9wavefront6targetE1EEEvSK_.num_agpr, 0
	.set _ZN7rocprim17ROCPRIM_400000_NS6detail17trampoline_kernelINS0_14default_configENS1_36segmented_radix_sort_config_selectorIdlEEZNS1_25segmented_radix_sort_implIS3_Lb0EPKdPdPKlPlN2at6native12_GLOBAL__N_18offset_tEEE10hipError_tPvRmT1_PNSt15iterator_traitsISK_E10value_typeET2_T3_PNSL_ISQ_E10value_typeET4_jRbjT5_SW_jjP12ihipStream_tbEUlT_E_NS1_11comp_targetILNS1_3genE10ELNS1_11target_archE1201ELNS1_3gpuE5ELNS1_3repE0EEENS1_30default_config_static_selectorELNS0_4arch9wavefront6targetE1EEEvSK_.numbered_sgpr, 0
	.set _ZN7rocprim17ROCPRIM_400000_NS6detail17trampoline_kernelINS0_14default_configENS1_36segmented_radix_sort_config_selectorIdlEEZNS1_25segmented_radix_sort_implIS3_Lb0EPKdPdPKlPlN2at6native12_GLOBAL__N_18offset_tEEE10hipError_tPvRmT1_PNSt15iterator_traitsISK_E10value_typeET2_T3_PNSL_ISQ_E10value_typeET4_jRbjT5_SW_jjP12ihipStream_tbEUlT_E_NS1_11comp_targetILNS1_3genE10ELNS1_11target_archE1201ELNS1_3gpuE5ELNS1_3repE0EEENS1_30default_config_static_selectorELNS0_4arch9wavefront6targetE1EEEvSK_.num_named_barrier, 0
	.set _ZN7rocprim17ROCPRIM_400000_NS6detail17trampoline_kernelINS0_14default_configENS1_36segmented_radix_sort_config_selectorIdlEEZNS1_25segmented_radix_sort_implIS3_Lb0EPKdPdPKlPlN2at6native12_GLOBAL__N_18offset_tEEE10hipError_tPvRmT1_PNSt15iterator_traitsISK_E10value_typeET2_T3_PNSL_ISQ_E10value_typeET4_jRbjT5_SW_jjP12ihipStream_tbEUlT_E_NS1_11comp_targetILNS1_3genE10ELNS1_11target_archE1201ELNS1_3gpuE5ELNS1_3repE0EEENS1_30default_config_static_selectorELNS0_4arch9wavefront6targetE1EEEvSK_.private_seg_size, 0
	.set _ZN7rocprim17ROCPRIM_400000_NS6detail17trampoline_kernelINS0_14default_configENS1_36segmented_radix_sort_config_selectorIdlEEZNS1_25segmented_radix_sort_implIS3_Lb0EPKdPdPKlPlN2at6native12_GLOBAL__N_18offset_tEEE10hipError_tPvRmT1_PNSt15iterator_traitsISK_E10value_typeET2_T3_PNSL_ISQ_E10value_typeET4_jRbjT5_SW_jjP12ihipStream_tbEUlT_E_NS1_11comp_targetILNS1_3genE10ELNS1_11target_archE1201ELNS1_3gpuE5ELNS1_3repE0EEENS1_30default_config_static_selectorELNS0_4arch9wavefront6targetE1EEEvSK_.uses_vcc, 0
	.set _ZN7rocprim17ROCPRIM_400000_NS6detail17trampoline_kernelINS0_14default_configENS1_36segmented_radix_sort_config_selectorIdlEEZNS1_25segmented_radix_sort_implIS3_Lb0EPKdPdPKlPlN2at6native12_GLOBAL__N_18offset_tEEE10hipError_tPvRmT1_PNSt15iterator_traitsISK_E10value_typeET2_T3_PNSL_ISQ_E10value_typeET4_jRbjT5_SW_jjP12ihipStream_tbEUlT_E_NS1_11comp_targetILNS1_3genE10ELNS1_11target_archE1201ELNS1_3gpuE5ELNS1_3repE0EEENS1_30default_config_static_selectorELNS0_4arch9wavefront6targetE1EEEvSK_.uses_flat_scratch, 0
	.set _ZN7rocprim17ROCPRIM_400000_NS6detail17trampoline_kernelINS0_14default_configENS1_36segmented_radix_sort_config_selectorIdlEEZNS1_25segmented_radix_sort_implIS3_Lb0EPKdPdPKlPlN2at6native12_GLOBAL__N_18offset_tEEE10hipError_tPvRmT1_PNSt15iterator_traitsISK_E10value_typeET2_T3_PNSL_ISQ_E10value_typeET4_jRbjT5_SW_jjP12ihipStream_tbEUlT_E_NS1_11comp_targetILNS1_3genE10ELNS1_11target_archE1201ELNS1_3gpuE5ELNS1_3repE0EEENS1_30default_config_static_selectorELNS0_4arch9wavefront6targetE1EEEvSK_.has_dyn_sized_stack, 0
	.set _ZN7rocprim17ROCPRIM_400000_NS6detail17trampoline_kernelINS0_14default_configENS1_36segmented_radix_sort_config_selectorIdlEEZNS1_25segmented_radix_sort_implIS3_Lb0EPKdPdPKlPlN2at6native12_GLOBAL__N_18offset_tEEE10hipError_tPvRmT1_PNSt15iterator_traitsISK_E10value_typeET2_T3_PNSL_ISQ_E10value_typeET4_jRbjT5_SW_jjP12ihipStream_tbEUlT_E_NS1_11comp_targetILNS1_3genE10ELNS1_11target_archE1201ELNS1_3gpuE5ELNS1_3repE0EEENS1_30default_config_static_selectorELNS0_4arch9wavefront6targetE1EEEvSK_.has_recursion, 0
	.set _ZN7rocprim17ROCPRIM_400000_NS6detail17trampoline_kernelINS0_14default_configENS1_36segmented_radix_sort_config_selectorIdlEEZNS1_25segmented_radix_sort_implIS3_Lb0EPKdPdPKlPlN2at6native12_GLOBAL__N_18offset_tEEE10hipError_tPvRmT1_PNSt15iterator_traitsISK_E10value_typeET2_T3_PNSL_ISQ_E10value_typeET4_jRbjT5_SW_jjP12ihipStream_tbEUlT_E_NS1_11comp_targetILNS1_3genE10ELNS1_11target_archE1201ELNS1_3gpuE5ELNS1_3repE0EEENS1_30default_config_static_selectorELNS0_4arch9wavefront6targetE1EEEvSK_.has_indirect_call, 0
	.section	.AMDGPU.csdata,"",@progbits
; Kernel info:
; codeLenInByte = 0
; TotalNumSgprs: 4
; NumVgprs: 0
; ScratchSize: 0
; MemoryBound: 0
; FloatMode: 240
; IeeeMode: 1
; LDSByteSize: 0 bytes/workgroup (compile time only)
; SGPRBlocks: 0
; VGPRBlocks: 0
; NumSGPRsForWavesPerEU: 4
; NumVGPRsForWavesPerEU: 1
; Occupancy: 10
; WaveLimiterHint : 0
; COMPUTE_PGM_RSRC2:SCRATCH_EN: 0
; COMPUTE_PGM_RSRC2:USER_SGPR: 6
; COMPUTE_PGM_RSRC2:TRAP_HANDLER: 0
; COMPUTE_PGM_RSRC2:TGID_X_EN: 1
; COMPUTE_PGM_RSRC2:TGID_Y_EN: 0
; COMPUTE_PGM_RSRC2:TGID_Z_EN: 0
; COMPUTE_PGM_RSRC2:TIDIG_COMP_CNT: 0
	.section	.text._ZN7rocprim17ROCPRIM_400000_NS6detail17trampoline_kernelINS0_14default_configENS1_36segmented_radix_sort_config_selectorIdlEEZNS1_25segmented_radix_sort_implIS3_Lb0EPKdPdPKlPlN2at6native12_GLOBAL__N_18offset_tEEE10hipError_tPvRmT1_PNSt15iterator_traitsISK_E10value_typeET2_T3_PNSL_ISQ_E10value_typeET4_jRbjT5_SW_jjP12ihipStream_tbEUlT_E_NS1_11comp_targetILNS1_3genE10ELNS1_11target_archE1200ELNS1_3gpuE4ELNS1_3repE0EEENS1_30default_config_static_selectorELNS0_4arch9wavefront6targetE1EEEvSK_,"axG",@progbits,_ZN7rocprim17ROCPRIM_400000_NS6detail17trampoline_kernelINS0_14default_configENS1_36segmented_radix_sort_config_selectorIdlEEZNS1_25segmented_radix_sort_implIS3_Lb0EPKdPdPKlPlN2at6native12_GLOBAL__N_18offset_tEEE10hipError_tPvRmT1_PNSt15iterator_traitsISK_E10value_typeET2_T3_PNSL_ISQ_E10value_typeET4_jRbjT5_SW_jjP12ihipStream_tbEUlT_E_NS1_11comp_targetILNS1_3genE10ELNS1_11target_archE1200ELNS1_3gpuE4ELNS1_3repE0EEENS1_30default_config_static_selectorELNS0_4arch9wavefront6targetE1EEEvSK_,comdat
	.globl	_ZN7rocprim17ROCPRIM_400000_NS6detail17trampoline_kernelINS0_14default_configENS1_36segmented_radix_sort_config_selectorIdlEEZNS1_25segmented_radix_sort_implIS3_Lb0EPKdPdPKlPlN2at6native12_GLOBAL__N_18offset_tEEE10hipError_tPvRmT1_PNSt15iterator_traitsISK_E10value_typeET2_T3_PNSL_ISQ_E10value_typeET4_jRbjT5_SW_jjP12ihipStream_tbEUlT_E_NS1_11comp_targetILNS1_3genE10ELNS1_11target_archE1200ELNS1_3gpuE4ELNS1_3repE0EEENS1_30default_config_static_selectorELNS0_4arch9wavefront6targetE1EEEvSK_ ; -- Begin function _ZN7rocprim17ROCPRIM_400000_NS6detail17trampoline_kernelINS0_14default_configENS1_36segmented_radix_sort_config_selectorIdlEEZNS1_25segmented_radix_sort_implIS3_Lb0EPKdPdPKlPlN2at6native12_GLOBAL__N_18offset_tEEE10hipError_tPvRmT1_PNSt15iterator_traitsISK_E10value_typeET2_T3_PNSL_ISQ_E10value_typeET4_jRbjT5_SW_jjP12ihipStream_tbEUlT_E_NS1_11comp_targetILNS1_3genE10ELNS1_11target_archE1200ELNS1_3gpuE4ELNS1_3repE0EEENS1_30default_config_static_selectorELNS0_4arch9wavefront6targetE1EEEvSK_
	.p2align	8
	.type	_ZN7rocprim17ROCPRIM_400000_NS6detail17trampoline_kernelINS0_14default_configENS1_36segmented_radix_sort_config_selectorIdlEEZNS1_25segmented_radix_sort_implIS3_Lb0EPKdPdPKlPlN2at6native12_GLOBAL__N_18offset_tEEE10hipError_tPvRmT1_PNSt15iterator_traitsISK_E10value_typeET2_T3_PNSL_ISQ_E10value_typeET4_jRbjT5_SW_jjP12ihipStream_tbEUlT_E_NS1_11comp_targetILNS1_3genE10ELNS1_11target_archE1200ELNS1_3gpuE4ELNS1_3repE0EEENS1_30default_config_static_selectorELNS0_4arch9wavefront6targetE1EEEvSK_,@function
_ZN7rocprim17ROCPRIM_400000_NS6detail17trampoline_kernelINS0_14default_configENS1_36segmented_radix_sort_config_selectorIdlEEZNS1_25segmented_radix_sort_implIS3_Lb0EPKdPdPKlPlN2at6native12_GLOBAL__N_18offset_tEEE10hipError_tPvRmT1_PNSt15iterator_traitsISK_E10value_typeET2_T3_PNSL_ISQ_E10value_typeET4_jRbjT5_SW_jjP12ihipStream_tbEUlT_E_NS1_11comp_targetILNS1_3genE10ELNS1_11target_archE1200ELNS1_3gpuE4ELNS1_3repE0EEENS1_30default_config_static_selectorELNS0_4arch9wavefront6targetE1EEEvSK_: ; @_ZN7rocprim17ROCPRIM_400000_NS6detail17trampoline_kernelINS0_14default_configENS1_36segmented_radix_sort_config_selectorIdlEEZNS1_25segmented_radix_sort_implIS3_Lb0EPKdPdPKlPlN2at6native12_GLOBAL__N_18offset_tEEE10hipError_tPvRmT1_PNSt15iterator_traitsISK_E10value_typeET2_T3_PNSL_ISQ_E10value_typeET4_jRbjT5_SW_jjP12ihipStream_tbEUlT_E_NS1_11comp_targetILNS1_3genE10ELNS1_11target_archE1200ELNS1_3gpuE4ELNS1_3repE0EEENS1_30default_config_static_selectorELNS0_4arch9wavefront6targetE1EEEvSK_
; %bb.0:
	.section	.rodata,"a",@progbits
	.p2align	6, 0x0
	.amdhsa_kernel _ZN7rocprim17ROCPRIM_400000_NS6detail17trampoline_kernelINS0_14default_configENS1_36segmented_radix_sort_config_selectorIdlEEZNS1_25segmented_radix_sort_implIS3_Lb0EPKdPdPKlPlN2at6native12_GLOBAL__N_18offset_tEEE10hipError_tPvRmT1_PNSt15iterator_traitsISK_E10value_typeET2_T3_PNSL_ISQ_E10value_typeET4_jRbjT5_SW_jjP12ihipStream_tbEUlT_E_NS1_11comp_targetILNS1_3genE10ELNS1_11target_archE1200ELNS1_3gpuE4ELNS1_3repE0EEENS1_30default_config_static_selectorELNS0_4arch9wavefront6targetE1EEEvSK_
		.amdhsa_group_segment_fixed_size 0
		.amdhsa_private_segment_fixed_size 0
		.amdhsa_kernarg_size 96
		.amdhsa_user_sgpr_count 6
		.amdhsa_user_sgpr_private_segment_buffer 1
		.amdhsa_user_sgpr_dispatch_ptr 0
		.amdhsa_user_sgpr_queue_ptr 0
		.amdhsa_user_sgpr_kernarg_segment_ptr 1
		.amdhsa_user_sgpr_dispatch_id 0
		.amdhsa_user_sgpr_flat_scratch_init 0
		.amdhsa_user_sgpr_private_segment_size 0
		.amdhsa_uses_dynamic_stack 0
		.amdhsa_system_sgpr_private_segment_wavefront_offset 0
		.amdhsa_system_sgpr_workgroup_id_x 1
		.amdhsa_system_sgpr_workgroup_id_y 0
		.amdhsa_system_sgpr_workgroup_id_z 0
		.amdhsa_system_sgpr_workgroup_info 0
		.amdhsa_system_vgpr_workitem_id 0
		.amdhsa_next_free_vgpr 1
		.amdhsa_next_free_sgpr 0
		.amdhsa_reserve_vcc 0
		.amdhsa_reserve_flat_scratch 0
		.amdhsa_float_round_mode_32 0
		.amdhsa_float_round_mode_16_64 0
		.amdhsa_float_denorm_mode_32 3
		.amdhsa_float_denorm_mode_16_64 3
		.amdhsa_dx10_clamp 1
		.amdhsa_ieee_mode 1
		.amdhsa_fp16_overflow 0
		.amdhsa_exception_fp_ieee_invalid_op 0
		.amdhsa_exception_fp_denorm_src 0
		.amdhsa_exception_fp_ieee_div_zero 0
		.amdhsa_exception_fp_ieee_overflow 0
		.amdhsa_exception_fp_ieee_underflow 0
		.amdhsa_exception_fp_ieee_inexact 0
		.amdhsa_exception_int_div_zero 0
	.end_amdhsa_kernel
	.section	.text._ZN7rocprim17ROCPRIM_400000_NS6detail17trampoline_kernelINS0_14default_configENS1_36segmented_radix_sort_config_selectorIdlEEZNS1_25segmented_radix_sort_implIS3_Lb0EPKdPdPKlPlN2at6native12_GLOBAL__N_18offset_tEEE10hipError_tPvRmT1_PNSt15iterator_traitsISK_E10value_typeET2_T3_PNSL_ISQ_E10value_typeET4_jRbjT5_SW_jjP12ihipStream_tbEUlT_E_NS1_11comp_targetILNS1_3genE10ELNS1_11target_archE1200ELNS1_3gpuE4ELNS1_3repE0EEENS1_30default_config_static_selectorELNS0_4arch9wavefront6targetE1EEEvSK_,"axG",@progbits,_ZN7rocprim17ROCPRIM_400000_NS6detail17trampoline_kernelINS0_14default_configENS1_36segmented_radix_sort_config_selectorIdlEEZNS1_25segmented_radix_sort_implIS3_Lb0EPKdPdPKlPlN2at6native12_GLOBAL__N_18offset_tEEE10hipError_tPvRmT1_PNSt15iterator_traitsISK_E10value_typeET2_T3_PNSL_ISQ_E10value_typeET4_jRbjT5_SW_jjP12ihipStream_tbEUlT_E_NS1_11comp_targetILNS1_3genE10ELNS1_11target_archE1200ELNS1_3gpuE4ELNS1_3repE0EEENS1_30default_config_static_selectorELNS0_4arch9wavefront6targetE1EEEvSK_,comdat
.Lfunc_end1228:
	.size	_ZN7rocprim17ROCPRIM_400000_NS6detail17trampoline_kernelINS0_14default_configENS1_36segmented_radix_sort_config_selectorIdlEEZNS1_25segmented_radix_sort_implIS3_Lb0EPKdPdPKlPlN2at6native12_GLOBAL__N_18offset_tEEE10hipError_tPvRmT1_PNSt15iterator_traitsISK_E10value_typeET2_T3_PNSL_ISQ_E10value_typeET4_jRbjT5_SW_jjP12ihipStream_tbEUlT_E_NS1_11comp_targetILNS1_3genE10ELNS1_11target_archE1200ELNS1_3gpuE4ELNS1_3repE0EEENS1_30default_config_static_selectorELNS0_4arch9wavefront6targetE1EEEvSK_, .Lfunc_end1228-_ZN7rocprim17ROCPRIM_400000_NS6detail17trampoline_kernelINS0_14default_configENS1_36segmented_radix_sort_config_selectorIdlEEZNS1_25segmented_radix_sort_implIS3_Lb0EPKdPdPKlPlN2at6native12_GLOBAL__N_18offset_tEEE10hipError_tPvRmT1_PNSt15iterator_traitsISK_E10value_typeET2_T3_PNSL_ISQ_E10value_typeET4_jRbjT5_SW_jjP12ihipStream_tbEUlT_E_NS1_11comp_targetILNS1_3genE10ELNS1_11target_archE1200ELNS1_3gpuE4ELNS1_3repE0EEENS1_30default_config_static_selectorELNS0_4arch9wavefront6targetE1EEEvSK_
                                        ; -- End function
	.set _ZN7rocprim17ROCPRIM_400000_NS6detail17trampoline_kernelINS0_14default_configENS1_36segmented_radix_sort_config_selectorIdlEEZNS1_25segmented_radix_sort_implIS3_Lb0EPKdPdPKlPlN2at6native12_GLOBAL__N_18offset_tEEE10hipError_tPvRmT1_PNSt15iterator_traitsISK_E10value_typeET2_T3_PNSL_ISQ_E10value_typeET4_jRbjT5_SW_jjP12ihipStream_tbEUlT_E_NS1_11comp_targetILNS1_3genE10ELNS1_11target_archE1200ELNS1_3gpuE4ELNS1_3repE0EEENS1_30default_config_static_selectorELNS0_4arch9wavefront6targetE1EEEvSK_.num_vgpr, 0
	.set _ZN7rocprim17ROCPRIM_400000_NS6detail17trampoline_kernelINS0_14default_configENS1_36segmented_radix_sort_config_selectorIdlEEZNS1_25segmented_radix_sort_implIS3_Lb0EPKdPdPKlPlN2at6native12_GLOBAL__N_18offset_tEEE10hipError_tPvRmT1_PNSt15iterator_traitsISK_E10value_typeET2_T3_PNSL_ISQ_E10value_typeET4_jRbjT5_SW_jjP12ihipStream_tbEUlT_E_NS1_11comp_targetILNS1_3genE10ELNS1_11target_archE1200ELNS1_3gpuE4ELNS1_3repE0EEENS1_30default_config_static_selectorELNS0_4arch9wavefront6targetE1EEEvSK_.num_agpr, 0
	.set _ZN7rocprim17ROCPRIM_400000_NS6detail17trampoline_kernelINS0_14default_configENS1_36segmented_radix_sort_config_selectorIdlEEZNS1_25segmented_radix_sort_implIS3_Lb0EPKdPdPKlPlN2at6native12_GLOBAL__N_18offset_tEEE10hipError_tPvRmT1_PNSt15iterator_traitsISK_E10value_typeET2_T3_PNSL_ISQ_E10value_typeET4_jRbjT5_SW_jjP12ihipStream_tbEUlT_E_NS1_11comp_targetILNS1_3genE10ELNS1_11target_archE1200ELNS1_3gpuE4ELNS1_3repE0EEENS1_30default_config_static_selectorELNS0_4arch9wavefront6targetE1EEEvSK_.numbered_sgpr, 0
	.set _ZN7rocprim17ROCPRIM_400000_NS6detail17trampoline_kernelINS0_14default_configENS1_36segmented_radix_sort_config_selectorIdlEEZNS1_25segmented_radix_sort_implIS3_Lb0EPKdPdPKlPlN2at6native12_GLOBAL__N_18offset_tEEE10hipError_tPvRmT1_PNSt15iterator_traitsISK_E10value_typeET2_T3_PNSL_ISQ_E10value_typeET4_jRbjT5_SW_jjP12ihipStream_tbEUlT_E_NS1_11comp_targetILNS1_3genE10ELNS1_11target_archE1200ELNS1_3gpuE4ELNS1_3repE0EEENS1_30default_config_static_selectorELNS0_4arch9wavefront6targetE1EEEvSK_.num_named_barrier, 0
	.set _ZN7rocprim17ROCPRIM_400000_NS6detail17trampoline_kernelINS0_14default_configENS1_36segmented_radix_sort_config_selectorIdlEEZNS1_25segmented_radix_sort_implIS3_Lb0EPKdPdPKlPlN2at6native12_GLOBAL__N_18offset_tEEE10hipError_tPvRmT1_PNSt15iterator_traitsISK_E10value_typeET2_T3_PNSL_ISQ_E10value_typeET4_jRbjT5_SW_jjP12ihipStream_tbEUlT_E_NS1_11comp_targetILNS1_3genE10ELNS1_11target_archE1200ELNS1_3gpuE4ELNS1_3repE0EEENS1_30default_config_static_selectorELNS0_4arch9wavefront6targetE1EEEvSK_.private_seg_size, 0
	.set _ZN7rocprim17ROCPRIM_400000_NS6detail17trampoline_kernelINS0_14default_configENS1_36segmented_radix_sort_config_selectorIdlEEZNS1_25segmented_radix_sort_implIS3_Lb0EPKdPdPKlPlN2at6native12_GLOBAL__N_18offset_tEEE10hipError_tPvRmT1_PNSt15iterator_traitsISK_E10value_typeET2_T3_PNSL_ISQ_E10value_typeET4_jRbjT5_SW_jjP12ihipStream_tbEUlT_E_NS1_11comp_targetILNS1_3genE10ELNS1_11target_archE1200ELNS1_3gpuE4ELNS1_3repE0EEENS1_30default_config_static_selectorELNS0_4arch9wavefront6targetE1EEEvSK_.uses_vcc, 0
	.set _ZN7rocprim17ROCPRIM_400000_NS6detail17trampoline_kernelINS0_14default_configENS1_36segmented_radix_sort_config_selectorIdlEEZNS1_25segmented_radix_sort_implIS3_Lb0EPKdPdPKlPlN2at6native12_GLOBAL__N_18offset_tEEE10hipError_tPvRmT1_PNSt15iterator_traitsISK_E10value_typeET2_T3_PNSL_ISQ_E10value_typeET4_jRbjT5_SW_jjP12ihipStream_tbEUlT_E_NS1_11comp_targetILNS1_3genE10ELNS1_11target_archE1200ELNS1_3gpuE4ELNS1_3repE0EEENS1_30default_config_static_selectorELNS0_4arch9wavefront6targetE1EEEvSK_.uses_flat_scratch, 0
	.set _ZN7rocprim17ROCPRIM_400000_NS6detail17trampoline_kernelINS0_14default_configENS1_36segmented_radix_sort_config_selectorIdlEEZNS1_25segmented_radix_sort_implIS3_Lb0EPKdPdPKlPlN2at6native12_GLOBAL__N_18offset_tEEE10hipError_tPvRmT1_PNSt15iterator_traitsISK_E10value_typeET2_T3_PNSL_ISQ_E10value_typeET4_jRbjT5_SW_jjP12ihipStream_tbEUlT_E_NS1_11comp_targetILNS1_3genE10ELNS1_11target_archE1200ELNS1_3gpuE4ELNS1_3repE0EEENS1_30default_config_static_selectorELNS0_4arch9wavefront6targetE1EEEvSK_.has_dyn_sized_stack, 0
	.set _ZN7rocprim17ROCPRIM_400000_NS6detail17trampoline_kernelINS0_14default_configENS1_36segmented_radix_sort_config_selectorIdlEEZNS1_25segmented_radix_sort_implIS3_Lb0EPKdPdPKlPlN2at6native12_GLOBAL__N_18offset_tEEE10hipError_tPvRmT1_PNSt15iterator_traitsISK_E10value_typeET2_T3_PNSL_ISQ_E10value_typeET4_jRbjT5_SW_jjP12ihipStream_tbEUlT_E_NS1_11comp_targetILNS1_3genE10ELNS1_11target_archE1200ELNS1_3gpuE4ELNS1_3repE0EEENS1_30default_config_static_selectorELNS0_4arch9wavefront6targetE1EEEvSK_.has_recursion, 0
	.set _ZN7rocprim17ROCPRIM_400000_NS6detail17trampoline_kernelINS0_14default_configENS1_36segmented_radix_sort_config_selectorIdlEEZNS1_25segmented_radix_sort_implIS3_Lb0EPKdPdPKlPlN2at6native12_GLOBAL__N_18offset_tEEE10hipError_tPvRmT1_PNSt15iterator_traitsISK_E10value_typeET2_T3_PNSL_ISQ_E10value_typeET4_jRbjT5_SW_jjP12ihipStream_tbEUlT_E_NS1_11comp_targetILNS1_3genE10ELNS1_11target_archE1200ELNS1_3gpuE4ELNS1_3repE0EEENS1_30default_config_static_selectorELNS0_4arch9wavefront6targetE1EEEvSK_.has_indirect_call, 0
	.section	.AMDGPU.csdata,"",@progbits
; Kernel info:
; codeLenInByte = 0
; TotalNumSgprs: 4
; NumVgprs: 0
; ScratchSize: 0
; MemoryBound: 0
; FloatMode: 240
; IeeeMode: 1
; LDSByteSize: 0 bytes/workgroup (compile time only)
; SGPRBlocks: 0
; VGPRBlocks: 0
; NumSGPRsForWavesPerEU: 4
; NumVGPRsForWavesPerEU: 1
; Occupancy: 10
; WaveLimiterHint : 0
; COMPUTE_PGM_RSRC2:SCRATCH_EN: 0
; COMPUTE_PGM_RSRC2:USER_SGPR: 6
; COMPUTE_PGM_RSRC2:TRAP_HANDLER: 0
; COMPUTE_PGM_RSRC2:TGID_X_EN: 1
; COMPUTE_PGM_RSRC2:TGID_Y_EN: 0
; COMPUTE_PGM_RSRC2:TGID_Z_EN: 0
; COMPUTE_PGM_RSRC2:TIDIG_COMP_CNT: 0
	.section	.text._ZN7rocprim17ROCPRIM_400000_NS6detail17trampoline_kernelINS0_14default_configENS1_36segmented_radix_sort_config_selectorIdlEEZNS1_25segmented_radix_sort_implIS3_Lb0EPKdPdPKlPlN2at6native12_GLOBAL__N_18offset_tEEE10hipError_tPvRmT1_PNSt15iterator_traitsISK_E10value_typeET2_T3_PNSL_ISQ_E10value_typeET4_jRbjT5_SW_jjP12ihipStream_tbEUlT_E_NS1_11comp_targetILNS1_3genE9ELNS1_11target_archE1100ELNS1_3gpuE3ELNS1_3repE0EEENS1_30default_config_static_selectorELNS0_4arch9wavefront6targetE1EEEvSK_,"axG",@progbits,_ZN7rocprim17ROCPRIM_400000_NS6detail17trampoline_kernelINS0_14default_configENS1_36segmented_radix_sort_config_selectorIdlEEZNS1_25segmented_radix_sort_implIS3_Lb0EPKdPdPKlPlN2at6native12_GLOBAL__N_18offset_tEEE10hipError_tPvRmT1_PNSt15iterator_traitsISK_E10value_typeET2_T3_PNSL_ISQ_E10value_typeET4_jRbjT5_SW_jjP12ihipStream_tbEUlT_E_NS1_11comp_targetILNS1_3genE9ELNS1_11target_archE1100ELNS1_3gpuE3ELNS1_3repE0EEENS1_30default_config_static_selectorELNS0_4arch9wavefront6targetE1EEEvSK_,comdat
	.globl	_ZN7rocprim17ROCPRIM_400000_NS6detail17trampoline_kernelINS0_14default_configENS1_36segmented_radix_sort_config_selectorIdlEEZNS1_25segmented_radix_sort_implIS3_Lb0EPKdPdPKlPlN2at6native12_GLOBAL__N_18offset_tEEE10hipError_tPvRmT1_PNSt15iterator_traitsISK_E10value_typeET2_T3_PNSL_ISQ_E10value_typeET4_jRbjT5_SW_jjP12ihipStream_tbEUlT_E_NS1_11comp_targetILNS1_3genE9ELNS1_11target_archE1100ELNS1_3gpuE3ELNS1_3repE0EEENS1_30default_config_static_selectorELNS0_4arch9wavefront6targetE1EEEvSK_ ; -- Begin function _ZN7rocprim17ROCPRIM_400000_NS6detail17trampoline_kernelINS0_14default_configENS1_36segmented_radix_sort_config_selectorIdlEEZNS1_25segmented_radix_sort_implIS3_Lb0EPKdPdPKlPlN2at6native12_GLOBAL__N_18offset_tEEE10hipError_tPvRmT1_PNSt15iterator_traitsISK_E10value_typeET2_T3_PNSL_ISQ_E10value_typeET4_jRbjT5_SW_jjP12ihipStream_tbEUlT_E_NS1_11comp_targetILNS1_3genE9ELNS1_11target_archE1100ELNS1_3gpuE3ELNS1_3repE0EEENS1_30default_config_static_selectorELNS0_4arch9wavefront6targetE1EEEvSK_
	.p2align	8
	.type	_ZN7rocprim17ROCPRIM_400000_NS6detail17trampoline_kernelINS0_14default_configENS1_36segmented_radix_sort_config_selectorIdlEEZNS1_25segmented_radix_sort_implIS3_Lb0EPKdPdPKlPlN2at6native12_GLOBAL__N_18offset_tEEE10hipError_tPvRmT1_PNSt15iterator_traitsISK_E10value_typeET2_T3_PNSL_ISQ_E10value_typeET4_jRbjT5_SW_jjP12ihipStream_tbEUlT_E_NS1_11comp_targetILNS1_3genE9ELNS1_11target_archE1100ELNS1_3gpuE3ELNS1_3repE0EEENS1_30default_config_static_selectorELNS0_4arch9wavefront6targetE1EEEvSK_,@function
_ZN7rocprim17ROCPRIM_400000_NS6detail17trampoline_kernelINS0_14default_configENS1_36segmented_radix_sort_config_selectorIdlEEZNS1_25segmented_radix_sort_implIS3_Lb0EPKdPdPKlPlN2at6native12_GLOBAL__N_18offset_tEEE10hipError_tPvRmT1_PNSt15iterator_traitsISK_E10value_typeET2_T3_PNSL_ISQ_E10value_typeET4_jRbjT5_SW_jjP12ihipStream_tbEUlT_E_NS1_11comp_targetILNS1_3genE9ELNS1_11target_archE1100ELNS1_3gpuE3ELNS1_3repE0EEENS1_30default_config_static_selectorELNS0_4arch9wavefront6targetE1EEEvSK_: ; @_ZN7rocprim17ROCPRIM_400000_NS6detail17trampoline_kernelINS0_14default_configENS1_36segmented_radix_sort_config_selectorIdlEEZNS1_25segmented_radix_sort_implIS3_Lb0EPKdPdPKlPlN2at6native12_GLOBAL__N_18offset_tEEE10hipError_tPvRmT1_PNSt15iterator_traitsISK_E10value_typeET2_T3_PNSL_ISQ_E10value_typeET4_jRbjT5_SW_jjP12ihipStream_tbEUlT_E_NS1_11comp_targetILNS1_3genE9ELNS1_11target_archE1100ELNS1_3gpuE3ELNS1_3repE0EEENS1_30default_config_static_selectorELNS0_4arch9wavefront6targetE1EEEvSK_
; %bb.0:
	.section	.rodata,"a",@progbits
	.p2align	6, 0x0
	.amdhsa_kernel _ZN7rocprim17ROCPRIM_400000_NS6detail17trampoline_kernelINS0_14default_configENS1_36segmented_radix_sort_config_selectorIdlEEZNS1_25segmented_radix_sort_implIS3_Lb0EPKdPdPKlPlN2at6native12_GLOBAL__N_18offset_tEEE10hipError_tPvRmT1_PNSt15iterator_traitsISK_E10value_typeET2_T3_PNSL_ISQ_E10value_typeET4_jRbjT5_SW_jjP12ihipStream_tbEUlT_E_NS1_11comp_targetILNS1_3genE9ELNS1_11target_archE1100ELNS1_3gpuE3ELNS1_3repE0EEENS1_30default_config_static_selectorELNS0_4arch9wavefront6targetE1EEEvSK_
		.amdhsa_group_segment_fixed_size 0
		.amdhsa_private_segment_fixed_size 0
		.amdhsa_kernarg_size 96
		.amdhsa_user_sgpr_count 6
		.amdhsa_user_sgpr_private_segment_buffer 1
		.amdhsa_user_sgpr_dispatch_ptr 0
		.amdhsa_user_sgpr_queue_ptr 0
		.amdhsa_user_sgpr_kernarg_segment_ptr 1
		.amdhsa_user_sgpr_dispatch_id 0
		.amdhsa_user_sgpr_flat_scratch_init 0
		.amdhsa_user_sgpr_private_segment_size 0
		.amdhsa_uses_dynamic_stack 0
		.amdhsa_system_sgpr_private_segment_wavefront_offset 0
		.amdhsa_system_sgpr_workgroup_id_x 1
		.amdhsa_system_sgpr_workgroup_id_y 0
		.amdhsa_system_sgpr_workgroup_id_z 0
		.amdhsa_system_sgpr_workgroup_info 0
		.amdhsa_system_vgpr_workitem_id 0
		.amdhsa_next_free_vgpr 1
		.amdhsa_next_free_sgpr 0
		.amdhsa_reserve_vcc 0
		.amdhsa_reserve_flat_scratch 0
		.amdhsa_float_round_mode_32 0
		.amdhsa_float_round_mode_16_64 0
		.amdhsa_float_denorm_mode_32 3
		.amdhsa_float_denorm_mode_16_64 3
		.amdhsa_dx10_clamp 1
		.amdhsa_ieee_mode 1
		.amdhsa_fp16_overflow 0
		.amdhsa_exception_fp_ieee_invalid_op 0
		.amdhsa_exception_fp_denorm_src 0
		.amdhsa_exception_fp_ieee_div_zero 0
		.amdhsa_exception_fp_ieee_overflow 0
		.amdhsa_exception_fp_ieee_underflow 0
		.amdhsa_exception_fp_ieee_inexact 0
		.amdhsa_exception_int_div_zero 0
	.end_amdhsa_kernel
	.section	.text._ZN7rocprim17ROCPRIM_400000_NS6detail17trampoline_kernelINS0_14default_configENS1_36segmented_radix_sort_config_selectorIdlEEZNS1_25segmented_radix_sort_implIS3_Lb0EPKdPdPKlPlN2at6native12_GLOBAL__N_18offset_tEEE10hipError_tPvRmT1_PNSt15iterator_traitsISK_E10value_typeET2_T3_PNSL_ISQ_E10value_typeET4_jRbjT5_SW_jjP12ihipStream_tbEUlT_E_NS1_11comp_targetILNS1_3genE9ELNS1_11target_archE1100ELNS1_3gpuE3ELNS1_3repE0EEENS1_30default_config_static_selectorELNS0_4arch9wavefront6targetE1EEEvSK_,"axG",@progbits,_ZN7rocprim17ROCPRIM_400000_NS6detail17trampoline_kernelINS0_14default_configENS1_36segmented_radix_sort_config_selectorIdlEEZNS1_25segmented_radix_sort_implIS3_Lb0EPKdPdPKlPlN2at6native12_GLOBAL__N_18offset_tEEE10hipError_tPvRmT1_PNSt15iterator_traitsISK_E10value_typeET2_T3_PNSL_ISQ_E10value_typeET4_jRbjT5_SW_jjP12ihipStream_tbEUlT_E_NS1_11comp_targetILNS1_3genE9ELNS1_11target_archE1100ELNS1_3gpuE3ELNS1_3repE0EEENS1_30default_config_static_selectorELNS0_4arch9wavefront6targetE1EEEvSK_,comdat
.Lfunc_end1229:
	.size	_ZN7rocprim17ROCPRIM_400000_NS6detail17trampoline_kernelINS0_14default_configENS1_36segmented_radix_sort_config_selectorIdlEEZNS1_25segmented_radix_sort_implIS3_Lb0EPKdPdPKlPlN2at6native12_GLOBAL__N_18offset_tEEE10hipError_tPvRmT1_PNSt15iterator_traitsISK_E10value_typeET2_T3_PNSL_ISQ_E10value_typeET4_jRbjT5_SW_jjP12ihipStream_tbEUlT_E_NS1_11comp_targetILNS1_3genE9ELNS1_11target_archE1100ELNS1_3gpuE3ELNS1_3repE0EEENS1_30default_config_static_selectorELNS0_4arch9wavefront6targetE1EEEvSK_, .Lfunc_end1229-_ZN7rocprim17ROCPRIM_400000_NS6detail17trampoline_kernelINS0_14default_configENS1_36segmented_radix_sort_config_selectorIdlEEZNS1_25segmented_radix_sort_implIS3_Lb0EPKdPdPKlPlN2at6native12_GLOBAL__N_18offset_tEEE10hipError_tPvRmT1_PNSt15iterator_traitsISK_E10value_typeET2_T3_PNSL_ISQ_E10value_typeET4_jRbjT5_SW_jjP12ihipStream_tbEUlT_E_NS1_11comp_targetILNS1_3genE9ELNS1_11target_archE1100ELNS1_3gpuE3ELNS1_3repE0EEENS1_30default_config_static_selectorELNS0_4arch9wavefront6targetE1EEEvSK_
                                        ; -- End function
	.set _ZN7rocprim17ROCPRIM_400000_NS6detail17trampoline_kernelINS0_14default_configENS1_36segmented_radix_sort_config_selectorIdlEEZNS1_25segmented_radix_sort_implIS3_Lb0EPKdPdPKlPlN2at6native12_GLOBAL__N_18offset_tEEE10hipError_tPvRmT1_PNSt15iterator_traitsISK_E10value_typeET2_T3_PNSL_ISQ_E10value_typeET4_jRbjT5_SW_jjP12ihipStream_tbEUlT_E_NS1_11comp_targetILNS1_3genE9ELNS1_11target_archE1100ELNS1_3gpuE3ELNS1_3repE0EEENS1_30default_config_static_selectorELNS0_4arch9wavefront6targetE1EEEvSK_.num_vgpr, 0
	.set _ZN7rocprim17ROCPRIM_400000_NS6detail17trampoline_kernelINS0_14default_configENS1_36segmented_radix_sort_config_selectorIdlEEZNS1_25segmented_radix_sort_implIS3_Lb0EPKdPdPKlPlN2at6native12_GLOBAL__N_18offset_tEEE10hipError_tPvRmT1_PNSt15iterator_traitsISK_E10value_typeET2_T3_PNSL_ISQ_E10value_typeET4_jRbjT5_SW_jjP12ihipStream_tbEUlT_E_NS1_11comp_targetILNS1_3genE9ELNS1_11target_archE1100ELNS1_3gpuE3ELNS1_3repE0EEENS1_30default_config_static_selectorELNS0_4arch9wavefront6targetE1EEEvSK_.num_agpr, 0
	.set _ZN7rocprim17ROCPRIM_400000_NS6detail17trampoline_kernelINS0_14default_configENS1_36segmented_radix_sort_config_selectorIdlEEZNS1_25segmented_radix_sort_implIS3_Lb0EPKdPdPKlPlN2at6native12_GLOBAL__N_18offset_tEEE10hipError_tPvRmT1_PNSt15iterator_traitsISK_E10value_typeET2_T3_PNSL_ISQ_E10value_typeET4_jRbjT5_SW_jjP12ihipStream_tbEUlT_E_NS1_11comp_targetILNS1_3genE9ELNS1_11target_archE1100ELNS1_3gpuE3ELNS1_3repE0EEENS1_30default_config_static_selectorELNS0_4arch9wavefront6targetE1EEEvSK_.numbered_sgpr, 0
	.set _ZN7rocprim17ROCPRIM_400000_NS6detail17trampoline_kernelINS0_14default_configENS1_36segmented_radix_sort_config_selectorIdlEEZNS1_25segmented_radix_sort_implIS3_Lb0EPKdPdPKlPlN2at6native12_GLOBAL__N_18offset_tEEE10hipError_tPvRmT1_PNSt15iterator_traitsISK_E10value_typeET2_T3_PNSL_ISQ_E10value_typeET4_jRbjT5_SW_jjP12ihipStream_tbEUlT_E_NS1_11comp_targetILNS1_3genE9ELNS1_11target_archE1100ELNS1_3gpuE3ELNS1_3repE0EEENS1_30default_config_static_selectorELNS0_4arch9wavefront6targetE1EEEvSK_.num_named_barrier, 0
	.set _ZN7rocprim17ROCPRIM_400000_NS6detail17trampoline_kernelINS0_14default_configENS1_36segmented_radix_sort_config_selectorIdlEEZNS1_25segmented_radix_sort_implIS3_Lb0EPKdPdPKlPlN2at6native12_GLOBAL__N_18offset_tEEE10hipError_tPvRmT1_PNSt15iterator_traitsISK_E10value_typeET2_T3_PNSL_ISQ_E10value_typeET4_jRbjT5_SW_jjP12ihipStream_tbEUlT_E_NS1_11comp_targetILNS1_3genE9ELNS1_11target_archE1100ELNS1_3gpuE3ELNS1_3repE0EEENS1_30default_config_static_selectorELNS0_4arch9wavefront6targetE1EEEvSK_.private_seg_size, 0
	.set _ZN7rocprim17ROCPRIM_400000_NS6detail17trampoline_kernelINS0_14default_configENS1_36segmented_radix_sort_config_selectorIdlEEZNS1_25segmented_radix_sort_implIS3_Lb0EPKdPdPKlPlN2at6native12_GLOBAL__N_18offset_tEEE10hipError_tPvRmT1_PNSt15iterator_traitsISK_E10value_typeET2_T3_PNSL_ISQ_E10value_typeET4_jRbjT5_SW_jjP12ihipStream_tbEUlT_E_NS1_11comp_targetILNS1_3genE9ELNS1_11target_archE1100ELNS1_3gpuE3ELNS1_3repE0EEENS1_30default_config_static_selectorELNS0_4arch9wavefront6targetE1EEEvSK_.uses_vcc, 0
	.set _ZN7rocprim17ROCPRIM_400000_NS6detail17trampoline_kernelINS0_14default_configENS1_36segmented_radix_sort_config_selectorIdlEEZNS1_25segmented_radix_sort_implIS3_Lb0EPKdPdPKlPlN2at6native12_GLOBAL__N_18offset_tEEE10hipError_tPvRmT1_PNSt15iterator_traitsISK_E10value_typeET2_T3_PNSL_ISQ_E10value_typeET4_jRbjT5_SW_jjP12ihipStream_tbEUlT_E_NS1_11comp_targetILNS1_3genE9ELNS1_11target_archE1100ELNS1_3gpuE3ELNS1_3repE0EEENS1_30default_config_static_selectorELNS0_4arch9wavefront6targetE1EEEvSK_.uses_flat_scratch, 0
	.set _ZN7rocprim17ROCPRIM_400000_NS6detail17trampoline_kernelINS0_14default_configENS1_36segmented_radix_sort_config_selectorIdlEEZNS1_25segmented_radix_sort_implIS3_Lb0EPKdPdPKlPlN2at6native12_GLOBAL__N_18offset_tEEE10hipError_tPvRmT1_PNSt15iterator_traitsISK_E10value_typeET2_T3_PNSL_ISQ_E10value_typeET4_jRbjT5_SW_jjP12ihipStream_tbEUlT_E_NS1_11comp_targetILNS1_3genE9ELNS1_11target_archE1100ELNS1_3gpuE3ELNS1_3repE0EEENS1_30default_config_static_selectorELNS0_4arch9wavefront6targetE1EEEvSK_.has_dyn_sized_stack, 0
	.set _ZN7rocprim17ROCPRIM_400000_NS6detail17trampoline_kernelINS0_14default_configENS1_36segmented_radix_sort_config_selectorIdlEEZNS1_25segmented_radix_sort_implIS3_Lb0EPKdPdPKlPlN2at6native12_GLOBAL__N_18offset_tEEE10hipError_tPvRmT1_PNSt15iterator_traitsISK_E10value_typeET2_T3_PNSL_ISQ_E10value_typeET4_jRbjT5_SW_jjP12ihipStream_tbEUlT_E_NS1_11comp_targetILNS1_3genE9ELNS1_11target_archE1100ELNS1_3gpuE3ELNS1_3repE0EEENS1_30default_config_static_selectorELNS0_4arch9wavefront6targetE1EEEvSK_.has_recursion, 0
	.set _ZN7rocprim17ROCPRIM_400000_NS6detail17trampoline_kernelINS0_14default_configENS1_36segmented_radix_sort_config_selectorIdlEEZNS1_25segmented_radix_sort_implIS3_Lb0EPKdPdPKlPlN2at6native12_GLOBAL__N_18offset_tEEE10hipError_tPvRmT1_PNSt15iterator_traitsISK_E10value_typeET2_T3_PNSL_ISQ_E10value_typeET4_jRbjT5_SW_jjP12ihipStream_tbEUlT_E_NS1_11comp_targetILNS1_3genE9ELNS1_11target_archE1100ELNS1_3gpuE3ELNS1_3repE0EEENS1_30default_config_static_selectorELNS0_4arch9wavefront6targetE1EEEvSK_.has_indirect_call, 0
	.section	.AMDGPU.csdata,"",@progbits
; Kernel info:
; codeLenInByte = 0
; TotalNumSgprs: 4
; NumVgprs: 0
; ScratchSize: 0
; MemoryBound: 0
; FloatMode: 240
; IeeeMode: 1
; LDSByteSize: 0 bytes/workgroup (compile time only)
; SGPRBlocks: 0
; VGPRBlocks: 0
; NumSGPRsForWavesPerEU: 4
; NumVGPRsForWavesPerEU: 1
; Occupancy: 10
; WaveLimiterHint : 0
; COMPUTE_PGM_RSRC2:SCRATCH_EN: 0
; COMPUTE_PGM_RSRC2:USER_SGPR: 6
; COMPUTE_PGM_RSRC2:TRAP_HANDLER: 0
; COMPUTE_PGM_RSRC2:TGID_X_EN: 1
; COMPUTE_PGM_RSRC2:TGID_Y_EN: 0
; COMPUTE_PGM_RSRC2:TGID_Z_EN: 0
; COMPUTE_PGM_RSRC2:TIDIG_COMP_CNT: 0
	.section	.text._ZN7rocprim17ROCPRIM_400000_NS6detail17trampoline_kernelINS0_14default_configENS1_36segmented_radix_sort_config_selectorIdlEEZNS1_25segmented_radix_sort_implIS3_Lb0EPKdPdPKlPlN2at6native12_GLOBAL__N_18offset_tEEE10hipError_tPvRmT1_PNSt15iterator_traitsISK_E10value_typeET2_T3_PNSL_ISQ_E10value_typeET4_jRbjT5_SW_jjP12ihipStream_tbEUlT_E_NS1_11comp_targetILNS1_3genE8ELNS1_11target_archE1030ELNS1_3gpuE2ELNS1_3repE0EEENS1_30default_config_static_selectorELNS0_4arch9wavefront6targetE1EEEvSK_,"axG",@progbits,_ZN7rocprim17ROCPRIM_400000_NS6detail17trampoline_kernelINS0_14default_configENS1_36segmented_radix_sort_config_selectorIdlEEZNS1_25segmented_radix_sort_implIS3_Lb0EPKdPdPKlPlN2at6native12_GLOBAL__N_18offset_tEEE10hipError_tPvRmT1_PNSt15iterator_traitsISK_E10value_typeET2_T3_PNSL_ISQ_E10value_typeET4_jRbjT5_SW_jjP12ihipStream_tbEUlT_E_NS1_11comp_targetILNS1_3genE8ELNS1_11target_archE1030ELNS1_3gpuE2ELNS1_3repE0EEENS1_30default_config_static_selectorELNS0_4arch9wavefront6targetE1EEEvSK_,comdat
	.globl	_ZN7rocprim17ROCPRIM_400000_NS6detail17trampoline_kernelINS0_14default_configENS1_36segmented_radix_sort_config_selectorIdlEEZNS1_25segmented_radix_sort_implIS3_Lb0EPKdPdPKlPlN2at6native12_GLOBAL__N_18offset_tEEE10hipError_tPvRmT1_PNSt15iterator_traitsISK_E10value_typeET2_T3_PNSL_ISQ_E10value_typeET4_jRbjT5_SW_jjP12ihipStream_tbEUlT_E_NS1_11comp_targetILNS1_3genE8ELNS1_11target_archE1030ELNS1_3gpuE2ELNS1_3repE0EEENS1_30default_config_static_selectorELNS0_4arch9wavefront6targetE1EEEvSK_ ; -- Begin function _ZN7rocprim17ROCPRIM_400000_NS6detail17trampoline_kernelINS0_14default_configENS1_36segmented_radix_sort_config_selectorIdlEEZNS1_25segmented_radix_sort_implIS3_Lb0EPKdPdPKlPlN2at6native12_GLOBAL__N_18offset_tEEE10hipError_tPvRmT1_PNSt15iterator_traitsISK_E10value_typeET2_T3_PNSL_ISQ_E10value_typeET4_jRbjT5_SW_jjP12ihipStream_tbEUlT_E_NS1_11comp_targetILNS1_3genE8ELNS1_11target_archE1030ELNS1_3gpuE2ELNS1_3repE0EEENS1_30default_config_static_selectorELNS0_4arch9wavefront6targetE1EEEvSK_
	.p2align	8
	.type	_ZN7rocprim17ROCPRIM_400000_NS6detail17trampoline_kernelINS0_14default_configENS1_36segmented_radix_sort_config_selectorIdlEEZNS1_25segmented_radix_sort_implIS3_Lb0EPKdPdPKlPlN2at6native12_GLOBAL__N_18offset_tEEE10hipError_tPvRmT1_PNSt15iterator_traitsISK_E10value_typeET2_T3_PNSL_ISQ_E10value_typeET4_jRbjT5_SW_jjP12ihipStream_tbEUlT_E_NS1_11comp_targetILNS1_3genE8ELNS1_11target_archE1030ELNS1_3gpuE2ELNS1_3repE0EEENS1_30default_config_static_selectorELNS0_4arch9wavefront6targetE1EEEvSK_,@function
_ZN7rocprim17ROCPRIM_400000_NS6detail17trampoline_kernelINS0_14default_configENS1_36segmented_radix_sort_config_selectorIdlEEZNS1_25segmented_radix_sort_implIS3_Lb0EPKdPdPKlPlN2at6native12_GLOBAL__N_18offset_tEEE10hipError_tPvRmT1_PNSt15iterator_traitsISK_E10value_typeET2_T3_PNSL_ISQ_E10value_typeET4_jRbjT5_SW_jjP12ihipStream_tbEUlT_E_NS1_11comp_targetILNS1_3genE8ELNS1_11target_archE1030ELNS1_3gpuE2ELNS1_3repE0EEENS1_30default_config_static_selectorELNS0_4arch9wavefront6targetE1EEEvSK_: ; @_ZN7rocprim17ROCPRIM_400000_NS6detail17trampoline_kernelINS0_14default_configENS1_36segmented_radix_sort_config_selectorIdlEEZNS1_25segmented_radix_sort_implIS3_Lb0EPKdPdPKlPlN2at6native12_GLOBAL__N_18offset_tEEE10hipError_tPvRmT1_PNSt15iterator_traitsISK_E10value_typeET2_T3_PNSL_ISQ_E10value_typeET4_jRbjT5_SW_jjP12ihipStream_tbEUlT_E_NS1_11comp_targetILNS1_3genE8ELNS1_11target_archE1030ELNS1_3gpuE2ELNS1_3repE0EEENS1_30default_config_static_selectorELNS0_4arch9wavefront6targetE1EEEvSK_
; %bb.0:
	.section	.rodata,"a",@progbits
	.p2align	6, 0x0
	.amdhsa_kernel _ZN7rocprim17ROCPRIM_400000_NS6detail17trampoline_kernelINS0_14default_configENS1_36segmented_radix_sort_config_selectorIdlEEZNS1_25segmented_radix_sort_implIS3_Lb0EPKdPdPKlPlN2at6native12_GLOBAL__N_18offset_tEEE10hipError_tPvRmT1_PNSt15iterator_traitsISK_E10value_typeET2_T3_PNSL_ISQ_E10value_typeET4_jRbjT5_SW_jjP12ihipStream_tbEUlT_E_NS1_11comp_targetILNS1_3genE8ELNS1_11target_archE1030ELNS1_3gpuE2ELNS1_3repE0EEENS1_30default_config_static_selectorELNS0_4arch9wavefront6targetE1EEEvSK_
		.amdhsa_group_segment_fixed_size 0
		.amdhsa_private_segment_fixed_size 0
		.amdhsa_kernarg_size 96
		.amdhsa_user_sgpr_count 6
		.amdhsa_user_sgpr_private_segment_buffer 1
		.amdhsa_user_sgpr_dispatch_ptr 0
		.amdhsa_user_sgpr_queue_ptr 0
		.amdhsa_user_sgpr_kernarg_segment_ptr 1
		.amdhsa_user_sgpr_dispatch_id 0
		.amdhsa_user_sgpr_flat_scratch_init 0
		.amdhsa_user_sgpr_private_segment_size 0
		.amdhsa_uses_dynamic_stack 0
		.amdhsa_system_sgpr_private_segment_wavefront_offset 0
		.amdhsa_system_sgpr_workgroup_id_x 1
		.amdhsa_system_sgpr_workgroup_id_y 0
		.amdhsa_system_sgpr_workgroup_id_z 0
		.amdhsa_system_sgpr_workgroup_info 0
		.amdhsa_system_vgpr_workitem_id 0
		.amdhsa_next_free_vgpr 1
		.amdhsa_next_free_sgpr 0
		.amdhsa_reserve_vcc 0
		.amdhsa_reserve_flat_scratch 0
		.amdhsa_float_round_mode_32 0
		.amdhsa_float_round_mode_16_64 0
		.amdhsa_float_denorm_mode_32 3
		.amdhsa_float_denorm_mode_16_64 3
		.amdhsa_dx10_clamp 1
		.amdhsa_ieee_mode 1
		.amdhsa_fp16_overflow 0
		.amdhsa_exception_fp_ieee_invalid_op 0
		.amdhsa_exception_fp_denorm_src 0
		.amdhsa_exception_fp_ieee_div_zero 0
		.amdhsa_exception_fp_ieee_overflow 0
		.amdhsa_exception_fp_ieee_underflow 0
		.amdhsa_exception_fp_ieee_inexact 0
		.amdhsa_exception_int_div_zero 0
	.end_amdhsa_kernel
	.section	.text._ZN7rocprim17ROCPRIM_400000_NS6detail17trampoline_kernelINS0_14default_configENS1_36segmented_radix_sort_config_selectorIdlEEZNS1_25segmented_radix_sort_implIS3_Lb0EPKdPdPKlPlN2at6native12_GLOBAL__N_18offset_tEEE10hipError_tPvRmT1_PNSt15iterator_traitsISK_E10value_typeET2_T3_PNSL_ISQ_E10value_typeET4_jRbjT5_SW_jjP12ihipStream_tbEUlT_E_NS1_11comp_targetILNS1_3genE8ELNS1_11target_archE1030ELNS1_3gpuE2ELNS1_3repE0EEENS1_30default_config_static_selectorELNS0_4arch9wavefront6targetE1EEEvSK_,"axG",@progbits,_ZN7rocprim17ROCPRIM_400000_NS6detail17trampoline_kernelINS0_14default_configENS1_36segmented_radix_sort_config_selectorIdlEEZNS1_25segmented_radix_sort_implIS3_Lb0EPKdPdPKlPlN2at6native12_GLOBAL__N_18offset_tEEE10hipError_tPvRmT1_PNSt15iterator_traitsISK_E10value_typeET2_T3_PNSL_ISQ_E10value_typeET4_jRbjT5_SW_jjP12ihipStream_tbEUlT_E_NS1_11comp_targetILNS1_3genE8ELNS1_11target_archE1030ELNS1_3gpuE2ELNS1_3repE0EEENS1_30default_config_static_selectorELNS0_4arch9wavefront6targetE1EEEvSK_,comdat
.Lfunc_end1230:
	.size	_ZN7rocprim17ROCPRIM_400000_NS6detail17trampoline_kernelINS0_14default_configENS1_36segmented_radix_sort_config_selectorIdlEEZNS1_25segmented_radix_sort_implIS3_Lb0EPKdPdPKlPlN2at6native12_GLOBAL__N_18offset_tEEE10hipError_tPvRmT1_PNSt15iterator_traitsISK_E10value_typeET2_T3_PNSL_ISQ_E10value_typeET4_jRbjT5_SW_jjP12ihipStream_tbEUlT_E_NS1_11comp_targetILNS1_3genE8ELNS1_11target_archE1030ELNS1_3gpuE2ELNS1_3repE0EEENS1_30default_config_static_selectorELNS0_4arch9wavefront6targetE1EEEvSK_, .Lfunc_end1230-_ZN7rocprim17ROCPRIM_400000_NS6detail17trampoline_kernelINS0_14default_configENS1_36segmented_radix_sort_config_selectorIdlEEZNS1_25segmented_radix_sort_implIS3_Lb0EPKdPdPKlPlN2at6native12_GLOBAL__N_18offset_tEEE10hipError_tPvRmT1_PNSt15iterator_traitsISK_E10value_typeET2_T3_PNSL_ISQ_E10value_typeET4_jRbjT5_SW_jjP12ihipStream_tbEUlT_E_NS1_11comp_targetILNS1_3genE8ELNS1_11target_archE1030ELNS1_3gpuE2ELNS1_3repE0EEENS1_30default_config_static_selectorELNS0_4arch9wavefront6targetE1EEEvSK_
                                        ; -- End function
	.set _ZN7rocprim17ROCPRIM_400000_NS6detail17trampoline_kernelINS0_14default_configENS1_36segmented_radix_sort_config_selectorIdlEEZNS1_25segmented_radix_sort_implIS3_Lb0EPKdPdPKlPlN2at6native12_GLOBAL__N_18offset_tEEE10hipError_tPvRmT1_PNSt15iterator_traitsISK_E10value_typeET2_T3_PNSL_ISQ_E10value_typeET4_jRbjT5_SW_jjP12ihipStream_tbEUlT_E_NS1_11comp_targetILNS1_3genE8ELNS1_11target_archE1030ELNS1_3gpuE2ELNS1_3repE0EEENS1_30default_config_static_selectorELNS0_4arch9wavefront6targetE1EEEvSK_.num_vgpr, 0
	.set _ZN7rocprim17ROCPRIM_400000_NS6detail17trampoline_kernelINS0_14default_configENS1_36segmented_radix_sort_config_selectorIdlEEZNS1_25segmented_radix_sort_implIS3_Lb0EPKdPdPKlPlN2at6native12_GLOBAL__N_18offset_tEEE10hipError_tPvRmT1_PNSt15iterator_traitsISK_E10value_typeET2_T3_PNSL_ISQ_E10value_typeET4_jRbjT5_SW_jjP12ihipStream_tbEUlT_E_NS1_11comp_targetILNS1_3genE8ELNS1_11target_archE1030ELNS1_3gpuE2ELNS1_3repE0EEENS1_30default_config_static_selectorELNS0_4arch9wavefront6targetE1EEEvSK_.num_agpr, 0
	.set _ZN7rocprim17ROCPRIM_400000_NS6detail17trampoline_kernelINS0_14default_configENS1_36segmented_radix_sort_config_selectorIdlEEZNS1_25segmented_radix_sort_implIS3_Lb0EPKdPdPKlPlN2at6native12_GLOBAL__N_18offset_tEEE10hipError_tPvRmT1_PNSt15iterator_traitsISK_E10value_typeET2_T3_PNSL_ISQ_E10value_typeET4_jRbjT5_SW_jjP12ihipStream_tbEUlT_E_NS1_11comp_targetILNS1_3genE8ELNS1_11target_archE1030ELNS1_3gpuE2ELNS1_3repE0EEENS1_30default_config_static_selectorELNS0_4arch9wavefront6targetE1EEEvSK_.numbered_sgpr, 0
	.set _ZN7rocprim17ROCPRIM_400000_NS6detail17trampoline_kernelINS0_14default_configENS1_36segmented_radix_sort_config_selectorIdlEEZNS1_25segmented_radix_sort_implIS3_Lb0EPKdPdPKlPlN2at6native12_GLOBAL__N_18offset_tEEE10hipError_tPvRmT1_PNSt15iterator_traitsISK_E10value_typeET2_T3_PNSL_ISQ_E10value_typeET4_jRbjT5_SW_jjP12ihipStream_tbEUlT_E_NS1_11comp_targetILNS1_3genE8ELNS1_11target_archE1030ELNS1_3gpuE2ELNS1_3repE0EEENS1_30default_config_static_selectorELNS0_4arch9wavefront6targetE1EEEvSK_.num_named_barrier, 0
	.set _ZN7rocprim17ROCPRIM_400000_NS6detail17trampoline_kernelINS0_14default_configENS1_36segmented_radix_sort_config_selectorIdlEEZNS1_25segmented_radix_sort_implIS3_Lb0EPKdPdPKlPlN2at6native12_GLOBAL__N_18offset_tEEE10hipError_tPvRmT1_PNSt15iterator_traitsISK_E10value_typeET2_T3_PNSL_ISQ_E10value_typeET4_jRbjT5_SW_jjP12ihipStream_tbEUlT_E_NS1_11comp_targetILNS1_3genE8ELNS1_11target_archE1030ELNS1_3gpuE2ELNS1_3repE0EEENS1_30default_config_static_selectorELNS0_4arch9wavefront6targetE1EEEvSK_.private_seg_size, 0
	.set _ZN7rocprim17ROCPRIM_400000_NS6detail17trampoline_kernelINS0_14default_configENS1_36segmented_radix_sort_config_selectorIdlEEZNS1_25segmented_radix_sort_implIS3_Lb0EPKdPdPKlPlN2at6native12_GLOBAL__N_18offset_tEEE10hipError_tPvRmT1_PNSt15iterator_traitsISK_E10value_typeET2_T3_PNSL_ISQ_E10value_typeET4_jRbjT5_SW_jjP12ihipStream_tbEUlT_E_NS1_11comp_targetILNS1_3genE8ELNS1_11target_archE1030ELNS1_3gpuE2ELNS1_3repE0EEENS1_30default_config_static_selectorELNS0_4arch9wavefront6targetE1EEEvSK_.uses_vcc, 0
	.set _ZN7rocprim17ROCPRIM_400000_NS6detail17trampoline_kernelINS0_14default_configENS1_36segmented_radix_sort_config_selectorIdlEEZNS1_25segmented_radix_sort_implIS3_Lb0EPKdPdPKlPlN2at6native12_GLOBAL__N_18offset_tEEE10hipError_tPvRmT1_PNSt15iterator_traitsISK_E10value_typeET2_T3_PNSL_ISQ_E10value_typeET4_jRbjT5_SW_jjP12ihipStream_tbEUlT_E_NS1_11comp_targetILNS1_3genE8ELNS1_11target_archE1030ELNS1_3gpuE2ELNS1_3repE0EEENS1_30default_config_static_selectorELNS0_4arch9wavefront6targetE1EEEvSK_.uses_flat_scratch, 0
	.set _ZN7rocprim17ROCPRIM_400000_NS6detail17trampoline_kernelINS0_14default_configENS1_36segmented_radix_sort_config_selectorIdlEEZNS1_25segmented_radix_sort_implIS3_Lb0EPKdPdPKlPlN2at6native12_GLOBAL__N_18offset_tEEE10hipError_tPvRmT1_PNSt15iterator_traitsISK_E10value_typeET2_T3_PNSL_ISQ_E10value_typeET4_jRbjT5_SW_jjP12ihipStream_tbEUlT_E_NS1_11comp_targetILNS1_3genE8ELNS1_11target_archE1030ELNS1_3gpuE2ELNS1_3repE0EEENS1_30default_config_static_selectorELNS0_4arch9wavefront6targetE1EEEvSK_.has_dyn_sized_stack, 0
	.set _ZN7rocprim17ROCPRIM_400000_NS6detail17trampoline_kernelINS0_14default_configENS1_36segmented_radix_sort_config_selectorIdlEEZNS1_25segmented_radix_sort_implIS3_Lb0EPKdPdPKlPlN2at6native12_GLOBAL__N_18offset_tEEE10hipError_tPvRmT1_PNSt15iterator_traitsISK_E10value_typeET2_T3_PNSL_ISQ_E10value_typeET4_jRbjT5_SW_jjP12ihipStream_tbEUlT_E_NS1_11comp_targetILNS1_3genE8ELNS1_11target_archE1030ELNS1_3gpuE2ELNS1_3repE0EEENS1_30default_config_static_selectorELNS0_4arch9wavefront6targetE1EEEvSK_.has_recursion, 0
	.set _ZN7rocprim17ROCPRIM_400000_NS6detail17trampoline_kernelINS0_14default_configENS1_36segmented_radix_sort_config_selectorIdlEEZNS1_25segmented_radix_sort_implIS3_Lb0EPKdPdPKlPlN2at6native12_GLOBAL__N_18offset_tEEE10hipError_tPvRmT1_PNSt15iterator_traitsISK_E10value_typeET2_T3_PNSL_ISQ_E10value_typeET4_jRbjT5_SW_jjP12ihipStream_tbEUlT_E_NS1_11comp_targetILNS1_3genE8ELNS1_11target_archE1030ELNS1_3gpuE2ELNS1_3repE0EEENS1_30default_config_static_selectorELNS0_4arch9wavefront6targetE1EEEvSK_.has_indirect_call, 0
	.section	.AMDGPU.csdata,"",@progbits
; Kernel info:
; codeLenInByte = 0
; TotalNumSgprs: 4
; NumVgprs: 0
; ScratchSize: 0
; MemoryBound: 0
; FloatMode: 240
; IeeeMode: 1
; LDSByteSize: 0 bytes/workgroup (compile time only)
; SGPRBlocks: 0
; VGPRBlocks: 0
; NumSGPRsForWavesPerEU: 4
; NumVGPRsForWavesPerEU: 1
; Occupancy: 10
; WaveLimiterHint : 0
; COMPUTE_PGM_RSRC2:SCRATCH_EN: 0
; COMPUTE_PGM_RSRC2:USER_SGPR: 6
; COMPUTE_PGM_RSRC2:TRAP_HANDLER: 0
; COMPUTE_PGM_RSRC2:TGID_X_EN: 1
; COMPUTE_PGM_RSRC2:TGID_Y_EN: 0
; COMPUTE_PGM_RSRC2:TGID_Z_EN: 0
; COMPUTE_PGM_RSRC2:TIDIG_COMP_CNT: 0
	.section	.text._ZN7rocprim17ROCPRIM_400000_NS6detail17trampoline_kernelINS0_14default_configENS1_36segmented_radix_sort_config_selectorIdlEEZNS1_25segmented_radix_sort_implIS3_Lb0EPKdPdPKlPlN2at6native12_GLOBAL__N_18offset_tEEE10hipError_tPvRmT1_PNSt15iterator_traitsISK_E10value_typeET2_T3_PNSL_ISQ_E10value_typeET4_jRbjT5_SW_jjP12ihipStream_tbEUlT_E0_NS1_11comp_targetILNS1_3genE0ELNS1_11target_archE4294967295ELNS1_3gpuE0ELNS1_3repE0EEENS1_60segmented_radix_sort_warp_sort_medium_config_static_selectorELNS0_4arch9wavefront6targetE1EEEvSK_,"axG",@progbits,_ZN7rocprim17ROCPRIM_400000_NS6detail17trampoline_kernelINS0_14default_configENS1_36segmented_radix_sort_config_selectorIdlEEZNS1_25segmented_radix_sort_implIS3_Lb0EPKdPdPKlPlN2at6native12_GLOBAL__N_18offset_tEEE10hipError_tPvRmT1_PNSt15iterator_traitsISK_E10value_typeET2_T3_PNSL_ISQ_E10value_typeET4_jRbjT5_SW_jjP12ihipStream_tbEUlT_E0_NS1_11comp_targetILNS1_3genE0ELNS1_11target_archE4294967295ELNS1_3gpuE0ELNS1_3repE0EEENS1_60segmented_radix_sort_warp_sort_medium_config_static_selectorELNS0_4arch9wavefront6targetE1EEEvSK_,comdat
	.globl	_ZN7rocprim17ROCPRIM_400000_NS6detail17trampoline_kernelINS0_14default_configENS1_36segmented_radix_sort_config_selectorIdlEEZNS1_25segmented_radix_sort_implIS3_Lb0EPKdPdPKlPlN2at6native12_GLOBAL__N_18offset_tEEE10hipError_tPvRmT1_PNSt15iterator_traitsISK_E10value_typeET2_T3_PNSL_ISQ_E10value_typeET4_jRbjT5_SW_jjP12ihipStream_tbEUlT_E0_NS1_11comp_targetILNS1_3genE0ELNS1_11target_archE4294967295ELNS1_3gpuE0ELNS1_3repE0EEENS1_60segmented_radix_sort_warp_sort_medium_config_static_selectorELNS0_4arch9wavefront6targetE1EEEvSK_ ; -- Begin function _ZN7rocprim17ROCPRIM_400000_NS6detail17trampoline_kernelINS0_14default_configENS1_36segmented_radix_sort_config_selectorIdlEEZNS1_25segmented_radix_sort_implIS3_Lb0EPKdPdPKlPlN2at6native12_GLOBAL__N_18offset_tEEE10hipError_tPvRmT1_PNSt15iterator_traitsISK_E10value_typeET2_T3_PNSL_ISQ_E10value_typeET4_jRbjT5_SW_jjP12ihipStream_tbEUlT_E0_NS1_11comp_targetILNS1_3genE0ELNS1_11target_archE4294967295ELNS1_3gpuE0ELNS1_3repE0EEENS1_60segmented_radix_sort_warp_sort_medium_config_static_selectorELNS0_4arch9wavefront6targetE1EEEvSK_
	.p2align	8
	.type	_ZN7rocprim17ROCPRIM_400000_NS6detail17trampoline_kernelINS0_14default_configENS1_36segmented_radix_sort_config_selectorIdlEEZNS1_25segmented_radix_sort_implIS3_Lb0EPKdPdPKlPlN2at6native12_GLOBAL__N_18offset_tEEE10hipError_tPvRmT1_PNSt15iterator_traitsISK_E10value_typeET2_T3_PNSL_ISQ_E10value_typeET4_jRbjT5_SW_jjP12ihipStream_tbEUlT_E0_NS1_11comp_targetILNS1_3genE0ELNS1_11target_archE4294967295ELNS1_3gpuE0ELNS1_3repE0EEENS1_60segmented_radix_sort_warp_sort_medium_config_static_selectorELNS0_4arch9wavefront6targetE1EEEvSK_,@function
_ZN7rocprim17ROCPRIM_400000_NS6detail17trampoline_kernelINS0_14default_configENS1_36segmented_radix_sort_config_selectorIdlEEZNS1_25segmented_radix_sort_implIS3_Lb0EPKdPdPKlPlN2at6native12_GLOBAL__N_18offset_tEEE10hipError_tPvRmT1_PNSt15iterator_traitsISK_E10value_typeET2_T3_PNSL_ISQ_E10value_typeET4_jRbjT5_SW_jjP12ihipStream_tbEUlT_E0_NS1_11comp_targetILNS1_3genE0ELNS1_11target_archE4294967295ELNS1_3gpuE0ELNS1_3repE0EEENS1_60segmented_radix_sort_warp_sort_medium_config_static_selectorELNS0_4arch9wavefront6targetE1EEEvSK_: ; @_ZN7rocprim17ROCPRIM_400000_NS6detail17trampoline_kernelINS0_14default_configENS1_36segmented_radix_sort_config_selectorIdlEEZNS1_25segmented_radix_sort_implIS3_Lb0EPKdPdPKlPlN2at6native12_GLOBAL__N_18offset_tEEE10hipError_tPvRmT1_PNSt15iterator_traitsISK_E10value_typeET2_T3_PNSL_ISQ_E10value_typeET4_jRbjT5_SW_jjP12ihipStream_tbEUlT_E0_NS1_11comp_targetILNS1_3genE0ELNS1_11target_archE4294967295ELNS1_3gpuE0ELNS1_3repE0EEENS1_60segmented_radix_sort_warp_sort_medium_config_static_selectorELNS0_4arch9wavefront6targetE1EEEvSK_
; %bb.0:
	.section	.rodata,"a",@progbits
	.p2align	6, 0x0
	.amdhsa_kernel _ZN7rocprim17ROCPRIM_400000_NS6detail17trampoline_kernelINS0_14default_configENS1_36segmented_radix_sort_config_selectorIdlEEZNS1_25segmented_radix_sort_implIS3_Lb0EPKdPdPKlPlN2at6native12_GLOBAL__N_18offset_tEEE10hipError_tPvRmT1_PNSt15iterator_traitsISK_E10value_typeET2_T3_PNSL_ISQ_E10value_typeET4_jRbjT5_SW_jjP12ihipStream_tbEUlT_E0_NS1_11comp_targetILNS1_3genE0ELNS1_11target_archE4294967295ELNS1_3gpuE0ELNS1_3repE0EEENS1_60segmented_radix_sort_warp_sort_medium_config_static_selectorELNS0_4arch9wavefront6targetE1EEEvSK_
		.amdhsa_group_segment_fixed_size 0
		.amdhsa_private_segment_fixed_size 0
		.amdhsa_kernarg_size 88
		.amdhsa_user_sgpr_count 6
		.amdhsa_user_sgpr_private_segment_buffer 1
		.amdhsa_user_sgpr_dispatch_ptr 0
		.amdhsa_user_sgpr_queue_ptr 0
		.amdhsa_user_sgpr_kernarg_segment_ptr 1
		.amdhsa_user_sgpr_dispatch_id 0
		.amdhsa_user_sgpr_flat_scratch_init 0
		.amdhsa_user_sgpr_private_segment_size 0
		.amdhsa_uses_dynamic_stack 0
		.amdhsa_system_sgpr_private_segment_wavefront_offset 0
		.amdhsa_system_sgpr_workgroup_id_x 1
		.amdhsa_system_sgpr_workgroup_id_y 0
		.amdhsa_system_sgpr_workgroup_id_z 0
		.amdhsa_system_sgpr_workgroup_info 0
		.amdhsa_system_vgpr_workitem_id 0
		.amdhsa_next_free_vgpr 1
		.amdhsa_next_free_sgpr 0
		.amdhsa_reserve_vcc 0
		.amdhsa_reserve_flat_scratch 0
		.amdhsa_float_round_mode_32 0
		.amdhsa_float_round_mode_16_64 0
		.amdhsa_float_denorm_mode_32 3
		.amdhsa_float_denorm_mode_16_64 3
		.amdhsa_dx10_clamp 1
		.amdhsa_ieee_mode 1
		.amdhsa_fp16_overflow 0
		.amdhsa_exception_fp_ieee_invalid_op 0
		.amdhsa_exception_fp_denorm_src 0
		.amdhsa_exception_fp_ieee_div_zero 0
		.amdhsa_exception_fp_ieee_overflow 0
		.amdhsa_exception_fp_ieee_underflow 0
		.amdhsa_exception_fp_ieee_inexact 0
		.amdhsa_exception_int_div_zero 0
	.end_amdhsa_kernel
	.section	.text._ZN7rocprim17ROCPRIM_400000_NS6detail17trampoline_kernelINS0_14default_configENS1_36segmented_radix_sort_config_selectorIdlEEZNS1_25segmented_radix_sort_implIS3_Lb0EPKdPdPKlPlN2at6native12_GLOBAL__N_18offset_tEEE10hipError_tPvRmT1_PNSt15iterator_traitsISK_E10value_typeET2_T3_PNSL_ISQ_E10value_typeET4_jRbjT5_SW_jjP12ihipStream_tbEUlT_E0_NS1_11comp_targetILNS1_3genE0ELNS1_11target_archE4294967295ELNS1_3gpuE0ELNS1_3repE0EEENS1_60segmented_radix_sort_warp_sort_medium_config_static_selectorELNS0_4arch9wavefront6targetE1EEEvSK_,"axG",@progbits,_ZN7rocprim17ROCPRIM_400000_NS6detail17trampoline_kernelINS0_14default_configENS1_36segmented_radix_sort_config_selectorIdlEEZNS1_25segmented_radix_sort_implIS3_Lb0EPKdPdPKlPlN2at6native12_GLOBAL__N_18offset_tEEE10hipError_tPvRmT1_PNSt15iterator_traitsISK_E10value_typeET2_T3_PNSL_ISQ_E10value_typeET4_jRbjT5_SW_jjP12ihipStream_tbEUlT_E0_NS1_11comp_targetILNS1_3genE0ELNS1_11target_archE4294967295ELNS1_3gpuE0ELNS1_3repE0EEENS1_60segmented_radix_sort_warp_sort_medium_config_static_selectorELNS0_4arch9wavefront6targetE1EEEvSK_,comdat
.Lfunc_end1231:
	.size	_ZN7rocprim17ROCPRIM_400000_NS6detail17trampoline_kernelINS0_14default_configENS1_36segmented_radix_sort_config_selectorIdlEEZNS1_25segmented_radix_sort_implIS3_Lb0EPKdPdPKlPlN2at6native12_GLOBAL__N_18offset_tEEE10hipError_tPvRmT1_PNSt15iterator_traitsISK_E10value_typeET2_T3_PNSL_ISQ_E10value_typeET4_jRbjT5_SW_jjP12ihipStream_tbEUlT_E0_NS1_11comp_targetILNS1_3genE0ELNS1_11target_archE4294967295ELNS1_3gpuE0ELNS1_3repE0EEENS1_60segmented_radix_sort_warp_sort_medium_config_static_selectorELNS0_4arch9wavefront6targetE1EEEvSK_, .Lfunc_end1231-_ZN7rocprim17ROCPRIM_400000_NS6detail17trampoline_kernelINS0_14default_configENS1_36segmented_radix_sort_config_selectorIdlEEZNS1_25segmented_radix_sort_implIS3_Lb0EPKdPdPKlPlN2at6native12_GLOBAL__N_18offset_tEEE10hipError_tPvRmT1_PNSt15iterator_traitsISK_E10value_typeET2_T3_PNSL_ISQ_E10value_typeET4_jRbjT5_SW_jjP12ihipStream_tbEUlT_E0_NS1_11comp_targetILNS1_3genE0ELNS1_11target_archE4294967295ELNS1_3gpuE0ELNS1_3repE0EEENS1_60segmented_radix_sort_warp_sort_medium_config_static_selectorELNS0_4arch9wavefront6targetE1EEEvSK_
                                        ; -- End function
	.set _ZN7rocprim17ROCPRIM_400000_NS6detail17trampoline_kernelINS0_14default_configENS1_36segmented_radix_sort_config_selectorIdlEEZNS1_25segmented_radix_sort_implIS3_Lb0EPKdPdPKlPlN2at6native12_GLOBAL__N_18offset_tEEE10hipError_tPvRmT1_PNSt15iterator_traitsISK_E10value_typeET2_T3_PNSL_ISQ_E10value_typeET4_jRbjT5_SW_jjP12ihipStream_tbEUlT_E0_NS1_11comp_targetILNS1_3genE0ELNS1_11target_archE4294967295ELNS1_3gpuE0ELNS1_3repE0EEENS1_60segmented_radix_sort_warp_sort_medium_config_static_selectorELNS0_4arch9wavefront6targetE1EEEvSK_.num_vgpr, 0
	.set _ZN7rocprim17ROCPRIM_400000_NS6detail17trampoline_kernelINS0_14default_configENS1_36segmented_radix_sort_config_selectorIdlEEZNS1_25segmented_radix_sort_implIS3_Lb0EPKdPdPKlPlN2at6native12_GLOBAL__N_18offset_tEEE10hipError_tPvRmT1_PNSt15iterator_traitsISK_E10value_typeET2_T3_PNSL_ISQ_E10value_typeET4_jRbjT5_SW_jjP12ihipStream_tbEUlT_E0_NS1_11comp_targetILNS1_3genE0ELNS1_11target_archE4294967295ELNS1_3gpuE0ELNS1_3repE0EEENS1_60segmented_radix_sort_warp_sort_medium_config_static_selectorELNS0_4arch9wavefront6targetE1EEEvSK_.num_agpr, 0
	.set _ZN7rocprim17ROCPRIM_400000_NS6detail17trampoline_kernelINS0_14default_configENS1_36segmented_radix_sort_config_selectorIdlEEZNS1_25segmented_radix_sort_implIS3_Lb0EPKdPdPKlPlN2at6native12_GLOBAL__N_18offset_tEEE10hipError_tPvRmT1_PNSt15iterator_traitsISK_E10value_typeET2_T3_PNSL_ISQ_E10value_typeET4_jRbjT5_SW_jjP12ihipStream_tbEUlT_E0_NS1_11comp_targetILNS1_3genE0ELNS1_11target_archE4294967295ELNS1_3gpuE0ELNS1_3repE0EEENS1_60segmented_radix_sort_warp_sort_medium_config_static_selectorELNS0_4arch9wavefront6targetE1EEEvSK_.numbered_sgpr, 0
	.set _ZN7rocprim17ROCPRIM_400000_NS6detail17trampoline_kernelINS0_14default_configENS1_36segmented_radix_sort_config_selectorIdlEEZNS1_25segmented_radix_sort_implIS3_Lb0EPKdPdPKlPlN2at6native12_GLOBAL__N_18offset_tEEE10hipError_tPvRmT1_PNSt15iterator_traitsISK_E10value_typeET2_T3_PNSL_ISQ_E10value_typeET4_jRbjT5_SW_jjP12ihipStream_tbEUlT_E0_NS1_11comp_targetILNS1_3genE0ELNS1_11target_archE4294967295ELNS1_3gpuE0ELNS1_3repE0EEENS1_60segmented_radix_sort_warp_sort_medium_config_static_selectorELNS0_4arch9wavefront6targetE1EEEvSK_.num_named_barrier, 0
	.set _ZN7rocprim17ROCPRIM_400000_NS6detail17trampoline_kernelINS0_14default_configENS1_36segmented_radix_sort_config_selectorIdlEEZNS1_25segmented_radix_sort_implIS3_Lb0EPKdPdPKlPlN2at6native12_GLOBAL__N_18offset_tEEE10hipError_tPvRmT1_PNSt15iterator_traitsISK_E10value_typeET2_T3_PNSL_ISQ_E10value_typeET4_jRbjT5_SW_jjP12ihipStream_tbEUlT_E0_NS1_11comp_targetILNS1_3genE0ELNS1_11target_archE4294967295ELNS1_3gpuE0ELNS1_3repE0EEENS1_60segmented_radix_sort_warp_sort_medium_config_static_selectorELNS0_4arch9wavefront6targetE1EEEvSK_.private_seg_size, 0
	.set _ZN7rocprim17ROCPRIM_400000_NS6detail17trampoline_kernelINS0_14default_configENS1_36segmented_radix_sort_config_selectorIdlEEZNS1_25segmented_radix_sort_implIS3_Lb0EPKdPdPKlPlN2at6native12_GLOBAL__N_18offset_tEEE10hipError_tPvRmT1_PNSt15iterator_traitsISK_E10value_typeET2_T3_PNSL_ISQ_E10value_typeET4_jRbjT5_SW_jjP12ihipStream_tbEUlT_E0_NS1_11comp_targetILNS1_3genE0ELNS1_11target_archE4294967295ELNS1_3gpuE0ELNS1_3repE0EEENS1_60segmented_radix_sort_warp_sort_medium_config_static_selectorELNS0_4arch9wavefront6targetE1EEEvSK_.uses_vcc, 0
	.set _ZN7rocprim17ROCPRIM_400000_NS6detail17trampoline_kernelINS0_14default_configENS1_36segmented_radix_sort_config_selectorIdlEEZNS1_25segmented_radix_sort_implIS3_Lb0EPKdPdPKlPlN2at6native12_GLOBAL__N_18offset_tEEE10hipError_tPvRmT1_PNSt15iterator_traitsISK_E10value_typeET2_T3_PNSL_ISQ_E10value_typeET4_jRbjT5_SW_jjP12ihipStream_tbEUlT_E0_NS1_11comp_targetILNS1_3genE0ELNS1_11target_archE4294967295ELNS1_3gpuE0ELNS1_3repE0EEENS1_60segmented_radix_sort_warp_sort_medium_config_static_selectorELNS0_4arch9wavefront6targetE1EEEvSK_.uses_flat_scratch, 0
	.set _ZN7rocprim17ROCPRIM_400000_NS6detail17trampoline_kernelINS0_14default_configENS1_36segmented_radix_sort_config_selectorIdlEEZNS1_25segmented_radix_sort_implIS3_Lb0EPKdPdPKlPlN2at6native12_GLOBAL__N_18offset_tEEE10hipError_tPvRmT1_PNSt15iterator_traitsISK_E10value_typeET2_T3_PNSL_ISQ_E10value_typeET4_jRbjT5_SW_jjP12ihipStream_tbEUlT_E0_NS1_11comp_targetILNS1_3genE0ELNS1_11target_archE4294967295ELNS1_3gpuE0ELNS1_3repE0EEENS1_60segmented_radix_sort_warp_sort_medium_config_static_selectorELNS0_4arch9wavefront6targetE1EEEvSK_.has_dyn_sized_stack, 0
	.set _ZN7rocprim17ROCPRIM_400000_NS6detail17trampoline_kernelINS0_14default_configENS1_36segmented_radix_sort_config_selectorIdlEEZNS1_25segmented_radix_sort_implIS3_Lb0EPKdPdPKlPlN2at6native12_GLOBAL__N_18offset_tEEE10hipError_tPvRmT1_PNSt15iterator_traitsISK_E10value_typeET2_T3_PNSL_ISQ_E10value_typeET4_jRbjT5_SW_jjP12ihipStream_tbEUlT_E0_NS1_11comp_targetILNS1_3genE0ELNS1_11target_archE4294967295ELNS1_3gpuE0ELNS1_3repE0EEENS1_60segmented_radix_sort_warp_sort_medium_config_static_selectorELNS0_4arch9wavefront6targetE1EEEvSK_.has_recursion, 0
	.set _ZN7rocprim17ROCPRIM_400000_NS6detail17trampoline_kernelINS0_14default_configENS1_36segmented_radix_sort_config_selectorIdlEEZNS1_25segmented_radix_sort_implIS3_Lb0EPKdPdPKlPlN2at6native12_GLOBAL__N_18offset_tEEE10hipError_tPvRmT1_PNSt15iterator_traitsISK_E10value_typeET2_T3_PNSL_ISQ_E10value_typeET4_jRbjT5_SW_jjP12ihipStream_tbEUlT_E0_NS1_11comp_targetILNS1_3genE0ELNS1_11target_archE4294967295ELNS1_3gpuE0ELNS1_3repE0EEENS1_60segmented_radix_sort_warp_sort_medium_config_static_selectorELNS0_4arch9wavefront6targetE1EEEvSK_.has_indirect_call, 0
	.section	.AMDGPU.csdata,"",@progbits
; Kernel info:
; codeLenInByte = 0
; TotalNumSgprs: 4
; NumVgprs: 0
; ScratchSize: 0
; MemoryBound: 0
; FloatMode: 240
; IeeeMode: 1
; LDSByteSize: 0 bytes/workgroup (compile time only)
; SGPRBlocks: 0
; VGPRBlocks: 0
; NumSGPRsForWavesPerEU: 4
; NumVGPRsForWavesPerEU: 1
; Occupancy: 10
; WaveLimiterHint : 0
; COMPUTE_PGM_RSRC2:SCRATCH_EN: 0
; COMPUTE_PGM_RSRC2:USER_SGPR: 6
; COMPUTE_PGM_RSRC2:TRAP_HANDLER: 0
; COMPUTE_PGM_RSRC2:TGID_X_EN: 1
; COMPUTE_PGM_RSRC2:TGID_Y_EN: 0
; COMPUTE_PGM_RSRC2:TGID_Z_EN: 0
; COMPUTE_PGM_RSRC2:TIDIG_COMP_CNT: 0
	.section	.text._ZN7rocprim17ROCPRIM_400000_NS6detail17trampoline_kernelINS0_14default_configENS1_36segmented_radix_sort_config_selectorIdlEEZNS1_25segmented_radix_sort_implIS3_Lb0EPKdPdPKlPlN2at6native12_GLOBAL__N_18offset_tEEE10hipError_tPvRmT1_PNSt15iterator_traitsISK_E10value_typeET2_T3_PNSL_ISQ_E10value_typeET4_jRbjT5_SW_jjP12ihipStream_tbEUlT_E0_NS1_11comp_targetILNS1_3genE5ELNS1_11target_archE942ELNS1_3gpuE9ELNS1_3repE0EEENS1_60segmented_radix_sort_warp_sort_medium_config_static_selectorELNS0_4arch9wavefront6targetE1EEEvSK_,"axG",@progbits,_ZN7rocprim17ROCPRIM_400000_NS6detail17trampoline_kernelINS0_14default_configENS1_36segmented_radix_sort_config_selectorIdlEEZNS1_25segmented_radix_sort_implIS3_Lb0EPKdPdPKlPlN2at6native12_GLOBAL__N_18offset_tEEE10hipError_tPvRmT1_PNSt15iterator_traitsISK_E10value_typeET2_T3_PNSL_ISQ_E10value_typeET4_jRbjT5_SW_jjP12ihipStream_tbEUlT_E0_NS1_11comp_targetILNS1_3genE5ELNS1_11target_archE942ELNS1_3gpuE9ELNS1_3repE0EEENS1_60segmented_radix_sort_warp_sort_medium_config_static_selectorELNS0_4arch9wavefront6targetE1EEEvSK_,comdat
	.globl	_ZN7rocprim17ROCPRIM_400000_NS6detail17trampoline_kernelINS0_14default_configENS1_36segmented_radix_sort_config_selectorIdlEEZNS1_25segmented_radix_sort_implIS3_Lb0EPKdPdPKlPlN2at6native12_GLOBAL__N_18offset_tEEE10hipError_tPvRmT1_PNSt15iterator_traitsISK_E10value_typeET2_T3_PNSL_ISQ_E10value_typeET4_jRbjT5_SW_jjP12ihipStream_tbEUlT_E0_NS1_11comp_targetILNS1_3genE5ELNS1_11target_archE942ELNS1_3gpuE9ELNS1_3repE0EEENS1_60segmented_radix_sort_warp_sort_medium_config_static_selectorELNS0_4arch9wavefront6targetE1EEEvSK_ ; -- Begin function _ZN7rocprim17ROCPRIM_400000_NS6detail17trampoline_kernelINS0_14default_configENS1_36segmented_radix_sort_config_selectorIdlEEZNS1_25segmented_radix_sort_implIS3_Lb0EPKdPdPKlPlN2at6native12_GLOBAL__N_18offset_tEEE10hipError_tPvRmT1_PNSt15iterator_traitsISK_E10value_typeET2_T3_PNSL_ISQ_E10value_typeET4_jRbjT5_SW_jjP12ihipStream_tbEUlT_E0_NS1_11comp_targetILNS1_3genE5ELNS1_11target_archE942ELNS1_3gpuE9ELNS1_3repE0EEENS1_60segmented_radix_sort_warp_sort_medium_config_static_selectorELNS0_4arch9wavefront6targetE1EEEvSK_
	.p2align	8
	.type	_ZN7rocprim17ROCPRIM_400000_NS6detail17trampoline_kernelINS0_14default_configENS1_36segmented_radix_sort_config_selectorIdlEEZNS1_25segmented_radix_sort_implIS3_Lb0EPKdPdPKlPlN2at6native12_GLOBAL__N_18offset_tEEE10hipError_tPvRmT1_PNSt15iterator_traitsISK_E10value_typeET2_T3_PNSL_ISQ_E10value_typeET4_jRbjT5_SW_jjP12ihipStream_tbEUlT_E0_NS1_11comp_targetILNS1_3genE5ELNS1_11target_archE942ELNS1_3gpuE9ELNS1_3repE0EEENS1_60segmented_radix_sort_warp_sort_medium_config_static_selectorELNS0_4arch9wavefront6targetE1EEEvSK_,@function
_ZN7rocprim17ROCPRIM_400000_NS6detail17trampoline_kernelINS0_14default_configENS1_36segmented_radix_sort_config_selectorIdlEEZNS1_25segmented_radix_sort_implIS3_Lb0EPKdPdPKlPlN2at6native12_GLOBAL__N_18offset_tEEE10hipError_tPvRmT1_PNSt15iterator_traitsISK_E10value_typeET2_T3_PNSL_ISQ_E10value_typeET4_jRbjT5_SW_jjP12ihipStream_tbEUlT_E0_NS1_11comp_targetILNS1_3genE5ELNS1_11target_archE942ELNS1_3gpuE9ELNS1_3repE0EEENS1_60segmented_radix_sort_warp_sort_medium_config_static_selectorELNS0_4arch9wavefront6targetE1EEEvSK_: ; @_ZN7rocprim17ROCPRIM_400000_NS6detail17trampoline_kernelINS0_14default_configENS1_36segmented_radix_sort_config_selectorIdlEEZNS1_25segmented_radix_sort_implIS3_Lb0EPKdPdPKlPlN2at6native12_GLOBAL__N_18offset_tEEE10hipError_tPvRmT1_PNSt15iterator_traitsISK_E10value_typeET2_T3_PNSL_ISQ_E10value_typeET4_jRbjT5_SW_jjP12ihipStream_tbEUlT_E0_NS1_11comp_targetILNS1_3genE5ELNS1_11target_archE942ELNS1_3gpuE9ELNS1_3repE0EEENS1_60segmented_radix_sort_warp_sort_medium_config_static_selectorELNS0_4arch9wavefront6targetE1EEEvSK_
; %bb.0:
	.section	.rodata,"a",@progbits
	.p2align	6, 0x0
	.amdhsa_kernel _ZN7rocprim17ROCPRIM_400000_NS6detail17trampoline_kernelINS0_14default_configENS1_36segmented_radix_sort_config_selectorIdlEEZNS1_25segmented_radix_sort_implIS3_Lb0EPKdPdPKlPlN2at6native12_GLOBAL__N_18offset_tEEE10hipError_tPvRmT1_PNSt15iterator_traitsISK_E10value_typeET2_T3_PNSL_ISQ_E10value_typeET4_jRbjT5_SW_jjP12ihipStream_tbEUlT_E0_NS1_11comp_targetILNS1_3genE5ELNS1_11target_archE942ELNS1_3gpuE9ELNS1_3repE0EEENS1_60segmented_radix_sort_warp_sort_medium_config_static_selectorELNS0_4arch9wavefront6targetE1EEEvSK_
		.amdhsa_group_segment_fixed_size 0
		.amdhsa_private_segment_fixed_size 0
		.amdhsa_kernarg_size 88
		.amdhsa_user_sgpr_count 6
		.amdhsa_user_sgpr_private_segment_buffer 1
		.amdhsa_user_sgpr_dispatch_ptr 0
		.amdhsa_user_sgpr_queue_ptr 0
		.amdhsa_user_sgpr_kernarg_segment_ptr 1
		.amdhsa_user_sgpr_dispatch_id 0
		.amdhsa_user_sgpr_flat_scratch_init 0
		.amdhsa_user_sgpr_private_segment_size 0
		.amdhsa_uses_dynamic_stack 0
		.amdhsa_system_sgpr_private_segment_wavefront_offset 0
		.amdhsa_system_sgpr_workgroup_id_x 1
		.amdhsa_system_sgpr_workgroup_id_y 0
		.amdhsa_system_sgpr_workgroup_id_z 0
		.amdhsa_system_sgpr_workgroup_info 0
		.amdhsa_system_vgpr_workitem_id 0
		.amdhsa_next_free_vgpr 1
		.amdhsa_next_free_sgpr 0
		.amdhsa_reserve_vcc 0
		.amdhsa_reserve_flat_scratch 0
		.amdhsa_float_round_mode_32 0
		.amdhsa_float_round_mode_16_64 0
		.amdhsa_float_denorm_mode_32 3
		.amdhsa_float_denorm_mode_16_64 3
		.amdhsa_dx10_clamp 1
		.amdhsa_ieee_mode 1
		.amdhsa_fp16_overflow 0
		.amdhsa_exception_fp_ieee_invalid_op 0
		.amdhsa_exception_fp_denorm_src 0
		.amdhsa_exception_fp_ieee_div_zero 0
		.amdhsa_exception_fp_ieee_overflow 0
		.amdhsa_exception_fp_ieee_underflow 0
		.amdhsa_exception_fp_ieee_inexact 0
		.amdhsa_exception_int_div_zero 0
	.end_amdhsa_kernel
	.section	.text._ZN7rocprim17ROCPRIM_400000_NS6detail17trampoline_kernelINS0_14default_configENS1_36segmented_radix_sort_config_selectorIdlEEZNS1_25segmented_radix_sort_implIS3_Lb0EPKdPdPKlPlN2at6native12_GLOBAL__N_18offset_tEEE10hipError_tPvRmT1_PNSt15iterator_traitsISK_E10value_typeET2_T3_PNSL_ISQ_E10value_typeET4_jRbjT5_SW_jjP12ihipStream_tbEUlT_E0_NS1_11comp_targetILNS1_3genE5ELNS1_11target_archE942ELNS1_3gpuE9ELNS1_3repE0EEENS1_60segmented_radix_sort_warp_sort_medium_config_static_selectorELNS0_4arch9wavefront6targetE1EEEvSK_,"axG",@progbits,_ZN7rocprim17ROCPRIM_400000_NS6detail17trampoline_kernelINS0_14default_configENS1_36segmented_radix_sort_config_selectorIdlEEZNS1_25segmented_radix_sort_implIS3_Lb0EPKdPdPKlPlN2at6native12_GLOBAL__N_18offset_tEEE10hipError_tPvRmT1_PNSt15iterator_traitsISK_E10value_typeET2_T3_PNSL_ISQ_E10value_typeET4_jRbjT5_SW_jjP12ihipStream_tbEUlT_E0_NS1_11comp_targetILNS1_3genE5ELNS1_11target_archE942ELNS1_3gpuE9ELNS1_3repE0EEENS1_60segmented_radix_sort_warp_sort_medium_config_static_selectorELNS0_4arch9wavefront6targetE1EEEvSK_,comdat
.Lfunc_end1232:
	.size	_ZN7rocprim17ROCPRIM_400000_NS6detail17trampoline_kernelINS0_14default_configENS1_36segmented_radix_sort_config_selectorIdlEEZNS1_25segmented_radix_sort_implIS3_Lb0EPKdPdPKlPlN2at6native12_GLOBAL__N_18offset_tEEE10hipError_tPvRmT1_PNSt15iterator_traitsISK_E10value_typeET2_T3_PNSL_ISQ_E10value_typeET4_jRbjT5_SW_jjP12ihipStream_tbEUlT_E0_NS1_11comp_targetILNS1_3genE5ELNS1_11target_archE942ELNS1_3gpuE9ELNS1_3repE0EEENS1_60segmented_radix_sort_warp_sort_medium_config_static_selectorELNS0_4arch9wavefront6targetE1EEEvSK_, .Lfunc_end1232-_ZN7rocprim17ROCPRIM_400000_NS6detail17trampoline_kernelINS0_14default_configENS1_36segmented_radix_sort_config_selectorIdlEEZNS1_25segmented_radix_sort_implIS3_Lb0EPKdPdPKlPlN2at6native12_GLOBAL__N_18offset_tEEE10hipError_tPvRmT1_PNSt15iterator_traitsISK_E10value_typeET2_T3_PNSL_ISQ_E10value_typeET4_jRbjT5_SW_jjP12ihipStream_tbEUlT_E0_NS1_11comp_targetILNS1_3genE5ELNS1_11target_archE942ELNS1_3gpuE9ELNS1_3repE0EEENS1_60segmented_radix_sort_warp_sort_medium_config_static_selectorELNS0_4arch9wavefront6targetE1EEEvSK_
                                        ; -- End function
	.set _ZN7rocprim17ROCPRIM_400000_NS6detail17trampoline_kernelINS0_14default_configENS1_36segmented_radix_sort_config_selectorIdlEEZNS1_25segmented_radix_sort_implIS3_Lb0EPKdPdPKlPlN2at6native12_GLOBAL__N_18offset_tEEE10hipError_tPvRmT1_PNSt15iterator_traitsISK_E10value_typeET2_T3_PNSL_ISQ_E10value_typeET4_jRbjT5_SW_jjP12ihipStream_tbEUlT_E0_NS1_11comp_targetILNS1_3genE5ELNS1_11target_archE942ELNS1_3gpuE9ELNS1_3repE0EEENS1_60segmented_radix_sort_warp_sort_medium_config_static_selectorELNS0_4arch9wavefront6targetE1EEEvSK_.num_vgpr, 0
	.set _ZN7rocprim17ROCPRIM_400000_NS6detail17trampoline_kernelINS0_14default_configENS1_36segmented_radix_sort_config_selectorIdlEEZNS1_25segmented_radix_sort_implIS3_Lb0EPKdPdPKlPlN2at6native12_GLOBAL__N_18offset_tEEE10hipError_tPvRmT1_PNSt15iterator_traitsISK_E10value_typeET2_T3_PNSL_ISQ_E10value_typeET4_jRbjT5_SW_jjP12ihipStream_tbEUlT_E0_NS1_11comp_targetILNS1_3genE5ELNS1_11target_archE942ELNS1_3gpuE9ELNS1_3repE0EEENS1_60segmented_radix_sort_warp_sort_medium_config_static_selectorELNS0_4arch9wavefront6targetE1EEEvSK_.num_agpr, 0
	.set _ZN7rocprim17ROCPRIM_400000_NS6detail17trampoline_kernelINS0_14default_configENS1_36segmented_radix_sort_config_selectorIdlEEZNS1_25segmented_radix_sort_implIS3_Lb0EPKdPdPKlPlN2at6native12_GLOBAL__N_18offset_tEEE10hipError_tPvRmT1_PNSt15iterator_traitsISK_E10value_typeET2_T3_PNSL_ISQ_E10value_typeET4_jRbjT5_SW_jjP12ihipStream_tbEUlT_E0_NS1_11comp_targetILNS1_3genE5ELNS1_11target_archE942ELNS1_3gpuE9ELNS1_3repE0EEENS1_60segmented_radix_sort_warp_sort_medium_config_static_selectorELNS0_4arch9wavefront6targetE1EEEvSK_.numbered_sgpr, 0
	.set _ZN7rocprim17ROCPRIM_400000_NS6detail17trampoline_kernelINS0_14default_configENS1_36segmented_radix_sort_config_selectorIdlEEZNS1_25segmented_radix_sort_implIS3_Lb0EPKdPdPKlPlN2at6native12_GLOBAL__N_18offset_tEEE10hipError_tPvRmT1_PNSt15iterator_traitsISK_E10value_typeET2_T3_PNSL_ISQ_E10value_typeET4_jRbjT5_SW_jjP12ihipStream_tbEUlT_E0_NS1_11comp_targetILNS1_3genE5ELNS1_11target_archE942ELNS1_3gpuE9ELNS1_3repE0EEENS1_60segmented_radix_sort_warp_sort_medium_config_static_selectorELNS0_4arch9wavefront6targetE1EEEvSK_.num_named_barrier, 0
	.set _ZN7rocprim17ROCPRIM_400000_NS6detail17trampoline_kernelINS0_14default_configENS1_36segmented_radix_sort_config_selectorIdlEEZNS1_25segmented_radix_sort_implIS3_Lb0EPKdPdPKlPlN2at6native12_GLOBAL__N_18offset_tEEE10hipError_tPvRmT1_PNSt15iterator_traitsISK_E10value_typeET2_T3_PNSL_ISQ_E10value_typeET4_jRbjT5_SW_jjP12ihipStream_tbEUlT_E0_NS1_11comp_targetILNS1_3genE5ELNS1_11target_archE942ELNS1_3gpuE9ELNS1_3repE0EEENS1_60segmented_radix_sort_warp_sort_medium_config_static_selectorELNS0_4arch9wavefront6targetE1EEEvSK_.private_seg_size, 0
	.set _ZN7rocprim17ROCPRIM_400000_NS6detail17trampoline_kernelINS0_14default_configENS1_36segmented_radix_sort_config_selectorIdlEEZNS1_25segmented_radix_sort_implIS3_Lb0EPKdPdPKlPlN2at6native12_GLOBAL__N_18offset_tEEE10hipError_tPvRmT1_PNSt15iterator_traitsISK_E10value_typeET2_T3_PNSL_ISQ_E10value_typeET4_jRbjT5_SW_jjP12ihipStream_tbEUlT_E0_NS1_11comp_targetILNS1_3genE5ELNS1_11target_archE942ELNS1_3gpuE9ELNS1_3repE0EEENS1_60segmented_radix_sort_warp_sort_medium_config_static_selectorELNS0_4arch9wavefront6targetE1EEEvSK_.uses_vcc, 0
	.set _ZN7rocprim17ROCPRIM_400000_NS6detail17trampoline_kernelINS0_14default_configENS1_36segmented_radix_sort_config_selectorIdlEEZNS1_25segmented_radix_sort_implIS3_Lb0EPKdPdPKlPlN2at6native12_GLOBAL__N_18offset_tEEE10hipError_tPvRmT1_PNSt15iterator_traitsISK_E10value_typeET2_T3_PNSL_ISQ_E10value_typeET4_jRbjT5_SW_jjP12ihipStream_tbEUlT_E0_NS1_11comp_targetILNS1_3genE5ELNS1_11target_archE942ELNS1_3gpuE9ELNS1_3repE0EEENS1_60segmented_radix_sort_warp_sort_medium_config_static_selectorELNS0_4arch9wavefront6targetE1EEEvSK_.uses_flat_scratch, 0
	.set _ZN7rocprim17ROCPRIM_400000_NS6detail17trampoline_kernelINS0_14default_configENS1_36segmented_radix_sort_config_selectorIdlEEZNS1_25segmented_radix_sort_implIS3_Lb0EPKdPdPKlPlN2at6native12_GLOBAL__N_18offset_tEEE10hipError_tPvRmT1_PNSt15iterator_traitsISK_E10value_typeET2_T3_PNSL_ISQ_E10value_typeET4_jRbjT5_SW_jjP12ihipStream_tbEUlT_E0_NS1_11comp_targetILNS1_3genE5ELNS1_11target_archE942ELNS1_3gpuE9ELNS1_3repE0EEENS1_60segmented_radix_sort_warp_sort_medium_config_static_selectorELNS0_4arch9wavefront6targetE1EEEvSK_.has_dyn_sized_stack, 0
	.set _ZN7rocprim17ROCPRIM_400000_NS6detail17trampoline_kernelINS0_14default_configENS1_36segmented_radix_sort_config_selectorIdlEEZNS1_25segmented_radix_sort_implIS3_Lb0EPKdPdPKlPlN2at6native12_GLOBAL__N_18offset_tEEE10hipError_tPvRmT1_PNSt15iterator_traitsISK_E10value_typeET2_T3_PNSL_ISQ_E10value_typeET4_jRbjT5_SW_jjP12ihipStream_tbEUlT_E0_NS1_11comp_targetILNS1_3genE5ELNS1_11target_archE942ELNS1_3gpuE9ELNS1_3repE0EEENS1_60segmented_radix_sort_warp_sort_medium_config_static_selectorELNS0_4arch9wavefront6targetE1EEEvSK_.has_recursion, 0
	.set _ZN7rocprim17ROCPRIM_400000_NS6detail17trampoline_kernelINS0_14default_configENS1_36segmented_radix_sort_config_selectorIdlEEZNS1_25segmented_radix_sort_implIS3_Lb0EPKdPdPKlPlN2at6native12_GLOBAL__N_18offset_tEEE10hipError_tPvRmT1_PNSt15iterator_traitsISK_E10value_typeET2_T3_PNSL_ISQ_E10value_typeET4_jRbjT5_SW_jjP12ihipStream_tbEUlT_E0_NS1_11comp_targetILNS1_3genE5ELNS1_11target_archE942ELNS1_3gpuE9ELNS1_3repE0EEENS1_60segmented_radix_sort_warp_sort_medium_config_static_selectorELNS0_4arch9wavefront6targetE1EEEvSK_.has_indirect_call, 0
	.section	.AMDGPU.csdata,"",@progbits
; Kernel info:
; codeLenInByte = 0
; TotalNumSgprs: 4
; NumVgprs: 0
; ScratchSize: 0
; MemoryBound: 0
; FloatMode: 240
; IeeeMode: 1
; LDSByteSize: 0 bytes/workgroup (compile time only)
; SGPRBlocks: 0
; VGPRBlocks: 0
; NumSGPRsForWavesPerEU: 4
; NumVGPRsForWavesPerEU: 1
; Occupancy: 10
; WaveLimiterHint : 0
; COMPUTE_PGM_RSRC2:SCRATCH_EN: 0
; COMPUTE_PGM_RSRC2:USER_SGPR: 6
; COMPUTE_PGM_RSRC2:TRAP_HANDLER: 0
; COMPUTE_PGM_RSRC2:TGID_X_EN: 1
; COMPUTE_PGM_RSRC2:TGID_Y_EN: 0
; COMPUTE_PGM_RSRC2:TGID_Z_EN: 0
; COMPUTE_PGM_RSRC2:TIDIG_COMP_CNT: 0
	.section	.text._ZN7rocprim17ROCPRIM_400000_NS6detail17trampoline_kernelINS0_14default_configENS1_36segmented_radix_sort_config_selectorIdlEEZNS1_25segmented_radix_sort_implIS3_Lb0EPKdPdPKlPlN2at6native12_GLOBAL__N_18offset_tEEE10hipError_tPvRmT1_PNSt15iterator_traitsISK_E10value_typeET2_T3_PNSL_ISQ_E10value_typeET4_jRbjT5_SW_jjP12ihipStream_tbEUlT_E0_NS1_11comp_targetILNS1_3genE4ELNS1_11target_archE910ELNS1_3gpuE8ELNS1_3repE0EEENS1_60segmented_radix_sort_warp_sort_medium_config_static_selectorELNS0_4arch9wavefront6targetE1EEEvSK_,"axG",@progbits,_ZN7rocprim17ROCPRIM_400000_NS6detail17trampoline_kernelINS0_14default_configENS1_36segmented_radix_sort_config_selectorIdlEEZNS1_25segmented_radix_sort_implIS3_Lb0EPKdPdPKlPlN2at6native12_GLOBAL__N_18offset_tEEE10hipError_tPvRmT1_PNSt15iterator_traitsISK_E10value_typeET2_T3_PNSL_ISQ_E10value_typeET4_jRbjT5_SW_jjP12ihipStream_tbEUlT_E0_NS1_11comp_targetILNS1_3genE4ELNS1_11target_archE910ELNS1_3gpuE8ELNS1_3repE0EEENS1_60segmented_radix_sort_warp_sort_medium_config_static_selectorELNS0_4arch9wavefront6targetE1EEEvSK_,comdat
	.globl	_ZN7rocprim17ROCPRIM_400000_NS6detail17trampoline_kernelINS0_14default_configENS1_36segmented_radix_sort_config_selectorIdlEEZNS1_25segmented_radix_sort_implIS3_Lb0EPKdPdPKlPlN2at6native12_GLOBAL__N_18offset_tEEE10hipError_tPvRmT1_PNSt15iterator_traitsISK_E10value_typeET2_T3_PNSL_ISQ_E10value_typeET4_jRbjT5_SW_jjP12ihipStream_tbEUlT_E0_NS1_11comp_targetILNS1_3genE4ELNS1_11target_archE910ELNS1_3gpuE8ELNS1_3repE0EEENS1_60segmented_radix_sort_warp_sort_medium_config_static_selectorELNS0_4arch9wavefront6targetE1EEEvSK_ ; -- Begin function _ZN7rocprim17ROCPRIM_400000_NS6detail17trampoline_kernelINS0_14default_configENS1_36segmented_radix_sort_config_selectorIdlEEZNS1_25segmented_radix_sort_implIS3_Lb0EPKdPdPKlPlN2at6native12_GLOBAL__N_18offset_tEEE10hipError_tPvRmT1_PNSt15iterator_traitsISK_E10value_typeET2_T3_PNSL_ISQ_E10value_typeET4_jRbjT5_SW_jjP12ihipStream_tbEUlT_E0_NS1_11comp_targetILNS1_3genE4ELNS1_11target_archE910ELNS1_3gpuE8ELNS1_3repE0EEENS1_60segmented_radix_sort_warp_sort_medium_config_static_selectorELNS0_4arch9wavefront6targetE1EEEvSK_
	.p2align	8
	.type	_ZN7rocprim17ROCPRIM_400000_NS6detail17trampoline_kernelINS0_14default_configENS1_36segmented_radix_sort_config_selectorIdlEEZNS1_25segmented_radix_sort_implIS3_Lb0EPKdPdPKlPlN2at6native12_GLOBAL__N_18offset_tEEE10hipError_tPvRmT1_PNSt15iterator_traitsISK_E10value_typeET2_T3_PNSL_ISQ_E10value_typeET4_jRbjT5_SW_jjP12ihipStream_tbEUlT_E0_NS1_11comp_targetILNS1_3genE4ELNS1_11target_archE910ELNS1_3gpuE8ELNS1_3repE0EEENS1_60segmented_radix_sort_warp_sort_medium_config_static_selectorELNS0_4arch9wavefront6targetE1EEEvSK_,@function
_ZN7rocprim17ROCPRIM_400000_NS6detail17trampoline_kernelINS0_14default_configENS1_36segmented_radix_sort_config_selectorIdlEEZNS1_25segmented_radix_sort_implIS3_Lb0EPKdPdPKlPlN2at6native12_GLOBAL__N_18offset_tEEE10hipError_tPvRmT1_PNSt15iterator_traitsISK_E10value_typeET2_T3_PNSL_ISQ_E10value_typeET4_jRbjT5_SW_jjP12ihipStream_tbEUlT_E0_NS1_11comp_targetILNS1_3genE4ELNS1_11target_archE910ELNS1_3gpuE8ELNS1_3repE0EEENS1_60segmented_radix_sort_warp_sort_medium_config_static_selectorELNS0_4arch9wavefront6targetE1EEEvSK_: ; @_ZN7rocprim17ROCPRIM_400000_NS6detail17trampoline_kernelINS0_14default_configENS1_36segmented_radix_sort_config_selectorIdlEEZNS1_25segmented_radix_sort_implIS3_Lb0EPKdPdPKlPlN2at6native12_GLOBAL__N_18offset_tEEE10hipError_tPvRmT1_PNSt15iterator_traitsISK_E10value_typeET2_T3_PNSL_ISQ_E10value_typeET4_jRbjT5_SW_jjP12ihipStream_tbEUlT_E0_NS1_11comp_targetILNS1_3genE4ELNS1_11target_archE910ELNS1_3gpuE8ELNS1_3repE0EEENS1_60segmented_radix_sort_warp_sort_medium_config_static_selectorELNS0_4arch9wavefront6targetE1EEEvSK_
; %bb.0:
	.section	.rodata,"a",@progbits
	.p2align	6, 0x0
	.amdhsa_kernel _ZN7rocprim17ROCPRIM_400000_NS6detail17trampoline_kernelINS0_14default_configENS1_36segmented_radix_sort_config_selectorIdlEEZNS1_25segmented_radix_sort_implIS3_Lb0EPKdPdPKlPlN2at6native12_GLOBAL__N_18offset_tEEE10hipError_tPvRmT1_PNSt15iterator_traitsISK_E10value_typeET2_T3_PNSL_ISQ_E10value_typeET4_jRbjT5_SW_jjP12ihipStream_tbEUlT_E0_NS1_11comp_targetILNS1_3genE4ELNS1_11target_archE910ELNS1_3gpuE8ELNS1_3repE0EEENS1_60segmented_radix_sort_warp_sort_medium_config_static_selectorELNS0_4arch9wavefront6targetE1EEEvSK_
		.amdhsa_group_segment_fixed_size 0
		.amdhsa_private_segment_fixed_size 0
		.amdhsa_kernarg_size 88
		.amdhsa_user_sgpr_count 6
		.amdhsa_user_sgpr_private_segment_buffer 1
		.amdhsa_user_sgpr_dispatch_ptr 0
		.amdhsa_user_sgpr_queue_ptr 0
		.amdhsa_user_sgpr_kernarg_segment_ptr 1
		.amdhsa_user_sgpr_dispatch_id 0
		.amdhsa_user_sgpr_flat_scratch_init 0
		.amdhsa_user_sgpr_private_segment_size 0
		.amdhsa_uses_dynamic_stack 0
		.amdhsa_system_sgpr_private_segment_wavefront_offset 0
		.amdhsa_system_sgpr_workgroup_id_x 1
		.amdhsa_system_sgpr_workgroup_id_y 0
		.amdhsa_system_sgpr_workgroup_id_z 0
		.amdhsa_system_sgpr_workgroup_info 0
		.amdhsa_system_vgpr_workitem_id 0
		.amdhsa_next_free_vgpr 1
		.amdhsa_next_free_sgpr 0
		.amdhsa_reserve_vcc 0
		.amdhsa_reserve_flat_scratch 0
		.amdhsa_float_round_mode_32 0
		.amdhsa_float_round_mode_16_64 0
		.amdhsa_float_denorm_mode_32 3
		.amdhsa_float_denorm_mode_16_64 3
		.amdhsa_dx10_clamp 1
		.amdhsa_ieee_mode 1
		.amdhsa_fp16_overflow 0
		.amdhsa_exception_fp_ieee_invalid_op 0
		.amdhsa_exception_fp_denorm_src 0
		.amdhsa_exception_fp_ieee_div_zero 0
		.amdhsa_exception_fp_ieee_overflow 0
		.amdhsa_exception_fp_ieee_underflow 0
		.amdhsa_exception_fp_ieee_inexact 0
		.amdhsa_exception_int_div_zero 0
	.end_amdhsa_kernel
	.section	.text._ZN7rocprim17ROCPRIM_400000_NS6detail17trampoline_kernelINS0_14default_configENS1_36segmented_radix_sort_config_selectorIdlEEZNS1_25segmented_radix_sort_implIS3_Lb0EPKdPdPKlPlN2at6native12_GLOBAL__N_18offset_tEEE10hipError_tPvRmT1_PNSt15iterator_traitsISK_E10value_typeET2_T3_PNSL_ISQ_E10value_typeET4_jRbjT5_SW_jjP12ihipStream_tbEUlT_E0_NS1_11comp_targetILNS1_3genE4ELNS1_11target_archE910ELNS1_3gpuE8ELNS1_3repE0EEENS1_60segmented_radix_sort_warp_sort_medium_config_static_selectorELNS0_4arch9wavefront6targetE1EEEvSK_,"axG",@progbits,_ZN7rocprim17ROCPRIM_400000_NS6detail17trampoline_kernelINS0_14default_configENS1_36segmented_radix_sort_config_selectorIdlEEZNS1_25segmented_radix_sort_implIS3_Lb0EPKdPdPKlPlN2at6native12_GLOBAL__N_18offset_tEEE10hipError_tPvRmT1_PNSt15iterator_traitsISK_E10value_typeET2_T3_PNSL_ISQ_E10value_typeET4_jRbjT5_SW_jjP12ihipStream_tbEUlT_E0_NS1_11comp_targetILNS1_3genE4ELNS1_11target_archE910ELNS1_3gpuE8ELNS1_3repE0EEENS1_60segmented_radix_sort_warp_sort_medium_config_static_selectorELNS0_4arch9wavefront6targetE1EEEvSK_,comdat
.Lfunc_end1233:
	.size	_ZN7rocprim17ROCPRIM_400000_NS6detail17trampoline_kernelINS0_14default_configENS1_36segmented_radix_sort_config_selectorIdlEEZNS1_25segmented_radix_sort_implIS3_Lb0EPKdPdPKlPlN2at6native12_GLOBAL__N_18offset_tEEE10hipError_tPvRmT1_PNSt15iterator_traitsISK_E10value_typeET2_T3_PNSL_ISQ_E10value_typeET4_jRbjT5_SW_jjP12ihipStream_tbEUlT_E0_NS1_11comp_targetILNS1_3genE4ELNS1_11target_archE910ELNS1_3gpuE8ELNS1_3repE0EEENS1_60segmented_radix_sort_warp_sort_medium_config_static_selectorELNS0_4arch9wavefront6targetE1EEEvSK_, .Lfunc_end1233-_ZN7rocprim17ROCPRIM_400000_NS6detail17trampoline_kernelINS0_14default_configENS1_36segmented_radix_sort_config_selectorIdlEEZNS1_25segmented_radix_sort_implIS3_Lb0EPKdPdPKlPlN2at6native12_GLOBAL__N_18offset_tEEE10hipError_tPvRmT1_PNSt15iterator_traitsISK_E10value_typeET2_T3_PNSL_ISQ_E10value_typeET4_jRbjT5_SW_jjP12ihipStream_tbEUlT_E0_NS1_11comp_targetILNS1_3genE4ELNS1_11target_archE910ELNS1_3gpuE8ELNS1_3repE0EEENS1_60segmented_radix_sort_warp_sort_medium_config_static_selectorELNS0_4arch9wavefront6targetE1EEEvSK_
                                        ; -- End function
	.set _ZN7rocprim17ROCPRIM_400000_NS6detail17trampoline_kernelINS0_14default_configENS1_36segmented_radix_sort_config_selectorIdlEEZNS1_25segmented_radix_sort_implIS3_Lb0EPKdPdPKlPlN2at6native12_GLOBAL__N_18offset_tEEE10hipError_tPvRmT1_PNSt15iterator_traitsISK_E10value_typeET2_T3_PNSL_ISQ_E10value_typeET4_jRbjT5_SW_jjP12ihipStream_tbEUlT_E0_NS1_11comp_targetILNS1_3genE4ELNS1_11target_archE910ELNS1_3gpuE8ELNS1_3repE0EEENS1_60segmented_radix_sort_warp_sort_medium_config_static_selectorELNS0_4arch9wavefront6targetE1EEEvSK_.num_vgpr, 0
	.set _ZN7rocprim17ROCPRIM_400000_NS6detail17trampoline_kernelINS0_14default_configENS1_36segmented_radix_sort_config_selectorIdlEEZNS1_25segmented_radix_sort_implIS3_Lb0EPKdPdPKlPlN2at6native12_GLOBAL__N_18offset_tEEE10hipError_tPvRmT1_PNSt15iterator_traitsISK_E10value_typeET2_T3_PNSL_ISQ_E10value_typeET4_jRbjT5_SW_jjP12ihipStream_tbEUlT_E0_NS1_11comp_targetILNS1_3genE4ELNS1_11target_archE910ELNS1_3gpuE8ELNS1_3repE0EEENS1_60segmented_radix_sort_warp_sort_medium_config_static_selectorELNS0_4arch9wavefront6targetE1EEEvSK_.num_agpr, 0
	.set _ZN7rocprim17ROCPRIM_400000_NS6detail17trampoline_kernelINS0_14default_configENS1_36segmented_radix_sort_config_selectorIdlEEZNS1_25segmented_radix_sort_implIS3_Lb0EPKdPdPKlPlN2at6native12_GLOBAL__N_18offset_tEEE10hipError_tPvRmT1_PNSt15iterator_traitsISK_E10value_typeET2_T3_PNSL_ISQ_E10value_typeET4_jRbjT5_SW_jjP12ihipStream_tbEUlT_E0_NS1_11comp_targetILNS1_3genE4ELNS1_11target_archE910ELNS1_3gpuE8ELNS1_3repE0EEENS1_60segmented_radix_sort_warp_sort_medium_config_static_selectorELNS0_4arch9wavefront6targetE1EEEvSK_.numbered_sgpr, 0
	.set _ZN7rocprim17ROCPRIM_400000_NS6detail17trampoline_kernelINS0_14default_configENS1_36segmented_radix_sort_config_selectorIdlEEZNS1_25segmented_radix_sort_implIS3_Lb0EPKdPdPKlPlN2at6native12_GLOBAL__N_18offset_tEEE10hipError_tPvRmT1_PNSt15iterator_traitsISK_E10value_typeET2_T3_PNSL_ISQ_E10value_typeET4_jRbjT5_SW_jjP12ihipStream_tbEUlT_E0_NS1_11comp_targetILNS1_3genE4ELNS1_11target_archE910ELNS1_3gpuE8ELNS1_3repE0EEENS1_60segmented_radix_sort_warp_sort_medium_config_static_selectorELNS0_4arch9wavefront6targetE1EEEvSK_.num_named_barrier, 0
	.set _ZN7rocprim17ROCPRIM_400000_NS6detail17trampoline_kernelINS0_14default_configENS1_36segmented_radix_sort_config_selectorIdlEEZNS1_25segmented_radix_sort_implIS3_Lb0EPKdPdPKlPlN2at6native12_GLOBAL__N_18offset_tEEE10hipError_tPvRmT1_PNSt15iterator_traitsISK_E10value_typeET2_T3_PNSL_ISQ_E10value_typeET4_jRbjT5_SW_jjP12ihipStream_tbEUlT_E0_NS1_11comp_targetILNS1_3genE4ELNS1_11target_archE910ELNS1_3gpuE8ELNS1_3repE0EEENS1_60segmented_radix_sort_warp_sort_medium_config_static_selectorELNS0_4arch9wavefront6targetE1EEEvSK_.private_seg_size, 0
	.set _ZN7rocprim17ROCPRIM_400000_NS6detail17trampoline_kernelINS0_14default_configENS1_36segmented_radix_sort_config_selectorIdlEEZNS1_25segmented_radix_sort_implIS3_Lb0EPKdPdPKlPlN2at6native12_GLOBAL__N_18offset_tEEE10hipError_tPvRmT1_PNSt15iterator_traitsISK_E10value_typeET2_T3_PNSL_ISQ_E10value_typeET4_jRbjT5_SW_jjP12ihipStream_tbEUlT_E0_NS1_11comp_targetILNS1_3genE4ELNS1_11target_archE910ELNS1_3gpuE8ELNS1_3repE0EEENS1_60segmented_radix_sort_warp_sort_medium_config_static_selectorELNS0_4arch9wavefront6targetE1EEEvSK_.uses_vcc, 0
	.set _ZN7rocprim17ROCPRIM_400000_NS6detail17trampoline_kernelINS0_14default_configENS1_36segmented_radix_sort_config_selectorIdlEEZNS1_25segmented_radix_sort_implIS3_Lb0EPKdPdPKlPlN2at6native12_GLOBAL__N_18offset_tEEE10hipError_tPvRmT1_PNSt15iterator_traitsISK_E10value_typeET2_T3_PNSL_ISQ_E10value_typeET4_jRbjT5_SW_jjP12ihipStream_tbEUlT_E0_NS1_11comp_targetILNS1_3genE4ELNS1_11target_archE910ELNS1_3gpuE8ELNS1_3repE0EEENS1_60segmented_radix_sort_warp_sort_medium_config_static_selectorELNS0_4arch9wavefront6targetE1EEEvSK_.uses_flat_scratch, 0
	.set _ZN7rocprim17ROCPRIM_400000_NS6detail17trampoline_kernelINS0_14default_configENS1_36segmented_radix_sort_config_selectorIdlEEZNS1_25segmented_radix_sort_implIS3_Lb0EPKdPdPKlPlN2at6native12_GLOBAL__N_18offset_tEEE10hipError_tPvRmT1_PNSt15iterator_traitsISK_E10value_typeET2_T3_PNSL_ISQ_E10value_typeET4_jRbjT5_SW_jjP12ihipStream_tbEUlT_E0_NS1_11comp_targetILNS1_3genE4ELNS1_11target_archE910ELNS1_3gpuE8ELNS1_3repE0EEENS1_60segmented_radix_sort_warp_sort_medium_config_static_selectorELNS0_4arch9wavefront6targetE1EEEvSK_.has_dyn_sized_stack, 0
	.set _ZN7rocprim17ROCPRIM_400000_NS6detail17trampoline_kernelINS0_14default_configENS1_36segmented_radix_sort_config_selectorIdlEEZNS1_25segmented_radix_sort_implIS3_Lb0EPKdPdPKlPlN2at6native12_GLOBAL__N_18offset_tEEE10hipError_tPvRmT1_PNSt15iterator_traitsISK_E10value_typeET2_T3_PNSL_ISQ_E10value_typeET4_jRbjT5_SW_jjP12ihipStream_tbEUlT_E0_NS1_11comp_targetILNS1_3genE4ELNS1_11target_archE910ELNS1_3gpuE8ELNS1_3repE0EEENS1_60segmented_radix_sort_warp_sort_medium_config_static_selectorELNS0_4arch9wavefront6targetE1EEEvSK_.has_recursion, 0
	.set _ZN7rocprim17ROCPRIM_400000_NS6detail17trampoline_kernelINS0_14default_configENS1_36segmented_radix_sort_config_selectorIdlEEZNS1_25segmented_radix_sort_implIS3_Lb0EPKdPdPKlPlN2at6native12_GLOBAL__N_18offset_tEEE10hipError_tPvRmT1_PNSt15iterator_traitsISK_E10value_typeET2_T3_PNSL_ISQ_E10value_typeET4_jRbjT5_SW_jjP12ihipStream_tbEUlT_E0_NS1_11comp_targetILNS1_3genE4ELNS1_11target_archE910ELNS1_3gpuE8ELNS1_3repE0EEENS1_60segmented_radix_sort_warp_sort_medium_config_static_selectorELNS0_4arch9wavefront6targetE1EEEvSK_.has_indirect_call, 0
	.section	.AMDGPU.csdata,"",@progbits
; Kernel info:
; codeLenInByte = 0
; TotalNumSgprs: 4
; NumVgprs: 0
; ScratchSize: 0
; MemoryBound: 0
; FloatMode: 240
; IeeeMode: 1
; LDSByteSize: 0 bytes/workgroup (compile time only)
; SGPRBlocks: 0
; VGPRBlocks: 0
; NumSGPRsForWavesPerEU: 4
; NumVGPRsForWavesPerEU: 1
; Occupancy: 10
; WaveLimiterHint : 0
; COMPUTE_PGM_RSRC2:SCRATCH_EN: 0
; COMPUTE_PGM_RSRC2:USER_SGPR: 6
; COMPUTE_PGM_RSRC2:TRAP_HANDLER: 0
; COMPUTE_PGM_RSRC2:TGID_X_EN: 1
; COMPUTE_PGM_RSRC2:TGID_Y_EN: 0
; COMPUTE_PGM_RSRC2:TGID_Z_EN: 0
; COMPUTE_PGM_RSRC2:TIDIG_COMP_CNT: 0
	.section	.text._ZN7rocprim17ROCPRIM_400000_NS6detail17trampoline_kernelINS0_14default_configENS1_36segmented_radix_sort_config_selectorIdlEEZNS1_25segmented_radix_sort_implIS3_Lb0EPKdPdPKlPlN2at6native12_GLOBAL__N_18offset_tEEE10hipError_tPvRmT1_PNSt15iterator_traitsISK_E10value_typeET2_T3_PNSL_ISQ_E10value_typeET4_jRbjT5_SW_jjP12ihipStream_tbEUlT_E0_NS1_11comp_targetILNS1_3genE3ELNS1_11target_archE908ELNS1_3gpuE7ELNS1_3repE0EEENS1_60segmented_radix_sort_warp_sort_medium_config_static_selectorELNS0_4arch9wavefront6targetE1EEEvSK_,"axG",@progbits,_ZN7rocprim17ROCPRIM_400000_NS6detail17trampoline_kernelINS0_14default_configENS1_36segmented_radix_sort_config_selectorIdlEEZNS1_25segmented_radix_sort_implIS3_Lb0EPKdPdPKlPlN2at6native12_GLOBAL__N_18offset_tEEE10hipError_tPvRmT1_PNSt15iterator_traitsISK_E10value_typeET2_T3_PNSL_ISQ_E10value_typeET4_jRbjT5_SW_jjP12ihipStream_tbEUlT_E0_NS1_11comp_targetILNS1_3genE3ELNS1_11target_archE908ELNS1_3gpuE7ELNS1_3repE0EEENS1_60segmented_radix_sort_warp_sort_medium_config_static_selectorELNS0_4arch9wavefront6targetE1EEEvSK_,comdat
	.globl	_ZN7rocprim17ROCPRIM_400000_NS6detail17trampoline_kernelINS0_14default_configENS1_36segmented_radix_sort_config_selectorIdlEEZNS1_25segmented_radix_sort_implIS3_Lb0EPKdPdPKlPlN2at6native12_GLOBAL__N_18offset_tEEE10hipError_tPvRmT1_PNSt15iterator_traitsISK_E10value_typeET2_T3_PNSL_ISQ_E10value_typeET4_jRbjT5_SW_jjP12ihipStream_tbEUlT_E0_NS1_11comp_targetILNS1_3genE3ELNS1_11target_archE908ELNS1_3gpuE7ELNS1_3repE0EEENS1_60segmented_radix_sort_warp_sort_medium_config_static_selectorELNS0_4arch9wavefront6targetE1EEEvSK_ ; -- Begin function _ZN7rocprim17ROCPRIM_400000_NS6detail17trampoline_kernelINS0_14default_configENS1_36segmented_radix_sort_config_selectorIdlEEZNS1_25segmented_radix_sort_implIS3_Lb0EPKdPdPKlPlN2at6native12_GLOBAL__N_18offset_tEEE10hipError_tPvRmT1_PNSt15iterator_traitsISK_E10value_typeET2_T3_PNSL_ISQ_E10value_typeET4_jRbjT5_SW_jjP12ihipStream_tbEUlT_E0_NS1_11comp_targetILNS1_3genE3ELNS1_11target_archE908ELNS1_3gpuE7ELNS1_3repE0EEENS1_60segmented_radix_sort_warp_sort_medium_config_static_selectorELNS0_4arch9wavefront6targetE1EEEvSK_
	.p2align	8
	.type	_ZN7rocprim17ROCPRIM_400000_NS6detail17trampoline_kernelINS0_14default_configENS1_36segmented_radix_sort_config_selectorIdlEEZNS1_25segmented_radix_sort_implIS3_Lb0EPKdPdPKlPlN2at6native12_GLOBAL__N_18offset_tEEE10hipError_tPvRmT1_PNSt15iterator_traitsISK_E10value_typeET2_T3_PNSL_ISQ_E10value_typeET4_jRbjT5_SW_jjP12ihipStream_tbEUlT_E0_NS1_11comp_targetILNS1_3genE3ELNS1_11target_archE908ELNS1_3gpuE7ELNS1_3repE0EEENS1_60segmented_radix_sort_warp_sort_medium_config_static_selectorELNS0_4arch9wavefront6targetE1EEEvSK_,@function
_ZN7rocprim17ROCPRIM_400000_NS6detail17trampoline_kernelINS0_14default_configENS1_36segmented_radix_sort_config_selectorIdlEEZNS1_25segmented_radix_sort_implIS3_Lb0EPKdPdPKlPlN2at6native12_GLOBAL__N_18offset_tEEE10hipError_tPvRmT1_PNSt15iterator_traitsISK_E10value_typeET2_T3_PNSL_ISQ_E10value_typeET4_jRbjT5_SW_jjP12ihipStream_tbEUlT_E0_NS1_11comp_targetILNS1_3genE3ELNS1_11target_archE908ELNS1_3gpuE7ELNS1_3repE0EEENS1_60segmented_radix_sort_warp_sort_medium_config_static_selectorELNS0_4arch9wavefront6targetE1EEEvSK_: ; @_ZN7rocprim17ROCPRIM_400000_NS6detail17trampoline_kernelINS0_14default_configENS1_36segmented_radix_sort_config_selectorIdlEEZNS1_25segmented_radix_sort_implIS3_Lb0EPKdPdPKlPlN2at6native12_GLOBAL__N_18offset_tEEE10hipError_tPvRmT1_PNSt15iterator_traitsISK_E10value_typeET2_T3_PNSL_ISQ_E10value_typeET4_jRbjT5_SW_jjP12ihipStream_tbEUlT_E0_NS1_11comp_targetILNS1_3genE3ELNS1_11target_archE908ELNS1_3gpuE7ELNS1_3repE0EEENS1_60segmented_radix_sort_warp_sort_medium_config_static_selectorELNS0_4arch9wavefront6targetE1EEEvSK_
; %bb.0:
	.section	.rodata,"a",@progbits
	.p2align	6, 0x0
	.amdhsa_kernel _ZN7rocprim17ROCPRIM_400000_NS6detail17trampoline_kernelINS0_14default_configENS1_36segmented_radix_sort_config_selectorIdlEEZNS1_25segmented_radix_sort_implIS3_Lb0EPKdPdPKlPlN2at6native12_GLOBAL__N_18offset_tEEE10hipError_tPvRmT1_PNSt15iterator_traitsISK_E10value_typeET2_T3_PNSL_ISQ_E10value_typeET4_jRbjT5_SW_jjP12ihipStream_tbEUlT_E0_NS1_11comp_targetILNS1_3genE3ELNS1_11target_archE908ELNS1_3gpuE7ELNS1_3repE0EEENS1_60segmented_radix_sort_warp_sort_medium_config_static_selectorELNS0_4arch9wavefront6targetE1EEEvSK_
		.amdhsa_group_segment_fixed_size 0
		.amdhsa_private_segment_fixed_size 0
		.amdhsa_kernarg_size 88
		.amdhsa_user_sgpr_count 6
		.amdhsa_user_sgpr_private_segment_buffer 1
		.amdhsa_user_sgpr_dispatch_ptr 0
		.amdhsa_user_sgpr_queue_ptr 0
		.amdhsa_user_sgpr_kernarg_segment_ptr 1
		.amdhsa_user_sgpr_dispatch_id 0
		.amdhsa_user_sgpr_flat_scratch_init 0
		.amdhsa_user_sgpr_private_segment_size 0
		.amdhsa_uses_dynamic_stack 0
		.amdhsa_system_sgpr_private_segment_wavefront_offset 0
		.amdhsa_system_sgpr_workgroup_id_x 1
		.amdhsa_system_sgpr_workgroup_id_y 0
		.amdhsa_system_sgpr_workgroup_id_z 0
		.amdhsa_system_sgpr_workgroup_info 0
		.amdhsa_system_vgpr_workitem_id 0
		.amdhsa_next_free_vgpr 1
		.amdhsa_next_free_sgpr 0
		.amdhsa_reserve_vcc 0
		.amdhsa_reserve_flat_scratch 0
		.amdhsa_float_round_mode_32 0
		.amdhsa_float_round_mode_16_64 0
		.amdhsa_float_denorm_mode_32 3
		.amdhsa_float_denorm_mode_16_64 3
		.amdhsa_dx10_clamp 1
		.amdhsa_ieee_mode 1
		.amdhsa_fp16_overflow 0
		.amdhsa_exception_fp_ieee_invalid_op 0
		.amdhsa_exception_fp_denorm_src 0
		.amdhsa_exception_fp_ieee_div_zero 0
		.amdhsa_exception_fp_ieee_overflow 0
		.amdhsa_exception_fp_ieee_underflow 0
		.amdhsa_exception_fp_ieee_inexact 0
		.amdhsa_exception_int_div_zero 0
	.end_amdhsa_kernel
	.section	.text._ZN7rocprim17ROCPRIM_400000_NS6detail17trampoline_kernelINS0_14default_configENS1_36segmented_radix_sort_config_selectorIdlEEZNS1_25segmented_radix_sort_implIS3_Lb0EPKdPdPKlPlN2at6native12_GLOBAL__N_18offset_tEEE10hipError_tPvRmT1_PNSt15iterator_traitsISK_E10value_typeET2_T3_PNSL_ISQ_E10value_typeET4_jRbjT5_SW_jjP12ihipStream_tbEUlT_E0_NS1_11comp_targetILNS1_3genE3ELNS1_11target_archE908ELNS1_3gpuE7ELNS1_3repE0EEENS1_60segmented_radix_sort_warp_sort_medium_config_static_selectorELNS0_4arch9wavefront6targetE1EEEvSK_,"axG",@progbits,_ZN7rocprim17ROCPRIM_400000_NS6detail17trampoline_kernelINS0_14default_configENS1_36segmented_radix_sort_config_selectorIdlEEZNS1_25segmented_radix_sort_implIS3_Lb0EPKdPdPKlPlN2at6native12_GLOBAL__N_18offset_tEEE10hipError_tPvRmT1_PNSt15iterator_traitsISK_E10value_typeET2_T3_PNSL_ISQ_E10value_typeET4_jRbjT5_SW_jjP12ihipStream_tbEUlT_E0_NS1_11comp_targetILNS1_3genE3ELNS1_11target_archE908ELNS1_3gpuE7ELNS1_3repE0EEENS1_60segmented_radix_sort_warp_sort_medium_config_static_selectorELNS0_4arch9wavefront6targetE1EEEvSK_,comdat
.Lfunc_end1234:
	.size	_ZN7rocprim17ROCPRIM_400000_NS6detail17trampoline_kernelINS0_14default_configENS1_36segmented_radix_sort_config_selectorIdlEEZNS1_25segmented_radix_sort_implIS3_Lb0EPKdPdPKlPlN2at6native12_GLOBAL__N_18offset_tEEE10hipError_tPvRmT1_PNSt15iterator_traitsISK_E10value_typeET2_T3_PNSL_ISQ_E10value_typeET4_jRbjT5_SW_jjP12ihipStream_tbEUlT_E0_NS1_11comp_targetILNS1_3genE3ELNS1_11target_archE908ELNS1_3gpuE7ELNS1_3repE0EEENS1_60segmented_radix_sort_warp_sort_medium_config_static_selectorELNS0_4arch9wavefront6targetE1EEEvSK_, .Lfunc_end1234-_ZN7rocprim17ROCPRIM_400000_NS6detail17trampoline_kernelINS0_14default_configENS1_36segmented_radix_sort_config_selectorIdlEEZNS1_25segmented_radix_sort_implIS3_Lb0EPKdPdPKlPlN2at6native12_GLOBAL__N_18offset_tEEE10hipError_tPvRmT1_PNSt15iterator_traitsISK_E10value_typeET2_T3_PNSL_ISQ_E10value_typeET4_jRbjT5_SW_jjP12ihipStream_tbEUlT_E0_NS1_11comp_targetILNS1_3genE3ELNS1_11target_archE908ELNS1_3gpuE7ELNS1_3repE0EEENS1_60segmented_radix_sort_warp_sort_medium_config_static_selectorELNS0_4arch9wavefront6targetE1EEEvSK_
                                        ; -- End function
	.set _ZN7rocprim17ROCPRIM_400000_NS6detail17trampoline_kernelINS0_14default_configENS1_36segmented_radix_sort_config_selectorIdlEEZNS1_25segmented_radix_sort_implIS3_Lb0EPKdPdPKlPlN2at6native12_GLOBAL__N_18offset_tEEE10hipError_tPvRmT1_PNSt15iterator_traitsISK_E10value_typeET2_T3_PNSL_ISQ_E10value_typeET4_jRbjT5_SW_jjP12ihipStream_tbEUlT_E0_NS1_11comp_targetILNS1_3genE3ELNS1_11target_archE908ELNS1_3gpuE7ELNS1_3repE0EEENS1_60segmented_radix_sort_warp_sort_medium_config_static_selectorELNS0_4arch9wavefront6targetE1EEEvSK_.num_vgpr, 0
	.set _ZN7rocprim17ROCPRIM_400000_NS6detail17trampoline_kernelINS0_14default_configENS1_36segmented_radix_sort_config_selectorIdlEEZNS1_25segmented_radix_sort_implIS3_Lb0EPKdPdPKlPlN2at6native12_GLOBAL__N_18offset_tEEE10hipError_tPvRmT1_PNSt15iterator_traitsISK_E10value_typeET2_T3_PNSL_ISQ_E10value_typeET4_jRbjT5_SW_jjP12ihipStream_tbEUlT_E0_NS1_11comp_targetILNS1_3genE3ELNS1_11target_archE908ELNS1_3gpuE7ELNS1_3repE0EEENS1_60segmented_radix_sort_warp_sort_medium_config_static_selectorELNS0_4arch9wavefront6targetE1EEEvSK_.num_agpr, 0
	.set _ZN7rocprim17ROCPRIM_400000_NS6detail17trampoline_kernelINS0_14default_configENS1_36segmented_radix_sort_config_selectorIdlEEZNS1_25segmented_radix_sort_implIS3_Lb0EPKdPdPKlPlN2at6native12_GLOBAL__N_18offset_tEEE10hipError_tPvRmT1_PNSt15iterator_traitsISK_E10value_typeET2_T3_PNSL_ISQ_E10value_typeET4_jRbjT5_SW_jjP12ihipStream_tbEUlT_E0_NS1_11comp_targetILNS1_3genE3ELNS1_11target_archE908ELNS1_3gpuE7ELNS1_3repE0EEENS1_60segmented_radix_sort_warp_sort_medium_config_static_selectorELNS0_4arch9wavefront6targetE1EEEvSK_.numbered_sgpr, 0
	.set _ZN7rocprim17ROCPRIM_400000_NS6detail17trampoline_kernelINS0_14default_configENS1_36segmented_radix_sort_config_selectorIdlEEZNS1_25segmented_radix_sort_implIS3_Lb0EPKdPdPKlPlN2at6native12_GLOBAL__N_18offset_tEEE10hipError_tPvRmT1_PNSt15iterator_traitsISK_E10value_typeET2_T3_PNSL_ISQ_E10value_typeET4_jRbjT5_SW_jjP12ihipStream_tbEUlT_E0_NS1_11comp_targetILNS1_3genE3ELNS1_11target_archE908ELNS1_3gpuE7ELNS1_3repE0EEENS1_60segmented_radix_sort_warp_sort_medium_config_static_selectorELNS0_4arch9wavefront6targetE1EEEvSK_.num_named_barrier, 0
	.set _ZN7rocprim17ROCPRIM_400000_NS6detail17trampoline_kernelINS0_14default_configENS1_36segmented_radix_sort_config_selectorIdlEEZNS1_25segmented_radix_sort_implIS3_Lb0EPKdPdPKlPlN2at6native12_GLOBAL__N_18offset_tEEE10hipError_tPvRmT1_PNSt15iterator_traitsISK_E10value_typeET2_T3_PNSL_ISQ_E10value_typeET4_jRbjT5_SW_jjP12ihipStream_tbEUlT_E0_NS1_11comp_targetILNS1_3genE3ELNS1_11target_archE908ELNS1_3gpuE7ELNS1_3repE0EEENS1_60segmented_radix_sort_warp_sort_medium_config_static_selectorELNS0_4arch9wavefront6targetE1EEEvSK_.private_seg_size, 0
	.set _ZN7rocprim17ROCPRIM_400000_NS6detail17trampoline_kernelINS0_14default_configENS1_36segmented_radix_sort_config_selectorIdlEEZNS1_25segmented_radix_sort_implIS3_Lb0EPKdPdPKlPlN2at6native12_GLOBAL__N_18offset_tEEE10hipError_tPvRmT1_PNSt15iterator_traitsISK_E10value_typeET2_T3_PNSL_ISQ_E10value_typeET4_jRbjT5_SW_jjP12ihipStream_tbEUlT_E0_NS1_11comp_targetILNS1_3genE3ELNS1_11target_archE908ELNS1_3gpuE7ELNS1_3repE0EEENS1_60segmented_radix_sort_warp_sort_medium_config_static_selectorELNS0_4arch9wavefront6targetE1EEEvSK_.uses_vcc, 0
	.set _ZN7rocprim17ROCPRIM_400000_NS6detail17trampoline_kernelINS0_14default_configENS1_36segmented_radix_sort_config_selectorIdlEEZNS1_25segmented_radix_sort_implIS3_Lb0EPKdPdPKlPlN2at6native12_GLOBAL__N_18offset_tEEE10hipError_tPvRmT1_PNSt15iterator_traitsISK_E10value_typeET2_T3_PNSL_ISQ_E10value_typeET4_jRbjT5_SW_jjP12ihipStream_tbEUlT_E0_NS1_11comp_targetILNS1_3genE3ELNS1_11target_archE908ELNS1_3gpuE7ELNS1_3repE0EEENS1_60segmented_radix_sort_warp_sort_medium_config_static_selectorELNS0_4arch9wavefront6targetE1EEEvSK_.uses_flat_scratch, 0
	.set _ZN7rocprim17ROCPRIM_400000_NS6detail17trampoline_kernelINS0_14default_configENS1_36segmented_radix_sort_config_selectorIdlEEZNS1_25segmented_radix_sort_implIS3_Lb0EPKdPdPKlPlN2at6native12_GLOBAL__N_18offset_tEEE10hipError_tPvRmT1_PNSt15iterator_traitsISK_E10value_typeET2_T3_PNSL_ISQ_E10value_typeET4_jRbjT5_SW_jjP12ihipStream_tbEUlT_E0_NS1_11comp_targetILNS1_3genE3ELNS1_11target_archE908ELNS1_3gpuE7ELNS1_3repE0EEENS1_60segmented_radix_sort_warp_sort_medium_config_static_selectorELNS0_4arch9wavefront6targetE1EEEvSK_.has_dyn_sized_stack, 0
	.set _ZN7rocprim17ROCPRIM_400000_NS6detail17trampoline_kernelINS0_14default_configENS1_36segmented_radix_sort_config_selectorIdlEEZNS1_25segmented_radix_sort_implIS3_Lb0EPKdPdPKlPlN2at6native12_GLOBAL__N_18offset_tEEE10hipError_tPvRmT1_PNSt15iterator_traitsISK_E10value_typeET2_T3_PNSL_ISQ_E10value_typeET4_jRbjT5_SW_jjP12ihipStream_tbEUlT_E0_NS1_11comp_targetILNS1_3genE3ELNS1_11target_archE908ELNS1_3gpuE7ELNS1_3repE0EEENS1_60segmented_radix_sort_warp_sort_medium_config_static_selectorELNS0_4arch9wavefront6targetE1EEEvSK_.has_recursion, 0
	.set _ZN7rocprim17ROCPRIM_400000_NS6detail17trampoline_kernelINS0_14default_configENS1_36segmented_radix_sort_config_selectorIdlEEZNS1_25segmented_radix_sort_implIS3_Lb0EPKdPdPKlPlN2at6native12_GLOBAL__N_18offset_tEEE10hipError_tPvRmT1_PNSt15iterator_traitsISK_E10value_typeET2_T3_PNSL_ISQ_E10value_typeET4_jRbjT5_SW_jjP12ihipStream_tbEUlT_E0_NS1_11comp_targetILNS1_3genE3ELNS1_11target_archE908ELNS1_3gpuE7ELNS1_3repE0EEENS1_60segmented_radix_sort_warp_sort_medium_config_static_selectorELNS0_4arch9wavefront6targetE1EEEvSK_.has_indirect_call, 0
	.section	.AMDGPU.csdata,"",@progbits
; Kernel info:
; codeLenInByte = 0
; TotalNumSgprs: 4
; NumVgprs: 0
; ScratchSize: 0
; MemoryBound: 0
; FloatMode: 240
; IeeeMode: 1
; LDSByteSize: 0 bytes/workgroup (compile time only)
; SGPRBlocks: 0
; VGPRBlocks: 0
; NumSGPRsForWavesPerEU: 4
; NumVGPRsForWavesPerEU: 1
; Occupancy: 10
; WaveLimiterHint : 0
; COMPUTE_PGM_RSRC2:SCRATCH_EN: 0
; COMPUTE_PGM_RSRC2:USER_SGPR: 6
; COMPUTE_PGM_RSRC2:TRAP_HANDLER: 0
; COMPUTE_PGM_RSRC2:TGID_X_EN: 1
; COMPUTE_PGM_RSRC2:TGID_Y_EN: 0
; COMPUTE_PGM_RSRC2:TGID_Z_EN: 0
; COMPUTE_PGM_RSRC2:TIDIG_COMP_CNT: 0
	.text
	.p2align	2                               ; -- Begin function _ZN7rocprim17ROCPRIM_400000_NS6detail26segmented_warp_sort_helperINS1_20WarpSortHelperConfigILj16ELj8ELj256EEEdlLi256ELb0EvE4sortIPKdPdPKlPlEEvT_T0_T1_T2_jjjjRNS5_12storage_typeE
	.type	_ZN7rocprim17ROCPRIM_400000_NS6detail26segmented_warp_sort_helperINS1_20WarpSortHelperConfigILj16ELj8ELj256EEEdlLi256ELb0EvE4sortIPKdPdPKlPlEEvT_T0_T1_T2_jjjjRNS5_12storage_typeE,@function
_ZN7rocprim17ROCPRIM_400000_NS6detail26segmented_warp_sort_helperINS1_20WarpSortHelperConfigILj16ELj8ELj256EEEdlLi256ELb0EvE4sortIPKdPdPKlPlEEvT_T0_T1_T2_jjjjRNS5_12storage_typeE: ; @_ZN7rocprim17ROCPRIM_400000_NS6detail26segmented_warp_sort_helperINS1_20WarpSortHelperConfigILj16ELj8ELj256EEEdlLi256ELb0EvE4sortIPKdPdPKlPlEEvT_T0_T1_T2_jjjjRNS5_12storage_typeE
; %bb.0:
	s_waitcnt vmcnt(0) expcnt(0) lgkmcnt(0)
	v_sub_u32_e32 v10, v9, v8
	v_mov_b32_e32 v9, 0
	v_mbcnt_lo_u32_b32 v11, -1, 0
	v_lshlrev_b64 v[8:9], 3, v[8:9]
	v_mbcnt_hi_u32_b32 v11, -1, v11
	v_lshlrev_b32_e32 v70, 3, v11
	v_add_co_u32_e32 v0, vcc, v0, v8
	v_and_b32_e32 v69, 0x78, v70
	v_addc_co_u32_e32 v1, vcc, v1, v9, vcc
	v_lshlrev_b32_e32 v68, 3, v69
	v_add_co_u32_e32 v0, vcc, v0, v68
	v_mov_b32_e32 v28, -1
	v_addc_co_u32_e32 v1, vcc, 0, v1, vcc
	v_bfrev_b32_e32 v29, -2
	v_mov_b32_e32 v16, v28
	v_cmp_lt_u32_e32 vcc, v69, v10
	v_mov_b32_e32 v17, v29
	s_and_saveexec_b64 s[4:5], vcc
	s_cbranch_execz .LBB1235_2
; %bb.1:
	flat_load_dwordx2 v[16:17], v[0:1]
.LBB1235_2:
	s_or_b64 exec, exec, s[4:5]
	v_or_b32_e32 v11, 1, v69
	v_cmp_lt_u32_e64 s[4:5], v11, v10
	s_and_saveexec_b64 s[6:7], s[4:5]
	s_cbranch_execz .LBB1235_4
; %bb.3:
	flat_load_dwordx2 v[28:29], v[0:1] offset:8
.LBB1235_4:
	s_or_b64 exec, exec, s[6:7]
	v_mov_b32_e32 v36, -1
	v_or_b32_e32 v11, 2, v69
	v_bfrev_b32_e32 v37, -2
	v_mov_b32_e32 v32, v36
	v_cmp_lt_u32_e64 s[6:7], v11, v10
	v_mov_b32_e32 v33, v37
	s_and_saveexec_b64 s[10:11], s[6:7]
	s_cbranch_execz .LBB1235_6
; %bb.5:
	flat_load_dwordx2 v[32:33], v[0:1] offset:16
.LBB1235_6:
	s_or_b64 exec, exec, s[10:11]
	v_or_b32_e32 v11, 3, v69
	v_cmp_lt_u32_e64 s[18:19], v11, v10
	s_and_saveexec_b64 s[10:11], s[18:19]
	s_cbranch_execz .LBB1235_8
; %bb.7:
	flat_load_dwordx2 v[36:37], v[0:1] offset:24
.LBB1235_8:
	s_or_b64 exec, exec, s[10:11]
	v_bfrev_b32_e32 v25, -2
	v_or_b32_e32 v11, 4, v69
	v_mov_b32_e32 v24, -1
	v_mov_b32_e32 v27, v25
	v_cmp_lt_u32_e64 s[10:11], v11, v10
	v_mov_b32_e32 v26, v24
	s_and_saveexec_b64 s[14:15], s[10:11]
	s_cbranch_execz .LBB1235_10
; %bb.9:
	flat_load_dwordx2 v[26:27], v[0:1] offset:32
.LBB1235_10:
	s_or_b64 exec, exec, s[14:15]
	v_or_b32_e32 v11, 5, v69
	v_cmp_lt_u32_e64 s[20:21], v11, v10
	s_and_saveexec_b64 s[14:15], s[20:21]
	s_cbranch_execz .LBB1235_12
; %bb.11:
	flat_load_dwordx2 v[24:25], v[0:1] offset:40
.LBB1235_12:
	s_or_b64 exec, exec, s[14:15]
	v_bfrev_b32_e32 v19, -2
	v_or_b32_e32 v11, 6, v69
	v_mov_b32_e32 v18, -1
	v_mov_b32_e32 v35, v19
	v_cmp_lt_u32_e64 s[14:15], v11, v10
	v_mov_b32_e32 v34, v18
	s_and_saveexec_b64 s[16:17], s[14:15]
	s_cbranch_execz .LBB1235_14
; %bb.13:
	flat_load_dwordx2 v[34:35], v[0:1] offset:48
.LBB1235_14:
	s_or_b64 exec, exec, s[16:17]
	v_or_b32_e32 v11, 7, v69
	v_cmp_lt_u32_e64 s[16:17], v11, v10
	s_and_saveexec_b64 s[22:23], s[16:17]
	s_cbranch_execz .LBB1235_16
; %bb.15:
	flat_load_dwordx2 v[18:19], v[0:1] offset:56
.LBB1235_16:
	s_or_b64 exec, exec, s[22:23]
	v_add_co_u32_e64 v0, s[22:23], v4, v8
	v_addc_co_u32_e64 v1, s[22:23], v5, v9, s[22:23]
	v_add_co_u32_e64 v48, s[22:23], v0, v68
	v_addc_co_u32_e64 v49, s[22:23], 0, v1, s[22:23]
	; wave barrier
                                        ; implicit-def: $vgpr0_vgpr1
	s_and_saveexec_b64 s[22:23], vcc
	s_cbranch_execnz .LBB1235_261
; %bb.17:
	s_or_b64 exec, exec, s[22:23]
	s_and_saveexec_b64 s[22:23], s[4:5]
                                        ; implicit-def: $vgpr4_vgpr5
	s_cbranch_execnz .LBB1235_262
.LBB1235_18:
	s_or_b64 exec, exec, s[22:23]
                                        ; implicit-def: $vgpr10_vgpr11
	s_and_saveexec_b64 s[22:23], s[6:7]
	s_cbranch_execnz .LBB1235_263
.LBB1235_19:
	s_or_b64 exec, exec, s[22:23]
	s_and_saveexec_b64 s[22:23], s[18:19]
                                        ; implicit-def: $vgpr12_vgpr13
	s_cbranch_execnz .LBB1235_264
.LBB1235_20:
	s_or_b64 exec, exec, s[22:23]
                                        ; implicit-def: $vgpr14_vgpr15
	s_and_saveexec_b64 s[22:23], s[10:11]
	s_cbranch_execnz .LBB1235_265
.LBB1235_21:
	s_or_b64 exec, exec, s[22:23]
	s_and_saveexec_b64 s[22:23], s[20:21]
                                        ; implicit-def: $vgpr22_vgpr23
	s_cbranch_execnz .LBB1235_266
.LBB1235_22:
	s_or_b64 exec, exec, s[22:23]
                                        ; implicit-def: $vgpr20_vgpr21
	s_and_saveexec_b64 s[22:23], s[14:15]
	s_cbranch_execnz .LBB1235_267
.LBB1235_23:
	s_or_b64 exec, exec, s[22:23]
	s_and_saveexec_b64 s[22:23], s[16:17]
                                        ; implicit-def: $vgpr38_vgpr39
	s_cbranch_execz .LBB1235_25
.LBB1235_24:
	flat_load_dwordx2 v[38:39], v[48:49] offset:56
.LBB1235_25:
	s_or_b64 exec, exec, s[22:23]
	; wave barrier
	s_load_dwordx2 s[22:23], s[8:9], 0x0
	v_mov_b32_e32 v30, 0
	v_bfe_u32 v50, v31, 20, 10
	s_waitcnt lgkmcnt(0)
	s_cmp_lt_u32 s13, s23
	s_cselect_b32 s13, 14, 20
	s_add_u32 s24, s8, s13
	s_addc_u32 s25, s9, 0
	s_cmp_lt_u32 s12, s22
	s_cselect_b32 s12, 12, 18
	s_add_u32 s8, s8, s12
	s_addc_u32 s9, s9, 0
	global_load_ushort v48, v30, s[24:25]
	global_load_ushort v49, v30, s[8:9]
	v_bfe_u32 v30, v31, 10, 10
	v_and_b32_e32 v31, 0x3ff, v31
	s_movk_i32 s8, 0x800
	s_waitcnt vmcnt(0)
	v_mad_u32_u24 v30, v50, v48, v30
	v_mul_lo_u32 v30, v30, v49
	v_add_lshl_u32 v66, v30, v31, 3
	v_cmp_gt_u32_e64 s[8:9], s8, v66
	s_and_saveexec_b64 s[12:13], s[8:9]
	s_cbranch_execz .LBB1235_83
; %bb.26:
	v_add_f64 v[30:31], v[16:17], 0
	v_add_f64 v[48:49], v[28:29], 0
	v_ashrrev_i32_e32 v50, 31, v31
	v_ashrrev_i32_e32 v51, 31, v49
	v_or_b32_e32 v52, 0x80000000, v50
	v_xor_b32_e32 v30, v50, v30
	v_or_b32_e32 v50, 0x80000000, v51
	v_xor_b32_e32 v48, v51, v48
	v_xor_b32_e32 v31, v52, v31
	v_xor_b32_e32 v49, v50, v49
	v_cmp_gt_u64_e64 s[8:9], v[30:31], v[48:49]
	v_mov_b32_e32 v31, v29
	v_mov_b32_e32 v49, v5
	v_mov_b32_e32 v30, v28
	v_mov_b32_e32 v48, v4
	s_and_saveexec_b64 s[22:23], s[8:9]
; %bb.27:
	v_mov_b32_e32 v31, v17
	v_mov_b32_e32 v49, v1
	v_mov_b32_e32 v30, v16
	v_mov_b32_e32 v16, v28
	v_mov_b32_e32 v48, v0
	v_mov_b32_e32 v0, v4
	v_mov_b32_e32 v17, v29
	v_mov_b32_e32 v1, v5
; %bb.28:
	s_or_b64 exec, exec, s[22:23]
	v_add_f64 v[4:5], v[32:33], 0
	v_add_f64 v[28:29], v[36:37], 0
	v_ashrrev_i32_e32 v50, 31, v5
	v_ashrrev_i32_e32 v51, 31, v29
	v_or_b32_e32 v52, 0x80000000, v50
	v_xor_b32_e32 v4, v50, v4
	v_or_b32_e32 v50, 0x80000000, v51
	v_xor_b32_e32 v28, v51, v28
	v_xor_b32_e32 v5, v52, v5
	v_xor_b32_e32 v29, v50, v29
	v_cmp_gt_u64_e64 s[8:9], v[4:5], v[28:29]
	v_mov_b32_e32 v53, v37
	v_mov_b32_e32 v29, v13
	v_mov_b32_e32 v52, v36
	v_mov_b32_e32 v28, v12
	s_and_saveexec_b64 s[22:23], s[8:9]
; %bb.29:
	v_mov_b32_e32 v53, v33
	v_mov_b32_e32 v29, v11
	v_mov_b32_e32 v52, v32
	v_mov_b32_e32 v32, v36
	v_mov_b32_e32 v28, v10
	v_mov_b32_e32 v10, v12
	v_mov_b32_e32 v33, v37
	v_mov_b32_e32 v11, v13
; %bb.30:
	s_or_b64 exec, exec, s[22:23]
	;; [unrolled: 27-line block ×4, first 2 shown]
	v_add_f64 v[22:23], v[30:31], 0
	v_add_f64 v[34:35], v[32:33], 0
	v_ashrrev_i32_e32 v36, 31, v23
	v_ashrrev_i32_e32 v37, 31, v35
	v_or_b32_e32 v38, 0x80000000, v36
	v_xor_b32_e32 v22, v36, v22
	v_or_b32_e32 v36, 0x80000000, v37
	v_xor_b32_e32 v34, v37, v34
	v_xor_b32_e32 v23, v38, v23
	;; [unrolled: 1-line block ×3, first 2 shown]
	v_cmp_gt_u64_e64 s[8:9], v[22:23], v[34:35]
	v_mov_b32_e32 v22, v32
	v_mov_b32_e32 v35, v11
	;; [unrolled: 1-line block ×4, first 2 shown]
	s_and_saveexec_b64 s[22:23], s[8:9]
	s_xor_b64 s[8:9], exec, s[22:23]
; %bb.35:
	v_mov_b32_e32 v22, v30
	v_mov_b32_e32 v34, v48
	v_mov_b32_e32 v23, v31
	v_mov_b32_e32 v30, v32
	v_mov_b32_e32 v35, v49
	v_mov_b32_e32 v49, v11
	v_mov_b32_e32 v31, v33
	v_mov_b32_e32 v48, v10
; %bb.36:
	s_or_b64 exec, exec, s[8:9]
	v_add_f64 v[10:11], v[52:53], 0
	v_add_f64 v[32:33], v[50:51], 0
	v_ashrrev_i32_e32 v36, 31, v11
	v_ashrrev_i32_e32 v37, 31, v33
	v_or_b32_e32 v38, 0x80000000, v36
	v_xor_b32_e32 v10, v36, v10
	v_or_b32_e32 v36, 0x80000000, v37
	v_xor_b32_e32 v32, v37, v32
	v_xor_b32_e32 v11, v38, v11
	v_xor_b32_e32 v33, v36, v33
	v_cmp_gt_u64_e64 s[8:9], v[10:11], v[32:33]
	v_mov_b32_e32 v10, v52
	v_mov_b32_e32 v33, v15
	v_mov_b32_e32 v11, v53
	v_mov_b32_e32 v32, v14
	s_and_saveexec_b64 s[22:23], s[8:9]
; %bb.37:
	v_mov_b32_e32 v10, v50
	v_mov_b32_e32 v33, v29
	v_mov_b32_e32 v11, v51
	v_mov_b32_e32 v32, v28
	v_mov_b32_e32 v29, v15
	v_mov_b32_e32 v50, v52
	v_mov_b32_e32 v28, v14
	v_mov_b32_e32 v51, v53
; %bb.38:
	s_or_b64 exec, exec, s[22:23]
	v_add_f64 v[14:15], v[24:25], 0
	v_add_f64 v[36:37], v[26:27], 0
	v_ashrrev_i32_e32 v38, 31, v15
	v_ashrrev_i32_e32 v39, 31, v37
	v_or_b32_e32 v52, 0x80000000, v38
	v_xor_b32_e32 v14, v38, v14
	v_or_b32_e32 v38, 0x80000000, v39
	v_xor_b32_e32 v36, v39, v36
	v_xor_b32_e32 v15, v52, v15
	v_xor_b32_e32 v37, v38, v37
	v_cmp_gt_u64_e64 s[8:9], v[14:15], v[36:37]
	v_mov_b32_e32 v14, v20
	v_mov_b32_e32 v37, v25
	v_mov_b32_e32 v15, v21
	v_mov_b32_e32 v36, v24
	s_and_saveexec_b64 s[22:23], s[8:9]
	;; [unrolled: 27-line block ×3, first 2 shown]
; %bb.41:
	v_mov_b32_e32 v21, v17
	v_mov_b32_e32 v39, v1
	;; [unrolled: 1-line block ×8, first 2 shown]
; %bb.42:
	s_or_b64 exec, exec, s[22:23]
	v_add_f64 v[24:25], v[22:23], 0
	v_add_f64 v[30:31], v[10:11], 0
	v_mov_b32_e32 v55, v11
	v_mov_b32_e32 v54, v10
	v_ashrrev_i32_e32 v48, 31, v25
	v_ashrrev_i32_e32 v49, 31, v31
	v_or_b32_e32 v52, 0x80000000, v48
	v_xor_b32_e32 v24, v48, v24
	v_or_b32_e32 v48, 0x80000000, v49
	v_xor_b32_e32 v30, v49, v30
	v_xor_b32_e32 v25, v52, v25
	;; [unrolled: 1-line block ×3, first 2 shown]
	v_cmp_gt_u64_e64 s[8:9], v[24:25], v[30:31]
	v_mov_b32_e32 v31, v29
	v_mov_b32_e32 v30, v28
	s_and_saveexec_b64 s[22:23], s[8:9]
; %bb.43:
	v_mov_b32_e32 v55, v23
	v_mov_b32_e32 v30, v34
	;; [unrolled: 1-line block ×8, first 2 shown]
; %bb.44:
	s_or_b64 exec, exec, s[22:23]
	v_add_f64 v[10:11], v[50:51], 0
	v_add_f64 v[24:25], v[36:37], 0
	v_mov_b32_e32 v53, v51
	v_mov_b32_e32 v52, v50
	v_ashrrev_i32_e32 v28, 31, v11
	v_ashrrev_i32_e32 v29, 31, v25
	v_or_b32_e32 v48, 0x80000000, v28
	v_xor_b32_e32 v10, v28, v10
	v_or_b32_e32 v28, 0x80000000, v29
	v_xor_b32_e32 v24, v29, v24
	v_xor_b32_e32 v11, v48, v11
	;; [unrolled: 1-line block ×3, first 2 shown]
	v_cmp_gt_u64_e64 s[8:9], v[10:11], v[24:25]
	v_mov_b32_e32 v25, v13
	v_mov_b32_e32 v24, v12
	s_and_saveexec_b64 s[22:23], s[8:9]
; %bb.45:
	v_mov_b32_e32 v24, v32
	v_mov_b32_e32 v53, v37
	v_mov_b32_e32 v25, v33
	v_mov_b32_e32 v33, v13
	v_mov_b32_e32 v52, v36
	v_mov_b32_e32 v36, v50
	v_mov_b32_e32 v32, v12
	v_mov_b32_e32 v37, v51
; %bb.46:
	s_or_b64 exec, exec, s[22:23]
	v_add_f64 v[10:11], v[26:27], 0
	v_add_f64 v[12:13], v[18:19], 0
	v_ashrrev_i32_e32 v28, 31, v11
	v_ashrrev_i32_e32 v29, 31, v13
	v_or_b32_e32 v48, 0x80000000, v28
	v_xor_b32_e32 v10, v28, v10
	v_or_b32_e32 v28, 0x80000000, v29
	v_xor_b32_e32 v12, v29, v12
	v_xor_b32_e32 v11, v48, v11
	v_xor_b32_e32 v13, v28, v13
	v_cmp_gt_u64_e64 s[8:9], v[10:11], v[12:13]
	v_mov_b32_e32 v11, v5
	v_mov_b32_e32 v29, v27
	v_mov_b32_e32 v10, v4
	v_mov_b32_e32 v28, v26
	s_and_saveexec_b64 s[22:23], s[8:9]
; %bb.47:
	v_mov_b32_e32 v10, v14
	v_mov_b32_e32 v29, v19
	v_mov_b32_e32 v11, v15
	v_mov_b32_e32 v15, v5
	v_mov_b32_e32 v28, v18
	v_mov_b32_e32 v18, v26
	v_mov_b32_e32 v14, v4
	v_mov_b32_e32 v19, v27
; %bb.48:
	s_or_b64 exec, exec, s[22:23]
	v_add_f64 v[4:5], v[20:21], 0
	v_add_f64 v[12:13], v[22:23], 0
	v_ashrrev_i32_e32 v26, 31, v5
	v_ashrrev_i32_e32 v27, 31, v13
	v_or_b32_e32 v48, 0x80000000, v26
	v_xor_b32_e32 v4, v26, v4
	v_or_b32_e32 v26, 0x80000000, v27
	v_xor_b32_e32 v12, v27, v12
	v_xor_b32_e32 v5, v48, v5
	v_xor_b32_e32 v13, v26, v13
	v_cmp_gt_u64_e64 s[8:9], v[4:5], v[12:13]
	v_mov_b32_e32 v4, v22
	v_mov_b32_e32 v49, v35
	;; [unrolled: 27-line block ×6, first 2 shown]
	v_mov_b32_e32 v21, v35
	v_mov_b32_e32 v38, v30
	s_and_saveexec_b64 s[22:23], s[8:9]
; %bb.57:
	v_mov_b32_e32 v21, v5
	v_mov_b32_e32 v38, v48
	;; [unrolled: 1-line block ×8, first 2 shown]
; %bb.58:
	s_or_b64 exec, exec, s[22:23]
	v_add_f64 v[14:15], v[52:53], 0
	v_add_f64 v[30:31], v[32:33], 0
	v_mov_b32_e32 v55, v53
	v_mov_b32_e32 v54, v52
	v_ashrrev_i32_e32 v34, 31, v15
	v_ashrrev_i32_e32 v35, 31, v31
	v_or_b32_e32 v50, 0x80000000, v34
	v_xor_b32_e32 v14, v34, v14
	v_or_b32_e32 v34, 0x80000000, v35
	v_xor_b32_e32 v30, v35, v30
	v_xor_b32_e32 v15, v50, v15
	;; [unrolled: 1-line block ×3, first 2 shown]
	v_cmp_gt_u64_e64 s[8:9], v[14:15], v[30:31]
	v_mov_b32_e32 v31, v25
	v_mov_b32_e32 v30, v24
	s_and_saveexec_b64 s[22:23], s[8:9]
; %bb.59:
	v_mov_b32_e32 v31, v27
	v_mov_b32_e32 v55, v33
	;; [unrolled: 1-line block ×8, first 2 shown]
; %bb.60:
	s_or_b64 exec, exec, s[22:23]
	v_add_f64 v[14:15], v[28:29], 0
	v_add_f64 v[24:25], v[18:19], 0
	v_ashrrev_i32_e32 v34, 31, v15
	v_ashrrev_i32_e32 v35, 31, v25
	v_or_b32_e32 v50, 0x80000000, v34
	v_xor_b32_e32 v14, v34, v14
	v_or_b32_e32 v34, 0x80000000, v35
	v_xor_b32_e32 v24, v35, v24
	v_xor_b32_e32 v15, v50, v15
	;; [unrolled: 1-line block ×3, first 2 shown]
	v_cmp_gt_u64_e64 s[8:9], v[14:15], v[24:25]
	v_mov_b32_e32 v15, v11
	v_mov_b32_e32 v51, v29
	;; [unrolled: 1-line block ×4, first 2 shown]
	s_and_saveexec_b64 s[22:23], s[8:9]
; %bb.61:
	v_mov_b32_e32 v15, v13
	v_mov_b32_e32 v51, v19
	;; [unrolled: 1-line block ×8, first 2 shown]
; %bb.62:
	s_or_b64 exec, exec, s[22:23]
	v_add_f64 v[10:11], v[22:23], 0
	v_add_f64 v[24:25], v[4:5], 0
	v_mov_b32_e32 v53, v49
	v_mov_b32_e32 v52, v48
	v_ashrrev_i32_e32 v28, 31, v11
	v_ashrrev_i32_e32 v29, 31, v25
	v_or_b32_e32 v34, 0x80000000, v28
	v_xor_b32_e32 v10, v28, v10
	v_or_b32_e32 v28, 0x80000000, v29
	v_xor_b32_e32 v24, v29, v24
	v_xor_b32_e32 v11, v34, v11
	;; [unrolled: 1-line block ×3, first 2 shown]
	v_cmp_gt_u64_e64 s[8:9], v[10:11], v[24:25]
	v_mov_b32_e32 v35, v5
	v_mov_b32_e32 v34, v4
	s_and_saveexec_b64 s[22:23], s[8:9]
; %bb.63:
	v_mov_b32_e32 v35, v23
	v_mov_b32_e32 v53, v37
	;; [unrolled: 1-line block ×8, first 2 shown]
; %bb.64:
	s_or_b64 exec, exec, s[22:23]
	v_add_f64 v[4:5], v[20:21], 0
	v_add_f64 v[10:11], v[54:55], 0
	v_mov_b32_e32 v49, v27
	v_mov_b32_e32 v48, v26
	v_ashrrev_i32_e32 v24, 31, v5
	v_ashrrev_i32_e32 v25, 31, v11
	v_or_b32_e32 v28, 0x80000000, v24
	v_xor_b32_e32 v4, v24, v4
	v_or_b32_e32 v24, 0x80000000, v25
	v_xor_b32_e32 v10, v25, v10
	v_xor_b32_e32 v5, v28, v5
	;; [unrolled: 1-line block ×3, first 2 shown]
	v_cmp_gt_u64_e64 s[8:9], v[4:5], v[10:11]
	v_mov_b32_e32 v10, v20
	v_mov_b32_e32 v11, v21
	s_and_saveexec_b64 s[22:23], s[8:9]
; %bb.65:
	v_mov_b32_e32 v10, v54
	v_mov_b32_e32 v49, v39
	v_mov_b32_e32 v11, v55
	v_mov_b32_e32 v48, v38
	v_mov_b32_e32 v39, v27
	v_mov_b32_e32 v55, v21
	v_mov_b32_e32 v38, v26
	v_mov_b32_e32 v54, v20
; %bb.66:
	s_or_b64 exec, exec, s[22:23]
	v_add_f64 v[4:5], v[32:33], 0
	v_add_f64 v[20:21], v[50:51], 0
	v_ashrrev_i32_e32 v24, 31, v5
	v_ashrrev_i32_e32 v25, 31, v21
	v_or_b32_e32 v26, 0x80000000, v24
	v_xor_b32_e32 v4, v24, v4
	v_or_b32_e32 v24, 0x80000000, v25
	v_xor_b32_e32 v20, v25, v20
	v_xor_b32_e32 v5, v26, v5
	v_xor_b32_e32 v21, v24, v21
	v_cmp_gt_u64_e64 s[8:9], v[4:5], v[20:21]
	v_mov_b32_e32 v21, v13
	v_mov_b32_e32 v24, v32
	v_mov_b32_e32 v20, v12
	v_mov_b32_e32 v25, v33
	s_and_saveexec_b64 s[22:23], s[8:9]
; %bb.67:
	v_mov_b32_e32 v20, v30
	v_mov_b32_e32 v24, v50
	v_mov_b32_e32 v21, v31
	v_mov_b32_e32 v31, v13
	v_mov_b32_e32 v25, v51
	v_mov_b32_e32 v51, v33
	v_mov_b32_e32 v30, v12
	v_mov_b32_e32 v50, v32
; %bb.68:
	s_or_b64 exec, exec, s[22:23]
	v_add_f64 v[4:5], v[16:17], 0
	v_add_f64 v[12:13], v[22:23], 0
	v_ashrrev_i32_e32 v26, 31, v5
	v_ashrrev_i32_e32 v27, 31, v13
	v_or_b32_e32 v28, 0x80000000, v26
	v_xor_b32_e32 v4, v26, v4
	v_or_b32_e32 v26, 0x80000000, v27
	v_xor_b32_e32 v12, v27, v12
	v_xor_b32_e32 v5, v28, v5
	v_xor_b32_e32 v13, v26, v13
	v_cmp_gt_u64_e64 s[8:9], v[4:5], v[12:13]
	v_mov_b32_e32 v29, v23
	v_mov_b32_e32 v4, v36
	;; [unrolled: 27-line block ×3, first 2 shown]
	v_mov_b32_e32 v22, v10
	v_mov_b32_e32 v13, v39
	s_and_saveexec_b64 s[22:23], s[8:9]
; %bb.71:
	v_mov_b32_e32 v22, v34
	v_mov_b32_e32 v12, v52
	;; [unrolled: 1-line block ×8, first 2 shown]
; %bb.72:
	s_or_b64 exec, exec, s[22:23]
	v_add_f64 v[10:11], v[54:55], 0
	v_add_f64 v[26:27], v[24:25], 0
	v_mov_b32_e32 v65, v31
	v_mov_b32_e32 v64, v30
	v_ashrrev_i32_e32 v32, 31, v11
	v_ashrrev_i32_e32 v33, 31, v27
	v_or_b32_e32 v36, 0x80000000, v32
	v_xor_b32_e32 v10, v32, v10
	v_or_b32_e32 v32, 0x80000000, v33
	v_xor_b32_e32 v26, v33, v26
	v_xor_b32_e32 v11, v36, v11
	;; [unrolled: 1-line block ×3, first 2 shown]
	v_cmp_gt_u64_e64 s[8:9], v[10:11], v[26:27]
	v_mov_b32_e32 v26, v54
	v_mov_b32_e32 v27, v55
	s_and_saveexec_b64 s[22:23], s[8:9]
; %bb.73:
	v_mov_b32_e32 v65, v49
	v_mov_b32_e32 v27, v25
	;; [unrolled: 1-line block ×8, first 2 shown]
; %bb.74:
	s_or_b64 exec, exec, s[22:23]
	v_add_f64 v[10:11], v[50:51], 0
	v_add_f64 v[30:31], v[18:19], 0
	v_mov_b32_e32 v39, v15
	v_mov_b32_e32 v38, v14
	v_ashrrev_i32_e32 v32, 31, v11
	v_ashrrev_i32_e32 v33, 31, v31
	v_or_b32_e32 v36, 0x80000000, v32
	v_xor_b32_e32 v10, v32, v10
	v_or_b32_e32 v32, 0x80000000, v33
	v_xor_b32_e32 v30, v33, v30
	v_xor_b32_e32 v11, v36, v11
	;; [unrolled: 1-line block ×3, first 2 shown]
	v_cmp_gt_u64_e64 s[8:9], v[10:11], v[30:31]
	v_mov_b32_e32 v30, v50
	v_mov_b32_e32 v31, v51
	s_and_saveexec_b64 s[22:23], s[8:9]
; %bb.75:
	v_mov_b32_e32 v39, v21
	v_mov_b32_e32 v31, v19
	v_mov_b32_e32 v38, v20
	v_mov_b32_e32 v21, v15
	v_mov_b32_e32 v30, v18
	v_mov_b32_e32 v18, v50
	v_mov_b32_e32 v20, v14
	v_mov_b32_e32 v19, v51
; %bb.76:
	s_or_b64 exec, exec, s[22:23]
	v_add_f64 v[10:11], v[28:29], 0
	v_add_f64 v[14:15], v[34:35], 0
	v_ashrrev_i32_e32 v32, 31, v11
	v_ashrrev_i32_e32 v33, 31, v15
	v_or_b32_e32 v36, 0x80000000, v32
	v_xor_b32_e32 v10, v32, v10
	v_or_b32_e32 v32, 0x80000000, v33
	v_xor_b32_e32 v14, v33, v14
	v_xor_b32_e32 v11, v36, v11
	v_xor_b32_e32 v15, v32, v15
	v_cmp_gt_u64_e64 s[8:9], v[10:11], v[14:15]
	v_mov_b32_e32 v32, v34
	v_mov_b32_e32 v10, v52
	v_mov_b32_e32 v33, v35
	v_mov_b32_e32 v11, v53
	s_and_saveexec_b64 s[22:23], s[8:9]
; %bb.77:
	v_mov_b32_e32 v33, v29
	v_mov_b32_e32 v11, v5
	v_mov_b32_e32 v32, v28
	v_mov_b32_e32 v28, v34
	v_mov_b32_e32 v10, v4
	v_mov_b32_e32 v4, v52
	v_mov_b32_e32 v29, v35
	v_mov_b32_e32 v5, v53
; %bb.78:
	s_or_b64 exec, exec, s[22:23]
	v_add_f64 v[14:15], v[22:23], 0
	v_add_f64 v[34:35], v[26:27], 0
	v_ashrrev_i32_e32 v36, 31, v15
	v_ashrrev_i32_e32 v37, 31, v35
	v_or_b32_e32 v50, 0x80000000, v36
	v_xor_b32_e32 v14, v36, v14
	v_or_b32_e32 v36, 0x80000000, v37
	v_xor_b32_e32 v34, v37, v34
	v_xor_b32_e32 v15, v50, v15
	v_xor_b32_e32 v35, v36, v35
	v_cmp_gt_u64_e64 s[8:9], v[14:15], v[34:35]
	v_mov_b32_e32 v37, v23
	v_mov_b32_e32 v14, v48
	;; [unrolled: 27-line block ×3, first 2 shown]
	v_mov_b32_e32 v34, v30
	v_mov_b32_e32 v23, v65
	s_and_saveexec_b64 s[22:23], s[8:9]
; %bb.81:
	v_mov_b32_e32 v35, v25
	v_mov_b32_e32 v23, v21
	;; [unrolled: 1-line block ×8, first 2 shown]
; %bb.82:
	s_or_b64 exec, exec, s[22:23]
.LBB1235_83:
	s_or_b64 exec, exec, s[12:13]
	v_and_b32_e32 v30, 0xfffffe00, v66
	v_lshlrev_b32_e32 v71, 3, v30
	s_movk_i32 s8, 0x800
	v_lshl_add_u32 v81, v70, 3, v71
	v_sub_u32_e64 v80, s8, v30 clamp
	v_add_u32_e32 v30, 0x4000, v81
	ds_write2_b64 v81, v[16:17], v[28:29] offset1:1
	ds_write2_b64 v30, v[0:1], v[4:5] offset1:1
	v_add_u32_e32 v30, 0x4010, v81
	ds_write2_b64 v81, v[32:33], v[36:37] offset0:2 offset1:3
	ds_write2_b64 v30, v[10:11], v[12:13] offset1:1
	v_add_u32_e32 v30, 0x4020, v81
	ds_write2_b64 v81, v[26:27], v[24:25] offset0:4 offset1:5
	;; [unrolled: 3-line block ×3, first 2 shown]
	ds_write2_b64 v30, v[20:21], v[38:39] offset1:1
	v_or_b32_e32 v30, 8, v70
	v_min_u32_e32 v82, v80, v30
	v_add_u32_e32 v30, 8, v82
	v_and_b32_e32 v48, 0x3f0, v70
	v_min_u32_e32 v83, v80, v30
	v_and_b32_e32 v30, 8, v70
	v_min_u32_e32 v49, v80, v30
	v_sub_u32_e32 v50, v82, v48
	v_sub_u32_e32 v31, v83, v82
	v_sub_u32_e64 v31, v49, v31 clamp
	v_min_u32_e32 v50, v49, v50
	v_lshl_add_u32 v30, v48, 3, v71
	v_cmp_lt_u32_e64 s[8:9], v31, v50
	; wave barrier
	s_and_saveexec_b64 s[12:13], s[8:9]
	s_cbranch_execz .LBB1235_87
; %bb.84:
	v_lshlrev_b32_e32 v51, 3, v82
	v_lshlrev_b32_e32 v52, 3, v49
	v_add3_u32 v51, v71, v51, v52
	s_mov_b64 s[22:23], 0
.LBB1235_85:                            ; =>This Inner Loop Header: Depth=1
	v_add_u32_e32 v52, v50, v31
	v_lshrrev_b32_e32 v64, 1, v52
	v_not_b32_e32 v54, v64
	v_lshl_add_u32 v52, v64, 3, v30
	ds_read_b64 v[52:53], v52
	v_lshl_add_u32 v54, v54, 3, v51
	ds_read_b64 v[54:55], v54
	v_add_u32_e32 v65, 1, v64
	s_waitcnt lgkmcnt(1)
	v_add_f64 v[52:53], v[52:53], 0
	s_waitcnt lgkmcnt(0)
	v_add_f64 v[54:55], v[54:55], 0
	v_ashrrev_i32_e32 v66, 31, v53
	v_or_b32_e32 v67, 0x80000000, v66
	v_xor_b32_e32 v52, v66, v52
	v_ashrrev_i32_e32 v66, 31, v55
	v_xor_b32_e32 v53, v67, v53
	v_or_b32_e32 v67, 0x80000000, v66
	v_xor_b32_e32 v54, v66, v54
	v_xor_b32_e32 v55, v67, v55
	v_cmp_gt_u64_e64 s[8:9], v[52:53], v[54:55]
	v_cndmask_b32_e64 v50, v50, v64, s[8:9]
	v_cndmask_b32_e64 v31, v65, v31, s[8:9]
	v_cmp_ge_u32_e64 s[8:9], v31, v50
	s_or_b64 s[22:23], s[8:9], s[22:23]
	s_andn2_b64 exec, exec, s[22:23]
	s_cbranch_execnz .LBB1235_85
; %bb.86:
	s_or_b64 exec, exec, s[22:23]
.LBB1235_87:
	s_or_b64 exec, exec, s[12:13]
	v_add_u32_e32 v49, v82, v49
	v_add_u32_e32 v48, v31, v48
	v_sub_u32_e32 v49, v49, v31
	v_cmp_le_u32_e64 s[8:9], v48, v82
	v_cmp_le_u32_e64 s[12:13], v49, v83
	s_or_b64 s[8:9], s[8:9], s[12:13]
	s_and_saveexec_b64 s[22:23], s[8:9]
	s_cbranch_execz .LBB1235_123
; %bb.88:
	v_cmp_ge_u32_e64 s[8:9], v48, v82
	v_cmp_lt_u32_e64 s[12:13], v48, v82
                                        ; implicit-def: $vgpr16_vgpr17
	s_and_saveexec_b64 s[24:25], s[12:13]
; %bb.89:
	v_lshl_add_u32 v0, v31, 3, v30
	ds_read_b64 v[16:17], v0
; %bb.90:
	s_or_b64 exec, exec, s[24:25]
	v_cmp_ge_u32_e64 s[24:25], v49, v83
	v_cmp_lt_u32_e64 s[12:13], v49, v83
                                        ; implicit-def: $vgpr18_vgpr19
	s_and_saveexec_b64 s[26:27], s[12:13]
; %bb.91:
	v_lshl_add_u32 v0, v49, 3, v71
	ds_read_b64 v[18:19], v0
; %bb.92:
	s_or_b64 exec, exec, s[26:27]
	s_nor_b64 s[8:9], s[8:9], s[24:25]
	s_and_saveexec_b64 s[12:13], s[8:9]
	s_cbranch_execz .LBB1235_94
; %bb.93:
	s_waitcnt lgkmcnt(0)
	v_add_f64 v[0:1], v[16:17], 0
	v_add_f64 v[4:5], v[18:19], 0
	s_andn2_b64 s[24:25], s[24:25], exec
	v_ashrrev_i32_e32 v10, 31, v1
	v_ashrrev_i32_e32 v11, 31, v5
	v_or_b32_e32 v12, 0x80000000, v10
	v_xor_b32_e32 v0, v10, v0
	v_or_b32_e32 v10, 0x80000000, v11
	v_xor_b32_e32 v1, v12, v1
	v_xor_b32_e32 v5, v10, v5
	v_xor_b32_e32 v4, v11, v4
	v_cmp_le_u64_e64 s[8:9], v[0:1], v[4:5]
	s_and_b64 s[8:9], s[8:9], exec
	s_or_b64 s[24:25], s[24:25], s[8:9]
.LBB1235_94:
	s_or_b64 exec, exec, s[12:13]
	v_cndmask_b32_e64 v0, v49, v48, s[24:25]
	v_cndmask_b32_e64 v1, v83, v82, s[24:25]
	v_add_u32_e32 v11, 1, v0
	v_add_u32_e32 v1, -1, v1
	v_min_u32_e32 v1, v11, v1
	v_lshl_add_u32 v1, v1, 3, v71
	ds_read_b64 v[4:5], v1
	v_lshl_add_u32 v0, v0, 3, v71
	ds_read_b64 v[0:1], v0 offset:16384
	v_cndmask_b32_e64 v10, v11, v49, s[24:25]
	v_cndmask_b32_e64 v11, v48, v11, s[24:25]
	s_waitcnt lgkmcnt(1)
	v_cndmask_b32_e64 v29, v5, v19, s[24:25]
	v_cndmask_b32_e64 v28, v4, v18, s[24:25]
	;; [unrolled: 1-line block ×4, first 2 shown]
	v_cmp_lt_u32_e64 s[8:9], v10, v83
	s_mov_b64 s[26:27], -1
	s_mov_b64 s[12:13], -1
	s_and_saveexec_b64 s[28:29], s[8:9]
	s_cbranch_execz .LBB1235_98
; %bb.95:
	v_cmp_lt_u32_e64 s[8:9], v11, v82
	s_mov_b64 s[40:41], 0
	s_and_saveexec_b64 s[12:13], s[8:9]
	s_cbranch_execz .LBB1235_97
; %bb.96:
	v_add_f64 v[4:5], v[30:31], 0
	v_add_f64 v[12:13], v[28:29], 0
	v_ashrrev_i32_e32 v14, 31, v5
	v_ashrrev_i32_e32 v15, 31, v13
	v_or_b32_e32 v20, 0x80000000, v14
	v_xor_b32_e32 v4, v14, v4
	v_or_b32_e32 v14, 0x80000000, v15
	v_xor_b32_e32 v5, v20, v5
	v_xor_b32_e32 v13, v14, v13
	;; [unrolled: 1-line block ×3, first 2 shown]
	v_cmp_le_u64_e64 s[8:9], v[4:5], v[12:13]
	s_and_b64 s[40:41], s[8:9], exec
.LBB1235_97:
	s_or_b64 exec, exec, s[12:13]
	s_orn2_b64 s[12:13], s[40:41], exec
.LBB1235_98:
	s_or_b64 exec, exec, s[28:29]
	v_cndmask_b32_e64 v4, v10, v11, s[12:13]
	v_cndmask_b32_e64 v5, v83, v82, s[12:13]
	v_add_u32_e32 v14, 1, v4
	v_add_u32_e32 v5, -1, v5
	v_min_u32_e32 v5, v14, v5
	v_lshl_add_u32 v5, v5, 3, v71
	ds_read_b64 v[12:13], v5
	v_lshl_add_u32 v4, v4, 3, v71
	ds_read_b64 v[4:5], v4 offset:16384
	s_waitcnt lgkmcnt(1)
	v_cndmask_b32_e64 v32, v12, v28, s[12:13]
	v_cndmask_b32_e64 v38, v30, v12, s[12:13]
	v_cndmask_b32_e64 v12, v14, v10, s[12:13]
	v_cndmask_b32_e64 v33, v13, v29, s[12:13]
	v_cndmask_b32_e64 v39, v31, v13, s[12:13]
	v_cndmask_b32_e64 v13, v11, v14, s[12:13]
	v_cmp_lt_u32_e64 s[8:9], v12, v83
	s_and_saveexec_b64 s[28:29], s[8:9]
	s_cbranch_execz .LBB1235_102
; %bb.99:
	v_cmp_lt_u32_e64 s[8:9], v13, v82
	s_mov_b64 s[40:41], 0
	s_and_saveexec_b64 s[26:27], s[8:9]
	s_cbranch_execz .LBB1235_101
; %bb.100:
	v_add_f64 v[10:11], v[38:39], 0
	v_add_f64 v[14:15], v[32:33], 0
	v_ashrrev_i32_e32 v20, 31, v11
	v_ashrrev_i32_e32 v21, 31, v15
	v_or_b32_e32 v22, 0x80000000, v20
	v_xor_b32_e32 v10, v20, v10
	v_or_b32_e32 v20, 0x80000000, v21
	v_xor_b32_e32 v11, v22, v11
	v_xor_b32_e32 v15, v20, v15
	;; [unrolled: 1-line block ×3, first 2 shown]
	v_cmp_le_u64_e64 s[8:9], v[10:11], v[14:15]
	s_and_b64 s[40:41], s[8:9], exec
.LBB1235_101:
	s_or_b64 exec, exec, s[26:27]
	s_orn2_b64 s[26:27], s[40:41], exec
.LBB1235_102:
	s_or_b64 exec, exec, s[28:29]
	v_cndmask_b32_e64 v10, v12, v13, s[26:27]
	v_cndmask_b32_e64 v11, v83, v82, s[26:27]
	v_add_u32_e32 v20, 1, v10
	v_add_u32_e32 v11, -1, v11
	v_min_u32_e32 v11, v20, v11
	v_lshl_add_u32 v11, v11, 3, v71
	ds_read_b64 v[14:15], v11
	v_lshl_add_u32 v10, v10, 3, v71
	ds_read_b64 v[10:11], v10 offset:16384
	s_mov_b64 s[40:41], -1
	s_mov_b64 s[28:29], -1
	s_waitcnt lgkmcnt(1)
	v_cndmask_b32_e64 v36, v14, v32, s[26:27]
	v_cndmask_b32_e64 v48, v38, v14, s[26:27]
	;; [unrolled: 1-line block ×6, first 2 shown]
	v_cmp_lt_u32_e64 s[8:9], v14, v83
	s_and_saveexec_b64 s[42:43], s[8:9]
	s_cbranch_execz .LBB1235_106
; %bb.103:
	v_cmp_lt_u32_e64 s[8:9], v15, v82
	s_mov_b64 s[44:45], 0
	s_and_saveexec_b64 s[28:29], s[8:9]
	s_cbranch_execz .LBB1235_105
; %bb.104:
	v_add_f64 v[12:13], v[48:49], 0
	v_add_f64 v[20:21], v[36:37], 0
	v_ashrrev_i32_e32 v22, 31, v13
	v_ashrrev_i32_e32 v23, 31, v21
	v_or_b32_e32 v24, 0x80000000, v22
	v_xor_b32_e32 v12, v22, v12
	v_or_b32_e32 v22, 0x80000000, v23
	v_xor_b32_e32 v13, v24, v13
	v_xor_b32_e32 v21, v22, v21
	;; [unrolled: 1-line block ×3, first 2 shown]
	v_cmp_le_u64_e64 s[8:9], v[12:13], v[20:21]
	s_and_b64 s[44:45], s[8:9], exec
.LBB1235_105:
	s_or_b64 exec, exec, s[28:29]
	s_orn2_b64 s[28:29], s[44:45], exec
.LBB1235_106:
	s_or_b64 exec, exec, s[42:43]
	v_cndmask_b32_e64 v12, v14, v15, s[28:29]
	v_cndmask_b32_e64 v13, v83, v82, s[28:29]
	v_add_u32_e32 v22, 1, v12
	v_add_u32_e32 v13, -1, v13
	v_min_u32_e32 v13, v22, v13
	v_lshl_add_u32 v13, v13, 3, v71
	ds_read_b64 v[20:21], v13
	v_lshl_add_u32 v12, v12, 3, v71
	ds_read_b64 v[12:13], v12 offset:16384
	s_waitcnt lgkmcnt(1)
	v_cndmask_b32_e64 v26, v20, v36, s[28:29]
	v_cndmask_b32_e64 v50, v48, v20, s[28:29]
	;; [unrolled: 1-line block ×6, first 2 shown]
	v_cmp_lt_u32_e64 s[8:9], v20, v83
	s_and_saveexec_b64 s[42:43], s[8:9]
	s_cbranch_execz .LBB1235_110
; %bb.107:
	v_cmp_lt_u32_e64 s[8:9], v21, v82
	s_mov_b64 s[44:45], 0
	s_and_saveexec_b64 s[40:41], s[8:9]
	s_cbranch_execz .LBB1235_109
; %bb.108:
	v_add_f64 v[14:15], v[50:51], 0
	v_add_f64 v[22:23], v[26:27], 0
	v_ashrrev_i32_e32 v24, 31, v15
	v_ashrrev_i32_e32 v25, 31, v23
	v_or_b32_e32 v34, 0x80000000, v24
	v_xor_b32_e32 v14, v24, v14
	v_or_b32_e32 v24, 0x80000000, v25
	v_xor_b32_e32 v15, v34, v15
	v_xor_b32_e32 v23, v24, v23
	;; [unrolled: 1-line block ×3, first 2 shown]
	v_cmp_le_u64_e64 s[8:9], v[14:15], v[22:23]
	s_and_b64 s[44:45], s[8:9], exec
.LBB1235_109:
	s_or_b64 exec, exec, s[40:41]
	s_orn2_b64 s[40:41], s[44:45], exec
.LBB1235_110:
	s_or_b64 exec, exec, s[42:43]
	v_cndmask_b32_e64 v14, v20, v21, s[40:41]
	v_cndmask_b32_e64 v15, v83, v82, s[40:41]
	v_add_u32_e32 v34, 1, v14
	v_add_u32_e32 v15, -1, v15
	v_min_u32_e32 v15, v34, v15
	v_lshl_add_u32 v15, v15, 3, v71
	ds_read_b64 v[22:23], v15
	v_lshl_add_u32 v14, v14, 3, v71
	ds_read_b64 v[14:15], v14 offset:16384
	v_cndmask_b32_e64 v20, v34, v20, s[40:41]
	v_cndmask_b32_e64 v21, v21, v34, s[40:41]
	s_waitcnt lgkmcnt(1)
	v_cndmask_b32_e64 v25, v23, v27, s[40:41]
	v_cndmask_b32_e64 v24, v22, v26, s[40:41]
	;; [unrolled: 1-line block ×4, first 2 shown]
	v_cmp_lt_u32_e64 s[8:9], v20, v83
	s_mov_b64 s[44:45], -1
	s_mov_b64 s[42:43], -1
	s_and_saveexec_b64 s[46:47], s[8:9]
	s_cbranch_execz .LBB1235_114
; %bb.111:
	v_cmp_lt_u32_e64 s[8:9], v21, v82
	s_mov_b64 s[56:57], 0
	s_and_saveexec_b64 s[42:43], s[8:9]
	s_cbranch_execz .LBB1235_113
; %bb.112:
	v_add_f64 v[22:23], v[52:53], 0
	v_add_f64 v[34:35], v[24:25], 0
	v_ashrrev_i32_e32 v54, 31, v23
	v_ashrrev_i32_e32 v55, 31, v35
	v_or_b32_e32 v64, 0x80000000, v54
	v_xor_b32_e32 v22, v54, v22
	v_or_b32_e32 v54, 0x80000000, v55
	v_xor_b32_e32 v23, v64, v23
	v_xor_b32_e32 v35, v54, v35
	;; [unrolled: 1-line block ×3, first 2 shown]
	v_cmp_le_u64_e64 s[8:9], v[22:23], v[34:35]
	s_and_b64 s[56:57], s[8:9], exec
.LBB1235_113:
	s_or_b64 exec, exec, s[42:43]
	s_orn2_b64 s[42:43], s[56:57], exec
.LBB1235_114:
	s_or_b64 exec, exec, s[46:47]
	v_cndmask_b32_e64 v22, v20, v21, s[42:43]
	v_cndmask_b32_e64 v23, v83, v82, s[42:43]
	v_add_u32_e32 v64, 1, v22
	v_add_u32_e32 v23, -1, v23
	v_min_u32_e32 v23, v64, v23
	v_lshl_add_u32 v23, v23, 3, v71
	ds_read_b64 v[54:55], v23
	v_lshl_add_u32 v22, v22, 3, v71
	ds_read_b64 v[22:23], v22 offset:16384
	v_cndmask_b32_e64 v84, v64, v20, s[42:43]
	v_cndmask_b32_e64 v85, v21, v64, s[42:43]
	s_waitcnt lgkmcnt(1)
	v_cndmask_b32_e64 v35, v55, v25, s[42:43]
	v_cndmask_b32_e64 v34, v54, v24, s[42:43]
	;; [unrolled: 1-line block ×4, first 2 shown]
	v_cmp_lt_u32_e64 s[8:9], v84, v83
	s_and_saveexec_b64 s[46:47], s[8:9]
	s_cbranch_execz .LBB1235_118
; %bb.115:
	v_cmp_lt_u32_e64 s[8:9], v85, v82
	s_mov_b64 s[56:57], 0
	s_and_saveexec_b64 s[44:45], s[8:9]
	s_cbranch_execz .LBB1235_117
; %bb.116:
	v_add_f64 v[20:21], v[54:55], 0
	v_add_f64 v[64:65], v[34:35], 0
	v_ashrrev_i32_e32 v66, 31, v21
	v_ashrrev_i32_e32 v67, 31, v65
	v_or_b32_e32 v86, 0x80000000, v66
	v_xor_b32_e32 v20, v66, v20
	v_or_b32_e32 v66, 0x80000000, v67
	v_xor_b32_e32 v21, v86, v21
	v_xor_b32_e32 v65, v66, v65
	;; [unrolled: 1-line block ×3, first 2 shown]
	v_cmp_le_u64_e64 s[8:9], v[20:21], v[64:65]
	s_and_b64 s[56:57], s[8:9], exec
.LBB1235_117:
	s_or_b64 exec, exec, s[44:45]
	s_orn2_b64 s[44:45], s[56:57], exec
.LBB1235_118:
	s_or_b64 exec, exec, s[46:47]
	v_cndmask_b32_e64 v20, v84, v85, s[44:45]
	v_cndmask_b32_e64 v21, v83, v82, s[44:45]
	v_add_u32_e32 v86, 1, v20
	v_add_u32_e32 v21, -1, v21
	v_min_u32_e32 v21, v86, v21
	v_lshl_add_u32 v21, v21, 3, v71
	ds_read_b64 v[66:67], v21
	v_lshl_add_u32 v20, v20, 3, v71
	ds_read_b64 v[20:21], v20 offset:16384
	v_cndmask_b32_e64 v84, v86, v84, s[44:45]
	v_cndmask_b32_e64 v85, v85, v86, s[44:45]
	s_waitcnt lgkmcnt(1)
	v_cndmask_b32_e64 v65, v67, v35, s[44:45]
	v_cndmask_b32_e64 v64, v66, v34, s[44:45]
	;; [unrolled: 1-line block ×4, first 2 shown]
	v_cmp_lt_u32_e64 s[8:9], v84, v83
	s_mov_b64 s[46:47], -1
	s_and_saveexec_b64 s[56:57], s[8:9]
	s_cbranch_execz .LBB1235_122
; %bb.119:
	v_cmp_lt_u32_e64 s[8:9], v85, v82
	s_mov_b64 s[58:59], 0
	s_and_saveexec_b64 s[46:47], s[8:9]
	s_cbranch_execz .LBB1235_121
; %bb.120:
	v_add_f64 v[82:83], v[66:67], 0
	v_add_f64 v[86:87], v[64:65], 0
	v_ashrrev_i32_e32 v96, 31, v83
	v_ashrrev_i32_e32 v97, 31, v87
	v_or_b32_e32 v98, 0x80000000, v96
	v_xor_b32_e32 v82, v96, v82
	v_or_b32_e32 v96, 0x80000000, v97
	v_xor_b32_e32 v83, v98, v83
	v_xor_b32_e32 v87, v96, v87
	;; [unrolled: 1-line block ×3, first 2 shown]
	v_cmp_le_u64_e64 s[8:9], v[82:83], v[86:87]
	s_and_b64 s[58:59], s[8:9], exec
.LBB1235_121:
	s_or_b64 exec, exec, s[46:47]
	s_orn2_b64 s[46:47], s[58:59], exec
.LBB1235_122:
	s_or_b64 exec, exec, s[56:57]
	v_cndmask_b32_e64 v28, v28, v30, s[12:13]
	v_cndmask_b32_e64 v30, v84, v85, s[46:47]
	v_lshl_add_u32 v30, v30, 3, v71
	v_cndmask_b32_e64 v33, v33, v39, s[26:27]
	v_cndmask_b32_e64 v32, v32, v38, s[26:27]
	ds_read_b64 v[38:39], v30 offset:16384
	v_cndmask_b32_e64 v35, v35, v55, s[44:45]
	v_cndmask_b32_e64 v34, v34, v54, s[44:45]
	;; [unrolled: 1-line block ×13, first 2 shown]
.LBB1235_123:
	s_or_b64 exec, exec, s[22:23]
	v_add_u32_e32 v30, 0x4000, v81
	; wave barrier
	ds_write2_b64 v81, v[16:17], v[28:29] offset1:1
	ds_write2_b64 v30, v[0:1], v[4:5] offset1:1
	v_add_u32_e32 v30, 0x4010, v81
	ds_write2_b64 v81, v[32:33], v[36:37] offset0:2 offset1:3
	ds_write2_b64 v30, v[10:11], v[12:13] offset1:1
	v_add_u32_e32 v30, 0x4020, v81
	ds_write2_b64 v81, v[26:27], v[24:25] offset0:4 offset1:5
	ds_write2_b64 v30, v[14:15], v[22:23] offset1:1
	v_add_u32_e32 v30, 0x4030, v81
	v_and_b32_e32 v48, 0x3e0, v70
	ds_write2_b64 v81, v[34:35], v[18:19] offset0:6 offset1:7
	s_waitcnt lgkmcnt(7)
	ds_write2_b64 v30, v[20:21], v[38:39] offset1:1
	v_or_b32_e32 v30, 16, v48
	v_min_u32_e32 v82, v80, v30
	v_add_u32_e32 v30, 16, v82
	v_min_u32_e32 v83, v80, v30
	v_and_b32_e32 v30, 24, v70
	v_min_u32_e32 v49, v80, v30
	v_sub_u32_e32 v50, v82, v48
	v_sub_u32_e32 v31, v83, v82
	v_sub_u32_e64 v31, v49, v31 clamp
	v_min_u32_e32 v50, v49, v50
	v_lshl_add_u32 v30, v48, 3, v71
	v_cmp_lt_u32_e64 s[8:9], v31, v50
	; wave barrier
	s_and_saveexec_b64 s[12:13], s[8:9]
	s_cbranch_execz .LBB1235_127
; %bb.124:
	v_lshlrev_b32_e32 v51, 3, v82
	v_lshlrev_b32_e32 v52, 3, v49
	v_add3_u32 v51, v71, v51, v52
	s_mov_b64 s[22:23], 0
.LBB1235_125:                           ; =>This Inner Loop Header: Depth=1
	v_add_u32_e32 v52, v50, v31
	v_lshrrev_b32_e32 v64, 1, v52
	v_not_b32_e32 v54, v64
	v_lshl_add_u32 v52, v64, 3, v30
	ds_read_b64 v[52:53], v52
	v_lshl_add_u32 v54, v54, 3, v51
	ds_read_b64 v[54:55], v54
	v_add_u32_e32 v65, 1, v64
	s_waitcnt lgkmcnt(1)
	v_add_f64 v[52:53], v[52:53], 0
	s_waitcnt lgkmcnt(0)
	v_add_f64 v[54:55], v[54:55], 0
	v_ashrrev_i32_e32 v66, 31, v53
	v_or_b32_e32 v67, 0x80000000, v66
	v_xor_b32_e32 v52, v66, v52
	v_ashrrev_i32_e32 v66, 31, v55
	v_xor_b32_e32 v53, v67, v53
	v_or_b32_e32 v67, 0x80000000, v66
	v_xor_b32_e32 v54, v66, v54
	v_xor_b32_e32 v55, v67, v55
	v_cmp_gt_u64_e64 s[8:9], v[52:53], v[54:55]
	v_cndmask_b32_e64 v50, v50, v64, s[8:9]
	v_cndmask_b32_e64 v31, v65, v31, s[8:9]
	v_cmp_ge_u32_e64 s[8:9], v31, v50
	s_or_b64 s[22:23], s[8:9], s[22:23]
	s_andn2_b64 exec, exec, s[22:23]
	s_cbranch_execnz .LBB1235_125
; %bb.126:
	s_or_b64 exec, exec, s[22:23]
.LBB1235_127:
	s_or_b64 exec, exec, s[12:13]
	v_add_u32_e32 v49, v82, v49
	v_add_u32_e32 v48, v31, v48
	v_sub_u32_e32 v49, v49, v31
	v_cmp_le_u32_e64 s[8:9], v48, v82
	v_cmp_le_u32_e64 s[12:13], v49, v83
	s_or_b64 s[8:9], s[8:9], s[12:13]
	s_and_saveexec_b64 s[22:23], s[8:9]
	s_cbranch_execz .LBB1235_163
; %bb.128:
	v_cmp_ge_u32_e64 s[8:9], v48, v82
	v_cmp_lt_u32_e64 s[12:13], v48, v82
                                        ; implicit-def: $vgpr16_vgpr17
	s_and_saveexec_b64 s[24:25], s[12:13]
; %bb.129:
	v_lshl_add_u32 v0, v31, 3, v30
	ds_read_b64 v[16:17], v0
; %bb.130:
	s_or_b64 exec, exec, s[24:25]
	v_cmp_ge_u32_e64 s[24:25], v49, v83
	v_cmp_lt_u32_e64 s[12:13], v49, v83
                                        ; implicit-def: $vgpr18_vgpr19
	s_and_saveexec_b64 s[26:27], s[12:13]
; %bb.131:
	v_lshl_add_u32 v0, v49, 3, v71
	ds_read_b64 v[18:19], v0
; %bb.132:
	s_or_b64 exec, exec, s[26:27]
	s_nor_b64 s[8:9], s[8:9], s[24:25]
	s_and_saveexec_b64 s[12:13], s[8:9]
	s_cbranch_execz .LBB1235_134
; %bb.133:
	s_waitcnt lgkmcnt(0)
	v_add_f64 v[0:1], v[16:17], 0
	v_add_f64 v[4:5], v[18:19], 0
	s_andn2_b64 s[24:25], s[24:25], exec
	v_ashrrev_i32_e32 v10, 31, v1
	v_ashrrev_i32_e32 v11, 31, v5
	v_or_b32_e32 v12, 0x80000000, v10
	v_xor_b32_e32 v0, v10, v0
	v_or_b32_e32 v10, 0x80000000, v11
	v_xor_b32_e32 v1, v12, v1
	v_xor_b32_e32 v5, v10, v5
	;; [unrolled: 1-line block ×3, first 2 shown]
	v_cmp_le_u64_e64 s[8:9], v[0:1], v[4:5]
	s_and_b64 s[8:9], s[8:9], exec
	s_or_b64 s[24:25], s[24:25], s[8:9]
.LBB1235_134:
	s_or_b64 exec, exec, s[12:13]
	v_cndmask_b32_e64 v0, v49, v48, s[24:25]
	v_cndmask_b32_e64 v1, v83, v82, s[24:25]
	v_add_u32_e32 v11, 1, v0
	v_add_u32_e32 v1, -1, v1
	v_min_u32_e32 v1, v11, v1
	v_lshl_add_u32 v1, v1, 3, v71
	ds_read_b64 v[4:5], v1
	v_lshl_add_u32 v0, v0, 3, v71
	ds_read_b64 v[0:1], v0 offset:16384
	v_cndmask_b32_e64 v10, v11, v49, s[24:25]
	v_cndmask_b32_e64 v11, v48, v11, s[24:25]
	s_waitcnt lgkmcnt(1)
	v_cndmask_b32_e64 v29, v5, v19, s[24:25]
	v_cndmask_b32_e64 v28, v4, v18, s[24:25]
	;; [unrolled: 1-line block ×4, first 2 shown]
	v_cmp_lt_u32_e64 s[8:9], v10, v83
	s_mov_b64 s[26:27], -1
	s_mov_b64 s[12:13], -1
	s_and_saveexec_b64 s[28:29], s[8:9]
	s_cbranch_execz .LBB1235_138
; %bb.135:
	v_cmp_lt_u32_e64 s[8:9], v11, v82
	s_mov_b64 s[40:41], 0
	s_and_saveexec_b64 s[12:13], s[8:9]
	s_cbranch_execz .LBB1235_137
; %bb.136:
	v_add_f64 v[4:5], v[30:31], 0
	v_add_f64 v[12:13], v[28:29], 0
	v_ashrrev_i32_e32 v14, 31, v5
	v_ashrrev_i32_e32 v15, 31, v13
	v_or_b32_e32 v20, 0x80000000, v14
	v_xor_b32_e32 v4, v14, v4
	v_or_b32_e32 v14, 0x80000000, v15
	v_xor_b32_e32 v5, v20, v5
	v_xor_b32_e32 v13, v14, v13
	v_xor_b32_e32 v12, v15, v12
	v_cmp_le_u64_e64 s[8:9], v[4:5], v[12:13]
	s_and_b64 s[40:41], s[8:9], exec
.LBB1235_137:
	s_or_b64 exec, exec, s[12:13]
	s_orn2_b64 s[12:13], s[40:41], exec
.LBB1235_138:
	s_or_b64 exec, exec, s[28:29]
	v_cndmask_b32_e64 v4, v10, v11, s[12:13]
	v_cndmask_b32_e64 v5, v83, v82, s[12:13]
	v_add_u32_e32 v14, 1, v4
	v_add_u32_e32 v5, -1, v5
	v_min_u32_e32 v5, v14, v5
	v_lshl_add_u32 v5, v5, 3, v71
	ds_read_b64 v[12:13], v5
	v_lshl_add_u32 v4, v4, 3, v71
	ds_read_b64 v[4:5], v4 offset:16384
	s_waitcnt lgkmcnt(1)
	v_cndmask_b32_e64 v32, v12, v28, s[12:13]
	v_cndmask_b32_e64 v38, v30, v12, s[12:13]
	;; [unrolled: 1-line block ×6, first 2 shown]
	v_cmp_lt_u32_e64 s[8:9], v12, v83
	s_and_saveexec_b64 s[28:29], s[8:9]
	s_cbranch_execz .LBB1235_142
; %bb.139:
	v_cmp_lt_u32_e64 s[8:9], v13, v82
	s_mov_b64 s[40:41], 0
	s_and_saveexec_b64 s[26:27], s[8:9]
	s_cbranch_execz .LBB1235_141
; %bb.140:
	v_add_f64 v[10:11], v[38:39], 0
	v_add_f64 v[14:15], v[32:33], 0
	v_ashrrev_i32_e32 v20, 31, v11
	v_ashrrev_i32_e32 v21, 31, v15
	v_or_b32_e32 v22, 0x80000000, v20
	v_xor_b32_e32 v10, v20, v10
	v_or_b32_e32 v20, 0x80000000, v21
	v_xor_b32_e32 v11, v22, v11
	v_xor_b32_e32 v15, v20, v15
	;; [unrolled: 1-line block ×3, first 2 shown]
	v_cmp_le_u64_e64 s[8:9], v[10:11], v[14:15]
	s_and_b64 s[40:41], s[8:9], exec
.LBB1235_141:
	s_or_b64 exec, exec, s[26:27]
	s_orn2_b64 s[26:27], s[40:41], exec
.LBB1235_142:
	s_or_b64 exec, exec, s[28:29]
	v_cndmask_b32_e64 v10, v12, v13, s[26:27]
	v_cndmask_b32_e64 v11, v83, v82, s[26:27]
	v_add_u32_e32 v20, 1, v10
	v_add_u32_e32 v11, -1, v11
	v_min_u32_e32 v11, v20, v11
	v_lshl_add_u32 v11, v11, 3, v71
	ds_read_b64 v[14:15], v11
	v_lshl_add_u32 v10, v10, 3, v71
	ds_read_b64 v[10:11], v10 offset:16384
	s_mov_b64 s[40:41], -1
	s_mov_b64 s[28:29], -1
	s_waitcnt lgkmcnt(1)
	v_cndmask_b32_e64 v36, v14, v32, s[26:27]
	v_cndmask_b32_e64 v48, v38, v14, s[26:27]
	;; [unrolled: 1-line block ×6, first 2 shown]
	v_cmp_lt_u32_e64 s[8:9], v14, v83
	s_and_saveexec_b64 s[42:43], s[8:9]
	s_cbranch_execz .LBB1235_146
; %bb.143:
	v_cmp_lt_u32_e64 s[8:9], v15, v82
	s_mov_b64 s[44:45], 0
	s_and_saveexec_b64 s[28:29], s[8:9]
	s_cbranch_execz .LBB1235_145
; %bb.144:
	v_add_f64 v[12:13], v[48:49], 0
	v_add_f64 v[20:21], v[36:37], 0
	v_ashrrev_i32_e32 v22, 31, v13
	v_ashrrev_i32_e32 v23, 31, v21
	v_or_b32_e32 v24, 0x80000000, v22
	v_xor_b32_e32 v12, v22, v12
	v_or_b32_e32 v22, 0x80000000, v23
	v_xor_b32_e32 v13, v24, v13
	v_xor_b32_e32 v21, v22, v21
	;; [unrolled: 1-line block ×3, first 2 shown]
	v_cmp_le_u64_e64 s[8:9], v[12:13], v[20:21]
	s_and_b64 s[44:45], s[8:9], exec
.LBB1235_145:
	s_or_b64 exec, exec, s[28:29]
	s_orn2_b64 s[28:29], s[44:45], exec
.LBB1235_146:
	s_or_b64 exec, exec, s[42:43]
	v_cndmask_b32_e64 v12, v14, v15, s[28:29]
	v_cndmask_b32_e64 v13, v83, v82, s[28:29]
	v_add_u32_e32 v22, 1, v12
	v_add_u32_e32 v13, -1, v13
	v_min_u32_e32 v13, v22, v13
	v_lshl_add_u32 v13, v13, 3, v71
	ds_read_b64 v[20:21], v13
	v_lshl_add_u32 v12, v12, 3, v71
	ds_read_b64 v[12:13], v12 offset:16384
	s_waitcnt lgkmcnt(1)
	v_cndmask_b32_e64 v26, v20, v36, s[28:29]
	v_cndmask_b32_e64 v50, v48, v20, s[28:29]
	;; [unrolled: 1-line block ×6, first 2 shown]
	v_cmp_lt_u32_e64 s[8:9], v20, v83
	s_and_saveexec_b64 s[42:43], s[8:9]
	s_cbranch_execz .LBB1235_150
; %bb.147:
	v_cmp_lt_u32_e64 s[8:9], v21, v82
	s_mov_b64 s[44:45], 0
	s_and_saveexec_b64 s[40:41], s[8:9]
	s_cbranch_execz .LBB1235_149
; %bb.148:
	v_add_f64 v[14:15], v[50:51], 0
	v_add_f64 v[22:23], v[26:27], 0
	v_ashrrev_i32_e32 v24, 31, v15
	v_ashrrev_i32_e32 v25, 31, v23
	v_or_b32_e32 v34, 0x80000000, v24
	v_xor_b32_e32 v14, v24, v14
	v_or_b32_e32 v24, 0x80000000, v25
	v_xor_b32_e32 v15, v34, v15
	v_xor_b32_e32 v23, v24, v23
	v_xor_b32_e32 v22, v25, v22
	v_cmp_le_u64_e64 s[8:9], v[14:15], v[22:23]
	s_and_b64 s[44:45], s[8:9], exec
.LBB1235_149:
	s_or_b64 exec, exec, s[40:41]
	s_orn2_b64 s[40:41], s[44:45], exec
.LBB1235_150:
	s_or_b64 exec, exec, s[42:43]
	v_cndmask_b32_e64 v14, v20, v21, s[40:41]
	v_cndmask_b32_e64 v15, v83, v82, s[40:41]
	v_add_u32_e32 v34, 1, v14
	v_add_u32_e32 v15, -1, v15
	v_min_u32_e32 v15, v34, v15
	v_lshl_add_u32 v15, v15, 3, v71
	ds_read_b64 v[22:23], v15
	v_lshl_add_u32 v14, v14, 3, v71
	ds_read_b64 v[14:15], v14 offset:16384
	v_cndmask_b32_e64 v20, v34, v20, s[40:41]
	v_cndmask_b32_e64 v21, v21, v34, s[40:41]
	s_waitcnt lgkmcnt(1)
	v_cndmask_b32_e64 v25, v23, v27, s[40:41]
	v_cndmask_b32_e64 v24, v22, v26, s[40:41]
	;; [unrolled: 1-line block ×4, first 2 shown]
	v_cmp_lt_u32_e64 s[8:9], v20, v83
	s_mov_b64 s[44:45], -1
	s_mov_b64 s[42:43], -1
	s_and_saveexec_b64 s[46:47], s[8:9]
	s_cbranch_execz .LBB1235_154
; %bb.151:
	v_cmp_lt_u32_e64 s[8:9], v21, v82
	s_mov_b64 s[56:57], 0
	s_and_saveexec_b64 s[42:43], s[8:9]
	s_cbranch_execz .LBB1235_153
; %bb.152:
	v_add_f64 v[22:23], v[52:53], 0
	v_add_f64 v[34:35], v[24:25], 0
	v_ashrrev_i32_e32 v54, 31, v23
	v_ashrrev_i32_e32 v55, 31, v35
	v_or_b32_e32 v64, 0x80000000, v54
	v_xor_b32_e32 v22, v54, v22
	v_or_b32_e32 v54, 0x80000000, v55
	v_xor_b32_e32 v23, v64, v23
	v_xor_b32_e32 v35, v54, v35
	;; [unrolled: 1-line block ×3, first 2 shown]
	v_cmp_le_u64_e64 s[8:9], v[22:23], v[34:35]
	s_and_b64 s[56:57], s[8:9], exec
.LBB1235_153:
	s_or_b64 exec, exec, s[42:43]
	s_orn2_b64 s[42:43], s[56:57], exec
.LBB1235_154:
	s_or_b64 exec, exec, s[46:47]
	v_cndmask_b32_e64 v22, v20, v21, s[42:43]
	v_cndmask_b32_e64 v23, v83, v82, s[42:43]
	v_add_u32_e32 v64, 1, v22
	v_add_u32_e32 v23, -1, v23
	v_min_u32_e32 v23, v64, v23
	v_lshl_add_u32 v23, v23, 3, v71
	ds_read_b64 v[54:55], v23
	v_lshl_add_u32 v22, v22, 3, v71
	ds_read_b64 v[22:23], v22 offset:16384
	v_cndmask_b32_e64 v84, v64, v20, s[42:43]
	v_cndmask_b32_e64 v85, v21, v64, s[42:43]
	s_waitcnt lgkmcnt(1)
	v_cndmask_b32_e64 v35, v55, v25, s[42:43]
	v_cndmask_b32_e64 v34, v54, v24, s[42:43]
	;; [unrolled: 1-line block ×4, first 2 shown]
	v_cmp_lt_u32_e64 s[8:9], v84, v83
	s_and_saveexec_b64 s[46:47], s[8:9]
	s_cbranch_execz .LBB1235_158
; %bb.155:
	v_cmp_lt_u32_e64 s[8:9], v85, v82
	s_mov_b64 s[56:57], 0
	s_and_saveexec_b64 s[44:45], s[8:9]
	s_cbranch_execz .LBB1235_157
; %bb.156:
	v_add_f64 v[20:21], v[54:55], 0
	v_add_f64 v[64:65], v[34:35], 0
	v_ashrrev_i32_e32 v66, 31, v21
	v_ashrrev_i32_e32 v67, 31, v65
	v_or_b32_e32 v86, 0x80000000, v66
	v_xor_b32_e32 v20, v66, v20
	v_or_b32_e32 v66, 0x80000000, v67
	v_xor_b32_e32 v21, v86, v21
	v_xor_b32_e32 v65, v66, v65
	;; [unrolled: 1-line block ×3, first 2 shown]
	v_cmp_le_u64_e64 s[8:9], v[20:21], v[64:65]
	s_and_b64 s[56:57], s[8:9], exec
.LBB1235_157:
	s_or_b64 exec, exec, s[44:45]
	s_orn2_b64 s[44:45], s[56:57], exec
.LBB1235_158:
	s_or_b64 exec, exec, s[46:47]
	v_cndmask_b32_e64 v20, v84, v85, s[44:45]
	v_cndmask_b32_e64 v21, v83, v82, s[44:45]
	v_add_u32_e32 v86, 1, v20
	v_add_u32_e32 v21, -1, v21
	v_min_u32_e32 v21, v86, v21
	v_lshl_add_u32 v21, v21, 3, v71
	ds_read_b64 v[66:67], v21
	v_lshl_add_u32 v20, v20, 3, v71
	ds_read_b64 v[20:21], v20 offset:16384
	v_cndmask_b32_e64 v84, v86, v84, s[44:45]
	v_cndmask_b32_e64 v85, v85, v86, s[44:45]
	s_waitcnt lgkmcnt(1)
	v_cndmask_b32_e64 v65, v67, v35, s[44:45]
	v_cndmask_b32_e64 v64, v66, v34, s[44:45]
	v_cndmask_b32_e64 v67, v55, v67, s[44:45]
	v_cndmask_b32_e64 v66, v54, v66, s[44:45]
	v_cmp_lt_u32_e64 s[8:9], v84, v83
	s_mov_b64 s[46:47], -1
	s_and_saveexec_b64 s[56:57], s[8:9]
	s_cbranch_execz .LBB1235_162
; %bb.159:
	v_cmp_lt_u32_e64 s[8:9], v85, v82
	s_mov_b64 s[58:59], 0
	s_and_saveexec_b64 s[46:47], s[8:9]
	s_cbranch_execz .LBB1235_161
; %bb.160:
	v_add_f64 v[82:83], v[66:67], 0
	v_add_f64 v[86:87], v[64:65], 0
	v_ashrrev_i32_e32 v96, 31, v83
	v_ashrrev_i32_e32 v97, 31, v87
	v_or_b32_e32 v98, 0x80000000, v96
	v_xor_b32_e32 v82, v96, v82
	v_or_b32_e32 v96, 0x80000000, v97
	v_xor_b32_e32 v83, v98, v83
	v_xor_b32_e32 v87, v96, v87
	;; [unrolled: 1-line block ×3, first 2 shown]
	v_cmp_le_u64_e64 s[8:9], v[82:83], v[86:87]
	s_and_b64 s[58:59], s[8:9], exec
.LBB1235_161:
	s_or_b64 exec, exec, s[46:47]
	s_orn2_b64 s[46:47], s[58:59], exec
.LBB1235_162:
	s_or_b64 exec, exec, s[56:57]
	v_cndmask_b32_e64 v28, v28, v30, s[12:13]
	v_cndmask_b32_e64 v30, v84, v85, s[46:47]
	v_lshl_add_u32 v30, v30, 3, v71
	v_cndmask_b32_e64 v33, v33, v39, s[26:27]
	v_cndmask_b32_e64 v32, v32, v38, s[26:27]
	ds_read_b64 v[38:39], v30 offset:16384
	v_cndmask_b32_e64 v35, v35, v55, s[44:45]
	v_cndmask_b32_e64 v34, v34, v54, s[44:45]
	;; [unrolled: 1-line block ×13, first 2 shown]
.LBB1235_163:
	s_or_b64 exec, exec, s[22:23]
	v_add_u32_e32 v30, 0x4000, v81
	; wave barrier
	ds_write2_b64 v81, v[16:17], v[28:29] offset1:1
	ds_write2_b64 v30, v[0:1], v[4:5] offset1:1
	v_add_u32_e32 v30, 0x4010, v81
	ds_write2_b64 v81, v[32:33], v[36:37] offset0:2 offset1:3
	ds_write2_b64 v30, v[10:11], v[12:13] offset1:1
	v_add_u32_e32 v30, 0x4020, v81
	ds_write2_b64 v81, v[26:27], v[24:25] offset0:4 offset1:5
	ds_write2_b64 v30, v[14:15], v[22:23] offset1:1
	v_add_u32_e32 v30, 0x4030, v81
	v_and_b32_e32 v48, 0x3c0, v70
	ds_write2_b64 v81, v[34:35], v[18:19] offset0:6 offset1:7
	s_waitcnt lgkmcnt(7)
	ds_write2_b64 v30, v[20:21], v[38:39] offset1:1
	v_or_b32_e32 v30, 32, v48
	v_min_u32_e32 v82, v80, v30
	v_add_u32_e32 v30, 32, v82
	v_min_u32_e32 v83, v80, v30
	v_and_b32_e32 v30, 56, v70
	v_min_u32_e32 v49, v80, v30
	v_sub_u32_e32 v50, v82, v48
	v_sub_u32_e32 v31, v83, v82
	v_sub_u32_e64 v31, v49, v31 clamp
	v_min_u32_e32 v50, v49, v50
	v_lshl_add_u32 v30, v48, 3, v71
	v_cmp_lt_u32_e64 s[8:9], v31, v50
	; wave barrier
	s_and_saveexec_b64 s[12:13], s[8:9]
	s_cbranch_execz .LBB1235_167
; %bb.164:
	v_lshlrev_b32_e32 v51, 3, v82
	v_lshlrev_b32_e32 v52, 3, v49
	v_add3_u32 v51, v71, v51, v52
	s_mov_b64 s[22:23], 0
.LBB1235_165:                           ; =>This Inner Loop Header: Depth=1
	v_add_u32_e32 v52, v50, v31
	v_lshrrev_b32_e32 v64, 1, v52
	v_not_b32_e32 v54, v64
	v_lshl_add_u32 v52, v64, 3, v30
	ds_read_b64 v[52:53], v52
	v_lshl_add_u32 v54, v54, 3, v51
	ds_read_b64 v[54:55], v54
	v_add_u32_e32 v65, 1, v64
	s_waitcnt lgkmcnt(1)
	v_add_f64 v[52:53], v[52:53], 0
	s_waitcnt lgkmcnt(0)
	v_add_f64 v[54:55], v[54:55], 0
	v_ashrrev_i32_e32 v66, 31, v53
	v_or_b32_e32 v67, 0x80000000, v66
	v_xor_b32_e32 v52, v66, v52
	v_ashrrev_i32_e32 v66, 31, v55
	v_xor_b32_e32 v53, v67, v53
	v_or_b32_e32 v67, 0x80000000, v66
	v_xor_b32_e32 v54, v66, v54
	v_xor_b32_e32 v55, v67, v55
	v_cmp_gt_u64_e64 s[8:9], v[52:53], v[54:55]
	v_cndmask_b32_e64 v50, v50, v64, s[8:9]
	v_cndmask_b32_e64 v31, v65, v31, s[8:9]
	v_cmp_ge_u32_e64 s[8:9], v31, v50
	s_or_b64 s[22:23], s[8:9], s[22:23]
	s_andn2_b64 exec, exec, s[22:23]
	s_cbranch_execnz .LBB1235_165
; %bb.166:
	s_or_b64 exec, exec, s[22:23]
.LBB1235_167:
	s_or_b64 exec, exec, s[12:13]
	v_add_u32_e32 v49, v82, v49
	v_add_u32_e32 v48, v31, v48
	v_sub_u32_e32 v49, v49, v31
	v_cmp_le_u32_e64 s[8:9], v48, v82
	v_cmp_le_u32_e64 s[12:13], v49, v83
	s_or_b64 s[8:9], s[8:9], s[12:13]
	s_and_saveexec_b64 s[22:23], s[8:9]
	s_cbranch_execz .LBB1235_203
; %bb.168:
	v_cmp_ge_u32_e64 s[8:9], v48, v82
	v_cmp_lt_u32_e64 s[12:13], v48, v82
                                        ; implicit-def: $vgpr16_vgpr17
	s_and_saveexec_b64 s[24:25], s[12:13]
; %bb.169:
	v_lshl_add_u32 v0, v31, 3, v30
	ds_read_b64 v[16:17], v0
; %bb.170:
	s_or_b64 exec, exec, s[24:25]
	v_cmp_ge_u32_e64 s[24:25], v49, v83
	v_cmp_lt_u32_e64 s[12:13], v49, v83
                                        ; implicit-def: $vgpr18_vgpr19
	s_and_saveexec_b64 s[26:27], s[12:13]
; %bb.171:
	v_lshl_add_u32 v0, v49, 3, v71
	ds_read_b64 v[18:19], v0
; %bb.172:
	s_or_b64 exec, exec, s[26:27]
	s_nor_b64 s[8:9], s[8:9], s[24:25]
	s_and_saveexec_b64 s[12:13], s[8:9]
	s_cbranch_execz .LBB1235_174
; %bb.173:
	s_waitcnt lgkmcnt(0)
	v_add_f64 v[0:1], v[16:17], 0
	v_add_f64 v[4:5], v[18:19], 0
	s_andn2_b64 s[24:25], s[24:25], exec
	v_ashrrev_i32_e32 v10, 31, v1
	v_ashrrev_i32_e32 v11, 31, v5
	v_or_b32_e32 v12, 0x80000000, v10
	v_xor_b32_e32 v0, v10, v0
	v_or_b32_e32 v10, 0x80000000, v11
	v_xor_b32_e32 v1, v12, v1
	v_xor_b32_e32 v5, v10, v5
	;; [unrolled: 1-line block ×3, first 2 shown]
	v_cmp_le_u64_e64 s[8:9], v[0:1], v[4:5]
	s_and_b64 s[8:9], s[8:9], exec
	s_or_b64 s[24:25], s[24:25], s[8:9]
.LBB1235_174:
	s_or_b64 exec, exec, s[12:13]
	v_cndmask_b32_e64 v0, v49, v48, s[24:25]
	v_cndmask_b32_e64 v1, v83, v82, s[24:25]
	v_add_u32_e32 v11, 1, v0
	v_add_u32_e32 v1, -1, v1
	v_min_u32_e32 v1, v11, v1
	v_lshl_add_u32 v1, v1, 3, v71
	ds_read_b64 v[4:5], v1
	v_lshl_add_u32 v0, v0, 3, v71
	ds_read_b64 v[0:1], v0 offset:16384
	v_cndmask_b32_e64 v10, v11, v49, s[24:25]
	v_cndmask_b32_e64 v11, v48, v11, s[24:25]
	s_waitcnt lgkmcnt(1)
	v_cndmask_b32_e64 v29, v5, v19, s[24:25]
	v_cndmask_b32_e64 v28, v4, v18, s[24:25]
	;; [unrolled: 1-line block ×4, first 2 shown]
	v_cmp_lt_u32_e64 s[8:9], v10, v83
	s_mov_b64 s[26:27], -1
	s_mov_b64 s[12:13], -1
	s_and_saveexec_b64 s[28:29], s[8:9]
	s_cbranch_execz .LBB1235_178
; %bb.175:
	v_cmp_lt_u32_e64 s[8:9], v11, v82
	s_mov_b64 s[40:41], 0
	s_and_saveexec_b64 s[12:13], s[8:9]
	s_cbranch_execz .LBB1235_177
; %bb.176:
	v_add_f64 v[4:5], v[30:31], 0
	v_add_f64 v[12:13], v[28:29], 0
	v_ashrrev_i32_e32 v14, 31, v5
	v_ashrrev_i32_e32 v15, 31, v13
	v_or_b32_e32 v20, 0x80000000, v14
	v_xor_b32_e32 v4, v14, v4
	v_or_b32_e32 v14, 0x80000000, v15
	v_xor_b32_e32 v5, v20, v5
	v_xor_b32_e32 v13, v14, v13
	;; [unrolled: 1-line block ×3, first 2 shown]
	v_cmp_le_u64_e64 s[8:9], v[4:5], v[12:13]
	s_and_b64 s[40:41], s[8:9], exec
.LBB1235_177:
	s_or_b64 exec, exec, s[12:13]
	s_orn2_b64 s[12:13], s[40:41], exec
.LBB1235_178:
	s_or_b64 exec, exec, s[28:29]
	v_cndmask_b32_e64 v4, v10, v11, s[12:13]
	v_cndmask_b32_e64 v5, v83, v82, s[12:13]
	v_add_u32_e32 v14, 1, v4
	v_add_u32_e32 v5, -1, v5
	v_min_u32_e32 v5, v14, v5
	v_lshl_add_u32 v5, v5, 3, v71
	ds_read_b64 v[12:13], v5
	v_lshl_add_u32 v4, v4, 3, v71
	ds_read_b64 v[4:5], v4 offset:16384
	s_waitcnt lgkmcnt(1)
	v_cndmask_b32_e64 v32, v12, v28, s[12:13]
	v_cndmask_b32_e64 v38, v30, v12, s[12:13]
	;; [unrolled: 1-line block ×6, first 2 shown]
	v_cmp_lt_u32_e64 s[8:9], v12, v83
	s_and_saveexec_b64 s[28:29], s[8:9]
	s_cbranch_execz .LBB1235_182
; %bb.179:
	v_cmp_lt_u32_e64 s[8:9], v13, v82
	s_mov_b64 s[40:41], 0
	s_and_saveexec_b64 s[26:27], s[8:9]
	s_cbranch_execz .LBB1235_181
; %bb.180:
	v_add_f64 v[10:11], v[38:39], 0
	v_add_f64 v[14:15], v[32:33], 0
	v_ashrrev_i32_e32 v20, 31, v11
	v_ashrrev_i32_e32 v21, 31, v15
	v_or_b32_e32 v22, 0x80000000, v20
	v_xor_b32_e32 v10, v20, v10
	v_or_b32_e32 v20, 0x80000000, v21
	v_xor_b32_e32 v11, v22, v11
	v_xor_b32_e32 v15, v20, v15
	;; [unrolled: 1-line block ×3, first 2 shown]
	v_cmp_le_u64_e64 s[8:9], v[10:11], v[14:15]
	s_and_b64 s[40:41], s[8:9], exec
.LBB1235_181:
	s_or_b64 exec, exec, s[26:27]
	s_orn2_b64 s[26:27], s[40:41], exec
.LBB1235_182:
	s_or_b64 exec, exec, s[28:29]
	v_cndmask_b32_e64 v10, v12, v13, s[26:27]
	v_cndmask_b32_e64 v11, v83, v82, s[26:27]
	v_add_u32_e32 v20, 1, v10
	v_add_u32_e32 v11, -1, v11
	v_min_u32_e32 v11, v20, v11
	v_lshl_add_u32 v11, v11, 3, v71
	ds_read_b64 v[14:15], v11
	v_lshl_add_u32 v10, v10, 3, v71
	ds_read_b64 v[10:11], v10 offset:16384
	s_mov_b64 s[40:41], -1
	s_mov_b64 s[28:29], -1
	s_waitcnt lgkmcnt(1)
	v_cndmask_b32_e64 v36, v14, v32, s[26:27]
	v_cndmask_b32_e64 v48, v38, v14, s[26:27]
	;; [unrolled: 1-line block ×6, first 2 shown]
	v_cmp_lt_u32_e64 s[8:9], v14, v83
	s_and_saveexec_b64 s[42:43], s[8:9]
	s_cbranch_execz .LBB1235_186
; %bb.183:
	v_cmp_lt_u32_e64 s[8:9], v15, v82
	s_mov_b64 s[44:45], 0
	s_and_saveexec_b64 s[28:29], s[8:9]
	s_cbranch_execz .LBB1235_185
; %bb.184:
	v_add_f64 v[12:13], v[48:49], 0
	v_add_f64 v[20:21], v[36:37], 0
	v_ashrrev_i32_e32 v22, 31, v13
	v_ashrrev_i32_e32 v23, 31, v21
	v_or_b32_e32 v24, 0x80000000, v22
	v_xor_b32_e32 v12, v22, v12
	v_or_b32_e32 v22, 0x80000000, v23
	v_xor_b32_e32 v13, v24, v13
	v_xor_b32_e32 v21, v22, v21
	;; [unrolled: 1-line block ×3, first 2 shown]
	v_cmp_le_u64_e64 s[8:9], v[12:13], v[20:21]
	s_and_b64 s[44:45], s[8:9], exec
.LBB1235_185:
	s_or_b64 exec, exec, s[28:29]
	s_orn2_b64 s[28:29], s[44:45], exec
.LBB1235_186:
	s_or_b64 exec, exec, s[42:43]
	v_cndmask_b32_e64 v12, v14, v15, s[28:29]
	v_cndmask_b32_e64 v13, v83, v82, s[28:29]
	v_add_u32_e32 v22, 1, v12
	v_add_u32_e32 v13, -1, v13
	v_min_u32_e32 v13, v22, v13
	v_lshl_add_u32 v13, v13, 3, v71
	ds_read_b64 v[20:21], v13
	v_lshl_add_u32 v12, v12, 3, v71
	ds_read_b64 v[12:13], v12 offset:16384
	s_waitcnt lgkmcnt(1)
	v_cndmask_b32_e64 v26, v20, v36, s[28:29]
	v_cndmask_b32_e64 v50, v48, v20, s[28:29]
	;; [unrolled: 1-line block ×6, first 2 shown]
	v_cmp_lt_u32_e64 s[8:9], v20, v83
	s_and_saveexec_b64 s[42:43], s[8:9]
	s_cbranch_execz .LBB1235_190
; %bb.187:
	v_cmp_lt_u32_e64 s[8:9], v21, v82
	s_mov_b64 s[44:45], 0
	s_and_saveexec_b64 s[40:41], s[8:9]
	s_cbranch_execz .LBB1235_189
; %bb.188:
	v_add_f64 v[14:15], v[50:51], 0
	v_add_f64 v[22:23], v[26:27], 0
	v_ashrrev_i32_e32 v24, 31, v15
	v_ashrrev_i32_e32 v25, 31, v23
	v_or_b32_e32 v34, 0x80000000, v24
	v_xor_b32_e32 v14, v24, v14
	v_or_b32_e32 v24, 0x80000000, v25
	v_xor_b32_e32 v15, v34, v15
	v_xor_b32_e32 v23, v24, v23
	;; [unrolled: 1-line block ×3, first 2 shown]
	v_cmp_le_u64_e64 s[8:9], v[14:15], v[22:23]
	s_and_b64 s[44:45], s[8:9], exec
.LBB1235_189:
	s_or_b64 exec, exec, s[40:41]
	s_orn2_b64 s[40:41], s[44:45], exec
.LBB1235_190:
	s_or_b64 exec, exec, s[42:43]
	v_cndmask_b32_e64 v14, v20, v21, s[40:41]
	v_cndmask_b32_e64 v15, v83, v82, s[40:41]
	v_add_u32_e32 v34, 1, v14
	v_add_u32_e32 v15, -1, v15
	v_min_u32_e32 v15, v34, v15
	v_lshl_add_u32 v15, v15, 3, v71
	ds_read_b64 v[22:23], v15
	v_lshl_add_u32 v14, v14, 3, v71
	ds_read_b64 v[14:15], v14 offset:16384
	v_cndmask_b32_e64 v20, v34, v20, s[40:41]
	v_cndmask_b32_e64 v21, v21, v34, s[40:41]
	s_waitcnt lgkmcnt(1)
	v_cndmask_b32_e64 v25, v23, v27, s[40:41]
	v_cndmask_b32_e64 v24, v22, v26, s[40:41]
	;; [unrolled: 1-line block ×4, first 2 shown]
	v_cmp_lt_u32_e64 s[8:9], v20, v83
	s_mov_b64 s[44:45], -1
	s_mov_b64 s[42:43], -1
	s_and_saveexec_b64 s[46:47], s[8:9]
	s_cbranch_execz .LBB1235_194
; %bb.191:
	v_cmp_lt_u32_e64 s[8:9], v21, v82
	s_mov_b64 s[56:57], 0
	s_and_saveexec_b64 s[42:43], s[8:9]
	s_cbranch_execz .LBB1235_193
; %bb.192:
	v_add_f64 v[22:23], v[52:53], 0
	v_add_f64 v[34:35], v[24:25], 0
	v_ashrrev_i32_e32 v54, 31, v23
	v_ashrrev_i32_e32 v55, 31, v35
	v_or_b32_e32 v64, 0x80000000, v54
	v_xor_b32_e32 v22, v54, v22
	v_or_b32_e32 v54, 0x80000000, v55
	v_xor_b32_e32 v23, v64, v23
	v_xor_b32_e32 v35, v54, v35
	;; [unrolled: 1-line block ×3, first 2 shown]
	v_cmp_le_u64_e64 s[8:9], v[22:23], v[34:35]
	s_and_b64 s[56:57], s[8:9], exec
.LBB1235_193:
	s_or_b64 exec, exec, s[42:43]
	s_orn2_b64 s[42:43], s[56:57], exec
.LBB1235_194:
	s_or_b64 exec, exec, s[46:47]
	v_cndmask_b32_e64 v22, v20, v21, s[42:43]
	v_cndmask_b32_e64 v23, v83, v82, s[42:43]
	v_add_u32_e32 v64, 1, v22
	v_add_u32_e32 v23, -1, v23
	v_min_u32_e32 v23, v64, v23
	v_lshl_add_u32 v23, v23, 3, v71
	ds_read_b64 v[54:55], v23
	v_lshl_add_u32 v22, v22, 3, v71
	ds_read_b64 v[22:23], v22 offset:16384
	v_cndmask_b32_e64 v84, v64, v20, s[42:43]
	v_cndmask_b32_e64 v85, v21, v64, s[42:43]
	s_waitcnt lgkmcnt(1)
	v_cndmask_b32_e64 v35, v55, v25, s[42:43]
	v_cndmask_b32_e64 v34, v54, v24, s[42:43]
	;; [unrolled: 1-line block ×4, first 2 shown]
	v_cmp_lt_u32_e64 s[8:9], v84, v83
	s_and_saveexec_b64 s[46:47], s[8:9]
	s_cbranch_execz .LBB1235_198
; %bb.195:
	v_cmp_lt_u32_e64 s[8:9], v85, v82
	s_mov_b64 s[56:57], 0
	s_and_saveexec_b64 s[44:45], s[8:9]
	s_cbranch_execz .LBB1235_197
; %bb.196:
	v_add_f64 v[20:21], v[54:55], 0
	v_add_f64 v[64:65], v[34:35], 0
	v_ashrrev_i32_e32 v66, 31, v21
	v_ashrrev_i32_e32 v67, 31, v65
	v_or_b32_e32 v86, 0x80000000, v66
	v_xor_b32_e32 v20, v66, v20
	v_or_b32_e32 v66, 0x80000000, v67
	v_xor_b32_e32 v21, v86, v21
	v_xor_b32_e32 v65, v66, v65
	;; [unrolled: 1-line block ×3, first 2 shown]
	v_cmp_le_u64_e64 s[8:9], v[20:21], v[64:65]
	s_and_b64 s[56:57], s[8:9], exec
.LBB1235_197:
	s_or_b64 exec, exec, s[44:45]
	s_orn2_b64 s[44:45], s[56:57], exec
.LBB1235_198:
	s_or_b64 exec, exec, s[46:47]
	v_cndmask_b32_e64 v20, v84, v85, s[44:45]
	v_cndmask_b32_e64 v21, v83, v82, s[44:45]
	v_add_u32_e32 v86, 1, v20
	v_add_u32_e32 v21, -1, v21
	v_min_u32_e32 v21, v86, v21
	v_lshl_add_u32 v21, v21, 3, v71
	ds_read_b64 v[66:67], v21
	v_lshl_add_u32 v20, v20, 3, v71
	ds_read_b64 v[20:21], v20 offset:16384
	v_cndmask_b32_e64 v84, v86, v84, s[44:45]
	v_cndmask_b32_e64 v85, v85, v86, s[44:45]
	s_waitcnt lgkmcnt(1)
	v_cndmask_b32_e64 v65, v67, v35, s[44:45]
	v_cndmask_b32_e64 v64, v66, v34, s[44:45]
	;; [unrolled: 1-line block ×4, first 2 shown]
	v_cmp_lt_u32_e64 s[8:9], v84, v83
	s_mov_b64 s[46:47], -1
	s_and_saveexec_b64 s[56:57], s[8:9]
	s_cbranch_execz .LBB1235_202
; %bb.199:
	v_cmp_lt_u32_e64 s[8:9], v85, v82
	s_mov_b64 s[58:59], 0
	s_and_saveexec_b64 s[46:47], s[8:9]
	s_cbranch_execz .LBB1235_201
; %bb.200:
	v_add_f64 v[82:83], v[66:67], 0
	v_add_f64 v[86:87], v[64:65], 0
	v_ashrrev_i32_e32 v96, 31, v83
	v_ashrrev_i32_e32 v97, 31, v87
	v_or_b32_e32 v98, 0x80000000, v96
	v_xor_b32_e32 v82, v96, v82
	v_or_b32_e32 v96, 0x80000000, v97
	v_xor_b32_e32 v83, v98, v83
	v_xor_b32_e32 v87, v96, v87
	;; [unrolled: 1-line block ×3, first 2 shown]
	v_cmp_le_u64_e64 s[8:9], v[82:83], v[86:87]
	s_and_b64 s[58:59], s[8:9], exec
.LBB1235_201:
	s_or_b64 exec, exec, s[46:47]
	s_orn2_b64 s[46:47], s[58:59], exec
.LBB1235_202:
	s_or_b64 exec, exec, s[56:57]
	v_cndmask_b32_e64 v28, v28, v30, s[12:13]
	v_cndmask_b32_e64 v30, v84, v85, s[46:47]
	v_lshl_add_u32 v30, v30, 3, v71
	v_cndmask_b32_e64 v33, v33, v39, s[26:27]
	v_cndmask_b32_e64 v32, v32, v38, s[26:27]
	ds_read_b64 v[38:39], v30 offset:16384
	v_cndmask_b32_e64 v35, v35, v55, s[44:45]
	v_cndmask_b32_e64 v34, v34, v54, s[44:45]
	v_cndmask_b32_e64 v25, v25, v53, s[42:43]
	v_cndmask_b32_e64 v24, v24, v52, s[42:43]
	v_cndmask_b32_e64 v27, v27, v51, s[40:41]
	v_cndmask_b32_e64 v26, v26, v50, s[40:41]
	v_cndmask_b32_e64 v37, v37, v49, s[28:29]
	v_cndmask_b32_e64 v36, v36, v48, s[28:29]
	v_cndmask_b32_e64 v29, v29, v31, s[12:13]
	v_cndmask_b32_e64 v17, v19, v17, s[24:25]
	v_cndmask_b32_e64 v16, v18, v16, s[24:25]
	v_cndmask_b32_e64 v19, v65, v67, s[46:47]
	v_cndmask_b32_e64 v18, v64, v66, s[46:47]
.LBB1235_203:
	s_or_b64 exec, exec, s[22:23]
	v_add_u32_e32 v30, 0x4000, v81
	; wave barrier
	ds_write2_b64 v81, v[16:17], v[28:29] offset1:1
	ds_write2_b64 v30, v[0:1], v[4:5] offset1:1
	v_add_u32_e32 v30, 0x4010, v81
	ds_write2_b64 v81, v[32:33], v[36:37] offset0:2 offset1:3
	ds_write2_b64 v30, v[10:11], v[12:13] offset1:1
	v_add_u32_e32 v30, 0x4020, v81
	ds_write2_b64 v81, v[26:27], v[24:25] offset0:4 offset1:5
	ds_write2_b64 v30, v[14:15], v[22:23] offset1:1
	v_add_u32_e32 v30, 0x4030, v81
	v_and_b32_e32 v48, 0x380, v70
	ds_write2_b64 v81, v[34:35], v[18:19] offset0:6 offset1:7
	s_waitcnt lgkmcnt(7)
	ds_write2_b64 v30, v[20:21], v[38:39] offset1:1
	v_or_b32_e32 v30, 64, v48
	v_min_u32_e32 v70, v80, v30
	v_add_u32_e32 v30, 64, v70
	v_min_u32_e32 v81, v80, v30
	v_min_u32_e32 v49, v80, v69
	v_sub_u32_e32 v50, v70, v48
	v_sub_u32_e32 v31, v81, v70
	v_sub_u32_e64 v31, v49, v31 clamp
	v_min_u32_e32 v50, v49, v50
	v_lshl_add_u32 v30, v48, 3, v71
	v_cmp_lt_u32_e64 s[8:9], v31, v50
	; wave barrier
	s_and_saveexec_b64 s[12:13], s[8:9]
	s_cbranch_execz .LBB1235_207
; %bb.204:
	v_lshlrev_b32_e32 v51, 3, v70
	v_lshlrev_b32_e32 v52, 3, v49
	v_add3_u32 v51, v71, v51, v52
	s_mov_b64 s[22:23], 0
.LBB1235_205:                           ; =>This Inner Loop Header: Depth=1
	v_add_u32_e32 v52, v50, v31
	v_lshrrev_b32_e32 v64, 1, v52
	v_not_b32_e32 v54, v64
	v_lshl_add_u32 v52, v64, 3, v30
	ds_read_b64 v[52:53], v52
	v_lshl_add_u32 v54, v54, 3, v51
	ds_read_b64 v[54:55], v54
	v_add_u32_e32 v65, 1, v64
	s_waitcnt lgkmcnt(1)
	v_add_f64 v[52:53], v[52:53], 0
	s_waitcnt lgkmcnt(0)
	v_add_f64 v[54:55], v[54:55], 0
	v_ashrrev_i32_e32 v66, 31, v53
	v_or_b32_e32 v67, 0x80000000, v66
	v_xor_b32_e32 v52, v66, v52
	v_ashrrev_i32_e32 v66, 31, v55
	v_xor_b32_e32 v53, v67, v53
	v_or_b32_e32 v67, 0x80000000, v66
	v_xor_b32_e32 v54, v66, v54
	v_xor_b32_e32 v55, v67, v55
	v_cmp_gt_u64_e64 s[8:9], v[52:53], v[54:55]
	v_cndmask_b32_e64 v50, v50, v64, s[8:9]
	v_cndmask_b32_e64 v31, v65, v31, s[8:9]
	v_cmp_ge_u32_e64 s[8:9], v31, v50
	s_or_b64 s[22:23], s[8:9], s[22:23]
	s_andn2_b64 exec, exec, s[22:23]
	s_cbranch_execnz .LBB1235_205
; %bb.206:
	s_or_b64 exec, exec, s[22:23]
.LBB1235_207:
	s_or_b64 exec, exec, s[12:13]
	v_add_u32_e32 v49, v70, v49
	v_add_u32_e32 v48, v31, v48
	v_sub_u32_e32 v49, v49, v31
	v_cmp_le_u32_e64 s[8:9], v48, v70
	v_cmp_le_u32_e64 s[12:13], v49, v81
	s_or_b64 s[8:9], s[8:9], s[12:13]
	s_and_saveexec_b64 s[22:23], s[8:9]
	s_cbranch_execz .LBB1235_243
; %bb.208:
	v_cmp_ge_u32_e64 s[8:9], v48, v70
	v_cmp_lt_u32_e64 s[12:13], v48, v70
                                        ; implicit-def: $vgpr16_vgpr17
	s_and_saveexec_b64 s[24:25], s[12:13]
; %bb.209:
	v_lshl_add_u32 v0, v31, 3, v30
	ds_read_b64 v[16:17], v0
; %bb.210:
	s_or_b64 exec, exec, s[24:25]
	v_cmp_ge_u32_e64 s[24:25], v49, v81
	v_cmp_lt_u32_e64 s[12:13], v49, v81
                                        ; implicit-def: $vgpr18_vgpr19
	s_and_saveexec_b64 s[26:27], s[12:13]
; %bb.211:
	v_lshl_add_u32 v0, v49, 3, v71
	ds_read_b64 v[18:19], v0
; %bb.212:
	s_or_b64 exec, exec, s[26:27]
	s_nor_b64 s[8:9], s[8:9], s[24:25]
	s_and_saveexec_b64 s[12:13], s[8:9]
	s_cbranch_execz .LBB1235_214
; %bb.213:
	s_waitcnt lgkmcnt(0)
	v_add_f64 v[0:1], v[16:17], 0
	v_add_f64 v[4:5], v[18:19], 0
	s_andn2_b64 s[24:25], s[24:25], exec
	v_ashrrev_i32_e32 v10, 31, v1
	v_ashrrev_i32_e32 v11, 31, v5
	v_or_b32_e32 v12, 0x80000000, v10
	v_xor_b32_e32 v0, v10, v0
	v_or_b32_e32 v10, 0x80000000, v11
	v_xor_b32_e32 v1, v12, v1
	v_xor_b32_e32 v5, v10, v5
	;; [unrolled: 1-line block ×3, first 2 shown]
	v_cmp_le_u64_e64 s[8:9], v[0:1], v[4:5]
	s_and_b64 s[8:9], s[8:9], exec
	s_or_b64 s[24:25], s[24:25], s[8:9]
.LBB1235_214:
	s_or_b64 exec, exec, s[12:13]
	v_cndmask_b32_e64 v0, v49, v48, s[24:25]
	v_cndmask_b32_e64 v1, v81, v70, s[24:25]
	v_add_u32_e32 v11, 1, v0
	v_add_u32_e32 v1, -1, v1
	v_min_u32_e32 v1, v11, v1
	v_lshl_add_u32 v1, v1, 3, v71
	ds_read_b64 v[4:5], v1
	v_lshl_add_u32 v0, v0, 3, v71
	ds_read_b64 v[0:1], v0 offset:16384
	v_cndmask_b32_e64 v10, v11, v49, s[24:25]
	v_cndmask_b32_e64 v11, v48, v11, s[24:25]
	s_waitcnt lgkmcnt(1)
	v_cndmask_b32_e64 v29, v5, v19, s[24:25]
	v_cndmask_b32_e64 v28, v4, v18, s[24:25]
	;; [unrolled: 1-line block ×4, first 2 shown]
	v_cmp_lt_u32_e64 s[8:9], v10, v81
	s_mov_b64 s[26:27], -1
	s_mov_b64 s[12:13], -1
	s_and_saveexec_b64 s[28:29], s[8:9]
	s_cbranch_execz .LBB1235_218
; %bb.215:
	v_cmp_lt_u32_e64 s[8:9], v11, v70
	s_mov_b64 s[40:41], 0
	s_and_saveexec_b64 s[12:13], s[8:9]
	s_cbranch_execz .LBB1235_217
; %bb.216:
	v_add_f64 v[4:5], v[30:31], 0
	v_add_f64 v[12:13], v[28:29], 0
	v_ashrrev_i32_e32 v14, 31, v5
	v_ashrrev_i32_e32 v15, 31, v13
	v_or_b32_e32 v20, 0x80000000, v14
	v_xor_b32_e32 v4, v14, v4
	v_or_b32_e32 v14, 0x80000000, v15
	v_xor_b32_e32 v5, v20, v5
	v_xor_b32_e32 v13, v14, v13
	;; [unrolled: 1-line block ×3, first 2 shown]
	v_cmp_le_u64_e64 s[8:9], v[4:5], v[12:13]
	s_and_b64 s[40:41], s[8:9], exec
.LBB1235_217:
	s_or_b64 exec, exec, s[12:13]
	s_orn2_b64 s[12:13], s[40:41], exec
.LBB1235_218:
	s_or_b64 exec, exec, s[28:29]
	v_cndmask_b32_e64 v4, v10, v11, s[12:13]
	v_cndmask_b32_e64 v5, v81, v70, s[12:13]
	v_add_u32_e32 v14, 1, v4
	v_add_u32_e32 v5, -1, v5
	v_min_u32_e32 v5, v14, v5
	v_lshl_add_u32 v5, v5, 3, v71
	ds_read_b64 v[12:13], v5
	v_lshl_add_u32 v4, v4, 3, v71
	ds_read_b64 v[4:5], v4 offset:16384
	s_waitcnt lgkmcnt(1)
	v_cndmask_b32_e64 v32, v12, v28, s[12:13]
	v_cndmask_b32_e64 v38, v30, v12, s[12:13]
	;; [unrolled: 1-line block ×6, first 2 shown]
	v_cmp_lt_u32_e64 s[8:9], v12, v81
	s_and_saveexec_b64 s[28:29], s[8:9]
	s_cbranch_execz .LBB1235_222
; %bb.219:
	v_cmp_lt_u32_e64 s[8:9], v13, v70
	s_mov_b64 s[40:41], 0
	s_and_saveexec_b64 s[26:27], s[8:9]
	s_cbranch_execz .LBB1235_221
; %bb.220:
	v_add_f64 v[10:11], v[38:39], 0
	v_add_f64 v[14:15], v[32:33], 0
	v_ashrrev_i32_e32 v20, 31, v11
	v_ashrrev_i32_e32 v21, 31, v15
	v_or_b32_e32 v22, 0x80000000, v20
	v_xor_b32_e32 v10, v20, v10
	v_or_b32_e32 v20, 0x80000000, v21
	v_xor_b32_e32 v11, v22, v11
	v_xor_b32_e32 v15, v20, v15
	;; [unrolled: 1-line block ×3, first 2 shown]
	v_cmp_le_u64_e64 s[8:9], v[10:11], v[14:15]
	s_and_b64 s[40:41], s[8:9], exec
.LBB1235_221:
	s_or_b64 exec, exec, s[26:27]
	s_orn2_b64 s[26:27], s[40:41], exec
.LBB1235_222:
	s_or_b64 exec, exec, s[28:29]
	v_cndmask_b32_e64 v10, v12, v13, s[26:27]
	v_cndmask_b32_e64 v11, v81, v70, s[26:27]
	v_add_u32_e32 v20, 1, v10
	v_add_u32_e32 v11, -1, v11
	v_min_u32_e32 v11, v20, v11
	v_lshl_add_u32 v11, v11, 3, v71
	ds_read_b64 v[14:15], v11
	v_lshl_add_u32 v10, v10, 3, v71
	ds_read_b64 v[10:11], v10 offset:16384
	s_mov_b64 s[40:41], -1
	s_mov_b64 s[28:29], -1
	s_waitcnt lgkmcnt(1)
	v_cndmask_b32_e64 v36, v14, v32, s[26:27]
	v_cndmask_b32_e64 v48, v38, v14, s[26:27]
	;; [unrolled: 1-line block ×6, first 2 shown]
	v_cmp_lt_u32_e64 s[8:9], v14, v81
	s_and_saveexec_b64 s[42:43], s[8:9]
	s_cbranch_execz .LBB1235_226
; %bb.223:
	v_cmp_lt_u32_e64 s[8:9], v15, v70
	s_mov_b64 s[44:45], 0
	s_and_saveexec_b64 s[28:29], s[8:9]
	s_cbranch_execz .LBB1235_225
; %bb.224:
	v_add_f64 v[12:13], v[48:49], 0
	v_add_f64 v[20:21], v[36:37], 0
	v_ashrrev_i32_e32 v22, 31, v13
	v_ashrrev_i32_e32 v23, 31, v21
	v_or_b32_e32 v24, 0x80000000, v22
	v_xor_b32_e32 v12, v22, v12
	v_or_b32_e32 v22, 0x80000000, v23
	v_xor_b32_e32 v13, v24, v13
	v_xor_b32_e32 v21, v22, v21
	;; [unrolled: 1-line block ×3, first 2 shown]
	v_cmp_le_u64_e64 s[8:9], v[12:13], v[20:21]
	s_and_b64 s[44:45], s[8:9], exec
.LBB1235_225:
	s_or_b64 exec, exec, s[28:29]
	s_orn2_b64 s[28:29], s[44:45], exec
.LBB1235_226:
	s_or_b64 exec, exec, s[42:43]
	v_cndmask_b32_e64 v12, v14, v15, s[28:29]
	v_cndmask_b32_e64 v13, v81, v70, s[28:29]
	v_add_u32_e32 v22, 1, v12
	v_add_u32_e32 v13, -1, v13
	v_min_u32_e32 v13, v22, v13
	v_lshl_add_u32 v13, v13, 3, v71
	ds_read_b64 v[20:21], v13
	v_lshl_add_u32 v12, v12, 3, v71
	ds_read_b64 v[12:13], v12 offset:16384
	s_waitcnt lgkmcnt(1)
	v_cndmask_b32_e64 v26, v20, v36, s[28:29]
	v_cndmask_b32_e64 v50, v48, v20, s[28:29]
	;; [unrolled: 1-line block ×6, first 2 shown]
	v_cmp_lt_u32_e64 s[8:9], v20, v81
	s_and_saveexec_b64 s[42:43], s[8:9]
	s_cbranch_execz .LBB1235_230
; %bb.227:
	v_cmp_lt_u32_e64 s[8:9], v21, v70
	s_mov_b64 s[44:45], 0
	s_and_saveexec_b64 s[40:41], s[8:9]
	s_cbranch_execz .LBB1235_229
; %bb.228:
	v_add_f64 v[14:15], v[50:51], 0
	v_add_f64 v[22:23], v[26:27], 0
	v_ashrrev_i32_e32 v24, 31, v15
	v_ashrrev_i32_e32 v25, 31, v23
	v_or_b32_e32 v34, 0x80000000, v24
	v_xor_b32_e32 v14, v24, v14
	v_or_b32_e32 v24, 0x80000000, v25
	v_xor_b32_e32 v15, v34, v15
	v_xor_b32_e32 v23, v24, v23
	;; [unrolled: 1-line block ×3, first 2 shown]
	v_cmp_le_u64_e64 s[8:9], v[14:15], v[22:23]
	s_and_b64 s[44:45], s[8:9], exec
.LBB1235_229:
	s_or_b64 exec, exec, s[40:41]
	s_orn2_b64 s[40:41], s[44:45], exec
.LBB1235_230:
	s_or_b64 exec, exec, s[42:43]
	v_cndmask_b32_e64 v14, v20, v21, s[40:41]
	v_cndmask_b32_e64 v15, v81, v70, s[40:41]
	v_add_u32_e32 v34, 1, v14
	v_add_u32_e32 v15, -1, v15
	v_min_u32_e32 v15, v34, v15
	v_lshl_add_u32 v15, v15, 3, v71
	ds_read_b64 v[22:23], v15
	v_lshl_add_u32 v14, v14, 3, v71
	ds_read_b64 v[14:15], v14 offset:16384
	v_cndmask_b32_e64 v20, v34, v20, s[40:41]
	v_cndmask_b32_e64 v21, v21, v34, s[40:41]
	s_waitcnt lgkmcnt(1)
	v_cndmask_b32_e64 v25, v23, v27, s[40:41]
	v_cndmask_b32_e64 v24, v22, v26, s[40:41]
	;; [unrolled: 1-line block ×4, first 2 shown]
	v_cmp_lt_u32_e64 s[8:9], v20, v81
	s_mov_b64 s[44:45], -1
	s_mov_b64 s[42:43], -1
	s_and_saveexec_b64 s[46:47], s[8:9]
	s_cbranch_execz .LBB1235_234
; %bb.231:
	v_cmp_lt_u32_e64 s[8:9], v21, v70
	s_mov_b64 s[56:57], 0
	s_and_saveexec_b64 s[42:43], s[8:9]
	s_cbranch_execz .LBB1235_233
; %bb.232:
	v_add_f64 v[22:23], v[52:53], 0
	v_add_f64 v[34:35], v[24:25], 0
	v_ashrrev_i32_e32 v54, 31, v23
	v_ashrrev_i32_e32 v55, 31, v35
	v_or_b32_e32 v64, 0x80000000, v54
	v_xor_b32_e32 v22, v54, v22
	v_or_b32_e32 v54, 0x80000000, v55
	v_xor_b32_e32 v23, v64, v23
	v_xor_b32_e32 v35, v54, v35
	;; [unrolled: 1-line block ×3, first 2 shown]
	v_cmp_le_u64_e64 s[8:9], v[22:23], v[34:35]
	s_and_b64 s[56:57], s[8:9], exec
.LBB1235_233:
	s_or_b64 exec, exec, s[42:43]
	s_orn2_b64 s[42:43], s[56:57], exec
.LBB1235_234:
	s_or_b64 exec, exec, s[46:47]
	v_cndmask_b32_e64 v22, v20, v21, s[42:43]
	v_cndmask_b32_e64 v23, v81, v70, s[42:43]
	v_add_u32_e32 v64, 1, v22
	v_add_u32_e32 v23, -1, v23
	v_min_u32_e32 v23, v64, v23
	v_lshl_add_u32 v23, v23, 3, v71
	ds_read_b64 v[54:55], v23
	v_lshl_add_u32 v22, v22, 3, v71
	ds_read_b64 v[22:23], v22 offset:16384
	v_cndmask_b32_e64 v69, v64, v20, s[42:43]
	v_cndmask_b32_e64 v80, v21, v64, s[42:43]
	s_waitcnt lgkmcnt(1)
	v_cndmask_b32_e64 v35, v55, v25, s[42:43]
	v_cndmask_b32_e64 v34, v54, v24, s[42:43]
	;; [unrolled: 1-line block ×4, first 2 shown]
	v_cmp_lt_u32_e64 s[8:9], v69, v81
	s_and_saveexec_b64 s[46:47], s[8:9]
	s_cbranch_execz .LBB1235_238
; %bb.235:
	v_cmp_lt_u32_e64 s[8:9], v80, v70
	s_mov_b64 s[56:57], 0
	s_and_saveexec_b64 s[44:45], s[8:9]
	s_cbranch_execz .LBB1235_237
; %bb.236:
	v_add_f64 v[20:21], v[54:55], 0
	v_add_f64 v[64:65], v[34:35], 0
	v_ashrrev_i32_e32 v66, 31, v21
	v_ashrrev_i32_e32 v67, 31, v65
	v_or_b32_e32 v82, 0x80000000, v66
	v_xor_b32_e32 v20, v66, v20
	v_or_b32_e32 v66, 0x80000000, v67
	v_xor_b32_e32 v21, v82, v21
	v_xor_b32_e32 v65, v66, v65
	;; [unrolled: 1-line block ×3, first 2 shown]
	v_cmp_le_u64_e64 s[8:9], v[20:21], v[64:65]
	s_and_b64 s[56:57], s[8:9], exec
.LBB1235_237:
	s_or_b64 exec, exec, s[44:45]
	s_orn2_b64 s[44:45], s[56:57], exec
.LBB1235_238:
	s_or_b64 exec, exec, s[46:47]
	v_cndmask_b32_e64 v20, v69, v80, s[44:45]
	v_cndmask_b32_e64 v21, v81, v70, s[44:45]
	v_add_u32_e32 v82, 1, v20
	v_add_u32_e32 v21, -1, v21
	v_min_u32_e32 v21, v82, v21
	v_lshl_add_u32 v21, v21, 3, v71
	ds_read_b64 v[66:67], v21
	v_lshl_add_u32 v20, v20, 3, v71
	ds_read_b64 v[20:21], v20 offset:16384
	v_cndmask_b32_e64 v69, v82, v69, s[44:45]
	v_cndmask_b32_e64 v80, v80, v82, s[44:45]
	s_waitcnt lgkmcnt(1)
	v_cndmask_b32_e64 v65, v67, v35, s[44:45]
	v_cndmask_b32_e64 v64, v66, v34, s[44:45]
	;; [unrolled: 1-line block ×4, first 2 shown]
	v_cmp_lt_u32_e64 s[8:9], v69, v81
	s_mov_b64 s[46:47], -1
	s_and_saveexec_b64 s[56:57], s[8:9]
	s_cbranch_execz .LBB1235_242
; %bb.239:
	v_cmp_lt_u32_e64 s[8:9], v80, v70
	s_mov_b64 s[58:59], 0
	s_and_saveexec_b64 s[46:47], s[8:9]
	s_cbranch_execz .LBB1235_241
; %bb.240:
	v_add_f64 v[81:82], v[66:67], 0
	v_add_f64 v[83:84], v[64:65], 0
	v_ashrrev_i32_e32 v70, 31, v82
	v_ashrrev_i32_e32 v85, 31, v84
	v_or_b32_e32 v86, 0x80000000, v70
	v_xor_b32_e32 v81, v70, v81
	v_or_b32_e32 v70, 0x80000000, v85
	v_xor_b32_e32 v82, v86, v82
	v_xor_b32_e32 v84, v70, v84
	;; [unrolled: 1-line block ×3, first 2 shown]
	v_cmp_le_u64_e64 s[8:9], v[81:82], v[83:84]
	s_and_b64 s[58:59], s[8:9], exec
.LBB1235_241:
	s_or_b64 exec, exec, s[46:47]
	s_orn2_b64 s[46:47], s[58:59], exec
.LBB1235_242:
	s_or_b64 exec, exec, s[56:57]
	v_cndmask_b32_e64 v28, v28, v30, s[12:13]
	v_cndmask_b32_e64 v30, v69, v80, s[46:47]
	v_lshl_add_u32 v30, v30, 3, v71
	v_cndmask_b32_e64 v33, v33, v39, s[26:27]
	v_cndmask_b32_e64 v32, v32, v38, s[26:27]
	ds_read_b64 v[38:39], v30 offset:16384
	v_cndmask_b32_e64 v35, v35, v55, s[44:45]
	v_cndmask_b32_e64 v34, v34, v54, s[44:45]
	;; [unrolled: 1-line block ×13, first 2 shown]
.LBB1235_243:
	s_or_b64 exec, exec, s[22:23]
	v_add_co_u32_e64 v2, s[8:9], v2, v8
	v_addc_co_u32_e64 v3, s[8:9], v3, v9, s[8:9]
	v_add_co_u32_e64 v2, s[8:9], v2, v68
	v_addc_co_u32_e64 v3, s[8:9], 0, v3, s[8:9]
	; wave barrier
	s_waitcnt lgkmcnt(0)
	s_barrier
	; wave barrier
	s_and_saveexec_b64 s[8:9], vcc
	s_cbranch_execnz .LBB1235_268
; %bb.244:
	s_or_b64 exec, exec, s[8:9]
	s_and_saveexec_b64 s[8:9], s[4:5]
	s_cbranch_execnz .LBB1235_269
.LBB1235_245:
	s_or_b64 exec, exec, s[8:9]
	s_and_saveexec_b64 s[8:9], s[6:7]
	s_cbranch_execnz .LBB1235_270
.LBB1235_246:
	s_or_b64 exec, exec, s[8:9]
	s_and_saveexec_b64 s[8:9], s[18:19]
	s_cbranch_execnz .LBB1235_271
.LBB1235_247:
	s_or_b64 exec, exec, s[8:9]
	s_and_saveexec_b64 s[8:9], s[10:11]
	s_cbranch_execnz .LBB1235_272
.LBB1235_248:
	s_or_b64 exec, exec, s[8:9]
	s_and_saveexec_b64 s[8:9], s[20:21]
	s_cbranch_execnz .LBB1235_273
.LBB1235_249:
	s_or_b64 exec, exec, s[8:9]
	s_and_saveexec_b64 s[8:9], s[14:15]
	s_cbranch_execnz .LBB1235_274
.LBB1235_250:
	s_or_b64 exec, exec, s[8:9]
	s_and_saveexec_b64 s[8:9], s[16:17]
	s_cbranch_execz .LBB1235_252
.LBB1235_251:
	flat_store_dwordx2 v[2:3], v[18:19] offset:56
.LBB1235_252:
	s_or_b64 exec, exec, s[8:9]
	v_add_co_u32_e64 v2, s[8:9], v6, v8
	v_addc_co_u32_e64 v3, s[8:9], v7, v9, s[8:9]
	v_add_co_u32_e64 v2, s[8:9], v2, v68
	v_addc_co_u32_e64 v3, s[8:9], 0, v3, s[8:9]
	; wave barrier
	s_and_saveexec_b64 s[8:9], vcc
	s_cbranch_execnz .LBB1235_275
; %bb.253:
	s_or_b64 exec, exec, s[8:9]
	s_and_saveexec_b64 s[8:9], s[4:5]
	s_cbranch_execnz .LBB1235_276
.LBB1235_254:
	s_or_b64 exec, exec, s[8:9]
	s_and_saveexec_b64 s[4:5], s[6:7]
	s_cbranch_execnz .LBB1235_277
.LBB1235_255:
	s_or_b64 exec, exec, s[4:5]
	s_and_saveexec_b64 s[4:5], s[18:19]
	s_cbranch_execnz .LBB1235_278
.LBB1235_256:
	s_or_b64 exec, exec, s[4:5]
	s_and_saveexec_b64 s[4:5], s[10:11]
	s_cbranch_execnz .LBB1235_279
.LBB1235_257:
	s_or_b64 exec, exec, s[4:5]
	s_and_saveexec_b64 s[4:5], s[20:21]
	s_cbranch_execnz .LBB1235_280
.LBB1235_258:
	s_or_b64 exec, exec, s[4:5]
	s_and_saveexec_b64 s[4:5], s[14:15]
	s_cbranch_execnz .LBB1235_281
.LBB1235_259:
	s_or_b64 exec, exec, s[4:5]
	s_and_saveexec_b64 s[4:5], s[16:17]
	s_cbranch_execnz .LBB1235_282
.LBB1235_260:
	s_or_b64 exec, exec, s[4:5]
	s_waitcnt vmcnt(0) lgkmcnt(0)
	s_setpc_b64 s[30:31]
.LBB1235_261:
	flat_load_dwordx2 v[0:1], v[48:49]
	s_or_b64 exec, exec, s[22:23]
	s_and_saveexec_b64 s[22:23], s[4:5]
                                        ; implicit-def: $vgpr4_vgpr5
	s_cbranch_execz .LBB1235_18
.LBB1235_262:
	flat_load_dwordx2 v[4:5], v[48:49] offset:8
	s_or_b64 exec, exec, s[22:23]
                                        ; implicit-def: $vgpr10_vgpr11
	s_and_saveexec_b64 s[22:23], s[6:7]
	s_cbranch_execz .LBB1235_19
.LBB1235_263:
	flat_load_dwordx2 v[10:11], v[48:49] offset:16
	s_or_b64 exec, exec, s[22:23]
	s_and_saveexec_b64 s[22:23], s[18:19]
                                        ; implicit-def: $vgpr12_vgpr13
	s_cbranch_execz .LBB1235_20
.LBB1235_264:
	flat_load_dwordx2 v[12:13], v[48:49] offset:24
	s_or_b64 exec, exec, s[22:23]
                                        ; implicit-def: $vgpr14_vgpr15
	s_and_saveexec_b64 s[22:23], s[10:11]
	s_cbranch_execz .LBB1235_21
.LBB1235_265:
	flat_load_dwordx2 v[14:15], v[48:49] offset:32
	s_or_b64 exec, exec, s[22:23]
	s_and_saveexec_b64 s[22:23], s[20:21]
                                        ; implicit-def: $vgpr22_vgpr23
	s_cbranch_execz .LBB1235_22
.LBB1235_266:
	flat_load_dwordx2 v[22:23], v[48:49] offset:40
	s_or_b64 exec, exec, s[22:23]
                                        ; implicit-def: $vgpr20_vgpr21
	s_and_saveexec_b64 s[22:23], s[14:15]
	s_cbranch_execz .LBB1235_23
.LBB1235_267:
	flat_load_dwordx2 v[20:21], v[48:49] offset:48
	s_or_b64 exec, exec, s[22:23]
	s_and_saveexec_b64 s[22:23], s[16:17]
                                        ; implicit-def: $vgpr38_vgpr39
	s_cbranch_execnz .LBB1235_24
	s_branch .LBB1235_25
.LBB1235_268:
	flat_store_dwordx2 v[2:3], v[16:17]
	s_or_b64 exec, exec, s[8:9]
	s_and_saveexec_b64 s[8:9], s[4:5]
	s_cbranch_execz .LBB1235_245
.LBB1235_269:
	flat_store_dwordx2 v[2:3], v[28:29] offset:8
	s_or_b64 exec, exec, s[8:9]
	s_and_saveexec_b64 s[8:9], s[6:7]
	s_cbranch_execz .LBB1235_246
.LBB1235_270:
	flat_store_dwordx2 v[2:3], v[32:33] offset:16
	s_or_b64 exec, exec, s[8:9]
	s_and_saveexec_b64 s[8:9], s[18:19]
	s_cbranch_execz .LBB1235_247
.LBB1235_271:
	flat_store_dwordx2 v[2:3], v[36:37] offset:24
	s_or_b64 exec, exec, s[8:9]
	s_and_saveexec_b64 s[8:9], s[10:11]
	s_cbranch_execz .LBB1235_248
.LBB1235_272:
	flat_store_dwordx2 v[2:3], v[26:27] offset:32
	s_or_b64 exec, exec, s[8:9]
	s_and_saveexec_b64 s[8:9], s[20:21]
	s_cbranch_execz .LBB1235_249
.LBB1235_273:
	flat_store_dwordx2 v[2:3], v[24:25] offset:40
	s_or_b64 exec, exec, s[8:9]
	s_and_saveexec_b64 s[8:9], s[14:15]
	s_cbranch_execz .LBB1235_250
.LBB1235_274:
	flat_store_dwordx2 v[2:3], v[34:35] offset:48
	s_or_b64 exec, exec, s[8:9]
	s_and_saveexec_b64 s[8:9], s[16:17]
	s_cbranch_execnz .LBB1235_251
	s_branch .LBB1235_252
.LBB1235_275:
	flat_store_dwordx2 v[2:3], v[0:1]
	s_or_b64 exec, exec, s[8:9]
	s_and_saveexec_b64 s[8:9], s[4:5]
	s_cbranch_execz .LBB1235_254
.LBB1235_276:
	flat_store_dwordx2 v[2:3], v[4:5] offset:8
	s_or_b64 exec, exec, s[8:9]
	s_and_saveexec_b64 s[4:5], s[6:7]
	s_cbranch_execz .LBB1235_255
.LBB1235_277:
	flat_store_dwordx2 v[2:3], v[10:11] offset:16
	s_or_b64 exec, exec, s[4:5]
	s_and_saveexec_b64 s[4:5], s[18:19]
	s_cbranch_execz .LBB1235_256
.LBB1235_278:
	flat_store_dwordx2 v[2:3], v[12:13] offset:24
	s_or_b64 exec, exec, s[4:5]
	s_and_saveexec_b64 s[4:5], s[10:11]
	s_cbranch_execz .LBB1235_257
.LBB1235_279:
	flat_store_dwordx2 v[2:3], v[14:15] offset:32
	s_or_b64 exec, exec, s[4:5]
	s_and_saveexec_b64 s[4:5], s[20:21]
	s_cbranch_execz .LBB1235_258
.LBB1235_280:
	flat_store_dwordx2 v[2:3], v[22:23] offset:40
	s_or_b64 exec, exec, s[4:5]
	s_and_saveexec_b64 s[4:5], s[14:15]
	s_cbranch_execz .LBB1235_259
.LBB1235_281:
	flat_store_dwordx2 v[2:3], v[20:21] offset:48
	s_or_b64 exec, exec, s[4:5]
	s_and_saveexec_b64 s[4:5], s[16:17]
	s_cbranch_execz .LBB1235_260
.LBB1235_282:
	flat_store_dwordx2 v[2:3], v[38:39] offset:56
	s_or_b64 exec, exec, s[4:5]
	s_waitcnt vmcnt(0) lgkmcnt(0)
	s_setpc_b64 s[30:31]
.Lfunc_end1235:
	.size	_ZN7rocprim17ROCPRIM_400000_NS6detail26segmented_warp_sort_helperINS1_20WarpSortHelperConfigILj16ELj8ELj256EEEdlLi256ELb0EvE4sortIPKdPdPKlPlEEvT_T0_T1_T2_jjjjRNS5_12storage_typeE, .Lfunc_end1235-_ZN7rocprim17ROCPRIM_400000_NS6detail26segmented_warp_sort_helperINS1_20WarpSortHelperConfigILj16ELj8ELj256EEEdlLi256ELb0EvE4sortIPKdPdPKlPlEEvT_T0_T1_T2_jjjjRNS5_12storage_typeE
                                        ; -- End function
	.set .L_ZN7rocprim17ROCPRIM_400000_NS6detail26segmented_warp_sort_helperINS1_20WarpSortHelperConfigILj16ELj8ELj256EEEdlLi256ELb0EvE4sortIPKdPdPKlPlEEvT_T0_T1_T2_jjjjRNS5_12storage_typeE.num_vgpr, 99
	.set .L_ZN7rocprim17ROCPRIM_400000_NS6detail26segmented_warp_sort_helperINS1_20WarpSortHelperConfigILj16ELj8ELj256EEEdlLi256ELb0EvE4sortIPKdPdPKlPlEEvT_T0_T1_T2_jjjjRNS5_12storage_typeE.num_agpr, 0
	.set .L_ZN7rocprim17ROCPRIM_400000_NS6detail26segmented_warp_sort_helperINS1_20WarpSortHelperConfigILj16ELj8ELj256EEEdlLi256ELb0EvE4sortIPKdPdPKlPlEEvT_T0_T1_T2_jjjjRNS5_12storage_typeE.numbered_sgpr, 60
	.set .L_ZN7rocprim17ROCPRIM_400000_NS6detail26segmented_warp_sort_helperINS1_20WarpSortHelperConfigILj16ELj8ELj256EEEdlLi256ELb0EvE4sortIPKdPdPKlPlEEvT_T0_T1_T2_jjjjRNS5_12storage_typeE.num_named_barrier, 0
	.set .L_ZN7rocprim17ROCPRIM_400000_NS6detail26segmented_warp_sort_helperINS1_20WarpSortHelperConfigILj16ELj8ELj256EEEdlLi256ELb0EvE4sortIPKdPdPKlPlEEvT_T0_T1_T2_jjjjRNS5_12storage_typeE.private_seg_size, 0
	.set .L_ZN7rocprim17ROCPRIM_400000_NS6detail26segmented_warp_sort_helperINS1_20WarpSortHelperConfigILj16ELj8ELj256EEEdlLi256ELb0EvE4sortIPKdPdPKlPlEEvT_T0_T1_T2_jjjjRNS5_12storage_typeE.uses_vcc, 1
	.set .L_ZN7rocprim17ROCPRIM_400000_NS6detail26segmented_warp_sort_helperINS1_20WarpSortHelperConfigILj16ELj8ELj256EEEdlLi256ELb0EvE4sortIPKdPdPKlPlEEvT_T0_T1_T2_jjjjRNS5_12storage_typeE.uses_flat_scratch, 0
	.set .L_ZN7rocprim17ROCPRIM_400000_NS6detail26segmented_warp_sort_helperINS1_20WarpSortHelperConfigILj16ELj8ELj256EEEdlLi256ELb0EvE4sortIPKdPdPKlPlEEvT_T0_T1_T2_jjjjRNS5_12storage_typeE.has_dyn_sized_stack, 0
	.set .L_ZN7rocprim17ROCPRIM_400000_NS6detail26segmented_warp_sort_helperINS1_20WarpSortHelperConfigILj16ELj8ELj256EEEdlLi256ELb0EvE4sortIPKdPdPKlPlEEvT_T0_T1_T2_jjjjRNS5_12storage_typeE.has_recursion, 0
	.set .L_ZN7rocprim17ROCPRIM_400000_NS6detail26segmented_warp_sort_helperINS1_20WarpSortHelperConfigILj16ELj8ELj256EEEdlLi256ELb0EvE4sortIPKdPdPKlPlEEvT_T0_T1_T2_jjjjRNS5_12storage_typeE.has_indirect_call, 0
	.section	.AMDGPU.csdata,"",@progbits
; Function info:
; codeLenInByte = 14196
; TotalNumSgprs: 64
; NumVgprs: 99
; ScratchSize: 0
; MemoryBound: 0
	.section	.text._ZN7rocprim17ROCPRIM_400000_NS6detail17trampoline_kernelINS0_14default_configENS1_36segmented_radix_sort_config_selectorIdlEEZNS1_25segmented_radix_sort_implIS3_Lb0EPKdPdPKlPlN2at6native12_GLOBAL__N_18offset_tEEE10hipError_tPvRmT1_PNSt15iterator_traitsISK_E10value_typeET2_T3_PNSL_ISQ_E10value_typeET4_jRbjT5_SW_jjP12ihipStream_tbEUlT_E0_NS1_11comp_targetILNS1_3genE2ELNS1_11target_archE906ELNS1_3gpuE6ELNS1_3repE0EEENS1_60segmented_radix_sort_warp_sort_medium_config_static_selectorELNS0_4arch9wavefront6targetE1EEEvSK_,"axG",@progbits,_ZN7rocprim17ROCPRIM_400000_NS6detail17trampoline_kernelINS0_14default_configENS1_36segmented_radix_sort_config_selectorIdlEEZNS1_25segmented_radix_sort_implIS3_Lb0EPKdPdPKlPlN2at6native12_GLOBAL__N_18offset_tEEE10hipError_tPvRmT1_PNSt15iterator_traitsISK_E10value_typeET2_T3_PNSL_ISQ_E10value_typeET4_jRbjT5_SW_jjP12ihipStream_tbEUlT_E0_NS1_11comp_targetILNS1_3genE2ELNS1_11target_archE906ELNS1_3gpuE6ELNS1_3repE0EEENS1_60segmented_radix_sort_warp_sort_medium_config_static_selectorELNS0_4arch9wavefront6targetE1EEEvSK_,comdat
	.globl	_ZN7rocprim17ROCPRIM_400000_NS6detail17trampoline_kernelINS0_14default_configENS1_36segmented_radix_sort_config_selectorIdlEEZNS1_25segmented_radix_sort_implIS3_Lb0EPKdPdPKlPlN2at6native12_GLOBAL__N_18offset_tEEE10hipError_tPvRmT1_PNSt15iterator_traitsISK_E10value_typeET2_T3_PNSL_ISQ_E10value_typeET4_jRbjT5_SW_jjP12ihipStream_tbEUlT_E0_NS1_11comp_targetILNS1_3genE2ELNS1_11target_archE906ELNS1_3gpuE6ELNS1_3repE0EEENS1_60segmented_radix_sort_warp_sort_medium_config_static_selectorELNS0_4arch9wavefront6targetE1EEEvSK_ ; -- Begin function _ZN7rocprim17ROCPRIM_400000_NS6detail17trampoline_kernelINS0_14default_configENS1_36segmented_radix_sort_config_selectorIdlEEZNS1_25segmented_radix_sort_implIS3_Lb0EPKdPdPKlPlN2at6native12_GLOBAL__N_18offset_tEEE10hipError_tPvRmT1_PNSt15iterator_traitsISK_E10value_typeET2_T3_PNSL_ISQ_E10value_typeET4_jRbjT5_SW_jjP12ihipStream_tbEUlT_E0_NS1_11comp_targetILNS1_3genE2ELNS1_11target_archE906ELNS1_3gpuE6ELNS1_3repE0EEENS1_60segmented_radix_sort_warp_sort_medium_config_static_selectorELNS0_4arch9wavefront6targetE1EEEvSK_
	.p2align	8
	.type	_ZN7rocprim17ROCPRIM_400000_NS6detail17trampoline_kernelINS0_14default_configENS1_36segmented_radix_sort_config_selectorIdlEEZNS1_25segmented_radix_sort_implIS3_Lb0EPKdPdPKlPlN2at6native12_GLOBAL__N_18offset_tEEE10hipError_tPvRmT1_PNSt15iterator_traitsISK_E10value_typeET2_T3_PNSL_ISQ_E10value_typeET4_jRbjT5_SW_jjP12ihipStream_tbEUlT_E0_NS1_11comp_targetILNS1_3genE2ELNS1_11target_archE906ELNS1_3gpuE6ELNS1_3repE0EEENS1_60segmented_radix_sort_warp_sort_medium_config_static_selectorELNS0_4arch9wavefront6targetE1EEEvSK_,@function
_ZN7rocprim17ROCPRIM_400000_NS6detail17trampoline_kernelINS0_14default_configENS1_36segmented_radix_sort_config_selectorIdlEEZNS1_25segmented_radix_sort_implIS3_Lb0EPKdPdPKlPlN2at6native12_GLOBAL__N_18offset_tEEE10hipError_tPvRmT1_PNSt15iterator_traitsISK_E10value_typeET2_T3_PNSL_ISQ_E10value_typeET4_jRbjT5_SW_jjP12ihipStream_tbEUlT_E0_NS1_11comp_targetILNS1_3genE2ELNS1_11target_archE906ELNS1_3gpuE6ELNS1_3repE0EEENS1_60segmented_radix_sort_warp_sort_medium_config_static_selectorELNS0_4arch9wavefront6targetE1EEEvSK_: ; @_ZN7rocprim17ROCPRIM_400000_NS6detail17trampoline_kernelINS0_14default_configENS1_36segmented_radix_sort_config_selectorIdlEEZNS1_25segmented_radix_sort_implIS3_Lb0EPKdPdPKlPlN2at6native12_GLOBAL__N_18offset_tEEE10hipError_tPvRmT1_PNSt15iterator_traitsISK_E10value_typeET2_T3_PNSL_ISQ_E10value_typeET4_jRbjT5_SW_jjP12ihipStream_tbEUlT_E0_NS1_11comp_targetILNS1_3genE2ELNS1_11target_archE906ELNS1_3gpuE6ELNS1_3repE0EEENS1_60segmented_radix_sort_warp_sort_medium_config_static_selectorELNS0_4arch9wavefront6targetE1EEEvSK_
; %bb.0:
	s_add_u32 s0, s0, s8
	s_load_dword s8, s[4:5], 0x64
	s_addc_u32 s1, s1, 0
	s_mov_b32 s32, 0
	s_waitcnt lgkmcnt(0)
	s_lshr_b32 s9, s8, 16
	s_and_b32 s8, s8, 0xffff
	v_mad_u32_u24 v3, v2, s9, v1
	v_mad_u64_u32 v[3:4], s[8:9], v3, s8, v[0:1]
	s_load_dword s8, s[4:5], 0x34
	v_lshrrev_b32_e32 v3, 4, v3
	v_lshl_add_u32 v3, s6, 4, v3
	s_waitcnt lgkmcnt(0)
	v_cmp_gt_u32_e32 vcc, s8, v3
	s_and_saveexec_b64 s[8:9], vcc
	s_cbranch_execz .LBB1236_6
; %bb.1:
	s_load_dwordx2 s[12:13], s[4:5], 0x38
	s_load_dwordx4 s[8:11], s[4:5], 0x40
	v_mov_b32_e32 v4, 0
	v_lshlrev_b64 v[3:4], 2, v[3:4]
	s_waitcnt lgkmcnt(0)
	v_mov_b32_e32 v5, s13
	v_add_co_u32_e32 v3, vcc, s12, v3
	v_addc_co_u32_e32 v4, vcc, v5, v4, vcc
	global_load_dword v3, v[3:4], off
	s_waitcnt vmcnt(0)
	v_add_u32_e32 v4, s9, v3
	v_add_u32_e32 v3, s11, v3
	v_mul_lo_u32 v40, v4, s8
	v_mul_lo_u32 v41, v3, s10
	v_cmp_gt_u32_e32 vcc, v41, v40
	s_and_b64 exec, exec, vcc
	s_cbranch_execz .LBB1236_6
; %bb.2:
	s_load_dword s10, s[4:5], 0x30
	s_load_dwordx4 s[36:39], s[4:5], 0x20
	s_load_dwordx8 s[48:55], s[4:5], 0x0
	s_mov_b64 s[8:9], -1
	v_lshlrev_b32_e32 v43, 20, v2
	s_waitcnt lgkmcnt(0)
	s_bitcmp0_b32 s10, 0
	v_lshlrev_b32_e32 v44, 10, v1
	s_cbranch_scc0 .LBB1236_4
; %bb.3:
	s_add_u32 s8, s4, 0x58
	s_addc_u32 s9, s5, 0
	s_getpc_b64 s[10:11]
	s_add_u32 s10, s10, _ZN7rocprim17ROCPRIM_400000_NS6detail26segmented_warp_sort_helperINS1_20WarpSortHelperConfigILj16ELj8ELj256EEEdlLi256ELb0EvE4sortIPKdPdPKlPlEEvT_T0_T1_T2_jjjjRNS5_12storage_typeE@rel32@lo+4
	s_addc_u32 s11, s11, _ZN7rocprim17ROCPRIM_400000_NS6detail26segmented_warp_sort_helperINS1_20WarpSortHelperConfigILj16ELj8ELj256EEEdlLi256ELb0EvE4sortIPKdPdPKlPlEEvT_T0_T1_T2_jjjjRNS5_12storage_typeE@rel32@hi+12
	v_or3_b32 v31, v0, v44, v43
	s_mov_b32 s12, s6
	s_mov_b32 s13, s7
	v_mov_b32_e32 v42, v0
	v_mov_b32_e32 v0, s48
	;; [unrolled: 1-line block ×11, first 2 shown]
	s_mov_b64 s[34:35], s[4:5]
	s_mov_b32 s36, s7
	s_mov_b32 s33, s6
	s_swappc_b64 s[30:31], s[10:11]
	v_mov_b32_e32 v0, v42
	s_mov_b32 s6, s33
	s_mov_b32 s7, s36
	s_mov_b64 s[4:5], s[34:35]
	s_mov_b64 s[8:9], 0
.LBB1236_4:
	s_andn2_b64 vcc, exec, s[8:9]
	s_cbranch_vccnz .LBB1236_6
; %bb.5:
	s_add_u32 s8, s4, 0x58
	s_addc_u32 s9, s5, 0
	s_getpc_b64 s[4:5]
	s_add_u32 s4, s4, _ZN7rocprim17ROCPRIM_400000_NS6detail26segmented_warp_sort_helperINS1_20WarpSortHelperConfigILj16ELj8ELj256EEEdlLi256ELb0EvE4sortIPKdPdPKlPlEEvT_T0_T1_T2_jjjjRNS5_12storage_typeE@rel32@lo+4
	s_addc_u32 s5, s5, _ZN7rocprim17ROCPRIM_400000_NS6detail26segmented_warp_sort_helperINS1_20WarpSortHelperConfigILj16ELj8ELj256EEEdlLi256ELb0EvE4sortIPKdPdPKlPlEEvT_T0_T1_T2_jjjjRNS5_12storage_typeE@rel32@hi+12
	v_or3_b32 v31, v0, v44, v43
	s_mov_b32 s12, s6
	s_mov_b32 s13, s7
	v_mov_b32_e32 v0, s48
	v_mov_b32_e32 v1, s49
	;; [unrolled: 1-line block ×10, first 2 shown]
	s_swappc_b64 s[30:31], s[4:5]
.LBB1236_6:
	s_endpgm
	.section	.rodata,"a",@progbits
	.p2align	6, 0x0
	.amdhsa_kernel _ZN7rocprim17ROCPRIM_400000_NS6detail17trampoline_kernelINS0_14default_configENS1_36segmented_radix_sort_config_selectorIdlEEZNS1_25segmented_radix_sort_implIS3_Lb0EPKdPdPKlPlN2at6native12_GLOBAL__N_18offset_tEEE10hipError_tPvRmT1_PNSt15iterator_traitsISK_E10value_typeET2_T3_PNSL_ISQ_E10value_typeET4_jRbjT5_SW_jjP12ihipStream_tbEUlT_E0_NS1_11comp_targetILNS1_3genE2ELNS1_11target_archE906ELNS1_3gpuE6ELNS1_3repE0EEENS1_60segmented_radix_sort_warp_sort_medium_config_static_selectorELNS0_4arch9wavefront6targetE1EEEvSK_
		.amdhsa_group_segment_fixed_size 32768
		.amdhsa_private_segment_fixed_size 0
		.amdhsa_kernarg_size 344
		.amdhsa_user_sgpr_count 6
		.amdhsa_user_sgpr_private_segment_buffer 1
		.amdhsa_user_sgpr_dispatch_ptr 0
		.amdhsa_user_sgpr_queue_ptr 0
		.amdhsa_user_sgpr_kernarg_segment_ptr 1
		.amdhsa_user_sgpr_dispatch_id 0
		.amdhsa_user_sgpr_flat_scratch_init 0
		.amdhsa_user_sgpr_private_segment_size 0
		.amdhsa_uses_dynamic_stack 0
		.amdhsa_system_sgpr_private_segment_wavefront_offset 0
		.amdhsa_system_sgpr_workgroup_id_x 1
		.amdhsa_system_sgpr_workgroup_id_y 1
		.amdhsa_system_sgpr_workgroup_id_z 0
		.amdhsa_system_sgpr_workgroup_info 0
		.amdhsa_system_vgpr_workitem_id 2
		.amdhsa_next_free_vgpr 99
		.amdhsa_next_free_sgpr 98
		.amdhsa_reserve_vcc 1
		.amdhsa_reserve_flat_scratch 0
		.amdhsa_float_round_mode_32 0
		.amdhsa_float_round_mode_16_64 0
		.amdhsa_float_denorm_mode_32 3
		.amdhsa_float_denorm_mode_16_64 3
		.amdhsa_dx10_clamp 1
		.amdhsa_ieee_mode 1
		.amdhsa_fp16_overflow 0
		.amdhsa_exception_fp_ieee_invalid_op 0
		.amdhsa_exception_fp_denorm_src 0
		.amdhsa_exception_fp_ieee_div_zero 0
		.amdhsa_exception_fp_ieee_overflow 0
		.amdhsa_exception_fp_ieee_underflow 0
		.amdhsa_exception_fp_ieee_inexact 0
		.amdhsa_exception_int_div_zero 0
	.end_amdhsa_kernel
	.section	.text._ZN7rocprim17ROCPRIM_400000_NS6detail17trampoline_kernelINS0_14default_configENS1_36segmented_radix_sort_config_selectorIdlEEZNS1_25segmented_radix_sort_implIS3_Lb0EPKdPdPKlPlN2at6native12_GLOBAL__N_18offset_tEEE10hipError_tPvRmT1_PNSt15iterator_traitsISK_E10value_typeET2_T3_PNSL_ISQ_E10value_typeET4_jRbjT5_SW_jjP12ihipStream_tbEUlT_E0_NS1_11comp_targetILNS1_3genE2ELNS1_11target_archE906ELNS1_3gpuE6ELNS1_3repE0EEENS1_60segmented_radix_sort_warp_sort_medium_config_static_selectorELNS0_4arch9wavefront6targetE1EEEvSK_,"axG",@progbits,_ZN7rocprim17ROCPRIM_400000_NS6detail17trampoline_kernelINS0_14default_configENS1_36segmented_radix_sort_config_selectorIdlEEZNS1_25segmented_radix_sort_implIS3_Lb0EPKdPdPKlPlN2at6native12_GLOBAL__N_18offset_tEEE10hipError_tPvRmT1_PNSt15iterator_traitsISK_E10value_typeET2_T3_PNSL_ISQ_E10value_typeET4_jRbjT5_SW_jjP12ihipStream_tbEUlT_E0_NS1_11comp_targetILNS1_3genE2ELNS1_11target_archE906ELNS1_3gpuE6ELNS1_3repE0EEENS1_60segmented_radix_sort_warp_sort_medium_config_static_selectorELNS0_4arch9wavefront6targetE1EEEvSK_,comdat
.Lfunc_end1236:
	.size	_ZN7rocprim17ROCPRIM_400000_NS6detail17trampoline_kernelINS0_14default_configENS1_36segmented_radix_sort_config_selectorIdlEEZNS1_25segmented_radix_sort_implIS3_Lb0EPKdPdPKlPlN2at6native12_GLOBAL__N_18offset_tEEE10hipError_tPvRmT1_PNSt15iterator_traitsISK_E10value_typeET2_T3_PNSL_ISQ_E10value_typeET4_jRbjT5_SW_jjP12ihipStream_tbEUlT_E0_NS1_11comp_targetILNS1_3genE2ELNS1_11target_archE906ELNS1_3gpuE6ELNS1_3repE0EEENS1_60segmented_radix_sort_warp_sort_medium_config_static_selectorELNS0_4arch9wavefront6targetE1EEEvSK_, .Lfunc_end1236-_ZN7rocprim17ROCPRIM_400000_NS6detail17trampoline_kernelINS0_14default_configENS1_36segmented_radix_sort_config_selectorIdlEEZNS1_25segmented_radix_sort_implIS3_Lb0EPKdPdPKlPlN2at6native12_GLOBAL__N_18offset_tEEE10hipError_tPvRmT1_PNSt15iterator_traitsISK_E10value_typeET2_T3_PNSL_ISQ_E10value_typeET4_jRbjT5_SW_jjP12ihipStream_tbEUlT_E0_NS1_11comp_targetILNS1_3genE2ELNS1_11target_archE906ELNS1_3gpuE6ELNS1_3repE0EEENS1_60segmented_radix_sort_warp_sort_medium_config_static_selectorELNS0_4arch9wavefront6targetE1EEEvSK_
                                        ; -- End function
	.set _ZN7rocprim17ROCPRIM_400000_NS6detail17trampoline_kernelINS0_14default_configENS1_36segmented_radix_sort_config_selectorIdlEEZNS1_25segmented_radix_sort_implIS3_Lb0EPKdPdPKlPlN2at6native12_GLOBAL__N_18offset_tEEE10hipError_tPvRmT1_PNSt15iterator_traitsISK_E10value_typeET2_T3_PNSL_ISQ_E10value_typeET4_jRbjT5_SW_jjP12ihipStream_tbEUlT_E0_NS1_11comp_targetILNS1_3genE2ELNS1_11target_archE906ELNS1_3gpuE6ELNS1_3repE0EEENS1_60segmented_radix_sort_warp_sort_medium_config_static_selectorELNS0_4arch9wavefront6targetE1EEEvSK_.num_vgpr, max(45, .L_ZN7rocprim17ROCPRIM_400000_NS6detail26segmented_warp_sort_helperINS1_20WarpSortHelperConfigILj16ELj8ELj256EEEdlLi256ELb0EvE4sortIPKdPdPKlPlEEvT_T0_T1_T2_jjjjRNS5_12storage_typeE.num_vgpr)
	.set _ZN7rocprim17ROCPRIM_400000_NS6detail17trampoline_kernelINS0_14default_configENS1_36segmented_radix_sort_config_selectorIdlEEZNS1_25segmented_radix_sort_implIS3_Lb0EPKdPdPKlPlN2at6native12_GLOBAL__N_18offset_tEEE10hipError_tPvRmT1_PNSt15iterator_traitsISK_E10value_typeET2_T3_PNSL_ISQ_E10value_typeET4_jRbjT5_SW_jjP12ihipStream_tbEUlT_E0_NS1_11comp_targetILNS1_3genE2ELNS1_11target_archE906ELNS1_3gpuE6ELNS1_3repE0EEENS1_60segmented_radix_sort_warp_sort_medium_config_static_selectorELNS0_4arch9wavefront6targetE1EEEvSK_.num_agpr, max(0, .L_ZN7rocprim17ROCPRIM_400000_NS6detail26segmented_warp_sort_helperINS1_20WarpSortHelperConfigILj16ELj8ELj256EEEdlLi256ELb0EvE4sortIPKdPdPKlPlEEvT_T0_T1_T2_jjjjRNS5_12storage_typeE.num_agpr)
	.set _ZN7rocprim17ROCPRIM_400000_NS6detail17trampoline_kernelINS0_14default_configENS1_36segmented_radix_sort_config_selectorIdlEEZNS1_25segmented_radix_sort_implIS3_Lb0EPKdPdPKlPlN2at6native12_GLOBAL__N_18offset_tEEE10hipError_tPvRmT1_PNSt15iterator_traitsISK_E10value_typeET2_T3_PNSL_ISQ_E10value_typeET4_jRbjT5_SW_jjP12ihipStream_tbEUlT_E0_NS1_11comp_targetILNS1_3genE2ELNS1_11target_archE906ELNS1_3gpuE6ELNS1_3repE0EEENS1_60segmented_radix_sort_warp_sort_medium_config_static_selectorELNS0_4arch9wavefront6targetE1EEEvSK_.numbered_sgpr, max(56, .L_ZN7rocprim17ROCPRIM_400000_NS6detail26segmented_warp_sort_helperINS1_20WarpSortHelperConfigILj16ELj8ELj256EEEdlLi256ELb0EvE4sortIPKdPdPKlPlEEvT_T0_T1_T2_jjjjRNS5_12storage_typeE.numbered_sgpr)
	.set _ZN7rocprim17ROCPRIM_400000_NS6detail17trampoline_kernelINS0_14default_configENS1_36segmented_radix_sort_config_selectorIdlEEZNS1_25segmented_radix_sort_implIS3_Lb0EPKdPdPKlPlN2at6native12_GLOBAL__N_18offset_tEEE10hipError_tPvRmT1_PNSt15iterator_traitsISK_E10value_typeET2_T3_PNSL_ISQ_E10value_typeET4_jRbjT5_SW_jjP12ihipStream_tbEUlT_E0_NS1_11comp_targetILNS1_3genE2ELNS1_11target_archE906ELNS1_3gpuE6ELNS1_3repE0EEENS1_60segmented_radix_sort_warp_sort_medium_config_static_selectorELNS0_4arch9wavefront6targetE1EEEvSK_.num_named_barrier, max(0, .L_ZN7rocprim17ROCPRIM_400000_NS6detail26segmented_warp_sort_helperINS1_20WarpSortHelperConfigILj16ELj8ELj256EEEdlLi256ELb0EvE4sortIPKdPdPKlPlEEvT_T0_T1_T2_jjjjRNS5_12storage_typeE.num_named_barrier)
	.set _ZN7rocprim17ROCPRIM_400000_NS6detail17trampoline_kernelINS0_14default_configENS1_36segmented_radix_sort_config_selectorIdlEEZNS1_25segmented_radix_sort_implIS3_Lb0EPKdPdPKlPlN2at6native12_GLOBAL__N_18offset_tEEE10hipError_tPvRmT1_PNSt15iterator_traitsISK_E10value_typeET2_T3_PNSL_ISQ_E10value_typeET4_jRbjT5_SW_jjP12ihipStream_tbEUlT_E0_NS1_11comp_targetILNS1_3genE2ELNS1_11target_archE906ELNS1_3gpuE6ELNS1_3repE0EEENS1_60segmented_radix_sort_warp_sort_medium_config_static_selectorELNS0_4arch9wavefront6targetE1EEEvSK_.private_seg_size, 0+max(.L_ZN7rocprim17ROCPRIM_400000_NS6detail26segmented_warp_sort_helperINS1_20WarpSortHelperConfigILj16ELj8ELj256EEEdlLi256ELb0EvE4sortIPKdPdPKlPlEEvT_T0_T1_T2_jjjjRNS5_12storage_typeE.private_seg_size)
	.set _ZN7rocprim17ROCPRIM_400000_NS6detail17trampoline_kernelINS0_14default_configENS1_36segmented_radix_sort_config_selectorIdlEEZNS1_25segmented_radix_sort_implIS3_Lb0EPKdPdPKlPlN2at6native12_GLOBAL__N_18offset_tEEE10hipError_tPvRmT1_PNSt15iterator_traitsISK_E10value_typeET2_T3_PNSL_ISQ_E10value_typeET4_jRbjT5_SW_jjP12ihipStream_tbEUlT_E0_NS1_11comp_targetILNS1_3genE2ELNS1_11target_archE906ELNS1_3gpuE6ELNS1_3repE0EEENS1_60segmented_radix_sort_warp_sort_medium_config_static_selectorELNS0_4arch9wavefront6targetE1EEEvSK_.uses_vcc, or(1, .L_ZN7rocprim17ROCPRIM_400000_NS6detail26segmented_warp_sort_helperINS1_20WarpSortHelperConfigILj16ELj8ELj256EEEdlLi256ELb0EvE4sortIPKdPdPKlPlEEvT_T0_T1_T2_jjjjRNS5_12storage_typeE.uses_vcc)
	.set _ZN7rocprim17ROCPRIM_400000_NS6detail17trampoline_kernelINS0_14default_configENS1_36segmented_radix_sort_config_selectorIdlEEZNS1_25segmented_radix_sort_implIS3_Lb0EPKdPdPKlPlN2at6native12_GLOBAL__N_18offset_tEEE10hipError_tPvRmT1_PNSt15iterator_traitsISK_E10value_typeET2_T3_PNSL_ISQ_E10value_typeET4_jRbjT5_SW_jjP12ihipStream_tbEUlT_E0_NS1_11comp_targetILNS1_3genE2ELNS1_11target_archE906ELNS1_3gpuE6ELNS1_3repE0EEENS1_60segmented_radix_sort_warp_sort_medium_config_static_selectorELNS0_4arch9wavefront6targetE1EEEvSK_.uses_flat_scratch, or(0, .L_ZN7rocprim17ROCPRIM_400000_NS6detail26segmented_warp_sort_helperINS1_20WarpSortHelperConfigILj16ELj8ELj256EEEdlLi256ELb0EvE4sortIPKdPdPKlPlEEvT_T0_T1_T2_jjjjRNS5_12storage_typeE.uses_flat_scratch)
	.set _ZN7rocprim17ROCPRIM_400000_NS6detail17trampoline_kernelINS0_14default_configENS1_36segmented_radix_sort_config_selectorIdlEEZNS1_25segmented_radix_sort_implIS3_Lb0EPKdPdPKlPlN2at6native12_GLOBAL__N_18offset_tEEE10hipError_tPvRmT1_PNSt15iterator_traitsISK_E10value_typeET2_T3_PNSL_ISQ_E10value_typeET4_jRbjT5_SW_jjP12ihipStream_tbEUlT_E0_NS1_11comp_targetILNS1_3genE2ELNS1_11target_archE906ELNS1_3gpuE6ELNS1_3repE0EEENS1_60segmented_radix_sort_warp_sort_medium_config_static_selectorELNS0_4arch9wavefront6targetE1EEEvSK_.has_dyn_sized_stack, or(0, .L_ZN7rocprim17ROCPRIM_400000_NS6detail26segmented_warp_sort_helperINS1_20WarpSortHelperConfigILj16ELj8ELj256EEEdlLi256ELb0EvE4sortIPKdPdPKlPlEEvT_T0_T1_T2_jjjjRNS5_12storage_typeE.has_dyn_sized_stack)
	.set _ZN7rocprim17ROCPRIM_400000_NS6detail17trampoline_kernelINS0_14default_configENS1_36segmented_radix_sort_config_selectorIdlEEZNS1_25segmented_radix_sort_implIS3_Lb0EPKdPdPKlPlN2at6native12_GLOBAL__N_18offset_tEEE10hipError_tPvRmT1_PNSt15iterator_traitsISK_E10value_typeET2_T3_PNSL_ISQ_E10value_typeET4_jRbjT5_SW_jjP12ihipStream_tbEUlT_E0_NS1_11comp_targetILNS1_3genE2ELNS1_11target_archE906ELNS1_3gpuE6ELNS1_3repE0EEENS1_60segmented_radix_sort_warp_sort_medium_config_static_selectorELNS0_4arch9wavefront6targetE1EEEvSK_.has_recursion, or(0, .L_ZN7rocprim17ROCPRIM_400000_NS6detail26segmented_warp_sort_helperINS1_20WarpSortHelperConfigILj16ELj8ELj256EEEdlLi256ELb0EvE4sortIPKdPdPKlPlEEvT_T0_T1_T2_jjjjRNS5_12storage_typeE.has_recursion)
	.set _ZN7rocprim17ROCPRIM_400000_NS6detail17trampoline_kernelINS0_14default_configENS1_36segmented_radix_sort_config_selectorIdlEEZNS1_25segmented_radix_sort_implIS3_Lb0EPKdPdPKlPlN2at6native12_GLOBAL__N_18offset_tEEE10hipError_tPvRmT1_PNSt15iterator_traitsISK_E10value_typeET2_T3_PNSL_ISQ_E10value_typeET4_jRbjT5_SW_jjP12ihipStream_tbEUlT_E0_NS1_11comp_targetILNS1_3genE2ELNS1_11target_archE906ELNS1_3gpuE6ELNS1_3repE0EEENS1_60segmented_radix_sort_warp_sort_medium_config_static_selectorELNS0_4arch9wavefront6targetE1EEEvSK_.has_indirect_call, or(0, .L_ZN7rocprim17ROCPRIM_400000_NS6detail26segmented_warp_sort_helperINS1_20WarpSortHelperConfigILj16ELj8ELj256EEEdlLi256ELb0EvE4sortIPKdPdPKlPlEEvT_T0_T1_T2_jjjjRNS5_12storage_typeE.has_indirect_call)
	.section	.AMDGPU.csdata,"",@progbits
; Kernel info:
; codeLenInByte = 460
; TotalNumSgprs: 64
; NumVgprs: 99
; ScratchSize: 0
; MemoryBound: 0
; FloatMode: 240
; IeeeMode: 1
; LDSByteSize: 32768 bytes/workgroup (compile time only)
; SGPRBlocks: 12
; VGPRBlocks: 24
; NumSGPRsForWavesPerEU: 102
; NumVGPRsForWavesPerEU: 99
; Occupancy: 2
; WaveLimiterHint : 0
; COMPUTE_PGM_RSRC2:SCRATCH_EN: 0
; COMPUTE_PGM_RSRC2:USER_SGPR: 6
; COMPUTE_PGM_RSRC2:TRAP_HANDLER: 0
; COMPUTE_PGM_RSRC2:TGID_X_EN: 1
; COMPUTE_PGM_RSRC2:TGID_Y_EN: 1
; COMPUTE_PGM_RSRC2:TGID_Z_EN: 0
; COMPUTE_PGM_RSRC2:TIDIG_COMP_CNT: 2
	.section	.text._ZN7rocprim17ROCPRIM_400000_NS6detail17trampoline_kernelINS0_14default_configENS1_36segmented_radix_sort_config_selectorIdlEEZNS1_25segmented_radix_sort_implIS3_Lb0EPKdPdPKlPlN2at6native12_GLOBAL__N_18offset_tEEE10hipError_tPvRmT1_PNSt15iterator_traitsISK_E10value_typeET2_T3_PNSL_ISQ_E10value_typeET4_jRbjT5_SW_jjP12ihipStream_tbEUlT_E0_NS1_11comp_targetILNS1_3genE10ELNS1_11target_archE1201ELNS1_3gpuE5ELNS1_3repE0EEENS1_60segmented_radix_sort_warp_sort_medium_config_static_selectorELNS0_4arch9wavefront6targetE1EEEvSK_,"axG",@progbits,_ZN7rocprim17ROCPRIM_400000_NS6detail17trampoline_kernelINS0_14default_configENS1_36segmented_radix_sort_config_selectorIdlEEZNS1_25segmented_radix_sort_implIS3_Lb0EPKdPdPKlPlN2at6native12_GLOBAL__N_18offset_tEEE10hipError_tPvRmT1_PNSt15iterator_traitsISK_E10value_typeET2_T3_PNSL_ISQ_E10value_typeET4_jRbjT5_SW_jjP12ihipStream_tbEUlT_E0_NS1_11comp_targetILNS1_3genE10ELNS1_11target_archE1201ELNS1_3gpuE5ELNS1_3repE0EEENS1_60segmented_radix_sort_warp_sort_medium_config_static_selectorELNS0_4arch9wavefront6targetE1EEEvSK_,comdat
	.globl	_ZN7rocprim17ROCPRIM_400000_NS6detail17trampoline_kernelINS0_14default_configENS1_36segmented_radix_sort_config_selectorIdlEEZNS1_25segmented_radix_sort_implIS3_Lb0EPKdPdPKlPlN2at6native12_GLOBAL__N_18offset_tEEE10hipError_tPvRmT1_PNSt15iterator_traitsISK_E10value_typeET2_T3_PNSL_ISQ_E10value_typeET4_jRbjT5_SW_jjP12ihipStream_tbEUlT_E0_NS1_11comp_targetILNS1_3genE10ELNS1_11target_archE1201ELNS1_3gpuE5ELNS1_3repE0EEENS1_60segmented_radix_sort_warp_sort_medium_config_static_selectorELNS0_4arch9wavefront6targetE1EEEvSK_ ; -- Begin function _ZN7rocprim17ROCPRIM_400000_NS6detail17trampoline_kernelINS0_14default_configENS1_36segmented_radix_sort_config_selectorIdlEEZNS1_25segmented_radix_sort_implIS3_Lb0EPKdPdPKlPlN2at6native12_GLOBAL__N_18offset_tEEE10hipError_tPvRmT1_PNSt15iterator_traitsISK_E10value_typeET2_T3_PNSL_ISQ_E10value_typeET4_jRbjT5_SW_jjP12ihipStream_tbEUlT_E0_NS1_11comp_targetILNS1_3genE10ELNS1_11target_archE1201ELNS1_3gpuE5ELNS1_3repE0EEENS1_60segmented_radix_sort_warp_sort_medium_config_static_selectorELNS0_4arch9wavefront6targetE1EEEvSK_
	.p2align	8
	.type	_ZN7rocprim17ROCPRIM_400000_NS6detail17trampoline_kernelINS0_14default_configENS1_36segmented_radix_sort_config_selectorIdlEEZNS1_25segmented_radix_sort_implIS3_Lb0EPKdPdPKlPlN2at6native12_GLOBAL__N_18offset_tEEE10hipError_tPvRmT1_PNSt15iterator_traitsISK_E10value_typeET2_T3_PNSL_ISQ_E10value_typeET4_jRbjT5_SW_jjP12ihipStream_tbEUlT_E0_NS1_11comp_targetILNS1_3genE10ELNS1_11target_archE1201ELNS1_3gpuE5ELNS1_3repE0EEENS1_60segmented_radix_sort_warp_sort_medium_config_static_selectorELNS0_4arch9wavefront6targetE1EEEvSK_,@function
_ZN7rocprim17ROCPRIM_400000_NS6detail17trampoline_kernelINS0_14default_configENS1_36segmented_radix_sort_config_selectorIdlEEZNS1_25segmented_radix_sort_implIS3_Lb0EPKdPdPKlPlN2at6native12_GLOBAL__N_18offset_tEEE10hipError_tPvRmT1_PNSt15iterator_traitsISK_E10value_typeET2_T3_PNSL_ISQ_E10value_typeET4_jRbjT5_SW_jjP12ihipStream_tbEUlT_E0_NS1_11comp_targetILNS1_3genE10ELNS1_11target_archE1201ELNS1_3gpuE5ELNS1_3repE0EEENS1_60segmented_radix_sort_warp_sort_medium_config_static_selectorELNS0_4arch9wavefront6targetE1EEEvSK_: ; @_ZN7rocprim17ROCPRIM_400000_NS6detail17trampoline_kernelINS0_14default_configENS1_36segmented_radix_sort_config_selectorIdlEEZNS1_25segmented_radix_sort_implIS3_Lb0EPKdPdPKlPlN2at6native12_GLOBAL__N_18offset_tEEE10hipError_tPvRmT1_PNSt15iterator_traitsISK_E10value_typeET2_T3_PNSL_ISQ_E10value_typeET4_jRbjT5_SW_jjP12ihipStream_tbEUlT_E0_NS1_11comp_targetILNS1_3genE10ELNS1_11target_archE1201ELNS1_3gpuE5ELNS1_3repE0EEENS1_60segmented_radix_sort_warp_sort_medium_config_static_selectorELNS0_4arch9wavefront6targetE1EEEvSK_
; %bb.0:
	.section	.rodata,"a",@progbits
	.p2align	6, 0x0
	.amdhsa_kernel _ZN7rocprim17ROCPRIM_400000_NS6detail17trampoline_kernelINS0_14default_configENS1_36segmented_radix_sort_config_selectorIdlEEZNS1_25segmented_radix_sort_implIS3_Lb0EPKdPdPKlPlN2at6native12_GLOBAL__N_18offset_tEEE10hipError_tPvRmT1_PNSt15iterator_traitsISK_E10value_typeET2_T3_PNSL_ISQ_E10value_typeET4_jRbjT5_SW_jjP12ihipStream_tbEUlT_E0_NS1_11comp_targetILNS1_3genE10ELNS1_11target_archE1201ELNS1_3gpuE5ELNS1_3repE0EEENS1_60segmented_radix_sort_warp_sort_medium_config_static_selectorELNS0_4arch9wavefront6targetE1EEEvSK_
		.amdhsa_group_segment_fixed_size 0
		.amdhsa_private_segment_fixed_size 0
		.amdhsa_kernarg_size 88
		.amdhsa_user_sgpr_count 6
		.amdhsa_user_sgpr_private_segment_buffer 1
		.amdhsa_user_sgpr_dispatch_ptr 0
		.amdhsa_user_sgpr_queue_ptr 0
		.amdhsa_user_sgpr_kernarg_segment_ptr 1
		.amdhsa_user_sgpr_dispatch_id 0
		.amdhsa_user_sgpr_flat_scratch_init 0
		.amdhsa_user_sgpr_private_segment_size 0
		.amdhsa_uses_dynamic_stack 0
		.amdhsa_system_sgpr_private_segment_wavefront_offset 0
		.amdhsa_system_sgpr_workgroup_id_x 1
		.amdhsa_system_sgpr_workgroup_id_y 0
		.amdhsa_system_sgpr_workgroup_id_z 0
		.amdhsa_system_sgpr_workgroup_info 0
		.amdhsa_system_vgpr_workitem_id 0
		.amdhsa_next_free_vgpr 1
		.amdhsa_next_free_sgpr 0
		.amdhsa_reserve_vcc 0
		.amdhsa_reserve_flat_scratch 0
		.amdhsa_float_round_mode_32 0
		.amdhsa_float_round_mode_16_64 0
		.amdhsa_float_denorm_mode_32 3
		.amdhsa_float_denorm_mode_16_64 3
		.amdhsa_dx10_clamp 1
		.amdhsa_ieee_mode 1
		.amdhsa_fp16_overflow 0
		.amdhsa_exception_fp_ieee_invalid_op 0
		.amdhsa_exception_fp_denorm_src 0
		.amdhsa_exception_fp_ieee_div_zero 0
		.amdhsa_exception_fp_ieee_overflow 0
		.amdhsa_exception_fp_ieee_underflow 0
		.amdhsa_exception_fp_ieee_inexact 0
		.amdhsa_exception_int_div_zero 0
	.end_amdhsa_kernel
	.section	.text._ZN7rocprim17ROCPRIM_400000_NS6detail17trampoline_kernelINS0_14default_configENS1_36segmented_radix_sort_config_selectorIdlEEZNS1_25segmented_radix_sort_implIS3_Lb0EPKdPdPKlPlN2at6native12_GLOBAL__N_18offset_tEEE10hipError_tPvRmT1_PNSt15iterator_traitsISK_E10value_typeET2_T3_PNSL_ISQ_E10value_typeET4_jRbjT5_SW_jjP12ihipStream_tbEUlT_E0_NS1_11comp_targetILNS1_3genE10ELNS1_11target_archE1201ELNS1_3gpuE5ELNS1_3repE0EEENS1_60segmented_radix_sort_warp_sort_medium_config_static_selectorELNS0_4arch9wavefront6targetE1EEEvSK_,"axG",@progbits,_ZN7rocprim17ROCPRIM_400000_NS6detail17trampoline_kernelINS0_14default_configENS1_36segmented_radix_sort_config_selectorIdlEEZNS1_25segmented_radix_sort_implIS3_Lb0EPKdPdPKlPlN2at6native12_GLOBAL__N_18offset_tEEE10hipError_tPvRmT1_PNSt15iterator_traitsISK_E10value_typeET2_T3_PNSL_ISQ_E10value_typeET4_jRbjT5_SW_jjP12ihipStream_tbEUlT_E0_NS1_11comp_targetILNS1_3genE10ELNS1_11target_archE1201ELNS1_3gpuE5ELNS1_3repE0EEENS1_60segmented_radix_sort_warp_sort_medium_config_static_selectorELNS0_4arch9wavefront6targetE1EEEvSK_,comdat
.Lfunc_end1237:
	.size	_ZN7rocprim17ROCPRIM_400000_NS6detail17trampoline_kernelINS0_14default_configENS1_36segmented_radix_sort_config_selectorIdlEEZNS1_25segmented_radix_sort_implIS3_Lb0EPKdPdPKlPlN2at6native12_GLOBAL__N_18offset_tEEE10hipError_tPvRmT1_PNSt15iterator_traitsISK_E10value_typeET2_T3_PNSL_ISQ_E10value_typeET4_jRbjT5_SW_jjP12ihipStream_tbEUlT_E0_NS1_11comp_targetILNS1_3genE10ELNS1_11target_archE1201ELNS1_3gpuE5ELNS1_3repE0EEENS1_60segmented_radix_sort_warp_sort_medium_config_static_selectorELNS0_4arch9wavefront6targetE1EEEvSK_, .Lfunc_end1237-_ZN7rocprim17ROCPRIM_400000_NS6detail17trampoline_kernelINS0_14default_configENS1_36segmented_radix_sort_config_selectorIdlEEZNS1_25segmented_radix_sort_implIS3_Lb0EPKdPdPKlPlN2at6native12_GLOBAL__N_18offset_tEEE10hipError_tPvRmT1_PNSt15iterator_traitsISK_E10value_typeET2_T3_PNSL_ISQ_E10value_typeET4_jRbjT5_SW_jjP12ihipStream_tbEUlT_E0_NS1_11comp_targetILNS1_3genE10ELNS1_11target_archE1201ELNS1_3gpuE5ELNS1_3repE0EEENS1_60segmented_radix_sort_warp_sort_medium_config_static_selectorELNS0_4arch9wavefront6targetE1EEEvSK_
                                        ; -- End function
	.set _ZN7rocprim17ROCPRIM_400000_NS6detail17trampoline_kernelINS0_14default_configENS1_36segmented_radix_sort_config_selectorIdlEEZNS1_25segmented_radix_sort_implIS3_Lb0EPKdPdPKlPlN2at6native12_GLOBAL__N_18offset_tEEE10hipError_tPvRmT1_PNSt15iterator_traitsISK_E10value_typeET2_T3_PNSL_ISQ_E10value_typeET4_jRbjT5_SW_jjP12ihipStream_tbEUlT_E0_NS1_11comp_targetILNS1_3genE10ELNS1_11target_archE1201ELNS1_3gpuE5ELNS1_3repE0EEENS1_60segmented_radix_sort_warp_sort_medium_config_static_selectorELNS0_4arch9wavefront6targetE1EEEvSK_.num_vgpr, 0
	.set _ZN7rocprim17ROCPRIM_400000_NS6detail17trampoline_kernelINS0_14default_configENS1_36segmented_radix_sort_config_selectorIdlEEZNS1_25segmented_radix_sort_implIS3_Lb0EPKdPdPKlPlN2at6native12_GLOBAL__N_18offset_tEEE10hipError_tPvRmT1_PNSt15iterator_traitsISK_E10value_typeET2_T3_PNSL_ISQ_E10value_typeET4_jRbjT5_SW_jjP12ihipStream_tbEUlT_E0_NS1_11comp_targetILNS1_3genE10ELNS1_11target_archE1201ELNS1_3gpuE5ELNS1_3repE0EEENS1_60segmented_radix_sort_warp_sort_medium_config_static_selectorELNS0_4arch9wavefront6targetE1EEEvSK_.num_agpr, 0
	.set _ZN7rocprim17ROCPRIM_400000_NS6detail17trampoline_kernelINS0_14default_configENS1_36segmented_radix_sort_config_selectorIdlEEZNS1_25segmented_radix_sort_implIS3_Lb0EPKdPdPKlPlN2at6native12_GLOBAL__N_18offset_tEEE10hipError_tPvRmT1_PNSt15iterator_traitsISK_E10value_typeET2_T3_PNSL_ISQ_E10value_typeET4_jRbjT5_SW_jjP12ihipStream_tbEUlT_E0_NS1_11comp_targetILNS1_3genE10ELNS1_11target_archE1201ELNS1_3gpuE5ELNS1_3repE0EEENS1_60segmented_radix_sort_warp_sort_medium_config_static_selectorELNS0_4arch9wavefront6targetE1EEEvSK_.numbered_sgpr, 0
	.set _ZN7rocprim17ROCPRIM_400000_NS6detail17trampoline_kernelINS0_14default_configENS1_36segmented_radix_sort_config_selectorIdlEEZNS1_25segmented_radix_sort_implIS3_Lb0EPKdPdPKlPlN2at6native12_GLOBAL__N_18offset_tEEE10hipError_tPvRmT1_PNSt15iterator_traitsISK_E10value_typeET2_T3_PNSL_ISQ_E10value_typeET4_jRbjT5_SW_jjP12ihipStream_tbEUlT_E0_NS1_11comp_targetILNS1_3genE10ELNS1_11target_archE1201ELNS1_3gpuE5ELNS1_3repE0EEENS1_60segmented_radix_sort_warp_sort_medium_config_static_selectorELNS0_4arch9wavefront6targetE1EEEvSK_.num_named_barrier, 0
	.set _ZN7rocprim17ROCPRIM_400000_NS6detail17trampoline_kernelINS0_14default_configENS1_36segmented_radix_sort_config_selectorIdlEEZNS1_25segmented_radix_sort_implIS3_Lb0EPKdPdPKlPlN2at6native12_GLOBAL__N_18offset_tEEE10hipError_tPvRmT1_PNSt15iterator_traitsISK_E10value_typeET2_T3_PNSL_ISQ_E10value_typeET4_jRbjT5_SW_jjP12ihipStream_tbEUlT_E0_NS1_11comp_targetILNS1_3genE10ELNS1_11target_archE1201ELNS1_3gpuE5ELNS1_3repE0EEENS1_60segmented_radix_sort_warp_sort_medium_config_static_selectorELNS0_4arch9wavefront6targetE1EEEvSK_.private_seg_size, 0
	.set _ZN7rocprim17ROCPRIM_400000_NS6detail17trampoline_kernelINS0_14default_configENS1_36segmented_radix_sort_config_selectorIdlEEZNS1_25segmented_radix_sort_implIS3_Lb0EPKdPdPKlPlN2at6native12_GLOBAL__N_18offset_tEEE10hipError_tPvRmT1_PNSt15iterator_traitsISK_E10value_typeET2_T3_PNSL_ISQ_E10value_typeET4_jRbjT5_SW_jjP12ihipStream_tbEUlT_E0_NS1_11comp_targetILNS1_3genE10ELNS1_11target_archE1201ELNS1_3gpuE5ELNS1_3repE0EEENS1_60segmented_radix_sort_warp_sort_medium_config_static_selectorELNS0_4arch9wavefront6targetE1EEEvSK_.uses_vcc, 0
	.set _ZN7rocprim17ROCPRIM_400000_NS6detail17trampoline_kernelINS0_14default_configENS1_36segmented_radix_sort_config_selectorIdlEEZNS1_25segmented_radix_sort_implIS3_Lb0EPKdPdPKlPlN2at6native12_GLOBAL__N_18offset_tEEE10hipError_tPvRmT1_PNSt15iterator_traitsISK_E10value_typeET2_T3_PNSL_ISQ_E10value_typeET4_jRbjT5_SW_jjP12ihipStream_tbEUlT_E0_NS1_11comp_targetILNS1_3genE10ELNS1_11target_archE1201ELNS1_3gpuE5ELNS1_3repE0EEENS1_60segmented_radix_sort_warp_sort_medium_config_static_selectorELNS0_4arch9wavefront6targetE1EEEvSK_.uses_flat_scratch, 0
	.set _ZN7rocprim17ROCPRIM_400000_NS6detail17trampoline_kernelINS0_14default_configENS1_36segmented_radix_sort_config_selectorIdlEEZNS1_25segmented_radix_sort_implIS3_Lb0EPKdPdPKlPlN2at6native12_GLOBAL__N_18offset_tEEE10hipError_tPvRmT1_PNSt15iterator_traitsISK_E10value_typeET2_T3_PNSL_ISQ_E10value_typeET4_jRbjT5_SW_jjP12ihipStream_tbEUlT_E0_NS1_11comp_targetILNS1_3genE10ELNS1_11target_archE1201ELNS1_3gpuE5ELNS1_3repE0EEENS1_60segmented_radix_sort_warp_sort_medium_config_static_selectorELNS0_4arch9wavefront6targetE1EEEvSK_.has_dyn_sized_stack, 0
	.set _ZN7rocprim17ROCPRIM_400000_NS6detail17trampoline_kernelINS0_14default_configENS1_36segmented_radix_sort_config_selectorIdlEEZNS1_25segmented_radix_sort_implIS3_Lb0EPKdPdPKlPlN2at6native12_GLOBAL__N_18offset_tEEE10hipError_tPvRmT1_PNSt15iterator_traitsISK_E10value_typeET2_T3_PNSL_ISQ_E10value_typeET4_jRbjT5_SW_jjP12ihipStream_tbEUlT_E0_NS1_11comp_targetILNS1_3genE10ELNS1_11target_archE1201ELNS1_3gpuE5ELNS1_3repE0EEENS1_60segmented_radix_sort_warp_sort_medium_config_static_selectorELNS0_4arch9wavefront6targetE1EEEvSK_.has_recursion, 0
	.set _ZN7rocprim17ROCPRIM_400000_NS6detail17trampoline_kernelINS0_14default_configENS1_36segmented_radix_sort_config_selectorIdlEEZNS1_25segmented_radix_sort_implIS3_Lb0EPKdPdPKlPlN2at6native12_GLOBAL__N_18offset_tEEE10hipError_tPvRmT1_PNSt15iterator_traitsISK_E10value_typeET2_T3_PNSL_ISQ_E10value_typeET4_jRbjT5_SW_jjP12ihipStream_tbEUlT_E0_NS1_11comp_targetILNS1_3genE10ELNS1_11target_archE1201ELNS1_3gpuE5ELNS1_3repE0EEENS1_60segmented_radix_sort_warp_sort_medium_config_static_selectorELNS0_4arch9wavefront6targetE1EEEvSK_.has_indirect_call, 0
	.section	.AMDGPU.csdata,"",@progbits
; Kernel info:
; codeLenInByte = 0
; TotalNumSgprs: 4
; NumVgprs: 0
; ScratchSize: 0
; MemoryBound: 0
; FloatMode: 240
; IeeeMode: 1
; LDSByteSize: 0 bytes/workgroup (compile time only)
; SGPRBlocks: 0
; VGPRBlocks: 0
; NumSGPRsForWavesPerEU: 4
; NumVGPRsForWavesPerEU: 1
; Occupancy: 10
; WaveLimiterHint : 0
; COMPUTE_PGM_RSRC2:SCRATCH_EN: 0
; COMPUTE_PGM_RSRC2:USER_SGPR: 6
; COMPUTE_PGM_RSRC2:TRAP_HANDLER: 0
; COMPUTE_PGM_RSRC2:TGID_X_EN: 1
; COMPUTE_PGM_RSRC2:TGID_Y_EN: 0
; COMPUTE_PGM_RSRC2:TGID_Z_EN: 0
; COMPUTE_PGM_RSRC2:TIDIG_COMP_CNT: 0
	.section	.text._ZN7rocprim17ROCPRIM_400000_NS6detail17trampoline_kernelINS0_14default_configENS1_36segmented_radix_sort_config_selectorIdlEEZNS1_25segmented_radix_sort_implIS3_Lb0EPKdPdPKlPlN2at6native12_GLOBAL__N_18offset_tEEE10hipError_tPvRmT1_PNSt15iterator_traitsISK_E10value_typeET2_T3_PNSL_ISQ_E10value_typeET4_jRbjT5_SW_jjP12ihipStream_tbEUlT_E0_NS1_11comp_targetILNS1_3genE10ELNS1_11target_archE1200ELNS1_3gpuE4ELNS1_3repE0EEENS1_60segmented_radix_sort_warp_sort_medium_config_static_selectorELNS0_4arch9wavefront6targetE1EEEvSK_,"axG",@progbits,_ZN7rocprim17ROCPRIM_400000_NS6detail17trampoline_kernelINS0_14default_configENS1_36segmented_radix_sort_config_selectorIdlEEZNS1_25segmented_radix_sort_implIS3_Lb0EPKdPdPKlPlN2at6native12_GLOBAL__N_18offset_tEEE10hipError_tPvRmT1_PNSt15iterator_traitsISK_E10value_typeET2_T3_PNSL_ISQ_E10value_typeET4_jRbjT5_SW_jjP12ihipStream_tbEUlT_E0_NS1_11comp_targetILNS1_3genE10ELNS1_11target_archE1200ELNS1_3gpuE4ELNS1_3repE0EEENS1_60segmented_radix_sort_warp_sort_medium_config_static_selectorELNS0_4arch9wavefront6targetE1EEEvSK_,comdat
	.globl	_ZN7rocprim17ROCPRIM_400000_NS6detail17trampoline_kernelINS0_14default_configENS1_36segmented_radix_sort_config_selectorIdlEEZNS1_25segmented_radix_sort_implIS3_Lb0EPKdPdPKlPlN2at6native12_GLOBAL__N_18offset_tEEE10hipError_tPvRmT1_PNSt15iterator_traitsISK_E10value_typeET2_T3_PNSL_ISQ_E10value_typeET4_jRbjT5_SW_jjP12ihipStream_tbEUlT_E0_NS1_11comp_targetILNS1_3genE10ELNS1_11target_archE1200ELNS1_3gpuE4ELNS1_3repE0EEENS1_60segmented_radix_sort_warp_sort_medium_config_static_selectorELNS0_4arch9wavefront6targetE1EEEvSK_ ; -- Begin function _ZN7rocprim17ROCPRIM_400000_NS6detail17trampoline_kernelINS0_14default_configENS1_36segmented_radix_sort_config_selectorIdlEEZNS1_25segmented_radix_sort_implIS3_Lb0EPKdPdPKlPlN2at6native12_GLOBAL__N_18offset_tEEE10hipError_tPvRmT1_PNSt15iterator_traitsISK_E10value_typeET2_T3_PNSL_ISQ_E10value_typeET4_jRbjT5_SW_jjP12ihipStream_tbEUlT_E0_NS1_11comp_targetILNS1_3genE10ELNS1_11target_archE1200ELNS1_3gpuE4ELNS1_3repE0EEENS1_60segmented_radix_sort_warp_sort_medium_config_static_selectorELNS0_4arch9wavefront6targetE1EEEvSK_
	.p2align	8
	.type	_ZN7rocprim17ROCPRIM_400000_NS6detail17trampoline_kernelINS0_14default_configENS1_36segmented_radix_sort_config_selectorIdlEEZNS1_25segmented_radix_sort_implIS3_Lb0EPKdPdPKlPlN2at6native12_GLOBAL__N_18offset_tEEE10hipError_tPvRmT1_PNSt15iterator_traitsISK_E10value_typeET2_T3_PNSL_ISQ_E10value_typeET4_jRbjT5_SW_jjP12ihipStream_tbEUlT_E0_NS1_11comp_targetILNS1_3genE10ELNS1_11target_archE1200ELNS1_3gpuE4ELNS1_3repE0EEENS1_60segmented_radix_sort_warp_sort_medium_config_static_selectorELNS0_4arch9wavefront6targetE1EEEvSK_,@function
_ZN7rocprim17ROCPRIM_400000_NS6detail17trampoline_kernelINS0_14default_configENS1_36segmented_radix_sort_config_selectorIdlEEZNS1_25segmented_radix_sort_implIS3_Lb0EPKdPdPKlPlN2at6native12_GLOBAL__N_18offset_tEEE10hipError_tPvRmT1_PNSt15iterator_traitsISK_E10value_typeET2_T3_PNSL_ISQ_E10value_typeET4_jRbjT5_SW_jjP12ihipStream_tbEUlT_E0_NS1_11comp_targetILNS1_3genE10ELNS1_11target_archE1200ELNS1_3gpuE4ELNS1_3repE0EEENS1_60segmented_radix_sort_warp_sort_medium_config_static_selectorELNS0_4arch9wavefront6targetE1EEEvSK_: ; @_ZN7rocprim17ROCPRIM_400000_NS6detail17trampoline_kernelINS0_14default_configENS1_36segmented_radix_sort_config_selectorIdlEEZNS1_25segmented_radix_sort_implIS3_Lb0EPKdPdPKlPlN2at6native12_GLOBAL__N_18offset_tEEE10hipError_tPvRmT1_PNSt15iterator_traitsISK_E10value_typeET2_T3_PNSL_ISQ_E10value_typeET4_jRbjT5_SW_jjP12ihipStream_tbEUlT_E0_NS1_11comp_targetILNS1_3genE10ELNS1_11target_archE1200ELNS1_3gpuE4ELNS1_3repE0EEENS1_60segmented_radix_sort_warp_sort_medium_config_static_selectorELNS0_4arch9wavefront6targetE1EEEvSK_
; %bb.0:
	.section	.rodata,"a",@progbits
	.p2align	6, 0x0
	.amdhsa_kernel _ZN7rocprim17ROCPRIM_400000_NS6detail17trampoline_kernelINS0_14default_configENS1_36segmented_radix_sort_config_selectorIdlEEZNS1_25segmented_radix_sort_implIS3_Lb0EPKdPdPKlPlN2at6native12_GLOBAL__N_18offset_tEEE10hipError_tPvRmT1_PNSt15iterator_traitsISK_E10value_typeET2_T3_PNSL_ISQ_E10value_typeET4_jRbjT5_SW_jjP12ihipStream_tbEUlT_E0_NS1_11comp_targetILNS1_3genE10ELNS1_11target_archE1200ELNS1_3gpuE4ELNS1_3repE0EEENS1_60segmented_radix_sort_warp_sort_medium_config_static_selectorELNS0_4arch9wavefront6targetE1EEEvSK_
		.amdhsa_group_segment_fixed_size 0
		.amdhsa_private_segment_fixed_size 0
		.amdhsa_kernarg_size 88
		.amdhsa_user_sgpr_count 6
		.amdhsa_user_sgpr_private_segment_buffer 1
		.amdhsa_user_sgpr_dispatch_ptr 0
		.amdhsa_user_sgpr_queue_ptr 0
		.amdhsa_user_sgpr_kernarg_segment_ptr 1
		.amdhsa_user_sgpr_dispatch_id 0
		.amdhsa_user_sgpr_flat_scratch_init 0
		.amdhsa_user_sgpr_private_segment_size 0
		.amdhsa_uses_dynamic_stack 0
		.amdhsa_system_sgpr_private_segment_wavefront_offset 0
		.amdhsa_system_sgpr_workgroup_id_x 1
		.amdhsa_system_sgpr_workgroup_id_y 0
		.amdhsa_system_sgpr_workgroup_id_z 0
		.amdhsa_system_sgpr_workgroup_info 0
		.amdhsa_system_vgpr_workitem_id 0
		.amdhsa_next_free_vgpr 1
		.amdhsa_next_free_sgpr 0
		.amdhsa_reserve_vcc 0
		.amdhsa_reserve_flat_scratch 0
		.amdhsa_float_round_mode_32 0
		.amdhsa_float_round_mode_16_64 0
		.amdhsa_float_denorm_mode_32 3
		.amdhsa_float_denorm_mode_16_64 3
		.amdhsa_dx10_clamp 1
		.amdhsa_ieee_mode 1
		.amdhsa_fp16_overflow 0
		.amdhsa_exception_fp_ieee_invalid_op 0
		.amdhsa_exception_fp_denorm_src 0
		.amdhsa_exception_fp_ieee_div_zero 0
		.amdhsa_exception_fp_ieee_overflow 0
		.amdhsa_exception_fp_ieee_underflow 0
		.amdhsa_exception_fp_ieee_inexact 0
		.amdhsa_exception_int_div_zero 0
	.end_amdhsa_kernel
	.section	.text._ZN7rocprim17ROCPRIM_400000_NS6detail17trampoline_kernelINS0_14default_configENS1_36segmented_radix_sort_config_selectorIdlEEZNS1_25segmented_radix_sort_implIS3_Lb0EPKdPdPKlPlN2at6native12_GLOBAL__N_18offset_tEEE10hipError_tPvRmT1_PNSt15iterator_traitsISK_E10value_typeET2_T3_PNSL_ISQ_E10value_typeET4_jRbjT5_SW_jjP12ihipStream_tbEUlT_E0_NS1_11comp_targetILNS1_3genE10ELNS1_11target_archE1200ELNS1_3gpuE4ELNS1_3repE0EEENS1_60segmented_radix_sort_warp_sort_medium_config_static_selectorELNS0_4arch9wavefront6targetE1EEEvSK_,"axG",@progbits,_ZN7rocprim17ROCPRIM_400000_NS6detail17trampoline_kernelINS0_14default_configENS1_36segmented_radix_sort_config_selectorIdlEEZNS1_25segmented_radix_sort_implIS3_Lb0EPKdPdPKlPlN2at6native12_GLOBAL__N_18offset_tEEE10hipError_tPvRmT1_PNSt15iterator_traitsISK_E10value_typeET2_T3_PNSL_ISQ_E10value_typeET4_jRbjT5_SW_jjP12ihipStream_tbEUlT_E0_NS1_11comp_targetILNS1_3genE10ELNS1_11target_archE1200ELNS1_3gpuE4ELNS1_3repE0EEENS1_60segmented_radix_sort_warp_sort_medium_config_static_selectorELNS0_4arch9wavefront6targetE1EEEvSK_,comdat
.Lfunc_end1238:
	.size	_ZN7rocprim17ROCPRIM_400000_NS6detail17trampoline_kernelINS0_14default_configENS1_36segmented_radix_sort_config_selectorIdlEEZNS1_25segmented_radix_sort_implIS3_Lb0EPKdPdPKlPlN2at6native12_GLOBAL__N_18offset_tEEE10hipError_tPvRmT1_PNSt15iterator_traitsISK_E10value_typeET2_T3_PNSL_ISQ_E10value_typeET4_jRbjT5_SW_jjP12ihipStream_tbEUlT_E0_NS1_11comp_targetILNS1_3genE10ELNS1_11target_archE1200ELNS1_3gpuE4ELNS1_3repE0EEENS1_60segmented_radix_sort_warp_sort_medium_config_static_selectorELNS0_4arch9wavefront6targetE1EEEvSK_, .Lfunc_end1238-_ZN7rocprim17ROCPRIM_400000_NS6detail17trampoline_kernelINS0_14default_configENS1_36segmented_radix_sort_config_selectorIdlEEZNS1_25segmented_radix_sort_implIS3_Lb0EPKdPdPKlPlN2at6native12_GLOBAL__N_18offset_tEEE10hipError_tPvRmT1_PNSt15iterator_traitsISK_E10value_typeET2_T3_PNSL_ISQ_E10value_typeET4_jRbjT5_SW_jjP12ihipStream_tbEUlT_E0_NS1_11comp_targetILNS1_3genE10ELNS1_11target_archE1200ELNS1_3gpuE4ELNS1_3repE0EEENS1_60segmented_radix_sort_warp_sort_medium_config_static_selectorELNS0_4arch9wavefront6targetE1EEEvSK_
                                        ; -- End function
	.set _ZN7rocprim17ROCPRIM_400000_NS6detail17trampoline_kernelINS0_14default_configENS1_36segmented_radix_sort_config_selectorIdlEEZNS1_25segmented_radix_sort_implIS3_Lb0EPKdPdPKlPlN2at6native12_GLOBAL__N_18offset_tEEE10hipError_tPvRmT1_PNSt15iterator_traitsISK_E10value_typeET2_T3_PNSL_ISQ_E10value_typeET4_jRbjT5_SW_jjP12ihipStream_tbEUlT_E0_NS1_11comp_targetILNS1_3genE10ELNS1_11target_archE1200ELNS1_3gpuE4ELNS1_3repE0EEENS1_60segmented_radix_sort_warp_sort_medium_config_static_selectorELNS0_4arch9wavefront6targetE1EEEvSK_.num_vgpr, 0
	.set _ZN7rocprim17ROCPRIM_400000_NS6detail17trampoline_kernelINS0_14default_configENS1_36segmented_radix_sort_config_selectorIdlEEZNS1_25segmented_radix_sort_implIS3_Lb0EPKdPdPKlPlN2at6native12_GLOBAL__N_18offset_tEEE10hipError_tPvRmT1_PNSt15iterator_traitsISK_E10value_typeET2_T3_PNSL_ISQ_E10value_typeET4_jRbjT5_SW_jjP12ihipStream_tbEUlT_E0_NS1_11comp_targetILNS1_3genE10ELNS1_11target_archE1200ELNS1_3gpuE4ELNS1_3repE0EEENS1_60segmented_radix_sort_warp_sort_medium_config_static_selectorELNS0_4arch9wavefront6targetE1EEEvSK_.num_agpr, 0
	.set _ZN7rocprim17ROCPRIM_400000_NS6detail17trampoline_kernelINS0_14default_configENS1_36segmented_radix_sort_config_selectorIdlEEZNS1_25segmented_radix_sort_implIS3_Lb0EPKdPdPKlPlN2at6native12_GLOBAL__N_18offset_tEEE10hipError_tPvRmT1_PNSt15iterator_traitsISK_E10value_typeET2_T3_PNSL_ISQ_E10value_typeET4_jRbjT5_SW_jjP12ihipStream_tbEUlT_E0_NS1_11comp_targetILNS1_3genE10ELNS1_11target_archE1200ELNS1_3gpuE4ELNS1_3repE0EEENS1_60segmented_radix_sort_warp_sort_medium_config_static_selectorELNS0_4arch9wavefront6targetE1EEEvSK_.numbered_sgpr, 0
	.set _ZN7rocprim17ROCPRIM_400000_NS6detail17trampoline_kernelINS0_14default_configENS1_36segmented_radix_sort_config_selectorIdlEEZNS1_25segmented_radix_sort_implIS3_Lb0EPKdPdPKlPlN2at6native12_GLOBAL__N_18offset_tEEE10hipError_tPvRmT1_PNSt15iterator_traitsISK_E10value_typeET2_T3_PNSL_ISQ_E10value_typeET4_jRbjT5_SW_jjP12ihipStream_tbEUlT_E0_NS1_11comp_targetILNS1_3genE10ELNS1_11target_archE1200ELNS1_3gpuE4ELNS1_3repE0EEENS1_60segmented_radix_sort_warp_sort_medium_config_static_selectorELNS0_4arch9wavefront6targetE1EEEvSK_.num_named_barrier, 0
	.set _ZN7rocprim17ROCPRIM_400000_NS6detail17trampoline_kernelINS0_14default_configENS1_36segmented_radix_sort_config_selectorIdlEEZNS1_25segmented_radix_sort_implIS3_Lb0EPKdPdPKlPlN2at6native12_GLOBAL__N_18offset_tEEE10hipError_tPvRmT1_PNSt15iterator_traitsISK_E10value_typeET2_T3_PNSL_ISQ_E10value_typeET4_jRbjT5_SW_jjP12ihipStream_tbEUlT_E0_NS1_11comp_targetILNS1_3genE10ELNS1_11target_archE1200ELNS1_3gpuE4ELNS1_3repE0EEENS1_60segmented_radix_sort_warp_sort_medium_config_static_selectorELNS0_4arch9wavefront6targetE1EEEvSK_.private_seg_size, 0
	.set _ZN7rocprim17ROCPRIM_400000_NS6detail17trampoline_kernelINS0_14default_configENS1_36segmented_radix_sort_config_selectorIdlEEZNS1_25segmented_radix_sort_implIS3_Lb0EPKdPdPKlPlN2at6native12_GLOBAL__N_18offset_tEEE10hipError_tPvRmT1_PNSt15iterator_traitsISK_E10value_typeET2_T3_PNSL_ISQ_E10value_typeET4_jRbjT5_SW_jjP12ihipStream_tbEUlT_E0_NS1_11comp_targetILNS1_3genE10ELNS1_11target_archE1200ELNS1_3gpuE4ELNS1_3repE0EEENS1_60segmented_radix_sort_warp_sort_medium_config_static_selectorELNS0_4arch9wavefront6targetE1EEEvSK_.uses_vcc, 0
	.set _ZN7rocprim17ROCPRIM_400000_NS6detail17trampoline_kernelINS0_14default_configENS1_36segmented_radix_sort_config_selectorIdlEEZNS1_25segmented_radix_sort_implIS3_Lb0EPKdPdPKlPlN2at6native12_GLOBAL__N_18offset_tEEE10hipError_tPvRmT1_PNSt15iterator_traitsISK_E10value_typeET2_T3_PNSL_ISQ_E10value_typeET4_jRbjT5_SW_jjP12ihipStream_tbEUlT_E0_NS1_11comp_targetILNS1_3genE10ELNS1_11target_archE1200ELNS1_3gpuE4ELNS1_3repE0EEENS1_60segmented_radix_sort_warp_sort_medium_config_static_selectorELNS0_4arch9wavefront6targetE1EEEvSK_.uses_flat_scratch, 0
	.set _ZN7rocprim17ROCPRIM_400000_NS6detail17trampoline_kernelINS0_14default_configENS1_36segmented_radix_sort_config_selectorIdlEEZNS1_25segmented_radix_sort_implIS3_Lb0EPKdPdPKlPlN2at6native12_GLOBAL__N_18offset_tEEE10hipError_tPvRmT1_PNSt15iterator_traitsISK_E10value_typeET2_T3_PNSL_ISQ_E10value_typeET4_jRbjT5_SW_jjP12ihipStream_tbEUlT_E0_NS1_11comp_targetILNS1_3genE10ELNS1_11target_archE1200ELNS1_3gpuE4ELNS1_3repE0EEENS1_60segmented_radix_sort_warp_sort_medium_config_static_selectorELNS0_4arch9wavefront6targetE1EEEvSK_.has_dyn_sized_stack, 0
	.set _ZN7rocprim17ROCPRIM_400000_NS6detail17trampoline_kernelINS0_14default_configENS1_36segmented_radix_sort_config_selectorIdlEEZNS1_25segmented_radix_sort_implIS3_Lb0EPKdPdPKlPlN2at6native12_GLOBAL__N_18offset_tEEE10hipError_tPvRmT1_PNSt15iterator_traitsISK_E10value_typeET2_T3_PNSL_ISQ_E10value_typeET4_jRbjT5_SW_jjP12ihipStream_tbEUlT_E0_NS1_11comp_targetILNS1_3genE10ELNS1_11target_archE1200ELNS1_3gpuE4ELNS1_3repE0EEENS1_60segmented_radix_sort_warp_sort_medium_config_static_selectorELNS0_4arch9wavefront6targetE1EEEvSK_.has_recursion, 0
	.set _ZN7rocprim17ROCPRIM_400000_NS6detail17trampoline_kernelINS0_14default_configENS1_36segmented_radix_sort_config_selectorIdlEEZNS1_25segmented_radix_sort_implIS3_Lb0EPKdPdPKlPlN2at6native12_GLOBAL__N_18offset_tEEE10hipError_tPvRmT1_PNSt15iterator_traitsISK_E10value_typeET2_T3_PNSL_ISQ_E10value_typeET4_jRbjT5_SW_jjP12ihipStream_tbEUlT_E0_NS1_11comp_targetILNS1_3genE10ELNS1_11target_archE1200ELNS1_3gpuE4ELNS1_3repE0EEENS1_60segmented_radix_sort_warp_sort_medium_config_static_selectorELNS0_4arch9wavefront6targetE1EEEvSK_.has_indirect_call, 0
	.section	.AMDGPU.csdata,"",@progbits
; Kernel info:
; codeLenInByte = 0
; TotalNumSgprs: 4
; NumVgprs: 0
; ScratchSize: 0
; MemoryBound: 0
; FloatMode: 240
; IeeeMode: 1
; LDSByteSize: 0 bytes/workgroup (compile time only)
; SGPRBlocks: 0
; VGPRBlocks: 0
; NumSGPRsForWavesPerEU: 4
; NumVGPRsForWavesPerEU: 1
; Occupancy: 10
; WaveLimiterHint : 0
; COMPUTE_PGM_RSRC2:SCRATCH_EN: 0
; COMPUTE_PGM_RSRC2:USER_SGPR: 6
; COMPUTE_PGM_RSRC2:TRAP_HANDLER: 0
; COMPUTE_PGM_RSRC2:TGID_X_EN: 1
; COMPUTE_PGM_RSRC2:TGID_Y_EN: 0
; COMPUTE_PGM_RSRC2:TGID_Z_EN: 0
; COMPUTE_PGM_RSRC2:TIDIG_COMP_CNT: 0
	.section	.text._ZN7rocprim17ROCPRIM_400000_NS6detail17trampoline_kernelINS0_14default_configENS1_36segmented_radix_sort_config_selectorIdlEEZNS1_25segmented_radix_sort_implIS3_Lb0EPKdPdPKlPlN2at6native12_GLOBAL__N_18offset_tEEE10hipError_tPvRmT1_PNSt15iterator_traitsISK_E10value_typeET2_T3_PNSL_ISQ_E10value_typeET4_jRbjT5_SW_jjP12ihipStream_tbEUlT_E0_NS1_11comp_targetILNS1_3genE9ELNS1_11target_archE1100ELNS1_3gpuE3ELNS1_3repE0EEENS1_60segmented_radix_sort_warp_sort_medium_config_static_selectorELNS0_4arch9wavefront6targetE1EEEvSK_,"axG",@progbits,_ZN7rocprim17ROCPRIM_400000_NS6detail17trampoline_kernelINS0_14default_configENS1_36segmented_radix_sort_config_selectorIdlEEZNS1_25segmented_radix_sort_implIS3_Lb0EPKdPdPKlPlN2at6native12_GLOBAL__N_18offset_tEEE10hipError_tPvRmT1_PNSt15iterator_traitsISK_E10value_typeET2_T3_PNSL_ISQ_E10value_typeET4_jRbjT5_SW_jjP12ihipStream_tbEUlT_E0_NS1_11comp_targetILNS1_3genE9ELNS1_11target_archE1100ELNS1_3gpuE3ELNS1_3repE0EEENS1_60segmented_radix_sort_warp_sort_medium_config_static_selectorELNS0_4arch9wavefront6targetE1EEEvSK_,comdat
	.globl	_ZN7rocprim17ROCPRIM_400000_NS6detail17trampoline_kernelINS0_14default_configENS1_36segmented_radix_sort_config_selectorIdlEEZNS1_25segmented_radix_sort_implIS3_Lb0EPKdPdPKlPlN2at6native12_GLOBAL__N_18offset_tEEE10hipError_tPvRmT1_PNSt15iterator_traitsISK_E10value_typeET2_T3_PNSL_ISQ_E10value_typeET4_jRbjT5_SW_jjP12ihipStream_tbEUlT_E0_NS1_11comp_targetILNS1_3genE9ELNS1_11target_archE1100ELNS1_3gpuE3ELNS1_3repE0EEENS1_60segmented_radix_sort_warp_sort_medium_config_static_selectorELNS0_4arch9wavefront6targetE1EEEvSK_ ; -- Begin function _ZN7rocprim17ROCPRIM_400000_NS6detail17trampoline_kernelINS0_14default_configENS1_36segmented_radix_sort_config_selectorIdlEEZNS1_25segmented_radix_sort_implIS3_Lb0EPKdPdPKlPlN2at6native12_GLOBAL__N_18offset_tEEE10hipError_tPvRmT1_PNSt15iterator_traitsISK_E10value_typeET2_T3_PNSL_ISQ_E10value_typeET4_jRbjT5_SW_jjP12ihipStream_tbEUlT_E0_NS1_11comp_targetILNS1_3genE9ELNS1_11target_archE1100ELNS1_3gpuE3ELNS1_3repE0EEENS1_60segmented_radix_sort_warp_sort_medium_config_static_selectorELNS0_4arch9wavefront6targetE1EEEvSK_
	.p2align	8
	.type	_ZN7rocprim17ROCPRIM_400000_NS6detail17trampoline_kernelINS0_14default_configENS1_36segmented_radix_sort_config_selectorIdlEEZNS1_25segmented_radix_sort_implIS3_Lb0EPKdPdPKlPlN2at6native12_GLOBAL__N_18offset_tEEE10hipError_tPvRmT1_PNSt15iterator_traitsISK_E10value_typeET2_T3_PNSL_ISQ_E10value_typeET4_jRbjT5_SW_jjP12ihipStream_tbEUlT_E0_NS1_11comp_targetILNS1_3genE9ELNS1_11target_archE1100ELNS1_3gpuE3ELNS1_3repE0EEENS1_60segmented_radix_sort_warp_sort_medium_config_static_selectorELNS0_4arch9wavefront6targetE1EEEvSK_,@function
_ZN7rocprim17ROCPRIM_400000_NS6detail17trampoline_kernelINS0_14default_configENS1_36segmented_radix_sort_config_selectorIdlEEZNS1_25segmented_radix_sort_implIS3_Lb0EPKdPdPKlPlN2at6native12_GLOBAL__N_18offset_tEEE10hipError_tPvRmT1_PNSt15iterator_traitsISK_E10value_typeET2_T3_PNSL_ISQ_E10value_typeET4_jRbjT5_SW_jjP12ihipStream_tbEUlT_E0_NS1_11comp_targetILNS1_3genE9ELNS1_11target_archE1100ELNS1_3gpuE3ELNS1_3repE0EEENS1_60segmented_radix_sort_warp_sort_medium_config_static_selectorELNS0_4arch9wavefront6targetE1EEEvSK_: ; @_ZN7rocprim17ROCPRIM_400000_NS6detail17trampoline_kernelINS0_14default_configENS1_36segmented_radix_sort_config_selectorIdlEEZNS1_25segmented_radix_sort_implIS3_Lb0EPKdPdPKlPlN2at6native12_GLOBAL__N_18offset_tEEE10hipError_tPvRmT1_PNSt15iterator_traitsISK_E10value_typeET2_T3_PNSL_ISQ_E10value_typeET4_jRbjT5_SW_jjP12ihipStream_tbEUlT_E0_NS1_11comp_targetILNS1_3genE9ELNS1_11target_archE1100ELNS1_3gpuE3ELNS1_3repE0EEENS1_60segmented_radix_sort_warp_sort_medium_config_static_selectorELNS0_4arch9wavefront6targetE1EEEvSK_
; %bb.0:
	.section	.rodata,"a",@progbits
	.p2align	6, 0x0
	.amdhsa_kernel _ZN7rocprim17ROCPRIM_400000_NS6detail17trampoline_kernelINS0_14default_configENS1_36segmented_radix_sort_config_selectorIdlEEZNS1_25segmented_radix_sort_implIS3_Lb0EPKdPdPKlPlN2at6native12_GLOBAL__N_18offset_tEEE10hipError_tPvRmT1_PNSt15iterator_traitsISK_E10value_typeET2_T3_PNSL_ISQ_E10value_typeET4_jRbjT5_SW_jjP12ihipStream_tbEUlT_E0_NS1_11comp_targetILNS1_3genE9ELNS1_11target_archE1100ELNS1_3gpuE3ELNS1_3repE0EEENS1_60segmented_radix_sort_warp_sort_medium_config_static_selectorELNS0_4arch9wavefront6targetE1EEEvSK_
		.amdhsa_group_segment_fixed_size 0
		.amdhsa_private_segment_fixed_size 0
		.amdhsa_kernarg_size 88
		.amdhsa_user_sgpr_count 6
		.amdhsa_user_sgpr_private_segment_buffer 1
		.amdhsa_user_sgpr_dispatch_ptr 0
		.amdhsa_user_sgpr_queue_ptr 0
		.amdhsa_user_sgpr_kernarg_segment_ptr 1
		.amdhsa_user_sgpr_dispatch_id 0
		.amdhsa_user_sgpr_flat_scratch_init 0
		.amdhsa_user_sgpr_private_segment_size 0
		.amdhsa_uses_dynamic_stack 0
		.amdhsa_system_sgpr_private_segment_wavefront_offset 0
		.amdhsa_system_sgpr_workgroup_id_x 1
		.amdhsa_system_sgpr_workgroup_id_y 0
		.amdhsa_system_sgpr_workgroup_id_z 0
		.amdhsa_system_sgpr_workgroup_info 0
		.amdhsa_system_vgpr_workitem_id 0
		.amdhsa_next_free_vgpr 1
		.amdhsa_next_free_sgpr 0
		.amdhsa_reserve_vcc 0
		.amdhsa_reserve_flat_scratch 0
		.amdhsa_float_round_mode_32 0
		.amdhsa_float_round_mode_16_64 0
		.amdhsa_float_denorm_mode_32 3
		.amdhsa_float_denorm_mode_16_64 3
		.amdhsa_dx10_clamp 1
		.amdhsa_ieee_mode 1
		.amdhsa_fp16_overflow 0
		.amdhsa_exception_fp_ieee_invalid_op 0
		.amdhsa_exception_fp_denorm_src 0
		.amdhsa_exception_fp_ieee_div_zero 0
		.amdhsa_exception_fp_ieee_overflow 0
		.amdhsa_exception_fp_ieee_underflow 0
		.amdhsa_exception_fp_ieee_inexact 0
		.amdhsa_exception_int_div_zero 0
	.end_amdhsa_kernel
	.section	.text._ZN7rocprim17ROCPRIM_400000_NS6detail17trampoline_kernelINS0_14default_configENS1_36segmented_radix_sort_config_selectorIdlEEZNS1_25segmented_radix_sort_implIS3_Lb0EPKdPdPKlPlN2at6native12_GLOBAL__N_18offset_tEEE10hipError_tPvRmT1_PNSt15iterator_traitsISK_E10value_typeET2_T3_PNSL_ISQ_E10value_typeET4_jRbjT5_SW_jjP12ihipStream_tbEUlT_E0_NS1_11comp_targetILNS1_3genE9ELNS1_11target_archE1100ELNS1_3gpuE3ELNS1_3repE0EEENS1_60segmented_radix_sort_warp_sort_medium_config_static_selectorELNS0_4arch9wavefront6targetE1EEEvSK_,"axG",@progbits,_ZN7rocprim17ROCPRIM_400000_NS6detail17trampoline_kernelINS0_14default_configENS1_36segmented_radix_sort_config_selectorIdlEEZNS1_25segmented_radix_sort_implIS3_Lb0EPKdPdPKlPlN2at6native12_GLOBAL__N_18offset_tEEE10hipError_tPvRmT1_PNSt15iterator_traitsISK_E10value_typeET2_T3_PNSL_ISQ_E10value_typeET4_jRbjT5_SW_jjP12ihipStream_tbEUlT_E0_NS1_11comp_targetILNS1_3genE9ELNS1_11target_archE1100ELNS1_3gpuE3ELNS1_3repE0EEENS1_60segmented_radix_sort_warp_sort_medium_config_static_selectorELNS0_4arch9wavefront6targetE1EEEvSK_,comdat
.Lfunc_end1239:
	.size	_ZN7rocprim17ROCPRIM_400000_NS6detail17trampoline_kernelINS0_14default_configENS1_36segmented_radix_sort_config_selectorIdlEEZNS1_25segmented_radix_sort_implIS3_Lb0EPKdPdPKlPlN2at6native12_GLOBAL__N_18offset_tEEE10hipError_tPvRmT1_PNSt15iterator_traitsISK_E10value_typeET2_T3_PNSL_ISQ_E10value_typeET4_jRbjT5_SW_jjP12ihipStream_tbEUlT_E0_NS1_11comp_targetILNS1_3genE9ELNS1_11target_archE1100ELNS1_3gpuE3ELNS1_3repE0EEENS1_60segmented_radix_sort_warp_sort_medium_config_static_selectorELNS0_4arch9wavefront6targetE1EEEvSK_, .Lfunc_end1239-_ZN7rocprim17ROCPRIM_400000_NS6detail17trampoline_kernelINS0_14default_configENS1_36segmented_radix_sort_config_selectorIdlEEZNS1_25segmented_radix_sort_implIS3_Lb0EPKdPdPKlPlN2at6native12_GLOBAL__N_18offset_tEEE10hipError_tPvRmT1_PNSt15iterator_traitsISK_E10value_typeET2_T3_PNSL_ISQ_E10value_typeET4_jRbjT5_SW_jjP12ihipStream_tbEUlT_E0_NS1_11comp_targetILNS1_3genE9ELNS1_11target_archE1100ELNS1_3gpuE3ELNS1_3repE0EEENS1_60segmented_radix_sort_warp_sort_medium_config_static_selectorELNS0_4arch9wavefront6targetE1EEEvSK_
                                        ; -- End function
	.set _ZN7rocprim17ROCPRIM_400000_NS6detail17trampoline_kernelINS0_14default_configENS1_36segmented_radix_sort_config_selectorIdlEEZNS1_25segmented_radix_sort_implIS3_Lb0EPKdPdPKlPlN2at6native12_GLOBAL__N_18offset_tEEE10hipError_tPvRmT1_PNSt15iterator_traitsISK_E10value_typeET2_T3_PNSL_ISQ_E10value_typeET4_jRbjT5_SW_jjP12ihipStream_tbEUlT_E0_NS1_11comp_targetILNS1_3genE9ELNS1_11target_archE1100ELNS1_3gpuE3ELNS1_3repE0EEENS1_60segmented_radix_sort_warp_sort_medium_config_static_selectorELNS0_4arch9wavefront6targetE1EEEvSK_.num_vgpr, 0
	.set _ZN7rocprim17ROCPRIM_400000_NS6detail17trampoline_kernelINS0_14default_configENS1_36segmented_radix_sort_config_selectorIdlEEZNS1_25segmented_radix_sort_implIS3_Lb0EPKdPdPKlPlN2at6native12_GLOBAL__N_18offset_tEEE10hipError_tPvRmT1_PNSt15iterator_traitsISK_E10value_typeET2_T3_PNSL_ISQ_E10value_typeET4_jRbjT5_SW_jjP12ihipStream_tbEUlT_E0_NS1_11comp_targetILNS1_3genE9ELNS1_11target_archE1100ELNS1_3gpuE3ELNS1_3repE0EEENS1_60segmented_radix_sort_warp_sort_medium_config_static_selectorELNS0_4arch9wavefront6targetE1EEEvSK_.num_agpr, 0
	.set _ZN7rocprim17ROCPRIM_400000_NS6detail17trampoline_kernelINS0_14default_configENS1_36segmented_radix_sort_config_selectorIdlEEZNS1_25segmented_radix_sort_implIS3_Lb0EPKdPdPKlPlN2at6native12_GLOBAL__N_18offset_tEEE10hipError_tPvRmT1_PNSt15iterator_traitsISK_E10value_typeET2_T3_PNSL_ISQ_E10value_typeET4_jRbjT5_SW_jjP12ihipStream_tbEUlT_E0_NS1_11comp_targetILNS1_3genE9ELNS1_11target_archE1100ELNS1_3gpuE3ELNS1_3repE0EEENS1_60segmented_radix_sort_warp_sort_medium_config_static_selectorELNS0_4arch9wavefront6targetE1EEEvSK_.numbered_sgpr, 0
	.set _ZN7rocprim17ROCPRIM_400000_NS6detail17trampoline_kernelINS0_14default_configENS1_36segmented_radix_sort_config_selectorIdlEEZNS1_25segmented_radix_sort_implIS3_Lb0EPKdPdPKlPlN2at6native12_GLOBAL__N_18offset_tEEE10hipError_tPvRmT1_PNSt15iterator_traitsISK_E10value_typeET2_T3_PNSL_ISQ_E10value_typeET4_jRbjT5_SW_jjP12ihipStream_tbEUlT_E0_NS1_11comp_targetILNS1_3genE9ELNS1_11target_archE1100ELNS1_3gpuE3ELNS1_3repE0EEENS1_60segmented_radix_sort_warp_sort_medium_config_static_selectorELNS0_4arch9wavefront6targetE1EEEvSK_.num_named_barrier, 0
	.set _ZN7rocprim17ROCPRIM_400000_NS6detail17trampoline_kernelINS0_14default_configENS1_36segmented_radix_sort_config_selectorIdlEEZNS1_25segmented_radix_sort_implIS3_Lb0EPKdPdPKlPlN2at6native12_GLOBAL__N_18offset_tEEE10hipError_tPvRmT1_PNSt15iterator_traitsISK_E10value_typeET2_T3_PNSL_ISQ_E10value_typeET4_jRbjT5_SW_jjP12ihipStream_tbEUlT_E0_NS1_11comp_targetILNS1_3genE9ELNS1_11target_archE1100ELNS1_3gpuE3ELNS1_3repE0EEENS1_60segmented_radix_sort_warp_sort_medium_config_static_selectorELNS0_4arch9wavefront6targetE1EEEvSK_.private_seg_size, 0
	.set _ZN7rocprim17ROCPRIM_400000_NS6detail17trampoline_kernelINS0_14default_configENS1_36segmented_radix_sort_config_selectorIdlEEZNS1_25segmented_radix_sort_implIS3_Lb0EPKdPdPKlPlN2at6native12_GLOBAL__N_18offset_tEEE10hipError_tPvRmT1_PNSt15iterator_traitsISK_E10value_typeET2_T3_PNSL_ISQ_E10value_typeET4_jRbjT5_SW_jjP12ihipStream_tbEUlT_E0_NS1_11comp_targetILNS1_3genE9ELNS1_11target_archE1100ELNS1_3gpuE3ELNS1_3repE0EEENS1_60segmented_radix_sort_warp_sort_medium_config_static_selectorELNS0_4arch9wavefront6targetE1EEEvSK_.uses_vcc, 0
	.set _ZN7rocprim17ROCPRIM_400000_NS6detail17trampoline_kernelINS0_14default_configENS1_36segmented_radix_sort_config_selectorIdlEEZNS1_25segmented_radix_sort_implIS3_Lb0EPKdPdPKlPlN2at6native12_GLOBAL__N_18offset_tEEE10hipError_tPvRmT1_PNSt15iterator_traitsISK_E10value_typeET2_T3_PNSL_ISQ_E10value_typeET4_jRbjT5_SW_jjP12ihipStream_tbEUlT_E0_NS1_11comp_targetILNS1_3genE9ELNS1_11target_archE1100ELNS1_3gpuE3ELNS1_3repE0EEENS1_60segmented_radix_sort_warp_sort_medium_config_static_selectorELNS0_4arch9wavefront6targetE1EEEvSK_.uses_flat_scratch, 0
	.set _ZN7rocprim17ROCPRIM_400000_NS6detail17trampoline_kernelINS0_14default_configENS1_36segmented_radix_sort_config_selectorIdlEEZNS1_25segmented_radix_sort_implIS3_Lb0EPKdPdPKlPlN2at6native12_GLOBAL__N_18offset_tEEE10hipError_tPvRmT1_PNSt15iterator_traitsISK_E10value_typeET2_T3_PNSL_ISQ_E10value_typeET4_jRbjT5_SW_jjP12ihipStream_tbEUlT_E0_NS1_11comp_targetILNS1_3genE9ELNS1_11target_archE1100ELNS1_3gpuE3ELNS1_3repE0EEENS1_60segmented_radix_sort_warp_sort_medium_config_static_selectorELNS0_4arch9wavefront6targetE1EEEvSK_.has_dyn_sized_stack, 0
	.set _ZN7rocprim17ROCPRIM_400000_NS6detail17trampoline_kernelINS0_14default_configENS1_36segmented_radix_sort_config_selectorIdlEEZNS1_25segmented_radix_sort_implIS3_Lb0EPKdPdPKlPlN2at6native12_GLOBAL__N_18offset_tEEE10hipError_tPvRmT1_PNSt15iterator_traitsISK_E10value_typeET2_T3_PNSL_ISQ_E10value_typeET4_jRbjT5_SW_jjP12ihipStream_tbEUlT_E0_NS1_11comp_targetILNS1_3genE9ELNS1_11target_archE1100ELNS1_3gpuE3ELNS1_3repE0EEENS1_60segmented_radix_sort_warp_sort_medium_config_static_selectorELNS0_4arch9wavefront6targetE1EEEvSK_.has_recursion, 0
	.set _ZN7rocprim17ROCPRIM_400000_NS6detail17trampoline_kernelINS0_14default_configENS1_36segmented_radix_sort_config_selectorIdlEEZNS1_25segmented_radix_sort_implIS3_Lb0EPKdPdPKlPlN2at6native12_GLOBAL__N_18offset_tEEE10hipError_tPvRmT1_PNSt15iterator_traitsISK_E10value_typeET2_T3_PNSL_ISQ_E10value_typeET4_jRbjT5_SW_jjP12ihipStream_tbEUlT_E0_NS1_11comp_targetILNS1_3genE9ELNS1_11target_archE1100ELNS1_3gpuE3ELNS1_3repE0EEENS1_60segmented_radix_sort_warp_sort_medium_config_static_selectorELNS0_4arch9wavefront6targetE1EEEvSK_.has_indirect_call, 0
	.section	.AMDGPU.csdata,"",@progbits
; Kernel info:
; codeLenInByte = 0
; TotalNumSgprs: 4
; NumVgprs: 0
; ScratchSize: 0
; MemoryBound: 0
; FloatMode: 240
; IeeeMode: 1
; LDSByteSize: 0 bytes/workgroup (compile time only)
; SGPRBlocks: 0
; VGPRBlocks: 0
; NumSGPRsForWavesPerEU: 4
; NumVGPRsForWavesPerEU: 1
; Occupancy: 10
; WaveLimiterHint : 0
; COMPUTE_PGM_RSRC2:SCRATCH_EN: 0
; COMPUTE_PGM_RSRC2:USER_SGPR: 6
; COMPUTE_PGM_RSRC2:TRAP_HANDLER: 0
; COMPUTE_PGM_RSRC2:TGID_X_EN: 1
; COMPUTE_PGM_RSRC2:TGID_Y_EN: 0
; COMPUTE_PGM_RSRC2:TGID_Z_EN: 0
; COMPUTE_PGM_RSRC2:TIDIG_COMP_CNT: 0
	.section	.text._ZN7rocprim17ROCPRIM_400000_NS6detail17trampoline_kernelINS0_14default_configENS1_36segmented_radix_sort_config_selectorIdlEEZNS1_25segmented_radix_sort_implIS3_Lb0EPKdPdPKlPlN2at6native12_GLOBAL__N_18offset_tEEE10hipError_tPvRmT1_PNSt15iterator_traitsISK_E10value_typeET2_T3_PNSL_ISQ_E10value_typeET4_jRbjT5_SW_jjP12ihipStream_tbEUlT_E0_NS1_11comp_targetILNS1_3genE8ELNS1_11target_archE1030ELNS1_3gpuE2ELNS1_3repE0EEENS1_60segmented_radix_sort_warp_sort_medium_config_static_selectorELNS0_4arch9wavefront6targetE1EEEvSK_,"axG",@progbits,_ZN7rocprim17ROCPRIM_400000_NS6detail17trampoline_kernelINS0_14default_configENS1_36segmented_radix_sort_config_selectorIdlEEZNS1_25segmented_radix_sort_implIS3_Lb0EPKdPdPKlPlN2at6native12_GLOBAL__N_18offset_tEEE10hipError_tPvRmT1_PNSt15iterator_traitsISK_E10value_typeET2_T3_PNSL_ISQ_E10value_typeET4_jRbjT5_SW_jjP12ihipStream_tbEUlT_E0_NS1_11comp_targetILNS1_3genE8ELNS1_11target_archE1030ELNS1_3gpuE2ELNS1_3repE0EEENS1_60segmented_radix_sort_warp_sort_medium_config_static_selectorELNS0_4arch9wavefront6targetE1EEEvSK_,comdat
	.globl	_ZN7rocprim17ROCPRIM_400000_NS6detail17trampoline_kernelINS0_14default_configENS1_36segmented_radix_sort_config_selectorIdlEEZNS1_25segmented_radix_sort_implIS3_Lb0EPKdPdPKlPlN2at6native12_GLOBAL__N_18offset_tEEE10hipError_tPvRmT1_PNSt15iterator_traitsISK_E10value_typeET2_T3_PNSL_ISQ_E10value_typeET4_jRbjT5_SW_jjP12ihipStream_tbEUlT_E0_NS1_11comp_targetILNS1_3genE8ELNS1_11target_archE1030ELNS1_3gpuE2ELNS1_3repE0EEENS1_60segmented_radix_sort_warp_sort_medium_config_static_selectorELNS0_4arch9wavefront6targetE1EEEvSK_ ; -- Begin function _ZN7rocprim17ROCPRIM_400000_NS6detail17trampoline_kernelINS0_14default_configENS1_36segmented_radix_sort_config_selectorIdlEEZNS1_25segmented_radix_sort_implIS3_Lb0EPKdPdPKlPlN2at6native12_GLOBAL__N_18offset_tEEE10hipError_tPvRmT1_PNSt15iterator_traitsISK_E10value_typeET2_T3_PNSL_ISQ_E10value_typeET4_jRbjT5_SW_jjP12ihipStream_tbEUlT_E0_NS1_11comp_targetILNS1_3genE8ELNS1_11target_archE1030ELNS1_3gpuE2ELNS1_3repE0EEENS1_60segmented_radix_sort_warp_sort_medium_config_static_selectorELNS0_4arch9wavefront6targetE1EEEvSK_
	.p2align	8
	.type	_ZN7rocprim17ROCPRIM_400000_NS6detail17trampoline_kernelINS0_14default_configENS1_36segmented_radix_sort_config_selectorIdlEEZNS1_25segmented_radix_sort_implIS3_Lb0EPKdPdPKlPlN2at6native12_GLOBAL__N_18offset_tEEE10hipError_tPvRmT1_PNSt15iterator_traitsISK_E10value_typeET2_T3_PNSL_ISQ_E10value_typeET4_jRbjT5_SW_jjP12ihipStream_tbEUlT_E0_NS1_11comp_targetILNS1_3genE8ELNS1_11target_archE1030ELNS1_3gpuE2ELNS1_3repE0EEENS1_60segmented_radix_sort_warp_sort_medium_config_static_selectorELNS0_4arch9wavefront6targetE1EEEvSK_,@function
_ZN7rocprim17ROCPRIM_400000_NS6detail17trampoline_kernelINS0_14default_configENS1_36segmented_radix_sort_config_selectorIdlEEZNS1_25segmented_radix_sort_implIS3_Lb0EPKdPdPKlPlN2at6native12_GLOBAL__N_18offset_tEEE10hipError_tPvRmT1_PNSt15iterator_traitsISK_E10value_typeET2_T3_PNSL_ISQ_E10value_typeET4_jRbjT5_SW_jjP12ihipStream_tbEUlT_E0_NS1_11comp_targetILNS1_3genE8ELNS1_11target_archE1030ELNS1_3gpuE2ELNS1_3repE0EEENS1_60segmented_radix_sort_warp_sort_medium_config_static_selectorELNS0_4arch9wavefront6targetE1EEEvSK_: ; @_ZN7rocprim17ROCPRIM_400000_NS6detail17trampoline_kernelINS0_14default_configENS1_36segmented_radix_sort_config_selectorIdlEEZNS1_25segmented_radix_sort_implIS3_Lb0EPKdPdPKlPlN2at6native12_GLOBAL__N_18offset_tEEE10hipError_tPvRmT1_PNSt15iterator_traitsISK_E10value_typeET2_T3_PNSL_ISQ_E10value_typeET4_jRbjT5_SW_jjP12ihipStream_tbEUlT_E0_NS1_11comp_targetILNS1_3genE8ELNS1_11target_archE1030ELNS1_3gpuE2ELNS1_3repE0EEENS1_60segmented_radix_sort_warp_sort_medium_config_static_selectorELNS0_4arch9wavefront6targetE1EEEvSK_
; %bb.0:
	.section	.rodata,"a",@progbits
	.p2align	6, 0x0
	.amdhsa_kernel _ZN7rocprim17ROCPRIM_400000_NS6detail17trampoline_kernelINS0_14default_configENS1_36segmented_radix_sort_config_selectorIdlEEZNS1_25segmented_radix_sort_implIS3_Lb0EPKdPdPKlPlN2at6native12_GLOBAL__N_18offset_tEEE10hipError_tPvRmT1_PNSt15iterator_traitsISK_E10value_typeET2_T3_PNSL_ISQ_E10value_typeET4_jRbjT5_SW_jjP12ihipStream_tbEUlT_E0_NS1_11comp_targetILNS1_3genE8ELNS1_11target_archE1030ELNS1_3gpuE2ELNS1_3repE0EEENS1_60segmented_radix_sort_warp_sort_medium_config_static_selectorELNS0_4arch9wavefront6targetE1EEEvSK_
		.amdhsa_group_segment_fixed_size 0
		.amdhsa_private_segment_fixed_size 0
		.amdhsa_kernarg_size 88
		.amdhsa_user_sgpr_count 6
		.amdhsa_user_sgpr_private_segment_buffer 1
		.amdhsa_user_sgpr_dispatch_ptr 0
		.amdhsa_user_sgpr_queue_ptr 0
		.amdhsa_user_sgpr_kernarg_segment_ptr 1
		.amdhsa_user_sgpr_dispatch_id 0
		.amdhsa_user_sgpr_flat_scratch_init 0
		.amdhsa_user_sgpr_private_segment_size 0
		.amdhsa_uses_dynamic_stack 0
		.amdhsa_system_sgpr_private_segment_wavefront_offset 0
		.amdhsa_system_sgpr_workgroup_id_x 1
		.amdhsa_system_sgpr_workgroup_id_y 0
		.amdhsa_system_sgpr_workgroup_id_z 0
		.amdhsa_system_sgpr_workgroup_info 0
		.amdhsa_system_vgpr_workitem_id 0
		.amdhsa_next_free_vgpr 1
		.amdhsa_next_free_sgpr 0
		.amdhsa_reserve_vcc 0
		.amdhsa_reserve_flat_scratch 0
		.amdhsa_float_round_mode_32 0
		.amdhsa_float_round_mode_16_64 0
		.amdhsa_float_denorm_mode_32 3
		.amdhsa_float_denorm_mode_16_64 3
		.amdhsa_dx10_clamp 1
		.amdhsa_ieee_mode 1
		.amdhsa_fp16_overflow 0
		.amdhsa_exception_fp_ieee_invalid_op 0
		.amdhsa_exception_fp_denorm_src 0
		.amdhsa_exception_fp_ieee_div_zero 0
		.amdhsa_exception_fp_ieee_overflow 0
		.amdhsa_exception_fp_ieee_underflow 0
		.amdhsa_exception_fp_ieee_inexact 0
		.amdhsa_exception_int_div_zero 0
	.end_amdhsa_kernel
	.section	.text._ZN7rocprim17ROCPRIM_400000_NS6detail17trampoline_kernelINS0_14default_configENS1_36segmented_radix_sort_config_selectorIdlEEZNS1_25segmented_radix_sort_implIS3_Lb0EPKdPdPKlPlN2at6native12_GLOBAL__N_18offset_tEEE10hipError_tPvRmT1_PNSt15iterator_traitsISK_E10value_typeET2_T3_PNSL_ISQ_E10value_typeET4_jRbjT5_SW_jjP12ihipStream_tbEUlT_E0_NS1_11comp_targetILNS1_3genE8ELNS1_11target_archE1030ELNS1_3gpuE2ELNS1_3repE0EEENS1_60segmented_radix_sort_warp_sort_medium_config_static_selectorELNS0_4arch9wavefront6targetE1EEEvSK_,"axG",@progbits,_ZN7rocprim17ROCPRIM_400000_NS6detail17trampoline_kernelINS0_14default_configENS1_36segmented_radix_sort_config_selectorIdlEEZNS1_25segmented_radix_sort_implIS3_Lb0EPKdPdPKlPlN2at6native12_GLOBAL__N_18offset_tEEE10hipError_tPvRmT1_PNSt15iterator_traitsISK_E10value_typeET2_T3_PNSL_ISQ_E10value_typeET4_jRbjT5_SW_jjP12ihipStream_tbEUlT_E0_NS1_11comp_targetILNS1_3genE8ELNS1_11target_archE1030ELNS1_3gpuE2ELNS1_3repE0EEENS1_60segmented_radix_sort_warp_sort_medium_config_static_selectorELNS0_4arch9wavefront6targetE1EEEvSK_,comdat
.Lfunc_end1240:
	.size	_ZN7rocprim17ROCPRIM_400000_NS6detail17trampoline_kernelINS0_14default_configENS1_36segmented_radix_sort_config_selectorIdlEEZNS1_25segmented_radix_sort_implIS3_Lb0EPKdPdPKlPlN2at6native12_GLOBAL__N_18offset_tEEE10hipError_tPvRmT1_PNSt15iterator_traitsISK_E10value_typeET2_T3_PNSL_ISQ_E10value_typeET4_jRbjT5_SW_jjP12ihipStream_tbEUlT_E0_NS1_11comp_targetILNS1_3genE8ELNS1_11target_archE1030ELNS1_3gpuE2ELNS1_3repE0EEENS1_60segmented_radix_sort_warp_sort_medium_config_static_selectorELNS0_4arch9wavefront6targetE1EEEvSK_, .Lfunc_end1240-_ZN7rocprim17ROCPRIM_400000_NS6detail17trampoline_kernelINS0_14default_configENS1_36segmented_radix_sort_config_selectorIdlEEZNS1_25segmented_radix_sort_implIS3_Lb0EPKdPdPKlPlN2at6native12_GLOBAL__N_18offset_tEEE10hipError_tPvRmT1_PNSt15iterator_traitsISK_E10value_typeET2_T3_PNSL_ISQ_E10value_typeET4_jRbjT5_SW_jjP12ihipStream_tbEUlT_E0_NS1_11comp_targetILNS1_3genE8ELNS1_11target_archE1030ELNS1_3gpuE2ELNS1_3repE0EEENS1_60segmented_radix_sort_warp_sort_medium_config_static_selectorELNS0_4arch9wavefront6targetE1EEEvSK_
                                        ; -- End function
	.set _ZN7rocprim17ROCPRIM_400000_NS6detail17trampoline_kernelINS0_14default_configENS1_36segmented_radix_sort_config_selectorIdlEEZNS1_25segmented_radix_sort_implIS3_Lb0EPKdPdPKlPlN2at6native12_GLOBAL__N_18offset_tEEE10hipError_tPvRmT1_PNSt15iterator_traitsISK_E10value_typeET2_T3_PNSL_ISQ_E10value_typeET4_jRbjT5_SW_jjP12ihipStream_tbEUlT_E0_NS1_11comp_targetILNS1_3genE8ELNS1_11target_archE1030ELNS1_3gpuE2ELNS1_3repE0EEENS1_60segmented_radix_sort_warp_sort_medium_config_static_selectorELNS0_4arch9wavefront6targetE1EEEvSK_.num_vgpr, 0
	.set _ZN7rocprim17ROCPRIM_400000_NS6detail17trampoline_kernelINS0_14default_configENS1_36segmented_radix_sort_config_selectorIdlEEZNS1_25segmented_radix_sort_implIS3_Lb0EPKdPdPKlPlN2at6native12_GLOBAL__N_18offset_tEEE10hipError_tPvRmT1_PNSt15iterator_traitsISK_E10value_typeET2_T3_PNSL_ISQ_E10value_typeET4_jRbjT5_SW_jjP12ihipStream_tbEUlT_E0_NS1_11comp_targetILNS1_3genE8ELNS1_11target_archE1030ELNS1_3gpuE2ELNS1_3repE0EEENS1_60segmented_radix_sort_warp_sort_medium_config_static_selectorELNS0_4arch9wavefront6targetE1EEEvSK_.num_agpr, 0
	.set _ZN7rocprim17ROCPRIM_400000_NS6detail17trampoline_kernelINS0_14default_configENS1_36segmented_radix_sort_config_selectorIdlEEZNS1_25segmented_radix_sort_implIS3_Lb0EPKdPdPKlPlN2at6native12_GLOBAL__N_18offset_tEEE10hipError_tPvRmT1_PNSt15iterator_traitsISK_E10value_typeET2_T3_PNSL_ISQ_E10value_typeET4_jRbjT5_SW_jjP12ihipStream_tbEUlT_E0_NS1_11comp_targetILNS1_3genE8ELNS1_11target_archE1030ELNS1_3gpuE2ELNS1_3repE0EEENS1_60segmented_radix_sort_warp_sort_medium_config_static_selectorELNS0_4arch9wavefront6targetE1EEEvSK_.numbered_sgpr, 0
	.set _ZN7rocprim17ROCPRIM_400000_NS6detail17trampoline_kernelINS0_14default_configENS1_36segmented_radix_sort_config_selectorIdlEEZNS1_25segmented_radix_sort_implIS3_Lb0EPKdPdPKlPlN2at6native12_GLOBAL__N_18offset_tEEE10hipError_tPvRmT1_PNSt15iterator_traitsISK_E10value_typeET2_T3_PNSL_ISQ_E10value_typeET4_jRbjT5_SW_jjP12ihipStream_tbEUlT_E0_NS1_11comp_targetILNS1_3genE8ELNS1_11target_archE1030ELNS1_3gpuE2ELNS1_3repE0EEENS1_60segmented_radix_sort_warp_sort_medium_config_static_selectorELNS0_4arch9wavefront6targetE1EEEvSK_.num_named_barrier, 0
	.set _ZN7rocprim17ROCPRIM_400000_NS6detail17trampoline_kernelINS0_14default_configENS1_36segmented_radix_sort_config_selectorIdlEEZNS1_25segmented_radix_sort_implIS3_Lb0EPKdPdPKlPlN2at6native12_GLOBAL__N_18offset_tEEE10hipError_tPvRmT1_PNSt15iterator_traitsISK_E10value_typeET2_T3_PNSL_ISQ_E10value_typeET4_jRbjT5_SW_jjP12ihipStream_tbEUlT_E0_NS1_11comp_targetILNS1_3genE8ELNS1_11target_archE1030ELNS1_3gpuE2ELNS1_3repE0EEENS1_60segmented_radix_sort_warp_sort_medium_config_static_selectorELNS0_4arch9wavefront6targetE1EEEvSK_.private_seg_size, 0
	.set _ZN7rocprim17ROCPRIM_400000_NS6detail17trampoline_kernelINS0_14default_configENS1_36segmented_radix_sort_config_selectorIdlEEZNS1_25segmented_radix_sort_implIS3_Lb0EPKdPdPKlPlN2at6native12_GLOBAL__N_18offset_tEEE10hipError_tPvRmT1_PNSt15iterator_traitsISK_E10value_typeET2_T3_PNSL_ISQ_E10value_typeET4_jRbjT5_SW_jjP12ihipStream_tbEUlT_E0_NS1_11comp_targetILNS1_3genE8ELNS1_11target_archE1030ELNS1_3gpuE2ELNS1_3repE0EEENS1_60segmented_radix_sort_warp_sort_medium_config_static_selectorELNS0_4arch9wavefront6targetE1EEEvSK_.uses_vcc, 0
	.set _ZN7rocprim17ROCPRIM_400000_NS6detail17trampoline_kernelINS0_14default_configENS1_36segmented_radix_sort_config_selectorIdlEEZNS1_25segmented_radix_sort_implIS3_Lb0EPKdPdPKlPlN2at6native12_GLOBAL__N_18offset_tEEE10hipError_tPvRmT1_PNSt15iterator_traitsISK_E10value_typeET2_T3_PNSL_ISQ_E10value_typeET4_jRbjT5_SW_jjP12ihipStream_tbEUlT_E0_NS1_11comp_targetILNS1_3genE8ELNS1_11target_archE1030ELNS1_3gpuE2ELNS1_3repE0EEENS1_60segmented_radix_sort_warp_sort_medium_config_static_selectorELNS0_4arch9wavefront6targetE1EEEvSK_.uses_flat_scratch, 0
	.set _ZN7rocprim17ROCPRIM_400000_NS6detail17trampoline_kernelINS0_14default_configENS1_36segmented_radix_sort_config_selectorIdlEEZNS1_25segmented_radix_sort_implIS3_Lb0EPKdPdPKlPlN2at6native12_GLOBAL__N_18offset_tEEE10hipError_tPvRmT1_PNSt15iterator_traitsISK_E10value_typeET2_T3_PNSL_ISQ_E10value_typeET4_jRbjT5_SW_jjP12ihipStream_tbEUlT_E0_NS1_11comp_targetILNS1_3genE8ELNS1_11target_archE1030ELNS1_3gpuE2ELNS1_3repE0EEENS1_60segmented_radix_sort_warp_sort_medium_config_static_selectorELNS0_4arch9wavefront6targetE1EEEvSK_.has_dyn_sized_stack, 0
	.set _ZN7rocprim17ROCPRIM_400000_NS6detail17trampoline_kernelINS0_14default_configENS1_36segmented_radix_sort_config_selectorIdlEEZNS1_25segmented_radix_sort_implIS3_Lb0EPKdPdPKlPlN2at6native12_GLOBAL__N_18offset_tEEE10hipError_tPvRmT1_PNSt15iterator_traitsISK_E10value_typeET2_T3_PNSL_ISQ_E10value_typeET4_jRbjT5_SW_jjP12ihipStream_tbEUlT_E0_NS1_11comp_targetILNS1_3genE8ELNS1_11target_archE1030ELNS1_3gpuE2ELNS1_3repE0EEENS1_60segmented_radix_sort_warp_sort_medium_config_static_selectorELNS0_4arch9wavefront6targetE1EEEvSK_.has_recursion, 0
	.set _ZN7rocprim17ROCPRIM_400000_NS6detail17trampoline_kernelINS0_14default_configENS1_36segmented_radix_sort_config_selectorIdlEEZNS1_25segmented_radix_sort_implIS3_Lb0EPKdPdPKlPlN2at6native12_GLOBAL__N_18offset_tEEE10hipError_tPvRmT1_PNSt15iterator_traitsISK_E10value_typeET2_T3_PNSL_ISQ_E10value_typeET4_jRbjT5_SW_jjP12ihipStream_tbEUlT_E0_NS1_11comp_targetILNS1_3genE8ELNS1_11target_archE1030ELNS1_3gpuE2ELNS1_3repE0EEENS1_60segmented_radix_sort_warp_sort_medium_config_static_selectorELNS0_4arch9wavefront6targetE1EEEvSK_.has_indirect_call, 0
	.section	.AMDGPU.csdata,"",@progbits
; Kernel info:
; codeLenInByte = 0
; TotalNumSgprs: 4
; NumVgprs: 0
; ScratchSize: 0
; MemoryBound: 0
; FloatMode: 240
; IeeeMode: 1
; LDSByteSize: 0 bytes/workgroup (compile time only)
; SGPRBlocks: 0
; VGPRBlocks: 0
; NumSGPRsForWavesPerEU: 4
; NumVGPRsForWavesPerEU: 1
; Occupancy: 10
; WaveLimiterHint : 0
; COMPUTE_PGM_RSRC2:SCRATCH_EN: 0
; COMPUTE_PGM_RSRC2:USER_SGPR: 6
; COMPUTE_PGM_RSRC2:TRAP_HANDLER: 0
; COMPUTE_PGM_RSRC2:TGID_X_EN: 1
; COMPUTE_PGM_RSRC2:TGID_Y_EN: 0
; COMPUTE_PGM_RSRC2:TGID_Z_EN: 0
; COMPUTE_PGM_RSRC2:TIDIG_COMP_CNT: 0
	.section	.text._ZN7rocprim17ROCPRIM_400000_NS6detail17trampoline_kernelINS0_14default_configENS1_36segmented_radix_sort_config_selectorIdlEEZNS1_25segmented_radix_sort_implIS3_Lb0EPKdPdPKlPlN2at6native12_GLOBAL__N_18offset_tEEE10hipError_tPvRmT1_PNSt15iterator_traitsISK_E10value_typeET2_T3_PNSL_ISQ_E10value_typeET4_jRbjT5_SW_jjP12ihipStream_tbEUlT_E1_NS1_11comp_targetILNS1_3genE0ELNS1_11target_archE4294967295ELNS1_3gpuE0ELNS1_3repE0EEENS1_59segmented_radix_sort_warp_sort_small_config_static_selectorELNS0_4arch9wavefront6targetE1EEEvSK_,"axG",@progbits,_ZN7rocprim17ROCPRIM_400000_NS6detail17trampoline_kernelINS0_14default_configENS1_36segmented_radix_sort_config_selectorIdlEEZNS1_25segmented_radix_sort_implIS3_Lb0EPKdPdPKlPlN2at6native12_GLOBAL__N_18offset_tEEE10hipError_tPvRmT1_PNSt15iterator_traitsISK_E10value_typeET2_T3_PNSL_ISQ_E10value_typeET4_jRbjT5_SW_jjP12ihipStream_tbEUlT_E1_NS1_11comp_targetILNS1_3genE0ELNS1_11target_archE4294967295ELNS1_3gpuE0ELNS1_3repE0EEENS1_59segmented_radix_sort_warp_sort_small_config_static_selectorELNS0_4arch9wavefront6targetE1EEEvSK_,comdat
	.globl	_ZN7rocprim17ROCPRIM_400000_NS6detail17trampoline_kernelINS0_14default_configENS1_36segmented_radix_sort_config_selectorIdlEEZNS1_25segmented_radix_sort_implIS3_Lb0EPKdPdPKlPlN2at6native12_GLOBAL__N_18offset_tEEE10hipError_tPvRmT1_PNSt15iterator_traitsISK_E10value_typeET2_T3_PNSL_ISQ_E10value_typeET4_jRbjT5_SW_jjP12ihipStream_tbEUlT_E1_NS1_11comp_targetILNS1_3genE0ELNS1_11target_archE4294967295ELNS1_3gpuE0ELNS1_3repE0EEENS1_59segmented_radix_sort_warp_sort_small_config_static_selectorELNS0_4arch9wavefront6targetE1EEEvSK_ ; -- Begin function _ZN7rocprim17ROCPRIM_400000_NS6detail17trampoline_kernelINS0_14default_configENS1_36segmented_radix_sort_config_selectorIdlEEZNS1_25segmented_radix_sort_implIS3_Lb0EPKdPdPKlPlN2at6native12_GLOBAL__N_18offset_tEEE10hipError_tPvRmT1_PNSt15iterator_traitsISK_E10value_typeET2_T3_PNSL_ISQ_E10value_typeET4_jRbjT5_SW_jjP12ihipStream_tbEUlT_E1_NS1_11comp_targetILNS1_3genE0ELNS1_11target_archE4294967295ELNS1_3gpuE0ELNS1_3repE0EEENS1_59segmented_radix_sort_warp_sort_small_config_static_selectorELNS0_4arch9wavefront6targetE1EEEvSK_
	.p2align	8
	.type	_ZN7rocprim17ROCPRIM_400000_NS6detail17trampoline_kernelINS0_14default_configENS1_36segmented_radix_sort_config_selectorIdlEEZNS1_25segmented_radix_sort_implIS3_Lb0EPKdPdPKlPlN2at6native12_GLOBAL__N_18offset_tEEE10hipError_tPvRmT1_PNSt15iterator_traitsISK_E10value_typeET2_T3_PNSL_ISQ_E10value_typeET4_jRbjT5_SW_jjP12ihipStream_tbEUlT_E1_NS1_11comp_targetILNS1_3genE0ELNS1_11target_archE4294967295ELNS1_3gpuE0ELNS1_3repE0EEENS1_59segmented_radix_sort_warp_sort_small_config_static_selectorELNS0_4arch9wavefront6targetE1EEEvSK_,@function
_ZN7rocprim17ROCPRIM_400000_NS6detail17trampoline_kernelINS0_14default_configENS1_36segmented_radix_sort_config_selectorIdlEEZNS1_25segmented_radix_sort_implIS3_Lb0EPKdPdPKlPlN2at6native12_GLOBAL__N_18offset_tEEE10hipError_tPvRmT1_PNSt15iterator_traitsISK_E10value_typeET2_T3_PNSL_ISQ_E10value_typeET4_jRbjT5_SW_jjP12ihipStream_tbEUlT_E1_NS1_11comp_targetILNS1_3genE0ELNS1_11target_archE4294967295ELNS1_3gpuE0ELNS1_3repE0EEENS1_59segmented_radix_sort_warp_sort_small_config_static_selectorELNS0_4arch9wavefront6targetE1EEEvSK_: ; @_ZN7rocprim17ROCPRIM_400000_NS6detail17trampoline_kernelINS0_14default_configENS1_36segmented_radix_sort_config_selectorIdlEEZNS1_25segmented_radix_sort_implIS3_Lb0EPKdPdPKlPlN2at6native12_GLOBAL__N_18offset_tEEE10hipError_tPvRmT1_PNSt15iterator_traitsISK_E10value_typeET2_T3_PNSL_ISQ_E10value_typeET4_jRbjT5_SW_jjP12ihipStream_tbEUlT_E1_NS1_11comp_targetILNS1_3genE0ELNS1_11target_archE4294967295ELNS1_3gpuE0ELNS1_3repE0EEENS1_59segmented_radix_sort_warp_sort_small_config_static_selectorELNS0_4arch9wavefront6targetE1EEEvSK_
; %bb.0:
	.section	.rodata,"a",@progbits
	.p2align	6, 0x0
	.amdhsa_kernel _ZN7rocprim17ROCPRIM_400000_NS6detail17trampoline_kernelINS0_14default_configENS1_36segmented_radix_sort_config_selectorIdlEEZNS1_25segmented_radix_sort_implIS3_Lb0EPKdPdPKlPlN2at6native12_GLOBAL__N_18offset_tEEE10hipError_tPvRmT1_PNSt15iterator_traitsISK_E10value_typeET2_T3_PNSL_ISQ_E10value_typeET4_jRbjT5_SW_jjP12ihipStream_tbEUlT_E1_NS1_11comp_targetILNS1_3genE0ELNS1_11target_archE4294967295ELNS1_3gpuE0ELNS1_3repE0EEENS1_59segmented_radix_sort_warp_sort_small_config_static_selectorELNS0_4arch9wavefront6targetE1EEEvSK_
		.amdhsa_group_segment_fixed_size 0
		.amdhsa_private_segment_fixed_size 0
		.amdhsa_kernarg_size 88
		.amdhsa_user_sgpr_count 6
		.amdhsa_user_sgpr_private_segment_buffer 1
		.amdhsa_user_sgpr_dispatch_ptr 0
		.amdhsa_user_sgpr_queue_ptr 0
		.amdhsa_user_sgpr_kernarg_segment_ptr 1
		.amdhsa_user_sgpr_dispatch_id 0
		.amdhsa_user_sgpr_flat_scratch_init 0
		.amdhsa_user_sgpr_private_segment_size 0
		.amdhsa_uses_dynamic_stack 0
		.amdhsa_system_sgpr_private_segment_wavefront_offset 0
		.amdhsa_system_sgpr_workgroup_id_x 1
		.amdhsa_system_sgpr_workgroup_id_y 0
		.amdhsa_system_sgpr_workgroup_id_z 0
		.amdhsa_system_sgpr_workgroup_info 0
		.amdhsa_system_vgpr_workitem_id 0
		.amdhsa_next_free_vgpr 1
		.amdhsa_next_free_sgpr 0
		.amdhsa_reserve_vcc 0
		.amdhsa_reserve_flat_scratch 0
		.amdhsa_float_round_mode_32 0
		.amdhsa_float_round_mode_16_64 0
		.amdhsa_float_denorm_mode_32 3
		.amdhsa_float_denorm_mode_16_64 3
		.amdhsa_dx10_clamp 1
		.amdhsa_ieee_mode 1
		.amdhsa_fp16_overflow 0
		.amdhsa_exception_fp_ieee_invalid_op 0
		.amdhsa_exception_fp_denorm_src 0
		.amdhsa_exception_fp_ieee_div_zero 0
		.amdhsa_exception_fp_ieee_overflow 0
		.amdhsa_exception_fp_ieee_underflow 0
		.amdhsa_exception_fp_ieee_inexact 0
		.amdhsa_exception_int_div_zero 0
	.end_amdhsa_kernel
	.section	.text._ZN7rocprim17ROCPRIM_400000_NS6detail17trampoline_kernelINS0_14default_configENS1_36segmented_radix_sort_config_selectorIdlEEZNS1_25segmented_radix_sort_implIS3_Lb0EPKdPdPKlPlN2at6native12_GLOBAL__N_18offset_tEEE10hipError_tPvRmT1_PNSt15iterator_traitsISK_E10value_typeET2_T3_PNSL_ISQ_E10value_typeET4_jRbjT5_SW_jjP12ihipStream_tbEUlT_E1_NS1_11comp_targetILNS1_3genE0ELNS1_11target_archE4294967295ELNS1_3gpuE0ELNS1_3repE0EEENS1_59segmented_radix_sort_warp_sort_small_config_static_selectorELNS0_4arch9wavefront6targetE1EEEvSK_,"axG",@progbits,_ZN7rocprim17ROCPRIM_400000_NS6detail17trampoline_kernelINS0_14default_configENS1_36segmented_radix_sort_config_selectorIdlEEZNS1_25segmented_radix_sort_implIS3_Lb0EPKdPdPKlPlN2at6native12_GLOBAL__N_18offset_tEEE10hipError_tPvRmT1_PNSt15iterator_traitsISK_E10value_typeET2_T3_PNSL_ISQ_E10value_typeET4_jRbjT5_SW_jjP12ihipStream_tbEUlT_E1_NS1_11comp_targetILNS1_3genE0ELNS1_11target_archE4294967295ELNS1_3gpuE0ELNS1_3repE0EEENS1_59segmented_radix_sort_warp_sort_small_config_static_selectorELNS0_4arch9wavefront6targetE1EEEvSK_,comdat
.Lfunc_end1241:
	.size	_ZN7rocprim17ROCPRIM_400000_NS6detail17trampoline_kernelINS0_14default_configENS1_36segmented_radix_sort_config_selectorIdlEEZNS1_25segmented_radix_sort_implIS3_Lb0EPKdPdPKlPlN2at6native12_GLOBAL__N_18offset_tEEE10hipError_tPvRmT1_PNSt15iterator_traitsISK_E10value_typeET2_T3_PNSL_ISQ_E10value_typeET4_jRbjT5_SW_jjP12ihipStream_tbEUlT_E1_NS1_11comp_targetILNS1_3genE0ELNS1_11target_archE4294967295ELNS1_3gpuE0ELNS1_3repE0EEENS1_59segmented_radix_sort_warp_sort_small_config_static_selectorELNS0_4arch9wavefront6targetE1EEEvSK_, .Lfunc_end1241-_ZN7rocprim17ROCPRIM_400000_NS6detail17trampoline_kernelINS0_14default_configENS1_36segmented_radix_sort_config_selectorIdlEEZNS1_25segmented_radix_sort_implIS3_Lb0EPKdPdPKlPlN2at6native12_GLOBAL__N_18offset_tEEE10hipError_tPvRmT1_PNSt15iterator_traitsISK_E10value_typeET2_T3_PNSL_ISQ_E10value_typeET4_jRbjT5_SW_jjP12ihipStream_tbEUlT_E1_NS1_11comp_targetILNS1_3genE0ELNS1_11target_archE4294967295ELNS1_3gpuE0ELNS1_3repE0EEENS1_59segmented_radix_sort_warp_sort_small_config_static_selectorELNS0_4arch9wavefront6targetE1EEEvSK_
                                        ; -- End function
	.set _ZN7rocprim17ROCPRIM_400000_NS6detail17trampoline_kernelINS0_14default_configENS1_36segmented_radix_sort_config_selectorIdlEEZNS1_25segmented_radix_sort_implIS3_Lb0EPKdPdPKlPlN2at6native12_GLOBAL__N_18offset_tEEE10hipError_tPvRmT1_PNSt15iterator_traitsISK_E10value_typeET2_T3_PNSL_ISQ_E10value_typeET4_jRbjT5_SW_jjP12ihipStream_tbEUlT_E1_NS1_11comp_targetILNS1_3genE0ELNS1_11target_archE4294967295ELNS1_3gpuE0ELNS1_3repE0EEENS1_59segmented_radix_sort_warp_sort_small_config_static_selectorELNS0_4arch9wavefront6targetE1EEEvSK_.num_vgpr, 0
	.set _ZN7rocprim17ROCPRIM_400000_NS6detail17trampoline_kernelINS0_14default_configENS1_36segmented_radix_sort_config_selectorIdlEEZNS1_25segmented_radix_sort_implIS3_Lb0EPKdPdPKlPlN2at6native12_GLOBAL__N_18offset_tEEE10hipError_tPvRmT1_PNSt15iterator_traitsISK_E10value_typeET2_T3_PNSL_ISQ_E10value_typeET4_jRbjT5_SW_jjP12ihipStream_tbEUlT_E1_NS1_11comp_targetILNS1_3genE0ELNS1_11target_archE4294967295ELNS1_3gpuE0ELNS1_3repE0EEENS1_59segmented_radix_sort_warp_sort_small_config_static_selectorELNS0_4arch9wavefront6targetE1EEEvSK_.num_agpr, 0
	.set _ZN7rocprim17ROCPRIM_400000_NS6detail17trampoline_kernelINS0_14default_configENS1_36segmented_radix_sort_config_selectorIdlEEZNS1_25segmented_radix_sort_implIS3_Lb0EPKdPdPKlPlN2at6native12_GLOBAL__N_18offset_tEEE10hipError_tPvRmT1_PNSt15iterator_traitsISK_E10value_typeET2_T3_PNSL_ISQ_E10value_typeET4_jRbjT5_SW_jjP12ihipStream_tbEUlT_E1_NS1_11comp_targetILNS1_3genE0ELNS1_11target_archE4294967295ELNS1_3gpuE0ELNS1_3repE0EEENS1_59segmented_radix_sort_warp_sort_small_config_static_selectorELNS0_4arch9wavefront6targetE1EEEvSK_.numbered_sgpr, 0
	.set _ZN7rocprim17ROCPRIM_400000_NS6detail17trampoline_kernelINS0_14default_configENS1_36segmented_radix_sort_config_selectorIdlEEZNS1_25segmented_radix_sort_implIS3_Lb0EPKdPdPKlPlN2at6native12_GLOBAL__N_18offset_tEEE10hipError_tPvRmT1_PNSt15iterator_traitsISK_E10value_typeET2_T3_PNSL_ISQ_E10value_typeET4_jRbjT5_SW_jjP12ihipStream_tbEUlT_E1_NS1_11comp_targetILNS1_3genE0ELNS1_11target_archE4294967295ELNS1_3gpuE0ELNS1_3repE0EEENS1_59segmented_radix_sort_warp_sort_small_config_static_selectorELNS0_4arch9wavefront6targetE1EEEvSK_.num_named_barrier, 0
	.set _ZN7rocprim17ROCPRIM_400000_NS6detail17trampoline_kernelINS0_14default_configENS1_36segmented_radix_sort_config_selectorIdlEEZNS1_25segmented_radix_sort_implIS3_Lb0EPKdPdPKlPlN2at6native12_GLOBAL__N_18offset_tEEE10hipError_tPvRmT1_PNSt15iterator_traitsISK_E10value_typeET2_T3_PNSL_ISQ_E10value_typeET4_jRbjT5_SW_jjP12ihipStream_tbEUlT_E1_NS1_11comp_targetILNS1_3genE0ELNS1_11target_archE4294967295ELNS1_3gpuE0ELNS1_3repE0EEENS1_59segmented_radix_sort_warp_sort_small_config_static_selectorELNS0_4arch9wavefront6targetE1EEEvSK_.private_seg_size, 0
	.set _ZN7rocprim17ROCPRIM_400000_NS6detail17trampoline_kernelINS0_14default_configENS1_36segmented_radix_sort_config_selectorIdlEEZNS1_25segmented_radix_sort_implIS3_Lb0EPKdPdPKlPlN2at6native12_GLOBAL__N_18offset_tEEE10hipError_tPvRmT1_PNSt15iterator_traitsISK_E10value_typeET2_T3_PNSL_ISQ_E10value_typeET4_jRbjT5_SW_jjP12ihipStream_tbEUlT_E1_NS1_11comp_targetILNS1_3genE0ELNS1_11target_archE4294967295ELNS1_3gpuE0ELNS1_3repE0EEENS1_59segmented_radix_sort_warp_sort_small_config_static_selectorELNS0_4arch9wavefront6targetE1EEEvSK_.uses_vcc, 0
	.set _ZN7rocprim17ROCPRIM_400000_NS6detail17trampoline_kernelINS0_14default_configENS1_36segmented_radix_sort_config_selectorIdlEEZNS1_25segmented_radix_sort_implIS3_Lb0EPKdPdPKlPlN2at6native12_GLOBAL__N_18offset_tEEE10hipError_tPvRmT1_PNSt15iterator_traitsISK_E10value_typeET2_T3_PNSL_ISQ_E10value_typeET4_jRbjT5_SW_jjP12ihipStream_tbEUlT_E1_NS1_11comp_targetILNS1_3genE0ELNS1_11target_archE4294967295ELNS1_3gpuE0ELNS1_3repE0EEENS1_59segmented_radix_sort_warp_sort_small_config_static_selectorELNS0_4arch9wavefront6targetE1EEEvSK_.uses_flat_scratch, 0
	.set _ZN7rocprim17ROCPRIM_400000_NS6detail17trampoline_kernelINS0_14default_configENS1_36segmented_radix_sort_config_selectorIdlEEZNS1_25segmented_radix_sort_implIS3_Lb0EPKdPdPKlPlN2at6native12_GLOBAL__N_18offset_tEEE10hipError_tPvRmT1_PNSt15iterator_traitsISK_E10value_typeET2_T3_PNSL_ISQ_E10value_typeET4_jRbjT5_SW_jjP12ihipStream_tbEUlT_E1_NS1_11comp_targetILNS1_3genE0ELNS1_11target_archE4294967295ELNS1_3gpuE0ELNS1_3repE0EEENS1_59segmented_radix_sort_warp_sort_small_config_static_selectorELNS0_4arch9wavefront6targetE1EEEvSK_.has_dyn_sized_stack, 0
	.set _ZN7rocprim17ROCPRIM_400000_NS6detail17trampoline_kernelINS0_14default_configENS1_36segmented_radix_sort_config_selectorIdlEEZNS1_25segmented_radix_sort_implIS3_Lb0EPKdPdPKlPlN2at6native12_GLOBAL__N_18offset_tEEE10hipError_tPvRmT1_PNSt15iterator_traitsISK_E10value_typeET2_T3_PNSL_ISQ_E10value_typeET4_jRbjT5_SW_jjP12ihipStream_tbEUlT_E1_NS1_11comp_targetILNS1_3genE0ELNS1_11target_archE4294967295ELNS1_3gpuE0ELNS1_3repE0EEENS1_59segmented_radix_sort_warp_sort_small_config_static_selectorELNS0_4arch9wavefront6targetE1EEEvSK_.has_recursion, 0
	.set _ZN7rocprim17ROCPRIM_400000_NS6detail17trampoline_kernelINS0_14default_configENS1_36segmented_radix_sort_config_selectorIdlEEZNS1_25segmented_radix_sort_implIS3_Lb0EPKdPdPKlPlN2at6native12_GLOBAL__N_18offset_tEEE10hipError_tPvRmT1_PNSt15iterator_traitsISK_E10value_typeET2_T3_PNSL_ISQ_E10value_typeET4_jRbjT5_SW_jjP12ihipStream_tbEUlT_E1_NS1_11comp_targetILNS1_3genE0ELNS1_11target_archE4294967295ELNS1_3gpuE0ELNS1_3repE0EEENS1_59segmented_radix_sort_warp_sort_small_config_static_selectorELNS0_4arch9wavefront6targetE1EEEvSK_.has_indirect_call, 0
	.section	.AMDGPU.csdata,"",@progbits
; Kernel info:
; codeLenInByte = 0
; TotalNumSgprs: 4
; NumVgprs: 0
; ScratchSize: 0
; MemoryBound: 0
; FloatMode: 240
; IeeeMode: 1
; LDSByteSize: 0 bytes/workgroup (compile time only)
; SGPRBlocks: 0
; VGPRBlocks: 0
; NumSGPRsForWavesPerEU: 4
; NumVGPRsForWavesPerEU: 1
; Occupancy: 10
; WaveLimiterHint : 0
; COMPUTE_PGM_RSRC2:SCRATCH_EN: 0
; COMPUTE_PGM_RSRC2:USER_SGPR: 6
; COMPUTE_PGM_RSRC2:TRAP_HANDLER: 0
; COMPUTE_PGM_RSRC2:TGID_X_EN: 1
; COMPUTE_PGM_RSRC2:TGID_Y_EN: 0
; COMPUTE_PGM_RSRC2:TGID_Z_EN: 0
; COMPUTE_PGM_RSRC2:TIDIG_COMP_CNT: 0
	.section	.text._ZN7rocprim17ROCPRIM_400000_NS6detail17trampoline_kernelINS0_14default_configENS1_36segmented_radix_sort_config_selectorIdlEEZNS1_25segmented_radix_sort_implIS3_Lb0EPKdPdPKlPlN2at6native12_GLOBAL__N_18offset_tEEE10hipError_tPvRmT1_PNSt15iterator_traitsISK_E10value_typeET2_T3_PNSL_ISQ_E10value_typeET4_jRbjT5_SW_jjP12ihipStream_tbEUlT_E1_NS1_11comp_targetILNS1_3genE5ELNS1_11target_archE942ELNS1_3gpuE9ELNS1_3repE0EEENS1_59segmented_radix_sort_warp_sort_small_config_static_selectorELNS0_4arch9wavefront6targetE1EEEvSK_,"axG",@progbits,_ZN7rocprim17ROCPRIM_400000_NS6detail17trampoline_kernelINS0_14default_configENS1_36segmented_radix_sort_config_selectorIdlEEZNS1_25segmented_radix_sort_implIS3_Lb0EPKdPdPKlPlN2at6native12_GLOBAL__N_18offset_tEEE10hipError_tPvRmT1_PNSt15iterator_traitsISK_E10value_typeET2_T3_PNSL_ISQ_E10value_typeET4_jRbjT5_SW_jjP12ihipStream_tbEUlT_E1_NS1_11comp_targetILNS1_3genE5ELNS1_11target_archE942ELNS1_3gpuE9ELNS1_3repE0EEENS1_59segmented_radix_sort_warp_sort_small_config_static_selectorELNS0_4arch9wavefront6targetE1EEEvSK_,comdat
	.globl	_ZN7rocprim17ROCPRIM_400000_NS6detail17trampoline_kernelINS0_14default_configENS1_36segmented_radix_sort_config_selectorIdlEEZNS1_25segmented_radix_sort_implIS3_Lb0EPKdPdPKlPlN2at6native12_GLOBAL__N_18offset_tEEE10hipError_tPvRmT1_PNSt15iterator_traitsISK_E10value_typeET2_T3_PNSL_ISQ_E10value_typeET4_jRbjT5_SW_jjP12ihipStream_tbEUlT_E1_NS1_11comp_targetILNS1_3genE5ELNS1_11target_archE942ELNS1_3gpuE9ELNS1_3repE0EEENS1_59segmented_radix_sort_warp_sort_small_config_static_selectorELNS0_4arch9wavefront6targetE1EEEvSK_ ; -- Begin function _ZN7rocprim17ROCPRIM_400000_NS6detail17trampoline_kernelINS0_14default_configENS1_36segmented_radix_sort_config_selectorIdlEEZNS1_25segmented_radix_sort_implIS3_Lb0EPKdPdPKlPlN2at6native12_GLOBAL__N_18offset_tEEE10hipError_tPvRmT1_PNSt15iterator_traitsISK_E10value_typeET2_T3_PNSL_ISQ_E10value_typeET4_jRbjT5_SW_jjP12ihipStream_tbEUlT_E1_NS1_11comp_targetILNS1_3genE5ELNS1_11target_archE942ELNS1_3gpuE9ELNS1_3repE0EEENS1_59segmented_radix_sort_warp_sort_small_config_static_selectorELNS0_4arch9wavefront6targetE1EEEvSK_
	.p2align	8
	.type	_ZN7rocprim17ROCPRIM_400000_NS6detail17trampoline_kernelINS0_14default_configENS1_36segmented_radix_sort_config_selectorIdlEEZNS1_25segmented_radix_sort_implIS3_Lb0EPKdPdPKlPlN2at6native12_GLOBAL__N_18offset_tEEE10hipError_tPvRmT1_PNSt15iterator_traitsISK_E10value_typeET2_T3_PNSL_ISQ_E10value_typeET4_jRbjT5_SW_jjP12ihipStream_tbEUlT_E1_NS1_11comp_targetILNS1_3genE5ELNS1_11target_archE942ELNS1_3gpuE9ELNS1_3repE0EEENS1_59segmented_radix_sort_warp_sort_small_config_static_selectorELNS0_4arch9wavefront6targetE1EEEvSK_,@function
_ZN7rocprim17ROCPRIM_400000_NS6detail17trampoline_kernelINS0_14default_configENS1_36segmented_radix_sort_config_selectorIdlEEZNS1_25segmented_radix_sort_implIS3_Lb0EPKdPdPKlPlN2at6native12_GLOBAL__N_18offset_tEEE10hipError_tPvRmT1_PNSt15iterator_traitsISK_E10value_typeET2_T3_PNSL_ISQ_E10value_typeET4_jRbjT5_SW_jjP12ihipStream_tbEUlT_E1_NS1_11comp_targetILNS1_3genE5ELNS1_11target_archE942ELNS1_3gpuE9ELNS1_3repE0EEENS1_59segmented_radix_sort_warp_sort_small_config_static_selectorELNS0_4arch9wavefront6targetE1EEEvSK_: ; @_ZN7rocprim17ROCPRIM_400000_NS6detail17trampoline_kernelINS0_14default_configENS1_36segmented_radix_sort_config_selectorIdlEEZNS1_25segmented_radix_sort_implIS3_Lb0EPKdPdPKlPlN2at6native12_GLOBAL__N_18offset_tEEE10hipError_tPvRmT1_PNSt15iterator_traitsISK_E10value_typeET2_T3_PNSL_ISQ_E10value_typeET4_jRbjT5_SW_jjP12ihipStream_tbEUlT_E1_NS1_11comp_targetILNS1_3genE5ELNS1_11target_archE942ELNS1_3gpuE9ELNS1_3repE0EEENS1_59segmented_radix_sort_warp_sort_small_config_static_selectorELNS0_4arch9wavefront6targetE1EEEvSK_
; %bb.0:
	.section	.rodata,"a",@progbits
	.p2align	6, 0x0
	.amdhsa_kernel _ZN7rocprim17ROCPRIM_400000_NS6detail17trampoline_kernelINS0_14default_configENS1_36segmented_radix_sort_config_selectorIdlEEZNS1_25segmented_radix_sort_implIS3_Lb0EPKdPdPKlPlN2at6native12_GLOBAL__N_18offset_tEEE10hipError_tPvRmT1_PNSt15iterator_traitsISK_E10value_typeET2_T3_PNSL_ISQ_E10value_typeET4_jRbjT5_SW_jjP12ihipStream_tbEUlT_E1_NS1_11comp_targetILNS1_3genE5ELNS1_11target_archE942ELNS1_3gpuE9ELNS1_3repE0EEENS1_59segmented_radix_sort_warp_sort_small_config_static_selectorELNS0_4arch9wavefront6targetE1EEEvSK_
		.amdhsa_group_segment_fixed_size 0
		.amdhsa_private_segment_fixed_size 0
		.amdhsa_kernarg_size 88
		.amdhsa_user_sgpr_count 6
		.amdhsa_user_sgpr_private_segment_buffer 1
		.amdhsa_user_sgpr_dispatch_ptr 0
		.amdhsa_user_sgpr_queue_ptr 0
		.amdhsa_user_sgpr_kernarg_segment_ptr 1
		.amdhsa_user_sgpr_dispatch_id 0
		.amdhsa_user_sgpr_flat_scratch_init 0
		.amdhsa_user_sgpr_private_segment_size 0
		.amdhsa_uses_dynamic_stack 0
		.amdhsa_system_sgpr_private_segment_wavefront_offset 0
		.amdhsa_system_sgpr_workgroup_id_x 1
		.amdhsa_system_sgpr_workgroup_id_y 0
		.amdhsa_system_sgpr_workgroup_id_z 0
		.amdhsa_system_sgpr_workgroup_info 0
		.amdhsa_system_vgpr_workitem_id 0
		.amdhsa_next_free_vgpr 1
		.amdhsa_next_free_sgpr 0
		.amdhsa_reserve_vcc 0
		.amdhsa_reserve_flat_scratch 0
		.amdhsa_float_round_mode_32 0
		.amdhsa_float_round_mode_16_64 0
		.amdhsa_float_denorm_mode_32 3
		.amdhsa_float_denorm_mode_16_64 3
		.amdhsa_dx10_clamp 1
		.amdhsa_ieee_mode 1
		.amdhsa_fp16_overflow 0
		.amdhsa_exception_fp_ieee_invalid_op 0
		.amdhsa_exception_fp_denorm_src 0
		.amdhsa_exception_fp_ieee_div_zero 0
		.amdhsa_exception_fp_ieee_overflow 0
		.amdhsa_exception_fp_ieee_underflow 0
		.amdhsa_exception_fp_ieee_inexact 0
		.amdhsa_exception_int_div_zero 0
	.end_amdhsa_kernel
	.section	.text._ZN7rocprim17ROCPRIM_400000_NS6detail17trampoline_kernelINS0_14default_configENS1_36segmented_radix_sort_config_selectorIdlEEZNS1_25segmented_radix_sort_implIS3_Lb0EPKdPdPKlPlN2at6native12_GLOBAL__N_18offset_tEEE10hipError_tPvRmT1_PNSt15iterator_traitsISK_E10value_typeET2_T3_PNSL_ISQ_E10value_typeET4_jRbjT5_SW_jjP12ihipStream_tbEUlT_E1_NS1_11comp_targetILNS1_3genE5ELNS1_11target_archE942ELNS1_3gpuE9ELNS1_3repE0EEENS1_59segmented_radix_sort_warp_sort_small_config_static_selectorELNS0_4arch9wavefront6targetE1EEEvSK_,"axG",@progbits,_ZN7rocprim17ROCPRIM_400000_NS6detail17trampoline_kernelINS0_14default_configENS1_36segmented_radix_sort_config_selectorIdlEEZNS1_25segmented_radix_sort_implIS3_Lb0EPKdPdPKlPlN2at6native12_GLOBAL__N_18offset_tEEE10hipError_tPvRmT1_PNSt15iterator_traitsISK_E10value_typeET2_T3_PNSL_ISQ_E10value_typeET4_jRbjT5_SW_jjP12ihipStream_tbEUlT_E1_NS1_11comp_targetILNS1_3genE5ELNS1_11target_archE942ELNS1_3gpuE9ELNS1_3repE0EEENS1_59segmented_radix_sort_warp_sort_small_config_static_selectorELNS0_4arch9wavefront6targetE1EEEvSK_,comdat
.Lfunc_end1242:
	.size	_ZN7rocprim17ROCPRIM_400000_NS6detail17trampoline_kernelINS0_14default_configENS1_36segmented_radix_sort_config_selectorIdlEEZNS1_25segmented_radix_sort_implIS3_Lb0EPKdPdPKlPlN2at6native12_GLOBAL__N_18offset_tEEE10hipError_tPvRmT1_PNSt15iterator_traitsISK_E10value_typeET2_T3_PNSL_ISQ_E10value_typeET4_jRbjT5_SW_jjP12ihipStream_tbEUlT_E1_NS1_11comp_targetILNS1_3genE5ELNS1_11target_archE942ELNS1_3gpuE9ELNS1_3repE0EEENS1_59segmented_radix_sort_warp_sort_small_config_static_selectorELNS0_4arch9wavefront6targetE1EEEvSK_, .Lfunc_end1242-_ZN7rocprim17ROCPRIM_400000_NS6detail17trampoline_kernelINS0_14default_configENS1_36segmented_radix_sort_config_selectorIdlEEZNS1_25segmented_radix_sort_implIS3_Lb0EPKdPdPKlPlN2at6native12_GLOBAL__N_18offset_tEEE10hipError_tPvRmT1_PNSt15iterator_traitsISK_E10value_typeET2_T3_PNSL_ISQ_E10value_typeET4_jRbjT5_SW_jjP12ihipStream_tbEUlT_E1_NS1_11comp_targetILNS1_3genE5ELNS1_11target_archE942ELNS1_3gpuE9ELNS1_3repE0EEENS1_59segmented_radix_sort_warp_sort_small_config_static_selectorELNS0_4arch9wavefront6targetE1EEEvSK_
                                        ; -- End function
	.set _ZN7rocprim17ROCPRIM_400000_NS6detail17trampoline_kernelINS0_14default_configENS1_36segmented_radix_sort_config_selectorIdlEEZNS1_25segmented_radix_sort_implIS3_Lb0EPKdPdPKlPlN2at6native12_GLOBAL__N_18offset_tEEE10hipError_tPvRmT1_PNSt15iterator_traitsISK_E10value_typeET2_T3_PNSL_ISQ_E10value_typeET4_jRbjT5_SW_jjP12ihipStream_tbEUlT_E1_NS1_11comp_targetILNS1_3genE5ELNS1_11target_archE942ELNS1_3gpuE9ELNS1_3repE0EEENS1_59segmented_radix_sort_warp_sort_small_config_static_selectorELNS0_4arch9wavefront6targetE1EEEvSK_.num_vgpr, 0
	.set _ZN7rocprim17ROCPRIM_400000_NS6detail17trampoline_kernelINS0_14default_configENS1_36segmented_radix_sort_config_selectorIdlEEZNS1_25segmented_radix_sort_implIS3_Lb0EPKdPdPKlPlN2at6native12_GLOBAL__N_18offset_tEEE10hipError_tPvRmT1_PNSt15iterator_traitsISK_E10value_typeET2_T3_PNSL_ISQ_E10value_typeET4_jRbjT5_SW_jjP12ihipStream_tbEUlT_E1_NS1_11comp_targetILNS1_3genE5ELNS1_11target_archE942ELNS1_3gpuE9ELNS1_3repE0EEENS1_59segmented_radix_sort_warp_sort_small_config_static_selectorELNS0_4arch9wavefront6targetE1EEEvSK_.num_agpr, 0
	.set _ZN7rocprim17ROCPRIM_400000_NS6detail17trampoline_kernelINS0_14default_configENS1_36segmented_radix_sort_config_selectorIdlEEZNS1_25segmented_radix_sort_implIS3_Lb0EPKdPdPKlPlN2at6native12_GLOBAL__N_18offset_tEEE10hipError_tPvRmT1_PNSt15iterator_traitsISK_E10value_typeET2_T3_PNSL_ISQ_E10value_typeET4_jRbjT5_SW_jjP12ihipStream_tbEUlT_E1_NS1_11comp_targetILNS1_3genE5ELNS1_11target_archE942ELNS1_3gpuE9ELNS1_3repE0EEENS1_59segmented_radix_sort_warp_sort_small_config_static_selectorELNS0_4arch9wavefront6targetE1EEEvSK_.numbered_sgpr, 0
	.set _ZN7rocprim17ROCPRIM_400000_NS6detail17trampoline_kernelINS0_14default_configENS1_36segmented_radix_sort_config_selectorIdlEEZNS1_25segmented_radix_sort_implIS3_Lb0EPKdPdPKlPlN2at6native12_GLOBAL__N_18offset_tEEE10hipError_tPvRmT1_PNSt15iterator_traitsISK_E10value_typeET2_T3_PNSL_ISQ_E10value_typeET4_jRbjT5_SW_jjP12ihipStream_tbEUlT_E1_NS1_11comp_targetILNS1_3genE5ELNS1_11target_archE942ELNS1_3gpuE9ELNS1_3repE0EEENS1_59segmented_radix_sort_warp_sort_small_config_static_selectorELNS0_4arch9wavefront6targetE1EEEvSK_.num_named_barrier, 0
	.set _ZN7rocprim17ROCPRIM_400000_NS6detail17trampoline_kernelINS0_14default_configENS1_36segmented_radix_sort_config_selectorIdlEEZNS1_25segmented_radix_sort_implIS3_Lb0EPKdPdPKlPlN2at6native12_GLOBAL__N_18offset_tEEE10hipError_tPvRmT1_PNSt15iterator_traitsISK_E10value_typeET2_T3_PNSL_ISQ_E10value_typeET4_jRbjT5_SW_jjP12ihipStream_tbEUlT_E1_NS1_11comp_targetILNS1_3genE5ELNS1_11target_archE942ELNS1_3gpuE9ELNS1_3repE0EEENS1_59segmented_radix_sort_warp_sort_small_config_static_selectorELNS0_4arch9wavefront6targetE1EEEvSK_.private_seg_size, 0
	.set _ZN7rocprim17ROCPRIM_400000_NS6detail17trampoline_kernelINS0_14default_configENS1_36segmented_radix_sort_config_selectorIdlEEZNS1_25segmented_radix_sort_implIS3_Lb0EPKdPdPKlPlN2at6native12_GLOBAL__N_18offset_tEEE10hipError_tPvRmT1_PNSt15iterator_traitsISK_E10value_typeET2_T3_PNSL_ISQ_E10value_typeET4_jRbjT5_SW_jjP12ihipStream_tbEUlT_E1_NS1_11comp_targetILNS1_3genE5ELNS1_11target_archE942ELNS1_3gpuE9ELNS1_3repE0EEENS1_59segmented_radix_sort_warp_sort_small_config_static_selectorELNS0_4arch9wavefront6targetE1EEEvSK_.uses_vcc, 0
	.set _ZN7rocprim17ROCPRIM_400000_NS6detail17trampoline_kernelINS0_14default_configENS1_36segmented_radix_sort_config_selectorIdlEEZNS1_25segmented_radix_sort_implIS3_Lb0EPKdPdPKlPlN2at6native12_GLOBAL__N_18offset_tEEE10hipError_tPvRmT1_PNSt15iterator_traitsISK_E10value_typeET2_T3_PNSL_ISQ_E10value_typeET4_jRbjT5_SW_jjP12ihipStream_tbEUlT_E1_NS1_11comp_targetILNS1_3genE5ELNS1_11target_archE942ELNS1_3gpuE9ELNS1_3repE0EEENS1_59segmented_radix_sort_warp_sort_small_config_static_selectorELNS0_4arch9wavefront6targetE1EEEvSK_.uses_flat_scratch, 0
	.set _ZN7rocprim17ROCPRIM_400000_NS6detail17trampoline_kernelINS0_14default_configENS1_36segmented_radix_sort_config_selectorIdlEEZNS1_25segmented_radix_sort_implIS3_Lb0EPKdPdPKlPlN2at6native12_GLOBAL__N_18offset_tEEE10hipError_tPvRmT1_PNSt15iterator_traitsISK_E10value_typeET2_T3_PNSL_ISQ_E10value_typeET4_jRbjT5_SW_jjP12ihipStream_tbEUlT_E1_NS1_11comp_targetILNS1_3genE5ELNS1_11target_archE942ELNS1_3gpuE9ELNS1_3repE0EEENS1_59segmented_radix_sort_warp_sort_small_config_static_selectorELNS0_4arch9wavefront6targetE1EEEvSK_.has_dyn_sized_stack, 0
	.set _ZN7rocprim17ROCPRIM_400000_NS6detail17trampoline_kernelINS0_14default_configENS1_36segmented_radix_sort_config_selectorIdlEEZNS1_25segmented_radix_sort_implIS3_Lb0EPKdPdPKlPlN2at6native12_GLOBAL__N_18offset_tEEE10hipError_tPvRmT1_PNSt15iterator_traitsISK_E10value_typeET2_T3_PNSL_ISQ_E10value_typeET4_jRbjT5_SW_jjP12ihipStream_tbEUlT_E1_NS1_11comp_targetILNS1_3genE5ELNS1_11target_archE942ELNS1_3gpuE9ELNS1_3repE0EEENS1_59segmented_radix_sort_warp_sort_small_config_static_selectorELNS0_4arch9wavefront6targetE1EEEvSK_.has_recursion, 0
	.set _ZN7rocprim17ROCPRIM_400000_NS6detail17trampoline_kernelINS0_14default_configENS1_36segmented_radix_sort_config_selectorIdlEEZNS1_25segmented_radix_sort_implIS3_Lb0EPKdPdPKlPlN2at6native12_GLOBAL__N_18offset_tEEE10hipError_tPvRmT1_PNSt15iterator_traitsISK_E10value_typeET2_T3_PNSL_ISQ_E10value_typeET4_jRbjT5_SW_jjP12ihipStream_tbEUlT_E1_NS1_11comp_targetILNS1_3genE5ELNS1_11target_archE942ELNS1_3gpuE9ELNS1_3repE0EEENS1_59segmented_radix_sort_warp_sort_small_config_static_selectorELNS0_4arch9wavefront6targetE1EEEvSK_.has_indirect_call, 0
	.section	.AMDGPU.csdata,"",@progbits
; Kernel info:
; codeLenInByte = 0
; TotalNumSgprs: 4
; NumVgprs: 0
; ScratchSize: 0
; MemoryBound: 0
; FloatMode: 240
; IeeeMode: 1
; LDSByteSize: 0 bytes/workgroup (compile time only)
; SGPRBlocks: 0
; VGPRBlocks: 0
; NumSGPRsForWavesPerEU: 4
; NumVGPRsForWavesPerEU: 1
; Occupancy: 10
; WaveLimiterHint : 0
; COMPUTE_PGM_RSRC2:SCRATCH_EN: 0
; COMPUTE_PGM_RSRC2:USER_SGPR: 6
; COMPUTE_PGM_RSRC2:TRAP_HANDLER: 0
; COMPUTE_PGM_RSRC2:TGID_X_EN: 1
; COMPUTE_PGM_RSRC2:TGID_Y_EN: 0
; COMPUTE_PGM_RSRC2:TGID_Z_EN: 0
; COMPUTE_PGM_RSRC2:TIDIG_COMP_CNT: 0
	.section	.text._ZN7rocprim17ROCPRIM_400000_NS6detail17trampoline_kernelINS0_14default_configENS1_36segmented_radix_sort_config_selectorIdlEEZNS1_25segmented_radix_sort_implIS3_Lb0EPKdPdPKlPlN2at6native12_GLOBAL__N_18offset_tEEE10hipError_tPvRmT1_PNSt15iterator_traitsISK_E10value_typeET2_T3_PNSL_ISQ_E10value_typeET4_jRbjT5_SW_jjP12ihipStream_tbEUlT_E1_NS1_11comp_targetILNS1_3genE4ELNS1_11target_archE910ELNS1_3gpuE8ELNS1_3repE0EEENS1_59segmented_radix_sort_warp_sort_small_config_static_selectorELNS0_4arch9wavefront6targetE1EEEvSK_,"axG",@progbits,_ZN7rocprim17ROCPRIM_400000_NS6detail17trampoline_kernelINS0_14default_configENS1_36segmented_radix_sort_config_selectorIdlEEZNS1_25segmented_radix_sort_implIS3_Lb0EPKdPdPKlPlN2at6native12_GLOBAL__N_18offset_tEEE10hipError_tPvRmT1_PNSt15iterator_traitsISK_E10value_typeET2_T3_PNSL_ISQ_E10value_typeET4_jRbjT5_SW_jjP12ihipStream_tbEUlT_E1_NS1_11comp_targetILNS1_3genE4ELNS1_11target_archE910ELNS1_3gpuE8ELNS1_3repE0EEENS1_59segmented_radix_sort_warp_sort_small_config_static_selectorELNS0_4arch9wavefront6targetE1EEEvSK_,comdat
	.globl	_ZN7rocprim17ROCPRIM_400000_NS6detail17trampoline_kernelINS0_14default_configENS1_36segmented_radix_sort_config_selectorIdlEEZNS1_25segmented_radix_sort_implIS3_Lb0EPKdPdPKlPlN2at6native12_GLOBAL__N_18offset_tEEE10hipError_tPvRmT1_PNSt15iterator_traitsISK_E10value_typeET2_T3_PNSL_ISQ_E10value_typeET4_jRbjT5_SW_jjP12ihipStream_tbEUlT_E1_NS1_11comp_targetILNS1_3genE4ELNS1_11target_archE910ELNS1_3gpuE8ELNS1_3repE0EEENS1_59segmented_radix_sort_warp_sort_small_config_static_selectorELNS0_4arch9wavefront6targetE1EEEvSK_ ; -- Begin function _ZN7rocprim17ROCPRIM_400000_NS6detail17trampoline_kernelINS0_14default_configENS1_36segmented_radix_sort_config_selectorIdlEEZNS1_25segmented_radix_sort_implIS3_Lb0EPKdPdPKlPlN2at6native12_GLOBAL__N_18offset_tEEE10hipError_tPvRmT1_PNSt15iterator_traitsISK_E10value_typeET2_T3_PNSL_ISQ_E10value_typeET4_jRbjT5_SW_jjP12ihipStream_tbEUlT_E1_NS1_11comp_targetILNS1_3genE4ELNS1_11target_archE910ELNS1_3gpuE8ELNS1_3repE0EEENS1_59segmented_radix_sort_warp_sort_small_config_static_selectorELNS0_4arch9wavefront6targetE1EEEvSK_
	.p2align	8
	.type	_ZN7rocprim17ROCPRIM_400000_NS6detail17trampoline_kernelINS0_14default_configENS1_36segmented_radix_sort_config_selectorIdlEEZNS1_25segmented_radix_sort_implIS3_Lb0EPKdPdPKlPlN2at6native12_GLOBAL__N_18offset_tEEE10hipError_tPvRmT1_PNSt15iterator_traitsISK_E10value_typeET2_T3_PNSL_ISQ_E10value_typeET4_jRbjT5_SW_jjP12ihipStream_tbEUlT_E1_NS1_11comp_targetILNS1_3genE4ELNS1_11target_archE910ELNS1_3gpuE8ELNS1_3repE0EEENS1_59segmented_radix_sort_warp_sort_small_config_static_selectorELNS0_4arch9wavefront6targetE1EEEvSK_,@function
_ZN7rocprim17ROCPRIM_400000_NS6detail17trampoline_kernelINS0_14default_configENS1_36segmented_radix_sort_config_selectorIdlEEZNS1_25segmented_radix_sort_implIS3_Lb0EPKdPdPKlPlN2at6native12_GLOBAL__N_18offset_tEEE10hipError_tPvRmT1_PNSt15iterator_traitsISK_E10value_typeET2_T3_PNSL_ISQ_E10value_typeET4_jRbjT5_SW_jjP12ihipStream_tbEUlT_E1_NS1_11comp_targetILNS1_3genE4ELNS1_11target_archE910ELNS1_3gpuE8ELNS1_3repE0EEENS1_59segmented_radix_sort_warp_sort_small_config_static_selectorELNS0_4arch9wavefront6targetE1EEEvSK_: ; @_ZN7rocprim17ROCPRIM_400000_NS6detail17trampoline_kernelINS0_14default_configENS1_36segmented_radix_sort_config_selectorIdlEEZNS1_25segmented_radix_sort_implIS3_Lb0EPKdPdPKlPlN2at6native12_GLOBAL__N_18offset_tEEE10hipError_tPvRmT1_PNSt15iterator_traitsISK_E10value_typeET2_T3_PNSL_ISQ_E10value_typeET4_jRbjT5_SW_jjP12ihipStream_tbEUlT_E1_NS1_11comp_targetILNS1_3genE4ELNS1_11target_archE910ELNS1_3gpuE8ELNS1_3repE0EEENS1_59segmented_radix_sort_warp_sort_small_config_static_selectorELNS0_4arch9wavefront6targetE1EEEvSK_
; %bb.0:
	.section	.rodata,"a",@progbits
	.p2align	6, 0x0
	.amdhsa_kernel _ZN7rocprim17ROCPRIM_400000_NS6detail17trampoline_kernelINS0_14default_configENS1_36segmented_radix_sort_config_selectorIdlEEZNS1_25segmented_radix_sort_implIS3_Lb0EPKdPdPKlPlN2at6native12_GLOBAL__N_18offset_tEEE10hipError_tPvRmT1_PNSt15iterator_traitsISK_E10value_typeET2_T3_PNSL_ISQ_E10value_typeET4_jRbjT5_SW_jjP12ihipStream_tbEUlT_E1_NS1_11comp_targetILNS1_3genE4ELNS1_11target_archE910ELNS1_3gpuE8ELNS1_3repE0EEENS1_59segmented_radix_sort_warp_sort_small_config_static_selectorELNS0_4arch9wavefront6targetE1EEEvSK_
		.amdhsa_group_segment_fixed_size 0
		.amdhsa_private_segment_fixed_size 0
		.amdhsa_kernarg_size 88
		.amdhsa_user_sgpr_count 6
		.amdhsa_user_sgpr_private_segment_buffer 1
		.amdhsa_user_sgpr_dispatch_ptr 0
		.amdhsa_user_sgpr_queue_ptr 0
		.amdhsa_user_sgpr_kernarg_segment_ptr 1
		.amdhsa_user_sgpr_dispatch_id 0
		.amdhsa_user_sgpr_flat_scratch_init 0
		.amdhsa_user_sgpr_private_segment_size 0
		.amdhsa_uses_dynamic_stack 0
		.amdhsa_system_sgpr_private_segment_wavefront_offset 0
		.amdhsa_system_sgpr_workgroup_id_x 1
		.amdhsa_system_sgpr_workgroup_id_y 0
		.amdhsa_system_sgpr_workgroup_id_z 0
		.amdhsa_system_sgpr_workgroup_info 0
		.amdhsa_system_vgpr_workitem_id 0
		.amdhsa_next_free_vgpr 1
		.amdhsa_next_free_sgpr 0
		.amdhsa_reserve_vcc 0
		.amdhsa_reserve_flat_scratch 0
		.amdhsa_float_round_mode_32 0
		.amdhsa_float_round_mode_16_64 0
		.amdhsa_float_denorm_mode_32 3
		.amdhsa_float_denorm_mode_16_64 3
		.amdhsa_dx10_clamp 1
		.amdhsa_ieee_mode 1
		.amdhsa_fp16_overflow 0
		.amdhsa_exception_fp_ieee_invalid_op 0
		.amdhsa_exception_fp_denorm_src 0
		.amdhsa_exception_fp_ieee_div_zero 0
		.amdhsa_exception_fp_ieee_overflow 0
		.amdhsa_exception_fp_ieee_underflow 0
		.amdhsa_exception_fp_ieee_inexact 0
		.amdhsa_exception_int_div_zero 0
	.end_amdhsa_kernel
	.section	.text._ZN7rocprim17ROCPRIM_400000_NS6detail17trampoline_kernelINS0_14default_configENS1_36segmented_radix_sort_config_selectorIdlEEZNS1_25segmented_radix_sort_implIS3_Lb0EPKdPdPKlPlN2at6native12_GLOBAL__N_18offset_tEEE10hipError_tPvRmT1_PNSt15iterator_traitsISK_E10value_typeET2_T3_PNSL_ISQ_E10value_typeET4_jRbjT5_SW_jjP12ihipStream_tbEUlT_E1_NS1_11comp_targetILNS1_3genE4ELNS1_11target_archE910ELNS1_3gpuE8ELNS1_3repE0EEENS1_59segmented_radix_sort_warp_sort_small_config_static_selectorELNS0_4arch9wavefront6targetE1EEEvSK_,"axG",@progbits,_ZN7rocprim17ROCPRIM_400000_NS6detail17trampoline_kernelINS0_14default_configENS1_36segmented_radix_sort_config_selectorIdlEEZNS1_25segmented_radix_sort_implIS3_Lb0EPKdPdPKlPlN2at6native12_GLOBAL__N_18offset_tEEE10hipError_tPvRmT1_PNSt15iterator_traitsISK_E10value_typeET2_T3_PNSL_ISQ_E10value_typeET4_jRbjT5_SW_jjP12ihipStream_tbEUlT_E1_NS1_11comp_targetILNS1_3genE4ELNS1_11target_archE910ELNS1_3gpuE8ELNS1_3repE0EEENS1_59segmented_radix_sort_warp_sort_small_config_static_selectorELNS0_4arch9wavefront6targetE1EEEvSK_,comdat
.Lfunc_end1243:
	.size	_ZN7rocprim17ROCPRIM_400000_NS6detail17trampoline_kernelINS0_14default_configENS1_36segmented_radix_sort_config_selectorIdlEEZNS1_25segmented_radix_sort_implIS3_Lb0EPKdPdPKlPlN2at6native12_GLOBAL__N_18offset_tEEE10hipError_tPvRmT1_PNSt15iterator_traitsISK_E10value_typeET2_T3_PNSL_ISQ_E10value_typeET4_jRbjT5_SW_jjP12ihipStream_tbEUlT_E1_NS1_11comp_targetILNS1_3genE4ELNS1_11target_archE910ELNS1_3gpuE8ELNS1_3repE0EEENS1_59segmented_radix_sort_warp_sort_small_config_static_selectorELNS0_4arch9wavefront6targetE1EEEvSK_, .Lfunc_end1243-_ZN7rocprim17ROCPRIM_400000_NS6detail17trampoline_kernelINS0_14default_configENS1_36segmented_radix_sort_config_selectorIdlEEZNS1_25segmented_radix_sort_implIS3_Lb0EPKdPdPKlPlN2at6native12_GLOBAL__N_18offset_tEEE10hipError_tPvRmT1_PNSt15iterator_traitsISK_E10value_typeET2_T3_PNSL_ISQ_E10value_typeET4_jRbjT5_SW_jjP12ihipStream_tbEUlT_E1_NS1_11comp_targetILNS1_3genE4ELNS1_11target_archE910ELNS1_3gpuE8ELNS1_3repE0EEENS1_59segmented_radix_sort_warp_sort_small_config_static_selectorELNS0_4arch9wavefront6targetE1EEEvSK_
                                        ; -- End function
	.set _ZN7rocprim17ROCPRIM_400000_NS6detail17trampoline_kernelINS0_14default_configENS1_36segmented_radix_sort_config_selectorIdlEEZNS1_25segmented_radix_sort_implIS3_Lb0EPKdPdPKlPlN2at6native12_GLOBAL__N_18offset_tEEE10hipError_tPvRmT1_PNSt15iterator_traitsISK_E10value_typeET2_T3_PNSL_ISQ_E10value_typeET4_jRbjT5_SW_jjP12ihipStream_tbEUlT_E1_NS1_11comp_targetILNS1_3genE4ELNS1_11target_archE910ELNS1_3gpuE8ELNS1_3repE0EEENS1_59segmented_radix_sort_warp_sort_small_config_static_selectorELNS0_4arch9wavefront6targetE1EEEvSK_.num_vgpr, 0
	.set _ZN7rocprim17ROCPRIM_400000_NS6detail17trampoline_kernelINS0_14default_configENS1_36segmented_radix_sort_config_selectorIdlEEZNS1_25segmented_radix_sort_implIS3_Lb0EPKdPdPKlPlN2at6native12_GLOBAL__N_18offset_tEEE10hipError_tPvRmT1_PNSt15iterator_traitsISK_E10value_typeET2_T3_PNSL_ISQ_E10value_typeET4_jRbjT5_SW_jjP12ihipStream_tbEUlT_E1_NS1_11comp_targetILNS1_3genE4ELNS1_11target_archE910ELNS1_3gpuE8ELNS1_3repE0EEENS1_59segmented_radix_sort_warp_sort_small_config_static_selectorELNS0_4arch9wavefront6targetE1EEEvSK_.num_agpr, 0
	.set _ZN7rocprim17ROCPRIM_400000_NS6detail17trampoline_kernelINS0_14default_configENS1_36segmented_radix_sort_config_selectorIdlEEZNS1_25segmented_radix_sort_implIS3_Lb0EPKdPdPKlPlN2at6native12_GLOBAL__N_18offset_tEEE10hipError_tPvRmT1_PNSt15iterator_traitsISK_E10value_typeET2_T3_PNSL_ISQ_E10value_typeET4_jRbjT5_SW_jjP12ihipStream_tbEUlT_E1_NS1_11comp_targetILNS1_3genE4ELNS1_11target_archE910ELNS1_3gpuE8ELNS1_3repE0EEENS1_59segmented_radix_sort_warp_sort_small_config_static_selectorELNS0_4arch9wavefront6targetE1EEEvSK_.numbered_sgpr, 0
	.set _ZN7rocprim17ROCPRIM_400000_NS6detail17trampoline_kernelINS0_14default_configENS1_36segmented_radix_sort_config_selectorIdlEEZNS1_25segmented_radix_sort_implIS3_Lb0EPKdPdPKlPlN2at6native12_GLOBAL__N_18offset_tEEE10hipError_tPvRmT1_PNSt15iterator_traitsISK_E10value_typeET2_T3_PNSL_ISQ_E10value_typeET4_jRbjT5_SW_jjP12ihipStream_tbEUlT_E1_NS1_11comp_targetILNS1_3genE4ELNS1_11target_archE910ELNS1_3gpuE8ELNS1_3repE0EEENS1_59segmented_radix_sort_warp_sort_small_config_static_selectorELNS0_4arch9wavefront6targetE1EEEvSK_.num_named_barrier, 0
	.set _ZN7rocprim17ROCPRIM_400000_NS6detail17trampoline_kernelINS0_14default_configENS1_36segmented_radix_sort_config_selectorIdlEEZNS1_25segmented_radix_sort_implIS3_Lb0EPKdPdPKlPlN2at6native12_GLOBAL__N_18offset_tEEE10hipError_tPvRmT1_PNSt15iterator_traitsISK_E10value_typeET2_T3_PNSL_ISQ_E10value_typeET4_jRbjT5_SW_jjP12ihipStream_tbEUlT_E1_NS1_11comp_targetILNS1_3genE4ELNS1_11target_archE910ELNS1_3gpuE8ELNS1_3repE0EEENS1_59segmented_radix_sort_warp_sort_small_config_static_selectorELNS0_4arch9wavefront6targetE1EEEvSK_.private_seg_size, 0
	.set _ZN7rocprim17ROCPRIM_400000_NS6detail17trampoline_kernelINS0_14default_configENS1_36segmented_radix_sort_config_selectorIdlEEZNS1_25segmented_radix_sort_implIS3_Lb0EPKdPdPKlPlN2at6native12_GLOBAL__N_18offset_tEEE10hipError_tPvRmT1_PNSt15iterator_traitsISK_E10value_typeET2_T3_PNSL_ISQ_E10value_typeET4_jRbjT5_SW_jjP12ihipStream_tbEUlT_E1_NS1_11comp_targetILNS1_3genE4ELNS1_11target_archE910ELNS1_3gpuE8ELNS1_3repE0EEENS1_59segmented_radix_sort_warp_sort_small_config_static_selectorELNS0_4arch9wavefront6targetE1EEEvSK_.uses_vcc, 0
	.set _ZN7rocprim17ROCPRIM_400000_NS6detail17trampoline_kernelINS0_14default_configENS1_36segmented_radix_sort_config_selectorIdlEEZNS1_25segmented_radix_sort_implIS3_Lb0EPKdPdPKlPlN2at6native12_GLOBAL__N_18offset_tEEE10hipError_tPvRmT1_PNSt15iterator_traitsISK_E10value_typeET2_T3_PNSL_ISQ_E10value_typeET4_jRbjT5_SW_jjP12ihipStream_tbEUlT_E1_NS1_11comp_targetILNS1_3genE4ELNS1_11target_archE910ELNS1_3gpuE8ELNS1_3repE0EEENS1_59segmented_radix_sort_warp_sort_small_config_static_selectorELNS0_4arch9wavefront6targetE1EEEvSK_.uses_flat_scratch, 0
	.set _ZN7rocprim17ROCPRIM_400000_NS6detail17trampoline_kernelINS0_14default_configENS1_36segmented_radix_sort_config_selectorIdlEEZNS1_25segmented_radix_sort_implIS3_Lb0EPKdPdPKlPlN2at6native12_GLOBAL__N_18offset_tEEE10hipError_tPvRmT1_PNSt15iterator_traitsISK_E10value_typeET2_T3_PNSL_ISQ_E10value_typeET4_jRbjT5_SW_jjP12ihipStream_tbEUlT_E1_NS1_11comp_targetILNS1_3genE4ELNS1_11target_archE910ELNS1_3gpuE8ELNS1_3repE0EEENS1_59segmented_radix_sort_warp_sort_small_config_static_selectorELNS0_4arch9wavefront6targetE1EEEvSK_.has_dyn_sized_stack, 0
	.set _ZN7rocprim17ROCPRIM_400000_NS6detail17trampoline_kernelINS0_14default_configENS1_36segmented_radix_sort_config_selectorIdlEEZNS1_25segmented_radix_sort_implIS3_Lb0EPKdPdPKlPlN2at6native12_GLOBAL__N_18offset_tEEE10hipError_tPvRmT1_PNSt15iterator_traitsISK_E10value_typeET2_T3_PNSL_ISQ_E10value_typeET4_jRbjT5_SW_jjP12ihipStream_tbEUlT_E1_NS1_11comp_targetILNS1_3genE4ELNS1_11target_archE910ELNS1_3gpuE8ELNS1_3repE0EEENS1_59segmented_radix_sort_warp_sort_small_config_static_selectorELNS0_4arch9wavefront6targetE1EEEvSK_.has_recursion, 0
	.set _ZN7rocprim17ROCPRIM_400000_NS6detail17trampoline_kernelINS0_14default_configENS1_36segmented_radix_sort_config_selectorIdlEEZNS1_25segmented_radix_sort_implIS3_Lb0EPKdPdPKlPlN2at6native12_GLOBAL__N_18offset_tEEE10hipError_tPvRmT1_PNSt15iterator_traitsISK_E10value_typeET2_T3_PNSL_ISQ_E10value_typeET4_jRbjT5_SW_jjP12ihipStream_tbEUlT_E1_NS1_11comp_targetILNS1_3genE4ELNS1_11target_archE910ELNS1_3gpuE8ELNS1_3repE0EEENS1_59segmented_radix_sort_warp_sort_small_config_static_selectorELNS0_4arch9wavefront6targetE1EEEvSK_.has_indirect_call, 0
	.section	.AMDGPU.csdata,"",@progbits
; Kernel info:
; codeLenInByte = 0
; TotalNumSgprs: 4
; NumVgprs: 0
; ScratchSize: 0
; MemoryBound: 0
; FloatMode: 240
; IeeeMode: 1
; LDSByteSize: 0 bytes/workgroup (compile time only)
; SGPRBlocks: 0
; VGPRBlocks: 0
; NumSGPRsForWavesPerEU: 4
; NumVGPRsForWavesPerEU: 1
; Occupancy: 10
; WaveLimiterHint : 0
; COMPUTE_PGM_RSRC2:SCRATCH_EN: 0
; COMPUTE_PGM_RSRC2:USER_SGPR: 6
; COMPUTE_PGM_RSRC2:TRAP_HANDLER: 0
; COMPUTE_PGM_RSRC2:TGID_X_EN: 1
; COMPUTE_PGM_RSRC2:TGID_Y_EN: 0
; COMPUTE_PGM_RSRC2:TGID_Z_EN: 0
; COMPUTE_PGM_RSRC2:TIDIG_COMP_CNT: 0
	.section	.text._ZN7rocprim17ROCPRIM_400000_NS6detail17trampoline_kernelINS0_14default_configENS1_36segmented_radix_sort_config_selectorIdlEEZNS1_25segmented_radix_sort_implIS3_Lb0EPKdPdPKlPlN2at6native12_GLOBAL__N_18offset_tEEE10hipError_tPvRmT1_PNSt15iterator_traitsISK_E10value_typeET2_T3_PNSL_ISQ_E10value_typeET4_jRbjT5_SW_jjP12ihipStream_tbEUlT_E1_NS1_11comp_targetILNS1_3genE3ELNS1_11target_archE908ELNS1_3gpuE7ELNS1_3repE0EEENS1_59segmented_radix_sort_warp_sort_small_config_static_selectorELNS0_4arch9wavefront6targetE1EEEvSK_,"axG",@progbits,_ZN7rocprim17ROCPRIM_400000_NS6detail17trampoline_kernelINS0_14default_configENS1_36segmented_radix_sort_config_selectorIdlEEZNS1_25segmented_radix_sort_implIS3_Lb0EPKdPdPKlPlN2at6native12_GLOBAL__N_18offset_tEEE10hipError_tPvRmT1_PNSt15iterator_traitsISK_E10value_typeET2_T3_PNSL_ISQ_E10value_typeET4_jRbjT5_SW_jjP12ihipStream_tbEUlT_E1_NS1_11comp_targetILNS1_3genE3ELNS1_11target_archE908ELNS1_3gpuE7ELNS1_3repE0EEENS1_59segmented_radix_sort_warp_sort_small_config_static_selectorELNS0_4arch9wavefront6targetE1EEEvSK_,comdat
	.globl	_ZN7rocprim17ROCPRIM_400000_NS6detail17trampoline_kernelINS0_14default_configENS1_36segmented_radix_sort_config_selectorIdlEEZNS1_25segmented_radix_sort_implIS3_Lb0EPKdPdPKlPlN2at6native12_GLOBAL__N_18offset_tEEE10hipError_tPvRmT1_PNSt15iterator_traitsISK_E10value_typeET2_T3_PNSL_ISQ_E10value_typeET4_jRbjT5_SW_jjP12ihipStream_tbEUlT_E1_NS1_11comp_targetILNS1_3genE3ELNS1_11target_archE908ELNS1_3gpuE7ELNS1_3repE0EEENS1_59segmented_radix_sort_warp_sort_small_config_static_selectorELNS0_4arch9wavefront6targetE1EEEvSK_ ; -- Begin function _ZN7rocprim17ROCPRIM_400000_NS6detail17trampoline_kernelINS0_14default_configENS1_36segmented_radix_sort_config_selectorIdlEEZNS1_25segmented_radix_sort_implIS3_Lb0EPKdPdPKlPlN2at6native12_GLOBAL__N_18offset_tEEE10hipError_tPvRmT1_PNSt15iterator_traitsISK_E10value_typeET2_T3_PNSL_ISQ_E10value_typeET4_jRbjT5_SW_jjP12ihipStream_tbEUlT_E1_NS1_11comp_targetILNS1_3genE3ELNS1_11target_archE908ELNS1_3gpuE7ELNS1_3repE0EEENS1_59segmented_radix_sort_warp_sort_small_config_static_selectorELNS0_4arch9wavefront6targetE1EEEvSK_
	.p2align	8
	.type	_ZN7rocprim17ROCPRIM_400000_NS6detail17trampoline_kernelINS0_14default_configENS1_36segmented_radix_sort_config_selectorIdlEEZNS1_25segmented_radix_sort_implIS3_Lb0EPKdPdPKlPlN2at6native12_GLOBAL__N_18offset_tEEE10hipError_tPvRmT1_PNSt15iterator_traitsISK_E10value_typeET2_T3_PNSL_ISQ_E10value_typeET4_jRbjT5_SW_jjP12ihipStream_tbEUlT_E1_NS1_11comp_targetILNS1_3genE3ELNS1_11target_archE908ELNS1_3gpuE7ELNS1_3repE0EEENS1_59segmented_radix_sort_warp_sort_small_config_static_selectorELNS0_4arch9wavefront6targetE1EEEvSK_,@function
_ZN7rocprim17ROCPRIM_400000_NS6detail17trampoline_kernelINS0_14default_configENS1_36segmented_radix_sort_config_selectorIdlEEZNS1_25segmented_radix_sort_implIS3_Lb0EPKdPdPKlPlN2at6native12_GLOBAL__N_18offset_tEEE10hipError_tPvRmT1_PNSt15iterator_traitsISK_E10value_typeET2_T3_PNSL_ISQ_E10value_typeET4_jRbjT5_SW_jjP12ihipStream_tbEUlT_E1_NS1_11comp_targetILNS1_3genE3ELNS1_11target_archE908ELNS1_3gpuE7ELNS1_3repE0EEENS1_59segmented_radix_sort_warp_sort_small_config_static_selectorELNS0_4arch9wavefront6targetE1EEEvSK_: ; @_ZN7rocprim17ROCPRIM_400000_NS6detail17trampoline_kernelINS0_14default_configENS1_36segmented_radix_sort_config_selectorIdlEEZNS1_25segmented_radix_sort_implIS3_Lb0EPKdPdPKlPlN2at6native12_GLOBAL__N_18offset_tEEE10hipError_tPvRmT1_PNSt15iterator_traitsISK_E10value_typeET2_T3_PNSL_ISQ_E10value_typeET4_jRbjT5_SW_jjP12ihipStream_tbEUlT_E1_NS1_11comp_targetILNS1_3genE3ELNS1_11target_archE908ELNS1_3gpuE7ELNS1_3repE0EEENS1_59segmented_radix_sort_warp_sort_small_config_static_selectorELNS0_4arch9wavefront6targetE1EEEvSK_
; %bb.0:
	.section	.rodata,"a",@progbits
	.p2align	6, 0x0
	.amdhsa_kernel _ZN7rocprim17ROCPRIM_400000_NS6detail17trampoline_kernelINS0_14default_configENS1_36segmented_radix_sort_config_selectorIdlEEZNS1_25segmented_radix_sort_implIS3_Lb0EPKdPdPKlPlN2at6native12_GLOBAL__N_18offset_tEEE10hipError_tPvRmT1_PNSt15iterator_traitsISK_E10value_typeET2_T3_PNSL_ISQ_E10value_typeET4_jRbjT5_SW_jjP12ihipStream_tbEUlT_E1_NS1_11comp_targetILNS1_3genE3ELNS1_11target_archE908ELNS1_3gpuE7ELNS1_3repE0EEENS1_59segmented_radix_sort_warp_sort_small_config_static_selectorELNS0_4arch9wavefront6targetE1EEEvSK_
		.amdhsa_group_segment_fixed_size 0
		.amdhsa_private_segment_fixed_size 0
		.amdhsa_kernarg_size 88
		.amdhsa_user_sgpr_count 6
		.amdhsa_user_sgpr_private_segment_buffer 1
		.amdhsa_user_sgpr_dispatch_ptr 0
		.amdhsa_user_sgpr_queue_ptr 0
		.amdhsa_user_sgpr_kernarg_segment_ptr 1
		.amdhsa_user_sgpr_dispatch_id 0
		.amdhsa_user_sgpr_flat_scratch_init 0
		.amdhsa_user_sgpr_private_segment_size 0
		.amdhsa_uses_dynamic_stack 0
		.amdhsa_system_sgpr_private_segment_wavefront_offset 0
		.amdhsa_system_sgpr_workgroup_id_x 1
		.amdhsa_system_sgpr_workgroup_id_y 0
		.amdhsa_system_sgpr_workgroup_id_z 0
		.amdhsa_system_sgpr_workgroup_info 0
		.amdhsa_system_vgpr_workitem_id 0
		.amdhsa_next_free_vgpr 1
		.amdhsa_next_free_sgpr 0
		.amdhsa_reserve_vcc 0
		.amdhsa_reserve_flat_scratch 0
		.amdhsa_float_round_mode_32 0
		.amdhsa_float_round_mode_16_64 0
		.amdhsa_float_denorm_mode_32 3
		.amdhsa_float_denorm_mode_16_64 3
		.amdhsa_dx10_clamp 1
		.amdhsa_ieee_mode 1
		.amdhsa_fp16_overflow 0
		.amdhsa_exception_fp_ieee_invalid_op 0
		.amdhsa_exception_fp_denorm_src 0
		.amdhsa_exception_fp_ieee_div_zero 0
		.amdhsa_exception_fp_ieee_overflow 0
		.amdhsa_exception_fp_ieee_underflow 0
		.amdhsa_exception_fp_ieee_inexact 0
		.amdhsa_exception_int_div_zero 0
	.end_amdhsa_kernel
	.section	.text._ZN7rocprim17ROCPRIM_400000_NS6detail17trampoline_kernelINS0_14default_configENS1_36segmented_radix_sort_config_selectorIdlEEZNS1_25segmented_radix_sort_implIS3_Lb0EPKdPdPKlPlN2at6native12_GLOBAL__N_18offset_tEEE10hipError_tPvRmT1_PNSt15iterator_traitsISK_E10value_typeET2_T3_PNSL_ISQ_E10value_typeET4_jRbjT5_SW_jjP12ihipStream_tbEUlT_E1_NS1_11comp_targetILNS1_3genE3ELNS1_11target_archE908ELNS1_3gpuE7ELNS1_3repE0EEENS1_59segmented_radix_sort_warp_sort_small_config_static_selectorELNS0_4arch9wavefront6targetE1EEEvSK_,"axG",@progbits,_ZN7rocprim17ROCPRIM_400000_NS6detail17trampoline_kernelINS0_14default_configENS1_36segmented_radix_sort_config_selectorIdlEEZNS1_25segmented_radix_sort_implIS3_Lb0EPKdPdPKlPlN2at6native12_GLOBAL__N_18offset_tEEE10hipError_tPvRmT1_PNSt15iterator_traitsISK_E10value_typeET2_T3_PNSL_ISQ_E10value_typeET4_jRbjT5_SW_jjP12ihipStream_tbEUlT_E1_NS1_11comp_targetILNS1_3genE3ELNS1_11target_archE908ELNS1_3gpuE7ELNS1_3repE0EEENS1_59segmented_radix_sort_warp_sort_small_config_static_selectorELNS0_4arch9wavefront6targetE1EEEvSK_,comdat
.Lfunc_end1244:
	.size	_ZN7rocprim17ROCPRIM_400000_NS6detail17trampoline_kernelINS0_14default_configENS1_36segmented_radix_sort_config_selectorIdlEEZNS1_25segmented_radix_sort_implIS3_Lb0EPKdPdPKlPlN2at6native12_GLOBAL__N_18offset_tEEE10hipError_tPvRmT1_PNSt15iterator_traitsISK_E10value_typeET2_T3_PNSL_ISQ_E10value_typeET4_jRbjT5_SW_jjP12ihipStream_tbEUlT_E1_NS1_11comp_targetILNS1_3genE3ELNS1_11target_archE908ELNS1_3gpuE7ELNS1_3repE0EEENS1_59segmented_radix_sort_warp_sort_small_config_static_selectorELNS0_4arch9wavefront6targetE1EEEvSK_, .Lfunc_end1244-_ZN7rocprim17ROCPRIM_400000_NS6detail17trampoline_kernelINS0_14default_configENS1_36segmented_radix_sort_config_selectorIdlEEZNS1_25segmented_radix_sort_implIS3_Lb0EPKdPdPKlPlN2at6native12_GLOBAL__N_18offset_tEEE10hipError_tPvRmT1_PNSt15iterator_traitsISK_E10value_typeET2_T3_PNSL_ISQ_E10value_typeET4_jRbjT5_SW_jjP12ihipStream_tbEUlT_E1_NS1_11comp_targetILNS1_3genE3ELNS1_11target_archE908ELNS1_3gpuE7ELNS1_3repE0EEENS1_59segmented_radix_sort_warp_sort_small_config_static_selectorELNS0_4arch9wavefront6targetE1EEEvSK_
                                        ; -- End function
	.set _ZN7rocprim17ROCPRIM_400000_NS6detail17trampoline_kernelINS0_14default_configENS1_36segmented_radix_sort_config_selectorIdlEEZNS1_25segmented_radix_sort_implIS3_Lb0EPKdPdPKlPlN2at6native12_GLOBAL__N_18offset_tEEE10hipError_tPvRmT1_PNSt15iterator_traitsISK_E10value_typeET2_T3_PNSL_ISQ_E10value_typeET4_jRbjT5_SW_jjP12ihipStream_tbEUlT_E1_NS1_11comp_targetILNS1_3genE3ELNS1_11target_archE908ELNS1_3gpuE7ELNS1_3repE0EEENS1_59segmented_radix_sort_warp_sort_small_config_static_selectorELNS0_4arch9wavefront6targetE1EEEvSK_.num_vgpr, 0
	.set _ZN7rocprim17ROCPRIM_400000_NS6detail17trampoline_kernelINS0_14default_configENS1_36segmented_radix_sort_config_selectorIdlEEZNS1_25segmented_radix_sort_implIS3_Lb0EPKdPdPKlPlN2at6native12_GLOBAL__N_18offset_tEEE10hipError_tPvRmT1_PNSt15iterator_traitsISK_E10value_typeET2_T3_PNSL_ISQ_E10value_typeET4_jRbjT5_SW_jjP12ihipStream_tbEUlT_E1_NS1_11comp_targetILNS1_3genE3ELNS1_11target_archE908ELNS1_3gpuE7ELNS1_3repE0EEENS1_59segmented_radix_sort_warp_sort_small_config_static_selectorELNS0_4arch9wavefront6targetE1EEEvSK_.num_agpr, 0
	.set _ZN7rocprim17ROCPRIM_400000_NS6detail17trampoline_kernelINS0_14default_configENS1_36segmented_radix_sort_config_selectorIdlEEZNS1_25segmented_radix_sort_implIS3_Lb0EPKdPdPKlPlN2at6native12_GLOBAL__N_18offset_tEEE10hipError_tPvRmT1_PNSt15iterator_traitsISK_E10value_typeET2_T3_PNSL_ISQ_E10value_typeET4_jRbjT5_SW_jjP12ihipStream_tbEUlT_E1_NS1_11comp_targetILNS1_3genE3ELNS1_11target_archE908ELNS1_3gpuE7ELNS1_3repE0EEENS1_59segmented_radix_sort_warp_sort_small_config_static_selectorELNS0_4arch9wavefront6targetE1EEEvSK_.numbered_sgpr, 0
	.set _ZN7rocprim17ROCPRIM_400000_NS6detail17trampoline_kernelINS0_14default_configENS1_36segmented_radix_sort_config_selectorIdlEEZNS1_25segmented_radix_sort_implIS3_Lb0EPKdPdPKlPlN2at6native12_GLOBAL__N_18offset_tEEE10hipError_tPvRmT1_PNSt15iterator_traitsISK_E10value_typeET2_T3_PNSL_ISQ_E10value_typeET4_jRbjT5_SW_jjP12ihipStream_tbEUlT_E1_NS1_11comp_targetILNS1_3genE3ELNS1_11target_archE908ELNS1_3gpuE7ELNS1_3repE0EEENS1_59segmented_radix_sort_warp_sort_small_config_static_selectorELNS0_4arch9wavefront6targetE1EEEvSK_.num_named_barrier, 0
	.set _ZN7rocprim17ROCPRIM_400000_NS6detail17trampoline_kernelINS0_14default_configENS1_36segmented_radix_sort_config_selectorIdlEEZNS1_25segmented_radix_sort_implIS3_Lb0EPKdPdPKlPlN2at6native12_GLOBAL__N_18offset_tEEE10hipError_tPvRmT1_PNSt15iterator_traitsISK_E10value_typeET2_T3_PNSL_ISQ_E10value_typeET4_jRbjT5_SW_jjP12ihipStream_tbEUlT_E1_NS1_11comp_targetILNS1_3genE3ELNS1_11target_archE908ELNS1_3gpuE7ELNS1_3repE0EEENS1_59segmented_radix_sort_warp_sort_small_config_static_selectorELNS0_4arch9wavefront6targetE1EEEvSK_.private_seg_size, 0
	.set _ZN7rocprim17ROCPRIM_400000_NS6detail17trampoline_kernelINS0_14default_configENS1_36segmented_radix_sort_config_selectorIdlEEZNS1_25segmented_radix_sort_implIS3_Lb0EPKdPdPKlPlN2at6native12_GLOBAL__N_18offset_tEEE10hipError_tPvRmT1_PNSt15iterator_traitsISK_E10value_typeET2_T3_PNSL_ISQ_E10value_typeET4_jRbjT5_SW_jjP12ihipStream_tbEUlT_E1_NS1_11comp_targetILNS1_3genE3ELNS1_11target_archE908ELNS1_3gpuE7ELNS1_3repE0EEENS1_59segmented_radix_sort_warp_sort_small_config_static_selectorELNS0_4arch9wavefront6targetE1EEEvSK_.uses_vcc, 0
	.set _ZN7rocprim17ROCPRIM_400000_NS6detail17trampoline_kernelINS0_14default_configENS1_36segmented_radix_sort_config_selectorIdlEEZNS1_25segmented_radix_sort_implIS3_Lb0EPKdPdPKlPlN2at6native12_GLOBAL__N_18offset_tEEE10hipError_tPvRmT1_PNSt15iterator_traitsISK_E10value_typeET2_T3_PNSL_ISQ_E10value_typeET4_jRbjT5_SW_jjP12ihipStream_tbEUlT_E1_NS1_11comp_targetILNS1_3genE3ELNS1_11target_archE908ELNS1_3gpuE7ELNS1_3repE0EEENS1_59segmented_radix_sort_warp_sort_small_config_static_selectorELNS0_4arch9wavefront6targetE1EEEvSK_.uses_flat_scratch, 0
	.set _ZN7rocprim17ROCPRIM_400000_NS6detail17trampoline_kernelINS0_14default_configENS1_36segmented_radix_sort_config_selectorIdlEEZNS1_25segmented_radix_sort_implIS3_Lb0EPKdPdPKlPlN2at6native12_GLOBAL__N_18offset_tEEE10hipError_tPvRmT1_PNSt15iterator_traitsISK_E10value_typeET2_T3_PNSL_ISQ_E10value_typeET4_jRbjT5_SW_jjP12ihipStream_tbEUlT_E1_NS1_11comp_targetILNS1_3genE3ELNS1_11target_archE908ELNS1_3gpuE7ELNS1_3repE0EEENS1_59segmented_radix_sort_warp_sort_small_config_static_selectorELNS0_4arch9wavefront6targetE1EEEvSK_.has_dyn_sized_stack, 0
	.set _ZN7rocprim17ROCPRIM_400000_NS6detail17trampoline_kernelINS0_14default_configENS1_36segmented_radix_sort_config_selectorIdlEEZNS1_25segmented_radix_sort_implIS3_Lb0EPKdPdPKlPlN2at6native12_GLOBAL__N_18offset_tEEE10hipError_tPvRmT1_PNSt15iterator_traitsISK_E10value_typeET2_T3_PNSL_ISQ_E10value_typeET4_jRbjT5_SW_jjP12ihipStream_tbEUlT_E1_NS1_11comp_targetILNS1_3genE3ELNS1_11target_archE908ELNS1_3gpuE7ELNS1_3repE0EEENS1_59segmented_radix_sort_warp_sort_small_config_static_selectorELNS0_4arch9wavefront6targetE1EEEvSK_.has_recursion, 0
	.set _ZN7rocprim17ROCPRIM_400000_NS6detail17trampoline_kernelINS0_14default_configENS1_36segmented_radix_sort_config_selectorIdlEEZNS1_25segmented_radix_sort_implIS3_Lb0EPKdPdPKlPlN2at6native12_GLOBAL__N_18offset_tEEE10hipError_tPvRmT1_PNSt15iterator_traitsISK_E10value_typeET2_T3_PNSL_ISQ_E10value_typeET4_jRbjT5_SW_jjP12ihipStream_tbEUlT_E1_NS1_11comp_targetILNS1_3genE3ELNS1_11target_archE908ELNS1_3gpuE7ELNS1_3repE0EEENS1_59segmented_radix_sort_warp_sort_small_config_static_selectorELNS0_4arch9wavefront6targetE1EEEvSK_.has_indirect_call, 0
	.section	.AMDGPU.csdata,"",@progbits
; Kernel info:
; codeLenInByte = 0
; TotalNumSgprs: 4
; NumVgprs: 0
; ScratchSize: 0
; MemoryBound: 0
; FloatMode: 240
; IeeeMode: 1
; LDSByteSize: 0 bytes/workgroup (compile time only)
; SGPRBlocks: 0
; VGPRBlocks: 0
; NumSGPRsForWavesPerEU: 4
; NumVGPRsForWavesPerEU: 1
; Occupancy: 10
; WaveLimiterHint : 0
; COMPUTE_PGM_RSRC2:SCRATCH_EN: 0
; COMPUTE_PGM_RSRC2:USER_SGPR: 6
; COMPUTE_PGM_RSRC2:TRAP_HANDLER: 0
; COMPUTE_PGM_RSRC2:TGID_X_EN: 1
; COMPUTE_PGM_RSRC2:TGID_Y_EN: 0
; COMPUTE_PGM_RSRC2:TGID_Z_EN: 0
; COMPUTE_PGM_RSRC2:TIDIG_COMP_CNT: 0
	.text
	.p2align	2                               ; -- Begin function _ZN7rocprim17ROCPRIM_400000_NS6detail26segmented_warp_sort_helperINS1_20WarpSortHelperConfigILj8ELj4ELj256EEEdlLi256ELb0EvE4sortIPKdPdPKlPlEEvT_S9_T0_T1_SC_T2_bjjjjRNS5_12storage_typeE
	.type	_ZN7rocprim17ROCPRIM_400000_NS6detail26segmented_warp_sort_helperINS1_20WarpSortHelperConfigILj8ELj4ELj256EEEdlLi256ELb0EvE4sortIPKdPdPKlPlEEvT_S9_T0_T1_SC_T2_bjjjjRNS5_12storage_typeE,@function
_ZN7rocprim17ROCPRIM_400000_NS6detail26segmented_warp_sort_helperINS1_20WarpSortHelperConfigILj8ELj4ELj256EEEdlLi256ELb0EvE4sortIPKdPdPKlPlEEvT_S9_T0_T1_SC_T2_bjjjjRNS5_12storage_typeE: ; @_ZN7rocprim17ROCPRIM_400000_NS6detail26segmented_warp_sort_helperINS1_20WarpSortHelperConfigILj8ELj4ELj256EEEdlLi256ELb0EvE4sortIPKdPdPKlPlEEvT_S9_T0_T1_SC_T2_bjjjjRNS5_12storage_typeE
; %bb.0:
	s_waitcnt vmcnt(0) expcnt(0) lgkmcnt(0)
	v_and_b32_e32 v12, 1, v12
	v_sub_u32_e32 v26, v14, v13
	v_mov_b32_e32 v14, 0
	v_cmp_ne_u32_e32 vcc, 1, v12
	v_lshlrev_b64 v[12:13], 3, v[13:14]
	v_mbcnt_lo_u32_b32 v14, -1, 0
	v_mbcnt_hi_u32_b32 v14, -1, v14
	v_lshlrev_b32_e32 v51, 2, v14
	v_add_co_u32_e64 v0, s[4:5], v0, v12
	v_and_b32_e32 v52, 28, v51
	v_addc_co_u32_e64 v1, s[4:5], v1, v13, s[4:5]
	v_lshlrev_b32_e32 v50, 3, v52
	v_add_co_u32_e64 v24, s[4:5], v0, v50
	v_addc_co_u32_e64 v25, s[4:5], 0, v1, s[4:5]
	v_cmp_lt_u32_e64 s[4:5], v52, v26
	s_mov_b64 s[16:17], 0
                                        ; implicit-def: $vgpr16_vgpr17_vgpr18_vgpr19_vgpr20_vgpr21_vgpr22_vgpr23
	s_and_saveexec_b64 s[6:7], vcc
	s_xor_b64 s[18:19], exec, s[6:7]
	s_cbranch_execnz .LBB1245_4
; %bb.1:
	s_andn2_saveexec_b64 s[18:19], s[18:19]
	s_cbranch_execnz .LBB1245_111
.LBB1245_2:
	s_or_b64 exec, exec, s[18:19]
	s_and_saveexec_b64 s[4:5], s[16:17]
	s_cbranch_execnz .LBB1245_218
.LBB1245_3:
	s_or_b64 exec, exec, s[4:5]
	s_waitcnt vmcnt(0) lgkmcnt(0)
	s_setpc_b64 s[30:31]
.LBB1245_4:
	v_bfrev_b32_e32 v1, -2
	v_mov_b32_e32 v0, -1
	v_mov_b32_e32 v11, v1
	v_mov_b32_e32 v10, v0
	s_and_saveexec_b64 s[6:7], s[4:5]
	s_cbranch_execz .LBB1245_6
; %bb.5:
	flat_load_dwordx2 v[10:11], v[24:25]
.LBB1245_6:
	s_or_b64 exec, exec, s[6:7]
	v_or_b32_e32 v4, 1, v52
	v_cmp_lt_u32_e64 s[6:7], v4, v26
	s_and_saveexec_b64 s[10:11], s[6:7]
	s_cbranch_execz .LBB1245_8
; %bb.7:
	flat_load_dwordx2 v[0:1], v[24:25] offset:8
.LBB1245_8:
	s_or_b64 exec, exec, s[10:11]
	v_or_b32_e32 v4, 2, v52
	v_bfrev_b32_e32 v5, -2
	v_cmp_lt_u32_e64 s[10:11], v4, v26
	v_mov_b32_e32 v4, -1
	v_mov_b32_e32 v33, v5
	v_mov_b32_e32 v32, v4
	s_and_saveexec_b64 s[14:15], s[10:11]
	s_cbranch_execz .LBB1245_10
; %bb.9:
	flat_load_dwordx2 v[32:33], v[24:25] offset:16
.LBB1245_10:
	s_or_b64 exec, exec, s[14:15]
	v_or_b32_e32 v14, 3, v52
	v_cmp_lt_u32_e64 s[14:15], v14, v26
	s_and_saveexec_b64 s[16:17], s[14:15]
	s_cbranch_execz .LBB1245_12
; %bb.11:
	flat_load_dwordx2 v[4:5], v[24:25] offset:24
.LBB1245_12:
	s_or_b64 exec, exec, s[16:17]
	v_add_co_u32_e32 v6, vcc, v6, v12
	v_addc_co_u32_e32 v7, vcc, v7, v13, vcc
	v_mov_b32_e32 v16, 0
	v_add_co_u32_e32 v6, vcc, v6, v50
	v_addc_co_u32_e32 v7, vcc, 0, v7, vcc
	v_mov_b32_e32 v17, v16
	v_mov_b32_e32 v18, v16
	;; [unrolled: 1-line block ×7, first 2 shown]
	; wave barrier
	s_and_saveexec_b64 s[16:17], s[4:5]
	s_cbranch_execnz .LBB1245_219
; %bb.13:
	s_or_b64 exec, exec, s[16:17]
	s_and_saveexec_b64 s[16:17], s[6:7]
	s_cbranch_execnz .LBB1245_220
.LBB1245_14:
	s_or_b64 exec, exec, s[16:17]
	s_and_saveexec_b64 s[16:17], s[10:11]
	s_cbranch_execnz .LBB1245_221
.LBB1245_15:
	s_or_b64 exec, exec, s[16:17]
	s_and_saveexec_b64 s[16:17], s[14:15]
	s_cbranch_execz .LBB1245_17
.LBB1245_16:
	flat_load_dwordx2 v[22:23], v[6:7] offset:24
.LBB1245_17:
	s_or_b64 exec, exec, s[16:17]
	; wave barrier
	s_load_dwordx2 s[16:17], s[8:9], 0x0
	v_mov_b32_e32 v6, 0
	v_bfe_u32 v24, v31, 20, 10
	s_waitcnt lgkmcnt(0)
	s_cmp_lt_u32 s13, s17
	s_cselect_b32 s17, 14, 20
	s_add_u32 s20, s8, s17
	s_addc_u32 s21, s9, 0
	s_cmp_lt_u32 s12, s16
	s_cselect_b32 s16, 12, 18
	s_add_u32 s16, s8, s16
	s_addc_u32 s17, s9, 0
	global_load_ushort v7, v6, s[20:21]
	global_load_ushort v14, v6, s[16:17]
	v_bfe_u32 v6, v31, 10, 10
	s_movk_i32 s16, 0x400
	s_waitcnt vmcnt(0)
	v_mad_u32_u24 v6, v24, v7, v6
	v_mul_lo_u32 v6, v6, v14
	v_and_b32_e32 v7, 0x3ff, v31
	v_add_lshl_u32 v14, v6, v7, 2
	v_cmp_gt_u32_e32 vcc, s16, v14
	s_and_saveexec_b64 s[20:21], vcc
	s_cbranch_execz .LBB1245_29
; %bb.18:
	v_add_f64 v[6:7], v[10:11], 0
	v_add_f64 v[24:25], v[0:1], 0
	;; [unrolled: 1-line block ×3, first 2 shown]
	v_ashrrev_i32_e32 v26, 31, v7
	v_ashrrev_i32_e32 v27, 31, v25
	v_or_b32_e32 v30, 0x80000000, v26
	v_xor_b32_e32 v6, v26, v6
	v_or_b32_e32 v26, 0x80000000, v27
	v_xor_b32_e32 v24, v27, v24
	v_xor_b32_e32 v7, v30, v7
	;; [unrolled: 1-line block ×3, first 2 shown]
	v_cmp_gt_u64_e32 vcc, v[6:7], v[24:25]
	v_add_f64 v[6:7], v[4:5], 0
	v_cndmask_b32_e32 v26, v18, v16, vcc
	v_cndmask_b32_e32 v24, v16, v18, vcc
	v_ashrrev_i32_e32 v16, 31, v29
	v_cndmask_b32_e32 v27, v19, v17, vcc
	v_cndmask_b32_e32 v25, v17, v19, vcc
	v_or_b32_e32 v17, 0x80000000, v16
	v_xor_b32_e32 v17, v17, v29
	v_ashrrev_i32_e32 v18, 31, v7
	v_or_b32_e32 v19, 0x80000000, v18
	v_xor_b32_e32 v16, v16, v28
	v_xor_b32_e32 v19, v19, v7
	;; [unrolled: 1-line block ×3, first 2 shown]
	v_cmp_gt_u64_e64 s[16:17], v[16:17], v[18:19]
	v_mov_b32_e32 v6, v32
	v_mov_b32_e32 v29, v21
	;; [unrolled: 1-line block ×4, first 2 shown]
	s_and_saveexec_b64 s[22:23], s[16:17]
	s_cbranch_execz .LBB1245_20
; %bb.19:
	v_mov_b32_e32 v7, v5
	v_mov_b32_e32 v29, v23
	;; [unrolled: 1-line block ×10, first 2 shown]
.LBB1245_20:
	s_or_b64 exec, exec, s[22:23]
	v_cndmask_b32_e32 v21, v1, v11, vcc
	v_cndmask_b32_e32 v20, v0, v10, vcc
	v_add_f64 v[18:19], v[20:21], 0
	v_mov_b32_e32 v30, v22
                                        ; implicit-def: $vgpr48_vgpr49
	v_ashrrev_i32_e32 v31, 31, v19
	v_or_b32_e32 v32, 0x80000000, v31
	v_xor_b32_e32 v19, v32, v19
	v_xor_b32_e32 v18, v31, v18
	v_cmp_le_u64_e64 s[16:17], v[18:19], v[16:17]
	v_mov_b32_e32 v39, v31
	v_mov_b32_e32 v33, v25
	;; [unrolled: 1-line block ×8, first 2 shown]
	s_and_saveexec_b64 s[22:23], s[16:17]
	s_xor_b64 s[16:17], exec, s[22:23]
	s_cbranch_execz .LBB1245_22
; %bb.21:
	v_add_f64 v[16:17], v[6:7], 0
	v_ashrrev_i32_e32 v31, 31, v17
	v_or_b32_e32 v32, 0x80000000, v31
	v_xor_b32_e32 v49, v32, v17
	v_xor_b32_e32 v48, v31, v16
                                        ; implicit-def: $vgpr32_vgpr33_vgpr34_vgpr35_vgpr36_vgpr37_vgpr38_vgpr39
                                        ; implicit-def: $vgpr16_vgpr17
.LBB1245_22:
	s_or_saveexec_b64 s[16:17], s[16:17]
	v_mov_b32_e32 v35, v21
	v_mov_b32_e32 v31, v23
	;; [unrolled: 1-line block ×3, first 2 shown]
	s_xor_b64 exec, exec, s[16:17]
	s_cbranch_execz .LBB1245_24
; %bb.23:
	v_mov_b32_e32 v34, v28
	v_mov_b32_e32 v35, v29
	;; [unrolled: 1-line block ×22, first 2 shown]
.LBB1245_24:
	s_or_b64 exec, exec, s[16:17]
	v_cndmask_b32_e32 v11, v11, v1, vcc
	v_cndmask_b32_e32 v10, v10, v0, vcc
	v_add_f64 v[0:1], v[10:11], 0
	v_add_f64 v[32:33], v[4:5], 0
	v_mov_b32_e32 v20, v28
	v_mov_b32_e32 v21, v29
	;; [unrolled: 1-line block ×4, first 2 shown]
	v_ashrrev_i32_e32 v16, 31, v1
	v_or_b32_e32 v17, 0x80000000, v16
	v_xor_b32_e32 v0, v16, v0
	v_xor_b32_e32 v1, v17, v1
	v_cmp_gt_u64_e32 vcc, v[0:1], v[18:19]
	v_ashrrev_i32_e32 v0, 31, v33
	v_or_b32_e32 v1, 0x80000000, v0
	v_xor_b32_e32 v1, v1, v33
	v_xor_b32_e32 v0, v0, v32
	v_cndmask_b32_e32 v19, v27, v25, vcc
	v_cndmask_b32_e32 v18, v26, v24, vcc
	;; [unrolled: 1-line block ×4, first 2 shown]
	v_cmp_gt_u64_e64 s[16:17], v[48:49], v[0:1]
	v_mov_b32_e32 v25, v7
	v_mov_b32_e32 v24, v6
	s_and_saveexec_b64 s[22:23], s[16:17]
	s_cbranch_execz .LBB1245_26
; %bb.25:
	v_mov_b32_e32 v25, v5
	v_mov_b32_e32 v24, v4
	;; [unrolled: 1-line block ×10, first 2 shown]
.LBB1245_26:
	s_or_b64 exec, exec, s[22:23]
	v_cndmask_b32_e32 v1, v35, v11, vcc
	v_cndmask_b32_e32 v0, v34, v10, vcc
	v_add_f64 v[6:7], v[0:1], 0
	v_cndmask_b32_e32 v11, v11, v35, vcc
	v_cndmask_b32_e32 v10, v10, v34, vcc
	v_mov_b32_e32 v33, v25
	v_mov_b32_e32 v32, v24
	v_ashrrev_i32_e32 v26, 31, v7
	v_or_b32_e32 v27, 0x80000000, v26
	v_xor_b32_e32 v7, v27, v7
	v_xor_b32_e32 v6, v26, v6
	v_cmp_gt_u64_e32 vcc, v[6:7], v[48:49]
	s_and_saveexec_b64 s[16:17], vcc
	s_cbranch_execz .LBB1245_28
; %bb.27:
	v_mov_b32_e32 v26, v16
	v_mov_b32_e32 v27, v17
	;; [unrolled: 1-line block ×20, first 2 shown]
.LBB1245_28:
	s_or_b64 exec, exec, s[16:17]
.LBB1245_29:
	s_or_b64 exec, exec, s[20:21]
	v_and_b32_e32 v6, 0xffffff00, v14
	s_movk_i32 s16, 0x400
	v_mov_b32_e32 v7, 0
	v_sub_u32_e64 v30, s16, v6 clamp
	v_lshlrev_b64 v[6:7], 3, v[6:7]
	v_or_b32_e32 v7, 4, v51
	v_add_co_u32_e32 v29, vcc, v15, v6
	v_min_u32_e32 v49, v30, v7
	v_add_co_u32_e32 v28, vcc, 0x2000, v29
	v_lshlrev_b32_e32 v6, 3, v51
	v_add_u32_e32 v7, 4, v49
	v_add_u32_e32 v31, v29, v6
	;; [unrolled: 1-line block ×3, first 2 shown]
	v_and_b32_e32 v6, 0x1f8, v51
	v_min_u32_e32 v53, v30, v7
	v_and_b32_e32 v7, 4, v51
	v_min_u32_e32 v7, v30, v7
	v_sub_u32_e32 v14, v49, v6
	v_sub_u32_e32 v15, v53, v49
	v_sub_u32_e64 v15, v7, v15 clamp
	v_min_u32_e32 v14, v7, v14
	v_cmp_lt_u32_e32 vcc, v15, v14
	ds_write2_b64 v31, v[10:11], v[0:1] offset1:1
	ds_write2_b64 v34, v[16:17], v[18:19] offset1:1
	ds_write2_b64 v31, v[32:33], v[4:5] offset0:2 offset1:3
	ds_write2_b64 v34, v[20:21], v[22:23] offset0:2 offset1:3
	; wave barrier
	s_and_saveexec_b64 s[16:17], vcc
	s_cbranch_execz .LBB1245_33
; %bb.30:
	v_lshlrev_b32_e32 v24, 3, v6
	v_lshlrev_b32_e32 v25, 3, v49
	v_add_co_u32_e32 v24, vcc, v29, v24
	v_add_co_u32_e32 v25, vcc, v29, v25
	s_mov_b64 s[20:21], 0
.LBB1245_31:                            ; =>This Inner Loop Header: Depth=1
	v_add_u32_e32 v26, v14, v15
	v_lshrrev_b32_e32 v37, 1, v26
	v_xad_u32 v35, v37, -1, v7
	v_lshl_add_u32 v26, v37, 3, v24
	ds_read_b64 v[26:27], v26
	v_lshl_add_u32 v35, v35, 3, v25
	ds_read_b64 v[35:36], v35
	v_add_u32_e32 v38, 1, v37
	s_waitcnt lgkmcnt(1)
	v_add_f64 v[26:27], v[26:27], 0
	s_waitcnt lgkmcnt(0)
	v_add_f64 v[35:36], v[35:36], 0
	v_ashrrev_i32_e32 v39, 31, v27
	v_or_b32_e32 v48, 0x80000000, v39
	v_xor_b32_e32 v26, v39, v26
	v_ashrrev_i32_e32 v39, 31, v36
	v_xor_b32_e32 v27, v48, v27
	v_or_b32_e32 v48, 0x80000000, v39
	v_xor_b32_e32 v35, v39, v35
	v_xor_b32_e32 v36, v48, v36
	v_cmp_gt_u64_e32 vcc, v[26:27], v[35:36]
	v_cndmask_b32_e32 v14, v14, v37, vcc
	v_cndmask_b32_e32 v15, v38, v15, vcc
	v_cmp_ge_u32_e32 vcc, v15, v14
	s_or_b64 s[20:21], vcc, s[20:21]
	s_andn2_b64 exec, exec, s[20:21]
	s_cbranch_execnz .LBB1245_31
; %bb.32:
	s_or_b64 exec, exec, s[20:21]
.LBB1245_33:
	s_or_b64 exec, exec, s[16:17]
	v_add_u32_e32 v14, v15, v6
	v_add_u32_e32 v6, v49, v7
	v_sub_u32_e32 v15, v6, v15
	v_cmp_le_u32_e32 vcc, v14, v49
	v_cmp_le_u32_e64 s[16:17], v15, v53
	v_add_u32_e32 v35, 8, v31
	v_add_u32_e32 v36, 8, v34
	;; [unrolled: 1-line block ×6, first 2 shown]
	s_or_b64 s[16:17], vcc, s[16:17]
	s_and_saveexec_b64 s[20:21], s[16:17]
	s_cbranch_execz .LBB1245_53
; %bb.34:
	v_cmp_ge_u32_e32 vcc, v14, v49
	v_cmp_lt_u32_e64 s[16:17], v14, v49
                                        ; implicit-def: $vgpr4_vgpr5
	s_and_saveexec_b64 s[22:23], s[16:17]
; %bb.35:
	v_lshl_add_u32 v0, v14, 3, v29
	ds_read_b64 v[4:5], v0
; %bb.36:
	s_or_b64 exec, exec, s[22:23]
	v_cmp_ge_u32_e64 s[22:23], v15, v53
	v_cmp_lt_u32_e64 s[16:17], v15, v53
                                        ; implicit-def: $vgpr6_vgpr7
	s_and_saveexec_b64 s[24:25], s[16:17]
; %bb.37:
	v_lshl_add_u32 v0, v15, 3, v29
	ds_read_b64 v[6:7], v0
; %bb.38:
	s_or_b64 exec, exec, s[24:25]
	s_nor_b64 s[24:25], vcc, s[22:23]
	s_and_saveexec_b64 s[16:17], s[24:25]
	s_cbranch_execz .LBB1245_40
; %bb.39:
	s_waitcnt lgkmcnt(0)
	v_add_f64 v[0:1], v[4:5], 0
	v_add_f64 v[10:11], v[6:7], 0
	s_andn2_b64 s[22:23], s[22:23], exec
	v_ashrrev_i32_e32 v16, 31, v1
	v_ashrrev_i32_e32 v17, 31, v11
	v_or_b32_e32 v18, 0x80000000, v16
	v_xor_b32_e32 v0, v16, v0
	v_or_b32_e32 v16, 0x80000000, v17
	v_xor_b32_e32 v1, v18, v1
	v_xor_b32_e32 v11, v16, v11
	;; [unrolled: 1-line block ×3, first 2 shown]
	v_cmp_le_u64_e32 vcc, v[0:1], v[10:11]
	s_and_b64 s[24:25], vcc, exec
	s_or_b64 s[22:23], s[22:23], s[24:25]
.LBB1245_40:
	s_or_b64 exec, exec, s[16:17]
	v_cndmask_b32_e64 v0, v15, v14, s[22:23]
	v_cndmask_b32_e64 v1, v53, v49, s[22:23]
	v_add_u32_e32 v18, 1, v0
	v_add_u32_e32 v1, -1, v1
	v_min_u32_e32 v1, v18, v1
	v_lshl_add_u32 v1, v1, 3, v29
	ds_read_b64 v[10:11], v1
	v_lshl_add_u32 v0, v0, 3, v28
	ds_read_b64 v[16:17], v0
	v_cndmask_b32_e64 v20, v18, v15, s[22:23]
	v_cndmask_b32_e64 v21, v14, v18, s[22:23]
	s_waitcnt lgkmcnt(1)
	v_cndmask_b32_e64 v1, v11, v7, s[22:23]
	v_cndmask_b32_e64 v0, v10, v6, s[22:23]
	;; [unrolled: 1-line block ×4, first 2 shown]
	v_cmp_lt_u32_e32 vcc, v20, v53
	s_mov_b64 s[24:25], -1
	s_mov_b64 s[16:17], -1
	s_and_saveexec_b64 s[26:27], vcc
	s_cbranch_execz .LBB1245_44
; %bb.41:
	v_cmp_lt_u32_e32 vcc, v21, v49
	s_mov_b64 s[28:29], 0
	s_and_saveexec_b64 s[16:17], vcc
	s_cbranch_execz .LBB1245_43
; %bb.42:
	v_add_f64 v[14:15], v[10:11], 0
	v_add_f64 v[18:19], v[0:1], 0
	v_ashrrev_i32_e32 v22, 31, v15
	v_ashrrev_i32_e32 v23, 31, v19
	v_or_b32_e32 v24, 0x80000000, v22
	v_xor_b32_e32 v14, v22, v14
	v_or_b32_e32 v22, 0x80000000, v23
	v_xor_b32_e32 v15, v24, v15
	v_xor_b32_e32 v19, v22, v19
	;; [unrolled: 1-line block ×3, first 2 shown]
	v_cmp_le_u64_e32 vcc, v[14:15], v[18:19]
	s_and_b64 s[28:29], vcc, exec
.LBB1245_43:
	s_or_b64 exec, exec, s[16:17]
	s_orn2_b64 s[16:17], s[28:29], exec
.LBB1245_44:
	s_or_b64 exec, exec, s[26:27]
	v_cndmask_b32_e64 v14, v20, v21, s[16:17]
	v_cndmask_b32_e64 v15, v53, v49, s[16:17]
	v_add_u32_e32 v24, 1, v14
	v_add_u32_e32 v15, -1, v15
	v_min_u32_e32 v15, v24, v15
	v_lshl_add_u32 v15, v15, 3, v29
	ds_read_b64 v[22:23], v15
	v_lshl_add_u32 v14, v14, 3, v28
	ds_read_b64 v[18:19], v14
	v_cndmask_b32_e64 v32, v24, v20, s[16:17]
	v_cndmask_b32_e64 v33, v21, v24, s[16:17]
	s_waitcnt lgkmcnt(1)
	v_cndmask_b32_e64 v15, v23, v1, s[16:17]
	v_cndmask_b32_e64 v14, v22, v0, s[16:17]
	;; [unrolled: 1-line block ×4, first 2 shown]
	v_cmp_lt_u32_e32 vcc, v32, v53
	s_and_saveexec_b64 s[26:27], vcc
	s_cbranch_execz .LBB1245_48
; %bb.45:
	v_cmp_lt_u32_e32 vcc, v33, v49
	s_mov_b64 s[28:29], 0
	s_and_saveexec_b64 s[24:25], vcc
	s_cbranch_execz .LBB1245_47
; %bb.46:
	v_add_f64 v[20:21], v[22:23], 0
	v_add_f64 v[24:25], v[14:15], 0
	v_ashrrev_i32_e32 v26, 31, v21
	v_ashrrev_i32_e32 v27, 31, v25
	v_or_b32_e32 v54, 0x80000000, v26
	v_xor_b32_e32 v20, v26, v20
	v_or_b32_e32 v26, 0x80000000, v27
	v_xor_b32_e32 v21, v54, v21
	v_xor_b32_e32 v25, v26, v25
	;; [unrolled: 1-line block ×3, first 2 shown]
	v_cmp_le_u64_e32 vcc, v[20:21], v[24:25]
	s_and_b64 s[28:29], vcc, exec
.LBB1245_47:
	s_or_b64 exec, exec, s[24:25]
	s_orn2_b64 s[24:25], s[28:29], exec
.LBB1245_48:
	s_or_b64 exec, exec, s[26:27]
	v_cndmask_b32_e64 v20, v32, v33, s[24:25]
	v_cndmask_b32_e64 v21, v53, v49, s[24:25]
	v_add_u32_e32 v55, 1, v20
	v_add_u32_e32 v21, -1, v21
	v_min_u32_e32 v21, v55, v21
	v_lshl_add_u32 v21, v21, 3, v29
	ds_read_b64 v[26:27], v21
	v_lshl_add_u32 v20, v20, 3, v28
	ds_read_b64 v[20:21], v20
	v_cndmask_b32_e64 v54, v55, v32, s[24:25]
	v_cndmask_b32_e64 v55, v33, v55, s[24:25]
	s_waitcnt lgkmcnt(1)
	v_cndmask_b32_e64 v25, v27, v15, s[24:25]
	v_cndmask_b32_e64 v24, v26, v14, s[24:25]
	;; [unrolled: 1-line block ×4, first 2 shown]
	v_cmp_lt_u32_e32 vcc, v54, v53
	s_mov_b64 s[28:29], -1
	s_and_saveexec_b64 s[26:27], vcc
	s_cbranch_execz .LBB1245_52
; %bb.49:
	v_cmp_lt_u32_e32 vcc, v55, v49
	s_mov_b64 s[40:41], 0
	s_and_saveexec_b64 s[28:29], vcc
	s_cbranch_execz .LBB1245_51
; %bb.50:
	v_add_f64 v[32:33], v[26:27], 0
	v_add_f64 v[64:65], v[24:25], 0
	v_ashrrev_i32_e32 v49, 31, v33
	v_ashrrev_i32_e32 v53, 31, v65
	v_or_b32_e32 v66, 0x80000000, v49
	v_xor_b32_e32 v32, v49, v32
	v_or_b32_e32 v49, 0x80000000, v53
	v_xor_b32_e32 v33, v66, v33
	v_xor_b32_e32 v65, v49, v65
	;; [unrolled: 1-line block ×3, first 2 shown]
	v_cmp_le_u64_e32 vcc, v[32:33], v[64:65]
	s_and_b64 s[40:41], vcc, exec
.LBB1245_51:
	s_or_b64 exec, exec, s[28:29]
	s_orn2_b64 s[28:29], s[40:41], exec
.LBB1245_52:
	s_or_b64 exec, exec, s[26:27]
	v_cndmask_b32_e64 v0, v0, v10, s[16:17]
	v_cndmask_b32_e64 v10, v54, v55, s[28:29]
	v_lshl_add_u32 v10, v10, 3, v28
	v_cndmask_b32_e64 v33, v15, v23, s[24:25]
	v_cndmask_b32_e64 v32, v14, v22, s[24:25]
	ds_read_b64 v[22:23], v10
	v_cndmask_b32_e64 v1, v1, v11, s[16:17]
	v_cndmask_b32_e64 v11, v7, v5, s[22:23]
	;; [unrolled: 1-line block ×5, first 2 shown]
.LBB1245_53:
	s_or_b64 exec, exec, s[20:21]
	v_and_b32_e32 v6, 0x1f0, v51
	v_or_b32_e32 v7, 8, v6
	v_min_u32_e32 v49, v30, v7
	v_add_u32_e32 v7, 8, v49
	v_min_u32_e32 v53, v30, v7
	v_and_b32_e32 v7, 12, v51
	v_min_u32_e32 v7, v30, v7
	v_sub_u32_e32 v14, v49, v6
	v_sub_u32_e32 v15, v53, v49
	v_sub_u32_e64 v15, v7, v15 clamp
	v_min_u32_e32 v14, v7, v14
	v_cmp_lt_u32_e32 vcc, v15, v14
	; wave barrier
	ds_write_b64 v31, v[10:11]
	ds_write_b64 v34, v[16:17]
	;; [unrolled: 1-line block ×5, first 2 shown]
	s_waitcnt lgkmcnt(6)
	ds_write_b64 v38, v[20:21]
	ds_write_b64 v39, v[4:5]
	s_waitcnt lgkmcnt(7)
	ds_write_b64 v48, v[22:23]
	; wave barrier
	s_and_saveexec_b64 s[16:17], vcc
	s_cbranch_execz .LBB1245_57
; %bb.54:
	v_lshlrev_b32_e32 v24, 3, v6
	v_lshlrev_b32_e32 v25, 3, v49
	v_add_co_u32_e32 v24, vcc, v29, v24
	v_add_co_u32_e32 v25, vcc, v29, v25
	s_mov_b64 s[20:21], 0
.LBB1245_55:                            ; =>This Inner Loop Header: Depth=1
	v_add_u32_e32 v26, v14, v15
	v_lshrrev_b32_e32 v64, 1, v26
	v_xad_u32 v54, v64, -1, v7
	v_lshl_add_u32 v26, v64, 3, v24
	ds_read_b64 v[26:27], v26
	v_lshl_add_u32 v54, v54, 3, v25
	ds_read_b64 v[54:55], v54
	v_add_u32_e32 v65, 1, v64
	s_waitcnt lgkmcnt(1)
	v_add_f64 v[26:27], v[26:27], 0
	s_waitcnt lgkmcnt(0)
	v_add_f64 v[54:55], v[54:55], 0
	v_ashrrev_i32_e32 v66, 31, v27
	v_or_b32_e32 v67, 0x80000000, v66
	v_xor_b32_e32 v26, v66, v26
	v_ashrrev_i32_e32 v66, 31, v55
	v_xor_b32_e32 v27, v67, v27
	v_or_b32_e32 v67, 0x80000000, v66
	v_xor_b32_e32 v54, v66, v54
	v_xor_b32_e32 v55, v67, v55
	v_cmp_gt_u64_e32 vcc, v[26:27], v[54:55]
	v_cndmask_b32_e32 v14, v14, v64, vcc
	v_cndmask_b32_e32 v15, v65, v15, vcc
	v_cmp_ge_u32_e32 vcc, v15, v14
	s_or_b64 s[20:21], vcc, s[20:21]
	s_andn2_b64 exec, exec, s[20:21]
	s_cbranch_execnz .LBB1245_55
; %bb.56:
	s_or_b64 exec, exec, s[20:21]
.LBB1245_57:
	s_or_b64 exec, exec, s[16:17]
	v_add_u32_e32 v14, v15, v6
	v_add_u32_e32 v6, v49, v7
	v_sub_u32_e32 v15, v6, v15
	v_cmp_le_u32_e32 vcc, v14, v49
	v_cmp_le_u32_e64 s[16:17], v15, v53
	s_or_b64 s[16:17], vcc, s[16:17]
	s_and_saveexec_b64 s[20:21], s[16:17]
	s_cbranch_execz .LBB1245_77
; %bb.58:
	v_cmp_ge_u32_e32 vcc, v14, v49
	v_cmp_lt_u32_e64 s[16:17], v14, v49
                                        ; implicit-def: $vgpr4_vgpr5
	s_and_saveexec_b64 s[22:23], s[16:17]
; %bb.59:
	v_lshl_add_u32 v0, v14, 3, v29
	ds_read_b64 v[4:5], v0
; %bb.60:
	s_or_b64 exec, exec, s[22:23]
	v_cmp_ge_u32_e64 s[22:23], v15, v53
	v_cmp_lt_u32_e64 s[16:17], v15, v53
                                        ; implicit-def: $vgpr6_vgpr7
	s_and_saveexec_b64 s[24:25], s[16:17]
; %bb.61:
	v_lshl_add_u32 v0, v15, 3, v29
	ds_read_b64 v[6:7], v0
; %bb.62:
	s_or_b64 exec, exec, s[24:25]
	s_nor_b64 s[24:25], vcc, s[22:23]
	s_and_saveexec_b64 s[16:17], s[24:25]
	s_cbranch_execz .LBB1245_64
; %bb.63:
	s_waitcnt lgkmcnt(0)
	v_add_f64 v[0:1], v[4:5], 0
	v_add_f64 v[10:11], v[6:7], 0
	s_andn2_b64 s[22:23], s[22:23], exec
	v_ashrrev_i32_e32 v16, 31, v1
	v_ashrrev_i32_e32 v17, 31, v11
	v_or_b32_e32 v18, 0x80000000, v16
	v_xor_b32_e32 v0, v16, v0
	v_or_b32_e32 v16, 0x80000000, v17
	v_xor_b32_e32 v1, v18, v1
	v_xor_b32_e32 v11, v16, v11
	;; [unrolled: 1-line block ×3, first 2 shown]
	v_cmp_le_u64_e32 vcc, v[0:1], v[10:11]
	s_and_b64 s[24:25], vcc, exec
	s_or_b64 s[22:23], s[22:23], s[24:25]
.LBB1245_64:
	s_or_b64 exec, exec, s[16:17]
	v_cndmask_b32_e64 v0, v15, v14, s[22:23]
	v_cndmask_b32_e64 v1, v53, v49, s[22:23]
	v_add_u32_e32 v18, 1, v0
	v_add_u32_e32 v1, -1, v1
	v_min_u32_e32 v1, v18, v1
	v_lshl_add_u32 v1, v1, 3, v29
	ds_read_b64 v[10:11], v1
	v_lshl_add_u32 v0, v0, 3, v28
	ds_read_b64 v[16:17], v0
	v_cndmask_b32_e64 v20, v18, v15, s[22:23]
	v_cndmask_b32_e64 v21, v14, v18, s[22:23]
	s_waitcnt lgkmcnt(1)
	v_cndmask_b32_e64 v1, v11, v7, s[22:23]
	v_cndmask_b32_e64 v0, v10, v6, s[22:23]
	;; [unrolled: 1-line block ×4, first 2 shown]
	v_cmp_lt_u32_e32 vcc, v20, v53
	s_mov_b64 s[24:25], -1
	s_mov_b64 s[16:17], -1
	s_and_saveexec_b64 s[26:27], vcc
	s_cbranch_execz .LBB1245_68
; %bb.65:
	v_cmp_lt_u32_e32 vcc, v21, v49
	s_mov_b64 s[28:29], 0
	s_and_saveexec_b64 s[16:17], vcc
	s_cbranch_execz .LBB1245_67
; %bb.66:
	v_add_f64 v[14:15], v[10:11], 0
	v_add_f64 v[18:19], v[0:1], 0
	v_ashrrev_i32_e32 v22, 31, v15
	v_ashrrev_i32_e32 v23, 31, v19
	v_or_b32_e32 v24, 0x80000000, v22
	v_xor_b32_e32 v14, v22, v14
	v_or_b32_e32 v22, 0x80000000, v23
	v_xor_b32_e32 v15, v24, v15
	v_xor_b32_e32 v19, v22, v19
	;; [unrolled: 1-line block ×3, first 2 shown]
	v_cmp_le_u64_e32 vcc, v[14:15], v[18:19]
	s_and_b64 s[28:29], vcc, exec
.LBB1245_67:
	s_or_b64 exec, exec, s[16:17]
	s_orn2_b64 s[16:17], s[28:29], exec
.LBB1245_68:
	s_or_b64 exec, exec, s[26:27]
	v_cndmask_b32_e64 v14, v20, v21, s[16:17]
	v_cndmask_b32_e64 v15, v53, v49, s[16:17]
	v_add_u32_e32 v24, 1, v14
	v_add_u32_e32 v15, -1, v15
	v_min_u32_e32 v15, v24, v15
	v_lshl_add_u32 v15, v15, 3, v29
	ds_read_b64 v[22:23], v15
	v_lshl_add_u32 v14, v14, 3, v28
	ds_read_b64 v[18:19], v14
	v_cndmask_b32_e64 v32, v24, v20, s[16:17]
	v_cndmask_b32_e64 v33, v21, v24, s[16:17]
	s_waitcnt lgkmcnt(1)
	v_cndmask_b32_e64 v15, v23, v1, s[16:17]
	v_cndmask_b32_e64 v14, v22, v0, s[16:17]
	;; [unrolled: 1-line block ×4, first 2 shown]
	v_cmp_lt_u32_e32 vcc, v32, v53
	s_and_saveexec_b64 s[26:27], vcc
	s_cbranch_execz .LBB1245_72
; %bb.69:
	v_cmp_lt_u32_e32 vcc, v33, v49
	s_mov_b64 s[28:29], 0
	s_and_saveexec_b64 s[24:25], vcc
	s_cbranch_execz .LBB1245_71
; %bb.70:
	v_add_f64 v[20:21], v[22:23], 0
	v_add_f64 v[24:25], v[14:15], 0
	v_ashrrev_i32_e32 v26, 31, v21
	v_ashrrev_i32_e32 v27, 31, v25
	v_or_b32_e32 v54, 0x80000000, v26
	v_xor_b32_e32 v20, v26, v20
	v_or_b32_e32 v26, 0x80000000, v27
	v_xor_b32_e32 v21, v54, v21
	v_xor_b32_e32 v25, v26, v25
	;; [unrolled: 1-line block ×3, first 2 shown]
	v_cmp_le_u64_e32 vcc, v[20:21], v[24:25]
	s_and_b64 s[28:29], vcc, exec
.LBB1245_71:
	s_or_b64 exec, exec, s[24:25]
	s_orn2_b64 s[24:25], s[28:29], exec
.LBB1245_72:
	s_or_b64 exec, exec, s[26:27]
	v_cndmask_b32_e64 v20, v32, v33, s[24:25]
	v_cndmask_b32_e64 v21, v53, v49, s[24:25]
	v_add_u32_e32 v55, 1, v20
	v_add_u32_e32 v21, -1, v21
	v_min_u32_e32 v21, v55, v21
	v_lshl_add_u32 v21, v21, 3, v29
	ds_read_b64 v[26:27], v21
	v_lshl_add_u32 v20, v20, 3, v28
	ds_read_b64 v[20:21], v20
	v_cndmask_b32_e64 v54, v55, v32, s[24:25]
	v_cndmask_b32_e64 v55, v33, v55, s[24:25]
	s_waitcnt lgkmcnt(1)
	v_cndmask_b32_e64 v25, v27, v15, s[24:25]
	v_cndmask_b32_e64 v24, v26, v14, s[24:25]
	;; [unrolled: 1-line block ×4, first 2 shown]
	v_cmp_lt_u32_e32 vcc, v54, v53
	s_mov_b64 s[28:29], -1
	s_and_saveexec_b64 s[26:27], vcc
	s_cbranch_execz .LBB1245_76
; %bb.73:
	v_cmp_lt_u32_e32 vcc, v55, v49
	s_mov_b64 s[40:41], 0
	s_and_saveexec_b64 s[28:29], vcc
	s_cbranch_execz .LBB1245_75
; %bb.74:
	v_add_f64 v[32:33], v[26:27], 0
	v_add_f64 v[64:65], v[24:25], 0
	v_ashrrev_i32_e32 v49, 31, v33
	v_ashrrev_i32_e32 v53, 31, v65
	v_or_b32_e32 v66, 0x80000000, v49
	v_xor_b32_e32 v32, v49, v32
	v_or_b32_e32 v49, 0x80000000, v53
	v_xor_b32_e32 v33, v66, v33
	v_xor_b32_e32 v65, v49, v65
	;; [unrolled: 1-line block ×3, first 2 shown]
	v_cmp_le_u64_e32 vcc, v[32:33], v[64:65]
	s_and_b64 s[40:41], vcc, exec
.LBB1245_75:
	s_or_b64 exec, exec, s[28:29]
	s_orn2_b64 s[28:29], s[40:41], exec
.LBB1245_76:
	s_or_b64 exec, exec, s[26:27]
	v_cndmask_b32_e64 v0, v0, v10, s[16:17]
	v_cndmask_b32_e64 v10, v54, v55, s[28:29]
	v_lshl_add_u32 v10, v10, 3, v28
	v_cndmask_b32_e64 v33, v15, v23, s[24:25]
	v_cndmask_b32_e64 v32, v14, v22, s[24:25]
	ds_read_b64 v[22:23], v10
	v_cndmask_b32_e64 v1, v1, v11, s[16:17]
	v_cndmask_b32_e64 v11, v7, v5, s[22:23]
	;; [unrolled: 1-line block ×5, first 2 shown]
.LBB1245_77:
	s_or_b64 exec, exec, s[20:21]
	v_and_b32_e32 v6, 0x1e0, v51
	v_or_b32_e32 v7, 16, v6
	; wave barrier
	ds_write_b64 v31, v[10:11]
	ds_write_b64 v34, v[16:17]
	;; [unrolled: 1-line block ×5, first 2 shown]
	s_waitcnt lgkmcnt(6)
	ds_write_b64 v38, v[20:21]
	ds_write_b64 v39, v[4:5]
	s_waitcnt lgkmcnt(7)
	ds_write_b64 v48, v[22:23]
	v_min_u32_e32 v31, v30, v7
	v_add_u32_e32 v7, 16, v31
	v_min_u32_e32 v34, v30, v7
	v_min_u32_e32 v7, v30, v52
	v_sub_u32_e32 v14, v31, v6
	v_sub_u32_e32 v15, v34, v31
	v_sub_u32_e64 v15, v7, v15 clamp
	v_min_u32_e32 v14, v7, v14
	v_cmp_lt_u32_e32 vcc, v15, v14
	; wave barrier
	s_and_saveexec_b64 s[16:17], vcc
	s_cbranch_execz .LBB1245_81
; %bb.78:
	v_lshlrev_b32_e32 v24, 3, v6
	v_lshlrev_b32_e32 v25, 3, v31
	v_add_co_u32_e32 v24, vcc, v29, v24
	v_add_co_u32_e32 v25, vcc, v29, v25
	s_mov_b64 s[20:21], 0
.LBB1245_79:                            ; =>This Inner Loop Header: Depth=1
	v_add_u32_e32 v26, v14, v15
	v_lshrrev_b32_e32 v30, 1, v26
	v_xad_u32 v35, v30, -1, v7
	v_lshl_add_u32 v26, v30, 3, v24
	ds_read_b64 v[26:27], v26
	v_lshl_add_u32 v35, v35, 3, v25
	ds_read_b64 v[35:36], v35
	v_add_u32_e32 v37, 1, v30
	s_waitcnt lgkmcnt(1)
	v_add_f64 v[26:27], v[26:27], 0
	s_waitcnt lgkmcnt(0)
	v_add_f64 v[35:36], v[35:36], 0
	v_ashrrev_i32_e32 v38, 31, v27
	v_or_b32_e32 v39, 0x80000000, v38
	v_xor_b32_e32 v26, v38, v26
	v_ashrrev_i32_e32 v38, 31, v36
	v_xor_b32_e32 v27, v39, v27
	v_or_b32_e32 v39, 0x80000000, v38
	v_xor_b32_e32 v35, v38, v35
	v_xor_b32_e32 v36, v39, v36
	v_cmp_gt_u64_e32 vcc, v[26:27], v[35:36]
	v_cndmask_b32_e32 v14, v14, v30, vcc
	v_cndmask_b32_e32 v15, v37, v15, vcc
	v_cmp_ge_u32_e32 vcc, v15, v14
	s_or_b64 s[20:21], vcc, s[20:21]
	s_andn2_b64 exec, exec, s[20:21]
	s_cbranch_execnz .LBB1245_79
; %bb.80:
	s_or_b64 exec, exec, s[20:21]
.LBB1245_81:
	s_or_b64 exec, exec, s[16:17]
	v_add_u32_e32 v14, v15, v6
	v_add_u32_e32 v6, v31, v7
	v_sub_u32_e32 v15, v6, v15
	v_cmp_le_u32_e32 vcc, v14, v31
	v_cmp_le_u32_e64 s[16:17], v15, v34
	s_or_b64 s[16:17], vcc, s[16:17]
	s_and_saveexec_b64 s[20:21], s[16:17]
	s_cbranch_execz .LBB1245_101
; %bb.82:
	v_cmp_ge_u32_e32 vcc, v14, v31
	v_cmp_lt_u32_e64 s[16:17], v14, v31
                                        ; implicit-def: $vgpr4_vgpr5
	s_and_saveexec_b64 s[22:23], s[16:17]
; %bb.83:
	v_lshl_add_u32 v0, v14, 3, v29
	ds_read_b64 v[4:5], v0
; %bb.84:
	s_or_b64 exec, exec, s[22:23]
	v_cmp_ge_u32_e64 s[22:23], v15, v34
	v_cmp_lt_u32_e64 s[16:17], v15, v34
                                        ; implicit-def: $vgpr6_vgpr7
	s_and_saveexec_b64 s[24:25], s[16:17]
; %bb.85:
	v_lshl_add_u32 v0, v15, 3, v29
	ds_read_b64 v[6:7], v0
; %bb.86:
	s_or_b64 exec, exec, s[24:25]
	s_nor_b64 s[24:25], vcc, s[22:23]
	s_and_saveexec_b64 s[16:17], s[24:25]
	s_cbranch_execz .LBB1245_88
; %bb.87:
	s_waitcnt lgkmcnt(0)
	v_add_f64 v[0:1], v[4:5], 0
	v_add_f64 v[10:11], v[6:7], 0
	s_andn2_b64 s[22:23], s[22:23], exec
	v_ashrrev_i32_e32 v16, 31, v1
	v_ashrrev_i32_e32 v17, 31, v11
	v_or_b32_e32 v18, 0x80000000, v16
	v_xor_b32_e32 v0, v16, v0
	v_or_b32_e32 v16, 0x80000000, v17
	v_xor_b32_e32 v1, v18, v1
	v_xor_b32_e32 v11, v16, v11
	;; [unrolled: 1-line block ×3, first 2 shown]
	v_cmp_le_u64_e32 vcc, v[0:1], v[10:11]
	s_and_b64 s[24:25], vcc, exec
	s_or_b64 s[22:23], s[22:23], s[24:25]
.LBB1245_88:
	s_or_b64 exec, exec, s[16:17]
	v_cndmask_b32_e64 v0, v15, v14, s[22:23]
	v_cndmask_b32_e64 v1, v34, v31, s[22:23]
	v_add_u32_e32 v18, 1, v0
	v_add_u32_e32 v1, -1, v1
	v_min_u32_e32 v1, v18, v1
	v_lshl_add_u32 v1, v1, 3, v29
	ds_read_b64 v[10:11], v1
	v_lshl_add_u32 v0, v0, 3, v28
	ds_read_b64 v[16:17], v0
	v_cndmask_b32_e64 v20, v18, v15, s[22:23]
	v_cndmask_b32_e64 v21, v14, v18, s[22:23]
	s_waitcnt lgkmcnt(1)
	v_cndmask_b32_e64 v1, v11, v7, s[22:23]
	v_cndmask_b32_e64 v0, v10, v6, s[22:23]
	;; [unrolled: 1-line block ×4, first 2 shown]
	v_cmp_lt_u32_e32 vcc, v20, v34
	s_mov_b64 s[24:25], -1
	s_mov_b64 s[16:17], -1
	s_and_saveexec_b64 s[26:27], vcc
	s_cbranch_execz .LBB1245_92
; %bb.89:
	v_cmp_lt_u32_e32 vcc, v21, v31
	s_mov_b64 s[28:29], 0
	s_and_saveexec_b64 s[16:17], vcc
	s_cbranch_execz .LBB1245_91
; %bb.90:
	v_add_f64 v[14:15], v[10:11], 0
	v_add_f64 v[18:19], v[0:1], 0
	v_ashrrev_i32_e32 v22, 31, v15
	v_ashrrev_i32_e32 v23, 31, v19
	v_or_b32_e32 v24, 0x80000000, v22
	v_xor_b32_e32 v14, v22, v14
	v_or_b32_e32 v22, 0x80000000, v23
	v_xor_b32_e32 v15, v24, v15
	v_xor_b32_e32 v19, v22, v19
	;; [unrolled: 1-line block ×3, first 2 shown]
	v_cmp_le_u64_e32 vcc, v[14:15], v[18:19]
	s_and_b64 s[28:29], vcc, exec
.LBB1245_91:
	s_or_b64 exec, exec, s[16:17]
	s_orn2_b64 s[16:17], s[28:29], exec
.LBB1245_92:
	s_or_b64 exec, exec, s[26:27]
	v_cndmask_b32_e64 v14, v20, v21, s[16:17]
	v_cndmask_b32_e64 v15, v34, v31, s[16:17]
	v_add_u32_e32 v24, 1, v14
	v_add_u32_e32 v15, -1, v15
	v_min_u32_e32 v15, v24, v15
	v_lshl_add_u32 v15, v15, 3, v29
	ds_read_b64 v[22:23], v15
	v_lshl_add_u32 v14, v14, 3, v28
	ds_read_b64 v[18:19], v14
	v_cndmask_b32_e64 v30, v24, v20, s[16:17]
	v_cndmask_b32_e64 v32, v21, v24, s[16:17]
	s_waitcnt lgkmcnt(1)
	v_cndmask_b32_e64 v15, v23, v1, s[16:17]
	v_cndmask_b32_e64 v14, v22, v0, s[16:17]
	v_cndmask_b32_e64 v23, v11, v23, s[16:17]
	v_cndmask_b32_e64 v22, v10, v22, s[16:17]
	v_cmp_lt_u32_e32 vcc, v30, v34
	s_and_saveexec_b64 s[26:27], vcc
	s_cbranch_execz .LBB1245_96
; %bb.93:
	v_cmp_lt_u32_e32 vcc, v32, v31
	s_mov_b64 s[28:29], 0
	s_and_saveexec_b64 s[24:25], vcc
	s_cbranch_execz .LBB1245_95
; %bb.94:
	v_add_f64 v[20:21], v[22:23], 0
	v_add_f64 v[24:25], v[14:15], 0
	v_ashrrev_i32_e32 v26, 31, v21
	v_ashrrev_i32_e32 v27, 31, v25
	v_or_b32_e32 v33, 0x80000000, v26
	v_xor_b32_e32 v20, v26, v20
	v_or_b32_e32 v26, 0x80000000, v27
	v_xor_b32_e32 v21, v33, v21
	v_xor_b32_e32 v25, v26, v25
	;; [unrolled: 1-line block ×3, first 2 shown]
	v_cmp_le_u64_e32 vcc, v[20:21], v[24:25]
	s_and_b64 s[28:29], vcc, exec
.LBB1245_95:
	s_or_b64 exec, exec, s[24:25]
	s_orn2_b64 s[24:25], s[28:29], exec
.LBB1245_96:
	s_or_b64 exec, exec, s[26:27]
	v_cndmask_b32_e64 v20, v30, v32, s[24:25]
	v_cndmask_b32_e64 v21, v34, v31, s[24:25]
	v_add_u32_e32 v33, 1, v20
	v_add_u32_e32 v21, -1, v21
	v_min_u32_e32 v21, v33, v21
	v_lshl_add_u32 v21, v21, 3, v29
	ds_read_b64 v[26:27], v21
	v_lshl_add_u32 v20, v20, 3, v28
	ds_read_b64 v[20:21], v20
	v_cndmask_b32_e64 v29, v33, v30, s[24:25]
	v_cndmask_b32_e64 v30, v32, v33, s[24:25]
	s_waitcnt lgkmcnt(1)
	v_cndmask_b32_e64 v25, v27, v15, s[24:25]
	v_cndmask_b32_e64 v24, v26, v14, s[24:25]
	v_cndmask_b32_e64 v27, v23, v27, s[24:25]
	v_cndmask_b32_e64 v26, v22, v26, s[24:25]
	v_cmp_lt_u32_e32 vcc, v29, v34
	s_mov_b64 s[28:29], -1
	s_and_saveexec_b64 s[26:27], vcc
	s_cbranch_execz .LBB1245_100
; %bb.97:
	v_cmp_lt_u32_e32 vcc, v30, v31
	s_mov_b64 s[40:41], 0
	s_and_saveexec_b64 s[28:29], vcc
	s_cbranch_execz .LBB1245_99
; %bb.98:
	v_add_f64 v[31:32], v[26:27], 0
	v_add_f64 v[33:34], v[24:25], 0
	v_ashrrev_i32_e32 v35, 31, v32
	v_ashrrev_i32_e32 v36, 31, v34
	v_or_b32_e32 v37, 0x80000000, v35
	v_xor_b32_e32 v31, v35, v31
	v_or_b32_e32 v35, 0x80000000, v36
	v_xor_b32_e32 v32, v37, v32
	v_xor_b32_e32 v34, v35, v34
	;; [unrolled: 1-line block ×3, first 2 shown]
	v_cmp_le_u64_e32 vcc, v[31:32], v[33:34]
	s_and_b64 s[40:41], vcc, exec
.LBB1245_99:
	s_or_b64 exec, exec, s[28:29]
	s_orn2_b64 s[28:29], s[40:41], exec
.LBB1245_100:
	s_or_b64 exec, exec, s[26:27]
	v_cndmask_b32_e64 v0, v0, v10, s[16:17]
	v_cndmask_b32_e64 v10, v29, v30, s[28:29]
	v_lshl_add_u32 v10, v10, 3, v28
	v_cndmask_b32_e64 v33, v15, v23, s[24:25]
	v_cndmask_b32_e64 v32, v14, v22, s[24:25]
	ds_read_b64 v[22:23], v10
	v_cndmask_b32_e64 v1, v1, v11, s[16:17]
	v_cndmask_b32_e64 v11, v7, v5, s[22:23]
	;; [unrolled: 1-line block ×5, first 2 shown]
.LBB1245_101:
	s_or_b64 exec, exec, s[20:21]
	v_add_co_u32_e32 v2, vcc, v2, v12
	v_addc_co_u32_e32 v3, vcc, v3, v13, vcc
	v_add_co_u32_e32 v2, vcc, v2, v50
	v_addc_co_u32_e32 v3, vcc, 0, v3, vcc
	; wave barrier
	s_waitcnt lgkmcnt(0)
	s_barrier
	; wave barrier
	s_and_saveexec_b64 s[16:17], s[4:5]
	s_cbranch_execnz .LBB1245_222
; %bb.102:
	s_or_b64 exec, exec, s[16:17]
	s_and_saveexec_b64 s[16:17], s[6:7]
	s_cbranch_execnz .LBB1245_223
.LBB1245_103:
	s_or_b64 exec, exec, s[16:17]
	s_and_saveexec_b64 s[16:17], s[10:11]
	s_cbranch_execnz .LBB1245_224
.LBB1245_104:
	s_or_b64 exec, exec, s[16:17]
	s_and_saveexec_b64 s[16:17], s[14:15]
	s_cbranch_execz .LBB1245_106
.LBB1245_105:
	flat_store_dwordx2 v[2:3], v[4:5] offset:24
.LBB1245_106:
	s_or_b64 exec, exec, s[16:17]
	v_add_co_u32_e32 v0, vcc, v8, v12
	v_addc_co_u32_e32 v1, vcc, v9, v13, vcc
	v_add_co_u32_e32 v0, vcc, v0, v50
	v_addc_co_u32_e32 v1, vcc, 0, v1, vcc
	; wave barrier
	s_and_saveexec_b64 s[16:17], s[4:5]
	s_cbranch_execnz .LBB1245_225
; %bb.107:
	s_or_b64 exec, exec, s[16:17]
	s_and_saveexec_b64 s[16:17], s[6:7]
	s_cbranch_execnz .LBB1245_226
.LBB1245_108:
	s_or_b64 exec, exec, s[16:17]
	s_and_saveexec_b64 s[6:7], s[10:11]
	s_cbranch_execz .LBB1245_110
.LBB1245_109:
	flat_store_dwordx2 v[0:1], v[20:21] offset:16
.LBB1245_110:
	s_or_b64 exec, exec, s[6:7]
	s_and_b64 s[16:17], s[14:15], exec
                                        ; implicit-def: $vgpr26
                                        ; implicit-def: $vgpr51
                                        ; implicit-def: $vgpr24_vgpr25
                                        ; implicit-def: $vgpr4
                                        ; implicit-def: $vgpr5
                                        ; implicit-def: $vgpr6
                                        ; implicit-def: $vgpr7
                                        ; implicit-def: $vgpr10
                                        ; implicit-def: $vgpr15
                                        ; implicit-def: $vgpr52
                                        ; implicit-def: $vgpr31
	s_andn2_saveexec_b64 s[18:19], s[18:19]
	s_cbranch_execz .LBB1245_2
.LBB1245_111:
	v_bfrev_b32_e32 v1, -2
	v_mov_b32_e32 v0, -1
	v_mov_b32_e32 v9, v1
	v_mov_b32_e32 v8, v0
	s_and_saveexec_b64 s[6:7], s[4:5]
	s_cbranch_execz .LBB1245_113
; %bb.112:
	flat_load_dwordx2 v[8:9], v[24:25]
.LBB1245_113:
	s_or_b64 exec, exec, s[6:7]
	v_or_b32_e32 v2, 1, v52
	v_cmp_lt_u32_e64 s[6:7], v2, v26
	s_and_saveexec_b64 s[10:11], s[6:7]
	s_cbranch_execz .LBB1245_115
; %bb.114:
	flat_load_dwordx2 v[0:1], v[24:25] offset:8
.LBB1245_115:
	s_or_b64 exec, exec, s[10:11]
	v_or_b32_e32 v2, 2, v52
	v_bfrev_b32_e32 v3, -2
	v_cmp_lt_u32_e64 s[10:11], v2, v26
	v_mov_b32_e32 v2, -1
	v_mov_b32_e32 v33, v3
	v_mov_b32_e32 v32, v2
	s_and_saveexec_b64 s[14:15], s[10:11]
	s_cbranch_execz .LBB1245_117
; %bb.116:
	flat_load_dwordx2 v[32:33], v[24:25] offset:16
.LBB1245_117:
	s_or_b64 exec, exec, s[14:15]
	v_or_b32_e32 v14, 3, v52
	v_cmp_lt_u32_e64 s[14:15], v14, v26
	s_and_saveexec_b64 s[20:21], s[14:15]
	s_cbranch_execz .LBB1245_119
; %bb.118:
	flat_load_dwordx2 v[2:3], v[24:25] offset:24
.LBB1245_119:
	s_or_b64 exec, exec, s[20:21]
	v_add_co_u32_e32 v6, vcc, v6, v12
	v_addc_co_u32_e32 v7, vcc, v7, v13, vcc
	v_mov_b32_e32 v16, 0
	v_add_co_u32_e32 v6, vcc, v6, v50
	v_addc_co_u32_e32 v7, vcc, 0, v7, vcc
	v_mov_b32_e32 v17, v16
	v_mov_b32_e32 v18, v16
	;; [unrolled: 1-line block ×7, first 2 shown]
	; wave barrier
	s_and_saveexec_b64 s[20:21], s[4:5]
	s_cbranch_execnz .LBB1245_227
; %bb.120:
	s_or_b64 exec, exec, s[20:21]
	s_and_saveexec_b64 s[20:21], s[6:7]
	s_cbranch_execnz .LBB1245_228
.LBB1245_121:
	s_or_b64 exec, exec, s[20:21]
	s_and_saveexec_b64 s[20:21], s[10:11]
	s_cbranch_execnz .LBB1245_229
.LBB1245_122:
	s_or_b64 exec, exec, s[20:21]
	s_and_saveexec_b64 s[20:21], s[14:15]
	s_cbranch_execz .LBB1245_124
.LBB1245_123:
	flat_load_dwordx2 v[22:23], v[6:7] offset:24
.LBB1245_124:
	s_or_b64 exec, exec, s[20:21]
	; wave barrier
	s_load_dwordx2 s[20:21], s[8:9], 0x0
	v_mov_b32_e32 v6, 0
	v_bfe_u32 v24, v31, 20, 10
	s_waitcnt lgkmcnt(0)
	s_cmp_lt_u32 s13, s21
	s_cselect_b32 s13, 14, 20
	s_add_u32 s22, s8, s13
	s_addc_u32 s23, s9, 0
	s_cmp_lt_u32 s12, s20
	s_cselect_b32 s12, 12, 18
	s_add_u32 s8, s8, s12
	s_addc_u32 s9, s9, 0
	global_load_ushort v7, v6, s[22:23]
	global_load_ushort v14, v6, s[8:9]
	v_bfe_u32 v6, v31, 10, 10
	s_movk_i32 s8, 0x400
	s_waitcnt vmcnt(0)
	v_mad_u32_u24 v6, v24, v7, v6
	v_mul_lo_u32 v6, v6, v14
	v_and_b32_e32 v7, 0x3ff, v31
	v_add_lshl_u32 v14, v6, v7, 2
	v_cmp_gt_u32_e32 vcc, s8, v14
	s_and_saveexec_b64 s[12:13], vcc
	s_cbranch_execz .LBB1245_136
; %bb.125:
	v_add_f64 v[6:7], v[8:9], 0
	v_add_f64 v[24:25], v[0:1], 0
	;; [unrolled: 1-line block ×3, first 2 shown]
	v_ashrrev_i32_e32 v26, 31, v7
	v_ashrrev_i32_e32 v27, 31, v25
	v_or_b32_e32 v30, 0x80000000, v26
	v_xor_b32_e32 v6, v26, v6
	v_or_b32_e32 v26, 0x80000000, v27
	v_xor_b32_e32 v24, v27, v24
	v_xor_b32_e32 v7, v30, v7
	;; [unrolled: 1-line block ×3, first 2 shown]
	v_cmp_gt_u64_e32 vcc, v[6:7], v[24:25]
	v_add_f64 v[6:7], v[2:3], 0
	v_cndmask_b32_e32 v26, v18, v16, vcc
	v_cndmask_b32_e32 v24, v16, v18, vcc
	v_ashrrev_i32_e32 v16, 31, v29
	v_cndmask_b32_e32 v27, v19, v17, vcc
	v_cndmask_b32_e32 v25, v17, v19, vcc
	v_or_b32_e32 v17, 0x80000000, v16
	v_xor_b32_e32 v17, v17, v29
	v_ashrrev_i32_e32 v18, 31, v7
	v_or_b32_e32 v19, 0x80000000, v18
	v_xor_b32_e32 v16, v16, v28
	v_xor_b32_e32 v19, v19, v7
	;; [unrolled: 1-line block ×3, first 2 shown]
	v_cmp_gt_u64_e64 s[8:9], v[16:17], v[18:19]
	v_mov_b32_e32 v6, v32
	v_mov_b32_e32 v29, v21
	;; [unrolled: 1-line block ×4, first 2 shown]
	s_and_saveexec_b64 s[20:21], s[8:9]
	s_cbranch_execz .LBB1245_127
; %bb.126:
	v_mov_b32_e32 v7, v3
	v_mov_b32_e32 v29, v23
	;; [unrolled: 1-line block ×10, first 2 shown]
.LBB1245_127:
	s_or_b64 exec, exec, s[20:21]
	v_cndmask_b32_e32 v21, v1, v9, vcc
	v_cndmask_b32_e32 v20, v0, v8, vcc
	v_add_f64 v[18:19], v[20:21], 0
	v_mov_b32_e32 v30, v22
                                        ; implicit-def: $vgpr48_vgpr49
	v_ashrrev_i32_e32 v31, 31, v19
	v_or_b32_e32 v32, 0x80000000, v31
	v_xor_b32_e32 v19, v32, v19
	v_xor_b32_e32 v18, v31, v18
	v_cmp_le_u64_e64 s[8:9], v[18:19], v[16:17]
	v_mov_b32_e32 v39, v31
	v_mov_b32_e32 v33, v25
	;; [unrolled: 1-line block ×8, first 2 shown]
	s_and_saveexec_b64 s[20:21], s[8:9]
	s_xor_b64 s[8:9], exec, s[20:21]
	s_cbranch_execz .LBB1245_129
; %bb.128:
	v_add_f64 v[16:17], v[6:7], 0
	v_ashrrev_i32_e32 v31, 31, v17
	v_or_b32_e32 v32, 0x80000000, v31
	v_xor_b32_e32 v49, v32, v17
	v_xor_b32_e32 v48, v31, v16
                                        ; implicit-def: $vgpr32_vgpr33_vgpr34_vgpr35_vgpr36_vgpr37_vgpr38_vgpr39
                                        ; implicit-def: $vgpr16_vgpr17
.LBB1245_129:
	s_or_saveexec_b64 s[8:9], s[8:9]
	v_mov_b32_e32 v35, v21
	v_mov_b32_e32 v31, v23
	;; [unrolled: 1-line block ×3, first 2 shown]
	s_xor_b64 exec, exec, s[8:9]
	s_cbranch_execz .LBB1245_131
; %bb.130:
	v_mov_b32_e32 v34, v28
	v_mov_b32_e32 v35, v29
	;; [unrolled: 1-line block ×22, first 2 shown]
.LBB1245_131:
	s_or_b64 exec, exec, s[8:9]
	v_cndmask_b32_e32 v9, v9, v1, vcc
	v_cndmask_b32_e32 v8, v8, v0, vcc
	v_add_f64 v[0:1], v[8:9], 0
	v_add_f64 v[32:33], v[2:3], 0
	v_mov_b32_e32 v20, v28
	v_mov_b32_e32 v21, v29
	;; [unrolled: 1-line block ×4, first 2 shown]
	v_ashrrev_i32_e32 v16, 31, v1
	v_or_b32_e32 v17, 0x80000000, v16
	v_xor_b32_e32 v0, v16, v0
	v_xor_b32_e32 v1, v17, v1
	v_cmp_gt_u64_e32 vcc, v[0:1], v[18:19]
	v_ashrrev_i32_e32 v0, 31, v33
	v_or_b32_e32 v1, 0x80000000, v0
	v_xor_b32_e32 v1, v1, v33
	v_xor_b32_e32 v0, v0, v32
	v_cndmask_b32_e32 v19, v27, v25, vcc
	v_cndmask_b32_e32 v18, v26, v24, vcc
	;; [unrolled: 1-line block ×4, first 2 shown]
	v_cmp_gt_u64_e64 s[8:9], v[48:49], v[0:1]
	v_mov_b32_e32 v25, v7
	v_mov_b32_e32 v24, v6
	s_and_saveexec_b64 s[20:21], s[8:9]
	s_cbranch_execz .LBB1245_133
; %bb.132:
	v_mov_b32_e32 v25, v3
	v_mov_b32_e32 v24, v2
	;; [unrolled: 1-line block ×10, first 2 shown]
.LBB1245_133:
	s_or_b64 exec, exec, s[20:21]
	v_cndmask_b32_e32 v1, v35, v9, vcc
	v_cndmask_b32_e32 v0, v34, v8, vcc
	v_add_f64 v[6:7], v[0:1], 0
	v_cndmask_b32_e32 v9, v9, v35, vcc
	v_cndmask_b32_e32 v8, v8, v34, vcc
	v_mov_b32_e32 v33, v25
	v_mov_b32_e32 v32, v24
	v_ashrrev_i32_e32 v26, 31, v7
	v_or_b32_e32 v27, 0x80000000, v26
	v_xor_b32_e32 v7, v27, v7
	v_xor_b32_e32 v6, v26, v6
	v_cmp_gt_u64_e32 vcc, v[6:7], v[48:49]
	s_and_saveexec_b64 s[8:9], vcc
	s_cbranch_execz .LBB1245_135
; %bb.134:
	v_mov_b32_e32 v26, v16
	v_mov_b32_e32 v27, v17
	;; [unrolled: 1-line block ×20, first 2 shown]
.LBB1245_135:
	s_or_b64 exec, exec, s[8:9]
.LBB1245_136:
	s_or_b64 exec, exec, s[12:13]
	v_and_b32_e32 v6, 0xffffff00, v14
	s_movk_i32 s8, 0x400
	v_mov_b32_e32 v7, 0
	v_sub_u32_e64 v30, s8, v6 clamp
	v_lshlrev_b64 v[6:7], 3, v[6:7]
	v_or_b32_e32 v7, 4, v51
	v_add_co_u32_e32 v29, vcc, v15, v6
	v_min_u32_e32 v49, v30, v7
	v_add_co_u32_e32 v28, vcc, 0x2000, v29
	v_lshlrev_b32_e32 v6, 3, v51
	v_add_u32_e32 v7, 4, v49
	v_add_u32_e32 v31, v29, v6
	;; [unrolled: 1-line block ×3, first 2 shown]
	v_and_b32_e32 v6, 0x1f8, v51
	v_min_u32_e32 v53, v30, v7
	v_and_b32_e32 v7, 4, v51
	v_min_u32_e32 v7, v30, v7
	v_sub_u32_e32 v14, v49, v6
	v_sub_u32_e32 v15, v53, v49
	v_sub_u32_e64 v15, v7, v15 clamp
	v_min_u32_e32 v14, v7, v14
	v_cmp_lt_u32_e32 vcc, v15, v14
	ds_write2_b64 v31, v[8:9], v[0:1] offset1:1
	ds_write2_b64 v34, v[16:17], v[18:19] offset1:1
	ds_write2_b64 v31, v[32:33], v[2:3] offset0:2 offset1:3
	ds_write2_b64 v34, v[20:21], v[22:23] offset0:2 offset1:3
	; wave barrier
	s_and_saveexec_b64 s[8:9], vcc
	s_cbranch_execz .LBB1245_140
; %bb.137:
	v_lshlrev_b32_e32 v24, 3, v6
	v_lshlrev_b32_e32 v25, 3, v49
	v_add_co_u32_e32 v24, vcc, v29, v24
	v_add_co_u32_e32 v25, vcc, v29, v25
	s_mov_b64 s[12:13], 0
.LBB1245_138:                           ; =>This Inner Loop Header: Depth=1
	v_add_u32_e32 v26, v14, v15
	v_lshrrev_b32_e32 v37, 1, v26
	v_xad_u32 v35, v37, -1, v7
	v_lshl_add_u32 v26, v37, 3, v24
	ds_read_b64 v[26:27], v26
	v_lshl_add_u32 v35, v35, 3, v25
	ds_read_b64 v[35:36], v35
	v_add_u32_e32 v38, 1, v37
	s_waitcnt lgkmcnt(1)
	v_add_f64 v[26:27], v[26:27], 0
	s_waitcnt lgkmcnt(0)
	v_add_f64 v[35:36], v[35:36], 0
	v_ashrrev_i32_e32 v39, 31, v27
	v_or_b32_e32 v48, 0x80000000, v39
	v_xor_b32_e32 v26, v39, v26
	v_ashrrev_i32_e32 v39, 31, v36
	v_xor_b32_e32 v27, v48, v27
	v_or_b32_e32 v48, 0x80000000, v39
	v_xor_b32_e32 v35, v39, v35
	v_xor_b32_e32 v36, v48, v36
	v_cmp_gt_u64_e32 vcc, v[26:27], v[35:36]
	v_cndmask_b32_e32 v14, v14, v37, vcc
	v_cndmask_b32_e32 v15, v38, v15, vcc
	v_cmp_ge_u32_e32 vcc, v15, v14
	s_or_b64 s[12:13], vcc, s[12:13]
	s_andn2_b64 exec, exec, s[12:13]
	s_cbranch_execnz .LBB1245_138
; %bb.139:
	s_or_b64 exec, exec, s[12:13]
.LBB1245_140:
	s_or_b64 exec, exec, s[8:9]
	v_add_u32_e32 v14, v15, v6
	v_add_u32_e32 v6, v49, v7
	v_sub_u32_e32 v15, v6, v15
	v_cmp_le_u32_e32 vcc, v14, v49
	v_cmp_le_u32_e64 s[8:9], v15, v53
	v_add_u32_e32 v35, 8, v31
	v_add_u32_e32 v36, 8, v34
	;; [unrolled: 1-line block ×6, first 2 shown]
	s_or_b64 s[8:9], vcc, s[8:9]
	s_and_saveexec_b64 s[12:13], s[8:9]
	s_cbranch_execz .LBB1245_160
; %bb.141:
	v_cmp_ge_u32_e32 vcc, v14, v49
	v_cmp_lt_u32_e64 s[8:9], v14, v49
                                        ; implicit-def: $vgpr2_vgpr3
	s_and_saveexec_b64 s[20:21], s[8:9]
; %bb.142:
	v_lshl_add_u32 v0, v14, 3, v29
	ds_read_b64 v[2:3], v0
; %bb.143:
	s_or_b64 exec, exec, s[20:21]
	v_cmp_ge_u32_e64 s[20:21], v15, v53
	v_cmp_lt_u32_e64 s[8:9], v15, v53
                                        ; implicit-def: $vgpr6_vgpr7
	s_and_saveexec_b64 s[22:23], s[8:9]
; %bb.144:
	v_lshl_add_u32 v0, v15, 3, v29
	ds_read_b64 v[6:7], v0
; %bb.145:
	s_or_b64 exec, exec, s[22:23]
	s_nor_b64 s[22:23], vcc, s[20:21]
	s_and_saveexec_b64 s[8:9], s[22:23]
	s_cbranch_execz .LBB1245_147
; %bb.146:
	s_waitcnt lgkmcnt(0)
	v_add_f64 v[0:1], v[2:3], 0
	v_add_f64 v[8:9], v[6:7], 0
	s_andn2_b64 s[20:21], s[20:21], exec
	v_ashrrev_i32_e32 v16, 31, v1
	v_ashrrev_i32_e32 v17, 31, v9
	v_or_b32_e32 v18, 0x80000000, v16
	v_xor_b32_e32 v0, v16, v0
	v_or_b32_e32 v16, 0x80000000, v17
	v_xor_b32_e32 v1, v18, v1
	v_xor_b32_e32 v9, v16, v9
	;; [unrolled: 1-line block ×3, first 2 shown]
	v_cmp_le_u64_e32 vcc, v[0:1], v[8:9]
	s_and_b64 s[22:23], vcc, exec
	s_or_b64 s[20:21], s[20:21], s[22:23]
.LBB1245_147:
	s_or_b64 exec, exec, s[8:9]
	v_cndmask_b32_e64 v0, v15, v14, s[20:21]
	v_cndmask_b32_e64 v1, v53, v49, s[20:21]
	v_add_u32_e32 v18, 1, v0
	v_add_u32_e32 v1, -1, v1
	v_min_u32_e32 v1, v18, v1
	v_lshl_add_u32 v1, v1, 3, v29
	ds_read_b64 v[8:9], v1
	v_lshl_add_u32 v0, v0, 3, v28
	ds_read_b64 v[16:17], v0
	v_cndmask_b32_e64 v20, v18, v15, s[20:21]
	v_cndmask_b32_e64 v21, v14, v18, s[20:21]
	s_waitcnt lgkmcnt(1)
	v_cndmask_b32_e64 v1, v9, v7, s[20:21]
	v_cndmask_b32_e64 v0, v8, v6, s[20:21]
	v_cndmask_b32_e64 v9, v3, v9, s[20:21]
	v_cndmask_b32_e64 v8, v2, v8, s[20:21]
	v_cmp_lt_u32_e32 vcc, v20, v53
	s_mov_b64 s[22:23], -1
	s_mov_b64 s[8:9], -1
	s_and_saveexec_b64 s[24:25], vcc
	s_cbranch_execz .LBB1245_151
; %bb.148:
	v_cmp_lt_u32_e32 vcc, v21, v49
	s_mov_b64 s[26:27], 0
	s_and_saveexec_b64 s[8:9], vcc
	s_cbranch_execz .LBB1245_150
; %bb.149:
	v_add_f64 v[14:15], v[8:9], 0
	v_add_f64 v[18:19], v[0:1], 0
	v_ashrrev_i32_e32 v22, 31, v15
	v_ashrrev_i32_e32 v23, 31, v19
	v_or_b32_e32 v24, 0x80000000, v22
	v_xor_b32_e32 v14, v22, v14
	v_or_b32_e32 v22, 0x80000000, v23
	v_xor_b32_e32 v15, v24, v15
	v_xor_b32_e32 v19, v22, v19
	;; [unrolled: 1-line block ×3, first 2 shown]
	v_cmp_le_u64_e32 vcc, v[14:15], v[18:19]
	s_and_b64 s[26:27], vcc, exec
.LBB1245_150:
	s_or_b64 exec, exec, s[8:9]
	s_orn2_b64 s[8:9], s[26:27], exec
.LBB1245_151:
	s_or_b64 exec, exec, s[24:25]
	v_cndmask_b32_e64 v14, v20, v21, s[8:9]
	v_cndmask_b32_e64 v15, v53, v49, s[8:9]
	v_add_u32_e32 v24, 1, v14
	v_add_u32_e32 v15, -1, v15
	v_min_u32_e32 v15, v24, v15
	v_lshl_add_u32 v15, v15, 3, v29
	ds_read_b64 v[22:23], v15
	v_lshl_add_u32 v14, v14, 3, v28
	ds_read_b64 v[18:19], v14
	v_cndmask_b32_e64 v32, v24, v20, s[8:9]
	v_cndmask_b32_e64 v33, v21, v24, s[8:9]
	s_waitcnt lgkmcnt(1)
	v_cndmask_b32_e64 v15, v23, v1, s[8:9]
	v_cndmask_b32_e64 v14, v22, v0, s[8:9]
	;; [unrolled: 1-line block ×4, first 2 shown]
	v_cmp_lt_u32_e32 vcc, v32, v53
	s_and_saveexec_b64 s[24:25], vcc
	s_cbranch_execz .LBB1245_155
; %bb.152:
	v_cmp_lt_u32_e32 vcc, v33, v49
	s_mov_b64 s[26:27], 0
	s_and_saveexec_b64 s[22:23], vcc
	s_cbranch_execz .LBB1245_154
; %bb.153:
	v_add_f64 v[20:21], v[22:23], 0
	v_add_f64 v[24:25], v[14:15], 0
	v_ashrrev_i32_e32 v26, 31, v21
	v_ashrrev_i32_e32 v27, 31, v25
	v_or_b32_e32 v54, 0x80000000, v26
	v_xor_b32_e32 v20, v26, v20
	v_or_b32_e32 v26, 0x80000000, v27
	v_xor_b32_e32 v21, v54, v21
	v_xor_b32_e32 v25, v26, v25
	;; [unrolled: 1-line block ×3, first 2 shown]
	v_cmp_le_u64_e32 vcc, v[20:21], v[24:25]
	s_and_b64 s[26:27], vcc, exec
.LBB1245_154:
	s_or_b64 exec, exec, s[22:23]
	s_orn2_b64 s[22:23], s[26:27], exec
.LBB1245_155:
	s_or_b64 exec, exec, s[24:25]
	v_cndmask_b32_e64 v20, v32, v33, s[22:23]
	v_cndmask_b32_e64 v21, v53, v49, s[22:23]
	v_add_u32_e32 v55, 1, v20
	v_add_u32_e32 v21, -1, v21
	v_min_u32_e32 v21, v55, v21
	v_lshl_add_u32 v21, v21, 3, v29
	ds_read_b64 v[26:27], v21
	v_lshl_add_u32 v20, v20, 3, v28
	ds_read_b64 v[20:21], v20
	v_cndmask_b32_e64 v54, v55, v32, s[22:23]
	v_cndmask_b32_e64 v55, v33, v55, s[22:23]
	s_waitcnt lgkmcnt(1)
	v_cndmask_b32_e64 v25, v27, v15, s[22:23]
	v_cndmask_b32_e64 v24, v26, v14, s[22:23]
	;; [unrolled: 1-line block ×4, first 2 shown]
	v_cmp_lt_u32_e32 vcc, v54, v53
	s_mov_b64 s[26:27], -1
	s_and_saveexec_b64 s[24:25], vcc
	s_cbranch_execz .LBB1245_159
; %bb.156:
	v_cmp_lt_u32_e32 vcc, v55, v49
	s_mov_b64 s[28:29], 0
	s_and_saveexec_b64 s[26:27], vcc
	s_cbranch_execz .LBB1245_158
; %bb.157:
	v_add_f64 v[32:33], v[26:27], 0
	v_add_f64 v[64:65], v[24:25], 0
	v_ashrrev_i32_e32 v49, 31, v33
	v_ashrrev_i32_e32 v53, 31, v65
	v_or_b32_e32 v66, 0x80000000, v49
	v_xor_b32_e32 v32, v49, v32
	v_or_b32_e32 v49, 0x80000000, v53
	v_xor_b32_e32 v33, v66, v33
	v_xor_b32_e32 v65, v49, v65
	;; [unrolled: 1-line block ×3, first 2 shown]
	v_cmp_le_u64_e32 vcc, v[32:33], v[64:65]
	s_and_b64 s[28:29], vcc, exec
.LBB1245_158:
	s_or_b64 exec, exec, s[26:27]
	s_orn2_b64 s[26:27], s[28:29], exec
.LBB1245_159:
	s_or_b64 exec, exec, s[24:25]
	v_cndmask_b32_e64 v0, v0, v8, s[8:9]
	v_cndmask_b32_e64 v8, v54, v55, s[26:27]
	v_lshl_add_u32 v8, v8, 3, v28
	v_cndmask_b32_e64 v33, v15, v23, s[22:23]
	v_cndmask_b32_e64 v32, v14, v22, s[22:23]
	ds_read_b64 v[22:23], v8
	v_cndmask_b32_e64 v1, v1, v9, s[8:9]
	v_cndmask_b32_e64 v9, v7, v3, s[20:21]
	;; [unrolled: 1-line block ×5, first 2 shown]
.LBB1245_160:
	s_or_b64 exec, exec, s[12:13]
	v_and_b32_e32 v6, 0x1f0, v51
	v_or_b32_e32 v7, 8, v6
	v_min_u32_e32 v49, v30, v7
	v_add_u32_e32 v7, 8, v49
	v_min_u32_e32 v53, v30, v7
	v_and_b32_e32 v7, 12, v51
	v_min_u32_e32 v7, v30, v7
	v_sub_u32_e32 v14, v49, v6
	v_sub_u32_e32 v15, v53, v49
	v_sub_u32_e64 v15, v7, v15 clamp
	v_min_u32_e32 v14, v7, v14
	v_cmp_lt_u32_e32 vcc, v15, v14
	; wave barrier
	ds_write_b64 v31, v[8:9]
	ds_write_b64 v34, v[16:17]
	;; [unrolled: 1-line block ×5, first 2 shown]
	s_waitcnt lgkmcnt(6)
	ds_write_b64 v38, v[20:21]
	ds_write_b64 v39, v[2:3]
	s_waitcnt lgkmcnt(7)
	ds_write_b64 v48, v[22:23]
	; wave barrier
	s_and_saveexec_b64 s[8:9], vcc
	s_cbranch_execz .LBB1245_164
; %bb.161:
	v_lshlrev_b32_e32 v24, 3, v6
	v_lshlrev_b32_e32 v25, 3, v49
	v_add_co_u32_e32 v24, vcc, v29, v24
	v_add_co_u32_e32 v25, vcc, v29, v25
	s_mov_b64 s[12:13], 0
.LBB1245_162:                           ; =>This Inner Loop Header: Depth=1
	v_add_u32_e32 v26, v14, v15
	v_lshrrev_b32_e32 v64, 1, v26
	v_xad_u32 v54, v64, -1, v7
	v_lshl_add_u32 v26, v64, 3, v24
	ds_read_b64 v[26:27], v26
	v_lshl_add_u32 v54, v54, 3, v25
	ds_read_b64 v[54:55], v54
	v_add_u32_e32 v65, 1, v64
	s_waitcnt lgkmcnt(1)
	v_add_f64 v[26:27], v[26:27], 0
	s_waitcnt lgkmcnt(0)
	v_add_f64 v[54:55], v[54:55], 0
	v_ashrrev_i32_e32 v66, 31, v27
	v_or_b32_e32 v67, 0x80000000, v66
	v_xor_b32_e32 v26, v66, v26
	v_ashrrev_i32_e32 v66, 31, v55
	v_xor_b32_e32 v27, v67, v27
	v_or_b32_e32 v67, 0x80000000, v66
	v_xor_b32_e32 v54, v66, v54
	v_xor_b32_e32 v55, v67, v55
	v_cmp_gt_u64_e32 vcc, v[26:27], v[54:55]
	v_cndmask_b32_e32 v14, v14, v64, vcc
	v_cndmask_b32_e32 v15, v65, v15, vcc
	v_cmp_ge_u32_e32 vcc, v15, v14
	s_or_b64 s[12:13], vcc, s[12:13]
	s_andn2_b64 exec, exec, s[12:13]
	s_cbranch_execnz .LBB1245_162
; %bb.163:
	s_or_b64 exec, exec, s[12:13]
.LBB1245_164:
	s_or_b64 exec, exec, s[8:9]
	v_add_u32_e32 v14, v15, v6
	v_add_u32_e32 v6, v49, v7
	v_sub_u32_e32 v15, v6, v15
	v_cmp_le_u32_e32 vcc, v14, v49
	v_cmp_le_u32_e64 s[8:9], v15, v53
	s_or_b64 s[8:9], vcc, s[8:9]
	s_and_saveexec_b64 s[12:13], s[8:9]
	s_cbranch_execz .LBB1245_184
; %bb.165:
	v_cmp_ge_u32_e32 vcc, v14, v49
	v_cmp_lt_u32_e64 s[8:9], v14, v49
                                        ; implicit-def: $vgpr2_vgpr3
	s_and_saveexec_b64 s[20:21], s[8:9]
; %bb.166:
	v_lshl_add_u32 v0, v14, 3, v29
	ds_read_b64 v[2:3], v0
; %bb.167:
	s_or_b64 exec, exec, s[20:21]
	v_cmp_ge_u32_e64 s[20:21], v15, v53
	v_cmp_lt_u32_e64 s[8:9], v15, v53
                                        ; implicit-def: $vgpr6_vgpr7
	s_and_saveexec_b64 s[22:23], s[8:9]
; %bb.168:
	v_lshl_add_u32 v0, v15, 3, v29
	ds_read_b64 v[6:7], v0
; %bb.169:
	s_or_b64 exec, exec, s[22:23]
	s_nor_b64 s[22:23], vcc, s[20:21]
	s_and_saveexec_b64 s[8:9], s[22:23]
	s_cbranch_execz .LBB1245_171
; %bb.170:
	s_waitcnt lgkmcnt(0)
	v_add_f64 v[0:1], v[2:3], 0
	v_add_f64 v[8:9], v[6:7], 0
	s_andn2_b64 s[20:21], s[20:21], exec
	v_ashrrev_i32_e32 v16, 31, v1
	v_ashrrev_i32_e32 v17, 31, v9
	v_or_b32_e32 v18, 0x80000000, v16
	v_xor_b32_e32 v0, v16, v0
	v_or_b32_e32 v16, 0x80000000, v17
	v_xor_b32_e32 v1, v18, v1
	v_xor_b32_e32 v9, v16, v9
	v_xor_b32_e32 v8, v17, v8
	v_cmp_le_u64_e32 vcc, v[0:1], v[8:9]
	s_and_b64 s[22:23], vcc, exec
	s_or_b64 s[20:21], s[20:21], s[22:23]
.LBB1245_171:
	s_or_b64 exec, exec, s[8:9]
	v_cndmask_b32_e64 v0, v15, v14, s[20:21]
	v_cndmask_b32_e64 v1, v53, v49, s[20:21]
	v_add_u32_e32 v18, 1, v0
	v_add_u32_e32 v1, -1, v1
	v_min_u32_e32 v1, v18, v1
	v_lshl_add_u32 v1, v1, 3, v29
	ds_read_b64 v[8:9], v1
	v_lshl_add_u32 v0, v0, 3, v28
	ds_read_b64 v[16:17], v0
	v_cndmask_b32_e64 v20, v18, v15, s[20:21]
	v_cndmask_b32_e64 v21, v14, v18, s[20:21]
	s_waitcnt lgkmcnt(1)
	v_cndmask_b32_e64 v1, v9, v7, s[20:21]
	v_cndmask_b32_e64 v0, v8, v6, s[20:21]
	;; [unrolled: 1-line block ×4, first 2 shown]
	v_cmp_lt_u32_e32 vcc, v20, v53
	s_mov_b64 s[22:23], -1
	s_mov_b64 s[8:9], -1
	s_and_saveexec_b64 s[24:25], vcc
	s_cbranch_execz .LBB1245_175
; %bb.172:
	v_cmp_lt_u32_e32 vcc, v21, v49
	s_mov_b64 s[26:27], 0
	s_and_saveexec_b64 s[8:9], vcc
	s_cbranch_execz .LBB1245_174
; %bb.173:
	v_add_f64 v[14:15], v[8:9], 0
	v_add_f64 v[18:19], v[0:1], 0
	v_ashrrev_i32_e32 v22, 31, v15
	v_ashrrev_i32_e32 v23, 31, v19
	v_or_b32_e32 v24, 0x80000000, v22
	v_xor_b32_e32 v14, v22, v14
	v_or_b32_e32 v22, 0x80000000, v23
	v_xor_b32_e32 v15, v24, v15
	v_xor_b32_e32 v19, v22, v19
	;; [unrolled: 1-line block ×3, first 2 shown]
	v_cmp_le_u64_e32 vcc, v[14:15], v[18:19]
	s_and_b64 s[26:27], vcc, exec
.LBB1245_174:
	s_or_b64 exec, exec, s[8:9]
	s_orn2_b64 s[8:9], s[26:27], exec
.LBB1245_175:
	s_or_b64 exec, exec, s[24:25]
	v_cndmask_b32_e64 v14, v20, v21, s[8:9]
	v_cndmask_b32_e64 v15, v53, v49, s[8:9]
	v_add_u32_e32 v24, 1, v14
	v_add_u32_e32 v15, -1, v15
	v_min_u32_e32 v15, v24, v15
	v_lshl_add_u32 v15, v15, 3, v29
	ds_read_b64 v[22:23], v15
	v_lshl_add_u32 v14, v14, 3, v28
	ds_read_b64 v[18:19], v14
	v_cndmask_b32_e64 v32, v24, v20, s[8:9]
	v_cndmask_b32_e64 v33, v21, v24, s[8:9]
	s_waitcnt lgkmcnt(1)
	v_cndmask_b32_e64 v15, v23, v1, s[8:9]
	v_cndmask_b32_e64 v14, v22, v0, s[8:9]
	;; [unrolled: 1-line block ×4, first 2 shown]
	v_cmp_lt_u32_e32 vcc, v32, v53
	s_and_saveexec_b64 s[24:25], vcc
	s_cbranch_execz .LBB1245_179
; %bb.176:
	v_cmp_lt_u32_e32 vcc, v33, v49
	s_mov_b64 s[26:27], 0
	s_and_saveexec_b64 s[22:23], vcc
	s_cbranch_execz .LBB1245_178
; %bb.177:
	v_add_f64 v[20:21], v[22:23], 0
	v_add_f64 v[24:25], v[14:15], 0
	v_ashrrev_i32_e32 v26, 31, v21
	v_ashrrev_i32_e32 v27, 31, v25
	v_or_b32_e32 v54, 0x80000000, v26
	v_xor_b32_e32 v20, v26, v20
	v_or_b32_e32 v26, 0x80000000, v27
	v_xor_b32_e32 v21, v54, v21
	v_xor_b32_e32 v25, v26, v25
	;; [unrolled: 1-line block ×3, first 2 shown]
	v_cmp_le_u64_e32 vcc, v[20:21], v[24:25]
	s_and_b64 s[26:27], vcc, exec
.LBB1245_178:
	s_or_b64 exec, exec, s[22:23]
	s_orn2_b64 s[22:23], s[26:27], exec
.LBB1245_179:
	s_or_b64 exec, exec, s[24:25]
	v_cndmask_b32_e64 v20, v32, v33, s[22:23]
	v_cndmask_b32_e64 v21, v53, v49, s[22:23]
	v_add_u32_e32 v55, 1, v20
	v_add_u32_e32 v21, -1, v21
	v_min_u32_e32 v21, v55, v21
	v_lshl_add_u32 v21, v21, 3, v29
	ds_read_b64 v[26:27], v21
	v_lshl_add_u32 v20, v20, 3, v28
	ds_read_b64 v[20:21], v20
	v_cndmask_b32_e64 v54, v55, v32, s[22:23]
	v_cndmask_b32_e64 v55, v33, v55, s[22:23]
	s_waitcnt lgkmcnt(1)
	v_cndmask_b32_e64 v25, v27, v15, s[22:23]
	v_cndmask_b32_e64 v24, v26, v14, s[22:23]
	v_cndmask_b32_e64 v27, v23, v27, s[22:23]
	v_cndmask_b32_e64 v26, v22, v26, s[22:23]
	v_cmp_lt_u32_e32 vcc, v54, v53
	s_mov_b64 s[26:27], -1
	s_and_saveexec_b64 s[24:25], vcc
	s_cbranch_execz .LBB1245_183
; %bb.180:
	v_cmp_lt_u32_e32 vcc, v55, v49
	s_mov_b64 s[28:29], 0
	s_and_saveexec_b64 s[26:27], vcc
	s_cbranch_execz .LBB1245_182
; %bb.181:
	v_add_f64 v[32:33], v[26:27], 0
	v_add_f64 v[64:65], v[24:25], 0
	v_ashrrev_i32_e32 v49, 31, v33
	v_ashrrev_i32_e32 v53, 31, v65
	v_or_b32_e32 v66, 0x80000000, v49
	v_xor_b32_e32 v32, v49, v32
	v_or_b32_e32 v49, 0x80000000, v53
	v_xor_b32_e32 v33, v66, v33
	v_xor_b32_e32 v65, v49, v65
	;; [unrolled: 1-line block ×3, first 2 shown]
	v_cmp_le_u64_e32 vcc, v[32:33], v[64:65]
	s_and_b64 s[28:29], vcc, exec
.LBB1245_182:
	s_or_b64 exec, exec, s[26:27]
	s_orn2_b64 s[26:27], s[28:29], exec
.LBB1245_183:
	s_or_b64 exec, exec, s[24:25]
	v_cndmask_b32_e64 v0, v0, v8, s[8:9]
	v_cndmask_b32_e64 v8, v54, v55, s[26:27]
	v_lshl_add_u32 v8, v8, 3, v28
	v_cndmask_b32_e64 v33, v15, v23, s[22:23]
	v_cndmask_b32_e64 v32, v14, v22, s[22:23]
	ds_read_b64 v[22:23], v8
	v_cndmask_b32_e64 v1, v1, v9, s[8:9]
	v_cndmask_b32_e64 v9, v7, v3, s[20:21]
	v_cndmask_b32_e64 v8, v6, v2, s[20:21]
	v_cndmask_b32_e64 v3, v25, v27, s[26:27]
	v_cndmask_b32_e64 v2, v24, v26, s[26:27]
.LBB1245_184:
	s_or_b64 exec, exec, s[12:13]
	v_and_b32_e32 v6, 0x1e0, v51
	v_or_b32_e32 v7, 16, v6
	; wave barrier
	ds_write_b64 v31, v[8:9]
	ds_write_b64 v34, v[16:17]
	;; [unrolled: 1-line block ×5, first 2 shown]
	s_waitcnt lgkmcnt(6)
	ds_write_b64 v38, v[20:21]
	ds_write_b64 v39, v[2:3]
	s_waitcnt lgkmcnt(7)
	ds_write_b64 v48, v[22:23]
	v_min_u32_e32 v31, v30, v7
	v_add_u32_e32 v7, 16, v31
	v_min_u32_e32 v34, v30, v7
	v_min_u32_e32 v7, v30, v52
	v_sub_u32_e32 v14, v31, v6
	v_sub_u32_e32 v15, v34, v31
	v_sub_u32_e64 v15, v7, v15 clamp
	v_min_u32_e32 v14, v7, v14
	v_cmp_lt_u32_e32 vcc, v15, v14
	; wave barrier
	s_and_saveexec_b64 s[8:9], vcc
	s_cbranch_execz .LBB1245_188
; %bb.185:
	v_lshlrev_b32_e32 v24, 3, v6
	v_lshlrev_b32_e32 v25, 3, v31
	v_add_co_u32_e32 v24, vcc, v29, v24
	v_add_co_u32_e32 v25, vcc, v29, v25
	s_mov_b64 s[12:13], 0
.LBB1245_186:                           ; =>This Inner Loop Header: Depth=1
	v_add_u32_e32 v26, v14, v15
	v_lshrrev_b32_e32 v30, 1, v26
	v_xad_u32 v35, v30, -1, v7
	v_lshl_add_u32 v26, v30, 3, v24
	ds_read_b64 v[26:27], v26
	v_lshl_add_u32 v35, v35, 3, v25
	ds_read_b64 v[35:36], v35
	v_add_u32_e32 v37, 1, v30
	s_waitcnt lgkmcnt(1)
	v_add_f64 v[26:27], v[26:27], 0
	s_waitcnt lgkmcnt(0)
	v_add_f64 v[35:36], v[35:36], 0
	v_ashrrev_i32_e32 v38, 31, v27
	v_or_b32_e32 v39, 0x80000000, v38
	v_xor_b32_e32 v26, v38, v26
	v_ashrrev_i32_e32 v38, 31, v36
	v_xor_b32_e32 v27, v39, v27
	v_or_b32_e32 v39, 0x80000000, v38
	v_xor_b32_e32 v35, v38, v35
	v_xor_b32_e32 v36, v39, v36
	v_cmp_gt_u64_e32 vcc, v[26:27], v[35:36]
	v_cndmask_b32_e32 v14, v14, v30, vcc
	v_cndmask_b32_e32 v15, v37, v15, vcc
	v_cmp_ge_u32_e32 vcc, v15, v14
	s_or_b64 s[12:13], vcc, s[12:13]
	s_andn2_b64 exec, exec, s[12:13]
	s_cbranch_execnz .LBB1245_186
; %bb.187:
	s_or_b64 exec, exec, s[12:13]
.LBB1245_188:
	s_or_b64 exec, exec, s[8:9]
	v_add_u32_e32 v14, v15, v6
	v_add_u32_e32 v6, v31, v7
	v_sub_u32_e32 v15, v6, v15
	v_cmp_le_u32_e32 vcc, v14, v31
	v_cmp_le_u32_e64 s[8:9], v15, v34
	s_or_b64 s[8:9], vcc, s[8:9]
	s_and_saveexec_b64 s[12:13], s[8:9]
	s_cbranch_execz .LBB1245_208
; %bb.189:
	v_cmp_ge_u32_e32 vcc, v14, v31
	v_cmp_lt_u32_e64 s[8:9], v14, v31
                                        ; implicit-def: $vgpr2_vgpr3
	s_and_saveexec_b64 s[20:21], s[8:9]
; %bb.190:
	v_lshl_add_u32 v0, v14, 3, v29
	ds_read_b64 v[2:3], v0
; %bb.191:
	s_or_b64 exec, exec, s[20:21]
	v_cmp_ge_u32_e64 s[20:21], v15, v34
	v_cmp_lt_u32_e64 s[8:9], v15, v34
                                        ; implicit-def: $vgpr6_vgpr7
	s_and_saveexec_b64 s[22:23], s[8:9]
; %bb.192:
	v_lshl_add_u32 v0, v15, 3, v29
	ds_read_b64 v[6:7], v0
; %bb.193:
	s_or_b64 exec, exec, s[22:23]
	s_nor_b64 s[22:23], vcc, s[20:21]
	s_and_saveexec_b64 s[8:9], s[22:23]
	s_cbranch_execz .LBB1245_195
; %bb.194:
	s_waitcnt lgkmcnt(0)
	v_add_f64 v[0:1], v[2:3], 0
	v_add_f64 v[8:9], v[6:7], 0
	s_andn2_b64 s[20:21], s[20:21], exec
	v_ashrrev_i32_e32 v16, 31, v1
	v_ashrrev_i32_e32 v17, 31, v9
	v_or_b32_e32 v18, 0x80000000, v16
	v_xor_b32_e32 v0, v16, v0
	v_or_b32_e32 v16, 0x80000000, v17
	v_xor_b32_e32 v1, v18, v1
	v_xor_b32_e32 v9, v16, v9
	;; [unrolled: 1-line block ×3, first 2 shown]
	v_cmp_le_u64_e32 vcc, v[0:1], v[8:9]
	s_and_b64 s[22:23], vcc, exec
	s_or_b64 s[20:21], s[20:21], s[22:23]
.LBB1245_195:
	s_or_b64 exec, exec, s[8:9]
	v_cndmask_b32_e64 v0, v15, v14, s[20:21]
	v_cndmask_b32_e64 v1, v34, v31, s[20:21]
	v_add_u32_e32 v18, 1, v0
	v_add_u32_e32 v1, -1, v1
	v_min_u32_e32 v1, v18, v1
	v_lshl_add_u32 v1, v1, 3, v29
	ds_read_b64 v[8:9], v1
	v_lshl_add_u32 v0, v0, 3, v28
	ds_read_b64 v[16:17], v0
	v_cndmask_b32_e64 v20, v18, v15, s[20:21]
	v_cndmask_b32_e64 v21, v14, v18, s[20:21]
	s_waitcnt lgkmcnt(1)
	v_cndmask_b32_e64 v1, v9, v7, s[20:21]
	v_cndmask_b32_e64 v0, v8, v6, s[20:21]
	;; [unrolled: 1-line block ×4, first 2 shown]
	v_cmp_lt_u32_e32 vcc, v20, v34
	s_mov_b64 s[22:23], -1
	s_mov_b64 s[8:9], -1
	s_and_saveexec_b64 s[24:25], vcc
	s_cbranch_execz .LBB1245_199
; %bb.196:
	v_cmp_lt_u32_e32 vcc, v21, v31
	s_mov_b64 s[26:27], 0
	s_and_saveexec_b64 s[8:9], vcc
	s_cbranch_execz .LBB1245_198
; %bb.197:
	v_add_f64 v[14:15], v[8:9], 0
	v_add_f64 v[18:19], v[0:1], 0
	v_ashrrev_i32_e32 v22, 31, v15
	v_ashrrev_i32_e32 v23, 31, v19
	v_or_b32_e32 v24, 0x80000000, v22
	v_xor_b32_e32 v14, v22, v14
	v_or_b32_e32 v22, 0x80000000, v23
	v_xor_b32_e32 v15, v24, v15
	v_xor_b32_e32 v19, v22, v19
	v_xor_b32_e32 v18, v23, v18
	v_cmp_le_u64_e32 vcc, v[14:15], v[18:19]
	s_and_b64 s[26:27], vcc, exec
.LBB1245_198:
	s_or_b64 exec, exec, s[8:9]
	s_orn2_b64 s[8:9], s[26:27], exec
.LBB1245_199:
	s_or_b64 exec, exec, s[24:25]
	v_cndmask_b32_e64 v14, v20, v21, s[8:9]
	v_cndmask_b32_e64 v15, v34, v31, s[8:9]
	v_add_u32_e32 v24, 1, v14
	v_add_u32_e32 v15, -1, v15
	v_min_u32_e32 v15, v24, v15
	v_lshl_add_u32 v15, v15, 3, v29
	ds_read_b64 v[22:23], v15
	v_lshl_add_u32 v14, v14, 3, v28
	ds_read_b64 v[18:19], v14
	v_cndmask_b32_e64 v30, v24, v20, s[8:9]
	v_cndmask_b32_e64 v32, v21, v24, s[8:9]
	s_waitcnt lgkmcnt(1)
	v_cndmask_b32_e64 v15, v23, v1, s[8:9]
	v_cndmask_b32_e64 v14, v22, v0, s[8:9]
	;; [unrolled: 1-line block ×4, first 2 shown]
	v_cmp_lt_u32_e32 vcc, v30, v34
	s_and_saveexec_b64 s[24:25], vcc
	s_cbranch_execz .LBB1245_203
; %bb.200:
	v_cmp_lt_u32_e32 vcc, v32, v31
	s_mov_b64 s[26:27], 0
	s_and_saveexec_b64 s[22:23], vcc
	s_cbranch_execz .LBB1245_202
; %bb.201:
	v_add_f64 v[20:21], v[22:23], 0
	v_add_f64 v[24:25], v[14:15], 0
	v_ashrrev_i32_e32 v26, 31, v21
	v_ashrrev_i32_e32 v27, 31, v25
	v_or_b32_e32 v33, 0x80000000, v26
	v_xor_b32_e32 v20, v26, v20
	v_or_b32_e32 v26, 0x80000000, v27
	v_xor_b32_e32 v21, v33, v21
	v_xor_b32_e32 v25, v26, v25
	;; [unrolled: 1-line block ×3, first 2 shown]
	v_cmp_le_u64_e32 vcc, v[20:21], v[24:25]
	s_and_b64 s[26:27], vcc, exec
.LBB1245_202:
	s_or_b64 exec, exec, s[22:23]
	s_orn2_b64 s[22:23], s[26:27], exec
.LBB1245_203:
	s_or_b64 exec, exec, s[24:25]
	v_cndmask_b32_e64 v20, v30, v32, s[22:23]
	v_cndmask_b32_e64 v21, v34, v31, s[22:23]
	v_add_u32_e32 v33, 1, v20
	v_add_u32_e32 v21, -1, v21
	v_min_u32_e32 v21, v33, v21
	v_lshl_add_u32 v21, v21, 3, v29
	ds_read_b64 v[26:27], v21
	v_lshl_add_u32 v20, v20, 3, v28
	ds_read_b64 v[20:21], v20
	v_cndmask_b32_e64 v29, v33, v30, s[22:23]
	v_cndmask_b32_e64 v30, v32, v33, s[22:23]
	s_waitcnt lgkmcnt(1)
	v_cndmask_b32_e64 v25, v27, v15, s[22:23]
	v_cndmask_b32_e64 v24, v26, v14, s[22:23]
	;; [unrolled: 1-line block ×4, first 2 shown]
	v_cmp_lt_u32_e32 vcc, v29, v34
	s_mov_b64 s[26:27], -1
	s_and_saveexec_b64 s[24:25], vcc
	s_cbranch_execz .LBB1245_207
; %bb.204:
	v_cmp_lt_u32_e32 vcc, v30, v31
	s_mov_b64 s[28:29], 0
	s_and_saveexec_b64 s[26:27], vcc
	s_cbranch_execz .LBB1245_206
; %bb.205:
	v_add_f64 v[31:32], v[26:27], 0
	v_add_f64 v[33:34], v[24:25], 0
	v_ashrrev_i32_e32 v35, 31, v32
	v_ashrrev_i32_e32 v36, 31, v34
	v_or_b32_e32 v37, 0x80000000, v35
	v_xor_b32_e32 v31, v35, v31
	v_or_b32_e32 v35, 0x80000000, v36
	v_xor_b32_e32 v32, v37, v32
	v_xor_b32_e32 v34, v35, v34
	;; [unrolled: 1-line block ×3, first 2 shown]
	v_cmp_le_u64_e32 vcc, v[31:32], v[33:34]
	s_and_b64 s[28:29], vcc, exec
.LBB1245_206:
	s_or_b64 exec, exec, s[26:27]
	s_orn2_b64 s[26:27], s[28:29], exec
.LBB1245_207:
	s_or_b64 exec, exec, s[24:25]
	v_cndmask_b32_e64 v0, v0, v8, s[8:9]
	v_cndmask_b32_e64 v8, v29, v30, s[26:27]
	v_lshl_add_u32 v8, v8, 3, v28
	v_cndmask_b32_e64 v33, v15, v23, s[22:23]
	v_cndmask_b32_e64 v32, v14, v22, s[22:23]
	ds_read_b64 v[22:23], v8
	v_cndmask_b32_e64 v1, v1, v9, s[8:9]
	v_cndmask_b32_e64 v9, v7, v3, s[20:21]
	;; [unrolled: 1-line block ×5, first 2 shown]
.LBB1245_208:
	s_or_b64 exec, exec, s[12:13]
	v_add_co_u32_e32 v4, vcc, v4, v12
	v_addc_co_u32_e32 v5, vcc, v5, v13, vcc
	v_add_co_u32_e32 v4, vcc, v4, v50
	v_addc_co_u32_e32 v5, vcc, 0, v5, vcc
	; wave barrier
	s_waitcnt lgkmcnt(0)
	s_barrier
	; wave barrier
	s_and_saveexec_b64 s[8:9], s[4:5]
	s_cbranch_execnz .LBB1245_230
; %bb.209:
	s_or_b64 exec, exec, s[8:9]
	s_and_saveexec_b64 s[8:9], s[6:7]
	s_cbranch_execnz .LBB1245_231
.LBB1245_210:
	s_or_b64 exec, exec, s[8:9]
	s_and_saveexec_b64 s[8:9], s[10:11]
	s_cbranch_execnz .LBB1245_232
.LBB1245_211:
	s_or_b64 exec, exec, s[8:9]
	s_and_saveexec_b64 s[8:9], s[14:15]
	s_cbranch_execz .LBB1245_213
.LBB1245_212:
	flat_store_dwordx2 v[4:5], v[2:3] offset:24
.LBB1245_213:
	s_or_b64 exec, exec, s[8:9]
	v_add_co_u32_e32 v0, vcc, v10, v12
	v_addc_co_u32_e32 v1, vcc, v11, v13, vcc
	v_add_co_u32_e32 v0, vcc, v0, v50
	v_addc_co_u32_e32 v1, vcc, 0, v1, vcc
	; wave barrier
	s_and_saveexec_b64 s[8:9], s[4:5]
	s_cbranch_execnz .LBB1245_233
; %bb.214:
	s_or_b64 exec, exec, s[8:9]
	s_and_saveexec_b64 s[4:5], s[6:7]
	s_cbranch_execnz .LBB1245_234
.LBB1245_215:
	s_or_b64 exec, exec, s[4:5]
	s_and_saveexec_b64 s[4:5], s[10:11]
	s_cbranch_execz .LBB1245_217
.LBB1245_216:
	flat_store_dwordx2 v[0:1], v[20:21] offset:16
.LBB1245_217:
	s_or_b64 exec, exec, s[4:5]
	s_andn2_b64 s[4:5], s[16:17], exec
	s_and_b64 s[6:7], s[14:15], exec
	v_mov_b32_e32 v8, v10
	s_or_b64 s[16:17], s[4:5], s[6:7]
	v_mov_b32_e32 v9, v11
	s_or_b64 exec, exec, s[18:19]
	s_and_saveexec_b64 s[4:5], s[16:17]
	s_cbranch_execz .LBB1245_3
.LBB1245_218:
	v_add_co_u32_e32 v0, vcc, v8, v12
	v_addc_co_u32_e32 v1, vcc, v9, v13, vcc
	v_add_co_u32_e32 v0, vcc, v0, v50
	v_addc_co_u32_e32 v1, vcc, 0, v1, vcc
	flat_store_dwordx2 v[0:1], v[22:23] offset:24
	s_or_b64 exec, exec, s[4:5]
	s_waitcnt vmcnt(0) lgkmcnt(0)
	s_setpc_b64 s[30:31]
.LBB1245_219:
	flat_load_dwordx2 v[17:18], v[6:7]
	v_mov_b32_e32 v19, v16
	v_mov_b32_e32 v20, v16
	;; [unrolled: 1-line block ×6, first 2 shown]
	s_waitcnt vmcnt(0) lgkmcnt(0)
	v_mov_b32_e32 v16, v17
	v_mov_b32_e32 v17, v18
	;; [unrolled: 1-line block ×8, first 2 shown]
	s_or_b64 exec, exec, s[16:17]
	s_and_saveexec_b64 s[16:17], s[6:7]
	s_cbranch_execz .LBB1245_14
.LBB1245_220:
	flat_load_dwordx2 v[18:19], v[6:7] offset:8
	s_or_b64 exec, exec, s[16:17]
	s_and_saveexec_b64 s[16:17], s[10:11]
	s_cbranch_execz .LBB1245_15
.LBB1245_221:
	flat_load_dwordx2 v[20:21], v[6:7] offset:16
	s_or_b64 exec, exec, s[16:17]
	s_and_saveexec_b64 s[16:17], s[14:15]
	s_cbranch_execnz .LBB1245_16
	s_branch .LBB1245_17
.LBB1245_222:
	flat_store_dwordx2 v[2:3], v[10:11]
	s_or_b64 exec, exec, s[16:17]
	s_and_saveexec_b64 s[16:17], s[6:7]
	s_cbranch_execz .LBB1245_103
.LBB1245_223:
	flat_store_dwordx2 v[2:3], v[0:1] offset:8
	s_or_b64 exec, exec, s[16:17]
	s_and_saveexec_b64 s[16:17], s[10:11]
	s_cbranch_execz .LBB1245_104
.LBB1245_224:
	flat_store_dwordx2 v[2:3], v[32:33] offset:16
	s_or_b64 exec, exec, s[16:17]
	s_and_saveexec_b64 s[16:17], s[14:15]
	s_cbranch_execnz .LBB1245_105
	s_branch .LBB1245_106
.LBB1245_225:
	flat_store_dwordx2 v[0:1], v[16:17]
	s_or_b64 exec, exec, s[16:17]
	s_and_saveexec_b64 s[16:17], s[6:7]
	s_cbranch_execz .LBB1245_108
.LBB1245_226:
	flat_store_dwordx2 v[0:1], v[18:19] offset:8
	s_or_b64 exec, exec, s[16:17]
	s_and_saveexec_b64 s[6:7], s[10:11]
	s_cbranch_execnz .LBB1245_109
	s_branch .LBB1245_110
.LBB1245_227:
	flat_load_dwordx2 v[17:18], v[6:7]
	v_mov_b32_e32 v19, v16
	v_mov_b32_e32 v20, v16
	;; [unrolled: 1-line block ×6, first 2 shown]
	s_waitcnt vmcnt(0) lgkmcnt(0)
	v_mov_b32_e32 v16, v17
	v_mov_b32_e32 v17, v18
	;; [unrolled: 1-line block ×8, first 2 shown]
	s_or_b64 exec, exec, s[20:21]
	s_and_saveexec_b64 s[20:21], s[6:7]
	s_cbranch_execz .LBB1245_121
.LBB1245_228:
	flat_load_dwordx2 v[18:19], v[6:7] offset:8
	s_or_b64 exec, exec, s[20:21]
	s_and_saveexec_b64 s[20:21], s[10:11]
	s_cbranch_execz .LBB1245_122
.LBB1245_229:
	flat_load_dwordx2 v[20:21], v[6:7] offset:16
	s_or_b64 exec, exec, s[20:21]
	s_and_saveexec_b64 s[20:21], s[14:15]
	s_cbranch_execnz .LBB1245_123
	s_branch .LBB1245_124
.LBB1245_230:
	flat_store_dwordx2 v[4:5], v[8:9]
	s_or_b64 exec, exec, s[8:9]
	s_and_saveexec_b64 s[8:9], s[6:7]
	s_cbranch_execz .LBB1245_210
.LBB1245_231:
	flat_store_dwordx2 v[4:5], v[0:1] offset:8
	s_or_b64 exec, exec, s[8:9]
	s_and_saveexec_b64 s[8:9], s[10:11]
	s_cbranch_execz .LBB1245_211
.LBB1245_232:
	flat_store_dwordx2 v[4:5], v[32:33] offset:16
	s_or_b64 exec, exec, s[8:9]
	s_and_saveexec_b64 s[8:9], s[14:15]
	s_cbranch_execnz .LBB1245_212
	s_branch .LBB1245_213
.LBB1245_233:
	flat_store_dwordx2 v[0:1], v[16:17]
	s_or_b64 exec, exec, s[8:9]
	s_and_saveexec_b64 s[4:5], s[6:7]
	s_cbranch_execz .LBB1245_215
.LBB1245_234:
	flat_store_dwordx2 v[0:1], v[18:19] offset:8
	s_or_b64 exec, exec, s[4:5]
	s_and_saveexec_b64 s[4:5], s[10:11]
	s_cbranch_execnz .LBB1245_216
	s_branch .LBB1245_217
.Lfunc_end1245:
	.size	_ZN7rocprim17ROCPRIM_400000_NS6detail26segmented_warp_sort_helperINS1_20WarpSortHelperConfigILj8ELj4ELj256EEEdlLi256ELb0EvE4sortIPKdPdPKlPlEEvT_S9_T0_T1_SC_T2_bjjjjRNS5_12storage_typeE, .Lfunc_end1245-_ZN7rocprim17ROCPRIM_400000_NS6detail26segmented_warp_sort_helperINS1_20WarpSortHelperConfigILj8ELj4ELj256EEEdlLi256ELb0EvE4sortIPKdPdPKlPlEEvT_S9_T0_T1_SC_T2_bjjjjRNS5_12storage_typeE
                                        ; -- End function
	.set .L_ZN7rocprim17ROCPRIM_400000_NS6detail26segmented_warp_sort_helperINS1_20WarpSortHelperConfigILj8ELj4ELj256EEEdlLi256ELb0EvE4sortIPKdPdPKlPlEEvT_S9_T0_T1_SC_T2_bjjjjRNS5_12storage_typeE.num_vgpr, 68
	.set .L_ZN7rocprim17ROCPRIM_400000_NS6detail26segmented_warp_sort_helperINS1_20WarpSortHelperConfigILj8ELj4ELj256EEEdlLi256ELb0EvE4sortIPKdPdPKlPlEEvT_S9_T0_T1_SC_T2_bjjjjRNS5_12storage_typeE.num_agpr, 0
	.set .L_ZN7rocprim17ROCPRIM_400000_NS6detail26segmented_warp_sort_helperINS1_20WarpSortHelperConfigILj8ELj4ELj256EEEdlLi256ELb0EvE4sortIPKdPdPKlPlEEvT_S9_T0_T1_SC_T2_bjjjjRNS5_12storage_typeE.numbered_sgpr, 42
	.set .L_ZN7rocprim17ROCPRIM_400000_NS6detail26segmented_warp_sort_helperINS1_20WarpSortHelperConfigILj8ELj4ELj256EEEdlLi256ELb0EvE4sortIPKdPdPKlPlEEvT_S9_T0_T1_SC_T2_bjjjjRNS5_12storage_typeE.num_named_barrier, 0
	.set .L_ZN7rocprim17ROCPRIM_400000_NS6detail26segmented_warp_sort_helperINS1_20WarpSortHelperConfigILj8ELj4ELj256EEEdlLi256ELb0EvE4sortIPKdPdPKlPlEEvT_S9_T0_T1_SC_T2_bjjjjRNS5_12storage_typeE.private_seg_size, 0
	.set .L_ZN7rocprim17ROCPRIM_400000_NS6detail26segmented_warp_sort_helperINS1_20WarpSortHelperConfigILj8ELj4ELj256EEEdlLi256ELb0EvE4sortIPKdPdPKlPlEEvT_S9_T0_T1_SC_T2_bjjjjRNS5_12storage_typeE.uses_vcc, 1
	.set .L_ZN7rocprim17ROCPRIM_400000_NS6detail26segmented_warp_sort_helperINS1_20WarpSortHelperConfigILj8ELj4ELj256EEEdlLi256ELb0EvE4sortIPKdPdPKlPlEEvT_S9_T0_T1_SC_T2_bjjjjRNS5_12storage_typeE.uses_flat_scratch, 0
	.set .L_ZN7rocprim17ROCPRIM_400000_NS6detail26segmented_warp_sort_helperINS1_20WarpSortHelperConfigILj8ELj4ELj256EEEdlLi256ELb0EvE4sortIPKdPdPKlPlEEvT_S9_T0_T1_SC_T2_bjjjjRNS5_12storage_typeE.has_dyn_sized_stack, 0
	.set .L_ZN7rocprim17ROCPRIM_400000_NS6detail26segmented_warp_sort_helperINS1_20WarpSortHelperConfigILj8ELj4ELj256EEEdlLi256ELb0EvE4sortIPKdPdPKlPlEEvT_S9_T0_T1_SC_T2_bjjjjRNS5_12storage_typeE.has_recursion, 0
	.set .L_ZN7rocprim17ROCPRIM_400000_NS6detail26segmented_warp_sort_helperINS1_20WarpSortHelperConfigILj8ELj4ELj256EEEdlLi256ELb0EvE4sortIPKdPdPKlPlEEvT_S9_T0_T1_SC_T2_bjjjjRNS5_12storage_typeE.has_indirect_call, 0
	.section	.AMDGPU.csdata,"",@progbits
; Function info:
; codeLenInByte = 10920
; TotalNumSgprs: 46
; NumVgprs: 68
; ScratchSize: 0
; MemoryBound: 1
	.section	.text._ZN7rocprim17ROCPRIM_400000_NS6detail17trampoline_kernelINS0_14default_configENS1_36segmented_radix_sort_config_selectorIdlEEZNS1_25segmented_radix_sort_implIS3_Lb0EPKdPdPKlPlN2at6native12_GLOBAL__N_18offset_tEEE10hipError_tPvRmT1_PNSt15iterator_traitsISK_E10value_typeET2_T3_PNSL_ISQ_E10value_typeET4_jRbjT5_SW_jjP12ihipStream_tbEUlT_E1_NS1_11comp_targetILNS1_3genE2ELNS1_11target_archE906ELNS1_3gpuE6ELNS1_3repE0EEENS1_59segmented_radix_sort_warp_sort_small_config_static_selectorELNS0_4arch9wavefront6targetE1EEEvSK_,"axG",@progbits,_ZN7rocprim17ROCPRIM_400000_NS6detail17trampoline_kernelINS0_14default_configENS1_36segmented_radix_sort_config_selectorIdlEEZNS1_25segmented_radix_sort_implIS3_Lb0EPKdPdPKlPlN2at6native12_GLOBAL__N_18offset_tEEE10hipError_tPvRmT1_PNSt15iterator_traitsISK_E10value_typeET2_T3_PNSL_ISQ_E10value_typeET4_jRbjT5_SW_jjP12ihipStream_tbEUlT_E1_NS1_11comp_targetILNS1_3genE2ELNS1_11target_archE906ELNS1_3gpuE6ELNS1_3repE0EEENS1_59segmented_radix_sort_warp_sort_small_config_static_selectorELNS0_4arch9wavefront6targetE1EEEvSK_,comdat
	.globl	_ZN7rocprim17ROCPRIM_400000_NS6detail17trampoline_kernelINS0_14default_configENS1_36segmented_radix_sort_config_selectorIdlEEZNS1_25segmented_radix_sort_implIS3_Lb0EPKdPdPKlPlN2at6native12_GLOBAL__N_18offset_tEEE10hipError_tPvRmT1_PNSt15iterator_traitsISK_E10value_typeET2_T3_PNSL_ISQ_E10value_typeET4_jRbjT5_SW_jjP12ihipStream_tbEUlT_E1_NS1_11comp_targetILNS1_3genE2ELNS1_11target_archE906ELNS1_3gpuE6ELNS1_3repE0EEENS1_59segmented_radix_sort_warp_sort_small_config_static_selectorELNS0_4arch9wavefront6targetE1EEEvSK_ ; -- Begin function _ZN7rocprim17ROCPRIM_400000_NS6detail17trampoline_kernelINS0_14default_configENS1_36segmented_radix_sort_config_selectorIdlEEZNS1_25segmented_radix_sort_implIS3_Lb0EPKdPdPKlPlN2at6native12_GLOBAL__N_18offset_tEEE10hipError_tPvRmT1_PNSt15iterator_traitsISK_E10value_typeET2_T3_PNSL_ISQ_E10value_typeET4_jRbjT5_SW_jjP12ihipStream_tbEUlT_E1_NS1_11comp_targetILNS1_3genE2ELNS1_11target_archE906ELNS1_3gpuE6ELNS1_3repE0EEENS1_59segmented_radix_sort_warp_sort_small_config_static_selectorELNS0_4arch9wavefront6targetE1EEEvSK_
	.p2align	8
	.type	_ZN7rocprim17ROCPRIM_400000_NS6detail17trampoline_kernelINS0_14default_configENS1_36segmented_radix_sort_config_selectorIdlEEZNS1_25segmented_radix_sort_implIS3_Lb0EPKdPdPKlPlN2at6native12_GLOBAL__N_18offset_tEEE10hipError_tPvRmT1_PNSt15iterator_traitsISK_E10value_typeET2_T3_PNSL_ISQ_E10value_typeET4_jRbjT5_SW_jjP12ihipStream_tbEUlT_E1_NS1_11comp_targetILNS1_3genE2ELNS1_11target_archE906ELNS1_3gpuE6ELNS1_3repE0EEENS1_59segmented_radix_sort_warp_sort_small_config_static_selectorELNS0_4arch9wavefront6targetE1EEEvSK_,@function
_ZN7rocprim17ROCPRIM_400000_NS6detail17trampoline_kernelINS0_14default_configENS1_36segmented_radix_sort_config_selectorIdlEEZNS1_25segmented_radix_sort_implIS3_Lb0EPKdPdPKlPlN2at6native12_GLOBAL__N_18offset_tEEE10hipError_tPvRmT1_PNSt15iterator_traitsISK_E10value_typeET2_T3_PNSL_ISQ_E10value_typeET4_jRbjT5_SW_jjP12ihipStream_tbEUlT_E1_NS1_11comp_targetILNS1_3genE2ELNS1_11target_archE906ELNS1_3gpuE6ELNS1_3repE0EEENS1_59segmented_radix_sort_warp_sort_small_config_static_selectorELNS0_4arch9wavefront6targetE1EEEvSK_: ; @_ZN7rocprim17ROCPRIM_400000_NS6detail17trampoline_kernelINS0_14default_configENS1_36segmented_radix_sort_config_selectorIdlEEZNS1_25segmented_radix_sort_implIS3_Lb0EPKdPdPKlPlN2at6native12_GLOBAL__N_18offset_tEEE10hipError_tPvRmT1_PNSt15iterator_traitsISK_E10value_typeET2_T3_PNSL_ISQ_E10value_typeET4_jRbjT5_SW_jjP12ihipStream_tbEUlT_E1_NS1_11comp_targetILNS1_3genE2ELNS1_11target_archE906ELNS1_3gpuE6ELNS1_3repE0EEENS1_59segmented_radix_sort_warp_sort_small_config_static_selectorELNS0_4arch9wavefront6targetE1EEEvSK_
; %bb.0:
	s_add_u32 s0, s0, s8
	s_load_dword s8, s[4:5], 0x64
	s_addc_u32 s1, s1, 0
	s_mov_b32 s32, 0
	s_waitcnt lgkmcnt(0)
	s_lshr_b32 s9, s8, 16
	s_and_b32 s8, s8, 0xffff
	v_mad_u32_u24 v3, v2, s9, v1
	v_mad_u64_u32 v[3:4], s[8:9], v3, s8, v[0:1]
	s_load_dword s8, s[4:5], 0x34
	v_lshrrev_b32_e32 v3, 3, v3
	v_lshl_add_u32 v3, s6, 5, v3
	s_waitcnt lgkmcnt(0)
	v_cmp_gt_u32_e32 vcc, s8, v3
	s_and_saveexec_b64 s[8:9], vcc
	s_cbranch_execz .LBB1246_3
; %bb.1:
	s_load_dwordx2 s[12:13], s[4:5], 0x38
	s_load_dwordx4 s[8:11], s[4:5], 0x40
	v_mov_b32_e32 v4, 0
	v_lshlrev_b64 v[3:4], 2, v[3:4]
	s_waitcnt lgkmcnt(0)
	v_mov_b32_e32 v5, s13
	v_sub_co_u32_e32 v3, vcc, s12, v3
	v_subb_co_u32_e32 v4, vcc, v5, v4, vcc
	global_load_dword v3, v[3:4], off offset:-4
	s_waitcnt vmcnt(0)
	v_add_u32_e32 v4, s9, v3
	v_add_u32_e32 v3, s11, v3
	v_mul_lo_u32 v13, v4, s8
	v_mul_lo_u32 v14, v3, s10
	v_cmp_gt_u32_e32 vcc, v14, v13
	s_and_b64 exec, exec, vcc
	s_cbranch_execz .LBB1246_3
; %bb.2:
	s_load_dword s8, s[4:5], 0x30
	s_load_dwordx4 s[24:27], s[4:5], 0x20
	s_load_dwordx8 s[16:23], s[4:5], 0x0
	s_mov_b64 s[10:11], src_shared_base
	v_lshlrev_b32_e32 v2, 20, v2
	s_waitcnt lgkmcnt(0)
	s_and_b32 s10, s8, 0xff
	s_add_u32 s8, s4, 0x58
	s_addc_u32 s9, s5, 0
	v_lshlrev_b32_e32 v1, 10, v1
	s_getpc_b64 s[4:5]
	s_add_u32 s4, s4, _ZN7rocprim17ROCPRIM_400000_NS6detail26segmented_warp_sort_helperINS1_20WarpSortHelperConfigILj8ELj4ELj256EEEdlLi256ELb0EvE4sortIPKdPdPKlPlEEvT_S9_T0_T1_SC_T2_bjjjjRNS5_12storage_typeE@rel32@lo+4
	s_addc_u32 s5, s5, _ZN7rocprim17ROCPRIM_400000_NS6detail26segmented_warp_sort_helperINS1_20WarpSortHelperConfigILj8ELj4ELj256EEEdlLi256ELb0EvE4sortIPKdPdPKlPlEEvT_S9_T0_T1_SC_T2_bjjjjRNS5_12storage_typeE@rel32@hi+12
	v_or3_b32 v31, v0, v1, v2
	s_mov_b32 s12, s6
	s_mov_b32 s13, s7
	v_mov_b32_e32 v0, s16
	v_mov_b32_e32 v1, s17
	;; [unrolled: 1-line block ×15, first 2 shown]
	s_swappc_b64 s[30:31], s[4:5]
.LBB1246_3:
	s_endpgm
	.section	.rodata,"a",@progbits
	.p2align	6, 0x0
	.amdhsa_kernel _ZN7rocprim17ROCPRIM_400000_NS6detail17trampoline_kernelINS0_14default_configENS1_36segmented_radix_sort_config_selectorIdlEEZNS1_25segmented_radix_sort_implIS3_Lb0EPKdPdPKlPlN2at6native12_GLOBAL__N_18offset_tEEE10hipError_tPvRmT1_PNSt15iterator_traitsISK_E10value_typeET2_T3_PNSL_ISQ_E10value_typeET4_jRbjT5_SW_jjP12ihipStream_tbEUlT_E1_NS1_11comp_targetILNS1_3genE2ELNS1_11target_archE906ELNS1_3gpuE6ELNS1_3repE0EEENS1_59segmented_radix_sort_warp_sort_small_config_static_selectorELNS0_4arch9wavefront6targetE1EEEvSK_
		.amdhsa_group_segment_fixed_size 16384
		.amdhsa_private_segment_fixed_size 0
		.amdhsa_kernarg_size 344
		.amdhsa_user_sgpr_count 6
		.amdhsa_user_sgpr_private_segment_buffer 1
		.amdhsa_user_sgpr_dispatch_ptr 0
		.amdhsa_user_sgpr_queue_ptr 0
		.amdhsa_user_sgpr_kernarg_segment_ptr 1
		.amdhsa_user_sgpr_dispatch_id 0
		.amdhsa_user_sgpr_flat_scratch_init 0
		.amdhsa_user_sgpr_private_segment_size 0
		.amdhsa_uses_dynamic_stack 0
		.amdhsa_system_sgpr_private_segment_wavefront_offset 0
		.amdhsa_system_sgpr_workgroup_id_x 1
		.amdhsa_system_sgpr_workgroup_id_y 1
		.amdhsa_system_sgpr_workgroup_id_z 0
		.amdhsa_system_sgpr_workgroup_info 0
		.amdhsa_system_vgpr_workitem_id 2
		.amdhsa_next_free_vgpr 68
		.amdhsa_next_free_sgpr 98
		.amdhsa_reserve_vcc 1
		.amdhsa_reserve_flat_scratch 0
		.amdhsa_float_round_mode_32 0
		.amdhsa_float_round_mode_16_64 0
		.amdhsa_float_denorm_mode_32 3
		.amdhsa_float_denorm_mode_16_64 3
		.amdhsa_dx10_clamp 1
		.amdhsa_ieee_mode 1
		.amdhsa_fp16_overflow 0
		.amdhsa_exception_fp_ieee_invalid_op 0
		.amdhsa_exception_fp_denorm_src 0
		.amdhsa_exception_fp_ieee_div_zero 0
		.amdhsa_exception_fp_ieee_overflow 0
		.amdhsa_exception_fp_ieee_underflow 0
		.amdhsa_exception_fp_ieee_inexact 0
		.amdhsa_exception_int_div_zero 0
	.end_amdhsa_kernel
	.section	.text._ZN7rocprim17ROCPRIM_400000_NS6detail17trampoline_kernelINS0_14default_configENS1_36segmented_radix_sort_config_selectorIdlEEZNS1_25segmented_radix_sort_implIS3_Lb0EPKdPdPKlPlN2at6native12_GLOBAL__N_18offset_tEEE10hipError_tPvRmT1_PNSt15iterator_traitsISK_E10value_typeET2_T3_PNSL_ISQ_E10value_typeET4_jRbjT5_SW_jjP12ihipStream_tbEUlT_E1_NS1_11comp_targetILNS1_3genE2ELNS1_11target_archE906ELNS1_3gpuE6ELNS1_3repE0EEENS1_59segmented_radix_sort_warp_sort_small_config_static_selectorELNS0_4arch9wavefront6targetE1EEEvSK_,"axG",@progbits,_ZN7rocprim17ROCPRIM_400000_NS6detail17trampoline_kernelINS0_14default_configENS1_36segmented_radix_sort_config_selectorIdlEEZNS1_25segmented_radix_sort_implIS3_Lb0EPKdPdPKlPlN2at6native12_GLOBAL__N_18offset_tEEE10hipError_tPvRmT1_PNSt15iterator_traitsISK_E10value_typeET2_T3_PNSL_ISQ_E10value_typeET4_jRbjT5_SW_jjP12ihipStream_tbEUlT_E1_NS1_11comp_targetILNS1_3genE2ELNS1_11target_archE906ELNS1_3gpuE6ELNS1_3repE0EEENS1_59segmented_radix_sort_warp_sort_small_config_static_selectorELNS0_4arch9wavefront6targetE1EEEvSK_,comdat
.Lfunc_end1246:
	.size	_ZN7rocprim17ROCPRIM_400000_NS6detail17trampoline_kernelINS0_14default_configENS1_36segmented_radix_sort_config_selectorIdlEEZNS1_25segmented_radix_sort_implIS3_Lb0EPKdPdPKlPlN2at6native12_GLOBAL__N_18offset_tEEE10hipError_tPvRmT1_PNSt15iterator_traitsISK_E10value_typeET2_T3_PNSL_ISQ_E10value_typeET4_jRbjT5_SW_jjP12ihipStream_tbEUlT_E1_NS1_11comp_targetILNS1_3genE2ELNS1_11target_archE906ELNS1_3gpuE6ELNS1_3repE0EEENS1_59segmented_radix_sort_warp_sort_small_config_static_selectorELNS0_4arch9wavefront6targetE1EEEvSK_, .Lfunc_end1246-_ZN7rocprim17ROCPRIM_400000_NS6detail17trampoline_kernelINS0_14default_configENS1_36segmented_radix_sort_config_selectorIdlEEZNS1_25segmented_radix_sort_implIS3_Lb0EPKdPdPKlPlN2at6native12_GLOBAL__N_18offset_tEEE10hipError_tPvRmT1_PNSt15iterator_traitsISK_E10value_typeET2_T3_PNSL_ISQ_E10value_typeET4_jRbjT5_SW_jjP12ihipStream_tbEUlT_E1_NS1_11comp_targetILNS1_3genE2ELNS1_11target_archE906ELNS1_3gpuE6ELNS1_3repE0EEENS1_59segmented_radix_sort_warp_sort_small_config_static_selectorELNS0_4arch9wavefront6targetE1EEEvSK_
                                        ; -- End function
	.set _ZN7rocprim17ROCPRIM_400000_NS6detail17trampoline_kernelINS0_14default_configENS1_36segmented_radix_sort_config_selectorIdlEEZNS1_25segmented_radix_sort_implIS3_Lb0EPKdPdPKlPlN2at6native12_GLOBAL__N_18offset_tEEE10hipError_tPvRmT1_PNSt15iterator_traitsISK_E10value_typeET2_T3_PNSL_ISQ_E10value_typeET4_jRbjT5_SW_jjP12ihipStream_tbEUlT_E1_NS1_11comp_targetILNS1_3genE2ELNS1_11target_archE906ELNS1_3gpuE6ELNS1_3repE0EEENS1_59segmented_radix_sort_warp_sort_small_config_static_selectorELNS0_4arch9wavefront6targetE1EEEvSK_.num_vgpr, max(32, .L_ZN7rocprim17ROCPRIM_400000_NS6detail26segmented_warp_sort_helperINS1_20WarpSortHelperConfigILj8ELj4ELj256EEEdlLi256ELb0EvE4sortIPKdPdPKlPlEEvT_S9_T0_T1_SC_T2_bjjjjRNS5_12storage_typeE.num_vgpr)
	.set _ZN7rocprim17ROCPRIM_400000_NS6detail17trampoline_kernelINS0_14default_configENS1_36segmented_radix_sort_config_selectorIdlEEZNS1_25segmented_radix_sort_implIS3_Lb0EPKdPdPKlPlN2at6native12_GLOBAL__N_18offset_tEEE10hipError_tPvRmT1_PNSt15iterator_traitsISK_E10value_typeET2_T3_PNSL_ISQ_E10value_typeET4_jRbjT5_SW_jjP12ihipStream_tbEUlT_E1_NS1_11comp_targetILNS1_3genE2ELNS1_11target_archE906ELNS1_3gpuE6ELNS1_3repE0EEENS1_59segmented_radix_sort_warp_sort_small_config_static_selectorELNS0_4arch9wavefront6targetE1EEEvSK_.num_agpr, max(0, .L_ZN7rocprim17ROCPRIM_400000_NS6detail26segmented_warp_sort_helperINS1_20WarpSortHelperConfigILj8ELj4ELj256EEEdlLi256ELb0EvE4sortIPKdPdPKlPlEEvT_S9_T0_T1_SC_T2_bjjjjRNS5_12storage_typeE.num_agpr)
	.set _ZN7rocprim17ROCPRIM_400000_NS6detail17trampoline_kernelINS0_14default_configENS1_36segmented_radix_sort_config_selectorIdlEEZNS1_25segmented_radix_sort_implIS3_Lb0EPKdPdPKlPlN2at6native12_GLOBAL__N_18offset_tEEE10hipError_tPvRmT1_PNSt15iterator_traitsISK_E10value_typeET2_T3_PNSL_ISQ_E10value_typeET4_jRbjT5_SW_jjP12ihipStream_tbEUlT_E1_NS1_11comp_targetILNS1_3genE2ELNS1_11target_archE906ELNS1_3gpuE6ELNS1_3repE0EEENS1_59segmented_radix_sort_warp_sort_small_config_static_selectorELNS0_4arch9wavefront6targetE1EEEvSK_.numbered_sgpr, max(33, .L_ZN7rocprim17ROCPRIM_400000_NS6detail26segmented_warp_sort_helperINS1_20WarpSortHelperConfigILj8ELj4ELj256EEEdlLi256ELb0EvE4sortIPKdPdPKlPlEEvT_S9_T0_T1_SC_T2_bjjjjRNS5_12storage_typeE.numbered_sgpr)
	.set _ZN7rocprim17ROCPRIM_400000_NS6detail17trampoline_kernelINS0_14default_configENS1_36segmented_radix_sort_config_selectorIdlEEZNS1_25segmented_radix_sort_implIS3_Lb0EPKdPdPKlPlN2at6native12_GLOBAL__N_18offset_tEEE10hipError_tPvRmT1_PNSt15iterator_traitsISK_E10value_typeET2_T3_PNSL_ISQ_E10value_typeET4_jRbjT5_SW_jjP12ihipStream_tbEUlT_E1_NS1_11comp_targetILNS1_3genE2ELNS1_11target_archE906ELNS1_3gpuE6ELNS1_3repE0EEENS1_59segmented_radix_sort_warp_sort_small_config_static_selectorELNS0_4arch9wavefront6targetE1EEEvSK_.num_named_barrier, max(0, .L_ZN7rocprim17ROCPRIM_400000_NS6detail26segmented_warp_sort_helperINS1_20WarpSortHelperConfigILj8ELj4ELj256EEEdlLi256ELb0EvE4sortIPKdPdPKlPlEEvT_S9_T0_T1_SC_T2_bjjjjRNS5_12storage_typeE.num_named_barrier)
	.set _ZN7rocprim17ROCPRIM_400000_NS6detail17trampoline_kernelINS0_14default_configENS1_36segmented_radix_sort_config_selectorIdlEEZNS1_25segmented_radix_sort_implIS3_Lb0EPKdPdPKlPlN2at6native12_GLOBAL__N_18offset_tEEE10hipError_tPvRmT1_PNSt15iterator_traitsISK_E10value_typeET2_T3_PNSL_ISQ_E10value_typeET4_jRbjT5_SW_jjP12ihipStream_tbEUlT_E1_NS1_11comp_targetILNS1_3genE2ELNS1_11target_archE906ELNS1_3gpuE6ELNS1_3repE0EEENS1_59segmented_radix_sort_warp_sort_small_config_static_selectorELNS0_4arch9wavefront6targetE1EEEvSK_.private_seg_size, 0+max(.L_ZN7rocprim17ROCPRIM_400000_NS6detail26segmented_warp_sort_helperINS1_20WarpSortHelperConfigILj8ELj4ELj256EEEdlLi256ELb0EvE4sortIPKdPdPKlPlEEvT_S9_T0_T1_SC_T2_bjjjjRNS5_12storage_typeE.private_seg_size)
	.set _ZN7rocprim17ROCPRIM_400000_NS6detail17trampoline_kernelINS0_14default_configENS1_36segmented_radix_sort_config_selectorIdlEEZNS1_25segmented_radix_sort_implIS3_Lb0EPKdPdPKlPlN2at6native12_GLOBAL__N_18offset_tEEE10hipError_tPvRmT1_PNSt15iterator_traitsISK_E10value_typeET2_T3_PNSL_ISQ_E10value_typeET4_jRbjT5_SW_jjP12ihipStream_tbEUlT_E1_NS1_11comp_targetILNS1_3genE2ELNS1_11target_archE906ELNS1_3gpuE6ELNS1_3repE0EEENS1_59segmented_radix_sort_warp_sort_small_config_static_selectorELNS0_4arch9wavefront6targetE1EEEvSK_.uses_vcc, or(1, .L_ZN7rocprim17ROCPRIM_400000_NS6detail26segmented_warp_sort_helperINS1_20WarpSortHelperConfigILj8ELj4ELj256EEEdlLi256ELb0EvE4sortIPKdPdPKlPlEEvT_S9_T0_T1_SC_T2_bjjjjRNS5_12storage_typeE.uses_vcc)
	.set _ZN7rocprim17ROCPRIM_400000_NS6detail17trampoline_kernelINS0_14default_configENS1_36segmented_radix_sort_config_selectorIdlEEZNS1_25segmented_radix_sort_implIS3_Lb0EPKdPdPKlPlN2at6native12_GLOBAL__N_18offset_tEEE10hipError_tPvRmT1_PNSt15iterator_traitsISK_E10value_typeET2_T3_PNSL_ISQ_E10value_typeET4_jRbjT5_SW_jjP12ihipStream_tbEUlT_E1_NS1_11comp_targetILNS1_3genE2ELNS1_11target_archE906ELNS1_3gpuE6ELNS1_3repE0EEENS1_59segmented_radix_sort_warp_sort_small_config_static_selectorELNS0_4arch9wavefront6targetE1EEEvSK_.uses_flat_scratch, or(0, .L_ZN7rocprim17ROCPRIM_400000_NS6detail26segmented_warp_sort_helperINS1_20WarpSortHelperConfigILj8ELj4ELj256EEEdlLi256ELb0EvE4sortIPKdPdPKlPlEEvT_S9_T0_T1_SC_T2_bjjjjRNS5_12storage_typeE.uses_flat_scratch)
	.set _ZN7rocprim17ROCPRIM_400000_NS6detail17trampoline_kernelINS0_14default_configENS1_36segmented_radix_sort_config_selectorIdlEEZNS1_25segmented_radix_sort_implIS3_Lb0EPKdPdPKlPlN2at6native12_GLOBAL__N_18offset_tEEE10hipError_tPvRmT1_PNSt15iterator_traitsISK_E10value_typeET2_T3_PNSL_ISQ_E10value_typeET4_jRbjT5_SW_jjP12ihipStream_tbEUlT_E1_NS1_11comp_targetILNS1_3genE2ELNS1_11target_archE906ELNS1_3gpuE6ELNS1_3repE0EEENS1_59segmented_radix_sort_warp_sort_small_config_static_selectorELNS0_4arch9wavefront6targetE1EEEvSK_.has_dyn_sized_stack, or(0, .L_ZN7rocprim17ROCPRIM_400000_NS6detail26segmented_warp_sort_helperINS1_20WarpSortHelperConfigILj8ELj4ELj256EEEdlLi256ELb0EvE4sortIPKdPdPKlPlEEvT_S9_T0_T1_SC_T2_bjjjjRNS5_12storage_typeE.has_dyn_sized_stack)
	.set _ZN7rocprim17ROCPRIM_400000_NS6detail17trampoline_kernelINS0_14default_configENS1_36segmented_radix_sort_config_selectorIdlEEZNS1_25segmented_radix_sort_implIS3_Lb0EPKdPdPKlPlN2at6native12_GLOBAL__N_18offset_tEEE10hipError_tPvRmT1_PNSt15iterator_traitsISK_E10value_typeET2_T3_PNSL_ISQ_E10value_typeET4_jRbjT5_SW_jjP12ihipStream_tbEUlT_E1_NS1_11comp_targetILNS1_3genE2ELNS1_11target_archE906ELNS1_3gpuE6ELNS1_3repE0EEENS1_59segmented_radix_sort_warp_sort_small_config_static_selectorELNS0_4arch9wavefront6targetE1EEEvSK_.has_recursion, or(0, .L_ZN7rocprim17ROCPRIM_400000_NS6detail26segmented_warp_sort_helperINS1_20WarpSortHelperConfigILj8ELj4ELj256EEEdlLi256ELb0EvE4sortIPKdPdPKlPlEEvT_S9_T0_T1_SC_T2_bjjjjRNS5_12storage_typeE.has_recursion)
	.set _ZN7rocprim17ROCPRIM_400000_NS6detail17trampoline_kernelINS0_14default_configENS1_36segmented_radix_sort_config_selectorIdlEEZNS1_25segmented_radix_sort_implIS3_Lb0EPKdPdPKlPlN2at6native12_GLOBAL__N_18offset_tEEE10hipError_tPvRmT1_PNSt15iterator_traitsISK_E10value_typeET2_T3_PNSL_ISQ_E10value_typeET4_jRbjT5_SW_jjP12ihipStream_tbEUlT_E1_NS1_11comp_targetILNS1_3genE2ELNS1_11target_archE906ELNS1_3gpuE6ELNS1_3repE0EEENS1_59segmented_radix_sort_warp_sort_small_config_static_selectorELNS0_4arch9wavefront6targetE1EEEvSK_.has_indirect_call, or(0, .L_ZN7rocprim17ROCPRIM_400000_NS6detail26segmented_warp_sort_helperINS1_20WarpSortHelperConfigILj8ELj4ELj256EEEdlLi256ELb0EvE4sortIPKdPdPKlPlEEvT_S9_T0_T1_SC_T2_bjjjjRNS5_12storage_typeE.has_indirect_call)
	.section	.AMDGPU.csdata,"",@progbits
; Kernel info:
; codeLenInByte = 344
; TotalNumSgprs: 46
; NumVgprs: 68
; ScratchSize: 0
; MemoryBound: 0
; FloatMode: 240
; IeeeMode: 1
; LDSByteSize: 16384 bytes/workgroup (compile time only)
; SGPRBlocks: 12
; VGPRBlocks: 16
; NumSGPRsForWavesPerEU: 102
; NumVGPRsForWavesPerEU: 68
; Occupancy: 3
; WaveLimiterHint : 0
; COMPUTE_PGM_RSRC2:SCRATCH_EN: 0
; COMPUTE_PGM_RSRC2:USER_SGPR: 6
; COMPUTE_PGM_RSRC2:TRAP_HANDLER: 0
; COMPUTE_PGM_RSRC2:TGID_X_EN: 1
; COMPUTE_PGM_RSRC2:TGID_Y_EN: 1
; COMPUTE_PGM_RSRC2:TGID_Z_EN: 0
; COMPUTE_PGM_RSRC2:TIDIG_COMP_CNT: 2
	.section	.text._ZN7rocprim17ROCPRIM_400000_NS6detail17trampoline_kernelINS0_14default_configENS1_36segmented_radix_sort_config_selectorIdlEEZNS1_25segmented_radix_sort_implIS3_Lb0EPKdPdPKlPlN2at6native12_GLOBAL__N_18offset_tEEE10hipError_tPvRmT1_PNSt15iterator_traitsISK_E10value_typeET2_T3_PNSL_ISQ_E10value_typeET4_jRbjT5_SW_jjP12ihipStream_tbEUlT_E1_NS1_11comp_targetILNS1_3genE10ELNS1_11target_archE1201ELNS1_3gpuE5ELNS1_3repE0EEENS1_59segmented_radix_sort_warp_sort_small_config_static_selectorELNS0_4arch9wavefront6targetE1EEEvSK_,"axG",@progbits,_ZN7rocprim17ROCPRIM_400000_NS6detail17trampoline_kernelINS0_14default_configENS1_36segmented_radix_sort_config_selectorIdlEEZNS1_25segmented_radix_sort_implIS3_Lb0EPKdPdPKlPlN2at6native12_GLOBAL__N_18offset_tEEE10hipError_tPvRmT1_PNSt15iterator_traitsISK_E10value_typeET2_T3_PNSL_ISQ_E10value_typeET4_jRbjT5_SW_jjP12ihipStream_tbEUlT_E1_NS1_11comp_targetILNS1_3genE10ELNS1_11target_archE1201ELNS1_3gpuE5ELNS1_3repE0EEENS1_59segmented_radix_sort_warp_sort_small_config_static_selectorELNS0_4arch9wavefront6targetE1EEEvSK_,comdat
	.globl	_ZN7rocprim17ROCPRIM_400000_NS6detail17trampoline_kernelINS0_14default_configENS1_36segmented_radix_sort_config_selectorIdlEEZNS1_25segmented_radix_sort_implIS3_Lb0EPKdPdPKlPlN2at6native12_GLOBAL__N_18offset_tEEE10hipError_tPvRmT1_PNSt15iterator_traitsISK_E10value_typeET2_T3_PNSL_ISQ_E10value_typeET4_jRbjT5_SW_jjP12ihipStream_tbEUlT_E1_NS1_11comp_targetILNS1_3genE10ELNS1_11target_archE1201ELNS1_3gpuE5ELNS1_3repE0EEENS1_59segmented_radix_sort_warp_sort_small_config_static_selectorELNS0_4arch9wavefront6targetE1EEEvSK_ ; -- Begin function _ZN7rocprim17ROCPRIM_400000_NS6detail17trampoline_kernelINS0_14default_configENS1_36segmented_radix_sort_config_selectorIdlEEZNS1_25segmented_radix_sort_implIS3_Lb0EPKdPdPKlPlN2at6native12_GLOBAL__N_18offset_tEEE10hipError_tPvRmT1_PNSt15iterator_traitsISK_E10value_typeET2_T3_PNSL_ISQ_E10value_typeET4_jRbjT5_SW_jjP12ihipStream_tbEUlT_E1_NS1_11comp_targetILNS1_3genE10ELNS1_11target_archE1201ELNS1_3gpuE5ELNS1_3repE0EEENS1_59segmented_radix_sort_warp_sort_small_config_static_selectorELNS0_4arch9wavefront6targetE1EEEvSK_
	.p2align	8
	.type	_ZN7rocprim17ROCPRIM_400000_NS6detail17trampoline_kernelINS0_14default_configENS1_36segmented_radix_sort_config_selectorIdlEEZNS1_25segmented_radix_sort_implIS3_Lb0EPKdPdPKlPlN2at6native12_GLOBAL__N_18offset_tEEE10hipError_tPvRmT1_PNSt15iterator_traitsISK_E10value_typeET2_T3_PNSL_ISQ_E10value_typeET4_jRbjT5_SW_jjP12ihipStream_tbEUlT_E1_NS1_11comp_targetILNS1_3genE10ELNS1_11target_archE1201ELNS1_3gpuE5ELNS1_3repE0EEENS1_59segmented_radix_sort_warp_sort_small_config_static_selectorELNS0_4arch9wavefront6targetE1EEEvSK_,@function
_ZN7rocprim17ROCPRIM_400000_NS6detail17trampoline_kernelINS0_14default_configENS1_36segmented_radix_sort_config_selectorIdlEEZNS1_25segmented_radix_sort_implIS3_Lb0EPKdPdPKlPlN2at6native12_GLOBAL__N_18offset_tEEE10hipError_tPvRmT1_PNSt15iterator_traitsISK_E10value_typeET2_T3_PNSL_ISQ_E10value_typeET4_jRbjT5_SW_jjP12ihipStream_tbEUlT_E1_NS1_11comp_targetILNS1_3genE10ELNS1_11target_archE1201ELNS1_3gpuE5ELNS1_3repE0EEENS1_59segmented_radix_sort_warp_sort_small_config_static_selectorELNS0_4arch9wavefront6targetE1EEEvSK_: ; @_ZN7rocprim17ROCPRIM_400000_NS6detail17trampoline_kernelINS0_14default_configENS1_36segmented_radix_sort_config_selectorIdlEEZNS1_25segmented_radix_sort_implIS3_Lb0EPKdPdPKlPlN2at6native12_GLOBAL__N_18offset_tEEE10hipError_tPvRmT1_PNSt15iterator_traitsISK_E10value_typeET2_T3_PNSL_ISQ_E10value_typeET4_jRbjT5_SW_jjP12ihipStream_tbEUlT_E1_NS1_11comp_targetILNS1_3genE10ELNS1_11target_archE1201ELNS1_3gpuE5ELNS1_3repE0EEENS1_59segmented_radix_sort_warp_sort_small_config_static_selectorELNS0_4arch9wavefront6targetE1EEEvSK_
; %bb.0:
	.section	.rodata,"a",@progbits
	.p2align	6, 0x0
	.amdhsa_kernel _ZN7rocprim17ROCPRIM_400000_NS6detail17trampoline_kernelINS0_14default_configENS1_36segmented_radix_sort_config_selectorIdlEEZNS1_25segmented_radix_sort_implIS3_Lb0EPKdPdPKlPlN2at6native12_GLOBAL__N_18offset_tEEE10hipError_tPvRmT1_PNSt15iterator_traitsISK_E10value_typeET2_T3_PNSL_ISQ_E10value_typeET4_jRbjT5_SW_jjP12ihipStream_tbEUlT_E1_NS1_11comp_targetILNS1_3genE10ELNS1_11target_archE1201ELNS1_3gpuE5ELNS1_3repE0EEENS1_59segmented_radix_sort_warp_sort_small_config_static_selectorELNS0_4arch9wavefront6targetE1EEEvSK_
		.amdhsa_group_segment_fixed_size 0
		.amdhsa_private_segment_fixed_size 0
		.amdhsa_kernarg_size 88
		.amdhsa_user_sgpr_count 6
		.amdhsa_user_sgpr_private_segment_buffer 1
		.amdhsa_user_sgpr_dispatch_ptr 0
		.amdhsa_user_sgpr_queue_ptr 0
		.amdhsa_user_sgpr_kernarg_segment_ptr 1
		.amdhsa_user_sgpr_dispatch_id 0
		.amdhsa_user_sgpr_flat_scratch_init 0
		.amdhsa_user_sgpr_private_segment_size 0
		.amdhsa_uses_dynamic_stack 0
		.amdhsa_system_sgpr_private_segment_wavefront_offset 0
		.amdhsa_system_sgpr_workgroup_id_x 1
		.amdhsa_system_sgpr_workgroup_id_y 0
		.amdhsa_system_sgpr_workgroup_id_z 0
		.amdhsa_system_sgpr_workgroup_info 0
		.amdhsa_system_vgpr_workitem_id 0
		.amdhsa_next_free_vgpr 1
		.amdhsa_next_free_sgpr 0
		.amdhsa_reserve_vcc 0
		.amdhsa_reserve_flat_scratch 0
		.amdhsa_float_round_mode_32 0
		.amdhsa_float_round_mode_16_64 0
		.amdhsa_float_denorm_mode_32 3
		.amdhsa_float_denorm_mode_16_64 3
		.amdhsa_dx10_clamp 1
		.amdhsa_ieee_mode 1
		.amdhsa_fp16_overflow 0
		.amdhsa_exception_fp_ieee_invalid_op 0
		.amdhsa_exception_fp_denorm_src 0
		.amdhsa_exception_fp_ieee_div_zero 0
		.amdhsa_exception_fp_ieee_overflow 0
		.amdhsa_exception_fp_ieee_underflow 0
		.amdhsa_exception_fp_ieee_inexact 0
		.amdhsa_exception_int_div_zero 0
	.end_amdhsa_kernel
	.section	.text._ZN7rocprim17ROCPRIM_400000_NS6detail17trampoline_kernelINS0_14default_configENS1_36segmented_radix_sort_config_selectorIdlEEZNS1_25segmented_radix_sort_implIS3_Lb0EPKdPdPKlPlN2at6native12_GLOBAL__N_18offset_tEEE10hipError_tPvRmT1_PNSt15iterator_traitsISK_E10value_typeET2_T3_PNSL_ISQ_E10value_typeET4_jRbjT5_SW_jjP12ihipStream_tbEUlT_E1_NS1_11comp_targetILNS1_3genE10ELNS1_11target_archE1201ELNS1_3gpuE5ELNS1_3repE0EEENS1_59segmented_radix_sort_warp_sort_small_config_static_selectorELNS0_4arch9wavefront6targetE1EEEvSK_,"axG",@progbits,_ZN7rocprim17ROCPRIM_400000_NS6detail17trampoline_kernelINS0_14default_configENS1_36segmented_radix_sort_config_selectorIdlEEZNS1_25segmented_radix_sort_implIS3_Lb0EPKdPdPKlPlN2at6native12_GLOBAL__N_18offset_tEEE10hipError_tPvRmT1_PNSt15iterator_traitsISK_E10value_typeET2_T3_PNSL_ISQ_E10value_typeET4_jRbjT5_SW_jjP12ihipStream_tbEUlT_E1_NS1_11comp_targetILNS1_3genE10ELNS1_11target_archE1201ELNS1_3gpuE5ELNS1_3repE0EEENS1_59segmented_radix_sort_warp_sort_small_config_static_selectorELNS0_4arch9wavefront6targetE1EEEvSK_,comdat
.Lfunc_end1247:
	.size	_ZN7rocprim17ROCPRIM_400000_NS6detail17trampoline_kernelINS0_14default_configENS1_36segmented_radix_sort_config_selectorIdlEEZNS1_25segmented_radix_sort_implIS3_Lb0EPKdPdPKlPlN2at6native12_GLOBAL__N_18offset_tEEE10hipError_tPvRmT1_PNSt15iterator_traitsISK_E10value_typeET2_T3_PNSL_ISQ_E10value_typeET4_jRbjT5_SW_jjP12ihipStream_tbEUlT_E1_NS1_11comp_targetILNS1_3genE10ELNS1_11target_archE1201ELNS1_3gpuE5ELNS1_3repE0EEENS1_59segmented_radix_sort_warp_sort_small_config_static_selectorELNS0_4arch9wavefront6targetE1EEEvSK_, .Lfunc_end1247-_ZN7rocprim17ROCPRIM_400000_NS6detail17trampoline_kernelINS0_14default_configENS1_36segmented_radix_sort_config_selectorIdlEEZNS1_25segmented_radix_sort_implIS3_Lb0EPKdPdPKlPlN2at6native12_GLOBAL__N_18offset_tEEE10hipError_tPvRmT1_PNSt15iterator_traitsISK_E10value_typeET2_T3_PNSL_ISQ_E10value_typeET4_jRbjT5_SW_jjP12ihipStream_tbEUlT_E1_NS1_11comp_targetILNS1_3genE10ELNS1_11target_archE1201ELNS1_3gpuE5ELNS1_3repE0EEENS1_59segmented_radix_sort_warp_sort_small_config_static_selectorELNS0_4arch9wavefront6targetE1EEEvSK_
                                        ; -- End function
	.set _ZN7rocprim17ROCPRIM_400000_NS6detail17trampoline_kernelINS0_14default_configENS1_36segmented_radix_sort_config_selectorIdlEEZNS1_25segmented_radix_sort_implIS3_Lb0EPKdPdPKlPlN2at6native12_GLOBAL__N_18offset_tEEE10hipError_tPvRmT1_PNSt15iterator_traitsISK_E10value_typeET2_T3_PNSL_ISQ_E10value_typeET4_jRbjT5_SW_jjP12ihipStream_tbEUlT_E1_NS1_11comp_targetILNS1_3genE10ELNS1_11target_archE1201ELNS1_3gpuE5ELNS1_3repE0EEENS1_59segmented_radix_sort_warp_sort_small_config_static_selectorELNS0_4arch9wavefront6targetE1EEEvSK_.num_vgpr, 0
	.set _ZN7rocprim17ROCPRIM_400000_NS6detail17trampoline_kernelINS0_14default_configENS1_36segmented_radix_sort_config_selectorIdlEEZNS1_25segmented_radix_sort_implIS3_Lb0EPKdPdPKlPlN2at6native12_GLOBAL__N_18offset_tEEE10hipError_tPvRmT1_PNSt15iterator_traitsISK_E10value_typeET2_T3_PNSL_ISQ_E10value_typeET4_jRbjT5_SW_jjP12ihipStream_tbEUlT_E1_NS1_11comp_targetILNS1_3genE10ELNS1_11target_archE1201ELNS1_3gpuE5ELNS1_3repE0EEENS1_59segmented_radix_sort_warp_sort_small_config_static_selectorELNS0_4arch9wavefront6targetE1EEEvSK_.num_agpr, 0
	.set _ZN7rocprim17ROCPRIM_400000_NS6detail17trampoline_kernelINS0_14default_configENS1_36segmented_radix_sort_config_selectorIdlEEZNS1_25segmented_radix_sort_implIS3_Lb0EPKdPdPKlPlN2at6native12_GLOBAL__N_18offset_tEEE10hipError_tPvRmT1_PNSt15iterator_traitsISK_E10value_typeET2_T3_PNSL_ISQ_E10value_typeET4_jRbjT5_SW_jjP12ihipStream_tbEUlT_E1_NS1_11comp_targetILNS1_3genE10ELNS1_11target_archE1201ELNS1_3gpuE5ELNS1_3repE0EEENS1_59segmented_radix_sort_warp_sort_small_config_static_selectorELNS0_4arch9wavefront6targetE1EEEvSK_.numbered_sgpr, 0
	.set _ZN7rocprim17ROCPRIM_400000_NS6detail17trampoline_kernelINS0_14default_configENS1_36segmented_radix_sort_config_selectorIdlEEZNS1_25segmented_radix_sort_implIS3_Lb0EPKdPdPKlPlN2at6native12_GLOBAL__N_18offset_tEEE10hipError_tPvRmT1_PNSt15iterator_traitsISK_E10value_typeET2_T3_PNSL_ISQ_E10value_typeET4_jRbjT5_SW_jjP12ihipStream_tbEUlT_E1_NS1_11comp_targetILNS1_3genE10ELNS1_11target_archE1201ELNS1_3gpuE5ELNS1_3repE0EEENS1_59segmented_radix_sort_warp_sort_small_config_static_selectorELNS0_4arch9wavefront6targetE1EEEvSK_.num_named_barrier, 0
	.set _ZN7rocprim17ROCPRIM_400000_NS6detail17trampoline_kernelINS0_14default_configENS1_36segmented_radix_sort_config_selectorIdlEEZNS1_25segmented_radix_sort_implIS3_Lb0EPKdPdPKlPlN2at6native12_GLOBAL__N_18offset_tEEE10hipError_tPvRmT1_PNSt15iterator_traitsISK_E10value_typeET2_T3_PNSL_ISQ_E10value_typeET4_jRbjT5_SW_jjP12ihipStream_tbEUlT_E1_NS1_11comp_targetILNS1_3genE10ELNS1_11target_archE1201ELNS1_3gpuE5ELNS1_3repE0EEENS1_59segmented_radix_sort_warp_sort_small_config_static_selectorELNS0_4arch9wavefront6targetE1EEEvSK_.private_seg_size, 0
	.set _ZN7rocprim17ROCPRIM_400000_NS6detail17trampoline_kernelINS0_14default_configENS1_36segmented_radix_sort_config_selectorIdlEEZNS1_25segmented_radix_sort_implIS3_Lb0EPKdPdPKlPlN2at6native12_GLOBAL__N_18offset_tEEE10hipError_tPvRmT1_PNSt15iterator_traitsISK_E10value_typeET2_T3_PNSL_ISQ_E10value_typeET4_jRbjT5_SW_jjP12ihipStream_tbEUlT_E1_NS1_11comp_targetILNS1_3genE10ELNS1_11target_archE1201ELNS1_3gpuE5ELNS1_3repE0EEENS1_59segmented_radix_sort_warp_sort_small_config_static_selectorELNS0_4arch9wavefront6targetE1EEEvSK_.uses_vcc, 0
	.set _ZN7rocprim17ROCPRIM_400000_NS6detail17trampoline_kernelINS0_14default_configENS1_36segmented_radix_sort_config_selectorIdlEEZNS1_25segmented_radix_sort_implIS3_Lb0EPKdPdPKlPlN2at6native12_GLOBAL__N_18offset_tEEE10hipError_tPvRmT1_PNSt15iterator_traitsISK_E10value_typeET2_T3_PNSL_ISQ_E10value_typeET4_jRbjT5_SW_jjP12ihipStream_tbEUlT_E1_NS1_11comp_targetILNS1_3genE10ELNS1_11target_archE1201ELNS1_3gpuE5ELNS1_3repE0EEENS1_59segmented_radix_sort_warp_sort_small_config_static_selectorELNS0_4arch9wavefront6targetE1EEEvSK_.uses_flat_scratch, 0
	.set _ZN7rocprim17ROCPRIM_400000_NS6detail17trampoline_kernelINS0_14default_configENS1_36segmented_radix_sort_config_selectorIdlEEZNS1_25segmented_radix_sort_implIS3_Lb0EPKdPdPKlPlN2at6native12_GLOBAL__N_18offset_tEEE10hipError_tPvRmT1_PNSt15iterator_traitsISK_E10value_typeET2_T3_PNSL_ISQ_E10value_typeET4_jRbjT5_SW_jjP12ihipStream_tbEUlT_E1_NS1_11comp_targetILNS1_3genE10ELNS1_11target_archE1201ELNS1_3gpuE5ELNS1_3repE0EEENS1_59segmented_radix_sort_warp_sort_small_config_static_selectorELNS0_4arch9wavefront6targetE1EEEvSK_.has_dyn_sized_stack, 0
	.set _ZN7rocprim17ROCPRIM_400000_NS6detail17trampoline_kernelINS0_14default_configENS1_36segmented_radix_sort_config_selectorIdlEEZNS1_25segmented_radix_sort_implIS3_Lb0EPKdPdPKlPlN2at6native12_GLOBAL__N_18offset_tEEE10hipError_tPvRmT1_PNSt15iterator_traitsISK_E10value_typeET2_T3_PNSL_ISQ_E10value_typeET4_jRbjT5_SW_jjP12ihipStream_tbEUlT_E1_NS1_11comp_targetILNS1_3genE10ELNS1_11target_archE1201ELNS1_3gpuE5ELNS1_3repE0EEENS1_59segmented_radix_sort_warp_sort_small_config_static_selectorELNS0_4arch9wavefront6targetE1EEEvSK_.has_recursion, 0
	.set _ZN7rocprim17ROCPRIM_400000_NS6detail17trampoline_kernelINS0_14default_configENS1_36segmented_radix_sort_config_selectorIdlEEZNS1_25segmented_radix_sort_implIS3_Lb0EPKdPdPKlPlN2at6native12_GLOBAL__N_18offset_tEEE10hipError_tPvRmT1_PNSt15iterator_traitsISK_E10value_typeET2_T3_PNSL_ISQ_E10value_typeET4_jRbjT5_SW_jjP12ihipStream_tbEUlT_E1_NS1_11comp_targetILNS1_3genE10ELNS1_11target_archE1201ELNS1_3gpuE5ELNS1_3repE0EEENS1_59segmented_radix_sort_warp_sort_small_config_static_selectorELNS0_4arch9wavefront6targetE1EEEvSK_.has_indirect_call, 0
	.section	.AMDGPU.csdata,"",@progbits
; Kernel info:
; codeLenInByte = 0
; TotalNumSgprs: 4
; NumVgprs: 0
; ScratchSize: 0
; MemoryBound: 0
; FloatMode: 240
; IeeeMode: 1
; LDSByteSize: 0 bytes/workgroup (compile time only)
; SGPRBlocks: 0
; VGPRBlocks: 0
; NumSGPRsForWavesPerEU: 4
; NumVGPRsForWavesPerEU: 1
; Occupancy: 10
; WaveLimiterHint : 0
; COMPUTE_PGM_RSRC2:SCRATCH_EN: 0
; COMPUTE_PGM_RSRC2:USER_SGPR: 6
; COMPUTE_PGM_RSRC2:TRAP_HANDLER: 0
; COMPUTE_PGM_RSRC2:TGID_X_EN: 1
; COMPUTE_PGM_RSRC2:TGID_Y_EN: 0
; COMPUTE_PGM_RSRC2:TGID_Z_EN: 0
; COMPUTE_PGM_RSRC2:TIDIG_COMP_CNT: 0
	.section	.text._ZN7rocprim17ROCPRIM_400000_NS6detail17trampoline_kernelINS0_14default_configENS1_36segmented_radix_sort_config_selectorIdlEEZNS1_25segmented_radix_sort_implIS3_Lb0EPKdPdPKlPlN2at6native12_GLOBAL__N_18offset_tEEE10hipError_tPvRmT1_PNSt15iterator_traitsISK_E10value_typeET2_T3_PNSL_ISQ_E10value_typeET4_jRbjT5_SW_jjP12ihipStream_tbEUlT_E1_NS1_11comp_targetILNS1_3genE10ELNS1_11target_archE1200ELNS1_3gpuE4ELNS1_3repE0EEENS1_59segmented_radix_sort_warp_sort_small_config_static_selectorELNS0_4arch9wavefront6targetE1EEEvSK_,"axG",@progbits,_ZN7rocprim17ROCPRIM_400000_NS6detail17trampoline_kernelINS0_14default_configENS1_36segmented_radix_sort_config_selectorIdlEEZNS1_25segmented_radix_sort_implIS3_Lb0EPKdPdPKlPlN2at6native12_GLOBAL__N_18offset_tEEE10hipError_tPvRmT1_PNSt15iterator_traitsISK_E10value_typeET2_T3_PNSL_ISQ_E10value_typeET4_jRbjT5_SW_jjP12ihipStream_tbEUlT_E1_NS1_11comp_targetILNS1_3genE10ELNS1_11target_archE1200ELNS1_3gpuE4ELNS1_3repE0EEENS1_59segmented_radix_sort_warp_sort_small_config_static_selectorELNS0_4arch9wavefront6targetE1EEEvSK_,comdat
	.globl	_ZN7rocprim17ROCPRIM_400000_NS6detail17trampoline_kernelINS0_14default_configENS1_36segmented_radix_sort_config_selectorIdlEEZNS1_25segmented_radix_sort_implIS3_Lb0EPKdPdPKlPlN2at6native12_GLOBAL__N_18offset_tEEE10hipError_tPvRmT1_PNSt15iterator_traitsISK_E10value_typeET2_T3_PNSL_ISQ_E10value_typeET4_jRbjT5_SW_jjP12ihipStream_tbEUlT_E1_NS1_11comp_targetILNS1_3genE10ELNS1_11target_archE1200ELNS1_3gpuE4ELNS1_3repE0EEENS1_59segmented_radix_sort_warp_sort_small_config_static_selectorELNS0_4arch9wavefront6targetE1EEEvSK_ ; -- Begin function _ZN7rocprim17ROCPRIM_400000_NS6detail17trampoline_kernelINS0_14default_configENS1_36segmented_radix_sort_config_selectorIdlEEZNS1_25segmented_radix_sort_implIS3_Lb0EPKdPdPKlPlN2at6native12_GLOBAL__N_18offset_tEEE10hipError_tPvRmT1_PNSt15iterator_traitsISK_E10value_typeET2_T3_PNSL_ISQ_E10value_typeET4_jRbjT5_SW_jjP12ihipStream_tbEUlT_E1_NS1_11comp_targetILNS1_3genE10ELNS1_11target_archE1200ELNS1_3gpuE4ELNS1_3repE0EEENS1_59segmented_radix_sort_warp_sort_small_config_static_selectorELNS0_4arch9wavefront6targetE1EEEvSK_
	.p2align	8
	.type	_ZN7rocprim17ROCPRIM_400000_NS6detail17trampoline_kernelINS0_14default_configENS1_36segmented_radix_sort_config_selectorIdlEEZNS1_25segmented_radix_sort_implIS3_Lb0EPKdPdPKlPlN2at6native12_GLOBAL__N_18offset_tEEE10hipError_tPvRmT1_PNSt15iterator_traitsISK_E10value_typeET2_T3_PNSL_ISQ_E10value_typeET4_jRbjT5_SW_jjP12ihipStream_tbEUlT_E1_NS1_11comp_targetILNS1_3genE10ELNS1_11target_archE1200ELNS1_3gpuE4ELNS1_3repE0EEENS1_59segmented_radix_sort_warp_sort_small_config_static_selectorELNS0_4arch9wavefront6targetE1EEEvSK_,@function
_ZN7rocprim17ROCPRIM_400000_NS6detail17trampoline_kernelINS0_14default_configENS1_36segmented_radix_sort_config_selectorIdlEEZNS1_25segmented_radix_sort_implIS3_Lb0EPKdPdPKlPlN2at6native12_GLOBAL__N_18offset_tEEE10hipError_tPvRmT1_PNSt15iterator_traitsISK_E10value_typeET2_T3_PNSL_ISQ_E10value_typeET4_jRbjT5_SW_jjP12ihipStream_tbEUlT_E1_NS1_11comp_targetILNS1_3genE10ELNS1_11target_archE1200ELNS1_3gpuE4ELNS1_3repE0EEENS1_59segmented_radix_sort_warp_sort_small_config_static_selectorELNS0_4arch9wavefront6targetE1EEEvSK_: ; @_ZN7rocprim17ROCPRIM_400000_NS6detail17trampoline_kernelINS0_14default_configENS1_36segmented_radix_sort_config_selectorIdlEEZNS1_25segmented_radix_sort_implIS3_Lb0EPKdPdPKlPlN2at6native12_GLOBAL__N_18offset_tEEE10hipError_tPvRmT1_PNSt15iterator_traitsISK_E10value_typeET2_T3_PNSL_ISQ_E10value_typeET4_jRbjT5_SW_jjP12ihipStream_tbEUlT_E1_NS1_11comp_targetILNS1_3genE10ELNS1_11target_archE1200ELNS1_3gpuE4ELNS1_3repE0EEENS1_59segmented_radix_sort_warp_sort_small_config_static_selectorELNS0_4arch9wavefront6targetE1EEEvSK_
; %bb.0:
	.section	.rodata,"a",@progbits
	.p2align	6, 0x0
	.amdhsa_kernel _ZN7rocprim17ROCPRIM_400000_NS6detail17trampoline_kernelINS0_14default_configENS1_36segmented_radix_sort_config_selectorIdlEEZNS1_25segmented_radix_sort_implIS3_Lb0EPKdPdPKlPlN2at6native12_GLOBAL__N_18offset_tEEE10hipError_tPvRmT1_PNSt15iterator_traitsISK_E10value_typeET2_T3_PNSL_ISQ_E10value_typeET4_jRbjT5_SW_jjP12ihipStream_tbEUlT_E1_NS1_11comp_targetILNS1_3genE10ELNS1_11target_archE1200ELNS1_3gpuE4ELNS1_3repE0EEENS1_59segmented_radix_sort_warp_sort_small_config_static_selectorELNS0_4arch9wavefront6targetE1EEEvSK_
		.amdhsa_group_segment_fixed_size 0
		.amdhsa_private_segment_fixed_size 0
		.amdhsa_kernarg_size 88
		.amdhsa_user_sgpr_count 6
		.amdhsa_user_sgpr_private_segment_buffer 1
		.amdhsa_user_sgpr_dispatch_ptr 0
		.amdhsa_user_sgpr_queue_ptr 0
		.amdhsa_user_sgpr_kernarg_segment_ptr 1
		.amdhsa_user_sgpr_dispatch_id 0
		.amdhsa_user_sgpr_flat_scratch_init 0
		.amdhsa_user_sgpr_private_segment_size 0
		.amdhsa_uses_dynamic_stack 0
		.amdhsa_system_sgpr_private_segment_wavefront_offset 0
		.amdhsa_system_sgpr_workgroup_id_x 1
		.amdhsa_system_sgpr_workgroup_id_y 0
		.amdhsa_system_sgpr_workgroup_id_z 0
		.amdhsa_system_sgpr_workgroup_info 0
		.amdhsa_system_vgpr_workitem_id 0
		.amdhsa_next_free_vgpr 1
		.amdhsa_next_free_sgpr 0
		.amdhsa_reserve_vcc 0
		.amdhsa_reserve_flat_scratch 0
		.amdhsa_float_round_mode_32 0
		.amdhsa_float_round_mode_16_64 0
		.amdhsa_float_denorm_mode_32 3
		.amdhsa_float_denorm_mode_16_64 3
		.amdhsa_dx10_clamp 1
		.amdhsa_ieee_mode 1
		.amdhsa_fp16_overflow 0
		.amdhsa_exception_fp_ieee_invalid_op 0
		.amdhsa_exception_fp_denorm_src 0
		.amdhsa_exception_fp_ieee_div_zero 0
		.amdhsa_exception_fp_ieee_overflow 0
		.amdhsa_exception_fp_ieee_underflow 0
		.amdhsa_exception_fp_ieee_inexact 0
		.amdhsa_exception_int_div_zero 0
	.end_amdhsa_kernel
	.section	.text._ZN7rocprim17ROCPRIM_400000_NS6detail17trampoline_kernelINS0_14default_configENS1_36segmented_radix_sort_config_selectorIdlEEZNS1_25segmented_radix_sort_implIS3_Lb0EPKdPdPKlPlN2at6native12_GLOBAL__N_18offset_tEEE10hipError_tPvRmT1_PNSt15iterator_traitsISK_E10value_typeET2_T3_PNSL_ISQ_E10value_typeET4_jRbjT5_SW_jjP12ihipStream_tbEUlT_E1_NS1_11comp_targetILNS1_3genE10ELNS1_11target_archE1200ELNS1_3gpuE4ELNS1_3repE0EEENS1_59segmented_radix_sort_warp_sort_small_config_static_selectorELNS0_4arch9wavefront6targetE1EEEvSK_,"axG",@progbits,_ZN7rocprim17ROCPRIM_400000_NS6detail17trampoline_kernelINS0_14default_configENS1_36segmented_radix_sort_config_selectorIdlEEZNS1_25segmented_radix_sort_implIS3_Lb0EPKdPdPKlPlN2at6native12_GLOBAL__N_18offset_tEEE10hipError_tPvRmT1_PNSt15iterator_traitsISK_E10value_typeET2_T3_PNSL_ISQ_E10value_typeET4_jRbjT5_SW_jjP12ihipStream_tbEUlT_E1_NS1_11comp_targetILNS1_3genE10ELNS1_11target_archE1200ELNS1_3gpuE4ELNS1_3repE0EEENS1_59segmented_radix_sort_warp_sort_small_config_static_selectorELNS0_4arch9wavefront6targetE1EEEvSK_,comdat
.Lfunc_end1248:
	.size	_ZN7rocprim17ROCPRIM_400000_NS6detail17trampoline_kernelINS0_14default_configENS1_36segmented_radix_sort_config_selectorIdlEEZNS1_25segmented_radix_sort_implIS3_Lb0EPKdPdPKlPlN2at6native12_GLOBAL__N_18offset_tEEE10hipError_tPvRmT1_PNSt15iterator_traitsISK_E10value_typeET2_T3_PNSL_ISQ_E10value_typeET4_jRbjT5_SW_jjP12ihipStream_tbEUlT_E1_NS1_11comp_targetILNS1_3genE10ELNS1_11target_archE1200ELNS1_3gpuE4ELNS1_3repE0EEENS1_59segmented_radix_sort_warp_sort_small_config_static_selectorELNS0_4arch9wavefront6targetE1EEEvSK_, .Lfunc_end1248-_ZN7rocprim17ROCPRIM_400000_NS6detail17trampoline_kernelINS0_14default_configENS1_36segmented_radix_sort_config_selectorIdlEEZNS1_25segmented_radix_sort_implIS3_Lb0EPKdPdPKlPlN2at6native12_GLOBAL__N_18offset_tEEE10hipError_tPvRmT1_PNSt15iterator_traitsISK_E10value_typeET2_T3_PNSL_ISQ_E10value_typeET4_jRbjT5_SW_jjP12ihipStream_tbEUlT_E1_NS1_11comp_targetILNS1_3genE10ELNS1_11target_archE1200ELNS1_3gpuE4ELNS1_3repE0EEENS1_59segmented_radix_sort_warp_sort_small_config_static_selectorELNS0_4arch9wavefront6targetE1EEEvSK_
                                        ; -- End function
	.set _ZN7rocprim17ROCPRIM_400000_NS6detail17trampoline_kernelINS0_14default_configENS1_36segmented_radix_sort_config_selectorIdlEEZNS1_25segmented_radix_sort_implIS3_Lb0EPKdPdPKlPlN2at6native12_GLOBAL__N_18offset_tEEE10hipError_tPvRmT1_PNSt15iterator_traitsISK_E10value_typeET2_T3_PNSL_ISQ_E10value_typeET4_jRbjT5_SW_jjP12ihipStream_tbEUlT_E1_NS1_11comp_targetILNS1_3genE10ELNS1_11target_archE1200ELNS1_3gpuE4ELNS1_3repE0EEENS1_59segmented_radix_sort_warp_sort_small_config_static_selectorELNS0_4arch9wavefront6targetE1EEEvSK_.num_vgpr, 0
	.set _ZN7rocprim17ROCPRIM_400000_NS6detail17trampoline_kernelINS0_14default_configENS1_36segmented_radix_sort_config_selectorIdlEEZNS1_25segmented_radix_sort_implIS3_Lb0EPKdPdPKlPlN2at6native12_GLOBAL__N_18offset_tEEE10hipError_tPvRmT1_PNSt15iterator_traitsISK_E10value_typeET2_T3_PNSL_ISQ_E10value_typeET4_jRbjT5_SW_jjP12ihipStream_tbEUlT_E1_NS1_11comp_targetILNS1_3genE10ELNS1_11target_archE1200ELNS1_3gpuE4ELNS1_3repE0EEENS1_59segmented_radix_sort_warp_sort_small_config_static_selectorELNS0_4arch9wavefront6targetE1EEEvSK_.num_agpr, 0
	.set _ZN7rocprim17ROCPRIM_400000_NS6detail17trampoline_kernelINS0_14default_configENS1_36segmented_radix_sort_config_selectorIdlEEZNS1_25segmented_radix_sort_implIS3_Lb0EPKdPdPKlPlN2at6native12_GLOBAL__N_18offset_tEEE10hipError_tPvRmT1_PNSt15iterator_traitsISK_E10value_typeET2_T3_PNSL_ISQ_E10value_typeET4_jRbjT5_SW_jjP12ihipStream_tbEUlT_E1_NS1_11comp_targetILNS1_3genE10ELNS1_11target_archE1200ELNS1_3gpuE4ELNS1_3repE0EEENS1_59segmented_radix_sort_warp_sort_small_config_static_selectorELNS0_4arch9wavefront6targetE1EEEvSK_.numbered_sgpr, 0
	.set _ZN7rocprim17ROCPRIM_400000_NS6detail17trampoline_kernelINS0_14default_configENS1_36segmented_radix_sort_config_selectorIdlEEZNS1_25segmented_radix_sort_implIS3_Lb0EPKdPdPKlPlN2at6native12_GLOBAL__N_18offset_tEEE10hipError_tPvRmT1_PNSt15iterator_traitsISK_E10value_typeET2_T3_PNSL_ISQ_E10value_typeET4_jRbjT5_SW_jjP12ihipStream_tbEUlT_E1_NS1_11comp_targetILNS1_3genE10ELNS1_11target_archE1200ELNS1_3gpuE4ELNS1_3repE0EEENS1_59segmented_radix_sort_warp_sort_small_config_static_selectorELNS0_4arch9wavefront6targetE1EEEvSK_.num_named_barrier, 0
	.set _ZN7rocprim17ROCPRIM_400000_NS6detail17trampoline_kernelINS0_14default_configENS1_36segmented_radix_sort_config_selectorIdlEEZNS1_25segmented_radix_sort_implIS3_Lb0EPKdPdPKlPlN2at6native12_GLOBAL__N_18offset_tEEE10hipError_tPvRmT1_PNSt15iterator_traitsISK_E10value_typeET2_T3_PNSL_ISQ_E10value_typeET4_jRbjT5_SW_jjP12ihipStream_tbEUlT_E1_NS1_11comp_targetILNS1_3genE10ELNS1_11target_archE1200ELNS1_3gpuE4ELNS1_3repE0EEENS1_59segmented_radix_sort_warp_sort_small_config_static_selectorELNS0_4arch9wavefront6targetE1EEEvSK_.private_seg_size, 0
	.set _ZN7rocprim17ROCPRIM_400000_NS6detail17trampoline_kernelINS0_14default_configENS1_36segmented_radix_sort_config_selectorIdlEEZNS1_25segmented_radix_sort_implIS3_Lb0EPKdPdPKlPlN2at6native12_GLOBAL__N_18offset_tEEE10hipError_tPvRmT1_PNSt15iterator_traitsISK_E10value_typeET2_T3_PNSL_ISQ_E10value_typeET4_jRbjT5_SW_jjP12ihipStream_tbEUlT_E1_NS1_11comp_targetILNS1_3genE10ELNS1_11target_archE1200ELNS1_3gpuE4ELNS1_3repE0EEENS1_59segmented_radix_sort_warp_sort_small_config_static_selectorELNS0_4arch9wavefront6targetE1EEEvSK_.uses_vcc, 0
	.set _ZN7rocprim17ROCPRIM_400000_NS6detail17trampoline_kernelINS0_14default_configENS1_36segmented_radix_sort_config_selectorIdlEEZNS1_25segmented_radix_sort_implIS3_Lb0EPKdPdPKlPlN2at6native12_GLOBAL__N_18offset_tEEE10hipError_tPvRmT1_PNSt15iterator_traitsISK_E10value_typeET2_T3_PNSL_ISQ_E10value_typeET4_jRbjT5_SW_jjP12ihipStream_tbEUlT_E1_NS1_11comp_targetILNS1_3genE10ELNS1_11target_archE1200ELNS1_3gpuE4ELNS1_3repE0EEENS1_59segmented_radix_sort_warp_sort_small_config_static_selectorELNS0_4arch9wavefront6targetE1EEEvSK_.uses_flat_scratch, 0
	.set _ZN7rocprim17ROCPRIM_400000_NS6detail17trampoline_kernelINS0_14default_configENS1_36segmented_radix_sort_config_selectorIdlEEZNS1_25segmented_radix_sort_implIS3_Lb0EPKdPdPKlPlN2at6native12_GLOBAL__N_18offset_tEEE10hipError_tPvRmT1_PNSt15iterator_traitsISK_E10value_typeET2_T3_PNSL_ISQ_E10value_typeET4_jRbjT5_SW_jjP12ihipStream_tbEUlT_E1_NS1_11comp_targetILNS1_3genE10ELNS1_11target_archE1200ELNS1_3gpuE4ELNS1_3repE0EEENS1_59segmented_radix_sort_warp_sort_small_config_static_selectorELNS0_4arch9wavefront6targetE1EEEvSK_.has_dyn_sized_stack, 0
	.set _ZN7rocprim17ROCPRIM_400000_NS6detail17trampoline_kernelINS0_14default_configENS1_36segmented_radix_sort_config_selectorIdlEEZNS1_25segmented_radix_sort_implIS3_Lb0EPKdPdPKlPlN2at6native12_GLOBAL__N_18offset_tEEE10hipError_tPvRmT1_PNSt15iterator_traitsISK_E10value_typeET2_T3_PNSL_ISQ_E10value_typeET4_jRbjT5_SW_jjP12ihipStream_tbEUlT_E1_NS1_11comp_targetILNS1_3genE10ELNS1_11target_archE1200ELNS1_3gpuE4ELNS1_3repE0EEENS1_59segmented_radix_sort_warp_sort_small_config_static_selectorELNS0_4arch9wavefront6targetE1EEEvSK_.has_recursion, 0
	.set _ZN7rocprim17ROCPRIM_400000_NS6detail17trampoline_kernelINS0_14default_configENS1_36segmented_radix_sort_config_selectorIdlEEZNS1_25segmented_radix_sort_implIS3_Lb0EPKdPdPKlPlN2at6native12_GLOBAL__N_18offset_tEEE10hipError_tPvRmT1_PNSt15iterator_traitsISK_E10value_typeET2_T3_PNSL_ISQ_E10value_typeET4_jRbjT5_SW_jjP12ihipStream_tbEUlT_E1_NS1_11comp_targetILNS1_3genE10ELNS1_11target_archE1200ELNS1_3gpuE4ELNS1_3repE0EEENS1_59segmented_radix_sort_warp_sort_small_config_static_selectorELNS0_4arch9wavefront6targetE1EEEvSK_.has_indirect_call, 0
	.section	.AMDGPU.csdata,"",@progbits
; Kernel info:
; codeLenInByte = 0
; TotalNumSgprs: 4
; NumVgprs: 0
; ScratchSize: 0
; MemoryBound: 0
; FloatMode: 240
; IeeeMode: 1
; LDSByteSize: 0 bytes/workgroup (compile time only)
; SGPRBlocks: 0
; VGPRBlocks: 0
; NumSGPRsForWavesPerEU: 4
; NumVGPRsForWavesPerEU: 1
; Occupancy: 10
; WaveLimiterHint : 0
; COMPUTE_PGM_RSRC2:SCRATCH_EN: 0
; COMPUTE_PGM_RSRC2:USER_SGPR: 6
; COMPUTE_PGM_RSRC2:TRAP_HANDLER: 0
; COMPUTE_PGM_RSRC2:TGID_X_EN: 1
; COMPUTE_PGM_RSRC2:TGID_Y_EN: 0
; COMPUTE_PGM_RSRC2:TGID_Z_EN: 0
; COMPUTE_PGM_RSRC2:TIDIG_COMP_CNT: 0
	.section	.text._ZN7rocprim17ROCPRIM_400000_NS6detail17trampoline_kernelINS0_14default_configENS1_36segmented_radix_sort_config_selectorIdlEEZNS1_25segmented_radix_sort_implIS3_Lb0EPKdPdPKlPlN2at6native12_GLOBAL__N_18offset_tEEE10hipError_tPvRmT1_PNSt15iterator_traitsISK_E10value_typeET2_T3_PNSL_ISQ_E10value_typeET4_jRbjT5_SW_jjP12ihipStream_tbEUlT_E1_NS1_11comp_targetILNS1_3genE9ELNS1_11target_archE1100ELNS1_3gpuE3ELNS1_3repE0EEENS1_59segmented_radix_sort_warp_sort_small_config_static_selectorELNS0_4arch9wavefront6targetE1EEEvSK_,"axG",@progbits,_ZN7rocprim17ROCPRIM_400000_NS6detail17trampoline_kernelINS0_14default_configENS1_36segmented_radix_sort_config_selectorIdlEEZNS1_25segmented_radix_sort_implIS3_Lb0EPKdPdPKlPlN2at6native12_GLOBAL__N_18offset_tEEE10hipError_tPvRmT1_PNSt15iterator_traitsISK_E10value_typeET2_T3_PNSL_ISQ_E10value_typeET4_jRbjT5_SW_jjP12ihipStream_tbEUlT_E1_NS1_11comp_targetILNS1_3genE9ELNS1_11target_archE1100ELNS1_3gpuE3ELNS1_3repE0EEENS1_59segmented_radix_sort_warp_sort_small_config_static_selectorELNS0_4arch9wavefront6targetE1EEEvSK_,comdat
	.globl	_ZN7rocprim17ROCPRIM_400000_NS6detail17trampoline_kernelINS0_14default_configENS1_36segmented_radix_sort_config_selectorIdlEEZNS1_25segmented_radix_sort_implIS3_Lb0EPKdPdPKlPlN2at6native12_GLOBAL__N_18offset_tEEE10hipError_tPvRmT1_PNSt15iterator_traitsISK_E10value_typeET2_T3_PNSL_ISQ_E10value_typeET4_jRbjT5_SW_jjP12ihipStream_tbEUlT_E1_NS1_11comp_targetILNS1_3genE9ELNS1_11target_archE1100ELNS1_3gpuE3ELNS1_3repE0EEENS1_59segmented_radix_sort_warp_sort_small_config_static_selectorELNS0_4arch9wavefront6targetE1EEEvSK_ ; -- Begin function _ZN7rocprim17ROCPRIM_400000_NS6detail17trampoline_kernelINS0_14default_configENS1_36segmented_radix_sort_config_selectorIdlEEZNS1_25segmented_radix_sort_implIS3_Lb0EPKdPdPKlPlN2at6native12_GLOBAL__N_18offset_tEEE10hipError_tPvRmT1_PNSt15iterator_traitsISK_E10value_typeET2_T3_PNSL_ISQ_E10value_typeET4_jRbjT5_SW_jjP12ihipStream_tbEUlT_E1_NS1_11comp_targetILNS1_3genE9ELNS1_11target_archE1100ELNS1_3gpuE3ELNS1_3repE0EEENS1_59segmented_radix_sort_warp_sort_small_config_static_selectorELNS0_4arch9wavefront6targetE1EEEvSK_
	.p2align	8
	.type	_ZN7rocprim17ROCPRIM_400000_NS6detail17trampoline_kernelINS0_14default_configENS1_36segmented_radix_sort_config_selectorIdlEEZNS1_25segmented_radix_sort_implIS3_Lb0EPKdPdPKlPlN2at6native12_GLOBAL__N_18offset_tEEE10hipError_tPvRmT1_PNSt15iterator_traitsISK_E10value_typeET2_T3_PNSL_ISQ_E10value_typeET4_jRbjT5_SW_jjP12ihipStream_tbEUlT_E1_NS1_11comp_targetILNS1_3genE9ELNS1_11target_archE1100ELNS1_3gpuE3ELNS1_3repE0EEENS1_59segmented_radix_sort_warp_sort_small_config_static_selectorELNS0_4arch9wavefront6targetE1EEEvSK_,@function
_ZN7rocprim17ROCPRIM_400000_NS6detail17trampoline_kernelINS0_14default_configENS1_36segmented_radix_sort_config_selectorIdlEEZNS1_25segmented_radix_sort_implIS3_Lb0EPKdPdPKlPlN2at6native12_GLOBAL__N_18offset_tEEE10hipError_tPvRmT1_PNSt15iterator_traitsISK_E10value_typeET2_T3_PNSL_ISQ_E10value_typeET4_jRbjT5_SW_jjP12ihipStream_tbEUlT_E1_NS1_11comp_targetILNS1_3genE9ELNS1_11target_archE1100ELNS1_3gpuE3ELNS1_3repE0EEENS1_59segmented_radix_sort_warp_sort_small_config_static_selectorELNS0_4arch9wavefront6targetE1EEEvSK_: ; @_ZN7rocprim17ROCPRIM_400000_NS6detail17trampoline_kernelINS0_14default_configENS1_36segmented_radix_sort_config_selectorIdlEEZNS1_25segmented_radix_sort_implIS3_Lb0EPKdPdPKlPlN2at6native12_GLOBAL__N_18offset_tEEE10hipError_tPvRmT1_PNSt15iterator_traitsISK_E10value_typeET2_T3_PNSL_ISQ_E10value_typeET4_jRbjT5_SW_jjP12ihipStream_tbEUlT_E1_NS1_11comp_targetILNS1_3genE9ELNS1_11target_archE1100ELNS1_3gpuE3ELNS1_3repE0EEENS1_59segmented_radix_sort_warp_sort_small_config_static_selectorELNS0_4arch9wavefront6targetE1EEEvSK_
; %bb.0:
	.section	.rodata,"a",@progbits
	.p2align	6, 0x0
	.amdhsa_kernel _ZN7rocprim17ROCPRIM_400000_NS6detail17trampoline_kernelINS0_14default_configENS1_36segmented_radix_sort_config_selectorIdlEEZNS1_25segmented_radix_sort_implIS3_Lb0EPKdPdPKlPlN2at6native12_GLOBAL__N_18offset_tEEE10hipError_tPvRmT1_PNSt15iterator_traitsISK_E10value_typeET2_T3_PNSL_ISQ_E10value_typeET4_jRbjT5_SW_jjP12ihipStream_tbEUlT_E1_NS1_11comp_targetILNS1_3genE9ELNS1_11target_archE1100ELNS1_3gpuE3ELNS1_3repE0EEENS1_59segmented_radix_sort_warp_sort_small_config_static_selectorELNS0_4arch9wavefront6targetE1EEEvSK_
		.amdhsa_group_segment_fixed_size 0
		.amdhsa_private_segment_fixed_size 0
		.amdhsa_kernarg_size 88
		.amdhsa_user_sgpr_count 6
		.amdhsa_user_sgpr_private_segment_buffer 1
		.amdhsa_user_sgpr_dispatch_ptr 0
		.amdhsa_user_sgpr_queue_ptr 0
		.amdhsa_user_sgpr_kernarg_segment_ptr 1
		.amdhsa_user_sgpr_dispatch_id 0
		.amdhsa_user_sgpr_flat_scratch_init 0
		.amdhsa_user_sgpr_private_segment_size 0
		.amdhsa_uses_dynamic_stack 0
		.amdhsa_system_sgpr_private_segment_wavefront_offset 0
		.amdhsa_system_sgpr_workgroup_id_x 1
		.amdhsa_system_sgpr_workgroup_id_y 0
		.amdhsa_system_sgpr_workgroup_id_z 0
		.amdhsa_system_sgpr_workgroup_info 0
		.amdhsa_system_vgpr_workitem_id 0
		.amdhsa_next_free_vgpr 1
		.amdhsa_next_free_sgpr 0
		.amdhsa_reserve_vcc 0
		.amdhsa_reserve_flat_scratch 0
		.amdhsa_float_round_mode_32 0
		.amdhsa_float_round_mode_16_64 0
		.amdhsa_float_denorm_mode_32 3
		.amdhsa_float_denorm_mode_16_64 3
		.amdhsa_dx10_clamp 1
		.amdhsa_ieee_mode 1
		.amdhsa_fp16_overflow 0
		.amdhsa_exception_fp_ieee_invalid_op 0
		.amdhsa_exception_fp_denorm_src 0
		.amdhsa_exception_fp_ieee_div_zero 0
		.amdhsa_exception_fp_ieee_overflow 0
		.amdhsa_exception_fp_ieee_underflow 0
		.amdhsa_exception_fp_ieee_inexact 0
		.amdhsa_exception_int_div_zero 0
	.end_amdhsa_kernel
	.section	.text._ZN7rocprim17ROCPRIM_400000_NS6detail17trampoline_kernelINS0_14default_configENS1_36segmented_radix_sort_config_selectorIdlEEZNS1_25segmented_radix_sort_implIS3_Lb0EPKdPdPKlPlN2at6native12_GLOBAL__N_18offset_tEEE10hipError_tPvRmT1_PNSt15iterator_traitsISK_E10value_typeET2_T3_PNSL_ISQ_E10value_typeET4_jRbjT5_SW_jjP12ihipStream_tbEUlT_E1_NS1_11comp_targetILNS1_3genE9ELNS1_11target_archE1100ELNS1_3gpuE3ELNS1_3repE0EEENS1_59segmented_radix_sort_warp_sort_small_config_static_selectorELNS0_4arch9wavefront6targetE1EEEvSK_,"axG",@progbits,_ZN7rocprim17ROCPRIM_400000_NS6detail17trampoline_kernelINS0_14default_configENS1_36segmented_radix_sort_config_selectorIdlEEZNS1_25segmented_radix_sort_implIS3_Lb0EPKdPdPKlPlN2at6native12_GLOBAL__N_18offset_tEEE10hipError_tPvRmT1_PNSt15iterator_traitsISK_E10value_typeET2_T3_PNSL_ISQ_E10value_typeET4_jRbjT5_SW_jjP12ihipStream_tbEUlT_E1_NS1_11comp_targetILNS1_3genE9ELNS1_11target_archE1100ELNS1_3gpuE3ELNS1_3repE0EEENS1_59segmented_radix_sort_warp_sort_small_config_static_selectorELNS0_4arch9wavefront6targetE1EEEvSK_,comdat
.Lfunc_end1249:
	.size	_ZN7rocprim17ROCPRIM_400000_NS6detail17trampoline_kernelINS0_14default_configENS1_36segmented_radix_sort_config_selectorIdlEEZNS1_25segmented_radix_sort_implIS3_Lb0EPKdPdPKlPlN2at6native12_GLOBAL__N_18offset_tEEE10hipError_tPvRmT1_PNSt15iterator_traitsISK_E10value_typeET2_T3_PNSL_ISQ_E10value_typeET4_jRbjT5_SW_jjP12ihipStream_tbEUlT_E1_NS1_11comp_targetILNS1_3genE9ELNS1_11target_archE1100ELNS1_3gpuE3ELNS1_3repE0EEENS1_59segmented_radix_sort_warp_sort_small_config_static_selectorELNS0_4arch9wavefront6targetE1EEEvSK_, .Lfunc_end1249-_ZN7rocprim17ROCPRIM_400000_NS6detail17trampoline_kernelINS0_14default_configENS1_36segmented_radix_sort_config_selectorIdlEEZNS1_25segmented_radix_sort_implIS3_Lb0EPKdPdPKlPlN2at6native12_GLOBAL__N_18offset_tEEE10hipError_tPvRmT1_PNSt15iterator_traitsISK_E10value_typeET2_T3_PNSL_ISQ_E10value_typeET4_jRbjT5_SW_jjP12ihipStream_tbEUlT_E1_NS1_11comp_targetILNS1_3genE9ELNS1_11target_archE1100ELNS1_3gpuE3ELNS1_3repE0EEENS1_59segmented_radix_sort_warp_sort_small_config_static_selectorELNS0_4arch9wavefront6targetE1EEEvSK_
                                        ; -- End function
	.set _ZN7rocprim17ROCPRIM_400000_NS6detail17trampoline_kernelINS0_14default_configENS1_36segmented_radix_sort_config_selectorIdlEEZNS1_25segmented_radix_sort_implIS3_Lb0EPKdPdPKlPlN2at6native12_GLOBAL__N_18offset_tEEE10hipError_tPvRmT1_PNSt15iterator_traitsISK_E10value_typeET2_T3_PNSL_ISQ_E10value_typeET4_jRbjT5_SW_jjP12ihipStream_tbEUlT_E1_NS1_11comp_targetILNS1_3genE9ELNS1_11target_archE1100ELNS1_3gpuE3ELNS1_3repE0EEENS1_59segmented_radix_sort_warp_sort_small_config_static_selectorELNS0_4arch9wavefront6targetE1EEEvSK_.num_vgpr, 0
	.set _ZN7rocprim17ROCPRIM_400000_NS6detail17trampoline_kernelINS0_14default_configENS1_36segmented_radix_sort_config_selectorIdlEEZNS1_25segmented_radix_sort_implIS3_Lb0EPKdPdPKlPlN2at6native12_GLOBAL__N_18offset_tEEE10hipError_tPvRmT1_PNSt15iterator_traitsISK_E10value_typeET2_T3_PNSL_ISQ_E10value_typeET4_jRbjT5_SW_jjP12ihipStream_tbEUlT_E1_NS1_11comp_targetILNS1_3genE9ELNS1_11target_archE1100ELNS1_3gpuE3ELNS1_3repE0EEENS1_59segmented_radix_sort_warp_sort_small_config_static_selectorELNS0_4arch9wavefront6targetE1EEEvSK_.num_agpr, 0
	.set _ZN7rocprim17ROCPRIM_400000_NS6detail17trampoline_kernelINS0_14default_configENS1_36segmented_radix_sort_config_selectorIdlEEZNS1_25segmented_radix_sort_implIS3_Lb0EPKdPdPKlPlN2at6native12_GLOBAL__N_18offset_tEEE10hipError_tPvRmT1_PNSt15iterator_traitsISK_E10value_typeET2_T3_PNSL_ISQ_E10value_typeET4_jRbjT5_SW_jjP12ihipStream_tbEUlT_E1_NS1_11comp_targetILNS1_3genE9ELNS1_11target_archE1100ELNS1_3gpuE3ELNS1_3repE0EEENS1_59segmented_radix_sort_warp_sort_small_config_static_selectorELNS0_4arch9wavefront6targetE1EEEvSK_.numbered_sgpr, 0
	.set _ZN7rocprim17ROCPRIM_400000_NS6detail17trampoline_kernelINS0_14default_configENS1_36segmented_radix_sort_config_selectorIdlEEZNS1_25segmented_radix_sort_implIS3_Lb0EPKdPdPKlPlN2at6native12_GLOBAL__N_18offset_tEEE10hipError_tPvRmT1_PNSt15iterator_traitsISK_E10value_typeET2_T3_PNSL_ISQ_E10value_typeET4_jRbjT5_SW_jjP12ihipStream_tbEUlT_E1_NS1_11comp_targetILNS1_3genE9ELNS1_11target_archE1100ELNS1_3gpuE3ELNS1_3repE0EEENS1_59segmented_radix_sort_warp_sort_small_config_static_selectorELNS0_4arch9wavefront6targetE1EEEvSK_.num_named_barrier, 0
	.set _ZN7rocprim17ROCPRIM_400000_NS6detail17trampoline_kernelINS0_14default_configENS1_36segmented_radix_sort_config_selectorIdlEEZNS1_25segmented_radix_sort_implIS3_Lb0EPKdPdPKlPlN2at6native12_GLOBAL__N_18offset_tEEE10hipError_tPvRmT1_PNSt15iterator_traitsISK_E10value_typeET2_T3_PNSL_ISQ_E10value_typeET4_jRbjT5_SW_jjP12ihipStream_tbEUlT_E1_NS1_11comp_targetILNS1_3genE9ELNS1_11target_archE1100ELNS1_3gpuE3ELNS1_3repE0EEENS1_59segmented_radix_sort_warp_sort_small_config_static_selectorELNS0_4arch9wavefront6targetE1EEEvSK_.private_seg_size, 0
	.set _ZN7rocprim17ROCPRIM_400000_NS6detail17trampoline_kernelINS0_14default_configENS1_36segmented_radix_sort_config_selectorIdlEEZNS1_25segmented_radix_sort_implIS3_Lb0EPKdPdPKlPlN2at6native12_GLOBAL__N_18offset_tEEE10hipError_tPvRmT1_PNSt15iterator_traitsISK_E10value_typeET2_T3_PNSL_ISQ_E10value_typeET4_jRbjT5_SW_jjP12ihipStream_tbEUlT_E1_NS1_11comp_targetILNS1_3genE9ELNS1_11target_archE1100ELNS1_3gpuE3ELNS1_3repE0EEENS1_59segmented_radix_sort_warp_sort_small_config_static_selectorELNS0_4arch9wavefront6targetE1EEEvSK_.uses_vcc, 0
	.set _ZN7rocprim17ROCPRIM_400000_NS6detail17trampoline_kernelINS0_14default_configENS1_36segmented_radix_sort_config_selectorIdlEEZNS1_25segmented_radix_sort_implIS3_Lb0EPKdPdPKlPlN2at6native12_GLOBAL__N_18offset_tEEE10hipError_tPvRmT1_PNSt15iterator_traitsISK_E10value_typeET2_T3_PNSL_ISQ_E10value_typeET4_jRbjT5_SW_jjP12ihipStream_tbEUlT_E1_NS1_11comp_targetILNS1_3genE9ELNS1_11target_archE1100ELNS1_3gpuE3ELNS1_3repE0EEENS1_59segmented_radix_sort_warp_sort_small_config_static_selectorELNS0_4arch9wavefront6targetE1EEEvSK_.uses_flat_scratch, 0
	.set _ZN7rocprim17ROCPRIM_400000_NS6detail17trampoline_kernelINS0_14default_configENS1_36segmented_radix_sort_config_selectorIdlEEZNS1_25segmented_radix_sort_implIS3_Lb0EPKdPdPKlPlN2at6native12_GLOBAL__N_18offset_tEEE10hipError_tPvRmT1_PNSt15iterator_traitsISK_E10value_typeET2_T3_PNSL_ISQ_E10value_typeET4_jRbjT5_SW_jjP12ihipStream_tbEUlT_E1_NS1_11comp_targetILNS1_3genE9ELNS1_11target_archE1100ELNS1_3gpuE3ELNS1_3repE0EEENS1_59segmented_radix_sort_warp_sort_small_config_static_selectorELNS0_4arch9wavefront6targetE1EEEvSK_.has_dyn_sized_stack, 0
	.set _ZN7rocprim17ROCPRIM_400000_NS6detail17trampoline_kernelINS0_14default_configENS1_36segmented_radix_sort_config_selectorIdlEEZNS1_25segmented_radix_sort_implIS3_Lb0EPKdPdPKlPlN2at6native12_GLOBAL__N_18offset_tEEE10hipError_tPvRmT1_PNSt15iterator_traitsISK_E10value_typeET2_T3_PNSL_ISQ_E10value_typeET4_jRbjT5_SW_jjP12ihipStream_tbEUlT_E1_NS1_11comp_targetILNS1_3genE9ELNS1_11target_archE1100ELNS1_3gpuE3ELNS1_3repE0EEENS1_59segmented_radix_sort_warp_sort_small_config_static_selectorELNS0_4arch9wavefront6targetE1EEEvSK_.has_recursion, 0
	.set _ZN7rocprim17ROCPRIM_400000_NS6detail17trampoline_kernelINS0_14default_configENS1_36segmented_radix_sort_config_selectorIdlEEZNS1_25segmented_radix_sort_implIS3_Lb0EPKdPdPKlPlN2at6native12_GLOBAL__N_18offset_tEEE10hipError_tPvRmT1_PNSt15iterator_traitsISK_E10value_typeET2_T3_PNSL_ISQ_E10value_typeET4_jRbjT5_SW_jjP12ihipStream_tbEUlT_E1_NS1_11comp_targetILNS1_3genE9ELNS1_11target_archE1100ELNS1_3gpuE3ELNS1_3repE0EEENS1_59segmented_radix_sort_warp_sort_small_config_static_selectorELNS0_4arch9wavefront6targetE1EEEvSK_.has_indirect_call, 0
	.section	.AMDGPU.csdata,"",@progbits
; Kernel info:
; codeLenInByte = 0
; TotalNumSgprs: 4
; NumVgprs: 0
; ScratchSize: 0
; MemoryBound: 0
; FloatMode: 240
; IeeeMode: 1
; LDSByteSize: 0 bytes/workgroup (compile time only)
; SGPRBlocks: 0
; VGPRBlocks: 0
; NumSGPRsForWavesPerEU: 4
; NumVGPRsForWavesPerEU: 1
; Occupancy: 10
; WaveLimiterHint : 0
; COMPUTE_PGM_RSRC2:SCRATCH_EN: 0
; COMPUTE_PGM_RSRC2:USER_SGPR: 6
; COMPUTE_PGM_RSRC2:TRAP_HANDLER: 0
; COMPUTE_PGM_RSRC2:TGID_X_EN: 1
; COMPUTE_PGM_RSRC2:TGID_Y_EN: 0
; COMPUTE_PGM_RSRC2:TGID_Z_EN: 0
; COMPUTE_PGM_RSRC2:TIDIG_COMP_CNT: 0
	.section	.text._ZN7rocprim17ROCPRIM_400000_NS6detail17trampoline_kernelINS0_14default_configENS1_36segmented_radix_sort_config_selectorIdlEEZNS1_25segmented_radix_sort_implIS3_Lb0EPKdPdPKlPlN2at6native12_GLOBAL__N_18offset_tEEE10hipError_tPvRmT1_PNSt15iterator_traitsISK_E10value_typeET2_T3_PNSL_ISQ_E10value_typeET4_jRbjT5_SW_jjP12ihipStream_tbEUlT_E1_NS1_11comp_targetILNS1_3genE8ELNS1_11target_archE1030ELNS1_3gpuE2ELNS1_3repE0EEENS1_59segmented_radix_sort_warp_sort_small_config_static_selectorELNS0_4arch9wavefront6targetE1EEEvSK_,"axG",@progbits,_ZN7rocprim17ROCPRIM_400000_NS6detail17trampoline_kernelINS0_14default_configENS1_36segmented_radix_sort_config_selectorIdlEEZNS1_25segmented_radix_sort_implIS3_Lb0EPKdPdPKlPlN2at6native12_GLOBAL__N_18offset_tEEE10hipError_tPvRmT1_PNSt15iterator_traitsISK_E10value_typeET2_T3_PNSL_ISQ_E10value_typeET4_jRbjT5_SW_jjP12ihipStream_tbEUlT_E1_NS1_11comp_targetILNS1_3genE8ELNS1_11target_archE1030ELNS1_3gpuE2ELNS1_3repE0EEENS1_59segmented_radix_sort_warp_sort_small_config_static_selectorELNS0_4arch9wavefront6targetE1EEEvSK_,comdat
	.globl	_ZN7rocprim17ROCPRIM_400000_NS6detail17trampoline_kernelINS0_14default_configENS1_36segmented_radix_sort_config_selectorIdlEEZNS1_25segmented_radix_sort_implIS3_Lb0EPKdPdPKlPlN2at6native12_GLOBAL__N_18offset_tEEE10hipError_tPvRmT1_PNSt15iterator_traitsISK_E10value_typeET2_T3_PNSL_ISQ_E10value_typeET4_jRbjT5_SW_jjP12ihipStream_tbEUlT_E1_NS1_11comp_targetILNS1_3genE8ELNS1_11target_archE1030ELNS1_3gpuE2ELNS1_3repE0EEENS1_59segmented_radix_sort_warp_sort_small_config_static_selectorELNS0_4arch9wavefront6targetE1EEEvSK_ ; -- Begin function _ZN7rocprim17ROCPRIM_400000_NS6detail17trampoline_kernelINS0_14default_configENS1_36segmented_radix_sort_config_selectorIdlEEZNS1_25segmented_radix_sort_implIS3_Lb0EPKdPdPKlPlN2at6native12_GLOBAL__N_18offset_tEEE10hipError_tPvRmT1_PNSt15iterator_traitsISK_E10value_typeET2_T3_PNSL_ISQ_E10value_typeET4_jRbjT5_SW_jjP12ihipStream_tbEUlT_E1_NS1_11comp_targetILNS1_3genE8ELNS1_11target_archE1030ELNS1_3gpuE2ELNS1_3repE0EEENS1_59segmented_radix_sort_warp_sort_small_config_static_selectorELNS0_4arch9wavefront6targetE1EEEvSK_
	.p2align	8
	.type	_ZN7rocprim17ROCPRIM_400000_NS6detail17trampoline_kernelINS0_14default_configENS1_36segmented_radix_sort_config_selectorIdlEEZNS1_25segmented_radix_sort_implIS3_Lb0EPKdPdPKlPlN2at6native12_GLOBAL__N_18offset_tEEE10hipError_tPvRmT1_PNSt15iterator_traitsISK_E10value_typeET2_T3_PNSL_ISQ_E10value_typeET4_jRbjT5_SW_jjP12ihipStream_tbEUlT_E1_NS1_11comp_targetILNS1_3genE8ELNS1_11target_archE1030ELNS1_3gpuE2ELNS1_3repE0EEENS1_59segmented_radix_sort_warp_sort_small_config_static_selectorELNS0_4arch9wavefront6targetE1EEEvSK_,@function
_ZN7rocprim17ROCPRIM_400000_NS6detail17trampoline_kernelINS0_14default_configENS1_36segmented_radix_sort_config_selectorIdlEEZNS1_25segmented_radix_sort_implIS3_Lb0EPKdPdPKlPlN2at6native12_GLOBAL__N_18offset_tEEE10hipError_tPvRmT1_PNSt15iterator_traitsISK_E10value_typeET2_T3_PNSL_ISQ_E10value_typeET4_jRbjT5_SW_jjP12ihipStream_tbEUlT_E1_NS1_11comp_targetILNS1_3genE8ELNS1_11target_archE1030ELNS1_3gpuE2ELNS1_3repE0EEENS1_59segmented_radix_sort_warp_sort_small_config_static_selectorELNS0_4arch9wavefront6targetE1EEEvSK_: ; @_ZN7rocprim17ROCPRIM_400000_NS6detail17trampoline_kernelINS0_14default_configENS1_36segmented_radix_sort_config_selectorIdlEEZNS1_25segmented_radix_sort_implIS3_Lb0EPKdPdPKlPlN2at6native12_GLOBAL__N_18offset_tEEE10hipError_tPvRmT1_PNSt15iterator_traitsISK_E10value_typeET2_T3_PNSL_ISQ_E10value_typeET4_jRbjT5_SW_jjP12ihipStream_tbEUlT_E1_NS1_11comp_targetILNS1_3genE8ELNS1_11target_archE1030ELNS1_3gpuE2ELNS1_3repE0EEENS1_59segmented_radix_sort_warp_sort_small_config_static_selectorELNS0_4arch9wavefront6targetE1EEEvSK_
; %bb.0:
	.section	.rodata,"a",@progbits
	.p2align	6, 0x0
	.amdhsa_kernel _ZN7rocprim17ROCPRIM_400000_NS6detail17trampoline_kernelINS0_14default_configENS1_36segmented_radix_sort_config_selectorIdlEEZNS1_25segmented_radix_sort_implIS3_Lb0EPKdPdPKlPlN2at6native12_GLOBAL__N_18offset_tEEE10hipError_tPvRmT1_PNSt15iterator_traitsISK_E10value_typeET2_T3_PNSL_ISQ_E10value_typeET4_jRbjT5_SW_jjP12ihipStream_tbEUlT_E1_NS1_11comp_targetILNS1_3genE8ELNS1_11target_archE1030ELNS1_3gpuE2ELNS1_3repE0EEENS1_59segmented_radix_sort_warp_sort_small_config_static_selectorELNS0_4arch9wavefront6targetE1EEEvSK_
		.amdhsa_group_segment_fixed_size 0
		.amdhsa_private_segment_fixed_size 0
		.amdhsa_kernarg_size 88
		.amdhsa_user_sgpr_count 6
		.amdhsa_user_sgpr_private_segment_buffer 1
		.amdhsa_user_sgpr_dispatch_ptr 0
		.amdhsa_user_sgpr_queue_ptr 0
		.amdhsa_user_sgpr_kernarg_segment_ptr 1
		.amdhsa_user_sgpr_dispatch_id 0
		.amdhsa_user_sgpr_flat_scratch_init 0
		.amdhsa_user_sgpr_private_segment_size 0
		.amdhsa_uses_dynamic_stack 0
		.amdhsa_system_sgpr_private_segment_wavefront_offset 0
		.amdhsa_system_sgpr_workgroup_id_x 1
		.amdhsa_system_sgpr_workgroup_id_y 0
		.amdhsa_system_sgpr_workgroup_id_z 0
		.amdhsa_system_sgpr_workgroup_info 0
		.amdhsa_system_vgpr_workitem_id 0
		.amdhsa_next_free_vgpr 1
		.amdhsa_next_free_sgpr 0
		.amdhsa_reserve_vcc 0
		.amdhsa_reserve_flat_scratch 0
		.amdhsa_float_round_mode_32 0
		.amdhsa_float_round_mode_16_64 0
		.amdhsa_float_denorm_mode_32 3
		.amdhsa_float_denorm_mode_16_64 3
		.amdhsa_dx10_clamp 1
		.amdhsa_ieee_mode 1
		.amdhsa_fp16_overflow 0
		.amdhsa_exception_fp_ieee_invalid_op 0
		.amdhsa_exception_fp_denorm_src 0
		.amdhsa_exception_fp_ieee_div_zero 0
		.amdhsa_exception_fp_ieee_overflow 0
		.amdhsa_exception_fp_ieee_underflow 0
		.amdhsa_exception_fp_ieee_inexact 0
		.amdhsa_exception_int_div_zero 0
	.end_amdhsa_kernel
	.section	.text._ZN7rocprim17ROCPRIM_400000_NS6detail17trampoline_kernelINS0_14default_configENS1_36segmented_radix_sort_config_selectorIdlEEZNS1_25segmented_radix_sort_implIS3_Lb0EPKdPdPKlPlN2at6native12_GLOBAL__N_18offset_tEEE10hipError_tPvRmT1_PNSt15iterator_traitsISK_E10value_typeET2_T3_PNSL_ISQ_E10value_typeET4_jRbjT5_SW_jjP12ihipStream_tbEUlT_E1_NS1_11comp_targetILNS1_3genE8ELNS1_11target_archE1030ELNS1_3gpuE2ELNS1_3repE0EEENS1_59segmented_radix_sort_warp_sort_small_config_static_selectorELNS0_4arch9wavefront6targetE1EEEvSK_,"axG",@progbits,_ZN7rocprim17ROCPRIM_400000_NS6detail17trampoline_kernelINS0_14default_configENS1_36segmented_radix_sort_config_selectorIdlEEZNS1_25segmented_radix_sort_implIS3_Lb0EPKdPdPKlPlN2at6native12_GLOBAL__N_18offset_tEEE10hipError_tPvRmT1_PNSt15iterator_traitsISK_E10value_typeET2_T3_PNSL_ISQ_E10value_typeET4_jRbjT5_SW_jjP12ihipStream_tbEUlT_E1_NS1_11comp_targetILNS1_3genE8ELNS1_11target_archE1030ELNS1_3gpuE2ELNS1_3repE0EEENS1_59segmented_radix_sort_warp_sort_small_config_static_selectorELNS0_4arch9wavefront6targetE1EEEvSK_,comdat
.Lfunc_end1250:
	.size	_ZN7rocprim17ROCPRIM_400000_NS6detail17trampoline_kernelINS0_14default_configENS1_36segmented_radix_sort_config_selectorIdlEEZNS1_25segmented_radix_sort_implIS3_Lb0EPKdPdPKlPlN2at6native12_GLOBAL__N_18offset_tEEE10hipError_tPvRmT1_PNSt15iterator_traitsISK_E10value_typeET2_T3_PNSL_ISQ_E10value_typeET4_jRbjT5_SW_jjP12ihipStream_tbEUlT_E1_NS1_11comp_targetILNS1_3genE8ELNS1_11target_archE1030ELNS1_3gpuE2ELNS1_3repE0EEENS1_59segmented_radix_sort_warp_sort_small_config_static_selectorELNS0_4arch9wavefront6targetE1EEEvSK_, .Lfunc_end1250-_ZN7rocprim17ROCPRIM_400000_NS6detail17trampoline_kernelINS0_14default_configENS1_36segmented_radix_sort_config_selectorIdlEEZNS1_25segmented_radix_sort_implIS3_Lb0EPKdPdPKlPlN2at6native12_GLOBAL__N_18offset_tEEE10hipError_tPvRmT1_PNSt15iterator_traitsISK_E10value_typeET2_T3_PNSL_ISQ_E10value_typeET4_jRbjT5_SW_jjP12ihipStream_tbEUlT_E1_NS1_11comp_targetILNS1_3genE8ELNS1_11target_archE1030ELNS1_3gpuE2ELNS1_3repE0EEENS1_59segmented_radix_sort_warp_sort_small_config_static_selectorELNS0_4arch9wavefront6targetE1EEEvSK_
                                        ; -- End function
	.set _ZN7rocprim17ROCPRIM_400000_NS6detail17trampoline_kernelINS0_14default_configENS1_36segmented_radix_sort_config_selectorIdlEEZNS1_25segmented_radix_sort_implIS3_Lb0EPKdPdPKlPlN2at6native12_GLOBAL__N_18offset_tEEE10hipError_tPvRmT1_PNSt15iterator_traitsISK_E10value_typeET2_T3_PNSL_ISQ_E10value_typeET4_jRbjT5_SW_jjP12ihipStream_tbEUlT_E1_NS1_11comp_targetILNS1_3genE8ELNS1_11target_archE1030ELNS1_3gpuE2ELNS1_3repE0EEENS1_59segmented_radix_sort_warp_sort_small_config_static_selectorELNS0_4arch9wavefront6targetE1EEEvSK_.num_vgpr, 0
	.set _ZN7rocprim17ROCPRIM_400000_NS6detail17trampoline_kernelINS0_14default_configENS1_36segmented_radix_sort_config_selectorIdlEEZNS1_25segmented_radix_sort_implIS3_Lb0EPKdPdPKlPlN2at6native12_GLOBAL__N_18offset_tEEE10hipError_tPvRmT1_PNSt15iterator_traitsISK_E10value_typeET2_T3_PNSL_ISQ_E10value_typeET4_jRbjT5_SW_jjP12ihipStream_tbEUlT_E1_NS1_11comp_targetILNS1_3genE8ELNS1_11target_archE1030ELNS1_3gpuE2ELNS1_3repE0EEENS1_59segmented_radix_sort_warp_sort_small_config_static_selectorELNS0_4arch9wavefront6targetE1EEEvSK_.num_agpr, 0
	.set _ZN7rocprim17ROCPRIM_400000_NS6detail17trampoline_kernelINS0_14default_configENS1_36segmented_radix_sort_config_selectorIdlEEZNS1_25segmented_radix_sort_implIS3_Lb0EPKdPdPKlPlN2at6native12_GLOBAL__N_18offset_tEEE10hipError_tPvRmT1_PNSt15iterator_traitsISK_E10value_typeET2_T3_PNSL_ISQ_E10value_typeET4_jRbjT5_SW_jjP12ihipStream_tbEUlT_E1_NS1_11comp_targetILNS1_3genE8ELNS1_11target_archE1030ELNS1_3gpuE2ELNS1_3repE0EEENS1_59segmented_radix_sort_warp_sort_small_config_static_selectorELNS0_4arch9wavefront6targetE1EEEvSK_.numbered_sgpr, 0
	.set _ZN7rocprim17ROCPRIM_400000_NS6detail17trampoline_kernelINS0_14default_configENS1_36segmented_radix_sort_config_selectorIdlEEZNS1_25segmented_radix_sort_implIS3_Lb0EPKdPdPKlPlN2at6native12_GLOBAL__N_18offset_tEEE10hipError_tPvRmT1_PNSt15iterator_traitsISK_E10value_typeET2_T3_PNSL_ISQ_E10value_typeET4_jRbjT5_SW_jjP12ihipStream_tbEUlT_E1_NS1_11comp_targetILNS1_3genE8ELNS1_11target_archE1030ELNS1_3gpuE2ELNS1_3repE0EEENS1_59segmented_radix_sort_warp_sort_small_config_static_selectorELNS0_4arch9wavefront6targetE1EEEvSK_.num_named_barrier, 0
	.set _ZN7rocprim17ROCPRIM_400000_NS6detail17trampoline_kernelINS0_14default_configENS1_36segmented_radix_sort_config_selectorIdlEEZNS1_25segmented_radix_sort_implIS3_Lb0EPKdPdPKlPlN2at6native12_GLOBAL__N_18offset_tEEE10hipError_tPvRmT1_PNSt15iterator_traitsISK_E10value_typeET2_T3_PNSL_ISQ_E10value_typeET4_jRbjT5_SW_jjP12ihipStream_tbEUlT_E1_NS1_11comp_targetILNS1_3genE8ELNS1_11target_archE1030ELNS1_3gpuE2ELNS1_3repE0EEENS1_59segmented_radix_sort_warp_sort_small_config_static_selectorELNS0_4arch9wavefront6targetE1EEEvSK_.private_seg_size, 0
	.set _ZN7rocprim17ROCPRIM_400000_NS6detail17trampoline_kernelINS0_14default_configENS1_36segmented_radix_sort_config_selectorIdlEEZNS1_25segmented_radix_sort_implIS3_Lb0EPKdPdPKlPlN2at6native12_GLOBAL__N_18offset_tEEE10hipError_tPvRmT1_PNSt15iterator_traitsISK_E10value_typeET2_T3_PNSL_ISQ_E10value_typeET4_jRbjT5_SW_jjP12ihipStream_tbEUlT_E1_NS1_11comp_targetILNS1_3genE8ELNS1_11target_archE1030ELNS1_3gpuE2ELNS1_3repE0EEENS1_59segmented_radix_sort_warp_sort_small_config_static_selectorELNS0_4arch9wavefront6targetE1EEEvSK_.uses_vcc, 0
	.set _ZN7rocprim17ROCPRIM_400000_NS6detail17trampoline_kernelINS0_14default_configENS1_36segmented_radix_sort_config_selectorIdlEEZNS1_25segmented_radix_sort_implIS3_Lb0EPKdPdPKlPlN2at6native12_GLOBAL__N_18offset_tEEE10hipError_tPvRmT1_PNSt15iterator_traitsISK_E10value_typeET2_T3_PNSL_ISQ_E10value_typeET4_jRbjT5_SW_jjP12ihipStream_tbEUlT_E1_NS1_11comp_targetILNS1_3genE8ELNS1_11target_archE1030ELNS1_3gpuE2ELNS1_3repE0EEENS1_59segmented_radix_sort_warp_sort_small_config_static_selectorELNS0_4arch9wavefront6targetE1EEEvSK_.uses_flat_scratch, 0
	.set _ZN7rocprim17ROCPRIM_400000_NS6detail17trampoline_kernelINS0_14default_configENS1_36segmented_radix_sort_config_selectorIdlEEZNS1_25segmented_radix_sort_implIS3_Lb0EPKdPdPKlPlN2at6native12_GLOBAL__N_18offset_tEEE10hipError_tPvRmT1_PNSt15iterator_traitsISK_E10value_typeET2_T3_PNSL_ISQ_E10value_typeET4_jRbjT5_SW_jjP12ihipStream_tbEUlT_E1_NS1_11comp_targetILNS1_3genE8ELNS1_11target_archE1030ELNS1_3gpuE2ELNS1_3repE0EEENS1_59segmented_radix_sort_warp_sort_small_config_static_selectorELNS0_4arch9wavefront6targetE1EEEvSK_.has_dyn_sized_stack, 0
	.set _ZN7rocprim17ROCPRIM_400000_NS6detail17trampoline_kernelINS0_14default_configENS1_36segmented_radix_sort_config_selectorIdlEEZNS1_25segmented_radix_sort_implIS3_Lb0EPKdPdPKlPlN2at6native12_GLOBAL__N_18offset_tEEE10hipError_tPvRmT1_PNSt15iterator_traitsISK_E10value_typeET2_T3_PNSL_ISQ_E10value_typeET4_jRbjT5_SW_jjP12ihipStream_tbEUlT_E1_NS1_11comp_targetILNS1_3genE8ELNS1_11target_archE1030ELNS1_3gpuE2ELNS1_3repE0EEENS1_59segmented_radix_sort_warp_sort_small_config_static_selectorELNS0_4arch9wavefront6targetE1EEEvSK_.has_recursion, 0
	.set _ZN7rocprim17ROCPRIM_400000_NS6detail17trampoline_kernelINS0_14default_configENS1_36segmented_radix_sort_config_selectorIdlEEZNS1_25segmented_radix_sort_implIS3_Lb0EPKdPdPKlPlN2at6native12_GLOBAL__N_18offset_tEEE10hipError_tPvRmT1_PNSt15iterator_traitsISK_E10value_typeET2_T3_PNSL_ISQ_E10value_typeET4_jRbjT5_SW_jjP12ihipStream_tbEUlT_E1_NS1_11comp_targetILNS1_3genE8ELNS1_11target_archE1030ELNS1_3gpuE2ELNS1_3repE0EEENS1_59segmented_radix_sort_warp_sort_small_config_static_selectorELNS0_4arch9wavefront6targetE1EEEvSK_.has_indirect_call, 0
	.section	.AMDGPU.csdata,"",@progbits
; Kernel info:
; codeLenInByte = 0
; TotalNumSgprs: 4
; NumVgprs: 0
; ScratchSize: 0
; MemoryBound: 0
; FloatMode: 240
; IeeeMode: 1
; LDSByteSize: 0 bytes/workgroup (compile time only)
; SGPRBlocks: 0
; VGPRBlocks: 0
; NumSGPRsForWavesPerEU: 4
; NumVGPRsForWavesPerEU: 1
; Occupancy: 10
; WaveLimiterHint : 0
; COMPUTE_PGM_RSRC2:SCRATCH_EN: 0
; COMPUTE_PGM_RSRC2:USER_SGPR: 6
; COMPUTE_PGM_RSRC2:TRAP_HANDLER: 0
; COMPUTE_PGM_RSRC2:TGID_X_EN: 1
; COMPUTE_PGM_RSRC2:TGID_Y_EN: 0
; COMPUTE_PGM_RSRC2:TGID_Z_EN: 0
; COMPUTE_PGM_RSRC2:TIDIG_COMP_CNT: 0
	.section	.text._ZN7rocprim17ROCPRIM_400000_NS6detail17trampoline_kernelINS0_14default_configENS1_36segmented_radix_sort_config_selectorIdlEEZNS1_25segmented_radix_sort_implIS3_Lb0EPKdPdPKlPlN2at6native12_GLOBAL__N_18offset_tEEE10hipError_tPvRmT1_PNSt15iterator_traitsISK_E10value_typeET2_T3_PNSL_ISQ_E10value_typeET4_jRbjT5_SW_jjP12ihipStream_tbEUlT_E2_NS1_11comp_targetILNS1_3genE0ELNS1_11target_archE4294967295ELNS1_3gpuE0ELNS1_3repE0EEENS1_30default_config_static_selectorELNS0_4arch9wavefront6targetE1EEEvSK_,"axG",@progbits,_ZN7rocprim17ROCPRIM_400000_NS6detail17trampoline_kernelINS0_14default_configENS1_36segmented_radix_sort_config_selectorIdlEEZNS1_25segmented_radix_sort_implIS3_Lb0EPKdPdPKlPlN2at6native12_GLOBAL__N_18offset_tEEE10hipError_tPvRmT1_PNSt15iterator_traitsISK_E10value_typeET2_T3_PNSL_ISQ_E10value_typeET4_jRbjT5_SW_jjP12ihipStream_tbEUlT_E2_NS1_11comp_targetILNS1_3genE0ELNS1_11target_archE4294967295ELNS1_3gpuE0ELNS1_3repE0EEENS1_30default_config_static_selectorELNS0_4arch9wavefront6targetE1EEEvSK_,comdat
	.globl	_ZN7rocprim17ROCPRIM_400000_NS6detail17trampoline_kernelINS0_14default_configENS1_36segmented_radix_sort_config_selectorIdlEEZNS1_25segmented_radix_sort_implIS3_Lb0EPKdPdPKlPlN2at6native12_GLOBAL__N_18offset_tEEE10hipError_tPvRmT1_PNSt15iterator_traitsISK_E10value_typeET2_T3_PNSL_ISQ_E10value_typeET4_jRbjT5_SW_jjP12ihipStream_tbEUlT_E2_NS1_11comp_targetILNS1_3genE0ELNS1_11target_archE4294967295ELNS1_3gpuE0ELNS1_3repE0EEENS1_30default_config_static_selectorELNS0_4arch9wavefront6targetE1EEEvSK_ ; -- Begin function _ZN7rocprim17ROCPRIM_400000_NS6detail17trampoline_kernelINS0_14default_configENS1_36segmented_radix_sort_config_selectorIdlEEZNS1_25segmented_radix_sort_implIS3_Lb0EPKdPdPKlPlN2at6native12_GLOBAL__N_18offset_tEEE10hipError_tPvRmT1_PNSt15iterator_traitsISK_E10value_typeET2_T3_PNSL_ISQ_E10value_typeET4_jRbjT5_SW_jjP12ihipStream_tbEUlT_E2_NS1_11comp_targetILNS1_3genE0ELNS1_11target_archE4294967295ELNS1_3gpuE0ELNS1_3repE0EEENS1_30default_config_static_selectorELNS0_4arch9wavefront6targetE1EEEvSK_
	.p2align	8
	.type	_ZN7rocprim17ROCPRIM_400000_NS6detail17trampoline_kernelINS0_14default_configENS1_36segmented_radix_sort_config_selectorIdlEEZNS1_25segmented_radix_sort_implIS3_Lb0EPKdPdPKlPlN2at6native12_GLOBAL__N_18offset_tEEE10hipError_tPvRmT1_PNSt15iterator_traitsISK_E10value_typeET2_T3_PNSL_ISQ_E10value_typeET4_jRbjT5_SW_jjP12ihipStream_tbEUlT_E2_NS1_11comp_targetILNS1_3genE0ELNS1_11target_archE4294967295ELNS1_3gpuE0ELNS1_3repE0EEENS1_30default_config_static_selectorELNS0_4arch9wavefront6targetE1EEEvSK_,@function
_ZN7rocprim17ROCPRIM_400000_NS6detail17trampoline_kernelINS0_14default_configENS1_36segmented_radix_sort_config_selectorIdlEEZNS1_25segmented_radix_sort_implIS3_Lb0EPKdPdPKlPlN2at6native12_GLOBAL__N_18offset_tEEE10hipError_tPvRmT1_PNSt15iterator_traitsISK_E10value_typeET2_T3_PNSL_ISQ_E10value_typeET4_jRbjT5_SW_jjP12ihipStream_tbEUlT_E2_NS1_11comp_targetILNS1_3genE0ELNS1_11target_archE4294967295ELNS1_3gpuE0ELNS1_3repE0EEENS1_30default_config_static_selectorELNS0_4arch9wavefront6targetE1EEEvSK_: ; @_ZN7rocprim17ROCPRIM_400000_NS6detail17trampoline_kernelINS0_14default_configENS1_36segmented_radix_sort_config_selectorIdlEEZNS1_25segmented_radix_sort_implIS3_Lb0EPKdPdPKlPlN2at6native12_GLOBAL__N_18offset_tEEE10hipError_tPvRmT1_PNSt15iterator_traitsISK_E10value_typeET2_T3_PNSL_ISQ_E10value_typeET4_jRbjT5_SW_jjP12ihipStream_tbEUlT_E2_NS1_11comp_targetILNS1_3genE0ELNS1_11target_archE4294967295ELNS1_3gpuE0ELNS1_3repE0EEENS1_30default_config_static_selectorELNS0_4arch9wavefront6targetE1EEEvSK_
; %bb.0:
	.section	.rodata,"a",@progbits
	.p2align	6, 0x0
	.amdhsa_kernel _ZN7rocprim17ROCPRIM_400000_NS6detail17trampoline_kernelINS0_14default_configENS1_36segmented_radix_sort_config_selectorIdlEEZNS1_25segmented_radix_sort_implIS3_Lb0EPKdPdPKlPlN2at6native12_GLOBAL__N_18offset_tEEE10hipError_tPvRmT1_PNSt15iterator_traitsISK_E10value_typeET2_T3_PNSL_ISQ_E10value_typeET4_jRbjT5_SW_jjP12ihipStream_tbEUlT_E2_NS1_11comp_targetILNS1_3genE0ELNS1_11target_archE4294967295ELNS1_3gpuE0ELNS1_3repE0EEENS1_30default_config_static_selectorELNS0_4arch9wavefront6targetE1EEEvSK_
		.amdhsa_group_segment_fixed_size 0
		.amdhsa_private_segment_fixed_size 0
		.amdhsa_kernarg_size 80
		.amdhsa_user_sgpr_count 6
		.amdhsa_user_sgpr_private_segment_buffer 1
		.amdhsa_user_sgpr_dispatch_ptr 0
		.amdhsa_user_sgpr_queue_ptr 0
		.amdhsa_user_sgpr_kernarg_segment_ptr 1
		.amdhsa_user_sgpr_dispatch_id 0
		.amdhsa_user_sgpr_flat_scratch_init 0
		.amdhsa_user_sgpr_private_segment_size 0
		.amdhsa_uses_dynamic_stack 0
		.amdhsa_system_sgpr_private_segment_wavefront_offset 0
		.amdhsa_system_sgpr_workgroup_id_x 1
		.amdhsa_system_sgpr_workgroup_id_y 0
		.amdhsa_system_sgpr_workgroup_id_z 0
		.amdhsa_system_sgpr_workgroup_info 0
		.amdhsa_system_vgpr_workitem_id 0
		.amdhsa_next_free_vgpr 1
		.amdhsa_next_free_sgpr 0
		.amdhsa_reserve_vcc 0
		.amdhsa_reserve_flat_scratch 0
		.amdhsa_float_round_mode_32 0
		.amdhsa_float_round_mode_16_64 0
		.amdhsa_float_denorm_mode_32 3
		.amdhsa_float_denorm_mode_16_64 3
		.amdhsa_dx10_clamp 1
		.amdhsa_ieee_mode 1
		.amdhsa_fp16_overflow 0
		.amdhsa_exception_fp_ieee_invalid_op 0
		.amdhsa_exception_fp_denorm_src 0
		.amdhsa_exception_fp_ieee_div_zero 0
		.amdhsa_exception_fp_ieee_overflow 0
		.amdhsa_exception_fp_ieee_underflow 0
		.amdhsa_exception_fp_ieee_inexact 0
		.amdhsa_exception_int_div_zero 0
	.end_amdhsa_kernel
	.section	.text._ZN7rocprim17ROCPRIM_400000_NS6detail17trampoline_kernelINS0_14default_configENS1_36segmented_radix_sort_config_selectorIdlEEZNS1_25segmented_radix_sort_implIS3_Lb0EPKdPdPKlPlN2at6native12_GLOBAL__N_18offset_tEEE10hipError_tPvRmT1_PNSt15iterator_traitsISK_E10value_typeET2_T3_PNSL_ISQ_E10value_typeET4_jRbjT5_SW_jjP12ihipStream_tbEUlT_E2_NS1_11comp_targetILNS1_3genE0ELNS1_11target_archE4294967295ELNS1_3gpuE0ELNS1_3repE0EEENS1_30default_config_static_selectorELNS0_4arch9wavefront6targetE1EEEvSK_,"axG",@progbits,_ZN7rocprim17ROCPRIM_400000_NS6detail17trampoline_kernelINS0_14default_configENS1_36segmented_radix_sort_config_selectorIdlEEZNS1_25segmented_radix_sort_implIS3_Lb0EPKdPdPKlPlN2at6native12_GLOBAL__N_18offset_tEEE10hipError_tPvRmT1_PNSt15iterator_traitsISK_E10value_typeET2_T3_PNSL_ISQ_E10value_typeET4_jRbjT5_SW_jjP12ihipStream_tbEUlT_E2_NS1_11comp_targetILNS1_3genE0ELNS1_11target_archE4294967295ELNS1_3gpuE0ELNS1_3repE0EEENS1_30default_config_static_selectorELNS0_4arch9wavefront6targetE1EEEvSK_,comdat
.Lfunc_end1251:
	.size	_ZN7rocprim17ROCPRIM_400000_NS6detail17trampoline_kernelINS0_14default_configENS1_36segmented_radix_sort_config_selectorIdlEEZNS1_25segmented_radix_sort_implIS3_Lb0EPKdPdPKlPlN2at6native12_GLOBAL__N_18offset_tEEE10hipError_tPvRmT1_PNSt15iterator_traitsISK_E10value_typeET2_T3_PNSL_ISQ_E10value_typeET4_jRbjT5_SW_jjP12ihipStream_tbEUlT_E2_NS1_11comp_targetILNS1_3genE0ELNS1_11target_archE4294967295ELNS1_3gpuE0ELNS1_3repE0EEENS1_30default_config_static_selectorELNS0_4arch9wavefront6targetE1EEEvSK_, .Lfunc_end1251-_ZN7rocprim17ROCPRIM_400000_NS6detail17trampoline_kernelINS0_14default_configENS1_36segmented_radix_sort_config_selectorIdlEEZNS1_25segmented_radix_sort_implIS3_Lb0EPKdPdPKlPlN2at6native12_GLOBAL__N_18offset_tEEE10hipError_tPvRmT1_PNSt15iterator_traitsISK_E10value_typeET2_T3_PNSL_ISQ_E10value_typeET4_jRbjT5_SW_jjP12ihipStream_tbEUlT_E2_NS1_11comp_targetILNS1_3genE0ELNS1_11target_archE4294967295ELNS1_3gpuE0ELNS1_3repE0EEENS1_30default_config_static_selectorELNS0_4arch9wavefront6targetE1EEEvSK_
                                        ; -- End function
	.set _ZN7rocprim17ROCPRIM_400000_NS6detail17trampoline_kernelINS0_14default_configENS1_36segmented_radix_sort_config_selectorIdlEEZNS1_25segmented_radix_sort_implIS3_Lb0EPKdPdPKlPlN2at6native12_GLOBAL__N_18offset_tEEE10hipError_tPvRmT1_PNSt15iterator_traitsISK_E10value_typeET2_T3_PNSL_ISQ_E10value_typeET4_jRbjT5_SW_jjP12ihipStream_tbEUlT_E2_NS1_11comp_targetILNS1_3genE0ELNS1_11target_archE4294967295ELNS1_3gpuE0ELNS1_3repE0EEENS1_30default_config_static_selectorELNS0_4arch9wavefront6targetE1EEEvSK_.num_vgpr, 0
	.set _ZN7rocprim17ROCPRIM_400000_NS6detail17trampoline_kernelINS0_14default_configENS1_36segmented_radix_sort_config_selectorIdlEEZNS1_25segmented_radix_sort_implIS3_Lb0EPKdPdPKlPlN2at6native12_GLOBAL__N_18offset_tEEE10hipError_tPvRmT1_PNSt15iterator_traitsISK_E10value_typeET2_T3_PNSL_ISQ_E10value_typeET4_jRbjT5_SW_jjP12ihipStream_tbEUlT_E2_NS1_11comp_targetILNS1_3genE0ELNS1_11target_archE4294967295ELNS1_3gpuE0ELNS1_3repE0EEENS1_30default_config_static_selectorELNS0_4arch9wavefront6targetE1EEEvSK_.num_agpr, 0
	.set _ZN7rocprim17ROCPRIM_400000_NS6detail17trampoline_kernelINS0_14default_configENS1_36segmented_radix_sort_config_selectorIdlEEZNS1_25segmented_radix_sort_implIS3_Lb0EPKdPdPKlPlN2at6native12_GLOBAL__N_18offset_tEEE10hipError_tPvRmT1_PNSt15iterator_traitsISK_E10value_typeET2_T3_PNSL_ISQ_E10value_typeET4_jRbjT5_SW_jjP12ihipStream_tbEUlT_E2_NS1_11comp_targetILNS1_3genE0ELNS1_11target_archE4294967295ELNS1_3gpuE0ELNS1_3repE0EEENS1_30default_config_static_selectorELNS0_4arch9wavefront6targetE1EEEvSK_.numbered_sgpr, 0
	.set _ZN7rocprim17ROCPRIM_400000_NS6detail17trampoline_kernelINS0_14default_configENS1_36segmented_radix_sort_config_selectorIdlEEZNS1_25segmented_radix_sort_implIS3_Lb0EPKdPdPKlPlN2at6native12_GLOBAL__N_18offset_tEEE10hipError_tPvRmT1_PNSt15iterator_traitsISK_E10value_typeET2_T3_PNSL_ISQ_E10value_typeET4_jRbjT5_SW_jjP12ihipStream_tbEUlT_E2_NS1_11comp_targetILNS1_3genE0ELNS1_11target_archE4294967295ELNS1_3gpuE0ELNS1_3repE0EEENS1_30default_config_static_selectorELNS0_4arch9wavefront6targetE1EEEvSK_.num_named_barrier, 0
	.set _ZN7rocprim17ROCPRIM_400000_NS6detail17trampoline_kernelINS0_14default_configENS1_36segmented_radix_sort_config_selectorIdlEEZNS1_25segmented_radix_sort_implIS3_Lb0EPKdPdPKlPlN2at6native12_GLOBAL__N_18offset_tEEE10hipError_tPvRmT1_PNSt15iterator_traitsISK_E10value_typeET2_T3_PNSL_ISQ_E10value_typeET4_jRbjT5_SW_jjP12ihipStream_tbEUlT_E2_NS1_11comp_targetILNS1_3genE0ELNS1_11target_archE4294967295ELNS1_3gpuE0ELNS1_3repE0EEENS1_30default_config_static_selectorELNS0_4arch9wavefront6targetE1EEEvSK_.private_seg_size, 0
	.set _ZN7rocprim17ROCPRIM_400000_NS6detail17trampoline_kernelINS0_14default_configENS1_36segmented_radix_sort_config_selectorIdlEEZNS1_25segmented_radix_sort_implIS3_Lb0EPKdPdPKlPlN2at6native12_GLOBAL__N_18offset_tEEE10hipError_tPvRmT1_PNSt15iterator_traitsISK_E10value_typeET2_T3_PNSL_ISQ_E10value_typeET4_jRbjT5_SW_jjP12ihipStream_tbEUlT_E2_NS1_11comp_targetILNS1_3genE0ELNS1_11target_archE4294967295ELNS1_3gpuE0ELNS1_3repE0EEENS1_30default_config_static_selectorELNS0_4arch9wavefront6targetE1EEEvSK_.uses_vcc, 0
	.set _ZN7rocprim17ROCPRIM_400000_NS6detail17trampoline_kernelINS0_14default_configENS1_36segmented_radix_sort_config_selectorIdlEEZNS1_25segmented_radix_sort_implIS3_Lb0EPKdPdPKlPlN2at6native12_GLOBAL__N_18offset_tEEE10hipError_tPvRmT1_PNSt15iterator_traitsISK_E10value_typeET2_T3_PNSL_ISQ_E10value_typeET4_jRbjT5_SW_jjP12ihipStream_tbEUlT_E2_NS1_11comp_targetILNS1_3genE0ELNS1_11target_archE4294967295ELNS1_3gpuE0ELNS1_3repE0EEENS1_30default_config_static_selectorELNS0_4arch9wavefront6targetE1EEEvSK_.uses_flat_scratch, 0
	.set _ZN7rocprim17ROCPRIM_400000_NS6detail17trampoline_kernelINS0_14default_configENS1_36segmented_radix_sort_config_selectorIdlEEZNS1_25segmented_radix_sort_implIS3_Lb0EPKdPdPKlPlN2at6native12_GLOBAL__N_18offset_tEEE10hipError_tPvRmT1_PNSt15iterator_traitsISK_E10value_typeET2_T3_PNSL_ISQ_E10value_typeET4_jRbjT5_SW_jjP12ihipStream_tbEUlT_E2_NS1_11comp_targetILNS1_3genE0ELNS1_11target_archE4294967295ELNS1_3gpuE0ELNS1_3repE0EEENS1_30default_config_static_selectorELNS0_4arch9wavefront6targetE1EEEvSK_.has_dyn_sized_stack, 0
	.set _ZN7rocprim17ROCPRIM_400000_NS6detail17trampoline_kernelINS0_14default_configENS1_36segmented_radix_sort_config_selectorIdlEEZNS1_25segmented_radix_sort_implIS3_Lb0EPKdPdPKlPlN2at6native12_GLOBAL__N_18offset_tEEE10hipError_tPvRmT1_PNSt15iterator_traitsISK_E10value_typeET2_T3_PNSL_ISQ_E10value_typeET4_jRbjT5_SW_jjP12ihipStream_tbEUlT_E2_NS1_11comp_targetILNS1_3genE0ELNS1_11target_archE4294967295ELNS1_3gpuE0ELNS1_3repE0EEENS1_30default_config_static_selectorELNS0_4arch9wavefront6targetE1EEEvSK_.has_recursion, 0
	.set _ZN7rocprim17ROCPRIM_400000_NS6detail17trampoline_kernelINS0_14default_configENS1_36segmented_radix_sort_config_selectorIdlEEZNS1_25segmented_radix_sort_implIS3_Lb0EPKdPdPKlPlN2at6native12_GLOBAL__N_18offset_tEEE10hipError_tPvRmT1_PNSt15iterator_traitsISK_E10value_typeET2_T3_PNSL_ISQ_E10value_typeET4_jRbjT5_SW_jjP12ihipStream_tbEUlT_E2_NS1_11comp_targetILNS1_3genE0ELNS1_11target_archE4294967295ELNS1_3gpuE0ELNS1_3repE0EEENS1_30default_config_static_selectorELNS0_4arch9wavefront6targetE1EEEvSK_.has_indirect_call, 0
	.section	.AMDGPU.csdata,"",@progbits
; Kernel info:
; codeLenInByte = 0
; TotalNumSgprs: 4
; NumVgprs: 0
; ScratchSize: 0
; MemoryBound: 0
; FloatMode: 240
; IeeeMode: 1
; LDSByteSize: 0 bytes/workgroup (compile time only)
; SGPRBlocks: 0
; VGPRBlocks: 0
; NumSGPRsForWavesPerEU: 4
; NumVGPRsForWavesPerEU: 1
; Occupancy: 10
; WaveLimiterHint : 0
; COMPUTE_PGM_RSRC2:SCRATCH_EN: 0
; COMPUTE_PGM_RSRC2:USER_SGPR: 6
; COMPUTE_PGM_RSRC2:TRAP_HANDLER: 0
; COMPUTE_PGM_RSRC2:TGID_X_EN: 1
; COMPUTE_PGM_RSRC2:TGID_Y_EN: 0
; COMPUTE_PGM_RSRC2:TGID_Z_EN: 0
; COMPUTE_PGM_RSRC2:TIDIG_COMP_CNT: 0
	.section	.text._ZN7rocprim17ROCPRIM_400000_NS6detail17trampoline_kernelINS0_14default_configENS1_36segmented_radix_sort_config_selectorIdlEEZNS1_25segmented_radix_sort_implIS3_Lb0EPKdPdPKlPlN2at6native12_GLOBAL__N_18offset_tEEE10hipError_tPvRmT1_PNSt15iterator_traitsISK_E10value_typeET2_T3_PNSL_ISQ_E10value_typeET4_jRbjT5_SW_jjP12ihipStream_tbEUlT_E2_NS1_11comp_targetILNS1_3genE5ELNS1_11target_archE942ELNS1_3gpuE9ELNS1_3repE0EEENS1_30default_config_static_selectorELNS0_4arch9wavefront6targetE1EEEvSK_,"axG",@progbits,_ZN7rocprim17ROCPRIM_400000_NS6detail17trampoline_kernelINS0_14default_configENS1_36segmented_radix_sort_config_selectorIdlEEZNS1_25segmented_radix_sort_implIS3_Lb0EPKdPdPKlPlN2at6native12_GLOBAL__N_18offset_tEEE10hipError_tPvRmT1_PNSt15iterator_traitsISK_E10value_typeET2_T3_PNSL_ISQ_E10value_typeET4_jRbjT5_SW_jjP12ihipStream_tbEUlT_E2_NS1_11comp_targetILNS1_3genE5ELNS1_11target_archE942ELNS1_3gpuE9ELNS1_3repE0EEENS1_30default_config_static_selectorELNS0_4arch9wavefront6targetE1EEEvSK_,comdat
	.globl	_ZN7rocprim17ROCPRIM_400000_NS6detail17trampoline_kernelINS0_14default_configENS1_36segmented_radix_sort_config_selectorIdlEEZNS1_25segmented_radix_sort_implIS3_Lb0EPKdPdPKlPlN2at6native12_GLOBAL__N_18offset_tEEE10hipError_tPvRmT1_PNSt15iterator_traitsISK_E10value_typeET2_T3_PNSL_ISQ_E10value_typeET4_jRbjT5_SW_jjP12ihipStream_tbEUlT_E2_NS1_11comp_targetILNS1_3genE5ELNS1_11target_archE942ELNS1_3gpuE9ELNS1_3repE0EEENS1_30default_config_static_selectorELNS0_4arch9wavefront6targetE1EEEvSK_ ; -- Begin function _ZN7rocprim17ROCPRIM_400000_NS6detail17trampoline_kernelINS0_14default_configENS1_36segmented_radix_sort_config_selectorIdlEEZNS1_25segmented_radix_sort_implIS3_Lb0EPKdPdPKlPlN2at6native12_GLOBAL__N_18offset_tEEE10hipError_tPvRmT1_PNSt15iterator_traitsISK_E10value_typeET2_T3_PNSL_ISQ_E10value_typeET4_jRbjT5_SW_jjP12ihipStream_tbEUlT_E2_NS1_11comp_targetILNS1_3genE5ELNS1_11target_archE942ELNS1_3gpuE9ELNS1_3repE0EEENS1_30default_config_static_selectorELNS0_4arch9wavefront6targetE1EEEvSK_
	.p2align	8
	.type	_ZN7rocprim17ROCPRIM_400000_NS6detail17trampoline_kernelINS0_14default_configENS1_36segmented_radix_sort_config_selectorIdlEEZNS1_25segmented_radix_sort_implIS3_Lb0EPKdPdPKlPlN2at6native12_GLOBAL__N_18offset_tEEE10hipError_tPvRmT1_PNSt15iterator_traitsISK_E10value_typeET2_T3_PNSL_ISQ_E10value_typeET4_jRbjT5_SW_jjP12ihipStream_tbEUlT_E2_NS1_11comp_targetILNS1_3genE5ELNS1_11target_archE942ELNS1_3gpuE9ELNS1_3repE0EEENS1_30default_config_static_selectorELNS0_4arch9wavefront6targetE1EEEvSK_,@function
_ZN7rocprim17ROCPRIM_400000_NS6detail17trampoline_kernelINS0_14default_configENS1_36segmented_radix_sort_config_selectorIdlEEZNS1_25segmented_radix_sort_implIS3_Lb0EPKdPdPKlPlN2at6native12_GLOBAL__N_18offset_tEEE10hipError_tPvRmT1_PNSt15iterator_traitsISK_E10value_typeET2_T3_PNSL_ISQ_E10value_typeET4_jRbjT5_SW_jjP12ihipStream_tbEUlT_E2_NS1_11comp_targetILNS1_3genE5ELNS1_11target_archE942ELNS1_3gpuE9ELNS1_3repE0EEENS1_30default_config_static_selectorELNS0_4arch9wavefront6targetE1EEEvSK_: ; @_ZN7rocprim17ROCPRIM_400000_NS6detail17trampoline_kernelINS0_14default_configENS1_36segmented_radix_sort_config_selectorIdlEEZNS1_25segmented_radix_sort_implIS3_Lb0EPKdPdPKlPlN2at6native12_GLOBAL__N_18offset_tEEE10hipError_tPvRmT1_PNSt15iterator_traitsISK_E10value_typeET2_T3_PNSL_ISQ_E10value_typeET4_jRbjT5_SW_jjP12ihipStream_tbEUlT_E2_NS1_11comp_targetILNS1_3genE5ELNS1_11target_archE942ELNS1_3gpuE9ELNS1_3repE0EEENS1_30default_config_static_selectorELNS0_4arch9wavefront6targetE1EEEvSK_
; %bb.0:
	.section	.rodata,"a",@progbits
	.p2align	6, 0x0
	.amdhsa_kernel _ZN7rocprim17ROCPRIM_400000_NS6detail17trampoline_kernelINS0_14default_configENS1_36segmented_radix_sort_config_selectorIdlEEZNS1_25segmented_radix_sort_implIS3_Lb0EPKdPdPKlPlN2at6native12_GLOBAL__N_18offset_tEEE10hipError_tPvRmT1_PNSt15iterator_traitsISK_E10value_typeET2_T3_PNSL_ISQ_E10value_typeET4_jRbjT5_SW_jjP12ihipStream_tbEUlT_E2_NS1_11comp_targetILNS1_3genE5ELNS1_11target_archE942ELNS1_3gpuE9ELNS1_3repE0EEENS1_30default_config_static_selectorELNS0_4arch9wavefront6targetE1EEEvSK_
		.amdhsa_group_segment_fixed_size 0
		.amdhsa_private_segment_fixed_size 0
		.amdhsa_kernarg_size 80
		.amdhsa_user_sgpr_count 6
		.amdhsa_user_sgpr_private_segment_buffer 1
		.amdhsa_user_sgpr_dispatch_ptr 0
		.amdhsa_user_sgpr_queue_ptr 0
		.amdhsa_user_sgpr_kernarg_segment_ptr 1
		.amdhsa_user_sgpr_dispatch_id 0
		.amdhsa_user_sgpr_flat_scratch_init 0
		.amdhsa_user_sgpr_private_segment_size 0
		.amdhsa_uses_dynamic_stack 0
		.amdhsa_system_sgpr_private_segment_wavefront_offset 0
		.amdhsa_system_sgpr_workgroup_id_x 1
		.amdhsa_system_sgpr_workgroup_id_y 0
		.amdhsa_system_sgpr_workgroup_id_z 0
		.amdhsa_system_sgpr_workgroup_info 0
		.amdhsa_system_vgpr_workitem_id 0
		.amdhsa_next_free_vgpr 1
		.amdhsa_next_free_sgpr 0
		.amdhsa_reserve_vcc 0
		.amdhsa_reserve_flat_scratch 0
		.amdhsa_float_round_mode_32 0
		.amdhsa_float_round_mode_16_64 0
		.amdhsa_float_denorm_mode_32 3
		.amdhsa_float_denorm_mode_16_64 3
		.amdhsa_dx10_clamp 1
		.amdhsa_ieee_mode 1
		.amdhsa_fp16_overflow 0
		.amdhsa_exception_fp_ieee_invalid_op 0
		.amdhsa_exception_fp_denorm_src 0
		.amdhsa_exception_fp_ieee_div_zero 0
		.amdhsa_exception_fp_ieee_overflow 0
		.amdhsa_exception_fp_ieee_underflow 0
		.amdhsa_exception_fp_ieee_inexact 0
		.amdhsa_exception_int_div_zero 0
	.end_amdhsa_kernel
	.section	.text._ZN7rocprim17ROCPRIM_400000_NS6detail17trampoline_kernelINS0_14default_configENS1_36segmented_radix_sort_config_selectorIdlEEZNS1_25segmented_radix_sort_implIS3_Lb0EPKdPdPKlPlN2at6native12_GLOBAL__N_18offset_tEEE10hipError_tPvRmT1_PNSt15iterator_traitsISK_E10value_typeET2_T3_PNSL_ISQ_E10value_typeET4_jRbjT5_SW_jjP12ihipStream_tbEUlT_E2_NS1_11comp_targetILNS1_3genE5ELNS1_11target_archE942ELNS1_3gpuE9ELNS1_3repE0EEENS1_30default_config_static_selectorELNS0_4arch9wavefront6targetE1EEEvSK_,"axG",@progbits,_ZN7rocprim17ROCPRIM_400000_NS6detail17trampoline_kernelINS0_14default_configENS1_36segmented_radix_sort_config_selectorIdlEEZNS1_25segmented_radix_sort_implIS3_Lb0EPKdPdPKlPlN2at6native12_GLOBAL__N_18offset_tEEE10hipError_tPvRmT1_PNSt15iterator_traitsISK_E10value_typeET2_T3_PNSL_ISQ_E10value_typeET4_jRbjT5_SW_jjP12ihipStream_tbEUlT_E2_NS1_11comp_targetILNS1_3genE5ELNS1_11target_archE942ELNS1_3gpuE9ELNS1_3repE0EEENS1_30default_config_static_selectorELNS0_4arch9wavefront6targetE1EEEvSK_,comdat
.Lfunc_end1252:
	.size	_ZN7rocprim17ROCPRIM_400000_NS6detail17trampoline_kernelINS0_14default_configENS1_36segmented_radix_sort_config_selectorIdlEEZNS1_25segmented_radix_sort_implIS3_Lb0EPKdPdPKlPlN2at6native12_GLOBAL__N_18offset_tEEE10hipError_tPvRmT1_PNSt15iterator_traitsISK_E10value_typeET2_T3_PNSL_ISQ_E10value_typeET4_jRbjT5_SW_jjP12ihipStream_tbEUlT_E2_NS1_11comp_targetILNS1_3genE5ELNS1_11target_archE942ELNS1_3gpuE9ELNS1_3repE0EEENS1_30default_config_static_selectorELNS0_4arch9wavefront6targetE1EEEvSK_, .Lfunc_end1252-_ZN7rocprim17ROCPRIM_400000_NS6detail17trampoline_kernelINS0_14default_configENS1_36segmented_radix_sort_config_selectorIdlEEZNS1_25segmented_radix_sort_implIS3_Lb0EPKdPdPKlPlN2at6native12_GLOBAL__N_18offset_tEEE10hipError_tPvRmT1_PNSt15iterator_traitsISK_E10value_typeET2_T3_PNSL_ISQ_E10value_typeET4_jRbjT5_SW_jjP12ihipStream_tbEUlT_E2_NS1_11comp_targetILNS1_3genE5ELNS1_11target_archE942ELNS1_3gpuE9ELNS1_3repE0EEENS1_30default_config_static_selectorELNS0_4arch9wavefront6targetE1EEEvSK_
                                        ; -- End function
	.set _ZN7rocprim17ROCPRIM_400000_NS6detail17trampoline_kernelINS0_14default_configENS1_36segmented_radix_sort_config_selectorIdlEEZNS1_25segmented_radix_sort_implIS3_Lb0EPKdPdPKlPlN2at6native12_GLOBAL__N_18offset_tEEE10hipError_tPvRmT1_PNSt15iterator_traitsISK_E10value_typeET2_T3_PNSL_ISQ_E10value_typeET4_jRbjT5_SW_jjP12ihipStream_tbEUlT_E2_NS1_11comp_targetILNS1_3genE5ELNS1_11target_archE942ELNS1_3gpuE9ELNS1_3repE0EEENS1_30default_config_static_selectorELNS0_4arch9wavefront6targetE1EEEvSK_.num_vgpr, 0
	.set _ZN7rocprim17ROCPRIM_400000_NS6detail17trampoline_kernelINS0_14default_configENS1_36segmented_radix_sort_config_selectorIdlEEZNS1_25segmented_radix_sort_implIS3_Lb0EPKdPdPKlPlN2at6native12_GLOBAL__N_18offset_tEEE10hipError_tPvRmT1_PNSt15iterator_traitsISK_E10value_typeET2_T3_PNSL_ISQ_E10value_typeET4_jRbjT5_SW_jjP12ihipStream_tbEUlT_E2_NS1_11comp_targetILNS1_3genE5ELNS1_11target_archE942ELNS1_3gpuE9ELNS1_3repE0EEENS1_30default_config_static_selectorELNS0_4arch9wavefront6targetE1EEEvSK_.num_agpr, 0
	.set _ZN7rocprim17ROCPRIM_400000_NS6detail17trampoline_kernelINS0_14default_configENS1_36segmented_radix_sort_config_selectorIdlEEZNS1_25segmented_radix_sort_implIS3_Lb0EPKdPdPKlPlN2at6native12_GLOBAL__N_18offset_tEEE10hipError_tPvRmT1_PNSt15iterator_traitsISK_E10value_typeET2_T3_PNSL_ISQ_E10value_typeET4_jRbjT5_SW_jjP12ihipStream_tbEUlT_E2_NS1_11comp_targetILNS1_3genE5ELNS1_11target_archE942ELNS1_3gpuE9ELNS1_3repE0EEENS1_30default_config_static_selectorELNS0_4arch9wavefront6targetE1EEEvSK_.numbered_sgpr, 0
	.set _ZN7rocprim17ROCPRIM_400000_NS6detail17trampoline_kernelINS0_14default_configENS1_36segmented_radix_sort_config_selectorIdlEEZNS1_25segmented_radix_sort_implIS3_Lb0EPKdPdPKlPlN2at6native12_GLOBAL__N_18offset_tEEE10hipError_tPvRmT1_PNSt15iterator_traitsISK_E10value_typeET2_T3_PNSL_ISQ_E10value_typeET4_jRbjT5_SW_jjP12ihipStream_tbEUlT_E2_NS1_11comp_targetILNS1_3genE5ELNS1_11target_archE942ELNS1_3gpuE9ELNS1_3repE0EEENS1_30default_config_static_selectorELNS0_4arch9wavefront6targetE1EEEvSK_.num_named_barrier, 0
	.set _ZN7rocprim17ROCPRIM_400000_NS6detail17trampoline_kernelINS0_14default_configENS1_36segmented_radix_sort_config_selectorIdlEEZNS1_25segmented_radix_sort_implIS3_Lb0EPKdPdPKlPlN2at6native12_GLOBAL__N_18offset_tEEE10hipError_tPvRmT1_PNSt15iterator_traitsISK_E10value_typeET2_T3_PNSL_ISQ_E10value_typeET4_jRbjT5_SW_jjP12ihipStream_tbEUlT_E2_NS1_11comp_targetILNS1_3genE5ELNS1_11target_archE942ELNS1_3gpuE9ELNS1_3repE0EEENS1_30default_config_static_selectorELNS0_4arch9wavefront6targetE1EEEvSK_.private_seg_size, 0
	.set _ZN7rocprim17ROCPRIM_400000_NS6detail17trampoline_kernelINS0_14default_configENS1_36segmented_radix_sort_config_selectorIdlEEZNS1_25segmented_radix_sort_implIS3_Lb0EPKdPdPKlPlN2at6native12_GLOBAL__N_18offset_tEEE10hipError_tPvRmT1_PNSt15iterator_traitsISK_E10value_typeET2_T3_PNSL_ISQ_E10value_typeET4_jRbjT5_SW_jjP12ihipStream_tbEUlT_E2_NS1_11comp_targetILNS1_3genE5ELNS1_11target_archE942ELNS1_3gpuE9ELNS1_3repE0EEENS1_30default_config_static_selectorELNS0_4arch9wavefront6targetE1EEEvSK_.uses_vcc, 0
	.set _ZN7rocprim17ROCPRIM_400000_NS6detail17trampoline_kernelINS0_14default_configENS1_36segmented_radix_sort_config_selectorIdlEEZNS1_25segmented_radix_sort_implIS3_Lb0EPKdPdPKlPlN2at6native12_GLOBAL__N_18offset_tEEE10hipError_tPvRmT1_PNSt15iterator_traitsISK_E10value_typeET2_T3_PNSL_ISQ_E10value_typeET4_jRbjT5_SW_jjP12ihipStream_tbEUlT_E2_NS1_11comp_targetILNS1_3genE5ELNS1_11target_archE942ELNS1_3gpuE9ELNS1_3repE0EEENS1_30default_config_static_selectorELNS0_4arch9wavefront6targetE1EEEvSK_.uses_flat_scratch, 0
	.set _ZN7rocprim17ROCPRIM_400000_NS6detail17trampoline_kernelINS0_14default_configENS1_36segmented_radix_sort_config_selectorIdlEEZNS1_25segmented_radix_sort_implIS3_Lb0EPKdPdPKlPlN2at6native12_GLOBAL__N_18offset_tEEE10hipError_tPvRmT1_PNSt15iterator_traitsISK_E10value_typeET2_T3_PNSL_ISQ_E10value_typeET4_jRbjT5_SW_jjP12ihipStream_tbEUlT_E2_NS1_11comp_targetILNS1_3genE5ELNS1_11target_archE942ELNS1_3gpuE9ELNS1_3repE0EEENS1_30default_config_static_selectorELNS0_4arch9wavefront6targetE1EEEvSK_.has_dyn_sized_stack, 0
	.set _ZN7rocprim17ROCPRIM_400000_NS6detail17trampoline_kernelINS0_14default_configENS1_36segmented_radix_sort_config_selectorIdlEEZNS1_25segmented_radix_sort_implIS3_Lb0EPKdPdPKlPlN2at6native12_GLOBAL__N_18offset_tEEE10hipError_tPvRmT1_PNSt15iterator_traitsISK_E10value_typeET2_T3_PNSL_ISQ_E10value_typeET4_jRbjT5_SW_jjP12ihipStream_tbEUlT_E2_NS1_11comp_targetILNS1_3genE5ELNS1_11target_archE942ELNS1_3gpuE9ELNS1_3repE0EEENS1_30default_config_static_selectorELNS0_4arch9wavefront6targetE1EEEvSK_.has_recursion, 0
	.set _ZN7rocprim17ROCPRIM_400000_NS6detail17trampoline_kernelINS0_14default_configENS1_36segmented_radix_sort_config_selectorIdlEEZNS1_25segmented_radix_sort_implIS3_Lb0EPKdPdPKlPlN2at6native12_GLOBAL__N_18offset_tEEE10hipError_tPvRmT1_PNSt15iterator_traitsISK_E10value_typeET2_T3_PNSL_ISQ_E10value_typeET4_jRbjT5_SW_jjP12ihipStream_tbEUlT_E2_NS1_11comp_targetILNS1_3genE5ELNS1_11target_archE942ELNS1_3gpuE9ELNS1_3repE0EEENS1_30default_config_static_selectorELNS0_4arch9wavefront6targetE1EEEvSK_.has_indirect_call, 0
	.section	.AMDGPU.csdata,"",@progbits
; Kernel info:
; codeLenInByte = 0
; TotalNumSgprs: 4
; NumVgprs: 0
; ScratchSize: 0
; MemoryBound: 0
; FloatMode: 240
; IeeeMode: 1
; LDSByteSize: 0 bytes/workgroup (compile time only)
; SGPRBlocks: 0
; VGPRBlocks: 0
; NumSGPRsForWavesPerEU: 4
; NumVGPRsForWavesPerEU: 1
; Occupancy: 10
; WaveLimiterHint : 0
; COMPUTE_PGM_RSRC2:SCRATCH_EN: 0
; COMPUTE_PGM_RSRC2:USER_SGPR: 6
; COMPUTE_PGM_RSRC2:TRAP_HANDLER: 0
; COMPUTE_PGM_RSRC2:TGID_X_EN: 1
; COMPUTE_PGM_RSRC2:TGID_Y_EN: 0
; COMPUTE_PGM_RSRC2:TGID_Z_EN: 0
; COMPUTE_PGM_RSRC2:TIDIG_COMP_CNT: 0
	.section	.text._ZN7rocprim17ROCPRIM_400000_NS6detail17trampoline_kernelINS0_14default_configENS1_36segmented_radix_sort_config_selectorIdlEEZNS1_25segmented_radix_sort_implIS3_Lb0EPKdPdPKlPlN2at6native12_GLOBAL__N_18offset_tEEE10hipError_tPvRmT1_PNSt15iterator_traitsISK_E10value_typeET2_T3_PNSL_ISQ_E10value_typeET4_jRbjT5_SW_jjP12ihipStream_tbEUlT_E2_NS1_11comp_targetILNS1_3genE4ELNS1_11target_archE910ELNS1_3gpuE8ELNS1_3repE0EEENS1_30default_config_static_selectorELNS0_4arch9wavefront6targetE1EEEvSK_,"axG",@progbits,_ZN7rocprim17ROCPRIM_400000_NS6detail17trampoline_kernelINS0_14default_configENS1_36segmented_radix_sort_config_selectorIdlEEZNS1_25segmented_radix_sort_implIS3_Lb0EPKdPdPKlPlN2at6native12_GLOBAL__N_18offset_tEEE10hipError_tPvRmT1_PNSt15iterator_traitsISK_E10value_typeET2_T3_PNSL_ISQ_E10value_typeET4_jRbjT5_SW_jjP12ihipStream_tbEUlT_E2_NS1_11comp_targetILNS1_3genE4ELNS1_11target_archE910ELNS1_3gpuE8ELNS1_3repE0EEENS1_30default_config_static_selectorELNS0_4arch9wavefront6targetE1EEEvSK_,comdat
	.globl	_ZN7rocprim17ROCPRIM_400000_NS6detail17trampoline_kernelINS0_14default_configENS1_36segmented_radix_sort_config_selectorIdlEEZNS1_25segmented_radix_sort_implIS3_Lb0EPKdPdPKlPlN2at6native12_GLOBAL__N_18offset_tEEE10hipError_tPvRmT1_PNSt15iterator_traitsISK_E10value_typeET2_T3_PNSL_ISQ_E10value_typeET4_jRbjT5_SW_jjP12ihipStream_tbEUlT_E2_NS1_11comp_targetILNS1_3genE4ELNS1_11target_archE910ELNS1_3gpuE8ELNS1_3repE0EEENS1_30default_config_static_selectorELNS0_4arch9wavefront6targetE1EEEvSK_ ; -- Begin function _ZN7rocprim17ROCPRIM_400000_NS6detail17trampoline_kernelINS0_14default_configENS1_36segmented_radix_sort_config_selectorIdlEEZNS1_25segmented_radix_sort_implIS3_Lb0EPKdPdPKlPlN2at6native12_GLOBAL__N_18offset_tEEE10hipError_tPvRmT1_PNSt15iterator_traitsISK_E10value_typeET2_T3_PNSL_ISQ_E10value_typeET4_jRbjT5_SW_jjP12ihipStream_tbEUlT_E2_NS1_11comp_targetILNS1_3genE4ELNS1_11target_archE910ELNS1_3gpuE8ELNS1_3repE0EEENS1_30default_config_static_selectorELNS0_4arch9wavefront6targetE1EEEvSK_
	.p2align	8
	.type	_ZN7rocprim17ROCPRIM_400000_NS6detail17trampoline_kernelINS0_14default_configENS1_36segmented_radix_sort_config_selectorIdlEEZNS1_25segmented_radix_sort_implIS3_Lb0EPKdPdPKlPlN2at6native12_GLOBAL__N_18offset_tEEE10hipError_tPvRmT1_PNSt15iterator_traitsISK_E10value_typeET2_T3_PNSL_ISQ_E10value_typeET4_jRbjT5_SW_jjP12ihipStream_tbEUlT_E2_NS1_11comp_targetILNS1_3genE4ELNS1_11target_archE910ELNS1_3gpuE8ELNS1_3repE0EEENS1_30default_config_static_selectorELNS0_4arch9wavefront6targetE1EEEvSK_,@function
_ZN7rocprim17ROCPRIM_400000_NS6detail17trampoline_kernelINS0_14default_configENS1_36segmented_radix_sort_config_selectorIdlEEZNS1_25segmented_radix_sort_implIS3_Lb0EPKdPdPKlPlN2at6native12_GLOBAL__N_18offset_tEEE10hipError_tPvRmT1_PNSt15iterator_traitsISK_E10value_typeET2_T3_PNSL_ISQ_E10value_typeET4_jRbjT5_SW_jjP12ihipStream_tbEUlT_E2_NS1_11comp_targetILNS1_3genE4ELNS1_11target_archE910ELNS1_3gpuE8ELNS1_3repE0EEENS1_30default_config_static_selectorELNS0_4arch9wavefront6targetE1EEEvSK_: ; @_ZN7rocprim17ROCPRIM_400000_NS6detail17trampoline_kernelINS0_14default_configENS1_36segmented_radix_sort_config_selectorIdlEEZNS1_25segmented_radix_sort_implIS3_Lb0EPKdPdPKlPlN2at6native12_GLOBAL__N_18offset_tEEE10hipError_tPvRmT1_PNSt15iterator_traitsISK_E10value_typeET2_T3_PNSL_ISQ_E10value_typeET4_jRbjT5_SW_jjP12ihipStream_tbEUlT_E2_NS1_11comp_targetILNS1_3genE4ELNS1_11target_archE910ELNS1_3gpuE8ELNS1_3repE0EEENS1_30default_config_static_selectorELNS0_4arch9wavefront6targetE1EEEvSK_
; %bb.0:
	.section	.rodata,"a",@progbits
	.p2align	6, 0x0
	.amdhsa_kernel _ZN7rocprim17ROCPRIM_400000_NS6detail17trampoline_kernelINS0_14default_configENS1_36segmented_radix_sort_config_selectorIdlEEZNS1_25segmented_radix_sort_implIS3_Lb0EPKdPdPKlPlN2at6native12_GLOBAL__N_18offset_tEEE10hipError_tPvRmT1_PNSt15iterator_traitsISK_E10value_typeET2_T3_PNSL_ISQ_E10value_typeET4_jRbjT5_SW_jjP12ihipStream_tbEUlT_E2_NS1_11comp_targetILNS1_3genE4ELNS1_11target_archE910ELNS1_3gpuE8ELNS1_3repE0EEENS1_30default_config_static_selectorELNS0_4arch9wavefront6targetE1EEEvSK_
		.amdhsa_group_segment_fixed_size 0
		.amdhsa_private_segment_fixed_size 0
		.amdhsa_kernarg_size 80
		.amdhsa_user_sgpr_count 6
		.amdhsa_user_sgpr_private_segment_buffer 1
		.amdhsa_user_sgpr_dispatch_ptr 0
		.amdhsa_user_sgpr_queue_ptr 0
		.amdhsa_user_sgpr_kernarg_segment_ptr 1
		.amdhsa_user_sgpr_dispatch_id 0
		.amdhsa_user_sgpr_flat_scratch_init 0
		.amdhsa_user_sgpr_private_segment_size 0
		.amdhsa_uses_dynamic_stack 0
		.amdhsa_system_sgpr_private_segment_wavefront_offset 0
		.amdhsa_system_sgpr_workgroup_id_x 1
		.amdhsa_system_sgpr_workgroup_id_y 0
		.amdhsa_system_sgpr_workgroup_id_z 0
		.amdhsa_system_sgpr_workgroup_info 0
		.amdhsa_system_vgpr_workitem_id 0
		.amdhsa_next_free_vgpr 1
		.amdhsa_next_free_sgpr 0
		.amdhsa_reserve_vcc 0
		.amdhsa_reserve_flat_scratch 0
		.amdhsa_float_round_mode_32 0
		.amdhsa_float_round_mode_16_64 0
		.amdhsa_float_denorm_mode_32 3
		.amdhsa_float_denorm_mode_16_64 3
		.amdhsa_dx10_clamp 1
		.amdhsa_ieee_mode 1
		.amdhsa_fp16_overflow 0
		.amdhsa_exception_fp_ieee_invalid_op 0
		.amdhsa_exception_fp_denorm_src 0
		.amdhsa_exception_fp_ieee_div_zero 0
		.amdhsa_exception_fp_ieee_overflow 0
		.amdhsa_exception_fp_ieee_underflow 0
		.amdhsa_exception_fp_ieee_inexact 0
		.amdhsa_exception_int_div_zero 0
	.end_amdhsa_kernel
	.section	.text._ZN7rocprim17ROCPRIM_400000_NS6detail17trampoline_kernelINS0_14default_configENS1_36segmented_radix_sort_config_selectorIdlEEZNS1_25segmented_radix_sort_implIS3_Lb0EPKdPdPKlPlN2at6native12_GLOBAL__N_18offset_tEEE10hipError_tPvRmT1_PNSt15iterator_traitsISK_E10value_typeET2_T3_PNSL_ISQ_E10value_typeET4_jRbjT5_SW_jjP12ihipStream_tbEUlT_E2_NS1_11comp_targetILNS1_3genE4ELNS1_11target_archE910ELNS1_3gpuE8ELNS1_3repE0EEENS1_30default_config_static_selectorELNS0_4arch9wavefront6targetE1EEEvSK_,"axG",@progbits,_ZN7rocprim17ROCPRIM_400000_NS6detail17trampoline_kernelINS0_14default_configENS1_36segmented_radix_sort_config_selectorIdlEEZNS1_25segmented_radix_sort_implIS3_Lb0EPKdPdPKlPlN2at6native12_GLOBAL__N_18offset_tEEE10hipError_tPvRmT1_PNSt15iterator_traitsISK_E10value_typeET2_T3_PNSL_ISQ_E10value_typeET4_jRbjT5_SW_jjP12ihipStream_tbEUlT_E2_NS1_11comp_targetILNS1_3genE4ELNS1_11target_archE910ELNS1_3gpuE8ELNS1_3repE0EEENS1_30default_config_static_selectorELNS0_4arch9wavefront6targetE1EEEvSK_,comdat
.Lfunc_end1253:
	.size	_ZN7rocprim17ROCPRIM_400000_NS6detail17trampoline_kernelINS0_14default_configENS1_36segmented_radix_sort_config_selectorIdlEEZNS1_25segmented_radix_sort_implIS3_Lb0EPKdPdPKlPlN2at6native12_GLOBAL__N_18offset_tEEE10hipError_tPvRmT1_PNSt15iterator_traitsISK_E10value_typeET2_T3_PNSL_ISQ_E10value_typeET4_jRbjT5_SW_jjP12ihipStream_tbEUlT_E2_NS1_11comp_targetILNS1_3genE4ELNS1_11target_archE910ELNS1_3gpuE8ELNS1_3repE0EEENS1_30default_config_static_selectorELNS0_4arch9wavefront6targetE1EEEvSK_, .Lfunc_end1253-_ZN7rocprim17ROCPRIM_400000_NS6detail17trampoline_kernelINS0_14default_configENS1_36segmented_radix_sort_config_selectorIdlEEZNS1_25segmented_radix_sort_implIS3_Lb0EPKdPdPKlPlN2at6native12_GLOBAL__N_18offset_tEEE10hipError_tPvRmT1_PNSt15iterator_traitsISK_E10value_typeET2_T3_PNSL_ISQ_E10value_typeET4_jRbjT5_SW_jjP12ihipStream_tbEUlT_E2_NS1_11comp_targetILNS1_3genE4ELNS1_11target_archE910ELNS1_3gpuE8ELNS1_3repE0EEENS1_30default_config_static_selectorELNS0_4arch9wavefront6targetE1EEEvSK_
                                        ; -- End function
	.set _ZN7rocprim17ROCPRIM_400000_NS6detail17trampoline_kernelINS0_14default_configENS1_36segmented_radix_sort_config_selectorIdlEEZNS1_25segmented_radix_sort_implIS3_Lb0EPKdPdPKlPlN2at6native12_GLOBAL__N_18offset_tEEE10hipError_tPvRmT1_PNSt15iterator_traitsISK_E10value_typeET2_T3_PNSL_ISQ_E10value_typeET4_jRbjT5_SW_jjP12ihipStream_tbEUlT_E2_NS1_11comp_targetILNS1_3genE4ELNS1_11target_archE910ELNS1_3gpuE8ELNS1_3repE0EEENS1_30default_config_static_selectorELNS0_4arch9wavefront6targetE1EEEvSK_.num_vgpr, 0
	.set _ZN7rocprim17ROCPRIM_400000_NS6detail17trampoline_kernelINS0_14default_configENS1_36segmented_radix_sort_config_selectorIdlEEZNS1_25segmented_radix_sort_implIS3_Lb0EPKdPdPKlPlN2at6native12_GLOBAL__N_18offset_tEEE10hipError_tPvRmT1_PNSt15iterator_traitsISK_E10value_typeET2_T3_PNSL_ISQ_E10value_typeET4_jRbjT5_SW_jjP12ihipStream_tbEUlT_E2_NS1_11comp_targetILNS1_3genE4ELNS1_11target_archE910ELNS1_3gpuE8ELNS1_3repE0EEENS1_30default_config_static_selectorELNS0_4arch9wavefront6targetE1EEEvSK_.num_agpr, 0
	.set _ZN7rocprim17ROCPRIM_400000_NS6detail17trampoline_kernelINS0_14default_configENS1_36segmented_radix_sort_config_selectorIdlEEZNS1_25segmented_radix_sort_implIS3_Lb0EPKdPdPKlPlN2at6native12_GLOBAL__N_18offset_tEEE10hipError_tPvRmT1_PNSt15iterator_traitsISK_E10value_typeET2_T3_PNSL_ISQ_E10value_typeET4_jRbjT5_SW_jjP12ihipStream_tbEUlT_E2_NS1_11comp_targetILNS1_3genE4ELNS1_11target_archE910ELNS1_3gpuE8ELNS1_3repE0EEENS1_30default_config_static_selectorELNS0_4arch9wavefront6targetE1EEEvSK_.numbered_sgpr, 0
	.set _ZN7rocprim17ROCPRIM_400000_NS6detail17trampoline_kernelINS0_14default_configENS1_36segmented_radix_sort_config_selectorIdlEEZNS1_25segmented_radix_sort_implIS3_Lb0EPKdPdPKlPlN2at6native12_GLOBAL__N_18offset_tEEE10hipError_tPvRmT1_PNSt15iterator_traitsISK_E10value_typeET2_T3_PNSL_ISQ_E10value_typeET4_jRbjT5_SW_jjP12ihipStream_tbEUlT_E2_NS1_11comp_targetILNS1_3genE4ELNS1_11target_archE910ELNS1_3gpuE8ELNS1_3repE0EEENS1_30default_config_static_selectorELNS0_4arch9wavefront6targetE1EEEvSK_.num_named_barrier, 0
	.set _ZN7rocprim17ROCPRIM_400000_NS6detail17trampoline_kernelINS0_14default_configENS1_36segmented_radix_sort_config_selectorIdlEEZNS1_25segmented_radix_sort_implIS3_Lb0EPKdPdPKlPlN2at6native12_GLOBAL__N_18offset_tEEE10hipError_tPvRmT1_PNSt15iterator_traitsISK_E10value_typeET2_T3_PNSL_ISQ_E10value_typeET4_jRbjT5_SW_jjP12ihipStream_tbEUlT_E2_NS1_11comp_targetILNS1_3genE4ELNS1_11target_archE910ELNS1_3gpuE8ELNS1_3repE0EEENS1_30default_config_static_selectorELNS0_4arch9wavefront6targetE1EEEvSK_.private_seg_size, 0
	.set _ZN7rocprim17ROCPRIM_400000_NS6detail17trampoline_kernelINS0_14default_configENS1_36segmented_radix_sort_config_selectorIdlEEZNS1_25segmented_radix_sort_implIS3_Lb0EPKdPdPKlPlN2at6native12_GLOBAL__N_18offset_tEEE10hipError_tPvRmT1_PNSt15iterator_traitsISK_E10value_typeET2_T3_PNSL_ISQ_E10value_typeET4_jRbjT5_SW_jjP12ihipStream_tbEUlT_E2_NS1_11comp_targetILNS1_3genE4ELNS1_11target_archE910ELNS1_3gpuE8ELNS1_3repE0EEENS1_30default_config_static_selectorELNS0_4arch9wavefront6targetE1EEEvSK_.uses_vcc, 0
	.set _ZN7rocprim17ROCPRIM_400000_NS6detail17trampoline_kernelINS0_14default_configENS1_36segmented_radix_sort_config_selectorIdlEEZNS1_25segmented_radix_sort_implIS3_Lb0EPKdPdPKlPlN2at6native12_GLOBAL__N_18offset_tEEE10hipError_tPvRmT1_PNSt15iterator_traitsISK_E10value_typeET2_T3_PNSL_ISQ_E10value_typeET4_jRbjT5_SW_jjP12ihipStream_tbEUlT_E2_NS1_11comp_targetILNS1_3genE4ELNS1_11target_archE910ELNS1_3gpuE8ELNS1_3repE0EEENS1_30default_config_static_selectorELNS0_4arch9wavefront6targetE1EEEvSK_.uses_flat_scratch, 0
	.set _ZN7rocprim17ROCPRIM_400000_NS6detail17trampoline_kernelINS0_14default_configENS1_36segmented_radix_sort_config_selectorIdlEEZNS1_25segmented_radix_sort_implIS3_Lb0EPKdPdPKlPlN2at6native12_GLOBAL__N_18offset_tEEE10hipError_tPvRmT1_PNSt15iterator_traitsISK_E10value_typeET2_T3_PNSL_ISQ_E10value_typeET4_jRbjT5_SW_jjP12ihipStream_tbEUlT_E2_NS1_11comp_targetILNS1_3genE4ELNS1_11target_archE910ELNS1_3gpuE8ELNS1_3repE0EEENS1_30default_config_static_selectorELNS0_4arch9wavefront6targetE1EEEvSK_.has_dyn_sized_stack, 0
	.set _ZN7rocprim17ROCPRIM_400000_NS6detail17trampoline_kernelINS0_14default_configENS1_36segmented_radix_sort_config_selectorIdlEEZNS1_25segmented_radix_sort_implIS3_Lb0EPKdPdPKlPlN2at6native12_GLOBAL__N_18offset_tEEE10hipError_tPvRmT1_PNSt15iterator_traitsISK_E10value_typeET2_T3_PNSL_ISQ_E10value_typeET4_jRbjT5_SW_jjP12ihipStream_tbEUlT_E2_NS1_11comp_targetILNS1_3genE4ELNS1_11target_archE910ELNS1_3gpuE8ELNS1_3repE0EEENS1_30default_config_static_selectorELNS0_4arch9wavefront6targetE1EEEvSK_.has_recursion, 0
	.set _ZN7rocprim17ROCPRIM_400000_NS6detail17trampoline_kernelINS0_14default_configENS1_36segmented_radix_sort_config_selectorIdlEEZNS1_25segmented_radix_sort_implIS3_Lb0EPKdPdPKlPlN2at6native12_GLOBAL__N_18offset_tEEE10hipError_tPvRmT1_PNSt15iterator_traitsISK_E10value_typeET2_T3_PNSL_ISQ_E10value_typeET4_jRbjT5_SW_jjP12ihipStream_tbEUlT_E2_NS1_11comp_targetILNS1_3genE4ELNS1_11target_archE910ELNS1_3gpuE8ELNS1_3repE0EEENS1_30default_config_static_selectorELNS0_4arch9wavefront6targetE1EEEvSK_.has_indirect_call, 0
	.section	.AMDGPU.csdata,"",@progbits
; Kernel info:
; codeLenInByte = 0
; TotalNumSgprs: 4
; NumVgprs: 0
; ScratchSize: 0
; MemoryBound: 0
; FloatMode: 240
; IeeeMode: 1
; LDSByteSize: 0 bytes/workgroup (compile time only)
; SGPRBlocks: 0
; VGPRBlocks: 0
; NumSGPRsForWavesPerEU: 4
; NumVGPRsForWavesPerEU: 1
; Occupancy: 10
; WaveLimiterHint : 0
; COMPUTE_PGM_RSRC2:SCRATCH_EN: 0
; COMPUTE_PGM_RSRC2:USER_SGPR: 6
; COMPUTE_PGM_RSRC2:TRAP_HANDLER: 0
; COMPUTE_PGM_RSRC2:TGID_X_EN: 1
; COMPUTE_PGM_RSRC2:TGID_Y_EN: 0
; COMPUTE_PGM_RSRC2:TGID_Z_EN: 0
; COMPUTE_PGM_RSRC2:TIDIG_COMP_CNT: 0
	.section	.text._ZN7rocprim17ROCPRIM_400000_NS6detail17trampoline_kernelINS0_14default_configENS1_36segmented_radix_sort_config_selectorIdlEEZNS1_25segmented_radix_sort_implIS3_Lb0EPKdPdPKlPlN2at6native12_GLOBAL__N_18offset_tEEE10hipError_tPvRmT1_PNSt15iterator_traitsISK_E10value_typeET2_T3_PNSL_ISQ_E10value_typeET4_jRbjT5_SW_jjP12ihipStream_tbEUlT_E2_NS1_11comp_targetILNS1_3genE3ELNS1_11target_archE908ELNS1_3gpuE7ELNS1_3repE0EEENS1_30default_config_static_selectorELNS0_4arch9wavefront6targetE1EEEvSK_,"axG",@progbits,_ZN7rocprim17ROCPRIM_400000_NS6detail17trampoline_kernelINS0_14default_configENS1_36segmented_radix_sort_config_selectorIdlEEZNS1_25segmented_radix_sort_implIS3_Lb0EPKdPdPKlPlN2at6native12_GLOBAL__N_18offset_tEEE10hipError_tPvRmT1_PNSt15iterator_traitsISK_E10value_typeET2_T3_PNSL_ISQ_E10value_typeET4_jRbjT5_SW_jjP12ihipStream_tbEUlT_E2_NS1_11comp_targetILNS1_3genE3ELNS1_11target_archE908ELNS1_3gpuE7ELNS1_3repE0EEENS1_30default_config_static_selectorELNS0_4arch9wavefront6targetE1EEEvSK_,comdat
	.globl	_ZN7rocprim17ROCPRIM_400000_NS6detail17trampoline_kernelINS0_14default_configENS1_36segmented_radix_sort_config_selectorIdlEEZNS1_25segmented_radix_sort_implIS3_Lb0EPKdPdPKlPlN2at6native12_GLOBAL__N_18offset_tEEE10hipError_tPvRmT1_PNSt15iterator_traitsISK_E10value_typeET2_T3_PNSL_ISQ_E10value_typeET4_jRbjT5_SW_jjP12ihipStream_tbEUlT_E2_NS1_11comp_targetILNS1_3genE3ELNS1_11target_archE908ELNS1_3gpuE7ELNS1_3repE0EEENS1_30default_config_static_selectorELNS0_4arch9wavefront6targetE1EEEvSK_ ; -- Begin function _ZN7rocprim17ROCPRIM_400000_NS6detail17trampoline_kernelINS0_14default_configENS1_36segmented_radix_sort_config_selectorIdlEEZNS1_25segmented_radix_sort_implIS3_Lb0EPKdPdPKlPlN2at6native12_GLOBAL__N_18offset_tEEE10hipError_tPvRmT1_PNSt15iterator_traitsISK_E10value_typeET2_T3_PNSL_ISQ_E10value_typeET4_jRbjT5_SW_jjP12ihipStream_tbEUlT_E2_NS1_11comp_targetILNS1_3genE3ELNS1_11target_archE908ELNS1_3gpuE7ELNS1_3repE0EEENS1_30default_config_static_selectorELNS0_4arch9wavefront6targetE1EEEvSK_
	.p2align	8
	.type	_ZN7rocprim17ROCPRIM_400000_NS6detail17trampoline_kernelINS0_14default_configENS1_36segmented_radix_sort_config_selectorIdlEEZNS1_25segmented_radix_sort_implIS3_Lb0EPKdPdPKlPlN2at6native12_GLOBAL__N_18offset_tEEE10hipError_tPvRmT1_PNSt15iterator_traitsISK_E10value_typeET2_T3_PNSL_ISQ_E10value_typeET4_jRbjT5_SW_jjP12ihipStream_tbEUlT_E2_NS1_11comp_targetILNS1_3genE3ELNS1_11target_archE908ELNS1_3gpuE7ELNS1_3repE0EEENS1_30default_config_static_selectorELNS0_4arch9wavefront6targetE1EEEvSK_,@function
_ZN7rocprim17ROCPRIM_400000_NS6detail17trampoline_kernelINS0_14default_configENS1_36segmented_radix_sort_config_selectorIdlEEZNS1_25segmented_radix_sort_implIS3_Lb0EPKdPdPKlPlN2at6native12_GLOBAL__N_18offset_tEEE10hipError_tPvRmT1_PNSt15iterator_traitsISK_E10value_typeET2_T3_PNSL_ISQ_E10value_typeET4_jRbjT5_SW_jjP12ihipStream_tbEUlT_E2_NS1_11comp_targetILNS1_3genE3ELNS1_11target_archE908ELNS1_3gpuE7ELNS1_3repE0EEENS1_30default_config_static_selectorELNS0_4arch9wavefront6targetE1EEEvSK_: ; @_ZN7rocprim17ROCPRIM_400000_NS6detail17trampoline_kernelINS0_14default_configENS1_36segmented_radix_sort_config_selectorIdlEEZNS1_25segmented_radix_sort_implIS3_Lb0EPKdPdPKlPlN2at6native12_GLOBAL__N_18offset_tEEE10hipError_tPvRmT1_PNSt15iterator_traitsISK_E10value_typeET2_T3_PNSL_ISQ_E10value_typeET4_jRbjT5_SW_jjP12ihipStream_tbEUlT_E2_NS1_11comp_targetILNS1_3genE3ELNS1_11target_archE908ELNS1_3gpuE7ELNS1_3repE0EEENS1_30default_config_static_selectorELNS0_4arch9wavefront6targetE1EEEvSK_
; %bb.0:
	.section	.rodata,"a",@progbits
	.p2align	6, 0x0
	.amdhsa_kernel _ZN7rocprim17ROCPRIM_400000_NS6detail17trampoline_kernelINS0_14default_configENS1_36segmented_radix_sort_config_selectorIdlEEZNS1_25segmented_radix_sort_implIS3_Lb0EPKdPdPKlPlN2at6native12_GLOBAL__N_18offset_tEEE10hipError_tPvRmT1_PNSt15iterator_traitsISK_E10value_typeET2_T3_PNSL_ISQ_E10value_typeET4_jRbjT5_SW_jjP12ihipStream_tbEUlT_E2_NS1_11comp_targetILNS1_3genE3ELNS1_11target_archE908ELNS1_3gpuE7ELNS1_3repE0EEENS1_30default_config_static_selectorELNS0_4arch9wavefront6targetE1EEEvSK_
		.amdhsa_group_segment_fixed_size 0
		.amdhsa_private_segment_fixed_size 0
		.amdhsa_kernarg_size 80
		.amdhsa_user_sgpr_count 6
		.amdhsa_user_sgpr_private_segment_buffer 1
		.amdhsa_user_sgpr_dispatch_ptr 0
		.amdhsa_user_sgpr_queue_ptr 0
		.amdhsa_user_sgpr_kernarg_segment_ptr 1
		.amdhsa_user_sgpr_dispatch_id 0
		.amdhsa_user_sgpr_flat_scratch_init 0
		.amdhsa_user_sgpr_private_segment_size 0
		.amdhsa_uses_dynamic_stack 0
		.amdhsa_system_sgpr_private_segment_wavefront_offset 0
		.amdhsa_system_sgpr_workgroup_id_x 1
		.amdhsa_system_sgpr_workgroup_id_y 0
		.amdhsa_system_sgpr_workgroup_id_z 0
		.amdhsa_system_sgpr_workgroup_info 0
		.amdhsa_system_vgpr_workitem_id 0
		.amdhsa_next_free_vgpr 1
		.amdhsa_next_free_sgpr 0
		.amdhsa_reserve_vcc 0
		.amdhsa_reserve_flat_scratch 0
		.amdhsa_float_round_mode_32 0
		.amdhsa_float_round_mode_16_64 0
		.amdhsa_float_denorm_mode_32 3
		.amdhsa_float_denorm_mode_16_64 3
		.amdhsa_dx10_clamp 1
		.amdhsa_ieee_mode 1
		.amdhsa_fp16_overflow 0
		.amdhsa_exception_fp_ieee_invalid_op 0
		.amdhsa_exception_fp_denorm_src 0
		.amdhsa_exception_fp_ieee_div_zero 0
		.amdhsa_exception_fp_ieee_overflow 0
		.amdhsa_exception_fp_ieee_underflow 0
		.amdhsa_exception_fp_ieee_inexact 0
		.amdhsa_exception_int_div_zero 0
	.end_amdhsa_kernel
	.section	.text._ZN7rocprim17ROCPRIM_400000_NS6detail17trampoline_kernelINS0_14default_configENS1_36segmented_radix_sort_config_selectorIdlEEZNS1_25segmented_radix_sort_implIS3_Lb0EPKdPdPKlPlN2at6native12_GLOBAL__N_18offset_tEEE10hipError_tPvRmT1_PNSt15iterator_traitsISK_E10value_typeET2_T3_PNSL_ISQ_E10value_typeET4_jRbjT5_SW_jjP12ihipStream_tbEUlT_E2_NS1_11comp_targetILNS1_3genE3ELNS1_11target_archE908ELNS1_3gpuE7ELNS1_3repE0EEENS1_30default_config_static_selectorELNS0_4arch9wavefront6targetE1EEEvSK_,"axG",@progbits,_ZN7rocprim17ROCPRIM_400000_NS6detail17trampoline_kernelINS0_14default_configENS1_36segmented_radix_sort_config_selectorIdlEEZNS1_25segmented_radix_sort_implIS3_Lb0EPKdPdPKlPlN2at6native12_GLOBAL__N_18offset_tEEE10hipError_tPvRmT1_PNSt15iterator_traitsISK_E10value_typeET2_T3_PNSL_ISQ_E10value_typeET4_jRbjT5_SW_jjP12ihipStream_tbEUlT_E2_NS1_11comp_targetILNS1_3genE3ELNS1_11target_archE908ELNS1_3gpuE7ELNS1_3repE0EEENS1_30default_config_static_selectorELNS0_4arch9wavefront6targetE1EEEvSK_,comdat
.Lfunc_end1254:
	.size	_ZN7rocprim17ROCPRIM_400000_NS6detail17trampoline_kernelINS0_14default_configENS1_36segmented_radix_sort_config_selectorIdlEEZNS1_25segmented_radix_sort_implIS3_Lb0EPKdPdPKlPlN2at6native12_GLOBAL__N_18offset_tEEE10hipError_tPvRmT1_PNSt15iterator_traitsISK_E10value_typeET2_T3_PNSL_ISQ_E10value_typeET4_jRbjT5_SW_jjP12ihipStream_tbEUlT_E2_NS1_11comp_targetILNS1_3genE3ELNS1_11target_archE908ELNS1_3gpuE7ELNS1_3repE0EEENS1_30default_config_static_selectorELNS0_4arch9wavefront6targetE1EEEvSK_, .Lfunc_end1254-_ZN7rocprim17ROCPRIM_400000_NS6detail17trampoline_kernelINS0_14default_configENS1_36segmented_radix_sort_config_selectorIdlEEZNS1_25segmented_radix_sort_implIS3_Lb0EPKdPdPKlPlN2at6native12_GLOBAL__N_18offset_tEEE10hipError_tPvRmT1_PNSt15iterator_traitsISK_E10value_typeET2_T3_PNSL_ISQ_E10value_typeET4_jRbjT5_SW_jjP12ihipStream_tbEUlT_E2_NS1_11comp_targetILNS1_3genE3ELNS1_11target_archE908ELNS1_3gpuE7ELNS1_3repE0EEENS1_30default_config_static_selectorELNS0_4arch9wavefront6targetE1EEEvSK_
                                        ; -- End function
	.set _ZN7rocprim17ROCPRIM_400000_NS6detail17trampoline_kernelINS0_14default_configENS1_36segmented_radix_sort_config_selectorIdlEEZNS1_25segmented_radix_sort_implIS3_Lb0EPKdPdPKlPlN2at6native12_GLOBAL__N_18offset_tEEE10hipError_tPvRmT1_PNSt15iterator_traitsISK_E10value_typeET2_T3_PNSL_ISQ_E10value_typeET4_jRbjT5_SW_jjP12ihipStream_tbEUlT_E2_NS1_11comp_targetILNS1_3genE3ELNS1_11target_archE908ELNS1_3gpuE7ELNS1_3repE0EEENS1_30default_config_static_selectorELNS0_4arch9wavefront6targetE1EEEvSK_.num_vgpr, 0
	.set _ZN7rocprim17ROCPRIM_400000_NS6detail17trampoline_kernelINS0_14default_configENS1_36segmented_radix_sort_config_selectorIdlEEZNS1_25segmented_radix_sort_implIS3_Lb0EPKdPdPKlPlN2at6native12_GLOBAL__N_18offset_tEEE10hipError_tPvRmT1_PNSt15iterator_traitsISK_E10value_typeET2_T3_PNSL_ISQ_E10value_typeET4_jRbjT5_SW_jjP12ihipStream_tbEUlT_E2_NS1_11comp_targetILNS1_3genE3ELNS1_11target_archE908ELNS1_3gpuE7ELNS1_3repE0EEENS1_30default_config_static_selectorELNS0_4arch9wavefront6targetE1EEEvSK_.num_agpr, 0
	.set _ZN7rocprim17ROCPRIM_400000_NS6detail17trampoline_kernelINS0_14default_configENS1_36segmented_radix_sort_config_selectorIdlEEZNS1_25segmented_radix_sort_implIS3_Lb0EPKdPdPKlPlN2at6native12_GLOBAL__N_18offset_tEEE10hipError_tPvRmT1_PNSt15iterator_traitsISK_E10value_typeET2_T3_PNSL_ISQ_E10value_typeET4_jRbjT5_SW_jjP12ihipStream_tbEUlT_E2_NS1_11comp_targetILNS1_3genE3ELNS1_11target_archE908ELNS1_3gpuE7ELNS1_3repE0EEENS1_30default_config_static_selectorELNS0_4arch9wavefront6targetE1EEEvSK_.numbered_sgpr, 0
	.set _ZN7rocprim17ROCPRIM_400000_NS6detail17trampoline_kernelINS0_14default_configENS1_36segmented_radix_sort_config_selectorIdlEEZNS1_25segmented_radix_sort_implIS3_Lb0EPKdPdPKlPlN2at6native12_GLOBAL__N_18offset_tEEE10hipError_tPvRmT1_PNSt15iterator_traitsISK_E10value_typeET2_T3_PNSL_ISQ_E10value_typeET4_jRbjT5_SW_jjP12ihipStream_tbEUlT_E2_NS1_11comp_targetILNS1_3genE3ELNS1_11target_archE908ELNS1_3gpuE7ELNS1_3repE0EEENS1_30default_config_static_selectorELNS0_4arch9wavefront6targetE1EEEvSK_.num_named_barrier, 0
	.set _ZN7rocprim17ROCPRIM_400000_NS6detail17trampoline_kernelINS0_14default_configENS1_36segmented_radix_sort_config_selectorIdlEEZNS1_25segmented_radix_sort_implIS3_Lb0EPKdPdPKlPlN2at6native12_GLOBAL__N_18offset_tEEE10hipError_tPvRmT1_PNSt15iterator_traitsISK_E10value_typeET2_T3_PNSL_ISQ_E10value_typeET4_jRbjT5_SW_jjP12ihipStream_tbEUlT_E2_NS1_11comp_targetILNS1_3genE3ELNS1_11target_archE908ELNS1_3gpuE7ELNS1_3repE0EEENS1_30default_config_static_selectorELNS0_4arch9wavefront6targetE1EEEvSK_.private_seg_size, 0
	.set _ZN7rocprim17ROCPRIM_400000_NS6detail17trampoline_kernelINS0_14default_configENS1_36segmented_radix_sort_config_selectorIdlEEZNS1_25segmented_radix_sort_implIS3_Lb0EPKdPdPKlPlN2at6native12_GLOBAL__N_18offset_tEEE10hipError_tPvRmT1_PNSt15iterator_traitsISK_E10value_typeET2_T3_PNSL_ISQ_E10value_typeET4_jRbjT5_SW_jjP12ihipStream_tbEUlT_E2_NS1_11comp_targetILNS1_3genE3ELNS1_11target_archE908ELNS1_3gpuE7ELNS1_3repE0EEENS1_30default_config_static_selectorELNS0_4arch9wavefront6targetE1EEEvSK_.uses_vcc, 0
	.set _ZN7rocprim17ROCPRIM_400000_NS6detail17trampoline_kernelINS0_14default_configENS1_36segmented_radix_sort_config_selectorIdlEEZNS1_25segmented_radix_sort_implIS3_Lb0EPKdPdPKlPlN2at6native12_GLOBAL__N_18offset_tEEE10hipError_tPvRmT1_PNSt15iterator_traitsISK_E10value_typeET2_T3_PNSL_ISQ_E10value_typeET4_jRbjT5_SW_jjP12ihipStream_tbEUlT_E2_NS1_11comp_targetILNS1_3genE3ELNS1_11target_archE908ELNS1_3gpuE7ELNS1_3repE0EEENS1_30default_config_static_selectorELNS0_4arch9wavefront6targetE1EEEvSK_.uses_flat_scratch, 0
	.set _ZN7rocprim17ROCPRIM_400000_NS6detail17trampoline_kernelINS0_14default_configENS1_36segmented_radix_sort_config_selectorIdlEEZNS1_25segmented_radix_sort_implIS3_Lb0EPKdPdPKlPlN2at6native12_GLOBAL__N_18offset_tEEE10hipError_tPvRmT1_PNSt15iterator_traitsISK_E10value_typeET2_T3_PNSL_ISQ_E10value_typeET4_jRbjT5_SW_jjP12ihipStream_tbEUlT_E2_NS1_11comp_targetILNS1_3genE3ELNS1_11target_archE908ELNS1_3gpuE7ELNS1_3repE0EEENS1_30default_config_static_selectorELNS0_4arch9wavefront6targetE1EEEvSK_.has_dyn_sized_stack, 0
	.set _ZN7rocprim17ROCPRIM_400000_NS6detail17trampoline_kernelINS0_14default_configENS1_36segmented_radix_sort_config_selectorIdlEEZNS1_25segmented_radix_sort_implIS3_Lb0EPKdPdPKlPlN2at6native12_GLOBAL__N_18offset_tEEE10hipError_tPvRmT1_PNSt15iterator_traitsISK_E10value_typeET2_T3_PNSL_ISQ_E10value_typeET4_jRbjT5_SW_jjP12ihipStream_tbEUlT_E2_NS1_11comp_targetILNS1_3genE3ELNS1_11target_archE908ELNS1_3gpuE7ELNS1_3repE0EEENS1_30default_config_static_selectorELNS0_4arch9wavefront6targetE1EEEvSK_.has_recursion, 0
	.set _ZN7rocprim17ROCPRIM_400000_NS6detail17trampoline_kernelINS0_14default_configENS1_36segmented_radix_sort_config_selectorIdlEEZNS1_25segmented_radix_sort_implIS3_Lb0EPKdPdPKlPlN2at6native12_GLOBAL__N_18offset_tEEE10hipError_tPvRmT1_PNSt15iterator_traitsISK_E10value_typeET2_T3_PNSL_ISQ_E10value_typeET4_jRbjT5_SW_jjP12ihipStream_tbEUlT_E2_NS1_11comp_targetILNS1_3genE3ELNS1_11target_archE908ELNS1_3gpuE7ELNS1_3repE0EEENS1_30default_config_static_selectorELNS0_4arch9wavefront6targetE1EEEvSK_.has_indirect_call, 0
	.section	.AMDGPU.csdata,"",@progbits
; Kernel info:
; codeLenInByte = 0
; TotalNumSgprs: 4
; NumVgprs: 0
; ScratchSize: 0
; MemoryBound: 0
; FloatMode: 240
; IeeeMode: 1
; LDSByteSize: 0 bytes/workgroup (compile time only)
; SGPRBlocks: 0
; VGPRBlocks: 0
; NumSGPRsForWavesPerEU: 4
; NumVGPRsForWavesPerEU: 1
; Occupancy: 10
; WaveLimiterHint : 0
; COMPUTE_PGM_RSRC2:SCRATCH_EN: 0
; COMPUTE_PGM_RSRC2:USER_SGPR: 6
; COMPUTE_PGM_RSRC2:TRAP_HANDLER: 0
; COMPUTE_PGM_RSRC2:TGID_X_EN: 1
; COMPUTE_PGM_RSRC2:TGID_Y_EN: 0
; COMPUTE_PGM_RSRC2:TGID_Z_EN: 0
; COMPUTE_PGM_RSRC2:TIDIG_COMP_CNT: 0
	.section	.text._ZN7rocprim17ROCPRIM_400000_NS6detail17trampoline_kernelINS0_14default_configENS1_36segmented_radix_sort_config_selectorIdlEEZNS1_25segmented_radix_sort_implIS3_Lb0EPKdPdPKlPlN2at6native12_GLOBAL__N_18offset_tEEE10hipError_tPvRmT1_PNSt15iterator_traitsISK_E10value_typeET2_T3_PNSL_ISQ_E10value_typeET4_jRbjT5_SW_jjP12ihipStream_tbEUlT_E2_NS1_11comp_targetILNS1_3genE2ELNS1_11target_archE906ELNS1_3gpuE6ELNS1_3repE0EEENS1_30default_config_static_selectorELNS0_4arch9wavefront6targetE1EEEvSK_,"axG",@progbits,_ZN7rocprim17ROCPRIM_400000_NS6detail17trampoline_kernelINS0_14default_configENS1_36segmented_radix_sort_config_selectorIdlEEZNS1_25segmented_radix_sort_implIS3_Lb0EPKdPdPKlPlN2at6native12_GLOBAL__N_18offset_tEEE10hipError_tPvRmT1_PNSt15iterator_traitsISK_E10value_typeET2_T3_PNSL_ISQ_E10value_typeET4_jRbjT5_SW_jjP12ihipStream_tbEUlT_E2_NS1_11comp_targetILNS1_3genE2ELNS1_11target_archE906ELNS1_3gpuE6ELNS1_3repE0EEENS1_30default_config_static_selectorELNS0_4arch9wavefront6targetE1EEEvSK_,comdat
	.globl	_ZN7rocprim17ROCPRIM_400000_NS6detail17trampoline_kernelINS0_14default_configENS1_36segmented_radix_sort_config_selectorIdlEEZNS1_25segmented_radix_sort_implIS3_Lb0EPKdPdPKlPlN2at6native12_GLOBAL__N_18offset_tEEE10hipError_tPvRmT1_PNSt15iterator_traitsISK_E10value_typeET2_T3_PNSL_ISQ_E10value_typeET4_jRbjT5_SW_jjP12ihipStream_tbEUlT_E2_NS1_11comp_targetILNS1_3genE2ELNS1_11target_archE906ELNS1_3gpuE6ELNS1_3repE0EEENS1_30default_config_static_selectorELNS0_4arch9wavefront6targetE1EEEvSK_ ; -- Begin function _ZN7rocprim17ROCPRIM_400000_NS6detail17trampoline_kernelINS0_14default_configENS1_36segmented_radix_sort_config_selectorIdlEEZNS1_25segmented_radix_sort_implIS3_Lb0EPKdPdPKlPlN2at6native12_GLOBAL__N_18offset_tEEE10hipError_tPvRmT1_PNSt15iterator_traitsISK_E10value_typeET2_T3_PNSL_ISQ_E10value_typeET4_jRbjT5_SW_jjP12ihipStream_tbEUlT_E2_NS1_11comp_targetILNS1_3genE2ELNS1_11target_archE906ELNS1_3gpuE6ELNS1_3repE0EEENS1_30default_config_static_selectorELNS0_4arch9wavefront6targetE1EEEvSK_
	.p2align	8
	.type	_ZN7rocprim17ROCPRIM_400000_NS6detail17trampoline_kernelINS0_14default_configENS1_36segmented_radix_sort_config_selectorIdlEEZNS1_25segmented_radix_sort_implIS3_Lb0EPKdPdPKlPlN2at6native12_GLOBAL__N_18offset_tEEE10hipError_tPvRmT1_PNSt15iterator_traitsISK_E10value_typeET2_T3_PNSL_ISQ_E10value_typeET4_jRbjT5_SW_jjP12ihipStream_tbEUlT_E2_NS1_11comp_targetILNS1_3genE2ELNS1_11target_archE906ELNS1_3gpuE6ELNS1_3repE0EEENS1_30default_config_static_selectorELNS0_4arch9wavefront6targetE1EEEvSK_,@function
_ZN7rocprim17ROCPRIM_400000_NS6detail17trampoline_kernelINS0_14default_configENS1_36segmented_radix_sort_config_selectorIdlEEZNS1_25segmented_radix_sort_implIS3_Lb0EPKdPdPKlPlN2at6native12_GLOBAL__N_18offset_tEEE10hipError_tPvRmT1_PNSt15iterator_traitsISK_E10value_typeET2_T3_PNSL_ISQ_E10value_typeET4_jRbjT5_SW_jjP12ihipStream_tbEUlT_E2_NS1_11comp_targetILNS1_3genE2ELNS1_11target_archE906ELNS1_3gpuE6ELNS1_3repE0EEENS1_30default_config_static_selectorELNS0_4arch9wavefront6targetE1EEEvSK_: ; @_ZN7rocprim17ROCPRIM_400000_NS6detail17trampoline_kernelINS0_14default_configENS1_36segmented_radix_sort_config_selectorIdlEEZNS1_25segmented_radix_sort_implIS3_Lb0EPKdPdPKlPlN2at6native12_GLOBAL__N_18offset_tEEE10hipError_tPvRmT1_PNSt15iterator_traitsISK_E10value_typeET2_T3_PNSL_ISQ_E10value_typeET4_jRbjT5_SW_jjP12ihipStream_tbEUlT_E2_NS1_11comp_targetILNS1_3genE2ELNS1_11target_archE906ELNS1_3gpuE6ELNS1_3repE0EEENS1_30default_config_static_selectorELNS0_4arch9wavefront6targetE1EEEvSK_
; %bb.0:
	s_add_u32 s0, s0, s8
	s_load_dwordx4 s[8:11], s[4:5], 0x34
	s_addc_u32 s1, s1, 0
	s_mov_b32 s32, 0
	s_waitcnt lgkmcnt(0)
	s_add_i32 s69, s9, s6
	s_add_i32 s94, s11, s6
	s_mul_i32 s69, s69, s8
	s_mul_i32 s94, s94, s10
	s_cmp_le_u32 s94, s69
	s_cbranch_scc1 .LBB1255_1187
; %bb.1:
	s_mov_b32 s68, s6
	s_load_dword s6, s[4:5], 0x30
	s_load_dwordx4 s[84:87], s[4:5], 0x20
	s_load_dwordx4 s[88:91], s[4:5], 0x44
	s_load_dwordx8 s[76:83], s[4:5], 0x0
	s_mov_b32 s33, s7
	s_waitcnt lgkmcnt(0)
	s_bitcmp1_b32 s6, 0
	s_cselect_b64 s[70:71], -1, 0
	s_sub_i32 s91, s94, s69
	s_cmpk_lt_u32 s91, 0x1001
	s_mov_b64 s[6:7], -1
	s_cbranch_scc0 .LBB1255_12
; %bb.2:
	s_cmp_lt_u32 s91, 33
	s_cbranch_scc0 .LBB1255_6
; %bb.3:
	s_load_dword s6, s[4:5], 0x5c
	s_waitcnt lgkmcnt(0)
	s_lshr_b32 s7, s6, 16
	s_and_b32 s6, s6, 0xffff
	v_mad_u32_u24 v3, v2, s7, v1
	v_mad_u64_u32 v[3:4], s[6:7], v3, s6, v[0:1]
	v_cmp_gt_u32_e32 vcc, 8, v3
	s_and_saveexec_b64 s[34:35], vcc
	s_cbranch_execz .LBB1255_5
; %bb.4:
	s_bitcmp1_b32 s88, 0
	s_cselect_b64 s[8:9], -1, 0
	s_xor_b64 s[8:9], s[70:71], s[8:9]
	s_xor_b64 s[8:9], s[8:9], -1
	v_cndmask_b32_e64 v12, 0, 1, s[8:9]
	s_add_u32 s8, s4, 0x50
	s_mov_b64 s[6:7], src_shared_base
	s_addc_u32 s9, s5, 0
	v_lshlrev_b32_e32 v3, 20, v2
	v_lshlrev_b32_e32 v4, 10, v1
	s_getpc_b64 s[10:11]
	s_add_u32 s10, s10, _ZN7rocprim17ROCPRIM_400000_NS6detail26segmented_warp_sort_helperINS1_20WarpSortHelperConfigILj8ELj4ELj256EEEdlLi256ELb0EvE4sortIPKdPdPKlPlEEvT_S9_T0_T1_SC_T2_bjjjjRNS5_12storage_typeE@rel32@lo+4
	s_addc_u32 s11, s11, _ZN7rocprim17ROCPRIM_400000_NS6detail26segmented_warp_sort_helperINS1_20WarpSortHelperConfigILj8ELj4ELj256EEEdlLi256ELb0EvE4sortIPKdPdPKlPlEEvT_S9_T0_T1_SC_T2_bjjjjRNS5_12storage_typeE@rel32@hi+12
	v_or3_b32 v31, v0, v4, v3
	s_mov_b32 s12, s68
	s_mov_b32 s13, s33
	v_mov_b32_e32 v40, v0
	v_mov_b32_e32 v0, s76
	;; [unrolled: 1-line block ×19, first 2 shown]
	s_mov_b64 s[36:37], s[4:5]
	s_swappc_b64 s[30:31], s[10:11]
	v_mov_b32_e32 v1, v41
	v_mov_b32_e32 v2, v42
	v_mov_b32_e32 v0, v40
	s_mov_b64 s[4:5], s[36:37]
.LBB1255_5:
	s_or_b64 exec, exec, s[34:35]
	s_mov_b64 s[6:7], 0
.LBB1255_6:
	s_andn2_b64 vcc, exec, s[6:7]
	s_cbranch_vccnz .LBB1255_11
; %bb.7:
	s_and_b32 s6, s88, 1
	v_cndmask_b32_e64 v3, 0, 1, s[70:71]
	v_cmp_ne_u32_e32 vcc, s6, v3
	s_mov_b64 s[6:7], -1
	v_lshlrev_b32_e32 v41, 20, v2
	v_lshlrev_b32_e32 v42, 10, v1
	s_cbranch_vccnz .LBB1255_9
; %bb.8:
	s_add_u32 s8, s4, 0x50
	s_mov_b64 s[6:7], src_shared_base
	s_addc_u32 s9, s5, 0
	s_getpc_b64 s[10:11]
	s_add_u32 s10, s10, _ZN7rocprim17ROCPRIM_400000_NS6detail40segmented_radix_sort_single_block_helperIdlLj256ELj16ELb0EE4sortIPKdPdPKlPlEEbT_T0_T1_T2_jjjjRNS3_12storage_typeE@rel32@lo+4
	s_addc_u32 s11, s11, _ZN7rocprim17ROCPRIM_400000_NS6detail40segmented_radix_sort_single_block_helperIdlLj256ELj16ELb0EE4sortIPKdPdPKlPlEEbT_T0_T1_T2_jjjjRNS3_12storage_typeE@rel32@hi+12
	v_or3_b32 v31, v0, v42, v41
	s_mov_b32 s12, s68
	s_mov_b32 s13, s33
	v_mov_b32_e32 v40, v0
	v_mov_b32_e32 v0, s76
	;; [unrolled: 1-line block ×17, first 2 shown]
	s_mov_b64 s[34:35], s[4:5]
	s_swappc_b64 s[30:31], s[10:11]
	v_mov_b32_e32 v1, v43
	v_mov_b32_e32 v2, v44
	;; [unrolled: 1-line block ×3, first 2 shown]
	s_mov_b64 s[4:5], s[34:35]
	s_mov_b64 s[6:7], 0
.LBB1255_9:
	s_andn2_b64 vcc, exec, s[6:7]
	s_cbranch_vccnz .LBB1255_11
; %bb.10:
	s_add_u32 s8, s4, 0x50
	s_mov_b64 s[6:7], src_shared_base
	s_addc_u32 s9, s5, 0
	s_getpc_b64 s[10:11]
	s_add_u32 s10, s10, _ZN7rocprim17ROCPRIM_400000_NS6detail40segmented_radix_sort_single_block_helperIdlLj256ELj16ELb0EE4sortIPKdPdPKlPlEEbT_T0_T1_T2_jjjjRNS3_12storage_typeE@rel32@lo+4
	s_addc_u32 s11, s11, _ZN7rocprim17ROCPRIM_400000_NS6detail40segmented_radix_sort_single_block_helperIdlLj256ELj16ELb0EE4sortIPKdPdPKlPlEEbT_T0_T1_T2_jjjjRNS3_12storage_typeE@rel32@hi+12
	v_or3_b32 v31, v0, v42, v41
	s_mov_b32 s12, s68
	s_mov_b32 s13, s33
	v_mov_b32_e32 v40, v0
	v_mov_b32_e32 v0, s76
	v_mov_b32_e32 v41, v1
	v_mov_b32_e32 v1, s77
	v_mov_b32_e32 v42, v2
	v_mov_b32_e32 v2, s78
	v_mov_b32_e32 v3, s79
	v_mov_b32_e32 v4, s82
	v_mov_b32_e32 v5, s83
	v_mov_b32_e32 v6, s84
	v_mov_b32_e32 v7, s85
	v_mov_b32_e32 v8, s69
	v_mov_b32_e32 v9, s94
	v_mov_b32_e32 v10, s89
	v_mov_b32_e32 v11, s90
	v_mov_b32_e32 v12, 0
	v_mov_b32_e32 v13, s7
	s_mov_b64 s[34:35], s[4:5]
	s_swappc_b64 s[30:31], s[10:11]
	v_mov_b32_e32 v1, v41
	v_mov_b32_e32 v2, v42
	v_mov_b32_e32 v0, v40
	s_mov_b64 s[4:5], s[34:35]
.LBB1255_11:
	s_mov_b64 s[6:7], 0
.LBB1255_12:
	s_andn2_b64 vcc, exec, s[6:7]
	s_cbranch_vccnz .LBB1255_1187
; %bb.13:
	s_cmp_ge_u32 s89, s90
	s_cbranch_scc1 .LBB1255_1187
; %bb.14:
	v_lshlrev_b32_e32 v75, 2, v0
	v_and_b32_e32 v4, 3, v0
	v_lshlrev_b32_e32 v5, 3, v0
	v_mov_b32_e32 v6, s81
	v_add_co_u32_e32 v79, vcc, s80, v5
	v_lshlrev_b32_e32 v93, 2, v4
	v_lshlrev_b32_e32 v4, 4, v0
	v_mad_u32_u24 v94, v0, 12, v75
	s_movk_i32 s6, 0x100
	v_addc_co_u32_e32 v80, vcc, 0, v6, vcc
	v_or_b32_e32 v6, 63, v0
	v_and_b32_e32 v99, 0xc00, v4
	v_add_u32_e32 v100, v94, v75
	s_mov_b64 s[12:13], s[4:5]
	v_cmp_gt_u32_e64 s[4:5], s6, v0
	v_cmp_eq_u32_e64 s[6:7], v0, v6
	v_lshrrev_b32_e32 v6, 4, v0
	v_sub_u32_e32 v101, v100, v4
	v_lshlrev_b32_e32 v4, 3, v99
	v_and_b32_e32 v95, 12, v6
	v_mov_b32_e32 v6, s87
	v_add_co_u32_e32 v102, vcc, s86, v4
	v_addc_co_u32_e32 v103, vcc, 0, v6, vcc
	v_mov_b32_e32 v6, s81
	v_add_co_u32_e32 v104, vcc, s80, v4
	v_addc_co_u32_e32 v105, vcc, 0, v6, vcc
	;; [unrolled: 3-line block ×7, first 2 shown]
	v_or_b32_e32 v77, 0x200, v0
	v_or_b32_e32 v78, 0x300, v0
	;; [unrolled: 1-line block ×14, first 2 shown]
	s_add_u32 s74, s12, 0x50
	s_movk_i32 s14, 0xff
	v_mov_b32_e32 v5, s77
	v_add_co_u32_e32 v117, vcc, s76, v4
	s_mov_b32 s82, -1
	v_mbcnt_lo_u32_b32 v4, -1, 0
	s_mov_b32 s73, 0
	v_mov_b32_e32 v3, 0
	v_or_b32_e32 v76, 0x100, v0
	v_or_b32_e32 v96, 0x8400, v95
	v_cmp_gt_u32_e64 s[8:9], 4, v0
	v_or_b32_e32 v97, 0x8400, v75
	v_cmp_lt_u32_e64 s[10:11], 63, v0
	v_add_u32_e32 v98, 0x83fc, v95
	s_addc_u32 s75, s13, 0
	v_cmp_eq_u32_e64 s[12:13], 0, v0
	v_cmp_ne_u32_e64 s[14:15], s14, v0
	v_add_u32_e32 v106, v101, v75
	v_addc_co_u32_e32 v118, vcc, 0, v5, vcc
	s_mov_b32 s88, s89
	s_brev_b32 s83, -2
	v_mov_b32_e32 v119, 1
	v_lshlrev_b32_e32 v120, 3, v0
	v_lshlrev_b32_e32 v121, 3, v77
	;; [unrolled: 1-line block ×15, first 2 shown]
	v_bfrev_b32_e32 v135, 1
	v_mbcnt_hi_u32_b32 v136, -1, v4
	v_mov_b32_e32 v5, -1
	v_bfrev_b32_e32 v6, -2
	s_mov_b32 s95, s89
	s_branch .LBB1255_17
.LBB1255_15:                            ;   in Loop: Header=BB1255_17 Depth=1
	s_waitcnt lgkmcnt(0)
	s_barrier
.LBB1255_16:                            ;   in Loop: Header=BB1255_17 Depth=1
	s_add_i32 s95, s95, 8
	s_cmp_ge_u32 s95, s90
	s_cbranch_scc1 .LBB1255_1187
.LBB1255_17:                            ; =>This Loop Header: Depth=1
                                        ;     Child Loop BB1255_21 Depth 2
                                        ;     Child Loop BB1255_101 Depth 2
	;; [unrolled: 1-line block ×8, first 2 shown]
	s_sub_i32 s16, s90, s95
	s_xor_b64 s[70:71], s[70:71], -1
	s_min_u32 s96, s16, 8
	s_cmp_lg_u32 s95, s89
	s_mov_b64 s[16:17], -1
	ds_write2st64_b32 v75, v3, v3 offset1:4
	ds_write2st64_b32 v75, v3, v3 offset0:8 offset1:12
	s_waitcnt lgkmcnt(0)
	s_cbranch_scc0 .LBB1255_603
; %bb.18:                               ;   in Loop: Header=BB1255_17 Depth=1
	s_lshl_b32 s16, -1, s96
	s_not_b32 s97, s16
	s_mov_b64 s[16:17], -1
	s_and_b64 vcc, exec, s[70:71]
	s_cbranch_vccz .LBB1255_310
; %bb.19:                               ;   in Loop: Header=BB1255_17 Depth=1
	s_mov_b32 s20, s91
	s_mov_b32 s72, s69
	s_barrier
                                        ; implicit-def: $vgpr7_vgpr8
                                        ; implicit-def: $vgpr9_vgpr10
                                        ; implicit-def: $vgpr11_vgpr12
                                        ; implicit-def: $vgpr13_vgpr14
                                        ; implicit-def: $vgpr15_vgpr16
                                        ; implicit-def: $vgpr17_vgpr18
                                        ; implicit-def: $vgpr19_vgpr20
                                        ; implicit-def: $vgpr21_vgpr22
                                        ; implicit-def: $vgpr23_vgpr24
                                        ; implicit-def: $vgpr25_vgpr26
                                        ; implicit-def: $vgpr27_vgpr28
                                        ; implicit-def: $vgpr29_vgpr30
                                        ; implicit-def: $vgpr31_vgpr32
                                        ; implicit-def: $vgpr33_vgpr34
                                        ; implicit-def: $vgpr35_vgpr36
                                        ; implicit-def: $vgpr37_vgpr38
	s_branch .LBB1255_21
.LBB1255_20:                            ;   in Loop: Header=BB1255_21 Depth=2
	s_or_b64 exec, exec, s[16:17]
	s_addk_i32 s20, 0xf000
	s_cmp_ge_u32 s21, s94
	s_mov_b32 s72, s21
	s_cbranch_scc1 .LBB1255_89
.LBB1255_21:                            ;   Parent Loop BB1255_17 Depth=1
                                        ; =>  This Inner Loop Header: Depth=2
	s_add_i32 s21, s72, 0x1000
	s_cmp_gt_u32 s21, s94
	s_mov_b64 s[16:17], -1
                                        ; implicit-def: $vgpr39_vgpr40
                                        ; implicit-def: $vgpr41_vgpr42
                                        ; implicit-def: $vgpr43_vgpr44
                                        ; implicit-def: $vgpr45_vgpr46
                                        ; implicit-def: $vgpr47_vgpr48
                                        ; implicit-def: $vgpr49_vgpr50
                                        ; implicit-def: $vgpr51_vgpr52
                                        ; implicit-def: $vgpr53_vgpr54
                                        ; implicit-def: $vgpr55_vgpr56
                                        ; implicit-def: $vgpr57_vgpr58
                                        ; implicit-def: $vgpr59_vgpr60
                                        ; implicit-def: $vgpr61_vgpr62
                                        ; implicit-def: $vgpr63_vgpr64
                                        ; implicit-def: $vgpr65_vgpr66
                                        ; implicit-def: $vgpr67_vgpr68
                                        ; implicit-def: $vgpr69_vgpr70
	s_cbranch_scc1 .LBB1255_23
; %bb.22:                               ;   in Loop: Header=BB1255_21 Depth=2
	s_lshl_b64 s[16:17], s[72:73], 3
	v_mov_b32_e32 v4, s17
	v_add_co_u32_e32 v63, vcc, s16, v79
	v_addc_co_u32_e32 v64, vcc, v80, v4, vcc
	v_add_co_u32_e32 v47, vcc, 0x1000, v63
	v_addc_co_u32_e32 v48, vcc, 0, v64, vcc
	;; [unrolled: 2-line block ×6, first 2 shown]
	global_load_dwordx2 v[39:40], v[63:64], off
	global_load_dwordx2 v[41:42], v[63:64], off offset:2048
	global_load_dwordx2 v[43:44], v[47:48], off
	global_load_dwordx2 v[45:46], v[47:48], off offset:2048
	s_nop 0
	global_load_dwordx2 v[47:48], v[55:56], off
	global_load_dwordx2 v[49:50], v[55:56], off offset:2048
	global_load_dwordx2 v[51:52], v[57:58], off
	global_load_dwordx2 v[53:54], v[57:58], off offset:2048
	s_nop 0
	global_load_dwordx2 v[55:56], v[61:62], off
	global_load_dwordx2 v[57:58], v[61:62], off offset:2048
	global_load_dwordx2 v[59:60], v[65:66], off
                                        ; kill: killed $vgpr61 killed $vgpr62
	s_nop 0
	global_load_dwordx2 v[61:62], v[65:66], off offset:2048
	v_add_co_u32_e32 v65, vcc, 0x6000, v63
	v_addc_co_u32_e32 v66, vcc, 0, v64, vcc
	v_add_co_u32_e32 v69, vcc, 0x7000, v63
	v_addc_co_u32_e32 v70, vcc, 0, v64, vcc
	global_load_dwordx2 v[63:64], v[65:66], off
	s_nop 0
	global_load_dwordx2 v[65:66], v[65:66], off offset:2048
	s_nop 0
	global_load_dwordx2 v[67:68], v[69:70], off
	s_nop 0
	global_load_dwordx2 v[69:70], v[69:70], off offset:2048
	s_mov_b64 s[16:17], 0
.LBB1255_23:                            ;   in Loop: Header=BB1255_21 Depth=2
	s_andn2_b64 vcc, exec, s[16:17]
	s_movk_i32 s18, 0x1000
	s_cbranch_vccnz .LBB1255_42
; %bb.24:                               ;   in Loop: Header=BB1255_21 Depth=2
	s_lshl_b64 s[16:17], s[72:73], 3
	s_add_u32 s16, s80, s16
	s_addc_u32 s17, s81, s17
	v_cmp_gt_u32_e32 vcc, s20, v0
	s_and_saveexec_b64 s[18:19], vcc
	s_cbranch_execnz .LBB1255_74
; %bb.25:                               ;   in Loop: Header=BB1255_21 Depth=2
	s_or_b64 exec, exec, s[18:19]
	v_cmp_gt_u32_e32 vcc, s20, v76
	s_and_saveexec_b64 s[18:19], vcc
	s_cbranch_execnz .LBB1255_75
.LBB1255_26:                            ;   in Loop: Header=BB1255_21 Depth=2
	s_or_b64 exec, exec, s[18:19]
	v_cmp_gt_u32_e32 vcc, s20, v77
	s_and_saveexec_b64 s[18:19], vcc
	s_cbranch_execnz .LBB1255_76
.LBB1255_27:                            ;   in Loop: Header=BB1255_21 Depth=2
	s_or_b64 exec, exec, s[18:19]
	v_cmp_gt_u32_e32 vcc, s20, v78
	s_and_saveexec_b64 s[18:19], vcc
	s_cbranch_execnz .LBB1255_77
.LBB1255_28:                            ;   in Loop: Header=BB1255_21 Depth=2
	s_or_b64 exec, exec, s[18:19]
	v_cmp_gt_u32_e32 vcc, s20, v81
	s_and_saveexec_b64 s[18:19], vcc
	s_cbranch_execnz .LBB1255_78
.LBB1255_29:                            ;   in Loop: Header=BB1255_21 Depth=2
	s_or_b64 exec, exec, s[18:19]
	v_cmp_gt_u32_e32 vcc, s20, v82
	s_and_saveexec_b64 s[18:19], vcc
	s_cbranch_execnz .LBB1255_79
.LBB1255_30:                            ;   in Loop: Header=BB1255_21 Depth=2
	s_or_b64 exec, exec, s[18:19]
	v_cmp_gt_u32_e32 vcc, s20, v83
	s_and_saveexec_b64 s[18:19], vcc
	s_cbranch_execnz .LBB1255_80
.LBB1255_31:                            ;   in Loop: Header=BB1255_21 Depth=2
	s_or_b64 exec, exec, s[18:19]
	v_cmp_gt_u32_e32 vcc, s20, v84
	s_and_saveexec_b64 s[18:19], vcc
	s_cbranch_execnz .LBB1255_81
.LBB1255_32:                            ;   in Loop: Header=BB1255_21 Depth=2
	s_or_b64 exec, exec, s[18:19]
	v_cmp_gt_u32_e32 vcc, s20, v85
	s_and_saveexec_b64 s[18:19], vcc
	s_cbranch_execnz .LBB1255_82
.LBB1255_33:                            ;   in Loop: Header=BB1255_21 Depth=2
	s_or_b64 exec, exec, s[18:19]
	v_cmp_gt_u32_e32 vcc, s20, v86
	s_and_saveexec_b64 s[18:19], vcc
	s_cbranch_execnz .LBB1255_83
.LBB1255_34:                            ;   in Loop: Header=BB1255_21 Depth=2
	s_or_b64 exec, exec, s[18:19]
	v_cmp_gt_u32_e32 vcc, s20, v87
	s_and_saveexec_b64 s[18:19], vcc
	s_cbranch_execnz .LBB1255_84
.LBB1255_35:                            ;   in Loop: Header=BB1255_21 Depth=2
	s_or_b64 exec, exec, s[18:19]
	v_cmp_gt_u32_e32 vcc, s20, v88
	s_and_saveexec_b64 s[18:19], vcc
	s_cbranch_execnz .LBB1255_85
.LBB1255_36:                            ;   in Loop: Header=BB1255_21 Depth=2
	s_or_b64 exec, exec, s[18:19]
	v_cmp_gt_u32_e32 vcc, s20, v89
	s_and_saveexec_b64 s[18:19], vcc
	s_cbranch_execnz .LBB1255_86
.LBB1255_37:                            ;   in Loop: Header=BB1255_21 Depth=2
	s_or_b64 exec, exec, s[18:19]
	v_cmp_gt_u32_e32 vcc, s20, v90
	s_and_saveexec_b64 s[18:19], vcc
	s_cbranch_execnz .LBB1255_87
.LBB1255_38:                            ;   in Loop: Header=BB1255_21 Depth=2
	s_or_b64 exec, exec, s[18:19]
	v_cmp_gt_u32_e32 vcc, s20, v91
	s_and_saveexec_b64 s[18:19], vcc
	s_cbranch_execnz .LBB1255_88
.LBB1255_39:                            ;   in Loop: Header=BB1255_21 Depth=2
	s_or_b64 exec, exec, s[18:19]
	v_cmp_gt_u32_e32 vcc, s20, v92
	s_and_saveexec_b64 s[18:19], vcc
	s_cbranch_execz .LBB1255_41
.LBB1255_40:                            ;   in Loop: Header=BB1255_21 Depth=2
	global_load_dwordx2 v[7:8], v134, s[16:17]
.LBB1255_41:                            ;   in Loop: Header=BB1255_21 Depth=2
	s_or_b64 exec, exec, s[18:19]
	s_waitcnt vmcnt(0)
	v_mov_b32_e32 v40, v38
	v_mov_b32_e32 v42, v36
	;; [unrolled: 1-line block ×16, first 2 shown]
	s_mov_b32 s18, s20
	v_mov_b32_e32 v39, v37
	v_mov_b32_e32 v41, v35
	;; [unrolled: 1-line block ×16, first 2 shown]
.LBB1255_42:                            ;   in Loop: Header=BB1255_21 Depth=2
	s_waitcnt vmcnt(0)
	v_mov_b32_e32 v7, v69
	v_mov_b32_e32 v9, v67
	;; [unrolled: 1-line block ×32, first 2 shown]
	v_cmp_gt_u32_e32 vcc, s18, v0
	s_and_saveexec_b64 s[16:17], vcc
	s_cbranch_execnz .LBB1255_58
; %bb.43:                               ;   in Loop: Header=BB1255_21 Depth=2
	s_or_b64 exec, exec, s[16:17]
	v_cmp_gt_u32_e32 vcc, s18, v76
	s_and_saveexec_b64 s[16:17], vcc
	s_cbranch_execnz .LBB1255_59
.LBB1255_44:                            ;   in Loop: Header=BB1255_21 Depth=2
	s_or_b64 exec, exec, s[16:17]
	v_cmp_gt_u32_e32 vcc, s18, v77
	s_and_saveexec_b64 s[16:17], vcc
	s_cbranch_execnz .LBB1255_60
.LBB1255_45:                            ;   in Loop: Header=BB1255_21 Depth=2
	s_or_b64 exec, exec, s[16:17]
	v_cmp_gt_u32_e32 vcc, s18, v78
	s_and_saveexec_b64 s[16:17], vcc
	s_cbranch_execnz .LBB1255_61
.LBB1255_46:                            ;   in Loop: Header=BB1255_21 Depth=2
	s_or_b64 exec, exec, s[16:17]
	v_cmp_gt_u32_e32 vcc, s18, v81
	s_and_saveexec_b64 s[16:17], vcc
	s_cbranch_execnz .LBB1255_62
.LBB1255_47:                            ;   in Loop: Header=BB1255_21 Depth=2
	s_or_b64 exec, exec, s[16:17]
	v_cmp_gt_u32_e32 vcc, s18, v82
	s_and_saveexec_b64 s[16:17], vcc
	s_cbranch_execnz .LBB1255_63
.LBB1255_48:                            ;   in Loop: Header=BB1255_21 Depth=2
	s_or_b64 exec, exec, s[16:17]
	v_cmp_gt_u32_e32 vcc, s18, v83
	s_and_saveexec_b64 s[16:17], vcc
	s_cbranch_execnz .LBB1255_64
.LBB1255_49:                            ;   in Loop: Header=BB1255_21 Depth=2
	s_or_b64 exec, exec, s[16:17]
	v_cmp_gt_u32_e32 vcc, s18, v84
	s_and_saveexec_b64 s[16:17], vcc
	s_cbranch_execnz .LBB1255_65
.LBB1255_50:                            ;   in Loop: Header=BB1255_21 Depth=2
	s_or_b64 exec, exec, s[16:17]
	v_cmp_gt_u32_e32 vcc, s18, v85
	s_and_saveexec_b64 s[16:17], vcc
	s_cbranch_execnz .LBB1255_66
.LBB1255_51:                            ;   in Loop: Header=BB1255_21 Depth=2
	s_or_b64 exec, exec, s[16:17]
	v_cmp_gt_u32_e32 vcc, s18, v86
	s_and_saveexec_b64 s[16:17], vcc
	s_cbranch_execnz .LBB1255_67
.LBB1255_52:                            ;   in Loop: Header=BB1255_21 Depth=2
	s_or_b64 exec, exec, s[16:17]
	v_cmp_gt_u32_e32 vcc, s18, v87
	s_and_saveexec_b64 s[16:17], vcc
	s_cbranch_execnz .LBB1255_68
.LBB1255_53:                            ;   in Loop: Header=BB1255_21 Depth=2
	s_or_b64 exec, exec, s[16:17]
	v_cmp_gt_u32_e32 vcc, s18, v88
	s_and_saveexec_b64 s[16:17], vcc
	s_cbranch_execnz .LBB1255_69
.LBB1255_54:                            ;   in Loop: Header=BB1255_21 Depth=2
	s_or_b64 exec, exec, s[16:17]
	v_cmp_gt_u32_e32 vcc, s18, v89
	s_and_saveexec_b64 s[16:17], vcc
	s_cbranch_execnz .LBB1255_70
.LBB1255_55:                            ;   in Loop: Header=BB1255_21 Depth=2
	s_or_b64 exec, exec, s[16:17]
	v_cmp_gt_u32_e32 vcc, s18, v90
	s_and_saveexec_b64 s[16:17], vcc
	s_cbranch_execnz .LBB1255_71
.LBB1255_56:                            ;   in Loop: Header=BB1255_21 Depth=2
	s_or_b64 exec, exec, s[16:17]
	v_cmp_gt_u32_e32 vcc, s18, v91
	s_and_saveexec_b64 s[16:17], vcc
	s_cbranch_execnz .LBB1255_72
.LBB1255_57:                            ;   in Loop: Header=BB1255_21 Depth=2
	s_or_b64 exec, exec, s[16:17]
	v_cmp_gt_u32_e32 vcc, s18, v92
	s_and_saveexec_b64 s[16:17], vcc
	s_cbranch_execz .LBB1255_20
	s_branch .LBB1255_73
.LBB1255_58:                            ;   in Loop: Header=BB1255_21 Depth=2
	v_cmp_lt_i64_e32 vcc, -1, v[37:38]
	v_ashrrev_i32_e32 v39, 31, v38
	v_cndmask_b32_e32 v4, -1, v135, vcc
	v_xor_b32_e32 v40, v4, v38
	v_xor_b32_e32 v39, v39, v37
	v_cmp_ne_u64_e32 vcc, s[82:83], v[39:40]
	v_cndmask_b32_e32 v40, v135, v40, vcc
	v_cndmask_b32_e32 v39, 0, v39, vcc
	v_lshrrev_b64 v[39:40], s95, v[39:40]
	v_and_b32_e32 v4, s97, v39
	v_lshl_or_b32 v4, v4, 4, v93
	ds_add_u32 v4, v119
	s_or_b64 exec, exec, s[16:17]
	v_cmp_gt_u32_e32 vcc, s18, v76
	s_and_saveexec_b64 s[16:17], vcc
	s_cbranch_execz .LBB1255_44
.LBB1255_59:                            ;   in Loop: Header=BB1255_21 Depth=2
	v_cmp_lt_i64_e32 vcc, -1, v[35:36]
	v_ashrrev_i32_e32 v39, 31, v36
	v_cndmask_b32_e32 v4, -1, v135, vcc
	v_xor_b32_e32 v40, v4, v36
	v_xor_b32_e32 v39, v39, v35
	v_cmp_ne_u64_e32 vcc, s[82:83], v[39:40]
	v_cndmask_b32_e32 v40, v135, v40, vcc
	v_cndmask_b32_e32 v39, 0, v39, vcc
	v_lshrrev_b64 v[39:40], s95, v[39:40]
	v_and_b32_e32 v4, s97, v39
	v_lshl_or_b32 v4, v4, 4, v93
	ds_add_u32 v4, v119
	s_or_b64 exec, exec, s[16:17]
	v_cmp_gt_u32_e32 vcc, s18, v77
	s_and_saveexec_b64 s[16:17], vcc
	s_cbranch_execz .LBB1255_45
.LBB1255_60:                            ;   in Loop: Header=BB1255_21 Depth=2
	v_cmp_lt_i64_e32 vcc, -1, v[33:34]
	v_ashrrev_i32_e32 v39, 31, v34
	v_cndmask_b32_e32 v4, -1, v135, vcc
	v_xor_b32_e32 v40, v4, v34
	v_xor_b32_e32 v39, v39, v33
	v_cmp_ne_u64_e32 vcc, s[82:83], v[39:40]
	v_cndmask_b32_e32 v40, v135, v40, vcc
	v_cndmask_b32_e32 v39, 0, v39, vcc
	v_lshrrev_b64 v[39:40], s95, v[39:40]
	v_and_b32_e32 v4, s97, v39
	v_lshl_or_b32 v4, v4, 4, v93
	ds_add_u32 v4, v119
	s_or_b64 exec, exec, s[16:17]
	v_cmp_gt_u32_e32 vcc, s18, v78
	s_and_saveexec_b64 s[16:17], vcc
	s_cbranch_execz .LBB1255_46
.LBB1255_61:                            ;   in Loop: Header=BB1255_21 Depth=2
	v_cmp_lt_i64_e32 vcc, -1, v[31:32]
	v_ashrrev_i32_e32 v39, 31, v32
	v_cndmask_b32_e32 v4, -1, v135, vcc
	v_xor_b32_e32 v40, v4, v32
	v_xor_b32_e32 v39, v39, v31
	v_cmp_ne_u64_e32 vcc, s[82:83], v[39:40]
	v_cndmask_b32_e32 v40, v135, v40, vcc
	v_cndmask_b32_e32 v39, 0, v39, vcc
	v_lshrrev_b64 v[39:40], s95, v[39:40]
	v_and_b32_e32 v4, s97, v39
	v_lshl_or_b32 v4, v4, 4, v93
	ds_add_u32 v4, v119
	s_or_b64 exec, exec, s[16:17]
	v_cmp_gt_u32_e32 vcc, s18, v81
	s_and_saveexec_b64 s[16:17], vcc
	s_cbranch_execz .LBB1255_47
.LBB1255_62:                            ;   in Loop: Header=BB1255_21 Depth=2
	v_cmp_lt_i64_e32 vcc, -1, v[29:30]
	v_ashrrev_i32_e32 v39, 31, v30
	v_cndmask_b32_e32 v4, -1, v135, vcc
	v_xor_b32_e32 v40, v4, v30
	v_xor_b32_e32 v39, v39, v29
	v_cmp_ne_u64_e32 vcc, s[82:83], v[39:40]
	v_cndmask_b32_e32 v40, v135, v40, vcc
	v_cndmask_b32_e32 v39, 0, v39, vcc
	v_lshrrev_b64 v[39:40], s95, v[39:40]
	v_and_b32_e32 v4, s97, v39
	v_lshl_or_b32 v4, v4, 4, v93
	ds_add_u32 v4, v119
	s_or_b64 exec, exec, s[16:17]
	v_cmp_gt_u32_e32 vcc, s18, v82
	s_and_saveexec_b64 s[16:17], vcc
	s_cbranch_execz .LBB1255_48
.LBB1255_63:                            ;   in Loop: Header=BB1255_21 Depth=2
	v_cmp_lt_i64_e32 vcc, -1, v[27:28]
	v_ashrrev_i32_e32 v39, 31, v28
	v_cndmask_b32_e32 v4, -1, v135, vcc
	v_xor_b32_e32 v40, v4, v28
	v_xor_b32_e32 v39, v39, v27
	v_cmp_ne_u64_e32 vcc, s[82:83], v[39:40]
	v_cndmask_b32_e32 v40, v135, v40, vcc
	v_cndmask_b32_e32 v39, 0, v39, vcc
	v_lshrrev_b64 v[39:40], s95, v[39:40]
	v_and_b32_e32 v4, s97, v39
	v_lshl_or_b32 v4, v4, 4, v93
	ds_add_u32 v4, v119
	s_or_b64 exec, exec, s[16:17]
	v_cmp_gt_u32_e32 vcc, s18, v83
	s_and_saveexec_b64 s[16:17], vcc
	s_cbranch_execz .LBB1255_49
.LBB1255_64:                            ;   in Loop: Header=BB1255_21 Depth=2
	v_cmp_lt_i64_e32 vcc, -1, v[25:26]
	v_ashrrev_i32_e32 v39, 31, v26
	v_cndmask_b32_e32 v4, -1, v135, vcc
	v_xor_b32_e32 v40, v4, v26
	v_xor_b32_e32 v39, v39, v25
	v_cmp_ne_u64_e32 vcc, s[82:83], v[39:40]
	v_cndmask_b32_e32 v40, v135, v40, vcc
	v_cndmask_b32_e32 v39, 0, v39, vcc
	v_lshrrev_b64 v[39:40], s95, v[39:40]
	v_and_b32_e32 v4, s97, v39
	v_lshl_or_b32 v4, v4, 4, v93
	ds_add_u32 v4, v119
	s_or_b64 exec, exec, s[16:17]
	v_cmp_gt_u32_e32 vcc, s18, v84
	s_and_saveexec_b64 s[16:17], vcc
	s_cbranch_execz .LBB1255_50
.LBB1255_65:                            ;   in Loop: Header=BB1255_21 Depth=2
	v_cmp_lt_i64_e32 vcc, -1, v[23:24]
	v_ashrrev_i32_e32 v39, 31, v24
	v_cndmask_b32_e32 v4, -1, v135, vcc
	v_xor_b32_e32 v40, v4, v24
	v_xor_b32_e32 v39, v39, v23
	v_cmp_ne_u64_e32 vcc, s[82:83], v[39:40]
	v_cndmask_b32_e32 v40, v135, v40, vcc
	v_cndmask_b32_e32 v39, 0, v39, vcc
	v_lshrrev_b64 v[39:40], s95, v[39:40]
	v_and_b32_e32 v4, s97, v39
	v_lshl_or_b32 v4, v4, 4, v93
	ds_add_u32 v4, v119
	s_or_b64 exec, exec, s[16:17]
	v_cmp_gt_u32_e32 vcc, s18, v85
	s_and_saveexec_b64 s[16:17], vcc
	s_cbranch_execz .LBB1255_51
.LBB1255_66:                            ;   in Loop: Header=BB1255_21 Depth=2
	v_cmp_lt_i64_e32 vcc, -1, v[21:22]
	v_ashrrev_i32_e32 v39, 31, v22
	v_cndmask_b32_e32 v4, -1, v135, vcc
	v_xor_b32_e32 v40, v4, v22
	v_xor_b32_e32 v39, v39, v21
	v_cmp_ne_u64_e32 vcc, s[82:83], v[39:40]
	v_cndmask_b32_e32 v40, v135, v40, vcc
	v_cndmask_b32_e32 v39, 0, v39, vcc
	v_lshrrev_b64 v[39:40], s95, v[39:40]
	v_and_b32_e32 v4, s97, v39
	v_lshl_or_b32 v4, v4, 4, v93
	ds_add_u32 v4, v119
	s_or_b64 exec, exec, s[16:17]
	v_cmp_gt_u32_e32 vcc, s18, v86
	s_and_saveexec_b64 s[16:17], vcc
	s_cbranch_execz .LBB1255_52
.LBB1255_67:                            ;   in Loop: Header=BB1255_21 Depth=2
	v_cmp_lt_i64_e32 vcc, -1, v[19:20]
	v_ashrrev_i32_e32 v39, 31, v20
	v_cndmask_b32_e32 v4, -1, v135, vcc
	v_xor_b32_e32 v40, v4, v20
	v_xor_b32_e32 v39, v39, v19
	v_cmp_ne_u64_e32 vcc, s[82:83], v[39:40]
	v_cndmask_b32_e32 v40, v135, v40, vcc
	v_cndmask_b32_e32 v39, 0, v39, vcc
	v_lshrrev_b64 v[39:40], s95, v[39:40]
	v_and_b32_e32 v4, s97, v39
	v_lshl_or_b32 v4, v4, 4, v93
	ds_add_u32 v4, v119
	s_or_b64 exec, exec, s[16:17]
	v_cmp_gt_u32_e32 vcc, s18, v87
	s_and_saveexec_b64 s[16:17], vcc
	s_cbranch_execz .LBB1255_53
.LBB1255_68:                            ;   in Loop: Header=BB1255_21 Depth=2
	v_cmp_lt_i64_e32 vcc, -1, v[17:18]
	v_ashrrev_i32_e32 v39, 31, v18
	v_cndmask_b32_e32 v4, -1, v135, vcc
	v_xor_b32_e32 v40, v4, v18
	v_xor_b32_e32 v39, v39, v17
	v_cmp_ne_u64_e32 vcc, s[82:83], v[39:40]
	v_cndmask_b32_e32 v40, v135, v40, vcc
	v_cndmask_b32_e32 v39, 0, v39, vcc
	v_lshrrev_b64 v[39:40], s95, v[39:40]
	v_and_b32_e32 v4, s97, v39
	v_lshl_or_b32 v4, v4, 4, v93
	ds_add_u32 v4, v119
	s_or_b64 exec, exec, s[16:17]
	v_cmp_gt_u32_e32 vcc, s18, v88
	s_and_saveexec_b64 s[16:17], vcc
	s_cbranch_execz .LBB1255_54
.LBB1255_69:                            ;   in Loop: Header=BB1255_21 Depth=2
	v_cmp_lt_i64_e32 vcc, -1, v[15:16]
	v_ashrrev_i32_e32 v39, 31, v16
	v_cndmask_b32_e32 v4, -1, v135, vcc
	v_xor_b32_e32 v40, v4, v16
	v_xor_b32_e32 v39, v39, v15
	v_cmp_ne_u64_e32 vcc, s[82:83], v[39:40]
	v_cndmask_b32_e32 v40, v135, v40, vcc
	v_cndmask_b32_e32 v39, 0, v39, vcc
	v_lshrrev_b64 v[39:40], s95, v[39:40]
	v_and_b32_e32 v4, s97, v39
	v_lshl_or_b32 v4, v4, 4, v93
	ds_add_u32 v4, v119
	s_or_b64 exec, exec, s[16:17]
	v_cmp_gt_u32_e32 vcc, s18, v89
	s_and_saveexec_b64 s[16:17], vcc
	s_cbranch_execz .LBB1255_55
.LBB1255_70:                            ;   in Loop: Header=BB1255_21 Depth=2
	v_cmp_lt_i64_e32 vcc, -1, v[13:14]
	v_ashrrev_i32_e32 v39, 31, v14
	v_cndmask_b32_e32 v4, -1, v135, vcc
	v_xor_b32_e32 v40, v4, v14
	v_xor_b32_e32 v39, v39, v13
	v_cmp_ne_u64_e32 vcc, s[82:83], v[39:40]
	v_cndmask_b32_e32 v40, v135, v40, vcc
	v_cndmask_b32_e32 v39, 0, v39, vcc
	v_lshrrev_b64 v[39:40], s95, v[39:40]
	v_and_b32_e32 v4, s97, v39
	v_lshl_or_b32 v4, v4, 4, v93
	ds_add_u32 v4, v119
	s_or_b64 exec, exec, s[16:17]
	v_cmp_gt_u32_e32 vcc, s18, v90
	s_and_saveexec_b64 s[16:17], vcc
	s_cbranch_execz .LBB1255_56
.LBB1255_71:                            ;   in Loop: Header=BB1255_21 Depth=2
	v_cmp_lt_i64_e32 vcc, -1, v[11:12]
	v_ashrrev_i32_e32 v39, 31, v12
	v_cndmask_b32_e32 v4, -1, v135, vcc
	v_xor_b32_e32 v40, v4, v12
	v_xor_b32_e32 v39, v39, v11
	v_cmp_ne_u64_e32 vcc, s[82:83], v[39:40]
	v_cndmask_b32_e32 v40, v135, v40, vcc
	v_cndmask_b32_e32 v39, 0, v39, vcc
	v_lshrrev_b64 v[39:40], s95, v[39:40]
	v_and_b32_e32 v4, s97, v39
	v_lshl_or_b32 v4, v4, 4, v93
	ds_add_u32 v4, v119
	s_or_b64 exec, exec, s[16:17]
	v_cmp_gt_u32_e32 vcc, s18, v91
	s_and_saveexec_b64 s[16:17], vcc
	s_cbranch_execz .LBB1255_57
.LBB1255_72:                            ;   in Loop: Header=BB1255_21 Depth=2
	v_cmp_lt_i64_e32 vcc, -1, v[9:10]
	v_ashrrev_i32_e32 v39, 31, v10
	v_cndmask_b32_e32 v4, -1, v135, vcc
	v_xor_b32_e32 v40, v4, v10
	v_xor_b32_e32 v39, v39, v9
	v_cmp_ne_u64_e32 vcc, s[82:83], v[39:40]
	v_cndmask_b32_e32 v40, v135, v40, vcc
	v_cndmask_b32_e32 v39, 0, v39, vcc
	v_lshrrev_b64 v[39:40], s95, v[39:40]
	v_and_b32_e32 v4, s97, v39
	v_lshl_or_b32 v4, v4, 4, v93
	ds_add_u32 v4, v119
	s_or_b64 exec, exec, s[16:17]
	v_cmp_gt_u32_e32 vcc, s18, v92
	s_and_saveexec_b64 s[16:17], vcc
	s_cbranch_execz .LBB1255_20
.LBB1255_73:                            ;   in Loop: Header=BB1255_21 Depth=2
	v_cmp_lt_i64_e32 vcc, -1, v[7:8]
	v_ashrrev_i32_e32 v39, 31, v8
	v_cndmask_b32_e32 v4, -1, v135, vcc
	v_xor_b32_e32 v40, v4, v8
	v_xor_b32_e32 v39, v39, v7
	v_cmp_ne_u64_e32 vcc, s[82:83], v[39:40]
	v_cndmask_b32_e32 v40, v135, v40, vcc
	v_cndmask_b32_e32 v39, 0, v39, vcc
	v_lshrrev_b64 v[39:40], s95, v[39:40]
	v_and_b32_e32 v4, s97, v39
	v_lshl_or_b32 v4, v4, 4, v93
	ds_add_u32 v4, v119
	s_branch .LBB1255_20
.LBB1255_74:                            ;   in Loop: Header=BB1255_21 Depth=2
	global_load_dwordx2 v[37:38], v120, s[16:17]
	s_or_b64 exec, exec, s[18:19]
	v_cmp_gt_u32_e32 vcc, s20, v76
	s_and_saveexec_b64 s[18:19], vcc
	s_cbranch_execz .LBB1255_26
.LBB1255_75:                            ;   in Loop: Header=BB1255_21 Depth=2
	global_load_dwordx2 v[35:36], v120, s[16:17] offset:2048
	s_or_b64 exec, exec, s[18:19]
	v_cmp_gt_u32_e32 vcc, s20, v77
	s_and_saveexec_b64 s[18:19], vcc
	s_cbranch_execz .LBB1255_27
.LBB1255_76:                            ;   in Loop: Header=BB1255_21 Depth=2
	global_load_dwordx2 v[33:34], v121, s[16:17]
	s_or_b64 exec, exec, s[18:19]
	v_cmp_gt_u32_e32 vcc, s20, v78
	s_and_saveexec_b64 s[18:19], vcc
	s_cbranch_execz .LBB1255_28
.LBB1255_77:                            ;   in Loop: Header=BB1255_21 Depth=2
	global_load_dwordx2 v[31:32], v122, s[16:17]
	s_or_b64 exec, exec, s[18:19]
	v_cmp_gt_u32_e32 vcc, s20, v81
	s_and_saveexec_b64 s[18:19], vcc
	s_cbranch_execz .LBB1255_29
.LBB1255_78:                            ;   in Loop: Header=BB1255_21 Depth=2
	global_load_dwordx2 v[29:30], v123, s[16:17]
	s_or_b64 exec, exec, s[18:19]
	v_cmp_gt_u32_e32 vcc, s20, v82
	s_and_saveexec_b64 s[18:19], vcc
	s_cbranch_execz .LBB1255_30
.LBB1255_79:                            ;   in Loop: Header=BB1255_21 Depth=2
	global_load_dwordx2 v[27:28], v124, s[16:17]
	s_or_b64 exec, exec, s[18:19]
	v_cmp_gt_u32_e32 vcc, s20, v83
	s_and_saveexec_b64 s[18:19], vcc
	s_cbranch_execz .LBB1255_31
.LBB1255_80:                            ;   in Loop: Header=BB1255_21 Depth=2
	global_load_dwordx2 v[25:26], v125, s[16:17]
	s_or_b64 exec, exec, s[18:19]
	v_cmp_gt_u32_e32 vcc, s20, v84
	s_and_saveexec_b64 s[18:19], vcc
	s_cbranch_execz .LBB1255_32
.LBB1255_81:                            ;   in Loop: Header=BB1255_21 Depth=2
	global_load_dwordx2 v[23:24], v126, s[16:17]
	s_or_b64 exec, exec, s[18:19]
	v_cmp_gt_u32_e32 vcc, s20, v85
	s_and_saveexec_b64 s[18:19], vcc
	s_cbranch_execz .LBB1255_33
.LBB1255_82:                            ;   in Loop: Header=BB1255_21 Depth=2
	global_load_dwordx2 v[21:22], v127, s[16:17]
	s_or_b64 exec, exec, s[18:19]
	v_cmp_gt_u32_e32 vcc, s20, v86
	s_and_saveexec_b64 s[18:19], vcc
	s_cbranch_execz .LBB1255_34
.LBB1255_83:                            ;   in Loop: Header=BB1255_21 Depth=2
	global_load_dwordx2 v[19:20], v128, s[16:17]
	s_or_b64 exec, exec, s[18:19]
	v_cmp_gt_u32_e32 vcc, s20, v87
	s_and_saveexec_b64 s[18:19], vcc
	s_cbranch_execz .LBB1255_35
.LBB1255_84:                            ;   in Loop: Header=BB1255_21 Depth=2
	global_load_dwordx2 v[17:18], v129, s[16:17]
	s_or_b64 exec, exec, s[18:19]
	v_cmp_gt_u32_e32 vcc, s20, v88
	s_and_saveexec_b64 s[18:19], vcc
	s_cbranch_execz .LBB1255_36
.LBB1255_85:                            ;   in Loop: Header=BB1255_21 Depth=2
	global_load_dwordx2 v[15:16], v130, s[16:17]
	s_or_b64 exec, exec, s[18:19]
	v_cmp_gt_u32_e32 vcc, s20, v89
	s_and_saveexec_b64 s[18:19], vcc
	s_cbranch_execz .LBB1255_37
.LBB1255_86:                            ;   in Loop: Header=BB1255_21 Depth=2
	global_load_dwordx2 v[13:14], v131, s[16:17]
	s_or_b64 exec, exec, s[18:19]
	v_cmp_gt_u32_e32 vcc, s20, v90
	s_and_saveexec_b64 s[18:19], vcc
	s_cbranch_execz .LBB1255_38
.LBB1255_87:                            ;   in Loop: Header=BB1255_21 Depth=2
	global_load_dwordx2 v[11:12], v132, s[16:17]
	s_or_b64 exec, exec, s[18:19]
	v_cmp_gt_u32_e32 vcc, s20, v91
	s_and_saveexec_b64 s[18:19], vcc
	s_cbranch_execz .LBB1255_39
.LBB1255_88:                            ;   in Loop: Header=BB1255_21 Depth=2
	global_load_dwordx2 v[9:10], v133, s[16:17]
	s_or_b64 exec, exec, s[18:19]
	v_cmp_gt_u32_e32 vcc, s20, v92
	s_and_saveexec_b64 s[18:19], vcc
	s_cbranch_execnz .LBB1255_40
	s_branch .LBB1255_41
.LBB1255_89:                            ;   in Loop: Header=BB1255_17 Depth=1
	v_mov_b32_e32 v4, 0
	s_waitcnt lgkmcnt(0)
	s_barrier
	s_and_saveexec_b64 s[16:17], s[4:5]
	s_cbranch_execz .LBB1255_91
; %bb.90:                               ;   in Loop: Header=BB1255_17 Depth=1
	ds_read2_b64 v[7:10], v94 offset1:1
	s_waitcnt lgkmcnt(0)
	v_add_u32_e32 v4, v8, v7
	v_add3_u32 v4, v4, v9, v10
.LBB1255_91:                            ;   in Loop: Header=BB1255_17 Depth=1
	s_or_b64 exec, exec, s[16:17]
	v_and_b32_e32 v7, 15, v136
	v_mov_b32_dpp v8, v4 row_shr:1 row_mask:0xf bank_mask:0xf
	v_cmp_eq_u32_e64 s[16:17], 0, v7
	v_cndmask_b32_e64 v8, v8, 0, s[16:17]
	v_add_u32_e32 v4, v8, v4
	v_cmp_lt_u32_e64 s[18:19], 1, v7
	v_cmp_lt_u32_e64 s[20:21], 3, v7
	v_mov_b32_dpp v8, v4 row_shr:2 row_mask:0xf bank_mask:0xf
	v_cndmask_b32_e64 v8, 0, v8, s[18:19]
	v_add_u32_e32 v4, v4, v8
	v_cmp_lt_u32_e64 s[22:23], 7, v7
	v_cmp_lt_u32_e64 s[26:27], 31, v136
	v_mov_b32_dpp v8, v4 row_shr:4 row_mask:0xf bank_mask:0xf
	v_cndmask_b32_e64 v8, 0, v8, s[20:21]
	v_add_u32_e32 v4, v4, v8
	v_and_b32_e32 v9, 16, v136
	v_cmp_eq_u32_e64 s[24:25], 0, v9
	v_mov_b32_dpp v8, v4 row_shr:8 row_mask:0xf bank_mask:0xf
	v_cndmask_b32_e64 v7, 0, v8, s[22:23]
	v_add_u32_e32 v4, v4, v7
	v_bfe_i32 v8, v136, 4, 1
	s_nop 0
	v_mov_b32_dpp v7, v4 row_bcast:15 row_mask:0xf bank_mask:0xf
	v_and_b32_e32 v7, v8, v7
	v_add_u32_e32 v4, v4, v7
	s_nop 1
	v_mov_b32_dpp v7, v4 row_bcast:31 row_mask:0xf bank_mask:0xf
	v_cndmask_b32_e64 v7, 0, v7, s[26:27]
	v_add_u32_e32 v7, v4, v7
	s_and_saveexec_b64 s[28:29], s[6:7]
; %bb.92:                               ;   in Loop: Header=BB1255_17 Depth=1
	ds_write_b32 v96, v7
; %bb.93:                               ;   in Loop: Header=BB1255_17 Depth=1
	s_or_b64 exec, exec, s[28:29]
	v_and_b32_e32 v4, 3, v136
	s_waitcnt lgkmcnt(0)
	s_barrier
	s_and_saveexec_b64 s[28:29], s[8:9]
	s_cbranch_execz .LBB1255_95
; %bb.94:                               ;   in Loop: Header=BB1255_17 Depth=1
	ds_read_b32 v8, v97
	v_cmp_ne_u32_e32 vcc, 0, v4
	s_waitcnt lgkmcnt(0)
	v_mov_b32_dpp v9, v8 row_shr:1 row_mask:0xf bank_mask:0xf
	v_cndmask_b32_e32 v9, 0, v9, vcc
	v_add_u32_e32 v8, v9, v8
	v_cmp_lt_u32_e32 vcc, 1, v4
	s_nop 0
	v_mov_b32_dpp v9, v8 row_shr:2 row_mask:0xf bank_mask:0xf
	v_cndmask_b32_e32 v9, 0, v9, vcc
	v_add_u32_e32 v8, v8, v9
	ds_write_b32 v97, v8
.LBB1255_95:                            ;   in Loop: Header=BB1255_17 Depth=1
	s_or_b64 exec, exec, s[28:29]
	v_mov_b32_e32 v8, 0
	s_waitcnt lgkmcnt(0)
	s_barrier
	s_and_saveexec_b64 s[28:29], s[10:11]
; %bb.96:                               ;   in Loop: Header=BB1255_17 Depth=1
	ds_read_b32 v8, v98
; %bb.97:                               ;   in Loop: Header=BB1255_17 Depth=1
	s_or_b64 exec, exec, s[28:29]
	v_subrev_co_u32_e64 v9, s[28:29], 1, v136
	v_and_b32_e32 v10, 64, v136
	v_cmp_lt_i32_e32 vcc, v9, v10
	v_cndmask_b32_e32 v9, v9, v136, vcc
	s_waitcnt lgkmcnt(0)
	v_add_u32_e32 v7, v8, v7
	v_lshlrev_b32_e32 v137, 2, v9
	ds_bpermute_b32 v7, v137, v7
	s_waitcnt lgkmcnt(0)
	s_barrier
	s_and_saveexec_b64 s[30:31], s[4:5]
; %bb.98:                               ;   in Loop: Header=BB1255_17 Depth=1
	v_cndmask_b32_e64 v7, v7, v8, s[28:29]
	v_add_u32_e32 v7, s69, v7
	ds_write_b32 v75, v7
; %bb.99:                               ;   in Loop: Header=BB1255_17 Depth=1
	s_or_b64 exec, exec, s[30:31]
	s_load_dword s30, s[74:75], 0x4
	s_load_dword s36, s[74:75], 0xc
	v_cmp_lt_u32_e64 s[34:35], 1, v4
	s_mov_b32 s98, s91
	s_mov_b32 s72, s69
	s_waitcnt lgkmcnt(0)
	s_cmp_lt_u32 s33, s30
	s_cselect_b32 s30, 14, 20
	s_add_u32 s30, s74, s30
	s_addc_u32 s31, s75, 0
	global_load_ushort v39, v3, s[30:31]
	v_cmp_eq_u32_e64 s[30:31], 0, v4
	v_and_b32_e32 v4, 63, v136
	v_lshlrev_b32_e32 v41, 3, v4
	v_or_b32_e32 v145, v4, v99
	s_and_b32 s36, s36, 0xffff
	v_add_co_u32_e32 v147, vcc, v102, v41
	v_addc_co_u32_e32 v149, vcc, 0, v103, vcc
	v_add_co_u32_e32 v172, vcc, v104, v41
	v_or_b32_e32 v151, 64, v145
	v_or_b32_e32 v153, 0x80, v145
	;; [unrolled: 1-line block ×15, first 2 shown]
	v_addc_co_u32_e32 v173, vcc, 0, v105, vcc
                                        ; implicit-def: $vgpr7_vgpr8
                                        ; implicit-def: $vgpr9_vgpr10
                                        ; implicit-def: $vgpr11_vgpr12
                                        ; implicit-def: $vgpr15_vgpr16
                                        ; implicit-def: $vgpr19_vgpr20
                                        ; implicit-def: $vgpr23_vgpr24
                                        ; implicit-def: $vgpr27_vgpr28
                                        ; implicit-def: $vgpr31_vgpr32
                                        ; implicit-def: $vgpr13_vgpr14
                                        ; implicit-def: $vgpr17_vgpr18
                                        ; implicit-def: $vgpr21_vgpr22
                                        ; implicit-def: $vgpr25_vgpr26
                                        ; implicit-def: $vgpr29_vgpr30
                                        ; implicit-def: $vgpr33_vgpr34
                                        ; implicit-def: $vgpr35_vgpr36
                                        ; implicit-def: $vgpr37_vgpr38
                                        ; implicit-def: $vgpr138
                                        ; implicit-def: $vgpr139
                                        ; implicit-def: $vgpr140
                                        ; implicit-def: $vgpr141
                                        ; implicit-def: $vgpr142
                                        ; implicit-def: $vgpr143
                                        ; implicit-def: $vgpr144
                                        ; implicit-def: $vgpr146
                                        ; implicit-def: $vgpr148
                                        ; implicit-def: $vgpr150
                                        ; implicit-def: $vgpr152
                                        ; implicit-def: $vgpr154
                                        ; implicit-def: $vgpr156
                                        ; implicit-def: $vgpr158
                                        ; implicit-def: $vgpr160
                                        ; implicit-def: $vgpr162
	s_waitcnt vmcnt(0)
	v_mad_u32_u24 v4, v2, v39, v1
	v_mad_u64_u32 v[39:40], s[36:37], v4, s36, v[0:1]
	v_lshrrev_b32_e32 v4, 4, v39
	v_and_b32_e32 v174, 0xffffffc, v4
	s_branch .LBB1255_101
.LBB1255_100:                           ;   in Loop: Header=BB1255_101 Depth=2
	s_or_b64 exec, exec, s[36:37]
	s_addk_i32 s98, 0xf000
	s_cmp_lt_u32 s99, s94
	s_mov_b32 s72, s99
	s_cbranch_scc0 .LBB1255_309
.LBB1255_101:                           ;   Parent Loop BB1255_17 Depth=1
                                        ; =>  This Inner Loop Header: Depth=2
	s_add_i32 s99, s72, 0x1000
	s_cmp_gt_u32 s99, s94
	s_cbranch_scc1 .LBB1255_103
; %bb.102:                              ;   in Loop: Header=BB1255_101 Depth=2
	s_lshl_b64 s[36:37], s[72:73], 3
	v_mov_b32_e32 v4, s37
	v_add_co_u32_e32 v43, vcc, s36, v172
	v_addc_co_u32_e32 v44, vcc, v173, v4, vcc
	global_load_dwordx2 v[39:40], v[43:44], off
	global_load_dwordx2 v[41:42], v[43:44], off offset:512
	global_load_dwordx2 v[47:48], v[43:44], off offset:1024
	;; [unrolled: 1-line block ×7, first 2 shown]
	v_add_co_u32_e32 v43, vcc, 0x1000, v43
	v_addc_co_u32_e32 v44, vcc, 0, v44, vcc
	global_load_dwordx2 v[69:70], v[43:44], off
	global_load_dwordx2 v[65:66], v[43:44], off offset:512
	global_load_dwordx2 v[61:62], v[43:44], off offset:1024
	;; [unrolled: 1-line block ×5, first 2 shown]
	s_nop 0
	global_load_dwordx2 v[43:44], v[43:44], off offset:3072
	s_mov_b64 s[36:37], -1
	s_movk_i32 s40, 0x1000
	s_cbranch_execz .LBB1255_104
	s_branch .LBB1255_135
.LBB1255_103:                           ;   in Loop: Header=BB1255_101 Depth=2
	s_mov_b64 s[36:37], 0
                                        ; implicit-def: $vgpr39_vgpr40
                                        ; implicit-def: $vgpr41_vgpr42
                                        ; implicit-def: $vgpr47_vgpr48
                                        ; implicit-def: $vgpr51_vgpr52
                                        ; implicit-def: $vgpr55_vgpr56
                                        ; implicit-def: $vgpr59_vgpr60
                                        ; implicit-def: $vgpr63_vgpr64
                                        ; implicit-def: $vgpr67_vgpr68
                                        ; implicit-def: $vgpr69_vgpr70
                                        ; implicit-def: $vgpr65_vgpr66
                                        ; implicit-def: $vgpr61_vgpr62
                                        ; implicit-def: $vgpr57_vgpr58
                                        ; implicit-def: $vgpr53_vgpr54
                                        ; implicit-def: $vgpr49_vgpr50
                                        ; implicit-def: $vgpr43_vgpr44
	s_movk_i32 s40, 0x1000
.LBB1255_104:                           ;   in Loop: Header=BB1255_101 Depth=2
	s_lshl_b64 s[36:37], s[72:73], 3
	v_mov_b32_e32 v4, s37
	v_add_co_u32_e32 v45, vcc, s36, v172
	s_waitcnt vmcnt(13)
	v_mov_b32_e32 v41, v5
	v_addc_co_u32_e32 v46, vcc, v173, v4, vcc
	v_mov_b32_e32 v42, v6
	v_mov_b32_e32 v39, v41
	v_cmp_gt_u32_e32 vcc, s98, v145
	v_mov_b32_e32 v40, v42
	s_and_saveexec_b64 s[36:37], vcc
	s_cbranch_execz .LBB1255_106
; %bb.105:                              ;   in Loop: Header=BB1255_101 Depth=2
	global_load_dwordx2 v[39:40], v[45:46], off
.LBB1255_106:                           ;   in Loop: Header=BB1255_101 Depth=2
	s_or_b64 exec, exec, s[36:37]
	v_cmp_gt_u32_e32 vcc, s98, v151
	s_and_saveexec_b64 s[36:37], vcc
	s_cbranch_execz .LBB1255_108
; %bb.107:                              ;   in Loop: Header=BB1255_101 Depth=2
	global_load_dwordx2 v[41:42], v[45:46], off offset:512
.LBB1255_108:                           ;   in Loop: Header=BB1255_101 Depth=2
	s_or_b64 exec, exec, s[36:37]
	s_waitcnt vmcnt(12)
	v_mov_b32_e32 v48, v6
	v_cmp_gt_u32_e32 vcc, s98, v153
	v_mov_b32_e32 v47, v5
	s_and_saveexec_b64 s[36:37], vcc
	s_cbranch_execz .LBB1255_110
; %bb.109:                              ;   in Loop: Header=BB1255_101 Depth=2
	global_load_dwordx2 v[47:48], v[45:46], off offset:1024
.LBB1255_110:                           ;   in Loop: Header=BB1255_101 Depth=2
	s_or_b64 exec, exec, s[36:37]
	s_waitcnt vmcnt(11)
	v_mov_b32_e32 v52, v6
	v_cmp_gt_u32_e32 vcc, s98, v155
	v_mov_b32_e32 v51, v5
	;; [unrolled: 10-line block ×7, first 2 shown]
	s_and_saveexec_b64 s[36:37], vcc
	s_cbranch_execz .LBB1255_122
; %bb.121:                              ;   in Loop: Header=BB1255_101 Depth=2
	s_waitcnt vmcnt(0)
	v_add_co_u32_e32 v43, vcc, 0x1000, v45
	v_addc_co_u32_e32 v44, vcc, 0, v46, vcc
	global_load_dwordx2 v[69:70], v[43:44], off
.LBB1255_122:                           ;   in Loop: Header=BB1255_101 Depth=2
	s_or_b64 exec, exec, s[36:37]
	s_waitcnt vmcnt(5)
	v_mov_b32_e32 v66, v6
	v_cmp_gt_u32_e32 vcc, s98, v165
	v_mov_b32_e32 v65, v5
	s_and_saveexec_b64 s[36:37], vcc
	s_cbranch_execz .LBB1255_124
; %bb.123:                              ;   in Loop: Header=BB1255_101 Depth=2
	s_waitcnt vmcnt(0)
	v_add_co_u32_e32 v43, vcc, 0x1000, v45
	v_addc_co_u32_e32 v44, vcc, 0, v46, vcc
	global_load_dwordx2 v[65:66], v[43:44], off offset:512
.LBB1255_124:                           ;   in Loop: Header=BB1255_101 Depth=2
	s_or_b64 exec, exec, s[36:37]
	s_waitcnt vmcnt(4)
	v_mov_b32_e32 v62, v6
	v_cmp_gt_u32_e32 vcc, s98, v166
	v_mov_b32_e32 v61, v5
	s_and_saveexec_b64 s[36:37], vcc
	s_cbranch_execz .LBB1255_126
; %bb.125:                              ;   in Loop: Header=BB1255_101 Depth=2
	s_waitcnt vmcnt(0)
	v_add_co_u32_e32 v43, vcc, 0x1000, v45
	v_addc_co_u32_e32 v44, vcc, 0, v46, vcc
	global_load_dwordx2 v[61:62], v[43:44], off offset:1024
.LBB1255_126:                           ;   in Loop: Header=BB1255_101 Depth=2
	;; [unrolled: 13-line block ×5, first 2 shown]
	s_or_b64 exec, exec, s[36:37]
	s_waitcnt vmcnt(0)
	v_mov_b32_e32 v44, v6
	v_cmp_gt_u32_e32 vcc, s98, v170
	v_mov_b32_e32 v43, v5
	s_and_saveexec_b64 s[36:37], vcc
	s_cbranch_execz .LBB1255_134
; %bb.133:                              ;   in Loop: Header=BB1255_101 Depth=2
	v_add_co_u32_e32 v43, vcc, 0x1000, v45
	v_addc_co_u32_e32 v44, vcc, 0, v46, vcc
	global_load_dwordx2 v[43:44], v[43:44], off offset:3072
.LBB1255_134:                           ;   in Loop: Header=BB1255_101 Depth=2
	s_or_b64 exec, exec, s[36:37]
	s_sub_i32 s40, s94, s72
	v_cmp_gt_u32_e64 s[36:37], s98, v171
.LBB1255_135:                           ;   in Loop: Header=BB1255_101 Depth=2
	v_mov_b32_e32 v46, v6
	v_mov_b32_e32 v175, s98
	;; [unrolled: 1-line block ×3, first 2 shown]
	s_and_saveexec_b64 s[38:39], s[36:37]
	s_cbranch_execz .LBB1255_137
; %bb.136:                              ;   in Loop: Header=BB1255_101 Depth=2
	s_lshl_b64 s[36:37], s[72:73], 3
	v_mov_b32_e32 v4, s37
	v_add_co_u32_e32 v45, vcc, s36, v172
	v_addc_co_u32_e32 v4, vcc, v173, v4, vcc
	v_add_co_u32_e32 v45, vcc, 0x1000, v45
	v_addc_co_u32_e32 v46, vcc, 0, v4, vcc
	global_load_dwordx2 v[45:46], v[45:46], off offset:3584
	v_mov_b32_e32 v175, s40
.LBB1255_137:                           ;   in Loop: Header=BB1255_101 Depth=2
	s_or_b64 exec, exec, s[38:39]
	s_waitcnt vmcnt(14)
	v_cmp_lt_i64_e32 vcc, -1, v[39:40]
	v_ashrrev_i32_e32 v71, 31, v40
	v_cndmask_b32_e32 v4, -1, v135, vcc
	v_xor_b32_e32 v40, v4, v40
	v_xor_b32_e32 v39, v71, v39
	v_cmp_ne_u64_e32 vcc, s[82:83], v[39:40]
	v_add_u32_e32 v177, 0x410, v100
	v_cndmask_b32_e32 v72, v135, v40, vcc
	v_cndmask_b32_e32 v71, 0, v39, vcc
	v_lshrrev_b64 v[71:72], s95, v[71:72]
	v_add_u32_e32 v176, 0x418, v100
	v_and_b32_e32 v71, s97, v71
	v_and_b32_e32 v4, 1, v71
	v_add_co_u32_e32 v72, vcc, -1, v4
	v_addc_co_u32_e64 v74, s[36:37], 0, -1, vcc
	v_cmp_ne_u32_e32 vcc, 0, v4
	v_xor_b32_e32 v4, vcc_hi, v74
	v_and_b32_e32 v74, exec_hi, v4
	v_lshlrev_b32_e32 v4, 30, v71
	v_xor_b32_e32 v72, vcc_lo, v72
	v_cmp_gt_i64_e32 vcc, 0, v[3:4]
	v_not_b32_e32 v4, v4
	v_ashrrev_i32_e32 v4, 31, v4
	v_and_b32_e32 v72, exec_lo, v72
	v_xor_b32_e32 v178, vcc_hi, v4
	v_xor_b32_e32 v4, vcc_lo, v4
	v_and_b32_e32 v72, v72, v4
	v_lshlrev_b32_e32 v4, 29, v71
	v_cmp_gt_i64_e32 vcc, 0, v[3:4]
	v_not_b32_e32 v4, v4
	v_ashrrev_i32_e32 v4, 31, v4
	v_and_b32_e32 v74, v74, v178
	v_xor_b32_e32 v178, vcc_hi, v4
	v_xor_b32_e32 v4, vcc_lo, v4
	v_and_b32_e32 v72, v72, v4
	v_lshlrev_b32_e32 v4, 28, v71
	v_cmp_gt_i64_e32 vcc, 0, v[3:4]
	v_not_b32_e32 v4, v4
	v_ashrrev_i32_e32 v4, 31, v4
	v_and_b32_e32 v74, v74, v178
	;; [unrolled: 8-line block ×5, first 2 shown]
	v_xor_b32_e32 v178, vcc_hi, v4
	v_xor_b32_e32 v4, vcc_lo, v4
	v_and_b32_e32 v74, v74, v178
	v_and_b32_e32 v178, v72, v4
	v_lshlrev_b32_e32 v4, 24, v71
	v_cmp_gt_i64_e32 vcc, 0, v[3:4]
	v_not_b32_e32 v4, v4
	v_ashrrev_i32_e32 v4, 31, v4
	v_mul_u32_u24_e32 v73, 20, v71
	v_xor_b32_e32 v71, vcc_hi, v4
	v_xor_b32_e32 v4, vcc_lo, v4
	v_and_b32_e32 v72, v74, v71
	v_and_b32_e32 v71, v178, v4
	v_mbcnt_lo_u32_b32 v4, v71, 0
	v_mbcnt_hi_u32_b32 v178, v72, v4
	v_cmp_ne_u64_e32 vcc, 0, v[71:72]
	v_cmp_eq_u32_e64 s[36:37], 0, v178
	s_and_b64 s[38:39], vcc, s[36:37]
	v_add_u32_e32 v180, v174, v73
	ds_write2_b32 v177, v3, v3 offset1:1
	ds_write2_b32 v176, v3, v3 offset1:1
	ds_write_b32 v100, v3 offset:1056
	s_waitcnt vmcnt(0) lgkmcnt(0)
	s_barrier
	; wave barrier
	s_and_saveexec_b64 s[36:37], s[38:39]
; %bb.138:                              ;   in Loop: Header=BB1255_101 Depth=2
	v_bcnt_u32_b32 v4, v71, 0
	v_bcnt_u32_b32 v4, v72, v4
	ds_write_b32 v180, v4 offset:1040
; %bb.139:                              ;   in Loop: Header=BB1255_101 Depth=2
	s_or_b64 exec, exec, s[36:37]
	v_cmp_lt_i64_e32 vcc, -1, v[41:42]
	v_ashrrev_i32_e32 v71, 31, v42
	v_cndmask_b32_e32 v4, -1, v135, vcc
	v_xor_b32_e32 v42, v4, v42
	v_xor_b32_e32 v41, v71, v41
	v_cmp_ne_u64_e32 vcc, s[82:83], v[41:42]
	v_cndmask_b32_e32 v72, v135, v42, vcc
	v_cndmask_b32_e32 v71, 0, v41, vcc
	v_lshrrev_b64 v[71:72], s95, v[71:72]
	; wave barrier
	v_and_b32_e32 v71, s97, v71
	v_mad_u32_u24 v4, v71, 20, v174
	ds_read_b32 v179, v4 offset:1040
	v_and_b32_e32 v4, 1, v71
	v_add_co_u32_e32 v72, vcc, -1, v4
	v_addc_co_u32_e64 v74, s[36:37], 0, -1, vcc
	v_cmp_ne_u32_e32 vcc, 0, v4
	v_xor_b32_e32 v4, vcc_hi, v74
	v_and_b32_e32 v74, exec_hi, v4
	v_lshlrev_b32_e32 v4, 30, v71
	v_xor_b32_e32 v72, vcc_lo, v72
	v_cmp_gt_i64_e32 vcc, 0, v[3:4]
	v_not_b32_e32 v4, v4
	v_ashrrev_i32_e32 v4, 31, v4
	v_and_b32_e32 v72, exec_lo, v72
	v_xor_b32_e32 v181, vcc_hi, v4
	v_xor_b32_e32 v4, vcc_lo, v4
	v_and_b32_e32 v72, v72, v4
	v_lshlrev_b32_e32 v4, 29, v71
	v_cmp_gt_i64_e32 vcc, 0, v[3:4]
	v_not_b32_e32 v4, v4
	v_ashrrev_i32_e32 v4, 31, v4
	v_and_b32_e32 v74, v74, v181
	v_xor_b32_e32 v181, vcc_hi, v4
	v_xor_b32_e32 v4, vcc_lo, v4
	v_and_b32_e32 v72, v72, v4
	v_lshlrev_b32_e32 v4, 28, v71
	v_cmp_gt_i64_e32 vcc, 0, v[3:4]
	v_not_b32_e32 v4, v4
	v_ashrrev_i32_e32 v4, 31, v4
	v_and_b32_e32 v74, v74, v181
	;; [unrolled: 8-line block ×5, first 2 shown]
	v_xor_b32_e32 v181, vcc_hi, v4
	v_xor_b32_e32 v4, vcc_lo, v4
	v_and_b32_e32 v74, v74, v181
	v_and_b32_e32 v181, v72, v4
	v_lshlrev_b32_e32 v4, 24, v71
	v_cmp_gt_i64_e32 vcc, 0, v[3:4]
	v_not_b32_e32 v4, v4
	v_ashrrev_i32_e32 v4, 31, v4
	v_mul_u32_u24_e32 v73, 20, v71
	v_xor_b32_e32 v71, vcc_hi, v4
	v_xor_b32_e32 v4, vcc_lo, v4
	v_and_b32_e32 v72, v74, v71
	v_and_b32_e32 v71, v181, v4
	v_mbcnt_lo_u32_b32 v4, v71, 0
	v_mbcnt_hi_u32_b32 v181, v72, v4
	v_cmp_ne_u64_e32 vcc, 0, v[71:72]
	v_cmp_eq_u32_e64 s[36:37], 0, v181
	s_and_b64 s[38:39], vcc, s[36:37]
	v_add_u32_e32 v183, v174, v73
	; wave barrier
	s_and_saveexec_b64 s[36:37], s[38:39]
	s_cbranch_execz .LBB1255_141
; %bb.140:                              ;   in Loop: Header=BB1255_101 Depth=2
	v_bcnt_u32_b32 v4, v71, 0
	v_bcnt_u32_b32 v4, v72, v4
	s_waitcnt lgkmcnt(0)
	v_add_u32_e32 v4, v179, v4
	ds_write_b32 v183, v4 offset:1040
.LBB1255_141:                           ;   in Loop: Header=BB1255_101 Depth=2
	s_or_b64 exec, exec, s[36:37]
	v_cmp_lt_i64_e32 vcc, -1, v[47:48]
	v_ashrrev_i32_e32 v71, 31, v48
	v_cndmask_b32_e32 v4, -1, v135, vcc
	v_xor_b32_e32 v48, v4, v48
	v_xor_b32_e32 v47, v71, v47
	v_cmp_ne_u64_e32 vcc, s[82:83], v[47:48]
	v_cndmask_b32_e32 v72, v135, v48, vcc
	v_cndmask_b32_e32 v71, 0, v47, vcc
	v_lshrrev_b64 v[71:72], s95, v[71:72]
	; wave barrier
	v_and_b32_e32 v71, s97, v71
	v_mad_u32_u24 v4, v71, 20, v174
	ds_read_b32 v182, v4 offset:1040
	v_and_b32_e32 v4, 1, v71
	v_add_co_u32_e32 v72, vcc, -1, v4
	v_addc_co_u32_e64 v74, s[36:37], 0, -1, vcc
	v_cmp_ne_u32_e32 vcc, 0, v4
	v_xor_b32_e32 v4, vcc_hi, v74
	v_and_b32_e32 v74, exec_hi, v4
	v_lshlrev_b32_e32 v4, 30, v71
	v_xor_b32_e32 v72, vcc_lo, v72
	v_cmp_gt_i64_e32 vcc, 0, v[3:4]
	v_not_b32_e32 v4, v4
	v_ashrrev_i32_e32 v4, 31, v4
	v_and_b32_e32 v72, exec_lo, v72
	v_xor_b32_e32 v184, vcc_hi, v4
	v_xor_b32_e32 v4, vcc_lo, v4
	v_and_b32_e32 v72, v72, v4
	v_lshlrev_b32_e32 v4, 29, v71
	v_cmp_gt_i64_e32 vcc, 0, v[3:4]
	v_not_b32_e32 v4, v4
	v_ashrrev_i32_e32 v4, 31, v4
	v_and_b32_e32 v74, v74, v184
	v_xor_b32_e32 v184, vcc_hi, v4
	v_xor_b32_e32 v4, vcc_lo, v4
	v_and_b32_e32 v72, v72, v4
	v_lshlrev_b32_e32 v4, 28, v71
	v_cmp_gt_i64_e32 vcc, 0, v[3:4]
	v_not_b32_e32 v4, v4
	v_ashrrev_i32_e32 v4, 31, v4
	v_and_b32_e32 v74, v74, v184
	;; [unrolled: 8-line block ×5, first 2 shown]
	v_xor_b32_e32 v184, vcc_hi, v4
	v_xor_b32_e32 v4, vcc_lo, v4
	v_and_b32_e32 v74, v74, v184
	v_and_b32_e32 v184, v72, v4
	v_lshlrev_b32_e32 v4, 24, v71
	v_cmp_gt_i64_e32 vcc, 0, v[3:4]
	v_not_b32_e32 v4, v4
	v_ashrrev_i32_e32 v4, 31, v4
	v_mul_u32_u24_e32 v73, 20, v71
	v_xor_b32_e32 v71, vcc_hi, v4
	v_xor_b32_e32 v4, vcc_lo, v4
	v_and_b32_e32 v72, v74, v71
	v_and_b32_e32 v71, v184, v4
	v_mbcnt_lo_u32_b32 v4, v71, 0
	v_mbcnt_hi_u32_b32 v184, v72, v4
	v_cmp_ne_u64_e32 vcc, 0, v[71:72]
	v_cmp_eq_u32_e64 s[36:37], 0, v184
	s_and_b64 s[38:39], vcc, s[36:37]
	v_add_u32_e32 v186, v174, v73
	; wave barrier
	s_and_saveexec_b64 s[36:37], s[38:39]
	s_cbranch_execz .LBB1255_143
; %bb.142:                              ;   in Loop: Header=BB1255_101 Depth=2
	v_bcnt_u32_b32 v4, v71, 0
	v_bcnt_u32_b32 v4, v72, v4
	s_waitcnt lgkmcnt(0)
	v_add_u32_e32 v4, v182, v4
	ds_write_b32 v186, v4 offset:1040
.LBB1255_143:                           ;   in Loop: Header=BB1255_101 Depth=2
	s_or_b64 exec, exec, s[36:37]
	v_cmp_lt_i64_e32 vcc, -1, v[51:52]
	v_ashrrev_i32_e32 v71, 31, v52
	v_cndmask_b32_e32 v4, -1, v135, vcc
	v_xor_b32_e32 v52, v4, v52
	v_xor_b32_e32 v51, v71, v51
	v_cmp_ne_u64_e32 vcc, s[82:83], v[51:52]
	v_cndmask_b32_e32 v72, v135, v52, vcc
	v_cndmask_b32_e32 v71, 0, v51, vcc
	v_lshrrev_b64 v[71:72], s95, v[71:72]
	; wave barrier
	v_and_b32_e32 v71, s97, v71
	v_mad_u32_u24 v4, v71, 20, v174
	ds_read_b32 v185, v4 offset:1040
	v_and_b32_e32 v4, 1, v71
	v_add_co_u32_e32 v72, vcc, -1, v4
	v_addc_co_u32_e64 v74, s[36:37], 0, -1, vcc
	v_cmp_ne_u32_e32 vcc, 0, v4
	v_xor_b32_e32 v4, vcc_hi, v74
	v_and_b32_e32 v74, exec_hi, v4
	v_lshlrev_b32_e32 v4, 30, v71
	v_xor_b32_e32 v72, vcc_lo, v72
	v_cmp_gt_i64_e32 vcc, 0, v[3:4]
	v_not_b32_e32 v4, v4
	v_ashrrev_i32_e32 v4, 31, v4
	v_and_b32_e32 v72, exec_lo, v72
	v_xor_b32_e32 v187, vcc_hi, v4
	v_xor_b32_e32 v4, vcc_lo, v4
	v_and_b32_e32 v72, v72, v4
	v_lshlrev_b32_e32 v4, 29, v71
	v_cmp_gt_i64_e32 vcc, 0, v[3:4]
	v_not_b32_e32 v4, v4
	v_ashrrev_i32_e32 v4, 31, v4
	v_and_b32_e32 v74, v74, v187
	v_xor_b32_e32 v187, vcc_hi, v4
	v_xor_b32_e32 v4, vcc_lo, v4
	v_and_b32_e32 v72, v72, v4
	v_lshlrev_b32_e32 v4, 28, v71
	v_cmp_gt_i64_e32 vcc, 0, v[3:4]
	v_not_b32_e32 v4, v4
	v_ashrrev_i32_e32 v4, 31, v4
	v_and_b32_e32 v74, v74, v187
	;; [unrolled: 8-line block ×5, first 2 shown]
	v_xor_b32_e32 v187, vcc_hi, v4
	v_xor_b32_e32 v4, vcc_lo, v4
	v_and_b32_e32 v74, v74, v187
	v_and_b32_e32 v187, v72, v4
	v_lshlrev_b32_e32 v4, 24, v71
	v_cmp_gt_i64_e32 vcc, 0, v[3:4]
	v_not_b32_e32 v4, v4
	v_ashrrev_i32_e32 v4, 31, v4
	v_mul_u32_u24_e32 v73, 20, v71
	v_xor_b32_e32 v71, vcc_hi, v4
	v_xor_b32_e32 v4, vcc_lo, v4
	v_and_b32_e32 v72, v74, v71
	v_and_b32_e32 v71, v187, v4
	v_mbcnt_lo_u32_b32 v4, v71, 0
	v_mbcnt_hi_u32_b32 v187, v72, v4
	v_cmp_ne_u64_e32 vcc, 0, v[71:72]
	v_cmp_eq_u32_e64 s[36:37], 0, v187
	s_and_b64 s[38:39], vcc, s[36:37]
	v_add_u32_e32 v189, v174, v73
	; wave barrier
	s_and_saveexec_b64 s[36:37], s[38:39]
	s_cbranch_execz .LBB1255_145
; %bb.144:                              ;   in Loop: Header=BB1255_101 Depth=2
	v_bcnt_u32_b32 v4, v71, 0
	v_bcnt_u32_b32 v4, v72, v4
	s_waitcnt lgkmcnt(0)
	v_add_u32_e32 v4, v185, v4
	ds_write_b32 v189, v4 offset:1040
.LBB1255_145:                           ;   in Loop: Header=BB1255_101 Depth=2
	s_or_b64 exec, exec, s[36:37]
	v_cmp_lt_i64_e32 vcc, -1, v[55:56]
	v_ashrrev_i32_e32 v71, 31, v56
	v_cndmask_b32_e32 v4, -1, v135, vcc
	v_xor_b32_e32 v56, v4, v56
	v_xor_b32_e32 v55, v71, v55
	v_cmp_ne_u64_e32 vcc, s[82:83], v[55:56]
	v_cndmask_b32_e32 v72, v135, v56, vcc
	v_cndmask_b32_e32 v71, 0, v55, vcc
	v_lshrrev_b64 v[71:72], s95, v[71:72]
	; wave barrier
	v_and_b32_e32 v71, s97, v71
	v_mad_u32_u24 v4, v71, 20, v174
	ds_read_b32 v188, v4 offset:1040
	v_and_b32_e32 v4, 1, v71
	v_add_co_u32_e32 v72, vcc, -1, v4
	v_addc_co_u32_e64 v74, s[36:37], 0, -1, vcc
	v_cmp_ne_u32_e32 vcc, 0, v4
	v_xor_b32_e32 v4, vcc_hi, v74
	v_and_b32_e32 v74, exec_hi, v4
	v_lshlrev_b32_e32 v4, 30, v71
	v_xor_b32_e32 v72, vcc_lo, v72
	v_cmp_gt_i64_e32 vcc, 0, v[3:4]
	v_not_b32_e32 v4, v4
	v_ashrrev_i32_e32 v4, 31, v4
	v_and_b32_e32 v72, exec_lo, v72
	v_xor_b32_e32 v190, vcc_hi, v4
	v_xor_b32_e32 v4, vcc_lo, v4
	v_and_b32_e32 v72, v72, v4
	v_lshlrev_b32_e32 v4, 29, v71
	v_cmp_gt_i64_e32 vcc, 0, v[3:4]
	v_not_b32_e32 v4, v4
	v_ashrrev_i32_e32 v4, 31, v4
	v_and_b32_e32 v74, v74, v190
	v_xor_b32_e32 v190, vcc_hi, v4
	v_xor_b32_e32 v4, vcc_lo, v4
	v_and_b32_e32 v72, v72, v4
	v_lshlrev_b32_e32 v4, 28, v71
	v_cmp_gt_i64_e32 vcc, 0, v[3:4]
	v_not_b32_e32 v4, v4
	v_ashrrev_i32_e32 v4, 31, v4
	v_and_b32_e32 v74, v74, v190
	;; [unrolled: 8-line block ×5, first 2 shown]
	v_xor_b32_e32 v190, vcc_hi, v4
	v_xor_b32_e32 v4, vcc_lo, v4
	v_and_b32_e32 v74, v74, v190
	v_and_b32_e32 v190, v72, v4
	v_lshlrev_b32_e32 v4, 24, v71
	v_cmp_gt_i64_e32 vcc, 0, v[3:4]
	v_not_b32_e32 v4, v4
	v_ashrrev_i32_e32 v4, 31, v4
	v_mul_u32_u24_e32 v73, 20, v71
	v_xor_b32_e32 v71, vcc_hi, v4
	v_xor_b32_e32 v4, vcc_lo, v4
	v_and_b32_e32 v72, v74, v71
	v_and_b32_e32 v71, v190, v4
	v_mbcnt_lo_u32_b32 v4, v71, 0
	v_mbcnt_hi_u32_b32 v190, v72, v4
	v_cmp_ne_u64_e32 vcc, 0, v[71:72]
	v_cmp_eq_u32_e64 s[36:37], 0, v190
	s_and_b64 s[38:39], vcc, s[36:37]
	v_add_u32_e32 v192, v174, v73
	; wave barrier
	s_and_saveexec_b64 s[36:37], s[38:39]
	s_cbranch_execz .LBB1255_147
; %bb.146:                              ;   in Loop: Header=BB1255_101 Depth=2
	v_bcnt_u32_b32 v4, v71, 0
	v_bcnt_u32_b32 v4, v72, v4
	s_waitcnt lgkmcnt(0)
	v_add_u32_e32 v4, v188, v4
	ds_write_b32 v192, v4 offset:1040
.LBB1255_147:                           ;   in Loop: Header=BB1255_101 Depth=2
	s_or_b64 exec, exec, s[36:37]
	v_cmp_lt_i64_e32 vcc, -1, v[59:60]
	v_ashrrev_i32_e32 v71, 31, v60
	v_cndmask_b32_e32 v4, -1, v135, vcc
	v_xor_b32_e32 v60, v4, v60
	v_xor_b32_e32 v59, v71, v59
	v_cmp_ne_u64_e32 vcc, s[82:83], v[59:60]
	v_cndmask_b32_e32 v72, v135, v60, vcc
	v_cndmask_b32_e32 v71, 0, v59, vcc
	v_lshrrev_b64 v[71:72], s95, v[71:72]
	; wave barrier
	v_and_b32_e32 v71, s97, v71
	v_mad_u32_u24 v4, v71, 20, v174
	ds_read_b32 v191, v4 offset:1040
	v_and_b32_e32 v4, 1, v71
	v_add_co_u32_e32 v72, vcc, -1, v4
	v_addc_co_u32_e64 v74, s[36:37], 0, -1, vcc
	v_cmp_ne_u32_e32 vcc, 0, v4
	v_xor_b32_e32 v4, vcc_hi, v74
	v_and_b32_e32 v74, exec_hi, v4
	v_lshlrev_b32_e32 v4, 30, v71
	v_xor_b32_e32 v72, vcc_lo, v72
	v_cmp_gt_i64_e32 vcc, 0, v[3:4]
	v_not_b32_e32 v4, v4
	v_ashrrev_i32_e32 v4, 31, v4
	v_and_b32_e32 v72, exec_lo, v72
	v_xor_b32_e32 v193, vcc_hi, v4
	v_xor_b32_e32 v4, vcc_lo, v4
	v_and_b32_e32 v72, v72, v4
	v_lshlrev_b32_e32 v4, 29, v71
	v_cmp_gt_i64_e32 vcc, 0, v[3:4]
	v_not_b32_e32 v4, v4
	v_ashrrev_i32_e32 v4, 31, v4
	v_and_b32_e32 v74, v74, v193
	v_xor_b32_e32 v193, vcc_hi, v4
	v_xor_b32_e32 v4, vcc_lo, v4
	v_and_b32_e32 v72, v72, v4
	v_lshlrev_b32_e32 v4, 28, v71
	v_cmp_gt_i64_e32 vcc, 0, v[3:4]
	v_not_b32_e32 v4, v4
	v_ashrrev_i32_e32 v4, 31, v4
	v_and_b32_e32 v74, v74, v193
	;; [unrolled: 8-line block ×5, first 2 shown]
	v_xor_b32_e32 v193, vcc_hi, v4
	v_xor_b32_e32 v4, vcc_lo, v4
	v_and_b32_e32 v74, v74, v193
	v_and_b32_e32 v193, v72, v4
	v_lshlrev_b32_e32 v4, 24, v71
	v_cmp_gt_i64_e32 vcc, 0, v[3:4]
	v_not_b32_e32 v4, v4
	v_ashrrev_i32_e32 v4, 31, v4
	v_mul_u32_u24_e32 v73, 20, v71
	v_xor_b32_e32 v71, vcc_hi, v4
	v_xor_b32_e32 v4, vcc_lo, v4
	v_and_b32_e32 v72, v74, v71
	v_and_b32_e32 v71, v193, v4
	v_mbcnt_lo_u32_b32 v4, v71, 0
	v_mbcnt_hi_u32_b32 v193, v72, v4
	v_cmp_ne_u64_e32 vcc, 0, v[71:72]
	v_cmp_eq_u32_e64 s[36:37], 0, v193
	s_and_b64 s[38:39], vcc, s[36:37]
	v_add_u32_e32 v195, v174, v73
	; wave barrier
	s_and_saveexec_b64 s[36:37], s[38:39]
	s_cbranch_execz .LBB1255_149
; %bb.148:                              ;   in Loop: Header=BB1255_101 Depth=2
	v_bcnt_u32_b32 v4, v71, 0
	v_bcnt_u32_b32 v4, v72, v4
	s_waitcnt lgkmcnt(0)
	v_add_u32_e32 v4, v191, v4
	ds_write_b32 v195, v4 offset:1040
.LBB1255_149:                           ;   in Loop: Header=BB1255_101 Depth=2
	s_or_b64 exec, exec, s[36:37]
	v_cmp_lt_i64_e32 vcc, -1, v[63:64]
	v_ashrrev_i32_e32 v71, 31, v64
	v_cndmask_b32_e32 v4, -1, v135, vcc
	v_xor_b32_e32 v64, v4, v64
	v_xor_b32_e32 v63, v71, v63
	v_cmp_ne_u64_e32 vcc, s[82:83], v[63:64]
	v_cndmask_b32_e32 v72, v135, v64, vcc
	v_cndmask_b32_e32 v71, 0, v63, vcc
	v_lshrrev_b64 v[71:72], s95, v[71:72]
	; wave barrier
	v_and_b32_e32 v71, s97, v71
	v_mad_u32_u24 v4, v71, 20, v174
	ds_read_b32 v194, v4 offset:1040
	v_and_b32_e32 v4, 1, v71
	v_add_co_u32_e32 v72, vcc, -1, v4
	v_addc_co_u32_e64 v74, s[36:37], 0, -1, vcc
	v_cmp_ne_u32_e32 vcc, 0, v4
	v_xor_b32_e32 v4, vcc_hi, v74
	v_and_b32_e32 v74, exec_hi, v4
	v_lshlrev_b32_e32 v4, 30, v71
	v_xor_b32_e32 v72, vcc_lo, v72
	v_cmp_gt_i64_e32 vcc, 0, v[3:4]
	v_not_b32_e32 v4, v4
	v_ashrrev_i32_e32 v4, 31, v4
	v_and_b32_e32 v72, exec_lo, v72
	v_xor_b32_e32 v196, vcc_hi, v4
	v_xor_b32_e32 v4, vcc_lo, v4
	v_and_b32_e32 v72, v72, v4
	v_lshlrev_b32_e32 v4, 29, v71
	v_cmp_gt_i64_e32 vcc, 0, v[3:4]
	v_not_b32_e32 v4, v4
	v_ashrrev_i32_e32 v4, 31, v4
	v_and_b32_e32 v74, v74, v196
	v_xor_b32_e32 v196, vcc_hi, v4
	v_xor_b32_e32 v4, vcc_lo, v4
	v_and_b32_e32 v72, v72, v4
	v_lshlrev_b32_e32 v4, 28, v71
	v_cmp_gt_i64_e32 vcc, 0, v[3:4]
	v_not_b32_e32 v4, v4
	v_ashrrev_i32_e32 v4, 31, v4
	v_and_b32_e32 v74, v74, v196
	v_xor_b32_e32 v196, vcc_hi, v4
	v_xor_b32_e32 v4, vcc_lo, v4
	v_and_b32_e32 v72, v72, v4
	v_lshlrev_b32_e32 v4, 27, v71
	v_cmp_gt_i64_e32 vcc, 0, v[3:4]
	v_not_b32_e32 v4, v4
	v_ashrrev_i32_e32 v4, 31, v4
	v_and_b32_e32 v74, v74, v196
	v_xor_b32_e32 v196, vcc_hi, v4
	v_xor_b32_e32 v4, vcc_lo, v4
	v_and_b32_e32 v72, v72, v4
	v_lshlrev_b32_e32 v4, 26, v71
	v_cmp_gt_i64_e32 vcc, 0, v[3:4]
	v_not_b32_e32 v4, v4
	v_ashrrev_i32_e32 v4, 31, v4
	v_and_b32_e32 v74, v74, v196
	v_xor_b32_e32 v196, vcc_hi, v4
	v_xor_b32_e32 v4, vcc_lo, v4
	v_and_b32_e32 v72, v72, v4
	v_lshlrev_b32_e32 v4, 25, v71
	v_cmp_gt_i64_e32 vcc, 0, v[3:4]
	v_not_b32_e32 v4, v4
	v_ashrrev_i32_e32 v4, 31, v4
	v_and_b32_e32 v74, v74, v196
	v_xor_b32_e32 v196, vcc_hi, v4
	v_xor_b32_e32 v4, vcc_lo, v4
	v_and_b32_e32 v74, v74, v196
	v_and_b32_e32 v196, v72, v4
	v_lshlrev_b32_e32 v4, 24, v71
	v_cmp_gt_i64_e32 vcc, 0, v[3:4]
	v_not_b32_e32 v4, v4
	v_ashrrev_i32_e32 v4, 31, v4
	v_mul_u32_u24_e32 v73, 20, v71
	v_xor_b32_e32 v71, vcc_hi, v4
	v_xor_b32_e32 v4, vcc_lo, v4
	v_and_b32_e32 v72, v74, v71
	v_and_b32_e32 v71, v196, v4
	v_mbcnt_lo_u32_b32 v4, v71, 0
	v_mbcnt_hi_u32_b32 v196, v72, v4
	v_cmp_ne_u64_e32 vcc, 0, v[71:72]
	v_cmp_eq_u32_e64 s[36:37], 0, v196
	s_and_b64 s[38:39], vcc, s[36:37]
	v_add_u32_e32 v198, v174, v73
	; wave barrier
	s_and_saveexec_b64 s[36:37], s[38:39]
	s_cbranch_execz .LBB1255_151
; %bb.150:                              ;   in Loop: Header=BB1255_101 Depth=2
	v_bcnt_u32_b32 v4, v71, 0
	v_bcnt_u32_b32 v4, v72, v4
	s_waitcnt lgkmcnt(0)
	v_add_u32_e32 v4, v194, v4
	ds_write_b32 v198, v4 offset:1040
.LBB1255_151:                           ;   in Loop: Header=BB1255_101 Depth=2
	s_or_b64 exec, exec, s[36:37]
	v_cmp_lt_i64_e32 vcc, -1, v[67:68]
	v_ashrrev_i32_e32 v71, 31, v68
	v_cndmask_b32_e32 v4, -1, v135, vcc
	v_xor_b32_e32 v68, v4, v68
	v_xor_b32_e32 v67, v71, v67
	v_cmp_ne_u64_e32 vcc, s[82:83], v[67:68]
	v_cndmask_b32_e32 v72, v135, v68, vcc
	v_cndmask_b32_e32 v71, 0, v67, vcc
	v_lshrrev_b64 v[71:72], s95, v[71:72]
	; wave barrier
	v_and_b32_e32 v71, s97, v71
	v_mad_u32_u24 v4, v71, 20, v174
	ds_read_b32 v197, v4 offset:1040
	v_and_b32_e32 v4, 1, v71
	v_add_co_u32_e32 v72, vcc, -1, v4
	v_addc_co_u32_e64 v74, s[36:37], 0, -1, vcc
	v_cmp_ne_u32_e32 vcc, 0, v4
	v_xor_b32_e32 v4, vcc_hi, v74
	v_and_b32_e32 v74, exec_hi, v4
	v_lshlrev_b32_e32 v4, 30, v71
	v_xor_b32_e32 v72, vcc_lo, v72
	v_cmp_gt_i64_e32 vcc, 0, v[3:4]
	v_not_b32_e32 v4, v4
	v_ashrrev_i32_e32 v4, 31, v4
	v_and_b32_e32 v72, exec_lo, v72
	v_xor_b32_e32 v199, vcc_hi, v4
	v_xor_b32_e32 v4, vcc_lo, v4
	v_and_b32_e32 v72, v72, v4
	v_lshlrev_b32_e32 v4, 29, v71
	v_cmp_gt_i64_e32 vcc, 0, v[3:4]
	v_not_b32_e32 v4, v4
	v_ashrrev_i32_e32 v4, 31, v4
	v_and_b32_e32 v74, v74, v199
	v_xor_b32_e32 v199, vcc_hi, v4
	v_xor_b32_e32 v4, vcc_lo, v4
	v_and_b32_e32 v72, v72, v4
	v_lshlrev_b32_e32 v4, 28, v71
	v_cmp_gt_i64_e32 vcc, 0, v[3:4]
	v_not_b32_e32 v4, v4
	v_ashrrev_i32_e32 v4, 31, v4
	v_and_b32_e32 v74, v74, v199
	;; [unrolled: 8-line block ×5, first 2 shown]
	v_xor_b32_e32 v199, vcc_hi, v4
	v_xor_b32_e32 v4, vcc_lo, v4
	v_and_b32_e32 v74, v74, v199
	v_and_b32_e32 v199, v72, v4
	v_lshlrev_b32_e32 v4, 24, v71
	v_cmp_gt_i64_e32 vcc, 0, v[3:4]
	v_not_b32_e32 v4, v4
	v_ashrrev_i32_e32 v4, 31, v4
	v_mul_u32_u24_e32 v73, 20, v71
	v_xor_b32_e32 v71, vcc_hi, v4
	v_xor_b32_e32 v4, vcc_lo, v4
	v_and_b32_e32 v72, v74, v71
	v_and_b32_e32 v71, v199, v4
	v_mbcnt_lo_u32_b32 v4, v71, 0
	v_mbcnt_hi_u32_b32 v199, v72, v4
	v_cmp_ne_u64_e32 vcc, 0, v[71:72]
	v_cmp_eq_u32_e64 s[36:37], 0, v199
	s_and_b64 s[38:39], vcc, s[36:37]
	v_add_u32_e32 v201, v174, v73
	; wave barrier
	s_and_saveexec_b64 s[36:37], s[38:39]
	s_cbranch_execz .LBB1255_153
; %bb.152:                              ;   in Loop: Header=BB1255_101 Depth=2
	v_bcnt_u32_b32 v4, v71, 0
	v_bcnt_u32_b32 v4, v72, v4
	s_waitcnt lgkmcnt(0)
	v_add_u32_e32 v4, v197, v4
	ds_write_b32 v201, v4 offset:1040
.LBB1255_153:                           ;   in Loop: Header=BB1255_101 Depth=2
	s_or_b64 exec, exec, s[36:37]
	v_cmp_lt_i64_e32 vcc, -1, v[69:70]
	v_ashrrev_i32_e32 v71, 31, v70
	v_cndmask_b32_e32 v4, -1, v135, vcc
	v_xor_b32_e32 v70, v4, v70
	v_xor_b32_e32 v69, v71, v69
	v_cmp_ne_u64_e32 vcc, s[82:83], v[69:70]
	v_cndmask_b32_e32 v72, v135, v70, vcc
	v_cndmask_b32_e32 v71, 0, v69, vcc
	v_lshrrev_b64 v[71:72], s95, v[71:72]
	; wave barrier
	v_and_b32_e32 v71, s97, v71
	v_mad_u32_u24 v4, v71, 20, v174
	ds_read_b32 v200, v4 offset:1040
	v_and_b32_e32 v4, 1, v71
	v_add_co_u32_e32 v72, vcc, -1, v4
	v_addc_co_u32_e64 v74, s[36:37], 0, -1, vcc
	v_cmp_ne_u32_e32 vcc, 0, v4
	v_xor_b32_e32 v4, vcc_hi, v74
	v_and_b32_e32 v74, exec_hi, v4
	v_lshlrev_b32_e32 v4, 30, v71
	v_xor_b32_e32 v72, vcc_lo, v72
	v_cmp_gt_i64_e32 vcc, 0, v[3:4]
	v_not_b32_e32 v4, v4
	v_ashrrev_i32_e32 v4, 31, v4
	v_and_b32_e32 v72, exec_lo, v72
	v_xor_b32_e32 v202, vcc_hi, v4
	v_xor_b32_e32 v4, vcc_lo, v4
	v_and_b32_e32 v72, v72, v4
	v_lshlrev_b32_e32 v4, 29, v71
	v_cmp_gt_i64_e32 vcc, 0, v[3:4]
	v_not_b32_e32 v4, v4
	v_ashrrev_i32_e32 v4, 31, v4
	v_and_b32_e32 v74, v74, v202
	v_xor_b32_e32 v202, vcc_hi, v4
	v_xor_b32_e32 v4, vcc_lo, v4
	v_and_b32_e32 v72, v72, v4
	v_lshlrev_b32_e32 v4, 28, v71
	v_cmp_gt_i64_e32 vcc, 0, v[3:4]
	v_not_b32_e32 v4, v4
	v_ashrrev_i32_e32 v4, 31, v4
	v_and_b32_e32 v74, v74, v202
	;; [unrolled: 8-line block ×5, first 2 shown]
	v_xor_b32_e32 v202, vcc_hi, v4
	v_xor_b32_e32 v4, vcc_lo, v4
	v_and_b32_e32 v74, v74, v202
	v_and_b32_e32 v202, v72, v4
	v_lshlrev_b32_e32 v4, 24, v71
	v_cmp_gt_i64_e32 vcc, 0, v[3:4]
	v_not_b32_e32 v4, v4
	v_ashrrev_i32_e32 v4, 31, v4
	v_mul_u32_u24_e32 v73, 20, v71
	v_xor_b32_e32 v71, vcc_hi, v4
	v_xor_b32_e32 v4, vcc_lo, v4
	v_and_b32_e32 v72, v74, v71
	v_and_b32_e32 v71, v202, v4
	v_mbcnt_lo_u32_b32 v4, v71, 0
	v_mbcnt_hi_u32_b32 v202, v72, v4
	v_cmp_ne_u64_e32 vcc, 0, v[71:72]
	v_cmp_eq_u32_e64 s[36:37], 0, v202
	s_and_b64 s[38:39], vcc, s[36:37]
	v_add_u32_e32 v204, v174, v73
	; wave barrier
	s_and_saveexec_b64 s[36:37], s[38:39]
	s_cbranch_execz .LBB1255_155
; %bb.154:                              ;   in Loop: Header=BB1255_101 Depth=2
	v_bcnt_u32_b32 v4, v71, 0
	v_bcnt_u32_b32 v4, v72, v4
	s_waitcnt lgkmcnt(0)
	v_add_u32_e32 v4, v200, v4
	ds_write_b32 v204, v4 offset:1040
.LBB1255_155:                           ;   in Loop: Header=BB1255_101 Depth=2
	s_or_b64 exec, exec, s[36:37]
	v_cmp_lt_i64_e32 vcc, -1, v[65:66]
	v_ashrrev_i32_e32 v71, 31, v66
	v_cndmask_b32_e32 v4, -1, v135, vcc
	v_xor_b32_e32 v66, v4, v66
	v_xor_b32_e32 v65, v71, v65
	v_cmp_ne_u64_e32 vcc, s[82:83], v[65:66]
	v_cndmask_b32_e32 v72, v135, v66, vcc
	v_cndmask_b32_e32 v71, 0, v65, vcc
	v_lshrrev_b64 v[71:72], s95, v[71:72]
	; wave barrier
	v_and_b32_e32 v71, s97, v71
	v_mad_u32_u24 v4, v71, 20, v174
	ds_read_b32 v203, v4 offset:1040
	v_and_b32_e32 v4, 1, v71
	v_add_co_u32_e32 v72, vcc, -1, v4
	v_addc_co_u32_e64 v74, s[36:37], 0, -1, vcc
	v_cmp_ne_u32_e32 vcc, 0, v4
	v_xor_b32_e32 v4, vcc_hi, v74
	v_and_b32_e32 v74, exec_hi, v4
	v_lshlrev_b32_e32 v4, 30, v71
	v_xor_b32_e32 v72, vcc_lo, v72
	v_cmp_gt_i64_e32 vcc, 0, v[3:4]
	v_not_b32_e32 v4, v4
	v_ashrrev_i32_e32 v4, 31, v4
	v_and_b32_e32 v72, exec_lo, v72
	v_xor_b32_e32 v205, vcc_hi, v4
	v_xor_b32_e32 v4, vcc_lo, v4
	v_and_b32_e32 v72, v72, v4
	v_lshlrev_b32_e32 v4, 29, v71
	v_cmp_gt_i64_e32 vcc, 0, v[3:4]
	v_not_b32_e32 v4, v4
	v_ashrrev_i32_e32 v4, 31, v4
	v_and_b32_e32 v74, v74, v205
	v_xor_b32_e32 v205, vcc_hi, v4
	v_xor_b32_e32 v4, vcc_lo, v4
	v_and_b32_e32 v72, v72, v4
	v_lshlrev_b32_e32 v4, 28, v71
	v_cmp_gt_i64_e32 vcc, 0, v[3:4]
	v_not_b32_e32 v4, v4
	v_ashrrev_i32_e32 v4, 31, v4
	v_and_b32_e32 v74, v74, v205
	;; [unrolled: 8-line block ×5, first 2 shown]
	v_xor_b32_e32 v205, vcc_hi, v4
	v_xor_b32_e32 v4, vcc_lo, v4
	v_and_b32_e32 v74, v74, v205
	v_and_b32_e32 v205, v72, v4
	v_lshlrev_b32_e32 v4, 24, v71
	v_cmp_gt_i64_e32 vcc, 0, v[3:4]
	v_not_b32_e32 v4, v4
	v_ashrrev_i32_e32 v4, 31, v4
	v_mul_u32_u24_e32 v73, 20, v71
	v_xor_b32_e32 v71, vcc_hi, v4
	v_xor_b32_e32 v4, vcc_lo, v4
	v_and_b32_e32 v72, v74, v71
	v_and_b32_e32 v71, v205, v4
	v_mbcnt_lo_u32_b32 v4, v71, 0
	v_mbcnt_hi_u32_b32 v205, v72, v4
	v_cmp_ne_u64_e32 vcc, 0, v[71:72]
	v_cmp_eq_u32_e64 s[36:37], 0, v205
	s_and_b64 s[38:39], vcc, s[36:37]
	v_add_u32_e32 v207, v174, v73
	; wave barrier
	s_and_saveexec_b64 s[36:37], s[38:39]
	s_cbranch_execz .LBB1255_157
; %bb.156:                              ;   in Loop: Header=BB1255_101 Depth=2
	v_bcnt_u32_b32 v4, v71, 0
	v_bcnt_u32_b32 v4, v72, v4
	s_waitcnt lgkmcnt(0)
	v_add_u32_e32 v4, v203, v4
	ds_write_b32 v207, v4 offset:1040
.LBB1255_157:                           ;   in Loop: Header=BB1255_101 Depth=2
	s_or_b64 exec, exec, s[36:37]
	v_cmp_lt_i64_e32 vcc, -1, v[61:62]
	v_ashrrev_i32_e32 v71, 31, v62
	v_cndmask_b32_e32 v4, -1, v135, vcc
	v_xor_b32_e32 v62, v4, v62
	v_xor_b32_e32 v61, v71, v61
	v_cmp_ne_u64_e32 vcc, s[82:83], v[61:62]
	v_cndmask_b32_e32 v72, v135, v62, vcc
	v_cndmask_b32_e32 v71, 0, v61, vcc
	v_lshrrev_b64 v[71:72], s95, v[71:72]
	; wave barrier
	v_and_b32_e32 v71, s97, v71
	v_mad_u32_u24 v4, v71, 20, v174
	ds_read_b32 v206, v4 offset:1040
	v_and_b32_e32 v4, 1, v71
	v_add_co_u32_e32 v72, vcc, -1, v4
	v_addc_co_u32_e64 v74, s[36:37], 0, -1, vcc
	v_cmp_ne_u32_e32 vcc, 0, v4
	v_xor_b32_e32 v4, vcc_hi, v74
	v_and_b32_e32 v74, exec_hi, v4
	v_lshlrev_b32_e32 v4, 30, v71
	v_xor_b32_e32 v72, vcc_lo, v72
	v_cmp_gt_i64_e32 vcc, 0, v[3:4]
	v_not_b32_e32 v4, v4
	v_ashrrev_i32_e32 v4, 31, v4
	v_and_b32_e32 v72, exec_lo, v72
	v_xor_b32_e32 v208, vcc_hi, v4
	v_xor_b32_e32 v4, vcc_lo, v4
	v_and_b32_e32 v72, v72, v4
	v_lshlrev_b32_e32 v4, 29, v71
	v_cmp_gt_i64_e32 vcc, 0, v[3:4]
	v_not_b32_e32 v4, v4
	v_ashrrev_i32_e32 v4, 31, v4
	v_and_b32_e32 v74, v74, v208
	v_xor_b32_e32 v208, vcc_hi, v4
	v_xor_b32_e32 v4, vcc_lo, v4
	v_and_b32_e32 v72, v72, v4
	v_lshlrev_b32_e32 v4, 28, v71
	v_cmp_gt_i64_e32 vcc, 0, v[3:4]
	v_not_b32_e32 v4, v4
	v_ashrrev_i32_e32 v4, 31, v4
	v_and_b32_e32 v74, v74, v208
	v_xor_b32_e32 v208, vcc_hi, v4
	v_xor_b32_e32 v4, vcc_lo, v4
	v_and_b32_e32 v72, v72, v4
	v_lshlrev_b32_e32 v4, 27, v71
	v_cmp_gt_i64_e32 vcc, 0, v[3:4]
	v_not_b32_e32 v4, v4
	v_ashrrev_i32_e32 v4, 31, v4
	v_and_b32_e32 v74, v74, v208
	v_xor_b32_e32 v208, vcc_hi, v4
	v_xor_b32_e32 v4, vcc_lo, v4
	v_and_b32_e32 v72, v72, v4
	v_lshlrev_b32_e32 v4, 26, v71
	v_cmp_gt_i64_e32 vcc, 0, v[3:4]
	v_not_b32_e32 v4, v4
	v_ashrrev_i32_e32 v4, 31, v4
	v_and_b32_e32 v74, v74, v208
	v_xor_b32_e32 v208, vcc_hi, v4
	v_xor_b32_e32 v4, vcc_lo, v4
	v_and_b32_e32 v72, v72, v4
	v_lshlrev_b32_e32 v4, 25, v71
	v_cmp_gt_i64_e32 vcc, 0, v[3:4]
	v_not_b32_e32 v4, v4
	v_ashrrev_i32_e32 v4, 31, v4
	v_and_b32_e32 v74, v74, v208
	v_xor_b32_e32 v208, vcc_hi, v4
	v_xor_b32_e32 v4, vcc_lo, v4
	v_and_b32_e32 v74, v74, v208
	v_and_b32_e32 v208, v72, v4
	v_lshlrev_b32_e32 v4, 24, v71
	v_cmp_gt_i64_e32 vcc, 0, v[3:4]
	v_not_b32_e32 v4, v4
	v_ashrrev_i32_e32 v4, 31, v4
	v_mul_u32_u24_e32 v73, 20, v71
	v_xor_b32_e32 v71, vcc_hi, v4
	v_xor_b32_e32 v4, vcc_lo, v4
	v_and_b32_e32 v72, v74, v71
	v_and_b32_e32 v71, v208, v4
	v_mbcnt_lo_u32_b32 v4, v71, 0
	v_mbcnt_hi_u32_b32 v208, v72, v4
	v_cmp_ne_u64_e32 vcc, 0, v[71:72]
	v_cmp_eq_u32_e64 s[36:37], 0, v208
	s_and_b64 s[38:39], vcc, s[36:37]
	v_add_u32_e32 v210, v174, v73
	; wave barrier
	s_and_saveexec_b64 s[36:37], s[38:39]
	s_cbranch_execz .LBB1255_159
; %bb.158:                              ;   in Loop: Header=BB1255_101 Depth=2
	v_bcnt_u32_b32 v4, v71, 0
	v_bcnt_u32_b32 v4, v72, v4
	s_waitcnt lgkmcnt(0)
	v_add_u32_e32 v4, v206, v4
	ds_write_b32 v210, v4 offset:1040
.LBB1255_159:                           ;   in Loop: Header=BB1255_101 Depth=2
	s_or_b64 exec, exec, s[36:37]
	v_cmp_lt_i64_e32 vcc, -1, v[57:58]
	v_ashrrev_i32_e32 v71, 31, v58
	v_cndmask_b32_e32 v4, -1, v135, vcc
	v_xor_b32_e32 v58, v4, v58
	v_xor_b32_e32 v57, v71, v57
	v_cmp_ne_u64_e32 vcc, s[82:83], v[57:58]
	v_cndmask_b32_e32 v72, v135, v58, vcc
	v_cndmask_b32_e32 v71, 0, v57, vcc
	v_lshrrev_b64 v[71:72], s95, v[71:72]
	; wave barrier
	v_and_b32_e32 v71, s97, v71
	v_mad_u32_u24 v4, v71, 20, v174
	ds_read_b32 v209, v4 offset:1040
	v_and_b32_e32 v4, 1, v71
	v_add_co_u32_e32 v72, vcc, -1, v4
	v_addc_co_u32_e64 v74, s[36:37], 0, -1, vcc
	v_cmp_ne_u32_e32 vcc, 0, v4
	v_xor_b32_e32 v4, vcc_hi, v74
	v_and_b32_e32 v74, exec_hi, v4
	v_lshlrev_b32_e32 v4, 30, v71
	v_xor_b32_e32 v72, vcc_lo, v72
	v_cmp_gt_i64_e32 vcc, 0, v[3:4]
	v_not_b32_e32 v4, v4
	v_ashrrev_i32_e32 v4, 31, v4
	v_and_b32_e32 v72, exec_lo, v72
	v_xor_b32_e32 v211, vcc_hi, v4
	v_xor_b32_e32 v4, vcc_lo, v4
	v_and_b32_e32 v72, v72, v4
	v_lshlrev_b32_e32 v4, 29, v71
	v_cmp_gt_i64_e32 vcc, 0, v[3:4]
	v_not_b32_e32 v4, v4
	v_ashrrev_i32_e32 v4, 31, v4
	v_and_b32_e32 v74, v74, v211
	v_xor_b32_e32 v211, vcc_hi, v4
	v_xor_b32_e32 v4, vcc_lo, v4
	v_and_b32_e32 v72, v72, v4
	v_lshlrev_b32_e32 v4, 28, v71
	v_cmp_gt_i64_e32 vcc, 0, v[3:4]
	v_not_b32_e32 v4, v4
	v_ashrrev_i32_e32 v4, 31, v4
	v_and_b32_e32 v74, v74, v211
	;; [unrolled: 8-line block ×5, first 2 shown]
	v_xor_b32_e32 v211, vcc_hi, v4
	v_xor_b32_e32 v4, vcc_lo, v4
	v_and_b32_e32 v74, v74, v211
	v_and_b32_e32 v211, v72, v4
	v_lshlrev_b32_e32 v4, 24, v71
	v_cmp_gt_i64_e32 vcc, 0, v[3:4]
	v_not_b32_e32 v4, v4
	v_ashrrev_i32_e32 v4, 31, v4
	v_mul_u32_u24_e32 v73, 20, v71
	v_xor_b32_e32 v71, vcc_hi, v4
	v_xor_b32_e32 v4, vcc_lo, v4
	v_and_b32_e32 v72, v74, v71
	v_and_b32_e32 v71, v211, v4
	v_mbcnt_lo_u32_b32 v4, v71, 0
	v_mbcnt_hi_u32_b32 v211, v72, v4
	v_cmp_ne_u64_e32 vcc, 0, v[71:72]
	v_cmp_eq_u32_e64 s[36:37], 0, v211
	s_and_b64 s[38:39], vcc, s[36:37]
	v_add_u32_e32 v213, v174, v73
	; wave barrier
	s_and_saveexec_b64 s[36:37], s[38:39]
	s_cbranch_execz .LBB1255_161
; %bb.160:                              ;   in Loop: Header=BB1255_101 Depth=2
	v_bcnt_u32_b32 v4, v71, 0
	v_bcnt_u32_b32 v4, v72, v4
	s_waitcnt lgkmcnt(0)
	v_add_u32_e32 v4, v209, v4
	ds_write_b32 v213, v4 offset:1040
.LBB1255_161:                           ;   in Loop: Header=BB1255_101 Depth=2
	s_or_b64 exec, exec, s[36:37]
	v_cmp_lt_i64_e32 vcc, -1, v[53:54]
	v_ashrrev_i32_e32 v71, 31, v54
	v_cndmask_b32_e32 v4, -1, v135, vcc
	v_xor_b32_e32 v54, v4, v54
	v_xor_b32_e32 v53, v71, v53
	v_cmp_ne_u64_e32 vcc, s[82:83], v[53:54]
	v_cndmask_b32_e32 v72, v135, v54, vcc
	v_cndmask_b32_e32 v71, 0, v53, vcc
	v_lshrrev_b64 v[71:72], s95, v[71:72]
	; wave barrier
	v_and_b32_e32 v71, s97, v71
	v_mad_u32_u24 v4, v71, 20, v174
	ds_read_b32 v212, v4 offset:1040
	v_and_b32_e32 v4, 1, v71
	v_add_co_u32_e32 v72, vcc, -1, v4
	v_addc_co_u32_e64 v74, s[36:37], 0, -1, vcc
	v_cmp_ne_u32_e32 vcc, 0, v4
	v_xor_b32_e32 v4, vcc_hi, v74
	v_and_b32_e32 v74, exec_hi, v4
	v_lshlrev_b32_e32 v4, 30, v71
	v_xor_b32_e32 v72, vcc_lo, v72
	v_cmp_gt_i64_e32 vcc, 0, v[3:4]
	v_not_b32_e32 v4, v4
	v_ashrrev_i32_e32 v4, 31, v4
	v_and_b32_e32 v72, exec_lo, v72
	v_xor_b32_e32 v214, vcc_hi, v4
	v_xor_b32_e32 v4, vcc_lo, v4
	v_and_b32_e32 v72, v72, v4
	v_lshlrev_b32_e32 v4, 29, v71
	v_cmp_gt_i64_e32 vcc, 0, v[3:4]
	v_not_b32_e32 v4, v4
	v_ashrrev_i32_e32 v4, 31, v4
	v_and_b32_e32 v74, v74, v214
	v_xor_b32_e32 v214, vcc_hi, v4
	v_xor_b32_e32 v4, vcc_lo, v4
	v_and_b32_e32 v72, v72, v4
	v_lshlrev_b32_e32 v4, 28, v71
	v_cmp_gt_i64_e32 vcc, 0, v[3:4]
	v_not_b32_e32 v4, v4
	v_ashrrev_i32_e32 v4, 31, v4
	v_and_b32_e32 v74, v74, v214
	;; [unrolled: 8-line block ×5, first 2 shown]
	v_xor_b32_e32 v214, vcc_hi, v4
	v_xor_b32_e32 v4, vcc_lo, v4
	v_and_b32_e32 v74, v74, v214
	v_and_b32_e32 v214, v72, v4
	v_lshlrev_b32_e32 v4, 24, v71
	v_cmp_gt_i64_e32 vcc, 0, v[3:4]
	v_not_b32_e32 v4, v4
	v_ashrrev_i32_e32 v4, 31, v4
	v_mul_u32_u24_e32 v73, 20, v71
	v_xor_b32_e32 v71, vcc_hi, v4
	v_xor_b32_e32 v4, vcc_lo, v4
	v_and_b32_e32 v72, v74, v71
	v_and_b32_e32 v71, v214, v4
	v_mbcnt_lo_u32_b32 v4, v71, 0
	v_mbcnt_hi_u32_b32 v214, v72, v4
	v_cmp_ne_u64_e32 vcc, 0, v[71:72]
	v_cmp_eq_u32_e64 s[36:37], 0, v214
	s_and_b64 s[38:39], vcc, s[36:37]
	v_add_u32_e32 v216, v174, v73
	; wave barrier
	s_and_saveexec_b64 s[36:37], s[38:39]
	s_cbranch_execz .LBB1255_163
; %bb.162:                              ;   in Loop: Header=BB1255_101 Depth=2
	v_bcnt_u32_b32 v4, v71, 0
	v_bcnt_u32_b32 v4, v72, v4
	s_waitcnt lgkmcnt(0)
	v_add_u32_e32 v4, v212, v4
	ds_write_b32 v216, v4 offset:1040
.LBB1255_163:                           ;   in Loop: Header=BB1255_101 Depth=2
	s_or_b64 exec, exec, s[36:37]
	v_cmp_lt_i64_e32 vcc, -1, v[49:50]
	v_ashrrev_i32_e32 v71, 31, v50
	v_cndmask_b32_e32 v4, -1, v135, vcc
	v_xor_b32_e32 v50, v4, v50
	v_xor_b32_e32 v49, v71, v49
	v_cmp_ne_u64_e32 vcc, s[82:83], v[49:50]
	v_cndmask_b32_e32 v72, v135, v50, vcc
	v_cndmask_b32_e32 v71, 0, v49, vcc
	v_lshrrev_b64 v[71:72], s95, v[71:72]
	; wave barrier
	v_and_b32_e32 v71, s97, v71
	v_mad_u32_u24 v4, v71, 20, v174
	ds_read_b32 v215, v4 offset:1040
	v_and_b32_e32 v4, 1, v71
	v_add_co_u32_e32 v72, vcc, -1, v4
	v_addc_co_u32_e64 v74, s[36:37], 0, -1, vcc
	v_cmp_ne_u32_e32 vcc, 0, v4
	v_xor_b32_e32 v4, vcc_hi, v74
	v_and_b32_e32 v74, exec_hi, v4
	v_lshlrev_b32_e32 v4, 30, v71
	v_xor_b32_e32 v72, vcc_lo, v72
	v_cmp_gt_i64_e32 vcc, 0, v[3:4]
	v_not_b32_e32 v4, v4
	v_ashrrev_i32_e32 v4, 31, v4
	v_and_b32_e32 v72, exec_lo, v72
	v_xor_b32_e32 v217, vcc_hi, v4
	v_xor_b32_e32 v4, vcc_lo, v4
	v_and_b32_e32 v72, v72, v4
	v_lshlrev_b32_e32 v4, 29, v71
	v_cmp_gt_i64_e32 vcc, 0, v[3:4]
	v_not_b32_e32 v4, v4
	v_ashrrev_i32_e32 v4, 31, v4
	v_and_b32_e32 v74, v74, v217
	v_xor_b32_e32 v217, vcc_hi, v4
	v_xor_b32_e32 v4, vcc_lo, v4
	v_and_b32_e32 v72, v72, v4
	v_lshlrev_b32_e32 v4, 28, v71
	v_cmp_gt_i64_e32 vcc, 0, v[3:4]
	v_not_b32_e32 v4, v4
	v_ashrrev_i32_e32 v4, 31, v4
	v_and_b32_e32 v74, v74, v217
	;; [unrolled: 8-line block ×5, first 2 shown]
	v_xor_b32_e32 v217, vcc_hi, v4
	v_xor_b32_e32 v4, vcc_lo, v4
	v_and_b32_e32 v74, v74, v217
	v_and_b32_e32 v217, v72, v4
	v_lshlrev_b32_e32 v4, 24, v71
	v_cmp_gt_i64_e32 vcc, 0, v[3:4]
	v_not_b32_e32 v4, v4
	v_ashrrev_i32_e32 v4, 31, v4
	v_mul_u32_u24_e32 v73, 20, v71
	v_xor_b32_e32 v71, vcc_hi, v4
	v_xor_b32_e32 v4, vcc_lo, v4
	v_and_b32_e32 v72, v74, v71
	v_and_b32_e32 v71, v217, v4
	v_mbcnt_lo_u32_b32 v4, v71, 0
	v_mbcnt_hi_u32_b32 v217, v72, v4
	v_cmp_ne_u64_e32 vcc, 0, v[71:72]
	v_cmp_eq_u32_e64 s[36:37], 0, v217
	s_and_b64 s[38:39], vcc, s[36:37]
	v_add_u32_e32 v219, v174, v73
	; wave barrier
	s_and_saveexec_b64 s[36:37], s[38:39]
	s_cbranch_execz .LBB1255_165
; %bb.164:                              ;   in Loop: Header=BB1255_101 Depth=2
	v_bcnt_u32_b32 v4, v71, 0
	v_bcnt_u32_b32 v4, v72, v4
	s_waitcnt lgkmcnt(0)
	v_add_u32_e32 v4, v215, v4
	ds_write_b32 v219, v4 offset:1040
.LBB1255_165:                           ;   in Loop: Header=BB1255_101 Depth=2
	s_or_b64 exec, exec, s[36:37]
	v_cmp_lt_i64_e32 vcc, -1, v[43:44]
	v_ashrrev_i32_e32 v71, 31, v44
	v_cndmask_b32_e32 v4, -1, v135, vcc
	v_xor_b32_e32 v44, v4, v44
	v_xor_b32_e32 v43, v71, v43
	v_cmp_ne_u64_e32 vcc, s[82:83], v[43:44]
	v_cndmask_b32_e32 v72, v135, v44, vcc
	v_cndmask_b32_e32 v71, 0, v43, vcc
	v_lshrrev_b64 v[71:72], s95, v[71:72]
	; wave barrier
	v_and_b32_e32 v71, s97, v71
	v_mad_u32_u24 v4, v71, 20, v174
	ds_read_b32 v218, v4 offset:1040
	v_and_b32_e32 v4, 1, v71
	v_add_co_u32_e32 v72, vcc, -1, v4
	v_addc_co_u32_e64 v74, s[36:37], 0, -1, vcc
	v_cmp_ne_u32_e32 vcc, 0, v4
	v_xor_b32_e32 v4, vcc_hi, v74
	v_and_b32_e32 v74, exec_hi, v4
	v_lshlrev_b32_e32 v4, 30, v71
	v_xor_b32_e32 v72, vcc_lo, v72
	v_cmp_gt_i64_e32 vcc, 0, v[3:4]
	v_not_b32_e32 v4, v4
	v_ashrrev_i32_e32 v4, 31, v4
	v_and_b32_e32 v72, exec_lo, v72
	v_xor_b32_e32 v220, vcc_hi, v4
	v_xor_b32_e32 v4, vcc_lo, v4
	v_and_b32_e32 v72, v72, v4
	v_lshlrev_b32_e32 v4, 29, v71
	v_cmp_gt_i64_e32 vcc, 0, v[3:4]
	v_not_b32_e32 v4, v4
	v_ashrrev_i32_e32 v4, 31, v4
	v_and_b32_e32 v74, v74, v220
	v_xor_b32_e32 v220, vcc_hi, v4
	v_xor_b32_e32 v4, vcc_lo, v4
	v_and_b32_e32 v72, v72, v4
	v_lshlrev_b32_e32 v4, 28, v71
	v_cmp_gt_i64_e32 vcc, 0, v[3:4]
	v_not_b32_e32 v4, v4
	v_ashrrev_i32_e32 v4, 31, v4
	v_and_b32_e32 v74, v74, v220
	;; [unrolled: 8-line block ×5, first 2 shown]
	v_xor_b32_e32 v220, vcc_hi, v4
	v_xor_b32_e32 v4, vcc_lo, v4
	v_and_b32_e32 v74, v74, v220
	v_and_b32_e32 v220, v72, v4
	v_lshlrev_b32_e32 v4, 24, v71
	v_cmp_gt_i64_e32 vcc, 0, v[3:4]
	v_not_b32_e32 v4, v4
	v_ashrrev_i32_e32 v4, 31, v4
	v_mul_u32_u24_e32 v73, 20, v71
	v_xor_b32_e32 v71, vcc_hi, v4
	v_xor_b32_e32 v4, vcc_lo, v4
	v_and_b32_e32 v72, v74, v71
	v_and_b32_e32 v71, v220, v4
	v_mbcnt_lo_u32_b32 v4, v71, 0
	v_mbcnt_hi_u32_b32 v220, v72, v4
	v_cmp_ne_u64_e32 vcc, 0, v[71:72]
	v_cmp_eq_u32_e64 s[36:37], 0, v220
	s_and_b64 s[38:39], vcc, s[36:37]
	v_add_u32_e32 v222, v174, v73
	; wave barrier
	s_and_saveexec_b64 s[36:37], s[38:39]
	s_cbranch_execz .LBB1255_167
; %bb.166:                              ;   in Loop: Header=BB1255_101 Depth=2
	v_bcnt_u32_b32 v4, v71, 0
	v_bcnt_u32_b32 v4, v72, v4
	s_waitcnt lgkmcnt(0)
	v_add_u32_e32 v4, v218, v4
	ds_write_b32 v222, v4 offset:1040
.LBB1255_167:                           ;   in Loop: Header=BB1255_101 Depth=2
	s_or_b64 exec, exec, s[36:37]
	v_cmp_lt_i64_e32 vcc, -1, v[45:46]
	v_ashrrev_i32_e32 v71, 31, v46
	v_cndmask_b32_e32 v4, -1, v135, vcc
	v_xor_b32_e32 v46, v4, v46
	v_xor_b32_e32 v45, v71, v45
	v_cmp_ne_u64_e32 vcc, s[82:83], v[45:46]
	v_cndmask_b32_e32 v72, v135, v46, vcc
	v_cndmask_b32_e32 v71, 0, v45, vcc
	v_lshrrev_b64 v[71:72], s95, v[71:72]
	; wave barrier
	v_and_b32_e32 v71, s97, v71
	v_mad_u32_u24 v4, v71, 20, v174
	ds_read_b32 v221, v4 offset:1040
	v_and_b32_e32 v4, 1, v71
	v_add_co_u32_e32 v72, vcc, -1, v4
	v_addc_co_u32_e64 v74, s[36:37], 0, -1, vcc
	v_cmp_ne_u32_e32 vcc, 0, v4
	v_xor_b32_e32 v4, vcc_hi, v74
	v_and_b32_e32 v74, exec_hi, v4
	v_lshlrev_b32_e32 v4, 30, v71
	v_xor_b32_e32 v72, vcc_lo, v72
	v_cmp_gt_i64_e32 vcc, 0, v[3:4]
	v_not_b32_e32 v4, v4
	v_ashrrev_i32_e32 v4, 31, v4
	v_and_b32_e32 v72, exec_lo, v72
	v_xor_b32_e32 v223, vcc_hi, v4
	v_xor_b32_e32 v4, vcc_lo, v4
	v_and_b32_e32 v72, v72, v4
	v_lshlrev_b32_e32 v4, 29, v71
	v_cmp_gt_i64_e32 vcc, 0, v[3:4]
	v_not_b32_e32 v4, v4
	v_ashrrev_i32_e32 v4, 31, v4
	v_and_b32_e32 v74, v74, v223
	v_xor_b32_e32 v223, vcc_hi, v4
	v_xor_b32_e32 v4, vcc_lo, v4
	v_and_b32_e32 v72, v72, v4
	v_lshlrev_b32_e32 v4, 28, v71
	v_cmp_gt_i64_e32 vcc, 0, v[3:4]
	v_not_b32_e32 v4, v4
	v_ashrrev_i32_e32 v4, 31, v4
	v_and_b32_e32 v74, v74, v223
	v_xor_b32_e32 v223, vcc_hi, v4
	v_xor_b32_e32 v4, vcc_lo, v4
	v_and_b32_e32 v72, v72, v4
	v_lshlrev_b32_e32 v4, 27, v71
	v_cmp_gt_i64_e32 vcc, 0, v[3:4]
	v_not_b32_e32 v4, v4
	v_ashrrev_i32_e32 v4, 31, v4
	v_and_b32_e32 v74, v74, v223
	v_xor_b32_e32 v223, vcc_hi, v4
	v_xor_b32_e32 v4, vcc_lo, v4
	v_and_b32_e32 v72, v72, v4
	v_lshlrev_b32_e32 v4, 26, v71
	v_cmp_gt_i64_e32 vcc, 0, v[3:4]
	v_not_b32_e32 v4, v4
	v_ashrrev_i32_e32 v4, 31, v4
	v_and_b32_e32 v74, v74, v223
	v_xor_b32_e32 v223, vcc_hi, v4
	v_xor_b32_e32 v4, vcc_lo, v4
	v_and_b32_e32 v72, v72, v4
	v_lshlrev_b32_e32 v4, 25, v71
	v_cmp_gt_i64_e32 vcc, 0, v[3:4]
	v_not_b32_e32 v4, v4
	v_ashrrev_i32_e32 v4, 31, v4
	v_and_b32_e32 v74, v74, v223
	v_xor_b32_e32 v223, vcc_hi, v4
	v_xor_b32_e32 v4, vcc_lo, v4
	v_and_b32_e32 v74, v74, v223
	v_and_b32_e32 v223, v72, v4
	v_lshlrev_b32_e32 v4, 24, v71
	v_cmp_gt_i64_e32 vcc, 0, v[3:4]
	v_not_b32_e32 v4, v4
	v_ashrrev_i32_e32 v4, 31, v4
	v_mul_u32_u24_e32 v73, 20, v71
	v_xor_b32_e32 v71, vcc_hi, v4
	v_xor_b32_e32 v4, vcc_lo, v4
	v_and_b32_e32 v72, v74, v71
	v_and_b32_e32 v71, v223, v4
	v_mbcnt_lo_u32_b32 v4, v71, 0
	v_mbcnt_hi_u32_b32 v223, v72, v4
	v_cmp_ne_u64_e32 vcc, 0, v[71:72]
	v_cmp_eq_u32_e64 s[36:37], 0, v223
	s_and_b64 s[38:39], vcc, s[36:37]
	v_add_u32_e32 v4, v174, v73
	; wave barrier
	s_and_saveexec_b64 s[36:37], s[38:39]
	s_cbranch_execz .LBB1255_169
; %bb.168:                              ;   in Loop: Header=BB1255_101 Depth=2
	v_bcnt_u32_b32 v71, v71, 0
	v_bcnt_u32_b32 v71, v72, v71
	s_waitcnt lgkmcnt(0)
	v_add_u32_e32 v71, v221, v71
	ds_write_b32 v4, v71 offset:1040
.LBB1255_169:                           ;   in Loop: Header=BB1255_101 Depth=2
	s_or_b64 exec, exec, s[36:37]
	; wave barrier
	s_waitcnt lgkmcnt(0)
	s_barrier
	ds_read2_b32 v[73:74], v177 offset1:1
	ds_read2_b32 v[71:72], v176 offset1:1
	ds_read_b32 v224, v100 offset:1056
	s_waitcnt lgkmcnt(1)
	v_add3_u32 v225, v74, v73, v71
	s_waitcnt lgkmcnt(0)
	v_add3_u32 v224, v225, v72, v224
	s_nop 1
	v_mov_b32_dpp v225, v224 row_shr:1 row_mask:0xf bank_mask:0xf
	v_cndmask_b32_e64 v225, v225, 0, s[16:17]
	v_add_u32_e32 v224, v225, v224
	s_nop 1
	v_mov_b32_dpp v225, v224 row_shr:2 row_mask:0xf bank_mask:0xf
	v_cndmask_b32_e64 v225, 0, v225, s[18:19]
	v_add_u32_e32 v224, v224, v225
	;; [unrolled: 4-line block ×4, first 2 shown]
	s_nop 1
	v_mov_b32_dpp v225, v224 row_bcast:15 row_mask:0xf bank_mask:0xf
	v_cndmask_b32_e64 v225, v225, 0, s[24:25]
	v_add_u32_e32 v224, v224, v225
	s_nop 1
	v_mov_b32_dpp v225, v224 row_bcast:31 row_mask:0xf bank_mask:0xf
	v_cndmask_b32_e64 v225, 0, v225, s[26:27]
	v_add_u32_e32 v224, v224, v225
	s_and_saveexec_b64 s[36:37], s[6:7]
; %bb.170:                              ;   in Loop: Header=BB1255_101 Depth=2
	ds_write_b32 v95, v224 offset:1024
; %bb.171:                              ;   in Loop: Header=BB1255_101 Depth=2
	s_or_b64 exec, exec, s[36:37]
	s_waitcnt lgkmcnt(0)
	s_barrier
	s_and_saveexec_b64 s[36:37], s[8:9]
	s_cbranch_execz .LBB1255_173
; %bb.172:                              ;   in Loop: Header=BB1255_101 Depth=2
	ds_read_b32 v225, v101 offset:1024
	s_waitcnt lgkmcnt(0)
	s_nop 0
	v_mov_b32_dpp v226, v225 row_shr:1 row_mask:0xf bank_mask:0xf
	v_cndmask_b32_e64 v226, v226, 0, s[30:31]
	v_add_u32_e32 v225, v226, v225
	s_nop 1
	v_mov_b32_dpp v226, v225 row_shr:2 row_mask:0xf bank_mask:0xf
	v_cndmask_b32_e64 v226, 0, v226, s[34:35]
	v_add_u32_e32 v225, v225, v226
	ds_write_b32 v101, v225 offset:1024
.LBB1255_173:                           ;   in Loop: Header=BB1255_101 Depth=2
	s_or_b64 exec, exec, s[36:37]
	v_mov_b32_e32 v225, 0
	s_waitcnt lgkmcnt(0)
	s_barrier
	s_and_saveexec_b64 s[36:37], s[10:11]
; %bb.174:                              ;   in Loop: Header=BB1255_101 Depth=2
	ds_read_b32 v225, v95 offset:1020
; %bb.175:                              ;   in Loop: Header=BB1255_101 Depth=2
	s_or_b64 exec, exec, s[36:37]
	s_waitcnt lgkmcnt(0)
	v_add_u32_e32 v224, v225, v224
	ds_bpermute_b32 v224, v137, v224
	s_waitcnt lgkmcnt(0)
	v_cndmask_b32_e64 v224, v224, v225, s[28:29]
	v_cndmask_b32_e64 v224, v224, 0, s[12:13]
	v_add_u32_e32 v73, v224, v73
	v_add_u32_e32 v74, v73, v74
	;; [unrolled: 1-line block ×4, first 2 shown]
	ds_write2_b32 v177, v224, v73 offset1:1
	ds_write2_b32 v176, v74, v71 offset1:1
	ds_write_b32 v100, v72 offset:1056
	s_waitcnt lgkmcnt(0)
	s_barrier
	ds_read_b32 v71, v180 offset:1040
	ds_read_b32 v72, v183 offset:1040
	;; [unrolled: 1-line block ×17, first 2 shown]
	v_mov_b32_e32 v4, 0x1000
	s_and_saveexec_b64 s[36:37], s[14:15]
; %bb.176:                              ;   in Loop: Header=BB1255_101 Depth=2
	ds_read_b32 v4, v100 offset:1060
; %bb.177:                              ;   in Loop: Header=BB1255_101 Depth=2
	s_or_b64 exec, exec, s[36:37]
	s_waitcnt lgkmcnt(0)
	s_barrier
	s_and_saveexec_b64 s[36:37], s[4:5]
	s_cbranch_execz .LBB1255_179
; %bb.178:                              ;   in Loop: Header=BB1255_101 Depth=2
	ds_read_b32 v201, v75
	s_waitcnt lgkmcnt(0)
	v_sub_u32_e32 v198, v201, v198
	ds_write_b32 v75, v198
.LBB1255_179:                           ;   in Loop: Header=BB1255_101 Depth=2
	s_or_b64 exec, exec, s[36:37]
	v_lshlrev_b32_e32 v178, 3, v178
	v_lshl_add_u32 v71, v71, 3, v178
	ds_write_b64 v71, v[39:40] offset:1024
	v_lshlrev_b32_e32 v39, 3, v181
	v_lshlrev_b32_e32 v40, 3, v179
	;; [unrolled: 1-line block ×3, first 2 shown]
	v_add3_u32 v72, v39, v40, v72
	ds_write_b64 v72, v[41:42] offset:1024
	v_lshlrev_b32_e32 v39, 3, v184
	v_lshlrev_b32_e32 v40, 3, v182
	v_lshlrev_b32_e32 v41, 3, v227
	v_add3_u32 v41, v39, v40, v41
	v_lshlrev_b32_e32 v39, 3, v187
	v_lshlrev_b32_e32 v40, 3, v185
	v_lshlrev_b32_e32 v42, 3, v226
	ds_write_b64 v41, v[47:48] offset:1024
	v_add3_u32 v42, v39, v40, v42
	v_lshlrev_b32_e32 v39, 3, v190
	v_lshlrev_b32_e32 v40, 3, v188
	v_lshlrev_b32_e32 v47, 3, v225
	v_add3_u32 v47, v39, v40, v47
	v_lshlrev_b32_e32 v39, 3, v193
	v_lshlrev_b32_e32 v40, 3, v191
	v_lshlrev_b32_e32 v48, 3, v224
	ds_write_b64 v42, v[51:52] offset:1024
	v_add3_u32 v48, v39, v40, v48
	;; [unrolled: 9-line block ×4, first 2 shown]
	v_lshlrev_b32_e32 v39, 3, v208
	v_lshlrev_b32_e32 v40, 3, v206
	;; [unrolled: 1-line block ×3, first 2 shown]
	v_add3_u32 v59, v39, v40, v59
	v_lshlrev_b32_e32 v39, 3, v211
	v_lshlrev_b32_e32 v40, 3, v209
	;; [unrolled: 1-line block ×3, first 2 shown]
	v_add3_u32 v60, v39, v40, v60
	ds_write_b64 v51, v[63:64] offset:1024
	ds_write_b64 v52, v[67:68] offset:1024
	ds_write_b64 v55, v[69:70] offset:1024
	ds_write_b64 v56, v[65:66] offset:1024
	ds_write_b64 v59, v[61:62] offset:1024
	ds_write_b64 v60, v[57:58] offset:1024
	v_lshlrev_b32_e32 v39, 3, v214
	v_lshlrev_b32_e32 v40, 3, v212
	v_lshlrev_b32_e32 v57, 3, v177
	v_add3_u32 v57, v39, v40, v57
	ds_write_b64 v57, v[53:54] offset:1024
	v_lshlrev_b32_e32 v39, 3, v217
	v_lshlrev_b32_e32 v40, 3, v215
	v_lshlrev_b32_e32 v53, 3, v176
	v_add3_u32 v53, v39, v40, v53
	ds_write_b64 v53, v[49:50] offset:1024
	;; [unrolled: 5-line block ×3, first 2 shown]
	v_lshlrev_b32_e32 v39, 3, v223
	v_lshlrev_b32_e32 v40, 3, v221
	;; [unrolled: 1-line block ×3, first 2 shown]
	v_add3_u32 v43, v39, v40, v43
	v_cmp_lt_u32_e64 s[36:37], v0, v175
	ds_write_b64 v43, v[45:46] offset:1024
	s_waitcnt lgkmcnt(0)
	s_barrier
	s_and_saveexec_b64 s[38:39], s[36:37]
	s_cbranch_execnz .LBB1255_248
; %bb.180:                              ;   in Loop: Header=BB1255_101 Depth=2
	s_or_b64 exec, exec, s[38:39]
	v_cmp_lt_u32_e64 s[38:39], v76, v175
	s_and_saveexec_b64 s[40:41], s[38:39]
	s_cbranch_execnz .LBB1255_249
.LBB1255_181:                           ;   in Loop: Header=BB1255_101 Depth=2
	s_or_b64 exec, exec, s[40:41]
	v_cmp_lt_u32_e64 s[40:41], v77, v175
	s_and_saveexec_b64 s[42:43], s[40:41]
	s_cbranch_execnz .LBB1255_250
.LBB1255_182:                           ;   in Loop: Header=BB1255_101 Depth=2
	s_or_b64 exec, exec, s[42:43]
	v_cmp_lt_u32_e64 s[42:43], v78, v175
	s_and_saveexec_b64 s[44:45], s[42:43]
	s_cbranch_execnz .LBB1255_251
.LBB1255_183:                           ;   in Loop: Header=BB1255_101 Depth=2
	s_or_b64 exec, exec, s[44:45]
	v_cmp_lt_u32_e64 s[44:45], v81, v175
	s_and_saveexec_b64 s[46:47], s[44:45]
	s_cbranch_execnz .LBB1255_252
.LBB1255_184:                           ;   in Loop: Header=BB1255_101 Depth=2
	s_or_b64 exec, exec, s[46:47]
	v_cmp_lt_u32_e64 s[46:47], v82, v175
	s_and_saveexec_b64 s[48:49], s[46:47]
	s_cbranch_execnz .LBB1255_253
.LBB1255_185:                           ;   in Loop: Header=BB1255_101 Depth=2
	s_or_b64 exec, exec, s[48:49]
	v_cmp_lt_u32_e64 s[48:49], v83, v175
	s_and_saveexec_b64 s[50:51], s[48:49]
	s_cbranch_execnz .LBB1255_254
.LBB1255_186:                           ;   in Loop: Header=BB1255_101 Depth=2
	s_or_b64 exec, exec, s[50:51]
	v_cmp_lt_u32_e64 s[50:51], v84, v175
	s_and_saveexec_b64 s[52:53], s[50:51]
	s_cbranch_execnz .LBB1255_255
.LBB1255_187:                           ;   in Loop: Header=BB1255_101 Depth=2
	s_or_b64 exec, exec, s[52:53]
	v_cmp_lt_u32_e64 s[52:53], v85, v175
	s_and_saveexec_b64 s[54:55], s[52:53]
	s_cbranch_execnz .LBB1255_256
.LBB1255_188:                           ;   in Loop: Header=BB1255_101 Depth=2
	s_or_b64 exec, exec, s[54:55]
	v_cmp_lt_u32_e64 s[54:55], v86, v175
	s_and_saveexec_b64 s[56:57], s[54:55]
	s_cbranch_execnz .LBB1255_257
.LBB1255_189:                           ;   in Loop: Header=BB1255_101 Depth=2
	s_or_b64 exec, exec, s[56:57]
	v_cmp_lt_u32_e64 s[56:57], v87, v175
	s_and_saveexec_b64 s[58:59], s[56:57]
	s_cbranch_execnz .LBB1255_258
.LBB1255_190:                           ;   in Loop: Header=BB1255_101 Depth=2
	s_or_b64 exec, exec, s[58:59]
	v_cmp_lt_u32_e64 s[58:59], v88, v175
	s_and_saveexec_b64 s[60:61], s[58:59]
	s_cbranch_execnz .LBB1255_259
.LBB1255_191:                           ;   in Loop: Header=BB1255_101 Depth=2
	s_or_b64 exec, exec, s[60:61]
	v_cmp_lt_u32_e64 s[60:61], v89, v175
	s_and_saveexec_b64 s[62:63], s[60:61]
	s_cbranch_execnz .LBB1255_260
.LBB1255_192:                           ;   in Loop: Header=BB1255_101 Depth=2
	s_or_b64 exec, exec, s[62:63]
	v_cmp_lt_u32_e64 s[62:63], v90, v175
	s_and_saveexec_b64 s[64:65], s[62:63]
	s_cbranch_execnz .LBB1255_261
.LBB1255_193:                           ;   in Loop: Header=BB1255_101 Depth=2
	s_or_b64 exec, exec, s[64:65]
	v_cmp_lt_u32_e64 s[64:65], v91, v175
	s_and_saveexec_b64 s[66:67], s[64:65]
	s_cbranch_execnz .LBB1255_262
.LBB1255_194:                           ;   in Loop: Header=BB1255_101 Depth=2
	s_or_b64 exec, exec, s[66:67]
	v_cmp_lt_u32_e64 s[66:67], v92, v175
	s_and_saveexec_b64 s[92:93], s[66:67]
	s_cbranch_execz .LBB1255_196
.LBB1255_195:                           ;   in Loop: Header=BB1255_101 Depth=2
	ds_read_b64 v[39:40], v106 offset:31744
	v_mov_b32_e32 v45, v3
	v_mov_b32_e32 v46, s79
	s_waitcnt lgkmcnt(0)
	v_cmp_ne_u64_e32 vcc, s[82:83], v[39:40]
	v_ashrrev_i32_e32 v54, 31, v40
	v_cndmask_b32_e32 v62, v135, v40, vcc
	v_cndmask_b32_e32 v61, 0, v39, vcc
	v_lshrrev_b64 v[61:62], s95, v[61:62]
	v_cmp_lt_i64_e32 vcc, -1, v[39:40]
	v_and_b32_e32 v50, s97, v61
	v_lshlrev_b32_e32 v50, 2, v50
	ds_read_b32 v50, v50
	v_cndmask_b32_e64 v44, v135, -1, vcc
	v_xor_b32_e32 v40, v44, v40
	v_not_b32_e32 v54, v54
	v_xor_b32_e32 v39, v54, v39
	s_waitcnt lgkmcnt(0)
	v_add_u32_e32 v44, v50, v92
	v_lshlrev_b64 v[44:45], 3, v[44:45]
	v_add_co_u32_e32 v44, vcc, s78, v44
	v_addc_co_u32_e32 v45, vcc, v46, v45, vcc
	global_store_dwordx2 v[44:45], v[39:40], off
.LBB1255_196:                           ;   in Loop: Header=BB1255_101 Depth=2
	s_or_b64 exec, exec, s[92:93]
	s_lshl_b64 s[92:93], s[72:73], 3
	v_mov_b32_e32 v40, s93
	v_add_co_u32_e32 v39, vcc, s92, v147
	v_addc_co_u32_e32 v40, vcc, v149, v40, vcc
	v_cmp_lt_u32_e32 vcc, v145, v175
	s_and_saveexec_b64 s[92:93], vcc
	s_xor_b64 s[92:93], exec, s[92:93]
	s_cbranch_execnz .LBB1255_263
; %bb.197:                              ;   in Loop: Header=BB1255_101 Depth=2
	s_or_b64 exec, exec, s[92:93]
	v_cmp_lt_u32_e32 vcc, v151, v175
	s_and_saveexec_b64 s[92:93], vcc
	s_cbranch_execnz .LBB1255_264
.LBB1255_198:                           ;   in Loop: Header=BB1255_101 Depth=2
	s_or_b64 exec, exec, s[92:93]
	v_cmp_lt_u32_e32 vcc, v153, v175
	s_and_saveexec_b64 s[92:93], vcc
	s_cbranch_execnz .LBB1255_265
.LBB1255_199:                           ;   in Loop: Header=BB1255_101 Depth=2
	s_or_b64 exec, exec, s[92:93]
	v_cmp_lt_u32_e32 vcc, v155, v175
	s_and_saveexec_b64 s[92:93], vcc
	s_cbranch_execnz .LBB1255_266
.LBB1255_200:                           ;   in Loop: Header=BB1255_101 Depth=2
	s_or_b64 exec, exec, s[92:93]
	v_cmp_lt_u32_e32 vcc, v157, v175
	s_and_saveexec_b64 s[92:93], vcc
	s_cbranch_execnz .LBB1255_267
.LBB1255_201:                           ;   in Loop: Header=BB1255_101 Depth=2
	s_or_b64 exec, exec, s[92:93]
	v_cmp_lt_u32_e32 vcc, v159, v175
	s_and_saveexec_b64 s[92:93], vcc
	s_cbranch_execnz .LBB1255_268
.LBB1255_202:                           ;   in Loop: Header=BB1255_101 Depth=2
	s_or_b64 exec, exec, s[92:93]
	v_cmp_lt_u32_e32 vcc, v161, v175
	s_and_saveexec_b64 s[92:93], vcc
	s_cbranch_execnz .LBB1255_269
.LBB1255_203:                           ;   in Loop: Header=BB1255_101 Depth=2
	s_or_b64 exec, exec, s[92:93]
	v_cmp_lt_u32_e32 vcc, v163, v175
	s_and_saveexec_b64 s[92:93], vcc
	s_cbranch_execnz .LBB1255_270
.LBB1255_204:                           ;   in Loop: Header=BB1255_101 Depth=2
	s_or_b64 exec, exec, s[92:93]
	v_cmp_lt_u32_e32 vcc, v164, v175
	s_and_saveexec_b64 s[92:93], vcc
	s_cbranch_execnz .LBB1255_271
.LBB1255_205:                           ;   in Loop: Header=BB1255_101 Depth=2
	s_or_b64 exec, exec, s[92:93]
	v_cmp_lt_u32_e32 vcc, v165, v175
	s_and_saveexec_b64 s[92:93], vcc
	s_cbranch_execnz .LBB1255_272
.LBB1255_206:                           ;   in Loop: Header=BB1255_101 Depth=2
	s_or_b64 exec, exec, s[92:93]
	v_cmp_lt_u32_e32 vcc, v166, v175
	s_and_saveexec_b64 s[92:93], vcc
	s_cbranch_execnz .LBB1255_273
.LBB1255_207:                           ;   in Loop: Header=BB1255_101 Depth=2
	s_or_b64 exec, exec, s[92:93]
	v_cmp_lt_u32_e32 vcc, v167, v175
	s_and_saveexec_b64 s[92:93], vcc
	s_cbranch_execnz .LBB1255_274
.LBB1255_208:                           ;   in Loop: Header=BB1255_101 Depth=2
	s_or_b64 exec, exec, s[92:93]
	v_cmp_lt_u32_e32 vcc, v168, v175
	s_and_saveexec_b64 s[92:93], vcc
	s_cbranch_execnz .LBB1255_275
.LBB1255_209:                           ;   in Loop: Header=BB1255_101 Depth=2
	s_or_b64 exec, exec, s[92:93]
	v_cmp_lt_u32_e32 vcc, v169, v175
	s_and_saveexec_b64 s[92:93], vcc
	s_cbranch_execnz .LBB1255_276
.LBB1255_210:                           ;   in Loop: Header=BB1255_101 Depth=2
	s_or_b64 exec, exec, s[92:93]
	v_cmp_lt_u32_e32 vcc, v170, v175
	s_and_saveexec_b64 s[92:93], vcc
	s_cbranch_execnz .LBB1255_277
.LBB1255_211:                           ;   in Loop: Header=BB1255_101 Depth=2
	s_or_b64 exec, exec, s[92:93]
	v_cmp_lt_u32_e32 vcc, v171, v175
	s_and_saveexec_b64 s[92:93], vcc
	s_cbranch_execnz .LBB1255_278
.LBB1255_212:                           ;   in Loop: Header=BB1255_101 Depth=2
	s_or_b64 exec, exec, s[92:93]
	s_and_saveexec_b64 s[92:93], s[36:37]
	s_cbranch_execnz .LBB1255_279
.LBB1255_213:                           ;   in Loop: Header=BB1255_101 Depth=2
	s_or_b64 exec, exec, s[92:93]
	s_and_saveexec_b64 s[92:93], s[38:39]
	s_cbranch_execnz .LBB1255_280
.LBB1255_214:                           ;   in Loop: Header=BB1255_101 Depth=2
	s_or_b64 exec, exec, s[92:93]
	s_and_saveexec_b64 s[92:93], s[40:41]
	s_cbranch_execnz .LBB1255_281
.LBB1255_215:                           ;   in Loop: Header=BB1255_101 Depth=2
	s_or_b64 exec, exec, s[92:93]
	s_and_saveexec_b64 s[92:93], s[42:43]
	s_cbranch_execnz .LBB1255_282
.LBB1255_216:                           ;   in Loop: Header=BB1255_101 Depth=2
	s_or_b64 exec, exec, s[92:93]
	s_and_saveexec_b64 s[92:93], s[44:45]
	s_cbranch_execnz .LBB1255_283
.LBB1255_217:                           ;   in Loop: Header=BB1255_101 Depth=2
	s_or_b64 exec, exec, s[92:93]
	s_and_saveexec_b64 s[92:93], s[46:47]
	s_cbranch_execnz .LBB1255_284
.LBB1255_218:                           ;   in Loop: Header=BB1255_101 Depth=2
	s_or_b64 exec, exec, s[92:93]
	s_and_saveexec_b64 s[92:93], s[48:49]
	s_cbranch_execnz .LBB1255_285
.LBB1255_219:                           ;   in Loop: Header=BB1255_101 Depth=2
	s_or_b64 exec, exec, s[92:93]
	s_and_saveexec_b64 s[92:93], s[50:51]
	s_cbranch_execnz .LBB1255_286
.LBB1255_220:                           ;   in Loop: Header=BB1255_101 Depth=2
	s_or_b64 exec, exec, s[92:93]
	s_and_saveexec_b64 s[92:93], s[52:53]
	s_cbranch_execnz .LBB1255_287
.LBB1255_221:                           ;   in Loop: Header=BB1255_101 Depth=2
	s_or_b64 exec, exec, s[92:93]
	s_and_saveexec_b64 s[92:93], s[54:55]
	s_cbranch_execnz .LBB1255_288
.LBB1255_222:                           ;   in Loop: Header=BB1255_101 Depth=2
	s_or_b64 exec, exec, s[92:93]
	s_and_saveexec_b64 s[92:93], s[56:57]
	s_cbranch_execnz .LBB1255_289
.LBB1255_223:                           ;   in Loop: Header=BB1255_101 Depth=2
	s_or_b64 exec, exec, s[92:93]
	s_and_saveexec_b64 s[92:93], s[58:59]
	s_cbranch_execnz .LBB1255_290
.LBB1255_224:                           ;   in Loop: Header=BB1255_101 Depth=2
	s_or_b64 exec, exec, s[92:93]
	s_and_saveexec_b64 s[92:93], s[60:61]
	s_cbranch_execnz .LBB1255_291
.LBB1255_225:                           ;   in Loop: Header=BB1255_101 Depth=2
	s_or_b64 exec, exec, s[92:93]
	s_and_saveexec_b64 s[92:93], s[62:63]
	s_cbranch_execnz .LBB1255_292
.LBB1255_226:                           ;   in Loop: Header=BB1255_101 Depth=2
	s_or_b64 exec, exec, s[92:93]
	s_and_saveexec_b64 s[92:93], s[64:65]
	s_cbranch_execnz .LBB1255_293
.LBB1255_227:                           ;   in Loop: Header=BB1255_101 Depth=2
	s_or_b64 exec, exec, s[92:93]
	s_and_saveexec_b64 s[92:93], s[66:67]
	s_cbranch_execz .LBB1255_229
.LBB1255_228:                           ;   in Loop: Header=BB1255_101 Depth=2
	ds_read_b64 v[39:40], v106 offset:31744
	s_waitcnt lgkmcnt(0)
	v_cmp_ne_u64_e32 vcc, s[82:83], v[39:40]
	v_cndmask_b32_e32 v40, v135, v40, vcc
	v_cndmask_b32_e32 v39, 0, v39, vcc
	v_lshrrev_b64 v[39:40], s95, v[39:40]
	v_and_b32_e32 v138, s97, v39
.LBB1255_229:                           ;   in Loop: Header=BB1255_101 Depth=2
	s_or_b64 exec, exec, s[92:93]
	s_waitcnt vmcnt(0)
	s_barrier
	ds_write_b64 v71, v[37:38] offset:1024
	ds_write_b64 v72, v[35:36] offset:1024
	;; [unrolled: 1-line block ×16, first 2 shown]
	s_waitcnt lgkmcnt(0)
	s_barrier
	s_and_saveexec_b64 s[92:93], s[36:37]
	s_cbranch_execnz .LBB1255_294
; %bb.230:                              ;   in Loop: Header=BB1255_101 Depth=2
	s_or_b64 exec, exec, s[92:93]
	s_and_saveexec_b64 s[36:37], s[38:39]
	s_cbranch_execnz .LBB1255_295
.LBB1255_231:                           ;   in Loop: Header=BB1255_101 Depth=2
	s_or_b64 exec, exec, s[36:37]
	s_and_saveexec_b64 s[36:37], s[40:41]
	s_cbranch_execnz .LBB1255_296
.LBB1255_232:                           ;   in Loop: Header=BB1255_101 Depth=2
	s_or_b64 exec, exec, s[36:37]
	s_and_saveexec_b64 s[36:37], s[42:43]
	s_cbranch_execnz .LBB1255_297
.LBB1255_233:                           ;   in Loop: Header=BB1255_101 Depth=2
	s_or_b64 exec, exec, s[36:37]
	s_and_saveexec_b64 s[36:37], s[44:45]
	s_cbranch_execnz .LBB1255_298
.LBB1255_234:                           ;   in Loop: Header=BB1255_101 Depth=2
	s_or_b64 exec, exec, s[36:37]
	s_and_saveexec_b64 s[36:37], s[46:47]
	s_cbranch_execnz .LBB1255_299
.LBB1255_235:                           ;   in Loop: Header=BB1255_101 Depth=2
	s_or_b64 exec, exec, s[36:37]
	s_and_saveexec_b64 s[36:37], s[48:49]
	s_cbranch_execnz .LBB1255_300
.LBB1255_236:                           ;   in Loop: Header=BB1255_101 Depth=2
	s_or_b64 exec, exec, s[36:37]
	s_and_saveexec_b64 s[36:37], s[50:51]
	s_cbranch_execnz .LBB1255_301
.LBB1255_237:                           ;   in Loop: Header=BB1255_101 Depth=2
	s_or_b64 exec, exec, s[36:37]
	s_and_saveexec_b64 s[36:37], s[52:53]
	s_cbranch_execnz .LBB1255_302
.LBB1255_238:                           ;   in Loop: Header=BB1255_101 Depth=2
	s_or_b64 exec, exec, s[36:37]
	s_and_saveexec_b64 s[36:37], s[54:55]
	s_cbranch_execnz .LBB1255_303
.LBB1255_239:                           ;   in Loop: Header=BB1255_101 Depth=2
	s_or_b64 exec, exec, s[36:37]
	s_and_saveexec_b64 s[36:37], s[56:57]
	s_cbranch_execnz .LBB1255_304
.LBB1255_240:                           ;   in Loop: Header=BB1255_101 Depth=2
	s_or_b64 exec, exec, s[36:37]
	s_and_saveexec_b64 s[36:37], s[58:59]
	s_cbranch_execnz .LBB1255_305
.LBB1255_241:                           ;   in Loop: Header=BB1255_101 Depth=2
	s_or_b64 exec, exec, s[36:37]
	s_and_saveexec_b64 s[36:37], s[60:61]
	s_cbranch_execnz .LBB1255_306
.LBB1255_242:                           ;   in Loop: Header=BB1255_101 Depth=2
	s_or_b64 exec, exec, s[36:37]
	s_and_saveexec_b64 s[36:37], s[62:63]
	s_cbranch_execnz .LBB1255_307
.LBB1255_243:                           ;   in Loop: Header=BB1255_101 Depth=2
	s_or_b64 exec, exec, s[36:37]
	s_and_saveexec_b64 s[36:37], s[64:65]
	s_cbranch_execnz .LBB1255_308
.LBB1255_244:                           ;   in Loop: Header=BB1255_101 Depth=2
	s_or_b64 exec, exec, s[36:37]
	s_and_saveexec_b64 s[36:37], s[66:67]
	s_cbranch_execz .LBB1255_246
.LBB1255_245:                           ;   in Loop: Header=BB1255_101 Depth=2
	v_lshlrev_b32_e32 v39, 2, v138
	ds_read_b32 v41, v39
	ds_read_b64 v[39:40], v106 offset:31744
	v_mov_b32_e32 v42, v3
	v_mov_b32_e32 v43, s85
	s_waitcnt lgkmcnt(1)
	v_add_u32_e32 v41, v41, v92
	v_lshlrev_b64 v[41:42], 3, v[41:42]
	v_add_co_u32_e32 v41, vcc, s84, v41
	v_addc_co_u32_e32 v42, vcc, v43, v42, vcc
	s_waitcnt lgkmcnt(0)
	global_store_dwordx2 v[41:42], v[39:40], off
.LBB1255_246:                           ;   in Loop: Header=BB1255_101 Depth=2
	s_or_b64 exec, exec, s[36:37]
	s_waitcnt vmcnt(0)
	s_barrier
	s_and_saveexec_b64 s[36:37], s[4:5]
	s_cbranch_execz .LBB1255_100
; %bb.247:                              ;   in Loop: Header=BB1255_101 Depth=2
	ds_read_b32 v39, v75
	s_waitcnt lgkmcnt(0)
	v_add_u32_e32 v4, v39, v4
	ds_write_b32 v75, v4
	s_branch .LBB1255_100
.LBB1255_248:                           ;   in Loop: Header=BB1255_101 Depth=2
	ds_read_b64 v[39:40], v106 offset:1024
	v_mov_b32_e32 v45, v3
	v_mov_b32_e32 v46, s79
	s_waitcnt lgkmcnt(0)
	v_cmp_ne_u64_e32 vcc, s[82:83], v[39:40]
	v_ashrrev_i32_e32 v54, 31, v40
	v_cndmask_b32_e32 v62, v135, v40, vcc
	v_cndmask_b32_e32 v61, 0, v39, vcc
	v_lshrrev_b64 v[61:62], s95, v[61:62]
	v_cmp_lt_i64_e32 vcc, -1, v[39:40]
	v_and_b32_e32 v50, s97, v61
	v_lshlrev_b32_e32 v50, 2, v50
	ds_read_b32 v50, v50
	v_cndmask_b32_e64 v44, v135, -1, vcc
	v_xor_b32_e32 v40, v44, v40
	v_not_b32_e32 v54, v54
	v_xor_b32_e32 v39, v54, v39
	s_waitcnt lgkmcnt(0)
	v_add_u32_e32 v44, v50, v0
	v_lshlrev_b64 v[44:45], 3, v[44:45]
	v_add_co_u32_e32 v44, vcc, s78, v44
	v_addc_co_u32_e32 v45, vcc, v46, v45, vcc
	global_store_dwordx2 v[44:45], v[39:40], off
	s_or_b64 exec, exec, s[38:39]
	v_cmp_lt_u32_e64 s[38:39], v76, v175
	s_and_saveexec_b64 s[40:41], s[38:39]
	s_cbranch_execz .LBB1255_181
.LBB1255_249:                           ;   in Loop: Header=BB1255_101 Depth=2
	ds_read_b64 v[39:40], v106 offset:3072
	v_mov_b32_e32 v45, v3
	v_mov_b32_e32 v46, s79
	s_waitcnt lgkmcnt(0)
	v_cmp_ne_u64_e32 vcc, s[82:83], v[39:40]
	v_ashrrev_i32_e32 v54, 31, v40
	v_cndmask_b32_e32 v62, v135, v40, vcc
	v_cndmask_b32_e32 v61, 0, v39, vcc
	v_lshrrev_b64 v[61:62], s95, v[61:62]
	v_cmp_lt_i64_e32 vcc, -1, v[39:40]
	v_and_b32_e32 v50, s97, v61
	v_lshlrev_b32_e32 v50, 2, v50
	ds_read_b32 v50, v50
	v_cndmask_b32_e64 v44, v135, -1, vcc
	v_xor_b32_e32 v40, v44, v40
	v_not_b32_e32 v54, v54
	v_xor_b32_e32 v39, v54, v39
	s_waitcnt lgkmcnt(0)
	v_add_u32_e32 v44, v50, v76
	v_lshlrev_b64 v[44:45], 3, v[44:45]
	v_add_co_u32_e32 v44, vcc, s78, v44
	v_addc_co_u32_e32 v45, vcc, v46, v45, vcc
	global_store_dwordx2 v[44:45], v[39:40], off
	s_or_b64 exec, exec, s[40:41]
	v_cmp_lt_u32_e64 s[40:41], v77, v175
	s_and_saveexec_b64 s[42:43], s[40:41]
	s_cbranch_execz .LBB1255_182
.LBB1255_250:                           ;   in Loop: Header=BB1255_101 Depth=2
	ds_read_b64 v[39:40], v106 offset:5120
	v_mov_b32_e32 v45, v3
	v_mov_b32_e32 v46, s79
	s_waitcnt lgkmcnt(0)
	v_cmp_ne_u64_e32 vcc, s[82:83], v[39:40]
	v_ashrrev_i32_e32 v54, 31, v40
	v_cndmask_b32_e32 v62, v135, v40, vcc
	v_cndmask_b32_e32 v61, 0, v39, vcc
	v_lshrrev_b64 v[61:62], s95, v[61:62]
	v_cmp_lt_i64_e32 vcc, -1, v[39:40]
	v_and_b32_e32 v50, s97, v61
	v_lshlrev_b32_e32 v50, 2, v50
	ds_read_b32 v50, v50
	v_cndmask_b32_e64 v44, v135, -1, vcc
	v_xor_b32_e32 v40, v44, v40
	v_not_b32_e32 v54, v54
	v_xor_b32_e32 v39, v54, v39
	s_waitcnt lgkmcnt(0)
	v_add_u32_e32 v44, v50, v77
	v_lshlrev_b64 v[44:45], 3, v[44:45]
	v_add_co_u32_e32 v44, vcc, s78, v44
	v_addc_co_u32_e32 v45, vcc, v46, v45, vcc
	global_store_dwordx2 v[44:45], v[39:40], off
	s_or_b64 exec, exec, s[42:43]
	v_cmp_lt_u32_e64 s[42:43], v78, v175
	s_and_saveexec_b64 s[44:45], s[42:43]
	s_cbranch_execz .LBB1255_183
.LBB1255_251:                           ;   in Loop: Header=BB1255_101 Depth=2
	ds_read_b64 v[39:40], v106 offset:7168
	v_mov_b32_e32 v45, v3
	v_mov_b32_e32 v46, s79
	s_waitcnt lgkmcnt(0)
	v_cmp_ne_u64_e32 vcc, s[82:83], v[39:40]
	v_ashrrev_i32_e32 v54, 31, v40
	v_cndmask_b32_e32 v62, v135, v40, vcc
	v_cndmask_b32_e32 v61, 0, v39, vcc
	v_lshrrev_b64 v[61:62], s95, v[61:62]
	v_cmp_lt_i64_e32 vcc, -1, v[39:40]
	v_and_b32_e32 v50, s97, v61
	v_lshlrev_b32_e32 v50, 2, v50
	ds_read_b32 v50, v50
	v_cndmask_b32_e64 v44, v135, -1, vcc
	v_xor_b32_e32 v40, v44, v40
	v_not_b32_e32 v54, v54
	v_xor_b32_e32 v39, v54, v39
	s_waitcnt lgkmcnt(0)
	v_add_u32_e32 v44, v50, v78
	v_lshlrev_b64 v[44:45], 3, v[44:45]
	v_add_co_u32_e32 v44, vcc, s78, v44
	v_addc_co_u32_e32 v45, vcc, v46, v45, vcc
	global_store_dwordx2 v[44:45], v[39:40], off
	s_or_b64 exec, exec, s[44:45]
	v_cmp_lt_u32_e64 s[44:45], v81, v175
	s_and_saveexec_b64 s[46:47], s[44:45]
	s_cbranch_execz .LBB1255_184
.LBB1255_252:                           ;   in Loop: Header=BB1255_101 Depth=2
	ds_read_b64 v[39:40], v106 offset:9216
	v_mov_b32_e32 v45, v3
	v_mov_b32_e32 v46, s79
	s_waitcnt lgkmcnt(0)
	v_cmp_ne_u64_e32 vcc, s[82:83], v[39:40]
	v_ashrrev_i32_e32 v54, 31, v40
	v_cndmask_b32_e32 v62, v135, v40, vcc
	v_cndmask_b32_e32 v61, 0, v39, vcc
	v_lshrrev_b64 v[61:62], s95, v[61:62]
	v_cmp_lt_i64_e32 vcc, -1, v[39:40]
	v_and_b32_e32 v50, s97, v61
	v_lshlrev_b32_e32 v50, 2, v50
	ds_read_b32 v50, v50
	v_cndmask_b32_e64 v44, v135, -1, vcc
	v_xor_b32_e32 v40, v44, v40
	v_not_b32_e32 v54, v54
	v_xor_b32_e32 v39, v54, v39
	s_waitcnt lgkmcnt(0)
	v_add_u32_e32 v44, v50, v81
	v_lshlrev_b64 v[44:45], 3, v[44:45]
	v_add_co_u32_e32 v44, vcc, s78, v44
	v_addc_co_u32_e32 v45, vcc, v46, v45, vcc
	global_store_dwordx2 v[44:45], v[39:40], off
	s_or_b64 exec, exec, s[46:47]
	v_cmp_lt_u32_e64 s[46:47], v82, v175
	s_and_saveexec_b64 s[48:49], s[46:47]
	s_cbranch_execz .LBB1255_185
.LBB1255_253:                           ;   in Loop: Header=BB1255_101 Depth=2
	ds_read_b64 v[39:40], v106 offset:11264
	v_mov_b32_e32 v45, v3
	v_mov_b32_e32 v46, s79
	s_waitcnt lgkmcnt(0)
	v_cmp_ne_u64_e32 vcc, s[82:83], v[39:40]
	v_ashrrev_i32_e32 v54, 31, v40
	v_cndmask_b32_e32 v62, v135, v40, vcc
	v_cndmask_b32_e32 v61, 0, v39, vcc
	v_lshrrev_b64 v[61:62], s95, v[61:62]
	v_cmp_lt_i64_e32 vcc, -1, v[39:40]
	v_and_b32_e32 v50, s97, v61
	v_lshlrev_b32_e32 v50, 2, v50
	ds_read_b32 v50, v50
	v_cndmask_b32_e64 v44, v135, -1, vcc
	v_xor_b32_e32 v40, v44, v40
	v_not_b32_e32 v54, v54
	v_xor_b32_e32 v39, v54, v39
	s_waitcnt lgkmcnt(0)
	v_add_u32_e32 v44, v50, v82
	v_lshlrev_b64 v[44:45], 3, v[44:45]
	v_add_co_u32_e32 v44, vcc, s78, v44
	v_addc_co_u32_e32 v45, vcc, v46, v45, vcc
	global_store_dwordx2 v[44:45], v[39:40], off
	s_or_b64 exec, exec, s[48:49]
	v_cmp_lt_u32_e64 s[48:49], v83, v175
	s_and_saveexec_b64 s[50:51], s[48:49]
	s_cbranch_execz .LBB1255_186
.LBB1255_254:                           ;   in Loop: Header=BB1255_101 Depth=2
	ds_read_b64 v[39:40], v106 offset:13312
	v_mov_b32_e32 v45, v3
	v_mov_b32_e32 v46, s79
	s_waitcnt lgkmcnt(0)
	v_cmp_ne_u64_e32 vcc, s[82:83], v[39:40]
	v_ashrrev_i32_e32 v54, 31, v40
	v_cndmask_b32_e32 v62, v135, v40, vcc
	v_cndmask_b32_e32 v61, 0, v39, vcc
	v_lshrrev_b64 v[61:62], s95, v[61:62]
	v_cmp_lt_i64_e32 vcc, -1, v[39:40]
	v_and_b32_e32 v50, s97, v61
	v_lshlrev_b32_e32 v50, 2, v50
	ds_read_b32 v50, v50
	v_cndmask_b32_e64 v44, v135, -1, vcc
	v_xor_b32_e32 v40, v44, v40
	v_not_b32_e32 v54, v54
	v_xor_b32_e32 v39, v54, v39
	s_waitcnt lgkmcnt(0)
	v_add_u32_e32 v44, v50, v83
	v_lshlrev_b64 v[44:45], 3, v[44:45]
	v_add_co_u32_e32 v44, vcc, s78, v44
	v_addc_co_u32_e32 v45, vcc, v46, v45, vcc
	global_store_dwordx2 v[44:45], v[39:40], off
	s_or_b64 exec, exec, s[50:51]
	v_cmp_lt_u32_e64 s[50:51], v84, v175
	s_and_saveexec_b64 s[52:53], s[50:51]
	s_cbranch_execz .LBB1255_187
.LBB1255_255:                           ;   in Loop: Header=BB1255_101 Depth=2
	ds_read_b64 v[39:40], v106 offset:15360
	v_mov_b32_e32 v45, v3
	v_mov_b32_e32 v46, s79
	s_waitcnt lgkmcnt(0)
	v_cmp_ne_u64_e32 vcc, s[82:83], v[39:40]
	v_ashrrev_i32_e32 v54, 31, v40
	v_cndmask_b32_e32 v62, v135, v40, vcc
	v_cndmask_b32_e32 v61, 0, v39, vcc
	v_lshrrev_b64 v[61:62], s95, v[61:62]
	v_cmp_lt_i64_e32 vcc, -1, v[39:40]
	v_and_b32_e32 v50, s97, v61
	v_lshlrev_b32_e32 v50, 2, v50
	ds_read_b32 v50, v50
	v_cndmask_b32_e64 v44, v135, -1, vcc
	v_xor_b32_e32 v40, v44, v40
	v_not_b32_e32 v54, v54
	v_xor_b32_e32 v39, v54, v39
	s_waitcnt lgkmcnt(0)
	v_add_u32_e32 v44, v50, v84
	v_lshlrev_b64 v[44:45], 3, v[44:45]
	v_add_co_u32_e32 v44, vcc, s78, v44
	v_addc_co_u32_e32 v45, vcc, v46, v45, vcc
	global_store_dwordx2 v[44:45], v[39:40], off
	s_or_b64 exec, exec, s[52:53]
	v_cmp_lt_u32_e64 s[52:53], v85, v175
	s_and_saveexec_b64 s[54:55], s[52:53]
	s_cbranch_execz .LBB1255_188
.LBB1255_256:                           ;   in Loop: Header=BB1255_101 Depth=2
	ds_read_b64 v[39:40], v106 offset:17408
	v_mov_b32_e32 v45, v3
	v_mov_b32_e32 v46, s79
	s_waitcnt lgkmcnt(0)
	v_cmp_ne_u64_e32 vcc, s[82:83], v[39:40]
	v_ashrrev_i32_e32 v54, 31, v40
	v_cndmask_b32_e32 v62, v135, v40, vcc
	v_cndmask_b32_e32 v61, 0, v39, vcc
	v_lshrrev_b64 v[61:62], s95, v[61:62]
	v_cmp_lt_i64_e32 vcc, -1, v[39:40]
	v_and_b32_e32 v50, s97, v61
	v_lshlrev_b32_e32 v50, 2, v50
	ds_read_b32 v50, v50
	v_cndmask_b32_e64 v44, v135, -1, vcc
	v_xor_b32_e32 v40, v44, v40
	v_not_b32_e32 v54, v54
	v_xor_b32_e32 v39, v54, v39
	s_waitcnt lgkmcnt(0)
	v_add_u32_e32 v44, v50, v85
	v_lshlrev_b64 v[44:45], 3, v[44:45]
	v_add_co_u32_e32 v44, vcc, s78, v44
	v_addc_co_u32_e32 v45, vcc, v46, v45, vcc
	global_store_dwordx2 v[44:45], v[39:40], off
	s_or_b64 exec, exec, s[54:55]
	v_cmp_lt_u32_e64 s[54:55], v86, v175
	s_and_saveexec_b64 s[56:57], s[54:55]
	s_cbranch_execz .LBB1255_189
.LBB1255_257:                           ;   in Loop: Header=BB1255_101 Depth=2
	ds_read_b64 v[39:40], v106 offset:19456
	v_mov_b32_e32 v45, v3
	v_mov_b32_e32 v46, s79
	s_waitcnt lgkmcnt(0)
	v_cmp_ne_u64_e32 vcc, s[82:83], v[39:40]
	v_ashrrev_i32_e32 v54, 31, v40
	v_cndmask_b32_e32 v62, v135, v40, vcc
	v_cndmask_b32_e32 v61, 0, v39, vcc
	v_lshrrev_b64 v[61:62], s95, v[61:62]
	v_cmp_lt_i64_e32 vcc, -1, v[39:40]
	v_and_b32_e32 v50, s97, v61
	v_lshlrev_b32_e32 v50, 2, v50
	ds_read_b32 v50, v50
	v_cndmask_b32_e64 v44, v135, -1, vcc
	v_xor_b32_e32 v40, v44, v40
	v_not_b32_e32 v54, v54
	v_xor_b32_e32 v39, v54, v39
	s_waitcnt lgkmcnt(0)
	v_add_u32_e32 v44, v50, v86
	v_lshlrev_b64 v[44:45], 3, v[44:45]
	v_add_co_u32_e32 v44, vcc, s78, v44
	v_addc_co_u32_e32 v45, vcc, v46, v45, vcc
	global_store_dwordx2 v[44:45], v[39:40], off
	s_or_b64 exec, exec, s[56:57]
	v_cmp_lt_u32_e64 s[56:57], v87, v175
	s_and_saveexec_b64 s[58:59], s[56:57]
	s_cbranch_execz .LBB1255_190
.LBB1255_258:                           ;   in Loop: Header=BB1255_101 Depth=2
	ds_read_b64 v[39:40], v106 offset:21504
	v_mov_b32_e32 v45, v3
	v_mov_b32_e32 v46, s79
	s_waitcnt lgkmcnt(0)
	v_cmp_ne_u64_e32 vcc, s[82:83], v[39:40]
	v_ashrrev_i32_e32 v54, 31, v40
	v_cndmask_b32_e32 v62, v135, v40, vcc
	v_cndmask_b32_e32 v61, 0, v39, vcc
	v_lshrrev_b64 v[61:62], s95, v[61:62]
	v_cmp_lt_i64_e32 vcc, -1, v[39:40]
	v_and_b32_e32 v50, s97, v61
	v_lshlrev_b32_e32 v50, 2, v50
	ds_read_b32 v50, v50
	v_cndmask_b32_e64 v44, v135, -1, vcc
	v_xor_b32_e32 v40, v44, v40
	v_not_b32_e32 v54, v54
	v_xor_b32_e32 v39, v54, v39
	s_waitcnt lgkmcnt(0)
	v_add_u32_e32 v44, v50, v87
	v_lshlrev_b64 v[44:45], 3, v[44:45]
	v_add_co_u32_e32 v44, vcc, s78, v44
	v_addc_co_u32_e32 v45, vcc, v46, v45, vcc
	global_store_dwordx2 v[44:45], v[39:40], off
	s_or_b64 exec, exec, s[58:59]
	v_cmp_lt_u32_e64 s[58:59], v88, v175
	s_and_saveexec_b64 s[60:61], s[58:59]
	s_cbranch_execz .LBB1255_191
.LBB1255_259:                           ;   in Loop: Header=BB1255_101 Depth=2
	ds_read_b64 v[39:40], v106 offset:23552
	v_mov_b32_e32 v45, v3
	v_mov_b32_e32 v46, s79
	s_waitcnt lgkmcnt(0)
	v_cmp_ne_u64_e32 vcc, s[82:83], v[39:40]
	v_ashrrev_i32_e32 v54, 31, v40
	v_cndmask_b32_e32 v62, v135, v40, vcc
	v_cndmask_b32_e32 v61, 0, v39, vcc
	v_lshrrev_b64 v[61:62], s95, v[61:62]
	v_cmp_lt_i64_e32 vcc, -1, v[39:40]
	v_and_b32_e32 v50, s97, v61
	v_lshlrev_b32_e32 v50, 2, v50
	ds_read_b32 v50, v50
	v_cndmask_b32_e64 v44, v135, -1, vcc
	v_xor_b32_e32 v40, v44, v40
	v_not_b32_e32 v54, v54
	v_xor_b32_e32 v39, v54, v39
	s_waitcnt lgkmcnt(0)
	v_add_u32_e32 v44, v50, v88
	v_lshlrev_b64 v[44:45], 3, v[44:45]
	v_add_co_u32_e32 v44, vcc, s78, v44
	v_addc_co_u32_e32 v45, vcc, v46, v45, vcc
	global_store_dwordx2 v[44:45], v[39:40], off
	s_or_b64 exec, exec, s[60:61]
	v_cmp_lt_u32_e64 s[60:61], v89, v175
	s_and_saveexec_b64 s[62:63], s[60:61]
	s_cbranch_execz .LBB1255_192
.LBB1255_260:                           ;   in Loop: Header=BB1255_101 Depth=2
	ds_read_b64 v[39:40], v106 offset:25600
	v_mov_b32_e32 v45, v3
	v_mov_b32_e32 v46, s79
	s_waitcnt lgkmcnt(0)
	v_cmp_ne_u64_e32 vcc, s[82:83], v[39:40]
	v_ashrrev_i32_e32 v54, 31, v40
	v_cndmask_b32_e32 v62, v135, v40, vcc
	v_cndmask_b32_e32 v61, 0, v39, vcc
	v_lshrrev_b64 v[61:62], s95, v[61:62]
	v_cmp_lt_i64_e32 vcc, -1, v[39:40]
	v_and_b32_e32 v50, s97, v61
	v_lshlrev_b32_e32 v50, 2, v50
	ds_read_b32 v50, v50
	v_cndmask_b32_e64 v44, v135, -1, vcc
	v_xor_b32_e32 v40, v44, v40
	v_not_b32_e32 v54, v54
	v_xor_b32_e32 v39, v54, v39
	s_waitcnt lgkmcnt(0)
	v_add_u32_e32 v44, v50, v89
	v_lshlrev_b64 v[44:45], 3, v[44:45]
	v_add_co_u32_e32 v44, vcc, s78, v44
	v_addc_co_u32_e32 v45, vcc, v46, v45, vcc
	global_store_dwordx2 v[44:45], v[39:40], off
	s_or_b64 exec, exec, s[62:63]
	v_cmp_lt_u32_e64 s[62:63], v90, v175
	s_and_saveexec_b64 s[64:65], s[62:63]
	s_cbranch_execz .LBB1255_193
.LBB1255_261:                           ;   in Loop: Header=BB1255_101 Depth=2
	ds_read_b64 v[39:40], v106 offset:27648
	v_mov_b32_e32 v45, v3
	v_mov_b32_e32 v46, s79
	s_waitcnt lgkmcnt(0)
	v_cmp_ne_u64_e32 vcc, s[82:83], v[39:40]
	v_ashrrev_i32_e32 v54, 31, v40
	v_cndmask_b32_e32 v62, v135, v40, vcc
	v_cndmask_b32_e32 v61, 0, v39, vcc
	v_lshrrev_b64 v[61:62], s95, v[61:62]
	v_cmp_lt_i64_e32 vcc, -1, v[39:40]
	v_and_b32_e32 v50, s97, v61
	v_lshlrev_b32_e32 v50, 2, v50
	ds_read_b32 v50, v50
	v_cndmask_b32_e64 v44, v135, -1, vcc
	v_xor_b32_e32 v40, v44, v40
	v_not_b32_e32 v54, v54
	v_xor_b32_e32 v39, v54, v39
	s_waitcnt lgkmcnt(0)
	v_add_u32_e32 v44, v50, v90
	v_lshlrev_b64 v[44:45], 3, v[44:45]
	v_add_co_u32_e32 v44, vcc, s78, v44
	v_addc_co_u32_e32 v45, vcc, v46, v45, vcc
	global_store_dwordx2 v[44:45], v[39:40], off
	s_or_b64 exec, exec, s[64:65]
	v_cmp_lt_u32_e64 s[64:65], v91, v175
	s_and_saveexec_b64 s[66:67], s[64:65]
	s_cbranch_execz .LBB1255_194
.LBB1255_262:                           ;   in Loop: Header=BB1255_101 Depth=2
	ds_read_b64 v[39:40], v106 offset:29696
	v_mov_b32_e32 v45, v3
	v_mov_b32_e32 v46, s79
	s_waitcnt lgkmcnt(0)
	v_cmp_ne_u64_e32 vcc, s[82:83], v[39:40]
	v_ashrrev_i32_e32 v54, 31, v40
	v_cndmask_b32_e32 v62, v135, v40, vcc
	v_cndmask_b32_e32 v61, 0, v39, vcc
	v_lshrrev_b64 v[61:62], s95, v[61:62]
	v_cmp_lt_i64_e32 vcc, -1, v[39:40]
	v_and_b32_e32 v50, s97, v61
	v_lshlrev_b32_e32 v50, 2, v50
	ds_read_b32 v50, v50
	v_cndmask_b32_e64 v44, v135, -1, vcc
	v_xor_b32_e32 v40, v44, v40
	v_not_b32_e32 v54, v54
	v_xor_b32_e32 v39, v54, v39
	s_waitcnt lgkmcnt(0)
	v_add_u32_e32 v44, v50, v91
	v_lshlrev_b64 v[44:45], 3, v[44:45]
	v_add_co_u32_e32 v44, vcc, s78, v44
	v_addc_co_u32_e32 v45, vcc, v46, v45, vcc
	global_store_dwordx2 v[44:45], v[39:40], off
	s_or_b64 exec, exec, s[66:67]
	v_cmp_lt_u32_e64 s[66:67], v92, v175
	s_and_saveexec_b64 s[92:93], s[66:67]
	s_cbranch_execnz .LBB1255_195
	s_branch .LBB1255_196
.LBB1255_263:                           ;   in Loop: Header=BB1255_101 Depth=2
	global_load_dwordx2 v[37:38], v[39:40], off
	s_or_b64 exec, exec, s[92:93]
	v_cmp_lt_u32_e32 vcc, v151, v175
	s_and_saveexec_b64 s[92:93], vcc
	s_cbranch_execz .LBB1255_198
.LBB1255_264:                           ;   in Loop: Header=BB1255_101 Depth=2
	global_load_dwordx2 v[35:36], v[39:40], off offset:512
	s_or_b64 exec, exec, s[92:93]
	v_cmp_lt_u32_e32 vcc, v153, v175
	s_and_saveexec_b64 s[92:93], vcc
	s_cbranch_execz .LBB1255_199
.LBB1255_265:                           ;   in Loop: Header=BB1255_101 Depth=2
	global_load_dwordx2 v[33:34], v[39:40], off offset:1024
	s_or_b64 exec, exec, s[92:93]
	v_cmp_lt_u32_e32 vcc, v155, v175
	s_and_saveexec_b64 s[92:93], vcc
	s_cbranch_execz .LBB1255_200
.LBB1255_266:                           ;   in Loop: Header=BB1255_101 Depth=2
	global_load_dwordx2 v[29:30], v[39:40], off offset:1536
	s_or_b64 exec, exec, s[92:93]
	v_cmp_lt_u32_e32 vcc, v157, v175
	s_and_saveexec_b64 s[92:93], vcc
	s_cbranch_execz .LBB1255_201
.LBB1255_267:                           ;   in Loop: Header=BB1255_101 Depth=2
	global_load_dwordx2 v[25:26], v[39:40], off offset:2048
	s_or_b64 exec, exec, s[92:93]
	v_cmp_lt_u32_e32 vcc, v159, v175
	s_and_saveexec_b64 s[92:93], vcc
	s_cbranch_execz .LBB1255_202
.LBB1255_268:                           ;   in Loop: Header=BB1255_101 Depth=2
	global_load_dwordx2 v[21:22], v[39:40], off offset:2560
	s_or_b64 exec, exec, s[92:93]
	v_cmp_lt_u32_e32 vcc, v161, v175
	s_and_saveexec_b64 s[92:93], vcc
	s_cbranch_execz .LBB1255_203
.LBB1255_269:                           ;   in Loop: Header=BB1255_101 Depth=2
	global_load_dwordx2 v[17:18], v[39:40], off offset:3072
	s_or_b64 exec, exec, s[92:93]
	v_cmp_lt_u32_e32 vcc, v163, v175
	s_and_saveexec_b64 s[92:93], vcc
	s_cbranch_execz .LBB1255_204
.LBB1255_270:                           ;   in Loop: Header=BB1255_101 Depth=2
	global_load_dwordx2 v[13:14], v[39:40], off offset:3584
	s_or_b64 exec, exec, s[92:93]
	v_cmp_lt_u32_e32 vcc, v164, v175
	s_and_saveexec_b64 s[92:93], vcc
	s_cbranch_execz .LBB1255_205
.LBB1255_271:                           ;   in Loop: Header=BB1255_101 Depth=2
	v_add_co_u32_e32 v31, vcc, 0x1000, v39
	v_addc_co_u32_e32 v32, vcc, 0, v40, vcc
	global_load_dwordx2 v[31:32], v[31:32], off
	s_or_b64 exec, exec, s[92:93]
	v_cmp_lt_u32_e32 vcc, v165, v175
	s_and_saveexec_b64 s[92:93], vcc
	s_cbranch_execz .LBB1255_206
.LBB1255_272:                           ;   in Loop: Header=BB1255_101 Depth=2
	v_add_co_u32_e32 v27, vcc, 0x1000, v39
	v_addc_co_u32_e32 v28, vcc, 0, v40, vcc
	global_load_dwordx2 v[27:28], v[27:28], off offset:512
	s_or_b64 exec, exec, s[92:93]
	v_cmp_lt_u32_e32 vcc, v166, v175
	s_and_saveexec_b64 s[92:93], vcc
	s_cbranch_execz .LBB1255_207
.LBB1255_273:                           ;   in Loop: Header=BB1255_101 Depth=2
	v_add_co_u32_e32 v23, vcc, 0x1000, v39
	v_addc_co_u32_e32 v24, vcc, 0, v40, vcc
	global_load_dwordx2 v[23:24], v[23:24], off offset:1024
	s_or_b64 exec, exec, s[92:93]
	v_cmp_lt_u32_e32 vcc, v167, v175
	s_and_saveexec_b64 s[92:93], vcc
	s_cbranch_execz .LBB1255_208
.LBB1255_274:                           ;   in Loop: Header=BB1255_101 Depth=2
	v_add_co_u32_e32 v19, vcc, 0x1000, v39
	v_addc_co_u32_e32 v20, vcc, 0, v40, vcc
	global_load_dwordx2 v[19:20], v[19:20], off offset:1536
	s_or_b64 exec, exec, s[92:93]
	v_cmp_lt_u32_e32 vcc, v168, v175
	s_and_saveexec_b64 s[92:93], vcc
	s_cbranch_execz .LBB1255_209
.LBB1255_275:                           ;   in Loop: Header=BB1255_101 Depth=2
	v_add_co_u32_e32 v15, vcc, 0x1000, v39
	v_addc_co_u32_e32 v16, vcc, 0, v40, vcc
	global_load_dwordx2 v[15:16], v[15:16], off offset:2048
	s_or_b64 exec, exec, s[92:93]
	v_cmp_lt_u32_e32 vcc, v169, v175
	s_and_saveexec_b64 s[92:93], vcc
	s_cbranch_execz .LBB1255_210
.LBB1255_276:                           ;   in Loop: Header=BB1255_101 Depth=2
	v_add_co_u32_e32 v11, vcc, 0x1000, v39
	v_addc_co_u32_e32 v12, vcc, 0, v40, vcc
	global_load_dwordx2 v[11:12], v[11:12], off offset:2560
	s_or_b64 exec, exec, s[92:93]
	v_cmp_lt_u32_e32 vcc, v170, v175
	s_and_saveexec_b64 s[92:93], vcc
	s_cbranch_execz .LBB1255_211
.LBB1255_277:                           ;   in Loop: Header=BB1255_101 Depth=2
	v_add_co_u32_e32 v9, vcc, 0x1000, v39
	v_addc_co_u32_e32 v10, vcc, 0, v40, vcc
	global_load_dwordx2 v[9:10], v[9:10], off offset:3072
	s_or_b64 exec, exec, s[92:93]
	v_cmp_lt_u32_e32 vcc, v171, v175
	s_and_saveexec_b64 s[92:93], vcc
	s_cbranch_execz .LBB1255_212
.LBB1255_278:                           ;   in Loop: Header=BB1255_101 Depth=2
	v_add_co_u32_e32 v7, vcc, 0x1000, v39
	v_addc_co_u32_e32 v8, vcc, 0, v40, vcc
	global_load_dwordx2 v[7:8], v[7:8], off offset:3584
	s_or_b64 exec, exec, s[92:93]
	s_and_saveexec_b64 s[92:93], s[36:37]
	s_cbranch_execz .LBB1255_213
.LBB1255_279:                           ;   in Loop: Header=BB1255_101 Depth=2
	ds_read_b64 v[39:40], v106 offset:1024
	s_waitcnt lgkmcnt(0)
	v_cmp_ne_u64_e32 vcc, s[82:83], v[39:40]
	v_cndmask_b32_e32 v40, v135, v40, vcc
	v_cndmask_b32_e32 v39, 0, v39, vcc
	v_lshrrev_b64 v[39:40], s95, v[39:40]
	v_and_b32_e32 v162, s97, v39
	s_or_b64 exec, exec, s[92:93]
	s_and_saveexec_b64 s[92:93], s[38:39]
	s_cbranch_execz .LBB1255_214
.LBB1255_280:                           ;   in Loop: Header=BB1255_101 Depth=2
	ds_read_b64 v[39:40], v106 offset:3072
	s_waitcnt lgkmcnt(0)
	v_cmp_ne_u64_e32 vcc, s[82:83], v[39:40]
	v_cndmask_b32_e32 v40, v135, v40, vcc
	v_cndmask_b32_e32 v39, 0, v39, vcc
	v_lshrrev_b64 v[39:40], s95, v[39:40]
	v_and_b32_e32 v160, s97, v39
	s_or_b64 exec, exec, s[92:93]
	s_and_saveexec_b64 s[92:93], s[40:41]
	s_cbranch_execz .LBB1255_215
.LBB1255_281:                           ;   in Loop: Header=BB1255_101 Depth=2
	ds_read_b64 v[39:40], v106 offset:5120
	s_waitcnt lgkmcnt(0)
	v_cmp_ne_u64_e32 vcc, s[82:83], v[39:40]
	v_cndmask_b32_e32 v40, v135, v40, vcc
	v_cndmask_b32_e32 v39, 0, v39, vcc
	v_lshrrev_b64 v[39:40], s95, v[39:40]
	v_and_b32_e32 v158, s97, v39
	s_or_b64 exec, exec, s[92:93]
	s_and_saveexec_b64 s[92:93], s[42:43]
	s_cbranch_execz .LBB1255_216
.LBB1255_282:                           ;   in Loop: Header=BB1255_101 Depth=2
	ds_read_b64 v[39:40], v106 offset:7168
	s_waitcnt lgkmcnt(0)
	v_cmp_ne_u64_e32 vcc, s[82:83], v[39:40]
	v_cndmask_b32_e32 v40, v135, v40, vcc
	v_cndmask_b32_e32 v39, 0, v39, vcc
	v_lshrrev_b64 v[39:40], s95, v[39:40]
	v_and_b32_e32 v156, s97, v39
	s_or_b64 exec, exec, s[92:93]
	s_and_saveexec_b64 s[92:93], s[44:45]
	s_cbranch_execz .LBB1255_217
.LBB1255_283:                           ;   in Loop: Header=BB1255_101 Depth=2
	ds_read_b64 v[39:40], v106 offset:9216
	s_waitcnt lgkmcnt(0)
	v_cmp_ne_u64_e32 vcc, s[82:83], v[39:40]
	v_cndmask_b32_e32 v40, v135, v40, vcc
	v_cndmask_b32_e32 v39, 0, v39, vcc
	v_lshrrev_b64 v[39:40], s95, v[39:40]
	v_and_b32_e32 v154, s97, v39
	s_or_b64 exec, exec, s[92:93]
	s_and_saveexec_b64 s[92:93], s[46:47]
	s_cbranch_execz .LBB1255_218
.LBB1255_284:                           ;   in Loop: Header=BB1255_101 Depth=2
	ds_read_b64 v[39:40], v106 offset:11264
	s_waitcnt lgkmcnt(0)
	v_cmp_ne_u64_e32 vcc, s[82:83], v[39:40]
	v_cndmask_b32_e32 v40, v135, v40, vcc
	v_cndmask_b32_e32 v39, 0, v39, vcc
	v_lshrrev_b64 v[39:40], s95, v[39:40]
	v_and_b32_e32 v152, s97, v39
	s_or_b64 exec, exec, s[92:93]
	s_and_saveexec_b64 s[92:93], s[48:49]
	s_cbranch_execz .LBB1255_219
.LBB1255_285:                           ;   in Loop: Header=BB1255_101 Depth=2
	ds_read_b64 v[39:40], v106 offset:13312
	s_waitcnt lgkmcnt(0)
	v_cmp_ne_u64_e32 vcc, s[82:83], v[39:40]
	v_cndmask_b32_e32 v40, v135, v40, vcc
	v_cndmask_b32_e32 v39, 0, v39, vcc
	v_lshrrev_b64 v[39:40], s95, v[39:40]
	v_and_b32_e32 v150, s97, v39
	s_or_b64 exec, exec, s[92:93]
	s_and_saveexec_b64 s[92:93], s[50:51]
	s_cbranch_execz .LBB1255_220
.LBB1255_286:                           ;   in Loop: Header=BB1255_101 Depth=2
	ds_read_b64 v[39:40], v106 offset:15360
	s_waitcnt lgkmcnt(0)
	v_cmp_ne_u64_e32 vcc, s[82:83], v[39:40]
	v_cndmask_b32_e32 v40, v135, v40, vcc
	v_cndmask_b32_e32 v39, 0, v39, vcc
	v_lshrrev_b64 v[39:40], s95, v[39:40]
	v_and_b32_e32 v148, s97, v39
	s_or_b64 exec, exec, s[92:93]
	s_and_saveexec_b64 s[92:93], s[52:53]
	s_cbranch_execz .LBB1255_221
.LBB1255_287:                           ;   in Loop: Header=BB1255_101 Depth=2
	ds_read_b64 v[39:40], v106 offset:17408
	s_waitcnt lgkmcnt(0)
	v_cmp_ne_u64_e32 vcc, s[82:83], v[39:40]
	v_cndmask_b32_e32 v40, v135, v40, vcc
	v_cndmask_b32_e32 v39, 0, v39, vcc
	v_lshrrev_b64 v[39:40], s95, v[39:40]
	v_and_b32_e32 v146, s97, v39
	s_or_b64 exec, exec, s[92:93]
	s_and_saveexec_b64 s[92:93], s[54:55]
	s_cbranch_execz .LBB1255_222
.LBB1255_288:                           ;   in Loop: Header=BB1255_101 Depth=2
	ds_read_b64 v[39:40], v106 offset:19456
	s_waitcnt lgkmcnt(0)
	v_cmp_ne_u64_e32 vcc, s[82:83], v[39:40]
	v_cndmask_b32_e32 v40, v135, v40, vcc
	v_cndmask_b32_e32 v39, 0, v39, vcc
	v_lshrrev_b64 v[39:40], s95, v[39:40]
	v_and_b32_e32 v144, s97, v39
	s_or_b64 exec, exec, s[92:93]
	s_and_saveexec_b64 s[92:93], s[56:57]
	s_cbranch_execz .LBB1255_223
.LBB1255_289:                           ;   in Loop: Header=BB1255_101 Depth=2
	ds_read_b64 v[39:40], v106 offset:21504
	s_waitcnt lgkmcnt(0)
	v_cmp_ne_u64_e32 vcc, s[82:83], v[39:40]
	v_cndmask_b32_e32 v40, v135, v40, vcc
	v_cndmask_b32_e32 v39, 0, v39, vcc
	v_lshrrev_b64 v[39:40], s95, v[39:40]
	v_and_b32_e32 v143, s97, v39
	s_or_b64 exec, exec, s[92:93]
	s_and_saveexec_b64 s[92:93], s[58:59]
	s_cbranch_execz .LBB1255_224
.LBB1255_290:                           ;   in Loop: Header=BB1255_101 Depth=2
	ds_read_b64 v[39:40], v106 offset:23552
	s_waitcnt lgkmcnt(0)
	v_cmp_ne_u64_e32 vcc, s[82:83], v[39:40]
	v_cndmask_b32_e32 v40, v135, v40, vcc
	v_cndmask_b32_e32 v39, 0, v39, vcc
	v_lshrrev_b64 v[39:40], s95, v[39:40]
	v_and_b32_e32 v142, s97, v39
	s_or_b64 exec, exec, s[92:93]
	s_and_saveexec_b64 s[92:93], s[60:61]
	s_cbranch_execz .LBB1255_225
.LBB1255_291:                           ;   in Loop: Header=BB1255_101 Depth=2
	ds_read_b64 v[39:40], v106 offset:25600
	s_waitcnt lgkmcnt(0)
	v_cmp_ne_u64_e32 vcc, s[82:83], v[39:40]
	v_cndmask_b32_e32 v40, v135, v40, vcc
	v_cndmask_b32_e32 v39, 0, v39, vcc
	v_lshrrev_b64 v[39:40], s95, v[39:40]
	v_and_b32_e32 v141, s97, v39
	s_or_b64 exec, exec, s[92:93]
	s_and_saveexec_b64 s[92:93], s[62:63]
	s_cbranch_execz .LBB1255_226
.LBB1255_292:                           ;   in Loop: Header=BB1255_101 Depth=2
	ds_read_b64 v[39:40], v106 offset:27648
	s_waitcnt lgkmcnt(0)
	v_cmp_ne_u64_e32 vcc, s[82:83], v[39:40]
	v_cndmask_b32_e32 v40, v135, v40, vcc
	v_cndmask_b32_e32 v39, 0, v39, vcc
	v_lshrrev_b64 v[39:40], s95, v[39:40]
	v_and_b32_e32 v140, s97, v39
	s_or_b64 exec, exec, s[92:93]
	s_and_saveexec_b64 s[92:93], s[64:65]
	s_cbranch_execz .LBB1255_227
.LBB1255_293:                           ;   in Loop: Header=BB1255_101 Depth=2
	ds_read_b64 v[39:40], v106 offset:29696
	s_waitcnt lgkmcnt(0)
	v_cmp_ne_u64_e32 vcc, s[82:83], v[39:40]
	v_cndmask_b32_e32 v40, v135, v40, vcc
	v_cndmask_b32_e32 v39, 0, v39, vcc
	v_lshrrev_b64 v[39:40], s95, v[39:40]
	v_and_b32_e32 v139, s97, v39
	s_or_b64 exec, exec, s[92:93]
	s_and_saveexec_b64 s[92:93], s[66:67]
	s_cbranch_execnz .LBB1255_228
	s_branch .LBB1255_229
.LBB1255_294:                           ;   in Loop: Header=BB1255_101 Depth=2
	v_lshlrev_b32_e32 v39, 2, v162
	ds_read_b32 v41, v39
	ds_read_b64 v[39:40], v106 offset:1024
	v_mov_b32_e32 v42, v3
	v_mov_b32_e32 v43, s85
	s_waitcnt lgkmcnt(1)
	v_add_u32_e32 v41, v41, v0
	v_lshlrev_b64 v[41:42], 3, v[41:42]
	v_add_co_u32_e32 v41, vcc, s84, v41
	v_addc_co_u32_e32 v42, vcc, v43, v42, vcc
	s_waitcnt lgkmcnt(0)
	global_store_dwordx2 v[41:42], v[39:40], off
	s_or_b64 exec, exec, s[92:93]
	s_and_saveexec_b64 s[36:37], s[38:39]
	s_cbranch_execz .LBB1255_231
.LBB1255_295:                           ;   in Loop: Header=BB1255_101 Depth=2
	v_lshlrev_b32_e32 v39, 2, v160
	ds_read_b32 v41, v39
	ds_read_b64 v[39:40], v106 offset:3072
	v_mov_b32_e32 v42, v3
	v_mov_b32_e32 v43, s85
	s_waitcnt lgkmcnt(1)
	v_add_u32_e32 v41, v41, v76
	v_lshlrev_b64 v[41:42], 3, v[41:42]
	v_add_co_u32_e32 v41, vcc, s84, v41
	v_addc_co_u32_e32 v42, vcc, v43, v42, vcc
	s_waitcnt lgkmcnt(0)
	global_store_dwordx2 v[41:42], v[39:40], off
	s_or_b64 exec, exec, s[36:37]
	s_and_saveexec_b64 s[36:37], s[40:41]
	s_cbranch_execz .LBB1255_232
.LBB1255_296:                           ;   in Loop: Header=BB1255_101 Depth=2
	v_lshlrev_b32_e32 v39, 2, v158
	ds_read_b32 v41, v39
	ds_read_b64 v[39:40], v106 offset:5120
	v_mov_b32_e32 v42, v3
	v_mov_b32_e32 v43, s85
	s_waitcnt lgkmcnt(1)
	v_add_u32_e32 v41, v41, v77
	v_lshlrev_b64 v[41:42], 3, v[41:42]
	v_add_co_u32_e32 v41, vcc, s84, v41
	v_addc_co_u32_e32 v42, vcc, v43, v42, vcc
	s_waitcnt lgkmcnt(0)
	global_store_dwordx2 v[41:42], v[39:40], off
	s_or_b64 exec, exec, s[36:37]
	s_and_saveexec_b64 s[36:37], s[42:43]
	s_cbranch_execz .LBB1255_233
.LBB1255_297:                           ;   in Loop: Header=BB1255_101 Depth=2
	v_lshlrev_b32_e32 v39, 2, v156
	ds_read_b32 v41, v39
	ds_read_b64 v[39:40], v106 offset:7168
	v_mov_b32_e32 v42, v3
	v_mov_b32_e32 v43, s85
	s_waitcnt lgkmcnt(1)
	v_add_u32_e32 v41, v41, v78
	v_lshlrev_b64 v[41:42], 3, v[41:42]
	v_add_co_u32_e32 v41, vcc, s84, v41
	v_addc_co_u32_e32 v42, vcc, v43, v42, vcc
	s_waitcnt lgkmcnt(0)
	global_store_dwordx2 v[41:42], v[39:40], off
	s_or_b64 exec, exec, s[36:37]
	s_and_saveexec_b64 s[36:37], s[44:45]
	s_cbranch_execz .LBB1255_234
.LBB1255_298:                           ;   in Loop: Header=BB1255_101 Depth=2
	v_lshlrev_b32_e32 v39, 2, v154
	ds_read_b32 v41, v39
	ds_read_b64 v[39:40], v106 offset:9216
	v_mov_b32_e32 v42, v3
	v_mov_b32_e32 v43, s85
	s_waitcnt lgkmcnt(1)
	v_add_u32_e32 v41, v41, v81
	v_lshlrev_b64 v[41:42], 3, v[41:42]
	v_add_co_u32_e32 v41, vcc, s84, v41
	v_addc_co_u32_e32 v42, vcc, v43, v42, vcc
	s_waitcnt lgkmcnt(0)
	global_store_dwordx2 v[41:42], v[39:40], off
	s_or_b64 exec, exec, s[36:37]
	s_and_saveexec_b64 s[36:37], s[46:47]
	s_cbranch_execz .LBB1255_235
.LBB1255_299:                           ;   in Loop: Header=BB1255_101 Depth=2
	v_lshlrev_b32_e32 v39, 2, v152
	ds_read_b32 v41, v39
	ds_read_b64 v[39:40], v106 offset:11264
	v_mov_b32_e32 v42, v3
	v_mov_b32_e32 v43, s85
	s_waitcnt lgkmcnt(1)
	v_add_u32_e32 v41, v41, v82
	v_lshlrev_b64 v[41:42], 3, v[41:42]
	v_add_co_u32_e32 v41, vcc, s84, v41
	v_addc_co_u32_e32 v42, vcc, v43, v42, vcc
	s_waitcnt lgkmcnt(0)
	global_store_dwordx2 v[41:42], v[39:40], off
	s_or_b64 exec, exec, s[36:37]
	s_and_saveexec_b64 s[36:37], s[48:49]
	s_cbranch_execz .LBB1255_236
.LBB1255_300:                           ;   in Loop: Header=BB1255_101 Depth=2
	v_lshlrev_b32_e32 v39, 2, v150
	ds_read_b32 v41, v39
	ds_read_b64 v[39:40], v106 offset:13312
	v_mov_b32_e32 v42, v3
	v_mov_b32_e32 v43, s85
	s_waitcnt lgkmcnt(1)
	v_add_u32_e32 v41, v41, v83
	v_lshlrev_b64 v[41:42], 3, v[41:42]
	v_add_co_u32_e32 v41, vcc, s84, v41
	v_addc_co_u32_e32 v42, vcc, v43, v42, vcc
	s_waitcnt lgkmcnt(0)
	global_store_dwordx2 v[41:42], v[39:40], off
	s_or_b64 exec, exec, s[36:37]
	s_and_saveexec_b64 s[36:37], s[50:51]
	s_cbranch_execz .LBB1255_237
.LBB1255_301:                           ;   in Loop: Header=BB1255_101 Depth=2
	v_lshlrev_b32_e32 v39, 2, v148
	ds_read_b32 v41, v39
	ds_read_b64 v[39:40], v106 offset:15360
	v_mov_b32_e32 v42, v3
	v_mov_b32_e32 v43, s85
	s_waitcnt lgkmcnt(1)
	v_add_u32_e32 v41, v41, v84
	v_lshlrev_b64 v[41:42], 3, v[41:42]
	v_add_co_u32_e32 v41, vcc, s84, v41
	v_addc_co_u32_e32 v42, vcc, v43, v42, vcc
	s_waitcnt lgkmcnt(0)
	global_store_dwordx2 v[41:42], v[39:40], off
	s_or_b64 exec, exec, s[36:37]
	s_and_saveexec_b64 s[36:37], s[52:53]
	s_cbranch_execz .LBB1255_238
.LBB1255_302:                           ;   in Loop: Header=BB1255_101 Depth=2
	v_lshlrev_b32_e32 v39, 2, v146
	ds_read_b32 v41, v39
	ds_read_b64 v[39:40], v106 offset:17408
	v_mov_b32_e32 v42, v3
	v_mov_b32_e32 v43, s85
	s_waitcnt lgkmcnt(1)
	v_add_u32_e32 v41, v41, v85
	v_lshlrev_b64 v[41:42], 3, v[41:42]
	v_add_co_u32_e32 v41, vcc, s84, v41
	v_addc_co_u32_e32 v42, vcc, v43, v42, vcc
	s_waitcnt lgkmcnt(0)
	global_store_dwordx2 v[41:42], v[39:40], off
	s_or_b64 exec, exec, s[36:37]
	s_and_saveexec_b64 s[36:37], s[54:55]
	s_cbranch_execz .LBB1255_239
.LBB1255_303:                           ;   in Loop: Header=BB1255_101 Depth=2
	v_lshlrev_b32_e32 v39, 2, v144
	ds_read_b32 v41, v39
	ds_read_b64 v[39:40], v106 offset:19456
	v_mov_b32_e32 v42, v3
	v_mov_b32_e32 v43, s85
	s_waitcnt lgkmcnt(1)
	v_add_u32_e32 v41, v41, v86
	v_lshlrev_b64 v[41:42], 3, v[41:42]
	v_add_co_u32_e32 v41, vcc, s84, v41
	v_addc_co_u32_e32 v42, vcc, v43, v42, vcc
	s_waitcnt lgkmcnt(0)
	global_store_dwordx2 v[41:42], v[39:40], off
	s_or_b64 exec, exec, s[36:37]
	s_and_saveexec_b64 s[36:37], s[56:57]
	s_cbranch_execz .LBB1255_240
.LBB1255_304:                           ;   in Loop: Header=BB1255_101 Depth=2
	v_lshlrev_b32_e32 v39, 2, v143
	ds_read_b32 v41, v39
	ds_read_b64 v[39:40], v106 offset:21504
	v_mov_b32_e32 v42, v3
	v_mov_b32_e32 v43, s85
	s_waitcnt lgkmcnt(1)
	v_add_u32_e32 v41, v41, v87
	v_lshlrev_b64 v[41:42], 3, v[41:42]
	v_add_co_u32_e32 v41, vcc, s84, v41
	v_addc_co_u32_e32 v42, vcc, v43, v42, vcc
	s_waitcnt lgkmcnt(0)
	global_store_dwordx2 v[41:42], v[39:40], off
	s_or_b64 exec, exec, s[36:37]
	s_and_saveexec_b64 s[36:37], s[58:59]
	s_cbranch_execz .LBB1255_241
.LBB1255_305:                           ;   in Loop: Header=BB1255_101 Depth=2
	v_lshlrev_b32_e32 v39, 2, v142
	ds_read_b32 v41, v39
	ds_read_b64 v[39:40], v106 offset:23552
	v_mov_b32_e32 v42, v3
	v_mov_b32_e32 v43, s85
	s_waitcnt lgkmcnt(1)
	v_add_u32_e32 v41, v41, v88
	v_lshlrev_b64 v[41:42], 3, v[41:42]
	v_add_co_u32_e32 v41, vcc, s84, v41
	v_addc_co_u32_e32 v42, vcc, v43, v42, vcc
	s_waitcnt lgkmcnt(0)
	global_store_dwordx2 v[41:42], v[39:40], off
	s_or_b64 exec, exec, s[36:37]
	s_and_saveexec_b64 s[36:37], s[60:61]
	s_cbranch_execz .LBB1255_242
.LBB1255_306:                           ;   in Loop: Header=BB1255_101 Depth=2
	v_lshlrev_b32_e32 v39, 2, v141
	ds_read_b32 v41, v39
	ds_read_b64 v[39:40], v106 offset:25600
	v_mov_b32_e32 v42, v3
	v_mov_b32_e32 v43, s85
	s_waitcnt lgkmcnt(1)
	v_add_u32_e32 v41, v41, v89
	v_lshlrev_b64 v[41:42], 3, v[41:42]
	v_add_co_u32_e32 v41, vcc, s84, v41
	v_addc_co_u32_e32 v42, vcc, v43, v42, vcc
	s_waitcnt lgkmcnt(0)
	global_store_dwordx2 v[41:42], v[39:40], off
	s_or_b64 exec, exec, s[36:37]
	s_and_saveexec_b64 s[36:37], s[62:63]
	s_cbranch_execz .LBB1255_243
.LBB1255_307:                           ;   in Loop: Header=BB1255_101 Depth=2
	v_lshlrev_b32_e32 v39, 2, v140
	ds_read_b32 v41, v39
	ds_read_b64 v[39:40], v106 offset:27648
	v_mov_b32_e32 v42, v3
	v_mov_b32_e32 v43, s85
	s_waitcnt lgkmcnt(1)
	v_add_u32_e32 v41, v41, v90
	v_lshlrev_b64 v[41:42], 3, v[41:42]
	v_add_co_u32_e32 v41, vcc, s84, v41
	v_addc_co_u32_e32 v42, vcc, v43, v42, vcc
	s_waitcnt lgkmcnt(0)
	global_store_dwordx2 v[41:42], v[39:40], off
	s_or_b64 exec, exec, s[36:37]
	s_and_saveexec_b64 s[36:37], s[64:65]
	s_cbranch_execz .LBB1255_244
.LBB1255_308:                           ;   in Loop: Header=BB1255_101 Depth=2
	v_lshlrev_b32_e32 v39, 2, v139
	ds_read_b32 v41, v39
	ds_read_b64 v[39:40], v106 offset:29696
	v_mov_b32_e32 v42, v3
	v_mov_b32_e32 v43, s85
	s_waitcnt lgkmcnt(1)
	v_add_u32_e32 v41, v41, v91
	v_lshlrev_b64 v[41:42], 3, v[41:42]
	v_add_co_u32_e32 v41, vcc, s84, v41
	v_addc_co_u32_e32 v42, vcc, v43, v42, vcc
	s_waitcnt lgkmcnt(0)
	global_store_dwordx2 v[41:42], v[39:40], off
	s_or_b64 exec, exec, s[36:37]
	s_and_saveexec_b64 s[36:37], s[66:67]
	s_cbranch_execnz .LBB1255_245
	s_branch .LBB1255_246
.LBB1255_309:                           ;   in Loop: Header=BB1255_17 Depth=1
	s_waitcnt lgkmcnt(0)
	s_barrier
	s_mov_b64 s[16:17], 0
.LBB1255_310:                           ;   in Loop: Header=BB1255_17 Depth=1
	s_and_b64 vcc, exec, s[16:17]
	s_cbranch_vccz .LBB1255_602
; %bb.311:                              ;   in Loop: Header=BB1255_17 Depth=1
	s_mov_b32 s20, s91
	s_mov_b32 s72, s69
	s_barrier
                                        ; implicit-def: $vgpr7_vgpr8
                                        ; implicit-def: $vgpr9_vgpr10
                                        ; implicit-def: $vgpr11_vgpr12
                                        ; implicit-def: $vgpr13_vgpr14
                                        ; implicit-def: $vgpr15_vgpr16
                                        ; implicit-def: $vgpr17_vgpr18
                                        ; implicit-def: $vgpr19_vgpr20
                                        ; implicit-def: $vgpr21_vgpr22
                                        ; implicit-def: $vgpr23_vgpr24
                                        ; implicit-def: $vgpr25_vgpr26
                                        ; implicit-def: $vgpr27_vgpr28
                                        ; implicit-def: $vgpr29_vgpr30
                                        ; implicit-def: $vgpr31_vgpr32
                                        ; implicit-def: $vgpr33_vgpr34
                                        ; implicit-def: $vgpr35_vgpr36
                                        ; implicit-def: $vgpr37_vgpr38
	s_branch .LBB1255_313
.LBB1255_312:                           ;   in Loop: Header=BB1255_313 Depth=2
	s_or_b64 exec, exec, s[16:17]
	s_addk_i32 s20, 0xf000
	s_cmp_ge_u32 s21, s94
	s_mov_b32 s72, s21
	s_cbranch_scc1 .LBB1255_381
.LBB1255_313:                           ;   Parent Loop BB1255_17 Depth=1
                                        ; =>  This Inner Loop Header: Depth=2
	s_add_i32 s21, s72, 0x1000
	s_cmp_gt_u32 s21, s94
	s_mov_b64 s[16:17], -1
                                        ; implicit-def: $vgpr39_vgpr40
                                        ; implicit-def: $vgpr41_vgpr42
                                        ; implicit-def: $vgpr43_vgpr44
                                        ; implicit-def: $vgpr45_vgpr46
                                        ; implicit-def: $vgpr47_vgpr48
                                        ; implicit-def: $vgpr49_vgpr50
                                        ; implicit-def: $vgpr51_vgpr52
                                        ; implicit-def: $vgpr53_vgpr54
                                        ; implicit-def: $vgpr55_vgpr56
                                        ; implicit-def: $vgpr57_vgpr58
                                        ; implicit-def: $vgpr59_vgpr60
                                        ; implicit-def: $vgpr61_vgpr62
                                        ; implicit-def: $vgpr63_vgpr64
                                        ; implicit-def: $vgpr65_vgpr66
                                        ; implicit-def: $vgpr67_vgpr68
                                        ; implicit-def: $vgpr69_vgpr70
	s_cbranch_scc1 .LBB1255_315
; %bb.314:                              ;   in Loop: Header=BB1255_313 Depth=2
	s_lshl_b64 s[16:17], s[72:73], 3
	v_mov_b32_e32 v4, s17
	v_add_co_u32_e32 v63, vcc, s16, v107
	v_addc_co_u32_e32 v64, vcc, v108, v4, vcc
	v_add_co_u32_e32 v47, vcc, 0x1000, v63
	v_addc_co_u32_e32 v48, vcc, 0, v64, vcc
	v_add_co_u32_e32 v55, vcc, 0x2000, v63
	v_addc_co_u32_e32 v56, vcc, 0, v64, vcc
	v_add_co_u32_e32 v57, vcc, 0x3000, v63
	v_addc_co_u32_e32 v58, vcc, 0, v64, vcc
	v_add_co_u32_e32 v61, vcc, 0x4000, v63
	v_addc_co_u32_e32 v62, vcc, 0, v64, vcc
	v_add_co_u32_e32 v65, vcc, 0x5000, v63
	v_addc_co_u32_e32 v66, vcc, 0, v64, vcc
	global_load_dwordx2 v[39:40], v[63:64], off
	global_load_dwordx2 v[41:42], v[63:64], off offset:2048
	global_load_dwordx2 v[43:44], v[47:48], off
	global_load_dwordx2 v[45:46], v[47:48], off offset:2048
	s_nop 0
	global_load_dwordx2 v[47:48], v[55:56], off
	global_load_dwordx2 v[49:50], v[55:56], off offset:2048
	global_load_dwordx2 v[51:52], v[57:58], off
	global_load_dwordx2 v[53:54], v[57:58], off offset:2048
	s_nop 0
	global_load_dwordx2 v[55:56], v[61:62], off
	global_load_dwordx2 v[57:58], v[61:62], off offset:2048
	global_load_dwordx2 v[59:60], v[65:66], off
                                        ; kill: killed $vgpr61 killed $vgpr62
	s_nop 0
	global_load_dwordx2 v[61:62], v[65:66], off offset:2048
	v_add_co_u32_e32 v65, vcc, 0x6000, v63
	v_addc_co_u32_e32 v66, vcc, 0, v64, vcc
	v_add_co_u32_e32 v69, vcc, 0x7000, v63
	v_addc_co_u32_e32 v70, vcc, 0, v64, vcc
	global_load_dwordx2 v[63:64], v[65:66], off
	s_nop 0
	global_load_dwordx2 v[65:66], v[65:66], off offset:2048
	s_nop 0
	global_load_dwordx2 v[67:68], v[69:70], off
	s_nop 0
	global_load_dwordx2 v[69:70], v[69:70], off offset:2048
	s_mov_b64 s[16:17], 0
.LBB1255_315:                           ;   in Loop: Header=BB1255_313 Depth=2
	s_andn2_b64 vcc, exec, s[16:17]
	s_movk_i32 s18, 0x1000
	s_cbranch_vccnz .LBB1255_334
; %bb.316:                              ;   in Loop: Header=BB1255_313 Depth=2
	s_lshl_b64 s[16:17], s[72:73], 3
	s_add_u32 s16, s78, s16
	s_addc_u32 s17, s79, s17
	v_cmp_gt_u32_e32 vcc, s20, v0
	s_and_saveexec_b64 s[18:19], vcc
	s_cbranch_execnz .LBB1255_366
; %bb.317:                              ;   in Loop: Header=BB1255_313 Depth=2
	s_or_b64 exec, exec, s[18:19]
	v_cmp_gt_u32_e32 vcc, s20, v76
	s_and_saveexec_b64 s[18:19], vcc
	s_cbranch_execnz .LBB1255_367
.LBB1255_318:                           ;   in Loop: Header=BB1255_313 Depth=2
	s_or_b64 exec, exec, s[18:19]
	v_cmp_gt_u32_e32 vcc, s20, v77
	s_and_saveexec_b64 s[18:19], vcc
	s_cbranch_execnz .LBB1255_368
.LBB1255_319:                           ;   in Loop: Header=BB1255_313 Depth=2
	s_or_b64 exec, exec, s[18:19]
	v_cmp_gt_u32_e32 vcc, s20, v78
	s_and_saveexec_b64 s[18:19], vcc
	s_cbranch_execnz .LBB1255_369
.LBB1255_320:                           ;   in Loop: Header=BB1255_313 Depth=2
	s_or_b64 exec, exec, s[18:19]
	v_cmp_gt_u32_e32 vcc, s20, v81
	s_and_saveexec_b64 s[18:19], vcc
	s_cbranch_execnz .LBB1255_370
.LBB1255_321:                           ;   in Loop: Header=BB1255_313 Depth=2
	s_or_b64 exec, exec, s[18:19]
	v_cmp_gt_u32_e32 vcc, s20, v82
	s_and_saveexec_b64 s[18:19], vcc
	s_cbranch_execnz .LBB1255_371
.LBB1255_322:                           ;   in Loop: Header=BB1255_313 Depth=2
	s_or_b64 exec, exec, s[18:19]
	v_cmp_gt_u32_e32 vcc, s20, v83
	s_and_saveexec_b64 s[18:19], vcc
	s_cbranch_execnz .LBB1255_372
.LBB1255_323:                           ;   in Loop: Header=BB1255_313 Depth=2
	s_or_b64 exec, exec, s[18:19]
	v_cmp_gt_u32_e32 vcc, s20, v84
	s_and_saveexec_b64 s[18:19], vcc
	s_cbranch_execnz .LBB1255_373
.LBB1255_324:                           ;   in Loop: Header=BB1255_313 Depth=2
	s_or_b64 exec, exec, s[18:19]
	v_cmp_gt_u32_e32 vcc, s20, v85
	s_and_saveexec_b64 s[18:19], vcc
	s_cbranch_execnz .LBB1255_374
.LBB1255_325:                           ;   in Loop: Header=BB1255_313 Depth=2
	s_or_b64 exec, exec, s[18:19]
	v_cmp_gt_u32_e32 vcc, s20, v86
	s_and_saveexec_b64 s[18:19], vcc
	s_cbranch_execnz .LBB1255_375
.LBB1255_326:                           ;   in Loop: Header=BB1255_313 Depth=2
	s_or_b64 exec, exec, s[18:19]
	v_cmp_gt_u32_e32 vcc, s20, v87
	s_and_saveexec_b64 s[18:19], vcc
	s_cbranch_execnz .LBB1255_376
.LBB1255_327:                           ;   in Loop: Header=BB1255_313 Depth=2
	s_or_b64 exec, exec, s[18:19]
	v_cmp_gt_u32_e32 vcc, s20, v88
	s_and_saveexec_b64 s[18:19], vcc
	s_cbranch_execnz .LBB1255_377
.LBB1255_328:                           ;   in Loop: Header=BB1255_313 Depth=2
	s_or_b64 exec, exec, s[18:19]
	v_cmp_gt_u32_e32 vcc, s20, v89
	s_and_saveexec_b64 s[18:19], vcc
	s_cbranch_execnz .LBB1255_378
.LBB1255_329:                           ;   in Loop: Header=BB1255_313 Depth=2
	s_or_b64 exec, exec, s[18:19]
	v_cmp_gt_u32_e32 vcc, s20, v90
	s_and_saveexec_b64 s[18:19], vcc
	s_cbranch_execnz .LBB1255_379
.LBB1255_330:                           ;   in Loop: Header=BB1255_313 Depth=2
	s_or_b64 exec, exec, s[18:19]
	v_cmp_gt_u32_e32 vcc, s20, v91
	s_and_saveexec_b64 s[18:19], vcc
	s_cbranch_execnz .LBB1255_380
.LBB1255_331:                           ;   in Loop: Header=BB1255_313 Depth=2
	s_or_b64 exec, exec, s[18:19]
	v_cmp_gt_u32_e32 vcc, s20, v92
	s_and_saveexec_b64 s[18:19], vcc
	s_cbranch_execz .LBB1255_333
.LBB1255_332:                           ;   in Loop: Header=BB1255_313 Depth=2
	global_load_dwordx2 v[7:8], v134, s[16:17]
.LBB1255_333:                           ;   in Loop: Header=BB1255_313 Depth=2
	s_or_b64 exec, exec, s[18:19]
	s_waitcnt vmcnt(0)
	v_mov_b32_e32 v40, v38
	v_mov_b32_e32 v42, v36
	;; [unrolled: 1-line block ×16, first 2 shown]
	s_mov_b32 s18, s20
	v_mov_b32_e32 v39, v37
	v_mov_b32_e32 v41, v35
	;; [unrolled: 1-line block ×16, first 2 shown]
.LBB1255_334:                           ;   in Loop: Header=BB1255_313 Depth=2
	s_waitcnt vmcnt(0)
	v_mov_b32_e32 v7, v69
	v_mov_b32_e32 v9, v67
	;; [unrolled: 1-line block ×32, first 2 shown]
	v_cmp_gt_u32_e32 vcc, s18, v0
	s_and_saveexec_b64 s[16:17], vcc
	s_cbranch_execnz .LBB1255_350
; %bb.335:                              ;   in Loop: Header=BB1255_313 Depth=2
	s_or_b64 exec, exec, s[16:17]
	v_cmp_gt_u32_e32 vcc, s18, v76
	s_and_saveexec_b64 s[16:17], vcc
	s_cbranch_execnz .LBB1255_351
.LBB1255_336:                           ;   in Loop: Header=BB1255_313 Depth=2
	s_or_b64 exec, exec, s[16:17]
	v_cmp_gt_u32_e32 vcc, s18, v77
	s_and_saveexec_b64 s[16:17], vcc
	s_cbranch_execnz .LBB1255_352
.LBB1255_337:                           ;   in Loop: Header=BB1255_313 Depth=2
	s_or_b64 exec, exec, s[16:17]
	v_cmp_gt_u32_e32 vcc, s18, v78
	s_and_saveexec_b64 s[16:17], vcc
	s_cbranch_execnz .LBB1255_353
.LBB1255_338:                           ;   in Loop: Header=BB1255_313 Depth=2
	s_or_b64 exec, exec, s[16:17]
	v_cmp_gt_u32_e32 vcc, s18, v81
	s_and_saveexec_b64 s[16:17], vcc
	s_cbranch_execnz .LBB1255_354
.LBB1255_339:                           ;   in Loop: Header=BB1255_313 Depth=2
	s_or_b64 exec, exec, s[16:17]
	v_cmp_gt_u32_e32 vcc, s18, v82
	s_and_saveexec_b64 s[16:17], vcc
	s_cbranch_execnz .LBB1255_355
.LBB1255_340:                           ;   in Loop: Header=BB1255_313 Depth=2
	s_or_b64 exec, exec, s[16:17]
	v_cmp_gt_u32_e32 vcc, s18, v83
	s_and_saveexec_b64 s[16:17], vcc
	s_cbranch_execnz .LBB1255_356
.LBB1255_341:                           ;   in Loop: Header=BB1255_313 Depth=2
	s_or_b64 exec, exec, s[16:17]
	v_cmp_gt_u32_e32 vcc, s18, v84
	s_and_saveexec_b64 s[16:17], vcc
	s_cbranch_execnz .LBB1255_357
.LBB1255_342:                           ;   in Loop: Header=BB1255_313 Depth=2
	s_or_b64 exec, exec, s[16:17]
	v_cmp_gt_u32_e32 vcc, s18, v85
	s_and_saveexec_b64 s[16:17], vcc
	s_cbranch_execnz .LBB1255_358
.LBB1255_343:                           ;   in Loop: Header=BB1255_313 Depth=2
	s_or_b64 exec, exec, s[16:17]
	v_cmp_gt_u32_e32 vcc, s18, v86
	s_and_saveexec_b64 s[16:17], vcc
	s_cbranch_execnz .LBB1255_359
.LBB1255_344:                           ;   in Loop: Header=BB1255_313 Depth=2
	s_or_b64 exec, exec, s[16:17]
	v_cmp_gt_u32_e32 vcc, s18, v87
	s_and_saveexec_b64 s[16:17], vcc
	s_cbranch_execnz .LBB1255_360
.LBB1255_345:                           ;   in Loop: Header=BB1255_313 Depth=2
	s_or_b64 exec, exec, s[16:17]
	v_cmp_gt_u32_e32 vcc, s18, v88
	s_and_saveexec_b64 s[16:17], vcc
	s_cbranch_execnz .LBB1255_361
.LBB1255_346:                           ;   in Loop: Header=BB1255_313 Depth=2
	s_or_b64 exec, exec, s[16:17]
	v_cmp_gt_u32_e32 vcc, s18, v89
	s_and_saveexec_b64 s[16:17], vcc
	s_cbranch_execnz .LBB1255_362
.LBB1255_347:                           ;   in Loop: Header=BB1255_313 Depth=2
	s_or_b64 exec, exec, s[16:17]
	v_cmp_gt_u32_e32 vcc, s18, v90
	s_and_saveexec_b64 s[16:17], vcc
	s_cbranch_execnz .LBB1255_363
.LBB1255_348:                           ;   in Loop: Header=BB1255_313 Depth=2
	s_or_b64 exec, exec, s[16:17]
	v_cmp_gt_u32_e32 vcc, s18, v91
	s_and_saveexec_b64 s[16:17], vcc
	s_cbranch_execnz .LBB1255_364
.LBB1255_349:                           ;   in Loop: Header=BB1255_313 Depth=2
	s_or_b64 exec, exec, s[16:17]
	v_cmp_gt_u32_e32 vcc, s18, v92
	s_and_saveexec_b64 s[16:17], vcc
	s_cbranch_execz .LBB1255_312
	s_branch .LBB1255_365
.LBB1255_350:                           ;   in Loop: Header=BB1255_313 Depth=2
	v_cmp_lt_i64_e32 vcc, -1, v[37:38]
	v_ashrrev_i32_e32 v39, 31, v38
	v_cndmask_b32_e32 v4, -1, v135, vcc
	v_xor_b32_e32 v40, v4, v38
	v_xor_b32_e32 v39, v39, v37
	v_cmp_ne_u64_e32 vcc, s[82:83], v[39:40]
	v_cndmask_b32_e32 v40, v135, v40, vcc
	v_cndmask_b32_e32 v39, 0, v39, vcc
	v_lshrrev_b64 v[39:40], s95, v[39:40]
	v_and_b32_e32 v4, s97, v39
	v_lshl_or_b32 v4, v4, 4, v93
	ds_add_u32 v4, v119
	s_or_b64 exec, exec, s[16:17]
	v_cmp_gt_u32_e32 vcc, s18, v76
	s_and_saveexec_b64 s[16:17], vcc
	s_cbranch_execz .LBB1255_336
.LBB1255_351:                           ;   in Loop: Header=BB1255_313 Depth=2
	v_cmp_lt_i64_e32 vcc, -1, v[35:36]
	v_ashrrev_i32_e32 v39, 31, v36
	v_cndmask_b32_e32 v4, -1, v135, vcc
	v_xor_b32_e32 v40, v4, v36
	v_xor_b32_e32 v39, v39, v35
	v_cmp_ne_u64_e32 vcc, s[82:83], v[39:40]
	v_cndmask_b32_e32 v40, v135, v40, vcc
	v_cndmask_b32_e32 v39, 0, v39, vcc
	v_lshrrev_b64 v[39:40], s95, v[39:40]
	v_and_b32_e32 v4, s97, v39
	v_lshl_or_b32 v4, v4, 4, v93
	ds_add_u32 v4, v119
	s_or_b64 exec, exec, s[16:17]
	v_cmp_gt_u32_e32 vcc, s18, v77
	s_and_saveexec_b64 s[16:17], vcc
	s_cbranch_execz .LBB1255_337
.LBB1255_352:                           ;   in Loop: Header=BB1255_313 Depth=2
	v_cmp_lt_i64_e32 vcc, -1, v[33:34]
	v_ashrrev_i32_e32 v39, 31, v34
	v_cndmask_b32_e32 v4, -1, v135, vcc
	v_xor_b32_e32 v40, v4, v34
	v_xor_b32_e32 v39, v39, v33
	v_cmp_ne_u64_e32 vcc, s[82:83], v[39:40]
	v_cndmask_b32_e32 v40, v135, v40, vcc
	v_cndmask_b32_e32 v39, 0, v39, vcc
	v_lshrrev_b64 v[39:40], s95, v[39:40]
	v_and_b32_e32 v4, s97, v39
	v_lshl_or_b32 v4, v4, 4, v93
	ds_add_u32 v4, v119
	s_or_b64 exec, exec, s[16:17]
	v_cmp_gt_u32_e32 vcc, s18, v78
	s_and_saveexec_b64 s[16:17], vcc
	s_cbranch_execz .LBB1255_338
.LBB1255_353:                           ;   in Loop: Header=BB1255_313 Depth=2
	v_cmp_lt_i64_e32 vcc, -1, v[31:32]
	v_ashrrev_i32_e32 v39, 31, v32
	v_cndmask_b32_e32 v4, -1, v135, vcc
	v_xor_b32_e32 v40, v4, v32
	v_xor_b32_e32 v39, v39, v31
	v_cmp_ne_u64_e32 vcc, s[82:83], v[39:40]
	v_cndmask_b32_e32 v40, v135, v40, vcc
	v_cndmask_b32_e32 v39, 0, v39, vcc
	v_lshrrev_b64 v[39:40], s95, v[39:40]
	v_and_b32_e32 v4, s97, v39
	v_lshl_or_b32 v4, v4, 4, v93
	ds_add_u32 v4, v119
	s_or_b64 exec, exec, s[16:17]
	v_cmp_gt_u32_e32 vcc, s18, v81
	s_and_saveexec_b64 s[16:17], vcc
	s_cbranch_execz .LBB1255_339
.LBB1255_354:                           ;   in Loop: Header=BB1255_313 Depth=2
	v_cmp_lt_i64_e32 vcc, -1, v[29:30]
	v_ashrrev_i32_e32 v39, 31, v30
	v_cndmask_b32_e32 v4, -1, v135, vcc
	v_xor_b32_e32 v40, v4, v30
	v_xor_b32_e32 v39, v39, v29
	v_cmp_ne_u64_e32 vcc, s[82:83], v[39:40]
	v_cndmask_b32_e32 v40, v135, v40, vcc
	v_cndmask_b32_e32 v39, 0, v39, vcc
	v_lshrrev_b64 v[39:40], s95, v[39:40]
	v_and_b32_e32 v4, s97, v39
	v_lshl_or_b32 v4, v4, 4, v93
	ds_add_u32 v4, v119
	s_or_b64 exec, exec, s[16:17]
	v_cmp_gt_u32_e32 vcc, s18, v82
	s_and_saveexec_b64 s[16:17], vcc
	s_cbranch_execz .LBB1255_340
.LBB1255_355:                           ;   in Loop: Header=BB1255_313 Depth=2
	v_cmp_lt_i64_e32 vcc, -1, v[27:28]
	v_ashrrev_i32_e32 v39, 31, v28
	v_cndmask_b32_e32 v4, -1, v135, vcc
	v_xor_b32_e32 v40, v4, v28
	v_xor_b32_e32 v39, v39, v27
	v_cmp_ne_u64_e32 vcc, s[82:83], v[39:40]
	v_cndmask_b32_e32 v40, v135, v40, vcc
	v_cndmask_b32_e32 v39, 0, v39, vcc
	v_lshrrev_b64 v[39:40], s95, v[39:40]
	v_and_b32_e32 v4, s97, v39
	v_lshl_or_b32 v4, v4, 4, v93
	ds_add_u32 v4, v119
	s_or_b64 exec, exec, s[16:17]
	v_cmp_gt_u32_e32 vcc, s18, v83
	s_and_saveexec_b64 s[16:17], vcc
	s_cbranch_execz .LBB1255_341
.LBB1255_356:                           ;   in Loop: Header=BB1255_313 Depth=2
	v_cmp_lt_i64_e32 vcc, -1, v[25:26]
	v_ashrrev_i32_e32 v39, 31, v26
	v_cndmask_b32_e32 v4, -1, v135, vcc
	v_xor_b32_e32 v40, v4, v26
	v_xor_b32_e32 v39, v39, v25
	v_cmp_ne_u64_e32 vcc, s[82:83], v[39:40]
	v_cndmask_b32_e32 v40, v135, v40, vcc
	v_cndmask_b32_e32 v39, 0, v39, vcc
	v_lshrrev_b64 v[39:40], s95, v[39:40]
	v_and_b32_e32 v4, s97, v39
	v_lshl_or_b32 v4, v4, 4, v93
	ds_add_u32 v4, v119
	s_or_b64 exec, exec, s[16:17]
	v_cmp_gt_u32_e32 vcc, s18, v84
	s_and_saveexec_b64 s[16:17], vcc
	s_cbranch_execz .LBB1255_342
.LBB1255_357:                           ;   in Loop: Header=BB1255_313 Depth=2
	v_cmp_lt_i64_e32 vcc, -1, v[23:24]
	v_ashrrev_i32_e32 v39, 31, v24
	v_cndmask_b32_e32 v4, -1, v135, vcc
	v_xor_b32_e32 v40, v4, v24
	v_xor_b32_e32 v39, v39, v23
	v_cmp_ne_u64_e32 vcc, s[82:83], v[39:40]
	v_cndmask_b32_e32 v40, v135, v40, vcc
	v_cndmask_b32_e32 v39, 0, v39, vcc
	v_lshrrev_b64 v[39:40], s95, v[39:40]
	v_and_b32_e32 v4, s97, v39
	v_lshl_or_b32 v4, v4, 4, v93
	ds_add_u32 v4, v119
	s_or_b64 exec, exec, s[16:17]
	v_cmp_gt_u32_e32 vcc, s18, v85
	s_and_saveexec_b64 s[16:17], vcc
	s_cbranch_execz .LBB1255_343
.LBB1255_358:                           ;   in Loop: Header=BB1255_313 Depth=2
	v_cmp_lt_i64_e32 vcc, -1, v[21:22]
	v_ashrrev_i32_e32 v39, 31, v22
	v_cndmask_b32_e32 v4, -1, v135, vcc
	v_xor_b32_e32 v40, v4, v22
	v_xor_b32_e32 v39, v39, v21
	v_cmp_ne_u64_e32 vcc, s[82:83], v[39:40]
	v_cndmask_b32_e32 v40, v135, v40, vcc
	v_cndmask_b32_e32 v39, 0, v39, vcc
	v_lshrrev_b64 v[39:40], s95, v[39:40]
	v_and_b32_e32 v4, s97, v39
	v_lshl_or_b32 v4, v4, 4, v93
	ds_add_u32 v4, v119
	s_or_b64 exec, exec, s[16:17]
	v_cmp_gt_u32_e32 vcc, s18, v86
	s_and_saveexec_b64 s[16:17], vcc
	s_cbranch_execz .LBB1255_344
.LBB1255_359:                           ;   in Loop: Header=BB1255_313 Depth=2
	v_cmp_lt_i64_e32 vcc, -1, v[19:20]
	v_ashrrev_i32_e32 v39, 31, v20
	v_cndmask_b32_e32 v4, -1, v135, vcc
	v_xor_b32_e32 v40, v4, v20
	v_xor_b32_e32 v39, v39, v19
	v_cmp_ne_u64_e32 vcc, s[82:83], v[39:40]
	v_cndmask_b32_e32 v40, v135, v40, vcc
	v_cndmask_b32_e32 v39, 0, v39, vcc
	v_lshrrev_b64 v[39:40], s95, v[39:40]
	v_and_b32_e32 v4, s97, v39
	v_lshl_or_b32 v4, v4, 4, v93
	ds_add_u32 v4, v119
	s_or_b64 exec, exec, s[16:17]
	v_cmp_gt_u32_e32 vcc, s18, v87
	s_and_saveexec_b64 s[16:17], vcc
	s_cbranch_execz .LBB1255_345
.LBB1255_360:                           ;   in Loop: Header=BB1255_313 Depth=2
	v_cmp_lt_i64_e32 vcc, -1, v[17:18]
	v_ashrrev_i32_e32 v39, 31, v18
	v_cndmask_b32_e32 v4, -1, v135, vcc
	v_xor_b32_e32 v40, v4, v18
	v_xor_b32_e32 v39, v39, v17
	v_cmp_ne_u64_e32 vcc, s[82:83], v[39:40]
	v_cndmask_b32_e32 v40, v135, v40, vcc
	v_cndmask_b32_e32 v39, 0, v39, vcc
	v_lshrrev_b64 v[39:40], s95, v[39:40]
	v_and_b32_e32 v4, s97, v39
	v_lshl_or_b32 v4, v4, 4, v93
	ds_add_u32 v4, v119
	s_or_b64 exec, exec, s[16:17]
	v_cmp_gt_u32_e32 vcc, s18, v88
	s_and_saveexec_b64 s[16:17], vcc
	s_cbranch_execz .LBB1255_346
.LBB1255_361:                           ;   in Loop: Header=BB1255_313 Depth=2
	v_cmp_lt_i64_e32 vcc, -1, v[15:16]
	v_ashrrev_i32_e32 v39, 31, v16
	v_cndmask_b32_e32 v4, -1, v135, vcc
	v_xor_b32_e32 v40, v4, v16
	v_xor_b32_e32 v39, v39, v15
	v_cmp_ne_u64_e32 vcc, s[82:83], v[39:40]
	v_cndmask_b32_e32 v40, v135, v40, vcc
	v_cndmask_b32_e32 v39, 0, v39, vcc
	v_lshrrev_b64 v[39:40], s95, v[39:40]
	v_and_b32_e32 v4, s97, v39
	v_lshl_or_b32 v4, v4, 4, v93
	ds_add_u32 v4, v119
	s_or_b64 exec, exec, s[16:17]
	v_cmp_gt_u32_e32 vcc, s18, v89
	s_and_saveexec_b64 s[16:17], vcc
	s_cbranch_execz .LBB1255_347
.LBB1255_362:                           ;   in Loop: Header=BB1255_313 Depth=2
	v_cmp_lt_i64_e32 vcc, -1, v[13:14]
	v_ashrrev_i32_e32 v39, 31, v14
	v_cndmask_b32_e32 v4, -1, v135, vcc
	v_xor_b32_e32 v40, v4, v14
	v_xor_b32_e32 v39, v39, v13
	v_cmp_ne_u64_e32 vcc, s[82:83], v[39:40]
	v_cndmask_b32_e32 v40, v135, v40, vcc
	v_cndmask_b32_e32 v39, 0, v39, vcc
	v_lshrrev_b64 v[39:40], s95, v[39:40]
	v_and_b32_e32 v4, s97, v39
	v_lshl_or_b32 v4, v4, 4, v93
	ds_add_u32 v4, v119
	s_or_b64 exec, exec, s[16:17]
	v_cmp_gt_u32_e32 vcc, s18, v90
	s_and_saveexec_b64 s[16:17], vcc
	s_cbranch_execz .LBB1255_348
.LBB1255_363:                           ;   in Loop: Header=BB1255_313 Depth=2
	v_cmp_lt_i64_e32 vcc, -1, v[11:12]
	v_ashrrev_i32_e32 v39, 31, v12
	v_cndmask_b32_e32 v4, -1, v135, vcc
	v_xor_b32_e32 v40, v4, v12
	v_xor_b32_e32 v39, v39, v11
	v_cmp_ne_u64_e32 vcc, s[82:83], v[39:40]
	v_cndmask_b32_e32 v40, v135, v40, vcc
	v_cndmask_b32_e32 v39, 0, v39, vcc
	v_lshrrev_b64 v[39:40], s95, v[39:40]
	v_and_b32_e32 v4, s97, v39
	v_lshl_or_b32 v4, v4, 4, v93
	ds_add_u32 v4, v119
	s_or_b64 exec, exec, s[16:17]
	v_cmp_gt_u32_e32 vcc, s18, v91
	s_and_saveexec_b64 s[16:17], vcc
	s_cbranch_execz .LBB1255_349
.LBB1255_364:                           ;   in Loop: Header=BB1255_313 Depth=2
	v_cmp_lt_i64_e32 vcc, -1, v[9:10]
	v_ashrrev_i32_e32 v39, 31, v10
	v_cndmask_b32_e32 v4, -1, v135, vcc
	v_xor_b32_e32 v40, v4, v10
	v_xor_b32_e32 v39, v39, v9
	v_cmp_ne_u64_e32 vcc, s[82:83], v[39:40]
	v_cndmask_b32_e32 v40, v135, v40, vcc
	v_cndmask_b32_e32 v39, 0, v39, vcc
	v_lshrrev_b64 v[39:40], s95, v[39:40]
	v_and_b32_e32 v4, s97, v39
	v_lshl_or_b32 v4, v4, 4, v93
	ds_add_u32 v4, v119
	s_or_b64 exec, exec, s[16:17]
	v_cmp_gt_u32_e32 vcc, s18, v92
	s_and_saveexec_b64 s[16:17], vcc
	s_cbranch_execz .LBB1255_312
.LBB1255_365:                           ;   in Loop: Header=BB1255_313 Depth=2
	v_cmp_lt_i64_e32 vcc, -1, v[7:8]
	v_ashrrev_i32_e32 v39, 31, v8
	v_cndmask_b32_e32 v4, -1, v135, vcc
	v_xor_b32_e32 v40, v4, v8
	v_xor_b32_e32 v39, v39, v7
	v_cmp_ne_u64_e32 vcc, s[82:83], v[39:40]
	v_cndmask_b32_e32 v40, v135, v40, vcc
	v_cndmask_b32_e32 v39, 0, v39, vcc
	v_lshrrev_b64 v[39:40], s95, v[39:40]
	v_and_b32_e32 v4, s97, v39
	v_lshl_or_b32 v4, v4, 4, v93
	ds_add_u32 v4, v119
	s_branch .LBB1255_312
.LBB1255_366:                           ;   in Loop: Header=BB1255_313 Depth=2
	global_load_dwordx2 v[37:38], v120, s[16:17]
	s_or_b64 exec, exec, s[18:19]
	v_cmp_gt_u32_e32 vcc, s20, v76
	s_and_saveexec_b64 s[18:19], vcc
	s_cbranch_execz .LBB1255_318
.LBB1255_367:                           ;   in Loop: Header=BB1255_313 Depth=2
	global_load_dwordx2 v[35:36], v120, s[16:17] offset:2048
	s_or_b64 exec, exec, s[18:19]
	v_cmp_gt_u32_e32 vcc, s20, v77
	s_and_saveexec_b64 s[18:19], vcc
	s_cbranch_execz .LBB1255_319
.LBB1255_368:                           ;   in Loop: Header=BB1255_313 Depth=2
	global_load_dwordx2 v[33:34], v121, s[16:17]
	s_or_b64 exec, exec, s[18:19]
	v_cmp_gt_u32_e32 vcc, s20, v78
	s_and_saveexec_b64 s[18:19], vcc
	s_cbranch_execz .LBB1255_320
.LBB1255_369:                           ;   in Loop: Header=BB1255_313 Depth=2
	global_load_dwordx2 v[31:32], v122, s[16:17]
	s_or_b64 exec, exec, s[18:19]
	v_cmp_gt_u32_e32 vcc, s20, v81
	s_and_saveexec_b64 s[18:19], vcc
	s_cbranch_execz .LBB1255_321
.LBB1255_370:                           ;   in Loop: Header=BB1255_313 Depth=2
	global_load_dwordx2 v[29:30], v123, s[16:17]
	s_or_b64 exec, exec, s[18:19]
	v_cmp_gt_u32_e32 vcc, s20, v82
	s_and_saveexec_b64 s[18:19], vcc
	s_cbranch_execz .LBB1255_322
.LBB1255_371:                           ;   in Loop: Header=BB1255_313 Depth=2
	global_load_dwordx2 v[27:28], v124, s[16:17]
	s_or_b64 exec, exec, s[18:19]
	v_cmp_gt_u32_e32 vcc, s20, v83
	s_and_saveexec_b64 s[18:19], vcc
	s_cbranch_execz .LBB1255_323
.LBB1255_372:                           ;   in Loop: Header=BB1255_313 Depth=2
	global_load_dwordx2 v[25:26], v125, s[16:17]
	s_or_b64 exec, exec, s[18:19]
	v_cmp_gt_u32_e32 vcc, s20, v84
	s_and_saveexec_b64 s[18:19], vcc
	s_cbranch_execz .LBB1255_324
.LBB1255_373:                           ;   in Loop: Header=BB1255_313 Depth=2
	global_load_dwordx2 v[23:24], v126, s[16:17]
	s_or_b64 exec, exec, s[18:19]
	v_cmp_gt_u32_e32 vcc, s20, v85
	s_and_saveexec_b64 s[18:19], vcc
	s_cbranch_execz .LBB1255_325
.LBB1255_374:                           ;   in Loop: Header=BB1255_313 Depth=2
	global_load_dwordx2 v[21:22], v127, s[16:17]
	s_or_b64 exec, exec, s[18:19]
	v_cmp_gt_u32_e32 vcc, s20, v86
	s_and_saveexec_b64 s[18:19], vcc
	s_cbranch_execz .LBB1255_326
.LBB1255_375:                           ;   in Loop: Header=BB1255_313 Depth=2
	global_load_dwordx2 v[19:20], v128, s[16:17]
	s_or_b64 exec, exec, s[18:19]
	v_cmp_gt_u32_e32 vcc, s20, v87
	s_and_saveexec_b64 s[18:19], vcc
	s_cbranch_execz .LBB1255_327
.LBB1255_376:                           ;   in Loop: Header=BB1255_313 Depth=2
	global_load_dwordx2 v[17:18], v129, s[16:17]
	s_or_b64 exec, exec, s[18:19]
	v_cmp_gt_u32_e32 vcc, s20, v88
	s_and_saveexec_b64 s[18:19], vcc
	s_cbranch_execz .LBB1255_328
.LBB1255_377:                           ;   in Loop: Header=BB1255_313 Depth=2
	global_load_dwordx2 v[15:16], v130, s[16:17]
	s_or_b64 exec, exec, s[18:19]
	v_cmp_gt_u32_e32 vcc, s20, v89
	s_and_saveexec_b64 s[18:19], vcc
	s_cbranch_execz .LBB1255_329
.LBB1255_378:                           ;   in Loop: Header=BB1255_313 Depth=2
	global_load_dwordx2 v[13:14], v131, s[16:17]
	s_or_b64 exec, exec, s[18:19]
	v_cmp_gt_u32_e32 vcc, s20, v90
	s_and_saveexec_b64 s[18:19], vcc
	s_cbranch_execz .LBB1255_330
.LBB1255_379:                           ;   in Loop: Header=BB1255_313 Depth=2
	global_load_dwordx2 v[11:12], v132, s[16:17]
	s_or_b64 exec, exec, s[18:19]
	v_cmp_gt_u32_e32 vcc, s20, v91
	s_and_saveexec_b64 s[18:19], vcc
	s_cbranch_execz .LBB1255_331
.LBB1255_380:                           ;   in Loop: Header=BB1255_313 Depth=2
	global_load_dwordx2 v[9:10], v133, s[16:17]
	s_or_b64 exec, exec, s[18:19]
	v_cmp_gt_u32_e32 vcc, s20, v92
	s_and_saveexec_b64 s[18:19], vcc
	s_cbranch_execnz .LBB1255_332
	s_branch .LBB1255_333
.LBB1255_381:                           ;   in Loop: Header=BB1255_17 Depth=1
	v_mov_b32_e32 v4, 0
	s_waitcnt lgkmcnt(0)
	s_barrier
	s_and_saveexec_b64 s[16:17], s[4:5]
	s_cbranch_execz .LBB1255_383
; %bb.382:                              ;   in Loop: Header=BB1255_17 Depth=1
	ds_read2_b64 v[7:10], v94 offset1:1
	s_waitcnt lgkmcnt(0)
	v_add_u32_e32 v4, v8, v7
	v_add3_u32 v4, v4, v9, v10
.LBB1255_383:                           ;   in Loop: Header=BB1255_17 Depth=1
	s_or_b64 exec, exec, s[16:17]
	v_and_b32_e32 v7, 15, v136
	v_mov_b32_dpp v8, v4 row_shr:1 row_mask:0xf bank_mask:0xf
	v_cmp_eq_u32_e64 s[16:17], 0, v7
	v_cndmask_b32_e64 v8, v8, 0, s[16:17]
	v_add_u32_e32 v4, v8, v4
	v_cmp_lt_u32_e64 s[18:19], 1, v7
	v_cmp_lt_u32_e64 s[20:21], 3, v7
	v_mov_b32_dpp v8, v4 row_shr:2 row_mask:0xf bank_mask:0xf
	v_cndmask_b32_e64 v8, 0, v8, s[18:19]
	v_add_u32_e32 v4, v4, v8
	v_cmp_lt_u32_e64 s[22:23], 7, v7
	v_cmp_lt_u32_e64 s[26:27], 31, v136
	v_mov_b32_dpp v8, v4 row_shr:4 row_mask:0xf bank_mask:0xf
	v_cndmask_b32_e64 v8, 0, v8, s[20:21]
	v_add_u32_e32 v4, v4, v8
	v_and_b32_e32 v9, 16, v136
	v_cmp_eq_u32_e64 s[24:25], 0, v9
	v_mov_b32_dpp v8, v4 row_shr:8 row_mask:0xf bank_mask:0xf
	v_cndmask_b32_e64 v7, 0, v8, s[22:23]
	v_add_u32_e32 v4, v4, v7
	v_bfe_i32 v8, v136, 4, 1
	s_nop 0
	v_mov_b32_dpp v7, v4 row_bcast:15 row_mask:0xf bank_mask:0xf
	v_and_b32_e32 v7, v8, v7
	v_add_u32_e32 v4, v4, v7
	s_nop 1
	v_mov_b32_dpp v7, v4 row_bcast:31 row_mask:0xf bank_mask:0xf
	v_cndmask_b32_e64 v7, 0, v7, s[26:27]
	v_add_u32_e32 v7, v4, v7
	s_and_saveexec_b64 s[28:29], s[6:7]
; %bb.384:                              ;   in Loop: Header=BB1255_17 Depth=1
	ds_write_b32 v96, v7
; %bb.385:                              ;   in Loop: Header=BB1255_17 Depth=1
	s_or_b64 exec, exec, s[28:29]
	v_and_b32_e32 v4, 3, v136
	s_waitcnt lgkmcnt(0)
	s_barrier
	s_and_saveexec_b64 s[28:29], s[8:9]
	s_cbranch_execz .LBB1255_387
; %bb.386:                              ;   in Loop: Header=BB1255_17 Depth=1
	ds_read_b32 v8, v97
	v_cmp_ne_u32_e32 vcc, 0, v4
	s_waitcnt lgkmcnt(0)
	v_mov_b32_dpp v9, v8 row_shr:1 row_mask:0xf bank_mask:0xf
	v_cndmask_b32_e32 v9, 0, v9, vcc
	v_add_u32_e32 v8, v9, v8
	v_cmp_lt_u32_e32 vcc, 1, v4
	s_nop 0
	v_mov_b32_dpp v9, v8 row_shr:2 row_mask:0xf bank_mask:0xf
	v_cndmask_b32_e32 v9, 0, v9, vcc
	v_add_u32_e32 v8, v8, v9
	ds_write_b32 v97, v8
.LBB1255_387:                           ;   in Loop: Header=BB1255_17 Depth=1
	s_or_b64 exec, exec, s[28:29]
	v_mov_b32_e32 v8, 0
	s_waitcnt lgkmcnt(0)
	s_barrier
	s_and_saveexec_b64 s[28:29], s[10:11]
; %bb.388:                              ;   in Loop: Header=BB1255_17 Depth=1
	ds_read_b32 v8, v98
; %bb.389:                              ;   in Loop: Header=BB1255_17 Depth=1
	s_or_b64 exec, exec, s[28:29]
	v_subrev_co_u32_e64 v9, s[28:29], 1, v136
	v_and_b32_e32 v10, 64, v136
	v_cmp_lt_i32_e32 vcc, v9, v10
	v_cndmask_b32_e32 v9, v9, v136, vcc
	s_waitcnt lgkmcnt(0)
	v_add_u32_e32 v7, v8, v7
	v_lshlrev_b32_e32 v137, 2, v9
	ds_bpermute_b32 v7, v137, v7
	s_waitcnt lgkmcnt(0)
	s_barrier
	s_and_saveexec_b64 s[30:31], s[4:5]
; %bb.390:                              ;   in Loop: Header=BB1255_17 Depth=1
	v_cndmask_b32_e64 v7, v7, v8, s[28:29]
	v_add_u32_e32 v7, s69, v7
	ds_write_b32 v75, v7
; %bb.391:                              ;   in Loop: Header=BB1255_17 Depth=1
	s_or_b64 exec, exec, s[30:31]
	s_load_dwordx2 s[30:31], s[74:75], 0x0
	s_mov_b32 s98, s91
	s_mov_b32 s72, s69
                                        ; implicit-def: $vgpr7_vgpr8
                                        ; implicit-def: $vgpr9_vgpr10
                                        ; implicit-def: $vgpr11_vgpr12
                                        ; implicit-def: $vgpr15_vgpr16
                                        ; implicit-def: $vgpr19_vgpr20
                                        ; implicit-def: $vgpr23_vgpr24
                                        ; implicit-def: $vgpr27_vgpr28
                                        ; implicit-def: $vgpr31_vgpr32
                                        ; implicit-def: $vgpr13_vgpr14
                                        ; implicit-def: $vgpr17_vgpr18
                                        ; implicit-def: $vgpr21_vgpr22
                                        ; implicit-def: $vgpr25_vgpr26
                                        ; implicit-def: $vgpr29_vgpr30
                                        ; implicit-def: $vgpr33_vgpr34
                                        ; implicit-def: $vgpr35_vgpr36
                                        ; implicit-def: $vgpr37_vgpr38
                                        ; implicit-def: $vgpr138
                                        ; implicit-def: $vgpr139
                                        ; implicit-def: $vgpr140
                                        ; implicit-def: $vgpr141
                                        ; implicit-def: $vgpr142
                                        ; implicit-def: $vgpr143
                                        ; implicit-def: $vgpr144
                                        ; implicit-def: $vgpr146
                                        ; implicit-def: $vgpr148
                                        ; implicit-def: $vgpr150
                                        ; implicit-def: $vgpr152
                                        ; implicit-def: $vgpr154
                                        ; implicit-def: $vgpr156
                                        ; implicit-def: $vgpr158
                                        ; implicit-def: $vgpr160
                                        ; implicit-def: $vgpr162
	s_waitcnt lgkmcnt(0)
	s_cmp_lt_u32 s33, s31
	s_cselect_b32 s31, 14, 20
	s_add_u32 s34, s74, s31
	s_addc_u32 s35, s75, 0
	s_cmp_lt_u32 s68, s30
	s_cselect_b32 s30, 12, 18
	s_add_u32 s30, s74, s30
	global_load_ushort v39, v3, s[34:35]
	s_addc_u32 s31, s75, 0
	global_load_ushort v40, v3, s[30:31]
	v_cmp_eq_u32_e64 s[30:31], 0, v4
	v_cmp_lt_u32_e64 s[34:35], 1, v4
	v_and_b32_e32 v4, 63, v136
	v_lshlrev_b32_e32 v41, 3, v4
	v_or_b32_e32 v145, v4, v99
	v_add_co_u32_e32 v147, vcc, v109, v41
	v_addc_co_u32_e32 v149, vcc, 0, v110, vcc
	v_add_co_u32_e32 v172, vcc, v111, v41
	v_or_b32_e32 v151, 64, v145
	v_or_b32_e32 v153, 0x80, v145
	;; [unrolled: 1-line block ×15, first 2 shown]
	v_addc_co_u32_e32 v173, vcc, 0, v112, vcc
	s_waitcnt vmcnt(1)
	v_mad_u32_u24 v4, v2, v39, v1
	s_waitcnt vmcnt(0)
	v_mad_u64_u32 v[39:40], s[36:37], v4, v40, v[0:1]
	v_lshrrev_b32_e32 v4, 4, v39
	v_and_b32_e32 v174, 0xffffffc, v4
	s_branch .LBB1255_393
.LBB1255_392:                           ;   in Loop: Header=BB1255_393 Depth=2
	s_or_b64 exec, exec, s[36:37]
	s_addk_i32 s98, 0xf000
	s_cmp_lt_u32 s99, s94
	s_mov_b32 s72, s99
	s_cbranch_scc0 .LBB1255_601
.LBB1255_393:                           ;   Parent Loop BB1255_17 Depth=1
                                        ; =>  This Inner Loop Header: Depth=2
	s_add_i32 s99, s72, 0x1000
	s_cmp_gt_u32 s99, s94
	s_cbranch_scc1 .LBB1255_395
; %bb.394:                              ;   in Loop: Header=BB1255_393 Depth=2
	s_lshl_b64 s[36:37], s[72:73], 3
	v_mov_b32_e32 v4, s37
	v_add_co_u32_e32 v43, vcc, s36, v172
	v_addc_co_u32_e32 v44, vcc, v173, v4, vcc
	global_load_dwordx2 v[39:40], v[43:44], off
	global_load_dwordx2 v[41:42], v[43:44], off offset:512
	global_load_dwordx2 v[47:48], v[43:44], off offset:1024
	;; [unrolled: 1-line block ×7, first 2 shown]
	v_add_co_u32_e32 v43, vcc, 0x1000, v43
	v_addc_co_u32_e32 v44, vcc, 0, v44, vcc
	global_load_dwordx2 v[69:70], v[43:44], off
	global_load_dwordx2 v[65:66], v[43:44], off offset:512
	global_load_dwordx2 v[61:62], v[43:44], off offset:1024
	;; [unrolled: 1-line block ×5, first 2 shown]
	s_nop 0
	global_load_dwordx2 v[43:44], v[43:44], off offset:3072
	s_mov_b64 s[36:37], -1
	s_movk_i32 s40, 0x1000
	s_cbranch_execz .LBB1255_396
	s_branch .LBB1255_427
.LBB1255_395:                           ;   in Loop: Header=BB1255_393 Depth=2
	s_mov_b64 s[36:37], 0
                                        ; implicit-def: $vgpr39_vgpr40
                                        ; implicit-def: $vgpr41_vgpr42
                                        ; implicit-def: $vgpr47_vgpr48
                                        ; implicit-def: $vgpr51_vgpr52
                                        ; implicit-def: $vgpr55_vgpr56
                                        ; implicit-def: $vgpr59_vgpr60
                                        ; implicit-def: $vgpr63_vgpr64
                                        ; implicit-def: $vgpr67_vgpr68
                                        ; implicit-def: $vgpr69_vgpr70
                                        ; implicit-def: $vgpr65_vgpr66
                                        ; implicit-def: $vgpr61_vgpr62
                                        ; implicit-def: $vgpr57_vgpr58
                                        ; implicit-def: $vgpr53_vgpr54
                                        ; implicit-def: $vgpr49_vgpr50
                                        ; implicit-def: $vgpr43_vgpr44
	s_movk_i32 s40, 0x1000
.LBB1255_396:                           ;   in Loop: Header=BB1255_393 Depth=2
	s_lshl_b64 s[36:37], s[72:73], 3
	v_mov_b32_e32 v4, s37
	v_add_co_u32_e32 v45, vcc, s36, v172
	s_waitcnt vmcnt(13)
	v_mov_b32_e32 v41, v5
	v_addc_co_u32_e32 v46, vcc, v173, v4, vcc
	v_mov_b32_e32 v42, v6
	v_mov_b32_e32 v39, v41
	v_cmp_gt_u32_e32 vcc, s98, v145
	v_mov_b32_e32 v40, v42
	s_and_saveexec_b64 s[36:37], vcc
	s_cbranch_execz .LBB1255_398
; %bb.397:                              ;   in Loop: Header=BB1255_393 Depth=2
	global_load_dwordx2 v[39:40], v[45:46], off
.LBB1255_398:                           ;   in Loop: Header=BB1255_393 Depth=2
	s_or_b64 exec, exec, s[36:37]
	v_cmp_gt_u32_e32 vcc, s98, v151
	s_and_saveexec_b64 s[36:37], vcc
	s_cbranch_execz .LBB1255_400
; %bb.399:                              ;   in Loop: Header=BB1255_393 Depth=2
	global_load_dwordx2 v[41:42], v[45:46], off offset:512
.LBB1255_400:                           ;   in Loop: Header=BB1255_393 Depth=2
	s_or_b64 exec, exec, s[36:37]
	s_waitcnt vmcnt(12)
	v_mov_b32_e32 v48, v6
	v_cmp_gt_u32_e32 vcc, s98, v153
	v_mov_b32_e32 v47, v5
	s_and_saveexec_b64 s[36:37], vcc
	s_cbranch_execz .LBB1255_402
; %bb.401:                              ;   in Loop: Header=BB1255_393 Depth=2
	global_load_dwordx2 v[47:48], v[45:46], off offset:1024
.LBB1255_402:                           ;   in Loop: Header=BB1255_393 Depth=2
	s_or_b64 exec, exec, s[36:37]
	s_waitcnt vmcnt(11)
	v_mov_b32_e32 v52, v6
	v_cmp_gt_u32_e32 vcc, s98, v155
	v_mov_b32_e32 v51, v5
	;; [unrolled: 10-line block ×7, first 2 shown]
	s_and_saveexec_b64 s[36:37], vcc
	s_cbranch_execz .LBB1255_414
; %bb.413:                              ;   in Loop: Header=BB1255_393 Depth=2
	s_waitcnt vmcnt(0)
	v_add_co_u32_e32 v43, vcc, 0x1000, v45
	v_addc_co_u32_e32 v44, vcc, 0, v46, vcc
	global_load_dwordx2 v[69:70], v[43:44], off
.LBB1255_414:                           ;   in Loop: Header=BB1255_393 Depth=2
	s_or_b64 exec, exec, s[36:37]
	s_waitcnt vmcnt(5)
	v_mov_b32_e32 v66, v6
	v_cmp_gt_u32_e32 vcc, s98, v165
	v_mov_b32_e32 v65, v5
	s_and_saveexec_b64 s[36:37], vcc
	s_cbranch_execz .LBB1255_416
; %bb.415:                              ;   in Loop: Header=BB1255_393 Depth=2
	s_waitcnt vmcnt(0)
	v_add_co_u32_e32 v43, vcc, 0x1000, v45
	v_addc_co_u32_e32 v44, vcc, 0, v46, vcc
	global_load_dwordx2 v[65:66], v[43:44], off offset:512
.LBB1255_416:                           ;   in Loop: Header=BB1255_393 Depth=2
	s_or_b64 exec, exec, s[36:37]
	s_waitcnt vmcnt(4)
	v_mov_b32_e32 v62, v6
	v_cmp_gt_u32_e32 vcc, s98, v166
	v_mov_b32_e32 v61, v5
	s_and_saveexec_b64 s[36:37], vcc
	s_cbranch_execz .LBB1255_418
; %bb.417:                              ;   in Loop: Header=BB1255_393 Depth=2
	s_waitcnt vmcnt(0)
	v_add_co_u32_e32 v43, vcc, 0x1000, v45
	v_addc_co_u32_e32 v44, vcc, 0, v46, vcc
	global_load_dwordx2 v[61:62], v[43:44], off offset:1024
.LBB1255_418:                           ;   in Loop: Header=BB1255_393 Depth=2
	s_or_b64 exec, exec, s[36:37]
	s_waitcnt vmcnt(3)
	v_mov_b32_e32 v58, v6
	v_cmp_gt_u32_e32 vcc, s98, v167
	v_mov_b32_e32 v57, v5
	s_and_saveexec_b64 s[36:37], vcc
	s_cbranch_execz .LBB1255_420
; %bb.419:                              ;   in Loop: Header=BB1255_393 Depth=2
	s_waitcnt vmcnt(0)
	v_add_co_u32_e32 v43, vcc, 0x1000, v45
	v_addc_co_u32_e32 v44, vcc, 0, v46, vcc
	global_load_dwordx2 v[57:58], v[43:44], off offset:1536
.LBB1255_420:                           ;   in Loop: Header=BB1255_393 Depth=2
	s_or_b64 exec, exec, s[36:37]
	s_waitcnt vmcnt(2)
	v_mov_b32_e32 v54, v6
	v_cmp_gt_u32_e32 vcc, s98, v168
	v_mov_b32_e32 v53, v5
	s_and_saveexec_b64 s[36:37], vcc
	s_cbranch_execz .LBB1255_422
; %bb.421:                              ;   in Loop: Header=BB1255_393 Depth=2
	s_waitcnt vmcnt(0)
	v_add_co_u32_e32 v43, vcc, 0x1000, v45
	v_addc_co_u32_e32 v44, vcc, 0, v46, vcc
	global_load_dwordx2 v[53:54], v[43:44], off offset:2048
.LBB1255_422:                           ;   in Loop: Header=BB1255_393 Depth=2
	s_or_b64 exec, exec, s[36:37]
	s_waitcnt vmcnt(1)
	v_mov_b32_e32 v50, v6
	v_cmp_gt_u32_e32 vcc, s98, v169
	v_mov_b32_e32 v49, v5
	s_and_saveexec_b64 s[36:37], vcc
	s_cbranch_execz .LBB1255_424
; %bb.423:                              ;   in Loop: Header=BB1255_393 Depth=2
	s_waitcnt vmcnt(0)
	v_add_co_u32_e32 v43, vcc, 0x1000, v45
	v_addc_co_u32_e32 v44, vcc, 0, v46, vcc
	global_load_dwordx2 v[49:50], v[43:44], off offset:2560
.LBB1255_424:                           ;   in Loop: Header=BB1255_393 Depth=2
	s_or_b64 exec, exec, s[36:37]
	s_waitcnt vmcnt(0)
	v_mov_b32_e32 v44, v6
	v_cmp_gt_u32_e32 vcc, s98, v170
	v_mov_b32_e32 v43, v5
	s_and_saveexec_b64 s[36:37], vcc
	s_cbranch_execz .LBB1255_426
; %bb.425:                              ;   in Loop: Header=BB1255_393 Depth=2
	v_add_co_u32_e32 v43, vcc, 0x1000, v45
	v_addc_co_u32_e32 v44, vcc, 0, v46, vcc
	global_load_dwordx2 v[43:44], v[43:44], off offset:3072
.LBB1255_426:                           ;   in Loop: Header=BB1255_393 Depth=2
	s_or_b64 exec, exec, s[36:37]
	s_sub_i32 s40, s94, s72
	v_cmp_gt_u32_e64 s[36:37], s98, v171
.LBB1255_427:                           ;   in Loop: Header=BB1255_393 Depth=2
	v_mov_b32_e32 v46, v6
	v_mov_b32_e32 v175, s98
	;; [unrolled: 1-line block ×3, first 2 shown]
	s_and_saveexec_b64 s[38:39], s[36:37]
	s_cbranch_execz .LBB1255_429
; %bb.428:                              ;   in Loop: Header=BB1255_393 Depth=2
	s_lshl_b64 s[36:37], s[72:73], 3
	v_mov_b32_e32 v4, s37
	v_add_co_u32_e32 v45, vcc, s36, v172
	v_addc_co_u32_e32 v4, vcc, v173, v4, vcc
	v_add_co_u32_e32 v45, vcc, 0x1000, v45
	v_addc_co_u32_e32 v46, vcc, 0, v4, vcc
	global_load_dwordx2 v[45:46], v[45:46], off offset:3584
	v_mov_b32_e32 v175, s40
.LBB1255_429:                           ;   in Loop: Header=BB1255_393 Depth=2
	s_or_b64 exec, exec, s[38:39]
	s_waitcnt vmcnt(14)
	v_cmp_lt_i64_e32 vcc, -1, v[39:40]
	v_ashrrev_i32_e32 v71, 31, v40
	v_cndmask_b32_e32 v4, -1, v135, vcc
	v_xor_b32_e32 v40, v4, v40
	v_xor_b32_e32 v39, v71, v39
	v_cmp_ne_u64_e32 vcc, s[82:83], v[39:40]
	v_add_u32_e32 v177, 0x410, v100
	v_cndmask_b32_e32 v72, v135, v40, vcc
	v_cndmask_b32_e32 v71, 0, v39, vcc
	v_lshrrev_b64 v[71:72], s95, v[71:72]
	v_add_u32_e32 v176, 0x418, v100
	v_and_b32_e32 v71, s97, v71
	v_and_b32_e32 v4, 1, v71
	v_add_co_u32_e32 v72, vcc, -1, v4
	v_addc_co_u32_e64 v74, s[36:37], 0, -1, vcc
	v_cmp_ne_u32_e32 vcc, 0, v4
	v_xor_b32_e32 v4, vcc_hi, v74
	v_and_b32_e32 v74, exec_hi, v4
	v_lshlrev_b32_e32 v4, 30, v71
	v_xor_b32_e32 v72, vcc_lo, v72
	v_cmp_gt_i64_e32 vcc, 0, v[3:4]
	v_not_b32_e32 v4, v4
	v_ashrrev_i32_e32 v4, 31, v4
	v_and_b32_e32 v72, exec_lo, v72
	v_xor_b32_e32 v178, vcc_hi, v4
	v_xor_b32_e32 v4, vcc_lo, v4
	v_and_b32_e32 v72, v72, v4
	v_lshlrev_b32_e32 v4, 29, v71
	v_cmp_gt_i64_e32 vcc, 0, v[3:4]
	v_not_b32_e32 v4, v4
	v_ashrrev_i32_e32 v4, 31, v4
	v_and_b32_e32 v74, v74, v178
	v_xor_b32_e32 v178, vcc_hi, v4
	v_xor_b32_e32 v4, vcc_lo, v4
	v_and_b32_e32 v72, v72, v4
	v_lshlrev_b32_e32 v4, 28, v71
	v_cmp_gt_i64_e32 vcc, 0, v[3:4]
	v_not_b32_e32 v4, v4
	v_ashrrev_i32_e32 v4, 31, v4
	v_and_b32_e32 v74, v74, v178
	;; [unrolled: 8-line block ×5, first 2 shown]
	v_xor_b32_e32 v178, vcc_hi, v4
	v_xor_b32_e32 v4, vcc_lo, v4
	v_and_b32_e32 v74, v74, v178
	v_and_b32_e32 v178, v72, v4
	v_lshlrev_b32_e32 v4, 24, v71
	v_cmp_gt_i64_e32 vcc, 0, v[3:4]
	v_not_b32_e32 v4, v4
	v_ashrrev_i32_e32 v4, 31, v4
	v_mul_u32_u24_e32 v73, 20, v71
	v_xor_b32_e32 v71, vcc_hi, v4
	v_xor_b32_e32 v4, vcc_lo, v4
	v_and_b32_e32 v72, v74, v71
	v_and_b32_e32 v71, v178, v4
	v_mbcnt_lo_u32_b32 v4, v71, 0
	v_mbcnt_hi_u32_b32 v178, v72, v4
	v_cmp_ne_u64_e32 vcc, 0, v[71:72]
	v_cmp_eq_u32_e64 s[36:37], 0, v178
	s_and_b64 s[38:39], vcc, s[36:37]
	v_add_u32_e32 v180, v174, v73
	ds_write2_b32 v177, v3, v3 offset1:1
	ds_write2_b32 v176, v3, v3 offset1:1
	ds_write_b32 v100, v3 offset:1056
	s_waitcnt vmcnt(0) lgkmcnt(0)
	s_barrier
	; wave barrier
	s_and_saveexec_b64 s[36:37], s[38:39]
; %bb.430:                              ;   in Loop: Header=BB1255_393 Depth=2
	v_bcnt_u32_b32 v4, v71, 0
	v_bcnt_u32_b32 v4, v72, v4
	ds_write_b32 v180, v4 offset:1040
; %bb.431:                              ;   in Loop: Header=BB1255_393 Depth=2
	s_or_b64 exec, exec, s[36:37]
	v_cmp_lt_i64_e32 vcc, -1, v[41:42]
	v_ashrrev_i32_e32 v71, 31, v42
	v_cndmask_b32_e32 v4, -1, v135, vcc
	v_xor_b32_e32 v42, v4, v42
	v_xor_b32_e32 v41, v71, v41
	v_cmp_ne_u64_e32 vcc, s[82:83], v[41:42]
	v_cndmask_b32_e32 v72, v135, v42, vcc
	v_cndmask_b32_e32 v71, 0, v41, vcc
	v_lshrrev_b64 v[71:72], s95, v[71:72]
	; wave barrier
	v_and_b32_e32 v71, s97, v71
	v_mad_u32_u24 v4, v71, 20, v174
	ds_read_b32 v179, v4 offset:1040
	v_and_b32_e32 v4, 1, v71
	v_add_co_u32_e32 v72, vcc, -1, v4
	v_addc_co_u32_e64 v74, s[36:37], 0, -1, vcc
	v_cmp_ne_u32_e32 vcc, 0, v4
	v_xor_b32_e32 v4, vcc_hi, v74
	v_and_b32_e32 v74, exec_hi, v4
	v_lshlrev_b32_e32 v4, 30, v71
	v_xor_b32_e32 v72, vcc_lo, v72
	v_cmp_gt_i64_e32 vcc, 0, v[3:4]
	v_not_b32_e32 v4, v4
	v_ashrrev_i32_e32 v4, 31, v4
	v_and_b32_e32 v72, exec_lo, v72
	v_xor_b32_e32 v181, vcc_hi, v4
	v_xor_b32_e32 v4, vcc_lo, v4
	v_and_b32_e32 v72, v72, v4
	v_lshlrev_b32_e32 v4, 29, v71
	v_cmp_gt_i64_e32 vcc, 0, v[3:4]
	v_not_b32_e32 v4, v4
	v_ashrrev_i32_e32 v4, 31, v4
	v_and_b32_e32 v74, v74, v181
	v_xor_b32_e32 v181, vcc_hi, v4
	v_xor_b32_e32 v4, vcc_lo, v4
	v_and_b32_e32 v72, v72, v4
	v_lshlrev_b32_e32 v4, 28, v71
	v_cmp_gt_i64_e32 vcc, 0, v[3:4]
	v_not_b32_e32 v4, v4
	v_ashrrev_i32_e32 v4, 31, v4
	v_and_b32_e32 v74, v74, v181
	v_xor_b32_e32 v181, vcc_hi, v4
	v_xor_b32_e32 v4, vcc_lo, v4
	v_and_b32_e32 v72, v72, v4
	v_lshlrev_b32_e32 v4, 27, v71
	v_cmp_gt_i64_e32 vcc, 0, v[3:4]
	v_not_b32_e32 v4, v4
	v_ashrrev_i32_e32 v4, 31, v4
	v_and_b32_e32 v74, v74, v181
	v_xor_b32_e32 v181, vcc_hi, v4
	v_xor_b32_e32 v4, vcc_lo, v4
	v_and_b32_e32 v72, v72, v4
	v_lshlrev_b32_e32 v4, 26, v71
	v_cmp_gt_i64_e32 vcc, 0, v[3:4]
	v_not_b32_e32 v4, v4
	v_ashrrev_i32_e32 v4, 31, v4
	v_and_b32_e32 v74, v74, v181
	v_xor_b32_e32 v181, vcc_hi, v4
	v_xor_b32_e32 v4, vcc_lo, v4
	v_and_b32_e32 v72, v72, v4
	v_lshlrev_b32_e32 v4, 25, v71
	v_cmp_gt_i64_e32 vcc, 0, v[3:4]
	v_not_b32_e32 v4, v4
	v_ashrrev_i32_e32 v4, 31, v4
	v_and_b32_e32 v74, v74, v181
	v_xor_b32_e32 v181, vcc_hi, v4
	v_xor_b32_e32 v4, vcc_lo, v4
	v_and_b32_e32 v74, v74, v181
	v_and_b32_e32 v181, v72, v4
	v_lshlrev_b32_e32 v4, 24, v71
	v_cmp_gt_i64_e32 vcc, 0, v[3:4]
	v_not_b32_e32 v4, v4
	v_ashrrev_i32_e32 v4, 31, v4
	v_mul_u32_u24_e32 v73, 20, v71
	v_xor_b32_e32 v71, vcc_hi, v4
	v_xor_b32_e32 v4, vcc_lo, v4
	v_and_b32_e32 v72, v74, v71
	v_and_b32_e32 v71, v181, v4
	v_mbcnt_lo_u32_b32 v4, v71, 0
	v_mbcnt_hi_u32_b32 v181, v72, v4
	v_cmp_ne_u64_e32 vcc, 0, v[71:72]
	v_cmp_eq_u32_e64 s[36:37], 0, v181
	s_and_b64 s[38:39], vcc, s[36:37]
	v_add_u32_e32 v183, v174, v73
	; wave barrier
	s_and_saveexec_b64 s[36:37], s[38:39]
	s_cbranch_execz .LBB1255_433
; %bb.432:                              ;   in Loop: Header=BB1255_393 Depth=2
	v_bcnt_u32_b32 v4, v71, 0
	v_bcnt_u32_b32 v4, v72, v4
	s_waitcnt lgkmcnt(0)
	v_add_u32_e32 v4, v179, v4
	ds_write_b32 v183, v4 offset:1040
.LBB1255_433:                           ;   in Loop: Header=BB1255_393 Depth=2
	s_or_b64 exec, exec, s[36:37]
	v_cmp_lt_i64_e32 vcc, -1, v[47:48]
	v_ashrrev_i32_e32 v71, 31, v48
	v_cndmask_b32_e32 v4, -1, v135, vcc
	v_xor_b32_e32 v48, v4, v48
	v_xor_b32_e32 v47, v71, v47
	v_cmp_ne_u64_e32 vcc, s[82:83], v[47:48]
	v_cndmask_b32_e32 v72, v135, v48, vcc
	v_cndmask_b32_e32 v71, 0, v47, vcc
	v_lshrrev_b64 v[71:72], s95, v[71:72]
	; wave barrier
	v_and_b32_e32 v71, s97, v71
	v_mad_u32_u24 v4, v71, 20, v174
	ds_read_b32 v182, v4 offset:1040
	v_and_b32_e32 v4, 1, v71
	v_add_co_u32_e32 v72, vcc, -1, v4
	v_addc_co_u32_e64 v74, s[36:37], 0, -1, vcc
	v_cmp_ne_u32_e32 vcc, 0, v4
	v_xor_b32_e32 v4, vcc_hi, v74
	v_and_b32_e32 v74, exec_hi, v4
	v_lshlrev_b32_e32 v4, 30, v71
	v_xor_b32_e32 v72, vcc_lo, v72
	v_cmp_gt_i64_e32 vcc, 0, v[3:4]
	v_not_b32_e32 v4, v4
	v_ashrrev_i32_e32 v4, 31, v4
	v_and_b32_e32 v72, exec_lo, v72
	v_xor_b32_e32 v184, vcc_hi, v4
	v_xor_b32_e32 v4, vcc_lo, v4
	v_and_b32_e32 v72, v72, v4
	v_lshlrev_b32_e32 v4, 29, v71
	v_cmp_gt_i64_e32 vcc, 0, v[3:4]
	v_not_b32_e32 v4, v4
	v_ashrrev_i32_e32 v4, 31, v4
	v_and_b32_e32 v74, v74, v184
	v_xor_b32_e32 v184, vcc_hi, v4
	v_xor_b32_e32 v4, vcc_lo, v4
	v_and_b32_e32 v72, v72, v4
	v_lshlrev_b32_e32 v4, 28, v71
	v_cmp_gt_i64_e32 vcc, 0, v[3:4]
	v_not_b32_e32 v4, v4
	v_ashrrev_i32_e32 v4, 31, v4
	v_and_b32_e32 v74, v74, v184
	;; [unrolled: 8-line block ×5, first 2 shown]
	v_xor_b32_e32 v184, vcc_hi, v4
	v_xor_b32_e32 v4, vcc_lo, v4
	v_and_b32_e32 v74, v74, v184
	v_and_b32_e32 v184, v72, v4
	v_lshlrev_b32_e32 v4, 24, v71
	v_cmp_gt_i64_e32 vcc, 0, v[3:4]
	v_not_b32_e32 v4, v4
	v_ashrrev_i32_e32 v4, 31, v4
	v_mul_u32_u24_e32 v73, 20, v71
	v_xor_b32_e32 v71, vcc_hi, v4
	v_xor_b32_e32 v4, vcc_lo, v4
	v_and_b32_e32 v72, v74, v71
	v_and_b32_e32 v71, v184, v4
	v_mbcnt_lo_u32_b32 v4, v71, 0
	v_mbcnt_hi_u32_b32 v184, v72, v4
	v_cmp_ne_u64_e32 vcc, 0, v[71:72]
	v_cmp_eq_u32_e64 s[36:37], 0, v184
	s_and_b64 s[38:39], vcc, s[36:37]
	v_add_u32_e32 v186, v174, v73
	; wave barrier
	s_and_saveexec_b64 s[36:37], s[38:39]
	s_cbranch_execz .LBB1255_435
; %bb.434:                              ;   in Loop: Header=BB1255_393 Depth=2
	v_bcnt_u32_b32 v4, v71, 0
	v_bcnt_u32_b32 v4, v72, v4
	s_waitcnt lgkmcnt(0)
	v_add_u32_e32 v4, v182, v4
	ds_write_b32 v186, v4 offset:1040
.LBB1255_435:                           ;   in Loop: Header=BB1255_393 Depth=2
	s_or_b64 exec, exec, s[36:37]
	v_cmp_lt_i64_e32 vcc, -1, v[51:52]
	v_ashrrev_i32_e32 v71, 31, v52
	v_cndmask_b32_e32 v4, -1, v135, vcc
	v_xor_b32_e32 v52, v4, v52
	v_xor_b32_e32 v51, v71, v51
	v_cmp_ne_u64_e32 vcc, s[82:83], v[51:52]
	v_cndmask_b32_e32 v72, v135, v52, vcc
	v_cndmask_b32_e32 v71, 0, v51, vcc
	v_lshrrev_b64 v[71:72], s95, v[71:72]
	; wave barrier
	v_and_b32_e32 v71, s97, v71
	v_mad_u32_u24 v4, v71, 20, v174
	ds_read_b32 v185, v4 offset:1040
	v_and_b32_e32 v4, 1, v71
	v_add_co_u32_e32 v72, vcc, -1, v4
	v_addc_co_u32_e64 v74, s[36:37], 0, -1, vcc
	v_cmp_ne_u32_e32 vcc, 0, v4
	v_xor_b32_e32 v4, vcc_hi, v74
	v_and_b32_e32 v74, exec_hi, v4
	v_lshlrev_b32_e32 v4, 30, v71
	v_xor_b32_e32 v72, vcc_lo, v72
	v_cmp_gt_i64_e32 vcc, 0, v[3:4]
	v_not_b32_e32 v4, v4
	v_ashrrev_i32_e32 v4, 31, v4
	v_and_b32_e32 v72, exec_lo, v72
	v_xor_b32_e32 v187, vcc_hi, v4
	v_xor_b32_e32 v4, vcc_lo, v4
	v_and_b32_e32 v72, v72, v4
	v_lshlrev_b32_e32 v4, 29, v71
	v_cmp_gt_i64_e32 vcc, 0, v[3:4]
	v_not_b32_e32 v4, v4
	v_ashrrev_i32_e32 v4, 31, v4
	v_and_b32_e32 v74, v74, v187
	v_xor_b32_e32 v187, vcc_hi, v4
	v_xor_b32_e32 v4, vcc_lo, v4
	v_and_b32_e32 v72, v72, v4
	v_lshlrev_b32_e32 v4, 28, v71
	v_cmp_gt_i64_e32 vcc, 0, v[3:4]
	v_not_b32_e32 v4, v4
	v_ashrrev_i32_e32 v4, 31, v4
	v_and_b32_e32 v74, v74, v187
	;; [unrolled: 8-line block ×5, first 2 shown]
	v_xor_b32_e32 v187, vcc_hi, v4
	v_xor_b32_e32 v4, vcc_lo, v4
	v_and_b32_e32 v74, v74, v187
	v_and_b32_e32 v187, v72, v4
	v_lshlrev_b32_e32 v4, 24, v71
	v_cmp_gt_i64_e32 vcc, 0, v[3:4]
	v_not_b32_e32 v4, v4
	v_ashrrev_i32_e32 v4, 31, v4
	v_mul_u32_u24_e32 v73, 20, v71
	v_xor_b32_e32 v71, vcc_hi, v4
	v_xor_b32_e32 v4, vcc_lo, v4
	v_and_b32_e32 v72, v74, v71
	v_and_b32_e32 v71, v187, v4
	v_mbcnt_lo_u32_b32 v4, v71, 0
	v_mbcnt_hi_u32_b32 v187, v72, v4
	v_cmp_ne_u64_e32 vcc, 0, v[71:72]
	v_cmp_eq_u32_e64 s[36:37], 0, v187
	s_and_b64 s[38:39], vcc, s[36:37]
	v_add_u32_e32 v189, v174, v73
	; wave barrier
	s_and_saveexec_b64 s[36:37], s[38:39]
	s_cbranch_execz .LBB1255_437
; %bb.436:                              ;   in Loop: Header=BB1255_393 Depth=2
	v_bcnt_u32_b32 v4, v71, 0
	v_bcnt_u32_b32 v4, v72, v4
	s_waitcnt lgkmcnt(0)
	v_add_u32_e32 v4, v185, v4
	ds_write_b32 v189, v4 offset:1040
.LBB1255_437:                           ;   in Loop: Header=BB1255_393 Depth=2
	s_or_b64 exec, exec, s[36:37]
	v_cmp_lt_i64_e32 vcc, -1, v[55:56]
	v_ashrrev_i32_e32 v71, 31, v56
	v_cndmask_b32_e32 v4, -1, v135, vcc
	v_xor_b32_e32 v56, v4, v56
	v_xor_b32_e32 v55, v71, v55
	v_cmp_ne_u64_e32 vcc, s[82:83], v[55:56]
	v_cndmask_b32_e32 v72, v135, v56, vcc
	v_cndmask_b32_e32 v71, 0, v55, vcc
	v_lshrrev_b64 v[71:72], s95, v[71:72]
	; wave barrier
	v_and_b32_e32 v71, s97, v71
	v_mad_u32_u24 v4, v71, 20, v174
	ds_read_b32 v188, v4 offset:1040
	v_and_b32_e32 v4, 1, v71
	v_add_co_u32_e32 v72, vcc, -1, v4
	v_addc_co_u32_e64 v74, s[36:37], 0, -1, vcc
	v_cmp_ne_u32_e32 vcc, 0, v4
	v_xor_b32_e32 v4, vcc_hi, v74
	v_and_b32_e32 v74, exec_hi, v4
	v_lshlrev_b32_e32 v4, 30, v71
	v_xor_b32_e32 v72, vcc_lo, v72
	v_cmp_gt_i64_e32 vcc, 0, v[3:4]
	v_not_b32_e32 v4, v4
	v_ashrrev_i32_e32 v4, 31, v4
	v_and_b32_e32 v72, exec_lo, v72
	v_xor_b32_e32 v190, vcc_hi, v4
	v_xor_b32_e32 v4, vcc_lo, v4
	v_and_b32_e32 v72, v72, v4
	v_lshlrev_b32_e32 v4, 29, v71
	v_cmp_gt_i64_e32 vcc, 0, v[3:4]
	v_not_b32_e32 v4, v4
	v_ashrrev_i32_e32 v4, 31, v4
	v_and_b32_e32 v74, v74, v190
	v_xor_b32_e32 v190, vcc_hi, v4
	v_xor_b32_e32 v4, vcc_lo, v4
	v_and_b32_e32 v72, v72, v4
	v_lshlrev_b32_e32 v4, 28, v71
	v_cmp_gt_i64_e32 vcc, 0, v[3:4]
	v_not_b32_e32 v4, v4
	v_ashrrev_i32_e32 v4, 31, v4
	v_and_b32_e32 v74, v74, v190
	;; [unrolled: 8-line block ×5, first 2 shown]
	v_xor_b32_e32 v190, vcc_hi, v4
	v_xor_b32_e32 v4, vcc_lo, v4
	v_and_b32_e32 v74, v74, v190
	v_and_b32_e32 v190, v72, v4
	v_lshlrev_b32_e32 v4, 24, v71
	v_cmp_gt_i64_e32 vcc, 0, v[3:4]
	v_not_b32_e32 v4, v4
	v_ashrrev_i32_e32 v4, 31, v4
	v_mul_u32_u24_e32 v73, 20, v71
	v_xor_b32_e32 v71, vcc_hi, v4
	v_xor_b32_e32 v4, vcc_lo, v4
	v_and_b32_e32 v72, v74, v71
	v_and_b32_e32 v71, v190, v4
	v_mbcnt_lo_u32_b32 v4, v71, 0
	v_mbcnt_hi_u32_b32 v190, v72, v4
	v_cmp_ne_u64_e32 vcc, 0, v[71:72]
	v_cmp_eq_u32_e64 s[36:37], 0, v190
	s_and_b64 s[38:39], vcc, s[36:37]
	v_add_u32_e32 v192, v174, v73
	; wave barrier
	s_and_saveexec_b64 s[36:37], s[38:39]
	s_cbranch_execz .LBB1255_439
; %bb.438:                              ;   in Loop: Header=BB1255_393 Depth=2
	v_bcnt_u32_b32 v4, v71, 0
	v_bcnt_u32_b32 v4, v72, v4
	s_waitcnt lgkmcnt(0)
	v_add_u32_e32 v4, v188, v4
	ds_write_b32 v192, v4 offset:1040
.LBB1255_439:                           ;   in Loop: Header=BB1255_393 Depth=2
	s_or_b64 exec, exec, s[36:37]
	v_cmp_lt_i64_e32 vcc, -1, v[59:60]
	v_ashrrev_i32_e32 v71, 31, v60
	v_cndmask_b32_e32 v4, -1, v135, vcc
	v_xor_b32_e32 v60, v4, v60
	v_xor_b32_e32 v59, v71, v59
	v_cmp_ne_u64_e32 vcc, s[82:83], v[59:60]
	v_cndmask_b32_e32 v72, v135, v60, vcc
	v_cndmask_b32_e32 v71, 0, v59, vcc
	v_lshrrev_b64 v[71:72], s95, v[71:72]
	; wave barrier
	v_and_b32_e32 v71, s97, v71
	v_mad_u32_u24 v4, v71, 20, v174
	ds_read_b32 v191, v4 offset:1040
	v_and_b32_e32 v4, 1, v71
	v_add_co_u32_e32 v72, vcc, -1, v4
	v_addc_co_u32_e64 v74, s[36:37], 0, -1, vcc
	v_cmp_ne_u32_e32 vcc, 0, v4
	v_xor_b32_e32 v4, vcc_hi, v74
	v_and_b32_e32 v74, exec_hi, v4
	v_lshlrev_b32_e32 v4, 30, v71
	v_xor_b32_e32 v72, vcc_lo, v72
	v_cmp_gt_i64_e32 vcc, 0, v[3:4]
	v_not_b32_e32 v4, v4
	v_ashrrev_i32_e32 v4, 31, v4
	v_and_b32_e32 v72, exec_lo, v72
	v_xor_b32_e32 v193, vcc_hi, v4
	v_xor_b32_e32 v4, vcc_lo, v4
	v_and_b32_e32 v72, v72, v4
	v_lshlrev_b32_e32 v4, 29, v71
	v_cmp_gt_i64_e32 vcc, 0, v[3:4]
	v_not_b32_e32 v4, v4
	v_ashrrev_i32_e32 v4, 31, v4
	v_and_b32_e32 v74, v74, v193
	v_xor_b32_e32 v193, vcc_hi, v4
	v_xor_b32_e32 v4, vcc_lo, v4
	v_and_b32_e32 v72, v72, v4
	v_lshlrev_b32_e32 v4, 28, v71
	v_cmp_gt_i64_e32 vcc, 0, v[3:4]
	v_not_b32_e32 v4, v4
	v_ashrrev_i32_e32 v4, 31, v4
	v_and_b32_e32 v74, v74, v193
	;; [unrolled: 8-line block ×5, first 2 shown]
	v_xor_b32_e32 v193, vcc_hi, v4
	v_xor_b32_e32 v4, vcc_lo, v4
	v_and_b32_e32 v74, v74, v193
	v_and_b32_e32 v193, v72, v4
	v_lshlrev_b32_e32 v4, 24, v71
	v_cmp_gt_i64_e32 vcc, 0, v[3:4]
	v_not_b32_e32 v4, v4
	v_ashrrev_i32_e32 v4, 31, v4
	v_mul_u32_u24_e32 v73, 20, v71
	v_xor_b32_e32 v71, vcc_hi, v4
	v_xor_b32_e32 v4, vcc_lo, v4
	v_and_b32_e32 v72, v74, v71
	v_and_b32_e32 v71, v193, v4
	v_mbcnt_lo_u32_b32 v4, v71, 0
	v_mbcnt_hi_u32_b32 v193, v72, v4
	v_cmp_ne_u64_e32 vcc, 0, v[71:72]
	v_cmp_eq_u32_e64 s[36:37], 0, v193
	s_and_b64 s[38:39], vcc, s[36:37]
	v_add_u32_e32 v195, v174, v73
	; wave barrier
	s_and_saveexec_b64 s[36:37], s[38:39]
	s_cbranch_execz .LBB1255_441
; %bb.440:                              ;   in Loop: Header=BB1255_393 Depth=2
	v_bcnt_u32_b32 v4, v71, 0
	v_bcnt_u32_b32 v4, v72, v4
	s_waitcnt lgkmcnt(0)
	v_add_u32_e32 v4, v191, v4
	ds_write_b32 v195, v4 offset:1040
.LBB1255_441:                           ;   in Loop: Header=BB1255_393 Depth=2
	s_or_b64 exec, exec, s[36:37]
	v_cmp_lt_i64_e32 vcc, -1, v[63:64]
	v_ashrrev_i32_e32 v71, 31, v64
	v_cndmask_b32_e32 v4, -1, v135, vcc
	v_xor_b32_e32 v64, v4, v64
	v_xor_b32_e32 v63, v71, v63
	v_cmp_ne_u64_e32 vcc, s[82:83], v[63:64]
	v_cndmask_b32_e32 v72, v135, v64, vcc
	v_cndmask_b32_e32 v71, 0, v63, vcc
	v_lshrrev_b64 v[71:72], s95, v[71:72]
	; wave barrier
	v_and_b32_e32 v71, s97, v71
	v_mad_u32_u24 v4, v71, 20, v174
	ds_read_b32 v194, v4 offset:1040
	v_and_b32_e32 v4, 1, v71
	v_add_co_u32_e32 v72, vcc, -1, v4
	v_addc_co_u32_e64 v74, s[36:37], 0, -1, vcc
	v_cmp_ne_u32_e32 vcc, 0, v4
	v_xor_b32_e32 v4, vcc_hi, v74
	v_and_b32_e32 v74, exec_hi, v4
	v_lshlrev_b32_e32 v4, 30, v71
	v_xor_b32_e32 v72, vcc_lo, v72
	v_cmp_gt_i64_e32 vcc, 0, v[3:4]
	v_not_b32_e32 v4, v4
	v_ashrrev_i32_e32 v4, 31, v4
	v_and_b32_e32 v72, exec_lo, v72
	v_xor_b32_e32 v196, vcc_hi, v4
	v_xor_b32_e32 v4, vcc_lo, v4
	v_and_b32_e32 v72, v72, v4
	v_lshlrev_b32_e32 v4, 29, v71
	v_cmp_gt_i64_e32 vcc, 0, v[3:4]
	v_not_b32_e32 v4, v4
	v_ashrrev_i32_e32 v4, 31, v4
	v_and_b32_e32 v74, v74, v196
	v_xor_b32_e32 v196, vcc_hi, v4
	v_xor_b32_e32 v4, vcc_lo, v4
	v_and_b32_e32 v72, v72, v4
	v_lshlrev_b32_e32 v4, 28, v71
	v_cmp_gt_i64_e32 vcc, 0, v[3:4]
	v_not_b32_e32 v4, v4
	v_ashrrev_i32_e32 v4, 31, v4
	v_and_b32_e32 v74, v74, v196
	;; [unrolled: 8-line block ×5, first 2 shown]
	v_xor_b32_e32 v196, vcc_hi, v4
	v_xor_b32_e32 v4, vcc_lo, v4
	v_and_b32_e32 v74, v74, v196
	v_and_b32_e32 v196, v72, v4
	v_lshlrev_b32_e32 v4, 24, v71
	v_cmp_gt_i64_e32 vcc, 0, v[3:4]
	v_not_b32_e32 v4, v4
	v_ashrrev_i32_e32 v4, 31, v4
	v_mul_u32_u24_e32 v73, 20, v71
	v_xor_b32_e32 v71, vcc_hi, v4
	v_xor_b32_e32 v4, vcc_lo, v4
	v_and_b32_e32 v72, v74, v71
	v_and_b32_e32 v71, v196, v4
	v_mbcnt_lo_u32_b32 v4, v71, 0
	v_mbcnt_hi_u32_b32 v196, v72, v4
	v_cmp_ne_u64_e32 vcc, 0, v[71:72]
	v_cmp_eq_u32_e64 s[36:37], 0, v196
	s_and_b64 s[38:39], vcc, s[36:37]
	v_add_u32_e32 v198, v174, v73
	; wave barrier
	s_and_saveexec_b64 s[36:37], s[38:39]
	s_cbranch_execz .LBB1255_443
; %bb.442:                              ;   in Loop: Header=BB1255_393 Depth=2
	v_bcnt_u32_b32 v4, v71, 0
	v_bcnt_u32_b32 v4, v72, v4
	s_waitcnt lgkmcnt(0)
	v_add_u32_e32 v4, v194, v4
	ds_write_b32 v198, v4 offset:1040
.LBB1255_443:                           ;   in Loop: Header=BB1255_393 Depth=2
	s_or_b64 exec, exec, s[36:37]
	v_cmp_lt_i64_e32 vcc, -1, v[67:68]
	v_ashrrev_i32_e32 v71, 31, v68
	v_cndmask_b32_e32 v4, -1, v135, vcc
	v_xor_b32_e32 v68, v4, v68
	v_xor_b32_e32 v67, v71, v67
	v_cmp_ne_u64_e32 vcc, s[82:83], v[67:68]
	v_cndmask_b32_e32 v72, v135, v68, vcc
	v_cndmask_b32_e32 v71, 0, v67, vcc
	v_lshrrev_b64 v[71:72], s95, v[71:72]
	; wave barrier
	v_and_b32_e32 v71, s97, v71
	v_mad_u32_u24 v4, v71, 20, v174
	ds_read_b32 v197, v4 offset:1040
	v_and_b32_e32 v4, 1, v71
	v_add_co_u32_e32 v72, vcc, -1, v4
	v_addc_co_u32_e64 v74, s[36:37], 0, -1, vcc
	v_cmp_ne_u32_e32 vcc, 0, v4
	v_xor_b32_e32 v4, vcc_hi, v74
	v_and_b32_e32 v74, exec_hi, v4
	v_lshlrev_b32_e32 v4, 30, v71
	v_xor_b32_e32 v72, vcc_lo, v72
	v_cmp_gt_i64_e32 vcc, 0, v[3:4]
	v_not_b32_e32 v4, v4
	v_ashrrev_i32_e32 v4, 31, v4
	v_and_b32_e32 v72, exec_lo, v72
	v_xor_b32_e32 v199, vcc_hi, v4
	v_xor_b32_e32 v4, vcc_lo, v4
	v_and_b32_e32 v72, v72, v4
	v_lshlrev_b32_e32 v4, 29, v71
	v_cmp_gt_i64_e32 vcc, 0, v[3:4]
	v_not_b32_e32 v4, v4
	v_ashrrev_i32_e32 v4, 31, v4
	v_and_b32_e32 v74, v74, v199
	v_xor_b32_e32 v199, vcc_hi, v4
	v_xor_b32_e32 v4, vcc_lo, v4
	v_and_b32_e32 v72, v72, v4
	v_lshlrev_b32_e32 v4, 28, v71
	v_cmp_gt_i64_e32 vcc, 0, v[3:4]
	v_not_b32_e32 v4, v4
	v_ashrrev_i32_e32 v4, 31, v4
	v_and_b32_e32 v74, v74, v199
	;; [unrolled: 8-line block ×5, first 2 shown]
	v_xor_b32_e32 v199, vcc_hi, v4
	v_xor_b32_e32 v4, vcc_lo, v4
	v_and_b32_e32 v74, v74, v199
	v_and_b32_e32 v199, v72, v4
	v_lshlrev_b32_e32 v4, 24, v71
	v_cmp_gt_i64_e32 vcc, 0, v[3:4]
	v_not_b32_e32 v4, v4
	v_ashrrev_i32_e32 v4, 31, v4
	v_mul_u32_u24_e32 v73, 20, v71
	v_xor_b32_e32 v71, vcc_hi, v4
	v_xor_b32_e32 v4, vcc_lo, v4
	v_and_b32_e32 v72, v74, v71
	v_and_b32_e32 v71, v199, v4
	v_mbcnt_lo_u32_b32 v4, v71, 0
	v_mbcnt_hi_u32_b32 v199, v72, v4
	v_cmp_ne_u64_e32 vcc, 0, v[71:72]
	v_cmp_eq_u32_e64 s[36:37], 0, v199
	s_and_b64 s[38:39], vcc, s[36:37]
	v_add_u32_e32 v201, v174, v73
	; wave barrier
	s_and_saveexec_b64 s[36:37], s[38:39]
	s_cbranch_execz .LBB1255_445
; %bb.444:                              ;   in Loop: Header=BB1255_393 Depth=2
	v_bcnt_u32_b32 v4, v71, 0
	v_bcnt_u32_b32 v4, v72, v4
	s_waitcnt lgkmcnt(0)
	v_add_u32_e32 v4, v197, v4
	ds_write_b32 v201, v4 offset:1040
.LBB1255_445:                           ;   in Loop: Header=BB1255_393 Depth=2
	s_or_b64 exec, exec, s[36:37]
	v_cmp_lt_i64_e32 vcc, -1, v[69:70]
	v_ashrrev_i32_e32 v71, 31, v70
	v_cndmask_b32_e32 v4, -1, v135, vcc
	v_xor_b32_e32 v70, v4, v70
	v_xor_b32_e32 v69, v71, v69
	v_cmp_ne_u64_e32 vcc, s[82:83], v[69:70]
	v_cndmask_b32_e32 v72, v135, v70, vcc
	v_cndmask_b32_e32 v71, 0, v69, vcc
	v_lshrrev_b64 v[71:72], s95, v[71:72]
	; wave barrier
	v_and_b32_e32 v71, s97, v71
	v_mad_u32_u24 v4, v71, 20, v174
	ds_read_b32 v200, v4 offset:1040
	v_and_b32_e32 v4, 1, v71
	v_add_co_u32_e32 v72, vcc, -1, v4
	v_addc_co_u32_e64 v74, s[36:37], 0, -1, vcc
	v_cmp_ne_u32_e32 vcc, 0, v4
	v_xor_b32_e32 v4, vcc_hi, v74
	v_and_b32_e32 v74, exec_hi, v4
	v_lshlrev_b32_e32 v4, 30, v71
	v_xor_b32_e32 v72, vcc_lo, v72
	v_cmp_gt_i64_e32 vcc, 0, v[3:4]
	v_not_b32_e32 v4, v4
	v_ashrrev_i32_e32 v4, 31, v4
	v_and_b32_e32 v72, exec_lo, v72
	v_xor_b32_e32 v202, vcc_hi, v4
	v_xor_b32_e32 v4, vcc_lo, v4
	v_and_b32_e32 v72, v72, v4
	v_lshlrev_b32_e32 v4, 29, v71
	v_cmp_gt_i64_e32 vcc, 0, v[3:4]
	v_not_b32_e32 v4, v4
	v_ashrrev_i32_e32 v4, 31, v4
	v_and_b32_e32 v74, v74, v202
	v_xor_b32_e32 v202, vcc_hi, v4
	v_xor_b32_e32 v4, vcc_lo, v4
	v_and_b32_e32 v72, v72, v4
	v_lshlrev_b32_e32 v4, 28, v71
	v_cmp_gt_i64_e32 vcc, 0, v[3:4]
	v_not_b32_e32 v4, v4
	v_ashrrev_i32_e32 v4, 31, v4
	v_and_b32_e32 v74, v74, v202
	;; [unrolled: 8-line block ×5, first 2 shown]
	v_xor_b32_e32 v202, vcc_hi, v4
	v_xor_b32_e32 v4, vcc_lo, v4
	v_and_b32_e32 v74, v74, v202
	v_and_b32_e32 v202, v72, v4
	v_lshlrev_b32_e32 v4, 24, v71
	v_cmp_gt_i64_e32 vcc, 0, v[3:4]
	v_not_b32_e32 v4, v4
	v_ashrrev_i32_e32 v4, 31, v4
	v_mul_u32_u24_e32 v73, 20, v71
	v_xor_b32_e32 v71, vcc_hi, v4
	v_xor_b32_e32 v4, vcc_lo, v4
	v_and_b32_e32 v72, v74, v71
	v_and_b32_e32 v71, v202, v4
	v_mbcnt_lo_u32_b32 v4, v71, 0
	v_mbcnt_hi_u32_b32 v202, v72, v4
	v_cmp_ne_u64_e32 vcc, 0, v[71:72]
	v_cmp_eq_u32_e64 s[36:37], 0, v202
	s_and_b64 s[38:39], vcc, s[36:37]
	v_add_u32_e32 v204, v174, v73
	; wave barrier
	s_and_saveexec_b64 s[36:37], s[38:39]
	s_cbranch_execz .LBB1255_447
; %bb.446:                              ;   in Loop: Header=BB1255_393 Depth=2
	v_bcnt_u32_b32 v4, v71, 0
	v_bcnt_u32_b32 v4, v72, v4
	s_waitcnt lgkmcnt(0)
	v_add_u32_e32 v4, v200, v4
	ds_write_b32 v204, v4 offset:1040
.LBB1255_447:                           ;   in Loop: Header=BB1255_393 Depth=2
	s_or_b64 exec, exec, s[36:37]
	v_cmp_lt_i64_e32 vcc, -1, v[65:66]
	v_ashrrev_i32_e32 v71, 31, v66
	v_cndmask_b32_e32 v4, -1, v135, vcc
	v_xor_b32_e32 v66, v4, v66
	v_xor_b32_e32 v65, v71, v65
	v_cmp_ne_u64_e32 vcc, s[82:83], v[65:66]
	v_cndmask_b32_e32 v72, v135, v66, vcc
	v_cndmask_b32_e32 v71, 0, v65, vcc
	v_lshrrev_b64 v[71:72], s95, v[71:72]
	; wave barrier
	v_and_b32_e32 v71, s97, v71
	v_mad_u32_u24 v4, v71, 20, v174
	ds_read_b32 v203, v4 offset:1040
	v_and_b32_e32 v4, 1, v71
	v_add_co_u32_e32 v72, vcc, -1, v4
	v_addc_co_u32_e64 v74, s[36:37], 0, -1, vcc
	v_cmp_ne_u32_e32 vcc, 0, v4
	v_xor_b32_e32 v4, vcc_hi, v74
	v_and_b32_e32 v74, exec_hi, v4
	v_lshlrev_b32_e32 v4, 30, v71
	v_xor_b32_e32 v72, vcc_lo, v72
	v_cmp_gt_i64_e32 vcc, 0, v[3:4]
	v_not_b32_e32 v4, v4
	v_ashrrev_i32_e32 v4, 31, v4
	v_and_b32_e32 v72, exec_lo, v72
	v_xor_b32_e32 v205, vcc_hi, v4
	v_xor_b32_e32 v4, vcc_lo, v4
	v_and_b32_e32 v72, v72, v4
	v_lshlrev_b32_e32 v4, 29, v71
	v_cmp_gt_i64_e32 vcc, 0, v[3:4]
	v_not_b32_e32 v4, v4
	v_ashrrev_i32_e32 v4, 31, v4
	v_and_b32_e32 v74, v74, v205
	v_xor_b32_e32 v205, vcc_hi, v4
	v_xor_b32_e32 v4, vcc_lo, v4
	v_and_b32_e32 v72, v72, v4
	v_lshlrev_b32_e32 v4, 28, v71
	v_cmp_gt_i64_e32 vcc, 0, v[3:4]
	v_not_b32_e32 v4, v4
	v_ashrrev_i32_e32 v4, 31, v4
	v_and_b32_e32 v74, v74, v205
	;; [unrolled: 8-line block ×5, first 2 shown]
	v_xor_b32_e32 v205, vcc_hi, v4
	v_xor_b32_e32 v4, vcc_lo, v4
	v_and_b32_e32 v74, v74, v205
	v_and_b32_e32 v205, v72, v4
	v_lshlrev_b32_e32 v4, 24, v71
	v_cmp_gt_i64_e32 vcc, 0, v[3:4]
	v_not_b32_e32 v4, v4
	v_ashrrev_i32_e32 v4, 31, v4
	v_mul_u32_u24_e32 v73, 20, v71
	v_xor_b32_e32 v71, vcc_hi, v4
	v_xor_b32_e32 v4, vcc_lo, v4
	v_and_b32_e32 v72, v74, v71
	v_and_b32_e32 v71, v205, v4
	v_mbcnt_lo_u32_b32 v4, v71, 0
	v_mbcnt_hi_u32_b32 v205, v72, v4
	v_cmp_ne_u64_e32 vcc, 0, v[71:72]
	v_cmp_eq_u32_e64 s[36:37], 0, v205
	s_and_b64 s[38:39], vcc, s[36:37]
	v_add_u32_e32 v207, v174, v73
	; wave barrier
	s_and_saveexec_b64 s[36:37], s[38:39]
	s_cbranch_execz .LBB1255_449
; %bb.448:                              ;   in Loop: Header=BB1255_393 Depth=2
	v_bcnt_u32_b32 v4, v71, 0
	v_bcnt_u32_b32 v4, v72, v4
	s_waitcnt lgkmcnt(0)
	v_add_u32_e32 v4, v203, v4
	ds_write_b32 v207, v4 offset:1040
.LBB1255_449:                           ;   in Loop: Header=BB1255_393 Depth=2
	s_or_b64 exec, exec, s[36:37]
	v_cmp_lt_i64_e32 vcc, -1, v[61:62]
	v_ashrrev_i32_e32 v71, 31, v62
	v_cndmask_b32_e32 v4, -1, v135, vcc
	v_xor_b32_e32 v62, v4, v62
	v_xor_b32_e32 v61, v71, v61
	v_cmp_ne_u64_e32 vcc, s[82:83], v[61:62]
	v_cndmask_b32_e32 v72, v135, v62, vcc
	v_cndmask_b32_e32 v71, 0, v61, vcc
	v_lshrrev_b64 v[71:72], s95, v[71:72]
	; wave barrier
	v_and_b32_e32 v71, s97, v71
	v_mad_u32_u24 v4, v71, 20, v174
	ds_read_b32 v206, v4 offset:1040
	v_and_b32_e32 v4, 1, v71
	v_add_co_u32_e32 v72, vcc, -1, v4
	v_addc_co_u32_e64 v74, s[36:37], 0, -1, vcc
	v_cmp_ne_u32_e32 vcc, 0, v4
	v_xor_b32_e32 v4, vcc_hi, v74
	v_and_b32_e32 v74, exec_hi, v4
	v_lshlrev_b32_e32 v4, 30, v71
	v_xor_b32_e32 v72, vcc_lo, v72
	v_cmp_gt_i64_e32 vcc, 0, v[3:4]
	v_not_b32_e32 v4, v4
	v_ashrrev_i32_e32 v4, 31, v4
	v_and_b32_e32 v72, exec_lo, v72
	v_xor_b32_e32 v208, vcc_hi, v4
	v_xor_b32_e32 v4, vcc_lo, v4
	v_and_b32_e32 v72, v72, v4
	v_lshlrev_b32_e32 v4, 29, v71
	v_cmp_gt_i64_e32 vcc, 0, v[3:4]
	v_not_b32_e32 v4, v4
	v_ashrrev_i32_e32 v4, 31, v4
	v_and_b32_e32 v74, v74, v208
	v_xor_b32_e32 v208, vcc_hi, v4
	v_xor_b32_e32 v4, vcc_lo, v4
	v_and_b32_e32 v72, v72, v4
	v_lshlrev_b32_e32 v4, 28, v71
	v_cmp_gt_i64_e32 vcc, 0, v[3:4]
	v_not_b32_e32 v4, v4
	v_ashrrev_i32_e32 v4, 31, v4
	v_and_b32_e32 v74, v74, v208
	;; [unrolled: 8-line block ×5, first 2 shown]
	v_xor_b32_e32 v208, vcc_hi, v4
	v_xor_b32_e32 v4, vcc_lo, v4
	v_and_b32_e32 v74, v74, v208
	v_and_b32_e32 v208, v72, v4
	v_lshlrev_b32_e32 v4, 24, v71
	v_cmp_gt_i64_e32 vcc, 0, v[3:4]
	v_not_b32_e32 v4, v4
	v_ashrrev_i32_e32 v4, 31, v4
	v_mul_u32_u24_e32 v73, 20, v71
	v_xor_b32_e32 v71, vcc_hi, v4
	v_xor_b32_e32 v4, vcc_lo, v4
	v_and_b32_e32 v72, v74, v71
	v_and_b32_e32 v71, v208, v4
	v_mbcnt_lo_u32_b32 v4, v71, 0
	v_mbcnt_hi_u32_b32 v208, v72, v4
	v_cmp_ne_u64_e32 vcc, 0, v[71:72]
	v_cmp_eq_u32_e64 s[36:37], 0, v208
	s_and_b64 s[38:39], vcc, s[36:37]
	v_add_u32_e32 v210, v174, v73
	; wave barrier
	s_and_saveexec_b64 s[36:37], s[38:39]
	s_cbranch_execz .LBB1255_451
; %bb.450:                              ;   in Loop: Header=BB1255_393 Depth=2
	v_bcnt_u32_b32 v4, v71, 0
	v_bcnt_u32_b32 v4, v72, v4
	s_waitcnt lgkmcnt(0)
	v_add_u32_e32 v4, v206, v4
	ds_write_b32 v210, v4 offset:1040
.LBB1255_451:                           ;   in Loop: Header=BB1255_393 Depth=2
	s_or_b64 exec, exec, s[36:37]
	v_cmp_lt_i64_e32 vcc, -1, v[57:58]
	v_ashrrev_i32_e32 v71, 31, v58
	v_cndmask_b32_e32 v4, -1, v135, vcc
	v_xor_b32_e32 v58, v4, v58
	v_xor_b32_e32 v57, v71, v57
	v_cmp_ne_u64_e32 vcc, s[82:83], v[57:58]
	v_cndmask_b32_e32 v72, v135, v58, vcc
	v_cndmask_b32_e32 v71, 0, v57, vcc
	v_lshrrev_b64 v[71:72], s95, v[71:72]
	; wave barrier
	v_and_b32_e32 v71, s97, v71
	v_mad_u32_u24 v4, v71, 20, v174
	ds_read_b32 v209, v4 offset:1040
	v_and_b32_e32 v4, 1, v71
	v_add_co_u32_e32 v72, vcc, -1, v4
	v_addc_co_u32_e64 v74, s[36:37], 0, -1, vcc
	v_cmp_ne_u32_e32 vcc, 0, v4
	v_xor_b32_e32 v4, vcc_hi, v74
	v_and_b32_e32 v74, exec_hi, v4
	v_lshlrev_b32_e32 v4, 30, v71
	v_xor_b32_e32 v72, vcc_lo, v72
	v_cmp_gt_i64_e32 vcc, 0, v[3:4]
	v_not_b32_e32 v4, v4
	v_ashrrev_i32_e32 v4, 31, v4
	v_and_b32_e32 v72, exec_lo, v72
	v_xor_b32_e32 v211, vcc_hi, v4
	v_xor_b32_e32 v4, vcc_lo, v4
	v_and_b32_e32 v72, v72, v4
	v_lshlrev_b32_e32 v4, 29, v71
	v_cmp_gt_i64_e32 vcc, 0, v[3:4]
	v_not_b32_e32 v4, v4
	v_ashrrev_i32_e32 v4, 31, v4
	v_and_b32_e32 v74, v74, v211
	v_xor_b32_e32 v211, vcc_hi, v4
	v_xor_b32_e32 v4, vcc_lo, v4
	v_and_b32_e32 v72, v72, v4
	v_lshlrev_b32_e32 v4, 28, v71
	v_cmp_gt_i64_e32 vcc, 0, v[3:4]
	v_not_b32_e32 v4, v4
	v_ashrrev_i32_e32 v4, 31, v4
	v_and_b32_e32 v74, v74, v211
	;; [unrolled: 8-line block ×5, first 2 shown]
	v_xor_b32_e32 v211, vcc_hi, v4
	v_xor_b32_e32 v4, vcc_lo, v4
	v_and_b32_e32 v74, v74, v211
	v_and_b32_e32 v211, v72, v4
	v_lshlrev_b32_e32 v4, 24, v71
	v_cmp_gt_i64_e32 vcc, 0, v[3:4]
	v_not_b32_e32 v4, v4
	v_ashrrev_i32_e32 v4, 31, v4
	v_mul_u32_u24_e32 v73, 20, v71
	v_xor_b32_e32 v71, vcc_hi, v4
	v_xor_b32_e32 v4, vcc_lo, v4
	v_and_b32_e32 v72, v74, v71
	v_and_b32_e32 v71, v211, v4
	v_mbcnt_lo_u32_b32 v4, v71, 0
	v_mbcnt_hi_u32_b32 v211, v72, v4
	v_cmp_ne_u64_e32 vcc, 0, v[71:72]
	v_cmp_eq_u32_e64 s[36:37], 0, v211
	s_and_b64 s[38:39], vcc, s[36:37]
	v_add_u32_e32 v213, v174, v73
	; wave barrier
	s_and_saveexec_b64 s[36:37], s[38:39]
	s_cbranch_execz .LBB1255_453
; %bb.452:                              ;   in Loop: Header=BB1255_393 Depth=2
	v_bcnt_u32_b32 v4, v71, 0
	v_bcnt_u32_b32 v4, v72, v4
	s_waitcnt lgkmcnt(0)
	v_add_u32_e32 v4, v209, v4
	ds_write_b32 v213, v4 offset:1040
.LBB1255_453:                           ;   in Loop: Header=BB1255_393 Depth=2
	s_or_b64 exec, exec, s[36:37]
	v_cmp_lt_i64_e32 vcc, -1, v[53:54]
	v_ashrrev_i32_e32 v71, 31, v54
	v_cndmask_b32_e32 v4, -1, v135, vcc
	v_xor_b32_e32 v54, v4, v54
	v_xor_b32_e32 v53, v71, v53
	v_cmp_ne_u64_e32 vcc, s[82:83], v[53:54]
	v_cndmask_b32_e32 v72, v135, v54, vcc
	v_cndmask_b32_e32 v71, 0, v53, vcc
	v_lshrrev_b64 v[71:72], s95, v[71:72]
	; wave barrier
	v_and_b32_e32 v71, s97, v71
	v_mad_u32_u24 v4, v71, 20, v174
	ds_read_b32 v212, v4 offset:1040
	v_and_b32_e32 v4, 1, v71
	v_add_co_u32_e32 v72, vcc, -1, v4
	v_addc_co_u32_e64 v74, s[36:37], 0, -1, vcc
	v_cmp_ne_u32_e32 vcc, 0, v4
	v_xor_b32_e32 v4, vcc_hi, v74
	v_and_b32_e32 v74, exec_hi, v4
	v_lshlrev_b32_e32 v4, 30, v71
	v_xor_b32_e32 v72, vcc_lo, v72
	v_cmp_gt_i64_e32 vcc, 0, v[3:4]
	v_not_b32_e32 v4, v4
	v_ashrrev_i32_e32 v4, 31, v4
	v_and_b32_e32 v72, exec_lo, v72
	v_xor_b32_e32 v214, vcc_hi, v4
	v_xor_b32_e32 v4, vcc_lo, v4
	v_and_b32_e32 v72, v72, v4
	v_lshlrev_b32_e32 v4, 29, v71
	v_cmp_gt_i64_e32 vcc, 0, v[3:4]
	v_not_b32_e32 v4, v4
	v_ashrrev_i32_e32 v4, 31, v4
	v_and_b32_e32 v74, v74, v214
	v_xor_b32_e32 v214, vcc_hi, v4
	v_xor_b32_e32 v4, vcc_lo, v4
	v_and_b32_e32 v72, v72, v4
	v_lshlrev_b32_e32 v4, 28, v71
	v_cmp_gt_i64_e32 vcc, 0, v[3:4]
	v_not_b32_e32 v4, v4
	v_ashrrev_i32_e32 v4, 31, v4
	v_and_b32_e32 v74, v74, v214
	;; [unrolled: 8-line block ×5, first 2 shown]
	v_xor_b32_e32 v214, vcc_hi, v4
	v_xor_b32_e32 v4, vcc_lo, v4
	v_and_b32_e32 v74, v74, v214
	v_and_b32_e32 v214, v72, v4
	v_lshlrev_b32_e32 v4, 24, v71
	v_cmp_gt_i64_e32 vcc, 0, v[3:4]
	v_not_b32_e32 v4, v4
	v_ashrrev_i32_e32 v4, 31, v4
	v_mul_u32_u24_e32 v73, 20, v71
	v_xor_b32_e32 v71, vcc_hi, v4
	v_xor_b32_e32 v4, vcc_lo, v4
	v_and_b32_e32 v72, v74, v71
	v_and_b32_e32 v71, v214, v4
	v_mbcnt_lo_u32_b32 v4, v71, 0
	v_mbcnt_hi_u32_b32 v214, v72, v4
	v_cmp_ne_u64_e32 vcc, 0, v[71:72]
	v_cmp_eq_u32_e64 s[36:37], 0, v214
	s_and_b64 s[38:39], vcc, s[36:37]
	v_add_u32_e32 v216, v174, v73
	; wave barrier
	s_and_saveexec_b64 s[36:37], s[38:39]
	s_cbranch_execz .LBB1255_455
; %bb.454:                              ;   in Loop: Header=BB1255_393 Depth=2
	v_bcnt_u32_b32 v4, v71, 0
	v_bcnt_u32_b32 v4, v72, v4
	s_waitcnt lgkmcnt(0)
	v_add_u32_e32 v4, v212, v4
	ds_write_b32 v216, v4 offset:1040
.LBB1255_455:                           ;   in Loop: Header=BB1255_393 Depth=2
	s_or_b64 exec, exec, s[36:37]
	v_cmp_lt_i64_e32 vcc, -1, v[49:50]
	v_ashrrev_i32_e32 v71, 31, v50
	v_cndmask_b32_e32 v4, -1, v135, vcc
	v_xor_b32_e32 v50, v4, v50
	v_xor_b32_e32 v49, v71, v49
	v_cmp_ne_u64_e32 vcc, s[82:83], v[49:50]
	v_cndmask_b32_e32 v72, v135, v50, vcc
	v_cndmask_b32_e32 v71, 0, v49, vcc
	v_lshrrev_b64 v[71:72], s95, v[71:72]
	; wave barrier
	v_and_b32_e32 v71, s97, v71
	v_mad_u32_u24 v4, v71, 20, v174
	ds_read_b32 v215, v4 offset:1040
	v_and_b32_e32 v4, 1, v71
	v_add_co_u32_e32 v72, vcc, -1, v4
	v_addc_co_u32_e64 v74, s[36:37], 0, -1, vcc
	v_cmp_ne_u32_e32 vcc, 0, v4
	v_xor_b32_e32 v4, vcc_hi, v74
	v_and_b32_e32 v74, exec_hi, v4
	v_lshlrev_b32_e32 v4, 30, v71
	v_xor_b32_e32 v72, vcc_lo, v72
	v_cmp_gt_i64_e32 vcc, 0, v[3:4]
	v_not_b32_e32 v4, v4
	v_ashrrev_i32_e32 v4, 31, v4
	v_and_b32_e32 v72, exec_lo, v72
	v_xor_b32_e32 v217, vcc_hi, v4
	v_xor_b32_e32 v4, vcc_lo, v4
	v_and_b32_e32 v72, v72, v4
	v_lshlrev_b32_e32 v4, 29, v71
	v_cmp_gt_i64_e32 vcc, 0, v[3:4]
	v_not_b32_e32 v4, v4
	v_ashrrev_i32_e32 v4, 31, v4
	v_and_b32_e32 v74, v74, v217
	v_xor_b32_e32 v217, vcc_hi, v4
	v_xor_b32_e32 v4, vcc_lo, v4
	v_and_b32_e32 v72, v72, v4
	v_lshlrev_b32_e32 v4, 28, v71
	v_cmp_gt_i64_e32 vcc, 0, v[3:4]
	v_not_b32_e32 v4, v4
	v_ashrrev_i32_e32 v4, 31, v4
	v_and_b32_e32 v74, v74, v217
	v_xor_b32_e32 v217, vcc_hi, v4
	v_xor_b32_e32 v4, vcc_lo, v4
	v_and_b32_e32 v72, v72, v4
	v_lshlrev_b32_e32 v4, 27, v71
	v_cmp_gt_i64_e32 vcc, 0, v[3:4]
	v_not_b32_e32 v4, v4
	v_ashrrev_i32_e32 v4, 31, v4
	v_and_b32_e32 v74, v74, v217
	v_xor_b32_e32 v217, vcc_hi, v4
	v_xor_b32_e32 v4, vcc_lo, v4
	v_and_b32_e32 v72, v72, v4
	v_lshlrev_b32_e32 v4, 26, v71
	v_cmp_gt_i64_e32 vcc, 0, v[3:4]
	v_not_b32_e32 v4, v4
	v_ashrrev_i32_e32 v4, 31, v4
	v_and_b32_e32 v74, v74, v217
	v_xor_b32_e32 v217, vcc_hi, v4
	v_xor_b32_e32 v4, vcc_lo, v4
	v_and_b32_e32 v72, v72, v4
	v_lshlrev_b32_e32 v4, 25, v71
	v_cmp_gt_i64_e32 vcc, 0, v[3:4]
	v_not_b32_e32 v4, v4
	v_ashrrev_i32_e32 v4, 31, v4
	v_and_b32_e32 v74, v74, v217
	v_xor_b32_e32 v217, vcc_hi, v4
	v_xor_b32_e32 v4, vcc_lo, v4
	v_and_b32_e32 v74, v74, v217
	v_and_b32_e32 v217, v72, v4
	v_lshlrev_b32_e32 v4, 24, v71
	v_cmp_gt_i64_e32 vcc, 0, v[3:4]
	v_not_b32_e32 v4, v4
	v_ashrrev_i32_e32 v4, 31, v4
	v_mul_u32_u24_e32 v73, 20, v71
	v_xor_b32_e32 v71, vcc_hi, v4
	v_xor_b32_e32 v4, vcc_lo, v4
	v_and_b32_e32 v72, v74, v71
	v_and_b32_e32 v71, v217, v4
	v_mbcnt_lo_u32_b32 v4, v71, 0
	v_mbcnt_hi_u32_b32 v217, v72, v4
	v_cmp_ne_u64_e32 vcc, 0, v[71:72]
	v_cmp_eq_u32_e64 s[36:37], 0, v217
	s_and_b64 s[38:39], vcc, s[36:37]
	v_add_u32_e32 v219, v174, v73
	; wave barrier
	s_and_saveexec_b64 s[36:37], s[38:39]
	s_cbranch_execz .LBB1255_457
; %bb.456:                              ;   in Loop: Header=BB1255_393 Depth=2
	v_bcnt_u32_b32 v4, v71, 0
	v_bcnt_u32_b32 v4, v72, v4
	s_waitcnt lgkmcnt(0)
	v_add_u32_e32 v4, v215, v4
	ds_write_b32 v219, v4 offset:1040
.LBB1255_457:                           ;   in Loop: Header=BB1255_393 Depth=2
	s_or_b64 exec, exec, s[36:37]
	v_cmp_lt_i64_e32 vcc, -1, v[43:44]
	v_ashrrev_i32_e32 v71, 31, v44
	v_cndmask_b32_e32 v4, -1, v135, vcc
	v_xor_b32_e32 v44, v4, v44
	v_xor_b32_e32 v43, v71, v43
	v_cmp_ne_u64_e32 vcc, s[82:83], v[43:44]
	v_cndmask_b32_e32 v72, v135, v44, vcc
	v_cndmask_b32_e32 v71, 0, v43, vcc
	v_lshrrev_b64 v[71:72], s95, v[71:72]
	; wave barrier
	v_and_b32_e32 v71, s97, v71
	v_mad_u32_u24 v4, v71, 20, v174
	ds_read_b32 v218, v4 offset:1040
	v_and_b32_e32 v4, 1, v71
	v_add_co_u32_e32 v72, vcc, -1, v4
	v_addc_co_u32_e64 v74, s[36:37], 0, -1, vcc
	v_cmp_ne_u32_e32 vcc, 0, v4
	v_xor_b32_e32 v4, vcc_hi, v74
	v_and_b32_e32 v74, exec_hi, v4
	v_lshlrev_b32_e32 v4, 30, v71
	v_xor_b32_e32 v72, vcc_lo, v72
	v_cmp_gt_i64_e32 vcc, 0, v[3:4]
	v_not_b32_e32 v4, v4
	v_ashrrev_i32_e32 v4, 31, v4
	v_and_b32_e32 v72, exec_lo, v72
	v_xor_b32_e32 v220, vcc_hi, v4
	v_xor_b32_e32 v4, vcc_lo, v4
	v_and_b32_e32 v72, v72, v4
	v_lshlrev_b32_e32 v4, 29, v71
	v_cmp_gt_i64_e32 vcc, 0, v[3:4]
	v_not_b32_e32 v4, v4
	v_ashrrev_i32_e32 v4, 31, v4
	v_and_b32_e32 v74, v74, v220
	v_xor_b32_e32 v220, vcc_hi, v4
	v_xor_b32_e32 v4, vcc_lo, v4
	v_and_b32_e32 v72, v72, v4
	v_lshlrev_b32_e32 v4, 28, v71
	v_cmp_gt_i64_e32 vcc, 0, v[3:4]
	v_not_b32_e32 v4, v4
	v_ashrrev_i32_e32 v4, 31, v4
	v_and_b32_e32 v74, v74, v220
	;; [unrolled: 8-line block ×5, first 2 shown]
	v_xor_b32_e32 v220, vcc_hi, v4
	v_xor_b32_e32 v4, vcc_lo, v4
	v_and_b32_e32 v74, v74, v220
	v_and_b32_e32 v220, v72, v4
	v_lshlrev_b32_e32 v4, 24, v71
	v_cmp_gt_i64_e32 vcc, 0, v[3:4]
	v_not_b32_e32 v4, v4
	v_ashrrev_i32_e32 v4, 31, v4
	v_mul_u32_u24_e32 v73, 20, v71
	v_xor_b32_e32 v71, vcc_hi, v4
	v_xor_b32_e32 v4, vcc_lo, v4
	v_and_b32_e32 v72, v74, v71
	v_and_b32_e32 v71, v220, v4
	v_mbcnt_lo_u32_b32 v4, v71, 0
	v_mbcnt_hi_u32_b32 v220, v72, v4
	v_cmp_ne_u64_e32 vcc, 0, v[71:72]
	v_cmp_eq_u32_e64 s[36:37], 0, v220
	s_and_b64 s[38:39], vcc, s[36:37]
	v_add_u32_e32 v222, v174, v73
	; wave barrier
	s_and_saveexec_b64 s[36:37], s[38:39]
	s_cbranch_execz .LBB1255_459
; %bb.458:                              ;   in Loop: Header=BB1255_393 Depth=2
	v_bcnt_u32_b32 v4, v71, 0
	v_bcnt_u32_b32 v4, v72, v4
	s_waitcnt lgkmcnt(0)
	v_add_u32_e32 v4, v218, v4
	ds_write_b32 v222, v4 offset:1040
.LBB1255_459:                           ;   in Loop: Header=BB1255_393 Depth=2
	s_or_b64 exec, exec, s[36:37]
	v_cmp_lt_i64_e32 vcc, -1, v[45:46]
	v_ashrrev_i32_e32 v71, 31, v46
	v_cndmask_b32_e32 v4, -1, v135, vcc
	v_xor_b32_e32 v46, v4, v46
	v_xor_b32_e32 v45, v71, v45
	v_cmp_ne_u64_e32 vcc, s[82:83], v[45:46]
	v_cndmask_b32_e32 v72, v135, v46, vcc
	v_cndmask_b32_e32 v71, 0, v45, vcc
	v_lshrrev_b64 v[71:72], s95, v[71:72]
	; wave barrier
	v_and_b32_e32 v71, s97, v71
	v_mad_u32_u24 v4, v71, 20, v174
	ds_read_b32 v221, v4 offset:1040
	v_and_b32_e32 v4, 1, v71
	v_add_co_u32_e32 v72, vcc, -1, v4
	v_addc_co_u32_e64 v74, s[36:37], 0, -1, vcc
	v_cmp_ne_u32_e32 vcc, 0, v4
	v_xor_b32_e32 v4, vcc_hi, v74
	v_and_b32_e32 v74, exec_hi, v4
	v_lshlrev_b32_e32 v4, 30, v71
	v_xor_b32_e32 v72, vcc_lo, v72
	v_cmp_gt_i64_e32 vcc, 0, v[3:4]
	v_not_b32_e32 v4, v4
	v_ashrrev_i32_e32 v4, 31, v4
	v_and_b32_e32 v72, exec_lo, v72
	v_xor_b32_e32 v223, vcc_hi, v4
	v_xor_b32_e32 v4, vcc_lo, v4
	v_and_b32_e32 v72, v72, v4
	v_lshlrev_b32_e32 v4, 29, v71
	v_cmp_gt_i64_e32 vcc, 0, v[3:4]
	v_not_b32_e32 v4, v4
	v_ashrrev_i32_e32 v4, 31, v4
	v_and_b32_e32 v74, v74, v223
	v_xor_b32_e32 v223, vcc_hi, v4
	v_xor_b32_e32 v4, vcc_lo, v4
	v_and_b32_e32 v72, v72, v4
	v_lshlrev_b32_e32 v4, 28, v71
	v_cmp_gt_i64_e32 vcc, 0, v[3:4]
	v_not_b32_e32 v4, v4
	v_ashrrev_i32_e32 v4, 31, v4
	v_and_b32_e32 v74, v74, v223
	;; [unrolled: 8-line block ×5, first 2 shown]
	v_xor_b32_e32 v223, vcc_hi, v4
	v_xor_b32_e32 v4, vcc_lo, v4
	v_and_b32_e32 v74, v74, v223
	v_and_b32_e32 v223, v72, v4
	v_lshlrev_b32_e32 v4, 24, v71
	v_cmp_gt_i64_e32 vcc, 0, v[3:4]
	v_not_b32_e32 v4, v4
	v_ashrrev_i32_e32 v4, 31, v4
	v_mul_u32_u24_e32 v73, 20, v71
	v_xor_b32_e32 v71, vcc_hi, v4
	v_xor_b32_e32 v4, vcc_lo, v4
	v_and_b32_e32 v72, v74, v71
	v_and_b32_e32 v71, v223, v4
	v_mbcnt_lo_u32_b32 v4, v71, 0
	v_mbcnt_hi_u32_b32 v223, v72, v4
	v_cmp_ne_u64_e32 vcc, 0, v[71:72]
	v_cmp_eq_u32_e64 s[36:37], 0, v223
	s_and_b64 s[38:39], vcc, s[36:37]
	v_add_u32_e32 v4, v174, v73
	; wave barrier
	s_and_saveexec_b64 s[36:37], s[38:39]
	s_cbranch_execz .LBB1255_461
; %bb.460:                              ;   in Loop: Header=BB1255_393 Depth=2
	v_bcnt_u32_b32 v71, v71, 0
	v_bcnt_u32_b32 v71, v72, v71
	s_waitcnt lgkmcnt(0)
	v_add_u32_e32 v71, v221, v71
	ds_write_b32 v4, v71 offset:1040
.LBB1255_461:                           ;   in Loop: Header=BB1255_393 Depth=2
	s_or_b64 exec, exec, s[36:37]
	; wave barrier
	s_waitcnt lgkmcnt(0)
	s_barrier
	ds_read2_b32 v[73:74], v177 offset1:1
	ds_read2_b32 v[71:72], v176 offset1:1
	ds_read_b32 v224, v100 offset:1056
	s_waitcnt lgkmcnt(1)
	v_add3_u32 v225, v74, v73, v71
	s_waitcnt lgkmcnt(0)
	v_add3_u32 v224, v225, v72, v224
	s_nop 1
	v_mov_b32_dpp v225, v224 row_shr:1 row_mask:0xf bank_mask:0xf
	v_cndmask_b32_e64 v225, v225, 0, s[16:17]
	v_add_u32_e32 v224, v225, v224
	s_nop 1
	v_mov_b32_dpp v225, v224 row_shr:2 row_mask:0xf bank_mask:0xf
	v_cndmask_b32_e64 v225, 0, v225, s[18:19]
	v_add_u32_e32 v224, v224, v225
	;; [unrolled: 4-line block ×4, first 2 shown]
	s_nop 1
	v_mov_b32_dpp v225, v224 row_bcast:15 row_mask:0xf bank_mask:0xf
	v_cndmask_b32_e64 v225, v225, 0, s[24:25]
	v_add_u32_e32 v224, v224, v225
	s_nop 1
	v_mov_b32_dpp v225, v224 row_bcast:31 row_mask:0xf bank_mask:0xf
	v_cndmask_b32_e64 v225, 0, v225, s[26:27]
	v_add_u32_e32 v224, v224, v225
	s_and_saveexec_b64 s[36:37], s[6:7]
; %bb.462:                              ;   in Loop: Header=BB1255_393 Depth=2
	ds_write_b32 v95, v224 offset:1024
; %bb.463:                              ;   in Loop: Header=BB1255_393 Depth=2
	s_or_b64 exec, exec, s[36:37]
	s_waitcnt lgkmcnt(0)
	s_barrier
	s_and_saveexec_b64 s[36:37], s[8:9]
	s_cbranch_execz .LBB1255_465
; %bb.464:                              ;   in Loop: Header=BB1255_393 Depth=2
	ds_read_b32 v225, v101 offset:1024
	s_waitcnt lgkmcnt(0)
	s_nop 0
	v_mov_b32_dpp v226, v225 row_shr:1 row_mask:0xf bank_mask:0xf
	v_cndmask_b32_e64 v226, v226, 0, s[30:31]
	v_add_u32_e32 v225, v226, v225
	s_nop 1
	v_mov_b32_dpp v226, v225 row_shr:2 row_mask:0xf bank_mask:0xf
	v_cndmask_b32_e64 v226, 0, v226, s[34:35]
	v_add_u32_e32 v225, v225, v226
	ds_write_b32 v101, v225 offset:1024
.LBB1255_465:                           ;   in Loop: Header=BB1255_393 Depth=2
	s_or_b64 exec, exec, s[36:37]
	v_mov_b32_e32 v225, 0
	s_waitcnt lgkmcnt(0)
	s_barrier
	s_and_saveexec_b64 s[36:37], s[10:11]
; %bb.466:                              ;   in Loop: Header=BB1255_393 Depth=2
	ds_read_b32 v225, v95 offset:1020
; %bb.467:                              ;   in Loop: Header=BB1255_393 Depth=2
	s_or_b64 exec, exec, s[36:37]
	s_waitcnt lgkmcnt(0)
	v_add_u32_e32 v224, v225, v224
	ds_bpermute_b32 v224, v137, v224
	s_waitcnt lgkmcnt(0)
	v_cndmask_b32_e64 v224, v224, v225, s[28:29]
	v_cndmask_b32_e64 v224, v224, 0, s[12:13]
	v_add_u32_e32 v73, v224, v73
	v_add_u32_e32 v74, v73, v74
	;; [unrolled: 1-line block ×4, first 2 shown]
	ds_write2_b32 v177, v224, v73 offset1:1
	ds_write2_b32 v176, v74, v71 offset1:1
	ds_write_b32 v100, v72 offset:1056
	s_waitcnt lgkmcnt(0)
	s_barrier
	ds_read_b32 v71, v180 offset:1040
	ds_read_b32 v72, v183 offset:1040
	;; [unrolled: 1-line block ×17, first 2 shown]
	v_mov_b32_e32 v4, 0x1000
	s_and_saveexec_b64 s[36:37], s[14:15]
; %bb.468:                              ;   in Loop: Header=BB1255_393 Depth=2
	ds_read_b32 v4, v100 offset:1060
; %bb.469:                              ;   in Loop: Header=BB1255_393 Depth=2
	s_or_b64 exec, exec, s[36:37]
	s_waitcnt lgkmcnt(0)
	s_barrier
	s_and_saveexec_b64 s[36:37], s[4:5]
	s_cbranch_execz .LBB1255_471
; %bb.470:                              ;   in Loop: Header=BB1255_393 Depth=2
	ds_read_b32 v201, v75
	s_waitcnt lgkmcnt(0)
	v_sub_u32_e32 v198, v201, v198
	ds_write_b32 v75, v198
.LBB1255_471:                           ;   in Loop: Header=BB1255_393 Depth=2
	s_or_b64 exec, exec, s[36:37]
	v_lshlrev_b32_e32 v178, 3, v178
	v_lshl_add_u32 v71, v71, 3, v178
	ds_write_b64 v71, v[39:40] offset:1024
	v_lshlrev_b32_e32 v39, 3, v181
	v_lshlrev_b32_e32 v40, 3, v179
	;; [unrolled: 1-line block ×3, first 2 shown]
	v_add3_u32 v72, v39, v40, v72
	ds_write_b64 v72, v[41:42] offset:1024
	v_lshlrev_b32_e32 v39, 3, v184
	v_lshlrev_b32_e32 v40, 3, v182
	v_lshlrev_b32_e32 v41, 3, v227
	v_add3_u32 v41, v39, v40, v41
	v_lshlrev_b32_e32 v39, 3, v187
	v_lshlrev_b32_e32 v40, 3, v185
	v_lshlrev_b32_e32 v42, 3, v226
	ds_write_b64 v41, v[47:48] offset:1024
	v_add3_u32 v42, v39, v40, v42
	v_lshlrev_b32_e32 v39, 3, v190
	v_lshlrev_b32_e32 v40, 3, v188
	v_lshlrev_b32_e32 v47, 3, v225
	v_add3_u32 v47, v39, v40, v47
	v_lshlrev_b32_e32 v39, 3, v193
	v_lshlrev_b32_e32 v40, 3, v191
	v_lshlrev_b32_e32 v48, 3, v224
	ds_write_b64 v42, v[51:52] offset:1024
	v_add3_u32 v48, v39, v40, v48
	;; [unrolled: 9-line block ×4, first 2 shown]
	v_lshlrev_b32_e32 v39, 3, v208
	v_lshlrev_b32_e32 v40, 3, v206
	;; [unrolled: 1-line block ×3, first 2 shown]
	v_add3_u32 v59, v39, v40, v59
	v_lshlrev_b32_e32 v39, 3, v211
	v_lshlrev_b32_e32 v40, 3, v209
	;; [unrolled: 1-line block ×3, first 2 shown]
	v_add3_u32 v60, v39, v40, v60
	ds_write_b64 v51, v[63:64] offset:1024
	ds_write_b64 v52, v[67:68] offset:1024
	;; [unrolled: 1-line block ×6, first 2 shown]
	v_lshlrev_b32_e32 v39, 3, v214
	v_lshlrev_b32_e32 v40, 3, v212
	v_lshlrev_b32_e32 v57, 3, v177
	v_add3_u32 v57, v39, v40, v57
	ds_write_b64 v57, v[53:54] offset:1024
	v_lshlrev_b32_e32 v39, 3, v217
	v_lshlrev_b32_e32 v40, 3, v215
	v_lshlrev_b32_e32 v53, 3, v176
	v_add3_u32 v53, v39, v40, v53
	ds_write_b64 v53, v[49:50] offset:1024
	;; [unrolled: 5-line block ×3, first 2 shown]
	v_lshlrev_b32_e32 v39, 3, v223
	v_lshlrev_b32_e32 v40, 3, v221
	;; [unrolled: 1-line block ×3, first 2 shown]
	v_add3_u32 v43, v39, v40, v43
	v_cmp_lt_u32_e64 s[36:37], v0, v175
	ds_write_b64 v43, v[45:46] offset:1024
	s_waitcnt lgkmcnt(0)
	s_barrier
	s_and_saveexec_b64 s[38:39], s[36:37]
	s_cbranch_execnz .LBB1255_540
; %bb.472:                              ;   in Loop: Header=BB1255_393 Depth=2
	s_or_b64 exec, exec, s[38:39]
	v_cmp_lt_u32_e64 s[38:39], v76, v175
	s_and_saveexec_b64 s[40:41], s[38:39]
	s_cbranch_execnz .LBB1255_541
.LBB1255_473:                           ;   in Loop: Header=BB1255_393 Depth=2
	s_or_b64 exec, exec, s[40:41]
	v_cmp_lt_u32_e64 s[40:41], v77, v175
	s_and_saveexec_b64 s[42:43], s[40:41]
	s_cbranch_execnz .LBB1255_542
.LBB1255_474:                           ;   in Loop: Header=BB1255_393 Depth=2
	s_or_b64 exec, exec, s[42:43]
	v_cmp_lt_u32_e64 s[42:43], v78, v175
	s_and_saveexec_b64 s[44:45], s[42:43]
	s_cbranch_execnz .LBB1255_543
.LBB1255_475:                           ;   in Loop: Header=BB1255_393 Depth=2
	s_or_b64 exec, exec, s[44:45]
	v_cmp_lt_u32_e64 s[44:45], v81, v175
	s_and_saveexec_b64 s[46:47], s[44:45]
	s_cbranch_execnz .LBB1255_544
.LBB1255_476:                           ;   in Loop: Header=BB1255_393 Depth=2
	s_or_b64 exec, exec, s[46:47]
	v_cmp_lt_u32_e64 s[46:47], v82, v175
	s_and_saveexec_b64 s[48:49], s[46:47]
	s_cbranch_execnz .LBB1255_545
.LBB1255_477:                           ;   in Loop: Header=BB1255_393 Depth=2
	s_or_b64 exec, exec, s[48:49]
	v_cmp_lt_u32_e64 s[48:49], v83, v175
	s_and_saveexec_b64 s[50:51], s[48:49]
	s_cbranch_execnz .LBB1255_546
.LBB1255_478:                           ;   in Loop: Header=BB1255_393 Depth=2
	s_or_b64 exec, exec, s[50:51]
	v_cmp_lt_u32_e64 s[50:51], v84, v175
	s_and_saveexec_b64 s[52:53], s[50:51]
	s_cbranch_execnz .LBB1255_547
.LBB1255_479:                           ;   in Loop: Header=BB1255_393 Depth=2
	s_or_b64 exec, exec, s[52:53]
	v_cmp_lt_u32_e64 s[52:53], v85, v175
	s_and_saveexec_b64 s[54:55], s[52:53]
	s_cbranch_execnz .LBB1255_548
.LBB1255_480:                           ;   in Loop: Header=BB1255_393 Depth=2
	s_or_b64 exec, exec, s[54:55]
	v_cmp_lt_u32_e64 s[54:55], v86, v175
	s_and_saveexec_b64 s[56:57], s[54:55]
	s_cbranch_execnz .LBB1255_549
.LBB1255_481:                           ;   in Loop: Header=BB1255_393 Depth=2
	s_or_b64 exec, exec, s[56:57]
	v_cmp_lt_u32_e64 s[56:57], v87, v175
	s_and_saveexec_b64 s[58:59], s[56:57]
	s_cbranch_execnz .LBB1255_550
.LBB1255_482:                           ;   in Loop: Header=BB1255_393 Depth=2
	s_or_b64 exec, exec, s[58:59]
	v_cmp_lt_u32_e64 s[58:59], v88, v175
	s_and_saveexec_b64 s[60:61], s[58:59]
	s_cbranch_execnz .LBB1255_551
.LBB1255_483:                           ;   in Loop: Header=BB1255_393 Depth=2
	s_or_b64 exec, exec, s[60:61]
	v_cmp_lt_u32_e64 s[60:61], v89, v175
	s_and_saveexec_b64 s[62:63], s[60:61]
	s_cbranch_execnz .LBB1255_552
.LBB1255_484:                           ;   in Loop: Header=BB1255_393 Depth=2
	s_or_b64 exec, exec, s[62:63]
	v_cmp_lt_u32_e64 s[62:63], v90, v175
	s_and_saveexec_b64 s[64:65], s[62:63]
	s_cbranch_execnz .LBB1255_553
.LBB1255_485:                           ;   in Loop: Header=BB1255_393 Depth=2
	s_or_b64 exec, exec, s[64:65]
	v_cmp_lt_u32_e64 s[64:65], v91, v175
	s_and_saveexec_b64 s[66:67], s[64:65]
	s_cbranch_execnz .LBB1255_554
.LBB1255_486:                           ;   in Loop: Header=BB1255_393 Depth=2
	s_or_b64 exec, exec, s[66:67]
	v_cmp_lt_u32_e64 s[66:67], v92, v175
	s_and_saveexec_b64 s[92:93], s[66:67]
	s_cbranch_execz .LBB1255_488
.LBB1255_487:                           ;   in Loop: Header=BB1255_393 Depth=2
	ds_read_b64 v[39:40], v106 offset:31744
	v_mov_b32_e32 v45, v3
	v_mov_b32_e32 v46, s81
	s_waitcnt lgkmcnt(0)
	v_cmp_ne_u64_e32 vcc, s[82:83], v[39:40]
	v_ashrrev_i32_e32 v54, 31, v40
	v_cndmask_b32_e32 v62, v135, v40, vcc
	v_cndmask_b32_e32 v61, 0, v39, vcc
	v_lshrrev_b64 v[61:62], s95, v[61:62]
	v_cmp_lt_i64_e32 vcc, -1, v[39:40]
	v_and_b32_e32 v50, s97, v61
	v_lshlrev_b32_e32 v50, 2, v50
	ds_read_b32 v50, v50
	v_cndmask_b32_e64 v44, v135, -1, vcc
	v_xor_b32_e32 v40, v44, v40
	v_not_b32_e32 v54, v54
	v_xor_b32_e32 v39, v54, v39
	s_waitcnt lgkmcnt(0)
	v_add_u32_e32 v44, v50, v92
	v_lshlrev_b64 v[44:45], 3, v[44:45]
	v_add_co_u32_e32 v44, vcc, s80, v44
	v_addc_co_u32_e32 v45, vcc, v46, v45, vcc
	global_store_dwordx2 v[44:45], v[39:40], off
.LBB1255_488:                           ;   in Loop: Header=BB1255_393 Depth=2
	s_or_b64 exec, exec, s[92:93]
	s_lshl_b64 s[92:93], s[72:73], 3
	v_mov_b32_e32 v40, s93
	v_add_co_u32_e32 v39, vcc, s92, v147
	v_addc_co_u32_e32 v40, vcc, v149, v40, vcc
	v_cmp_lt_u32_e32 vcc, v145, v175
	s_and_saveexec_b64 s[92:93], vcc
	s_xor_b64 s[92:93], exec, s[92:93]
	s_cbranch_execnz .LBB1255_555
; %bb.489:                              ;   in Loop: Header=BB1255_393 Depth=2
	s_or_b64 exec, exec, s[92:93]
	v_cmp_lt_u32_e32 vcc, v151, v175
	s_and_saveexec_b64 s[92:93], vcc
	s_cbranch_execnz .LBB1255_556
.LBB1255_490:                           ;   in Loop: Header=BB1255_393 Depth=2
	s_or_b64 exec, exec, s[92:93]
	v_cmp_lt_u32_e32 vcc, v153, v175
	s_and_saveexec_b64 s[92:93], vcc
	s_cbranch_execnz .LBB1255_557
.LBB1255_491:                           ;   in Loop: Header=BB1255_393 Depth=2
	s_or_b64 exec, exec, s[92:93]
	v_cmp_lt_u32_e32 vcc, v155, v175
	s_and_saveexec_b64 s[92:93], vcc
	s_cbranch_execnz .LBB1255_558
.LBB1255_492:                           ;   in Loop: Header=BB1255_393 Depth=2
	s_or_b64 exec, exec, s[92:93]
	v_cmp_lt_u32_e32 vcc, v157, v175
	s_and_saveexec_b64 s[92:93], vcc
	s_cbranch_execnz .LBB1255_559
.LBB1255_493:                           ;   in Loop: Header=BB1255_393 Depth=2
	s_or_b64 exec, exec, s[92:93]
	v_cmp_lt_u32_e32 vcc, v159, v175
	s_and_saveexec_b64 s[92:93], vcc
	s_cbranch_execnz .LBB1255_560
.LBB1255_494:                           ;   in Loop: Header=BB1255_393 Depth=2
	s_or_b64 exec, exec, s[92:93]
	v_cmp_lt_u32_e32 vcc, v161, v175
	s_and_saveexec_b64 s[92:93], vcc
	s_cbranch_execnz .LBB1255_561
.LBB1255_495:                           ;   in Loop: Header=BB1255_393 Depth=2
	s_or_b64 exec, exec, s[92:93]
	v_cmp_lt_u32_e32 vcc, v163, v175
	s_and_saveexec_b64 s[92:93], vcc
	s_cbranch_execnz .LBB1255_562
.LBB1255_496:                           ;   in Loop: Header=BB1255_393 Depth=2
	s_or_b64 exec, exec, s[92:93]
	v_cmp_lt_u32_e32 vcc, v164, v175
	s_and_saveexec_b64 s[92:93], vcc
	s_cbranch_execnz .LBB1255_563
.LBB1255_497:                           ;   in Loop: Header=BB1255_393 Depth=2
	s_or_b64 exec, exec, s[92:93]
	v_cmp_lt_u32_e32 vcc, v165, v175
	s_and_saveexec_b64 s[92:93], vcc
	s_cbranch_execnz .LBB1255_564
.LBB1255_498:                           ;   in Loop: Header=BB1255_393 Depth=2
	s_or_b64 exec, exec, s[92:93]
	v_cmp_lt_u32_e32 vcc, v166, v175
	s_and_saveexec_b64 s[92:93], vcc
	s_cbranch_execnz .LBB1255_565
.LBB1255_499:                           ;   in Loop: Header=BB1255_393 Depth=2
	s_or_b64 exec, exec, s[92:93]
	v_cmp_lt_u32_e32 vcc, v167, v175
	s_and_saveexec_b64 s[92:93], vcc
	s_cbranch_execnz .LBB1255_566
.LBB1255_500:                           ;   in Loop: Header=BB1255_393 Depth=2
	s_or_b64 exec, exec, s[92:93]
	v_cmp_lt_u32_e32 vcc, v168, v175
	s_and_saveexec_b64 s[92:93], vcc
	s_cbranch_execnz .LBB1255_567
.LBB1255_501:                           ;   in Loop: Header=BB1255_393 Depth=2
	s_or_b64 exec, exec, s[92:93]
	v_cmp_lt_u32_e32 vcc, v169, v175
	s_and_saveexec_b64 s[92:93], vcc
	s_cbranch_execnz .LBB1255_568
.LBB1255_502:                           ;   in Loop: Header=BB1255_393 Depth=2
	s_or_b64 exec, exec, s[92:93]
	v_cmp_lt_u32_e32 vcc, v170, v175
	s_and_saveexec_b64 s[92:93], vcc
	s_cbranch_execnz .LBB1255_569
.LBB1255_503:                           ;   in Loop: Header=BB1255_393 Depth=2
	s_or_b64 exec, exec, s[92:93]
	v_cmp_lt_u32_e32 vcc, v171, v175
	s_and_saveexec_b64 s[92:93], vcc
	s_cbranch_execnz .LBB1255_570
.LBB1255_504:                           ;   in Loop: Header=BB1255_393 Depth=2
	s_or_b64 exec, exec, s[92:93]
	s_and_saveexec_b64 s[92:93], s[36:37]
	s_cbranch_execnz .LBB1255_571
.LBB1255_505:                           ;   in Loop: Header=BB1255_393 Depth=2
	s_or_b64 exec, exec, s[92:93]
	s_and_saveexec_b64 s[92:93], s[38:39]
	s_cbranch_execnz .LBB1255_572
.LBB1255_506:                           ;   in Loop: Header=BB1255_393 Depth=2
	s_or_b64 exec, exec, s[92:93]
	s_and_saveexec_b64 s[92:93], s[40:41]
	s_cbranch_execnz .LBB1255_573
.LBB1255_507:                           ;   in Loop: Header=BB1255_393 Depth=2
	s_or_b64 exec, exec, s[92:93]
	s_and_saveexec_b64 s[92:93], s[42:43]
	s_cbranch_execnz .LBB1255_574
.LBB1255_508:                           ;   in Loop: Header=BB1255_393 Depth=2
	s_or_b64 exec, exec, s[92:93]
	s_and_saveexec_b64 s[92:93], s[44:45]
	s_cbranch_execnz .LBB1255_575
.LBB1255_509:                           ;   in Loop: Header=BB1255_393 Depth=2
	s_or_b64 exec, exec, s[92:93]
	s_and_saveexec_b64 s[92:93], s[46:47]
	s_cbranch_execnz .LBB1255_576
.LBB1255_510:                           ;   in Loop: Header=BB1255_393 Depth=2
	s_or_b64 exec, exec, s[92:93]
	s_and_saveexec_b64 s[92:93], s[48:49]
	s_cbranch_execnz .LBB1255_577
.LBB1255_511:                           ;   in Loop: Header=BB1255_393 Depth=2
	s_or_b64 exec, exec, s[92:93]
	s_and_saveexec_b64 s[92:93], s[50:51]
	s_cbranch_execnz .LBB1255_578
.LBB1255_512:                           ;   in Loop: Header=BB1255_393 Depth=2
	s_or_b64 exec, exec, s[92:93]
	s_and_saveexec_b64 s[92:93], s[52:53]
	s_cbranch_execnz .LBB1255_579
.LBB1255_513:                           ;   in Loop: Header=BB1255_393 Depth=2
	s_or_b64 exec, exec, s[92:93]
	s_and_saveexec_b64 s[92:93], s[54:55]
	s_cbranch_execnz .LBB1255_580
.LBB1255_514:                           ;   in Loop: Header=BB1255_393 Depth=2
	s_or_b64 exec, exec, s[92:93]
	s_and_saveexec_b64 s[92:93], s[56:57]
	s_cbranch_execnz .LBB1255_581
.LBB1255_515:                           ;   in Loop: Header=BB1255_393 Depth=2
	s_or_b64 exec, exec, s[92:93]
	s_and_saveexec_b64 s[92:93], s[58:59]
	s_cbranch_execnz .LBB1255_582
.LBB1255_516:                           ;   in Loop: Header=BB1255_393 Depth=2
	s_or_b64 exec, exec, s[92:93]
	s_and_saveexec_b64 s[92:93], s[60:61]
	s_cbranch_execnz .LBB1255_583
.LBB1255_517:                           ;   in Loop: Header=BB1255_393 Depth=2
	s_or_b64 exec, exec, s[92:93]
	s_and_saveexec_b64 s[92:93], s[62:63]
	s_cbranch_execnz .LBB1255_584
.LBB1255_518:                           ;   in Loop: Header=BB1255_393 Depth=2
	s_or_b64 exec, exec, s[92:93]
	s_and_saveexec_b64 s[92:93], s[64:65]
	s_cbranch_execnz .LBB1255_585
.LBB1255_519:                           ;   in Loop: Header=BB1255_393 Depth=2
	s_or_b64 exec, exec, s[92:93]
	s_and_saveexec_b64 s[92:93], s[66:67]
	s_cbranch_execz .LBB1255_521
.LBB1255_520:                           ;   in Loop: Header=BB1255_393 Depth=2
	ds_read_b64 v[39:40], v106 offset:31744
	s_waitcnt lgkmcnt(0)
	v_cmp_ne_u64_e32 vcc, s[82:83], v[39:40]
	v_cndmask_b32_e32 v40, v135, v40, vcc
	v_cndmask_b32_e32 v39, 0, v39, vcc
	v_lshrrev_b64 v[39:40], s95, v[39:40]
	v_and_b32_e32 v138, s97, v39
.LBB1255_521:                           ;   in Loop: Header=BB1255_393 Depth=2
	s_or_b64 exec, exec, s[92:93]
	s_waitcnt vmcnt(0)
	s_barrier
	ds_write_b64 v71, v[37:38] offset:1024
	ds_write_b64 v72, v[35:36] offset:1024
	ds_write_b64 v41, v[33:34] offset:1024
	ds_write_b64 v42, v[29:30] offset:1024
	ds_write_b64 v47, v[25:26] offset:1024
	ds_write_b64 v48, v[21:22] offset:1024
	ds_write_b64 v51, v[17:18] offset:1024
	ds_write_b64 v52, v[13:14] offset:1024
	ds_write_b64 v55, v[31:32] offset:1024
	ds_write_b64 v56, v[27:28] offset:1024
	ds_write_b64 v59, v[23:24] offset:1024
	ds_write_b64 v60, v[19:20] offset:1024
	ds_write_b64 v57, v[15:16] offset:1024
	ds_write_b64 v53, v[11:12] offset:1024
	ds_write_b64 v49, v[9:10] offset:1024
	ds_write_b64 v43, v[7:8] offset:1024
	s_waitcnt lgkmcnt(0)
	s_barrier
	s_and_saveexec_b64 s[92:93], s[36:37]
	s_cbranch_execnz .LBB1255_586
; %bb.522:                              ;   in Loop: Header=BB1255_393 Depth=2
	s_or_b64 exec, exec, s[92:93]
	s_and_saveexec_b64 s[36:37], s[38:39]
	s_cbranch_execnz .LBB1255_587
.LBB1255_523:                           ;   in Loop: Header=BB1255_393 Depth=2
	s_or_b64 exec, exec, s[36:37]
	s_and_saveexec_b64 s[36:37], s[40:41]
	s_cbranch_execnz .LBB1255_588
.LBB1255_524:                           ;   in Loop: Header=BB1255_393 Depth=2
	s_or_b64 exec, exec, s[36:37]
	s_and_saveexec_b64 s[36:37], s[42:43]
	s_cbranch_execnz .LBB1255_589
.LBB1255_525:                           ;   in Loop: Header=BB1255_393 Depth=2
	s_or_b64 exec, exec, s[36:37]
	s_and_saveexec_b64 s[36:37], s[44:45]
	s_cbranch_execnz .LBB1255_590
.LBB1255_526:                           ;   in Loop: Header=BB1255_393 Depth=2
	s_or_b64 exec, exec, s[36:37]
	s_and_saveexec_b64 s[36:37], s[46:47]
	s_cbranch_execnz .LBB1255_591
.LBB1255_527:                           ;   in Loop: Header=BB1255_393 Depth=2
	s_or_b64 exec, exec, s[36:37]
	s_and_saveexec_b64 s[36:37], s[48:49]
	s_cbranch_execnz .LBB1255_592
.LBB1255_528:                           ;   in Loop: Header=BB1255_393 Depth=2
	s_or_b64 exec, exec, s[36:37]
	s_and_saveexec_b64 s[36:37], s[50:51]
	s_cbranch_execnz .LBB1255_593
.LBB1255_529:                           ;   in Loop: Header=BB1255_393 Depth=2
	s_or_b64 exec, exec, s[36:37]
	s_and_saveexec_b64 s[36:37], s[52:53]
	s_cbranch_execnz .LBB1255_594
.LBB1255_530:                           ;   in Loop: Header=BB1255_393 Depth=2
	s_or_b64 exec, exec, s[36:37]
	s_and_saveexec_b64 s[36:37], s[54:55]
	s_cbranch_execnz .LBB1255_595
.LBB1255_531:                           ;   in Loop: Header=BB1255_393 Depth=2
	s_or_b64 exec, exec, s[36:37]
	s_and_saveexec_b64 s[36:37], s[56:57]
	s_cbranch_execnz .LBB1255_596
.LBB1255_532:                           ;   in Loop: Header=BB1255_393 Depth=2
	s_or_b64 exec, exec, s[36:37]
	s_and_saveexec_b64 s[36:37], s[58:59]
	s_cbranch_execnz .LBB1255_597
.LBB1255_533:                           ;   in Loop: Header=BB1255_393 Depth=2
	s_or_b64 exec, exec, s[36:37]
	s_and_saveexec_b64 s[36:37], s[60:61]
	s_cbranch_execnz .LBB1255_598
.LBB1255_534:                           ;   in Loop: Header=BB1255_393 Depth=2
	s_or_b64 exec, exec, s[36:37]
	s_and_saveexec_b64 s[36:37], s[62:63]
	s_cbranch_execnz .LBB1255_599
.LBB1255_535:                           ;   in Loop: Header=BB1255_393 Depth=2
	s_or_b64 exec, exec, s[36:37]
	s_and_saveexec_b64 s[36:37], s[64:65]
	s_cbranch_execnz .LBB1255_600
.LBB1255_536:                           ;   in Loop: Header=BB1255_393 Depth=2
	s_or_b64 exec, exec, s[36:37]
	s_and_saveexec_b64 s[36:37], s[66:67]
	s_cbranch_execz .LBB1255_538
.LBB1255_537:                           ;   in Loop: Header=BB1255_393 Depth=2
	v_lshlrev_b32_e32 v39, 2, v138
	ds_read_b32 v41, v39
	ds_read_b64 v[39:40], v106 offset:31744
	v_mov_b32_e32 v42, v3
	v_mov_b32_e32 v43, s87
	s_waitcnt lgkmcnt(1)
	v_add_u32_e32 v41, v41, v92
	v_lshlrev_b64 v[41:42], 3, v[41:42]
	v_add_co_u32_e32 v41, vcc, s86, v41
	v_addc_co_u32_e32 v42, vcc, v43, v42, vcc
	s_waitcnt lgkmcnt(0)
	global_store_dwordx2 v[41:42], v[39:40], off
.LBB1255_538:                           ;   in Loop: Header=BB1255_393 Depth=2
	s_or_b64 exec, exec, s[36:37]
	s_waitcnt vmcnt(0)
	s_barrier
	s_and_saveexec_b64 s[36:37], s[4:5]
	s_cbranch_execz .LBB1255_392
; %bb.539:                              ;   in Loop: Header=BB1255_393 Depth=2
	ds_read_b32 v39, v75
	s_waitcnt lgkmcnt(0)
	v_add_u32_e32 v4, v39, v4
	ds_write_b32 v75, v4
	s_branch .LBB1255_392
.LBB1255_540:                           ;   in Loop: Header=BB1255_393 Depth=2
	ds_read_b64 v[39:40], v106 offset:1024
	v_mov_b32_e32 v45, v3
	v_mov_b32_e32 v46, s81
	s_waitcnt lgkmcnt(0)
	v_cmp_ne_u64_e32 vcc, s[82:83], v[39:40]
	v_ashrrev_i32_e32 v54, 31, v40
	v_cndmask_b32_e32 v62, v135, v40, vcc
	v_cndmask_b32_e32 v61, 0, v39, vcc
	v_lshrrev_b64 v[61:62], s95, v[61:62]
	v_cmp_lt_i64_e32 vcc, -1, v[39:40]
	v_and_b32_e32 v50, s97, v61
	v_lshlrev_b32_e32 v50, 2, v50
	ds_read_b32 v50, v50
	v_cndmask_b32_e64 v44, v135, -1, vcc
	v_xor_b32_e32 v40, v44, v40
	v_not_b32_e32 v54, v54
	v_xor_b32_e32 v39, v54, v39
	s_waitcnt lgkmcnt(0)
	v_add_u32_e32 v44, v50, v0
	v_lshlrev_b64 v[44:45], 3, v[44:45]
	v_add_co_u32_e32 v44, vcc, s80, v44
	v_addc_co_u32_e32 v45, vcc, v46, v45, vcc
	global_store_dwordx2 v[44:45], v[39:40], off
	s_or_b64 exec, exec, s[38:39]
	v_cmp_lt_u32_e64 s[38:39], v76, v175
	s_and_saveexec_b64 s[40:41], s[38:39]
	s_cbranch_execz .LBB1255_473
.LBB1255_541:                           ;   in Loop: Header=BB1255_393 Depth=2
	ds_read_b64 v[39:40], v106 offset:3072
	v_mov_b32_e32 v45, v3
	v_mov_b32_e32 v46, s81
	s_waitcnt lgkmcnt(0)
	v_cmp_ne_u64_e32 vcc, s[82:83], v[39:40]
	v_ashrrev_i32_e32 v54, 31, v40
	v_cndmask_b32_e32 v62, v135, v40, vcc
	v_cndmask_b32_e32 v61, 0, v39, vcc
	v_lshrrev_b64 v[61:62], s95, v[61:62]
	v_cmp_lt_i64_e32 vcc, -1, v[39:40]
	v_and_b32_e32 v50, s97, v61
	v_lshlrev_b32_e32 v50, 2, v50
	ds_read_b32 v50, v50
	v_cndmask_b32_e64 v44, v135, -1, vcc
	v_xor_b32_e32 v40, v44, v40
	v_not_b32_e32 v54, v54
	v_xor_b32_e32 v39, v54, v39
	s_waitcnt lgkmcnt(0)
	v_add_u32_e32 v44, v50, v76
	v_lshlrev_b64 v[44:45], 3, v[44:45]
	v_add_co_u32_e32 v44, vcc, s80, v44
	v_addc_co_u32_e32 v45, vcc, v46, v45, vcc
	global_store_dwordx2 v[44:45], v[39:40], off
	s_or_b64 exec, exec, s[40:41]
	v_cmp_lt_u32_e64 s[40:41], v77, v175
	s_and_saveexec_b64 s[42:43], s[40:41]
	s_cbranch_execz .LBB1255_474
.LBB1255_542:                           ;   in Loop: Header=BB1255_393 Depth=2
	ds_read_b64 v[39:40], v106 offset:5120
	v_mov_b32_e32 v45, v3
	v_mov_b32_e32 v46, s81
	s_waitcnt lgkmcnt(0)
	v_cmp_ne_u64_e32 vcc, s[82:83], v[39:40]
	v_ashrrev_i32_e32 v54, 31, v40
	v_cndmask_b32_e32 v62, v135, v40, vcc
	v_cndmask_b32_e32 v61, 0, v39, vcc
	v_lshrrev_b64 v[61:62], s95, v[61:62]
	v_cmp_lt_i64_e32 vcc, -1, v[39:40]
	v_and_b32_e32 v50, s97, v61
	v_lshlrev_b32_e32 v50, 2, v50
	ds_read_b32 v50, v50
	v_cndmask_b32_e64 v44, v135, -1, vcc
	v_xor_b32_e32 v40, v44, v40
	v_not_b32_e32 v54, v54
	v_xor_b32_e32 v39, v54, v39
	s_waitcnt lgkmcnt(0)
	v_add_u32_e32 v44, v50, v77
	v_lshlrev_b64 v[44:45], 3, v[44:45]
	v_add_co_u32_e32 v44, vcc, s80, v44
	v_addc_co_u32_e32 v45, vcc, v46, v45, vcc
	global_store_dwordx2 v[44:45], v[39:40], off
	s_or_b64 exec, exec, s[42:43]
	v_cmp_lt_u32_e64 s[42:43], v78, v175
	s_and_saveexec_b64 s[44:45], s[42:43]
	s_cbranch_execz .LBB1255_475
.LBB1255_543:                           ;   in Loop: Header=BB1255_393 Depth=2
	ds_read_b64 v[39:40], v106 offset:7168
	v_mov_b32_e32 v45, v3
	v_mov_b32_e32 v46, s81
	s_waitcnt lgkmcnt(0)
	v_cmp_ne_u64_e32 vcc, s[82:83], v[39:40]
	v_ashrrev_i32_e32 v54, 31, v40
	v_cndmask_b32_e32 v62, v135, v40, vcc
	v_cndmask_b32_e32 v61, 0, v39, vcc
	v_lshrrev_b64 v[61:62], s95, v[61:62]
	v_cmp_lt_i64_e32 vcc, -1, v[39:40]
	v_and_b32_e32 v50, s97, v61
	v_lshlrev_b32_e32 v50, 2, v50
	ds_read_b32 v50, v50
	v_cndmask_b32_e64 v44, v135, -1, vcc
	v_xor_b32_e32 v40, v44, v40
	v_not_b32_e32 v54, v54
	v_xor_b32_e32 v39, v54, v39
	s_waitcnt lgkmcnt(0)
	v_add_u32_e32 v44, v50, v78
	v_lshlrev_b64 v[44:45], 3, v[44:45]
	v_add_co_u32_e32 v44, vcc, s80, v44
	v_addc_co_u32_e32 v45, vcc, v46, v45, vcc
	global_store_dwordx2 v[44:45], v[39:40], off
	s_or_b64 exec, exec, s[44:45]
	v_cmp_lt_u32_e64 s[44:45], v81, v175
	s_and_saveexec_b64 s[46:47], s[44:45]
	s_cbranch_execz .LBB1255_476
.LBB1255_544:                           ;   in Loop: Header=BB1255_393 Depth=2
	ds_read_b64 v[39:40], v106 offset:9216
	v_mov_b32_e32 v45, v3
	v_mov_b32_e32 v46, s81
	s_waitcnt lgkmcnt(0)
	v_cmp_ne_u64_e32 vcc, s[82:83], v[39:40]
	v_ashrrev_i32_e32 v54, 31, v40
	v_cndmask_b32_e32 v62, v135, v40, vcc
	v_cndmask_b32_e32 v61, 0, v39, vcc
	v_lshrrev_b64 v[61:62], s95, v[61:62]
	v_cmp_lt_i64_e32 vcc, -1, v[39:40]
	v_and_b32_e32 v50, s97, v61
	v_lshlrev_b32_e32 v50, 2, v50
	ds_read_b32 v50, v50
	v_cndmask_b32_e64 v44, v135, -1, vcc
	v_xor_b32_e32 v40, v44, v40
	v_not_b32_e32 v54, v54
	v_xor_b32_e32 v39, v54, v39
	s_waitcnt lgkmcnt(0)
	v_add_u32_e32 v44, v50, v81
	v_lshlrev_b64 v[44:45], 3, v[44:45]
	v_add_co_u32_e32 v44, vcc, s80, v44
	v_addc_co_u32_e32 v45, vcc, v46, v45, vcc
	global_store_dwordx2 v[44:45], v[39:40], off
	s_or_b64 exec, exec, s[46:47]
	v_cmp_lt_u32_e64 s[46:47], v82, v175
	s_and_saveexec_b64 s[48:49], s[46:47]
	s_cbranch_execz .LBB1255_477
.LBB1255_545:                           ;   in Loop: Header=BB1255_393 Depth=2
	ds_read_b64 v[39:40], v106 offset:11264
	v_mov_b32_e32 v45, v3
	v_mov_b32_e32 v46, s81
	s_waitcnt lgkmcnt(0)
	v_cmp_ne_u64_e32 vcc, s[82:83], v[39:40]
	v_ashrrev_i32_e32 v54, 31, v40
	v_cndmask_b32_e32 v62, v135, v40, vcc
	v_cndmask_b32_e32 v61, 0, v39, vcc
	v_lshrrev_b64 v[61:62], s95, v[61:62]
	v_cmp_lt_i64_e32 vcc, -1, v[39:40]
	v_and_b32_e32 v50, s97, v61
	v_lshlrev_b32_e32 v50, 2, v50
	ds_read_b32 v50, v50
	v_cndmask_b32_e64 v44, v135, -1, vcc
	v_xor_b32_e32 v40, v44, v40
	v_not_b32_e32 v54, v54
	v_xor_b32_e32 v39, v54, v39
	s_waitcnt lgkmcnt(0)
	v_add_u32_e32 v44, v50, v82
	v_lshlrev_b64 v[44:45], 3, v[44:45]
	v_add_co_u32_e32 v44, vcc, s80, v44
	v_addc_co_u32_e32 v45, vcc, v46, v45, vcc
	global_store_dwordx2 v[44:45], v[39:40], off
	s_or_b64 exec, exec, s[48:49]
	v_cmp_lt_u32_e64 s[48:49], v83, v175
	s_and_saveexec_b64 s[50:51], s[48:49]
	s_cbranch_execz .LBB1255_478
.LBB1255_546:                           ;   in Loop: Header=BB1255_393 Depth=2
	ds_read_b64 v[39:40], v106 offset:13312
	v_mov_b32_e32 v45, v3
	v_mov_b32_e32 v46, s81
	s_waitcnt lgkmcnt(0)
	v_cmp_ne_u64_e32 vcc, s[82:83], v[39:40]
	v_ashrrev_i32_e32 v54, 31, v40
	v_cndmask_b32_e32 v62, v135, v40, vcc
	v_cndmask_b32_e32 v61, 0, v39, vcc
	v_lshrrev_b64 v[61:62], s95, v[61:62]
	v_cmp_lt_i64_e32 vcc, -1, v[39:40]
	v_and_b32_e32 v50, s97, v61
	v_lshlrev_b32_e32 v50, 2, v50
	ds_read_b32 v50, v50
	v_cndmask_b32_e64 v44, v135, -1, vcc
	v_xor_b32_e32 v40, v44, v40
	v_not_b32_e32 v54, v54
	v_xor_b32_e32 v39, v54, v39
	s_waitcnt lgkmcnt(0)
	v_add_u32_e32 v44, v50, v83
	v_lshlrev_b64 v[44:45], 3, v[44:45]
	v_add_co_u32_e32 v44, vcc, s80, v44
	v_addc_co_u32_e32 v45, vcc, v46, v45, vcc
	global_store_dwordx2 v[44:45], v[39:40], off
	s_or_b64 exec, exec, s[50:51]
	v_cmp_lt_u32_e64 s[50:51], v84, v175
	s_and_saveexec_b64 s[52:53], s[50:51]
	s_cbranch_execz .LBB1255_479
.LBB1255_547:                           ;   in Loop: Header=BB1255_393 Depth=2
	ds_read_b64 v[39:40], v106 offset:15360
	v_mov_b32_e32 v45, v3
	v_mov_b32_e32 v46, s81
	s_waitcnt lgkmcnt(0)
	v_cmp_ne_u64_e32 vcc, s[82:83], v[39:40]
	v_ashrrev_i32_e32 v54, 31, v40
	v_cndmask_b32_e32 v62, v135, v40, vcc
	v_cndmask_b32_e32 v61, 0, v39, vcc
	v_lshrrev_b64 v[61:62], s95, v[61:62]
	v_cmp_lt_i64_e32 vcc, -1, v[39:40]
	v_and_b32_e32 v50, s97, v61
	v_lshlrev_b32_e32 v50, 2, v50
	ds_read_b32 v50, v50
	v_cndmask_b32_e64 v44, v135, -1, vcc
	v_xor_b32_e32 v40, v44, v40
	v_not_b32_e32 v54, v54
	v_xor_b32_e32 v39, v54, v39
	s_waitcnt lgkmcnt(0)
	v_add_u32_e32 v44, v50, v84
	v_lshlrev_b64 v[44:45], 3, v[44:45]
	v_add_co_u32_e32 v44, vcc, s80, v44
	v_addc_co_u32_e32 v45, vcc, v46, v45, vcc
	global_store_dwordx2 v[44:45], v[39:40], off
	s_or_b64 exec, exec, s[52:53]
	v_cmp_lt_u32_e64 s[52:53], v85, v175
	s_and_saveexec_b64 s[54:55], s[52:53]
	s_cbranch_execz .LBB1255_480
.LBB1255_548:                           ;   in Loop: Header=BB1255_393 Depth=2
	ds_read_b64 v[39:40], v106 offset:17408
	v_mov_b32_e32 v45, v3
	v_mov_b32_e32 v46, s81
	s_waitcnt lgkmcnt(0)
	v_cmp_ne_u64_e32 vcc, s[82:83], v[39:40]
	v_ashrrev_i32_e32 v54, 31, v40
	v_cndmask_b32_e32 v62, v135, v40, vcc
	v_cndmask_b32_e32 v61, 0, v39, vcc
	v_lshrrev_b64 v[61:62], s95, v[61:62]
	v_cmp_lt_i64_e32 vcc, -1, v[39:40]
	v_and_b32_e32 v50, s97, v61
	v_lshlrev_b32_e32 v50, 2, v50
	ds_read_b32 v50, v50
	v_cndmask_b32_e64 v44, v135, -1, vcc
	v_xor_b32_e32 v40, v44, v40
	v_not_b32_e32 v54, v54
	v_xor_b32_e32 v39, v54, v39
	s_waitcnt lgkmcnt(0)
	v_add_u32_e32 v44, v50, v85
	v_lshlrev_b64 v[44:45], 3, v[44:45]
	v_add_co_u32_e32 v44, vcc, s80, v44
	v_addc_co_u32_e32 v45, vcc, v46, v45, vcc
	global_store_dwordx2 v[44:45], v[39:40], off
	s_or_b64 exec, exec, s[54:55]
	v_cmp_lt_u32_e64 s[54:55], v86, v175
	s_and_saveexec_b64 s[56:57], s[54:55]
	s_cbranch_execz .LBB1255_481
.LBB1255_549:                           ;   in Loop: Header=BB1255_393 Depth=2
	ds_read_b64 v[39:40], v106 offset:19456
	v_mov_b32_e32 v45, v3
	v_mov_b32_e32 v46, s81
	s_waitcnt lgkmcnt(0)
	v_cmp_ne_u64_e32 vcc, s[82:83], v[39:40]
	v_ashrrev_i32_e32 v54, 31, v40
	v_cndmask_b32_e32 v62, v135, v40, vcc
	v_cndmask_b32_e32 v61, 0, v39, vcc
	v_lshrrev_b64 v[61:62], s95, v[61:62]
	v_cmp_lt_i64_e32 vcc, -1, v[39:40]
	v_and_b32_e32 v50, s97, v61
	v_lshlrev_b32_e32 v50, 2, v50
	ds_read_b32 v50, v50
	v_cndmask_b32_e64 v44, v135, -1, vcc
	v_xor_b32_e32 v40, v44, v40
	v_not_b32_e32 v54, v54
	v_xor_b32_e32 v39, v54, v39
	s_waitcnt lgkmcnt(0)
	v_add_u32_e32 v44, v50, v86
	v_lshlrev_b64 v[44:45], 3, v[44:45]
	v_add_co_u32_e32 v44, vcc, s80, v44
	v_addc_co_u32_e32 v45, vcc, v46, v45, vcc
	global_store_dwordx2 v[44:45], v[39:40], off
	s_or_b64 exec, exec, s[56:57]
	v_cmp_lt_u32_e64 s[56:57], v87, v175
	s_and_saveexec_b64 s[58:59], s[56:57]
	s_cbranch_execz .LBB1255_482
.LBB1255_550:                           ;   in Loop: Header=BB1255_393 Depth=2
	ds_read_b64 v[39:40], v106 offset:21504
	v_mov_b32_e32 v45, v3
	v_mov_b32_e32 v46, s81
	s_waitcnt lgkmcnt(0)
	v_cmp_ne_u64_e32 vcc, s[82:83], v[39:40]
	v_ashrrev_i32_e32 v54, 31, v40
	v_cndmask_b32_e32 v62, v135, v40, vcc
	v_cndmask_b32_e32 v61, 0, v39, vcc
	v_lshrrev_b64 v[61:62], s95, v[61:62]
	v_cmp_lt_i64_e32 vcc, -1, v[39:40]
	v_and_b32_e32 v50, s97, v61
	v_lshlrev_b32_e32 v50, 2, v50
	ds_read_b32 v50, v50
	v_cndmask_b32_e64 v44, v135, -1, vcc
	v_xor_b32_e32 v40, v44, v40
	v_not_b32_e32 v54, v54
	v_xor_b32_e32 v39, v54, v39
	s_waitcnt lgkmcnt(0)
	v_add_u32_e32 v44, v50, v87
	v_lshlrev_b64 v[44:45], 3, v[44:45]
	v_add_co_u32_e32 v44, vcc, s80, v44
	v_addc_co_u32_e32 v45, vcc, v46, v45, vcc
	global_store_dwordx2 v[44:45], v[39:40], off
	s_or_b64 exec, exec, s[58:59]
	v_cmp_lt_u32_e64 s[58:59], v88, v175
	s_and_saveexec_b64 s[60:61], s[58:59]
	s_cbranch_execz .LBB1255_483
.LBB1255_551:                           ;   in Loop: Header=BB1255_393 Depth=2
	ds_read_b64 v[39:40], v106 offset:23552
	v_mov_b32_e32 v45, v3
	v_mov_b32_e32 v46, s81
	s_waitcnt lgkmcnt(0)
	v_cmp_ne_u64_e32 vcc, s[82:83], v[39:40]
	v_ashrrev_i32_e32 v54, 31, v40
	v_cndmask_b32_e32 v62, v135, v40, vcc
	v_cndmask_b32_e32 v61, 0, v39, vcc
	v_lshrrev_b64 v[61:62], s95, v[61:62]
	v_cmp_lt_i64_e32 vcc, -1, v[39:40]
	v_and_b32_e32 v50, s97, v61
	v_lshlrev_b32_e32 v50, 2, v50
	ds_read_b32 v50, v50
	v_cndmask_b32_e64 v44, v135, -1, vcc
	v_xor_b32_e32 v40, v44, v40
	v_not_b32_e32 v54, v54
	v_xor_b32_e32 v39, v54, v39
	s_waitcnt lgkmcnt(0)
	v_add_u32_e32 v44, v50, v88
	v_lshlrev_b64 v[44:45], 3, v[44:45]
	v_add_co_u32_e32 v44, vcc, s80, v44
	v_addc_co_u32_e32 v45, vcc, v46, v45, vcc
	global_store_dwordx2 v[44:45], v[39:40], off
	s_or_b64 exec, exec, s[60:61]
	v_cmp_lt_u32_e64 s[60:61], v89, v175
	s_and_saveexec_b64 s[62:63], s[60:61]
	s_cbranch_execz .LBB1255_484
.LBB1255_552:                           ;   in Loop: Header=BB1255_393 Depth=2
	ds_read_b64 v[39:40], v106 offset:25600
	v_mov_b32_e32 v45, v3
	v_mov_b32_e32 v46, s81
	s_waitcnt lgkmcnt(0)
	v_cmp_ne_u64_e32 vcc, s[82:83], v[39:40]
	v_ashrrev_i32_e32 v54, 31, v40
	v_cndmask_b32_e32 v62, v135, v40, vcc
	v_cndmask_b32_e32 v61, 0, v39, vcc
	v_lshrrev_b64 v[61:62], s95, v[61:62]
	v_cmp_lt_i64_e32 vcc, -1, v[39:40]
	v_and_b32_e32 v50, s97, v61
	v_lshlrev_b32_e32 v50, 2, v50
	ds_read_b32 v50, v50
	v_cndmask_b32_e64 v44, v135, -1, vcc
	v_xor_b32_e32 v40, v44, v40
	v_not_b32_e32 v54, v54
	v_xor_b32_e32 v39, v54, v39
	s_waitcnt lgkmcnt(0)
	v_add_u32_e32 v44, v50, v89
	v_lshlrev_b64 v[44:45], 3, v[44:45]
	v_add_co_u32_e32 v44, vcc, s80, v44
	v_addc_co_u32_e32 v45, vcc, v46, v45, vcc
	global_store_dwordx2 v[44:45], v[39:40], off
	s_or_b64 exec, exec, s[62:63]
	v_cmp_lt_u32_e64 s[62:63], v90, v175
	s_and_saveexec_b64 s[64:65], s[62:63]
	s_cbranch_execz .LBB1255_485
.LBB1255_553:                           ;   in Loop: Header=BB1255_393 Depth=2
	ds_read_b64 v[39:40], v106 offset:27648
	v_mov_b32_e32 v45, v3
	v_mov_b32_e32 v46, s81
	s_waitcnt lgkmcnt(0)
	v_cmp_ne_u64_e32 vcc, s[82:83], v[39:40]
	v_ashrrev_i32_e32 v54, 31, v40
	v_cndmask_b32_e32 v62, v135, v40, vcc
	v_cndmask_b32_e32 v61, 0, v39, vcc
	v_lshrrev_b64 v[61:62], s95, v[61:62]
	v_cmp_lt_i64_e32 vcc, -1, v[39:40]
	v_and_b32_e32 v50, s97, v61
	v_lshlrev_b32_e32 v50, 2, v50
	ds_read_b32 v50, v50
	v_cndmask_b32_e64 v44, v135, -1, vcc
	v_xor_b32_e32 v40, v44, v40
	v_not_b32_e32 v54, v54
	v_xor_b32_e32 v39, v54, v39
	s_waitcnt lgkmcnt(0)
	v_add_u32_e32 v44, v50, v90
	v_lshlrev_b64 v[44:45], 3, v[44:45]
	v_add_co_u32_e32 v44, vcc, s80, v44
	v_addc_co_u32_e32 v45, vcc, v46, v45, vcc
	global_store_dwordx2 v[44:45], v[39:40], off
	s_or_b64 exec, exec, s[64:65]
	v_cmp_lt_u32_e64 s[64:65], v91, v175
	s_and_saveexec_b64 s[66:67], s[64:65]
	s_cbranch_execz .LBB1255_486
.LBB1255_554:                           ;   in Loop: Header=BB1255_393 Depth=2
	ds_read_b64 v[39:40], v106 offset:29696
	v_mov_b32_e32 v45, v3
	v_mov_b32_e32 v46, s81
	s_waitcnt lgkmcnt(0)
	v_cmp_ne_u64_e32 vcc, s[82:83], v[39:40]
	v_ashrrev_i32_e32 v54, 31, v40
	v_cndmask_b32_e32 v62, v135, v40, vcc
	v_cndmask_b32_e32 v61, 0, v39, vcc
	v_lshrrev_b64 v[61:62], s95, v[61:62]
	v_cmp_lt_i64_e32 vcc, -1, v[39:40]
	v_and_b32_e32 v50, s97, v61
	v_lshlrev_b32_e32 v50, 2, v50
	ds_read_b32 v50, v50
	v_cndmask_b32_e64 v44, v135, -1, vcc
	v_xor_b32_e32 v40, v44, v40
	v_not_b32_e32 v54, v54
	v_xor_b32_e32 v39, v54, v39
	s_waitcnt lgkmcnt(0)
	v_add_u32_e32 v44, v50, v91
	v_lshlrev_b64 v[44:45], 3, v[44:45]
	v_add_co_u32_e32 v44, vcc, s80, v44
	v_addc_co_u32_e32 v45, vcc, v46, v45, vcc
	global_store_dwordx2 v[44:45], v[39:40], off
	s_or_b64 exec, exec, s[66:67]
	v_cmp_lt_u32_e64 s[66:67], v92, v175
	s_and_saveexec_b64 s[92:93], s[66:67]
	s_cbranch_execnz .LBB1255_487
	s_branch .LBB1255_488
.LBB1255_555:                           ;   in Loop: Header=BB1255_393 Depth=2
	global_load_dwordx2 v[37:38], v[39:40], off
	s_or_b64 exec, exec, s[92:93]
	v_cmp_lt_u32_e32 vcc, v151, v175
	s_and_saveexec_b64 s[92:93], vcc
	s_cbranch_execz .LBB1255_490
.LBB1255_556:                           ;   in Loop: Header=BB1255_393 Depth=2
	global_load_dwordx2 v[35:36], v[39:40], off offset:512
	s_or_b64 exec, exec, s[92:93]
	v_cmp_lt_u32_e32 vcc, v153, v175
	s_and_saveexec_b64 s[92:93], vcc
	s_cbranch_execz .LBB1255_491
.LBB1255_557:                           ;   in Loop: Header=BB1255_393 Depth=2
	global_load_dwordx2 v[33:34], v[39:40], off offset:1024
	s_or_b64 exec, exec, s[92:93]
	v_cmp_lt_u32_e32 vcc, v155, v175
	s_and_saveexec_b64 s[92:93], vcc
	s_cbranch_execz .LBB1255_492
.LBB1255_558:                           ;   in Loop: Header=BB1255_393 Depth=2
	global_load_dwordx2 v[29:30], v[39:40], off offset:1536
	s_or_b64 exec, exec, s[92:93]
	v_cmp_lt_u32_e32 vcc, v157, v175
	s_and_saveexec_b64 s[92:93], vcc
	s_cbranch_execz .LBB1255_493
.LBB1255_559:                           ;   in Loop: Header=BB1255_393 Depth=2
	global_load_dwordx2 v[25:26], v[39:40], off offset:2048
	s_or_b64 exec, exec, s[92:93]
	v_cmp_lt_u32_e32 vcc, v159, v175
	s_and_saveexec_b64 s[92:93], vcc
	s_cbranch_execz .LBB1255_494
.LBB1255_560:                           ;   in Loop: Header=BB1255_393 Depth=2
	global_load_dwordx2 v[21:22], v[39:40], off offset:2560
	s_or_b64 exec, exec, s[92:93]
	v_cmp_lt_u32_e32 vcc, v161, v175
	s_and_saveexec_b64 s[92:93], vcc
	s_cbranch_execz .LBB1255_495
.LBB1255_561:                           ;   in Loop: Header=BB1255_393 Depth=2
	global_load_dwordx2 v[17:18], v[39:40], off offset:3072
	s_or_b64 exec, exec, s[92:93]
	v_cmp_lt_u32_e32 vcc, v163, v175
	s_and_saveexec_b64 s[92:93], vcc
	s_cbranch_execz .LBB1255_496
.LBB1255_562:                           ;   in Loop: Header=BB1255_393 Depth=2
	global_load_dwordx2 v[13:14], v[39:40], off offset:3584
	s_or_b64 exec, exec, s[92:93]
	v_cmp_lt_u32_e32 vcc, v164, v175
	s_and_saveexec_b64 s[92:93], vcc
	s_cbranch_execz .LBB1255_497
.LBB1255_563:                           ;   in Loop: Header=BB1255_393 Depth=2
	v_add_co_u32_e32 v31, vcc, 0x1000, v39
	v_addc_co_u32_e32 v32, vcc, 0, v40, vcc
	global_load_dwordx2 v[31:32], v[31:32], off
	s_or_b64 exec, exec, s[92:93]
	v_cmp_lt_u32_e32 vcc, v165, v175
	s_and_saveexec_b64 s[92:93], vcc
	s_cbranch_execz .LBB1255_498
.LBB1255_564:                           ;   in Loop: Header=BB1255_393 Depth=2
	v_add_co_u32_e32 v27, vcc, 0x1000, v39
	v_addc_co_u32_e32 v28, vcc, 0, v40, vcc
	global_load_dwordx2 v[27:28], v[27:28], off offset:512
	s_or_b64 exec, exec, s[92:93]
	v_cmp_lt_u32_e32 vcc, v166, v175
	s_and_saveexec_b64 s[92:93], vcc
	s_cbranch_execz .LBB1255_499
.LBB1255_565:                           ;   in Loop: Header=BB1255_393 Depth=2
	v_add_co_u32_e32 v23, vcc, 0x1000, v39
	v_addc_co_u32_e32 v24, vcc, 0, v40, vcc
	global_load_dwordx2 v[23:24], v[23:24], off offset:1024
	s_or_b64 exec, exec, s[92:93]
	v_cmp_lt_u32_e32 vcc, v167, v175
	s_and_saveexec_b64 s[92:93], vcc
	s_cbranch_execz .LBB1255_500
.LBB1255_566:                           ;   in Loop: Header=BB1255_393 Depth=2
	v_add_co_u32_e32 v19, vcc, 0x1000, v39
	v_addc_co_u32_e32 v20, vcc, 0, v40, vcc
	global_load_dwordx2 v[19:20], v[19:20], off offset:1536
	s_or_b64 exec, exec, s[92:93]
	v_cmp_lt_u32_e32 vcc, v168, v175
	s_and_saveexec_b64 s[92:93], vcc
	s_cbranch_execz .LBB1255_501
.LBB1255_567:                           ;   in Loop: Header=BB1255_393 Depth=2
	v_add_co_u32_e32 v15, vcc, 0x1000, v39
	v_addc_co_u32_e32 v16, vcc, 0, v40, vcc
	global_load_dwordx2 v[15:16], v[15:16], off offset:2048
	s_or_b64 exec, exec, s[92:93]
	v_cmp_lt_u32_e32 vcc, v169, v175
	s_and_saveexec_b64 s[92:93], vcc
	s_cbranch_execz .LBB1255_502
.LBB1255_568:                           ;   in Loop: Header=BB1255_393 Depth=2
	v_add_co_u32_e32 v11, vcc, 0x1000, v39
	v_addc_co_u32_e32 v12, vcc, 0, v40, vcc
	global_load_dwordx2 v[11:12], v[11:12], off offset:2560
	s_or_b64 exec, exec, s[92:93]
	v_cmp_lt_u32_e32 vcc, v170, v175
	s_and_saveexec_b64 s[92:93], vcc
	s_cbranch_execz .LBB1255_503
.LBB1255_569:                           ;   in Loop: Header=BB1255_393 Depth=2
	v_add_co_u32_e32 v9, vcc, 0x1000, v39
	v_addc_co_u32_e32 v10, vcc, 0, v40, vcc
	global_load_dwordx2 v[9:10], v[9:10], off offset:3072
	s_or_b64 exec, exec, s[92:93]
	v_cmp_lt_u32_e32 vcc, v171, v175
	s_and_saveexec_b64 s[92:93], vcc
	s_cbranch_execz .LBB1255_504
.LBB1255_570:                           ;   in Loop: Header=BB1255_393 Depth=2
	v_add_co_u32_e32 v7, vcc, 0x1000, v39
	v_addc_co_u32_e32 v8, vcc, 0, v40, vcc
	global_load_dwordx2 v[7:8], v[7:8], off offset:3584
	s_or_b64 exec, exec, s[92:93]
	s_and_saveexec_b64 s[92:93], s[36:37]
	s_cbranch_execz .LBB1255_505
.LBB1255_571:                           ;   in Loop: Header=BB1255_393 Depth=2
	ds_read_b64 v[39:40], v106 offset:1024
	s_waitcnt lgkmcnt(0)
	v_cmp_ne_u64_e32 vcc, s[82:83], v[39:40]
	v_cndmask_b32_e32 v40, v135, v40, vcc
	v_cndmask_b32_e32 v39, 0, v39, vcc
	v_lshrrev_b64 v[39:40], s95, v[39:40]
	v_and_b32_e32 v162, s97, v39
	s_or_b64 exec, exec, s[92:93]
	s_and_saveexec_b64 s[92:93], s[38:39]
	s_cbranch_execz .LBB1255_506
.LBB1255_572:                           ;   in Loop: Header=BB1255_393 Depth=2
	ds_read_b64 v[39:40], v106 offset:3072
	s_waitcnt lgkmcnt(0)
	v_cmp_ne_u64_e32 vcc, s[82:83], v[39:40]
	v_cndmask_b32_e32 v40, v135, v40, vcc
	v_cndmask_b32_e32 v39, 0, v39, vcc
	v_lshrrev_b64 v[39:40], s95, v[39:40]
	v_and_b32_e32 v160, s97, v39
	s_or_b64 exec, exec, s[92:93]
	s_and_saveexec_b64 s[92:93], s[40:41]
	s_cbranch_execz .LBB1255_507
.LBB1255_573:                           ;   in Loop: Header=BB1255_393 Depth=2
	ds_read_b64 v[39:40], v106 offset:5120
	s_waitcnt lgkmcnt(0)
	v_cmp_ne_u64_e32 vcc, s[82:83], v[39:40]
	v_cndmask_b32_e32 v40, v135, v40, vcc
	v_cndmask_b32_e32 v39, 0, v39, vcc
	v_lshrrev_b64 v[39:40], s95, v[39:40]
	v_and_b32_e32 v158, s97, v39
	s_or_b64 exec, exec, s[92:93]
	s_and_saveexec_b64 s[92:93], s[42:43]
	s_cbranch_execz .LBB1255_508
.LBB1255_574:                           ;   in Loop: Header=BB1255_393 Depth=2
	ds_read_b64 v[39:40], v106 offset:7168
	s_waitcnt lgkmcnt(0)
	v_cmp_ne_u64_e32 vcc, s[82:83], v[39:40]
	v_cndmask_b32_e32 v40, v135, v40, vcc
	v_cndmask_b32_e32 v39, 0, v39, vcc
	v_lshrrev_b64 v[39:40], s95, v[39:40]
	v_and_b32_e32 v156, s97, v39
	s_or_b64 exec, exec, s[92:93]
	s_and_saveexec_b64 s[92:93], s[44:45]
	s_cbranch_execz .LBB1255_509
.LBB1255_575:                           ;   in Loop: Header=BB1255_393 Depth=2
	ds_read_b64 v[39:40], v106 offset:9216
	s_waitcnt lgkmcnt(0)
	v_cmp_ne_u64_e32 vcc, s[82:83], v[39:40]
	v_cndmask_b32_e32 v40, v135, v40, vcc
	v_cndmask_b32_e32 v39, 0, v39, vcc
	v_lshrrev_b64 v[39:40], s95, v[39:40]
	v_and_b32_e32 v154, s97, v39
	s_or_b64 exec, exec, s[92:93]
	s_and_saveexec_b64 s[92:93], s[46:47]
	s_cbranch_execz .LBB1255_510
.LBB1255_576:                           ;   in Loop: Header=BB1255_393 Depth=2
	ds_read_b64 v[39:40], v106 offset:11264
	s_waitcnt lgkmcnt(0)
	v_cmp_ne_u64_e32 vcc, s[82:83], v[39:40]
	v_cndmask_b32_e32 v40, v135, v40, vcc
	v_cndmask_b32_e32 v39, 0, v39, vcc
	v_lshrrev_b64 v[39:40], s95, v[39:40]
	v_and_b32_e32 v152, s97, v39
	s_or_b64 exec, exec, s[92:93]
	s_and_saveexec_b64 s[92:93], s[48:49]
	s_cbranch_execz .LBB1255_511
.LBB1255_577:                           ;   in Loop: Header=BB1255_393 Depth=2
	ds_read_b64 v[39:40], v106 offset:13312
	s_waitcnt lgkmcnt(0)
	v_cmp_ne_u64_e32 vcc, s[82:83], v[39:40]
	v_cndmask_b32_e32 v40, v135, v40, vcc
	v_cndmask_b32_e32 v39, 0, v39, vcc
	v_lshrrev_b64 v[39:40], s95, v[39:40]
	v_and_b32_e32 v150, s97, v39
	s_or_b64 exec, exec, s[92:93]
	s_and_saveexec_b64 s[92:93], s[50:51]
	s_cbranch_execz .LBB1255_512
.LBB1255_578:                           ;   in Loop: Header=BB1255_393 Depth=2
	ds_read_b64 v[39:40], v106 offset:15360
	s_waitcnt lgkmcnt(0)
	v_cmp_ne_u64_e32 vcc, s[82:83], v[39:40]
	v_cndmask_b32_e32 v40, v135, v40, vcc
	v_cndmask_b32_e32 v39, 0, v39, vcc
	v_lshrrev_b64 v[39:40], s95, v[39:40]
	v_and_b32_e32 v148, s97, v39
	s_or_b64 exec, exec, s[92:93]
	s_and_saveexec_b64 s[92:93], s[52:53]
	s_cbranch_execz .LBB1255_513
.LBB1255_579:                           ;   in Loop: Header=BB1255_393 Depth=2
	ds_read_b64 v[39:40], v106 offset:17408
	s_waitcnt lgkmcnt(0)
	v_cmp_ne_u64_e32 vcc, s[82:83], v[39:40]
	v_cndmask_b32_e32 v40, v135, v40, vcc
	v_cndmask_b32_e32 v39, 0, v39, vcc
	v_lshrrev_b64 v[39:40], s95, v[39:40]
	v_and_b32_e32 v146, s97, v39
	s_or_b64 exec, exec, s[92:93]
	s_and_saveexec_b64 s[92:93], s[54:55]
	s_cbranch_execz .LBB1255_514
.LBB1255_580:                           ;   in Loop: Header=BB1255_393 Depth=2
	ds_read_b64 v[39:40], v106 offset:19456
	s_waitcnt lgkmcnt(0)
	v_cmp_ne_u64_e32 vcc, s[82:83], v[39:40]
	v_cndmask_b32_e32 v40, v135, v40, vcc
	v_cndmask_b32_e32 v39, 0, v39, vcc
	v_lshrrev_b64 v[39:40], s95, v[39:40]
	v_and_b32_e32 v144, s97, v39
	s_or_b64 exec, exec, s[92:93]
	s_and_saveexec_b64 s[92:93], s[56:57]
	s_cbranch_execz .LBB1255_515
.LBB1255_581:                           ;   in Loop: Header=BB1255_393 Depth=2
	ds_read_b64 v[39:40], v106 offset:21504
	s_waitcnt lgkmcnt(0)
	v_cmp_ne_u64_e32 vcc, s[82:83], v[39:40]
	v_cndmask_b32_e32 v40, v135, v40, vcc
	v_cndmask_b32_e32 v39, 0, v39, vcc
	v_lshrrev_b64 v[39:40], s95, v[39:40]
	v_and_b32_e32 v143, s97, v39
	s_or_b64 exec, exec, s[92:93]
	s_and_saveexec_b64 s[92:93], s[58:59]
	s_cbranch_execz .LBB1255_516
.LBB1255_582:                           ;   in Loop: Header=BB1255_393 Depth=2
	ds_read_b64 v[39:40], v106 offset:23552
	s_waitcnt lgkmcnt(0)
	v_cmp_ne_u64_e32 vcc, s[82:83], v[39:40]
	v_cndmask_b32_e32 v40, v135, v40, vcc
	v_cndmask_b32_e32 v39, 0, v39, vcc
	v_lshrrev_b64 v[39:40], s95, v[39:40]
	v_and_b32_e32 v142, s97, v39
	s_or_b64 exec, exec, s[92:93]
	s_and_saveexec_b64 s[92:93], s[60:61]
	s_cbranch_execz .LBB1255_517
.LBB1255_583:                           ;   in Loop: Header=BB1255_393 Depth=2
	ds_read_b64 v[39:40], v106 offset:25600
	s_waitcnt lgkmcnt(0)
	v_cmp_ne_u64_e32 vcc, s[82:83], v[39:40]
	v_cndmask_b32_e32 v40, v135, v40, vcc
	v_cndmask_b32_e32 v39, 0, v39, vcc
	v_lshrrev_b64 v[39:40], s95, v[39:40]
	v_and_b32_e32 v141, s97, v39
	s_or_b64 exec, exec, s[92:93]
	s_and_saveexec_b64 s[92:93], s[62:63]
	s_cbranch_execz .LBB1255_518
.LBB1255_584:                           ;   in Loop: Header=BB1255_393 Depth=2
	ds_read_b64 v[39:40], v106 offset:27648
	s_waitcnt lgkmcnt(0)
	v_cmp_ne_u64_e32 vcc, s[82:83], v[39:40]
	v_cndmask_b32_e32 v40, v135, v40, vcc
	v_cndmask_b32_e32 v39, 0, v39, vcc
	v_lshrrev_b64 v[39:40], s95, v[39:40]
	v_and_b32_e32 v140, s97, v39
	s_or_b64 exec, exec, s[92:93]
	s_and_saveexec_b64 s[92:93], s[64:65]
	s_cbranch_execz .LBB1255_519
.LBB1255_585:                           ;   in Loop: Header=BB1255_393 Depth=2
	ds_read_b64 v[39:40], v106 offset:29696
	s_waitcnt lgkmcnt(0)
	v_cmp_ne_u64_e32 vcc, s[82:83], v[39:40]
	v_cndmask_b32_e32 v40, v135, v40, vcc
	v_cndmask_b32_e32 v39, 0, v39, vcc
	v_lshrrev_b64 v[39:40], s95, v[39:40]
	v_and_b32_e32 v139, s97, v39
	s_or_b64 exec, exec, s[92:93]
	s_and_saveexec_b64 s[92:93], s[66:67]
	s_cbranch_execnz .LBB1255_520
	s_branch .LBB1255_521
.LBB1255_586:                           ;   in Loop: Header=BB1255_393 Depth=2
	v_lshlrev_b32_e32 v39, 2, v162
	ds_read_b32 v41, v39
	ds_read_b64 v[39:40], v106 offset:1024
	v_mov_b32_e32 v42, v3
	v_mov_b32_e32 v43, s87
	s_waitcnt lgkmcnt(1)
	v_add_u32_e32 v41, v41, v0
	v_lshlrev_b64 v[41:42], 3, v[41:42]
	v_add_co_u32_e32 v41, vcc, s86, v41
	v_addc_co_u32_e32 v42, vcc, v43, v42, vcc
	s_waitcnt lgkmcnt(0)
	global_store_dwordx2 v[41:42], v[39:40], off
	s_or_b64 exec, exec, s[92:93]
	s_and_saveexec_b64 s[36:37], s[38:39]
	s_cbranch_execz .LBB1255_523
.LBB1255_587:                           ;   in Loop: Header=BB1255_393 Depth=2
	v_lshlrev_b32_e32 v39, 2, v160
	ds_read_b32 v41, v39
	ds_read_b64 v[39:40], v106 offset:3072
	v_mov_b32_e32 v42, v3
	v_mov_b32_e32 v43, s87
	s_waitcnt lgkmcnt(1)
	v_add_u32_e32 v41, v41, v76
	v_lshlrev_b64 v[41:42], 3, v[41:42]
	v_add_co_u32_e32 v41, vcc, s86, v41
	v_addc_co_u32_e32 v42, vcc, v43, v42, vcc
	s_waitcnt lgkmcnt(0)
	global_store_dwordx2 v[41:42], v[39:40], off
	s_or_b64 exec, exec, s[36:37]
	s_and_saveexec_b64 s[36:37], s[40:41]
	s_cbranch_execz .LBB1255_524
.LBB1255_588:                           ;   in Loop: Header=BB1255_393 Depth=2
	v_lshlrev_b32_e32 v39, 2, v158
	ds_read_b32 v41, v39
	ds_read_b64 v[39:40], v106 offset:5120
	v_mov_b32_e32 v42, v3
	v_mov_b32_e32 v43, s87
	s_waitcnt lgkmcnt(1)
	v_add_u32_e32 v41, v41, v77
	v_lshlrev_b64 v[41:42], 3, v[41:42]
	v_add_co_u32_e32 v41, vcc, s86, v41
	v_addc_co_u32_e32 v42, vcc, v43, v42, vcc
	s_waitcnt lgkmcnt(0)
	global_store_dwordx2 v[41:42], v[39:40], off
	s_or_b64 exec, exec, s[36:37]
	s_and_saveexec_b64 s[36:37], s[42:43]
	s_cbranch_execz .LBB1255_525
.LBB1255_589:                           ;   in Loop: Header=BB1255_393 Depth=2
	v_lshlrev_b32_e32 v39, 2, v156
	ds_read_b32 v41, v39
	ds_read_b64 v[39:40], v106 offset:7168
	v_mov_b32_e32 v42, v3
	v_mov_b32_e32 v43, s87
	s_waitcnt lgkmcnt(1)
	v_add_u32_e32 v41, v41, v78
	v_lshlrev_b64 v[41:42], 3, v[41:42]
	v_add_co_u32_e32 v41, vcc, s86, v41
	v_addc_co_u32_e32 v42, vcc, v43, v42, vcc
	s_waitcnt lgkmcnt(0)
	global_store_dwordx2 v[41:42], v[39:40], off
	s_or_b64 exec, exec, s[36:37]
	s_and_saveexec_b64 s[36:37], s[44:45]
	s_cbranch_execz .LBB1255_526
.LBB1255_590:                           ;   in Loop: Header=BB1255_393 Depth=2
	v_lshlrev_b32_e32 v39, 2, v154
	ds_read_b32 v41, v39
	ds_read_b64 v[39:40], v106 offset:9216
	v_mov_b32_e32 v42, v3
	v_mov_b32_e32 v43, s87
	s_waitcnt lgkmcnt(1)
	v_add_u32_e32 v41, v41, v81
	v_lshlrev_b64 v[41:42], 3, v[41:42]
	v_add_co_u32_e32 v41, vcc, s86, v41
	v_addc_co_u32_e32 v42, vcc, v43, v42, vcc
	s_waitcnt lgkmcnt(0)
	global_store_dwordx2 v[41:42], v[39:40], off
	s_or_b64 exec, exec, s[36:37]
	s_and_saveexec_b64 s[36:37], s[46:47]
	s_cbranch_execz .LBB1255_527
.LBB1255_591:                           ;   in Loop: Header=BB1255_393 Depth=2
	v_lshlrev_b32_e32 v39, 2, v152
	ds_read_b32 v41, v39
	ds_read_b64 v[39:40], v106 offset:11264
	v_mov_b32_e32 v42, v3
	v_mov_b32_e32 v43, s87
	s_waitcnt lgkmcnt(1)
	v_add_u32_e32 v41, v41, v82
	v_lshlrev_b64 v[41:42], 3, v[41:42]
	v_add_co_u32_e32 v41, vcc, s86, v41
	v_addc_co_u32_e32 v42, vcc, v43, v42, vcc
	s_waitcnt lgkmcnt(0)
	global_store_dwordx2 v[41:42], v[39:40], off
	s_or_b64 exec, exec, s[36:37]
	s_and_saveexec_b64 s[36:37], s[48:49]
	s_cbranch_execz .LBB1255_528
.LBB1255_592:                           ;   in Loop: Header=BB1255_393 Depth=2
	v_lshlrev_b32_e32 v39, 2, v150
	ds_read_b32 v41, v39
	ds_read_b64 v[39:40], v106 offset:13312
	v_mov_b32_e32 v42, v3
	v_mov_b32_e32 v43, s87
	s_waitcnt lgkmcnt(1)
	v_add_u32_e32 v41, v41, v83
	v_lshlrev_b64 v[41:42], 3, v[41:42]
	v_add_co_u32_e32 v41, vcc, s86, v41
	v_addc_co_u32_e32 v42, vcc, v43, v42, vcc
	s_waitcnt lgkmcnt(0)
	global_store_dwordx2 v[41:42], v[39:40], off
	s_or_b64 exec, exec, s[36:37]
	s_and_saveexec_b64 s[36:37], s[50:51]
	s_cbranch_execz .LBB1255_529
.LBB1255_593:                           ;   in Loop: Header=BB1255_393 Depth=2
	v_lshlrev_b32_e32 v39, 2, v148
	ds_read_b32 v41, v39
	ds_read_b64 v[39:40], v106 offset:15360
	v_mov_b32_e32 v42, v3
	v_mov_b32_e32 v43, s87
	s_waitcnt lgkmcnt(1)
	v_add_u32_e32 v41, v41, v84
	v_lshlrev_b64 v[41:42], 3, v[41:42]
	v_add_co_u32_e32 v41, vcc, s86, v41
	v_addc_co_u32_e32 v42, vcc, v43, v42, vcc
	s_waitcnt lgkmcnt(0)
	global_store_dwordx2 v[41:42], v[39:40], off
	s_or_b64 exec, exec, s[36:37]
	s_and_saveexec_b64 s[36:37], s[52:53]
	s_cbranch_execz .LBB1255_530
.LBB1255_594:                           ;   in Loop: Header=BB1255_393 Depth=2
	v_lshlrev_b32_e32 v39, 2, v146
	ds_read_b32 v41, v39
	ds_read_b64 v[39:40], v106 offset:17408
	v_mov_b32_e32 v42, v3
	v_mov_b32_e32 v43, s87
	s_waitcnt lgkmcnt(1)
	v_add_u32_e32 v41, v41, v85
	v_lshlrev_b64 v[41:42], 3, v[41:42]
	v_add_co_u32_e32 v41, vcc, s86, v41
	v_addc_co_u32_e32 v42, vcc, v43, v42, vcc
	s_waitcnt lgkmcnt(0)
	global_store_dwordx2 v[41:42], v[39:40], off
	s_or_b64 exec, exec, s[36:37]
	s_and_saveexec_b64 s[36:37], s[54:55]
	s_cbranch_execz .LBB1255_531
.LBB1255_595:                           ;   in Loop: Header=BB1255_393 Depth=2
	v_lshlrev_b32_e32 v39, 2, v144
	ds_read_b32 v41, v39
	ds_read_b64 v[39:40], v106 offset:19456
	v_mov_b32_e32 v42, v3
	v_mov_b32_e32 v43, s87
	s_waitcnt lgkmcnt(1)
	v_add_u32_e32 v41, v41, v86
	v_lshlrev_b64 v[41:42], 3, v[41:42]
	v_add_co_u32_e32 v41, vcc, s86, v41
	v_addc_co_u32_e32 v42, vcc, v43, v42, vcc
	s_waitcnt lgkmcnt(0)
	global_store_dwordx2 v[41:42], v[39:40], off
	s_or_b64 exec, exec, s[36:37]
	s_and_saveexec_b64 s[36:37], s[56:57]
	s_cbranch_execz .LBB1255_532
.LBB1255_596:                           ;   in Loop: Header=BB1255_393 Depth=2
	v_lshlrev_b32_e32 v39, 2, v143
	ds_read_b32 v41, v39
	ds_read_b64 v[39:40], v106 offset:21504
	v_mov_b32_e32 v42, v3
	v_mov_b32_e32 v43, s87
	s_waitcnt lgkmcnt(1)
	v_add_u32_e32 v41, v41, v87
	v_lshlrev_b64 v[41:42], 3, v[41:42]
	v_add_co_u32_e32 v41, vcc, s86, v41
	v_addc_co_u32_e32 v42, vcc, v43, v42, vcc
	s_waitcnt lgkmcnt(0)
	global_store_dwordx2 v[41:42], v[39:40], off
	s_or_b64 exec, exec, s[36:37]
	s_and_saveexec_b64 s[36:37], s[58:59]
	s_cbranch_execz .LBB1255_533
.LBB1255_597:                           ;   in Loop: Header=BB1255_393 Depth=2
	v_lshlrev_b32_e32 v39, 2, v142
	ds_read_b32 v41, v39
	ds_read_b64 v[39:40], v106 offset:23552
	v_mov_b32_e32 v42, v3
	v_mov_b32_e32 v43, s87
	s_waitcnt lgkmcnt(1)
	v_add_u32_e32 v41, v41, v88
	v_lshlrev_b64 v[41:42], 3, v[41:42]
	v_add_co_u32_e32 v41, vcc, s86, v41
	v_addc_co_u32_e32 v42, vcc, v43, v42, vcc
	s_waitcnt lgkmcnt(0)
	global_store_dwordx2 v[41:42], v[39:40], off
	s_or_b64 exec, exec, s[36:37]
	s_and_saveexec_b64 s[36:37], s[60:61]
	s_cbranch_execz .LBB1255_534
.LBB1255_598:                           ;   in Loop: Header=BB1255_393 Depth=2
	v_lshlrev_b32_e32 v39, 2, v141
	ds_read_b32 v41, v39
	ds_read_b64 v[39:40], v106 offset:25600
	v_mov_b32_e32 v42, v3
	v_mov_b32_e32 v43, s87
	s_waitcnt lgkmcnt(1)
	v_add_u32_e32 v41, v41, v89
	v_lshlrev_b64 v[41:42], 3, v[41:42]
	v_add_co_u32_e32 v41, vcc, s86, v41
	v_addc_co_u32_e32 v42, vcc, v43, v42, vcc
	s_waitcnt lgkmcnt(0)
	global_store_dwordx2 v[41:42], v[39:40], off
	s_or_b64 exec, exec, s[36:37]
	s_and_saveexec_b64 s[36:37], s[62:63]
	s_cbranch_execz .LBB1255_535
.LBB1255_599:                           ;   in Loop: Header=BB1255_393 Depth=2
	v_lshlrev_b32_e32 v39, 2, v140
	ds_read_b32 v41, v39
	ds_read_b64 v[39:40], v106 offset:27648
	v_mov_b32_e32 v42, v3
	v_mov_b32_e32 v43, s87
	s_waitcnt lgkmcnt(1)
	v_add_u32_e32 v41, v41, v90
	v_lshlrev_b64 v[41:42], 3, v[41:42]
	v_add_co_u32_e32 v41, vcc, s86, v41
	v_addc_co_u32_e32 v42, vcc, v43, v42, vcc
	s_waitcnt lgkmcnt(0)
	global_store_dwordx2 v[41:42], v[39:40], off
	s_or_b64 exec, exec, s[36:37]
	s_and_saveexec_b64 s[36:37], s[64:65]
	s_cbranch_execz .LBB1255_536
.LBB1255_600:                           ;   in Loop: Header=BB1255_393 Depth=2
	v_lshlrev_b32_e32 v39, 2, v139
	ds_read_b32 v41, v39
	ds_read_b64 v[39:40], v106 offset:29696
	v_mov_b32_e32 v42, v3
	v_mov_b32_e32 v43, s87
	s_waitcnt lgkmcnt(1)
	v_add_u32_e32 v41, v41, v91
	v_lshlrev_b64 v[41:42], 3, v[41:42]
	v_add_co_u32_e32 v41, vcc, s86, v41
	v_addc_co_u32_e32 v42, vcc, v43, v42, vcc
	s_waitcnt lgkmcnt(0)
	global_store_dwordx2 v[41:42], v[39:40], off
	s_or_b64 exec, exec, s[36:37]
	s_and_saveexec_b64 s[36:37], s[66:67]
	s_cbranch_execnz .LBB1255_537
	s_branch .LBB1255_538
.LBB1255_601:                           ;   in Loop: Header=BB1255_17 Depth=1
	s_waitcnt lgkmcnt(0)
	s_barrier
.LBB1255_602:                           ;   in Loop: Header=BB1255_17 Depth=1
	s_mov_b64 s[16:17], 0
.LBB1255_603:                           ;   in Loop: Header=BB1255_17 Depth=1
	s_andn2_b64 vcc, exec, s[16:17]
	s_cbranch_vccnz .LBB1255_16
; %bb.604:                              ;   in Loop: Header=BB1255_17 Depth=1
	s_lshl_b32 s16, -1, s96
	s_not_b32 s96, s16
	s_mov_b64 s[16:17], -1
	s_and_b64 vcc, exec, s[70:71]
	s_cbranch_vccz .LBB1255_896
; %bb.605:                              ;   in Loop: Header=BB1255_17 Depth=1
	s_mov_b32 s20, s91
	s_mov_b32 s72, s69
	s_barrier
                                        ; implicit-def: $vgpr7_vgpr8
                                        ; implicit-def: $vgpr9_vgpr10
                                        ; implicit-def: $vgpr11_vgpr12
                                        ; implicit-def: $vgpr13_vgpr14
                                        ; implicit-def: $vgpr15_vgpr16
                                        ; implicit-def: $vgpr17_vgpr18
                                        ; implicit-def: $vgpr19_vgpr20
                                        ; implicit-def: $vgpr21_vgpr22
                                        ; implicit-def: $vgpr23_vgpr24
                                        ; implicit-def: $vgpr25_vgpr26
                                        ; implicit-def: $vgpr27_vgpr28
                                        ; implicit-def: $vgpr29_vgpr30
                                        ; implicit-def: $vgpr31_vgpr32
                                        ; implicit-def: $vgpr33_vgpr34
                                        ; implicit-def: $vgpr35_vgpr36
                                        ; implicit-def: $vgpr37_vgpr38
	s_branch .LBB1255_607
.LBB1255_606:                           ;   in Loop: Header=BB1255_607 Depth=2
	s_or_b64 exec, exec, s[16:17]
	s_addk_i32 s20, 0xf000
	s_cmp_ge_u32 s21, s94
	s_mov_b32 s72, s21
	s_cbranch_scc1 .LBB1255_675
.LBB1255_607:                           ;   Parent Loop BB1255_17 Depth=1
                                        ; =>  This Inner Loop Header: Depth=2
	s_add_i32 s21, s72, 0x1000
	s_cmp_gt_u32 s21, s94
	s_mov_b64 s[16:17], -1
                                        ; implicit-def: $vgpr39_vgpr40
                                        ; implicit-def: $vgpr41_vgpr42
                                        ; implicit-def: $vgpr43_vgpr44
                                        ; implicit-def: $vgpr45_vgpr46
                                        ; implicit-def: $vgpr47_vgpr48
                                        ; implicit-def: $vgpr49_vgpr50
                                        ; implicit-def: $vgpr51_vgpr52
                                        ; implicit-def: $vgpr53_vgpr54
                                        ; implicit-def: $vgpr55_vgpr56
                                        ; implicit-def: $vgpr57_vgpr58
                                        ; implicit-def: $vgpr59_vgpr60
                                        ; implicit-def: $vgpr61_vgpr62
                                        ; implicit-def: $vgpr63_vgpr64
                                        ; implicit-def: $vgpr65_vgpr66
                                        ; implicit-def: $vgpr67_vgpr68
                                        ; implicit-def: $vgpr69_vgpr70
	s_cbranch_scc1 .LBB1255_609
; %bb.608:                              ;   in Loop: Header=BB1255_607 Depth=2
	s_lshl_b64 s[16:17], s[72:73], 3
	v_mov_b32_e32 v4, s17
	v_add_co_u32_e32 v63, vcc, s16, v113
	v_addc_co_u32_e32 v64, vcc, v114, v4, vcc
	v_add_co_u32_e32 v47, vcc, 0x1000, v63
	v_addc_co_u32_e32 v48, vcc, 0, v64, vcc
	;; [unrolled: 2-line block ×6, first 2 shown]
	global_load_dwordx2 v[39:40], v[63:64], off
	global_load_dwordx2 v[41:42], v[63:64], off offset:2048
	global_load_dwordx2 v[43:44], v[47:48], off
	global_load_dwordx2 v[45:46], v[47:48], off offset:2048
	s_nop 0
	global_load_dwordx2 v[47:48], v[55:56], off
	global_load_dwordx2 v[49:50], v[55:56], off offset:2048
	global_load_dwordx2 v[51:52], v[57:58], off
	global_load_dwordx2 v[53:54], v[57:58], off offset:2048
	s_nop 0
	global_load_dwordx2 v[55:56], v[61:62], off
	global_load_dwordx2 v[57:58], v[61:62], off offset:2048
	global_load_dwordx2 v[59:60], v[65:66], off
                                        ; kill: killed $vgpr61 killed $vgpr62
	s_nop 0
	global_load_dwordx2 v[61:62], v[65:66], off offset:2048
	v_add_co_u32_e32 v65, vcc, 0x6000, v63
	v_addc_co_u32_e32 v66, vcc, 0, v64, vcc
	v_add_co_u32_e32 v69, vcc, 0x7000, v63
	v_addc_co_u32_e32 v70, vcc, 0, v64, vcc
	global_load_dwordx2 v[63:64], v[65:66], off
	s_nop 0
	global_load_dwordx2 v[65:66], v[65:66], off offset:2048
	s_nop 0
	global_load_dwordx2 v[67:68], v[69:70], off
	s_nop 0
	global_load_dwordx2 v[69:70], v[69:70], off offset:2048
	s_mov_b64 s[16:17], 0
.LBB1255_609:                           ;   in Loop: Header=BB1255_607 Depth=2
	s_andn2_b64 vcc, exec, s[16:17]
	s_movk_i32 s18, 0x1000
	s_cbranch_vccnz .LBB1255_628
; %bb.610:                              ;   in Loop: Header=BB1255_607 Depth=2
	s_lshl_b64 s[16:17], s[72:73], 3
	s_add_u32 s16, s76, s16
	s_addc_u32 s17, s77, s17
	v_cmp_gt_u32_e32 vcc, s20, v0
	s_and_saveexec_b64 s[18:19], vcc
	s_cbranch_execnz .LBB1255_660
; %bb.611:                              ;   in Loop: Header=BB1255_607 Depth=2
	s_or_b64 exec, exec, s[18:19]
	v_cmp_gt_u32_e32 vcc, s20, v76
	s_and_saveexec_b64 s[18:19], vcc
	s_cbranch_execnz .LBB1255_661
.LBB1255_612:                           ;   in Loop: Header=BB1255_607 Depth=2
	s_or_b64 exec, exec, s[18:19]
	v_cmp_gt_u32_e32 vcc, s20, v77
	s_and_saveexec_b64 s[18:19], vcc
	s_cbranch_execnz .LBB1255_662
.LBB1255_613:                           ;   in Loop: Header=BB1255_607 Depth=2
	s_or_b64 exec, exec, s[18:19]
	v_cmp_gt_u32_e32 vcc, s20, v78
	s_and_saveexec_b64 s[18:19], vcc
	s_cbranch_execnz .LBB1255_663
.LBB1255_614:                           ;   in Loop: Header=BB1255_607 Depth=2
	s_or_b64 exec, exec, s[18:19]
	v_cmp_gt_u32_e32 vcc, s20, v81
	s_and_saveexec_b64 s[18:19], vcc
	s_cbranch_execnz .LBB1255_664
.LBB1255_615:                           ;   in Loop: Header=BB1255_607 Depth=2
	s_or_b64 exec, exec, s[18:19]
	v_cmp_gt_u32_e32 vcc, s20, v82
	s_and_saveexec_b64 s[18:19], vcc
	s_cbranch_execnz .LBB1255_665
.LBB1255_616:                           ;   in Loop: Header=BB1255_607 Depth=2
	s_or_b64 exec, exec, s[18:19]
	v_cmp_gt_u32_e32 vcc, s20, v83
	s_and_saveexec_b64 s[18:19], vcc
	s_cbranch_execnz .LBB1255_666
.LBB1255_617:                           ;   in Loop: Header=BB1255_607 Depth=2
	s_or_b64 exec, exec, s[18:19]
	v_cmp_gt_u32_e32 vcc, s20, v84
	s_and_saveexec_b64 s[18:19], vcc
	s_cbranch_execnz .LBB1255_667
.LBB1255_618:                           ;   in Loop: Header=BB1255_607 Depth=2
	s_or_b64 exec, exec, s[18:19]
	v_cmp_gt_u32_e32 vcc, s20, v85
	s_and_saveexec_b64 s[18:19], vcc
	s_cbranch_execnz .LBB1255_668
.LBB1255_619:                           ;   in Loop: Header=BB1255_607 Depth=2
	s_or_b64 exec, exec, s[18:19]
	v_cmp_gt_u32_e32 vcc, s20, v86
	s_and_saveexec_b64 s[18:19], vcc
	s_cbranch_execnz .LBB1255_669
.LBB1255_620:                           ;   in Loop: Header=BB1255_607 Depth=2
	s_or_b64 exec, exec, s[18:19]
	v_cmp_gt_u32_e32 vcc, s20, v87
	s_and_saveexec_b64 s[18:19], vcc
	s_cbranch_execnz .LBB1255_670
.LBB1255_621:                           ;   in Loop: Header=BB1255_607 Depth=2
	s_or_b64 exec, exec, s[18:19]
	v_cmp_gt_u32_e32 vcc, s20, v88
	s_and_saveexec_b64 s[18:19], vcc
	s_cbranch_execnz .LBB1255_671
.LBB1255_622:                           ;   in Loop: Header=BB1255_607 Depth=2
	s_or_b64 exec, exec, s[18:19]
	v_cmp_gt_u32_e32 vcc, s20, v89
	s_and_saveexec_b64 s[18:19], vcc
	s_cbranch_execnz .LBB1255_672
.LBB1255_623:                           ;   in Loop: Header=BB1255_607 Depth=2
	s_or_b64 exec, exec, s[18:19]
	v_cmp_gt_u32_e32 vcc, s20, v90
	s_and_saveexec_b64 s[18:19], vcc
	s_cbranch_execnz .LBB1255_673
.LBB1255_624:                           ;   in Loop: Header=BB1255_607 Depth=2
	s_or_b64 exec, exec, s[18:19]
	v_cmp_gt_u32_e32 vcc, s20, v91
	s_and_saveexec_b64 s[18:19], vcc
	s_cbranch_execnz .LBB1255_674
.LBB1255_625:                           ;   in Loop: Header=BB1255_607 Depth=2
	s_or_b64 exec, exec, s[18:19]
	v_cmp_gt_u32_e32 vcc, s20, v92
	s_and_saveexec_b64 s[18:19], vcc
	s_cbranch_execz .LBB1255_627
.LBB1255_626:                           ;   in Loop: Header=BB1255_607 Depth=2
	global_load_dwordx2 v[7:8], v134, s[16:17]
.LBB1255_627:                           ;   in Loop: Header=BB1255_607 Depth=2
	s_or_b64 exec, exec, s[18:19]
	s_waitcnt vmcnt(0)
	v_mov_b32_e32 v40, v38
	v_mov_b32_e32 v42, v36
	;; [unrolled: 1-line block ×16, first 2 shown]
	s_mov_b32 s18, s20
	v_mov_b32_e32 v39, v37
	v_mov_b32_e32 v41, v35
	v_mov_b32_e32 v43, v33
	v_mov_b32_e32 v45, v31
	v_mov_b32_e32 v47, v29
	v_mov_b32_e32 v49, v27
	v_mov_b32_e32 v51, v25
	v_mov_b32_e32 v53, v23
	v_mov_b32_e32 v55, v21
	v_mov_b32_e32 v57, v19
	v_mov_b32_e32 v59, v17
	v_mov_b32_e32 v61, v15
	v_mov_b32_e32 v63, v13
	v_mov_b32_e32 v65, v11
	v_mov_b32_e32 v67, v9
	v_mov_b32_e32 v69, v7
.LBB1255_628:                           ;   in Loop: Header=BB1255_607 Depth=2
	s_waitcnt vmcnt(0)
	v_mov_b32_e32 v7, v69
	v_mov_b32_e32 v9, v67
	;; [unrolled: 1-line block ×32, first 2 shown]
	v_cmp_gt_u32_e32 vcc, s18, v0
	s_and_saveexec_b64 s[16:17], vcc
	s_cbranch_execnz .LBB1255_644
; %bb.629:                              ;   in Loop: Header=BB1255_607 Depth=2
	s_or_b64 exec, exec, s[16:17]
	v_cmp_gt_u32_e32 vcc, s18, v76
	s_and_saveexec_b64 s[16:17], vcc
	s_cbranch_execnz .LBB1255_645
.LBB1255_630:                           ;   in Loop: Header=BB1255_607 Depth=2
	s_or_b64 exec, exec, s[16:17]
	v_cmp_gt_u32_e32 vcc, s18, v77
	s_and_saveexec_b64 s[16:17], vcc
	s_cbranch_execnz .LBB1255_646
.LBB1255_631:                           ;   in Loop: Header=BB1255_607 Depth=2
	s_or_b64 exec, exec, s[16:17]
	v_cmp_gt_u32_e32 vcc, s18, v78
	s_and_saveexec_b64 s[16:17], vcc
	s_cbranch_execnz .LBB1255_647
.LBB1255_632:                           ;   in Loop: Header=BB1255_607 Depth=2
	s_or_b64 exec, exec, s[16:17]
	v_cmp_gt_u32_e32 vcc, s18, v81
	s_and_saveexec_b64 s[16:17], vcc
	s_cbranch_execnz .LBB1255_648
.LBB1255_633:                           ;   in Loop: Header=BB1255_607 Depth=2
	s_or_b64 exec, exec, s[16:17]
	v_cmp_gt_u32_e32 vcc, s18, v82
	s_and_saveexec_b64 s[16:17], vcc
	s_cbranch_execnz .LBB1255_649
.LBB1255_634:                           ;   in Loop: Header=BB1255_607 Depth=2
	s_or_b64 exec, exec, s[16:17]
	v_cmp_gt_u32_e32 vcc, s18, v83
	s_and_saveexec_b64 s[16:17], vcc
	s_cbranch_execnz .LBB1255_650
.LBB1255_635:                           ;   in Loop: Header=BB1255_607 Depth=2
	s_or_b64 exec, exec, s[16:17]
	v_cmp_gt_u32_e32 vcc, s18, v84
	s_and_saveexec_b64 s[16:17], vcc
	s_cbranch_execnz .LBB1255_651
.LBB1255_636:                           ;   in Loop: Header=BB1255_607 Depth=2
	s_or_b64 exec, exec, s[16:17]
	v_cmp_gt_u32_e32 vcc, s18, v85
	s_and_saveexec_b64 s[16:17], vcc
	s_cbranch_execnz .LBB1255_652
.LBB1255_637:                           ;   in Loop: Header=BB1255_607 Depth=2
	s_or_b64 exec, exec, s[16:17]
	v_cmp_gt_u32_e32 vcc, s18, v86
	s_and_saveexec_b64 s[16:17], vcc
	s_cbranch_execnz .LBB1255_653
.LBB1255_638:                           ;   in Loop: Header=BB1255_607 Depth=2
	s_or_b64 exec, exec, s[16:17]
	v_cmp_gt_u32_e32 vcc, s18, v87
	s_and_saveexec_b64 s[16:17], vcc
	s_cbranch_execnz .LBB1255_654
.LBB1255_639:                           ;   in Loop: Header=BB1255_607 Depth=2
	s_or_b64 exec, exec, s[16:17]
	v_cmp_gt_u32_e32 vcc, s18, v88
	s_and_saveexec_b64 s[16:17], vcc
	s_cbranch_execnz .LBB1255_655
.LBB1255_640:                           ;   in Loop: Header=BB1255_607 Depth=2
	s_or_b64 exec, exec, s[16:17]
	v_cmp_gt_u32_e32 vcc, s18, v89
	s_and_saveexec_b64 s[16:17], vcc
	s_cbranch_execnz .LBB1255_656
.LBB1255_641:                           ;   in Loop: Header=BB1255_607 Depth=2
	s_or_b64 exec, exec, s[16:17]
	v_cmp_gt_u32_e32 vcc, s18, v90
	s_and_saveexec_b64 s[16:17], vcc
	s_cbranch_execnz .LBB1255_657
.LBB1255_642:                           ;   in Loop: Header=BB1255_607 Depth=2
	s_or_b64 exec, exec, s[16:17]
	v_cmp_gt_u32_e32 vcc, s18, v91
	s_and_saveexec_b64 s[16:17], vcc
	s_cbranch_execnz .LBB1255_658
.LBB1255_643:                           ;   in Loop: Header=BB1255_607 Depth=2
	s_or_b64 exec, exec, s[16:17]
	v_cmp_gt_u32_e32 vcc, s18, v92
	s_and_saveexec_b64 s[16:17], vcc
	s_cbranch_execz .LBB1255_606
	s_branch .LBB1255_659
.LBB1255_644:                           ;   in Loop: Header=BB1255_607 Depth=2
	v_cmp_lt_i64_e32 vcc, -1, v[37:38]
	v_ashrrev_i32_e32 v39, 31, v38
	v_cndmask_b32_e32 v4, -1, v135, vcc
	v_xor_b32_e32 v40, v4, v38
	v_xor_b32_e32 v39, v39, v37
	v_cmp_ne_u64_e32 vcc, s[82:83], v[39:40]
	v_cndmask_b32_e32 v40, v135, v40, vcc
	v_cndmask_b32_e32 v39, 0, v39, vcc
	v_lshrrev_b64 v[39:40], s88, v[39:40]
	v_and_b32_e32 v4, s96, v39
	v_lshl_or_b32 v4, v4, 4, v93
	ds_add_u32 v4, v119
	s_or_b64 exec, exec, s[16:17]
	v_cmp_gt_u32_e32 vcc, s18, v76
	s_and_saveexec_b64 s[16:17], vcc
	s_cbranch_execz .LBB1255_630
.LBB1255_645:                           ;   in Loop: Header=BB1255_607 Depth=2
	v_cmp_lt_i64_e32 vcc, -1, v[35:36]
	v_ashrrev_i32_e32 v39, 31, v36
	v_cndmask_b32_e32 v4, -1, v135, vcc
	v_xor_b32_e32 v40, v4, v36
	v_xor_b32_e32 v39, v39, v35
	v_cmp_ne_u64_e32 vcc, s[82:83], v[39:40]
	v_cndmask_b32_e32 v40, v135, v40, vcc
	v_cndmask_b32_e32 v39, 0, v39, vcc
	v_lshrrev_b64 v[39:40], s88, v[39:40]
	v_and_b32_e32 v4, s96, v39
	v_lshl_or_b32 v4, v4, 4, v93
	ds_add_u32 v4, v119
	s_or_b64 exec, exec, s[16:17]
	v_cmp_gt_u32_e32 vcc, s18, v77
	s_and_saveexec_b64 s[16:17], vcc
	s_cbranch_execz .LBB1255_631
.LBB1255_646:                           ;   in Loop: Header=BB1255_607 Depth=2
	v_cmp_lt_i64_e32 vcc, -1, v[33:34]
	v_ashrrev_i32_e32 v39, 31, v34
	v_cndmask_b32_e32 v4, -1, v135, vcc
	v_xor_b32_e32 v40, v4, v34
	v_xor_b32_e32 v39, v39, v33
	v_cmp_ne_u64_e32 vcc, s[82:83], v[39:40]
	v_cndmask_b32_e32 v40, v135, v40, vcc
	v_cndmask_b32_e32 v39, 0, v39, vcc
	v_lshrrev_b64 v[39:40], s88, v[39:40]
	v_and_b32_e32 v4, s96, v39
	v_lshl_or_b32 v4, v4, 4, v93
	ds_add_u32 v4, v119
	s_or_b64 exec, exec, s[16:17]
	v_cmp_gt_u32_e32 vcc, s18, v78
	s_and_saveexec_b64 s[16:17], vcc
	s_cbranch_execz .LBB1255_632
.LBB1255_647:                           ;   in Loop: Header=BB1255_607 Depth=2
	v_cmp_lt_i64_e32 vcc, -1, v[31:32]
	v_ashrrev_i32_e32 v39, 31, v32
	v_cndmask_b32_e32 v4, -1, v135, vcc
	v_xor_b32_e32 v40, v4, v32
	v_xor_b32_e32 v39, v39, v31
	v_cmp_ne_u64_e32 vcc, s[82:83], v[39:40]
	v_cndmask_b32_e32 v40, v135, v40, vcc
	v_cndmask_b32_e32 v39, 0, v39, vcc
	v_lshrrev_b64 v[39:40], s88, v[39:40]
	v_and_b32_e32 v4, s96, v39
	v_lshl_or_b32 v4, v4, 4, v93
	ds_add_u32 v4, v119
	s_or_b64 exec, exec, s[16:17]
	v_cmp_gt_u32_e32 vcc, s18, v81
	s_and_saveexec_b64 s[16:17], vcc
	s_cbranch_execz .LBB1255_633
.LBB1255_648:                           ;   in Loop: Header=BB1255_607 Depth=2
	v_cmp_lt_i64_e32 vcc, -1, v[29:30]
	v_ashrrev_i32_e32 v39, 31, v30
	v_cndmask_b32_e32 v4, -1, v135, vcc
	v_xor_b32_e32 v40, v4, v30
	v_xor_b32_e32 v39, v39, v29
	v_cmp_ne_u64_e32 vcc, s[82:83], v[39:40]
	v_cndmask_b32_e32 v40, v135, v40, vcc
	v_cndmask_b32_e32 v39, 0, v39, vcc
	v_lshrrev_b64 v[39:40], s88, v[39:40]
	v_and_b32_e32 v4, s96, v39
	v_lshl_or_b32 v4, v4, 4, v93
	ds_add_u32 v4, v119
	s_or_b64 exec, exec, s[16:17]
	v_cmp_gt_u32_e32 vcc, s18, v82
	s_and_saveexec_b64 s[16:17], vcc
	s_cbranch_execz .LBB1255_634
.LBB1255_649:                           ;   in Loop: Header=BB1255_607 Depth=2
	v_cmp_lt_i64_e32 vcc, -1, v[27:28]
	v_ashrrev_i32_e32 v39, 31, v28
	v_cndmask_b32_e32 v4, -1, v135, vcc
	v_xor_b32_e32 v40, v4, v28
	v_xor_b32_e32 v39, v39, v27
	v_cmp_ne_u64_e32 vcc, s[82:83], v[39:40]
	v_cndmask_b32_e32 v40, v135, v40, vcc
	v_cndmask_b32_e32 v39, 0, v39, vcc
	v_lshrrev_b64 v[39:40], s88, v[39:40]
	v_and_b32_e32 v4, s96, v39
	v_lshl_or_b32 v4, v4, 4, v93
	ds_add_u32 v4, v119
	s_or_b64 exec, exec, s[16:17]
	v_cmp_gt_u32_e32 vcc, s18, v83
	s_and_saveexec_b64 s[16:17], vcc
	s_cbranch_execz .LBB1255_635
.LBB1255_650:                           ;   in Loop: Header=BB1255_607 Depth=2
	v_cmp_lt_i64_e32 vcc, -1, v[25:26]
	v_ashrrev_i32_e32 v39, 31, v26
	v_cndmask_b32_e32 v4, -1, v135, vcc
	v_xor_b32_e32 v40, v4, v26
	v_xor_b32_e32 v39, v39, v25
	v_cmp_ne_u64_e32 vcc, s[82:83], v[39:40]
	v_cndmask_b32_e32 v40, v135, v40, vcc
	v_cndmask_b32_e32 v39, 0, v39, vcc
	v_lshrrev_b64 v[39:40], s88, v[39:40]
	v_and_b32_e32 v4, s96, v39
	v_lshl_or_b32 v4, v4, 4, v93
	ds_add_u32 v4, v119
	s_or_b64 exec, exec, s[16:17]
	v_cmp_gt_u32_e32 vcc, s18, v84
	s_and_saveexec_b64 s[16:17], vcc
	s_cbranch_execz .LBB1255_636
.LBB1255_651:                           ;   in Loop: Header=BB1255_607 Depth=2
	v_cmp_lt_i64_e32 vcc, -1, v[23:24]
	v_ashrrev_i32_e32 v39, 31, v24
	v_cndmask_b32_e32 v4, -1, v135, vcc
	v_xor_b32_e32 v40, v4, v24
	v_xor_b32_e32 v39, v39, v23
	v_cmp_ne_u64_e32 vcc, s[82:83], v[39:40]
	v_cndmask_b32_e32 v40, v135, v40, vcc
	v_cndmask_b32_e32 v39, 0, v39, vcc
	v_lshrrev_b64 v[39:40], s88, v[39:40]
	v_and_b32_e32 v4, s96, v39
	v_lshl_or_b32 v4, v4, 4, v93
	ds_add_u32 v4, v119
	s_or_b64 exec, exec, s[16:17]
	v_cmp_gt_u32_e32 vcc, s18, v85
	s_and_saveexec_b64 s[16:17], vcc
	s_cbranch_execz .LBB1255_637
.LBB1255_652:                           ;   in Loop: Header=BB1255_607 Depth=2
	v_cmp_lt_i64_e32 vcc, -1, v[21:22]
	v_ashrrev_i32_e32 v39, 31, v22
	v_cndmask_b32_e32 v4, -1, v135, vcc
	v_xor_b32_e32 v40, v4, v22
	v_xor_b32_e32 v39, v39, v21
	v_cmp_ne_u64_e32 vcc, s[82:83], v[39:40]
	v_cndmask_b32_e32 v40, v135, v40, vcc
	v_cndmask_b32_e32 v39, 0, v39, vcc
	v_lshrrev_b64 v[39:40], s88, v[39:40]
	v_and_b32_e32 v4, s96, v39
	v_lshl_or_b32 v4, v4, 4, v93
	ds_add_u32 v4, v119
	s_or_b64 exec, exec, s[16:17]
	v_cmp_gt_u32_e32 vcc, s18, v86
	s_and_saveexec_b64 s[16:17], vcc
	s_cbranch_execz .LBB1255_638
.LBB1255_653:                           ;   in Loop: Header=BB1255_607 Depth=2
	v_cmp_lt_i64_e32 vcc, -1, v[19:20]
	v_ashrrev_i32_e32 v39, 31, v20
	v_cndmask_b32_e32 v4, -1, v135, vcc
	v_xor_b32_e32 v40, v4, v20
	v_xor_b32_e32 v39, v39, v19
	v_cmp_ne_u64_e32 vcc, s[82:83], v[39:40]
	v_cndmask_b32_e32 v40, v135, v40, vcc
	v_cndmask_b32_e32 v39, 0, v39, vcc
	v_lshrrev_b64 v[39:40], s88, v[39:40]
	v_and_b32_e32 v4, s96, v39
	v_lshl_or_b32 v4, v4, 4, v93
	ds_add_u32 v4, v119
	s_or_b64 exec, exec, s[16:17]
	v_cmp_gt_u32_e32 vcc, s18, v87
	s_and_saveexec_b64 s[16:17], vcc
	s_cbranch_execz .LBB1255_639
.LBB1255_654:                           ;   in Loop: Header=BB1255_607 Depth=2
	v_cmp_lt_i64_e32 vcc, -1, v[17:18]
	v_ashrrev_i32_e32 v39, 31, v18
	v_cndmask_b32_e32 v4, -1, v135, vcc
	v_xor_b32_e32 v40, v4, v18
	v_xor_b32_e32 v39, v39, v17
	v_cmp_ne_u64_e32 vcc, s[82:83], v[39:40]
	v_cndmask_b32_e32 v40, v135, v40, vcc
	v_cndmask_b32_e32 v39, 0, v39, vcc
	v_lshrrev_b64 v[39:40], s88, v[39:40]
	v_and_b32_e32 v4, s96, v39
	v_lshl_or_b32 v4, v4, 4, v93
	ds_add_u32 v4, v119
	s_or_b64 exec, exec, s[16:17]
	v_cmp_gt_u32_e32 vcc, s18, v88
	s_and_saveexec_b64 s[16:17], vcc
	s_cbranch_execz .LBB1255_640
.LBB1255_655:                           ;   in Loop: Header=BB1255_607 Depth=2
	v_cmp_lt_i64_e32 vcc, -1, v[15:16]
	v_ashrrev_i32_e32 v39, 31, v16
	v_cndmask_b32_e32 v4, -1, v135, vcc
	v_xor_b32_e32 v40, v4, v16
	v_xor_b32_e32 v39, v39, v15
	v_cmp_ne_u64_e32 vcc, s[82:83], v[39:40]
	v_cndmask_b32_e32 v40, v135, v40, vcc
	v_cndmask_b32_e32 v39, 0, v39, vcc
	v_lshrrev_b64 v[39:40], s88, v[39:40]
	v_and_b32_e32 v4, s96, v39
	v_lshl_or_b32 v4, v4, 4, v93
	ds_add_u32 v4, v119
	s_or_b64 exec, exec, s[16:17]
	v_cmp_gt_u32_e32 vcc, s18, v89
	s_and_saveexec_b64 s[16:17], vcc
	s_cbranch_execz .LBB1255_641
.LBB1255_656:                           ;   in Loop: Header=BB1255_607 Depth=2
	v_cmp_lt_i64_e32 vcc, -1, v[13:14]
	v_ashrrev_i32_e32 v39, 31, v14
	v_cndmask_b32_e32 v4, -1, v135, vcc
	v_xor_b32_e32 v40, v4, v14
	v_xor_b32_e32 v39, v39, v13
	v_cmp_ne_u64_e32 vcc, s[82:83], v[39:40]
	v_cndmask_b32_e32 v40, v135, v40, vcc
	v_cndmask_b32_e32 v39, 0, v39, vcc
	v_lshrrev_b64 v[39:40], s88, v[39:40]
	v_and_b32_e32 v4, s96, v39
	v_lshl_or_b32 v4, v4, 4, v93
	ds_add_u32 v4, v119
	s_or_b64 exec, exec, s[16:17]
	v_cmp_gt_u32_e32 vcc, s18, v90
	s_and_saveexec_b64 s[16:17], vcc
	s_cbranch_execz .LBB1255_642
.LBB1255_657:                           ;   in Loop: Header=BB1255_607 Depth=2
	v_cmp_lt_i64_e32 vcc, -1, v[11:12]
	v_ashrrev_i32_e32 v39, 31, v12
	v_cndmask_b32_e32 v4, -1, v135, vcc
	v_xor_b32_e32 v40, v4, v12
	v_xor_b32_e32 v39, v39, v11
	v_cmp_ne_u64_e32 vcc, s[82:83], v[39:40]
	v_cndmask_b32_e32 v40, v135, v40, vcc
	v_cndmask_b32_e32 v39, 0, v39, vcc
	v_lshrrev_b64 v[39:40], s88, v[39:40]
	v_and_b32_e32 v4, s96, v39
	v_lshl_or_b32 v4, v4, 4, v93
	ds_add_u32 v4, v119
	s_or_b64 exec, exec, s[16:17]
	v_cmp_gt_u32_e32 vcc, s18, v91
	s_and_saveexec_b64 s[16:17], vcc
	s_cbranch_execz .LBB1255_643
.LBB1255_658:                           ;   in Loop: Header=BB1255_607 Depth=2
	v_cmp_lt_i64_e32 vcc, -1, v[9:10]
	v_ashrrev_i32_e32 v39, 31, v10
	v_cndmask_b32_e32 v4, -1, v135, vcc
	v_xor_b32_e32 v40, v4, v10
	v_xor_b32_e32 v39, v39, v9
	v_cmp_ne_u64_e32 vcc, s[82:83], v[39:40]
	v_cndmask_b32_e32 v40, v135, v40, vcc
	v_cndmask_b32_e32 v39, 0, v39, vcc
	v_lshrrev_b64 v[39:40], s88, v[39:40]
	v_and_b32_e32 v4, s96, v39
	v_lshl_or_b32 v4, v4, 4, v93
	ds_add_u32 v4, v119
	s_or_b64 exec, exec, s[16:17]
	v_cmp_gt_u32_e32 vcc, s18, v92
	s_and_saveexec_b64 s[16:17], vcc
	s_cbranch_execz .LBB1255_606
.LBB1255_659:                           ;   in Loop: Header=BB1255_607 Depth=2
	v_cmp_lt_i64_e32 vcc, -1, v[7:8]
	v_ashrrev_i32_e32 v39, 31, v8
	v_cndmask_b32_e32 v4, -1, v135, vcc
	v_xor_b32_e32 v40, v4, v8
	v_xor_b32_e32 v39, v39, v7
	v_cmp_ne_u64_e32 vcc, s[82:83], v[39:40]
	v_cndmask_b32_e32 v40, v135, v40, vcc
	v_cndmask_b32_e32 v39, 0, v39, vcc
	v_lshrrev_b64 v[39:40], s88, v[39:40]
	v_and_b32_e32 v4, s96, v39
	v_lshl_or_b32 v4, v4, 4, v93
	ds_add_u32 v4, v119
	s_branch .LBB1255_606
.LBB1255_660:                           ;   in Loop: Header=BB1255_607 Depth=2
	global_load_dwordx2 v[37:38], v120, s[16:17]
	s_or_b64 exec, exec, s[18:19]
	v_cmp_gt_u32_e32 vcc, s20, v76
	s_and_saveexec_b64 s[18:19], vcc
	s_cbranch_execz .LBB1255_612
.LBB1255_661:                           ;   in Loop: Header=BB1255_607 Depth=2
	global_load_dwordx2 v[35:36], v120, s[16:17] offset:2048
	s_or_b64 exec, exec, s[18:19]
	v_cmp_gt_u32_e32 vcc, s20, v77
	s_and_saveexec_b64 s[18:19], vcc
	s_cbranch_execz .LBB1255_613
.LBB1255_662:                           ;   in Loop: Header=BB1255_607 Depth=2
	global_load_dwordx2 v[33:34], v121, s[16:17]
	s_or_b64 exec, exec, s[18:19]
	v_cmp_gt_u32_e32 vcc, s20, v78
	s_and_saveexec_b64 s[18:19], vcc
	s_cbranch_execz .LBB1255_614
.LBB1255_663:                           ;   in Loop: Header=BB1255_607 Depth=2
	global_load_dwordx2 v[31:32], v122, s[16:17]
	s_or_b64 exec, exec, s[18:19]
	v_cmp_gt_u32_e32 vcc, s20, v81
	s_and_saveexec_b64 s[18:19], vcc
	s_cbranch_execz .LBB1255_615
.LBB1255_664:                           ;   in Loop: Header=BB1255_607 Depth=2
	global_load_dwordx2 v[29:30], v123, s[16:17]
	s_or_b64 exec, exec, s[18:19]
	v_cmp_gt_u32_e32 vcc, s20, v82
	s_and_saveexec_b64 s[18:19], vcc
	s_cbranch_execz .LBB1255_616
.LBB1255_665:                           ;   in Loop: Header=BB1255_607 Depth=2
	global_load_dwordx2 v[27:28], v124, s[16:17]
	s_or_b64 exec, exec, s[18:19]
	v_cmp_gt_u32_e32 vcc, s20, v83
	s_and_saveexec_b64 s[18:19], vcc
	s_cbranch_execz .LBB1255_617
.LBB1255_666:                           ;   in Loop: Header=BB1255_607 Depth=2
	global_load_dwordx2 v[25:26], v125, s[16:17]
	s_or_b64 exec, exec, s[18:19]
	v_cmp_gt_u32_e32 vcc, s20, v84
	s_and_saveexec_b64 s[18:19], vcc
	s_cbranch_execz .LBB1255_618
.LBB1255_667:                           ;   in Loop: Header=BB1255_607 Depth=2
	global_load_dwordx2 v[23:24], v126, s[16:17]
	s_or_b64 exec, exec, s[18:19]
	v_cmp_gt_u32_e32 vcc, s20, v85
	s_and_saveexec_b64 s[18:19], vcc
	s_cbranch_execz .LBB1255_619
.LBB1255_668:                           ;   in Loop: Header=BB1255_607 Depth=2
	global_load_dwordx2 v[21:22], v127, s[16:17]
	s_or_b64 exec, exec, s[18:19]
	v_cmp_gt_u32_e32 vcc, s20, v86
	s_and_saveexec_b64 s[18:19], vcc
	s_cbranch_execz .LBB1255_620
.LBB1255_669:                           ;   in Loop: Header=BB1255_607 Depth=2
	global_load_dwordx2 v[19:20], v128, s[16:17]
	s_or_b64 exec, exec, s[18:19]
	v_cmp_gt_u32_e32 vcc, s20, v87
	s_and_saveexec_b64 s[18:19], vcc
	s_cbranch_execz .LBB1255_621
.LBB1255_670:                           ;   in Loop: Header=BB1255_607 Depth=2
	global_load_dwordx2 v[17:18], v129, s[16:17]
	s_or_b64 exec, exec, s[18:19]
	v_cmp_gt_u32_e32 vcc, s20, v88
	s_and_saveexec_b64 s[18:19], vcc
	s_cbranch_execz .LBB1255_622
.LBB1255_671:                           ;   in Loop: Header=BB1255_607 Depth=2
	global_load_dwordx2 v[15:16], v130, s[16:17]
	s_or_b64 exec, exec, s[18:19]
	v_cmp_gt_u32_e32 vcc, s20, v89
	s_and_saveexec_b64 s[18:19], vcc
	s_cbranch_execz .LBB1255_623
.LBB1255_672:                           ;   in Loop: Header=BB1255_607 Depth=2
	global_load_dwordx2 v[13:14], v131, s[16:17]
	s_or_b64 exec, exec, s[18:19]
	v_cmp_gt_u32_e32 vcc, s20, v90
	s_and_saveexec_b64 s[18:19], vcc
	s_cbranch_execz .LBB1255_624
.LBB1255_673:                           ;   in Loop: Header=BB1255_607 Depth=2
	global_load_dwordx2 v[11:12], v132, s[16:17]
	s_or_b64 exec, exec, s[18:19]
	v_cmp_gt_u32_e32 vcc, s20, v91
	s_and_saveexec_b64 s[18:19], vcc
	s_cbranch_execz .LBB1255_625
.LBB1255_674:                           ;   in Loop: Header=BB1255_607 Depth=2
	global_load_dwordx2 v[9:10], v133, s[16:17]
	s_or_b64 exec, exec, s[18:19]
	v_cmp_gt_u32_e32 vcc, s20, v92
	s_and_saveexec_b64 s[18:19], vcc
	s_cbranch_execnz .LBB1255_626
	s_branch .LBB1255_627
.LBB1255_675:                           ;   in Loop: Header=BB1255_17 Depth=1
	v_mov_b32_e32 v4, 0
	s_waitcnt lgkmcnt(0)
	s_barrier
	s_and_saveexec_b64 s[16:17], s[4:5]
	s_cbranch_execz .LBB1255_677
; %bb.676:                              ;   in Loop: Header=BB1255_17 Depth=1
	ds_read2_b64 v[7:10], v94 offset1:1
	s_waitcnt lgkmcnt(0)
	v_add_u32_e32 v4, v8, v7
	v_add3_u32 v4, v4, v9, v10
.LBB1255_677:                           ;   in Loop: Header=BB1255_17 Depth=1
	s_or_b64 exec, exec, s[16:17]
	v_and_b32_e32 v7, 15, v136
	v_mov_b32_dpp v8, v4 row_shr:1 row_mask:0xf bank_mask:0xf
	v_cmp_eq_u32_e64 s[16:17], 0, v7
	v_cndmask_b32_e64 v8, v8, 0, s[16:17]
	v_add_u32_e32 v4, v8, v4
	v_cmp_lt_u32_e64 s[18:19], 1, v7
	v_cmp_lt_u32_e64 s[20:21], 3, v7
	v_mov_b32_dpp v8, v4 row_shr:2 row_mask:0xf bank_mask:0xf
	v_cndmask_b32_e64 v8, 0, v8, s[18:19]
	v_add_u32_e32 v4, v4, v8
	v_cmp_lt_u32_e64 s[22:23], 7, v7
	v_cmp_lt_u32_e64 s[26:27], 31, v136
	v_mov_b32_dpp v8, v4 row_shr:4 row_mask:0xf bank_mask:0xf
	v_cndmask_b32_e64 v8, 0, v8, s[20:21]
	v_add_u32_e32 v4, v4, v8
	v_and_b32_e32 v9, 16, v136
	v_cmp_eq_u32_e64 s[24:25], 0, v9
	v_mov_b32_dpp v8, v4 row_shr:8 row_mask:0xf bank_mask:0xf
	v_cndmask_b32_e64 v7, 0, v8, s[22:23]
	v_add_u32_e32 v4, v4, v7
	v_bfe_i32 v8, v136, 4, 1
	s_nop 0
	v_mov_b32_dpp v7, v4 row_bcast:15 row_mask:0xf bank_mask:0xf
	v_and_b32_e32 v7, v8, v7
	v_add_u32_e32 v4, v4, v7
	s_nop 1
	v_mov_b32_dpp v7, v4 row_bcast:31 row_mask:0xf bank_mask:0xf
	v_cndmask_b32_e64 v7, 0, v7, s[26:27]
	v_add_u32_e32 v7, v4, v7
	s_and_saveexec_b64 s[28:29], s[6:7]
; %bb.678:                              ;   in Loop: Header=BB1255_17 Depth=1
	ds_write_b32 v96, v7
; %bb.679:                              ;   in Loop: Header=BB1255_17 Depth=1
	s_or_b64 exec, exec, s[28:29]
	v_and_b32_e32 v4, 3, v136
	s_waitcnt lgkmcnt(0)
	s_barrier
	s_and_saveexec_b64 s[28:29], s[8:9]
	s_cbranch_execz .LBB1255_681
; %bb.680:                              ;   in Loop: Header=BB1255_17 Depth=1
	ds_read_b32 v8, v97
	v_cmp_ne_u32_e32 vcc, 0, v4
	s_waitcnt lgkmcnt(0)
	v_mov_b32_dpp v9, v8 row_shr:1 row_mask:0xf bank_mask:0xf
	v_cndmask_b32_e32 v9, 0, v9, vcc
	v_add_u32_e32 v8, v9, v8
	v_cmp_lt_u32_e32 vcc, 1, v4
	s_nop 0
	v_mov_b32_dpp v9, v8 row_shr:2 row_mask:0xf bank_mask:0xf
	v_cndmask_b32_e32 v9, 0, v9, vcc
	v_add_u32_e32 v8, v8, v9
	ds_write_b32 v97, v8
.LBB1255_681:                           ;   in Loop: Header=BB1255_17 Depth=1
	s_or_b64 exec, exec, s[28:29]
	v_mov_b32_e32 v8, 0
	s_waitcnt lgkmcnt(0)
	s_barrier
	s_and_saveexec_b64 s[28:29], s[10:11]
; %bb.682:                              ;   in Loop: Header=BB1255_17 Depth=1
	ds_read_b32 v8, v98
; %bb.683:                              ;   in Loop: Header=BB1255_17 Depth=1
	s_or_b64 exec, exec, s[28:29]
	v_subrev_co_u32_e64 v9, s[28:29], 1, v136
	v_and_b32_e32 v10, 64, v136
	v_cmp_lt_i32_e32 vcc, v9, v10
	v_cndmask_b32_e32 v9, v9, v136, vcc
	s_waitcnt lgkmcnt(0)
	v_add_u32_e32 v7, v8, v7
	v_lshlrev_b32_e32 v137, 2, v9
	ds_bpermute_b32 v7, v137, v7
	s_waitcnt lgkmcnt(0)
	s_barrier
	s_and_saveexec_b64 s[30:31], s[4:5]
; %bb.684:                              ;   in Loop: Header=BB1255_17 Depth=1
	v_cndmask_b32_e64 v7, v7, v8, s[28:29]
	v_add_u32_e32 v7, s69, v7
	ds_write_b32 v75, v7
; %bb.685:                              ;   in Loop: Header=BB1255_17 Depth=1
	s_or_b64 exec, exec, s[30:31]
	s_load_dwordx2 s[30:31], s[74:75], 0x0
	s_mov_b32 s97, s91
	s_mov_b32 s72, s69
                                        ; implicit-def: $vgpr7_vgpr8
                                        ; implicit-def: $vgpr9_vgpr10
                                        ; implicit-def: $vgpr11_vgpr12
                                        ; implicit-def: $vgpr15_vgpr16
                                        ; implicit-def: $vgpr19_vgpr20
                                        ; implicit-def: $vgpr23_vgpr24
                                        ; implicit-def: $vgpr27_vgpr28
                                        ; implicit-def: $vgpr31_vgpr32
                                        ; implicit-def: $vgpr13_vgpr14
                                        ; implicit-def: $vgpr17_vgpr18
                                        ; implicit-def: $vgpr21_vgpr22
                                        ; implicit-def: $vgpr25_vgpr26
                                        ; implicit-def: $vgpr29_vgpr30
                                        ; implicit-def: $vgpr33_vgpr34
                                        ; implicit-def: $vgpr35_vgpr36
                                        ; implicit-def: $vgpr37_vgpr38
                                        ; implicit-def: $vgpr138
                                        ; implicit-def: $vgpr139
                                        ; implicit-def: $vgpr140
                                        ; implicit-def: $vgpr141
                                        ; implicit-def: $vgpr142
                                        ; implicit-def: $vgpr143
                                        ; implicit-def: $vgpr144
                                        ; implicit-def: $vgpr146
                                        ; implicit-def: $vgpr148
                                        ; implicit-def: $vgpr150
                                        ; implicit-def: $vgpr152
                                        ; implicit-def: $vgpr154
                                        ; implicit-def: $vgpr156
                                        ; implicit-def: $vgpr158
                                        ; implicit-def: $vgpr160
                                        ; implicit-def: $vgpr162
	s_waitcnt lgkmcnt(0)
	s_cmp_lt_u32 s33, s31
	s_cselect_b32 s31, 14, 20
	s_add_u32 s34, s74, s31
	s_addc_u32 s35, s75, 0
	s_cmp_lt_u32 s68, s30
	s_cselect_b32 s30, 12, 18
	s_add_u32 s30, s74, s30
	global_load_ushort v39, v3, s[34:35]
	s_addc_u32 s31, s75, 0
	global_load_ushort v40, v3, s[30:31]
	v_cmp_eq_u32_e64 s[30:31], 0, v4
	v_cmp_lt_u32_e64 s[34:35], 1, v4
	v_and_b32_e32 v4, 63, v136
	v_lshlrev_b32_e32 v41, 3, v4
	v_or_b32_e32 v145, v4, v99
	v_add_co_u32_e32 v147, vcc, v115, v41
	v_addc_co_u32_e32 v149, vcc, 0, v116, vcc
	v_add_co_u32_e32 v172, vcc, v117, v41
	v_or_b32_e32 v151, 64, v145
	v_or_b32_e32 v153, 0x80, v145
	;; [unrolled: 1-line block ×15, first 2 shown]
	v_addc_co_u32_e32 v173, vcc, 0, v118, vcc
	s_waitcnt vmcnt(1)
	v_mad_u32_u24 v4, v2, v39, v1
	s_waitcnt vmcnt(0)
	v_mad_u64_u32 v[39:40], s[36:37], v4, v40, v[0:1]
	v_lshrrev_b32_e32 v4, 4, v39
	v_and_b32_e32 v174, 0xffffffc, v4
	s_branch .LBB1255_687
.LBB1255_686:                           ;   in Loop: Header=BB1255_687 Depth=2
	s_or_b64 exec, exec, s[36:37]
	s_addk_i32 s97, 0xf000
	s_cmp_lt_u32 s98, s94
	s_mov_b32 s72, s98
	s_cbranch_scc0 .LBB1255_895
.LBB1255_687:                           ;   Parent Loop BB1255_17 Depth=1
                                        ; =>  This Inner Loop Header: Depth=2
	s_add_i32 s98, s72, 0x1000
	s_cmp_gt_u32 s98, s94
	s_cbranch_scc1 .LBB1255_689
; %bb.688:                              ;   in Loop: Header=BB1255_687 Depth=2
	s_lshl_b64 s[36:37], s[72:73], 3
	v_mov_b32_e32 v4, s37
	v_add_co_u32_e32 v43, vcc, s36, v172
	v_addc_co_u32_e32 v44, vcc, v173, v4, vcc
	global_load_dwordx2 v[39:40], v[43:44], off
	global_load_dwordx2 v[41:42], v[43:44], off offset:512
	global_load_dwordx2 v[47:48], v[43:44], off offset:1024
	;; [unrolled: 1-line block ×7, first 2 shown]
	v_add_co_u32_e32 v43, vcc, 0x1000, v43
	v_addc_co_u32_e32 v44, vcc, 0, v44, vcc
	global_load_dwordx2 v[69:70], v[43:44], off
	global_load_dwordx2 v[65:66], v[43:44], off offset:512
	global_load_dwordx2 v[61:62], v[43:44], off offset:1024
	;; [unrolled: 1-line block ×5, first 2 shown]
	s_nop 0
	global_load_dwordx2 v[43:44], v[43:44], off offset:3072
	s_mov_b64 s[36:37], -1
	s_movk_i32 s40, 0x1000
	s_cbranch_execz .LBB1255_690
	s_branch .LBB1255_721
.LBB1255_689:                           ;   in Loop: Header=BB1255_687 Depth=2
	s_mov_b64 s[36:37], 0
                                        ; implicit-def: $vgpr39_vgpr40
                                        ; implicit-def: $vgpr41_vgpr42
                                        ; implicit-def: $vgpr47_vgpr48
                                        ; implicit-def: $vgpr51_vgpr52
                                        ; implicit-def: $vgpr55_vgpr56
                                        ; implicit-def: $vgpr59_vgpr60
                                        ; implicit-def: $vgpr63_vgpr64
                                        ; implicit-def: $vgpr67_vgpr68
                                        ; implicit-def: $vgpr69_vgpr70
                                        ; implicit-def: $vgpr65_vgpr66
                                        ; implicit-def: $vgpr61_vgpr62
                                        ; implicit-def: $vgpr57_vgpr58
                                        ; implicit-def: $vgpr53_vgpr54
                                        ; implicit-def: $vgpr49_vgpr50
                                        ; implicit-def: $vgpr43_vgpr44
	s_movk_i32 s40, 0x1000
.LBB1255_690:                           ;   in Loop: Header=BB1255_687 Depth=2
	s_lshl_b64 s[36:37], s[72:73], 3
	v_mov_b32_e32 v4, s37
	v_add_co_u32_e32 v45, vcc, s36, v172
	s_waitcnt vmcnt(13)
	v_mov_b32_e32 v41, v5
	v_addc_co_u32_e32 v46, vcc, v173, v4, vcc
	v_mov_b32_e32 v42, v6
	v_mov_b32_e32 v39, v41
	v_cmp_gt_u32_e32 vcc, s97, v145
	v_mov_b32_e32 v40, v42
	s_and_saveexec_b64 s[36:37], vcc
	s_cbranch_execz .LBB1255_692
; %bb.691:                              ;   in Loop: Header=BB1255_687 Depth=2
	global_load_dwordx2 v[39:40], v[45:46], off
.LBB1255_692:                           ;   in Loop: Header=BB1255_687 Depth=2
	s_or_b64 exec, exec, s[36:37]
	v_cmp_gt_u32_e32 vcc, s97, v151
	s_and_saveexec_b64 s[36:37], vcc
	s_cbranch_execz .LBB1255_694
; %bb.693:                              ;   in Loop: Header=BB1255_687 Depth=2
	global_load_dwordx2 v[41:42], v[45:46], off offset:512
.LBB1255_694:                           ;   in Loop: Header=BB1255_687 Depth=2
	s_or_b64 exec, exec, s[36:37]
	s_waitcnt vmcnt(12)
	v_mov_b32_e32 v48, v6
	v_cmp_gt_u32_e32 vcc, s97, v153
	v_mov_b32_e32 v47, v5
	s_and_saveexec_b64 s[36:37], vcc
	s_cbranch_execz .LBB1255_696
; %bb.695:                              ;   in Loop: Header=BB1255_687 Depth=2
	global_load_dwordx2 v[47:48], v[45:46], off offset:1024
.LBB1255_696:                           ;   in Loop: Header=BB1255_687 Depth=2
	s_or_b64 exec, exec, s[36:37]
	s_waitcnt vmcnt(11)
	v_mov_b32_e32 v52, v6
	v_cmp_gt_u32_e32 vcc, s97, v155
	v_mov_b32_e32 v51, v5
	;; [unrolled: 10-line block ×7, first 2 shown]
	s_and_saveexec_b64 s[36:37], vcc
	s_cbranch_execz .LBB1255_708
; %bb.707:                              ;   in Loop: Header=BB1255_687 Depth=2
	s_waitcnt vmcnt(0)
	v_add_co_u32_e32 v43, vcc, 0x1000, v45
	v_addc_co_u32_e32 v44, vcc, 0, v46, vcc
	global_load_dwordx2 v[69:70], v[43:44], off
.LBB1255_708:                           ;   in Loop: Header=BB1255_687 Depth=2
	s_or_b64 exec, exec, s[36:37]
	s_waitcnt vmcnt(5)
	v_mov_b32_e32 v66, v6
	v_cmp_gt_u32_e32 vcc, s97, v165
	v_mov_b32_e32 v65, v5
	s_and_saveexec_b64 s[36:37], vcc
	s_cbranch_execz .LBB1255_710
; %bb.709:                              ;   in Loop: Header=BB1255_687 Depth=2
	s_waitcnt vmcnt(0)
	v_add_co_u32_e32 v43, vcc, 0x1000, v45
	v_addc_co_u32_e32 v44, vcc, 0, v46, vcc
	global_load_dwordx2 v[65:66], v[43:44], off offset:512
.LBB1255_710:                           ;   in Loop: Header=BB1255_687 Depth=2
	s_or_b64 exec, exec, s[36:37]
	s_waitcnt vmcnt(4)
	v_mov_b32_e32 v62, v6
	v_cmp_gt_u32_e32 vcc, s97, v166
	v_mov_b32_e32 v61, v5
	s_and_saveexec_b64 s[36:37], vcc
	s_cbranch_execz .LBB1255_712
; %bb.711:                              ;   in Loop: Header=BB1255_687 Depth=2
	s_waitcnt vmcnt(0)
	v_add_co_u32_e32 v43, vcc, 0x1000, v45
	v_addc_co_u32_e32 v44, vcc, 0, v46, vcc
	global_load_dwordx2 v[61:62], v[43:44], off offset:1024
.LBB1255_712:                           ;   in Loop: Header=BB1255_687 Depth=2
	;; [unrolled: 13-line block ×5, first 2 shown]
	s_or_b64 exec, exec, s[36:37]
	s_waitcnt vmcnt(0)
	v_mov_b32_e32 v44, v6
	v_cmp_gt_u32_e32 vcc, s97, v170
	v_mov_b32_e32 v43, v5
	s_and_saveexec_b64 s[36:37], vcc
	s_cbranch_execz .LBB1255_720
; %bb.719:                              ;   in Loop: Header=BB1255_687 Depth=2
	v_add_co_u32_e32 v43, vcc, 0x1000, v45
	v_addc_co_u32_e32 v44, vcc, 0, v46, vcc
	global_load_dwordx2 v[43:44], v[43:44], off offset:3072
.LBB1255_720:                           ;   in Loop: Header=BB1255_687 Depth=2
	s_or_b64 exec, exec, s[36:37]
	s_sub_i32 s40, s94, s72
	v_cmp_gt_u32_e64 s[36:37], s97, v171
.LBB1255_721:                           ;   in Loop: Header=BB1255_687 Depth=2
	v_mov_b32_e32 v46, v6
	v_mov_b32_e32 v175, s97
	;; [unrolled: 1-line block ×3, first 2 shown]
	s_and_saveexec_b64 s[38:39], s[36:37]
	s_cbranch_execz .LBB1255_723
; %bb.722:                              ;   in Loop: Header=BB1255_687 Depth=2
	s_lshl_b64 s[36:37], s[72:73], 3
	v_mov_b32_e32 v4, s37
	v_add_co_u32_e32 v45, vcc, s36, v172
	v_addc_co_u32_e32 v4, vcc, v173, v4, vcc
	v_add_co_u32_e32 v45, vcc, 0x1000, v45
	v_addc_co_u32_e32 v46, vcc, 0, v4, vcc
	global_load_dwordx2 v[45:46], v[45:46], off offset:3584
	v_mov_b32_e32 v175, s40
.LBB1255_723:                           ;   in Loop: Header=BB1255_687 Depth=2
	s_or_b64 exec, exec, s[38:39]
	s_waitcnt vmcnt(14)
	v_cmp_lt_i64_e32 vcc, -1, v[39:40]
	v_ashrrev_i32_e32 v71, 31, v40
	v_cndmask_b32_e32 v4, -1, v135, vcc
	v_xor_b32_e32 v40, v4, v40
	v_xor_b32_e32 v39, v71, v39
	v_cmp_ne_u64_e32 vcc, s[82:83], v[39:40]
	v_add_u32_e32 v177, 0x410, v100
	v_cndmask_b32_e32 v72, v135, v40, vcc
	v_cndmask_b32_e32 v71, 0, v39, vcc
	v_lshrrev_b64 v[71:72], s88, v[71:72]
	v_add_u32_e32 v176, 0x418, v100
	v_and_b32_e32 v71, s96, v71
	v_and_b32_e32 v4, 1, v71
	v_add_co_u32_e32 v72, vcc, -1, v4
	v_addc_co_u32_e64 v74, s[36:37], 0, -1, vcc
	v_cmp_ne_u32_e32 vcc, 0, v4
	v_xor_b32_e32 v4, vcc_hi, v74
	v_and_b32_e32 v74, exec_hi, v4
	v_lshlrev_b32_e32 v4, 30, v71
	v_xor_b32_e32 v72, vcc_lo, v72
	v_cmp_gt_i64_e32 vcc, 0, v[3:4]
	v_not_b32_e32 v4, v4
	v_ashrrev_i32_e32 v4, 31, v4
	v_and_b32_e32 v72, exec_lo, v72
	v_xor_b32_e32 v178, vcc_hi, v4
	v_xor_b32_e32 v4, vcc_lo, v4
	v_and_b32_e32 v72, v72, v4
	v_lshlrev_b32_e32 v4, 29, v71
	v_cmp_gt_i64_e32 vcc, 0, v[3:4]
	v_not_b32_e32 v4, v4
	v_ashrrev_i32_e32 v4, 31, v4
	v_and_b32_e32 v74, v74, v178
	v_xor_b32_e32 v178, vcc_hi, v4
	v_xor_b32_e32 v4, vcc_lo, v4
	v_and_b32_e32 v72, v72, v4
	v_lshlrev_b32_e32 v4, 28, v71
	v_cmp_gt_i64_e32 vcc, 0, v[3:4]
	v_not_b32_e32 v4, v4
	v_ashrrev_i32_e32 v4, 31, v4
	v_and_b32_e32 v74, v74, v178
	;; [unrolled: 8-line block ×5, first 2 shown]
	v_xor_b32_e32 v178, vcc_hi, v4
	v_xor_b32_e32 v4, vcc_lo, v4
	v_and_b32_e32 v74, v74, v178
	v_and_b32_e32 v178, v72, v4
	v_lshlrev_b32_e32 v4, 24, v71
	v_cmp_gt_i64_e32 vcc, 0, v[3:4]
	v_not_b32_e32 v4, v4
	v_ashrrev_i32_e32 v4, 31, v4
	v_mul_u32_u24_e32 v73, 20, v71
	v_xor_b32_e32 v71, vcc_hi, v4
	v_xor_b32_e32 v4, vcc_lo, v4
	v_and_b32_e32 v72, v74, v71
	v_and_b32_e32 v71, v178, v4
	v_mbcnt_lo_u32_b32 v4, v71, 0
	v_mbcnt_hi_u32_b32 v178, v72, v4
	v_cmp_ne_u64_e32 vcc, 0, v[71:72]
	v_cmp_eq_u32_e64 s[36:37], 0, v178
	s_and_b64 s[38:39], vcc, s[36:37]
	v_add_u32_e32 v180, v174, v73
	ds_write2_b32 v177, v3, v3 offset1:1
	ds_write2_b32 v176, v3, v3 offset1:1
	ds_write_b32 v100, v3 offset:1056
	s_waitcnt vmcnt(0) lgkmcnt(0)
	s_barrier
	; wave barrier
	s_and_saveexec_b64 s[36:37], s[38:39]
; %bb.724:                              ;   in Loop: Header=BB1255_687 Depth=2
	v_bcnt_u32_b32 v4, v71, 0
	v_bcnt_u32_b32 v4, v72, v4
	ds_write_b32 v180, v4 offset:1040
; %bb.725:                              ;   in Loop: Header=BB1255_687 Depth=2
	s_or_b64 exec, exec, s[36:37]
	v_cmp_lt_i64_e32 vcc, -1, v[41:42]
	v_ashrrev_i32_e32 v71, 31, v42
	v_cndmask_b32_e32 v4, -1, v135, vcc
	v_xor_b32_e32 v42, v4, v42
	v_xor_b32_e32 v41, v71, v41
	v_cmp_ne_u64_e32 vcc, s[82:83], v[41:42]
	v_cndmask_b32_e32 v72, v135, v42, vcc
	v_cndmask_b32_e32 v71, 0, v41, vcc
	v_lshrrev_b64 v[71:72], s88, v[71:72]
	; wave barrier
	v_and_b32_e32 v71, s96, v71
	v_mad_u32_u24 v4, v71, 20, v174
	ds_read_b32 v179, v4 offset:1040
	v_and_b32_e32 v4, 1, v71
	v_add_co_u32_e32 v72, vcc, -1, v4
	v_addc_co_u32_e64 v74, s[36:37], 0, -1, vcc
	v_cmp_ne_u32_e32 vcc, 0, v4
	v_xor_b32_e32 v4, vcc_hi, v74
	v_and_b32_e32 v74, exec_hi, v4
	v_lshlrev_b32_e32 v4, 30, v71
	v_xor_b32_e32 v72, vcc_lo, v72
	v_cmp_gt_i64_e32 vcc, 0, v[3:4]
	v_not_b32_e32 v4, v4
	v_ashrrev_i32_e32 v4, 31, v4
	v_and_b32_e32 v72, exec_lo, v72
	v_xor_b32_e32 v181, vcc_hi, v4
	v_xor_b32_e32 v4, vcc_lo, v4
	v_and_b32_e32 v72, v72, v4
	v_lshlrev_b32_e32 v4, 29, v71
	v_cmp_gt_i64_e32 vcc, 0, v[3:4]
	v_not_b32_e32 v4, v4
	v_ashrrev_i32_e32 v4, 31, v4
	v_and_b32_e32 v74, v74, v181
	v_xor_b32_e32 v181, vcc_hi, v4
	v_xor_b32_e32 v4, vcc_lo, v4
	v_and_b32_e32 v72, v72, v4
	v_lshlrev_b32_e32 v4, 28, v71
	v_cmp_gt_i64_e32 vcc, 0, v[3:4]
	v_not_b32_e32 v4, v4
	v_ashrrev_i32_e32 v4, 31, v4
	v_and_b32_e32 v74, v74, v181
	;; [unrolled: 8-line block ×5, first 2 shown]
	v_xor_b32_e32 v181, vcc_hi, v4
	v_xor_b32_e32 v4, vcc_lo, v4
	v_and_b32_e32 v74, v74, v181
	v_and_b32_e32 v181, v72, v4
	v_lshlrev_b32_e32 v4, 24, v71
	v_cmp_gt_i64_e32 vcc, 0, v[3:4]
	v_not_b32_e32 v4, v4
	v_ashrrev_i32_e32 v4, 31, v4
	v_mul_u32_u24_e32 v73, 20, v71
	v_xor_b32_e32 v71, vcc_hi, v4
	v_xor_b32_e32 v4, vcc_lo, v4
	v_and_b32_e32 v72, v74, v71
	v_and_b32_e32 v71, v181, v4
	v_mbcnt_lo_u32_b32 v4, v71, 0
	v_mbcnt_hi_u32_b32 v181, v72, v4
	v_cmp_ne_u64_e32 vcc, 0, v[71:72]
	v_cmp_eq_u32_e64 s[36:37], 0, v181
	s_and_b64 s[38:39], vcc, s[36:37]
	v_add_u32_e32 v183, v174, v73
	; wave barrier
	s_and_saveexec_b64 s[36:37], s[38:39]
	s_cbranch_execz .LBB1255_727
; %bb.726:                              ;   in Loop: Header=BB1255_687 Depth=2
	v_bcnt_u32_b32 v4, v71, 0
	v_bcnt_u32_b32 v4, v72, v4
	s_waitcnt lgkmcnt(0)
	v_add_u32_e32 v4, v179, v4
	ds_write_b32 v183, v4 offset:1040
.LBB1255_727:                           ;   in Loop: Header=BB1255_687 Depth=2
	s_or_b64 exec, exec, s[36:37]
	v_cmp_lt_i64_e32 vcc, -1, v[47:48]
	v_ashrrev_i32_e32 v71, 31, v48
	v_cndmask_b32_e32 v4, -1, v135, vcc
	v_xor_b32_e32 v48, v4, v48
	v_xor_b32_e32 v47, v71, v47
	v_cmp_ne_u64_e32 vcc, s[82:83], v[47:48]
	v_cndmask_b32_e32 v72, v135, v48, vcc
	v_cndmask_b32_e32 v71, 0, v47, vcc
	v_lshrrev_b64 v[71:72], s88, v[71:72]
	; wave barrier
	v_and_b32_e32 v71, s96, v71
	v_mad_u32_u24 v4, v71, 20, v174
	ds_read_b32 v182, v4 offset:1040
	v_and_b32_e32 v4, 1, v71
	v_add_co_u32_e32 v72, vcc, -1, v4
	v_addc_co_u32_e64 v74, s[36:37], 0, -1, vcc
	v_cmp_ne_u32_e32 vcc, 0, v4
	v_xor_b32_e32 v4, vcc_hi, v74
	v_and_b32_e32 v74, exec_hi, v4
	v_lshlrev_b32_e32 v4, 30, v71
	v_xor_b32_e32 v72, vcc_lo, v72
	v_cmp_gt_i64_e32 vcc, 0, v[3:4]
	v_not_b32_e32 v4, v4
	v_ashrrev_i32_e32 v4, 31, v4
	v_and_b32_e32 v72, exec_lo, v72
	v_xor_b32_e32 v184, vcc_hi, v4
	v_xor_b32_e32 v4, vcc_lo, v4
	v_and_b32_e32 v72, v72, v4
	v_lshlrev_b32_e32 v4, 29, v71
	v_cmp_gt_i64_e32 vcc, 0, v[3:4]
	v_not_b32_e32 v4, v4
	v_ashrrev_i32_e32 v4, 31, v4
	v_and_b32_e32 v74, v74, v184
	v_xor_b32_e32 v184, vcc_hi, v4
	v_xor_b32_e32 v4, vcc_lo, v4
	v_and_b32_e32 v72, v72, v4
	v_lshlrev_b32_e32 v4, 28, v71
	v_cmp_gt_i64_e32 vcc, 0, v[3:4]
	v_not_b32_e32 v4, v4
	v_ashrrev_i32_e32 v4, 31, v4
	v_and_b32_e32 v74, v74, v184
	;; [unrolled: 8-line block ×5, first 2 shown]
	v_xor_b32_e32 v184, vcc_hi, v4
	v_xor_b32_e32 v4, vcc_lo, v4
	v_and_b32_e32 v74, v74, v184
	v_and_b32_e32 v184, v72, v4
	v_lshlrev_b32_e32 v4, 24, v71
	v_cmp_gt_i64_e32 vcc, 0, v[3:4]
	v_not_b32_e32 v4, v4
	v_ashrrev_i32_e32 v4, 31, v4
	v_mul_u32_u24_e32 v73, 20, v71
	v_xor_b32_e32 v71, vcc_hi, v4
	v_xor_b32_e32 v4, vcc_lo, v4
	v_and_b32_e32 v72, v74, v71
	v_and_b32_e32 v71, v184, v4
	v_mbcnt_lo_u32_b32 v4, v71, 0
	v_mbcnt_hi_u32_b32 v184, v72, v4
	v_cmp_ne_u64_e32 vcc, 0, v[71:72]
	v_cmp_eq_u32_e64 s[36:37], 0, v184
	s_and_b64 s[38:39], vcc, s[36:37]
	v_add_u32_e32 v186, v174, v73
	; wave barrier
	s_and_saveexec_b64 s[36:37], s[38:39]
	s_cbranch_execz .LBB1255_729
; %bb.728:                              ;   in Loop: Header=BB1255_687 Depth=2
	v_bcnt_u32_b32 v4, v71, 0
	v_bcnt_u32_b32 v4, v72, v4
	s_waitcnt lgkmcnt(0)
	v_add_u32_e32 v4, v182, v4
	ds_write_b32 v186, v4 offset:1040
.LBB1255_729:                           ;   in Loop: Header=BB1255_687 Depth=2
	s_or_b64 exec, exec, s[36:37]
	v_cmp_lt_i64_e32 vcc, -1, v[51:52]
	v_ashrrev_i32_e32 v71, 31, v52
	v_cndmask_b32_e32 v4, -1, v135, vcc
	v_xor_b32_e32 v52, v4, v52
	v_xor_b32_e32 v51, v71, v51
	v_cmp_ne_u64_e32 vcc, s[82:83], v[51:52]
	v_cndmask_b32_e32 v72, v135, v52, vcc
	v_cndmask_b32_e32 v71, 0, v51, vcc
	v_lshrrev_b64 v[71:72], s88, v[71:72]
	; wave barrier
	v_and_b32_e32 v71, s96, v71
	v_mad_u32_u24 v4, v71, 20, v174
	ds_read_b32 v185, v4 offset:1040
	v_and_b32_e32 v4, 1, v71
	v_add_co_u32_e32 v72, vcc, -1, v4
	v_addc_co_u32_e64 v74, s[36:37], 0, -1, vcc
	v_cmp_ne_u32_e32 vcc, 0, v4
	v_xor_b32_e32 v4, vcc_hi, v74
	v_and_b32_e32 v74, exec_hi, v4
	v_lshlrev_b32_e32 v4, 30, v71
	v_xor_b32_e32 v72, vcc_lo, v72
	v_cmp_gt_i64_e32 vcc, 0, v[3:4]
	v_not_b32_e32 v4, v4
	v_ashrrev_i32_e32 v4, 31, v4
	v_and_b32_e32 v72, exec_lo, v72
	v_xor_b32_e32 v187, vcc_hi, v4
	v_xor_b32_e32 v4, vcc_lo, v4
	v_and_b32_e32 v72, v72, v4
	v_lshlrev_b32_e32 v4, 29, v71
	v_cmp_gt_i64_e32 vcc, 0, v[3:4]
	v_not_b32_e32 v4, v4
	v_ashrrev_i32_e32 v4, 31, v4
	v_and_b32_e32 v74, v74, v187
	v_xor_b32_e32 v187, vcc_hi, v4
	v_xor_b32_e32 v4, vcc_lo, v4
	v_and_b32_e32 v72, v72, v4
	v_lshlrev_b32_e32 v4, 28, v71
	v_cmp_gt_i64_e32 vcc, 0, v[3:4]
	v_not_b32_e32 v4, v4
	v_ashrrev_i32_e32 v4, 31, v4
	v_and_b32_e32 v74, v74, v187
	;; [unrolled: 8-line block ×5, first 2 shown]
	v_xor_b32_e32 v187, vcc_hi, v4
	v_xor_b32_e32 v4, vcc_lo, v4
	v_and_b32_e32 v74, v74, v187
	v_and_b32_e32 v187, v72, v4
	v_lshlrev_b32_e32 v4, 24, v71
	v_cmp_gt_i64_e32 vcc, 0, v[3:4]
	v_not_b32_e32 v4, v4
	v_ashrrev_i32_e32 v4, 31, v4
	v_mul_u32_u24_e32 v73, 20, v71
	v_xor_b32_e32 v71, vcc_hi, v4
	v_xor_b32_e32 v4, vcc_lo, v4
	v_and_b32_e32 v72, v74, v71
	v_and_b32_e32 v71, v187, v4
	v_mbcnt_lo_u32_b32 v4, v71, 0
	v_mbcnt_hi_u32_b32 v187, v72, v4
	v_cmp_ne_u64_e32 vcc, 0, v[71:72]
	v_cmp_eq_u32_e64 s[36:37], 0, v187
	s_and_b64 s[38:39], vcc, s[36:37]
	v_add_u32_e32 v189, v174, v73
	; wave barrier
	s_and_saveexec_b64 s[36:37], s[38:39]
	s_cbranch_execz .LBB1255_731
; %bb.730:                              ;   in Loop: Header=BB1255_687 Depth=2
	v_bcnt_u32_b32 v4, v71, 0
	v_bcnt_u32_b32 v4, v72, v4
	s_waitcnt lgkmcnt(0)
	v_add_u32_e32 v4, v185, v4
	ds_write_b32 v189, v4 offset:1040
.LBB1255_731:                           ;   in Loop: Header=BB1255_687 Depth=2
	s_or_b64 exec, exec, s[36:37]
	v_cmp_lt_i64_e32 vcc, -1, v[55:56]
	v_ashrrev_i32_e32 v71, 31, v56
	v_cndmask_b32_e32 v4, -1, v135, vcc
	v_xor_b32_e32 v56, v4, v56
	v_xor_b32_e32 v55, v71, v55
	v_cmp_ne_u64_e32 vcc, s[82:83], v[55:56]
	v_cndmask_b32_e32 v72, v135, v56, vcc
	v_cndmask_b32_e32 v71, 0, v55, vcc
	v_lshrrev_b64 v[71:72], s88, v[71:72]
	; wave barrier
	v_and_b32_e32 v71, s96, v71
	v_mad_u32_u24 v4, v71, 20, v174
	ds_read_b32 v188, v4 offset:1040
	v_and_b32_e32 v4, 1, v71
	v_add_co_u32_e32 v72, vcc, -1, v4
	v_addc_co_u32_e64 v74, s[36:37], 0, -1, vcc
	v_cmp_ne_u32_e32 vcc, 0, v4
	v_xor_b32_e32 v4, vcc_hi, v74
	v_and_b32_e32 v74, exec_hi, v4
	v_lshlrev_b32_e32 v4, 30, v71
	v_xor_b32_e32 v72, vcc_lo, v72
	v_cmp_gt_i64_e32 vcc, 0, v[3:4]
	v_not_b32_e32 v4, v4
	v_ashrrev_i32_e32 v4, 31, v4
	v_and_b32_e32 v72, exec_lo, v72
	v_xor_b32_e32 v190, vcc_hi, v4
	v_xor_b32_e32 v4, vcc_lo, v4
	v_and_b32_e32 v72, v72, v4
	v_lshlrev_b32_e32 v4, 29, v71
	v_cmp_gt_i64_e32 vcc, 0, v[3:4]
	v_not_b32_e32 v4, v4
	v_ashrrev_i32_e32 v4, 31, v4
	v_and_b32_e32 v74, v74, v190
	v_xor_b32_e32 v190, vcc_hi, v4
	v_xor_b32_e32 v4, vcc_lo, v4
	v_and_b32_e32 v72, v72, v4
	v_lshlrev_b32_e32 v4, 28, v71
	v_cmp_gt_i64_e32 vcc, 0, v[3:4]
	v_not_b32_e32 v4, v4
	v_ashrrev_i32_e32 v4, 31, v4
	v_and_b32_e32 v74, v74, v190
	v_xor_b32_e32 v190, vcc_hi, v4
	v_xor_b32_e32 v4, vcc_lo, v4
	v_and_b32_e32 v72, v72, v4
	v_lshlrev_b32_e32 v4, 27, v71
	v_cmp_gt_i64_e32 vcc, 0, v[3:4]
	v_not_b32_e32 v4, v4
	v_ashrrev_i32_e32 v4, 31, v4
	v_and_b32_e32 v74, v74, v190
	v_xor_b32_e32 v190, vcc_hi, v4
	v_xor_b32_e32 v4, vcc_lo, v4
	v_and_b32_e32 v72, v72, v4
	v_lshlrev_b32_e32 v4, 26, v71
	v_cmp_gt_i64_e32 vcc, 0, v[3:4]
	v_not_b32_e32 v4, v4
	v_ashrrev_i32_e32 v4, 31, v4
	v_and_b32_e32 v74, v74, v190
	v_xor_b32_e32 v190, vcc_hi, v4
	v_xor_b32_e32 v4, vcc_lo, v4
	v_and_b32_e32 v72, v72, v4
	v_lshlrev_b32_e32 v4, 25, v71
	v_cmp_gt_i64_e32 vcc, 0, v[3:4]
	v_not_b32_e32 v4, v4
	v_ashrrev_i32_e32 v4, 31, v4
	v_and_b32_e32 v74, v74, v190
	v_xor_b32_e32 v190, vcc_hi, v4
	v_xor_b32_e32 v4, vcc_lo, v4
	v_and_b32_e32 v74, v74, v190
	v_and_b32_e32 v190, v72, v4
	v_lshlrev_b32_e32 v4, 24, v71
	v_cmp_gt_i64_e32 vcc, 0, v[3:4]
	v_not_b32_e32 v4, v4
	v_ashrrev_i32_e32 v4, 31, v4
	v_mul_u32_u24_e32 v73, 20, v71
	v_xor_b32_e32 v71, vcc_hi, v4
	v_xor_b32_e32 v4, vcc_lo, v4
	v_and_b32_e32 v72, v74, v71
	v_and_b32_e32 v71, v190, v4
	v_mbcnt_lo_u32_b32 v4, v71, 0
	v_mbcnt_hi_u32_b32 v190, v72, v4
	v_cmp_ne_u64_e32 vcc, 0, v[71:72]
	v_cmp_eq_u32_e64 s[36:37], 0, v190
	s_and_b64 s[38:39], vcc, s[36:37]
	v_add_u32_e32 v192, v174, v73
	; wave barrier
	s_and_saveexec_b64 s[36:37], s[38:39]
	s_cbranch_execz .LBB1255_733
; %bb.732:                              ;   in Loop: Header=BB1255_687 Depth=2
	v_bcnt_u32_b32 v4, v71, 0
	v_bcnt_u32_b32 v4, v72, v4
	s_waitcnt lgkmcnt(0)
	v_add_u32_e32 v4, v188, v4
	ds_write_b32 v192, v4 offset:1040
.LBB1255_733:                           ;   in Loop: Header=BB1255_687 Depth=2
	s_or_b64 exec, exec, s[36:37]
	v_cmp_lt_i64_e32 vcc, -1, v[59:60]
	v_ashrrev_i32_e32 v71, 31, v60
	v_cndmask_b32_e32 v4, -1, v135, vcc
	v_xor_b32_e32 v60, v4, v60
	v_xor_b32_e32 v59, v71, v59
	v_cmp_ne_u64_e32 vcc, s[82:83], v[59:60]
	v_cndmask_b32_e32 v72, v135, v60, vcc
	v_cndmask_b32_e32 v71, 0, v59, vcc
	v_lshrrev_b64 v[71:72], s88, v[71:72]
	; wave barrier
	v_and_b32_e32 v71, s96, v71
	v_mad_u32_u24 v4, v71, 20, v174
	ds_read_b32 v191, v4 offset:1040
	v_and_b32_e32 v4, 1, v71
	v_add_co_u32_e32 v72, vcc, -1, v4
	v_addc_co_u32_e64 v74, s[36:37], 0, -1, vcc
	v_cmp_ne_u32_e32 vcc, 0, v4
	v_xor_b32_e32 v4, vcc_hi, v74
	v_and_b32_e32 v74, exec_hi, v4
	v_lshlrev_b32_e32 v4, 30, v71
	v_xor_b32_e32 v72, vcc_lo, v72
	v_cmp_gt_i64_e32 vcc, 0, v[3:4]
	v_not_b32_e32 v4, v4
	v_ashrrev_i32_e32 v4, 31, v4
	v_and_b32_e32 v72, exec_lo, v72
	v_xor_b32_e32 v193, vcc_hi, v4
	v_xor_b32_e32 v4, vcc_lo, v4
	v_and_b32_e32 v72, v72, v4
	v_lshlrev_b32_e32 v4, 29, v71
	v_cmp_gt_i64_e32 vcc, 0, v[3:4]
	v_not_b32_e32 v4, v4
	v_ashrrev_i32_e32 v4, 31, v4
	v_and_b32_e32 v74, v74, v193
	v_xor_b32_e32 v193, vcc_hi, v4
	v_xor_b32_e32 v4, vcc_lo, v4
	v_and_b32_e32 v72, v72, v4
	v_lshlrev_b32_e32 v4, 28, v71
	v_cmp_gt_i64_e32 vcc, 0, v[3:4]
	v_not_b32_e32 v4, v4
	v_ashrrev_i32_e32 v4, 31, v4
	v_and_b32_e32 v74, v74, v193
	;; [unrolled: 8-line block ×5, first 2 shown]
	v_xor_b32_e32 v193, vcc_hi, v4
	v_xor_b32_e32 v4, vcc_lo, v4
	v_and_b32_e32 v74, v74, v193
	v_and_b32_e32 v193, v72, v4
	v_lshlrev_b32_e32 v4, 24, v71
	v_cmp_gt_i64_e32 vcc, 0, v[3:4]
	v_not_b32_e32 v4, v4
	v_ashrrev_i32_e32 v4, 31, v4
	v_mul_u32_u24_e32 v73, 20, v71
	v_xor_b32_e32 v71, vcc_hi, v4
	v_xor_b32_e32 v4, vcc_lo, v4
	v_and_b32_e32 v72, v74, v71
	v_and_b32_e32 v71, v193, v4
	v_mbcnt_lo_u32_b32 v4, v71, 0
	v_mbcnt_hi_u32_b32 v193, v72, v4
	v_cmp_ne_u64_e32 vcc, 0, v[71:72]
	v_cmp_eq_u32_e64 s[36:37], 0, v193
	s_and_b64 s[38:39], vcc, s[36:37]
	v_add_u32_e32 v195, v174, v73
	; wave barrier
	s_and_saveexec_b64 s[36:37], s[38:39]
	s_cbranch_execz .LBB1255_735
; %bb.734:                              ;   in Loop: Header=BB1255_687 Depth=2
	v_bcnt_u32_b32 v4, v71, 0
	v_bcnt_u32_b32 v4, v72, v4
	s_waitcnt lgkmcnt(0)
	v_add_u32_e32 v4, v191, v4
	ds_write_b32 v195, v4 offset:1040
.LBB1255_735:                           ;   in Loop: Header=BB1255_687 Depth=2
	s_or_b64 exec, exec, s[36:37]
	v_cmp_lt_i64_e32 vcc, -1, v[63:64]
	v_ashrrev_i32_e32 v71, 31, v64
	v_cndmask_b32_e32 v4, -1, v135, vcc
	v_xor_b32_e32 v64, v4, v64
	v_xor_b32_e32 v63, v71, v63
	v_cmp_ne_u64_e32 vcc, s[82:83], v[63:64]
	v_cndmask_b32_e32 v72, v135, v64, vcc
	v_cndmask_b32_e32 v71, 0, v63, vcc
	v_lshrrev_b64 v[71:72], s88, v[71:72]
	; wave barrier
	v_and_b32_e32 v71, s96, v71
	v_mad_u32_u24 v4, v71, 20, v174
	ds_read_b32 v194, v4 offset:1040
	v_and_b32_e32 v4, 1, v71
	v_add_co_u32_e32 v72, vcc, -1, v4
	v_addc_co_u32_e64 v74, s[36:37], 0, -1, vcc
	v_cmp_ne_u32_e32 vcc, 0, v4
	v_xor_b32_e32 v4, vcc_hi, v74
	v_and_b32_e32 v74, exec_hi, v4
	v_lshlrev_b32_e32 v4, 30, v71
	v_xor_b32_e32 v72, vcc_lo, v72
	v_cmp_gt_i64_e32 vcc, 0, v[3:4]
	v_not_b32_e32 v4, v4
	v_ashrrev_i32_e32 v4, 31, v4
	v_and_b32_e32 v72, exec_lo, v72
	v_xor_b32_e32 v196, vcc_hi, v4
	v_xor_b32_e32 v4, vcc_lo, v4
	v_and_b32_e32 v72, v72, v4
	v_lshlrev_b32_e32 v4, 29, v71
	v_cmp_gt_i64_e32 vcc, 0, v[3:4]
	v_not_b32_e32 v4, v4
	v_ashrrev_i32_e32 v4, 31, v4
	v_and_b32_e32 v74, v74, v196
	v_xor_b32_e32 v196, vcc_hi, v4
	v_xor_b32_e32 v4, vcc_lo, v4
	v_and_b32_e32 v72, v72, v4
	v_lshlrev_b32_e32 v4, 28, v71
	v_cmp_gt_i64_e32 vcc, 0, v[3:4]
	v_not_b32_e32 v4, v4
	v_ashrrev_i32_e32 v4, 31, v4
	v_and_b32_e32 v74, v74, v196
	;; [unrolled: 8-line block ×5, first 2 shown]
	v_xor_b32_e32 v196, vcc_hi, v4
	v_xor_b32_e32 v4, vcc_lo, v4
	v_and_b32_e32 v74, v74, v196
	v_and_b32_e32 v196, v72, v4
	v_lshlrev_b32_e32 v4, 24, v71
	v_cmp_gt_i64_e32 vcc, 0, v[3:4]
	v_not_b32_e32 v4, v4
	v_ashrrev_i32_e32 v4, 31, v4
	v_mul_u32_u24_e32 v73, 20, v71
	v_xor_b32_e32 v71, vcc_hi, v4
	v_xor_b32_e32 v4, vcc_lo, v4
	v_and_b32_e32 v72, v74, v71
	v_and_b32_e32 v71, v196, v4
	v_mbcnt_lo_u32_b32 v4, v71, 0
	v_mbcnt_hi_u32_b32 v196, v72, v4
	v_cmp_ne_u64_e32 vcc, 0, v[71:72]
	v_cmp_eq_u32_e64 s[36:37], 0, v196
	s_and_b64 s[38:39], vcc, s[36:37]
	v_add_u32_e32 v198, v174, v73
	; wave barrier
	s_and_saveexec_b64 s[36:37], s[38:39]
	s_cbranch_execz .LBB1255_737
; %bb.736:                              ;   in Loop: Header=BB1255_687 Depth=2
	v_bcnt_u32_b32 v4, v71, 0
	v_bcnt_u32_b32 v4, v72, v4
	s_waitcnt lgkmcnt(0)
	v_add_u32_e32 v4, v194, v4
	ds_write_b32 v198, v4 offset:1040
.LBB1255_737:                           ;   in Loop: Header=BB1255_687 Depth=2
	s_or_b64 exec, exec, s[36:37]
	v_cmp_lt_i64_e32 vcc, -1, v[67:68]
	v_ashrrev_i32_e32 v71, 31, v68
	v_cndmask_b32_e32 v4, -1, v135, vcc
	v_xor_b32_e32 v68, v4, v68
	v_xor_b32_e32 v67, v71, v67
	v_cmp_ne_u64_e32 vcc, s[82:83], v[67:68]
	v_cndmask_b32_e32 v72, v135, v68, vcc
	v_cndmask_b32_e32 v71, 0, v67, vcc
	v_lshrrev_b64 v[71:72], s88, v[71:72]
	; wave barrier
	v_and_b32_e32 v71, s96, v71
	v_mad_u32_u24 v4, v71, 20, v174
	ds_read_b32 v197, v4 offset:1040
	v_and_b32_e32 v4, 1, v71
	v_add_co_u32_e32 v72, vcc, -1, v4
	v_addc_co_u32_e64 v74, s[36:37], 0, -1, vcc
	v_cmp_ne_u32_e32 vcc, 0, v4
	v_xor_b32_e32 v4, vcc_hi, v74
	v_and_b32_e32 v74, exec_hi, v4
	v_lshlrev_b32_e32 v4, 30, v71
	v_xor_b32_e32 v72, vcc_lo, v72
	v_cmp_gt_i64_e32 vcc, 0, v[3:4]
	v_not_b32_e32 v4, v4
	v_ashrrev_i32_e32 v4, 31, v4
	v_and_b32_e32 v72, exec_lo, v72
	v_xor_b32_e32 v199, vcc_hi, v4
	v_xor_b32_e32 v4, vcc_lo, v4
	v_and_b32_e32 v72, v72, v4
	v_lshlrev_b32_e32 v4, 29, v71
	v_cmp_gt_i64_e32 vcc, 0, v[3:4]
	v_not_b32_e32 v4, v4
	v_ashrrev_i32_e32 v4, 31, v4
	v_and_b32_e32 v74, v74, v199
	v_xor_b32_e32 v199, vcc_hi, v4
	v_xor_b32_e32 v4, vcc_lo, v4
	v_and_b32_e32 v72, v72, v4
	v_lshlrev_b32_e32 v4, 28, v71
	v_cmp_gt_i64_e32 vcc, 0, v[3:4]
	v_not_b32_e32 v4, v4
	v_ashrrev_i32_e32 v4, 31, v4
	v_and_b32_e32 v74, v74, v199
	;; [unrolled: 8-line block ×5, first 2 shown]
	v_xor_b32_e32 v199, vcc_hi, v4
	v_xor_b32_e32 v4, vcc_lo, v4
	v_and_b32_e32 v74, v74, v199
	v_and_b32_e32 v199, v72, v4
	v_lshlrev_b32_e32 v4, 24, v71
	v_cmp_gt_i64_e32 vcc, 0, v[3:4]
	v_not_b32_e32 v4, v4
	v_ashrrev_i32_e32 v4, 31, v4
	v_mul_u32_u24_e32 v73, 20, v71
	v_xor_b32_e32 v71, vcc_hi, v4
	v_xor_b32_e32 v4, vcc_lo, v4
	v_and_b32_e32 v72, v74, v71
	v_and_b32_e32 v71, v199, v4
	v_mbcnt_lo_u32_b32 v4, v71, 0
	v_mbcnt_hi_u32_b32 v199, v72, v4
	v_cmp_ne_u64_e32 vcc, 0, v[71:72]
	v_cmp_eq_u32_e64 s[36:37], 0, v199
	s_and_b64 s[38:39], vcc, s[36:37]
	v_add_u32_e32 v201, v174, v73
	; wave barrier
	s_and_saveexec_b64 s[36:37], s[38:39]
	s_cbranch_execz .LBB1255_739
; %bb.738:                              ;   in Loop: Header=BB1255_687 Depth=2
	v_bcnt_u32_b32 v4, v71, 0
	v_bcnt_u32_b32 v4, v72, v4
	s_waitcnt lgkmcnt(0)
	v_add_u32_e32 v4, v197, v4
	ds_write_b32 v201, v4 offset:1040
.LBB1255_739:                           ;   in Loop: Header=BB1255_687 Depth=2
	s_or_b64 exec, exec, s[36:37]
	v_cmp_lt_i64_e32 vcc, -1, v[69:70]
	v_ashrrev_i32_e32 v71, 31, v70
	v_cndmask_b32_e32 v4, -1, v135, vcc
	v_xor_b32_e32 v70, v4, v70
	v_xor_b32_e32 v69, v71, v69
	v_cmp_ne_u64_e32 vcc, s[82:83], v[69:70]
	v_cndmask_b32_e32 v72, v135, v70, vcc
	v_cndmask_b32_e32 v71, 0, v69, vcc
	v_lshrrev_b64 v[71:72], s88, v[71:72]
	; wave barrier
	v_and_b32_e32 v71, s96, v71
	v_mad_u32_u24 v4, v71, 20, v174
	ds_read_b32 v200, v4 offset:1040
	v_and_b32_e32 v4, 1, v71
	v_add_co_u32_e32 v72, vcc, -1, v4
	v_addc_co_u32_e64 v74, s[36:37], 0, -1, vcc
	v_cmp_ne_u32_e32 vcc, 0, v4
	v_xor_b32_e32 v4, vcc_hi, v74
	v_and_b32_e32 v74, exec_hi, v4
	v_lshlrev_b32_e32 v4, 30, v71
	v_xor_b32_e32 v72, vcc_lo, v72
	v_cmp_gt_i64_e32 vcc, 0, v[3:4]
	v_not_b32_e32 v4, v4
	v_ashrrev_i32_e32 v4, 31, v4
	v_and_b32_e32 v72, exec_lo, v72
	v_xor_b32_e32 v202, vcc_hi, v4
	v_xor_b32_e32 v4, vcc_lo, v4
	v_and_b32_e32 v72, v72, v4
	v_lshlrev_b32_e32 v4, 29, v71
	v_cmp_gt_i64_e32 vcc, 0, v[3:4]
	v_not_b32_e32 v4, v4
	v_ashrrev_i32_e32 v4, 31, v4
	v_and_b32_e32 v74, v74, v202
	v_xor_b32_e32 v202, vcc_hi, v4
	v_xor_b32_e32 v4, vcc_lo, v4
	v_and_b32_e32 v72, v72, v4
	v_lshlrev_b32_e32 v4, 28, v71
	v_cmp_gt_i64_e32 vcc, 0, v[3:4]
	v_not_b32_e32 v4, v4
	v_ashrrev_i32_e32 v4, 31, v4
	v_and_b32_e32 v74, v74, v202
	v_xor_b32_e32 v202, vcc_hi, v4
	v_xor_b32_e32 v4, vcc_lo, v4
	v_and_b32_e32 v72, v72, v4
	v_lshlrev_b32_e32 v4, 27, v71
	v_cmp_gt_i64_e32 vcc, 0, v[3:4]
	v_not_b32_e32 v4, v4
	v_ashrrev_i32_e32 v4, 31, v4
	v_and_b32_e32 v74, v74, v202
	v_xor_b32_e32 v202, vcc_hi, v4
	v_xor_b32_e32 v4, vcc_lo, v4
	v_and_b32_e32 v72, v72, v4
	v_lshlrev_b32_e32 v4, 26, v71
	v_cmp_gt_i64_e32 vcc, 0, v[3:4]
	v_not_b32_e32 v4, v4
	v_ashrrev_i32_e32 v4, 31, v4
	v_and_b32_e32 v74, v74, v202
	v_xor_b32_e32 v202, vcc_hi, v4
	v_xor_b32_e32 v4, vcc_lo, v4
	v_and_b32_e32 v72, v72, v4
	v_lshlrev_b32_e32 v4, 25, v71
	v_cmp_gt_i64_e32 vcc, 0, v[3:4]
	v_not_b32_e32 v4, v4
	v_ashrrev_i32_e32 v4, 31, v4
	v_and_b32_e32 v74, v74, v202
	v_xor_b32_e32 v202, vcc_hi, v4
	v_xor_b32_e32 v4, vcc_lo, v4
	v_and_b32_e32 v74, v74, v202
	v_and_b32_e32 v202, v72, v4
	v_lshlrev_b32_e32 v4, 24, v71
	v_cmp_gt_i64_e32 vcc, 0, v[3:4]
	v_not_b32_e32 v4, v4
	v_ashrrev_i32_e32 v4, 31, v4
	v_mul_u32_u24_e32 v73, 20, v71
	v_xor_b32_e32 v71, vcc_hi, v4
	v_xor_b32_e32 v4, vcc_lo, v4
	v_and_b32_e32 v72, v74, v71
	v_and_b32_e32 v71, v202, v4
	v_mbcnt_lo_u32_b32 v4, v71, 0
	v_mbcnt_hi_u32_b32 v202, v72, v4
	v_cmp_ne_u64_e32 vcc, 0, v[71:72]
	v_cmp_eq_u32_e64 s[36:37], 0, v202
	s_and_b64 s[38:39], vcc, s[36:37]
	v_add_u32_e32 v204, v174, v73
	; wave barrier
	s_and_saveexec_b64 s[36:37], s[38:39]
	s_cbranch_execz .LBB1255_741
; %bb.740:                              ;   in Loop: Header=BB1255_687 Depth=2
	v_bcnt_u32_b32 v4, v71, 0
	v_bcnt_u32_b32 v4, v72, v4
	s_waitcnt lgkmcnt(0)
	v_add_u32_e32 v4, v200, v4
	ds_write_b32 v204, v4 offset:1040
.LBB1255_741:                           ;   in Loop: Header=BB1255_687 Depth=2
	s_or_b64 exec, exec, s[36:37]
	v_cmp_lt_i64_e32 vcc, -1, v[65:66]
	v_ashrrev_i32_e32 v71, 31, v66
	v_cndmask_b32_e32 v4, -1, v135, vcc
	v_xor_b32_e32 v66, v4, v66
	v_xor_b32_e32 v65, v71, v65
	v_cmp_ne_u64_e32 vcc, s[82:83], v[65:66]
	v_cndmask_b32_e32 v72, v135, v66, vcc
	v_cndmask_b32_e32 v71, 0, v65, vcc
	v_lshrrev_b64 v[71:72], s88, v[71:72]
	; wave barrier
	v_and_b32_e32 v71, s96, v71
	v_mad_u32_u24 v4, v71, 20, v174
	ds_read_b32 v203, v4 offset:1040
	v_and_b32_e32 v4, 1, v71
	v_add_co_u32_e32 v72, vcc, -1, v4
	v_addc_co_u32_e64 v74, s[36:37], 0, -1, vcc
	v_cmp_ne_u32_e32 vcc, 0, v4
	v_xor_b32_e32 v4, vcc_hi, v74
	v_and_b32_e32 v74, exec_hi, v4
	v_lshlrev_b32_e32 v4, 30, v71
	v_xor_b32_e32 v72, vcc_lo, v72
	v_cmp_gt_i64_e32 vcc, 0, v[3:4]
	v_not_b32_e32 v4, v4
	v_ashrrev_i32_e32 v4, 31, v4
	v_and_b32_e32 v72, exec_lo, v72
	v_xor_b32_e32 v205, vcc_hi, v4
	v_xor_b32_e32 v4, vcc_lo, v4
	v_and_b32_e32 v72, v72, v4
	v_lshlrev_b32_e32 v4, 29, v71
	v_cmp_gt_i64_e32 vcc, 0, v[3:4]
	v_not_b32_e32 v4, v4
	v_ashrrev_i32_e32 v4, 31, v4
	v_and_b32_e32 v74, v74, v205
	v_xor_b32_e32 v205, vcc_hi, v4
	v_xor_b32_e32 v4, vcc_lo, v4
	v_and_b32_e32 v72, v72, v4
	v_lshlrev_b32_e32 v4, 28, v71
	v_cmp_gt_i64_e32 vcc, 0, v[3:4]
	v_not_b32_e32 v4, v4
	v_ashrrev_i32_e32 v4, 31, v4
	v_and_b32_e32 v74, v74, v205
	;; [unrolled: 8-line block ×5, first 2 shown]
	v_xor_b32_e32 v205, vcc_hi, v4
	v_xor_b32_e32 v4, vcc_lo, v4
	v_and_b32_e32 v74, v74, v205
	v_and_b32_e32 v205, v72, v4
	v_lshlrev_b32_e32 v4, 24, v71
	v_cmp_gt_i64_e32 vcc, 0, v[3:4]
	v_not_b32_e32 v4, v4
	v_ashrrev_i32_e32 v4, 31, v4
	v_mul_u32_u24_e32 v73, 20, v71
	v_xor_b32_e32 v71, vcc_hi, v4
	v_xor_b32_e32 v4, vcc_lo, v4
	v_and_b32_e32 v72, v74, v71
	v_and_b32_e32 v71, v205, v4
	v_mbcnt_lo_u32_b32 v4, v71, 0
	v_mbcnt_hi_u32_b32 v205, v72, v4
	v_cmp_ne_u64_e32 vcc, 0, v[71:72]
	v_cmp_eq_u32_e64 s[36:37], 0, v205
	s_and_b64 s[38:39], vcc, s[36:37]
	v_add_u32_e32 v207, v174, v73
	; wave barrier
	s_and_saveexec_b64 s[36:37], s[38:39]
	s_cbranch_execz .LBB1255_743
; %bb.742:                              ;   in Loop: Header=BB1255_687 Depth=2
	v_bcnt_u32_b32 v4, v71, 0
	v_bcnt_u32_b32 v4, v72, v4
	s_waitcnt lgkmcnt(0)
	v_add_u32_e32 v4, v203, v4
	ds_write_b32 v207, v4 offset:1040
.LBB1255_743:                           ;   in Loop: Header=BB1255_687 Depth=2
	s_or_b64 exec, exec, s[36:37]
	v_cmp_lt_i64_e32 vcc, -1, v[61:62]
	v_ashrrev_i32_e32 v71, 31, v62
	v_cndmask_b32_e32 v4, -1, v135, vcc
	v_xor_b32_e32 v62, v4, v62
	v_xor_b32_e32 v61, v71, v61
	v_cmp_ne_u64_e32 vcc, s[82:83], v[61:62]
	v_cndmask_b32_e32 v72, v135, v62, vcc
	v_cndmask_b32_e32 v71, 0, v61, vcc
	v_lshrrev_b64 v[71:72], s88, v[71:72]
	; wave barrier
	v_and_b32_e32 v71, s96, v71
	v_mad_u32_u24 v4, v71, 20, v174
	ds_read_b32 v206, v4 offset:1040
	v_and_b32_e32 v4, 1, v71
	v_add_co_u32_e32 v72, vcc, -1, v4
	v_addc_co_u32_e64 v74, s[36:37], 0, -1, vcc
	v_cmp_ne_u32_e32 vcc, 0, v4
	v_xor_b32_e32 v4, vcc_hi, v74
	v_and_b32_e32 v74, exec_hi, v4
	v_lshlrev_b32_e32 v4, 30, v71
	v_xor_b32_e32 v72, vcc_lo, v72
	v_cmp_gt_i64_e32 vcc, 0, v[3:4]
	v_not_b32_e32 v4, v4
	v_ashrrev_i32_e32 v4, 31, v4
	v_and_b32_e32 v72, exec_lo, v72
	v_xor_b32_e32 v208, vcc_hi, v4
	v_xor_b32_e32 v4, vcc_lo, v4
	v_and_b32_e32 v72, v72, v4
	v_lshlrev_b32_e32 v4, 29, v71
	v_cmp_gt_i64_e32 vcc, 0, v[3:4]
	v_not_b32_e32 v4, v4
	v_ashrrev_i32_e32 v4, 31, v4
	v_and_b32_e32 v74, v74, v208
	v_xor_b32_e32 v208, vcc_hi, v4
	v_xor_b32_e32 v4, vcc_lo, v4
	v_and_b32_e32 v72, v72, v4
	v_lshlrev_b32_e32 v4, 28, v71
	v_cmp_gt_i64_e32 vcc, 0, v[3:4]
	v_not_b32_e32 v4, v4
	v_ashrrev_i32_e32 v4, 31, v4
	v_and_b32_e32 v74, v74, v208
	;; [unrolled: 8-line block ×5, first 2 shown]
	v_xor_b32_e32 v208, vcc_hi, v4
	v_xor_b32_e32 v4, vcc_lo, v4
	v_and_b32_e32 v74, v74, v208
	v_and_b32_e32 v208, v72, v4
	v_lshlrev_b32_e32 v4, 24, v71
	v_cmp_gt_i64_e32 vcc, 0, v[3:4]
	v_not_b32_e32 v4, v4
	v_ashrrev_i32_e32 v4, 31, v4
	v_mul_u32_u24_e32 v73, 20, v71
	v_xor_b32_e32 v71, vcc_hi, v4
	v_xor_b32_e32 v4, vcc_lo, v4
	v_and_b32_e32 v72, v74, v71
	v_and_b32_e32 v71, v208, v4
	v_mbcnt_lo_u32_b32 v4, v71, 0
	v_mbcnt_hi_u32_b32 v208, v72, v4
	v_cmp_ne_u64_e32 vcc, 0, v[71:72]
	v_cmp_eq_u32_e64 s[36:37], 0, v208
	s_and_b64 s[38:39], vcc, s[36:37]
	v_add_u32_e32 v210, v174, v73
	; wave barrier
	s_and_saveexec_b64 s[36:37], s[38:39]
	s_cbranch_execz .LBB1255_745
; %bb.744:                              ;   in Loop: Header=BB1255_687 Depth=2
	v_bcnt_u32_b32 v4, v71, 0
	v_bcnt_u32_b32 v4, v72, v4
	s_waitcnt lgkmcnt(0)
	v_add_u32_e32 v4, v206, v4
	ds_write_b32 v210, v4 offset:1040
.LBB1255_745:                           ;   in Loop: Header=BB1255_687 Depth=2
	s_or_b64 exec, exec, s[36:37]
	v_cmp_lt_i64_e32 vcc, -1, v[57:58]
	v_ashrrev_i32_e32 v71, 31, v58
	v_cndmask_b32_e32 v4, -1, v135, vcc
	v_xor_b32_e32 v58, v4, v58
	v_xor_b32_e32 v57, v71, v57
	v_cmp_ne_u64_e32 vcc, s[82:83], v[57:58]
	v_cndmask_b32_e32 v72, v135, v58, vcc
	v_cndmask_b32_e32 v71, 0, v57, vcc
	v_lshrrev_b64 v[71:72], s88, v[71:72]
	; wave barrier
	v_and_b32_e32 v71, s96, v71
	v_mad_u32_u24 v4, v71, 20, v174
	ds_read_b32 v209, v4 offset:1040
	v_and_b32_e32 v4, 1, v71
	v_add_co_u32_e32 v72, vcc, -1, v4
	v_addc_co_u32_e64 v74, s[36:37], 0, -1, vcc
	v_cmp_ne_u32_e32 vcc, 0, v4
	v_xor_b32_e32 v4, vcc_hi, v74
	v_and_b32_e32 v74, exec_hi, v4
	v_lshlrev_b32_e32 v4, 30, v71
	v_xor_b32_e32 v72, vcc_lo, v72
	v_cmp_gt_i64_e32 vcc, 0, v[3:4]
	v_not_b32_e32 v4, v4
	v_ashrrev_i32_e32 v4, 31, v4
	v_and_b32_e32 v72, exec_lo, v72
	v_xor_b32_e32 v211, vcc_hi, v4
	v_xor_b32_e32 v4, vcc_lo, v4
	v_and_b32_e32 v72, v72, v4
	v_lshlrev_b32_e32 v4, 29, v71
	v_cmp_gt_i64_e32 vcc, 0, v[3:4]
	v_not_b32_e32 v4, v4
	v_ashrrev_i32_e32 v4, 31, v4
	v_and_b32_e32 v74, v74, v211
	v_xor_b32_e32 v211, vcc_hi, v4
	v_xor_b32_e32 v4, vcc_lo, v4
	v_and_b32_e32 v72, v72, v4
	v_lshlrev_b32_e32 v4, 28, v71
	v_cmp_gt_i64_e32 vcc, 0, v[3:4]
	v_not_b32_e32 v4, v4
	v_ashrrev_i32_e32 v4, 31, v4
	v_and_b32_e32 v74, v74, v211
	;; [unrolled: 8-line block ×5, first 2 shown]
	v_xor_b32_e32 v211, vcc_hi, v4
	v_xor_b32_e32 v4, vcc_lo, v4
	v_and_b32_e32 v74, v74, v211
	v_and_b32_e32 v211, v72, v4
	v_lshlrev_b32_e32 v4, 24, v71
	v_cmp_gt_i64_e32 vcc, 0, v[3:4]
	v_not_b32_e32 v4, v4
	v_ashrrev_i32_e32 v4, 31, v4
	v_mul_u32_u24_e32 v73, 20, v71
	v_xor_b32_e32 v71, vcc_hi, v4
	v_xor_b32_e32 v4, vcc_lo, v4
	v_and_b32_e32 v72, v74, v71
	v_and_b32_e32 v71, v211, v4
	v_mbcnt_lo_u32_b32 v4, v71, 0
	v_mbcnt_hi_u32_b32 v211, v72, v4
	v_cmp_ne_u64_e32 vcc, 0, v[71:72]
	v_cmp_eq_u32_e64 s[36:37], 0, v211
	s_and_b64 s[38:39], vcc, s[36:37]
	v_add_u32_e32 v213, v174, v73
	; wave barrier
	s_and_saveexec_b64 s[36:37], s[38:39]
	s_cbranch_execz .LBB1255_747
; %bb.746:                              ;   in Loop: Header=BB1255_687 Depth=2
	v_bcnt_u32_b32 v4, v71, 0
	v_bcnt_u32_b32 v4, v72, v4
	s_waitcnt lgkmcnt(0)
	v_add_u32_e32 v4, v209, v4
	ds_write_b32 v213, v4 offset:1040
.LBB1255_747:                           ;   in Loop: Header=BB1255_687 Depth=2
	s_or_b64 exec, exec, s[36:37]
	v_cmp_lt_i64_e32 vcc, -1, v[53:54]
	v_ashrrev_i32_e32 v71, 31, v54
	v_cndmask_b32_e32 v4, -1, v135, vcc
	v_xor_b32_e32 v54, v4, v54
	v_xor_b32_e32 v53, v71, v53
	v_cmp_ne_u64_e32 vcc, s[82:83], v[53:54]
	v_cndmask_b32_e32 v72, v135, v54, vcc
	v_cndmask_b32_e32 v71, 0, v53, vcc
	v_lshrrev_b64 v[71:72], s88, v[71:72]
	; wave barrier
	v_and_b32_e32 v71, s96, v71
	v_mad_u32_u24 v4, v71, 20, v174
	ds_read_b32 v212, v4 offset:1040
	v_and_b32_e32 v4, 1, v71
	v_add_co_u32_e32 v72, vcc, -1, v4
	v_addc_co_u32_e64 v74, s[36:37], 0, -1, vcc
	v_cmp_ne_u32_e32 vcc, 0, v4
	v_xor_b32_e32 v4, vcc_hi, v74
	v_and_b32_e32 v74, exec_hi, v4
	v_lshlrev_b32_e32 v4, 30, v71
	v_xor_b32_e32 v72, vcc_lo, v72
	v_cmp_gt_i64_e32 vcc, 0, v[3:4]
	v_not_b32_e32 v4, v4
	v_ashrrev_i32_e32 v4, 31, v4
	v_and_b32_e32 v72, exec_lo, v72
	v_xor_b32_e32 v214, vcc_hi, v4
	v_xor_b32_e32 v4, vcc_lo, v4
	v_and_b32_e32 v72, v72, v4
	v_lshlrev_b32_e32 v4, 29, v71
	v_cmp_gt_i64_e32 vcc, 0, v[3:4]
	v_not_b32_e32 v4, v4
	v_ashrrev_i32_e32 v4, 31, v4
	v_and_b32_e32 v74, v74, v214
	v_xor_b32_e32 v214, vcc_hi, v4
	v_xor_b32_e32 v4, vcc_lo, v4
	v_and_b32_e32 v72, v72, v4
	v_lshlrev_b32_e32 v4, 28, v71
	v_cmp_gt_i64_e32 vcc, 0, v[3:4]
	v_not_b32_e32 v4, v4
	v_ashrrev_i32_e32 v4, 31, v4
	v_and_b32_e32 v74, v74, v214
	;; [unrolled: 8-line block ×5, first 2 shown]
	v_xor_b32_e32 v214, vcc_hi, v4
	v_xor_b32_e32 v4, vcc_lo, v4
	v_and_b32_e32 v74, v74, v214
	v_and_b32_e32 v214, v72, v4
	v_lshlrev_b32_e32 v4, 24, v71
	v_cmp_gt_i64_e32 vcc, 0, v[3:4]
	v_not_b32_e32 v4, v4
	v_ashrrev_i32_e32 v4, 31, v4
	v_mul_u32_u24_e32 v73, 20, v71
	v_xor_b32_e32 v71, vcc_hi, v4
	v_xor_b32_e32 v4, vcc_lo, v4
	v_and_b32_e32 v72, v74, v71
	v_and_b32_e32 v71, v214, v4
	v_mbcnt_lo_u32_b32 v4, v71, 0
	v_mbcnt_hi_u32_b32 v214, v72, v4
	v_cmp_ne_u64_e32 vcc, 0, v[71:72]
	v_cmp_eq_u32_e64 s[36:37], 0, v214
	s_and_b64 s[38:39], vcc, s[36:37]
	v_add_u32_e32 v216, v174, v73
	; wave barrier
	s_and_saveexec_b64 s[36:37], s[38:39]
	s_cbranch_execz .LBB1255_749
; %bb.748:                              ;   in Loop: Header=BB1255_687 Depth=2
	v_bcnt_u32_b32 v4, v71, 0
	v_bcnt_u32_b32 v4, v72, v4
	s_waitcnt lgkmcnt(0)
	v_add_u32_e32 v4, v212, v4
	ds_write_b32 v216, v4 offset:1040
.LBB1255_749:                           ;   in Loop: Header=BB1255_687 Depth=2
	s_or_b64 exec, exec, s[36:37]
	v_cmp_lt_i64_e32 vcc, -1, v[49:50]
	v_ashrrev_i32_e32 v71, 31, v50
	v_cndmask_b32_e32 v4, -1, v135, vcc
	v_xor_b32_e32 v50, v4, v50
	v_xor_b32_e32 v49, v71, v49
	v_cmp_ne_u64_e32 vcc, s[82:83], v[49:50]
	v_cndmask_b32_e32 v72, v135, v50, vcc
	v_cndmask_b32_e32 v71, 0, v49, vcc
	v_lshrrev_b64 v[71:72], s88, v[71:72]
	; wave barrier
	v_and_b32_e32 v71, s96, v71
	v_mad_u32_u24 v4, v71, 20, v174
	ds_read_b32 v215, v4 offset:1040
	v_and_b32_e32 v4, 1, v71
	v_add_co_u32_e32 v72, vcc, -1, v4
	v_addc_co_u32_e64 v74, s[36:37], 0, -1, vcc
	v_cmp_ne_u32_e32 vcc, 0, v4
	v_xor_b32_e32 v4, vcc_hi, v74
	v_and_b32_e32 v74, exec_hi, v4
	v_lshlrev_b32_e32 v4, 30, v71
	v_xor_b32_e32 v72, vcc_lo, v72
	v_cmp_gt_i64_e32 vcc, 0, v[3:4]
	v_not_b32_e32 v4, v4
	v_ashrrev_i32_e32 v4, 31, v4
	v_and_b32_e32 v72, exec_lo, v72
	v_xor_b32_e32 v217, vcc_hi, v4
	v_xor_b32_e32 v4, vcc_lo, v4
	v_and_b32_e32 v72, v72, v4
	v_lshlrev_b32_e32 v4, 29, v71
	v_cmp_gt_i64_e32 vcc, 0, v[3:4]
	v_not_b32_e32 v4, v4
	v_ashrrev_i32_e32 v4, 31, v4
	v_and_b32_e32 v74, v74, v217
	v_xor_b32_e32 v217, vcc_hi, v4
	v_xor_b32_e32 v4, vcc_lo, v4
	v_and_b32_e32 v72, v72, v4
	v_lshlrev_b32_e32 v4, 28, v71
	v_cmp_gt_i64_e32 vcc, 0, v[3:4]
	v_not_b32_e32 v4, v4
	v_ashrrev_i32_e32 v4, 31, v4
	v_and_b32_e32 v74, v74, v217
	;; [unrolled: 8-line block ×5, first 2 shown]
	v_xor_b32_e32 v217, vcc_hi, v4
	v_xor_b32_e32 v4, vcc_lo, v4
	v_and_b32_e32 v74, v74, v217
	v_and_b32_e32 v217, v72, v4
	v_lshlrev_b32_e32 v4, 24, v71
	v_cmp_gt_i64_e32 vcc, 0, v[3:4]
	v_not_b32_e32 v4, v4
	v_ashrrev_i32_e32 v4, 31, v4
	v_mul_u32_u24_e32 v73, 20, v71
	v_xor_b32_e32 v71, vcc_hi, v4
	v_xor_b32_e32 v4, vcc_lo, v4
	v_and_b32_e32 v72, v74, v71
	v_and_b32_e32 v71, v217, v4
	v_mbcnt_lo_u32_b32 v4, v71, 0
	v_mbcnt_hi_u32_b32 v217, v72, v4
	v_cmp_ne_u64_e32 vcc, 0, v[71:72]
	v_cmp_eq_u32_e64 s[36:37], 0, v217
	s_and_b64 s[38:39], vcc, s[36:37]
	v_add_u32_e32 v219, v174, v73
	; wave barrier
	s_and_saveexec_b64 s[36:37], s[38:39]
	s_cbranch_execz .LBB1255_751
; %bb.750:                              ;   in Loop: Header=BB1255_687 Depth=2
	v_bcnt_u32_b32 v4, v71, 0
	v_bcnt_u32_b32 v4, v72, v4
	s_waitcnt lgkmcnt(0)
	v_add_u32_e32 v4, v215, v4
	ds_write_b32 v219, v4 offset:1040
.LBB1255_751:                           ;   in Loop: Header=BB1255_687 Depth=2
	s_or_b64 exec, exec, s[36:37]
	v_cmp_lt_i64_e32 vcc, -1, v[43:44]
	v_ashrrev_i32_e32 v71, 31, v44
	v_cndmask_b32_e32 v4, -1, v135, vcc
	v_xor_b32_e32 v44, v4, v44
	v_xor_b32_e32 v43, v71, v43
	v_cmp_ne_u64_e32 vcc, s[82:83], v[43:44]
	v_cndmask_b32_e32 v72, v135, v44, vcc
	v_cndmask_b32_e32 v71, 0, v43, vcc
	v_lshrrev_b64 v[71:72], s88, v[71:72]
	; wave barrier
	v_and_b32_e32 v71, s96, v71
	v_mad_u32_u24 v4, v71, 20, v174
	ds_read_b32 v218, v4 offset:1040
	v_and_b32_e32 v4, 1, v71
	v_add_co_u32_e32 v72, vcc, -1, v4
	v_addc_co_u32_e64 v74, s[36:37], 0, -1, vcc
	v_cmp_ne_u32_e32 vcc, 0, v4
	v_xor_b32_e32 v4, vcc_hi, v74
	v_and_b32_e32 v74, exec_hi, v4
	v_lshlrev_b32_e32 v4, 30, v71
	v_xor_b32_e32 v72, vcc_lo, v72
	v_cmp_gt_i64_e32 vcc, 0, v[3:4]
	v_not_b32_e32 v4, v4
	v_ashrrev_i32_e32 v4, 31, v4
	v_and_b32_e32 v72, exec_lo, v72
	v_xor_b32_e32 v220, vcc_hi, v4
	v_xor_b32_e32 v4, vcc_lo, v4
	v_and_b32_e32 v72, v72, v4
	v_lshlrev_b32_e32 v4, 29, v71
	v_cmp_gt_i64_e32 vcc, 0, v[3:4]
	v_not_b32_e32 v4, v4
	v_ashrrev_i32_e32 v4, 31, v4
	v_and_b32_e32 v74, v74, v220
	v_xor_b32_e32 v220, vcc_hi, v4
	v_xor_b32_e32 v4, vcc_lo, v4
	v_and_b32_e32 v72, v72, v4
	v_lshlrev_b32_e32 v4, 28, v71
	v_cmp_gt_i64_e32 vcc, 0, v[3:4]
	v_not_b32_e32 v4, v4
	v_ashrrev_i32_e32 v4, 31, v4
	v_and_b32_e32 v74, v74, v220
	;; [unrolled: 8-line block ×5, first 2 shown]
	v_xor_b32_e32 v220, vcc_hi, v4
	v_xor_b32_e32 v4, vcc_lo, v4
	v_and_b32_e32 v74, v74, v220
	v_and_b32_e32 v220, v72, v4
	v_lshlrev_b32_e32 v4, 24, v71
	v_cmp_gt_i64_e32 vcc, 0, v[3:4]
	v_not_b32_e32 v4, v4
	v_ashrrev_i32_e32 v4, 31, v4
	v_mul_u32_u24_e32 v73, 20, v71
	v_xor_b32_e32 v71, vcc_hi, v4
	v_xor_b32_e32 v4, vcc_lo, v4
	v_and_b32_e32 v72, v74, v71
	v_and_b32_e32 v71, v220, v4
	v_mbcnt_lo_u32_b32 v4, v71, 0
	v_mbcnt_hi_u32_b32 v220, v72, v4
	v_cmp_ne_u64_e32 vcc, 0, v[71:72]
	v_cmp_eq_u32_e64 s[36:37], 0, v220
	s_and_b64 s[38:39], vcc, s[36:37]
	v_add_u32_e32 v222, v174, v73
	; wave barrier
	s_and_saveexec_b64 s[36:37], s[38:39]
	s_cbranch_execz .LBB1255_753
; %bb.752:                              ;   in Loop: Header=BB1255_687 Depth=2
	v_bcnt_u32_b32 v4, v71, 0
	v_bcnt_u32_b32 v4, v72, v4
	s_waitcnt lgkmcnt(0)
	v_add_u32_e32 v4, v218, v4
	ds_write_b32 v222, v4 offset:1040
.LBB1255_753:                           ;   in Loop: Header=BB1255_687 Depth=2
	s_or_b64 exec, exec, s[36:37]
	v_cmp_lt_i64_e32 vcc, -1, v[45:46]
	v_ashrrev_i32_e32 v71, 31, v46
	v_cndmask_b32_e32 v4, -1, v135, vcc
	v_xor_b32_e32 v46, v4, v46
	v_xor_b32_e32 v45, v71, v45
	v_cmp_ne_u64_e32 vcc, s[82:83], v[45:46]
	v_cndmask_b32_e32 v72, v135, v46, vcc
	v_cndmask_b32_e32 v71, 0, v45, vcc
	v_lshrrev_b64 v[71:72], s88, v[71:72]
	; wave barrier
	v_and_b32_e32 v71, s96, v71
	v_mad_u32_u24 v4, v71, 20, v174
	ds_read_b32 v221, v4 offset:1040
	v_and_b32_e32 v4, 1, v71
	v_add_co_u32_e32 v72, vcc, -1, v4
	v_addc_co_u32_e64 v74, s[36:37], 0, -1, vcc
	v_cmp_ne_u32_e32 vcc, 0, v4
	v_xor_b32_e32 v4, vcc_hi, v74
	v_and_b32_e32 v74, exec_hi, v4
	v_lshlrev_b32_e32 v4, 30, v71
	v_xor_b32_e32 v72, vcc_lo, v72
	v_cmp_gt_i64_e32 vcc, 0, v[3:4]
	v_not_b32_e32 v4, v4
	v_ashrrev_i32_e32 v4, 31, v4
	v_and_b32_e32 v72, exec_lo, v72
	v_xor_b32_e32 v223, vcc_hi, v4
	v_xor_b32_e32 v4, vcc_lo, v4
	v_and_b32_e32 v72, v72, v4
	v_lshlrev_b32_e32 v4, 29, v71
	v_cmp_gt_i64_e32 vcc, 0, v[3:4]
	v_not_b32_e32 v4, v4
	v_ashrrev_i32_e32 v4, 31, v4
	v_and_b32_e32 v74, v74, v223
	v_xor_b32_e32 v223, vcc_hi, v4
	v_xor_b32_e32 v4, vcc_lo, v4
	v_and_b32_e32 v72, v72, v4
	v_lshlrev_b32_e32 v4, 28, v71
	v_cmp_gt_i64_e32 vcc, 0, v[3:4]
	v_not_b32_e32 v4, v4
	v_ashrrev_i32_e32 v4, 31, v4
	v_and_b32_e32 v74, v74, v223
	;; [unrolled: 8-line block ×5, first 2 shown]
	v_xor_b32_e32 v223, vcc_hi, v4
	v_xor_b32_e32 v4, vcc_lo, v4
	v_and_b32_e32 v74, v74, v223
	v_and_b32_e32 v223, v72, v4
	v_lshlrev_b32_e32 v4, 24, v71
	v_cmp_gt_i64_e32 vcc, 0, v[3:4]
	v_not_b32_e32 v4, v4
	v_ashrrev_i32_e32 v4, 31, v4
	v_mul_u32_u24_e32 v73, 20, v71
	v_xor_b32_e32 v71, vcc_hi, v4
	v_xor_b32_e32 v4, vcc_lo, v4
	v_and_b32_e32 v72, v74, v71
	v_and_b32_e32 v71, v223, v4
	v_mbcnt_lo_u32_b32 v4, v71, 0
	v_mbcnt_hi_u32_b32 v223, v72, v4
	v_cmp_ne_u64_e32 vcc, 0, v[71:72]
	v_cmp_eq_u32_e64 s[36:37], 0, v223
	s_and_b64 s[38:39], vcc, s[36:37]
	v_add_u32_e32 v4, v174, v73
	; wave barrier
	s_and_saveexec_b64 s[36:37], s[38:39]
	s_cbranch_execz .LBB1255_755
; %bb.754:                              ;   in Loop: Header=BB1255_687 Depth=2
	v_bcnt_u32_b32 v71, v71, 0
	v_bcnt_u32_b32 v71, v72, v71
	s_waitcnt lgkmcnt(0)
	v_add_u32_e32 v71, v221, v71
	ds_write_b32 v4, v71 offset:1040
.LBB1255_755:                           ;   in Loop: Header=BB1255_687 Depth=2
	s_or_b64 exec, exec, s[36:37]
	; wave barrier
	s_waitcnt lgkmcnt(0)
	s_barrier
	ds_read2_b32 v[73:74], v177 offset1:1
	ds_read2_b32 v[71:72], v176 offset1:1
	ds_read_b32 v224, v100 offset:1056
	s_waitcnt lgkmcnt(1)
	v_add3_u32 v225, v74, v73, v71
	s_waitcnt lgkmcnt(0)
	v_add3_u32 v224, v225, v72, v224
	s_nop 1
	v_mov_b32_dpp v225, v224 row_shr:1 row_mask:0xf bank_mask:0xf
	v_cndmask_b32_e64 v225, v225, 0, s[16:17]
	v_add_u32_e32 v224, v225, v224
	s_nop 1
	v_mov_b32_dpp v225, v224 row_shr:2 row_mask:0xf bank_mask:0xf
	v_cndmask_b32_e64 v225, 0, v225, s[18:19]
	v_add_u32_e32 v224, v224, v225
	;; [unrolled: 4-line block ×4, first 2 shown]
	s_nop 1
	v_mov_b32_dpp v225, v224 row_bcast:15 row_mask:0xf bank_mask:0xf
	v_cndmask_b32_e64 v225, v225, 0, s[24:25]
	v_add_u32_e32 v224, v224, v225
	s_nop 1
	v_mov_b32_dpp v225, v224 row_bcast:31 row_mask:0xf bank_mask:0xf
	v_cndmask_b32_e64 v225, 0, v225, s[26:27]
	v_add_u32_e32 v224, v224, v225
	s_and_saveexec_b64 s[36:37], s[6:7]
; %bb.756:                              ;   in Loop: Header=BB1255_687 Depth=2
	ds_write_b32 v95, v224 offset:1024
; %bb.757:                              ;   in Loop: Header=BB1255_687 Depth=2
	s_or_b64 exec, exec, s[36:37]
	s_waitcnt lgkmcnt(0)
	s_barrier
	s_and_saveexec_b64 s[36:37], s[8:9]
	s_cbranch_execz .LBB1255_759
; %bb.758:                              ;   in Loop: Header=BB1255_687 Depth=2
	ds_read_b32 v225, v101 offset:1024
	s_waitcnt lgkmcnt(0)
	s_nop 0
	v_mov_b32_dpp v226, v225 row_shr:1 row_mask:0xf bank_mask:0xf
	v_cndmask_b32_e64 v226, v226, 0, s[30:31]
	v_add_u32_e32 v225, v226, v225
	s_nop 1
	v_mov_b32_dpp v226, v225 row_shr:2 row_mask:0xf bank_mask:0xf
	v_cndmask_b32_e64 v226, 0, v226, s[34:35]
	v_add_u32_e32 v225, v225, v226
	ds_write_b32 v101, v225 offset:1024
.LBB1255_759:                           ;   in Loop: Header=BB1255_687 Depth=2
	s_or_b64 exec, exec, s[36:37]
	v_mov_b32_e32 v225, 0
	s_waitcnt lgkmcnt(0)
	s_barrier
	s_and_saveexec_b64 s[36:37], s[10:11]
; %bb.760:                              ;   in Loop: Header=BB1255_687 Depth=2
	ds_read_b32 v225, v95 offset:1020
; %bb.761:                              ;   in Loop: Header=BB1255_687 Depth=2
	s_or_b64 exec, exec, s[36:37]
	s_waitcnt lgkmcnt(0)
	v_add_u32_e32 v224, v225, v224
	ds_bpermute_b32 v224, v137, v224
	s_waitcnt lgkmcnt(0)
	v_cndmask_b32_e64 v224, v224, v225, s[28:29]
	v_cndmask_b32_e64 v224, v224, 0, s[12:13]
	v_add_u32_e32 v73, v224, v73
	v_add_u32_e32 v74, v73, v74
	;; [unrolled: 1-line block ×4, first 2 shown]
	ds_write2_b32 v177, v224, v73 offset1:1
	ds_write2_b32 v176, v74, v71 offset1:1
	ds_write_b32 v100, v72 offset:1056
	s_waitcnt lgkmcnt(0)
	s_barrier
	ds_read_b32 v71, v180 offset:1040
	ds_read_b32 v72, v183 offset:1040
	;; [unrolled: 1-line block ×17, first 2 shown]
	v_mov_b32_e32 v4, 0x1000
	s_and_saveexec_b64 s[36:37], s[14:15]
; %bb.762:                              ;   in Loop: Header=BB1255_687 Depth=2
	ds_read_b32 v4, v100 offset:1060
; %bb.763:                              ;   in Loop: Header=BB1255_687 Depth=2
	s_or_b64 exec, exec, s[36:37]
	s_waitcnt lgkmcnt(0)
	s_barrier
	s_and_saveexec_b64 s[36:37], s[4:5]
	s_cbranch_execz .LBB1255_765
; %bb.764:                              ;   in Loop: Header=BB1255_687 Depth=2
	ds_read_b32 v201, v75
	s_waitcnt lgkmcnt(0)
	v_sub_u32_e32 v198, v201, v198
	ds_write_b32 v75, v198
.LBB1255_765:                           ;   in Loop: Header=BB1255_687 Depth=2
	s_or_b64 exec, exec, s[36:37]
	v_lshlrev_b32_e32 v178, 3, v178
	v_lshl_add_u32 v71, v71, 3, v178
	ds_write_b64 v71, v[39:40] offset:1024
	v_lshlrev_b32_e32 v39, 3, v181
	v_lshlrev_b32_e32 v40, 3, v179
	;; [unrolled: 1-line block ×3, first 2 shown]
	v_add3_u32 v72, v39, v40, v72
	ds_write_b64 v72, v[41:42] offset:1024
	v_lshlrev_b32_e32 v39, 3, v184
	v_lshlrev_b32_e32 v40, 3, v182
	v_lshlrev_b32_e32 v41, 3, v227
	v_add3_u32 v41, v39, v40, v41
	v_lshlrev_b32_e32 v39, 3, v187
	v_lshlrev_b32_e32 v40, 3, v185
	v_lshlrev_b32_e32 v42, 3, v226
	ds_write_b64 v41, v[47:48] offset:1024
	v_add3_u32 v42, v39, v40, v42
	v_lshlrev_b32_e32 v39, 3, v190
	v_lshlrev_b32_e32 v40, 3, v188
	v_lshlrev_b32_e32 v47, 3, v225
	v_add3_u32 v47, v39, v40, v47
	v_lshlrev_b32_e32 v39, 3, v193
	v_lshlrev_b32_e32 v40, 3, v191
	v_lshlrev_b32_e32 v48, 3, v224
	ds_write_b64 v42, v[51:52] offset:1024
	v_add3_u32 v48, v39, v40, v48
	;; [unrolled: 9-line block ×4, first 2 shown]
	v_lshlrev_b32_e32 v39, 3, v208
	v_lshlrev_b32_e32 v40, 3, v206
	;; [unrolled: 1-line block ×3, first 2 shown]
	v_add3_u32 v59, v39, v40, v59
	v_lshlrev_b32_e32 v39, 3, v211
	v_lshlrev_b32_e32 v40, 3, v209
	;; [unrolled: 1-line block ×3, first 2 shown]
	v_add3_u32 v60, v39, v40, v60
	ds_write_b64 v51, v[63:64] offset:1024
	ds_write_b64 v52, v[67:68] offset:1024
	;; [unrolled: 1-line block ×6, first 2 shown]
	v_lshlrev_b32_e32 v39, 3, v214
	v_lshlrev_b32_e32 v40, 3, v212
	v_lshlrev_b32_e32 v57, 3, v177
	v_add3_u32 v57, v39, v40, v57
	ds_write_b64 v57, v[53:54] offset:1024
	v_lshlrev_b32_e32 v39, 3, v217
	v_lshlrev_b32_e32 v40, 3, v215
	v_lshlrev_b32_e32 v53, 3, v176
	v_add3_u32 v53, v39, v40, v53
	ds_write_b64 v53, v[49:50] offset:1024
	v_lshlrev_b32_e32 v39, 3, v220
	v_lshlrev_b32_e32 v40, 3, v218
	v_lshlrev_b32_e32 v49, 3, v74
	v_add3_u32 v49, v39, v40, v49
	ds_write_b64 v49, v[43:44] offset:1024
	v_lshlrev_b32_e32 v39, 3, v223
	v_lshlrev_b32_e32 v40, 3, v221
	;; [unrolled: 1-line block ×3, first 2 shown]
	v_add3_u32 v43, v39, v40, v43
	v_cmp_lt_u32_e64 s[36:37], v0, v175
	ds_write_b64 v43, v[45:46] offset:1024
	s_waitcnt lgkmcnt(0)
	s_barrier
	s_and_saveexec_b64 s[38:39], s[36:37]
	s_cbranch_execnz .LBB1255_834
; %bb.766:                              ;   in Loop: Header=BB1255_687 Depth=2
	s_or_b64 exec, exec, s[38:39]
	v_cmp_lt_u32_e64 s[38:39], v76, v175
	s_and_saveexec_b64 s[40:41], s[38:39]
	s_cbranch_execnz .LBB1255_835
.LBB1255_767:                           ;   in Loop: Header=BB1255_687 Depth=2
	s_or_b64 exec, exec, s[40:41]
	v_cmp_lt_u32_e64 s[40:41], v77, v175
	s_and_saveexec_b64 s[42:43], s[40:41]
	s_cbranch_execnz .LBB1255_836
.LBB1255_768:                           ;   in Loop: Header=BB1255_687 Depth=2
	s_or_b64 exec, exec, s[42:43]
	v_cmp_lt_u32_e64 s[42:43], v78, v175
	s_and_saveexec_b64 s[44:45], s[42:43]
	s_cbranch_execnz .LBB1255_837
.LBB1255_769:                           ;   in Loop: Header=BB1255_687 Depth=2
	s_or_b64 exec, exec, s[44:45]
	v_cmp_lt_u32_e64 s[44:45], v81, v175
	s_and_saveexec_b64 s[46:47], s[44:45]
	s_cbranch_execnz .LBB1255_838
.LBB1255_770:                           ;   in Loop: Header=BB1255_687 Depth=2
	s_or_b64 exec, exec, s[46:47]
	v_cmp_lt_u32_e64 s[46:47], v82, v175
	s_and_saveexec_b64 s[48:49], s[46:47]
	s_cbranch_execnz .LBB1255_839
.LBB1255_771:                           ;   in Loop: Header=BB1255_687 Depth=2
	s_or_b64 exec, exec, s[48:49]
	v_cmp_lt_u32_e64 s[48:49], v83, v175
	s_and_saveexec_b64 s[50:51], s[48:49]
	s_cbranch_execnz .LBB1255_840
.LBB1255_772:                           ;   in Loop: Header=BB1255_687 Depth=2
	s_or_b64 exec, exec, s[50:51]
	v_cmp_lt_u32_e64 s[50:51], v84, v175
	s_and_saveexec_b64 s[52:53], s[50:51]
	s_cbranch_execnz .LBB1255_841
.LBB1255_773:                           ;   in Loop: Header=BB1255_687 Depth=2
	s_or_b64 exec, exec, s[52:53]
	v_cmp_lt_u32_e64 s[52:53], v85, v175
	s_and_saveexec_b64 s[54:55], s[52:53]
	s_cbranch_execnz .LBB1255_842
.LBB1255_774:                           ;   in Loop: Header=BB1255_687 Depth=2
	s_or_b64 exec, exec, s[54:55]
	v_cmp_lt_u32_e64 s[54:55], v86, v175
	s_and_saveexec_b64 s[56:57], s[54:55]
	s_cbranch_execnz .LBB1255_843
.LBB1255_775:                           ;   in Loop: Header=BB1255_687 Depth=2
	s_or_b64 exec, exec, s[56:57]
	v_cmp_lt_u32_e64 s[56:57], v87, v175
	s_and_saveexec_b64 s[58:59], s[56:57]
	s_cbranch_execnz .LBB1255_844
.LBB1255_776:                           ;   in Loop: Header=BB1255_687 Depth=2
	s_or_b64 exec, exec, s[58:59]
	v_cmp_lt_u32_e64 s[58:59], v88, v175
	s_and_saveexec_b64 s[60:61], s[58:59]
	s_cbranch_execnz .LBB1255_845
.LBB1255_777:                           ;   in Loop: Header=BB1255_687 Depth=2
	s_or_b64 exec, exec, s[60:61]
	v_cmp_lt_u32_e64 s[60:61], v89, v175
	s_and_saveexec_b64 s[62:63], s[60:61]
	s_cbranch_execnz .LBB1255_846
.LBB1255_778:                           ;   in Loop: Header=BB1255_687 Depth=2
	s_or_b64 exec, exec, s[62:63]
	v_cmp_lt_u32_e64 s[62:63], v90, v175
	s_and_saveexec_b64 s[64:65], s[62:63]
	s_cbranch_execnz .LBB1255_847
.LBB1255_779:                           ;   in Loop: Header=BB1255_687 Depth=2
	s_or_b64 exec, exec, s[64:65]
	v_cmp_lt_u32_e64 s[64:65], v91, v175
	s_and_saveexec_b64 s[66:67], s[64:65]
	s_cbranch_execnz .LBB1255_848
.LBB1255_780:                           ;   in Loop: Header=BB1255_687 Depth=2
	s_or_b64 exec, exec, s[66:67]
	v_cmp_lt_u32_e64 s[66:67], v92, v175
	s_and_saveexec_b64 s[92:93], s[66:67]
	s_cbranch_execz .LBB1255_782
.LBB1255_781:                           ;   in Loop: Header=BB1255_687 Depth=2
	ds_read_b64 v[39:40], v106 offset:31744
	v_mov_b32_e32 v45, v3
	v_mov_b32_e32 v46, s79
	s_waitcnt lgkmcnt(0)
	v_cmp_ne_u64_e32 vcc, s[82:83], v[39:40]
	v_ashrrev_i32_e32 v54, 31, v40
	v_cndmask_b32_e32 v62, v135, v40, vcc
	v_cndmask_b32_e32 v61, 0, v39, vcc
	v_lshrrev_b64 v[61:62], s88, v[61:62]
	v_cmp_lt_i64_e32 vcc, -1, v[39:40]
	v_and_b32_e32 v50, s96, v61
	v_lshlrev_b32_e32 v50, 2, v50
	ds_read_b32 v50, v50
	v_cndmask_b32_e64 v44, v135, -1, vcc
	v_xor_b32_e32 v40, v44, v40
	v_not_b32_e32 v54, v54
	v_xor_b32_e32 v39, v54, v39
	s_waitcnt lgkmcnt(0)
	v_add_u32_e32 v44, v50, v92
	v_lshlrev_b64 v[44:45], 3, v[44:45]
	v_add_co_u32_e32 v44, vcc, s78, v44
	v_addc_co_u32_e32 v45, vcc, v46, v45, vcc
	global_store_dwordx2 v[44:45], v[39:40], off
.LBB1255_782:                           ;   in Loop: Header=BB1255_687 Depth=2
	s_or_b64 exec, exec, s[92:93]
	s_lshl_b64 s[92:93], s[72:73], 3
	v_mov_b32_e32 v40, s93
	v_add_co_u32_e32 v39, vcc, s92, v147
	v_addc_co_u32_e32 v40, vcc, v149, v40, vcc
	v_cmp_lt_u32_e32 vcc, v145, v175
	s_and_saveexec_b64 s[92:93], vcc
	s_xor_b64 s[92:93], exec, s[92:93]
	s_cbranch_execnz .LBB1255_849
; %bb.783:                              ;   in Loop: Header=BB1255_687 Depth=2
	s_or_b64 exec, exec, s[92:93]
	v_cmp_lt_u32_e32 vcc, v151, v175
	s_and_saveexec_b64 s[92:93], vcc
	s_cbranch_execnz .LBB1255_850
.LBB1255_784:                           ;   in Loop: Header=BB1255_687 Depth=2
	s_or_b64 exec, exec, s[92:93]
	v_cmp_lt_u32_e32 vcc, v153, v175
	s_and_saveexec_b64 s[92:93], vcc
	s_cbranch_execnz .LBB1255_851
.LBB1255_785:                           ;   in Loop: Header=BB1255_687 Depth=2
	s_or_b64 exec, exec, s[92:93]
	v_cmp_lt_u32_e32 vcc, v155, v175
	s_and_saveexec_b64 s[92:93], vcc
	s_cbranch_execnz .LBB1255_852
.LBB1255_786:                           ;   in Loop: Header=BB1255_687 Depth=2
	s_or_b64 exec, exec, s[92:93]
	v_cmp_lt_u32_e32 vcc, v157, v175
	s_and_saveexec_b64 s[92:93], vcc
	s_cbranch_execnz .LBB1255_853
.LBB1255_787:                           ;   in Loop: Header=BB1255_687 Depth=2
	s_or_b64 exec, exec, s[92:93]
	v_cmp_lt_u32_e32 vcc, v159, v175
	s_and_saveexec_b64 s[92:93], vcc
	s_cbranch_execnz .LBB1255_854
.LBB1255_788:                           ;   in Loop: Header=BB1255_687 Depth=2
	s_or_b64 exec, exec, s[92:93]
	v_cmp_lt_u32_e32 vcc, v161, v175
	s_and_saveexec_b64 s[92:93], vcc
	s_cbranch_execnz .LBB1255_855
.LBB1255_789:                           ;   in Loop: Header=BB1255_687 Depth=2
	s_or_b64 exec, exec, s[92:93]
	v_cmp_lt_u32_e32 vcc, v163, v175
	s_and_saveexec_b64 s[92:93], vcc
	s_cbranch_execnz .LBB1255_856
.LBB1255_790:                           ;   in Loop: Header=BB1255_687 Depth=2
	s_or_b64 exec, exec, s[92:93]
	v_cmp_lt_u32_e32 vcc, v164, v175
	s_and_saveexec_b64 s[92:93], vcc
	s_cbranch_execnz .LBB1255_857
.LBB1255_791:                           ;   in Loop: Header=BB1255_687 Depth=2
	s_or_b64 exec, exec, s[92:93]
	v_cmp_lt_u32_e32 vcc, v165, v175
	s_and_saveexec_b64 s[92:93], vcc
	s_cbranch_execnz .LBB1255_858
.LBB1255_792:                           ;   in Loop: Header=BB1255_687 Depth=2
	s_or_b64 exec, exec, s[92:93]
	v_cmp_lt_u32_e32 vcc, v166, v175
	s_and_saveexec_b64 s[92:93], vcc
	s_cbranch_execnz .LBB1255_859
.LBB1255_793:                           ;   in Loop: Header=BB1255_687 Depth=2
	s_or_b64 exec, exec, s[92:93]
	v_cmp_lt_u32_e32 vcc, v167, v175
	s_and_saveexec_b64 s[92:93], vcc
	s_cbranch_execnz .LBB1255_860
.LBB1255_794:                           ;   in Loop: Header=BB1255_687 Depth=2
	s_or_b64 exec, exec, s[92:93]
	v_cmp_lt_u32_e32 vcc, v168, v175
	s_and_saveexec_b64 s[92:93], vcc
	s_cbranch_execnz .LBB1255_861
.LBB1255_795:                           ;   in Loop: Header=BB1255_687 Depth=2
	s_or_b64 exec, exec, s[92:93]
	v_cmp_lt_u32_e32 vcc, v169, v175
	s_and_saveexec_b64 s[92:93], vcc
	s_cbranch_execnz .LBB1255_862
.LBB1255_796:                           ;   in Loop: Header=BB1255_687 Depth=2
	s_or_b64 exec, exec, s[92:93]
	v_cmp_lt_u32_e32 vcc, v170, v175
	s_and_saveexec_b64 s[92:93], vcc
	s_cbranch_execnz .LBB1255_863
.LBB1255_797:                           ;   in Loop: Header=BB1255_687 Depth=2
	s_or_b64 exec, exec, s[92:93]
	v_cmp_lt_u32_e32 vcc, v171, v175
	s_and_saveexec_b64 s[92:93], vcc
	s_cbranch_execnz .LBB1255_864
.LBB1255_798:                           ;   in Loop: Header=BB1255_687 Depth=2
	s_or_b64 exec, exec, s[92:93]
	s_and_saveexec_b64 s[92:93], s[36:37]
	s_cbranch_execnz .LBB1255_865
.LBB1255_799:                           ;   in Loop: Header=BB1255_687 Depth=2
	s_or_b64 exec, exec, s[92:93]
	s_and_saveexec_b64 s[92:93], s[38:39]
	s_cbranch_execnz .LBB1255_866
.LBB1255_800:                           ;   in Loop: Header=BB1255_687 Depth=2
	s_or_b64 exec, exec, s[92:93]
	s_and_saveexec_b64 s[92:93], s[40:41]
	s_cbranch_execnz .LBB1255_867
.LBB1255_801:                           ;   in Loop: Header=BB1255_687 Depth=2
	s_or_b64 exec, exec, s[92:93]
	s_and_saveexec_b64 s[92:93], s[42:43]
	s_cbranch_execnz .LBB1255_868
.LBB1255_802:                           ;   in Loop: Header=BB1255_687 Depth=2
	s_or_b64 exec, exec, s[92:93]
	s_and_saveexec_b64 s[92:93], s[44:45]
	s_cbranch_execnz .LBB1255_869
.LBB1255_803:                           ;   in Loop: Header=BB1255_687 Depth=2
	s_or_b64 exec, exec, s[92:93]
	s_and_saveexec_b64 s[92:93], s[46:47]
	s_cbranch_execnz .LBB1255_870
.LBB1255_804:                           ;   in Loop: Header=BB1255_687 Depth=2
	s_or_b64 exec, exec, s[92:93]
	s_and_saveexec_b64 s[92:93], s[48:49]
	s_cbranch_execnz .LBB1255_871
.LBB1255_805:                           ;   in Loop: Header=BB1255_687 Depth=2
	s_or_b64 exec, exec, s[92:93]
	s_and_saveexec_b64 s[92:93], s[50:51]
	s_cbranch_execnz .LBB1255_872
.LBB1255_806:                           ;   in Loop: Header=BB1255_687 Depth=2
	s_or_b64 exec, exec, s[92:93]
	s_and_saveexec_b64 s[92:93], s[52:53]
	s_cbranch_execnz .LBB1255_873
.LBB1255_807:                           ;   in Loop: Header=BB1255_687 Depth=2
	s_or_b64 exec, exec, s[92:93]
	s_and_saveexec_b64 s[92:93], s[54:55]
	s_cbranch_execnz .LBB1255_874
.LBB1255_808:                           ;   in Loop: Header=BB1255_687 Depth=2
	s_or_b64 exec, exec, s[92:93]
	s_and_saveexec_b64 s[92:93], s[56:57]
	s_cbranch_execnz .LBB1255_875
.LBB1255_809:                           ;   in Loop: Header=BB1255_687 Depth=2
	s_or_b64 exec, exec, s[92:93]
	s_and_saveexec_b64 s[92:93], s[58:59]
	s_cbranch_execnz .LBB1255_876
.LBB1255_810:                           ;   in Loop: Header=BB1255_687 Depth=2
	s_or_b64 exec, exec, s[92:93]
	s_and_saveexec_b64 s[92:93], s[60:61]
	s_cbranch_execnz .LBB1255_877
.LBB1255_811:                           ;   in Loop: Header=BB1255_687 Depth=2
	s_or_b64 exec, exec, s[92:93]
	s_and_saveexec_b64 s[92:93], s[62:63]
	s_cbranch_execnz .LBB1255_878
.LBB1255_812:                           ;   in Loop: Header=BB1255_687 Depth=2
	s_or_b64 exec, exec, s[92:93]
	s_and_saveexec_b64 s[92:93], s[64:65]
	s_cbranch_execnz .LBB1255_879
.LBB1255_813:                           ;   in Loop: Header=BB1255_687 Depth=2
	s_or_b64 exec, exec, s[92:93]
	s_and_saveexec_b64 s[92:93], s[66:67]
	s_cbranch_execz .LBB1255_815
.LBB1255_814:                           ;   in Loop: Header=BB1255_687 Depth=2
	ds_read_b64 v[39:40], v106 offset:31744
	s_waitcnt lgkmcnt(0)
	v_cmp_ne_u64_e32 vcc, s[82:83], v[39:40]
	v_cndmask_b32_e32 v40, v135, v40, vcc
	v_cndmask_b32_e32 v39, 0, v39, vcc
	v_lshrrev_b64 v[39:40], s88, v[39:40]
	v_and_b32_e32 v138, s96, v39
.LBB1255_815:                           ;   in Loop: Header=BB1255_687 Depth=2
	s_or_b64 exec, exec, s[92:93]
	s_waitcnt vmcnt(0)
	s_barrier
	ds_write_b64 v71, v[37:38] offset:1024
	ds_write_b64 v72, v[35:36] offset:1024
	ds_write_b64 v41, v[33:34] offset:1024
	ds_write_b64 v42, v[29:30] offset:1024
	ds_write_b64 v47, v[25:26] offset:1024
	ds_write_b64 v48, v[21:22] offset:1024
	ds_write_b64 v51, v[17:18] offset:1024
	ds_write_b64 v52, v[13:14] offset:1024
	ds_write_b64 v55, v[31:32] offset:1024
	ds_write_b64 v56, v[27:28] offset:1024
	ds_write_b64 v59, v[23:24] offset:1024
	ds_write_b64 v60, v[19:20] offset:1024
	ds_write_b64 v57, v[15:16] offset:1024
	ds_write_b64 v53, v[11:12] offset:1024
	ds_write_b64 v49, v[9:10] offset:1024
	ds_write_b64 v43, v[7:8] offset:1024
	s_waitcnt lgkmcnt(0)
	s_barrier
	s_and_saveexec_b64 s[92:93], s[36:37]
	s_cbranch_execnz .LBB1255_880
; %bb.816:                              ;   in Loop: Header=BB1255_687 Depth=2
	s_or_b64 exec, exec, s[92:93]
	s_and_saveexec_b64 s[36:37], s[38:39]
	s_cbranch_execnz .LBB1255_881
.LBB1255_817:                           ;   in Loop: Header=BB1255_687 Depth=2
	s_or_b64 exec, exec, s[36:37]
	s_and_saveexec_b64 s[36:37], s[40:41]
	s_cbranch_execnz .LBB1255_882
.LBB1255_818:                           ;   in Loop: Header=BB1255_687 Depth=2
	s_or_b64 exec, exec, s[36:37]
	s_and_saveexec_b64 s[36:37], s[42:43]
	s_cbranch_execnz .LBB1255_883
.LBB1255_819:                           ;   in Loop: Header=BB1255_687 Depth=2
	s_or_b64 exec, exec, s[36:37]
	s_and_saveexec_b64 s[36:37], s[44:45]
	s_cbranch_execnz .LBB1255_884
.LBB1255_820:                           ;   in Loop: Header=BB1255_687 Depth=2
	s_or_b64 exec, exec, s[36:37]
	s_and_saveexec_b64 s[36:37], s[46:47]
	s_cbranch_execnz .LBB1255_885
.LBB1255_821:                           ;   in Loop: Header=BB1255_687 Depth=2
	s_or_b64 exec, exec, s[36:37]
	s_and_saveexec_b64 s[36:37], s[48:49]
	s_cbranch_execnz .LBB1255_886
.LBB1255_822:                           ;   in Loop: Header=BB1255_687 Depth=2
	s_or_b64 exec, exec, s[36:37]
	s_and_saveexec_b64 s[36:37], s[50:51]
	s_cbranch_execnz .LBB1255_887
.LBB1255_823:                           ;   in Loop: Header=BB1255_687 Depth=2
	s_or_b64 exec, exec, s[36:37]
	s_and_saveexec_b64 s[36:37], s[52:53]
	s_cbranch_execnz .LBB1255_888
.LBB1255_824:                           ;   in Loop: Header=BB1255_687 Depth=2
	s_or_b64 exec, exec, s[36:37]
	s_and_saveexec_b64 s[36:37], s[54:55]
	s_cbranch_execnz .LBB1255_889
.LBB1255_825:                           ;   in Loop: Header=BB1255_687 Depth=2
	s_or_b64 exec, exec, s[36:37]
	s_and_saveexec_b64 s[36:37], s[56:57]
	s_cbranch_execnz .LBB1255_890
.LBB1255_826:                           ;   in Loop: Header=BB1255_687 Depth=2
	s_or_b64 exec, exec, s[36:37]
	s_and_saveexec_b64 s[36:37], s[58:59]
	s_cbranch_execnz .LBB1255_891
.LBB1255_827:                           ;   in Loop: Header=BB1255_687 Depth=2
	s_or_b64 exec, exec, s[36:37]
	s_and_saveexec_b64 s[36:37], s[60:61]
	s_cbranch_execnz .LBB1255_892
.LBB1255_828:                           ;   in Loop: Header=BB1255_687 Depth=2
	s_or_b64 exec, exec, s[36:37]
	s_and_saveexec_b64 s[36:37], s[62:63]
	s_cbranch_execnz .LBB1255_893
.LBB1255_829:                           ;   in Loop: Header=BB1255_687 Depth=2
	s_or_b64 exec, exec, s[36:37]
	s_and_saveexec_b64 s[36:37], s[64:65]
	s_cbranch_execnz .LBB1255_894
.LBB1255_830:                           ;   in Loop: Header=BB1255_687 Depth=2
	s_or_b64 exec, exec, s[36:37]
	s_and_saveexec_b64 s[36:37], s[66:67]
	s_cbranch_execz .LBB1255_832
.LBB1255_831:                           ;   in Loop: Header=BB1255_687 Depth=2
	v_lshlrev_b32_e32 v39, 2, v138
	ds_read_b32 v41, v39
	ds_read_b64 v[39:40], v106 offset:31744
	v_mov_b32_e32 v42, v3
	v_mov_b32_e32 v43, s85
	s_waitcnt lgkmcnt(1)
	v_add_u32_e32 v41, v41, v92
	v_lshlrev_b64 v[41:42], 3, v[41:42]
	v_add_co_u32_e32 v41, vcc, s84, v41
	v_addc_co_u32_e32 v42, vcc, v43, v42, vcc
	s_waitcnt lgkmcnt(0)
	global_store_dwordx2 v[41:42], v[39:40], off
.LBB1255_832:                           ;   in Loop: Header=BB1255_687 Depth=2
	s_or_b64 exec, exec, s[36:37]
	s_waitcnt vmcnt(0)
	s_barrier
	s_and_saveexec_b64 s[36:37], s[4:5]
	s_cbranch_execz .LBB1255_686
; %bb.833:                              ;   in Loop: Header=BB1255_687 Depth=2
	ds_read_b32 v39, v75
	s_waitcnt lgkmcnt(0)
	v_add_u32_e32 v4, v39, v4
	ds_write_b32 v75, v4
	s_branch .LBB1255_686
.LBB1255_834:                           ;   in Loop: Header=BB1255_687 Depth=2
	ds_read_b64 v[39:40], v106 offset:1024
	v_mov_b32_e32 v45, v3
	v_mov_b32_e32 v46, s79
	s_waitcnt lgkmcnt(0)
	v_cmp_ne_u64_e32 vcc, s[82:83], v[39:40]
	v_ashrrev_i32_e32 v54, 31, v40
	v_cndmask_b32_e32 v62, v135, v40, vcc
	v_cndmask_b32_e32 v61, 0, v39, vcc
	v_lshrrev_b64 v[61:62], s88, v[61:62]
	v_cmp_lt_i64_e32 vcc, -1, v[39:40]
	v_and_b32_e32 v50, s96, v61
	v_lshlrev_b32_e32 v50, 2, v50
	ds_read_b32 v50, v50
	v_cndmask_b32_e64 v44, v135, -1, vcc
	v_xor_b32_e32 v40, v44, v40
	v_not_b32_e32 v54, v54
	v_xor_b32_e32 v39, v54, v39
	s_waitcnt lgkmcnt(0)
	v_add_u32_e32 v44, v50, v0
	v_lshlrev_b64 v[44:45], 3, v[44:45]
	v_add_co_u32_e32 v44, vcc, s78, v44
	v_addc_co_u32_e32 v45, vcc, v46, v45, vcc
	global_store_dwordx2 v[44:45], v[39:40], off
	s_or_b64 exec, exec, s[38:39]
	v_cmp_lt_u32_e64 s[38:39], v76, v175
	s_and_saveexec_b64 s[40:41], s[38:39]
	s_cbranch_execz .LBB1255_767
.LBB1255_835:                           ;   in Loop: Header=BB1255_687 Depth=2
	ds_read_b64 v[39:40], v106 offset:3072
	v_mov_b32_e32 v45, v3
	v_mov_b32_e32 v46, s79
	s_waitcnt lgkmcnt(0)
	v_cmp_ne_u64_e32 vcc, s[82:83], v[39:40]
	v_ashrrev_i32_e32 v54, 31, v40
	v_cndmask_b32_e32 v62, v135, v40, vcc
	v_cndmask_b32_e32 v61, 0, v39, vcc
	v_lshrrev_b64 v[61:62], s88, v[61:62]
	v_cmp_lt_i64_e32 vcc, -1, v[39:40]
	v_and_b32_e32 v50, s96, v61
	v_lshlrev_b32_e32 v50, 2, v50
	ds_read_b32 v50, v50
	v_cndmask_b32_e64 v44, v135, -1, vcc
	v_xor_b32_e32 v40, v44, v40
	v_not_b32_e32 v54, v54
	v_xor_b32_e32 v39, v54, v39
	s_waitcnt lgkmcnt(0)
	v_add_u32_e32 v44, v50, v76
	v_lshlrev_b64 v[44:45], 3, v[44:45]
	v_add_co_u32_e32 v44, vcc, s78, v44
	v_addc_co_u32_e32 v45, vcc, v46, v45, vcc
	global_store_dwordx2 v[44:45], v[39:40], off
	s_or_b64 exec, exec, s[40:41]
	v_cmp_lt_u32_e64 s[40:41], v77, v175
	s_and_saveexec_b64 s[42:43], s[40:41]
	s_cbranch_execz .LBB1255_768
.LBB1255_836:                           ;   in Loop: Header=BB1255_687 Depth=2
	ds_read_b64 v[39:40], v106 offset:5120
	v_mov_b32_e32 v45, v3
	v_mov_b32_e32 v46, s79
	s_waitcnt lgkmcnt(0)
	v_cmp_ne_u64_e32 vcc, s[82:83], v[39:40]
	v_ashrrev_i32_e32 v54, 31, v40
	v_cndmask_b32_e32 v62, v135, v40, vcc
	v_cndmask_b32_e32 v61, 0, v39, vcc
	v_lshrrev_b64 v[61:62], s88, v[61:62]
	v_cmp_lt_i64_e32 vcc, -1, v[39:40]
	v_and_b32_e32 v50, s96, v61
	v_lshlrev_b32_e32 v50, 2, v50
	ds_read_b32 v50, v50
	v_cndmask_b32_e64 v44, v135, -1, vcc
	v_xor_b32_e32 v40, v44, v40
	v_not_b32_e32 v54, v54
	v_xor_b32_e32 v39, v54, v39
	s_waitcnt lgkmcnt(0)
	v_add_u32_e32 v44, v50, v77
	v_lshlrev_b64 v[44:45], 3, v[44:45]
	v_add_co_u32_e32 v44, vcc, s78, v44
	v_addc_co_u32_e32 v45, vcc, v46, v45, vcc
	global_store_dwordx2 v[44:45], v[39:40], off
	s_or_b64 exec, exec, s[42:43]
	v_cmp_lt_u32_e64 s[42:43], v78, v175
	s_and_saveexec_b64 s[44:45], s[42:43]
	s_cbranch_execz .LBB1255_769
.LBB1255_837:                           ;   in Loop: Header=BB1255_687 Depth=2
	ds_read_b64 v[39:40], v106 offset:7168
	v_mov_b32_e32 v45, v3
	v_mov_b32_e32 v46, s79
	s_waitcnt lgkmcnt(0)
	v_cmp_ne_u64_e32 vcc, s[82:83], v[39:40]
	v_ashrrev_i32_e32 v54, 31, v40
	v_cndmask_b32_e32 v62, v135, v40, vcc
	v_cndmask_b32_e32 v61, 0, v39, vcc
	v_lshrrev_b64 v[61:62], s88, v[61:62]
	v_cmp_lt_i64_e32 vcc, -1, v[39:40]
	v_and_b32_e32 v50, s96, v61
	v_lshlrev_b32_e32 v50, 2, v50
	ds_read_b32 v50, v50
	v_cndmask_b32_e64 v44, v135, -1, vcc
	v_xor_b32_e32 v40, v44, v40
	v_not_b32_e32 v54, v54
	v_xor_b32_e32 v39, v54, v39
	s_waitcnt lgkmcnt(0)
	v_add_u32_e32 v44, v50, v78
	v_lshlrev_b64 v[44:45], 3, v[44:45]
	v_add_co_u32_e32 v44, vcc, s78, v44
	v_addc_co_u32_e32 v45, vcc, v46, v45, vcc
	global_store_dwordx2 v[44:45], v[39:40], off
	s_or_b64 exec, exec, s[44:45]
	v_cmp_lt_u32_e64 s[44:45], v81, v175
	s_and_saveexec_b64 s[46:47], s[44:45]
	s_cbranch_execz .LBB1255_770
.LBB1255_838:                           ;   in Loop: Header=BB1255_687 Depth=2
	ds_read_b64 v[39:40], v106 offset:9216
	v_mov_b32_e32 v45, v3
	v_mov_b32_e32 v46, s79
	s_waitcnt lgkmcnt(0)
	v_cmp_ne_u64_e32 vcc, s[82:83], v[39:40]
	v_ashrrev_i32_e32 v54, 31, v40
	v_cndmask_b32_e32 v62, v135, v40, vcc
	v_cndmask_b32_e32 v61, 0, v39, vcc
	v_lshrrev_b64 v[61:62], s88, v[61:62]
	v_cmp_lt_i64_e32 vcc, -1, v[39:40]
	v_and_b32_e32 v50, s96, v61
	v_lshlrev_b32_e32 v50, 2, v50
	ds_read_b32 v50, v50
	v_cndmask_b32_e64 v44, v135, -1, vcc
	v_xor_b32_e32 v40, v44, v40
	v_not_b32_e32 v54, v54
	v_xor_b32_e32 v39, v54, v39
	s_waitcnt lgkmcnt(0)
	v_add_u32_e32 v44, v50, v81
	v_lshlrev_b64 v[44:45], 3, v[44:45]
	v_add_co_u32_e32 v44, vcc, s78, v44
	v_addc_co_u32_e32 v45, vcc, v46, v45, vcc
	global_store_dwordx2 v[44:45], v[39:40], off
	s_or_b64 exec, exec, s[46:47]
	v_cmp_lt_u32_e64 s[46:47], v82, v175
	s_and_saveexec_b64 s[48:49], s[46:47]
	s_cbranch_execz .LBB1255_771
.LBB1255_839:                           ;   in Loop: Header=BB1255_687 Depth=2
	ds_read_b64 v[39:40], v106 offset:11264
	v_mov_b32_e32 v45, v3
	v_mov_b32_e32 v46, s79
	s_waitcnt lgkmcnt(0)
	v_cmp_ne_u64_e32 vcc, s[82:83], v[39:40]
	v_ashrrev_i32_e32 v54, 31, v40
	v_cndmask_b32_e32 v62, v135, v40, vcc
	v_cndmask_b32_e32 v61, 0, v39, vcc
	v_lshrrev_b64 v[61:62], s88, v[61:62]
	v_cmp_lt_i64_e32 vcc, -1, v[39:40]
	v_and_b32_e32 v50, s96, v61
	v_lshlrev_b32_e32 v50, 2, v50
	ds_read_b32 v50, v50
	v_cndmask_b32_e64 v44, v135, -1, vcc
	v_xor_b32_e32 v40, v44, v40
	v_not_b32_e32 v54, v54
	v_xor_b32_e32 v39, v54, v39
	s_waitcnt lgkmcnt(0)
	v_add_u32_e32 v44, v50, v82
	v_lshlrev_b64 v[44:45], 3, v[44:45]
	v_add_co_u32_e32 v44, vcc, s78, v44
	v_addc_co_u32_e32 v45, vcc, v46, v45, vcc
	global_store_dwordx2 v[44:45], v[39:40], off
	s_or_b64 exec, exec, s[48:49]
	v_cmp_lt_u32_e64 s[48:49], v83, v175
	s_and_saveexec_b64 s[50:51], s[48:49]
	s_cbranch_execz .LBB1255_772
.LBB1255_840:                           ;   in Loop: Header=BB1255_687 Depth=2
	ds_read_b64 v[39:40], v106 offset:13312
	v_mov_b32_e32 v45, v3
	v_mov_b32_e32 v46, s79
	s_waitcnt lgkmcnt(0)
	v_cmp_ne_u64_e32 vcc, s[82:83], v[39:40]
	v_ashrrev_i32_e32 v54, 31, v40
	v_cndmask_b32_e32 v62, v135, v40, vcc
	v_cndmask_b32_e32 v61, 0, v39, vcc
	v_lshrrev_b64 v[61:62], s88, v[61:62]
	v_cmp_lt_i64_e32 vcc, -1, v[39:40]
	v_and_b32_e32 v50, s96, v61
	v_lshlrev_b32_e32 v50, 2, v50
	ds_read_b32 v50, v50
	v_cndmask_b32_e64 v44, v135, -1, vcc
	v_xor_b32_e32 v40, v44, v40
	v_not_b32_e32 v54, v54
	v_xor_b32_e32 v39, v54, v39
	s_waitcnt lgkmcnt(0)
	v_add_u32_e32 v44, v50, v83
	v_lshlrev_b64 v[44:45], 3, v[44:45]
	v_add_co_u32_e32 v44, vcc, s78, v44
	v_addc_co_u32_e32 v45, vcc, v46, v45, vcc
	global_store_dwordx2 v[44:45], v[39:40], off
	s_or_b64 exec, exec, s[50:51]
	v_cmp_lt_u32_e64 s[50:51], v84, v175
	s_and_saveexec_b64 s[52:53], s[50:51]
	s_cbranch_execz .LBB1255_773
.LBB1255_841:                           ;   in Loop: Header=BB1255_687 Depth=2
	ds_read_b64 v[39:40], v106 offset:15360
	v_mov_b32_e32 v45, v3
	v_mov_b32_e32 v46, s79
	s_waitcnt lgkmcnt(0)
	v_cmp_ne_u64_e32 vcc, s[82:83], v[39:40]
	v_ashrrev_i32_e32 v54, 31, v40
	v_cndmask_b32_e32 v62, v135, v40, vcc
	v_cndmask_b32_e32 v61, 0, v39, vcc
	v_lshrrev_b64 v[61:62], s88, v[61:62]
	v_cmp_lt_i64_e32 vcc, -1, v[39:40]
	v_and_b32_e32 v50, s96, v61
	v_lshlrev_b32_e32 v50, 2, v50
	ds_read_b32 v50, v50
	v_cndmask_b32_e64 v44, v135, -1, vcc
	v_xor_b32_e32 v40, v44, v40
	v_not_b32_e32 v54, v54
	v_xor_b32_e32 v39, v54, v39
	s_waitcnt lgkmcnt(0)
	v_add_u32_e32 v44, v50, v84
	v_lshlrev_b64 v[44:45], 3, v[44:45]
	v_add_co_u32_e32 v44, vcc, s78, v44
	v_addc_co_u32_e32 v45, vcc, v46, v45, vcc
	global_store_dwordx2 v[44:45], v[39:40], off
	s_or_b64 exec, exec, s[52:53]
	v_cmp_lt_u32_e64 s[52:53], v85, v175
	s_and_saveexec_b64 s[54:55], s[52:53]
	s_cbranch_execz .LBB1255_774
.LBB1255_842:                           ;   in Loop: Header=BB1255_687 Depth=2
	ds_read_b64 v[39:40], v106 offset:17408
	v_mov_b32_e32 v45, v3
	v_mov_b32_e32 v46, s79
	s_waitcnt lgkmcnt(0)
	v_cmp_ne_u64_e32 vcc, s[82:83], v[39:40]
	v_ashrrev_i32_e32 v54, 31, v40
	v_cndmask_b32_e32 v62, v135, v40, vcc
	v_cndmask_b32_e32 v61, 0, v39, vcc
	v_lshrrev_b64 v[61:62], s88, v[61:62]
	v_cmp_lt_i64_e32 vcc, -1, v[39:40]
	v_and_b32_e32 v50, s96, v61
	v_lshlrev_b32_e32 v50, 2, v50
	ds_read_b32 v50, v50
	v_cndmask_b32_e64 v44, v135, -1, vcc
	v_xor_b32_e32 v40, v44, v40
	v_not_b32_e32 v54, v54
	v_xor_b32_e32 v39, v54, v39
	s_waitcnt lgkmcnt(0)
	v_add_u32_e32 v44, v50, v85
	v_lshlrev_b64 v[44:45], 3, v[44:45]
	v_add_co_u32_e32 v44, vcc, s78, v44
	v_addc_co_u32_e32 v45, vcc, v46, v45, vcc
	global_store_dwordx2 v[44:45], v[39:40], off
	s_or_b64 exec, exec, s[54:55]
	v_cmp_lt_u32_e64 s[54:55], v86, v175
	s_and_saveexec_b64 s[56:57], s[54:55]
	s_cbranch_execz .LBB1255_775
.LBB1255_843:                           ;   in Loop: Header=BB1255_687 Depth=2
	ds_read_b64 v[39:40], v106 offset:19456
	v_mov_b32_e32 v45, v3
	v_mov_b32_e32 v46, s79
	s_waitcnt lgkmcnt(0)
	v_cmp_ne_u64_e32 vcc, s[82:83], v[39:40]
	v_ashrrev_i32_e32 v54, 31, v40
	v_cndmask_b32_e32 v62, v135, v40, vcc
	v_cndmask_b32_e32 v61, 0, v39, vcc
	v_lshrrev_b64 v[61:62], s88, v[61:62]
	v_cmp_lt_i64_e32 vcc, -1, v[39:40]
	v_and_b32_e32 v50, s96, v61
	v_lshlrev_b32_e32 v50, 2, v50
	ds_read_b32 v50, v50
	v_cndmask_b32_e64 v44, v135, -1, vcc
	v_xor_b32_e32 v40, v44, v40
	v_not_b32_e32 v54, v54
	v_xor_b32_e32 v39, v54, v39
	s_waitcnt lgkmcnt(0)
	v_add_u32_e32 v44, v50, v86
	v_lshlrev_b64 v[44:45], 3, v[44:45]
	v_add_co_u32_e32 v44, vcc, s78, v44
	v_addc_co_u32_e32 v45, vcc, v46, v45, vcc
	global_store_dwordx2 v[44:45], v[39:40], off
	s_or_b64 exec, exec, s[56:57]
	v_cmp_lt_u32_e64 s[56:57], v87, v175
	s_and_saveexec_b64 s[58:59], s[56:57]
	s_cbranch_execz .LBB1255_776
.LBB1255_844:                           ;   in Loop: Header=BB1255_687 Depth=2
	ds_read_b64 v[39:40], v106 offset:21504
	v_mov_b32_e32 v45, v3
	v_mov_b32_e32 v46, s79
	s_waitcnt lgkmcnt(0)
	v_cmp_ne_u64_e32 vcc, s[82:83], v[39:40]
	v_ashrrev_i32_e32 v54, 31, v40
	v_cndmask_b32_e32 v62, v135, v40, vcc
	v_cndmask_b32_e32 v61, 0, v39, vcc
	v_lshrrev_b64 v[61:62], s88, v[61:62]
	v_cmp_lt_i64_e32 vcc, -1, v[39:40]
	v_and_b32_e32 v50, s96, v61
	v_lshlrev_b32_e32 v50, 2, v50
	ds_read_b32 v50, v50
	v_cndmask_b32_e64 v44, v135, -1, vcc
	v_xor_b32_e32 v40, v44, v40
	v_not_b32_e32 v54, v54
	v_xor_b32_e32 v39, v54, v39
	s_waitcnt lgkmcnt(0)
	v_add_u32_e32 v44, v50, v87
	v_lshlrev_b64 v[44:45], 3, v[44:45]
	v_add_co_u32_e32 v44, vcc, s78, v44
	v_addc_co_u32_e32 v45, vcc, v46, v45, vcc
	global_store_dwordx2 v[44:45], v[39:40], off
	s_or_b64 exec, exec, s[58:59]
	v_cmp_lt_u32_e64 s[58:59], v88, v175
	s_and_saveexec_b64 s[60:61], s[58:59]
	s_cbranch_execz .LBB1255_777
.LBB1255_845:                           ;   in Loop: Header=BB1255_687 Depth=2
	ds_read_b64 v[39:40], v106 offset:23552
	v_mov_b32_e32 v45, v3
	v_mov_b32_e32 v46, s79
	s_waitcnt lgkmcnt(0)
	v_cmp_ne_u64_e32 vcc, s[82:83], v[39:40]
	v_ashrrev_i32_e32 v54, 31, v40
	v_cndmask_b32_e32 v62, v135, v40, vcc
	v_cndmask_b32_e32 v61, 0, v39, vcc
	v_lshrrev_b64 v[61:62], s88, v[61:62]
	v_cmp_lt_i64_e32 vcc, -1, v[39:40]
	v_and_b32_e32 v50, s96, v61
	v_lshlrev_b32_e32 v50, 2, v50
	ds_read_b32 v50, v50
	v_cndmask_b32_e64 v44, v135, -1, vcc
	v_xor_b32_e32 v40, v44, v40
	v_not_b32_e32 v54, v54
	v_xor_b32_e32 v39, v54, v39
	s_waitcnt lgkmcnt(0)
	v_add_u32_e32 v44, v50, v88
	v_lshlrev_b64 v[44:45], 3, v[44:45]
	v_add_co_u32_e32 v44, vcc, s78, v44
	v_addc_co_u32_e32 v45, vcc, v46, v45, vcc
	global_store_dwordx2 v[44:45], v[39:40], off
	s_or_b64 exec, exec, s[60:61]
	v_cmp_lt_u32_e64 s[60:61], v89, v175
	s_and_saveexec_b64 s[62:63], s[60:61]
	s_cbranch_execz .LBB1255_778
.LBB1255_846:                           ;   in Loop: Header=BB1255_687 Depth=2
	ds_read_b64 v[39:40], v106 offset:25600
	v_mov_b32_e32 v45, v3
	v_mov_b32_e32 v46, s79
	s_waitcnt lgkmcnt(0)
	v_cmp_ne_u64_e32 vcc, s[82:83], v[39:40]
	v_ashrrev_i32_e32 v54, 31, v40
	v_cndmask_b32_e32 v62, v135, v40, vcc
	v_cndmask_b32_e32 v61, 0, v39, vcc
	v_lshrrev_b64 v[61:62], s88, v[61:62]
	v_cmp_lt_i64_e32 vcc, -1, v[39:40]
	v_and_b32_e32 v50, s96, v61
	v_lshlrev_b32_e32 v50, 2, v50
	ds_read_b32 v50, v50
	v_cndmask_b32_e64 v44, v135, -1, vcc
	v_xor_b32_e32 v40, v44, v40
	v_not_b32_e32 v54, v54
	v_xor_b32_e32 v39, v54, v39
	s_waitcnt lgkmcnt(0)
	v_add_u32_e32 v44, v50, v89
	v_lshlrev_b64 v[44:45], 3, v[44:45]
	v_add_co_u32_e32 v44, vcc, s78, v44
	v_addc_co_u32_e32 v45, vcc, v46, v45, vcc
	global_store_dwordx2 v[44:45], v[39:40], off
	s_or_b64 exec, exec, s[62:63]
	v_cmp_lt_u32_e64 s[62:63], v90, v175
	s_and_saveexec_b64 s[64:65], s[62:63]
	s_cbranch_execz .LBB1255_779
.LBB1255_847:                           ;   in Loop: Header=BB1255_687 Depth=2
	ds_read_b64 v[39:40], v106 offset:27648
	v_mov_b32_e32 v45, v3
	v_mov_b32_e32 v46, s79
	s_waitcnt lgkmcnt(0)
	v_cmp_ne_u64_e32 vcc, s[82:83], v[39:40]
	v_ashrrev_i32_e32 v54, 31, v40
	v_cndmask_b32_e32 v62, v135, v40, vcc
	v_cndmask_b32_e32 v61, 0, v39, vcc
	v_lshrrev_b64 v[61:62], s88, v[61:62]
	v_cmp_lt_i64_e32 vcc, -1, v[39:40]
	v_and_b32_e32 v50, s96, v61
	v_lshlrev_b32_e32 v50, 2, v50
	ds_read_b32 v50, v50
	v_cndmask_b32_e64 v44, v135, -1, vcc
	v_xor_b32_e32 v40, v44, v40
	v_not_b32_e32 v54, v54
	v_xor_b32_e32 v39, v54, v39
	s_waitcnt lgkmcnt(0)
	v_add_u32_e32 v44, v50, v90
	v_lshlrev_b64 v[44:45], 3, v[44:45]
	v_add_co_u32_e32 v44, vcc, s78, v44
	v_addc_co_u32_e32 v45, vcc, v46, v45, vcc
	global_store_dwordx2 v[44:45], v[39:40], off
	s_or_b64 exec, exec, s[64:65]
	v_cmp_lt_u32_e64 s[64:65], v91, v175
	s_and_saveexec_b64 s[66:67], s[64:65]
	s_cbranch_execz .LBB1255_780
.LBB1255_848:                           ;   in Loop: Header=BB1255_687 Depth=2
	ds_read_b64 v[39:40], v106 offset:29696
	v_mov_b32_e32 v45, v3
	v_mov_b32_e32 v46, s79
	s_waitcnt lgkmcnt(0)
	v_cmp_ne_u64_e32 vcc, s[82:83], v[39:40]
	v_ashrrev_i32_e32 v54, 31, v40
	v_cndmask_b32_e32 v62, v135, v40, vcc
	v_cndmask_b32_e32 v61, 0, v39, vcc
	v_lshrrev_b64 v[61:62], s88, v[61:62]
	v_cmp_lt_i64_e32 vcc, -1, v[39:40]
	v_and_b32_e32 v50, s96, v61
	v_lshlrev_b32_e32 v50, 2, v50
	ds_read_b32 v50, v50
	v_cndmask_b32_e64 v44, v135, -1, vcc
	v_xor_b32_e32 v40, v44, v40
	v_not_b32_e32 v54, v54
	v_xor_b32_e32 v39, v54, v39
	s_waitcnt lgkmcnt(0)
	v_add_u32_e32 v44, v50, v91
	v_lshlrev_b64 v[44:45], 3, v[44:45]
	v_add_co_u32_e32 v44, vcc, s78, v44
	v_addc_co_u32_e32 v45, vcc, v46, v45, vcc
	global_store_dwordx2 v[44:45], v[39:40], off
	s_or_b64 exec, exec, s[66:67]
	v_cmp_lt_u32_e64 s[66:67], v92, v175
	s_and_saveexec_b64 s[92:93], s[66:67]
	s_cbranch_execnz .LBB1255_781
	s_branch .LBB1255_782
.LBB1255_849:                           ;   in Loop: Header=BB1255_687 Depth=2
	global_load_dwordx2 v[37:38], v[39:40], off
	s_or_b64 exec, exec, s[92:93]
	v_cmp_lt_u32_e32 vcc, v151, v175
	s_and_saveexec_b64 s[92:93], vcc
	s_cbranch_execz .LBB1255_784
.LBB1255_850:                           ;   in Loop: Header=BB1255_687 Depth=2
	global_load_dwordx2 v[35:36], v[39:40], off offset:512
	s_or_b64 exec, exec, s[92:93]
	v_cmp_lt_u32_e32 vcc, v153, v175
	s_and_saveexec_b64 s[92:93], vcc
	s_cbranch_execz .LBB1255_785
.LBB1255_851:                           ;   in Loop: Header=BB1255_687 Depth=2
	global_load_dwordx2 v[33:34], v[39:40], off offset:1024
	s_or_b64 exec, exec, s[92:93]
	v_cmp_lt_u32_e32 vcc, v155, v175
	s_and_saveexec_b64 s[92:93], vcc
	s_cbranch_execz .LBB1255_786
.LBB1255_852:                           ;   in Loop: Header=BB1255_687 Depth=2
	global_load_dwordx2 v[29:30], v[39:40], off offset:1536
	s_or_b64 exec, exec, s[92:93]
	v_cmp_lt_u32_e32 vcc, v157, v175
	s_and_saveexec_b64 s[92:93], vcc
	s_cbranch_execz .LBB1255_787
.LBB1255_853:                           ;   in Loop: Header=BB1255_687 Depth=2
	global_load_dwordx2 v[25:26], v[39:40], off offset:2048
	s_or_b64 exec, exec, s[92:93]
	v_cmp_lt_u32_e32 vcc, v159, v175
	s_and_saveexec_b64 s[92:93], vcc
	s_cbranch_execz .LBB1255_788
.LBB1255_854:                           ;   in Loop: Header=BB1255_687 Depth=2
	global_load_dwordx2 v[21:22], v[39:40], off offset:2560
	s_or_b64 exec, exec, s[92:93]
	v_cmp_lt_u32_e32 vcc, v161, v175
	s_and_saveexec_b64 s[92:93], vcc
	s_cbranch_execz .LBB1255_789
.LBB1255_855:                           ;   in Loop: Header=BB1255_687 Depth=2
	global_load_dwordx2 v[17:18], v[39:40], off offset:3072
	s_or_b64 exec, exec, s[92:93]
	v_cmp_lt_u32_e32 vcc, v163, v175
	s_and_saveexec_b64 s[92:93], vcc
	s_cbranch_execz .LBB1255_790
.LBB1255_856:                           ;   in Loop: Header=BB1255_687 Depth=2
	global_load_dwordx2 v[13:14], v[39:40], off offset:3584
	s_or_b64 exec, exec, s[92:93]
	v_cmp_lt_u32_e32 vcc, v164, v175
	s_and_saveexec_b64 s[92:93], vcc
	s_cbranch_execz .LBB1255_791
.LBB1255_857:                           ;   in Loop: Header=BB1255_687 Depth=2
	v_add_co_u32_e32 v31, vcc, 0x1000, v39
	v_addc_co_u32_e32 v32, vcc, 0, v40, vcc
	global_load_dwordx2 v[31:32], v[31:32], off
	s_or_b64 exec, exec, s[92:93]
	v_cmp_lt_u32_e32 vcc, v165, v175
	s_and_saveexec_b64 s[92:93], vcc
	s_cbranch_execz .LBB1255_792
.LBB1255_858:                           ;   in Loop: Header=BB1255_687 Depth=2
	v_add_co_u32_e32 v27, vcc, 0x1000, v39
	v_addc_co_u32_e32 v28, vcc, 0, v40, vcc
	global_load_dwordx2 v[27:28], v[27:28], off offset:512
	s_or_b64 exec, exec, s[92:93]
	v_cmp_lt_u32_e32 vcc, v166, v175
	s_and_saveexec_b64 s[92:93], vcc
	s_cbranch_execz .LBB1255_793
.LBB1255_859:                           ;   in Loop: Header=BB1255_687 Depth=2
	v_add_co_u32_e32 v23, vcc, 0x1000, v39
	v_addc_co_u32_e32 v24, vcc, 0, v40, vcc
	global_load_dwordx2 v[23:24], v[23:24], off offset:1024
	s_or_b64 exec, exec, s[92:93]
	v_cmp_lt_u32_e32 vcc, v167, v175
	s_and_saveexec_b64 s[92:93], vcc
	s_cbranch_execz .LBB1255_794
.LBB1255_860:                           ;   in Loop: Header=BB1255_687 Depth=2
	v_add_co_u32_e32 v19, vcc, 0x1000, v39
	v_addc_co_u32_e32 v20, vcc, 0, v40, vcc
	global_load_dwordx2 v[19:20], v[19:20], off offset:1536
	s_or_b64 exec, exec, s[92:93]
	v_cmp_lt_u32_e32 vcc, v168, v175
	s_and_saveexec_b64 s[92:93], vcc
	s_cbranch_execz .LBB1255_795
.LBB1255_861:                           ;   in Loop: Header=BB1255_687 Depth=2
	v_add_co_u32_e32 v15, vcc, 0x1000, v39
	v_addc_co_u32_e32 v16, vcc, 0, v40, vcc
	global_load_dwordx2 v[15:16], v[15:16], off offset:2048
	s_or_b64 exec, exec, s[92:93]
	v_cmp_lt_u32_e32 vcc, v169, v175
	s_and_saveexec_b64 s[92:93], vcc
	s_cbranch_execz .LBB1255_796
.LBB1255_862:                           ;   in Loop: Header=BB1255_687 Depth=2
	v_add_co_u32_e32 v11, vcc, 0x1000, v39
	v_addc_co_u32_e32 v12, vcc, 0, v40, vcc
	global_load_dwordx2 v[11:12], v[11:12], off offset:2560
	s_or_b64 exec, exec, s[92:93]
	v_cmp_lt_u32_e32 vcc, v170, v175
	s_and_saveexec_b64 s[92:93], vcc
	s_cbranch_execz .LBB1255_797
.LBB1255_863:                           ;   in Loop: Header=BB1255_687 Depth=2
	v_add_co_u32_e32 v9, vcc, 0x1000, v39
	v_addc_co_u32_e32 v10, vcc, 0, v40, vcc
	global_load_dwordx2 v[9:10], v[9:10], off offset:3072
	s_or_b64 exec, exec, s[92:93]
	v_cmp_lt_u32_e32 vcc, v171, v175
	s_and_saveexec_b64 s[92:93], vcc
	s_cbranch_execz .LBB1255_798
.LBB1255_864:                           ;   in Loop: Header=BB1255_687 Depth=2
	v_add_co_u32_e32 v7, vcc, 0x1000, v39
	v_addc_co_u32_e32 v8, vcc, 0, v40, vcc
	global_load_dwordx2 v[7:8], v[7:8], off offset:3584
	s_or_b64 exec, exec, s[92:93]
	s_and_saveexec_b64 s[92:93], s[36:37]
	s_cbranch_execz .LBB1255_799
.LBB1255_865:                           ;   in Loop: Header=BB1255_687 Depth=2
	ds_read_b64 v[39:40], v106 offset:1024
	s_waitcnt lgkmcnt(0)
	v_cmp_ne_u64_e32 vcc, s[82:83], v[39:40]
	v_cndmask_b32_e32 v40, v135, v40, vcc
	v_cndmask_b32_e32 v39, 0, v39, vcc
	v_lshrrev_b64 v[39:40], s88, v[39:40]
	v_and_b32_e32 v162, s96, v39
	s_or_b64 exec, exec, s[92:93]
	s_and_saveexec_b64 s[92:93], s[38:39]
	s_cbranch_execz .LBB1255_800
.LBB1255_866:                           ;   in Loop: Header=BB1255_687 Depth=2
	ds_read_b64 v[39:40], v106 offset:3072
	s_waitcnt lgkmcnt(0)
	v_cmp_ne_u64_e32 vcc, s[82:83], v[39:40]
	v_cndmask_b32_e32 v40, v135, v40, vcc
	v_cndmask_b32_e32 v39, 0, v39, vcc
	v_lshrrev_b64 v[39:40], s88, v[39:40]
	v_and_b32_e32 v160, s96, v39
	s_or_b64 exec, exec, s[92:93]
	s_and_saveexec_b64 s[92:93], s[40:41]
	s_cbranch_execz .LBB1255_801
.LBB1255_867:                           ;   in Loop: Header=BB1255_687 Depth=2
	ds_read_b64 v[39:40], v106 offset:5120
	s_waitcnt lgkmcnt(0)
	v_cmp_ne_u64_e32 vcc, s[82:83], v[39:40]
	v_cndmask_b32_e32 v40, v135, v40, vcc
	v_cndmask_b32_e32 v39, 0, v39, vcc
	v_lshrrev_b64 v[39:40], s88, v[39:40]
	v_and_b32_e32 v158, s96, v39
	s_or_b64 exec, exec, s[92:93]
	s_and_saveexec_b64 s[92:93], s[42:43]
	s_cbranch_execz .LBB1255_802
.LBB1255_868:                           ;   in Loop: Header=BB1255_687 Depth=2
	ds_read_b64 v[39:40], v106 offset:7168
	s_waitcnt lgkmcnt(0)
	v_cmp_ne_u64_e32 vcc, s[82:83], v[39:40]
	v_cndmask_b32_e32 v40, v135, v40, vcc
	v_cndmask_b32_e32 v39, 0, v39, vcc
	v_lshrrev_b64 v[39:40], s88, v[39:40]
	v_and_b32_e32 v156, s96, v39
	s_or_b64 exec, exec, s[92:93]
	s_and_saveexec_b64 s[92:93], s[44:45]
	s_cbranch_execz .LBB1255_803
.LBB1255_869:                           ;   in Loop: Header=BB1255_687 Depth=2
	ds_read_b64 v[39:40], v106 offset:9216
	s_waitcnt lgkmcnt(0)
	v_cmp_ne_u64_e32 vcc, s[82:83], v[39:40]
	v_cndmask_b32_e32 v40, v135, v40, vcc
	v_cndmask_b32_e32 v39, 0, v39, vcc
	v_lshrrev_b64 v[39:40], s88, v[39:40]
	v_and_b32_e32 v154, s96, v39
	s_or_b64 exec, exec, s[92:93]
	s_and_saveexec_b64 s[92:93], s[46:47]
	s_cbranch_execz .LBB1255_804
.LBB1255_870:                           ;   in Loop: Header=BB1255_687 Depth=2
	ds_read_b64 v[39:40], v106 offset:11264
	s_waitcnt lgkmcnt(0)
	v_cmp_ne_u64_e32 vcc, s[82:83], v[39:40]
	v_cndmask_b32_e32 v40, v135, v40, vcc
	v_cndmask_b32_e32 v39, 0, v39, vcc
	v_lshrrev_b64 v[39:40], s88, v[39:40]
	v_and_b32_e32 v152, s96, v39
	s_or_b64 exec, exec, s[92:93]
	s_and_saveexec_b64 s[92:93], s[48:49]
	s_cbranch_execz .LBB1255_805
.LBB1255_871:                           ;   in Loop: Header=BB1255_687 Depth=2
	ds_read_b64 v[39:40], v106 offset:13312
	s_waitcnt lgkmcnt(0)
	v_cmp_ne_u64_e32 vcc, s[82:83], v[39:40]
	v_cndmask_b32_e32 v40, v135, v40, vcc
	v_cndmask_b32_e32 v39, 0, v39, vcc
	v_lshrrev_b64 v[39:40], s88, v[39:40]
	v_and_b32_e32 v150, s96, v39
	s_or_b64 exec, exec, s[92:93]
	s_and_saveexec_b64 s[92:93], s[50:51]
	s_cbranch_execz .LBB1255_806
.LBB1255_872:                           ;   in Loop: Header=BB1255_687 Depth=2
	ds_read_b64 v[39:40], v106 offset:15360
	s_waitcnt lgkmcnt(0)
	v_cmp_ne_u64_e32 vcc, s[82:83], v[39:40]
	v_cndmask_b32_e32 v40, v135, v40, vcc
	v_cndmask_b32_e32 v39, 0, v39, vcc
	v_lshrrev_b64 v[39:40], s88, v[39:40]
	v_and_b32_e32 v148, s96, v39
	s_or_b64 exec, exec, s[92:93]
	s_and_saveexec_b64 s[92:93], s[52:53]
	s_cbranch_execz .LBB1255_807
.LBB1255_873:                           ;   in Loop: Header=BB1255_687 Depth=2
	ds_read_b64 v[39:40], v106 offset:17408
	s_waitcnt lgkmcnt(0)
	v_cmp_ne_u64_e32 vcc, s[82:83], v[39:40]
	v_cndmask_b32_e32 v40, v135, v40, vcc
	v_cndmask_b32_e32 v39, 0, v39, vcc
	v_lshrrev_b64 v[39:40], s88, v[39:40]
	v_and_b32_e32 v146, s96, v39
	s_or_b64 exec, exec, s[92:93]
	s_and_saveexec_b64 s[92:93], s[54:55]
	s_cbranch_execz .LBB1255_808
.LBB1255_874:                           ;   in Loop: Header=BB1255_687 Depth=2
	ds_read_b64 v[39:40], v106 offset:19456
	s_waitcnt lgkmcnt(0)
	v_cmp_ne_u64_e32 vcc, s[82:83], v[39:40]
	v_cndmask_b32_e32 v40, v135, v40, vcc
	v_cndmask_b32_e32 v39, 0, v39, vcc
	v_lshrrev_b64 v[39:40], s88, v[39:40]
	v_and_b32_e32 v144, s96, v39
	s_or_b64 exec, exec, s[92:93]
	s_and_saveexec_b64 s[92:93], s[56:57]
	s_cbranch_execz .LBB1255_809
.LBB1255_875:                           ;   in Loop: Header=BB1255_687 Depth=2
	ds_read_b64 v[39:40], v106 offset:21504
	s_waitcnt lgkmcnt(0)
	v_cmp_ne_u64_e32 vcc, s[82:83], v[39:40]
	v_cndmask_b32_e32 v40, v135, v40, vcc
	v_cndmask_b32_e32 v39, 0, v39, vcc
	v_lshrrev_b64 v[39:40], s88, v[39:40]
	v_and_b32_e32 v143, s96, v39
	s_or_b64 exec, exec, s[92:93]
	s_and_saveexec_b64 s[92:93], s[58:59]
	s_cbranch_execz .LBB1255_810
.LBB1255_876:                           ;   in Loop: Header=BB1255_687 Depth=2
	ds_read_b64 v[39:40], v106 offset:23552
	s_waitcnt lgkmcnt(0)
	v_cmp_ne_u64_e32 vcc, s[82:83], v[39:40]
	v_cndmask_b32_e32 v40, v135, v40, vcc
	v_cndmask_b32_e32 v39, 0, v39, vcc
	v_lshrrev_b64 v[39:40], s88, v[39:40]
	v_and_b32_e32 v142, s96, v39
	s_or_b64 exec, exec, s[92:93]
	s_and_saveexec_b64 s[92:93], s[60:61]
	s_cbranch_execz .LBB1255_811
.LBB1255_877:                           ;   in Loop: Header=BB1255_687 Depth=2
	ds_read_b64 v[39:40], v106 offset:25600
	s_waitcnt lgkmcnt(0)
	v_cmp_ne_u64_e32 vcc, s[82:83], v[39:40]
	v_cndmask_b32_e32 v40, v135, v40, vcc
	v_cndmask_b32_e32 v39, 0, v39, vcc
	v_lshrrev_b64 v[39:40], s88, v[39:40]
	v_and_b32_e32 v141, s96, v39
	s_or_b64 exec, exec, s[92:93]
	s_and_saveexec_b64 s[92:93], s[62:63]
	s_cbranch_execz .LBB1255_812
.LBB1255_878:                           ;   in Loop: Header=BB1255_687 Depth=2
	ds_read_b64 v[39:40], v106 offset:27648
	s_waitcnt lgkmcnt(0)
	v_cmp_ne_u64_e32 vcc, s[82:83], v[39:40]
	v_cndmask_b32_e32 v40, v135, v40, vcc
	v_cndmask_b32_e32 v39, 0, v39, vcc
	v_lshrrev_b64 v[39:40], s88, v[39:40]
	v_and_b32_e32 v140, s96, v39
	s_or_b64 exec, exec, s[92:93]
	s_and_saveexec_b64 s[92:93], s[64:65]
	s_cbranch_execz .LBB1255_813
.LBB1255_879:                           ;   in Loop: Header=BB1255_687 Depth=2
	ds_read_b64 v[39:40], v106 offset:29696
	s_waitcnt lgkmcnt(0)
	v_cmp_ne_u64_e32 vcc, s[82:83], v[39:40]
	v_cndmask_b32_e32 v40, v135, v40, vcc
	v_cndmask_b32_e32 v39, 0, v39, vcc
	v_lshrrev_b64 v[39:40], s88, v[39:40]
	v_and_b32_e32 v139, s96, v39
	s_or_b64 exec, exec, s[92:93]
	s_and_saveexec_b64 s[92:93], s[66:67]
	s_cbranch_execnz .LBB1255_814
	s_branch .LBB1255_815
.LBB1255_880:                           ;   in Loop: Header=BB1255_687 Depth=2
	v_lshlrev_b32_e32 v39, 2, v162
	ds_read_b32 v41, v39
	ds_read_b64 v[39:40], v106 offset:1024
	v_mov_b32_e32 v42, v3
	v_mov_b32_e32 v43, s85
	s_waitcnt lgkmcnt(1)
	v_add_u32_e32 v41, v41, v0
	v_lshlrev_b64 v[41:42], 3, v[41:42]
	v_add_co_u32_e32 v41, vcc, s84, v41
	v_addc_co_u32_e32 v42, vcc, v43, v42, vcc
	s_waitcnt lgkmcnt(0)
	global_store_dwordx2 v[41:42], v[39:40], off
	s_or_b64 exec, exec, s[92:93]
	s_and_saveexec_b64 s[36:37], s[38:39]
	s_cbranch_execz .LBB1255_817
.LBB1255_881:                           ;   in Loop: Header=BB1255_687 Depth=2
	v_lshlrev_b32_e32 v39, 2, v160
	ds_read_b32 v41, v39
	ds_read_b64 v[39:40], v106 offset:3072
	v_mov_b32_e32 v42, v3
	v_mov_b32_e32 v43, s85
	s_waitcnt lgkmcnt(1)
	v_add_u32_e32 v41, v41, v76
	v_lshlrev_b64 v[41:42], 3, v[41:42]
	v_add_co_u32_e32 v41, vcc, s84, v41
	v_addc_co_u32_e32 v42, vcc, v43, v42, vcc
	s_waitcnt lgkmcnt(0)
	global_store_dwordx2 v[41:42], v[39:40], off
	s_or_b64 exec, exec, s[36:37]
	s_and_saveexec_b64 s[36:37], s[40:41]
	s_cbranch_execz .LBB1255_818
.LBB1255_882:                           ;   in Loop: Header=BB1255_687 Depth=2
	v_lshlrev_b32_e32 v39, 2, v158
	ds_read_b32 v41, v39
	ds_read_b64 v[39:40], v106 offset:5120
	v_mov_b32_e32 v42, v3
	v_mov_b32_e32 v43, s85
	s_waitcnt lgkmcnt(1)
	v_add_u32_e32 v41, v41, v77
	v_lshlrev_b64 v[41:42], 3, v[41:42]
	v_add_co_u32_e32 v41, vcc, s84, v41
	v_addc_co_u32_e32 v42, vcc, v43, v42, vcc
	s_waitcnt lgkmcnt(0)
	global_store_dwordx2 v[41:42], v[39:40], off
	s_or_b64 exec, exec, s[36:37]
	s_and_saveexec_b64 s[36:37], s[42:43]
	s_cbranch_execz .LBB1255_819
.LBB1255_883:                           ;   in Loop: Header=BB1255_687 Depth=2
	v_lshlrev_b32_e32 v39, 2, v156
	ds_read_b32 v41, v39
	ds_read_b64 v[39:40], v106 offset:7168
	v_mov_b32_e32 v42, v3
	v_mov_b32_e32 v43, s85
	s_waitcnt lgkmcnt(1)
	v_add_u32_e32 v41, v41, v78
	v_lshlrev_b64 v[41:42], 3, v[41:42]
	v_add_co_u32_e32 v41, vcc, s84, v41
	v_addc_co_u32_e32 v42, vcc, v43, v42, vcc
	s_waitcnt lgkmcnt(0)
	global_store_dwordx2 v[41:42], v[39:40], off
	s_or_b64 exec, exec, s[36:37]
	s_and_saveexec_b64 s[36:37], s[44:45]
	s_cbranch_execz .LBB1255_820
.LBB1255_884:                           ;   in Loop: Header=BB1255_687 Depth=2
	v_lshlrev_b32_e32 v39, 2, v154
	ds_read_b32 v41, v39
	ds_read_b64 v[39:40], v106 offset:9216
	v_mov_b32_e32 v42, v3
	v_mov_b32_e32 v43, s85
	s_waitcnt lgkmcnt(1)
	v_add_u32_e32 v41, v41, v81
	v_lshlrev_b64 v[41:42], 3, v[41:42]
	v_add_co_u32_e32 v41, vcc, s84, v41
	v_addc_co_u32_e32 v42, vcc, v43, v42, vcc
	s_waitcnt lgkmcnt(0)
	global_store_dwordx2 v[41:42], v[39:40], off
	s_or_b64 exec, exec, s[36:37]
	s_and_saveexec_b64 s[36:37], s[46:47]
	s_cbranch_execz .LBB1255_821
.LBB1255_885:                           ;   in Loop: Header=BB1255_687 Depth=2
	v_lshlrev_b32_e32 v39, 2, v152
	ds_read_b32 v41, v39
	ds_read_b64 v[39:40], v106 offset:11264
	v_mov_b32_e32 v42, v3
	v_mov_b32_e32 v43, s85
	s_waitcnt lgkmcnt(1)
	v_add_u32_e32 v41, v41, v82
	v_lshlrev_b64 v[41:42], 3, v[41:42]
	v_add_co_u32_e32 v41, vcc, s84, v41
	v_addc_co_u32_e32 v42, vcc, v43, v42, vcc
	s_waitcnt lgkmcnt(0)
	global_store_dwordx2 v[41:42], v[39:40], off
	s_or_b64 exec, exec, s[36:37]
	s_and_saveexec_b64 s[36:37], s[48:49]
	s_cbranch_execz .LBB1255_822
.LBB1255_886:                           ;   in Loop: Header=BB1255_687 Depth=2
	v_lshlrev_b32_e32 v39, 2, v150
	ds_read_b32 v41, v39
	ds_read_b64 v[39:40], v106 offset:13312
	v_mov_b32_e32 v42, v3
	v_mov_b32_e32 v43, s85
	s_waitcnt lgkmcnt(1)
	v_add_u32_e32 v41, v41, v83
	v_lshlrev_b64 v[41:42], 3, v[41:42]
	v_add_co_u32_e32 v41, vcc, s84, v41
	v_addc_co_u32_e32 v42, vcc, v43, v42, vcc
	s_waitcnt lgkmcnt(0)
	global_store_dwordx2 v[41:42], v[39:40], off
	s_or_b64 exec, exec, s[36:37]
	s_and_saveexec_b64 s[36:37], s[50:51]
	s_cbranch_execz .LBB1255_823
.LBB1255_887:                           ;   in Loop: Header=BB1255_687 Depth=2
	v_lshlrev_b32_e32 v39, 2, v148
	ds_read_b32 v41, v39
	ds_read_b64 v[39:40], v106 offset:15360
	v_mov_b32_e32 v42, v3
	v_mov_b32_e32 v43, s85
	s_waitcnt lgkmcnt(1)
	v_add_u32_e32 v41, v41, v84
	v_lshlrev_b64 v[41:42], 3, v[41:42]
	v_add_co_u32_e32 v41, vcc, s84, v41
	v_addc_co_u32_e32 v42, vcc, v43, v42, vcc
	s_waitcnt lgkmcnt(0)
	global_store_dwordx2 v[41:42], v[39:40], off
	s_or_b64 exec, exec, s[36:37]
	s_and_saveexec_b64 s[36:37], s[52:53]
	s_cbranch_execz .LBB1255_824
.LBB1255_888:                           ;   in Loop: Header=BB1255_687 Depth=2
	v_lshlrev_b32_e32 v39, 2, v146
	ds_read_b32 v41, v39
	ds_read_b64 v[39:40], v106 offset:17408
	v_mov_b32_e32 v42, v3
	v_mov_b32_e32 v43, s85
	s_waitcnt lgkmcnt(1)
	v_add_u32_e32 v41, v41, v85
	v_lshlrev_b64 v[41:42], 3, v[41:42]
	v_add_co_u32_e32 v41, vcc, s84, v41
	v_addc_co_u32_e32 v42, vcc, v43, v42, vcc
	s_waitcnt lgkmcnt(0)
	global_store_dwordx2 v[41:42], v[39:40], off
	s_or_b64 exec, exec, s[36:37]
	s_and_saveexec_b64 s[36:37], s[54:55]
	s_cbranch_execz .LBB1255_825
.LBB1255_889:                           ;   in Loop: Header=BB1255_687 Depth=2
	v_lshlrev_b32_e32 v39, 2, v144
	ds_read_b32 v41, v39
	ds_read_b64 v[39:40], v106 offset:19456
	v_mov_b32_e32 v42, v3
	v_mov_b32_e32 v43, s85
	s_waitcnt lgkmcnt(1)
	v_add_u32_e32 v41, v41, v86
	v_lshlrev_b64 v[41:42], 3, v[41:42]
	v_add_co_u32_e32 v41, vcc, s84, v41
	v_addc_co_u32_e32 v42, vcc, v43, v42, vcc
	s_waitcnt lgkmcnt(0)
	global_store_dwordx2 v[41:42], v[39:40], off
	s_or_b64 exec, exec, s[36:37]
	s_and_saveexec_b64 s[36:37], s[56:57]
	s_cbranch_execz .LBB1255_826
.LBB1255_890:                           ;   in Loop: Header=BB1255_687 Depth=2
	v_lshlrev_b32_e32 v39, 2, v143
	ds_read_b32 v41, v39
	ds_read_b64 v[39:40], v106 offset:21504
	v_mov_b32_e32 v42, v3
	v_mov_b32_e32 v43, s85
	s_waitcnt lgkmcnt(1)
	v_add_u32_e32 v41, v41, v87
	v_lshlrev_b64 v[41:42], 3, v[41:42]
	v_add_co_u32_e32 v41, vcc, s84, v41
	v_addc_co_u32_e32 v42, vcc, v43, v42, vcc
	s_waitcnt lgkmcnt(0)
	global_store_dwordx2 v[41:42], v[39:40], off
	s_or_b64 exec, exec, s[36:37]
	s_and_saveexec_b64 s[36:37], s[58:59]
	s_cbranch_execz .LBB1255_827
.LBB1255_891:                           ;   in Loop: Header=BB1255_687 Depth=2
	v_lshlrev_b32_e32 v39, 2, v142
	ds_read_b32 v41, v39
	ds_read_b64 v[39:40], v106 offset:23552
	v_mov_b32_e32 v42, v3
	v_mov_b32_e32 v43, s85
	s_waitcnt lgkmcnt(1)
	v_add_u32_e32 v41, v41, v88
	v_lshlrev_b64 v[41:42], 3, v[41:42]
	v_add_co_u32_e32 v41, vcc, s84, v41
	v_addc_co_u32_e32 v42, vcc, v43, v42, vcc
	s_waitcnt lgkmcnt(0)
	global_store_dwordx2 v[41:42], v[39:40], off
	s_or_b64 exec, exec, s[36:37]
	s_and_saveexec_b64 s[36:37], s[60:61]
	s_cbranch_execz .LBB1255_828
.LBB1255_892:                           ;   in Loop: Header=BB1255_687 Depth=2
	v_lshlrev_b32_e32 v39, 2, v141
	ds_read_b32 v41, v39
	ds_read_b64 v[39:40], v106 offset:25600
	v_mov_b32_e32 v42, v3
	v_mov_b32_e32 v43, s85
	s_waitcnt lgkmcnt(1)
	v_add_u32_e32 v41, v41, v89
	v_lshlrev_b64 v[41:42], 3, v[41:42]
	v_add_co_u32_e32 v41, vcc, s84, v41
	v_addc_co_u32_e32 v42, vcc, v43, v42, vcc
	s_waitcnt lgkmcnt(0)
	global_store_dwordx2 v[41:42], v[39:40], off
	s_or_b64 exec, exec, s[36:37]
	s_and_saveexec_b64 s[36:37], s[62:63]
	s_cbranch_execz .LBB1255_829
.LBB1255_893:                           ;   in Loop: Header=BB1255_687 Depth=2
	v_lshlrev_b32_e32 v39, 2, v140
	ds_read_b32 v41, v39
	ds_read_b64 v[39:40], v106 offset:27648
	v_mov_b32_e32 v42, v3
	v_mov_b32_e32 v43, s85
	s_waitcnt lgkmcnt(1)
	v_add_u32_e32 v41, v41, v90
	v_lshlrev_b64 v[41:42], 3, v[41:42]
	v_add_co_u32_e32 v41, vcc, s84, v41
	v_addc_co_u32_e32 v42, vcc, v43, v42, vcc
	s_waitcnt lgkmcnt(0)
	global_store_dwordx2 v[41:42], v[39:40], off
	s_or_b64 exec, exec, s[36:37]
	s_and_saveexec_b64 s[36:37], s[64:65]
	s_cbranch_execz .LBB1255_830
.LBB1255_894:                           ;   in Loop: Header=BB1255_687 Depth=2
	v_lshlrev_b32_e32 v39, 2, v139
	ds_read_b32 v41, v39
	ds_read_b64 v[39:40], v106 offset:29696
	v_mov_b32_e32 v42, v3
	v_mov_b32_e32 v43, s85
	s_waitcnt lgkmcnt(1)
	v_add_u32_e32 v41, v41, v91
	v_lshlrev_b64 v[41:42], 3, v[41:42]
	v_add_co_u32_e32 v41, vcc, s84, v41
	v_addc_co_u32_e32 v42, vcc, v43, v42, vcc
	s_waitcnt lgkmcnt(0)
	global_store_dwordx2 v[41:42], v[39:40], off
	s_or_b64 exec, exec, s[36:37]
	s_and_saveexec_b64 s[36:37], s[66:67]
	s_cbranch_execnz .LBB1255_831
	s_branch .LBB1255_832
.LBB1255_895:                           ;   in Loop: Header=BB1255_17 Depth=1
	s_waitcnt lgkmcnt(0)
	s_barrier
	s_mov_b64 s[16:17], 0
.LBB1255_896:                           ;   in Loop: Header=BB1255_17 Depth=1
	s_and_b64 vcc, exec, s[16:17]
	s_cbranch_vccz .LBB1255_16
; %bb.897:                              ;   in Loop: Header=BB1255_17 Depth=1
	s_mov_b32 s20, s91
	s_mov_b32 s72, s69
	s_barrier
                                        ; implicit-def: $vgpr7_vgpr8
                                        ; implicit-def: $vgpr9_vgpr10
                                        ; implicit-def: $vgpr11_vgpr12
                                        ; implicit-def: $vgpr13_vgpr14
                                        ; implicit-def: $vgpr15_vgpr16
                                        ; implicit-def: $vgpr17_vgpr18
                                        ; implicit-def: $vgpr19_vgpr20
                                        ; implicit-def: $vgpr21_vgpr22
                                        ; implicit-def: $vgpr23_vgpr24
                                        ; implicit-def: $vgpr25_vgpr26
                                        ; implicit-def: $vgpr27_vgpr28
                                        ; implicit-def: $vgpr29_vgpr30
                                        ; implicit-def: $vgpr31_vgpr32
                                        ; implicit-def: $vgpr33_vgpr34
                                        ; implicit-def: $vgpr35_vgpr36
                                        ; implicit-def: $vgpr37_vgpr38
	s_branch .LBB1255_899
.LBB1255_898:                           ;   in Loop: Header=BB1255_899 Depth=2
	s_or_b64 exec, exec, s[16:17]
	s_addk_i32 s20, 0xf000
	s_cmp_ge_u32 s21, s94
	s_mov_b32 s72, s21
	s_cbranch_scc1 .LBB1255_967
.LBB1255_899:                           ;   Parent Loop BB1255_17 Depth=1
                                        ; =>  This Inner Loop Header: Depth=2
	s_add_i32 s21, s72, 0x1000
	s_cmp_gt_u32 s21, s94
	s_mov_b64 s[16:17], -1
                                        ; implicit-def: $vgpr39_vgpr40
                                        ; implicit-def: $vgpr41_vgpr42
                                        ; implicit-def: $vgpr43_vgpr44
                                        ; implicit-def: $vgpr45_vgpr46
                                        ; implicit-def: $vgpr47_vgpr48
                                        ; implicit-def: $vgpr49_vgpr50
                                        ; implicit-def: $vgpr51_vgpr52
                                        ; implicit-def: $vgpr53_vgpr54
                                        ; implicit-def: $vgpr55_vgpr56
                                        ; implicit-def: $vgpr57_vgpr58
                                        ; implicit-def: $vgpr59_vgpr60
                                        ; implicit-def: $vgpr61_vgpr62
                                        ; implicit-def: $vgpr63_vgpr64
                                        ; implicit-def: $vgpr65_vgpr66
                                        ; implicit-def: $vgpr67_vgpr68
                                        ; implicit-def: $vgpr69_vgpr70
	s_cbranch_scc1 .LBB1255_901
; %bb.900:                              ;   in Loop: Header=BB1255_899 Depth=2
	s_lshl_b64 s[16:17], s[72:73], 3
	v_mov_b32_e32 v4, s17
	v_add_co_u32_e32 v63, vcc, s16, v113
	v_addc_co_u32_e32 v64, vcc, v114, v4, vcc
	v_add_co_u32_e32 v47, vcc, 0x1000, v63
	v_addc_co_u32_e32 v48, vcc, 0, v64, vcc
	;; [unrolled: 2-line block ×6, first 2 shown]
	global_load_dwordx2 v[39:40], v[63:64], off
	global_load_dwordx2 v[41:42], v[63:64], off offset:2048
	global_load_dwordx2 v[43:44], v[47:48], off
	global_load_dwordx2 v[45:46], v[47:48], off offset:2048
	s_nop 0
	global_load_dwordx2 v[47:48], v[55:56], off
	global_load_dwordx2 v[49:50], v[55:56], off offset:2048
	global_load_dwordx2 v[51:52], v[57:58], off
	global_load_dwordx2 v[53:54], v[57:58], off offset:2048
	s_nop 0
	global_load_dwordx2 v[55:56], v[61:62], off
	global_load_dwordx2 v[57:58], v[61:62], off offset:2048
	global_load_dwordx2 v[59:60], v[65:66], off
                                        ; kill: killed $vgpr61 killed $vgpr62
	s_nop 0
	global_load_dwordx2 v[61:62], v[65:66], off offset:2048
	v_add_co_u32_e32 v65, vcc, 0x6000, v63
	v_addc_co_u32_e32 v66, vcc, 0, v64, vcc
	v_add_co_u32_e32 v69, vcc, 0x7000, v63
	v_addc_co_u32_e32 v70, vcc, 0, v64, vcc
	global_load_dwordx2 v[63:64], v[65:66], off
	s_nop 0
	global_load_dwordx2 v[65:66], v[65:66], off offset:2048
	s_nop 0
	global_load_dwordx2 v[67:68], v[69:70], off
	s_nop 0
	global_load_dwordx2 v[69:70], v[69:70], off offset:2048
	s_mov_b64 s[16:17], 0
.LBB1255_901:                           ;   in Loop: Header=BB1255_899 Depth=2
	s_andn2_b64 vcc, exec, s[16:17]
	s_movk_i32 s18, 0x1000
	s_cbranch_vccnz .LBB1255_920
; %bb.902:                              ;   in Loop: Header=BB1255_899 Depth=2
	s_lshl_b64 s[16:17], s[72:73], 3
	s_add_u32 s16, s76, s16
	s_addc_u32 s17, s77, s17
	v_cmp_gt_u32_e32 vcc, s20, v0
	s_and_saveexec_b64 s[18:19], vcc
	s_cbranch_execnz .LBB1255_952
; %bb.903:                              ;   in Loop: Header=BB1255_899 Depth=2
	s_or_b64 exec, exec, s[18:19]
	v_cmp_gt_u32_e32 vcc, s20, v76
	s_and_saveexec_b64 s[18:19], vcc
	s_cbranch_execnz .LBB1255_953
.LBB1255_904:                           ;   in Loop: Header=BB1255_899 Depth=2
	s_or_b64 exec, exec, s[18:19]
	v_cmp_gt_u32_e32 vcc, s20, v77
	s_and_saveexec_b64 s[18:19], vcc
	s_cbranch_execnz .LBB1255_954
.LBB1255_905:                           ;   in Loop: Header=BB1255_899 Depth=2
	s_or_b64 exec, exec, s[18:19]
	v_cmp_gt_u32_e32 vcc, s20, v78
	s_and_saveexec_b64 s[18:19], vcc
	s_cbranch_execnz .LBB1255_955
.LBB1255_906:                           ;   in Loop: Header=BB1255_899 Depth=2
	s_or_b64 exec, exec, s[18:19]
	v_cmp_gt_u32_e32 vcc, s20, v81
	s_and_saveexec_b64 s[18:19], vcc
	s_cbranch_execnz .LBB1255_956
.LBB1255_907:                           ;   in Loop: Header=BB1255_899 Depth=2
	s_or_b64 exec, exec, s[18:19]
	v_cmp_gt_u32_e32 vcc, s20, v82
	s_and_saveexec_b64 s[18:19], vcc
	s_cbranch_execnz .LBB1255_957
.LBB1255_908:                           ;   in Loop: Header=BB1255_899 Depth=2
	s_or_b64 exec, exec, s[18:19]
	v_cmp_gt_u32_e32 vcc, s20, v83
	s_and_saveexec_b64 s[18:19], vcc
	s_cbranch_execnz .LBB1255_958
.LBB1255_909:                           ;   in Loop: Header=BB1255_899 Depth=2
	s_or_b64 exec, exec, s[18:19]
	v_cmp_gt_u32_e32 vcc, s20, v84
	s_and_saveexec_b64 s[18:19], vcc
	s_cbranch_execnz .LBB1255_959
.LBB1255_910:                           ;   in Loop: Header=BB1255_899 Depth=2
	s_or_b64 exec, exec, s[18:19]
	v_cmp_gt_u32_e32 vcc, s20, v85
	s_and_saveexec_b64 s[18:19], vcc
	s_cbranch_execnz .LBB1255_960
.LBB1255_911:                           ;   in Loop: Header=BB1255_899 Depth=2
	s_or_b64 exec, exec, s[18:19]
	v_cmp_gt_u32_e32 vcc, s20, v86
	s_and_saveexec_b64 s[18:19], vcc
	s_cbranch_execnz .LBB1255_961
.LBB1255_912:                           ;   in Loop: Header=BB1255_899 Depth=2
	s_or_b64 exec, exec, s[18:19]
	v_cmp_gt_u32_e32 vcc, s20, v87
	s_and_saveexec_b64 s[18:19], vcc
	s_cbranch_execnz .LBB1255_962
.LBB1255_913:                           ;   in Loop: Header=BB1255_899 Depth=2
	s_or_b64 exec, exec, s[18:19]
	v_cmp_gt_u32_e32 vcc, s20, v88
	s_and_saveexec_b64 s[18:19], vcc
	s_cbranch_execnz .LBB1255_963
.LBB1255_914:                           ;   in Loop: Header=BB1255_899 Depth=2
	s_or_b64 exec, exec, s[18:19]
	v_cmp_gt_u32_e32 vcc, s20, v89
	s_and_saveexec_b64 s[18:19], vcc
	s_cbranch_execnz .LBB1255_964
.LBB1255_915:                           ;   in Loop: Header=BB1255_899 Depth=2
	s_or_b64 exec, exec, s[18:19]
	v_cmp_gt_u32_e32 vcc, s20, v90
	s_and_saveexec_b64 s[18:19], vcc
	s_cbranch_execnz .LBB1255_965
.LBB1255_916:                           ;   in Loop: Header=BB1255_899 Depth=2
	s_or_b64 exec, exec, s[18:19]
	v_cmp_gt_u32_e32 vcc, s20, v91
	s_and_saveexec_b64 s[18:19], vcc
	s_cbranch_execnz .LBB1255_966
.LBB1255_917:                           ;   in Loop: Header=BB1255_899 Depth=2
	s_or_b64 exec, exec, s[18:19]
	v_cmp_gt_u32_e32 vcc, s20, v92
	s_and_saveexec_b64 s[18:19], vcc
	s_cbranch_execz .LBB1255_919
.LBB1255_918:                           ;   in Loop: Header=BB1255_899 Depth=2
	global_load_dwordx2 v[7:8], v134, s[16:17]
.LBB1255_919:                           ;   in Loop: Header=BB1255_899 Depth=2
	s_or_b64 exec, exec, s[18:19]
	s_waitcnt vmcnt(0)
	v_mov_b32_e32 v40, v38
	v_mov_b32_e32 v42, v36
	;; [unrolled: 1-line block ×16, first 2 shown]
	s_mov_b32 s18, s20
	v_mov_b32_e32 v39, v37
	v_mov_b32_e32 v41, v35
	;; [unrolled: 1-line block ×16, first 2 shown]
.LBB1255_920:                           ;   in Loop: Header=BB1255_899 Depth=2
	s_waitcnt vmcnt(0)
	v_mov_b32_e32 v7, v69
	v_mov_b32_e32 v9, v67
	;; [unrolled: 1-line block ×32, first 2 shown]
	v_cmp_gt_u32_e32 vcc, s18, v0
	s_and_saveexec_b64 s[16:17], vcc
	s_cbranch_execnz .LBB1255_936
; %bb.921:                              ;   in Loop: Header=BB1255_899 Depth=2
	s_or_b64 exec, exec, s[16:17]
	v_cmp_gt_u32_e32 vcc, s18, v76
	s_and_saveexec_b64 s[16:17], vcc
	s_cbranch_execnz .LBB1255_937
.LBB1255_922:                           ;   in Loop: Header=BB1255_899 Depth=2
	s_or_b64 exec, exec, s[16:17]
	v_cmp_gt_u32_e32 vcc, s18, v77
	s_and_saveexec_b64 s[16:17], vcc
	s_cbranch_execnz .LBB1255_938
.LBB1255_923:                           ;   in Loop: Header=BB1255_899 Depth=2
	s_or_b64 exec, exec, s[16:17]
	v_cmp_gt_u32_e32 vcc, s18, v78
	s_and_saveexec_b64 s[16:17], vcc
	s_cbranch_execnz .LBB1255_939
.LBB1255_924:                           ;   in Loop: Header=BB1255_899 Depth=2
	s_or_b64 exec, exec, s[16:17]
	v_cmp_gt_u32_e32 vcc, s18, v81
	s_and_saveexec_b64 s[16:17], vcc
	s_cbranch_execnz .LBB1255_940
.LBB1255_925:                           ;   in Loop: Header=BB1255_899 Depth=2
	s_or_b64 exec, exec, s[16:17]
	v_cmp_gt_u32_e32 vcc, s18, v82
	s_and_saveexec_b64 s[16:17], vcc
	s_cbranch_execnz .LBB1255_941
.LBB1255_926:                           ;   in Loop: Header=BB1255_899 Depth=2
	s_or_b64 exec, exec, s[16:17]
	v_cmp_gt_u32_e32 vcc, s18, v83
	s_and_saveexec_b64 s[16:17], vcc
	s_cbranch_execnz .LBB1255_942
.LBB1255_927:                           ;   in Loop: Header=BB1255_899 Depth=2
	s_or_b64 exec, exec, s[16:17]
	v_cmp_gt_u32_e32 vcc, s18, v84
	s_and_saveexec_b64 s[16:17], vcc
	s_cbranch_execnz .LBB1255_943
.LBB1255_928:                           ;   in Loop: Header=BB1255_899 Depth=2
	s_or_b64 exec, exec, s[16:17]
	v_cmp_gt_u32_e32 vcc, s18, v85
	s_and_saveexec_b64 s[16:17], vcc
	s_cbranch_execnz .LBB1255_944
.LBB1255_929:                           ;   in Loop: Header=BB1255_899 Depth=2
	s_or_b64 exec, exec, s[16:17]
	v_cmp_gt_u32_e32 vcc, s18, v86
	s_and_saveexec_b64 s[16:17], vcc
	s_cbranch_execnz .LBB1255_945
.LBB1255_930:                           ;   in Loop: Header=BB1255_899 Depth=2
	s_or_b64 exec, exec, s[16:17]
	v_cmp_gt_u32_e32 vcc, s18, v87
	s_and_saveexec_b64 s[16:17], vcc
	s_cbranch_execnz .LBB1255_946
.LBB1255_931:                           ;   in Loop: Header=BB1255_899 Depth=2
	s_or_b64 exec, exec, s[16:17]
	v_cmp_gt_u32_e32 vcc, s18, v88
	s_and_saveexec_b64 s[16:17], vcc
	s_cbranch_execnz .LBB1255_947
.LBB1255_932:                           ;   in Loop: Header=BB1255_899 Depth=2
	s_or_b64 exec, exec, s[16:17]
	v_cmp_gt_u32_e32 vcc, s18, v89
	s_and_saveexec_b64 s[16:17], vcc
	s_cbranch_execnz .LBB1255_948
.LBB1255_933:                           ;   in Loop: Header=BB1255_899 Depth=2
	s_or_b64 exec, exec, s[16:17]
	v_cmp_gt_u32_e32 vcc, s18, v90
	s_and_saveexec_b64 s[16:17], vcc
	s_cbranch_execnz .LBB1255_949
.LBB1255_934:                           ;   in Loop: Header=BB1255_899 Depth=2
	s_or_b64 exec, exec, s[16:17]
	v_cmp_gt_u32_e32 vcc, s18, v91
	s_and_saveexec_b64 s[16:17], vcc
	s_cbranch_execnz .LBB1255_950
.LBB1255_935:                           ;   in Loop: Header=BB1255_899 Depth=2
	s_or_b64 exec, exec, s[16:17]
	v_cmp_gt_u32_e32 vcc, s18, v92
	s_and_saveexec_b64 s[16:17], vcc
	s_cbranch_execz .LBB1255_898
	s_branch .LBB1255_951
.LBB1255_936:                           ;   in Loop: Header=BB1255_899 Depth=2
	v_cmp_lt_i64_e32 vcc, -1, v[37:38]
	v_ashrrev_i32_e32 v39, 31, v38
	v_cndmask_b32_e32 v4, -1, v135, vcc
	v_xor_b32_e32 v40, v4, v38
	v_xor_b32_e32 v39, v39, v37
	v_cmp_ne_u64_e32 vcc, s[82:83], v[39:40]
	v_cndmask_b32_e32 v40, v135, v40, vcc
	v_cndmask_b32_e32 v39, 0, v39, vcc
	v_lshrrev_b64 v[39:40], s88, v[39:40]
	v_and_b32_e32 v4, s96, v39
	v_lshl_or_b32 v4, v4, 4, v93
	ds_add_u32 v4, v119
	s_or_b64 exec, exec, s[16:17]
	v_cmp_gt_u32_e32 vcc, s18, v76
	s_and_saveexec_b64 s[16:17], vcc
	s_cbranch_execz .LBB1255_922
.LBB1255_937:                           ;   in Loop: Header=BB1255_899 Depth=2
	v_cmp_lt_i64_e32 vcc, -1, v[35:36]
	v_ashrrev_i32_e32 v39, 31, v36
	v_cndmask_b32_e32 v4, -1, v135, vcc
	v_xor_b32_e32 v40, v4, v36
	v_xor_b32_e32 v39, v39, v35
	v_cmp_ne_u64_e32 vcc, s[82:83], v[39:40]
	v_cndmask_b32_e32 v40, v135, v40, vcc
	v_cndmask_b32_e32 v39, 0, v39, vcc
	v_lshrrev_b64 v[39:40], s88, v[39:40]
	v_and_b32_e32 v4, s96, v39
	v_lshl_or_b32 v4, v4, 4, v93
	ds_add_u32 v4, v119
	s_or_b64 exec, exec, s[16:17]
	v_cmp_gt_u32_e32 vcc, s18, v77
	s_and_saveexec_b64 s[16:17], vcc
	s_cbranch_execz .LBB1255_923
.LBB1255_938:                           ;   in Loop: Header=BB1255_899 Depth=2
	v_cmp_lt_i64_e32 vcc, -1, v[33:34]
	v_ashrrev_i32_e32 v39, 31, v34
	v_cndmask_b32_e32 v4, -1, v135, vcc
	v_xor_b32_e32 v40, v4, v34
	v_xor_b32_e32 v39, v39, v33
	v_cmp_ne_u64_e32 vcc, s[82:83], v[39:40]
	v_cndmask_b32_e32 v40, v135, v40, vcc
	v_cndmask_b32_e32 v39, 0, v39, vcc
	v_lshrrev_b64 v[39:40], s88, v[39:40]
	v_and_b32_e32 v4, s96, v39
	v_lshl_or_b32 v4, v4, 4, v93
	ds_add_u32 v4, v119
	s_or_b64 exec, exec, s[16:17]
	v_cmp_gt_u32_e32 vcc, s18, v78
	s_and_saveexec_b64 s[16:17], vcc
	s_cbranch_execz .LBB1255_924
.LBB1255_939:                           ;   in Loop: Header=BB1255_899 Depth=2
	v_cmp_lt_i64_e32 vcc, -1, v[31:32]
	v_ashrrev_i32_e32 v39, 31, v32
	v_cndmask_b32_e32 v4, -1, v135, vcc
	v_xor_b32_e32 v40, v4, v32
	v_xor_b32_e32 v39, v39, v31
	v_cmp_ne_u64_e32 vcc, s[82:83], v[39:40]
	v_cndmask_b32_e32 v40, v135, v40, vcc
	v_cndmask_b32_e32 v39, 0, v39, vcc
	v_lshrrev_b64 v[39:40], s88, v[39:40]
	v_and_b32_e32 v4, s96, v39
	v_lshl_or_b32 v4, v4, 4, v93
	ds_add_u32 v4, v119
	s_or_b64 exec, exec, s[16:17]
	v_cmp_gt_u32_e32 vcc, s18, v81
	s_and_saveexec_b64 s[16:17], vcc
	s_cbranch_execz .LBB1255_925
.LBB1255_940:                           ;   in Loop: Header=BB1255_899 Depth=2
	v_cmp_lt_i64_e32 vcc, -1, v[29:30]
	v_ashrrev_i32_e32 v39, 31, v30
	v_cndmask_b32_e32 v4, -1, v135, vcc
	v_xor_b32_e32 v40, v4, v30
	v_xor_b32_e32 v39, v39, v29
	v_cmp_ne_u64_e32 vcc, s[82:83], v[39:40]
	v_cndmask_b32_e32 v40, v135, v40, vcc
	v_cndmask_b32_e32 v39, 0, v39, vcc
	v_lshrrev_b64 v[39:40], s88, v[39:40]
	v_and_b32_e32 v4, s96, v39
	v_lshl_or_b32 v4, v4, 4, v93
	ds_add_u32 v4, v119
	s_or_b64 exec, exec, s[16:17]
	v_cmp_gt_u32_e32 vcc, s18, v82
	s_and_saveexec_b64 s[16:17], vcc
	s_cbranch_execz .LBB1255_926
.LBB1255_941:                           ;   in Loop: Header=BB1255_899 Depth=2
	v_cmp_lt_i64_e32 vcc, -1, v[27:28]
	v_ashrrev_i32_e32 v39, 31, v28
	v_cndmask_b32_e32 v4, -1, v135, vcc
	v_xor_b32_e32 v40, v4, v28
	v_xor_b32_e32 v39, v39, v27
	v_cmp_ne_u64_e32 vcc, s[82:83], v[39:40]
	v_cndmask_b32_e32 v40, v135, v40, vcc
	v_cndmask_b32_e32 v39, 0, v39, vcc
	v_lshrrev_b64 v[39:40], s88, v[39:40]
	v_and_b32_e32 v4, s96, v39
	v_lshl_or_b32 v4, v4, 4, v93
	ds_add_u32 v4, v119
	s_or_b64 exec, exec, s[16:17]
	v_cmp_gt_u32_e32 vcc, s18, v83
	s_and_saveexec_b64 s[16:17], vcc
	s_cbranch_execz .LBB1255_927
.LBB1255_942:                           ;   in Loop: Header=BB1255_899 Depth=2
	v_cmp_lt_i64_e32 vcc, -1, v[25:26]
	v_ashrrev_i32_e32 v39, 31, v26
	v_cndmask_b32_e32 v4, -1, v135, vcc
	v_xor_b32_e32 v40, v4, v26
	v_xor_b32_e32 v39, v39, v25
	v_cmp_ne_u64_e32 vcc, s[82:83], v[39:40]
	v_cndmask_b32_e32 v40, v135, v40, vcc
	v_cndmask_b32_e32 v39, 0, v39, vcc
	v_lshrrev_b64 v[39:40], s88, v[39:40]
	v_and_b32_e32 v4, s96, v39
	v_lshl_or_b32 v4, v4, 4, v93
	ds_add_u32 v4, v119
	s_or_b64 exec, exec, s[16:17]
	v_cmp_gt_u32_e32 vcc, s18, v84
	s_and_saveexec_b64 s[16:17], vcc
	s_cbranch_execz .LBB1255_928
.LBB1255_943:                           ;   in Loop: Header=BB1255_899 Depth=2
	v_cmp_lt_i64_e32 vcc, -1, v[23:24]
	v_ashrrev_i32_e32 v39, 31, v24
	v_cndmask_b32_e32 v4, -1, v135, vcc
	v_xor_b32_e32 v40, v4, v24
	v_xor_b32_e32 v39, v39, v23
	v_cmp_ne_u64_e32 vcc, s[82:83], v[39:40]
	v_cndmask_b32_e32 v40, v135, v40, vcc
	v_cndmask_b32_e32 v39, 0, v39, vcc
	v_lshrrev_b64 v[39:40], s88, v[39:40]
	v_and_b32_e32 v4, s96, v39
	v_lshl_or_b32 v4, v4, 4, v93
	ds_add_u32 v4, v119
	s_or_b64 exec, exec, s[16:17]
	v_cmp_gt_u32_e32 vcc, s18, v85
	s_and_saveexec_b64 s[16:17], vcc
	s_cbranch_execz .LBB1255_929
.LBB1255_944:                           ;   in Loop: Header=BB1255_899 Depth=2
	v_cmp_lt_i64_e32 vcc, -1, v[21:22]
	v_ashrrev_i32_e32 v39, 31, v22
	v_cndmask_b32_e32 v4, -1, v135, vcc
	v_xor_b32_e32 v40, v4, v22
	v_xor_b32_e32 v39, v39, v21
	v_cmp_ne_u64_e32 vcc, s[82:83], v[39:40]
	v_cndmask_b32_e32 v40, v135, v40, vcc
	v_cndmask_b32_e32 v39, 0, v39, vcc
	v_lshrrev_b64 v[39:40], s88, v[39:40]
	v_and_b32_e32 v4, s96, v39
	v_lshl_or_b32 v4, v4, 4, v93
	ds_add_u32 v4, v119
	s_or_b64 exec, exec, s[16:17]
	v_cmp_gt_u32_e32 vcc, s18, v86
	s_and_saveexec_b64 s[16:17], vcc
	s_cbranch_execz .LBB1255_930
.LBB1255_945:                           ;   in Loop: Header=BB1255_899 Depth=2
	v_cmp_lt_i64_e32 vcc, -1, v[19:20]
	v_ashrrev_i32_e32 v39, 31, v20
	v_cndmask_b32_e32 v4, -1, v135, vcc
	v_xor_b32_e32 v40, v4, v20
	v_xor_b32_e32 v39, v39, v19
	v_cmp_ne_u64_e32 vcc, s[82:83], v[39:40]
	v_cndmask_b32_e32 v40, v135, v40, vcc
	v_cndmask_b32_e32 v39, 0, v39, vcc
	v_lshrrev_b64 v[39:40], s88, v[39:40]
	v_and_b32_e32 v4, s96, v39
	v_lshl_or_b32 v4, v4, 4, v93
	ds_add_u32 v4, v119
	s_or_b64 exec, exec, s[16:17]
	v_cmp_gt_u32_e32 vcc, s18, v87
	s_and_saveexec_b64 s[16:17], vcc
	s_cbranch_execz .LBB1255_931
.LBB1255_946:                           ;   in Loop: Header=BB1255_899 Depth=2
	v_cmp_lt_i64_e32 vcc, -1, v[17:18]
	v_ashrrev_i32_e32 v39, 31, v18
	v_cndmask_b32_e32 v4, -1, v135, vcc
	v_xor_b32_e32 v40, v4, v18
	v_xor_b32_e32 v39, v39, v17
	v_cmp_ne_u64_e32 vcc, s[82:83], v[39:40]
	v_cndmask_b32_e32 v40, v135, v40, vcc
	v_cndmask_b32_e32 v39, 0, v39, vcc
	v_lshrrev_b64 v[39:40], s88, v[39:40]
	v_and_b32_e32 v4, s96, v39
	v_lshl_or_b32 v4, v4, 4, v93
	ds_add_u32 v4, v119
	s_or_b64 exec, exec, s[16:17]
	v_cmp_gt_u32_e32 vcc, s18, v88
	s_and_saveexec_b64 s[16:17], vcc
	s_cbranch_execz .LBB1255_932
.LBB1255_947:                           ;   in Loop: Header=BB1255_899 Depth=2
	v_cmp_lt_i64_e32 vcc, -1, v[15:16]
	v_ashrrev_i32_e32 v39, 31, v16
	v_cndmask_b32_e32 v4, -1, v135, vcc
	v_xor_b32_e32 v40, v4, v16
	v_xor_b32_e32 v39, v39, v15
	v_cmp_ne_u64_e32 vcc, s[82:83], v[39:40]
	v_cndmask_b32_e32 v40, v135, v40, vcc
	v_cndmask_b32_e32 v39, 0, v39, vcc
	v_lshrrev_b64 v[39:40], s88, v[39:40]
	v_and_b32_e32 v4, s96, v39
	v_lshl_or_b32 v4, v4, 4, v93
	ds_add_u32 v4, v119
	s_or_b64 exec, exec, s[16:17]
	v_cmp_gt_u32_e32 vcc, s18, v89
	s_and_saveexec_b64 s[16:17], vcc
	s_cbranch_execz .LBB1255_933
.LBB1255_948:                           ;   in Loop: Header=BB1255_899 Depth=2
	v_cmp_lt_i64_e32 vcc, -1, v[13:14]
	v_ashrrev_i32_e32 v39, 31, v14
	v_cndmask_b32_e32 v4, -1, v135, vcc
	v_xor_b32_e32 v40, v4, v14
	v_xor_b32_e32 v39, v39, v13
	v_cmp_ne_u64_e32 vcc, s[82:83], v[39:40]
	v_cndmask_b32_e32 v40, v135, v40, vcc
	v_cndmask_b32_e32 v39, 0, v39, vcc
	v_lshrrev_b64 v[39:40], s88, v[39:40]
	v_and_b32_e32 v4, s96, v39
	v_lshl_or_b32 v4, v4, 4, v93
	ds_add_u32 v4, v119
	s_or_b64 exec, exec, s[16:17]
	v_cmp_gt_u32_e32 vcc, s18, v90
	s_and_saveexec_b64 s[16:17], vcc
	s_cbranch_execz .LBB1255_934
.LBB1255_949:                           ;   in Loop: Header=BB1255_899 Depth=2
	v_cmp_lt_i64_e32 vcc, -1, v[11:12]
	v_ashrrev_i32_e32 v39, 31, v12
	v_cndmask_b32_e32 v4, -1, v135, vcc
	v_xor_b32_e32 v40, v4, v12
	v_xor_b32_e32 v39, v39, v11
	v_cmp_ne_u64_e32 vcc, s[82:83], v[39:40]
	v_cndmask_b32_e32 v40, v135, v40, vcc
	v_cndmask_b32_e32 v39, 0, v39, vcc
	v_lshrrev_b64 v[39:40], s88, v[39:40]
	v_and_b32_e32 v4, s96, v39
	v_lshl_or_b32 v4, v4, 4, v93
	ds_add_u32 v4, v119
	s_or_b64 exec, exec, s[16:17]
	v_cmp_gt_u32_e32 vcc, s18, v91
	s_and_saveexec_b64 s[16:17], vcc
	s_cbranch_execz .LBB1255_935
.LBB1255_950:                           ;   in Loop: Header=BB1255_899 Depth=2
	v_cmp_lt_i64_e32 vcc, -1, v[9:10]
	v_ashrrev_i32_e32 v39, 31, v10
	v_cndmask_b32_e32 v4, -1, v135, vcc
	v_xor_b32_e32 v40, v4, v10
	v_xor_b32_e32 v39, v39, v9
	v_cmp_ne_u64_e32 vcc, s[82:83], v[39:40]
	v_cndmask_b32_e32 v40, v135, v40, vcc
	v_cndmask_b32_e32 v39, 0, v39, vcc
	v_lshrrev_b64 v[39:40], s88, v[39:40]
	v_and_b32_e32 v4, s96, v39
	v_lshl_or_b32 v4, v4, 4, v93
	ds_add_u32 v4, v119
	s_or_b64 exec, exec, s[16:17]
	v_cmp_gt_u32_e32 vcc, s18, v92
	s_and_saveexec_b64 s[16:17], vcc
	s_cbranch_execz .LBB1255_898
.LBB1255_951:                           ;   in Loop: Header=BB1255_899 Depth=2
	v_cmp_lt_i64_e32 vcc, -1, v[7:8]
	v_ashrrev_i32_e32 v39, 31, v8
	v_cndmask_b32_e32 v4, -1, v135, vcc
	v_xor_b32_e32 v40, v4, v8
	v_xor_b32_e32 v39, v39, v7
	v_cmp_ne_u64_e32 vcc, s[82:83], v[39:40]
	v_cndmask_b32_e32 v40, v135, v40, vcc
	v_cndmask_b32_e32 v39, 0, v39, vcc
	v_lshrrev_b64 v[39:40], s88, v[39:40]
	v_and_b32_e32 v4, s96, v39
	v_lshl_or_b32 v4, v4, 4, v93
	ds_add_u32 v4, v119
	s_branch .LBB1255_898
.LBB1255_952:                           ;   in Loop: Header=BB1255_899 Depth=2
	global_load_dwordx2 v[37:38], v120, s[16:17]
	s_or_b64 exec, exec, s[18:19]
	v_cmp_gt_u32_e32 vcc, s20, v76
	s_and_saveexec_b64 s[18:19], vcc
	s_cbranch_execz .LBB1255_904
.LBB1255_953:                           ;   in Loop: Header=BB1255_899 Depth=2
	global_load_dwordx2 v[35:36], v120, s[16:17] offset:2048
	s_or_b64 exec, exec, s[18:19]
	v_cmp_gt_u32_e32 vcc, s20, v77
	s_and_saveexec_b64 s[18:19], vcc
	s_cbranch_execz .LBB1255_905
.LBB1255_954:                           ;   in Loop: Header=BB1255_899 Depth=2
	global_load_dwordx2 v[33:34], v121, s[16:17]
	s_or_b64 exec, exec, s[18:19]
	v_cmp_gt_u32_e32 vcc, s20, v78
	s_and_saveexec_b64 s[18:19], vcc
	s_cbranch_execz .LBB1255_906
.LBB1255_955:                           ;   in Loop: Header=BB1255_899 Depth=2
	global_load_dwordx2 v[31:32], v122, s[16:17]
	s_or_b64 exec, exec, s[18:19]
	v_cmp_gt_u32_e32 vcc, s20, v81
	s_and_saveexec_b64 s[18:19], vcc
	s_cbranch_execz .LBB1255_907
.LBB1255_956:                           ;   in Loop: Header=BB1255_899 Depth=2
	global_load_dwordx2 v[29:30], v123, s[16:17]
	s_or_b64 exec, exec, s[18:19]
	v_cmp_gt_u32_e32 vcc, s20, v82
	s_and_saveexec_b64 s[18:19], vcc
	s_cbranch_execz .LBB1255_908
.LBB1255_957:                           ;   in Loop: Header=BB1255_899 Depth=2
	global_load_dwordx2 v[27:28], v124, s[16:17]
	s_or_b64 exec, exec, s[18:19]
	v_cmp_gt_u32_e32 vcc, s20, v83
	s_and_saveexec_b64 s[18:19], vcc
	s_cbranch_execz .LBB1255_909
.LBB1255_958:                           ;   in Loop: Header=BB1255_899 Depth=2
	global_load_dwordx2 v[25:26], v125, s[16:17]
	s_or_b64 exec, exec, s[18:19]
	v_cmp_gt_u32_e32 vcc, s20, v84
	s_and_saveexec_b64 s[18:19], vcc
	s_cbranch_execz .LBB1255_910
.LBB1255_959:                           ;   in Loop: Header=BB1255_899 Depth=2
	global_load_dwordx2 v[23:24], v126, s[16:17]
	s_or_b64 exec, exec, s[18:19]
	v_cmp_gt_u32_e32 vcc, s20, v85
	s_and_saveexec_b64 s[18:19], vcc
	s_cbranch_execz .LBB1255_911
.LBB1255_960:                           ;   in Loop: Header=BB1255_899 Depth=2
	global_load_dwordx2 v[21:22], v127, s[16:17]
	s_or_b64 exec, exec, s[18:19]
	v_cmp_gt_u32_e32 vcc, s20, v86
	s_and_saveexec_b64 s[18:19], vcc
	s_cbranch_execz .LBB1255_912
.LBB1255_961:                           ;   in Loop: Header=BB1255_899 Depth=2
	global_load_dwordx2 v[19:20], v128, s[16:17]
	s_or_b64 exec, exec, s[18:19]
	v_cmp_gt_u32_e32 vcc, s20, v87
	s_and_saveexec_b64 s[18:19], vcc
	s_cbranch_execz .LBB1255_913
.LBB1255_962:                           ;   in Loop: Header=BB1255_899 Depth=2
	global_load_dwordx2 v[17:18], v129, s[16:17]
	s_or_b64 exec, exec, s[18:19]
	v_cmp_gt_u32_e32 vcc, s20, v88
	s_and_saveexec_b64 s[18:19], vcc
	s_cbranch_execz .LBB1255_914
.LBB1255_963:                           ;   in Loop: Header=BB1255_899 Depth=2
	global_load_dwordx2 v[15:16], v130, s[16:17]
	s_or_b64 exec, exec, s[18:19]
	v_cmp_gt_u32_e32 vcc, s20, v89
	s_and_saveexec_b64 s[18:19], vcc
	s_cbranch_execz .LBB1255_915
.LBB1255_964:                           ;   in Loop: Header=BB1255_899 Depth=2
	global_load_dwordx2 v[13:14], v131, s[16:17]
	s_or_b64 exec, exec, s[18:19]
	v_cmp_gt_u32_e32 vcc, s20, v90
	s_and_saveexec_b64 s[18:19], vcc
	s_cbranch_execz .LBB1255_916
.LBB1255_965:                           ;   in Loop: Header=BB1255_899 Depth=2
	global_load_dwordx2 v[11:12], v132, s[16:17]
	s_or_b64 exec, exec, s[18:19]
	v_cmp_gt_u32_e32 vcc, s20, v91
	s_and_saveexec_b64 s[18:19], vcc
	s_cbranch_execz .LBB1255_917
.LBB1255_966:                           ;   in Loop: Header=BB1255_899 Depth=2
	global_load_dwordx2 v[9:10], v133, s[16:17]
	s_or_b64 exec, exec, s[18:19]
	v_cmp_gt_u32_e32 vcc, s20, v92
	s_and_saveexec_b64 s[18:19], vcc
	s_cbranch_execnz .LBB1255_918
	s_branch .LBB1255_919
.LBB1255_967:                           ;   in Loop: Header=BB1255_17 Depth=1
	v_mov_b32_e32 v4, 0
	s_waitcnt lgkmcnt(0)
	s_barrier
	s_and_saveexec_b64 s[16:17], s[4:5]
	s_cbranch_execz .LBB1255_969
; %bb.968:                              ;   in Loop: Header=BB1255_17 Depth=1
	ds_read2_b64 v[7:10], v94 offset1:1
	s_waitcnt lgkmcnt(0)
	v_add_u32_e32 v4, v8, v7
	v_add3_u32 v4, v4, v9, v10
.LBB1255_969:                           ;   in Loop: Header=BB1255_17 Depth=1
	s_or_b64 exec, exec, s[16:17]
	v_and_b32_e32 v7, 15, v136
	v_mov_b32_dpp v8, v4 row_shr:1 row_mask:0xf bank_mask:0xf
	v_cmp_eq_u32_e64 s[16:17], 0, v7
	v_cndmask_b32_e64 v8, v8, 0, s[16:17]
	v_add_u32_e32 v4, v8, v4
	v_cmp_lt_u32_e64 s[18:19], 1, v7
	v_cmp_lt_u32_e64 s[20:21], 3, v7
	v_mov_b32_dpp v8, v4 row_shr:2 row_mask:0xf bank_mask:0xf
	v_cndmask_b32_e64 v8, 0, v8, s[18:19]
	v_add_u32_e32 v4, v4, v8
	v_cmp_lt_u32_e64 s[22:23], 7, v7
	v_cmp_lt_u32_e64 s[26:27], 31, v136
	v_mov_b32_dpp v8, v4 row_shr:4 row_mask:0xf bank_mask:0xf
	v_cndmask_b32_e64 v8, 0, v8, s[20:21]
	v_add_u32_e32 v4, v4, v8
	v_and_b32_e32 v9, 16, v136
	v_cmp_eq_u32_e64 s[24:25], 0, v9
	v_mov_b32_dpp v8, v4 row_shr:8 row_mask:0xf bank_mask:0xf
	v_cndmask_b32_e64 v7, 0, v8, s[22:23]
	v_add_u32_e32 v4, v4, v7
	v_bfe_i32 v8, v136, 4, 1
	s_nop 0
	v_mov_b32_dpp v7, v4 row_bcast:15 row_mask:0xf bank_mask:0xf
	v_and_b32_e32 v7, v8, v7
	v_add_u32_e32 v4, v4, v7
	s_nop 1
	v_mov_b32_dpp v7, v4 row_bcast:31 row_mask:0xf bank_mask:0xf
	v_cndmask_b32_e64 v7, 0, v7, s[26:27]
	v_add_u32_e32 v7, v4, v7
	s_and_saveexec_b64 s[28:29], s[6:7]
; %bb.970:                              ;   in Loop: Header=BB1255_17 Depth=1
	ds_write_b32 v96, v7
; %bb.971:                              ;   in Loop: Header=BB1255_17 Depth=1
	s_or_b64 exec, exec, s[28:29]
	v_and_b32_e32 v4, 3, v136
	s_waitcnt lgkmcnt(0)
	s_barrier
	s_and_saveexec_b64 s[28:29], s[8:9]
	s_cbranch_execz .LBB1255_973
; %bb.972:                              ;   in Loop: Header=BB1255_17 Depth=1
	ds_read_b32 v8, v97
	v_cmp_ne_u32_e32 vcc, 0, v4
	s_waitcnt lgkmcnt(0)
	v_mov_b32_dpp v9, v8 row_shr:1 row_mask:0xf bank_mask:0xf
	v_cndmask_b32_e32 v9, 0, v9, vcc
	v_add_u32_e32 v8, v9, v8
	v_cmp_lt_u32_e32 vcc, 1, v4
	s_nop 0
	v_mov_b32_dpp v9, v8 row_shr:2 row_mask:0xf bank_mask:0xf
	v_cndmask_b32_e32 v9, 0, v9, vcc
	v_add_u32_e32 v8, v8, v9
	ds_write_b32 v97, v8
.LBB1255_973:                           ;   in Loop: Header=BB1255_17 Depth=1
	s_or_b64 exec, exec, s[28:29]
	v_mov_b32_e32 v8, 0
	s_waitcnt lgkmcnt(0)
	s_barrier
	s_and_saveexec_b64 s[28:29], s[10:11]
; %bb.974:                              ;   in Loop: Header=BB1255_17 Depth=1
	ds_read_b32 v8, v98
; %bb.975:                              ;   in Loop: Header=BB1255_17 Depth=1
	s_or_b64 exec, exec, s[28:29]
	v_subrev_co_u32_e64 v9, s[28:29], 1, v136
	v_and_b32_e32 v10, 64, v136
	v_cmp_lt_i32_e32 vcc, v9, v10
	v_cndmask_b32_e32 v9, v9, v136, vcc
	s_waitcnt lgkmcnt(0)
	v_add_u32_e32 v7, v8, v7
	v_lshlrev_b32_e32 v137, 2, v9
	ds_bpermute_b32 v7, v137, v7
	s_waitcnt lgkmcnt(0)
	s_barrier
	s_and_saveexec_b64 s[30:31], s[4:5]
; %bb.976:                              ;   in Loop: Header=BB1255_17 Depth=1
	v_cndmask_b32_e64 v7, v7, v8, s[28:29]
	v_add_u32_e32 v7, s69, v7
	ds_write_b32 v75, v7
; %bb.977:                              ;   in Loop: Header=BB1255_17 Depth=1
	s_or_b64 exec, exec, s[30:31]
	s_load_dwordx2 s[30:31], s[74:75], 0x0
	s_mov_b32 s97, s91
	s_mov_b32 s72, s69
                                        ; implicit-def: $vgpr7_vgpr8
                                        ; implicit-def: $vgpr9_vgpr10
                                        ; implicit-def: $vgpr11_vgpr12
                                        ; implicit-def: $vgpr15_vgpr16
                                        ; implicit-def: $vgpr19_vgpr20
                                        ; implicit-def: $vgpr23_vgpr24
                                        ; implicit-def: $vgpr27_vgpr28
                                        ; implicit-def: $vgpr31_vgpr32
                                        ; implicit-def: $vgpr13_vgpr14
                                        ; implicit-def: $vgpr17_vgpr18
                                        ; implicit-def: $vgpr21_vgpr22
                                        ; implicit-def: $vgpr25_vgpr26
                                        ; implicit-def: $vgpr29_vgpr30
                                        ; implicit-def: $vgpr33_vgpr34
                                        ; implicit-def: $vgpr35_vgpr36
                                        ; implicit-def: $vgpr37_vgpr38
                                        ; implicit-def: $vgpr138
                                        ; implicit-def: $vgpr139
                                        ; implicit-def: $vgpr140
                                        ; implicit-def: $vgpr141
                                        ; implicit-def: $vgpr142
                                        ; implicit-def: $vgpr143
                                        ; implicit-def: $vgpr144
                                        ; implicit-def: $vgpr146
                                        ; implicit-def: $vgpr148
                                        ; implicit-def: $vgpr150
                                        ; implicit-def: $vgpr152
                                        ; implicit-def: $vgpr154
                                        ; implicit-def: $vgpr156
                                        ; implicit-def: $vgpr158
                                        ; implicit-def: $vgpr160
                                        ; implicit-def: $vgpr162
	s_waitcnt lgkmcnt(0)
	s_cmp_lt_u32 s33, s31
	s_cselect_b32 s31, 14, 20
	s_add_u32 s34, s74, s31
	s_addc_u32 s35, s75, 0
	s_cmp_lt_u32 s68, s30
	s_cselect_b32 s30, 12, 18
	s_add_u32 s30, s74, s30
	global_load_ushort v39, v3, s[34:35]
	s_addc_u32 s31, s75, 0
	global_load_ushort v40, v3, s[30:31]
	v_cmp_eq_u32_e64 s[30:31], 0, v4
	v_cmp_lt_u32_e64 s[34:35], 1, v4
	v_and_b32_e32 v4, 63, v136
	v_lshlrev_b32_e32 v41, 3, v4
	v_or_b32_e32 v145, v4, v99
	v_add_co_u32_e32 v147, vcc, v115, v41
	v_addc_co_u32_e32 v149, vcc, 0, v116, vcc
	v_add_co_u32_e32 v172, vcc, v117, v41
	v_or_b32_e32 v151, 64, v145
	v_or_b32_e32 v153, 0x80, v145
	;; [unrolled: 1-line block ×15, first 2 shown]
	v_addc_co_u32_e32 v173, vcc, 0, v118, vcc
	s_waitcnt vmcnt(1)
	v_mad_u32_u24 v4, v2, v39, v1
	s_waitcnt vmcnt(0)
	v_mad_u64_u32 v[39:40], s[36:37], v4, v40, v[0:1]
	v_lshrrev_b32_e32 v4, 4, v39
	v_and_b32_e32 v174, 0xffffffc, v4
	s_branch .LBB1255_979
.LBB1255_978:                           ;   in Loop: Header=BB1255_979 Depth=2
	s_or_b64 exec, exec, s[36:37]
	s_addk_i32 s97, 0xf000
	s_cmp_lt_u32 s98, s94
	s_mov_b32 s72, s98
	s_cbranch_scc0 .LBB1255_15
.LBB1255_979:                           ;   Parent Loop BB1255_17 Depth=1
                                        ; =>  This Inner Loop Header: Depth=2
	s_add_i32 s98, s72, 0x1000
	s_cmp_gt_u32 s98, s94
	s_cbranch_scc1 .LBB1255_981
; %bb.980:                              ;   in Loop: Header=BB1255_979 Depth=2
	s_lshl_b64 s[36:37], s[72:73], 3
	v_mov_b32_e32 v4, s37
	v_add_co_u32_e32 v43, vcc, s36, v172
	v_addc_co_u32_e32 v44, vcc, v173, v4, vcc
	global_load_dwordx2 v[39:40], v[43:44], off
	global_load_dwordx2 v[41:42], v[43:44], off offset:512
	global_load_dwordx2 v[47:48], v[43:44], off offset:1024
	;; [unrolled: 1-line block ×7, first 2 shown]
	v_add_co_u32_e32 v43, vcc, 0x1000, v43
	v_addc_co_u32_e32 v44, vcc, 0, v44, vcc
	global_load_dwordx2 v[69:70], v[43:44], off
	global_load_dwordx2 v[65:66], v[43:44], off offset:512
	global_load_dwordx2 v[61:62], v[43:44], off offset:1024
	;; [unrolled: 1-line block ×5, first 2 shown]
	s_nop 0
	global_load_dwordx2 v[43:44], v[43:44], off offset:3072
	s_mov_b64 s[36:37], -1
	s_movk_i32 s40, 0x1000
	s_cbranch_execz .LBB1255_982
	s_branch .LBB1255_1013
.LBB1255_981:                           ;   in Loop: Header=BB1255_979 Depth=2
	s_mov_b64 s[36:37], 0
                                        ; implicit-def: $vgpr39_vgpr40
                                        ; implicit-def: $vgpr41_vgpr42
                                        ; implicit-def: $vgpr47_vgpr48
                                        ; implicit-def: $vgpr51_vgpr52
                                        ; implicit-def: $vgpr55_vgpr56
                                        ; implicit-def: $vgpr59_vgpr60
                                        ; implicit-def: $vgpr63_vgpr64
                                        ; implicit-def: $vgpr67_vgpr68
                                        ; implicit-def: $vgpr69_vgpr70
                                        ; implicit-def: $vgpr65_vgpr66
                                        ; implicit-def: $vgpr61_vgpr62
                                        ; implicit-def: $vgpr57_vgpr58
                                        ; implicit-def: $vgpr53_vgpr54
                                        ; implicit-def: $vgpr49_vgpr50
                                        ; implicit-def: $vgpr43_vgpr44
	s_movk_i32 s40, 0x1000
.LBB1255_982:                           ;   in Loop: Header=BB1255_979 Depth=2
	s_lshl_b64 s[36:37], s[72:73], 3
	v_mov_b32_e32 v4, s37
	v_add_co_u32_e32 v45, vcc, s36, v172
	s_waitcnt vmcnt(13)
	v_mov_b32_e32 v41, v5
	v_addc_co_u32_e32 v46, vcc, v173, v4, vcc
	v_mov_b32_e32 v42, v6
	v_mov_b32_e32 v39, v41
	v_cmp_gt_u32_e32 vcc, s97, v145
	v_mov_b32_e32 v40, v42
	s_and_saveexec_b64 s[36:37], vcc
	s_cbranch_execz .LBB1255_984
; %bb.983:                              ;   in Loop: Header=BB1255_979 Depth=2
	global_load_dwordx2 v[39:40], v[45:46], off
.LBB1255_984:                           ;   in Loop: Header=BB1255_979 Depth=2
	s_or_b64 exec, exec, s[36:37]
	v_cmp_gt_u32_e32 vcc, s97, v151
	s_and_saveexec_b64 s[36:37], vcc
	s_cbranch_execz .LBB1255_986
; %bb.985:                              ;   in Loop: Header=BB1255_979 Depth=2
	global_load_dwordx2 v[41:42], v[45:46], off offset:512
.LBB1255_986:                           ;   in Loop: Header=BB1255_979 Depth=2
	s_or_b64 exec, exec, s[36:37]
	s_waitcnt vmcnt(12)
	v_mov_b32_e32 v48, v6
	v_cmp_gt_u32_e32 vcc, s97, v153
	v_mov_b32_e32 v47, v5
	s_and_saveexec_b64 s[36:37], vcc
	s_cbranch_execz .LBB1255_988
; %bb.987:                              ;   in Loop: Header=BB1255_979 Depth=2
	global_load_dwordx2 v[47:48], v[45:46], off offset:1024
.LBB1255_988:                           ;   in Loop: Header=BB1255_979 Depth=2
	s_or_b64 exec, exec, s[36:37]
	s_waitcnt vmcnt(11)
	v_mov_b32_e32 v52, v6
	v_cmp_gt_u32_e32 vcc, s97, v155
	v_mov_b32_e32 v51, v5
	;; [unrolled: 10-line block ×7, first 2 shown]
	s_and_saveexec_b64 s[36:37], vcc
	s_cbranch_execz .LBB1255_1000
; %bb.999:                              ;   in Loop: Header=BB1255_979 Depth=2
	s_waitcnt vmcnt(0)
	v_add_co_u32_e32 v43, vcc, 0x1000, v45
	v_addc_co_u32_e32 v44, vcc, 0, v46, vcc
	global_load_dwordx2 v[69:70], v[43:44], off
.LBB1255_1000:                          ;   in Loop: Header=BB1255_979 Depth=2
	s_or_b64 exec, exec, s[36:37]
	s_waitcnt vmcnt(5)
	v_mov_b32_e32 v66, v6
	v_cmp_gt_u32_e32 vcc, s97, v165
	v_mov_b32_e32 v65, v5
	s_and_saveexec_b64 s[36:37], vcc
	s_cbranch_execz .LBB1255_1002
; %bb.1001:                             ;   in Loop: Header=BB1255_979 Depth=2
	s_waitcnt vmcnt(0)
	v_add_co_u32_e32 v43, vcc, 0x1000, v45
	v_addc_co_u32_e32 v44, vcc, 0, v46, vcc
	global_load_dwordx2 v[65:66], v[43:44], off offset:512
.LBB1255_1002:                          ;   in Loop: Header=BB1255_979 Depth=2
	s_or_b64 exec, exec, s[36:37]
	s_waitcnt vmcnt(4)
	v_mov_b32_e32 v62, v6
	v_cmp_gt_u32_e32 vcc, s97, v166
	v_mov_b32_e32 v61, v5
	s_and_saveexec_b64 s[36:37], vcc
	s_cbranch_execz .LBB1255_1004
; %bb.1003:                             ;   in Loop: Header=BB1255_979 Depth=2
	s_waitcnt vmcnt(0)
	v_add_co_u32_e32 v43, vcc, 0x1000, v45
	v_addc_co_u32_e32 v44, vcc, 0, v46, vcc
	global_load_dwordx2 v[61:62], v[43:44], off offset:1024
.LBB1255_1004:                          ;   in Loop: Header=BB1255_979 Depth=2
	;; [unrolled: 13-line block ×5, first 2 shown]
	s_or_b64 exec, exec, s[36:37]
	s_waitcnt vmcnt(0)
	v_mov_b32_e32 v44, v6
	v_cmp_gt_u32_e32 vcc, s97, v170
	v_mov_b32_e32 v43, v5
	s_and_saveexec_b64 s[36:37], vcc
	s_cbranch_execz .LBB1255_1012
; %bb.1011:                             ;   in Loop: Header=BB1255_979 Depth=2
	v_add_co_u32_e32 v43, vcc, 0x1000, v45
	v_addc_co_u32_e32 v44, vcc, 0, v46, vcc
	global_load_dwordx2 v[43:44], v[43:44], off offset:3072
.LBB1255_1012:                          ;   in Loop: Header=BB1255_979 Depth=2
	s_or_b64 exec, exec, s[36:37]
	s_sub_i32 s40, s94, s72
	v_cmp_gt_u32_e64 s[36:37], s97, v171
.LBB1255_1013:                          ;   in Loop: Header=BB1255_979 Depth=2
	v_mov_b32_e32 v46, v6
	v_mov_b32_e32 v175, s97
	;; [unrolled: 1-line block ×3, first 2 shown]
	s_and_saveexec_b64 s[38:39], s[36:37]
	s_cbranch_execz .LBB1255_1015
; %bb.1014:                             ;   in Loop: Header=BB1255_979 Depth=2
	s_lshl_b64 s[36:37], s[72:73], 3
	v_mov_b32_e32 v4, s37
	v_add_co_u32_e32 v45, vcc, s36, v172
	v_addc_co_u32_e32 v4, vcc, v173, v4, vcc
	v_add_co_u32_e32 v45, vcc, 0x1000, v45
	v_addc_co_u32_e32 v46, vcc, 0, v4, vcc
	global_load_dwordx2 v[45:46], v[45:46], off offset:3584
	v_mov_b32_e32 v175, s40
.LBB1255_1015:                          ;   in Loop: Header=BB1255_979 Depth=2
	s_or_b64 exec, exec, s[38:39]
	s_waitcnt vmcnt(14)
	v_cmp_lt_i64_e32 vcc, -1, v[39:40]
	v_ashrrev_i32_e32 v71, 31, v40
	v_cndmask_b32_e32 v4, -1, v135, vcc
	v_xor_b32_e32 v40, v4, v40
	v_xor_b32_e32 v39, v71, v39
	v_cmp_ne_u64_e32 vcc, s[82:83], v[39:40]
	v_add_u32_e32 v177, 0x410, v100
	v_cndmask_b32_e32 v72, v135, v40, vcc
	v_cndmask_b32_e32 v71, 0, v39, vcc
	v_lshrrev_b64 v[71:72], s88, v[71:72]
	v_add_u32_e32 v176, 0x418, v100
	v_and_b32_e32 v71, s96, v71
	v_and_b32_e32 v4, 1, v71
	v_add_co_u32_e32 v72, vcc, -1, v4
	v_addc_co_u32_e64 v74, s[36:37], 0, -1, vcc
	v_cmp_ne_u32_e32 vcc, 0, v4
	v_xor_b32_e32 v4, vcc_hi, v74
	v_and_b32_e32 v74, exec_hi, v4
	v_lshlrev_b32_e32 v4, 30, v71
	v_xor_b32_e32 v72, vcc_lo, v72
	v_cmp_gt_i64_e32 vcc, 0, v[3:4]
	v_not_b32_e32 v4, v4
	v_ashrrev_i32_e32 v4, 31, v4
	v_and_b32_e32 v72, exec_lo, v72
	v_xor_b32_e32 v178, vcc_hi, v4
	v_xor_b32_e32 v4, vcc_lo, v4
	v_and_b32_e32 v72, v72, v4
	v_lshlrev_b32_e32 v4, 29, v71
	v_cmp_gt_i64_e32 vcc, 0, v[3:4]
	v_not_b32_e32 v4, v4
	v_ashrrev_i32_e32 v4, 31, v4
	v_and_b32_e32 v74, v74, v178
	v_xor_b32_e32 v178, vcc_hi, v4
	v_xor_b32_e32 v4, vcc_lo, v4
	v_and_b32_e32 v72, v72, v4
	v_lshlrev_b32_e32 v4, 28, v71
	v_cmp_gt_i64_e32 vcc, 0, v[3:4]
	v_not_b32_e32 v4, v4
	v_ashrrev_i32_e32 v4, 31, v4
	v_and_b32_e32 v74, v74, v178
	;; [unrolled: 8-line block ×5, first 2 shown]
	v_xor_b32_e32 v178, vcc_hi, v4
	v_xor_b32_e32 v4, vcc_lo, v4
	v_and_b32_e32 v74, v74, v178
	v_and_b32_e32 v178, v72, v4
	v_lshlrev_b32_e32 v4, 24, v71
	v_cmp_gt_i64_e32 vcc, 0, v[3:4]
	v_not_b32_e32 v4, v4
	v_ashrrev_i32_e32 v4, 31, v4
	v_mul_u32_u24_e32 v73, 20, v71
	v_xor_b32_e32 v71, vcc_hi, v4
	v_xor_b32_e32 v4, vcc_lo, v4
	v_and_b32_e32 v72, v74, v71
	v_and_b32_e32 v71, v178, v4
	v_mbcnt_lo_u32_b32 v4, v71, 0
	v_mbcnt_hi_u32_b32 v178, v72, v4
	v_cmp_ne_u64_e32 vcc, 0, v[71:72]
	v_cmp_eq_u32_e64 s[36:37], 0, v178
	s_and_b64 s[38:39], vcc, s[36:37]
	v_add_u32_e32 v180, v174, v73
	ds_write2_b32 v177, v3, v3 offset1:1
	ds_write2_b32 v176, v3, v3 offset1:1
	ds_write_b32 v100, v3 offset:1056
	s_waitcnt vmcnt(0) lgkmcnt(0)
	s_barrier
	; wave barrier
	s_and_saveexec_b64 s[36:37], s[38:39]
; %bb.1016:                             ;   in Loop: Header=BB1255_979 Depth=2
	v_bcnt_u32_b32 v4, v71, 0
	v_bcnt_u32_b32 v4, v72, v4
	ds_write_b32 v180, v4 offset:1040
; %bb.1017:                             ;   in Loop: Header=BB1255_979 Depth=2
	s_or_b64 exec, exec, s[36:37]
	v_cmp_lt_i64_e32 vcc, -1, v[41:42]
	v_ashrrev_i32_e32 v71, 31, v42
	v_cndmask_b32_e32 v4, -1, v135, vcc
	v_xor_b32_e32 v42, v4, v42
	v_xor_b32_e32 v41, v71, v41
	v_cmp_ne_u64_e32 vcc, s[82:83], v[41:42]
	v_cndmask_b32_e32 v72, v135, v42, vcc
	v_cndmask_b32_e32 v71, 0, v41, vcc
	v_lshrrev_b64 v[71:72], s88, v[71:72]
	; wave barrier
	v_and_b32_e32 v71, s96, v71
	v_mad_u32_u24 v4, v71, 20, v174
	ds_read_b32 v179, v4 offset:1040
	v_and_b32_e32 v4, 1, v71
	v_add_co_u32_e32 v72, vcc, -1, v4
	v_addc_co_u32_e64 v74, s[36:37], 0, -1, vcc
	v_cmp_ne_u32_e32 vcc, 0, v4
	v_xor_b32_e32 v4, vcc_hi, v74
	v_and_b32_e32 v74, exec_hi, v4
	v_lshlrev_b32_e32 v4, 30, v71
	v_xor_b32_e32 v72, vcc_lo, v72
	v_cmp_gt_i64_e32 vcc, 0, v[3:4]
	v_not_b32_e32 v4, v4
	v_ashrrev_i32_e32 v4, 31, v4
	v_and_b32_e32 v72, exec_lo, v72
	v_xor_b32_e32 v181, vcc_hi, v4
	v_xor_b32_e32 v4, vcc_lo, v4
	v_and_b32_e32 v72, v72, v4
	v_lshlrev_b32_e32 v4, 29, v71
	v_cmp_gt_i64_e32 vcc, 0, v[3:4]
	v_not_b32_e32 v4, v4
	v_ashrrev_i32_e32 v4, 31, v4
	v_and_b32_e32 v74, v74, v181
	v_xor_b32_e32 v181, vcc_hi, v4
	v_xor_b32_e32 v4, vcc_lo, v4
	v_and_b32_e32 v72, v72, v4
	v_lshlrev_b32_e32 v4, 28, v71
	v_cmp_gt_i64_e32 vcc, 0, v[3:4]
	v_not_b32_e32 v4, v4
	v_ashrrev_i32_e32 v4, 31, v4
	v_and_b32_e32 v74, v74, v181
	;; [unrolled: 8-line block ×5, first 2 shown]
	v_xor_b32_e32 v181, vcc_hi, v4
	v_xor_b32_e32 v4, vcc_lo, v4
	v_and_b32_e32 v74, v74, v181
	v_and_b32_e32 v181, v72, v4
	v_lshlrev_b32_e32 v4, 24, v71
	v_cmp_gt_i64_e32 vcc, 0, v[3:4]
	v_not_b32_e32 v4, v4
	v_ashrrev_i32_e32 v4, 31, v4
	v_mul_u32_u24_e32 v73, 20, v71
	v_xor_b32_e32 v71, vcc_hi, v4
	v_xor_b32_e32 v4, vcc_lo, v4
	v_and_b32_e32 v72, v74, v71
	v_and_b32_e32 v71, v181, v4
	v_mbcnt_lo_u32_b32 v4, v71, 0
	v_mbcnt_hi_u32_b32 v181, v72, v4
	v_cmp_ne_u64_e32 vcc, 0, v[71:72]
	v_cmp_eq_u32_e64 s[36:37], 0, v181
	s_and_b64 s[38:39], vcc, s[36:37]
	v_add_u32_e32 v183, v174, v73
	; wave barrier
	s_and_saveexec_b64 s[36:37], s[38:39]
	s_cbranch_execz .LBB1255_1019
; %bb.1018:                             ;   in Loop: Header=BB1255_979 Depth=2
	v_bcnt_u32_b32 v4, v71, 0
	v_bcnt_u32_b32 v4, v72, v4
	s_waitcnt lgkmcnt(0)
	v_add_u32_e32 v4, v179, v4
	ds_write_b32 v183, v4 offset:1040
.LBB1255_1019:                          ;   in Loop: Header=BB1255_979 Depth=2
	s_or_b64 exec, exec, s[36:37]
	v_cmp_lt_i64_e32 vcc, -1, v[47:48]
	v_ashrrev_i32_e32 v71, 31, v48
	v_cndmask_b32_e32 v4, -1, v135, vcc
	v_xor_b32_e32 v48, v4, v48
	v_xor_b32_e32 v47, v71, v47
	v_cmp_ne_u64_e32 vcc, s[82:83], v[47:48]
	v_cndmask_b32_e32 v72, v135, v48, vcc
	v_cndmask_b32_e32 v71, 0, v47, vcc
	v_lshrrev_b64 v[71:72], s88, v[71:72]
	; wave barrier
	v_and_b32_e32 v71, s96, v71
	v_mad_u32_u24 v4, v71, 20, v174
	ds_read_b32 v182, v4 offset:1040
	v_and_b32_e32 v4, 1, v71
	v_add_co_u32_e32 v72, vcc, -1, v4
	v_addc_co_u32_e64 v74, s[36:37], 0, -1, vcc
	v_cmp_ne_u32_e32 vcc, 0, v4
	v_xor_b32_e32 v4, vcc_hi, v74
	v_and_b32_e32 v74, exec_hi, v4
	v_lshlrev_b32_e32 v4, 30, v71
	v_xor_b32_e32 v72, vcc_lo, v72
	v_cmp_gt_i64_e32 vcc, 0, v[3:4]
	v_not_b32_e32 v4, v4
	v_ashrrev_i32_e32 v4, 31, v4
	v_and_b32_e32 v72, exec_lo, v72
	v_xor_b32_e32 v184, vcc_hi, v4
	v_xor_b32_e32 v4, vcc_lo, v4
	v_and_b32_e32 v72, v72, v4
	v_lshlrev_b32_e32 v4, 29, v71
	v_cmp_gt_i64_e32 vcc, 0, v[3:4]
	v_not_b32_e32 v4, v4
	v_ashrrev_i32_e32 v4, 31, v4
	v_and_b32_e32 v74, v74, v184
	v_xor_b32_e32 v184, vcc_hi, v4
	v_xor_b32_e32 v4, vcc_lo, v4
	v_and_b32_e32 v72, v72, v4
	v_lshlrev_b32_e32 v4, 28, v71
	v_cmp_gt_i64_e32 vcc, 0, v[3:4]
	v_not_b32_e32 v4, v4
	v_ashrrev_i32_e32 v4, 31, v4
	v_and_b32_e32 v74, v74, v184
	;; [unrolled: 8-line block ×5, first 2 shown]
	v_xor_b32_e32 v184, vcc_hi, v4
	v_xor_b32_e32 v4, vcc_lo, v4
	v_and_b32_e32 v74, v74, v184
	v_and_b32_e32 v184, v72, v4
	v_lshlrev_b32_e32 v4, 24, v71
	v_cmp_gt_i64_e32 vcc, 0, v[3:4]
	v_not_b32_e32 v4, v4
	v_ashrrev_i32_e32 v4, 31, v4
	v_mul_u32_u24_e32 v73, 20, v71
	v_xor_b32_e32 v71, vcc_hi, v4
	v_xor_b32_e32 v4, vcc_lo, v4
	v_and_b32_e32 v72, v74, v71
	v_and_b32_e32 v71, v184, v4
	v_mbcnt_lo_u32_b32 v4, v71, 0
	v_mbcnt_hi_u32_b32 v184, v72, v4
	v_cmp_ne_u64_e32 vcc, 0, v[71:72]
	v_cmp_eq_u32_e64 s[36:37], 0, v184
	s_and_b64 s[38:39], vcc, s[36:37]
	v_add_u32_e32 v186, v174, v73
	; wave barrier
	s_and_saveexec_b64 s[36:37], s[38:39]
	s_cbranch_execz .LBB1255_1021
; %bb.1020:                             ;   in Loop: Header=BB1255_979 Depth=2
	v_bcnt_u32_b32 v4, v71, 0
	v_bcnt_u32_b32 v4, v72, v4
	s_waitcnt lgkmcnt(0)
	v_add_u32_e32 v4, v182, v4
	ds_write_b32 v186, v4 offset:1040
.LBB1255_1021:                          ;   in Loop: Header=BB1255_979 Depth=2
	s_or_b64 exec, exec, s[36:37]
	v_cmp_lt_i64_e32 vcc, -1, v[51:52]
	v_ashrrev_i32_e32 v71, 31, v52
	v_cndmask_b32_e32 v4, -1, v135, vcc
	v_xor_b32_e32 v52, v4, v52
	v_xor_b32_e32 v51, v71, v51
	v_cmp_ne_u64_e32 vcc, s[82:83], v[51:52]
	v_cndmask_b32_e32 v72, v135, v52, vcc
	v_cndmask_b32_e32 v71, 0, v51, vcc
	v_lshrrev_b64 v[71:72], s88, v[71:72]
	; wave barrier
	v_and_b32_e32 v71, s96, v71
	v_mad_u32_u24 v4, v71, 20, v174
	ds_read_b32 v185, v4 offset:1040
	v_and_b32_e32 v4, 1, v71
	v_add_co_u32_e32 v72, vcc, -1, v4
	v_addc_co_u32_e64 v74, s[36:37], 0, -1, vcc
	v_cmp_ne_u32_e32 vcc, 0, v4
	v_xor_b32_e32 v4, vcc_hi, v74
	v_and_b32_e32 v74, exec_hi, v4
	v_lshlrev_b32_e32 v4, 30, v71
	v_xor_b32_e32 v72, vcc_lo, v72
	v_cmp_gt_i64_e32 vcc, 0, v[3:4]
	v_not_b32_e32 v4, v4
	v_ashrrev_i32_e32 v4, 31, v4
	v_and_b32_e32 v72, exec_lo, v72
	v_xor_b32_e32 v187, vcc_hi, v4
	v_xor_b32_e32 v4, vcc_lo, v4
	v_and_b32_e32 v72, v72, v4
	v_lshlrev_b32_e32 v4, 29, v71
	v_cmp_gt_i64_e32 vcc, 0, v[3:4]
	v_not_b32_e32 v4, v4
	v_ashrrev_i32_e32 v4, 31, v4
	v_and_b32_e32 v74, v74, v187
	v_xor_b32_e32 v187, vcc_hi, v4
	v_xor_b32_e32 v4, vcc_lo, v4
	v_and_b32_e32 v72, v72, v4
	v_lshlrev_b32_e32 v4, 28, v71
	v_cmp_gt_i64_e32 vcc, 0, v[3:4]
	v_not_b32_e32 v4, v4
	v_ashrrev_i32_e32 v4, 31, v4
	v_and_b32_e32 v74, v74, v187
	;; [unrolled: 8-line block ×5, first 2 shown]
	v_xor_b32_e32 v187, vcc_hi, v4
	v_xor_b32_e32 v4, vcc_lo, v4
	v_and_b32_e32 v74, v74, v187
	v_and_b32_e32 v187, v72, v4
	v_lshlrev_b32_e32 v4, 24, v71
	v_cmp_gt_i64_e32 vcc, 0, v[3:4]
	v_not_b32_e32 v4, v4
	v_ashrrev_i32_e32 v4, 31, v4
	v_mul_u32_u24_e32 v73, 20, v71
	v_xor_b32_e32 v71, vcc_hi, v4
	v_xor_b32_e32 v4, vcc_lo, v4
	v_and_b32_e32 v72, v74, v71
	v_and_b32_e32 v71, v187, v4
	v_mbcnt_lo_u32_b32 v4, v71, 0
	v_mbcnt_hi_u32_b32 v187, v72, v4
	v_cmp_ne_u64_e32 vcc, 0, v[71:72]
	v_cmp_eq_u32_e64 s[36:37], 0, v187
	s_and_b64 s[38:39], vcc, s[36:37]
	v_add_u32_e32 v189, v174, v73
	; wave barrier
	s_and_saveexec_b64 s[36:37], s[38:39]
	s_cbranch_execz .LBB1255_1023
; %bb.1022:                             ;   in Loop: Header=BB1255_979 Depth=2
	v_bcnt_u32_b32 v4, v71, 0
	v_bcnt_u32_b32 v4, v72, v4
	s_waitcnt lgkmcnt(0)
	v_add_u32_e32 v4, v185, v4
	ds_write_b32 v189, v4 offset:1040
.LBB1255_1023:                          ;   in Loop: Header=BB1255_979 Depth=2
	s_or_b64 exec, exec, s[36:37]
	v_cmp_lt_i64_e32 vcc, -1, v[55:56]
	v_ashrrev_i32_e32 v71, 31, v56
	v_cndmask_b32_e32 v4, -1, v135, vcc
	v_xor_b32_e32 v56, v4, v56
	v_xor_b32_e32 v55, v71, v55
	v_cmp_ne_u64_e32 vcc, s[82:83], v[55:56]
	v_cndmask_b32_e32 v72, v135, v56, vcc
	v_cndmask_b32_e32 v71, 0, v55, vcc
	v_lshrrev_b64 v[71:72], s88, v[71:72]
	; wave barrier
	v_and_b32_e32 v71, s96, v71
	v_mad_u32_u24 v4, v71, 20, v174
	ds_read_b32 v188, v4 offset:1040
	v_and_b32_e32 v4, 1, v71
	v_add_co_u32_e32 v72, vcc, -1, v4
	v_addc_co_u32_e64 v74, s[36:37], 0, -1, vcc
	v_cmp_ne_u32_e32 vcc, 0, v4
	v_xor_b32_e32 v4, vcc_hi, v74
	v_and_b32_e32 v74, exec_hi, v4
	v_lshlrev_b32_e32 v4, 30, v71
	v_xor_b32_e32 v72, vcc_lo, v72
	v_cmp_gt_i64_e32 vcc, 0, v[3:4]
	v_not_b32_e32 v4, v4
	v_ashrrev_i32_e32 v4, 31, v4
	v_and_b32_e32 v72, exec_lo, v72
	v_xor_b32_e32 v190, vcc_hi, v4
	v_xor_b32_e32 v4, vcc_lo, v4
	v_and_b32_e32 v72, v72, v4
	v_lshlrev_b32_e32 v4, 29, v71
	v_cmp_gt_i64_e32 vcc, 0, v[3:4]
	v_not_b32_e32 v4, v4
	v_ashrrev_i32_e32 v4, 31, v4
	v_and_b32_e32 v74, v74, v190
	v_xor_b32_e32 v190, vcc_hi, v4
	v_xor_b32_e32 v4, vcc_lo, v4
	v_and_b32_e32 v72, v72, v4
	v_lshlrev_b32_e32 v4, 28, v71
	v_cmp_gt_i64_e32 vcc, 0, v[3:4]
	v_not_b32_e32 v4, v4
	v_ashrrev_i32_e32 v4, 31, v4
	v_and_b32_e32 v74, v74, v190
	;; [unrolled: 8-line block ×5, first 2 shown]
	v_xor_b32_e32 v190, vcc_hi, v4
	v_xor_b32_e32 v4, vcc_lo, v4
	v_and_b32_e32 v74, v74, v190
	v_and_b32_e32 v190, v72, v4
	v_lshlrev_b32_e32 v4, 24, v71
	v_cmp_gt_i64_e32 vcc, 0, v[3:4]
	v_not_b32_e32 v4, v4
	v_ashrrev_i32_e32 v4, 31, v4
	v_mul_u32_u24_e32 v73, 20, v71
	v_xor_b32_e32 v71, vcc_hi, v4
	v_xor_b32_e32 v4, vcc_lo, v4
	v_and_b32_e32 v72, v74, v71
	v_and_b32_e32 v71, v190, v4
	v_mbcnt_lo_u32_b32 v4, v71, 0
	v_mbcnt_hi_u32_b32 v190, v72, v4
	v_cmp_ne_u64_e32 vcc, 0, v[71:72]
	v_cmp_eq_u32_e64 s[36:37], 0, v190
	s_and_b64 s[38:39], vcc, s[36:37]
	v_add_u32_e32 v192, v174, v73
	; wave barrier
	s_and_saveexec_b64 s[36:37], s[38:39]
	s_cbranch_execz .LBB1255_1025
; %bb.1024:                             ;   in Loop: Header=BB1255_979 Depth=2
	v_bcnt_u32_b32 v4, v71, 0
	v_bcnt_u32_b32 v4, v72, v4
	s_waitcnt lgkmcnt(0)
	v_add_u32_e32 v4, v188, v4
	ds_write_b32 v192, v4 offset:1040
.LBB1255_1025:                          ;   in Loop: Header=BB1255_979 Depth=2
	s_or_b64 exec, exec, s[36:37]
	v_cmp_lt_i64_e32 vcc, -1, v[59:60]
	v_ashrrev_i32_e32 v71, 31, v60
	v_cndmask_b32_e32 v4, -1, v135, vcc
	v_xor_b32_e32 v60, v4, v60
	v_xor_b32_e32 v59, v71, v59
	v_cmp_ne_u64_e32 vcc, s[82:83], v[59:60]
	v_cndmask_b32_e32 v72, v135, v60, vcc
	v_cndmask_b32_e32 v71, 0, v59, vcc
	v_lshrrev_b64 v[71:72], s88, v[71:72]
	; wave barrier
	v_and_b32_e32 v71, s96, v71
	v_mad_u32_u24 v4, v71, 20, v174
	ds_read_b32 v191, v4 offset:1040
	v_and_b32_e32 v4, 1, v71
	v_add_co_u32_e32 v72, vcc, -1, v4
	v_addc_co_u32_e64 v74, s[36:37], 0, -1, vcc
	v_cmp_ne_u32_e32 vcc, 0, v4
	v_xor_b32_e32 v4, vcc_hi, v74
	v_and_b32_e32 v74, exec_hi, v4
	v_lshlrev_b32_e32 v4, 30, v71
	v_xor_b32_e32 v72, vcc_lo, v72
	v_cmp_gt_i64_e32 vcc, 0, v[3:4]
	v_not_b32_e32 v4, v4
	v_ashrrev_i32_e32 v4, 31, v4
	v_and_b32_e32 v72, exec_lo, v72
	v_xor_b32_e32 v193, vcc_hi, v4
	v_xor_b32_e32 v4, vcc_lo, v4
	v_and_b32_e32 v72, v72, v4
	v_lshlrev_b32_e32 v4, 29, v71
	v_cmp_gt_i64_e32 vcc, 0, v[3:4]
	v_not_b32_e32 v4, v4
	v_ashrrev_i32_e32 v4, 31, v4
	v_and_b32_e32 v74, v74, v193
	v_xor_b32_e32 v193, vcc_hi, v4
	v_xor_b32_e32 v4, vcc_lo, v4
	v_and_b32_e32 v72, v72, v4
	v_lshlrev_b32_e32 v4, 28, v71
	v_cmp_gt_i64_e32 vcc, 0, v[3:4]
	v_not_b32_e32 v4, v4
	v_ashrrev_i32_e32 v4, 31, v4
	v_and_b32_e32 v74, v74, v193
	;; [unrolled: 8-line block ×5, first 2 shown]
	v_xor_b32_e32 v193, vcc_hi, v4
	v_xor_b32_e32 v4, vcc_lo, v4
	v_and_b32_e32 v74, v74, v193
	v_and_b32_e32 v193, v72, v4
	v_lshlrev_b32_e32 v4, 24, v71
	v_cmp_gt_i64_e32 vcc, 0, v[3:4]
	v_not_b32_e32 v4, v4
	v_ashrrev_i32_e32 v4, 31, v4
	v_mul_u32_u24_e32 v73, 20, v71
	v_xor_b32_e32 v71, vcc_hi, v4
	v_xor_b32_e32 v4, vcc_lo, v4
	v_and_b32_e32 v72, v74, v71
	v_and_b32_e32 v71, v193, v4
	v_mbcnt_lo_u32_b32 v4, v71, 0
	v_mbcnt_hi_u32_b32 v193, v72, v4
	v_cmp_ne_u64_e32 vcc, 0, v[71:72]
	v_cmp_eq_u32_e64 s[36:37], 0, v193
	s_and_b64 s[38:39], vcc, s[36:37]
	v_add_u32_e32 v195, v174, v73
	; wave barrier
	s_and_saveexec_b64 s[36:37], s[38:39]
	s_cbranch_execz .LBB1255_1027
; %bb.1026:                             ;   in Loop: Header=BB1255_979 Depth=2
	v_bcnt_u32_b32 v4, v71, 0
	v_bcnt_u32_b32 v4, v72, v4
	s_waitcnt lgkmcnt(0)
	v_add_u32_e32 v4, v191, v4
	ds_write_b32 v195, v4 offset:1040
.LBB1255_1027:                          ;   in Loop: Header=BB1255_979 Depth=2
	s_or_b64 exec, exec, s[36:37]
	v_cmp_lt_i64_e32 vcc, -1, v[63:64]
	v_ashrrev_i32_e32 v71, 31, v64
	v_cndmask_b32_e32 v4, -1, v135, vcc
	v_xor_b32_e32 v64, v4, v64
	v_xor_b32_e32 v63, v71, v63
	v_cmp_ne_u64_e32 vcc, s[82:83], v[63:64]
	v_cndmask_b32_e32 v72, v135, v64, vcc
	v_cndmask_b32_e32 v71, 0, v63, vcc
	v_lshrrev_b64 v[71:72], s88, v[71:72]
	; wave barrier
	v_and_b32_e32 v71, s96, v71
	v_mad_u32_u24 v4, v71, 20, v174
	ds_read_b32 v194, v4 offset:1040
	v_and_b32_e32 v4, 1, v71
	v_add_co_u32_e32 v72, vcc, -1, v4
	v_addc_co_u32_e64 v74, s[36:37], 0, -1, vcc
	v_cmp_ne_u32_e32 vcc, 0, v4
	v_xor_b32_e32 v4, vcc_hi, v74
	v_and_b32_e32 v74, exec_hi, v4
	v_lshlrev_b32_e32 v4, 30, v71
	v_xor_b32_e32 v72, vcc_lo, v72
	v_cmp_gt_i64_e32 vcc, 0, v[3:4]
	v_not_b32_e32 v4, v4
	v_ashrrev_i32_e32 v4, 31, v4
	v_and_b32_e32 v72, exec_lo, v72
	v_xor_b32_e32 v196, vcc_hi, v4
	v_xor_b32_e32 v4, vcc_lo, v4
	v_and_b32_e32 v72, v72, v4
	v_lshlrev_b32_e32 v4, 29, v71
	v_cmp_gt_i64_e32 vcc, 0, v[3:4]
	v_not_b32_e32 v4, v4
	v_ashrrev_i32_e32 v4, 31, v4
	v_and_b32_e32 v74, v74, v196
	v_xor_b32_e32 v196, vcc_hi, v4
	v_xor_b32_e32 v4, vcc_lo, v4
	v_and_b32_e32 v72, v72, v4
	v_lshlrev_b32_e32 v4, 28, v71
	v_cmp_gt_i64_e32 vcc, 0, v[3:4]
	v_not_b32_e32 v4, v4
	v_ashrrev_i32_e32 v4, 31, v4
	v_and_b32_e32 v74, v74, v196
	;; [unrolled: 8-line block ×5, first 2 shown]
	v_xor_b32_e32 v196, vcc_hi, v4
	v_xor_b32_e32 v4, vcc_lo, v4
	v_and_b32_e32 v74, v74, v196
	v_and_b32_e32 v196, v72, v4
	v_lshlrev_b32_e32 v4, 24, v71
	v_cmp_gt_i64_e32 vcc, 0, v[3:4]
	v_not_b32_e32 v4, v4
	v_ashrrev_i32_e32 v4, 31, v4
	v_mul_u32_u24_e32 v73, 20, v71
	v_xor_b32_e32 v71, vcc_hi, v4
	v_xor_b32_e32 v4, vcc_lo, v4
	v_and_b32_e32 v72, v74, v71
	v_and_b32_e32 v71, v196, v4
	v_mbcnt_lo_u32_b32 v4, v71, 0
	v_mbcnt_hi_u32_b32 v196, v72, v4
	v_cmp_ne_u64_e32 vcc, 0, v[71:72]
	v_cmp_eq_u32_e64 s[36:37], 0, v196
	s_and_b64 s[38:39], vcc, s[36:37]
	v_add_u32_e32 v198, v174, v73
	; wave barrier
	s_and_saveexec_b64 s[36:37], s[38:39]
	s_cbranch_execz .LBB1255_1029
; %bb.1028:                             ;   in Loop: Header=BB1255_979 Depth=2
	v_bcnt_u32_b32 v4, v71, 0
	v_bcnt_u32_b32 v4, v72, v4
	s_waitcnt lgkmcnt(0)
	v_add_u32_e32 v4, v194, v4
	ds_write_b32 v198, v4 offset:1040
.LBB1255_1029:                          ;   in Loop: Header=BB1255_979 Depth=2
	s_or_b64 exec, exec, s[36:37]
	v_cmp_lt_i64_e32 vcc, -1, v[67:68]
	v_ashrrev_i32_e32 v71, 31, v68
	v_cndmask_b32_e32 v4, -1, v135, vcc
	v_xor_b32_e32 v68, v4, v68
	v_xor_b32_e32 v67, v71, v67
	v_cmp_ne_u64_e32 vcc, s[82:83], v[67:68]
	v_cndmask_b32_e32 v72, v135, v68, vcc
	v_cndmask_b32_e32 v71, 0, v67, vcc
	v_lshrrev_b64 v[71:72], s88, v[71:72]
	; wave barrier
	v_and_b32_e32 v71, s96, v71
	v_mad_u32_u24 v4, v71, 20, v174
	ds_read_b32 v197, v4 offset:1040
	v_and_b32_e32 v4, 1, v71
	v_add_co_u32_e32 v72, vcc, -1, v4
	v_addc_co_u32_e64 v74, s[36:37], 0, -1, vcc
	v_cmp_ne_u32_e32 vcc, 0, v4
	v_xor_b32_e32 v4, vcc_hi, v74
	v_and_b32_e32 v74, exec_hi, v4
	v_lshlrev_b32_e32 v4, 30, v71
	v_xor_b32_e32 v72, vcc_lo, v72
	v_cmp_gt_i64_e32 vcc, 0, v[3:4]
	v_not_b32_e32 v4, v4
	v_ashrrev_i32_e32 v4, 31, v4
	v_and_b32_e32 v72, exec_lo, v72
	v_xor_b32_e32 v199, vcc_hi, v4
	v_xor_b32_e32 v4, vcc_lo, v4
	v_and_b32_e32 v72, v72, v4
	v_lshlrev_b32_e32 v4, 29, v71
	v_cmp_gt_i64_e32 vcc, 0, v[3:4]
	v_not_b32_e32 v4, v4
	v_ashrrev_i32_e32 v4, 31, v4
	v_and_b32_e32 v74, v74, v199
	v_xor_b32_e32 v199, vcc_hi, v4
	v_xor_b32_e32 v4, vcc_lo, v4
	v_and_b32_e32 v72, v72, v4
	v_lshlrev_b32_e32 v4, 28, v71
	v_cmp_gt_i64_e32 vcc, 0, v[3:4]
	v_not_b32_e32 v4, v4
	v_ashrrev_i32_e32 v4, 31, v4
	v_and_b32_e32 v74, v74, v199
	;; [unrolled: 8-line block ×5, first 2 shown]
	v_xor_b32_e32 v199, vcc_hi, v4
	v_xor_b32_e32 v4, vcc_lo, v4
	v_and_b32_e32 v74, v74, v199
	v_and_b32_e32 v199, v72, v4
	v_lshlrev_b32_e32 v4, 24, v71
	v_cmp_gt_i64_e32 vcc, 0, v[3:4]
	v_not_b32_e32 v4, v4
	v_ashrrev_i32_e32 v4, 31, v4
	v_mul_u32_u24_e32 v73, 20, v71
	v_xor_b32_e32 v71, vcc_hi, v4
	v_xor_b32_e32 v4, vcc_lo, v4
	v_and_b32_e32 v72, v74, v71
	v_and_b32_e32 v71, v199, v4
	v_mbcnt_lo_u32_b32 v4, v71, 0
	v_mbcnt_hi_u32_b32 v199, v72, v4
	v_cmp_ne_u64_e32 vcc, 0, v[71:72]
	v_cmp_eq_u32_e64 s[36:37], 0, v199
	s_and_b64 s[38:39], vcc, s[36:37]
	v_add_u32_e32 v201, v174, v73
	; wave barrier
	s_and_saveexec_b64 s[36:37], s[38:39]
	s_cbranch_execz .LBB1255_1031
; %bb.1030:                             ;   in Loop: Header=BB1255_979 Depth=2
	v_bcnt_u32_b32 v4, v71, 0
	v_bcnt_u32_b32 v4, v72, v4
	s_waitcnt lgkmcnt(0)
	v_add_u32_e32 v4, v197, v4
	ds_write_b32 v201, v4 offset:1040
.LBB1255_1031:                          ;   in Loop: Header=BB1255_979 Depth=2
	s_or_b64 exec, exec, s[36:37]
	v_cmp_lt_i64_e32 vcc, -1, v[69:70]
	v_ashrrev_i32_e32 v71, 31, v70
	v_cndmask_b32_e32 v4, -1, v135, vcc
	v_xor_b32_e32 v70, v4, v70
	v_xor_b32_e32 v69, v71, v69
	v_cmp_ne_u64_e32 vcc, s[82:83], v[69:70]
	v_cndmask_b32_e32 v72, v135, v70, vcc
	v_cndmask_b32_e32 v71, 0, v69, vcc
	v_lshrrev_b64 v[71:72], s88, v[71:72]
	; wave barrier
	v_and_b32_e32 v71, s96, v71
	v_mad_u32_u24 v4, v71, 20, v174
	ds_read_b32 v200, v4 offset:1040
	v_and_b32_e32 v4, 1, v71
	v_add_co_u32_e32 v72, vcc, -1, v4
	v_addc_co_u32_e64 v74, s[36:37], 0, -1, vcc
	v_cmp_ne_u32_e32 vcc, 0, v4
	v_xor_b32_e32 v4, vcc_hi, v74
	v_and_b32_e32 v74, exec_hi, v4
	v_lshlrev_b32_e32 v4, 30, v71
	v_xor_b32_e32 v72, vcc_lo, v72
	v_cmp_gt_i64_e32 vcc, 0, v[3:4]
	v_not_b32_e32 v4, v4
	v_ashrrev_i32_e32 v4, 31, v4
	v_and_b32_e32 v72, exec_lo, v72
	v_xor_b32_e32 v202, vcc_hi, v4
	v_xor_b32_e32 v4, vcc_lo, v4
	v_and_b32_e32 v72, v72, v4
	v_lshlrev_b32_e32 v4, 29, v71
	v_cmp_gt_i64_e32 vcc, 0, v[3:4]
	v_not_b32_e32 v4, v4
	v_ashrrev_i32_e32 v4, 31, v4
	v_and_b32_e32 v74, v74, v202
	v_xor_b32_e32 v202, vcc_hi, v4
	v_xor_b32_e32 v4, vcc_lo, v4
	v_and_b32_e32 v72, v72, v4
	v_lshlrev_b32_e32 v4, 28, v71
	v_cmp_gt_i64_e32 vcc, 0, v[3:4]
	v_not_b32_e32 v4, v4
	v_ashrrev_i32_e32 v4, 31, v4
	v_and_b32_e32 v74, v74, v202
	;; [unrolled: 8-line block ×5, first 2 shown]
	v_xor_b32_e32 v202, vcc_hi, v4
	v_xor_b32_e32 v4, vcc_lo, v4
	v_and_b32_e32 v74, v74, v202
	v_and_b32_e32 v202, v72, v4
	v_lshlrev_b32_e32 v4, 24, v71
	v_cmp_gt_i64_e32 vcc, 0, v[3:4]
	v_not_b32_e32 v4, v4
	v_ashrrev_i32_e32 v4, 31, v4
	v_mul_u32_u24_e32 v73, 20, v71
	v_xor_b32_e32 v71, vcc_hi, v4
	v_xor_b32_e32 v4, vcc_lo, v4
	v_and_b32_e32 v72, v74, v71
	v_and_b32_e32 v71, v202, v4
	v_mbcnt_lo_u32_b32 v4, v71, 0
	v_mbcnt_hi_u32_b32 v202, v72, v4
	v_cmp_ne_u64_e32 vcc, 0, v[71:72]
	v_cmp_eq_u32_e64 s[36:37], 0, v202
	s_and_b64 s[38:39], vcc, s[36:37]
	v_add_u32_e32 v204, v174, v73
	; wave barrier
	s_and_saveexec_b64 s[36:37], s[38:39]
	s_cbranch_execz .LBB1255_1033
; %bb.1032:                             ;   in Loop: Header=BB1255_979 Depth=2
	v_bcnt_u32_b32 v4, v71, 0
	v_bcnt_u32_b32 v4, v72, v4
	s_waitcnt lgkmcnt(0)
	v_add_u32_e32 v4, v200, v4
	ds_write_b32 v204, v4 offset:1040
.LBB1255_1033:                          ;   in Loop: Header=BB1255_979 Depth=2
	s_or_b64 exec, exec, s[36:37]
	v_cmp_lt_i64_e32 vcc, -1, v[65:66]
	v_ashrrev_i32_e32 v71, 31, v66
	v_cndmask_b32_e32 v4, -1, v135, vcc
	v_xor_b32_e32 v66, v4, v66
	v_xor_b32_e32 v65, v71, v65
	v_cmp_ne_u64_e32 vcc, s[82:83], v[65:66]
	v_cndmask_b32_e32 v72, v135, v66, vcc
	v_cndmask_b32_e32 v71, 0, v65, vcc
	v_lshrrev_b64 v[71:72], s88, v[71:72]
	; wave barrier
	v_and_b32_e32 v71, s96, v71
	v_mad_u32_u24 v4, v71, 20, v174
	ds_read_b32 v203, v4 offset:1040
	v_and_b32_e32 v4, 1, v71
	v_add_co_u32_e32 v72, vcc, -1, v4
	v_addc_co_u32_e64 v74, s[36:37], 0, -1, vcc
	v_cmp_ne_u32_e32 vcc, 0, v4
	v_xor_b32_e32 v4, vcc_hi, v74
	v_and_b32_e32 v74, exec_hi, v4
	v_lshlrev_b32_e32 v4, 30, v71
	v_xor_b32_e32 v72, vcc_lo, v72
	v_cmp_gt_i64_e32 vcc, 0, v[3:4]
	v_not_b32_e32 v4, v4
	v_ashrrev_i32_e32 v4, 31, v4
	v_and_b32_e32 v72, exec_lo, v72
	v_xor_b32_e32 v205, vcc_hi, v4
	v_xor_b32_e32 v4, vcc_lo, v4
	v_and_b32_e32 v72, v72, v4
	v_lshlrev_b32_e32 v4, 29, v71
	v_cmp_gt_i64_e32 vcc, 0, v[3:4]
	v_not_b32_e32 v4, v4
	v_ashrrev_i32_e32 v4, 31, v4
	v_and_b32_e32 v74, v74, v205
	v_xor_b32_e32 v205, vcc_hi, v4
	v_xor_b32_e32 v4, vcc_lo, v4
	v_and_b32_e32 v72, v72, v4
	v_lshlrev_b32_e32 v4, 28, v71
	v_cmp_gt_i64_e32 vcc, 0, v[3:4]
	v_not_b32_e32 v4, v4
	v_ashrrev_i32_e32 v4, 31, v4
	v_and_b32_e32 v74, v74, v205
	v_xor_b32_e32 v205, vcc_hi, v4
	v_xor_b32_e32 v4, vcc_lo, v4
	v_and_b32_e32 v72, v72, v4
	v_lshlrev_b32_e32 v4, 27, v71
	v_cmp_gt_i64_e32 vcc, 0, v[3:4]
	v_not_b32_e32 v4, v4
	v_ashrrev_i32_e32 v4, 31, v4
	v_and_b32_e32 v74, v74, v205
	v_xor_b32_e32 v205, vcc_hi, v4
	v_xor_b32_e32 v4, vcc_lo, v4
	v_and_b32_e32 v72, v72, v4
	v_lshlrev_b32_e32 v4, 26, v71
	v_cmp_gt_i64_e32 vcc, 0, v[3:4]
	v_not_b32_e32 v4, v4
	v_ashrrev_i32_e32 v4, 31, v4
	v_and_b32_e32 v74, v74, v205
	v_xor_b32_e32 v205, vcc_hi, v4
	v_xor_b32_e32 v4, vcc_lo, v4
	v_and_b32_e32 v72, v72, v4
	v_lshlrev_b32_e32 v4, 25, v71
	v_cmp_gt_i64_e32 vcc, 0, v[3:4]
	v_not_b32_e32 v4, v4
	v_ashrrev_i32_e32 v4, 31, v4
	v_and_b32_e32 v74, v74, v205
	v_xor_b32_e32 v205, vcc_hi, v4
	v_xor_b32_e32 v4, vcc_lo, v4
	v_and_b32_e32 v74, v74, v205
	v_and_b32_e32 v205, v72, v4
	v_lshlrev_b32_e32 v4, 24, v71
	v_cmp_gt_i64_e32 vcc, 0, v[3:4]
	v_not_b32_e32 v4, v4
	v_ashrrev_i32_e32 v4, 31, v4
	v_mul_u32_u24_e32 v73, 20, v71
	v_xor_b32_e32 v71, vcc_hi, v4
	v_xor_b32_e32 v4, vcc_lo, v4
	v_and_b32_e32 v72, v74, v71
	v_and_b32_e32 v71, v205, v4
	v_mbcnt_lo_u32_b32 v4, v71, 0
	v_mbcnt_hi_u32_b32 v205, v72, v4
	v_cmp_ne_u64_e32 vcc, 0, v[71:72]
	v_cmp_eq_u32_e64 s[36:37], 0, v205
	s_and_b64 s[38:39], vcc, s[36:37]
	v_add_u32_e32 v207, v174, v73
	; wave barrier
	s_and_saveexec_b64 s[36:37], s[38:39]
	s_cbranch_execz .LBB1255_1035
; %bb.1034:                             ;   in Loop: Header=BB1255_979 Depth=2
	v_bcnt_u32_b32 v4, v71, 0
	v_bcnt_u32_b32 v4, v72, v4
	s_waitcnt lgkmcnt(0)
	v_add_u32_e32 v4, v203, v4
	ds_write_b32 v207, v4 offset:1040
.LBB1255_1035:                          ;   in Loop: Header=BB1255_979 Depth=2
	s_or_b64 exec, exec, s[36:37]
	v_cmp_lt_i64_e32 vcc, -1, v[61:62]
	v_ashrrev_i32_e32 v71, 31, v62
	v_cndmask_b32_e32 v4, -1, v135, vcc
	v_xor_b32_e32 v62, v4, v62
	v_xor_b32_e32 v61, v71, v61
	v_cmp_ne_u64_e32 vcc, s[82:83], v[61:62]
	v_cndmask_b32_e32 v72, v135, v62, vcc
	v_cndmask_b32_e32 v71, 0, v61, vcc
	v_lshrrev_b64 v[71:72], s88, v[71:72]
	; wave barrier
	v_and_b32_e32 v71, s96, v71
	v_mad_u32_u24 v4, v71, 20, v174
	ds_read_b32 v206, v4 offset:1040
	v_and_b32_e32 v4, 1, v71
	v_add_co_u32_e32 v72, vcc, -1, v4
	v_addc_co_u32_e64 v74, s[36:37], 0, -1, vcc
	v_cmp_ne_u32_e32 vcc, 0, v4
	v_xor_b32_e32 v4, vcc_hi, v74
	v_and_b32_e32 v74, exec_hi, v4
	v_lshlrev_b32_e32 v4, 30, v71
	v_xor_b32_e32 v72, vcc_lo, v72
	v_cmp_gt_i64_e32 vcc, 0, v[3:4]
	v_not_b32_e32 v4, v4
	v_ashrrev_i32_e32 v4, 31, v4
	v_and_b32_e32 v72, exec_lo, v72
	v_xor_b32_e32 v208, vcc_hi, v4
	v_xor_b32_e32 v4, vcc_lo, v4
	v_and_b32_e32 v72, v72, v4
	v_lshlrev_b32_e32 v4, 29, v71
	v_cmp_gt_i64_e32 vcc, 0, v[3:4]
	v_not_b32_e32 v4, v4
	v_ashrrev_i32_e32 v4, 31, v4
	v_and_b32_e32 v74, v74, v208
	v_xor_b32_e32 v208, vcc_hi, v4
	v_xor_b32_e32 v4, vcc_lo, v4
	v_and_b32_e32 v72, v72, v4
	v_lshlrev_b32_e32 v4, 28, v71
	v_cmp_gt_i64_e32 vcc, 0, v[3:4]
	v_not_b32_e32 v4, v4
	v_ashrrev_i32_e32 v4, 31, v4
	v_and_b32_e32 v74, v74, v208
	;; [unrolled: 8-line block ×5, first 2 shown]
	v_xor_b32_e32 v208, vcc_hi, v4
	v_xor_b32_e32 v4, vcc_lo, v4
	v_and_b32_e32 v74, v74, v208
	v_and_b32_e32 v208, v72, v4
	v_lshlrev_b32_e32 v4, 24, v71
	v_cmp_gt_i64_e32 vcc, 0, v[3:4]
	v_not_b32_e32 v4, v4
	v_ashrrev_i32_e32 v4, 31, v4
	v_mul_u32_u24_e32 v73, 20, v71
	v_xor_b32_e32 v71, vcc_hi, v4
	v_xor_b32_e32 v4, vcc_lo, v4
	v_and_b32_e32 v72, v74, v71
	v_and_b32_e32 v71, v208, v4
	v_mbcnt_lo_u32_b32 v4, v71, 0
	v_mbcnt_hi_u32_b32 v208, v72, v4
	v_cmp_ne_u64_e32 vcc, 0, v[71:72]
	v_cmp_eq_u32_e64 s[36:37], 0, v208
	s_and_b64 s[38:39], vcc, s[36:37]
	v_add_u32_e32 v210, v174, v73
	; wave barrier
	s_and_saveexec_b64 s[36:37], s[38:39]
	s_cbranch_execz .LBB1255_1037
; %bb.1036:                             ;   in Loop: Header=BB1255_979 Depth=2
	v_bcnt_u32_b32 v4, v71, 0
	v_bcnt_u32_b32 v4, v72, v4
	s_waitcnt lgkmcnt(0)
	v_add_u32_e32 v4, v206, v4
	ds_write_b32 v210, v4 offset:1040
.LBB1255_1037:                          ;   in Loop: Header=BB1255_979 Depth=2
	s_or_b64 exec, exec, s[36:37]
	v_cmp_lt_i64_e32 vcc, -1, v[57:58]
	v_ashrrev_i32_e32 v71, 31, v58
	v_cndmask_b32_e32 v4, -1, v135, vcc
	v_xor_b32_e32 v58, v4, v58
	v_xor_b32_e32 v57, v71, v57
	v_cmp_ne_u64_e32 vcc, s[82:83], v[57:58]
	v_cndmask_b32_e32 v72, v135, v58, vcc
	v_cndmask_b32_e32 v71, 0, v57, vcc
	v_lshrrev_b64 v[71:72], s88, v[71:72]
	; wave barrier
	v_and_b32_e32 v71, s96, v71
	v_mad_u32_u24 v4, v71, 20, v174
	ds_read_b32 v209, v4 offset:1040
	v_and_b32_e32 v4, 1, v71
	v_add_co_u32_e32 v72, vcc, -1, v4
	v_addc_co_u32_e64 v74, s[36:37], 0, -1, vcc
	v_cmp_ne_u32_e32 vcc, 0, v4
	v_xor_b32_e32 v4, vcc_hi, v74
	v_and_b32_e32 v74, exec_hi, v4
	v_lshlrev_b32_e32 v4, 30, v71
	v_xor_b32_e32 v72, vcc_lo, v72
	v_cmp_gt_i64_e32 vcc, 0, v[3:4]
	v_not_b32_e32 v4, v4
	v_ashrrev_i32_e32 v4, 31, v4
	v_and_b32_e32 v72, exec_lo, v72
	v_xor_b32_e32 v211, vcc_hi, v4
	v_xor_b32_e32 v4, vcc_lo, v4
	v_and_b32_e32 v72, v72, v4
	v_lshlrev_b32_e32 v4, 29, v71
	v_cmp_gt_i64_e32 vcc, 0, v[3:4]
	v_not_b32_e32 v4, v4
	v_ashrrev_i32_e32 v4, 31, v4
	v_and_b32_e32 v74, v74, v211
	v_xor_b32_e32 v211, vcc_hi, v4
	v_xor_b32_e32 v4, vcc_lo, v4
	v_and_b32_e32 v72, v72, v4
	v_lshlrev_b32_e32 v4, 28, v71
	v_cmp_gt_i64_e32 vcc, 0, v[3:4]
	v_not_b32_e32 v4, v4
	v_ashrrev_i32_e32 v4, 31, v4
	v_and_b32_e32 v74, v74, v211
	;; [unrolled: 8-line block ×5, first 2 shown]
	v_xor_b32_e32 v211, vcc_hi, v4
	v_xor_b32_e32 v4, vcc_lo, v4
	v_and_b32_e32 v74, v74, v211
	v_and_b32_e32 v211, v72, v4
	v_lshlrev_b32_e32 v4, 24, v71
	v_cmp_gt_i64_e32 vcc, 0, v[3:4]
	v_not_b32_e32 v4, v4
	v_ashrrev_i32_e32 v4, 31, v4
	v_mul_u32_u24_e32 v73, 20, v71
	v_xor_b32_e32 v71, vcc_hi, v4
	v_xor_b32_e32 v4, vcc_lo, v4
	v_and_b32_e32 v72, v74, v71
	v_and_b32_e32 v71, v211, v4
	v_mbcnt_lo_u32_b32 v4, v71, 0
	v_mbcnt_hi_u32_b32 v211, v72, v4
	v_cmp_ne_u64_e32 vcc, 0, v[71:72]
	v_cmp_eq_u32_e64 s[36:37], 0, v211
	s_and_b64 s[38:39], vcc, s[36:37]
	v_add_u32_e32 v213, v174, v73
	; wave barrier
	s_and_saveexec_b64 s[36:37], s[38:39]
	s_cbranch_execz .LBB1255_1039
; %bb.1038:                             ;   in Loop: Header=BB1255_979 Depth=2
	v_bcnt_u32_b32 v4, v71, 0
	v_bcnt_u32_b32 v4, v72, v4
	s_waitcnt lgkmcnt(0)
	v_add_u32_e32 v4, v209, v4
	ds_write_b32 v213, v4 offset:1040
.LBB1255_1039:                          ;   in Loop: Header=BB1255_979 Depth=2
	s_or_b64 exec, exec, s[36:37]
	v_cmp_lt_i64_e32 vcc, -1, v[53:54]
	v_ashrrev_i32_e32 v71, 31, v54
	v_cndmask_b32_e32 v4, -1, v135, vcc
	v_xor_b32_e32 v54, v4, v54
	v_xor_b32_e32 v53, v71, v53
	v_cmp_ne_u64_e32 vcc, s[82:83], v[53:54]
	v_cndmask_b32_e32 v72, v135, v54, vcc
	v_cndmask_b32_e32 v71, 0, v53, vcc
	v_lshrrev_b64 v[71:72], s88, v[71:72]
	; wave barrier
	v_and_b32_e32 v71, s96, v71
	v_mad_u32_u24 v4, v71, 20, v174
	ds_read_b32 v212, v4 offset:1040
	v_and_b32_e32 v4, 1, v71
	v_add_co_u32_e32 v72, vcc, -1, v4
	v_addc_co_u32_e64 v74, s[36:37], 0, -1, vcc
	v_cmp_ne_u32_e32 vcc, 0, v4
	v_xor_b32_e32 v4, vcc_hi, v74
	v_and_b32_e32 v74, exec_hi, v4
	v_lshlrev_b32_e32 v4, 30, v71
	v_xor_b32_e32 v72, vcc_lo, v72
	v_cmp_gt_i64_e32 vcc, 0, v[3:4]
	v_not_b32_e32 v4, v4
	v_ashrrev_i32_e32 v4, 31, v4
	v_and_b32_e32 v72, exec_lo, v72
	v_xor_b32_e32 v214, vcc_hi, v4
	v_xor_b32_e32 v4, vcc_lo, v4
	v_and_b32_e32 v72, v72, v4
	v_lshlrev_b32_e32 v4, 29, v71
	v_cmp_gt_i64_e32 vcc, 0, v[3:4]
	v_not_b32_e32 v4, v4
	v_ashrrev_i32_e32 v4, 31, v4
	v_and_b32_e32 v74, v74, v214
	v_xor_b32_e32 v214, vcc_hi, v4
	v_xor_b32_e32 v4, vcc_lo, v4
	v_and_b32_e32 v72, v72, v4
	v_lshlrev_b32_e32 v4, 28, v71
	v_cmp_gt_i64_e32 vcc, 0, v[3:4]
	v_not_b32_e32 v4, v4
	v_ashrrev_i32_e32 v4, 31, v4
	v_and_b32_e32 v74, v74, v214
	;; [unrolled: 8-line block ×5, first 2 shown]
	v_xor_b32_e32 v214, vcc_hi, v4
	v_xor_b32_e32 v4, vcc_lo, v4
	v_and_b32_e32 v74, v74, v214
	v_and_b32_e32 v214, v72, v4
	v_lshlrev_b32_e32 v4, 24, v71
	v_cmp_gt_i64_e32 vcc, 0, v[3:4]
	v_not_b32_e32 v4, v4
	v_ashrrev_i32_e32 v4, 31, v4
	v_mul_u32_u24_e32 v73, 20, v71
	v_xor_b32_e32 v71, vcc_hi, v4
	v_xor_b32_e32 v4, vcc_lo, v4
	v_and_b32_e32 v72, v74, v71
	v_and_b32_e32 v71, v214, v4
	v_mbcnt_lo_u32_b32 v4, v71, 0
	v_mbcnt_hi_u32_b32 v214, v72, v4
	v_cmp_ne_u64_e32 vcc, 0, v[71:72]
	v_cmp_eq_u32_e64 s[36:37], 0, v214
	s_and_b64 s[38:39], vcc, s[36:37]
	v_add_u32_e32 v216, v174, v73
	; wave barrier
	s_and_saveexec_b64 s[36:37], s[38:39]
	s_cbranch_execz .LBB1255_1041
; %bb.1040:                             ;   in Loop: Header=BB1255_979 Depth=2
	v_bcnt_u32_b32 v4, v71, 0
	v_bcnt_u32_b32 v4, v72, v4
	s_waitcnt lgkmcnt(0)
	v_add_u32_e32 v4, v212, v4
	ds_write_b32 v216, v4 offset:1040
.LBB1255_1041:                          ;   in Loop: Header=BB1255_979 Depth=2
	s_or_b64 exec, exec, s[36:37]
	v_cmp_lt_i64_e32 vcc, -1, v[49:50]
	v_ashrrev_i32_e32 v71, 31, v50
	v_cndmask_b32_e32 v4, -1, v135, vcc
	v_xor_b32_e32 v50, v4, v50
	v_xor_b32_e32 v49, v71, v49
	v_cmp_ne_u64_e32 vcc, s[82:83], v[49:50]
	v_cndmask_b32_e32 v72, v135, v50, vcc
	v_cndmask_b32_e32 v71, 0, v49, vcc
	v_lshrrev_b64 v[71:72], s88, v[71:72]
	; wave barrier
	v_and_b32_e32 v71, s96, v71
	v_mad_u32_u24 v4, v71, 20, v174
	ds_read_b32 v215, v4 offset:1040
	v_and_b32_e32 v4, 1, v71
	v_add_co_u32_e32 v72, vcc, -1, v4
	v_addc_co_u32_e64 v74, s[36:37], 0, -1, vcc
	v_cmp_ne_u32_e32 vcc, 0, v4
	v_xor_b32_e32 v4, vcc_hi, v74
	v_and_b32_e32 v74, exec_hi, v4
	v_lshlrev_b32_e32 v4, 30, v71
	v_xor_b32_e32 v72, vcc_lo, v72
	v_cmp_gt_i64_e32 vcc, 0, v[3:4]
	v_not_b32_e32 v4, v4
	v_ashrrev_i32_e32 v4, 31, v4
	v_and_b32_e32 v72, exec_lo, v72
	v_xor_b32_e32 v217, vcc_hi, v4
	v_xor_b32_e32 v4, vcc_lo, v4
	v_and_b32_e32 v72, v72, v4
	v_lshlrev_b32_e32 v4, 29, v71
	v_cmp_gt_i64_e32 vcc, 0, v[3:4]
	v_not_b32_e32 v4, v4
	v_ashrrev_i32_e32 v4, 31, v4
	v_and_b32_e32 v74, v74, v217
	v_xor_b32_e32 v217, vcc_hi, v4
	v_xor_b32_e32 v4, vcc_lo, v4
	v_and_b32_e32 v72, v72, v4
	v_lshlrev_b32_e32 v4, 28, v71
	v_cmp_gt_i64_e32 vcc, 0, v[3:4]
	v_not_b32_e32 v4, v4
	v_ashrrev_i32_e32 v4, 31, v4
	v_and_b32_e32 v74, v74, v217
	;; [unrolled: 8-line block ×5, first 2 shown]
	v_xor_b32_e32 v217, vcc_hi, v4
	v_xor_b32_e32 v4, vcc_lo, v4
	v_and_b32_e32 v74, v74, v217
	v_and_b32_e32 v217, v72, v4
	v_lshlrev_b32_e32 v4, 24, v71
	v_cmp_gt_i64_e32 vcc, 0, v[3:4]
	v_not_b32_e32 v4, v4
	v_ashrrev_i32_e32 v4, 31, v4
	v_mul_u32_u24_e32 v73, 20, v71
	v_xor_b32_e32 v71, vcc_hi, v4
	v_xor_b32_e32 v4, vcc_lo, v4
	v_and_b32_e32 v72, v74, v71
	v_and_b32_e32 v71, v217, v4
	v_mbcnt_lo_u32_b32 v4, v71, 0
	v_mbcnt_hi_u32_b32 v217, v72, v4
	v_cmp_ne_u64_e32 vcc, 0, v[71:72]
	v_cmp_eq_u32_e64 s[36:37], 0, v217
	s_and_b64 s[38:39], vcc, s[36:37]
	v_add_u32_e32 v219, v174, v73
	; wave barrier
	s_and_saveexec_b64 s[36:37], s[38:39]
	s_cbranch_execz .LBB1255_1043
; %bb.1042:                             ;   in Loop: Header=BB1255_979 Depth=2
	v_bcnt_u32_b32 v4, v71, 0
	v_bcnt_u32_b32 v4, v72, v4
	s_waitcnt lgkmcnt(0)
	v_add_u32_e32 v4, v215, v4
	ds_write_b32 v219, v4 offset:1040
.LBB1255_1043:                          ;   in Loop: Header=BB1255_979 Depth=2
	s_or_b64 exec, exec, s[36:37]
	v_cmp_lt_i64_e32 vcc, -1, v[43:44]
	v_ashrrev_i32_e32 v71, 31, v44
	v_cndmask_b32_e32 v4, -1, v135, vcc
	v_xor_b32_e32 v44, v4, v44
	v_xor_b32_e32 v43, v71, v43
	v_cmp_ne_u64_e32 vcc, s[82:83], v[43:44]
	v_cndmask_b32_e32 v72, v135, v44, vcc
	v_cndmask_b32_e32 v71, 0, v43, vcc
	v_lshrrev_b64 v[71:72], s88, v[71:72]
	; wave barrier
	v_and_b32_e32 v71, s96, v71
	v_mad_u32_u24 v4, v71, 20, v174
	ds_read_b32 v218, v4 offset:1040
	v_and_b32_e32 v4, 1, v71
	v_add_co_u32_e32 v72, vcc, -1, v4
	v_addc_co_u32_e64 v74, s[36:37], 0, -1, vcc
	v_cmp_ne_u32_e32 vcc, 0, v4
	v_xor_b32_e32 v4, vcc_hi, v74
	v_and_b32_e32 v74, exec_hi, v4
	v_lshlrev_b32_e32 v4, 30, v71
	v_xor_b32_e32 v72, vcc_lo, v72
	v_cmp_gt_i64_e32 vcc, 0, v[3:4]
	v_not_b32_e32 v4, v4
	v_ashrrev_i32_e32 v4, 31, v4
	v_and_b32_e32 v72, exec_lo, v72
	v_xor_b32_e32 v220, vcc_hi, v4
	v_xor_b32_e32 v4, vcc_lo, v4
	v_and_b32_e32 v72, v72, v4
	v_lshlrev_b32_e32 v4, 29, v71
	v_cmp_gt_i64_e32 vcc, 0, v[3:4]
	v_not_b32_e32 v4, v4
	v_ashrrev_i32_e32 v4, 31, v4
	v_and_b32_e32 v74, v74, v220
	v_xor_b32_e32 v220, vcc_hi, v4
	v_xor_b32_e32 v4, vcc_lo, v4
	v_and_b32_e32 v72, v72, v4
	v_lshlrev_b32_e32 v4, 28, v71
	v_cmp_gt_i64_e32 vcc, 0, v[3:4]
	v_not_b32_e32 v4, v4
	v_ashrrev_i32_e32 v4, 31, v4
	v_and_b32_e32 v74, v74, v220
	;; [unrolled: 8-line block ×5, first 2 shown]
	v_xor_b32_e32 v220, vcc_hi, v4
	v_xor_b32_e32 v4, vcc_lo, v4
	v_and_b32_e32 v74, v74, v220
	v_and_b32_e32 v220, v72, v4
	v_lshlrev_b32_e32 v4, 24, v71
	v_cmp_gt_i64_e32 vcc, 0, v[3:4]
	v_not_b32_e32 v4, v4
	v_ashrrev_i32_e32 v4, 31, v4
	v_mul_u32_u24_e32 v73, 20, v71
	v_xor_b32_e32 v71, vcc_hi, v4
	v_xor_b32_e32 v4, vcc_lo, v4
	v_and_b32_e32 v72, v74, v71
	v_and_b32_e32 v71, v220, v4
	v_mbcnt_lo_u32_b32 v4, v71, 0
	v_mbcnt_hi_u32_b32 v220, v72, v4
	v_cmp_ne_u64_e32 vcc, 0, v[71:72]
	v_cmp_eq_u32_e64 s[36:37], 0, v220
	s_and_b64 s[38:39], vcc, s[36:37]
	v_add_u32_e32 v222, v174, v73
	; wave barrier
	s_and_saveexec_b64 s[36:37], s[38:39]
	s_cbranch_execz .LBB1255_1045
; %bb.1044:                             ;   in Loop: Header=BB1255_979 Depth=2
	v_bcnt_u32_b32 v4, v71, 0
	v_bcnt_u32_b32 v4, v72, v4
	s_waitcnt lgkmcnt(0)
	v_add_u32_e32 v4, v218, v4
	ds_write_b32 v222, v4 offset:1040
.LBB1255_1045:                          ;   in Loop: Header=BB1255_979 Depth=2
	s_or_b64 exec, exec, s[36:37]
	v_cmp_lt_i64_e32 vcc, -1, v[45:46]
	v_ashrrev_i32_e32 v71, 31, v46
	v_cndmask_b32_e32 v4, -1, v135, vcc
	v_xor_b32_e32 v46, v4, v46
	v_xor_b32_e32 v45, v71, v45
	v_cmp_ne_u64_e32 vcc, s[82:83], v[45:46]
	v_cndmask_b32_e32 v72, v135, v46, vcc
	v_cndmask_b32_e32 v71, 0, v45, vcc
	v_lshrrev_b64 v[71:72], s88, v[71:72]
	; wave barrier
	v_and_b32_e32 v71, s96, v71
	v_mad_u32_u24 v4, v71, 20, v174
	ds_read_b32 v221, v4 offset:1040
	v_and_b32_e32 v4, 1, v71
	v_add_co_u32_e32 v72, vcc, -1, v4
	v_addc_co_u32_e64 v74, s[36:37], 0, -1, vcc
	v_cmp_ne_u32_e32 vcc, 0, v4
	v_xor_b32_e32 v4, vcc_hi, v74
	v_and_b32_e32 v74, exec_hi, v4
	v_lshlrev_b32_e32 v4, 30, v71
	v_xor_b32_e32 v72, vcc_lo, v72
	v_cmp_gt_i64_e32 vcc, 0, v[3:4]
	v_not_b32_e32 v4, v4
	v_ashrrev_i32_e32 v4, 31, v4
	v_and_b32_e32 v72, exec_lo, v72
	v_xor_b32_e32 v223, vcc_hi, v4
	v_xor_b32_e32 v4, vcc_lo, v4
	v_and_b32_e32 v72, v72, v4
	v_lshlrev_b32_e32 v4, 29, v71
	v_cmp_gt_i64_e32 vcc, 0, v[3:4]
	v_not_b32_e32 v4, v4
	v_ashrrev_i32_e32 v4, 31, v4
	v_and_b32_e32 v74, v74, v223
	v_xor_b32_e32 v223, vcc_hi, v4
	v_xor_b32_e32 v4, vcc_lo, v4
	v_and_b32_e32 v72, v72, v4
	v_lshlrev_b32_e32 v4, 28, v71
	v_cmp_gt_i64_e32 vcc, 0, v[3:4]
	v_not_b32_e32 v4, v4
	v_ashrrev_i32_e32 v4, 31, v4
	v_and_b32_e32 v74, v74, v223
	;; [unrolled: 8-line block ×5, first 2 shown]
	v_xor_b32_e32 v223, vcc_hi, v4
	v_xor_b32_e32 v4, vcc_lo, v4
	v_and_b32_e32 v74, v74, v223
	v_and_b32_e32 v223, v72, v4
	v_lshlrev_b32_e32 v4, 24, v71
	v_cmp_gt_i64_e32 vcc, 0, v[3:4]
	v_not_b32_e32 v4, v4
	v_ashrrev_i32_e32 v4, 31, v4
	v_mul_u32_u24_e32 v73, 20, v71
	v_xor_b32_e32 v71, vcc_hi, v4
	v_xor_b32_e32 v4, vcc_lo, v4
	v_and_b32_e32 v72, v74, v71
	v_and_b32_e32 v71, v223, v4
	v_mbcnt_lo_u32_b32 v4, v71, 0
	v_mbcnt_hi_u32_b32 v223, v72, v4
	v_cmp_ne_u64_e32 vcc, 0, v[71:72]
	v_cmp_eq_u32_e64 s[36:37], 0, v223
	s_and_b64 s[38:39], vcc, s[36:37]
	v_add_u32_e32 v4, v174, v73
	; wave barrier
	s_and_saveexec_b64 s[36:37], s[38:39]
	s_cbranch_execz .LBB1255_1047
; %bb.1046:                             ;   in Loop: Header=BB1255_979 Depth=2
	v_bcnt_u32_b32 v71, v71, 0
	v_bcnt_u32_b32 v71, v72, v71
	s_waitcnt lgkmcnt(0)
	v_add_u32_e32 v71, v221, v71
	ds_write_b32 v4, v71 offset:1040
.LBB1255_1047:                          ;   in Loop: Header=BB1255_979 Depth=2
	s_or_b64 exec, exec, s[36:37]
	; wave barrier
	s_waitcnt lgkmcnt(0)
	s_barrier
	ds_read2_b32 v[73:74], v177 offset1:1
	ds_read2_b32 v[71:72], v176 offset1:1
	ds_read_b32 v224, v100 offset:1056
	s_waitcnt lgkmcnt(1)
	v_add3_u32 v225, v74, v73, v71
	s_waitcnt lgkmcnt(0)
	v_add3_u32 v224, v225, v72, v224
	s_nop 1
	v_mov_b32_dpp v225, v224 row_shr:1 row_mask:0xf bank_mask:0xf
	v_cndmask_b32_e64 v225, v225, 0, s[16:17]
	v_add_u32_e32 v224, v225, v224
	s_nop 1
	v_mov_b32_dpp v225, v224 row_shr:2 row_mask:0xf bank_mask:0xf
	v_cndmask_b32_e64 v225, 0, v225, s[18:19]
	v_add_u32_e32 v224, v224, v225
	;; [unrolled: 4-line block ×4, first 2 shown]
	s_nop 1
	v_mov_b32_dpp v225, v224 row_bcast:15 row_mask:0xf bank_mask:0xf
	v_cndmask_b32_e64 v225, v225, 0, s[24:25]
	v_add_u32_e32 v224, v224, v225
	s_nop 1
	v_mov_b32_dpp v225, v224 row_bcast:31 row_mask:0xf bank_mask:0xf
	v_cndmask_b32_e64 v225, 0, v225, s[26:27]
	v_add_u32_e32 v224, v224, v225
	s_and_saveexec_b64 s[36:37], s[6:7]
; %bb.1048:                             ;   in Loop: Header=BB1255_979 Depth=2
	ds_write_b32 v95, v224 offset:1024
; %bb.1049:                             ;   in Loop: Header=BB1255_979 Depth=2
	s_or_b64 exec, exec, s[36:37]
	s_waitcnt lgkmcnt(0)
	s_barrier
	s_and_saveexec_b64 s[36:37], s[8:9]
	s_cbranch_execz .LBB1255_1051
; %bb.1050:                             ;   in Loop: Header=BB1255_979 Depth=2
	ds_read_b32 v225, v101 offset:1024
	s_waitcnt lgkmcnt(0)
	s_nop 0
	v_mov_b32_dpp v226, v225 row_shr:1 row_mask:0xf bank_mask:0xf
	v_cndmask_b32_e64 v226, v226, 0, s[30:31]
	v_add_u32_e32 v225, v226, v225
	s_nop 1
	v_mov_b32_dpp v226, v225 row_shr:2 row_mask:0xf bank_mask:0xf
	v_cndmask_b32_e64 v226, 0, v226, s[34:35]
	v_add_u32_e32 v225, v225, v226
	ds_write_b32 v101, v225 offset:1024
.LBB1255_1051:                          ;   in Loop: Header=BB1255_979 Depth=2
	s_or_b64 exec, exec, s[36:37]
	v_mov_b32_e32 v225, 0
	s_waitcnt lgkmcnt(0)
	s_barrier
	s_and_saveexec_b64 s[36:37], s[10:11]
; %bb.1052:                             ;   in Loop: Header=BB1255_979 Depth=2
	ds_read_b32 v225, v95 offset:1020
; %bb.1053:                             ;   in Loop: Header=BB1255_979 Depth=2
	s_or_b64 exec, exec, s[36:37]
	s_waitcnt lgkmcnt(0)
	v_add_u32_e32 v224, v225, v224
	ds_bpermute_b32 v224, v137, v224
	s_waitcnt lgkmcnt(0)
	v_cndmask_b32_e64 v224, v224, v225, s[28:29]
	v_cndmask_b32_e64 v224, v224, 0, s[12:13]
	v_add_u32_e32 v73, v224, v73
	v_add_u32_e32 v74, v73, v74
	;; [unrolled: 1-line block ×4, first 2 shown]
	ds_write2_b32 v177, v224, v73 offset1:1
	ds_write2_b32 v176, v74, v71 offset1:1
	ds_write_b32 v100, v72 offset:1056
	s_waitcnt lgkmcnt(0)
	s_barrier
	ds_read_b32 v71, v180 offset:1040
	ds_read_b32 v72, v183 offset:1040
	;; [unrolled: 1-line block ×17, first 2 shown]
	v_mov_b32_e32 v4, 0x1000
	s_and_saveexec_b64 s[36:37], s[14:15]
; %bb.1054:                             ;   in Loop: Header=BB1255_979 Depth=2
	ds_read_b32 v4, v100 offset:1060
; %bb.1055:                             ;   in Loop: Header=BB1255_979 Depth=2
	s_or_b64 exec, exec, s[36:37]
	s_waitcnt lgkmcnt(0)
	s_barrier
	s_and_saveexec_b64 s[36:37], s[4:5]
	s_cbranch_execz .LBB1255_1057
; %bb.1056:                             ;   in Loop: Header=BB1255_979 Depth=2
	ds_read_b32 v201, v75
	s_waitcnt lgkmcnt(0)
	v_sub_u32_e32 v198, v201, v198
	ds_write_b32 v75, v198
.LBB1255_1057:                          ;   in Loop: Header=BB1255_979 Depth=2
	s_or_b64 exec, exec, s[36:37]
	v_lshlrev_b32_e32 v178, 3, v178
	v_lshl_add_u32 v71, v71, 3, v178
	ds_write_b64 v71, v[39:40] offset:1024
	v_lshlrev_b32_e32 v39, 3, v181
	v_lshlrev_b32_e32 v40, 3, v179
	;; [unrolled: 1-line block ×3, first 2 shown]
	v_add3_u32 v72, v39, v40, v72
	ds_write_b64 v72, v[41:42] offset:1024
	v_lshlrev_b32_e32 v39, 3, v184
	v_lshlrev_b32_e32 v40, 3, v182
	v_lshlrev_b32_e32 v41, 3, v227
	v_add3_u32 v41, v39, v40, v41
	v_lshlrev_b32_e32 v39, 3, v187
	v_lshlrev_b32_e32 v40, 3, v185
	v_lshlrev_b32_e32 v42, 3, v226
	ds_write_b64 v41, v[47:48] offset:1024
	v_add3_u32 v42, v39, v40, v42
	v_lshlrev_b32_e32 v39, 3, v190
	v_lshlrev_b32_e32 v40, 3, v188
	v_lshlrev_b32_e32 v47, 3, v225
	v_add3_u32 v47, v39, v40, v47
	v_lshlrev_b32_e32 v39, 3, v193
	v_lshlrev_b32_e32 v40, 3, v191
	v_lshlrev_b32_e32 v48, 3, v224
	ds_write_b64 v42, v[51:52] offset:1024
	v_add3_u32 v48, v39, v40, v48
	v_lshlrev_b32_e32 v39, 3, v196
	v_lshlrev_b32_e32 v40, 3, v194
	v_lshlrev_b32_e32 v51, 3, v195
	v_add3_u32 v51, v39, v40, v51
	v_lshlrev_b32_e32 v39, 3, v199
	v_lshlrev_b32_e32 v40, 3, v197
	v_lshlrev_b32_e32 v52, 3, v192
	ds_write_b64 v47, v[55:56] offset:1024
	v_add3_u32 v52, v39, v40, v52
	v_lshlrev_b32_e32 v39, 3, v202
	v_lshlrev_b32_e32 v40, 3, v200
	v_lshlrev_b32_e32 v55, 3, v189
	v_add3_u32 v55, v39, v40, v55
	v_lshlrev_b32_e32 v39, 3, v205
	v_lshlrev_b32_e32 v40, 3, v203
	v_lshlrev_b32_e32 v56, 3, v186
	ds_write_b64 v48, v[59:60] offset:1024
	v_add3_u32 v56, v39, v40, v56
	v_lshlrev_b32_e32 v39, 3, v208
	v_lshlrev_b32_e32 v40, 3, v206
	;; [unrolled: 1-line block ×3, first 2 shown]
	v_add3_u32 v59, v39, v40, v59
	v_lshlrev_b32_e32 v39, 3, v211
	v_lshlrev_b32_e32 v40, 3, v209
	;; [unrolled: 1-line block ×3, first 2 shown]
	v_add3_u32 v60, v39, v40, v60
	ds_write_b64 v51, v[63:64] offset:1024
	ds_write_b64 v52, v[67:68] offset:1024
	ds_write_b64 v55, v[69:70] offset:1024
	ds_write_b64 v56, v[65:66] offset:1024
	ds_write_b64 v59, v[61:62] offset:1024
	ds_write_b64 v60, v[57:58] offset:1024
	v_lshlrev_b32_e32 v39, 3, v214
	v_lshlrev_b32_e32 v40, 3, v212
	v_lshlrev_b32_e32 v57, 3, v177
	v_add3_u32 v57, v39, v40, v57
	ds_write_b64 v57, v[53:54] offset:1024
	v_lshlrev_b32_e32 v39, 3, v217
	v_lshlrev_b32_e32 v40, 3, v215
	v_lshlrev_b32_e32 v53, 3, v176
	v_add3_u32 v53, v39, v40, v53
	ds_write_b64 v53, v[49:50] offset:1024
	;; [unrolled: 5-line block ×3, first 2 shown]
	v_lshlrev_b32_e32 v39, 3, v223
	v_lshlrev_b32_e32 v40, 3, v221
	;; [unrolled: 1-line block ×3, first 2 shown]
	v_add3_u32 v43, v39, v40, v43
	v_cmp_lt_u32_e64 s[36:37], v0, v175
	ds_write_b64 v43, v[45:46] offset:1024
	s_waitcnt lgkmcnt(0)
	s_barrier
	s_and_saveexec_b64 s[38:39], s[36:37]
	s_cbranch_execnz .LBB1255_1126
; %bb.1058:                             ;   in Loop: Header=BB1255_979 Depth=2
	s_or_b64 exec, exec, s[38:39]
	v_cmp_lt_u32_e64 s[38:39], v76, v175
	s_and_saveexec_b64 s[40:41], s[38:39]
	s_cbranch_execnz .LBB1255_1127
.LBB1255_1059:                          ;   in Loop: Header=BB1255_979 Depth=2
	s_or_b64 exec, exec, s[40:41]
	v_cmp_lt_u32_e64 s[40:41], v77, v175
	s_and_saveexec_b64 s[42:43], s[40:41]
	s_cbranch_execnz .LBB1255_1128
.LBB1255_1060:                          ;   in Loop: Header=BB1255_979 Depth=2
	s_or_b64 exec, exec, s[42:43]
	v_cmp_lt_u32_e64 s[42:43], v78, v175
	s_and_saveexec_b64 s[44:45], s[42:43]
	s_cbranch_execnz .LBB1255_1129
.LBB1255_1061:                          ;   in Loop: Header=BB1255_979 Depth=2
	s_or_b64 exec, exec, s[44:45]
	v_cmp_lt_u32_e64 s[44:45], v81, v175
	s_and_saveexec_b64 s[46:47], s[44:45]
	s_cbranch_execnz .LBB1255_1130
.LBB1255_1062:                          ;   in Loop: Header=BB1255_979 Depth=2
	s_or_b64 exec, exec, s[46:47]
	v_cmp_lt_u32_e64 s[46:47], v82, v175
	s_and_saveexec_b64 s[48:49], s[46:47]
	s_cbranch_execnz .LBB1255_1131
.LBB1255_1063:                          ;   in Loop: Header=BB1255_979 Depth=2
	s_or_b64 exec, exec, s[48:49]
	v_cmp_lt_u32_e64 s[48:49], v83, v175
	s_and_saveexec_b64 s[50:51], s[48:49]
	s_cbranch_execnz .LBB1255_1132
.LBB1255_1064:                          ;   in Loop: Header=BB1255_979 Depth=2
	s_or_b64 exec, exec, s[50:51]
	v_cmp_lt_u32_e64 s[50:51], v84, v175
	s_and_saveexec_b64 s[52:53], s[50:51]
	s_cbranch_execnz .LBB1255_1133
.LBB1255_1065:                          ;   in Loop: Header=BB1255_979 Depth=2
	s_or_b64 exec, exec, s[52:53]
	v_cmp_lt_u32_e64 s[52:53], v85, v175
	s_and_saveexec_b64 s[54:55], s[52:53]
	s_cbranch_execnz .LBB1255_1134
.LBB1255_1066:                          ;   in Loop: Header=BB1255_979 Depth=2
	s_or_b64 exec, exec, s[54:55]
	v_cmp_lt_u32_e64 s[54:55], v86, v175
	s_and_saveexec_b64 s[56:57], s[54:55]
	s_cbranch_execnz .LBB1255_1135
.LBB1255_1067:                          ;   in Loop: Header=BB1255_979 Depth=2
	s_or_b64 exec, exec, s[56:57]
	v_cmp_lt_u32_e64 s[56:57], v87, v175
	s_and_saveexec_b64 s[58:59], s[56:57]
	s_cbranch_execnz .LBB1255_1136
.LBB1255_1068:                          ;   in Loop: Header=BB1255_979 Depth=2
	s_or_b64 exec, exec, s[58:59]
	v_cmp_lt_u32_e64 s[58:59], v88, v175
	s_and_saveexec_b64 s[60:61], s[58:59]
	s_cbranch_execnz .LBB1255_1137
.LBB1255_1069:                          ;   in Loop: Header=BB1255_979 Depth=2
	s_or_b64 exec, exec, s[60:61]
	v_cmp_lt_u32_e64 s[60:61], v89, v175
	s_and_saveexec_b64 s[62:63], s[60:61]
	s_cbranch_execnz .LBB1255_1138
.LBB1255_1070:                          ;   in Loop: Header=BB1255_979 Depth=2
	s_or_b64 exec, exec, s[62:63]
	v_cmp_lt_u32_e64 s[62:63], v90, v175
	s_and_saveexec_b64 s[64:65], s[62:63]
	s_cbranch_execnz .LBB1255_1139
.LBB1255_1071:                          ;   in Loop: Header=BB1255_979 Depth=2
	s_or_b64 exec, exec, s[64:65]
	v_cmp_lt_u32_e64 s[64:65], v91, v175
	s_and_saveexec_b64 s[66:67], s[64:65]
	s_cbranch_execnz .LBB1255_1140
.LBB1255_1072:                          ;   in Loop: Header=BB1255_979 Depth=2
	s_or_b64 exec, exec, s[66:67]
	v_cmp_lt_u32_e64 s[66:67], v92, v175
	s_and_saveexec_b64 s[92:93], s[66:67]
	s_cbranch_execz .LBB1255_1074
.LBB1255_1073:                          ;   in Loop: Header=BB1255_979 Depth=2
	ds_read_b64 v[39:40], v106 offset:31744
	v_mov_b32_e32 v45, v3
	v_mov_b32_e32 v46, s81
	s_waitcnt lgkmcnt(0)
	v_cmp_ne_u64_e32 vcc, s[82:83], v[39:40]
	v_ashrrev_i32_e32 v54, 31, v40
	v_cndmask_b32_e32 v62, v135, v40, vcc
	v_cndmask_b32_e32 v61, 0, v39, vcc
	v_lshrrev_b64 v[61:62], s88, v[61:62]
	v_cmp_lt_i64_e32 vcc, -1, v[39:40]
	v_and_b32_e32 v50, s96, v61
	v_lshlrev_b32_e32 v50, 2, v50
	ds_read_b32 v50, v50
	v_cndmask_b32_e64 v44, v135, -1, vcc
	v_xor_b32_e32 v40, v44, v40
	v_not_b32_e32 v54, v54
	v_xor_b32_e32 v39, v54, v39
	s_waitcnt lgkmcnt(0)
	v_add_u32_e32 v44, v50, v92
	v_lshlrev_b64 v[44:45], 3, v[44:45]
	v_add_co_u32_e32 v44, vcc, s80, v44
	v_addc_co_u32_e32 v45, vcc, v46, v45, vcc
	global_store_dwordx2 v[44:45], v[39:40], off
.LBB1255_1074:                          ;   in Loop: Header=BB1255_979 Depth=2
	s_or_b64 exec, exec, s[92:93]
	s_lshl_b64 s[92:93], s[72:73], 3
	v_mov_b32_e32 v40, s93
	v_add_co_u32_e32 v39, vcc, s92, v147
	v_addc_co_u32_e32 v40, vcc, v149, v40, vcc
	v_cmp_lt_u32_e32 vcc, v145, v175
	s_and_saveexec_b64 s[92:93], vcc
	s_xor_b64 s[92:93], exec, s[92:93]
	s_cbranch_execnz .LBB1255_1141
; %bb.1075:                             ;   in Loop: Header=BB1255_979 Depth=2
	s_or_b64 exec, exec, s[92:93]
	v_cmp_lt_u32_e32 vcc, v151, v175
	s_and_saveexec_b64 s[92:93], vcc
	s_cbranch_execnz .LBB1255_1142
.LBB1255_1076:                          ;   in Loop: Header=BB1255_979 Depth=2
	s_or_b64 exec, exec, s[92:93]
	v_cmp_lt_u32_e32 vcc, v153, v175
	s_and_saveexec_b64 s[92:93], vcc
	s_cbranch_execnz .LBB1255_1143
.LBB1255_1077:                          ;   in Loop: Header=BB1255_979 Depth=2
	s_or_b64 exec, exec, s[92:93]
	v_cmp_lt_u32_e32 vcc, v155, v175
	s_and_saveexec_b64 s[92:93], vcc
	s_cbranch_execnz .LBB1255_1144
.LBB1255_1078:                          ;   in Loop: Header=BB1255_979 Depth=2
	s_or_b64 exec, exec, s[92:93]
	v_cmp_lt_u32_e32 vcc, v157, v175
	s_and_saveexec_b64 s[92:93], vcc
	s_cbranch_execnz .LBB1255_1145
.LBB1255_1079:                          ;   in Loop: Header=BB1255_979 Depth=2
	s_or_b64 exec, exec, s[92:93]
	v_cmp_lt_u32_e32 vcc, v159, v175
	s_and_saveexec_b64 s[92:93], vcc
	s_cbranch_execnz .LBB1255_1146
.LBB1255_1080:                          ;   in Loop: Header=BB1255_979 Depth=2
	s_or_b64 exec, exec, s[92:93]
	v_cmp_lt_u32_e32 vcc, v161, v175
	s_and_saveexec_b64 s[92:93], vcc
	s_cbranch_execnz .LBB1255_1147
.LBB1255_1081:                          ;   in Loop: Header=BB1255_979 Depth=2
	s_or_b64 exec, exec, s[92:93]
	v_cmp_lt_u32_e32 vcc, v163, v175
	s_and_saveexec_b64 s[92:93], vcc
	s_cbranch_execnz .LBB1255_1148
.LBB1255_1082:                          ;   in Loop: Header=BB1255_979 Depth=2
	s_or_b64 exec, exec, s[92:93]
	v_cmp_lt_u32_e32 vcc, v164, v175
	s_and_saveexec_b64 s[92:93], vcc
	s_cbranch_execnz .LBB1255_1149
.LBB1255_1083:                          ;   in Loop: Header=BB1255_979 Depth=2
	s_or_b64 exec, exec, s[92:93]
	v_cmp_lt_u32_e32 vcc, v165, v175
	s_and_saveexec_b64 s[92:93], vcc
	s_cbranch_execnz .LBB1255_1150
.LBB1255_1084:                          ;   in Loop: Header=BB1255_979 Depth=2
	s_or_b64 exec, exec, s[92:93]
	v_cmp_lt_u32_e32 vcc, v166, v175
	s_and_saveexec_b64 s[92:93], vcc
	s_cbranch_execnz .LBB1255_1151
.LBB1255_1085:                          ;   in Loop: Header=BB1255_979 Depth=2
	s_or_b64 exec, exec, s[92:93]
	v_cmp_lt_u32_e32 vcc, v167, v175
	s_and_saveexec_b64 s[92:93], vcc
	s_cbranch_execnz .LBB1255_1152
.LBB1255_1086:                          ;   in Loop: Header=BB1255_979 Depth=2
	s_or_b64 exec, exec, s[92:93]
	v_cmp_lt_u32_e32 vcc, v168, v175
	s_and_saveexec_b64 s[92:93], vcc
	s_cbranch_execnz .LBB1255_1153
.LBB1255_1087:                          ;   in Loop: Header=BB1255_979 Depth=2
	s_or_b64 exec, exec, s[92:93]
	v_cmp_lt_u32_e32 vcc, v169, v175
	s_and_saveexec_b64 s[92:93], vcc
	s_cbranch_execnz .LBB1255_1154
.LBB1255_1088:                          ;   in Loop: Header=BB1255_979 Depth=2
	s_or_b64 exec, exec, s[92:93]
	v_cmp_lt_u32_e32 vcc, v170, v175
	s_and_saveexec_b64 s[92:93], vcc
	s_cbranch_execnz .LBB1255_1155
.LBB1255_1089:                          ;   in Loop: Header=BB1255_979 Depth=2
	s_or_b64 exec, exec, s[92:93]
	v_cmp_lt_u32_e32 vcc, v171, v175
	s_and_saveexec_b64 s[92:93], vcc
	s_cbranch_execnz .LBB1255_1156
.LBB1255_1090:                          ;   in Loop: Header=BB1255_979 Depth=2
	s_or_b64 exec, exec, s[92:93]
	s_and_saveexec_b64 s[92:93], s[36:37]
	s_cbranch_execnz .LBB1255_1157
.LBB1255_1091:                          ;   in Loop: Header=BB1255_979 Depth=2
	s_or_b64 exec, exec, s[92:93]
	s_and_saveexec_b64 s[92:93], s[38:39]
	s_cbranch_execnz .LBB1255_1158
.LBB1255_1092:                          ;   in Loop: Header=BB1255_979 Depth=2
	s_or_b64 exec, exec, s[92:93]
	s_and_saveexec_b64 s[92:93], s[40:41]
	s_cbranch_execnz .LBB1255_1159
.LBB1255_1093:                          ;   in Loop: Header=BB1255_979 Depth=2
	s_or_b64 exec, exec, s[92:93]
	s_and_saveexec_b64 s[92:93], s[42:43]
	s_cbranch_execnz .LBB1255_1160
.LBB1255_1094:                          ;   in Loop: Header=BB1255_979 Depth=2
	s_or_b64 exec, exec, s[92:93]
	s_and_saveexec_b64 s[92:93], s[44:45]
	s_cbranch_execnz .LBB1255_1161
.LBB1255_1095:                          ;   in Loop: Header=BB1255_979 Depth=2
	s_or_b64 exec, exec, s[92:93]
	s_and_saveexec_b64 s[92:93], s[46:47]
	s_cbranch_execnz .LBB1255_1162
.LBB1255_1096:                          ;   in Loop: Header=BB1255_979 Depth=2
	s_or_b64 exec, exec, s[92:93]
	s_and_saveexec_b64 s[92:93], s[48:49]
	s_cbranch_execnz .LBB1255_1163
.LBB1255_1097:                          ;   in Loop: Header=BB1255_979 Depth=2
	s_or_b64 exec, exec, s[92:93]
	s_and_saveexec_b64 s[92:93], s[50:51]
	s_cbranch_execnz .LBB1255_1164
.LBB1255_1098:                          ;   in Loop: Header=BB1255_979 Depth=2
	s_or_b64 exec, exec, s[92:93]
	s_and_saveexec_b64 s[92:93], s[52:53]
	s_cbranch_execnz .LBB1255_1165
.LBB1255_1099:                          ;   in Loop: Header=BB1255_979 Depth=2
	s_or_b64 exec, exec, s[92:93]
	s_and_saveexec_b64 s[92:93], s[54:55]
	s_cbranch_execnz .LBB1255_1166
.LBB1255_1100:                          ;   in Loop: Header=BB1255_979 Depth=2
	s_or_b64 exec, exec, s[92:93]
	s_and_saveexec_b64 s[92:93], s[56:57]
	s_cbranch_execnz .LBB1255_1167
.LBB1255_1101:                          ;   in Loop: Header=BB1255_979 Depth=2
	s_or_b64 exec, exec, s[92:93]
	s_and_saveexec_b64 s[92:93], s[58:59]
	s_cbranch_execnz .LBB1255_1168
.LBB1255_1102:                          ;   in Loop: Header=BB1255_979 Depth=2
	s_or_b64 exec, exec, s[92:93]
	s_and_saveexec_b64 s[92:93], s[60:61]
	s_cbranch_execnz .LBB1255_1169
.LBB1255_1103:                          ;   in Loop: Header=BB1255_979 Depth=2
	s_or_b64 exec, exec, s[92:93]
	s_and_saveexec_b64 s[92:93], s[62:63]
	s_cbranch_execnz .LBB1255_1170
.LBB1255_1104:                          ;   in Loop: Header=BB1255_979 Depth=2
	s_or_b64 exec, exec, s[92:93]
	s_and_saveexec_b64 s[92:93], s[64:65]
	s_cbranch_execnz .LBB1255_1171
.LBB1255_1105:                          ;   in Loop: Header=BB1255_979 Depth=2
	s_or_b64 exec, exec, s[92:93]
	s_and_saveexec_b64 s[92:93], s[66:67]
	s_cbranch_execz .LBB1255_1107
.LBB1255_1106:                          ;   in Loop: Header=BB1255_979 Depth=2
	ds_read_b64 v[39:40], v106 offset:31744
	s_waitcnt lgkmcnt(0)
	v_cmp_ne_u64_e32 vcc, s[82:83], v[39:40]
	v_cndmask_b32_e32 v40, v135, v40, vcc
	v_cndmask_b32_e32 v39, 0, v39, vcc
	v_lshrrev_b64 v[39:40], s88, v[39:40]
	v_and_b32_e32 v138, s96, v39
.LBB1255_1107:                          ;   in Loop: Header=BB1255_979 Depth=2
	s_or_b64 exec, exec, s[92:93]
	s_waitcnt vmcnt(0)
	s_barrier
	ds_write_b64 v71, v[37:38] offset:1024
	ds_write_b64 v72, v[35:36] offset:1024
	ds_write_b64 v41, v[33:34] offset:1024
	ds_write_b64 v42, v[29:30] offset:1024
	ds_write_b64 v47, v[25:26] offset:1024
	ds_write_b64 v48, v[21:22] offset:1024
	ds_write_b64 v51, v[17:18] offset:1024
	ds_write_b64 v52, v[13:14] offset:1024
	ds_write_b64 v55, v[31:32] offset:1024
	ds_write_b64 v56, v[27:28] offset:1024
	ds_write_b64 v59, v[23:24] offset:1024
	ds_write_b64 v60, v[19:20] offset:1024
	ds_write_b64 v57, v[15:16] offset:1024
	ds_write_b64 v53, v[11:12] offset:1024
	ds_write_b64 v49, v[9:10] offset:1024
	ds_write_b64 v43, v[7:8] offset:1024
	s_waitcnt lgkmcnt(0)
	s_barrier
	s_and_saveexec_b64 s[92:93], s[36:37]
	s_cbranch_execnz .LBB1255_1172
; %bb.1108:                             ;   in Loop: Header=BB1255_979 Depth=2
	s_or_b64 exec, exec, s[92:93]
	s_and_saveexec_b64 s[36:37], s[38:39]
	s_cbranch_execnz .LBB1255_1173
.LBB1255_1109:                          ;   in Loop: Header=BB1255_979 Depth=2
	s_or_b64 exec, exec, s[36:37]
	s_and_saveexec_b64 s[36:37], s[40:41]
	s_cbranch_execnz .LBB1255_1174
.LBB1255_1110:                          ;   in Loop: Header=BB1255_979 Depth=2
	s_or_b64 exec, exec, s[36:37]
	s_and_saveexec_b64 s[36:37], s[42:43]
	s_cbranch_execnz .LBB1255_1175
.LBB1255_1111:                          ;   in Loop: Header=BB1255_979 Depth=2
	s_or_b64 exec, exec, s[36:37]
	s_and_saveexec_b64 s[36:37], s[44:45]
	s_cbranch_execnz .LBB1255_1176
.LBB1255_1112:                          ;   in Loop: Header=BB1255_979 Depth=2
	s_or_b64 exec, exec, s[36:37]
	s_and_saveexec_b64 s[36:37], s[46:47]
	s_cbranch_execnz .LBB1255_1177
.LBB1255_1113:                          ;   in Loop: Header=BB1255_979 Depth=2
	s_or_b64 exec, exec, s[36:37]
	s_and_saveexec_b64 s[36:37], s[48:49]
	s_cbranch_execnz .LBB1255_1178
.LBB1255_1114:                          ;   in Loop: Header=BB1255_979 Depth=2
	s_or_b64 exec, exec, s[36:37]
	s_and_saveexec_b64 s[36:37], s[50:51]
	s_cbranch_execnz .LBB1255_1179
.LBB1255_1115:                          ;   in Loop: Header=BB1255_979 Depth=2
	s_or_b64 exec, exec, s[36:37]
	s_and_saveexec_b64 s[36:37], s[52:53]
	s_cbranch_execnz .LBB1255_1180
.LBB1255_1116:                          ;   in Loop: Header=BB1255_979 Depth=2
	s_or_b64 exec, exec, s[36:37]
	s_and_saveexec_b64 s[36:37], s[54:55]
	s_cbranch_execnz .LBB1255_1181
.LBB1255_1117:                          ;   in Loop: Header=BB1255_979 Depth=2
	s_or_b64 exec, exec, s[36:37]
	s_and_saveexec_b64 s[36:37], s[56:57]
	s_cbranch_execnz .LBB1255_1182
.LBB1255_1118:                          ;   in Loop: Header=BB1255_979 Depth=2
	s_or_b64 exec, exec, s[36:37]
	s_and_saveexec_b64 s[36:37], s[58:59]
	s_cbranch_execnz .LBB1255_1183
.LBB1255_1119:                          ;   in Loop: Header=BB1255_979 Depth=2
	s_or_b64 exec, exec, s[36:37]
	s_and_saveexec_b64 s[36:37], s[60:61]
	s_cbranch_execnz .LBB1255_1184
.LBB1255_1120:                          ;   in Loop: Header=BB1255_979 Depth=2
	s_or_b64 exec, exec, s[36:37]
	s_and_saveexec_b64 s[36:37], s[62:63]
	s_cbranch_execnz .LBB1255_1185
.LBB1255_1121:                          ;   in Loop: Header=BB1255_979 Depth=2
	s_or_b64 exec, exec, s[36:37]
	s_and_saveexec_b64 s[36:37], s[64:65]
	s_cbranch_execnz .LBB1255_1186
.LBB1255_1122:                          ;   in Loop: Header=BB1255_979 Depth=2
	s_or_b64 exec, exec, s[36:37]
	s_and_saveexec_b64 s[36:37], s[66:67]
	s_cbranch_execz .LBB1255_1124
.LBB1255_1123:                          ;   in Loop: Header=BB1255_979 Depth=2
	v_lshlrev_b32_e32 v39, 2, v138
	ds_read_b32 v41, v39
	ds_read_b64 v[39:40], v106 offset:31744
	v_mov_b32_e32 v42, v3
	v_mov_b32_e32 v43, s87
	s_waitcnt lgkmcnt(1)
	v_add_u32_e32 v41, v41, v92
	v_lshlrev_b64 v[41:42], 3, v[41:42]
	v_add_co_u32_e32 v41, vcc, s86, v41
	v_addc_co_u32_e32 v42, vcc, v43, v42, vcc
	s_waitcnt lgkmcnt(0)
	global_store_dwordx2 v[41:42], v[39:40], off
.LBB1255_1124:                          ;   in Loop: Header=BB1255_979 Depth=2
	s_or_b64 exec, exec, s[36:37]
	s_waitcnt vmcnt(0)
	s_barrier
	s_and_saveexec_b64 s[36:37], s[4:5]
	s_cbranch_execz .LBB1255_978
; %bb.1125:                             ;   in Loop: Header=BB1255_979 Depth=2
	ds_read_b32 v39, v75
	s_waitcnt lgkmcnt(0)
	v_add_u32_e32 v4, v39, v4
	ds_write_b32 v75, v4
	s_branch .LBB1255_978
.LBB1255_1126:                          ;   in Loop: Header=BB1255_979 Depth=2
	ds_read_b64 v[39:40], v106 offset:1024
	v_mov_b32_e32 v45, v3
	v_mov_b32_e32 v46, s81
	s_waitcnt lgkmcnt(0)
	v_cmp_ne_u64_e32 vcc, s[82:83], v[39:40]
	v_ashrrev_i32_e32 v54, 31, v40
	v_cndmask_b32_e32 v62, v135, v40, vcc
	v_cndmask_b32_e32 v61, 0, v39, vcc
	v_lshrrev_b64 v[61:62], s88, v[61:62]
	v_cmp_lt_i64_e32 vcc, -1, v[39:40]
	v_and_b32_e32 v50, s96, v61
	v_lshlrev_b32_e32 v50, 2, v50
	ds_read_b32 v50, v50
	v_cndmask_b32_e64 v44, v135, -1, vcc
	v_xor_b32_e32 v40, v44, v40
	v_not_b32_e32 v54, v54
	v_xor_b32_e32 v39, v54, v39
	s_waitcnt lgkmcnt(0)
	v_add_u32_e32 v44, v50, v0
	v_lshlrev_b64 v[44:45], 3, v[44:45]
	v_add_co_u32_e32 v44, vcc, s80, v44
	v_addc_co_u32_e32 v45, vcc, v46, v45, vcc
	global_store_dwordx2 v[44:45], v[39:40], off
	s_or_b64 exec, exec, s[38:39]
	v_cmp_lt_u32_e64 s[38:39], v76, v175
	s_and_saveexec_b64 s[40:41], s[38:39]
	s_cbranch_execz .LBB1255_1059
.LBB1255_1127:                          ;   in Loop: Header=BB1255_979 Depth=2
	ds_read_b64 v[39:40], v106 offset:3072
	v_mov_b32_e32 v45, v3
	v_mov_b32_e32 v46, s81
	s_waitcnt lgkmcnt(0)
	v_cmp_ne_u64_e32 vcc, s[82:83], v[39:40]
	v_ashrrev_i32_e32 v54, 31, v40
	v_cndmask_b32_e32 v62, v135, v40, vcc
	v_cndmask_b32_e32 v61, 0, v39, vcc
	v_lshrrev_b64 v[61:62], s88, v[61:62]
	v_cmp_lt_i64_e32 vcc, -1, v[39:40]
	v_and_b32_e32 v50, s96, v61
	v_lshlrev_b32_e32 v50, 2, v50
	ds_read_b32 v50, v50
	v_cndmask_b32_e64 v44, v135, -1, vcc
	v_xor_b32_e32 v40, v44, v40
	v_not_b32_e32 v54, v54
	v_xor_b32_e32 v39, v54, v39
	s_waitcnt lgkmcnt(0)
	v_add_u32_e32 v44, v50, v76
	v_lshlrev_b64 v[44:45], 3, v[44:45]
	v_add_co_u32_e32 v44, vcc, s80, v44
	v_addc_co_u32_e32 v45, vcc, v46, v45, vcc
	global_store_dwordx2 v[44:45], v[39:40], off
	s_or_b64 exec, exec, s[40:41]
	v_cmp_lt_u32_e64 s[40:41], v77, v175
	s_and_saveexec_b64 s[42:43], s[40:41]
	s_cbranch_execz .LBB1255_1060
.LBB1255_1128:                          ;   in Loop: Header=BB1255_979 Depth=2
	ds_read_b64 v[39:40], v106 offset:5120
	v_mov_b32_e32 v45, v3
	v_mov_b32_e32 v46, s81
	s_waitcnt lgkmcnt(0)
	v_cmp_ne_u64_e32 vcc, s[82:83], v[39:40]
	v_ashrrev_i32_e32 v54, 31, v40
	v_cndmask_b32_e32 v62, v135, v40, vcc
	v_cndmask_b32_e32 v61, 0, v39, vcc
	v_lshrrev_b64 v[61:62], s88, v[61:62]
	v_cmp_lt_i64_e32 vcc, -1, v[39:40]
	v_and_b32_e32 v50, s96, v61
	v_lshlrev_b32_e32 v50, 2, v50
	ds_read_b32 v50, v50
	v_cndmask_b32_e64 v44, v135, -1, vcc
	v_xor_b32_e32 v40, v44, v40
	v_not_b32_e32 v54, v54
	v_xor_b32_e32 v39, v54, v39
	s_waitcnt lgkmcnt(0)
	v_add_u32_e32 v44, v50, v77
	v_lshlrev_b64 v[44:45], 3, v[44:45]
	v_add_co_u32_e32 v44, vcc, s80, v44
	v_addc_co_u32_e32 v45, vcc, v46, v45, vcc
	global_store_dwordx2 v[44:45], v[39:40], off
	s_or_b64 exec, exec, s[42:43]
	v_cmp_lt_u32_e64 s[42:43], v78, v175
	s_and_saveexec_b64 s[44:45], s[42:43]
	s_cbranch_execz .LBB1255_1061
.LBB1255_1129:                          ;   in Loop: Header=BB1255_979 Depth=2
	ds_read_b64 v[39:40], v106 offset:7168
	v_mov_b32_e32 v45, v3
	v_mov_b32_e32 v46, s81
	s_waitcnt lgkmcnt(0)
	v_cmp_ne_u64_e32 vcc, s[82:83], v[39:40]
	v_ashrrev_i32_e32 v54, 31, v40
	v_cndmask_b32_e32 v62, v135, v40, vcc
	v_cndmask_b32_e32 v61, 0, v39, vcc
	v_lshrrev_b64 v[61:62], s88, v[61:62]
	v_cmp_lt_i64_e32 vcc, -1, v[39:40]
	v_and_b32_e32 v50, s96, v61
	v_lshlrev_b32_e32 v50, 2, v50
	ds_read_b32 v50, v50
	v_cndmask_b32_e64 v44, v135, -1, vcc
	v_xor_b32_e32 v40, v44, v40
	v_not_b32_e32 v54, v54
	v_xor_b32_e32 v39, v54, v39
	s_waitcnt lgkmcnt(0)
	v_add_u32_e32 v44, v50, v78
	v_lshlrev_b64 v[44:45], 3, v[44:45]
	v_add_co_u32_e32 v44, vcc, s80, v44
	v_addc_co_u32_e32 v45, vcc, v46, v45, vcc
	global_store_dwordx2 v[44:45], v[39:40], off
	s_or_b64 exec, exec, s[44:45]
	v_cmp_lt_u32_e64 s[44:45], v81, v175
	s_and_saveexec_b64 s[46:47], s[44:45]
	s_cbranch_execz .LBB1255_1062
.LBB1255_1130:                          ;   in Loop: Header=BB1255_979 Depth=2
	ds_read_b64 v[39:40], v106 offset:9216
	v_mov_b32_e32 v45, v3
	v_mov_b32_e32 v46, s81
	s_waitcnt lgkmcnt(0)
	v_cmp_ne_u64_e32 vcc, s[82:83], v[39:40]
	v_ashrrev_i32_e32 v54, 31, v40
	v_cndmask_b32_e32 v62, v135, v40, vcc
	v_cndmask_b32_e32 v61, 0, v39, vcc
	v_lshrrev_b64 v[61:62], s88, v[61:62]
	v_cmp_lt_i64_e32 vcc, -1, v[39:40]
	v_and_b32_e32 v50, s96, v61
	v_lshlrev_b32_e32 v50, 2, v50
	ds_read_b32 v50, v50
	v_cndmask_b32_e64 v44, v135, -1, vcc
	v_xor_b32_e32 v40, v44, v40
	v_not_b32_e32 v54, v54
	v_xor_b32_e32 v39, v54, v39
	s_waitcnt lgkmcnt(0)
	v_add_u32_e32 v44, v50, v81
	v_lshlrev_b64 v[44:45], 3, v[44:45]
	v_add_co_u32_e32 v44, vcc, s80, v44
	v_addc_co_u32_e32 v45, vcc, v46, v45, vcc
	global_store_dwordx2 v[44:45], v[39:40], off
	s_or_b64 exec, exec, s[46:47]
	v_cmp_lt_u32_e64 s[46:47], v82, v175
	s_and_saveexec_b64 s[48:49], s[46:47]
	s_cbranch_execz .LBB1255_1063
.LBB1255_1131:                          ;   in Loop: Header=BB1255_979 Depth=2
	ds_read_b64 v[39:40], v106 offset:11264
	v_mov_b32_e32 v45, v3
	v_mov_b32_e32 v46, s81
	s_waitcnt lgkmcnt(0)
	v_cmp_ne_u64_e32 vcc, s[82:83], v[39:40]
	v_ashrrev_i32_e32 v54, 31, v40
	v_cndmask_b32_e32 v62, v135, v40, vcc
	v_cndmask_b32_e32 v61, 0, v39, vcc
	v_lshrrev_b64 v[61:62], s88, v[61:62]
	v_cmp_lt_i64_e32 vcc, -1, v[39:40]
	v_and_b32_e32 v50, s96, v61
	v_lshlrev_b32_e32 v50, 2, v50
	ds_read_b32 v50, v50
	v_cndmask_b32_e64 v44, v135, -1, vcc
	v_xor_b32_e32 v40, v44, v40
	v_not_b32_e32 v54, v54
	v_xor_b32_e32 v39, v54, v39
	s_waitcnt lgkmcnt(0)
	v_add_u32_e32 v44, v50, v82
	v_lshlrev_b64 v[44:45], 3, v[44:45]
	v_add_co_u32_e32 v44, vcc, s80, v44
	v_addc_co_u32_e32 v45, vcc, v46, v45, vcc
	global_store_dwordx2 v[44:45], v[39:40], off
	s_or_b64 exec, exec, s[48:49]
	v_cmp_lt_u32_e64 s[48:49], v83, v175
	s_and_saveexec_b64 s[50:51], s[48:49]
	s_cbranch_execz .LBB1255_1064
.LBB1255_1132:                          ;   in Loop: Header=BB1255_979 Depth=2
	ds_read_b64 v[39:40], v106 offset:13312
	v_mov_b32_e32 v45, v3
	v_mov_b32_e32 v46, s81
	s_waitcnt lgkmcnt(0)
	v_cmp_ne_u64_e32 vcc, s[82:83], v[39:40]
	v_ashrrev_i32_e32 v54, 31, v40
	v_cndmask_b32_e32 v62, v135, v40, vcc
	v_cndmask_b32_e32 v61, 0, v39, vcc
	v_lshrrev_b64 v[61:62], s88, v[61:62]
	v_cmp_lt_i64_e32 vcc, -1, v[39:40]
	v_and_b32_e32 v50, s96, v61
	v_lshlrev_b32_e32 v50, 2, v50
	ds_read_b32 v50, v50
	v_cndmask_b32_e64 v44, v135, -1, vcc
	v_xor_b32_e32 v40, v44, v40
	v_not_b32_e32 v54, v54
	v_xor_b32_e32 v39, v54, v39
	s_waitcnt lgkmcnt(0)
	v_add_u32_e32 v44, v50, v83
	v_lshlrev_b64 v[44:45], 3, v[44:45]
	v_add_co_u32_e32 v44, vcc, s80, v44
	v_addc_co_u32_e32 v45, vcc, v46, v45, vcc
	global_store_dwordx2 v[44:45], v[39:40], off
	s_or_b64 exec, exec, s[50:51]
	v_cmp_lt_u32_e64 s[50:51], v84, v175
	s_and_saveexec_b64 s[52:53], s[50:51]
	s_cbranch_execz .LBB1255_1065
.LBB1255_1133:                          ;   in Loop: Header=BB1255_979 Depth=2
	ds_read_b64 v[39:40], v106 offset:15360
	v_mov_b32_e32 v45, v3
	v_mov_b32_e32 v46, s81
	s_waitcnt lgkmcnt(0)
	v_cmp_ne_u64_e32 vcc, s[82:83], v[39:40]
	v_ashrrev_i32_e32 v54, 31, v40
	v_cndmask_b32_e32 v62, v135, v40, vcc
	v_cndmask_b32_e32 v61, 0, v39, vcc
	v_lshrrev_b64 v[61:62], s88, v[61:62]
	v_cmp_lt_i64_e32 vcc, -1, v[39:40]
	v_and_b32_e32 v50, s96, v61
	v_lshlrev_b32_e32 v50, 2, v50
	ds_read_b32 v50, v50
	v_cndmask_b32_e64 v44, v135, -1, vcc
	v_xor_b32_e32 v40, v44, v40
	v_not_b32_e32 v54, v54
	v_xor_b32_e32 v39, v54, v39
	s_waitcnt lgkmcnt(0)
	v_add_u32_e32 v44, v50, v84
	v_lshlrev_b64 v[44:45], 3, v[44:45]
	v_add_co_u32_e32 v44, vcc, s80, v44
	v_addc_co_u32_e32 v45, vcc, v46, v45, vcc
	global_store_dwordx2 v[44:45], v[39:40], off
	s_or_b64 exec, exec, s[52:53]
	v_cmp_lt_u32_e64 s[52:53], v85, v175
	s_and_saveexec_b64 s[54:55], s[52:53]
	s_cbranch_execz .LBB1255_1066
.LBB1255_1134:                          ;   in Loop: Header=BB1255_979 Depth=2
	ds_read_b64 v[39:40], v106 offset:17408
	v_mov_b32_e32 v45, v3
	v_mov_b32_e32 v46, s81
	s_waitcnt lgkmcnt(0)
	v_cmp_ne_u64_e32 vcc, s[82:83], v[39:40]
	v_ashrrev_i32_e32 v54, 31, v40
	v_cndmask_b32_e32 v62, v135, v40, vcc
	v_cndmask_b32_e32 v61, 0, v39, vcc
	v_lshrrev_b64 v[61:62], s88, v[61:62]
	v_cmp_lt_i64_e32 vcc, -1, v[39:40]
	v_and_b32_e32 v50, s96, v61
	v_lshlrev_b32_e32 v50, 2, v50
	ds_read_b32 v50, v50
	v_cndmask_b32_e64 v44, v135, -1, vcc
	v_xor_b32_e32 v40, v44, v40
	v_not_b32_e32 v54, v54
	v_xor_b32_e32 v39, v54, v39
	s_waitcnt lgkmcnt(0)
	v_add_u32_e32 v44, v50, v85
	v_lshlrev_b64 v[44:45], 3, v[44:45]
	v_add_co_u32_e32 v44, vcc, s80, v44
	v_addc_co_u32_e32 v45, vcc, v46, v45, vcc
	global_store_dwordx2 v[44:45], v[39:40], off
	s_or_b64 exec, exec, s[54:55]
	v_cmp_lt_u32_e64 s[54:55], v86, v175
	s_and_saveexec_b64 s[56:57], s[54:55]
	s_cbranch_execz .LBB1255_1067
.LBB1255_1135:                          ;   in Loop: Header=BB1255_979 Depth=2
	ds_read_b64 v[39:40], v106 offset:19456
	v_mov_b32_e32 v45, v3
	v_mov_b32_e32 v46, s81
	s_waitcnt lgkmcnt(0)
	v_cmp_ne_u64_e32 vcc, s[82:83], v[39:40]
	v_ashrrev_i32_e32 v54, 31, v40
	v_cndmask_b32_e32 v62, v135, v40, vcc
	v_cndmask_b32_e32 v61, 0, v39, vcc
	v_lshrrev_b64 v[61:62], s88, v[61:62]
	v_cmp_lt_i64_e32 vcc, -1, v[39:40]
	v_and_b32_e32 v50, s96, v61
	v_lshlrev_b32_e32 v50, 2, v50
	ds_read_b32 v50, v50
	v_cndmask_b32_e64 v44, v135, -1, vcc
	v_xor_b32_e32 v40, v44, v40
	v_not_b32_e32 v54, v54
	v_xor_b32_e32 v39, v54, v39
	s_waitcnt lgkmcnt(0)
	v_add_u32_e32 v44, v50, v86
	v_lshlrev_b64 v[44:45], 3, v[44:45]
	v_add_co_u32_e32 v44, vcc, s80, v44
	v_addc_co_u32_e32 v45, vcc, v46, v45, vcc
	global_store_dwordx2 v[44:45], v[39:40], off
	s_or_b64 exec, exec, s[56:57]
	v_cmp_lt_u32_e64 s[56:57], v87, v175
	s_and_saveexec_b64 s[58:59], s[56:57]
	s_cbranch_execz .LBB1255_1068
.LBB1255_1136:                          ;   in Loop: Header=BB1255_979 Depth=2
	ds_read_b64 v[39:40], v106 offset:21504
	v_mov_b32_e32 v45, v3
	v_mov_b32_e32 v46, s81
	s_waitcnt lgkmcnt(0)
	v_cmp_ne_u64_e32 vcc, s[82:83], v[39:40]
	v_ashrrev_i32_e32 v54, 31, v40
	v_cndmask_b32_e32 v62, v135, v40, vcc
	v_cndmask_b32_e32 v61, 0, v39, vcc
	v_lshrrev_b64 v[61:62], s88, v[61:62]
	v_cmp_lt_i64_e32 vcc, -1, v[39:40]
	v_and_b32_e32 v50, s96, v61
	v_lshlrev_b32_e32 v50, 2, v50
	ds_read_b32 v50, v50
	v_cndmask_b32_e64 v44, v135, -1, vcc
	v_xor_b32_e32 v40, v44, v40
	v_not_b32_e32 v54, v54
	v_xor_b32_e32 v39, v54, v39
	s_waitcnt lgkmcnt(0)
	v_add_u32_e32 v44, v50, v87
	v_lshlrev_b64 v[44:45], 3, v[44:45]
	v_add_co_u32_e32 v44, vcc, s80, v44
	v_addc_co_u32_e32 v45, vcc, v46, v45, vcc
	global_store_dwordx2 v[44:45], v[39:40], off
	s_or_b64 exec, exec, s[58:59]
	v_cmp_lt_u32_e64 s[58:59], v88, v175
	s_and_saveexec_b64 s[60:61], s[58:59]
	s_cbranch_execz .LBB1255_1069
.LBB1255_1137:                          ;   in Loop: Header=BB1255_979 Depth=2
	ds_read_b64 v[39:40], v106 offset:23552
	v_mov_b32_e32 v45, v3
	v_mov_b32_e32 v46, s81
	s_waitcnt lgkmcnt(0)
	v_cmp_ne_u64_e32 vcc, s[82:83], v[39:40]
	v_ashrrev_i32_e32 v54, 31, v40
	v_cndmask_b32_e32 v62, v135, v40, vcc
	v_cndmask_b32_e32 v61, 0, v39, vcc
	v_lshrrev_b64 v[61:62], s88, v[61:62]
	v_cmp_lt_i64_e32 vcc, -1, v[39:40]
	v_and_b32_e32 v50, s96, v61
	v_lshlrev_b32_e32 v50, 2, v50
	ds_read_b32 v50, v50
	v_cndmask_b32_e64 v44, v135, -1, vcc
	v_xor_b32_e32 v40, v44, v40
	v_not_b32_e32 v54, v54
	v_xor_b32_e32 v39, v54, v39
	s_waitcnt lgkmcnt(0)
	v_add_u32_e32 v44, v50, v88
	v_lshlrev_b64 v[44:45], 3, v[44:45]
	v_add_co_u32_e32 v44, vcc, s80, v44
	v_addc_co_u32_e32 v45, vcc, v46, v45, vcc
	global_store_dwordx2 v[44:45], v[39:40], off
	s_or_b64 exec, exec, s[60:61]
	v_cmp_lt_u32_e64 s[60:61], v89, v175
	s_and_saveexec_b64 s[62:63], s[60:61]
	s_cbranch_execz .LBB1255_1070
.LBB1255_1138:                          ;   in Loop: Header=BB1255_979 Depth=2
	ds_read_b64 v[39:40], v106 offset:25600
	v_mov_b32_e32 v45, v3
	v_mov_b32_e32 v46, s81
	s_waitcnt lgkmcnt(0)
	v_cmp_ne_u64_e32 vcc, s[82:83], v[39:40]
	v_ashrrev_i32_e32 v54, 31, v40
	v_cndmask_b32_e32 v62, v135, v40, vcc
	v_cndmask_b32_e32 v61, 0, v39, vcc
	v_lshrrev_b64 v[61:62], s88, v[61:62]
	v_cmp_lt_i64_e32 vcc, -1, v[39:40]
	v_and_b32_e32 v50, s96, v61
	v_lshlrev_b32_e32 v50, 2, v50
	ds_read_b32 v50, v50
	v_cndmask_b32_e64 v44, v135, -1, vcc
	v_xor_b32_e32 v40, v44, v40
	v_not_b32_e32 v54, v54
	v_xor_b32_e32 v39, v54, v39
	s_waitcnt lgkmcnt(0)
	v_add_u32_e32 v44, v50, v89
	v_lshlrev_b64 v[44:45], 3, v[44:45]
	v_add_co_u32_e32 v44, vcc, s80, v44
	v_addc_co_u32_e32 v45, vcc, v46, v45, vcc
	global_store_dwordx2 v[44:45], v[39:40], off
	s_or_b64 exec, exec, s[62:63]
	v_cmp_lt_u32_e64 s[62:63], v90, v175
	s_and_saveexec_b64 s[64:65], s[62:63]
	s_cbranch_execz .LBB1255_1071
.LBB1255_1139:                          ;   in Loop: Header=BB1255_979 Depth=2
	ds_read_b64 v[39:40], v106 offset:27648
	v_mov_b32_e32 v45, v3
	v_mov_b32_e32 v46, s81
	s_waitcnt lgkmcnt(0)
	v_cmp_ne_u64_e32 vcc, s[82:83], v[39:40]
	v_ashrrev_i32_e32 v54, 31, v40
	v_cndmask_b32_e32 v62, v135, v40, vcc
	v_cndmask_b32_e32 v61, 0, v39, vcc
	v_lshrrev_b64 v[61:62], s88, v[61:62]
	v_cmp_lt_i64_e32 vcc, -1, v[39:40]
	v_and_b32_e32 v50, s96, v61
	v_lshlrev_b32_e32 v50, 2, v50
	ds_read_b32 v50, v50
	v_cndmask_b32_e64 v44, v135, -1, vcc
	v_xor_b32_e32 v40, v44, v40
	v_not_b32_e32 v54, v54
	v_xor_b32_e32 v39, v54, v39
	s_waitcnt lgkmcnt(0)
	v_add_u32_e32 v44, v50, v90
	v_lshlrev_b64 v[44:45], 3, v[44:45]
	v_add_co_u32_e32 v44, vcc, s80, v44
	v_addc_co_u32_e32 v45, vcc, v46, v45, vcc
	global_store_dwordx2 v[44:45], v[39:40], off
	s_or_b64 exec, exec, s[64:65]
	v_cmp_lt_u32_e64 s[64:65], v91, v175
	s_and_saveexec_b64 s[66:67], s[64:65]
	s_cbranch_execz .LBB1255_1072
.LBB1255_1140:                          ;   in Loop: Header=BB1255_979 Depth=2
	ds_read_b64 v[39:40], v106 offset:29696
	v_mov_b32_e32 v45, v3
	v_mov_b32_e32 v46, s81
	s_waitcnt lgkmcnt(0)
	v_cmp_ne_u64_e32 vcc, s[82:83], v[39:40]
	v_ashrrev_i32_e32 v54, 31, v40
	v_cndmask_b32_e32 v62, v135, v40, vcc
	v_cndmask_b32_e32 v61, 0, v39, vcc
	v_lshrrev_b64 v[61:62], s88, v[61:62]
	v_cmp_lt_i64_e32 vcc, -1, v[39:40]
	v_and_b32_e32 v50, s96, v61
	v_lshlrev_b32_e32 v50, 2, v50
	ds_read_b32 v50, v50
	v_cndmask_b32_e64 v44, v135, -1, vcc
	v_xor_b32_e32 v40, v44, v40
	v_not_b32_e32 v54, v54
	v_xor_b32_e32 v39, v54, v39
	s_waitcnt lgkmcnt(0)
	v_add_u32_e32 v44, v50, v91
	v_lshlrev_b64 v[44:45], 3, v[44:45]
	v_add_co_u32_e32 v44, vcc, s80, v44
	v_addc_co_u32_e32 v45, vcc, v46, v45, vcc
	global_store_dwordx2 v[44:45], v[39:40], off
	s_or_b64 exec, exec, s[66:67]
	v_cmp_lt_u32_e64 s[66:67], v92, v175
	s_and_saveexec_b64 s[92:93], s[66:67]
	s_cbranch_execnz .LBB1255_1073
	s_branch .LBB1255_1074
.LBB1255_1141:                          ;   in Loop: Header=BB1255_979 Depth=2
	global_load_dwordx2 v[37:38], v[39:40], off
	s_or_b64 exec, exec, s[92:93]
	v_cmp_lt_u32_e32 vcc, v151, v175
	s_and_saveexec_b64 s[92:93], vcc
	s_cbranch_execz .LBB1255_1076
.LBB1255_1142:                          ;   in Loop: Header=BB1255_979 Depth=2
	global_load_dwordx2 v[35:36], v[39:40], off offset:512
	s_or_b64 exec, exec, s[92:93]
	v_cmp_lt_u32_e32 vcc, v153, v175
	s_and_saveexec_b64 s[92:93], vcc
	s_cbranch_execz .LBB1255_1077
.LBB1255_1143:                          ;   in Loop: Header=BB1255_979 Depth=2
	global_load_dwordx2 v[33:34], v[39:40], off offset:1024
	s_or_b64 exec, exec, s[92:93]
	v_cmp_lt_u32_e32 vcc, v155, v175
	s_and_saveexec_b64 s[92:93], vcc
	s_cbranch_execz .LBB1255_1078
.LBB1255_1144:                          ;   in Loop: Header=BB1255_979 Depth=2
	global_load_dwordx2 v[29:30], v[39:40], off offset:1536
	s_or_b64 exec, exec, s[92:93]
	v_cmp_lt_u32_e32 vcc, v157, v175
	s_and_saveexec_b64 s[92:93], vcc
	s_cbranch_execz .LBB1255_1079
.LBB1255_1145:                          ;   in Loop: Header=BB1255_979 Depth=2
	global_load_dwordx2 v[25:26], v[39:40], off offset:2048
	s_or_b64 exec, exec, s[92:93]
	v_cmp_lt_u32_e32 vcc, v159, v175
	s_and_saveexec_b64 s[92:93], vcc
	s_cbranch_execz .LBB1255_1080
.LBB1255_1146:                          ;   in Loop: Header=BB1255_979 Depth=2
	global_load_dwordx2 v[21:22], v[39:40], off offset:2560
	s_or_b64 exec, exec, s[92:93]
	v_cmp_lt_u32_e32 vcc, v161, v175
	s_and_saveexec_b64 s[92:93], vcc
	s_cbranch_execz .LBB1255_1081
.LBB1255_1147:                          ;   in Loop: Header=BB1255_979 Depth=2
	global_load_dwordx2 v[17:18], v[39:40], off offset:3072
	s_or_b64 exec, exec, s[92:93]
	v_cmp_lt_u32_e32 vcc, v163, v175
	s_and_saveexec_b64 s[92:93], vcc
	s_cbranch_execz .LBB1255_1082
.LBB1255_1148:                          ;   in Loop: Header=BB1255_979 Depth=2
	global_load_dwordx2 v[13:14], v[39:40], off offset:3584
	s_or_b64 exec, exec, s[92:93]
	v_cmp_lt_u32_e32 vcc, v164, v175
	s_and_saveexec_b64 s[92:93], vcc
	s_cbranch_execz .LBB1255_1083
.LBB1255_1149:                          ;   in Loop: Header=BB1255_979 Depth=2
	v_add_co_u32_e32 v31, vcc, 0x1000, v39
	v_addc_co_u32_e32 v32, vcc, 0, v40, vcc
	global_load_dwordx2 v[31:32], v[31:32], off
	s_or_b64 exec, exec, s[92:93]
	v_cmp_lt_u32_e32 vcc, v165, v175
	s_and_saveexec_b64 s[92:93], vcc
	s_cbranch_execz .LBB1255_1084
.LBB1255_1150:                          ;   in Loop: Header=BB1255_979 Depth=2
	v_add_co_u32_e32 v27, vcc, 0x1000, v39
	v_addc_co_u32_e32 v28, vcc, 0, v40, vcc
	global_load_dwordx2 v[27:28], v[27:28], off offset:512
	s_or_b64 exec, exec, s[92:93]
	v_cmp_lt_u32_e32 vcc, v166, v175
	s_and_saveexec_b64 s[92:93], vcc
	s_cbranch_execz .LBB1255_1085
.LBB1255_1151:                          ;   in Loop: Header=BB1255_979 Depth=2
	v_add_co_u32_e32 v23, vcc, 0x1000, v39
	v_addc_co_u32_e32 v24, vcc, 0, v40, vcc
	global_load_dwordx2 v[23:24], v[23:24], off offset:1024
	s_or_b64 exec, exec, s[92:93]
	v_cmp_lt_u32_e32 vcc, v167, v175
	s_and_saveexec_b64 s[92:93], vcc
	s_cbranch_execz .LBB1255_1086
.LBB1255_1152:                          ;   in Loop: Header=BB1255_979 Depth=2
	v_add_co_u32_e32 v19, vcc, 0x1000, v39
	v_addc_co_u32_e32 v20, vcc, 0, v40, vcc
	global_load_dwordx2 v[19:20], v[19:20], off offset:1536
	s_or_b64 exec, exec, s[92:93]
	v_cmp_lt_u32_e32 vcc, v168, v175
	s_and_saveexec_b64 s[92:93], vcc
	s_cbranch_execz .LBB1255_1087
.LBB1255_1153:                          ;   in Loop: Header=BB1255_979 Depth=2
	v_add_co_u32_e32 v15, vcc, 0x1000, v39
	v_addc_co_u32_e32 v16, vcc, 0, v40, vcc
	global_load_dwordx2 v[15:16], v[15:16], off offset:2048
	s_or_b64 exec, exec, s[92:93]
	v_cmp_lt_u32_e32 vcc, v169, v175
	s_and_saveexec_b64 s[92:93], vcc
	s_cbranch_execz .LBB1255_1088
.LBB1255_1154:                          ;   in Loop: Header=BB1255_979 Depth=2
	v_add_co_u32_e32 v11, vcc, 0x1000, v39
	v_addc_co_u32_e32 v12, vcc, 0, v40, vcc
	global_load_dwordx2 v[11:12], v[11:12], off offset:2560
	s_or_b64 exec, exec, s[92:93]
	v_cmp_lt_u32_e32 vcc, v170, v175
	s_and_saveexec_b64 s[92:93], vcc
	s_cbranch_execz .LBB1255_1089
.LBB1255_1155:                          ;   in Loop: Header=BB1255_979 Depth=2
	v_add_co_u32_e32 v9, vcc, 0x1000, v39
	v_addc_co_u32_e32 v10, vcc, 0, v40, vcc
	global_load_dwordx2 v[9:10], v[9:10], off offset:3072
	s_or_b64 exec, exec, s[92:93]
	v_cmp_lt_u32_e32 vcc, v171, v175
	s_and_saveexec_b64 s[92:93], vcc
	s_cbranch_execz .LBB1255_1090
.LBB1255_1156:                          ;   in Loop: Header=BB1255_979 Depth=2
	v_add_co_u32_e32 v7, vcc, 0x1000, v39
	v_addc_co_u32_e32 v8, vcc, 0, v40, vcc
	global_load_dwordx2 v[7:8], v[7:8], off offset:3584
	s_or_b64 exec, exec, s[92:93]
	s_and_saveexec_b64 s[92:93], s[36:37]
	s_cbranch_execz .LBB1255_1091
.LBB1255_1157:                          ;   in Loop: Header=BB1255_979 Depth=2
	ds_read_b64 v[39:40], v106 offset:1024
	s_waitcnt lgkmcnt(0)
	v_cmp_ne_u64_e32 vcc, s[82:83], v[39:40]
	v_cndmask_b32_e32 v40, v135, v40, vcc
	v_cndmask_b32_e32 v39, 0, v39, vcc
	v_lshrrev_b64 v[39:40], s88, v[39:40]
	v_and_b32_e32 v162, s96, v39
	s_or_b64 exec, exec, s[92:93]
	s_and_saveexec_b64 s[92:93], s[38:39]
	s_cbranch_execz .LBB1255_1092
.LBB1255_1158:                          ;   in Loop: Header=BB1255_979 Depth=2
	ds_read_b64 v[39:40], v106 offset:3072
	s_waitcnt lgkmcnt(0)
	v_cmp_ne_u64_e32 vcc, s[82:83], v[39:40]
	v_cndmask_b32_e32 v40, v135, v40, vcc
	v_cndmask_b32_e32 v39, 0, v39, vcc
	v_lshrrev_b64 v[39:40], s88, v[39:40]
	v_and_b32_e32 v160, s96, v39
	s_or_b64 exec, exec, s[92:93]
	s_and_saveexec_b64 s[92:93], s[40:41]
	s_cbranch_execz .LBB1255_1093
.LBB1255_1159:                          ;   in Loop: Header=BB1255_979 Depth=2
	ds_read_b64 v[39:40], v106 offset:5120
	s_waitcnt lgkmcnt(0)
	v_cmp_ne_u64_e32 vcc, s[82:83], v[39:40]
	v_cndmask_b32_e32 v40, v135, v40, vcc
	v_cndmask_b32_e32 v39, 0, v39, vcc
	v_lshrrev_b64 v[39:40], s88, v[39:40]
	v_and_b32_e32 v158, s96, v39
	s_or_b64 exec, exec, s[92:93]
	s_and_saveexec_b64 s[92:93], s[42:43]
	s_cbranch_execz .LBB1255_1094
.LBB1255_1160:                          ;   in Loop: Header=BB1255_979 Depth=2
	ds_read_b64 v[39:40], v106 offset:7168
	s_waitcnt lgkmcnt(0)
	v_cmp_ne_u64_e32 vcc, s[82:83], v[39:40]
	v_cndmask_b32_e32 v40, v135, v40, vcc
	v_cndmask_b32_e32 v39, 0, v39, vcc
	v_lshrrev_b64 v[39:40], s88, v[39:40]
	v_and_b32_e32 v156, s96, v39
	s_or_b64 exec, exec, s[92:93]
	s_and_saveexec_b64 s[92:93], s[44:45]
	s_cbranch_execz .LBB1255_1095
.LBB1255_1161:                          ;   in Loop: Header=BB1255_979 Depth=2
	ds_read_b64 v[39:40], v106 offset:9216
	s_waitcnt lgkmcnt(0)
	v_cmp_ne_u64_e32 vcc, s[82:83], v[39:40]
	v_cndmask_b32_e32 v40, v135, v40, vcc
	v_cndmask_b32_e32 v39, 0, v39, vcc
	v_lshrrev_b64 v[39:40], s88, v[39:40]
	v_and_b32_e32 v154, s96, v39
	s_or_b64 exec, exec, s[92:93]
	s_and_saveexec_b64 s[92:93], s[46:47]
	s_cbranch_execz .LBB1255_1096
.LBB1255_1162:                          ;   in Loop: Header=BB1255_979 Depth=2
	ds_read_b64 v[39:40], v106 offset:11264
	s_waitcnt lgkmcnt(0)
	v_cmp_ne_u64_e32 vcc, s[82:83], v[39:40]
	v_cndmask_b32_e32 v40, v135, v40, vcc
	v_cndmask_b32_e32 v39, 0, v39, vcc
	v_lshrrev_b64 v[39:40], s88, v[39:40]
	v_and_b32_e32 v152, s96, v39
	s_or_b64 exec, exec, s[92:93]
	s_and_saveexec_b64 s[92:93], s[48:49]
	s_cbranch_execz .LBB1255_1097
.LBB1255_1163:                          ;   in Loop: Header=BB1255_979 Depth=2
	ds_read_b64 v[39:40], v106 offset:13312
	s_waitcnt lgkmcnt(0)
	v_cmp_ne_u64_e32 vcc, s[82:83], v[39:40]
	v_cndmask_b32_e32 v40, v135, v40, vcc
	v_cndmask_b32_e32 v39, 0, v39, vcc
	v_lshrrev_b64 v[39:40], s88, v[39:40]
	v_and_b32_e32 v150, s96, v39
	s_or_b64 exec, exec, s[92:93]
	s_and_saveexec_b64 s[92:93], s[50:51]
	s_cbranch_execz .LBB1255_1098
.LBB1255_1164:                          ;   in Loop: Header=BB1255_979 Depth=2
	ds_read_b64 v[39:40], v106 offset:15360
	s_waitcnt lgkmcnt(0)
	v_cmp_ne_u64_e32 vcc, s[82:83], v[39:40]
	v_cndmask_b32_e32 v40, v135, v40, vcc
	v_cndmask_b32_e32 v39, 0, v39, vcc
	v_lshrrev_b64 v[39:40], s88, v[39:40]
	v_and_b32_e32 v148, s96, v39
	s_or_b64 exec, exec, s[92:93]
	s_and_saveexec_b64 s[92:93], s[52:53]
	s_cbranch_execz .LBB1255_1099
.LBB1255_1165:                          ;   in Loop: Header=BB1255_979 Depth=2
	ds_read_b64 v[39:40], v106 offset:17408
	s_waitcnt lgkmcnt(0)
	v_cmp_ne_u64_e32 vcc, s[82:83], v[39:40]
	v_cndmask_b32_e32 v40, v135, v40, vcc
	v_cndmask_b32_e32 v39, 0, v39, vcc
	v_lshrrev_b64 v[39:40], s88, v[39:40]
	v_and_b32_e32 v146, s96, v39
	s_or_b64 exec, exec, s[92:93]
	s_and_saveexec_b64 s[92:93], s[54:55]
	s_cbranch_execz .LBB1255_1100
.LBB1255_1166:                          ;   in Loop: Header=BB1255_979 Depth=2
	ds_read_b64 v[39:40], v106 offset:19456
	s_waitcnt lgkmcnt(0)
	v_cmp_ne_u64_e32 vcc, s[82:83], v[39:40]
	v_cndmask_b32_e32 v40, v135, v40, vcc
	v_cndmask_b32_e32 v39, 0, v39, vcc
	v_lshrrev_b64 v[39:40], s88, v[39:40]
	v_and_b32_e32 v144, s96, v39
	s_or_b64 exec, exec, s[92:93]
	s_and_saveexec_b64 s[92:93], s[56:57]
	s_cbranch_execz .LBB1255_1101
.LBB1255_1167:                          ;   in Loop: Header=BB1255_979 Depth=2
	ds_read_b64 v[39:40], v106 offset:21504
	s_waitcnt lgkmcnt(0)
	v_cmp_ne_u64_e32 vcc, s[82:83], v[39:40]
	v_cndmask_b32_e32 v40, v135, v40, vcc
	v_cndmask_b32_e32 v39, 0, v39, vcc
	v_lshrrev_b64 v[39:40], s88, v[39:40]
	v_and_b32_e32 v143, s96, v39
	s_or_b64 exec, exec, s[92:93]
	s_and_saveexec_b64 s[92:93], s[58:59]
	s_cbranch_execz .LBB1255_1102
.LBB1255_1168:                          ;   in Loop: Header=BB1255_979 Depth=2
	ds_read_b64 v[39:40], v106 offset:23552
	s_waitcnt lgkmcnt(0)
	v_cmp_ne_u64_e32 vcc, s[82:83], v[39:40]
	v_cndmask_b32_e32 v40, v135, v40, vcc
	v_cndmask_b32_e32 v39, 0, v39, vcc
	v_lshrrev_b64 v[39:40], s88, v[39:40]
	v_and_b32_e32 v142, s96, v39
	s_or_b64 exec, exec, s[92:93]
	s_and_saveexec_b64 s[92:93], s[60:61]
	s_cbranch_execz .LBB1255_1103
.LBB1255_1169:                          ;   in Loop: Header=BB1255_979 Depth=2
	ds_read_b64 v[39:40], v106 offset:25600
	s_waitcnt lgkmcnt(0)
	v_cmp_ne_u64_e32 vcc, s[82:83], v[39:40]
	v_cndmask_b32_e32 v40, v135, v40, vcc
	v_cndmask_b32_e32 v39, 0, v39, vcc
	v_lshrrev_b64 v[39:40], s88, v[39:40]
	v_and_b32_e32 v141, s96, v39
	s_or_b64 exec, exec, s[92:93]
	s_and_saveexec_b64 s[92:93], s[62:63]
	s_cbranch_execz .LBB1255_1104
.LBB1255_1170:                          ;   in Loop: Header=BB1255_979 Depth=2
	ds_read_b64 v[39:40], v106 offset:27648
	s_waitcnt lgkmcnt(0)
	v_cmp_ne_u64_e32 vcc, s[82:83], v[39:40]
	v_cndmask_b32_e32 v40, v135, v40, vcc
	v_cndmask_b32_e32 v39, 0, v39, vcc
	v_lshrrev_b64 v[39:40], s88, v[39:40]
	v_and_b32_e32 v140, s96, v39
	s_or_b64 exec, exec, s[92:93]
	s_and_saveexec_b64 s[92:93], s[64:65]
	s_cbranch_execz .LBB1255_1105
.LBB1255_1171:                          ;   in Loop: Header=BB1255_979 Depth=2
	ds_read_b64 v[39:40], v106 offset:29696
	s_waitcnt lgkmcnt(0)
	v_cmp_ne_u64_e32 vcc, s[82:83], v[39:40]
	v_cndmask_b32_e32 v40, v135, v40, vcc
	v_cndmask_b32_e32 v39, 0, v39, vcc
	v_lshrrev_b64 v[39:40], s88, v[39:40]
	v_and_b32_e32 v139, s96, v39
	s_or_b64 exec, exec, s[92:93]
	s_and_saveexec_b64 s[92:93], s[66:67]
	s_cbranch_execnz .LBB1255_1106
	s_branch .LBB1255_1107
.LBB1255_1172:                          ;   in Loop: Header=BB1255_979 Depth=2
	v_lshlrev_b32_e32 v39, 2, v162
	ds_read_b32 v41, v39
	ds_read_b64 v[39:40], v106 offset:1024
	v_mov_b32_e32 v42, v3
	v_mov_b32_e32 v43, s87
	s_waitcnt lgkmcnt(1)
	v_add_u32_e32 v41, v41, v0
	v_lshlrev_b64 v[41:42], 3, v[41:42]
	v_add_co_u32_e32 v41, vcc, s86, v41
	v_addc_co_u32_e32 v42, vcc, v43, v42, vcc
	s_waitcnt lgkmcnt(0)
	global_store_dwordx2 v[41:42], v[39:40], off
	s_or_b64 exec, exec, s[92:93]
	s_and_saveexec_b64 s[36:37], s[38:39]
	s_cbranch_execz .LBB1255_1109
.LBB1255_1173:                          ;   in Loop: Header=BB1255_979 Depth=2
	v_lshlrev_b32_e32 v39, 2, v160
	ds_read_b32 v41, v39
	ds_read_b64 v[39:40], v106 offset:3072
	v_mov_b32_e32 v42, v3
	v_mov_b32_e32 v43, s87
	s_waitcnt lgkmcnt(1)
	v_add_u32_e32 v41, v41, v76
	v_lshlrev_b64 v[41:42], 3, v[41:42]
	v_add_co_u32_e32 v41, vcc, s86, v41
	v_addc_co_u32_e32 v42, vcc, v43, v42, vcc
	s_waitcnt lgkmcnt(0)
	global_store_dwordx2 v[41:42], v[39:40], off
	s_or_b64 exec, exec, s[36:37]
	s_and_saveexec_b64 s[36:37], s[40:41]
	s_cbranch_execz .LBB1255_1110
.LBB1255_1174:                          ;   in Loop: Header=BB1255_979 Depth=2
	v_lshlrev_b32_e32 v39, 2, v158
	ds_read_b32 v41, v39
	ds_read_b64 v[39:40], v106 offset:5120
	v_mov_b32_e32 v42, v3
	v_mov_b32_e32 v43, s87
	s_waitcnt lgkmcnt(1)
	v_add_u32_e32 v41, v41, v77
	v_lshlrev_b64 v[41:42], 3, v[41:42]
	v_add_co_u32_e32 v41, vcc, s86, v41
	v_addc_co_u32_e32 v42, vcc, v43, v42, vcc
	s_waitcnt lgkmcnt(0)
	global_store_dwordx2 v[41:42], v[39:40], off
	s_or_b64 exec, exec, s[36:37]
	s_and_saveexec_b64 s[36:37], s[42:43]
	s_cbranch_execz .LBB1255_1111
.LBB1255_1175:                          ;   in Loop: Header=BB1255_979 Depth=2
	v_lshlrev_b32_e32 v39, 2, v156
	ds_read_b32 v41, v39
	ds_read_b64 v[39:40], v106 offset:7168
	v_mov_b32_e32 v42, v3
	v_mov_b32_e32 v43, s87
	s_waitcnt lgkmcnt(1)
	v_add_u32_e32 v41, v41, v78
	v_lshlrev_b64 v[41:42], 3, v[41:42]
	v_add_co_u32_e32 v41, vcc, s86, v41
	v_addc_co_u32_e32 v42, vcc, v43, v42, vcc
	s_waitcnt lgkmcnt(0)
	global_store_dwordx2 v[41:42], v[39:40], off
	s_or_b64 exec, exec, s[36:37]
	s_and_saveexec_b64 s[36:37], s[44:45]
	s_cbranch_execz .LBB1255_1112
.LBB1255_1176:                          ;   in Loop: Header=BB1255_979 Depth=2
	v_lshlrev_b32_e32 v39, 2, v154
	ds_read_b32 v41, v39
	ds_read_b64 v[39:40], v106 offset:9216
	v_mov_b32_e32 v42, v3
	v_mov_b32_e32 v43, s87
	s_waitcnt lgkmcnt(1)
	v_add_u32_e32 v41, v41, v81
	v_lshlrev_b64 v[41:42], 3, v[41:42]
	v_add_co_u32_e32 v41, vcc, s86, v41
	v_addc_co_u32_e32 v42, vcc, v43, v42, vcc
	s_waitcnt lgkmcnt(0)
	global_store_dwordx2 v[41:42], v[39:40], off
	s_or_b64 exec, exec, s[36:37]
	s_and_saveexec_b64 s[36:37], s[46:47]
	s_cbranch_execz .LBB1255_1113
.LBB1255_1177:                          ;   in Loop: Header=BB1255_979 Depth=2
	v_lshlrev_b32_e32 v39, 2, v152
	ds_read_b32 v41, v39
	ds_read_b64 v[39:40], v106 offset:11264
	v_mov_b32_e32 v42, v3
	v_mov_b32_e32 v43, s87
	s_waitcnt lgkmcnt(1)
	v_add_u32_e32 v41, v41, v82
	v_lshlrev_b64 v[41:42], 3, v[41:42]
	v_add_co_u32_e32 v41, vcc, s86, v41
	v_addc_co_u32_e32 v42, vcc, v43, v42, vcc
	s_waitcnt lgkmcnt(0)
	global_store_dwordx2 v[41:42], v[39:40], off
	s_or_b64 exec, exec, s[36:37]
	s_and_saveexec_b64 s[36:37], s[48:49]
	s_cbranch_execz .LBB1255_1114
.LBB1255_1178:                          ;   in Loop: Header=BB1255_979 Depth=2
	v_lshlrev_b32_e32 v39, 2, v150
	ds_read_b32 v41, v39
	ds_read_b64 v[39:40], v106 offset:13312
	v_mov_b32_e32 v42, v3
	v_mov_b32_e32 v43, s87
	s_waitcnt lgkmcnt(1)
	v_add_u32_e32 v41, v41, v83
	v_lshlrev_b64 v[41:42], 3, v[41:42]
	v_add_co_u32_e32 v41, vcc, s86, v41
	v_addc_co_u32_e32 v42, vcc, v43, v42, vcc
	s_waitcnt lgkmcnt(0)
	global_store_dwordx2 v[41:42], v[39:40], off
	s_or_b64 exec, exec, s[36:37]
	s_and_saveexec_b64 s[36:37], s[50:51]
	s_cbranch_execz .LBB1255_1115
.LBB1255_1179:                          ;   in Loop: Header=BB1255_979 Depth=2
	v_lshlrev_b32_e32 v39, 2, v148
	ds_read_b32 v41, v39
	ds_read_b64 v[39:40], v106 offset:15360
	v_mov_b32_e32 v42, v3
	v_mov_b32_e32 v43, s87
	s_waitcnt lgkmcnt(1)
	v_add_u32_e32 v41, v41, v84
	v_lshlrev_b64 v[41:42], 3, v[41:42]
	v_add_co_u32_e32 v41, vcc, s86, v41
	v_addc_co_u32_e32 v42, vcc, v43, v42, vcc
	s_waitcnt lgkmcnt(0)
	global_store_dwordx2 v[41:42], v[39:40], off
	s_or_b64 exec, exec, s[36:37]
	s_and_saveexec_b64 s[36:37], s[52:53]
	s_cbranch_execz .LBB1255_1116
.LBB1255_1180:                          ;   in Loop: Header=BB1255_979 Depth=2
	v_lshlrev_b32_e32 v39, 2, v146
	ds_read_b32 v41, v39
	ds_read_b64 v[39:40], v106 offset:17408
	v_mov_b32_e32 v42, v3
	v_mov_b32_e32 v43, s87
	s_waitcnt lgkmcnt(1)
	v_add_u32_e32 v41, v41, v85
	v_lshlrev_b64 v[41:42], 3, v[41:42]
	v_add_co_u32_e32 v41, vcc, s86, v41
	v_addc_co_u32_e32 v42, vcc, v43, v42, vcc
	s_waitcnt lgkmcnt(0)
	global_store_dwordx2 v[41:42], v[39:40], off
	s_or_b64 exec, exec, s[36:37]
	s_and_saveexec_b64 s[36:37], s[54:55]
	s_cbranch_execz .LBB1255_1117
.LBB1255_1181:                          ;   in Loop: Header=BB1255_979 Depth=2
	v_lshlrev_b32_e32 v39, 2, v144
	ds_read_b32 v41, v39
	ds_read_b64 v[39:40], v106 offset:19456
	v_mov_b32_e32 v42, v3
	v_mov_b32_e32 v43, s87
	s_waitcnt lgkmcnt(1)
	v_add_u32_e32 v41, v41, v86
	v_lshlrev_b64 v[41:42], 3, v[41:42]
	v_add_co_u32_e32 v41, vcc, s86, v41
	v_addc_co_u32_e32 v42, vcc, v43, v42, vcc
	s_waitcnt lgkmcnt(0)
	global_store_dwordx2 v[41:42], v[39:40], off
	s_or_b64 exec, exec, s[36:37]
	s_and_saveexec_b64 s[36:37], s[56:57]
	s_cbranch_execz .LBB1255_1118
.LBB1255_1182:                          ;   in Loop: Header=BB1255_979 Depth=2
	v_lshlrev_b32_e32 v39, 2, v143
	ds_read_b32 v41, v39
	ds_read_b64 v[39:40], v106 offset:21504
	v_mov_b32_e32 v42, v3
	v_mov_b32_e32 v43, s87
	s_waitcnt lgkmcnt(1)
	v_add_u32_e32 v41, v41, v87
	v_lshlrev_b64 v[41:42], 3, v[41:42]
	v_add_co_u32_e32 v41, vcc, s86, v41
	v_addc_co_u32_e32 v42, vcc, v43, v42, vcc
	s_waitcnt lgkmcnt(0)
	global_store_dwordx2 v[41:42], v[39:40], off
	s_or_b64 exec, exec, s[36:37]
	s_and_saveexec_b64 s[36:37], s[58:59]
	s_cbranch_execz .LBB1255_1119
.LBB1255_1183:                          ;   in Loop: Header=BB1255_979 Depth=2
	v_lshlrev_b32_e32 v39, 2, v142
	ds_read_b32 v41, v39
	ds_read_b64 v[39:40], v106 offset:23552
	v_mov_b32_e32 v42, v3
	v_mov_b32_e32 v43, s87
	s_waitcnt lgkmcnt(1)
	v_add_u32_e32 v41, v41, v88
	v_lshlrev_b64 v[41:42], 3, v[41:42]
	v_add_co_u32_e32 v41, vcc, s86, v41
	v_addc_co_u32_e32 v42, vcc, v43, v42, vcc
	s_waitcnt lgkmcnt(0)
	global_store_dwordx2 v[41:42], v[39:40], off
	s_or_b64 exec, exec, s[36:37]
	s_and_saveexec_b64 s[36:37], s[60:61]
	s_cbranch_execz .LBB1255_1120
.LBB1255_1184:                          ;   in Loop: Header=BB1255_979 Depth=2
	v_lshlrev_b32_e32 v39, 2, v141
	ds_read_b32 v41, v39
	ds_read_b64 v[39:40], v106 offset:25600
	v_mov_b32_e32 v42, v3
	v_mov_b32_e32 v43, s87
	s_waitcnt lgkmcnt(1)
	v_add_u32_e32 v41, v41, v89
	v_lshlrev_b64 v[41:42], 3, v[41:42]
	v_add_co_u32_e32 v41, vcc, s86, v41
	v_addc_co_u32_e32 v42, vcc, v43, v42, vcc
	s_waitcnt lgkmcnt(0)
	global_store_dwordx2 v[41:42], v[39:40], off
	s_or_b64 exec, exec, s[36:37]
	s_and_saveexec_b64 s[36:37], s[62:63]
	s_cbranch_execz .LBB1255_1121
.LBB1255_1185:                          ;   in Loop: Header=BB1255_979 Depth=2
	v_lshlrev_b32_e32 v39, 2, v140
	ds_read_b32 v41, v39
	ds_read_b64 v[39:40], v106 offset:27648
	v_mov_b32_e32 v42, v3
	v_mov_b32_e32 v43, s87
	s_waitcnt lgkmcnt(1)
	v_add_u32_e32 v41, v41, v90
	v_lshlrev_b64 v[41:42], 3, v[41:42]
	v_add_co_u32_e32 v41, vcc, s86, v41
	v_addc_co_u32_e32 v42, vcc, v43, v42, vcc
	s_waitcnt lgkmcnt(0)
	global_store_dwordx2 v[41:42], v[39:40], off
	s_or_b64 exec, exec, s[36:37]
	s_and_saveexec_b64 s[36:37], s[64:65]
	s_cbranch_execz .LBB1255_1122
.LBB1255_1186:                          ;   in Loop: Header=BB1255_979 Depth=2
	v_lshlrev_b32_e32 v39, 2, v139
	ds_read_b32 v41, v39
	ds_read_b64 v[39:40], v106 offset:29696
	v_mov_b32_e32 v42, v3
	v_mov_b32_e32 v43, s87
	s_waitcnt lgkmcnt(1)
	v_add_u32_e32 v41, v41, v91
	v_lshlrev_b64 v[41:42], 3, v[41:42]
	v_add_co_u32_e32 v41, vcc, s86, v41
	v_addc_co_u32_e32 v42, vcc, v43, v42, vcc
	s_waitcnt lgkmcnt(0)
	global_store_dwordx2 v[41:42], v[39:40], off
	s_or_b64 exec, exec, s[36:37]
	s_and_saveexec_b64 s[36:37], s[66:67]
	s_cbranch_execnz .LBB1255_1123
	s_branch .LBB1255_1124
.LBB1255_1187:
	s_endpgm
	.section	.rodata,"a",@progbits
	.p2align	6, 0x0
	.amdhsa_kernel _ZN7rocprim17ROCPRIM_400000_NS6detail17trampoline_kernelINS0_14default_configENS1_36segmented_radix_sort_config_selectorIdlEEZNS1_25segmented_radix_sort_implIS3_Lb0EPKdPdPKlPlN2at6native12_GLOBAL__N_18offset_tEEE10hipError_tPvRmT1_PNSt15iterator_traitsISK_E10value_typeET2_T3_PNSL_ISQ_E10value_typeET4_jRbjT5_SW_jjP12ihipStream_tbEUlT_E2_NS1_11comp_targetILNS1_3genE2ELNS1_11target_archE906ELNS1_3gpuE6ELNS1_3repE0EEENS1_30default_config_static_selectorELNS0_4arch9wavefront6targetE1EEEvSK_
		.amdhsa_group_segment_fixed_size 33808
		.amdhsa_private_segment_fixed_size 164
		.amdhsa_kernarg_size 336
		.amdhsa_user_sgpr_count 6
		.amdhsa_user_sgpr_private_segment_buffer 1
		.amdhsa_user_sgpr_dispatch_ptr 0
		.amdhsa_user_sgpr_queue_ptr 0
		.amdhsa_user_sgpr_kernarg_segment_ptr 1
		.amdhsa_user_sgpr_dispatch_id 0
		.amdhsa_user_sgpr_flat_scratch_init 0
		.amdhsa_user_sgpr_private_segment_size 0
		.amdhsa_uses_dynamic_stack 0
		.amdhsa_system_sgpr_private_segment_wavefront_offset 1
		.amdhsa_system_sgpr_workgroup_id_x 1
		.amdhsa_system_sgpr_workgroup_id_y 1
		.amdhsa_system_sgpr_workgroup_id_z 0
		.amdhsa_system_sgpr_workgroup_info 0
		.amdhsa_system_vgpr_workitem_id 2
		.amdhsa_next_free_vgpr 248
		.amdhsa_next_free_sgpr 100
		.amdhsa_reserve_vcc 1
		.amdhsa_reserve_flat_scratch 0
		.amdhsa_float_round_mode_32 0
		.amdhsa_float_round_mode_16_64 0
		.amdhsa_float_denorm_mode_32 3
		.amdhsa_float_denorm_mode_16_64 3
		.amdhsa_dx10_clamp 1
		.amdhsa_ieee_mode 1
		.amdhsa_fp16_overflow 0
		.amdhsa_exception_fp_ieee_invalid_op 0
		.amdhsa_exception_fp_denorm_src 0
		.amdhsa_exception_fp_ieee_div_zero 0
		.amdhsa_exception_fp_ieee_overflow 0
		.amdhsa_exception_fp_ieee_underflow 0
		.amdhsa_exception_fp_ieee_inexact 0
		.amdhsa_exception_int_div_zero 0
	.end_amdhsa_kernel
	.section	.text._ZN7rocprim17ROCPRIM_400000_NS6detail17trampoline_kernelINS0_14default_configENS1_36segmented_radix_sort_config_selectorIdlEEZNS1_25segmented_radix_sort_implIS3_Lb0EPKdPdPKlPlN2at6native12_GLOBAL__N_18offset_tEEE10hipError_tPvRmT1_PNSt15iterator_traitsISK_E10value_typeET2_T3_PNSL_ISQ_E10value_typeET4_jRbjT5_SW_jjP12ihipStream_tbEUlT_E2_NS1_11comp_targetILNS1_3genE2ELNS1_11target_archE906ELNS1_3gpuE6ELNS1_3repE0EEENS1_30default_config_static_selectorELNS0_4arch9wavefront6targetE1EEEvSK_,"axG",@progbits,_ZN7rocprim17ROCPRIM_400000_NS6detail17trampoline_kernelINS0_14default_configENS1_36segmented_radix_sort_config_selectorIdlEEZNS1_25segmented_radix_sort_implIS3_Lb0EPKdPdPKlPlN2at6native12_GLOBAL__N_18offset_tEEE10hipError_tPvRmT1_PNSt15iterator_traitsISK_E10value_typeET2_T3_PNSL_ISQ_E10value_typeET4_jRbjT5_SW_jjP12ihipStream_tbEUlT_E2_NS1_11comp_targetILNS1_3genE2ELNS1_11target_archE906ELNS1_3gpuE6ELNS1_3repE0EEENS1_30default_config_static_selectorELNS0_4arch9wavefront6targetE1EEEvSK_,comdat
.Lfunc_end1255:
	.size	_ZN7rocprim17ROCPRIM_400000_NS6detail17trampoline_kernelINS0_14default_configENS1_36segmented_radix_sort_config_selectorIdlEEZNS1_25segmented_radix_sort_implIS3_Lb0EPKdPdPKlPlN2at6native12_GLOBAL__N_18offset_tEEE10hipError_tPvRmT1_PNSt15iterator_traitsISK_E10value_typeET2_T3_PNSL_ISQ_E10value_typeET4_jRbjT5_SW_jjP12ihipStream_tbEUlT_E2_NS1_11comp_targetILNS1_3genE2ELNS1_11target_archE906ELNS1_3gpuE6ELNS1_3repE0EEENS1_30default_config_static_selectorELNS0_4arch9wavefront6targetE1EEEvSK_, .Lfunc_end1255-_ZN7rocprim17ROCPRIM_400000_NS6detail17trampoline_kernelINS0_14default_configENS1_36segmented_radix_sort_config_selectorIdlEEZNS1_25segmented_radix_sort_implIS3_Lb0EPKdPdPKlPlN2at6native12_GLOBAL__N_18offset_tEEE10hipError_tPvRmT1_PNSt15iterator_traitsISK_E10value_typeET2_T3_PNSL_ISQ_E10value_typeET4_jRbjT5_SW_jjP12ihipStream_tbEUlT_E2_NS1_11comp_targetILNS1_3genE2ELNS1_11target_archE906ELNS1_3gpuE6ELNS1_3repE0EEENS1_30default_config_static_selectorELNS0_4arch9wavefront6targetE1EEEvSK_
                                        ; -- End function
	.set _ZN7rocprim17ROCPRIM_400000_NS6detail17trampoline_kernelINS0_14default_configENS1_36segmented_radix_sort_config_selectorIdlEEZNS1_25segmented_radix_sort_implIS3_Lb0EPKdPdPKlPlN2at6native12_GLOBAL__N_18offset_tEEE10hipError_tPvRmT1_PNSt15iterator_traitsISK_E10value_typeET2_T3_PNSL_ISQ_E10value_typeET4_jRbjT5_SW_jjP12ihipStream_tbEUlT_E2_NS1_11comp_targetILNS1_3genE2ELNS1_11target_archE906ELNS1_3gpuE6ELNS1_3repE0EEENS1_30default_config_static_selectorELNS0_4arch9wavefront6targetE1EEEvSK_.num_vgpr, max(228, .L_ZN7rocprim17ROCPRIM_400000_NS6detail26segmented_warp_sort_helperINS1_20WarpSortHelperConfigILj8ELj4ELj256EEEdlLi256ELb0EvE4sortIPKdPdPKlPlEEvT_S9_T0_T1_SC_T2_bjjjjRNS5_12storage_typeE.num_vgpr, .L_ZN7rocprim17ROCPRIM_400000_NS6detail40segmented_radix_sort_single_block_helperIdlLj256ELj16ELb0EE4sortIPKdPdPKlPlEEbT_T0_T1_T2_jjjjRNS3_12storage_typeE.num_vgpr)
	.set _ZN7rocprim17ROCPRIM_400000_NS6detail17trampoline_kernelINS0_14default_configENS1_36segmented_radix_sort_config_selectorIdlEEZNS1_25segmented_radix_sort_implIS3_Lb0EPKdPdPKlPlN2at6native12_GLOBAL__N_18offset_tEEE10hipError_tPvRmT1_PNSt15iterator_traitsISK_E10value_typeET2_T3_PNSL_ISQ_E10value_typeET4_jRbjT5_SW_jjP12ihipStream_tbEUlT_E2_NS1_11comp_targetILNS1_3genE2ELNS1_11target_archE906ELNS1_3gpuE6ELNS1_3repE0EEENS1_30default_config_static_selectorELNS0_4arch9wavefront6targetE1EEEvSK_.num_agpr, max(0, .L_ZN7rocprim17ROCPRIM_400000_NS6detail26segmented_warp_sort_helperINS1_20WarpSortHelperConfigILj8ELj4ELj256EEEdlLi256ELb0EvE4sortIPKdPdPKlPlEEvT_S9_T0_T1_SC_T2_bjjjjRNS5_12storage_typeE.num_agpr, .L_ZN7rocprim17ROCPRIM_400000_NS6detail40segmented_radix_sort_single_block_helperIdlLj256ELj16ELb0EE4sortIPKdPdPKlPlEEbT_T0_T1_T2_jjjjRNS3_12storage_typeE.num_agpr)
	.set _ZN7rocprim17ROCPRIM_400000_NS6detail17trampoline_kernelINS0_14default_configENS1_36segmented_radix_sort_config_selectorIdlEEZNS1_25segmented_radix_sort_implIS3_Lb0EPKdPdPKlPlN2at6native12_GLOBAL__N_18offset_tEEE10hipError_tPvRmT1_PNSt15iterator_traitsISK_E10value_typeET2_T3_PNSL_ISQ_E10value_typeET4_jRbjT5_SW_jjP12ihipStream_tbEUlT_E2_NS1_11comp_targetILNS1_3genE2ELNS1_11target_archE906ELNS1_3gpuE6ELNS1_3repE0EEENS1_30default_config_static_selectorELNS0_4arch9wavefront6targetE1EEEvSK_.numbered_sgpr, max(100, .L_ZN7rocprim17ROCPRIM_400000_NS6detail26segmented_warp_sort_helperINS1_20WarpSortHelperConfigILj8ELj4ELj256EEEdlLi256ELb0EvE4sortIPKdPdPKlPlEEvT_S9_T0_T1_SC_T2_bjjjjRNS5_12storage_typeE.numbered_sgpr, .L_ZN7rocprim17ROCPRIM_400000_NS6detail40segmented_radix_sort_single_block_helperIdlLj256ELj16ELb0EE4sortIPKdPdPKlPlEEbT_T0_T1_T2_jjjjRNS3_12storage_typeE.numbered_sgpr)
	.set _ZN7rocprim17ROCPRIM_400000_NS6detail17trampoline_kernelINS0_14default_configENS1_36segmented_radix_sort_config_selectorIdlEEZNS1_25segmented_radix_sort_implIS3_Lb0EPKdPdPKlPlN2at6native12_GLOBAL__N_18offset_tEEE10hipError_tPvRmT1_PNSt15iterator_traitsISK_E10value_typeET2_T3_PNSL_ISQ_E10value_typeET4_jRbjT5_SW_jjP12ihipStream_tbEUlT_E2_NS1_11comp_targetILNS1_3genE2ELNS1_11target_archE906ELNS1_3gpuE6ELNS1_3repE0EEENS1_30default_config_static_selectorELNS0_4arch9wavefront6targetE1EEEvSK_.num_named_barrier, max(0, .L_ZN7rocprim17ROCPRIM_400000_NS6detail26segmented_warp_sort_helperINS1_20WarpSortHelperConfigILj8ELj4ELj256EEEdlLi256ELb0EvE4sortIPKdPdPKlPlEEvT_S9_T0_T1_SC_T2_bjjjjRNS5_12storage_typeE.num_named_barrier, .L_ZN7rocprim17ROCPRIM_400000_NS6detail40segmented_radix_sort_single_block_helperIdlLj256ELj16ELb0EE4sortIPKdPdPKlPlEEbT_T0_T1_T2_jjjjRNS3_12storage_typeE.num_named_barrier)
	.set _ZN7rocprim17ROCPRIM_400000_NS6detail17trampoline_kernelINS0_14default_configENS1_36segmented_radix_sort_config_selectorIdlEEZNS1_25segmented_radix_sort_implIS3_Lb0EPKdPdPKlPlN2at6native12_GLOBAL__N_18offset_tEEE10hipError_tPvRmT1_PNSt15iterator_traitsISK_E10value_typeET2_T3_PNSL_ISQ_E10value_typeET4_jRbjT5_SW_jjP12ihipStream_tbEUlT_E2_NS1_11comp_targetILNS1_3genE2ELNS1_11target_archE906ELNS1_3gpuE6ELNS1_3repE0EEENS1_30default_config_static_selectorELNS0_4arch9wavefront6targetE1EEEvSK_.private_seg_size, 0+max(.L_ZN7rocprim17ROCPRIM_400000_NS6detail26segmented_warp_sort_helperINS1_20WarpSortHelperConfigILj8ELj4ELj256EEEdlLi256ELb0EvE4sortIPKdPdPKlPlEEvT_S9_T0_T1_SC_T2_bjjjjRNS5_12storage_typeE.private_seg_size, .L_ZN7rocprim17ROCPRIM_400000_NS6detail40segmented_radix_sort_single_block_helperIdlLj256ELj16ELb0EE4sortIPKdPdPKlPlEEbT_T0_T1_T2_jjjjRNS3_12storage_typeE.private_seg_size)
	.set _ZN7rocprim17ROCPRIM_400000_NS6detail17trampoline_kernelINS0_14default_configENS1_36segmented_radix_sort_config_selectorIdlEEZNS1_25segmented_radix_sort_implIS3_Lb0EPKdPdPKlPlN2at6native12_GLOBAL__N_18offset_tEEE10hipError_tPvRmT1_PNSt15iterator_traitsISK_E10value_typeET2_T3_PNSL_ISQ_E10value_typeET4_jRbjT5_SW_jjP12ihipStream_tbEUlT_E2_NS1_11comp_targetILNS1_3genE2ELNS1_11target_archE906ELNS1_3gpuE6ELNS1_3repE0EEENS1_30default_config_static_selectorELNS0_4arch9wavefront6targetE1EEEvSK_.uses_vcc, or(1, .L_ZN7rocprim17ROCPRIM_400000_NS6detail26segmented_warp_sort_helperINS1_20WarpSortHelperConfigILj8ELj4ELj256EEEdlLi256ELb0EvE4sortIPKdPdPKlPlEEvT_S9_T0_T1_SC_T2_bjjjjRNS5_12storage_typeE.uses_vcc, .L_ZN7rocprim17ROCPRIM_400000_NS6detail40segmented_radix_sort_single_block_helperIdlLj256ELj16ELb0EE4sortIPKdPdPKlPlEEbT_T0_T1_T2_jjjjRNS3_12storage_typeE.uses_vcc)
	.set _ZN7rocprim17ROCPRIM_400000_NS6detail17trampoline_kernelINS0_14default_configENS1_36segmented_radix_sort_config_selectorIdlEEZNS1_25segmented_radix_sort_implIS3_Lb0EPKdPdPKlPlN2at6native12_GLOBAL__N_18offset_tEEE10hipError_tPvRmT1_PNSt15iterator_traitsISK_E10value_typeET2_T3_PNSL_ISQ_E10value_typeET4_jRbjT5_SW_jjP12ihipStream_tbEUlT_E2_NS1_11comp_targetILNS1_3genE2ELNS1_11target_archE906ELNS1_3gpuE6ELNS1_3repE0EEENS1_30default_config_static_selectorELNS0_4arch9wavefront6targetE1EEEvSK_.uses_flat_scratch, or(0, .L_ZN7rocprim17ROCPRIM_400000_NS6detail26segmented_warp_sort_helperINS1_20WarpSortHelperConfigILj8ELj4ELj256EEEdlLi256ELb0EvE4sortIPKdPdPKlPlEEvT_S9_T0_T1_SC_T2_bjjjjRNS5_12storage_typeE.uses_flat_scratch, .L_ZN7rocprim17ROCPRIM_400000_NS6detail40segmented_radix_sort_single_block_helperIdlLj256ELj16ELb0EE4sortIPKdPdPKlPlEEbT_T0_T1_T2_jjjjRNS3_12storage_typeE.uses_flat_scratch)
	.set _ZN7rocprim17ROCPRIM_400000_NS6detail17trampoline_kernelINS0_14default_configENS1_36segmented_radix_sort_config_selectorIdlEEZNS1_25segmented_radix_sort_implIS3_Lb0EPKdPdPKlPlN2at6native12_GLOBAL__N_18offset_tEEE10hipError_tPvRmT1_PNSt15iterator_traitsISK_E10value_typeET2_T3_PNSL_ISQ_E10value_typeET4_jRbjT5_SW_jjP12ihipStream_tbEUlT_E2_NS1_11comp_targetILNS1_3genE2ELNS1_11target_archE906ELNS1_3gpuE6ELNS1_3repE0EEENS1_30default_config_static_selectorELNS0_4arch9wavefront6targetE1EEEvSK_.has_dyn_sized_stack, or(0, .L_ZN7rocprim17ROCPRIM_400000_NS6detail26segmented_warp_sort_helperINS1_20WarpSortHelperConfigILj8ELj4ELj256EEEdlLi256ELb0EvE4sortIPKdPdPKlPlEEvT_S9_T0_T1_SC_T2_bjjjjRNS5_12storage_typeE.has_dyn_sized_stack, .L_ZN7rocprim17ROCPRIM_400000_NS6detail40segmented_radix_sort_single_block_helperIdlLj256ELj16ELb0EE4sortIPKdPdPKlPlEEbT_T0_T1_T2_jjjjRNS3_12storage_typeE.has_dyn_sized_stack)
	.set _ZN7rocprim17ROCPRIM_400000_NS6detail17trampoline_kernelINS0_14default_configENS1_36segmented_radix_sort_config_selectorIdlEEZNS1_25segmented_radix_sort_implIS3_Lb0EPKdPdPKlPlN2at6native12_GLOBAL__N_18offset_tEEE10hipError_tPvRmT1_PNSt15iterator_traitsISK_E10value_typeET2_T3_PNSL_ISQ_E10value_typeET4_jRbjT5_SW_jjP12ihipStream_tbEUlT_E2_NS1_11comp_targetILNS1_3genE2ELNS1_11target_archE906ELNS1_3gpuE6ELNS1_3repE0EEENS1_30default_config_static_selectorELNS0_4arch9wavefront6targetE1EEEvSK_.has_recursion, or(0, .L_ZN7rocprim17ROCPRIM_400000_NS6detail26segmented_warp_sort_helperINS1_20WarpSortHelperConfigILj8ELj4ELj256EEEdlLi256ELb0EvE4sortIPKdPdPKlPlEEvT_S9_T0_T1_SC_T2_bjjjjRNS5_12storage_typeE.has_recursion, .L_ZN7rocprim17ROCPRIM_400000_NS6detail40segmented_radix_sort_single_block_helperIdlLj256ELj16ELb0EE4sortIPKdPdPKlPlEEbT_T0_T1_T2_jjjjRNS3_12storage_typeE.has_recursion)
	.set _ZN7rocprim17ROCPRIM_400000_NS6detail17trampoline_kernelINS0_14default_configENS1_36segmented_radix_sort_config_selectorIdlEEZNS1_25segmented_radix_sort_implIS3_Lb0EPKdPdPKlPlN2at6native12_GLOBAL__N_18offset_tEEE10hipError_tPvRmT1_PNSt15iterator_traitsISK_E10value_typeET2_T3_PNSL_ISQ_E10value_typeET4_jRbjT5_SW_jjP12ihipStream_tbEUlT_E2_NS1_11comp_targetILNS1_3genE2ELNS1_11target_archE906ELNS1_3gpuE6ELNS1_3repE0EEENS1_30default_config_static_selectorELNS0_4arch9wavefront6targetE1EEEvSK_.has_indirect_call, or(0, .L_ZN7rocprim17ROCPRIM_400000_NS6detail26segmented_warp_sort_helperINS1_20WarpSortHelperConfigILj8ELj4ELj256EEEdlLi256ELb0EvE4sortIPKdPdPKlPlEEvT_S9_T0_T1_SC_T2_bjjjjRNS5_12storage_typeE.has_indirect_call, .L_ZN7rocprim17ROCPRIM_400000_NS6detail40segmented_radix_sort_single_block_helperIdlLj256ELj16ELb0EE4sortIPKdPdPKlPlEEbT_T0_T1_T2_jjjjRNS3_12storage_typeE.has_indirect_call)
	.section	.AMDGPU.csdata,"",@progbits
; Kernel info:
; codeLenInByte = 72112
; TotalNumSgprs: 104
; NumVgprs: 248
; ScratchSize: 164
; MemoryBound: 0
; FloatMode: 240
; IeeeMode: 1
; LDSByteSize: 33808 bytes/workgroup (compile time only)
; SGPRBlocks: 12
; VGPRBlocks: 61
; NumSGPRsForWavesPerEU: 104
; NumVGPRsForWavesPerEU: 248
; Occupancy: 1
; WaveLimiterHint : 1
; COMPUTE_PGM_RSRC2:SCRATCH_EN: 1
; COMPUTE_PGM_RSRC2:USER_SGPR: 6
; COMPUTE_PGM_RSRC2:TRAP_HANDLER: 0
; COMPUTE_PGM_RSRC2:TGID_X_EN: 1
; COMPUTE_PGM_RSRC2:TGID_Y_EN: 1
; COMPUTE_PGM_RSRC2:TGID_Z_EN: 0
; COMPUTE_PGM_RSRC2:TIDIG_COMP_CNT: 2
	.section	.text._ZN7rocprim17ROCPRIM_400000_NS6detail17trampoline_kernelINS0_14default_configENS1_36segmented_radix_sort_config_selectorIdlEEZNS1_25segmented_radix_sort_implIS3_Lb0EPKdPdPKlPlN2at6native12_GLOBAL__N_18offset_tEEE10hipError_tPvRmT1_PNSt15iterator_traitsISK_E10value_typeET2_T3_PNSL_ISQ_E10value_typeET4_jRbjT5_SW_jjP12ihipStream_tbEUlT_E2_NS1_11comp_targetILNS1_3genE10ELNS1_11target_archE1201ELNS1_3gpuE5ELNS1_3repE0EEENS1_30default_config_static_selectorELNS0_4arch9wavefront6targetE1EEEvSK_,"axG",@progbits,_ZN7rocprim17ROCPRIM_400000_NS6detail17trampoline_kernelINS0_14default_configENS1_36segmented_radix_sort_config_selectorIdlEEZNS1_25segmented_radix_sort_implIS3_Lb0EPKdPdPKlPlN2at6native12_GLOBAL__N_18offset_tEEE10hipError_tPvRmT1_PNSt15iterator_traitsISK_E10value_typeET2_T3_PNSL_ISQ_E10value_typeET4_jRbjT5_SW_jjP12ihipStream_tbEUlT_E2_NS1_11comp_targetILNS1_3genE10ELNS1_11target_archE1201ELNS1_3gpuE5ELNS1_3repE0EEENS1_30default_config_static_selectorELNS0_4arch9wavefront6targetE1EEEvSK_,comdat
	.globl	_ZN7rocprim17ROCPRIM_400000_NS6detail17trampoline_kernelINS0_14default_configENS1_36segmented_radix_sort_config_selectorIdlEEZNS1_25segmented_radix_sort_implIS3_Lb0EPKdPdPKlPlN2at6native12_GLOBAL__N_18offset_tEEE10hipError_tPvRmT1_PNSt15iterator_traitsISK_E10value_typeET2_T3_PNSL_ISQ_E10value_typeET4_jRbjT5_SW_jjP12ihipStream_tbEUlT_E2_NS1_11comp_targetILNS1_3genE10ELNS1_11target_archE1201ELNS1_3gpuE5ELNS1_3repE0EEENS1_30default_config_static_selectorELNS0_4arch9wavefront6targetE1EEEvSK_ ; -- Begin function _ZN7rocprim17ROCPRIM_400000_NS6detail17trampoline_kernelINS0_14default_configENS1_36segmented_radix_sort_config_selectorIdlEEZNS1_25segmented_radix_sort_implIS3_Lb0EPKdPdPKlPlN2at6native12_GLOBAL__N_18offset_tEEE10hipError_tPvRmT1_PNSt15iterator_traitsISK_E10value_typeET2_T3_PNSL_ISQ_E10value_typeET4_jRbjT5_SW_jjP12ihipStream_tbEUlT_E2_NS1_11comp_targetILNS1_3genE10ELNS1_11target_archE1201ELNS1_3gpuE5ELNS1_3repE0EEENS1_30default_config_static_selectorELNS0_4arch9wavefront6targetE1EEEvSK_
	.p2align	8
	.type	_ZN7rocprim17ROCPRIM_400000_NS6detail17trampoline_kernelINS0_14default_configENS1_36segmented_radix_sort_config_selectorIdlEEZNS1_25segmented_radix_sort_implIS3_Lb0EPKdPdPKlPlN2at6native12_GLOBAL__N_18offset_tEEE10hipError_tPvRmT1_PNSt15iterator_traitsISK_E10value_typeET2_T3_PNSL_ISQ_E10value_typeET4_jRbjT5_SW_jjP12ihipStream_tbEUlT_E2_NS1_11comp_targetILNS1_3genE10ELNS1_11target_archE1201ELNS1_3gpuE5ELNS1_3repE0EEENS1_30default_config_static_selectorELNS0_4arch9wavefront6targetE1EEEvSK_,@function
_ZN7rocprim17ROCPRIM_400000_NS6detail17trampoline_kernelINS0_14default_configENS1_36segmented_radix_sort_config_selectorIdlEEZNS1_25segmented_radix_sort_implIS3_Lb0EPKdPdPKlPlN2at6native12_GLOBAL__N_18offset_tEEE10hipError_tPvRmT1_PNSt15iterator_traitsISK_E10value_typeET2_T3_PNSL_ISQ_E10value_typeET4_jRbjT5_SW_jjP12ihipStream_tbEUlT_E2_NS1_11comp_targetILNS1_3genE10ELNS1_11target_archE1201ELNS1_3gpuE5ELNS1_3repE0EEENS1_30default_config_static_selectorELNS0_4arch9wavefront6targetE1EEEvSK_: ; @_ZN7rocprim17ROCPRIM_400000_NS6detail17trampoline_kernelINS0_14default_configENS1_36segmented_radix_sort_config_selectorIdlEEZNS1_25segmented_radix_sort_implIS3_Lb0EPKdPdPKlPlN2at6native12_GLOBAL__N_18offset_tEEE10hipError_tPvRmT1_PNSt15iterator_traitsISK_E10value_typeET2_T3_PNSL_ISQ_E10value_typeET4_jRbjT5_SW_jjP12ihipStream_tbEUlT_E2_NS1_11comp_targetILNS1_3genE10ELNS1_11target_archE1201ELNS1_3gpuE5ELNS1_3repE0EEENS1_30default_config_static_selectorELNS0_4arch9wavefront6targetE1EEEvSK_
; %bb.0:
	.section	.rodata,"a",@progbits
	.p2align	6, 0x0
	.amdhsa_kernel _ZN7rocprim17ROCPRIM_400000_NS6detail17trampoline_kernelINS0_14default_configENS1_36segmented_radix_sort_config_selectorIdlEEZNS1_25segmented_radix_sort_implIS3_Lb0EPKdPdPKlPlN2at6native12_GLOBAL__N_18offset_tEEE10hipError_tPvRmT1_PNSt15iterator_traitsISK_E10value_typeET2_T3_PNSL_ISQ_E10value_typeET4_jRbjT5_SW_jjP12ihipStream_tbEUlT_E2_NS1_11comp_targetILNS1_3genE10ELNS1_11target_archE1201ELNS1_3gpuE5ELNS1_3repE0EEENS1_30default_config_static_selectorELNS0_4arch9wavefront6targetE1EEEvSK_
		.amdhsa_group_segment_fixed_size 0
		.amdhsa_private_segment_fixed_size 0
		.amdhsa_kernarg_size 80
		.amdhsa_user_sgpr_count 6
		.amdhsa_user_sgpr_private_segment_buffer 1
		.amdhsa_user_sgpr_dispatch_ptr 0
		.amdhsa_user_sgpr_queue_ptr 0
		.amdhsa_user_sgpr_kernarg_segment_ptr 1
		.amdhsa_user_sgpr_dispatch_id 0
		.amdhsa_user_sgpr_flat_scratch_init 0
		.amdhsa_user_sgpr_private_segment_size 0
		.amdhsa_uses_dynamic_stack 0
		.amdhsa_system_sgpr_private_segment_wavefront_offset 0
		.amdhsa_system_sgpr_workgroup_id_x 1
		.amdhsa_system_sgpr_workgroup_id_y 0
		.amdhsa_system_sgpr_workgroup_id_z 0
		.amdhsa_system_sgpr_workgroup_info 0
		.amdhsa_system_vgpr_workitem_id 0
		.amdhsa_next_free_vgpr 1
		.amdhsa_next_free_sgpr 0
		.amdhsa_reserve_vcc 0
		.amdhsa_reserve_flat_scratch 0
		.amdhsa_float_round_mode_32 0
		.amdhsa_float_round_mode_16_64 0
		.amdhsa_float_denorm_mode_32 3
		.amdhsa_float_denorm_mode_16_64 3
		.amdhsa_dx10_clamp 1
		.amdhsa_ieee_mode 1
		.amdhsa_fp16_overflow 0
		.amdhsa_exception_fp_ieee_invalid_op 0
		.amdhsa_exception_fp_denorm_src 0
		.amdhsa_exception_fp_ieee_div_zero 0
		.amdhsa_exception_fp_ieee_overflow 0
		.amdhsa_exception_fp_ieee_underflow 0
		.amdhsa_exception_fp_ieee_inexact 0
		.amdhsa_exception_int_div_zero 0
	.end_amdhsa_kernel
	.section	.text._ZN7rocprim17ROCPRIM_400000_NS6detail17trampoline_kernelINS0_14default_configENS1_36segmented_radix_sort_config_selectorIdlEEZNS1_25segmented_radix_sort_implIS3_Lb0EPKdPdPKlPlN2at6native12_GLOBAL__N_18offset_tEEE10hipError_tPvRmT1_PNSt15iterator_traitsISK_E10value_typeET2_T3_PNSL_ISQ_E10value_typeET4_jRbjT5_SW_jjP12ihipStream_tbEUlT_E2_NS1_11comp_targetILNS1_3genE10ELNS1_11target_archE1201ELNS1_3gpuE5ELNS1_3repE0EEENS1_30default_config_static_selectorELNS0_4arch9wavefront6targetE1EEEvSK_,"axG",@progbits,_ZN7rocprim17ROCPRIM_400000_NS6detail17trampoline_kernelINS0_14default_configENS1_36segmented_radix_sort_config_selectorIdlEEZNS1_25segmented_radix_sort_implIS3_Lb0EPKdPdPKlPlN2at6native12_GLOBAL__N_18offset_tEEE10hipError_tPvRmT1_PNSt15iterator_traitsISK_E10value_typeET2_T3_PNSL_ISQ_E10value_typeET4_jRbjT5_SW_jjP12ihipStream_tbEUlT_E2_NS1_11comp_targetILNS1_3genE10ELNS1_11target_archE1201ELNS1_3gpuE5ELNS1_3repE0EEENS1_30default_config_static_selectorELNS0_4arch9wavefront6targetE1EEEvSK_,comdat
.Lfunc_end1256:
	.size	_ZN7rocprim17ROCPRIM_400000_NS6detail17trampoline_kernelINS0_14default_configENS1_36segmented_radix_sort_config_selectorIdlEEZNS1_25segmented_radix_sort_implIS3_Lb0EPKdPdPKlPlN2at6native12_GLOBAL__N_18offset_tEEE10hipError_tPvRmT1_PNSt15iterator_traitsISK_E10value_typeET2_T3_PNSL_ISQ_E10value_typeET4_jRbjT5_SW_jjP12ihipStream_tbEUlT_E2_NS1_11comp_targetILNS1_3genE10ELNS1_11target_archE1201ELNS1_3gpuE5ELNS1_3repE0EEENS1_30default_config_static_selectorELNS0_4arch9wavefront6targetE1EEEvSK_, .Lfunc_end1256-_ZN7rocprim17ROCPRIM_400000_NS6detail17trampoline_kernelINS0_14default_configENS1_36segmented_radix_sort_config_selectorIdlEEZNS1_25segmented_radix_sort_implIS3_Lb0EPKdPdPKlPlN2at6native12_GLOBAL__N_18offset_tEEE10hipError_tPvRmT1_PNSt15iterator_traitsISK_E10value_typeET2_T3_PNSL_ISQ_E10value_typeET4_jRbjT5_SW_jjP12ihipStream_tbEUlT_E2_NS1_11comp_targetILNS1_3genE10ELNS1_11target_archE1201ELNS1_3gpuE5ELNS1_3repE0EEENS1_30default_config_static_selectorELNS0_4arch9wavefront6targetE1EEEvSK_
                                        ; -- End function
	.set _ZN7rocprim17ROCPRIM_400000_NS6detail17trampoline_kernelINS0_14default_configENS1_36segmented_radix_sort_config_selectorIdlEEZNS1_25segmented_radix_sort_implIS3_Lb0EPKdPdPKlPlN2at6native12_GLOBAL__N_18offset_tEEE10hipError_tPvRmT1_PNSt15iterator_traitsISK_E10value_typeET2_T3_PNSL_ISQ_E10value_typeET4_jRbjT5_SW_jjP12ihipStream_tbEUlT_E2_NS1_11comp_targetILNS1_3genE10ELNS1_11target_archE1201ELNS1_3gpuE5ELNS1_3repE0EEENS1_30default_config_static_selectorELNS0_4arch9wavefront6targetE1EEEvSK_.num_vgpr, 0
	.set _ZN7rocprim17ROCPRIM_400000_NS6detail17trampoline_kernelINS0_14default_configENS1_36segmented_radix_sort_config_selectorIdlEEZNS1_25segmented_radix_sort_implIS3_Lb0EPKdPdPKlPlN2at6native12_GLOBAL__N_18offset_tEEE10hipError_tPvRmT1_PNSt15iterator_traitsISK_E10value_typeET2_T3_PNSL_ISQ_E10value_typeET4_jRbjT5_SW_jjP12ihipStream_tbEUlT_E2_NS1_11comp_targetILNS1_3genE10ELNS1_11target_archE1201ELNS1_3gpuE5ELNS1_3repE0EEENS1_30default_config_static_selectorELNS0_4arch9wavefront6targetE1EEEvSK_.num_agpr, 0
	.set _ZN7rocprim17ROCPRIM_400000_NS6detail17trampoline_kernelINS0_14default_configENS1_36segmented_radix_sort_config_selectorIdlEEZNS1_25segmented_radix_sort_implIS3_Lb0EPKdPdPKlPlN2at6native12_GLOBAL__N_18offset_tEEE10hipError_tPvRmT1_PNSt15iterator_traitsISK_E10value_typeET2_T3_PNSL_ISQ_E10value_typeET4_jRbjT5_SW_jjP12ihipStream_tbEUlT_E2_NS1_11comp_targetILNS1_3genE10ELNS1_11target_archE1201ELNS1_3gpuE5ELNS1_3repE0EEENS1_30default_config_static_selectorELNS0_4arch9wavefront6targetE1EEEvSK_.numbered_sgpr, 0
	.set _ZN7rocprim17ROCPRIM_400000_NS6detail17trampoline_kernelINS0_14default_configENS1_36segmented_radix_sort_config_selectorIdlEEZNS1_25segmented_radix_sort_implIS3_Lb0EPKdPdPKlPlN2at6native12_GLOBAL__N_18offset_tEEE10hipError_tPvRmT1_PNSt15iterator_traitsISK_E10value_typeET2_T3_PNSL_ISQ_E10value_typeET4_jRbjT5_SW_jjP12ihipStream_tbEUlT_E2_NS1_11comp_targetILNS1_3genE10ELNS1_11target_archE1201ELNS1_3gpuE5ELNS1_3repE0EEENS1_30default_config_static_selectorELNS0_4arch9wavefront6targetE1EEEvSK_.num_named_barrier, 0
	.set _ZN7rocprim17ROCPRIM_400000_NS6detail17trampoline_kernelINS0_14default_configENS1_36segmented_radix_sort_config_selectorIdlEEZNS1_25segmented_radix_sort_implIS3_Lb0EPKdPdPKlPlN2at6native12_GLOBAL__N_18offset_tEEE10hipError_tPvRmT1_PNSt15iterator_traitsISK_E10value_typeET2_T3_PNSL_ISQ_E10value_typeET4_jRbjT5_SW_jjP12ihipStream_tbEUlT_E2_NS1_11comp_targetILNS1_3genE10ELNS1_11target_archE1201ELNS1_3gpuE5ELNS1_3repE0EEENS1_30default_config_static_selectorELNS0_4arch9wavefront6targetE1EEEvSK_.private_seg_size, 0
	.set _ZN7rocprim17ROCPRIM_400000_NS6detail17trampoline_kernelINS0_14default_configENS1_36segmented_radix_sort_config_selectorIdlEEZNS1_25segmented_radix_sort_implIS3_Lb0EPKdPdPKlPlN2at6native12_GLOBAL__N_18offset_tEEE10hipError_tPvRmT1_PNSt15iterator_traitsISK_E10value_typeET2_T3_PNSL_ISQ_E10value_typeET4_jRbjT5_SW_jjP12ihipStream_tbEUlT_E2_NS1_11comp_targetILNS1_3genE10ELNS1_11target_archE1201ELNS1_3gpuE5ELNS1_3repE0EEENS1_30default_config_static_selectorELNS0_4arch9wavefront6targetE1EEEvSK_.uses_vcc, 0
	.set _ZN7rocprim17ROCPRIM_400000_NS6detail17trampoline_kernelINS0_14default_configENS1_36segmented_radix_sort_config_selectorIdlEEZNS1_25segmented_radix_sort_implIS3_Lb0EPKdPdPKlPlN2at6native12_GLOBAL__N_18offset_tEEE10hipError_tPvRmT1_PNSt15iterator_traitsISK_E10value_typeET2_T3_PNSL_ISQ_E10value_typeET4_jRbjT5_SW_jjP12ihipStream_tbEUlT_E2_NS1_11comp_targetILNS1_3genE10ELNS1_11target_archE1201ELNS1_3gpuE5ELNS1_3repE0EEENS1_30default_config_static_selectorELNS0_4arch9wavefront6targetE1EEEvSK_.uses_flat_scratch, 0
	.set _ZN7rocprim17ROCPRIM_400000_NS6detail17trampoline_kernelINS0_14default_configENS1_36segmented_radix_sort_config_selectorIdlEEZNS1_25segmented_radix_sort_implIS3_Lb0EPKdPdPKlPlN2at6native12_GLOBAL__N_18offset_tEEE10hipError_tPvRmT1_PNSt15iterator_traitsISK_E10value_typeET2_T3_PNSL_ISQ_E10value_typeET4_jRbjT5_SW_jjP12ihipStream_tbEUlT_E2_NS1_11comp_targetILNS1_3genE10ELNS1_11target_archE1201ELNS1_3gpuE5ELNS1_3repE0EEENS1_30default_config_static_selectorELNS0_4arch9wavefront6targetE1EEEvSK_.has_dyn_sized_stack, 0
	.set _ZN7rocprim17ROCPRIM_400000_NS6detail17trampoline_kernelINS0_14default_configENS1_36segmented_radix_sort_config_selectorIdlEEZNS1_25segmented_radix_sort_implIS3_Lb0EPKdPdPKlPlN2at6native12_GLOBAL__N_18offset_tEEE10hipError_tPvRmT1_PNSt15iterator_traitsISK_E10value_typeET2_T3_PNSL_ISQ_E10value_typeET4_jRbjT5_SW_jjP12ihipStream_tbEUlT_E2_NS1_11comp_targetILNS1_3genE10ELNS1_11target_archE1201ELNS1_3gpuE5ELNS1_3repE0EEENS1_30default_config_static_selectorELNS0_4arch9wavefront6targetE1EEEvSK_.has_recursion, 0
	.set _ZN7rocprim17ROCPRIM_400000_NS6detail17trampoline_kernelINS0_14default_configENS1_36segmented_radix_sort_config_selectorIdlEEZNS1_25segmented_radix_sort_implIS3_Lb0EPKdPdPKlPlN2at6native12_GLOBAL__N_18offset_tEEE10hipError_tPvRmT1_PNSt15iterator_traitsISK_E10value_typeET2_T3_PNSL_ISQ_E10value_typeET4_jRbjT5_SW_jjP12ihipStream_tbEUlT_E2_NS1_11comp_targetILNS1_3genE10ELNS1_11target_archE1201ELNS1_3gpuE5ELNS1_3repE0EEENS1_30default_config_static_selectorELNS0_4arch9wavefront6targetE1EEEvSK_.has_indirect_call, 0
	.section	.AMDGPU.csdata,"",@progbits
; Kernel info:
; codeLenInByte = 0
; TotalNumSgprs: 4
; NumVgprs: 0
; ScratchSize: 0
; MemoryBound: 0
; FloatMode: 240
; IeeeMode: 1
; LDSByteSize: 0 bytes/workgroup (compile time only)
; SGPRBlocks: 0
; VGPRBlocks: 0
; NumSGPRsForWavesPerEU: 4
; NumVGPRsForWavesPerEU: 1
; Occupancy: 10
; WaveLimiterHint : 0
; COMPUTE_PGM_RSRC2:SCRATCH_EN: 0
; COMPUTE_PGM_RSRC2:USER_SGPR: 6
; COMPUTE_PGM_RSRC2:TRAP_HANDLER: 0
; COMPUTE_PGM_RSRC2:TGID_X_EN: 1
; COMPUTE_PGM_RSRC2:TGID_Y_EN: 0
; COMPUTE_PGM_RSRC2:TGID_Z_EN: 0
; COMPUTE_PGM_RSRC2:TIDIG_COMP_CNT: 0
	.section	.text._ZN7rocprim17ROCPRIM_400000_NS6detail17trampoline_kernelINS0_14default_configENS1_36segmented_radix_sort_config_selectorIdlEEZNS1_25segmented_radix_sort_implIS3_Lb0EPKdPdPKlPlN2at6native12_GLOBAL__N_18offset_tEEE10hipError_tPvRmT1_PNSt15iterator_traitsISK_E10value_typeET2_T3_PNSL_ISQ_E10value_typeET4_jRbjT5_SW_jjP12ihipStream_tbEUlT_E2_NS1_11comp_targetILNS1_3genE10ELNS1_11target_archE1200ELNS1_3gpuE4ELNS1_3repE0EEENS1_30default_config_static_selectorELNS0_4arch9wavefront6targetE1EEEvSK_,"axG",@progbits,_ZN7rocprim17ROCPRIM_400000_NS6detail17trampoline_kernelINS0_14default_configENS1_36segmented_radix_sort_config_selectorIdlEEZNS1_25segmented_radix_sort_implIS3_Lb0EPKdPdPKlPlN2at6native12_GLOBAL__N_18offset_tEEE10hipError_tPvRmT1_PNSt15iterator_traitsISK_E10value_typeET2_T3_PNSL_ISQ_E10value_typeET4_jRbjT5_SW_jjP12ihipStream_tbEUlT_E2_NS1_11comp_targetILNS1_3genE10ELNS1_11target_archE1200ELNS1_3gpuE4ELNS1_3repE0EEENS1_30default_config_static_selectorELNS0_4arch9wavefront6targetE1EEEvSK_,comdat
	.globl	_ZN7rocprim17ROCPRIM_400000_NS6detail17trampoline_kernelINS0_14default_configENS1_36segmented_radix_sort_config_selectorIdlEEZNS1_25segmented_radix_sort_implIS3_Lb0EPKdPdPKlPlN2at6native12_GLOBAL__N_18offset_tEEE10hipError_tPvRmT1_PNSt15iterator_traitsISK_E10value_typeET2_T3_PNSL_ISQ_E10value_typeET4_jRbjT5_SW_jjP12ihipStream_tbEUlT_E2_NS1_11comp_targetILNS1_3genE10ELNS1_11target_archE1200ELNS1_3gpuE4ELNS1_3repE0EEENS1_30default_config_static_selectorELNS0_4arch9wavefront6targetE1EEEvSK_ ; -- Begin function _ZN7rocprim17ROCPRIM_400000_NS6detail17trampoline_kernelINS0_14default_configENS1_36segmented_radix_sort_config_selectorIdlEEZNS1_25segmented_radix_sort_implIS3_Lb0EPKdPdPKlPlN2at6native12_GLOBAL__N_18offset_tEEE10hipError_tPvRmT1_PNSt15iterator_traitsISK_E10value_typeET2_T3_PNSL_ISQ_E10value_typeET4_jRbjT5_SW_jjP12ihipStream_tbEUlT_E2_NS1_11comp_targetILNS1_3genE10ELNS1_11target_archE1200ELNS1_3gpuE4ELNS1_3repE0EEENS1_30default_config_static_selectorELNS0_4arch9wavefront6targetE1EEEvSK_
	.p2align	8
	.type	_ZN7rocprim17ROCPRIM_400000_NS6detail17trampoline_kernelINS0_14default_configENS1_36segmented_radix_sort_config_selectorIdlEEZNS1_25segmented_radix_sort_implIS3_Lb0EPKdPdPKlPlN2at6native12_GLOBAL__N_18offset_tEEE10hipError_tPvRmT1_PNSt15iterator_traitsISK_E10value_typeET2_T3_PNSL_ISQ_E10value_typeET4_jRbjT5_SW_jjP12ihipStream_tbEUlT_E2_NS1_11comp_targetILNS1_3genE10ELNS1_11target_archE1200ELNS1_3gpuE4ELNS1_3repE0EEENS1_30default_config_static_selectorELNS0_4arch9wavefront6targetE1EEEvSK_,@function
_ZN7rocprim17ROCPRIM_400000_NS6detail17trampoline_kernelINS0_14default_configENS1_36segmented_radix_sort_config_selectorIdlEEZNS1_25segmented_radix_sort_implIS3_Lb0EPKdPdPKlPlN2at6native12_GLOBAL__N_18offset_tEEE10hipError_tPvRmT1_PNSt15iterator_traitsISK_E10value_typeET2_T3_PNSL_ISQ_E10value_typeET4_jRbjT5_SW_jjP12ihipStream_tbEUlT_E2_NS1_11comp_targetILNS1_3genE10ELNS1_11target_archE1200ELNS1_3gpuE4ELNS1_3repE0EEENS1_30default_config_static_selectorELNS0_4arch9wavefront6targetE1EEEvSK_: ; @_ZN7rocprim17ROCPRIM_400000_NS6detail17trampoline_kernelINS0_14default_configENS1_36segmented_radix_sort_config_selectorIdlEEZNS1_25segmented_radix_sort_implIS3_Lb0EPKdPdPKlPlN2at6native12_GLOBAL__N_18offset_tEEE10hipError_tPvRmT1_PNSt15iterator_traitsISK_E10value_typeET2_T3_PNSL_ISQ_E10value_typeET4_jRbjT5_SW_jjP12ihipStream_tbEUlT_E2_NS1_11comp_targetILNS1_3genE10ELNS1_11target_archE1200ELNS1_3gpuE4ELNS1_3repE0EEENS1_30default_config_static_selectorELNS0_4arch9wavefront6targetE1EEEvSK_
; %bb.0:
	.section	.rodata,"a",@progbits
	.p2align	6, 0x0
	.amdhsa_kernel _ZN7rocprim17ROCPRIM_400000_NS6detail17trampoline_kernelINS0_14default_configENS1_36segmented_radix_sort_config_selectorIdlEEZNS1_25segmented_radix_sort_implIS3_Lb0EPKdPdPKlPlN2at6native12_GLOBAL__N_18offset_tEEE10hipError_tPvRmT1_PNSt15iterator_traitsISK_E10value_typeET2_T3_PNSL_ISQ_E10value_typeET4_jRbjT5_SW_jjP12ihipStream_tbEUlT_E2_NS1_11comp_targetILNS1_3genE10ELNS1_11target_archE1200ELNS1_3gpuE4ELNS1_3repE0EEENS1_30default_config_static_selectorELNS0_4arch9wavefront6targetE1EEEvSK_
		.amdhsa_group_segment_fixed_size 0
		.amdhsa_private_segment_fixed_size 0
		.amdhsa_kernarg_size 80
		.amdhsa_user_sgpr_count 6
		.amdhsa_user_sgpr_private_segment_buffer 1
		.amdhsa_user_sgpr_dispatch_ptr 0
		.amdhsa_user_sgpr_queue_ptr 0
		.amdhsa_user_sgpr_kernarg_segment_ptr 1
		.amdhsa_user_sgpr_dispatch_id 0
		.amdhsa_user_sgpr_flat_scratch_init 0
		.amdhsa_user_sgpr_private_segment_size 0
		.amdhsa_uses_dynamic_stack 0
		.amdhsa_system_sgpr_private_segment_wavefront_offset 0
		.amdhsa_system_sgpr_workgroup_id_x 1
		.amdhsa_system_sgpr_workgroup_id_y 0
		.amdhsa_system_sgpr_workgroup_id_z 0
		.amdhsa_system_sgpr_workgroup_info 0
		.amdhsa_system_vgpr_workitem_id 0
		.amdhsa_next_free_vgpr 1
		.amdhsa_next_free_sgpr 0
		.amdhsa_reserve_vcc 0
		.amdhsa_reserve_flat_scratch 0
		.amdhsa_float_round_mode_32 0
		.amdhsa_float_round_mode_16_64 0
		.amdhsa_float_denorm_mode_32 3
		.amdhsa_float_denorm_mode_16_64 3
		.amdhsa_dx10_clamp 1
		.amdhsa_ieee_mode 1
		.amdhsa_fp16_overflow 0
		.amdhsa_exception_fp_ieee_invalid_op 0
		.amdhsa_exception_fp_denorm_src 0
		.amdhsa_exception_fp_ieee_div_zero 0
		.amdhsa_exception_fp_ieee_overflow 0
		.amdhsa_exception_fp_ieee_underflow 0
		.amdhsa_exception_fp_ieee_inexact 0
		.amdhsa_exception_int_div_zero 0
	.end_amdhsa_kernel
	.section	.text._ZN7rocprim17ROCPRIM_400000_NS6detail17trampoline_kernelINS0_14default_configENS1_36segmented_radix_sort_config_selectorIdlEEZNS1_25segmented_radix_sort_implIS3_Lb0EPKdPdPKlPlN2at6native12_GLOBAL__N_18offset_tEEE10hipError_tPvRmT1_PNSt15iterator_traitsISK_E10value_typeET2_T3_PNSL_ISQ_E10value_typeET4_jRbjT5_SW_jjP12ihipStream_tbEUlT_E2_NS1_11comp_targetILNS1_3genE10ELNS1_11target_archE1200ELNS1_3gpuE4ELNS1_3repE0EEENS1_30default_config_static_selectorELNS0_4arch9wavefront6targetE1EEEvSK_,"axG",@progbits,_ZN7rocprim17ROCPRIM_400000_NS6detail17trampoline_kernelINS0_14default_configENS1_36segmented_radix_sort_config_selectorIdlEEZNS1_25segmented_radix_sort_implIS3_Lb0EPKdPdPKlPlN2at6native12_GLOBAL__N_18offset_tEEE10hipError_tPvRmT1_PNSt15iterator_traitsISK_E10value_typeET2_T3_PNSL_ISQ_E10value_typeET4_jRbjT5_SW_jjP12ihipStream_tbEUlT_E2_NS1_11comp_targetILNS1_3genE10ELNS1_11target_archE1200ELNS1_3gpuE4ELNS1_3repE0EEENS1_30default_config_static_selectorELNS0_4arch9wavefront6targetE1EEEvSK_,comdat
.Lfunc_end1257:
	.size	_ZN7rocprim17ROCPRIM_400000_NS6detail17trampoline_kernelINS0_14default_configENS1_36segmented_radix_sort_config_selectorIdlEEZNS1_25segmented_radix_sort_implIS3_Lb0EPKdPdPKlPlN2at6native12_GLOBAL__N_18offset_tEEE10hipError_tPvRmT1_PNSt15iterator_traitsISK_E10value_typeET2_T3_PNSL_ISQ_E10value_typeET4_jRbjT5_SW_jjP12ihipStream_tbEUlT_E2_NS1_11comp_targetILNS1_3genE10ELNS1_11target_archE1200ELNS1_3gpuE4ELNS1_3repE0EEENS1_30default_config_static_selectorELNS0_4arch9wavefront6targetE1EEEvSK_, .Lfunc_end1257-_ZN7rocprim17ROCPRIM_400000_NS6detail17trampoline_kernelINS0_14default_configENS1_36segmented_radix_sort_config_selectorIdlEEZNS1_25segmented_radix_sort_implIS3_Lb0EPKdPdPKlPlN2at6native12_GLOBAL__N_18offset_tEEE10hipError_tPvRmT1_PNSt15iterator_traitsISK_E10value_typeET2_T3_PNSL_ISQ_E10value_typeET4_jRbjT5_SW_jjP12ihipStream_tbEUlT_E2_NS1_11comp_targetILNS1_3genE10ELNS1_11target_archE1200ELNS1_3gpuE4ELNS1_3repE0EEENS1_30default_config_static_selectorELNS0_4arch9wavefront6targetE1EEEvSK_
                                        ; -- End function
	.set _ZN7rocprim17ROCPRIM_400000_NS6detail17trampoline_kernelINS0_14default_configENS1_36segmented_radix_sort_config_selectorIdlEEZNS1_25segmented_radix_sort_implIS3_Lb0EPKdPdPKlPlN2at6native12_GLOBAL__N_18offset_tEEE10hipError_tPvRmT1_PNSt15iterator_traitsISK_E10value_typeET2_T3_PNSL_ISQ_E10value_typeET4_jRbjT5_SW_jjP12ihipStream_tbEUlT_E2_NS1_11comp_targetILNS1_3genE10ELNS1_11target_archE1200ELNS1_3gpuE4ELNS1_3repE0EEENS1_30default_config_static_selectorELNS0_4arch9wavefront6targetE1EEEvSK_.num_vgpr, 0
	.set _ZN7rocprim17ROCPRIM_400000_NS6detail17trampoline_kernelINS0_14default_configENS1_36segmented_radix_sort_config_selectorIdlEEZNS1_25segmented_radix_sort_implIS3_Lb0EPKdPdPKlPlN2at6native12_GLOBAL__N_18offset_tEEE10hipError_tPvRmT1_PNSt15iterator_traitsISK_E10value_typeET2_T3_PNSL_ISQ_E10value_typeET4_jRbjT5_SW_jjP12ihipStream_tbEUlT_E2_NS1_11comp_targetILNS1_3genE10ELNS1_11target_archE1200ELNS1_3gpuE4ELNS1_3repE0EEENS1_30default_config_static_selectorELNS0_4arch9wavefront6targetE1EEEvSK_.num_agpr, 0
	.set _ZN7rocprim17ROCPRIM_400000_NS6detail17trampoline_kernelINS0_14default_configENS1_36segmented_radix_sort_config_selectorIdlEEZNS1_25segmented_radix_sort_implIS3_Lb0EPKdPdPKlPlN2at6native12_GLOBAL__N_18offset_tEEE10hipError_tPvRmT1_PNSt15iterator_traitsISK_E10value_typeET2_T3_PNSL_ISQ_E10value_typeET4_jRbjT5_SW_jjP12ihipStream_tbEUlT_E2_NS1_11comp_targetILNS1_3genE10ELNS1_11target_archE1200ELNS1_3gpuE4ELNS1_3repE0EEENS1_30default_config_static_selectorELNS0_4arch9wavefront6targetE1EEEvSK_.numbered_sgpr, 0
	.set _ZN7rocprim17ROCPRIM_400000_NS6detail17trampoline_kernelINS0_14default_configENS1_36segmented_radix_sort_config_selectorIdlEEZNS1_25segmented_radix_sort_implIS3_Lb0EPKdPdPKlPlN2at6native12_GLOBAL__N_18offset_tEEE10hipError_tPvRmT1_PNSt15iterator_traitsISK_E10value_typeET2_T3_PNSL_ISQ_E10value_typeET4_jRbjT5_SW_jjP12ihipStream_tbEUlT_E2_NS1_11comp_targetILNS1_3genE10ELNS1_11target_archE1200ELNS1_3gpuE4ELNS1_3repE0EEENS1_30default_config_static_selectorELNS0_4arch9wavefront6targetE1EEEvSK_.num_named_barrier, 0
	.set _ZN7rocprim17ROCPRIM_400000_NS6detail17trampoline_kernelINS0_14default_configENS1_36segmented_radix_sort_config_selectorIdlEEZNS1_25segmented_radix_sort_implIS3_Lb0EPKdPdPKlPlN2at6native12_GLOBAL__N_18offset_tEEE10hipError_tPvRmT1_PNSt15iterator_traitsISK_E10value_typeET2_T3_PNSL_ISQ_E10value_typeET4_jRbjT5_SW_jjP12ihipStream_tbEUlT_E2_NS1_11comp_targetILNS1_3genE10ELNS1_11target_archE1200ELNS1_3gpuE4ELNS1_3repE0EEENS1_30default_config_static_selectorELNS0_4arch9wavefront6targetE1EEEvSK_.private_seg_size, 0
	.set _ZN7rocprim17ROCPRIM_400000_NS6detail17trampoline_kernelINS0_14default_configENS1_36segmented_radix_sort_config_selectorIdlEEZNS1_25segmented_radix_sort_implIS3_Lb0EPKdPdPKlPlN2at6native12_GLOBAL__N_18offset_tEEE10hipError_tPvRmT1_PNSt15iterator_traitsISK_E10value_typeET2_T3_PNSL_ISQ_E10value_typeET4_jRbjT5_SW_jjP12ihipStream_tbEUlT_E2_NS1_11comp_targetILNS1_3genE10ELNS1_11target_archE1200ELNS1_3gpuE4ELNS1_3repE0EEENS1_30default_config_static_selectorELNS0_4arch9wavefront6targetE1EEEvSK_.uses_vcc, 0
	.set _ZN7rocprim17ROCPRIM_400000_NS6detail17trampoline_kernelINS0_14default_configENS1_36segmented_radix_sort_config_selectorIdlEEZNS1_25segmented_radix_sort_implIS3_Lb0EPKdPdPKlPlN2at6native12_GLOBAL__N_18offset_tEEE10hipError_tPvRmT1_PNSt15iterator_traitsISK_E10value_typeET2_T3_PNSL_ISQ_E10value_typeET4_jRbjT5_SW_jjP12ihipStream_tbEUlT_E2_NS1_11comp_targetILNS1_3genE10ELNS1_11target_archE1200ELNS1_3gpuE4ELNS1_3repE0EEENS1_30default_config_static_selectorELNS0_4arch9wavefront6targetE1EEEvSK_.uses_flat_scratch, 0
	.set _ZN7rocprim17ROCPRIM_400000_NS6detail17trampoline_kernelINS0_14default_configENS1_36segmented_radix_sort_config_selectorIdlEEZNS1_25segmented_radix_sort_implIS3_Lb0EPKdPdPKlPlN2at6native12_GLOBAL__N_18offset_tEEE10hipError_tPvRmT1_PNSt15iterator_traitsISK_E10value_typeET2_T3_PNSL_ISQ_E10value_typeET4_jRbjT5_SW_jjP12ihipStream_tbEUlT_E2_NS1_11comp_targetILNS1_3genE10ELNS1_11target_archE1200ELNS1_3gpuE4ELNS1_3repE0EEENS1_30default_config_static_selectorELNS0_4arch9wavefront6targetE1EEEvSK_.has_dyn_sized_stack, 0
	.set _ZN7rocprim17ROCPRIM_400000_NS6detail17trampoline_kernelINS0_14default_configENS1_36segmented_radix_sort_config_selectorIdlEEZNS1_25segmented_radix_sort_implIS3_Lb0EPKdPdPKlPlN2at6native12_GLOBAL__N_18offset_tEEE10hipError_tPvRmT1_PNSt15iterator_traitsISK_E10value_typeET2_T3_PNSL_ISQ_E10value_typeET4_jRbjT5_SW_jjP12ihipStream_tbEUlT_E2_NS1_11comp_targetILNS1_3genE10ELNS1_11target_archE1200ELNS1_3gpuE4ELNS1_3repE0EEENS1_30default_config_static_selectorELNS0_4arch9wavefront6targetE1EEEvSK_.has_recursion, 0
	.set _ZN7rocprim17ROCPRIM_400000_NS6detail17trampoline_kernelINS0_14default_configENS1_36segmented_radix_sort_config_selectorIdlEEZNS1_25segmented_radix_sort_implIS3_Lb0EPKdPdPKlPlN2at6native12_GLOBAL__N_18offset_tEEE10hipError_tPvRmT1_PNSt15iterator_traitsISK_E10value_typeET2_T3_PNSL_ISQ_E10value_typeET4_jRbjT5_SW_jjP12ihipStream_tbEUlT_E2_NS1_11comp_targetILNS1_3genE10ELNS1_11target_archE1200ELNS1_3gpuE4ELNS1_3repE0EEENS1_30default_config_static_selectorELNS0_4arch9wavefront6targetE1EEEvSK_.has_indirect_call, 0
	.section	.AMDGPU.csdata,"",@progbits
; Kernel info:
; codeLenInByte = 0
; TotalNumSgprs: 4
; NumVgprs: 0
; ScratchSize: 0
; MemoryBound: 0
; FloatMode: 240
; IeeeMode: 1
; LDSByteSize: 0 bytes/workgroup (compile time only)
; SGPRBlocks: 0
; VGPRBlocks: 0
; NumSGPRsForWavesPerEU: 4
; NumVGPRsForWavesPerEU: 1
; Occupancy: 10
; WaveLimiterHint : 0
; COMPUTE_PGM_RSRC2:SCRATCH_EN: 0
; COMPUTE_PGM_RSRC2:USER_SGPR: 6
; COMPUTE_PGM_RSRC2:TRAP_HANDLER: 0
; COMPUTE_PGM_RSRC2:TGID_X_EN: 1
; COMPUTE_PGM_RSRC2:TGID_Y_EN: 0
; COMPUTE_PGM_RSRC2:TGID_Z_EN: 0
; COMPUTE_PGM_RSRC2:TIDIG_COMP_CNT: 0
	.section	.text._ZN7rocprim17ROCPRIM_400000_NS6detail17trampoline_kernelINS0_14default_configENS1_36segmented_radix_sort_config_selectorIdlEEZNS1_25segmented_radix_sort_implIS3_Lb0EPKdPdPKlPlN2at6native12_GLOBAL__N_18offset_tEEE10hipError_tPvRmT1_PNSt15iterator_traitsISK_E10value_typeET2_T3_PNSL_ISQ_E10value_typeET4_jRbjT5_SW_jjP12ihipStream_tbEUlT_E2_NS1_11comp_targetILNS1_3genE9ELNS1_11target_archE1100ELNS1_3gpuE3ELNS1_3repE0EEENS1_30default_config_static_selectorELNS0_4arch9wavefront6targetE1EEEvSK_,"axG",@progbits,_ZN7rocprim17ROCPRIM_400000_NS6detail17trampoline_kernelINS0_14default_configENS1_36segmented_radix_sort_config_selectorIdlEEZNS1_25segmented_radix_sort_implIS3_Lb0EPKdPdPKlPlN2at6native12_GLOBAL__N_18offset_tEEE10hipError_tPvRmT1_PNSt15iterator_traitsISK_E10value_typeET2_T3_PNSL_ISQ_E10value_typeET4_jRbjT5_SW_jjP12ihipStream_tbEUlT_E2_NS1_11comp_targetILNS1_3genE9ELNS1_11target_archE1100ELNS1_3gpuE3ELNS1_3repE0EEENS1_30default_config_static_selectorELNS0_4arch9wavefront6targetE1EEEvSK_,comdat
	.globl	_ZN7rocprim17ROCPRIM_400000_NS6detail17trampoline_kernelINS0_14default_configENS1_36segmented_radix_sort_config_selectorIdlEEZNS1_25segmented_radix_sort_implIS3_Lb0EPKdPdPKlPlN2at6native12_GLOBAL__N_18offset_tEEE10hipError_tPvRmT1_PNSt15iterator_traitsISK_E10value_typeET2_T3_PNSL_ISQ_E10value_typeET4_jRbjT5_SW_jjP12ihipStream_tbEUlT_E2_NS1_11comp_targetILNS1_3genE9ELNS1_11target_archE1100ELNS1_3gpuE3ELNS1_3repE0EEENS1_30default_config_static_selectorELNS0_4arch9wavefront6targetE1EEEvSK_ ; -- Begin function _ZN7rocprim17ROCPRIM_400000_NS6detail17trampoline_kernelINS0_14default_configENS1_36segmented_radix_sort_config_selectorIdlEEZNS1_25segmented_radix_sort_implIS3_Lb0EPKdPdPKlPlN2at6native12_GLOBAL__N_18offset_tEEE10hipError_tPvRmT1_PNSt15iterator_traitsISK_E10value_typeET2_T3_PNSL_ISQ_E10value_typeET4_jRbjT5_SW_jjP12ihipStream_tbEUlT_E2_NS1_11comp_targetILNS1_3genE9ELNS1_11target_archE1100ELNS1_3gpuE3ELNS1_3repE0EEENS1_30default_config_static_selectorELNS0_4arch9wavefront6targetE1EEEvSK_
	.p2align	8
	.type	_ZN7rocprim17ROCPRIM_400000_NS6detail17trampoline_kernelINS0_14default_configENS1_36segmented_radix_sort_config_selectorIdlEEZNS1_25segmented_radix_sort_implIS3_Lb0EPKdPdPKlPlN2at6native12_GLOBAL__N_18offset_tEEE10hipError_tPvRmT1_PNSt15iterator_traitsISK_E10value_typeET2_T3_PNSL_ISQ_E10value_typeET4_jRbjT5_SW_jjP12ihipStream_tbEUlT_E2_NS1_11comp_targetILNS1_3genE9ELNS1_11target_archE1100ELNS1_3gpuE3ELNS1_3repE0EEENS1_30default_config_static_selectorELNS0_4arch9wavefront6targetE1EEEvSK_,@function
_ZN7rocprim17ROCPRIM_400000_NS6detail17trampoline_kernelINS0_14default_configENS1_36segmented_radix_sort_config_selectorIdlEEZNS1_25segmented_radix_sort_implIS3_Lb0EPKdPdPKlPlN2at6native12_GLOBAL__N_18offset_tEEE10hipError_tPvRmT1_PNSt15iterator_traitsISK_E10value_typeET2_T3_PNSL_ISQ_E10value_typeET4_jRbjT5_SW_jjP12ihipStream_tbEUlT_E2_NS1_11comp_targetILNS1_3genE9ELNS1_11target_archE1100ELNS1_3gpuE3ELNS1_3repE0EEENS1_30default_config_static_selectorELNS0_4arch9wavefront6targetE1EEEvSK_: ; @_ZN7rocprim17ROCPRIM_400000_NS6detail17trampoline_kernelINS0_14default_configENS1_36segmented_radix_sort_config_selectorIdlEEZNS1_25segmented_radix_sort_implIS3_Lb0EPKdPdPKlPlN2at6native12_GLOBAL__N_18offset_tEEE10hipError_tPvRmT1_PNSt15iterator_traitsISK_E10value_typeET2_T3_PNSL_ISQ_E10value_typeET4_jRbjT5_SW_jjP12ihipStream_tbEUlT_E2_NS1_11comp_targetILNS1_3genE9ELNS1_11target_archE1100ELNS1_3gpuE3ELNS1_3repE0EEENS1_30default_config_static_selectorELNS0_4arch9wavefront6targetE1EEEvSK_
; %bb.0:
	.section	.rodata,"a",@progbits
	.p2align	6, 0x0
	.amdhsa_kernel _ZN7rocprim17ROCPRIM_400000_NS6detail17trampoline_kernelINS0_14default_configENS1_36segmented_radix_sort_config_selectorIdlEEZNS1_25segmented_radix_sort_implIS3_Lb0EPKdPdPKlPlN2at6native12_GLOBAL__N_18offset_tEEE10hipError_tPvRmT1_PNSt15iterator_traitsISK_E10value_typeET2_T3_PNSL_ISQ_E10value_typeET4_jRbjT5_SW_jjP12ihipStream_tbEUlT_E2_NS1_11comp_targetILNS1_3genE9ELNS1_11target_archE1100ELNS1_3gpuE3ELNS1_3repE0EEENS1_30default_config_static_selectorELNS0_4arch9wavefront6targetE1EEEvSK_
		.amdhsa_group_segment_fixed_size 0
		.amdhsa_private_segment_fixed_size 0
		.amdhsa_kernarg_size 80
		.amdhsa_user_sgpr_count 6
		.amdhsa_user_sgpr_private_segment_buffer 1
		.amdhsa_user_sgpr_dispatch_ptr 0
		.amdhsa_user_sgpr_queue_ptr 0
		.amdhsa_user_sgpr_kernarg_segment_ptr 1
		.amdhsa_user_sgpr_dispatch_id 0
		.amdhsa_user_sgpr_flat_scratch_init 0
		.amdhsa_user_sgpr_private_segment_size 0
		.amdhsa_uses_dynamic_stack 0
		.amdhsa_system_sgpr_private_segment_wavefront_offset 0
		.amdhsa_system_sgpr_workgroup_id_x 1
		.amdhsa_system_sgpr_workgroup_id_y 0
		.amdhsa_system_sgpr_workgroup_id_z 0
		.amdhsa_system_sgpr_workgroup_info 0
		.amdhsa_system_vgpr_workitem_id 0
		.amdhsa_next_free_vgpr 1
		.amdhsa_next_free_sgpr 0
		.amdhsa_reserve_vcc 0
		.amdhsa_reserve_flat_scratch 0
		.amdhsa_float_round_mode_32 0
		.amdhsa_float_round_mode_16_64 0
		.amdhsa_float_denorm_mode_32 3
		.amdhsa_float_denorm_mode_16_64 3
		.amdhsa_dx10_clamp 1
		.amdhsa_ieee_mode 1
		.amdhsa_fp16_overflow 0
		.amdhsa_exception_fp_ieee_invalid_op 0
		.amdhsa_exception_fp_denorm_src 0
		.amdhsa_exception_fp_ieee_div_zero 0
		.amdhsa_exception_fp_ieee_overflow 0
		.amdhsa_exception_fp_ieee_underflow 0
		.amdhsa_exception_fp_ieee_inexact 0
		.amdhsa_exception_int_div_zero 0
	.end_amdhsa_kernel
	.section	.text._ZN7rocprim17ROCPRIM_400000_NS6detail17trampoline_kernelINS0_14default_configENS1_36segmented_radix_sort_config_selectorIdlEEZNS1_25segmented_radix_sort_implIS3_Lb0EPKdPdPKlPlN2at6native12_GLOBAL__N_18offset_tEEE10hipError_tPvRmT1_PNSt15iterator_traitsISK_E10value_typeET2_T3_PNSL_ISQ_E10value_typeET4_jRbjT5_SW_jjP12ihipStream_tbEUlT_E2_NS1_11comp_targetILNS1_3genE9ELNS1_11target_archE1100ELNS1_3gpuE3ELNS1_3repE0EEENS1_30default_config_static_selectorELNS0_4arch9wavefront6targetE1EEEvSK_,"axG",@progbits,_ZN7rocprim17ROCPRIM_400000_NS6detail17trampoline_kernelINS0_14default_configENS1_36segmented_radix_sort_config_selectorIdlEEZNS1_25segmented_radix_sort_implIS3_Lb0EPKdPdPKlPlN2at6native12_GLOBAL__N_18offset_tEEE10hipError_tPvRmT1_PNSt15iterator_traitsISK_E10value_typeET2_T3_PNSL_ISQ_E10value_typeET4_jRbjT5_SW_jjP12ihipStream_tbEUlT_E2_NS1_11comp_targetILNS1_3genE9ELNS1_11target_archE1100ELNS1_3gpuE3ELNS1_3repE0EEENS1_30default_config_static_selectorELNS0_4arch9wavefront6targetE1EEEvSK_,comdat
.Lfunc_end1258:
	.size	_ZN7rocprim17ROCPRIM_400000_NS6detail17trampoline_kernelINS0_14default_configENS1_36segmented_radix_sort_config_selectorIdlEEZNS1_25segmented_radix_sort_implIS3_Lb0EPKdPdPKlPlN2at6native12_GLOBAL__N_18offset_tEEE10hipError_tPvRmT1_PNSt15iterator_traitsISK_E10value_typeET2_T3_PNSL_ISQ_E10value_typeET4_jRbjT5_SW_jjP12ihipStream_tbEUlT_E2_NS1_11comp_targetILNS1_3genE9ELNS1_11target_archE1100ELNS1_3gpuE3ELNS1_3repE0EEENS1_30default_config_static_selectorELNS0_4arch9wavefront6targetE1EEEvSK_, .Lfunc_end1258-_ZN7rocprim17ROCPRIM_400000_NS6detail17trampoline_kernelINS0_14default_configENS1_36segmented_radix_sort_config_selectorIdlEEZNS1_25segmented_radix_sort_implIS3_Lb0EPKdPdPKlPlN2at6native12_GLOBAL__N_18offset_tEEE10hipError_tPvRmT1_PNSt15iterator_traitsISK_E10value_typeET2_T3_PNSL_ISQ_E10value_typeET4_jRbjT5_SW_jjP12ihipStream_tbEUlT_E2_NS1_11comp_targetILNS1_3genE9ELNS1_11target_archE1100ELNS1_3gpuE3ELNS1_3repE0EEENS1_30default_config_static_selectorELNS0_4arch9wavefront6targetE1EEEvSK_
                                        ; -- End function
	.set _ZN7rocprim17ROCPRIM_400000_NS6detail17trampoline_kernelINS0_14default_configENS1_36segmented_radix_sort_config_selectorIdlEEZNS1_25segmented_radix_sort_implIS3_Lb0EPKdPdPKlPlN2at6native12_GLOBAL__N_18offset_tEEE10hipError_tPvRmT1_PNSt15iterator_traitsISK_E10value_typeET2_T3_PNSL_ISQ_E10value_typeET4_jRbjT5_SW_jjP12ihipStream_tbEUlT_E2_NS1_11comp_targetILNS1_3genE9ELNS1_11target_archE1100ELNS1_3gpuE3ELNS1_3repE0EEENS1_30default_config_static_selectorELNS0_4arch9wavefront6targetE1EEEvSK_.num_vgpr, 0
	.set _ZN7rocprim17ROCPRIM_400000_NS6detail17trampoline_kernelINS0_14default_configENS1_36segmented_radix_sort_config_selectorIdlEEZNS1_25segmented_radix_sort_implIS3_Lb0EPKdPdPKlPlN2at6native12_GLOBAL__N_18offset_tEEE10hipError_tPvRmT1_PNSt15iterator_traitsISK_E10value_typeET2_T3_PNSL_ISQ_E10value_typeET4_jRbjT5_SW_jjP12ihipStream_tbEUlT_E2_NS1_11comp_targetILNS1_3genE9ELNS1_11target_archE1100ELNS1_3gpuE3ELNS1_3repE0EEENS1_30default_config_static_selectorELNS0_4arch9wavefront6targetE1EEEvSK_.num_agpr, 0
	.set _ZN7rocprim17ROCPRIM_400000_NS6detail17trampoline_kernelINS0_14default_configENS1_36segmented_radix_sort_config_selectorIdlEEZNS1_25segmented_radix_sort_implIS3_Lb0EPKdPdPKlPlN2at6native12_GLOBAL__N_18offset_tEEE10hipError_tPvRmT1_PNSt15iterator_traitsISK_E10value_typeET2_T3_PNSL_ISQ_E10value_typeET4_jRbjT5_SW_jjP12ihipStream_tbEUlT_E2_NS1_11comp_targetILNS1_3genE9ELNS1_11target_archE1100ELNS1_3gpuE3ELNS1_3repE0EEENS1_30default_config_static_selectorELNS0_4arch9wavefront6targetE1EEEvSK_.numbered_sgpr, 0
	.set _ZN7rocprim17ROCPRIM_400000_NS6detail17trampoline_kernelINS0_14default_configENS1_36segmented_radix_sort_config_selectorIdlEEZNS1_25segmented_radix_sort_implIS3_Lb0EPKdPdPKlPlN2at6native12_GLOBAL__N_18offset_tEEE10hipError_tPvRmT1_PNSt15iterator_traitsISK_E10value_typeET2_T3_PNSL_ISQ_E10value_typeET4_jRbjT5_SW_jjP12ihipStream_tbEUlT_E2_NS1_11comp_targetILNS1_3genE9ELNS1_11target_archE1100ELNS1_3gpuE3ELNS1_3repE0EEENS1_30default_config_static_selectorELNS0_4arch9wavefront6targetE1EEEvSK_.num_named_barrier, 0
	.set _ZN7rocprim17ROCPRIM_400000_NS6detail17trampoline_kernelINS0_14default_configENS1_36segmented_radix_sort_config_selectorIdlEEZNS1_25segmented_radix_sort_implIS3_Lb0EPKdPdPKlPlN2at6native12_GLOBAL__N_18offset_tEEE10hipError_tPvRmT1_PNSt15iterator_traitsISK_E10value_typeET2_T3_PNSL_ISQ_E10value_typeET4_jRbjT5_SW_jjP12ihipStream_tbEUlT_E2_NS1_11comp_targetILNS1_3genE9ELNS1_11target_archE1100ELNS1_3gpuE3ELNS1_3repE0EEENS1_30default_config_static_selectorELNS0_4arch9wavefront6targetE1EEEvSK_.private_seg_size, 0
	.set _ZN7rocprim17ROCPRIM_400000_NS6detail17trampoline_kernelINS0_14default_configENS1_36segmented_radix_sort_config_selectorIdlEEZNS1_25segmented_radix_sort_implIS3_Lb0EPKdPdPKlPlN2at6native12_GLOBAL__N_18offset_tEEE10hipError_tPvRmT1_PNSt15iterator_traitsISK_E10value_typeET2_T3_PNSL_ISQ_E10value_typeET4_jRbjT5_SW_jjP12ihipStream_tbEUlT_E2_NS1_11comp_targetILNS1_3genE9ELNS1_11target_archE1100ELNS1_3gpuE3ELNS1_3repE0EEENS1_30default_config_static_selectorELNS0_4arch9wavefront6targetE1EEEvSK_.uses_vcc, 0
	.set _ZN7rocprim17ROCPRIM_400000_NS6detail17trampoline_kernelINS0_14default_configENS1_36segmented_radix_sort_config_selectorIdlEEZNS1_25segmented_radix_sort_implIS3_Lb0EPKdPdPKlPlN2at6native12_GLOBAL__N_18offset_tEEE10hipError_tPvRmT1_PNSt15iterator_traitsISK_E10value_typeET2_T3_PNSL_ISQ_E10value_typeET4_jRbjT5_SW_jjP12ihipStream_tbEUlT_E2_NS1_11comp_targetILNS1_3genE9ELNS1_11target_archE1100ELNS1_3gpuE3ELNS1_3repE0EEENS1_30default_config_static_selectorELNS0_4arch9wavefront6targetE1EEEvSK_.uses_flat_scratch, 0
	.set _ZN7rocprim17ROCPRIM_400000_NS6detail17trampoline_kernelINS0_14default_configENS1_36segmented_radix_sort_config_selectorIdlEEZNS1_25segmented_radix_sort_implIS3_Lb0EPKdPdPKlPlN2at6native12_GLOBAL__N_18offset_tEEE10hipError_tPvRmT1_PNSt15iterator_traitsISK_E10value_typeET2_T3_PNSL_ISQ_E10value_typeET4_jRbjT5_SW_jjP12ihipStream_tbEUlT_E2_NS1_11comp_targetILNS1_3genE9ELNS1_11target_archE1100ELNS1_3gpuE3ELNS1_3repE0EEENS1_30default_config_static_selectorELNS0_4arch9wavefront6targetE1EEEvSK_.has_dyn_sized_stack, 0
	.set _ZN7rocprim17ROCPRIM_400000_NS6detail17trampoline_kernelINS0_14default_configENS1_36segmented_radix_sort_config_selectorIdlEEZNS1_25segmented_radix_sort_implIS3_Lb0EPKdPdPKlPlN2at6native12_GLOBAL__N_18offset_tEEE10hipError_tPvRmT1_PNSt15iterator_traitsISK_E10value_typeET2_T3_PNSL_ISQ_E10value_typeET4_jRbjT5_SW_jjP12ihipStream_tbEUlT_E2_NS1_11comp_targetILNS1_3genE9ELNS1_11target_archE1100ELNS1_3gpuE3ELNS1_3repE0EEENS1_30default_config_static_selectorELNS0_4arch9wavefront6targetE1EEEvSK_.has_recursion, 0
	.set _ZN7rocprim17ROCPRIM_400000_NS6detail17trampoline_kernelINS0_14default_configENS1_36segmented_radix_sort_config_selectorIdlEEZNS1_25segmented_radix_sort_implIS3_Lb0EPKdPdPKlPlN2at6native12_GLOBAL__N_18offset_tEEE10hipError_tPvRmT1_PNSt15iterator_traitsISK_E10value_typeET2_T3_PNSL_ISQ_E10value_typeET4_jRbjT5_SW_jjP12ihipStream_tbEUlT_E2_NS1_11comp_targetILNS1_3genE9ELNS1_11target_archE1100ELNS1_3gpuE3ELNS1_3repE0EEENS1_30default_config_static_selectorELNS0_4arch9wavefront6targetE1EEEvSK_.has_indirect_call, 0
	.section	.AMDGPU.csdata,"",@progbits
; Kernel info:
; codeLenInByte = 0
; TotalNumSgprs: 4
; NumVgprs: 0
; ScratchSize: 0
; MemoryBound: 0
; FloatMode: 240
; IeeeMode: 1
; LDSByteSize: 0 bytes/workgroup (compile time only)
; SGPRBlocks: 0
; VGPRBlocks: 0
; NumSGPRsForWavesPerEU: 4
; NumVGPRsForWavesPerEU: 1
; Occupancy: 10
; WaveLimiterHint : 0
; COMPUTE_PGM_RSRC2:SCRATCH_EN: 0
; COMPUTE_PGM_RSRC2:USER_SGPR: 6
; COMPUTE_PGM_RSRC2:TRAP_HANDLER: 0
; COMPUTE_PGM_RSRC2:TGID_X_EN: 1
; COMPUTE_PGM_RSRC2:TGID_Y_EN: 0
; COMPUTE_PGM_RSRC2:TGID_Z_EN: 0
; COMPUTE_PGM_RSRC2:TIDIG_COMP_CNT: 0
	.section	.text._ZN7rocprim17ROCPRIM_400000_NS6detail17trampoline_kernelINS0_14default_configENS1_36segmented_radix_sort_config_selectorIdlEEZNS1_25segmented_radix_sort_implIS3_Lb0EPKdPdPKlPlN2at6native12_GLOBAL__N_18offset_tEEE10hipError_tPvRmT1_PNSt15iterator_traitsISK_E10value_typeET2_T3_PNSL_ISQ_E10value_typeET4_jRbjT5_SW_jjP12ihipStream_tbEUlT_E2_NS1_11comp_targetILNS1_3genE8ELNS1_11target_archE1030ELNS1_3gpuE2ELNS1_3repE0EEENS1_30default_config_static_selectorELNS0_4arch9wavefront6targetE1EEEvSK_,"axG",@progbits,_ZN7rocprim17ROCPRIM_400000_NS6detail17trampoline_kernelINS0_14default_configENS1_36segmented_radix_sort_config_selectorIdlEEZNS1_25segmented_radix_sort_implIS3_Lb0EPKdPdPKlPlN2at6native12_GLOBAL__N_18offset_tEEE10hipError_tPvRmT1_PNSt15iterator_traitsISK_E10value_typeET2_T3_PNSL_ISQ_E10value_typeET4_jRbjT5_SW_jjP12ihipStream_tbEUlT_E2_NS1_11comp_targetILNS1_3genE8ELNS1_11target_archE1030ELNS1_3gpuE2ELNS1_3repE0EEENS1_30default_config_static_selectorELNS0_4arch9wavefront6targetE1EEEvSK_,comdat
	.globl	_ZN7rocprim17ROCPRIM_400000_NS6detail17trampoline_kernelINS0_14default_configENS1_36segmented_radix_sort_config_selectorIdlEEZNS1_25segmented_radix_sort_implIS3_Lb0EPKdPdPKlPlN2at6native12_GLOBAL__N_18offset_tEEE10hipError_tPvRmT1_PNSt15iterator_traitsISK_E10value_typeET2_T3_PNSL_ISQ_E10value_typeET4_jRbjT5_SW_jjP12ihipStream_tbEUlT_E2_NS1_11comp_targetILNS1_3genE8ELNS1_11target_archE1030ELNS1_3gpuE2ELNS1_3repE0EEENS1_30default_config_static_selectorELNS0_4arch9wavefront6targetE1EEEvSK_ ; -- Begin function _ZN7rocprim17ROCPRIM_400000_NS6detail17trampoline_kernelINS0_14default_configENS1_36segmented_radix_sort_config_selectorIdlEEZNS1_25segmented_radix_sort_implIS3_Lb0EPKdPdPKlPlN2at6native12_GLOBAL__N_18offset_tEEE10hipError_tPvRmT1_PNSt15iterator_traitsISK_E10value_typeET2_T3_PNSL_ISQ_E10value_typeET4_jRbjT5_SW_jjP12ihipStream_tbEUlT_E2_NS1_11comp_targetILNS1_3genE8ELNS1_11target_archE1030ELNS1_3gpuE2ELNS1_3repE0EEENS1_30default_config_static_selectorELNS0_4arch9wavefront6targetE1EEEvSK_
	.p2align	8
	.type	_ZN7rocprim17ROCPRIM_400000_NS6detail17trampoline_kernelINS0_14default_configENS1_36segmented_radix_sort_config_selectorIdlEEZNS1_25segmented_radix_sort_implIS3_Lb0EPKdPdPKlPlN2at6native12_GLOBAL__N_18offset_tEEE10hipError_tPvRmT1_PNSt15iterator_traitsISK_E10value_typeET2_T3_PNSL_ISQ_E10value_typeET4_jRbjT5_SW_jjP12ihipStream_tbEUlT_E2_NS1_11comp_targetILNS1_3genE8ELNS1_11target_archE1030ELNS1_3gpuE2ELNS1_3repE0EEENS1_30default_config_static_selectorELNS0_4arch9wavefront6targetE1EEEvSK_,@function
_ZN7rocprim17ROCPRIM_400000_NS6detail17trampoline_kernelINS0_14default_configENS1_36segmented_radix_sort_config_selectorIdlEEZNS1_25segmented_radix_sort_implIS3_Lb0EPKdPdPKlPlN2at6native12_GLOBAL__N_18offset_tEEE10hipError_tPvRmT1_PNSt15iterator_traitsISK_E10value_typeET2_T3_PNSL_ISQ_E10value_typeET4_jRbjT5_SW_jjP12ihipStream_tbEUlT_E2_NS1_11comp_targetILNS1_3genE8ELNS1_11target_archE1030ELNS1_3gpuE2ELNS1_3repE0EEENS1_30default_config_static_selectorELNS0_4arch9wavefront6targetE1EEEvSK_: ; @_ZN7rocprim17ROCPRIM_400000_NS6detail17trampoline_kernelINS0_14default_configENS1_36segmented_radix_sort_config_selectorIdlEEZNS1_25segmented_radix_sort_implIS3_Lb0EPKdPdPKlPlN2at6native12_GLOBAL__N_18offset_tEEE10hipError_tPvRmT1_PNSt15iterator_traitsISK_E10value_typeET2_T3_PNSL_ISQ_E10value_typeET4_jRbjT5_SW_jjP12ihipStream_tbEUlT_E2_NS1_11comp_targetILNS1_3genE8ELNS1_11target_archE1030ELNS1_3gpuE2ELNS1_3repE0EEENS1_30default_config_static_selectorELNS0_4arch9wavefront6targetE1EEEvSK_
; %bb.0:
	.section	.rodata,"a",@progbits
	.p2align	6, 0x0
	.amdhsa_kernel _ZN7rocprim17ROCPRIM_400000_NS6detail17trampoline_kernelINS0_14default_configENS1_36segmented_radix_sort_config_selectorIdlEEZNS1_25segmented_radix_sort_implIS3_Lb0EPKdPdPKlPlN2at6native12_GLOBAL__N_18offset_tEEE10hipError_tPvRmT1_PNSt15iterator_traitsISK_E10value_typeET2_T3_PNSL_ISQ_E10value_typeET4_jRbjT5_SW_jjP12ihipStream_tbEUlT_E2_NS1_11comp_targetILNS1_3genE8ELNS1_11target_archE1030ELNS1_3gpuE2ELNS1_3repE0EEENS1_30default_config_static_selectorELNS0_4arch9wavefront6targetE1EEEvSK_
		.amdhsa_group_segment_fixed_size 0
		.amdhsa_private_segment_fixed_size 0
		.amdhsa_kernarg_size 80
		.amdhsa_user_sgpr_count 6
		.amdhsa_user_sgpr_private_segment_buffer 1
		.amdhsa_user_sgpr_dispatch_ptr 0
		.amdhsa_user_sgpr_queue_ptr 0
		.amdhsa_user_sgpr_kernarg_segment_ptr 1
		.amdhsa_user_sgpr_dispatch_id 0
		.amdhsa_user_sgpr_flat_scratch_init 0
		.amdhsa_user_sgpr_private_segment_size 0
		.amdhsa_uses_dynamic_stack 0
		.amdhsa_system_sgpr_private_segment_wavefront_offset 0
		.amdhsa_system_sgpr_workgroup_id_x 1
		.amdhsa_system_sgpr_workgroup_id_y 0
		.amdhsa_system_sgpr_workgroup_id_z 0
		.amdhsa_system_sgpr_workgroup_info 0
		.amdhsa_system_vgpr_workitem_id 0
		.amdhsa_next_free_vgpr 1
		.amdhsa_next_free_sgpr 0
		.amdhsa_reserve_vcc 0
		.amdhsa_reserve_flat_scratch 0
		.amdhsa_float_round_mode_32 0
		.amdhsa_float_round_mode_16_64 0
		.amdhsa_float_denorm_mode_32 3
		.amdhsa_float_denorm_mode_16_64 3
		.amdhsa_dx10_clamp 1
		.amdhsa_ieee_mode 1
		.amdhsa_fp16_overflow 0
		.amdhsa_exception_fp_ieee_invalid_op 0
		.amdhsa_exception_fp_denorm_src 0
		.amdhsa_exception_fp_ieee_div_zero 0
		.amdhsa_exception_fp_ieee_overflow 0
		.amdhsa_exception_fp_ieee_underflow 0
		.amdhsa_exception_fp_ieee_inexact 0
		.amdhsa_exception_int_div_zero 0
	.end_amdhsa_kernel
	.section	.text._ZN7rocprim17ROCPRIM_400000_NS6detail17trampoline_kernelINS0_14default_configENS1_36segmented_radix_sort_config_selectorIdlEEZNS1_25segmented_radix_sort_implIS3_Lb0EPKdPdPKlPlN2at6native12_GLOBAL__N_18offset_tEEE10hipError_tPvRmT1_PNSt15iterator_traitsISK_E10value_typeET2_T3_PNSL_ISQ_E10value_typeET4_jRbjT5_SW_jjP12ihipStream_tbEUlT_E2_NS1_11comp_targetILNS1_3genE8ELNS1_11target_archE1030ELNS1_3gpuE2ELNS1_3repE0EEENS1_30default_config_static_selectorELNS0_4arch9wavefront6targetE1EEEvSK_,"axG",@progbits,_ZN7rocprim17ROCPRIM_400000_NS6detail17trampoline_kernelINS0_14default_configENS1_36segmented_radix_sort_config_selectorIdlEEZNS1_25segmented_radix_sort_implIS3_Lb0EPKdPdPKlPlN2at6native12_GLOBAL__N_18offset_tEEE10hipError_tPvRmT1_PNSt15iterator_traitsISK_E10value_typeET2_T3_PNSL_ISQ_E10value_typeET4_jRbjT5_SW_jjP12ihipStream_tbEUlT_E2_NS1_11comp_targetILNS1_3genE8ELNS1_11target_archE1030ELNS1_3gpuE2ELNS1_3repE0EEENS1_30default_config_static_selectorELNS0_4arch9wavefront6targetE1EEEvSK_,comdat
.Lfunc_end1259:
	.size	_ZN7rocprim17ROCPRIM_400000_NS6detail17trampoline_kernelINS0_14default_configENS1_36segmented_radix_sort_config_selectorIdlEEZNS1_25segmented_radix_sort_implIS3_Lb0EPKdPdPKlPlN2at6native12_GLOBAL__N_18offset_tEEE10hipError_tPvRmT1_PNSt15iterator_traitsISK_E10value_typeET2_T3_PNSL_ISQ_E10value_typeET4_jRbjT5_SW_jjP12ihipStream_tbEUlT_E2_NS1_11comp_targetILNS1_3genE8ELNS1_11target_archE1030ELNS1_3gpuE2ELNS1_3repE0EEENS1_30default_config_static_selectorELNS0_4arch9wavefront6targetE1EEEvSK_, .Lfunc_end1259-_ZN7rocprim17ROCPRIM_400000_NS6detail17trampoline_kernelINS0_14default_configENS1_36segmented_radix_sort_config_selectorIdlEEZNS1_25segmented_radix_sort_implIS3_Lb0EPKdPdPKlPlN2at6native12_GLOBAL__N_18offset_tEEE10hipError_tPvRmT1_PNSt15iterator_traitsISK_E10value_typeET2_T3_PNSL_ISQ_E10value_typeET4_jRbjT5_SW_jjP12ihipStream_tbEUlT_E2_NS1_11comp_targetILNS1_3genE8ELNS1_11target_archE1030ELNS1_3gpuE2ELNS1_3repE0EEENS1_30default_config_static_selectorELNS0_4arch9wavefront6targetE1EEEvSK_
                                        ; -- End function
	.set _ZN7rocprim17ROCPRIM_400000_NS6detail17trampoline_kernelINS0_14default_configENS1_36segmented_radix_sort_config_selectorIdlEEZNS1_25segmented_radix_sort_implIS3_Lb0EPKdPdPKlPlN2at6native12_GLOBAL__N_18offset_tEEE10hipError_tPvRmT1_PNSt15iterator_traitsISK_E10value_typeET2_T3_PNSL_ISQ_E10value_typeET4_jRbjT5_SW_jjP12ihipStream_tbEUlT_E2_NS1_11comp_targetILNS1_3genE8ELNS1_11target_archE1030ELNS1_3gpuE2ELNS1_3repE0EEENS1_30default_config_static_selectorELNS0_4arch9wavefront6targetE1EEEvSK_.num_vgpr, 0
	.set _ZN7rocprim17ROCPRIM_400000_NS6detail17trampoline_kernelINS0_14default_configENS1_36segmented_radix_sort_config_selectorIdlEEZNS1_25segmented_radix_sort_implIS3_Lb0EPKdPdPKlPlN2at6native12_GLOBAL__N_18offset_tEEE10hipError_tPvRmT1_PNSt15iterator_traitsISK_E10value_typeET2_T3_PNSL_ISQ_E10value_typeET4_jRbjT5_SW_jjP12ihipStream_tbEUlT_E2_NS1_11comp_targetILNS1_3genE8ELNS1_11target_archE1030ELNS1_3gpuE2ELNS1_3repE0EEENS1_30default_config_static_selectorELNS0_4arch9wavefront6targetE1EEEvSK_.num_agpr, 0
	.set _ZN7rocprim17ROCPRIM_400000_NS6detail17trampoline_kernelINS0_14default_configENS1_36segmented_radix_sort_config_selectorIdlEEZNS1_25segmented_radix_sort_implIS3_Lb0EPKdPdPKlPlN2at6native12_GLOBAL__N_18offset_tEEE10hipError_tPvRmT1_PNSt15iterator_traitsISK_E10value_typeET2_T3_PNSL_ISQ_E10value_typeET4_jRbjT5_SW_jjP12ihipStream_tbEUlT_E2_NS1_11comp_targetILNS1_3genE8ELNS1_11target_archE1030ELNS1_3gpuE2ELNS1_3repE0EEENS1_30default_config_static_selectorELNS0_4arch9wavefront6targetE1EEEvSK_.numbered_sgpr, 0
	.set _ZN7rocprim17ROCPRIM_400000_NS6detail17trampoline_kernelINS0_14default_configENS1_36segmented_radix_sort_config_selectorIdlEEZNS1_25segmented_radix_sort_implIS3_Lb0EPKdPdPKlPlN2at6native12_GLOBAL__N_18offset_tEEE10hipError_tPvRmT1_PNSt15iterator_traitsISK_E10value_typeET2_T3_PNSL_ISQ_E10value_typeET4_jRbjT5_SW_jjP12ihipStream_tbEUlT_E2_NS1_11comp_targetILNS1_3genE8ELNS1_11target_archE1030ELNS1_3gpuE2ELNS1_3repE0EEENS1_30default_config_static_selectorELNS0_4arch9wavefront6targetE1EEEvSK_.num_named_barrier, 0
	.set _ZN7rocprim17ROCPRIM_400000_NS6detail17trampoline_kernelINS0_14default_configENS1_36segmented_radix_sort_config_selectorIdlEEZNS1_25segmented_radix_sort_implIS3_Lb0EPKdPdPKlPlN2at6native12_GLOBAL__N_18offset_tEEE10hipError_tPvRmT1_PNSt15iterator_traitsISK_E10value_typeET2_T3_PNSL_ISQ_E10value_typeET4_jRbjT5_SW_jjP12ihipStream_tbEUlT_E2_NS1_11comp_targetILNS1_3genE8ELNS1_11target_archE1030ELNS1_3gpuE2ELNS1_3repE0EEENS1_30default_config_static_selectorELNS0_4arch9wavefront6targetE1EEEvSK_.private_seg_size, 0
	.set _ZN7rocprim17ROCPRIM_400000_NS6detail17trampoline_kernelINS0_14default_configENS1_36segmented_radix_sort_config_selectorIdlEEZNS1_25segmented_radix_sort_implIS3_Lb0EPKdPdPKlPlN2at6native12_GLOBAL__N_18offset_tEEE10hipError_tPvRmT1_PNSt15iterator_traitsISK_E10value_typeET2_T3_PNSL_ISQ_E10value_typeET4_jRbjT5_SW_jjP12ihipStream_tbEUlT_E2_NS1_11comp_targetILNS1_3genE8ELNS1_11target_archE1030ELNS1_3gpuE2ELNS1_3repE0EEENS1_30default_config_static_selectorELNS0_4arch9wavefront6targetE1EEEvSK_.uses_vcc, 0
	.set _ZN7rocprim17ROCPRIM_400000_NS6detail17trampoline_kernelINS0_14default_configENS1_36segmented_radix_sort_config_selectorIdlEEZNS1_25segmented_radix_sort_implIS3_Lb0EPKdPdPKlPlN2at6native12_GLOBAL__N_18offset_tEEE10hipError_tPvRmT1_PNSt15iterator_traitsISK_E10value_typeET2_T3_PNSL_ISQ_E10value_typeET4_jRbjT5_SW_jjP12ihipStream_tbEUlT_E2_NS1_11comp_targetILNS1_3genE8ELNS1_11target_archE1030ELNS1_3gpuE2ELNS1_3repE0EEENS1_30default_config_static_selectorELNS0_4arch9wavefront6targetE1EEEvSK_.uses_flat_scratch, 0
	.set _ZN7rocprim17ROCPRIM_400000_NS6detail17trampoline_kernelINS0_14default_configENS1_36segmented_radix_sort_config_selectorIdlEEZNS1_25segmented_radix_sort_implIS3_Lb0EPKdPdPKlPlN2at6native12_GLOBAL__N_18offset_tEEE10hipError_tPvRmT1_PNSt15iterator_traitsISK_E10value_typeET2_T3_PNSL_ISQ_E10value_typeET4_jRbjT5_SW_jjP12ihipStream_tbEUlT_E2_NS1_11comp_targetILNS1_3genE8ELNS1_11target_archE1030ELNS1_3gpuE2ELNS1_3repE0EEENS1_30default_config_static_selectorELNS0_4arch9wavefront6targetE1EEEvSK_.has_dyn_sized_stack, 0
	.set _ZN7rocprim17ROCPRIM_400000_NS6detail17trampoline_kernelINS0_14default_configENS1_36segmented_radix_sort_config_selectorIdlEEZNS1_25segmented_radix_sort_implIS3_Lb0EPKdPdPKlPlN2at6native12_GLOBAL__N_18offset_tEEE10hipError_tPvRmT1_PNSt15iterator_traitsISK_E10value_typeET2_T3_PNSL_ISQ_E10value_typeET4_jRbjT5_SW_jjP12ihipStream_tbEUlT_E2_NS1_11comp_targetILNS1_3genE8ELNS1_11target_archE1030ELNS1_3gpuE2ELNS1_3repE0EEENS1_30default_config_static_selectorELNS0_4arch9wavefront6targetE1EEEvSK_.has_recursion, 0
	.set _ZN7rocprim17ROCPRIM_400000_NS6detail17trampoline_kernelINS0_14default_configENS1_36segmented_radix_sort_config_selectorIdlEEZNS1_25segmented_radix_sort_implIS3_Lb0EPKdPdPKlPlN2at6native12_GLOBAL__N_18offset_tEEE10hipError_tPvRmT1_PNSt15iterator_traitsISK_E10value_typeET2_T3_PNSL_ISQ_E10value_typeET4_jRbjT5_SW_jjP12ihipStream_tbEUlT_E2_NS1_11comp_targetILNS1_3genE8ELNS1_11target_archE1030ELNS1_3gpuE2ELNS1_3repE0EEENS1_30default_config_static_selectorELNS0_4arch9wavefront6targetE1EEEvSK_.has_indirect_call, 0
	.section	.AMDGPU.csdata,"",@progbits
; Kernel info:
; codeLenInByte = 0
; TotalNumSgprs: 4
; NumVgprs: 0
; ScratchSize: 0
; MemoryBound: 0
; FloatMode: 240
; IeeeMode: 1
; LDSByteSize: 0 bytes/workgroup (compile time only)
; SGPRBlocks: 0
; VGPRBlocks: 0
; NumSGPRsForWavesPerEU: 4
; NumVGPRsForWavesPerEU: 1
; Occupancy: 10
; WaveLimiterHint : 0
; COMPUTE_PGM_RSRC2:SCRATCH_EN: 0
; COMPUTE_PGM_RSRC2:USER_SGPR: 6
; COMPUTE_PGM_RSRC2:TRAP_HANDLER: 0
; COMPUTE_PGM_RSRC2:TGID_X_EN: 1
; COMPUTE_PGM_RSRC2:TGID_Y_EN: 0
; COMPUTE_PGM_RSRC2:TGID_Z_EN: 0
; COMPUTE_PGM_RSRC2:TIDIG_COMP_CNT: 0
	.section	.text._ZN2at6native12_GLOBAL__N_123sort_postprocess_kernelIfEEvPKT_PS3_PlPK15HIP_vector_typeIiLj2EEii,"axG",@progbits,_ZN2at6native12_GLOBAL__N_123sort_postprocess_kernelIfEEvPKT_PS3_PlPK15HIP_vector_typeIiLj2EEii,comdat
	.globl	_ZN2at6native12_GLOBAL__N_123sort_postprocess_kernelIfEEvPKT_PS3_PlPK15HIP_vector_typeIiLj2EEii ; -- Begin function _ZN2at6native12_GLOBAL__N_123sort_postprocess_kernelIfEEvPKT_PS3_PlPK15HIP_vector_typeIiLj2EEii
	.p2align	8
	.type	_ZN2at6native12_GLOBAL__N_123sort_postprocess_kernelIfEEvPKT_PS3_PlPK15HIP_vector_typeIiLj2EEii,@function
_ZN2at6native12_GLOBAL__N_123sort_postprocess_kernelIfEEvPKT_PS3_PlPK15HIP_vector_typeIiLj2EEii: ; @_ZN2at6native12_GLOBAL__N_123sort_postprocess_kernelIfEEvPKT_PS3_PlPK15HIP_vector_typeIiLj2EEii
; %bb.0:
	s_load_dword s0, s[4:5], 0x34
	s_load_dwordx2 s[8:9], s[4:5], 0x20
	s_add_u32 s2, s4, 40
	s_addc_u32 s3, s5, 0
	s_waitcnt lgkmcnt(0)
	s_and_b32 s17, s0, 0xffff
	s_mul_hi_u32 s16, s17, s6
	s_mul_i32 s6, s17, s6
	v_mov_b32_e32 v2, s16
	v_add_co_u32_e32 v1, vcc, s6, v0
	s_mul_i32 s0, s9, s8
	v_addc_co_u32_e32 v2, vcc, 0, v2, vcc
	s_ashr_i32 s1, s0, 31
	v_cmp_gt_i64_e32 vcc, s[0:1], v[1:2]
	v_mov_b32_e32 v1, 0
	s_and_saveexec_b64 s[10:11], vcc
	s_cbranch_execz .LBB1260_3
; %bb.1:
	s_abs_i32 s7, s9
	v_cvt_f32_u32_e32 v2, s7
	s_load_dword s18, s[2:3], 0x0
	s_load_dwordx8 s[8:15], s[4:5], 0x0
	s_sub_i32 s2, 0, s7
	v_rcp_iflag_f32_e32 v2, v2
	s_waitcnt lgkmcnt(0)
	s_mul_i32 s4, s18, s17
	v_mov_b32_e32 v4, s13
	v_mov_b32_e32 v5, s15
	v_mul_f32_e32 v2, 0x4f7ffffe, v2
	v_cvt_u32_f32_e32 v6, v2
	v_mov_b32_e32 v2, s9
	v_mul_lo_u32 v3, s2, v6
	s_mov_b64 s[2:3], 0
	v_mul_hi_u32 v7, v6, v3
	v_mov_b32_e32 v3, s11
	v_add_u32_e32 v6, v6, v7
	v_mov_b32_e32 v7, s16
.LBB1260_2:                             ; =>This Inner Loop Header: Depth=1
	v_add_u32_e32 v8, s6, v0
	v_ashrrev_i32_e32 v9, 31, v8
	v_sub_u32_e32 v10, 0, v8
	v_add_u32_e32 v11, v8, v9
	v_max_i32_e32 v8, v8, v10
	v_mul_hi_u32 v10, v8, v6
	v_mul_lo_u32 v10, v10, s7
	v_sub_u32_e32 v8, v8, v10
	v_subrev_u32_e32 v10, s7, v8
	v_cmp_le_u32_e32 vcc, s7, v8
	v_cndmask_b32_e32 v8, v8, v10, vcc
	v_subrev_u32_e32 v10, s7, v8
	v_cmp_le_u32_e32 vcc, s7, v8
	v_cndmask_b32_e32 v8, v8, v10, vcc
	v_xor_b32_e32 v10, v8, v9
	v_sub_u32_e32 v8, v10, v9
	v_sub_u32_e32 v10, v11, v10
	v_ashrrev_i32_e32 v11, 31, v10
	v_lshlrev_b64 v[12:13], 3, v[10:11]
	v_ashrrev_i32_e32 v9, 31, v8
	v_lshlrev_b64 v[14:15], 3, v[8:9]
	v_add_co_u32_e32 v16, vcc, s14, v12
	v_addc_co_u32_e32 v17, vcc, v5, v13, vcc
	v_add_co_u32_e32 v16, vcc, v16, v14
	v_addc_co_u32_e32 v17, vcc, v17, v15, vcc
	global_load_dword v16, v[16:17], off offset:4
	v_lshlrev_b64 v[10:11], 2, v[10:11]
	v_lshlrev_b64 v[8:9], 2, v[8:9]
	v_add_co_u32_e32 v20, vcc, s8, v10
	v_addc_co_u32_e32 v21, vcc, v2, v11, vcc
	s_waitcnt vmcnt(0)
	v_ashrrev_i32_e32 v17, 31, v16
	v_lshlrev_b64 v[18:19], 2, v[16:17]
	v_add_co_u32_e32 v18, vcc, v20, v18
	v_addc_co_u32_e32 v19, vcc, v21, v19, vcc
	global_load_dword v18, v[18:19], off
	v_add_co_u32_e32 v0, vcc, s4, v0
	v_addc_co_u32_e32 v1, vcc, 0, v1, vcc
	v_add_co_u32_e32 v20, vcc, s6, v0
	v_addc_co_u32_e32 v21, vcc, v7, v1, vcc
	v_cmp_le_i64_e32 vcc, s[0:1], v[20:21]
	s_or_b64 s[2:3], vcc, s[2:3]
	v_add_co_u32_e32 v19, vcc, s10, v10
	v_addc_co_u32_e32 v20, vcc, v3, v11, vcc
	v_add_co_u32_e32 v10, vcc, s12, v12
	v_addc_co_u32_e32 v11, vcc, v4, v13, vcc
	;; [unrolled: 2-line block ×4, first 2 shown]
	global_store_dwordx2 v[10:11], v[16:17], off
	s_waitcnt vmcnt(1)
	global_store_dword v[8:9], v18, off
	s_andn2_b64 exec, exec, s[2:3]
	s_cbranch_execnz .LBB1260_2
.LBB1260_3:
	s_endpgm
	.section	.rodata,"a",@progbits
	.p2align	6, 0x0
	.amdhsa_kernel _ZN2at6native12_GLOBAL__N_123sort_postprocess_kernelIfEEvPKT_PS3_PlPK15HIP_vector_typeIiLj2EEii
		.amdhsa_group_segment_fixed_size 0
		.amdhsa_private_segment_fixed_size 0
		.amdhsa_kernarg_size 296
		.amdhsa_user_sgpr_count 6
		.amdhsa_user_sgpr_private_segment_buffer 1
		.amdhsa_user_sgpr_dispatch_ptr 0
		.amdhsa_user_sgpr_queue_ptr 0
		.amdhsa_user_sgpr_kernarg_segment_ptr 1
		.amdhsa_user_sgpr_dispatch_id 0
		.amdhsa_user_sgpr_flat_scratch_init 0
		.amdhsa_user_sgpr_private_segment_size 0
		.amdhsa_uses_dynamic_stack 0
		.amdhsa_system_sgpr_private_segment_wavefront_offset 0
		.amdhsa_system_sgpr_workgroup_id_x 1
		.amdhsa_system_sgpr_workgroup_id_y 0
		.amdhsa_system_sgpr_workgroup_id_z 0
		.amdhsa_system_sgpr_workgroup_info 0
		.amdhsa_system_vgpr_workitem_id 0
		.amdhsa_next_free_vgpr 22
		.amdhsa_next_free_sgpr 19
		.amdhsa_reserve_vcc 1
		.amdhsa_reserve_flat_scratch 0
		.amdhsa_float_round_mode_32 0
		.amdhsa_float_round_mode_16_64 0
		.amdhsa_float_denorm_mode_32 3
		.amdhsa_float_denorm_mode_16_64 3
		.amdhsa_dx10_clamp 1
		.amdhsa_ieee_mode 1
		.amdhsa_fp16_overflow 0
		.amdhsa_exception_fp_ieee_invalid_op 0
		.amdhsa_exception_fp_denorm_src 0
		.amdhsa_exception_fp_ieee_div_zero 0
		.amdhsa_exception_fp_ieee_overflow 0
		.amdhsa_exception_fp_ieee_underflow 0
		.amdhsa_exception_fp_ieee_inexact 0
		.amdhsa_exception_int_div_zero 0
	.end_amdhsa_kernel
	.section	.text._ZN2at6native12_GLOBAL__N_123sort_postprocess_kernelIfEEvPKT_PS3_PlPK15HIP_vector_typeIiLj2EEii,"axG",@progbits,_ZN2at6native12_GLOBAL__N_123sort_postprocess_kernelIfEEvPKT_PS3_PlPK15HIP_vector_typeIiLj2EEii,comdat
.Lfunc_end1260:
	.size	_ZN2at6native12_GLOBAL__N_123sort_postprocess_kernelIfEEvPKT_PS3_PlPK15HIP_vector_typeIiLj2EEii, .Lfunc_end1260-_ZN2at6native12_GLOBAL__N_123sort_postprocess_kernelIfEEvPKT_PS3_PlPK15HIP_vector_typeIiLj2EEii
                                        ; -- End function
	.set _ZN2at6native12_GLOBAL__N_123sort_postprocess_kernelIfEEvPKT_PS3_PlPK15HIP_vector_typeIiLj2EEii.num_vgpr, 22
	.set _ZN2at6native12_GLOBAL__N_123sort_postprocess_kernelIfEEvPKT_PS3_PlPK15HIP_vector_typeIiLj2EEii.num_agpr, 0
	.set _ZN2at6native12_GLOBAL__N_123sort_postprocess_kernelIfEEvPKT_PS3_PlPK15HIP_vector_typeIiLj2EEii.numbered_sgpr, 19
	.set _ZN2at6native12_GLOBAL__N_123sort_postprocess_kernelIfEEvPKT_PS3_PlPK15HIP_vector_typeIiLj2EEii.num_named_barrier, 0
	.set _ZN2at6native12_GLOBAL__N_123sort_postprocess_kernelIfEEvPKT_PS3_PlPK15HIP_vector_typeIiLj2EEii.private_seg_size, 0
	.set _ZN2at6native12_GLOBAL__N_123sort_postprocess_kernelIfEEvPKT_PS3_PlPK15HIP_vector_typeIiLj2EEii.uses_vcc, 1
	.set _ZN2at6native12_GLOBAL__N_123sort_postprocess_kernelIfEEvPKT_PS3_PlPK15HIP_vector_typeIiLj2EEii.uses_flat_scratch, 0
	.set _ZN2at6native12_GLOBAL__N_123sort_postprocess_kernelIfEEvPKT_PS3_PlPK15HIP_vector_typeIiLj2EEii.has_dyn_sized_stack, 0
	.set _ZN2at6native12_GLOBAL__N_123sort_postprocess_kernelIfEEvPKT_PS3_PlPK15HIP_vector_typeIiLj2EEii.has_recursion, 0
	.set _ZN2at6native12_GLOBAL__N_123sort_postprocess_kernelIfEEvPKT_PS3_PlPK15HIP_vector_typeIiLj2EEii.has_indirect_call, 0
	.section	.AMDGPU.csdata,"",@progbits
; Kernel info:
; codeLenInByte = 444
; TotalNumSgprs: 23
; NumVgprs: 22
; ScratchSize: 0
; MemoryBound: 0
; FloatMode: 240
; IeeeMode: 1
; LDSByteSize: 0 bytes/workgroup (compile time only)
; SGPRBlocks: 2
; VGPRBlocks: 5
; NumSGPRsForWavesPerEU: 23
; NumVGPRsForWavesPerEU: 22
; Occupancy: 10
; WaveLimiterHint : 1
; COMPUTE_PGM_RSRC2:SCRATCH_EN: 0
; COMPUTE_PGM_RSRC2:USER_SGPR: 6
; COMPUTE_PGM_RSRC2:TRAP_HANDLER: 0
; COMPUTE_PGM_RSRC2:TGID_X_EN: 1
; COMPUTE_PGM_RSRC2:TGID_Y_EN: 0
; COMPUTE_PGM_RSRC2:TGID_Z_EN: 0
; COMPUTE_PGM_RSRC2:TIDIG_COMP_CNT: 0
	.section	.text._ZN7rocprim17ROCPRIM_400000_NS6detail17trampoline_kernelINS0_13select_configILj256ELj13ELNS0_17block_load_methodE3ELS4_3ELS4_3ELNS0_20block_scan_algorithmE0ELj4294967295EEENS1_25partition_config_selectorILNS1_17partition_subalgoE4EjNS0_10empty_typeEbEEZZNS1_14partition_implILS8_4ELb0ES6_15HIP_vector_typeIjLj2EENS0_17counting_iteratorIjlEEPS9_SG_NS0_5tupleIJPjSI_NS0_16reverse_iteratorISI_EEEEENSH_IJSG_SG_SG_EEES9_SI_JZNS1_25segmented_radix_sort_implINS0_14default_configELb1EPKfPfPKlPlN2at6native12_GLOBAL__N_18offset_tEEE10hipError_tPvRmT1_PNSt15iterator_traitsIS12_E10value_typeET2_T3_PNS13_IS18_E10value_typeET4_jRbjT5_S1E_jjP12ihipStream_tbEUljE_ZNSN_ISO_Lb1ESQ_SR_ST_SU_SY_EESZ_S10_S11_S12_S16_S17_S18_S1B_S1C_jS1D_jS1E_S1E_jjS1G_bEUljE0_EEESZ_S10_S11_S18_S1C_S1E_T6_T7_T9_mT8_S1G_bDpT10_ENKUlT_T0_E_clISt17integral_constantIbLb0EES1U_EEDaS1P_S1Q_EUlS1P_E_NS1_11comp_targetILNS1_3genE0ELNS1_11target_archE4294967295ELNS1_3gpuE0ELNS1_3repE0EEENS1_30default_config_static_selectorELNS0_4arch9wavefront6targetE1EEEvS12_,"axG",@progbits,_ZN7rocprim17ROCPRIM_400000_NS6detail17trampoline_kernelINS0_13select_configILj256ELj13ELNS0_17block_load_methodE3ELS4_3ELS4_3ELNS0_20block_scan_algorithmE0ELj4294967295EEENS1_25partition_config_selectorILNS1_17partition_subalgoE4EjNS0_10empty_typeEbEEZZNS1_14partition_implILS8_4ELb0ES6_15HIP_vector_typeIjLj2EENS0_17counting_iteratorIjlEEPS9_SG_NS0_5tupleIJPjSI_NS0_16reverse_iteratorISI_EEEEENSH_IJSG_SG_SG_EEES9_SI_JZNS1_25segmented_radix_sort_implINS0_14default_configELb1EPKfPfPKlPlN2at6native12_GLOBAL__N_18offset_tEEE10hipError_tPvRmT1_PNSt15iterator_traitsIS12_E10value_typeET2_T3_PNS13_IS18_E10value_typeET4_jRbjT5_S1E_jjP12ihipStream_tbEUljE_ZNSN_ISO_Lb1ESQ_SR_ST_SU_SY_EESZ_S10_S11_S12_S16_S17_S18_S1B_S1C_jS1D_jS1E_S1E_jjS1G_bEUljE0_EEESZ_S10_S11_S18_S1C_S1E_T6_T7_T9_mT8_S1G_bDpT10_ENKUlT_T0_E_clISt17integral_constantIbLb0EES1U_EEDaS1P_S1Q_EUlS1P_E_NS1_11comp_targetILNS1_3genE0ELNS1_11target_archE4294967295ELNS1_3gpuE0ELNS1_3repE0EEENS1_30default_config_static_selectorELNS0_4arch9wavefront6targetE1EEEvS12_,comdat
	.globl	_ZN7rocprim17ROCPRIM_400000_NS6detail17trampoline_kernelINS0_13select_configILj256ELj13ELNS0_17block_load_methodE3ELS4_3ELS4_3ELNS0_20block_scan_algorithmE0ELj4294967295EEENS1_25partition_config_selectorILNS1_17partition_subalgoE4EjNS0_10empty_typeEbEEZZNS1_14partition_implILS8_4ELb0ES6_15HIP_vector_typeIjLj2EENS0_17counting_iteratorIjlEEPS9_SG_NS0_5tupleIJPjSI_NS0_16reverse_iteratorISI_EEEEENSH_IJSG_SG_SG_EEES9_SI_JZNS1_25segmented_radix_sort_implINS0_14default_configELb1EPKfPfPKlPlN2at6native12_GLOBAL__N_18offset_tEEE10hipError_tPvRmT1_PNSt15iterator_traitsIS12_E10value_typeET2_T3_PNS13_IS18_E10value_typeET4_jRbjT5_S1E_jjP12ihipStream_tbEUljE_ZNSN_ISO_Lb1ESQ_SR_ST_SU_SY_EESZ_S10_S11_S12_S16_S17_S18_S1B_S1C_jS1D_jS1E_S1E_jjS1G_bEUljE0_EEESZ_S10_S11_S18_S1C_S1E_T6_T7_T9_mT8_S1G_bDpT10_ENKUlT_T0_E_clISt17integral_constantIbLb0EES1U_EEDaS1P_S1Q_EUlS1P_E_NS1_11comp_targetILNS1_3genE0ELNS1_11target_archE4294967295ELNS1_3gpuE0ELNS1_3repE0EEENS1_30default_config_static_selectorELNS0_4arch9wavefront6targetE1EEEvS12_ ; -- Begin function _ZN7rocprim17ROCPRIM_400000_NS6detail17trampoline_kernelINS0_13select_configILj256ELj13ELNS0_17block_load_methodE3ELS4_3ELS4_3ELNS0_20block_scan_algorithmE0ELj4294967295EEENS1_25partition_config_selectorILNS1_17partition_subalgoE4EjNS0_10empty_typeEbEEZZNS1_14partition_implILS8_4ELb0ES6_15HIP_vector_typeIjLj2EENS0_17counting_iteratorIjlEEPS9_SG_NS0_5tupleIJPjSI_NS0_16reverse_iteratorISI_EEEEENSH_IJSG_SG_SG_EEES9_SI_JZNS1_25segmented_radix_sort_implINS0_14default_configELb1EPKfPfPKlPlN2at6native12_GLOBAL__N_18offset_tEEE10hipError_tPvRmT1_PNSt15iterator_traitsIS12_E10value_typeET2_T3_PNS13_IS18_E10value_typeET4_jRbjT5_S1E_jjP12ihipStream_tbEUljE_ZNSN_ISO_Lb1ESQ_SR_ST_SU_SY_EESZ_S10_S11_S12_S16_S17_S18_S1B_S1C_jS1D_jS1E_S1E_jjS1G_bEUljE0_EEESZ_S10_S11_S18_S1C_S1E_T6_T7_T9_mT8_S1G_bDpT10_ENKUlT_T0_E_clISt17integral_constantIbLb0EES1U_EEDaS1P_S1Q_EUlS1P_E_NS1_11comp_targetILNS1_3genE0ELNS1_11target_archE4294967295ELNS1_3gpuE0ELNS1_3repE0EEENS1_30default_config_static_selectorELNS0_4arch9wavefront6targetE1EEEvS12_
	.p2align	8
	.type	_ZN7rocprim17ROCPRIM_400000_NS6detail17trampoline_kernelINS0_13select_configILj256ELj13ELNS0_17block_load_methodE3ELS4_3ELS4_3ELNS0_20block_scan_algorithmE0ELj4294967295EEENS1_25partition_config_selectorILNS1_17partition_subalgoE4EjNS0_10empty_typeEbEEZZNS1_14partition_implILS8_4ELb0ES6_15HIP_vector_typeIjLj2EENS0_17counting_iteratorIjlEEPS9_SG_NS0_5tupleIJPjSI_NS0_16reverse_iteratorISI_EEEEENSH_IJSG_SG_SG_EEES9_SI_JZNS1_25segmented_radix_sort_implINS0_14default_configELb1EPKfPfPKlPlN2at6native12_GLOBAL__N_18offset_tEEE10hipError_tPvRmT1_PNSt15iterator_traitsIS12_E10value_typeET2_T3_PNS13_IS18_E10value_typeET4_jRbjT5_S1E_jjP12ihipStream_tbEUljE_ZNSN_ISO_Lb1ESQ_SR_ST_SU_SY_EESZ_S10_S11_S12_S16_S17_S18_S1B_S1C_jS1D_jS1E_S1E_jjS1G_bEUljE0_EEESZ_S10_S11_S18_S1C_S1E_T6_T7_T9_mT8_S1G_bDpT10_ENKUlT_T0_E_clISt17integral_constantIbLb0EES1U_EEDaS1P_S1Q_EUlS1P_E_NS1_11comp_targetILNS1_3genE0ELNS1_11target_archE4294967295ELNS1_3gpuE0ELNS1_3repE0EEENS1_30default_config_static_selectorELNS0_4arch9wavefront6targetE1EEEvS12_,@function
_ZN7rocprim17ROCPRIM_400000_NS6detail17trampoline_kernelINS0_13select_configILj256ELj13ELNS0_17block_load_methodE3ELS4_3ELS4_3ELNS0_20block_scan_algorithmE0ELj4294967295EEENS1_25partition_config_selectorILNS1_17partition_subalgoE4EjNS0_10empty_typeEbEEZZNS1_14partition_implILS8_4ELb0ES6_15HIP_vector_typeIjLj2EENS0_17counting_iteratorIjlEEPS9_SG_NS0_5tupleIJPjSI_NS0_16reverse_iteratorISI_EEEEENSH_IJSG_SG_SG_EEES9_SI_JZNS1_25segmented_radix_sort_implINS0_14default_configELb1EPKfPfPKlPlN2at6native12_GLOBAL__N_18offset_tEEE10hipError_tPvRmT1_PNSt15iterator_traitsIS12_E10value_typeET2_T3_PNS13_IS18_E10value_typeET4_jRbjT5_S1E_jjP12ihipStream_tbEUljE_ZNSN_ISO_Lb1ESQ_SR_ST_SU_SY_EESZ_S10_S11_S12_S16_S17_S18_S1B_S1C_jS1D_jS1E_S1E_jjS1G_bEUljE0_EEESZ_S10_S11_S18_S1C_S1E_T6_T7_T9_mT8_S1G_bDpT10_ENKUlT_T0_E_clISt17integral_constantIbLb0EES1U_EEDaS1P_S1Q_EUlS1P_E_NS1_11comp_targetILNS1_3genE0ELNS1_11target_archE4294967295ELNS1_3gpuE0ELNS1_3repE0EEENS1_30default_config_static_selectorELNS0_4arch9wavefront6targetE1EEEvS12_: ; @_ZN7rocprim17ROCPRIM_400000_NS6detail17trampoline_kernelINS0_13select_configILj256ELj13ELNS0_17block_load_methodE3ELS4_3ELS4_3ELNS0_20block_scan_algorithmE0ELj4294967295EEENS1_25partition_config_selectorILNS1_17partition_subalgoE4EjNS0_10empty_typeEbEEZZNS1_14partition_implILS8_4ELb0ES6_15HIP_vector_typeIjLj2EENS0_17counting_iteratorIjlEEPS9_SG_NS0_5tupleIJPjSI_NS0_16reverse_iteratorISI_EEEEENSH_IJSG_SG_SG_EEES9_SI_JZNS1_25segmented_radix_sort_implINS0_14default_configELb1EPKfPfPKlPlN2at6native12_GLOBAL__N_18offset_tEEE10hipError_tPvRmT1_PNSt15iterator_traitsIS12_E10value_typeET2_T3_PNS13_IS18_E10value_typeET4_jRbjT5_S1E_jjP12ihipStream_tbEUljE_ZNSN_ISO_Lb1ESQ_SR_ST_SU_SY_EESZ_S10_S11_S12_S16_S17_S18_S1B_S1C_jS1D_jS1E_S1E_jjS1G_bEUljE0_EEESZ_S10_S11_S18_S1C_S1E_T6_T7_T9_mT8_S1G_bDpT10_ENKUlT_T0_E_clISt17integral_constantIbLb0EES1U_EEDaS1P_S1Q_EUlS1P_E_NS1_11comp_targetILNS1_3genE0ELNS1_11target_archE4294967295ELNS1_3gpuE0ELNS1_3repE0EEENS1_30default_config_static_selectorELNS0_4arch9wavefront6targetE1EEEvS12_
; %bb.0:
	.section	.rodata,"a",@progbits
	.p2align	6, 0x0
	.amdhsa_kernel _ZN7rocprim17ROCPRIM_400000_NS6detail17trampoline_kernelINS0_13select_configILj256ELj13ELNS0_17block_load_methodE3ELS4_3ELS4_3ELNS0_20block_scan_algorithmE0ELj4294967295EEENS1_25partition_config_selectorILNS1_17partition_subalgoE4EjNS0_10empty_typeEbEEZZNS1_14partition_implILS8_4ELb0ES6_15HIP_vector_typeIjLj2EENS0_17counting_iteratorIjlEEPS9_SG_NS0_5tupleIJPjSI_NS0_16reverse_iteratorISI_EEEEENSH_IJSG_SG_SG_EEES9_SI_JZNS1_25segmented_radix_sort_implINS0_14default_configELb1EPKfPfPKlPlN2at6native12_GLOBAL__N_18offset_tEEE10hipError_tPvRmT1_PNSt15iterator_traitsIS12_E10value_typeET2_T3_PNS13_IS18_E10value_typeET4_jRbjT5_S1E_jjP12ihipStream_tbEUljE_ZNSN_ISO_Lb1ESQ_SR_ST_SU_SY_EESZ_S10_S11_S12_S16_S17_S18_S1B_S1C_jS1D_jS1E_S1E_jjS1G_bEUljE0_EEESZ_S10_S11_S18_S1C_S1E_T6_T7_T9_mT8_S1G_bDpT10_ENKUlT_T0_E_clISt17integral_constantIbLb0EES1U_EEDaS1P_S1Q_EUlS1P_E_NS1_11comp_targetILNS1_3genE0ELNS1_11target_archE4294967295ELNS1_3gpuE0ELNS1_3repE0EEENS1_30default_config_static_selectorELNS0_4arch9wavefront6targetE1EEEvS12_
		.amdhsa_group_segment_fixed_size 0
		.amdhsa_private_segment_fixed_size 0
		.amdhsa_kernarg_size 176
		.amdhsa_user_sgpr_count 6
		.amdhsa_user_sgpr_private_segment_buffer 1
		.amdhsa_user_sgpr_dispatch_ptr 0
		.amdhsa_user_sgpr_queue_ptr 0
		.amdhsa_user_sgpr_kernarg_segment_ptr 1
		.amdhsa_user_sgpr_dispatch_id 0
		.amdhsa_user_sgpr_flat_scratch_init 0
		.amdhsa_user_sgpr_private_segment_size 0
		.amdhsa_uses_dynamic_stack 0
		.amdhsa_system_sgpr_private_segment_wavefront_offset 0
		.amdhsa_system_sgpr_workgroup_id_x 1
		.amdhsa_system_sgpr_workgroup_id_y 0
		.amdhsa_system_sgpr_workgroup_id_z 0
		.amdhsa_system_sgpr_workgroup_info 0
		.amdhsa_system_vgpr_workitem_id 0
		.amdhsa_next_free_vgpr 1
		.amdhsa_next_free_sgpr 0
		.amdhsa_reserve_vcc 0
		.amdhsa_reserve_flat_scratch 0
		.amdhsa_float_round_mode_32 0
		.amdhsa_float_round_mode_16_64 0
		.amdhsa_float_denorm_mode_32 3
		.amdhsa_float_denorm_mode_16_64 3
		.amdhsa_dx10_clamp 1
		.amdhsa_ieee_mode 1
		.amdhsa_fp16_overflow 0
		.amdhsa_exception_fp_ieee_invalid_op 0
		.amdhsa_exception_fp_denorm_src 0
		.amdhsa_exception_fp_ieee_div_zero 0
		.amdhsa_exception_fp_ieee_overflow 0
		.amdhsa_exception_fp_ieee_underflow 0
		.amdhsa_exception_fp_ieee_inexact 0
		.amdhsa_exception_int_div_zero 0
	.end_amdhsa_kernel
	.section	.text._ZN7rocprim17ROCPRIM_400000_NS6detail17trampoline_kernelINS0_13select_configILj256ELj13ELNS0_17block_load_methodE3ELS4_3ELS4_3ELNS0_20block_scan_algorithmE0ELj4294967295EEENS1_25partition_config_selectorILNS1_17partition_subalgoE4EjNS0_10empty_typeEbEEZZNS1_14partition_implILS8_4ELb0ES6_15HIP_vector_typeIjLj2EENS0_17counting_iteratorIjlEEPS9_SG_NS0_5tupleIJPjSI_NS0_16reverse_iteratorISI_EEEEENSH_IJSG_SG_SG_EEES9_SI_JZNS1_25segmented_radix_sort_implINS0_14default_configELb1EPKfPfPKlPlN2at6native12_GLOBAL__N_18offset_tEEE10hipError_tPvRmT1_PNSt15iterator_traitsIS12_E10value_typeET2_T3_PNS13_IS18_E10value_typeET4_jRbjT5_S1E_jjP12ihipStream_tbEUljE_ZNSN_ISO_Lb1ESQ_SR_ST_SU_SY_EESZ_S10_S11_S12_S16_S17_S18_S1B_S1C_jS1D_jS1E_S1E_jjS1G_bEUljE0_EEESZ_S10_S11_S18_S1C_S1E_T6_T7_T9_mT8_S1G_bDpT10_ENKUlT_T0_E_clISt17integral_constantIbLb0EES1U_EEDaS1P_S1Q_EUlS1P_E_NS1_11comp_targetILNS1_3genE0ELNS1_11target_archE4294967295ELNS1_3gpuE0ELNS1_3repE0EEENS1_30default_config_static_selectorELNS0_4arch9wavefront6targetE1EEEvS12_,"axG",@progbits,_ZN7rocprim17ROCPRIM_400000_NS6detail17trampoline_kernelINS0_13select_configILj256ELj13ELNS0_17block_load_methodE3ELS4_3ELS4_3ELNS0_20block_scan_algorithmE0ELj4294967295EEENS1_25partition_config_selectorILNS1_17partition_subalgoE4EjNS0_10empty_typeEbEEZZNS1_14partition_implILS8_4ELb0ES6_15HIP_vector_typeIjLj2EENS0_17counting_iteratorIjlEEPS9_SG_NS0_5tupleIJPjSI_NS0_16reverse_iteratorISI_EEEEENSH_IJSG_SG_SG_EEES9_SI_JZNS1_25segmented_radix_sort_implINS0_14default_configELb1EPKfPfPKlPlN2at6native12_GLOBAL__N_18offset_tEEE10hipError_tPvRmT1_PNSt15iterator_traitsIS12_E10value_typeET2_T3_PNS13_IS18_E10value_typeET4_jRbjT5_S1E_jjP12ihipStream_tbEUljE_ZNSN_ISO_Lb1ESQ_SR_ST_SU_SY_EESZ_S10_S11_S12_S16_S17_S18_S1B_S1C_jS1D_jS1E_S1E_jjS1G_bEUljE0_EEESZ_S10_S11_S18_S1C_S1E_T6_T7_T9_mT8_S1G_bDpT10_ENKUlT_T0_E_clISt17integral_constantIbLb0EES1U_EEDaS1P_S1Q_EUlS1P_E_NS1_11comp_targetILNS1_3genE0ELNS1_11target_archE4294967295ELNS1_3gpuE0ELNS1_3repE0EEENS1_30default_config_static_selectorELNS0_4arch9wavefront6targetE1EEEvS12_,comdat
.Lfunc_end1261:
	.size	_ZN7rocprim17ROCPRIM_400000_NS6detail17trampoline_kernelINS0_13select_configILj256ELj13ELNS0_17block_load_methodE3ELS4_3ELS4_3ELNS0_20block_scan_algorithmE0ELj4294967295EEENS1_25partition_config_selectorILNS1_17partition_subalgoE4EjNS0_10empty_typeEbEEZZNS1_14partition_implILS8_4ELb0ES6_15HIP_vector_typeIjLj2EENS0_17counting_iteratorIjlEEPS9_SG_NS0_5tupleIJPjSI_NS0_16reverse_iteratorISI_EEEEENSH_IJSG_SG_SG_EEES9_SI_JZNS1_25segmented_radix_sort_implINS0_14default_configELb1EPKfPfPKlPlN2at6native12_GLOBAL__N_18offset_tEEE10hipError_tPvRmT1_PNSt15iterator_traitsIS12_E10value_typeET2_T3_PNS13_IS18_E10value_typeET4_jRbjT5_S1E_jjP12ihipStream_tbEUljE_ZNSN_ISO_Lb1ESQ_SR_ST_SU_SY_EESZ_S10_S11_S12_S16_S17_S18_S1B_S1C_jS1D_jS1E_S1E_jjS1G_bEUljE0_EEESZ_S10_S11_S18_S1C_S1E_T6_T7_T9_mT8_S1G_bDpT10_ENKUlT_T0_E_clISt17integral_constantIbLb0EES1U_EEDaS1P_S1Q_EUlS1P_E_NS1_11comp_targetILNS1_3genE0ELNS1_11target_archE4294967295ELNS1_3gpuE0ELNS1_3repE0EEENS1_30default_config_static_selectorELNS0_4arch9wavefront6targetE1EEEvS12_, .Lfunc_end1261-_ZN7rocprim17ROCPRIM_400000_NS6detail17trampoline_kernelINS0_13select_configILj256ELj13ELNS0_17block_load_methodE3ELS4_3ELS4_3ELNS0_20block_scan_algorithmE0ELj4294967295EEENS1_25partition_config_selectorILNS1_17partition_subalgoE4EjNS0_10empty_typeEbEEZZNS1_14partition_implILS8_4ELb0ES6_15HIP_vector_typeIjLj2EENS0_17counting_iteratorIjlEEPS9_SG_NS0_5tupleIJPjSI_NS0_16reverse_iteratorISI_EEEEENSH_IJSG_SG_SG_EEES9_SI_JZNS1_25segmented_radix_sort_implINS0_14default_configELb1EPKfPfPKlPlN2at6native12_GLOBAL__N_18offset_tEEE10hipError_tPvRmT1_PNSt15iterator_traitsIS12_E10value_typeET2_T3_PNS13_IS18_E10value_typeET4_jRbjT5_S1E_jjP12ihipStream_tbEUljE_ZNSN_ISO_Lb1ESQ_SR_ST_SU_SY_EESZ_S10_S11_S12_S16_S17_S18_S1B_S1C_jS1D_jS1E_S1E_jjS1G_bEUljE0_EEESZ_S10_S11_S18_S1C_S1E_T6_T7_T9_mT8_S1G_bDpT10_ENKUlT_T0_E_clISt17integral_constantIbLb0EES1U_EEDaS1P_S1Q_EUlS1P_E_NS1_11comp_targetILNS1_3genE0ELNS1_11target_archE4294967295ELNS1_3gpuE0ELNS1_3repE0EEENS1_30default_config_static_selectorELNS0_4arch9wavefront6targetE1EEEvS12_
                                        ; -- End function
	.set _ZN7rocprim17ROCPRIM_400000_NS6detail17trampoline_kernelINS0_13select_configILj256ELj13ELNS0_17block_load_methodE3ELS4_3ELS4_3ELNS0_20block_scan_algorithmE0ELj4294967295EEENS1_25partition_config_selectorILNS1_17partition_subalgoE4EjNS0_10empty_typeEbEEZZNS1_14partition_implILS8_4ELb0ES6_15HIP_vector_typeIjLj2EENS0_17counting_iteratorIjlEEPS9_SG_NS0_5tupleIJPjSI_NS0_16reverse_iteratorISI_EEEEENSH_IJSG_SG_SG_EEES9_SI_JZNS1_25segmented_radix_sort_implINS0_14default_configELb1EPKfPfPKlPlN2at6native12_GLOBAL__N_18offset_tEEE10hipError_tPvRmT1_PNSt15iterator_traitsIS12_E10value_typeET2_T3_PNS13_IS18_E10value_typeET4_jRbjT5_S1E_jjP12ihipStream_tbEUljE_ZNSN_ISO_Lb1ESQ_SR_ST_SU_SY_EESZ_S10_S11_S12_S16_S17_S18_S1B_S1C_jS1D_jS1E_S1E_jjS1G_bEUljE0_EEESZ_S10_S11_S18_S1C_S1E_T6_T7_T9_mT8_S1G_bDpT10_ENKUlT_T0_E_clISt17integral_constantIbLb0EES1U_EEDaS1P_S1Q_EUlS1P_E_NS1_11comp_targetILNS1_3genE0ELNS1_11target_archE4294967295ELNS1_3gpuE0ELNS1_3repE0EEENS1_30default_config_static_selectorELNS0_4arch9wavefront6targetE1EEEvS12_.num_vgpr, 0
	.set _ZN7rocprim17ROCPRIM_400000_NS6detail17trampoline_kernelINS0_13select_configILj256ELj13ELNS0_17block_load_methodE3ELS4_3ELS4_3ELNS0_20block_scan_algorithmE0ELj4294967295EEENS1_25partition_config_selectorILNS1_17partition_subalgoE4EjNS0_10empty_typeEbEEZZNS1_14partition_implILS8_4ELb0ES6_15HIP_vector_typeIjLj2EENS0_17counting_iteratorIjlEEPS9_SG_NS0_5tupleIJPjSI_NS0_16reverse_iteratorISI_EEEEENSH_IJSG_SG_SG_EEES9_SI_JZNS1_25segmented_radix_sort_implINS0_14default_configELb1EPKfPfPKlPlN2at6native12_GLOBAL__N_18offset_tEEE10hipError_tPvRmT1_PNSt15iterator_traitsIS12_E10value_typeET2_T3_PNS13_IS18_E10value_typeET4_jRbjT5_S1E_jjP12ihipStream_tbEUljE_ZNSN_ISO_Lb1ESQ_SR_ST_SU_SY_EESZ_S10_S11_S12_S16_S17_S18_S1B_S1C_jS1D_jS1E_S1E_jjS1G_bEUljE0_EEESZ_S10_S11_S18_S1C_S1E_T6_T7_T9_mT8_S1G_bDpT10_ENKUlT_T0_E_clISt17integral_constantIbLb0EES1U_EEDaS1P_S1Q_EUlS1P_E_NS1_11comp_targetILNS1_3genE0ELNS1_11target_archE4294967295ELNS1_3gpuE0ELNS1_3repE0EEENS1_30default_config_static_selectorELNS0_4arch9wavefront6targetE1EEEvS12_.num_agpr, 0
	.set _ZN7rocprim17ROCPRIM_400000_NS6detail17trampoline_kernelINS0_13select_configILj256ELj13ELNS0_17block_load_methodE3ELS4_3ELS4_3ELNS0_20block_scan_algorithmE0ELj4294967295EEENS1_25partition_config_selectorILNS1_17partition_subalgoE4EjNS0_10empty_typeEbEEZZNS1_14partition_implILS8_4ELb0ES6_15HIP_vector_typeIjLj2EENS0_17counting_iteratorIjlEEPS9_SG_NS0_5tupleIJPjSI_NS0_16reverse_iteratorISI_EEEEENSH_IJSG_SG_SG_EEES9_SI_JZNS1_25segmented_radix_sort_implINS0_14default_configELb1EPKfPfPKlPlN2at6native12_GLOBAL__N_18offset_tEEE10hipError_tPvRmT1_PNSt15iterator_traitsIS12_E10value_typeET2_T3_PNS13_IS18_E10value_typeET4_jRbjT5_S1E_jjP12ihipStream_tbEUljE_ZNSN_ISO_Lb1ESQ_SR_ST_SU_SY_EESZ_S10_S11_S12_S16_S17_S18_S1B_S1C_jS1D_jS1E_S1E_jjS1G_bEUljE0_EEESZ_S10_S11_S18_S1C_S1E_T6_T7_T9_mT8_S1G_bDpT10_ENKUlT_T0_E_clISt17integral_constantIbLb0EES1U_EEDaS1P_S1Q_EUlS1P_E_NS1_11comp_targetILNS1_3genE0ELNS1_11target_archE4294967295ELNS1_3gpuE0ELNS1_3repE0EEENS1_30default_config_static_selectorELNS0_4arch9wavefront6targetE1EEEvS12_.numbered_sgpr, 0
	.set _ZN7rocprim17ROCPRIM_400000_NS6detail17trampoline_kernelINS0_13select_configILj256ELj13ELNS0_17block_load_methodE3ELS4_3ELS4_3ELNS0_20block_scan_algorithmE0ELj4294967295EEENS1_25partition_config_selectorILNS1_17partition_subalgoE4EjNS0_10empty_typeEbEEZZNS1_14partition_implILS8_4ELb0ES6_15HIP_vector_typeIjLj2EENS0_17counting_iteratorIjlEEPS9_SG_NS0_5tupleIJPjSI_NS0_16reverse_iteratorISI_EEEEENSH_IJSG_SG_SG_EEES9_SI_JZNS1_25segmented_radix_sort_implINS0_14default_configELb1EPKfPfPKlPlN2at6native12_GLOBAL__N_18offset_tEEE10hipError_tPvRmT1_PNSt15iterator_traitsIS12_E10value_typeET2_T3_PNS13_IS18_E10value_typeET4_jRbjT5_S1E_jjP12ihipStream_tbEUljE_ZNSN_ISO_Lb1ESQ_SR_ST_SU_SY_EESZ_S10_S11_S12_S16_S17_S18_S1B_S1C_jS1D_jS1E_S1E_jjS1G_bEUljE0_EEESZ_S10_S11_S18_S1C_S1E_T6_T7_T9_mT8_S1G_bDpT10_ENKUlT_T0_E_clISt17integral_constantIbLb0EES1U_EEDaS1P_S1Q_EUlS1P_E_NS1_11comp_targetILNS1_3genE0ELNS1_11target_archE4294967295ELNS1_3gpuE0ELNS1_3repE0EEENS1_30default_config_static_selectorELNS0_4arch9wavefront6targetE1EEEvS12_.num_named_barrier, 0
	.set _ZN7rocprim17ROCPRIM_400000_NS6detail17trampoline_kernelINS0_13select_configILj256ELj13ELNS0_17block_load_methodE3ELS4_3ELS4_3ELNS0_20block_scan_algorithmE0ELj4294967295EEENS1_25partition_config_selectorILNS1_17partition_subalgoE4EjNS0_10empty_typeEbEEZZNS1_14partition_implILS8_4ELb0ES6_15HIP_vector_typeIjLj2EENS0_17counting_iteratorIjlEEPS9_SG_NS0_5tupleIJPjSI_NS0_16reverse_iteratorISI_EEEEENSH_IJSG_SG_SG_EEES9_SI_JZNS1_25segmented_radix_sort_implINS0_14default_configELb1EPKfPfPKlPlN2at6native12_GLOBAL__N_18offset_tEEE10hipError_tPvRmT1_PNSt15iterator_traitsIS12_E10value_typeET2_T3_PNS13_IS18_E10value_typeET4_jRbjT5_S1E_jjP12ihipStream_tbEUljE_ZNSN_ISO_Lb1ESQ_SR_ST_SU_SY_EESZ_S10_S11_S12_S16_S17_S18_S1B_S1C_jS1D_jS1E_S1E_jjS1G_bEUljE0_EEESZ_S10_S11_S18_S1C_S1E_T6_T7_T9_mT8_S1G_bDpT10_ENKUlT_T0_E_clISt17integral_constantIbLb0EES1U_EEDaS1P_S1Q_EUlS1P_E_NS1_11comp_targetILNS1_3genE0ELNS1_11target_archE4294967295ELNS1_3gpuE0ELNS1_3repE0EEENS1_30default_config_static_selectorELNS0_4arch9wavefront6targetE1EEEvS12_.private_seg_size, 0
	.set _ZN7rocprim17ROCPRIM_400000_NS6detail17trampoline_kernelINS0_13select_configILj256ELj13ELNS0_17block_load_methodE3ELS4_3ELS4_3ELNS0_20block_scan_algorithmE0ELj4294967295EEENS1_25partition_config_selectorILNS1_17partition_subalgoE4EjNS0_10empty_typeEbEEZZNS1_14partition_implILS8_4ELb0ES6_15HIP_vector_typeIjLj2EENS0_17counting_iteratorIjlEEPS9_SG_NS0_5tupleIJPjSI_NS0_16reverse_iteratorISI_EEEEENSH_IJSG_SG_SG_EEES9_SI_JZNS1_25segmented_radix_sort_implINS0_14default_configELb1EPKfPfPKlPlN2at6native12_GLOBAL__N_18offset_tEEE10hipError_tPvRmT1_PNSt15iterator_traitsIS12_E10value_typeET2_T3_PNS13_IS18_E10value_typeET4_jRbjT5_S1E_jjP12ihipStream_tbEUljE_ZNSN_ISO_Lb1ESQ_SR_ST_SU_SY_EESZ_S10_S11_S12_S16_S17_S18_S1B_S1C_jS1D_jS1E_S1E_jjS1G_bEUljE0_EEESZ_S10_S11_S18_S1C_S1E_T6_T7_T9_mT8_S1G_bDpT10_ENKUlT_T0_E_clISt17integral_constantIbLb0EES1U_EEDaS1P_S1Q_EUlS1P_E_NS1_11comp_targetILNS1_3genE0ELNS1_11target_archE4294967295ELNS1_3gpuE0ELNS1_3repE0EEENS1_30default_config_static_selectorELNS0_4arch9wavefront6targetE1EEEvS12_.uses_vcc, 0
	.set _ZN7rocprim17ROCPRIM_400000_NS6detail17trampoline_kernelINS0_13select_configILj256ELj13ELNS0_17block_load_methodE3ELS4_3ELS4_3ELNS0_20block_scan_algorithmE0ELj4294967295EEENS1_25partition_config_selectorILNS1_17partition_subalgoE4EjNS0_10empty_typeEbEEZZNS1_14partition_implILS8_4ELb0ES6_15HIP_vector_typeIjLj2EENS0_17counting_iteratorIjlEEPS9_SG_NS0_5tupleIJPjSI_NS0_16reverse_iteratorISI_EEEEENSH_IJSG_SG_SG_EEES9_SI_JZNS1_25segmented_radix_sort_implINS0_14default_configELb1EPKfPfPKlPlN2at6native12_GLOBAL__N_18offset_tEEE10hipError_tPvRmT1_PNSt15iterator_traitsIS12_E10value_typeET2_T3_PNS13_IS18_E10value_typeET4_jRbjT5_S1E_jjP12ihipStream_tbEUljE_ZNSN_ISO_Lb1ESQ_SR_ST_SU_SY_EESZ_S10_S11_S12_S16_S17_S18_S1B_S1C_jS1D_jS1E_S1E_jjS1G_bEUljE0_EEESZ_S10_S11_S18_S1C_S1E_T6_T7_T9_mT8_S1G_bDpT10_ENKUlT_T0_E_clISt17integral_constantIbLb0EES1U_EEDaS1P_S1Q_EUlS1P_E_NS1_11comp_targetILNS1_3genE0ELNS1_11target_archE4294967295ELNS1_3gpuE0ELNS1_3repE0EEENS1_30default_config_static_selectorELNS0_4arch9wavefront6targetE1EEEvS12_.uses_flat_scratch, 0
	.set _ZN7rocprim17ROCPRIM_400000_NS6detail17trampoline_kernelINS0_13select_configILj256ELj13ELNS0_17block_load_methodE3ELS4_3ELS4_3ELNS0_20block_scan_algorithmE0ELj4294967295EEENS1_25partition_config_selectorILNS1_17partition_subalgoE4EjNS0_10empty_typeEbEEZZNS1_14partition_implILS8_4ELb0ES6_15HIP_vector_typeIjLj2EENS0_17counting_iteratorIjlEEPS9_SG_NS0_5tupleIJPjSI_NS0_16reverse_iteratorISI_EEEEENSH_IJSG_SG_SG_EEES9_SI_JZNS1_25segmented_radix_sort_implINS0_14default_configELb1EPKfPfPKlPlN2at6native12_GLOBAL__N_18offset_tEEE10hipError_tPvRmT1_PNSt15iterator_traitsIS12_E10value_typeET2_T3_PNS13_IS18_E10value_typeET4_jRbjT5_S1E_jjP12ihipStream_tbEUljE_ZNSN_ISO_Lb1ESQ_SR_ST_SU_SY_EESZ_S10_S11_S12_S16_S17_S18_S1B_S1C_jS1D_jS1E_S1E_jjS1G_bEUljE0_EEESZ_S10_S11_S18_S1C_S1E_T6_T7_T9_mT8_S1G_bDpT10_ENKUlT_T0_E_clISt17integral_constantIbLb0EES1U_EEDaS1P_S1Q_EUlS1P_E_NS1_11comp_targetILNS1_3genE0ELNS1_11target_archE4294967295ELNS1_3gpuE0ELNS1_3repE0EEENS1_30default_config_static_selectorELNS0_4arch9wavefront6targetE1EEEvS12_.has_dyn_sized_stack, 0
	.set _ZN7rocprim17ROCPRIM_400000_NS6detail17trampoline_kernelINS0_13select_configILj256ELj13ELNS0_17block_load_methodE3ELS4_3ELS4_3ELNS0_20block_scan_algorithmE0ELj4294967295EEENS1_25partition_config_selectorILNS1_17partition_subalgoE4EjNS0_10empty_typeEbEEZZNS1_14partition_implILS8_4ELb0ES6_15HIP_vector_typeIjLj2EENS0_17counting_iteratorIjlEEPS9_SG_NS0_5tupleIJPjSI_NS0_16reverse_iteratorISI_EEEEENSH_IJSG_SG_SG_EEES9_SI_JZNS1_25segmented_radix_sort_implINS0_14default_configELb1EPKfPfPKlPlN2at6native12_GLOBAL__N_18offset_tEEE10hipError_tPvRmT1_PNSt15iterator_traitsIS12_E10value_typeET2_T3_PNS13_IS18_E10value_typeET4_jRbjT5_S1E_jjP12ihipStream_tbEUljE_ZNSN_ISO_Lb1ESQ_SR_ST_SU_SY_EESZ_S10_S11_S12_S16_S17_S18_S1B_S1C_jS1D_jS1E_S1E_jjS1G_bEUljE0_EEESZ_S10_S11_S18_S1C_S1E_T6_T7_T9_mT8_S1G_bDpT10_ENKUlT_T0_E_clISt17integral_constantIbLb0EES1U_EEDaS1P_S1Q_EUlS1P_E_NS1_11comp_targetILNS1_3genE0ELNS1_11target_archE4294967295ELNS1_3gpuE0ELNS1_3repE0EEENS1_30default_config_static_selectorELNS0_4arch9wavefront6targetE1EEEvS12_.has_recursion, 0
	.set _ZN7rocprim17ROCPRIM_400000_NS6detail17trampoline_kernelINS0_13select_configILj256ELj13ELNS0_17block_load_methodE3ELS4_3ELS4_3ELNS0_20block_scan_algorithmE0ELj4294967295EEENS1_25partition_config_selectorILNS1_17partition_subalgoE4EjNS0_10empty_typeEbEEZZNS1_14partition_implILS8_4ELb0ES6_15HIP_vector_typeIjLj2EENS0_17counting_iteratorIjlEEPS9_SG_NS0_5tupleIJPjSI_NS0_16reverse_iteratorISI_EEEEENSH_IJSG_SG_SG_EEES9_SI_JZNS1_25segmented_radix_sort_implINS0_14default_configELb1EPKfPfPKlPlN2at6native12_GLOBAL__N_18offset_tEEE10hipError_tPvRmT1_PNSt15iterator_traitsIS12_E10value_typeET2_T3_PNS13_IS18_E10value_typeET4_jRbjT5_S1E_jjP12ihipStream_tbEUljE_ZNSN_ISO_Lb1ESQ_SR_ST_SU_SY_EESZ_S10_S11_S12_S16_S17_S18_S1B_S1C_jS1D_jS1E_S1E_jjS1G_bEUljE0_EEESZ_S10_S11_S18_S1C_S1E_T6_T7_T9_mT8_S1G_bDpT10_ENKUlT_T0_E_clISt17integral_constantIbLb0EES1U_EEDaS1P_S1Q_EUlS1P_E_NS1_11comp_targetILNS1_3genE0ELNS1_11target_archE4294967295ELNS1_3gpuE0ELNS1_3repE0EEENS1_30default_config_static_selectorELNS0_4arch9wavefront6targetE1EEEvS12_.has_indirect_call, 0
	.section	.AMDGPU.csdata,"",@progbits
; Kernel info:
; codeLenInByte = 0
; TotalNumSgprs: 4
; NumVgprs: 0
; ScratchSize: 0
; MemoryBound: 0
; FloatMode: 240
; IeeeMode: 1
; LDSByteSize: 0 bytes/workgroup (compile time only)
; SGPRBlocks: 0
; VGPRBlocks: 0
; NumSGPRsForWavesPerEU: 4
; NumVGPRsForWavesPerEU: 1
; Occupancy: 10
; WaveLimiterHint : 0
; COMPUTE_PGM_RSRC2:SCRATCH_EN: 0
; COMPUTE_PGM_RSRC2:USER_SGPR: 6
; COMPUTE_PGM_RSRC2:TRAP_HANDLER: 0
; COMPUTE_PGM_RSRC2:TGID_X_EN: 1
; COMPUTE_PGM_RSRC2:TGID_Y_EN: 0
; COMPUTE_PGM_RSRC2:TGID_Z_EN: 0
; COMPUTE_PGM_RSRC2:TIDIG_COMP_CNT: 0
	.section	.text._ZN7rocprim17ROCPRIM_400000_NS6detail17trampoline_kernelINS0_13select_configILj256ELj13ELNS0_17block_load_methodE3ELS4_3ELS4_3ELNS0_20block_scan_algorithmE0ELj4294967295EEENS1_25partition_config_selectorILNS1_17partition_subalgoE4EjNS0_10empty_typeEbEEZZNS1_14partition_implILS8_4ELb0ES6_15HIP_vector_typeIjLj2EENS0_17counting_iteratorIjlEEPS9_SG_NS0_5tupleIJPjSI_NS0_16reverse_iteratorISI_EEEEENSH_IJSG_SG_SG_EEES9_SI_JZNS1_25segmented_radix_sort_implINS0_14default_configELb1EPKfPfPKlPlN2at6native12_GLOBAL__N_18offset_tEEE10hipError_tPvRmT1_PNSt15iterator_traitsIS12_E10value_typeET2_T3_PNS13_IS18_E10value_typeET4_jRbjT5_S1E_jjP12ihipStream_tbEUljE_ZNSN_ISO_Lb1ESQ_SR_ST_SU_SY_EESZ_S10_S11_S12_S16_S17_S18_S1B_S1C_jS1D_jS1E_S1E_jjS1G_bEUljE0_EEESZ_S10_S11_S18_S1C_S1E_T6_T7_T9_mT8_S1G_bDpT10_ENKUlT_T0_E_clISt17integral_constantIbLb0EES1U_EEDaS1P_S1Q_EUlS1P_E_NS1_11comp_targetILNS1_3genE5ELNS1_11target_archE942ELNS1_3gpuE9ELNS1_3repE0EEENS1_30default_config_static_selectorELNS0_4arch9wavefront6targetE1EEEvS12_,"axG",@progbits,_ZN7rocprim17ROCPRIM_400000_NS6detail17trampoline_kernelINS0_13select_configILj256ELj13ELNS0_17block_load_methodE3ELS4_3ELS4_3ELNS0_20block_scan_algorithmE0ELj4294967295EEENS1_25partition_config_selectorILNS1_17partition_subalgoE4EjNS0_10empty_typeEbEEZZNS1_14partition_implILS8_4ELb0ES6_15HIP_vector_typeIjLj2EENS0_17counting_iteratorIjlEEPS9_SG_NS0_5tupleIJPjSI_NS0_16reverse_iteratorISI_EEEEENSH_IJSG_SG_SG_EEES9_SI_JZNS1_25segmented_radix_sort_implINS0_14default_configELb1EPKfPfPKlPlN2at6native12_GLOBAL__N_18offset_tEEE10hipError_tPvRmT1_PNSt15iterator_traitsIS12_E10value_typeET2_T3_PNS13_IS18_E10value_typeET4_jRbjT5_S1E_jjP12ihipStream_tbEUljE_ZNSN_ISO_Lb1ESQ_SR_ST_SU_SY_EESZ_S10_S11_S12_S16_S17_S18_S1B_S1C_jS1D_jS1E_S1E_jjS1G_bEUljE0_EEESZ_S10_S11_S18_S1C_S1E_T6_T7_T9_mT8_S1G_bDpT10_ENKUlT_T0_E_clISt17integral_constantIbLb0EES1U_EEDaS1P_S1Q_EUlS1P_E_NS1_11comp_targetILNS1_3genE5ELNS1_11target_archE942ELNS1_3gpuE9ELNS1_3repE0EEENS1_30default_config_static_selectorELNS0_4arch9wavefront6targetE1EEEvS12_,comdat
	.globl	_ZN7rocprim17ROCPRIM_400000_NS6detail17trampoline_kernelINS0_13select_configILj256ELj13ELNS0_17block_load_methodE3ELS4_3ELS4_3ELNS0_20block_scan_algorithmE0ELj4294967295EEENS1_25partition_config_selectorILNS1_17partition_subalgoE4EjNS0_10empty_typeEbEEZZNS1_14partition_implILS8_4ELb0ES6_15HIP_vector_typeIjLj2EENS0_17counting_iteratorIjlEEPS9_SG_NS0_5tupleIJPjSI_NS0_16reverse_iteratorISI_EEEEENSH_IJSG_SG_SG_EEES9_SI_JZNS1_25segmented_radix_sort_implINS0_14default_configELb1EPKfPfPKlPlN2at6native12_GLOBAL__N_18offset_tEEE10hipError_tPvRmT1_PNSt15iterator_traitsIS12_E10value_typeET2_T3_PNS13_IS18_E10value_typeET4_jRbjT5_S1E_jjP12ihipStream_tbEUljE_ZNSN_ISO_Lb1ESQ_SR_ST_SU_SY_EESZ_S10_S11_S12_S16_S17_S18_S1B_S1C_jS1D_jS1E_S1E_jjS1G_bEUljE0_EEESZ_S10_S11_S18_S1C_S1E_T6_T7_T9_mT8_S1G_bDpT10_ENKUlT_T0_E_clISt17integral_constantIbLb0EES1U_EEDaS1P_S1Q_EUlS1P_E_NS1_11comp_targetILNS1_3genE5ELNS1_11target_archE942ELNS1_3gpuE9ELNS1_3repE0EEENS1_30default_config_static_selectorELNS0_4arch9wavefront6targetE1EEEvS12_ ; -- Begin function _ZN7rocprim17ROCPRIM_400000_NS6detail17trampoline_kernelINS0_13select_configILj256ELj13ELNS0_17block_load_methodE3ELS4_3ELS4_3ELNS0_20block_scan_algorithmE0ELj4294967295EEENS1_25partition_config_selectorILNS1_17partition_subalgoE4EjNS0_10empty_typeEbEEZZNS1_14partition_implILS8_4ELb0ES6_15HIP_vector_typeIjLj2EENS0_17counting_iteratorIjlEEPS9_SG_NS0_5tupleIJPjSI_NS0_16reverse_iteratorISI_EEEEENSH_IJSG_SG_SG_EEES9_SI_JZNS1_25segmented_radix_sort_implINS0_14default_configELb1EPKfPfPKlPlN2at6native12_GLOBAL__N_18offset_tEEE10hipError_tPvRmT1_PNSt15iterator_traitsIS12_E10value_typeET2_T3_PNS13_IS18_E10value_typeET4_jRbjT5_S1E_jjP12ihipStream_tbEUljE_ZNSN_ISO_Lb1ESQ_SR_ST_SU_SY_EESZ_S10_S11_S12_S16_S17_S18_S1B_S1C_jS1D_jS1E_S1E_jjS1G_bEUljE0_EEESZ_S10_S11_S18_S1C_S1E_T6_T7_T9_mT8_S1G_bDpT10_ENKUlT_T0_E_clISt17integral_constantIbLb0EES1U_EEDaS1P_S1Q_EUlS1P_E_NS1_11comp_targetILNS1_3genE5ELNS1_11target_archE942ELNS1_3gpuE9ELNS1_3repE0EEENS1_30default_config_static_selectorELNS0_4arch9wavefront6targetE1EEEvS12_
	.p2align	8
	.type	_ZN7rocprim17ROCPRIM_400000_NS6detail17trampoline_kernelINS0_13select_configILj256ELj13ELNS0_17block_load_methodE3ELS4_3ELS4_3ELNS0_20block_scan_algorithmE0ELj4294967295EEENS1_25partition_config_selectorILNS1_17partition_subalgoE4EjNS0_10empty_typeEbEEZZNS1_14partition_implILS8_4ELb0ES6_15HIP_vector_typeIjLj2EENS0_17counting_iteratorIjlEEPS9_SG_NS0_5tupleIJPjSI_NS0_16reverse_iteratorISI_EEEEENSH_IJSG_SG_SG_EEES9_SI_JZNS1_25segmented_radix_sort_implINS0_14default_configELb1EPKfPfPKlPlN2at6native12_GLOBAL__N_18offset_tEEE10hipError_tPvRmT1_PNSt15iterator_traitsIS12_E10value_typeET2_T3_PNS13_IS18_E10value_typeET4_jRbjT5_S1E_jjP12ihipStream_tbEUljE_ZNSN_ISO_Lb1ESQ_SR_ST_SU_SY_EESZ_S10_S11_S12_S16_S17_S18_S1B_S1C_jS1D_jS1E_S1E_jjS1G_bEUljE0_EEESZ_S10_S11_S18_S1C_S1E_T6_T7_T9_mT8_S1G_bDpT10_ENKUlT_T0_E_clISt17integral_constantIbLb0EES1U_EEDaS1P_S1Q_EUlS1P_E_NS1_11comp_targetILNS1_3genE5ELNS1_11target_archE942ELNS1_3gpuE9ELNS1_3repE0EEENS1_30default_config_static_selectorELNS0_4arch9wavefront6targetE1EEEvS12_,@function
_ZN7rocprim17ROCPRIM_400000_NS6detail17trampoline_kernelINS0_13select_configILj256ELj13ELNS0_17block_load_methodE3ELS4_3ELS4_3ELNS0_20block_scan_algorithmE0ELj4294967295EEENS1_25partition_config_selectorILNS1_17partition_subalgoE4EjNS0_10empty_typeEbEEZZNS1_14partition_implILS8_4ELb0ES6_15HIP_vector_typeIjLj2EENS0_17counting_iteratorIjlEEPS9_SG_NS0_5tupleIJPjSI_NS0_16reverse_iteratorISI_EEEEENSH_IJSG_SG_SG_EEES9_SI_JZNS1_25segmented_radix_sort_implINS0_14default_configELb1EPKfPfPKlPlN2at6native12_GLOBAL__N_18offset_tEEE10hipError_tPvRmT1_PNSt15iterator_traitsIS12_E10value_typeET2_T3_PNS13_IS18_E10value_typeET4_jRbjT5_S1E_jjP12ihipStream_tbEUljE_ZNSN_ISO_Lb1ESQ_SR_ST_SU_SY_EESZ_S10_S11_S12_S16_S17_S18_S1B_S1C_jS1D_jS1E_S1E_jjS1G_bEUljE0_EEESZ_S10_S11_S18_S1C_S1E_T6_T7_T9_mT8_S1G_bDpT10_ENKUlT_T0_E_clISt17integral_constantIbLb0EES1U_EEDaS1P_S1Q_EUlS1P_E_NS1_11comp_targetILNS1_3genE5ELNS1_11target_archE942ELNS1_3gpuE9ELNS1_3repE0EEENS1_30default_config_static_selectorELNS0_4arch9wavefront6targetE1EEEvS12_: ; @_ZN7rocprim17ROCPRIM_400000_NS6detail17trampoline_kernelINS0_13select_configILj256ELj13ELNS0_17block_load_methodE3ELS4_3ELS4_3ELNS0_20block_scan_algorithmE0ELj4294967295EEENS1_25partition_config_selectorILNS1_17partition_subalgoE4EjNS0_10empty_typeEbEEZZNS1_14partition_implILS8_4ELb0ES6_15HIP_vector_typeIjLj2EENS0_17counting_iteratorIjlEEPS9_SG_NS0_5tupleIJPjSI_NS0_16reverse_iteratorISI_EEEEENSH_IJSG_SG_SG_EEES9_SI_JZNS1_25segmented_radix_sort_implINS0_14default_configELb1EPKfPfPKlPlN2at6native12_GLOBAL__N_18offset_tEEE10hipError_tPvRmT1_PNSt15iterator_traitsIS12_E10value_typeET2_T3_PNS13_IS18_E10value_typeET4_jRbjT5_S1E_jjP12ihipStream_tbEUljE_ZNSN_ISO_Lb1ESQ_SR_ST_SU_SY_EESZ_S10_S11_S12_S16_S17_S18_S1B_S1C_jS1D_jS1E_S1E_jjS1G_bEUljE0_EEESZ_S10_S11_S18_S1C_S1E_T6_T7_T9_mT8_S1G_bDpT10_ENKUlT_T0_E_clISt17integral_constantIbLb0EES1U_EEDaS1P_S1Q_EUlS1P_E_NS1_11comp_targetILNS1_3genE5ELNS1_11target_archE942ELNS1_3gpuE9ELNS1_3repE0EEENS1_30default_config_static_selectorELNS0_4arch9wavefront6targetE1EEEvS12_
; %bb.0:
	.section	.rodata,"a",@progbits
	.p2align	6, 0x0
	.amdhsa_kernel _ZN7rocprim17ROCPRIM_400000_NS6detail17trampoline_kernelINS0_13select_configILj256ELj13ELNS0_17block_load_methodE3ELS4_3ELS4_3ELNS0_20block_scan_algorithmE0ELj4294967295EEENS1_25partition_config_selectorILNS1_17partition_subalgoE4EjNS0_10empty_typeEbEEZZNS1_14partition_implILS8_4ELb0ES6_15HIP_vector_typeIjLj2EENS0_17counting_iteratorIjlEEPS9_SG_NS0_5tupleIJPjSI_NS0_16reverse_iteratorISI_EEEEENSH_IJSG_SG_SG_EEES9_SI_JZNS1_25segmented_radix_sort_implINS0_14default_configELb1EPKfPfPKlPlN2at6native12_GLOBAL__N_18offset_tEEE10hipError_tPvRmT1_PNSt15iterator_traitsIS12_E10value_typeET2_T3_PNS13_IS18_E10value_typeET4_jRbjT5_S1E_jjP12ihipStream_tbEUljE_ZNSN_ISO_Lb1ESQ_SR_ST_SU_SY_EESZ_S10_S11_S12_S16_S17_S18_S1B_S1C_jS1D_jS1E_S1E_jjS1G_bEUljE0_EEESZ_S10_S11_S18_S1C_S1E_T6_T7_T9_mT8_S1G_bDpT10_ENKUlT_T0_E_clISt17integral_constantIbLb0EES1U_EEDaS1P_S1Q_EUlS1P_E_NS1_11comp_targetILNS1_3genE5ELNS1_11target_archE942ELNS1_3gpuE9ELNS1_3repE0EEENS1_30default_config_static_selectorELNS0_4arch9wavefront6targetE1EEEvS12_
		.amdhsa_group_segment_fixed_size 0
		.amdhsa_private_segment_fixed_size 0
		.amdhsa_kernarg_size 176
		.amdhsa_user_sgpr_count 6
		.amdhsa_user_sgpr_private_segment_buffer 1
		.amdhsa_user_sgpr_dispatch_ptr 0
		.amdhsa_user_sgpr_queue_ptr 0
		.amdhsa_user_sgpr_kernarg_segment_ptr 1
		.amdhsa_user_sgpr_dispatch_id 0
		.amdhsa_user_sgpr_flat_scratch_init 0
		.amdhsa_user_sgpr_private_segment_size 0
		.amdhsa_uses_dynamic_stack 0
		.amdhsa_system_sgpr_private_segment_wavefront_offset 0
		.amdhsa_system_sgpr_workgroup_id_x 1
		.amdhsa_system_sgpr_workgroup_id_y 0
		.amdhsa_system_sgpr_workgroup_id_z 0
		.amdhsa_system_sgpr_workgroup_info 0
		.amdhsa_system_vgpr_workitem_id 0
		.amdhsa_next_free_vgpr 1
		.amdhsa_next_free_sgpr 0
		.amdhsa_reserve_vcc 0
		.amdhsa_reserve_flat_scratch 0
		.amdhsa_float_round_mode_32 0
		.amdhsa_float_round_mode_16_64 0
		.amdhsa_float_denorm_mode_32 3
		.amdhsa_float_denorm_mode_16_64 3
		.amdhsa_dx10_clamp 1
		.amdhsa_ieee_mode 1
		.amdhsa_fp16_overflow 0
		.amdhsa_exception_fp_ieee_invalid_op 0
		.amdhsa_exception_fp_denorm_src 0
		.amdhsa_exception_fp_ieee_div_zero 0
		.amdhsa_exception_fp_ieee_overflow 0
		.amdhsa_exception_fp_ieee_underflow 0
		.amdhsa_exception_fp_ieee_inexact 0
		.amdhsa_exception_int_div_zero 0
	.end_amdhsa_kernel
	.section	.text._ZN7rocprim17ROCPRIM_400000_NS6detail17trampoline_kernelINS0_13select_configILj256ELj13ELNS0_17block_load_methodE3ELS4_3ELS4_3ELNS0_20block_scan_algorithmE0ELj4294967295EEENS1_25partition_config_selectorILNS1_17partition_subalgoE4EjNS0_10empty_typeEbEEZZNS1_14partition_implILS8_4ELb0ES6_15HIP_vector_typeIjLj2EENS0_17counting_iteratorIjlEEPS9_SG_NS0_5tupleIJPjSI_NS0_16reverse_iteratorISI_EEEEENSH_IJSG_SG_SG_EEES9_SI_JZNS1_25segmented_radix_sort_implINS0_14default_configELb1EPKfPfPKlPlN2at6native12_GLOBAL__N_18offset_tEEE10hipError_tPvRmT1_PNSt15iterator_traitsIS12_E10value_typeET2_T3_PNS13_IS18_E10value_typeET4_jRbjT5_S1E_jjP12ihipStream_tbEUljE_ZNSN_ISO_Lb1ESQ_SR_ST_SU_SY_EESZ_S10_S11_S12_S16_S17_S18_S1B_S1C_jS1D_jS1E_S1E_jjS1G_bEUljE0_EEESZ_S10_S11_S18_S1C_S1E_T6_T7_T9_mT8_S1G_bDpT10_ENKUlT_T0_E_clISt17integral_constantIbLb0EES1U_EEDaS1P_S1Q_EUlS1P_E_NS1_11comp_targetILNS1_3genE5ELNS1_11target_archE942ELNS1_3gpuE9ELNS1_3repE0EEENS1_30default_config_static_selectorELNS0_4arch9wavefront6targetE1EEEvS12_,"axG",@progbits,_ZN7rocprim17ROCPRIM_400000_NS6detail17trampoline_kernelINS0_13select_configILj256ELj13ELNS0_17block_load_methodE3ELS4_3ELS4_3ELNS0_20block_scan_algorithmE0ELj4294967295EEENS1_25partition_config_selectorILNS1_17partition_subalgoE4EjNS0_10empty_typeEbEEZZNS1_14partition_implILS8_4ELb0ES6_15HIP_vector_typeIjLj2EENS0_17counting_iteratorIjlEEPS9_SG_NS0_5tupleIJPjSI_NS0_16reverse_iteratorISI_EEEEENSH_IJSG_SG_SG_EEES9_SI_JZNS1_25segmented_radix_sort_implINS0_14default_configELb1EPKfPfPKlPlN2at6native12_GLOBAL__N_18offset_tEEE10hipError_tPvRmT1_PNSt15iterator_traitsIS12_E10value_typeET2_T3_PNS13_IS18_E10value_typeET4_jRbjT5_S1E_jjP12ihipStream_tbEUljE_ZNSN_ISO_Lb1ESQ_SR_ST_SU_SY_EESZ_S10_S11_S12_S16_S17_S18_S1B_S1C_jS1D_jS1E_S1E_jjS1G_bEUljE0_EEESZ_S10_S11_S18_S1C_S1E_T6_T7_T9_mT8_S1G_bDpT10_ENKUlT_T0_E_clISt17integral_constantIbLb0EES1U_EEDaS1P_S1Q_EUlS1P_E_NS1_11comp_targetILNS1_3genE5ELNS1_11target_archE942ELNS1_3gpuE9ELNS1_3repE0EEENS1_30default_config_static_selectorELNS0_4arch9wavefront6targetE1EEEvS12_,comdat
.Lfunc_end1262:
	.size	_ZN7rocprim17ROCPRIM_400000_NS6detail17trampoline_kernelINS0_13select_configILj256ELj13ELNS0_17block_load_methodE3ELS4_3ELS4_3ELNS0_20block_scan_algorithmE0ELj4294967295EEENS1_25partition_config_selectorILNS1_17partition_subalgoE4EjNS0_10empty_typeEbEEZZNS1_14partition_implILS8_4ELb0ES6_15HIP_vector_typeIjLj2EENS0_17counting_iteratorIjlEEPS9_SG_NS0_5tupleIJPjSI_NS0_16reverse_iteratorISI_EEEEENSH_IJSG_SG_SG_EEES9_SI_JZNS1_25segmented_radix_sort_implINS0_14default_configELb1EPKfPfPKlPlN2at6native12_GLOBAL__N_18offset_tEEE10hipError_tPvRmT1_PNSt15iterator_traitsIS12_E10value_typeET2_T3_PNS13_IS18_E10value_typeET4_jRbjT5_S1E_jjP12ihipStream_tbEUljE_ZNSN_ISO_Lb1ESQ_SR_ST_SU_SY_EESZ_S10_S11_S12_S16_S17_S18_S1B_S1C_jS1D_jS1E_S1E_jjS1G_bEUljE0_EEESZ_S10_S11_S18_S1C_S1E_T6_T7_T9_mT8_S1G_bDpT10_ENKUlT_T0_E_clISt17integral_constantIbLb0EES1U_EEDaS1P_S1Q_EUlS1P_E_NS1_11comp_targetILNS1_3genE5ELNS1_11target_archE942ELNS1_3gpuE9ELNS1_3repE0EEENS1_30default_config_static_selectorELNS0_4arch9wavefront6targetE1EEEvS12_, .Lfunc_end1262-_ZN7rocprim17ROCPRIM_400000_NS6detail17trampoline_kernelINS0_13select_configILj256ELj13ELNS0_17block_load_methodE3ELS4_3ELS4_3ELNS0_20block_scan_algorithmE0ELj4294967295EEENS1_25partition_config_selectorILNS1_17partition_subalgoE4EjNS0_10empty_typeEbEEZZNS1_14partition_implILS8_4ELb0ES6_15HIP_vector_typeIjLj2EENS0_17counting_iteratorIjlEEPS9_SG_NS0_5tupleIJPjSI_NS0_16reverse_iteratorISI_EEEEENSH_IJSG_SG_SG_EEES9_SI_JZNS1_25segmented_radix_sort_implINS0_14default_configELb1EPKfPfPKlPlN2at6native12_GLOBAL__N_18offset_tEEE10hipError_tPvRmT1_PNSt15iterator_traitsIS12_E10value_typeET2_T3_PNS13_IS18_E10value_typeET4_jRbjT5_S1E_jjP12ihipStream_tbEUljE_ZNSN_ISO_Lb1ESQ_SR_ST_SU_SY_EESZ_S10_S11_S12_S16_S17_S18_S1B_S1C_jS1D_jS1E_S1E_jjS1G_bEUljE0_EEESZ_S10_S11_S18_S1C_S1E_T6_T7_T9_mT8_S1G_bDpT10_ENKUlT_T0_E_clISt17integral_constantIbLb0EES1U_EEDaS1P_S1Q_EUlS1P_E_NS1_11comp_targetILNS1_3genE5ELNS1_11target_archE942ELNS1_3gpuE9ELNS1_3repE0EEENS1_30default_config_static_selectorELNS0_4arch9wavefront6targetE1EEEvS12_
                                        ; -- End function
	.set _ZN7rocprim17ROCPRIM_400000_NS6detail17trampoline_kernelINS0_13select_configILj256ELj13ELNS0_17block_load_methodE3ELS4_3ELS4_3ELNS0_20block_scan_algorithmE0ELj4294967295EEENS1_25partition_config_selectorILNS1_17partition_subalgoE4EjNS0_10empty_typeEbEEZZNS1_14partition_implILS8_4ELb0ES6_15HIP_vector_typeIjLj2EENS0_17counting_iteratorIjlEEPS9_SG_NS0_5tupleIJPjSI_NS0_16reverse_iteratorISI_EEEEENSH_IJSG_SG_SG_EEES9_SI_JZNS1_25segmented_radix_sort_implINS0_14default_configELb1EPKfPfPKlPlN2at6native12_GLOBAL__N_18offset_tEEE10hipError_tPvRmT1_PNSt15iterator_traitsIS12_E10value_typeET2_T3_PNS13_IS18_E10value_typeET4_jRbjT5_S1E_jjP12ihipStream_tbEUljE_ZNSN_ISO_Lb1ESQ_SR_ST_SU_SY_EESZ_S10_S11_S12_S16_S17_S18_S1B_S1C_jS1D_jS1E_S1E_jjS1G_bEUljE0_EEESZ_S10_S11_S18_S1C_S1E_T6_T7_T9_mT8_S1G_bDpT10_ENKUlT_T0_E_clISt17integral_constantIbLb0EES1U_EEDaS1P_S1Q_EUlS1P_E_NS1_11comp_targetILNS1_3genE5ELNS1_11target_archE942ELNS1_3gpuE9ELNS1_3repE0EEENS1_30default_config_static_selectorELNS0_4arch9wavefront6targetE1EEEvS12_.num_vgpr, 0
	.set _ZN7rocprim17ROCPRIM_400000_NS6detail17trampoline_kernelINS0_13select_configILj256ELj13ELNS0_17block_load_methodE3ELS4_3ELS4_3ELNS0_20block_scan_algorithmE0ELj4294967295EEENS1_25partition_config_selectorILNS1_17partition_subalgoE4EjNS0_10empty_typeEbEEZZNS1_14partition_implILS8_4ELb0ES6_15HIP_vector_typeIjLj2EENS0_17counting_iteratorIjlEEPS9_SG_NS0_5tupleIJPjSI_NS0_16reverse_iteratorISI_EEEEENSH_IJSG_SG_SG_EEES9_SI_JZNS1_25segmented_radix_sort_implINS0_14default_configELb1EPKfPfPKlPlN2at6native12_GLOBAL__N_18offset_tEEE10hipError_tPvRmT1_PNSt15iterator_traitsIS12_E10value_typeET2_T3_PNS13_IS18_E10value_typeET4_jRbjT5_S1E_jjP12ihipStream_tbEUljE_ZNSN_ISO_Lb1ESQ_SR_ST_SU_SY_EESZ_S10_S11_S12_S16_S17_S18_S1B_S1C_jS1D_jS1E_S1E_jjS1G_bEUljE0_EEESZ_S10_S11_S18_S1C_S1E_T6_T7_T9_mT8_S1G_bDpT10_ENKUlT_T0_E_clISt17integral_constantIbLb0EES1U_EEDaS1P_S1Q_EUlS1P_E_NS1_11comp_targetILNS1_3genE5ELNS1_11target_archE942ELNS1_3gpuE9ELNS1_3repE0EEENS1_30default_config_static_selectorELNS0_4arch9wavefront6targetE1EEEvS12_.num_agpr, 0
	.set _ZN7rocprim17ROCPRIM_400000_NS6detail17trampoline_kernelINS0_13select_configILj256ELj13ELNS0_17block_load_methodE3ELS4_3ELS4_3ELNS0_20block_scan_algorithmE0ELj4294967295EEENS1_25partition_config_selectorILNS1_17partition_subalgoE4EjNS0_10empty_typeEbEEZZNS1_14partition_implILS8_4ELb0ES6_15HIP_vector_typeIjLj2EENS0_17counting_iteratorIjlEEPS9_SG_NS0_5tupleIJPjSI_NS0_16reverse_iteratorISI_EEEEENSH_IJSG_SG_SG_EEES9_SI_JZNS1_25segmented_radix_sort_implINS0_14default_configELb1EPKfPfPKlPlN2at6native12_GLOBAL__N_18offset_tEEE10hipError_tPvRmT1_PNSt15iterator_traitsIS12_E10value_typeET2_T3_PNS13_IS18_E10value_typeET4_jRbjT5_S1E_jjP12ihipStream_tbEUljE_ZNSN_ISO_Lb1ESQ_SR_ST_SU_SY_EESZ_S10_S11_S12_S16_S17_S18_S1B_S1C_jS1D_jS1E_S1E_jjS1G_bEUljE0_EEESZ_S10_S11_S18_S1C_S1E_T6_T7_T9_mT8_S1G_bDpT10_ENKUlT_T0_E_clISt17integral_constantIbLb0EES1U_EEDaS1P_S1Q_EUlS1P_E_NS1_11comp_targetILNS1_3genE5ELNS1_11target_archE942ELNS1_3gpuE9ELNS1_3repE0EEENS1_30default_config_static_selectorELNS0_4arch9wavefront6targetE1EEEvS12_.numbered_sgpr, 0
	.set _ZN7rocprim17ROCPRIM_400000_NS6detail17trampoline_kernelINS0_13select_configILj256ELj13ELNS0_17block_load_methodE3ELS4_3ELS4_3ELNS0_20block_scan_algorithmE0ELj4294967295EEENS1_25partition_config_selectorILNS1_17partition_subalgoE4EjNS0_10empty_typeEbEEZZNS1_14partition_implILS8_4ELb0ES6_15HIP_vector_typeIjLj2EENS0_17counting_iteratorIjlEEPS9_SG_NS0_5tupleIJPjSI_NS0_16reverse_iteratorISI_EEEEENSH_IJSG_SG_SG_EEES9_SI_JZNS1_25segmented_radix_sort_implINS0_14default_configELb1EPKfPfPKlPlN2at6native12_GLOBAL__N_18offset_tEEE10hipError_tPvRmT1_PNSt15iterator_traitsIS12_E10value_typeET2_T3_PNS13_IS18_E10value_typeET4_jRbjT5_S1E_jjP12ihipStream_tbEUljE_ZNSN_ISO_Lb1ESQ_SR_ST_SU_SY_EESZ_S10_S11_S12_S16_S17_S18_S1B_S1C_jS1D_jS1E_S1E_jjS1G_bEUljE0_EEESZ_S10_S11_S18_S1C_S1E_T6_T7_T9_mT8_S1G_bDpT10_ENKUlT_T0_E_clISt17integral_constantIbLb0EES1U_EEDaS1P_S1Q_EUlS1P_E_NS1_11comp_targetILNS1_3genE5ELNS1_11target_archE942ELNS1_3gpuE9ELNS1_3repE0EEENS1_30default_config_static_selectorELNS0_4arch9wavefront6targetE1EEEvS12_.num_named_barrier, 0
	.set _ZN7rocprim17ROCPRIM_400000_NS6detail17trampoline_kernelINS0_13select_configILj256ELj13ELNS0_17block_load_methodE3ELS4_3ELS4_3ELNS0_20block_scan_algorithmE0ELj4294967295EEENS1_25partition_config_selectorILNS1_17partition_subalgoE4EjNS0_10empty_typeEbEEZZNS1_14partition_implILS8_4ELb0ES6_15HIP_vector_typeIjLj2EENS0_17counting_iteratorIjlEEPS9_SG_NS0_5tupleIJPjSI_NS0_16reverse_iteratorISI_EEEEENSH_IJSG_SG_SG_EEES9_SI_JZNS1_25segmented_radix_sort_implINS0_14default_configELb1EPKfPfPKlPlN2at6native12_GLOBAL__N_18offset_tEEE10hipError_tPvRmT1_PNSt15iterator_traitsIS12_E10value_typeET2_T3_PNS13_IS18_E10value_typeET4_jRbjT5_S1E_jjP12ihipStream_tbEUljE_ZNSN_ISO_Lb1ESQ_SR_ST_SU_SY_EESZ_S10_S11_S12_S16_S17_S18_S1B_S1C_jS1D_jS1E_S1E_jjS1G_bEUljE0_EEESZ_S10_S11_S18_S1C_S1E_T6_T7_T9_mT8_S1G_bDpT10_ENKUlT_T0_E_clISt17integral_constantIbLb0EES1U_EEDaS1P_S1Q_EUlS1P_E_NS1_11comp_targetILNS1_3genE5ELNS1_11target_archE942ELNS1_3gpuE9ELNS1_3repE0EEENS1_30default_config_static_selectorELNS0_4arch9wavefront6targetE1EEEvS12_.private_seg_size, 0
	.set _ZN7rocprim17ROCPRIM_400000_NS6detail17trampoline_kernelINS0_13select_configILj256ELj13ELNS0_17block_load_methodE3ELS4_3ELS4_3ELNS0_20block_scan_algorithmE0ELj4294967295EEENS1_25partition_config_selectorILNS1_17partition_subalgoE4EjNS0_10empty_typeEbEEZZNS1_14partition_implILS8_4ELb0ES6_15HIP_vector_typeIjLj2EENS0_17counting_iteratorIjlEEPS9_SG_NS0_5tupleIJPjSI_NS0_16reverse_iteratorISI_EEEEENSH_IJSG_SG_SG_EEES9_SI_JZNS1_25segmented_radix_sort_implINS0_14default_configELb1EPKfPfPKlPlN2at6native12_GLOBAL__N_18offset_tEEE10hipError_tPvRmT1_PNSt15iterator_traitsIS12_E10value_typeET2_T3_PNS13_IS18_E10value_typeET4_jRbjT5_S1E_jjP12ihipStream_tbEUljE_ZNSN_ISO_Lb1ESQ_SR_ST_SU_SY_EESZ_S10_S11_S12_S16_S17_S18_S1B_S1C_jS1D_jS1E_S1E_jjS1G_bEUljE0_EEESZ_S10_S11_S18_S1C_S1E_T6_T7_T9_mT8_S1G_bDpT10_ENKUlT_T0_E_clISt17integral_constantIbLb0EES1U_EEDaS1P_S1Q_EUlS1P_E_NS1_11comp_targetILNS1_3genE5ELNS1_11target_archE942ELNS1_3gpuE9ELNS1_3repE0EEENS1_30default_config_static_selectorELNS0_4arch9wavefront6targetE1EEEvS12_.uses_vcc, 0
	.set _ZN7rocprim17ROCPRIM_400000_NS6detail17trampoline_kernelINS0_13select_configILj256ELj13ELNS0_17block_load_methodE3ELS4_3ELS4_3ELNS0_20block_scan_algorithmE0ELj4294967295EEENS1_25partition_config_selectorILNS1_17partition_subalgoE4EjNS0_10empty_typeEbEEZZNS1_14partition_implILS8_4ELb0ES6_15HIP_vector_typeIjLj2EENS0_17counting_iteratorIjlEEPS9_SG_NS0_5tupleIJPjSI_NS0_16reverse_iteratorISI_EEEEENSH_IJSG_SG_SG_EEES9_SI_JZNS1_25segmented_radix_sort_implINS0_14default_configELb1EPKfPfPKlPlN2at6native12_GLOBAL__N_18offset_tEEE10hipError_tPvRmT1_PNSt15iterator_traitsIS12_E10value_typeET2_T3_PNS13_IS18_E10value_typeET4_jRbjT5_S1E_jjP12ihipStream_tbEUljE_ZNSN_ISO_Lb1ESQ_SR_ST_SU_SY_EESZ_S10_S11_S12_S16_S17_S18_S1B_S1C_jS1D_jS1E_S1E_jjS1G_bEUljE0_EEESZ_S10_S11_S18_S1C_S1E_T6_T7_T9_mT8_S1G_bDpT10_ENKUlT_T0_E_clISt17integral_constantIbLb0EES1U_EEDaS1P_S1Q_EUlS1P_E_NS1_11comp_targetILNS1_3genE5ELNS1_11target_archE942ELNS1_3gpuE9ELNS1_3repE0EEENS1_30default_config_static_selectorELNS0_4arch9wavefront6targetE1EEEvS12_.uses_flat_scratch, 0
	.set _ZN7rocprim17ROCPRIM_400000_NS6detail17trampoline_kernelINS0_13select_configILj256ELj13ELNS0_17block_load_methodE3ELS4_3ELS4_3ELNS0_20block_scan_algorithmE0ELj4294967295EEENS1_25partition_config_selectorILNS1_17partition_subalgoE4EjNS0_10empty_typeEbEEZZNS1_14partition_implILS8_4ELb0ES6_15HIP_vector_typeIjLj2EENS0_17counting_iteratorIjlEEPS9_SG_NS0_5tupleIJPjSI_NS0_16reverse_iteratorISI_EEEEENSH_IJSG_SG_SG_EEES9_SI_JZNS1_25segmented_radix_sort_implINS0_14default_configELb1EPKfPfPKlPlN2at6native12_GLOBAL__N_18offset_tEEE10hipError_tPvRmT1_PNSt15iterator_traitsIS12_E10value_typeET2_T3_PNS13_IS18_E10value_typeET4_jRbjT5_S1E_jjP12ihipStream_tbEUljE_ZNSN_ISO_Lb1ESQ_SR_ST_SU_SY_EESZ_S10_S11_S12_S16_S17_S18_S1B_S1C_jS1D_jS1E_S1E_jjS1G_bEUljE0_EEESZ_S10_S11_S18_S1C_S1E_T6_T7_T9_mT8_S1G_bDpT10_ENKUlT_T0_E_clISt17integral_constantIbLb0EES1U_EEDaS1P_S1Q_EUlS1P_E_NS1_11comp_targetILNS1_3genE5ELNS1_11target_archE942ELNS1_3gpuE9ELNS1_3repE0EEENS1_30default_config_static_selectorELNS0_4arch9wavefront6targetE1EEEvS12_.has_dyn_sized_stack, 0
	.set _ZN7rocprim17ROCPRIM_400000_NS6detail17trampoline_kernelINS0_13select_configILj256ELj13ELNS0_17block_load_methodE3ELS4_3ELS4_3ELNS0_20block_scan_algorithmE0ELj4294967295EEENS1_25partition_config_selectorILNS1_17partition_subalgoE4EjNS0_10empty_typeEbEEZZNS1_14partition_implILS8_4ELb0ES6_15HIP_vector_typeIjLj2EENS0_17counting_iteratorIjlEEPS9_SG_NS0_5tupleIJPjSI_NS0_16reverse_iteratorISI_EEEEENSH_IJSG_SG_SG_EEES9_SI_JZNS1_25segmented_radix_sort_implINS0_14default_configELb1EPKfPfPKlPlN2at6native12_GLOBAL__N_18offset_tEEE10hipError_tPvRmT1_PNSt15iterator_traitsIS12_E10value_typeET2_T3_PNS13_IS18_E10value_typeET4_jRbjT5_S1E_jjP12ihipStream_tbEUljE_ZNSN_ISO_Lb1ESQ_SR_ST_SU_SY_EESZ_S10_S11_S12_S16_S17_S18_S1B_S1C_jS1D_jS1E_S1E_jjS1G_bEUljE0_EEESZ_S10_S11_S18_S1C_S1E_T6_T7_T9_mT8_S1G_bDpT10_ENKUlT_T0_E_clISt17integral_constantIbLb0EES1U_EEDaS1P_S1Q_EUlS1P_E_NS1_11comp_targetILNS1_3genE5ELNS1_11target_archE942ELNS1_3gpuE9ELNS1_3repE0EEENS1_30default_config_static_selectorELNS0_4arch9wavefront6targetE1EEEvS12_.has_recursion, 0
	.set _ZN7rocprim17ROCPRIM_400000_NS6detail17trampoline_kernelINS0_13select_configILj256ELj13ELNS0_17block_load_methodE3ELS4_3ELS4_3ELNS0_20block_scan_algorithmE0ELj4294967295EEENS1_25partition_config_selectorILNS1_17partition_subalgoE4EjNS0_10empty_typeEbEEZZNS1_14partition_implILS8_4ELb0ES6_15HIP_vector_typeIjLj2EENS0_17counting_iteratorIjlEEPS9_SG_NS0_5tupleIJPjSI_NS0_16reverse_iteratorISI_EEEEENSH_IJSG_SG_SG_EEES9_SI_JZNS1_25segmented_radix_sort_implINS0_14default_configELb1EPKfPfPKlPlN2at6native12_GLOBAL__N_18offset_tEEE10hipError_tPvRmT1_PNSt15iterator_traitsIS12_E10value_typeET2_T3_PNS13_IS18_E10value_typeET4_jRbjT5_S1E_jjP12ihipStream_tbEUljE_ZNSN_ISO_Lb1ESQ_SR_ST_SU_SY_EESZ_S10_S11_S12_S16_S17_S18_S1B_S1C_jS1D_jS1E_S1E_jjS1G_bEUljE0_EEESZ_S10_S11_S18_S1C_S1E_T6_T7_T9_mT8_S1G_bDpT10_ENKUlT_T0_E_clISt17integral_constantIbLb0EES1U_EEDaS1P_S1Q_EUlS1P_E_NS1_11comp_targetILNS1_3genE5ELNS1_11target_archE942ELNS1_3gpuE9ELNS1_3repE0EEENS1_30default_config_static_selectorELNS0_4arch9wavefront6targetE1EEEvS12_.has_indirect_call, 0
	.section	.AMDGPU.csdata,"",@progbits
; Kernel info:
; codeLenInByte = 0
; TotalNumSgprs: 4
; NumVgprs: 0
; ScratchSize: 0
; MemoryBound: 0
; FloatMode: 240
; IeeeMode: 1
; LDSByteSize: 0 bytes/workgroup (compile time only)
; SGPRBlocks: 0
; VGPRBlocks: 0
; NumSGPRsForWavesPerEU: 4
; NumVGPRsForWavesPerEU: 1
; Occupancy: 10
; WaveLimiterHint : 0
; COMPUTE_PGM_RSRC2:SCRATCH_EN: 0
; COMPUTE_PGM_RSRC2:USER_SGPR: 6
; COMPUTE_PGM_RSRC2:TRAP_HANDLER: 0
; COMPUTE_PGM_RSRC2:TGID_X_EN: 1
; COMPUTE_PGM_RSRC2:TGID_Y_EN: 0
; COMPUTE_PGM_RSRC2:TGID_Z_EN: 0
; COMPUTE_PGM_RSRC2:TIDIG_COMP_CNT: 0
	.section	.text._ZN7rocprim17ROCPRIM_400000_NS6detail17trampoline_kernelINS0_13select_configILj256ELj13ELNS0_17block_load_methodE3ELS4_3ELS4_3ELNS0_20block_scan_algorithmE0ELj4294967295EEENS1_25partition_config_selectorILNS1_17partition_subalgoE4EjNS0_10empty_typeEbEEZZNS1_14partition_implILS8_4ELb0ES6_15HIP_vector_typeIjLj2EENS0_17counting_iteratorIjlEEPS9_SG_NS0_5tupleIJPjSI_NS0_16reverse_iteratorISI_EEEEENSH_IJSG_SG_SG_EEES9_SI_JZNS1_25segmented_radix_sort_implINS0_14default_configELb1EPKfPfPKlPlN2at6native12_GLOBAL__N_18offset_tEEE10hipError_tPvRmT1_PNSt15iterator_traitsIS12_E10value_typeET2_T3_PNS13_IS18_E10value_typeET4_jRbjT5_S1E_jjP12ihipStream_tbEUljE_ZNSN_ISO_Lb1ESQ_SR_ST_SU_SY_EESZ_S10_S11_S12_S16_S17_S18_S1B_S1C_jS1D_jS1E_S1E_jjS1G_bEUljE0_EEESZ_S10_S11_S18_S1C_S1E_T6_T7_T9_mT8_S1G_bDpT10_ENKUlT_T0_E_clISt17integral_constantIbLb0EES1U_EEDaS1P_S1Q_EUlS1P_E_NS1_11comp_targetILNS1_3genE4ELNS1_11target_archE910ELNS1_3gpuE8ELNS1_3repE0EEENS1_30default_config_static_selectorELNS0_4arch9wavefront6targetE1EEEvS12_,"axG",@progbits,_ZN7rocprim17ROCPRIM_400000_NS6detail17trampoline_kernelINS0_13select_configILj256ELj13ELNS0_17block_load_methodE3ELS4_3ELS4_3ELNS0_20block_scan_algorithmE0ELj4294967295EEENS1_25partition_config_selectorILNS1_17partition_subalgoE4EjNS0_10empty_typeEbEEZZNS1_14partition_implILS8_4ELb0ES6_15HIP_vector_typeIjLj2EENS0_17counting_iteratorIjlEEPS9_SG_NS0_5tupleIJPjSI_NS0_16reverse_iteratorISI_EEEEENSH_IJSG_SG_SG_EEES9_SI_JZNS1_25segmented_radix_sort_implINS0_14default_configELb1EPKfPfPKlPlN2at6native12_GLOBAL__N_18offset_tEEE10hipError_tPvRmT1_PNSt15iterator_traitsIS12_E10value_typeET2_T3_PNS13_IS18_E10value_typeET4_jRbjT5_S1E_jjP12ihipStream_tbEUljE_ZNSN_ISO_Lb1ESQ_SR_ST_SU_SY_EESZ_S10_S11_S12_S16_S17_S18_S1B_S1C_jS1D_jS1E_S1E_jjS1G_bEUljE0_EEESZ_S10_S11_S18_S1C_S1E_T6_T7_T9_mT8_S1G_bDpT10_ENKUlT_T0_E_clISt17integral_constantIbLb0EES1U_EEDaS1P_S1Q_EUlS1P_E_NS1_11comp_targetILNS1_3genE4ELNS1_11target_archE910ELNS1_3gpuE8ELNS1_3repE0EEENS1_30default_config_static_selectorELNS0_4arch9wavefront6targetE1EEEvS12_,comdat
	.globl	_ZN7rocprim17ROCPRIM_400000_NS6detail17trampoline_kernelINS0_13select_configILj256ELj13ELNS0_17block_load_methodE3ELS4_3ELS4_3ELNS0_20block_scan_algorithmE0ELj4294967295EEENS1_25partition_config_selectorILNS1_17partition_subalgoE4EjNS0_10empty_typeEbEEZZNS1_14partition_implILS8_4ELb0ES6_15HIP_vector_typeIjLj2EENS0_17counting_iteratorIjlEEPS9_SG_NS0_5tupleIJPjSI_NS0_16reverse_iteratorISI_EEEEENSH_IJSG_SG_SG_EEES9_SI_JZNS1_25segmented_radix_sort_implINS0_14default_configELb1EPKfPfPKlPlN2at6native12_GLOBAL__N_18offset_tEEE10hipError_tPvRmT1_PNSt15iterator_traitsIS12_E10value_typeET2_T3_PNS13_IS18_E10value_typeET4_jRbjT5_S1E_jjP12ihipStream_tbEUljE_ZNSN_ISO_Lb1ESQ_SR_ST_SU_SY_EESZ_S10_S11_S12_S16_S17_S18_S1B_S1C_jS1D_jS1E_S1E_jjS1G_bEUljE0_EEESZ_S10_S11_S18_S1C_S1E_T6_T7_T9_mT8_S1G_bDpT10_ENKUlT_T0_E_clISt17integral_constantIbLb0EES1U_EEDaS1P_S1Q_EUlS1P_E_NS1_11comp_targetILNS1_3genE4ELNS1_11target_archE910ELNS1_3gpuE8ELNS1_3repE0EEENS1_30default_config_static_selectorELNS0_4arch9wavefront6targetE1EEEvS12_ ; -- Begin function _ZN7rocprim17ROCPRIM_400000_NS6detail17trampoline_kernelINS0_13select_configILj256ELj13ELNS0_17block_load_methodE3ELS4_3ELS4_3ELNS0_20block_scan_algorithmE0ELj4294967295EEENS1_25partition_config_selectorILNS1_17partition_subalgoE4EjNS0_10empty_typeEbEEZZNS1_14partition_implILS8_4ELb0ES6_15HIP_vector_typeIjLj2EENS0_17counting_iteratorIjlEEPS9_SG_NS0_5tupleIJPjSI_NS0_16reverse_iteratorISI_EEEEENSH_IJSG_SG_SG_EEES9_SI_JZNS1_25segmented_radix_sort_implINS0_14default_configELb1EPKfPfPKlPlN2at6native12_GLOBAL__N_18offset_tEEE10hipError_tPvRmT1_PNSt15iterator_traitsIS12_E10value_typeET2_T3_PNS13_IS18_E10value_typeET4_jRbjT5_S1E_jjP12ihipStream_tbEUljE_ZNSN_ISO_Lb1ESQ_SR_ST_SU_SY_EESZ_S10_S11_S12_S16_S17_S18_S1B_S1C_jS1D_jS1E_S1E_jjS1G_bEUljE0_EEESZ_S10_S11_S18_S1C_S1E_T6_T7_T9_mT8_S1G_bDpT10_ENKUlT_T0_E_clISt17integral_constantIbLb0EES1U_EEDaS1P_S1Q_EUlS1P_E_NS1_11comp_targetILNS1_3genE4ELNS1_11target_archE910ELNS1_3gpuE8ELNS1_3repE0EEENS1_30default_config_static_selectorELNS0_4arch9wavefront6targetE1EEEvS12_
	.p2align	8
	.type	_ZN7rocprim17ROCPRIM_400000_NS6detail17trampoline_kernelINS0_13select_configILj256ELj13ELNS0_17block_load_methodE3ELS4_3ELS4_3ELNS0_20block_scan_algorithmE0ELj4294967295EEENS1_25partition_config_selectorILNS1_17partition_subalgoE4EjNS0_10empty_typeEbEEZZNS1_14partition_implILS8_4ELb0ES6_15HIP_vector_typeIjLj2EENS0_17counting_iteratorIjlEEPS9_SG_NS0_5tupleIJPjSI_NS0_16reverse_iteratorISI_EEEEENSH_IJSG_SG_SG_EEES9_SI_JZNS1_25segmented_radix_sort_implINS0_14default_configELb1EPKfPfPKlPlN2at6native12_GLOBAL__N_18offset_tEEE10hipError_tPvRmT1_PNSt15iterator_traitsIS12_E10value_typeET2_T3_PNS13_IS18_E10value_typeET4_jRbjT5_S1E_jjP12ihipStream_tbEUljE_ZNSN_ISO_Lb1ESQ_SR_ST_SU_SY_EESZ_S10_S11_S12_S16_S17_S18_S1B_S1C_jS1D_jS1E_S1E_jjS1G_bEUljE0_EEESZ_S10_S11_S18_S1C_S1E_T6_T7_T9_mT8_S1G_bDpT10_ENKUlT_T0_E_clISt17integral_constantIbLb0EES1U_EEDaS1P_S1Q_EUlS1P_E_NS1_11comp_targetILNS1_3genE4ELNS1_11target_archE910ELNS1_3gpuE8ELNS1_3repE0EEENS1_30default_config_static_selectorELNS0_4arch9wavefront6targetE1EEEvS12_,@function
_ZN7rocprim17ROCPRIM_400000_NS6detail17trampoline_kernelINS0_13select_configILj256ELj13ELNS0_17block_load_methodE3ELS4_3ELS4_3ELNS0_20block_scan_algorithmE0ELj4294967295EEENS1_25partition_config_selectorILNS1_17partition_subalgoE4EjNS0_10empty_typeEbEEZZNS1_14partition_implILS8_4ELb0ES6_15HIP_vector_typeIjLj2EENS0_17counting_iteratorIjlEEPS9_SG_NS0_5tupleIJPjSI_NS0_16reverse_iteratorISI_EEEEENSH_IJSG_SG_SG_EEES9_SI_JZNS1_25segmented_radix_sort_implINS0_14default_configELb1EPKfPfPKlPlN2at6native12_GLOBAL__N_18offset_tEEE10hipError_tPvRmT1_PNSt15iterator_traitsIS12_E10value_typeET2_T3_PNS13_IS18_E10value_typeET4_jRbjT5_S1E_jjP12ihipStream_tbEUljE_ZNSN_ISO_Lb1ESQ_SR_ST_SU_SY_EESZ_S10_S11_S12_S16_S17_S18_S1B_S1C_jS1D_jS1E_S1E_jjS1G_bEUljE0_EEESZ_S10_S11_S18_S1C_S1E_T6_T7_T9_mT8_S1G_bDpT10_ENKUlT_T0_E_clISt17integral_constantIbLb0EES1U_EEDaS1P_S1Q_EUlS1P_E_NS1_11comp_targetILNS1_3genE4ELNS1_11target_archE910ELNS1_3gpuE8ELNS1_3repE0EEENS1_30default_config_static_selectorELNS0_4arch9wavefront6targetE1EEEvS12_: ; @_ZN7rocprim17ROCPRIM_400000_NS6detail17trampoline_kernelINS0_13select_configILj256ELj13ELNS0_17block_load_methodE3ELS4_3ELS4_3ELNS0_20block_scan_algorithmE0ELj4294967295EEENS1_25partition_config_selectorILNS1_17partition_subalgoE4EjNS0_10empty_typeEbEEZZNS1_14partition_implILS8_4ELb0ES6_15HIP_vector_typeIjLj2EENS0_17counting_iteratorIjlEEPS9_SG_NS0_5tupleIJPjSI_NS0_16reverse_iteratorISI_EEEEENSH_IJSG_SG_SG_EEES9_SI_JZNS1_25segmented_radix_sort_implINS0_14default_configELb1EPKfPfPKlPlN2at6native12_GLOBAL__N_18offset_tEEE10hipError_tPvRmT1_PNSt15iterator_traitsIS12_E10value_typeET2_T3_PNS13_IS18_E10value_typeET4_jRbjT5_S1E_jjP12ihipStream_tbEUljE_ZNSN_ISO_Lb1ESQ_SR_ST_SU_SY_EESZ_S10_S11_S12_S16_S17_S18_S1B_S1C_jS1D_jS1E_S1E_jjS1G_bEUljE0_EEESZ_S10_S11_S18_S1C_S1E_T6_T7_T9_mT8_S1G_bDpT10_ENKUlT_T0_E_clISt17integral_constantIbLb0EES1U_EEDaS1P_S1Q_EUlS1P_E_NS1_11comp_targetILNS1_3genE4ELNS1_11target_archE910ELNS1_3gpuE8ELNS1_3repE0EEENS1_30default_config_static_selectorELNS0_4arch9wavefront6targetE1EEEvS12_
; %bb.0:
	.section	.rodata,"a",@progbits
	.p2align	6, 0x0
	.amdhsa_kernel _ZN7rocprim17ROCPRIM_400000_NS6detail17trampoline_kernelINS0_13select_configILj256ELj13ELNS0_17block_load_methodE3ELS4_3ELS4_3ELNS0_20block_scan_algorithmE0ELj4294967295EEENS1_25partition_config_selectorILNS1_17partition_subalgoE4EjNS0_10empty_typeEbEEZZNS1_14partition_implILS8_4ELb0ES6_15HIP_vector_typeIjLj2EENS0_17counting_iteratorIjlEEPS9_SG_NS0_5tupleIJPjSI_NS0_16reverse_iteratorISI_EEEEENSH_IJSG_SG_SG_EEES9_SI_JZNS1_25segmented_radix_sort_implINS0_14default_configELb1EPKfPfPKlPlN2at6native12_GLOBAL__N_18offset_tEEE10hipError_tPvRmT1_PNSt15iterator_traitsIS12_E10value_typeET2_T3_PNS13_IS18_E10value_typeET4_jRbjT5_S1E_jjP12ihipStream_tbEUljE_ZNSN_ISO_Lb1ESQ_SR_ST_SU_SY_EESZ_S10_S11_S12_S16_S17_S18_S1B_S1C_jS1D_jS1E_S1E_jjS1G_bEUljE0_EEESZ_S10_S11_S18_S1C_S1E_T6_T7_T9_mT8_S1G_bDpT10_ENKUlT_T0_E_clISt17integral_constantIbLb0EES1U_EEDaS1P_S1Q_EUlS1P_E_NS1_11comp_targetILNS1_3genE4ELNS1_11target_archE910ELNS1_3gpuE8ELNS1_3repE0EEENS1_30default_config_static_selectorELNS0_4arch9wavefront6targetE1EEEvS12_
		.amdhsa_group_segment_fixed_size 0
		.amdhsa_private_segment_fixed_size 0
		.amdhsa_kernarg_size 176
		.amdhsa_user_sgpr_count 6
		.amdhsa_user_sgpr_private_segment_buffer 1
		.amdhsa_user_sgpr_dispatch_ptr 0
		.amdhsa_user_sgpr_queue_ptr 0
		.amdhsa_user_sgpr_kernarg_segment_ptr 1
		.amdhsa_user_sgpr_dispatch_id 0
		.amdhsa_user_sgpr_flat_scratch_init 0
		.amdhsa_user_sgpr_private_segment_size 0
		.amdhsa_uses_dynamic_stack 0
		.amdhsa_system_sgpr_private_segment_wavefront_offset 0
		.amdhsa_system_sgpr_workgroup_id_x 1
		.amdhsa_system_sgpr_workgroup_id_y 0
		.amdhsa_system_sgpr_workgroup_id_z 0
		.amdhsa_system_sgpr_workgroup_info 0
		.amdhsa_system_vgpr_workitem_id 0
		.amdhsa_next_free_vgpr 1
		.amdhsa_next_free_sgpr 0
		.amdhsa_reserve_vcc 0
		.amdhsa_reserve_flat_scratch 0
		.amdhsa_float_round_mode_32 0
		.amdhsa_float_round_mode_16_64 0
		.amdhsa_float_denorm_mode_32 3
		.amdhsa_float_denorm_mode_16_64 3
		.amdhsa_dx10_clamp 1
		.amdhsa_ieee_mode 1
		.amdhsa_fp16_overflow 0
		.amdhsa_exception_fp_ieee_invalid_op 0
		.amdhsa_exception_fp_denorm_src 0
		.amdhsa_exception_fp_ieee_div_zero 0
		.amdhsa_exception_fp_ieee_overflow 0
		.amdhsa_exception_fp_ieee_underflow 0
		.amdhsa_exception_fp_ieee_inexact 0
		.amdhsa_exception_int_div_zero 0
	.end_amdhsa_kernel
	.section	.text._ZN7rocprim17ROCPRIM_400000_NS6detail17trampoline_kernelINS0_13select_configILj256ELj13ELNS0_17block_load_methodE3ELS4_3ELS4_3ELNS0_20block_scan_algorithmE0ELj4294967295EEENS1_25partition_config_selectorILNS1_17partition_subalgoE4EjNS0_10empty_typeEbEEZZNS1_14partition_implILS8_4ELb0ES6_15HIP_vector_typeIjLj2EENS0_17counting_iteratorIjlEEPS9_SG_NS0_5tupleIJPjSI_NS0_16reverse_iteratorISI_EEEEENSH_IJSG_SG_SG_EEES9_SI_JZNS1_25segmented_radix_sort_implINS0_14default_configELb1EPKfPfPKlPlN2at6native12_GLOBAL__N_18offset_tEEE10hipError_tPvRmT1_PNSt15iterator_traitsIS12_E10value_typeET2_T3_PNS13_IS18_E10value_typeET4_jRbjT5_S1E_jjP12ihipStream_tbEUljE_ZNSN_ISO_Lb1ESQ_SR_ST_SU_SY_EESZ_S10_S11_S12_S16_S17_S18_S1B_S1C_jS1D_jS1E_S1E_jjS1G_bEUljE0_EEESZ_S10_S11_S18_S1C_S1E_T6_T7_T9_mT8_S1G_bDpT10_ENKUlT_T0_E_clISt17integral_constantIbLb0EES1U_EEDaS1P_S1Q_EUlS1P_E_NS1_11comp_targetILNS1_3genE4ELNS1_11target_archE910ELNS1_3gpuE8ELNS1_3repE0EEENS1_30default_config_static_selectorELNS0_4arch9wavefront6targetE1EEEvS12_,"axG",@progbits,_ZN7rocprim17ROCPRIM_400000_NS6detail17trampoline_kernelINS0_13select_configILj256ELj13ELNS0_17block_load_methodE3ELS4_3ELS4_3ELNS0_20block_scan_algorithmE0ELj4294967295EEENS1_25partition_config_selectorILNS1_17partition_subalgoE4EjNS0_10empty_typeEbEEZZNS1_14partition_implILS8_4ELb0ES6_15HIP_vector_typeIjLj2EENS0_17counting_iteratorIjlEEPS9_SG_NS0_5tupleIJPjSI_NS0_16reverse_iteratorISI_EEEEENSH_IJSG_SG_SG_EEES9_SI_JZNS1_25segmented_radix_sort_implINS0_14default_configELb1EPKfPfPKlPlN2at6native12_GLOBAL__N_18offset_tEEE10hipError_tPvRmT1_PNSt15iterator_traitsIS12_E10value_typeET2_T3_PNS13_IS18_E10value_typeET4_jRbjT5_S1E_jjP12ihipStream_tbEUljE_ZNSN_ISO_Lb1ESQ_SR_ST_SU_SY_EESZ_S10_S11_S12_S16_S17_S18_S1B_S1C_jS1D_jS1E_S1E_jjS1G_bEUljE0_EEESZ_S10_S11_S18_S1C_S1E_T6_T7_T9_mT8_S1G_bDpT10_ENKUlT_T0_E_clISt17integral_constantIbLb0EES1U_EEDaS1P_S1Q_EUlS1P_E_NS1_11comp_targetILNS1_3genE4ELNS1_11target_archE910ELNS1_3gpuE8ELNS1_3repE0EEENS1_30default_config_static_selectorELNS0_4arch9wavefront6targetE1EEEvS12_,comdat
.Lfunc_end1263:
	.size	_ZN7rocprim17ROCPRIM_400000_NS6detail17trampoline_kernelINS0_13select_configILj256ELj13ELNS0_17block_load_methodE3ELS4_3ELS4_3ELNS0_20block_scan_algorithmE0ELj4294967295EEENS1_25partition_config_selectorILNS1_17partition_subalgoE4EjNS0_10empty_typeEbEEZZNS1_14partition_implILS8_4ELb0ES6_15HIP_vector_typeIjLj2EENS0_17counting_iteratorIjlEEPS9_SG_NS0_5tupleIJPjSI_NS0_16reverse_iteratorISI_EEEEENSH_IJSG_SG_SG_EEES9_SI_JZNS1_25segmented_radix_sort_implINS0_14default_configELb1EPKfPfPKlPlN2at6native12_GLOBAL__N_18offset_tEEE10hipError_tPvRmT1_PNSt15iterator_traitsIS12_E10value_typeET2_T3_PNS13_IS18_E10value_typeET4_jRbjT5_S1E_jjP12ihipStream_tbEUljE_ZNSN_ISO_Lb1ESQ_SR_ST_SU_SY_EESZ_S10_S11_S12_S16_S17_S18_S1B_S1C_jS1D_jS1E_S1E_jjS1G_bEUljE0_EEESZ_S10_S11_S18_S1C_S1E_T6_T7_T9_mT8_S1G_bDpT10_ENKUlT_T0_E_clISt17integral_constantIbLb0EES1U_EEDaS1P_S1Q_EUlS1P_E_NS1_11comp_targetILNS1_3genE4ELNS1_11target_archE910ELNS1_3gpuE8ELNS1_3repE0EEENS1_30default_config_static_selectorELNS0_4arch9wavefront6targetE1EEEvS12_, .Lfunc_end1263-_ZN7rocprim17ROCPRIM_400000_NS6detail17trampoline_kernelINS0_13select_configILj256ELj13ELNS0_17block_load_methodE3ELS4_3ELS4_3ELNS0_20block_scan_algorithmE0ELj4294967295EEENS1_25partition_config_selectorILNS1_17partition_subalgoE4EjNS0_10empty_typeEbEEZZNS1_14partition_implILS8_4ELb0ES6_15HIP_vector_typeIjLj2EENS0_17counting_iteratorIjlEEPS9_SG_NS0_5tupleIJPjSI_NS0_16reverse_iteratorISI_EEEEENSH_IJSG_SG_SG_EEES9_SI_JZNS1_25segmented_radix_sort_implINS0_14default_configELb1EPKfPfPKlPlN2at6native12_GLOBAL__N_18offset_tEEE10hipError_tPvRmT1_PNSt15iterator_traitsIS12_E10value_typeET2_T3_PNS13_IS18_E10value_typeET4_jRbjT5_S1E_jjP12ihipStream_tbEUljE_ZNSN_ISO_Lb1ESQ_SR_ST_SU_SY_EESZ_S10_S11_S12_S16_S17_S18_S1B_S1C_jS1D_jS1E_S1E_jjS1G_bEUljE0_EEESZ_S10_S11_S18_S1C_S1E_T6_T7_T9_mT8_S1G_bDpT10_ENKUlT_T0_E_clISt17integral_constantIbLb0EES1U_EEDaS1P_S1Q_EUlS1P_E_NS1_11comp_targetILNS1_3genE4ELNS1_11target_archE910ELNS1_3gpuE8ELNS1_3repE0EEENS1_30default_config_static_selectorELNS0_4arch9wavefront6targetE1EEEvS12_
                                        ; -- End function
	.set _ZN7rocprim17ROCPRIM_400000_NS6detail17trampoline_kernelINS0_13select_configILj256ELj13ELNS0_17block_load_methodE3ELS4_3ELS4_3ELNS0_20block_scan_algorithmE0ELj4294967295EEENS1_25partition_config_selectorILNS1_17partition_subalgoE4EjNS0_10empty_typeEbEEZZNS1_14partition_implILS8_4ELb0ES6_15HIP_vector_typeIjLj2EENS0_17counting_iteratorIjlEEPS9_SG_NS0_5tupleIJPjSI_NS0_16reverse_iteratorISI_EEEEENSH_IJSG_SG_SG_EEES9_SI_JZNS1_25segmented_radix_sort_implINS0_14default_configELb1EPKfPfPKlPlN2at6native12_GLOBAL__N_18offset_tEEE10hipError_tPvRmT1_PNSt15iterator_traitsIS12_E10value_typeET2_T3_PNS13_IS18_E10value_typeET4_jRbjT5_S1E_jjP12ihipStream_tbEUljE_ZNSN_ISO_Lb1ESQ_SR_ST_SU_SY_EESZ_S10_S11_S12_S16_S17_S18_S1B_S1C_jS1D_jS1E_S1E_jjS1G_bEUljE0_EEESZ_S10_S11_S18_S1C_S1E_T6_T7_T9_mT8_S1G_bDpT10_ENKUlT_T0_E_clISt17integral_constantIbLb0EES1U_EEDaS1P_S1Q_EUlS1P_E_NS1_11comp_targetILNS1_3genE4ELNS1_11target_archE910ELNS1_3gpuE8ELNS1_3repE0EEENS1_30default_config_static_selectorELNS0_4arch9wavefront6targetE1EEEvS12_.num_vgpr, 0
	.set _ZN7rocprim17ROCPRIM_400000_NS6detail17trampoline_kernelINS0_13select_configILj256ELj13ELNS0_17block_load_methodE3ELS4_3ELS4_3ELNS0_20block_scan_algorithmE0ELj4294967295EEENS1_25partition_config_selectorILNS1_17partition_subalgoE4EjNS0_10empty_typeEbEEZZNS1_14partition_implILS8_4ELb0ES6_15HIP_vector_typeIjLj2EENS0_17counting_iteratorIjlEEPS9_SG_NS0_5tupleIJPjSI_NS0_16reverse_iteratorISI_EEEEENSH_IJSG_SG_SG_EEES9_SI_JZNS1_25segmented_radix_sort_implINS0_14default_configELb1EPKfPfPKlPlN2at6native12_GLOBAL__N_18offset_tEEE10hipError_tPvRmT1_PNSt15iterator_traitsIS12_E10value_typeET2_T3_PNS13_IS18_E10value_typeET4_jRbjT5_S1E_jjP12ihipStream_tbEUljE_ZNSN_ISO_Lb1ESQ_SR_ST_SU_SY_EESZ_S10_S11_S12_S16_S17_S18_S1B_S1C_jS1D_jS1E_S1E_jjS1G_bEUljE0_EEESZ_S10_S11_S18_S1C_S1E_T6_T7_T9_mT8_S1G_bDpT10_ENKUlT_T0_E_clISt17integral_constantIbLb0EES1U_EEDaS1P_S1Q_EUlS1P_E_NS1_11comp_targetILNS1_3genE4ELNS1_11target_archE910ELNS1_3gpuE8ELNS1_3repE0EEENS1_30default_config_static_selectorELNS0_4arch9wavefront6targetE1EEEvS12_.num_agpr, 0
	.set _ZN7rocprim17ROCPRIM_400000_NS6detail17trampoline_kernelINS0_13select_configILj256ELj13ELNS0_17block_load_methodE3ELS4_3ELS4_3ELNS0_20block_scan_algorithmE0ELj4294967295EEENS1_25partition_config_selectorILNS1_17partition_subalgoE4EjNS0_10empty_typeEbEEZZNS1_14partition_implILS8_4ELb0ES6_15HIP_vector_typeIjLj2EENS0_17counting_iteratorIjlEEPS9_SG_NS0_5tupleIJPjSI_NS0_16reverse_iteratorISI_EEEEENSH_IJSG_SG_SG_EEES9_SI_JZNS1_25segmented_radix_sort_implINS0_14default_configELb1EPKfPfPKlPlN2at6native12_GLOBAL__N_18offset_tEEE10hipError_tPvRmT1_PNSt15iterator_traitsIS12_E10value_typeET2_T3_PNS13_IS18_E10value_typeET4_jRbjT5_S1E_jjP12ihipStream_tbEUljE_ZNSN_ISO_Lb1ESQ_SR_ST_SU_SY_EESZ_S10_S11_S12_S16_S17_S18_S1B_S1C_jS1D_jS1E_S1E_jjS1G_bEUljE0_EEESZ_S10_S11_S18_S1C_S1E_T6_T7_T9_mT8_S1G_bDpT10_ENKUlT_T0_E_clISt17integral_constantIbLb0EES1U_EEDaS1P_S1Q_EUlS1P_E_NS1_11comp_targetILNS1_3genE4ELNS1_11target_archE910ELNS1_3gpuE8ELNS1_3repE0EEENS1_30default_config_static_selectorELNS0_4arch9wavefront6targetE1EEEvS12_.numbered_sgpr, 0
	.set _ZN7rocprim17ROCPRIM_400000_NS6detail17trampoline_kernelINS0_13select_configILj256ELj13ELNS0_17block_load_methodE3ELS4_3ELS4_3ELNS0_20block_scan_algorithmE0ELj4294967295EEENS1_25partition_config_selectorILNS1_17partition_subalgoE4EjNS0_10empty_typeEbEEZZNS1_14partition_implILS8_4ELb0ES6_15HIP_vector_typeIjLj2EENS0_17counting_iteratorIjlEEPS9_SG_NS0_5tupleIJPjSI_NS0_16reverse_iteratorISI_EEEEENSH_IJSG_SG_SG_EEES9_SI_JZNS1_25segmented_radix_sort_implINS0_14default_configELb1EPKfPfPKlPlN2at6native12_GLOBAL__N_18offset_tEEE10hipError_tPvRmT1_PNSt15iterator_traitsIS12_E10value_typeET2_T3_PNS13_IS18_E10value_typeET4_jRbjT5_S1E_jjP12ihipStream_tbEUljE_ZNSN_ISO_Lb1ESQ_SR_ST_SU_SY_EESZ_S10_S11_S12_S16_S17_S18_S1B_S1C_jS1D_jS1E_S1E_jjS1G_bEUljE0_EEESZ_S10_S11_S18_S1C_S1E_T6_T7_T9_mT8_S1G_bDpT10_ENKUlT_T0_E_clISt17integral_constantIbLb0EES1U_EEDaS1P_S1Q_EUlS1P_E_NS1_11comp_targetILNS1_3genE4ELNS1_11target_archE910ELNS1_3gpuE8ELNS1_3repE0EEENS1_30default_config_static_selectorELNS0_4arch9wavefront6targetE1EEEvS12_.num_named_barrier, 0
	.set _ZN7rocprim17ROCPRIM_400000_NS6detail17trampoline_kernelINS0_13select_configILj256ELj13ELNS0_17block_load_methodE3ELS4_3ELS4_3ELNS0_20block_scan_algorithmE0ELj4294967295EEENS1_25partition_config_selectorILNS1_17partition_subalgoE4EjNS0_10empty_typeEbEEZZNS1_14partition_implILS8_4ELb0ES6_15HIP_vector_typeIjLj2EENS0_17counting_iteratorIjlEEPS9_SG_NS0_5tupleIJPjSI_NS0_16reverse_iteratorISI_EEEEENSH_IJSG_SG_SG_EEES9_SI_JZNS1_25segmented_radix_sort_implINS0_14default_configELb1EPKfPfPKlPlN2at6native12_GLOBAL__N_18offset_tEEE10hipError_tPvRmT1_PNSt15iterator_traitsIS12_E10value_typeET2_T3_PNS13_IS18_E10value_typeET4_jRbjT5_S1E_jjP12ihipStream_tbEUljE_ZNSN_ISO_Lb1ESQ_SR_ST_SU_SY_EESZ_S10_S11_S12_S16_S17_S18_S1B_S1C_jS1D_jS1E_S1E_jjS1G_bEUljE0_EEESZ_S10_S11_S18_S1C_S1E_T6_T7_T9_mT8_S1G_bDpT10_ENKUlT_T0_E_clISt17integral_constantIbLb0EES1U_EEDaS1P_S1Q_EUlS1P_E_NS1_11comp_targetILNS1_3genE4ELNS1_11target_archE910ELNS1_3gpuE8ELNS1_3repE0EEENS1_30default_config_static_selectorELNS0_4arch9wavefront6targetE1EEEvS12_.private_seg_size, 0
	.set _ZN7rocprim17ROCPRIM_400000_NS6detail17trampoline_kernelINS0_13select_configILj256ELj13ELNS0_17block_load_methodE3ELS4_3ELS4_3ELNS0_20block_scan_algorithmE0ELj4294967295EEENS1_25partition_config_selectorILNS1_17partition_subalgoE4EjNS0_10empty_typeEbEEZZNS1_14partition_implILS8_4ELb0ES6_15HIP_vector_typeIjLj2EENS0_17counting_iteratorIjlEEPS9_SG_NS0_5tupleIJPjSI_NS0_16reverse_iteratorISI_EEEEENSH_IJSG_SG_SG_EEES9_SI_JZNS1_25segmented_radix_sort_implINS0_14default_configELb1EPKfPfPKlPlN2at6native12_GLOBAL__N_18offset_tEEE10hipError_tPvRmT1_PNSt15iterator_traitsIS12_E10value_typeET2_T3_PNS13_IS18_E10value_typeET4_jRbjT5_S1E_jjP12ihipStream_tbEUljE_ZNSN_ISO_Lb1ESQ_SR_ST_SU_SY_EESZ_S10_S11_S12_S16_S17_S18_S1B_S1C_jS1D_jS1E_S1E_jjS1G_bEUljE0_EEESZ_S10_S11_S18_S1C_S1E_T6_T7_T9_mT8_S1G_bDpT10_ENKUlT_T0_E_clISt17integral_constantIbLb0EES1U_EEDaS1P_S1Q_EUlS1P_E_NS1_11comp_targetILNS1_3genE4ELNS1_11target_archE910ELNS1_3gpuE8ELNS1_3repE0EEENS1_30default_config_static_selectorELNS0_4arch9wavefront6targetE1EEEvS12_.uses_vcc, 0
	.set _ZN7rocprim17ROCPRIM_400000_NS6detail17trampoline_kernelINS0_13select_configILj256ELj13ELNS0_17block_load_methodE3ELS4_3ELS4_3ELNS0_20block_scan_algorithmE0ELj4294967295EEENS1_25partition_config_selectorILNS1_17partition_subalgoE4EjNS0_10empty_typeEbEEZZNS1_14partition_implILS8_4ELb0ES6_15HIP_vector_typeIjLj2EENS0_17counting_iteratorIjlEEPS9_SG_NS0_5tupleIJPjSI_NS0_16reverse_iteratorISI_EEEEENSH_IJSG_SG_SG_EEES9_SI_JZNS1_25segmented_radix_sort_implINS0_14default_configELb1EPKfPfPKlPlN2at6native12_GLOBAL__N_18offset_tEEE10hipError_tPvRmT1_PNSt15iterator_traitsIS12_E10value_typeET2_T3_PNS13_IS18_E10value_typeET4_jRbjT5_S1E_jjP12ihipStream_tbEUljE_ZNSN_ISO_Lb1ESQ_SR_ST_SU_SY_EESZ_S10_S11_S12_S16_S17_S18_S1B_S1C_jS1D_jS1E_S1E_jjS1G_bEUljE0_EEESZ_S10_S11_S18_S1C_S1E_T6_T7_T9_mT8_S1G_bDpT10_ENKUlT_T0_E_clISt17integral_constantIbLb0EES1U_EEDaS1P_S1Q_EUlS1P_E_NS1_11comp_targetILNS1_3genE4ELNS1_11target_archE910ELNS1_3gpuE8ELNS1_3repE0EEENS1_30default_config_static_selectorELNS0_4arch9wavefront6targetE1EEEvS12_.uses_flat_scratch, 0
	.set _ZN7rocprim17ROCPRIM_400000_NS6detail17trampoline_kernelINS0_13select_configILj256ELj13ELNS0_17block_load_methodE3ELS4_3ELS4_3ELNS0_20block_scan_algorithmE0ELj4294967295EEENS1_25partition_config_selectorILNS1_17partition_subalgoE4EjNS0_10empty_typeEbEEZZNS1_14partition_implILS8_4ELb0ES6_15HIP_vector_typeIjLj2EENS0_17counting_iteratorIjlEEPS9_SG_NS0_5tupleIJPjSI_NS0_16reverse_iteratorISI_EEEEENSH_IJSG_SG_SG_EEES9_SI_JZNS1_25segmented_radix_sort_implINS0_14default_configELb1EPKfPfPKlPlN2at6native12_GLOBAL__N_18offset_tEEE10hipError_tPvRmT1_PNSt15iterator_traitsIS12_E10value_typeET2_T3_PNS13_IS18_E10value_typeET4_jRbjT5_S1E_jjP12ihipStream_tbEUljE_ZNSN_ISO_Lb1ESQ_SR_ST_SU_SY_EESZ_S10_S11_S12_S16_S17_S18_S1B_S1C_jS1D_jS1E_S1E_jjS1G_bEUljE0_EEESZ_S10_S11_S18_S1C_S1E_T6_T7_T9_mT8_S1G_bDpT10_ENKUlT_T0_E_clISt17integral_constantIbLb0EES1U_EEDaS1P_S1Q_EUlS1P_E_NS1_11comp_targetILNS1_3genE4ELNS1_11target_archE910ELNS1_3gpuE8ELNS1_3repE0EEENS1_30default_config_static_selectorELNS0_4arch9wavefront6targetE1EEEvS12_.has_dyn_sized_stack, 0
	.set _ZN7rocprim17ROCPRIM_400000_NS6detail17trampoline_kernelINS0_13select_configILj256ELj13ELNS0_17block_load_methodE3ELS4_3ELS4_3ELNS0_20block_scan_algorithmE0ELj4294967295EEENS1_25partition_config_selectorILNS1_17partition_subalgoE4EjNS0_10empty_typeEbEEZZNS1_14partition_implILS8_4ELb0ES6_15HIP_vector_typeIjLj2EENS0_17counting_iteratorIjlEEPS9_SG_NS0_5tupleIJPjSI_NS0_16reverse_iteratorISI_EEEEENSH_IJSG_SG_SG_EEES9_SI_JZNS1_25segmented_radix_sort_implINS0_14default_configELb1EPKfPfPKlPlN2at6native12_GLOBAL__N_18offset_tEEE10hipError_tPvRmT1_PNSt15iterator_traitsIS12_E10value_typeET2_T3_PNS13_IS18_E10value_typeET4_jRbjT5_S1E_jjP12ihipStream_tbEUljE_ZNSN_ISO_Lb1ESQ_SR_ST_SU_SY_EESZ_S10_S11_S12_S16_S17_S18_S1B_S1C_jS1D_jS1E_S1E_jjS1G_bEUljE0_EEESZ_S10_S11_S18_S1C_S1E_T6_T7_T9_mT8_S1G_bDpT10_ENKUlT_T0_E_clISt17integral_constantIbLb0EES1U_EEDaS1P_S1Q_EUlS1P_E_NS1_11comp_targetILNS1_3genE4ELNS1_11target_archE910ELNS1_3gpuE8ELNS1_3repE0EEENS1_30default_config_static_selectorELNS0_4arch9wavefront6targetE1EEEvS12_.has_recursion, 0
	.set _ZN7rocprim17ROCPRIM_400000_NS6detail17trampoline_kernelINS0_13select_configILj256ELj13ELNS0_17block_load_methodE3ELS4_3ELS4_3ELNS0_20block_scan_algorithmE0ELj4294967295EEENS1_25partition_config_selectorILNS1_17partition_subalgoE4EjNS0_10empty_typeEbEEZZNS1_14partition_implILS8_4ELb0ES6_15HIP_vector_typeIjLj2EENS0_17counting_iteratorIjlEEPS9_SG_NS0_5tupleIJPjSI_NS0_16reverse_iteratorISI_EEEEENSH_IJSG_SG_SG_EEES9_SI_JZNS1_25segmented_radix_sort_implINS0_14default_configELb1EPKfPfPKlPlN2at6native12_GLOBAL__N_18offset_tEEE10hipError_tPvRmT1_PNSt15iterator_traitsIS12_E10value_typeET2_T3_PNS13_IS18_E10value_typeET4_jRbjT5_S1E_jjP12ihipStream_tbEUljE_ZNSN_ISO_Lb1ESQ_SR_ST_SU_SY_EESZ_S10_S11_S12_S16_S17_S18_S1B_S1C_jS1D_jS1E_S1E_jjS1G_bEUljE0_EEESZ_S10_S11_S18_S1C_S1E_T6_T7_T9_mT8_S1G_bDpT10_ENKUlT_T0_E_clISt17integral_constantIbLb0EES1U_EEDaS1P_S1Q_EUlS1P_E_NS1_11comp_targetILNS1_3genE4ELNS1_11target_archE910ELNS1_3gpuE8ELNS1_3repE0EEENS1_30default_config_static_selectorELNS0_4arch9wavefront6targetE1EEEvS12_.has_indirect_call, 0
	.section	.AMDGPU.csdata,"",@progbits
; Kernel info:
; codeLenInByte = 0
; TotalNumSgprs: 4
; NumVgprs: 0
; ScratchSize: 0
; MemoryBound: 0
; FloatMode: 240
; IeeeMode: 1
; LDSByteSize: 0 bytes/workgroup (compile time only)
; SGPRBlocks: 0
; VGPRBlocks: 0
; NumSGPRsForWavesPerEU: 4
; NumVGPRsForWavesPerEU: 1
; Occupancy: 10
; WaveLimiterHint : 0
; COMPUTE_PGM_RSRC2:SCRATCH_EN: 0
; COMPUTE_PGM_RSRC2:USER_SGPR: 6
; COMPUTE_PGM_RSRC2:TRAP_HANDLER: 0
; COMPUTE_PGM_RSRC2:TGID_X_EN: 1
; COMPUTE_PGM_RSRC2:TGID_Y_EN: 0
; COMPUTE_PGM_RSRC2:TGID_Z_EN: 0
; COMPUTE_PGM_RSRC2:TIDIG_COMP_CNT: 0
	.section	.text._ZN7rocprim17ROCPRIM_400000_NS6detail17trampoline_kernelINS0_13select_configILj256ELj13ELNS0_17block_load_methodE3ELS4_3ELS4_3ELNS0_20block_scan_algorithmE0ELj4294967295EEENS1_25partition_config_selectorILNS1_17partition_subalgoE4EjNS0_10empty_typeEbEEZZNS1_14partition_implILS8_4ELb0ES6_15HIP_vector_typeIjLj2EENS0_17counting_iteratorIjlEEPS9_SG_NS0_5tupleIJPjSI_NS0_16reverse_iteratorISI_EEEEENSH_IJSG_SG_SG_EEES9_SI_JZNS1_25segmented_radix_sort_implINS0_14default_configELb1EPKfPfPKlPlN2at6native12_GLOBAL__N_18offset_tEEE10hipError_tPvRmT1_PNSt15iterator_traitsIS12_E10value_typeET2_T3_PNS13_IS18_E10value_typeET4_jRbjT5_S1E_jjP12ihipStream_tbEUljE_ZNSN_ISO_Lb1ESQ_SR_ST_SU_SY_EESZ_S10_S11_S12_S16_S17_S18_S1B_S1C_jS1D_jS1E_S1E_jjS1G_bEUljE0_EEESZ_S10_S11_S18_S1C_S1E_T6_T7_T9_mT8_S1G_bDpT10_ENKUlT_T0_E_clISt17integral_constantIbLb0EES1U_EEDaS1P_S1Q_EUlS1P_E_NS1_11comp_targetILNS1_3genE3ELNS1_11target_archE908ELNS1_3gpuE7ELNS1_3repE0EEENS1_30default_config_static_selectorELNS0_4arch9wavefront6targetE1EEEvS12_,"axG",@progbits,_ZN7rocprim17ROCPRIM_400000_NS6detail17trampoline_kernelINS0_13select_configILj256ELj13ELNS0_17block_load_methodE3ELS4_3ELS4_3ELNS0_20block_scan_algorithmE0ELj4294967295EEENS1_25partition_config_selectorILNS1_17partition_subalgoE4EjNS0_10empty_typeEbEEZZNS1_14partition_implILS8_4ELb0ES6_15HIP_vector_typeIjLj2EENS0_17counting_iteratorIjlEEPS9_SG_NS0_5tupleIJPjSI_NS0_16reverse_iteratorISI_EEEEENSH_IJSG_SG_SG_EEES9_SI_JZNS1_25segmented_radix_sort_implINS0_14default_configELb1EPKfPfPKlPlN2at6native12_GLOBAL__N_18offset_tEEE10hipError_tPvRmT1_PNSt15iterator_traitsIS12_E10value_typeET2_T3_PNS13_IS18_E10value_typeET4_jRbjT5_S1E_jjP12ihipStream_tbEUljE_ZNSN_ISO_Lb1ESQ_SR_ST_SU_SY_EESZ_S10_S11_S12_S16_S17_S18_S1B_S1C_jS1D_jS1E_S1E_jjS1G_bEUljE0_EEESZ_S10_S11_S18_S1C_S1E_T6_T7_T9_mT8_S1G_bDpT10_ENKUlT_T0_E_clISt17integral_constantIbLb0EES1U_EEDaS1P_S1Q_EUlS1P_E_NS1_11comp_targetILNS1_3genE3ELNS1_11target_archE908ELNS1_3gpuE7ELNS1_3repE0EEENS1_30default_config_static_selectorELNS0_4arch9wavefront6targetE1EEEvS12_,comdat
	.globl	_ZN7rocprim17ROCPRIM_400000_NS6detail17trampoline_kernelINS0_13select_configILj256ELj13ELNS0_17block_load_methodE3ELS4_3ELS4_3ELNS0_20block_scan_algorithmE0ELj4294967295EEENS1_25partition_config_selectorILNS1_17partition_subalgoE4EjNS0_10empty_typeEbEEZZNS1_14partition_implILS8_4ELb0ES6_15HIP_vector_typeIjLj2EENS0_17counting_iteratorIjlEEPS9_SG_NS0_5tupleIJPjSI_NS0_16reverse_iteratorISI_EEEEENSH_IJSG_SG_SG_EEES9_SI_JZNS1_25segmented_radix_sort_implINS0_14default_configELb1EPKfPfPKlPlN2at6native12_GLOBAL__N_18offset_tEEE10hipError_tPvRmT1_PNSt15iterator_traitsIS12_E10value_typeET2_T3_PNS13_IS18_E10value_typeET4_jRbjT5_S1E_jjP12ihipStream_tbEUljE_ZNSN_ISO_Lb1ESQ_SR_ST_SU_SY_EESZ_S10_S11_S12_S16_S17_S18_S1B_S1C_jS1D_jS1E_S1E_jjS1G_bEUljE0_EEESZ_S10_S11_S18_S1C_S1E_T6_T7_T9_mT8_S1G_bDpT10_ENKUlT_T0_E_clISt17integral_constantIbLb0EES1U_EEDaS1P_S1Q_EUlS1P_E_NS1_11comp_targetILNS1_3genE3ELNS1_11target_archE908ELNS1_3gpuE7ELNS1_3repE0EEENS1_30default_config_static_selectorELNS0_4arch9wavefront6targetE1EEEvS12_ ; -- Begin function _ZN7rocprim17ROCPRIM_400000_NS6detail17trampoline_kernelINS0_13select_configILj256ELj13ELNS0_17block_load_methodE3ELS4_3ELS4_3ELNS0_20block_scan_algorithmE0ELj4294967295EEENS1_25partition_config_selectorILNS1_17partition_subalgoE4EjNS0_10empty_typeEbEEZZNS1_14partition_implILS8_4ELb0ES6_15HIP_vector_typeIjLj2EENS0_17counting_iteratorIjlEEPS9_SG_NS0_5tupleIJPjSI_NS0_16reverse_iteratorISI_EEEEENSH_IJSG_SG_SG_EEES9_SI_JZNS1_25segmented_radix_sort_implINS0_14default_configELb1EPKfPfPKlPlN2at6native12_GLOBAL__N_18offset_tEEE10hipError_tPvRmT1_PNSt15iterator_traitsIS12_E10value_typeET2_T3_PNS13_IS18_E10value_typeET4_jRbjT5_S1E_jjP12ihipStream_tbEUljE_ZNSN_ISO_Lb1ESQ_SR_ST_SU_SY_EESZ_S10_S11_S12_S16_S17_S18_S1B_S1C_jS1D_jS1E_S1E_jjS1G_bEUljE0_EEESZ_S10_S11_S18_S1C_S1E_T6_T7_T9_mT8_S1G_bDpT10_ENKUlT_T0_E_clISt17integral_constantIbLb0EES1U_EEDaS1P_S1Q_EUlS1P_E_NS1_11comp_targetILNS1_3genE3ELNS1_11target_archE908ELNS1_3gpuE7ELNS1_3repE0EEENS1_30default_config_static_selectorELNS0_4arch9wavefront6targetE1EEEvS12_
	.p2align	8
	.type	_ZN7rocprim17ROCPRIM_400000_NS6detail17trampoline_kernelINS0_13select_configILj256ELj13ELNS0_17block_load_methodE3ELS4_3ELS4_3ELNS0_20block_scan_algorithmE0ELj4294967295EEENS1_25partition_config_selectorILNS1_17partition_subalgoE4EjNS0_10empty_typeEbEEZZNS1_14partition_implILS8_4ELb0ES6_15HIP_vector_typeIjLj2EENS0_17counting_iteratorIjlEEPS9_SG_NS0_5tupleIJPjSI_NS0_16reverse_iteratorISI_EEEEENSH_IJSG_SG_SG_EEES9_SI_JZNS1_25segmented_radix_sort_implINS0_14default_configELb1EPKfPfPKlPlN2at6native12_GLOBAL__N_18offset_tEEE10hipError_tPvRmT1_PNSt15iterator_traitsIS12_E10value_typeET2_T3_PNS13_IS18_E10value_typeET4_jRbjT5_S1E_jjP12ihipStream_tbEUljE_ZNSN_ISO_Lb1ESQ_SR_ST_SU_SY_EESZ_S10_S11_S12_S16_S17_S18_S1B_S1C_jS1D_jS1E_S1E_jjS1G_bEUljE0_EEESZ_S10_S11_S18_S1C_S1E_T6_T7_T9_mT8_S1G_bDpT10_ENKUlT_T0_E_clISt17integral_constantIbLb0EES1U_EEDaS1P_S1Q_EUlS1P_E_NS1_11comp_targetILNS1_3genE3ELNS1_11target_archE908ELNS1_3gpuE7ELNS1_3repE0EEENS1_30default_config_static_selectorELNS0_4arch9wavefront6targetE1EEEvS12_,@function
_ZN7rocprim17ROCPRIM_400000_NS6detail17trampoline_kernelINS0_13select_configILj256ELj13ELNS0_17block_load_methodE3ELS4_3ELS4_3ELNS0_20block_scan_algorithmE0ELj4294967295EEENS1_25partition_config_selectorILNS1_17partition_subalgoE4EjNS0_10empty_typeEbEEZZNS1_14partition_implILS8_4ELb0ES6_15HIP_vector_typeIjLj2EENS0_17counting_iteratorIjlEEPS9_SG_NS0_5tupleIJPjSI_NS0_16reverse_iteratorISI_EEEEENSH_IJSG_SG_SG_EEES9_SI_JZNS1_25segmented_radix_sort_implINS0_14default_configELb1EPKfPfPKlPlN2at6native12_GLOBAL__N_18offset_tEEE10hipError_tPvRmT1_PNSt15iterator_traitsIS12_E10value_typeET2_T3_PNS13_IS18_E10value_typeET4_jRbjT5_S1E_jjP12ihipStream_tbEUljE_ZNSN_ISO_Lb1ESQ_SR_ST_SU_SY_EESZ_S10_S11_S12_S16_S17_S18_S1B_S1C_jS1D_jS1E_S1E_jjS1G_bEUljE0_EEESZ_S10_S11_S18_S1C_S1E_T6_T7_T9_mT8_S1G_bDpT10_ENKUlT_T0_E_clISt17integral_constantIbLb0EES1U_EEDaS1P_S1Q_EUlS1P_E_NS1_11comp_targetILNS1_3genE3ELNS1_11target_archE908ELNS1_3gpuE7ELNS1_3repE0EEENS1_30default_config_static_selectorELNS0_4arch9wavefront6targetE1EEEvS12_: ; @_ZN7rocprim17ROCPRIM_400000_NS6detail17trampoline_kernelINS0_13select_configILj256ELj13ELNS0_17block_load_methodE3ELS4_3ELS4_3ELNS0_20block_scan_algorithmE0ELj4294967295EEENS1_25partition_config_selectorILNS1_17partition_subalgoE4EjNS0_10empty_typeEbEEZZNS1_14partition_implILS8_4ELb0ES6_15HIP_vector_typeIjLj2EENS0_17counting_iteratorIjlEEPS9_SG_NS0_5tupleIJPjSI_NS0_16reverse_iteratorISI_EEEEENSH_IJSG_SG_SG_EEES9_SI_JZNS1_25segmented_radix_sort_implINS0_14default_configELb1EPKfPfPKlPlN2at6native12_GLOBAL__N_18offset_tEEE10hipError_tPvRmT1_PNSt15iterator_traitsIS12_E10value_typeET2_T3_PNS13_IS18_E10value_typeET4_jRbjT5_S1E_jjP12ihipStream_tbEUljE_ZNSN_ISO_Lb1ESQ_SR_ST_SU_SY_EESZ_S10_S11_S12_S16_S17_S18_S1B_S1C_jS1D_jS1E_S1E_jjS1G_bEUljE0_EEESZ_S10_S11_S18_S1C_S1E_T6_T7_T9_mT8_S1G_bDpT10_ENKUlT_T0_E_clISt17integral_constantIbLb0EES1U_EEDaS1P_S1Q_EUlS1P_E_NS1_11comp_targetILNS1_3genE3ELNS1_11target_archE908ELNS1_3gpuE7ELNS1_3repE0EEENS1_30default_config_static_selectorELNS0_4arch9wavefront6targetE1EEEvS12_
; %bb.0:
	.section	.rodata,"a",@progbits
	.p2align	6, 0x0
	.amdhsa_kernel _ZN7rocprim17ROCPRIM_400000_NS6detail17trampoline_kernelINS0_13select_configILj256ELj13ELNS0_17block_load_methodE3ELS4_3ELS4_3ELNS0_20block_scan_algorithmE0ELj4294967295EEENS1_25partition_config_selectorILNS1_17partition_subalgoE4EjNS0_10empty_typeEbEEZZNS1_14partition_implILS8_4ELb0ES6_15HIP_vector_typeIjLj2EENS0_17counting_iteratorIjlEEPS9_SG_NS0_5tupleIJPjSI_NS0_16reverse_iteratorISI_EEEEENSH_IJSG_SG_SG_EEES9_SI_JZNS1_25segmented_radix_sort_implINS0_14default_configELb1EPKfPfPKlPlN2at6native12_GLOBAL__N_18offset_tEEE10hipError_tPvRmT1_PNSt15iterator_traitsIS12_E10value_typeET2_T3_PNS13_IS18_E10value_typeET4_jRbjT5_S1E_jjP12ihipStream_tbEUljE_ZNSN_ISO_Lb1ESQ_SR_ST_SU_SY_EESZ_S10_S11_S12_S16_S17_S18_S1B_S1C_jS1D_jS1E_S1E_jjS1G_bEUljE0_EEESZ_S10_S11_S18_S1C_S1E_T6_T7_T9_mT8_S1G_bDpT10_ENKUlT_T0_E_clISt17integral_constantIbLb0EES1U_EEDaS1P_S1Q_EUlS1P_E_NS1_11comp_targetILNS1_3genE3ELNS1_11target_archE908ELNS1_3gpuE7ELNS1_3repE0EEENS1_30default_config_static_selectorELNS0_4arch9wavefront6targetE1EEEvS12_
		.amdhsa_group_segment_fixed_size 0
		.amdhsa_private_segment_fixed_size 0
		.amdhsa_kernarg_size 176
		.amdhsa_user_sgpr_count 6
		.amdhsa_user_sgpr_private_segment_buffer 1
		.amdhsa_user_sgpr_dispatch_ptr 0
		.amdhsa_user_sgpr_queue_ptr 0
		.amdhsa_user_sgpr_kernarg_segment_ptr 1
		.amdhsa_user_sgpr_dispatch_id 0
		.amdhsa_user_sgpr_flat_scratch_init 0
		.amdhsa_user_sgpr_private_segment_size 0
		.amdhsa_uses_dynamic_stack 0
		.amdhsa_system_sgpr_private_segment_wavefront_offset 0
		.amdhsa_system_sgpr_workgroup_id_x 1
		.amdhsa_system_sgpr_workgroup_id_y 0
		.amdhsa_system_sgpr_workgroup_id_z 0
		.amdhsa_system_sgpr_workgroup_info 0
		.amdhsa_system_vgpr_workitem_id 0
		.amdhsa_next_free_vgpr 1
		.amdhsa_next_free_sgpr 0
		.amdhsa_reserve_vcc 0
		.amdhsa_reserve_flat_scratch 0
		.amdhsa_float_round_mode_32 0
		.amdhsa_float_round_mode_16_64 0
		.amdhsa_float_denorm_mode_32 3
		.amdhsa_float_denorm_mode_16_64 3
		.amdhsa_dx10_clamp 1
		.amdhsa_ieee_mode 1
		.amdhsa_fp16_overflow 0
		.amdhsa_exception_fp_ieee_invalid_op 0
		.amdhsa_exception_fp_denorm_src 0
		.amdhsa_exception_fp_ieee_div_zero 0
		.amdhsa_exception_fp_ieee_overflow 0
		.amdhsa_exception_fp_ieee_underflow 0
		.amdhsa_exception_fp_ieee_inexact 0
		.amdhsa_exception_int_div_zero 0
	.end_amdhsa_kernel
	.section	.text._ZN7rocprim17ROCPRIM_400000_NS6detail17trampoline_kernelINS0_13select_configILj256ELj13ELNS0_17block_load_methodE3ELS4_3ELS4_3ELNS0_20block_scan_algorithmE0ELj4294967295EEENS1_25partition_config_selectorILNS1_17partition_subalgoE4EjNS0_10empty_typeEbEEZZNS1_14partition_implILS8_4ELb0ES6_15HIP_vector_typeIjLj2EENS0_17counting_iteratorIjlEEPS9_SG_NS0_5tupleIJPjSI_NS0_16reverse_iteratorISI_EEEEENSH_IJSG_SG_SG_EEES9_SI_JZNS1_25segmented_radix_sort_implINS0_14default_configELb1EPKfPfPKlPlN2at6native12_GLOBAL__N_18offset_tEEE10hipError_tPvRmT1_PNSt15iterator_traitsIS12_E10value_typeET2_T3_PNS13_IS18_E10value_typeET4_jRbjT5_S1E_jjP12ihipStream_tbEUljE_ZNSN_ISO_Lb1ESQ_SR_ST_SU_SY_EESZ_S10_S11_S12_S16_S17_S18_S1B_S1C_jS1D_jS1E_S1E_jjS1G_bEUljE0_EEESZ_S10_S11_S18_S1C_S1E_T6_T7_T9_mT8_S1G_bDpT10_ENKUlT_T0_E_clISt17integral_constantIbLb0EES1U_EEDaS1P_S1Q_EUlS1P_E_NS1_11comp_targetILNS1_3genE3ELNS1_11target_archE908ELNS1_3gpuE7ELNS1_3repE0EEENS1_30default_config_static_selectorELNS0_4arch9wavefront6targetE1EEEvS12_,"axG",@progbits,_ZN7rocprim17ROCPRIM_400000_NS6detail17trampoline_kernelINS0_13select_configILj256ELj13ELNS0_17block_load_methodE3ELS4_3ELS4_3ELNS0_20block_scan_algorithmE0ELj4294967295EEENS1_25partition_config_selectorILNS1_17partition_subalgoE4EjNS0_10empty_typeEbEEZZNS1_14partition_implILS8_4ELb0ES6_15HIP_vector_typeIjLj2EENS0_17counting_iteratorIjlEEPS9_SG_NS0_5tupleIJPjSI_NS0_16reverse_iteratorISI_EEEEENSH_IJSG_SG_SG_EEES9_SI_JZNS1_25segmented_radix_sort_implINS0_14default_configELb1EPKfPfPKlPlN2at6native12_GLOBAL__N_18offset_tEEE10hipError_tPvRmT1_PNSt15iterator_traitsIS12_E10value_typeET2_T3_PNS13_IS18_E10value_typeET4_jRbjT5_S1E_jjP12ihipStream_tbEUljE_ZNSN_ISO_Lb1ESQ_SR_ST_SU_SY_EESZ_S10_S11_S12_S16_S17_S18_S1B_S1C_jS1D_jS1E_S1E_jjS1G_bEUljE0_EEESZ_S10_S11_S18_S1C_S1E_T6_T7_T9_mT8_S1G_bDpT10_ENKUlT_T0_E_clISt17integral_constantIbLb0EES1U_EEDaS1P_S1Q_EUlS1P_E_NS1_11comp_targetILNS1_3genE3ELNS1_11target_archE908ELNS1_3gpuE7ELNS1_3repE0EEENS1_30default_config_static_selectorELNS0_4arch9wavefront6targetE1EEEvS12_,comdat
.Lfunc_end1264:
	.size	_ZN7rocprim17ROCPRIM_400000_NS6detail17trampoline_kernelINS0_13select_configILj256ELj13ELNS0_17block_load_methodE3ELS4_3ELS4_3ELNS0_20block_scan_algorithmE0ELj4294967295EEENS1_25partition_config_selectorILNS1_17partition_subalgoE4EjNS0_10empty_typeEbEEZZNS1_14partition_implILS8_4ELb0ES6_15HIP_vector_typeIjLj2EENS0_17counting_iteratorIjlEEPS9_SG_NS0_5tupleIJPjSI_NS0_16reverse_iteratorISI_EEEEENSH_IJSG_SG_SG_EEES9_SI_JZNS1_25segmented_radix_sort_implINS0_14default_configELb1EPKfPfPKlPlN2at6native12_GLOBAL__N_18offset_tEEE10hipError_tPvRmT1_PNSt15iterator_traitsIS12_E10value_typeET2_T3_PNS13_IS18_E10value_typeET4_jRbjT5_S1E_jjP12ihipStream_tbEUljE_ZNSN_ISO_Lb1ESQ_SR_ST_SU_SY_EESZ_S10_S11_S12_S16_S17_S18_S1B_S1C_jS1D_jS1E_S1E_jjS1G_bEUljE0_EEESZ_S10_S11_S18_S1C_S1E_T6_T7_T9_mT8_S1G_bDpT10_ENKUlT_T0_E_clISt17integral_constantIbLb0EES1U_EEDaS1P_S1Q_EUlS1P_E_NS1_11comp_targetILNS1_3genE3ELNS1_11target_archE908ELNS1_3gpuE7ELNS1_3repE0EEENS1_30default_config_static_selectorELNS0_4arch9wavefront6targetE1EEEvS12_, .Lfunc_end1264-_ZN7rocprim17ROCPRIM_400000_NS6detail17trampoline_kernelINS0_13select_configILj256ELj13ELNS0_17block_load_methodE3ELS4_3ELS4_3ELNS0_20block_scan_algorithmE0ELj4294967295EEENS1_25partition_config_selectorILNS1_17partition_subalgoE4EjNS0_10empty_typeEbEEZZNS1_14partition_implILS8_4ELb0ES6_15HIP_vector_typeIjLj2EENS0_17counting_iteratorIjlEEPS9_SG_NS0_5tupleIJPjSI_NS0_16reverse_iteratorISI_EEEEENSH_IJSG_SG_SG_EEES9_SI_JZNS1_25segmented_radix_sort_implINS0_14default_configELb1EPKfPfPKlPlN2at6native12_GLOBAL__N_18offset_tEEE10hipError_tPvRmT1_PNSt15iterator_traitsIS12_E10value_typeET2_T3_PNS13_IS18_E10value_typeET4_jRbjT5_S1E_jjP12ihipStream_tbEUljE_ZNSN_ISO_Lb1ESQ_SR_ST_SU_SY_EESZ_S10_S11_S12_S16_S17_S18_S1B_S1C_jS1D_jS1E_S1E_jjS1G_bEUljE0_EEESZ_S10_S11_S18_S1C_S1E_T6_T7_T9_mT8_S1G_bDpT10_ENKUlT_T0_E_clISt17integral_constantIbLb0EES1U_EEDaS1P_S1Q_EUlS1P_E_NS1_11comp_targetILNS1_3genE3ELNS1_11target_archE908ELNS1_3gpuE7ELNS1_3repE0EEENS1_30default_config_static_selectorELNS0_4arch9wavefront6targetE1EEEvS12_
                                        ; -- End function
	.set _ZN7rocprim17ROCPRIM_400000_NS6detail17trampoline_kernelINS0_13select_configILj256ELj13ELNS0_17block_load_methodE3ELS4_3ELS4_3ELNS0_20block_scan_algorithmE0ELj4294967295EEENS1_25partition_config_selectorILNS1_17partition_subalgoE4EjNS0_10empty_typeEbEEZZNS1_14partition_implILS8_4ELb0ES6_15HIP_vector_typeIjLj2EENS0_17counting_iteratorIjlEEPS9_SG_NS0_5tupleIJPjSI_NS0_16reverse_iteratorISI_EEEEENSH_IJSG_SG_SG_EEES9_SI_JZNS1_25segmented_radix_sort_implINS0_14default_configELb1EPKfPfPKlPlN2at6native12_GLOBAL__N_18offset_tEEE10hipError_tPvRmT1_PNSt15iterator_traitsIS12_E10value_typeET2_T3_PNS13_IS18_E10value_typeET4_jRbjT5_S1E_jjP12ihipStream_tbEUljE_ZNSN_ISO_Lb1ESQ_SR_ST_SU_SY_EESZ_S10_S11_S12_S16_S17_S18_S1B_S1C_jS1D_jS1E_S1E_jjS1G_bEUljE0_EEESZ_S10_S11_S18_S1C_S1E_T6_T7_T9_mT8_S1G_bDpT10_ENKUlT_T0_E_clISt17integral_constantIbLb0EES1U_EEDaS1P_S1Q_EUlS1P_E_NS1_11comp_targetILNS1_3genE3ELNS1_11target_archE908ELNS1_3gpuE7ELNS1_3repE0EEENS1_30default_config_static_selectorELNS0_4arch9wavefront6targetE1EEEvS12_.num_vgpr, 0
	.set _ZN7rocprim17ROCPRIM_400000_NS6detail17trampoline_kernelINS0_13select_configILj256ELj13ELNS0_17block_load_methodE3ELS4_3ELS4_3ELNS0_20block_scan_algorithmE0ELj4294967295EEENS1_25partition_config_selectorILNS1_17partition_subalgoE4EjNS0_10empty_typeEbEEZZNS1_14partition_implILS8_4ELb0ES6_15HIP_vector_typeIjLj2EENS0_17counting_iteratorIjlEEPS9_SG_NS0_5tupleIJPjSI_NS0_16reverse_iteratorISI_EEEEENSH_IJSG_SG_SG_EEES9_SI_JZNS1_25segmented_radix_sort_implINS0_14default_configELb1EPKfPfPKlPlN2at6native12_GLOBAL__N_18offset_tEEE10hipError_tPvRmT1_PNSt15iterator_traitsIS12_E10value_typeET2_T3_PNS13_IS18_E10value_typeET4_jRbjT5_S1E_jjP12ihipStream_tbEUljE_ZNSN_ISO_Lb1ESQ_SR_ST_SU_SY_EESZ_S10_S11_S12_S16_S17_S18_S1B_S1C_jS1D_jS1E_S1E_jjS1G_bEUljE0_EEESZ_S10_S11_S18_S1C_S1E_T6_T7_T9_mT8_S1G_bDpT10_ENKUlT_T0_E_clISt17integral_constantIbLb0EES1U_EEDaS1P_S1Q_EUlS1P_E_NS1_11comp_targetILNS1_3genE3ELNS1_11target_archE908ELNS1_3gpuE7ELNS1_3repE0EEENS1_30default_config_static_selectorELNS0_4arch9wavefront6targetE1EEEvS12_.num_agpr, 0
	.set _ZN7rocprim17ROCPRIM_400000_NS6detail17trampoline_kernelINS0_13select_configILj256ELj13ELNS0_17block_load_methodE3ELS4_3ELS4_3ELNS0_20block_scan_algorithmE0ELj4294967295EEENS1_25partition_config_selectorILNS1_17partition_subalgoE4EjNS0_10empty_typeEbEEZZNS1_14partition_implILS8_4ELb0ES6_15HIP_vector_typeIjLj2EENS0_17counting_iteratorIjlEEPS9_SG_NS0_5tupleIJPjSI_NS0_16reverse_iteratorISI_EEEEENSH_IJSG_SG_SG_EEES9_SI_JZNS1_25segmented_radix_sort_implINS0_14default_configELb1EPKfPfPKlPlN2at6native12_GLOBAL__N_18offset_tEEE10hipError_tPvRmT1_PNSt15iterator_traitsIS12_E10value_typeET2_T3_PNS13_IS18_E10value_typeET4_jRbjT5_S1E_jjP12ihipStream_tbEUljE_ZNSN_ISO_Lb1ESQ_SR_ST_SU_SY_EESZ_S10_S11_S12_S16_S17_S18_S1B_S1C_jS1D_jS1E_S1E_jjS1G_bEUljE0_EEESZ_S10_S11_S18_S1C_S1E_T6_T7_T9_mT8_S1G_bDpT10_ENKUlT_T0_E_clISt17integral_constantIbLb0EES1U_EEDaS1P_S1Q_EUlS1P_E_NS1_11comp_targetILNS1_3genE3ELNS1_11target_archE908ELNS1_3gpuE7ELNS1_3repE0EEENS1_30default_config_static_selectorELNS0_4arch9wavefront6targetE1EEEvS12_.numbered_sgpr, 0
	.set _ZN7rocprim17ROCPRIM_400000_NS6detail17trampoline_kernelINS0_13select_configILj256ELj13ELNS0_17block_load_methodE3ELS4_3ELS4_3ELNS0_20block_scan_algorithmE0ELj4294967295EEENS1_25partition_config_selectorILNS1_17partition_subalgoE4EjNS0_10empty_typeEbEEZZNS1_14partition_implILS8_4ELb0ES6_15HIP_vector_typeIjLj2EENS0_17counting_iteratorIjlEEPS9_SG_NS0_5tupleIJPjSI_NS0_16reverse_iteratorISI_EEEEENSH_IJSG_SG_SG_EEES9_SI_JZNS1_25segmented_radix_sort_implINS0_14default_configELb1EPKfPfPKlPlN2at6native12_GLOBAL__N_18offset_tEEE10hipError_tPvRmT1_PNSt15iterator_traitsIS12_E10value_typeET2_T3_PNS13_IS18_E10value_typeET4_jRbjT5_S1E_jjP12ihipStream_tbEUljE_ZNSN_ISO_Lb1ESQ_SR_ST_SU_SY_EESZ_S10_S11_S12_S16_S17_S18_S1B_S1C_jS1D_jS1E_S1E_jjS1G_bEUljE0_EEESZ_S10_S11_S18_S1C_S1E_T6_T7_T9_mT8_S1G_bDpT10_ENKUlT_T0_E_clISt17integral_constantIbLb0EES1U_EEDaS1P_S1Q_EUlS1P_E_NS1_11comp_targetILNS1_3genE3ELNS1_11target_archE908ELNS1_3gpuE7ELNS1_3repE0EEENS1_30default_config_static_selectorELNS0_4arch9wavefront6targetE1EEEvS12_.num_named_barrier, 0
	.set _ZN7rocprim17ROCPRIM_400000_NS6detail17trampoline_kernelINS0_13select_configILj256ELj13ELNS0_17block_load_methodE3ELS4_3ELS4_3ELNS0_20block_scan_algorithmE0ELj4294967295EEENS1_25partition_config_selectorILNS1_17partition_subalgoE4EjNS0_10empty_typeEbEEZZNS1_14partition_implILS8_4ELb0ES6_15HIP_vector_typeIjLj2EENS0_17counting_iteratorIjlEEPS9_SG_NS0_5tupleIJPjSI_NS0_16reverse_iteratorISI_EEEEENSH_IJSG_SG_SG_EEES9_SI_JZNS1_25segmented_radix_sort_implINS0_14default_configELb1EPKfPfPKlPlN2at6native12_GLOBAL__N_18offset_tEEE10hipError_tPvRmT1_PNSt15iterator_traitsIS12_E10value_typeET2_T3_PNS13_IS18_E10value_typeET4_jRbjT5_S1E_jjP12ihipStream_tbEUljE_ZNSN_ISO_Lb1ESQ_SR_ST_SU_SY_EESZ_S10_S11_S12_S16_S17_S18_S1B_S1C_jS1D_jS1E_S1E_jjS1G_bEUljE0_EEESZ_S10_S11_S18_S1C_S1E_T6_T7_T9_mT8_S1G_bDpT10_ENKUlT_T0_E_clISt17integral_constantIbLb0EES1U_EEDaS1P_S1Q_EUlS1P_E_NS1_11comp_targetILNS1_3genE3ELNS1_11target_archE908ELNS1_3gpuE7ELNS1_3repE0EEENS1_30default_config_static_selectorELNS0_4arch9wavefront6targetE1EEEvS12_.private_seg_size, 0
	.set _ZN7rocprim17ROCPRIM_400000_NS6detail17trampoline_kernelINS0_13select_configILj256ELj13ELNS0_17block_load_methodE3ELS4_3ELS4_3ELNS0_20block_scan_algorithmE0ELj4294967295EEENS1_25partition_config_selectorILNS1_17partition_subalgoE4EjNS0_10empty_typeEbEEZZNS1_14partition_implILS8_4ELb0ES6_15HIP_vector_typeIjLj2EENS0_17counting_iteratorIjlEEPS9_SG_NS0_5tupleIJPjSI_NS0_16reverse_iteratorISI_EEEEENSH_IJSG_SG_SG_EEES9_SI_JZNS1_25segmented_radix_sort_implINS0_14default_configELb1EPKfPfPKlPlN2at6native12_GLOBAL__N_18offset_tEEE10hipError_tPvRmT1_PNSt15iterator_traitsIS12_E10value_typeET2_T3_PNS13_IS18_E10value_typeET4_jRbjT5_S1E_jjP12ihipStream_tbEUljE_ZNSN_ISO_Lb1ESQ_SR_ST_SU_SY_EESZ_S10_S11_S12_S16_S17_S18_S1B_S1C_jS1D_jS1E_S1E_jjS1G_bEUljE0_EEESZ_S10_S11_S18_S1C_S1E_T6_T7_T9_mT8_S1G_bDpT10_ENKUlT_T0_E_clISt17integral_constantIbLb0EES1U_EEDaS1P_S1Q_EUlS1P_E_NS1_11comp_targetILNS1_3genE3ELNS1_11target_archE908ELNS1_3gpuE7ELNS1_3repE0EEENS1_30default_config_static_selectorELNS0_4arch9wavefront6targetE1EEEvS12_.uses_vcc, 0
	.set _ZN7rocprim17ROCPRIM_400000_NS6detail17trampoline_kernelINS0_13select_configILj256ELj13ELNS0_17block_load_methodE3ELS4_3ELS4_3ELNS0_20block_scan_algorithmE0ELj4294967295EEENS1_25partition_config_selectorILNS1_17partition_subalgoE4EjNS0_10empty_typeEbEEZZNS1_14partition_implILS8_4ELb0ES6_15HIP_vector_typeIjLj2EENS0_17counting_iteratorIjlEEPS9_SG_NS0_5tupleIJPjSI_NS0_16reverse_iteratorISI_EEEEENSH_IJSG_SG_SG_EEES9_SI_JZNS1_25segmented_radix_sort_implINS0_14default_configELb1EPKfPfPKlPlN2at6native12_GLOBAL__N_18offset_tEEE10hipError_tPvRmT1_PNSt15iterator_traitsIS12_E10value_typeET2_T3_PNS13_IS18_E10value_typeET4_jRbjT5_S1E_jjP12ihipStream_tbEUljE_ZNSN_ISO_Lb1ESQ_SR_ST_SU_SY_EESZ_S10_S11_S12_S16_S17_S18_S1B_S1C_jS1D_jS1E_S1E_jjS1G_bEUljE0_EEESZ_S10_S11_S18_S1C_S1E_T6_T7_T9_mT8_S1G_bDpT10_ENKUlT_T0_E_clISt17integral_constantIbLb0EES1U_EEDaS1P_S1Q_EUlS1P_E_NS1_11comp_targetILNS1_3genE3ELNS1_11target_archE908ELNS1_3gpuE7ELNS1_3repE0EEENS1_30default_config_static_selectorELNS0_4arch9wavefront6targetE1EEEvS12_.uses_flat_scratch, 0
	.set _ZN7rocprim17ROCPRIM_400000_NS6detail17trampoline_kernelINS0_13select_configILj256ELj13ELNS0_17block_load_methodE3ELS4_3ELS4_3ELNS0_20block_scan_algorithmE0ELj4294967295EEENS1_25partition_config_selectorILNS1_17partition_subalgoE4EjNS0_10empty_typeEbEEZZNS1_14partition_implILS8_4ELb0ES6_15HIP_vector_typeIjLj2EENS0_17counting_iteratorIjlEEPS9_SG_NS0_5tupleIJPjSI_NS0_16reverse_iteratorISI_EEEEENSH_IJSG_SG_SG_EEES9_SI_JZNS1_25segmented_radix_sort_implINS0_14default_configELb1EPKfPfPKlPlN2at6native12_GLOBAL__N_18offset_tEEE10hipError_tPvRmT1_PNSt15iterator_traitsIS12_E10value_typeET2_T3_PNS13_IS18_E10value_typeET4_jRbjT5_S1E_jjP12ihipStream_tbEUljE_ZNSN_ISO_Lb1ESQ_SR_ST_SU_SY_EESZ_S10_S11_S12_S16_S17_S18_S1B_S1C_jS1D_jS1E_S1E_jjS1G_bEUljE0_EEESZ_S10_S11_S18_S1C_S1E_T6_T7_T9_mT8_S1G_bDpT10_ENKUlT_T0_E_clISt17integral_constantIbLb0EES1U_EEDaS1P_S1Q_EUlS1P_E_NS1_11comp_targetILNS1_3genE3ELNS1_11target_archE908ELNS1_3gpuE7ELNS1_3repE0EEENS1_30default_config_static_selectorELNS0_4arch9wavefront6targetE1EEEvS12_.has_dyn_sized_stack, 0
	.set _ZN7rocprim17ROCPRIM_400000_NS6detail17trampoline_kernelINS0_13select_configILj256ELj13ELNS0_17block_load_methodE3ELS4_3ELS4_3ELNS0_20block_scan_algorithmE0ELj4294967295EEENS1_25partition_config_selectorILNS1_17partition_subalgoE4EjNS0_10empty_typeEbEEZZNS1_14partition_implILS8_4ELb0ES6_15HIP_vector_typeIjLj2EENS0_17counting_iteratorIjlEEPS9_SG_NS0_5tupleIJPjSI_NS0_16reverse_iteratorISI_EEEEENSH_IJSG_SG_SG_EEES9_SI_JZNS1_25segmented_radix_sort_implINS0_14default_configELb1EPKfPfPKlPlN2at6native12_GLOBAL__N_18offset_tEEE10hipError_tPvRmT1_PNSt15iterator_traitsIS12_E10value_typeET2_T3_PNS13_IS18_E10value_typeET4_jRbjT5_S1E_jjP12ihipStream_tbEUljE_ZNSN_ISO_Lb1ESQ_SR_ST_SU_SY_EESZ_S10_S11_S12_S16_S17_S18_S1B_S1C_jS1D_jS1E_S1E_jjS1G_bEUljE0_EEESZ_S10_S11_S18_S1C_S1E_T6_T7_T9_mT8_S1G_bDpT10_ENKUlT_T0_E_clISt17integral_constantIbLb0EES1U_EEDaS1P_S1Q_EUlS1P_E_NS1_11comp_targetILNS1_3genE3ELNS1_11target_archE908ELNS1_3gpuE7ELNS1_3repE0EEENS1_30default_config_static_selectorELNS0_4arch9wavefront6targetE1EEEvS12_.has_recursion, 0
	.set _ZN7rocprim17ROCPRIM_400000_NS6detail17trampoline_kernelINS0_13select_configILj256ELj13ELNS0_17block_load_methodE3ELS4_3ELS4_3ELNS0_20block_scan_algorithmE0ELj4294967295EEENS1_25partition_config_selectorILNS1_17partition_subalgoE4EjNS0_10empty_typeEbEEZZNS1_14partition_implILS8_4ELb0ES6_15HIP_vector_typeIjLj2EENS0_17counting_iteratorIjlEEPS9_SG_NS0_5tupleIJPjSI_NS0_16reverse_iteratorISI_EEEEENSH_IJSG_SG_SG_EEES9_SI_JZNS1_25segmented_radix_sort_implINS0_14default_configELb1EPKfPfPKlPlN2at6native12_GLOBAL__N_18offset_tEEE10hipError_tPvRmT1_PNSt15iterator_traitsIS12_E10value_typeET2_T3_PNS13_IS18_E10value_typeET4_jRbjT5_S1E_jjP12ihipStream_tbEUljE_ZNSN_ISO_Lb1ESQ_SR_ST_SU_SY_EESZ_S10_S11_S12_S16_S17_S18_S1B_S1C_jS1D_jS1E_S1E_jjS1G_bEUljE0_EEESZ_S10_S11_S18_S1C_S1E_T6_T7_T9_mT8_S1G_bDpT10_ENKUlT_T0_E_clISt17integral_constantIbLb0EES1U_EEDaS1P_S1Q_EUlS1P_E_NS1_11comp_targetILNS1_3genE3ELNS1_11target_archE908ELNS1_3gpuE7ELNS1_3repE0EEENS1_30default_config_static_selectorELNS0_4arch9wavefront6targetE1EEEvS12_.has_indirect_call, 0
	.section	.AMDGPU.csdata,"",@progbits
; Kernel info:
; codeLenInByte = 0
; TotalNumSgprs: 4
; NumVgprs: 0
; ScratchSize: 0
; MemoryBound: 0
; FloatMode: 240
; IeeeMode: 1
; LDSByteSize: 0 bytes/workgroup (compile time only)
; SGPRBlocks: 0
; VGPRBlocks: 0
; NumSGPRsForWavesPerEU: 4
; NumVGPRsForWavesPerEU: 1
; Occupancy: 10
; WaveLimiterHint : 0
; COMPUTE_PGM_RSRC2:SCRATCH_EN: 0
; COMPUTE_PGM_RSRC2:USER_SGPR: 6
; COMPUTE_PGM_RSRC2:TRAP_HANDLER: 0
; COMPUTE_PGM_RSRC2:TGID_X_EN: 1
; COMPUTE_PGM_RSRC2:TGID_Y_EN: 0
; COMPUTE_PGM_RSRC2:TGID_Z_EN: 0
; COMPUTE_PGM_RSRC2:TIDIG_COMP_CNT: 0
	.section	.text._ZN7rocprim17ROCPRIM_400000_NS6detail17trampoline_kernelINS0_13select_configILj256ELj13ELNS0_17block_load_methodE3ELS4_3ELS4_3ELNS0_20block_scan_algorithmE0ELj4294967295EEENS1_25partition_config_selectorILNS1_17partition_subalgoE4EjNS0_10empty_typeEbEEZZNS1_14partition_implILS8_4ELb0ES6_15HIP_vector_typeIjLj2EENS0_17counting_iteratorIjlEEPS9_SG_NS0_5tupleIJPjSI_NS0_16reverse_iteratorISI_EEEEENSH_IJSG_SG_SG_EEES9_SI_JZNS1_25segmented_radix_sort_implINS0_14default_configELb1EPKfPfPKlPlN2at6native12_GLOBAL__N_18offset_tEEE10hipError_tPvRmT1_PNSt15iterator_traitsIS12_E10value_typeET2_T3_PNS13_IS18_E10value_typeET4_jRbjT5_S1E_jjP12ihipStream_tbEUljE_ZNSN_ISO_Lb1ESQ_SR_ST_SU_SY_EESZ_S10_S11_S12_S16_S17_S18_S1B_S1C_jS1D_jS1E_S1E_jjS1G_bEUljE0_EEESZ_S10_S11_S18_S1C_S1E_T6_T7_T9_mT8_S1G_bDpT10_ENKUlT_T0_E_clISt17integral_constantIbLb0EES1U_EEDaS1P_S1Q_EUlS1P_E_NS1_11comp_targetILNS1_3genE2ELNS1_11target_archE906ELNS1_3gpuE6ELNS1_3repE0EEENS1_30default_config_static_selectorELNS0_4arch9wavefront6targetE1EEEvS12_,"axG",@progbits,_ZN7rocprim17ROCPRIM_400000_NS6detail17trampoline_kernelINS0_13select_configILj256ELj13ELNS0_17block_load_methodE3ELS4_3ELS4_3ELNS0_20block_scan_algorithmE0ELj4294967295EEENS1_25partition_config_selectorILNS1_17partition_subalgoE4EjNS0_10empty_typeEbEEZZNS1_14partition_implILS8_4ELb0ES6_15HIP_vector_typeIjLj2EENS0_17counting_iteratorIjlEEPS9_SG_NS0_5tupleIJPjSI_NS0_16reverse_iteratorISI_EEEEENSH_IJSG_SG_SG_EEES9_SI_JZNS1_25segmented_radix_sort_implINS0_14default_configELb1EPKfPfPKlPlN2at6native12_GLOBAL__N_18offset_tEEE10hipError_tPvRmT1_PNSt15iterator_traitsIS12_E10value_typeET2_T3_PNS13_IS18_E10value_typeET4_jRbjT5_S1E_jjP12ihipStream_tbEUljE_ZNSN_ISO_Lb1ESQ_SR_ST_SU_SY_EESZ_S10_S11_S12_S16_S17_S18_S1B_S1C_jS1D_jS1E_S1E_jjS1G_bEUljE0_EEESZ_S10_S11_S18_S1C_S1E_T6_T7_T9_mT8_S1G_bDpT10_ENKUlT_T0_E_clISt17integral_constantIbLb0EES1U_EEDaS1P_S1Q_EUlS1P_E_NS1_11comp_targetILNS1_3genE2ELNS1_11target_archE906ELNS1_3gpuE6ELNS1_3repE0EEENS1_30default_config_static_selectorELNS0_4arch9wavefront6targetE1EEEvS12_,comdat
	.globl	_ZN7rocprim17ROCPRIM_400000_NS6detail17trampoline_kernelINS0_13select_configILj256ELj13ELNS0_17block_load_methodE3ELS4_3ELS4_3ELNS0_20block_scan_algorithmE0ELj4294967295EEENS1_25partition_config_selectorILNS1_17partition_subalgoE4EjNS0_10empty_typeEbEEZZNS1_14partition_implILS8_4ELb0ES6_15HIP_vector_typeIjLj2EENS0_17counting_iteratorIjlEEPS9_SG_NS0_5tupleIJPjSI_NS0_16reverse_iteratorISI_EEEEENSH_IJSG_SG_SG_EEES9_SI_JZNS1_25segmented_radix_sort_implINS0_14default_configELb1EPKfPfPKlPlN2at6native12_GLOBAL__N_18offset_tEEE10hipError_tPvRmT1_PNSt15iterator_traitsIS12_E10value_typeET2_T3_PNS13_IS18_E10value_typeET4_jRbjT5_S1E_jjP12ihipStream_tbEUljE_ZNSN_ISO_Lb1ESQ_SR_ST_SU_SY_EESZ_S10_S11_S12_S16_S17_S18_S1B_S1C_jS1D_jS1E_S1E_jjS1G_bEUljE0_EEESZ_S10_S11_S18_S1C_S1E_T6_T7_T9_mT8_S1G_bDpT10_ENKUlT_T0_E_clISt17integral_constantIbLb0EES1U_EEDaS1P_S1Q_EUlS1P_E_NS1_11comp_targetILNS1_3genE2ELNS1_11target_archE906ELNS1_3gpuE6ELNS1_3repE0EEENS1_30default_config_static_selectorELNS0_4arch9wavefront6targetE1EEEvS12_ ; -- Begin function _ZN7rocprim17ROCPRIM_400000_NS6detail17trampoline_kernelINS0_13select_configILj256ELj13ELNS0_17block_load_methodE3ELS4_3ELS4_3ELNS0_20block_scan_algorithmE0ELj4294967295EEENS1_25partition_config_selectorILNS1_17partition_subalgoE4EjNS0_10empty_typeEbEEZZNS1_14partition_implILS8_4ELb0ES6_15HIP_vector_typeIjLj2EENS0_17counting_iteratorIjlEEPS9_SG_NS0_5tupleIJPjSI_NS0_16reverse_iteratorISI_EEEEENSH_IJSG_SG_SG_EEES9_SI_JZNS1_25segmented_radix_sort_implINS0_14default_configELb1EPKfPfPKlPlN2at6native12_GLOBAL__N_18offset_tEEE10hipError_tPvRmT1_PNSt15iterator_traitsIS12_E10value_typeET2_T3_PNS13_IS18_E10value_typeET4_jRbjT5_S1E_jjP12ihipStream_tbEUljE_ZNSN_ISO_Lb1ESQ_SR_ST_SU_SY_EESZ_S10_S11_S12_S16_S17_S18_S1B_S1C_jS1D_jS1E_S1E_jjS1G_bEUljE0_EEESZ_S10_S11_S18_S1C_S1E_T6_T7_T9_mT8_S1G_bDpT10_ENKUlT_T0_E_clISt17integral_constantIbLb0EES1U_EEDaS1P_S1Q_EUlS1P_E_NS1_11comp_targetILNS1_3genE2ELNS1_11target_archE906ELNS1_3gpuE6ELNS1_3repE0EEENS1_30default_config_static_selectorELNS0_4arch9wavefront6targetE1EEEvS12_
	.p2align	8
	.type	_ZN7rocprim17ROCPRIM_400000_NS6detail17trampoline_kernelINS0_13select_configILj256ELj13ELNS0_17block_load_methodE3ELS4_3ELS4_3ELNS0_20block_scan_algorithmE0ELj4294967295EEENS1_25partition_config_selectorILNS1_17partition_subalgoE4EjNS0_10empty_typeEbEEZZNS1_14partition_implILS8_4ELb0ES6_15HIP_vector_typeIjLj2EENS0_17counting_iteratorIjlEEPS9_SG_NS0_5tupleIJPjSI_NS0_16reverse_iteratorISI_EEEEENSH_IJSG_SG_SG_EEES9_SI_JZNS1_25segmented_radix_sort_implINS0_14default_configELb1EPKfPfPKlPlN2at6native12_GLOBAL__N_18offset_tEEE10hipError_tPvRmT1_PNSt15iterator_traitsIS12_E10value_typeET2_T3_PNS13_IS18_E10value_typeET4_jRbjT5_S1E_jjP12ihipStream_tbEUljE_ZNSN_ISO_Lb1ESQ_SR_ST_SU_SY_EESZ_S10_S11_S12_S16_S17_S18_S1B_S1C_jS1D_jS1E_S1E_jjS1G_bEUljE0_EEESZ_S10_S11_S18_S1C_S1E_T6_T7_T9_mT8_S1G_bDpT10_ENKUlT_T0_E_clISt17integral_constantIbLb0EES1U_EEDaS1P_S1Q_EUlS1P_E_NS1_11comp_targetILNS1_3genE2ELNS1_11target_archE906ELNS1_3gpuE6ELNS1_3repE0EEENS1_30default_config_static_selectorELNS0_4arch9wavefront6targetE1EEEvS12_,@function
_ZN7rocprim17ROCPRIM_400000_NS6detail17trampoline_kernelINS0_13select_configILj256ELj13ELNS0_17block_load_methodE3ELS4_3ELS4_3ELNS0_20block_scan_algorithmE0ELj4294967295EEENS1_25partition_config_selectorILNS1_17partition_subalgoE4EjNS0_10empty_typeEbEEZZNS1_14partition_implILS8_4ELb0ES6_15HIP_vector_typeIjLj2EENS0_17counting_iteratorIjlEEPS9_SG_NS0_5tupleIJPjSI_NS0_16reverse_iteratorISI_EEEEENSH_IJSG_SG_SG_EEES9_SI_JZNS1_25segmented_radix_sort_implINS0_14default_configELb1EPKfPfPKlPlN2at6native12_GLOBAL__N_18offset_tEEE10hipError_tPvRmT1_PNSt15iterator_traitsIS12_E10value_typeET2_T3_PNS13_IS18_E10value_typeET4_jRbjT5_S1E_jjP12ihipStream_tbEUljE_ZNSN_ISO_Lb1ESQ_SR_ST_SU_SY_EESZ_S10_S11_S12_S16_S17_S18_S1B_S1C_jS1D_jS1E_S1E_jjS1G_bEUljE0_EEESZ_S10_S11_S18_S1C_S1E_T6_T7_T9_mT8_S1G_bDpT10_ENKUlT_T0_E_clISt17integral_constantIbLb0EES1U_EEDaS1P_S1Q_EUlS1P_E_NS1_11comp_targetILNS1_3genE2ELNS1_11target_archE906ELNS1_3gpuE6ELNS1_3repE0EEENS1_30default_config_static_selectorELNS0_4arch9wavefront6targetE1EEEvS12_: ; @_ZN7rocprim17ROCPRIM_400000_NS6detail17trampoline_kernelINS0_13select_configILj256ELj13ELNS0_17block_load_methodE3ELS4_3ELS4_3ELNS0_20block_scan_algorithmE0ELj4294967295EEENS1_25partition_config_selectorILNS1_17partition_subalgoE4EjNS0_10empty_typeEbEEZZNS1_14partition_implILS8_4ELb0ES6_15HIP_vector_typeIjLj2EENS0_17counting_iteratorIjlEEPS9_SG_NS0_5tupleIJPjSI_NS0_16reverse_iteratorISI_EEEEENSH_IJSG_SG_SG_EEES9_SI_JZNS1_25segmented_radix_sort_implINS0_14default_configELb1EPKfPfPKlPlN2at6native12_GLOBAL__N_18offset_tEEE10hipError_tPvRmT1_PNSt15iterator_traitsIS12_E10value_typeET2_T3_PNS13_IS18_E10value_typeET4_jRbjT5_S1E_jjP12ihipStream_tbEUljE_ZNSN_ISO_Lb1ESQ_SR_ST_SU_SY_EESZ_S10_S11_S12_S16_S17_S18_S1B_S1C_jS1D_jS1E_S1E_jjS1G_bEUljE0_EEESZ_S10_S11_S18_S1C_S1E_T6_T7_T9_mT8_S1G_bDpT10_ENKUlT_T0_E_clISt17integral_constantIbLb0EES1U_EEDaS1P_S1Q_EUlS1P_E_NS1_11comp_targetILNS1_3genE2ELNS1_11target_archE906ELNS1_3gpuE6ELNS1_3repE0EEENS1_30default_config_static_selectorELNS0_4arch9wavefront6targetE1EEEvS12_
; %bb.0:
	s_load_dwordx2 s[0:1], s[4:5], 0x68
	s_load_dwordx4 s[44:47], s[4:5], 0x58
	s_load_dword s8, s[4:5], 0x8
	s_load_dwordx2 s[56:57], s[4:5], 0x10
	s_load_dword s7, s[4:5], 0x80
	s_load_dwordx2 s[58:59], s[4:5], 0xa8
	s_load_dwordx8 s[36:43], s[4:5], 0x88
	s_waitcnt lgkmcnt(0)
	s_load_dwordx4 s[48:51], s[46:47], 0x0
	s_mul_i32 s33, s6, 0xd00
	s_add_i32 s9, s7, -1
	s_mulk_i32 s7, 0xd00
	s_add_u32 s2, s56, s7
	s_addc_u32 s3, s57, 0
	v_mov_b32_e32 v1, s2
	v_mov_b32_e32 v2, s3
	s_cmp_eq_u32 s6, s9
	v_cmp_gt_u64_e32 vcc, s[0:1], v[1:2]
	s_cselect_b64 s[34:35], -1, 0
	s_cmp_lg_u32 s6, s9
	s_cselect_b64 s[2:3], -1, 0
	s_add_i32 s1, s8, s33
	s_or_b64 s[2:3], s[2:3], vcc
	s_add_i32 s1, s1, s56
	s_mov_b64 s[8:9], -1
	s_and_b64 vcc, exec, s[2:3]
	v_add_u32_e32 v1, s1, v0
	s_cbranch_vccz .LBB1265_2
; %bb.1:
	v_add_u32_e32 v2, 0x100, v1
	v_lshlrev_b32_e32 v14, 2, v0
	v_add_u32_e32 v3, 0x200, v1
	v_add_u32_e32 v4, 0x300, v1
	;; [unrolled: 1-line block ×11, first 2 shown]
	ds_write2st64_b32 v14, v1, v2 offset1:4
	ds_write2st64_b32 v14, v3, v4 offset0:8 offset1:12
	ds_write2st64_b32 v14, v5, v6 offset0:16 offset1:20
	;; [unrolled: 1-line block ×5, first 2 shown]
	ds_write_b32 v14, v13 offset:12288
	s_waitcnt lgkmcnt(0)
	s_barrier
	s_mov_b64 s[8:9], 0
.LBB1265_2:
	s_andn2_b64 vcc, exec, s[8:9]
	s_add_i32 s7, s7, s56
	s_cbranch_vccnz .LBB1265_4
; %bb.3:
	v_add_u32_e32 v2, 0x100, v1
	v_lshlrev_b32_e32 v14, 2, v0
	v_add_u32_e32 v3, 0x200, v1
	v_add_u32_e32 v4, 0x300, v1
	;; [unrolled: 1-line block ×11, first 2 shown]
	ds_write2st64_b32 v14, v1, v2 offset1:4
	ds_write2st64_b32 v14, v3, v4 offset0:8 offset1:12
	ds_write2st64_b32 v14, v5, v6 offset0:16 offset1:20
	;; [unrolled: 1-line block ×5, first 2 shown]
	ds_write_b32 v14, v13 offset:12288
	s_waitcnt lgkmcnt(0)
	s_barrier
.LBB1265_4:
	v_mul_u32_u24_e32 v30, 13, v0
	v_lshlrev_b32_e32 v1, 2, v30
	s_load_dwordx4 s[52:55], s[4:5], 0x28
	s_load_dwordx2 s[46:47], s[4:5], 0x38
	s_waitcnt lgkmcnt(0)
	ds_read_b32 v29, v1 offset:48
	ds_read2_b32 v[9:10], v1 offset0:10 offset1:11
	ds_read2_b32 v[11:12], v1 offset0:8 offset1:9
	;; [unrolled: 1-line block ×4, first 2 shown]
	ds_read2_b32 v[19:20], v1 offset1:1
	ds_read2_b32 v[17:18], v1 offset0:2 offset1:3
	v_cndmask_b32_e64 v1, 0, 1, s[2:3]
	s_sub_i32 s7, s0, s7
	v_cmp_ne_u32_e64 s[0:1], 1, v1
	s_andn2_b64 vcc, exec, s[2:3]
	s_waitcnt lgkmcnt(0)
	s_barrier
	s_cbranch_vccnz .LBB1265_32
; %bb.5:
	v_add_u32_e32 v1, s37, v19
	v_add_u32_e32 v2, s39, v19
	v_mul_lo_u32 v1, v1, s36
	v_mul_lo_u32 v2, v2, s38
	s_mov_b64 s[62:63], 0
	s_mov_b64 s[60:61], 0
	v_sub_u32_e32 v1, v1, v2
	v_cmp_lt_u32_e32 vcc, s40, v1
	v_cmp_ge_u32_e64 s[2:3], s40, v1
	s_and_saveexec_b64 s[8:9], s[2:3]
	s_cbranch_execz .LBB1265_7
; %bb.6:
	v_add_u32_e32 v1, s42, v19
	v_add_u32_e32 v2, s58, v19
	v_mul_lo_u32 v1, v1, s41
	v_mul_lo_u32 v2, v2, s43
	v_sub_u32_e32 v1, v1, v2
	v_cmp_lt_u32_e64 s[2:3], s59, v1
	s_and_b64 s[60:61], s[2:3], exec
.LBB1265_7:
	s_or_b64 exec, exec, s[8:9]
	v_add_u32_e32 v1, s37, v20
	v_add_u32_e32 v2, s39, v20
	v_mul_lo_u32 v1, v1, s36
	v_mul_lo_u32 v2, v2, s38
	v_sub_u32_e32 v1, v1, v2
	v_cmp_lt_u32_e64 s[2:3], s40, v1
	v_cmp_ge_u32_e64 s[8:9], s40, v1
	s_and_saveexec_b64 s[10:11], s[8:9]
	s_cbranch_execz .LBB1265_9
; %bb.8:
	v_add_u32_e32 v1, s42, v20
	v_add_u32_e32 v2, s58, v20
	v_mul_lo_u32 v1, v1, s41
	v_mul_lo_u32 v2, v2, s43
	v_sub_u32_e32 v1, v1, v2
	v_cmp_lt_u32_e64 s[8:9], s59, v1
	s_and_b64 s[62:63], s[8:9], exec
.LBB1265_9:
	s_or_b64 exec, exec, s[10:11]
	v_add_u32_e32 v1, s37, v17
	v_add_u32_e32 v2, s39, v17
	v_mul_lo_u32 v1, v1, s36
	v_mul_lo_u32 v2, v2, s38
	s_mov_b64 s[66:67], 0
	s_mov_b64 s[64:65], 0
	v_sub_u32_e32 v1, v1, v2
	v_cmp_lt_u32_e64 s[28:29], s40, v1
	v_cmp_ge_u32_e64 s[8:9], s40, v1
	s_and_saveexec_b64 s[10:11], s[8:9]
	s_cbranch_execz .LBB1265_11
; %bb.10:
	v_add_u32_e32 v1, s42, v17
	v_add_u32_e32 v2, s58, v17
	v_mul_lo_u32 v1, v1, s41
	v_mul_lo_u32 v2, v2, s43
	v_sub_u32_e32 v1, v1, v2
	v_cmp_lt_u32_e64 s[8:9], s59, v1
	s_and_b64 s[64:65], s[8:9], exec
.LBB1265_11:
	s_or_b64 exec, exec, s[10:11]
	v_add_u32_e32 v1, s37, v18
	v_add_u32_e32 v2, s39, v18
	v_mul_lo_u32 v1, v1, s36
	v_mul_lo_u32 v2, v2, s38
	v_sub_u32_e32 v1, v1, v2
	v_cmp_lt_u32_e64 s[8:9], s40, v1
	v_cmp_ge_u32_e64 s[10:11], s40, v1
	s_and_saveexec_b64 s[12:13], s[10:11]
	s_cbranch_execz .LBB1265_13
; %bb.12:
	v_add_u32_e32 v1, s42, v18
	v_add_u32_e32 v2, s58, v18
	v_mul_lo_u32 v1, v1, s41
	v_mul_lo_u32 v2, v2, s43
	v_sub_u32_e32 v1, v1, v2
	v_cmp_lt_u32_e64 s[10:11], s59, v1
	s_and_b64 s[66:67], s[10:11], exec
.LBB1265_13:
	s_or_b64 exec, exec, s[12:13]
	v_add_u32_e32 v1, s37, v15
	v_add_u32_e32 v2, s39, v15
	v_mul_lo_u32 v1, v1, s36
	v_mul_lo_u32 v2, v2, s38
	s_mov_b64 s[70:71], 0
	s_mov_b64 s[68:69], 0
	v_sub_u32_e32 v1, v1, v2
	v_cmp_lt_u32_e64 s[10:11], s40, v1
	;; [unrolled: 40-line block ×6, first 2 shown]
	v_cmp_ge_u32_e64 s[30:31], s40, v1
	s_and_saveexec_b64 s[88:89], s[30:31]
	s_cbranch_execz .LBB1265_31
; %bb.30:
	v_add_u32_e32 v1, s42, v29
	v_add_u32_e32 v2, s58, v29
	v_mul_lo_u32 v1, v1, s41
	v_mul_lo_u32 v2, v2, s43
	v_sub_u32_e32 v1, v1, v2
	v_cmp_lt_u32_e64 s[30:31], s59, v1
	s_and_b64 s[86:87], s[30:31], exec
.LBB1265_31:
	s_or_b64 exec, exec, s[88:89]
	v_cndmask_b32_e64 v2, 0, 1, s[2:3]
	v_cndmask_b32_e64 v1, 0, 1, vcc
	v_cndmask_b32_e64 v4, 0, 1, s[8:9]
	v_lshlrev_b16_e32 v2, 8, v2
	v_cndmask_b32_e64 v3, 0, 1, s[28:29]
	v_or_b32_e32 v1, v1, v2
	v_lshlrev_b16_e32 v2, 8, v4
	v_cndmask_b32_e64 v6, 0, 1, s[12:13]
	v_cndmask_b32_e64 v8, 0, 1, s[16:17]
	v_or_b32_sdwa v2, v3, v2 dst_sel:WORD_1 dst_unused:UNUSED_PAD src0_sel:DWORD src1_sel:DWORD
	v_cndmask_b32_e64 v5, 0, 1, s[10:11]
	v_cndmask_b32_e64 v7, 0, 1, s[14:15]
	v_or_b32_sdwa v31, v1, v2 dst_sel:DWORD dst_unused:UNUSED_PAD src0_sel:WORD_0 src1_sel:DWORD
	v_lshlrev_b16_e32 v1, 8, v6
	v_lshlrev_b16_e32 v2, 8, v8
	v_cndmask_b32_e64 v22, 0, 1, s[20:21]
	v_cndmask_b32_e64 v25, 0, 1, s[24:25]
	v_or_b32_e32 v1, v5, v1
	v_or_b32_sdwa v2, v7, v2 dst_sel:WORD_1 dst_unused:UNUSED_PAD src0_sel:DWORD src1_sel:DWORD
	v_cndmask_b32_e64 v21, 0, 1, s[18:19]
	v_cndmask_b32_e64 v23, 0, 1, s[22:23]
	v_or_b32_sdwa v33, v1, v2 dst_sel:DWORD dst_unused:UNUSED_PAD src0_sel:WORD_0 src1_sel:DWORD
	v_lshlrev_b16_e32 v1, 8, v22
	v_lshlrev_b16_e32 v2, 8, v25
	v_cndmask_b32_e64 v37, 0, 1, s[64:65]
	v_cndmask_b32_e64 v42, 0, 1, s[60:61]
	v_or_b32_e32 v1, v21, v1
	;; [unrolled: 9-line block ×4, first 2 shown]
	v_or_b32_sdwa v2, v34, v2 dst_sel:WORD_1 dst_unused:UNUSED_PAD src0_sel:DWORD src1_sel:DWORD
	v_cndmask_b32_e64 v26, 0, 1, s[78:79]
	v_cndmask_b32_e64 v28, 0, 1, s[74:75]
	v_or_b32_sdwa v32, v1, v2 dst_sel:DWORD dst_unused:UNUSED_PAD src0_sel:WORD_0 src1_sel:DWORD
	v_lshlrev_b16_e32 v1, 8, v27
	v_lshlrev_b16_e32 v2, 8, v24
	v_or_b32_e32 v1, v28, v1
	v_or_b32_sdwa v2, v26, v2 dst_sel:WORD_1 dst_unused:UNUSED_PAD src0_sel:DWORD src1_sel:DWORD
	v_cndmask_b32_e64 v35, 0, 1, s[82:83]
	v_cndmask_b32_e64 v38, 0, 1, s[86:87]
	v_or_b32_sdwa v34, v1, v2 dst_sel:DWORD dst_unused:UNUSED_PAD src0_sel:WORD_0 src1_sel:DWORD
	s_load_dwordx2 s[12:13], s[4:5], 0x78
	s_add_i32 s18, s7, 0xd00
	s_and_b64 vcc, exec, s[80:81]
	s_cbranch_vccnz .LBB1265_33
	s_branch .LBB1265_110
.LBB1265_32:
                                        ; implicit-def: $vgpr38
                                        ; implicit-def: $vgpr35
                                        ; implicit-def: $vgpr34
                                        ; implicit-def: $vgpr32
                                        ; implicit-def: $vgpr37
                                        ; implicit-def: $vgpr36
                                        ; implicit-def: $vgpr33
                                        ; implicit-def: $vgpr31
	s_load_dwordx2 s[12:13], s[4:5], 0x78
	s_add_i32 s18, s7, 0xd00
	s_cbranch_execz .LBB1265_110
.LBB1265_33:
	v_cmp_gt_u32_e32 vcc, s18, v30
	v_mov_b32_e32 v2, 0
	v_mov_b32_e32 v1, 0
	s_and_saveexec_b64 s[4:5], vcc
	s_cbranch_execz .LBB1265_37
; %bb.34:
	v_add_u32_e32 v1, s37, v19
	v_add_u32_e32 v2, s39, v19
	v_mul_lo_u32 v1, v1, s36
	v_mul_lo_u32 v2, v2, s38
	s_mov_b64 s[10:11], 0
	v_sub_u32_e32 v1, v1, v2
	v_cmp_lt_u32_e32 vcc, s40, v1
	v_cmp_ge_u32_e64 s[2:3], s40, v1
	s_and_saveexec_b64 s[8:9], s[2:3]
	s_cbranch_execz .LBB1265_36
; %bb.35:
	v_add_u32_e32 v1, s42, v19
	v_add_u32_e32 v2, s58, v19
	v_mul_lo_u32 v1, v1, s41
	v_mul_lo_u32 v2, v2, s43
	v_sub_u32_e32 v1, v1, v2
	v_cmp_lt_u32_e64 s[2:3], s59, v1
	s_and_b64 s[10:11], s[2:3], exec
.LBB1265_36:
	s_or_b64 exec, exec, s[8:9]
	v_cndmask_b32_e64 v2, 0, 1, s[10:11]
	v_cndmask_b32_e64 v1, 0, 1, vcc
.LBB1265_37:
	s_or_b64 exec, exec, s[4:5]
	v_lshlrev_b16_e32 v7, 8, v2
	v_add_u32_e32 v2, 1, v30
	v_cmp_le_u32_e32 vcc, s18, v2
	v_lshlrev_b16_e64 v4, 8, 0
                                        ; implicit-def: $vgpr3
                                        ; implicit-def: $vgpr5
                                        ; implicit-def: $vgpr6
                                        ; implicit-def: $vgpr2
                                        ; implicit-def: $vgpr8
	s_and_saveexec_b64 s[2:3], vcc
	s_xor_b64 s[2:3], exec, s[2:3]
; %bb.38:
	v_mov_b32_e32 v2, 8
	v_lshrrev_b32_sdwa v3, v2, v7 dst_sel:BYTE_1 dst_unused:UNUSED_PAD src0_sel:DWORD src1_sel:DWORD
	v_and_b32_e32 v8, 0xff, v1
	v_or_b32_sdwa v1, v7, v3 dst_sel:DWORD dst_unused:UNUSED_PAD src0_sel:BYTE_0 src1_sel:DWORD
	v_mov_b32_e32 v5, 0
	v_lshlrev_b16_e64 v4, 8, 0
	v_lshlrev_b16_e64 v2, 8, 0
	v_and_b32_e32 v6, 0xffff, v1
	v_lshlrev_b16_e64 v3, 8, 0
                                        ; implicit-def: $vgpr1
                                        ; implicit-def: $vgpr7
; %bb.39:
	s_andn2_saveexec_b64 s[4:5], s[2:3]
	s_cbranch_execz .LBB1265_43
; %bb.40:
	v_add_u32_e32 v2, s37, v20
	v_add_u32_e32 v3, s39, v20
	v_mul_lo_u32 v2, v2, s36
	v_mul_lo_u32 v3, v3, s38
	s_mov_b64 s[8:9], 0
	v_sub_u32_e32 v2, v2, v3
	v_cmp_lt_u32_e32 vcc, s40, v2
	v_cmp_ge_u32_e64 s[2:3], s40, v2
	s_and_saveexec_b64 s[10:11], s[2:3]
	s_cbranch_execz .LBB1265_42
; %bb.41:
	v_add_u32_e32 v2, s42, v20
	v_add_u32_e32 v3, s58, v20
	v_mul_lo_u32 v2, v2, s41
	v_mul_lo_u32 v3, v3, s43
	v_sub_u32_e32 v2, v2, v3
	v_cmp_lt_u32_e64 s[2:3], s59, v2
	s_and_b64 s[8:9], s[2:3], exec
.LBB1265_42:
	s_or_b64 exec, exec, s[10:11]
	v_cndmask_b32_e64 v3, 0, 1, vcc
	v_lshlrev_b16_e32 v3, 8, v3
	v_or_b32_sdwa v1, v1, v3 dst_sel:DWORD dst_unused:UNUSED_PAD src0_sel:BYTE_0 src1_sel:DWORD
	v_and_b32_e32 v8, 0xffff, v1
	v_mov_b32_e32 v1, 8
	v_lshrrev_b32_sdwa v1, v1, v7 dst_sel:BYTE_1 dst_unused:UNUSED_PAD src0_sel:DWORD src1_sel:DWORD
	v_or_b32_sdwa v1, v7, v1 dst_sel:DWORD dst_unused:UNUSED_PAD src0_sel:BYTE_0 src1_sel:DWORD
	v_and_b32_e32 v1, 0xffff, v1
	v_cndmask_b32_e64 v3, 0, 1, s[8:9]
	v_mov_b32_e32 v2, 0
	v_mov_b32_e32 v5, 0
	v_lshl_or_b32 v6, v3, 16, v1
	v_lshlrev_b16_e64 v3, 8, 0
.LBB1265_43:
	s_or_b64 exec, exec, s[4:5]
	v_add_u32_e32 v1, 2, v30
	v_cmp_le_u32_e32 vcc, s18, v1
	v_lshrrev_b32_e32 v21, 24, v8
                                        ; implicit-def: $vgpr1
                                        ; implicit-def: $vgpr7
	s_and_saveexec_b64 s[2:3], vcc
	s_xor_b64 s[2:3], exec, s[2:3]
	s_cbranch_execz .LBB1265_45
; %bb.44:
	s_mov_b32 s4, 0x40c0100
	v_perm_b32 v7, v21, v8, s4
	v_mov_b32_e32 v8, 8
	v_lshrrev_b32_sdwa v8, v8, v7 dst_sel:BYTE_1 dst_unused:UNUSED_PAD src0_sel:DWORD src1_sel:DWORD
	v_or_b32_sdwa v8, v7, v8 dst_sel:DWORD dst_unused:UNUSED_PAD src0_sel:BYTE_0 src1_sel:DWORD
	v_and_b32_e32 v8, 0xffff, v8
	s_mov_b32 s4, 0xff000000
	v_and_or_b32 v7, v7, s4, v8
	s_mov_b32 s4, 0x3060504
	v_and_b32_e32 v1, 0xff0000, v6
	v_perm_b32 v4, v4, v4, s4
	s_mov_b32 s4, 0x3020504
	v_perm_b32 v1, v6, v1, s4
                                        ; implicit-def: $vgpr8
                                        ; implicit-def: $vgpr21
                                        ; implicit-def: $vgpr6
.LBB1265_45:
	s_andn2_saveexec_b64 s[4:5], s[2:3]
	s_cbranch_execz .LBB1265_49
; %bb.46:
	v_add_u32_e32 v1, s37, v17
	v_add_u32_e32 v7, s39, v17
	v_mul_lo_u32 v1, v1, s36
	v_mul_lo_u32 v7, v7, s38
	s_mov_b64 s[8:9], 0
	v_sub_u32_e32 v1, v1, v7
	v_cmp_lt_u32_e32 vcc, s40, v1
	v_cmp_ge_u32_e64 s[2:3], s40, v1
	s_and_saveexec_b64 s[10:11], s[2:3]
	s_cbranch_execz .LBB1265_48
; %bb.47:
	v_add_u32_e32 v1, s42, v17
	v_add_u32_e32 v7, s58, v17
	v_mul_lo_u32 v1, v1, s41
	v_mul_lo_u32 v7, v7, s43
	v_sub_u32_e32 v1, v1, v7
	v_cmp_lt_u32_e64 s[2:3], s59, v1
	s_and_b64 s[8:9], s[2:3], exec
.LBB1265_48:
	s_or_b64 exec, exec, s[10:11]
	v_mov_b32_e32 v23, 8
	v_lshrrev_b32_sdwa v7, v23, v8 dst_sel:BYTE_1 dst_unused:UNUSED_PAD src0_sel:DWORD src1_sel:DWORD
	v_cndmask_b32_e64 v1, 0, 1, vcc
	v_or_b32_sdwa v7, v8, v7 dst_sel:DWORD dst_unused:UNUSED_PAD src0_sel:BYTE_0 src1_sel:DWORD
	v_lshlrev_b16_e32 v8, 8, v21
	v_or_b32_sdwa v1, v1, v8 dst_sel:WORD_1 dst_unused:UNUSED_PAD src0_sel:DWORD src1_sel:DWORD
	v_cndmask_b32_e64 v22, 0, 1, s[8:9]
	s_movk_i32 s2, 0xff
	v_or_b32_sdwa v7, v7, v1 dst_sel:DWORD dst_unused:UNUSED_PAD src0_sel:WORD_0 src1_sel:DWORD
	v_lshrrev_b32_sdwa v1, v23, v6 dst_sel:BYTE_1 dst_unused:UNUSED_PAD src0_sel:DWORD src1_sel:DWORD
	v_or_b32_sdwa v1, v6, v1 dst_sel:DWORD dst_unused:UNUSED_PAD src0_sel:BYTE_0 src1_sel:DWORD
	v_lshlrev_b16_e32 v8, 8, v22
	v_and_b32_sdwa v6, v6, s2 dst_sel:DWORD dst_unused:UNUSED_PAD src0_sel:WORD_1 src1_sel:DWORD
	v_or_b32_sdwa v6, v6, v8 dst_sel:WORD_1 dst_unused:UNUSED_PAD src0_sel:DWORD src1_sel:DWORD
	v_or_b32_sdwa v1, v1, v6 dst_sel:DWORD dst_unused:UNUSED_PAD src0_sel:WORD_0 src1_sel:DWORD
.LBB1265_49:
	s_or_b64 exec, exec, s[4:5]
	v_add_u32_e32 v6, 3, v30
	v_cmp_le_u32_e32 vcc, s18, v6
	v_lshrrev_b32_e32 v8, 24, v5
                                        ; implicit-def: $vgpr6
                                        ; implicit-def: $vgpr31
	s_and_saveexec_b64 s[2:3], vcc
	s_xor_b64 s[2:3], exec, s[2:3]
	s_cbranch_execz .LBB1265_51
; %bb.50:
	v_and_b32_e32 v6, 0xff0000, v7
	s_mov_b32 s4, 0x3020504
	s_movk_i32 s5, 0xff
	v_perm_b32 v31, v7, v6, s4
	v_lshlrev_b16_e32 v6, 8, v8
	v_and_b32_sdwa v7, v5, s5 dst_sel:DWORD dst_unused:UNUSED_PAD src0_sel:WORD_1 src1_sel:DWORD
	s_mov_b32 s4, 0x3060504
	v_or_b32_sdwa v6, v7, v6 dst_sel:WORD_1 dst_unused:UNUSED_PAD src0_sel:DWORD src1_sel:DWORD
	v_mov_b32_e32 v7, 8
	v_perm_b32 v4, v4, v4, s4
	v_lshrrev_b32_sdwa v6, v7, v5 dst_sel:BYTE_1 dst_unused:UNUSED_PRESERVE src0_sel:DWORD src1_sel:DWORD
	v_perm_b32 v3, v3, v3, s4
                                        ; implicit-def: $vgpr7
                                        ; implicit-def: $vgpr8
                                        ; implicit-def: $vgpr5
.LBB1265_51:
	s_andn2_saveexec_b64 s[4:5], s[2:3]
	s_cbranch_execz .LBB1265_55
; %bb.52:
	v_add_u32_e32 v6, s37, v18
	v_add_u32_e32 v21, s39, v18
	v_mul_lo_u32 v6, v6, s36
	v_mul_lo_u32 v21, v21, s38
	s_mov_b64 s[8:9], 0
	v_sub_u32_e32 v6, v6, v21
	v_cmp_lt_u32_e32 vcc, s40, v6
	v_cmp_ge_u32_e64 s[2:3], s40, v6
	s_and_saveexec_b64 s[10:11], s[2:3]
	s_cbranch_execz .LBB1265_54
; %bb.53:
	v_add_u32_e32 v6, s42, v18
	v_add_u32_e32 v21, s58, v18
	v_mul_lo_u32 v6, v6, s41
	v_mul_lo_u32 v21, v21, s43
	v_sub_u32_e32 v6, v6, v21
	v_cmp_lt_u32_e64 s[2:3], s59, v6
	s_and_b64 s[8:9], s[2:3], exec
.LBB1265_54:
	s_or_b64 exec, exec, s[10:11]
	v_mov_b32_e32 v22, 8
	v_cndmask_b32_e64 v6, 0, 1, vcc
	s_movk_i32 s2, 0xff
	v_lshrrev_b32_sdwa v23, v22, v7 dst_sel:BYTE_1 dst_unused:UNUSED_PAD src0_sel:DWORD src1_sel:DWORD
	v_or_b32_sdwa v23, v7, v23 dst_sel:DWORD dst_unused:UNUSED_PAD src0_sel:BYTE_0 src1_sel:DWORD
	v_lshlrev_b16_e32 v6, 8, v6
	v_and_b32_sdwa v7, v7, s2 dst_sel:DWORD dst_unused:UNUSED_PAD src0_sel:WORD_1 src1_sel:DWORD
	v_or_b32_sdwa v6, v7, v6 dst_sel:WORD_1 dst_unused:UNUSED_PAD src0_sel:DWORD src1_sel:DWORD
	v_cndmask_b32_e64 v21, 0, 1, s[8:9]
	v_or_b32_sdwa v31, v23, v6 dst_sel:DWORD dst_unused:UNUSED_PAD src0_sel:WORD_0 src1_sel:DWORD
	v_lshlrev_b16_e32 v6, 8, v8
	v_and_b32_sdwa v7, v5, s2 dst_sel:DWORD dst_unused:UNUSED_PAD src0_sel:WORD_1 src1_sel:DWORD
	v_lshrrev_b32_sdwa v5, v22, v5 dst_sel:BYTE_1 dst_unused:UNUSED_PAD src0_sel:DWORD src1_sel:DWORD
	v_or_b32_sdwa v6, v7, v6 dst_sel:WORD_1 dst_unused:UNUSED_PAD src0_sel:DWORD src1_sel:DWORD
	v_or_b32_e32 v5, v21, v5
	v_or_b32_sdwa v6, v5, v6 dst_sel:DWORD dst_unused:UNUSED_PAD src0_sel:WORD_0 src1_sel:DWORD
.LBB1265_55:
	s_or_b64 exec, exec, s[4:5]
	v_add_u32_e32 v5, 4, v30
	v_cmp_le_u32_e32 vcc, s18, v5
	v_lshrrev_b32_e32 v21, 24, v4
	v_lshrrev_b32_e32 v8, 24, v6
                                        ; implicit-def: $vgpr7
                                        ; implicit-def: $vgpr5
	s_and_saveexec_b64 s[2:3], vcc
	s_xor_b64 s[2:3], exec, s[2:3]
	s_cbranch_execz .LBB1265_57
; %bb.56:
	s_movk_i32 s4, 0xff
	v_lshlrev_b16_e32 v5, 8, v21
	v_and_b32_sdwa v21, v4, s4 dst_sel:DWORD dst_unused:UNUSED_PAD src0_sel:WORD_1 src1_sel:DWORD
	v_mov_b32_e32 v7, 8
	v_or_b32_sdwa v5, v21, v5 dst_sel:WORD_1 dst_unused:UNUSED_PAD src0_sel:DWORD src1_sel:DWORD
	v_lshrrev_b32_sdwa v5, v7, v4 dst_sel:BYTE_1 dst_unused:UNUSED_PRESERVE src0_sel:DWORD src1_sel:DWORD
	v_lshlrev_b16_e32 v4, 8, v8
	v_and_b32_sdwa v7, v6, s4 dst_sel:DWORD dst_unused:UNUSED_PAD src0_sel:WORD_1 src1_sel:DWORD
	v_or_b32_e32 v4, v7, v4
	s_mov_b32 s4, 0x5040c00
	v_perm_b32 v7, v4, v6, s4
	s_mov_b32 s4, 0x3060504
	v_perm_b32 v3, v3, v3, s4
                                        ; implicit-def: $vgpr21
                                        ; implicit-def: $vgpr4
                                        ; implicit-def: $vgpr6
                                        ; implicit-def: $vgpr8
.LBB1265_57:
	s_andn2_saveexec_b64 s[4:5], s[2:3]
	s_cbranch_execz .LBB1265_61
; %bb.58:
	v_add_u32_e32 v5, s37, v15
	v_add_u32_e32 v7, s39, v15
	v_mul_lo_u32 v5, v5, s36
	v_mul_lo_u32 v7, v7, s38
	s_mov_b64 s[8:9], 0
	v_sub_u32_e32 v5, v5, v7
	v_cmp_lt_u32_e32 vcc, s40, v5
	v_cmp_ge_u32_e64 s[2:3], s40, v5
	s_and_saveexec_b64 s[10:11], s[2:3]
	s_cbranch_execz .LBB1265_60
; %bb.59:
	v_add_u32_e32 v5, s42, v15
	v_add_u32_e32 v7, s58, v15
	v_mul_lo_u32 v5, v5, s41
	v_mul_lo_u32 v7, v7, s43
	v_sub_u32_e32 v5, v5, v7
	v_cmp_lt_u32_e64 s[2:3], s59, v5
	s_and_b64 s[8:9], s[2:3], exec
.LBB1265_60:
	s_or_b64 exec, exec, s[10:11]
	s_movk_i32 s2, 0xff
	v_lshlrev_b16_e32 v21, 8, v21
	v_and_b32_sdwa v22, v4, s2 dst_sel:DWORD dst_unused:UNUSED_PAD src0_sel:WORD_1 src1_sel:DWORD
	v_or_b32_sdwa v21, v22, v21 dst_sel:WORD_1 dst_unused:UNUSED_PAD src0_sel:DWORD src1_sel:DWORD
	v_mov_b32_e32 v22, 8
	v_cndmask_b32_e64 v5, 0, 1, vcc
	v_lshrrev_b32_sdwa v4, v22, v4 dst_sel:BYTE_1 dst_unused:UNUSED_PAD src0_sel:DWORD src1_sel:DWORD
	v_cndmask_b32_e64 v7, 0, 1, s[8:9]
	v_or_b32_e32 v4, v5, v4
	v_or_b32_sdwa v5, v4, v21 dst_sel:DWORD dst_unused:UNUSED_PAD src0_sel:WORD_0 src1_sel:DWORD
	v_lshlrev_b16_e32 v4, 8, v7
	v_or_b32_sdwa v4, v6, v4 dst_sel:DWORD dst_unused:UNUSED_PAD src0_sel:BYTE_0 src1_sel:DWORD
	v_lshlrev_b16_e32 v7, 8, v8
	v_and_b32_sdwa v6, v6, s2 dst_sel:DWORD dst_unused:UNUSED_PAD src0_sel:WORD_1 src1_sel:DWORD
	v_or_b32_sdwa v6, v6, v7 dst_sel:WORD_1 dst_unused:UNUSED_PAD src0_sel:DWORD src1_sel:DWORD
	v_or_b32_sdwa v7, v4, v6 dst_sel:DWORD dst_unused:UNUSED_PAD src0_sel:WORD_0 src1_sel:DWORD
.LBB1265_61:
	s_or_b64 exec, exec, s[4:5]
	v_add_u32_e32 v4, 5, v30
	v_cmp_le_u32_e32 vcc, s18, v4
	v_lshrrev_b32_e32 v8, 24, v7
	v_lshrrev_b32_e32 v21, 24, v5
                                        ; implicit-def: $vgpr4
                                        ; implicit-def: $vgpr6
	s_and_saveexec_b64 s[2:3], vcc
	s_xor_b64 s[2:3], exec, s[2:3]
	s_cbranch_execz .LBB1265_63
; %bb.62:
	s_mov_b32 s4, 0x40c0100
	v_perm_b32 v4, v8, v7, s4
	s_movk_i32 s4, 0xff
	v_lshlrev_b16_e32 v6, 8, v21
	v_and_b32_sdwa v7, v5, s4 dst_sel:DWORD dst_unused:UNUSED_PAD src0_sel:WORD_1 src1_sel:DWORD
	v_or_b32_e32 v6, v7, v6
	s_mov_b32 s4, 0x5040c00
	v_perm_b32 v6, v6, v5, s4
	v_mov_b32_e32 v5, 8
	v_lshrrev_b32_sdwa v5, v5, v4 dst_sel:BYTE_1 dst_unused:UNUSED_PAD src0_sel:DWORD src1_sel:DWORD
	v_or_b32_sdwa v5, v4, v5 dst_sel:DWORD dst_unused:UNUSED_PAD src0_sel:BYTE_0 src1_sel:DWORD
	v_and_b32_e32 v5, 0xffff, v5
	s_mov_b32 s4, 0xff000000
	v_and_or_b32 v4, v4, s4, v5
	s_mov_b32 s4, 0x3060504
	v_perm_b32 v3, v3, v3, s4
                                        ; implicit-def: $vgpr5
                                        ; implicit-def: $vgpr21
                                        ; implicit-def: $vgpr7
                                        ; implicit-def: $vgpr8
.LBB1265_63:
	s_andn2_saveexec_b64 s[4:5], s[2:3]
	s_cbranch_execz .LBB1265_67
; %bb.64:
	v_add_u32_e32 v4, s37, v16
	v_add_u32_e32 v6, s39, v16
	v_mul_lo_u32 v4, v4, s36
	v_mul_lo_u32 v6, v6, s38
	s_mov_b64 s[8:9], 0
	v_sub_u32_e32 v4, v4, v6
	v_cmp_lt_u32_e32 vcc, s40, v4
	v_cmp_ge_u32_e64 s[2:3], s40, v4
	s_and_saveexec_b64 s[10:11], s[2:3]
	s_cbranch_execz .LBB1265_66
; %bb.65:
	v_add_u32_e32 v4, s42, v16
	v_add_u32_e32 v6, s58, v16
	v_mul_lo_u32 v4, v4, s41
	v_mul_lo_u32 v6, v6, s43
	v_sub_u32_e32 v4, v4, v6
	v_cmp_lt_u32_e64 s[2:3], s59, v4
	s_and_b64 s[8:9], s[2:3], exec
.LBB1265_66:
	s_or_b64 exec, exec, s[10:11]
	v_cndmask_b32_e64 v4, 0, 1, vcc
	v_lshlrev_b16_e32 v4, 8, v4
	s_movk_i32 s2, 0xff
	v_or_b32_sdwa v4, v5, v4 dst_sel:DWORD dst_unused:UNUSED_PAD src0_sel:BYTE_0 src1_sel:DWORD
	v_lshlrev_b16_e32 v6, 8, v21
	v_and_b32_sdwa v5, v5, s2 dst_sel:DWORD dst_unused:UNUSED_PAD src0_sel:WORD_1 src1_sel:DWORD
	v_or_b32_sdwa v5, v5, v6 dst_sel:WORD_1 dst_unused:UNUSED_PAD src0_sel:DWORD src1_sel:DWORD
	v_or_b32_sdwa v6, v4, v5 dst_sel:DWORD dst_unused:UNUSED_PAD src0_sel:WORD_0 src1_sel:DWORD
	v_mov_b32_e32 v4, 8
	v_cndmask_b32_e64 v22, 0, 1, s[8:9]
	v_lshrrev_b32_sdwa v4, v4, v7 dst_sel:BYTE_1 dst_unused:UNUSED_PAD src0_sel:DWORD src1_sel:DWORD
	v_lshlrev_b16_e32 v5, 8, v8
	v_or_b32_sdwa v4, v7, v4 dst_sel:DWORD dst_unused:UNUSED_PAD src0_sel:BYTE_0 src1_sel:DWORD
	v_or_b32_sdwa v5, v22, v5 dst_sel:WORD_1 dst_unused:UNUSED_PAD src0_sel:DWORD src1_sel:DWORD
	v_or_b32_sdwa v4, v4, v5 dst_sel:DWORD dst_unused:UNUSED_PAD src0_sel:WORD_0 src1_sel:DWORD
.LBB1265_67:
	s_or_b64 exec, exec, s[4:5]
	v_add_u32_e32 v5, 6, v30
	v_cmp_le_u32_e32 vcc, s18, v5
	v_lshrrev_b32_e32 v7, 24, v6
                                        ; implicit-def: $vgpr32
                                        ; implicit-def: $vgpr5
	s_and_saveexec_b64 s[2:3], vcc
	s_xor_b64 s[2:3], exec, s[2:3]
	s_cbranch_execz .LBB1265_69
; %bb.68:
	s_mov_b32 s4, 0x40c0100
	v_perm_b32 v5, v7, v6, s4
	v_mov_b32_e32 v6, 8
	v_lshrrev_b32_sdwa v6, v6, v5 dst_sel:BYTE_1 dst_unused:UNUSED_PAD src0_sel:DWORD src1_sel:DWORD
	v_or_b32_sdwa v6, v5, v6 dst_sel:DWORD dst_unused:UNUSED_PAD src0_sel:BYTE_0 src1_sel:DWORD
	v_and_b32_e32 v6, 0xffff, v6
	s_mov_b32 s4, 0xff000000
	v_and_b32_e32 v8, 0xff0000, v4
	v_and_or_b32 v5, v5, s4, v6
	s_mov_b32 s4, 0x3020504
	v_perm_b32 v32, v4, v8, s4
	s_mov_b32 s4, 0x3060504
	v_perm_b32 v3, v3, v3, s4
                                        ; implicit-def: $vgpr6
                                        ; implicit-def: $vgpr7
                                        ; implicit-def: $vgpr4
.LBB1265_69:
	s_andn2_saveexec_b64 s[4:5], s[2:3]
	s_cbranch_execz .LBB1265_73
; %bb.70:
	v_add_u32_e32 v5, s37, v13
	v_add_u32_e32 v8, s39, v13
	v_mul_lo_u32 v5, v5, s36
	v_mul_lo_u32 v8, v8, s38
	s_mov_b64 s[8:9], 0
	v_sub_u32_e32 v5, v5, v8
	v_cmp_lt_u32_e32 vcc, s40, v5
	v_cmp_ge_u32_e64 s[2:3], s40, v5
	s_and_saveexec_b64 s[10:11], s[2:3]
	s_cbranch_execz .LBB1265_72
; %bb.71:
	v_add_u32_e32 v5, s42, v13
	v_add_u32_e32 v8, s58, v13
	v_mul_lo_u32 v5, v5, s41
	v_mul_lo_u32 v8, v8, s43
	v_sub_u32_e32 v5, v5, v8
	v_cmp_lt_u32_e64 s[2:3], s59, v5
	s_and_b64 s[8:9], s[2:3], exec
.LBB1265_72:
	s_or_b64 exec, exec, s[10:11]
	v_mov_b32_e32 v21, 8
	v_cndmask_b32_e64 v5, 0, 1, vcc
	v_lshrrev_b32_sdwa v22, v21, v6 dst_sel:BYTE_1 dst_unused:UNUSED_PAD src0_sel:DWORD src1_sel:DWORD
	v_lshlrev_b16_e32 v7, 8, v7
	v_or_b32_sdwa v6, v6, v22 dst_sel:DWORD dst_unused:UNUSED_PAD src0_sel:BYTE_0 src1_sel:DWORD
	v_or_b32_sdwa v5, v5, v7 dst_sel:WORD_1 dst_unused:UNUSED_PAD src0_sel:DWORD src1_sel:DWORD
	v_cndmask_b32_e64 v8, 0, 1, s[8:9]
	s_movk_i32 s2, 0xff
	v_or_b32_sdwa v5, v6, v5 dst_sel:DWORD dst_unused:UNUSED_PAD src0_sel:WORD_0 src1_sel:DWORD
	v_lshrrev_b32_sdwa v6, v21, v4 dst_sel:BYTE_1 dst_unused:UNUSED_PAD src0_sel:DWORD src1_sel:DWORD
	v_or_b32_sdwa v6, v4, v6 dst_sel:DWORD dst_unused:UNUSED_PAD src0_sel:BYTE_0 src1_sel:DWORD
	v_lshlrev_b16_e32 v7, 8, v8
	v_and_b32_sdwa v4, v4, s2 dst_sel:DWORD dst_unused:UNUSED_PAD src0_sel:WORD_1 src1_sel:DWORD
	v_or_b32_sdwa v4, v4, v7 dst_sel:WORD_1 dst_unused:UNUSED_PAD src0_sel:DWORD src1_sel:DWORD
	v_or_b32_sdwa v32, v6, v4 dst_sel:DWORD dst_unused:UNUSED_PAD src0_sel:WORD_0 src1_sel:DWORD
.LBB1265_73:
	s_or_b64 exec, exec, s[4:5]
	v_add_u32_e32 v4, 7, v30
	v_cmp_le_u32_e32 vcc, s18, v4
	v_lshrrev_b32_e32 v6, 24, v3
                                        ; implicit-def: $vgpr4
                                        ; implicit-def: $vgpr33
	s_and_saveexec_b64 s[2:3], vcc
	s_xor_b64 s[2:3], exec, s[2:3]
; %bb.74:
	v_and_b32_e32 v4, 0xff0000, v5
	s_mov_b32 s4, 0x3020504
	v_perm_b32 v33, v5, v4, s4
	s_movk_i32 s4, 0xff
	v_lshlrev_b16_e32 v4, 8, v6
	v_and_b32_sdwa v5, v3, s4 dst_sel:DWORD dst_unused:UNUSED_PAD src0_sel:WORD_1 src1_sel:DWORD
	v_mov_b32_e32 v7, 8
	v_or_b32_sdwa v4, v5, v4 dst_sel:WORD_1 dst_unused:UNUSED_PAD src0_sel:DWORD src1_sel:DWORD
	v_lshrrev_b32_sdwa v4, v7, v3 dst_sel:BYTE_1 dst_unused:UNUSED_PRESERVE src0_sel:DWORD src1_sel:DWORD
                                        ; implicit-def: $vgpr5
                                        ; implicit-def: $vgpr6
                                        ; implicit-def: $vgpr3
; %bb.75:
	s_andn2_saveexec_b64 s[4:5], s[2:3]
	s_cbranch_execz .LBB1265_79
; %bb.76:
	v_add_u32_e32 v4, s37, v14
	v_add_u32_e32 v7, s39, v14
	v_mul_lo_u32 v4, v4, s36
	v_mul_lo_u32 v7, v7, s38
	s_mov_b64 s[8:9], 0
	v_sub_u32_e32 v4, v4, v7
	v_cmp_lt_u32_e32 vcc, s40, v4
	v_cmp_ge_u32_e64 s[2:3], s40, v4
	s_and_saveexec_b64 s[10:11], s[2:3]
	s_cbranch_execz .LBB1265_78
; %bb.77:
	v_add_u32_e32 v4, s42, v14
	v_add_u32_e32 v7, s58, v14
	v_mul_lo_u32 v4, v4, s41
	v_mul_lo_u32 v7, v7, s43
	v_sub_u32_e32 v4, v4, v7
	v_cmp_lt_u32_e64 s[2:3], s59, v4
	s_and_b64 s[8:9], s[2:3], exec
.LBB1265_78:
	s_or_b64 exec, exec, s[10:11]
	v_mov_b32_e32 v8, 8
	v_cndmask_b32_e64 v4, 0, 1, vcc
	s_movk_i32 s2, 0xff
	v_lshrrev_b32_sdwa v21, v8, v5 dst_sel:BYTE_1 dst_unused:UNUSED_PAD src0_sel:DWORD src1_sel:DWORD
	v_or_b32_sdwa v21, v5, v21 dst_sel:DWORD dst_unused:UNUSED_PAD src0_sel:BYTE_0 src1_sel:DWORD
	v_lshlrev_b16_e32 v4, 8, v4
	v_and_b32_sdwa v5, v5, s2 dst_sel:DWORD dst_unused:UNUSED_PAD src0_sel:WORD_1 src1_sel:DWORD
	v_or_b32_sdwa v4, v5, v4 dst_sel:WORD_1 dst_unused:UNUSED_PAD src0_sel:DWORD src1_sel:DWORD
	v_cndmask_b32_e64 v7, 0, 1, s[8:9]
	v_or_b32_sdwa v33, v21, v4 dst_sel:DWORD dst_unused:UNUSED_PAD src0_sel:WORD_0 src1_sel:DWORD
	v_lshlrev_b16_e32 v4, 8, v6
	v_and_b32_sdwa v5, v3, s2 dst_sel:DWORD dst_unused:UNUSED_PAD src0_sel:WORD_1 src1_sel:DWORD
	v_lshrrev_b32_sdwa v3, v8, v3 dst_sel:BYTE_1 dst_unused:UNUSED_PAD src0_sel:DWORD src1_sel:DWORD
	v_or_b32_sdwa v4, v5, v4 dst_sel:WORD_1 dst_unused:UNUSED_PAD src0_sel:DWORD src1_sel:DWORD
	v_or_b32_e32 v3, v7, v3
	v_or_b32_sdwa v4, v3, v4 dst_sel:DWORD dst_unused:UNUSED_PAD src0_sel:WORD_0 src1_sel:DWORD
.LBB1265_79:
	s_or_b64 exec, exec, s[4:5]
	v_add_u32_e32 v3, 8, v30
	v_cmp_le_u32_e32 vcc, s18, v3
	v_lshrrev_b32_e32 v6, 24, v4
	v_lshrrev_b32_e32 v7, 24, v2
                                        ; implicit-def: $vgpr5
                                        ; implicit-def: $vgpr3
	s_and_saveexec_b64 s[2:3], vcc
	s_xor_b64 s[2:3], exec, s[2:3]
	s_cbranch_execz .LBB1265_81
; %bb.80:
	s_movk_i32 s4, 0xff
	v_lshlrev_b16_e32 v3, 8, v7
	v_and_b32_sdwa v5, v2, s4 dst_sel:DWORD dst_unused:UNUSED_PAD src0_sel:WORD_1 src1_sel:DWORD
	v_or_b32_sdwa v3, v5, v3 dst_sel:WORD_1 dst_unused:UNUSED_PAD src0_sel:DWORD src1_sel:DWORD
	v_mov_b32_e32 v5, 8
	v_lshrrev_b32_sdwa v3, v5, v2 dst_sel:BYTE_1 dst_unused:UNUSED_PRESERVE src0_sel:DWORD src1_sel:DWORD
	v_lshlrev_b16_e32 v2, 8, v6
	v_and_b32_sdwa v5, v4, s4 dst_sel:DWORD dst_unused:UNUSED_PAD src0_sel:WORD_1 src1_sel:DWORD
	s_mov_b32 s5, 0x3060504
	v_or_b32_e32 v2, v5, v2
	s_mov_b32 s4, 0x5040c00
	v_perm_b32 v1, v1, v1, s5
	v_perm_b32 v5, v2, v4, s4
                                        ; implicit-def: $vgpr7
                                        ; implicit-def: $vgpr2
                                        ; implicit-def: $vgpr4
                                        ; implicit-def: $vgpr6
.LBB1265_81:
	s_andn2_saveexec_b64 s[4:5], s[2:3]
	s_cbranch_execz .LBB1265_85
; %bb.82:
	v_add_u32_e32 v3, s37, v11
	v_add_u32_e32 v5, s39, v11
	v_mul_lo_u32 v3, v3, s36
	v_mul_lo_u32 v5, v5, s38
	s_mov_b64 s[8:9], 0
	v_sub_u32_e32 v3, v3, v5
	v_cmp_lt_u32_e32 vcc, s40, v3
	v_cmp_ge_u32_e64 s[2:3], s40, v3
	s_and_saveexec_b64 s[10:11], s[2:3]
	s_cbranch_execz .LBB1265_84
; %bb.83:
	v_add_u32_e32 v3, s42, v11
	v_add_u32_e32 v5, s58, v11
	v_mul_lo_u32 v3, v3, s41
	v_mul_lo_u32 v5, v5, s43
	v_sub_u32_e32 v3, v3, v5
	v_cmp_lt_u32_e64 s[2:3], s59, v3
	s_and_b64 s[8:9], s[2:3], exec
.LBB1265_84:
	s_or_b64 exec, exec, s[10:11]
	s_movk_i32 s2, 0xff
	v_lshlrev_b16_e32 v7, 8, v7
	v_and_b32_sdwa v8, v2, s2 dst_sel:DWORD dst_unused:UNUSED_PAD src0_sel:WORD_1 src1_sel:DWORD
	v_or_b32_sdwa v7, v8, v7 dst_sel:WORD_1 dst_unused:UNUSED_PAD src0_sel:DWORD src1_sel:DWORD
	v_mov_b32_e32 v8, 8
	v_cndmask_b32_e64 v3, 0, 1, vcc
	v_lshrrev_b32_sdwa v2, v8, v2 dst_sel:BYTE_1 dst_unused:UNUSED_PAD src0_sel:DWORD src1_sel:DWORD
	v_cndmask_b32_e64 v5, 0, 1, s[8:9]
	v_or_b32_e32 v2, v3, v2
	v_or_b32_sdwa v3, v2, v7 dst_sel:DWORD dst_unused:UNUSED_PAD src0_sel:WORD_0 src1_sel:DWORD
	v_lshlrev_b16_e32 v2, 8, v5
	v_or_b32_sdwa v2, v4, v2 dst_sel:DWORD dst_unused:UNUSED_PAD src0_sel:BYTE_0 src1_sel:DWORD
	v_lshlrev_b16_e32 v5, 8, v6
	v_and_b32_sdwa v4, v4, s2 dst_sel:DWORD dst_unused:UNUSED_PAD src0_sel:WORD_1 src1_sel:DWORD
	v_or_b32_sdwa v4, v4, v5 dst_sel:WORD_1 dst_unused:UNUSED_PAD src0_sel:DWORD src1_sel:DWORD
	v_or_b32_sdwa v5, v2, v4 dst_sel:DWORD dst_unused:UNUSED_PAD src0_sel:WORD_0 src1_sel:DWORD
.LBB1265_85:
	s_or_b64 exec, exec, s[4:5]
	v_add_u32_e32 v2, 9, v30
	v_cmp_le_u32_e32 vcc, s18, v2
	v_lshrrev_b32_e32 v6, 24, v5
	v_lshrrev_b32_e32 v7, 24, v3
                                        ; implicit-def: $vgpr2
                                        ; implicit-def: $vgpr4
	s_and_saveexec_b64 s[2:3], vcc
	s_xor_b64 s[2:3], exec, s[2:3]
	s_cbranch_execz .LBB1265_87
; %bb.86:
	s_mov_b32 s4, 0x40c0100
	v_perm_b32 v2, v6, v5, s4
	v_mov_b32_e32 v4, 8
	s_movk_i32 s4, 0xff
	v_lshrrev_b32_sdwa v5, v4, v2 dst_sel:BYTE_1 dst_unused:UNUSED_PAD src0_sel:DWORD src1_sel:DWORD
	v_lshlrev_b16_e32 v4, 8, v7
	v_and_b32_sdwa v6, v3, s4 dst_sel:DWORD dst_unused:UNUSED_PAD src0_sel:WORD_1 src1_sel:DWORD
	v_or_b32_e32 v4, v6, v4
	s_mov_b32 s4, 0x5040c00
	v_perm_b32 v4, v4, v3, s4
	s_mov_b32 s4, 0x3060504
	v_or_b32_sdwa v3, v2, v5 dst_sel:DWORD dst_unused:UNUSED_PAD src0_sel:BYTE_0 src1_sel:DWORD
	v_perm_b32 v1, v1, v1, s4
	v_and_b32_e32 v3, 0xffff, v3
	s_mov_b32 s4, 0xff000000
	v_and_or_b32 v2, v2, s4, v3
                                        ; implicit-def: $vgpr3
                                        ; implicit-def: $vgpr7
                                        ; implicit-def: $vgpr5
                                        ; implicit-def: $vgpr6
.LBB1265_87:
	s_andn2_saveexec_b64 s[4:5], s[2:3]
	s_cbranch_execz .LBB1265_91
; %bb.88:
	v_add_u32_e32 v2, s37, v12
	v_add_u32_e32 v4, s39, v12
	v_mul_lo_u32 v2, v2, s36
	v_mul_lo_u32 v4, v4, s38
	s_mov_b64 s[8:9], 0
	v_sub_u32_e32 v2, v2, v4
	v_cmp_lt_u32_e32 vcc, s40, v2
	v_cmp_ge_u32_e64 s[2:3], s40, v2
	s_and_saveexec_b64 s[10:11], s[2:3]
	s_cbranch_execz .LBB1265_90
; %bb.89:
	v_add_u32_e32 v2, s42, v12
	v_add_u32_e32 v4, s58, v12
	v_mul_lo_u32 v2, v2, s41
	v_mul_lo_u32 v4, v4, s43
	v_sub_u32_e32 v2, v2, v4
	v_cmp_lt_u32_e64 s[2:3], s59, v2
	s_and_b64 s[8:9], s[2:3], exec
.LBB1265_90:
	s_or_b64 exec, exec, s[10:11]
	v_cndmask_b32_e64 v2, 0, 1, vcc
	v_lshlrev_b16_e32 v2, 8, v2
	s_movk_i32 s2, 0xff
	v_or_b32_sdwa v2, v3, v2 dst_sel:DWORD dst_unused:UNUSED_PAD src0_sel:BYTE_0 src1_sel:DWORD
	v_lshlrev_b16_e32 v4, 8, v7
	v_and_b32_sdwa v3, v3, s2 dst_sel:DWORD dst_unused:UNUSED_PAD src0_sel:WORD_1 src1_sel:DWORD
	v_or_b32_sdwa v3, v3, v4 dst_sel:WORD_1 dst_unused:UNUSED_PAD src0_sel:DWORD src1_sel:DWORD
	v_or_b32_sdwa v4, v2, v3 dst_sel:DWORD dst_unused:UNUSED_PAD src0_sel:WORD_0 src1_sel:DWORD
	v_mov_b32_e32 v2, 8
	v_cndmask_b32_e64 v8, 0, 1, s[8:9]
	v_lshrrev_b32_sdwa v2, v2, v5 dst_sel:BYTE_1 dst_unused:UNUSED_PAD src0_sel:DWORD src1_sel:DWORD
	v_lshlrev_b16_e32 v3, 8, v6
	v_or_b32_sdwa v2, v5, v2 dst_sel:DWORD dst_unused:UNUSED_PAD src0_sel:BYTE_0 src1_sel:DWORD
	v_or_b32_sdwa v3, v8, v3 dst_sel:WORD_1 dst_unused:UNUSED_PAD src0_sel:DWORD src1_sel:DWORD
	v_or_b32_sdwa v2, v2, v3 dst_sel:DWORD dst_unused:UNUSED_PAD src0_sel:WORD_0 src1_sel:DWORD
.LBB1265_91:
	s_or_b64 exec, exec, s[4:5]
	v_add_u32_e32 v3, 10, v30
	v_cmp_le_u32_e32 vcc, s18, v3
	v_lshrrev_b32_e32 v5, 24, v4
                                        ; implicit-def: $vgpr34
                                        ; implicit-def: $vgpr3
	s_and_saveexec_b64 s[2:3], vcc
	s_xor_b64 s[2:3], exec, s[2:3]
	s_cbranch_execz .LBB1265_93
; %bb.92:
	s_mov_b32 s4, 0x40c0100
	v_perm_b32 v3, v5, v4, s4
	v_mov_b32_e32 v4, 8
	v_lshrrev_b32_sdwa v4, v4, v3 dst_sel:BYTE_1 dst_unused:UNUSED_PAD src0_sel:DWORD src1_sel:DWORD
	v_or_b32_sdwa v4, v3, v4 dst_sel:DWORD dst_unused:UNUSED_PAD src0_sel:BYTE_0 src1_sel:DWORD
	v_and_b32_e32 v4, 0xffff, v4
	s_mov_b32 s4, 0xff000000
	v_and_or_b32 v3, v3, s4, v4
	s_mov_b32 s4, 0x3060504
	v_and_b32_e32 v6, 0xff0000, v2
	v_perm_b32 v1, v1, v1, s4
	s_mov_b32 s4, 0x3020504
	v_perm_b32 v34, v2, v6, s4
                                        ; implicit-def: $vgpr4
                                        ; implicit-def: $vgpr5
                                        ; implicit-def: $vgpr2
.LBB1265_93:
	s_andn2_saveexec_b64 s[4:5], s[2:3]
	s_cbranch_execz .LBB1265_97
; %bb.94:
	v_add_u32_e32 v3, s37, v9
	v_add_u32_e32 v6, s39, v9
	v_mul_lo_u32 v3, v3, s36
	v_mul_lo_u32 v6, v6, s38
	s_mov_b64 s[8:9], 0
	v_sub_u32_e32 v3, v3, v6
	v_cmp_lt_u32_e32 vcc, s40, v3
	v_cmp_ge_u32_e64 s[2:3], s40, v3
	s_and_saveexec_b64 s[10:11], s[2:3]
	s_cbranch_execz .LBB1265_96
; %bb.95:
	v_add_u32_e32 v3, s42, v9
	v_add_u32_e32 v6, s58, v9
	v_mul_lo_u32 v3, v3, s41
	v_mul_lo_u32 v6, v6, s43
	v_sub_u32_e32 v3, v3, v6
	v_cmp_lt_u32_e64 s[2:3], s59, v3
	s_and_b64 s[8:9], s[2:3], exec
.LBB1265_96:
	s_or_b64 exec, exec, s[10:11]
	v_mov_b32_e32 v7, 8
	v_cndmask_b32_e64 v3, 0, 1, vcc
	v_lshrrev_b32_sdwa v8, v7, v4 dst_sel:BYTE_1 dst_unused:UNUSED_PAD src0_sel:DWORD src1_sel:DWORD
	v_lshlrev_b16_e32 v5, 8, v5
	v_or_b32_sdwa v4, v4, v8 dst_sel:DWORD dst_unused:UNUSED_PAD src0_sel:BYTE_0 src1_sel:DWORD
	v_or_b32_sdwa v3, v3, v5 dst_sel:WORD_1 dst_unused:UNUSED_PAD src0_sel:DWORD src1_sel:DWORD
	v_cndmask_b32_e64 v6, 0, 1, s[8:9]
	s_movk_i32 s2, 0xff
	v_or_b32_sdwa v3, v4, v3 dst_sel:DWORD dst_unused:UNUSED_PAD src0_sel:WORD_0 src1_sel:DWORD
	v_lshrrev_b32_sdwa v4, v7, v2 dst_sel:BYTE_1 dst_unused:UNUSED_PAD src0_sel:DWORD src1_sel:DWORD
	v_or_b32_sdwa v4, v2, v4 dst_sel:DWORD dst_unused:UNUSED_PAD src0_sel:BYTE_0 src1_sel:DWORD
	v_lshlrev_b16_e32 v5, 8, v6
	v_and_b32_sdwa v2, v2, s2 dst_sel:DWORD dst_unused:UNUSED_PAD src0_sel:WORD_1 src1_sel:DWORD
	v_or_b32_sdwa v2, v2, v5 dst_sel:WORD_1 dst_unused:UNUSED_PAD src0_sel:DWORD src1_sel:DWORD
	v_or_b32_sdwa v34, v4, v2 dst_sel:DWORD dst_unused:UNUSED_PAD src0_sel:WORD_0 src1_sel:DWORD
.LBB1265_97:
	s_or_b64 exec, exec, s[4:5]
	v_add_u32_e32 v2, 11, v30
	v_mov_b32_e32 v35, 0
	v_cmp_le_u32_e32 vcc, s18, v2
                                        ; implicit-def: $vgpr36
	s_and_saveexec_b64 s[2:3], vcc
	s_xor_b64 s[2:3], exec, s[2:3]
; %bb.98:
	v_and_b32_e32 v2, 0xff0000, v3
	s_mov_b32 s4, 0x3020504
	v_perm_b32 v36, v3, v2, s4
	s_mov_b32 s4, 0x3060504
	v_perm_b32 v1, v1, v1, s4
                                        ; implicit-def: $vgpr3
; %bb.99:
	s_andn2_saveexec_b64 s[4:5], s[2:3]
	s_cbranch_execz .LBB1265_103
; %bb.100:
	v_add_u32_e32 v2, s37, v10
	v_add_u32_e32 v4, s39, v10
	v_mul_lo_u32 v2, v2, s36
	v_mul_lo_u32 v4, v4, s38
	s_mov_b64 s[8:9], 0
	v_sub_u32_e32 v2, v2, v4
	v_cmp_lt_u32_e32 vcc, s40, v2
	v_cmp_ge_u32_e64 s[2:3], s40, v2
	s_and_saveexec_b64 s[10:11], s[2:3]
	s_cbranch_execz .LBB1265_102
; %bb.101:
	v_add_u32_e32 v2, s42, v10
	v_add_u32_e32 v4, s58, v10
	v_mul_lo_u32 v2, v2, s41
	v_mul_lo_u32 v4, v4, s43
	v_sub_u32_e32 v2, v2, v4
	v_cmp_lt_u32_e64 s[2:3], s59, v2
	s_and_b64 s[8:9], s[2:3], exec
.LBB1265_102:
	s_or_b64 exec, exec, s[10:11]
	v_mov_b32_e32 v4, 8
	v_cndmask_b32_e64 v2, 0, 1, vcc
	s_movk_i32 s2, 0xff
	v_lshrrev_b32_sdwa v4, v4, v3 dst_sel:BYTE_1 dst_unused:UNUSED_PAD src0_sel:DWORD src1_sel:DWORD
	v_or_b32_sdwa v4, v3, v4 dst_sel:DWORD dst_unused:UNUSED_PAD src0_sel:BYTE_0 src1_sel:DWORD
	v_lshlrev_b16_e32 v2, 8, v2
	v_and_b32_sdwa v3, v3, s2 dst_sel:DWORD dst_unused:UNUSED_PAD src0_sel:WORD_1 src1_sel:DWORD
	v_or_b32_sdwa v2, v3, v2 dst_sel:WORD_1 dst_unused:UNUSED_PAD src0_sel:DWORD src1_sel:DWORD
	v_cndmask_b32_e64 v35, 0, 1, s[8:9]
	v_or_b32_sdwa v36, v4, v2 dst_sel:DWORD dst_unused:UNUSED_PAD src0_sel:WORD_0 src1_sel:DWORD
.LBB1265_103:
	s_or_b64 exec, exec, s[4:5]
	v_add_u32_e32 v2, 12, v30
	v_cmp_le_u32_e32 vcc, s18, v2
	v_lshrrev_b32_e32 v2, 24, v1
                                        ; implicit-def: $vgpr37
	s_and_saveexec_b64 s[2:3], vcc
	s_xor_b64 s[2:3], exec, s[2:3]
; %bb.104:
	s_movk_i32 s4, 0xff
	v_lshlrev_b16_e32 v2, 8, v2
	v_and_b32_sdwa v4, v1, s4 dst_sel:DWORD dst_unused:UNUSED_PAD src0_sel:WORD_1 src1_sel:DWORD
	v_mov_b32_e32 v3, 8
	v_or_b32_sdwa v37, v4, v2 dst_sel:WORD_1 dst_unused:UNUSED_PAD src0_sel:DWORD src1_sel:DWORD
	v_lshrrev_b32_sdwa v37, v3, v1 dst_sel:BYTE_1 dst_unused:UNUSED_PRESERVE src0_sel:DWORD src1_sel:DWORD
                                        ; implicit-def: $vgpr2
                                        ; implicit-def: $vgpr1
; %bb.105:
	s_or_saveexec_b64 s[4:5], s[2:3]
	v_mov_b32_e32 v38, 0
	s_xor_b64 exec, exec, s[4:5]
	s_cbranch_execz .LBB1265_109
; %bb.106:
	v_add_u32_e32 v3, s37, v29
	v_add_u32_e32 v4, s39, v29
	v_mul_lo_u32 v3, v3, s36
	v_mul_lo_u32 v4, v4, s38
	s_mov_b64 s[8:9], 0
	v_sub_u32_e32 v3, v3, v4
	v_cmp_lt_u32_e32 vcc, s40, v3
	v_cmp_ge_u32_e64 s[2:3], s40, v3
	s_and_saveexec_b64 s[10:11], s[2:3]
	s_cbranch_execz .LBB1265_108
; %bb.107:
	v_add_u32_e32 v3, s42, v29
	v_add_u32_e32 v4, s58, v29
	v_mul_lo_u32 v3, v3, s41
	v_mul_lo_u32 v4, v4, s43
	v_sub_u32_e32 v3, v3, v4
	v_cmp_lt_u32_e64 s[2:3], s59, v3
	s_and_b64 s[8:9], s[2:3], exec
.LBB1265_108:
	s_or_b64 exec, exec, s[10:11]
	s_movk_i32 s2, 0xff
	v_lshlrev_b16_e32 v2, 8, v2
	v_and_b32_sdwa v4, v1, s2 dst_sel:DWORD dst_unused:UNUSED_PAD src0_sel:WORD_1 src1_sel:DWORD
	v_or_b32_sdwa v2, v4, v2 dst_sel:WORD_1 dst_unused:UNUSED_PAD src0_sel:DWORD src1_sel:DWORD
	v_mov_b32_e32 v4, 8
	v_cndmask_b32_e64 v3, 0, 1, vcc
	v_lshrrev_b32_sdwa v1, v4, v1 dst_sel:BYTE_1 dst_unused:UNUSED_PAD src0_sel:DWORD src1_sel:DWORD
	v_or_b32_e32 v1, v3, v1
	v_cndmask_b32_e64 v38, 0, 1, s[8:9]
	v_or_b32_sdwa v37, v1, v2 dst_sel:DWORD dst_unused:UNUSED_PAD src0_sel:WORD_0 src1_sel:DWORD
.LBB1265_109:
	s_or_b64 exec, exec, s[4:5]
.LBB1265_110:
	v_and_b32_e32 v48, 0xff, v31
	v_bfe_u32 v45, v31, 8, 8
	v_bfe_u32 v50, v31, 16, 8
	v_lshrrev_b32_e32 v43, 24, v31
	v_and_b32_e32 v51, 0xff, v33
	v_add3_u32 v4, v45, v48, v50
	v_bfe_u32 v46, v33, 8, 8
	v_bfe_u32 v53, v33, 16, 8
	v_add3_u32 v4, v4, v43, v51
	v_bfe_u32 v49, v37, 8, 8
	v_bfe_u32 v57, v37, 16, 8
	v_lshrrev_b32_e32 v44, 24, v37
	v_lshrrev_b32_e32 v41, 24, v33
	v_and_b32_e32 v54, 0xff, v36
	v_add3_u32 v4, v4, v46, v53
	v_and_b32_e32 v58, 0xff, v32
	v_bfe_u32 v52, v32, 8, 8
	v_bfe_u32 v47, v36, 8, 8
	;; [unrolled: 1-line block ×3, first 2 shown]
	v_add3_u32 v3, v57, v49, v44
	v_add3_u32 v4, v4, v41, v54
	v_bfe_u32 v59, v32, 16, 8
	v_lshrrev_b32_e32 v42, 24, v32
	v_lshrrev_b32_e32 v39, 24, v36
	v_and_b32_e32 v1, 0xff, v37
	v_add3_u32 v3, v3, v58, v52
	v_add3_u32 v4, v4, v47, v56
	v_and_b32_e32 v60, 0xff, v34
	v_bfe_u32 v55, v34, 8, 8
	v_add3_u32 v3, v3, v59, v42
	v_add3_u32 v68, v4, v39, v1
	v_mbcnt_lo_u32_b32 v1, -1, 0
	v_bfe_u32 v61, v34, 16, 8
	v_lshrrev_b32_e32 v40, 24, v34
	v_add3_u32 v3, v3, v60, v55
	v_mbcnt_hi_u32_b32 v63, -1, v1
	v_and_b32_e32 v62, 0xff, v35
	v_and_b32_e32 v2, 0xff, v38
	v_add3_u32 v3, v3, v61, v40
	v_and_b32_e32 v67, 15, v63
	s_cmp_lg_u32 s6, 0
	v_add3_u32 v69, v3, v62, v2
	v_cmp_eq_u32_e64 s[4:5], 0, v67
	v_cmp_lt_u32_e64 s[2:3], 1, v67
	v_cmp_lt_u32_e64 s[8:9], 3, v67
	;; [unrolled: 1-line block ×3, first 2 shown]
	v_and_b32_e32 v66, 16, v63
	v_cmp_lt_u32_e32 vcc, 31, v63
	v_lshrrev_b32_e32 v64, 6, v0
	v_or_b32_e32 v65, 63, v0
	s_cbranch_scc0 .LBB1265_132
; %bb.111:
	v_mov_b32_dpp v1, v68 row_shr:1 row_mask:0xf bank_mask:0xf
	v_mov_b32_dpp v2, v69 row_shr:1 row_mask:0xf bank_mask:0xf
	v_add_u32_e32 v1, v1, v68
	v_add_u32_e32 v2, v2, v69
	v_cndmask_b32_e64 v2, v2, v69, s[4:5]
	v_cndmask_b32_e64 v1, v1, v68, s[4:5]
	s_nop 0
	v_mov_b32_dpp v4, v2 row_shr:2 row_mask:0xf bank_mask:0xf
	v_mov_b32_dpp v3, v1 row_shr:2 row_mask:0xf bank_mask:0xf
	v_add_u32_e32 v3, v1, v3
	v_add_u32_e32 v4, v2, v4
	v_cndmask_b32_e64 v2, v2, v4, s[2:3]
	v_cndmask_b32_e64 v1, v1, v3, s[2:3]
	s_nop 0
	v_mov_b32_dpp v4, v2 row_shr:4 row_mask:0xf bank_mask:0xf
	v_mov_b32_dpp v3, v1 row_shr:4 row_mask:0xf bank_mask:0xf
	v_add_u32_e32 v3, v1, v3
	v_add_u32_e32 v4, v2, v4
	v_cndmask_b32_e64 v2, v2, v4, s[8:9]
	v_cndmask_b32_e64 v1, v1, v3, s[8:9]
	v_cmp_eq_u32_e64 s[8:9], 0, v66
	v_mov_b32_dpp v4, v2 row_shr:8 row_mask:0xf bank_mask:0xf
	v_mov_b32_dpp v3, v1 row_shr:8 row_mask:0xf bank_mask:0xf
	v_add_u32_e32 v3, v1, v3
	v_add_u32_e32 v4, v2, v4
	v_cndmask_b32_e64 v2, v2, v4, s[10:11]
	v_cndmask_b32_e64 v3, v1, v3, s[10:11]
	s_nop 0
	v_mov_b32_dpp v4, v2 row_bcast:15 row_mask:0xf bank_mask:0xf
	v_mov_b32_dpp v1, v3 row_bcast:15 row_mask:0xf bank_mask:0xf
	v_add_u32_e32 v5, v3, v1
	v_add_u32_e32 v1, v2, v4
	v_cndmask_b32_e64 v1, v1, v2, s[8:9]
	v_cndmask_b32_e64 v2, v5, v3, s[8:9]
	v_cmp_eq_u32_e64 s[8:9], v0, v65
	v_mov_b32_dpp v3, v1 row_bcast:31 row_mask:0xf bank_mask:0xf
	v_mov_b32_dpp v4, v2 row_bcast:31 row_mask:0xf bank_mask:0xf
	v_add_u32_e32 v3, v1, v3
	v_add_u32_e32 v4, v2, v4
	s_and_saveexec_b64 s[10:11], s[8:9]
; %bb.112:
	v_lshlrev_b32_e32 v7, 3, v64
	v_cndmask_b32_e32 v6, v1, v3, vcc
	v_cndmask_b32_e32 v5, v2, v4, vcc
	ds_write_b64 v7, v[5:6]
; %bb.113:
	s_or_b64 exec, exec, s[10:11]
	v_cmp_gt_u32_e64 s[8:9], 4, v0
	s_waitcnt lgkmcnt(0)
	s_barrier
	s_and_saveexec_b64 s[10:11], s[8:9]
	s_cbranch_execz .LBB1265_115
; %bb.114:
	v_lshlrev_b32_e32 v7, 3, v0
	ds_read_b64 v[5:6], v7
	v_and_b32_e32 v8, 3, v63
	v_cmp_eq_u32_e64 s[8:9], 0, v8
	s_waitcnt lgkmcnt(0)
	v_mov_b32_dpp v21, v5 row_shr:1 row_mask:0xf bank_mask:0xf
	v_mov_b32_dpp v22, v6 row_shr:1 row_mask:0xf bank_mask:0xf
	v_add_u32_e32 v21, v21, v5
	v_add_u32_e32 v22, v22, v6
	v_cndmask_b32_e64 v6, v22, v6, s[8:9]
	v_cndmask_b32_e64 v5, v21, v5, s[8:9]
	v_cmp_lt_u32_e64 s[8:9], 1, v8
	v_mov_b32_dpp v22, v6 row_shr:2 row_mask:0xf bank_mask:0xf
	v_mov_b32_dpp v21, v5 row_shr:2 row_mask:0xf bank_mask:0xf
	v_cndmask_b32_e64 v8, 0, v21, s[8:9]
	v_cndmask_b32_e64 v21, 0, v22, s[8:9]
	v_add_u32_e32 v6, v21, v6
	v_add_u32_e32 v5, v8, v5
	ds_write_b64 v7, v[5:6]
.LBB1265_115:
	s_or_b64 exec, exec, s[10:11]
	v_cndmask_b32_e32 v1, v1, v3, vcc
	v_cndmask_b32_e32 v2, v2, v4, vcc
	v_cmp_gt_u32_e32 vcc, 64, v0
	v_cmp_lt_u32_e64 s[8:9], 63, v0
	s_waitcnt lgkmcnt(0)
	s_barrier
                                        ; implicit-def: $vgpr21
	s_and_saveexec_b64 s[10:11], s[8:9]
	s_cbranch_execz .LBB1265_117
; %bb.116:
	v_lshl_add_u32 v3, v64, 3, -8
	ds_read_b64 v[21:22], v3
	s_waitcnt lgkmcnt(0)
	v_add_u32_e32 v1, v22, v1
	v_add_u32_e32 v2, v21, v2
.LBB1265_117:
	s_or_b64 exec, exec, s[10:11]
	v_subrev_co_u32_e64 v3, s[8:9], 1, v63
	v_and_b32_e32 v4, 64, v63
	v_cmp_lt_i32_e64 s[10:11], v3, v4
	v_cndmask_b32_e64 v3, v3, v63, s[10:11]
	v_lshlrev_b32_e32 v3, 2, v3
	ds_bpermute_b32 v70, v3, v2
	ds_bpermute_b32 v71, v3, v1
	s_and_saveexec_b64 s[10:11], vcc
	s_cbranch_execz .LBB1265_137
; %bb.118:
	v_mov_b32_e32 v4, 0
	ds_read_b64 v[1:2], v4 offset:24
	s_and_saveexec_b64 s[14:15], s[8:9]
	s_cbranch_execz .LBB1265_120
; %bb.119:
	s_add_i32 s16, s6, 64
	s_mov_b32 s17, 0
	s_lshl_b64 s[16:17], s[16:17], 4
	s_add_u32 s16, s12, s16
	s_addc_u32 s17, s13, s17
	v_mov_b32_e32 v5, s16
	v_mov_b32_e32 v3, 1
	;; [unrolled: 1-line block ×3, first 2 shown]
	s_waitcnt lgkmcnt(0)
	;;#ASMSTART
	global_store_dwordx4 v[5:6], v[1:4] off	
s_waitcnt vmcnt(0)
	;;#ASMEND
.LBB1265_120:
	s_or_b64 exec, exec, s[14:15]
	v_xad_u32 v23, v63, -1, s6
	v_add_u32_e32 v3, 64, v23
	v_lshlrev_b64 v[5:6], 4, v[3:4]
	v_mov_b32_e32 v3, s13
	v_add_co_u32_e32 v24, vcc, s12, v5
	v_addc_co_u32_e32 v25, vcc, v3, v6, vcc
	;;#ASMSTART
	global_load_dwordx4 v[5:8], v[24:25] off glc	
s_waitcnt vmcnt(0)
	;;#ASMEND
	v_cmp_eq_u16_sdwa s[16:17], v7, v4 src0_sel:BYTE_0 src1_sel:DWORD
	s_and_saveexec_b64 s[14:15], s[16:17]
	s_cbranch_execz .LBB1265_124
; %bb.121:
	s_mov_b64 s[16:17], 0
	v_mov_b32_e32 v3, 0
.LBB1265_122:                           ; =>This Inner Loop Header: Depth=1
	;;#ASMSTART
	global_load_dwordx4 v[5:8], v[24:25] off glc	
s_waitcnt vmcnt(0)
	;;#ASMEND
	v_cmp_ne_u16_sdwa s[20:21], v7, v3 src0_sel:BYTE_0 src1_sel:DWORD
	s_or_b64 s[16:17], s[20:21], s[16:17]
	s_andn2_b64 exec, exec, s[16:17]
	s_cbranch_execnz .LBB1265_122
; %bb.123:
	s_or_b64 exec, exec, s[16:17]
.LBB1265_124:
	s_or_b64 exec, exec, s[14:15]
	v_and_b32_e32 v73, 63, v63
	v_cmp_ne_u32_e32 vcc, 63, v73
	v_mov_b32_e32 v72, 2
	v_lshlrev_b64 v[25:26], v63, -1
	v_addc_co_u32_e32 v8, vcc, 0, v63, vcc
	v_cmp_eq_u16_sdwa s[14:15], v7, v72 src0_sel:BYTE_0 src1_sel:DWORD
	v_lshlrev_b32_e32 v74, 2, v8
	v_and_b32_e32 v3, s15, v26
	ds_bpermute_b32 v8, v74, v5
	ds_bpermute_b32 v24, v74, v6
	v_or_b32_e32 v3, 0x80000000, v3
	v_and_b32_e32 v4, s14, v25
	v_ffbl_b32_e32 v3, v3
	v_add_u32_e32 v3, 32, v3
	v_ffbl_b32_e32 v4, v4
	v_min_u32_e32 v3, v4, v3
	s_waitcnt lgkmcnt(1)
	v_add_u32_e32 v4, v8, v5
	s_waitcnt lgkmcnt(0)
	v_add_u32_e32 v8, v24, v6
	v_cmp_lt_u32_e32 vcc, v73, v3
	v_cndmask_b32_e32 v6, v6, v8, vcc
	v_cndmask_b32_e32 v4, v5, v4, vcc
	v_cmp_gt_u32_e32 vcc, 62, v73
	v_cndmask_b32_e64 v5, 0, 2, vcc
	v_add_lshl_u32 v75, v5, v63, 2
	ds_bpermute_b32 v5, v75, v4
	ds_bpermute_b32 v8, v75, v6
	v_add_u32_e32 v76, 2, v73
	v_cmp_gt_u32_e32 vcc, v76, v3
	v_add_u32_e32 v78, 4, v73
	s_waitcnt lgkmcnt(1)
	v_add_u32_e32 v5, v4, v5
	s_waitcnt lgkmcnt(0)
	v_add_u32_e32 v8, v6, v8
	v_cndmask_b32_e32 v6, v8, v6, vcc
	v_cndmask_b32_e32 v4, v5, v4, vcc
	v_cmp_gt_u32_e32 vcc, 60, v73
	v_cndmask_b32_e64 v5, 0, 4, vcc
	v_add_lshl_u32 v77, v5, v63, 2
	ds_bpermute_b32 v5, v77, v4
	ds_bpermute_b32 v8, v77, v6
	v_cmp_gt_u32_e32 vcc, v78, v3
	v_add_u32_e32 v80, 8, v73
	v_add_u32_e32 v82, 16, v73
	s_waitcnt lgkmcnt(1)
	v_add_u32_e32 v5, v4, v5
	s_waitcnt lgkmcnt(0)
	v_add_u32_e32 v8, v6, v8
	v_cndmask_b32_e32 v6, v8, v6, vcc
	v_cndmask_b32_e32 v4, v5, v4, vcc
	v_cmp_gt_u32_e32 vcc, 56, v73
	v_cndmask_b32_e64 v5, 0, 8, vcc
	v_add_lshl_u32 v79, v5, v63, 2
	ds_bpermute_b32 v5, v79, v4
	ds_bpermute_b32 v8, v79, v6
	v_cmp_gt_u32_e32 vcc, v80, v3
	v_add_u32_e32 v84, 32, v73
	v_mov_b32_e32 v24, 0
	s_waitcnt lgkmcnt(1)
	v_add_u32_e32 v5, v4, v5
	s_waitcnt lgkmcnt(0)
	v_add_u32_e32 v8, v6, v8
	v_cndmask_b32_e32 v6, v8, v6, vcc
	v_cndmask_b32_e32 v4, v5, v4, vcc
	v_cmp_gt_u32_e32 vcc, 48, v73
	v_cndmask_b32_e64 v5, 0, 16, vcc
	v_add_lshl_u32 v81, v5, v63, 2
	ds_bpermute_b32 v5, v81, v4
	ds_bpermute_b32 v8, v81, v6
	v_cmp_gt_u32_e32 vcc, v82, v3
	s_waitcnt lgkmcnt(1)
	v_add_u32_e32 v5, v4, v5
	s_waitcnt lgkmcnt(0)
	v_add_u32_e32 v8, v6, v8
	v_cndmask_b32_e32 v4, v5, v4, vcc
	v_mov_b32_e32 v5, 0x80
	v_cndmask_b32_e32 v6, v8, v6, vcc
	v_lshl_or_b32 v83, v63, 2, v5
	ds_bpermute_b32 v5, v83, v4
	ds_bpermute_b32 v8, v83, v6
	v_cmp_le_u32_e32 vcc, v84, v3
	s_waitcnt lgkmcnt(1)
	v_cndmask_b32_e32 v3, 0, v5, vcc
	s_waitcnt lgkmcnt(0)
	v_cndmask_b32_e32 v5, 0, v8, vcc
	v_add_u32_e32 v6, v6, v5
	v_add_u32_e32 v5, v4, v3
	s_branch .LBB1265_128
.LBB1265_125:                           ;   in Loop: Header=BB1265_128 Depth=1
	s_or_b64 exec, exec, s[16:17]
.LBB1265_126:                           ;   in Loop: Header=BB1265_128 Depth=1
	s_or_b64 exec, exec, s[14:15]
	v_cmp_eq_u16_sdwa s[14:15], v7, v72 src0_sel:BYTE_0 src1_sel:DWORD
	v_and_b32_e32 v8, s15, v26
	ds_bpermute_b32 v28, v74, v5
	ds_bpermute_b32 v85, v74, v6
	v_or_b32_e32 v8, 0x80000000, v8
	v_and_b32_e32 v27, s14, v25
	v_ffbl_b32_e32 v8, v8
	v_add_u32_e32 v8, 32, v8
	v_ffbl_b32_e32 v27, v27
	v_min_u32_e32 v8, v27, v8
	s_waitcnt lgkmcnt(1)
	v_add_u32_e32 v27, v28, v5
	s_waitcnt lgkmcnt(0)
	v_add_u32_e32 v28, v85, v6
	v_cmp_lt_u32_e32 vcc, v73, v8
	v_cndmask_b32_e32 v6, v6, v28, vcc
	v_cndmask_b32_e32 v5, v5, v27, vcc
	ds_bpermute_b32 v27, v75, v5
	ds_bpermute_b32 v28, v75, v6
	v_cmp_gt_u32_e32 vcc, v76, v8
	v_subrev_u32_e32 v23, 64, v23
	s_mov_b64 s[14:15], 0
	s_waitcnt lgkmcnt(1)
	v_add_u32_e32 v27, v5, v27
	s_waitcnt lgkmcnt(0)
	v_add_u32_e32 v28, v6, v28
	v_cndmask_b32_e32 v6, v28, v6, vcc
	v_cndmask_b32_e32 v5, v27, v5, vcc
	ds_bpermute_b32 v27, v77, v5
	ds_bpermute_b32 v28, v77, v6
	v_cmp_gt_u32_e32 vcc, v78, v8
	s_waitcnt lgkmcnt(1)
	v_add_u32_e32 v27, v5, v27
	s_waitcnt lgkmcnt(0)
	v_add_u32_e32 v28, v6, v28
	v_cndmask_b32_e32 v6, v28, v6, vcc
	v_cndmask_b32_e32 v5, v27, v5, vcc
	ds_bpermute_b32 v27, v79, v5
	ds_bpermute_b32 v28, v79, v6
	v_cmp_gt_u32_e32 vcc, v80, v8
	;; [unrolled: 9-line block ×3, first 2 shown]
	s_waitcnt lgkmcnt(1)
	v_add_u32_e32 v27, v5, v27
	s_waitcnt lgkmcnt(0)
	v_add_u32_e32 v28, v6, v28
	v_cndmask_b32_e32 v6, v28, v6, vcc
	v_cndmask_b32_e32 v5, v27, v5, vcc
	ds_bpermute_b32 v27, v83, v5
	ds_bpermute_b32 v28, v83, v6
	v_cmp_le_u32_e32 vcc, v84, v8
	s_waitcnt lgkmcnt(1)
	v_cndmask_b32_e32 v8, 0, v27, vcc
	s_waitcnt lgkmcnt(0)
	v_cndmask_b32_e32 v27, 0, v28, vcc
	v_add3_u32 v6, v27, v4, v6
	v_add3_u32 v5, v8, v3, v5
.LBB1265_127:                           ;   in Loop: Header=BB1265_128 Depth=1
	s_and_b64 vcc, exec, s[14:15]
	s_cbranch_vccnz .LBB1265_133
.LBB1265_128:                           ; =>This Loop Header: Depth=1
                                        ;     Child Loop BB1265_131 Depth 2
	v_mov_b32_e32 v3, v5
	v_cmp_ne_u16_sdwa s[14:15], v7, v72 src0_sel:BYTE_0 src1_sel:DWORD
	v_mov_b32_e32 v4, v6
	s_cmp_lg_u64 s[14:15], exec
	s_mov_b64 s[14:15], -1
                                        ; implicit-def: $vgpr7
                                        ; implicit-def: $vgpr5_vgpr6
	s_cbranch_scc1 .LBB1265_127
; %bb.129:                              ;   in Loop: Header=BB1265_128 Depth=1
	v_lshlrev_b64 v[5:6], 4, v[23:24]
	v_mov_b32_e32 v7, s13
	v_add_co_u32_e32 v27, vcc, s12, v5
	v_addc_co_u32_e32 v28, vcc, v7, v6, vcc
	;;#ASMSTART
	global_load_dwordx4 v[5:8], v[27:28] off glc	
s_waitcnt vmcnt(0)
	;;#ASMEND
	v_cmp_eq_u16_sdwa s[16:17], v7, v24 src0_sel:BYTE_0 src1_sel:DWORD
	s_and_saveexec_b64 s[14:15], s[16:17]
	s_cbranch_execz .LBB1265_126
; %bb.130:                              ;   in Loop: Header=BB1265_128 Depth=1
	s_mov_b64 s[16:17], 0
.LBB1265_131:                           ;   Parent Loop BB1265_128 Depth=1
                                        ; =>  This Inner Loop Header: Depth=2
	;;#ASMSTART
	global_load_dwordx4 v[5:8], v[27:28] off glc	
s_waitcnt vmcnt(0)
	;;#ASMEND
	v_cmp_ne_u16_sdwa s[20:21], v7, v24 src0_sel:BYTE_0 src1_sel:DWORD
	s_or_b64 s[16:17], s[20:21], s[16:17]
	s_andn2_b64 exec, exec, s[16:17]
	s_cbranch_execnz .LBB1265_131
	s_branch .LBB1265_125
.LBB1265_132:
                                        ; implicit-def: $vgpr22
                                        ; implicit-def: $vgpr3
                                        ; implicit-def: $vgpr23
	s_cbranch_execnz .LBB1265_138
	s_branch .LBB1265_147
.LBB1265_133:
	s_and_saveexec_b64 s[14:15], s[8:9]
	s_cbranch_execnz .LBB1265_375
; %bb.134:
	s_or_b64 exec, exec, s[14:15]
	s_and_saveexec_b64 s[6:7], s[8:9]
	s_cbranch_execnz .LBB1265_376
.LBB1265_135:
	s_or_b64 exec, exec, s[6:7]
	v_cmp_eq_u32_e32 vcc, 0, v0
	s_and_b64 exec, exec, vcc
.LBB1265_136:
	v_mov_b32_e32 v1, 0
	ds_write_b64 v1, v[3:4] offset:24
.LBB1265_137:
	s_or_b64 exec, exec, s[10:11]
	v_mov_b32_e32 v1, 0
	s_waitcnt lgkmcnt(0)
	s_barrier
	ds_read_b64 v[5:6], v1 offset:24
	v_cndmask_b32_e64 v2, v71, v22, s[8:9]
	v_cndmask_b32_e64 v3, v70, v21, s[8:9]
	s_waitcnt lgkmcnt(0)
	s_barrier
	v_add_u32_e32 v7, v5, v3
	v_add_u32_e32 v8, v6, v2
	ds_read_b128 v[1:4], v1 offset:13312
	v_cmp_eq_u32_e32 vcc, 0, v0
	v_cndmask_b32_e32 v22, v8, v6, vcc
	v_cndmask_b32_e32 v23, v7, v5, vcc
	s_branch .LBB1265_147
.LBB1265_138:
	s_waitcnt lgkmcnt(0)
	v_mov_b32_dpp v1, v68 row_shr:1 row_mask:0xf bank_mask:0xf
	v_mov_b32_dpp v2, v69 row_shr:1 row_mask:0xf bank_mask:0xf
	v_add_u32_e32 v1, v1, v68
	v_add_u32_e32 v2, v2, v69
	v_cndmask_b32_e64 v2, v2, v69, s[4:5]
	v_cndmask_b32_e64 v1, v1, v68, s[4:5]
	v_cmp_lt_u32_e32 vcc, 3, v67
	v_mov_b32_dpp v4, v2 row_shr:2 row_mask:0xf bank_mask:0xf
	v_mov_b32_dpp v3, v1 row_shr:2 row_mask:0xf bank_mask:0xf
	v_add_u32_e32 v3, v1, v3
	v_add_u32_e32 v4, v2, v4
	v_cndmask_b32_e64 v2, v2, v4, s[2:3]
	v_cndmask_b32_e64 v1, v1, v3, s[2:3]
	v_cmp_eq_u32_e64 s[2:3], v0, v65
	v_mov_b32_dpp v4, v2 row_shr:4 row_mask:0xf bank_mask:0xf
	v_mov_b32_dpp v3, v1 row_shr:4 row_mask:0xf bank_mask:0xf
	v_add_u32_e32 v3, v1, v3
	v_add_u32_e32 v4, v2, v4
	v_cndmask_b32_e32 v2, v2, v4, vcc
	v_cndmask_b32_e32 v1, v1, v3, vcc
	v_cmp_lt_u32_e32 vcc, 7, v67
	v_mov_b32_dpp v4, v2 row_shr:8 row_mask:0xf bank_mask:0xf
	v_mov_b32_dpp v3, v1 row_shr:8 row_mask:0xf bank_mask:0xf
	v_add_u32_e32 v3, v1, v3
	v_add_u32_e32 v4, v2, v4
	v_cndmask_b32_e32 v2, v2, v4, vcc
	v_cndmask_b32_e32 v3, v1, v3, vcc
	v_cmp_eq_u32_e32 vcc, 0, v66
	v_mov_b32_dpp v4, v2 row_bcast:15 row_mask:0xf bank_mask:0xf
	v_mov_b32_dpp v1, v3 row_bcast:15 row_mask:0xf bank_mask:0xf
	v_add_u32_e32 v5, v3, v1
	v_add_u32_e32 v1, v2, v4
	v_cndmask_b32_e32 v1, v1, v2, vcc
	v_cndmask_b32_e32 v2, v5, v3, vcc
	v_cmp_lt_u32_e32 vcc, 31, v63
	v_mov_b32_dpp v3, v1 row_bcast:31 row_mask:0xf bank_mask:0xf
	v_mov_b32_dpp v4, v2 row_bcast:31 row_mask:0xf bank_mask:0xf
	v_add_u32_e32 v3, v1, v3
	v_add_u32_e32 v4, v2, v4
	s_and_saveexec_b64 s[4:5], s[2:3]
; %bb.139:
	v_cndmask_b32_e32 v5, v2, v4, vcc
	v_cndmask_b32_e32 v6, v1, v3, vcc
	v_lshlrev_b32_e32 v7, 3, v64
	ds_write_b64 v7, v[5:6]
; %bb.140:
	s_or_b64 exec, exec, s[4:5]
	v_cmp_gt_u32_e64 s[2:3], 4, v0
	s_waitcnt lgkmcnt(0)
	s_barrier
	s_and_saveexec_b64 s[4:5], s[2:3]
	s_cbranch_execz .LBB1265_142
; %bb.141:
	v_lshlrev_b32_e32 v7, 3, v0
	ds_read_b64 v[5:6], v7
	v_and_b32_e32 v8, 3, v63
	v_cmp_eq_u32_e64 s[2:3], 0, v8
	s_waitcnt lgkmcnt(0)
	v_mov_b32_dpp v21, v5 row_shr:1 row_mask:0xf bank_mask:0xf
	v_mov_b32_dpp v22, v6 row_shr:1 row_mask:0xf bank_mask:0xf
	v_add_u32_e32 v21, v21, v5
	v_add_u32_e32 v22, v22, v6
	v_cndmask_b32_e64 v6, v22, v6, s[2:3]
	v_cndmask_b32_e64 v5, v21, v5, s[2:3]
	v_cmp_lt_u32_e64 s[2:3], 1, v8
	v_mov_b32_dpp v22, v6 row_shr:2 row_mask:0xf bank_mask:0xf
	v_mov_b32_dpp v21, v5 row_shr:2 row_mask:0xf bank_mask:0xf
	v_cndmask_b32_e64 v8, 0, v21, s[2:3]
	v_cndmask_b32_e64 v21, 0, v22, s[2:3]
	v_add_u32_e32 v6, v21, v6
	v_add_u32_e32 v5, v8, v5
	ds_write_b64 v7, v[5:6]
.LBB1265_142:
	s_or_b64 exec, exec, s[4:5]
	v_cmp_lt_u32_e64 s[2:3], 63, v0
	v_mov_b32_e32 v7, 0
	v_mov_b32_e32 v5, 0
	;; [unrolled: 1-line block ×3, first 2 shown]
	s_waitcnt lgkmcnt(0)
	s_barrier
	s_and_saveexec_b64 s[4:5], s[2:3]
; %bb.143:
	v_lshl_add_u32 v5, v64, 3, -8
	ds_read_b64 v[5:6], v5
; %bb.144:
	s_or_b64 exec, exec, s[4:5]
	v_cndmask_b32_e32 v2, v2, v4, vcc
	v_cndmask_b32_e32 v1, v1, v3, vcc
	v_subrev_co_u32_e32 v3, vcc, 1, v63
	v_and_b32_e32 v4, 64, v63
	v_cmp_lt_i32_e64 s[2:3], v3, v4
	v_cndmask_b32_e64 v3, v3, v63, s[2:3]
	s_waitcnt lgkmcnt(0)
	v_add_u32_e32 v1, v6, v1
	v_add_u32_e32 v2, v5, v2
	v_lshlrev_b32_e32 v3, 2, v3
	ds_bpermute_b32 v8, v3, v2
	ds_bpermute_b32 v21, v3, v1
	ds_read_b64 v[1:2], v7 offset:24
	v_cmp_eq_u32_e64 s[2:3], 0, v0
	s_and_saveexec_b64 s[4:5], s[2:3]
	s_cbranch_execz .LBB1265_146
; %bb.145:
	s_add_u32 s6, s12, 0x400
	s_addc_u32 s7, s13, 0
	v_mov_b32_e32 v23, s7
	v_mov_b32_e32 v3, 2
	;; [unrolled: 1-line block ×4, first 2 shown]
	s_waitcnt lgkmcnt(0)
	;;#ASMSTART
	global_store_dwordx4 v[22:23], v[1:4] off	
s_waitcnt vmcnt(0)
	;;#ASMEND
.LBB1265_146:
	s_or_b64 exec, exec, s[4:5]
	s_waitcnt lgkmcnt(2)
	v_cndmask_b32_e32 v3, v8, v5, vcc
	s_waitcnt lgkmcnt(1)
	v_cndmask_b32_e32 v4, v21, v6, vcc
	v_cndmask_b32_e64 v22, v4, 0, s[2:3]
	v_cndmask_b32_e64 v23, v3, 0, s[2:3]
	v_mov_b32_e32 v4, 0
	v_mov_b32_e32 v3, 0
	s_waitcnt lgkmcnt(0)
	s_barrier
.LBB1265_147:
	v_mov_b32_e32 v6, s49
	s_waitcnt lgkmcnt(0)
	v_add_co_u32_e32 v5, vcc, s48, v3
	v_addc_co_u32_e32 v6, vcc, 0, v6, vcc
	v_mov_b32_e32 v27, s51
	v_sub_co_u32_e32 v28, vcc, s50, v1
	v_subbrev_co_u32_e32 v69, vcc, 0, v27, vcc
	v_add_co_u32_e32 v27, vcc, v28, v4
	v_add_u32_e32 v49, v22, v49
	v_addc_co_u32_e32 v28, vcc, 0, v69, vcc
	v_lshlrev_b32_e32 v69, 1, v1
	v_sub_u32_e32 v22, v22, v4
	v_lshrrev_b32_e32 v26, 8, v37
	v_add_u32_e32 v48, v23, v48
	v_add_u32_e32 v70, v69, v2
	v_sub_u32_e32 v23, v23, v3
	v_add_u32_e32 v22, v22, v1
	v_add_u32_e32 v30, v70, v30
	v_and_b32_e32 v26, 1, v26
	v_add_u32_e32 v71, v23, v22
	v_and_b32_e32 v70, 1, v31
	v_sub_u32_e32 v71, v30, v71
	v_cmp_eq_u32_e32 vcc, 1, v26
	v_cndmask_b32_e32 v22, v71, v22, vcc
	v_cmp_eq_u32_e32 vcc, 1, v70
	v_cndmask_b32_e32 v22, v22, v23, vcc
	v_lshlrev_b32_e32 v22, 2, v22
	v_sub_u32_e32 v23, v49, v4
	v_lshrrev_b32_e32 v25, 8, v31
	ds_write_b32 v22, v19
	v_sub_u32_e32 v19, v48, v3
	v_add_u32_e32 v23, v23, v1
	v_add_u32_e32 v45, v48, v45
	v_and_b32_e32 v22, 1, v25
	v_mov_b32_e32 v25, 1
	v_add_u32_e32 v48, v23, v19
	v_and_b32_sdwa v26, v25, v37 dst_sel:DWORD dst_unused:UNUSED_PAD src0_sel:DWORD src1_sel:WORD_1
	v_sub_u32_e32 v48, v30, v48
	v_add_u32_e32 v48, 1, v48
	v_cmp_eq_u32_e32 vcc, 1, v26
	v_cndmask_b32_e32 v23, v48, v23, vcc
	v_cmp_eq_u32_e32 vcc, 1, v22
	v_add_u32_e32 v57, v49, v57
	v_cndmask_b32_e32 v19, v23, v19, vcc
	v_lshlrev_b32_e32 v19, 2, v19
	v_sub_u32_e32 v22, v57, v4
	ds_write_b32 v19, v20
	v_sub_u32_e32 v19, v45, v3
	v_add_u32_e32 v22, v22, v1
	v_add_u32_e32 v26, v22, v19
	v_and_b32_e32 v23, 1, v44
	v_sub_u32_e32 v26, v30, v26
	v_and_b32_sdwa v20, v25, v31 dst_sel:DWORD dst_unused:UNUSED_PAD src0_sel:DWORD src1_sel:WORD_1
	v_add_u32_e32 v26, 2, v26
	v_cmp_eq_u32_e32 vcc, 1, v23
	v_cndmask_b32_e32 v22, v26, v22, vcc
	v_cmp_eq_u32_e32 vcc, 1, v20
	v_add_u32_e32 v63, v57, v44
	v_cndmask_b32_e32 v19, v22, v19, vcc
	v_add_u32_e32 v50, v45, v50
	v_lshlrev_b32_e32 v19, 2, v19
	v_sub_u32_e32 v20, v63, v4
	ds_write_b32 v19, v17
	v_sub_u32_e32 v17, v50, v3
	v_add_u32_e32 v20, v20, v1
	v_add_u32_e32 v23, v17, v20
	v_and_b32_e32 v22, 1, v32
	v_sub_u32_e32 v23, v30, v23
	v_and_b32_e32 v19, 1, v43
	v_add_u32_e32 v23, 3, v23
	v_cmp_eq_u32_e32 vcc, 1, v22
	v_cndmask_b32_e32 v20, v23, v20, vcc
	v_cmp_eq_u32_e32 vcc, 1, v19
	v_add_u32_e32 v58, v63, v58
	v_cndmask_b32_e32 v17, v20, v17, vcc
	v_add_u32_e32 v64, v50, v43
	v_lshlrev_b32_e32 v17, 2, v17
	v_sub_u32_e32 v19, v58, v4
	ds_write_b32 v17, v18
	v_sub_u32_e32 v17, v64, v3
	v_add_u32_e32 v19, v19, v1
	v_lshrrev_b32_e32 v24, 8, v32
	v_add_u32_e32 v22, v17, v19
	v_and_b32_e32 v20, 1, v24
	v_sub_u32_e32 v22, v30, v22
	v_and_b32_e32 v18, 1, v33
	v_add_u32_e32 v22, 4, v22
	v_cmp_eq_u32_e32 vcc, 1, v20
	v_cndmask_b32_e32 v19, v22, v19, vcc
	v_cmp_eq_u32_e32 vcc, 1, v18
	v_add_u32_e32 v52, v58, v52
	v_cndmask_b32_e32 v17, v19, v17, vcc
	v_add_u32_e32 v51, v64, v51
	v_lshlrev_b32_e32 v17, 2, v17
	v_sub_u32_e32 v18, v52, v4
	ds_write_b32 v17, v15
	v_sub_u32_e32 v15, v51, v3
	v_add_u32_e32 v18, v18, v1
	v_add_u32_e32 v20, v15, v18
	v_lshrrev_b32_e32 v21, 8, v33
	v_and_b32_sdwa v19, v25, v32 dst_sel:DWORD dst_unused:UNUSED_PAD src0_sel:DWORD src1_sel:WORD_1
	v_sub_u32_e32 v20, v30, v20
	v_and_b32_e32 v17, 1, v21
	v_add_u32_e32 v20, 5, v20
	v_cmp_eq_u32_e32 vcc, 1, v19
	v_cndmask_b32_e32 v18, v20, v18, vcc
	v_cmp_eq_u32_e32 vcc, 1, v17
	v_add_u32_e32 v59, v52, v59
	v_cndmask_b32_e32 v15, v18, v15, vcc
	v_add_u32_e32 v46, v51, v46
	v_lshlrev_b32_e32 v15, 2, v15
	v_sub_u32_e32 v17, v59, v4
	ds_write_b32 v15, v16
	v_sub_u32_e32 v15, v46, v3
	v_add_u32_e32 v17, v17, v1
	v_add_u32_e32 v19, v15, v17
	v_and_b32_e32 v18, 1, v42
	v_sub_u32_e32 v19, v30, v19
	v_and_b32_sdwa v16, v25, v33 dst_sel:DWORD dst_unused:UNUSED_PAD src0_sel:DWORD src1_sel:WORD_1
	v_add_u32_e32 v19, 6, v19
	v_cmp_eq_u32_e32 vcc, 1, v18
	v_cndmask_b32_e32 v17, v19, v17, vcc
	v_cmp_eq_u32_e32 vcc, 1, v16
	v_add_u32_e32 v65, v59, v42
	v_cndmask_b32_e32 v15, v17, v15, vcc
	v_add_u32_e32 v53, v46, v53
	v_lshlrev_b32_e32 v15, 2, v15
	v_sub_u32_e32 v16, v65, v4
	ds_write_b32 v15, v13
	v_sub_u32_e32 v13, v53, v3
	v_add_u32_e32 v16, v16, v1
	v_add_u32_e32 v18, v13, v16
	v_and_b32_e32 v17, 1, v34
	v_sub_u32_e32 v18, v30, v18
	v_and_b32_e32 v15, 1, v41
	v_add_u32_e32 v18, 7, v18
	v_cmp_eq_u32_e32 vcc, 1, v17
	v_cndmask_b32_e32 v16, v18, v16, vcc
	v_cmp_eq_u32_e32 vcc, 1, v15
	v_add_u32_e32 v60, v65, v60
	v_cndmask_b32_e32 v13, v16, v13, vcc
	v_add_u32_e32 v66, v53, v41
	v_lshlrev_b32_e32 v13, 2, v13
	v_sub_u32_e32 v15, v60, v4
	ds_write_b32 v13, v14
	v_sub_u32_e32 v13, v66, v3
	v_add_u32_e32 v15, v15, v1
	v_lshrrev_b32_e32 v8, 8, v34
	v_add_u32_e32 v16, v13, v15
	v_and_b32_e32 v8, 1, v8
	v_sub_u32_e32 v16, v30, v16
	v_and_b32_e32 v14, 1, v36
	v_add_u32_e32 v16, 8, v16
	v_cmp_eq_u32_e32 vcc, 1, v8
	v_cndmask_b32_e32 v8, v16, v15, vcc
	v_cmp_eq_u32_e32 vcc, 1, v14
	v_cndmask_b32_e32 v8, v8, v13, vcc
	v_add_u32_e32 v55, v60, v55
	v_lshlrev_b32_e32 v8, 2, v8
	v_add_u32_e32 v54, v66, v54
	ds_write_b32 v8, v11
	v_sub_u32_e32 v11, v55, v4
	v_sub_u32_e32 v8, v54, v3
	v_add_u32_e32 v11, v11, v1
	v_add_u32_e32 v14, v8, v11
	v_lshrrev_b32_e32 v7, 8, v36
	v_and_b32_sdwa v13, v25, v34 dst_sel:DWORD dst_unused:UNUSED_PAD src0_sel:DWORD src1_sel:WORD_1
	v_sub_u32_e32 v14, v30, v14
	v_and_b32_e32 v7, 1, v7
	v_add_u32_e32 v14, 9, v14
	v_cmp_eq_u32_e32 vcc, 1, v13
	v_cndmask_b32_e32 v11, v14, v11, vcc
	v_cmp_eq_u32_e32 vcc, 1, v7
	v_add_u32_e32 v61, v55, v61
	v_cndmask_b32_e32 v7, v11, v8, vcc
	v_add_u32_e32 v47, v54, v47
	v_lshlrev_b32_e32 v7, 2, v7
	v_sub_u32_e32 v11, v61, v4
	ds_write_b32 v7, v12
	v_sub_u32_e32 v7, v47, v3
	v_add_u32_e32 v11, v11, v1
	v_add_u32_e32 v13, v7, v11
	v_and_b32_e32 v12, 1, v40
	v_sub_u32_e32 v13, v30, v13
	v_and_b32_sdwa v8, v25, v36 dst_sel:DWORD dst_unused:UNUSED_PAD src0_sel:DWORD src1_sel:WORD_1
	v_add_u32_e32 v13, 10, v13
	v_cmp_eq_u32_e32 vcc, 1, v12
	v_cndmask_b32_e32 v11, v13, v11, vcc
	v_cmp_eq_u32_e32 vcc, 1, v8
	v_cndmask_b32_e32 v7, v11, v7, vcc
	v_add_u32_e32 v67, v61, v40
	v_lshlrev_b32_e32 v7, 2, v7
	v_add_u32_e32 v56, v47, v56
	ds_write_b32 v7, v9
	v_sub_u32_e32 v9, v67, v4
	v_sub_u32_e32 v7, v56, v3
	v_add_u32_e32 v9, v9, v1
	v_add_u32_e32 v12, v7, v9
	v_and_b32_e32 v11, 1, v35
	v_sub_u32_e32 v12, v30, v12
	v_and_b32_e32 v8, 1, v39
	v_add_u32_e32 v12, 11, v12
	v_cmp_eq_u32_e32 vcc, 1, v11
	v_add_u32_e32 v62, v67, v62
	v_cndmask_b32_e32 v9, v12, v9, vcc
	v_cmp_eq_u32_e32 vcc, 1, v8
	v_add_u32_e32 v68, v56, v39
	v_cndmask_b32_e32 v7, v9, v7, vcc
	v_sub_u32_e32 v8, v62, v4
	v_lshlrev_b32_e32 v7, 2, v7
	v_sub_u32_e32 v3, v68, v3
	v_add_u32_e32 v8, v8, v1
	ds_write_b32 v7, v10
	v_add_u32_e32 v10, v3, v8
	v_and_b32_e32 v9, 1, v38
	v_sub_u32_e32 v10, v30, v10
	v_and_b32_e32 v7, 1, v37
	v_add_u32_e32 v10, 12, v10
	v_cmp_eq_u32_e32 vcc, 1, v9
	v_cndmask_b32_e32 v8, v10, v8, vcc
	v_cmp_eq_u32_e32 vcc, 1, v7
	v_cndmask_b32_e32 v3, v8, v3, vcc
	v_lshlrev_b32_e32 v3, 2, v3
	ds_write_b32 v3, v29
	v_add_co_u32_e32 v3, vcc, v2, v69
	v_addc_co_u32_e64 v7, s[2:3], 0, 0, vcc
	v_add_co_u32_e32 v3, vcc, v3, v27
	v_addc_co_u32_e32 v7, vcc, v7, v28, vcc
	s_add_u32 s4, s56, s33
	v_add_co_u32_e32 v3, vcc, v3, v5
	s_addc_u32 s5, s57, 0
	v_addc_co_u32_e32 v7, vcc, v7, v6, vcc
	v_mov_b32_e32 v8, s5
	v_sub_co_u32_e32 v3, vcc, s4, v3
	v_subb_co_u32_e32 v11, vcc, v8, v7, vcc
	v_lshlrev_b64 v[7:8], 2, v[27:28]
	v_mov_b32_e32 v9, s55
	v_add_co_u32_e32 v7, vcc, s54, v7
	v_addc_co_u32_e32 v8, vcc, v9, v8, vcc
	v_lshlrev_b64 v[9:10], 2, v[5:6]
	v_mov_b32_e32 v13, s53
	v_add_co_u32_e32 v9, vcc, s52, v9
	v_addc_co_u32_e32 v10, vcc, v13, v10, vcc
	v_add_u32_e32 v12, v1, v2
	s_and_b64 vcc, exec, s[0:1]
	s_mov_b64 s[0:1], -1
	s_waitcnt lgkmcnt(0)
	s_barrier
	s_cbranch_vccz .LBB1265_151
; %bb.148:
	s_and_b64 vcc, exec, s[0:1]
	s_cbranch_vccnz .LBB1265_256
.LBB1265_149:
	v_cmp_eq_u32_e32 vcc, 0, v0
	s_and_b64 s[0:1], vcc, s[34:35]
	s_and_saveexec_b64 s[2:3], s[0:1]
	s_cbranch_execnz .LBB1265_374
.LBB1265_150:
	s_endpgm
.LBB1265_151:
	v_cmp_ge_u32_e32 vcc, v0, v1
	s_and_saveexec_b64 s[0:1], vcc
	s_xor_b64 s[0:1], exec, s[0:1]
	s_cbranch_execz .LBB1265_157
; %bb.152:
	v_cmp_ge_u32_e32 vcc, v0, v12
	s_and_saveexec_b64 s[2:3], vcc
	s_xor_b64 s[2:3], exec, s[2:3]
	s_cbranch_execz .LBB1265_154
; %bb.153:
	v_add_co_u32_e32 v13, vcc, v3, v0
	v_lshlrev_b32_e32 v15, 2, v0
	v_addc_co_u32_e32 v14, vcc, 0, v11, vcc
	ds_read_b32 v15, v15
	v_lshlrev_b64 v[13:14], 2, v[13:14]
	v_mov_b32_e32 v16, s47
	v_sub_co_u32_e32 v13, vcc, s46, v13
	v_subb_co_u32_e32 v14, vcc, v16, v14, vcc
	s_waitcnt lgkmcnt(0)
	global_store_dword v[13:14], v15, off offset:-4
.LBB1265_154:
	s_andn2_saveexec_b64 s[2:3], s[2:3]
	s_cbranch_execz .LBB1265_156
; %bb.155:
	v_lshlrev_b32_e32 v13, 2, v0
	ds_read_b32 v14, v13
	v_readfirstlane_b32 s4, v7
	v_readfirstlane_b32 s5, v8
	s_waitcnt lgkmcnt(0)
	s_nop 3
	global_store_dword v13, v14, s[4:5]
.LBB1265_156:
	s_or_b64 exec, exec, s[2:3]
.LBB1265_157:
	s_andn2_saveexec_b64 s[0:1], s[0:1]
	s_cbranch_execz .LBB1265_159
; %bb.158:
	v_lshlrev_b32_e32 v13, 2, v0
	ds_read_b32 v14, v13
	v_readfirstlane_b32 s2, v9
	v_readfirstlane_b32 s3, v10
	s_waitcnt lgkmcnt(0)
	s_nop 3
	global_store_dword v13, v14, s[2:3]
.LBB1265_159:
	s_or_b64 exec, exec, s[0:1]
	v_or_b32_e32 v13, 0x100, v0
	v_cmp_ge_u32_e32 vcc, v13, v1
	s_and_saveexec_b64 s[0:1], vcc
	s_xor_b64 s[0:1], exec, s[0:1]
	s_cbranch_execz .LBB1265_165
; %bb.160:
	v_cmp_ge_u32_e32 vcc, v13, v12
	s_and_saveexec_b64 s[2:3], vcc
	s_xor_b64 s[2:3], exec, s[2:3]
	s_cbranch_execz .LBB1265_162
; %bb.161:
	v_lshlrev_b32_e32 v13, 2, v0
	ds_read_b32 v15, v13 offset:1024
	v_add_co_u32_e32 v13, vcc, v3, v0
	v_addc_co_u32_e32 v14, vcc, 0, v11, vcc
	v_lshlrev_b64 v[13:14], 2, v[13:14]
	v_mov_b32_e32 v16, s47
	v_sub_co_u32_e32 v13, vcc, s46, v13
	v_subb_co_u32_e32 v14, vcc, v16, v14, vcc
	s_waitcnt lgkmcnt(0)
	global_store_dword v[13:14], v15, off offset:-1028
.LBB1265_162:
	s_andn2_saveexec_b64 s[2:3], s[2:3]
	s_cbranch_execz .LBB1265_164
; %bb.163:
	v_lshlrev_b32_e32 v13, 2, v0
	ds_read_b32 v14, v13 offset:1024
	v_readfirstlane_b32 s4, v7
	v_readfirstlane_b32 s5, v8
	s_waitcnt lgkmcnt(0)
	s_nop 3
	global_store_dword v13, v14, s[4:5] offset:1024
.LBB1265_164:
	s_or_b64 exec, exec, s[2:3]
.LBB1265_165:
	s_andn2_saveexec_b64 s[0:1], s[0:1]
	s_cbranch_execz .LBB1265_167
; %bb.166:
	v_lshlrev_b32_e32 v13, 2, v0
	ds_read_b32 v14, v13 offset:1024
	v_readfirstlane_b32 s2, v9
	v_readfirstlane_b32 s3, v10
	s_waitcnt lgkmcnt(0)
	s_nop 3
	global_store_dword v13, v14, s[2:3] offset:1024
.LBB1265_167:
	s_or_b64 exec, exec, s[0:1]
	v_or_b32_e32 v13, 0x200, v0
	v_cmp_ge_u32_e32 vcc, v13, v1
	s_and_saveexec_b64 s[0:1], vcc
	s_xor_b64 s[0:1], exec, s[0:1]
	s_cbranch_execz .LBB1265_173
; %bb.168:
	v_cmp_ge_u32_e32 vcc, v13, v12
	s_and_saveexec_b64 s[2:3], vcc
	s_xor_b64 s[2:3], exec, s[2:3]
	s_cbranch_execz .LBB1265_170
; %bb.169:
	v_lshlrev_b32_e32 v13, 2, v0
	ds_read_b32 v15, v13 offset:2048
	v_add_co_u32_e32 v13, vcc, v3, v0
	v_addc_co_u32_e32 v14, vcc, 0, v11, vcc
	v_lshlrev_b64 v[13:14], 2, v[13:14]
	v_mov_b32_e32 v16, s47
	v_sub_co_u32_e32 v13, vcc, s46, v13
	v_subb_co_u32_e32 v14, vcc, v16, v14, vcc
	s_waitcnt lgkmcnt(0)
	global_store_dword v[13:14], v15, off offset:-2052
.LBB1265_170:
	s_andn2_saveexec_b64 s[2:3], s[2:3]
	s_cbranch_execz .LBB1265_172
; %bb.171:
	v_lshlrev_b32_e32 v13, 2, v0
	ds_read_b32 v14, v13 offset:2048
	v_readfirstlane_b32 s4, v7
	v_readfirstlane_b32 s5, v8
	s_waitcnt lgkmcnt(0)
	s_nop 3
	global_store_dword v13, v14, s[4:5] offset:2048
.LBB1265_172:
	s_or_b64 exec, exec, s[2:3]
.LBB1265_173:
	s_andn2_saveexec_b64 s[0:1], s[0:1]
	s_cbranch_execz .LBB1265_175
; %bb.174:
	v_lshlrev_b32_e32 v13, 2, v0
	ds_read_b32 v14, v13 offset:2048
	v_readfirstlane_b32 s2, v9
	v_readfirstlane_b32 s3, v10
	s_waitcnt lgkmcnt(0)
	s_nop 3
	global_store_dword v13, v14, s[2:3] offset:2048
.LBB1265_175:
	;; [unrolled: 47-line block ×3, first 2 shown]
	s_or_b64 exec, exec, s[0:1]
	v_or_b32_e32 v13, 0x400, v0
	v_cmp_ge_u32_e32 vcc, v13, v1
	s_and_saveexec_b64 s[0:1], vcc
	s_xor_b64 s[0:1], exec, s[0:1]
	s_cbranch_execz .LBB1265_189
; %bb.184:
	v_cmp_ge_u32_e32 vcc, v13, v12
	s_and_saveexec_b64 s[2:3], vcc
	s_xor_b64 s[2:3], exec, s[2:3]
	s_cbranch_execz .LBB1265_186
; %bb.185:
	v_lshlrev_b32_e32 v13, 2, v0
	ds_read_b32 v15, v13 offset:4096
	v_add_co_u32_e32 v13, vcc, v3, v0
	v_addc_co_u32_e32 v14, vcc, 0, v11, vcc
	v_lshlrev_b64 v[13:14], 2, v[13:14]
	v_mov_b32_e32 v16, s47
	v_sub_co_u32_e32 v13, vcc, s46, v13
	v_subb_co_u32_e32 v14, vcc, v16, v14, vcc
	v_add_co_u32_e32 v13, vcc, 0xfffff000, v13
	v_addc_co_u32_e32 v14, vcc, -1, v14, vcc
	s_waitcnt lgkmcnt(0)
	global_store_dword v[13:14], v15, off offset:-4
                                        ; implicit-def: $vgpr13
.LBB1265_186:
	s_andn2_saveexec_b64 s[2:3], s[2:3]
	s_cbranch_execz .LBB1265_188
; %bb.187:
	v_lshlrev_b32_e32 v14, 2, v0
	ds_read_b32 v14, v14 offset:4096
	v_lshlrev_b32_e32 v13, 2, v13
	v_readfirstlane_b32 s4, v7
	v_readfirstlane_b32 s5, v8
	s_waitcnt lgkmcnt(0)
	s_nop 3
	global_store_dword v13, v14, s[4:5]
.LBB1265_188:
	s_or_b64 exec, exec, s[2:3]
                                        ; implicit-def: $vgpr13
.LBB1265_189:
	s_andn2_saveexec_b64 s[0:1], s[0:1]
	s_cbranch_execz .LBB1265_191
; %bb.190:
	v_lshlrev_b32_e32 v14, 2, v0
	ds_read_b32 v14, v14 offset:4096
	v_lshlrev_b32_e32 v13, 2, v13
	v_readfirstlane_b32 s2, v9
	v_readfirstlane_b32 s3, v10
	s_waitcnt lgkmcnt(0)
	s_nop 3
	global_store_dword v13, v14, s[2:3]
.LBB1265_191:
	s_or_b64 exec, exec, s[0:1]
	v_or_b32_e32 v13, 0x500, v0
	v_cmp_ge_u32_e32 vcc, v13, v1
	s_and_saveexec_b64 s[0:1], vcc
	s_xor_b64 s[0:1], exec, s[0:1]
	s_cbranch_execz .LBB1265_197
; %bb.192:
	v_cmp_ge_u32_e32 vcc, v13, v12
	s_and_saveexec_b64 s[2:3], vcc
	s_xor_b64 s[2:3], exec, s[2:3]
	s_cbranch_execz .LBB1265_194
; %bb.193:
	v_add_co_u32_e32 v13, vcc, v3, v13
	v_lshlrev_b32_e32 v15, 2, v0
	v_addc_co_u32_e32 v14, vcc, 0, v11, vcc
	ds_read_b32 v15, v15 offset:5120
	v_lshlrev_b64 v[13:14], 2, v[13:14]
	v_mov_b32_e32 v16, s47
	v_sub_co_u32_e32 v13, vcc, s46, v13
	v_subb_co_u32_e32 v14, vcc, v16, v14, vcc
	s_waitcnt lgkmcnt(0)
	global_store_dword v[13:14], v15, off offset:-4
                                        ; implicit-def: $vgpr13
.LBB1265_194:
	s_andn2_saveexec_b64 s[2:3], s[2:3]
	s_cbranch_execz .LBB1265_196
; %bb.195:
	v_lshlrev_b32_e32 v14, 2, v0
	ds_read_b32 v14, v14 offset:5120
	v_lshlrev_b32_e32 v13, 2, v13
	v_readfirstlane_b32 s4, v7
	v_readfirstlane_b32 s5, v8
	s_waitcnt lgkmcnt(0)
	s_nop 3
	global_store_dword v13, v14, s[4:5]
.LBB1265_196:
	s_or_b64 exec, exec, s[2:3]
                                        ; implicit-def: $vgpr13
.LBB1265_197:
	s_andn2_saveexec_b64 s[0:1], s[0:1]
	s_cbranch_execz .LBB1265_199
; %bb.198:
	v_lshlrev_b32_e32 v14, 2, v0
	ds_read_b32 v14, v14 offset:5120
	v_lshlrev_b32_e32 v13, 2, v13
	v_readfirstlane_b32 s2, v9
	v_readfirstlane_b32 s3, v10
	s_waitcnt lgkmcnt(0)
	s_nop 3
	global_store_dword v13, v14, s[2:3]
.LBB1265_199:
	s_or_b64 exec, exec, s[0:1]
	v_or_b32_e32 v13, 0x600, v0
	v_cmp_ge_u32_e32 vcc, v13, v1
	s_and_saveexec_b64 s[0:1], vcc
	s_xor_b64 s[0:1], exec, s[0:1]
	s_cbranch_execz .LBB1265_205
; %bb.200:
	v_cmp_ge_u32_e32 vcc, v13, v12
	s_and_saveexec_b64 s[2:3], vcc
	s_xor_b64 s[2:3], exec, s[2:3]
	s_cbranch_execz .LBB1265_202
; %bb.201:
	v_add_co_u32_e32 v13, vcc, v3, v13
	v_lshlrev_b32_e32 v15, 2, v0
	v_addc_co_u32_e32 v14, vcc, 0, v11, vcc
	ds_read_b32 v15, v15 offset:6144
	v_lshlrev_b64 v[13:14], 2, v[13:14]
	v_mov_b32_e32 v16, s47
	v_sub_co_u32_e32 v13, vcc, s46, v13
	v_subb_co_u32_e32 v14, vcc, v16, v14, vcc
	s_waitcnt lgkmcnt(0)
	global_store_dword v[13:14], v15, off offset:-4
                                        ; implicit-def: $vgpr13
.LBB1265_202:
	s_andn2_saveexec_b64 s[2:3], s[2:3]
	s_cbranch_execz .LBB1265_204
; %bb.203:
	v_lshlrev_b32_e32 v14, 2, v0
	ds_read_b32 v14, v14 offset:6144
	v_lshlrev_b32_e32 v13, 2, v13
	v_readfirstlane_b32 s4, v7
	v_readfirstlane_b32 s5, v8
	s_waitcnt lgkmcnt(0)
	s_nop 3
	global_store_dword v13, v14, s[4:5]
.LBB1265_204:
	s_or_b64 exec, exec, s[2:3]
                                        ; implicit-def: $vgpr13
.LBB1265_205:
	;; [unrolled: 51-line block ×8, first 2 shown]
	s_andn2_saveexec_b64 s[0:1], s[0:1]
	s_cbranch_execz .LBB1265_255
; %bb.254:
	v_lshlrev_b32_e32 v14, 2, v0
	ds_read_b32 v14, v14 offset:12288
	v_lshlrev_b32_e32 v13, 2, v13
	v_readfirstlane_b32 s2, v9
	v_readfirstlane_b32 s3, v10
	s_waitcnt lgkmcnt(0)
	s_nop 3
	global_store_dword v13, v14, s[2:3]
.LBB1265_255:
	s_or_b64 exec, exec, s[0:1]
	s_branch .LBB1265_149
.LBB1265_256:
	v_cmp_gt_u32_e32 vcc, s18, v0
	s_and_saveexec_b64 s[0:1], vcc
	s_cbranch_execz .LBB1265_265
; %bb.257:
	v_cmp_ge_u32_e32 vcc, v0, v1
	s_and_saveexec_b64 s[2:3], vcc
	s_xor_b64 s[2:3], exec, s[2:3]
	s_cbranch_execz .LBB1265_263
; %bb.258:
	v_cmp_ge_u32_e32 vcc, v0, v12
	s_and_saveexec_b64 s[4:5], vcc
	s_xor_b64 s[4:5], exec, s[4:5]
	s_cbranch_execz .LBB1265_260
; %bb.259:
	v_add_co_u32_e32 v13, vcc, v3, v0
	v_lshlrev_b32_e32 v15, 2, v0
	v_addc_co_u32_e32 v14, vcc, 0, v11, vcc
	ds_read_b32 v15, v15
	v_lshlrev_b64 v[13:14], 2, v[13:14]
	v_mov_b32_e32 v16, s47
	v_sub_co_u32_e32 v13, vcc, s46, v13
	v_subb_co_u32_e32 v14, vcc, v16, v14, vcc
	s_waitcnt lgkmcnt(0)
	global_store_dword v[13:14], v15, off offset:-4
.LBB1265_260:
	s_andn2_saveexec_b64 s[4:5], s[4:5]
	s_cbranch_execz .LBB1265_262
; %bb.261:
	v_lshlrev_b32_e32 v13, 2, v0
	ds_read_b32 v14, v13
	v_readfirstlane_b32 s6, v7
	v_readfirstlane_b32 s7, v8
	s_waitcnt lgkmcnt(0)
	s_nop 3
	global_store_dword v13, v14, s[6:7]
.LBB1265_262:
	s_or_b64 exec, exec, s[4:5]
.LBB1265_263:
	s_andn2_saveexec_b64 s[2:3], s[2:3]
	s_cbranch_execz .LBB1265_265
; %bb.264:
	v_lshlrev_b32_e32 v13, 2, v0
	ds_read_b32 v14, v13
	v_readfirstlane_b32 s2, v9
	v_readfirstlane_b32 s3, v10
	s_waitcnt lgkmcnt(0)
	s_nop 3
	global_store_dword v13, v14, s[2:3]
.LBB1265_265:
	s_or_b64 exec, exec, s[0:1]
	v_or_b32_e32 v13, 0x100, v0
	v_cmp_gt_u32_e32 vcc, s18, v13
	s_and_saveexec_b64 s[0:1], vcc
	s_cbranch_execz .LBB1265_274
; %bb.266:
	v_cmp_ge_u32_e32 vcc, v13, v1
	s_and_saveexec_b64 s[2:3], vcc
	s_xor_b64 s[2:3], exec, s[2:3]
	s_cbranch_execz .LBB1265_272
; %bb.267:
	v_cmp_ge_u32_e32 vcc, v13, v12
	s_and_saveexec_b64 s[4:5], vcc
	s_xor_b64 s[4:5], exec, s[4:5]
	s_cbranch_execz .LBB1265_269
; %bb.268:
	v_lshlrev_b32_e32 v13, 2, v0
	ds_read_b32 v15, v13 offset:1024
	v_add_co_u32_e32 v13, vcc, v3, v0
	v_addc_co_u32_e32 v14, vcc, 0, v11, vcc
	v_lshlrev_b64 v[13:14], 2, v[13:14]
	v_mov_b32_e32 v16, s47
	v_sub_co_u32_e32 v13, vcc, s46, v13
	v_subb_co_u32_e32 v14, vcc, v16, v14, vcc
	s_waitcnt lgkmcnt(0)
	global_store_dword v[13:14], v15, off offset:-1028
.LBB1265_269:
	s_andn2_saveexec_b64 s[4:5], s[4:5]
	s_cbranch_execz .LBB1265_271
; %bb.270:
	v_lshlrev_b32_e32 v13, 2, v0
	ds_read_b32 v14, v13 offset:1024
	v_readfirstlane_b32 s6, v7
	v_readfirstlane_b32 s7, v8
	s_waitcnt lgkmcnt(0)
	s_nop 3
	global_store_dword v13, v14, s[6:7] offset:1024
.LBB1265_271:
	s_or_b64 exec, exec, s[4:5]
.LBB1265_272:
	s_andn2_saveexec_b64 s[2:3], s[2:3]
	s_cbranch_execz .LBB1265_274
; %bb.273:
	v_lshlrev_b32_e32 v13, 2, v0
	ds_read_b32 v14, v13 offset:1024
	v_readfirstlane_b32 s2, v9
	v_readfirstlane_b32 s3, v10
	s_waitcnt lgkmcnt(0)
	s_nop 3
	global_store_dword v13, v14, s[2:3] offset:1024
.LBB1265_274:
	s_or_b64 exec, exec, s[0:1]
	v_or_b32_e32 v13, 0x200, v0
	v_cmp_gt_u32_e32 vcc, s18, v13
	s_and_saveexec_b64 s[0:1], vcc
	s_cbranch_execz .LBB1265_283
; %bb.275:
	v_cmp_ge_u32_e32 vcc, v13, v1
	s_and_saveexec_b64 s[2:3], vcc
	s_xor_b64 s[2:3], exec, s[2:3]
	s_cbranch_execz .LBB1265_281
; %bb.276:
	v_cmp_ge_u32_e32 vcc, v13, v12
	s_and_saveexec_b64 s[4:5], vcc
	s_xor_b64 s[4:5], exec, s[4:5]
	s_cbranch_execz .LBB1265_278
; %bb.277:
	v_lshlrev_b32_e32 v13, 2, v0
	ds_read_b32 v15, v13 offset:2048
	v_add_co_u32_e32 v13, vcc, v3, v0
	v_addc_co_u32_e32 v14, vcc, 0, v11, vcc
	v_lshlrev_b64 v[13:14], 2, v[13:14]
	v_mov_b32_e32 v16, s47
	v_sub_co_u32_e32 v13, vcc, s46, v13
	v_subb_co_u32_e32 v14, vcc, v16, v14, vcc
	s_waitcnt lgkmcnt(0)
	global_store_dword v[13:14], v15, off offset:-2052
.LBB1265_278:
	s_andn2_saveexec_b64 s[4:5], s[4:5]
	s_cbranch_execz .LBB1265_280
; %bb.279:
	v_lshlrev_b32_e32 v13, 2, v0
	ds_read_b32 v14, v13 offset:2048
	v_readfirstlane_b32 s6, v7
	v_readfirstlane_b32 s7, v8
	s_waitcnt lgkmcnt(0)
	s_nop 3
	global_store_dword v13, v14, s[6:7] offset:2048
.LBB1265_280:
	s_or_b64 exec, exec, s[4:5]
.LBB1265_281:
	s_andn2_saveexec_b64 s[2:3], s[2:3]
	s_cbranch_execz .LBB1265_283
; %bb.282:
	v_lshlrev_b32_e32 v13, 2, v0
	ds_read_b32 v14, v13 offset:2048
	v_readfirstlane_b32 s2, v9
	v_readfirstlane_b32 s3, v10
	s_waitcnt lgkmcnt(0)
	s_nop 3
	global_store_dword v13, v14, s[2:3] offset:2048
.LBB1265_283:
	;; [unrolled: 51-line block ×3, first 2 shown]
	s_or_b64 exec, exec, s[0:1]
	v_or_b32_e32 v13, 0x400, v0
	v_cmp_gt_u32_e32 vcc, s18, v13
	s_and_saveexec_b64 s[0:1], vcc
	s_cbranch_execz .LBB1265_301
; %bb.293:
	v_cmp_ge_u32_e32 vcc, v13, v1
	s_and_saveexec_b64 s[2:3], vcc
	s_xor_b64 s[2:3], exec, s[2:3]
	s_cbranch_execz .LBB1265_299
; %bb.294:
	v_cmp_ge_u32_e32 vcc, v13, v12
	s_and_saveexec_b64 s[4:5], vcc
	s_xor_b64 s[4:5], exec, s[4:5]
	s_cbranch_execz .LBB1265_296
; %bb.295:
	v_lshlrev_b32_e32 v13, 2, v0
	ds_read_b32 v15, v13 offset:4096
	v_add_co_u32_e32 v13, vcc, v3, v0
	v_addc_co_u32_e32 v14, vcc, 0, v11, vcc
	v_lshlrev_b64 v[13:14], 2, v[13:14]
	v_mov_b32_e32 v16, s47
	v_sub_co_u32_e32 v13, vcc, s46, v13
	v_subb_co_u32_e32 v14, vcc, v16, v14, vcc
	v_add_co_u32_e32 v13, vcc, 0xfffff000, v13
	v_addc_co_u32_e32 v14, vcc, -1, v14, vcc
	s_waitcnt lgkmcnt(0)
	global_store_dword v[13:14], v15, off offset:-4
                                        ; implicit-def: $vgpr13
.LBB1265_296:
	s_andn2_saveexec_b64 s[4:5], s[4:5]
	s_cbranch_execz .LBB1265_298
; %bb.297:
	v_lshlrev_b32_e32 v14, 2, v0
	ds_read_b32 v14, v14 offset:4096
	v_lshlrev_b32_e32 v13, 2, v13
	v_readfirstlane_b32 s6, v7
	v_readfirstlane_b32 s7, v8
	s_waitcnt lgkmcnt(0)
	s_nop 3
	global_store_dword v13, v14, s[6:7]
.LBB1265_298:
	s_or_b64 exec, exec, s[4:5]
                                        ; implicit-def: $vgpr13
.LBB1265_299:
	s_andn2_saveexec_b64 s[2:3], s[2:3]
	s_cbranch_execz .LBB1265_301
; %bb.300:
	v_lshlrev_b32_e32 v14, 2, v0
	ds_read_b32 v14, v14 offset:4096
	v_lshlrev_b32_e32 v13, 2, v13
	v_readfirstlane_b32 s2, v9
	v_readfirstlane_b32 s3, v10
	s_waitcnt lgkmcnt(0)
	s_nop 3
	global_store_dword v13, v14, s[2:3]
.LBB1265_301:
	s_or_b64 exec, exec, s[0:1]
	v_or_b32_e32 v13, 0x500, v0
	v_cmp_gt_u32_e32 vcc, s18, v13
	s_and_saveexec_b64 s[0:1], vcc
	s_cbranch_execz .LBB1265_310
; %bb.302:
	v_cmp_ge_u32_e32 vcc, v13, v1
	s_and_saveexec_b64 s[2:3], vcc
	s_xor_b64 s[2:3], exec, s[2:3]
	s_cbranch_execz .LBB1265_308
; %bb.303:
	v_cmp_ge_u32_e32 vcc, v13, v12
	s_and_saveexec_b64 s[4:5], vcc
	s_xor_b64 s[4:5], exec, s[4:5]
	s_cbranch_execz .LBB1265_305
; %bb.304:
	v_add_co_u32_e32 v13, vcc, v3, v13
	v_lshlrev_b32_e32 v15, 2, v0
	v_addc_co_u32_e32 v14, vcc, 0, v11, vcc
	ds_read_b32 v15, v15 offset:5120
	v_lshlrev_b64 v[13:14], 2, v[13:14]
	v_mov_b32_e32 v16, s47
	v_sub_co_u32_e32 v13, vcc, s46, v13
	v_subb_co_u32_e32 v14, vcc, v16, v14, vcc
	s_waitcnt lgkmcnt(0)
	global_store_dword v[13:14], v15, off offset:-4
                                        ; implicit-def: $vgpr13
.LBB1265_305:
	s_andn2_saveexec_b64 s[4:5], s[4:5]
	s_cbranch_execz .LBB1265_307
; %bb.306:
	v_lshlrev_b32_e32 v14, 2, v0
	ds_read_b32 v14, v14 offset:5120
	v_lshlrev_b32_e32 v13, 2, v13
	v_readfirstlane_b32 s6, v7
	v_readfirstlane_b32 s7, v8
	s_waitcnt lgkmcnt(0)
	s_nop 3
	global_store_dword v13, v14, s[6:7]
.LBB1265_307:
	s_or_b64 exec, exec, s[4:5]
                                        ; implicit-def: $vgpr13
.LBB1265_308:
	s_andn2_saveexec_b64 s[2:3], s[2:3]
	s_cbranch_execz .LBB1265_310
; %bb.309:
	v_lshlrev_b32_e32 v14, 2, v0
	ds_read_b32 v14, v14 offset:5120
	v_lshlrev_b32_e32 v13, 2, v13
	v_readfirstlane_b32 s2, v9
	v_readfirstlane_b32 s3, v10
	s_waitcnt lgkmcnt(0)
	s_nop 3
	global_store_dword v13, v14, s[2:3]
.LBB1265_310:
	s_or_b64 exec, exec, s[0:1]
	v_or_b32_e32 v13, 0x600, v0
	v_cmp_gt_u32_e32 vcc, s18, v13
	s_and_saveexec_b64 s[0:1], vcc
	s_cbranch_execz .LBB1265_319
; %bb.311:
	v_cmp_ge_u32_e32 vcc, v13, v1
	s_and_saveexec_b64 s[2:3], vcc
	s_xor_b64 s[2:3], exec, s[2:3]
	s_cbranch_execz .LBB1265_317
; %bb.312:
	v_cmp_ge_u32_e32 vcc, v13, v12
	s_and_saveexec_b64 s[4:5], vcc
	s_xor_b64 s[4:5], exec, s[4:5]
	s_cbranch_execz .LBB1265_314
; %bb.313:
	v_add_co_u32_e32 v13, vcc, v3, v13
	v_lshlrev_b32_e32 v15, 2, v0
	v_addc_co_u32_e32 v14, vcc, 0, v11, vcc
	ds_read_b32 v15, v15 offset:6144
	v_lshlrev_b64 v[13:14], 2, v[13:14]
	v_mov_b32_e32 v16, s47
	v_sub_co_u32_e32 v13, vcc, s46, v13
	v_subb_co_u32_e32 v14, vcc, v16, v14, vcc
	s_waitcnt lgkmcnt(0)
	global_store_dword v[13:14], v15, off offset:-4
                                        ; implicit-def: $vgpr13
.LBB1265_314:
	s_andn2_saveexec_b64 s[4:5], s[4:5]
	s_cbranch_execz .LBB1265_316
; %bb.315:
	v_lshlrev_b32_e32 v14, 2, v0
	ds_read_b32 v14, v14 offset:6144
	v_lshlrev_b32_e32 v13, 2, v13
	v_readfirstlane_b32 s6, v7
	v_readfirstlane_b32 s7, v8
	s_waitcnt lgkmcnt(0)
	s_nop 3
	global_store_dword v13, v14, s[6:7]
.LBB1265_316:
	s_or_b64 exec, exec, s[4:5]
                                        ; implicit-def: $vgpr13
.LBB1265_317:
	s_andn2_saveexec_b64 s[2:3], s[2:3]
	s_cbranch_execz .LBB1265_319
; %bb.318:
	v_lshlrev_b32_e32 v14, 2, v0
	ds_read_b32 v14, v14 offset:6144
	v_lshlrev_b32_e32 v13, 2, v13
	v_readfirstlane_b32 s2, v9
	v_readfirstlane_b32 s3, v10
	s_waitcnt lgkmcnt(0)
	s_nop 3
	global_store_dword v13, v14, s[2:3]
.LBB1265_319:
	;; [unrolled: 55-line block ×7, first 2 shown]
	s_or_b64 exec, exec, s[0:1]
	v_or_b32_e32 v13, 0xc00, v0
	v_cmp_gt_u32_e32 vcc, s18, v13
	s_and_saveexec_b64 s[0:1], vcc
	s_cbranch_execz .LBB1265_373
; %bb.365:
	v_cmp_ge_u32_e32 vcc, v13, v1
	s_and_saveexec_b64 s[2:3], vcc
	s_xor_b64 s[2:3], exec, s[2:3]
	s_cbranch_execz .LBB1265_371
; %bb.366:
	v_cmp_ge_u32_e32 vcc, v13, v12
	s_and_saveexec_b64 s[4:5], vcc
	s_xor_b64 s[4:5], exec, s[4:5]
	s_cbranch_execz .LBB1265_368
; %bb.367:
	v_add_co_u32_e32 v7, vcc, v3, v13
	v_lshlrev_b32_e32 v3, 2, v0
	v_addc_co_u32_e32 v8, vcc, 0, v11, vcc
	ds_read_b32 v3, v3 offset:12288
	v_lshlrev_b64 v[7:8], 2, v[7:8]
	v_mov_b32_e32 v9, s47
	v_sub_co_u32_e32 v7, vcc, s46, v7
	v_subb_co_u32_e32 v8, vcc, v9, v8, vcc
	s_waitcnt lgkmcnt(0)
	global_store_dword v[7:8], v3, off offset:-4
                                        ; implicit-def: $vgpr13
                                        ; implicit-def: $vgpr7_vgpr8
.LBB1265_368:
	s_andn2_saveexec_b64 s[4:5], s[4:5]
	s_cbranch_execz .LBB1265_370
; %bb.369:
	v_lshlrev_b32_e32 v3, 2, v0
	ds_read_b32 v3, v3 offset:12288
	v_lshlrev_b32_e32 v9, 2, v13
	v_readfirstlane_b32 s6, v7
	v_readfirstlane_b32 s7, v8
	s_waitcnt lgkmcnt(0)
	s_nop 3
	global_store_dword v9, v3, s[6:7]
.LBB1265_370:
	s_or_b64 exec, exec, s[4:5]
                                        ; implicit-def: $vgpr13
                                        ; implicit-def: $vgpr9_vgpr10
.LBB1265_371:
	s_andn2_saveexec_b64 s[2:3], s[2:3]
	s_cbranch_execz .LBB1265_373
; %bb.372:
	v_lshlrev_b32_e32 v3, 2, v0
	ds_read_b32 v3, v3 offset:12288
	v_lshlrev_b32_e32 v7, 2, v13
	v_readfirstlane_b32 s2, v9
	v_readfirstlane_b32 s3, v10
	s_waitcnt lgkmcnt(0)
	s_nop 3
	global_store_dword v7, v3, s[2:3]
.LBB1265_373:
	s_or_b64 exec, exec, s[0:1]
	v_cmp_eq_u32_e32 vcc, 0, v0
	s_and_b64 s[0:1], vcc, s[34:35]
	s_and_saveexec_b64 s[2:3], s[0:1]
	s_cbranch_execz .LBB1265_150
.LBB1265_374:
	v_mov_b32_e32 v0, s51
	v_add_co_u32_e32 v2, vcc, s50, v2
	v_addc_co_u32_e32 v0, vcc, 0, v0, vcc
	v_add_co_u32_e32 v2, vcc, v2, v4
	v_addc_co_u32_e32 v3, vcc, 0, v0, vcc
	v_add_co_u32_e32 v0, vcc, v5, v1
	v_mov_b32_e32 v7, 0
	v_addc_co_u32_e32 v1, vcc, 0, v6, vcc
	global_store_dwordx4 v7, v[0:3], s[44:45]
	s_endpgm
.LBB1265_375:
	s_add_i32 s6, s6, 64
	s_mov_b32 s7, 0
	s_lshl_b64 s[6:7], s[6:7], 4
	s_add_u32 s6, s12, s6
	s_addc_u32 s7, s13, s7
	v_mov_b32_e32 v24, s7
	v_add_u32_e32 v6, v4, v2
	v_add_u32_e32 v5, v3, v1
	v_mov_b32_e32 v7, 2
	v_mov_b32_e32 v8, 0
	;; [unrolled: 1-line block ×3, first 2 shown]
	;;#ASMSTART
	global_store_dwordx4 v[23:24], v[5:8] off	
s_waitcnt vmcnt(0)
	;;#ASMEND
	s_or_b64 exec, exec, s[14:15]
	s_and_saveexec_b64 s[6:7], s[8:9]
	s_cbranch_execz .LBB1265_135
.LBB1265_376:
	v_mov_b32_e32 v5, 0
	ds_write_b128 v5, v[1:4] offset:13312
	s_or_b64 exec, exec, s[6:7]
	v_cmp_eq_u32_e32 vcc, 0, v0
	s_and_b64 exec, exec, vcc
	s_cbranch_execnz .LBB1265_136
	s_branch .LBB1265_137
	.section	.rodata,"a",@progbits
	.p2align	6, 0x0
	.amdhsa_kernel _ZN7rocprim17ROCPRIM_400000_NS6detail17trampoline_kernelINS0_13select_configILj256ELj13ELNS0_17block_load_methodE3ELS4_3ELS4_3ELNS0_20block_scan_algorithmE0ELj4294967295EEENS1_25partition_config_selectorILNS1_17partition_subalgoE4EjNS0_10empty_typeEbEEZZNS1_14partition_implILS8_4ELb0ES6_15HIP_vector_typeIjLj2EENS0_17counting_iteratorIjlEEPS9_SG_NS0_5tupleIJPjSI_NS0_16reverse_iteratorISI_EEEEENSH_IJSG_SG_SG_EEES9_SI_JZNS1_25segmented_radix_sort_implINS0_14default_configELb1EPKfPfPKlPlN2at6native12_GLOBAL__N_18offset_tEEE10hipError_tPvRmT1_PNSt15iterator_traitsIS12_E10value_typeET2_T3_PNS13_IS18_E10value_typeET4_jRbjT5_S1E_jjP12ihipStream_tbEUljE_ZNSN_ISO_Lb1ESQ_SR_ST_SU_SY_EESZ_S10_S11_S12_S16_S17_S18_S1B_S1C_jS1D_jS1E_S1E_jjS1G_bEUljE0_EEESZ_S10_S11_S18_S1C_S1E_T6_T7_T9_mT8_S1G_bDpT10_ENKUlT_T0_E_clISt17integral_constantIbLb0EES1U_EEDaS1P_S1Q_EUlS1P_E_NS1_11comp_targetILNS1_3genE2ELNS1_11target_archE906ELNS1_3gpuE6ELNS1_3repE0EEENS1_30default_config_static_selectorELNS0_4arch9wavefront6targetE1EEEvS12_
		.amdhsa_group_segment_fixed_size 13328
		.amdhsa_private_segment_fixed_size 0
		.amdhsa_kernarg_size 176
		.amdhsa_user_sgpr_count 6
		.amdhsa_user_sgpr_private_segment_buffer 1
		.amdhsa_user_sgpr_dispatch_ptr 0
		.amdhsa_user_sgpr_queue_ptr 0
		.amdhsa_user_sgpr_kernarg_segment_ptr 1
		.amdhsa_user_sgpr_dispatch_id 0
		.amdhsa_user_sgpr_flat_scratch_init 0
		.amdhsa_user_sgpr_private_segment_size 0
		.amdhsa_uses_dynamic_stack 0
		.amdhsa_system_sgpr_private_segment_wavefront_offset 0
		.amdhsa_system_sgpr_workgroup_id_x 1
		.amdhsa_system_sgpr_workgroup_id_y 0
		.amdhsa_system_sgpr_workgroup_id_z 0
		.amdhsa_system_sgpr_workgroup_info 0
		.amdhsa_system_vgpr_workitem_id 0
		.amdhsa_next_free_vgpr 86
		.amdhsa_next_free_sgpr 98
		.amdhsa_reserve_vcc 1
		.amdhsa_reserve_flat_scratch 0
		.amdhsa_float_round_mode_32 0
		.amdhsa_float_round_mode_16_64 0
		.amdhsa_float_denorm_mode_32 3
		.amdhsa_float_denorm_mode_16_64 3
		.amdhsa_dx10_clamp 1
		.amdhsa_ieee_mode 1
		.amdhsa_fp16_overflow 0
		.amdhsa_exception_fp_ieee_invalid_op 0
		.amdhsa_exception_fp_denorm_src 0
		.amdhsa_exception_fp_ieee_div_zero 0
		.amdhsa_exception_fp_ieee_overflow 0
		.amdhsa_exception_fp_ieee_underflow 0
		.amdhsa_exception_fp_ieee_inexact 0
		.amdhsa_exception_int_div_zero 0
	.end_amdhsa_kernel
	.section	.text._ZN7rocprim17ROCPRIM_400000_NS6detail17trampoline_kernelINS0_13select_configILj256ELj13ELNS0_17block_load_methodE3ELS4_3ELS4_3ELNS0_20block_scan_algorithmE0ELj4294967295EEENS1_25partition_config_selectorILNS1_17partition_subalgoE4EjNS0_10empty_typeEbEEZZNS1_14partition_implILS8_4ELb0ES6_15HIP_vector_typeIjLj2EENS0_17counting_iteratorIjlEEPS9_SG_NS0_5tupleIJPjSI_NS0_16reverse_iteratorISI_EEEEENSH_IJSG_SG_SG_EEES9_SI_JZNS1_25segmented_radix_sort_implINS0_14default_configELb1EPKfPfPKlPlN2at6native12_GLOBAL__N_18offset_tEEE10hipError_tPvRmT1_PNSt15iterator_traitsIS12_E10value_typeET2_T3_PNS13_IS18_E10value_typeET4_jRbjT5_S1E_jjP12ihipStream_tbEUljE_ZNSN_ISO_Lb1ESQ_SR_ST_SU_SY_EESZ_S10_S11_S12_S16_S17_S18_S1B_S1C_jS1D_jS1E_S1E_jjS1G_bEUljE0_EEESZ_S10_S11_S18_S1C_S1E_T6_T7_T9_mT8_S1G_bDpT10_ENKUlT_T0_E_clISt17integral_constantIbLb0EES1U_EEDaS1P_S1Q_EUlS1P_E_NS1_11comp_targetILNS1_3genE2ELNS1_11target_archE906ELNS1_3gpuE6ELNS1_3repE0EEENS1_30default_config_static_selectorELNS0_4arch9wavefront6targetE1EEEvS12_,"axG",@progbits,_ZN7rocprim17ROCPRIM_400000_NS6detail17trampoline_kernelINS0_13select_configILj256ELj13ELNS0_17block_load_methodE3ELS4_3ELS4_3ELNS0_20block_scan_algorithmE0ELj4294967295EEENS1_25partition_config_selectorILNS1_17partition_subalgoE4EjNS0_10empty_typeEbEEZZNS1_14partition_implILS8_4ELb0ES6_15HIP_vector_typeIjLj2EENS0_17counting_iteratorIjlEEPS9_SG_NS0_5tupleIJPjSI_NS0_16reverse_iteratorISI_EEEEENSH_IJSG_SG_SG_EEES9_SI_JZNS1_25segmented_radix_sort_implINS0_14default_configELb1EPKfPfPKlPlN2at6native12_GLOBAL__N_18offset_tEEE10hipError_tPvRmT1_PNSt15iterator_traitsIS12_E10value_typeET2_T3_PNS13_IS18_E10value_typeET4_jRbjT5_S1E_jjP12ihipStream_tbEUljE_ZNSN_ISO_Lb1ESQ_SR_ST_SU_SY_EESZ_S10_S11_S12_S16_S17_S18_S1B_S1C_jS1D_jS1E_S1E_jjS1G_bEUljE0_EEESZ_S10_S11_S18_S1C_S1E_T6_T7_T9_mT8_S1G_bDpT10_ENKUlT_T0_E_clISt17integral_constantIbLb0EES1U_EEDaS1P_S1Q_EUlS1P_E_NS1_11comp_targetILNS1_3genE2ELNS1_11target_archE906ELNS1_3gpuE6ELNS1_3repE0EEENS1_30default_config_static_selectorELNS0_4arch9wavefront6targetE1EEEvS12_,comdat
.Lfunc_end1265:
	.size	_ZN7rocprim17ROCPRIM_400000_NS6detail17trampoline_kernelINS0_13select_configILj256ELj13ELNS0_17block_load_methodE3ELS4_3ELS4_3ELNS0_20block_scan_algorithmE0ELj4294967295EEENS1_25partition_config_selectorILNS1_17partition_subalgoE4EjNS0_10empty_typeEbEEZZNS1_14partition_implILS8_4ELb0ES6_15HIP_vector_typeIjLj2EENS0_17counting_iteratorIjlEEPS9_SG_NS0_5tupleIJPjSI_NS0_16reverse_iteratorISI_EEEEENSH_IJSG_SG_SG_EEES9_SI_JZNS1_25segmented_radix_sort_implINS0_14default_configELb1EPKfPfPKlPlN2at6native12_GLOBAL__N_18offset_tEEE10hipError_tPvRmT1_PNSt15iterator_traitsIS12_E10value_typeET2_T3_PNS13_IS18_E10value_typeET4_jRbjT5_S1E_jjP12ihipStream_tbEUljE_ZNSN_ISO_Lb1ESQ_SR_ST_SU_SY_EESZ_S10_S11_S12_S16_S17_S18_S1B_S1C_jS1D_jS1E_S1E_jjS1G_bEUljE0_EEESZ_S10_S11_S18_S1C_S1E_T6_T7_T9_mT8_S1G_bDpT10_ENKUlT_T0_E_clISt17integral_constantIbLb0EES1U_EEDaS1P_S1Q_EUlS1P_E_NS1_11comp_targetILNS1_3genE2ELNS1_11target_archE906ELNS1_3gpuE6ELNS1_3repE0EEENS1_30default_config_static_selectorELNS0_4arch9wavefront6targetE1EEEvS12_, .Lfunc_end1265-_ZN7rocprim17ROCPRIM_400000_NS6detail17trampoline_kernelINS0_13select_configILj256ELj13ELNS0_17block_load_methodE3ELS4_3ELS4_3ELNS0_20block_scan_algorithmE0ELj4294967295EEENS1_25partition_config_selectorILNS1_17partition_subalgoE4EjNS0_10empty_typeEbEEZZNS1_14partition_implILS8_4ELb0ES6_15HIP_vector_typeIjLj2EENS0_17counting_iteratorIjlEEPS9_SG_NS0_5tupleIJPjSI_NS0_16reverse_iteratorISI_EEEEENSH_IJSG_SG_SG_EEES9_SI_JZNS1_25segmented_radix_sort_implINS0_14default_configELb1EPKfPfPKlPlN2at6native12_GLOBAL__N_18offset_tEEE10hipError_tPvRmT1_PNSt15iterator_traitsIS12_E10value_typeET2_T3_PNS13_IS18_E10value_typeET4_jRbjT5_S1E_jjP12ihipStream_tbEUljE_ZNSN_ISO_Lb1ESQ_SR_ST_SU_SY_EESZ_S10_S11_S12_S16_S17_S18_S1B_S1C_jS1D_jS1E_S1E_jjS1G_bEUljE0_EEESZ_S10_S11_S18_S1C_S1E_T6_T7_T9_mT8_S1G_bDpT10_ENKUlT_T0_E_clISt17integral_constantIbLb0EES1U_EEDaS1P_S1Q_EUlS1P_E_NS1_11comp_targetILNS1_3genE2ELNS1_11target_archE906ELNS1_3gpuE6ELNS1_3repE0EEENS1_30default_config_static_selectorELNS0_4arch9wavefront6targetE1EEEvS12_
                                        ; -- End function
	.set _ZN7rocprim17ROCPRIM_400000_NS6detail17trampoline_kernelINS0_13select_configILj256ELj13ELNS0_17block_load_methodE3ELS4_3ELS4_3ELNS0_20block_scan_algorithmE0ELj4294967295EEENS1_25partition_config_selectorILNS1_17partition_subalgoE4EjNS0_10empty_typeEbEEZZNS1_14partition_implILS8_4ELb0ES6_15HIP_vector_typeIjLj2EENS0_17counting_iteratorIjlEEPS9_SG_NS0_5tupleIJPjSI_NS0_16reverse_iteratorISI_EEEEENSH_IJSG_SG_SG_EEES9_SI_JZNS1_25segmented_radix_sort_implINS0_14default_configELb1EPKfPfPKlPlN2at6native12_GLOBAL__N_18offset_tEEE10hipError_tPvRmT1_PNSt15iterator_traitsIS12_E10value_typeET2_T3_PNS13_IS18_E10value_typeET4_jRbjT5_S1E_jjP12ihipStream_tbEUljE_ZNSN_ISO_Lb1ESQ_SR_ST_SU_SY_EESZ_S10_S11_S12_S16_S17_S18_S1B_S1C_jS1D_jS1E_S1E_jjS1G_bEUljE0_EEESZ_S10_S11_S18_S1C_S1E_T6_T7_T9_mT8_S1G_bDpT10_ENKUlT_T0_E_clISt17integral_constantIbLb0EES1U_EEDaS1P_S1Q_EUlS1P_E_NS1_11comp_targetILNS1_3genE2ELNS1_11target_archE906ELNS1_3gpuE6ELNS1_3repE0EEENS1_30default_config_static_selectorELNS0_4arch9wavefront6targetE1EEEvS12_.num_vgpr, 86
	.set _ZN7rocprim17ROCPRIM_400000_NS6detail17trampoline_kernelINS0_13select_configILj256ELj13ELNS0_17block_load_methodE3ELS4_3ELS4_3ELNS0_20block_scan_algorithmE0ELj4294967295EEENS1_25partition_config_selectorILNS1_17partition_subalgoE4EjNS0_10empty_typeEbEEZZNS1_14partition_implILS8_4ELb0ES6_15HIP_vector_typeIjLj2EENS0_17counting_iteratorIjlEEPS9_SG_NS0_5tupleIJPjSI_NS0_16reverse_iteratorISI_EEEEENSH_IJSG_SG_SG_EEES9_SI_JZNS1_25segmented_radix_sort_implINS0_14default_configELb1EPKfPfPKlPlN2at6native12_GLOBAL__N_18offset_tEEE10hipError_tPvRmT1_PNSt15iterator_traitsIS12_E10value_typeET2_T3_PNS13_IS18_E10value_typeET4_jRbjT5_S1E_jjP12ihipStream_tbEUljE_ZNSN_ISO_Lb1ESQ_SR_ST_SU_SY_EESZ_S10_S11_S12_S16_S17_S18_S1B_S1C_jS1D_jS1E_S1E_jjS1G_bEUljE0_EEESZ_S10_S11_S18_S1C_S1E_T6_T7_T9_mT8_S1G_bDpT10_ENKUlT_T0_E_clISt17integral_constantIbLb0EES1U_EEDaS1P_S1Q_EUlS1P_E_NS1_11comp_targetILNS1_3genE2ELNS1_11target_archE906ELNS1_3gpuE6ELNS1_3repE0EEENS1_30default_config_static_selectorELNS0_4arch9wavefront6targetE1EEEvS12_.num_agpr, 0
	.set _ZN7rocprim17ROCPRIM_400000_NS6detail17trampoline_kernelINS0_13select_configILj256ELj13ELNS0_17block_load_methodE3ELS4_3ELS4_3ELNS0_20block_scan_algorithmE0ELj4294967295EEENS1_25partition_config_selectorILNS1_17partition_subalgoE4EjNS0_10empty_typeEbEEZZNS1_14partition_implILS8_4ELb0ES6_15HIP_vector_typeIjLj2EENS0_17counting_iteratorIjlEEPS9_SG_NS0_5tupleIJPjSI_NS0_16reverse_iteratorISI_EEEEENSH_IJSG_SG_SG_EEES9_SI_JZNS1_25segmented_radix_sort_implINS0_14default_configELb1EPKfPfPKlPlN2at6native12_GLOBAL__N_18offset_tEEE10hipError_tPvRmT1_PNSt15iterator_traitsIS12_E10value_typeET2_T3_PNS13_IS18_E10value_typeET4_jRbjT5_S1E_jjP12ihipStream_tbEUljE_ZNSN_ISO_Lb1ESQ_SR_ST_SU_SY_EESZ_S10_S11_S12_S16_S17_S18_S1B_S1C_jS1D_jS1E_S1E_jjS1G_bEUljE0_EEESZ_S10_S11_S18_S1C_S1E_T6_T7_T9_mT8_S1G_bDpT10_ENKUlT_T0_E_clISt17integral_constantIbLb0EES1U_EEDaS1P_S1Q_EUlS1P_E_NS1_11comp_targetILNS1_3genE2ELNS1_11target_archE906ELNS1_3gpuE6ELNS1_3repE0EEENS1_30default_config_static_selectorELNS0_4arch9wavefront6targetE1EEEvS12_.numbered_sgpr, 90
	.set _ZN7rocprim17ROCPRIM_400000_NS6detail17trampoline_kernelINS0_13select_configILj256ELj13ELNS0_17block_load_methodE3ELS4_3ELS4_3ELNS0_20block_scan_algorithmE0ELj4294967295EEENS1_25partition_config_selectorILNS1_17partition_subalgoE4EjNS0_10empty_typeEbEEZZNS1_14partition_implILS8_4ELb0ES6_15HIP_vector_typeIjLj2EENS0_17counting_iteratorIjlEEPS9_SG_NS0_5tupleIJPjSI_NS0_16reverse_iteratorISI_EEEEENSH_IJSG_SG_SG_EEES9_SI_JZNS1_25segmented_radix_sort_implINS0_14default_configELb1EPKfPfPKlPlN2at6native12_GLOBAL__N_18offset_tEEE10hipError_tPvRmT1_PNSt15iterator_traitsIS12_E10value_typeET2_T3_PNS13_IS18_E10value_typeET4_jRbjT5_S1E_jjP12ihipStream_tbEUljE_ZNSN_ISO_Lb1ESQ_SR_ST_SU_SY_EESZ_S10_S11_S12_S16_S17_S18_S1B_S1C_jS1D_jS1E_S1E_jjS1G_bEUljE0_EEESZ_S10_S11_S18_S1C_S1E_T6_T7_T9_mT8_S1G_bDpT10_ENKUlT_T0_E_clISt17integral_constantIbLb0EES1U_EEDaS1P_S1Q_EUlS1P_E_NS1_11comp_targetILNS1_3genE2ELNS1_11target_archE906ELNS1_3gpuE6ELNS1_3repE0EEENS1_30default_config_static_selectorELNS0_4arch9wavefront6targetE1EEEvS12_.num_named_barrier, 0
	.set _ZN7rocprim17ROCPRIM_400000_NS6detail17trampoline_kernelINS0_13select_configILj256ELj13ELNS0_17block_load_methodE3ELS4_3ELS4_3ELNS0_20block_scan_algorithmE0ELj4294967295EEENS1_25partition_config_selectorILNS1_17partition_subalgoE4EjNS0_10empty_typeEbEEZZNS1_14partition_implILS8_4ELb0ES6_15HIP_vector_typeIjLj2EENS0_17counting_iteratorIjlEEPS9_SG_NS0_5tupleIJPjSI_NS0_16reverse_iteratorISI_EEEEENSH_IJSG_SG_SG_EEES9_SI_JZNS1_25segmented_radix_sort_implINS0_14default_configELb1EPKfPfPKlPlN2at6native12_GLOBAL__N_18offset_tEEE10hipError_tPvRmT1_PNSt15iterator_traitsIS12_E10value_typeET2_T3_PNS13_IS18_E10value_typeET4_jRbjT5_S1E_jjP12ihipStream_tbEUljE_ZNSN_ISO_Lb1ESQ_SR_ST_SU_SY_EESZ_S10_S11_S12_S16_S17_S18_S1B_S1C_jS1D_jS1E_S1E_jjS1G_bEUljE0_EEESZ_S10_S11_S18_S1C_S1E_T6_T7_T9_mT8_S1G_bDpT10_ENKUlT_T0_E_clISt17integral_constantIbLb0EES1U_EEDaS1P_S1Q_EUlS1P_E_NS1_11comp_targetILNS1_3genE2ELNS1_11target_archE906ELNS1_3gpuE6ELNS1_3repE0EEENS1_30default_config_static_selectorELNS0_4arch9wavefront6targetE1EEEvS12_.private_seg_size, 0
	.set _ZN7rocprim17ROCPRIM_400000_NS6detail17trampoline_kernelINS0_13select_configILj256ELj13ELNS0_17block_load_methodE3ELS4_3ELS4_3ELNS0_20block_scan_algorithmE0ELj4294967295EEENS1_25partition_config_selectorILNS1_17partition_subalgoE4EjNS0_10empty_typeEbEEZZNS1_14partition_implILS8_4ELb0ES6_15HIP_vector_typeIjLj2EENS0_17counting_iteratorIjlEEPS9_SG_NS0_5tupleIJPjSI_NS0_16reverse_iteratorISI_EEEEENSH_IJSG_SG_SG_EEES9_SI_JZNS1_25segmented_radix_sort_implINS0_14default_configELb1EPKfPfPKlPlN2at6native12_GLOBAL__N_18offset_tEEE10hipError_tPvRmT1_PNSt15iterator_traitsIS12_E10value_typeET2_T3_PNS13_IS18_E10value_typeET4_jRbjT5_S1E_jjP12ihipStream_tbEUljE_ZNSN_ISO_Lb1ESQ_SR_ST_SU_SY_EESZ_S10_S11_S12_S16_S17_S18_S1B_S1C_jS1D_jS1E_S1E_jjS1G_bEUljE0_EEESZ_S10_S11_S18_S1C_S1E_T6_T7_T9_mT8_S1G_bDpT10_ENKUlT_T0_E_clISt17integral_constantIbLb0EES1U_EEDaS1P_S1Q_EUlS1P_E_NS1_11comp_targetILNS1_3genE2ELNS1_11target_archE906ELNS1_3gpuE6ELNS1_3repE0EEENS1_30default_config_static_selectorELNS0_4arch9wavefront6targetE1EEEvS12_.uses_vcc, 1
	.set _ZN7rocprim17ROCPRIM_400000_NS6detail17trampoline_kernelINS0_13select_configILj256ELj13ELNS0_17block_load_methodE3ELS4_3ELS4_3ELNS0_20block_scan_algorithmE0ELj4294967295EEENS1_25partition_config_selectorILNS1_17partition_subalgoE4EjNS0_10empty_typeEbEEZZNS1_14partition_implILS8_4ELb0ES6_15HIP_vector_typeIjLj2EENS0_17counting_iteratorIjlEEPS9_SG_NS0_5tupleIJPjSI_NS0_16reverse_iteratorISI_EEEEENSH_IJSG_SG_SG_EEES9_SI_JZNS1_25segmented_radix_sort_implINS0_14default_configELb1EPKfPfPKlPlN2at6native12_GLOBAL__N_18offset_tEEE10hipError_tPvRmT1_PNSt15iterator_traitsIS12_E10value_typeET2_T3_PNS13_IS18_E10value_typeET4_jRbjT5_S1E_jjP12ihipStream_tbEUljE_ZNSN_ISO_Lb1ESQ_SR_ST_SU_SY_EESZ_S10_S11_S12_S16_S17_S18_S1B_S1C_jS1D_jS1E_S1E_jjS1G_bEUljE0_EEESZ_S10_S11_S18_S1C_S1E_T6_T7_T9_mT8_S1G_bDpT10_ENKUlT_T0_E_clISt17integral_constantIbLb0EES1U_EEDaS1P_S1Q_EUlS1P_E_NS1_11comp_targetILNS1_3genE2ELNS1_11target_archE906ELNS1_3gpuE6ELNS1_3repE0EEENS1_30default_config_static_selectorELNS0_4arch9wavefront6targetE1EEEvS12_.uses_flat_scratch, 0
	.set _ZN7rocprim17ROCPRIM_400000_NS6detail17trampoline_kernelINS0_13select_configILj256ELj13ELNS0_17block_load_methodE3ELS4_3ELS4_3ELNS0_20block_scan_algorithmE0ELj4294967295EEENS1_25partition_config_selectorILNS1_17partition_subalgoE4EjNS0_10empty_typeEbEEZZNS1_14partition_implILS8_4ELb0ES6_15HIP_vector_typeIjLj2EENS0_17counting_iteratorIjlEEPS9_SG_NS0_5tupleIJPjSI_NS0_16reverse_iteratorISI_EEEEENSH_IJSG_SG_SG_EEES9_SI_JZNS1_25segmented_radix_sort_implINS0_14default_configELb1EPKfPfPKlPlN2at6native12_GLOBAL__N_18offset_tEEE10hipError_tPvRmT1_PNSt15iterator_traitsIS12_E10value_typeET2_T3_PNS13_IS18_E10value_typeET4_jRbjT5_S1E_jjP12ihipStream_tbEUljE_ZNSN_ISO_Lb1ESQ_SR_ST_SU_SY_EESZ_S10_S11_S12_S16_S17_S18_S1B_S1C_jS1D_jS1E_S1E_jjS1G_bEUljE0_EEESZ_S10_S11_S18_S1C_S1E_T6_T7_T9_mT8_S1G_bDpT10_ENKUlT_T0_E_clISt17integral_constantIbLb0EES1U_EEDaS1P_S1Q_EUlS1P_E_NS1_11comp_targetILNS1_3genE2ELNS1_11target_archE906ELNS1_3gpuE6ELNS1_3repE0EEENS1_30default_config_static_selectorELNS0_4arch9wavefront6targetE1EEEvS12_.has_dyn_sized_stack, 0
	.set _ZN7rocprim17ROCPRIM_400000_NS6detail17trampoline_kernelINS0_13select_configILj256ELj13ELNS0_17block_load_methodE3ELS4_3ELS4_3ELNS0_20block_scan_algorithmE0ELj4294967295EEENS1_25partition_config_selectorILNS1_17partition_subalgoE4EjNS0_10empty_typeEbEEZZNS1_14partition_implILS8_4ELb0ES6_15HIP_vector_typeIjLj2EENS0_17counting_iteratorIjlEEPS9_SG_NS0_5tupleIJPjSI_NS0_16reverse_iteratorISI_EEEEENSH_IJSG_SG_SG_EEES9_SI_JZNS1_25segmented_radix_sort_implINS0_14default_configELb1EPKfPfPKlPlN2at6native12_GLOBAL__N_18offset_tEEE10hipError_tPvRmT1_PNSt15iterator_traitsIS12_E10value_typeET2_T3_PNS13_IS18_E10value_typeET4_jRbjT5_S1E_jjP12ihipStream_tbEUljE_ZNSN_ISO_Lb1ESQ_SR_ST_SU_SY_EESZ_S10_S11_S12_S16_S17_S18_S1B_S1C_jS1D_jS1E_S1E_jjS1G_bEUljE0_EEESZ_S10_S11_S18_S1C_S1E_T6_T7_T9_mT8_S1G_bDpT10_ENKUlT_T0_E_clISt17integral_constantIbLb0EES1U_EEDaS1P_S1Q_EUlS1P_E_NS1_11comp_targetILNS1_3genE2ELNS1_11target_archE906ELNS1_3gpuE6ELNS1_3repE0EEENS1_30default_config_static_selectorELNS0_4arch9wavefront6targetE1EEEvS12_.has_recursion, 0
	.set _ZN7rocprim17ROCPRIM_400000_NS6detail17trampoline_kernelINS0_13select_configILj256ELj13ELNS0_17block_load_methodE3ELS4_3ELS4_3ELNS0_20block_scan_algorithmE0ELj4294967295EEENS1_25partition_config_selectorILNS1_17partition_subalgoE4EjNS0_10empty_typeEbEEZZNS1_14partition_implILS8_4ELb0ES6_15HIP_vector_typeIjLj2EENS0_17counting_iteratorIjlEEPS9_SG_NS0_5tupleIJPjSI_NS0_16reverse_iteratorISI_EEEEENSH_IJSG_SG_SG_EEES9_SI_JZNS1_25segmented_radix_sort_implINS0_14default_configELb1EPKfPfPKlPlN2at6native12_GLOBAL__N_18offset_tEEE10hipError_tPvRmT1_PNSt15iterator_traitsIS12_E10value_typeET2_T3_PNS13_IS18_E10value_typeET4_jRbjT5_S1E_jjP12ihipStream_tbEUljE_ZNSN_ISO_Lb1ESQ_SR_ST_SU_SY_EESZ_S10_S11_S12_S16_S17_S18_S1B_S1C_jS1D_jS1E_S1E_jjS1G_bEUljE0_EEESZ_S10_S11_S18_S1C_S1E_T6_T7_T9_mT8_S1G_bDpT10_ENKUlT_T0_E_clISt17integral_constantIbLb0EES1U_EEDaS1P_S1Q_EUlS1P_E_NS1_11comp_targetILNS1_3genE2ELNS1_11target_archE906ELNS1_3gpuE6ELNS1_3repE0EEENS1_30default_config_static_selectorELNS0_4arch9wavefront6targetE1EEEvS12_.has_indirect_call, 0
	.section	.AMDGPU.csdata,"",@progbits
; Kernel info:
; codeLenInByte = 15480
; TotalNumSgprs: 94
; NumVgprs: 86
; ScratchSize: 0
; MemoryBound: 0
; FloatMode: 240
; IeeeMode: 1
; LDSByteSize: 13328 bytes/workgroup (compile time only)
; SGPRBlocks: 12
; VGPRBlocks: 21
; NumSGPRsForWavesPerEU: 102
; NumVGPRsForWavesPerEU: 86
; Occupancy: 2
; WaveLimiterHint : 1
; COMPUTE_PGM_RSRC2:SCRATCH_EN: 0
; COMPUTE_PGM_RSRC2:USER_SGPR: 6
; COMPUTE_PGM_RSRC2:TRAP_HANDLER: 0
; COMPUTE_PGM_RSRC2:TGID_X_EN: 1
; COMPUTE_PGM_RSRC2:TGID_Y_EN: 0
; COMPUTE_PGM_RSRC2:TGID_Z_EN: 0
; COMPUTE_PGM_RSRC2:TIDIG_COMP_CNT: 0
	.section	.text._ZN7rocprim17ROCPRIM_400000_NS6detail17trampoline_kernelINS0_13select_configILj256ELj13ELNS0_17block_load_methodE3ELS4_3ELS4_3ELNS0_20block_scan_algorithmE0ELj4294967295EEENS1_25partition_config_selectorILNS1_17partition_subalgoE4EjNS0_10empty_typeEbEEZZNS1_14partition_implILS8_4ELb0ES6_15HIP_vector_typeIjLj2EENS0_17counting_iteratorIjlEEPS9_SG_NS0_5tupleIJPjSI_NS0_16reverse_iteratorISI_EEEEENSH_IJSG_SG_SG_EEES9_SI_JZNS1_25segmented_radix_sort_implINS0_14default_configELb1EPKfPfPKlPlN2at6native12_GLOBAL__N_18offset_tEEE10hipError_tPvRmT1_PNSt15iterator_traitsIS12_E10value_typeET2_T3_PNS13_IS18_E10value_typeET4_jRbjT5_S1E_jjP12ihipStream_tbEUljE_ZNSN_ISO_Lb1ESQ_SR_ST_SU_SY_EESZ_S10_S11_S12_S16_S17_S18_S1B_S1C_jS1D_jS1E_S1E_jjS1G_bEUljE0_EEESZ_S10_S11_S18_S1C_S1E_T6_T7_T9_mT8_S1G_bDpT10_ENKUlT_T0_E_clISt17integral_constantIbLb0EES1U_EEDaS1P_S1Q_EUlS1P_E_NS1_11comp_targetILNS1_3genE10ELNS1_11target_archE1200ELNS1_3gpuE4ELNS1_3repE0EEENS1_30default_config_static_selectorELNS0_4arch9wavefront6targetE1EEEvS12_,"axG",@progbits,_ZN7rocprim17ROCPRIM_400000_NS6detail17trampoline_kernelINS0_13select_configILj256ELj13ELNS0_17block_load_methodE3ELS4_3ELS4_3ELNS0_20block_scan_algorithmE0ELj4294967295EEENS1_25partition_config_selectorILNS1_17partition_subalgoE4EjNS0_10empty_typeEbEEZZNS1_14partition_implILS8_4ELb0ES6_15HIP_vector_typeIjLj2EENS0_17counting_iteratorIjlEEPS9_SG_NS0_5tupleIJPjSI_NS0_16reverse_iteratorISI_EEEEENSH_IJSG_SG_SG_EEES9_SI_JZNS1_25segmented_radix_sort_implINS0_14default_configELb1EPKfPfPKlPlN2at6native12_GLOBAL__N_18offset_tEEE10hipError_tPvRmT1_PNSt15iterator_traitsIS12_E10value_typeET2_T3_PNS13_IS18_E10value_typeET4_jRbjT5_S1E_jjP12ihipStream_tbEUljE_ZNSN_ISO_Lb1ESQ_SR_ST_SU_SY_EESZ_S10_S11_S12_S16_S17_S18_S1B_S1C_jS1D_jS1E_S1E_jjS1G_bEUljE0_EEESZ_S10_S11_S18_S1C_S1E_T6_T7_T9_mT8_S1G_bDpT10_ENKUlT_T0_E_clISt17integral_constantIbLb0EES1U_EEDaS1P_S1Q_EUlS1P_E_NS1_11comp_targetILNS1_3genE10ELNS1_11target_archE1200ELNS1_3gpuE4ELNS1_3repE0EEENS1_30default_config_static_selectorELNS0_4arch9wavefront6targetE1EEEvS12_,comdat
	.globl	_ZN7rocprim17ROCPRIM_400000_NS6detail17trampoline_kernelINS0_13select_configILj256ELj13ELNS0_17block_load_methodE3ELS4_3ELS4_3ELNS0_20block_scan_algorithmE0ELj4294967295EEENS1_25partition_config_selectorILNS1_17partition_subalgoE4EjNS0_10empty_typeEbEEZZNS1_14partition_implILS8_4ELb0ES6_15HIP_vector_typeIjLj2EENS0_17counting_iteratorIjlEEPS9_SG_NS0_5tupleIJPjSI_NS0_16reverse_iteratorISI_EEEEENSH_IJSG_SG_SG_EEES9_SI_JZNS1_25segmented_radix_sort_implINS0_14default_configELb1EPKfPfPKlPlN2at6native12_GLOBAL__N_18offset_tEEE10hipError_tPvRmT1_PNSt15iterator_traitsIS12_E10value_typeET2_T3_PNS13_IS18_E10value_typeET4_jRbjT5_S1E_jjP12ihipStream_tbEUljE_ZNSN_ISO_Lb1ESQ_SR_ST_SU_SY_EESZ_S10_S11_S12_S16_S17_S18_S1B_S1C_jS1D_jS1E_S1E_jjS1G_bEUljE0_EEESZ_S10_S11_S18_S1C_S1E_T6_T7_T9_mT8_S1G_bDpT10_ENKUlT_T0_E_clISt17integral_constantIbLb0EES1U_EEDaS1P_S1Q_EUlS1P_E_NS1_11comp_targetILNS1_3genE10ELNS1_11target_archE1200ELNS1_3gpuE4ELNS1_3repE0EEENS1_30default_config_static_selectorELNS0_4arch9wavefront6targetE1EEEvS12_ ; -- Begin function _ZN7rocprim17ROCPRIM_400000_NS6detail17trampoline_kernelINS0_13select_configILj256ELj13ELNS0_17block_load_methodE3ELS4_3ELS4_3ELNS0_20block_scan_algorithmE0ELj4294967295EEENS1_25partition_config_selectorILNS1_17partition_subalgoE4EjNS0_10empty_typeEbEEZZNS1_14partition_implILS8_4ELb0ES6_15HIP_vector_typeIjLj2EENS0_17counting_iteratorIjlEEPS9_SG_NS0_5tupleIJPjSI_NS0_16reverse_iteratorISI_EEEEENSH_IJSG_SG_SG_EEES9_SI_JZNS1_25segmented_radix_sort_implINS0_14default_configELb1EPKfPfPKlPlN2at6native12_GLOBAL__N_18offset_tEEE10hipError_tPvRmT1_PNSt15iterator_traitsIS12_E10value_typeET2_T3_PNS13_IS18_E10value_typeET4_jRbjT5_S1E_jjP12ihipStream_tbEUljE_ZNSN_ISO_Lb1ESQ_SR_ST_SU_SY_EESZ_S10_S11_S12_S16_S17_S18_S1B_S1C_jS1D_jS1E_S1E_jjS1G_bEUljE0_EEESZ_S10_S11_S18_S1C_S1E_T6_T7_T9_mT8_S1G_bDpT10_ENKUlT_T0_E_clISt17integral_constantIbLb0EES1U_EEDaS1P_S1Q_EUlS1P_E_NS1_11comp_targetILNS1_3genE10ELNS1_11target_archE1200ELNS1_3gpuE4ELNS1_3repE0EEENS1_30default_config_static_selectorELNS0_4arch9wavefront6targetE1EEEvS12_
	.p2align	8
	.type	_ZN7rocprim17ROCPRIM_400000_NS6detail17trampoline_kernelINS0_13select_configILj256ELj13ELNS0_17block_load_methodE3ELS4_3ELS4_3ELNS0_20block_scan_algorithmE0ELj4294967295EEENS1_25partition_config_selectorILNS1_17partition_subalgoE4EjNS0_10empty_typeEbEEZZNS1_14partition_implILS8_4ELb0ES6_15HIP_vector_typeIjLj2EENS0_17counting_iteratorIjlEEPS9_SG_NS0_5tupleIJPjSI_NS0_16reverse_iteratorISI_EEEEENSH_IJSG_SG_SG_EEES9_SI_JZNS1_25segmented_radix_sort_implINS0_14default_configELb1EPKfPfPKlPlN2at6native12_GLOBAL__N_18offset_tEEE10hipError_tPvRmT1_PNSt15iterator_traitsIS12_E10value_typeET2_T3_PNS13_IS18_E10value_typeET4_jRbjT5_S1E_jjP12ihipStream_tbEUljE_ZNSN_ISO_Lb1ESQ_SR_ST_SU_SY_EESZ_S10_S11_S12_S16_S17_S18_S1B_S1C_jS1D_jS1E_S1E_jjS1G_bEUljE0_EEESZ_S10_S11_S18_S1C_S1E_T6_T7_T9_mT8_S1G_bDpT10_ENKUlT_T0_E_clISt17integral_constantIbLb0EES1U_EEDaS1P_S1Q_EUlS1P_E_NS1_11comp_targetILNS1_3genE10ELNS1_11target_archE1200ELNS1_3gpuE4ELNS1_3repE0EEENS1_30default_config_static_selectorELNS0_4arch9wavefront6targetE1EEEvS12_,@function
_ZN7rocprim17ROCPRIM_400000_NS6detail17trampoline_kernelINS0_13select_configILj256ELj13ELNS0_17block_load_methodE3ELS4_3ELS4_3ELNS0_20block_scan_algorithmE0ELj4294967295EEENS1_25partition_config_selectorILNS1_17partition_subalgoE4EjNS0_10empty_typeEbEEZZNS1_14partition_implILS8_4ELb0ES6_15HIP_vector_typeIjLj2EENS0_17counting_iteratorIjlEEPS9_SG_NS0_5tupleIJPjSI_NS0_16reverse_iteratorISI_EEEEENSH_IJSG_SG_SG_EEES9_SI_JZNS1_25segmented_radix_sort_implINS0_14default_configELb1EPKfPfPKlPlN2at6native12_GLOBAL__N_18offset_tEEE10hipError_tPvRmT1_PNSt15iterator_traitsIS12_E10value_typeET2_T3_PNS13_IS18_E10value_typeET4_jRbjT5_S1E_jjP12ihipStream_tbEUljE_ZNSN_ISO_Lb1ESQ_SR_ST_SU_SY_EESZ_S10_S11_S12_S16_S17_S18_S1B_S1C_jS1D_jS1E_S1E_jjS1G_bEUljE0_EEESZ_S10_S11_S18_S1C_S1E_T6_T7_T9_mT8_S1G_bDpT10_ENKUlT_T0_E_clISt17integral_constantIbLb0EES1U_EEDaS1P_S1Q_EUlS1P_E_NS1_11comp_targetILNS1_3genE10ELNS1_11target_archE1200ELNS1_3gpuE4ELNS1_3repE0EEENS1_30default_config_static_selectorELNS0_4arch9wavefront6targetE1EEEvS12_: ; @_ZN7rocprim17ROCPRIM_400000_NS6detail17trampoline_kernelINS0_13select_configILj256ELj13ELNS0_17block_load_methodE3ELS4_3ELS4_3ELNS0_20block_scan_algorithmE0ELj4294967295EEENS1_25partition_config_selectorILNS1_17partition_subalgoE4EjNS0_10empty_typeEbEEZZNS1_14partition_implILS8_4ELb0ES6_15HIP_vector_typeIjLj2EENS0_17counting_iteratorIjlEEPS9_SG_NS0_5tupleIJPjSI_NS0_16reverse_iteratorISI_EEEEENSH_IJSG_SG_SG_EEES9_SI_JZNS1_25segmented_radix_sort_implINS0_14default_configELb1EPKfPfPKlPlN2at6native12_GLOBAL__N_18offset_tEEE10hipError_tPvRmT1_PNSt15iterator_traitsIS12_E10value_typeET2_T3_PNS13_IS18_E10value_typeET4_jRbjT5_S1E_jjP12ihipStream_tbEUljE_ZNSN_ISO_Lb1ESQ_SR_ST_SU_SY_EESZ_S10_S11_S12_S16_S17_S18_S1B_S1C_jS1D_jS1E_S1E_jjS1G_bEUljE0_EEESZ_S10_S11_S18_S1C_S1E_T6_T7_T9_mT8_S1G_bDpT10_ENKUlT_T0_E_clISt17integral_constantIbLb0EES1U_EEDaS1P_S1Q_EUlS1P_E_NS1_11comp_targetILNS1_3genE10ELNS1_11target_archE1200ELNS1_3gpuE4ELNS1_3repE0EEENS1_30default_config_static_selectorELNS0_4arch9wavefront6targetE1EEEvS12_
; %bb.0:
	.section	.rodata,"a",@progbits
	.p2align	6, 0x0
	.amdhsa_kernel _ZN7rocprim17ROCPRIM_400000_NS6detail17trampoline_kernelINS0_13select_configILj256ELj13ELNS0_17block_load_methodE3ELS4_3ELS4_3ELNS0_20block_scan_algorithmE0ELj4294967295EEENS1_25partition_config_selectorILNS1_17partition_subalgoE4EjNS0_10empty_typeEbEEZZNS1_14partition_implILS8_4ELb0ES6_15HIP_vector_typeIjLj2EENS0_17counting_iteratorIjlEEPS9_SG_NS0_5tupleIJPjSI_NS0_16reverse_iteratorISI_EEEEENSH_IJSG_SG_SG_EEES9_SI_JZNS1_25segmented_radix_sort_implINS0_14default_configELb1EPKfPfPKlPlN2at6native12_GLOBAL__N_18offset_tEEE10hipError_tPvRmT1_PNSt15iterator_traitsIS12_E10value_typeET2_T3_PNS13_IS18_E10value_typeET4_jRbjT5_S1E_jjP12ihipStream_tbEUljE_ZNSN_ISO_Lb1ESQ_SR_ST_SU_SY_EESZ_S10_S11_S12_S16_S17_S18_S1B_S1C_jS1D_jS1E_S1E_jjS1G_bEUljE0_EEESZ_S10_S11_S18_S1C_S1E_T6_T7_T9_mT8_S1G_bDpT10_ENKUlT_T0_E_clISt17integral_constantIbLb0EES1U_EEDaS1P_S1Q_EUlS1P_E_NS1_11comp_targetILNS1_3genE10ELNS1_11target_archE1200ELNS1_3gpuE4ELNS1_3repE0EEENS1_30default_config_static_selectorELNS0_4arch9wavefront6targetE1EEEvS12_
		.amdhsa_group_segment_fixed_size 0
		.amdhsa_private_segment_fixed_size 0
		.amdhsa_kernarg_size 176
		.amdhsa_user_sgpr_count 6
		.amdhsa_user_sgpr_private_segment_buffer 1
		.amdhsa_user_sgpr_dispatch_ptr 0
		.amdhsa_user_sgpr_queue_ptr 0
		.amdhsa_user_sgpr_kernarg_segment_ptr 1
		.amdhsa_user_sgpr_dispatch_id 0
		.amdhsa_user_sgpr_flat_scratch_init 0
		.amdhsa_user_sgpr_private_segment_size 0
		.amdhsa_uses_dynamic_stack 0
		.amdhsa_system_sgpr_private_segment_wavefront_offset 0
		.amdhsa_system_sgpr_workgroup_id_x 1
		.amdhsa_system_sgpr_workgroup_id_y 0
		.amdhsa_system_sgpr_workgroup_id_z 0
		.amdhsa_system_sgpr_workgroup_info 0
		.amdhsa_system_vgpr_workitem_id 0
		.amdhsa_next_free_vgpr 1
		.amdhsa_next_free_sgpr 0
		.amdhsa_reserve_vcc 0
		.amdhsa_reserve_flat_scratch 0
		.amdhsa_float_round_mode_32 0
		.amdhsa_float_round_mode_16_64 0
		.amdhsa_float_denorm_mode_32 3
		.amdhsa_float_denorm_mode_16_64 3
		.amdhsa_dx10_clamp 1
		.amdhsa_ieee_mode 1
		.amdhsa_fp16_overflow 0
		.amdhsa_exception_fp_ieee_invalid_op 0
		.amdhsa_exception_fp_denorm_src 0
		.amdhsa_exception_fp_ieee_div_zero 0
		.amdhsa_exception_fp_ieee_overflow 0
		.amdhsa_exception_fp_ieee_underflow 0
		.amdhsa_exception_fp_ieee_inexact 0
		.amdhsa_exception_int_div_zero 0
	.end_amdhsa_kernel
	.section	.text._ZN7rocprim17ROCPRIM_400000_NS6detail17trampoline_kernelINS0_13select_configILj256ELj13ELNS0_17block_load_methodE3ELS4_3ELS4_3ELNS0_20block_scan_algorithmE0ELj4294967295EEENS1_25partition_config_selectorILNS1_17partition_subalgoE4EjNS0_10empty_typeEbEEZZNS1_14partition_implILS8_4ELb0ES6_15HIP_vector_typeIjLj2EENS0_17counting_iteratorIjlEEPS9_SG_NS0_5tupleIJPjSI_NS0_16reverse_iteratorISI_EEEEENSH_IJSG_SG_SG_EEES9_SI_JZNS1_25segmented_radix_sort_implINS0_14default_configELb1EPKfPfPKlPlN2at6native12_GLOBAL__N_18offset_tEEE10hipError_tPvRmT1_PNSt15iterator_traitsIS12_E10value_typeET2_T3_PNS13_IS18_E10value_typeET4_jRbjT5_S1E_jjP12ihipStream_tbEUljE_ZNSN_ISO_Lb1ESQ_SR_ST_SU_SY_EESZ_S10_S11_S12_S16_S17_S18_S1B_S1C_jS1D_jS1E_S1E_jjS1G_bEUljE0_EEESZ_S10_S11_S18_S1C_S1E_T6_T7_T9_mT8_S1G_bDpT10_ENKUlT_T0_E_clISt17integral_constantIbLb0EES1U_EEDaS1P_S1Q_EUlS1P_E_NS1_11comp_targetILNS1_3genE10ELNS1_11target_archE1200ELNS1_3gpuE4ELNS1_3repE0EEENS1_30default_config_static_selectorELNS0_4arch9wavefront6targetE1EEEvS12_,"axG",@progbits,_ZN7rocprim17ROCPRIM_400000_NS6detail17trampoline_kernelINS0_13select_configILj256ELj13ELNS0_17block_load_methodE3ELS4_3ELS4_3ELNS0_20block_scan_algorithmE0ELj4294967295EEENS1_25partition_config_selectorILNS1_17partition_subalgoE4EjNS0_10empty_typeEbEEZZNS1_14partition_implILS8_4ELb0ES6_15HIP_vector_typeIjLj2EENS0_17counting_iteratorIjlEEPS9_SG_NS0_5tupleIJPjSI_NS0_16reverse_iteratorISI_EEEEENSH_IJSG_SG_SG_EEES9_SI_JZNS1_25segmented_radix_sort_implINS0_14default_configELb1EPKfPfPKlPlN2at6native12_GLOBAL__N_18offset_tEEE10hipError_tPvRmT1_PNSt15iterator_traitsIS12_E10value_typeET2_T3_PNS13_IS18_E10value_typeET4_jRbjT5_S1E_jjP12ihipStream_tbEUljE_ZNSN_ISO_Lb1ESQ_SR_ST_SU_SY_EESZ_S10_S11_S12_S16_S17_S18_S1B_S1C_jS1D_jS1E_S1E_jjS1G_bEUljE0_EEESZ_S10_S11_S18_S1C_S1E_T6_T7_T9_mT8_S1G_bDpT10_ENKUlT_T0_E_clISt17integral_constantIbLb0EES1U_EEDaS1P_S1Q_EUlS1P_E_NS1_11comp_targetILNS1_3genE10ELNS1_11target_archE1200ELNS1_3gpuE4ELNS1_3repE0EEENS1_30default_config_static_selectorELNS0_4arch9wavefront6targetE1EEEvS12_,comdat
.Lfunc_end1266:
	.size	_ZN7rocprim17ROCPRIM_400000_NS6detail17trampoline_kernelINS0_13select_configILj256ELj13ELNS0_17block_load_methodE3ELS4_3ELS4_3ELNS0_20block_scan_algorithmE0ELj4294967295EEENS1_25partition_config_selectorILNS1_17partition_subalgoE4EjNS0_10empty_typeEbEEZZNS1_14partition_implILS8_4ELb0ES6_15HIP_vector_typeIjLj2EENS0_17counting_iteratorIjlEEPS9_SG_NS0_5tupleIJPjSI_NS0_16reverse_iteratorISI_EEEEENSH_IJSG_SG_SG_EEES9_SI_JZNS1_25segmented_radix_sort_implINS0_14default_configELb1EPKfPfPKlPlN2at6native12_GLOBAL__N_18offset_tEEE10hipError_tPvRmT1_PNSt15iterator_traitsIS12_E10value_typeET2_T3_PNS13_IS18_E10value_typeET4_jRbjT5_S1E_jjP12ihipStream_tbEUljE_ZNSN_ISO_Lb1ESQ_SR_ST_SU_SY_EESZ_S10_S11_S12_S16_S17_S18_S1B_S1C_jS1D_jS1E_S1E_jjS1G_bEUljE0_EEESZ_S10_S11_S18_S1C_S1E_T6_T7_T9_mT8_S1G_bDpT10_ENKUlT_T0_E_clISt17integral_constantIbLb0EES1U_EEDaS1P_S1Q_EUlS1P_E_NS1_11comp_targetILNS1_3genE10ELNS1_11target_archE1200ELNS1_3gpuE4ELNS1_3repE0EEENS1_30default_config_static_selectorELNS0_4arch9wavefront6targetE1EEEvS12_, .Lfunc_end1266-_ZN7rocprim17ROCPRIM_400000_NS6detail17trampoline_kernelINS0_13select_configILj256ELj13ELNS0_17block_load_methodE3ELS4_3ELS4_3ELNS0_20block_scan_algorithmE0ELj4294967295EEENS1_25partition_config_selectorILNS1_17partition_subalgoE4EjNS0_10empty_typeEbEEZZNS1_14partition_implILS8_4ELb0ES6_15HIP_vector_typeIjLj2EENS0_17counting_iteratorIjlEEPS9_SG_NS0_5tupleIJPjSI_NS0_16reverse_iteratorISI_EEEEENSH_IJSG_SG_SG_EEES9_SI_JZNS1_25segmented_radix_sort_implINS0_14default_configELb1EPKfPfPKlPlN2at6native12_GLOBAL__N_18offset_tEEE10hipError_tPvRmT1_PNSt15iterator_traitsIS12_E10value_typeET2_T3_PNS13_IS18_E10value_typeET4_jRbjT5_S1E_jjP12ihipStream_tbEUljE_ZNSN_ISO_Lb1ESQ_SR_ST_SU_SY_EESZ_S10_S11_S12_S16_S17_S18_S1B_S1C_jS1D_jS1E_S1E_jjS1G_bEUljE0_EEESZ_S10_S11_S18_S1C_S1E_T6_T7_T9_mT8_S1G_bDpT10_ENKUlT_T0_E_clISt17integral_constantIbLb0EES1U_EEDaS1P_S1Q_EUlS1P_E_NS1_11comp_targetILNS1_3genE10ELNS1_11target_archE1200ELNS1_3gpuE4ELNS1_3repE0EEENS1_30default_config_static_selectorELNS0_4arch9wavefront6targetE1EEEvS12_
                                        ; -- End function
	.set _ZN7rocprim17ROCPRIM_400000_NS6detail17trampoline_kernelINS0_13select_configILj256ELj13ELNS0_17block_load_methodE3ELS4_3ELS4_3ELNS0_20block_scan_algorithmE0ELj4294967295EEENS1_25partition_config_selectorILNS1_17partition_subalgoE4EjNS0_10empty_typeEbEEZZNS1_14partition_implILS8_4ELb0ES6_15HIP_vector_typeIjLj2EENS0_17counting_iteratorIjlEEPS9_SG_NS0_5tupleIJPjSI_NS0_16reverse_iteratorISI_EEEEENSH_IJSG_SG_SG_EEES9_SI_JZNS1_25segmented_radix_sort_implINS0_14default_configELb1EPKfPfPKlPlN2at6native12_GLOBAL__N_18offset_tEEE10hipError_tPvRmT1_PNSt15iterator_traitsIS12_E10value_typeET2_T3_PNS13_IS18_E10value_typeET4_jRbjT5_S1E_jjP12ihipStream_tbEUljE_ZNSN_ISO_Lb1ESQ_SR_ST_SU_SY_EESZ_S10_S11_S12_S16_S17_S18_S1B_S1C_jS1D_jS1E_S1E_jjS1G_bEUljE0_EEESZ_S10_S11_S18_S1C_S1E_T6_T7_T9_mT8_S1G_bDpT10_ENKUlT_T0_E_clISt17integral_constantIbLb0EES1U_EEDaS1P_S1Q_EUlS1P_E_NS1_11comp_targetILNS1_3genE10ELNS1_11target_archE1200ELNS1_3gpuE4ELNS1_3repE0EEENS1_30default_config_static_selectorELNS0_4arch9wavefront6targetE1EEEvS12_.num_vgpr, 0
	.set _ZN7rocprim17ROCPRIM_400000_NS6detail17trampoline_kernelINS0_13select_configILj256ELj13ELNS0_17block_load_methodE3ELS4_3ELS4_3ELNS0_20block_scan_algorithmE0ELj4294967295EEENS1_25partition_config_selectorILNS1_17partition_subalgoE4EjNS0_10empty_typeEbEEZZNS1_14partition_implILS8_4ELb0ES6_15HIP_vector_typeIjLj2EENS0_17counting_iteratorIjlEEPS9_SG_NS0_5tupleIJPjSI_NS0_16reverse_iteratorISI_EEEEENSH_IJSG_SG_SG_EEES9_SI_JZNS1_25segmented_radix_sort_implINS0_14default_configELb1EPKfPfPKlPlN2at6native12_GLOBAL__N_18offset_tEEE10hipError_tPvRmT1_PNSt15iterator_traitsIS12_E10value_typeET2_T3_PNS13_IS18_E10value_typeET4_jRbjT5_S1E_jjP12ihipStream_tbEUljE_ZNSN_ISO_Lb1ESQ_SR_ST_SU_SY_EESZ_S10_S11_S12_S16_S17_S18_S1B_S1C_jS1D_jS1E_S1E_jjS1G_bEUljE0_EEESZ_S10_S11_S18_S1C_S1E_T6_T7_T9_mT8_S1G_bDpT10_ENKUlT_T0_E_clISt17integral_constantIbLb0EES1U_EEDaS1P_S1Q_EUlS1P_E_NS1_11comp_targetILNS1_3genE10ELNS1_11target_archE1200ELNS1_3gpuE4ELNS1_3repE0EEENS1_30default_config_static_selectorELNS0_4arch9wavefront6targetE1EEEvS12_.num_agpr, 0
	.set _ZN7rocprim17ROCPRIM_400000_NS6detail17trampoline_kernelINS0_13select_configILj256ELj13ELNS0_17block_load_methodE3ELS4_3ELS4_3ELNS0_20block_scan_algorithmE0ELj4294967295EEENS1_25partition_config_selectorILNS1_17partition_subalgoE4EjNS0_10empty_typeEbEEZZNS1_14partition_implILS8_4ELb0ES6_15HIP_vector_typeIjLj2EENS0_17counting_iteratorIjlEEPS9_SG_NS0_5tupleIJPjSI_NS0_16reverse_iteratorISI_EEEEENSH_IJSG_SG_SG_EEES9_SI_JZNS1_25segmented_radix_sort_implINS0_14default_configELb1EPKfPfPKlPlN2at6native12_GLOBAL__N_18offset_tEEE10hipError_tPvRmT1_PNSt15iterator_traitsIS12_E10value_typeET2_T3_PNS13_IS18_E10value_typeET4_jRbjT5_S1E_jjP12ihipStream_tbEUljE_ZNSN_ISO_Lb1ESQ_SR_ST_SU_SY_EESZ_S10_S11_S12_S16_S17_S18_S1B_S1C_jS1D_jS1E_S1E_jjS1G_bEUljE0_EEESZ_S10_S11_S18_S1C_S1E_T6_T7_T9_mT8_S1G_bDpT10_ENKUlT_T0_E_clISt17integral_constantIbLb0EES1U_EEDaS1P_S1Q_EUlS1P_E_NS1_11comp_targetILNS1_3genE10ELNS1_11target_archE1200ELNS1_3gpuE4ELNS1_3repE0EEENS1_30default_config_static_selectorELNS0_4arch9wavefront6targetE1EEEvS12_.numbered_sgpr, 0
	.set _ZN7rocprim17ROCPRIM_400000_NS6detail17trampoline_kernelINS0_13select_configILj256ELj13ELNS0_17block_load_methodE3ELS4_3ELS4_3ELNS0_20block_scan_algorithmE0ELj4294967295EEENS1_25partition_config_selectorILNS1_17partition_subalgoE4EjNS0_10empty_typeEbEEZZNS1_14partition_implILS8_4ELb0ES6_15HIP_vector_typeIjLj2EENS0_17counting_iteratorIjlEEPS9_SG_NS0_5tupleIJPjSI_NS0_16reverse_iteratorISI_EEEEENSH_IJSG_SG_SG_EEES9_SI_JZNS1_25segmented_radix_sort_implINS0_14default_configELb1EPKfPfPKlPlN2at6native12_GLOBAL__N_18offset_tEEE10hipError_tPvRmT1_PNSt15iterator_traitsIS12_E10value_typeET2_T3_PNS13_IS18_E10value_typeET4_jRbjT5_S1E_jjP12ihipStream_tbEUljE_ZNSN_ISO_Lb1ESQ_SR_ST_SU_SY_EESZ_S10_S11_S12_S16_S17_S18_S1B_S1C_jS1D_jS1E_S1E_jjS1G_bEUljE0_EEESZ_S10_S11_S18_S1C_S1E_T6_T7_T9_mT8_S1G_bDpT10_ENKUlT_T0_E_clISt17integral_constantIbLb0EES1U_EEDaS1P_S1Q_EUlS1P_E_NS1_11comp_targetILNS1_3genE10ELNS1_11target_archE1200ELNS1_3gpuE4ELNS1_3repE0EEENS1_30default_config_static_selectorELNS0_4arch9wavefront6targetE1EEEvS12_.num_named_barrier, 0
	.set _ZN7rocprim17ROCPRIM_400000_NS6detail17trampoline_kernelINS0_13select_configILj256ELj13ELNS0_17block_load_methodE3ELS4_3ELS4_3ELNS0_20block_scan_algorithmE0ELj4294967295EEENS1_25partition_config_selectorILNS1_17partition_subalgoE4EjNS0_10empty_typeEbEEZZNS1_14partition_implILS8_4ELb0ES6_15HIP_vector_typeIjLj2EENS0_17counting_iteratorIjlEEPS9_SG_NS0_5tupleIJPjSI_NS0_16reverse_iteratorISI_EEEEENSH_IJSG_SG_SG_EEES9_SI_JZNS1_25segmented_radix_sort_implINS0_14default_configELb1EPKfPfPKlPlN2at6native12_GLOBAL__N_18offset_tEEE10hipError_tPvRmT1_PNSt15iterator_traitsIS12_E10value_typeET2_T3_PNS13_IS18_E10value_typeET4_jRbjT5_S1E_jjP12ihipStream_tbEUljE_ZNSN_ISO_Lb1ESQ_SR_ST_SU_SY_EESZ_S10_S11_S12_S16_S17_S18_S1B_S1C_jS1D_jS1E_S1E_jjS1G_bEUljE0_EEESZ_S10_S11_S18_S1C_S1E_T6_T7_T9_mT8_S1G_bDpT10_ENKUlT_T0_E_clISt17integral_constantIbLb0EES1U_EEDaS1P_S1Q_EUlS1P_E_NS1_11comp_targetILNS1_3genE10ELNS1_11target_archE1200ELNS1_3gpuE4ELNS1_3repE0EEENS1_30default_config_static_selectorELNS0_4arch9wavefront6targetE1EEEvS12_.private_seg_size, 0
	.set _ZN7rocprim17ROCPRIM_400000_NS6detail17trampoline_kernelINS0_13select_configILj256ELj13ELNS0_17block_load_methodE3ELS4_3ELS4_3ELNS0_20block_scan_algorithmE0ELj4294967295EEENS1_25partition_config_selectorILNS1_17partition_subalgoE4EjNS0_10empty_typeEbEEZZNS1_14partition_implILS8_4ELb0ES6_15HIP_vector_typeIjLj2EENS0_17counting_iteratorIjlEEPS9_SG_NS0_5tupleIJPjSI_NS0_16reverse_iteratorISI_EEEEENSH_IJSG_SG_SG_EEES9_SI_JZNS1_25segmented_radix_sort_implINS0_14default_configELb1EPKfPfPKlPlN2at6native12_GLOBAL__N_18offset_tEEE10hipError_tPvRmT1_PNSt15iterator_traitsIS12_E10value_typeET2_T3_PNS13_IS18_E10value_typeET4_jRbjT5_S1E_jjP12ihipStream_tbEUljE_ZNSN_ISO_Lb1ESQ_SR_ST_SU_SY_EESZ_S10_S11_S12_S16_S17_S18_S1B_S1C_jS1D_jS1E_S1E_jjS1G_bEUljE0_EEESZ_S10_S11_S18_S1C_S1E_T6_T7_T9_mT8_S1G_bDpT10_ENKUlT_T0_E_clISt17integral_constantIbLb0EES1U_EEDaS1P_S1Q_EUlS1P_E_NS1_11comp_targetILNS1_3genE10ELNS1_11target_archE1200ELNS1_3gpuE4ELNS1_3repE0EEENS1_30default_config_static_selectorELNS0_4arch9wavefront6targetE1EEEvS12_.uses_vcc, 0
	.set _ZN7rocprim17ROCPRIM_400000_NS6detail17trampoline_kernelINS0_13select_configILj256ELj13ELNS0_17block_load_methodE3ELS4_3ELS4_3ELNS0_20block_scan_algorithmE0ELj4294967295EEENS1_25partition_config_selectorILNS1_17partition_subalgoE4EjNS0_10empty_typeEbEEZZNS1_14partition_implILS8_4ELb0ES6_15HIP_vector_typeIjLj2EENS0_17counting_iteratorIjlEEPS9_SG_NS0_5tupleIJPjSI_NS0_16reverse_iteratorISI_EEEEENSH_IJSG_SG_SG_EEES9_SI_JZNS1_25segmented_radix_sort_implINS0_14default_configELb1EPKfPfPKlPlN2at6native12_GLOBAL__N_18offset_tEEE10hipError_tPvRmT1_PNSt15iterator_traitsIS12_E10value_typeET2_T3_PNS13_IS18_E10value_typeET4_jRbjT5_S1E_jjP12ihipStream_tbEUljE_ZNSN_ISO_Lb1ESQ_SR_ST_SU_SY_EESZ_S10_S11_S12_S16_S17_S18_S1B_S1C_jS1D_jS1E_S1E_jjS1G_bEUljE0_EEESZ_S10_S11_S18_S1C_S1E_T6_T7_T9_mT8_S1G_bDpT10_ENKUlT_T0_E_clISt17integral_constantIbLb0EES1U_EEDaS1P_S1Q_EUlS1P_E_NS1_11comp_targetILNS1_3genE10ELNS1_11target_archE1200ELNS1_3gpuE4ELNS1_3repE0EEENS1_30default_config_static_selectorELNS0_4arch9wavefront6targetE1EEEvS12_.uses_flat_scratch, 0
	.set _ZN7rocprim17ROCPRIM_400000_NS6detail17trampoline_kernelINS0_13select_configILj256ELj13ELNS0_17block_load_methodE3ELS4_3ELS4_3ELNS0_20block_scan_algorithmE0ELj4294967295EEENS1_25partition_config_selectorILNS1_17partition_subalgoE4EjNS0_10empty_typeEbEEZZNS1_14partition_implILS8_4ELb0ES6_15HIP_vector_typeIjLj2EENS0_17counting_iteratorIjlEEPS9_SG_NS0_5tupleIJPjSI_NS0_16reverse_iteratorISI_EEEEENSH_IJSG_SG_SG_EEES9_SI_JZNS1_25segmented_radix_sort_implINS0_14default_configELb1EPKfPfPKlPlN2at6native12_GLOBAL__N_18offset_tEEE10hipError_tPvRmT1_PNSt15iterator_traitsIS12_E10value_typeET2_T3_PNS13_IS18_E10value_typeET4_jRbjT5_S1E_jjP12ihipStream_tbEUljE_ZNSN_ISO_Lb1ESQ_SR_ST_SU_SY_EESZ_S10_S11_S12_S16_S17_S18_S1B_S1C_jS1D_jS1E_S1E_jjS1G_bEUljE0_EEESZ_S10_S11_S18_S1C_S1E_T6_T7_T9_mT8_S1G_bDpT10_ENKUlT_T0_E_clISt17integral_constantIbLb0EES1U_EEDaS1P_S1Q_EUlS1P_E_NS1_11comp_targetILNS1_3genE10ELNS1_11target_archE1200ELNS1_3gpuE4ELNS1_3repE0EEENS1_30default_config_static_selectorELNS0_4arch9wavefront6targetE1EEEvS12_.has_dyn_sized_stack, 0
	.set _ZN7rocprim17ROCPRIM_400000_NS6detail17trampoline_kernelINS0_13select_configILj256ELj13ELNS0_17block_load_methodE3ELS4_3ELS4_3ELNS0_20block_scan_algorithmE0ELj4294967295EEENS1_25partition_config_selectorILNS1_17partition_subalgoE4EjNS0_10empty_typeEbEEZZNS1_14partition_implILS8_4ELb0ES6_15HIP_vector_typeIjLj2EENS0_17counting_iteratorIjlEEPS9_SG_NS0_5tupleIJPjSI_NS0_16reverse_iteratorISI_EEEEENSH_IJSG_SG_SG_EEES9_SI_JZNS1_25segmented_radix_sort_implINS0_14default_configELb1EPKfPfPKlPlN2at6native12_GLOBAL__N_18offset_tEEE10hipError_tPvRmT1_PNSt15iterator_traitsIS12_E10value_typeET2_T3_PNS13_IS18_E10value_typeET4_jRbjT5_S1E_jjP12ihipStream_tbEUljE_ZNSN_ISO_Lb1ESQ_SR_ST_SU_SY_EESZ_S10_S11_S12_S16_S17_S18_S1B_S1C_jS1D_jS1E_S1E_jjS1G_bEUljE0_EEESZ_S10_S11_S18_S1C_S1E_T6_T7_T9_mT8_S1G_bDpT10_ENKUlT_T0_E_clISt17integral_constantIbLb0EES1U_EEDaS1P_S1Q_EUlS1P_E_NS1_11comp_targetILNS1_3genE10ELNS1_11target_archE1200ELNS1_3gpuE4ELNS1_3repE0EEENS1_30default_config_static_selectorELNS0_4arch9wavefront6targetE1EEEvS12_.has_recursion, 0
	.set _ZN7rocprim17ROCPRIM_400000_NS6detail17trampoline_kernelINS0_13select_configILj256ELj13ELNS0_17block_load_methodE3ELS4_3ELS4_3ELNS0_20block_scan_algorithmE0ELj4294967295EEENS1_25partition_config_selectorILNS1_17partition_subalgoE4EjNS0_10empty_typeEbEEZZNS1_14partition_implILS8_4ELb0ES6_15HIP_vector_typeIjLj2EENS0_17counting_iteratorIjlEEPS9_SG_NS0_5tupleIJPjSI_NS0_16reverse_iteratorISI_EEEEENSH_IJSG_SG_SG_EEES9_SI_JZNS1_25segmented_radix_sort_implINS0_14default_configELb1EPKfPfPKlPlN2at6native12_GLOBAL__N_18offset_tEEE10hipError_tPvRmT1_PNSt15iterator_traitsIS12_E10value_typeET2_T3_PNS13_IS18_E10value_typeET4_jRbjT5_S1E_jjP12ihipStream_tbEUljE_ZNSN_ISO_Lb1ESQ_SR_ST_SU_SY_EESZ_S10_S11_S12_S16_S17_S18_S1B_S1C_jS1D_jS1E_S1E_jjS1G_bEUljE0_EEESZ_S10_S11_S18_S1C_S1E_T6_T7_T9_mT8_S1G_bDpT10_ENKUlT_T0_E_clISt17integral_constantIbLb0EES1U_EEDaS1P_S1Q_EUlS1P_E_NS1_11comp_targetILNS1_3genE10ELNS1_11target_archE1200ELNS1_3gpuE4ELNS1_3repE0EEENS1_30default_config_static_selectorELNS0_4arch9wavefront6targetE1EEEvS12_.has_indirect_call, 0
	.section	.AMDGPU.csdata,"",@progbits
; Kernel info:
; codeLenInByte = 0
; TotalNumSgprs: 4
; NumVgprs: 0
; ScratchSize: 0
; MemoryBound: 0
; FloatMode: 240
; IeeeMode: 1
; LDSByteSize: 0 bytes/workgroup (compile time only)
; SGPRBlocks: 0
; VGPRBlocks: 0
; NumSGPRsForWavesPerEU: 4
; NumVGPRsForWavesPerEU: 1
; Occupancy: 10
; WaveLimiterHint : 0
; COMPUTE_PGM_RSRC2:SCRATCH_EN: 0
; COMPUTE_PGM_RSRC2:USER_SGPR: 6
; COMPUTE_PGM_RSRC2:TRAP_HANDLER: 0
; COMPUTE_PGM_RSRC2:TGID_X_EN: 1
; COMPUTE_PGM_RSRC2:TGID_Y_EN: 0
; COMPUTE_PGM_RSRC2:TGID_Z_EN: 0
; COMPUTE_PGM_RSRC2:TIDIG_COMP_CNT: 0
	.section	.text._ZN7rocprim17ROCPRIM_400000_NS6detail17trampoline_kernelINS0_13select_configILj256ELj13ELNS0_17block_load_methodE3ELS4_3ELS4_3ELNS0_20block_scan_algorithmE0ELj4294967295EEENS1_25partition_config_selectorILNS1_17partition_subalgoE4EjNS0_10empty_typeEbEEZZNS1_14partition_implILS8_4ELb0ES6_15HIP_vector_typeIjLj2EENS0_17counting_iteratorIjlEEPS9_SG_NS0_5tupleIJPjSI_NS0_16reverse_iteratorISI_EEEEENSH_IJSG_SG_SG_EEES9_SI_JZNS1_25segmented_radix_sort_implINS0_14default_configELb1EPKfPfPKlPlN2at6native12_GLOBAL__N_18offset_tEEE10hipError_tPvRmT1_PNSt15iterator_traitsIS12_E10value_typeET2_T3_PNS13_IS18_E10value_typeET4_jRbjT5_S1E_jjP12ihipStream_tbEUljE_ZNSN_ISO_Lb1ESQ_SR_ST_SU_SY_EESZ_S10_S11_S12_S16_S17_S18_S1B_S1C_jS1D_jS1E_S1E_jjS1G_bEUljE0_EEESZ_S10_S11_S18_S1C_S1E_T6_T7_T9_mT8_S1G_bDpT10_ENKUlT_T0_E_clISt17integral_constantIbLb0EES1U_EEDaS1P_S1Q_EUlS1P_E_NS1_11comp_targetILNS1_3genE9ELNS1_11target_archE1100ELNS1_3gpuE3ELNS1_3repE0EEENS1_30default_config_static_selectorELNS0_4arch9wavefront6targetE1EEEvS12_,"axG",@progbits,_ZN7rocprim17ROCPRIM_400000_NS6detail17trampoline_kernelINS0_13select_configILj256ELj13ELNS0_17block_load_methodE3ELS4_3ELS4_3ELNS0_20block_scan_algorithmE0ELj4294967295EEENS1_25partition_config_selectorILNS1_17partition_subalgoE4EjNS0_10empty_typeEbEEZZNS1_14partition_implILS8_4ELb0ES6_15HIP_vector_typeIjLj2EENS0_17counting_iteratorIjlEEPS9_SG_NS0_5tupleIJPjSI_NS0_16reverse_iteratorISI_EEEEENSH_IJSG_SG_SG_EEES9_SI_JZNS1_25segmented_radix_sort_implINS0_14default_configELb1EPKfPfPKlPlN2at6native12_GLOBAL__N_18offset_tEEE10hipError_tPvRmT1_PNSt15iterator_traitsIS12_E10value_typeET2_T3_PNS13_IS18_E10value_typeET4_jRbjT5_S1E_jjP12ihipStream_tbEUljE_ZNSN_ISO_Lb1ESQ_SR_ST_SU_SY_EESZ_S10_S11_S12_S16_S17_S18_S1B_S1C_jS1D_jS1E_S1E_jjS1G_bEUljE0_EEESZ_S10_S11_S18_S1C_S1E_T6_T7_T9_mT8_S1G_bDpT10_ENKUlT_T0_E_clISt17integral_constantIbLb0EES1U_EEDaS1P_S1Q_EUlS1P_E_NS1_11comp_targetILNS1_3genE9ELNS1_11target_archE1100ELNS1_3gpuE3ELNS1_3repE0EEENS1_30default_config_static_selectorELNS0_4arch9wavefront6targetE1EEEvS12_,comdat
	.globl	_ZN7rocprim17ROCPRIM_400000_NS6detail17trampoline_kernelINS0_13select_configILj256ELj13ELNS0_17block_load_methodE3ELS4_3ELS4_3ELNS0_20block_scan_algorithmE0ELj4294967295EEENS1_25partition_config_selectorILNS1_17partition_subalgoE4EjNS0_10empty_typeEbEEZZNS1_14partition_implILS8_4ELb0ES6_15HIP_vector_typeIjLj2EENS0_17counting_iteratorIjlEEPS9_SG_NS0_5tupleIJPjSI_NS0_16reverse_iteratorISI_EEEEENSH_IJSG_SG_SG_EEES9_SI_JZNS1_25segmented_radix_sort_implINS0_14default_configELb1EPKfPfPKlPlN2at6native12_GLOBAL__N_18offset_tEEE10hipError_tPvRmT1_PNSt15iterator_traitsIS12_E10value_typeET2_T3_PNS13_IS18_E10value_typeET4_jRbjT5_S1E_jjP12ihipStream_tbEUljE_ZNSN_ISO_Lb1ESQ_SR_ST_SU_SY_EESZ_S10_S11_S12_S16_S17_S18_S1B_S1C_jS1D_jS1E_S1E_jjS1G_bEUljE0_EEESZ_S10_S11_S18_S1C_S1E_T6_T7_T9_mT8_S1G_bDpT10_ENKUlT_T0_E_clISt17integral_constantIbLb0EES1U_EEDaS1P_S1Q_EUlS1P_E_NS1_11comp_targetILNS1_3genE9ELNS1_11target_archE1100ELNS1_3gpuE3ELNS1_3repE0EEENS1_30default_config_static_selectorELNS0_4arch9wavefront6targetE1EEEvS12_ ; -- Begin function _ZN7rocprim17ROCPRIM_400000_NS6detail17trampoline_kernelINS0_13select_configILj256ELj13ELNS0_17block_load_methodE3ELS4_3ELS4_3ELNS0_20block_scan_algorithmE0ELj4294967295EEENS1_25partition_config_selectorILNS1_17partition_subalgoE4EjNS0_10empty_typeEbEEZZNS1_14partition_implILS8_4ELb0ES6_15HIP_vector_typeIjLj2EENS0_17counting_iteratorIjlEEPS9_SG_NS0_5tupleIJPjSI_NS0_16reverse_iteratorISI_EEEEENSH_IJSG_SG_SG_EEES9_SI_JZNS1_25segmented_radix_sort_implINS0_14default_configELb1EPKfPfPKlPlN2at6native12_GLOBAL__N_18offset_tEEE10hipError_tPvRmT1_PNSt15iterator_traitsIS12_E10value_typeET2_T3_PNS13_IS18_E10value_typeET4_jRbjT5_S1E_jjP12ihipStream_tbEUljE_ZNSN_ISO_Lb1ESQ_SR_ST_SU_SY_EESZ_S10_S11_S12_S16_S17_S18_S1B_S1C_jS1D_jS1E_S1E_jjS1G_bEUljE0_EEESZ_S10_S11_S18_S1C_S1E_T6_T7_T9_mT8_S1G_bDpT10_ENKUlT_T0_E_clISt17integral_constantIbLb0EES1U_EEDaS1P_S1Q_EUlS1P_E_NS1_11comp_targetILNS1_3genE9ELNS1_11target_archE1100ELNS1_3gpuE3ELNS1_3repE0EEENS1_30default_config_static_selectorELNS0_4arch9wavefront6targetE1EEEvS12_
	.p2align	8
	.type	_ZN7rocprim17ROCPRIM_400000_NS6detail17trampoline_kernelINS0_13select_configILj256ELj13ELNS0_17block_load_methodE3ELS4_3ELS4_3ELNS0_20block_scan_algorithmE0ELj4294967295EEENS1_25partition_config_selectorILNS1_17partition_subalgoE4EjNS0_10empty_typeEbEEZZNS1_14partition_implILS8_4ELb0ES6_15HIP_vector_typeIjLj2EENS0_17counting_iteratorIjlEEPS9_SG_NS0_5tupleIJPjSI_NS0_16reverse_iteratorISI_EEEEENSH_IJSG_SG_SG_EEES9_SI_JZNS1_25segmented_radix_sort_implINS0_14default_configELb1EPKfPfPKlPlN2at6native12_GLOBAL__N_18offset_tEEE10hipError_tPvRmT1_PNSt15iterator_traitsIS12_E10value_typeET2_T3_PNS13_IS18_E10value_typeET4_jRbjT5_S1E_jjP12ihipStream_tbEUljE_ZNSN_ISO_Lb1ESQ_SR_ST_SU_SY_EESZ_S10_S11_S12_S16_S17_S18_S1B_S1C_jS1D_jS1E_S1E_jjS1G_bEUljE0_EEESZ_S10_S11_S18_S1C_S1E_T6_T7_T9_mT8_S1G_bDpT10_ENKUlT_T0_E_clISt17integral_constantIbLb0EES1U_EEDaS1P_S1Q_EUlS1P_E_NS1_11comp_targetILNS1_3genE9ELNS1_11target_archE1100ELNS1_3gpuE3ELNS1_3repE0EEENS1_30default_config_static_selectorELNS0_4arch9wavefront6targetE1EEEvS12_,@function
_ZN7rocprim17ROCPRIM_400000_NS6detail17trampoline_kernelINS0_13select_configILj256ELj13ELNS0_17block_load_methodE3ELS4_3ELS4_3ELNS0_20block_scan_algorithmE0ELj4294967295EEENS1_25partition_config_selectorILNS1_17partition_subalgoE4EjNS0_10empty_typeEbEEZZNS1_14partition_implILS8_4ELb0ES6_15HIP_vector_typeIjLj2EENS0_17counting_iteratorIjlEEPS9_SG_NS0_5tupleIJPjSI_NS0_16reverse_iteratorISI_EEEEENSH_IJSG_SG_SG_EEES9_SI_JZNS1_25segmented_radix_sort_implINS0_14default_configELb1EPKfPfPKlPlN2at6native12_GLOBAL__N_18offset_tEEE10hipError_tPvRmT1_PNSt15iterator_traitsIS12_E10value_typeET2_T3_PNS13_IS18_E10value_typeET4_jRbjT5_S1E_jjP12ihipStream_tbEUljE_ZNSN_ISO_Lb1ESQ_SR_ST_SU_SY_EESZ_S10_S11_S12_S16_S17_S18_S1B_S1C_jS1D_jS1E_S1E_jjS1G_bEUljE0_EEESZ_S10_S11_S18_S1C_S1E_T6_T7_T9_mT8_S1G_bDpT10_ENKUlT_T0_E_clISt17integral_constantIbLb0EES1U_EEDaS1P_S1Q_EUlS1P_E_NS1_11comp_targetILNS1_3genE9ELNS1_11target_archE1100ELNS1_3gpuE3ELNS1_3repE0EEENS1_30default_config_static_selectorELNS0_4arch9wavefront6targetE1EEEvS12_: ; @_ZN7rocprim17ROCPRIM_400000_NS6detail17trampoline_kernelINS0_13select_configILj256ELj13ELNS0_17block_load_methodE3ELS4_3ELS4_3ELNS0_20block_scan_algorithmE0ELj4294967295EEENS1_25partition_config_selectorILNS1_17partition_subalgoE4EjNS0_10empty_typeEbEEZZNS1_14partition_implILS8_4ELb0ES6_15HIP_vector_typeIjLj2EENS0_17counting_iteratorIjlEEPS9_SG_NS0_5tupleIJPjSI_NS0_16reverse_iteratorISI_EEEEENSH_IJSG_SG_SG_EEES9_SI_JZNS1_25segmented_radix_sort_implINS0_14default_configELb1EPKfPfPKlPlN2at6native12_GLOBAL__N_18offset_tEEE10hipError_tPvRmT1_PNSt15iterator_traitsIS12_E10value_typeET2_T3_PNS13_IS18_E10value_typeET4_jRbjT5_S1E_jjP12ihipStream_tbEUljE_ZNSN_ISO_Lb1ESQ_SR_ST_SU_SY_EESZ_S10_S11_S12_S16_S17_S18_S1B_S1C_jS1D_jS1E_S1E_jjS1G_bEUljE0_EEESZ_S10_S11_S18_S1C_S1E_T6_T7_T9_mT8_S1G_bDpT10_ENKUlT_T0_E_clISt17integral_constantIbLb0EES1U_EEDaS1P_S1Q_EUlS1P_E_NS1_11comp_targetILNS1_3genE9ELNS1_11target_archE1100ELNS1_3gpuE3ELNS1_3repE0EEENS1_30default_config_static_selectorELNS0_4arch9wavefront6targetE1EEEvS12_
; %bb.0:
	.section	.rodata,"a",@progbits
	.p2align	6, 0x0
	.amdhsa_kernel _ZN7rocprim17ROCPRIM_400000_NS6detail17trampoline_kernelINS0_13select_configILj256ELj13ELNS0_17block_load_methodE3ELS4_3ELS4_3ELNS0_20block_scan_algorithmE0ELj4294967295EEENS1_25partition_config_selectorILNS1_17partition_subalgoE4EjNS0_10empty_typeEbEEZZNS1_14partition_implILS8_4ELb0ES6_15HIP_vector_typeIjLj2EENS0_17counting_iteratorIjlEEPS9_SG_NS0_5tupleIJPjSI_NS0_16reverse_iteratorISI_EEEEENSH_IJSG_SG_SG_EEES9_SI_JZNS1_25segmented_radix_sort_implINS0_14default_configELb1EPKfPfPKlPlN2at6native12_GLOBAL__N_18offset_tEEE10hipError_tPvRmT1_PNSt15iterator_traitsIS12_E10value_typeET2_T3_PNS13_IS18_E10value_typeET4_jRbjT5_S1E_jjP12ihipStream_tbEUljE_ZNSN_ISO_Lb1ESQ_SR_ST_SU_SY_EESZ_S10_S11_S12_S16_S17_S18_S1B_S1C_jS1D_jS1E_S1E_jjS1G_bEUljE0_EEESZ_S10_S11_S18_S1C_S1E_T6_T7_T9_mT8_S1G_bDpT10_ENKUlT_T0_E_clISt17integral_constantIbLb0EES1U_EEDaS1P_S1Q_EUlS1P_E_NS1_11comp_targetILNS1_3genE9ELNS1_11target_archE1100ELNS1_3gpuE3ELNS1_3repE0EEENS1_30default_config_static_selectorELNS0_4arch9wavefront6targetE1EEEvS12_
		.amdhsa_group_segment_fixed_size 0
		.amdhsa_private_segment_fixed_size 0
		.amdhsa_kernarg_size 176
		.amdhsa_user_sgpr_count 6
		.amdhsa_user_sgpr_private_segment_buffer 1
		.amdhsa_user_sgpr_dispatch_ptr 0
		.amdhsa_user_sgpr_queue_ptr 0
		.amdhsa_user_sgpr_kernarg_segment_ptr 1
		.amdhsa_user_sgpr_dispatch_id 0
		.amdhsa_user_sgpr_flat_scratch_init 0
		.amdhsa_user_sgpr_private_segment_size 0
		.amdhsa_uses_dynamic_stack 0
		.amdhsa_system_sgpr_private_segment_wavefront_offset 0
		.amdhsa_system_sgpr_workgroup_id_x 1
		.amdhsa_system_sgpr_workgroup_id_y 0
		.amdhsa_system_sgpr_workgroup_id_z 0
		.amdhsa_system_sgpr_workgroup_info 0
		.amdhsa_system_vgpr_workitem_id 0
		.amdhsa_next_free_vgpr 1
		.amdhsa_next_free_sgpr 0
		.amdhsa_reserve_vcc 0
		.amdhsa_reserve_flat_scratch 0
		.amdhsa_float_round_mode_32 0
		.amdhsa_float_round_mode_16_64 0
		.amdhsa_float_denorm_mode_32 3
		.amdhsa_float_denorm_mode_16_64 3
		.amdhsa_dx10_clamp 1
		.amdhsa_ieee_mode 1
		.amdhsa_fp16_overflow 0
		.amdhsa_exception_fp_ieee_invalid_op 0
		.amdhsa_exception_fp_denorm_src 0
		.amdhsa_exception_fp_ieee_div_zero 0
		.amdhsa_exception_fp_ieee_overflow 0
		.amdhsa_exception_fp_ieee_underflow 0
		.amdhsa_exception_fp_ieee_inexact 0
		.amdhsa_exception_int_div_zero 0
	.end_amdhsa_kernel
	.section	.text._ZN7rocprim17ROCPRIM_400000_NS6detail17trampoline_kernelINS0_13select_configILj256ELj13ELNS0_17block_load_methodE3ELS4_3ELS4_3ELNS0_20block_scan_algorithmE0ELj4294967295EEENS1_25partition_config_selectorILNS1_17partition_subalgoE4EjNS0_10empty_typeEbEEZZNS1_14partition_implILS8_4ELb0ES6_15HIP_vector_typeIjLj2EENS0_17counting_iteratorIjlEEPS9_SG_NS0_5tupleIJPjSI_NS0_16reverse_iteratorISI_EEEEENSH_IJSG_SG_SG_EEES9_SI_JZNS1_25segmented_radix_sort_implINS0_14default_configELb1EPKfPfPKlPlN2at6native12_GLOBAL__N_18offset_tEEE10hipError_tPvRmT1_PNSt15iterator_traitsIS12_E10value_typeET2_T3_PNS13_IS18_E10value_typeET4_jRbjT5_S1E_jjP12ihipStream_tbEUljE_ZNSN_ISO_Lb1ESQ_SR_ST_SU_SY_EESZ_S10_S11_S12_S16_S17_S18_S1B_S1C_jS1D_jS1E_S1E_jjS1G_bEUljE0_EEESZ_S10_S11_S18_S1C_S1E_T6_T7_T9_mT8_S1G_bDpT10_ENKUlT_T0_E_clISt17integral_constantIbLb0EES1U_EEDaS1P_S1Q_EUlS1P_E_NS1_11comp_targetILNS1_3genE9ELNS1_11target_archE1100ELNS1_3gpuE3ELNS1_3repE0EEENS1_30default_config_static_selectorELNS0_4arch9wavefront6targetE1EEEvS12_,"axG",@progbits,_ZN7rocprim17ROCPRIM_400000_NS6detail17trampoline_kernelINS0_13select_configILj256ELj13ELNS0_17block_load_methodE3ELS4_3ELS4_3ELNS0_20block_scan_algorithmE0ELj4294967295EEENS1_25partition_config_selectorILNS1_17partition_subalgoE4EjNS0_10empty_typeEbEEZZNS1_14partition_implILS8_4ELb0ES6_15HIP_vector_typeIjLj2EENS0_17counting_iteratorIjlEEPS9_SG_NS0_5tupleIJPjSI_NS0_16reverse_iteratorISI_EEEEENSH_IJSG_SG_SG_EEES9_SI_JZNS1_25segmented_radix_sort_implINS0_14default_configELb1EPKfPfPKlPlN2at6native12_GLOBAL__N_18offset_tEEE10hipError_tPvRmT1_PNSt15iterator_traitsIS12_E10value_typeET2_T3_PNS13_IS18_E10value_typeET4_jRbjT5_S1E_jjP12ihipStream_tbEUljE_ZNSN_ISO_Lb1ESQ_SR_ST_SU_SY_EESZ_S10_S11_S12_S16_S17_S18_S1B_S1C_jS1D_jS1E_S1E_jjS1G_bEUljE0_EEESZ_S10_S11_S18_S1C_S1E_T6_T7_T9_mT8_S1G_bDpT10_ENKUlT_T0_E_clISt17integral_constantIbLb0EES1U_EEDaS1P_S1Q_EUlS1P_E_NS1_11comp_targetILNS1_3genE9ELNS1_11target_archE1100ELNS1_3gpuE3ELNS1_3repE0EEENS1_30default_config_static_selectorELNS0_4arch9wavefront6targetE1EEEvS12_,comdat
.Lfunc_end1267:
	.size	_ZN7rocprim17ROCPRIM_400000_NS6detail17trampoline_kernelINS0_13select_configILj256ELj13ELNS0_17block_load_methodE3ELS4_3ELS4_3ELNS0_20block_scan_algorithmE0ELj4294967295EEENS1_25partition_config_selectorILNS1_17partition_subalgoE4EjNS0_10empty_typeEbEEZZNS1_14partition_implILS8_4ELb0ES6_15HIP_vector_typeIjLj2EENS0_17counting_iteratorIjlEEPS9_SG_NS0_5tupleIJPjSI_NS0_16reverse_iteratorISI_EEEEENSH_IJSG_SG_SG_EEES9_SI_JZNS1_25segmented_radix_sort_implINS0_14default_configELb1EPKfPfPKlPlN2at6native12_GLOBAL__N_18offset_tEEE10hipError_tPvRmT1_PNSt15iterator_traitsIS12_E10value_typeET2_T3_PNS13_IS18_E10value_typeET4_jRbjT5_S1E_jjP12ihipStream_tbEUljE_ZNSN_ISO_Lb1ESQ_SR_ST_SU_SY_EESZ_S10_S11_S12_S16_S17_S18_S1B_S1C_jS1D_jS1E_S1E_jjS1G_bEUljE0_EEESZ_S10_S11_S18_S1C_S1E_T6_T7_T9_mT8_S1G_bDpT10_ENKUlT_T0_E_clISt17integral_constantIbLb0EES1U_EEDaS1P_S1Q_EUlS1P_E_NS1_11comp_targetILNS1_3genE9ELNS1_11target_archE1100ELNS1_3gpuE3ELNS1_3repE0EEENS1_30default_config_static_selectorELNS0_4arch9wavefront6targetE1EEEvS12_, .Lfunc_end1267-_ZN7rocprim17ROCPRIM_400000_NS6detail17trampoline_kernelINS0_13select_configILj256ELj13ELNS0_17block_load_methodE3ELS4_3ELS4_3ELNS0_20block_scan_algorithmE0ELj4294967295EEENS1_25partition_config_selectorILNS1_17partition_subalgoE4EjNS0_10empty_typeEbEEZZNS1_14partition_implILS8_4ELb0ES6_15HIP_vector_typeIjLj2EENS0_17counting_iteratorIjlEEPS9_SG_NS0_5tupleIJPjSI_NS0_16reverse_iteratorISI_EEEEENSH_IJSG_SG_SG_EEES9_SI_JZNS1_25segmented_radix_sort_implINS0_14default_configELb1EPKfPfPKlPlN2at6native12_GLOBAL__N_18offset_tEEE10hipError_tPvRmT1_PNSt15iterator_traitsIS12_E10value_typeET2_T3_PNS13_IS18_E10value_typeET4_jRbjT5_S1E_jjP12ihipStream_tbEUljE_ZNSN_ISO_Lb1ESQ_SR_ST_SU_SY_EESZ_S10_S11_S12_S16_S17_S18_S1B_S1C_jS1D_jS1E_S1E_jjS1G_bEUljE0_EEESZ_S10_S11_S18_S1C_S1E_T6_T7_T9_mT8_S1G_bDpT10_ENKUlT_T0_E_clISt17integral_constantIbLb0EES1U_EEDaS1P_S1Q_EUlS1P_E_NS1_11comp_targetILNS1_3genE9ELNS1_11target_archE1100ELNS1_3gpuE3ELNS1_3repE0EEENS1_30default_config_static_selectorELNS0_4arch9wavefront6targetE1EEEvS12_
                                        ; -- End function
	.set _ZN7rocprim17ROCPRIM_400000_NS6detail17trampoline_kernelINS0_13select_configILj256ELj13ELNS0_17block_load_methodE3ELS4_3ELS4_3ELNS0_20block_scan_algorithmE0ELj4294967295EEENS1_25partition_config_selectorILNS1_17partition_subalgoE4EjNS0_10empty_typeEbEEZZNS1_14partition_implILS8_4ELb0ES6_15HIP_vector_typeIjLj2EENS0_17counting_iteratorIjlEEPS9_SG_NS0_5tupleIJPjSI_NS0_16reverse_iteratorISI_EEEEENSH_IJSG_SG_SG_EEES9_SI_JZNS1_25segmented_radix_sort_implINS0_14default_configELb1EPKfPfPKlPlN2at6native12_GLOBAL__N_18offset_tEEE10hipError_tPvRmT1_PNSt15iterator_traitsIS12_E10value_typeET2_T3_PNS13_IS18_E10value_typeET4_jRbjT5_S1E_jjP12ihipStream_tbEUljE_ZNSN_ISO_Lb1ESQ_SR_ST_SU_SY_EESZ_S10_S11_S12_S16_S17_S18_S1B_S1C_jS1D_jS1E_S1E_jjS1G_bEUljE0_EEESZ_S10_S11_S18_S1C_S1E_T6_T7_T9_mT8_S1G_bDpT10_ENKUlT_T0_E_clISt17integral_constantIbLb0EES1U_EEDaS1P_S1Q_EUlS1P_E_NS1_11comp_targetILNS1_3genE9ELNS1_11target_archE1100ELNS1_3gpuE3ELNS1_3repE0EEENS1_30default_config_static_selectorELNS0_4arch9wavefront6targetE1EEEvS12_.num_vgpr, 0
	.set _ZN7rocprim17ROCPRIM_400000_NS6detail17trampoline_kernelINS0_13select_configILj256ELj13ELNS0_17block_load_methodE3ELS4_3ELS4_3ELNS0_20block_scan_algorithmE0ELj4294967295EEENS1_25partition_config_selectorILNS1_17partition_subalgoE4EjNS0_10empty_typeEbEEZZNS1_14partition_implILS8_4ELb0ES6_15HIP_vector_typeIjLj2EENS0_17counting_iteratorIjlEEPS9_SG_NS0_5tupleIJPjSI_NS0_16reverse_iteratorISI_EEEEENSH_IJSG_SG_SG_EEES9_SI_JZNS1_25segmented_radix_sort_implINS0_14default_configELb1EPKfPfPKlPlN2at6native12_GLOBAL__N_18offset_tEEE10hipError_tPvRmT1_PNSt15iterator_traitsIS12_E10value_typeET2_T3_PNS13_IS18_E10value_typeET4_jRbjT5_S1E_jjP12ihipStream_tbEUljE_ZNSN_ISO_Lb1ESQ_SR_ST_SU_SY_EESZ_S10_S11_S12_S16_S17_S18_S1B_S1C_jS1D_jS1E_S1E_jjS1G_bEUljE0_EEESZ_S10_S11_S18_S1C_S1E_T6_T7_T9_mT8_S1G_bDpT10_ENKUlT_T0_E_clISt17integral_constantIbLb0EES1U_EEDaS1P_S1Q_EUlS1P_E_NS1_11comp_targetILNS1_3genE9ELNS1_11target_archE1100ELNS1_3gpuE3ELNS1_3repE0EEENS1_30default_config_static_selectorELNS0_4arch9wavefront6targetE1EEEvS12_.num_agpr, 0
	.set _ZN7rocprim17ROCPRIM_400000_NS6detail17trampoline_kernelINS0_13select_configILj256ELj13ELNS0_17block_load_methodE3ELS4_3ELS4_3ELNS0_20block_scan_algorithmE0ELj4294967295EEENS1_25partition_config_selectorILNS1_17partition_subalgoE4EjNS0_10empty_typeEbEEZZNS1_14partition_implILS8_4ELb0ES6_15HIP_vector_typeIjLj2EENS0_17counting_iteratorIjlEEPS9_SG_NS0_5tupleIJPjSI_NS0_16reverse_iteratorISI_EEEEENSH_IJSG_SG_SG_EEES9_SI_JZNS1_25segmented_radix_sort_implINS0_14default_configELb1EPKfPfPKlPlN2at6native12_GLOBAL__N_18offset_tEEE10hipError_tPvRmT1_PNSt15iterator_traitsIS12_E10value_typeET2_T3_PNS13_IS18_E10value_typeET4_jRbjT5_S1E_jjP12ihipStream_tbEUljE_ZNSN_ISO_Lb1ESQ_SR_ST_SU_SY_EESZ_S10_S11_S12_S16_S17_S18_S1B_S1C_jS1D_jS1E_S1E_jjS1G_bEUljE0_EEESZ_S10_S11_S18_S1C_S1E_T6_T7_T9_mT8_S1G_bDpT10_ENKUlT_T0_E_clISt17integral_constantIbLb0EES1U_EEDaS1P_S1Q_EUlS1P_E_NS1_11comp_targetILNS1_3genE9ELNS1_11target_archE1100ELNS1_3gpuE3ELNS1_3repE0EEENS1_30default_config_static_selectorELNS0_4arch9wavefront6targetE1EEEvS12_.numbered_sgpr, 0
	.set _ZN7rocprim17ROCPRIM_400000_NS6detail17trampoline_kernelINS0_13select_configILj256ELj13ELNS0_17block_load_methodE3ELS4_3ELS4_3ELNS0_20block_scan_algorithmE0ELj4294967295EEENS1_25partition_config_selectorILNS1_17partition_subalgoE4EjNS0_10empty_typeEbEEZZNS1_14partition_implILS8_4ELb0ES6_15HIP_vector_typeIjLj2EENS0_17counting_iteratorIjlEEPS9_SG_NS0_5tupleIJPjSI_NS0_16reverse_iteratorISI_EEEEENSH_IJSG_SG_SG_EEES9_SI_JZNS1_25segmented_radix_sort_implINS0_14default_configELb1EPKfPfPKlPlN2at6native12_GLOBAL__N_18offset_tEEE10hipError_tPvRmT1_PNSt15iterator_traitsIS12_E10value_typeET2_T3_PNS13_IS18_E10value_typeET4_jRbjT5_S1E_jjP12ihipStream_tbEUljE_ZNSN_ISO_Lb1ESQ_SR_ST_SU_SY_EESZ_S10_S11_S12_S16_S17_S18_S1B_S1C_jS1D_jS1E_S1E_jjS1G_bEUljE0_EEESZ_S10_S11_S18_S1C_S1E_T6_T7_T9_mT8_S1G_bDpT10_ENKUlT_T0_E_clISt17integral_constantIbLb0EES1U_EEDaS1P_S1Q_EUlS1P_E_NS1_11comp_targetILNS1_3genE9ELNS1_11target_archE1100ELNS1_3gpuE3ELNS1_3repE0EEENS1_30default_config_static_selectorELNS0_4arch9wavefront6targetE1EEEvS12_.num_named_barrier, 0
	.set _ZN7rocprim17ROCPRIM_400000_NS6detail17trampoline_kernelINS0_13select_configILj256ELj13ELNS0_17block_load_methodE3ELS4_3ELS4_3ELNS0_20block_scan_algorithmE0ELj4294967295EEENS1_25partition_config_selectorILNS1_17partition_subalgoE4EjNS0_10empty_typeEbEEZZNS1_14partition_implILS8_4ELb0ES6_15HIP_vector_typeIjLj2EENS0_17counting_iteratorIjlEEPS9_SG_NS0_5tupleIJPjSI_NS0_16reverse_iteratorISI_EEEEENSH_IJSG_SG_SG_EEES9_SI_JZNS1_25segmented_radix_sort_implINS0_14default_configELb1EPKfPfPKlPlN2at6native12_GLOBAL__N_18offset_tEEE10hipError_tPvRmT1_PNSt15iterator_traitsIS12_E10value_typeET2_T3_PNS13_IS18_E10value_typeET4_jRbjT5_S1E_jjP12ihipStream_tbEUljE_ZNSN_ISO_Lb1ESQ_SR_ST_SU_SY_EESZ_S10_S11_S12_S16_S17_S18_S1B_S1C_jS1D_jS1E_S1E_jjS1G_bEUljE0_EEESZ_S10_S11_S18_S1C_S1E_T6_T7_T9_mT8_S1G_bDpT10_ENKUlT_T0_E_clISt17integral_constantIbLb0EES1U_EEDaS1P_S1Q_EUlS1P_E_NS1_11comp_targetILNS1_3genE9ELNS1_11target_archE1100ELNS1_3gpuE3ELNS1_3repE0EEENS1_30default_config_static_selectorELNS0_4arch9wavefront6targetE1EEEvS12_.private_seg_size, 0
	.set _ZN7rocprim17ROCPRIM_400000_NS6detail17trampoline_kernelINS0_13select_configILj256ELj13ELNS0_17block_load_methodE3ELS4_3ELS4_3ELNS0_20block_scan_algorithmE0ELj4294967295EEENS1_25partition_config_selectorILNS1_17partition_subalgoE4EjNS0_10empty_typeEbEEZZNS1_14partition_implILS8_4ELb0ES6_15HIP_vector_typeIjLj2EENS0_17counting_iteratorIjlEEPS9_SG_NS0_5tupleIJPjSI_NS0_16reverse_iteratorISI_EEEEENSH_IJSG_SG_SG_EEES9_SI_JZNS1_25segmented_radix_sort_implINS0_14default_configELb1EPKfPfPKlPlN2at6native12_GLOBAL__N_18offset_tEEE10hipError_tPvRmT1_PNSt15iterator_traitsIS12_E10value_typeET2_T3_PNS13_IS18_E10value_typeET4_jRbjT5_S1E_jjP12ihipStream_tbEUljE_ZNSN_ISO_Lb1ESQ_SR_ST_SU_SY_EESZ_S10_S11_S12_S16_S17_S18_S1B_S1C_jS1D_jS1E_S1E_jjS1G_bEUljE0_EEESZ_S10_S11_S18_S1C_S1E_T6_T7_T9_mT8_S1G_bDpT10_ENKUlT_T0_E_clISt17integral_constantIbLb0EES1U_EEDaS1P_S1Q_EUlS1P_E_NS1_11comp_targetILNS1_3genE9ELNS1_11target_archE1100ELNS1_3gpuE3ELNS1_3repE0EEENS1_30default_config_static_selectorELNS0_4arch9wavefront6targetE1EEEvS12_.uses_vcc, 0
	.set _ZN7rocprim17ROCPRIM_400000_NS6detail17trampoline_kernelINS0_13select_configILj256ELj13ELNS0_17block_load_methodE3ELS4_3ELS4_3ELNS0_20block_scan_algorithmE0ELj4294967295EEENS1_25partition_config_selectorILNS1_17partition_subalgoE4EjNS0_10empty_typeEbEEZZNS1_14partition_implILS8_4ELb0ES6_15HIP_vector_typeIjLj2EENS0_17counting_iteratorIjlEEPS9_SG_NS0_5tupleIJPjSI_NS0_16reverse_iteratorISI_EEEEENSH_IJSG_SG_SG_EEES9_SI_JZNS1_25segmented_radix_sort_implINS0_14default_configELb1EPKfPfPKlPlN2at6native12_GLOBAL__N_18offset_tEEE10hipError_tPvRmT1_PNSt15iterator_traitsIS12_E10value_typeET2_T3_PNS13_IS18_E10value_typeET4_jRbjT5_S1E_jjP12ihipStream_tbEUljE_ZNSN_ISO_Lb1ESQ_SR_ST_SU_SY_EESZ_S10_S11_S12_S16_S17_S18_S1B_S1C_jS1D_jS1E_S1E_jjS1G_bEUljE0_EEESZ_S10_S11_S18_S1C_S1E_T6_T7_T9_mT8_S1G_bDpT10_ENKUlT_T0_E_clISt17integral_constantIbLb0EES1U_EEDaS1P_S1Q_EUlS1P_E_NS1_11comp_targetILNS1_3genE9ELNS1_11target_archE1100ELNS1_3gpuE3ELNS1_3repE0EEENS1_30default_config_static_selectorELNS0_4arch9wavefront6targetE1EEEvS12_.uses_flat_scratch, 0
	.set _ZN7rocprim17ROCPRIM_400000_NS6detail17trampoline_kernelINS0_13select_configILj256ELj13ELNS0_17block_load_methodE3ELS4_3ELS4_3ELNS0_20block_scan_algorithmE0ELj4294967295EEENS1_25partition_config_selectorILNS1_17partition_subalgoE4EjNS0_10empty_typeEbEEZZNS1_14partition_implILS8_4ELb0ES6_15HIP_vector_typeIjLj2EENS0_17counting_iteratorIjlEEPS9_SG_NS0_5tupleIJPjSI_NS0_16reverse_iteratorISI_EEEEENSH_IJSG_SG_SG_EEES9_SI_JZNS1_25segmented_radix_sort_implINS0_14default_configELb1EPKfPfPKlPlN2at6native12_GLOBAL__N_18offset_tEEE10hipError_tPvRmT1_PNSt15iterator_traitsIS12_E10value_typeET2_T3_PNS13_IS18_E10value_typeET4_jRbjT5_S1E_jjP12ihipStream_tbEUljE_ZNSN_ISO_Lb1ESQ_SR_ST_SU_SY_EESZ_S10_S11_S12_S16_S17_S18_S1B_S1C_jS1D_jS1E_S1E_jjS1G_bEUljE0_EEESZ_S10_S11_S18_S1C_S1E_T6_T7_T9_mT8_S1G_bDpT10_ENKUlT_T0_E_clISt17integral_constantIbLb0EES1U_EEDaS1P_S1Q_EUlS1P_E_NS1_11comp_targetILNS1_3genE9ELNS1_11target_archE1100ELNS1_3gpuE3ELNS1_3repE0EEENS1_30default_config_static_selectorELNS0_4arch9wavefront6targetE1EEEvS12_.has_dyn_sized_stack, 0
	.set _ZN7rocprim17ROCPRIM_400000_NS6detail17trampoline_kernelINS0_13select_configILj256ELj13ELNS0_17block_load_methodE3ELS4_3ELS4_3ELNS0_20block_scan_algorithmE0ELj4294967295EEENS1_25partition_config_selectorILNS1_17partition_subalgoE4EjNS0_10empty_typeEbEEZZNS1_14partition_implILS8_4ELb0ES6_15HIP_vector_typeIjLj2EENS0_17counting_iteratorIjlEEPS9_SG_NS0_5tupleIJPjSI_NS0_16reverse_iteratorISI_EEEEENSH_IJSG_SG_SG_EEES9_SI_JZNS1_25segmented_radix_sort_implINS0_14default_configELb1EPKfPfPKlPlN2at6native12_GLOBAL__N_18offset_tEEE10hipError_tPvRmT1_PNSt15iterator_traitsIS12_E10value_typeET2_T3_PNS13_IS18_E10value_typeET4_jRbjT5_S1E_jjP12ihipStream_tbEUljE_ZNSN_ISO_Lb1ESQ_SR_ST_SU_SY_EESZ_S10_S11_S12_S16_S17_S18_S1B_S1C_jS1D_jS1E_S1E_jjS1G_bEUljE0_EEESZ_S10_S11_S18_S1C_S1E_T6_T7_T9_mT8_S1G_bDpT10_ENKUlT_T0_E_clISt17integral_constantIbLb0EES1U_EEDaS1P_S1Q_EUlS1P_E_NS1_11comp_targetILNS1_3genE9ELNS1_11target_archE1100ELNS1_3gpuE3ELNS1_3repE0EEENS1_30default_config_static_selectorELNS0_4arch9wavefront6targetE1EEEvS12_.has_recursion, 0
	.set _ZN7rocprim17ROCPRIM_400000_NS6detail17trampoline_kernelINS0_13select_configILj256ELj13ELNS0_17block_load_methodE3ELS4_3ELS4_3ELNS0_20block_scan_algorithmE0ELj4294967295EEENS1_25partition_config_selectorILNS1_17partition_subalgoE4EjNS0_10empty_typeEbEEZZNS1_14partition_implILS8_4ELb0ES6_15HIP_vector_typeIjLj2EENS0_17counting_iteratorIjlEEPS9_SG_NS0_5tupleIJPjSI_NS0_16reverse_iteratorISI_EEEEENSH_IJSG_SG_SG_EEES9_SI_JZNS1_25segmented_radix_sort_implINS0_14default_configELb1EPKfPfPKlPlN2at6native12_GLOBAL__N_18offset_tEEE10hipError_tPvRmT1_PNSt15iterator_traitsIS12_E10value_typeET2_T3_PNS13_IS18_E10value_typeET4_jRbjT5_S1E_jjP12ihipStream_tbEUljE_ZNSN_ISO_Lb1ESQ_SR_ST_SU_SY_EESZ_S10_S11_S12_S16_S17_S18_S1B_S1C_jS1D_jS1E_S1E_jjS1G_bEUljE0_EEESZ_S10_S11_S18_S1C_S1E_T6_T7_T9_mT8_S1G_bDpT10_ENKUlT_T0_E_clISt17integral_constantIbLb0EES1U_EEDaS1P_S1Q_EUlS1P_E_NS1_11comp_targetILNS1_3genE9ELNS1_11target_archE1100ELNS1_3gpuE3ELNS1_3repE0EEENS1_30default_config_static_selectorELNS0_4arch9wavefront6targetE1EEEvS12_.has_indirect_call, 0
	.section	.AMDGPU.csdata,"",@progbits
; Kernel info:
; codeLenInByte = 0
; TotalNumSgprs: 4
; NumVgprs: 0
; ScratchSize: 0
; MemoryBound: 0
; FloatMode: 240
; IeeeMode: 1
; LDSByteSize: 0 bytes/workgroup (compile time only)
; SGPRBlocks: 0
; VGPRBlocks: 0
; NumSGPRsForWavesPerEU: 4
; NumVGPRsForWavesPerEU: 1
; Occupancy: 10
; WaveLimiterHint : 0
; COMPUTE_PGM_RSRC2:SCRATCH_EN: 0
; COMPUTE_PGM_RSRC2:USER_SGPR: 6
; COMPUTE_PGM_RSRC2:TRAP_HANDLER: 0
; COMPUTE_PGM_RSRC2:TGID_X_EN: 1
; COMPUTE_PGM_RSRC2:TGID_Y_EN: 0
; COMPUTE_PGM_RSRC2:TGID_Z_EN: 0
; COMPUTE_PGM_RSRC2:TIDIG_COMP_CNT: 0
	.section	.text._ZN7rocprim17ROCPRIM_400000_NS6detail17trampoline_kernelINS0_13select_configILj256ELj13ELNS0_17block_load_methodE3ELS4_3ELS4_3ELNS0_20block_scan_algorithmE0ELj4294967295EEENS1_25partition_config_selectorILNS1_17partition_subalgoE4EjNS0_10empty_typeEbEEZZNS1_14partition_implILS8_4ELb0ES6_15HIP_vector_typeIjLj2EENS0_17counting_iteratorIjlEEPS9_SG_NS0_5tupleIJPjSI_NS0_16reverse_iteratorISI_EEEEENSH_IJSG_SG_SG_EEES9_SI_JZNS1_25segmented_radix_sort_implINS0_14default_configELb1EPKfPfPKlPlN2at6native12_GLOBAL__N_18offset_tEEE10hipError_tPvRmT1_PNSt15iterator_traitsIS12_E10value_typeET2_T3_PNS13_IS18_E10value_typeET4_jRbjT5_S1E_jjP12ihipStream_tbEUljE_ZNSN_ISO_Lb1ESQ_SR_ST_SU_SY_EESZ_S10_S11_S12_S16_S17_S18_S1B_S1C_jS1D_jS1E_S1E_jjS1G_bEUljE0_EEESZ_S10_S11_S18_S1C_S1E_T6_T7_T9_mT8_S1G_bDpT10_ENKUlT_T0_E_clISt17integral_constantIbLb0EES1U_EEDaS1P_S1Q_EUlS1P_E_NS1_11comp_targetILNS1_3genE8ELNS1_11target_archE1030ELNS1_3gpuE2ELNS1_3repE0EEENS1_30default_config_static_selectorELNS0_4arch9wavefront6targetE1EEEvS12_,"axG",@progbits,_ZN7rocprim17ROCPRIM_400000_NS6detail17trampoline_kernelINS0_13select_configILj256ELj13ELNS0_17block_load_methodE3ELS4_3ELS4_3ELNS0_20block_scan_algorithmE0ELj4294967295EEENS1_25partition_config_selectorILNS1_17partition_subalgoE4EjNS0_10empty_typeEbEEZZNS1_14partition_implILS8_4ELb0ES6_15HIP_vector_typeIjLj2EENS0_17counting_iteratorIjlEEPS9_SG_NS0_5tupleIJPjSI_NS0_16reverse_iteratorISI_EEEEENSH_IJSG_SG_SG_EEES9_SI_JZNS1_25segmented_radix_sort_implINS0_14default_configELb1EPKfPfPKlPlN2at6native12_GLOBAL__N_18offset_tEEE10hipError_tPvRmT1_PNSt15iterator_traitsIS12_E10value_typeET2_T3_PNS13_IS18_E10value_typeET4_jRbjT5_S1E_jjP12ihipStream_tbEUljE_ZNSN_ISO_Lb1ESQ_SR_ST_SU_SY_EESZ_S10_S11_S12_S16_S17_S18_S1B_S1C_jS1D_jS1E_S1E_jjS1G_bEUljE0_EEESZ_S10_S11_S18_S1C_S1E_T6_T7_T9_mT8_S1G_bDpT10_ENKUlT_T0_E_clISt17integral_constantIbLb0EES1U_EEDaS1P_S1Q_EUlS1P_E_NS1_11comp_targetILNS1_3genE8ELNS1_11target_archE1030ELNS1_3gpuE2ELNS1_3repE0EEENS1_30default_config_static_selectorELNS0_4arch9wavefront6targetE1EEEvS12_,comdat
	.globl	_ZN7rocprim17ROCPRIM_400000_NS6detail17trampoline_kernelINS0_13select_configILj256ELj13ELNS0_17block_load_methodE3ELS4_3ELS4_3ELNS0_20block_scan_algorithmE0ELj4294967295EEENS1_25partition_config_selectorILNS1_17partition_subalgoE4EjNS0_10empty_typeEbEEZZNS1_14partition_implILS8_4ELb0ES6_15HIP_vector_typeIjLj2EENS0_17counting_iteratorIjlEEPS9_SG_NS0_5tupleIJPjSI_NS0_16reverse_iteratorISI_EEEEENSH_IJSG_SG_SG_EEES9_SI_JZNS1_25segmented_radix_sort_implINS0_14default_configELb1EPKfPfPKlPlN2at6native12_GLOBAL__N_18offset_tEEE10hipError_tPvRmT1_PNSt15iterator_traitsIS12_E10value_typeET2_T3_PNS13_IS18_E10value_typeET4_jRbjT5_S1E_jjP12ihipStream_tbEUljE_ZNSN_ISO_Lb1ESQ_SR_ST_SU_SY_EESZ_S10_S11_S12_S16_S17_S18_S1B_S1C_jS1D_jS1E_S1E_jjS1G_bEUljE0_EEESZ_S10_S11_S18_S1C_S1E_T6_T7_T9_mT8_S1G_bDpT10_ENKUlT_T0_E_clISt17integral_constantIbLb0EES1U_EEDaS1P_S1Q_EUlS1P_E_NS1_11comp_targetILNS1_3genE8ELNS1_11target_archE1030ELNS1_3gpuE2ELNS1_3repE0EEENS1_30default_config_static_selectorELNS0_4arch9wavefront6targetE1EEEvS12_ ; -- Begin function _ZN7rocprim17ROCPRIM_400000_NS6detail17trampoline_kernelINS0_13select_configILj256ELj13ELNS0_17block_load_methodE3ELS4_3ELS4_3ELNS0_20block_scan_algorithmE0ELj4294967295EEENS1_25partition_config_selectorILNS1_17partition_subalgoE4EjNS0_10empty_typeEbEEZZNS1_14partition_implILS8_4ELb0ES6_15HIP_vector_typeIjLj2EENS0_17counting_iteratorIjlEEPS9_SG_NS0_5tupleIJPjSI_NS0_16reverse_iteratorISI_EEEEENSH_IJSG_SG_SG_EEES9_SI_JZNS1_25segmented_radix_sort_implINS0_14default_configELb1EPKfPfPKlPlN2at6native12_GLOBAL__N_18offset_tEEE10hipError_tPvRmT1_PNSt15iterator_traitsIS12_E10value_typeET2_T3_PNS13_IS18_E10value_typeET4_jRbjT5_S1E_jjP12ihipStream_tbEUljE_ZNSN_ISO_Lb1ESQ_SR_ST_SU_SY_EESZ_S10_S11_S12_S16_S17_S18_S1B_S1C_jS1D_jS1E_S1E_jjS1G_bEUljE0_EEESZ_S10_S11_S18_S1C_S1E_T6_T7_T9_mT8_S1G_bDpT10_ENKUlT_T0_E_clISt17integral_constantIbLb0EES1U_EEDaS1P_S1Q_EUlS1P_E_NS1_11comp_targetILNS1_3genE8ELNS1_11target_archE1030ELNS1_3gpuE2ELNS1_3repE0EEENS1_30default_config_static_selectorELNS0_4arch9wavefront6targetE1EEEvS12_
	.p2align	8
	.type	_ZN7rocprim17ROCPRIM_400000_NS6detail17trampoline_kernelINS0_13select_configILj256ELj13ELNS0_17block_load_methodE3ELS4_3ELS4_3ELNS0_20block_scan_algorithmE0ELj4294967295EEENS1_25partition_config_selectorILNS1_17partition_subalgoE4EjNS0_10empty_typeEbEEZZNS1_14partition_implILS8_4ELb0ES6_15HIP_vector_typeIjLj2EENS0_17counting_iteratorIjlEEPS9_SG_NS0_5tupleIJPjSI_NS0_16reverse_iteratorISI_EEEEENSH_IJSG_SG_SG_EEES9_SI_JZNS1_25segmented_radix_sort_implINS0_14default_configELb1EPKfPfPKlPlN2at6native12_GLOBAL__N_18offset_tEEE10hipError_tPvRmT1_PNSt15iterator_traitsIS12_E10value_typeET2_T3_PNS13_IS18_E10value_typeET4_jRbjT5_S1E_jjP12ihipStream_tbEUljE_ZNSN_ISO_Lb1ESQ_SR_ST_SU_SY_EESZ_S10_S11_S12_S16_S17_S18_S1B_S1C_jS1D_jS1E_S1E_jjS1G_bEUljE0_EEESZ_S10_S11_S18_S1C_S1E_T6_T7_T9_mT8_S1G_bDpT10_ENKUlT_T0_E_clISt17integral_constantIbLb0EES1U_EEDaS1P_S1Q_EUlS1P_E_NS1_11comp_targetILNS1_3genE8ELNS1_11target_archE1030ELNS1_3gpuE2ELNS1_3repE0EEENS1_30default_config_static_selectorELNS0_4arch9wavefront6targetE1EEEvS12_,@function
_ZN7rocprim17ROCPRIM_400000_NS6detail17trampoline_kernelINS0_13select_configILj256ELj13ELNS0_17block_load_methodE3ELS4_3ELS4_3ELNS0_20block_scan_algorithmE0ELj4294967295EEENS1_25partition_config_selectorILNS1_17partition_subalgoE4EjNS0_10empty_typeEbEEZZNS1_14partition_implILS8_4ELb0ES6_15HIP_vector_typeIjLj2EENS0_17counting_iteratorIjlEEPS9_SG_NS0_5tupleIJPjSI_NS0_16reverse_iteratorISI_EEEEENSH_IJSG_SG_SG_EEES9_SI_JZNS1_25segmented_radix_sort_implINS0_14default_configELb1EPKfPfPKlPlN2at6native12_GLOBAL__N_18offset_tEEE10hipError_tPvRmT1_PNSt15iterator_traitsIS12_E10value_typeET2_T3_PNS13_IS18_E10value_typeET4_jRbjT5_S1E_jjP12ihipStream_tbEUljE_ZNSN_ISO_Lb1ESQ_SR_ST_SU_SY_EESZ_S10_S11_S12_S16_S17_S18_S1B_S1C_jS1D_jS1E_S1E_jjS1G_bEUljE0_EEESZ_S10_S11_S18_S1C_S1E_T6_T7_T9_mT8_S1G_bDpT10_ENKUlT_T0_E_clISt17integral_constantIbLb0EES1U_EEDaS1P_S1Q_EUlS1P_E_NS1_11comp_targetILNS1_3genE8ELNS1_11target_archE1030ELNS1_3gpuE2ELNS1_3repE0EEENS1_30default_config_static_selectorELNS0_4arch9wavefront6targetE1EEEvS12_: ; @_ZN7rocprim17ROCPRIM_400000_NS6detail17trampoline_kernelINS0_13select_configILj256ELj13ELNS0_17block_load_methodE3ELS4_3ELS4_3ELNS0_20block_scan_algorithmE0ELj4294967295EEENS1_25partition_config_selectorILNS1_17partition_subalgoE4EjNS0_10empty_typeEbEEZZNS1_14partition_implILS8_4ELb0ES6_15HIP_vector_typeIjLj2EENS0_17counting_iteratorIjlEEPS9_SG_NS0_5tupleIJPjSI_NS0_16reverse_iteratorISI_EEEEENSH_IJSG_SG_SG_EEES9_SI_JZNS1_25segmented_radix_sort_implINS0_14default_configELb1EPKfPfPKlPlN2at6native12_GLOBAL__N_18offset_tEEE10hipError_tPvRmT1_PNSt15iterator_traitsIS12_E10value_typeET2_T3_PNS13_IS18_E10value_typeET4_jRbjT5_S1E_jjP12ihipStream_tbEUljE_ZNSN_ISO_Lb1ESQ_SR_ST_SU_SY_EESZ_S10_S11_S12_S16_S17_S18_S1B_S1C_jS1D_jS1E_S1E_jjS1G_bEUljE0_EEESZ_S10_S11_S18_S1C_S1E_T6_T7_T9_mT8_S1G_bDpT10_ENKUlT_T0_E_clISt17integral_constantIbLb0EES1U_EEDaS1P_S1Q_EUlS1P_E_NS1_11comp_targetILNS1_3genE8ELNS1_11target_archE1030ELNS1_3gpuE2ELNS1_3repE0EEENS1_30default_config_static_selectorELNS0_4arch9wavefront6targetE1EEEvS12_
; %bb.0:
	.section	.rodata,"a",@progbits
	.p2align	6, 0x0
	.amdhsa_kernel _ZN7rocprim17ROCPRIM_400000_NS6detail17trampoline_kernelINS0_13select_configILj256ELj13ELNS0_17block_load_methodE3ELS4_3ELS4_3ELNS0_20block_scan_algorithmE0ELj4294967295EEENS1_25partition_config_selectorILNS1_17partition_subalgoE4EjNS0_10empty_typeEbEEZZNS1_14partition_implILS8_4ELb0ES6_15HIP_vector_typeIjLj2EENS0_17counting_iteratorIjlEEPS9_SG_NS0_5tupleIJPjSI_NS0_16reverse_iteratorISI_EEEEENSH_IJSG_SG_SG_EEES9_SI_JZNS1_25segmented_radix_sort_implINS0_14default_configELb1EPKfPfPKlPlN2at6native12_GLOBAL__N_18offset_tEEE10hipError_tPvRmT1_PNSt15iterator_traitsIS12_E10value_typeET2_T3_PNS13_IS18_E10value_typeET4_jRbjT5_S1E_jjP12ihipStream_tbEUljE_ZNSN_ISO_Lb1ESQ_SR_ST_SU_SY_EESZ_S10_S11_S12_S16_S17_S18_S1B_S1C_jS1D_jS1E_S1E_jjS1G_bEUljE0_EEESZ_S10_S11_S18_S1C_S1E_T6_T7_T9_mT8_S1G_bDpT10_ENKUlT_T0_E_clISt17integral_constantIbLb0EES1U_EEDaS1P_S1Q_EUlS1P_E_NS1_11comp_targetILNS1_3genE8ELNS1_11target_archE1030ELNS1_3gpuE2ELNS1_3repE0EEENS1_30default_config_static_selectorELNS0_4arch9wavefront6targetE1EEEvS12_
		.amdhsa_group_segment_fixed_size 0
		.amdhsa_private_segment_fixed_size 0
		.amdhsa_kernarg_size 176
		.amdhsa_user_sgpr_count 6
		.amdhsa_user_sgpr_private_segment_buffer 1
		.amdhsa_user_sgpr_dispatch_ptr 0
		.amdhsa_user_sgpr_queue_ptr 0
		.amdhsa_user_sgpr_kernarg_segment_ptr 1
		.amdhsa_user_sgpr_dispatch_id 0
		.amdhsa_user_sgpr_flat_scratch_init 0
		.amdhsa_user_sgpr_private_segment_size 0
		.amdhsa_uses_dynamic_stack 0
		.amdhsa_system_sgpr_private_segment_wavefront_offset 0
		.amdhsa_system_sgpr_workgroup_id_x 1
		.amdhsa_system_sgpr_workgroup_id_y 0
		.amdhsa_system_sgpr_workgroup_id_z 0
		.amdhsa_system_sgpr_workgroup_info 0
		.amdhsa_system_vgpr_workitem_id 0
		.amdhsa_next_free_vgpr 1
		.amdhsa_next_free_sgpr 0
		.amdhsa_reserve_vcc 0
		.amdhsa_reserve_flat_scratch 0
		.amdhsa_float_round_mode_32 0
		.amdhsa_float_round_mode_16_64 0
		.amdhsa_float_denorm_mode_32 3
		.amdhsa_float_denorm_mode_16_64 3
		.amdhsa_dx10_clamp 1
		.amdhsa_ieee_mode 1
		.amdhsa_fp16_overflow 0
		.amdhsa_exception_fp_ieee_invalid_op 0
		.amdhsa_exception_fp_denorm_src 0
		.amdhsa_exception_fp_ieee_div_zero 0
		.amdhsa_exception_fp_ieee_overflow 0
		.amdhsa_exception_fp_ieee_underflow 0
		.amdhsa_exception_fp_ieee_inexact 0
		.amdhsa_exception_int_div_zero 0
	.end_amdhsa_kernel
	.section	.text._ZN7rocprim17ROCPRIM_400000_NS6detail17trampoline_kernelINS0_13select_configILj256ELj13ELNS0_17block_load_methodE3ELS4_3ELS4_3ELNS0_20block_scan_algorithmE0ELj4294967295EEENS1_25partition_config_selectorILNS1_17partition_subalgoE4EjNS0_10empty_typeEbEEZZNS1_14partition_implILS8_4ELb0ES6_15HIP_vector_typeIjLj2EENS0_17counting_iteratorIjlEEPS9_SG_NS0_5tupleIJPjSI_NS0_16reverse_iteratorISI_EEEEENSH_IJSG_SG_SG_EEES9_SI_JZNS1_25segmented_radix_sort_implINS0_14default_configELb1EPKfPfPKlPlN2at6native12_GLOBAL__N_18offset_tEEE10hipError_tPvRmT1_PNSt15iterator_traitsIS12_E10value_typeET2_T3_PNS13_IS18_E10value_typeET4_jRbjT5_S1E_jjP12ihipStream_tbEUljE_ZNSN_ISO_Lb1ESQ_SR_ST_SU_SY_EESZ_S10_S11_S12_S16_S17_S18_S1B_S1C_jS1D_jS1E_S1E_jjS1G_bEUljE0_EEESZ_S10_S11_S18_S1C_S1E_T6_T7_T9_mT8_S1G_bDpT10_ENKUlT_T0_E_clISt17integral_constantIbLb0EES1U_EEDaS1P_S1Q_EUlS1P_E_NS1_11comp_targetILNS1_3genE8ELNS1_11target_archE1030ELNS1_3gpuE2ELNS1_3repE0EEENS1_30default_config_static_selectorELNS0_4arch9wavefront6targetE1EEEvS12_,"axG",@progbits,_ZN7rocprim17ROCPRIM_400000_NS6detail17trampoline_kernelINS0_13select_configILj256ELj13ELNS0_17block_load_methodE3ELS4_3ELS4_3ELNS0_20block_scan_algorithmE0ELj4294967295EEENS1_25partition_config_selectorILNS1_17partition_subalgoE4EjNS0_10empty_typeEbEEZZNS1_14partition_implILS8_4ELb0ES6_15HIP_vector_typeIjLj2EENS0_17counting_iteratorIjlEEPS9_SG_NS0_5tupleIJPjSI_NS0_16reverse_iteratorISI_EEEEENSH_IJSG_SG_SG_EEES9_SI_JZNS1_25segmented_radix_sort_implINS0_14default_configELb1EPKfPfPKlPlN2at6native12_GLOBAL__N_18offset_tEEE10hipError_tPvRmT1_PNSt15iterator_traitsIS12_E10value_typeET2_T3_PNS13_IS18_E10value_typeET4_jRbjT5_S1E_jjP12ihipStream_tbEUljE_ZNSN_ISO_Lb1ESQ_SR_ST_SU_SY_EESZ_S10_S11_S12_S16_S17_S18_S1B_S1C_jS1D_jS1E_S1E_jjS1G_bEUljE0_EEESZ_S10_S11_S18_S1C_S1E_T6_T7_T9_mT8_S1G_bDpT10_ENKUlT_T0_E_clISt17integral_constantIbLb0EES1U_EEDaS1P_S1Q_EUlS1P_E_NS1_11comp_targetILNS1_3genE8ELNS1_11target_archE1030ELNS1_3gpuE2ELNS1_3repE0EEENS1_30default_config_static_selectorELNS0_4arch9wavefront6targetE1EEEvS12_,comdat
.Lfunc_end1268:
	.size	_ZN7rocprim17ROCPRIM_400000_NS6detail17trampoline_kernelINS0_13select_configILj256ELj13ELNS0_17block_load_methodE3ELS4_3ELS4_3ELNS0_20block_scan_algorithmE0ELj4294967295EEENS1_25partition_config_selectorILNS1_17partition_subalgoE4EjNS0_10empty_typeEbEEZZNS1_14partition_implILS8_4ELb0ES6_15HIP_vector_typeIjLj2EENS0_17counting_iteratorIjlEEPS9_SG_NS0_5tupleIJPjSI_NS0_16reverse_iteratorISI_EEEEENSH_IJSG_SG_SG_EEES9_SI_JZNS1_25segmented_radix_sort_implINS0_14default_configELb1EPKfPfPKlPlN2at6native12_GLOBAL__N_18offset_tEEE10hipError_tPvRmT1_PNSt15iterator_traitsIS12_E10value_typeET2_T3_PNS13_IS18_E10value_typeET4_jRbjT5_S1E_jjP12ihipStream_tbEUljE_ZNSN_ISO_Lb1ESQ_SR_ST_SU_SY_EESZ_S10_S11_S12_S16_S17_S18_S1B_S1C_jS1D_jS1E_S1E_jjS1G_bEUljE0_EEESZ_S10_S11_S18_S1C_S1E_T6_T7_T9_mT8_S1G_bDpT10_ENKUlT_T0_E_clISt17integral_constantIbLb0EES1U_EEDaS1P_S1Q_EUlS1P_E_NS1_11comp_targetILNS1_3genE8ELNS1_11target_archE1030ELNS1_3gpuE2ELNS1_3repE0EEENS1_30default_config_static_selectorELNS0_4arch9wavefront6targetE1EEEvS12_, .Lfunc_end1268-_ZN7rocprim17ROCPRIM_400000_NS6detail17trampoline_kernelINS0_13select_configILj256ELj13ELNS0_17block_load_methodE3ELS4_3ELS4_3ELNS0_20block_scan_algorithmE0ELj4294967295EEENS1_25partition_config_selectorILNS1_17partition_subalgoE4EjNS0_10empty_typeEbEEZZNS1_14partition_implILS8_4ELb0ES6_15HIP_vector_typeIjLj2EENS0_17counting_iteratorIjlEEPS9_SG_NS0_5tupleIJPjSI_NS0_16reverse_iteratorISI_EEEEENSH_IJSG_SG_SG_EEES9_SI_JZNS1_25segmented_radix_sort_implINS0_14default_configELb1EPKfPfPKlPlN2at6native12_GLOBAL__N_18offset_tEEE10hipError_tPvRmT1_PNSt15iterator_traitsIS12_E10value_typeET2_T3_PNS13_IS18_E10value_typeET4_jRbjT5_S1E_jjP12ihipStream_tbEUljE_ZNSN_ISO_Lb1ESQ_SR_ST_SU_SY_EESZ_S10_S11_S12_S16_S17_S18_S1B_S1C_jS1D_jS1E_S1E_jjS1G_bEUljE0_EEESZ_S10_S11_S18_S1C_S1E_T6_T7_T9_mT8_S1G_bDpT10_ENKUlT_T0_E_clISt17integral_constantIbLb0EES1U_EEDaS1P_S1Q_EUlS1P_E_NS1_11comp_targetILNS1_3genE8ELNS1_11target_archE1030ELNS1_3gpuE2ELNS1_3repE0EEENS1_30default_config_static_selectorELNS0_4arch9wavefront6targetE1EEEvS12_
                                        ; -- End function
	.set _ZN7rocprim17ROCPRIM_400000_NS6detail17trampoline_kernelINS0_13select_configILj256ELj13ELNS0_17block_load_methodE3ELS4_3ELS4_3ELNS0_20block_scan_algorithmE0ELj4294967295EEENS1_25partition_config_selectorILNS1_17partition_subalgoE4EjNS0_10empty_typeEbEEZZNS1_14partition_implILS8_4ELb0ES6_15HIP_vector_typeIjLj2EENS0_17counting_iteratorIjlEEPS9_SG_NS0_5tupleIJPjSI_NS0_16reverse_iteratorISI_EEEEENSH_IJSG_SG_SG_EEES9_SI_JZNS1_25segmented_radix_sort_implINS0_14default_configELb1EPKfPfPKlPlN2at6native12_GLOBAL__N_18offset_tEEE10hipError_tPvRmT1_PNSt15iterator_traitsIS12_E10value_typeET2_T3_PNS13_IS18_E10value_typeET4_jRbjT5_S1E_jjP12ihipStream_tbEUljE_ZNSN_ISO_Lb1ESQ_SR_ST_SU_SY_EESZ_S10_S11_S12_S16_S17_S18_S1B_S1C_jS1D_jS1E_S1E_jjS1G_bEUljE0_EEESZ_S10_S11_S18_S1C_S1E_T6_T7_T9_mT8_S1G_bDpT10_ENKUlT_T0_E_clISt17integral_constantIbLb0EES1U_EEDaS1P_S1Q_EUlS1P_E_NS1_11comp_targetILNS1_3genE8ELNS1_11target_archE1030ELNS1_3gpuE2ELNS1_3repE0EEENS1_30default_config_static_selectorELNS0_4arch9wavefront6targetE1EEEvS12_.num_vgpr, 0
	.set _ZN7rocprim17ROCPRIM_400000_NS6detail17trampoline_kernelINS0_13select_configILj256ELj13ELNS0_17block_load_methodE3ELS4_3ELS4_3ELNS0_20block_scan_algorithmE0ELj4294967295EEENS1_25partition_config_selectorILNS1_17partition_subalgoE4EjNS0_10empty_typeEbEEZZNS1_14partition_implILS8_4ELb0ES6_15HIP_vector_typeIjLj2EENS0_17counting_iteratorIjlEEPS9_SG_NS0_5tupleIJPjSI_NS0_16reverse_iteratorISI_EEEEENSH_IJSG_SG_SG_EEES9_SI_JZNS1_25segmented_radix_sort_implINS0_14default_configELb1EPKfPfPKlPlN2at6native12_GLOBAL__N_18offset_tEEE10hipError_tPvRmT1_PNSt15iterator_traitsIS12_E10value_typeET2_T3_PNS13_IS18_E10value_typeET4_jRbjT5_S1E_jjP12ihipStream_tbEUljE_ZNSN_ISO_Lb1ESQ_SR_ST_SU_SY_EESZ_S10_S11_S12_S16_S17_S18_S1B_S1C_jS1D_jS1E_S1E_jjS1G_bEUljE0_EEESZ_S10_S11_S18_S1C_S1E_T6_T7_T9_mT8_S1G_bDpT10_ENKUlT_T0_E_clISt17integral_constantIbLb0EES1U_EEDaS1P_S1Q_EUlS1P_E_NS1_11comp_targetILNS1_3genE8ELNS1_11target_archE1030ELNS1_3gpuE2ELNS1_3repE0EEENS1_30default_config_static_selectorELNS0_4arch9wavefront6targetE1EEEvS12_.num_agpr, 0
	.set _ZN7rocprim17ROCPRIM_400000_NS6detail17trampoline_kernelINS0_13select_configILj256ELj13ELNS0_17block_load_methodE3ELS4_3ELS4_3ELNS0_20block_scan_algorithmE0ELj4294967295EEENS1_25partition_config_selectorILNS1_17partition_subalgoE4EjNS0_10empty_typeEbEEZZNS1_14partition_implILS8_4ELb0ES6_15HIP_vector_typeIjLj2EENS0_17counting_iteratorIjlEEPS9_SG_NS0_5tupleIJPjSI_NS0_16reverse_iteratorISI_EEEEENSH_IJSG_SG_SG_EEES9_SI_JZNS1_25segmented_radix_sort_implINS0_14default_configELb1EPKfPfPKlPlN2at6native12_GLOBAL__N_18offset_tEEE10hipError_tPvRmT1_PNSt15iterator_traitsIS12_E10value_typeET2_T3_PNS13_IS18_E10value_typeET4_jRbjT5_S1E_jjP12ihipStream_tbEUljE_ZNSN_ISO_Lb1ESQ_SR_ST_SU_SY_EESZ_S10_S11_S12_S16_S17_S18_S1B_S1C_jS1D_jS1E_S1E_jjS1G_bEUljE0_EEESZ_S10_S11_S18_S1C_S1E_T6_T7_T9_mT8_S1G_bDpT10_ENKUlT_T0_E_clISt17integral_constantIbLb0EES1U_EEDaS1P_S1Q_EUlS1P_E_NS1_11comp_targetILNS1_3genE8ELNS1_11target_archE1030ELNS1_3gpuE2ELNS1_3repE0EEENS1_30default_config_static_selectorELNS0_4arch9wavefront6targetE1EEEvS12_.numbered_sgpr, 0
	.set _ZN7rocprim17ROCPRIM_400000_NS6detail17trampoline_kernelINS0_13select_configILj256ELj13ELNS0_17block_load_methodE3ELS4_3ELS4_3ELNS0_20block_scan_algorithmE0ELj4294967295EEENS1_25partition_config_selectorILNS1_17partition_subalgoE4EjNS0_10empty_typeEbEEZZNS1_14partition_implILS8_4ELb0ES6_15HIP_vector_typeIjLj2EENS0_17counting_iteratorIjlEEPS9_SG_NS0_5tupleIJPjSI_NS0_16reverse_iteratorISI_EEEEENSH_IJSG_SG_SG_EEES9_SI_JZNS1_25segmented_radix_sort_implINS0_14default_configELb1EPKfPfPKlPlN2at6native12_GLOBAL__N_18offset_tEEE10hipError_tPvRmT1_PNSt15iterator_traitsIS12_E10value_typeET2_T3_PNS13_IS18_E10value_typeET4_jRbjT5_S1E_jjP12ihipStream_tbEUljE_ZNSN_ISO_Lb1ESQ_SR_ST_SU_SY_EESZ_S10_S11_S12_S16_S17_S18_S1B_S1C_jS1D_jS1E_S1E_jjS1G_bEUljE0_EEESZ_S10_S11_S18_S1C_S1E_T6_T7_T9_mT8_S1G_bDpT10_ENKUlT_T0_E_clISt17integral_constantIbLb0EES1U_EEDaS1P_S1Q_EUlS1P_E_NS1_11comp_targetILNS1_3genE8ELNS1_11target_archE1030ELNS1_3gpuE2ELNS1_3repE0EEENS1_30default_config_static_selectorELNS0_4arch9wavefront6targetE1EEEvS12_.num_named_barrier, 0
	.set _ZN7rocprim17ROCPRIM_400000_NS6detail17trampoline_kernelINS0_13select_configILj256ELj13ELNS0_17block_load_methodE3ELS4_3ELS4_3ELNS0_20block_scan_algorithmE0ELj4294967295EEENS1_25partition_config_selectorILNS1_17partition_subalgoE4EjNS0_10empty_typeEbEEZZNS1_14partition_implILS8_4ELb0ES6_15HIP_vector_typeIjLj2EENS0_17counting_iteratorIjlEEPS9_SG_NS0_5tupleIJPjSI_NS0_16reverse_iteratorISI_EEEEENSH_IJSG_SG_SG_EEES9_SI_JZNS1_25segmented_radix_sort_implINS0_14default_configELb1EPKfPfPKlPlN2at6native12_GLOBAL__N_18offset_tEEE10hipError_tPvRmT1_PNSt15iterator_traitsIS12_E10value_typeET2_T3_PNS13_IS18_E10value_typeET4_jRbjT5_S1E_jjP12ihipStream_tbEUljE_ZNSN_ISO_Lb1ESQ_SR_ST_SU_SY_EESZ_S10_S11_S12_S16_S17_S18_S1B_S1C_jS1D_jS1E_S1E_jjS1G_bEUljE0_EEESZ_S10_S11_S18_S1C_S1E_T6_T7_T9_mT8_S1G_bDpT10_ENKUlT_T0_E_clISt17integral_constantIbLb0EES1U_EEDaS1P_S1Q_EUlS1P_E_NS1_11comp_targetILNS1_3genE8ELNS1_11target_archE1030ELNS1_3gpuE2ELNS1_3repE0EEENS1_30default_config_static_selectorELNS0_4arch9wavefront6targetE1EEEvS12_.private_seg_size, 0
	.set _ZN7rocprim17ROCPRIM_400000_NS6detail17trampoline_kernelINS0_13select_configILj256ELj13ELNS0_17block_load_methodE3ELS4_3ELS4_3ELNS0_20block_scan_algorithmE0ELj4294967295EEENS1_25partition_config_selectorILNS1_17partition_subalgoE4EjNS0_10empty_typeEbEEZZNS1_14partition_implILS8_4ELb0ES6_15HIP_vector_typeIjLj2EENS0_17counting_iteratorIjlEEPS9_SG_NS0_5tupleIJPjSI_NS0_16reverse_iteratorISI_EEEEENSH_IJSG_SG_SG_EEES9_SI_JZNS1_25segmented_radix_sort_implINS0_14default_configELb1EPKfPfPKlPlN2at6native12_GLOBAL__N_18offset_tEEE10hipError_tPvRmT1_PNSt15iterator_traitsIS12_E10value_typeET2_T3_PNS13_IS18_E10value_typeET4_jRbjT5_S1E_jjP12ihipStream_tbEUljE_ZNSN_ISO_Lb1ESQ_SR_ST_SU_SY_EESZ_S10_S11_S12_S16_S17_S18_S1B_S1C_jS1D_jS1E_S1E_jjS1G_bEUljE0_EEESZ_S10_S11_S18_S1C_S1E_T6_T7_T9_mT8_S1G_bDpT10_ENKUlT_T0_E_clISt17integral_constantIbLb0EES1U_EEDaS1P_S1Q_EUlS1P_E_NS1_11comp_targetILNS1_3genE8ELNS1_11target_archE1030ELNS1_3gpuE2ELNS1_3repE0EEENS1_30default_config_static_selectorELNS0_4arch9wavefront6targetE1EEEvS12_.uses_vcc, 0
	.set _ZN7rocprim17ROCPRIM_400000_NS6detail17trampoline_kernelINS0_13select_configILj256ELj13ELNS0_17block_load_methodE3ELS4_3ELS4_3ELNS0_20block_scan_algorithmE0ELj4294967295EEENS1_25partition_config_selectorILNS1_17partition_subalgoE4EjNS0_10empty_typeEbEEZZNS1_14partition_implILS8_4ELb0ES6_15HIP_vector_typeIjLj2EENS0_17counting_iteratorIjlEEPS9_SG_NS0_5tupleIJPjSI_NS0_16reverse_iteratorISI_EEEEENSH_IJSG_SG_SG_EEES9_SI_JZNS1_25segmented_radix_sort_implINS0_14default_configELb1EPKfPfPKlPlN2at6native12_GLOBAL__N_18offset_tEEE10hipError_tPvRmT1_PNSt15iterator_traitsIS12_E10value_typeET2_T3_PNS13_IS18_E10value_typeET4_jRbjT5_S1E_jjP12ihipStream_tbEUljE_ZNSN_ISO_Lb1ESQ_SR_ST_SU_SY_EESZ_S10_S11_S12_S16_S17_S18_S1B_S1C_jS1D_jS1E_S1E_jjS1G_bEUljE0_EEESZ_S10_S11_S18_S1C_S1E_T6_T7_T9_mT8_S1G_bDpT10_ENKUlT_T0_E_clISt17integral_constantIbLb0EES1U_EEDaS1P_S1Q_EUlS1P_E_NS1_11comp_targetILNS1_3genE8ELNS1_11target_archE1030ELNS1_3gpuE2ELNS1_3repE0EEENS1_30default_config_static_selectorELNS0_4arch9wavefront6targetE1EEEvS12_.uses_flat_scratch, 0
	.set _ZN7rocprim17ROCPRIM_400000_NS6detail17trampoline_kernelINS0_13select_configILj256ELj13ELNS0_17block_load_methodE3ELS4_3ELS4_3ELNS0_20block_scan_algorithmE0ELj4294967295EEENS1_25partition_config_selectorILNS1_17partition_subalgoE4EjNS0_10empty_typeEbEEZZNS1_14partition_implILS8_4ELb0ES6_15HIP_vector_typeIjLj2EENS0_17counting_iteratorIjlEEPS9_SG_NS0_5tupleIJPjSI_NS0_16reverse_iteratorISI_EEEEENSH_IJSG_SG_SG_EEES9_SI_JZNS1_25segmented_radix_sort_implINS0_14default_configELb1EPKfPfPKlPlN2at6native12_GLOBAL__N_18offset_tEEE10hipError_tPvRmT1_PNSt15iterator_traitsIS12_E10value_typeET2_T3_PNS13_IS18_E10value_typeET4_jRbjT5_S1E_jjP12ihipStream_tbEUljE_ZNSN_ISO_Lb1ESQ_SR_ST_SU_SY_EESZ_S10_S11_S12_S16_S17_S18_S1B_S1C_jS1D_jS1E_S1E_jjS1G_bEUljE0_EEESZ_S10_S11_S18_S1C_S1E_T6_T7_T9_mT8_S1G_bDpT10_ENKUlT_T0_E_clISt17integral_constantIbLb0EES1U_EEDaS1P_S1Q_EUlS1P_E_NS1_11comp_targetILNS1_3genE8ELNS1_11target_archE1030ELNS1_3gpuE2ELNS1_3repE0EEENS1_30default_config_static_selectorELNS0_4arch9wavefront6targetE1EEEvS12_.has_dyn_sized_stack, 0
	.set _ZN7rocprim17ROCPRIM_400000_NS6detail17trampoline_kernelINS0_13select_configILj256ELj13ELNS0_17block_load_methodE3ELS4_3ELS4_3ELNS0_20block_scan_algorithmE0ELj4294967295EEENS1_25partition_config_selectorILNS1_17partition_subalgoE4EjNS0_10empty_typeEbEEZZNS1_14partition_implILS8_4ELb0ES6_15HIP_vector_typeIjLj2EENS0_17counting_iteratorIjlEEPS9_SG_NS0_5tupleIJPjSI_NS0_16reverse_iteratorISI_EEEEENSH_IJSG_SG_SG_EEES9_SI_JZNS1_25segmented_radix_sort_implINS0_14default_configELb1EPKfPfPKlPlN2at6native12_GLOBAL__N_18offset_tEEE10hipError_tPvRmT1_PNSt15iterator_traitsIS12_E10value_typeET2_T3_PNS13_IS18_E10value_typeET4_jRbjT5_S1E_jjP12ihipStream_tbEUljE_ZNSN_ISO_Lb1ESQ_SR_ST_SU_SY_EESZ_S10_S11_S12_S16_S17_S18_S1B_S1C_jS1D_jS1E_S1E_jjS1G_bEUljE0_EEESZ_S10_S11_S18_S1C_S1E_T6_T7_T9_mT8_S1G_bDpT10_ENKUlT_T0_E_clISt17integral_constantIbLb0EES1U_EEDaS1P_S1Q_EUlS1P_E_NS1_11comp_targetILNS1_3genE8ELNS1_11target_archE1030ELNS1_3gpuE2ELNS1_3repE0EEENS1_30default_config_static_selectorELNS0_4arch9wavefront6targetE1EEEvS12_.has_recursion, 0
	.set _ZN7rocprim17ROCPRIM_400000_NS6detail17trampoline_kernelINS0_13select_configILj256ELj13ELNS0_17block_load_methodE3ELS4_3ELS4_3ELNS0_20block_scan_algorithmE0ELj4294967295EEENS1_25partition_config_selectorILNS1_17partition_subalgoE4EjNS0_10empty_typeEbEEZZNS1_14partition_implILS8_4ELb0ES6_15HIP_vector_typeIjLj2EENS0_17counting_iteratorIjlEEPS9_SG_NS0_5tupleIJPjSI_NS0_16reverse_iteratorISI_EEEEENSH_IJSG_SG_SG_EEES9_SI_JZNS1_25segmented_radix_sort_implINS0_14default_configELb1EPKfPfPKlPlN2at6native12_GLOBAL__N_18offset_tEEE10hipError_tPvRmT1_PNSt15iterator_traitsIS12_E10value_typeET2_T3_PNS13_IS18_E10value_typeET4_jRbjT5_S1E_jjP12ihipStream_tbEUljE_ZNSN_ISO_Lb1ESQ_SR_ST_SU_SY_EESZ_S10_S11_S12_S16_S17_S18_S1B_S1C_jS1D_jS1E_S1E_jjS1G_bEUljE0_EEESZ_S10_S11_S18_S1C_S1E_T6_T7_T9_mT8_S1G_bDpT10_ENKUlT_T0_E_clISt17integral_constantIbLb0EES1U_EEDaS1P_S1Q_EUlS1P_E_NS1_11comp_targetILNS1_3genE8ELNS1_11target_archE1030ELNS1_3gpuE2ELNS1_3repE0EEENS1_30default_config_static_selectorELNS0_4arch9wavefront6targetE1EEEvS12_.has_indirect_call, 0
	.section	.AMDGPU.csdata,"",@progbits
; Kernel info:
; codeLenInByte = 0
; TotalNumSgprs: 4
; NumVgprs: 0
; ScratchSize: 0
; MemoryBound: 0
; FloatMode: 240
; IeeeMode: 1
; LDSByteSize: 0 bytes/workgroup (compile time only)
; SGPRBlocks: 0
; VGPRBlocks: 0
; NumSGPRsForWavesPerEU: 4
; NumVGPRsForWavesPerEU: 1
; Occupancy: 10
; WaveLimiterHint : 0
; COMPUTE_PGM_RSRC2:SCRATCH_EN: 0
; COMPUTE_PGM_RSRC2:USER_SGPR: 6
; COMPUTE_PGM_RSRC2:TRAP_HANDLER: 0
; COMPUTE_PGM_RSRC2:TGID_X_EN: 1
; COMPUTE_PGM_RSRC2:TGID_Y_EN: 0
; COMPUTE_PGM_RSRC2:TGID_Z_EN: 0
; COMPUTE_PGM_RSRC2:TIDIG_COMP_CNT: 0
	.section	.text._ZN7rocprim17ROCPRIM_400000_NS6detail17trampoline_kernelINS0_13select_configILj256ELj13ELNS0_17block_load_methodE3ELS4_3ELS4_3ELNS0_20block_scan_algorithmE0ELj4294967295EEENS1_25partition_config_selectorILNS1_17partition_subalgoE4EjNS0_10empty_typeEbEEZZNS1_14partition_implILS8_4ELb0ES6_15HIP_vector_typeIjLj2EENS0_17counting_iteratorIjlEEPS9_SG_NS0_5tupleIJPjSI_NS0_16reverse_iteratorISI_EEEEENSH_IJSG_SG_SG_EEES9_SI_JZNS1_25segmented_radix_sort_implINS0_14default_configELb1EPKfPfPKlPlN2at6native12_GLOBAL__N_18offset_tEEE10hipError_tPvRmT1_PNSt15iterator_traitsIS12_E10value_typeET2_T3_PNS13_IS18_E10value_typeET4_jRbjT5_S1E_jjP12ihipStream_tbEUljE_ZNSN_ISO_Lb1ESQ_SR_ST_SU_SY_EESZ_S10_S11_S12_S16_S17_S18_S1B_S1C_jS1D_jS1E_S1E_jjS1G_bEUljE0_EEESZ_S10_S11_S18_S1C_S1E_T6_T7_T9_mT8_S1G_bDpT10_ENKUlT_T0_E_clISt17integral_constantIbLb1EES1U_EEDaS1P_S1Q_EUlS1P_E_NS1_11comp_targetILNS1_3genE0ELNS1_11target_archE4294967295ELNS1_3gpuE0ELNS1_3repE0EEENS1_30default_config_static_selectorELNS0_4arch9wavefront6targetE1EEEvS12_,"axG",@progbits,_ZN7rocprim17ROCPRIM_400000_NS6detail17trampoline_kernelINS0_13select_configILj256ELj13ELNS0_17block_load_methodE3ELS4_3ELS4_3ELNS0_20block_scan_algorithmE0ELj4294967295EEENS1_25partition_config_selectorILNS1_17partition_subalgoE4EjNS0_10empty_typeEbEEZZNS1_14partition_implILS8_4ELb0ES6_15HIP_vector_typeIjLj2EENS0_17counting_iteratorIjlEEPS9_SG_NS0_5tupleIJPjSI_NS0_16reverse_iteratorISI_EEEEENSH_IJSG_SG_SG_EEES9_SI_JZNS1_25segmented_radix_sort_implINS0_14default_configELb1EPKfPfPKlPlN2at6native12_GLOBAL__N_18offset_tEEE10hipError_tPvRmT1_PNSt15iterator_traitsIS12_E10value_typeET2_T3_PNS13_IS18_E10value_typeET4_jRbjT5_S1E_jjP12ihipStream_tbEUljE_ZNSN_ISO_Lb1ESQ_SR_ST_SU_SY_EESZ_S10_S11_S12_S16_S17_S18_S1B_S1C_jS1D_jS1E_S1E_jjS1G_bEUljE0_EEESZ_S10_S11_S18_S1C_S1E_T6_T7_T9_mT8_S1G_bDpT10_ENKUlT_T0_E_clISt17integral_constantIbLb1EES1U_EEDaS1P_S1Q_EUlS1P_E_NS1_11comp_targetILNS1_3genE0ELNS1_11target_archE4294967295ELNS1_3gpuE0ELNS1_3repE0EEENS1_30default_config_static_selectorELNS0_4arch9wavefront6targetE1EEEvS12_,comdat
	.globl	_ZN7rocprim17ROCPRIM_400000_NS6detail17trampoline_kernelINS0_13select_configILj256ELj13ELNS0_17block_load_methodE3ELS4_3ELS4_3ELNS0_20block_scan_algorithmE0ELj4294967295EEENS1_25partition_config_selectorILNS1_17partition_subalgoE4EjNS0_10empty_typeEbEEZZNS1_14partition_implILS8_4ELb0ES6_15HIP_vector_typeIjLj2EENS0_17counting_iteratorIjlEEPS9_SG_NS0_5tupleIJPjSI_NS0_16reverse_iteratorISI_EEEEENSH_IJSG_SG_SG_EEES9_SI_JZNS1_25segmented_radix_sort_implINS0_14default_configELb1EPKfPfPKlPlN2at6native12_GLOBAL__N_18offset_tEEE10hipError_tPvRmT1_PNSt15iterator_traitsIS12_E10value_typeET2_T3_PNS13_IS18_E10value_typeET4_jRbjT5_S1E_jjP12ihipStream_tbEUljE_ZNSN_ISO_Lb1ESQ_SR_ST_SU_SY_EESZ_S10_S11_S12_S16_S17_S18_S1B_S1C_jS1D_jS1E_S1E_jjS1G_bEUljE0_EEESZ_S10_S11_S18_S1C_S1E_T6_T7_T9_mT8_S1G_bDpT10_ENKUlT_T0_E_clISt17integral_constantIbLb1EES1U_EEDaS1P_S1Q_EUlS1P_E_NS1_11comp_targetILNS1_3genE0ELNS1_11target_archE4294967295ELNS1_3gpuE0ELNS1_3repE0EEENS1_30default_config_static_selectorELNS0_4arch9wavefront6targetE1EEEvS12_ ; -- Begin function _ZN7rocprim17ROCPRIM_400000_NS6detail17trampoline_kernelINS0_13select_configILj256ELj13ELNS0_17block_load_methodE3ELS4_3ELS4_3ELNS0_20block_scan_algorithmE0ELj4294967295EEENS1_25partition_config_selectorILNS1_17partition_subalgoE4EjNS0_10empty_typeEbEEZZNS1_14partition_implILS8_4ELb0ES6_15HIP_vector_typeIjLj2EENS0_17counting_iteratorIjlEEPS9_SG_NS0_5tupleIJPjSI_NS0_16reverse_iteratorISI_EEEEENSH_IJSG_SG_SG_EEES9_SI_JZNS1_25segmented_radix_sort_implINS0_14default_configELb1EPKfPfPKlPlN2at6native12_GLOBAL__N_18offset_tEEE10hipError_tPvRmT1_PNSt15iterator_traitsIS12_E10value_typeET2_T3_PNS13_IS18_E10value_typeET4_jRbjT5_S1E_jjP12ihipStream_tbEUljE_ZNSN_ISO_Lb1ESQ_SR_ST_SU_SY_EESZ_S10_S11_S12_S16_S17_S18_S1B_S1C_jS1D_jS1E_S1E_jjS1G_bEUljE0_EEESZ_S10_S11_S18_S1C_S1E_T6_T7_T9_mT8_S1G_bDpT10_ENKUlT_T0_E_clISt17integral_constantIbLb1EES1U_EEDaS1P_S1Q_EUlS1P_E_NS1_11comp_targetILNS1_3genE0ELNS1_11target_archE4294967295ELNS1_3gpuE0ELNS1_3repE0EEENS1_30default_config_static_selectorELNS0_4arch9wavefront6targetE1EEEvS12_
	.p2align	8
	.type	_ZN7rocprim17ROCPRIM_400000_NS6detail17trampoline_kernelINS0_13select_configILj256ELj13ELNS0_17block_load_methodE3ELS4_3ELS4_3ELNS0_20block_scan_algorithmE0ELj4294967295EEENS1_25partition_config_selectorILNS1_17partition_subalgoE4EjNS0_10empty_typeEbEEZZNS1_14partition_implILS8_4ELb0ES6_15HIP_vector_typeIjLj2EENS0_17counting_iteratorIjlEEPS9_SG_NS0_5tupleIJPjSI_NS0_16reverse_iteratorISI_EEEEENSH_IJSG_SG_SG_EEES9_SI_JZNS1_25segmented_radix_sort_implINS0_14default_configELb1EPKfPfPKlPlN2at6native12_GLOBAL__N_18offset_tEEE10hipError_tPvRmT1_PNSt15iterator_traitsIS12_E10value_typeET2_T3_PNS13_IS18_E10value_typeET4_jRbjT5_S1E_jjP12ihipStream_tbEUljE_ZNSN_ISO_Lb1ESQ_SR_ST_SU_SY_EESZ_S10_S11_S12_S16_S17_S18_S1B_S1C_jS1D_jS1E_S1E_jjS1G_bEUljE0_EEESZ_S10_S11_S18_S1C_S1E_T6_T7_T9_mT8_S1G_bDpT10_ENKUlT_T0_E_clISt17integral_constantIbLb1EES1U_EEDaS1P_S1Q_EUlS1P_E_NS1_11comp_targetILNS1_3genE0ELNS1_11target_archE4294967295ELNS1_3gpuE0ELNS1_3repE0EEENS1_30default_config_static_selectorELNS0_4arch9wavefront6targetE1EEEvS12_,@function
_ZN7rocprim17ROCPRIM_400000_NS6detail17trampoline_kernelINS0_13select_configILj256ELj13ELNS0_17block_load_methodE3ELS4_3ELS4_3ELNS0_20block_scan_algorithmE0ELj4294967295EEENS1_25partition_config_selectorILNS1_17partition_subalgoE4EjNS0_10empty_typeEbEEZZNS1_14partition_implILS8_4ELb0ES6_15HIP_vector_typeIjLj2EENS0_17counting_iteratorIjlEEPS9_SG_NS0_5tupleIJPjSI_NS0_16reverse_iteratorISI_EEEEENSH_IJSG_SG_SG_EEES9_SI_JZNS1_25segmented_radix_sort_implINS0_14default_configELb1EPKfPfPKlPlN2at6native12_GLOBAL__N_18offset_tEEE10hipError_tPvRmT1_PNSt15iterator_traitsIS12_E10value_typeET2_T3_PNS13_IS18_E10value_typeET4_jRbjT5_S1E_jjP12ihipStream_tbEUljE_ZNSN_ISO_Lb1ESQ_SR_ST_SU_SY_EESZ_S10_S11_S12_S16_S17_S18_S1B_S1C_jS1D_jS1E_S1E_jjS1G_bEUljE0_EEESZ_S10_S11_S18_S1C_S1E_T6_T7_T9_mT8_S1G_bDpT10_ENKUlT_T0_E_clISt17integral_constantIbLb1EES1U_EEDaS1P_S1Q_EUlS1P_E_NS1_11comp_targetILNS1_3genE0ELNS1_11target_archE4294967295ELNS1_3gpuE0ELNS1_3repE0EEENS1_30default_config_static_selectorELNS0_4arch9wavefront6targetE1EEEvS12_: ; @_ZN7rocprim17ROCPRIM_400000_NS6detail17trampoline_kernelINS0_13select_configILj256ELj13ELNS0_17block_load_methodE3ELS4_3ELS4_3ELNS0_20block_scan_algorithmE0ELj4294967295EEENS1_25partition_config_selectorILNS1_17partition_subalgoE4EjNS0_10empty_typeEbEEZZNS1_14partition_implILS8_4ELb0ES6_15HIP_vector_typeIjLj2EENS0_17counting_iteratorIjlEEPS9_SG_NS0_5tupleIJPjSI_NS0_16reverse_iteratorISI_EEEEENSH_IJSG_SG_SG_EEES9_SI_JZNS1_25segmented_radix_sort_implINS0_14default_configELb1EPKfPfPKlPlN2at6native12_GLOBAL__N_18offset_tEEE10hipError_tPvRmT1_PNSt15iterator_traitsIS12_E10value_typeET2_T3_PNS13_IS18_E10value_typeET4_jRbjT5_S1E_jjP12ihipStream_tbEUljE_ZNSN_ISO_Lb1ESQ_SR_ST_SU_SY_EESZ_S10_S11_S12_S16_S17_S18_S1B_S1C_jS1D_jS1E_S1E_jjS1G_bEUljE0_EEESZ_S10_S11_S18_S1C_S1E_T6_T7_T9_mT8_S1G_bDpT10_ENKUlT_T0_E_clISt17integral_constantIbLb1EES1U_EEDaS1P_S1Q_EUlS1P_E_NS1_11comp_targetILNS1_3genE0ELNS1_11target_archE4294967295ELNS1_3gpuE0ELNS1_3repE0EEENS1_30default_config_static_selectorELNS0_4arch9wavefront6targetE1EEEvS12_
; %bb.0:
	.section	.rodata,"a",@progbits
	.p2align	6, 0x0
	.amdhsa_kernel _ZN7rocprim17ROCPRIM_400000_NS6detail17trampoline_kernelINS0_13select_configILj256ELj13ELNS0_17block_load_methodE3ELS4_3ELS4_3ELNS0_20block_scan_algorithmE0ELj4294967295EEENS1_25partition_config_selectorILNS1_17partition_subalgoE4EjNS0_10empty_typeEbEEZZNS1_14partition_implILS8_4ELb0ES6_15HIP_vector_typeIjLj2EENS0_17counting_iteratorIjlEEPS9_SG_NS0_5tupleIJPjSI_NS0_16reverse_iteratorISI_EEEEENSH_IJSG_SG_SG_EEES9_SI_JZNS1_25segmented_radix_sort_implINS0_14default_configELb1EPKfPfPKlPlN2at6native12_GLOBAL__N_18offset_tEEE10hipError_tPvRmT1_PNSt15iterator_traitsIS12_E10value_typeET2_T3_PNS13_IS18_E10value_typeET4_jRbjT5_S1E_jjP12ihipStream_tbEUljE_ZNSN_ISO_Lb1ESQ_SR_ST_SU_SY_EESZ_S10_S11_S12_S16_S17_S18_S1B_S1C_jS1D_jS1E_S1E_jjS1G_bEUljE0_EEESZ_S10_S11_S18_S1C_S1E_T6_T7_T9_mT8_S1G_bDpT10_ENKUlT_T0_E_clISt17integral_constantIbLb1EES1U_EEDaS1P_S1Q_EUlS1P_E_NS1_11comp_targetILNS1_3genE0ELNS1_11target_archE4294967295ELNS1_3gpuE0ELNS1_3repE0EEENS1_30default_config_static_selectorELNS0_4arch9wavefront6targetE1EEEvS12_
		.amdhsa_group_segment_fixed_size 0
		.amdhsa_private_segment_fixed_size 0
		.amdhsa_kernarg_size 184
		.amdhsa_user_sgpr_count 6
		.amdhsa_user_sgpr_private_segment_buffer 1
		.amdhsa_user_sgpr_dispatch_ptr 0
		.amdhsa_user_sgpr_queue_ptr 0
		.amdhsa_user_sgpr_kernarg_segment_ptr 1
		.amdhsa_user_sgpr_dispatch_id 0
		.amdhsa_user_sgpr_flat_scratch_init 0
		.amdhsa_user_sgpr_private_segment_size 0
		.amdhsa_uses_dynamic_stack 0
		.amdhsa_system_sgpr_private_segment_wavefront_offset 0
		.amdhsa_system_sgpr_workgroup_id_x 1
		.amdhsa_system_sgpr_workgroup_id_y 0
		.amdhsa_system_sgpr_workgroup_id_z 0
		.amdhsa_system_sgpr_workgroup_info 0
		.amdhsa_system_vgpr_workitem_id 0
		.amdhsa_next_free_vgpr 1
		.amdhsa_next_free_sgpr 0
		.amdhsa_reserve_vcc 0
		.amdhsa_reserve_flat_scratch 0
		.amdhsa_float_round_mode_32 0
		.amdhsa_float_round_mode_16_64 0
		.amdhsa_float_denorm_mode_32 3
		.amdhsa_float_denorm_mode_16_64 3
		.amdhsa_dx10_clamp 1
		.amdhsa_ieee_mode 1
		.amdhsa_fp16_overflow 0
		.amdhsa_exception_fp_ieee_invalid_op 0
		.amdhsa_exception_fp_denorm_src 0
		.amdhsa_exception_fp_ieee_div_zero 0
		.amdhsa_exception_fp_ieee_overflow 0
		.amdhsa_exception_fp_ieee_underflow 0
		.amdhsa_exception_fp_ieee_inexact 0
		.amdhsa_exception_int_div_zero 0
	.end_amdhsa_kernel
	.section	.text._ZN7rocprim17ROCPRIM_400000_NS6detail17trampoline_kernelINS0_13select_configILj256ELj13ELNS0_17block_load_methodE3ELS4_3ELS4_3ELNS0_20block_scan_algorithmE0ELj4294967295EEENS1_25partition_config_selectorILNS1_17partition_subalgoE4EjNS0_10empty_typeEbEEZZNS1_14partition_implILS8_4ELb0ES6_15HIP_vector_typeIjLj2EENS0_17counting_iteratorIjlEEPS9_SG_NS0_5tupleIJPjSI_NS0_16reverse_iteratorISI_EEEEENSH_IJSG_SG_SG_EEES9_SI_JZNS1_25segmented_radix_sort_implINS0_14default_configELb1EPKfPfPKlPlN2at6native12_GLOBAL__N_18offset_tEEE10hipError_tPvRmT1_PNSt15iterator_traitsIS12_E10value_typeET2_T3_PNS13_IS18_E10value_typeET4_jRbjT5_S1E_jjP12ihipStream_tbEUljE_ZNSN_ISO_Lb1ESQ_SR_ST_SU_SY_EESZ_S10_S11_S12_S16_S17_S18_S1B_S1C_jS1D_jS1E_S1E_jjS1G_bEUljE0_EEESZ_S10_S11_S18_S1C_S1E_T6_T7_T9_mT8_S1G_bDpT10_ENKUlT_T0_E_clISt17integral_constantIbLb1EES1U_EEDaS1P_S1Q_EUlS1P_E_NS1_11comp_targetILNS1_3genE0ELNS1_11target_archE4294967295ELNS1_3gpuE0ELNS1_3repE0EEENS1_30default_config_static_selectorELNS0_4arch9wavefront6targetE1EEEvS12_,"axG",@progbits,_ZN7rocprim17ROCPRIM_400000_NS6detail17trampoline_kernelINS0_13select_configILj256ELj13ELNS0_17block_load_methodE3ELS4_3ELS4_3ELNS0_20block_scan_algorithmE0ELj4294967295EEENS1_25partition_config_selectorILNS1_17partition_subalgoE4EjNS0_10empty_typeEbEEZZNS1_14partition_implILS8_4ELb0ES6_15HIP_vector_typeIjLj2EENS0_17counting_iteratorIjlEEPS9_SG_NS0_5tupleIJPjSI_NS0_16reverse_iteratorISI_EEEEENSH_IJSG_SG_SG_EEES9_SI_JZNS1_25segmented_radix_sort_implINS0_14default_configELb1EPKfPfPKlPlN2at6native12_GLOBAL__N_18offset_tEEE10hipError_tPvRmT1_PNSt15iterator_traitsIS12_E10value_typeET2_T3_PNS13_IS18_E10value_typeET4_jRbjT5_S1E_jjP12ihipStream_tbEUljE_ZNSN_ISO_Lb1ESQ_SR_ST_SU_SY_EESZ_S10_S11_S12_S16_S17_S18_S1B_S1C_jS1D_jS1E_S1E_jjS1G_bEUljE0_EEESZ_S10_S11_S18_S1C_S1E_T6_T7_T9_mT8_S1G_bDpT10_ENKUlT_T0_E_clISt17integral_constantIbLb1EES1U_EEDaS1P_S1Q_EUlS1P_E_NS1_11comp_targetILNS1_3genE0ELNS1_11target_archE4294967295ELNS1_3gpuE0ELNS1_3repE0EEENS1_30default_config_static_selectorELNS0_4arch9wavefront6targetE1EEEvS12_,comdat
.Lfunc_end1269:
	.size	_ZN7rocprim17ROCPRIM_400000_NS6detail17trampoline_kernelINS0_13select_configILj256ELj13ELNS0_17block_load_methodE3ELS4_3ELS4_3ELNS0_20block_scan_algorithmE0ELj4294967295EEENS1_25partition_config_selectorILNS1_17partition_subalgoE4EjNS0_10empty_typeEbEEZZNS1_14partition_implILS8_4ELb0ES6_15HIP_vector_typeIjLj2EENS0_17counting_iteratorIjlEEPS9_SG_NS0_5tupleIJPjSI_NS0_16reverse_iteratorISI_EEEEENSH_IJSG_SG_SG_EEES9_SI_JZNS1_25segmented_radix_sort_implINS0_14default_configELb1EPKfPfPKlPlN2at6native12_GLOBAL__N_18offset_tEEE10hipError_tPvRmT1_PNSt15iterator_traitsIS12_E10value_typeET2_T3_PNS13_IS18_E10value_typeET4_jRbjT5_S1E_jjP12ihipStream_tbEUljE_ZNSN_ISO_Lb1ESQ_SR_ST_SU_SY_EESZ_S10_S11_S12_S16_S17_S18_S1B_S1C_jS1D_jS1E_S1E_jjS1G_bEUljE0_EEESZ_S10_S11_S18_S1C_S1E_T6_T7_T9_mT8_S1G_bDpT10_ENKUlT_T0_E_clISt17integral_constantIbLb1EES1U_EEDaS1P_S1Q_EUlS1P_E_NS1_11comp_targetILNS1_3genE0ELNS1_11target_archE4294967295ELNS1_3gpuE0ELNS1_3repE0EEENS1_30default_config_static_selectorELNS0_4arch9wavefront6targetE1EEEvS12_, .Lfunc_end1269-_ZN7rocprim17ROCPRIM_400000_NS6detail17trampoline_kernelINS0_13select_configILj256ELj13ELNS0_17block_load_methodE3ELS4_3ELS4_3ELNS0_20block_scan_algorithmE0ELj4294967295EEENS1_25partition_config_selectorILNS1_17partition_subalgoE4EjNS0_10empty_typeEbEEZZNS1_14partition_implILS8_4ELb0ES6_15HIP_vector_typeIjLj2EENS0_17counting_iteratorIjlEEPS9_SG_NS0_5tupleIJPjSI_NS0_16reverse_iteratorISI_EEEEENSH_IJSG_SG_SG_EEES9_SI_JZNS1_25segmented_radix_sort_implINS0_14default_configELb1EPKfPfPKlPlN2at6native12_GLOBAL__N_18offset_tEEE10hipError_tPvRmT1_PNSt15iterator_traitsIS12_E10value_typeET2_T3_PNS13_IS18_E10value_typeET4_jRbjT5_S1E_jjP12ihipStream_tbEUljE_ZNSN_ISO_Lb1ESQ_SR_ST_SU_SY_EESZ_S10_S11_S12_S16_S17_S18_S1B_S1C_jS1D_jS1E_S1E_jjS1G_bEUljE0_EEESZ_S10_S11_S18_S1C_S1E_T6_T7_T9_mT8_S1G_bDpT10_ENKUlT_T0_E_clISt17integral_constantIbLb1EES1U_EEDaS1P_S1Q_EUlS1P_E_NS1_11comp_targetILNS1_3genE0ELNS1_11target_archE4294967295ELNS1_3gpuE0ELNS1_3repE0EEENS1_30default_config_static_selectorELNS0_4arch9wavefront6targetE1EEEvS12_
                                        ; -- End function
	.set _ZN7rocprim17ROCPRIM_400000_NS6detail17trampoline_kernelINS0_13select_configILj256ELj13ELNS0_17block_load_methodE3ELS4_3ELS4_3ELNS0_20block_scan_algorithmE0ELj4294967295EEENS1_25partition_config_selectorILNS1_17partition_subalgoE4EjNS0_10empty_typeEbEEZZNS1_14partition_implILS8_4ELb0ES6_15HIP_vector_typeIjLj2EENS0_17counting_iteratorIjlEEPS9_SG_NS0_5tupleIJPjSI_NS0_16reverse_iteratorISI_EEEEENSH_IJSG_SG_SG_EEES9_SI_JZNS1_25segmented_radix_sort_implINS0_14default_configELb1EPKfPfPKlPlN2at6native12_GLOBAL__N_18offset_tEEE10hipError_tPvRmT1_PNSt15iterator_traitsIS12_E10value_typeET2_T3_PNS13_IS18_E10value_typeET4_jRbjT5_S1E_jjP12ihipStream_tbEUljE_ZNSN_ISO_Lb1ESQ_SR_ST_SU_SY_EESZ_S10_S11_S12_S16_S17_S18_S1B_S1C_jS1D_jS1E_S1E_jjS1G_bEUljE0_EEESZ_S10_S11_S18_S1C_S1E_T6_T7_T9_mT8_S1G_bDpT10_ENKUlT_T0_E_clISt17integral_constantIbLb1EES1U_EEDaS1P_S1Q_EUlS1P_E_NS1_11comp_targetILNS1_3genE0ELNS1_11target_archE4294967295ELNS1_3gpuE0ELNS1_3repE0EEENS1_30default_config_static_selectorELNS0_4arch9wavefront6targetE1EEEvS12_.num_vgpr, 0
	.set _ZN7rocprim17ROCPRIM_400000_NS6detail17trampoline_kernelINS0_13select_configILj256ELj13ELNS0_17block_load_methodE3ELS4_3ELS4_3ELNS0_20block_scan_algorithmE0ELj4294967295EEENS1_25partition_config_selectorILNS1_17partition_subalgoE4EjNS0_10empty_typeEbEEZZNS1_14partition_implILS8_4ELb0ES6_15HIP_vector_typeIjLj2EENS0_17counting_iteratorIjlEEPS9_SG_NS0_5tupleIJPjSI_NS0_16reverse_iteratorISI_EEEEENSH_IJSG_SG_SG_EEES9_SI_JZNS1_25segmented_radix_sort_implINS0_14default_configELb1EPKfPfPKlPlN2at6native12_GLOBAL__N_18offset_tEEE10hipError_tPvRmT1_PNSt15iterator_traitsIS12_E10value_typeET2_T3_PNS13_IS18_E10value_typeET4_jRbjT5_S1E_jjP12ihipStream_tbEUljE_ZNSN_ISO_Lb1ESQ_SR_ST_SU_SY_EESZ_S10_S11_S12_S16_S17_S18_S1B_S1C_jS1D_jS1E_S1E_jjS1G_bEUljE0_EEESZ_S10_S11_S18_S1C_S1E_T6_T7_T9_mT8_S1G_bDpT10_ENKUlT_T0_E_clISt17integral_constantIbLb1EES1U_EEDaS1P_S1Q_EUlS1P_E_NS1_11comp_targetILNS1_3genE0ELNS1_11target_archE4294967295ELNS1_3gpuE0ELNS1_3repE0EEENS1_30default_config_static_selectorELNS0_4arch9wavefront6targetE1EEEvS12_.num_agpr, 0
	.set _ZN7rocprim17ROCPRIM_400000_NS6detail17trampoline_kernelINS0_13select_configILj256ELj13ELNS0_17block_load_methodE3ELS4_3ELS4_3ELNS0_20block_scan_algorithmE0ELj4294967295EEENS1_25partition_config_selectorILNS1_17partition_subalgoE4EjNS0_10empty_typeEbEEZZNS1_14partition_implILS8_4ELb0ES6_15HIP_vector_typeIjLj2EENS0_17counting_iteratorIjlEEPS9_SG_NS0_5tupleIJPjSI_NS0_16reverse_iteratorISI_EEEEENSH_IJSG_SG_SG_EEES9_SI_JZNS1_25segmented_radix_sort_implINS0_14default_configELb1EPKfPfPKlPlN2at6native12_GLOBAL__N_18offset_tEEE10hipError_tPvRmT1_PNSt15iterator_traitsIS12_E10value_typeET2_T3_PNS13_IS18_E10value_typeET4_jRbjT5_S1E_jjP12ihipStream_tbEUljE_ZNSN_ISO_Lb1ESQ_SR_ST_SU_SY_EESZ_S10_S11_S12_S16_S17_S18_S1B_S1C_jS1D_jS1E_S1E_jjS1G_bEUljE0_EEESZ_S10_S11_S18_S1C_S1E_T6_T7_T9_mT8_S1G_bDpT10_ENKUlT_T0_E_clISt17integral_constantIbLb1EES1U_EEDaS1P_S1Q_EUlS1P_E_NS1_11comp_targetILNS1_3genE0ELNS1_11target_archE4294967295ELNS1_3gpuE0ELNS1_3repE0EEENS1_30default_config_static_selectorELNS0_4arch9wavefront6targetE1EEEvS12_.numbered_sgpr, 0
	.set _ZN7rocprim17ROCPRIM_400000_NS6detail17trampoline_kernelINS0_13select_configILj256ELj13ELNS0_17block_load_methodE3ELS4_3ELS4_3ELNS0_20block_scan_algorithmE0ELj4294967295EEENS1_25partition_config_selectorILNS1_17partition_subalgoE4EjNS0_10empty_typeEbEEZZNS1_14partition_implILS8_4ELb0ES6_15HIP_vector_typeIjLj2EENS0_17counting_iteratorIjlEEPS9_SG_NS0_5tupleIJPjSI_NS0_16reverse_iteratorISI_EEEEENSH_IJSG_SG_SG_EEES9_SI_JZNS1_25segmented_radix_sort_implINS0_14default_configELb1EPKfPfPKlPlN2at6native12_GLOBAL__N_18offset_tEEE10hipError_tPvRmT1_PNSt15iterator_traitsIS12_E10value_typeET2_T3_PNS13_IS18_E10value_typeET4_jRbjT5_S1E_jjP12ihipStream_tbEUljE_ZNSN_ISO_Lb1ESQ_SR_ST_SU_SY_EESZ_S10_S11_S12_S16_S17_S18_S1B_S1C_jS1D_jS1E_S1E_jjS1G_bEUljE0_EEESZ_S10_S11_S18_S1C_S1E_T6_T7_T9_mT8_S1G_bDpT10_ENKUlT_T0_E_clISt17integral_constantIbLb1EES1U_EEDaS1P_S1Q_EUlS1P_E_NS1_11comp_targetILNS1_3genE0ELNS1_11target_archE4294967295ELNS1_3gpuE0ELNS1_3repE0EEENS1_30default_config_static_selectorELNS0_4arch9wavefront6targetE1EEEvS12_.num_named_barrier, 0
	.set _ZN7rocprim17ROCPRIM_400000_NS6detail17trampoline_kernelINS0_13select_configILj256ELj13ELNS0_17block_load_methodE3ELS4_3ELS4_3ELNS0_20block_scan_algorithmE0ELj4294967295EEENS1_25partition_config_selectorILNS1_17partition_subalgoE4EjNS0_10empty_typeEbEEZZNS1_14partition_implILS8_4ELb0ES6_15HIP_vector_typeIjLj2EENS0_17counting_iteratorIjlEEPS9_SG_NS0_5tupleIJPjSI_NS0_16reverse_iteratorISI_EEEEENSH_IJSG_SG_SG_EEES9_SI_JZNS1_25segmented_radix_sort_implINS0_14default_configELb1EPKfPfPKlPlN2at6native12_GLOBAL__N_18offset_tEEE10hipError_tPvRmT1_PNSt15iterator_traitsIS12_E10value_typeET2_T3_PNS13_IS18_E10value_typeET4_jRbjT5_S1E_jjP12ihipStream_tbEUljE_ZNSN_ISO_Lb1ESQ_SR_ST_SU_SY_EESZ_S10_S11_S12_S16_S17_S18_S1B_S1C_jS1D_jS1E_S1E_jjS1G_bEUljE0_EEESZ_S10_S11_S18_S1C_S1E_T6_T7_T9_mT8_S1G_bDpT10_ENKUlT_T0_E_clISt17integral_constantIbLb1EES1U_EEDaS1P_S1Q_EUlS1P_E_NS1_11comp_targetILNS1_3genE0ELNS1_11target_archE4294967295ELNS1_3gpuE0ELNS1_3repE0EEENS1_30default_config_static_selectorELNS0_4arch9wavefront6targetE1EEEvS12_.private_seg_size, 0
	.set _ZN7rocprim17ROCPRIM_400000_NS6detail17trampoline_kernelINS0_13select_configILj256ELj13ELNS0_17block_load_methodE3ELS4_3ELS4_3ELNS0_20block_scan_algorithmE0ELj4294967295EEENS1_25partition_config_selectorILNS1_17partition_subalgoE4EjNS0_10empty_typeEbEEZZNS1_14partition_implILS8_4ELb0ES6_15HIP_vector_typeIjLj2EENS0_17counting_iteratorIjlEEPS9_SG_NS0_5tupleIJPjSI_NS0_16reverse_iteratorISI_EEEEENSH_IJSG_SG_SG_EEES9_SI_JZNS1_25segmented_radix_sort_implINS0_14default_configELb1EPKfPfPKlPlN2at6native12_GLOBAL__N_18offset_tEEE10hipError_tPvRmT1_PNSt15iterator_traitsIS12_E10value_typeET2_T3_PNS13_IS18_E10value_typeET4_jRbjT5_S1E_jjP12ihipStream_tbEUljE_ZNSN_ISO_Lb1ESQ_SR_ST_SU_SY_EESZ_S10_S11_S12_S16_S17_S18_S1B_S1C_jS1D_jS1E_S1E_jjS1G_bEUljE0_EEESZ_S10_S11_S18_S1C_S1E_T6_T7_T9_mT8_S1G_bDpT10_ENKUlT_T0_E_clISt17integral_constantIbLb1EES1U_EEDaS1P_S1Q_EUlS1P_E_NS1_11comp_targetILNS1_3genE0ELNS1_11target_archE4294967295ELNS1_3gpuE0ELNS1_3repE0EEENS1_30default_config_static_selectorELNS0_4arch9wavefront6targetE1EEEvS12_.uses_vcc, 0
	.set _ZN7rocprim17ROCPRIM_400000_NS6detail17trampoline_kernelINS0_13select_configILj256ELj13ELNS0_17block_load_methodE3ELS4_3ELS4_3ELNS0_20block_scan_algorithmE0ELj4294967295EEENS1_25partition_config_selectorILNS1_17partition_subalgoE4EjNS0_10empty_typeEbEEZZNS1_14partition_implILS8_4ELb0ES6_15HIP_vector_typeIjLj2EENS0_17counting_iteratorIjlEEPS9_SG_NS0_5tupleIJPjSI_NS0_16reverse_iteratorISI_EEEEENSH_IJSG_SG_SG_EEES9_SI_JZNS1_25segmented_radix_sort_implINS0_14default_configELb1EPKfPfPKlPlN2at6native12_GLOBAL__N_18offset_tEEE10hipError_tPvRmT1_PNSt15iterator_traitsIS12_E10value_typeET2_T3_PNS13_IS18_E10value_typeET4_jRbjT5_S1E_jjP12ihipStream_tbEUljE_ZNSN_ISO_Lb1ESQ_SR_ST_SU_SY_EESZ_S10_S11_S12_S16_S17_S18_S1B_S1C_jS1D_jS1E_S1E_jjS1G_bEUljE0_EEESZ_S10_S11_S18_S1C_S1E_T6_T7_T9_mT8_S1G_bDpT10_ENKUlT_T0_E_clISt17integral_constantIbLb1EES1U_EEDaS1P_S1Q_EUlS1P_E_NS1_11comp_targetILNS1_3genE0ELNS1_11target_archE4294967295ELNS1_3gpuE0ELNS1_3repE0EEENS1_30default_config_static_selectorELNS0_4arch9wavefront6targetE1EEEvS12_.uses_flat_scratch, 0
	.set _ZN7rocprim17ROCPRIM_400000_NS6detail17trampoline_kernelINS0_13select_configILj256ELj13ELNS0_17block_load_methodE3ELS4_3ELS4_3ELNS0_20block_scan_algorithmE0ELj4294967295EEENS1_25partition_config_selectorILNS1_17partition_subalgoE4EjNS0_10empty_typeEbEEZZNS1_14partition_implILS8_4ELb0ES6_15HIP_vector_typeIjLj2EENS0_17counting_iteratorIjlEEPS9_SG_NS0_5tupleIJPjSI_NS0_16reverse_iteratorISI_EEEEENSH_IJSG_SG_SG_EEES9_SI_JZNS1_25segmented_radix_sort_implINS0_14default_configELb1EPKfPfPKlPlN2at6native12_GLOBAL__N_18offset_tEEE10hipError_tPvRmT1_PNSt15iterator_traitsIS12_E10value_typeET2_T3_PNS13_IS18_E10value_typeET4_jRbjT5_S1E_jjP12ihipStream_tbEUljE_ZNSN_ISO_Lb1ESQ_SR_ST_SU_SY_EESZ_S10_S11_S12_S16_S17_S18_S1B_S1C_jS1D_jS1E_S1E_jjS1G_bEUljE0_EEESZ_S10_S11_S18_S1C_S1E_T6_T7_T9_mT8_S1G_bDpT10_ENKUlT_T0_E_clISt17integral_constantIbLb1EES1U_EEDaS1P_S1Q_EUlS1P_E_NS1_11comp_targetILNS1_3genE0ELNS1_11target_archE4294967295ELNS1_3gpuE0ELNS1_3repE0EEENS1_30default_config_static_selectorELNS0_4arch9wavefront6targetE1EEEvS12_.has_dyn_sized_stack, 0
	.set _ZN7rocprim17ROCPRIM_400000_NS6detail17trampoline_kernelINS0_13select_configILj256ELj13ELNS0_17block_load_methodE3ELS4_3ELS4_3ELNS0_20block_scan_algorithmE0ELj4294967295EEENS1_25partition_config_selectorILNS1_17partition_subalgoE4EjNS0_10empty_typeEbEEZZNS1_14partition_implILS8_4ELb0ES6_15HIP_vector_typeIjLj2EENS0_17counting_iteratorIjlEEPS9_SG_NS0_5tupleIJPjSI_NS0_16reverse_iteratorISI_EEEEENSH_IJSG_SG_SG_EEES9_SI_JZNS1_25segmented_radix_sort_implINS0_14default_configELb1EPKfPfPKlPlN2at6native12_GLOBAL__N_18offset_tEEE10hipError_tPvRmT1_PNSt15iterator_traitsIS12_E10value_typeET2_T3_PNS13_IS18_E10value_typeET4_jRbjT5_S1E_jjP12ihipStream_tbEUljE_ZNSN_ISO_Lb1ESQ_SR_ST_SU_SY_EESZ_S10_S11_S12_S16_S17_S18_S1B_S1C_jS1D_jS1E_S1E_jjS1G_bEUljE0_EEESZ_S10_S11_S18_S1C_S1E_T6_T7_T9_mT8_S1G_bDpT10_ENKUlT_T0_E_clISt17integral_constantIbLb1EES1U_EEDaS1P_S1Q_EUlS1P_E_NS1_11comp_targetILNS1_3genE0ELNS1_11target_archE4294967295ELNS1_3gpuE0ELNS1_3repE0EEENS1_30default_config_static_selectorELNS0_4arch9wavefront6targetE1EEEvS12_.has_recursion, 0
	.set _ZN7rocprim17ROCPRIM_400000_NS6detail17trampoline_kernelINS0_13select_configILj256ELj13ELNS0_17block_load_methodE3ELS4_3ELS4_3ELNS0_20block_scan_algorithmE0ELj4294967295EEENS1_25partition_config_selectorILNS1_17partition_subalgoE4EjNS0_10empty_typeEbEEZZNS1_14partition_implILS8_4ELb0ES6_15HIP_vector_typeIjLj2EENS0_17counting_iteratorIjlEEPS9_SG_NS0_5tupleIJPjSI_NS0_16reverse_iteratorISI_EEEEENSH_IJSG_SG_SG_EEES9_SI_JZNS1_25segmented_radix_sort_implINS0_14default_configELb1EPKfPfPKlPlN2at6native12_GLOBAL__N_18offset_tEEE10hipError_tPvRmT1_PNSt15iterator_traitsIS12_E10value_typeET2_T3_PNS13_IS18_E10value_typeET4_jRbjT5_S1E_jjP12ihipStream_tbEUljE_ZNSN_ISO_Lb1ESQ_SR_ST_SU_SY_EESZ_S10_S11_S12_S16_S17_S18_S1B_S1C_jS1D_jS1E_S1E_jjS1G_bEUljE0_EEESZ_S10_S11_S18_S1C_S1E_T6_T7_T9_mT8_S1G_bDpT10_ENKUlT_T0_E_clISt17integral_constantIbLb1EES1U_EEDaS1P_S1Q_EUlS1P_E_NS1_11comp_targetILNS1_3genE0ELNS1_11target_archE4294967295ELNS1_3gpuE0ELNS1_3repE0EEENS1_30default_config_static_selectorELNS0_4arch9wavefront6targetE1EEEvS12_.has_indirect_call, 0
	.section	.AMDGPU.csdata,"",@progbits
; Kernel info:
; codeLenInByte = 0
; TotalNumSgprs: 4
; NumVgprs: 0
; ScratchSize: 0
; MemoryBound: 0
; FloatMode: 240
; IeeeMode: 1
; LDSByteSize: 0 bytes/workgroup (compile time only)
; SGPRBlocks: 0
; VGPRBlocks: 0
; NumSGPRsForWavesPerEU: 4
; NumVGPRsForWavesPerEU: 1
; Occupancy: 10
; WaveLimiterHint : 0
; COMPUTE_PGM_RSRC2:SCRATCH_EN: 0
; COMPUTE_PGM_RSRC2:USER_SGPR: 6
; COMPUTE_PGM_RSRC2:TRAP_HANDLER: 0
; COMPUTE_PGM_RSRC2:TGID_X_EN: 1
; COMPUTE_PGM_RSRC2:TGID_Y_EN: 0
; COMPUTE_PGM_RSRC2:TGID_Z_EN: 0
; COMPUTE_PGM_RSRC2:TIDIG_COMP_CNT: 0
	.section	.text._ZN7rocprim17ROCPRIM_400000_NS6detail17trampoline_kernelINS0_13select_configILj256ELj13ELNS0_17block_load_methodE3ELS4_3ELS4_3ELNS0_20block_scan_algorithmE0ELj4294967295EEENS1_25partition_config_selectorILNS1_17partition_subalgoE4EjNS0_10empty_typeEbEEZZNS1_14partition_implILS8_4ELb0ES6_15HIP_vector_typeIjLj2EENS0_17counting_iteratorIjlEEPS9_SG_NS0_5tupleIJPjSI_NS0_16reverse_iteratorISI_EEEEENSH_IJSG_SG_SG_EEES9_SI_JZNS1_25segmented_radix_sort_implINS0_14default_configELb1EPKfPfPKlPlN2at6native12_GLOBAL__N_18offset_tEEE10hipError_tPvRmT1_PNSt15iterator_traitsIS12_E10value_typeET2_T3_PNS13_IS18_E10value_typeET4_jRbjT5_S1E_jjP12ihipStream_tbEUljE_ZNSN_ISO_Lb1ESQ_SR_ST_SU_SY_EESZ_S10_S11_S12_S16_S17_S18_S1B_S1C_jS1D_jS1E_S1E_jjS1G_bEUljE0_EEESZ_S10_S11_S18_S1C_S1E_T6_T7_T9_mT8_S1G_bDpT10_ENKUlT_T0_E_clISt17integral_constantIbLb1EES1U_EEDaS1P_S1Q_EUlS1P_E_NS1_11comp_targetILNS1_3genE5ELNS1_11target_archE942ELNS1_3gpuE9ELNS1_3repE0EEENS1_30default_config_static_selectorELNS0_4arch9wavefront6targetE1EEEvS12_,"axG",@progbits,_ZN7rocprim17ROCPRIM_400000_NS6detail17trampoline_kernelINS0_13select_configILj256ELj13ELNS0_17block_load_methodE3ELS4_3ELS4_3ELNS0_20block_scan_algorithmE0ELj4294967295EEENS1_25partition_config_selectorILNS1_17partition_subalgoE4EjNS0_10empty_typeEbEEZZNS1_14partition_implILS8_4ELb0ES6_15HIP_vector_typeIjLj2EENS0_17counting_iteratorIjlEEPS9_SG_NS0_5tupleIJPjSI_NS0_16reverse_iteratorISI_EEEEENSH_IJSG_SG_SG_EEES9_SI_JZNS1_25segmented_radix_sort_implINS0_14default_configELb1EPKfPfPKlPlN2at6native12_GLOBAL__N_18offset_tEEE10hipError_tPvRmT1_PNSt15iterator_traitsIS12_E10value_typeET2_T3_PNS13_IS18_E10value_typeET4_jRbjT5_S1E_jjP12ihipStream_tbEUljE_ZNSN_ISO_Lb1ESQ_SR_ST_SU_SY_EESZ_S10_S11_S12_S16_S17_S18_S1B_S1C_jS1D_jS1E_S1E_jjS1G_bEUljE0_EEESZ_S10_S11_S18_S1C_S1E_T6_T7_T9_mT8_S1G_bDpT10_ENKUlT_T0_E_clISt17integral_constantIbLb1EES1U_EEDaS1P_S1Q_EUlS1P_E_NS1_11comp_targetILNS1_3genE5ELNS1_11target_archE942ELNS1_3gpuE9ELNS1_3repE0EEENS1_30default_config_static_selectorELNS0_4arch9wavefront6targetE1EEEvS12_,comdat
	.globl	_ZN7rocprim17ROCPRIM_400000_NS6detail17trampoline_kernelINS0_13select_configILj256ELj13ELNS0_17block_load_methodE3ELS4_3ELS4_3ELNS0_20block_scan_algorithmE0ELj4294967295EEENS1_25partition_config_selectorILNS1_17partition_subalgoE4EjNS0_10empty_typeEbEEZZNS1_14partition_implILS8_4ELb0ES6_15HIP_vector_typeIjLj2EENS0_17counting_iteratorIjlEEPS9_SG_NS0_5tupleIJPjSI_NS0_16reverse_iteratorISI_EEEEENSH_IJSG_SG_SG_EEES9_SI_JZNS1_25segmented_radix_sort_implINS0_14default_configELb1EPKfPfPKlPlN2at6native12_GLOBAL__N_18offset_tEEE10hipError_tPvRmT1_PNSt15iterator_traitsIS12_E10value_typeET2_T3_PNS13_IS18_E10value_typeET4_jRbjT5_S1E_jjP12ihipStream_tbEUljE_ZNSN_ISO_Lb1ESQ_SR_ST_SU_SY_EESZ_S10_S11_S12_S16_S17_S18_S1B_S1C_jS1D_jS1E_S1E_jjS1G_bEUljE0_EEESZ_S10_S11_S18_S1C_S1E_T6_T7_T9_mT8_S1G_bDpT10_ENKUlT_T0_E_clISt17integral_constantIbLb1EES1U_EEDaS1P_S1Q_EUlS1P_E_NS1_11comp_targetILNS1_3genE5ELNS1_11target_archE942ELNS1_3gpuE9ELNS1_3repE0EEENS1_30default_config_static_selectorELNS0_4arch9wavefront6targetE1EEEvS12_ ; -- Begin function _ZN7rocprim17ROCPRIM_400000_NS6detail17trampoline_kernelINS0_13select_configILj256ELj13ELNS0_17block_load_methodE3ELS4_3ELS4_3ELNS0_20block_scan_algorithmE0ELj4294967295EEENS1_25partition_config_selectorILNS1_17partition_subalgoE4EjNS0_10empty_typeEbEEZZNS1_14partition_implILS8_4ELb0ES6_15HIP_vector_typeIjLj2EENS0_17counting_iteratorIjlEEPS9_SG_NS0_5tupleIJPjSI_NS0_16reverse_iteratorISI_EEEEENSH_IJSG_SG_SG_EEES9_SI_JZNS1_25segmented_radix_sort_implINS0_14default_configELb1EPKfPfPKlPlN2at6native12_GLOBAL__N_18offset_tEEE10hipError_tPvRmT1_PNSt15iterator_traitsIS12_E10value_typeET2_T3_PNS13_IS18_E10value_typeET4_jRbjT5_S1E_jjP12ihipStream_tbEUljE_ZNSN_ISO_Lb1ESQ_SR_ST_SU_SY_EESZ_S10_S11_S12_S16_S17_S18_S1B_S1C_jS1D_jS1E_S1E_jjS1G_bEUljE0_EEESZ_S10_S11_S18_S1C_S1E_T6_T7_T9_mT8_S1G_bDpT10_ENKUlT_T0_E_clISt17integral_constantIbLb1EES1U_EEDaS1P_S1Q_EUlS1P_E_NS1_11comp_targetILNS1_3genE5ELNS1_11target_archE942ELNS1_3gpuE9ELNS1_3repE0EEENS1_30default_config_static_selectorELNS0_4arch9wavefront6targetE1EEEvS12_
	.p2align	8
	.type	_ZN7rocprim17ROCPRIM_400000_NS6detail17trampoline_kernelINS0_13select_configILj256ELj13ELNS0_17block_load_methodE3ELS4_3ELS4_3ELNS0_20block_scan_algorithmE0ELj4294967295EEENS1_25partition_config_selectorILNS1_17partition_subalgoE4EjNS0_10empty_typeEbEEZZNS1_14partition_implILS8_4ELb0ES6_15HIP_vector_typeIjLj2EENS0_17counting_iteratorIjlEEPS9_SG_NS0_5tupleIJPjSI_NS0_16reverse_iteratorISI_EEEEENSH_IJSG_SG_SG_EEES9_SI_JZNS1_25segmented_radix_sort_implINS0_14default_configELb1EPKfPfPKlPlN2at6native12_GLOBAL__N_18offset_tEEE10hipError_tPvRmT1_PNSt15iterator_traitsIS12_E10value_typeET2_T3_PNS13_IS18_E10value_typeET4_jRbjT5_S1E_jjP12ihipStream_tbEUljE_ZNSN_ISO_Lb1ESQ_SR_ST_SU_SY_EESZ_S10_S11_S12_S16_S17_S18_S1B_S1C_jS1D_jS1E_S1E_jjS1G_bEUljE0_EEESZ_S10_S11_S18_S1C_S1E_T6_T7_T9_mT8_S1G_bDpT10_ENKUlT_T0_E_clISt17integral_constantIbLb1EES1U_EEDaS1P_S1Q_EUlS1P_E_NS1_11comp_targetILNS1_3genE5ELNS1_11target_archE942ELNS1_3gpuE9ELNS1_3repE0EEENS1_30default_config_static_selectorELNS0_4arch9wavefront6targetE1EEEvS12_,@function
_ZN7rocprim17ROCPRIM_400000_NS6detail17trampoline_kernelINS0_13select_configILj256ELj13ELNS0_17block_load_methodE3ELS4_3ELS4_3ELNS0_20block_scan_algorithmE0ELj4294967295EEENS1_25partition_config_selectorILNS1_17partition_subalgoE4EjNS0_10empty_typeEbEEZZNS1_14partition_implILS8_4ELb0ES6_15HIP_vector_typeIjLj2EENS0_17counting_iteratorIjlEEPS9_SG_NS0_5tupleIJPjSI_NS0_16reverse_iteratorISI_EEEEENSH_IJSG_SG_SG_EEES9_SI_JZNS1_25segmented_radix_sort_implINS0_14default_configELb1EPKfPfPKlPlN2at6native12_GLOBAL__N_18offset_tEEE10hipError_tPvRmT1_PNSt15iterator_traitsIS12_E10value_typeET2_T3_PNS13_IS18_E10value_typeET4_jRbjT5_S1E_jjP12ihipStream_tbEUljE_ZNSN_ISO_Lb1ESQ_SR_ST_SU_SY_EESZ_S10_S11_S12_S16_S17_S18_S1B_S1C_jS1D_jS1E_S1E_jjS1G_bEUljE0_EEESZ_S10_S11_S18_S1C_S1E_T6_T7_T9_mT8_S1G_bDpT10_ENKUlT_T0_E_clISt17integral_constantIbLb1EES1U_EEDaS1P_S1Q_EUlS1P_E_NS1_11comp_targetILNS1_3genE5ELNS1_11target_archE942ELNS1_3gpuE9ELNS1_3repE0EEENS1_30default_config_static_selectorELNS0_4arch9wavefront6targetE1EEEvS12_: ; @_ZN7rocprim17ROCPRIM_400000_NS6detail17trampoline_kernelINS0_13select_configILj256ELj13ELNS0_17block_load_methodE3ELS4_3ELS4_3ELNS0_20block_scan_algorithmE0ELj4294967295EEENS1_25partition_config_selectorILNS1_17partition_subalgoE4EjNS0_10empty_typeEbEEZZNS1_14partition_implILS8_4ELb0ES6_15HIP_vector_typeIjLj2EENS0_17counting_iteratorIjlEEPS9_SG_NS0_5tupleIJPjSI_NS0_16reverse_iteratorISI_EEEEENSH_IJSG_SG_SG_EEES9_SI_JZNS1_25segmented_radix_sort_implINS0_14default_configELb1EPKfPfPKlPlN2at6native12_GLOBAL__N_18offset_tEEE10hipError_tPvRmT1_PNSt15iterator_traitsIS12_E10value_typeET2_T3_PNS13_IS18_E10value_typeET4_jRbjT5_S1E_jjP12ihipStream_tbEUljE_ZNSN_ISO_Lb1ESQ_SR_ST_SU_SY_EESZ_S10_S11_S12_S16_S17_S18_S1B_S1C_jS1D_jS1E_S1E_jjS1G_bEUljE0_EEESZ_S10_S11_S18_S1C_S1E_T6_T7_T9_mT8_S1G_bDpT10_ENKUlT_T0_E_clISt17integral_constantIbLb1EES1U_EEDaS1P_S1Q_EUlS1P_E_NS1_11comp_targetILNS1_3genE5ELNS1_11target_archE942ELNS1_3gpuE9ELNS1_3repE0EEENS1_30default_config_static_selectorELNS0_4arch9wavefront6targetE1EEEvS12_
; %bb.0:
	.section	.rodata,"a",@progbits
	.p2align	6, 0x0
	.amdhsa_kernel _ZN7rocprim17ROCPRIM_400000_NS6detail17trampoline_kernelINS0_13select_configILj256ELj13ELNS0_17block_load_methodE3ELS4_3ELS4_3ELNS0_20block_scan_algorithmE0ELj4294967295EEENS1_25partition_config_selectorILNS1_17partition_subalgoE4EjNS0_10empty_typeEbEEZZNS1_14partition_implILS8_4ELb0ES6_15HIP_vector_typeIjLj2EENS0_17counting_iteratorIjlEEPS9_SG_NS0_5tupleIJPjSI_NS0_16reverse_iteratorISI_EEEEENSH_IJSG_SG_SG_EEES9_SI_JZNS1_25segmented_radix_sort_implINS0_14default_configELb1EPKfPfPKlPlN2at6native12_GLOBAL__N_18offset_tEEE10hipError_tPvRmT1_PNSt15iterator_traitsIS12_E10value_typeET2_T3_PNS13_IS18_E10value_typeET4_jRbjT5_S1E_jjP12ihipStream_tbEUljE_ZNSN_ISO_Lb1ESQ_SR_ST_SU_SY_EESZ_S10_S11_S12_S16_S17_S18_S1B_S1C_jS1D_jS1E_S1E_jjS1G_bEUljE0_EEESZ_S10_S11_S18_S1C_S1E_T6_T7_T9_mT8_S1G_bDpT10_ENKUlT_T0_E_clISt17integral_constantIbLb1EES1U_EEDaS1P_S1Q_EUlS1P_E_NS1_11comp_targetILNS1_3genE5ELNS1_11target_archE942ELNS1_3gpuE9ELNS1_3repE0EEENS1_30default_config_static_selectorELNS0_4arch9wavefront6targetE1EEEvS12_
		.amdhsa_group_segment_fixed_size 0
		.amdhsa_private_segment_fixed_size 0
		.amdhsa_kernarg_size 184
		.amdhsa_user_sgpr_count 6
		.amdhsa_user_sgpr_private_segment_buffer 1
		.amdhsa_user_sgpr_dispatch_ptr 0
		.amdhsa_user_sgpr_queue_ptr 0
		.amdhsa_user_sgpr_kernarg_segment_ptr 1
		.amdhsa_user_sgpr_dispatch_id 0
		.amdhsa_user_sgpr_flat_scratch_init 0
		.amdhsa_user_sgpr_private_segment_size 0
		.amdhsa_uses_dynamic_stack 0
		.amdhsa_system_sgpr_private_segment_wavefront_offset 0
		.amdhsa_system_sgpr_workgroup_id_x 1
		.amdhsa_system_sgpr_workgroup_id_y 0
		.amdhsa_system_sgpr_workgroup_id_z 0
		.amdhsa_system_sgpr_workgroup_info 0
		.amdhsa_system_vgpr_workitem_id 0
		.amdhsa_next_free_vgpr 1
		.amdhsa_next_free_sgpr 0
		.amdhsa_reserve_vcc 0
		.amdhsa_reserve_flat_scratch 0
		.amdhsa_float_round_mode_32 0
		.amdhsa_float_round_mode_16_64 0
		.amdhsa_float_denorm_mode_32 3
		.amdhsa_float_denorm_mode_16_64 3
		.amdhsa_dx10_clamp 1
		.amdhsa_ieee_mode 1
		.amdhsa_fp16_overflow 0
		.amdhsa_exception_fp_ieee_invalid_op 0
		.amdhsa_exception_fp_denorm_src 0
		.amdhsa_exception_fp_ieee_div_zero 0
		.amdhsa_exception_fp_ieee_overflow 0
		.amdhsa_exception_fp_ieee_underflow 0
		.amdhsa_exception_fp_ieee_inexact 0
		.amdhsa_exception_int_div_zero 0
	.end_amdhsa_kernel
	.section	.text._ZN7rocprim17ROCPRIM_400000_NS6detail17trampoline_kernelINS0_13select_configILj256ELj13ELNS0_17block_load_methodE3ELS4_3ELS4_3ELNS0_20block_scan_algorithmE0ELj4294967295EEENS1_25partition_config_selectorILNS1_17partition_subalgoE4EjNS0_10empty_typeEbEEZZNS1_14partition_implILS8_4ELb0ES6_15HIP_vector_typeIjLj2EENS0_17counting_iteratorIjlEEPS9_SG_NS0_5tupleIJPjSI_NS0_16reverse_iteratorISI_EEEEENSH_IJSG_SG_SG_EEES9_SI_JZNS1_25segmented_radix_sort_implINS0_14default_configELb1EPKfPfPKlPlN2at6native12_GLOBAL__N_18offset_tEEE10hipError_tPvRmT1_PNSt15iterator_traitsIS12_E10value_typeET2_T3_PNS13_IS18_E10value_typeET4_jRbjT5_S1E_jjP12ihipStream_tbEUljE_ZNSN_ISO_Lb1ESQ_SR_ST_SU_SY_EESZ_S10_S11_S12_S16_S17_S18_S1B_S1C_jS1D_jS1E_S1E_jjS1G_bEUljE0_EEESZ_S10_S11_S18_S1C_S1E_T6_T7_T9_mT8_S1G_bDpT10_ENKUlT_T0_E_clISt17integral_constantIbLb1EES1U_EEDaS1P_S1Q_EUlS1P_E_NS1_11comp_targetILNS1_3genE5ELNS1_11target_archE942ELNS1_3gpuE9ELNS1_3repE0EEENS1_30default_config_static_selectorELNS0_4arch9wavefront6targetE1EEEvS12_,"axG",@progbits,_ZN7rocprim17ROCPRIM_400000_NS6detail17trampoline_kernelINS0_13select_configILj256ELj13ELNS0_17block_load_methodE3ELS4_3ELS4_3ELNS0_20block_scan_algorithmE0ELj4294967295EEENS1_25partition_config_selectorILNS1_17partition_subalgoE4EjNS0_10empty_typeEbEEZZNS1_14partition_implILS8_4ELb0ES6_15HIP_vector_typeIjLj2EENS0_17counting_iteratorIjlEEPS9_SG_NS0_5tupleIJPjSI_NS0_16reverse_iteratorISI_EEEEENSH_IJSG_SG_SG_EEES9_SI_JZNS1_25segmented_radix_sort_implINS0_14default_configELb1EPKfPfPKlPlN2at6native12_GLOBAL__N_18offset_tEEE10hipError_tPvRmT1_PNSt15iterator_traitsIS12_E10value_typeET2_T3_PNS13_IS18_E10value_typeET4_jRbjT5_S1E_jjP12ihipStream_tbEUljE_ZNSN_ISO_Lb1ESQ_SR_ST_SU_SY_EESZ_S10_S11_S12_S16_S17_S18_S1B_S1C_jS1D_jS1E_S1E_jjS1G_bEUljE0_EEESZ_S10_S11_S18_S1C_S1E_T6_T7_T9_mT8_S1G_bDpT10_ENKUlT_T0_E_clISt17integral_constantIbLb1EES1U_EEDaS1P_S1Q_EUlS1P_E_NS1_11comp_targetILNS1_3genE5ELNS1_11target_archE942ELNS1_3gpuE9ELNS1_3repE0EEENS1_30default_config_static_selectorELNS0_4arch9wavefront6targetE1EEEvS12_,comdat
.Lfunc_end1270:
	.size	_ZN7rocprim17ROCPRIM_400000_NS6detail17trampoline_kernelINS0_13select_configILj256ELj13ELNS0_17block_load_methodE3ELS4_3ELS4_3ELNS0_20block_scan_algorithmE0ELj4294967295EEENS1_25partition_config_selectorILNS1_17partition_subalgoE4EjNS0_10empty_typeEbEEZZNS1_14partition_implILS8_4ELb0ES6_15HIP_vector_typeIjLj2EENS0_17counting_iteratorIjlEEPS9_SG_NS0_5tupleIJPjSI_NS0_16reverse_iteratorISI_EEEEENSH_IJSG_SG_SG_EEES9_SI_JZNS1_25segmented_radix_sort_implINS0_14default_configELb1EPKfPfPKlPlN2at6native12_GLOBAL__N_18offset_tEEE10hipError_tPvRmT1_PNSt15iterator_traitsIS12_E10value_typeET2_T3_PNS13_IS18_E10value_typeET4_jRbjT5_S1E_jjP12ihipStream_tbEUljE_ZNSN_ISO_Lb1ESQ_SR_ST_SU_SY_EESZ_S10_S11_S12_S16_S17_S18_S1B_S1C_jS1D_jS1E_S1E_jjS1G_bEUljE0_EEESZ_S10_S11_S18_S1C_S1E_T6_T7_T9_mT8_S1G_bDpT10_ENKUlT_T0_E_clISt17integral_constantIbLb1EES1U_EEDaS1P_S1Q_EUlS1P_E_NS1_11comp_targetILNS1_3genE5ELNS1_11target_archE942ELNS1_3gpuE9ELNS1_3repE0EEENS1_30default_config_static_selectorELNS0_4arch9wavefront6targetE1EEEvS12_, .Lfunc_end1270-_ZN7rocprim17ROCPRIM_400000_NS6detail17trampoline_kernelINS0_13select_configILj256ELj13ELNS0_17block_load_methodE3ELS4_3ELS4_3ELNS0_20block_scan_algorithmE0ELj4294967295EEENS1_25partition_config_selectorILNS1_17partition_subalgoE4EjNS0_10empty_typeEbEEZZNS1_14partition_implILS8_4ELb0ES6_15HIP_vector_typeIjLj2EENS0_17counting_iteratorIjlEEPS9_SG_NS0_5tupleIJPjSI_NS0_16reverse_iteratorISI_EEEEENSH_IJSG_SG_SG_EEES9_SI_JZNS1_25segmented_radix_sort_implINS0_14default_configELb1EPKfPfPKlPlN2at6native12_GLOBAL__N_18offset_tEEE10hipError_tPvRmT1_PNSt15iterator_traitsIS12_E10value_typeET2_T3_PNS13_IS18_E10value_typeET4_jRbjT5_S1E_jjP12ihipStream_tbEUljE_ZNSN_ISO_Lb1ESQ_SR_ST_SU_SY_EESZ_S10_S11_S12_S16_S17_S18_S1B_S1C_jS1D_jS1E_S1E_jjS1G_bEUljE0_EEESZ_S10_S11_S18_S1C_S1E_T6_T7_T9_mT8_S1G_bDpT10_ENKUlT_T0_E_clISt17integral_constantIbLb1EES1U_EEDaS1P_S1Q_EUlS1P_E_NS1_11comp_targetILNS1_3genE5ELNS1_11target_archE942ELNS1_3gpuE9ELNS1_3repE0EEENS1_30default_config_static_selectorELNS0_4arch9wavefront6targetE1EEEvS12_
                                        ; -- End function
	.set _ZN7rocprim17ROCPRIM_400000_NS6detail17trampoline_kernelINS0_13select_configILj256ELj13ELNS0_17block_load_methodE3ELS4_3ELS4_3ELNS0_20block_scan_algorithmE0ELj4294967295EEENS1_25partition_config_selectorILNS1_17partition_subalgoE4EjNS0_10empty_typeEbEEZZNS1_14partition_implILS8_4ELb0ES6_15HIP_vector_typeIjLj2EENS0_17counting_iteratorIjlEEPS9_SG_NS0_5tupleIJPjSI_NS0_16reverse_iteratorISI_EEEEENSH_IJSG_SG_SG_EEES9_SI_JZNS1_25segmented_radix_sort_implINS0_14default_configELb1EPKfPfPKlPlN2at6native12_GLOBAL__N_18offset_tEEE10hipError_tPvRmT1_PNSt15iterator_traitsIS12_E10value_typeET2_T3_PNS13_IS18_E10value_typeET4_jRbjT5_S1E_jjP12ihipStream_tbEUljE_ZNSN_ISO_Lb1ESQ_SR_ST_SU_SY_EESZ_S10_S11_S12_S16_S17_S18_S1B_S1C_jS1D_jS1E_S1E_jjS1G_bEUljE0_EEESZ_S10_S11_S18_S1C_S1E_T6_T7_T9_mT8_S1G_bDpT10_ENKUlT_T0_E_clISt17integral_constantIbLb1EES1U_EEDaS1P_S1Q_EUlS1P_E_NS1_11comp_targetILNS1_3genE5ELNS1_11target_archE942ELNS1_3gpuE9ELNS1_3repE0EEENS1_30default_config_static_selectorELNS0_4arch9wavefront6targetE1EEEvS12_.num_vgpr, 0
	.set _ZN7rocprim17ROCPRIM_400000_NS6detail17trampoline_kernelINS0_13select_configILj256ELj13ELNS0_17block_load_methodE3ELS4_3ELS4_3ELNS0_20block_scan_algorithmE0ELj4294967295EEENS1_25partition_config_selectorILNS1_17partition_subalgoE4EjNS0_10empty_typeEbEEZZNS1_14partition_implILS8_4ELb0ES6_15HIP_vector_typeIjLj2EENS0_17counting_iteratorIjlEEPS9_SG_NS0_5tupleIJPjSI_NS0_16reverse_iteratorISI_EEEEENSH_IJSG_SG_SG_EEES9_SI_JZNS1_25segmented_radix_sort_implINS0_14default_configELb1EPKfPfPKlPlN2at6native12_GLOBAL__N_18offset_tEEE10hipError_tPvRmT1_PNSt15iterator_traitsIS12_E10value_typeET2_T3_PNS13_IS18_E10value_typeET4_jRbjT5_S1E_jjP12ihipStream_tbEUljE_ZNSN_ISO_Lb1ESQ_SR_ST_SU_SY_EESZ_S10_S11_S12_S16_S17_S18_S1B_S1C_jS1D_jS1E_S1E_jjS1G_bEUljE0_EEESZ_S10_S11_S18_S1C_S1E_T6_T7_T9_mT8_S1G_bDpT10_ENKUlT_T0_E_clISt17integral_constantIbLb1EES1U_EEDaS1P_S1Q_EUlS1P_E_NS1_11comp_targetILNS1_3genE5ELNS1_11target_archE942ELNS1_3gpuE9ELNS1_3repE0EEENS1_30default_config_static_selectorELNS0_4arch9wavefront6targetE1EEEvS12_.num_agpr, 0
	.set _ZN7rocprim17ROCPRIM_400000_NS6detail17trampoline_kernelINS0_13select_configILj256ELj13ELNS0_17block_load_methodE3ELS4_3ELS4_3ELNS0_20block_scan_algorithmE0ELj4294967295EEENS1_25partition_config_selectorILNS1_17partition_subalgoE4EjNS0_10empty_typeEbEEZZNS1_14partition_implILS8_4ELb0ES6_15HIP_vector_typeIjLj2EENS0_17counting_iteratorIjlEEPS9_SG_NS0_5tupleIJPjSI_NS0_16reverse_iteratorISI_EEEEENSH_IJSG_SG_SG_EEES9_SI_JZNS1_25segmented_radix_sort_implINS0_14default_configELb1EPKfPfPKlPlN2at6native12_GLOBAL__N_18offset_tEEE10hipError_tPvRmT1_PNSt15iterator_traitsIS12_E10value_typeET2_T3_PNS13_IS18_E10value_typeET4_jRbjT5_S1E_jjP12ihipStream_tbEUljE_ZNSN_ISO_Lb1ESQ_SR_ST_SU_SY_EESZ_S10_S11_S12_S16_S17_S18_S1B_S1C_jS1D_jS1E_S1E_jjS1G_bEUljE0_EEESZ_S10_S11_S18_S1C_S1E_T6_T7_T9_mT8_S1G_bDpT10_ENKUlT_T0_E_clISt17integral_constantIbLb1EES1U_EEDaS1P_S1Q_EUlS1P_E_NS1_11comp_targetILNS1_3genE5ELNS1_11target_archE942ELNS1_3gpuE9ELNS1_3repE0EEENS1_30default_config_static_selectorELNS0_4arch9wavefront6targetE1EEEvS12_.numbered_sgpr, 0
	.set _ZN7rocprim17ROCPRIM_400000_NS6detail17trampoline_kernelINS0_13select_configILj256ELj13ELNS0_17block_load_methodE3ELS4_3ELS4_3ELNS0_20block_scan_algorithmE0ELj4294967295EEENS1_25partition_config_selectorILNS1_17partition_subalgoE4EjNS0_10empty_typeEbEEZZNS1_14partition_implILS8_4ELb0ES6_15HIP_vector_typeIjLj2EENS0_17counting_iteratorIjlEEPS9_SG_NS0_5tupleIJPjSI_NS0_16reverse_iteratorISI_EEEEENSH_IJSG_SG_SG_EEES9_SI_JZNS1_25segmented_radix_sort_implINS0_14default_configELb1EPKfPfPKlPlN2at6native12_GLOBAL__N_18offset_tEEE10hipError_tPvRmT1_PNSt15iterator_traitsIS12_E10value_typeET2_T3_PNS13_IS18_E10value_typeET4_jRbjT5_S1E_jjP12ihipStream_tbEUljE_ZNSN_ISO_Lb1ESQ_SR_ST_SU_SY_EESZ_S10_S11_S12_S16_S17_S18_S1B_S1C_jS1D_jS1E_S1E_jjS1G_bEUljE0_EEESZ_S10_S11_S18_S1C_S1E_T6_T7_T9_mT8_S1G_bDpT10_ENKUlT_T0_E_clISt17integral_constantIbLb1EES1U_EEDaS1P_S1Q_EUlS1P_E_NS1_11comp_targetILNS1_3genE5ELNS1_11target_archE942ELNS1_3gpuE9ELNS1_3repE0EEENS1_30default_config_static_selectorELNS0_4arch9wavefront6targetE1EEEvS12_.num_named_barrier, 0
	.set _ZN7rocprim17ROCPRIM_400000_NS6detail17trampoline_kernelINS0_13select_configILj256ELj13ELNS0_17block_load_methodE3ELS4_3ELS4_3ELNS0_20block_scan_algorithmE0ELj4294967295EEENS1_25partition_config_selectorILNS1_17partition_subalgoE4EjNS0_10empty_typeEbEEZZNS1_14partition_implILS8_4ELb0ES6_15HIP_vector_typeIjLj2EENS0_17counting_iteratorIjlEEPS9_SG_NS0_5tupleIJPjSI_NS0_16reverse_iteratorISI_EEEEENSH_IJSG_SG_SG_EEES9_SI_JZNS1_25segmented_radix_sort_implINS0_14default_configELb1EPKfPfPKlPlN2at6native12_GLOBAL__N_18offset_tEEE10hipError_tPvRmT1_PNSt15iterator_traitsIS12_E10value_typeET2_T3_PNS13_IS18_E10value_typeET4_jRbjT5_S1E_jjP12ihipStream_tbEUljE_ZNSN_ISO_Lb1ESQ_SR_ST_SU_SY_EESZ_S10_S11_S12_S16_S17_S18_S1B_S1C_jS1D_jS1E_S1E_jjS1G_bEUljE0_EEESZ_S10_S11_S18_S1C_S1E_T6_T7_T9_mT8_S1G_bDpT10_ENKUlT_T0_E_clISt17integral_constantIbLb1EES1U_EEDaS1P_S1Q_EUlS1P_E_NS1_11comp_targetILNS1_3genE5ELNS1_11target_archE942ELNS1_3gpuE9ELNS1_3repE0EEENS1_30default_config_static_selectorELNS0_4arch9wavefront6targetE1EEEvS12_.private_seg_size, 0
	.set _ZN7rocprim17ROCPRIM_400000_NS6detail17trampoline_kernelINS0_13select_configILj256ELj13ELNS0_17block_load_methodE3ELS4_3ELS4_3ELNS0_20block_scan_algorithmE0ELj4294967295EEENS1_25partition_config_selectorILNS1_17partition_subalgoE4EjNS0_10empty_typeEbEEZZNS1_14partition_implILS8_4ELb0ES6_15HIP_vector_typeIjLj2EENS0_17counting_iteratorIjlEEPS9_SG_NS0_5tupleIJPjSI_NS0_16reverse_iteratorISI_EEEEENSH_IJSG_SG_SG_EEES9_SI_JZNS1_25segmented_radix_sort_implINS0_14default_configELb1EPKfPfPKlPlN2at6native12_GLOBAL__N_18offset_tEEE10hipError_tPvRmT1_PNSt15iterator_traitsIS12_E10value_typeET2_T3_PNS13_IS18_E10value_typeET4_jRbjT5_S1E_jjP12ihipStream_tbEUljE_ZNSN_ISO_Lb1ESQ_SR_ST_SU_SY_EESZ_S10_S11_S12_S16_S17_S18_S1B_S1C_jS1D_jS1E_S1E_jjS1G_bEUljE0_EEESZ_S10_S11_S18_S1C_S1E_T6_T7_T9_mT8_S1G_bDpT10_ENKUlT_T0_E_clISt17integral_constantIbLb1EES1U_EEDaS1P_S1Q_EUlS1P_E_NS1_11comp_targetILNS1_3genE5ELNS1_11target_archE942ELNS1_3gpuE9ELNS1_3repE0EEENS1_30default_config_static_selectorELNS0_4arch9wavefront6targetE1EEEvS12_.uses_vcc, 0
	.set _ZN7rocprim17ROCPRIM_400000_NS6detail17trampoline_kernelINS0_13select_configILj256ELj13ELNS0_17block_load_methodE3ELS4_3ELS4_3ELNS0_20block_scan_algorithmE0ELj4294967295EEENS1_25partition_config_selectorILNS1_17partition_subalgoE4EjNS0_10empty_typeEbEEZZNS1_14partition_implILS8_4ELb0ES6_15HIP_vector_typeIjLj2EENS0_17counting_iteratorIjlEEPS9_SG_NS0_5tupleIJPjSI_NS0_16reverse_iteratorISI_EEEEENSH_IJSG_SG_SG_EEES9_SI_JZNS1_25segmented_radix_sort_implINS0_14default_configELb1EPKfPfPKlPlN2at6native12_GLOBAL__N_18offset_tEEE10hipError_tPvRmT1_PNSt15iterator_traitsIS12_E10value_typeET2_T3_PNS13_IS18_E10value_typeET4_jRbjT5_S1E_jjP12ihipStream_tbEUljE_ZNSN_ISO_Lb1ESQ_SR_ST_SU_SY_EESZ_S10_S11_S12_S16_S17_S18_S1B_S1C_jS1D_jS1E_S1E_jjS1G_bEUljE0_EEESZ_S10_S11_S18_S1C_S1E_T6_T7_T9_mT8_S1G_bDpT10_ENKUlT_T0_E_clISt17integral_constantIbLb1EES1U_EEDaS1P_S1Q_EUlS1P_E_NS1_11comp_targetILNS1_3genE5ELNS1_11target_archE942ELNS1_3gpuE9ELNS1_3repE0EEENS1_30default_config_static_selectorELNS0_4arch9wavefront6targetE1EEEvS12_.uses_flat_scratch, 0
	.set _ZN7rocprim17ROCPRIM_400000_NS6detail17trampoline_kernelINS0_13select_configILj256ELj13ELNS0_17block_load_methodE3ELS4_3ELS4_3ELNS0_20block_scan_algorithmE0ELj4294967295EEENS1_25partition_config_selectorILNS1_17partition_subalgoE4EjNS0_10empty_typeEbEEZZNS1_14partition_implILS8_4ELb0ES6_15HIP_vector_typeIjLj2EENS0_17counting_iteratorIjlEEPS9_SG_NS0_5tupleIJPjSI_NS0_16reverse_iteratorISI_EEEEENSH_IJSG_SG_SG_EEES9_SI_JZNS1_25segmented_radix_sort_implINS0_14default_configELb1EPKfPfPKlPlN2at6native12_GLOBAL__N_18offset_tEEE10hipError_tPvRmT1_PNSt15iterator_traitsIS12_E10value_typeET2_T3_PNS13_IS18_E10value_typeET4_jRbjT5_S1E_jjP12ihipStream_tbEUljE_ZNSN_ISO_Lb1ESQ_SR_ST_SU_SY_EESZ_S10_S11_S12_S16_S17_S18_S1B_S1C_jS1D_jS1E_S1E_jjS1G_bEUljE0_EEESZ_S10_S11_S18_S1C_S1E_T6_T7_T9_mT8_S1G_bDpT10_ENKUlT_T0_E_clISt17integral_constantIbLb1EES1U_EEDaS1P_S1Q_EUlS1P_E_NS1_11comp_targetILNS1_3genE5ELNS1_11target_archE942ELNS1_3gpuE9ELNS1_3repE0EEENS1_30default_config_static_selectorELNS0_4arch9wavefront6targetE1EEEvS12_.has_dyn_sized_stack, 0
	.set _ZN7rocprim17ROCPRIM_400000_NS6detail17trampoline_kernelINS0_13select_configILj256ELj13ELNS0_17block_load_methodE3ELS4_3ELS4_3ELNS0_20block_scan_algorithmE0ELj4294967295EEENS1_25partition_config_selectorILNS1_17partition_subalgoE4EjNS0_10empty_typeEbEEZZNS1_14partition_implILS8_4ELb0ES6_15HIP_vector_typeIjLj2EENS0_17counting_iteratorIjlEEPS9_SG_NS0_5tupleIJPjSI_NS0_16reverse_iteratorISI_EEEEENSH_IJSG_SG_SG_EEES9_SI_JZNS1_25segmented_radix_sort_implINS0_14default_configELb1EPKfPfPKlPlN2at6native12_GLOBAL__N_18offset_tEEE10hipError_tPvRmT1_PNSt15iterator_traitsIS12_E10value_typeET2_T3_PNS13_IS18_E10value_typeET4_jRbjT5_S1E_jjP12ihipStream_tbEUljE_ZNSN_ISO_Lb1ESQ_SR_ST_SU_SY_EESZ_S10_S11_S12_S16_S17_S18_S1B_S1C_jS1D_jS1E_S1E_jjS1G_bEUljE0_EEESZ_S10_S11_S18_S1C_S1E_T6_T7_T9_mT8_S1G_bDpT10_ENKUlT_T0_E_clISt17integral_constantIbLb1EES1U_EEDaS1P_S1Q_EUlS1P_E_NS1_11comp_targetILNS1_3genE5ELNS1_11target_archE942ELNS1_3gpuE9ELNS1_3repE0EEENS1_30default_config_static_selectorELNS0_4arch9wavefront6targetE1EEEvS12_.has_recursion, 0
	.set _ZN7rocprim17ROCPRIM_400000_NS6detail17trampoline_kernelINS0_13select_configILj256ELj13ELNS0_17block_load_methodE3ELS4_3ELS4_3ELNS0_20block_scan_algorithmE0ELj4294967295EEENS1_25partition_config_selectorILNS1_17partition_subalgoE4EjNS0_10empty_typeEbEEZZNS1_14partition_implILS8_4ELb0ES6_15HIP_vector_typeIjLj2EENS0_17counting_iteratorIjlEEPS9_SG_NS0_5tupleIJPjSI_NS0_16reverse_iteratorISI_EEEEENSH_IJSG_SG_SG_EEES9_SI_JZNS1_25segmented_radix_sort_implINS0_14default_configELb1EPKfPfPKlPlN2at6native12_GLOBAL__N_18offset_tEEE10hipError_tPvRmT1_PNSt15iterator_traitsIS12_E10value_typeET2_T3_PNS13_IS18_E10value_typeET4_jRbjT5_S1E_jjP12ihipStream_tbEUljE_ZNSN_ISO_Lb1ESQ_SR_ST_SU_SY_EESZ_S10_S11_S12_S16_S17_S18_S1B_S1C_jS1D_jS1E_S1E_jjS1G_bEUljE0_EEESZ_S10_S11_S18_S1C_S1E_T6_T7_T9_mT8_S1G_bDpT10_ENKUlT_T0_E_clISt17integral_constantIbLb1EES1U_EEDaS1P_S1Q_EUlS1P_E_NS1_11comp_targetILNS1_3genE5ELNS1_11target_archE942ELNS1_3gpuE9ELNS1_3repE0EEENS1_30default_config_static_selectorELNS0_4arch9wavefront6targetE1EEEvS12_.has_indirect_call, 0
	.section	.AMDGPU.csdata,"",@progbits
; Kernel info:
; codeLenInByte = 0
; TotalNumSgprs: 4
; NumVgprs: 0
; ScratchSize: 0
; MemoryBound: 0
; FloatMode: 240
; IeeeMode: 1
; LDSByteSize: 0 bytes/workgroup (compile time only)
; SGPRBlocks: 0
; VGPRBlocks: 0
; NumSGPRsForWavesPerEU: 4
; NumVGPRsForWavesPerEU: 1
; Occupancy: 10
; WaveLimiterHint : 0
; COMPUTE_PGM_RSRC2:SCRATCH_EN: 0
; COMPUTE_PGM_RSRC2:USER_SGPR: 6
; COMPUTE_PGM_RSRC2:TRAP_HANDLER: 0
; COMPUTE_PGM_RSRC2:TGID_X_EN: 1
; COMPUTE_PGM_RSRC2:TGID_Y_EN: 0
; COMPUTE_PGM_RSRC2:TGID_Z_EN: 0
; COMPUTE_PGM_RSRC2:TIDIG_COMP_CNT: 0
	.section	.text._ZN7rocprim17ROCPRIM_400000_NS6detail17trampoline_kernelINS0_13select_configILj256ELj13ELNS0_17block_load_methodE3ELS4_3ELS4_3ELNS0_20block_scan_algorithmE0ELj4294967295EEENS1_25partition_config_selectorILNS1_17partition_subalgoE4EjNS0_10empty_typeEbEEZZNS1_14partition_implILS8_4ELb0ES6_15HIP_vector_typeIjLj2EENS0_17counting_iteratorIjlEEPS9_SG_NS0_5tupleIJPjSI_NS0_16reverse_iteratorISI_EEEEENSH_IJSG_SG_SG_EEES9_SI_JZNS1_25segmented_radix_sort_implINS0_14default_configELb1EPKfPfPKlPlN2at6native12_GLOBAL__N_18offset_tEEE10hipError_tPvRmT1_PNSt15iterator_traitsIS12_E10value_typeET2_T3_PNS13_IS18_E10value_typeET4_jRbjT5_S1E_jjP12ihipStream_tbEUljE_ZNSN_ISO_Lb1ESQ_SR_ST_SU_SY_EESZ_S10_S11_S12_S16_S17_S18_S1B_S1C_jS1D_jS1E_S1E_jjS1G_bEUljE0_EEESZ_S10_S11_S18_S1C_S1E_T6_T7_T9_mT8_S1G_bDpT10_ENKUlT_T0_E_clISt17integral_constantIbLb1EES1U_EEDaS1P_S1Q_EUlS1P_E_NS1_11comp_targetILNS1_3genE4ELNS1_11target_archE910ELNS1_3gpuE8ELNS1_3repE0EEENS1_30default_config_static_selectorELNS0_4arch9wavefront6targetE1EEEvS12_,"axG",@progbits,_ZN7rocprim17ROCPRIM_400000_NS6detail17trampoline_kernelINS0_13select_configILj256ELj13ELNS0_17block_load_methodE3ELS4_3ELS4_3ELNS0_20block_scan_algorithmE0ELj4294967295EEENS1_25partition_config_selectorILNS1_17partition_subalgoE4EjNS0_10empty_typeEbEEZZNS1_14partition_implILS8_4ELb0ES6_15HIP_vector_typeIjLj2EENS0_17counting_iteratorIjlEEPS9_SG_NS0_5tupleIJPjSI_NS0_16reverse_iteratorISI_EEEEENSH_IJSG_SG_SG_EEES9_SI_JZNS1_25segmented_radix_sort_implINS0_14default_configELb1EPKfPfPKlPlN2at6native12_GLOBAL__N_18offset_tEEE10hipError_tPvRmT1_PNSt15iterator_traitsIS12_E10value_typeET2_T3_PNS13_IS18_E10value_typeET4_jRbjT5_S1E_jjP12ihipStream_tbEUljE_ZNSN_ISO_Lb1ESQ_SR_ST_SU_SY_EESZ_S10_S11_S12_S16_S17_S18_S1B_S1C_jS1D_jS1E_S1E_jjS1G_bEUljE0_EEESZ_S10_S11_S18_S1C_S1E_T6_T7_T9_mT8_S1G_bDpT10_ENKUlT_T0_E_clISt17integral_constantIbLb1EES1U_EEDaS1P_S1Q_EUlS1P_E_NS1_11comp_targetILNS1_3genE4ELNS1_11target_archE910ELNS1_3gpuE8ELNS1_3repE0EEENS1_30default_config_static_selectorELNS0_4arch9wavefront6targetE1EEEvS12_,comdat
	.globl	_ZN7rocprim17ROCPRIM_400000_NS6detail17trampoline_kernelINS0_13select_configILj256ELj13ELNS0_17block_load_methodE3ELS4_3ELS4_3ELNS0_20block_scan_algorithmE0ELj4294967295EEENS1_25partition_config_selectorILNS1_17partition_subalgoE4EjNS0_10empty_typeEbEEZZNS1_14partition_implILS8_4ELb0ES6_15HIP_vector_typeIjLj2EENS0_17counting_iteratorIjlEEPS9_SG_NS0_5tupleIJPjSI_NS0_16reverse_iteratorISI_EEEEENSH_IJSG_SG_SG_EEES9_SI_JZNS1_25segmented_radix_sort_implINS0_14default_configELb1EPKfPfPKlPlN2at6native12_GLOBAL__N_18offset_tEEE10hipError_tPvRmT1_PNSt15iterator_traitsIS12_E10value_typeET2_T3_PNS13_IS18_E10value_typeET4_jRbjT5_S1E_jjP12ihipStream_tbEUljE_ZNSN_ISO_Lb1ESQ_SR_ST_SU_SY_EESZ_S10_S11_S12_S16_S17_S18_S1B_S1C_jS1D_jS1E_S1E_jjS1G_bEUljE0_EEESZ_S10_S11_S18_S1C_S1E_T6_T7_T9_mT8_S1G_bDpT10_ENKUlT_T0_E_clISt17integral_constantIbLb1EES1U_EEDaS1P_S1Q_EUlS1P_E_NS1_11comp_targetILNS1_3genE4ELNS1_11target_archE910ELNS1_3gpuE8ELNS1_3repE0EEENS1_30default_config_static_selectorELNS0_4arch9wavefront6targetE1EEEvS12_ ; -- Begin function _ZN7rocprim17ROCPRIM_400000_NS6detail17trampoline_kernelINS0_13select_configILj256ELj13ELNS0_17block_load_methodE3ELS4_3ELS4_3ELNS0_20block_scan_algorithmE0ELj4294967295EEENS1_25partition_config_selectorILNS1_17partition_subalgoE4EjNS0_10empty_typeEbEEZZNS1_14partition_implILS8_4ELb0ES6_15HIP_vector_typeIjLj2EENS0_17counting_iteratorIjlEEPS9_SG_NS0_5tupleIJPjSI_NS0_16reverse_iteratorISI_EEEEENSH_IJSG_SG_SG_EEES9_SI_JZNS1_25segmented_radix_sort_implINS0_14default_configELb1EPKfPfPKlPlN2at6native12_GLOBAL__N_18offset_tEEE10hipError_tPvRmT1_PNSt15iterator_traitsIS12_E10value_typeET2_T3_PNS13_IS18_E10value_typeET4_jRbjT5_S1E_jjP12ihipStream_tbEUljE_ZNSN_ISO_Lb1ESQ_SR_ST_SU_SY_EESZ_S10_S11_S12_S16_S17_S18_S1B_S1C_jS1D_jS1E_S1E_jjS1G_bEUljE0_EEESZ_S10_S11_S18_S1C_S1E_T6_T7_T9_mT8_S1G_bDpT10_ENKUlT_T0_E_clISt17integral_constantIbLb1EES1U_EEDaS1P_S1Q_EUlS1P_E_NS1_11comp_targetILNS1_3genE4ELNS1_11target_archE910ELNS1_3gpuE8ELNS1_3repE0EEENS1_30default_config_static_selectorELNS0_4arch9wavefront6targetE1EEEvS12_
	.p2align	8
	.type	_ZN7rocprim17ROCPRIM_400000_NS6detail17trampoline_kernelINS0_13select_configILj256ELj13ELNS0_17block_load_methodE3ELS4_3ELS4_3ELNS0_20block_scan_algorithmE0ELj4294967295EEENS1_25partition_config_selectorILNS1_17partition_subalgoE4EjNS0_10empty_typeEbEEZZNS1_14partition_implILS8_4ELb0ES6_15HIP_vector_typeIjLj2EENS0_17counting_iteratorIjlEEPS9_SG_NS0_5tupleIJPjSI_NS0_16reverse_iteratorISI_EEEEENSH_IJSG_SG_SG_EEES9_SI_JZNS1_25segmented_radix_sort_implINS0_14default_configELb1EPKfPfPKlPlN2at6native12_GLOBAL__N_18offset_tEEE10hipError_tPvRmT1_PNSt15iterator_traitsIS12_E10value_typeET2_T3_PNS13_IS18_E10value_typeET4_jRbjT5_S1E_jjP12ihipStream_tbEUljE_ZNSN_ISO_Lb1ESQ_SR_ST_SU_SY_EESZ_S10_S11_S12_S16_S17_S18_S1B_S1C_jS1D_jS1E_S1E_jjS1G_bEUljE0_EEESZ_S10_S11_S18_S1C_S1E_T6_T7_T9_mT8_S1G_bDpT10_ENKUlT_T0_E_clISt17integral_constantIbLb1EES1U_EEDaS1P_S1Q_EUlS1P_E_NS1_11comp_targetILNS1_3genE4ELNS1_11target_archE910ELNS1_3gpuE8ELNS1_3repE0EEENS1_30default_config_static_selectorELNS0_4arch9wavefront6targetE1EEEvS12_,@function
_ZN7rocprim17ROCPRIM_400000_NS6detail17trampoline_kernelINS0_13select_configILj256ELj13ELNS0_17block_load_methodE3ELS4_3ELS4_3ELNS0_20block_scan_algorithmE0ELj4294967295EEENS1_25partition_config_selectorILNS1_17partition_subalgoE4EjNS0_10empty_typeEbEEZZNS1_14partition_implILS8_4ELb0ES6_15HIP_vector_typeIjLj2EENS0_17counting_iteratorIjlEEPS9_SG_NS0_5tupleIJPjSI_NS0_16reverse_iteratorISI_EEEEENSH_IJSG_SG_SG_EEES9_SI_JZNS1_25segmented_radix_sort_implINS0_14default_configELb1EPKfPfPKlPlN2at6native12_GLOBAL__N_18offset_tEEE10hipError_tPvRmT1_PNSt15iterator_traitsIS12_E10value_typeET2_T3_PNS13_IS18_E10value_typeET4_jRbjT5_S1E_jjP12ihipStream_tbEUljE_ZNSN_ISO_Lb1ESQ_SR_ST_SU_SY_EESZ_S10_S11_S12_S16_S17_S18_S1B_S1C_jS1D_jS1E_S1E_jjS1G_bEUljE0_EEESZ_S10_S11_S18_S1C_S1E_T6_T7_T9_mT8_S1G_bDpT10_ENKUlT_T0_E_clISt17integral_constantIbLb1EES1U_EEDaS1P_S1Q_EUlS1P_E_NS1_11comp_targetILNS1_3genE4ELNS1_11target_archE910ELNS1_3gpuE8ELNS1_3repE0EEENS1_30default_config_static_selectorELNS0_4arch9wavefront6targetE1EEEvS12_: ; @_ZN7rocprim17ROCPRIM_400000_NS6detail17trampoline_kernelINS0_13select_configILj256ELj13ELNS0_17block_load_methodE3ELS4_3ELS4_3ELNS0_20block_scan_algorithmE0ELj4294967295EEENS1_25partition_config_selectorILNS1_17partition_subalgoE4EjNS0_10empty_typeEbEEZZNS1_14partition_implILS8_4ELb0ES6_15HIP_vector_typeIjLj2EENS0_17counting_iteratorIjlEEPS9_SG_NS0_5tupleIJPjSI_NS0_16reverse_iteratorISI_EEEEENSH_IJSG_SG_SG_EEES9_SI_JZNS1_25segmented_radix_sort_implINS0_14default_configELb1EPKfPfPKlPlN2at6native12_GLOBAL__N_18offset_tEEE10hipError_tPvRmT1_PNSt15iterator_traitsIS12_E10value_typeET2_T3_PNS13_IS18_E10value_typeET4_jRbjT5_S1E_jjP12ihipStream_tbEUljE_ZNSN_ISO_Lb1ESQ_SR_ST_SU_SY_EESZ_S10_S11_S12_S16_S17_S18_S1B_S1C_jS1D_jS1E_S1E_jjS1G_bEUljE0_EEESZ_S10_S11_S18_S1C_S1E_T6_T7_T9_mT8_S1G_bDpT10_ENKUlT_T0_E_clISt17integral_constantIbLb1EES1U_EEDaS1P_S1Q_EUlS1P_E_NS1_11comp_targetILNS1_3genE4ELNS1_11target_archE910ELNS1_3gpuE8ELNS1_3repE0EEENS1_30default_config_static_selectorELNS0_4arch9wavefront6targetE1EEEvS12_
; %bb.0:
	.section	.rodata,"a",@progbits
	.p2align	6, 0x0
	.amdhsa_kernel _ZN7rocprim17ROCPRIM_400000_NS6detail17trampoline_kernelINS0_13select_configILj256ELj13ELNS0_17block_load_methodE3ELS4_3ELS4_3ELNS0_20block_scan_algorithmE0ELj4294967295EEENS1_25partition_config_selectorILNS1_17partition_subalgoE4EjNS0_10empty_typeEbEEZZNS1_14partition_implILS8_4ELb0ES6_15HIP_vector_typeIjLj2EENS0_17counting_iteratorIjlEEPS9_SG_NS0_5tupleIJPjSI_NS0_16reverse_iteratorISI_EEEEENSH_IJSG_SG_SG_EEES9_SI_JZNS1_25segmented_radix_sort_implINS0_14default_configELb1EPKfPfPKlPlN2at6native12_GLOBAL__N_18offset_tEEE10hipError_tPvRmT1_PNSt15iterator_traitsIS12_E10value_typeET2_T3_PNS13_IS18_E10value_typeET4_jRbjT5_S1E_jjP12ihipStream_tbEUljE_ZNSN_ISO_Lb1ESQ_SR_ST_SU_SY_EESZ_S10_S11_S12_S16_S17_S18_S1B_S1C_jS1D_jS1E_S1E_jjS1G_bEUljE0_EEESZ_S10_S11_S18_S1C_S1E_T6_T7_T9_mT8_S1G_bDpT10_ENKUlT_T0_E_clISt17integral_constantIbLb1EES1U_EEDaS1P_S1Q_EUlS1P_E_NS1_11comp_targetILNS1_3genE4ELNS1_11target_archE910ELNS1_3gpuE8ELNS1_3repE0EEENS1_30default_config_static_selectorELNS0_4arch9wavefront6targetE1EEEvS12_
		.amdhsa_group_segment_fixed_size 0
		.amdhsa_private_segment_fixed_size 0
		.amdhsa_kernarg_size 184
		.amdhsa_user_sgpr_count 6
		.amdhsa_user_sgpr_private_segment_buffer 1
		.amdhsa_user_sgpr_dispatch_ptr 0
		.amdhsa_user_sgpr_queue_ptr 0
		.amdhsa_user_sgpr_kernarg_segment_ptr 1
		.amdhsa_user_sgpr_dispatch_id 0
		.amdhsa_user_sgpr_flat_scratch_init 0
		.amdhsa_user_sgpr_private_segment_size 0
		.amdhsa_uses_dynamic_stack 0
		.amdhsa_system_sgpr_private_segment_wavefront_offset 0
		.amdhsa_system_sgpr_workgroup_id_x 1
		.amdhsa_system_sgpr_workgroup_id_y 0
		.amdhsa_system_sgpr_workgroup_id_z 0
		.amdhsa_system_sgpr_workgroup_info 0
		.amdhsa_system_vgpr_workitem_id 0
		.amdhsa_next_free_vgpr 1
		.amdhsa_next_free_sgpr 0
		.amdhsa_reserve_vcc 0
		.amdhsa_reserve_flat_scratch 0
		.amdhsa_float_round_mode_32 0
		.amdhsa_float_round_mode_16_64 0
		.amdhsa_float_denorm_mode_32 3
		.amdhsa_float_denorm_mode_16_64 3
		.amdhsa_dx10_clamp 1
		.amdhsa_ieee_mode 1
		.amdhsa_fp16_overflow 0
		.amdhsa_exception_fp_ieee_invalid_op 0
		.amdhsa_exception_fp_denorm_src 0
		.amdhsa_exception_fp_ieee_div_zero 0
		.amdhsa_exception_fp_ieee_overflow 0
		.amdhsa_exception_fp_ieee_underflow 0
		.amdhsa_exception_fp_ieee_inexact 0
		.amdhsa_exception_int_div_zero 0
	.end_amdhsa_kernel
	.section	.text._ZN7rocprim17ROCPRIM_400000_NS6detail17trampoline_kernelINS0_13select_configILj256ELj13ELNS0_17block_load_methodE3ELS4_3ELS4_3ELNS0_20block_scan_algorithmE0ELj4294967295EEENS1_25partition_config_selectorILNS1_17partition_subalgoE4EjNS0_10empty_typeEbEEZZNS1_14partition_implILS8_4ELb0ES6_15HIP_vector_typeIjLj2EENS0_17counting_iteratorIjlEEPS9_SG_NS0_5tupleIJPjSI_NS0_16reverse_iteratorISI_EEEEENSH_IJSG_SG_SG_EEES9_SI_JZNS1_25segmented_radix_sort_implINS0_14default_configELb1EPKfPfPKlPlN2at6native12_GLOBAL__N_18offset_tEEE10hipError_tPvRmT1_PNSt15iterator_traitsIS12_E10value_typeET2_T3_PNS13_IS18_E10value_typeET4_jRbjT5_S1E_jjP12ihipStream_tbEUljE_ZNSN_ISO_Lb1ESQ_SR_ST_SU_SY_EESZ_S10_S11_S12_S16_S17_S18_S1B_S1C_jS1D_jS1E_S1E_jjS1G_bEUljE0_EEESZ_S10_S11_S18_S1C_S1E_T6_T7_T9_mT8_S1G_bDpT10_ENKUlT_T0_E_clISt17integral_constantIbLb1EES1U_EEDaS1P_S1Q_EUlS1P_E_NS1_11comp_targetILNS1_3genE4ELNS1_11target_archE910ELNS1_3gpuE8ELNS1_3repE0EEENS1_30default_config_static_selectorELNS0_4arch9wavefront6targetE1EEEvS12_,"axG",@progbits,_ZN7rocprim17ROCPRIM_400000_NS6detail17trampoline_kernelINS0_13select_configILj256ELj13ELNS0_17block_load_methodE3ELS4_3ELS4_3ELNS0_20block_scan_algorithmE0ELj4294967295EEENS1_25partition_config_selectorILNS1_17partition_subalgoE4EjNS0_10empty_typeEbEEZZNS1_14partition_implILS8_4ELb0ES6_15HIP_vector_typeIjLj2EENS0_17counting_iteratorIjlEEPS9_SG_NS0_5tupleIJPjSI_NS0_16reverse_iteratorISI_EEEEENSH_IJSG_SG_SG_EEES9_SI_JZNS1_25segmented_radix_sort_implINS0_14default_configELb1EPKfPfPKlPlN2at6native12_GLOBAL__N_18offset_tEEE10hipError_tPvRmT1_PNSt15iterator_traitsIS12_E10value_typeET2_T3_PNS13_IS18_E10value_typeET4_jRbjT5_S1E_jjP12ihipStream_tbEUljE_ZNSN_ISO_Lb1ESQ_SR_ST_SU_SY_EESZ_S10_S11_S12_S16_S17_S18_S1B_S1C_jS1D_jS1E_S1E_jjS1G_bEUljE0_EEESZ_S10_S11_S18_S1C_S1E_T6_T7_T9_mT8_S1G_bDpT10_ENKUlT_T0_E_clISt17integral_constantIbLb1EES1U_EEDaS1P_S1Q_EUlS1P_E_NS1_11comp_targetILNS1_3genE4ELNS1_11target_archE910ELNS1_3gpuE8ELNS1_3repE0EEENS1_30default_config_static_selectorELNS0_4arch9wavefront6targetE1EEEvS12_,comdat
.Lfunc_end1271:
	.size	_ZN7rocprim17ROCPRIM_400000_NS6detail17trampoline_kernelINS0_13select_configILj256ELj13ELNS0_17block_load_methodE3ELS4_3ELS4_3ELNS0_20block_scan_algorithmE0ELj4294967295EEENS1_25partition_config_selectorILNS1_17partition_subalgoE4EjNS0_10empty_typeEbEEZZNS1_14partition_implILS8_4ELb0ES6_15HIP_vector_typeIjLj2EENS0_17counting_iteratorIjlEEPS9_SG_NS0_5tupleIJPjSI_NS0_16reverse_iteratorISI_EEEEENSH_IJSG_SG_SG_EEES9_SI_JZNS1_25segmented_radix_sort_implINS0_14default_configELb1EPKfPfPKlPlN2at6native12_GLOBAL__N_18offset_tEEE10hipError_tPvRmT1_PNSt15iterator_traitsIS12_E10value_typeET2_T3_PNS13_IS18_E10value_typeET4_jRbjT5_S1E_jjP12ihipStream_tbEUljE_ZNSN_ISO_Lb1ESQ_SR_ST_SU_SY_EESZ_S10_S11_S12_S16_S17_S18_S1B_S1C_jS1D_jS1E_S1E_jjS1G_bEUljE0_EEESZ_S10_S11_S18_S1C_S1E_T6_T7_T9_mT8_S1G_bDpT10_ENKUlT_T0_E_clISt17integral_constantIbLb1EES1U_EEDaS1P_S1Q_EUlS1P_E_NS1_11comp_targetILNS1_3genE4ELNS1_11target_archE910ELNS1_3gpuE8ELNS1_3repE0EEENS1_30default_config_static_selectorELNS0_4arch9wavefront6targetE1EEEvS12_, .Lfunc_end1271-_ZN7rocprim17ROCPRIM_400000_NS6detail17trampoline_kernelINS0_13select_configILj256ELj13ELNS0_17block_load_methodE3ELS4_3ELS4_3ELNS0_20block_scan_algorithmE0ELj4294967295EEENS1_25partition_config_selectorILNS1_17partition_subalgoE4EjNS0_10empty_typeEbEEZZNS1_14partition_implILS8_4ELb0ES6_15HIP_vector_typeIjLj2EENS0_17counting_iteratorIjlEEPS9_SG_NS0_5tupleIJPjSI_NS0_16reverse_iteratorISI_EEEEENSH_IJSG_SG_SG_EEES9_SI_JZNS1_25segmented_radix_sort_implINS0_14default_configELb1EPKfPfPKlPlN2at6native12_GLOBAL__N_18offset_tEEE10hipError_tPvRmT1_PNSt15iterator_traitsIS12_E10value_typeET2_T3_PNS13_IS18_E10value_typeET4_jRbjT5_S1E_jjP12ihipStream_tbEUljE_ZNSN_ISO_Lb1ESQ_SR_ST_SU_SY_EESZ_S10_S11_S12_S16_S17_S18_S1B_S1C_jS1D_jS1E_S1E_jjS1G_bEUljE0_EEESZ_S10_S11_S18_S1C_S1E_T6_T7_T9_mT8_S1G_bDpT10_ENKUlT_T0_E_clISt17integral_constantIbLb1EES1U_EEDaS1P_S1Q_EUlS1P_E_NS1_11comp_targetILNS1_3genE4ELNS1_11target_archE910ELNS1_3gpuE8ELNS1_3repE0EEENS1_30default_config_static_selectorELNS0_4arch9wavefront6targetE1EEEvS12_
                                        ; -- End function
	.set _ZN7rocprim17ROCPRIM_400000_NS6detail17trampoline_kernelINS0_13select_configILj256ELj13ELNS0_17block_load_methodE3ELS4_3ELS4_3ELNS0_20block_scan_algorithmE0ELj4294967295EEENS1_25partition_config_selectorILNS1_17partition_subalgoE4EjNS0_10empty_typeEbEEZZNS1_14partition_implILS8_4ELb0ES6_15HIP_vector_typeIjLj2EENS0_17counting_iteratorIjlEEPS9_SG_NS0_5tupleIJPjSI_NS0_16reverse_iteratorISI_EEEEENSH_IJSG_SG_SG_EEES9_SI_JZNS1_25segmented_radix_sort_implINS0_14default_configELb1EPKfPfPKlPlN2at6native12_GLOBAL__N_18offset_tEEE10hipError_tPvRmT1_PNSt15iterator_traitsIS12_E10value_typeET2_T3_PNS13_IS18_E10value_typeET4_jRbjT5_S1E_jjP12ihipStream_tbEUljE_ZNSN_ISO_Lb1ESQ_SR_ST_SU_SY_EESZ_S10_S11_S12_S16_S17_S18_S1B_S1C_jS1D_jS1E_S1E_jjS1G_bEUljE0_EEESZ_S10_S11_S18_S1C_S1E_T6_T7_T9_mT8_S1G_bDpT10_ENKUlT_T0_E_clISt17integral_constantIbLb1EES1U_EEDaS1P_S1Q_EUlS1P_E_NS1_11comp_targetILNS1_3genE4ELNS1_11target_archE910ELNS1_3gpuE8ELNS1_3repE0EEENS1_30default_config_static_selectorELNS0_4arch9wavefront6targetE1EEEvS12_.num_vgpr, 0
	.set _ZN7rocprim17ROCPRIM_400000_NS6detail17trampoline_kernelINS0_13select_configILj256ELj13ELNS0_17block_load_methodE3ELS4_3ELS4_3ELNS0_20block_scan_algorithmE0ELj4294967295EEENS1_25partition_config_selectorILNS1_17partition_subalgoE4EjNS0_10empty_typeEbEEZZNS1_14partition_implILS8_4ELb0ES6_15HIP_vector_typeIjLj2EENS0_17counting_iteratorIjlEEPS9_SG_NS0_5tupleIJPjSI_NS0_16reverse_iteratorISI_EEEEENSH_IJSG_SG_SG_EEES9_SI_JZNS1_25segmented_radix_sort_implINS0_14default_configELb1EPKfPfPKlPlN2at6native12_GLOBAL__N_18offset_tEEE10hipError_tPvRmT1_PNSt15iterator_traitsIS12_E10value_typeET2_T3_PNS13_IS18_E10value_typeET4_jRbjT5_S1E_jjP12ihipStream_tbEUljE_ZNSN_ISO_Lb1ESQ_SR_ST_SU_SY_EESZ_S10_S11_S12_S16_S17_S18_S1B_S1C_jS1D_jS1E_S1E_jjS1G_bEUljE0_EEESZ_S10_S11_S18_S1C_S1E_T6_T7_T9_mT8_S1G_bDpT10_ENKUlT_T0_E_clISt17integral_constantIbLb1EES1U_EEDaS1P_S1Q_EUlS1P_E_NS1_11comp_targetILNS1_3genE4ELNS1_11target_archE910ELNS1_3gpuE8ELNS1_3repE0EEENS1_30default_config_static_selectorELNS0_4arch9wavefront6targetE1EEEvS12_.num_agpr, 0
	.set _ZN7rocprim17ROCPRIM_400000_NS6detail17trampoline_kernelINS0_13select_configILj256ELj13ELNS0_17block_load_methodE3ELS4_3ELS4_3ELNS0_20block_scan_algorithmE0ELj4294967295EEENS1_25partition_config_selectorILNS1_17partition_subalgoE4EjNS0_10empty_typeEbEEZZNS1_14partition_implILS8_4ELb0ES6_15HIP_vector_typeIjLj2EENS0_17counting_iteratorIjlEEPS9_SG_NS0_5tupleIJPjSI_NS0_16reverse_iteratorISI_EEEEENSH_IJSG_SG_SG_EEES9_SI_JZNS1_25segmented_radix_sort_implINS0_14default_configELb1EPKfPfPKlPlN2at6native12_GLOBAL__N_18offset_tEEE10hipError_tPvRmT1_PNSt15iterator_traitsIS12_E10value_typeET2_T3_PNS13_IS18_E10value_typeET4_jRbjT5_S1E_jjP12ihipStream_tbEUljE_ZNSN_ISO_Lb1ESQ_SR_ST_SU_SY_EESZ_S10_S11_S12_S16_S17_S18_S1B_S1C_jS1D_jS1E_S1E_jjS1G_bEUljE0_EEESZ_S10_S11_S18_S1C_S1E_T6_T7_T9_mT8_S1G_bDpT10_ENKUlT_T0_E_clISt17integral_constantIbLb1EES1U_EEDaS1P_S1Q_EUlS1P_E_NS1_11comp_targetILNS1_3genE4ELNS1_11target_archE910ELNS1_3gpuE8ELNS1_3repE0EEENS1_30default_config_static_selectorELNS0_4arch9wavefront6targetE1EEEvS12_.numbered_sgpr, 0
	.set _ZN7rocprim17ROCPRIM_400000_NS6detail17trampoline_kernelINS0_13select_configILj256ELj13ELNS0_17block_load_methodE3ELS4_3ELS4_3ELNS0_20block_scan_algorithmE0ELj4294967295EEENS1_25partition_config_selectorILNS1_17partition_subalgoE4EjNS0_10empty_typeEbEEZZNS1_14partition_implILS8_4ELb0ES6_15HIP_vector_typeIjLj2EENS0_17counting_iteratorIjlEEPS9_SG_NS0_5tupleIJPjSI_NS0_16reverse_iteratorISI_EEEEENSH_IJSG_SG_SG_EEES9_SI_JZNS1_25segmented_radix_sort_implINS0_14default_configELb1EPKfPfPKlPlN2at6native12_GLOBAL__N_18offset_tEEE10hipError_tPvRmT1_PNSt15iterator_traitsIS12_E10value_typeET2_T3_PNS13_IS18_E10value_typeET4_jRbjT5_S1E_jjP12ihipStream_tbEUljE_ZNSN_ISO_Lb1ESQ_SR_ST_SU_SY_EESZ_S10_S11_S12_S16_S17_S18_S1B_S1C_jS1D_jS1E_S1E_jjS1G_bEUljE0_EEESZ_S10_S11_S18_S1C_S1E_T6_T7_T9_mT8_S1G_bDpT10_ENKUlT_T0_E_clISt17integral_constantIbLb1EES1U_EEDaS1P_S1Q_EUlS1P_E_NS1_11comp_targetILNS1_3genE4ELNS1_11target_archE910ELNS1_3gpuE8ELNS1_3repE0EEENS1_30default_config_static_selectorELNS0_4arch9wavefront6targetE1EEEvS12_.num_named_barrier, 0
	.set _ZN7rocprim17ROCPRIM_400000_NS6detail17trampoline_kernelINS0_13select_configILj256ELj13ELNS0_17block_load_methodE3ELS4_3ELS4_3ELNS0_20block_scan_algorithmE0ELj4294967295EEENS1_25partition_config_selectorILNS1_17partition_subalgoE4EjNS0_10empty_typeEbEEZZNS1_14partition_implILS8_4ELb0ES6_15HIP_vector_typeIjLj2EENS0_17counting_iteratorIjlEEPS9_SG_NS0_5tupleIJPjSI_NS0_16reverse_iteratorISI_EEEEENSH_IJSG_SG_SG_EEES9_SI_JZNS1_25segmented_radix_sort_implINS0_14default_configELb1EPKfPfPKlPlN2at6native12_GLOBAL__N_18offset_tEEE10hipError_tPvRmT1_PNSt15iterator_traitsIS12_E10value_typeET2_T3_PNS13_IS18_E10value_typeET4_jRbjT5_S1E_jjP12ihipStream_tbEUljE_ZNSN_ISO_Lb1ESQ_SR_ST_SU_SY_EESZ_S10_S11_S12_S16_S17_S18_S1B_S1C_jS1D_jS1E_S1E_jjS1G_bEUljE0_EEESZ_S10_S11_S18_S1C_S1E_T6_T7_T9_mT8_S1G_bDpT10_ENKUlT_T0_E_clISt17integral_constantIbLb1EES1U_EEDaS1P_S1Q_EUlS1P_E_NS1_11comp_targetILNS1_3genE4ELNS1_11target_archE910ELNS1_3gpuE8ELNS1_3repE0EEENS1_30default_config_static_selectorELNS0_4arch9wavefront6targetE1EEEvS12_.private_seg_size, 0
	.set _ZN7rocprim17ROCPRIM_400000_NS6detail17trampoline_kernelINS0_13select_configILj256ELj13ELNS0_17block_load_methodE3ELS4_3ELS4_3ELNS0_20block_scan_algorithmE0ELj4294967295EEENS1_25partition_config_selectorILNS1_17partition_subalgoE4EjNS0_10empty_typeEbEEZZNS1_14partition_implILS8_4ELb0ES6_15HIP_vector_typeIjLj2EENS0_17counting_iteratorIjlEEPS9_SG_NS0_5tupleIJPjSI_NS0_16reverse_iteratorISI_EEEEENSH_IJSG_SG_SG_EEES9_SI_JZNS1_25segmented_radix_sort_implINS0_14default_configELb1EPKfPfPKlPlN2at6native12_GLOBAL__N_18offset_tEEE10hipError_tPvRmT1_PNSt15iterator_traitsIS12_E10value_typeET2_T3_PNS13_IS18_E10value_typeET4_jRbjT5_S1E_jjP12ihipStream_tbEUljE_ZNSN_ISO_Lb1ESQ_SR_ST_SU_SY_EESZ_S10_S11_S12_S16_S17_S18_S1B_S1C_jS1D_jS1E_S1E_jjS1G_bEUljE0_EEESZ_S10_S11_S18_S1C_S1E_T6_T7_T9_mT8_S1G_bDpT10_ENKUlT_T0_E_clISt17integral_constantIbLb1EES1U_EEDaS1P_S1Q_EUlS1P_E_NS1_11comp_targetILNS1_3genE4ELNS1_11target_archE910ELNS1_3gpuE8ELNS1_3repE0EEENS1_30default_config_static_selectorELNS0_4arch9wavefront6targetE1EEEvS12_.uses_vcc, 0
	.set _ZN7rocprim17ROCPRIM_400000_NS6detail17trampoline_kernelINS0_13select_configILj256ELj13ELNS0_17block_load_methodE3ELS4_3ELS4_3ELNS0_20block_scan_algorithmE0ELj4294967295EEENS1_25partition_config_selectorILNS1_17partition_subalgoE4EjNS0_10empty_typeEbEEZZNS1_14partition_implILS8_4ELb0ES6_15HIP_vector_typeIjLj2EENS0_17counting_iteratorIjlEEPS9_SG_NS0_5tupleIJPjSI_NS0_16reverse_iteratorISI_EEEEENSH_IJSG_SG_SG_EEES9_SI_JZNS1_25segmented_radix_sort_implINS0_14default_configELb1EPKfPfPKlPlN2at6native12_GLOBAL__N_18offset_tEEE10hipError_tPvRmT1_PNSt15iterator_traitsIS12_E10value_typeET2_T3_PNS13_IS18_E10value_typeET4_jRbjT5_S1E_jjP12ihipStream_tbEUljE_ZNSN_ISO_Lb1ESQ_SR_ST_SU_SY_EESZ_S10_S11_S12_S16_S17_S18_S1B_S1C_jS1D_jS1E_S1E_jjS1G_bEUljE0_EEESZ_S10_S11_S18_S1C_S1E_T6_T7_T9_mT8_S1G_bDpT10_ENKUlT_T0_E_clISt17integral_constantIbLb1EES1U_EEDaS1P_S1Q_EUlS1P_E_NS1_11comp_targetILNS1_3genE4ELNS1_11target_archE910ELNS1_3gpuE8ELNS1_3repE0EEENS1_30default_config_static_selectorELNS0_4arch9wavefront6targetE1EEEvS12_.uses_flat_scratch, 0
	.set _ZN7rocprim17ROCPRIM_400000_NS6detail17trampoline_kernelINS0_13select_configILj256ELj13ELNS0_17block_load_methodE3ELS4_3ELS4_3ELNS0_20block_scan_algorithmE0ELj4294967295EEENS1_25partition_config_selectorILNS1_17partition_subalgoE4EjNS0_10empty_typeEbEEZZNS1_14partition_implILS8_4ELb0ES6_15HIP_vector_typeIjLj2EENS0_17counting_iteratorIjlEEPS9_SG_NS0_5tupleIJPjSI_NS0_16reverse_iteratorISI_EEEEENSH_IJSG_SG_SG_EEES9_SI_JZNS1_25segmented_radix_sort_implINS0_14default_configELb1EPKfPfPKlPlN2at6native12_GLOBAL__N_18offset_tEEE10hipError_tPvRmT1_PNSt15iterator_traitsIS12_E10value_typeET2_T3_PNS13_IS18_E10value_typeET4_jRbjT5_S1E_jjP12ihipStream_tbEUljE_ZNSN_ISO_Lb1ESQ_SR_ST_SU_SY_EESZ_S10_S11_S12_S16_S17_S18_S1B_S1C_jS1D_jS1E_S1E_jjS1G_bEUljE0_EEESZ_S10_S11_S18_S1C_S1E_T6_T7_T9_mT8_S1G_bDpT10_ENKUlT_T0_E_clISt17integral_constantIbLb1EES1U_EEDaS1P_S1Q_EUlS1P_E_NS1_11comp_targetILNS1_3genE4ELNS1_11target_archE910ELNS1_3gpuE8ELNS1_3repE0EEENS1_30default_config_static_selectorELNS0_4arch9wavefront6targetE1EEEvS12_.has_dyn_sized_stack, 0
	.set _ZN7rocprim17ROCPRIM_400000_NS6detail17trampoline_kernelINS0_13select_configILj256ELj13ELNS0_17block_load_methodE3ELS4_3ELS4_3ELNS0_20block_scan_algorithmE0ELj4294967295EEENS1_25partition_config_selectorILNS1_17partition_subalgoE4EjNS0_10empty_typeEbEEZZNS1_14partition_implILS8_4ELb0ES6_15HIP_vector_typeIjLj2EENS0_17counting_iteratorIjlEEPS9_SG_NS0_5tupleIJPjSI_NS0_16reverse_iteratorISI_EEEEENSH_IJSG_SG_SG_EEES9_SI_JZNS1_25segmented_radix_sort_implINS0_14default_configELb1EPKfPfPKlPlN2at6native12_GLOBAL__N_18offset_tEEE10hipError_tPvRmT1_PNSt15iterator_traitsIS12_E10value_typeET2_T3_PNS13_IS18_E10value_typeET4_jRbjT5_S1E_jjP12ihipStream_tbEUljE_ZNSN_ISO_Lb1ESQ_SR_ST_SU_SY_EESZ_S10_S11_S12_S16_S17_S18_S1B_S1C_jS1D_jS1E_S1E_jjS1G_bEUljE0_EEESZ_S10_S11_S18_S1C_S1E_T6_T7_T9_mT8_S1G_bDpT10_ENKUlT_T0_E_clISt17integral_constantIbLb1EES1U_EEDaS1P_S1Q_EUlS1P_E_NS1_11comp_targetILNS1_3genE4ELNS1_11target_archE910ELNS1_3gpuE8ELNS1_3repE0EEENS1_30default_config_static_selectorELNS0_4arch9wavefront6targetE1EEEvS12_.has_recursion, 0
	.set _ZN7rocprim17ROCPRIM_400000_NS6detail17trampoline_kernelINS0_13select_configILj256ELj13ELNS0_17block_load_methodE3ELS4_3ELS4_3ELNS0_20block_scan_algorithmE0ELj4294967295EEENS1_25partition_config_selectorILNS1_17partition_subalgoE4EjNS0_10empty_typeEbEEZZNS1_14partition_implILS8_4ELb0ES6_15HIP_vector_typeIjLj2EENS0_17counting_iteratorIjlEEPS9_SG_NS0_5tupleIJPjSI_NS0_16reverse_iteratorISI_EEEEENSH_IJSG_SG_SG_EEES9_SI_JZNS1_25segmented_radix_sort_implINS0_14default_configELb1EPKfPfPKlPlN2at6native12_GLOBAL__N_18offset_tEEE10hipError_tPvRmT1_PNSt15iterator_traitsIS12_E10value_typeET2_T3_PNS13_IS18_E10value_typeET4_jRbjT5_S1E_jjP12ihipStream_tbEUljE_ZNSN_ISO_Lb1ESQ_SR_ST_SU_SY_EESZ_S10_S11_S12_S16_S17_S18_S1B_S1C_jS1D_jS1E_S1E_jjS1G_bEUljE0_EEESZ_S10_S11_S18_S1C_S1E_T6_T7_T9_mT8_S1G_bDpT10_ENKUlT_T0_E_clISt17integral_constantIbLb1EES1U_EEDaS1P_S1Q_EUlS1P_E_NS1_11comp_targetILNS1_3genE4ELNS1_11target_archE910ELNS1_3gpuE8ELNS1_3repE0EEENS1_30default_config_static_selectorELNS0_4arch9wavefront6targetE1EEEvS12_.has_indirect_call, 0
	.section	.AMDGPU.csdata,"",@progbits
; Kernel info:
; codeLenInByte = 0
; TotalNumSgprs: 4
; NumVgprs: 0
; ScratchSize: 0
; MemoryBound: 0
; FloatMode: 240
; IeeeMode: 1
; LDSByteSize: 0 bytes/workgroup (compile time only)
; SGPRBlocks: 0
; VGPRBlocks: 0
; NumSGPRsForWavesPerEU: 4
; NumVGPRsForWavesPerEU: 1
; Occupancy: 10
; WaveLimiterHint : 0
; COMPUTE_PGM_RSRC2:SCRATCH_EN: 0
; COMPUTE_PGM_RSRC2:USER_SGPR: 6
; COMPUTE_PGM_RSRC2:TRAP_HANDLER: 0
; COMPUTE_PGM_RSRC2:TGID_X_EN: 1
; COMPUTE_PGM_RSRC2:TGID_Y_EN: 0
; COMPUTE_PGM_RSRC2:TGID_Z_EN: 0
; COMPUTE_PGM_RSRC2:TIDIG_COMP_CNT: 0
	.section	.text._ZN7rocprim17ROCPRIM_400000_NS6detail17trampoline_kernelINS0_13select_configILj256ELj13ELNS0_17block_load_methodE3ELS4_3ELS4_3ELNS0_20block_scan_algorithmE0ELj4294967295EEENS1_25partition_config_selectorILNS1_17partition_subalgoE4EjNS0_10empty_typeEbEEZZNS1_14partition_implILS8_4ELb0ES6_15HIP_vector_typeIjLj2EENS0_17counting_iteratorIjlEEPS9_SG_NS0_5tupleIJPjSI_NS0_16reverse_iteratorISI_EEEEENSH_IJSG_SG_SG_EEES9_SI_JZNS1_25segmented_radix_sort_implINS0_14default_configELb1EPKfPfPKlPlN2at6native12_GLOBAL__N_18offset_tEEE10hipError_tPvRmT1_PNSt15iterator_traitsIS12_E10value_typeET2_T3_PNS13_IS18_E10value_typeET4_jRbjT5_S1E_jjP12ihipStream_tbEUljE_ZNSN_ISO_Lb1ESQ_SR_ST_SU_SY_EESZ_S10_S11_S12_S16_S17_S18_S1B_S1C_jS1D_jS1E_S1E_jjS1G_bEUljE0_EEESZ_S10_S11_S18_S1C_S1E_T6_T7_T9_mT8_S1G_bDpT10_ENKUlT_T0_E_clISt17integral_constantIbLb1EES1U_EEDaS1P_S1Q_EUlS1P_E_NS1_11comp_targetILNS1_3genE3ELNS1_11target_archE908ELNS1_3gpuE7ELNS1_3repE0EEENS1_30default_config_static_selectorELNS0_4arch9wavefront6targetE1EEEvS12_,"axG",@progbits,_ZN7rocprim17ROCPRIM_400000_NS6detail17trampoline_kernelINS0_13select_configILj256ELj13ELNS0_17block_load_methodE3ELS4_3ELS4_3ELNS0_20block_scan_algorithmE0ELj4294967295EEENS1_25partition_config_selectorILNS1_17partition_subalgoE4EjNS0_10empty_typeEbEEZZNS1_14partition_implILS8_4ELb0ES6_15HIP_vector_typeIjLj2EENS0_17counting_iteratorIjlEEPS9_SG_NS0_5tupleIJPjSI_NS0_16reverse_iteratorISI_EEEEENSH_IJSG_SG_SG_EEES9_SI_JZNS1_25segmented_radix_sort_implINS0_14default_configELb1EPKfPfPKlPlN2at6native12_GLOBAL__N_18offset_tEEE10hipError_tPvRmT1_PNSt15iterator_traitsIS12_E10value_typeET2_T3_PNS13_IS18_E10value_typeET4_jRbjT5_S1E_jjP12ihipStream_tbEUljE_ZNSN_ISO_Lb1ESQ_SR_ST_SU_SY_EESZ_S10_S11_S12_S16_S17_S18_S1B_S1C_jS1D_jS1E_S1E_jjS1G_bEUljE0_EEESZ_S10_S11_S18_S1C_S1E_T6_T7_T9_mT8_S1G_bDpT10_ENKUlT_T0_E_clISt17integral_constantIbLb1EES1U_EEDaS1P_S1Q_EUlS1P_E_NS1_11comp_targetILNS1_3genE3ELNS1_11target_archE908ELNS1_3gpuE7ELNS1_3repE0EEENS1_30default_config_static_selectorELNS0_4arch9wavefront6targetE1EEEvS12_,comdat
	.globl	_ZN7rocprim17ROCPRIM_400000_NS6detail17trampoline_kernelINS0_13select_configILj256ELj13ELNS0_17block_load_methodE3ELS4_3ELS4_3ELNS0_20block_scan_algorithmE0ELj4294967295EEENS1_25partition_config_selectorILNS1_17partition_subalgoE4EjNS0_10empty_typeEbEEZZNS1_14partition_implILS8_4ELb0ES6_15HIP_vector_typeIjLj2EENS0_17counting_iteratorIjlEEPS9_SG_NS0_5tupleIJPjSI_NS0_16reverse_iteratorISI_EEEEENSH_IJSG_SG_SG_EEES9_SI_JZNS1_25segmented_radix_sort_implINS0_14default_configELb1EPKfPfPKlPlN2at6native12_GLOBAL__N_18offset_tEEE10hipError_tPvRmT1_PNSt15iterator_traitsIS12_E10value_typeET2_T3_PNS13_IS18_E10value_typeET4_jRbjT5_S1E_jjP12ihipStream_tbEUljE_ZNSN_ISO_Lb1ESQ_SR_ST_SU_SY_EESZ_S10_S11_S12_S16_S17_S18_S1B_S1C_jS1D_jS1E_S1E_jjS1G_bEUljE0_EEESZ_S10_S11_S18_S1C_S1E_T6_T7_T9_mT8_S1G_bDpT10_ENKUlT_T0_E_clISt17integral_constantIbLb1EES1U_EEDaS1P_S1Q_EUlS1P_E_NS1_11comp_targetILNS1_3genE3ELNS1_11target_archE908ELNS1_3gpuE7ELNS1_3repE0EEENS1_30default_config_static_selectorELNS0_4arch9wavefront6targetE1EEEvS12_ ; -- Begin function _ZN7rocprim17ROCPRIM_400000_NS6detail17trampoline_kernelINS0_13select_configILj256ELj13ELNS0_17block_load_methodE3ELS4_3ELS4_3ELNS0_20block_scan_algorithmE0ELj4294967295EEENS1_25partition_config_selectorILNS1_17partition_subalgoE4EjNS0_10empty_typeEbEEZZNS1_14partition_implILS8_4ELb0ES6_15HIP_vector_typeIjLj2EENS0_17counting_iteratorIjlEEPS9_SG_NS0_5tupleIJPjSI_NS0_16reverse_iteratorISI_EEEEENSH_IJSG_SG_SG_EEES9_SI_JZNS1_25segmented_radix_sort_implINS0_14default_configELb1EPKfPfPKlPlN2at6native12_GLOBAL__N_18offset_tEEE10hipError_tPvRmT1_PNSt15iterator_traitsIS12_E10value_typeET2_T3_PNS13_IS18_E10value_typeET4_jRbjT5_S1E_jjP12ihipStream_tbEUljE_ZNSN_ISO_Lb1ESQ_SR_ST_SU_SY_EESZ_S10_S11_S12_S16_S17_S18_S1B_S1C_jS1D_jS1E_S1E_jjS1G_bEUljE0_EEESZ_S10_S11_S18_S1C_S1E_T6_T7_T9_mT8_S1G_bDpT10_ENKUlT_T0_E_clISt17integral_constantIbLb1EES1U_EEDaS1P_S1Q_EUlS1P_E_NS1_11comp_targetILNS1_3genE3ELNS1_11target_archE908ELNS1_3gpuE7ELNS1_3repE0EEENS1_30default_config_static_selectorELNS0_4arch9wavefront6targetE1EEEvS12_
	.p2align	8
	.type	_ZN7rocprim17ROCPRIM_400000_NS6detail17trampoline_kernelINS0_13select_configILj256ELj13ELNS0_17block_load_methodE3ELS4_3ELS4_3ELNS0_20block_scan_algorithmE0ELj4294967295EEENS1_25partition_config_selectorILNS1_17partition_subalgoE4EjNS0_10empty_typeEbEEZZNS1_14partition_implILS8_4ELb0ES6_15HIP_vector_typeIjLj2EENS0_17counting_iteratorIjlEEPS9_SG_NS0_5tupleIJPjSI_NS0_16reverse_iteratorISI_EEEEENSH_IJSG_SG_SG_EEES9_SI_JZNS1_25segmented_radix_sort_implINS0_14default_configELb1EPKfPfPKlPlN2at6native12_GLOBAL__N_18offset_tEEE10hipError_tPvRmT1_PNSt15iterator_traitsIS12_E10value_typeET2_T3_PNS13_IS18_E10value_typeET4_jRbjT5_S1E_jjP12ihipStream_tbEUljE_ZNSN_ISO_Lb1ESQ_SR_ST_SU_SY_EESZ_S10_S11_S12_S16_S17_S18_S1B_S1C_jS1D_jS1E_S1E_jjS1G_bEUljE0_EEESZ_S10_S11_S18_S1C_S1E_T6_T7_T9_mT8_S1G_bDpT10_ENKUlT_T0_E_clISt17integral_constantIbLb1EES1U_EEDaS1P_S1Q_EUlS1P_E_NS1_11comp_targetILNS1_3genE3ELNS1_11target_archE908ELNS1_3gpuE7ELNS1_3repE0EEENS1_30default_config_static_selectorELNS0_4arch9wavefront6targetE1EEEvS12_,@function
_ZN7rocprim17ROCPRIM_400000_NS6detail17trampoline_kernelINS0_13select_configILj256ELj13ELNS0_17block_load_methodE3ELS4_3ELS4_3ELNS0_20block_scan_algorithmE0ELj4294967295EEENS1_25partition_config_selectorILNS1_17partition_subalgoE4EjNS0_10empty_typeEbEEZZNS1_14partition_implILS8_4ELb0ES6_15HIP_vector_typeIjLj2EENS0_17counting_iteratorIjlEEPS9_SG_NS0_5tupleIJPjSI_NS0_16reverse_iteratorISI_EEEEENSH_IJSG_SG_SG_EEES9_SI_JZNS1_25segmented_radix_sort_implINS0_14default_configELb1EPKfPfPKlPlN2at6native12_GLOBAL__N_18offset_tEEE10hipError_tPvRmT1_PNSt15iterator_traitsIS12_E10value_typeET2_T3_PNS13_IS18_E10value_typeET4_jRbjT5_S1E_jjP12ihipStream_tbEUljE_ZNSN_ISO_Lb1ESQ_SR_ST_SU_SY_EESZ_S10_S11_S12_S16_S17_S18_S1B_S1C_jS1D_jS1E_S1E_jjS1G_bEUljE0_EEESZ_S10_S11_S18_S1C_S1E_T6_T7_T9_mT8_S1G_bDpT10_ENKUlT_T0_E_clISt17integral_constantIbLb1EES1U_EEDaS1P_S1Q_EUlS1P_E_NS1_11comp_targetILNS1_3genE3ELNS1_11target_archE908ELNS1_3gpuE7ELNS1_3repE0EEENS1_30default_config_static_selectorELNS0_4arch9wavefront6targetE1EEEvS12_: ; @_ZN7rocprim17ROCPRIM_400000_NS6detail17trampoline_kernelINS0_13select_configILj256ELj13ELNS0_17block_load_methodE3ELS4_3ELS4_3ELNS0_20block_scan_algorithmE0ELj4294967295EEENS1_25partition_config_selectorILNS1_17partition_subalgoE4EjNS0_10empty_typeEbEEZZNS1_14partition_implILS8_4ELb0ES6_15HIP_vector_typeIjLj2EENS0_17counting_iteratorIjlEEPS9_SG_NS0_5tupleIJPjSI_NS0_16reverse_iteratorISI_EEEEENSH_IJSG_SG_SG_EEES9_SI_JZNS1_25segmented_radix_sort_implINS0_14default_configELb1EPKfPfPKlPlN2at6native12_GLOBAL__N_18offset_tEEE10hipError_tPvRmT1_PNSt15iterator_traitsIS12_E10value_typeET2_T3_PNS13_IS18_E10value_typeET4_jRbjT5_S1E_jjP12ihipStream_tbEUljE_ZNSN_ISO_Lb1ESQ_SR_ST_SU_SY_EESZ_S10_S11_S12_S16_S17_S18_S1B_S1C_jS1D_jS1E_S1E_jjS1G_bEUljE0_EEESZ_S10_S11_S18_S1C_S1E_T6_T7_T9_mT8_S1G_bDpT10_ENKUlT_T0_E_clISt17integral_constantIbLb1EES1U_EEDaS1P_S1Q_EUlS1P_E_NS1_11comp_targetILNS1_3genE3ELNS1_11target_archE908ELNS1_3gpuE7ELNS1_3repE0EEENS1_30default_config_static_selectorELNS0_4arch9wavefront6targetE1EEEvS12_
; %bb.0:
	.section	.rodata,"a",@progbits
	.p2align	6, 0x0
	.amdhsa_kernel _ZN7rocprim17ROCPRIM_400000_NS6detail17trampoline_kernelINS0_13select_configILj256ELj13ELNS0_17block_load_methodE3ELS4_3ELS4_3ELNS0_20block_scan_algorithmE0ELj4294967295EEENS1_25partition_config_selectorILNS1_17partition_subalgoE4EjNS0_10empty_typeEbEEZZNS1_14partition_implILS8_4ELb0ES6_15HIP_vector_typeIjLj2EENS0_17counting_iteratorIjlEEPS9_SG_NS0_5tupleIJPjSI_NS0_16reverse_iteratorISI_EEEEENSH_IJSG_SG_SG_EEES9_SI_JZNS1_25segmented_radix_sort_implINS0_14default_configELb1EPKfPfPKlPlN2at6native12_GLOBAL__N_18offset_tEEE10hipError_tPvRmT1_PNSt15iterator_traitsIS12_E10value_typeET2_T3_PNS13_IS18_E10value_typeET4_jRbjT5_S1E_jjP12ihipStream_tbEUljE_ZNSN_ISO_Lb1ESQ_SR_ST_SU_SY_EESZ_S10_S11_S12_S16_S17_S18_S1B_S1C_jS1D_jS1E_S1E_jjS1G_bEUljE0_EEESZ_S10_S11_S18_S1C_S1E_T6_T7_T9_mT8_S1G_bDpT10_ENKUlT_T0_E_clISt17integral_constantIbLb1EES1U_EEDaS1P_S1Q_EUlS1P_E_NS1_11comp_targetILNS1_3genE3ELNS1_11target_archE908ELNS1_3gpuE7ELNS1_3repE0EEENS1_30default_config_static_selectorELNS0_4arch9wavefront6targetE1EEEvS12_
		.amdhsa_group_segment_fixed_size 0
		.amdhsa_private_segment_fixed_size 0
		.amdhsa_kernarg_size 184
		.amdhsa_user_sgpr_count 6
		.amdhsa_user_sgpr_private_segment_buffer 1
		.amdhsa_user_sgpr_dispatch_ptr 0
		.amdhsa_user_sgpr_queue_ptr 0
		.amdhsa_user_sgpr_kernarg_segment_ptr 1
		.amdhsa_user_sgpr_dispatch_id 0
		.amdhsa_user_sgpr_flat_scratch_init 0
		.amdhsa_user_sgpr_private_segment_size 0
		.amdhsa_uses_dynamic_stack 0
		.amdhsa_system_sgpr_private_segment_wavefront_offset 0
		.amdhsa_system_sgpr_workgroup_id_x 1
		.amdhsa_system_sgpr_workgroup_id_y 0
		.amdhsa_system_sgpr_workgroup_id_z 0
		.amdhsa_system_sgpr_workgroup_info 0
		.amdhsa_system_vgpr_workitem_id 0
		.amdhsa_next_free_vgpr 1
		.amdhsa_next_free_sgpr 0
		.amdhsa_reserve_vcc 0
		.amdhsa_reserve_flat_scratch 0
		.amdhsa_float_round_mode_32 0
		.amdhsa_float_round_mode_16_64 0
		.amdhsa_float_denorm_mode_32 3
		.amdhsa_float_denorm_mode_16_64 3
		.amdhsa_dx10_clamp 1
		.amdhsa_ieee_mode 1
		.amdhsa_fp16_overflow 0
		.amdhsa_exception_fp_ieee_invalid_op 0
		.amdhsa_exception_fp_denorm_src 0
		.amdhsa_exception_fp_ieee_div_zero 0
		.amdhsa_exception_fp_ieee_overflow 0
		.amdhsa_exception_fp_ieee_underflow 0
		.amdhsa_exception_fp_ieee_inexact 0
		.amdhsa_exception_int_div_zero 0
	.end_amdhsa_kernel
	.section	.text._ZN7rocprim17ROCPRIM_400000_NS6detail17trampoline_kernelINS0_13select_configILj256ELj13ELNS0_17block_load_methodE3ELS4_3ELS4_3ELNS0_20block_scan_algorithmE0ELj4294967295EEENS1_25partition_config_selectorILNS1_17partition_subalgoE4EjNS0_10empty_typeEbEEZZNS1_14partition_implILS8_4ELb0ES6_15HIP_vector_typeIjLj2EENS0_17counting_iteratorIjlEEPS9_SG_NS0_5tupleIJPjSI_NS0_16reverse_iteratorISI_EEEEENSH_IJSG_SG_SG_EEES9_SI_JZNS1_25segmented_radix_sort_implINS0_14default_configELb1EPKfPfPKlPlN2at6native12_GLOBAL__N_18offset_tEEE10hipError_tPvRmT1_PNSt15iterator_traitsIS12_E10value_typeET2_T3_PNS13_IS18_E10value_typeET4_jRbjT5_S1E_jjP12ihipStream_tbEUljE_ZNSN_ISO_Lb1ESQ_SR_ST_SU_SY_EESZ_S10_S11_S12_S16_S17_S18_S1B_S1C_jS1D_jS1E_S1E_jjS1G_bEUljE0_EEESZ_S10_S11_S18_S1C_S1E_T6_T7_T9_mT8_S1G_bDpT10_ENKUlT_T0_E_clISt17integral_constantIbLb1EES1U_EEDaS1P_S1Q_EUlS1P_E_NS1_11comp_targetILNS1_3genE3ELNS1_11target_archE908ELNS1_3gpuE7ELNS1_3repE0EEENS1_30default_config_static_selectorELNS0_4arch9wavefront6targetE1EEEvS12_,"axG",@progbits,_ZN7rocprim17ROCPRIM_400000_NS6detail17trampoline_kernelINS0_13select_configILj256ELj13ELNS0_17block_load_methodE3ELS4_3ELS4_3ELNS0_20block_scan_algorithmE0ELj4294967295EEENS1_25partition_config_selectorILNS1_17partition_subalgoE4EjNS0_10empty_typeEbEEZZNS1_14partition_implILS8_4ELb0ES6_15HIP_vector_typeIjLj2EENS0_17counting_iteratorIjlEEPS9_SG_NS0_5tupleIJPjSI_NS0_16reverse_iteratorISI_EEEEENSH_IJSG_SG_SG_EEES9_SI_JZNS1_25segmented_radix_sort_implINS0_14default_configELb1EPKfPfPKlPlN2at6native12_GLOBAL__N_18offset_tEEE10hipError_tPvRmT1_PNSt15iterator_traitsIS12_E10value_typeET2_T3_PNS13_IS18_E10value_typeET4_jRbjT5_S1E_jjP12ihipStream_tbEUljE_ZNSN_ISO_Lb1ESQ_SR_ST_SU_SY_EESZ_S10_S11_S12_S16_S17_S18_S1B_S1C_jS1D_jS1E_S1E_jjS1G_bEUljE0_EEESZ_S10_S11_S18_S1C_S1E_T6_T7_T9_mT8_S1G_bDpT10_ENKUlT_T0_E_clISt17integral_constantIbLb1EES1U_EEDaS1P_S1Q_EUlS1P_E_NS1_11comp_targetILNS1_3genE3ELNS1_11target_archE908ELNS1_3gpuE7ELNS1_3repE0EEENS1_30default_config_static_selectorELNS0_4arch9wavefront6targetE1EEEvS12_,comdat
.Lfunc_end1272:
	.size	_ZN7rocprim17ROCPRIM_400000_NS6detail17trampoline_kernelINS0_13select_configILj256ELj13ELNS0_17block_load_methodE3ELS4_3ELS4_3ELNS0_20block_scan_algorithmE0ELj4294967295EEENS1_25partition_config_selectorILNS1_17partition_subalgoE4EjNS0_10empty_typeEbEEZZNS1_14partition_implILS8_4ELb0ES6_15HIP_vector_typeIjLj2EENS0_17counting_iteratorIjlEEPS9_SG_NS0_5tupleIJPjSI_NS0_16reverse_iteratorISI_EEEEENSH_IJSG_SG_SG_EEES9_SI_JZNS1_25segmented_radix_sort_implINS0_14default_configELb1EPKfPfPKlPlN2at6native12_GLOBAL__N_18offset_tEEE10hipError_tPvRmT1_PNSt15iterator_traitsIS12_E10value_typeET2_T3_PNS13_IS18_E10value_typeET4_jRbjT5_S1E_jjP12ihipStream_tbEUljE_ZNSN_ISO_Lb1ESQ_SR_ST_SU_SY_EESZ_S10_S11_S12_S16_S17_S18_S1B_S1C_jS1D_jS1E_S1E_jjS1G_bEUljE0_EEESZ_S10_S11_S18_S1C_S1E_T6_T7_T9_mT8_S1G_bDpT10_ENKUlT_T0_E_clISt17integral_constantIbLb1EES1U_EEDaS1P_S1Q_EUlS1P_E_NS1_11comp_targetILNS1_3genE3ELNS1_11target_archE908ELNS1_3gpuE7ELNS1_3repE0EEENS1_30default_config_static_selectorELNS0_4arch9wavefront6targetE1EEEvS12_, .Lfunc_end1272-_ZN7rocprim17ROCPRIM_400000_NS6detail17trampoline_kernelINS0_13select_configILj256ELj13ELNS0_17block_load_methodE3ELS4_3ELS4_3ELNS0_20block_scan_algorithmE0ELj4294967295EEENS1_25partition_config_selectorILNS1_17partition_subalgoE4EjNS0_10empty_typeEbEEZZNS1_14partition_implILS8_4ELb0ES6_15HIP_vector_typeIjLj2EENS0_17counting_iteratorIjlEEPS9_SG_NS0_5tupleIJPjSI_NS0_16reverse_iteratorISI_EEEEENSH_IJSG_SG_SG_EEES9_SI_JZNS1_25segmented_radix_sort_implINS0_14default_configELb1EPKfPfPKlPlN2at6native12_GLOBAL__N_18offset_tEEE10hipError_tPvRmT1_PNSt15iterator_traitsIS12_E10value_typeET2_T3_PNS13_IS18_E10value_typeET4_jRbjT5_S1E_jjP12ihipStream_tbEUljE_ZNSN_ISO_Lb1ESQ_SR_ST_SU_SY_EESZ_S10_S11_S12_S16_S17_S18_S1B_S1C_jS1D_jS1E_S1E_jjS1G_bEUljE0_EEESZ_S10_S11_S18_S1C_S1E_T6_T7_T9_mT8_S1G_bDpT10_ENKUlT_T0_E_clISt17integral_constantIbLb1EES1U_EEDaS1P_S1Q_EUlS1P_E_NS1_11comp_targetILNS1_3genE3ELNS1_11target_archE908ELNS1_3gpuE7ELNS1_3repE0EEENS1_30default_config_static_selectorELNS0_4arch9wavefront6targetE1EEEvS12_
                                        ; -- End function
	.set _ZN7rocprim17ROCPRIM_400000_NS6detail17trampoline_kernelINS0_13select_configILj256ELj13ELNS0_17block_load_methodE3ELS4_3ELS4_3ELNS0_20block_scan_algorithmE0ELj4294967295EEENS1_25partition_config_selectorILNS1_17partition_subalgoE4EjNS0_10empty_typeEbEEZZNS1_14partition_implILS8_4ELb0ES6_15HIP_vector_typeIjLj2EENS0_17counting_iteratorIjlEEPS9_SG_NS0_5tupleIJPjSI_NS0_16reverse_iteratorISI_EEEEENSH_IJSG_SG_SG_EEES9_SI_JZNS1_25segmented_radix_sort_implINS0_14default_configELb1EPKfPfPKlPlN2at6native12_GLOBAL__N_18offset_tEEE10hipError_tPvRmT1_PNSt15iterator_traitsIS12_E10value_typeET2_T3_PNS13_IS18_E10value_typeET4_jRbjT5_S1E_jjP12ihipStream_tbEUljE_ZNSN_ISO_Lb1ESQ_SR_ST_SU_SY_EESZ_S10_S11_S12_S16_S17_S18_S1B_S1C_jS1D_jS1E_S1E_jjS1G_bEUljE0_EEESZ_S10_S11_S18_S1C_S1E_T6_T7_T9_mT8_S1G_bDpT10_ENKUlT_T0_E_clISt17integral_constantIbLb1EES1U_EEDaS1P_S1Q_EUlS1P_E_NS1_11comp_targetILNS1_3genE3ELNS1_11target_archE908ELNS1_3gpuE7ELNS1_3repE0EEENS1_30default_config_static_selectorELNS0_4arch9wavefront6targetE1EEEvS12_.num_vgpr, 0
	.set _ZN7rocprim17ROCPRIM_400000_NS6detail17trampoline_kernelINS0_13select_configILj256ELj13ELNS0_17block_load_methodE3ELS4_3ELS4_3ELNS0_20block_scan_algorithmE0ELj4294967295EEENS1_25partition_config_selectorILNS1_17partition_subalgoE4EjNS0_10empty_typeEbEEZZNS1_14partition_implILS8_4ELb0ES6_15HIP_vector_typeIjLj2EENS0_17counting_iteratorIjlEEPS9_SG_NS0_5tupleIJPjSI_NS0_16reverse_iteratorISI_EEEEENSH_IJSG_SG_SG_EEES9_SI_JZNS1_25segmented_radix_sort_implINS0_14default_configELb1EPKfPfPKlPlN2at6native12_GLOBAL__N_18offset_tEEE10hipError_tPvRmT1_PNSt15iterator_traitsIS12_E10value_typeET2_T3_PNS13_IS18_E10value_typeET4_jRbjT5_S1E_jjP12ihipStream_tbEUljE_ZNSN_ISO_Lb1ESQ_SR_ST_SU_SY_EESZ_S10_S11_S12_S16_S17_S18_S1B_S1C_jS1D_jS1E_S1E_jjS1G_bEUljE0_EEESZ_S10_S11_S18_S1C_S1E_T6_T7_T9_mT8_S1G_bDpT10_ENKUlT_T0_E_clISt17integral_constantIbLb1EES1U_EEDaS1P_S1Q_EUlS1P_E_NS1_11comp_targetILNS1_3genE3ELNS1_11target_archE908ELNS1_3gpuE7ELNS1_3repE0EEENS1_30default_config_static_selectorELNS0_4arch9wavefront6targetE1EEEvS12_.num_agpr, 0
	.set _ZN7rocprim17ROCPRIM_400000_NS6detail17trampoline_kernelINS0_13select_configILj256ELj13ELNS0_17block_load_methodE3ELS4_3ELS4_3ELNS0_20block_scan_algorithmE0ELj4294967295EEENS1_25partition_config_selectorILNS1_17partition_subalgoE4EjNS0_10empty_typeEbEEZZNS1_14partition_implILS8_4ELb0ES6_15HIP_vector_typeIjLj2EENS0_17counting_iteratorIjlEEPS9_SG_NS0_5tupleIJPjSI_NS0_16reverse_iteratorISI_EEEEENSH_IJSG_SG_SG_EEES9_SI_JZNS1_25segmented_radix_sort_implINS0_14default_configELb1EPKfPfPKlPlN2at6native12_GLOBAL__N_18offset_tEEE10hipError_tPvRmT1_PNSt15iterator_traitsIS12_E10value_typeET2_T3_PNS13_IS18_E10value_typeET4_jRbjT5_S1E_jjP12ihipStream_tbEUljE_ZNSN_ISO_Lb1ESQ_SR_ST_SU_SY_EESZ_S10_S11_S12_S16_S17_S18_S1B_S1C_jS1D_jS1E_S1E_jjS1G_bEUljE0_EEESZ_S10_S11_S18_S1C_S1E_T6_T7_T9_mT8_S1G_bDpT10_ENKUlT_T0_E_clISt17integral_constantIbLb1EES1U_EEDaS1P_S1Q_EUlS1P_E_NS1_11comp_targetILNS1_3genE3ELNS1_11target_archE908ELNS1_3gpuE7ELNS1_3repE0EEENS1_30default_config_static_selectorELNS0_4arch9wavefront6targetE1EEEvS12_.numbered_sgpr, 0
	.set _ZN7rocprim17ROCPRIM_400000_NS6detail17trampoline_kernelINS0_13select_configILj256ELj13ELNS0_17block_load_methodE3ELS4_3ELS4_3ELNS0_20block_scan_algorithmE0ELj4294967295EEENS1_25partition_config_selectorILNS1_17partition_subalgoE4EjNS0_10empty_typeEbEEZZNS1_14partition_implILS8_4ELb0ES6_15HIP_vector_typeIjLj2EENS0_17counting_iteratorIjlEEPS9_SG_NS0_5tupleIJPjSI_NS0_16reverse_iteratorISI_EEEEENSH_IJSG_SG_SG_EEES9_SI_JZNS1_25segmented_radix_sort_implINS0_14default_configELb1EPKfPfPKlPlN2at6native12_GLOBAL__N_18offset_tEEE10hipError_tPvRmT1_PNSt15iterator_traitsIS12_E10value_typeET2_T3_PNS13_IS18_E10value_typeET4_jRbjT5_S1E_jjP12ihipStream_tbEUljE_ZNSN_ISO_Lb1ESQ_SR_ST_SU_SY_EESZ_S10_S11_S12_S16_S17_S18_S1B_S1C_jS1D_jS1E_S1E_jjS1G_bEUljE0_EEESZ_S10_S11_S18_S1C_S1E_T6_T7_T9_mT8_S1G_bDpT10_ENKUlT_T0_E_clISt17integral_constantIbLb1EES1U_EEDaS1P_S1Q_EUlS1P_E_NS1_11comp_targetILNS1_3genE3ELNS1_11target_archE908ELNS1_3gpuE7ELNS1_3repE0EEENS1_30default_config_static_selectorELNS0_4arch9wavefront6targetE1EEEvS12_.num_named_barrier, 0
	.set _ZN7rocprim17ROCPRIM_400000_NS6detail17trampoline_kernelINS0_13select_configILj256ELj13ELNS0_17block_load_methodE3ELS4_3ELS4_3ELNS0_20block_scan_algorithmE0ELj4294967295EEENS1_25partition_config_selectorILNS1_17partition_subalgoE4EjNS0_10empty_typeEbEEZZNS1_14partition_implILS8_4ELb0ES6_15HIP_vector_typeIjLj2EENS0_17counting_iteratorIjlEEPS9_SG_NS0_5tupleIJPjSI_NS0_16reverse_iteratorISI_EEEEENSH_IJSG_SG_SG_EEES9_SI_JZNS1_25segmented_radix_sort_implINS0_14default_configELb1EPKfPfPKlPlN2at6native12_GLOBAL__N_18offset_tEEE10hipError_tPvRmT1_PNSt15iterator_traitsIS12_E10value_typeET2_T3_PNS13_IS18_E10value_typeET4_jRbjT5_S1E_jjP12ihipStream_tbEUljE_ZNSN_ISO_Lb1ESQ_SR_ST_SU_SY_EESZ_S10_S11_S12_S16_S17_S18_S1B_S1C_jS1D_jS1E_S1E_jjS1G_bEUljE0_EEESZ_S10_S11_S18_S1C_S1E_T6_T7_T9_mT8_S1G_bDpT10_ENKUlT_T0_E_clISt17integral_constantIbLb1EES1U_EEDaS1P_S1Q_EUlS1P_E_NS1_11comp_targetILNS1_3genE3ELNS1_11target_archE908ELNS1_3gpuE7ELNS1_3repE0EEENS1_30default_config_static_selectorELNS0_4arch9wavefront6targetE1EEEvS12_.private_seg_size, 0
	.set _ZN7rocprim17ROCPRIM_400000_NS6detail17trampoline_kernelINS0_13select_configILj256ELj13ELNS0_17block_load_methodE3ELS4_3ELS4_3ELNS0_20block_scan_algorithmE0ELj4294967295EEENS1_25partition_config_selectorILNS1_17partition_subalgoE4EjNS0_10empty_typeEbEEZZNS1_14partition_implILS8_4ELb0ES6_15HIP_vector_typeIjLj2EENS0_17counting_iteratorIjlEEPS9_SG_NS0_5tupleIJPjSI_NS0_16reverse_iteratorISI_EEEEENSH_IJSG_SG_SG_EEES9_SI_JZNS1_25segmented_radix_sort_implINS0_14default_configELb1EPKfPfPKlPlN2at6native12_GLOBAL__N_18offset_tEEE10hipError_tPvRmT1_PNSt15iterator_traitsIS12_E10value_typeET2_T3_PNS13_IS18_E10value_typeET4_jRbjT5_S1E_jjP12ihipStream_tbEUljE_ZNSN_ISO_Lb1ESQ_SR_ST_SU_SY_EESZ_S10_S11_S12_S16_S17_S18_S1B_S1C_jS1D_jS1E_S1E_jjS1G_bEUljE0_EEESZ_S10_S11_S18_S1C_S1E_T6_T7_T9_mT8_S1G_bDpT10_ENKUlT_T0_E_clISt17integral_constantIbLb1EES1U_EEDaS1P_S1Q_EUlS1P_E_NS1_11comp_targetILNS1_3genE3ELNS1_11target_archE908ELNS1_3gpuE7ELNS1_3repE0EEENS1_30default_config_static_selectorELNS0_4arch9wavefront6targetE1EEEvS12_.uses_vcc, 0
	.set _ZN7rocprim17ROCPRIM_400000_NS6detail17trampoline_kernelINS0_13select_configILj256ELj13ELNS0_17block_load_methodE3ELS4_3ELS4_3ELNS0_20block_scan_algorithmE0ELj4294967295EEENS1_25partition_config_selectorILNS1_17partition_subalgoE4EjNS0_10empty_typeEbEEZZNS1_14partition_implILS8_4ELb0ES6_15HIP_vector_typeIjLj2EENS0_17counting_iteratorIjlEEPS9_SG_NS0_5tupleIJPjSI_NS0_16reverse_iteratorISI_EEEEENSH_IJSG_SG_SG_EEES9_SI_JZNS1_25segmented_radix_sort_implINS0_14default_configELb1EPKfPfPKlPlN2at6native12_GLOBAL__N_18offset_tEEE10hipError_tPvRmT1_PNSt15iterator_traitsIS12_E10value_typeET2_T3_PNS13_IS18_E10value_typeET4_jRbjT5_S1E_jjP12ihipStream_tbEUljE_ZNSN_ISO_Lb1ESQ_SR_ST_SU_SY_EESZ_S10_S11_S12_S16_S17_S18_S1B_S1C_jS1D_jS1E_S1E_jjS1G_bEUljE0_EEESZ_S10_S11_S18_S1C_S1E_T6_T7_T9_mT8_S1G_bDpT10_ENKUlT_T0_E_clISt17integral_constantIbLb1EES1U_EEDaS1P_S1Q_EUlS1P_E_NS1_11comp_targetILNS1_3genE3ELNS1_11target_archE908ELNS1_3gpuE7ELNS1_3repE0EEENS1_30default_config_static_selectorELNS0_4arch9wavefront6targetE1EEEvS12_.uses_flat_scratch, 0
	.set _ZN7rocprim17ROCPRIM_400000_NS6detail17trampoline_kernelINS0_13select_configILj256ELj13ELNS0_17block_load_methodE3ELS4_3ELS4_3ELNS0_20block_scan_algorithmE0ELj4294967295EEENS1_25partition_config_selectorILNS1_17partition_subalgoE4EjNS0_10empty_typeEbEEZZNS1_14partition_implILS8_4ELb0ES6_15HIP_vector_typeIjLj2EENS0_17counting_iteratorIjlEEPS9_SG_NS0_5tupleIJPjSI_NS0_16reverse_iteratorISI_EEEEENSH_IJSG_SG_SG_EEES9_SI_JZNS1_25segmented_radix_sort_implINS0_14default_configELb1EPKfPfPKlPlN2at6native12_GLOBAL__N_18offset_tEEE10hipError_tPvRmT1_PNSt15iterator_traitsIS12_E10value_typeET2_T3_PNS13_IS18_E10value_typeET4_jRbjT5_S1E_jjP12ihipStream_tbEUljE_ZNSN_ISO_Lb1ESQ_SR_ST_SU_SY_EESZ_S10_S11_S12_S16_S17_S18_S1B_S1C_jS1D_jS1E_S1E_jjS1G_bEUljE0_EEESZ_S10_S11_S18_S1C_S1E_T6_T7_T9_mT8_S1G_bDpT10_ENKUlT_T0_E_clISt17integral_constantIbLb1EES1U_EEDaS1P_S1Q_EUlS1P_E_NS1_11comp_targetILNS1_3genE3ELNS1_11target_archE908ELNS1_3gpuE7ELNS1_3repE0EEENS1_30default_config_static_selectorELNS0_4arch9wavefront6targetE1EEEvS12_.has_dyn_sized_stack, 0
	.set _ZN7rocprim17ROCPRIM_400000_NS6detail17trampoline_kernelINS0_13select_configILj256ELj13ELNS0_17block_load_methodE3ELS4_3ELS4_3ELNS0_20block_scan_algorithmE0ELj4294967295EEENS1_25partition_config_selectorILNS1_17partition_subalgoE4EjNS0_10empty_typeEbEEZZNS1_14partition_implILS8_4ELb0ES6_15HIP_vector_typeIjLj2EENS0_17counting_iteratorIjlEEPS9_SG_NS0_5tupleIJPjSI_NS0_16reverse_iteratorISI_EEEEENSH_IJSG_SG_SG_EEES9_SI_JZNS1_25segmented_radix_sort_implINS0_14default_configELb1EPKfPfPKlPlN2at6native12_GLOBAL__N_18offset_tEEE10hipError_tPvRmT1_PNSt15iterator_traitsIS12_E10value_typeET2_T3_PNS13_IS18_E10value_typeET4_jRbjT5_S1E_jjP12ihipStream_tbEUljE_ZNSN_ISO_Lb1ESQ_SR_ST_SU_SY_EESZ_S10_S11_S12_S16_S17_S18_S1B_S1C_jS1D_jS1E_S1E_jjS1G_bEUljE0_EEESZ_S10_S11_S18_S1C_S1E_T6_T7_T9_mT8_S1G_bDpT10_ENKUlT_T0_E_clISt17integral_constantIbLb1EES1U_EEDaS1P_S1Q_EUlS1P_E_NS1_11comp_targetILNS1_3genE3ELNS1_11target_archE908ELNS1_3gpuE7ELNS1_3repE0EEENS1_30default_config_static_selectorELNS0_4arch9wavefront6targetE1EEEvS12_.has_recursion, 0
	.set _ZN7rocprim17ROCPRIM_400000_NS6detail17trampoline_kernelINS0_13select_configILj256ELj13ELNS0_17block_load_methodE3ELS4_3ELS4_3ELNS0_20block_scan_algorithmE0ELj4294967295EEENS1_25partition_config_selectorILNS1_17partition_subalgoE4EjNS0_10empty_typeEbEEZZNS1_14partition_implILS8_4ELb0ES6_15HIP_vector_typeIjLj2EENS0_17counting_iteratorIjlEEPS9_SG_NS0_5tupleIJPjSI_NS0_16reverse_iteratorISI_EEEEENSH_IJSG_SG_SG_EEES9_SI_JZNS1_25segmented_radix_sort_implINS0_14default_configELb1EPKfPfPKlPlN2at6native12_GLOBAL__N_18offset_tEEE10hipError_tPvRmT1_PNSt15iterator_traitsIS12_E10value_typeET2_T3_PNS13_IS18_E10value_typeET4_jRbjT5_S1E_jjP12ihipStream_tbEUljE_ZNSN_ISO_Lb1ESQ_SR_ST_SU_SY_EESZ_S10_S11_S12_S16_S17_S18_S1B_S1C_jS1D_jS1E_S1E_jjS1G_bEUljE0_EEESZ_S10_S11_S18_S1C_S1E_T6_T7_T9_mT8_S1G_bDpT10_ENKUlT_T0_E_clISt17integral_constantIbLb1EES1U_EEDaS1P_S1Q_EUlS1P_E_NS1_11comp_targetILNS1_3genE3ELNS1_11target_archE908ELNS1_3gpuE7ELNS1_3repE0EEENS1_30default_config_static_selectorELNS0_4arch9wavefront6targetE1EEEvS12_.has_indirect_call, 0
	.section	.AMDGPU.csdata,"",@progbits
; Kernel info:
; codeLenInByte = 0
; TotalNumSgprs: 4
; NumVgprs: 0
; ScratchSize: 0
; MemoryBound: 0
; FloatMode: 240
; IeeeMode: 1
; LDSByteSize: 0 bytes/workgroup (compile time only)
; SGPRBlocks: 0
; VGPRBlocks: 0
; NumSGPRsForWavesPerEU: 4
; NumVGPRsForWavesPerEU: 1
; Occupancy: 10
; WaveLimiterHint : 0
; COMPUTE_PGM_RSRC2:SCRATCH_EN: 0
; COMPUTE_PGM_RSRC2:USER_SGPR: 6
; COMPUTE_PGM_RSRC2:TRAP_HANDLER: 0
; COMPUTE_PGM_RSRC2:TGID_X_EN: 1
; COMPUTE_PGM_RSRC2:TGID_Y_EN: 0
; COMPUTE_PGM_RSRC2:TGID_Z_EN: 0
; COMPUTE_PGM_RSRC2:TIDIG_COMP_CNT: 0
	.section	.text._ZN7rocprim17ROCPRIM_400000_NS6detail17trampoline_kernelINS0_13select_configILj256ELj13ELNS0_17block_load_methodE3ELS4_3ELS4_3ELNS0_20block_scan_algorithmE0ELj4294967295EEENS1_25partition_config_selectorILNS1_17partition_subalgoE4EjNS0_10empty_typeEbEEZZNS1_14partition_implILS8_4ELb0ES6_15HIP_vector_typeIjLj2EENS0_17counting_iteratorIjlEEPS9_SG_NS0_5tupleIJPjSI_NS0_16reverse_iteratorISI_EEEEENSH_IJSG_SG_SG_EEES9_SI_JZNS1_25segmented_radix_sort_implINS0_14default_configELb1EPKfPfPKlPlN2at6native12_GLOBAL__N_18offset_tEEE10hipError_tPvRmT1_PNSt15iterator_traitsIS12_E10value_typeET2_T3_PNS13_IS18_E10value_typeET4_jRbjT5_S1E_jjP12ihipStream_tbEUljE_ZNSN_ISO_Lb1ESQ_SR_ST_SU_SY_EESZ_S10_S11_S12_S16_S17_S18_S1B_S1C_jS1D_jS1E_S1E_jjS1G_bEUljE0_EEESZ_S10_S11_S18_S1C_S1E_T6_T7_T9_mT8_S1G_bDpT10_ENKUlT_T0_E_clISt17integral_constantIbLb1EES1U_EEDaS1P_S1Q_EUlS1P_E_NS1_11comp_targetILNS1_3genE2ELNS1_11target_archE906ELNS1_3gpuE6ELNS1_3repE0EEENS1_30default_config_static_selectorELNS0_4arch9wavefront6targetE1EEEvS12_,"axG",@progbits,_ZN7rocprim17ROCPRIM_400000_NS6detail17trampoline_kernelINS0_13select_configILj256ELj13ELNS0_17block_load_methodE3ELS4_3ELS4_3ELNS0_20block_scan_algorithmE0ELj4294967295EEENS1_25partition_config_selectorILNS1_17partition_subalgoE4EjNS0_10empty_typeEbEEZZNS1_14partition_implILS8_4ELb0ES6_15HIP_vector_typeIjLj2EENS0_17counting_iteratorIjlEEPS9_SG_NS0_5tupleIJPjSI_NS0_16reverse_iteratorISI_EEEEENSH_IJSG_SG_SG_EEES9_SI_JZNS1_25segmented_radix_sort_implINS0_14default_configELb1EPKfPfPKlPlN2at6native12_GLOBAL__N_18offset_tEEE10hipError_tPvRmT1_PNSt15iterator_traitsIS12_E10value_typeET2_T3_PNS13_IS18_E10value_typeET4_jRbjT5_S1E_jjP12ihipStream_tbEUljE_ZNSN_ISO_Lb1ESQ_SR_ST_SU_SY_EESZ_S10_S11_S12_S16_S17_S18_S1B_S1C_jS1D_jS1E_S1E_jjS1G_bEUljE0_EEESZ_S10_S11_S18_S1C_S1E_T6_T7_T9_mT8_S1G_bDpT10_ENKUlT_T0_E_clISt17integral_constantIbLb1EES1U_EEDaS1P_S1Q_EUlS1P_E_NS1_11comp_targetILNS1_3genE2ELNS1_11target_archE906ELNS1_3gpuE6ELNS1_3repE0EEENS1_30default_config_static_selectorELNS0_4arch9wavefront6targetE1EEEvS12_,comdat
	.globl	_ZN7rocprim17ROCPRIM_400000_NS6detail17trampoline_kernelINS0_13select_configILj256ELj13ELNS0_17block_load_methodE3ELS4_3ELS4_3ELNS0_20block_scan_algorithmE0ELj4294967295EEENS1_25partition_config_selectorILNS1_17partition_subalgoE4EjNS0_10empty_typeEbEEZZNS1_14partition_implILS8_4ELb0ES6_15HIP_vector_typeIjLj2EENS0_17counting_iteratorIjlEEPS9_SG_NS0_5tupleIJPjSI_NS0_16reverse_iteratorISI_EEEEENSH_IJSG_SG_SG_EEES9_SI_JZNS1_25segmented_radix_sort_implINS0_14default_configELb1EPKfPfPKlPlN2at6native12_GLOBAL__N_18offset_tEEE10hipError_tPvRmT1_PNSt15iterator_traitsIS12_E10value_typeET2_T3_PNS13_IS18_E10value_typeET4_jRbjT5_S1E_jjP12ihipStream_tbEUljE_ZNSN_ISO_Lb1ESQ_SR_ST_SU_SY_EESZ_S10_S11_S12_S16_S17_S18_S1B_S1C_jS1D_jS1E_S1E_jjS1G_bEUljE0_EEESZ_S10_S11_S18_S1C_S1E_T6_T7_T9_mT8_S1G_bDpT10_ENKUlT_T0_E_clISt17integral_constantIbLb1EES1U_EEDaS1P_S1Q_EUlS1P_E_NS1_11comp_targetILNS1_3genE2ELNS1_11target_archE906ELNS1_3gpuE6ELNS1_3repE0EEENS1_30default_config_static_selectorELNS0_4arch9wavefront6targetE1EEEvS12_ ; -- Begin function _ZN7rocprim17ROCPRIM_400000_NS6detail17trampoline_kernelINS0_13select_configILj256ELj13ELNS0_17block_load_methodE3ELS4_3ELS4_3ELNS0_20block_scan_algorithmE0ELj4294967295EEENS1_25partition_config_selectorILNS1_17partition_subalgoE4EjNS0_10empty_typeEbEEZZNS1_14partition_implILS8_4ELb0ES6_15HIP_vector_typeIjLj2EENS0_17counting_iteratorIjlEEPS9_SG_NS0_5tupleIJPjSI_NS0_16reverse_iteratorISI_EEEEENSH_IJSG_SG_SG_EEES9_SI_JZNS1_25segmented_radix_sort_implINS0_14default_configELb1EPKfPfPKlPlN2at6native12_GLOBAL__N_18offset_tEEE10hipError_tPvRmT1_PNSt15iterator_traitsIS12_E10value_typeET2_T3_PNS13_IS18_E10value_typeET4_jRbjT5_S1E_jjP12ihipStream_tbEUljE_ZNSN_ISO_Lb1ESQ_SR_ST_SU_SY_EESZ_S10_S11_S12_S16_S17_S18_S1B_S1C_jS1D_jS1E_S1E_jjS1G_bEUljE0_EEESZ_S10_S11_S18_S1C_S1E_T6_T7_T9_mT8_S1G_bDpT10_ENKUlT_T0_E_clISt17integral_constantIbLb1EES1U_EEDaS1P_S1Q_EUlS1P_E_NS1_11comp_targetILNS1_3genE2ELNS1_11target_archE906ELNS1_3gpuE6ELNS1_3repE0EEENS1_30default_config_static_selectorELNS0_4arch9wavefront6targetE1EEEvS12_
	.p2align	8
	.type	_ZN7rocprim17ROCPRIM_400000_NS6detail17trampoline_kernelINS0_13select_configILj256ELj13ELNS0_17block_load_methodE3ELS4_3ELS4_3ELNS0_20block_scan_algorithmE0ELj4294967295EEENS1_25partition_config_selectorILNS1_17partition_subalgoE4EjNS0_10empty_typeEbEEZZNS1_14partition_implILS8_4ELb0ES6_15HIP_vector_typeIjLj2EENS0_17counting_iteratorIjlEEPS9_SG_NS0_5tupleIJPjSI_NS0_16reverse_iteratorISI_EEEEENSH_IJSG_SG_SG_EEES9_SI_JZNS1_25segmented_radix_sort_implINS0_14default_configELb1EPKfPfPKlPlN2at6native12_GLOBAL__N_18offset_tEEE10hipError_tPvRmT1_PNSt15iterator_traitsIS12_E10value_typeET2_T3_PNS13_IS18_E10value_typeET4_jRbjT5_S1E_jjP12ihipStream_tbEUljE_ZNSN_ISO_Lb1ESQ_SR_ST_SU_SY_EESZ_S10_S11_S12_S16_S17_S18_S1B_S1C_jS1D_jS1E_S1E_jjS1G_bEUljE0_EEESZ_S10_S11_S18_S1C_S1E_T6_T7_T9_mT8_S1G_bDpT10_ENKUlT_T0_E_clISt17integral_constantIbLb1EES1U_EEDaS1P_S1Q_EUlS1P_E_NS1_11comp_targetILNS1_3genE2ELNS1_11target_archE906ELNS1_3gpuE6ELNS1_3repE0EEENS1_30default_config_static_selectorELNS0_4arch9wavefront6targetE1EEEvS12_,@function
_ZN7rocprim17ROCPRIM_400000_NS6detail17trampoline_kernelINS0_13select_configILj256ELj13ELNS0_17block_load_methodE3ELS4_3ELS4_3ELNS0_20block_scan_algorithmE0ELj4294967295EEENS1_25partition_config_selectorILNS1_17partition_subalgoE4EjNS0_10empty_typeEbEEZZNS1_14partition_implILS8_4ELb0ES6_15HIP_vector_typeIjLj2EENS0_17counting_iteratorIjlEEPS9_SG_NS0_5tupleIJPjSI_NS0_16reverse_iteratorISI_EEEEENSH_IJSG_SG_SG_EEES9_SI_JZNS1_25segmented_radix_sort_implINS0_14default_configELb1EPKfPfPKlPlN2at6native12_GLOBAL__N_18offset_tEEE10hipError_tPvRmT1_PNSt15iterator_traitsIS12_E10value_typeET2_T3_PNS13_IS18_E10value_typeET4_jRbjT5_S1E_jjP12ihipStream_tbEUljE_ZNSN_ISO_Lb1ESQ_SR_ST_SU_SY_EESZ_S10_S11_S12_S16_S17_S18_S1B_S1C_jS1D_jS1E_S1E_jjS1G_bEUljE0_EEESZ_S10_S11_S18_S1C_S1E_T6_T7_T9_mT8_S1G_bDpT10_ENKUlT_T0_E_clISt17integral_constantIbLb1EES1U_EEDaS1P_S1Q_EUlS1P_E_NS1_11comp_targetILNS1_3genE2ELNS1_11target_archE906ELNS1_3gpuE6ELNS1_3repE0EEENS1_30default_config_static_selectorELNS0_4arch9wavefront6targetE1EEEvS12_: ; @_ZN7rocprim17ROCPRIM_400000_NS6detail17trampoline_kernelINS0_13select_configILj256ELj13ELNS0_17block_load_methodE3ELS4_3ELS4_3ELNS0_20block_scan_algorithmE0ELj4294967295EEENS1_25partition_config_selectorILNS1_17partition_subalgoE4EjNS0_10empty_typeEbEEZZNS1_14partition_implILS8_4ELb0ES6_15HIP_vector_typeIjLj2EENS0_17counting_iteratorIjlEEPS9_SG_NS0_5tupleIJPjSI_NS0_16reverse_iteratorISI_EEEEENSH_IJSG_SG_SG_EEES9_SI_JZNS1_25segmented_radix_sort_implINS0_14default_configELb1EPKfPfPKlPlN2at6native12_GLOBAL__N_18offset_tEEE10hipError_tPvRmT1_PNSt15iterator_traitsIS12_E10value_typeET2_T3_PNS13_IS18_E10value_typeET4_jRbjT5_S1E_jjP12ihipStream_tbEUljE_ZNSN_ISO_Lb1ESQ_SR_ST_SU_SY_EESZ_S10_S11_S12_S16_S17_S18_S1B_S1C_jS1D_jS1E_S1E_jjS1G_bEUljE0_EEESZ_S10_S11_S18_S1C_S1E_T6_T7_T9_mT8_S1G_bDpT10_ENKUlT_T0_E_clISt17integral_constantIbLb1EES1U_EEDaS1P_S1Q_EUlS1P_E_NS1_11comp_targetILNS1_3genE2ELNS1_11target_archE906ELNS1_3gpuE6ELNS1_3repE0EEENS1_30default_config_static_selectorELNS0_4arch9wavefront6targetE1EEEvS12_
; %bb.0:
	s_endpgm
	.section	.rodata,"a",@progbits
	.p2align	6, 0x0
	.amdhsa_kernel _ZN7rocprim17ROCPRIM_400000_NS6detail17trampoline_kernelINS0_13select_configILj256ELj13ELNS0_17block_load_methodE3ELS4_3ELS4_3ELNS0_20block_scan_algorithmE0ELj4294967295EEENS1_25partition_config_selectorILNS1_17partition_subalgoE4EjNS0_10empty_typeEbEEZZNS1_14partition_implILS8_4ELb0ES6_15HIP_vector_typeIjLj2EENS0_17counting_iteratorIjlEEPS9_SG_NS0_5tupleIJPjSI_NS0_16reverse_iteratorISI_EEEEENSH_IJSG_SG_SG_EEES9_SI_JZNS1_25segmented_radix_sort_implINS0_14default_configELb1EPKfPfPKlPlN2at6native12_GLOBAL__N_18offset_tEEE10hipError_tPvRmT1_PNSt15iterator_traitsIS12_E10value_typeET2_T3_PNS13_IS18_E10value_typeET4_jRbjT5_S1E_jjP12ihipStream_tbEUljE_ZNSN_ISO_Lb1ESQ_SR_ST_SU_SY_EESZ_S10_S11_S12_S16_S17_S18_S1B_S1C_jS1D_jS1E_S1E_jjS1G_bEUljE0_EEESZ_S10_S11_S18_S1C_S1E_T6_T7_T9_mT8_S1G_bDpT10_ENKUlT_T0_E_clISt17integral_constantIbLb1EES1U_EEDaS1P_S1Q_EUlS1P_E_NS1_11comp_targetILNS1_3genE2ELNS1_11target_archE906ELNS1_3gpuE6ELNS1_3repE0EEENS1_30default_config_static_selectorELNS0_4arch9wavefront6targetE1EEEvS12_
		.amdhsa_group_segment_fixed_size 0
		.amdhsa_private_segment_fixed_size 0
		.amdhsa_kernarg_size 184
		.amdhsa_user_sgpr_count 6
		.amdhsa_user_sgpr_private_segment_buffer 1
		.amdhsa_user_sgpr_dispatch_ptr 0
		.amdhsa_user_sgpr_queue_ptr 0
		.amdhsa_user_sgpr_kernarg_segment_ptr 1
		.amdhsa_user_sgpr_dispatch_id 0
		.amdhsa_user_sgpr_flat_scratch_init 0
		.amdhsa_user_sgpr_private_segment_size 0
		.amdhsa_uses_dynamic_stack 0
		.amdhsa_system_sgpr_private_segment_wavefront_offset 0
		.amdhsa_system_sgpr_workgroup_id_x 1
		.amdhsa_system_sgpr_workgroup_id_y 0
		.amdhsa_system_sgpr_workgroup_id_z 0
		.amdhsa_system_sgpr_workgroup_info 0
		.amdhsa_system_vgpr_workitem_id 0
		.amdhsa_next_free_vgpr 1
		.amdhsa_next_free_sgpr 0
		.amdhsa_reserve_vcc 0
		.amdhsa_reserve_flat_scratch 0
		.amdhsa_float_round_mode_32 0
		.amdhsa_float_round_mode_16_64 0
		.amdhsa_float_denorm_mode_32 3
		.amdhsa_float_denorm_mode_16_64 3
		.amdhsa_dx10_clamp 1
		.amdhsa_ieee_mode 1
		.amdhsa_fp16_overflow 0
		.amdhsa_exception_fp_ieee_invalid_op 0
		.amdhsa_exception_fp_denorm_src 0
		.amdhsa_exception_fp_ieee_div_zero 0
		.amdhsa_exception_fp_ieee_overflow 0
		.amdhsa_exception_fp_ieee_underflow 0
		.amdhsa_exception_fp_ieee_inexact 0
		.amdhsa_exception_int_div_zero 0
	.end_amdhsa_kernel
	.section	.text._ZN7rocprim17ROCPRIM_400000_NS6detail17trampoline_kernelINS0_13select_configILj256ELj13ELNS0_17block_load_methodE3ELS4_3ELS4_3ELNS0_20block_scan_algorithmE0ELj4294967295EEENS1_25partition_config_selectorILNS1_17partition_subalgoE4EjNS0_10empty_typeEbEEZZNS1_14partition_implILS8_4ELb0ES6_15HIP_vector_typeIjLj2EENS0_17counting_iteratorIjlEEPS9_SG_NS0_5tupleIJPjSI_NS0_16reverse_iteratorISI_EEEEENSH_IJSG_SG_SG_EEES9_SI_JZNS1_25segmented_radix_sort_implINS0_14default_configELb1EPKfPfPKlPlN2at6native12_GLOBAL__N_18offset_tEEE10hipError_tPvRmT1_PNSt15iterator_traitsIS12_E10value_typeET2_T3_PNS13_IS18_E10value_typeET4_jRbjT5_S1E_jjP12ihipStream_tbEUljE_ZNSN_ISO_Lb1ESQ_SR_ST_SU_SY_EESZ_S10_S11_S12_S16_S17_S18_S1B_S1C_jS1D_jS1E_S1E_jjS1G_bEUljE0_EEESZ_S10_S11_S18_S1C_S1E_T6_T7_T9_mT8_S1G_bDpT10_ENKUlT_T0_E_clISt17integral_constantIbLb1EES1U_EEDaS1P_S1Q_EUlS1P_E_NS1_11comp_targetILNS1_3genE2ELNS1_11target_archE906ELNS1_3gpuE6ELNS1_3repE0EEENS1_30default_config_static_selectorELNS0_4arch9wavefront6targetE1EEEvS12_,"axG",@progbits,_ZN7rocprim17ROCPRIM_400000_NS6detail17trampoline_kernelINS0_13select_configILj256ELj13ELNS0_17block_load_methodE3ELS4_3ELS4_3ELNS0_20block_scan_algorithmE0ELj4294967295EEENS1_25partition_config_selectorILNS1_17partition_subalgoE4EjNS0_10empty_typeEbEEZZNS1_14partition_implILS8_4ELb0ES6_15HIP_vector_typeIjLj2EENS0_17counting_iteratorIjlEEPS9_SG_NS0_5tupleIJPjSI_NS0_16reverse_iteratorISI_EEEEENSH_IJSG_SG_SG_EEES9_SI_JZNS1_25segmented_radix_sort_implINS0_14default_configELb1EPKfPfPKlPlN2at6native12_GLOBAL__N_18offset_tEEE10hipError_tPvRmT1_PNSt15iterator_traitsIS12_E10value_typeET2_T3_PNS13_IS18_E10value_typeET4_jRbjT5_S1E_jjP12ihipStream_tbEUljE_ZNSN_ISO_Lb1ESQ_SR_ST_SU_SY_EESZ_S10_S11_S12_S16_S17_S18_S1B_S1C_jS1D_jS1E_S1E_jjS1G_bEUljE0_EEESZ_S10_S11_S18_S1C_S1E_T6_T7_T9_mT8_S1G_bDpT10_ENKUlT_T0_E_clISt17integral_constantIbLb1EES1U_EEDaS1P_S1Q_EUlS1P_E_NS1_11comp_targetILNS1_3genE2ELNS1_11target_archE906ELNS1_3gpuE6ELNS1_3repE0EEENS1_30default_config_static_selectorELNS0_4arch9wavefront6targetE1EEEvS12_,comdat
.Lfunc_end1273:
	.size	_ZN7rocprim17ROCPRIM_400000_NS6detail17trampoline_kernelINS0_13select_configILj256ELj13ELNS0_17block_load_methodE3ELS4_3ELS4_3ELNS0_20block_scan_algorithmE0ELj4294967295EEENS1_25partition_config_selectorILNS1_17partition_subalgoE4EjNS0_10empty_typeEbEEZZNS1_14partition_implILS8_4ELb0ES6_15HIP_vector_typeIjLj2EENS0_17counting_iteratorIjlEEPS9_SG_NS0_5tupleIJPjSI_NS0_16reverse_iteratorISI_EEEEENSH_IJSG_SG_SG_EEES9_SI_JZNS1_25segmented_radix_sort_implINS0_14default_configELb1EPKfPfPKlPlN2at6native12_GLOBAL__N_18offset_tEEE10hipError_tPvRmT1_PNSt15iterator_traitsIS12_E10value_typeET2_T3_PNS13_IS18_E10value_typeET4_jRbjT5_S1E_jjP12ihipStream_tbEUljE_ZNSN_ISO_Lb1ESQ_SR_ST_SU_SY_EESZ_S10_S11_S12_S16_S17_S18_S1B_S1C_jS1D_jS1E_S1E_jjS1G_bEUljE0_EEESZ_S10_S11_S18_S1C_S1E_T6_T7_T9_mT8_S1G_bDpT10_ENKUlT_T0_E_clISt17integral_constantIbLb1EES1U_EEDaS1P_S1Q_EUlS1P_E_NS1_11comp_targetILNS1_3genE2ELNS1_11target_archE906ELNS1_3gpuE6ELNS1_3repE0EEENS1_30default_config_static_selectorELNS0_4arch9wavefront6targetE1EEEvS12_, .Lfunc_end1273-_ZN7rocprim17ROCPRIM_400000_NS6detail17trampoline_kernelINS0_13select_configILj256ELj13ELNS0_17block_load_methodE3ELS4_3ELS4_3ELNS0_20block_scan_algorithmE0ELj4294967295EEENS1_25partition_config_selectorILNS1_17partition_subalgoE4EjNS0_10empty_typeEbEEZZNS1_14partition_implILS8_4ELb0ES6_15HIP_vector_typeIjLj2EENS0_17counting_iteratorIjlEEPS9_SG_NS0_5tupleIJPjSI_NS0_16reverse_iteratorISI_EEEEENSH_IJSG_SG_SG_EEES9_SI_JZNS1_25segmented_radix_sort_implINS0_14default_configELb1EPKfPfPKlPlN2at6native12_GLOBAL__N_18offset_tEEE10hipError_tPvRmT1_PNSt15iterator_traitsIS12_E10value_typeET2_T3_PNS13_IS18_E10value_typeET4_jRbjT5_S1E_jjP12ihipStream_tbEUljE_ZNSN_ISO_Lb1ESQ_SR_ST_SU_SY_EESZ_S10_S11_S12_S16_S17_S18_S1B_S1C_jS1D_jS1E_S1E_jjS1G_bEUljE0_EEESZ_S10_S11_S18_S1C_S1E_T6_T7_T9_mT8_S1G_bDpT10_ENKUlT_T0_E_clISt17integral_constantIbLb1EES1U_EEDaS1P_S1Q_EUlS1P_E_NS1_11comp_targetILNS1_3genE2ELNS1_11target_archE906ELNS1_3gpuE6ELNS1_3repE0EEENS1_30default_config_static_selectorELNS0_4arch9wavefront6targetE1EEEvS12_
                                        ; -- End function
	.set _ZN7rocprim17ROCPRIM_400000_NS6detail17trampoline_kernelINS0_13select_configILj256ELj13ELNS0_17block_load_methodE3ELS4_3ELS4_3ELNS0_20block_scan_algorithmE0ELj4294967295EEENS1_25partition_config_selectorILNS1_17partition_subalgoE4EjNS0_10empty_typeEbEEZZNS1_14partition_implILS8_4ELb0ES6_15HIP_vector_typeIjLj2EENS0_17counting_iteratorIjlEEPS9_SG_NS0_5tupleIJPjSI_NS0_16reverse_iteratorISI_EEEEENSH_IJSG_SG_SG_EEES9_SI_JZNS1_25segmented_radix_sort_implINS0_14default_configELb1EPKfPfPKlPlN2at6native12_GLOBAL__N_18offset_tEEE10hipError_tPvRmT1_PNSt15iterator_traitsIS12_E10value_typeET2_T3_PNS13_IS18_E10value_typeET4_jRbjT5_S1E_jjP12ihipStream_tbEUljE_ZNSN_ISO_Lb1ESQ_SR_ST_SU_SY_EESZ_S10_S11_S12_S16_S17_S18_S1B_S1C_jS1D_jS1E_S1E_jjS1G_bEUljE0_EEESZ_S10_S11_S18_S1C_S1E_T6_T7_T9_mT8_S1G_bDpT10_ENKUlT_T0_E_clISt17integral_constantIbLb1EES1U_EEDaS1P_S1Q_EUlS1P_E_NS1_11comp_targetILNS1_3genE2ELNS1_11target_archE906ELNS1_3gpuE6ELNS1_3repE0EEENS1_30default_config_static_selectorELNS0_4arch9wavefront6targetE1EEEvS12_.num_vgpr, 0
	.set _ZN7rocprim17ROCPRIM_400000_NS6detail17trampoline_kernelINS0_13select_configILj256ELj13ELNS0_17block_load_methodE3ELS4_3ELS4_3ELNS0_20block_scan_algorithmE0ELj4294967295EEENS1_25partition_config_selectorILNS1_17partition_subalgoE4EjNS0_10empty_typeEbEEZZNS1_14partition_implILS8_4ELb0ES6_15HIP_vector_typeIjLj2EENS0_17counting_iteratorIjlEEPS9_SG_NS0_5tupleIJPjSI_NS0_16reverse_iteratorISI_EEEEENSH_IJSG_SG_SG_EEES9_SI_JZNS1_25segmented_radix_sort_implINS0_14default_configELb1EPKfPfPKlPlN2at6native12_GLOBAL__N_18offset_tEEE10hipError_tPvRmT1_PNSt15iterator_traitsIS12_E10value_typeET2_T3_PNS13_IS18_E10value_typeET4_jRbjT5_S1E_jjP12ihipStream_tbEUljE_ZNSN_ISO_Lb1ESQ_SR_ST_SU_SY_EESZ_S10_S11_S12_S16_S17_S18_S1B_S1C_jS1D_jS1E_S1E_jjS1G_bEUljE0_EEESZ_S10_S11_S18_S1C_S1E_T6_T7_T9_mT8_S1G_bDpT10_ENKUlT_T0_E_clISt17integral_constantIbLb1EES1U_EEDaS1P_S1Q_EUlS1P_E_NS1_11comp_targetILNS1_3genE2ELNS1_11target_archE906ELNS1_3gpuE6ELNS1_3repE0EEENS1_30default_config_static_selectorELNS0_4arch9wavefront6targetE1EEEvS12_.num_agpr, 0
	.set _ZN7rocprim17ROCPRIM_400000_NS6detail17trampoline_kernelINS0_13select_configILj256ELj13ELNS0_17block_load_methodE3ELS4_3ELS4_3ELNS0_20block_scan_algorithmE0ELj4294967295EEENS1_25partition_config_selectorILNS1_17partition_subalgoE4EjNS0_10empty_typeEbEEZZNS1_14partition_implILS8_4ELb0ES6_15HIP_vector_typeIjLj2EENS0_17counting_iteratorIjlEEPS9_SG_NS0_5tupleIJPjSI_NS0_16reverse_iteratorISI_EEEEENSH_IJSG_SG_SG_EEES9_SI_JZNS1_25segmented_radix_sort_implINS0_14default_configELb1EPKfPfPKlPlN2at6native12_GLOBAL__N_18offset_tEEE10hipError_tPvRmT1_PNSt15iterator_traitsIS12_E10value_typeET2_T3_PNS13_IS18_E10value_typeET4_jRbjT5_S1E_jjP12ihipStream_tbEUljE_ZNSN_ISO_Lb1ESQ_SR_ST_SU_SY_EESZ_S10_S11_S12_S16_S17_S18_S1B_S1C_jS1D_jS1E_S1E_jjS1G_bEUljE0_EEESZ_S10_S11_S18_S1C_S1E_T6_T7_T9_mT8_S1G_bDpT10_ENKUlT_T0_E_clISt17integral_constantIbLb1EES1U_EEDaS1P_S1Q_EUlS1P_E_NS1_11comp_targetILNS1_3genE2ELNS1_11target_archE906ELNS1_3gpuE6ELNS1_3repE0EEENS1_30default_config_static_selectorELNS0_4arch9wavefront6targetE1EEEvS12_.numbered_sgpr, 0
	.set _ZN7rocprim17ROCPRIM_400000_NS6detail17trampoline_kernelINS0_13select_configILj256ELj13ELNS0_17block_load_methodE3ELS4_3ELS4_3ELNS0_20block_scan_algorithmE0ELj4294967295EEENS1_25partition_config_selectorILNS1_17partition_subalgoE4EjNS0_10empty_typeEbEEZZNS1_14partition_implILS8_4ELb0ES6_15HIP_vector_typeIjLj2EENS0_17counting_iteratorIjlEEPS9_SG_NS0_5tupleIJPjSI_NS0_16reverse_iteratorISI_EEEEENSH_IJSG_SG_SG_EEES9_SI_JZNS1_25segmented_radix_sort_implINS0_14default_configELb1EPKfPfPKlPlN2at6native12_GLOBAL__N_18offset_tEEE10hipError_tPvRmT1_PNSt15iterator_traitsIS12_E10value_typeET2_T3_PNS13_IS18_E10value_typeET4_jRbjT5_S1E_jjP12ihipStream_tbEUljE_ZNSN_ISO_Lb1ESQ_SR_ST_SU_SY_EESZ_S10_S11_S12_S16_S17_S18_S1B_S1C_jS1D_jS1E_S1E_jjS1G_bEUljE0_EEESZ_S10_S11_S18_S1C_S1E_T6_T7_T9_mT8_S1G_bDpT10_ENKUlT_T0_E_clISt17integral_constantIbLb1EES1U_EEDaS1P_S1Q_EUlS1P_E_NS1_11comp_targetILNS1_3genE2ELNS1_11target_archE906ELNS1_3gpuE6ELNS1_3repE0EEENS1_30default_config_static_selectorELNS0_4arch9wavefront6targetE1EEEvS12_.num_named_barrier, 0
	.set _ZN7rocprim17ROCPRIM_400000_NS6detail17trampoline_kernelINS0_13select_configILj256ELj13ELNS0_17block_load_methodE3ELS4_3ELS4_3ELNS0_20block_scan_algorithmE0ELj4294967295EEENS1_25partition_config_selectorILNS1_17partition_subalgoE4EjNS0_10empty_typeEbEEZZNS1_14partition_implILS8_4ELb0ES6_15HIP_vector_typeIjLj2EENS0_17counting_iteratorIjlEEPS9_SG_NS0_5tupleIJPjSI_NS0_16reverse_iteratorISI_EEEEENSH_IJSG_SG_SG_EEES9_SI_JZNS1_25segmented_radix_sort_implINS0_14default_configELb1EPKfPfPKlPlN2at6native12_GLOBAL__N_18offset_tEEE10hipError_tPvRmT1_PNSt15iterator_traitsIS12_E10value_typeET2_T3_PNS13_IS18_E10value_typeET4_jRbjT5_S1E_jjP12ihipStream_tbEUljE_ZNSN_ISO_Lb1ESQ_SR_ST_SU_SY_EESZ_S10_S11_S12_S16_S17_S18_S1B_S1C_jS1D_jS1E_S1E_jjS1G_bEUljE0_EEESZ_S10_S11_S18_S1C_S1E_T6_T7_T9_mT8_S1G_bDpT10_ENKUlT_T0_E_clISt17integral_constantIbLb1EES1U_EEDaS1P_S1Q_EUlS1P_E_NS1_11comp_targetILNS1_3genE2ELNS1_11target_archE906ELNS1_3gpuE6ELNS1_3repE0EEENS1_30default_config_static_selectorELNS0_4arch9wavefront6targetE1EEEvS12_.private_seg_size, 0
	.set _ZN7rocprim17ROCPRIM_400000_NS6detail17trampoline_kernelINS0_13select_configILj256ELj13ELNS0_17block_load_methodE3ELS4_3ELS4_3ELNS0_20block_scan_algorithmE0ELj4294967295EEENS1_25partition_config_selectorILNS1_17partition_subalgoE4EjNS0_10empty_typeEbEEZZNS1_14partition_implILS8_4ELb0ES6_15HIP_vector_typeIjLj2EENS0_17counting_iteratorIjlEEPS9_SG_NS0_5tupleIJPjSI_NS0_16reverse_iteratorISI_EEEEENSH_IJSG_SG_SG_EEES9_SI_JZNS1_25segmented_radix_sort_implINS0_14default_configELb1EPKfPfPKlPlN2at6native12_GLOBAL__N_18offset_tEEE10hipError_tPvRmT1_PNSt15iterator_traitsIS12_E10value_typeET2_T3_PNS13_IS18_E10value_typeET4_jRbjT5_S1E_jjP12ihipStream_tbEUljE_ZNSN_ISO_Lb1ESQ_SR_ST_SU_SY_EESZ_S10_S11_S12_S16_S17_S18_S1B_S1C_jS1D_jS1E_S1E_jjS1G_bEUljE0_EEESZ_S10_S11_S18_S1C_S1E_T6_T7_T9_mT8_S1G_bDpT10_ENKUlT_T0_E_clISt17integral_constantIbLb1EES1U_EEDaS1P_S1Q_EUlS1P_E_NS1_11comp_targetILNS1_3genE2ELNS1_11target_archE906ELNS1_3gpuE6ELNS1_3repE0EEENS1_30default_config_static_selectorELNS0_4arch9wavefront6targetE1EEEvS12_.uses_vcc, 0
	.set _ZN7rocprim17ROCPRIM_400000_NS6detail17trampoline_kernelINS0_13select_configILj256ELj13ELNS0_17block_load_methodE3ELS4_3ELS4_3ELNS0_20block_scan_algorithmE0ELj4294967295EEENS1_25partition_config_selectorILNS1_17partition_subalgoE4EjNS0_10empty_typeEbEEZZNS1_14partition_implILS8_4ELb0ES6_15HIP_vector_typeIjLj2EENS0_17counting_iteratorIjlEEPS9_SG_NS0_5tupleIJPjSI_NS0_16reverse_iteratorISI_EEEEENSH_IJSG_SG_SG_EEES9_SI_JZNS1_25segmented_radix_sort_implINS0_14default_configELb1EPKfPfPKlPlN2at6native12_GLOBAL__N_18offset_tEEE10hipError_tPvRmT1_PNSt15iterator_traitsIS12_E10value_typeET2_T3_PNS13_IS18_E10value_typeET4_jRbjT5_S1E_jjP12ihipStream_tbEUljE_ZNSN_ISO_Lb1ESQ_SR_ST_SU_SY_EESZ_S10_S11_S12_S16_S17_S18_S1B_S1C_jS1D_jS1E_S1E_jjS1G_bEUljE0_EEESZ_S10_S11_S18_S1C_S1E_T6_T7_T9_mT8_S1G_bDpT10_ENKUlT_T0_E_clISt17integral_constantIbLb1EES1U_EEDaS1P_S1Q_EUlS1P_E_NS1_11comp_targetILNS1_3genE2ELNS1_11target_archE906ELNS1_3gpuE6ELNS1_3repE0EEENS1_30default_config_static_selectorELNS0_4arch9wavefront6targetE1EEEvS12_.uses_flat_scratch, 0
	.set _ZN7rocprim17ROCPRIM_400000_NS6detail17trampoline_kernelINS0_13select_configILj256ELj13ELNS0_17block_load_methodE3ELS4_3ELS4_3ELNS0_20block_scan_algorithmE0ELj4294967295EEENS1_25partition_config_selectorILNS1_17partition_subalgoE4EjNS0_10empty_typeEbEEZZNS1_14partition_implILS8_4ELb0ES6_15HIP_vector_typeIjLj2EENS0_17counting_iteratorIjlEEPS9_SG_NS0_5tupleIJPjSI_NS0_16reverse_iteratorISI_EEEEENSH_IJSG_SG_SG_EEES9_SI_JZNS1_25segmented_radix_sort_implINS0_14default_configELb1EPKfPfPKlPlN2at6native12_GLOBAL__N_18offset_tEEE10hipError_tPvRmT1_PNSt15iterator_traitsIS12_E10value_typeET2_T3_PNS13_IS18_E10value_typeET4_jRbjT5_S1E_jjP12ihipStream_tbEUljE_ZNSN_ISO_Lb1ESQ_SR_ST_SU_SY_EESZ_S10_S11_S12_S16_S17_S18_S1B_S1C_jS1D_jS1E_S1E_jjS1G_bEUljE0_EEESZ_S10_S11_S18_S1C_S1E_T6_T7_T9_mT8_S1G_bDpT10_ENKUlT_T0_E_clISt17integral_constantIbLb1EES1U_EEDaS1P_S1Q_EUlS1P_E_NS1_11comp_targetILNS1_3genE2ELNS1_11target_archE906ELNS1_3gpuE6ELNS1_3repE0EEENS1_30default_config_static_selectorELNS0_4arch9wavefront6targetE1EEEvS12_.has_dyn_sized_stack, 0
	.set _ZN7rocprim17ROCPRIM_400000_NS6detail17trampoline_kernelINS0_13select_configILj256ELj13ELNS0_17block_load_methodE3ELS4_3ELS4_3ELNS0_20block_scan_algorithmE0ELj4294967295EEENS1_25partition_config_selectorILNS1_17partition_subalgoE4EjNS0_10empty_typeEbEEZZNS1_14partition_implILS8_4ELb0ES6_15HIP_vector_typeIjLj2EENS0_17counting_iteratorIjlEEPS9_SG_NS0_5tupleIJPjSI_NS0_16reverse_iteratorISI_EEEEENSH_IJSG_SG_SG_EEES9_SI_JZNS1_25segmented_radix_sort_implINS0_14default_configELb1EPKfPfPKlPlN2at6native12_GLOBAL__N_18offset_tEEE10hipError_tPvRmT1_PNSt15iterator_traitsIS12_E10value_typeET2_T3_PNS13_IS18_E10value_typeET4_jRbjT5_S1E_jjP12ihipStream_tbEUljE_ZNSN_ISO_Lb1ESQ_SR_ST_SU_SY_EESZ_S10_S11_S12_S16_S17_S18_S1B_S1C_jS1D_jS1E_S1E_jjS1G_bEUljE0_EEESZ_S10_S11_S18_S1C_S1E_T6_T7_T9_mT8_S1G_bDpT10_ENKUlT_T0_E_clISt17integral_constantIbLb1EES1U_EEDaS1P_S1Q_EUlS1P_E_NS1_11comp_targetILNS1_3genE2ELNS1_11target_archE906ELNS1_3gpuE6ELNS1_3repE0EEENS1_30default_config_static_selectorELNS0_4arch9wavefront6targetE1EEEvS12_.has_recursion, 0
	.set _ZN7rocprim17ROCPRIM_400000_NS6detail17trampoline_kernelINS0_13select_configILj256ELj13ELNS0_17block_load_methodE3ELS4_3ELS4_3ELNS0_20block_scan_algorithmE0ELj4294967295EEENS1_25partition_config_selectorILNS1_17partition_subalgoE4EjNS0_10empty_typeEbEEZZNS1_14partition_implILS8_4ELb0ES6_15HIP_vector_typeIjLj2EENS0_17counting_iteratorIjlEEPS9_SG_NS0_5tupleIJPjSI_NS0_16reverse_iteratorISI_EEEEENSH_IJSG_SG_SG_EEES9_SI_JZNS1_25segmented_radix_sort_implINS0_14default_configELb1EPKfPfPKlPlN2at6native12_GLOBAL__N_18offset_tEEE10hipError_tPvRmT1_PNSt15iterator_traitsIS12_E10value_typeET2_T3_PNS13_IS18_E10value_typeET4_jRbjT5_S1E_jjP12ihipStream_tbEUljE_ZNSN_ISO_Lb1ESQ_SR_ST_SU_SY_EESZ_S10_S11_S12_S16_S17_S18_S1B_S1C_jS1D_jS1E_S1E_jjS1G_bEUljE0_EEESZ_S10_S11_S18_S1C_S1E_T6_T7_T9_mT8_S1G_bDpT10_ENKUlT_T0_E_clISt17integral_constantIbLb1EES1U_EEDaS1P_S1Q_EUlS1P_E_NS1_11comp_targetILNS1_3genE2ELNS1_11target_archE906ELNS1_3gpuE6ELNS1_3repE0EEENS1_30default_config_static_selectorELNS0_4arch9wavefront6targetE1EEEvS12_.has_indirect_call, 0
	.section	.AMDGPU.csdata,"",@progbits
; Kernel info:
; codeLenInByte = 4
; TotalNumSgprs: 4
; NumVgprs: 0
; ScratchSize: 0
; MemoryBound: 0
; FloatMode: 240
; IeeeMode: 1
; LDSByteSize: 0 bytes/workgroup (compile time only)
; SGPRBlocks: 0
; VGPRBlocks: 0
; NumSGPRsForWavesPerEU: 4
; NumVGPRsForWavesPerEU: 1
; Occupancy: 10
; WaveLimiterHint : 0
; COMPUTE_PGM_RSRC2:SCRATCH_EN: 0
; COMPUTE_PGM_RSRC2:USER_SGPR: 6
; COMPUTE_PGM_RSRC2:TRAP_HANDLER: 0
; COMPUTE_PGM_RSRC2:TGID_X_EN: 1
; COMPUTE_PGM_RSRC2:TGID_Y_EN: 0
; COMPUTE_PGM_RSRC2:TGID_Z_EN: 0
; COMPUTE_PGM_RSRC2:TIDIG_COMP_CNT: 0
	.section	.text._ZN7rocprim17ROCPRIM_400000_NS6detail17trampoline_kernelINS0_13select_configILj256ELj13ELNS0_17block_load_methodE3ELS4_3ELS4_3ELNS0_20block_scan_algorithmE0ELj4294967295EEENS1_25partition_config_selectorILNS1_17partition_subalgoE4EjNS0_10empty_typeEbEEZZNS1_14partition_implILS8_4ELb0ES6_15HIP_vector_typeIjLj2EENS0_17counting_iteratorIjlEEPS9_SG_NS0_5tupleIJPjSI_NS0_16reverse_iteratorISI_EEEEENSH_IJSG_SG_SG_EEES9_SI_JZNS1_25segmented_radix_sort_implINS0_14default_configELb1EPKfPfPKlPlN2at6native12_GLOBAL__N_18offset_tEEE10hipError_tPvRmT1_PNSt15iterator_traitsIS12_E10value_typeET2_T3_PNS13_IS18_E10value_typeET4_jRbjT5_S1E_jjP12ihipStream_tbEUljE_ZNSN_ISO_Lb1ESQ_SR_ST_SU_SY_EESZ_S10_S11_S12_S16_S17_S18_S1B_S1C_jS1D_jS1E_S1E_jjS1G_bEUljE0_EEESZ_S10_S11_S18_S1C_S1E_T6_T7_T9_mT8_S1G_bDpT10_ENKUlT_T0_E_clISt17integral_constantIbLb1EES1U_EEDaS1P_S1Q_EUlS1P_E_NS1_11comp_targetILNS1_3genE10ELNS1_11target_archE1200ELNS1_3gpuE4ELNS1_3repE0EEENS1_30default_config_static_selectorELNS0_4arch9wavefront6targetE1EEEvS12_,"axG",@progbits,_ZN7rocprim17ROCPRIM_400000_NS6detail17trampoline_kernelINS0_13select_configILj256ELj13ELNS0_17block_load_methodE3ELS4_3ELS4_3ELNS0_20block_scan_algorithmE0ELj4294967295EEENS1_25partition_config_selectorILNS1_17partition_subalgoE4EjNS0_10empty_typeEbEEZZNS1_14partition_implILS8_4ELb0ES6_15HIP_vector_typeIjLj2EENS0_17counting_iteratorIjlEEPS9_SG_NS0_5tupleIJPjSI_NS0_16reverse_iteratorISI_EEEEENSH_IJSG_SG_SG_EEES9_SI_JZNS1_25segmented_radix_sort_implINS0_14default_configELb1EPKfPfPKlPlN2at6native12_GLOBAL__N_18offset_tEEE10hipError_tPvRmT1_PNSt15iterator_traitsIS12_E10value_typeET2_T3_PNS13_IS18_E10value_typeET4_jRbjT5_S1E_jjP12ihipStream_tbEUljE_ZNSN_ISO_Lb1ESQ_SR_ST_SU_SY_EESZ_S10_S11_S12_S16_S17_S18_S1B_S1C_jS1D_jS1E_S1E_jjS1G_bEUljE0_EEESZ_S10_S11_S18_S1C_S1E_T6_T7_T9_mT8_S1G_bDpT10_ENKUlT_T0_E_clISt17integral_constantIbLb1EES1U_EEDaS1P_S1Q_EUlS1P_E_NS1_11comp_targetILNS1_3genE10ELNS1_11target_archE1200ELNS1_3gpuE4ELNS1_3repE0EEENS1_30default_config_static_selectorELNS0_4arch9wavefront6targetE1EEEvS12_,comdat
	.globl	_ZN7rocprim17ROCPRIM_400000_NS6detail17trampoline_kernelINS0_13select_configILj256ELj13ELNS0_17block_load_methodE3ELS4_3ELS4_3ELNS0_20block_scan_algorithmE0ELj4294967295EEENS1_25partition_config_selectorILNS1_17partition_subalgoE4EjNS0_10empty_typeEbEEZZNS1_14partition_implILS8_4ELb0ES6_15HIP_vector_typeIjLj2EENS0_17counting_iteratorIjlEEPS9_SG_NS0_5tupleIJPjSI_NS0_16reverse_iteratorISI_EEEEENSH_IJSG_SG_SG_EEES9_SI_JZNS1_25segmented_radix_sort_implINS0_14default_configELb1EPKfPfPKlPlN2at6native12_GLOBAL__N_18offset_tEEE10hipError_tPvRmT1_PNSt15iterator_traitsIS12_E10value_typeET2_T3_PNS13_IS18_E10value_typeET4_jRbjT5_S1E_jjP12ihipStream_tbEUljE_ZNSN_ISO_Lb1ESQ_SR_ST_SU_SY_EESZ_S10_S11_S12_S16_S17_S18_S1B_S1C_jS1D_jS1E_S1E_jjS1G_bEUljE0_EEESZ_S10_S11_S18_S1C_S1E_T6_T7_T9_mT8_S1G_bDpT10_ENKUlT_T0_E_clISt17integral_constantIbLb1EES1U_EEDaS1P_S1Q_EUlS1P_E_NS1_11comp_targetILNS1_3genE10ELNS1_11target_archE1200ELNS1_3gpuE4ELNS1_3repE0EEENS1_30default_config_static_selectorELNS0_4arch9wavefront6targetE1EEEvS12_ ; -- Begin function _ZN7rocprim17ROCPRIM_400000_NS6detail17trampoline_kernelINS0_13select_configILj256ELj13ELNS0_17block_load_methodE3ELS4_3ELS4_3ELNS0_20block_scan_algorithmE0ELj4294967295EEENS1_25partition_config_selectorILNS1_17partition_subalgoE4EjNS0_10empty_typeEbEEZZNS1_14partition_implILS8_4ELb0ES6_15HIP_vector_typeIjLj2EENS0_17counting_iteratorIjlEEPS9_SG_NS0_5tupleIJPjSI_NS0_16reverse_iteratorISI_EEEEENSH_IJSG_SG_SG_EEES9_SI_JZNS1_25segmented_radix_sort_implINS0_14default_configELb1EPKfPfPKlPlN2at6native12_GLOBAL__N_18offset_tEEE10hipError_tPvRmT1_PNSt15iterator_traitsIS12_E10value_typeET2_T3_PNS13_IS18_E10value_typeET4_jRbjT5_S1E_jjP12ihipStream_tbEUljE_ZNSN_ISO_Lb1ESQ_SR_ST_SU_SY_EESZ_S10_S11_S12_S16_S17_S18_S1B_S1C_jS1D_jS1E_S1E_jjS1G_bEUljE0_EEESZ_S10_S11_S18_S1C_S1E_T6_T7_T9_mT8_S1G_bDpT10_ENKUlT_T0_E_clISt17integral_constantIbLb1EES1U_EEDaS1P_S1Q_EUlS1P_E_NS1_11comp_targetILNS1_3genE10ELNS1_11target_archE1200ELNS1_3gpuE4ELNS1_3repE0EEENS1_30default_config_static_selectorELNS0_4arch9wavefront6targetE1EEEvS12_
	.p2align	8
	.type	_ZN7rocprim17ROCPRIM_400000_NS6detail17trampoline_kernelINS0_13select_configILj256ELj13ELNS0_17block_load_methodE3ELS4_3ELS4_3ELNS0_20block_scan_algorithmE0ELj4294967295EEENS1_25partition_config_selectorILNS1_17partition_subalgoE4EjNS0_10empty_typeEbEEZZNS1_14partition_implILS8_4ELb0ES6_15HIP_vector_typeIjLj2EENS0_17counting_iteratorIjlEEPS9_SG_NS0_5tupleIJPjSI_NS0_16reverse_iteratorISI_EEEEENSH_IJSG_SG_SG_EEES9_SI_JZNS1_25segmented_radix_sort_implINS0_14default_configELb1EPKfPfPKlPlN2at6native12_GLOBAL__N_18offset_tEEE10hipError_tPvRmT1_PNSt15iterator_traitsIS12_E10value_typeET2_T3_PNS13_IS18_E10value_typeET4_jRbjT5_S1E_jjP12ihipStream_tbEUljE_ZNSN_ISO_Lb1ESQ_SR_ST_SU_SY_EESZ_S10_S11_S12_S16_S17_S18_S1B_S1C_jS1D_jS1E_S1E_jjS1G_bEUljE0_EEESZ_S10_S11_S18_S1C_S1E_T6_T7_T9_mT8_S1G_bDpT10_ENKUlT_T0_E_clISt17integral_constantIbLb1EES1U_EEDaS1P_S1Q_EUlS1P_E_NS1_11comp_targetILNS1_3genE10ELNS1_11target_archE1200ELNS1_3gpuE4ELNS1_3repE0EEENS1_30default_config_static_selectorELNS0_4arch9wavefront6targetE1EEEvS12_,@function
_ZN7rocprim17ROCPRIM_400000_NS6detail17trampoline_kernelINS0_13select_configILj256ELj13ELNS0_17block_load_methodE3ELS4_3ELS4_3ELNS0_20block_scan_algorithmE0ELj4294967295EEENS1_25partition_config_selectorILNS1_17partition_subalgoE4EjNS0_10empty_typeEbEEZZNS1_14partition_implILS8_4ELb0ES6_15HIP_vector_typeIjLj2EENS0_17counting_iteratorIjlEEPS9_SG_NS0_5tupleIJPjSI_NS0_16reverse_iteratorISI_EEEEENSH_IJSG_SG_SG_EEES9_SI_JZNS1_25segmented_radix_sort_implINS0_14default_configELb1EPKfPfPKlPlN2at6native12_GLOBAL__N_18offset_tEEE10hipError_tPvRmT1_PNSt15iterator_traitsIS12_E10value_typeET2_T3_PNS13_IS18_E10value_typeET4_jRbjT5_S1E_jjP12ihipStream_tbEUljE_ZNSN_ISO_Lb1ESQ_SR_ST_SU_SY_EESZ_S10_S11_S12_S16_S17_S18_S1B_S1C_jS1D_jS1E_S1E_jjS1G_bEUljE0_EEESZ_S10_S11_S18_S1C_S1E_T6_T7_T9_mT8_S1G_bDpT10_ENKUlT_T0_E_clISt17integral_constantIbLb1EES1U_EEDaS1P_S1Q_EUlS1P_E_NS1_11comp_targetILNS1_3genE10ELNS1_11target_archE1200ELNS1_3gpuE4ELNS1_3repE0EEENS1_30default_config_static_selectorELNS0_4arch9wavefront6targetE1EEEvS12_: ; @_ZN7rocprim17ROCPRIM_400000_NS6detail17trampoline_kernelINS0_13select_configILj256ELj13ELNS0_17block_load_methodE3ELS4_3ELS4_3ELNS0_20block_scan_algorithmE0ELj4294967295EEENS1_25partition_config_selectorILNS1_17partition_subalgoE4EjNS0_10empty_typeEbEEZZNS1_14partition_implILS8_4ELb0ES6_15HIP_vector_typeIjLj2EENS0_17counting_iteratorIjlEEPS9_SG_NS0_5tupleIJPjSI_NS0_16reverse_iteratorISI_EEEEENSH_IJSG_SG_SG_EEES9_SI_JZNS1_25segmented_radix_sort_implINS0_14default_configELb1EPKfPfPKlPlN2at6native12_GLOBAL__N_18offset_tEEE10hipError_tPvRmT1_PNSt15iterator_traitsIS12_E10value_typeET2_T3_PNS13_IS18_E10value_typeET4_jRbjT5_S1E_jjP12ihipStream_tbEUljE_ZNSN_ISO_Lb1ESQ_SR_ST_SU_SY_EESZ_S10_S11_S12_S16_S17_S18_S1B_S1C_jS1D_jS1E_S1E_jjS1G_bEUljE0_EEESZ_S10_S11_S18_S1C_S1E_T6_T7_T9_mT8_S1G_bDpT10_ENKUlT_T0_E_clISt17integral_constantIbLb1EES1U_EEDaS1P_S1Q_EUlS1P_E_NS1_11comp_targetILNS1_3genE10ELNS1_11target_archE1200ELNS1_3gpuE4ELNS1_3repE0EEENS1_30default_config_static_selectorELNS0_4arch9wavefront6targetE1EEEvS12_
; %bb.0:
	.section	.rodata,"a",@progbits
	.p2align	6, 0x0
	.amdhsa_kernel _ZN7rocprim17ROCPRIM_400000_NS6detail17trampoline_kernelINS0_13select_configILj256ELj13ELNS0_17block_load_methodE3ELS4_3ELS4_3ELNS0_20block_scan_algorithmE0ELj4294967295EEENS1_25partition_config_selectorILNS1_17partition_subalgoE4EjNS0_10empty_typeEbEEZZNS1_14partition_implILS8_4ELb0ES6_15HIP_vector_typeIjLj2EENS0_17counting_iteratorIjlEEPS9_SG_NS0_5tupleIJPjSI_NS0_16reverse_iteratorISI_EEEEENSH_IJSG_SG_SG_EEES9_SI_JZNS1_25segmented_radix_sort_implINS0_14default_configELb1EPKfPfPKlPlN2at6native12_GLOBAL__N_18offset_tEEE10hipError_tPvRmT1_PNSt15iterator_traitsIS12_E10value_typeET2_T3_PNS13_IS18_E10value_typeET4_jRbjT5_S1E_jjP12ihipStream_tbEUljE_ZNSN_ISO_Lb1ESQ_SR_ST_SU_SY_EESZ_S10_S11_S12_S16_S17_S18_S1B_S1C_jS1D_jS1E_S1E_jjS1G_bEUljE0_EEESZ_S10_S11_S18_S1C_S1E_T6_T7_T9_mT8_S1G_bDpT10_ENKUlT_T0_E_clISt17integral_constantIbLb1EES1U_EEDaS1P_S1Q_EUlS1P_E_NS1_11comp_targetILNS1_3genE10ELNS1_11target_archE1200ELNS1_3gpuE4ELNS1_3repE0EEENS1_30default_config_static_selectorELNS0_4arch9wavefront6targetE1EEEvS12_
		.amdhsa_group_segment_fixed_size 0
		.amdhsa_private_segment_fixed_size 0
		.amdhsa_kernarg_size 184
		.amdhsa_user_sgpr_count 6
		.amdhsa_user_sgpr_private_segment_buffer 1
		.amdhsa_user_sgpr_dispatch_ptr 0
		.amdhsa_user_sgpr_queue_ptr 0
		.amdhsa_user_sgpr_kernarg_segment_ptr 1
		.amdhsa_user_sgpr_dispatch_id 0
		.amdhsa_user_sgpr_flat_scratch_init 0
		.amdhsa_user_sgpr_private_segment_size 0
		.amdhsa_uses_dynamic_stack 0
		.amdhsa_system_sgpr_private_segment_wavefront_offset 0
		.amdhsa_system_sgpr_workgroup_id_x 1
		.amdhsa_system_sgpr_workgroup_id_y 0
		.amdhsa_system_sgpr_workgroup_id_z 0
		.amdhsa_system_sgpr_workgroup_info 0
		.amdhsa_system_vgpr_workitem_id 0
		.amdhsa_next_free_vgpr 1
		.amdhsa_next_free_sgpr 0
		.amdhsa_reserve_vcc 0
		.amdhsa_reserve_flat_scratch 0
		.amdhsa_float_round_mode_32 0
		.amdhsa_float_round_mode_16_64 0
		.amdhsa_float_denorm_mode_32 3
		.amdhsa_float_denorm_mode_16_64 3
		.amdhsa_dx10_clamp 1
		.amdhsa_ieee_mode 1
		.amdhsa_fp16_overflow 0
		.amdhsa_exception_fp_ieee_invalid_op 0
		.amdhsa_exception_fp_denorm_src 0
		.amdhsa_exception_fp_ieee_div_zero 0
		.amdhsa_exception_fp_ieee_overflow 0
		.amdhsa_exception_fp_ieee_underflow 0
		.amdhsa_exception_fp_ieee_inexact 0
		.amdhsa_exception_int_div_zero 0
	.end_amdhsa_kernel
	.section	.text._ZN7rocprim17ROCPRIM_400000_NS6detail17trampoline_kernelINS0_13select_configILj256ELj13ELNS0_17block_load_methodE3ELS4_3ELS4_3ELNS0_20block_scan_algorithmE0ELj4294967295EEENS1_25partition_config_selectorILNS1_17partition_subalgoE4EjNS0_10empty_typeEbEEZZNS1_14partition_implILS8_4ELb0ES6_15HIP_vector_typeIjLj2EENS0_17counting_iteratorIjlEEPS9_SG_NS0_5tupleIJPjSI_NS0_16reverse_iteratorISI_EEEEENSH_IJSG_SG_SG_EEES9_SI_JZNS1_25segmented_radix_sort_implINS0_14default_configELb1EPKfPfPKlPlN2at6native12_GLOBAL__N_18offset_tEEE10hipError_tPvRmT1_PNSt15iterator_traitsIS12_E10value_typeET2_T3_PNS13_IS18_E10value_typeET4_jRbjT5_S1E_jjP12ihipStream_tbEUljE_ZNSN_ISO_Lb1ESQ_SR_ST_SU_SY_EESZ_S10_S11_S12_S16_S17_S18_S1B_S1C_jS1D_jS1E_S1E_jjS1G_bEUljE0_EEESZ_S10_S11_S18_S1C_S1E_T6_T7_T9_mT8_S1G_bDpT10_ENKUlT_T0_E_clISt17integral_constantIbLb1EES1U_EEDaS1P_S1Q_EUlS1P_E_NS1_11comp_targetILNS1_3genE10ELNS1_11target_archE1200ELNS1_3gpuE4ELNS1_3repE0EEENS1_30default_config_static_selectorELNS0_4arch9wavefront6targetE1EEEvS12_,"axG",@progbits,_ZN7rocprim17ROCPRIM_400000_NS6detail17trampoline_kernelINS0_13select_configILj256ELj13ELNS0_17block_load_methodE3ELS4_3ELS4_3ELNS0_20block_scan_algorithmE0ELj4294967295EEENS1_25partition_config_selectorILNS1_17partition_subalgoE4EjNS0_10empty_typeEbEEZZNS1_14partition_implILS8_4ELb0ES6_15HIP_vector_typeIjLj2EENS0_17counting_iteratorIjlEEPS9_SG_NS0_5tupleIJPjSI_NS0_16reverse_iteratorISI_EEEEENSH_IJSG_SG_SG_EEES9_SI_JZNS1_25segmented_radix_sort_implINS0_14default_configELb1EPKfPfPKlPlN2at6native12_GLOBAL__N_18offset_tEEE10hipError_tPvRmT1_PNSt15iterator_traitsIS12_E10value_typeET2_T3_PNS13_IS18_E10value_typeET4_jRbjT5_S1E_jjP12ihipStream_tbEUljE_ZNSN_ISO_Lb1ESQ_SR_ST_SU_SY_EESZ_S10_S11_S12_S16_S17_S18_S1B_S1C_jS1D_jS1E_S1E_jjS1G_bEUljE0_EEESZ_S10_S11_S18_S1C_S1E_T6_T7_T9_mT8_S1G_bDpT10_ENKUlT_T0_E_clISt17integral_constantIbLb1EES1U_EEDaS1P_S1Q_EUlS1P_E_NS1_11comp_targetILNS1_3genE10ELNS1_11target_archE1200ELNS1_3gpuE4ELNS1_3repE0EEENS1_30default_config_static_selectorELNS0_4arch9wavefront6targetE1EEEvS12_,comdat
.Lfunc_end1274:
	.size	_ZN7rocprim17ROCPRIM_400000_NS6detail17trampoline_kernelINS0_13select_configILj256ELj13ELNS0_17block_load_methodE3ELS4_3ELS4_3ELNS0_20block_scan_algorithmE0ELj4294967295EEENS1_25partition_config_selectorILNS1_17partition_subalgoE4EjNS0_10empty_typeEbEEZZNS1_14partition_implILS8_4ELb0ES6_15HIP_vector_typeIjLj2EENS0_17counting_iteratorIjlEEPS9_SG_NS0_5tupleIJPjSI_NS0_16reverse_iteratorISI_EEEEENSH_IJSG_SG_SG_EEES9_SI_JZNS1_25segmented_radix_sort_implINS0_14default_configELb1EPKfPfPKlPlN2at6native12_GLOBAL__N_18offset_tEEE10hipError_tPvRmT1_PNSt15iterator_traitsIS12_E10value_typeET2_T3_PNS13_IS18_E10value_typeET4_jRbjT5_S1E_jjP12ihipStream_tbEUljE_ZNSN_ISO_Lb1ESQ_SR_ST_SU_SY_EESZ_S10_S11_S12_S16_S17_S18_S1B_S1C_jS1D_jS1E_S1E_jjS1G_bEUljE0_EEESZ_S10_S11_S18_S1C_S1E_T6_T7_T9_mT8_S1G_bDpT10_ENKUlT_T0_E_clISt17integral_constantIbLb1EES1U_EEDaS1P_S1Q_EUlS1P_E_NS1_11comp_targetILNS1_3genE10ELNS1_11target_archE1200ELNS1_3gpuE4ELNS1_3repE0EEENS1_30default_config_static_selectorELNS0_4arch9wavefront6targetE1EEEvS12_, .Lfunc_end1274-_ZN7rocprim17ROCPRIM_400000_NS6detail17trampoline_kernelINS0_13select_configILj256ELj13ELNS0_17block_load_methodE3ELS4_3ELS4_3ELNS0_20block_scan_algorithmE0ELj4294967295EEENS1_25partition_config_selectorILNS1_17partition_subalgoE4EjNS0_10empty_typeEbEEZZNS1_14partition_implILS8_4ELb0ES6_15HIP_vector_typeIjLj2EENS0_17counting_iteratorIjlEEPS9_SG_NS0_5tupleIJPjSI_NS0_16reverse_iteratorISI_EEEEENSH_IJSG_SG_SG_EEES9_SI_JZNS1_25segmented_radix_sort_implINS0_14default_configELb1EPKfPfPKlPlN2at6native12_GLOBAL__N_18offset_tEEE10hipError_tPvRmT1_PNSt15iterator_traitsIS12_E10value_typeET2_T3_PNS13_IS18_E10value_typeET4_jRbjT5_S1E_jjP12ihipStream_tbEUljE_ZNSN_ISO_Lb1ESQ_SR_ST_SU_SY_EESZ_S10_S11_S12_S16_S17_S18_S1B_S1C_jS1D_jS1E_S1E_jjS1G_bEUljE0_EEESZ_S10_S11_S18_S1C_S1E_T6_T7_T9_mT8_S1G_bDpT10_ENKUlT_T0_E_clISt17integral_constantIbLb1EES1U_EEDaS1P_S1Q_EUlS1P_E_NS1_11comp_targetILNS1_3genE10ELNS1_11target_archE1200ELNS1_3gpuE4ELNS1_3repE0EEENS1_30default_config_static_selectorELNS0_4arch9wavefront6targetE1EEEvS12_
                                        ; -- End function
	.set _ZN7rocprim17ROCPRIM_400000_NS6detail17trampoline_kernelINS0_13select_configILj256ELj13ELNS0_17block_load_methodE3ELS4_3ELS4_3ELNS0_20block_scan_algorithmE0ELj4294967295EEENS1_25partition_config_selectorILNS1_17partition_subalgoE4EjNS0_10empty_typeEbEEZZNS1_14partition_implILS8_4ELb0ES6_15HIP_vector_typeIjLj2EENS0_17counting_iteratorIjlEEPS9_SG_NS0_5tupleIJPjSI_NS0_16reverse_iteratorISI_EEEEENSH_IJSG_SG_SG_EEES9_SI_JZNS1_25segmented_radix_sort_implINS0_14default_configELb1EPKfPfPKlPlN2at6native12_GLOBAL__N_18offset_tEEE10hipError_tPvRmT1_PNSt15iterator_traitsIS12_E10value_typeET2_T3_PNS13_IS18_E10value_typeET4_jRbjT5_S1E_jjP12ihipStream_tbEUljE_ZNSN_ISO_Lb1ESQ_SR_ST_SU_SY_EESZ_S10_S11_S12_S16_S17_S18_S1B_S1C_jS1D_jS1E_S1E_jjS1G_bEUljE0_EEESZ_S10_S11_S18_S1C_S1E_T6_T7_T9_mT8_S1G_bDpT10_ENKUlT_T0_E_clISt17integral_constantIbLb1EES1U_EEDaS1P_S1Q_EUlS1P_E_NS1_11comp_targetILNS1_3genE10ELNS1_11target_archE1200ELNS1_3gpuE4ELNS1_3repE0EEENS1_30default_config_static_selectorELNS0_4arch9wavefront6targetE1EEEvS12_.num_vgpr, 0
	.set _ZN7rocprim17ROCPRIM_400000_NS6detail17trampoline_kernelINS0_13select_configILj256ELj13ELNS0_17block_load_methodE3ELS4_3ELS4_3ELNS0_20block_scan_algorithmE0ELj4294967295EEENS1_25partition_config_selectorILNS1_17partition_subalgoE4EjNS0_10empty_typeEbEEZZNS1_14partition_implILS8_4ELb0ES6_15HIP_vector_typeIjLj2EENS0_17counting_iteratorIjlEEPS9_SG_NS0_5tupleIJPjSI_NS0_16reverse_iteratorISI_EEEEENSH_IJSG_SG_SG_EEES9_SI_JZNS1_25segmented_radix_sort_implINS0_14default_configELb1EPKfPfPKlPlN2at6native12_GLOBAL__N_18offset_tEEE10hipError_tPvRmT1_PNSt15iterator_traitsIS12_E10value_typeET2_T3_PNS13_IS18_E10value_typeET4_jRbjT5_S1E_jjP12ihipStream_tbEUljE_ZNSN_ISO_Lb1ESQ_SR_ST_SU_SY_EESZ_S10_S11_S12_S16_S17_S18_S1B_S1C_jS1D_jS1E_S1E_jjS1G_bEUljE0_EEESZ_S10_S11_S18_S1C_S1E_T6_T7_T9_mT8_S1G_bDpT10_ENKUlT_T0_E_clISt17integral_constantIbLb1EES1U_EEDaS1P_S1Q_EUlS1P_E_NS1_11comp_targetILNS1_3genE10ELNS1_11target_archE1200ELNS1_3gpuE4ELNS1_3repE0EEENS1_30default_config_static_selectorELNS0_4arch9wavefront6targetE1EEEvS12_.num_agpr, 0
	.set _ZN7rocprim17ROCPRIM_400000_NS6detail17trampoline_kernelINS0_13select_configILj256ELj13ELNS0_17block_load_methodE3ELS4_3ELS4_3ELNS0_20block_scan_algorithmE0ELj4294967295EEENS1_25partition_config_selectorILNS1_17partition_subalgoE4EjNS0_10empty_typeEbEEZZNS1_14partition_implILS8_4ELb0ES6_15HIP_vector_typeIjLj2EENS0_17counting_iteratorIjlEEPS9_SG_NS0_5tupleIJPjSI_NS0_16reverse_iteratorISI_EEEEENSH_IJSG_SG_SG_EEES9_SI_JZNS1_25segmented_radix_sort_implINS0_14default_configELb1EPKfPfPKlPlN2at6native12_GLOBAL__N_18offset_tEEE10hipError_tPvRmT1_PNSt15iterator_traitsIS12_E10value_typeET2_T3_PNS13_IS18_E10value_typeET4_jRbjT5_S1E_jjP12ihipStream_tbEUljE_ZNSN_ISO_Lb1ESQ_SR_ST_SU_SY_EESZ_S10_S11_S12_S16_S17_S18_S1B_S1C_jS1D_jS1E_S1E_jjS1G_bEUljE0_EEESZ_S10_S11_S18_S1C_S1E_T6_T7_T9_mT8_S1G_bDpT10_ENKUlT_T0_E_clISt17integral_constantIbLb1EES1U_EEDaS1P_S1Q_EUlS1P_E_NS1_11comp_targetILNS1_3genE10ELNS1_11target_archE1200ELNS1_3gpuE4ELNS1_3repE0EEENS1_30default_config_static_selectorELNS0_4arch9wavefront6targetE1EEEvS12_.numbered_sgpr, 0
	.set _ZN7rocprim17ROCPRIM_400000_NS6detail17trampoline_kernelINS0_13select_configILj256ELj13ELNS0_17block_load_methodE3ELS4_3ELS4_3ELNS0_20block_scan_algorithmE0ELj4294967295EEENS1_25partition_config_selectorILNS1_17partition_subalgoE4EjNS0_10empty_typeEbEEZZNS1_14partition_implILS8_4ELb0ES6_15HIP_vector_typeIjLj2EENS0_17counting_iteratorIjlEEPS9_SG_NS0_5tupleIJPjSI_NS0_16reverse_iteratorISI_EEEEENSH_IJSG_SG_SG_EEES9_SI_JZNS1_25segmented_radix_sort_implINS0_14default_configELb1EPKfPfPKlPlN2at6native12_GLOBAL__N_18offset_tEEE10hipError_tPvRmT1_PNSt15iterator_traitsIS12_E10value_typeET2_T3_PNS13_IS18_E10value_typeET4_jRbjT5_S1E_jjP12ihipStream_tbEUljE_ZNSN_ISO_Lb1ESQ_SR_ST_SU_SY_EESZ_S10_S11_S12_S16_S17_S18_S1B_S1C_jS1D_jS1E_S1E_jjS1G_bEUljE0_EEESZ_S10_S11_S18_S1C_S1E_T6_T7_T9_mT8_S1G_bDpT10_ENKUlT_T0_E_clISt17integral_constantIbLb1EES1U_EEDaS1P_S1Q_EUlS1P_E_NS1_11comp_targetILNS1_3genE10ELNS1_11target_archE1200ELNS1_3gpuE4ELNS1_3repE0EEENS1_30default_config_static_selectorELNS0_4arch9wavefront6targetE1EEEvS12_.num_named_barrier, 0
	.set _ZN7rocprim17ROCPRIM_400000_NS6detail17trampoline_kernelINS0_13select_configILj256ELj13ELNS0_17block_load_methodE3ELS4_3ELS4_3ELNS0_20block_scan_algorithmE0ELj4294967295EEENS1_25partition_config_selectorILNS1_17partition_subalgoE4EjNS0_10empty_typeEbEEZZNS1_14partition_implILS8_4ELb0ES6_15HIP_vector_typeIjLj2EENS0_17counting_iteratorIjlEEPS9_SG_NS0_5tupleIJPjSI_NS0_16reverse_iteratorISI_EEEEENSH_IJSG_SG_SG_EEES9_SI_JZNS1_25segmented_radix_sort_implINS0_14default_configELb1EPKfPfPKlPlN2at6native12_GLOBAL__N_18offset_tEEE10hipError_tPvRmT1_PNSt15iterator_traitsIS12_E10value_typeET2_T3_PNS13_IS18_E10value_typeET4_jRbjT5_S1E_jjP12ihipStream_tbEUljE_ZNSN_ISO_Lb1ESQ_SR_ST_SU_SY_EESZ_S10_S11_S12_S16_S17_S18_S1B_S1C_jS1D_jS1E_S1E_jjS1G_bEUljE0_EEESZ_S10_S11_S18_S1C_S1E_T6_T7_T9_mT8_S1G_bDpT10_ENKUlT_T0_E_clISt17integral_constantIbLb1EES1U_EEDaS1P_S1Q_EUlS1P_E_NS1_11comp_targetILNS1_3genE10ELNS1_11target_archE1200ELNS1_3gpuE4ELNS1_3repE0EEENS1_30default_config_static_selectorELNS0_4arch9wavefront6targetE1EEEvS12_.private_seg_size, 0
	.set _ZN7rocprim17ROCPRIM_400000_NS6detail17trampoline_kernelINS0_13select_configILj256ELj13ELNS0_17block_load_methodE3ELS4_3ELS4_3ELNS0_20block_scan_algorithmE0ELj4294967295EEENS1_25partition_config_selectorILNS1_17partition_subalgoE4EjNS0_10empty_typeEbEEZZNS1_14partition_implILS8_4ELb0ES6_15HIP_vector_typeIjLj2EENS0_17counting_iteratorIjlEEPS9_SG_NS0_5tupleIJPjSI_NS0_16reverse_iteratorISI_EEEEENSH_IJSG_SG_SG_EEES9_SI_JZNS1_25segmented_radix_sort_implINS0_14default_configELb1EPKfPfPKlPlN2at6native12_GLOBAL__N_18offset_tEEE10hipError_tPvRmT1_PNSt15iterator_traitsIS12_E10value_typeET2_T3_PNS13_IS18_E10value_typeET4_jRbjT5_S1E_jjP12ihipStream_tbEUljE_ZNSN_ISO_Lb1ESQ_SR_ST_SU_SY_EESZ_S10_S11_S12_S16_S17_S18_S1B_S1C_jS1D_jS1E_S1E_jjS1G_bEUljE0_EEESZ_S10_S11_S18_S1C_S1E_T6_T7_T9_mT8_S1G_bDpT10_ENKUlT_T0_E_clISt17integral_constantIbLb1EES1U_EEDaS1P_S1Q_EUlS1P_E_NS1_11comp_targetILNS1_3genE10ELNS1_11target_archE1200ELNS1_3gpuE4ELNS1_3repE0EEENS1_30default_config_static_selectorELNS0_4arch9wavefront6targetE1EEEvS12_.uses_vcc, 0
	.set _ZN7rocprim17ROCPRIM_400000_NS6detail17trampoline_kernelINS0_13select_configILj256ELj13ELNS0_17block_load_methodE3ELS4_3ELS4_3ELNS0_20block_scan_algorithmE0ELj4294967295EEENS1_25partition_config_selectorILNS1_17partition_subalgoE4EjNS0_10empty_typeEbEEZZNS1_14partition_implILS8_4ELb0ES6_15HIP_vector_typeIjLj2EENS0_17counting_iteratorIjlEEPS9_SG_NS0_5tupleIJPjSI_NS0_16reverse_iteratorISI_EEEEENSH_IJSG_SG_SG_EEES9_SI_JZNS1_25segmented_radix_sort_implINS0_14default_configELb1EPKfPfPKlPlN2at6native12_GLOBAL__N_18offset_tEEE10hipError_tPvRmT1_PNSt15iterator_traitsIS12_E10value_typeET2_T3_PNS13_IS18_E10value_typeET4_jRbjT5_S1E_jjP12ihipStream_tbEUljE_ZNSN_ISO_Lb1ESQ_SR_ST_SU_SY_EESZ_S10_S11_S12_S16_S17_S18_S1B_S1C_jS1D_jS1E_S1E_jjS1G_bEUljE0_EEESZ_S10_S11_S18_S1C_S1E_T6_T7_T9_mT8_S1G_bDpT10_ENKUlT_T0_E_clISt17integral_constantIbLb1EES1U_EEDaS1P_S1Q_EUlS1P_E_NS1_11comp_targetILNS1_3genE10ELNS1_11target_archE1200ELNS1_3gpuE4ELNS1_3repE0EEENS1_30default_config_static_selectorELNS0_4arch9wavefront6targetE1EEEvS12_.uses_flat_scratch, 0
	.set _ZN7rocprim17ROCPRIM_400000_NS6detail17trampoline_kernelINS0_13select_configILj256ELj13ELNS0_17block_load_methodE3ELS4_3ELS4_3ELNS0_20block_scan_algorithmE0ELj4294967295EEENS1_25partition_config_selectorILNS1_17partition_subalgoE4EjNS0_10empty_typeEbEEZZNS1_14partition_implILS8_4ELb0ES6_15HIP_vector_typeIjLj2EENS0_17counting_iteratorIjlEEPS9_SG_NS0_5tupleIJPjSI_NS0_16reverse_iteratorISI_EEEEENSH_IJSG_SG_SG_EEES9_SI_JZNS1_25segmented_radix_sort_implINS0_14default_configELb1EPKfPfPKlPlN2at6native12_GLOBAL__N_18offset_tEEE10hipError_tPvRmT1_PNSt15iterator_traitsIS12_E10value_typeET2_T3_PNS13_IS18_E10value_typeET4_jRbjT5_S1E_jjP12ihipStream_tbEUljE_ZNSN_ISO_Lb1ESQ_SR_ST_SU_SY_EESZ_S10_S11_S12_S16_S17_S18_S1B_S1C_jS1D_jS1E_S1E_jjS1G_bEUljE0_EEESZ_S10_S11_S18_S1C_S1E_T6_T7_T9_mT8_S1G_bDpT10_ENKUlT_T0_E_clISt17integral_constantIbLb1EES1U_EEDaS1P_S1Q_EUlS1P_E_NS1_11comp_targetILNS1_3genE10ELNS1_11target_archE1200ELNS1_3gpuE4ELNS1_3repE0EEENS1_30default_config_static_selectorELNS0_4arch9wavefront6targetE1EEEvS12_.has_dyn_sized_stack, 0
	.set _ZN7rocprim17ROCPRIM_400000_NS6detail17trampoline_kernelINS0_13select_configILj256ELj13ELNS0_17block_load_methodE3ELS4_3ELS4_3ELNS0_20block_scan_algorithmE0ELj4294967295EEENS1_25partition_config_selectorILNS1_17partition_subalgoE4EjNS0_10empty_typeEbEEZZNS1_14partition_implILS8_4ELb0ES6_15HIP_vector_typeIjLj2EENS0_17counting_iteratorIjlEEPS9_SG_NS0_5tupleIJPjSI_NS0_16reverse_iteratorISI_EEEEENSH_IJSG_SG_SG_EEES9_SI_JZNS1_25segmented_radix_sort_implINS0_14default_configELb1EPKfPfPKlPlN2at6native12_GLOBAL__N_18offset_tEEE10hipError_tPvRmT1_PNSt15iterator_traitsIS12_E10value_typeET2_T3_PNS13_IS18_E10value_typeET4_jRbjT5_S1E_jjP12ihipStream_tbEUljE_ZNSN_ISO_Lb1ESQ_SR_ST_SU_SY_EESZ_S10_S11_S12_S16_S17_S18_S1B_S1C_jS1D_jS1E_S1E_jjS1G_bEUljE0_EEESZ_S10_S11_S18_S1C_S1E_T6_T7_T9_mT8_S1G_bDpT10_ENKUlT_T0_E_clISt17integral_constantIbLb1EES1U_EEDaS1P_S1Q_EUlS1P_E_NS1_11comp_targetILNS1_3genE10ELNS1_11target_archE1200ELNS1_3gpuE4ELNS1_3repE0EEENS1_30default_config_static_selectorELNS0_4arch9wavefront6targetE1EEEvS12_.has_recursion, 0
	.set _ZN7rocprim17ROCPRIM_400000_NS6detail17trampoline_kernelINS0_13select_configILj256ELj13ELNS0_17block_load_methodE3ELS4_3ELS4_3ELNS0_20block_scan_algorithmE0ELj4294967295EEENS1_25partition_config_selectorILNS1_17partition_subalgoE4EjNS0_10empty_typeEbEEZZNS1_14partition_implILS8_4ELb0ES6_15HIP_vector_typeIjLj2EENS0_17counting_iteratorIjlEEPS9_SG_NS0_5tupleIJPjSI_NS0_16reverse_iteratorISI_EEEEENSH_IJSG_SG_SG_EEES9_SI_JZNS1_25segmented_radix_sort_implINS0_14default_configELb1EPKfPfPKlPlN2at6native12_GLOBAL__N_18offset_tEEE10hipError_tPvRmT1_PNSt15iterator_traitsIS12_E10value_typeET2_T3_PNS13_IS18_E10value_typeET4_jRbjT5_S1E_jjP12ihipStream_tbEUljE_ZNSN_ISO_Lb1ESQ_SR_ST_SU_SY_EESZ_S10_S11_S12_S16_S17_S18_S1B_S1C_jS1D_jS1E_S1E_jjS1G_bEUljE0_EEESZ_S10_S11_S18_S1C_S1E_T6_T7_T9_mT8_S1G_bDpT10_ENKUlT_T0_E_clISt17integral_constantIbLb1EES1U_EEDaS1P_S1Q_EUlS1P_E_NS1_11comp_targetILNS1_3genE10ELNS1_11target_archE1200ELNS1_3gpuE4ELNS1_3repE0EEENS1_30default_config_static_selectorELNS0_4arch9wavefront6targetE1EEEvS12_.has_indirect_call, 0
	.section	.AMDGPU.csdata,"",@progbits
; Kernel info:
; codeLenInByte = 0
; TotalNumSgprs: 4
; NumVgprs: 0
; ScratchSize: 0
; MemoryBound: 0
; FloatMode: 240
; IeeeMode: 1
; LDSByteSize: 0 bytes/workgroup (compile time only)
; SGPRBlocks: 0
; VGPRBlocks: 0
; NumSGPRsForWavesPerEU: 4
; NumVGPRsForWavesPerEU: 1
; Occupancy: 10
; WaveLimiterHint : 0
; COMPUTE_PGM_RSRC2:SCRATCH_EN: 0
; COMPUTE_PGM_RSRC2:USER_SGPR: 6
; COMPUTE_PGM_RSRC2:TRAP_HANDLER: 0
; COMPUTE_PGM_RSRC2:TGID_X_EN: 1
; COMPUTE_PGM_RSRC2:TGID_Y_EN: 0
; COMPUTE_PGM_RSRC2:TGID_Z_EN: 0
; COMPUTE_PGM_RSRC2:TIDIG_COMP_CNT: 0
	.section	.text._ZN7rocprim17ROCPRIM_400000_NS6detail17trampoline_kernelINS0_13select_configILj256ELj13ELNS0_17block_load_methodE3ELS4_3ELS4_3ELNS0_20block_scan_algorithmE0ELj4294967295EEENS1_25partition_config_selectorILNS1_17partition_subalgoE4EjNS0_10empty_typeEbEEZZNS1_14partition_implILS8_4ELb0ES6_15HIP_vector_typeIjLj2EENS0_17counting_iteratorIjlEEPS9_SG_NS0_5tupleIJPjSI_NS0_16reverse_iteratorISI_EEEEENSH_IJSG_SG_SG_EEES9_SI_JZNS1_25segmented_radix_sort_implINS0_14default_configELb1EPKfPfPKlPlN2at6native12_GLOBAL__N_18offset_tEEE10hipError_tPvRmT1_PNSt15iterator_traitsIS12_E10value_typeET2_T3_PNS13_IS18_E10value_typeET4_jRbjT5_S1E_jjP12ihipStream_tbEUljE_ZNSN_ISO_Lb1ESQ_SR_ST_SU_SY_EESZ_S10_S11_S12_S16_S17_S18_S1B_S1C_jS1D_jS1E_S1E_jjS1G_bEUljE0_EEESZ_S10_S11_S18_S1C_S1E_T6_T7_T9_mT8_S1G_bDpT10_ENKUlT_T0_E_clISt17integral_constantIbLb1EES1U_EEDaS1P_S1Q_EUlS1P_E_NS1_11comp_targetILNS1_3genE9ELNS1_11target_archE1100ELNS1_3gpuE3ELNS1_3repE0EEENS1_30default_config_static_selectorELNS0_4arch9wavefront6targetE1EEEvS12_,"axG",@progbits,_ZN7rocprim17ROCPRIM_400000_NS6detail17trampoline_kernelINS0_13select_configILj256ELj13ELNS0_17block_load_methodE3ELS4_3ELS4_3ELNS0_20block_scan_algorithmE0ELj4294967295EEENS1_25partition_config_selectorILNS1_17partition_subalgoE4EjNS0_10empty_typeEbEEZZNS1_14partition_implILS8_4ELb0ES6_15HIP_vector_typeIjLj2EENS0_17counting_iteratorIjlEEPS9_SG_NS0_5tupleIJPjSI_NS0_16reverse_iteratorISI_EEEEENSH_IJSG_SG_SG_EEES9_SI_JZNS1_25segmented_radix_sort_implINS0_14default_configELb1EPKfPfPKlPlN2at6native12_GLOBAL__N_18offset_tEEE10hipError_tPvRmT1_PNSt15iterator_traitsIS12_E10value_typeET2_T3_PNS13_IS18_E10value_typeET4_jRbjT5_S1E_jjP12ihipStream_tbEUljE_ZNSN_ISO_Lb1ESQ_SR_ST_SU_SY_EESZ_S10_S11_S12_S16_S17_S18_S1B_S1C_jS1D_jS1E_S1E_jjS1G_bEUljE0_EEESZ_S10_S11_S18_S1C_S1E_T6_T7_T9_mT8_S1G_bDpT10_ENKUlT_T0_E_clISt17integral_constantIbLb1EES1U_EEDaS1P_S1Q_EUlS1P_E_NS1_11comp_targetILNS1_3genE9ELNS1_11target_archE1100ELNS1_3gpuE3ELNS1_3repE0EEENS1_30default_config_static_selectorELNS0_4arch9wavefront6targetE1EEEvS12_,comdat
	.globl	_ZN7rocprim17ROCPRIM_400000_NS6detail17trampoline_kernelINS0_13select_configILj256ELj13ELNS0_17block_load_methodE3ELS4_3ELS4_3ELNS0_20block_scan_algorithmE0ELj4294967295EEENS1_25partition_config_selectorILNS1_17partition_subalgoE4EjNS0_10empty_typeEbEEZZNS1_14partition_implILS8_4ELb0ES6_15HIP_vector_typeIjLj2EENS0_17counting_iteratorIjlEEPS9_SG_NS0_5tupleIJPjSI_NS0_16reverse_iteratorISI_EEEEENSH_IJSG_SG_SG_EEES9_SI_JZNS1_25segmented_radix_sort_implINS0_14default_configELb1EPKfPfPKlPlN2at6native12_GLOBAL__N_18offset_tEEE10hipError_tPvRmT1_PNSt15iterator_traitsIS12_E10value_typeET2_T3_PNS13_IS18_E10value_typeET4_jRbjT5_S1E_jjP12ihipStream_tbEUljE_ZNSN_ISO_Lb1ESQ_SR_ST_SU_SY_EESZ_S10_S11_S12_S16_S17_S18_S1B_S1C_jS1D_jS1E_S1E_jjS1G_bEUljE0_EEESZ_S10_S11_S18_S1C_S1E_T6_T7_T9_mT8_S1G_bDpT10_ENKUlT_T0_E_clISt17integral_constantIbLb1EES1U_EEDaS1P_S1Q_EUlS1P_E_NS1_11comp_targetILNS1_3genE9ELNS1_11target_archE1100ELNS1_3gpuE3ELNS1_3repE0EEENS1_30default_config_static_selectorELNS0_4arch9wavefront6targetE1EEEvS12_ ; -- Begin function _ZN7rocprim17ROCPRIM_400000_NS6detail17trampoline_kernelINS0_13select_configILj256ELj13ELNS0_17block_load_methodE3ELS4_3ELS4_3ELNS0_20block_scan_algorithmE0ELj4294967295EEENS1_25partition_config_selectorILNS1_17partition_subalgoE4EjNS0_10empty_typeEbEEZZNS1_14partition_implILS8_4ELb0ES6_15HIP_vector_typeIjLj2EENS0_17counting_iteratorIjlEEPS9_SG_NS0_5tupleIJPjSI_NS0_16reverse_iteratorISI_EEEEENSH_IJSG_SG_SG_EEES9_SI_JZNS1_25segmented_radix_sort_implINS0_14default_configELb1EPKfPfPKlPlN2at6native12_GLOBAL__N_18offset_tEEE10hipError_tPvRmT1_PNSt15iterator_traitsIS12_E10value_typeET2_T3_PNS13_IS18_E10value_typeET4_jRbjT5_S1E_jjP12ihipStream_tbEUljE_ZNSN_ISO_Lb1ESQ_SR_ST_SU_SY_EESZ_S10_S11_S12_S16_S17_S18_S1B_S1C_jS1D_jS1E_S1E_jjS1G_bEUljE0_EEESZ_S10_S11_S18_S1C_S1E_T6_T7_T9_mT8_S1G_bDpT10_ENKUlT_T0_E_clISt17integral_constantIbLb1EES1U_EEDaS1P_S1Q_EUlS1P_E_NS1_11comp_targetILNS1_3genE9ELNS1_11target_archE1100ELNS1_3gpuE3ELNS1_3repE0EEENS1_30default_config_static_selectorELNS0_4arch9wavefront6targetE1EEEvS12_
	.p2align	8
	.type	_ZN7rocprim17ROCPRIM_400000_NS6detail17trampoline_kernelINS0_13select_configILj256ELj13ELNS0_17block_load_methodE3ELS4_3ELS4_3ELNS0_20block_scan_algorithmE0ELj4294967295EEENS1_25partition_config_selectorILNS1_17partition_subalgoE4EjNS0_10empty_typeEbEEZZNS1_14partition_implILS8_4ELb0ES6_15HIP_vector_typeIjLj2EENS0_17counting_iteratorIjlEEPS9_SG_NS0_5tupleIJPjSI_NS0_16reverse_iteratorISI_EEEEENSH_IJSG_SG_SG_EEES9_SI_JZNS1_25segmented_radix_sort_implINS0_14default_configELb1EPKfPfPKlPlN2at6native12_GLOBAL__N_18offset_tEEE10hipError_tPvRmT1_PNSt15iterator_traitsIS12_E10value_typeET2_T3_PNS13_IS18_E10value_typeET4_jRbjT5_S1E_jjP12ihipStream_tbEUljE_ZNSN_ISO_Lb1ESQ_SR_ST_SU_SY_EESZ_S10_S11_S12_S16_S17_S18_S1B_S1C_jS1D_jS1E_S1E_jjS1G_bEUljE0_EEESZ_S10_S11_S18_S1C_S1E_T6_T7_T9_mT8_S1G_bDpT10_ENKUlT_T0_E_clISt17integral_constantIbLb1EES1U_EEDaS1P_S1Q_EUlS1P_E_NS1_11comp_targetILNS1_3genE9ELNS1_11target_archE1100ELNS1_3gpuE3ELNS1_3repE0EEENS1_30default_config_static_selectorELNS0_4arch9wavefront6targetE1EEEvS12_,@function
_ZN7rocprim17ROCPRIM_400000_NS6detail17trampoline_kernelINS0_13select_configILj256ELj13ELNS0_17block_load_methodE3ELS4_3ELS4_3ELNS0_20block_scan_algorithmE0ELj4294967295EEENS1_25partition_config_selectorILNS1_17partition_subalgoE4EjNS0_10empty_typeEbEEZZNS1_14partition_implILS8_4ELb0ES6_15HIP_vector_typeIjLj2EENS0_17counting_iteratorIjlEEPS9_SG_NS0_5tupleIJPjSI_NS0_16reverse_iteratorISI_EEEEENSH_IJSG_SG_SG_EEES9_SI_JZNS1_25segmented_radix_sort_implINS0_14default_configELb1EPKfPfPKlPlN2at6native12_GLOBAL__N_18offset_tEEE10hipError_tPvRmT1_PNSt15iterator_traitsIS12_E10value_typeET2_T3_PNS13_IS18_E10value_typeET4_jRbjT5_S1E_jjP12ihipStream_tbEUljE_ZNSN_ISO_Lb1ESQ_SR_ST_SU_SY_EESZ_S10_S11_S12_S16_S17_S18_S1B_S1C_jS1D_jS1E_S1E_jjS1G_bEUljE0_EEESZ_S10_S11_S18_S1C_S1E_T6_T7_T9_mT8_S1G_bDpT10_ENKUlT_T0_E_clISt17integral_constantIbLb1EES1U_EEDaS1P_S1Q_EUlS1P_E_NS1_11comp_targetILNS1_3genE9ELNS1_11target_archE1100ELNS1_3gpuE3ELNS1_3repE0EEENS1_30default_config_static_selectorELNS0_4arch9wavefront6targetE1EEEvS12_: ; @_ZN7rocprim17ROCPRIM_400000_NS6detail17trampoline_kernelINS0_13select_configILj256ELj13ELNS0_17block_load_methodE3ELS4_3ELS4_3ELNS0_20block_scan_algorithmE0ELj4294967295EEENS1_25partition_config_selectorILNS1_17partition_subalgoE4EjNS0_10empty_typeEbEEZZNS1_14partition_implILS8_4ELb0ES6_15HIP_vector_typeIjLj2EENS0_17counting_iteratorIjlEEPS9_SG_NS0_5tupleIJPjSI_NS0_16reverse_iteratorISI_EEEEENSH_IJSG_SG_SG_EEES9_SI_JZNS1_25segmented_radix_sort_implINS0_14default_configELb1EPKfPfPKlPlN2at6native12_GLOBAL__N_18offset_tEEE10hipError_tPvRmT1_PNSt15iterator_traitsIS12_E10value_typeET2_T3_PNS13_IS18_E10value_typeET4_jRbjT5_S1E_jjP12ihipStream_tbEUljE_ZNSN_ISO_Lb1ESQ_SR_ST_SU_SY_EESZ_S10_S11_S12_S16_S17_S18_S1B_S1C_jS1D_jS1E_S1E_jjS1G_bEUljE0_EEESZ_S10_S11_S18_S1C_S1E_T6_T7_T9_mT8_S1G_bDpT10_ENKUlT_T0_E_clISt17integral_constantIbLb1EES1U_EEDaS1P_S1Q_EUlS1P_E_NS1_11comp_targetILNS1_3genE9ELNS1_11target_archE1100ELNS1_3gpuE3ELNS1_3repE0EEENS1_30default_config_static_selectorELNS0_4arch9wavefront6targetE1EEEvS12_
; %bb.0:
	.section	.rodata,"a",@progbits
	.p2align	6, 0x0
	.amdhsa_kernel _ZN7rocprim17ROCPRIM_400000_NS6detail17trampoline_kernelINS0_13select_configILj256ELj13ELNS0_17block_load_methodE3ELS4_3ELS4_3ELNS0_20block_scan_algorithmE0ELj4294967295EEENS1_25partition_config_selectorILNS1_17partition_subalgoE4EjNS0_10empty_typeEbEEZZNS1_14partition_implILS8_4ELb0ES6_15HIP_vector_typeIjLj2EENS0_17counting_iteratorIjlEEPS9_SG_NS0_5tupleIJPjSI_NS0_16reverse_iteratorISI_EEEEENSH_IJSG_SG_SG_EEES9_SI_JZNS1_25segmented_radix_sort_implINS0_14default_configELb1EPKfPfPKlPlN2at6native12_GLOBAL__N_18offset_tEEE10hipError_tPvRmT1_PNSt15iterator_traitsIS12_E10value_typeET2_T3_PNS13_IS18_E10value_typeET4_jRbjT5_S1E_jjP12ihipStream_tbEUljE_ZNSN_ISO_Lb1ESQ_SR_ST_SU_SY_EESZ_S10_S11_S12_S16_S17_S18_S1B_S1C_jS1D_jS1E_S1E_jjS1G_bEUljE0_EEESZ_S10_S11_S18_S1C_S1E_T6_T7_T9_mT8_S1G_bDpT10_ENKUlT_T0_E_clISt17integral_constantIbLb1EES1U_EEDaS1P_S1Q_EUlS1P_E_NS1_11comp_targetILNS1_3genE9ELNS1_11target_archE1100ELNS1_3gpuE3ELNS1_3repE0EEENS1_30default_config_static_selectorELNS0_4arch9wavefront6targetE1EEEvS12_
		.amdhsa_group_segment_fixed_size 0
		.amdhsa_private_segment_fixed_size 0
		.amdhsa_kernarg_size 184
		.amdhsa_user_sgpr_count 6
		.amdhsa_user_sgpr_private_segment_buffer 1
		.amdhsa_user_sgpr_dispatch_ptr 0
		.amdhsa_user_sgpr_queue_ptr 0
		.amdhsa_user_sgpr_kernarg_segment_ptr 1
		.amdhsa_user_sgpr_dispatch_id 0
		.amdhsa_user_sgpr_flat_scratch_init 0
		.amdhsa_user_sgpr_private_segment_size 0
		.amdhsa_uses_dynamic_stack 0
		.amdhsa_system_sgpr_private_segment_wavefront_offset 0
		.amdhsa_system_sgpr_workgroup_id_x 1
		.amdhsa_system_sgpr_workgroup_id_y 0
		.amdhsa_system_sgpr_workgroup_id_z 0
		.amdhsa_system_sgpr_workgroup_info 0
		.amdhsa_system_vgpr_workitem_id 0
		.amdhsa_next_free_vgpr 1
		.amdhsa_next_free_sgpr 0
		.amdhsa_reserve_vcc 0
		.amdhsa_reserve_flat_scratch 0
		.amdhsa_float_round_mode_32 0
		.amdhsa_float_round_mode_16_64 0
		.amdhsa_float_denorm_mode_32 3
		.amdhsa_float_denorm_mode_16_64 3
		.amdhsa_dx10_clamp 1
		.amdhsa_ieee_mode 1
		.amdhsa_fp16_overflow 0
		.amdhsa_exception_fp_ieee_invalid_op 0
		.amdhsa_exception_fp_denorm_src 0
		.amdhsa_exception_fp_ieee_div_zero 0
		.amdhsa_exception_fp_ieee_overflow 0
		.amdhsa_exception_fp_ieee_underflow 0
		.amdhsa_exception_fp_ieee_inexact 0
		.amdhsa_exception_int_div_zero 0
	.end_amdhsa_kernel
	.section	.text._ZN7rocprim17ROCPRIM_400000_NS6detail17trampoline_kernelINS0_13select_configILj256ELj13ELNS0_17block_load_methodE3ELS4_3ELS4_3ELNS0_20block_scan_algorithmE0ELj4294967295EEENS1_25partition_config_selectorILNS1_17partition_subalgoE4EjNS0_10empty_typeEbEEZZNS1_14partition_implILS8_4ELb0ES6_15HIP_vector_typeIjLj2EENS0_17counting_iteratorIjlEEPS9_SG_NS0_5tupleIJPjSI_NS0_16reverse_iteratorISI_EEEEENSH_IJSG_SG_SG_EEES9_SI_JZNS1_25segmented_radix_sort_implINS0_14default_configELb1EPKfPfPKlPlN2at6native12_GLOBAL__N_18offset_tEEE10hipError_tPvRmT1_PNSt15iterator_traitsIS12_E10value_typeET2_T3_PNS13_IS18_E10value_typeET4_jRbjT5_S1E_jjP12ihipStream_tbEUljE_ZNSN_ISO_Lb1ESQ_SR_ST_SU_SY_EESZ_S10_S11_S12_S16_S17_S18_S1B_S1C_jS1D_jS1E_S1E_jjS1G_bEUljE0_EEESZ_S10_S11_S18_S1C_S1E_T6_T7_T9_mT8_S1G_bDpT10_ENKUlT_T0_E_clISt17integral_constantIbLb1EES1U_EEDaS1P_S1Q_EUlS1P_E_NS1_11comp_targetILNS1_3genE9ELNS1_11target_archE1100ELNS1_3gpuE3ELNS1_3repE0EEENS1_30default_config_static_selectorELNS0_4arch9wavefront6targetE1EEEvS12_,"axG",@progbits,_ZN7rocprim17ROCPRIM_400000_NS6detail17trampoline_kernelINS0_13select_configILj256ELj13ELNS0_17block_load_methodE3ELS4_3ELS4_3ELNS0_20block_scan_algorithmE0ELj4294967295EEENS1_25partition_config_selectorILNS1_17partition_subalgoE4EjNS0_10empty_typeEbEEZZNS1_14partition_implILS8_4ELb0ES6_15HIP_vector_typeIjLj2EENS0_17counting_iteratorIjlEEPS9_SG_NS0_5tupleIJPjSI_NS0_16reverse_iteratorISI_EEEEENSH_IJSG_SG_SG_EEES9_SI_JZNS1_25segmented_radix_sort_implINS0_14default_configELb1EPKfPfPKlPlN2at6native12_GLOBAL__N_18offset_tEEE10hipError_tPvRmT1_PNSt15iterator_traitsIS12_E10value_typeET2_T3_PNS13_IS18_E10value_typeET4_jRbjT5_S1E_jjP12ihipStream_tbEUljE_ZNSN_ISO_Lb1ESQ_SR_ST_SU_SY_EESZ_S10_S11_S12_S16_S17_S18_S1B_S1C_jS1D_jS1E_S1E_jjS1G_bEUljE0_EEESZ_S10_S11_S18_S1C_S1E_T6_T7_T9_mT8_S1G_bDpT10_ENKUlT_T0_E_clISt17integral_constantIbLb1EES1U_EEDaS1P_S1Q_EUlS1P_E_NS1_11comp_targetILNS1_3genE9ELNS1_11target_archE1100ELNS1_3gpuE3ELNS1_3repE0EEENS1_30default_config_static_selectorELNS0_4arch9wavefront6targetE1EEEvS12_,comdat
.Lfunc_end1275:
	.size	_ZN7rocprim17ROCPRIM_400000_NS6detail17trampoline_kernelINS0_13select_configILj256ELj13ELNS0_17block_load_methodE3ELS4_3ELS4_3ELNS0_20block_scan_algorithmE0ELj4294967295EEENS1_25partition_config_selectorILNS1_17partition_subalgoE4EjNS0_10empty_typeEbEEZZNS1_14partition_implILS8_4ELb0ES6_15HIP_vector_typeIjLj2EENS0_17counting_iteratorIjlEEPS9_SG_NS0_5tupleIJPjSI_NS0_16reverse_iteratorISI_EEEEENSH_IJSG_SG_SG_EEES9_SI_JZNS1_25segmented_radix_sort_implINS0_14default_configELb1EPKfPfPKlPlN2at6native12_GLOBAL__N_18offset_tEEE10hipError_tPvRmT1_PNSt15iterator_traitsIS12_E10value_typeET2_T3_PNS13_IS18_E10value_typeET4_jRbjT5_S1E_jjP12ihipStream_tbEUljE_ZNSN_ISO_Lb1ESQ_SR_ST_SU_SY_EESZ_S10_S11_S12_S16_S17_S18_S1B_S1C_jS1D_jS1E_S1E_jjS1G_bEUljE0_EEESZ_S10_S11_S18_S1C_S1E_T6_T7_T9_mT8_S1G_bDpT10_ENKUlT_T0_E_clISt17integral_constantIbLb1EES1U_EEDaS1P_S1Q_EUlS1P_E_NS1_11comp_targetILNS1_3genE9ELNS1_11target_archE1100ELNS1_3gpuE3ELNS1_3repE0EEENS1_30default_config_static_selectorELNS0_4arch9wavefront6targetE1EEEvS12_, .Lfunc_end1275-_ZN7rocprim17ROCPRIM_400000_NS6detail17trampoline_kernelINS0_13select_configILj256ELj13ELNS0_17block_load_methodE3ELS4_3ELS4_3ELNS0_20block_scan_algorithmE0ELj4294967295EEENS1_25partition_config_selectorILNS1_17partition_subalgoE4EjNS0_10empty_typeEbEEZZNS1_14partition_implILS8_4ELb0ES6_15HIP_vector_typeIjLj2EENS0_17counting_iteratorIjlEEPS9_SG_NS0_5tupleIJPjSI_NS0_16reverse_iteratorISI_EEEEENSH_IJSG_SG_SG_EEES9_SI_JZNS1_25segmented_radix_sort_implINS0_14default_configELb1EPKfPfPKlPlN2at6native12_GLOBAL__N_18offset_tEEE10hipError_tPvRmT1_PNSt15iterator_traitsIS12_E10value_typeET2_T3_PNS13_IS18_E10value_typeET4_jRbjT5_S1E_jjP12ihipStream_tbEUljE_ZNSN_ISO_Lb1ESQ_SR_ST_SU_SY_EESZ_S10_S11_S12_S16_S17_S18_S1B_S1C_jS1D_jS1E_S1E_jjS1G_bEUljE0_EEESZ_S10_S11_S18_S1C_S1E_T6_T7_T9_mT8_S1G_bDpT10_ENKUlT_T0_E_clISt17integral_constantIbLb1EES1U_EEDaS1P_S1Q_EUlS1P_E_NS1_11comp_targetILNS1_3genE9ELNS1_11target_archE1100ELNS1_3gpuE3ELNS1_3repE0EEENS1_30default_config_static_selectorELNS0_4arch9wavefront6targetE1EEEvS12_
                                        ; -- End function
	.set _ZN7rocprim17ROCPRIM_400000_NS6detail17trampoline_kernelINS0_13select_configILj256ELj13ELNS0_17block_load_methodE3ELS4_3ELS4_3ELNS0_20block_scan_algorithmE0ELj4294967295EEENS1_25partition_config_selectorILNS1_17partition_subalgoE4EjNS0_10empty_typeEbEEZZNS1_14partition_implILS8_4ELb0ES6_15HIP_vector_typeIjLj2EENS0_17counting_iteratorIjlEEPS9_SG_NS0_5tupleIJPjSI_NS0_16reverse_iteratorISI_EEEEENSH_IJSG_SG_SG_EEES9_SI_JZNS1_25segmented_radix_sort_implINS0_14default_configELb1EPKfPfPKlPlN2at6native12_GLOBAL__N_18offset_tEEE10hipError_tPvRmT1_PNSt15iterator_traitsIS12_E10value_typeET2_T3_PNS13_IS18_E10value_typeET4_jRbjT5_S1E_jjP12ihipStream_tbEUljE_ZNSN_ISO_Lb1ESQ_SR_ST_SU_SY_EESZ_S10_S11_S12_S16_S17_S18_S1B_S1C_jS1D_jS1E_S1E_jjS1G_bEUljE0_EEESZ_S10_S11_S18_S1C_S1E_T6_T7_T9_mT8_S1G_bDpT10_ENKUlT_T0_E_clISt17integral_constantIbLb1EES1U_EEDaS1P_S1Q_EUlS1P_E_NS1_11comp_targetILNS1_3genE9ELNS1_11target_archE1100ELNS1_3gpuE3ELNS1_3repE0EEENS1_30default_config_static_selectorELNS0_4arch9wavefront6targetE1EEEvS12_.num_vgpr, 0
	.set _ZN7rocprim17ROCPRIM_400000_NS6detail17trampoline_kernelINS0_13select_configILj256ELj13ELNS0_17block_load_methodE3ELS4_3ELS4_3ELNS0_20block_scan_algorithmE0ELj4294967295EEENS1_25partition_config_selectorILNS1_17partition_subalgoE4EjNS0_10empty_typeEbEEZZNS1_14partition_implILS8_4ELb0ES6_15HIP_vector_typeIjLj2EENS0_17counting_iteratorIjlEEPS9_SG_NS0_5tupleIJPjSI_NS0_16reverse_iteratorISI_EEEEENSH_IJSG_SG_SG_EEES9_SI_JZNS1_25segmented_radix_sort_implINS0_14default_configELb1EPKfPfPKlPlN2at6native12_GLOBAL__N_18offset_tEEE10hipError_tPvRmT1_PNSt15iterator_traitsIS12_E10value_typeET2_T3_PNS13_IS18_E10value_typeET4_jRbjT5_S1E_jjP12ihipStream_tbEUljE_ZNSN_ISO_Lb1ESQ_SR_ST_SU_SY_EESZ_S10_S11_S12_S16_S17_S18_S1B_S1C_jS1D_jS1E_S1E_jjS1G_bEUljE0_EEESZ_S10_S11_S18_S1C_S1E_T6_T7_T9_mT8_S1G_bDpT10_ENKUlT_T0_E_clISt17integral_constantIbLb1EES1U_EEDaS1P_S1Q_EUlS1P_E_NS1_11comp_targetILNS1_3genE9ELNS1_11target_archE1100ELNS1_3gpuE3ELNS1_3repE0EEENS1_30default_config_static_selectorELNS0_4arch9wavefront6targetE1EEEvS12_.num_agpr, 0
	.set _ZN7rocprim17ROCPRIM_400000_NS6detail17trampoline_kernelINS0_13select_configILj256ELj13ELNS0_17block_load_methodE3ELS4_3ELS4_3ELNS0_20block_scan_algorithmE0ELj4294967295EEENS1_25partition_config_selectorILNS1_17partition_subalgoE4EjNS0_10empty_typeEbEEZZNS1_14partition_implILS8_4ELb0ES6_15HIP_vector_typeIjLj2EENS0_17counting_iteratorIjlEEPS9_SG_NS0_5tupleIJPjSI_NS0_16reverse_iteratorISI_EEEEENSH_IJSG_SG_SG_EEES9_SI_JZNS1_25segmented_radix_sort_implINS0_14default_configELb1EPKfPfPKlPlN2at6native12_GLOBAL__N_18offset_tEEE10hipError_tPvRmT1_PNSt15iterator_traitsIS12_E10value_typeET2_T3_PNS13_IS18_E10value_typeET4_jRbjT5_S1E_jjP12ihipStream_tbEUljE_ZNSN_ISO_Lb1ESQ_SR_ST_SU_SY_EESZ_S10_S11_S12_S16_S17_S18_S1B_S1C_jS1D_jS1E_S1E_jjS1G_bEUljE0_EEESZ_S10_S11_S18_S1C_S1E_T6_T7_T9_mT8_S1G_bDpT10_ENKUlT_T0_E_clISt17integral_constantIbLb1EES1U_EEDaS1P_S1Q_EUlS1P_E_NS1_11comp_targetILNS1_3genE9ELNS1_11target_archE1100ELNS1_3gpuE3ELNS1_3repE0EEENS1_30default_config_static_selectorELNS0_4arch9wavefront6targetE1EEEvS12_.numbered_sgpr, 0
	.set _ZN7rocprim17ROCPRIM_400000_NS6detail17trampoline_kernelINS0_13select_configILj256ELj13ELNS0_17block_load_methodE3ELS4_3ELS4_3ELNS0_20block_scan_algorithmE0ELj4294967295EEENS1_25partition_config_selectorILNS1_17partition_subalgoE4EjNS0_10empty_typeEbEEZZNS1_14partition_implILS8_4ELb0ES6_15HIP_vector_typeIjLj2EENS0_17counting_iteratorIjlEEPS9_SG_NS0_5tupleIJPjSI_NS0_16reverse_iteratorISI_EEEEENSH_IJSG_SG_SG_EEES9_SI_JZNS1_25segmented_radix_sort_implINS0_14default_configELb1EPKfPfPKlPlN2at6native12_GLOBAL__N_18offset_tEEE10hipError_tPvRmT1_PNSt15iterator_traitsIS12_E10value_typeET2_T3_PNS13_IS18_E10value_typeET4_jRbjT5_S1E_jjP12ihipStream_tbEUljE_ZNSN_ISO_Lb1ESQ_SR_ST_SU_SY_EESZ_S10_S11_S12_S16_S17_S18_S1B_S1C_jS1D_jS1E_S1E_jjS1G_bEUljE0_EEESZ_S10_S11_S18_S1C_S1E_T6_T7_T9_mT8_S1G_bDpT10_ENKUlT_T0_E_clISt17integral_constantIbLb1EES1U_EEDaS1P_S1Q_EUlS1P_E_NS1_11comp_targetILNS1_3genE9ELNS1_11target_archE1100ELNS1_3gpuE3ELNS1_3repE0EEENS1_30default_config_static_selectorELNS0_4arch9wavefront6targetE1EEEvS12_.num_named_barrier, 0
	.set _ZN7rocprim17ROCPRIM_400000_NS6detail17trampoline_kernelINS0_13select_configILj256ELj13ELNS0_17block_load_methodE3ELS4_3ELS4_3ELNS0_20block_scan_algorithmE0ELj4294967295EEENS1_25partition_config_selectorILNS1_17partition_subalgoE4EjNS0_10empty_typeEbEEZZNS1_14partition_implILS8_4ELb0ES6_15HIP_vector_typeIjLj2EENS0_17counting_iteratorIjlEEPS9_SG_NS0_5tupleIJPjSI_NS0_16reverse_iteratorISI_EEEEENSH_IJSG_SG_SG_EEES9_SI_JZNS1_25segmented_radix_sort_implINS0_14default_configELb1EPKfPfPKlPlN2at6native12_GLOBAL__N_18offset_tEEE10hipError_tPvRmT1_PNSt15iterator_traitsIS12_E10value_typeET2_T3_PNS13_IS18_E10value_typeET4_jRbjT5_S1E_jjP12ihipStream_tbEUljE_ZNSN_ISO_Lb1ESQ_SR_ST_SU_SY_EESZ_S10_S11_S12_S16_S17_S18_S1B_S1C_jS1D_jS1E_S1E_jjS1G_bEUljE0_EEESZ_S10_S11_S18_S1C_S1E_T6_T7_T9_mT8_S1G_bDpT10_ENKUlT_T0_E_clISt17integral_constantIbLb1EES1U_EEDaS1P_S1Q_EUlS1P_E_NS1_11comp_targetILNS1_3genE9ELNS1_11target_archE1100ELNS1_3gpuE3ELNS1_3repE0EEENS1_30default_config_static_selectorELNS0_4arch9wavefront6targetE1EEEvS12_.private_seg_size, 0
	.set _ZN7rocprim17ROCPRIM_400000_NS6detail17trampoline_kernelINS0_13select_configILj256ELj13ELNS0_17block_load_methodE3ELS4_3ELS4_3ELNS0_20block_scan_algorithmE0ELj4294967295EEENS1_25partition_config_selectorILNS1_17partition_subalgoE4EjNS0_10empty_typeEbEEZZNS1_14partition_implILS8_4ELb0ES6_15HIP_vector_typeIjLj2EENS0_17counting_iteratorIjlEEPS9_SG_NS0_5tupleIJPjSI_NS0_16reverse_iteratorISI_EEEEENSH_IJSG_SG_SG_EEES9_SI_JZNS1_25segmented_radix_sort_implINS0_14default_configELb1EPKfPfPKlPlN2at6native12_GLOBAL__N_18offset_tEEE10hipError_tPvRmT1_PNSt15iterator_traitsIS12_E10value_typeET2_T3_PNS13_IS18_E10value_typeET4_jRbjT5_S1E_jjP12ihipStream_tbEUljE_ZNSN_ISO_Lb1ESQ_SR_ST_SU_SY_EESZ_S10_S11_S12_S16_S17_S18_S1B_S1C_jS1D_jS1E_S1E_jjS1G_bEUljE0_EEESZ_S10_S11_S18_S1C_S1E_T6_T7_T9_mT8_S1G_bDpT10_ENKUlT_T0_E_clISt17integral_constantIbLb1EES1U_EEDaS1P_S1Q_EUlS1P_E_NS1_11comp_targetILNS1_3genE9ELNS1_11target_archE1100ELNS1_3gpuE3ELNS1_3repE0EEENS1_30default_config_static_selectorELNS0_4arch9wavefront6targetE1EEEvS12_.uses_vcc, 0
	.set _ZN7rocprim17ROCPRIM_400000_NS6detail17trampoline_kernelINS0_13select_configILj256ELj13ELNS0_17block_load_methodE3ELS4_3ELS4_3ELNS0_20block_scan_algorithmE0ELj4294967295EEENS1_25partition_config_selectorILNS1_17partition_subalgoE4EjNS0_10empty_typeEbEEZZNS1_14partition_implILS8_4ELb0ES6_15HIP_vector_typeIjLj2EENS0_17counting_iteratorIjlEEPS9_SG_NS0_5tupleIJPjSI_NS0_16reverse_iteratorISI_EEEEENSH_IJSG_SG_SG_EEES9_SI_JZNS1_25segmented_radix_sort_implINS0_14default_configELb1EPKfPfPKlPlN2at6native12_GLOBAL__N_18offset_tEEE10hipError_tPvRmT1_PNSt15iterator_traitsIS12_E10value_typeET2_T3_PNS13_IS18_E10value_typeET4_jRbjT5_S1E_jjP12ihipStream_tbEUljE_ZNSN_ISO_Lb1ESQ_SR_ST_SU_SY_EESZ_S10_S11_S12_S16_S17_S18_S1B_S1C_jS1D_jS1E_S1E_jjS1G_bEUljE0_EEESZ_S10_S11_S18_S1C_S1E_T6_T7_T9_mT8_S1G_bDpT10_ENKUlT_T0_E_clISt17integral_constantIbLb1EES1U_EEDaS1P_S1Q_EUlS1P_E_NS1_11comp_targetILNS1_3genE9ELNS1_11target_archE1100ELNS1_3gpuE3ELNS1_3repE0EEENS1_30default_config_static_selectorELNS0_4arch9wavefront6targetE1EEEvS12_.uses_flat_scratch, 0
	.set _ZN7rocprim17ROCPRIM_400000_NS6detail17trampoline_kernelINS0_13select_configILj256ELj13ELNS0_17block_load_methodE3ELS4_3ELS4_3ELNS0_20block_scan_algorithmE0ELj4294967295EEENS1_25partition_config_selectorILNS1_17partition_subalgoE4EjNS0_10empty_typeEbEEZZNS1_14partition_implILS8_4ELb0ES6_15HIP_vector_typeIjLj2EENS0_17counting_iteratorIjlEEPS9_SG_NS0_5tupleIJPjSI_NS0_16reverse_iteratorISI_EEEEENSH_IJSG_SG_SG_EEES9_SI_JZNS1_25segmented_radix_sort_implINS0_14default_configELb1EPKfPfPKlPlN2at6native12_GLOBAL__N_18offset_tEEE10hipError_tPvRmT1_PNSt15iterator_traitsIS12_E10value_typeET2_T3_PNS13_IS18_E10value_typeET4_jRbjT5_S1E_jjP12ihipStream_tbEUljE_ZNSN_ISO_Lb1ESQ_SR_ST_SU_SY_EESZ_S10_S11_S12_S16_S17_S18_S1B_S1C_jS1D_jS1E_S1E_jjS1G_bEUljE0_EEESZ_S10_S11_S18_S1C_S1E_T6_T7_T9_mT8_S1G_bDpT10_ENKUlT_T0_E_clISt17integral_constantIbLb1EES1U_EEDaS1P_S1Q_EUlS1P_E_NS1_11comp_targetILNS1_3genE9ELNS1_11target_archE1100ELNS1_3gpuE3ELNS1_3repE0EEENS1_30default_config_static_selectorELNS0_4arch9wavefront6targetE1EEEvS12_.has_dyn_sized_stack, 0
	.set _ZN7rocprim17ROCPRIM_400000_NS6detail17trampoline_kernelINS0_13select_configILj256ELj13ELNS0_17block_load_methodE3ELS4_3ELS4_3ELNS0_20block_scan_algorithmE0ELj4294967295EEENS1_25partition_config_selectorILNS1_17partition_subalgoE4EjNS0_10empty_typeEbEEZZNS1_14partition_implILS8_4ELb0ES6_15HIP_vector_typeIjLj2EENS0_17counting_iteratorIjlEEPS9_SG_NS0_5tupleIJPjSI_NS0_16reverse_iteratorISI_EEEEENSH_IJSG_SG_SG_EEES9_SI_JZNS1_25segmented_radix_sort_implINS0_14default_configELb1EPKfPfPKlPlN2at6native12_GLOBAL__N_18offset_tEEE10hipError_tPvRmT1_PNSt15iterator_traitsIS12_E10value_typeET2_T3_PNS13_IS18_E10value_typeET4_jRbjT5_S1E_jjP12ihipStream_tbEUljE_ZNSN_ISO_Lb1ESQ_SR_ST_SU_SY_EESZ_S10_S11_S12_S16_S17_S18_S1B_S1C_jS1D_jS1E_S1E_jjS1G_bEUljE0_EEESZ_S10_S11_S18_S1C_S1E_T6_T7_T9_mT8_S1G_bDpT10_ENKUlT_T0_E_clISt17integral_constantIbLb1EES1U_EEDaS1P_S1Q_EUlS1P_E_NS1_11comp_targetILNS1_3genE9ELNS1_11target_archE1100ELNS1_3gpuE3ELNS1_3repE0EEENS1_30default_config_static_selectorELNS0_4arch9wavefront6targetE1EEEvS12_.has_recursion, 0
	.set _ZN7rocprim17ROCPRIM_400000_NS6detail17trampoline_kernelINS0_13select_configILj256ELj13ELNS0_17block_load_methodE3ELS4_3ELS4_3ELNS0_20block_scan_algorithmE0ELj4294967295EEENS1_25partition_config_selectorILNS1_17partition_subalgoE4EjNS0_10empty_typeEbEEZZNS1_14partition_implILS8_4ELb0ES6_15HIP_vector_typeIjLj2EENS0_17counting_iteratorIjlEEPS9_SG_NS0_5tupleIJPjSI_NS0_16reverse_iteratorISI_EEEEENSH_IJSG_SG_SG_EEES9_SI_JZNS1_25segmented_radix_sort_implINS0_14default_configELb1EPKfPfPKlPlN2at6native12_GLOBAL__N_18offset_tEEE10hipError_tPvRmT1_PNSt15iterator_traitsIS12_E10value_typeET2_T3_PNS13_IS18_E10value_typeET4_jRbjT5_S1E_jjP12ihipStream_tbEUljE_ZNSN_ISO_Lb1ESQ_SR_ST_SU_SY_EESZ_S10_S11_S12_S16_S17_S18_S1B_S1C_jS1D_jS1E_S1E_jjS1G_bEUljE0_EEESZ_S10_S11_S18_S1C_S1E_T6_T7_T9_mT8_S1G_bDpT10_ENKUlT_T0_E_clISt17integral_constantIbLb1EES1U_EEDaS1P_S1Q_EUlS1P_E_NS1_11comp_targetILNS1_3genE9ELNS1_11target_archE1100ELNS1_3gpuE3ELNS1_3repE0EEENS1_30default_config_static_selectorELNS0_4arch9wavefront6targetE1EEEvS12_.has_indirect_call, 0
	.section	.AMDGPU.csdata,"",@progbits
; Kernel info:
; codeLenInByte = 0
; TotalNumSgprs: 4
; NumVgprs: 0
; ScratchSize: 0
; MemoryBound: 0
; FloatMode: 240
; IeeeMode: 1
; LDSByteSize: 0 bytes/workgroup (compile time only)
; SGPRBlocks: 0
; VGPRBlocks: 0
; NumSGPRsForWavesPerEU: 4
; NumVGPRsForWavesPerEU: 1
; Occupancy: 10
; WaveLimiterHint : 0
; COMPUTE_PGM_RSRC2:SCRATCH_EN: 0
; COMPUTE_PGM_RSRC2:USER_SGPR: 6
; COMPUTE_PGM_RSRC2:TRAP_HANDLER: 0
; COMPUTE_PGM_RSRC2:TGID_X_EN: 1
; COMPUTE_PGM_RSRC2:TGID_Y_EN: 0
; COMPUTE_PGM_RSRC2:TGID_Z_EN: 0
; COMPUTE_PGM_RSRC2:TIDIG_COMP_CNT: 0
	.section	.text._ZN7rocprim17ROCPRIM_400000_NS6detail17trampoline_kernelINS0_13select_configILj256ELj13ELNS0_17block_load_methodE3ELS4_3ELS4_3ELNS0_20block_scan_algorithmE0ELj4294967295EEENS1_25partition_config_selectorILNS1_17partition_subalgoE4EjNS0_10empty_typeEbEEZZNS1_14partition_implILS8_4ELb0ES6_15HIP_vector_typeIjLj2EENS0_17counting_iteratorIjlEEPS9_SG_NS0_5tupleIJPjSI_NS0_16reverse_iteratorISI_EEEEENSH_IJSG_SG_SG_EEES9_SI_JZNS1_25segmented_radix_sort_implINS0_14default_configELb1EPKfPfPKlPlN2at6native12_GLOBAL__N_18offset_tEEE10hipError_tPvRmT1_PNSt15iterator_traitsIS12_E10value_typeET2_T3_PNS13_IS18_E10value_typeET4_jRbjT5_S1E_jjP12ihipStream_tbEUljE_ZNSN_ISO_Lb1ESQ_SR_ST_SU_SY_EESZ_S10_S11_S12_S16_S17_S18_S1B_S1C_jS1D_jS1E_S1E_jjS1G_bEUljE0_EEESZ_S10_S11_S18_S1C_S1E_T6_T7_T9_mT8_S1G_bDpT10_ENKUlT_T0_E_clISt17integral_constantIbLb1EES1U_EEDaS1P_S1Q_EUlS1P_E_NS1_11comp_targetILNS1_3genE8ELNS1_11target_archE1030ELNS1_3gpuE2ELNS1_3repE0EEENS1_30default_config_static_selectorELNS0_4arch9wavefront6targetE1EEEvS12_,"axG",@progbits,_ZN7rocprim17ROCPRIM_400000_NS6detail17trampoline_kernelINS0_13select_configILj256ELj13ELNS0_17block_load_methodE3ELS4_3ELS4_3ELNS0_20block_scan_algorithmE0ELj4294967295EEENS1_25partition_config_selectorILNS1_17partition_subalgoE4EjNS0_10empty_typeEbEEZZNS1_14partition_implILS8_4ELb0ES6_15HIP_vector_typeIjLj2EENS0_17counting_iteratorIjlEEPS9_SG_NS0_5tupleIJPjSI_NS0_16reverse_iteratorISI_EEEEENSH_IJSG_SG_SG_EEES9_SI_JZNS1_25segmented_radix_sort_implINS0_14default_configELb1EPKfPfPKlPlN2at6native12_GLOBAL__N_18offset_tEEE10hipError_tPvRmT1_PNSt15iterator_traitsIS12_E10value_typeET2_T3_PNS13_IS18_E10value_typeET4_jRbjT5_S1E_jjP12ihipStream_tbEUljE_ZNSN_ISO_Lb1ESQ_SR_ST_SU_SY_EESZ_S10_S11_S12_S16_S17_S18_S1B_S1C_jS1D_jS1E_S1E_jjS1G_bEUljE0_EEESZ_S10_S11_S18_S1C_S1E_T6_T7_T9_mT8_S1G_bDpT10_ENKUlT_T0_E_clISt17integral_constantIbLb1EES1U_EEDaS1P_S1Q_EUlS1P_E_NS1_11comp_targetILNS1_3genE8ELNS1_11target_archE1030ELNS1_3gpuE2ELNS1_3repE0EEENS1_30default_config_static_selectorELNS0_4arch9wavefront6targetE1EEEvS12_,comdat
	.globl	_ZN7rocprim17ROCPRIM_400000_NS6detail17trampoline_kernelINS0_13select_configILj256ELj13ELNS0_17block_load_methodE3ELS4_3ELS4_3ELNS0_20block_scan_algorithmE0ELj4294967295EEENS1_25partition_config_selectorILNS1_17partition_subalgoE4EjNS0_10empty_typeEbEEZZNS1_14partition_implILS8_4ELb0ES6_15HIP_vector_typeIjLj2EENS0_17counting_iteratorIjlEEPS9_SG_NS0_5tupleIJPjSI_NS0_16reverse_iteratorISI_EEEEENSH_IJSG_SG_SG_EEES9_SI_JZNS1_25segmented_radix_sort_implINS0_14default_configELb1EPKfPfPKlPlN2at6native12_GLOBAL__N_18offset_tEEE10hipError_tPvRmT1_PNSt15iterator_traitsIS12_E10value_typeET2_T3_PNS13_IS18_E10value_typeET4_jRbjT5_S1E_jjP12ihipStream_tbEUljE_ZNSN_ISO_Lb1ESQ_SR_ST_SU_SY_EESZ_S10_S11_S12_S16_S17_S18_S1B_S1C_jS1D_jS1E_S1E_jjS1G_bEUljE0_EEESZ_S10_S11_S18_S1C_S1E_T6_T7_T9_mT8_S1G_bDpT10_ENKUlT_T0_E_clISt17integral_constantIbLb1EES1U_EEDaS1P_S1Q_EUlS1P_E_NS1_11comp_targetILNS1_3genE8ELNS1_11target_archE1030ELNS1_3gpuE2ELNS1_3repE0EEENS1_30default_config_static_selectorELNS0_4arch9wavefront6targetE1EEEvS12_ ; -- Begin function _ZN7rocprim17ROCPRIM_400000_NS6detail17trampoline_kernelINS0_13select_configILj256ELj13ELNS0_17block_load_methodE3ELS4_3ELS4_3ELNS0_20block_scan_algorithmE0ELj4294967295EEENS1_25partition_config_selectorILNS1_17partition_subalgoE4EjNS0_10empty_typeEbEEZZNS1_14partition_implILS8_4ELb0ES6_15HIP_vector_typeIjLj2EENS0_17counting_iteratorIjlEEPS9_SG_NS0_5tupleIJPjSI_NS0_16reverse_iteratorISI_EEEEENSH_IJSG_SG_SG_EEES9_SI_JZNS1_25segmented_radix_sort_implINS0_14default_configELb1EPKfPfPKlPlN2at6native12_GLOBAL__N_18offset_tEEE10hipError_tPvRmT1_PNSt15iterator_traitsIS12_E10value_typeET2_T3_PNS13_IS18_E10value_typeET4_jRbjT5_S1E_jjP12ihipStream_tbEUljE_ZNSN_ISO_Lb1ESQ_SR_ST_SU_SY_EESZ_S10_S11_S12_S16_S17_S18_S1B_S1C_jS1D_jS1E_S1E_jjS1G_bEUljE0_EEESZ_S10_S11_S18_S1C_S1E_T6_T7_T9_mT8_S1G_bDpT10_ENKUlT_T0_E_clISt17integral_constantIbLb1EES1U_EEDaS1P_S1Q_EUlS1P_E_NS1_11comp_targetILNS1_3genE8ELNS1_11target_archE1030ELNS1_3gpuE2ELNS1_3repE0EEENS1_30default_config_static_selectorELNS0_4arch9wavefront6targetE1EEEvS12_
	.p2align	8
	.type	_ZN7rocprim17ROCPRIM_400000_NS6detail17trampoline_kernelINS0_13select_configILj256ELj13ELNS0_17block_load_methodE3ELS4_3ELS4_3ELNS0_20block_scan_algorithmE0ELj4294967295EEENS1_25partition_config_selectorILNS1_17partition_subalgoE4EjNS0_10empty_typeEbEEZZNS1_14partition_implILS8_4ELb0ES6_15HIP_vector_typeIjLj2EENS0_17counting_iteratorIjlEEPS9_SG_NS0_5tupleIJPjSI_NS0_16reverse_iteratorISI_EEEEENSH_IJSG_SG_SG_EEES9_SI_JZNS1_25segmented_radix_sort_implINS0_14default_configELb1EPKfPfPKlPlN2at6native12_GLOBAL__N_18offset_tEEE10hipError_tPvRmT1_PNSt15iterator_traitsIS12_E10value_typeET2_T3_PNS13_IS18_E10value_typeET4_jRbjT5_S1E_jjP12ihipStream_tbEUljE_ZNSN_ISO_Lb1ESQ_SR_ST_SU_SY_EESZ_S10_S11_S12_S16_S17_S18_S1B_S1C_jS1D_jS1E_S1E_jjS1G_bEUljE0_EEESZ_S10_S11_S18_S1C_S1E_T6_T7_T9_mT8_S1G_bDpT10_ENKUlT_T0_E_clISt17integral_constantIbLb1EES1U_EEDaS1P_S1Q_EUlS1P_E_NS1_11comp_targetILNS1_3genE8ELNS1_11target_archE1030ELNS1_3gpuE2ELNS1_3repE0EEENS1_30default_config_static_selectorELNS0_4arch9wavefront6targetE1EEEvS12_,@function
_ZN7rocprim17ROCPRIM_400000_NS6detail17trampoline_kernelINS0_13select_configILj256ELj13ELNS0_17block_load_methodE3ELS4_3ELS4_3ELNS0_20block_scan_algorithmE0ELj4294967295EEENS1_25partition_config_selectorILNS1_17partition_subalgoE4EjNS0_10empty_typeEbEEZZNS1_14partition_implILS8_4ELb0ES6_15HIP_vector_typeIjLj2EENS0_17counting_iteratorIjlEEPS9_SG_NS0_5tupleIJPjSI_NS0_16reverse_iteratorISI_EEEEENSH_IJSG_SG_SG_EEES9_SI_JZNS1_25segmented_radix_sort_implINS0_14default_configELb1EPKfPfPKlPlN2at6native12_GLOBAL__N_18offset_tEEE10hipError_tPvRmT1_PNSt15iterator_traitsIS12_E10value_typeET2_T3_PNS13_IS18_E10value_typeET4_jRbjT5_S1E_jjP12ihipStream_tbEUljE_ZNSN_ISO_Lb1ESQ_SR_ST_SU_SY_EESZ_S10_S11_S12_S16_S17_S18_S1B_S1C_jS1D_jS1E_S1E_jjS1G_bEUljE0_EEESZ_S10_S11_S18_S1C_S1E_T6_T7_T9_mT8_S1G_bDpT10_ENKUlT_T0_E_clISt17integral_constantIbLb1EES1U_EEDaS1P_S1Q_EUlS1P_E_NS1_11comp_targetILNS1_3genE8ELNS1_11target_archE1030ELNS1_3gpuE2ELNS1_3repE0EEENS1_30default_config_static_selectorELNS0_4arch9wavefront6targetE1EEEvS12_: ; @_ZN7rocprim17ROCPRIM_400000_NS6detail17trampoline_kernelINS0_13select_configILj256ELj13ELNS0_17block_load_methodE3ELS4_3ELS4_3ELNS0_20block_scan_algorithmE0ELj4294967295EEENS1_25partition_config_selectorILNS1_17partition_subalgoE4EjNS0_10empty_typeEbEEZZNS1_14partition_implILS8_4ELb0ES6_15HIP_vector_typeIjLj2EENS0_17counting_iteratorIjlEEPS9_SG_NS0_5tupleIJPjSI_NS0_16reverse_iteratorISI_EEEEENSH_IJSG_SG_SG_EEES9_SI_JZNS1_25segmented_radix_sort_implINS0_14default_configELb1EPKfPfPKlPlN2at6native12_GLOBAL__N_18offset_tEEE10hipError_tPvRmT1_PNSt15iterator_traitsIS12_E10value_typeET2_T3_PNS13_IS18_E10value_typeET4_jRbjT5_S1E_jjP12ihipStream_tbEUljE_ZNSN_ISO_Lb1ESQ_SR_ST_SU_SY_EESZ_S10_S11_S12_S16_S17_S18_S1B_S1C_jS1D_jS1E_S1E_jjS1G_bEUljE0_EEESZ_S10_S11_S18_S1C_S1E_T6_T7_T9_mT8_S1G_bDpT10_ENKUlT_T0_E_clISt17integral_constantIbLb1EES1U_EEDaS1P_S1Q_EUlS1P_E_NS1_11comp_targetILNS1_3genE8ELNS1_11target_archE1030ELNS1_3gpuE2ELNS1_3repE0EEENS1_30default_config_static_selectorELNS0_4arch9wavefront6targetE1EEEvS12_
; %bb.0:
	.section	.rodata,"a",@progbits
	.p2align	6, 0x0
	.amdhsa_kernel _ZN7rocprim17ROCPRIM_400000_NS6detail17trampoline_kernelINS0_13select_configILj256ELj13ELNS0_17block_load_methodE3ELS4_3ELS4_3ELNS0_20block_scan_algorithmE0ELj4294967295EEENS1_25partition_config_selectorILNS1_17partition_subalgoE4EjNS0_10empty_typeEbEEZZNS1_14partition_implILS8_4ELb0ES6_15HIP_vector_typeIjLj2EENS0_17counting_iteratorIjlEEPS9_SG_NS0_5tupleIJPjSI_NS0_16reverse_iteratorISI_EEEEENSH_IJSG_SG_SG_EEES9_SI_JZNS1_25segmented_radix_sort_implINS0_14default_configELb1EPKfPfPKlPlN2at6native12_GLOBAL__N_18offset_tEEE10hipError_tPvRmT1_PNSt15iterator_traitsIS12_E10value_typeET2_T3_PNS13_IS18_E10value_typeET4_jRbjT5_S1E_jjP12ihipStream_tbEUljE_ZNSN_ISO_Lb1ESQ_SR_ST_SU_SY_EESZ_S10_S11_S12_S16_S17_S18_S1B_S1C_jS1D_jS1E_S1E_jjS1G_bEUljE0_EEESZ_S10_S11_S18_S1C_S1E_T6_T7_T9_mT8_S1G_bDpT10_ENKUlT_T0_E_clISt17integral_constantIbLb1EES1U_EEDaS1P_S1Q_EUlS1P_E_NS1_11comp_targetILNS1_3genE8ELNS1_11target_archE1030ELNS1_3gpuE2ELNS1_3repE0EEENS1_30default_config_static_selectorELNS0_4arch9wavefront6targetE1EEEvS12_
		.amdhsa_group_segment_fixed_size 0
		.amdhsa_private_segment_fixed_size 0
		.amdhsa_kernarg_size 184
		.amdhsa_user_sgpr_count 6
		.amdhsa_user_sgpr_private_segment_buffer 1
		.amdhsa_user_sgpr_dispatch_ptr 0
		.amdhsa_user_sgpr_queue_ptr 0
		.amdhsa_user_sgpr_kernarg_segment_ptr 1
		.amdhsa_user_sgpr_dispatch_id 0
		.amdhsa_user_sgpr_flat_scratch_init 0
		.amdhsa_user_sgpr_private_segment_size 0
		.amdhsa_uses_dynamic_stack 0
		.amdhsa_system_sgpr_private_segment_wavefront_offset 0
		.amdhsa_system_sgpr_workgroup_id_x 1
		.amdhsa_system_sgpr_workgroup_id_y 0
		.amdhsa_system_sgpr_workgroup_id_z 0
		.amdhsa_system_sgpr_workgroup_info 0
		.amdhsa_system_vgpr_workitem_id 0
		.amdhsa_next_free_vgpr 1
		.amdhsa_next_free_sgpr 0
		.amdhsa_reserve_vcc 0
		.amdhsa_reserve_flat_scratch 0
		.amdhsa_float_round_mode_32 0
		.amdhsa_float_round_mode_16_64 0
		.amdhsa_float_denorm_mode_32 3
		.amdhsa_float_denorm_mode_16_64 3
		.amdhsa_dx10_clamp 1
		.amdhsa_ieee_mode 1
		.amdhsa_fp16_overflow 0
		.amdhsa_exception_fp_ieee_invalid_op 0
		.amdhsa_exception_fp_denorm_src 0
		.amdhsa_exception_fp_ieee_div_zero 0
		.amdhsa_exception_fp_ieee_overflow 0
		.amdhsa_exception_fp_ieee_underflow 0
		.amdhsa_exception_fp_ieee_inexact 0
		.amdhsa_exception_int_div_zero 0
	.end_amdhsa_kernel
	.section	.text._ZN7rocprim17ROCPRIM_400000_NS6detail17trampoline_kernelINS0_13select_configILj256ELj13ELNS0_17block_load_methodE3ELS4_3ELS4_3ELNS0_20block_scan_algorithmE0ELj4294967295EEENS1_25partition_config_selectorILNS1_17partition_subalgoE4EjNS0_10empty_typeEbEEZZNS1_14partition_implILS8_4ELb0ES6_15HIP_vector_typeIjLj2EENS0_17counting_iteratorIjlEEPS9_SG_NS0_5tupleIJPjSI_NS0_16reverse_iteratorISI_EEEEENSH_IJSG_SG_SG_EEES9_SI_JZNS1_25segmented_radix_sort_implINS0_14default_configELb1EPKfPfPKlPlN2at6native12_GLOBAL__N_18offset_tEEE10hipError_tPvRmT1_PNSt15iterator_traitsIS12_E10value_typeET2_T3_PNS13_IS18_E10value_typeET4_jRbjT5_S1E_jjP12ihipStream_tbEUljE_ZNSN_ISO_Lb1ESQ_SR_ST_SU_SY_EESZ_S10_S11_S12_S16_S17_S18_S1B_S1C_jS1D_jS1E_S1E_jjS1G_bEUljE0_EEESZ_S10_S11_S18_S1C_S1E_T6_T7_T9_mT8_S1G_bDpT10_ENKUlT_T0_E_clISt17integral_constantIbLb1EES1U_EEDaS1P_S1Q_EUlS1P_E_NS1_11comp_targetILNS1_3genE8ELNS1_11target_archE1030ELNS1_3gpuE2ELNS1_3repE0EEENS1_30default_config_static_selectorELNS0_4arch9wavefront6targetE1EEEvS12_,"axG",@progbits,_ZN7rocprim17ROCPRIM_400000_NS6detail17trampoline_kernelINS0_13select_configILj256ELj13ELNS0_17block_load_methodE3ELS4_3ELS4_3ELNS0_20block_scan_algorithmE0ELj4294967295EEENS1_25partition_config_selectorILNS1_17partition_subalgoE4EjNS0_10empty_typeEbEEZZNS1_14partition_implILS8_4ELb0ES6_15HIP_vector_typeIjLj2EENS0_17counting_iteratorIjlEEPS9_SG_NS0_5tupleIJPjSI_NS0_16reverse_iteratorISI_EEEEENSH_IJSG_SG_SG_EEES9_SI_JZNS1_25segmented_radix_sort_implINS0_14default_configELb1EPKfPfPKlPlN2at6native12_GLOBAL__N_18offset_tEEE10hipError_tPvRmT1_PNSt15iterator_traitsIS12_E10value_typeET2_T3_PNS13_IS18_E10value_typeET4_jRbjT5_S1E_jjP12ihipStream_tbEUljE_ZNSN_ISO_Lb1ESQ_SR_ST_SU_SY_EESZ_S10_S11_S12_S16_S17_S18_S1B_S1C_jS1D_jS1E_S1E_jjS1G_bEUljE0_EEESZ_S10_S11_S18_S1C_S1E_T6_T7_T9_mT8_S1G_bDpT10_ENKUlT_T0_E_clISt17integral_constantIbLb1EES1U_EEDaS1P_S1Q_EUlS1P_E_NS1_11comp_targetILNS1_3genE8ELNS1_11target_archE1030ELNS1_3gpuE2ELNS1_3repE0EEENS1_30default_config_static_selectorELNS0_4arch9wavefront6targetE1EEEvS12_,comdat
.Lfunc_end1276:
	.size	_ZN7rocprim17ROCPRIM_400000_NS6detail17trampoline_kernelINS0_13select_configILj256ELj13ELNS0_17block_load_methodE3ELS4_3ELS4_3ELNS0_20block_scan_algorithmE0ELj4294967295EEENS1_25partition_config_selectorILNS1_17partition_subalgoE4EjNS0_10empty_typeEbEEZZNS1_14partition_implILS8_4ELb0ES6_15HIP_vector_typeIjLj2EENS0_17counting_iteratorIjlEEPS9_SG_NS0_5tupleIJPjSI_NS0_16reverse_iteratorISI_EEEEENSH_IJSG_SG_SG_EEES9_SI_JZNS1_25segmented_radix_sort_implINS0_14default_configELb1EPKfPfPKlPlN2at6native12_GLOBAL__N_18offset_tEEE10hipError_tPvRmT1_PNSt15iterator_traitsIS12_E10value_typeET2_T3_PNS13_IS18_E10value_typeET4_jRbjT5_S1E_jjP12ihipStream_tbEUljE_ZNSN_ISO_Lb1ESQ_SR_ST_SU_SY_EESZ_S10_S11_S12_S16_S17_S18_S1B_S1C_jS1D_jS1E_S1E_jjS1G_bEUljE0_EEESZ_S10_S11_S18_S1C_S1E_T6_T7_T9_mT8_S1G_bDpT10_ENKUlT_T0_E_clISt17integral_constantIbLb1EES1U_EEDaS1P_S1Q_EUlS1P_E_NS1_11comp_targetILNS1_3genE8ELNS1_11target_archE1030ELNS1_3gpuE2ELNS1_3repE0EEENS1_30default_config_static_selectorELNS0_4arch9wavefront6targetE1EEEvS12_, .Lfunc_end1276-_ZN7rocprim17ROCPRIM_400000_NS6detail17trampoline_kernelINS0_13select_configILj256ELj13ELNS0_17block_load_methodE3ELS4_3ELS4_3ELNS0_20block_scan_algorithmE0ELj4294967295EEENS1_25partition_config_selectorILNS1_17partition_subalgoE4EjNS0_10empty_typeEbEEZZNS1_14partition_implILS8_4ELb0ES6_15HIP_vector_typeIjLj2EENS0_17counting_iteratorIjlEEPS9_SG_NS0_5tupleIJPjSI_NS0_16reverse_iteratorISI_EEEEENSH_IJSG_SG_SG_EEES9_SI_JZNS1_25segmented_radix_sort_implINS0_14default_configELb1EPKfPfPKlPlN2at6native12_GLOBAL__N_18offset_tEEE10hipError_tPvRmT1_PNSt15iterator_traitsIS12_E10value_typeET2_T3_PNS13_IS18_E10value_typeET4_jRbjT5_S1E_jjP12ihipStream_tbEUljE_ZNSN_ISO_Lb1ESQ_SR_ST_SU_SY_EESZ_S10_S11_S12_S16_S17_S18_S1B_S1C_jS1D_jS1E_S1E_jjS1G_bEUljE0_EEESZ_S10_S11_S18_S1C_S1E_T6_T7_T9_mT8_S1G_bDpT10_ENKUlT_T0_E_clISt17integral_constantIbLb1EES1U_EEDaS1P_S1Q_EUlS1P_E_NS1_11comp_targetILNS1_3genE8ELNS1_11target_archE1030ELNS1_3gpuE2ELNS1_3repE0EEENS1_30default_config_static_selectorELNS0_4arch9wavefront6targetE1EEEvS12_
                                        ; -- End function
	.set _ZN7rocprim17ROCPRIM_400000_NS6detail17trampoline_kernelINS0_13select_configILj256ELj13ELNS0_17block_load_methodE3ELS4_3ELS4_3ELNS0_20block_scan_algorithmE0ELj4294967295EEENS1_25partition_config_selectorILNS1_17partition_subalgoE4EjNS0_10empty_typeEbEEZZNS1_14partition_implILS8_4ELb0ES6_15HIP_vector_typeIjLj2EENS0_17counting_iteratorIjlEEPS9_SG_NS0_5tupleIJPjSI_NS0_16reverse_iteratorISI_EEEEENSH_IJSG_SG_SG_EEES9_SI_JZNS1_25segmented_radix_sort_implINS0_14default_configELb1EPKfPfPKlPlN2at6native12_GLOBAL__N_18offset_tEEE10hipError_tPvRmT1_PNSt15iterator_traitsIS12_E10value_typeET2_T3_PNS13_IS18_E10value_typeET4_jRbjT5_S1E_jjP12ihipStream_tbEUljE_ZNSN_ISO_Lb1ESQ_SR_ST_SU_SY_EESZ_S10_S11_S12_S16_S17_S18_S1B_S1C_jS1D_jS1E_S1E_jjS1G_bEUljE0_EEESZ_S10_S11_S18_S1C_S1E_T6_T7_T9_mT8_S1G_bDpT10_ENKUlT_T0_E_clISt17integral_constantIbLb1EES1U_EEDaS1P_S1Q_EUlS1P_E_NS1_11comp_targetILNS1_3genE8ELNS1_11target_archE1030ELNS1_3gpuE2ELNS1_3repE0EEENS1_30default_config_static_selectorELNS0_4arch9wavefront6targetE1EEEvS12_.num_vgpr, 0
	.set _ZN7rocprim17ROCPRIM_400000_NS6detail17trampoline_kernelINS0_13select_configILj256ELj13ELNS0_17block_load_methodE3ELS4_3ELS4_3ELNS0_20block_scan_algorithmE0ELj4294967295EEENS1_25partition_config_selectorILNS1_17partition_subalgoE4EjNS0_10empty_typeEbEEZZNS1_14partition_implILS8_4ELb0ES6_15HIP_vector_typeIjLj2EENS0_17counting_iteratorIjlEEPS9_SG_NS0_5tupleIJPjSI_NS0_16reverse_iteratorISI_EEEEENSH_IJSG_SG_SG_EEES9_SI_JZNS1_25segmented_radix_sort_implINS0_14default_configELb1EPKfPfPKlPlN2at6native12_GLOBAL__N_18offset_tEEE10hipError_tPvRmT1_PNSt15iterator_traitsIS12_E10value_typeET2_T3_PNS13_IS18_E10value_typeET4_jRbjT5_S1E_jjP12ihipStream_tbEUljE_ZNSN_ISO_Lb1ESQ_SR_ST_SU_SY_EESZ_S10_S11_S12_S16_S17_S18_S1B_S1C_jS1D_jS1E_S1E_jjS1G_bEUljE0_EEESZ_S10_S11_S18_S1C_S1E_T6_T7_T9_mT8_S1G_bDpT10_ENKUlT_T0_E_clISt17integral_constantIbLb1EES1U_EEDaS1P_S1Q_EUlS1P_E_NS1_11comp_targetILNS1_3genE8ELNS1_11target_archE1030ELNS1_3gpuE2ELNS1_3repE0EEENS1_30default_config_static_selectorELNS0_4arch9wavefront6targetE1EEEvS12_.num_agpr, 0
	.set _ZN7rocprim17ROCPRIM_400000_NS6detail17trampoline_kernelINS0_13select_configILj256ELj13ELNS0_17block_load_methodE3ELS4_3ELS4_3ELNS0_20block_scan_algorithmE0ELj4294967295EEENS1_25partition_config_selectorILNS1_17partition_subalgoE4EjNS0_10empty_typeEbEEZZNS1_14partition_implILS8_4ELb0ES6_15HIP_vector_typeIjLj2EENS0_17counting_iteratorIjlEEPS9_SG_NS0_5tupleIJPjSI_NS0_16reverse_iteratorISI_EEEEENSH_IJSG_SG_SG_EEES9_SI_JZNS1_25segmented_radix_sort_implINS0_14default_configELb1EPKfPfPKlPlN2at6native12_GLOBAL__N_18offset_tEEE10hipError_tPvRmT1_PNSt15iterator_traitsIS12_E10value_typeET2_T3_PNS13_IS18_E10value_typeET4_jRbjT5_S1E_jjP12ihipStream_tbEUljE_ZNSN_ISO_Lb1ESQ_SR_ST_SU_SY_EESZ_S10_S11_S12_S16_S17_S18_S1B_S1C_jS1D_jS1E_S1E_jjS1G_bEUljE0_EEESZ_S10_S11_S18_S1C_S1E_T6_T7_T9_mT8_S1G_bDpT10_ENKUlT_T0_E_clISt17integral_constantIbLb1EES1U_EEDaS1P_S1Q_EUlS1P_E_NS1_11comp_targetILNS1_3genE8ELNS1_11target_archE1030ELNS1_3gpuE2ELNS1_3repE0EEENS1_30default_config_static_selectorELNS0_4arch9wavefront6targetE1EEEvS12_.numbered_sgpr, 0
	.set _ZN7rocprim17ROCPRIM_400000_NS6detail17trampoline_kernelINS0_13select_configILj256ELj13ELNS0_17block_load_methodE3ELS4_3ELS4_3ELNS0_20block_scan_algorithmE0ELj4294967295EEENS1_25partition_config_selectorILNS1_17partition_subalgoE4EjNS0_10empty_typeEbEEZZNS1_14partition_implILS8_4ELb0ES6_15HIP_vector_typeIjLj2EENS0_17counting_iteratorIjlEEPS9_SG_NS0_5tupleIJPjSI_NS0_16reverse_iteratorISI_EEEEENSH_IJSG_SG_SG_EEES9_SI_JZNS1_25segmented_radix_sort_implINS0_14default_configELb1EPKfPfPKlPlN2at6native12_GLOBAL__N_18offset_tEEE10hipError_tPvRmT1_PNSt15iterator_traitsIS12_E10value_typeET2_T3_PNS13_IS18_E10value_typeET4_jRbjT5_S1E_jjP12ihipStream_tbEUljE_ZNSN_ISO_Lb1ESQ_SR_ST_SU_SY_EESZ_S10_S11_S12_S16_S17_S18_S1B_S1C_jS1D_jS1E_S1E_jjS1G_bEUljE0_EEESZ_S10_S11_S18_S1C_S1E_T6_T7_T9_mT8_S1G_bDpT10_ENKUlT_T0_E_clISt17integral_constantIbLb1EES1U_EEDaS1P_S1Q_EUlS1P_E_NS1_11comp_targetILNS1_3genE8ELNS1_11target_archE1030ELNS1_3gpuE2ELNS1_3repE0EEENS1_30default_config_static_selectorELNS0_4arch9wavefront6targetE1EEEvS12_.num_named_barrier, 0
	.set _ZN7rocprim17ROCPRIM_400000_NS6detail17trampoline_kernelINS0_13select_configILj256ELj13ELNS0_17block_load_methodE3ELS4_3ELS4_3ELNS0_20block_scan_algorithmE0ELj4294967295EEENS1_25partition_config_selectorILNS1_17partition_subalgoE4EjNS0_10empty_typeEbEEZZNS1_14partition_implILS8_4ELb0ES6_15HIP_vector_typeIjLj2EENS0_17counting_iteratorIjlEEPS9_SG_NS0_5tupleIJPjSI_NS0_16reverse_iteratorISI_EEEEENSH_IJSG_SG_SG_EEES9_SI_JZNS1_25segmented_radix_sort_implINS0_14default_configELb1EPKfPfPKlPlN2at6native12_GLOBAL__N_18offset_tEEE10hipError_tPvRmT1_PNSt15iterator_traitsIS12_E10value_typeET2_T3_PNS13_IS18_E10value_typeET4_jRbjT5_S1E_jjP12ihipStream_tbEUljE_ZNSN_ISO_Lb1ESQ_SR_ST_SU_SY_EESZ_S10_S11_S12_S16_S17_S18_S1B_S1C_jS1D_jS1E_S1E_jjS1G_bEUljE0_EEESZ_S10_S11_S18_S1C_S1E_T6_T7_T9_mT8_S1G_bDpT10_ENKUlT_T0_E_clISt17integral_constantIbLb1EES1U_EEDaS1P_S1Q_EUlS1P_E_NS1_11comp_targetILNS1_3genE8ELNS1_11target_archE1030ELNS1_3gpuE2ELNS1_3repE0EEENS1_30default_config_static_selectorELNS0_4arch9wavefront6targetE1EEEvS12_.private_seg_size, 0
	.set _ZN7rocprim17ROCPRIM_400000_NS6detail17trampoline_kernelINS0_13select_configILj256ELj13ELNS0_17block_load_methodE3ELS4_3ELS4_3ELNS0_20block_scan_algorithmE0ELj4294967295EEENS1_25partition_config_selectorILNS1_17partition_subalgoE4EjNS0_10empty_typeEbEEZZNS1_14partition_implILS8_4ELb0ES6_15HIP_vector_typeIjLj2EENS0_17counting_iteratorIjlEEPS9_SG_NS0_5tupleIJPjSI_NS0_16reverse_iteratorISI_EEEEENSH_IJSG_SG_SG_EEES9_SI_JZNS1_25segmented_radix_sort_implINS0_14default_configELb1EPKfPfPKlPlN2at6native12_GLOBAL__N_18offset_tEEE10hipError_tPvRmT1_PNSt15iterator_traitsIS12_E10value_typeET2_T3_PNS13_IS18_E10value_typeET4_jRbjT5_S1E_jjP12ihipStream_tbEUljE_ZNSN_ISO_Lb1ESQ_SR_ST_SU_SY_EESZ_S10_S11_S12_S16_S17_S18_S1B_S1C_jS1D_jS1E_S1E_jjS1G_bEUljE0_EEESZ_S10_S11_S18_S1C_S1E_T6_T7_T9_mT8_S1G_bDpT10_ENKUlT_T0_E_clISt17integral_constantIbLb1EES1U_EEDaS1P_S1Q_EUlS1P_E_NS1_11comp_targetILNS1_3genE8ELNS1_11target_archE1030ELNS1_3gpuE2ELNS1_3repE0EEENS1_30default_config_static_selectorELNS0_4arch9wavefront6targetE1EEEvS12_.uses_vcc, 0
	.set _ZN7rocprim17ROCPRIM_400000_NS6detail17trampoline_kernelINS0_13select_configILj256ELj13ELNS0_17block_load_methodE3ELS4_3ELS4_3ELNS0_20block_scan_algorithmE0ELj4294967295EEENS1_25partition_config_selectorILNS1_17partition_subalgoE4EjNS0_10empty_typeEbEEZZNS1_14partition_implILS8_4ELb0ES6_15HIP_vector_typeIjLj2EENS0_17counting_iteratorIjlEEPS9_SG_NS0_5tupleIJPjSI_NS0_16reverse_iteratorISI_EEEEENSH_IJSG_SG_SG_EEES9_SI_JZNS1_25segmented_radix_sort_implINS0_14default_configELb1EPKfPfPKlPlN2at6native12_GLOBAL__N_18offset_tEEE10hipError_tPvRmT1_PNSt15iterator_traitsIS12_E10value_typeET2_T3_PNS13_IS18_E10value_typeET4_jRbjT5_S1E_jjP12ihipStream_tbEUljE_ZNSN_ISO_Lb1ESQ_SR_ST_SU_SY_EESZ_S10_S11_S12_S16_S17_S18_S1B_S1C_jS1D_jS1E_S1E_jjS1G_bEUljE0_EEESZ_S10_S11_S18_S1C_S1E_T6_T7_T9_mT8_S1G_bDpT10_ENKUlT_T0_E_clISt17integral_constantIbLb1EES1U_EEDaS1P_S1Q_EUlS1P_E_NS1_11comp_targetILNS1_3genE8ELNS1_11target_archE1030ELNS1_3gpuE2ELNS1_3repE0EEENS1_30default_config_static_selectorELNS0_4arch9wavefront6targetE1EEEvS12_.uses_flat_scratch, 0
	.set _ZN7rocprim17ROCPRIM_400000_NS6detail17trampoline_kernelINS0_13select_configILj256ELj13ELNS0_17block_load_methodE3ELS4_3ELS4_3ELNS0_20block_scan_algorithmE0ELj4294967295EEENS1_25partition_config_selectorILNS1_17partition_subalgoE4EjNS0_10empty_typeEbEEZZNS1_14partition_implILS8_4ELb0ES6_15HIP_vector_typeIjLj2EENS0_17counting_iteratorIjlEEPS9_SG_NS0_5tupleIJPjSI_NS0_16reverse_iteratorISI_EEEEENSH_IJSG_SG_SG_EEES9_SI_JZNS1_25segmented_radix_sort_implINS0_14default_configELb1EPKfPfPKlPlN2at6native12_GLOBAL__N_18offset_tEEE10hipError_tPvRmT1_PNSt15iterator_traitsIS12_E10value_typeET2_T3_PNS13_IS18_E10value_typeET4_jRbjT5_S1E_jjP12ihipStream_tbEUljE_ZNSN_ISO_Lb1ESQ_SR_ST_SU_SY_EESZ_S10_S11_S12_S16_S17_S18_S1B_S1C_jS1D_jS1E_S1E_jjS1G_bEUljE0_EEESZ_S10_S11_S18_S1C_S1E_T6_T7_T9_mT8_S1G_bDpT10_ENKUlT_T0_E_clISt17integral_constantIbLb1EES1U_EEDaS1P_S1Q_EUlS1P_E_NS1_11comp_targetILNS1_3genE8ELNS1_11target_archE1030ELNS1_3gpuE2ELNS1_3repE0EEENS1_30default_config_static_selectorELNS0_4arch9wavefront6targetE1EEEvS12_.has_dyn_sized_stack, 0
	.set _ZN7rocprim17ROCPRIM_400000_NS6detail17trampoline_kernelINS0_13select_configILj256ELj13ELNS0_17block_load_methodE3ELS4_3ELS4_3ELNS0_20block_scan_algorithmE0ELj4294967295EEENS1_25partition_config_selectorILNS1_17partition_subalgoE4EjNS0_10empty_typeEbEEZZNS1_14partition_implILS8_4ELb0ES6_15HIP_vector_typeIjLj2EENS0_17counting_iteratorIjlEEPS9_SG_NS0_5tupleIJPjSI_NS0_16reverse_iteratorISI_EEEEENSH_IJSG_SG_SG_EEES9_SI_JZNS1_25segmented_radix_sort_implINS0_14default_configELb1EPKfPfPKlPlN2at6native12_GLOBAL__N_18offset_tEEE10hipError_tPvRmT1_PNSt15iterator_traitsIS12_E10value_typeET2_T3_PNS13_IS18_E10value_typeET4_jRbjT5_S1E_jjP12ihipStream_tbEUljE_ZNSN_ISO_Lb1ESQ_SR_ST_SU_SY_EESZ_S10_S11_S12_S16_S17_S18_S1B_S1C_jS1D_jS1E_S1E_jjS1G_bEUljE0_EEESZ_S10_S11_S18_S1C_S1E_T6_T7_T9_mT8_S1G_bDpT10_ENKUlT_T0_E_clISt17integral_constantIbLb1EES1U_EEDaS1P_S1Q_EUlS1P_E_NS1_11comp_targetILNS1_3genE8ELNS1_11target_archE1030ELNS1_3gpuE2ELNS1_3repE0EEENS1_30default_config_static_selectorELNS0_4arch9wavefront6targetE1EEEvS12_.has_recursion, 0
	.set _ZN7rocprim17ROCPRIM_400000_NS6detail17trampoline_kernelINS0_13select_configILj256ELj13ELNS0_17block_load_methodE3ELS4_3ELS4_3ELNS0_20block_scan_algorithmE0ELj4294967295EEENS1_25partition_config_selectorILNS1_17partition_subalgoE4EjNS0_10empty_typeEbEEZZNS1_14partition_implILS8_4ELb0ES6_15HIP_vector_typeIjLj2EENS0_17counting_iteratorIjlEEPS9_SG_NS0_5tupleIJPjSI_NS0_16reverse_iteratorISI_EEEEENSH_IJSG_SG_SG_EEES9_SI_JZNS1_25segmented_radix_sort_implINS0_14default_configELb1EPKfPfPKlPlN2at6native12_GLOBAL__N_18offset_tEEE10hipError_tPvRmT1_PNSt15iterator_traitsIS12_E10value_typeET2_T3_PNS13_IS18_E10value_typeET4_jRbjT5_S1E_jjP12ihipStream_tbEUljE_ZNSN_ISO_Lb1ESQ_SR_ST_SU_SY_EESZ_S10_S11_S12_S16_S17_S18_S1B_S1C_jS1D_jS1E_S1E_jjS1G_bEUljE0_EEESZ_S10_S11_S18_S1C_S1E_T6_T7_T9_mT8_S1G_bDpT10_ENKUlT_T0_E_clISt17integral_constantIbLb1EES1U_EEDaS1P_S1Q_EUlS1P_E_NS1_11comp_targetILNS1_3genE8ELNS1_11target_archE1030ELNS1_3gpuE2ELNS1_3repE0EEENS1_30default_config_static_selectorELNS0_4arch9wavefront6targetE1EEEvS12_.has_indirect_call, 0
	.section	.AMDGPU.csdata,"",@progbits
; Kernel info:
; codeLenInByte = 0
; TotalNumSgprs: 4
; NumVgprs: 0
; ScratchSize: 0
; MemoryBound: 0
; FloatMode: 240
; IeeeMode: 1
; LDSByteSize: 0 bytes/workgroup (compile time only)
; SGPRBlocks: 0
; VGPRBlocks: 0
; NumSGPRsForWavesPerEU: 4
; NumVGPRsForWavesPerEU: 1
; Occupancy: 10
; WaveLimiterHint : 0
; COMPUTE_PGM_RSRC2:SCRATCH_EN: 0
; COMPUTE_PGM_RSRC2:USER_SGPR: 6
; COMPUTE_PGM_RSRC2:TRAP_HANDLER: 0
; COMPUTE_PGM_RSRC2:TGID_X_EN: 1
; COMPUTE_PGM_RSRC2:TGID_Y_EN: 0
; COMPUTE_PGM_RSRC2:TGID_Z_EN: 0
; COMPUTE_PGM_RSRC2:TIDIG_COMP_CNT: 0
	.section	.text._ZN7rocprim17ROCPRIM_400000_NS6detail17trampoline_kernelINS0_13select_configILj256ELj13ELNS0_17block_load_methodE3ELS4_3ELS4_3ELNS0_20block_scan_algorithmE0ELj4294967295EEENS1_25partition_config_selectorILNS1_17partition_subalgoE4EjNS0_10empty_typeEbEEZZNS1_14partition_implILS8_4ELb0ES6_15HIP_vector_typeIjLj2EENS0_17counting_iteratorIjlEEPS9_SG_NS0_5tupleIJPjSI_NS0_16reverse_iteratorISI_EEEEENSH_IJSG_SG_SG_EEES9_SI_JZNS1_25segmented_radix_sort_implINS0_14default_configELb1EPKfPfPKlPlN2at6native12_GLOBAL__N_18offset_tEEE10hipError_tPvRmT1_PNSt15iterator_traitsIS12_E10value_typeET2_T3_PNS13_IS18_E10value_typeET4_jRbjT5_S1E_jjP12ihipStream_tbEUljE_ZNSN_ISO_Lb1ESQ_SR_ST_SU_SY_EESZ_S10_S11_S12_S16_S17_S18_S1B_S1C_jS1D_jS1E_S1E_jjS1G_bEUljE0_EEESZ_S10_S11_S18_S1C_S1E_T6_T7_T9_mT8_S1G_bDpT10_ENKUlT_T0_E_clISt17integral_constantIbLb1EES1T_IbLb0EEEEDaS1P_S1Q_EUlS1P_E_NS1_11comp_targetILNS1_3genE0ELNS1_11target_archE4294967295ELNS1_3gpuE0ELNS1_3repE0EEENS1_30default_config_static_selectorELNS0_4arch9wavefront6targetE1EEEvS12_,"axG",@progbits,_ZN7rocprim17ROCPRIM_400000_NS6detail17trampoline_kernelINS0_13select_configILj256ELj13ELNS0_17block_load_methodE3ELS4_3ELS4_3ELNS0_20block_scan_algorithmE0ELj4294967295EEENS1_25partition_config_selectorILNS1_17partition_subalgoE4EjNS0_10empty_typeEbEEZZNS1_14partition_implILS8_4ELb0ES6_15HIP_vector_typeIjLj2EENS0_17counting_iteratorIjlEEPS9_SG_NS0_5tupleIJPjSI_NS0_16reverse_iteratorISI_EEEEENSH_IJSG_SG_SG_EEES9_SI_JZNS1_25segmented_radix_sort_implINS0_14default_configELb1EPKfPfPKlPlN2at6native12_GLOBAL__N_18offset_tEEE10hipError_tPvRmT1_PNSt15iterator_traitsIS12_E10value_typeET2_T3_PNS13_IS18_E10value_typeET4_jRbjT5_S1E_jjP12ihipStream_tbEUljE_ZNSN_ISO_Lb1ESQ_SR_ST_SU_SY_EESZ_S10_S11_S12_S16_S17_S18_S1B_S1C_jS1D_jS1E_S1E_jjS1G_bEUljE0_EEESZ_S10_S11_S18_S1C_S1E_T6_T7_T9_mT8_S1G_bDpT10_ENKUlT_T0_E_clISt17integral_constantIbLb1EES1T_IbLb0EEEEDaS1P_S1Q_EUlS1P_E_NS1_11comp_targetILNS1_3genE0ELNS1_11target_archE4294967295ELNS1_3gpuE0ELNS1_3repE0EEENS1_30default_config_static_selectorELNS0_4arch9wavefront6targetE1EEEvS12_,comdat
	.globl	_ZN7rocprim17ROCPRIM_400000_NS6detail17trampoline_kernelINS0_13select_configILj256ELj13ELNS0_17block_load_methodE3ELS4_3ELS4_3ELNS0_20block_scan_algorithmE0ELj4294967295EEENS1_25partition_config_selectorILNS1_17partition_subalgoE4EjNS0_10empty_typeEbEEZZNS1_14partition_implILS8_4ELb0ES6_15HIP_vector_typeIjLj2EENS0_17counting_iteratorIjlEEPS9_SG_NS0_5tupleIJPjSI_NS0_16reverse_iteratorISI_EEEEENSH_IJSG_SG_SG_EEES9_SI_JZNS1_25segmented_radix_sort_implINS0_14default_configELb1EPKfPfPKlPlN2at6native12_GLOBAL__N_18offset_tEEE10hipError_tPvRmT1_PNSt15iterator_traitsIS12_E10value_typeET2_T3_PNS13_IS18_E10value_typeET4_jRbjT5_S1E_jjP12ihipStream_tbEUljE_ZNSN_ISO_Lb1ESQ_SR_ST_SU_SY_EESZ_S10_S11_S12_S16_S17_S18_S1B_S1C_jS1D_jS1E_S1E_jjS1G_bEUljE0_EEESZ_S10_S11_S18_S1C_S1E_T6_T7_T9_mT8_S1G_bDpT10_ENKUlT_T0_E_clISt17integral_constantIbLb1EES1T_IbLb0EEEEDaS1P_S1Q_EUlS1P_E_NS1_11comp_targetILNS1_3genE0ELNS1_11target_archE4294967295ELNS1_3gpuE0ELNS1_3repE0EEENS1_30default_config_static_selectorELNS0_4arch9wavefront6targetE1EEEvS12_ ; -- Begin function _ZN7rocprim17ROCPRIM_400000_NS6detail17trampoline_kernelINS0_13select_configILj256ELj13ELNS0_17block_load_methodE3ELS4_3ELS4_3ELNS0_20block_scan_algorithmE0ELj4294967295EEENS1_25partition_config_selectorILNS1_17partition_subalgoE4EjNS0_10empty_typeEbEEZZNS1_14partition_implILS8_4ELb0ES6_15HIP_vector_typeIjLj2EENS0_17counting_iteratorIjlEEPS9_SG_NS0_5tupleIJPjSI_NS0_16reverse_iteratorISI_EEEEENSH_IJSG_SG_SG_EEES9_SI_JZNS1_25segmented_radix_sort_implINS0_14default_configELb1EPKfPfPKlPlN2at6native12_GLOBAL__N_18offset_tEEE10hipError_tPvRmT1_PNSt15iterator_traitsIS12_E10value_typeET2_T3_PNS13_IS18_E10value_typeET4_jRbjT5_S1E_jjP12ihipStream_tbEUljE_ZNSN_ISO_Lb1ESQ_SR_ST_SU_SY_EESZ_S10_S11_S12_S16_S17_S18_S1B_S1C_jS1D_jS1E_S1E_jjS1G_bEUljE0_EEESZ_S10_S11_S18_S1C_S1E_T6_T7_T9_mT8_S1G_bDpT10_ENKUlT_T0_E_clISt17integral_constantIbLb1EES1T_IbLb0EEEEDaS1P_S1Q_EUlS1P_E_NS1_11comp_targetILNS1_3genE0ELNS1_11target_archE4294967295ELNS1_3gpuE0ELNS1_3repE0EEENS1_30default_config_static_selectorELNS0_4arch9wavefront6targetE1EEEvS12_
	.p2align	8
	.type	_ZN7rocprim17ROCPRIM_400000_NS6detail17trampoline_kernelINS0_13select_configILj256ELj13ELNS0_17block_load_methodE3ELS4_3ELS4_3ELNS0_20block_scan_algorithmE0ELj4294967295EEENS1_25partition_config_selectorILNS1_17partition_subalgoE4EjNS0_10empty_typeEbEEZZNS1_14partition_implILS8_4ELb0ES6_15HIP_vector_typeIjLj2EENS0_17counting_iteratorIjlEEPS9_SG_NS0_5tupleIJPjSI_NS0_16reverse_iteratorISI_EEEEENSH_IJSG_SG_SG_EEES9_SI_JZNS1_25segmented_radix_sort_implINS0_14default_configELb1EPKfPfPKlPlN2at6native12_GLOBAL__N_18offset_tEEE10hipError_tPvRmT1_PNSt15iterator_traitsIS12_E10value_typeET2_T3_PNS13_IS18_E10value_typeET4_jRbjT5_S1E_jjP12ihipStream_tbEUljE_ZNSN_ISO_Lb1ESQ_SR_ST_SU_SY_EESZ_S10_S11_S12_S16_S17_S18_S1B_S1C_jS1D_jS1E_S1E_jjS1G_bEUljE0_EEESZ_S10_S11_S18_S1C_S1E_T6_T7_T9_mT8_S1G_bDpT10_ENKUlT_T0_E_clISt17integral_constantIbLb1EES1T_IbLb0EEEEDaS1P_S1Q_EUlS1P_E_NS1_11comp_targetILNS1_3genE0ELNS1_11target_archE4294967295ELNS1_3gpuE0ELNS1_3repE0EEENS1_30default_config_static_selectorELNS0_4arch9wavefront6targetE1EEEvS12_,@function
_ZN7rocprim17ROCPRIM_400000_NS6detail17trampoline_kernelINS0_13select_configILj256ELj13ELNS0_17block_load_methodE3ELS4_3ELS4_3ELNS0_20block_scan_algorithmE0ELj4294967295EEENS1_25partition_config_selectorILNS1_17partition_subalgoE4EjNS0_10empty_typeEbEEZZNS1_14partition_implILS8_4ELb0ES6_15HIP_vector_typeIjLj2EENS0_17counting_iteratorIjlEEPS9_SG_NS0_5tupleIJPjSI_NS0_16reverse_iteratorISI_EEEEENSH_IJSG_SG_SG_EEES9_SI_JZNS1_25segmented_radix_sort_implINS0_14default_configELb1EPKfPfPKlPlN2at6native12_GLOBAL__N_18offset_tEEE10hipError_tPvRmT1_PNSt15iterator_traitsIS12_E10value_typeET2_T3_PNS13_IS18_E10value_typeET4_jRbjT5_S1E_jjP12ihipStream_tbEUljE_ZNSN_ISO_Lb1ESQ_SR_ST_SU_SY_EESZ_S10_S11_S12_S16_S17_S18_S1B_S1C_jS1D_jS1E_S1E_jjS1G_bEUljE0_EEESZ_S10_S11_S18_S1C_S1E_T6_T7_T9_mT8_S1G_bDpT10_ENKUlT_T0_E_clISt17integral_constantIbLb1EES1T_IbLb0EEEEDaS1P_S1Q_EUlS1P_E_NS1_11comp_targetILNS1_3genE0ELNS1_11target_archE4294967295ELNS1_3gpuE0ELNS1_3repE0EEENS1_30default_config_static_selectorELNS0_4arch9wavefront6targetE1EEEvS12_: ; @_ZN7rocprim17ROCPRIM_400000_NS6detail17trampoline_kernelINS0_13select_configILj256ELj13ELNS0_17block_load_methodE3ELS4_3ELS4_3ELNS0_20block_scan_algorithmE0ELj4294967295EEENS1_25partition_config_selectorILNS1_17partition_subalgoE4EjNS0_10empty_typeEbEEZZNS1_14partition_implILS8_4ELb0ES6_15HIP_vector_typeIjLj2EENS0_17counting_iteratorIjlEEPS9_SG_NS0_5tupleIJPjSI_NS0_16reverse_iteratorISI_EEEEENSH_IJSG_SG_SG_EEES9_SI_JZNS1_25segmented_radix_sort_implINS0_14default_configELb1EPKfPfPKlPlN2at6native12_GLOBAL__N_18offset_tEEE10hipError_tPvRmT1_PNSt15iterator_traitsIS12_E10value_typeET2_T3_PNS13_IS18_E10value_typeET4_jRbjT5_S1E_jjP12ihipStream_tbEUljE_ZNSN_ISO_Lb1ESQ_SR_ST_SU_SY_EESZ_S10_S11_S12_S16_S17_S18_S1B_S1C_jS1D_jS1E_S1E_jjS1G_bEUljE0_EEESZ_S10_S11_S18_S1C_S1E_T6_T7_T9_mT8_S1G_bDpT10_ENKUlT_T0_E_clISt17integral_constantIbLb1EES1T_IbLb0EEEEDaS1P_S1Q_EUlS1P_E_NS1_11comp_targetILNS1_3genE0ELNS1_11target_archE4294967295ELNS1_3gpuE0ELNS1_3repE0EEENS1_30default_config_static_selectorELNS0_4arch9wavefront6targetE1EEEvS12_
; %bb.0:
	.section	.rodata,"a",@progbits
	.p2align	6, 0x0
	.amdhsa_kernel _ZN7rocprim17ROCPRIM_400000_NS6detail17trampoline_kernelINS0_13select_configILj256ELj13ELNS0_17block_load_methodE3ELS4_3ELS4_3ELNS0_20block_scan_algorithmE0ELj4294967295EEENS1_25partition_config_selectorILNS1_17partition_subalgoE4EjNS0_10empty_typeEbEEZZNS1_14partition_implILS8_4ELb0ES6_15HIP_vector_typeIjLj2EENS0_17counting_iteratorIjlEEPS9_SG_NS0_5tupleIJPjSI_NS0_16reverse_iteratorISI_EEEEENSH_IJSG_SG_SG_EEES9_SI_JZNS1_25segmented_radix_sort_implINS0_14default_configELb1EPKfPfPKlPlN2at6native12_GLOBAL__N_18offset_tEEE10hipError_tPvRmT1_PNSt15iterator_traitsIS12_E10value_typeET2_T3_PNS13_IS18_E10value_typeET4_jRbjT5_S1E_jjP12ihipStream_tbEUljE_ZNSN_ISO_Lb1ESQ_SR_ST_SU_SY_EESZ_S10_S11_S12_S16_S17_S18_S1B_S1C_jS1D_jS1E_S1E_jjS1G_bEUljE0_EEESZ_S10_S11_S18_S1C_S1E_T6_T7_T9_mT8_S1G_bDpT10_ENKUlT_T0_E_clISt17integral_constantIbLb1EES1T_IbLb0EEEEDaS1P_S1Q_EUlS1P_E_NS1_11comp_targetILNS1_3genE0ELNS1_11target_archE4294967295ELNS1_3gpuE0ELNS1_3repE0EEENS1_30default_config_static_selectorELNS0_4arch9wavefront6targetE1EEEvS12_
		.amdhsa_group_segment_fixed_size 0
		.amdhsa_private_segment_fixed_size 0
		.amdhsa_kernarg_size 176
		.amdhsa_user_sgpr_count 6
		.amdhsa_user_sgpr_private_segment_buffer 1
		.amdhsa_user_sgpr_dispatch_ptr 0
		.amdhsa_user_sgpr_queue_ptr 0
		.amdhsa_user_sgpr_kernarg_segment_ptr 1
		.amdhsa_user_sgpr_dispatch_id 0
		.amdhsa_user_sgpr_flat_scratch_init 0
		.amdhsa_user_sgpr_private_segment_size 0
		.amdhsa_uses_dynamic_stack 0
		.amdhsa_system_sgpr_private_segment_wavefront_offset 0
		.amdhsa_system_sgpr_workgroup_id_x 1
		.amdhsa_system_sgpr_workgroup_id_y 0
		.amdhsa_system_sgpr_workgroup_id_z 0
		.amdhsa_system_sgpr_workgroup_info 0
		.amdhsa_system_vgpr_workitem_id 0
		.amdhsa_next_free_vgpr 1
		.amdhsa_next_free_sgpr 0
		.amdhsa_reserve_vcc 0
		.amdhsa_reserve_flat_scratch 0
		.amdhsa_float_round_mode_32 0
		.amdhsa_float_round_mode_16_64 0
		.amdhsa_float_denorm_mode_32 3
		.amdhsa_float_denorm_mode_16_64 3
		.amdhsa_dx10_clamp 1
		.amdhsa_ieee_mode 1
		.amdhsa_fp16_overflow 0
		.amdhsa_exception_fp_ieee_invalid_op 0
		.amdhsa_exception_fp_denorm_src 0
		.amdhsa_exception_fp_ieee_div_zero 0
		.amdhsa_exception_fp_ieee_overflow 0
		.amdhsa_exception_fp_ieee_underflow 0
		.amdhsa_exception_fp_ieee_inexact 0
		.amdhsa_exception_int_div_zero 0
	.end_amdhsa_kernel
	.section	.text._ZN7rocprim17ROCPRIM_400000_NS6detail17trampoline_kernelINS0_13select_configILj256ELj13ELNS0_17block_load_methodE3ELS4_3ELS4_3ELNS0_20block_scan_algorithmE0ELj4294967295EEENS1_25partition_config_selectorILNS1_17partition_subalgoE4EjNS0_10empty_typeEbEEZZNS1_14partition_implILS8_4ELb0ES6_15HIP_vector_typeIjLj2EENS0_17counting_iteratorIjlEEPS9_SG_NS0_5tupleIJPjSI_NS0_16reverse_iteratorISI_EEEEENSH_IJSG_SG_SG_EEES9_SI_JZNS1_25segmented_radix_sort_implINS0_14default_configELb1EPKfPfPKlPlN2at6native12_GLOBAL__N_18offset_tEEE10hipError_tPvRmT1_PNSt15iterator_traitsIS12_E10value_typeET2_T3_PNS13_IS18_E10value_typeET4_jRbjT5_S1E_jjP12ihipStream_tbEUljE_ZNSN_ISO_Lb1ESQ_SR_ST_SU_SY_EESZ_S10_S11_S12_S16_S17_S18_S1B_S1C_jS1D_jS1E_S1E_jjS1G_bEUljE0_EEESZ_S10_S11_S18_S1C_S1E_T6_T7_T9_mT8_S1G_bDpT10_ENKUlT_T0_E_clISt17integral_constantIbLb1EES1T_IbLb0EEEEDaS1P_S1Q_EUlS1P_E_NS1_11comp_targetILNS1_3genE0ELNS1_11target_archE4294967295ELNS1_3gpuE0ELNS1_3repE0EEENS1_30default_config_static_selectorELNS0_4arch9wavefront6targetE1EEEvS12_,"axG",@progbits,_ZN7rocprim17ROCPRIM_400000_NS6detail17trampoline_kernelINS0_13select_configILj256ELj13ELNS0_17block_load_methodE3ELS4_3ELS4_3ELNS0_20block_scan_algorithmE0ELj4294967295EEENS1_25partition_config_selectorILNS1_17partition_subalgoE4EjNS0_10empty_typeEbEEZZNS1_14partition_implILS8_4ELb0ES6_15HIP_vector_typeIjLj2EENS0_17counting_iteratorIjlEEPS9_SG_NS0_5tupleIJPjSI_NS0_16reverse_iteratorISI_EEEEENSH_IJSG_SG_SG_EEES9_SI_JZNS1_25segmented_radix_sort_implINS0_14default_configELb1EPKfPfPKlPlN2at6native12_GLOBAL__N_18offset_tEEE10hipError_tPvRmT1_PNSt15iterator_traitsIS12_E10value_typeET2_T3_PNS13_IS18_E10value_typeET4_jRbjT5_S1E_jjP12ihipStream_tbEUljE_ZNSN_ISO_Lb1ESQ_SR_ST_SU_SY_EESZ_S10_S11_S12_S16_S17_S18_S1B_S1C_jS1D_jS1E_S1E_jjS1G_bEUljE0_EEESZ_S10_S11_S18_S1C_S1E_T6_T7_T9_mT8_S1G_bDpT10_ENKUlT_T0_E_clISt17integral_constantIbLb1EES1T_IbLb0EEEEDaS1P_S1Q_EUlS1P_E_NS1_11comp_targetILNS1_3genE0ELNS1_11target_archE4294967295ELNS1_3gpuE0ELNS1_3repE0EEENS1_30default_config_static_selectorELNS0_4arch9wavefront6targetE1EEEvS12_,comdat
.Lfunc_end1277:
	.size	_ZN7rocprim17ROCPRIM_400000_NS6detail17trampoline_kernelINS0_13select_configILj256ELj13ELNS0_17block_load_methodE3ELS4_3ELS4_3ELNS0_20block_scan_algorithmE0ELj4294967295EEENS1_25partition_config_selectorILNS1_17partition_subalgoE4EjNS0_10empty_typeEbEEZZNS1_14partition_implILS8_4ELb0ES6_15HIP_vector_typeIjLj2EENS0_17counting_iteratorIjlEEPS9_SG_NS0_5tupleIJPjSI_NS0_16reverse_iteratorISI_EEEEENSH_IJSG_SG_SG_EEES9_SI_JZNS1_25segmented_radix_sort_implINS0_14default_configELb1EPKfPfPKlPlN2at6native12_GLOBAL__N_18offset_tEEE10hipError_tPvRmT1_PNSt15iterator_traitsIS12_E10value_typeET2_T3_PNS13_IS18_E10value_typeET4_jRbjT5_S1E_jjP12ihipStream_tbEUljE_ZNSN_ISO_Lb1ESQ_SR_ST_SU_SY_EESZ_S10_S11_S12_S16_S17_S18_S1B_S1C_jS1D_jS1E_S1E_jjS1G_bEUljE0_EEESZ_S10_S11_S18_S1C_S1E_T6_T7_T9_mT8_S1G_bDpT10_ENKUlT_T0_E_clISt17integral_constantIbLb1EES1T_IbLb0EEEEDaS1P_S1Q_EUlS1P_E_NS1_11comp_targetILNS1_3genE0ELNS1_11target_archE4294967295ELNS1_3gpuE0ELNS1_3repE0EEENS1_30default_config_static_selectorELNS0_4arch9wavefront6targetE1EEEvS12_, .Lfunc_end1277-_ZN7rocprim17ROCPRIM_400000_NS6detail17trampoline_kernelINS0_13select_configILj256ELj13ELNS0_17block_load_methodE3ELS4_3ELS4_3ELNS0_20block_scan_algorithmE0ELj4294967295EEENS1_25partition_config_selectorILNS1_17partition_subalgoE4EjNS0_10empty_typeEbEEZZNS1_14partition_implILS8_4ELb0ES6_15HIP_vector_typeIjLj2EENS0_17counting_iteratorIjlEEPS9_SG_NS0_5tupleIJPjSI_NS0_16reverse_iteratorISI_EEEEENSH_IJSG_SG_SG_EEES9_SI_JZNS1_25segmented_radix_sort_implINS0_14default_configELb1EPKfPfPKlPlN2at6native12_GLOBAL__N_18offset_tEEE10hipError_tPvRmT1_PNSt15iterator_traitsIS12_E10value_typeET2_T3_PNS13_IS18_E10value_typeET4_jRbjT5_S1E_jjP12ihipStream_tbEUljE_ZNSN_ISO_Lb1ESQ_SR_ST_SU_SY_EESZ_S10_S11_S12_S16_S17_S18_S1B_S1C_jS1D_jS1E_S1E_jjS1G_bEUljE0_EEESZ_S10_S11_S18_S1C_S1E_T6_T7_T9_mT8_S1G_bDpT10_ENKUlT_T0_E_clISt17integral_constantIbLb1EES1T_IbLb0EEEEDaS1P_S1Q_EUlS1P_E_NS1_11comp_targetILNS1_3genE0ELNS1_11target_archE4294967295ELNS1_3gpuE0ELNS1_3repE0EEENS1_30default_config_static_selectorELNS0_4arch9wavefront6targetE1EEEvS12_
                                        ; -- End function
	.set _ZN7rocprim17ROCPRIM_400000_NS6detail17trampoline_kernelINS0_13select_configILj256ELj13ELNS0_17block_load_methodE3ELS4_3ELS4_3ELNS0_20block_scan_algorithmE0ELj4294967295EEENS1_25partition_config_selectorILNS1_17partition_subalgoE4EjNS0_10empty_typeEbEEZZNS1_14partition_implILS8_4ELb0ES6_15HIP_vector_typeIjLj2EENS0_17counting_iteratorIjlEEPS9_SG_NS0_5tupleIJPjSI_NS0_16reverse_iteratorISI_EEEEENSH_IJSG_SG_SG_EEES9_SI_JZNS1_25segmented_radix_sort_implINS0_14default_configELb1EPKfPfPKlPlN2at6native12_GLOBAL__N_18offset_tEEE10hipError_tPvRmT1_PNSt15iterator_traitsIS12_E10value_typeET2_T3_PNS13_IS18_E10value_typeET4_jRbjT5_S1E_jjP12ihipStream_tbEUljE_ZNSN_ISO_Lb1ESQ_SR_ST_SU_SY_EESZ_S10_S11_S12_S16_S17_S18_S1B_S1C_jS1D_jS1E_S1E_jjS1G_bEUljE0_EEESZ_S10_S11_S18_S1C_S1E_T6_T7_T9_mT8_S1G_bDpT10_ENKUlT_T0_E_clISt17integral_constantIbLb1EES1T_IbLb0EEEEDaS1P_S1Q_EUlS1P_E_NS1_11comp_targetILNS1_3genE0ELNS1_11target_archE4294967295ELNS1_3gpuE0ELNS1_3repE0EEENS1_30default_config_static_selectorELNS0_4arch9wavefront6targetE1EEEvS12_.num_vgpr, 0
	.set _ZN7rocprim17ROCPRIM_400000_NS6detail17trampoline_kernelINS0_13select_configILj256ELj13ELNS0_17block_load_methodE3ELS4_3ELS4_3ELNS0_20block_scan_algorithmE0ELj4294967295EEENS1_25partition_config_selectorILNS1_17partition_subalgoE4EjNS0_10empty_typeEbEEZZNS1_14partition_implILS8_4ELb0ES6_15HIP_vector_typeIjLj2EENS0_17counting_iteratorIjlEEPS9_SG_NS0_5tupleIJPjSI_NS0_16reverse_iteratorISI_EEEEENSH_IJSG_SG_SG_EEES9_SI_JZNS1_25segmented_radix_sort_implINS0_14default_configELb1EPKfPfPKlPlN2at6native12_GLOBAL__N_18offset_tEEE10hipError_tPvRmT1_PNSt15iterator_traitsIS12_E10value_typeET2_T3_PNS13_IS18_E10value_typeET4_jRbjT5_S1E_jjP12ihipStream_tbEUljE_ZNSN_ISO_Lb1ESQ_SR_ST_SU_SY_EESZ_S10_S11_S12_S16_S17_S18_S1B_S1C_jS1D_jS1E_S1E_jjS1G_bEUljE0_EEESZ_S10_S11_S18_S1C_S1E_T6_T7_T9_mT8_S1G_bDpT10_ENKUlT_T0_E_clISt17integral_constantIbLb1EES1T_IbLb0EEEEDaS1P_S1Q_EUlS1P_E_NS1_11comp_targetILNS1_3genE0ELNS1_11target_archE4294967295ELNS1_3gpuE0ELNS1_3repE0EEENS1_30default_config_static_selectorELNS0_4arch9wavefront6targetE1EEEvS12_.num_agpr, 0
	.set _ZN7rocprim17ROCPRIM_400000_NS6detail17trampoline_kernelINS0_13select_configILj256ELj13ELNS0_17block_load_methodE3ELS4_3ELS4_3ELNS0_20block_scan_algorithmE0ELj4294967295EEENS1_25partition_config_selectorILNS1_17partition_subalgoE4EjNS0_10empty_typeEbEEZZNS1_14partition_implILS8_4ELb0ES6_15HIP_vector_typeIjLj2EENS0_17counting_iteratorIjlEEPS9_SG_NS0_5tupleIJPjSI_NS0_16reverse_iteratorISI_EEEEENSH_IJSG_SG_SG_EEES9_SI_JZNS1_25segmented_radix_sort_implINS0_14default_configELb1EPKfPfPKlPlN2at6native12_GLOBAL__N_18offset_tEEE10hipError_tPvRmT1_PNSt15iterator_traitsIS12_E10value_typeET2_T3_PNS13_IS18_E10value_typeET4_jRbjT5_S1E_jjP12ihipStream_tbEUljE_ZNSN_ISO_Lb1ESQ_SR_ST_SU_SY_EESZ_S10_S11_S12_S16_S17_S18_S1B_S1C_jS1D_jS1E_S1E_jjS1G_bEUljE0_EEESZ_S10_S11_S18_S1C_S1E_T6_T7_T9_mT8_S1G_bDpT10_ENKUlT_T0_E_clISt17integral_constantIbLb1EES1T_IbLb0EEEEDaS1P_S1Q_EUlS1P_E_NS1_11comp_targetILNS1_3genE0ELNS1_11target_archE4294967295ELNS1_3gpuE0ELNS1_3repE0EEENS1_30default_config_static_selectorELNS0_4arch9wavefront6targetE1EEEvS12_.numbered_sgpr, 0
	.set _ZN7rocprim17ROCPRIM_400000_NS6detail17trampoline_kernelINS0_13select_configILj256ELj13ELNS0_17block_load_methodE3ELS4_3ELS4_3ELNS0_20block_scan_algorithmE0ELj4294967295EEENS1_25partition_config_selectorILNS1_17partition_subalgoE4EjNS0_10empty_typeEbEEZZNS1_14partition_implILS8_4ELb0ES6_15HIP_vector_typeIjLj2EENS0_17counting_iteratorIjlEEPS9_SG_NS0_5tupleIJPjSI_NS0_16reverse_iteratorISI_EEEEENSH_IJSG_SG_SG_EEES9_SI_JZNS1_25segmented_radix_sort_implINS0_14default_configELb1EPKfPfPKlPlN2at6native12_GLOBAL__N_18offset_tEEE10hipError_tPvRmT1_PNSt15iterator_traitsIS12_E10value_typeET2_T3_PNS13_IS18_E10value_typeET4_jRbjT5_S1E_jjP12ihipStream_tbEUljE_ZNSN_ISO_Lb1ESQ_SR_ST_SU_SY_EESZ_S10_S11_S12_S16_S17_S18_S1B_S1C_jS1D_jS1E_S1E_jjS1G_bEUljE0_EEESZ_S10_S11_S18_S1C_S1E_T6_T7_T9_mT8_S1G_bDpT10_ENKUlT_T0_E_clISt17integral_constantIbLb1EES1T_IbLb0EEEEDaS1P_S1Q_EUlS1P_E_NS1_11comp_targetILNS1_3genE0ELNS1_11target_archE4294967295ELNS1_3gpuE0ELNS1_3repE0EEENS1_30default_config_static_selectorELNS0_4arch9wavefront6targetE1EEEvS12_.num_named_barrier, 0
	.set _ZN7rocprim17ROCPRIM_400000_NS6detail17trampoline_kernelINS0_13select_configILj256ELj13ELNS0_17block_load_methodE3ELS4_3ELS4_3ELNS0_20block_scan_algorithmE0ELj4294967295EEENS1_25partition_config_selectorILNS1_17partition_subalgoE4EjNS0_10empty_typeEbEEZZNS1_14partition_implILS8_4ELb0ES6_15HIP_vector_typeIjLj2EENS0_17counting_iteratorIjlEEPS9_SG_NS0_5tupleIJPjSI_NS0_16reverse_iteratorISI_EEEEENSH_IJSG_SG_SG_EEES9_SI_JZNS1_25segmented_radix_sort_implINS0_14default_configELb1EPKfPfPKlPlN2at6native12_GLOBAL__N_18offset_tEEE10hipError_tPvRmT1_PNSt15iterator_traitsIS12_E10value_typeET2_T3_PNS13_IS18_E10value_typeET4_jRbjT5_S1E_jjP12ihipStream_tbEUljE_ZNSN_ISO_Lb1ESQ_SR_ST_SU_SY_EESZ_S10_S11_S12_S16_S17_S18_S1B_S1C_jS1D_jS1E_S1E_jjS1G_bEUljE0_EEESZ_S10_S11_S18_S1C_S1E_T6_T7_T9_mT8_S1G_bDpT10_ENKUlT_T0_E_clISt17integral_constantIbLb1EES1T_IbLb0EEEEDaS1P_S1Q_EUlS1P_E_NS1_11comp_targetILNS1_3genE0ELNS1_11target_archE4294967295ELNS1_3gpuE0ELNS1_3repE0EEENS1_30default_config_static_selectorELNS0_4arch9wavefront6targetE1EEEvS12_.private_seg_size, 0
	.set _ZN7rocprim17ROCPRIM_400000_NS6detail17trampoline_kernelINS0_13select_configILj256ELj13ELNS0_17block_load_methodE3ELS4_3ELS4_3ELNS0_20block_scan_algorithmE0ELj4294967295EEENS1_25partition_config_selectorILNS1_17partition_subalgoE4EjNS0_10empty_typeEbEEZZNS1_14partition_implILS8_4ELb0ES6_15HIP_vector_typeIjLj2EENS0_17counting_iteratorIjlEEPS9_SG_NS0_5tupleIJPjSI_NS0_16reverse_iteratorISI_EEEEENSH_IJSG_SG_SG_EEES9_SI_JZNS1_25segmented_radix_sort_implINS0_14default_configELb1EPKfPfPKlPlN2at6native12_GLOBAL__N_18offset_tEEE10hipError_tPvRmT1_PNSt15iterator_traitsIS12_E10value_typeET2_T3_PNS13_IS18_E10value_typeET4_jRbjT5_S1E_jjP12ihipStream_tbEUljE_ZNSN_ISO_Lb1ESQ_SR_ST_SU_SY_EESZ_S10_S11_S12_S16_S17_S18_S1B_S1C_jS1D_jS1E_S1E_jjS1G_bEUljE0_EEESZ_S10_S11_S18_S1C_S1E_T6_T7_T9_mT8_S1G_bDpT10_ENKUlT_T0_E_clISt17integral_constantIbLb1EES1T_IbLb0EEEEDaS1P_S1Q_EUlS1P_E_NS1_11comp_targetILNS1_3genE0ELNS1_11target_archE4294967295ELNS1_3gpuE0ELNS1_3repE0EEENS1_30default_config_static_selectorELNS0_4arch9wavefront6targetE1EEEvS12_.uses_vcc, 0
	.set _ZN7rocprim17ROCPRIM_400000_NS6detail17trampoline_kernelINS0_13select_configILj256ELj13ELNS0_17block_load_methodE3ELS4_3ELS4_3ELNS0_20block_scan_algorithmE0ELj4294967295EEENS1_25partition_config_selectorILNS1_17partition_subalgoE4EjNS0_10empty_typeEbEEZZNS1_14partition_implILS8_4ELb0ES6_15HIP_vector_typeIjLj2EENS0_17counting_iteratorIjlEEPS9_SG_NS0_5tupleIJPjSI_NS0_16reverse_iteratorISI_EEEEENSH_IJSG_SG_SG_EEES9_SI_JZNS1_25segmented_radix_sort_implINS0_14default_configELb1EPKfPfPKlPlN2at6native12_GLOBAL__N_18offset_tEEE10hipError_tPvRmT1_PNSt15iterator_traitsIS12_E10value_typeET2_T3_PNS13_IS18_E10value_typeET4_jRbjT5_S1E_jjP12ihipStream_tbEUljE_ZNSN_ISO_Lb1ESQ_SR_ST_SU_SY_EESZ_S10_S11_S12_S16_S17_S18_S1B_S1C_jS1D_jS1E_S1E_jjS1G_bEUljE0_EEESZ_S10_S11_S18_S1C_S1E_T6_T7_T9_mT8_S1G_bDpT10_ENKUlT_T0_E_clISt17integral_constantIbLb1EES1T_IbLb0EEEEDaS1P_S1Q_EUlS1P_E_NS1_11comp_targetILNS1_3genE0ELNS1_11target_archE4294967295ELNS1_3gpuE0ELNS1_3repE0EEENS1_30default_config_static_selectorELNS0_4arch9wavefront6targetE1EEEvS12_.uses_flat_scratch, 0
	.set _ZN7rocprim17ROCPRIM_400000_NS6detail17trampoline_kernelINS0_13select_configILj256ELj13ELNS0_17block_load_methodE3ELS4_3ELS4_3ELNS0_20block_scan_algorithmE0ELj4294967295EEENS1_25partition_config_selectorILNS1_17partition_subalgoE4EjNS0_10empty_typeEbEEZZNS1_14partition_implILS8_4ELb0ES6_15HIP_vector_typeIjLj2EENS0_17counting_iteratorIjlEEPS9_SG_NS0_5tupleIJPjSI_NS0_16reverse_iteratorISI_EEEEENSH_IJSG_SG_SG_EEES9_SI_JZNS1_25segmented_radix_sort_implINS0_14default_configELb1EPKfPfPKlPlN2at6native12_GLOBAL__N_18offset_tEEE10hipError_tPvRmT1_PNSt15iterator_traitsIS12_E10value_typeET2_T3_PNS13_IS18_E10value_typeET4_jRbjT5_S1E_jjP12ihipStream_tbEUljE_ZNSN_ISO_Lb1ESQ_SR_ST_SU_SY_EESZ_S10_S11_S12_S16_S17_S18_S1B_S1C_jS1D_jS1E_S1E_jjS1G_bEUljE0_EEESZ_S10_S11_S18_S1C_S1E_T6_T7_T9_mT8_S1G_bDpT10_ENKUlT_T0_E_clISt17integral_constantIbLb1EES1T_IbLb0EEEEDaS1P_S1Q_EUlS1P_E_NS1_11comp_targetILNS1_3genE0ELNS1_11target_archE4294967295ELNS1_3gpuE0ELNS1_3repE0EEENS1_30default_config_static_selectorELNS0_4arch9wavefront6targetE1EEEvS12_.has_dyn_sized_stack, 0
	.set _ZN7rocprim17ROCPRIM_400000_NS6detail17trampoline_kernelINS0_13select_configILj256ELj13ELNS0_17block_load_methodE3ELS4_3ELS4_3ELNS0_20block_scan_algorithmE0ELj4294967295EEENS1_25partition_config_selectorILNS1_17partition_subalgoE4EjNS0_10empty_typeEbEEZZNS1_14partition_implILS8_4ELb0ES6_15HIP_vector_typeIjLj2EENS0_17counting_iteratorIjlEEPS9_SG_NS0_5tupleIJPjSI_NS0_16reverse_iteratorISI_EEEEENSH_IJSG_SG_SG_EEES9_SI_JZNS1_25segmented_radix_sort_implINS0_14default_configELb1EPKfPfPKlPlN2at6native12_GLOBAL__N_18offset_tEEE10hipError_tPvRmT1_PNSt15iterator_traitsIS12_E10value_typeET2_T3_PNS13_IS18_E10value_typeET4_jRbjT5_S1E_jjP12ihipStream_tbEUljE_ZNSN_ISO_Lb1ESQ_SR_ST_SU_SY_EESZ_S10_S11_S12_S16_S17_S18_S1B_S1C_jS1D_jS1E_S1E_jjS1G_bEUljE0_EEESZ_S10_S11_S18_S1C_S1E_T6_T7_T9_mT8_S1G_bDpT10_ENKUlT_T0_E_clISt17integral_constantIbLb1EES1T_IbLb0EEEEDaS1P_S1Q_EUlS1P_E_NS1_11comp_targetILNS1_3genE0ELNS1_11target_archE4294967295ELNS1_3gpuE0ELNS1_3repE0EEENS1_30default_config_static_selectorELNS0_4arch9wavefront6targetE1EEEvS12_.has_recursion, 0
	.set _ZN7rocprim17ROCPRIM_400000_NS6detail17trampoline_kernelINS0_13select_configILj256ELj13ELNS0_17block_load_methodE3ELS4_3ELS4_3ELNS0_20block_scan_algorithmE0ELj4294967295EEENS1_25partition_config_selectorILNS1_17partition_subalgoE4EjNS0_10empty_typeEbEEZZNS1_14partition_implILS8_4ELb0ES6_15HIP_vector_typeIjLj2EENS0_17counting_iteratorIjlEEPS9_SG_NS0_5tupleIJPjSI_NS0_16reverse_iteratorISI_EEEEENSH_IJSG_SG_SG_EEES9_SI_JZNS1_25segmented_radix_sort_implINS0_14default_configELb1EPKfPfPKlPlN2at6native12_GLOBAL__N_18offset_tEEE10hipError_tPvRmT1_PNSt15iterator_traitsIS12_E10value_typeET2_T3_PNS13_IS18_E10value_typeET4_jRbjT5_S1E_jjP12ihipStream_tbEUljE_ZNSN_ISO_Lb1ESQ_SR_ST_SU_SY_EESZ_S10_S11_S12_S16_S17_S18_S1B_S1C_jS1D_jS1E_S1E_jjS1G_bEUljE0_EEESZ_S10_S11_S18_S1C_S1E_T6_T7_T9_mT8_S1G_bDpT10_ENKUlT_T0_E_clISt17integral_constantIbLb1EES1T_IbLb0EEEEDaS1P_S1Q_EUlS1P_E_NS1_11comp_targetILNS1_3genE0ELNS1_11target_archE4294967295ELNS1_3gpuE0ELNS1_3repE0EEENS1_30default_config_static_selectorELNS0_4arch9wavefront6targetE1EEEvS12_.has_indirect_call, 0
	.section	.AMDGPU.csdata,"",@progbits
; Kernel info:
; codeLenInByte = 0
; TotalNumSgprs: 4
; NumVgprs: 0
; ScratchSize: 0
; MemoryBound: 0
; FloatMode: 240
; IeeeMode: 1
; LDSByteSize: 0 bytes/workgroup (compile time only)
; SGPRBlocks: 0
; VGPRBlocks: 0
; NumSGPRsForWavesPerEU: 4
; NumVGPRsForWavesPerEU: 1
; Occupancy: 10
; WaveLimiterHint : 0
; COMPUTE_PGM_RSRC2:SCRATCH_EN: 0
; COMPUTE_PGM_RSRC2:USER_SGPR: 6
; COMPUTE_PGM_RSRC2:TRAP_HANDLER: 0
; COMPUTE_PGM_RSRC2:TGID_X_EN: 1
; COMPUTE_PGM_RSRC2:TGID_Y_EN: 0
; COMPUTE_PGM_RSRC2:TGID_Z_EN: 0
; COMPUTE_PGM_RSRC2:TIDIG_COMP_CNT: 0
	.section	.text._ZN7rocprim17ROCPRIM_400000_NS6detail17trampoline_kernelINS0_13select_configILj256ELj13ELNS0_17block_load_methodE3ELS4_3ELS4_3ELNS0_20block_scan_algorithmE0ELj4294967295EEENS1_25partition_config_selectorILNS1_17partition_subalgoE4EjNS0_10empty_typeEbEEZZNS1_14partition_implILS8_4ELb0ES6_15HIP_vector_typeIjLj2EENS0_17counting_iteratorIjlEEPS9_SG_NS0_5tupleIJPjSI_NS0_16reverse_iteratorISI_EEEEENSH_IJSG_SG_SG_EEES9_SI_JZNS1_25segmented_radix_sort_implINS0_14default_configELb1EPKfPfPKlPlN2at6native12_GLOBAL__N_18offset_tEEE10hipError_tPvRmT1_PNSt15iterator_traitsIS12_E10value_typeET2_T3_PNS13_IS18_E10value_typeET4_jRbjT5_S1E_jjP12ihipStream_tbEUljE_ZNSN_ISO_Lb1ESQ_SR_ST_SU_SY_EESZ_S10_S11_S12_S16_S17_S18_S1B_S1C_jS1D_jS1E_S1E_jjS1G_bEUljE0_EEESZ_S10_S11_S18_S1C_S1E_T6_T7_T9_mT8_S1G_bDpT10_ENKUlT_T0_E_clISt17integral_constantIbLb1EES1T_IbLb0EEEEDaS1P_S1Q_EUlS1P_E_NS1_11comp_targetILNS1_3genE5ELNS1_11target_archE942ELNS1_3gpuE9ELNS1_3repE0EEENS1_30default_config_static_selectorELNS0_4arch9wavefront6targetE1EEEvS12_,"axG",@progbits,_ZN7rocprim17ROCPRIM_400000_NS6detail17trampoline_kernelINS0_13select_configILj256ELj13ELNS0_17block_load_methodE3ELS4_3ELS4_3ELNS0_20block_scan_algorithmE0ELj4294967295EEENS1_25partition_config_selectorILNS1_17partition_subalgoE4EjNS0_10empty_typeEbEEZZNS1_14partition_implILS8_4ELb0ES6_15HIP_vector_typeIjLj2EENS0_17counting_iteratorIjlEEPS9_SG_NS0_5tupleIJPjSI_NS0_16reverse_iteratorISI_EEEEENSH_IJSG_SG_SG_EEES9_SI_JZNS1_25segmented_radix_sort_implINS0_14default_configELb1EPKfPfPKlPlN2at6native12_GLOBAL__N_18offset_tEEE10hipError_tPvRmT1_PNSt15iterator_traitsIS12_E10value_typeET2_T3_PNS13_IS18_E10value_typeET4_jRbjT5_S1E_jjP12ihipStream_tbEUljE_ZNSN_ISO_Lb1ESQ_SR_ST_SU_SY_EESZ_S10_S11_S12_S16_S17_S18_S1B_S1C_jS1D_jS1E_S1E_jjS1G_bEUljE0_EEESZ_S10_S11_S18_S1C_S1E_T6_T7_T9_mT8_S1G_bDpT10_ENKUlT_T0_E_clISt17integral_constantIbLb1EES1T_IbLb0EEEEDaS1P_S1Q_EUlS1P_E_NS1_11comp_targetILNS1_3genE5ELNS1_11target_archE942ELNS1_3gpuE9ELNS1_3repE0EEENS1_30default_config_static_selectorELNS0_4arch9wavefront6targetE1EEEvS12_,comdat
	.globl	_ZN7rocprim17ROCPRIM_400000_NS6detail17trampoline_kernelINS0_13select_configILj256ELj13ELNS0_17block_load_methodE3ELS4_3ELS4_3ELNS0_20block_scan_algorithmE0ELj4294967295EEENS1_25partition_config_selectorILNS1_17partition_subalgoE4EjNS0_10empty_typeEbEEZZNS1_14partition_implILS8_4ELb0ES6_15HIP_vector_typeIjLj2EENS0_17counting_iteratorIjlEEPS9_SG_NS0_5tupleIJPjSI_NS0_16reverse_iteratorISI_EEEEENSH_IJSG_SG_SG_EEES9_SI_JZNS1_25segmented_radix_sort_implINS0_14default_configELb1EPKfPfPKlPlN2at6native12_GLOBAL__N_18offset_tEEE10hipError_tPvRmT1_PNSt15iterator_traitsIS12_E10value_typeET2_T3_PNS13_IS18_E10value_typeET4_jRbjT5_S1E_jjP12ihipStream_tbEUljE_ZNSN_ISO_Lb1ESQ_SR_ST_SU_SY_EESZ_S10_S11_S12_S16_S17_S18_S1B_S1C_jS1D_jS1E_S1E_jjS1G_bEUljE0_EEESZ_S10_S11_S18_S1C_S1E_T6_T7_T9_mT8_S1G_bDpT10_ENKUlT_T0_E_clISt17integral_constantIbLb1EES1T_IbLb0EEEEDaS1P_S1Q_EUlS1P_E_NS1_11comp_targetILNS1_3genE5ELNS1_11target_archE942ELNS1_3gpuE9ELNS1_3repE0EEENS1_30default_config_static_selectorELNS0_4arch9wavefront6targetE1EEEvS12_ ; -- Begin function _ZN7rocprim17ROCPRIM_400000_NS6detail17trampoline_kernelINS0_13select_configILj256ELj13ELNS0_17block_load_methodE3ELS4_3ELS4_3ELNS0_20block_scan_algorithmE0ELj4294967295EEENS1_25partition_config_selectorILNS1_17partition_subalgoE4EjNS0_10empty_typeEbEEZZNS1_14partition_implILS8_4ELb0ES6_15HIP_vector_typeIjLj2EENS0_17counting_iteratorIjlEEPS9_SG_NS0_5tupleIJPjSI_NS0_16reverse_iteratorISI_EEEEENSH_IJSG_SG_SG_EEES9_SI_JZNS1_25segmented_radix_sort_implINS0_14default_configELb1EPKfPfPKlPlN2at6native12_GLOBAL__N_18offset_tEEE10hipError_tPvRmT1_PNSt15iterator_traitsIS12_E10value_typeET2_T3_PNS13_IS18_E10value_typeET4_jRbjT5_S1E_jjP12ihipStream_tbEUljE_ZNSN_ISO_Lb1ESQ_SR_ST_SU_SY_EESZ_S10_S11_S12_S16_S17_S18_S1B_S1C_jS1D_jS1E_S1E_jjS1G_bEUljE0_EEESZ_S10_S11_S18_S1C_S1E_T6_T7_T9_mT8_S1G_bDpT10_ENKUlT_T0_E_clISt17integral_constantIbLb1EES1T_IbLb0EEEEDaS1P_S1Q_EUlS1P_E_NS1_11comp_targetILNS1_3genE5ELNS1_11target_archE942ELNS1_3gpuE9ELNS1_3repE0EEENS1_30default_config_static_selectorELNS0_4arch9wavefront6targetE1EEEvS12_
	.p2align	8
	.type	_ZN7rocprim17ROCPRIM_400000_NS6detail17trampoline_kernelINS0_13select_configILj256ELj13ELNS0_17block_load_methodE3ELS4_3ELS4_3ELNS0_20block_scan_algorithmE0ELj4294967295EEENS1_25partition_config_selectorILNS1_17partition_subalgoE4EjNS0_10empty_typeEbEEZZNS1_14partition_implILS8_4ELb0ES6_15HIP_vector_typeIjLj2EENS0_17counting_iteratorIjlEEPS9_SG_NS0_5tupleIJPjSI_NS0_16reverse_iteratorISI_EEEEENSH_IJSG_SG_SG_EEES9_SI_JZNS1_25segmented_radix_sort_implINS0_14default_configELb1EPKfPfPKlPlN2at6native12_GLOBAL__N_18offset_tEEE10hipError_tPvRmT1_PNSt15iterator_traitsIS12_E10value_typeET2_T3_PNS13_IS18_E10value_typeET4_jRbjT5_S1E_jjP12ihipStream_tbEUljE_ZNSN_ISO_Lb1ESQ_SR_ST_SU_SY_EESZ_S10_S11_S12_S16_S17_S18_S1B_S1C_jS1D_jS1E_S1E_jjS1G_bEUljE0_EEESZ_S10_S11_S18_S1C_S1E_T6_T7_T9_mT8_S1G_bDpT10_ENKUlT_T0_E_clISt17integral_constantIbLb1EES1T_IbLb0EEEEDaS1P_S1Q_EUlS1P_E_NS1_11comp_targetILNS1_3genE5ELNS1_11target_archE942ELNS1_3gpuE9ELNS1_3repE0EEENS1_30default_config_static_selectorELNS0_4arch9wavefront6targetE1EEEvS12_,@function
_ZN7rocprim17ROCPRIM_400000_NS6detail17trampoline_kernelINS0_13select_configILj256ELj13ELNS0_17block_load_methodE3ELS4_3ELS4_3ELNS0_20block_scan_algorithmE0ELj4294967295EEENS1_25partition_config_selectorILNS1_17partition_subalgoE4EjNS0_10empty_typeEbEEZZNS1_14partition_implILS8_4ELb0ES6_15HIP_vector_typeIjLj2EENS0_17counting_iteratorIjlEEPS9_SG_NS0_5tupleIJPjSI_NS0_16reverse_iteratorISI_EEEEENSH_IJSG_SG_SG_EEES9_SI_JZNS1_25segmented_radix_sort_implINS0_14default_configELb1EPKfPfPKlPlN2at6native12_GLOBAL__N_18offset_tEEE10hipError_tPvRmT1_PNSt15iterator_traitsIS12_E10value_typeET2_T3_PNS13_IS18_E10value_typeET4_jRbjT5_S1E_jjP12ihipStream_tbEUljE_ZNSN_ISO_Lb1ESQ_SR_ST_SU_SY_EESZ_S10_S11_S12_S16_S17_S18_S1B_S1C_jS1D_jS1E_S1E_jjS1G_bEUljE0_EEESZ_S10_S11_S18_S1C_S1E_T6_T7_T9_mT8_S1G_bDpT10_ENKUlT_T0_E_clISt17integral_constantIbLb1EES1T_IbLb0EEEEDaS1P_S1Q_EUlS1P_E_NS1_11comp_targetILNS1_3genE5ELNS1_11target_archE942ELNS1_3gpuE9ELNS1_3repE0EEENS1_30default_config_static_selectorELNS0_4arch9wavefront6targetE1EEEvS12_: ; @_ZN7rocprim17ROCPRIM_400000_NS6detail17trampoline_kernelINS0_13select_configILj256ELj13ELNS0_17block_load_methodE3ELS4_3ELS4_3ELNS0_20block_scan_algorithmE0ELj4294967295EEENS1_25partition_config_selectorILNS1_17partition_subalgoE4EjNS0_10empty_typeEbEEZZNS1_14partition_implILS8_4ELb0ES6_15HIP_vector_typeIjLj2EENS0_17counting_iteratorIjlEEPS9_SG_NS0_5tupleIJPjSI_NS0_16reverse_iteratorISI_EEEEENSH_IJSG_SG_SG_EEES9_SI_JZNS1_25segmented_radix_sort_implINS0_14default_configELb1EPKfPfPKlPlN2at6native12_GLOBAL__N_18offset_tEEE10hipError_tPvRmT1_PNSt15iterator_traitsIS12_E10value_typeET2_T3_PNS13_IS18_E10value_typeET4_jRbjT5_S1E_jjP12ihipStream_tbEUljE_ZNSN_ISO_Lb1ESQ_SR_ST_SU_SY_EESZ_S10_S11_S12_S16_S17_S18_S1B_S1C_jS1D_jS1E_S1E_jjS1G_bEUljE0_EEESZ_S10_S11_S18_S1C_S1E_T6_T7_T9_mT8_S1G_bDpT10_ENKUlT_T0_E_clISt17integral_constantIbLb1EES1T_IbLb0EEEEDaS1P_S1Q_EUlS1P_E_NS1_11comp_targetILNS1_3genE5ELNS1_11target_archE942ELNS1_3gpuE9ELNS1_3repE0EEENS1_30default_config_static_selectorELNS0_4arch9wavefront6targetE1EEEvS12_
; %bb.0:
	.section	.rodata,"a",@progbits
	.p2align	6, 0x0
	.amdhsa_kernel _ZN7rocprim17ROCPRIM_400000_NS6detail17trampoline_kernelINS0_13select_configILj256ELj13ELNS0_17block_load_methodE3ELS4_3ELS4_3ELNS0_20block_scan_algorithmE0ELj4294967295EEENS1_25partition_config_selectorILNS1_17partition_subalgoE4EjNS0_10empty_typeEbEEZZNS1_14partition_implILS8_4ELb0ES6_15HIP_vector_typeIjLj2EENS0_17counting_iteratorIjlEEPS9_SG_NS0_5tupleIJPjSI_NS0_16reverse_iteratorISI_EEEEENSH_IJSG_SG_SG_EEES9_SI_JZNS1_25segmented_radix_sort_implINS0_14default_configELb1EPKfPfPKlPlN2at6native12_GLOBAL__N_18offset_tEEE10hipError_tPvRmT1_PNSt15iterator_traitsIS12_E10value_typeET2_T3_PNS13_IS18_E10value_typeET4_jRbjT5_S1E_jjP12ihipStream_tbEUljE_ZNSN_ISO_Lb1ESQ_SR_ST_SU_SY_EESZ_S10_S11_S12_S16_S17_S18_S1B_S1C_jS1D_jS1E_S1E_jjS1G_bEUljE0_EEESZ_S10_S11_S18_S1C_S1E_T6_T7_T9_mT8_S1G_bDpT10_ENKUlT_T0_E_clISt17integral_constantIbLb1EES1T_IbLb0EEEEDaS1P_S1Q_EUlS1P_E_NS1_11comp_targetILNS1_3genE5ELNS1_11target_archE942ELNS1_3gpuE9ELNS1_3repE0EEENS1_30default_config_static_selectorELNS0_4arch9wavefront6targetE1EEEvS12_
		.amdhsa_group_segment_fixed_size 0
		.amdhsa_private_segment_fixed_size 0
		.amdhsa_kernarg_size 176
		.amdhsa_user_sgpr_count 6
		.amdhsa_user_sgpr_private_segment_buffer 1
		.amdhsa_user_sgpr_dispatch_ptr 0
		.amdhsa_user_sgpr_queue_ptr 0
		.amdhsa_user_sgpr_kernarg_segment_ptr 1
		.amdhsa_user_sgpr_dispatch_id 0
		.amdhsa_user_sgpr_flat_scratch_init 0
		.amdhsa_user_sgpr_private_segment_size 0
		.amdhsa_uses_dynamic_stack 0
		.amdhsa_system_sgpr_private_segment_wavefront_offset 0
		.amdhsa_system_sgpr_workgroup_id_x 1
		.amdhsa_system_sgpr_workgroup_id_y 0
		.amdhsa_system_sgpr_workgroup_id_z 0
		.amdhsa_system_sgpr_workgroup_info 0
		.amdhsa_system_vgpr_workitem_id 0
		.amdhsa_next_free_vgpr 1
		.amdhsa_next_free_sgpr 0
		.amdhsa_reserve_vcc 0
		.amdhsa_reserve_flat_scratch 0
		.amdhsa_float_round_mode_32 0
		.amdhsa_float_round_mode_16_64 0
		.amdhsa_float_denorm_mode_32 3
		.amdhsa_float_denorm_mode_16_64 3
		.amdhsa_dx10_clamp 1
		.amdhsa_ieee_mode 1
		.amdhsa_fp16_overflow 0
		.amdhsa_exception_fp_ieee_invalid_op 0
		.amdhsa_exception_fp_denorm_src 0
		.amdhsa_exception_fp_ieee_div_zero 0
		.amdhsa_exception_fp_ieee_overflow 0
		.amdhsa_exception_fp_ieee_underflow 0
		.amdhsa_exception_fp_ieee_inexact 0
		.amdhsa_exception_int_div_zero 0
	.end_amdhsa_kernel
	.section	.text._ZN7rocprim17ROCPRIM_400000_NS6detail17trampoline_kernelINS0_13select_configILj256ELj13ELNS0_17block_load_methodE3ELS4_3ELS4_3ELNS0_20block_scan_algorithmE0ELj4294967295EEENS1_25partition_config_selectorILNS1_17partition_subalgoE4EjNS0_10empty_typeEbEEZZNS1_14partition_implILS8_4ELb0ES6_15HIP_vector_typeIjLj2EENS0_17counting_iteratorIjlEEPS9_SG_NS0_5tupleIJPjSI_NS0_16reverse_iteratorISI_EEEEENSH_IJSG_SG_SG_EEES9_SI_JZNS1_25segmented_radix_sort_implINS0_14default_configELb1EPKfPfPKlPlN2at6native12_GLOBAL__N_18offset_tEEE10hipError_tPvRmT1_PNSt15iterator_traitsIS12_E10value_typeET2_T3_PNS13_IS18_E10value_typeET4_jRbjT5_S1E_jjP12ihipStream_tbEUljE_ZNSN_ISO_Lb1ESQ_SR_ST_SU_SY_EESZ_S10_S11_S12_S16_S17_S18_S1B_S1C_jS1D_jS1E_S1E_jjS1G_bEUljE0_EEESZ_S10_S11_S18_S1C_S1E_T6_T7_T9_mT8_S1G_bDpT10_ENKUlT_T0_E_clISt17integral_constantIbLb1EES1T_IbLb0EEEEDaS1P_S1Q_EUlS1P_E_NS1_11comp_targetILNS1_3genE5ELNS1_11target_archE942ELNS1_3gpuE9ELNS1_3repE0EEENS1_30default_config_static_selectorELNS0_4arch9wavefront6targetE1EEEvS12_,"axG",@progbits,_ZN7rocprim17ROCPRIM_400000_NS6detail17trampoline_kernelINS0_13select_configILj256ELj13ELNS0_17block_load_methodE3ELS4_3ELS4_3ELNS0_20block_scan_algorithmE0ELj4294967295EEENS1_25partition_config_selectorILNS1_17partition_subalgoE4EjNS0_10empty_typeEbEEZZNS1_14partition_implILS8_4ELb0ES6_15HIP_vector_typeIjLj2EENS0_17counting_iteratorIjlEEPS9_SG_NS0_5tupleIJPjSI_NS0_16reverse_iteratorISI_EEEEENSH_IJSG_SG_SG_EEES9_SI_JZNS1_25segmented_radix_sort_implINS0_14default_configELb1EPKfPfPKlPlN2at6native12_GLOBAL__N_18offset_tEEE10hipError_tPvRmT1_PNSt15iterator_traitsIS12_E10value_typeET2_T3_PNS13_IS18_E10value_typeET4_jRbjT5_S1E_jjP12ihipStream_tbEUljE_ZNSN_ISO_Lb1ESQ_SR_ST_SU_SY_EESZ_S10_S11_S12_S16_S17_S18_S1B_S1C_jS1D_jS1E_S1E_jjS1G_bEUljE0_EEESZ_S10_S11_S18_S1C_S1E_T6_T7_T9_mT8_S1G_bDpT10_ENKUlT_T0_E_clISt17integral_constantIbLb1EES1T_IbLb0EEEEDaS1P_S1Q_EUlS1P_E_NS1_11comp_targetILNS1_3genE5ELNS1_11target_archE942ELNS1_3gpuE9ELNS1_3repE0EEENS1_30default_config_static_selectorELNS0_4arch9wavefront6targetE1EEEvS12_,comdat
.Lfunc_end1278:
	.size	_ZN7rocprim17ROCPRIM_400000_NS6detail17trampoline_kernelINS0_13select_configILj256ELj13ELNS0_17block_load_methodE3ELS4_3ELS4_3ELNS0_20block_scan_algorithmE0ELj4294967295EEENS1_25partition_config_selectorILNS1_17partition_subalgoE4EjNS0_10empty_typeEbEEZZNS1_14partition_implILS8_4ELb0ES6_15HIP_vector_typeIjLj2EENS0_17counting_iteratorIjlEEPS9_SG_NS0_5tupleIJPjSI_NS0_16reverse_iteratorISI_EEEEENSH_IJSG_SG_SG_EEES9_SI_JZNS1_25segmented_radix_sort_implINS0_14default_configELb1EPKfPfPKlPlN2at6native12_GLOBAL__N_18offset_tEEE10hipError_tPvRmT1_PNSt15iterator_traitsIS12_E10value_typeET2_T3_PNS13_IS18_E10value_typeET4_jRbjT5_S1E_jjP12ihipStream_tbEUljE_ZNSN_ISO_Lb1ESQ_SR_ST_SU_SY_EESZ_S10_S11_S12_S16_S17_S18_S1B_S1C_jS1D_jS1E_S1E_jjS1G_bEUljE0_EEESZ_S10_S11_S18_S1C_S1E_T6_T7_T9_mT8_S1G_bDpT10_ENKUlT_T0_E_clISt17integral_constantIbLb1EES1T_IbLb0EEEEDaS1P_S1Q_EUlS1P_E_NS1_11comp_targetILNS1_3genE5ELNS1_11target_archE942ELNS1_3gpuE9ELNS1_3repE0EEENS1_30default_config_static_selectorELNS0_4arch9wavefront6targetE1EEEvS12_, .Lfunc_end1278-_ZN7rocprim17ROCPRIM_400000_NS6detail17trampoline_kernelINS0_13select_configILj256ELj13ELNS0_17block_load_methodE3ELS4_3ELS4_3ELNS0_20block_scan_algorithmE0ELj4294967295EEENS1_25partition_config_selectorILNS1_17partition_subalgoE4EjNS0_10empty_typeEbEEZZNS1_14partition_implILS8_4ELb0ES6_15HIP_vector_typeIjLj2EENS0_17counting_iteratorIjlEEPS9_SG_NS0_5tupleIJPjSI_NS0_16reverse_iteratorISI_EEEEENSH_IJSG_SG_SG_EEES9_SI_JZNS1_25segmented_radix_sort_implINS0_14default_configELb1EPKfPfPKlPlN2at6native12_GLOBAL__N_18offset_tEEE10hipError_tPvRmT1_PNSt15iterator_traitsIS12_E10value_typeET2_T3_PNS13_IS18_E10value_typeET4_jRbjT5_S1E_jjP12ihipStream_tbEUljE_ZNSN_ISO_Lb1ESQ_SR_ST_SU_SY_EESZ_S10_S11_S12_S16_S17_S18_S1B_S1C_jS1D_jS1E_S1E_jjS1G_bEUljE0_EEESZ_S10_S11_S18_S1C_S1E_T6_T7_T9_mT8_S1G_bDpT10_ENKUlT_T0_E_clISt17integral_constantIbLb1EES1T_IbLb0EEEEDaS1P_S1Q_EUlS1P_E_NS1_11comp_targetILNS1_3genE5ELNS1_11target_archE942ELNS1_3gpuE9ELNS1_3repE0EEENS1_30default_config_static_selectorELNS0_4arch9wavefront6targetE1EEEvS12_
                                        ; -- End function
	.set _ZN7rocprim17ROCPRIM_400000_NS6detail17trampoline_kernelINS0_13select_configILj256ELj13ELNS0_17block_load_methodE3ELS4_3ELS4_3ELNS0_20block_scan_algorithmE0ELj4294967295EEENS1_25partition_config_selectorILNS1_17partition_subalgoE4EjNS0_10empty_typeEbEEZZNS1_14partition_implILS8_4ELb0ES6_15HIP_vector_typeIjLj2EENS0_17counting_iteratorIjlEEPS9_SG_NS0_5tupleIJPjSI_NS0_16reverse_iteratorISI_EEEEENSH_IJSG_SG_SG_EEES9_SI_JZNS1_25segmented_radix_sort_implINS0_14default_configELb1EPKfPfPKlPlN2at6native12_GLOBAL__N_18offset_tEEE10hipError_tPvRmT1_PNSt15iterator_traitsIS12_E10value_typeET2_T3_PNS13_IS18_E10value_typeET4_jRbjT5_S1E_jjP12ihipStream_tbEUljE_ZNSN_ISO_Lb1ESQ_SR_ST_SU_SY_EESZ_S10_S11_S12_S16_S17_S18_S1B_S1C_jS1D_jS1E_S1E_jjS1G_bEUljE0_EEESZ_S10_S11_S18_S1C_S1E_T6_T7_T9_mT8_S1G_bDpT10_ENKUlT_T0_E_clISt17integral_constantIbLb1EES1T_IbLb0EEEEDaS1P_S1Q_EUlS1P_E_NS1_11comp_targetILNS1_3genE5ELNS1_11target_archE942ELNS1_3gpuE9ELNS1_3repE0EEENS1_30default_config_static_selectorELNS0_4arch9wavefront6targetE1EEEvS12_.num_vgpr, 0
	.set _ZN7rocprim17ROCPRIM_400000_NS6detail17trampoline_kernelINS0_13select_configILj256ELj13ELNS0_17block_load_methodE3ELS4_3ELS4_3ELNS0_20block_scan_algorithmE0ELj4294967295EEENS1_25partition_config_selectorILNS1_17partition_subalgoE4EjNS0_10empty_typeEbEEZZNS1_14partition_implILS8_4ELb0ES6_15HIP_vector_typeIjLj2EENS0_17counting_iteratorIjlEEPS9_SG_NS0_5tupleIJPjSI_NS0_16reverse_iteratorISI_EEEEENSH_IJSG_SG_SG_EEES9_SI_JZNS1_25segmented_radix_sort_implINS0_14default_configELb1EPKfPfPKlPlN2at6native12_GLOBAL__N_18offset_tEEE10hipError_tPvRmT1_PNSt15iterator_traitsIS12_E10value_typeET2_T3_PNS13_IS18_E10value_typeET4_jRbjT5_S1E_jjP12ihipStream_tbEUljE_ZNSN_ISO_Lb1ESQ_SR_ST_SU_SY_EESZ_S10_S11_S12_S16_S17_S18_S1B_S1C_jS1D_jS1E_S1E_jjS1G_bEUljE0_EEESZ_S10_S11_S18_S1C_S1E_T6_T7_T9_mT8_S1G_bDpT10_ENKUlT_T0_E_clISt17integral_constantIbLb1EES1T_IbLb0EEEEDaS1P_S1Q_EUlS1P_E_NS1_11comp_targetILNS1_3genE5ELNS1_11target_archE942ELNS1_3gpuE9ELNS1_3repE0EEENS1_30default_config_static_selectorELNS0_4arch9wavefront6targetE1EEEvS12_.num_agpr, 0
	.set _ZN7rocprim17ROCPRIM_400000_NS6detail17trampoline_kernelINS0_13select_configILj256ELj13ELNS0_17block_load_methodE3ELS4_3ELS4_3ELNS0_20block_scan_algorithmE0ELj4294967295EEENS1_25partition_config_selectorILNS1_17partition_subalgoE4EjNS0_10empty_typeEbEEZZNS1_14partition_implILS8_4ELb0ES6_15HIP_vector_typeIjLj2EENS0_17counting_iteratorIjlEEPS9_SG_NS0_5tupleIJPjSI_NS0_16reverse_iteratorISI_EEEEENSH_IJSG_SG_SG_EEES9_SI_JZNS1_25segmented_radix_sort_implINS0_14default_configELb1EPKfPfPKlPlN2at6native12_GLOBAL__N_18offset_tEEE10hipError_tPvRmT1_PNSt15iterator_traitsIS12_E10value_typeET2_T3_PNS13_IS18_E10value_typeET4_jRbjT5_S1E_jjP12ihipStream_tbEUljE_ZNSN_ISO_Lb1ESQ_SR_ST_SU_SY_EESZ_S10_S11_S12_S16_S17_S18_S1B_S1C_jS1D_jS1E_S1E_jjS1G_bEUljE0_EEESZ_S10_S11_S18_S1C_S1E_T6_T7_T9_mT8_S1G_bDpT10_ENKUlT_T0_E_clISt17integral_constantIbLb1EES1T_IbLb0EEEEDaS1P_S1Q_EUlS1P_E_NS1_11comp_targetILNS1_3genE5ELNS1_11target_archE942ELNS1_3gpuE9ELNS1_3repE0EEENS1_30default_config_static_selectorELNS0_4arch9wavefront6targetE1EEEvS12_.numbered_sgpr, 0
	.set _ZN7rocprim17ROCPRIM_400000_NS6detail17trampoline_kernelINS0_13select_configILj256ELj13ELNS0_17block_load_methodE3ELS4_3ELS4_3ELNS0_20block_scan_algorithmE0ELj4294967295EEENS1_25partition_config_selectorILNS1_17partition_subalgoE4EjNS0_10empty_typeEbEEZZNS1_14partition_implILS8_4ELb0ES6_15HIP_vector_typeIjLj2EENS0_17counting_iteratorIjlEEPS9_SG_NS0_5tupleIJPjSI_NS0_16reverse_iteratorISI_EEEEENSH_IJSG_SG_SG_EEES9_SI_JZNS1_25segmented_radix_sort_implINS0_14default_configELb1EPKfPfPKlPlN2at6native12_GLOBAL__N_18offset_tEEE10hipError_tPvRmT1_PNSt15iterator_traitsIS12_E10value_typeET2_T3_PNS13_IS18_E10value_typeET4_jRbjT5_S1E_jjP12ihipStream_tbEUljE_ZNSN_ISO_Lb1ESQ_SR_ST_SU_SY_EESZ_S10_S11_S12_S16_S17_S18_S1B_S1C_jS1D_jS1E_S1E_jjS1G_bEUljE0_EEESZ_S10_S11_S18_S1C_S1E_T6_T7_T9_mT8_S1G_bDpT10_ENKUlT_T0_E_clISt17integral_constantIbLb1EES1T_IbLb0EEEEDaS1P_S1Q_EUlS1P_E_NS1_11comp_targetILNS1_3genE5ELNS1_11target_archE942ELNS1_3gpuE9ELNS1_3repE0EEENS1_30default_config_static_selectorELNS0_4arch9wavefront6targetE1EEEvS12_.num_named_barrier, 0
	.set _ZN7rocprim17ROCPRIM_400000_NS6detail17trampoline_kernelINS0_13select_configILj256ELj13ELNS0_17block_load_methodE3ELS4_3ELS4_3ELNS0_20block_scan_algorithmE0ELj4294967295EEENS1_25partition_config_selectorILNS1_17partition_subalgoE4EjNS0_10empty_typeEbEEZZNS1_14partition_implILS8_4ELb0ES6_15HIP_vector_typeIjLj2EENS0_17counting_iteratorIjlEEPS9_SG_NS0_5tupleIJPjSI_NS0_16reverse_iteratorISI_EEEEENSH_IJSG_SG_SG_EEES9_SI_JZNS1_25segmented_radix_sort_implINS0_14default_configELb1EPKfPfPKlPlN2at6native12_GLOBAL__N_18offset_tEEE10hipError_tPvRmT1_PNSt15iterator_traitsIS12_E10value_typeET2_T3_PNS13_IS18_E10value_typeET4_jRbjT5_S1E_jjP12ihipStream_tbEUljE_ZNSN_ISO_Lb1ESQ_SR_ST_SU_SY_EESZ_S10_S11_S12_S16_S17_S18_S1B_S1C_jS1D_jS1E_S1E_jjS1G_bEUljE0_EEESZ_S10_S11_S18_S1C_S1E_T6_T7_T9_mT8_S1G_bDpT10_ENKUlT_T0_E_clISt17integral_constantIbLb1EES1T_IbLb0EEEEDaS1P_S1Q_EUlS1P_E_NS1_11comp_targetILNS1_3genE5ELNS1_11target_archE942ELNS1_3gpuE9ELNS1_3repE0EEENS1_30default_config_static_selectorELNS0_4arch9wavefront6targetE1EEEvS12_.private_seg_size, 0
	.set _ZN7rocprim17ROCPRIM_400000_NS6detail17trampoline_kernelINS0_13select_configILj256ELj13ELNS0_17block_load_methodE3ELS4_3ELS4_3ELNS0_20block_scan_algorithmE0ELj4294967295EEENS1_25partition_config_selectorILNS1_17partition_subalgoE4EjNS0_10empty_typeEbEEZZNS1_14partition_implILS8_4ELb0ES6_15HIP_vector_typeIjLj2EENS0_17counting_iteratorIjlEEPS9_SG_NS0_5tupleIJPjSI_NS0_16reverse_iteratorISI_EEEEENSH_IJSG_SG_SG_EEES9_SI_JZNS1_25segmented_radix_sort_implINS0_14default_configELb1EPKfPfPKlPlN2at6native12_GLOBAL__N_18offset_tEEE10hipError_tPvRmT1_PNSt15iterator_traitsIS12_E10value_typeET2_T3_PNS13_IS18_E10value_typeET4_jRbjT5_S1E_jjP12ihipStream_tbEUljE_ZNSN_ISO_Lb1ESQ_SR_ST_SU_SY_EESZ_S10_S11_S12_S16_S17_S18_S1B_S1C_jS1D_jS1E_S1E_jjS1G_bEUljE0_EEESZ_S10_S11_S18_S1C_S1E_T6_T7_T9_mT8_S1G_bDpT10_ENKUlT_T0_E_clISt17integral_constantIbLb1EES1T_IbLb0EEEEDaS1P_S1Q_EUlS1P_E_NS1_11comp_targetILNS1_3genE5ELNS1_11target_archE942ELNS1_3gpuE9ELNS1_3repE0EEENS1_30default_config_static_selectorELNS0_4arch9wavefront6targetE1EEEvS12_.uses_vcc, 0
	.set _ZN7rocprim17ROCPRIM_400000_NS6detail17trampoline_kernelINS0_13select_configILj256ELj13ELNS0_17block_load_methodE3ELS4_3ELS4_3ELNS0_20block_scan_algorithmE0ELj4294967295EEENS1_25partition_config_selectorILNS1_17partition_subalgoE4EjNS0_10empty_typeEbEEZZNS1_14partition_implILS8_4ELb0ES6_15HIP_vector_typeIjLj2EENS0_17counting_iteratorIjlEEPS9_SG_NS0_5tupleIJPjSI_NS0_16reverse_iteratorISI_EEEEENSH_IJSG_SG_SG_EEES9_SI_JZNS1_25segmented_radix_sort_implINS0_14default_configELb1EPKfPfPKlPlN2at6native12_GLOBAL__N_18offset_tEEE10hipError_tPvRmT1_PNSt15iterator_traitsIS12_E10value_typeET2_T3_PNS13_IS18_E10value_typeET4_jRbjT5_S1E_jjP12ihipStream_tbEUljE_ZNSN_ISO_Lb1ESQ_SR_ST_SU_SY_EESZ_S10_S11_S12_S16_S17_S18_S1B_S1C_jS1D_jS1E_S1E_jjS1G_bEUljE0_EEESZ_S10_S11_S18_S1C_S1E_T6_T7_T9_mT8_S1G_bDpT10_ENKUlT_T0_E_clISt17integral_constantIbLb1EES1T_IbLb0EEEEDaS1P_S1Q_EUlS1P_E_NS1_11comp_targetILNS1_3genE5ELNS1_11target_archE942ELNS1_3gpuE9ELNS1_3repE0EEENS1_30default_config_static_selectorELNS0_4arch9wavefront6targetE1EEEvS12_.uses_flat_scratch, 0
	.set _ZN7rocprim17ROCPRIM_400000_NS6detail17trampoline_kernelINS0_13select_configILj256ELj13ELNS0_17block_load_methodE3ELS4_3ELS4_3ELNS0_20block_scan_algorithmE0ELj4294967295EEENS1_25partition_config_selectorILNS1_17partition_subalgoE4EjNS0_10empty_typeEbEEZZNS1_14partition_implILS8_4ELb0ES6_15HIP_vector_typeIjLj2EENS0_17counting_iteratorIjlEEPS9_SG_NS0_5tupleIJPjSI_NS0_16reverse_iteratorISI_EEEEENSH_IJSG_SG_SG_EEES9_SI_JZNS1_25segmented_radix_sort_implINS0_14default_configELb1EPKfPfPKlPlN2at6native12_GLOBAL__N_18offset_tEEE10hipError_tPvRmT1_PNSt15iterator_traitsIS12_E10value_typeET2_T3_PNS13_IS18_E10value_typeET4_jRbjT5_S1E_jjP12ihipStream_tbEUljE_ZNSN_ISO_Lb1ESQ_SR_ST_SU_SY_EESZ_S10_S11_S12_S16_S17_S18_S1B_S1C_jS1D_jS1E_S1E_jjS1G_bEUljE0_EEESZ_S10_S11_S18_S1C_S1E_T6_T7_T9_mT8_S1G_bDpT10_ENKUlT_T0_E_clISt17integral_constantIbLb1EES1T_IbLb0EEEEDaS1P_S1Q_EUlS1P_E_NS1_11comp_targetILNS1_3genE5ELNS1_11target_archE942ELNS1_3gpuE9ELNS1_3repE0EEENS1_30default_config_static_selectorELNS0_4arch9wavefront6targetE1EEEvS12_.has_dyn_sized_stack, 0
	.set _ZN7rocprim17ROCPRIM_400000_NS6detail17trampoline_kernelINS0_13select_configILj256ELj13ELNS0_17block_load_methodE3ELS4_3ELS4_3ELNS0_20block_scan_algorithmE0ELj4294967295EEENS1_25partition_config_selectorILNS1_17partition_subalgoE4EjNS0_10empty_typeEbEEZZNS1_14partition_implILS8_4ELb0ES6_15HIP_vector_typeIjLj2EENS0_17counting_iteratorIjlEEPS9_SG_NS0_5tupleIJPjSI_NS0_16reverse_iteratorISI_EEEEENSH_IJSG_SG_SG_EEES9_SI_JZNS1_25segmented_radix_sort_implINS0_14default_configELb1EPKfPfPKlPlN2at6native12_GLOBAL__N_18offset_tEEE10hipError_tPvRmT1_PNSt15iterator_traitsIS12_E10value_typeET2_T3_PNS13_IS18_E10value_typeET4_jRbjT5_S1E_jjP12ihipStream_tbEUljE_ZNSN_ISO_Lb1ESQ_SR_ST_SU_SY_EESZ_S10_S11_S12_S16_S17_S18_S1B_S1C_jS1D_jS1E_S1E_jjS1G_bEUljE0_EEESZ_S10_S11_S18_S1C_S1E_T6_T7_T9_mT8_S1G_bDpT10_ENKUlT_T0_E_clISt17integral_constantIbLb1EES1T_IbLb0EEEEDaS1P_S1Q_EUlS1P_E_NS1_11comp_targetILNS1_3genE5ELNS1_11target_archE942ELNS1_3gpuE9ELNS1_3repE0EEENS1_30default_config_static_selectorELNS0_4arch9wavefront6targetE1EEEvS12_.has_recursion, 0
	.set _ZN7rocprim17ROCPRIM_400000_NS6detail17trampoline_kernelINS0_13select_configILj256ELj13ELNS0_17block_load_methodE3ELS4_3ELS4_3ELNS0_20block_scan_algorithmE0ELj4294967295EEENS1_25partition_config_selectorILNS1_17partition_subalgoE4EjNS0_10empty_typeEbEEZZNS1_14partition_implILS8_4ELb0ES6_15HIP_vector_typeIjLj2EENS0_17counting_iteratorIjlEEPS9_SG_NS0_5tupleIJPjSI_NS0_16reverse_iteratorISI_EEEEENSH_IJSG_SG_SG_EEES9_SI_JZNS1_25segmented_radix_sort_implINS0_14default_configELb1EPKfPfPKlPlN2at6native12_GLOBAL__N_18offset_tEEE10hipError_tPvRmT1_PNSt15iterator_traitsIS12_E10value_typeET2_T3_PNS13_IS18_E10value_typeET4_jRbjT5_S1E_jjP12ihipStream_tbEUljE_ZNSN_ISO_Lb1ESQ_SR_ST_SU_SY_EESZ_S10_S11_S12_S16_S17_S18_S1B_S1C_jS1D_jS1E_S1E_jjS1G_bEUljE0_EEESZ_S10_S11_S18_S1C_S1E_T6_T7_T9_mT8_S1G_bDpT10_ENKUlT_T0_E_clISt17integral_constantIbLb1EES1T_IbLb0EEEEDaS1P_S1Q_EUlS1P_E_NS1_11comp_targetILNS1_3genE5ELNS1_11target_archE942ELNS1_3gpuE9ELNS1_3repE0EEENS1_30default_config_static_selectorELNS0_4arch9wavefront6targetE1EEEvS12_.has_indirect_call, 0
	.section	.AMDGPU.csdata,"",@progbits
; Kernel info:
; codeLenInByte = 0
; TotalNumSgprs: 4
; NumVgprs: 0
; ScratchSize: 0
; MemoryBound: 0
; FloatMode: 240
; IeeeMode: 1
; LDSByteSize: 0 bytes/workgroup (compile time only)
; SGPRBlocks: 0
; VGPRBlocks: 0
; NumSGPRsForWavesPerEU: 4
; NumVGPRsForWavesPerEU: 1
; Occupancy: 10
; WaveLimiterHint : 0
; COMPUTE_PGM_RSRC2:SCRATCH_EN: 0
; COMPUTE_PGM_RSRC2:USER_SGPR: 6
; COMPUTE_PGM_RSRC2:TRAP_HANDLER: 0
; COMPUTE_PGM_RSRC2:TGID_X_EN: 1
; COMPUTE_PGM_RSRC2:TGID_Y_EN: 0
; COMPUTE_PGM_RSRC2:TGID_Z_EN: 0
; COMPUTE_PGM_RSRC2:TIDIG_COMP_CNT: 0
	.section	.text._ZN7rocprim17ROCPRIM_400000_NS6detail17trampoline_kernelINS0_13select_configILj256ELj13ELNS0_17block_load_methodE3ELS4_3ELS4_3ELNS0_20block_scan_algorithmE0ELj4294967295EEENS1_25partition_config_selectorILNS1_17partition_subalgoE4EjNS0_10empty_typeEbEEZZNS1_14partition_implILS8_4ELb0ES6_15HIP_vector_typeIjLj2EENS0_17counting_iteratorIjlEEPS9_SG_NS0_5tupleIJPjSI_NS0_16reverse_iteratorISI_EEEEENSH_IJSG_SG_SG_EEES9_SI_JZNS1_25segmented_radix_sort_implINS0_14default_configELb1EPKfPfPKlPlN2at6native12_GLOBAL__N_18offset_tEEE10hipError_tPvRmT1_PNSt15iterator_traitsIS12_E10value_typeET2_T3_PNS13_IS18_E10value_typeET4_jRbjT5_S1E_jjP12ihipStream_tbEUljE_ZNSN_ISO_Lb1ESQ_SR_ST_SU_SY_EESZ_S10_S11_S12_S16_S17_S18_S1B_S1C_jS1D_jS1E_S1E_jjS1G_bEUljE0_EEESZ_S10_S11_S18_S1C_S1E_T6_T7_T9_mT8_S1G_bDpT10_ENKUlT_T0_E_clISt17integral_constantIbLb1EES1T_IbLb0EEEEDaS1P_S1Q_EUlS1P_E_NS1_11comp_targetILNS1_3genE4ELNS1_11target_archE910ELNS1_3gpuE8ELNS1_3repE0EEENS1_30default_config_static_selectorELNS0_4arch9wavefront6targetE1EEEvS12_,"axG",@progbits,_ZN7rocprim17ROCPRIM_400000_NS6detail17trampoline_kernelINS0_13select_configILj256ELj13ELNS0_17block_load_methodE3ELS4_3ELS4_3ELNS0_20block_scan_algorithmE0ELj4294967295EEENS1_25partition_config_selectorILNS1_17partition_subalgoE4EjNS0_10empty_typeEbEEZZNS1_14partition_implILS8_4ELb0ES6_15HIP_vector_typeIjLj2EENS0_17counting_iteratorIjlEEPS9_SG_NS0_5tupleIJPjSI_NS0_16reverse_iteratorISI_EEEEENSH_IJSG_SG_SG_EEES9_SI_JZNS1_25segmented_radix_sort_implINS0_14default_configELb1EPKfPfPKlPlN2at6native12_GLOBAL__N_18offset_tEEE10hipError_tPvRmT1_PNSt15iterator_traitsIS12_E10value_typeET2_T3_PNS13_IS18_E10value_typeET4_jRbjT5_S1E_jjP12ihipStream_tbEUljE_ZNSN_ISO_Lb1ESQ_SR_ST_SU_SY_EESZ_S10_S11_S12_S16_S17_S18_S1B_S1C_jS1D_jS1E_S1E_jjS1G_bEUljE0_EEESZ_S10_S11_S18_S1C_S1E_T6_T7_T9_mT8_S1G_bDpT10_ENKUlT_T0_E_clISt17integral_constantIbLb1EES1T_IbLb0EEEEDaS1P_S1Q_EUlS1P_E_NS1_11comp_targetILNS1_3genE4ELNS1_11target_archE910ELNS1_3gpuE8ELNS1_3repE0EEENS1_30default_config_static_selectorELNS0_4arch9wavefront6targetE1EEEvS12_,comdat
	.globl	_ZN7rocprim17ROCPRIM_400000_NS6detail17trampoline_kernelINS0_13select_configILj256ELj13ELNS0_17block_load_methodE3ELS4_3ELS4_3ELNS0_20block_scan_algorithmE0ELj4294967295EEENS1_25partition_config_selectorILNS1_17partition_subalgoE4EjNS0_10empty_typeEbEEZZNS1_14partition_implILS8_4ELb0ES6_15HIP_vector_typeIjLj2EENS0_17counting_iteratorIjlEEPS9_SG_NS0_5tupleIJPjSI_NS0_16reverse_iteratorISI_EEEEENSH_IJSG_SG_SG_EEES9_SI_JZNS1_25segmented_radix_sort_implINS0_14default_configELb1EPKfPfPKlPlN2at6native12_GLOBAL__N_18offset_tEEE10hipError_tPvRmT1_PNSt15iterator_traitsIS12_E10value_typeET2_T3_PNS13_IS18_E10value_typeET4_jRbjT5_S1E_jjP12ihipStream_tbEUljE_ZNSN_ISO_Lb1ESQ_SR_ST_SU_SY_EESZ_S10_S11_S12_S16_S17_S18_S1B_S1C_jS1D_jS1E_S1E_jjS1G_bEUljE0_EEESZ_S10_S11_S18_S1C_S1E_T6_T7_T9_mT8_S1G_bDpT10_ENKUlT_T0_E_clISt17integral_constantIbLb1EES1T_IbLb0EEEEDaS1P_S1Q_EUlS1P_E_NS1_11comp_targetILNS1_3genE4ELNS1_11target_archE910ELNS1_3gpuE8ELNS1_3repE0EEENS1_30default_config_static_selectorELNS0_4arch9wavefront6targetE1EEEvS12_ ; -- Begin function _ZN7rocprim17ROCPRIM_400000_NS6detail17trampoline_kernelINS0_13select_configILj256ELj13ELNS0_17block_load_methodE3ELS4_3ELS4_3ELNS0_20block_scan_algorithmE0ELj4294967295EEENS1_25partition_config_selectorILNS1_17partition_subalgoE4EjNS0_10empty_typeEbEEZZNS1_14partition_implILS8_4ELb0ES6_15HIP_vector_typeIjLj2EENS0_17counting_iteratorIjlEEPS9_SG_NS0_5tupleIJPjSI_NS0_16reverse_iteratorISI_EEEEENSH_IJSG_SG_SG_EEES9_SI_JZNS1_25segmented_radix_sort_implINS0_14default_configELb1EPKfPfPKlPlN2at6native12_GLOBAL__N_18offset_tEEE10hipError_tPvRmT1_PNSt15iterator_traitsIS12_E10value_typeET2_T3_PNS13_IS18_E10value_typeET4_jRbjT5_S1E_jjP12ihipStream_tbEUljE_ZNSN_ISO_Lb1ESQ_SR_ST_SU_SY_EESZ_S10_S11_S12_S16_S17_S18_S1B_S1C_jS1D_jS1E_S1E_jjS1G_bEUljE0_EEESZ_S10_S11_S18_S1C_S1E_T6_T7_T9_mT8_S1G_bDpT10_ENKUlT_T0_E_clISt17integral_constantIbLb1EES1T_IbLb0EEEEDaS1P_S1Q_EUlS1P_E_NS1_11comp_targetILNS1_3genE4ELNS1_11target_archE910ELNS1_3gpuE8ELNS1_3repE0EEENS1_30default_config_static_selectorELNS0_4arch9wavefront6targetE1EEEvS12_
	.p2align	8
	.type	_ZN7rocprim17ROCPRIM_400000_NS6detail17trampoline_kernelINS0_13select_configILj256ELj13ELNS0_17block_load_methodE3ELS4_3ELS4_3ELNS0_20block_scan_algorithmE0ELj4294967295EEENS1_25partition_config_selectorILNS1_17partition_subalgoE4EjNS0_10empty_typeEbEEZZNS1_14partition_implILS8_4ELb0ES6_15HIP_vector_typeIjLj2EENS0_17counting_iteratorIjlEEPS9_SG_NS0_5tupleIJPjSI_NS0_16reverse_iteratorISI_EEEEENSH_IJSG_SG_SG_EEES9_SI_JZNS1_25segmented_radix_sort_implINS0_14default_configELb1EPKfPfPKlPlN2at6native12_GLOBAL__N_18offset_tEEE10hipError_tPvRmT1_PNSt15iterator_traitsIS12_E10value_typeET2_T3_PNS13_IS18_E10value_typeET4_jRbjT5_S1E_jjP12ihipStream_tbEUljE_ZNSN_ISO_Lb1ESQ_SR_ST_SU_SY_EESZ_S10_S11_S12_S16_S17_S18_S1B_S1C_jS1D_jS1E_S1E_jjS1G_bEUljE0_EEESZ_S10_S11_S18_S1C_S1E_T6_T7_T9_mT8_S1G_bDpT10_ENKUlT_T0_E_clISt17integral_constantIbLb1EES1T_IbLb0EEEEDaS1P_S1Q_EUlS1P_E_NS1_11comp_targetILNS1_3genE4ELNS1_11target_archE910ELNS1_3gpuE8ELNS1_3repE0EEENS1_30default_config_static_selectorELNS0_4arch9wavefront6targetE1EEEvS12_,@function
_ZN7rocprim17ROCPRIM_400000_NS6detail17trampoline_kernelINS0_13select_configILj256ELj13ELNS0_17block_load_methodE3ELS4_3ELS4_3ELNS0_20block_scan_algorithmE0ELj4294967295EEENS1_25partition_config_selectorILNS1_17partition_subalgoE4EjNS0_10empty_typeEbEEZZNS1_14partition_implILS8_4ELb0ES6_15HIP_vector_typeIjLj2EENS0_17counting_iteratorIjlEEPS9_SG_NS0_5tupleIJPjSI_NS0_16reverse_iteratorISI_EEEEENSH_IJSG_SG_SG_EEES9_SI_JZNS1_25segmented_radix_sort_implINS0_14default_configELb1EPKfPfPKlPlN2at6native12_GLOBAL__N_18offset_tEEE10hipError_tPvRmT1_PNSt15iterator_traitsIS12_E10value_typeET2_T3_PNS13_IS18_E10value_typeET4_jRbjT5_S1E_jjP12ihipStream_tbEUljE_ZNSN_ISO_Lb1ESQ_SR_ST_SU_SY_EESZ_S10_S11_S12_S16_S17_S18_S1B_S1C_jS1D_jS1E_S1E_jjS1G_bEUljE0_EEESZ_S10_S11_S18_S1C_S1E_T6_T7_T9_mT8_S1G_bDpT10_ENKUlT_T0_E_clISt17integral_constantIbLb1EES1T_IbLb0EEEEDaS1P_S1Q_EUlS1P_E_NS1_11comp_targetILNS1_3genE4ELNS1_11target_archE910ELNS1_3gpuE8ELNS1_3repE0EEENS1_30default_config_static_selectorELNS0_4arch9wavefront6targetE1EEEvS12_: ; @_ZN7rocprim17ROCPRIM_400000_NS6detail17trampoline_kernelINS0_13select_configILj256ELj13ELNS0_17block_load_methodE3ELS4_3ELS4_3ELNS0_20block_scan_algorithmE0ELj4294967295EEENS1_25partition_config_selectorILNS1_17partition_subalgoE4EjNS0_10empty_typeEbEEZZNS1_14partition_implILS8_4ELb0ES6_15HIP_vector_typeIjLj2EENS0_17counting_iteratorIjlEEPS9_SG_NS0_5tupleIJPjSI_NS0_16reverse_iteratorISI_EEEEENSH_IJSG_SG_SG_EEES9_SI_JZNS1_25segmented_radix_sort_implINS0_14default_configELb1EPKfPfPKlPlN2at6native12_GLOBAL__N_18offset_tEEE10hipError_tPvRmT1_PNSt15iterator_traitsIS12_E10value_typeET2_T3_PNS13_IS18_E10value_typeET4_jRbjT5_S1E_jjP12ihipStream_tbEUljE_ZNSN_ISO_Lb1ESQ_SR_ST_SU_SY_EESZ_S10_S11_S12_S16_S17_S18_S1B_S1C_jS1D_jS1E_S1E_jjS1G_bEUljE0_EEESZ_S10_S11_S18_S1C_S1E_T6_T7_T9_mT8_S1G_bDpT10_ENKUlT_T0_E_clISt17integral_constantIbLb1EES1T_IbLb0EEEEDaS1P_S1Q_EUlS1P_E_NS1_11comp_targetILNS1_3genE4ELNS1_11target_archE910ELNS1_3gpuE8ELNS1_3repE0EEENS1_30default_config_static_selectorELNS0_4arch9wavefront6targetE1EEEvS12_
; %bb.0:
	.section	.rodata,"a",@progbits
	.p2align	6, 0x0
	.amdhsa_kernel _ZN7rocprim17ROCPRIM_400000_NS6detail17trampoline_kernelINS0_13select_configILj256ELj13ELNS0_17block_load_methodE3ELS4_3ELS4_3ELNS0_20block_scan_algorithmE0ELj4294967295EEENS1_25partition_config_selectorILNS1_17partition_subalgoE4EjNS0_10empty_typeEbEEZZNS1_14partition_implILS8_4ELb0ES6_15HIP_vector_typeIjLj2EENS0_17counting_iteratorIjlEEPS9_SG_NS0_5tupleIJPjSI_NS0_16reverse_iteratorISI_EEEEENSH_IJSG_SG_SG_EEES9_SI_JZNS1_25segmented_radix_sort_implINS0_14default_configELb1EPKfPfPKlPlN2at6native12_GLOBAL__N_18offset_tEEE10hipError_tPvRmT1_PNSt15iterator_traitsIS12_E10value_typeET2_T3_PNS13_IS18_E10value_typeET4_jRbjT5_S1E_jjP12ihipStream_tbEUljE_ZNSN_ISO_Lb1ESQ_SR_ST_SU_SY_EESZ_S10_S11_S12_S16_S17_S18_S1B_S1C_jS1D_jS1E_S1E_jjS1G_bEUljE0_EEESZ_S10_S11_S18_S1C_S1E_T6_T7_T9_mT8_S1G_bDpT10_ENKUlT_T0_E_clISt17integral_constantIbLb1EES1T_IbLb0EEEEDaS1P_S1Q_EUlS1P_E_NS1_11comp_targetILNS1_3genE4ELNS1_11target_archE910ELNS1_3gpuE8ELNS1_3repE0EEENS1_30default_config_static_selectorELNS0_4arch9wavefront6targetE1EEEvS12_
		.amdhsa_group_segment_fixed_size 0
		.amdhsa_private_segment_fixed_size 0
		.amdhsa_kernarg_size 176
		.amdhsa_user_sgpr_count 6
		.amdhsa_user_sgpr_private_segment_buffer 1
		.amdhsa_user_sgpr_dispatch_ptr 0
		.amdhsa_user_sgpr_queue_ptr 0
		.amdhsa_user_sgpr_kernarg_segment_ptr 1
		.amdhsa_user_sgpr_dispatch_id 0
		.amdhsa_user_sgpr_flat_scratch_init 0
		.amdhsa_user_sgpr_private_segment_size 0
		.amdhsa_uses_dynamic_stack 0
		.amdhsa_system_sgpr_private_segment_wavefront_offset 0
		.amdhsa_system_sgpr_workgroup_id_x 1
		.amdhsa_system_sgpr_workgroup_id_y 0
		.amdhsa_system_sgpr_workgroup_id_z 0
		.amdhsa_system_sgpr_workgroup_info 0
		.amdhsa_system_vgpr_workitem_id 0
		.amdhsa_next_free_vgpr 1
		.amdhsa_next_free_sgpr 0
		.amdhsa_reserve_vcc 0
		.amdhsa_reserve_flat_scratch 0
		.amdhsa_float_round_mode_32 0
		.amdhsa_float_round_mode_16_64 0
		.amdhsa_float_denorm_mode_32 3
		.amdhsa_float_denorm_mode_16_64 3
		.amdhsa_dx10_clamp 1
		.amdhsa_ieee_mode 1
		.amdhsa_fp16_overflow 0
		.amdhsa_exception_fp_ieee_invalid_op 0
		.amdhsa_exception_fp_denorm_src 0
		.amdhsa_exception_fp_ieee_div_zero 0
		.amdhsa_exception_fp_ieee_overflow 0
		.amdhsa_exception_fp_ieee_underflow 0
		.amdhsa_exception_fp_ieee_inexact 0
		.amdhsa_exception_int_div_zero 0
	.end_amdhsa_kernel
	.section	.text._ZN7rocprim17ROCPRIM_400000_NS6detail17trampoline_kernelINS0_13select_configILj256ELj13ELNS0_17block_load_methodE3ELS4_3ELS4_3ELNS0_20block_scan_algorithmE0ELj4294967295EEENS1_25partition_config_selectorILNS1_17partition_subalgoE4EjNS0_10empty_typeEbEEZZNS1_14partition_implILS8_4ELb0ES6_15HIP_vector_typeIjLj2EENS0_17counting_iteratorIjlEEPS9_SG_NS0_5tupleIJPjSI_NS0_16reverse_iteratorISI_EEEEENSH_IJSG_SG_SG_EEES9_SI_JZNS1_25segmented_radix_sort_implINS0_14default_configELb1EPKfPfPKlPlN2at6native12_GLOBAL__N_18offset_tEEE10hipError_tPvRmT1_PNSt15iterator_traitsIS12_E10value_typeET2_T3_PNS13_IS18_E10value_typeET4_jRbjT5_S1E_jjP12ihipStream_tbEUljE_ZNSN_ISO_Lb1ESQ_SR_ST_SU_SY_EESZ_S10_S11_S12_S16_S17_S18_S1B_S1C_jS1D_jS1E_S1E_jjS1G_bEUljE0_EEESZ_S10_S11_S18_S1C_S1E_T6_T7_T9_mT8_S1G_bDpT10_ENKUlT_T0_E_clISt17integral_constantIbLb1EES1T_IbLb0EEEEDaS1P_S1Q_EUlS1P_E_NS1_11comp_targetILNS1_3genE4ELNS1_11target_archE910ELNS1_3gpuE8ELNS1_3repE0EEENS1_30default_config_static_selectorELNS0_4arch9wavefront6targetE1EEEvS12_,"axG",@progbits,_ZN7rocprim17ROCPRIM_400000_NS6detail17trampoline_kernelINS0_13select_configILj256ELj13ELNS0_17block_load_methodE3ELS4_3ELS4_3ELNS0_20block_scan_algorithmE0ELj4294967295EEENS1_25partition_config_selectorILNS1_17partition_subalgoE4EjNS0_10empty_typeEbEEZZNS1_14partition_implILS8_4ELb0ES6_15HIP_vector_typeIjLj2EENS0_17counting_iteratorIjlEEPS9_SG_NS0_5tupleIJPjSI_NS0_16reverse_iteratorISI_EEEEENSH_IJSG_SG_SG_EEES9_SI_JZNS1_25segmented_radix_sort_implINS0_14default_configELb1EPKfPfPKlPlN2at6native12_GLOBAL__N_18offset_tEEE10hipError_tPvRmT1_PNSt15iterator_traitsIS12_E10value_typeET2_T3_PNS13_IS18_E10value_typeET4_jRbjT5_S1E_jjP12ihipStream_tbEUljE_ZNSN_ISO_Lb1ESQ_SR_ST_SU_SY_EESZ_S10_S11_S12_S16_S17_S18_S1B_S1C_jS1D_jS1E_S1E_jjS1G_bEUljE0_EEESZ_S10_S11_S18_S1C_S1E_T6_T7_T9_mT8_S1G_bDpT10_ENKUlT_T0_E_clISt17integral_constantIbLb1EES1T_IbLb0EEEEDaS1P_S1Q_EUlS1P_E_NS1_11comp_targetILNS1_3genE4ELNS1_11target_archE910ELNS1_3gpuE8ELNS1_3repE0EEENS1_30default_config_static_selectorELNS0_4arch9wavefront6targetE1EEEvS12_,comdat
.Lfunc_end1279:
	.size	_ZN7rocprim17ROCPRIM_400000_NS6detail17trampoline_kernelINS0_13select_configILj256ELj13ELNS0_17block_load_methodE3ELS4_3ELS4_3ELNS0_20block_scan_algorithmE0ELj4294967295EEENS1_25partition_config_selectorILNS1_17partition_subalgoE4EjNS0_10empty_typeEbEEZZNS1_14partition_implILS8_4ELb0ES6_15HIP_vector_typeIjLj2EENS0_17counting_iteratorIjlEEPS9_SG_NS0_5tupleIJPjSI_NS0_16reverse_iteratorISI_EEEEENSH_IJSG_SG_SG_EEES9_SI_JZNS1_25segmented_radix_sort_implINS0_14default_configELb1EPKfPfPKlPlN2at6native12_GLOBAL__N_18offset_tEEE10hipError_tPvRmT1_PNSt15iterator_traitsIS12_E10value_typeET2_T3_PNS13_IS18_E10value_typeET4_jRbjT5_S1E_jjP12ihipStream_tbEUljE_ZNSN_ISO_Lb1ESQ_SR_ST_SU_SY_EESZ_S10_S11_S12_S16_S17_S18_S1B_S1C_jS1D_jS1E_S1E_jjS1G_bEUljE0_EEESZ_S10_S11_S18_S1C_S1E_T6_T7_T9_mT8_S1G_bDpT10_ENKUlT_T0_E_clISt17integral_constantIbLb1EES1T_IbLb0EEEEDaS1P_S1Q_EUlS1P_E_NS1_11comp_targetILNS1_3genE4ELNS1_11target_archE910ELNS1_3gpuE8ELNS1_3repE0EEENS1_30default_config_static_selectorELNS0_4arch9wavefront6targetE1EEEvS12_, .Lfunc_end1279-_ZN7rocprim17ROCPRIM_400000_NS6detail17trampoline_kernelINS0_13select_configILj256ELj13ELNS0_17block_load_methodE3ELS4_3ELS4_3ELNS0_20block_scan_algorithmE0ELj4294967295EEENS1_25partition_config_selectorILNS1_17partition_subalgoE4EjNS0_10empty_typeEbEEZZNS1_14partition_implILS8_4ELb0ES6_15HIP_vector_typeIjLj2EENS0_17counting_iteratorIjlEEPS9_SG_NS0_5tupleIJPjSI_NS0_16reverse_iteratorISI_EEEEENSH_IJSG_SG_SG_EEES9_SI_JZNS1_25segmented_radix_sort_implINS0_14default_configELb1EPKfPfPKlPlN2at6native12_GLOBAL__N_18offset_tEEE10hipError_tPvRmT1_PNSt15iterator_traitsIS12_E10value_typeET2_T3_PNS13_IS18_E10value_typeET4_jRbjT5_S1E_jjP12ihipStream_tbEUljE_ZNSN_ISO_Lb1ESQ_SR_ST_SU_SY_EESZ_S10_S11_S12_S16_S17_S18_S1B_S1C_jS1D_jS1E_S1E_jjS1G_bEUljE0_EEESZ_S10_S11_S18_S1C_S1E_T6_T7_T9_mT8_S1G_bDpT10_ENKUlT_T0_E_clISt17integral_constantIbLb1EES1T_IbLb0EEEEDaS1P_S1Q_EUlS1P_E_NS1_11comp_targetILNS1_3genE4ELNS1_11target_archE910ELNS1_3gpuE8ELNS1_3repE0EEENS1_30default_config_static_selectorELNS0_4arch9wavefront6targetE1EEEvS12_
                                        ; -- End function
	.set _ZN7rocprim17ROCPRIM_400000_NS6detail17trampoline_kernelINS0_13select_configILj256ELj13ELNS0_17block_load_methodE3ELS4_3ELS4_3ELNS0_20block_scan_algorithmE0ELj4294967295EEENS1_25partition_config_selectorILNS1_17partition_subalgoE4EjNS0_10empty_typeEbEEZZNS1_14partition_implILS8_4ELb0ES6_15HIP_vector_typeIjLj2EENS0_17counting_iteratorIjlEEPS9_SG_NS0_5tupleIJPjSI_NS0_16reverse_iteratorISI_EEEEENSH_IJSG_SG_SG_EEES9_SI_JZNS1_25segmented_radix_sort_implINS0_14default_configELb1EPKfPfPKlPlN2at6native12_GLOBAL__N_18offset_tEEE10hipError_tPvRmT1_PNSt15iterator_traitsIS12_E10value_typeET2_T3_PNS13_IS18_E10value_typeET4_jRbjT5_S1E_jjP12ihipStream_tbEUljE_ZNSN_ISO_Lb1ESQ_SR_ST_SU_SY_EESZ_S10_S11_S12_S16_S17_S18_S1B_S1C_jS1D_jS1E_S1E_jjS1G_bEUljE0_EEESZ_S10_S11_S18_S1C_S1E_T6_T7_T9_mT8_S1G_bDpT10_ENKUlT_T0_E_clISt17integral_constantIbLb1EES1T_IbLb0EEEEDaS1P_S1Q_EUlS1P_E_NS1_11comp_targetILNS1_3genE4ELNS1_11target_archE910ELNS1_3gpuE8ELNS1_3repE0EEENS1_30default_config_static_selectorELNS0_4arch9wavefront6targetE1EEEvS12_.num_vgpr, 0
	.set _ZN7rocprim17ROCPRIM_400000_NS6detail17trampoline_kernelINS0_13select_configILj256ELj13ELNS0_17block_load_methodE3ELS4_3ELS4_3ELNS0_20block_scan_algorithmE0ELj4294967295EEENS1_25partition_config_selectorILNS1_17partition_subalgoE4EjNS0_10empty_typeEbEEZZNS1_14partition_implILS8_4ELb0ES6_15HIP_vector_typeIjLj2EENS0_17counting_iteratorIjlEEPS9_SG_NS0_5tupleIJPjSI_NS0_16reverse_iteratorISI_EEEEENSH_IJSG_SG_SG_EEES9_SI_JZNS1_25segmented_radix_sort_implINS0_14default_configELb1EPKfPfPKlPlN2at6native12_GLOBAL__N_18offset_tEEE10hipError_tPvRmT1_PNSt15iterator_traitsIS12_E10value_typeET2_T3_PNS13_IS18_E10value_typeET4_jRbjT5_S1E_jjP12ihipStream_tbEUljE_ZNSN_ISO_Lb1ESQ_SR_ST_SU_SY_EESZ_S10_S11_S12_S16_S17_S18_S1B_S1C_jS1D_jS1E_S1E_jjS1G_bEUljE0_EEESZ_S10_S11_S18_S1C_S1E_T6_T7_T9_mT8_S1G_bDpT10_ENKUlT_T0_E_clISt17integral_constantIbLb1EES1T_IbLb0EEEEDaS1P_S1Q_EUlS1P_E_NS1_11comp_targetILNS1_3genE4ELNS1_11target_archE910ELNS1_3gpuE8ELNS1_3repE0EEENS1_30default_config_static_selectorELNS0_4arch9wavefront6targetE1EEEvS12_.num_agpr, 0
	.set _ZN7rocprim17ROCPRIM_400000_NS6detail17trampoline_kernelINS0_13select_configILj256ELj13ELNS0_17block_load_methodE3ELS4_3ELS4_3ELNS0_20block_scan_algorithmE0ELj4294967295EEENS1_25partition_config_selectorILNS1_17partition_subalgoE4EjNS0_10empty_typeEbEEZZNS1_14partition_implILS8_4ELb0ES6_15HIP_vector_typeIjLj2EENS0_17counting_iteratorIjlEEPS9_SG_NS0_5tupleIJPjSI_NS0_16reverse_iteratorISI_EEEEENSH_IJSG_SG_SG_EEES9_SI_JZNS1_25segmented_radix_sort_implINS0_14default_configELb1EPKfPfPKlPlN2at6native12_GLOBAL__N_18offset_tEEE10hipError_tPvRmT1_PNSt15iterator_traitsIS12_E10value_typeET2_T3_PNS13_IS18_E10value_typeET4_jRbjT5_S1E_jjP12ihipStream_tbEUljE_ZNSN_ISO_Lb1ESQ_SR_ST_SU_SY_EESZ_S10_S11_S12_S16_S17_S18_S1B_S1C_jS1D_jS1E_S1E_jjS1G_bEUljE0_EEESZ_S10_S11_S18_S1C_S1E_T6_T7_T9_mT8_S1G_bDpT10_ENKUlT_T0_E_clISt17integral_constantIbLb1EES1T_IbLb0EEEEDaS1P_S1Q_EUlS1P_E_NS1_11comp_targetILNS1_3genE4ELNS1_11target_archE910ELNS1_3gpuE8ELNS1_3repE0EEENS1_30default_config_static_selectorELNS0_4arch9wavefront6targetE1EEEvS12_.numbered_sgpr, 0
	.set _ZN7rocprim17ROCPRIM_400000_NS6detail17trampoline_kernelINS0_13select_configILj256ELj13ELNS0_17block_load_methodE3ELS4_3ELS4_3ELNS0_20block_scan_algorithmE0ELj4294967295EEENS1_25partition_config_selectorILNS1_17partition_subalgoE4EjNS0_10empty_typeEbEEZZNS1_14partition_implILS8_4ELb0ES6_15HIP_vector_typeIjLj2EENS0_17counting_iteratorIjlEEPS9_SG_NS0_5tupleIJPjSI_NS0_16reverse_iteratorISI_EEEEENSH_IJSG_SG_SG_EEES9_SI_JZNS1_25segmented_radix_sort_implINS0_14default_configELb1EPKfPfPKlPlN2at6native12_GLOBAL__N_18offset_tEEE10hipError_tPvRmT1_PNSt15iterator_traitsIS12_E10value_typeET2_T3_PNS13_IS18_E10value_typeET4_jRbjT5_S1E_jjP12ihipStream_tbEUljE_ZNSN_ISO_Lb1ESQ_SR_ST_SU_SY_EESZ_S10_S11_S12_S16_S17_S18_S1B_S1C_jS1D_jS1E_S1E_jjS1G_bEUljE0_EEESZ_S10_S11_S18_S1C_S1E_T6_T7_T9_mT8_S1G_bDpT10_ENKUlT_T0_E_clISt17integral_constantIbLb1EES1T_IbLb0EEEEDaS1P_S1Q_EUlS1P_E_NS1_11comp_targetILNS1_3genE4ELNS1_11target_archE910ELNS1_3gpuE8ELNS1_3repE0EEENS1_30default_config_static_selectorELNS0_4arch9wavefront6targetE1EEEvS12_.num_named_barrier, 0
	.set _ZN7rocprim17ROCPRIM_400000_NS6detail17trampoline_kernelINS0_13select_configILj256ELj13ELNS0_17block_load_methodE3ELS4_3ELS4_3ELNS0_20block_scan_algorithmE0ELj4294967295EEENS1_25partition_config_selectorILNS1_17partition_subalgoE4EjNS0_10empty_typeEbEEZZNS1_14partition_implILS8_4ELb0ES6_15HIP_vector_typeIjLj2EENS0_17counting_iteratorIjlEEPS9_SG_NS0_5tupleIJPjSI_NS0_16reverse_iteratorISI_EEEEENSH_IJSG_SG_SG_EEES9_SI_JZNS1_25segmented_radix_sort_implINS0_14default_configELb1EPKfPfPKlPlN2at6native12_GLOBAL__N_18offset_tEEE10hipError_tPvRmT1_PNSt15iterator_traitsIS12_E10value_typeET2_T3_PNS13_IS18_E10value_typeET4_jRbjT5_S1E_jjP12ihipStream_tbEUljE_ZNSN_ISO_Lb1ESQ_SR_ST_SU_SY_EESZ_S10_S11_S12_S16_S17_S18_S1B_S1C_jS1D_jS1E_S1E_jjS1G_bEUljE0_EEESZ_S10_S11_S18_S1C_S1E_T6_T7_T9_mT8_S1G_bDpT10_ENKUlT_T0_E_clISt17integral_constantIbLb1EES1T_IbLb0EEEEDaS1P_S1Q_EUlS1P_E_NS1_11comp_targetILNS1_3genE4ELNS1_11target_archE910ELNS1_3gpuE8ELNS1_3repE0EEENS1_30default_config_static_selectorELNS0_4arch9wavefront6targetE1EEEvS12_.private_seg_size, 0
	.set _ZN7rocprim17ROCPRIM_400000_NS6detail17trampoline_kernelINS0_13select_configILj256ELj13ELNS0_17block_load_methodE3ELS4_3ELS4_3ELNS0_20block_scan_algorithmE0ELj4294967295EEENS1_25partition_config_selectorILNS1_17partition_subalgoE4EjNS0_10empty_typeEbEEZZNS1_14partition_implILS8_4ELb0ES6_15HIP_vector_typeIjLj2EENS0_17counting_iteratorIjlEEPS9_SG_NS0_5tupleIJPjSI_NS0_16reverse_iteratorISI_EEEEENSH_IJSG_SG_SG_EEES9_SI_JZNS1_25segmented_radix_sort_implINS0_14default_configELb1EPKfPfPKlPlN2at6native12_GLOBAL__N_18offset_tEEE10hipError_tPvRmT1_PNSt15iterator_traitsIS12_E10value_typeET2_T3_PNS13_IS18_E10value_typeET4_jRbjT5_S1E_jjP12ihipStream_tbEUljE_ZNSN_ISO_Lb1ESQ_SR_ST_SU_SY_EESZ_S10_S11_S12_S16_S17_S18_S1B_S1C_jS1D_jS1E_S1E_jjS1G_bEUljE0_EEESZ_S10_S11_S18_S1C_S1E_T6_T7_T9_mT8_S1G_bDpT10_ENKUlT_T0_E_clISt17integral_constantIbLb1EES1T_IbLb0EEEEDaS1P_S1Q_EUlS1P_E_NS1_11comp_targetILNS1_3genE4ELNS1_11target_archE910ELNS1_3gpuE8ELNS1_3repE0EEENS1_30default_config_static_selectorELNS0_4arch9wavefront6targetE1EEEvS12_.uses_vcc, 0
	.set _ZN7rocprim17ROCPRIM_400000_NS6detail17trampoline_kernelINS0_13select_configILj256ELj13ELNS0_17block_load_methodE3ELS4_3ELS4_3ELNS0_20block_scan_algorithmE0ELj4294967295EEENS1_25partition_config_selectorILNS1_17partition_subalgoE4EjNS0_10empty_typeEbEEZZNS1_14partition_implILS8_4ELb0ES6_15HIP_vector_typeIjLj2EENS0_17counting_iteratorIjlEEPS9_SG_NS0_5tupleIJPjSI_NS0_16reverse_iteratorISI_EEEEENSH_IJSG_SG_SG_EEES9_SI_JZNS1_25segmented_radix_sort_implINS0_14default_configELb1EPKfPfPKlPlN2at6native12_GLOBAL__N_18offset_tEEE10hipError_tPvRmT1_PNSt15iterator_traitsIS12_E10value_typeET2_T3_PNS13_IS18_E10value_typeET4_jRbjT5_S1E_jjP12ihipStream_tbEUljE_ZNSN_ISO_Lb1ESQ_SR_ST_SU_SY_EESZ_S10_S11_S12_S16_S17_S18_S1B_S1C_jS1D_jS1E_S1E_jjS1G_bEUljE0_EEESZ_S10_S11_S18_S1C_S1E_T6_T7_T9_mT8_S1G_bDpT10_ENKUlT_T0_E_clISt17integral_constantIbLb1EES1T_IbLb0EEEEDaS1P_S1Q_EUlS1P_E_NS1_11comp_targetILNS1_3genE4ELNS1_11target_archE910ELNS1_3gpuE8ELNS1_3repE0EEENS1_30default_config_static_selectorELNS0_4arch9wavefront6targetE1EEEvS12_.uses_flat_scratch, 0
	.set _ZN7rocprim17ROCPRIM_400000_NS6detail17trampoline_kernelINS0_13select_configILj256ELj13ELNS0_17block_load_methodE3ELS4_3ELS4_3ELNS0_20block_scan_algorithmE0ELj4294967295EEENS1_25partition_config_selectorILNS1_17partition_subalgoE4EjNS0_10empty_typeEbEEZZNS1_14partition_implILS8_4ELb0ES6_15HIP_vector_typeIjLj2EENS0_17counting_iteratorIjlEEPS9_SG_NS0_5tupleIJPjSI_NS0_16reverse_iteratorISI_EEEEENSH_IJSG_SG_SG_EEES9_SI_JZNS1_25segmented_radix_sort_implINS0_14default_configELb1EPKfPfPKlPlN2at6native12_GLOBAL__N_18offset_tEEE10hipError_tPvRmT1_PNSt15iterator_traitsIS12_E10value_typeET2_T3_PNS13_IS18_E10value_typeET4_jRbjT5_S1E_jjP12ihipStream_tbEUljE_ZNSN_ISO_Lb1ESQ_SR_ST_SU_SY_EESZ_S10_S11_S12_S16_S17_S18_S1B_S1C_jS1D_jS1E_S1E_jjS1G_bEUljE0_EEESZ_S10_S11_S18_S1C_S1E_T6_T7_T9_mT8_S1G_bDpT10_ENKUlT_T0_E_clISt17integral_constantIbLb1EES1T_IbLb0EEEEDaS1P_S1Q_EUlS1P_E_NS1_11comp_targetILNS1_3genE4ELNS1_11target_archE910ELNS1_3gpuE8ELNS1_3repE0EEENS1_30default_config_static_selectorELNS0_4arch9wavefront6targetE1EEEvS12_.has_dyn_sized_stack, 0
	.set _ZN7rocprim17ROCPRIM_400000_NS6detail17trampoline_kernelINS0_13select_configILj256ELj13ELNS0_17block_load_methodE3ELS4_3ELS4_3ELNS0_20block_scan_algorithmE0ELj4294967295EEENS1_25partition_config_selectorILNS1_17partition_subalgoE4EjNS0_10empty_typeEbEEZZNS1_14partition_implILS8_4ELb0ES6_15HIP_vector_typeIjLj2EENS0_17counting_iteratorIjlEEPS9_SG_NS0_5tupleIJPjSI_NS0_16reverse_iteratorISI_EEEEENSH_IJSG_SG_SG_EEES9_SI_JZNS1_25segmented_radix_sort_implINS0_14default_configELb1EPKfPfPKlPlN2at6native12_GLOBAL__N_18offset_tEEE10hipError_tPvRmT1_PNSt15iterator_traitsIS12_E10value_typeET2_T3_PNS13_IS18_E10value_typeET4_jRbjT5_S1E_jjP12ihipStream_tbEUljE_ZNSN_ISO_Lb1ESQ_SR_ST_SU_SY_EESZ_S10_S11_S12_S16_S17_S18_S1B_S1C_jS1D_jS1E_S1E_jjS1G_bEUljE0_EEESZ_S10_S11_S18_S1C_S1E_T6_T7_T9_mT8_S1G_bDpT10_ENKUlT_T0_E_clISt17integral_constantIbLb1EES1T_IbLb0EEEEDaS1P_S1Q_EUlS1P_E_NS1_11comp_targetILNS1_3genE4ELNS1_11target_archE910ELNS1_3gpuE8ELNS1_3repE0EEENS1_30default_config_static_selectorELNS0_4arch9wavefront6targetE1EEEvS12_.has_recursion, 0
	.set _ZN7rocprim17ROCPRIM_400000_NS6detail17trampoline_kernelINS0_13select_configILj256ELj13ELNS0_17block_load_methodE3ELS4_3ELS4_3ELNS0_20block_scan_algorithmE0ELj4294967295EEENS1_25partition_config_selectorILNS1_17partition_subalgoE4EjNS0_10empty_typeEbEEZZNS1_14partition_implILS8_4ELb0ES6_15HIP_vector_typeIjLj2EENS0_17counting_iteratorIjlEEPS9_SG_NS0_5tupleIJPjSI_NS0_16reverse_iteratorISI_EEEEENSH_IJSG_SG_SG_EEES9_SI_JZNS1_25segmented_radix_sort_implINS0_14default_configELb1EPKfPfPKlPlN2at6native12_GLOBAL__N_18offset_tEEE10hipError_tPvRmT1_PNSt15iterator_traitsIS12_E10value_typeET2_T3_PNS13_IS18_E10value_typeET4_jRbjT5_S1E_jjP12ihipStream_tbEUljE_ZNSN_ISO_Lb1ESQ_SR_ST_SU_SY_EESZ_S10_S11_S12_S16_S17_S18_S1B_S1C_jS1D_jS1E_S1E_jjS1G_bEUljE0_EEESZ_S10_S11_S18_S1C_S1E_T6_T7_T9_mT8_S1G_bDpT10_ENKUlT_T0_E_clISt17integral_constantIbLb1EES1T_IbLb0EEEEDaS1P_S1Q_EUlS1P_E_NS1_11comp_targetILNS1_3genE4ELNS1_11target_archE910ELNS1_3gpuE8ELNS1_3repE0EEENS1_30default_config_static_selectorELNS0_4arch9wavefront6targetE1EEEvS12_.has_indirect_call, 0
	.section	.AMDGPU.csdata,"",@progbits
; Kernel info:
; codeLenInByte = 0
; TotalNumSgprs: 4
; NumVgprs: 0
; ScratchSize: 0
; MemoryBound: 0
; FloatMode: 240
; IeeeMode: 1
; LDSByteSize: 0 bytes/workgroup (compile time only)
; SGPRBlocks: 0
; VGPRBlocks: 0
; NumSGPRsForWavesPerEU: 4
; NumVGPRsForWavesPerEU: 1
; Occupancy: 10
; WaveLimiterHint : 0
; COMPUTE_PGM_RSRC2:SCRATCH_EN: 0
; COMPUTE_PGM_RSRC2:USER_SGPR: 6
; COMPUTE_PGM_RSRC2:TRAP_HANDLER: 0
; COMPUTE_PGM_RSRC2:TGID_X_EN: 1
; COMPUTE_PGM_RSRC2:TGID_Y_EN: 0
; COMPUTE_PGM_RSRC2:TGID_Z_EN: 0
; COMPUTE_PGM_RSRC2:TIDIG_COMP_CNT: 0
	.section	.text._ZN7rocprim17ROCPRIM_400000_NS6detail17trampoline_kernelINS0_13select_configILj256ELj13ELNS0_17block_load_methodE3ELS4_3ELS4_3ELNS0_20block_scan_algorithmE0ELj4294967295EEENS1_25partition_config_selectorILNS1_17partition_subalgoE4EjNS0_10empty_typeEbEEZZNS1_14partition_implILS8_4ELb0ES6_15HIP_vector_typeIjLj2EENS0_17counting_iteratorIjlEEPS9_SG_NS0_5tupleIJPjSI_NS0_16reverse_iteratorISI_EEEEENSH_IJSG_SG_SG_EEES9_SI_JZNS1_25segmented_radix_sort_implINS0_14default_configELb1EPKfPfPKlPlN2at6native12_GLOBAL__N_18offset_tEEE10hipError_tPvRmT1_PNSt15iterator_traitsIS12_E10value_typeET2_T3_PNS13_IS18_E10value_typeET4_jRbjT5_S1E_jjP12ihipStream_tbEUljE_ZNSN_ISO_Lb1ESQ_SR_ST_SU_SY_EESZ_S10_S11_S12_S16_S17_S18_S1B_S1C_jS1D_jS1E_S1E_jjS1G_bEUljE0_EEESZ_S10_S11_S18_S1C_S1E_T6_T7_T9_mT8_S1G_bDpT10_ENKUlT_T0_E_clISt17integral_constantIbLb1EES1T_IbLb0EEEEDaS1P_S1Q_EUlS1P_E_NS1_11comp_targetILNS1_3genE3ELNS1_11target_archE908ELNS1_3gpuE7ELNS1_3repE0EEENS1_30default_config_static_selectorELNS0_4arch9wavefront6targetE1EEEvS12_,"axG",@progbits,_ZN7rocprim17ROCPRIM_400000_NS6detail17trampoline_kernelINS0_13select_configILj256ELj13ELNS0_17block_load_methodE3ELS4_3ELS4_3ELNS0_20block_scan_algorithmE0ELj4294967295EEENS1_25partition_config_selectorILNS1_17partition_subalgoE4EjNS0_10empty_typeEbEEZZNS1_14partition_implILS8_4ELb0ES6_15HIP_vector_typeIjLj2EENS0_17counting_iteratorIjlEEPS9_SG_NS0_5tupleIJPjSI_NS0_16reverse_iteratorISI_EEEEENSH_IJSG_SG_SG_EEES9_SI_JZNS1_25segmented_radix_sort_implINS0_14default_configELb1EPKfPfPKlPlN2at6native12_GLOBAL__N_18offset_tEEE10hipError_tPvRmT1_PNSt15iterator_traitsIS12_E10value_typeET2_T3_PNS13_IS18_E10value_typeET4_jRbjT5_S1E_jjP12ihipStream_tbEUljE_ZNSN_ISO_Lb1ESQ_SR_ST_SU_SY_EESZ_S10_S11_S12_S16_S17_S18_S1B_S1C_jS1D_jS1E_S1E_jjS1G_bEUljE0_EEESZ_S10_S11_S18_S1C_S1E_T6_T7_T9_mT8_S1G_bDpT10_ENKUlT_T0_E_clISt17integral_constantIbLb1EES1T_IbLb0EEEEDaS1P_S1Q_EUlS1P_E_NS1_11comp_targetILNS1_3genE3ELNS1_11target_archE908ELNS1_3gpuE7ELNS1_3repE0EEENS1_30default_config_static_selectorELNS0_4arch9wavefront6targetE1EEEvS12_,comdat
	.globl	_ZN7rocprim17ROCPRIM_400000_NS6detail17trampoline_kernelINS0_13select_configILj256ELj13ELNS0_17block_load_methodE3ELS4_3ELS4_3ELNS0_20block_scan_algorithmE0ELj4294967295EEENS1_25partition_config_selectorILNS1_17partition_subalgoE4EjNS0_10empty_typeEbEEZZNS1_14partition_implILS8_4ELb0ES6_15HIP_vector_typeIjLj2EENS0_17counting_iteratorIjlEEPS9_SG_NS0_5tupleIJPjSI_NS0_16reverse_iteratorISI_EEEEENSH_IJSG_SG_SG_EEES9_SI_JZNS1_25segmented_radix_sort_implINS0_14default_configELb1EPKfPfPKlPlN2at6native12_GLOBAL__N_18offset_tEEE10hipError_tPvRmT1_PNSt15iterator_traitsIS12_E10value_typeET2_T3_PNS13_IS18_E10value_typeET4_jRbjT5_S1E_jjP12ihipStream_tbEUljE_ZNSN_ISO_Lb1ESQ_SR_ST_SU_SY_EESZ_S10_S11_S12_S16_S17_S18_S1B_S1C_jS1D_jS1E_S1E_jjS1G_bEUljE0_EEESZ_S10_S11_S18_S1C_S1E_T6_T7_T9_mT8_S1G_bDpT10_ENKUlT_T0_E_clISt17integral_constantIbLb1EES1T_IbLb0EEEEDaS1P_S1Q_EUlS1P_E_NS1_11comp_targetILNS1_3genE3ELNS1_11target_archE908ELNS1_3gpuE7ELNS1_3repE0EEENS1_30default_config_static_selectorELNS0_4arch9wavefront6targetE1EEEvS12_ ; -- Begin function _ZN7rocprim17ROCPRIM_400000_NS6detail17trampoline_kernelINS0_13select_configILj256ELj13ELNS0_17block_load_methodE3ELS4_3ELS4_3ELNS0_20block_scan_algorithmE0ELj4294967295EEENS1_25partition_config_selectorILNS1_17partition_subalgoE4EjNS0_10empty_typeEbEEZZNS1_14partition_implILS8_4ELb0ES6_15HIP_vector_typeIjLj2EENS0_17counting_iteratorIjlEEPS9_SG_NS0_5tupleIJPjSI_NS0_16reverse_iteratorISI_EEEEENSH_IJSG_SG_SG_EEES9_SI_JZNS1_25segmented_radix_sort_implINS0_14default_configELb1EPKfPfPKlPlN2at6native12_GLOBAL__N_18offset_tEEE10hipError_tPvRmT1_PNSt15iterator_traitsIS12_E10value_typeET2_T3_PNS13_IS18_E10value_typeET4_jRbjT5_S1E_jjP12ihipStream_tbEUljE_ZNSN_ISO_Lb1ESQ_SR_ST_SU_SY_EESZ_S10_S11_S12_S16_S17_S18_S1B_S1C_jS1D_jS1E_S1E_jjS1G_bEUljE0_EEESZ_S10_S11_S18_S1C_S1E_T6_T7_T9_mT8_S1G_bDpT10_ENKUlT_T0_E_clISt17integral_constantIbLb1EES1T_IbLb0EEEEDaS1P_S1Q_EUlS1P_E_NS1_11comp_targetILNS1_3genE3ELNS1_11target_archE908ELNS1_3gpuE7ELNS1_3repE0EEENS1_30default_config_static_selectorELNS0_4arch9wavefront6targetE1EEEvS12_
	.p2align	8
	.type	_ZN7rocprim17ROCPRIM_400000_NS6detail17trampoline_kernelINS0_13select_configILj256ELj13ELNS0_17block_load_methodE3ELS4_3ELS4_3ELNS0_20block_scan_algorithmE0ELj4294967295EEENS1_25partition_config_selectorILNS1_17partition_subalgoE4EjNS0_10empty_typeEbEEZZNS1_14partition_implILS8_4ELb0ES6_15HIP_vector_typeIjLj2EENS0_17counting_iteratorIjlEEPS9_SG_NS0_5tupleIJPjSI_NS0_16reverse_iteratorISI_EEEEENSH_IJSG_SG_SG_EEES9_SI_JZNS1_25segmented_radix_sort_implINS0_14default_configELb1EPKfPfPKlPlN2at6native12_GLOBAL__N_18offset_tEEE10hipError_tPvRmT1_PNSt15iterator_traitsIS12_E10value_typeET2_T3_PNS13_IS18_E10value_typeET4_jRbjT5_S1E_jjP12ihipStream_tbEUljE_ZNSN_ISO_Lb1ESQ_SR_ST_SU_SY_EESZ_S10_S11_S12_S16_S17_S18_S1B_S1C_jS1D_jS1E_S1E_jjS1G_bEUljE0_EEESZ_S10_S11_S18_S1C_S1E_T6_T7_T9_mT8_S1G_bDpT10_ENKUlT_T0_E_clISt17integral_constantIbLb1EES1T_IbLb0EEEEDaS1P_S1Q_EUlS1P_E_NS1_11comp_targetILNS1_3genE3ELNS1_11target_archE908ELNS1_3gpuE7ELNS1_3repE0EEENS1_30default_config_static_selectorELNS0_4arch9wavefront6targetE1EEEvS12_,@function
_ZN7rocprim17ROCPRIM_400000_NS6detail17trampoline_kernelINS0_13select_configILj256ELj13ELNS0_17block_load_methodE3ELS4_3ELS4_3ELNS0_20block_scan_algorithmE0ELj4294967295EEENS1_25partition_config_selectorILNS1_17partition_subalgoE4EjNS0_10empty_typeEbEEZZNS1_14partition_implILS8_4ELb0ES6_15HIP_vector_typeIjLj2EENS0_17counting_iteratorIjlEEPS9_SG_NS0_5tupleIJPjSI_NS0_16reverse_iteratorISI_EEEEENSH_IJSG_SG_SG_EEES9_SI_JZNS1_25segmented_radix_sort_implINS0_14default_configELb1EPKfPfPKlPlN2at6native12_GLOBAL__N_18offset_tEEE10hipError_tPvRmT1_PNSt15iterator_traitsIS12_E10value_typeET2_T3_PNS13_IS18_E10value_typeET4_jRbjT5_S1E_jjP12ihipStream_tbEUljE_ZNSN_ISO_Lb1ESQ_SR_ST_SU_SY_EESZ_S10_S11_S12_S16_S17_S18_S1B_S1C_jS1D_jS1E_S1E_jjS1G_bEUljE0_EEESZ_S10_S11_S18_S1C_S1E_T6_T7_T9_mT8_S1G_bDpT10_ENKUlT_T0_E_clISt17integral_constantIbLb1EES1T_IbLb0EEEEDaS1P_S1Q_EUlS1P_E_NS1_11comp_targetILNS1_3genE3ELNS1_11target_archE908ELNS1_3gpuE7ELNS1_3repE0EEENS1_30default_config_static_selectorELNS0_4arch9wavefront6targetE1EEEvS12_: ; @_ZN7rocprim17ROCPRIM_400000_NS6detail17trampoline_kernelINS0_13select_configILj256ELj13ELNS0_17block_load_methodE3ELS4_3ELS4_3ELNS0_20block_scan_algorithmE0ELj4294967295EEENS1_25partition_config_selectorILNS1_17partition_subalgoE4EjNS0_10empty_typeEbEEZZNS1_14partition_implILS8_4ELb0ES6_15HIP_vector_typeIjLj2EENS0_17counting_iteratorIjlEEPS9_SG_NS0_5tupleIJPjSI_NS0_16reverse_iteratorISI_EEEEENSH_IJSG_SG_SG_EEES9_SI_JZNS1_25segmented_radix_sort_implINS0_14default_configELb1EPKfPfPKlPlN2at6native12_GLOBAL__N_18offset_tEEE10hipError_tPvRmT1_PNSt15iterator_traitsIS12_E10value_typeET2_T3_PNS13_IS18_E10value_typeET4_jRbjT5_S1E_jjP12ihipStream_tbEUljE_ZNSN_ISO_Lb1ESQ_SR_ST_SU_SY_EESZ_S10_S11_S12_S16_S17_S18_S1B_S1C_jS1D_jS1E_S1E_jjS1G_bEUljE0_EEESZ_S10_S11_S18_S1C_S1E_T6_T7_T9_mT8_S1G_bDpT10_ENKUlT_T0_E_clISt17integral_constantIbLb1EES1T_IbLb0EEEEDaS1P_S1Q_EUlS1P_E_NS1_11comp_targetILNS1_3genE3ELNS1_11target_archE908ELNS1_3gpuE7ELNS1_3repE0EEENS1_30default_config_static_selectorELNS0_4arch9wavefront6targetE1EEEvS12_
; %bb.0:
	.section	.rodata,"a",@progbits
	.p2align	6, 0x0
	.amdhsa_kernel _ZN7rocprim17ROCPRIM_400000_NS6detail17trampoline_kernelINS0_13select_configILj256ELj13ELNS0_17block_load_methodE3ELS4_3ELS4_3ELNS0_20block_scan_algorithmE0ELj4294967295EEENS1_25partition_config_selectorILNS1_17partition_subalgoE4EjNS0_10empty_typeEbEEZZNS1_14partition_implILS8_4ELb0ES6_15HIP_vector_typeIjLj2EENS0_17counting_iteratorIjlEEPS9_SG_NS0_5tupleIJPjSI_NS0_16reverse_iteratorISI_EEEEENSH_IJSG_SG_SG_EEES9_SI_JZNS1_25segmented_radix_sort_implINS0_14default_configELb1EPKfPfPKlPlN2at6native12_GLOBAL__N_18offset_tEEE10hipError_tPvRmT1_PNSt15iterator_traitsIS12_E10value_typeET2_T3_PNS13_IS18_E10value_typeET4_jRbjT5_S1E_jjP12ihipStream_tbEUljE_ZNSN_ISO_Lb1ESQ_SR_ST_SU_SY_EESZ_S10_S11_S12_S16_S17_S18_S1B_S1C_jS1D_jS1E_S1E_jjS1G_bEUljE0_EEESZ_S10_S11_S18_S1C_S1E_T6_T7_T9_mT8_S1G_bDpT10_ENKUlT_T0_E_clISt17integral_constantIbLb1EES1T_IbLb0EEEEDaS1P_S1Q_EUlS1P_E_NS1_11comp_targetILNS1_3genE3ELNS1_11target_archE908ELNS1_3gpuE7ELNS1_3repE0EEENS1_30default_config_static_selectorELNS0_4arch9wavefront6targetE1EEEvS12_
		.amdhsa_group_segment_fixed_size 0
		.amdhsa_private_segment_fixed_size 0
		.amdhsa_kernarg_size 176
		.amdhsa_user_sgpr_count 6
		.amdhsa_user_sgpr_private_segment_buffer 1
		.amdhsa_user_sgpr_dispatch_ptr 0
		.amdhsa_user_sgpr_queue_ptr 0
		.amdhsa_user_sgpr_kernarg_segment_ptr 1
		.amdhsa_user_sgpr_dispatch_id 0
		.amdhsa_user_sgpr_flat_scratch_init 0
		.amdhsa_user_sgpr_private_segment_size 0
		.amdhsa_uses_dynamic_stack 0
		.amdhsa_system_sgpr_private_segment_wavefront_offset 0
		.amdhsa_system_sgpr_workgroup_id_x 1
		.amdhsa_system_sgpr_workgroup_id_y 0
		.amdhsa_system_sgpr_workgroup_id_z 0
		.amdhsa_system_sgpr_workgroup_info 0
		.amdhsa_system_vgpr_workitem_id 0
		.amdhsa_next_free_vgpr 1
		.amdhsa_next_free_sgpr 0
		.amdhsa_reserve_vcc 0
		.amdhsa_reserve_flat_scratch 0
		.amdhsa_float_round_mode_32 0
		.amdhsa_float_round_mode_16_64 0
		.amdhsa_float_denorm_mode_32 3
		.amdhsa_float_denorm_mode_16_64 3
		.amdhsa_dx10_clamp 1
		.amdhsa_ieee_mode 1
		.amdhsa_fp16_overflow 0
		.amdhsa_exception_fp_ieee_invalid_op 0
		.amdhsa_exception_fp_denorm_src 0
		.amdhsa_exception_fp_ieee_div_zero 0
		.amdhsa_exception_fp_ieee_overflow 0
		.amdhsa_exception_fp_ieee_underflow 0
		.amdhsa_exception_fp_ieee_inexact 0
		.amdhsa_exception_int_div_zero 0
	.end_amdhsa_kernel
	.section	.text._ZN7rocprim17ROCPRIM_400000_NS6detail17trampoline_kernelINS0_13select_configILj256ELj13ELNS0_17block_load_methodE3ELS4_3ELS4_3ELNS0_20block_scan_algorithmE0ELj4294967295EEENS1_25partition_config_selectorILNS1_17partition_subalgoE4EjNS0_10empty_typeEbEEZZNS1_14partition_implILS8_4ELb0ES6_15HIP_vector_typeIjLj2EENS0_17counting_iteratorIjlEEPS9_SG_NS0_5tupleIJPjSI_NS0_16reverse_iteratorISI_EEEEENSH_IJSG_SG_SG_EEES9_SI_JZNS1_25segmented_radix_sort_implINS0_14default_configELb1EPKfPfPKlPlN2at6native12_GLOBAL__N_18offset_tEEE10hipError_tPvRmT1_PNSt15iterator_traitsIS12_E10value_typeET2_T3_PNS13_IS18_E10value_typeET4_jRbjT5_S1E_jjP12ihipStream_tbEUljE_ZNSN_ISO_Lb1ESQ_SR_ST_SU_SY_EESZ_S10_S11_S12_S16_S17_S18_S1B_S1C_jS1D_jS1E_S1E_jjS1G_bEUljE0_EEESZ_S10_S11_S18_S1C_S1E_T6_T7_T9_mT8_S1G_bDpT10_ENKUlT_T0_E_clISt17integral_constantIbLb1EES1T_IbLb0EEEEDaS1P_S1Q_EUlS1P_E_NS1_11comp_targetILNS1_3genE3ELNS1_11target_archE908ELNS1_3gpuE7ELNS1_3repE0EEENS1_30default_config_static_selectorELNS0_4arch9wavefront6targetE1EEEvS12_,"axG",@progbits,_ZN7rocprim17ROCPRIM_400000_NS6detail17trampoline_kernelINS0_13select_configILj256ELj13ELNS0_17block_load_methodE3ELS4_3ELS4_3ELNS0_20block_scan_algorithmE0ELj4294967295EEENS1_25partition_config_selectorILNS1_17partition_subalgoE4EjNS0_10empty_typeEbEEZZNS1_14partition_implILS8_4ELb0ES6_15HIP_vector_typeIjLj2EENS0_17counting_iteratorIjlEEPS9_SG_NS0_5tupleIJPjSI_NS0_16reverse_iteratorISI_EEEEENSH_IJSG_SG_SG_EEES9_SI_JZNS1_25segmented_radix_sort_implINS0_14default_configELb1EPKfPfPKlPlN2at6native12_GLOBAL__N_18offset_tEEE10hipError_tPvRmT1_PNSt15iterator_traitsIS12_E10value_typeET2_T3_PNS13_IS18_E10value_typeET4_jRbjT5_S1E_jjP12ihipStream_tbEUljE_ZNSN_ISO_Lb1ESQ_SR_ST_SU_SY_EESZ_S10_S11_S12_S16_S17_S18_S1B_S1C_jS1D_jS1E_S1E_jjS1G_bEUljE0_EEESZ_S10_S11_S18_S1C_S1E_T6_T7_T9_mT8_S1G_bDpT10_ENKUlT_T0_E_clISt17integral_constantIbLb1EES1T_IbLb0EEEEDaS1P_S1Q_EUlS1P_E_NS1_11comp_targetILNS1_3genE3ELNS1_11target_archE908ELNS1_3gpuE7ELNS1_3repE0EEENS1_30default_config_static_selectorELNS0_4arch9wavefront6targetE1EEEvS12_,comdat
.Lfunc_end1280:
	.size	_ZN7rocprim17ROCPRIM_400000_NS6detail17trampoline_kernelINS0_13select_configILj256ELj13ELNS0_17block_load_methodE3ELS4_3ELS4_3ELNS0_20block_scan_algorithmE0ELj4294967295EEENS1_25partition_config_selectorILNS1_17partition_subalgoE4EjNS0_10empty_typeEbEEZZNS1_14partition_implILS8_4ELb0ES6_15HIP_vector_typeIjLj2EENS0_17counting_iteratorIjlEEPS9_SG_NS0_5tupleIJPjSI_NS0_16reverse_iteratorISI_EEEEENSH_IJSG_SG_SG_EEES9_SI_JZNS1_25segmented_radix_sort_implINS0_14default_configELb1EPKfPfPKlPlN2at6native12_GLOBAL__N_18offset_tEEE10hipError_tPvRmT1_PNSt15iterator_traitsIS12_E10value_typeET2_T3_PNS13_IS18_E10value_typeET4_jRbjT5_S1E_jjP12ihipStream_tbEUljE_ZNSN_ISO_Lb1ESQ_SR_ST_SU_SY_EESZ_S10_S11_S12_S16_S17_S18_S1B_S1C_jS1D_jS1E_S1E_jjS1G_bEUljE0_EEESZ_S10_S11_S18_S1C_S1E_T6_T7_T9_mT8_S1G_bDpT10_ENKUlT_T0_E_clISt17integral_constantIbLb1EES1T_IbLb0EEEEDaS1P_S1Q_EUlS1P_E_NS1_11comp_targetILNS1_3genE3ELNS1_11target_archE908ELNS1_3gpuE7ELNS1_3repE0EEENS1_30default_config_static_selectorELNS0_4arch9wavefront6targetE1EEEvS12_, .Lfunc_end1280-_ZN7rocprim17ROCPRIM_400000_NS6detail17trampoline_kernelINS0_13select_configILj256ELj13ELNS0_17block_load_methodE3ELS4_3ELS4_3ELNS0_20block_scan_algorithmE0ELj4294967295EEENS1_25partition_config_selectorILNS1_17partition_subalgoE4EjNS0_10empty_typeEbEEZZNS1_14partition_implILS8_4ELb0ES6_15HIP_vector_typeIjLj2EENS0_17counting_iteratorIjlEEPS9_SG_NS0_5tupleIJPjSI_NS0_16reverse_iteratorISI_EEEEENSH_IJSG_SG_SG_EEES9_SI_JZNS1_25segmented_radix_sort_implINS0_14default_configELb1EPKfPfPKlPlN2at6native12_GLOBAL__N_18offset_tEEE10hipError_tPvRmT1_PNSt15iterator_traitsIS12_E10value_typeET2_T3_PNS13_IS18_E10value_typeET4_jRbjT5_S1E_jjP12ihipStream_tbEUljE_ZNSN_ISO_Lb1ESQ_SR_ST_SU_SY_EESZ_S10_S11_S12_S16_S17_S18_S1B_S1C_jS1D_jS1E_S1E_jjS1G_bEUljE0_EEESZ_S10_S11_S18_S1C_S1E_T6_T7_T9_mT8_S1G_bDpT10_ENKUlT_T0_E_clISt17integral_constantIbLb1EES1T_IbLb0EEEEDaS1P_S1Q_EUlS1P_E_NS1_11comp_targetILNS1_3genE3ELNS1_11target_archE908ELNS1_3gpuE7ELNS1_3repE0EEENS1_30default_config_static_selectorELNS0_4arch9wavefront6targetE1EEEvS12_
                                        ; -- End function
	.set _ZN7rocprim17ROCPRIM_400000_NS6detail17trampoline_kernelINS0_13select_configILj256ELj13ELNS0_17block_load_methodE3ELS4_3ELS4_3ELNS0_20block_scan_algorithmE0ELj4294967295EEENS1_25partition_config_selectorILNS1_17partition_subalgoE4EjNS0_10empty_typeEbEEZZNS1_14partition_implILS8_4ELb0ES6_15HIP_vector_typeIjLj2EENS0_17counting_iteratorIjlEEPS9_SG_NS0_5tupleIJPjSI_NS0_16reverse_iteratorISI_EEEEENSH_IJSG_SG_SG_EEES9_SI_JZNS1_25segmented_radix_sort_implINS0_14default_configELb1EPKfPfPKlPlN2at6native12_GLOBAL__N_18offset_tEEE10hipError_tPvRmT1_PNSt15iterator_traitsIS12_E10value_typeET2_T3_PNS13_IS18_E10value_typeET4_jRbjT5_S1E_jjP12ihipStream_tbEUljE_ZNSN_ISO_Lb1ESQ_SR_ST_SU_SY_EESZ_S10_S11_S12_S16_S17_S18_S1B_S1C_jS1D_jS1E_S1E_jjS1G_bEUljE0_EEESZ_S10_S11_S18_S1C_S1E_T6_T7_T9_mT8_S1G_bDpT10_ENKUlT_T0_E_clISt17integral_constantIbLb1EES1T_IbLb0EEEEDaS1P_S1Q_EUlS1P_E_NS1_11comp_targetILNS1_3genE3ELNS1_11target_archE908ELNS1_3gpuE7ELNS1_3repE0EEENS1_30default_config_static_selectorELNS0_4arch9wavefront6targetE1EEEvS12_.num_vgpr, 0
	.set _ZN7rocprim17ROCPRIM_400000_NS6detail17trampoline_kernelINS0_13select_configILj256ELj13ELNS0_17block_load_methodE3ELS4_3ELS4_3ELNS0_20block_scan_algorithmE0ELj4294967295EEENS1_25partition_config_selectorILNS1_17partition_subalgoE4EjNS0_10empty_typeEbEEZZNS1_14partition_implILS8_4ELb0ES6_15HIP_vector_typeIjLj2EENS0_17counting_iteratorIjlEEPS9_SG_NS0_5tupleIJPjSI_NS0_16reverse_iteratorISI_EEEEENSH_IJSG_SG_SG_EEES9_SI_JZNS1_25segmented_radix_sort_implINS0_14default_configELb1EPKfPfPKlPlN2at6native12_GLOBAL__N_18offset_tEEE10hipError_tPvRmT1_PNSt15iterator_traitsIS12_E10value_typeET2_T3_PNS13_IS18_E10value_typeET4_jRbjT5_S1E_jjP12ihipStream_tbEUljE_ZNSN_ISO_Lb1ESQ_SR_ST_SU_SY_EESZ_S10_S11_S12_S16_S17_S18_S1B_S1C_jS1D_jS1E_S1E_jjS1G_bEUljE0_EEESZ_S10_S11_S18_S1C_S1E_T6_T7_T9_mT8_S1G_bDpT10_ENKUlT_T0_E_clISt17integral_constantIbLb1EES1T_IbLb0EEEEDaS1P_S1Q_EUlS1P_E_NS1_11comp_targetILNS1_3genE3ELNS1_11target_archE908ELNS1_3gpuE7ELNS1_3repE0EEENS1_30default_config_static_selectorELNS0_4arch9wavefront6targetE1EEEvS12_.num_agpr, 0
	.set _ZN7rocprim17ROCPRIM_400000_NS6detail17trampoline_kernelINS0_13select_configILj256ELj13ELNS0_17block_load_methodE3ELS4_3ELS4_3ELNS0_20block_scan_algorithmE0ELj4294967295EEENS1_25partition_config_selectorILNS1_17partition_subalgoE4EjNS0_10empty_typeEbEEZZNS1_14partition_implILS8_4ELb0ES6_15HIP_vector_typeIjLj2EENS0_17counting_iteratorIjlEEPS9_SG_NS0_5tupleIJPjSI_NS0_16reverse_iteratorISI_EEEEENSH_IJSG_SG_SG_EEES9_SI_JZNS1_25segmented_radix_sort_implINS0_14default_configELb1EPKfPfPKlPlN2at6native12_GLOBAL__N_18offset_tEEE10hipError_tPvRmT1_PNSt15iterator_traitsIS12_E10value_typeET2_T3_PNS13_IS18_E10value_typeET4_jRbjT5_S1E_jjP12ihipStream_tbEUljE_ZNSN_ISO_Lb1ESQ_SR_ST_SU_SY_EESZ_S10_S11_S12_S16_S17_S18_S1B_S1C_jS1D_jS1E_S1E_jjS1G_bEUljE0_EEESZ_S10_S11_S18_S1C_S1E_T6_T7_T9_mT8_S1G_bDpT10_ENKUlT_T0_E_clISt17integral_constantIbLb1EES1T_IbLb0EEEEDaS1P_S1Q_EUlS1P_E_NS1_11comp_targetILNS1_3genE3ELNS1_11target_archE908ELNS1_3gpuE7ELNS1_3repE0EEENS1_30default_config_static_selectorELNS0_4arch9wavefront6targetE1EEEvS12_.numbered_sgpr, 0
	.set _ZN7rocprim17ROCPRIM_400000_NS6detail17trampoline_kernelINS0_13select_configILj256ELj13ELNS0_17block_load_methodE3ELS4_3ELS4_3ELNS0_20block_scan_algorithmE0ELj4294967295EEENS1_25partition_config_selectorILNS1_17partition_subalgoE4EjNS0_10empty_typeEbEEZZNS1_14partition_implILS8_4ELb0ES6_15HIP_vector_typeIjLj2EENS0_17counting_iteratorIjlEEPS9_SG_NS0_5tupleIJPjSI_NS0_16reverse_iteratorISI_EEEEENSH_IJSG_SG_SG_EEES9_SI_JZNS1_25segmented_radix_sort_implINS0_14default_configELb1EPKfPfPKlPlN2at6native12_GLOBAL__N_18offset_tEEE10hipError_tPvRmT1_PNSt15iterator_traitsIS12_E10value_typeET2_T3_PNS13_IS18_E10value_typeET4_jRbjT5_S1E_jjP12ihipStream_tbEUljE_ZNSN_ISO_Lb1ESQ_SR_ST_SU_SY_EESZ_S10_S11_S12_S16_S17_S18_S1B_S1C_jS1D_jS1E_S1E_jjS1G_bEUljE0_EEESZ_S10_S11_S18_S1C_S1E_T6_T7_T9_mT8_S1G_bDpT10_ENKUlT_T0_E_clISt17integral_constantIbLb1EES1T_IbLb0EEEEDaS1P_S1Q_EUlS1P_E_NS1_11comp_targetILNS1_3genE3ELNS1_11target_archE908ELNS1_3gpuE7ELNS1_3repE0EEENS1_30default_config_static_selectorELNS0_4arch9wavefront6targetE1EEEvS12_.num_named_barrier, 0
	.set _ZN7rocprim17ROCPRIM_400000_NS6detail17trampoline_kernelINS0_13select_configILj256ELj13ELNS0_17block_load_methodE3ELS4_3ELS4_3ELNS0_20block_scan_algorithmE0ELj4294967295EEENS1_25partition_config_selectorILNS1_17partition_subalgoE4EjNS0_10empty_typeEbEEZZNS1_14partition_implILS8_4ELb0ES6_15HIP_vector_typeIjLj2EENS0_17counting_iteratorIjlEEPS9_SG_NS0_5tupleIJPjSI_NS0_16reverse_iteratorISI_EEEEENSH_IJSG_SG_SG_EEES9_SI_JZNS1_25segmented_radix_sort_implINS0_14default_configELb1EPKfPfPKlPlN2at6native12_GLOBAL__N_18offset_tEEE10hipError_tPvRmT1_PNSt15iterator_traitsIS12_E10value_typeET2_T3_PNS13_IS18_E10value_typeET4_jRbjT5_S1E_jjP12ihipStream_tbEUljE_ZNSN_ISO_Lb1ESQ_SR_ST_SU_SY_EESZ_S10_S11_S12_S16_S17_S18_S1B_S1C_jS1D_jS1E_S1E_jjS1G_bEUljE0_EEESZ_S10_S11_S18_S1C_S1E_T6_T7_T9_mT8_S1G_bDpT10_ENKUlT_T0_E_clISt17integral_constantIbLb1EES1T_IbLb0EEEEDaS1P_S1Q_EUlS1P_E_NS1_11comp_targetILNS1_3genE3ELNS1_11target_archE908ELNS1_3gpuE7ELNS1_3repE0EEENS1_30default_config_static_selectorELNS0_4arch9wavefront6targetE1EEEvS12_.private_seg_size, 0
	.set _ZN7rocprim17ROCPRIM_400000_NS6detail17trampoline_kernelINS0_13select_configILj256ELj13ELNS0_17block_load_methodE3ELS4_3ELS4_3ELNS0_20block_scan_algorithmE0ELj4294967295EEENS1_25partition_config_selectorILNS1_17partition_subalgoE4EjNS0_10empty_typeEbEEZZNS1_14partition_implILS8_4ELb0ES6_15HIP_vector_typeIjLj2EENS0_17counting_iteratorIjlEEPS9_SG_NS0_5tupleIJPjSI_NS0_16reverse_iteratorISI_EEEEENSH_IJSG_SG_SG_EEES9_SI_JZNS1_25segmented_radix_sort_implINS0_14default_configELb1EPKfPfPKlPlN2at6native12_GLOBAL__N_18offset_tEEE10hipError_tPvRmT1_PNSt15iterator_traitsIS12_E10value_typeET2_T3_PNS13_IS18_E10value_typeET4_jRbjT5_S1E_jjP12ihipStream_tbEUljE_ZNSN_ISO_Lb1ESQ_SR_ST_SU_SY_EESZ_S10_S11_S12_S16_S17_S18_S1B_S1C_jS1D_jS1E_S1E_jjS1G_bEUljE0_EEESZ_S10_S11_S18_S1C_S1E_T6_T7_T9_mT8_S1G_bDpT10_ENKUlT_T0_E_clISt17integral_constantIbLb1EES1T_IbLb0EEEEDaS1P_S1Q_EUlS1P_E_NS1_11comp_targetILNS1_3genE3ELNS1_11target_archE908ELNS1_3gpuE7ELNS1_3repE0EEENS1_30default_config_static_selectorELNS0_4arch9wavefront6targetE1EEEvS12_.uses_vcc, 0
	.set _ZN7rocprim17ROCPRIM_400000_NS6detail17trampoline_kernelINS0_13select_configILj256ELj13ELNS0_17block_load_methodE3ELS4_3ELS4_3ELNS0_20block_scan_algorithmE0ELj4294967295EEENS1_25partition_config_selectorILNS1_17partition_subalgoE4EjNS0_10empty_typeEbEEZZNS1_14partition_implILS8_4ELb0ES6_15HIP_vector_typeIjLj2EENS0_17counting_iteratorIjlEEPS9_SG_NS0_5tupleIJPjSI_NS0_16reverse_iteratorISI_EEEEENSH_IJSG_SG_SG_EEES9_SI_JZNS1_25segmented_radix_sort_implINS0_14default_configELb1EPKfPfPKlPlN2at6native12_GLOBAL__N_18offset_tEEE10hipError_tPvRmT1_PNSt15iterator_traitsIS12_E10value_typeET2_T3_PNS13_IS18_E10value_typeET4_jRbjT5_S1E_jjP12ihipStream_tbEUljE_ZNSN_ISO_Lb1ESQ_SR_ST_SU_SY_EESZ_S10_S11_S12_S16_S17_S18_S1B_S1C_jS1D_jS1E_S1E_jjS1G_bEUljE0_EEESZ_S10_S11_S18_S1C_S1E_T6_T7_T9_mT8_S1G_bDpT10_ENKUlT_T0_E_clISt17integral_constantIbLb1EES1T_IbLb0EEEEDaS1P_S1Q_EUlS1P_E_NS1_11comp_targetILNS1_3genE3ELNS1_11target_archE908ELNS1_3gpuE7ELNS1_3repE0EEENS1_30default_config_static_selectorELNS0_4arch9wavefront6targetE1EEEvS12_.uses_flat_scratch, 0
	.set _ZN7rocprim17ROCPRIM_400000_NS6detail17trampoline_kernelINS0_13select_configILj256ELj13ELNS0_17block_load_methodE3ELS4_3ELS4_3ELNS0_20block_scan_algorithmE0ELj4294967295EEENS1_25partition_config_selectorILNS1_17partition_subalgoE4EjNS0_10empty_typeEbEEZZNS1_14partition_implILS8_4ELb0ES6_15HIP_vector_typeIjLj2EENS0_17counting_iteratorIjlEEPS9_SG_NS0_5tupleIJPjSI_NS0_16reverse_iteratorISI_EEEEENSH_IJSG_SG_SG_EEES9_SI_JZNS1_25segmented_radix_sort_implINS0_14default_configELb1EPKfPfPKlPlN2at6native12_GLOBAL__N_18offset_tEEE10hipError_tPvRmT1_PNSt15iterator_traitsIS12_E10value_typeET2_T3_PNS13_IS18_E10value_typeET4_jRbjT5_S1E_jjP12ihipStream_tbEUljE_ZNSN_ISO_Lb1ESQ_SR_ST_SU_SY_EESZ_S10_S11_S12_S16_S17_S18_S1B_S1C_jS1D_jS1E_S1E_jjS1G_bEUljE0_EEESZ_S10_S11_S18_S1C_S1E_T6_T7_T9_mT8_S1G_bDpT10_ENKUlT_T0_E_clISt17integral_constantIbLb1EES1T_IbLb0EEEEDaS1P_S1Q_EUlS1P_E_NS1_11comp_targetILNS1_3genE3ELNS1_11target_archE908ELNS1_3gpuE7ELNS1_3repE0EEENS1_30default_config_static_selectorELNS0_4arch9wavefront6targetE1EEEvS12_.has_dyn_sized_stack, 0
	.set _ZN7rocprim17ROCPRIM_400000_NS6detail17trampoline_kernelINS0_13select_configILj256ELj13ELNS0_17block_load_methodE3ELS4_3ELS4_3ELNS0_20block_scan_algorithmE0ELj4294967295EEENS1_25partition_config_selectorILNS1_17partition_subalgoE4EjNS0_10empty_typeEbEEZZNS1_14partition_implILS8_4ELb0ES6_15HIP_vector_typeIjLj2EENS0_17counting_iteratorIjlEEPS9_SG_NS0_5tupleIJPjSI_NS0_16reverse_iteratorISI_EEEEENSH_IJSG_SG_SG_EEES9_SI_JZNS1_25segmented_radix_sort_implINS0_14default_configELb1EPKfPfPKlPlN2at6native12_GLOBAL__N_18offset_tEEE10hipError_tPvRmT1_PNSt15iterator_traitsIS12_E10value_typeET2_T3_PNS13_IS18_E10value_typeET4_jRbjT5_S1E_jjP12ihipStream_tbEUljE_ZNSN_ISO_Lb1ESQ_SR_ST_SU_SY_EESZ_S10_S11_S12_S16_S17_S18_S1B_S1C_jS1D_jS1E_S1E_jjS1G_bEUljE0_EEESZ_S10_S11_S18_S1C_S1E_T6_T7_T9_mT8_S1G_bDpT10_ENKUlT_T0_E_clISt17integral_constantIbLb1EES1T_IbLb0EEEEDaS1P_S1Q_EUlS1P_E_NS1_11comp_targetILNS1_3genE3ELNS1_11target_archE908ELNS1_3gpuE7ELNS1_3repE0EEENS1_30default_config_static_selectorELNS0_4arch9wavefront6targetE1EEEvS12_.has_recursion, 0
	.set _ZN7rocprim17ROCPRIM_400000_NS6detail17trampoline_kernelINS0_13select_configILj256ELj13ELNS0_17block_load_methodE3ELS4_3ELS4_3ELNS0_20block_scan_algorithmE0ELj4294967295EEENS1_25partition_config_selectorILNS1_17partition_subalgoE4EjNS0_10empty_typeEbEEZZNS1_14partition_implILS8_4ELb0ES6_15HIP_vector_typeIjLj2EENS0_17counting_iteratorIjlEEPS9_SG_NS0_5tupleIJPjSI_NS0_16reverse_iteratorISI_EEEEENSH_IJSG_SG_SG_EEES9_SI_JZNS1_25segmented_radix_sort_implINS0_14default_configELb1EPKfPfPKlPlN2at6native12_GLOBAL__N_18offset_tEEE10hipError_tPvRmT1_PNSt15iterator_traitsIS12_E10value_typeET2_T3_PNS13_IS18_E10value_typeET4_jRbjT5_S1E_jjP12ihipStream_tbEUljE_ZNSN_ISO_Lb1ESQ_SR_ST_SU_SY_EESZ_S10_S11_S12_S16_S17_S18_S1B_S1C_jS1D_jS1E_S1E_jjS1G_bEUljE0_EEESZ_S10_S11_S18_S1C_S1E_T6_T7_T9_mT8_S1G_bDpT10_ENKUlT_T0_E_clISt17integral_constantIbLb1EES1T_IbLb0EEEEDaS1P_S1Q_EUlS1P_E_NS1_11comp_targetILNS1_3genE3ELNS1_11target_archE908ELNS1_3gpuE7ELNS1_3repE0EEENS1_30default_config_static_selectorELNS0_4arch9wavefront6targetE1EEEvS12_.has_indirect_call, 0
	.section	.AMDGPU.csdata,"",@progbits
; Kernel info:
; codeLenInByte = 0
; TotalNumSgprs: 4
; NumVgprs: 0
; ScratchSize: 0
; MemoryBound: 0
; FloatMode: 240
; IeeeMode: 1
; LDSByteSize: 0 bytes/workgroup (compile time only)
; SGPRBlocks: 0
; VGPRBlocks: 0
; NumSGPRsForWavesPerEU: 4
; NumVGPRsForWavesPerEU: 1
; Occupancy: 10
; WaveLimiterHint : 0
; COMPUTE_PGM_RSRC2:SCRATCH_EN: 0
; COMPUTE_PGM_RSRC2:USER_SGPR: 6
; COMPUTE_PGM_RSRC2:TRAP_HANDLER: 0
; COMPUTE_PGM_RSRC2:TGID_X_EN: 1
; COMPUTE_PGM_RSRC2:TGID_Y_EN: 0
; COMPUTE_PGM_RSRC2:TGID_Z_EN: 0
; COMPUTE_PGM_RSRC2:TIDIG_COMP_CNT: 0
	.section	.text._ZN7rocprim17ROCPRIM_400000_NS6detail17trampoline_kernelINS0_13select_configILj256ELj13ELNS0_17block_load_methodE3ELS4_3ELS4_3ELNS0_20block_scan_algorithmE0ELj4294967295EEENS1_25partition_config_selectorILNS1_17partition_subalgoE4EjNS0_10empty_typeEbEEZZNS1_14partition_implILS8_4ELb0ES6_15HIP_vector_typeIjLj2EENS0_17counting_iteratorIjlEEPS9_SG_NS0_5tupleIJPjSI_NS0_16reverse_iteratorISI_EEEEENSH_IJSG_SG_SG_EEES9_SI_JZNS1_25segmented_radix_sort_implINS0_14default_configELb1EPKfPfPKlPlN2at6native12_GLOBAL__N_18offset_tEEE10hipError_tPvRmT1_PNSt15iterator_traitsIS12_E10value_typeET2_T3_PNS13_IS18_E10value_typeET4_jRbjT5_S1E_jjP12ihipStream_tbEUljE_ZNSN_ISO_Lb1ESQ_SR_ST_SU_SY_EESZ_S10_S11_S12_S16_S17_S18_S1B_S1C_jS1D_jS1E_S1E_jjS1G_bEUljE0_EEESZ_S10_S11_S18_S1C_S1E_T6_T7_T9_mT8_S1G_bDpT10_ENKUlT_T0_E_clISt17integral_constantIbLb1EES1T_IbLb0EEEEDaS1P_S1Q_EUlS1P_E_NS1_11comp_targetILNS1_3genE2ELNS1_11target_archE906ELNS1_3gpuE6ELNS1_3repE0EEENS1_30default_config_static_selectorELNS0_4arch9wavefront6targetE1EEEvS12_,"axG",@progbits,_ZN7rocprim17ROCPRIM_400000_NS6detail17trampoline_kernelINS0_13select_configILj256ELj13ELNS0_17block_load_methodE3ELS4_3ELS4_3ELNS0_20block_scan_algorithmE0ELj4294967295EEENS1_25partition_config_selectorILNS1_17partition_subalgoE4EjNS0_10empty_typeEbEEZZNS1_14partition_implILS8_4ELb0ES6_15HIP_vector_typeIjLj2EENS0_17counting_iteratorIjlEEPS9_SG_NS0_5tupleIJPjSI_NS0_16reverse_iteratorISI_EEEEENSH_IJSG_SG_SG_EEES9_SI_JZNS1_25segmented_radix_sort_implINS0_14default_configELb1EPKfPfPKlPlN2at6native12_GLOBAL__N_18offset_tEEE10hipError_tPvRmT1_PNSt15iterator_traitsIS12_E10value_typeET2_T3_PNS13_IS18_E10value_typeET4_jRbjT5_S1E_jjP12ihipStream_tbEUljE_ZNSN_ISO_Lb1ESQ_SR_ST_SU_SY_EESZ_S10_S11_S12_S16_S17_S18_S1B_S1C_jS1D_jS1E_S1E_jjS1G_bEUljE0_EEESZ_S10_S11_S18_S1C_S1E_T6_T7_T9_mT8_S1G_bDpT10_ENKUlT_T0_E_clISt17integral_constantIbLb1EES1T_IbLb0EEEEDaS1P_S1Q_EUlS1P_E_NS1_11comp_targetILNS1_3genE2ELNS1_11target_archE906ELNS1_3gpuE6ELNS1_3repE0EEENS1_30default_config_static_selectorELNS0_4arch9wavefront6targetE1EEEvS12_,comdat
	.globl	_ZN7rocprim17ROCPRIM_400000_NS6detail17trampoline_kernelINS0_13select_configILj256ELj13ELNS0_17block_load_methodE3ELS4_3ELS4_3ELNS0_20block_scan_algorithmE0ELj4294967295EEENS1_25partition_config_selectorILNS1_17partition_subalgoE4EjNS0_10empty_typeEbEEZZNS1_14partition_implILS8_4ELb0ES6_15HIP_vector_typeIjLj2EENS0_17counting_iteratorIjlEEPS9_SG_NS0_5tupleIJPjSI_NS0_16reverse_iteratorISI_EEEEENSH_IJSG_SG_SG_EEES9_SI_JZNS1_25segmented_radix_sort_implINS0_14default_configELb1EPKfPfPKlPlN2at6native12_GLOBAL__N_18offset_tEEE10hipError_tPvRmT1_PNSt15iterator_traitsIS12_E10value_typeET2_T3_PNS13_IS18_E10value_typeET4_jRbjT5_S1E_jjP12ihipStream_tbEUljE_ZNSN_ISO_Lb1ESQ_SR_ST_SU_SY_EESZ_S10_S11_S12_S16_S17_S18_S1B_S1C_jS1D_jS1E_S1E_jjS1G_bEUljE0_EEESZ_S10_S11_S18_S1C_S1E_T6_T7_T9_mT8_S1G_bDpT10_ENKUlT_T0_E_clISt17integral_constantIbLb1EES1T_IbLb0EEEEDaS1P_S1Q_EUlS1P_E_NS1_11comp_targetILNS1_3genE2ELNS1_11target_archE906ELNS1_3gpuE6ELNS1_3repE0EEENS1_30default_config_static_selectorELNS0_4arch9wavefront6targetE1EEEvS12_ ; -- Begin function _ZN7rocprim17ROCPRIM_400000_NS6detail17trampoline_kernelINS0_13select_configILj256ELj13ELNS0_17block_load_methodE3ELS4_3ELS4_3ELNS0_20block_scan_algorithmE0ELj4294967295EEENS1_25partition_config_selectorILNS1_17partition_subalgoE4EjNS0_10empty_typeEbEEZZNS1_14partition_implILS8_4ELb0ES6_15HIP_vector_typeIjLj2EENS0_17counting_iteratorIjlEEPS9_SG_NS0_5tupleIJPjSI_NS0_16reverse_iteratorISI_EEEEENSH_IJSG_SG_SG_EEES9_SI_JZNS1_25segmented_radix_sort_implINS0_14default_configELb1EPKfPfPKlPlN2at6native12_GLOBAL__N_18offset_tEEE10hipError_tPvRmT1_PNSt15iterator_traitsIS12_E10value_typeET2_T3_PNS13_IS18_E10value_typeET4_jRbjT5_S1E_jjP12ihipStream_tbEUljE_ZNSN_ISO_Lb1ESQ_SR_ST_SU_SY_EESZ_S10_S11_S12_S16_S17_S18_S1B_S1C_jS1D_jS1E_S1E_jjS1G_bEUljE0_EEESZ_S10_S11_S18_S1C_S1E_T6_T7_T9_mT8_S1G_bDpT10_ENKUlT_T0_E_clISt17integral_constantIbLb1EES1T_IbLb0EEEEDaS1P_S1Q_EUlS1P_E_NS1_11comp_targetILNS1_3genE2ELNS1_11target_archE906ELNS1_3gpuE6ELNS1_3repE0EEENS1_30default_config_static_selectorELNS0_4arch9wavefront6targetE1EEEvS12_
	.p2align	8
	.type	_ZN7rocprim17ROCPRIM_400000_NS6detail17trampoline_kernelINS0_13select_configILj256ELj13ELNS0_17block_load_methodE3ELS4_3ELS4_3ELNS0_20block_scan_algorithmE0ELj4294967295EEENS1_25partition_config_selectorILNS1_17partition_subalgoE4EjNS0_10empty_typeEbEEZZNS1_14partition_implILS8_4ELb0ES6_15HIP_vector_typeIjLj2EENS0_17counting_iteratorIjlEEPS9_SG_NS0_5tupleIJPjSI_NS0_16reverse_iteratorISI_EEEEENSH_IJSG_SG_SG_EEES9_SI_JZNS1_25segmented_radix_sort_implINS0_14default_configELb1EPKfPfPKlPlN2at6native12_GLOBAL__N_18offset_tEEE10hipError_tPvRmT1_PNSt15iterator_traitsIS12_E10value_typeET2_T3_PNS13_IS18_E10value_typeET4_jRbjT5_S1E_jjP12ihipStream_tbEUljE_ZNSN_ISO_Lb1ESQ_SR_ST_SU_SY_EESZ_S10_S11_S12_S16_S17_S18_S1B_S1C_jS1D_jS1E_S1E_jjS1G_bEUljE0_EEESZ_S10_S11_S18_S1C_S1E_T6_T7_T9_mT8_S1G_bDpT10_ENKUlT_T0_E_clISt17integral_constantIbLb1EES1T_IbLb0EEEEDaS1P_S1Q_EUlS1P_E_NS1_11comp_targetILNS1_3genE2ELNS1_11target_archE906ELNS1_3gpuE6ELNS1_3repE0EEENS1_30default_config_static_selectorELNS0_4arch9wavefront6targetE1EEEvS12_,@function
_ZN7rocprim17ROCPRIM_400000_NS6detail17trampoline_kernelINS0_13select_configILj256ELj13ELNS0_17block_load_methodE3ELS4_3ELS4_3ELNS0_20block_scan_algorithmE0ELj4294967295EEENS1_25partition_config_selectorILNS1_17partition_subalgoE4EjNS0_10empty_typeEbEEZZNS1_14partition_implILS8_4ELb0ES6_15HIP_vector_typeIjLj2EENS0_17counting_iteratorIjlEEPS9_SG_NS0_5tupleIJPjSI_NS0_16reverse_iteratorISI_EEEEENSH_IJSG_SG_SG_EEES9_SI_JZNS1_25segmented_radix_sort_implINS0_14default_configELb1EPKfPfPKlPlN2at6native12_GLOBAL__N_18offset_tEEE10hipError_tPvRmT1_PNSt15iterator_traitsIS12_E10value_typeET2_T3_PNS13_IS18_E10value_typeET4_jRbjT5_S1E_jjP12ihipStream_tbEUljE_ZNSN_ISO_Lb1ESQ_SR_ST_SU_SY_EESZ_S10_S11_S12_S16_S17_S18_S1B_S1C_jS1D_jS1E_S1E_jjS1G_bEUljE0_EEESZ_S10_S11_S18_S1C_S1E_T6_T7_T9_mT8_S1G_bDpT10_ENKUlT_T0_E_clISt17integral_constantIbLb1EES1T_IbLb0EEEEDaS1P_S1Q_EUlS1P_E_NS1_11comp_targetILNS1_3genE2ELNS1_11target_archE906ELNS1_3gpuE6ELNS1_3repE0EEENS1_30default_config_static_selectorELNS0_4arch9wavefront6targetE1EEEvS12_: ; @_ZN7rocprim17ROCPRIM_400000_NS6detail17trampoline_kernelINS0_13select_configILj256ELj13ELNS0_17block_load_methodE3ELS4_3ELS4_3ELNS0_20block_scan_algorithmE0ELj4294967295EEENS1_25partition_config_selectorILNS1_17partition_subalgoE4EjNS0_10empty_typeEbEEZZNS1_14partition_implILS8_4ELb0ES6_15HIP_vector_typeIjLj2EENS0_17counting_iteratorIjlEEPS9_SG_NS0_5tupleIJPjSI_NS0_16reverse_iteratorISI_EEEEENSH_IJSG_SG_SG_EEES9_SI_JZNS1_25segmented_radix_sort_implINS0_14default_configELb1EPKfPfPKlPlN2at6native12_GLOBAL__N_18offset_tEEE10hipError_tPvRmT1_PNSt15iterator_traitsIS12_E10value_typeET2_T3_PNS13_IS18_E10value_typeET4_jRbjT5_S1E_jjP12ihipStream_tbEUljE_ZNSN_ISO_Lb1ESQ_SR_ST_SU_SY_EESZ_S10_S11_S12_S16_S17_S18_S1B_S1C_jS1D_jS1E_S1E_jjS1G_bEUljE0_EEESZ_S10_S11_S18_S1C_S1E_T6_T7_T9_mT8_S1G_bDpT10_ENKUlT_T0_E_clISt17integral_constantIbLb1EES1T_IbLb0EEEEDaS1P_S1Q_EUlS1P_E_NS1_11comp_targetILNS1_3genE2ELNS1_11target_archE906ELNS1_3gpuE6ELNS1_3repE0EEENS1_30default_config_static_selectorELNS0_4arch9wavefront6targetE1EEEvS12_
; %bb.0:
	s_endpgm
	.section	.rodata,"a",@progbits
	.p2align	6, 0x0
	.amdhsa_kernel _ZN7rocprim17ROCPRIM_400000_NS6detail17trampoline_kernelINS0_13select_configILj256ELj13ELNS0_17block_load_methodE3ELS4_3ELS4_3ELNS0_20block_scan_algorithmE0ELj4294967295EEENS1_25partition_config_selectorILNS1_17partition_subalgoE4EjNS0_10empty_typeEbEEZZNS1_14partition_implILS8_4ELb0ES6_15HIP_vector_typeIjLj2EENS0_17counting_iteratorIjlEEPS9_SG_NS0_5tupleIJPjSI_NS0_16reverse_iteratorISI_EEEEENSH_IJSG_SG_SG_EEES9_SI_JZNS1_25segmented_radix_sort_implINS0_14default_configELb1EPKfPfPKlPlN2at6native12_GLOBAL__N_18offset_tEEE10hipError_tPvRmT1_PNSt15iterator_traitsIS12_E10value_typeET2_T3_PNS13_IS18_E10value_typeET4_jRbjT5_S1E_jjP12ihipStream_tbEUljE_ZNSN_ISO_Lb1ESQ_SR_ST_SU_SY_EESZ_S10_S11_S12_S16_S17_S18_S1B_S1C_jS1D_jS1E_S1E_jjS1G_bEUljE0_EEESZ_S10_S11_S18_S1C_S1E_T6_T7_T9_mT8_S1G_bDpT10_ENKUlT_T0_E_clISt17integral_constantIbLb1EES1T_IbLb0EEEEDaS1P_S1Q_EUlS1P_E_NS1_11comp_targetILNS1_3genE2ELNS1_11target_archE906ELNS1_3gpuE6ELNS1_3repE0EEENS1_30default_config_static_selectorELNS0_4arch9wavefront6targetE1EEEvS12_
		.amdhsa_group_segment_fixed_size 0
		.amdhsa_private_segment_fixed_size 0
		.amdhsa_kernarg_size 176
		.amdhsa_user_sgpr_count 6
		.amdhsa_user_sgpr_private_segment_buffer 1
		.amdhsa_user_sgpr_dispatch_ptr 0
		.amdhsa_user_sgpr_queue_ptr 0
		.amdhsa_user_sgpr_kernarg_segment_ptr 1
		.amdhsa_user_sgpr_dispatch_id 0
		.amdhsa_user_sgpr_flat_scratch_init 0
		.amdhsa_user_sgpr_private_segment_size 0
		.amdhsa_uses_dynamic_stack 0
		.amdhsa_system_sgpr_private_segment_wavefront_offset 0
		.amdhsa_system_sgpr_workgroup_id_x 1
		.amdhsa_system_sgpr_workgroup_id_y 0
		.amdhsa_system_sgpr_workgroup_id_z 0
		.amdhsa_system_sgpr_workgroup_info 0
		.amdhsa_system_vgpr_workitem_id 0
		.amdhsa_next_free_vgpr 1
		.amdhsa_next_free_sgpr 0
		.amdhsa_reserve_vcc 0
		.amdhsa_reserve_flat_scratch 0
		.amdhsa_float_round_mode_32 0
		.amdhsa_float_round_mode_16_64 0
		.amdhsa_float_denorm_mode_32 3
		.amdhsa_float_denorm_mode_16_64 3
		.amdhsa_dx10_clamp 1
		.amdhsa_ieee_mode 1
		.amdhsa_fp16_overflow 0
		.amdhsa_exception_fp_ieee_invalid_op 0
		.amdhsa_exception_fp_denorm_src 0
		.amdhsa_exception_fp_ieee_div_zero 0
		.amdhsa_exception_fp_ieee_overflow 0
		.amdhsa_exception_fp_ieee_underflow 0
		.amdhsa_exception_fp_ieee_inexact 0
		.amdhsa_exception_int_div_zero 0
	.end_amdhsa_kernel
	.section	.text._ZN7rocprim17ROCPRIM_400000_NS6detail17trampoline_kernelINS0_13select_configILj256ELj13ELNS0_17block_load_methodE3ELS4_3ELS4_3ELNS0_20block_scan_algorithmE0ELj4294967295EEENS1_25partition_config_selectorILNS1_17partition_subalgoE4EjNS0_10empty_typeEbEEZZNS1_14partition_implILS8_4ELb0ES6_15HIP_vector_typeIjLj2EENS0_17counting_iteratorIjlEEPS9_SG_NS0_5tupleIJPjSI_NS0_16reverse_iteratorISI_EEEEENSH_IJSG_SG_SG_EEES9_SI_JZNS1_25segmented_radix_sort_implINS0_14default_configELb1EPKfPfPKlPlN2at6native12_GLOBAL__N_18offset_tEEE10hipError_tPvRmT1_PNSt15iterator_traitsIS12_E10value_typeET2_T3_PNS13_IS18_E10value_typeET4_jRbjT5_S1E_jjP12ihipStream_tbEUljE_ZNSN_ISO_Lb1ESQ_SR_ST_SU_SY_EESZ_S10_S11_S12_S16_S17_S18_S1B_S1C_jS1D_jS1E_S1E_jjS1G_bEUljE0_EEESZ_S10_S11_S18_S1C_S1E_T6_T7_T9_mT8_S1G_bDpT10_ENKUlT_T0_E_clISt17integral_constantIbLb1EES1T_IbLb0EEEEDaS1P_S1Q_EUlS1P_E_NS1_11comp_targetILNS1_3genE2ELNS1_11target_archE906ELNS1_3gpuE6ELNS1_3repE0EEENS1_30default_config_static_selectorELNS0_4arch9wavefront6targetE1EEEvS12_,"axG",@progbits,_ZN7rocprim17ROCPRIM_400000_NS6detail17trampoline_kernelINS0_13select_configILj256ELj13ELNS0_17block_load_methodE3ELS4_3ELS4_3ELNS0_20block_scan_algorithmE0ELj4294967295EEENS1_25partition_config_selectorILNS1_17partition_subalgoE4EjNS0_10empty_typeEbEEZZNS1_14partition_implILS8_4ELb0ES6_15HIP_vector_typeIjLj2EENS0_17counting_iteratorIjlEEPS9_SG_NS0_5tupleIJPjSI_NS0_16reverse_iteratorISI_EEEEENSH_IJSG_SG_SG_EEES9_SI_JZNS1_25segmented_radix_sort_implINS0_14default_configELb1EPKfPfPKlPlN2at6native12_GLOBAL__N_18offset_tEEE10hipError_tPvRmT1_PNSt15iterator_traitsIS12_E10value_typeET2_T3_PNS13_IS18_E10value_typeET4_jRbjT5_S1E_jjP12ihipStream_tbEUljE_ZNSN_ISO_Lb1ESQ_SR_ST_SU_SY_EESZ_S10_S11_S12_S16_S17_S18_S1B_S1C_jS1D_jS1E_S1E_jjS1G_bEUljE0_EEESZ_S10_S11_S18_S1C_S1E_T6_T7_T9_mT8_S1G_bDpT10_ENKUlT_T0_E_clISt17integral_constantIbLb1EES1T_IbLb0EEEEDaS1P_S1Q_EUlS1P_E_NS1_11comp_targetILNS1_3genE2ELNS1_11target_archE906ELNS1_3gpuE6ELNS1_3repE0EEENS1_30default_config_static_selectorELNS0_4arch9wavefront6targetE1EEEvS12_,comdat
.Lfunc_end1281:
	.size	_ZN7rocprim17ROCPRIM_400000_NS6detail17trampoline_kernelINS0_13select_configILj256ELj13ELNS0_17block_load_methodE3ELS4_3ELS4_3ELNS0_20block_scan_algorithmE0ELj4294967295EEENS1_25partition_config_selectorILNS1_17partition_subalgoE4EjNS0_10empty_typeEbEEZZNS1_14partition_implILS8_4ELb0ES6_15HIP_vector_typeIjLj2EENS0_17counting_iteratorIjlEEPS9_SG_NS0_5tupleIJPjSI_NS0_16reverse_iteratorISI_EEEEENSH_IJSG_SG_SG_EEES9_SI_JZNS1_25segmented_radix_sort_implINS0_14default_configELb1EPKfPfPKlPlN2at6native12_GLOBAL__N_18offset_tEEE10hipError_tPvRmT1_PNSt15iterator_traitsIS12_E10value_typeET2_T3_PNS13_IS18_E10value_typeET4_jRbjT5_S1E_jjP12ihipStream_tbEUljE_ZNSN_ISO_Lb1ESQ_SR_ST_SU_SY_EESZ_S10_S11_S12_S16_S17_S18_S1B_S1C_jS1D_jS1E_S1E_jjS1G_bEUljE0_EEESZ_S10_S11_S18_S1C_S1E_T6_T7_T9_mT8_S1G_bDpT10_ENKUlT_T0_E_clISt17integral_constantIbLb1EES1T_IbLb0EEEEDaS1P_S1Q_EUlS1P_E_NS1_11comp_targetILNS1_3genE2ELNS1_11target_archE906ELNS1_3gpuE6ELNS1_3repE0EEENS1_30default_config_static_selectorELNS0_4arch9wavefront6targetE1EEEvS12_, .Lfunc_end1281-_ZN7rocprim17ROCPRIM_400000_NS6detail17trampoline_kernelINS0_13select_configILj256ELj13ELNS0_17block_load_methodE3ELS4_3ELS4_3ELNS0_20block_scan_algorithmE0ELj4294967295EEENS1_25partition_config_selectorILNS1_17partition_subalgoE4EjNS0_10empty_typeEbEEZZNS1_14partition_implILS8_4ELb0ES6_15HIP_vector_typeIjLj2EENS0_17counting_iteratorIjlEEPS9_SG_NS0_5tupleIJPjSI_NS0_16reverse_iteratorISI_EEEEENSH_IJSG_SG_SG_EEES9_SI_JZNS1_25segmented_radix_sort_implINS0_14default_configELb1EPKfPfPKlPlN2at6native12_GLOBAL__N_18offset_tEEE10hipError_tPvRmT1_PNSt15iterator_traitsIS12_E10value_typeET2_T3_PNS13_IS18_E10value_typeET4_jRbjT5_S1E_jjP12ihipStream_tbEUljE_ZNSN_ISO_Lb1ESQ_SR_ST_SU_SY_EESZ_S10_S11_S12_S16_S17_S18_S1B_S1C_jS1D_jS1E_S1E_jjS1G_bEUljE0_EEESZ_S10_S11_S18_S1C_S1E_T6_T7_T9_mT8_S1G_bDpT10_ENKUlT_T0_E_clISt17integral_constantIbLb1EES1T_IbLb0EEEEDaS1P_S1Q_EUlS1P_E_NS1_11comp_targetILNS1_3genE2ELNS1_11target_archE906ELNS1_3gpuE6ELNS1_3repE0EEENS1_30default_config_static_selectorELNS0_4arch9wavefront6targetE1EEEvS12_
                                        ; -- End function
	.set _ZN7rocprim17ROCPRIM_400000_NS6detail17trampoline_kernelINS0_13select_configILj256ELj13ELNS0_17block_load_methodE3ELS4_3ELS4_3ELNS0_20block_scan_algorithmE0ELj4294967295EEENS1_25partition_config_selectorILNS1_17partition_subalgoE4EjNS0_10empty_typeEbEEZZNS1_14partition_implILS8_4ELb0ES6_15HIP_vector_typeIjLj2EENS0_17counting_iteratorIjlEEPS9_SG_NS0_5tupleIJPjSI_NS0_16reverse_iteratorISI_EEEEENSH_IJSG_SG_SG_EEES9_SI_JZNS1_25segmented_radix_sort_implINS0_14default_configELb1EPKfPfPKlPlN2at6native12_GLOBAL__N_18offset_tEEE10hipError_tPvRmT1_PNSt15iterator_traitsIS12_E10value_typeET2_T3_PNS13_IS18_E10value_typeET4_jRbjT5_S1E_jjP12ihipStream_tbEUljE_ZNSN_ISO_Lb1ESQ_SR_ST_SU_SY_EESZ_S10_S11_S12_S16_S17_S18_S1B_S1C_jS1D_jS1E_S1E_jjS1G_bEUljE0_EEESZ_S10_S11_S18_S1C_S1E_T6_T7_T9_mT8_S1G_bDpT10_ENKUlT_T0_E_clISt17integral_constantIbLb1EES1T_IbLb0EEEEDaS1P_S1Q_EUlS1P_E_NS1_11comp_targetILNS1_3genE2ELNS1_11target_archE906ELNS1_3gpuE6ELNS1_3repE0EEENS1_30default_config_static_selectorELNS0_4arch9wavefront6targetE1EEEvS12_.num_vgpr, 0
	.set _ZN7rocprim17ROCPRIM_400000_NS6detail17trampoline_kernelINS0_13select_configILj256ELj13ELNS0_17block_load_methodE3ELS4_3ELS4_3ELNS0_20block_scan_algorithmE0ELj4294967295EEENS1_25partition_config_selectorILNS1_17partition_subalgoE4EjNS0_10empty_typeEbEEZZNS1_14partition_implILS8_4ELb0ES6_15HIP_vector_typeIjLj2EENS0_17counting_iteratorIjlEEPS9_SG_NS0_5tupleIJPjSI_NS0_16reverse_iteratorISI_EEEEENSH_IJSG_SG_SG_EEES9_SI_JZNS1_25segmented_radix_sort_implINS0_14default_configELb1EPKfPfPKlPlN2at6native12_GLOBAL__N_18offset_tEEE10hipError_tPvRmT1_PNSt15iterator_traitsIS12_E10value_typeET2_T3_PNS13_IS18_E10value_typeET4_jRbjT5_S1E_jjP12ihipStream_tbEUljE_ZNSN_ISO_Lb1ESQ_SR_ST_SU_SY_EESZ_S10_S11_S12_S16_S17_S18_S1B_S1C_jS1D_jS1E_S1E_jjS1G_bEUljE0_EEESZ_S10_S11_S18_S1C_S1E_T6_T7_T9_mT8_S1G_bDpT10_ENKUlT_T0_E_clISt17integral_constantIbLb1EES1T_IbLb0EEEEDaS1P_S1Q_EUlS1P_E_NS1_11comp_targetILNS1_3genE2ELNS1_11target_archE906ELNS1_3gpuE6ELNS1_3repE0EEENS1_30default_config_static_selectorELNS0_4arch9wavefront6targetE1EEEvS12_.num_agpr, 0
	.set _ZN7rocprim17ROCPRIM_400000_NS6detail17trampoline_kernelINS0_13select_configILj256ELj13ELNS0_17block_load_methodE3ELS4_3ELS4_3ELNS0_20block_scan_algorithmE0ELj4294967295EEENS1_25partition_config_selectorILNS1_17partition_subalgoE4EjNS0_10empty_typeEbEEZZNS1_14partition_implILS8_4ELb0ES6_15HIP_vector_typeIjLj2EENS0_17counting_iteratorIjlEEPS9_SG_NS0_5tupleIJPjSI_NS0_16reverse_iteratorISI_EEEEENSH_IJSG_SG_SG_EEES9_SI_JZNS1_25segmented_radix_sort_implINS0_14default_configELb1EPKfPfPKlPlN2at6native12_GLOBAL__N_18offset_tEEE10hipError_tPvRmT1_PNSt15iterator_traitsIS12_E10value_typeET2_T3_PNS13_IS18_E10value_typeET4_jRbjT5_S1E_jjP12ihipStream_tbEUljE_ZNSN_ISO_Lb1ESQ_SR_ST_SU_SY_EESZ_S10_S11_S12_S16_S17_S18_S1B_S1C_jS1D_jS1E_S1E_jjS1G_bEUljE0_EEESZ_S10_S11_S18_S1C_S1E_T6_T7_T9_mT8_S1G_bDpT10_ENKUlT_T0_E_clISt17integral_constantIbLb1EES1T_IbLb0EEEEDaS1P_S1Q_EUlS1P_E_NS1_11comp_targetILNS1_3genE2ELNS1_11target_archE906ELNS1_3gpuE6ELNS1_3repE0EEENS1_30default_config_static_selectorELNS0_4arch9wavefront6targetE1EEEvS12_.numbered_sgpr, 0
	.set _ZN7rocprim17ROCPRIM_400000_NS6detail17trampoline_kernelINS0_13select_configILj256ELj13ELNS0_17block_load_methodE3ELS4_3ELS4_3ELNS0_20block_scan_algorithmE0ELj4294967295EEENS1_25partition_config_selectorILNS1_17partition_subalgoE4EjNS0_10empty_typeEbEEZZNS1_14partition_implILS8_4ELb0ES6_15HIP_vector_typeIjLj2EENS0_17counting_iteratorIjlEEPS9_SG_NS0_5tupleIJPjSI_NS0_16reverse_iteratorISI_EEEEENSH_IJSG_SG_SG_EEES9_SI_JZNS1_25segmented_radix_sort_implINS0_14default_configELb1EPKfPfPKlPlN2at6native12_GLOBAL__N_18offset_tEEE10hipError_tPvRmT1_PNSt15iterator_traitsIS12_E10value_typeET2_T3_PNS13_IS18_E10value_typeET4_jRbjT5_S1E_jjP12ihipStream_tbEUljE_ZNSN_ISO_Lb1ESQ_SR_ST_SU_SY_EESZ_S10_S11_S12_S16_S17_S18_S1B_S1C_jS1D_jS1E_S1E_jjS1G_bEUljE0_EEESZ_S10_S11_S18_S1C_S1E_T6_T7_T9_mT8_S1G_bDpT10_ENKUlT_T0_E_clISt17integral_constantIbLb1EES1T_IbLb0EEEEDaS1P_S1Q_EUlS1P_E_NS1_11comp_targetILNS1_3genE2ELNS1_11target_archE906ELNS1_3gpuE6ELNS1_3repE0EEENS1_30default_config_static_selectorELNS0_4arch9wavefront6targetE1EEEvS12_.num_named_barrier, 0
	.set _ZN7rocprim17ROCPRIM_400000_NS6detail17trampoline_kernelINS0_13select_configILj256ELj13ELNS0_17block_load_methodE3ELS4_3ELS4_3ELNS0_20block_scan_algorithmE0ELj4294967295EEENS1_25partition_config_selectorILNS1_17partition_subalgoE4EjNS0_10empty_typeEbEEZZNS1_14partition_implILS8_4ELb0ES6_15HIP_vector_typeIjLj2EENS0_17counting_iteratorIjlEEPS9_SG_NS0_5tupleIJPjSI_NS0_16reverse_iteratorISI_EEEEENSH_IJSG_SG_SG_EEES9_SI_JZNS1_25segmented_radix_sort_implINS0_14default_configELb1EPKfPfPKlPlN2at6native12_GLOBAL__N_18offset_tEEE10hipError_tPvRmT1_PNSt15iterator_traitsIS12_E10value_typeET2_T3_PNS13_IS18_E10value_typeET4_jRbjT5_S1E_jjP12ihipStream_tbEUljE_ZNSN_ISO_Lb1ESQ_SR_ST_SU_SY_EESZ_S10_S11_S12_S16_S17_S18_S1B_S1C_jS1D_jS1E_S1E_jjS1G_bEUljE0_EEESZ_S10_S11_S18_S1C_S1E_T6_T7_T9_mT8_S1G_bDpT10_ENKUlT_T0_E_clISt17integral_constantIbLb1EES1T_IbLb0EEEEDaS1P_S1Q_EUlS1P_E_NS1_11comp_targetILNS1_3genE2ELNS1_11target_archE906ELNS1_3gpuE6ELNS1_3repE0EEENS1_30default_config_static_selectorELNS0_4arch9wavefront6targetE1EEEvS12_.private_seg_size, 0
	.set _ZN7rocprim17ROCPRIM_400000_NS6detail17trampoline_kernelINS0_13select_configILj256ELj13ELNS0_17block_load_methodE3ELS4_3ELS4_3ELNS0_20block_scan_algorithmE0ELj4294967295EEENS1_25partition_config_selectorILNS1_17partition_subalgoE4EjNS0_10empty_typeEbEEZZNS1_14partition_implILS8_4ELb0ES6_15HIP_vector_typeIjLj2EENS0_17counting_iteratorIjlEEPS9_SG_NS0_5tupleIJPjSI_NS0_16reverse_iteratorISI_EEEEENSH_IJSG_SG_SG_EEES9_SI_JZNS1_25segmented_radix_sort_implINS0_14default_configELb1EPKfPfPKlPlN2at6native12_GLOBAL__N_18offset_tEEE10hipError_tPvRmT1_PNSt15iterator_traitsIS12_E10value_typeET2_T3_PNS13_IS18_E10value_typeET4_jRbjT5_S1E_jjP12ihipStream_tbEUljE_ZNSN_ISO_Lb1ESQ_SR_ST_SU_SY_EESZ_S10_S11_S12_S16_S17_S18_S1B_S1C_jS1D_jS1E_S1E_jjS1G_bEUljE0_EEESZ_S10_S11_S18_S1C_S1E_T6_T7_T9_mT8_S1G_bDpT10_ENKUlT_T0_E_clISt17integral_constantIbLb1EES1T_IbLb0EEEEDaS1P_S1Q_EUlS1P_E_NS1_11comp_targetILNS1_3genE2ELNS1_11target_archE906ELNS1_3gpuE6ELNS1_3repE0EEENS1_30default_config_static_selectorELNS0_4arch9wavefront6targetE1EEEvS12_.uses_vcc, 0
	.set _ZN7rocprim17ROCPRIM_400000_NS6detail17trampoline_kernelINS0_13select_configILj256ELj13ELNS0_17block_load_methodE3ELS4_3ELS4_3ELNS0_20block_scan_algorithmE0ELj4294967295EEENS1_25partition_config_selectorILNS1_17partition_subalgoE4EjNS0_10empty_typeEbEEZZNS1_14partition_implILS8_4ELb0ES6_15HIP_vector_typeIjLj2EENS0_17counting_iteratorIjlEEPS9_SG_NS0_5tupleIJPjSI_NS0_16reverse_iteratorISI_EEEEENSH_IJSG_SG_SG_EEES9_SI_JZNS1_25segmented_radix_sort_implINS0_14default_configELb1EPKfPfPKlPlN2at6native12_GLOBAL__N_18offset_tEEE10hipError_tPvRmT1_PNSt15iterator_traitsIS12_E10value_typeET2_T3_PNS13_IS18_E10value_typeET4_jRbjT5_S1E_jjP12ihipStream_tbEUljE_ZNSN_ISO_Lb1ESQ_SR_ST_SU_SY_EESZ_S10_S11_S12_S16_S17_S18_S1B_S1C_jS1D_jS1E_S1E_jjS1G_bEUljE0_EEESZ_S10_S11_S18_S1C_S1E_T6_T7_T9_mT8_S1G_bDpT10_ENKUlT_T0_E_clISt17integral_constantIbLb1EES1T_IbLb0EEEEDaS1P_S1Q_EUlS1P_E_NS1_11comp_targetILNS1_3genE2ELNS1_11target_archE906ELNS1_3gpuE6ELNS1_3repE0EEENS1_30default_config_static_selectorELNS0_4arch9wavefront6targetE1EEEvS12_.uses_flat_scratch, 0
	.set _ZN7rocprim17ROCPRIM_400000_NS6detail17trampoline_kernelINS0_13select_configILj256ELj13ELNS0_17block_load_methodE3ELS4_3ELS4_3ELNS0_20block_scan_algorithmE0ELj4294967295EEENS1_25partition_config_selectorILNS1_17partition_subalgoE4EjNS0_10empty_typeEbEEZZNS1_14partition_implILS8_4ELb0ES6_15HIP_vector_typeIjLj2EENS0_17counting_iteratorIjlEEPS9_SG_NS0_5tupleIJPjSI_NS0_16reverse_iteratorISI_EEEEENSH_IJSG_SG_SG_EEES9_SI_JZNS1_25segmented_radix_sort_implINS0_14default_configELb1EPKfPfPKlPlN2at6native12_GLOBAL__N_18offset_tEEE10hipError_tPvRmT1_PNSt15iterator_traitsIS12_E10value_typeET2_T3_PNS13_IS18_E10value_typeET4_jRbjT5_S1E_jjP12ihipStream_tbEUljE_ZNSN_ISO_Lb1ESQ_SR_ST_SU_SY_EESZ_S10_S11_S12_S16_S17_S18_S1B_S1C_jS1D_jS1E_S1E_jjS1G_bEUljE0_EEESZ_S10_S11_S18_S1C_S1E_T6_T7_T9_mT8_S1G_bDpT10_ENKUlT_T0_E_clISt17integral_constantIbLb1EES1T_IbLb0EEEEDaS1P_S1Q_EUlS1P_E_NS1_11comp_targetILNS1_3genE2ELNS1_11target_archE906ELNS1_3gpuE6ELNS1_3repE0EEENS1_30default_config_static_selectorELNS0_4arch9wavefront6targetE1EEEvS12_.has_dyn_sized_stack, 0
	.set _ZN7rocprim17ROCPRIM_400000_NS6detail17trampoline_kernelINS0_13select_configILj256ELj13ELNS0_17block_load_methodE3ELS4_3ELS4_3ELNS0_20block_scan_algorithmE0ELj4294967295EEENS1_25partition_config_selectorILNS1_17partition_subalgoE4EjNS0_10empty_typeEbEEZZNS1_14partition_implILS8_4ELb0ES6_15HIP_vector_typeIjLj2EENS0_17counting_iteratorIjlEEPS9_SG_NS0_5tupleIJPjSI_NS0_16reverse_iteratorISI_EEEEENSH_IJSG_SG_SG_EEES9_SI_JZNS1_25segmented_radix_sort_implINS0_14default_configELb1EPKfPfPKlPlN2at6native12_GLOBAL__N_18offset_tEEE10hipError_tPvRmT1_PNSt15iterator_traitsIS12_E10value_typeET2_T3_PNS13_IS18_E10value_typeET4_jRbjT5_S1E_jjP12ihipStream_tbEUljE_ZNSN_ISO_Lb1ESQ_SR_ST_SU_SY_EESZ_S10_S11_S12_S16_S17_S18_S1B_S1C_jS1D_jS1E_S1E_jjS1G_bEUljE0_EEESZ_S10_S11_S18_S1C_S1E_T6_T7_T9_mT8_S1G_bDpT10_ENKUlT_T0_E_clISt17integral_constantIbLb1EES1T_IbLb0EEEEDaS1P_S1Q_EUlS1P_E_NS1_11comp_targetILNS1_3genE2ELNS1_11target_archE906ELNS1_3gpuE6ELNS1_3repE0EEENS1_30default_config_static_selectorELNS0_4arch9wavefront6targetE1EEEvS12_.has_recursion, 0
	.set _ZN7rocprim17ROCPRIM_400000_NS6detail17trampoline_kernelINS0_13select_configILj256ELj13ELNS0_17block_load_methodE3ELS4_3ELS4_3ELNS0_20block_scan_algorithmE0ELj4294967295EEENS1_25partition_config_selectorILNS1_17partition_subalgoE4EjNS0_10empty_typeEbEEZZNS1_14partition_implILS8_4ELb0ES6_15HIP_vector_typeIjLj2EENS0_17counting_iteratorIjlEEPS9_SG_NS0_5tupleIJPjSI_NS0_16reverse_iteratorISI_EEEEENSH_IJSG_SG_SG_EEES9_SI_JZNS1_25segmented_radix_sort_implINS0_14default_configELb1EPKfPfPKlPlN2at6native12_GLOBAL__N_18offset_tEEE10hipError_tPvRmT1_PNSt15iterator_traitsIS12_E10value_typeET2_T3_PNS13_IS18_E10value_typeET4_jRbjT5_S1E_jjP12ihipStream_tbEUljE_ZNSN_ISO_Lb1ESQ_SR_ST_SU_SY_EESZ_S10_S11_S12_S16_S17_S18_S1B_S1C_jS1D_jS1E_S1E_jjS1G_bEUljE0_EEESZ_S10_S11_S18_S1C_S1E_T6_T7_T9_mT8_S1G_bDpT10_ENKUlT_T0_E_clISt17integral_constantIbLb1EES1T_IbLb0EEEEDaS1P_S1Q_EUlS1P_E_NS1_11comp_targetILNS1_3genE2ELNS1_11target_archE906ELNS1_3gpuE6ELNS1_3repE0EEENS1_30default_config_static_selectorELNS0_4arch9wavefront6targetE1EEEvS12_.has_indirect_call, 0
	.section	.AMDGPU.csdata,"",@progbits
; Kernel info:
; codeLenInByte = 4
; TotalNumSgprs: 4
; NumVgprs: 0
; ScratchSize: 0
; MemoryBound: 0
; FloatMode: 240
; IeeeMode: 1
; LDSByteSize: 0 bytes/workgroup (compile time only)
; SGPRBlocks: 0
; VGPRBlocks: 0
; NumSGPRsForWavesPerEU: 4
; NumVGPRsForWavesPerEU: 1
; Occupancy: 10
; WaveLimiterHint : 0
; COMPUTE_PGM_RSRC2:SCRATCH_EN: 0
; COMPUTE_PGM_RSRC2:USER_SGPR: 6
; COMPUTE_PGM_RSRC2:TRAP_HANDLER: 0
; COMPUTE_PGM_RSRC2:TGID_X_EN: 1
; COMPUTE_PGM_RSRC2:TGID_Y_EN: 0
; COMPUTE_PGM_RSRC2:TGID_Z_EN: 0
; COMPUTE_PGM_RSRC2:TIDIG_COMP_CNT: 0
	.section	.text._ZN7rocprim17ROCPRIM_400000_NS6detail17trampoline_kernelINS0_13select_configILj256ELj13ELNS0_17block_load_methodE3ELS4_3ELS4_3ELNS0_20block_scan_algorithmE0ELj4294967295EEENS1_25partition_config_selectorILNS1_17partition_subalgoE4EjNS0_10empty_typeEbEEZZNS1_14partition_implILS8_4ELb0ES6_15HIP_vector_typeIjLj2EENS0_17counting_iteratorIjlEEPS9_SG_NS0_5tupleIJPjSI_NS0_16reverse_iteratorISI_EEEEENSH_IJSG_SG_SG_EEES9_SI_JZNS1_25segmented_radix_sort_implINS0_14default_configELb1EPKfPfPKlPlN2at6native12_GLOBAL__N_18offset_tEEE10hipError_tPvRmT1_PNSt15iterator_traitsIS12_E10value_typeET2_T3_PNS13_IS18_E10value_typeET4_jRbjT5_S1E_jjP12ihipStream_tbEUljE_ZNSN_ISO_Lb1ESQ_SR_ST_SU_SY_EESZ_S10_S11_S12_S16_S17_S18_S1B_S1C_jS1D_jS1E_S1E_jjS1G_bEUljE0_EEESZ_S10_S11_S18_S1C_S1E_T6_T7_T9_mT8_S1G_bDpT10_ENKUlT_T0_E_clISt17integral_constantIbLb1EES1T_IbLb0EEEEDaS1P_S1Q_EUlS1P_E_NS1_11comp_targetILNS1_3genE10ELNS1_11target_archE1200ELNS1_3gpuE4ELNS1_3repE0EEENS1_30default_config_static_selectorELNS0_4arch9wavefront6targetE1EEEvS12_,"axG",@progbits,_ZN7rocprim17ROCPRIM_400000_NS6detail17trampoline_kernelINS0_13select_configILj256ELj13ELNS0_17block_load_methodE3ELS4_3ELS4_3ELNS0_20block_scan_algorithmE0ELj4294967295EEENS1_25partition_config_selectorILNS1_17partition_subalgoE4EjNS0_10empty_typeEbEEZZNS1_14partition_implILS8_4ELb0ES6_15HIP_vector_typeIjLj2EENS0_17counting_iteratorIjlEEPS9_SG_NS0_5tupleIJPjSI_NS0_16reverse_iteratorISI_EEEEENSH_IJSG_SG_SG_EEES9_SI_JZNS1_25segmented_radix_sort_implINS0_14default_configELb1EPKfPfPKlPlN2at6native12_GLOBAL__N_18offset_tEEE10hipError_tPvRmT1_PNSt15iterator_traitsIS12_E10value_typeET2_T3_PNS13_IS18_E10value_typeET4_jRbjT5_S1E_jjP12ihipStream_tbEUljE_ZNSN_ISO_Lb1ESQ_SR_ST_SU_SY_EESZ_S10_S11_S12_S16_S17_S18_S1B_S1C_jS1D_jS1E_S1E_jjS1G_bEUljE0_EEESZ_S10_S11_S18_S1C_S1E_T6_T7_T9_mT8_S1G_bDpT10_ENKUlT_T0_E_clISt17integral_constantIbLb1EES1T_IbLb0EEEEDaS1P_S1Q_EUlS1P_E_NS1_11comp_targetILNS1_3genE10ELNS1_11target_archE1200ELNS1_3gpuE4ELNS1_3repE0EEENS1_30default_config_static_selectorELNS0_4arch9wavefront6targetE1EEEvS12_,comdat
	.globl	_ZN7rocprim17ROCPRIM_400000_NS6detail17trampoline_kernelINS0_13select_configILj256ELj13ELNS0_17block_load_methodE3ELS4_3ELS4_3ELNS0_20block_scan_algorithmE0ELj4294967295EEENS1_25partition_config_selectorILNS1_17partition_subalgoE4EjNS0_10empty_typeEbEEZZNS1_14partition_implILS8_4ELb0ES6_15HIP_vector_typeIjLj2EENS0_17counting_iteratorIjlEEPS9_SG_NS0_5tupleIJPjSI_NS0_16reverse_iteratorISI_EEEEENSH_IJSG_SG_SG_EEES9_SI_JZNS1_25segmented_radix_sort_implINS0_14default_configELb1EPKfPfPKlPlN2at6native12_GLOBAL__N_18offset_tEEE10hipError_tPvRmT1_PNSt15iterator_traitsIS12_E10value_typeET2_T3_PNS13_IS18_E10value_typeET4_jRbjT5_S1E_jjP12ihipStream_tbEUljE_ZNSN_ISO_Lb1ESQ_SR_ST_SU_SY_EESZ_S10_S11_S12_S16_S17_S18_S1B_S1C_jS1D_jS1E_S1E_jjS1G_bEUljE0_EEESZ_S10_S11_S18_S1C_S1E_T6_T7_T9_mT8_S1G_bDpT10_ENKUlT_T0_E_clISt17integral_constantIbLb1EES1T_IbLb0EEEEDaS1P_S1Q_EUlS1P_E_NS1_11comp_targetILNS1_3genE10ELNS1_11target_archE1200ELNS1_3gpuE4ELNS1_3repE0EEENS1_30default_config_static_selectorELNS0_4arch9wavefront6targetE1EEEvS12_ ; -- Begin function _ZN7rocprim17ROCPRIM_400000_NS6detail17trampoline_kernelINS0_13select_configILj256ELj13ELNS0_17block_load_methodE3ELS4_3ELS4_3ELNS0_20block_scan_algorithmE0ELj4294967295EEENS1_25partition_config_selectorILNS1_17partition_subalgoE4EjNS0_10empty_typeEbEEZZNS1_14partition_implILS8_4ELb0ES6_15HIP_vector_typeIjLj2EENS0_17counting_iteratorIjlEEPS9_SG_NS0_5tupleIJPjSI_NS0_16reverse_iteratorISI_EEEEENSH_IJSG_SG_SG_EEES9_SI_JZNS1_25segmented_radix_sort_implINS0_14default_configELb1EPKfPfPKlPlN2at6native12_GLOBAL__N_18offset_tEEE10hipError_tPvRmT1_PNSt15iterator_traitsIS12_E10value_typeET2_T3_PNS13_IS18_E10value_typeET4_jRbjT5_S1E_jjP12ihipStream_tbEUljE_ZNSN_ISO_Lb1ESQ_SR_ST_SU_SY_EESZ_S10_S11_S12_S16_S17_S18_S1B_S1C_jS1D_jS1E_S1E_jjS1G_bEUljE0_EEESZ_S10_S11_S18_S1C_S1E_T6_T7_T9_mT8_S1G_bDpT10_ENKUlT_T0_E_clISt17integral_constantIbLb1EES1T_IbLb0EEEEDaS1P_S1Q_EUlS1P_E_NS1_11comp_targetILNS1_3genE10ELNS1_11target_archE1200ELNS1_3gpuE4ELNS1_3repE0EEENS1_30default_config_static_selectorELNS0_4arch9wavefront6targetE1EEEvS12_
	.p2align	8
	.type	_ZN7rocprim17ROCPRIM_400000_NS6detail17trampoline_kernelINS0_13select_configILj256ELj13ELNS0_17block_load_methodE3ELS4_3ELS4_3ELNS0_20block_scan_algorithmE0ELj4294967295EEENS1_25partition_config_selectorILNS1_17partition_subalgoE4EjNS0_10empty_typeEbEEZZNS1_14partition_implILS8_4ELb0ES6_15HIP_vector_typeIjLj2EENS0_17counting_iteratorIjlEEPS9_SG_NS0_5tupleIJPjSI_NS0_16reverse_iteratorISI_EEEEENSH_IJSG_SG_SG_EEES9_SI_JZNS1_25segmented_radix_sort_implINS0_14default_configELb1EPKfPfPKlPlN2at6native12_GLOBAL__N_18offset_tEEE10hipError_tPvRmT1_PNSt15iterator_traitsIS12_E10value_typeET2_T3_PNS13_IS18_E10value_typeET4_jRbjT5_S1E_jjP12ihipStream_tbEUljE_ZNSN_ISO_Lb1ESQ_SR_ST_SU_SY_EESZ_S10_S11_S12_S16_S17_S18_S1B_S1C_jS1D_jS1E_S1E_jjS1G_bEUljE0_EEESZ_S10_S11_S18_S1C_S1E_T6_T7_T9_mT8_S1G_bDpT10_ENKUlT_T0_E_clISt17integral_constantIbLb1EES1T_IbLb0EEEEDaS1P_S1Q_EUlS1P_E_NS1_11comp_targetILNS1_3genE10ELNS1_11target_archE1200ELNS1_3gpuE4ELNS1_3repE0EEENS1_30default_config_static_selectorELNS0_4arch9wavefront6targetE1EEEvS12_,@function
_ZN7rocprim17ROCPRIM_400000_NS6detail17trampoline_kernelINS0_13select_configILj256ELj13ELNS0_17block_load_methodE3ELS4_3ELS4_3ELNS0_20block_scan_algorithmE0ELj4294967295EEENS1_25partition_config_selectorILNS1_17partition_subalgoE4EjNS0_10empty_typeEbEEZZNS1_14partition_implILS8_4ELb0ES6_15HIP_vector_typeIjLj2EENS0_17counting_iteratorIjlEEPS9_SG_NS0_5tupleIJPjSI_NS0_16reverse_iteratorISI_EEEEENSH_IJSG_SG_SG_EEES9_SI_JZNS1_25segmented_radix_sort_implINS0_14default_configELb1EPKfPfPKlPlN2at6native12_GLOBAL__N_18offset_tEEE10hipError_tPvRmT1_PNSt15iterator_traitsIS12_E10value_typeET2_T3_PNS13_IS18_E10value_typeET4_jRbjT5_S1E_jjP12ihipStream_tbEUljE_ZNSN_ISO_Lb1ESQ_SR_ST_SU_SY_EESZ_S10_S11_S12_S16_S17_S18_S1B_S1C_jS1D_jS1E_S1E_jjS1G_bEUljE0_EEESZ_S10_S11_S18_S1C_S1E_T6_T7_T9_mT8_S1G_bDpT10_ENKUlT_T0_E_clISt17integral_constantIbLb1EES1T_IbLb0EEEEDaS1P_S1Q_EUlS1P_E_NS1_11comp_targetILNS1_3genE10ELNS1_11target_archE1200ELNS1_3gpuE4ELNS1_3repE0EEENS1_30default_config_static_selectorELNS0_4arch9wavefront6targetE1EEEvS12_: ; @_ZN7rocprim17ROCPRIM_400000_NS6detail17trampoline_kernelINS0_13select_configILj256ELj13ELNS0_17block_load_methodE3ELS4_3ELS4_3ELNS0_20block_scan_algorithmE0ELj4294967295EEENS1_25partition_config_selectorILNS1_17partition_subalgoE4EjNS0_10empty_typeEbEEZZNS1_14partition_implILS8_4ELb0ES6_15HIP_vector_typeIjLj2EENS0_17counting_iteratorIjlEEPS9_SG_NS0_5tupleIJPjSI_NS0_16reverse_iteratorISI_EEEEENSH_IJSG_SG_SG_EEES9_SI_JZNS1_25segmented_radix_sort_implINS0_14default_configELb1EPKfPfPKlPlN2at6native12_GLOBAL__N_18offset_tEEE10hipError_tPvRmT1_PNSt15iterator_traitsIS12_E10value_typeET2_T3_PNS13_IS18_E10value_typeET4_jRbjT5_S1E_jjP12ihipStream_tbEUljE_ZNSN_ISO_Lb1ESQ_SR_ST_SU_SY_EESZ_S10_S11_S12_S16_S17_S18_S1B_S1C_jS1D_jS1E_S1E_jjS1G_bEUljE0_EEESZ_S10_S11_S18_S1C_S1E_T6_T7_T9_mT8_S1G_bDpT10_ENKUlT_T0_E_clISt17integral_constantIbLb1EES1T_IbLb0EEEEDaS1P_S1Q_EUlS1P_E_NS1_11comp_targetILNS1_3genE10ELNS1_11target_archE1200ELNS1_3gpuE4ELNS1_3repE0EEENS1_30default_config_static_selectorELNS0_4arch9wavefront6targetE1EEEvS12_
; %bb.0:
	.section	.rodata,"a",@progbits
	.p2align	6, 0x0
	.amdhsa_kernel _ZN7rocprim17ROCPRIM_400000_NS6detail17trampoline_kernelINS0_13select_configILj256ELj13ELNS0_17block_load_methodE3ELS4_3ELS4_3ELNS0_20block_scan_algorithmE0ELj4294967295EEENS1_25partition_config_selectorILNS1_17partition_subalgoE4EjNS0_10empty_typeEbEEZZNS1_14partition_implILS8_4ELb0ES6_15HIP_vector_typeIjLj2EENS0_17counting_iteratorIjlEEPS9_SG_NS0_5tupleIJPjSI_NS0_16reverse_iteratorISI_EEEEENSH_IJSG_SG_SG_EEES9_SI_JZNS1_25segmented_radix_sort_implINS0_14default_configELb1EPKfPfPKlPlN2at6native12_GLOBAL__N_18offset_tEEE10hipError_tPvRmT1_PNSt15iterator_traitsIS12_E10value_typeET2_T3_PNS13_IS18_E10value_typeET4_jRbjT5_S1E_jjP12ihipStream_tbEUljE_ZNSN_ISO_Lb1ESQ_SR_ST_SU_SY_EESZ_S10_S11_S12_S16_S17_S18_S1B_S1C_jS1D_jS1E_S1E_jjS1G_bEUljE0_EEESZ_S10_S11_S18_S1C_S1E_T6_T7_T9_mT8_S1G_bDpT10_ENKUlT_T0_E_clISt17integral_constantIbLb1EES1T_IbLb0EEEEDaS1P_S1Q_EUlS1P_E_NS1_11comp_targetILNS1_3genE10ELNS1_11target_archE1200ELNS1_3gpuE4ELNS1_3repE0EEENS1_30default_config_static_selectorELNS0_4arch9wavefront6targetE1EEEvS12_
		.amdhsa_group_segment_fixed_size 0
		.amdhsa_private_segment_fixed_size 0
		.amdhsa_kernarg_size 176
		.amdhsa_user_sgpr_count 6
		.amdhsa_user_sgpr_private_segment_buffer 1
		.amdhsa_user_sgpr_dispatch_ptr 0
		.amdhsa_user_sgpr_queue_ptr 0
		.amdhsa_user_sgpr_kernarg_segment_ptr 1
		.amdhsa_user_sgpr_dispatch_id 0
		.amdhsa_user_sgpr_flat_scratch_init 0
		.amdhsa_user_sgpr_private_segment_size 0
		.amdhsa_uses_dynamic_stack 0
		.amdhsa_system_sgpr_private_segment_wavefront_offset 0
		.amdhsa_system_sgpr_workgroup_id_x 1
		.amdhsa_system_sgpr_workgroup_id_y 0
		.amdhsa_system_sgpr_workgroup_id_z 0
		.amdhsa_system_sgpr_workgroup_info 0
		.amdhsa_system_vgpr_workitem_id 0
		.amdhsa_next_free_vgpr 1
		.amdhsa_next_free_sgpr 0
		.amdhsa_reserve_vcc 0
		.amdhsa_reserve_flat_scratch 0
		.amdhsa_float_round_mode_32 0
		.amdhsa_float_round_mode_16_64 0
		.amdhsa_float_denorm_mode_32 3
		.amdhsa_float_denorm_mode_16_64 3
		.amdhsa_dx10_clamp 1
		.amdhsa_ieee_mode 1
		.amdhsa_fp16_overflow 0
		.amdhsa_exception_fp_ieee_invalid_op 0
		.amdhsa_exception_fp_denorm_src 0
		.amdhsa_exception_fp_ieee_div_zero 0
		.amdhsa_exception_fp_ieee_overflow 0
		.amdhsa_exception_fp_ieee_underflow 0
		.amdhsa_exception_fp_ieee_inexact 0
		.amdhsa_exception_int_div_zero 0
	.end_amdhsa_kernel
	.section	.text._ZN7rocprim17ROCPRIM_400000_NS6detail17trampoline_kernelINS0_13select_configILj256ELj13ELNS0_17block_load_methodE3ELS4_3ELS4_3ELNS0_20block_scan_algorithmE0ELj4294967295EEENS1_25partition_config_selectorILNS1_17partition_subalgoE4EjNS0_10empty_typeEbEEZZNS1_14partition_implILS8_4ELb0ES6_15HIP_vector_typeIjLj2EENS0_17counting_iteratorIjlEEPS9_SG_NS0_5tupleIJPjSI_NS0_16reverse_iteratorISI_EEEEENSH_IJSG_SG_SG_EEES9_SI_JZNS1_25segmented_radix_sort_implINS0_14default_configELb1EPKfPfPKlPlN2at6native12_GLOBAL__N_18offset_tEEE10hipError_tPvRmT1_PNSt15iterator_traitsIS12_E10value_typeET2_T3_PNS13_IS18_E10value_typeET4_jRbjT5_S1E_jjP12ihipStream_tbEUljE_ZNSN_ISO_Lb1ESQ_SR_ST_SU_SY_EESZ_S10_S11_S12_S16_S17_S18_S1B_S1C_jS1D_jS1E_S1E_jjS1G_bEUljE0_EEESZ_S10_S11_S18_S1C_S1E_T6_T7_T9_mT8_S1G_bDpT10_ENKUlT_T0_E_clISt17integral_constantIbLb1EES1T_IbLb0EEEEDaS1P_S1Q_EUlS1P_E_NS1_11comp_targetILNS1_3genE10ELNS1_11target_archE1200ELNS1_3gpuE4ELNS1_3repE0EEENS1_30default_config_static_selectorELNS0_4arch9wavefront6targetE1EEEvS12_,"axG",@progbits,_ZN7rocprim17ROCPRIM_400000_NS6detail17trampoline_kernelINS0_13select_configILj256ELj13ELNS0_17block_load_methodE3ELS4_3ELS4_3ELNS0_20block_scan_algorithmE0ELj4294967295EEENS1_25partition_config_selectorILNS1_17partition_subalgoE4EjNS0_10empty_typeEbEEZZNS1_14partition_implILS8_4ELb0ES6_15HIP_vector_typeIjLj2EENS0_17counting_iteratorIjlEEPS9_SG_NS0_5tupleIJPjSI_NS0_16reverse_iteratorISI_EEEEENSH_IJSG_SG_SG_EEES9_SI_JZNS1_25segmented_radix_sort_implINS0_14default_configELb1EPKfPfPKlPlN2at6native12_GLOBAL__N_18offset_tEEE10hipError_tPvRmT1_PNSt15iterator_traitsIS12_E10value_typeET2_T3_PNS13_IS18_E10value_typeET4_jRbjT5_S1E_jjP12ihipStream_tbEUljE_ZNSN_ISO_Lb1ESQ_SR_ST_SU_SY_EESZ_S10_S11_S12_S16_S17_S18_S1B_S1C_jS1D_jS1E_S1E_jjS1G_bEUljE0_EEESZ_S10_S11_S18_S1C_S1E_T6_T7_T9_mT8_S1G_bDpT10_ENKUlT_T0_E_clISt17integral_constantIbLb1EES1T_IbLb0EEEEDaS1P_S1Q_EUlS1P_E_NS1_11comp_targetILNS1_3genE10ELNS1_11target_archE1200ELNS1_3gpuE4ELNS1_3repE0EEENS1_30default_config_static_selectorELNS0_4arch9wavefront6targetE1EEEvS12_,comdat
.Lfunc_end1282:
	.size	_ZN7rocprim17ROCPRIM_400000_NS6detail17trampoline_kernelINS0_13select_configILj256ELj13ELNS0_17block_load_methodE3ELS4_3ELS4_3ELNS0_20block_scan_algorithmE0ELj4294967295EEENS1_25partition_config_selectorILNS1_17partition_subalgoE4EjNS0_10empty_typeEbEEZZNS1_14partition_implILS8_4ELb0ES6_15HIP_vector_typeIjLj2EENS0_17counting_iteratorIjlEEPS9_SG_NS0_5tupleIJPjSI_NS0_16reverse_iteratorISI_EEEEENSH_IJSG_SG_SG_EEES9_SI_JZNS1_25segmented_radix_sort_implINS0_14default_configELb1EPKfPfPKlPlN2at6native12_GLOBAL__N_18offset_tEEE10hipError_tPvRmT1_PNSt15iterator_traitsIS12_E10value_typeET2_T3_PNS13_IS18_E10value_typeET4_jRbjT5_S1E_jjP12ihipStream_tbEUljE_ZNSN_ISO_Lb1ESQ_SR_ST_SU_SY_EESZ_S10_S11_S12_S16_S17_S18_S1B_S1C_jS1D_jS1E_S1E_jjS1G_bEUljE0_EEESZ_S10_S11_S18_S1C_S1E_T6_T7_T9_mT8_S1G_bDpT10_ENKUlT_T0_E_clISt17integral_constantIbLb1EES1T_IbLb0EEEEDaS1P_S1Q_EUlS1P_E_NS1_11comp_targetILNS1_3genE10ELNS1_11target_archE1200ELNS1_3gpuE4ELNS1_3repE0EEENS1_30default_config_static_selectorELNS0_4arch9wavefront6targetE1EEEvS12_, .Lfunc_end1282-_ZN7rocprim17ROCPRIM_400000_NS6detail17trampoline_kernelINS0_13select_configILj256ELj13ELNS0_17block_load_methodE3ELS4_3ELS4_3ELNS0_20block_scan_algorithmE0ELj4294967295EEENS1_25partition_config_selectorILNS1_17partition_subalgoE4EjNS0_10empty_typeEbEEZZNS1_14partition_implILS8_4ELb0ES6_15HIP_vector_typeIjLj2EENS0_17counting_iteratorIjlEEPS9_SG_NS0_5tupleIJPjSI_NS0_16reverse_iteratorISI_EEEEENSH_IJSG_SG_SG_EEES9_SI_JZNS1_25segmented_radix_sort_implINS0_14default_configELb1EPKfPfPKlPlN2at6native12_GLOBAL__N_18offset_tEEE10hipError_tPvRmT1_PNSt15iterator_traitsIS12_E10value_typeET2_T3_PNS13_IS18_E10value_typeET4_jRbjT5_S1E_jjP12ihipStream_tbEUljE_ZNSN_ISO_Lb1ESQ_SR_ST_SU_SY_EESZ_S10_S11_S12_S16_S17_S18_S1B_S1C_jS1D_jS1E_S1E_jjS1G_bEUljE0_EEESZ_S10_S11_S18_S1C_S1E_T6_T7_T9_mT8_S1G_bDpT10_ENKUlT_T0_E_clISt17integral_constantIbLb1EES1T_IbLb0EEEEDaS1P_S1Q_EUlS1P_E_NS1_11comp_targetILNS1_3genE10ELNS1_11target_archE1200ELNS1_3gpuE4ELNS1_3repE0EEENS1_30default_config_static_selectorELNS0_4arch9wavefront6targetE1EEEvS12_
                                        ; -- End function
	.set _ZN7rocprim17ROCPRIM_400000_NS6detail17trampoline_kernelINS0_13select_configILj256ELj13ELNS0_17block_load_methodE3ELS4_3ELS4_3ELNS0_20block_scan_algorithmE0ELj4294967295EEENS1_25partition_config_selectorILNS1_17partition_subalgoE4EjNS0_10empty_typeEbEEZZNS1_14partition_implILS8_4ELb0ES6_15HIP_vector_typeIjLj2EENS0_17counting_iteratorIjlEEPS9_SG_NS0_5tupleIJPjSI_NS0_16reverse_iteratorISI_EEEEENSH_IJSG_SG_SG_EEES9_SI_JZNS1_25segmented_radix_sort_implINS0_14default_configELb1EPKfPfPKlPlN2at6native12_GLOBAL__N_18offset_tEEE10hipError_tPvRmT1_PNSt15iterator_traitsIS12_E10value_typeET2_T3_PNS13_IS18_E10value_typeET4_jRbjT5_S1E_jjP12ihipStream_tbEUljE_ZNSN_ISO_Lb1ESQ_SR_ST_SU_SY_EESZ_S10_S11_S12_S16_S17_S18_S1B_S1C_jS1D_jS1E_S1E_jjS1G_bEUljE0_EEESZ_S10_S11_S18_S1C_S1E_T6_T7_T9_mT8_S1G_bDpT10_ENKUlT_T0_E_clISt17integral_constantIbLb1EES1T_IbLb0EEEEDaS1P_S1Q_EUlS1P_E_NS1_11comp_targetILNS1_3genE10ELNS1_11target_archE1200ELNS1_3gpuE4ELNS1_3repE0EEENS1_30default_config_static_selectorELNS0_4arch9wavefront6targetE1EEEvS12_.num_vgpr, 0
	.set _ZN7rocprim17ROCPRIM_400000_NS6detail17trampoline_kernelINS0_13select_configILj256ELj13ELNS0_17block_load_methodE3ELS4_3ELS4_3ELNS0_20block_scan_algorithmE0ELj4294967295EEENS1_25partition_config_selectorILNS1_17partition_subalgoE4EjNS0_10empty_typeEbEEZZNS1_14partition_implILS8_4ELb0ES6_15HIP_vector_typeIjLj2EENS0_17counting_iteratorIjlEEPS9_SG_NS0_5tupleIJPjSI_NS0_16reverse_iteratorISI_EEEEENSH_IJSG_SG_SG_EEES9_SI_JZNS1_25segmented_radix_sort_implINS0_14default_configELb1EPKfPfPKlPlN2at6native12_GLOBAL__N_18offset_tEEE10hipError_tPvRmT1_PNSt15iterator_traitsIS12_E10value_typeET2_T3_PNS13_IS18_E10value_typeET4_jRbjT5_S1E_jjP12ihipStream_tbEUljE_ZNSN_ISO_Lb1ESQ_SR_ST_SU_SY_EESZ_S10_S11_S12_S16_S17_S18_S1B_S1C_jS1D_jS1E_S1E_jjS1G_bEUljE0_EEESZ_S10_S11_S18_S1C_S1E_T6_T7_T9_mT8_S1G_bDpT10_ENKUlT_T0_E_clISt17integral_constantIbLb1EES1T_IbLb0EEEEDaS1P_S1Q_EUlS1P_E_NS1_11comp_targetILNS1_3genE10ELNS1_11target_archE1200ELNS1_3gpuE4ELNS1_3repE0EEENS1_30default_config_static_selectorELNS0_4arch9wavefront6targetE1EEEvS12_.num_agpr, 0
	.set _ZN7rocprim17ROCPRIM_400000_NS6detail17trampoline_kernelINS0_13select_configILj256ELj13ELNS0_17block_load_methodE3ELS4_3ELS4_3ELNS0_20block_scan_algorithmE0ELj4294967295EEENS1_25partition_config_selectorILNS1_17partition_subalgoE4EjNS0_10empty_typeEbEEZZNS1_14partition_implILS8_4ELb0ES6_15HIP_vector_typeIjLj2EENS0_17counting_iteratorIjlEEPS9_SG_NS0_5tupleIJPjSI_NS0_16reverse_iteratorISI_EEEEENSH_IJSG_SG_SG_EEES9_SI_JZNS1_25segmented_radix_sort_implINS0_14default_configELb1EPKfPfPKlPlN2at6native12_GLOBAL__N_18offset_tEEE10hipError_tPvRmT1_PNSt15iterator_traitsIS12_E10value_typeET2_T3_PNS13_IS18_E10value_typeET4_jRbjT5_S1E_jjP12ihipStream_tbEUljE_ZNSN_ISO_Lb1ESQ_SR_ST_SU_SY_EESZ_S10_S11_S12_S16_S17_S18_S1B_S1C_jS1D_jS1E_S1E_jjS1G_bEUljE0_EEESZ_S10_S11_S18_S1C_S1E_T6_T7_T9_mT8_S1G_bDpT10_ENKUlT_T0_E_clISt17integral_constantIbLb1EES1T_IbLb0EEEEDaS1P_S1Q_EUlS1P_E_NS1_11comp_targetILNS1_3genE10ELNS1_11target_archE1200ELNS1_3gpuE4ELNS1_3repE0EEENS1_30default_config_static_selectorELNS0_4arch9wavefront6targetE1EEEvS12_.numbered_sgpr, 0
	.set _ZN7rocprim17ROCPRIM_400000_NS6detail17trampoline_kernelINS0_13select_configILj256ELj13ELNS0_17block_load_methodE3ELS4_3ELS4_3ELNS0_20block_scan_algorithmE0ELj4294967295EEENS1_25partition_config_selectorILNS1_17partition_subalgoE4EjNS0_10empty_typeEbEEZZNS1_14partition_implILS8_4ELb0ES6_15HIP_vector_typeIjLj2EENS0_17counting_iteratorIjlEEPS9_SG_NS0_5tupleIJPjSI_NS0_16reverse_iteratorISI_EEEEENSH_IJSG_SG_SG_EEES9_SI_JZNS1_25segmented_radix_sort_implINS0_14default_configELb1EPKfPfPKlPlN2at6native12_GLOBAL__N_18offset_tEEE10hipError_tPvRmT1_PNSt15iterator_traitsIS12_E10value_typeET2_T3_PNS13_IS18_E10value_typeET4_jRbjT5_S1E_jjP12ihipStream_tbEUljE_ZNSN_ISO_Lb1ESQ_SR_ST_SU_SY_EESZ_S10_S11_S12_S16_S17_S18_S1B_S1C_jS1D_jS1E_S1E_jjS1G_bEUljE0_EEESZ_S10_S11_S18_S1C_S1E_T6_T7_T9_mT8_S1G_bDpT10_ENKUlT_T0_E_clISt17integral_constantIbLb1EES1T_IbLb0EEEEDaS1P_S1Q_EUlS1P_E_NS1_11comp_targetILNS1_3genE10ELNS1_11target_archE1200ELNS1_3gpuE4ELNS1_3repE0EEENS1_30default_config_static_selectorELNS0_4arch9wavefront6targetE1EEEvS12_.num_named_barrier, 0
	.set _ZN7rocprim17ROCPRIM_400000_NS6detail17trampoline_kernelINS0_13select_configILj256ELj13ELNS0_17block_load_methodE3ELS4_3ELS4_3ELNS0_20block_scan_algorithmE0ELj4294967295EEENS1_25partition_config_selectorILNS1_17partition_subalgoE4EjNS0_10empty_typeEbEEZZNS1_14partition_implILS8_4ELb0ES6_15HIP_vector_typeIjLj2EENS0_17counting_iteratorIjlEEPS9_SG_NS0_5tupleIJPjSI_NS0_16reverse_iteratorISI_EEEEENSH_IJSG_SG_SG_EEES9_SI_JZNS1_25segmented_radix_sort_implINS0_14default_configELb1EPKfPfPKlPlN2at6native12_GLOBAL__N_18offset_tEEE10hipError_tPvRmT1_PNSt15iterator_traitsIS12_E10value_typeET2_T3_PNS13_IS18_E10value_typeET4_jRbjT5_S1E_jjP12ihipStream_tbEUljE_ZNSN_ISO_Lb1ESQ_SR_ST_SU_SY_EESZ_S10_S11_S12_S16_S17_S18_S1B_S1C_jS1D_jS1E_S1E_jjS1G_bEUljE0_EEESZ_S10_S11_S18_S1C_S1E_T6_T7_T9_mT8_S1G_bDpT10_ENKUlT_T0_E_clISt17integral_constantIbLb1EES1T_IbLb0EEEEDaS1P_S1Q_EUlS1P_E_NS1_11comp_targetILNS1_3genE10ELNS1_11target_archE1200ELNS1_3gpuE4ELNS1_3repE0EEENS1_30default_config_static_selectorELNS0_4arch9wavefront6targetE1EEEvS12_.private_seg_size, 0
	.set _ZN7rocprim17ROCPRIM_400000_NS6detail17trampoline_kernelINS0_13select_configILj256ELj13ELNS0_17block_load_methodE3ELS4_3ELS4_3ELNS0_20block_scan_algorithmE0ELj4294967295EEENS1_25partition_config_selectorILNS1_17partition_subalgoE4EjNS0_10empty_typeEbEEZZNS1_14partition_implILS8_4ELb0ES6_15HIP_vector_typeIjLj2EENS0_17counting_iteratorIjlEEPS9_SG_NS0_5tupleIJPjSI_NS0_16reverse_iteratorISI_EEEEENSH_IJSG_SG_SG_EEES9_SI_JZNS1_25segmented_radix_sort_implINS0_14default_configELb1EPKfPfPKlPlN2at6native12_GLOBAL__N_18offset_tEEE10hipError_tPvRmT1_PNSt15iterator_traitsIS12_E10value_typeET2_T3_PNS13_IS18_E10value_typeET4_jRbjT5_S1E_jjP12ihipStream_tbEUljE_ZNSN_ISO_Lb1ESQ_SR_ST_SU_SY_EESZ_S10_S11_S12_S16_S17_S18_S1B_S1C_jS1D_jS1E_S1E_jjS1G_bEUljE0_EEESZ_S10_S11_S18_S1C_S1E_T6_T7_T9_mT8_S1G_bDpT10_ENKUlT_T0_E_clISt17integral_constantIbLb1EES1T_IbLb0EEEEDaS1P_S1Q_EUlS1P_E_NS1_11comp_targetILNS1_3genE10ELNS1_11target_archE1200ELNS1_3gpuE4ELNS1_3repE0EEENS1_30default_config_static_selectorELNS0_4arch9wavefront6targetE1EEEvS12_.uses_vcc, 0
	.set _ZN7rocprim17ROCPRIM_400000_NS6detail17trampoline_kernelINS0_13select_configILj256ELj13ELNS0_17block_load_methodE3ELS4_3ELS4_3ELNS0_20block_scan_algorithmE0ELj4294967295EEENS1_25partition_config_selectorILNS1_17partition_subalgoE4EjNS0_10empty_typeEbEEZZNS1_14partition_implILS8_4ELb0ES6_15HIP_vector_typeIjLj2EENS0_17counting_iteratorIjlEEPS9_SG_NS0_5tupleIJPjSI_NS0_16reverse_iteratorISI_EEEEENSH_IJSG_SG_SG_EEES9_SI_JZNS1_25segmented_radix_sort_implINS0_14default_configELb1EPKfPfPKlPlN2at6native12_GLOBAL__N_18offset_tEEE10hipError_tPvRmT1_PNSt15iterator_traitsIS12_E10value_typeET2_T3_PNS13_IS18_E10value_typeET4_jRbjT5_S1E_jjP12ihipStream_tbEUljE_ZNSN_ISO_Lb1ESQ_SR_ST_SU_SY_EESZ_S10_S11_S12_S16_S17_S18_S1B_S1C_jS1D_jS1E_S1E_jjS1G_bEUljE0_EEESZ_S10_S11_S18_S1C_S1E_T6_T7_T9_mT8_S1G_bDpT10_ENKUlT_T0_E_clISt17integral_constantIbLb1EES1T_IbLb0EEEEDaS1P_S1Q_EUlS1P_E_NS1_11comp_targetILNS1_3genE10ELNS1_11target_archE1200ELNS1_3gpuE4ELNS1_3repE0EEENS1_30default_config_static_selectorELNS0_4arch9wavefront6targetE1EEEvS12_.uses_flat_scratch, 0
	.set _ZN7rocprim17ROCPRIM_400000_NS6detail17trampoline_kernelINS0_13select_configILj256ELj13ELNS0_17block_load_methodE3ELS4_3ELS4_3ELNS0_20block_scan_algorithmE0ELj4294967295EEENS1_25partition_config_selectorILNS1_17partition_subalgoE4EjNS0_10empty_typeEbEEZZNS1_14partition_implILS8_4ELb0ES6_15HIP_vector_typeIjLj2EENS0_17counting_iteratorIjlEEPS9_SG_NS0_5tupleIJPjSI_NS0_16reverse_iteratorISI_EEEEENSH_IJSG_SG_SG_EEES9_SI_JZNS1_25segmented_radix_sort_implINS0_14default_configELb1EPKfPfPKlPlN2at6native12_GLOBAL__N_18offset_tEEE10hipError_tPvRmT1_PNSt15iterator_traitsIS12_E10value_typeET2_T3_PNS13_IS18_E10value_typeET4_jRbjT5_S1E_jjP12ihipStream_tbEUljE_ZNSN_ISO_Lb1ESQ_SR_ST_SU_SY_EESZ_S10_S11_S12_S16_S17_S18_S1B_S1C_jS1D_jS1E_S1E_jjS1G_bEUljE0_EEESZ_S10_S11_S18_S1C_S1E_T6_T7_T9_mT8_S1G_bDpT10_ENKUlT_T0_E_clISt17integral_constantIbLb1EES1T_IbLb0EEEEDaS1P_S1Q_EUlS1P_E_NS1_11comp_targetILNS1_3genE10ELNS1_11target_archE1200ELNS1_3gpuE4ELNS1_3repE0EEENS1_30default_config_static_selectorELNS0_4arch9wavefront6targetE1EEEvS12_.has_dyn_sized_stack, 0
	.set _ZN7rocprim17ROCPRIM_400000_NS6detail17trampoline_kernelINS0_13select_configILj256ELj13ELNS0_17block_load_methodE3ELS4_3ELS4_3ELNS0_20block_scan_algorithmE0ELj4294967295EEENS1_25partition_config_selectorILNS1_17partition_subalgoE4EjNS0_10empty_typeEbEEZZNS1_14partition_implILS8_4ELb0ES6_15HIP_vector_typeIjLj2EENS0_17counting_iteratorIjlEEPS9_SG_NS0_5tupleIJPjSI_NS0_16reverse_iteratorISI_EEEEENSH_IJSG_SG_SG_EEES9_SI_JZNS1_25segmented_radix_sort_implINS0_14default_configELb1EPKfPfPKlPlN2at6native12_GLOBAL__N_18offset_tEEE10hipError_tPvRmT1_PNSt15iterator_traitsIS12_E10value_typeET2_T3_PNS13_IS18_E10value_typeET4_jRbjT5_S1E_jjP12ihipStream_tbEUljE_ZNSN_ISO_Lb1ESQ_SR_ST_SU_SY_EESZ_S10_S11_S12_S16_S17_S18_S1B_S1C_jS1D_jS1E_S1E_jjS1G_bEUljE0_EEESZ_S10_S11_S18_S1C_S1E_T6_T7_T9_mT8_S1G_bDpT10_ENKUlT_T0_E_clISt17integral_constantIbLb1EES1T_IbLb0EEEEDaS1P_S1Q_EUlS1P_E_NS1_11comp_targetILNS1_3genE10ELNS1_11target_archE1200ELNS1_3gpuE4ELNS1_3repE0EEENS1_30default_config_static_selectorELNS0_4arch9wavefront6targetE1EEEvS12_.has_recursion, 0
	.set _ZN7rocprim17ROCPRIM_400000_NS6detail17trampoline_kernelINS0_13select_configILj256ELj13ELNS0_17block_load_methodE3ELS4_3ELS4_3ELNS0_20block_scan_algorithmE0ELj4294967295EEENS1_25partition_config_selectorILNS1_17partition_subalgoE4EjNS0_10empty_typeEbEEZZNS1_14partition_implILS8_4ELb0ES6_15HIP_vector_typeIjLj2EENS0_17counting_iteratorIjlEEPS9_SG_NS0_5tupleIJPjSI_NS0_16reverse_iteratorISI_EEEEENSH_IJSG_SG_SG_EEES9_SI_JZNS1_25segmented_radix_sort_implINS0_14default_configELb1EPKfPfPKlPlN2at6native12_GLOBAL__N_18offset_tEEE10hipError_tPvRmT1_PNSt15iterator_traitsIS12_E10value_typeET2_T3_PNS13_IS18_E10value_typeET4_jRbjT5_S1E_jjP12ihipStream_tbEUljE_ZNSN_ISO_Lb1ESQ_SR_ST_SU_SY_EESZ_S10_S11_S12_S16_S17_S18_S1B_S1C_jS1D_jS1E_S1E_jjS1G_bEUljE0_EEESZ_S10_S11_S18_S1C_S1E_T6_T7_T9_mT8_S1G_bDpT10_ENKUlT_T0_E_clISt17integral_constantIbLb1EES1T_IbLb0EEEEDaS1P_S1Q_EUlS1P_E_NS1_11comp_targetILNS1_3genE10ELNS1_11target_archE1200ELNS1_3gpuE4ELNS1_3repE0EEENS1_30default_config_static_selectorELNS0_4arch9wavefront6targetE1EEEvS12_.has_indirect_call, 0
	.section	.AMDGPU.csdata,"",@progbits
; Kernel info:
; codeLenInByte = 0
; TotalNumSgprs: 4
; NumVgprs: 0
; ScratchSize: 0
; MemoryBound: 0
; FloatMode: 240
; IeeeMode: 1
; LDSByteSize: 0 bytes/workgroup (compile time only)
; SGPRBlocks: 0
; VGPRBlocks: 0
; NumSGPRsForWavesPerEU: 4
; NumVGPRsForWavesPerEU: 1
; Occupancy: 10
; WaveLimiterHint : 0
; COMPUTE_PGM_RSRC2:SCRATCH_EN: 0
; COMPUTE_PGM_RSRC2:USER_SGPR: 6
; COMPUTE_PGM_RSRC2:TRAP_HANDLER: 0
; COMPUTE_PGM_RSRC2:TGID_X_EN: 1
; COMPUTE_PGM_RSRC2:TGID_Y_EN: 0
; COMPUTE_PGM_RSRC2:TGID_Z_EN: 0
; COMPUTE_PGM_RSRC2:TIDIG_COMP_CNT: 0
	.section	.text._ZN7rocprim17ROCPRIM_400000_NS6detail17trampoline_kernelINS0_13select_configILj256ELj13ELNS0_17block_load_methodE3ELS4_3ELS4_3ELNS0_20block_scan_algorithmE0ELj4294967295EEENS1_25partition_config_selectorILNS1_17partition_subalgoE4EjNS0_10empty_typeEbEEZZNS1_14partition_implILS8_4ELb0ES6_15HIP_vector_typeIjLj2EENS0_17counting_iteratorIjlEEPS9_SG_NS0_5tupleIJPjSI_NS0_16reverse_iteratorISI_EEEEENSH_IJSG_SG_SG_EEES9_SI_JZNS1_25segmented_radix_sort_implINS0_14default_configELb1EPKfPfPKlPlN2at6native12_GLOBAL__N_18offset_tEEE10hipError_tPvRmT1_PNSt15iterator_traitsIS12_E10value_typeET2_T3_PNS13_IS18_E10value_typeET4_jRbjT5_S1E_jjP12ihipStream_tbEUljE_ZNSN_ISO_Lb1ESQ_SR_ST_SU_SY_EESZ_S10_S11_S12_S16_S17_S18_S1B_S1C_jS1D_jS1E_S1E_jjS1G_bEUljE0_EEESZ_S10_S11_S18_S1C_S1E_T6_T7_T9_mT8_S1G_bDpT10_ENKUlT_T0_E_clISt17integral_constantIbLb1EES1T_IbLb0EEEEDaS1P_S1Q_EUlS1P_E_NS1_11comp_targetILNS1_3genE9ELNS1_11target_archE1100ELNS1_3gpuE3ELNS1_3repE0EEENS1_30default_config_static_selectorELNS0_4arch9wavefront6targetE1EEEvS12_,"axG",@progbits,_ZN7rocprim17ROCPRIM_400000_NS6detail17trampoline_kernelINS0_13select_configILj256ELj13ELNS0_17block_load_methodE3ELS4_3ELS4_3ELNS0_20block_scan_algorithmE0ELj4294967295EEENS1_25partition_config_selectorILNS1_17partition_subalgoE4EjNS0_10empty_typeEbEEZZNS1_14partition_implILS8_4ELb0ES6_15HIP_vector_typeIjLj2EENS0_17counting_iteratorIjlEEPS9_SG_NS0_5tupleIJPjSI_NS0_16reverse_iteratorISI_EEEEENSH_IJSG_SG_SG_EEES9_SI_JZNS1_25segmented_radix_sort_implINS0_14default_configELb1EPKfPfPKlPlN2at6native12_GLOBAL__N_18offset_tEEE10hipError_tPvRmT1_PNSt15iterator_traitsIS12_E10value_typeET2_T3_PNS13_IS18_E10value_typeET4_jRbjT5_S1E_jjP12ihipStream_tbEUljE_ZNSN_ISO_Lb1ESQ_SR_ST_SU_SY_EESZ_S10_S11_S12_S16_S17_S18_S1B_S1C_jS1D_jS1E_S1E_jjS1G_bEUljE0_EEESZ_S10_S11_S18_S1C_S1E_T6_T7_T9_mT8_S1G_bDpT10_ENKUlT_T0_E_clISt17integral_constantIbLb1EES1T_IbLb0EEEEDaS1P_S1Q_EUlS1P_E_NS1_11comp_targetILNS1_3genE9ELNS1_11target_archE1100ELNS1_3gpuE3ELNS1_3repE0EEENS1_30default_config_static_selectorELNS0_4arch9wavefront6targetE1EEEvS12_,comdat
	.globl	_ZN7rocprim17ROCPRIM_400000_NS6detail17trampoline_kernelINS0_13select_configILj256ELj13ELNS0_17block_load_methodE3ELS4_3ELS4_3ELNS0_20block_scan_algorithmE0ELj4294967295EEENS1_25partition_config_selectorILNS1_17partition_subalgoE4EjNS0_10empty_typeEbEEZZNS1_14partition_implILS8_4ELb0ES6_15HIP_vector_typeIjLj2EENS0_17counting_iteratorIjlEEPS9_SG_NS0_5tupleIJPjSI_NS0_16reverse_iteratorISI_EEEEENSH_IJSG_SG_SG_EEES9_SI_JZNS1_25segmented_radix_sort_implINS0_14default_configELb1EPKfPfPKlPlN2at6native12_GLOBAL__N_18offset_tEEE10hipError_tPvRmT1_PNSt15iterator_traitsIS12_E10value_typeET2_T3_PNS13_IS18_E10value_typeET4_jRbjT5_S1E_jjP12ihipStream_tbEUljE_ZNSN_ISO_Lb1ESQ_SR_ST_SU_SY_EESZ_S10_S11_S12_S16_S17_S18_S1B_S1C_jS1D_jS1E_S1E_jjS1G_bEUljE0_EEESZ_S10_S11_S18_S1C_S1E_T6_T7_T9_mT8_S1G_bDpT10_ENKUlT_T0_E_clISt17integral_constantIbLb1EES1T_IbLb0EEEEDaS1P_S1Q_EUlS1P_E_NS1_11comp_targetILNS1_3genE9ELNS1_11target_archE1100ELNS1_3gpuE3ELNS1_3repE0EEENS1_30default_config_static_selectorELNS0_4arch9wavefront6targetE1EEEvS12_ ; -- Begin function _ZN7rocprim17ROCPRIM_400000_NS6detail17trampoline_kernelINS0_13select_configILj256ELj13ELNS0_17block_load_methodE3ELS4_3ELS4_3ELNS0_20block_scan_algorithmE0ELj4294967295EEENS1_25partition_config_selectorILNS1_17partition_subalgoE4EjNS0_10empty_typeEbEEZZNS1_14partition_implILS8_4ELb0ES6_15HIP_vector_typeIjLj2EENS0_17counting_iteratorIjlEEPS9_SG_NS0_5tupleIJPjSI_NS0_16reverse_iteratorISI_EEEEENSH_IJSG_SG_SG_EEES9_SI_JZNS1_25segmented_radix_sort_implINS0_14default_configELb1EPKfPfPKlPlN2at6native12_GLOBAL__N_18offset_tEEE10hipError_tPvRmT1_PNSt15iterator_traitsIS12_E10value_typeET2_T3_PNS13_IS18_E10value_typeET4_jRbjT5_S1E_jjP12ihipStream_tbEUljE_ZNSN_ISO_Lb1ESQ_SR_ST_SU_SY_EESZ_S10_S11_S12_S16_S17_S18_S1B_S1C_jS1D_jS1E_S1E_jjS1G_bEUljE0_EEESZ_S10_S11_S18_S1C_S1E_T6_T7_T9_mT8_S1G_bDpT10_ENKUlT_T0_E_clISt17integral_constantIbLb1EES1T_IbLb0EEEEDaS1P_S1Q_EUlS1P_E_NS1_11comp_targetILNS1_3genE9ELNS1_11target_archE1100ELNS1_3gpuE3ELNS1_3repE0EEENS1_30default_config_static_selectorELNS0_4arch9wavefront6targetE1EEEvS12_
	.p2align	8
	.type	_ZN7rocprim17ROCPRIM_400000_NS6detail17trampoline_kernelINS0_13select_configILj256ELj13ELNS0_17block_load_methodE3ELS4_3ELS4_3ELNS0_20block_scan_algorithmE0ELj4294967295EEENS1_25partition_config_selectorILNS1_17partition_subalgoE4EjNS0_10empty_typeEbEEZZNS1_14partition_implILS8_4ELb0ES6_15HIP_vector_typeIjLj2EENS0_17counting_iteratorIjlEEPS9_SG_NS0_5tupleIJPjSI_NS0_16reverse_iteratorISI_EEEEENSH_IJSG_SG_SG_EEES9_SI_JZNS1_25segmented_radix_sort_implINS0_14default_configELb1EPKfPfPKlPlN2at6native12_GLOBAL__N_18offset_tEEE10hipError_tPvRmT1_PNSt15iterator_traitsIS12_E10value_typeET2_T3_PNS13_IS18_E10value_typeET4_jRbjT5_S1E_jjP12ihipStream_tbEUljE_ZNSN_ISO_Lb1ESQ_SR_ST_SU_SY_EESZ_S10_S11_S12_S16_S17_S18_S1B_S1C_jS1D_jS1E_S1E_jjS1G_bEUljE0_EEESZ_S10_S11_S18_S1C_S1E_T6_T7_T9_mT8_S1G_bDpT10_ENKUlT_T0_E_clISt17integral_constantIbLb1EES1T_IbLb0EEEEDaS1P_S1Q_EUlS1P_E_NS1_11comp_targetILNS1_3genE9ELNS1_11target_archE1100ELNS1_3gpuE3ELNS1_3repE0EEENS1_30default_config_static_selectorELNS0_4arch9wavefront6targetE1EEEvS12_,@function
_ZN7rocprim17ROCPRIM_400000_NS6detail17trampoline_kernelINS0_13select_configILj256ELj13ELNS0_17block_load_methodE3ELS4_3ELS4_3ELNS0_20block_scan_algorithmE0ELj4294967295EEENS1_25partition_config_selectorILNS1_17partition_subalgoE4EjNS0_10empty_typeEbEEZZNS1_14partition_implILS8_4ELb0ES6_15HIP_vector_typeIjLj2EENS0_17counting_iteratorIjlEEPS9_SG_NS0_5tupleIJPjSI_NS0_16reverse_iteratorISI_EEEEENSH_IJSG_SG_SG_EEES9_SI_JZNS1_25segmented_radix_sort_implINS0_14default_configELb1EPKfPfPKlPlN2at6native12_GLOBAL__N_18offset_tEEE10hipError_tPvRmT1_PNSt15iterator_traitsIS12_E10value_typeET2_T3_PNS13_IS18_E10value_typeET4_jRbjT5_S1E_jjP12ihipStream_tbEUljE_ZNSN_ISO_Lb1ESQ_SR_ST_SU_SY_EESZ_S10_S11_S12_S16_S17_S18_S1B_S1C_jS1D_jS1E_S1E_jjS1G_bEUljE0_EEESZ_S10_S11_S18_S1C_S1E_T6_T7_T9_mT8_S1G_bDpT10_ENKUlT_T0_E_clISt17integral_constantIbLb1EES1T_IbLb0EEEEDaS1P_S1Q_EUlS1P_E_NS1_11comp_targetILNS1_3genE9ELNS1_11target_archE1100ELNS1_3gpuE3ELNS1_3repE0EEENS1_30default_config_static_selectorELNS0_4arch9wavefront6targetE1EEEvS12_: ; @_ZN7rocprim17ROCPRIM_400000_NS6detail17trampoline_kernelINS0_13select_configILj256ELj13ELNS0_17block_load_methodE3ELS4_3ELS4_3ELNS0_20block_scan_algorithmE0ELj4294967295EEENS1_25partition_config_selectorILNS1_17partition_subalgoE4EjNS0_10empty_typeEbEEZZNS1_14partition_implILS8_4ELb0ES6_15HIP_vector_typeIjLj2EENS0_17counting_iteratorIjlEEPS9_SG_NS0_5tupleIJPjSI_NS0_16reverse_iteratorISI_EEEEENSH_IJSG_SG_SG_EEES9_SI_JZNS1_25segmented_radix_sort_implINS0_14default_configELb1EPKfPfPKlPlN2at6native12_GLOBAL__N_18offset_tEEE10hipError_tPvRmT1_PNSt15iterator_traitsIS12_E10value_typeET2_T3_PNS13_IS18_E10value_typeET4_jRbjT5_S1E_jjP12ihipStream_tbEUljE_ZNSN_ISO_Lb1ESQ_SR_ST_SU_SY_EESZ_S10_S11_S12_S16_S17_S18_S1B_S1C_jS1D_jS1E_S1E_jjS1G_bEUljE0_EEESZ_S10_S11_S18_S1C_S1E_T6_T7_T9_mT8_S1G_bDpT10_ENKUlT_T0_E_clISt17integral_constantIbLb1EES1T_IbLb0EEEEDaS1P_S1Q_EUlS1P_E_NS1_11comp_targetILNS1_3genE9ELNS1_11target_archE1100ELNS1_3gpuE3ELNS1_3repE0EEENS1_30default_config_static_selectorELNS0_4arch9wavefront6targetE1EEEvS12_
; %bb.0:
	.section	.rodata,"a",@progbits
	.p2align	6, 0x0
	.amdhsa_kernel _ZN7rocprim17ROCPRIM_400000_NS6detail17trampoline_kernelINS0_13select_configILj256ELj13ELNS0_17block_load_methodE3ELS4_3ELS4_3ELNS0_20block_scan_algorithmE0ELj4294967295EEENS1_25partition_config_selectorILNS1_17partition_subalgoE4EjNS0_10empty_typeEbEEZZNS1_14partition_implILS8_4ELb0ES6_15HIP_vector_typeIjLj2EENS0_17counting_iteratorIjlEEPS9_SG_NS0_5tupleIJPjSI_NS0_16reverse_iteratorISI_EEEEENSH_IJSG_SG_SG_EEES9_SI_JZNS1_25segmented_radix_sort_implINS0_14default_configELb1EPKfPfPKlPlN2at6native12_GLOBAL__N_18offset_tEEE10hipError_tPvRmT1_PNSt15iterator_traitsIS12_E10value_typeET2_T3_PNS13_IS18_E10value_typeET4_jRbjT5_S1E_jjP12ihipStream_tbEUljE_ZNSN_ISO_Lb1ESQ_SR_ST_SU_SY_EESZ_S10_S11_S12_S16_S17_S18_S1B_S1C_jS1D_jS1E_S1E_jjS1G_bEUljE0_EEESZ_S10_S11_S18_S1C_S1E_T6_T7_T9_mT8_S1G_bDpT10_ENKUlT_T0_E_clISt17integral_constantIbLb1EES1T_IbLb0EEEEDaS1P_S1Q_EUlS1P_E_NS1_11comp_targetILNS1_3genE9ELNS1_11target_archE1100ELNS1_3gpuE3ELNS1_3repE0EEENS1_30default_config_static_selectorELNS0_4arch9wavefront6targetE1EEEvS12_
		.amdhsa_group_segment_fixed_size 0
		.amdhsa_private_segment_fixed_size 0
		.amdhsa_kernarg_size 176
		.amdhsa_user_sgpr_count 6
		.amdhsa_user_sgpr_private_segment_buffer 1
		.amdhsa_user_sgpr_dispatch_ptr 0
		.amdhsa_user_sgpr_queue_ptr 0
		.amdhsa_user_sgpr_kernarg_segment_ptr 1
		.amdhsa_user_sgpr_dispatch_id 0
		.amdhsa_user_sgpr_flat_scratch_init 0
		.amdhsa_user_sgpr_private_segment_size 0
		.amdhsa_uses_dynamic_stack 0
		.amdhsa_system_sgpr_private_segment_wavefront_offset 0
		.amdhsa_system_sgpr_workgroup_id_x 1
		.amdhsa_system_sgpr_workgroup_id_y 0
		.amdhsa_system_sgpr_workgroup_id_z 0
		.amdhsa_system_sgpr_workgroup_info 0
		.amdhsa_system_vgpr_workitem_id 0
		.amdhsa_next_free_vgpr 1
		.amdhsa_next_free_sgpr 0
		.amdhsa_reserve_vcc 0
		.amdhsa_reserve_flat_scratch 0
		.amdhsa_float_round_mode_32 0
		.amdhsa_float_round_mode_16_64 0
		.amdhsa_float_denorm_mode_32 3
		.amdhsa_float_denorm_mode_16_64 3
		.amdhsa_dx10_clamp 1
		.amdhsa_ieee_mode 1
		.amdhsa_fp16_overflow 0
		.amdhsa_exception_fp_ieee_invalid_op 0
		.amdhsa_exception_fp_denorm_src 0
		.amdhsa_exception_fp_ieee_div_zero 0
		.amdhsa_exception_fp_ieee_overflow 0
		.amdhsa_exception_fp_ieee_underflow 0
		.amdhsa_exception_fp_ieee_inexact 0
		.amdhsa_exception_int_div_zero 0
	.end_amdhsa_kernel
	.section	.text._ZN7rocprim17ROCPRIM_400000_NS6detail17trampoline_kernelINS0_13select_configILj256ELj13ELNS0_17block_load_methodE3ELS4_3ELS4_3ELNS0_20block_scan_algorithmE0ELj4294967295EEENS1_25partition_config_selectorILNS1_17partition_subalgoE4EjNS0_10empty_typeEbEEZZNS1_14partition_implILS8_4ELb0ES6_15HIP_vector_typeIjLj2EENS0_17counting_iteratorIjlEEPS9_SG_NS0_5tupleIJPjSI_NS0_16reverse_iteratorISI_EEEEENSH_IJSG_SG_SG_EEES9_SI_JZNS1_25segmented_radix_sort_implINS0_14default_configELb1EPKfPfPKlPlN2at6native12_GLOBAL__N_18offset_tEEE10hipError_tPvRmT1_PNSt15iterator_traitsIS12_E10value_typeET2_T3_PNS13_IS18_E10value_typeET4_jRbjT5_S1E_jjP12ihipStream_tbEUljE_ZNSN_ISO_Lb1ESQ_SR_ST_SU_SY_EESZ_S10_S11_S12_S16_S17_S18_S1B_S1C_jS1D_jS1E_S1E_jjS1G_bEUljE0_EEESZ_S10_S11_S18_S1C_S1E_T6_T7_T9_mT8_S1G_bDpT10_ENKUlT_T0_E_clISt17integral_constantIbLb1EES1T_IbLb0EEEEDaS1P_S1Q_EUlS1P_E_NS1_11comp_targetILNS1_3genE9ELNS1_11target_archE1100ELNS1_3gpuE3ELNS1_3repE0EEENS1_30default_config_static_selectorELNS0_4arch9wavefront6targetE1EEEvS12_,"axG",@progbits,_ZN7rocprim17ROCPRIM_400000_NS6detail17trampoline_kernelINS0_13select_configILj256ELj13ELNS0_17block_load_methodE3ELS4_3ELS4_3ELNS0_20block_scan_algorithmE0ELj4294967295EEENS1_25partition_config_selectorILNS1_17partition_subalgoE4EjNS0_10empty_typeEbEEZZNS1_14partition_implILS8_4ELb0ES6_15HIP_vector_typeIjLj2EENS0_17counting_iteratorIjlEEPS9_SG_NS0_5tupleIJPjSI_NS0_16reverse_iteratorISI_EEEEENSH_IJSG_SG_SG_EEES9_SI_JZNS1_25segmented_radix_sort_implINS0_14default_configELb1EPKfPfPKlPlN2at6native12_GLOBAL__N_18offset_tEEE10hipError_tPvRmT1_PNSt15iterator_traitsIS12_E10value_typeET2_T3_PNS13_IS18_E10value_typeET4_jRbjT5_S1E_jjP12ihipStream_tbEUljE_ZNSN_ISO_Lb1ESQ_SR_ST_SU_SY_EESZ_S10_S11_S12_S16_S17_S18_S1B_S1C_jS1D_jS1E_S1E_jjS1G_bEUljE0_EEESZ_S10_S11_S18_S1C_S1E_T6_T7_T9_mT8_S1G_bDpT10_ENKUlT_T0_E_clISt17integral_constantIbLb1EES1T_IbLb0EEEEDaS1P_S1Q_EUlS1P_E_NS1_11comp_targetILNS1_3genE9ELNS1_11target_archE1100ELNS1_3gpuE3ELNS1_3repE0EEENS1_30default_config_static_selectorELNS0_4arch9wavefront6targetE1EEEvS12_,comdat
.Lfunc_end1283:
	.size	_ZN7rocprim17ROCPRIM_400000_NS6detail17trampoline_kernelINS0_13select_configILj256ELj13ELNS0_17block_load_methodE3ELS4_3ELS4_3ELNS0_20block_scan_algorithmE0ELj4294967295EEENS1_25partition_config_selectorILNS1_17partition_subalgoE4EjNS0_10empty_typeEbEEZZNS1_14partition_implILS8_4ELb0ES6_15HIP_vector_typeIjLj2EENS0_17counting_iteratorIjlEEPS9_SG_NS0_5tupleIJPjSI_NS0_16reverse_iteratorISI_EEEEENSH_IJSG_SG_SG_EEES9_SI_JZNS1_25segmented_radix_sort_implINS0_14default_configELb1EPKfPfPKlPlN2at6native12_GLOBAL__N_18offset_tEEE10hipError_tPvRmT1_PNSt15iterator_traitsIS12_E10value_typeET2_T3_PNS13_IS18_E10value_typeET4_jRbjT5_S1E_jjP12ihipStream_tbEUljE_ZNSN_ISO_Lb1ESQ_SR_ST_SU_SY_EESZ_S10_S11_S12_S16_S17_S18_S1B_S1C_jS1D_jS1E_S1E_jjS1G_bEUljE0_EEESZ_S10_S11_S18_S1C_S1E_T6_T7_T9_mT8_S1G_bDpT10_ENKUlT_T0_E_clISt17integral_constantIbLb1EES1T_IbLb0EEEEDaS1P_S1Q_EUlS1P_E_NS1_11comp_targetILNS1_3genE9ELNS1_11target_archE1100ELNS1_3gpuE3ELNS1_3repE0EEENS1_30default_config_static_selectorELNS0_4arch9wavefront6targetE1EEEvS12_, .Lfunc_end1283-_ZN7rocprim17ROCPRIM_400000_NS6detail17trampoline_kernelINS0_13select_configILj256ELj13ELNS0_17block_load_methodE3ELS4_3ELS4_3ELNS0_20block_scan_algorithmE0ELj4294967295EEENS1_25partition_config_selectorILNS1_17partition_subalgoE4EjNS0_10empty_typeEbEEZZNS1_14partition_implILS8_4ELb0ES6_15HIP_vector_typeIjLj2EENS0_17counting_iteratorIjlEEPS9_SG_NS0_5tupleIJPjSI_NS0_16reverse_iteratorISI_EEEEENSH_IJSG_SG_SG_EEES9_SI_JZNS1_25segmented_radix_sort_implINS0_14default_configELb1EPKfPfPKlPlN2at6native12_GLOBAL__N_18offset_tEEE10hipError_tPvRmT1_PNSt15iterator_traitsIS12_E10value_typeET2_T3_PNS13_IS18_E10value_typeET4_jRbjT5_S1E_jjP12ihipStream_tbEUljE_ZNSN_ISO_Lb1ESQ_SR_ST_SU_SY_EESZ_S10_S11_S12_S16_S17_S18_S1B_S1C_jS1D_jS1E_S1E_jjS1G_bEUljE0_EEESZ_S10_S11_S18_S1C_S1E_T6_T7_T9_mT8_S1G_bDpT10_ENKUlT_T0_E_clISt17integral_constantIbLb1EES1T_IbLb0EEEEDaS1P_S1Q_EUlS1P_E_NS1_11comp_targetILNS1_3genE9ELNS1_11target_archE1100ELNS1_3gpuE3ELNS1_3repE0EEENS1_30default_config_static_selectorELNS0_4arch9wavefront6targetE1EEEvS12_
                                        ; -- End function
	.set _ZN7rocprim17ROCPRIM_400000_NS6detail17trampoline_kernelINS0_13select_configILj256ELj13ELNS0_17block_load_methodE3ELS4_3ELS4_3ELNS0_20block_scan_algorithmE0ELj4294967295EEENS1_25partition_config_selectorILNS1_17partition_subalgoE4EjNS0_10empty_typeEbEEZZNS1_14partition_implILS8_4ELb0ES6_15HIP_vector_typeIjLj2EENS0_17counting_iteratorIjlEEPS9_SG_NS0_5tupleIJPjSI_NS0_16reverse_iteratorISI_EEEEENSH_IJSG_SG_SG_EEES9_SI_JZNS1_25segmented_radix_sort_implINS0_14default_configELb1EPKfPfPKlPlN2at6native12_GLOBAL__N_18offset_tEEE10hipError_tPvRmT1_PNSt15iterator_traitsIS12_E10value_typeET2_T3_PNS13_IS18_E10value_typeET4_jRbjT5_S1E_jjP12ihipStream_tbEUljE_ZNSN_ISO_Lb1ESQ_SR_ST_SU_SY_EESZ_S10_S11_S12_S16_S17_S18_S1B_S1C_jS1D_jS1E_S1E_jjS1G_bEUljE0_EEESZ_S10_S11_S18_S1C_S1E_T6_T7_T9_mT8_S1G_bDpT10_ENKUlT_T0_E_clISt17integral_constantIbLb1EES1T_IbLb0EEEEDaS1P_S1Q_EUlS1P_E_NS1_11comp_targetILNS1_3genE9ELNS1_11target_archE1100ELNS1_3gpuE3ELNS1_3repE0EEENS1_30default_config_static_selectorELNS0_4arch9wavefront6targetE1EEEvS12_.num_vgpr, 0
	.set _ZN7rocprim17ROCPRIM_400000_NS6detail17trampoline_kernelINS0_13select_configILj256ELj13ELNS0_17block_load_methodE3ELS4_3ELS4_3ELNS0_20block_scan_algorithmE0ELj4294967295EEENS1_25partition_config_selectorILNS1_17partition_subalgoE4EjNS0_10empty_typeEbEEZZNS1_14partition_implILS8_4ELb0ES6_15HIP_vector_typeIjLj2EENS0_17counting_iteratorIjlEEPS9_SG_NS0_5tupleIJPjSI_NS0_16reverse_iteratorISI_EEEEENSH_IJSG_SG_SG_EEES9_SI_JZNS1_25segmented_radix_sort_implINS0_14default_configELb1EPKfPfPKlPlN2at6native12_GLOBAL__N_18offset_tEEE10hipError_tPvRmT1_PNSt15iterator_traitsIS12_E10value_typeET2_T3_PNS13_IS18_E10value_typeET4_jRbjT5_S1E_jjP12ihipStream_tbEUljE_ZNSN_ISO_Lb1ESQ_SR_ST_SU_SY_EESZ_S10_S11_S12_S16_S17_S18_S1B_S1C_jS1D_jS1E_S1E_jjS1G_bEUljE0_EEESZ_S10_S11_S18_S1C_S1E_T6_T7_T9_mT8_S1G_bDpT10_ENKUlT_T0_E_clISt17integral_constantIbLb1EES1T_IbLb0EEEEDaS1P_S1Q_EUlS1P_E_NS1_11comp_targetILNS1_3genE9ELNS1_11target_archE1100ELNS1_3gpuE3ELNS1_3repE0EEENS1_30default_config_static_selectorELNS0_4arch9wavefront6targetE1EEEvS12_.num_agpr, 0
	.set _ZN7rocprim17ROCPRIM_400000_NS6detail17trampoline_kernelINS0_13select_configILj256ELj13ELNS0_17block_load_methodE3ELS4_3ELS4_3ELNS0_20block_scan_algorithmE0ELj4294967295EEENS1_25partition_config_selectorILNS1_17partition_subalgoE4EjNS0_10empty_typeEbEEZZNS1_14partition_implILS8_4ELb0ES6_15HIP_vector_typeIjLj2EENS0_17counting_iteratorIjlEEPS9_SG_NS0_5tupleIJPjSI_NS0_16reverse_iteratorISI_EEEEENSH_IJSG_SG_SG_EEES9_SI_JZNS1_25segmented_radix_sort_implINS0_14default_configELb1EPKfPfPKlPlN2at6native12_GLOBAL__N_18offset_tEEE10hipError_tPvRmT1_PNSt15iterator_traitsIS12_E10value_typeET2_T3_PNS13_IS18_E10value_typeET4_jRbjT5_S1E_jjP12ihipStream_tbEUljE_ZNSN_ISO_Lb1ESQ_SR_ST_SU_SY_EESZ_S10_S11_S12_S16_S17_S18_S1B_S1C_jS1D_jS1E_S1E_jjS1G_bEUljE0_EEESZ_S10_S11_S18_S1C_S1E_T6_T7_T9_mT8_S1G_bDpT10_ENKUlT_T0_E_clISt17integral_constantIbLb1EES1T_IbLb0EEEEDaS1P_S1Q_EUlS1P_E_NS1_11comp_targetILNS1_3genE9ELNS1_11target_archE1100ELNS1_3gpuE3ELNS1_3repE0EEENS1_30default_config_static_selectorELNS0_4arch9wavefront6targetE1EEEvS12_.numbered_sgpr, 0
	.set _ZN7rocprim17ROCPRIM_400000_NS6detail17trampoline_kernelINS0_13select_configILj256ELj13ELNS0_17block_load_methodE3ELS4_3ELS4_3ELNS0_20block_scan_algorithmE0ELj4294967295EEENS1_25partition_config_selectorILNS1_17partition_subalgoE4EjNS0_10empty_typeEbEEZZNS1_14partition_implILS8_4ELb0ES6_15HIP_vector_typeIjLj2EENS0_17counting_iteratorIjlEEPS9_SG_NS0_5tupleIJPjSI_NS0_16reverse_iteratorISI_EEEEENSH_IJSG_SG_SG_EEES9_SI_JZNS1_25segmented_radix_sort_implINS0_14default_configELb1EPKfPfPKlPlN2at6native12_GLOBAL__N_18offset_tEEE10hipError_tPvRmT1_PNSt15iterator_traitsIS12_E10value_typeET2_T3_PNS13_IS18_E10value_typeET4_jRbjT5_S1E_jjP12ihipStream_tbEUljE_ZNSN_ISO_Lb1ESQ_SR_ST_SU_SY_EESZ_S10_S11_S12_S16_S17_S18_S1B_S1C_jS1D_jS1E_S1E_jjS1G_bEUljE0_EEESZ_S10_S11_S18_S1C_S1E_T6_T7_T9_mT8_S1G_bDpT10_ENKUlT_T0_E_clISt17integral_constantIbLb1EES1T_IbLb0EEEEDaS1P_S1Q_EUlS1P_E_NS1_11comp_targetILNS1_3genE9ELNS1_11target_archE1100ELNS1_3gpuE3ELNS1_3repE0EEENS1_30default_config_static_selectorELNS0_4arch9wavefront6targetE1EEEvS12_.num_named_barrier, 0
	.set _ZN7rocprim17ROCPRIM_400000_NS6detail17trampoline_kernelINS0_13select_configILj256ELj13ELNS0_17block_load_methodE3ELS4_3ELS4_3ELNS0_20block_scan_algorithmE0ELj4294967295EEENS1_25partition_config_selectorILNS1_17partition_subalgoE4EjNS0_10empty_typeEbEEZZNS1_14partition_implILS8_4ELb0ES6_15HIP_vector_typeIjLj2EENS0_17counting_iteratorIjlEEPS9_SG_NS0_5tupleIJPjSI_NS0_16reverse_iteratorISI_EEEEENSH_IJSG_SG_SG_EEES9_SI_JZNS1_25segmented_radix_sort_implINS0_14default_configELb1EPKfPfPKlPlN2at6native12_GLOBAL__N_18offset_tEEE10hipError_tPvRmT1_PNSt15iterator_traitsIS12_E10value_typeET2_T3_PNS13_IS18_E10value_typeET4_jRbjT5_S1E_jjP12ihipStream_tbEUljE_ZNSN_ISO_Lb1ESQ_SR_ST_SU_SY_EESZ_S10_S11_S12_S16_S17_S18_S1B_S1C_jS1D_jS1E_S1E_jjS1G_bEUljE0_EEESZ_S10_S11_S18_S1C_S1E_T6_T7_T9_mT8_S1G_bDpT10_ENKUlT_T0_E_clISt17integral_constantIbLb1EES1T_IbLb0EEEEDaS1P_S1Q_EUlS1P_E_NS1_11comp_targetILNS1_3genE9ELNS1_11target_archE1100ELNS1_3gpuE3ELNS1_3repE0EEENS1_30default_config_static_selectorELNS0_4arch9wavefront6targetE1EEEvS12_.private_seg_size, 0
	.set _ZN7rocprim17ROCPRIM_400000_NS6detail17trampoline_kernelINS0_13select_configILj256ELj13ELNS0_17block_load_methodE3ELS4_3ELS4_3ELNS0_20block_scan_algorithmE0ELj4294967295EEENS1_25partition_config_selectorILNS1_17partition_subalgoE4EjNS0_10empty_typeEbEEZZNS1_14partition_implILS8_4ELb0ES6_15HIP_vector_typeIjLj2EENS0_17counting_iteratorIjlEEPS9_SG_NS0_5tupleIJPjSI_NS0_16reverse_iteratorISI_EEEEENSH_IJSG_SG_SG_EEES9_SI_JZNS1_25segmented_radix_sort_implINS0_14default_configELb1EPKfPfPKlPlN2at6native12_GLOBAL__N_18offset_tEEE10hipError_tPvRmT1_PNSt15iterator_traitsIS12_E10value_typeET2_T3_PNS13_IS18_E10value_typeET4_jRbjT5_S1E_jjP12ihipStream_tbEUljE_ZNSN_ISO_Lb1ESQ_SR_ST_SU_SY_EESZ_S10_S11_S12_S16_S17_S18_S1B_S1C_jS1D_jS1E_S1E_jjS1G_bEUljE0_EEESZ_S10_S11_S18_S1C_S1E_T6_T7_T9_mT8_S1G_bDpT10_ENKUlT_T0_E_clISt17integral_constantIbLb1EES1T_IbLb0EEEEDaS1P_S1Q_EUlS1P_E_NS1_11comp_targetILNS1_3genE9ELNS1_11target_archE1100ELNS1_3gpuE3ELNS1_3repE0EEENS1_30default_config_static_selectorELNS0_4arch9wavefront6targetE1EEEvS12_.uses_vcc, 0
	.set _ZN7rocprim17ROCPRIM_400000_NS6detail17trampoline_kernelINS0_13select_configILj256ELj13ELNS0_17block_load_methodE3ELS4_3ELS4_3ELNS0_20block_scan_algorithmE0ELj4294967295EEENS1_25partition_config_selectorILNS1_17partition_subalgoE4EjNS0_10empty_typeEbEEZZNS1_14partition_implILS8_4ELb0ES6_15HIP_vector_typeIjLj2EENS0_17counting_iteratorIjlEEPS9_SG_NS0_5tupleIJPjSI_NS0_16reverse_iteratorISI_EEEEENSH_IJSG_SG_SG_EEES9_SI_JZNS1_25segmented_radix_sort_implINS0_14default_configELb1EPKfPfPKlPlN2at6native12_GLOBAL__N_18offset_tEEE10hipError_tPvRmT1_PNSt15iterator_traitsIS12_E10value_typeET2_T3_PNS13_IS18_E10value_typeET4_jRbjT5_S1E_jjP12ihipStream_tbEUljE_ZNSN_ISO_Lb1ESQ_SR_ST_SU_SY_EESZ_S10_S11_S12_S16_S17_S18_S1B_S1C_jS1D_jS1E_S1E_jjS1G_bEUljE0_EEESZ_S10_S11_S18_S1C_S1E_T6_T7_T9_mT8_S1G_bDpT10_ENKUlT_T0_E_clISt17integral_constantIbLb1EES1T_IbLb0EEEEDaS1P_S1Q_EUlS1P_E_NS1_11comp_targetILNS1_3genE9ELNS1_11target_archE1100ELNS1_3gpuE3ELNS1_3repE0EEENS1_30default_config_static_selectorELNS0_4arch9wavefront6targetE1EEEvS12_.uses_flat_scratch, 0
	.set _ZN7rocprim17ROCPRIM_400000_NS6detail17trampoline_kernelINS0_13select_configILj256ELj13ELNS0_17block_load_methodE3ELS4_3ELS4_3ELNS0_20block_scan_algorithmE0ELj4294967295EEENS1_25partition_config_selectorILNS1_17partition_subalgoE4EjNS0_10empty_typeEbEEZZNS1_14partition_implILS8_4ELb0ES6_15HIP_vector_typeIjLj2EENS0_17counting_iteratorIjlEEPS9_SG_NS0_5tupleIJPjSI_NS0_16reverse_iteratorISI_EEEEENSH_IJSG_SG_SG_EEES9_SI_JZNS1_25segmented_radix_sort_implINS0_14default_configELb1EPKfPfPKlPlN2at6native12_GLOBAL__N_18offset_tEEE10hipError_tPvRmT1_PNSt15iterator_traitsIS12_E10value_typeET2_T3_PNS13_IS18_E10value_typeET4_jRbjT5_S1E_jjP12ihipStream_tbEUljE_ZNSN_ISO_Lb1ESQ_SR_ST_SU_SY_EESZ_S10_S11_S12_S16_S17_S18_S1B_S1C_jS1D_jS1E_S1E_jjS1G_bEUljE0_EEESZ_S10_S11_S18_S1C_S1E_T6_T7_T9_mT8_S1G_bDpT10_ENKUlT_T0_E_clISt17integral_constantIbLb1EES1T_IbLb0EEEEDaS1P_S1Q_EUlS1P_E_NS1_11comp_targetILNS1_3genE9ELNS1_11target_archE1100ELNS1_3gpuE3ELNS1_3repE0EEENS1_30default_config_static_selectorELNS0_4arch9wavefront6targetE1EEEvS12_.has_dyn_sized_stack, 0
	.set _ZN7rocprim17ROCPRIM_400000_NS6detail17trampoline_kernelINS0_13select_configILj256ELj13ELNS0_17block_load_methodE3ELS4_3ELS4_3ELNS0_20block_scan_algorithmE0ELj4294967295EEENS1_25partition_config_selectorILNS1_17partition_subalgoE4EjNS0_10empty_typeEbEEZZNS1_14partition_implILS8_4ELb0ES6_15HIP_vector_typeIjLj2EENS0_17counting_iteratorIjlEEPS9_SG_NS0_5tupleIJPjSI_NS0_16reverse_iteratorISI_EEEEENSH_IJSG_SG_SG_EEES9_SI_JZNS1_25segmented_radix_sort_implINS0_14default_configELb1EPKfPfPKlPlN2at6native12_GLOBAL__N_18offset_tEEE10hipError_tPvRmT1_PNSt15iterator_traitsIS12_E10value_typeET2_T3_PNS13_IS18_E10value_typeET4_jRbjT5_S1E_jjP12ihipStream_tbEUljE_ZNSN_ISO_Lb1ESQ_SR_ST_SU_SY_EESZ_S10_S11_S12_S16_S17_S18_S1B_S1C_jS1D_jS1E_S1E_jjS1G_bEUljE0_EEESZ_S10_S11_S18_S1C_S1E_T6_T7_T9_mT8_S1G_bDpT10_ENKUlT_T0_E_clISt17integral_constantIbLb1EES1T_IbLb0EEEEDaS1P_S1Q_EUlS1P_E_NS1_11comp_targetILNS1_3genE9ELNS1_11target_archE1100ELNS1_3gpuE3ELNS1_3repE0EEENS1_30default_config_static_selectorELNS0_4arch9wavefront6targetE1EEEvS12_.has_recursion, 0
	.set _ZN7rocprim17ROCPRIM_400000_NS6detail17trampoline_kernelINS0_13select_configILj256ELj13ELNS0_17block_load_methodE3ELS4_3ELS4_3ELNS0_20block_scan_algorithmE0ELj4294967295EEENS1_25partition_config_selectorILNS1_17partition_subalgoE4EjNS0_10empty_typeEbEEZZNS1_14partition_implILS8_4ELb0ES6_15HIP_vector_typeIjLj2EENS0_17counting_iteratorIjlEEPS9_SG_NS0_5tupleIJPjSI_NS0_16reverse_iteratorISI_EEEEENSH_IJSG_SG_SG_EEES9_SI_JZNS1_25segmented_radix_sort_implINS0_14default_configELb1EPKfPfPKlPlN2at6native12_GLOBAL__N_18offset_tEEE10hipError_tPvRmT1_PNSt15iterator_traitsIS12_E10value_typeET2_T3_PNS13_IS18_E10value_typeET4_jRbjT5_S1E_jjP12ihipStream_tbEUljE_ZNSN_ISO_Lb1ESQ_SR_ST_SU_SY_EESZ_S10_S11_S12_S16_S17_S18_S1B_S1C_jS1D_jS1E_S1E_jjS1G_bEUljE0_EEESZ_S10_S11_S18_S1C_S1E_T6_T7_T9_mT8_S1G_bDpT10_ENKUlT_T0_E_clISt17integral_constantIbLb1EES1T_IbLb0EEEEDaS1P_S1Q_EUlS1P_E_NS1_11comp_targetILNS1_3genE9ELNS1_11target_archE1100ELNS1_3gpuE3ELNS1_3repE0EEENS1_30default_config_static_selectorELNS0_4arch9wavefront6targetE1EEEvS12_.has_indirect_call, 0
	.section	.AMDGPU.csdata,"",@progbits
; Kernel info:
; codeLenInByte = 0
; TotalNumSgprs: 4
; NumVgprs: 0
; ScratchSize: 0
; MemoryBound: 0
; FloatMode: 240
; IeeeMode: 1
; LDSByteSize: 0 bytes/workgroup (compile time only)
; SGPRBlocks: 0
; VGPRBlocks: 0
; NumSGPRsForWavesPerEU: 4
; NumVGPRsForWavesPerEU: 1
; Occupancy: 10
; WaveLimiterHint : 0
; COMPUTE_PGM_RSRC2:SCRATCH_EN: 0
; COMPUTE_PGM_RSRC2:USER_SGPR: 6
; COMPUTE_PGM_RSRC2:TRAP_HANDLER: 0
; COMPUTE_PGM_RSRC2:TGID_X_EN: 1
; COMPUTE_PGM_RSRC2:TGID_Y_EN: 0
; COMPUTE_PGM_RSRC2:TGID_Z_EN: 0
; COMPUTE_PGM_RSRC2:TIDIG_COMP_CNT: 0
	.section	.text._ZN7rocprim17ROCPRIM_400000_NS6detail17trampoline_kernelINS0_13select_configILj256ELj13ELNS0_17block_load_methodE3ELS4_3ELS4_3ELNS0_20block_scan_algorithmE0ELj4294967295EEENS1_25partition_config_selectorILNS1_17partition_subalgoE4EjNS0_10empty_typeEbEEZZNS1_14partition_implILS8_4ELb0ES6_15HIP_vector_typeIjLj2EENS0_17counting_iteratorIjlEEPS9_SG_NS0_5tupleIJPjSI_NS0_16reverse_iteratorISI_EEEEENSH_IJSG_SG_SG_EEES9_SI_JZNS1_25segmented_radix_sort_implINS0_14default_configELb1EPKfPfPKlPlN2at6native12_GLOBAL__N_18offset_tEEE10hipError_tPvRmT1_PNSt15iterator_traitsIS12_E10value_typeET2_T3_PNS13_IS18_E10value_typeET4_jRbjT5_S1E_jjP12ihipStream_tbEUljE_ZNSN_ISO_Lb1ESQ_SR_ST_SU_SY_EESZ_S10_S11_S12_S16_S17_S18_S1B_S1C_jS1D_jS1E_S1E_jjS1G_bEUljE0_EEESZ_S10_S11_S18_S1C_S1E_T6_T7_T9_mT8_S1G_bDpT10_ENKUlT_T0_E_clISt17integral_constantIbLb1EES1T_IbLb0EEEEDaS1P_S1Q_EUlS1P_E_NS1_11comp_targetILNS1_3genE8ELNS1_11target_archE1030ELNS1_3gpuE2ELNS1_3repE0EEENS1_30default_config_static_selectorELNS0_4arch9wavefront6targetE1EEEvS12_,"axG",@progbits,_ZN7rocprim17ROCPRIM_400000_NS6detail17trampoline_kernelINS0_13select_configILj256ELj13ELNS0_17block_load_methodE3ELS4_3ELS4_3ELNS0_20block_scan_algorithmE0ELj4294967295EEENS1_25partition_config_selectorILNS1_17partition_subalgoE4EjNS0_10empty_typeEbEEZZNS1_14partition_implILS8_4ELb0ES6_15HIP_vector_typeIjLj2EENS0_17counting_iteratorIjlEEPS9_SG_NS0_5tupleIJPjSI_NS0_16reverse_iteratorISI_EEEEENSH_IJSG_SG_SG_EEES9_SI_JZNS1_25segmented_radix_sort_implINS0_14default_configELb1EPKfPfPKlPlN2at6native12_GLOBAL__N_18offset_tEEE10hipError_tPvRmT1_PNSt15iterator_traitsIS12_E10value_typeET2_T3_PNS13_IS18_E10value_typeET4_jRbjT5_S1E_jjP12ihipStream_tbEUljE_ZNSN_ISO_Lb1ESQ_SR_ST_SU_SY_EESZ_S10_S11_S12_S16_S17_S18_S1B_S1C_jS1D_jS1E_S1E_jjS1G_bEUljE0_EEESZ_S10_S11_S18_S1C_S1E_T6_T7_T9_mT8_S1G_bDpT10_ENKUlT_T0_E_clISt17integral_constantIbLb1EES1T_IbLb0EEEEDaS1P_S1Q_EUlS1P_E_NS1_11comp_targetILNS1_3genE8ELNS1_11target_archE1030ELNS1_3gpuE2ELNS1_3repE0EEENS1_30default_config_static_selectorELNS0_4arch9wavefront6targetE1EEEvS12_,comdat
	.globl	_ZN7rocprim17ROCPRIM_400000_NS6detail17trampoline_kernelINS0_13select_configILj256ELj13ELNS0_17block_load_methodE3ELS4_3ELS4_3ELNS0_20block_scan_algorithmE0ELj4294967295EEENS1_25partition_config_selectorILNS1_17partition_subalgoE4EjNS0_10empty_typeEbEEZZNS1_14partition_implILS8_4ELb0ES6_15HIP_vector_typeIjLj2EENS0_17counting_iteratorIjlEEPS9_SG_NS0_5tupleIJPjSI_NS0_16reverse_iteratorISI_EEEEENSH_IJSG_SG_SG_EEES9_SI_JZNS1_25segmented_radix_sort_implINS0_14default_configELb1EPKfPfPKlPlN2at6native12_GLOBAL__N_18offset_tEEE10hipError_tPvRmT1_PNSt15iterator_traitsIS12_E10value_typeET2_T3_PNS13_IS18_E10value_typeET4_jRbjT5_S1E_jjP12ihipStream_tbEUljE_ZNSN_ISO_Lb1ESQ_SR_ST_SU_SY_EESZ_S10_S11_S12_S16_S17_S18_S1B_S1C_jS1D_jS1E_S1E_jjS1G_bEUljE0_EEESZ_S10_S11_S18_S1C_S1E_T6_T7_T9_mT8_S1G_bDpT10_ENKUlT_T0_E_clISt17integral_constantIbLb1EES1T_IbLb0EEEEDaS1P_S1Q_EUlS1P_E_NS1_11comp_targetILNS1_3genE8ELNS1_11target_archE1030ELNS1_3gpuE2ELNS1_3repE0EEENS1_30default_config_static_selectorELNS0_4arch9wavefront6targetE1EEEvS12_ ; -- Begin function _ZN7rocprim17ROCPRIM_400000_NS6detail17trampoline_kernelINS0_13select_configILj256ELj13ELNS0_17block_load_methodE3ELS4_3ELS4_3ELNS0_20block_scan_algorithmE0ELj4294967295EEENS1_25partition_config_selectorILNS1_17partition_subalgoE4EjNS0_10empty_typeEbEEZZNS1_14partition_implILS8_4ELb0ES6_15HIP_vector_typeIjLj2EENS0_17counting_iteratorIjlEEPS9_SG_NS0_5tupleIJPjSI_NS0_16reverse_iteratorISI_EEEEENSH_IJSG_SG_SG_EEES9_SI_JZNS1_25segmented_radix_sort_implINS0_14default_configELb1EPKfPfPKlPlN2at6native12_GLOBAL__N_18offset_tEEE10hipError_tPvRmT1_PNSt15iterator_traitsIS12_E10value_typeET2_T3_PNS13_IS18_E10value_typeET4_jRbjT5_S1E_jjP12ihipStream_tbEUljE_ZNSN_ISO_Lb1ESQ_SR_ST_SU_SY_EESZ_S10_S11_S12_S16_S17_S18_S1B_S1C_jS1D_jS1E_S1E_jjS1G_bEUljE0_EEESZ_S10_S11_S18_S1C_S1E_T6_T7_T9_mT8_S1G_bDpT10_ENKUlT_T0_E_clISt17integral_constantIbLb1EES1T_IbLb0EEEEDaS1P_S1Q_EUlS1P_E_NS1_11comp_targetILNS1_3genE8ELNS1_11target_archE1030ELNS1_3gpuE2ELNS1_3repE0EEENS1_30default_config_static_selectorELNS0_4arch9wavefront6targetE1EEEvS12_
	.p2align	8
	.type	_ZN7rocprim17ROCPRIM_400000_NS6detail17trampoline_kernelINS0_13select_configILj256ELj13ELNS0_17block_load_methodE3ELS4_3ELS4_3ELNS0_20block_scan_algorithmE0ELj4294967295EEENS1_25partition_config_selectorILNS1_17partition_subalgoE4EjNS0_10empty_typeEbEEZZNS1_14partition_implILS8_4ELb0ES6_15HIP_vector_typeIjLj2EENS0_17counting_iteratorIjlEEPS9_SG_NS0_5tupleIJPjSI_NS0_16reverse_iteratorISI_EEEEENSH_IJSG_SG_SG_EEES9_SI_JZNS1_25segmented_radix_sort_implINS0_14default_configELb1EPKfPfPKlPlN2at6native12_GLOBAL__N_18offset_tEEE10hipError_tPvRmT1_PNSt15iterator_traitsIS12_E10value_typeET2_T3_PNS13_IS18_E10value_typeET4_jRbjT5_S1E_jjP12ihipStream_tbEUljE_ZNSN_ISO_Lb1ESQ_SR_ST_SU_SY_EESZ_S10_S11_S12_S16_S17_S18_S1B_S1C_jS1D_jS1E_S1E_jjS1G_bEUljE0_EEESZ_S10_S11_S18_S1C_S1E_T6_T7_T9_mT8_S1G_bDpT10_ENKUlT_T0_E_clISt17integral_constantIbLb1EES1T_IbLb0EEEEDaS1P_S1Q_EUlS1P_E_NS1_11comp_targetILNS1_3genE8ELNS1_11target_archE1030ELNS1_3gpuE2ELNS1_3repE0EEENS1_30default_config_static_selectorELNS0_4arch9wavefront6targetE1EEEvS12_,@function
_ZN7rocprim17ROCPRIM_400000_NS6detail17trampoline_kernelINS0_13select_configILj256ELj13ELNS0_17block_load_methodE3ELS4_3ELS4_3ELNS0_20block_scan_algorithmE0ELj4294967295EEENS1_25partition_config_selectorILNS1_17partition_subalgoE4EjNS0_10empty_typeEbEEZZNS1_14partition_implILS8_4ELb0ES6_15HIP_vector_typeIjLj2EENS0_17counting_iteratorIjlEEPS9_SG_NS0_5tupleIJPjSI_NS0_16reverse_iteratorISI_EEEEENSH_IJSG_SG_SG_EEES9_SI_JZNS1_25segmented_radix_sort_implINS0_14default_configELb1EPKfPfPKlPlN2at6native12_GLOBAL__N_18offset_tEEE10hipError_tPvRmT1_PNSt15iterator_traitsIS12_E10value_typeET2_T3_PNS13_IS18_E10value_typeET4_jRbjT5_S1E_jjP12ihipStream_tbEUljE_ZNSN_ISO_Lb1ESQ_SR_ST_SU_SY_EESZ_S10_S11_S12_S16_S17_S18_S1B_S1C_jS1D_jS1E_S1E_jjS1G_bEUljE0_EEESZ_S10_S11_S18_S1C_S1E_T6_T7_T9_mT8_S1G_bDpT10_ENKUlT_T0_E_clISt17integral_constantIbLb1EES1T_IbLb0EEEEDaS1P_S1Q_EUlS1P_E_NS1_11comp_targetILNS1_3genE8ELNS1_11target_archE1030ELNS1_3gpuE2ELNS1_3repE0EEENS1_30default_config_static_selectorELNS0_4arch9wavefront6targetE1EEEvS12_: ; @_ZN7rocprim17ROCPRIM_400000_NS6detail17trampoline_kernelINS0_13select_configILj256ELj13ELNS0_17block_load_methodE3ELS4_3ELS4_3ELNS0_20block_scan_algorithmE0ELj4294967295EEENS1_25partition_config_selectorILNS1_17partition_subalgoE4EjNS0_10empty_typeEbEEZZNS1_14partition_implILS8_4ELb0ES6_15HIP_vector_typeIjLj2EENS0_17counting_iteratorIjlEEPS9_SG_NS0_5tupleIJPjSI_NS0_16reverse_iteratorISI_EEEEENSH_IJSG_SG_SG_EEES9_SI_JZNS1_25segmented_radix_sort_implINS0_14default_configELb1EPKfPfPKlPlN2at6native12_GLOBAL__N_18offset_tEEE10hipError_tPvRmT1_PNSt15iterator_traitsIS12_E10value_typeET2_T3_PNS13_IS18_E10value_typeET4_jRbjT5_S1E_jjP12ihipStream_tbEUljE_ZNSN_ISO_Lb1ESQ_SR_ST_SU_SY_EESZ_S10_S11_S12_S16_S17_S18_S1B_S1C_jS1D_jS1E_S1E_jjS1G_bEUljE0_EEESZ_S10_S11_S18_S1C_S1E_T6_T7_T9_mT8_S1G_bDpT10_ENKUlT_T0_E_clISt17integral_constantIbLb1EES1T_IbLb0EEEEDaS1P_S1Q_EUlS1P_E_NS1_11comp_targetILNS1_3genE8ELNS1_11target_archE1030ELNS1_3gpuE2ELNS1_3repE0EEENS1_30default_config_static_selectorELNS0_4arch9wavefront6targetE1EEEvS12_
; %bb.0:
	.section	.rodata,"a",@progbits
	.p2align	6, 0x0
	.amdhsa_kernel _ZN7rocprim17ROCPRIM_400000_NS6detail17trampoline_kernelINS0_13select_configILj256ELj13ELNS0_17block_load_methodE3ELS4_3ELS4_3ELNS0_20block_scan_algorithmE0ELj4294967295EEENS1_25partition_config_selectorILNS1_17partition_subalgoE4EjNS0_10empty_typeEbEEZZNS1_14partition_implILS8_4ELb0ES6_15HIP_vector_typeIjLj2EENS0_17counting_iteratorIjlEEPS9_SG_NS0_5tupleIJPjSI_NS0_16reverse_iteratorISI_EEEEENSH_IJSG_SG_SG_EEES9_SI_JZNS1_25segmented_radix_sort_implINS0_14default_configELb1EPKfPfPKlPlN2at6native12_GLOBAL__N_18offset_tEEE10hipError_tPvRmT1_PNSt15iterator_traitsIS12_E10value_typeET2_T3_PNS13_IS18_E10value_typeET4_jRbjT5_S1E_jjP12ihipStream_tbEUljE_ZNSN_ISO_Lb1ESQ_SR_ST_SU_SY_EESZ_S10_S11_S12_S16_S17_S18_S1B_S1C_jS1D_jS1E_S1E_jjS1G_bEUljE0_EEESZ_S10_S11_S18_S1C_S1E_T6_T7_T9_mT8_S1G_bDpT10_ENKUlT_T0_E_clISt17integral_constantIbLb1EES1T_IbLb0EEEEDaS1P_S1Q_EUlS1P_E_NS1_11comp_targetILNS1_3genE8ELNS1_11target_archE1030ELNS1_3gpuE2ELNS1_3repE0EEENS1_30default_config_static_selectorELNS0_4arch9wavefront6targetE1EEEvS12_
		.amdhsa_group_segment_fixed_size 0
		.amdhsa_private_segment_fixed_size 0
		.amdhsa_kernarg_size 176
		.amdhsa_user_sgpr_count 6
		.amdhsa_user_sgpr_private_segment_buffer 1
		.amdhsa_user_sgpr_dispatch_ptr 0
		.amdhsa_user_sgpr_queue_ptr 0
		.amdhsa_user_sgpr_kernarg_segment_ptr 1
		.amdhsa_user_sgpr_dispatch_id 0
		.amdhsa_user_sgpr_flat_scratch_init 0
		.amdhsa_user_sgpr_private_segment_size 0
		.amdhsa_uses_dynamic_stack 0
		.amdhsa_system_sgpr_private_segment_wavefront_offset 0
		.amdhsa_system_sgpr_workgroup_id_x 1
		.amdhsa_system_sgpr_workgroup_id_y 0
		.amdhsa_system_sgpr_workgroup_id_z 0
		.amdhsa_system_sgpr_workgroup_info 0
		.amdhsa_system_vgpr_workitem_id 0
		.amdhsa_next_free_vgpr 1
		.amdhsa_next_free_sgpr 0
		.amdhsa_reserve_vcc 0
		.amdhsa_reserve_flat_scratch 0
		.amdhsa_float_round_mode_32 0
		.amdhsa_float_round_mode_16_64 0
		.amdhsa_float_denorm_mode_32 3
		.amdhsa_float_denorm_mode_16_64 3
		.amdhsa_dx10_clamp 1
		.amdhsa_ieee_mode 1
		.amdhsa_fp16_overflow 0
		.amdhsa_exception_fp_ieee_invalid_op 0
		.amdhsa_exception_fp_denorm_src 0
		.amdhsa_exception_fp_ieee_div_zero 0
		.amdhsa_exception_fp_ieee_overflow 0
		.amdhsa_exception_fp_ieee_underflow 0
		.amdhsa_exception_fp_ieee_inexact 0
		.amdhsa_exception_int_div_zero 0
	.end_amdhsa_kernel
	.section	.text._ZN7rocprim17ROCPRIM_400000_NS6detail17trampoline_kernelINS0_13select_configILj256ELj13ELNS0_17block_load_methodE3ELS4_3ELS4_3ELNS0_20block_scan_algorithmE0ELj4294967295EEENS1_25partition_config_selectorILNS1_17partition_subalgoE4EjNS0_10empty_typeEbEEZZNS1_14partition_implILS8_4ELb0ES6_15HIP_vector_typeIjLj2EENS0_17counting_iteratorIjlEEPS9_SG_NS0_5tupleIJPjSI_NS0_16reverse_iteratorISI_EEEEENSH_IJSG_SG_SG_EEES9_SI_JZNS1_25segmented_radix_sort_implINS0_14default_configELb1EPKfPfPKlPlN2at6native12_GLOBAL__N_18offset_tEEE10hipError_tPvRmT1_PNSt15iterator_traitsIS12_E10value_typeET2_T3_PNS13_IS18_E10value_typeET4_jRbjT5_S1E_jjP12ihipStream_tbEUljE_ZNSN_ISO_Lb1ESQ_SR_ST_SU_SY_EESZ_S10_S11_S12_S16_S17_S18_S1B_S1C_jS1D_jS1E_S1E_jjS1G_bEUljE0_EEESZ_S10_S11_S18_S1C_S1E_T6_T7_T9_mT8_S1G_bDpT10_ENKUlT_T0_E_clISt17integral_constantIbLb1EES1T_IbLb0EEEEDaS1P_S1Q_EUlS1P_E_NS1_11comp_targetILNS1_3genE8ELNS1_11target_archE1030ELNS1_3gpuE2ELNS1_3repE0EEENS1_30default_config_static_selectorELNS0_4arch9wavefront6targetE1EEEvS12_,"axG",@progbits,_ZN7rocprim17ROCPRIM_400000_NS6detail17trampoline_kernelINS0_13select_configILj256ELj13ELNS0_17block_load_methodE3ELS4_3ELS4_3ELNS0_20block_scan_algorithmE0ELj4294967295EEENS1_25partition_config_selectorILNS1_17partition_subalgoE4EjNS0_10empty_typeEbEEZZNS1_14partition_implILS8_4ELb0ES6_15HIP_vector_typeIjLj2EENS0_17counting_iteratorIjlEEPS9_SG_NS0_5tupleIJPjSI_NS0_16reverse_iteratorISI_EEEEENSH_IJSG_SG_SG_EEES9_SI_JZNS1_25segmented_radix_sort_implINS0_14default_configELb1EPKfPfPKlPlN2at6native12_GLOBAL__N_18offset_tEEE10hipError_tPvRmT1_PNSt15iterator_traitsIS12_E10value_typeET2_T3_PNS13_IS18_E10value_typeET4_jRbjT5_S1E_jjP12ihipStream_tbEUljE_ZNSN_ISO_Lb1ESQ_SR_ST_SU_SY_EESZ_S10_S11_S12_S16_S17_S18_S1B_S1C_jS1D_jS1E_S1E_jjS1G_bEUljE0_EEESZ_S10_S11_S18_S1C_S1E_T6_T7_T9_mT8_S1G_bDpT10_ENKUlT_T0_E_clISt17integral_constantIbLb1EES1T_IbLb0EEEEDaS1P_S1Q_EUlS1P_E_NS1_11comp_targetILNS1_3genE8ELNS1_11target_archE1030ELNS1_3gpuE2ELNS1_3repE0EEENS1_30default_config_static_selectorELNS0_4arch9wavefront6targetE1EEEvS12_,comdat
.Lfunc_end1284:
	.size	_ZN7rocprim17ROCPRIM_400000_NS6detail17trampoline_kernelINS0_13select_configILj256ELj13ELNS0_17block_load_methodE3ELS4_3ELS4_3ELNS0_20block_scan_algorithmE0ELj4294967295EEENS1_25partition_config_selectorILNS1_17partition_subalgoE4EjNS0_10empty_typeEbEEZZNS1_14partition_implILS8_4ELb0ES6_15HIP_vector_typeIjLj2EENS0_17counting_iteratorIjlEEPS9_SG_NS0_5tupleIJPjSI_NS0_16reverse_iteratorISI_EEEEENSH_IJSG_SG_SG_EEES9_SI_JZNS1_25segmented_radix_sort_implINS0_14default_configELb1EPKfPfPKlPlN2at6native12_GLOBAL__N_18offset_tEEE10hipError_tPvRmT1_PNSt15iterator_traitsIS12_E10value_typeET2_T3_PNS13_IS18_E10value_typeET4_jRbjT5_S1E_jjP12ihipStream_tbEUljE_ZNSN_ISO_Lb1ESQ_SR_ST_SU_SY_EESZ_S10_S11_S12_S16_S17_S18_S1B_S1C_jS1D_jS1E_S1E_jjS1G_bEUljE0_EEESZ_S10_S11_S18_S1C_S1E_T6_T7_T9_mT8_S1G_bDpT10_ENKUlT_T0_E_clISt17integral_constantIbLb1EES1T_IbLb0EEEEDaS1P_S1Q_EUlS1P_E_NS1_11comp_targetILNS1_3genE8ELNS1_11target_archE1030ELNS1_3gpuE2ELNS1_3repE0EEENS1_30default_config_static_selectorELNS0_4arch9wavefront6targetE1EEEvS12_, .Lfunc_end1284-_ZN7rocprim17ROCPRIM_400000_NS6detail17trampoline_kernelINS0_13select_configILj256ELj13ELNS0_17block_load_methodE3ELS4_3ELS4_3ELNS0_20block_scan_algorithmE0ELj4294967295EEENS1_25partition_config_selectorILNS1_17partition_subalgoE4EjNS0_10empty_typeEbEEZZNS1_14partition_implILS8_4ELb0ES6_15HIP_vector_typeIjLj2EENS0_17counting_iteratorIjlEEPS9_SG_NS0_5tupleIJPjSI_NS0_16reverse_iteratorISI_EEEEENSH_IJSG_SG_SG_EEES9_SI_JZNS1_25segmented_radix_sort_implINS0_14default_configELb1EPKfPfPKlPlN2at6native12_GLOBAL__N_18offset_tEEE10hipError_tPvRmT1_PNSt15iterator_traitsIS12_E10value_typeET2_T3_PNS13_IS18_E10value_typeET4_jRbjT5_S1E_jjP12ihipStream_tbEUljE_ZNSN_ISO_Lb1ESQ_SR_ST_SU_SY_EESZ_S10_S11_S12_S16_S17_S18_S1B_S1C_jS1D_jS1E_S1E_jjS1G_bEUljE0_EEESZ_S10_S11_S18_S1C_S1E_T6_T7_T9_mT8_S1G_bDpT10_ENKUlT_T0_E_clISt17integral_constantIbLb1EES1T_IbLb0EEEEDaS1P_S1Q_EUlS1P_E_NS1_11comp_targetILNS1_3genE8ELNS1_11target_archE1030ELNS1_3gpuE2ELNS1_3repE0EEENS1_30default_config_static_selectorELNS0_4arch9wavefront6targetE1EEEvS12_
                                        ; -- End function
	.set _ZN7rocprim17ROCPRIM_400000_NS6detail17trampoline_kernelINS0_13select_configILj256ELj13ELNS0_17block_load_methodE3ELS4_3ELS4_3ELNS0_20block_scan_algorithmE0ELj4294967295EEENS1_25partition_config_selectorILNS1_17partition_subalgoE4EjNS0_10empty_typeEbEEZZNS1_14partition_implILS8_4ELb0ES6_15HIP_vector_typeIjLj2EENS0_17counting_iteratorIjlEEPS9_SG_NS0_5tupleIJPjSI_NS0_16reverse_iteratorISI_EEEEENSH_IJSG_SG_SG_EEES9_SI_JZNS1_25segmented_radix_sort_implINS0_14default_configELb1EPKfPfPKlPlN2at6native12_GLOBAL__N_18offset_tEEE10hipError_tPvRmT1_PNSt15iterator_traitsIS12_E10value_typeET2_T3_PNS13_IS18_E10value_typeET4_jRbjT5_S1E_jjP12ihipStream_tbEUljE_ZNSN_ISO_Lb1ESQ_SR_ST_SU_SY_EESZ_S10_S11_S12_S16_S17_S18_S1B_S1C_jS1D_jS1E_S1E_jjS1G_bEUljE0_EEESZ_S10_S11_S18_S1C_S1E_T6_T7_T9_mT8_S1G_bDpT10_ENKUlT_T0_E_clISt17integral_constantIbLb1EES1T_IbLb0EEEEDaS1P_S1Q_EUlS1P_E_NS1_11comp_targetILNS1_3genE8ELNS1_11target_archE1030ELNS1_3gpuE2ELNS1_3repE0EEENS1_30default_config_static_selectorELNS0_4arch9wavefront6targetE1EEEvS12_.num_vgpr, 0
	.set _ZN7rocprim17ROCPRIM_400000_NS6detail17trampoline_kernelINS0_13select_configILj256ELj13ELNS0_17block_load_methodE3ELS4_3ELS4_3ELNS0_20block_scan_algorithmE0ELj4294967295EEENS1_25partition_config_selectorILNS1_17partition_subalgoE4EjNS0_10empty_typeEbEEZZNS1_14partition_implILS8_4ELb0ES6_15HIP_vector_typeIjLj2EENS0_17counting_iteratorIjlEEPS9_SG_NS0_5tupleIJPjSI_NS0_16reverse_iteratorISI_EEEEENSH_IJSG_SG_SG_EEES9_SI_JZNS1_25segmented_radix_sort_implINS0_14default_configELb1EPKfPfPKlPlN2at6native12_GLOBAL__N_18offset_tEEE10hipError_tPvRmT1_PNSt15iterator_traitsIS12_E10value_typeET2_T3_PNS13_IS18_E10value_typeET4_jRbjT5_S1E_jjP12ihipStream_tbEUljE_ZNSN_ISO_Lb1ESQ_SR_ST_SU_SY_EESZ_S10_S11_S12_S16_S17_S18_S1B_S1C_jS1D_jS1E_S1E_jjS1G_bEUljE0_EEESZ_S10_S11_S18_S1C_S1E_T6_T7_T9_mT8_S1G_bDpT10_ENKUlT_T0_E_clISt17integral_constantIbLb1EES1T_IbLb0EEEEDaS1P_S1Q_EUlS1P_E_NS1_11comp_targetILNS1_3genE8ELNS1_11target_archE1030ELNS1_3gpuE2ELNS1_3repE0EEENS1_30default_config_static_selectorELNS0_4arch9wavefront6targetE1EEEvS12_.num_agpr, 0
	.set _ZN7rocprim17ROCPRIM_400000_NS6detail17trampoline_kernelINS0_13select_configILj256ELj13ELNS0_17block_load_methodE3ELS4_3ELS4_3ELNS0_20block_scan_algorithmE0ELj4294967295EEENS1_25partition_config_selectorILNS1_17partition_subalgoE4EjNS0_10empty_typeEbEEZZNS1_14partition_implILS8_4ELb0ES6_15HIP_vector_typeIjLj2EENS0_17counting_iteratorIjlEEPS9_SG_NS0_5tupleIJPjSI_NS0_16reverse_iteratorISI_EEEEENSH_IJSG_SG_SG_EEES9_SI_JZNS1_25segmented_radix_sort_implINS0_14default_configELb1EPKfPfPKlPlN2at6native12_GLOBAL__N_18offset_tEEE10hipError_tPvRmT1_PNSt15iterator_traitsIS12_E10value_typeET2_T3_PNS13_IS18_E10value_typeET4_jRbjT5_S1E_jjP12ihipStream_tbEUljE_ZNSN_ISO_Lb1ESQ_SR_ST_SU_SY_EESZ_S10_S11_S12_S16_S17_S18_S1B_S1C_jS1D_jS1E_S1E_jjS1G_bEUljE0_EEESZ_S10_S11_S18_S1C_S1E_T6_T7_T9_mT8_S1G_bDpT10_ENKUlT_T0_E_clISt17integral_constantIbLb1EES1T_IbLb0EEEEDaS1P_S1Q_EUlS1P_E_NS1_11comp_targetILNS1_3genE8ELNS1_11target_archE1030ELNS1_3gpuE2ELNS1_3repE0EEENS1_30default_config_static_selectorELNS0_4arch9wavefront6targetE1EEEvS12_.numbered_sgpr, 0
	.set _ZN7rocprim17ROCPRIM_400000_NS6detail17trampoline_kernelINS0_13select_configILj256ELj13ELNS0_17block_load_methodE3ELS4_3ELS4_3ELNS0_20block_scan_algorithmE0ELj4294967295EEENS1_25partition_config_selectorILNS1_17partition_subalgoE4EjNS0_10empty_typeEbEEZZNS1_14partition_implILS8_4ELb0ES6_15HIP_vector_typeIjLj2EENS0_17counting_iteratorIjlEEPS9_SG_NS0_5tupleIJPjSI_NS0_16reverse_iteratorISI_EEEEENSH_IJSG_SG_SG_EEES9_SI_JZNS1_25segmented_radix_sort_implINS0_14default_configELb1EPKfPfPKlPlN2at6native12_GLOBAL__N_18offset_tEEE10hipError_tPvRmT1_PNSt15iterator_traitsIS12_E10value_typeET2_T3_PNS13_IS18_E10value_typeET4_jRbjT5_S1E_jjP12ihipStream_tbEUljE_ZNSN_ISO_Lb1ESQ_SR_ST_SU_SY_EESZ_S10_S11_S12_S16_S17_S18_S1B_S1C_jS1D_jS1E_S1E_jjS1G_bEUljE0_EEESZ_S10_S11_S18_S1C_S1E_T6_T7_T9_mT8_S1G_bDpT10_ENKUlT_T0_E_clISt17integral_constantIbLb1EES1T_IbLb0EEEEDaS1P_S1Q_EUlS1P_E_NS1_11comp_targetILNS1_3genE8ELNS1_11target_archE1030ELNS1_3gpuE2ELNS1_3repE0EEENS1_30default_config_static_selectorELNS0_4arch9wavefront6targetE1EEEvS12_.num_named_barrier, 0
	.set _ZN7rocprim17ROCPRIM_400000_NS6detail17trampoline_kernelINS0_13select_configILj256ELj13ELNS0_17block_load_methodE3ELS4_3ELS4_3ELNS0_20block_scan_algorithmE0ELj4294967295EEENS1_25partition_config_selectorILNS1_17partition_subalgoE4EjNS0_10empty_typeEbEEZZNS1_14partition_implILS8_4ELb0ES6_15HIP_vector_typeIjLj2EENS0_17counting_iteratorIjlEEPS9_SG_NS0_5tupleIJPjSI_NS0_16reverse_iteratorISI_EEEEENSH_IJSG_SG_SG_EEES9_SI_JZNS1_25segmented_radix_sort_implINS0_14default_configELb1EPKfPfPKlPlN2at6native12_GLOBAL__N_18offset_tEEE10hipError_tPvRmT1_PNSt15iterator_traitsIS12_E10value_typeET2_T3_PNS13_IS18_E10value_typeET4_jRbjT5_S1E_jjP12ihipStream_tbEUljE_ZNSN_ISO_Lb1ESQ_SR_ST_SU_SY_EESZ_S10_S11_S12_S16_S17_S18_S1B_S1C_jS1D_jS1E_S1E_jjS1G_bEUljE0_EEESZ_S10_S11_S18_S1C_S1E_T6_T7_T9_mT8_S1G_bDpT10_ENKUlT_T0_E_clISt17integral_constantIbLb1EES1T_IbLb0EEEEDaS1P_S1Q_EUlS1P_E_NS1_11comp_targetILNS1_3genE8ELNS1_11target_archE1030ELNS1_3gpuE2ELNS1_3repE0EEENS1_30default_config_static_selectorELNS0_4arch9wavefront6targetE1EEEvS12_.private_seg_size, 0
	.set _ZN7rocprim17ROCPRIM_400000_NS6detail17trampoline_kernelINS0_13select_configILj256ELj13ELNS0_17block_load_methodE3ELS4_3ELS4_3ELNS0_20block_scan_algorithmE0ELj4294967295EEENS1_25partition_config_selectorILNS1_17partition_subalgoE4EjNS0_10empty_typeEbEEZZNS1_14partition_implILS8_4ELb0ES6_15HIP_vector_typeIjLj2EENS0_17counting_iteratorIjlEEPS9_SG_NS0_5tupleIJPjSI_NS0_16reverse_iteratorISI_EEEEENSH_IJSG_SG_SG_EEES9_SI_JZNS1_25segmented_radix_sort_implINS0_14default_configELb1EPKfPfPKlPlN2at6native12_GLOBAL__N_18offset_tEEE10hipError_tPvRmT1_PNSt15iterator_traitsIS12_E10value_typeET2_T3_PNS13_IS18_E10value_typeET4_jRbjT5_S1E_jjP12ihipStream_tbEUljE_ZNSN_ISO_Lb1ESQ_SR_ST_SU_SY_EESZ_S10_S11_S12_S16_S17_S18_S1B_S1C_jS1D_jS1E_S1E_jjS1G_bEUljE0_EEESZ_S10_S11_S18_S1C_S1E_T6_T7_T9_mT8_S1G_bDpT10_ENKUlT_T0_E_clISt17integral_constantIbLb1EES1T_IbLb0EEEEDaS1P_S1Q_EUlS1P_E_NS1_11comp_targetILNS1_3genE8ELNS1_11target_archE1030ELNS1_3gpuE2ELNS1_3repE0EEENS1_30default_config_static_selectorELNS0_4arch9wavefront6targetE1EEEvS12_.uses_vcc, 0
	.set _ZN7rocprim17ROCPRIM_400000_NS6detail17trampoline_kernelINS0_13select_configILj256ELj13ELNS0_17block_load_methodE3ELS4_3ELS4_3ELNS0_20block_scan_algorithmE0ELj4294967295EEENS1_25partition_config_selectorILNS1_17partition_subalgoE4EjNS0_10empty_typeEbEEZZNS1_14partition_implILS8_4ELb0ES6_15HIP_vector_typeIjLj2EENS0_17counting_iteratorIjlEEPS9_SG_NS0_5tupleIJPjSI_NS0_16reverse_iteratorISI_EEEEENSH_IJSG_SG_SG_EEES9_SI_JZNS1_25segmented_radix_sort_implINS0_14default_configELb1EPKfPfPKlPlN2at6native12_GLOBAL__N_18offset_tEEE10hipError_tPvRmT1_PNSt15iterator_traitsIS12_E10value_typeET2_T3_PNS13_IS18_E10value_typeET4_jRbjT5_S1E_jjP12ihipStream_tbEUljE_ZNSN_ISO_Lb1ESQ_SR_ST_SU_SY_EESZ_S10_S11_S12_S16_S17_S18_S1B_S1C_jS1D_jS1E_S1E_jjS1G_bEUljE0_EEESZ_S10_S11_S18_S1C_S1E_T6_T7_T9_mT8_S1G_bDpT10_ENKUlT_T0_E_clISt17integral_constantIbLb1EES1T_IbLb0EEEEDaS1P_S1Q_EUlS1P_E_NS1_11comp_targetILNS1_3genE8ELNS1_11target_archE1030ELNS1_3gpuE2ELNS1_3repE0EEENS1_30default_config_static_selectorELNS0_4arch9wavefront6targetE1EEEvS12_.uses_flat_scratch, 0
	.set _ZN7rocprim17ROCPRIM_400000_NS6detail17trampoline_kernelINS0_13select_configILj256ELj13ELNS0_17block_load_methodE3ELS4_3ELS4_3ELNS0_20block_scan_algorithmE0ELj4294967295EEENS1_25partition_config_selectorILNS1_17partition_subalgoE4EjNS0_10empty_typeEbEEZZNS1_14partition_implILS8_4ELb0ES6_15HIP_vector_typeIjLj2EENS0_17counting_iteratorIjlEEPS9_SG_NS0_5tupleIJPjSI_NS0_16reverse_iteratorISI_EEEEENSH_IJSG_SG_SG_EEES9_SI_JZNS1_25segmented_radix_sort_implINS0_14default_configELb1EPKfPfPKlPlN2at6native12_GLOBAL__N_18offset_tEEE10hipError_tPvRmT1_PNSt15iterator_traitsIS12_E10value_typeET2_T3_PNS13_IS18_E10value_typeET4_jRbjT5_S1E_jjP12ihipStream_tbEUljE_ZNSN_ISO_Lb1ESQ_SR_ST_SU_SY_EESZ_S10_S11_S12_S16_S17_S18_S1B_S1C_jS1D_jS1E_S1E_jjS1G_bEUljE0_EEESZ_S10_S11_S18_S1C_S1E_T6_T7_T9_mT8_S1G_bDpT10_ENKUlT_T0_E_clISt17integral_constantIbLb1EES1T_IbLb0EEEEDaS1P_S1Q_EUlS1P_E_NS1_11comp_targetILNS1_3genE8ELNS1_11target_archE1030ELNS1_3gpuE2ELNS1_3repE0EEENS1_30default_config_static_selectorELNS0_4arch9wavefront6targetE1EEEvS12_.has_dyn_sized_stack, 0
	.set _ZN7rocprim17ROCPRIM_400000_NS6detail17trampoline_kernelINS0_13select_configILj256ELj13ELNS0_17block_load_methodE3ELS4_3ELS4_3ELNS0_20block_scan_algorithmE0ELj4294967295EEENS1_25partition_config_selectorILNS1_17partition_subalgoE4EjNS0_10empty_typeEbEEZZNS1_14partition_implILS8_4ELb0ES6_15HIP_vector_typeIjLj2EENS0_17counting_iteratorIjlEEPS9_SG_NS0_5tupleIJPjSI_NS0_16reverse_iteratorISI_EEEEENSH_IJSG_SG_SG_EEES9_SI_JZNS1_25segmented_radix_sort_implINS0_14default_configELb1EPKfPfPKlPlN2at6native12_GLOBAL__N_18offset_tEEE10hipError_tPvRmT1_PNSt15iterator_traitsIS12_E10value_typeET2_T3_PNS13_IS18_E10value_typeET4_jRbjT5_S1E_jjP12ihipStream_tbEUljE_ZNSN_ISO_Lb1ESQ_SR_ST_SU_SY_EESZ_S10_S11_S12_S16_S17_S18_S1B_S1C_jS1D_jS1E_S1E_jjS1G_bEUljE0_EEESZ_S10_S11_S18_S1C_S1E_T6_T7_T9_mT8_S1G_bDpT10_ENKUlT_T0_E_clISt17integral_constantIbLb1EES1T_IbLb0EEEEDaS1P_S1Q_EUlS1P_E_NS1_11comp_targetILNS1_3genE8ELNS1_11target_archE1030ELNS1_3gpuE2ELNS1_3repE0EEENS1_30default_config_static_selectorELNS0_4arch9wavefront6targetE1EEEvS12_.has_recursion, 0
	.set _ZN7rocprim17ROCPRIM_400000_NS6detail17trampoline_kernelINS0_13select_configILj256ELj13ELNS0_17block_load_methodE3ELS4_3ELS4_3ELNS0_20block_scan_algorithmE0ELj4294967295EEENS1_25partition_config_selectorILNS1_17partition_subalgoE4EjNS0_10empty_typeEbEEZZNS1_14partition_implILS8_4ELb0ES6_15HIP_vector_typeIjLj2EENS0_17counting_iteratorIjlEEPS9_SG_NS0_5tupleIJPjSI_NS0_16reverse_iteratorISI_EEEEENSH_IJSG_SG_SG_EEES9_SI_JZNS1_25segmented_radix_sort_implINS0_14default_configELb1EPKfPfPKlPlN2at6native12_GLOBAL__N_18offset_tEEE10hipError_tPvRmT1_PNSt15iterator_traitsIS12_E10value_typeET2_T3_PNS13_IS18_E10value_typeET4_jRbjT5_S1E_jjP12ihipStream_tbEUljE_ZNSN_ISO_Lb1ESQ_SR_ST_SU_SY_EESZ_S10_S11_S12_S16_S17_S18_S1B_S1C_jS1D_jS1E_S1E_jjS1G_bEUljE0_EEESZ_S10_S11_S18_S1C_S1E_T6_T7_T9_mT8_S1G_bDpT10_ENKUlT_T0_E_clISt17integral_constantIbLb1EES1T_IbLb0EEEEDaS1P_S1Q_EUlS1P_E_NS1_11comp_targetILNS1_3genE8ELNS1_11target_archE1030ELNS1_3gpuE2ELNS1_3repE0EEENS1_30default_config_static_selectorELNS0_4arch9wavefront6targetE1EEEvS12_.has_indirect_call, 0
	.section	.AMDGPU.csdata,"",@progbits
; Kernel info:
; codeLenInByte = 0
; TotalNumSgprs: 4
; NumVgprs: 0
; ScratchSize: 0
; MemoryBound: 0
; FloatMode: 240
; IeeeMode: 1
; LDSByteSize: 0 bytes/workgroup (compile time only)
; SGPRBlocks: 0
; VGPRBlocks: 0
; NumSGPRsForWavesPerEU: 4
; NumVGPRsForWavesPerEU: 1
; Occupancy: 10
; WaveLimiterHint : 0
; COMPUTE_PGM_RSRC2:SCRATCH_EN: 0
; COMPUTE_PGM_RSRC2:USER_SGPR: 6
; COMPUTE_PGM_RSRC2:TRAP_HANDLER: 0
; COMPUTE_PGM_RSRC2:TGID_X_EN: 1
; COMPUTE_PGM_RSRC2:TGID_Y_EN: 0
; COMPUTE_PGM_RSRC2:TGID_Z_EN: 0
; COMPUTE_PGM_RSRC2:TIDIG_COMP_CNT: 0
	.section	.text._ZN7rocprim17ROCPRIM_400000_NS6detail17trampoline_kernelINS0_13select_configILj256ELj13ELNS0_17block_load_methodE3ELS4_3ELS4_3ELNS0_20block_scan_algorithmE0ELj4294967295EEENS1_25partition_config_selectorILNS1_17partition_subalgoE4EjNS0_10empty_typeEbEEZZNS1_14partition_implILS8_4ELb0ES6_15HIP_vector_typeIjLj2EENS0_17counting_iteratorIjlEEPS9_SG_NS0_5tupleIJPjSI_NS0_16reverse_iteratorISI_EEEEENSH_IJSG_SG_SG_EEES9_SI_JZNS1_25segmented_radix_sort_implINS0_14default_configELb1EPKfPfPKlPlN2at6native12_GLOBAL__N_18offset_tEEE10hipError_tPvRmT1_PNSt15iterator_traitsIS12_E10value_typeET2_T3_PNS13_IS18_E10value_typeET4_jRbjT5_S1E_jjP12ihipStream_tbEUljE_ZNSN_ISO_Lb1ESQ_SR_ST_SU_SY_EESZ_S10_S11_S12_S16_S17_S18_S1B_S1C_jS1D_jS1E_S1E_jjS1G_bEUljE0_EEESZ_S10_S11_S18_S1C_S1E_T6_T7_T9_mT8_S1G_bDpT10_ENKUlT_T0_E_clISt17integral_constantIbLb0EES1T_IbLb1EEEEDaS1P_S1Q_EUlS1P_E_NS1_11comp_targetILNS1_3genE0ELNS1_11target_archE4294967295ELNS1_3gpuE0ELNS1_3repE0EEENS1_30default_config_static_selectorELNS0_4arch9wavefront6targetE1EEEvS12_,"axG",@progbits,_ZN7rocprim17ROCPRIM_400000_NS6detail17trampoline_kernelINS0_13select_configILj256ELj13ELNS0_17block_load_methodE3ELS4_3ELS4_3ELNS0_20block_scan_algorithmE0ELj4294967295EEENS1_25partition_config_selectorILNS1_17partition_subalgoE4EjNS0_10empty_typeEbEEZZNS1_14partition_implILS8_4ELb0ES6_15HIP_vector_typeIjLj2EENS0_17counting_iteratorIjlEEPS9_SG_NS0_5tupleIJPjSI_NS0_16reverse_iteratorISI_EEEEENSH_IJSG_SG_SG_EEES9_SI_JZNS1_25segmented_radix_sort_implINS0_14default_configELb1EPKfPfPKlPlN2at6native12_GLOBAL__N_18offset_tEEE10hipError_tPvRmT1_PNSt15iterator_traitsIS12_E10value_typeET2_T3_PNS13_IS18_E10value_typeET4_jRbjT5_S1E_jjP12ihipStream_tbEUljE_ZNSN_ISO_Lb1ESQ_SR_ST_SU_SY_EESZ_S10_S11_S12_S16_S17_S18_S1B_S1C_jS1D_jS1E_S1E_jjS1G_bEUljE0_EEESZ_S10_S11_S18_S1C_S1E_T6_T7_T9_mT8_S1G_bDpT10_ENKUlT_T0_E_clISt17integral_constantIbLb0EES1T_IbLb1EEEEDaS1P_S1Q_EUlS1P_E_NS1_11comp_targetILNS1_3genE0ELNS1_11target_archE4294967295ELNS1_3gpuE0ELNS1_3repE0EEENS1_30default_config_static_selectorELNS0_4arch9wavefront6targetE1EEEvS12_,comdat
	.globl	_ZN7rocprim17ROCPRIM_400000_NS6detail17trampoline_kernelINS0_13select_configILj256ELj13ELNS0_17block_load_methodE3ELS4_3ELS4_3ELNS0_20block_scan_algorithmE0ELj4294967295EEENS1_25partition_config_selectorILNS1_17partition_subalgoE4EjNS0_10empty_typeEbEEZZNS1_14partition_implILS8_4ELb0ES6_15HIP_vector_typeIjLj2EENS0_17counting_iteratorIjlEEPS9_SG_NS0_5tupleIJPjSI_NS0_16reverse_iteratorISI_EEEEENSH_IJSG_SG_SG_EEES9_SI_JZNS1_25segmented_radix_sort_implINS0_14default_configELb1EPKfPfPKlPlN2at6native12_GLOBAL__N_18offset_tEEE10hipError_tPvRmT1_PNSt15iterator_traitsIS12_E10value_typeET2_T3_PNS13_IS18_E10value_typeET4_jRbjT5_S1E_jjP12ihipStream_tbEUljE_ZNSN_ISO_Lb1ESQ_SR_ST_SU_SY_EESZ_S10_S11_S12_S16_S17_S18_S1B_S1C_jS1D_jS1E_S1E_jjS1G_bEUljE0_EEESZ_S10_S11_S18_S1C_S1E_T6_T7_T9_mT8_S1G_bDpT10_ENKUlT_T0_E_clISt17integral_constantIbLb0EES1T_IbLb1EEEEDaS1P_S1Q_EUlS1P_E_NS1_11comp_targetILNS1_3genE0ELNS1_11target_archE4294967295ELNS1_3gpuE0ELNS1_3repE0EEENS1_30default_config_static_selectorELNS0_4arch9wavefront6targetE1EEEvS12_ ; -- Begin function _ZN7rocprim17ROCPRIM_400000_NS6detail17trampoline_kernelINS0_13select_configILj256ELj13ELNS0_17block_load_methodE3ELS4_3ELS4_3ELNS0_20block_scan_algorithmE0ELj4294967295EEENS1_25partition_config_selectorILNS1_17partition_subalgoE4EjNS0_10empty_typeEbEEZZNS1_14partition_implILS8_4ELb0ES6_15HIP_vector_typeIjLj2EENS0_17counting_iteratorIjlEEPS9_SG_NS0_5tupleIJPjSI_NS0_16reverse_iteratorISI_EEEEENSH_IJSG_SG_SG_EEES9_SI_JZNS1_25segmented_radix_sort_implINS0_14default_configELb1EPKfPfPKlPlN2at6native12_GLOBAL__N_18offset_tEEE10hipError_tPvRmT1_PNSt15iterator_traitsIS12_E10value_typeET2_T3_PNS13_IS18_E10value_typeET4_jRbjT5_S1E_jjP12ihipStream_tbEUljE_ZNSN_ISO_Lb1ESQ_SR_ST_SU_SY_EESZ_S10_S11_S12_S16_S17_S18_S1B_S1C_jS1D_jS1E_S1E_jjS1G_bEUljE0_EEESZ_S10_S11_S18_S1C_S1E_T6_T7_T9_mT8_S1G_bDpT10_ENKUlT_T0_E_clISt17integral_constantIbLb0EES1T_IbLb1EEEEDaS1P_S1Q_EUlS1P_E_NS1_11comp_targetILNS1_3genE0ELNS1_11target_archE4294967295ELNS1_3gpuE0ELNS1_3repE0EEENS1_30default_config_static_selectorELNS0_4arch9wavefront6targetE1EEEvS12_
	.p2align	8
	.type	_ZN7rocprim17ROCPRIM_400000_NS6detail17trampoline_kernelINS0_13select_configILj256ELj13ELNS0_17block_load_methodE3ELS4_3ELS4_3ELNS0_20block_scan_algorithmE0ELj4294967295EEENS1_25partition_config_selectorILNS1_17partition_subalgoE4EjNS0_10empty_typeEbEEZZNS1_14partition_implILS8_4ELb0ES6_15HIP_vector_typeIjLj2EENS0_17counting_iteratorIjlEEPS9_SG_NS0_5tupleIJPjSI_NS0_16reverse_iteratorISI_EEEEENSH_IJSG_SG_SG_EEES9_SI_JZNS1_25segmented_radix_sort_implINS0_14default_configELb1EPKfPfPKlPlN2at6native12_GLOBAL__N_18offset_tEEE10hipError_tPvRmT1_PNSt15iterator_traitsIS12_E10value_typeET2_T3_PNS13_IS18_E10value_typeET4_jRbjT5_S1E_jjP12ihipStream_tbEUljE_ZNSN_ISO_Lb1ESQ_SR_ST_SU_SY_EESZ_S10_S11_S12_S16_S17_S18_S1B_S1C_jS1D_jS1E_S1E_jjS1G_bEUljE0_EEESZ_S10_S11_S18_S1C_S1E_T6_T7_T9_mT8_S1G_bDpT10_ENKUlT_T0_E_clISt17integral_constantIbLb0EES1T_IbLb1EEEEDaS1P_S1Q_EUlS1P_E_NS1_11comp_targetILNS1_3genE0ELNS1_11target_archE4294967295ELNS1_3gpuE0ELNS1_3repE0EEENS1_30default_config_static_selectorELNS0_4arch9wavefront6targetE1EEEvS12_,@function
_ZN7rocprim17ROCPRIM_400000_NS6detail17trampoline_kernelINS0_13select_configILj256ELj13ELNS0_17block_load_methodE3ELS4_3ELS4_3ELNS0_20block_scan_algorithmE0ELj4294967295EEENS1_25partition_config_selectorILNS1_17partition_subalgoE4EjNS0_10empty_typeEbEEZZNS1_14partition_implILS8_4ELb0ES6_15HIP_vector_typeIjLj2EENS0_17counting_iteratorIjlEEPS9_SG_NS0_5tupleIJPjSI_NS0_16reverse_iteratorISI_EEEEENSH_IJSG_SG_SG_EEES9_SI_JZNS1_25segmented_radix_sort_implINS0_14default_configELb1EPKfPfPKlPlN2at6native12_GLOBAL__N_18offset_tEEE10hipError_tPvRmT1_PNSt15iterator_traitsIS12_E10value_typeET2_T3_PNS13_IS18_E10value_typeET4_jRbjT5_S1E_jjP12ihipStream_tbEUljE_ZNSN_ISO_Lb1ESQ_SR_ST_SU_SY_EESZ_S10_S11_S12_S16_S17_S18_S1B_S1C_jS1D_jS1E_S1E_jjS1G_bEUljE0_EEESZ_S10_S11_S18_S1C_S1E_T6_T7_T9_mT8_S1G_bDpT10_ENKUlT_T0_E_clISt17integral_constantIbLb0EES1T_IbLb1EEEEDaS1P_S1Q_EUlS1P_E_NS1_11comp_targetILNS1_3genE0ELNS1_11target_archE4294967295ELNS1_3gpuE0ELNS1_3repE0EEENS1_30default_config_static_selectorELNS0_4arch9wavefront6targetE1EEEvS12_: ; @_ZN7rocprim17ROCPRIM_400000_NS6detail17trampoline_kernelINS0_13select_configILj256ELj13ELNS0_17block_load_methodE3ELS4_3ELS4_3ELNS0_20block_scan_algorithmE0ELj4294967295EEENS1_25partition_config_selectorILNS1_17partition_subalgoE4EjNS0_10empty_typeEbEEZZNS1_14partition_implILS8_4ELb0ES6_15HIP_vector_typeIjLj2EENS0_17counting_iteratorIjlEEPS9_SG_NS0_5tupleIJPjSI_NS0_16reverse_iteratorISI_EEEEENSH_IJSG_SG_SG_EEES9_SI_JZNS1_25segmented_radix_sort_implINS0_14default_configELb1EPKfPfPKlPlN2at6native12_GLOBAL__N_18offset_tEEE10hipError_tPvRmT1_PNSt15iterator_traitsIS12_E10value_typeET2_T3_PNS13_IS18_E10value_typeET4_jRbjT5_S1E_jjP12ihipStream_tbEUljE_ZNSN_ISO_Lb1ESQ_SR_ST_SU_SY_EESZ_S10_S11_S12_S16_S17_S18_S1B_S1C_jS1D_jS1E_S1E_jjS1G_bEUljE0_EEESZ_S10_S11_S18_S1C_S1E_T6_T7_T9_mT8_S1G_bDpT10_ENKUlT_T0_E_clISt17integral_constantIbLb0EES1T_IbLb1EEEEDaS1P_S1Q_EUlS1P_E_NS1_11comp_targetILNS1_3genE0ELNS1_11target_archE4294967295ELNS1_3gpuE0ELNS1_3repE0EEENS1_30default_config_static_selectorELNS0_4arch9wavefront6targetE1EEEvS12_
; %bb.0:
	.section	.rodata,"a",@progbits
	.p2align	6, 0x0
	.amdhsa_kernel _ZN7rocprim17ROCPRIM_400000_NS6detail17trampoline_kernelINS0_13select_configILj256ELj13ELNS0_17block_load_methodE3ELS4_3ELS4_3ELNS0_20block_scan_algorithmE0ELj4294967295EEENS1_25partition_config_selectorILNS1_17partition_subalgoE4EjNS0_10empty_typeEbEEZZNS1_14partition_implILS8_4ELb0ES6_15HIP_vector_typeIjLj2EENS0_17counting_iteratorIjlEEPS9_SG_NS0_5tupleIJPjSI_NS0_16reverse_iteratorISI_EEEEENSH_IJSG_SG_SG_EEES9_SI_JZNS1_25segmented_radix_sort_implINS0_14default_configELb1EPKfPfPKlPlN2at6native12_GLOBAL__N_18offset_tEEE10hipError_tPvRmT1_PNSt15iterator_traitsIS12_E10value_typeET2_T3_PNS13_IS18_E10value_typeET4_jRbjT5_S1E_jjP12ihipStream_tbEUljE_ZNSN_ISO_Lb1ESQ_SR_ST_SU_SY_EESZ_S10_S11_S12_S16_S17_S18_S1B_S1C_jS1D_jS1E_S1E_jjS1G_bEUljE0_EEESZ_S10_S11_S18_S1C_S1E_T6_T7_T9_mT8_S1G_bDpT10_ENKUlT_T0_E_clISt17integral_constantIbLb0EES1T_IbLb1EEEEDaS1P_S1Q_EUlS1P_E_NS1_11comp_targetILNS1_3genE0ELNS1_11target_archE4294967295ELNS1_3gpuE0ELNS1_3repE0EEENS1_30default_config_static_selectorELNS0_4arch9wavefront6targetE1EEEvS12_
		.amdhsa_group_segment_fixed_size 0
		.amdhsa_private_segment_fixed_size 0
		.amdhsa_kernarg_size 184
		.amdhsa_user_sgpr_count 6
		.amdhsa_user_sgpr_private_segment_buffer 1
		.amdhsa_user_sgpr_dispatch_ptr 0
		.amdhsa_user_sgpr_queue_ptr 0
		.amdhsa_user_sgpr_kernarg_segment_ptr 1
		.amdhsa_user_sgpr_dispatch_id 0
		.amdhsa_user_sgpr_flat_scratch_init 0
		.amdhsa_user_sgpr_private_segment_size 0
		.amdhsa_uses_dynamic_stack 0
		.amdhsa_system_sgpr_private_segment_wavefront_offset 0
		.amdhsa_system_sgpr_workgroup_id_x 1
		.amdhsa_system_sgpr_workgroup_id_y 0
		.amdhsa_system_sgpr_workgroup_id_z 0
		.amdhsa_system_sgpr_workgroup_info 0
		.amdhsa_system_vgpr_workitem_id 0
		.amdhsa_next_free_vgpr 1
		.amdhsa_next_free_sgpr 0
		.amdhsa_reserve_vcc 0
		.amdhsa_reserve_flat_scratch 0
		.amdhsa_float_round_mode_32 0
		.amdhsa_float_round_mode_16_64 0
		.amdhsa_float_denorm_mode_32 3
		.amdhsa_float_denorm_mode_16_64 3
		.amdhsa_dx10_clamp 1
		.amdhsa_ieee_mode 1
		.amdhsa_fp16_overflow 0
		.amdhsa_exception_fp_ieee_invalid_op 0
		.amdhsa_exception_fp_denorm_src 0
		.amdhsa_exception_fp_ieee_div_zero 0
		.amdhsa_exception_fp_ieee_overflow 0
		.amdhsa_exception_fp_ieee_underflow 0
		.amdhsa_exception_fp_ieee_inexact 0
		.amdhsa_exception_int_div_zero 0
	.end_amdhsa_kernel
	.section	.text._ZN7rocprim17ROCPRIM_400000_NS6detail17trampoline_kernelINS0_13select_configILj256ELj13ELNS0_17block_load_methodE3ELS4_3ELS4_3ELNS0_20block_scan_algorithmE0ELj4294967295EEENS1_25partition_config_selectorILNS1_17partition_subalgoE4EjNS0_10empty_typeEbEEZZNS1_14partition_implILS8_4ELb0ES6_15HIP_vector_typeIjLj2EENS0_17counting_iteratorIjlEEPS9_SG_NS0_5tupleIJPjSI_NS0_16reverse_iteratorISI_EEEEENSH_IJSG_SG_SG_EEES9_SI_JZNS1_25segmented_radix_sort_implINS0_14default_configELb1EPKfPfPKlPlN2at6native12_GLOBAL__N_18offset_tEEE10hipError_tPvRmT1_PNSt15iterator_traitsIS12_E10value_typeET2_T3_PNS13_IS18_E10value_typeET4_jRbjT5_S1E_jjP12ihipStream_tbEUljE_ZNSN_ISO_Lb1ESQ_SR_ST_SU_SY_EESZ_S10_S11_S12_S16_S17_S18_S1B_S1C_jS1D_jS1E_S1E_jjS1G_bEUljE0_EEESZ_S10_S11_S18_S1C_S1E_T6_T7_T9_mT8_S1G_bDpT10_ENKUlT_T0_E_clISt17integral_constantIbLb0EES1T_IbLb1EEEEDaS1P_S1Q_EUlS1P_E_NS1_11comp_targetILNS1_3genE0ELNS1_11target_archE4294967295ELNS1_3gpuE0ELNS1_3repE0EEENS1_30default_config_static_selectorELNS0_4arch9wavefront6targetE1EEEvS12_,"axG",@progbits,_ZN7rocprim17ROCPRIM_400000_NS6detail17trampoline_kernelINS0_13select_configILj256ELj13ELNS0_17block_load_methodE3ELS4_3ELS4_3ELNS0_20block_scan_algorithmE0ELj4294967295EEENS1_25partition_config_selectorILNS1_17partition_subalgoE4EjNS0_10empty_typeEbEEZZNS1_14partition_implILS8_4ELb0ES6_15HIP_vector_typeIjLj2EENS0_17counting_iteratorIjlEEPS9_SG_NS0_5tupleIJPjSI_NS0_16reverse_iteratorISI_EEEEENSH_IJSG_SG_SG_EEES9_SI_JZNS1_25segmented_radix_sort_implINS0_14default_configELb1EPKfPfPKlPlN2at6native12_GLOBAL__N_18offset_tEEE10hipError_tPvRmT1_PNSt15iterator_traitsIS12_E10value_typeET2_T3_PNS13_IS18_E10value_typeET4_jRbjT5_S1E_jjP12ihipStream_tbEUljE_ZNSN_ISO_Lb1ESQ_SR_ST_SU_SY_EESZ_S10_S11_S12_S16_S17_S18_S1B_S1C_jS1D_jS1E_S1E_jjS1G_bEUljE0_EEESZ_S10_S11_S18_S1C_S1E_T6_T7_T9_mT8_S1G_bDpT10_ENKUlT_T0_E_clISt17integral_constantIbLb0EES1T_IbLb1EEEEDaS1P_S1Q_EUlS1P_E_NS1_11comp_targetILNS1_3genE0ELNS1_11target_archE4294967295ELNS1_3gpuE0ELNS1_3repE0EEENS1_30default_config_static_selectorELNS0_4arch9wavefront6targetE1EEEvS12_,comdat
.Lfunc_end1285:
	.size	_ZN7rocprim17ROCPRIM_400000_NS6detail17trampoline_kernelINS0_13select_configILj256ELj13ELNS0_17block_load_methodE3ELS4_3ELS4_3ELNS0_20block_scan_algorithmE0ELj4294967295EEENS1_25partition_config_selectorILNS1_17partition_subalgoE4EjNS0_10empty_typeEbEEZZNS1_14partition_implILS8_4ELb0ES6_15HIP_vector_typeIjLj2EENS0_17counting_iteratorIjlEEPS9_SG_NS0_5tupleIJPjSI_NS0_16reverse_iteratorISI_EEEEENSH_IJSG_SG_SG_EEES9_SI_JZNS1_25segmented_radix_sort_implINS0_14default_configELb1EPKfPfPKlPlN2at6native12_GLOBAL__N_18offset_tEEE10hipError_tPvRmT1_PNSt15iterator_traitsIS12_E10value_typeET2_T3_PNS13_IS18_E10value_typeET4_jRbjT5_S1E_jjP12ihipStream_tbEUljE_ZNSN_ISO_Lb1ESQ_SR_ST_SU_SY_EESZ_S10_S11_S12_S16_S17_S18_S1B_S1C_jS1D_jS1E_S1E_jjS1G_bEUljE0_EEESZ_S10_S11_S18_S1C_S1E_T6_T7_T9_mT8_S1G_bDpT10_ENKUlT_T0_E_clISt17integral_constantIbLb0EES1T_IbLb1EEEEDaS1P_S1Q_EUlS1P_E_NS1_11comp_targetILNS1_3genE0ELNS1_11target_archE4294967295ELNS1_3gpuE0ELNS1_3repE0EEENS1_30default_config_static_selectorELNS0_4arch9wavefront6targetE1EEEvS12_, .Lfunc_end1285-_ZN7rocprim17ROCPRIM_400000_NS6detail17trampoline_kernelINS0_13select_configILj256ELj13ELNS0_17block_load_methodE3ELS4_3ELS4_3ELNS0_20block_scan_algorithmE0ELj4294967295EEENS1_25partition_config_selectorILNS1_17partition_subalgoE4EjNS0_10empty_typeEbEEZZNS1_14partition_implILS8_4ELb0ES6_15HIP_vector_typeIjLj2EENS0_17counting_iteratorIjlEEPS9_SG_NS0_5tupleIJPjSI_NS0_16reverse_iteratorISI_EEEEENSH_IJSG_SG_SG_EEES9_SI_JZNS1_25segmented_radix_sort_implINS0_14default_configELb1EPKfPfPKlPlN2at6native12_GLOBAL__N_18offset_tEEE10hipError_tPvRmT1_PNSt15iterator_traitsIS12_E10value_typeET2_T3_PNS13_IS18_E10value_typeET4_jRbjT5_S1E_jjP12ihipStream_tbEUljE_ZNSN_ISO_Lb1ESQ_SR_ST_SU_SY_EESZ_S10_S11_S12_S16_S17_S18_S1B_S1C_jS1D_jS1E_S1E_jjS1G_bEUljE0_EEESZ_S10_S11_S18_S1C_S1E_T6_T7_T9_mT8_S1G_bDpT10_ENKUlT_T0_E_clISt17integral_constantIbLb0EES1T_IbLb1EEEEDaS1P_S1Q_EUlS1P_E_NS1_11comp_targetILNS1_3genE0ELNS1_11target_archE4294967295ELNS1_3gpuE0ELNS1_3repE0EEENS1_30default_config_static_selectorELNS0_4arch9wavefront6targetE1EEEvS12_
                                        ; -- End function
	.set _ZN7rocprim17ROCPRIM_400000_NS6detail17trampoline_kernelINS0_13select_configILj256ELj13ELNS0_17block_load_methodE3ELS4_3ELS4_3ELNS0_20block_scan_algorithmE0ELj4294967295EEENS1_25partition_config_selectorILNS1_17partition_subalgoE4EjNS0_10empty_typeEbEEZZNS1_14partition_implILS8_4ELb0ES6_15HIP_vector_typeIjLj2EENS0_17counting_iteratorIjlEEPS9_SG_NS0_5tupleIJPjSI_NS0_16reverse_iteratorISI_EEEEENSH_IJSG_SG_SG_EEES9_SI_JZNS1_25segmented_radix_sort_implINS0_14default_configELb1EPKfPfPKlPlN2at6native12_GLOBAL__N_18offset_tEEE10hipError_tPvRmT1_PNSt15iterator_traitsIS12_E10value_typeET2_T3_PNS13_IS18_E10value_typeET4_jRbjT5_S1E_jjP12ihipStream_tbEUljE_ZNSN_ISO_Lb1ESQ_SR_ST_SU_SY_EESZ_S10_S11_S12_S16_S17_S18_S1B_S1C_jS1D_jS1E_S1E_jjS1G_bEUljE0_EEESZ_S10_S11_S18_S1C_S1E_T6_T7_T9_mT8_S1G_bDpT10_ENKUlT_T0_E_clISt17integral_constantIbLb0EES1T_IbLb1EEEEDaS1P_S1Q_EUlS1P_E_NS1_11comp_targetILNS1_3genE0ELNS1_11target_archE4294967295ELNS1_3gpuE0ELNS1_3repE0EEENS1_30default_config_static_selectorELNS0_4arch9wavefront6targetE1EEEvS12_.num_vgpr, 0
	.set _ZN7rocprim17ROCPRIM_400000_NS6detail17trampoline_kernelINS0_13select_configILj256ELj13ELNS0_17block_load_methodE3ELS4_3ELS4_3ELNS0_20block_scan_algorithmE0ELj4294967295EEENS1_25partition_config_selectorILNS1_17partition_subalgoE4EjNS0_10empty_typeEbEEZZNS1_14partition_implILS8_4ELb0ES6_15HIP_vector_typeIjLj2EENS0_17counting_iteratorIjlEEPS9_SG_NS0_5tupleIJPjSI_NS0_16reverse_iteratorISI_EEEEENSH_IJSG_SG_SG_EEES9_SI_JZNS1_25segmented_radix_sort_implINS0_14default_configELb1EPKfPfPKlPlN2at6native12_GLOBAL__N_18offset_tEEE10hipError_tPvRmT1_PNSt15iterator_traitsIS12_E10value_typeET2_T3_PNS13_IS18_E10value_typeET4_jRbjT5_S1E_jjP12ihipStream_tbEUljE_ZNSN_ISO_Lb1ESQ_SR_ST_SU_SY_EESZ_S10_S11_S12_S16_S17_S18_S1B_S1C_jS1D_jS1E_S1E_jjS1G_bEUljE0_EEESZ_S10_S11_S18_S1C_S1E_T6_T7_T9_mT8_S1G_bDpT10_ENKUlT_T0_E_clISt17integral_constantIbLb0EES1T_IbLb1EEEEDaS1P_S1Q_EUlS1P_E_NS1_11comp_targetILNS1_3genE0ELNS1_11target_archE4294967295ELNS1_3gpuE0ELNS1_3repE0EEENS1_30default_config_static_selectorELNS0_4arch9wavefront6targetE1EEEvS12_.num_agpr, 0
	.set _ZN7rocprim17ROCPRIM_400000_NS6detail17trampoline_kernelINS0_13select_configILj256ELj13ELNS0_17block_load_methodE3ELS4_3ELS4_3ELNS0_20block_scan_algorithmE0ELj4294967295EEENS1_25partition_config_selectorILNS1_17partition_subalgoE4EjNS0_10empty_typeEbEEZZNS1_14partition_implILS8_4ELb0ES6_15HIP_vector_typeIjLj2EENS0_17counting_iteratorIjlEEPS9_SG_NS0_5tupleIJPjSI_NS0_16reverse_iteratorISI_EEEEENSH_IJSG_SG_SG_EEES9_SI_JZNS1_25segmented_radix_sort_implINS0_14default_configELb1EPKfPfPKlPlN2at6native12_GLOBAL__N_18offset_tEEE10hipError_tPvRmT1_PNSt15iterator_traitsIS12_E10value_typeET2_T3_PNS13_IS18_E10value_typeET4_jRbjT5_S1E_jjP12ihipStream_tbEUljE_ZNSN_ISO_Lb1ESQ_SR_ST_SU_SY_EESZ_S10_S11_S12_S16_S17_S18_S1B_S1C_jS1D_jS1E_S1E_jjS1G_bEUljE0_EEESZ_S10_S11_S18_S1C_S1E_T6_T7_T9_mT8_S1G_bDpT10_ENKUlT_T0_E_clISt17integral_constantIbLb0EES1T_IbLb1EEEEDaS1P_S1Q_EUlS1P_E_NS1_11comp_targetILNS1_3genE0ELNS1_11target_archE4294967295ELNS1_3gpuE0ELNS1_3repE0EEENS1_30default_config_static_selectorELNS0_4arch9wavefront6targetE1EEEvS12_.numbered_sgpr, 0
	.set _ZN7rocprim17ROCPRIM_400000_NS6detail17trampoline_kernelINS0_13select_configILj256ELj13ELNS0_17block_load_methodE3ELS4_3ELS4_3ELNS0_20block_scan_algorithmE0ELj4294967295EEENS1_25partition_config_selectorILNS1_17partition_subalgoE4EjNS0_10empty_typeEbEEZZNS1_14partition_implILS8_4ELb0ES6_15HIP_vector_typeIjLj2EENS0_17counting_iteratorIjlEEPS9_SG_NS0_5tupleIJPjSI_NS0_16reverse_iteratorISI_EEEEENSH_IJSG_SG_SG_EEES9_SI_JZNS1_25segmented_radix_sort_implINS0_14default_configELb1EPKfPfPKlPlN2at6native12_GLOBAL__N_18offset_tEEE10hipError_tPvRmT1_PNSt15iterator_traitsIS12_E10value_typeET2_T3_PNS13_IS18_E10value_typeET4_jRbjT5_S1E_jjP12ihipStream_tbEUljE_ZNSN_ISO_Lb1ESQ_SR_ST_SU_SY_EESZ_S10_S11_S12_S16_S17_S18_S1B_S1C_jS1D_jS1E_S1E_jjS1G_bEUljE0_EEESZ_S10_S11_S18_S1C_S1E_T6_T7_T9_mT8_S1G_bDpT10_ENKUlT_T0_E_clISt17integral_constantIbLb0EES1T_IbLb1EEEEDaS1P_S1Q_EUlS1P_E_NS1_11comp_targetILNS1_3genE0ELNS1_11target_archE4294967295ELNS1_3gpuE0ELNS1_3repE0EEENS1_30default_config_static_selectorELNS0_4arch9wavefront6targetE1EEEvS12_.num_named_barrier, 0
	.set _ZN7rocprim17ROCPRIM_400000_NS6detail17trampoline_kernelINS0_13select_configILj256ELj13ELNS0_17block_load_methodE3ELS4_3ELS4_3ELNS0_20block_scan_algorithmE0ELj4294967295EEENS1_25partition_config_selectorILNS1_17partition_subalgoE4EjNS0_10empty_typeEbEEZZNS1_14partition_implILS8_4ELb0ES6_15HIP_vector_typeIjLj2EENS0_17counting_iteratorIjlEEPS9_SG_NS0_5tupleIJPjSI_NS0_16reverse_iteratorISI_EEEEENSH_IJSG_SG_SG_EEES9_SI_JZNS1_25segmented_radix_sort_implINS0_14default_configELb1EPKfPfPKlPlN2at6native12_GLOBAL__N_18offset_tEEE10hipError_tPvRmT1_PNSt15iterator_traitsIS12_E10value_typeET2_T3_PNS13_IS18_E10value_typeET4_jRbjT5_S1E_jjP12ihipStream_tbEUljE_ZNSN_ISO_Lb1ESQ_SR_ST_SU_SY_EESZ_S10_S11_S12_S16_S17_S18_S1B_S1C_jS1D_jS1E_S1E_jjS1G_bEUljE0_EEESZ_S10_S11_S18_S1C_S1E_T6_T7_T9_mT8_S1G_bDpT10_ENKUlT_T0_E_clISt17integral_constantIbLb0EES1T_IbLb1EEEEDaS1P_S1Q_EUlS1P_E_NS1_11comp_targetILNS1_3genE0ELNS1_11target_archE4294967295ELNS1_3gpuE0ELNS1_3repE0EEENS1_30default_config_static_selectorELNS0_4arch9wavefront6targetE1EEEvS12_.private_seg_size, 0
	.set _ZN7rocprim17ROCPRIM_400000_NS6detail17trampoline_kernelINS0_13select_configILj256ELj13ELNS0_17block_load_methodE3ELS4_3ELS4_3ELNS0_20block_scan_algorithmE0ELj4294967295EEENS1_25partition_config_selectorILNS1_17partition_subalgoE4EjNS0_10empty_typeEbEEZZNS1_14partition_implILS8_4ELb0ES6_15HIP_vector_typeIjLj2EENS0_17counting_iteratorIjlEEPS9_SG_NS0_5tupleIJPjSI_NS0_16reverse_iteratorISI_EEEEENSH_IJSG_SG_SG_EEES9_SI_JZNS1_25segmented_radix_sort_implINS0_14default_configELb1EPKfPfPKlPlN2at6native12_GLOBAL__N_18offset_tEEE10hipError_tPvRmT1_PNSt15iterator_traitsIS12_E10value_typeET2_T3_PNS13_IS18_E10value_typeET4_jRbjT5_S1E_jjP12ihipStream_tbEUljE_ZNSN_ISO_Lb1ESQ_SR_ST_SU_SY_EESZ_S10_S11_S12_S16_S17_S18_S1B_S1C_jS1D_jS1E_S1E_jjS1G_bEUljE0_EEESZ_S10_S11_S18_S1C_S1E_T6_T7_T9_mT8_S1G_bDpT10_ENKUlT_T0_E_clISt17integral_constantIbLb0EES1T_IbLb1EEEEDaS1P_S1Q_EUlS1P_E_NS1_11comp_targetILNS1_3genE0ELNS1_11target_archE4294967295ELNS1_3gpuE0ELNS1_3repE0EEENS1_30default_config_static_selectorELNS0_4arch9wavefront6targetE1EEEvS12_.uses_vcc, 0
	.set _ZN7rocprim17ROCPRIM_400000_NS6detail17trampoline_kernelINS0_13select_configILj256ELj13ELNS0_17block_load_methodE3ELS4_3ELS4_3ELNS0_20block_scan_algorithmE0ELj4294967295EEENS1_25partition_config_selectorILNS1_17partition_subalgoE4EjNS0_10empty_typeEbEEZZNS1_14partition_implILS8_4ELb0ES6_15HIP_vector_typeIjLj2EENS0_17counting_iteratorIjlEEPS9_SG_NS0_5tupleIJPjSI_NS0_16reverse_iteratorISI_EEEEENSH_IJSG_SG_SG_EEES9_SI_JZNS1_25segmented_radix_sort_implINS0_14default_configELb1EPKfPfPKlPlN2at6native12_GLOBAL__N_18offset_tEEE10hipError_tPvRmT1_PNSt15iterator_traitsIS12_E10value_typeET2_T3_PNS13_IS18_E10value_typeET4_jRbjT5_S1E_jjP12ihipStream_tbEUljE_ZNSN_ISO_Lb1ESQ_SR_ST_SU_SY_EESZ_S10_S11_S12_S16_S17_S18_S1B_S1C_jS1D_jS1E_S1E_jjS1G_bEUljE0_EEESZ_S10_S11_S18_S1C_S1E_T6_T7_T9_mT8_S1G_bDpT10_ENKUlT_T0_E_clISt17integral_constantIbLb0EES1T_IbLb1EEEEDaS1P_S1Q_EUlS1P_E_NS1_11comp_targetILNS1_3genE0ELNS1_11target_archE4294967295ELNS1_3gpuE0ELNS1_3repE0EEENS1_30default_config_static_selectorELNS0_4arch9wavefront6targetE1EEEvS12_.uses_flat_scratch, 0
	.set _ZN7rocprim17ROCPRIM_400000_NS6detail17trampoline_kernelINS0_13select_configILj256ELj13ELNS0_17block_load_methodE3ELS4_3ELS4_3ELNS0_20block_scan_algorithmE0ELj4294967295EEENS1_25partition_config_selectorILNS1_17partition_subalgoE4EjNS0_10empty_typeEbEEZZNS1_14partition_implILS8_4ELb0ES6_15HIP_vector_typeIjLj2EENS0_17counting_iteratorIjlEEPS9_SG_NS0_5tupleIJPjSI_NS0_16reverse_iteratorISI_EEEEENSH_IJSG_SG_SG_EEES9_SI_JZNS1_25segmented_radix_sort_implINS0_14default_configELb1EPKfPfPKlPlN2at6native12_GLOBAL__N_18offset_tEEE10hipError_tPvRmT1_PNSt15iterator_traitsIS12_E10value_typeET2_T3_PNS13_IS18_E10value_typeET4_jRbjT5_S1E_jjP12ihipStream_tbEUljE_ZNSN_ISO_Lb1ESQ_SR_ST_SU_SY_EESZ_S10_S11_S12_S16_S17_S18_S1B_S1C_jS1D_jS1E_S1E_jjS1G_bEUljE0_EEESZ_S10_S11_S18_S1C_S1E_T6_T7_T9_mT8_S1G_bDpT10_ENKUlT_T0_E_clISt17integral_constantIbLb0EES1T_IbLb1EEEEDaS1P_S1Q_EUlS1P_E_NS1_11comp_targetILNS1_3genE0ELNS1_11target_archE4294967295ELNS1_3gpuE0ELNS1_3repE0EEENS1_30default_config_static_selectorELNS0_4arch9wavefront6targetE1EEEvS12_.has_dyn_sized_stack, 0
	.set _ZN7rocprim17ROCPRIM_400000_NS6detail17trampoline_kernelINS0_13select_configILj256ELj13ELNS0_17block_load_methodE3ELS4_3ELS4_3ELNS0_20block_scan_algorithmE0ELj4294967295EEENS1_25partition_config_selectorILNS1_17partition_subalgoE4EjNS0_10empty_typeEbEEZZNS1_14partition_implILS8_4ELb0ES6_15HIP_vector_typeIjLj2EENS0_17counting_iteratorIjlEEPS9_SG_NS0_5tupleIJPjSI_NS0_16reverse_iteratorISI_EEEEENSH_IJSG_SG_SG_EEES9_SI_JZNS1_25segmented_radix_sort_implINS0_14default_configELb1EPKfPfPKlPlN2at6native12_GLOBAL__N_18offset_tEEE10hipError_tPvRmT1_PNSt15iterator_traitsIS12_E10value_typeET2_T3_PNS13_IS18_E10value_typeET4_jRbjT5_S1E_jjP12ihipStream_tbEUljE_ZNSN_ISO_Lb1ESQ_SR_ST_SU_SY_EESZ_S10_S11_S12_S16_S17_S18_S1B_S1C_jS1D_jS1E_S1E_jjS1G_bEUljE0_EEESZ_S10_S11_S18_S1C_S1E_T6_T7_T9_mT8_S1G_bDpT10_ENKUlT_T0_E_clISt17integral_constantIbLb0EES1T_IbLb1EEEEDaS1P_S1Q_EUlS1P_E_NS1_11comp_targetILNS1_3genE0ELNS1_11target_archE4294967295ELNS1_3gpuE0ELNS1_3repE0EEENS1_30default_config_static_selectorELNS0_4arch9wavefront6targetE1EEEvS12_.has_recursion, 0
	.set _ZN7rocprim17ROCPRIM_400000_NS6detail17trampoline_kernelINS0_13select_configILj256ELj13ELNS0_17block_load_methodE3ELS4_3ELS4_3ELNS0_20block_scan_algorithmE0ELj4294967295EEENS1_25partition_config_selectorILNS1_17partition_subalgoE4EjNS0_10empty_typeEbEEZZNS1_14partition_implILS8_4ELb0ES6_15HIP_vector_typeIjLj2EENS0_17counting_iteratorIjlEEPS9_SG_NS0_5tupleIJPjSI_NS0_16reverse_iteratorISI_EEEEENSH_IJSG_SG_SG_EEES9_SI_JZNS1_25segmented_radix_sort_implINS0_14default_configELb1EPKfPfPKlPlN2at6native12_GLOBAL__N_18offset_tEEE10hipError_tPvRmT1_PNSt15iterator_traitsIS12_E10value_typeET2_T3_PNS13_IS18_E10value_typeET4_jRbjT5_S1E_jjP12ihipStream_tbEUljE_ZNSN_ISO_Lb1ESQ_SR_ST_SU_SY_EESZ_S10_S11_S12_S16_S17_S18_S1B_S1C_jS1D_jS1E_S1E_jjS1G_bEUljE0_EEESZ_S10_S11_S18_S1C_S1E_T6_T7_T9_mT8_S1G_bDpT10_ENKUlT_T0_E_clISt17integral_constantIbLb0EES1T_IbLb1EEEEDaS1P_S1Q_EUlS1P_E_NS1_11comp_targetILNS1_3genE0ELNS1_11target_archE4294967295ELNS1_3gpuE0ELNS1_3repE0EEENS1_30default_config_static_selectorELNS0_4arch9wavefront6targetE1EEEvS12_.has_indirect_call, 0
	.section	.AMDGPU.csdata,"",@progbits
; Kernel info:
; codeLenInByte = 0
; TotalNumSgprs: 4
; NumVgprs: 0
; ScratchSize: 0
; MemoryBound: 0
; FloatMode: 240
; IeeeMode: 1
; LDSByteSize: 0 bytes/workgroup (compile time only)
; SGPRBlocks: 0
; VGPRBlocks: 0
; NumSGPRsForWavesPerEU: 4
; NumVGPRsForWavesPerEU: 1
; Occupancy: 10
; WaveLimiterHint : 0
; COMPUTE_PGM_RSRC2:SCRATCH_EN: 0
; COMPUTE_PGM_RSRC2:USER_SGPR: 6
; COMPUTE_PGM_RSRC2:TRAP_HANDLER: 0
; COMPUTE_PGM_RSRC2:TGID_X_EN: 1
; COMPUTE_PGM_RSRC2:TGID_Y_EN: 0
; COMPUTE_PGM_RSRC2:TGID_Z_EN: 0
; COMPUTE_PGM_RSRC2:TIDIG_COMP_CNT: 0
	.section	.text._ZN7rocprim17ROCPRIM_400000_NS6detail17trampoline_kernelINS0_13select_configILj256ELj13ELNS0_17block_load_methodE3ELS4_3ELS4_3ELNS0_20block_scan_algorithmE0ELj4294967295EEENS1_25partition_config_selectorILNS1_17partition_subalgoE4EjNS0_10empty_typeEbEEZZNS1_14partition_implILS8_4ELb0ES6_15HIP_vector_typeIjLj2EENS0_17counting_iteratorIjlEEPS9_SG_NS0_5tupleIJPjSI_NS0_16reverse_iteratorISI_EEEEENSH_IJSG_SG_SG_EEES9_SI_JZNS1_25segmented_radix_sort_implINS0_14default_configELb1EPKfPfPKlPlN2at6native12_GLOBAL__N_18offset_tEEE10hipError_tPvRmT1_PNSt15iterator_traitsIS12_E10value_typeET2_T3_PNS13_IS18_E10value_typeET4_jRbjT5_S1E_jjP12ihipStream_tbEUljE_ZNSN_ISO_Lb1ESQ_SR_ST_SU_SY_EESZ_S10_S11_S12_S16_S17_S18_S1B_S1C_jS1D_jS1E_S1E_jjS1G_bEUljE0_EEESZ_S10_S11_S18_S1C_S1E_T6_T7_T9_mT8_S1G_bDpT10_ENKUlT_T0_E_clISt17integral_constantIbLb0EES1T_IbLb1EEEEDaS1P_S1Q_EUlS1P_E_NS1_11comp_targetILNS1_3genE5ELNS1_11target_archE942ELNS1_3gpuE9ELNS1_3repE0EEENS1_30default_config_static_selectorELNS0_4arch9wavefront6targetE1EEEvS12_,"axG",@progbits,_ZN7rocprim17ROCPRIM_400000_NS6detail17trampoline_kernelINS0_13select_configILj256ELj13ELNS0_17block_load_methodE3ELS4_3ELS4_3ELNS0_20block_scan_algorithmE0ELj4294967295EEENS1_25partition_config_selectorILNS1_17partition_subalgoE4EjNS0_10empty_typeEbEEZZNS1_14partition_implILS8_4ELb0ES6_15HIP_vector_typeIjLj2EENS0_17counting_iteratorIjlEEPS9_SG_NS0_5tupleIJPjSI_NS0_16reverse_iteratorISI_EEEEENSH_IJSG_SG_SG_EEES9_SI_JZNS1_25segmented_radix_sort_implINS0_14default_configELb1EPKfPfPKlPlN2at6native12_GLOBAL__N_18offset_tEEE10hipError_tPvRmT1_PNSt15iterator_traitsIS12_E10value_typeET2_T3_PNS13_IS18_E10value_typeET4_jRbjT5_S1E_jjP12ihipStream_tbEUljE_ZNSN_ISO_Lb1ESQ_SR_ST_SU_SY_EESZ_S10_S11_S12_S16_S17_S18_S1B_S1C_jS1D_jS1E_S1E_jjS1G_bEUljE0_EEESZ_S10_S11_S18_S1C_S1E_T6_T7_T9_mT8_S1G_bDpT10_ENKUlT_T0_E_clISt17integral_constantIbLb0EES1T_IbLb1EEEEDaS1P_S1Q_EUlS1P_E_NS1_11comp_targetILNS1_3genE5ELNS1_11target_archE942ELNS1_3gpuE9ELNS1_3repE0EEENS1_30default_config_static_selectorELNS0_4arch9wavefront6targetE1EEEvS12_,comdat
	.globl	_ZN7rocprim17ROCPRIM_400000_NS6detail17trampoline_kernelINS0_13select_configILj256ELj13ELNS0_17block_load_methodE3ELS4_3ELS4_3ELNS0_20block_scan_algorithmE0ELj4294967295EEENS1_25partition_config_selectorILNS1_17partition_subalgoE4EjNS0_10empty_typeEbEEZZNS1_14partition_implILS8_4ELb0ES6_15HIP_vector_typeIjLj2EENS0_17counting_iteratorIjlEEPS9_SG_NS0_5tupleIJPjSI_NS0_16reverse_iteratorISI_EEEEENSH_IJSG_SG_SG_EEES9_SI_JZNS1_25segmented_radix_sort_implINS0_14default_configELb1EPKfPfPKlPlN2at6native12_GLOBAL__N_18offset_tEEE10hipError_tPvRmT1_PNSt15iterator_traitsIS12_E10value_typeET2_T3_PNS13_IS18_E10value_typeET4_jRbjT5_S1E_jjP12ihipStream_tbEUljE_ZNSN_ISO_Lb1ESQ_SR_ST_SU_SY_EESZ_S10_S11_S12_S16_S17_S18_S1B_S1C_jS1D_jS1E_S1E_jjS1G_bEUljE0_EEESZ_S10_S11_S18_S1C_S1E_T6_T7_T9_mT8_S1G_bDpT10_ENKUlT_T0_E_clISt17integral_constantIbLb0EES1T_IbLb1EEEEDaS1P_S1Q_EUlS1P_E_NS1_11comp_targetILNS1_3genE5ELNS1_11target_archE942ELNS1_3gpuE9ELNS1_3repE0EEENS1_30default_config_static_selectorELNS0_4arch9wavefront6targetE1EEEvS12_ ; -- Begin function _ZN7rocprim17ROCPRIM_400000_NS6detail17trampoline_kernelINS0_13select_configILj256ELj13ELNS0_17block_load_methodE3ELS4_3ELS4_3ELNS0_20block_scan_algorithmE0ELj4294967295EEENS1_25partition_config_selectorILNS1_17partition_subalgoE4EjNS0_10empty_typeEbEEZZNS1_14partition_implILS8_4ELb0ES6_15HIP_vector_typeIjLj2EENS0_17counting_iteratorIjlEEPS9_SG_NS0_5tupleIJPjSI_NS0_16reverse_iteratorISI_EEEEENSH_IJSG_SG_SG_EEES9_SI_JZNS1_25segmented_radix_sort_implINS0_14default_configELb1EPKfPfPKlPlN2at6native12_GLOBAL__N_18offset_tEEE10hipError_tPvRmT1_PNSt15iterator_traitsIS12_E10value_typeET2_T3_PNS13_IS18_E10value_typeET4_jRbjT5_S1E_jjP12ihipStream_tbEUljE_ZNSN_ISO_Lb1ESQ_SR_ST_SU_SY_EESZ_S10_S11_S12_S16_S17_S18_S1B_S1C_jS1D_jS1E_S1E_jjS1G_bEUljE0_EEESZ_S10_S11_S18_S1C_S1E_T6_T7_T9_mT8_S1G_bDpT10_ENKUlT_T0_E_clISt17integral_constantIbLb0EES1T_IbLb1EEEEDaS1P_S1Q_EUlS1P_E_NS1_11comp_targetILNS1_3genE5ELNS1_11target_archE942ELNS1_3gpuE9ELNS1_3repE0EEENS1_30default_config_static_selectorELNS0_4arch9wavefront6targetE1EEEvS12_
	.p2align	8
	.type	_ZN7rocprim17ROCPRIM_400000_NS6detail17trampoline_kernelINS0_13select_configILj256ELj13ELNS0_17block_load_methodE3ELS4_3ELS4_3ELNS0_20block_scan_algorithmE0ELj4294967295EEENS1_25partition_config_selectorILNS1_17partition_subalgoE4EjNS0_10empty_typeEbEEZZNS1_14partition_implILS8_4ELb0ES6_15HIP_vector_typeIjLj2EENS0_17counting_iteratorIjlEEPS9_SG_NS0_5tupleIJPjSI_NS0_16reverse_iteratorISI_EEEEENSH_IJSG_SG_SG_EEES9_SI_JZNS1_25segmented_radix_sort_implINS0_14default_configELb1EPKfPfPKlPlN2at6native12_GLOBAL__N_18offset_tEEE10hipError_tPvRmT1_PNSt15iterator_traitsIS12_E10value_typeET2_T3_PNS13_IS18_E10value_typeET4_jRbjT5_S1E_jjP12ihipStream_tbEUljE_ZNSN_ISO_Lb1ESQ_SR_ST_SU_SY_EESZ_S10_S11_S12_S16_S17_S18_S1B_S1C_jS1D_jS1E_S1E_jjS1G_bEUljE0_EEESZ_S10_S11_S18_S1C_S1E_T6_T7_T9_mT8_S1G_bDpT10_ENKUlT_T0_E_clISt17integral_constantIbLb0EES1T_IbLb1EEEEDaS1P_S1Q_EUlS1P_E_NS1_11comp_targetILNS1_3genE5ELNS1_11target_archE942ELNS1_3gpuE9ELNS1_3repE0EEENS1_30default_config_static_selectorELNS0_4arch9wavefront6targetE1EEEvS12_,@function
_ZN7rocprim17ROCPRIM_400000_NS6detail17trampoline_kernelINS0_13select_configILj256ELj13ELNS0_17block_load_methodE3ELS4_3ELS4_3ELNS0_20block_scan_algorithmE0ELj4294967295EEENS1_25partition_config_selectorILNS1_17partition_subalgoE4EjNS0_10empty_typeEbEEZZNS1_14partition_implILS8_4ELb0ES6_15HIP_vector_typeIjLj2EENS0_17counting_iteratorIjlEEPS9_SG_NS0_5tupleIJPjSI_NS0_16reverse_iteratorISI_EEEEENSH_IJSG_SG_SG_EEES9_SI_JZNS1_25segmented_radix_sort_implINS0_14default_configELb1EPKfPfPKlPlN2at6native12_GLOBAL__N_18offset_tEEE10hipError_tPvRmT1_PNSt15iterator_traitsIS12_E10value_typeET2_T3_PNS13_IS18_E10value_typeET4_jRbjT5_S1E_jjP12ihipStream_tbEUljE_ZNSN_ISO_Lb1ESQ_SR_ST_SU_SY_EESZ_S10_S11_S12_S16_S17_S18_S1B_S1C_jS1D_jS1E_S1E_jjS1G_bEUljE0_EEESZ_S10_S11_S18_S1C_S1E_T6_T7_T9_mT8_S1G_bDpT10_ENKUlT_T0_E_clISt17integral_constantIbLb0EES1T_IbLb1EEEEDaS1P_S1Q_EUlS1P_E_NS1_11comp_targetILNS1_3genE5ELNS1_11target_archE942ELNS1_3gpuE9ELNS1_3repE0EEENS1_30default_config_static_selectorELNS0_4arch9wavefront6targetE1EEEvS12_: ; @_ZN7rocprim17ROCPRIM_400000_NS6detail17trampoline_kernelINS0_13select_configILj256ELj13ELNS0_17block_load_methodE3ELS4_3ELS4_3ELNS0_20block_scan_algorithmE0ELj4294967295EEENS1_25partition_config_selectorILNS1_17partition_subalgoE4EjNS0_10empty_typeEbEEZZNS1_14partition_implILS8_4ELb0ES6_15HIP_vector_typeIjLj2EENS0_17counting_iteratorIjlEEPS9_SG_NS0_5tupleIJPjSI_NS0_16reverse_iteratorISI_EEEEENSH_IJSG_SG_SG_EEES9_SI_JZNS1_25segmented_radix_sort_implINS0_14default_configELb1EPKfPfPKlPlN2at6native12_GLOBAL__N_18offset_tEEE10hipError_tPvRmT1_PNSt15iterator_traitsIS12_E10value_typeET2_T3_PNS13_IS18_E10value_typeET4_jRbjT5_S1E_jjP12ihipStream_tbEUljE_ZNSN_ISO_Lb1ESQ_SR_ST_SU_SY_EESZ_S10_S11_S12_S16_S17_S18_S1B_S1C_jS1D_jS1E_S1E_jjS1G_bEUljE0_EEESZ_S10_S11_S18_S1C_S1E_T6_T7_T9_mT8_S1G_bDpT10_ENKUlT_T0_E_clISt17integral_constantIbLb0EES1T_IbLb1EEEEDaS1P_S1Q_EUlS1P_E_NS1_11comp_targetILNS1_3genE5ELNS1_11target_archE942ELNS1_3gpuE9ELNS1_3repE0EEENS1_30default_config_static_selectorELNS0_4arch9wavefront6targetE1EEEvS12_
; %bb.0:
	.section	.rodata,"a",@progbits
	.p2align	6, 0x0
	.amdhsa_kernel _ZN7rocprim17ROCPRIM_400000_NS6detail17trampoline_kernelINS0_13select_configILj256ELj13ELNS0_17block_load_methodE3ELS4_3ELS4_3ELNS0_20block_scan_algorithmE0ELj4294967295EEENS1_25partition_config_selectorILNS1_17partition_subalgoE4EjNS0_10empty_typeEbEEZZNS1_14partition_implILS8_4ELb0ES6_15HIP_vector_typeIjLj2EENS0_17counting_iteratorIjlEEPS9_SG_NS0_5tupleIJPjSI_NS0_16reverse_iteratorISI_EEEEENSH_IJSG_SG_SG_EEES9_SI_JZNS1_25segmented_radix_sort_implINS0_14default_configELb1EPKfPfPKlPlN2at6native12_GLOBAL__N_18offset_tEEE10hipError_tPvRmT1_PNSt15iterator_traitsIS12_E10value_typeET2_T3_PNS13_IS18_E10value_typeET4_jRbjT5_S1E_jjP12ihipStream_tbEUljE_ZNSN_ISO_Lb1ESQ_SR_ST_SU_SY_EESZ_S10_S11_S12_S16_S17_S18_S1B_S1C_jS1D_jS1E_S1E_jjS1G_bEUljE0_EEESZ_S10_S11_S18_S1C_S1E_T6_T7_T9_mT8_S1G_bDpT10_ENKUlT_T0_E_clISt17integral_constantIbLb0EES1T_IbLb1EEEEDaS1P_S1Q_EUlS1P_E_NS1_11comp_targetILNS1_3genE5ELNS1_11target_archE942ELNS1_3gpuE9ELNS1_3repE0EEENS1_30default_config_static_selectorELNS0_4arch9wavefront6targetE1EEEvS12_
		.amdhsa_group_segment_fixed_size 0
		.amdhsa_private_segment_fixed_size 0
		.amdhsa_kernarg_size 184
		.amdhsa_user_sgpr_count 6
		.amdhsa_user_sgpr_private_segment_buffer 1
		.amdhsa_user_sgpr_dispatch_ptr 0
		.amdhsa_user_sgpr_queue_ptr 0
		.amdhsa_user_sgpr_kernarg_segment_ptr 1
		.amdhsa_user_sgpr_dispatch_id 0
		.amdhsa_user_sgpr_flat_scratch_init 0
		.amdhsa_user_sgpr_private_segment_size 0
		.amdhsa_uses_dynamic_stack 0
		.amdhsa_system_sgpr_private_segment_wavefront_offset 0
		.amdhsa_system_sgpr_workgroup_id_x 1
		.amdhsa_system_sgpr_workgroup_id_y 0
		.amdhsa_system_sgpr_workgroup_id_z 0
		.amdhsa_system_sgpr_workgroup_info 0
		.amdhsa_system_vgpr_workitem_id 0
		.amdhsa_next_free_vgpr 1
		.amdhsa_next_free_sgpr 0
		.amdhsa_reserve_vcc 0
		.amdhsa_reserve_flat_scratch 0
		.amdhsa_float_round_mode_32 0
		.amdhsa_float_round_mode_16_64 0
		.amdhsa_float_denorm_mode_32 3
		.amdhsa_float_denorm_mode_16_64 3
		.amdhsa_dx10_clamp 1
		.amdhsa_ieee_mode 1
		.amdhsa_fp16_overflow 0
		.amdhsa_exception_fp_ieee_invalid_op 0
		.amdhsa_exception_fp_denorm_src 0
		.amdhsa_exception_fp_ieee_div_zero 0
		.amdhsa_exception_fp_ieee_overflow 0
		.amdhsa_exception_fp_ieee_underflow 0
		.amdhsa_exception_fp_ieee_inexact 0
		.amdhsa_exception_int_div_zero 0
	.end_amdhsa_kernel
	.section	.text._ZN7rocprim17ROCPRIM_400000_NS6detail17trampoline_kernelINS0_13select_configILj256ELj13ELNS0_17block_load_methodE3ELS4_3ELS4_3ELNS0_20block_scan_algorithmE0ELj4294967295EEENS1_25partition_config_selectorILNS1_17partition_subalgoE4EjNS0_10empty_typeEbEEZZNS1_14partition_implILS8_4ELb0ES6_15HIP_vector_typeIjLj2EENS0_17counting_iteratorIjlEEPS9_SG_NS0_5tupleIJPjSI_NS0_16reverse_iteratorISI_EEEEENSH_IJSG_SG_SG_EEES9_SI_JZNS1_25segmented_radix_sort_implINS0_14default_configELb1EPKfPfPKlPlN2at6native12_GLOBAL__N_18offset_tEEE10hipError_tPvRmT1_PNSt15iterator_traitsIS12_E10value_typeET2_T3_PNS13_IS18_E10value_typeET4_jRbjT5_S1E_jjP12ihipStream_tbEUljE_ZNSN_ISO_Lb1ESQ_SR_ST_SU_SY_EESZ_S10_S11_S12_S16_S17_S18_S1B_S1C_jS1D_jS1E_S1E_jjS1G_bEUljE0_EEESZ_S10_S11_S18_S1C_S1E_T6_T7_T9_mT8_S1G_bDpT10_ENKUlT_T0_E_clISt17integral_constantIbLb0EES1T_IbLb1EEEEDaS1P_S1Q_EUlS1P_E_NS1_11comp_targetILNS1_3genE5ELNS1_11target_archE942ELNS1_3gpuE9ELNS1_3repE0EEENS1_30default_config_static_selectorELNS0_4arch9wavefront6targetE1EEEvS12_,"axG",@progbits,_ZN7rocprim17ROCPRIM_400000_NS6detail17trampoline_kernelINS0_13select_configILj256ELj13ELNS0_17block_load_methodE3ELS4_3ELS4_3ELNS0_20block_scan_algorithmE0ELj4294967295EEENS1_25partition_config_selectorILNS1_17partition_subalgoE4EjNS0_10empty_typeEbEEZZNS1_14partition_implILS8_4ELb0ES6_15HIP_vector_typeIjLj2EENS0_17counting_iteratorIjlEEPS9_SG_NS0_5tupleIJPjSI_NS0_16reverse_iteratorISI_EEEEENSH_IJSG_SG_SG_EEES9_SI_JZNS1_25segmented_radix_sort_implINS0_14default_configELb1EPKfPfPKlPlN2at6native12_GLOBAL__N_18offset_tEEE10hipError_tPvRmT1_PNSt15iterator_traitsIS12_E10value_typeET2_T3_PNS13_IS18_E10value_typeET4_jRbjT5_S1E_jjP12ihipStream_tbEUljE_ZNSN_ISO_Lb1ESQ_SR_ST_SU_SY_EESZ_S10_S11_S12_S16_S17_S18_S1B_S1C_jS1D_jS1E_S1E_jjS1G_bEUljE0_EEESZ_S10_S11_S18_S1C_S1E_T6_T7_T9_mT8_S1G_bDpT10_ENKUlT_T0_E_clISt17integral_constantIbLb0EES1T_IbLb1EEEEDaS1P_S1Q_EUlS1P_E_NS1_11comp_targetILNS1_3genE5ELNS1_11target_archE942ELNS1_3gpuE9ELNS1_3repE0EEENS1_30default_config_static_selectorELNS0_4arch9wavefront6targetE1EEEvS12_,comdat
.Lfunc_end1286:
	.size	_ZN7rocprim17ROCPRIM_400000_NS6detail17trampoline_kernelINS0_13select_configILj256ELj13ELNS0_17block_load_methodE3ELS4_3ELS4_3ELNS0_20block_scan_algorithmE0ELj4294967295EEENS1_25partition_config_selectorILNS1_17partition_subalgoE4EjNS0_10empty_typeEbEEZZNS1_14partition_implILS8_4ELb0ES6_15HIP_vector_typeIjLj2EENS0_17counting_iteratorIjlEEPS9_SG_NS0_5tupleIJPjSI_NS0_16reverse_iteratorISI_EEEEENSH_IJSG_SG_SG_EEES9_SI_JZNS1_25segmented_radix_sort_implINS0_14default_configELb1EPKfPfPKlPlN2at6native12_GLOBAL__N_18offset_tEEE10hipError_tPvRmT1_PNSt15iterator_traitsIS12_E10value_typeET2_T3_PNS13_IS18_E10value_typeET4_jRbjT5_S1E_jjP12ihipStream_tbEUljE_ZNSN_ISO_Lb1ESQ_SR_ST_SU_SY_EESZ_S10_S11_S12_S16_S17_S18_S1B_S1C_jS1D_jS1E_S1E_jjS1G_bEUljE0_EEESZ_S10_S11_S18_S1C_S1E_T6_T7_T9_mT8_S1G_bDpT10_ENKUlT_T0_E_clISt17integral_constantIbLb0EES1T_IbLb1EEEEDaS1P_S1Q_EUlS1P_E_NS1_11comp_targetILNS1_3genE5ELNS1_11target_archE942ELNS1_3gpuE9ELNS1_3repE0EEENS1_30default_config_static_selectorELNS0_4arch9wavefront6targetE1EEEvS12_, .Lfunc_end1286-_ZN7rocprim17ROCPRIM_400000_NS6detail17trampoline_kernelINS0_13select_configILj256ELj13ELNS0_17block_load_methodE3ELS4_3ELS4_3ELNS0_20block_scan_algorithmE0ELj4294967295EEENS1_25partition_config_selectorILNS1_17partition_subalgoE4EjNS0_10empty_typeEbEEZZNS1_14partition_implILS8_4ELb0ES6_15HIP_vector_typeIjLj2EENS0_17counting_iteratorIjlEEPS9_SG_NS0_5tupleIJPjSI_NS0_16reverse_iteratorISI_EEEEENSH_IJSG_SG_SG_EEES9_SI_JZNS1_25segmented_radix_sort_implINS0_14default_configELb1EPKfPfPKlPlN2at6native12_GLOBAL__N_18offset_tEEE10hipError_tPvRmT1_PNSt15iterator_traitsIS12_E10value_typeET2_T3_PNS13_IS18_E10value_typeET4_jRbjT5_S1E_jjP12ihipStream_tbEUljE_ZNSN_ISO_Lb1ESQ_SR_ST_SU_SY_EESZ_S10_S11_S12_S16_S17_S18_S1B_S1C_jS1D_jS1E_S1E_jjS1G_bEUljE0_EEESZ_S10_S11_S18_S1C_S1E_T6_T7_T9_mT8_S1G_bDpT10_ENKUlT_T0_E_clISt17integral_constantIbLb0EES1T_IbLb1EEEEDaS1P_S1Q_EUlS1P_E_NS1_11comp_targetILNS1_3genE5ELNS1_11target_archE942ELNS1_3gpuE9ELNS1_3repE0EEENS1_30default_config_static_selectorELNS0_4arch9wavefront6targetE1EEEvS12_
                                        ; -- End function
	.set _ZN7rocprim17ROCPRIM_400000_NS6detail17trampoline_kernelINS0_13select_configILj256ELj13ELNS0_17block_load_methodE3ELS4_3ELS4_3ELNS0_20block_scan_algorithmE0ELj4294967295EEENS1_25partition_config_selectorILNS1_17partition_subalgoE4EjNS0_10empty_typeEbEEZZNS1_14partition_implILS8_4ELb0ES6_15HIP_vector_typeIjLj2EENS0_17counting_iteratorIjlEEPS9_SG_NS0_5tupleIJPjSI_NS0_16reverse_iteratorISI_EEEEENSH_IJSG_SG_SG_EEES9_SI_JZNS1_25segmented_radix_sort_implINS0_14default_configELb1EPKfPfPKlPlN2at6native12_GLOBAL__N_18offset_tEEE10hipError_tPvRmT1_PNSt15iterator_traitsIS12_E10value_typeET2_T3_PNS13_IS18_E10value_typeET4_jRbjT5_S1E_jjP12ihipStream_tbEUljE_ZNSN_ISO_Lb1ESQ_SR_ST_SU_SY_EESZ_S10_S11_S12_S16_S17_S18_S1B_S1C_jS1D_jS1E_S1E_jjS1G_bEUljE0_EEESZ_S10_S11_S18_S1C_S1E_T6_T7_T9_mT8_S1G_bDpT10_ENKUlT_T0_E_clISt17integral_constantIbLb0EES1T_IbLb1EEEEDaS1P_S1Q_EUlS1P_E_NS1_11comp_targetILNS1_3genE5ELNS1_11target_archE942ELNS1_3gpuE9ELNS1_3repE0EEENS1_30default_config_static_selectorELNS0_4arch9wavefront6targetE1EEEvS12_.num_vgpr, 0
	.set _ZN7rocprim17ROCPRIM_400000_NS6detail17trampoline_kernelINS0_13select_configILj256ELj13ELNS0_17block_load_methodE3ELS4_3ELS4_3ELNS0_20block_scan_algorithmE0ELj4294967295EEENS1_25partition_config_selectorILNS1_17partition_subalgoE4EjNS0_10empty_typeEbEEZZNS1_14partition_implILS8_4ELb0ES6_15HIP_vector_typeIjLj2EENS0_17counting_iteratorIjlEEPS9_SG_NS0_5tupleIJPjSI_NS0_16reverse_iteratorISI_EEEEENSH_IJSG_SG_SG_EEES9_SI_JZNS1_25segmented_radix_sort_implINS0_14default_configELb1EPKfPfPKlPlN2at6native12_GLOBAL__N_18offset_tEEE10hipError_tPvRmT1_PNSt15iterator_traitsIS12_E10value_typeET2_T3_PNS13_IS18_E10value_typeET4_jRbjT5_S1E_jjP12ihipStream_tbEUljE_ZNSN_ISO_Lb1ESQ_SR_ST_SU_SY_EESZ_S10_S11_S12_S16_S17_S18_S1B_S1C_jS1D_jS1E_S1E_jjS1G_bEUljE0_EEESZ_S10_S11_S18_S1C_S1E_T6_T7_T9_mT8_S1G_bDpT10_ENKUlT_T0_E_clISt17integral_constantIbLb0EES1T_IbLb1EEEEDaS1P_S1Q_EUlS1P_E_NS1_11comp_targetILNS1_3genE5ELNS1_11target_archE942ELNS1_3gpuE9ELNS1_3repE0EEENS1_30default_config_static_selectorELNS0_4arch9wavefront6targetE1EEEvS12_.num_agpr, 0
	.set _ZN7rocprim17ROCPRIM_400000_NS6detail17trampoline_kernelINS0_13select_configILj256ELj13ELNS0_17block_load_methodE3ELS4_3ELS4_3ELNS0_20block_scan_algorithmE0ELj4294967295EEENS1_25partition_config_selectorILNS1_17partition_subalgoE4EjNS0_10empty_typeEbEEZZNS1_14partition_implILS8_4ELb0ES6_15HIP_vector_typeIjLj2EENS0_17counting_iteratorIjlEEPS9_SG_NS0_5tupleIJPjSI_NS0_16reverse_iteratorISI_EEEEENSH_IJSG_SG_SG_EEES9_SI_JZNS1_25segmented_radix_sort_implINS0_14default_configELb1EPKfPfPKlPlN2at6native12_GLOBAL__N_18offset_tEEE10hipError_tPvRmT1_PNSt15iterator_traitsIS12_E10value_typeET2_T3_PNS13_IS18_E10value_typeET4_jRbjT5_S1E_jjP12ihipStream_tbEUljE_ZNSN_ISO_Lb1ESQ_SR_ST_SU_SY_EESZ_S10_S11_S12_S16_S17_S18_S1B_S1C_jS1D_jS1E_S1E_jjS1G_bEUljE0_EEESZ_S10_S11_S18_S1C_S1E_T6_T7_T9_mT8_S1G_bDpT10_ENKUlT_T0_E_clISt17integral_constantIbLb0EES1T_IbLb1EEEEDaS1P_S1Q_EUlS1P_E_NS1_11comp_targetILNS1_3genE5ELNS1_11target_archE942ELNS1_3gpuE9ELNS1_3repE0EEENS1_30default_config_static_selectorELNS0_4arch9wavefront6targetE1EEEvS12_.numbered_sgpr, 0
	.set _ZN7rocprim17ROCPRIM_400000_NS6detail17trampoline_kernelINS0_13select_configILj256ELj13ELNS0_17block_load_methodE3ELS4_3ELS4_3ELNS0_20block_scan_algorithmE0ELj4294967295EEENS1_25partition_config_selectorILNS1_17partition_subalgoE4EjNS0_10empty_typeEbEEZZNS1_14partition_implILS8_4ELb0ES6_15HIP_vector_typeIjLj2EENS0_17counting_iteratorIjlEEPS9_SG_NS0_5tupleIJPjSI_NS0_16reverse_iteratorISI_EEEEENSH_IJSG_SG_SG_EEES9_SI_JZNS1_25segmented_radix_sort_implINS0_14default_configELb1EPKfPfPKlPlN2at6native12_GLOBAL__N_18offset_tEEE10hipError_tPvRmT1_PNSt15iterator_traitsIS12_E10value_typeET2_T3_PNS13_IS18_E10value_typeET4_jRbjT5_S1E_jjP12ihipStream_tbEUljE_ZNSN_ISO_Lb1ESQ_SR_ST_SU_SY_EESZ_S10_S11_S12_S16_S17_S18_S1B_S1C_jS1D_jS1E_S1E_jjS1G_bEUljE0_EEESZ_S10_S11_S18_S1C_S1E_T6_T7_T9_mT8_S1G_bDpT10_ENKUlT_T0_E_clISt17integral_constantIbLb0EES1T_IbLb1EEEEDaS1P_S1Q_EUlS1P_E_NS1_11comp_targetILNS1_3genE5ELNS1_11target_archE942ELNS1_3gpuE9ELNS1_3repE0EEENS1_30default_config_static_selectorELNS0_4arch9wavefront6targetE1EEEvS12_.num_named_barrier, 0
	.set _ZN7rocprim17ROCPRIM_400000_NS6detail17trampoline_kernelINS0_13select_configILj256ELj13ELNS0_17block_load_methodE3ELS4_3ELS4_3ELNS0_20block_scan_algorithmE0ELj4294967295EEENS1_25partition_config_selectorILNS1_17partition_subalgoE4EjNS0_10empty_typeEbEEZZNS1_14partition_implILS8_4ELb0ES6_15HIP_vector_typeIjLj2EENS0_17counting_iteratorIjlEEPS9_SG_NS0_5tupleIJPjSI_NS0_16reverse_iteratorISI_EEEEENSH_IJSG_SG_SG_EEES9_SI_JZNS1_25segmented_radix_sort_implINS0_14default_configELb1EPKfPfPKlPlN2at6native12_GLOBAL__N_18offset_tEEE10hipError_tPvRmT1_PNSt15iterator_traitsIS12_E10value_typeET2_T3_PNS13_IS18_E10value_typeET4_jRbjT5_S1E_jjP12ihipStream_tbEUljE_ZNSN_ISO_Lb1ESQ_SR_ST_SU_SY_EESZ_S10_S11_S12_S16_S17_S18_S1B_S1C_jS1D_jS1E_S1E_jjS1G_bEUljE0_EEESZ_S10_S11_S18_S1C_S1E_T6_T7_T9_mT8_S1G_bDpT10_ENKUlT_T0_E_clISt17integral_constantIbLb0EES1T_IbLb1EEEEDaS1P_S1Q_EUlS1P_E_NS1_11comp_targetILNS1_3genE5ELNS1_11target_archE942ELNS1_3gpuE9ELNS1_3repE0EEENS1_30default_config_static_selectorELNS0_4arch9wavefront6targetE1EEEvS12_.private_seg_size, 0
	.set _ZN7rocprim17ROCPRIM_400000_NS6detail17trampoline_kernelINS0_13select_configILj256ELj13ELNS0_17block_load_methodE3ELS4_3ELS4_3ELNS0_20block_scan_algorithmE0ELj4294967295EEENS1_25partition_config_selectorILNS1_17partition_subalgoE4EjNS0_10empty_typeEbEEZZNS1_14partition_implILS8_4ELb0ES6_15HIP_vector_typeIjLj2EENS0_17counting_iteratorIjlEEPS9_SG_NS0_5tupleIJPjSI_NS0_16reverse_iteratorISI_EEEEENSH_IJSG_SG_SG_EEES9_SI_JZNS1_25segmented_radix_sort_implINS0_14default_configELb1EPKfPfPKlPlN2at6native12_GLOBAL__N_18offset_tEEE10hipError_tPvRmT1_PNSt15iterator_traitsIS12_E10value_typeET2_T3_PNS13_IS18_E10value_typeET4_jRbjT5_S1E_jjP12ihipStream_tbEUljE_ZNSN_ISO_Lb1ESQ_SR_ST_SU_SY_EESZ_S10_S11_S12_S16_S17_S18_S1B_S1C_jS1D_jS1E_S1E_jjS1G_bEUljE0_EEESZ_S10_S11_S18_S1C_S1E_T6_T7_T9_mT8_S1G_bDpT10_ENKUlT_T0_E_clISt17integral_constantIbLb0EES1T_IbLb1EEEEDaS1P_S1Q_EUlS1P_E_NS1_11comp_targetILNS1_3genE5ELNS1_11target_archE942ELNS1_3gpuE9ELNS1_3repE0EEENS1_30default_config_static_selectorELNS0_4arch9wavefront6targetE1EEEvS12_.uses_vcc, 0
	.set _ZN7rocprim17ROCPRIM_400000_NS6detail17trampoline_kernelINS0_13select_configILj256ELj13ELNS0_17block_load_methodE3ELS4_3ELS4_3ELNS0_20block_scan_algorithmE0ELj4294967295EEENS1_25partition_config_selectorILNS1_17partition_subalgoE4EjNS0_10empty_typeEbEEZZNS1_14partition_implILS8_4ELb0ES6_15HIP_vector_typeIjLj2EENS0_17counting_iteratorIjlEEPS9_SG_NS0_5tupleIJPjSI_NS0_16reverse_iteratorISI_EEEEENSH_IJSG_SG_SG_EEES9_SI_JZNS1_25segmented_radix_sort_implINS0_14default_configELb1EPKfPfPKlPlN2at6native12_GLOBAL__N_18offset_tEEE10hipError_tPvRmT1_PNSt15iterator_traitsIS12_E10value_typeET2_T3_PNS13_IS18_E10value_typeET4_jRbjT5_S1E_jjP12ihipStream_tbEUljE_ZNSN_ISO_Lb1ESQ_SR_ST_SU_SY_EESZ_S10_S11_S12_S16_S17_S18_S1B_S1C_jS1D_jS1E_S1E_jjS1G_bEUljE0_EEESZ_S10_S11_S18_S1C_S1E_T6_T7_T9_mT8_S1G_bDpT10_ENKUlT_T0_E_clISt17integral_constantIbLb0EES1T_IbLb1EEEEDaS1P_S1Q_EUlS1P_E_NS1_11comp_targetILNS1_3genE5ELNS1_11target_archE942ELNS1_3gpuE9ELNS1_3repE0EEENS1_30default_config_static_selectorELNS0_4arch9wavefront6targetE1EEEvS12_.uses_flat_scratch, 0
	.set _ZN7rocprim17ROCPRIM_400000_NS6detail17trampoline_kernelINS0_13select_configILj256ELj13ELNS0_17block_load_methodE3ELS4_3ELS4_3ELNS0_20block_scan_algorithmE0ELj4294967295EEENS1_25partition_config_selectorILNS1_17partition_subalgoE4EjNS0_10empty_typeEbEEZZNS1_14partition_implILS8_4ELb0ES6_15HIP_vector_typeIjLj2EENS0_17counting_iteratorIjlEEPS9_SG_NS0_5tupleIJPjSI_NS0_16reverse_iteratorISI_EEEEENSH_IJSG_SG_SG_EEES9_SI_JZNS1_25segmented_radix_sort_implINS0_14default_configELb1EPKfPfPKlPlN2at6native12_GLOBAL__N_18offset_tEEE10hipError_tPvRmT1_PNSt15iterator_traitsIS12_E10value_typeET2_T3_PNS13_IS18_E10value_typeET4_jRbjT5_S1E_jjP12ihipStream_tbEUljE_ZNSN_ISO_Lb1ESQ_SR_ST_SU_SY_EESZ_S10_S11_S12_S16_S17_S18_S1B_S1C_jS1D_jS1E_S1E_jjS1G_bEUljE0_EEESZ_S10_S11_S18_S1C_S1E_T6_T7_T9_mT8_S1G_bDpT10_ENKUlT_T0_E_clISt17integral_constantIbLb0EES1T_IbLb1EEEEDaS1P_S1Q_EUlS1P_E_NS1_11comp_targetILNS1_3genE5ELNS1_11target_archE942ELNS1_3gpuE9ELNS1_3repE0EEENS1_30default_config_static_selectorELNS0_4arch9wavefront6targetE1EEEvS12_.has_dyn_sized_stack, 0
	.set _ZN7rocprim17ROCPRIM_400000_NS6detail17trampoline_kernelINS0_13select_configILj256ELj13ELNS0_17block_load_methodE3ELS4_3ELS4_3ELNS0_20block_scan_algorithmE0ELj4294967295EEENS1_25partition_config_selectorILNS1_17partition_subalgoE4EjNS0_10empty_typeEbEEZZNS1_14partition_implILS8_4ELb0ES6_15HIP_vector_typeIjLj2EENS0_17counting_iteratorIjlEEPS9_SG_NS0_5tupleIJPjSI_NS0_16reverse_iteratorISI_EEEEENSH_IJSG_SG_SG_EEES9_SI_JZNS1_25segmented_radix_sort_implINS0_14default_configELb1EPKfPfPKlPlN2at6native12_GLOBAL__N_18offset_tEEE10hipError_tPvRmT1_PNSt15iterator_traitsIS12_E10value_typeET2_T3_PNS13_IS18_E10value_typeET4_jRbjT5_S1E_jjP12ihipStream_tbEUljE_ZNSN_ISO_Lb1ESQ_SR_ST_SU_SY_EESZ_S10_S11_S12_S16_S17_S18_S1B_S1C_jS1D_jS1E_S1E_jjS1G_bEUljE0_EEESZ_S10_S11_S18_S1C_S1E_T6_T7_T9_mT8_S1G_bDpT10_ENKUlT_T0_E_clISt17integral_constantIbLb0EES1T_IbLb1EEEEDaS1P_S1Q_EUlS1P_E_NS1_11comp_targetILNS1_3genE5ELNS1_11target_archE942ELNS1_3gpuE9ELNS1_3repE0EEENS1_30default_config_static_selectorELNS0_4arch9wavefront6targetE1EEEvS12_.has_recursion, 0
	.set _ZN7rocprim17ROCPRIM_400000_NS6detail17trampoline_kernelINS0_13select_configILj256ELj13ELNS0_17block_load_methodE3ELS4_3ELS4_3ELNS0_20block_scan_algorithmE0ELj4294967295EEENS1_25partition_config_selectorILNS1_17partition_subalgoE4EjNS0_10empty_typeEbEEZZNS1_14partition_implILS8_4ELb0ES6_15HIP_vector_typeIjLj2EENS0_17counting_iteratorIjlEEPS9_SG_NS0_5tupleIJPjSI_NS0_16reverse_iteratorISI_EEEEENSH_IJSG_SG_SG_EEES9_SI_JZNS1_25segmented_radix_sort_implINS0_14default_configELb1EPKfPfPKlPlN2at6native12_GLOBAL__N_18offset_tEEE10hipError_tPvRmT1_PNSt15iterator_traitsIS12_E10value_typeET2_T3_PNS13_IS18_E10value_typeET4_jRbjT5_S1E_jjP12ihipStream_tbEUljE_ZNSN_ISO_Lb1ESQ_SR_ST_SU_SY_EESZ_S10_S11_S12_S16_S17_S18_S1B_S1C_jS1D_jS1E_S1E_jjS1G_bEUljE0_EEESZ_S10_S11_S18_S1C_S1E_T6_T7_T9_mT8_S1G_bDpT10_ENKUlT_T0_E_clISt17integral_constantIbLb0EES1T_IbLb1EEEEDaS1P_S1Q_EUlS1P_E_NS1_11comp_targetILNS1_3genE5ELNS1_11target_archE942ELNS1_3gpuE9ELNS1_3repE0EEENS1_30default_config_static_selectorELNS0_4arch9wavefront6targetE1EEEvS12_.has_indirect_call, 0
	.section	.AMDGPU.csdata,"",@progbits
; Kernel info:
; codeLenInByte = 0
; TotalNumSgprs: 4
; NumVgprs: 0
; ScratchSize: 0
; MemoryBound: 0
; FloatMode: 240
; IeeeMode: 1
; LDSByteSize: 0 bytes/workgroup (compile time only)
; SGPRBlocks: 0
; VGPRBlocks: 0
; NumSGPRsForWavesPerEU: 4
; NumVGPRsForWavesPerEU: 1
; Occupancy: 10
; WaveLimiterHint : 0
; COMPUTE_PGM_RSRC2:SCRATCH_EN: 0
; COMPUTE_PGM_RSRC2:USER_SGPR: 6
; COMPUTE_PGM_RSRC2:TRAP_HANDLER: 0
; COMPUTE_PGM_RSRC2:TGID_X_EN: 1
; COMPUTE_PGM_RSRC2:TGID_Y_EN: 0
; COMPUTE_PGM_RSRC2:TGID_Z_EN: 0
; COMPUTE_PGM_RSRC2:TIDIG_COMP_CNT: 0
	.section	.text._ZN7rocprim17ROCPRIM_400000_NS6detail17trampoline_kernelINS0_13select_configILj256ELj13ELNS0_17block_load_methodE3ELS4_3ELS4_3ELNS0_20block_scan_algorithmE0ELj4294967295EEENS1_25partition_config_selectorILNS1_17partition_subalgoE4EjNS0_10empty_typeEbEEZZNS1_14partition_implILS8_4ELb0ES6_15HIP_vector_typeIjLj2EENS0_17counting_iteratorIjlEEPS9_SG_NS0_5tupleIJPjSI_NS0_16reverse_iteratorISI_EEEEENSH_IJSG_SG_SG_EEES9_SI_JZNS1_25segmented_radix_sort_implINS0_14default_configELb1EPKfPfPKlPlN2at6native12_GLOBAL__N_18offset_tEEE10hipError_tPvRmT1_PNSt15iterator_traitsIS12_E10value_typeET2_T3_PNS13_IS18_E10value_typeET4_jRbjT5_S1E_jjP12ihipStream_tbEUljE_ZNSN_ISO_Lb1ESQ_SR_ST_SU_SY_EESZ_S10_S11_S12_S16_S17_S18_S1B_S1C_jS1D_jS1E_S1E_jjS1G_bEUljE0_EEESZ_S10_S11_S18_S1C_S1E_T6_T7_T9_mT8_S1G_bDpT10_ENKUlT_T0_E_clISt17integral_constantIbLb0EES1T_IbLb1EEEEDaS1P_S1Q_EUlS1P_E_NS1_11comp_targetILNS1_3genE4ELNS1_11target_archE910ELNS1_3gpuE8ELNS1_3repE0EEENS1_30default_config_static_selectorELNS0_4arch9wavefront6targetE1EEEvS12_,"axG",@progbits,_ZN7rocprim17ROCPRIM_400000_NS6detail17trampoline_kernelINS0_13select_configILj256ELj13ELNS0_17block_load_methodE3ELS4_3ELS4_3ELNS0_20block_scan_algorithmE0ELj4294967295EEENS1_25partition_config_selectorILNS1_17partition_subalgoE4EjNS0_10empty_typeEbEEZZNS1_14partition_implILS8_4ELb0ES6_15HIP_vector_typeIjLj2EENS0_17counting_iteratorIjlEEPS9_SG_NS0_5tupleIJPjSI_NS0_16reverse_iteratorISI_EEEEENSH_IJSG_SG_SG_EEES9_SI_JZNS1_25segmented_radix_sort_implINS0_14default_configELb1EPKfPfPKlPlN2at6native12_GLOBAL__N_18offset_tEEE10hipError_tPvRmT1_PNSt15iterator_traitsIS12_E10value_typeET2_T3_PNS13_IS18_E10value_typeET4_jRbjT5_S1E_jjP12ihipStream_tbEUljE_ZNSN_ISO_Lb1ESQ_SR_ST_SU_SY_EESZ_S10_S11_S12_S16_S17_S18_S1B_S1C_jS1D_jS1E_S1E_jjS1G_bEUljE0_EEESZ_S10_S11_S18_S1C_S1E_T6_T7_T9_mT8_S1G_bDpT10_ENKUlT_T0_E_clISt17integral_constantIbLb0EES1T_IbLb1EEEEDaS1P_S1Q_EUlS1P_E_NS1_11comp_targetILNS1_3genE4ELNS1_11target_archE910ELNS1_3gpuE8ELNS1_3repE0EEENS1_30default_config_static_selectorELNS0_4arch9wavefront6targetE1EEEvS12_,comdat
	.globl	_ZN7rocprim17ROCPRIM_400000_NS6detail17trampoline_kernelINS0_13select_configILj256ELj13ELNS0_17block_load_methodE3ELS4_3ELS4_3ELNS0_20block_scan_algorithmE0ELj4294967295EEENS1_25partition_config_selectorILNS1_17partition_subalgoE4EjNS0_10empty_typeEbEEZZNS1_14partition_implILS8_4ELb0ES6_15HIP_vector_typeIjLj2EENS0_17counting_iteratorIjlEEPS9_SG_NS0_5tupleIJPjSI_NS0_16reverse_iteratorISI_EEEEENSH_IJSG_SG_SG_EEES9_SI_JZNS1_25segmented_radix_sort_implINS0_14default_configELb1EPKfPfPKlPlN2at6native12_GLOBAL__N_18offset_tEEE10hipError_tPvRmT1_PNSt15iterator_traitsIS12_E10value_typeET2_T3_PNS13_IS18_E10value_typeET4_jRbjT5_S1E_jjP12ihipStream_tbEUljE_ZNSN_ISO_Lb1ESQ_SR_ST_SU_SY_EESZ_S10_S11_S12_S16_S17_S18_S1B_S1C_jS1D_jS1E_S1E_jjS1G_bEUljE0_EEESZ_S10_S11_S18_S1C_S1E_T6_T7_T9_mT8_S1G_bDpT10_ENKUlT_T0_E_clISt17integral_constantIbLb0EES1T_IbLb1EEEEDaS1P_S1Q_EUlS1P_E_NS1_11comp_targetILNS1_3genE4ELNS1_11target_archE910ELNS1_3gpuE8ELNS1_3repE0EEENS1_30default_config_static_selectorELNS0_4arch9wavefront6targetE1EEEvS12_ ; -- Begin function _ZN7rocprim17ROCPRIM_400000_NS6detail17trampoline_kernelINS0_13select_configILj256ELj13ELNS0_17block_load_methodE3ELS4_3ELS4_3ELNS0_20block_scan_algorithmE0ELj4294967295EEENS1_25partition_config_selectorILNS1_17partition_subalgoE4EjNS0_10empty_typeEbEEZZNS1_14partition_implILS8_4ELb0ES6_15HIP_vector_typeIjLj2EENS0_17counting_iteratorIjlEEPS9_SG_NS0_5tupleIJPjSI_NS0_16reverse_iteratorISI_EEEEENSH_IJSG_SG_SG_EEES9_SI_JZNS1_25segmented_radix_sort_implINS0_14default_configELb1EPKfPfPKlPlN2at6native12_GLOBAL__N_18offset_tEEE10hipError_tPvRmT1_PNSt15iterator_traitsIS12_E10value_typeET2_T3_PNS13_IS18_E10value_typeET4_jRbjT5_S1E_jjP12ihipStream_tbEUljE_ZNSN_ISO_Lb1ESQ_SR_ST_SU_SY_EESZ_S10_S11_S12_S16_S17_S18_S1B_S1C_jS1D_jS1E_S1E_jjS1G_bEUljE0_EEESZ_S10_S11_S18_S1C_S1E_T6_T7_T9_mT8_S1G_bDpT10_ENKUlT_T0_E_clISt17integral_constantIbLb0EES1T_IbLb1EEEEDaS1P_S1Q_EUlS1P_E_NS1_11comp_targetILNS1_3genE4ELNS1_11target_archE910ELNS1_3gpuE8ELNS1_3repE0EEENS1_30default_config_static_selectorELNS0_4arch9wavefront6targetE1EEEvS12_
	.p2align	8
	.type	_ZN7rocprim17ROCPRIM_400000_NS6detail17trampoline_kernelINS0_13select_configILj256ELj13ELNS0_17block_load_methodE3ELS4_3ELS4_3ELNS0_20block_scan_algorithmE0ELj4294967295EEENS1_25partition_config_selectorILNS1_17partition_subalgoE4EjNS0_10empty_typeEbEEZZNS1_14partition_implILS8_4ELb0ES6_15HIP_vector_typeIjLj2EENS0_17counting_iteratorIjlEEPS9_SG_NS0_5tupleIJPjSI_NS0_16reverse_iteratorISI_EEEEENSH_IJSG_SG_SG_EEES9_SI_JZNS1_25segmented_radix_sort_implINS0_14default_configELb1EPKfPfPKlPlN2at6native12_GLOBAL__N_18offset_tEEE10hipError_tPvRmT1_PNSt15iterator_traitsIS12_E10value_typeET2_T3_PNS13_IS18_E10value_typeET4_jRbjT5_S1E_jjP12ihipStream_tbEUljE_ZNSN_ISO_Lb1ESQ_SR_ST_SU_SY_EESZ_S10_S11_S12_S16_S17_S18_S1B_S1C_jS1D_jS1E_S1E_jjS1G_bEUljE0_EEESZ_S10_S11_S18_S1C_S1E_T6_T7_T9_mT8_S1G_bDpT10_ENKUlT_T0_E_clISt17integral_constantIbLb0EES1T_IbLb1EEEEDaS1P_S1Q_EUlS1P_E_NS1_11comp_targetILNS1_3genE4ELNS1_11target_archE910ELNS1_3gpuE8ELNS1_3repE0EEENS1_30default_config_static_selectorELNS0_4arch9wavefront6targetE1EEEvS12_,@function
_ZN7rocprim17ROCPRIM_400000_NS6detail17trampoline_kernelINS0_13select_configILj256ELj13ELNS0_17block_load_methodE3ELS4_3ELS4_3ELNS0_20block_scan_algorithmE0ELj4294967295EEENS1_25partition_config_selectorILNS1_17partition_subalgoE4EjNS0_10empty_typeEbEEZZNS1_14partition_implILS8_4ELb0ES6_15HIP_vector_typeIjLj2EENS0_17counting_iteratorIjlEEPS9_SG_NS0_5tupleIJPjSI_NS0_16reverse_iteratorISI_EEEEENSH_IJSG_SG_SG_EEES9_SI_JZNS1_25segmented_radix_sort_implINS0_14default_configELb1EPKfPfPKlPlN2at6native12_GLOBAL__N_18offset_tEEE10hipError_tPvRmT1_PNSt15iterator_traitsIS12_E10value_typeET2_T3_PNS13_IS18_E10value_typeET4_jRbjT5_S1E_jjP12ihipStream_tbEUljE_ZNSN_ISO_Lb1ESQ_SR_ST_SU_SY_EESZ_S10_S11_S12_S16_S17_S18_S1B_S1C_jS1D_jS1E_S1E_jjS1G_bEUljE0_EEESZ_S10_S11_S18_S1C_S1E_T6_T7_T9_mT8_S1G_bDpT10_ENKUlT_T0_E_clISt17integral_constantIbLb0EES1T_IbLb1EEEEDaS1P_S1Q_EUlS1P_E_NS1_11comp_targetILNS1_3genE4ELNS1_11target_archE910ELNS1_3gpuE8ELNS1_3repE0EEENS1_30default_config_static_selectorELNS0_4arch9wavefront6targetE1EEEvS12_: ; @_ZN7rocprim17ROCPRIM_400000_NS6detail17trampoline_kernelINS0_13select_configILj256ELj13ELNS0_17block_load_methodE3ELS4_3ELS4_3ELNS0_20block_scan_algorithmE0ELj4294967295EEENS1_25partition_config_selectorILNS1_17partition_subalgoE4EjNS0_10empty_typeEbEEZZNS1_14partition_implILS8_4ELb0ES6_15HIP_vector_typeIjLj2EENS0_17counting_iteratorIjlEEPS9_SG_NS0_5tupleIJPjSI_NS0_16reverse_iteratorISI_EEEEENSH_IJSG_SG_SG_EEES9_SI_JZNS1_25segmented_radix_sort_implINS0_14default_configELb1EPKfPfPKlPlN2at6native12_GLOBAL__N_18offset_tEEE10hipError_tPvRmT1_PNSt15iterator_traitsIS12_E10value_typeET2_T3_PNS13_IS18_E10value_typeET4_jRbjT5_S1E_jjP12ihipStream_tbEUljE_ZNSN_ISO_Lb1ESQ_SR_ST_SU_SY_EESZ_S10_S11_S12_S16_S17_S18_S1B_S1C_jS1D_jS1E_S1E_jjS1G_bEUljE0_EEESZ_S10_S11_S18_S1C_S1E_T6_T7_T9_mT8_S1G_bDpT10_ENKUlT_T0_E_clISt17integral_constantIbLb0EES1T_IbLb1EEEEDaS1P_S1Q_EUlS1P_E_NS1_11comp_targetILNS1_3genE4ELNS1_11target_archE910ELNS1_3gpuE8ELNS1_3repE0EEENS1_30default_config_static_selectorELNS0_4arch9wavefront6targetE1EEEvS12_
; %bb.0:
	.section	.rodata,"a",@progbits
	.p2align	6, 0x0
	.amdhsa_kernel _ZN7rocprim17ROCPRIM_400000_NS6detail17trampoline_kernelINS0_13select_configILj256ELj13ELNS0_17block_load_methodE3ELS4_3ELS4_3ELNS0_20block_scan_algorithmE0ELj4294967295EEENS1_25partition_config_selectorILNS1_17partition_subalgoE4EjNS0_10empty_typeEbEEZZNS1_14partition_implILS8_4ELb0ES6_15HIP_vector_typeIjLj2EENS0_17counting_iteratorIjlEEPS9_SG_NS0_5tupleIJPjSI_NS0_16reverse_iteratorISI_EEEEENSH_IJSG_SG_SG_EEES9_SI_JZNS1_25segmented_radix_sort_implINS0_14default_configELb1EPKfPfPKlPlN2at6native12_GLOBAL__N_18offset_tEEE10hipError_tPvRmT1_PNSt15iterator_traitsIS12_E10value_typeET2_T3_PNS13_IS18_E10value_typeET4_jRbjT5_S1E_jjP12ihipStream_tbEUljE_ZNSN_ISO_Lb1ESQ_SR_ST_SU_SY_EESZ_S10_S11_S12_S16_S17_S18_S1B_S1C_jS1D_jS1E_S1E_jjS1G_bEUljE0_EEESZ_S10_S11_S18_S1C_S1E_T6_T7_T9_mT8_S1G_bDpT10_ENKUlT_T0_E_clISt17integral_constantIbLb0EES1T_IbLb1EEEEDaS1P_S1Q_EUlS1P_E_NS1_11comp_targetILNS1_3genE4ELNS1_11target_archE910ELNS1_3gpuE8ELNS1_3repE0EEENS1_30default_config_static_selectorELNS0_4arch9wavefront6targetE1EEEvS12_
		.amdhsa_group_segment_fixed_size 0
		.amdhsa_private_segment_fixed_size 0
		.amdhsa_kernarg_size 184
		.amdhsa_user_sgpr_count 6
		.amdhsa_user_sgpr_private_segment_buffer 1
		.amdhsa_user_sgpr_dispatch_ptr 0
		.amdhsa_user_sgpr_queue_ptr 0
		.amdhsa_user_sgpr_kernarg_segment_ptr 1
		.amdhsa_user_sgpr_dispatch_id 0
		.amdhsa_user_sgpr_flat_scratch_init 0
		.amdhsa_user_sgpr_private_segment_size 0
		.amdhsa_uses_dynamic_stack 0
		.amdhsa_system_sgpr_private_segment_wavefront_offset 0
		.amdhsa_system_sgpr_workgroup_id_x 1
		.amdhsa_system_sgpr_workgroup_id_y 0
		.amdhsa_system_sgpr_workgroup_id_z 0
		.amdhsa_system_sgpr_workgroup_info 0
		.amdhsa_system_vgpr_workitem_id 0
		.amdhsa_next_free_vgpr 1
		.amdhsa_next_free_sgpr 0
		.amdhsa_reserve_vcc 0
		.amdhsa_reserve_flat_scratch 0
		.amdhsa_float_round_mode_32 0
		.amdhsa_float_round_mode_16_64 0
		.amdhsa_float_denorm_mode_32 3
		.amdhsa_float_denorm_mode_16_64 3
		.amdhsa_dx10_clamp 1
		.amdhsa_ieee_mode 1
		.amdhsa_fp16_overflow 0
		.amdhsa_exception_fp_ieee_invalid_op 0
		.amdhsa_exception_fp_denorm_src 0
		.amdhsa_exception_fp_ieee_div_zero 0
		.amdhsa_exception_fp_ieee_overflow 0
		.amdhsa_exception_fp_ieee_underflow 0
		.amdhsa_exception_fp_ieee_inexact 0
		.amdhsa_exception_int_div_zero 0
	.end_amdhsa_kernel
	.section	.text._ZN7rocprim17ROCPRIM_400000_NS6detail17trampoline_kernelINS0_13select_configILj256ELj13ELNS0_17block_load_methodE3ELS4_3ELS4_3ELNS0_20block_scan_algorithmE0ELj4294967295EEENS1_25partition_config_selectorILNS1_17partition_subalgoE4EjNS0_10empty_typeEbEEZZNS1_14partition_implILS8_4ELb0ES6_15HIP_vector_typeIjLj2EENS0_17counting_iteratorIjlEEPS9_SG_NS0_5tupleIJPjSI_NS0_16reverse_iteratorISI_EEEEENSH_IJSG_SG_SG_EEES9_SI_JZNS1_25segmented_radix_sort_implINS0_14default_configELb1EPKfPfPKlPlN2at6native12_GLOBAL__N_18offset_tEEE10hipError_tPvRmT1_PNSt15iterator_traitsIS12_E10value_typeET2_T3_PNS13_IS18_E10value_typeET4_jRbjT5_S1E_jjP12ihipStream_tbEUljE_ZNSN_ISO_Lb1ESQ_SR_ST_SU_SY_EESZ_S10_S11_S12_S16_S17_S18_S1B_S1C_jS1D_jS1E_S1E_jjS1G_bEUljE0_EEESZ_S10_S11_S18_S1C_S1E_T6_T7_T9_mT8_S1G_bDpT10_ENKUlT_T0_E_clISt17integral_constantIbLb0EES1T_IbLb1EEEEDaS1P_S1Q_EUlS1P_E_NS1_11comp_targetILNS1_3genE4ELNS1_11target_archE910ELNS1_3gpuE8ELNS1_3repE0EEENS1_30default_config_static_selectorELNS0_4arch9wavefront6targetE1EEEvS12_,"axG",@progbits,_ZN7rocprim17ROCPRIM_400000_NS6detail17trampoline_kernelINS0_13select_configILj256ELj13ELNS0_17block_load_methodE3ELS4_3ELS4_3ELNS0_20block_scan_algorithmE0ELj4294967295EEENS1_25partition_config_selectorILNS1_17partition_subalgoE4EjNS0_10empty_typeEbEEZZNS1_14partition_implILS8_4ELb0ES6_15HIP_vector_typeIjLj2EENS0_17counting_iteratorIjlEEPS9_SG_NS0_5tupleIJPjSI_NS0_16reverse_iteratorISI_EEEEENSH_IJSG_SG_SG_EEES9_SI_JZNS1_25segmented_radix_sort_implINS0_14default_configELb1EPKfPfPKlPlN2at6native12_GLOBAL__N_18offset_tEEE10hipError_tPvRmT1_PNSt15iterator_traitsIS12_E10value_typeET2_T3_PNS13_IS18_E10value_typeET4_jRbjT5_S1E_jjP12ihipStream_tbEUljE_ZNSN_ISO_Lb1ESQ_SR_ST_SU_SY_EESZ_S10_S11_S12_S16_S17_S18_S1B_S1C_jS1D_jS1E_S1E_jjS1G_bEUljE0_EEESZ_S10_S11_S18_S1C_S1E_T6_T7_T9_mT8_S1G_bDpT10_ENKUlT_T0_E_clISt17integral_constantIbLb0EES1T_IbLb1EEEEDaS1P_S1Q_EUlS1P_E_NS1_11comp_targetILNS1_3genE4ELNS1_11target_archE910ELNS1_3gpuE8ELNS1_3repE0EEENS1_30default_config_static_selectorELNS0_4arch9wavefront6targetE1EEEvS12_,comdat
.Lfunc_end1287:
	.size	_ZN7rocprim17ROCPRIM_400000_NS6detail17trampoline_kernelINS0_13select_configILj256ELj13ELNS0_17block_load_methodE3ELS4_3ELS4_3ELNS0_20block_scan_algorithmE0ELj4294967295EEENS1_25partition_config_selectorILNS1_17partition_subalgoE4EjNS0_10empty_typeEbEEZZNS1_14partition_implILS8_4ELb0ES6_15HIP_vector_typeIjLj2EENS0_17counting_iteratorIjlEEPS9_SG_NS0_5tupleIJPjSI_NS0_16reverse_iteratorISI_EEEEENSH_IJSG_SG_SG_EEES9_SI_JZNS1_25segmented_radix_sort_implINS0_14default_configELb1EPKfPfPKlPlN2at6native12_GLOBAL__N_18offset_tEEE10hipError_tPvRmT1_PNSt15iterator_traitsIS12_E10value_typeET2_T3_PNS13_IS18_E10value_typeET4_jRbjT5_S1E_jjP12ihipStream_tbEUljE_ZNSN_ISO_Lb1ESQ_SR_ST_SU_SY_EESZ_S10_S11_S12_S16_S17_S18_S1B_S1C_jS1D_jS1E_S1E_jjS1G_bEUljE0_EEESZ_S10_S11_S18_S1C_S1E_T6_T7_T9_mT8_S1G_bDpT10_ENKUlT_T0_E_clISt17integral_constantIbLb0EES1T_IbLb1EEEEDaS1P_S1Q_EUlS1P_E_NS1_11comp_targetILNS1_3genE4ELNS1_11target_archE910ELNS1_3gpuE8ELNS1_3repE0EEENS1_30default_config_static_selectorELNS0_4arch9wavefront6targetE1EEEvS12_, .Lfunc_end1287-_ZN7rocprim17ROCPRIM_400000_NS6detail17trampoline_kernelINS0_13select_configILj256ELj13ELNS0_17block_load_methodE3ELS4_3ELS4_3ELNS0_20block_scan_algorithmE0ELj4294967295EEENS1_25partition_config_selectorILNS1_17partition_subalgoE4EjNS0_10empty_typeEbEEZZNS1_14partition_implILS8_4ELb0ES6_15HIP_vector_typeIjLj2EENS0_17counting_iteratorIjlEEPS9_SG_NS0_5tupleIJPjSI_NS0_16reverse_iteratorISI_EEEEENSH_IJSG_SG_SG_EEES9_SI_JZNS1_25segmented_radix_sort_implINS0_14default_configELb1EPKfPfPKlPlN2at6native12_GLOBAL__N_18offset_tEEE10hipError_tPvRmT1_PNSt15iterator_traitsIS12_E10value_typeET2_T3_PNS13_IS18_E10value_typeET4_jRbjT5_S1E_jjP12ihipStream_tbEUljE_ZNSN_ISO_Lb1ESQ_SR_ST_SU_SY_EESZ_S10_S11_S12_S16_S17_S18_S1B_S1C_jS1D_jS1E_S1E_jjS1G_bEUljE0_EEESZ_S10_S11_S18_S1C_S1E_T6_T7_T9_mT8_S1G_bDpT10_ENKUlT_T0_E_clISt17integral_constantIbLb0EES1T_IbLb1EEEEDaS1P_S1Q_EUlS1P_E_NS1_11comp_targetILNS1_3genE4ELNS1_11target_archE910ELNS1_3gpuE8ELNS1_3repE0EEENS1_30default_config_static_selectorELNS0_4arch9wavefront6targetE1EEEvS12_
                                        ; -- End function
	.set _ZN7rocprim17ROCPRIM_400000_NS6detail17trampoline_kernelINS0_13select_configILj256ELj13ELNS0_17block_load_methodE3ELS4_3ELS4_3ELNS0_20block_scan_algorithmE0ELj4294967295EEENS1_25partition_config_selectorILNS1_17partition_subalgoE4EjNS0_10empty_typeEbEEZZNS1_14partition_implILS8_4ELb0ES6_15HIP_vector_typeIjLj2EENS0_17counting_iteratorIjlEEPS9_SG_NS0_5tupleIJPjSI_NS0_16reverse_iteratorISI_EEEEENSH_IJSG_SG_SG_EEES9_SI_JZNS1_25segmented_radix_sort_implINS0_14default_configELb1EPKfPfPKlPlN2at6native12_GLOBAL__N_18offset_tEEE10hipError_tPvRmT1_PNSt15iterator_traitsIS12_E10value_typeET2_T3_PNS13_IS18_E10value_typeET4_jRbjT5_S1E_jjP12ihipStream_tbEUljE_ZNSN_ISO_Lb1ESQ_SR_ST_SU_SY_EESZ_S10_S11_S12_S16_S17_S18_S1B_S1C_jS1D_jS1E_S1E_jjS1G_bEUljE0_EEESZ_S10_S11_S18_S1C_S1E_T6_T7_T9_mT8_S1G_bDpT10_ENKUlT_T0_E_clISt17integral_constantIbLb0EES1T_IbLb1EEEEDaS1P_S1Q_EUlS1P_E_NS1_11comp_targetILNS1_3genE4ELNS1_11target_archE910ELNS1_3gpuE8ELNS1_3repE0EEENS1_30default_config_static_selectorELNS0_4arch9wavefront6targetE1EEEvS12_.num_vgpr, 0
	.set _ZN7rocprim17ROCPRIM_400000_NS6detail17trampoline_kernelINS0_13select_configILj256ELj13ELNS0_17block_load_methodE3ELS4_3ELS4_3ELNS0_20block_scan_algorithmE0ELj4294967295EEENS1_25partition_config_selectorILNS1_17partition_subalgoE4EjNS0_10empty_typeEbEEZZNS1_14partition_implILS8_4ELb0ES6_15HIP_vector_typeIjLj2EENS0_17counting_iteratorIjlEEPS9_SG_NS0_5tupleIJPjSI_NS0_16reverse_iteratorISI_EEEEENSH_IJSG_SG_SG_EEES9_SI_JZNS1_25segmented_radix_sort_implINS0_14default_configELb1EPKfPfPKlPlN2at6native12_GLOBAL__N_18offset_tEEE10hipError_tPvRmT1_PNSt15iterator_traitsIS12_E10value_typeET2_T3_PNS13_IS18_E10value_typeET4_jRbjT5_S1E_jjP12ihipStream_tbEUljE_ZNSN_ISO_Lb1ESQ_SR_ST_SU_SY_EESZ_S10_S11_S12_S16_S17_S18_S1B_S1C_jS1D_jS1E_S1E_jjS1G_bEUljE0_EEESZ_S10_S11_S18_S1C_S1E_T6_T7_T9_mT8_S1G_bDpT10_ENKUlT_T0_E_clISt17integral_constantIbLb0EES1T_IbLb1EEEEDaS1P_S1Q_EUlS1P_E_NS1_11comp_targetILNS1_3genE4ELNS1_11target_archE910ELNS1_3gpuE8ELNS1_3repE0EEENS1_30default_config_static_selectorELNS0_4arch9wavefront6targetE1EEEvS12_.num_agpr, 0
	.set _ZN7rocprim17ROCPRIM_400000_NS6detail17trampoline_kernelINS0_13select_configILj256ELj13ELNS0_17block_load_methodE3ELS4_3ELS4_3ELNS0_20block_scan_algorithmE0ELj4294967295EEENS1_25partition_config_selectorILNS1_17partition_subalgoE4EjNS0_10empty_typeEbEEZZNS1_14partition_implILS8_4ELb0ES6_15HIP_vector_typeIjLj2EENS0_17counting_iteratorIjlEEPS9_SG_NS0_5tupleIJPjSI_NS0_16reverse_iteratorISI_EEEEENSH_IJSG_SG_SG_EEES9_SI_JZNS1_25segmented_radix_sort_implINS0_14default_configELb1EPKfPfPKlPlN2at6native12_GLOBAL__N_18offset_tEEE10hipError_tPvRmT1_PNSt15iterator_traitsIS12_E10value_typeET2_T3_PNS13_IS18_E10value_typeET4_jRbjT5_S1E_jjP12ihipStream_tbEUljE_ZNSN_ISO_Lb1ESQ_SR_ST_SU_SY_EESZ_S10_S11_S12_S16_S17_S18_S1B_S1C_jS1D_jS1E_S1E_jjS1G_bEUljE0_EEESZ_S10_S11_S18_S1C_S1E_T6_T7_T9_mT8_S1G_bDpT10_ENKUlT_T0_E_clISt17integral_constantIbLb0EES1T_IbLb1EEEEDaS1P_S1Q_EUlS1P_E_NS1_11comp_targetILNS1_3genE4ELNS1_11target_archE910ELNS1_3gpuE8ELNS1_3repE0EEENS1_30default_config_static_selectorELNS0_4arch9wavefront6targetE1EEEvS12_.numbered_sgpr, 0
	.set _ZN7rocprim17ROCPRIM_400000_NS6detail17trampoline_kernelINS0_13select_configILj256ELj13ELNS0_17block_load_methodE3ELS4_3ELS4_3ELNS0_20block_scan_algorithmE0ELj4294967295EEENS1_25partition_config_selectorILNS1_17partition_subalgoE4EjNS0_10empty_typeEbEEZZNS1_14partition_implILS8_4ELb0ES6_15HIP_vector_typeIjLj2EENS0_17counting_iteratorIjlEEPS9_SG_NS0_5tupleIJPjSI_NS0_16reverse_iteratorISI_EEEEENSH_IJSG_SG_SG_EEES9_SI_JZNS1_25segmented_radix_sort_implINS0_14default_configELb1EPKfPfPKlPlN2at6native12_GLOBAL__N_18offset_tEEE10hipError_tPvRmT1_PNSt15iterator_traitsIS12_E10value_typeET2_T3_PNS13_IS18_E10value_typeET4_jRbjT5_S1E_jjP12ihipStream_tbEUljE_ZNSN_ISO_Lb1ESQ_SR_ST_SU_SY_EESZ_S10_S11_S12_S16_S17_S18_S1B_S1C_jS1D_jS1E_S1E_jjS1G_bEUljE0_EEESZ_S10_S11_S18_S1C_S1E_T6_T7_T9_mT8_S1G_bDpT10_ENKUlT_T0_E_clISt17integral_constantIbLb0EES1T_IbLb1EEEEDaS1P_S1Q_EUlS1P_E_NS1_11comp_targetILNS1_3genE4ELNS1_11target_archE910ELNS1_3gpuE8ELNS1_3repE0EEENS1_30default_config_static_selectorELNS0_4arch9wavefront6targetE1EEEvS12_.num_named_barrier, 0
	.set _ZN7rocprim17ROCPRIM_400000_NS6detail17trampoline_kernelINS0_13select_configILj256ELj13ELNS0_17block_load_methodE3ELS4_3ELS4_3ELNS0_20block_scan_algorithmE0ELj4294967295EEENS1_25partition_config_selectorILNS1_17partition_subalgoE4EjNS0_10empty_typeEbEEZZNS1_14partition_implILS8_4ELb0ES6_15HIP_vector_typeIjLj2EENS0_17counting_iteratorIjlEEPS9_SG_NS0_5tupleIJPjSI_NS0_16reverse_iteratorISI_EEEEENSH_IJSG_SG_SG_EEES9_SI_JZNS1_25segmented_radix_sort_implINS0_14default_configELb1EPKfPfPKlPlN2at6native12_GLOBAL__N_18offset_tEEE10hipError_tPvRmT1_PNSt15iterator_traitsIS12_E10value_typeET2_T3_PNS13_IS18_E10value_typeET4_jRbjT5_S1E_jjP12ihipStream_tbEUljE_ZNSN_ISO_Lb1ESQ_SR_ST_SU_SY_EESZ_S10_S11_S12_S16_S17_S18_S1B_S1C_jS1D_jS1E_S1E_jjS1G_bEUljE0_EEESZ_S10_S11_S18_S1C_S1E_T6_T7_T9_mT8_S1G_bDpT10_ENKUlT_T0_E_clISt17integral_constantIbLb0EES1T_IbLb1EEEEDaS1P_S1Q_EUlS1P_E_NS1_11comp_targetILNS1_3genE4ELNS1_11target_archE910ELNS1_3gpuE8ELNS1_3repE0EEENS1_30default_config_static_selectorELNS0_4arch9wavefront6targetE1EEEvS12_.private_seg_size, 0
	.set _ZN7rocprim17ROCPRIM_400000_NS6detail17trampoline_kernelINS0_13select_configILj256ELj13ELNS0_17block_load_methodE3ELS4_3ELS4_3ELNS0_20block_scan_algorithmE0ELj4294967295EEENS1_25partition_config_selectorILNS1_17partition_subalgoE4EjNS0_10empty_typeEbEEZZNS1_14partition_implILS8_4ELb0ES6_15HIP_vector_typeIjLj2EENS0_17counting_iteratorIjlEEPS9_SG_NS0_5tupleIJPjSI_NS0_16reverse_iteratorISI_EEEEENSH_IJSG_SG_SG_EEES9_SI_JZNS1_25segmented_radix_sort_implINS0_14default_configELb1EPKfPfPKlPlN2at6native12_GLOBAL__N_18offset_tEEE10hipError_tPvRmT1_PNSt15iterator_traitsIS12_E10value_typeET2_T3_PNS13_IS18_E10value_typeET4_jRbjT5_S1E_jjP12ihipStream_tbEUljE_ZNSN_ISO_Lb1ESQ_SR_ST_SU_SY_EESZ_S10_S11_S12_S16_S17_S18_S1B_S1C_jS1D_jS1E_S1E_jjS1G_bEUljE0_EEESZ_S10_S11_S18_S1C_S1E_T6_T7_T9_mT8_S1G_bDpT10_ENKUlT_T0_E_clISt17integral_constantIbLb0EES1T_IbLb1EEEEDaS1P_S1Q_EUlS1P_E_NS1_11comp_targetILNS1_3genE4ELNS1_11target_archE910ELNS1_3gpuE8ELNS1_3repE0EEENS1_30default_config_static_selectorELNS0_4arch9wavefront6targetE1EEEvS12_.uses_vcc, 0
	.set _ZN7rocprim17ROCPRIM_400000_NS6detail17trampoline_kernelINS0_13select_configILj256ELj13ELNS0_17block_load_methodE3ELS4_3ELS4_3ELNS0_20block_scan_algorithmE0ELj4294967295EEENS1_25partition_config_selectorILNS1_17partition_subalgoE4EjNS0_10empty_typeEbEEZZNS1_14partition_implILS8_4ELb0ES6_15HIP_vector_typeIjLj2EENS0_17counting_iteratorIjlEEPS9_SG_NS0_5tupleIJPjSI_NS0_16reverse_iteratorISI_EEEEENSH_IJSG_SG_SG_EEES9_SI_JZNS1_25segmented_radix_sort_implINS0_14default_configELb1EPKfPfPKlPlN2at6native12_GLOBAL__N_18offset_tEEE10hipError_tPvRmT1_PNSt15iterator_traitsIS12_E10value_typeET2_T3_PNS13_IS18_E10value_typeET4_jRbjT5_S1E_jjP12ihipStream_tbEUljE_ZNSN_ISO_Lb1ESQ_SR_ST_SU_SY_EESZ_S10_S11_S12_S16_S17_S18_S1B_S1C_jS1D_jS1E_S1E_jjS1G_bEUljE0_EEESZ_S10_S11_S18_S1C_S1E_T6_T7_T9_mT8_S1G_bDpT10_ENKUlT_T0_E_clISt17integral_constantIbLb0EES1T_IbLb1EEEEDaS1P_S1Q_EUlS1P_E_NS1_11comp_targetILNS1_3genE4ELNS1_11target_archE910ELNS1_3gpuE8ELNS1_3repE0EEENS1_30default_config_static_selectorELNS0_4arch9wavefront6targetE1EEEvS12_.uses_flat_scratch, 0
	.set _ZN7rocprim17ROCPRIM_400000_NS6detail17trampoline_kernelINS0_13select_configILj256ELj13ELNS0_17block_load_methodE3ELS4_3ELS4_3ELNS0_20block_scan_algorithmE0ELj4294967295EEENS1_25partition_config_selectorILNS1_17partition_subalgoE4EjNS0_10empty_typeEbEEZZNS1_14partition_implILS8_4ELb0ES6_15HIP_vector_typeIjLj2EENS0_17counting_iteratorIjlEEPS9_SG_NS0_5tupleIJPjSI_NS0_16reverse_iteratorISI_EEEEENSH_IJSG_SG_SG_EEES9_SI_JZNS1_25segmented_radix_sort_implINS0_14default_configELb1EPKfPfPKlPlN2at6native12_GLOBAL__N_18offset_tEEE10hipError_tPvRmT1_PNSt15iterator_traitsIS12_E10value_typeET2_T3_PNS13_IS18_E10value_typeET4_jRbjT5_S1E_jjP12ihipStream_tbEUljE_ZNSN_ISO_Lb1ESQ_SR_ST_SU_SY_EESZ_S10_S11_S12_S16_S17_S18_S1B_S1C_jS1D_jS1E_S1E_jjS1G_bEUljE0_EEESZ_S10_S11_S18_S1C_S1E_T6_T7_T9_mT8_S1G_bDpT10_ENKUlT_T0_E_clISt17integral_constantIbLb0EES1T_IbLb1EEEEDaS1P_S1Q_EUlS1P_E_NS1_11comp_targetILNS1_3genE4ELNS1_11target_archE910ELNS1_3gpuE8ELNS1_3repE0EEENS1_30default_config_static_selectorELNS0_4arch9wavefront6targetE1EEEvS12_.has_dyn_sized_stack, 0
	.set _ZN7rocprim17ROCPRIM_400000_NS6detail17trampoline_kernelINS0_13select_configILj256ELj13ELNS0_17block_load_methodE3ELS4_3ELS4_3ELNS0_20block_scan_algorithmE0ELj4294967295EEENS1_25partition_config_selectorILNS1_17partition_subalgoE4EjNS0_10empty_typeEbEEZZNS1_14partition_implILS8_4ELb0ES6_15HIP_vector_typeIjLj2EENS0_17counting_iteratorIjlEEPS9_SG_NS0_5tupleIJPjSI_NS0_16reverse_iteratorISI_EEEEENSH_IJSG_SG_SG_EEES9_SI_JZNS1_25segmented_radix_sort_implINS0_14default_configELb1EPKfPfPKlPlN2at6native12_GLOBAL__N_18offset_tEEE10hipError_tPvRmT1_PNSt15iterator_traitsIS12_E10value_typeET2_T3_PNS13_IS18_E10value_typeET4_jRbjT5_S1E_jjP12ihipStream_tbEUljE_ZNSN_ISO_Lb1ESQ_SR_ST_SU_SY_EESZ_S10_S11_S12_S16_S17_S18_S1B_S1C_jS1D_jS1E_S1E_jjS1G_bEUljE0_EEESZ_S10_S11_S18_S1C_S1E_T6_T7_T9_mT8_S1G_bDpT10_ENKUlT_T0_E_clISt17integral_constantIbLb0EES1T_IbLb1EEEEDaS1P_S1Q_EUlS1P_E_NS1_11comp_targetILNS1_3genE4ELNS1_11target_archE910ELNS1_3gpuE8ELNS1_3repE0EEENS1_30default_config_static_selectorELNS0_4arch9wavefront6targetE1EEEvS12_.has_recursion, 0
	.set _ZN7rocprim17ROCPRIM_400000_NS6detail17trampoline_kernelINS0_13select_configILj256ELj13ELNS0_17block_load_methodE3ELS4_3ELS4_3ELNS0_20block_scan_algorithmE0ELj4294967295EEENS1_25partition_config_selectorILNS1_17partition_subalgoE4EjNS0_10empty_typeEbEEZZNS1_14partition_implILS8_4ELb0ES6_15HIP_vector_typeIjLj2EENS0_17counting_iteratorIjlEEPS9_SG_NS0_5tupleIJPjSI_NS0_16reverse_iteratorISI_EEEEENSH_IJSG_SG_SG_EEES9_SI_JZNS1_25segmented_radix_sort_implINS0_14default_configELb1EPKfPfPKlPlN2at6native12_GLOBAL__N_18offset_tEEE10hipError_tPvRmT1_PNSt15iterator_traitsIS12_E10value_typeET2_T3_PNS13_IS18_E10value_typeET4_jRbjT5_S1E_jjP12ihipStream_tbEUljE_ZNSN_ISO_Lb1ESQ_SR_ST_SU_SY_EESZ_S10_S11_S12_S16_S17_S18_S1B_S1C_jS1D_jS1E_S1E_jjS1G_bEUljE0_EEESZ_S10_S11_S18_S1C_S1E_T6_T7_T9_mT8_S1G_bDpT10_ENKUlT_T0_E_clISt17integral_constantIbLb0EES1T_IbLb1EEEEDaS1P_S1Q_EUlS1P_E_NS1_11comp_targetILNS1_3genE4ELNS1_11target_archE910ELNS1_3gpuE8ELNS1_3repE0EEENS1_30default_config_static_selectorELNS0_4arch9wavefront6targetE1EEEvS12_.has_indirect_call, 0
	.section	.AMDGPU.csdata,"",@progbits
; Kernel info:
; codeLenInByte = 0
; TotalNumSgprs: 4
; NumVgprs: 0
; ScratchSize: 0
; MemoryBound: 0
; FloatMode: 240
; IeeeMode: 1
; LDSByteSize: 0 bytes/workgroup (compile time only)
; SGPRBlocks: 0
; VGPRBlocks: 0
; NumSGPRsForWavesPerEU: 4
; NumVGPRsForWavesPerEU: 1
; Occupancy: 10
; WaveLimiterHint : 0
; COMPUTE_PGM_RSRC2:SCRATCH_EN: 0
; COMPUTE_PGM_RSRC2:USER_SGPR: 6
; COMPUTE_PGM_RSRC2:TRAP_HANDLER: 0
; COMPUTE_PGM_RSRC2:TGID_X_EN: 1
; COMPUTE_PGM_RSRC2:TGID_Y_EN: 0
; COMPUTE_PGM_RSRC2:TGID_Z_EN: 0
; COMPUTE_PGM_RSRC2:TIDIG_COMP_CNT: 0
	.section	.text._ZN7rocprim17ROCPRIM_400000_NS6detail17trampoline_kernelINS0_13select_configILj256ELj13ELNS0_17block_load_methodE3ELS4_3ELS4_3ELNS0_20block_scan_algorithmE0ELj4294967295EEENS1_25partition_config_selectorILNS1_17partition_subalgoE4EjNS0_10empty_typeEbEEZZNS1_14partition_implILS8_4ELb0ES6_15HIP_vector_typeIjLj2EENS0_17counting_iteratorIjlEEPS9_SG_NS0_5tupleIJPjSI_NS0_16reverse_iteratorISI_EEEEENSH_IJSG_SG_SG_EEES9_SI_JZNS1_25segmented_radix_sort_implINS0_14default_configELb1EPKfPfPKlPlN2at6native12_GLOBAL__N_18offset_tEEE10hipError_tPvRmT1_PNSt15iterator_traitsIS12_E10value_typeET2_T3_PNS13_IS18_E10value_typeET4_jRbjT5_S1E_jjP12ihipStream_tbEUljE_ZNSN_ISO_Lb1ESQ_SR_ST_SU_SY_EESZ_S10_S11_S12_S16_S17_S18_S1B_S1C_jS1D_jS1E_S1E_jjS1G_bEUljE0_EEESZ_S10_S11_S18_S1C_S1E_T6_T7_T9_mT8_S1G_bDpT10_ENKUlT_T0_E_clISt17integral_constantIbLb0EES1T_IbLb1EEEEDaS1P_S1Q_EUlS1P_E_NS1_11comp_targetILNS1_3genE3ELNS1_11target_archE908ELNS1_3gpuE7ELNS1_3repE0EEENS1_30default_config_static_selectorELNS0_4arch9wavefront6targetE1EEEvS12_,"axG",@progbits,_ZN7rocprim17ROCPRIM_400000_NS6detail17trampoline_kernelINS0_13select_configILj256ELj13ELNS0_17block_load_methodE3ELS4_3ELS4_3ELNS0_20block_scan_algorithmE0ELj4294967295EEENS1_25partition_config_selectorILNS1_17partition_subalgoE4EjNS0_10empty_typeEbEEZZNS1_14partition_implILS8_4ELb0ES6_15HIP_vector_typeIjLj2EENS0_17counting_iteratorIjlEEPS9_SG_NS0_5tupleIJPjSI_NS0_16reverse_iteratorISI_EEEEENSH_IJSG_SG_SG_EEES9_SI_JZNS1_25segmented_radix_sort_implINS0_14default_configELb1EPKfPfPKlPlN2at6native12_GLOBAL__N_18offset_tEEE10hipError_tPvRmT1_PNSt15iterator_traitsIS12_E10value_typeET2_T3_PNS13_IS18_E10value_typeET4_jRbjT5_S1E_jjP12ihipStream_tbEUljE_ZNSN_ISO_Lb1ESQ_SR_ST_SU_SY_EESZ_S10_S11_S12_S16_S17_S18_S1B_S1C_jS1D_jS1E_S1E_jjS1G_bEUljE0_EEESZ_S10_S11_S18_S1C_S1E_T6_T7_T9_mT8_S1G_bDpT10_ENKUlT_T0_E_clISt17integral_constantIbLb0EES1T_IbLb1EEEEDaS1P_S1Q_EUlS1P_E_NS1_11comp_targetILNS1_3genE3ELNS1_11target_archE908ELNS1_3gpuE7ELNS1_3repE0EEENS1_30default_config_static_selectorELNS0_4arch9wavefront6targetE1EEEvS12_,comdat
	.globl	_ZN7rocprim17ROCPRIM_400000_NS6detail17trampoline_kernelINS0_13select_configILj256ELj13ELNS0_17block_load_methodE3ELS4_3ELS4_3ELNS0_20block_scan_algorithmE0ELj4294967295EEENS1_25partition_config_selectorILNS1_17partition_subalgoE4EjNS0_10empty_typeEbEEZZNS1_14partition_implILS8_4ELb0ES6_15HIP_vector_typeIjLj2EENS0_17counting_iteratorIjlEEPS9_SG_NS0_5tupleIJPjSI_NS0_16reverse_iteratorISI_EEEEENSH_IJSG_SG_SG_EEES9_SI_JZNS1_25segmented_radix_sort_implINS0_14default_configELb1EPKfPfPKlPlN2at6native12_GLOBAL__N_18offset_tEEE10hipError_tPvRmT1_PNSt15iterator_traitsIS12_E10value_typeET2_T3_PNS13_IS18_E10value_typeET4_jRbjT5_S1E_jjP12ihipStream_tbEUljE_ZNSN_ISO_Lb1ESQ_SR_ST_SU_SY_EESZ_S10_S11_S12_S16_S17_S18_S1B_S1C_jS1D_jS1E_S1E_jjS1G_bEUljE0_EEESZ_S10_S11_S18_S1C_S1E_T6_T7_T9_mT8_S1G_bDpT10_ENKUlT_T0_E_clISt17integral_constantIbLb0EES1T_IbLb1EEEEDaS1P_S1Q_EUlS1P_E_NS1_11comp_targetILNS1_3genE3ELNS1_11target_archE908ELNS1_3gpuE7ELNS1_3repE0EEENS1_30default_config_static_selectorELNS0_4arch9wavefront6targetE1EEEvS12_ ; -- Begin function _ZN7rocprim17ROCPRIM_400000_NS6detail17trampoline_kernelINS0_13select_configILj256ELj13ELNS0_17block_load_methodE3ELS4_3ELS4_3ELNS0_20block_scan_algorithmE0ELj4294967295EEENS1_25partition_config_selectorILNS1_17partition_subalgoE4EjNS0_10empty_typeEbEEZZNS1_14partition_implILS8_4ELb0ES6_15HIP_vector_typeIjLj2EENS0_17counting_iteratorIjlEEPS9_SG_NS0_5tupleIJPjSI_NS0_16reverse_iteratorISI_EEEEENSH_IJSG_SG_SG_EEES9_SI_JZNS1_25segmented_radix_sort_implINS0_14default_configELb1EPKfPfPKlPlN2at6native12_GLOBAL__N_18offset_tEEE10hipError_tPvRmT1_PNSt15iterator_traitsIS12_E10value_typeET2_T3_PNS13_IS18_E10value_typeET4_jRbjT5_S1E_jjP12ihipStream_tbEUljE_ZNSN_ISO_Lb1ESQ_SR_ST_SU_SY_EESZ_S10_S11_S12_S16_S17_S18_S1B_S1C_jS1D_jS1E_S1E_jjS1G_bEUljE0_EEESZ_S10_S11_S18_S1C_S1E_T6_T7_T9_mT8_S1G_bDpT10_ENKUlT_T0_E_clISt17integral_constantIbLb0EES1T_IbLb1EEEEDaS1P_S1Q_EUlS1P_E_NS1_11comp_targetILNS1_3genE3ELNS1_11target_archE908ELNS1_3gpuE7ELNS1_3repE0EEENS1_30default_config_static_selectorELNS0_4arch9wavefront6targetE1EEEvS12_
	.p2align	8
	.type	_ZN7rocprim17ROCPRIM_400000_NS6detail17trampoline_kernelINS0_13select_configILj256ELj13ELNS0_17block_load_methodE3ELS4_3ELS4_3ELNS0_20block_scan_algorithmE0ELj4294967295EEENS1_25partition_config_selectorILNS1_17partition_subalgoE4EjNS0_10empty_typeEbEEZZNS1_14partition_implILS8_4ELb0ES6_15HIP_vector_typeIjLj2EENS0_17counting_iteratorIjlEEPS9_SG_NS0_5tupleIJPjSI_NS0_16reverse_iteratorISI_EEEEENSH_IJSG_SG_SG_EEES9_SI_JZNS1_25segmented_radix_sort_implINS0_14default_configELb1EPKfPfPKlPlN2at6native12_GLOBAL__N_18offset_tEEE10hipError_tPvRmT1_PNSt15iterator_traitsIS12_E10value_typeET2_T3_PNS13_IS18_E10value_typeET4_jRbjT5_S1E_jjP12ihipStream_tbEUljE_ZNSN_ISO_Lb1ESQ_SR_ST_SU_SY_EESZ_S10_S11_S12_S16_S17_S18_S1B_S1C_jS1D_jS1E_S1E_jjS1G_bEUljE0_EEESZ_S10_S11_S18_S1C_S1E_T6_T7_T9_mT8_S1G_bDpT10_ENKUlT_T0_E_clISt17integral_constantIbLb0EES1T_IbLb1EEEEDaS1P_S1Q_EUlS1P_E_NS1_11comp_targetILNS1_3genE3ELNS1_11target_archE908ELNS1_3gpuE7ELNS1_3repE0EEENS1_30default_config_static_selectorELNS0_4arch9wavefront6targetE1EEEvS12_,@function
_ZN7rocprim17ROCPRIM_400000_NS6detail17trampoline_kernelINS0_13select_configILj256ELj13ELNS0_17block_load_methodE3ELS4_3ELS4_3ELNS0_20block_scan_algorithmE0ELj4294967295EEENS1_25partition_config_selectorILNS1_17partition_subalgoE4EjNS0_10empty_typeEbEEZZNS1_14partition_implILS8_4ELb0ES6_15HIP_vector_typeIjLj2EENS0_17counting_iteratorIjlEEPS9_SG_NS0_5tupleIJPjSI_NS0_16reverse_iteratorISI_EEEEENSH_IJSG_SG_SG_EEES9_SI_JZNS1_25segmented_radix_sort_implINS0_14default_configELb1EPKfPfPKlPlN2at6native12_GLOBAL__N_18offset_tEEE10hipError_tPvRmT1_PNSt15iterator_traitsIS12_E10value_typeET2_T3_PNS13_IS18_E10value_typeET4_jRbjT5_S1E_jjP12ihipStream_tbEUljE_ZNSN_ISO_Lb1ESQ_SR_ST_SU_SY_EESZ_S10_S11_S12_S16_S17_S18_S1B_S1C_jS1D_jS1E_S1E_jjS1G_bEUljE0_EEESZ_S10_S11_S18_S1C_S1E_T6_T7_T9_mT8_S1G_bDpT10_ENKUlT_T0_E_clISt17integral_constantIbLb0EES1T_IbLb1EEEEDaS1P_S1Q_EUlS1P_E_NS1_11comp_targetILNS1_3genE3ELNS1_11target_archE908ELNS1_3gpuE7ELNS1_3repE0EEENS1_30default_config_static_selectorELNS0_4arch9wavefront6targetE1EEEvS12_: ; @_ZN7rocprim17ROCPRIM_400000_NS6detail17trampoline_kernelINS0_13select_configILj256ELj13ELNS0_17block_load_methodE3ELS4_3ELS4_3ELNS0_20block_scan_algorithmE0ELj4294967295EEENS1_25partition_config_selectorILNS1_17partition_subalgoE4EjNS0_10empty_typeEbEEZZNS1_14partition_implILS8_4ELb0ES6_15HIP_vector_typeIjLj2EENS0_17counting_iteratorIjlEEPS9_SG_NS0_5tupleIJPjSI_NS0_16reverse_iteratorISI_EEEEENSH_IJSG_SG_SG_EEES9_SI_JZNS1_25segmented_radix_sort_implINS0_14default_configELb1EPKfPfPKlPlN2at6native12_GLOBAL__N_18offset_tEEE10hipError_tPvRmT1_PNSt15iterator_traitsIS12_E10value_typeET2_T3_PNS13_IS18_E10value_typeET4_jRbjT5_S1E_jjP12ihipStream_tbEUljE_ZNSN_ISO_Lb1ESQ_SR_ST_SU_SY_EESZ_S10_S11_S12_S16_S17_S18_S1B_S1C_jS1D_jS1E_S1E_jjS1G_bEUljE0_EEESZ_S10_S11_S18_S1C_S1E_T6_T7_T9_mT8_S1G_bDpT10_ENKUlT_T0_E_clISt17integral_constantIbLb0EES1T_IbLb1EEEEDaS1P_S1Q_EUlS1P_E_NS1_11comp_targetILNS1_3genE3ELNS1_11target_archE908ELNS1_3gpuE7ELNS1_3repE0EEENS1_30default_config_static_selectorELNS0_4arch9wavefront6targetE1EEEvS12_
; %bb.0:
	.section	.rodata,"a",@progbits
	.p2align	6, 0x0
	.amdhsa_kernel _ZN7rocprim17ROCPRIM_400000_NS6detail17trampoline_kernelINS0_13select_configILj256ELj13ELNS0_17block_load_methodE3ELS4_3ELS4_3ELNS0_20block_scan_algorithmE0ELj4294967295EEENS1_25partition_config_selectorILNS1_17partition_subalgoE4EjNS0_10empty_typeEbEEZZNS1_14partition_implILS8_4ELb0ES6_15HIP_vector_typeIjLj2EENS0_17counting_iteratorIjlEEPS9_SG_NS0_5tupleIJPjSI_NS0_16reverse_iteratorISI_EEEEENSH_IJSG_SG_SG_EEES9_SI_JZNS1_25segmented_radix_sort_implINS0_14default_configELb1EPKfPfPKlPlN2at6native12_GLOBAL__N_18offset_tEEE10hipError_tPvRmT1_PNSt15iterator_traitsIS12_E10value_typeET2_T3_PNS13_IS18_E10value_typeET4_jRbjT5_S1E_jjP12ihipStream_tbEUljE_ZNSN_ISO_Lb1ESQ_SR_ST_SU_SY_EESZ_S10_S11_S12_S16_S17_S18_S1B_S1C_jS1D_jS1E_S1E_jjS1G_bEUljE0_EEESZ_S10_S11_S18_S1C_S1E_T6_T7_T9_mT8_S1G_bDpT10_ENKUlT_T0_E_clISt17integral_constantIbLb0EES1T_IbLb1EEEEDaS1P_S1Q_EUlS1P_E_NS1_11comp_targetILNS1_3genE3ELNS1_11target_archE908ELNS1_3gpuE7ELNS1_3repE0EEENS1_30default_config_static_selectorELNS0_4arch9wavefront6targetE1EEEvS12_
		.amdhsa_group_segment_fixed_size 0
		.amdhsa_private_segment_fixed_size 0
		.amdhsa_kernarg_size 184
		.amdhsa_user_sgpr_count 6
		.amdhsa_user_sgpr_private_segment_buffer 1
		.amdhsa_user_sgpr_dispatch_ptr 0
		.amdhsa_user_sgpr_queue_ptr 0
		.amdhsa_user_sgpr_kernarg_segment_ptr 1
		.amdhsa_user_sgpr_dispatch_id 0
		.amdhsa_user_sgpr_flat_scratch_init 0
		.amdhsa_user_sgpr_private_segment_size 0
		.amdhsa_uses_dynamic_stack 0
		.amdhsa_system_sgpr_private_segment_wavefront_offset 0
		.amdhsa_system_sgpr_workgroup_id_x 1
		.amdhsa_system_sgpr_workgroup_id_y 0
		.amdhsa_system_sgpr_workgroup_id_z 0
		.amdhsa_system_sgpr_workgroup_info 0
		.amdhsa_system_vgpr_workitem_id 0
		.amdhsa_next_free_vgpr 1
		.amdhsa_next_free_sgpr 0
		.amdhsa_reserve_vcc 0
		.amdhsa_reserve_flat_scratch 0
		.amdhsa_float_round_mode_32 0
		.amdhsa_float_round_mode_16_64 0
		.amdhsa_float_denorm_mode_32 3
		.amdhsa_float_denorm_mode_16_64 3
		.amdhsa_dx10_clamp 1
		.amdhsa_ieee_mode 1
		.amdhsa_fp16_overflow 0
		.amdhsa_exception_fp_ieee_invalid_op 0
		.amdhsa_exception_fp_denorm_src 0
		.amdhsa_exception_fp_ieee_div_zero 0
		.amdhsa_exception_fp_ieee_overflow 0
		.amdhsa_exception_fp_ieee_underflow 0
		.amdhsa_exception_fp_ieee_inexact 0
		.amdhsa_exception_int_div_zero 0
	.end_amdhsa_kernel
	.section	.text._ZN7rocprim17ROCPRIM_400000_NS6detail17trampoline_kernelINS0_13select_configILj256ELj13ELNS0_17block_load_methodE3ELS4_3ELS4_3ELNS0_20block_scan_algorithmE0ELj4294967295EEENS1_25partition_config_selectorILNS1_17partition_subalgoE4EjNS0_10empty_typeEbEEZZNS1_14partition_implILS8_4ELb0ES6_15HIP_vector_typeIjLj2EENS0_17counting_iteratorIjlEEPS9_SG_NS0_5tupleIJPjSI_NS0_16reverse_iteratorISI_EEEEENSH_IJSG_SG_SG_EEES9_SI_JZNS1_25segmented_radix_sort_implINS0_14default_configELb1EPKfPfPKlPlN2at6native12_GLOBAL__N_18offset_tEEE10hipError_tPvRmT1_PNSt15iterator_traitsIS12_E10value_typeET2_T3_PNS13_IS18_E10value_typeET4_jRbjT5_S1E_jjP12ihipStream_tbEUljE_ZNSN_ISO_Lb1ESQ_SR_ST_SU_SY_EESZ_S10_S11_S12_S16_S17_S18_S1B_S1C_jS1D_jS1E_S1E_jjS1G_bEUljE0_EEESZ_S10_S11_S18_S1C_S1E_T6_T7_T9_mT8_S1G_bDpT10_ENKUlT_T0_E_clISt17integral_constantIbLb0EES1T_IbLb1EEEEDaS1P_S1Q_EUlS1P_E_NS1_11comp_targetILNS1_3genE3ELNS1_11target_archE908ELNS1_3gpuE7ELNS1_3repE0EEENS1_30default_config_static_selectorELNS0_4arch9wavefront6targetE1EEEvS12_,"axG",@progbits,_ZN7rocprim17ROCPRIM_400000_NS6detail17trampoline_kernelINS0_13select_configILj256ELj13ELNS0_17block_load_methodE3ELS4_3ELS4_3ELNS0_20block_scan_algorithmE0ELj4294967295EEENS1_25partition_config_selectorILNS1_17partition_subalgoE4EjNS0_10empty_typeEbEEZZNS1_14partition_implILS8_4ELb0ES6_15HIP_vector_typeIjLj2EENS0_17counting_iteratorIjlEEPS9_SG_NS0_5tupleIJPjSI_NS0_16reverse_iteratorISI_EEEEENSH_IJSG_SG_SG_EEES9_SI_JZNS1_25segmented_radix_sort_implINS0_14default_configELb1EPKfPfPKlPlN2at6native12_GLOBAL__N_18offset_tEEE10hipError_tPvRmT1_PNSt15iterator_traitsIS12_E10value_typeET2_T3_PNS13_IS18_E10value_typeET4_jRbjT5_S1E_jjP12ihipStream_tbEUljE_ZNSN_ISO_Lb1ESQ_SR_ST_SU_SY_EESZ_S10_S11_S12_S16_S17_S18_S1B_S1C_jS1D_jS1E_S1E_jjS1G_bEUljE0_EEESZ_S10_S11_S18_S1C_S1E_T6_T7_T9_mT8_S1G_bDpT10_ENKUlT_T0_E_clISt17integral_constantIbLb0EES1T_IbLb1EEEEDaS1P_S1Q_EUlS1P_E_NS1_11comp_targetILNS1_3genE3ELNS1_11target_archE908ELNS1_3gpuE7ELNS1_3repE0EEENS1_30default_config_static_selectorELNS0_4arch9wavefront6targetE1EEEvS12_,comdat
.Lfunc_end1288:
	.size	_ZN7rocprim17ROCPRIM_400000_NS6detail17trampoline_kernelINS0_13select_configILj256ELj13ELNS0_17block_load_methodE3ELS4_3ELS4_3ELNS0_20block_scan_algorithmE0ELj4294967295EEENS1_25partition_config_selectorILNS1_17partition_subalgoE4EjNS0_10empty_typeEbEEZZNS1_14partition_implILS8_4ELb0ES6_15HIP_vector_typeIjLj2EENS0_17counting_iteratorIjlEEPS9_SG_NS0_5tupleIJPjSI_NS0_16reverse_iteratorISI_EEEEENSH_IJSG_SG_SG_EEES9_SI_JZNS1_25segmented_radix_sort_implINS0_14default_configELb1EPKfPfPKlPlN2at6native12_GLOBAL__N_18offset_tEEE10hipError_tPvRmT1_PNSt15iterator_traitsIS12_E10value_typeET2_T3_PNS13_IS18_E10value_typeET4_jRbjT5_S1E_jjP12ihipStream_tbEUljE_ZNSN_ISO_Lb1ESQ_SR_ST_SU_SY_EESZ_S10_S11_S12_S16_S17_S18_S1B_S1C_jS1D_jS1E_S1E_jjS1G_bEUljE0_EEESZ_S10_S11_S18_S1C_S1E_T6_T7_T9_mT8_S1G_bDpT10_ENKUlT_T0_E_clISt17integral_constantIbLb0EES1T_IbLb1EEEEDaS1P_S1Q_EUlS1P_E_NS1_11comp_targetILNS1_3genE3ELNS1_11target_archE908ELNS1_3gpuE7ELNS1_3repE0EEENS1_30default_config_static_selectorELNS0_4arch9wavefront6targetE1EEEvS12_, .Lfunc_end1288-_ZN7rocprim17ROCPRIM_400000_NS6detail17trampoline_kernelINS0_13select_configILj256ELj13ELNS0_17block_load_methodE3ELS4_3ELS4_3ELNS0_20block_scan_algorithmE0ELj4294967295EEENS1_25partition_config_selectorILNS1_17partition_subalgoE4EjNS0_10empty_typeEbEEZZNS1_14partition_implILS8_4ELb0ES6_15HIP_vector_typeIjLj2EENS0_17counting_iteratorIjlEEPS9_SG_NS0_5tupleIJPjSI_NS0_16reverse_iteratorISI_EEEEENSH_IJSG_SG_SG_EEES9_SI_JZNS1_25segmented_radix_sort_implINS0_14default_configELb1EPKfPfPKlPlN2at6native12_GLOBAL__N_18offset_tEEE10hipError_tPvRmT1_PNSt15iterator_traitsIS12_E10value_typeET2_T3_PNS13_IS18_E10value_typeET4_jRbjT5_S1E_jjP12ihipStream_tbEUljE_ZNSN_ISO_Lb1ESQ_SR_ST_SU_SY_EESZ_S10_S11_S12_S16_S17_S18_S1B_S1C_jS1D_jS1E_S1E_jjS1G_bEUljE0_EEESZ_S10_S11_S18_S1C_S1E_T6_T7_T9_mT8_S1G_bDpT10_ENKUlT_T0_E_clISt17integral_constantIbLb0EES1T_IbLb1EEEEDaS1P_S1Q_EUlS1P_E_NS1_11comp_targetILNS1_3genE3ELNS1_11target_archE908ELNS1_3gpuE7ELNS1_3repE0EEENS1_30default_config_static_selectorELNS0_4arch9wavefront6targetE1EEEvS12_
                                        ; -- End function
	.set _ZN7rocprim17ROCPRIM_400000_NS6detail17trampoline_kernelINS0_13select_configILj256ELj13ELNS0_17block_load_methodE3ELS4_3ELS4_3ELNS0_20block_scan_algorithmE0ELj4294967295EEENS1_25partition_config_selectorILNS1_17partition_subalgoE4EjNS0_10empty_typeEbEEZZNS1_14partition_implILS8_4ELb0ES6_15HIP_vector_typeIjLj2EENS0_17counting_iteratorIjlEEPS9_SG_NS0_5tupleIJPjSI_NS0_16reverse_iteratorISI_EEEEENSH_IJSG_SG_SG_EEES9_SI_JZNS1_25segmented_radix_sort_implINS0_14default_configELb1EPKfPfPKlPlN2at6native12_GLOBAL__N_18offset_tEEE10hipError_tPvRmT1_PNSt15iterator_traitsIS12_E10value_typeET2_T3_PNS13_IS18_E10value_typeET4_jRbjT5_S1E_jjP12ihipStream_tbEUljE_ZNSN_ISO_Lb1ESQ_SR_ST_SU_SY_EESZ_S10_S11_S12_S16_S17_S18_S1B_S1C_jS1D_jS1E_S1E_jjS1G_bEUljE0_EEESZ_S10_S11_S18_S1C_S1E_T6_T7_T9_mT8_S1G_bDpT10_ENKUlT_T0_E_clISt17integral_constantIbLb0EES1T_IbLb1EEEEDaS1P_S1Q_EUlS1P_E_NS1_11comp_targetILNS1_3genE3ELNS1_11target_archE908ELNS1_3gpuE7ELNS1_3repE0EEENS1_30default_config_static_selectorELNS0_4arch9wavefront6targetE1EEEvS12_.num_vgpr, 0
	.set _ZN7rocprim17ROCPRIM_400000_NS6detail17trampoline_kernelINS0_13select_configILj256ELj13ELNS0_17block_load_methodE3ELS4_3ELS4_3ELNS0_20block_scan_algorithmE0ELj4294967295EEENS1_25partition_config_selectorILNS1_17partition_subalgoE4EjNS0_10empty_typeEbEEZZNS1_14partition_implILS8_4ELb0ES6_15HIP_vector_typeIjLj2EENS0_17counting_iteratorIjlEEPS9_SG_NS0_5tupleIJPjSI_NS0_16reverse_iteratorISI_EEEEENSH_IJSG_SG_SG_EEES9_SI_JZNS1_25segmented_radix_sort_implINS0_14default_configELb1EPKfPfPKlPlN2at6native12_GLOBAL__N_18offset_tEEE10hipError_tPvRmT1_PNSt15iterator_traitsIS12_E10value_typeET2_T3_PNS13_IS18_E10value_typeET4_jRbjT5_S1E_jjP12ihipStream_tbEUljE_ZNSN_ISO_Lb1ESQ_SR_ST_SU_SY_EESZ_S10_S11_S12_S16_S17_S18_S1B_S1C_jS1D_jS1E_S1E_jjS1G_bEUljE0_EEESZ_S10_S11_S18_S1C_S1E_T6_T7_T9_mT8_S1G_bDpT10_ENKUlT_T0_E_clISt17integral_constantIbLb0EES1T_IbLb1EEEEDaS1P_S1Q_EUlS1P_E_NS1_11comp_targetILNS1_3genE3ELNS1_11target_archE908ELNS1_3gpuE7ELNS1_3repE0EEENS1_30default_config_static_selectorELNS0_4arch9wavefront6targetE1EEEvS12_.num_agpr, 0
	.set _ZN7rocprim17ROCPRIM_400000_NS6detail17trampoline_kernelINS0_13select_configILj256ELj13ELNS0_17block_load_methodE3ELS4_3ELS4_3ELNS0_20block_scan_algorithmE0ELj4294967295EEENS1_25partition_config_selectorILNS1_17partition_subalgoE4EjNS0_10empty_typeEbEEZZNS1_14partition_implILS8_4ELb0ES6_15HIP_vector_typeIjLj2EENS0_17counting_iteratorIjlEEPS9_SG_NS0_5tupleIJPjSI_NS0_16reverse_iteratorISI_EEEEENSH_IJSG_SG_SG_EEES9_SI_JZNS1_25segmented_radix_sort_implINS0_14default_configELb1EPKfPfPKlPlN2at6native12_GLOBAL__N_18offset_tEEE10hipError_tPvRmT1_PNSt15iterator_traitsIS12_E10value_typeET2_T3_PNS13_IS18_E10value_typeET4_jRbjT5_S1E_jjP12ihipStream_tbEUljE_ZNSN_ISO_Lb1ESQ_SR_ST_SU_SY_EESZ_S10_S11_S12_S16_S17_S18_S1B_S1C_jS1D_jS1E_S1E_jjS1G_bEUljE0_EEESZ_S10_S11_S18_S1C_S1E_T6_T7_T9_mT8_S1G_bDpT10_ENKUlT_T0_E_clISt17integral_constantIbLb0EES1T_IbLb1EEEEDaS1P_S1Q_EUlS1P_E_NS1_11comp_targetILNS1_3genE3ELNS1_11target_archE908ELNS1_3gpuE7ELNS1_3repE0EEENS1_30default_config_static_selectorELNS0_4arch9wavefront6targetE1EEEvS12_.numbered_sgpr, 0
	.set _ZN7rocprim17ROCPRIM_400000_NS6detail17trampoline_kernelINS0_13select_configILj256ELj13ELNS0_17block_load_methodE3ELS4_3ELS4_3ELNS0_20block_scan_algorithmE0ELj4294967295EEENS1_25partition_config_selectorILNS1_17partition_subalgoE4EjNS0_10empty_typeEbEEZZNS1_14partition_implILS8_4ELb0ES6_15HIP_vector_typeIjLj2EENS0_17counting_iteratorIjlEEPS9_SG_NS0_5tupleIJPjSI_NS0_16reverse_iteratorISI_EEEEENSH_IJSG_SG_SG_EEES9_SI_JZNS1_25segmented_radix_sort_implINS0_14default_configELb1EPKfPfPKlPlN2at6native12_GLOBAL__N_18offset_tEEE10hipError_tPvRmT1_PNSt15iterator_traitsIS12_E10value_typeET2_T3_PNS13_IS18_E10value_typeET4_jRbjT5_S1E_jjP12ihipStream_tbEUljE_ZNSN_ISO_Lb1ESQ_SR_ST_SU_SY_EESZ_S10_S11_S12_S16_S17_S18_S1B_S1C_jS1D_jS1E_S1E_jjS1G_bEUljE0_EEESZ_S10_S11_S18_S1C_S1E_T6_T7_T9_mT8_S1G_bDpT10_ENKUlT_T0_E_clISt17integral_constantIbLb0EES1T_IbLb1EEEEDaS1P_S1Q_EUlS1P_E_NS1_11comp_targetILNS1_3genE3ELNS1_11target_archE908ELNS1_3gpuE7ELNS1_3repE0EEENS1_30default_config_static_selectorELNS0_4arch9wavefront6targetE1EEEvS12_.num_named_barrier, 0
	.set _ZN7rocprim17ROCPRIM_400000_NS6detail17trampoline_kernelINS0_13select_configILj256ELj13ELNS0_17block_load_methodE3ELS4_3ELS4_3ELNS0_20block_scan_algorithmE0ELj4294967295EEENS1_25partition_config_selectorILNS1_17partition_subalgoE4EjNS0_10empty_typeEbEEZZNS1_14partition_implILS8_4ELb0ES6_15HIP_vector_typeIjLj2EENS0_17counting_iteratorIjlEEPS9_SG_NS0_5tupleIJPjSI_NS0_16reverse_iteratorISI_EEEEENSH_IJSG_SG_SG_EEES9_SI_JZNS1_25segmented_radix_sort_implINS0_14default_configELb1EPKfPfPKlPlN2at6native12_GLOBAL__N_18offset_tEEE10hipError_tPvRmT1_PNSt15iterator_traitsIS12_E10value_typeET2_T3_PNS13_IS18_E10value_typeET4_jRbjT5_S1E_jjP12ihipStream_tbEUljE_ZNSN_ISO_Lb1ESQ_SR_ST_SU_SY_EESZ_S10_S11_S12_S16_S17_S18_S1B_S1C_jS1D_jS1E_S1E_jjS1G_bEUljE0_EEESZ_S10_S11_S18_S1C_S1E_T6_T7_T9_mT8_S1G_bDpT10_ENKUlT_T0_E_clISt17integral_constantIbLb0EES1T_IbLb1EEEEDaS1P_S1Q_EUlS1P_E_NS1_11comp_targetILNS1_3genE3ELNS1_11target_archE908ELNS1_3gpuE7ELNS1_3repE0EEENS1_30default_config_static_selectorELNS0_4arch9wavefront6targetE1EEEvS12_.private_seg_size, 0
	.set _ZN7rocprim17ROCPRIM_400000_NS6detail17trampoline_kernelINS0_13select_configILj256ELj13ELNS0_17block_load_methodE3ELS4_3ELS4_3ELNS0_20block_scan_algorithmE0ELj4294967295EEENS1_25partition_config_selectorILNS1_17partition_subalgoE4EjNS0_10empty_typeEbEEZZNS1_14partition_implILS8_4ELb0ES6_15HIP_vector_typeIjLj2EENS0_17counting_iteratorIjlEEPS9_SG_NS0_5tupleIJPjSI_NS0_16reverse_iteratorISI_EEEEENSH_IJSG_SG_SG_EEES9_SI_JZNS1_25segmented_radix_sort_implINS0_14default_configELb1EPKfPfPKlPlN2at6native12_GLOBAL__N_18offset_tEEE10hipError_tPvRmT1_PNSt15iterator_traitsIS12_E10value_typeET2_T3_PNS13_IS18_E10value_typeET4_jRbjT5_S1E_jjP12ihipStream_tbEUljE_ZNSN_ISO_Lb1ESQ_SR_ST_SU_SY_EESZ_S10_S11_S12_S16_S17_S18_S1B_S1C_jS1D_jS1E_S1E_jjS1G_bEUljE0_EEESZ_S10_S11_S18_S1C_S1E_T6_T7_T9_mT8_S1G_bDpT10_ENKUlT_T0_E_clISt17integral_constantIbLb0EES1T_IbLb1EEEEDaS1P_S1Q_EUlS1P_E_NS1_11comp_targetILNS1_3genE3ELNS1_11target_archE908ELNS1_3gpuE7ELNS1_3repE0EEENS1_30default_config_static_selectorELNS0_4arch9wavefront6targetE1EEEvS12_.uses_vcc, 0
	.set _ZN7rocprim17ROCPRIM_400000_NS6detail17trampoline_kernelINS0_13select_configILj256ELj13ELNS0_17block_load_methodE3ELS4_3ELS4_3ELNS0_20block_scan_algorithmE0ELj4294967295EEENS1_25partition_config_selectorILNS1_17partition_subalgoE4EjNS0_10empty_typeEbEEZZNS1_14partition_implILS8_4ELb0ES6_15HIP_vector_typeIjLj2EENS0_17counting_iteratorIjlEEPS9_SG_NS0_5tupleIJPjSI_NS0_16reverse_iteratorISI_EEEEENSH_IJSG_SG_SG_EEES9_SI_JZNS1_25segmented_radix_sort_implINS0_14default_configELb1EPKfPfPKlPlN2at6native12_GLOBAL__N_18offset_tEEE10hipError_tPvRmT1_PNSt15iterator_traitsIS12_E10value_typeET2_T3_PNS13_IS18_E10value_typeET4_jRbjT5_S1E_jjP12ihipStream_tbEUljE_ZNSN_ISO_Lb1ESQ_SR_ST_SU_SY_EESZ_S10_S11_S12_S16_S17_S18_S1B_S1C_jS1D_jS1E_S1E_jjS1G_bEUljE0_EEESZ_S10_S11_S18_S1C_S1E_T6_T7_T9_mT8_S1G_bDpT10_ENKUlT_T0_E_clISt17integral_constantIbLb0EES1T_IbLb1EEEEDaS1P_S1Q_EUlS1P_E_NS1_11comp_targetILNS1_3genE3ELNS1_11target_archE908ELNS1_3gpuE7ELNS1_3repE0EEENS1_30default_config_static_selectorELNS0_4arch9wavefront6targetE1EEEvS12_.uses_flat_scratch, 0
	.set _ZN7rocprim17ROCPRIM_400000_NS6detail17trampoline_kernelINS0_13select_configILj256ELj13ELNS0_17block_load_methodE3ELS4_3ELS4_3ELNS0_20block_scan_algorithmE0ELj4294967295EEENS1_25partition_config_selectorILNS1_17partition_subalgoE4EjNS0_10empty_typeEbEEZZNS1_14partition_implILS8_4ELb0ES6_15HIP_vector_typeIjLj2EENS0_17counting_iteratorIjlEEPS9_SG_NS0_5tupleIJPjSI_NS0_16reverse_iteratorISI_EEEEENSH_IJSG_SG_SG_EEES9_SI_JZNS1_25segmented_radix_sort_implINS0_14default_configELb1EPKfPfPKlPlN2at6native12_GLOBAL__N_18offset_tEEE10hipError_tPvRmT1_PNSt15iterator_traitsIS12_E10value_typeET2_T3_PNS13_IS18_E10value_typeET4_jRbjT5_S1E_jjP12ihipStream_tbEUljE_ZNSN_ISO_Lb1ESQ_SR_ST_SU_SY_EESZ_S10_S11_S12_S16_S17_S18_S1B_S1C_jS1D_jS1E_S1E_jjS1G_bEUljE0_EEESZ_S10_S11_S18_S1C_S1E_T6_T7_T9_mT8_S1G_bDpT10_ENKUlT_T0_E_clISt17integral_constantIbLb0EES1T_IbLb1EEEEDaS1P_S1Q_EUlS1P_E_NS1_11comp_targetILNS1_3genE3ELNS1_11target_archE908ELNS1_3gpuE7ELNS1_3repE0EEENS1_30default_config_static_selectorELNS0_4arch9wavefront6targetE1EEEvS12_.has_dyn_sized_stack, 0
	.set _ZN7rocprim17ROCPRIM_400000_NS6detail17trampoline_kernelINS0_13select_configILj256ELj13ELNS0_17block_load_methodE3ELS4_3ELS4_3ELNS0_20block_scan_algorithmE0ELj4294967295EEENS1_25partition_config_selectorILNS1_17partition_subalgoE4EjNS0_10empty_typeEbEEZZNS1_14partition_implILS8_4ELb0ES6_15HIP_vector_typeIjLj2EENS0_17counting_iteratorIjlEEPS9_SG_NS0_5tupleIJPjSI_NS0_16reverse_iteratorISI_EEEEENSH_IJSG_SG_SG_EEES9_SI_JZNS1_25segmented_radix_sort_implINS0_14default_configELb1EPKfPfPKlPlN2at6native12_GLOBAL__N_18offset_tEEE10hipError_tPvRmT1_PNSt15iterator_traitsIS12_E10value_typeET2_T3_PNS13_IS18_E10value_typeET4_jRbjT5_S1E_jjP12ihipStream_tbEUljE_ZNSN_ISO_Lb1ESQ_SR_ST_SU_SY_EESZ_S10_S11_S12_S16_S17_S18_S1B_S1C_jS1D_jS1E_S1E_jjS1G_bEUljE0_EEESZ_S10_S11_S18_S1C_S1E_T6_T7_T9_mT8_S1G_bDpT10_ENKUlT_T0_E_clISt17integral_constantIbLb0EES1T_IbLb1EEEEDaS1P_S1Q_EUlS1P_E_NS1_11comp_targetILNS1_3genE3ELNS1_11target_archE908ELNS1_3gpuE7ELNS1_3repE0EEENS1_30default_config_static_selectorELNS0_4arch9wavefront6targetE1EEEvS12_.has_recursion, 0
	.set _ZN7rocprim17ROCPRIM_400000_NS6detail17trampoline_kernelINS0_13select_configILj256ELj13ELNS0_17block_load_methodE3ELS4_3ELS4_3ELNS0_20block_scan_algorithmE0ELj4294967295EEENS1_25partition_config_selectorILNS1_17partition_subalgoE4EjNS0_10empty_typeEbEEZZNS1_14partition_implILS8_4ELb0ES6_15HIP_vector_typeIjLj2EENS0_17counting_iteratorIjlEEPS9_SG_NS0_5tupleIJPjSI_NS0_16reverse_iteratorISI_EEEEENSH_IJSG_SG_SG_EEES9_SI_JZNS1_25segmented_radix_sort_implINS0_14default_configELb1EPKfPfPKlPlN2at6native12_GLOBAL__N_18offset_tEEE10hipError_tPvRmT1_PNSt15iterator_traitsIS12_E10value_typeET2_T3_PNS13_IS18_E10value_typeET4_jRbjT5_S1E_jjP12ihipStream_tbEUljE_ZNSN_ISO_Lb1ESQ_SR_ST_SU_SY_EESZ_S10_S11_S12_S16_S17_S18_S1B_S1C_jS1D_jS1E_S1E_jjS1G_bEUljE0_EEESZ_S10_S11_S18_S1C_S1E_T6_T7_T9_mT8_S1G_bDpT10_ENKUlT_T0_E_clISt17integral_constantIbLb0EES1T_IbLb1EEEEDaS1P_S1Q_EUlS1P_E_NS1_11comp_targetILNS1_3genE3ELNS1_11target_archE908ELNS1_3gpuE7ELNS1_3repE0EEENS1_30default_config_static_selectorELNS0_4arch9wavefront6targetE1EEEvS12_.has_indirect_call, 0
	.section	.AMDGPU.csdata,"",@progbits
; Kernel info:
; codeLenInByte = 0
; TotalNumSgprs: 4
; NumVgprs: 0
; ScratchSize: 0
; MemoryBound: 0
; FloatMode: 240
; IeeeMode: 1
; LDSByteSize: 0 bytes/workgroup (compile time only)
; SGPRBlocks: 0
; VGPRBlocks: 0
; NumSGPRsForWavesPerEU: 4
; NumVGPRsForWavesPerEU: 1
; Occupancy: 10
; WaveLimiterHint : 0
; COMPUTE_PGM_RSRC2:SCRATCH_EN: 0
; COMPUTE_PGM_RSRC2:USER_SGPR: 6
; COMPUTE_PGM_RSRC2:TRAP_HANDLER: 0
; COMPUTE_PGM_RSRC2:TGID_X_EN: 1
; COMPUTE_PGM_RSRC2:TGID_Y_EN: 0
; COMPUTE_PGM_RSRC2:TGID_Z_EN: 0
; COMPUTE_PGM_RSRC2:TIDIG_COMP_CNT: 0
	.section	.text._ZN7rocprim17ROCPRIM_400000_NS6detail17trampoline_kernelINS0_13select_configILj256ELj13ELNS0_17block_load_methodE3ELS4_3ELS4_3ELNS0_20block_scan_algorithmE0ELj4294967295EEENS1_25partition_config_selectorILNS1_17partition_subalgoE4EjNS0_10empty_typeEbEEZZNS1_14partition_implILS8_4ELb0ES6_15HIP_vector_typeIjLj2EENS0_17counting_iteratorIjlEEPS9_SG_NS0_5tupleIJPjSI_NS0_16reverse_iteratorISI_EEEEENSH_IJSG_SG_SG_EEES9_SI_JZNS1_25segmented_radix_sort_implINS0_14default_configELb1EPKfPfPKlPlN2at6native12_GLOBAL__N_18offset_tEEE10hipError_tPvRmT1_PNSt15iterator_traitsIS12_E10value_typeET2_T3_PNS13_IS18_E10value_typeET4_jRbjT5_S1E_jjP12ihipStream_tbEUljE_ZNSN_ISO_Lb1ESQ_SR_ST_SU_SY_EESZ_S10_S11_S12_S16_S17_S18_S1B_S1C_jS1D_jS1E_S1E_jjS1G_bEUljE0_EEESZ_S10_S11_S18_S1C_S1E_T6_T7_T9_mT8_S1G_bDpT10_ENKUlT_T0_E_clISt17integral_constantIbLb0EES1T_IbLb1EEEEDaS1P_S1Q_EUlS1P_E_NS1_11comp_targetILNS1_3genE2ELNS1_11target_archE906ELNS1_3gpuE6ELNS1_3repE0EEENS1_30default_config_static_selectorELNS0_4arch9wavefront6targetE1EEEvS12_,"axG",@progbits,_ZN7rocprim17ROCPRIM_400000_NS6detail17trampoline_kernelINS0_13select_configILj256ELj13ELNS0_17block_load_methodE3ELS4_3ELS4_3ELNS0_20block_scan_algorithmE0ELj4294967295EEENS1_25partition_config_selectorILNS1_17partition_subalgoE4EjNS0_10empty_typeEbEEZZNS1_14partition_implILS8_4ELb0ES6_15HIP_vector_typeIjLj2EENS0_17counting_iteratorIjlEEPS9_SG_NS0_5tupleIJPjSI_NS0_16reverse_iteratorISI_EEEEENSH_IJSG_SG_SG_EEES9_SI_JZNS1_25segmented_radix_sort_implINS0_14default_configELb1EPKfPfPKlPlN2at6native12_GLOBAL__N_18offset_tEEE10hipError_tPvRmT1_PNSt15iterator_traitsIS12_E10value_typeET2_T3_PNS13_IS18_E10value_typeET4_jRbjT5_S1E_jjP12ihipStream_tbEUljE_ZNSN_ISO_Lb1ESQ_SR_ST_SU_SY_EESZ_S10_S11_S12_S16_S17_S18_S1B_S1C_jS1D_jS1E_S1E_jjS1G_bEUljE0_EEESZ_S10_S11_S18_S1C_S1E_T6_T7_T9_mT8_S1G_bDpT10_ENKUlT_T0_E_clISt17integral_constantIbLb0EES1T_IbLb1EEEEDaS1P_S1Q_EUlS1P_E_NS1_11comp_targetILNS1_3genE2ELNS1_11target_archE906ELNS1_3gpuE6ELNS1_3repE0EEENS1_30default_config_static_selectorELNS0_4arch9wavefront6targetE1EEEvS12_,comdat
	.globl	_ZN7rocprim17ROCPRIM_400000_NS6detail17trampoline_kernelINS0_13select_configILj256ELj13ELNS0_17block_load_methodE3ELS4_3ELS4_3ELNS0_20block_scan_algorithmE0ELj4294967295EEENS1_25partition_config_selectorILNS1_17partition_subalgoE4EjNS0_10empty_typeEbEEZZNS1_14partition_implILS8_4ELb0ES6_15HIP_vector_typeIjLj2EENS0_17counting_iteratorIjlEEPS9_SG_NS0_5tupleIJPjSI_NS0_16reverse_iteratorISI_EEEEENSH_IJSG_SG_SG_EEES9_SI_JZNS1_25segmented_radix_sort_implINS0_14default_configELb1EPKfPfPKlPlN2at6native12_GLOBAL__N_18offset_tEEE10hipError_tPvRmT1_PNSt15iterator_traitsIS12_E10value_typeET2_T3_PNS13_IS18_E10value_typeET4_jRbjT5_S1E_jjP12ihipStream_tbEUljE_ZNSN_ISO_Lb1ESQ_SR_ST_SU_SY_EESZ_S10_S11_S12_S16_S17_S18_S1B_S1C_jS1D_jS1E_S1E_jjS1G_bEUljE0_EEESZ_S10_S11_S18_S1C_S1E_T6_T7_T9_mT8_S1G_bDpT10_ENKUlT_T0_E_clISt17integral_constantIbLb0EES1T_IbLb1EEEEDaS1P_S1Q_EUlS1P_E_NS1_11comp_targetILNS1_3genE2ELNS1_11target_archE906ELNS1_3gpuE6ELNS1_3repE0EEENS1_30default_config_static_selectorELNS0_4arch9wavefront6targetE1EEEvS12_ ; -- Begin function _ZN7rocprim17ROCPRIM_400000_NS6detail17trampoline_kernelINS0_13select_configILj256ELj13ELNS0_17block_load_methodE3ELS4_3ELS4_3ELNS0_20block_scan_algorithmE0ELj4294967295EEENS1_25partition_config_selectorILNS1_17partition_subalgoE4EjNS0_10empty_typeEbEEZZNS1_14partition_implILS8_4ELb0ES6_15HIP_vector_typeIjLj2EENS0_17counting_iteratorIjlEEPS9_SG_NS0_5tupleIJPjSI_NS0_16reverse_iteratorISI_EEEEENSH_IJSG_SG_SG_EEES9_SI_JZNS1_25segmented_radix_sort_implINS0_14default_configELb1EPKfPfPKlPlN2at6native12_GLOBAL__N_18offset_tEEE10hipError_tPvRmT1_PNSt15iterator_traitsIS12_E10value_typeET2_T3_PNS13_IS18_E10value_typeET4_jRbjT5_S1E_jjP12ihipStream_tbEUljE_ZNSN_ISO_Lb1ESQ_SR_ST_SU_SY_EESZ_S10_S11_S12_S16_S17_S18_S1B_S1C_jS1D_jS1E_S1E_jjS1G_bEUljE0_EEESZ_S10_S11_S18_S1C_S1E_T6_T7_T9_mT8_S1G_bDpT10_ENKUlT_T0_E_clISt17integral_constantIbLb0EES1T_IbLb1EEEEDaS1P_S1Q_EUlS1P_E_NS1_11comp_targetILNS1_3genE2ELNS1_11target_archE906ELNS1_3gpuE6ELNS1_3repE0EEENS1_30default_config_static_selectorELNS0_4arch9wavefront6targetE1EEEvS12_
	.p2align	8
	.type	_ZN7rocprim17ROCPRIM_400000_NS6detail17trampoline_kernelINS0_13select_configILj256ELj13ELNS0_17block_load_methodE3ELS4_3ELS4_3ELNS0_20block_scan_algorithmE0ELj4294967295EEENS1_25partition_config_selectorILNS1_17partition_subalgoE4EjNS0_10empty_typeEbEEZZNS1_14partition_implILS8_4ELb0ES6_15HIP_vector_typeIjLj2EENS0_17counting_iteratorIjlEEPS9_SG_NS0_5tupleIJPjSI_NS0_16reverse_iteratorISI_EEEEENSH_IJSG_SG_SG_EEES9_SI_JZNS1_25segmented_radix_sort_implINS0_14default_configELb1EPKfPfPKlPlN2at6native12_GLOBAL__N_18offset_tEEE10hipError_tPvRmT1_PNSt15iterator_traitsIS12_E10value_typeET2_T3_PNS13_IS18_E10value_typeET4_jRbjT5_S1E_jjP12ihipStream_tbEUljE_ZNSN_ISO_Lb1ESQ_SR_ST_SU_SY_EESZ_S10_S11_S12_S16_S17_S18_S1B_S1C_jS1D_jS1E_S1E_jjS1G_bEUljE0_EEESZ_S10_S11_S18_S1C_S1E_T6_T7_T9_mT8_S1G_bDpT10_ENKUlT_T0_E_clISt17integral_constantIbLb0EES1T_IbLb1EEEEDaS1P_S1Q_EUlS1P_E_NS1_11comp_targetILNS1_3genE2ELNS1_11target_archE906ELNS1_3gpuE6ELNS1_3repE0EEENS1_30default_config_static_selectorELNS0_4arch9wavefront6targetE1EEEvS12_,@function
_ZN7rocprim17ROCPRIM_400000_NS6detail17trampoline_kernelINS0_13select_configILj256ELj13ELNS0_17block_load_methodE3ELS4_3ELS4_3ELNS0_20block_scan_algorithmE0ELj4294967295EEENS1_25partition_config_selectorILNS1_17partition_subalgoE4EjNS0_10empty_typeEbEEZZNS1_14partition_implILS8_4ELb0ES6_15HIP_vector_typeIjLj2EENS0_17counting_iteratorIjlEEPS9_SG_NS0_5tupleIJPjSI_NS0_16reverse_iteratorISI_EEEEENSH_IJSG_SG_SG_EEES9_SI_JZNS1_25segmented_radix_sort_implINS0_14default_configELb1EPKfPfPKlPlN2at6native12_GLOBAL__N_18offset_tEEE10hipError_tPvRmT1_PNSt15iterator_traitsIS12_E10value_typeET2_T3_PNS13_IS18_E10value_typeET4_jRbjT5_S1E_jjP12ihipStream_tbEUljE_ZNSN_ISO_Lb1ESQ_SR_ST_SU_SY_EESZ_S10_S11_S12_S16_S17_S18_S1B_S1C_jS1D_jS1E_S1E_jjS1G_bEUljE0_EEESZ_S10_S11_S18_S1C_S1E_T6_T7_T9_mT8_S1G_bDpT10_ENKUlT_T0_E_clISt17integral_constantIbLb0EES1T_IbLb1EEEEDaS1P_S1Q_EUlS1P_E_NS1_11comp_targetILNS1_3genE2ELNS1_11target_archE906ELNS1_3gpuE6ELNS1_3repE0EEENS1_30default_config_static_selectorELNS0_4arch9wavefront6targetE1EEEvS12_: ; @_ZN7rocprim17ROCPRIM_400000_NS6detail17trampoline_kernelINS0_13select_configILj256ELj13ELNS0_17block_load_methodE3ELS4_3ELS4_3ELNS0_20block_scan_algorithmE0ELj4294967295EEENS1_25partition_config_selectorILNS1_17partition_subalgoE4EjNS0_10empty_typeEbEEZZNS1_14partition_implILS8_4ELb0ES6_15HIP_vector_typeIjLj2EENS0_17counting_iteratorIjlEEPS9_SG_NS0_5tupleIJPjSI_NS0_16reverse_iteratorISI_EEEEENSH_IJSG_SG_SG_EEES9_SI_JZNS1_25segmented_radix_sort_implINS0_14default_configELb1EPKfPfPKlPlN2at6native12_GLOBAL__N_18offset_tEEE10hipError_tPvRmT1_PNSt15iterator_traitsIS12_E10value_typeET2_T3_PNS13_IS18_E10value_typeET4_jRbjT5_S1E_jjP12ihipStream_tbEUljE_ZNSN_ISO_Lb1ESQ_SR_ST_SU_SY_EESZ_S10_S11_S12_S16_S17_S18_S1B_S1C_jS1D_jS1E_S1E_jjS1G_bEUljE0_EEESZ_S10_S11_S18_S1C_S1E_T6_T7_T9_mT8_S1G_bDpT10_ENKUlT_T0_E_clISt17integral_constantIbLb0EES1T_IbLb1EEEEDaS1P_S1Q_EUlS1P_E_NS1_11comp_targetILNS1_3genE2ELNS1_11target_archE906ELNS1_3gpuE6ELNS1_3repE0EEENS1_30default_config_static_selectorELNS0_4arch9wavefront6targetE1EEEvS12_
; %bb.0:
	s_load_dwordx2 s[52:53], s[4:5], 0x10
	s_load_dwordx4 s[48:51], s[4:5], 0x28
	s_load_dwordx2 s[30:31], s[4:5], 0x38
	s_load_dwordx4 s[44:47], s[4:5], 0x58
	s_load_dwordx2 s[6:7], s[4:5], 0x68
	s_load_dwordx2 s[54:55], s[4:5], 0x78
	;; [unrolled: 1-line block ×3, first 2 shown]
	s_load_dwordx8 s[36:43], s[4:5], 0x90
	v_cmp_eq_u32_e64 s[0:1], 0, v0
	s_and_saveexec_b64 s[2:3], s[0:1]
	s_cbranch_execz .LBB1289_4
; %bb.1:
	s_mov_b64 s[10:11], exec
	v_mbcnt_lo_u32_b32 v1, s10, 0
	v_mbcnt_hi_u32_b32 v1, s11, v1
	v_cmp_eq_u32_e32 vcc, 0, v1
                                        ; implicit-def: $vgpr2
	s_and_saveexec_b64 s[8:9], vcc
	s_cbranch_execz .LBB1289_3
; %bb.2:
	s_load_dwordx2 s[12:13], s[4:5], 0x88
	s_bcnt1_i32_b64 s10, s[10:11]
	v_mov_b32_e32 v2, 0
	v_mov_b32_e32 v3, s10
	s_waitcnt lgkmcnt(0)
	global_atomic_add v2, v2, v3, s[12:13] glc
.LBB1289_3:
	s_or_b64 exec, exec, s[8:9]
	s_waitcnt vmcnt(0)
	v_readfirstlane_b32 s8, v2
	v_add_u32_e32 v1, s8, v1
	v_mov_b32_e32 v2, 0
	ds_write_b32 v2, v1
.LBB1289_4:
	s_or_b64 exec, exec, s[2:3]
	v_mov_b32_e32 v1, 0
	s_load_dword s2, s[4:5], 0x8
	s_load_dword s8, s[4:5], 0x80
	s_waitcnt lgkmcnt(0)
	s_barrier
	ds_read_b32 v7, v1
	s_waitcnt lgkmcnt(0)
	s_barrier
	global_load_dwordx4 v[1:4], v1, s[46:47]
	s_add_i32 s9, s2, s52
	s_movk_i32 s2, 0xd00
	s_add_i32 s4, s8, -1
	s_mulk_i32 s8, 0xd00
	v_mul_lo_u32 v33, v7, s2
	s_add_u32 s2, s52, s8
	s_addc_u32 s3, s53, 0
	v_mov_b32_e32 v6, s3
	v_mov_b32_e32 v5, s2
	v_readfirstlane_b32 s33, v7
	v_cmp_gt_u64_e32 vcc, s[6:7], v[5:6]
	s_cmp_eq_u32 s33, s4
	v_cmp_ne_u32_e64 s[2:3], s4, v7
	s_cselect_b64 s[34:35], -1, 0
	s_or_b64 s[4:5], vcc, s[2:3]
	v_add_u32_e32 v5, s9, v33
	s_mov_b64 s[2:3], -1
	s_and_b64 vcc, exec, s[4:5]
	v_add_u32_e32 v5, v5, v0
	s_cbranch_vccz .LBB1289_6
; %bb.5:
	v_add_u32_e32 v6, 0x100, v5
	v_lshlrev_b32_e32 v18, 2, v0
	v_add_u32_e32 v7, 0x200, v5
	v_add_u32_e32 v8, 0x300, v5
	;; [unrolled: 1-line block ×11, first 2 shown]
	ds_write2st64_b32 v18, v5, v6 offset1:4
	ds_write2st64_b32 v18, v7, v8 offset0:8 offset1:12
	ds_write2st64_b32 v18, v9, v10 offset0:16 offset1:20
	;; [unrolled: 1-line block ×5, first 2 shown]
	ds_write_b32 v18, v17 offset:12288
	s_waitcnt vmcnt(0) lgkmcnt(0)
	s_barrier
	s_mov_b64 s[2:3], 0
.LBB1289_6:
	s_andn2_b64 vcc, exec, s[2:3]
	s_add_i32 s8, s8, s52
	s_cbranch_vccnz .LBB1289_8
; %bb.7:
	v_add_u32_e32 v6, 0x100, v5
	v_lshlrev_b32_e32 v18, 2, v0
	v_add_u32_e32 v7, 0x200, v5
	v_add_u32_e32 v8, 0x300, v5
	;; [unrolled: 1-line block ×11, first 2 shown]
	ds_write2st64_b32 v18, v5, v6 offset1:4
	ds_write2st64_b32 v18, v7, v8 offset0:8 offset1:12
	ds_write2st64_b32 v18, v9, v10 offset0:16 offset1:20
	ds_write2st64_b32 v18, v11, v12 offset0:24 offset1:28
	ds_write2st64_b32 v18, v13, v14 offset0:32 offset1:36
	ds_write2st64_b32 v18, v15, v16 offset0:40 offset1:44
	ds_write_b32 v18, v17 offset:12288
	s_waitcnt vmcnt(0) lgkmcnt(0)
	s_barrier
.LBB1289_8:
	v_mul_u32_u24_e32 v35, 13, v0
	v_lshlrev_b32_e32 v5, 2, v35
	ds_read_b32 v34, v5 offset:48
	ds_read2_b32 v[13:14], v5 offset0:10 offset1:11
	ds_read2_b32 v[15:16], v5 offset0:8 offset1:9
	;; [unrolled: 1-line block ×4, first 2 shown]
	ds_read2_b32 v[23:24], v5 offset1:1
	ds_read2_b32 v[21:22], v5 offset0:2 offset1:3
	v_cndmask_b32_e64 v5, 0, 1, s[4:5]
	s_sub_i32 s86, s6, s8
	v_cmp_ne_u32_e64 s[2:3], 1, v5
	s_andn2_b64 vcc, exec, s[4:5]
	s_waitcnt vmcnt(0) lgkmcnt(0)
	s_barrier
	s_cbranch_vccnz .LBB1289_36
; %bb.9:
	v_add_u32_e32 v5, s37, v23
	v_add_u32_e32 v6, s39, v23
	v_mul_lo_u32 v5, v5, s36
	v_mul_lo_u32 v6, v6, s38
	s_mov_b64 s[58:59], 0
	s_mov_b64 s[46:47], 0
	v_sub_u32_e32 v5, v5, v6
	v_cmp_lt_u32_e32 vcc, s40, v5
	v_cmp_ge_u32_e64 s[4:5], s40, v5
	s_and_saveexec_b64 s[6:7], s[4:5]
	s_cbranch_execz .LBB1289_11
; %bb.10:
	v_add_u32_e32 v5, s42, v23
	v_add_u32_e32 v6, s56, v23
	v_mul_lo_u32 v5, v5, s41
	v_mul_lo_u32 v6, v6, s43
	v_sub_u32_e32 v5, v5, v6
	v_cmp_lt_u32_e64 s[4:5], s57, v5
	s_and_b64 s[46:47], s[4:5], exec
.LBB1289_11:
	s_or_b64 exec, exec, s[6:7]
	v_add_u32_e32 v5, s37, v24
	v_add_u32_e32 v6, s39, v24
	v_mul_lo_u32 v5, v5, s36
	v_mul_lo_u32 v6, v6, s38
	v_sub_u32_e32 v5, v5, v6
	v_cmp_lt_u32_e64 s[4:5], s40, v5
	v_cmp_ge_u32_e64 s[6:7], s40, v5
	s_and_saveexec_b64 s[8:9], s[6:7]
	s_cbranch_execz .LBB1289_13
; %bb.12:
	v_add_u32_e32 v5, s42, v24
	v_add_u32_e32 v6, s56, v24
	v_mul_lo_u32 v5, v5, s41
	v_mul_lo_u32 v6, v6, s43
	v_sub_u32_e32 v5, v5, v6
	v_cmp_lt_u32_e64 s[6:7], s57, v5
	s_and_b64 s[58:59], s[6:7], exec
.LBB1289_13:
	s_or_b64 exec, exec, s[8:9]
	v_add_u32_e32 v5, s37, v21
	v_add_u32_e32 v6, s39, v21
	v_mul_lo_u32 v5, v5, s36
	v_mul_lo_u32 v6, v6, s38
	s_mov_b64 s[62:63], 0
	s_mov_b64 s[60:61], 0
	v_sub_u32_e32 v5, v5, v6
	v_cmp_lt_u32_e64 s[6:7], s40, v5
	v_cmp_ge_u32_e64 s[8:9], s40, v5
	s_and_saveexec_b64 s[10:11], s[8:9]
	s_cbranch_execz .LBB1289_15
; %bb.14:
	v_add_u32_e32 v5, s42, v21
	v_add_u32_e32 v6, s56, v21
	v_mul_lo_u32 v5, v5, s41
	v_mul_lo_u32 v6, v6, s43
	v_sub_u32_e32 v5, v5, v6
	v_cmp_lt_u32_e64 s[8:9], s57, v5
	s_and_b64 s[60:61], s[8:9], exec
.LBB1289_15:
	s_or_b64 exec, exec, s[10:11]
	v_add_u32_e32 v5, s37, v22
	v_add_u32_e32 v6, s39, v22
	v_mul_lo_u32 v5, v5, s36
	v_mul_lo_u32 v6, v6, s38
	v_sub_u32_e32 v5, v5, v6
	v_cmp_lt_u32_e64 s[8:9], s40, v5
	v_cmp_ge_u32_e64 s[10:11], s40, v5
	s_and_saveexec_b64 s[12:13], s[10:11]
	s_cbranch_execz .LBB1289_17
; %bb.16:
	v_add_u32_e32 v5, s42, v22
	v_add_u32_e32 v6, s56, v22
	v_mul_lo_u32 v5, v5, s41
	v_mul_lo_u32 v6, v6, s43
	v_sub_u32_e32 v5, v5, v6
	v_cmp_lt_u32_e64 s[10:11], s57, v5
	s_and_b64 s[62:63], s[10:11], exec
.LBB1289_17:
	s_or_b64 exec, exec, s[12:13]
	v_add_u32_e32 v5, s37, v19
	v_add_u32_e32 v6, s39, v19
	v_mul_lo_u32 v5, v5, s36
	v_mul_lo_u32 v6, v6, s38
	s_mov_b64 s[66:67], 0
	s_mov_b64 s[64:65], 0
	v_sub_u32_e32 v5, v5, v6
	v_cmp_lt_u32_e64 s[10:11], s40, v5
	;; [unrolled: 40-line block ×6, first 2 shown]
	v_cmp_ge_u32_e64 s[28:29], s40, v5
	s_and_saveexec_b64 s[84:85], s[28:29]
	s_cbranch_execz .LBB1289_35
; %bb.34:
	v_add_u32_e32 v5, s42, v34
	v_add_u32_e32 v6, s56, v34
	v_mul_lo_u32 v5, v5, s41
	v_mul_lo_u32 v6, v6, s43
	v_sub_u32_e32 v5, v5, v6
	v_cmp_lt_u32_e64 s[28:29], s57, v5
	s_and_b64 s[82:83], s[28:29], exec
.LBB1289_35:
	s_or_b64 exec, exec, s[84:85]
	v_cndmask_b32_e64 v6, 0, 1, s[4:5]
	v_cndmask_b32_e64 v5, 0, 1, vcc
	v_cndmask_b32_e64 v8, 0, 1, s[8:9]
	v_lshlrev_b16_e32 v6, 8, v6
	v_cndmask_b32_e64 v7, 0, 1, s[6:7]
	v_or_b32_e32 v5, v5, v6
	v_lshlrev_b16_e32 v6, 8, v8
	v_cndmask_b32_e64 v10, 0, 1, s[12:13]
	v_cndmask_b32_e64 v12, 0, 1, s[16:17]
	v_or_b32_sdwa v6, v7, v6 dst_sel:WORD_1 dst_unused:UNUSED_PAD src0_sel:DWORD src1_sel:DWORD
	v_cndmask_b32_e64 v9, 0, 1, s[10:11]
	v_cndmask_b32_e64 v11, 0, 1, s[14:15]
	v_or_b32_sdwa v36, v5, v6 dst_sel:DWORD dst_unused:UNUSED_PAD src0_sel:WORD_0 src1_sel:DWORD
	v_lshlrev_b16_e32 v5, 8, v10
	v_lshlrev_b16_e32 v6, 8, v12
	v_cndmask_b32_e64 v26, 0, 1, s[20:21]
	v_cndmask_b32_e64 v29, 0, 1, s[24:25]
	v_or_b32_e32 v5, v9, v5
	v_or_b32_sdwa v6, v11, v6 dst_sel:WORD_1 dst_unused:UNUSED_PAD src0_sel:DWORD src1_sel:DWORD
	v_cndmask_b32_e64 v25, 0, 1, s[18:19]
	v_cndmask_b32_e64 v27, 0, 1, s[22:23]
	v_or_b32_sdwa v38, v5, v6 dst_sel:DWORD dst_unused:UNUSED_PAD src0_sel:WORD_0 src1_sel:DWORD
	v_lshlrev_b16_e32 v5, 8, v26
	v_lshlrev_b16_e32 v6, 8, v29
	v_cndmask_b32_e64 v42, 0, 1, s[60:61]
	v_cndmask_b32_e64 v47, 0, 1, s[46:47]
	v_or_b32_e32 v5, v25, v5
	;; [unrolled: 9-line block ×4, first 2 shown]
	v_or_b32_sdwa v6, v39, v6 dst_sel:WORD_1 dst_unused:UNUSED_PAD src0_sel:DWORD src1_sel:DWORD
	v_cndmask_b32_e64 v30, 0, 1, s[74:75]
	v_cndmask_b32_e64 v32, 0, 1, s[70:71]
	v_or_b32_sdwa v37, v5, v6 dst_sel:DWORD dst_unused:UNUSED_PAD src0_sel:WORD_0 src1_sel:DWORD
	v_lshlrev_b16_e32 v5, 8, v31
	v_lshlrev_b16_e32 v6, 8, v28
	v_or_b32_e32 v5, v32, v5
	v_or_b32_sdwa v6, v30, v6 dst_sel:WORD_1 dst_unused:UNUSED_PAD src0_sel:DWORD src1_sel:DWORD
	v_cndmask_b32_e64 v40, 0, 1, s[78:79]
	v_cndmask_b32_e64 v43, 0, 1, s[82:83]
	v_or_b32_sdwa v39, v5, v6 dst_sel:DWORD dst_unused:UNUSED_PAD src0_sel:WORD_0 src1_sel:DWORD
	s_add_i32 s16, s86, 0xd00
	s_and_b64 vcc, exec, s[76:77]
	s_cbranch_vccnz .LBB1289_37
	s_branch .LBB1289_114
.LBB1289_36:
                                        ; implicit-def: $vgpr43
                                        ; implicit-def: $vgpr40
                                        ; implicit-def: $vgpr39
                                        ; implicit-def: $vgpr37
                                        ; implicit-def: $vgpr42
                                        ; implicit-def: $vgpr41
                                        ; implicit-def: $vgpr38
                                        ; implicit-def: $vgpr36
	s_add_i32 s16, s86, 0xd00
	s_cbranch_execz .LBB1289_114
.LBB1289_37:
	v_cmp_gt_u32_e32 vcc, s16, v35
	v_mov_b32_e32 v6, 0
	v_mov_b32_e32 v5, 0
	s_and_saveexec_b64 s[6:7], vcc
	s_cbranch_execz .LBB1289_41
; %bb.38:
	v_add_u32_e32 v5, s37, v23
	v_add_u32_e32 v6, s39, v23
	v_mul_lo_u32 v5, v5, s36
	v_mul_lo_u32 v6, v6, s38
	s_mov_b64 s[10:11], 0
	v_sub_u32_e32 v5, v5, v6
	v_cmp_lt_u32_e32 vcc, s40, v5
	v_cmp_ge_u32_e64 s[4:5], s40, v5
	s_and_saveexec_b64 s[8:9], s[4:5]
	s_cbranch_execz .LBB1289_40
; %bb.39:
	v_add_u32_e32 v5, s42, v23
	v_add_u32_e32 v6, s56, v23
	v_mul_lo_u32 v5, v5, s41
	v_mul_lo_u32 v6, v6, s43
	v_sub_u32_e32 v5, v5, v6
	v_cmp_lt_u32_e64 s[4:5], s57, v5
	s_and_b64 s[10:11], s[4:5], exec
.LBB1289_40:
	s_or_b64 exec, exec, s[8:9]
	v_cndmask_b32_e64 v6, 0, 1, s[10:11]
	v_cndmask_b32_e64 v5, 0, 1, vcc
.LBB1289_41:
	s_or_b64 exec, exec, s[6:7]
	v_lshlrev_b16_e32 v11, 8, v6
	v_add_u32_e32 v6, 1, v35
	v_cmp_le_u32_e32 vcc, s16, v6
	v_lshlrev_b16_e64 v8, 8, 0
                                        ; implicit-def: $vgpr7
                                        ; implicit-def: $vgpr9
                                        ; implicit-def: $vgpr10
                                        ; implicit-def: $vgpr6
                                        ; implicit-def: $vgpr12
	s_and_saveexec_b64 s[4:5], vcc
	s_xor_b64 s[4:5], exec, s[4:5]
; %bb.42:
	v_mov_b32_e32 v6, 8
	v_lshrrev_b32_sdwa v7, v6, v11 dst_sel:BYTE_1 dst_unused:UNUSED_PAD src0_sel:DWORD src1_sel:DWORD
	v_and_b32_e32 v12, 0xff, v5
	v_or_b32_sdwa v5, v11, v7 dst_sel:DWORD dst_unused:UNUSED_PAD src0_sel:BYTE_0 src1_sel:DWORD
	v_mov_b32_e32 v9, 0
	v_lshlrev_b16_e64 v8, 8, 0
	v_lshlrev_b16_e64 v6, 8, 0
	v_and_b32_e32 v10, 0xffff, v5
	v_lshlrev_b16_e64 v7, 8, 0
                                        ; implicit-def: $vgpr5
                                        ; implicit-def: $vgpr11
; %bb.43:
	s_andn2_saveexec_b64 s[6:7], s[4:5]
	s_cbranch_execz .LBB1289_47
; %bb.44:
	v_add_u32_e32 v6, s37, v24
	v_add_u32_e32 v7, s39, v24
	v_mul_lo_u32 v6, v6, s36
	v_mul_lo_u32 v7, v7, s38
	s_mov_b64 s[8:9], 0
	v_sub_u32_e32 v6, v6, v7
	v_cmp_lt_u32_e32 vcc, s40, v6
	v_cmp_ge_u32_e64 s[4:5], s40, v6
	s_and_saveexec_b64 s[10:11], s[4:5]
	s_cbranch_execz .LBB1289_46
; %bb.45:
	v_add_u32_e32 v6, s42, v24
	v_add_u32_e32 v7, s56, v24
	v_mul_lo_u32 v6, v6, s41
	v_mul_lo_u32 v7, v7, s43
	v_sub_u32_e32 v6, v6, v7
	v_cmp_lt_u32_e64 s[4:5], s57, v6
	s_and_b64 s[8:9], s[4:5], exec
.LBB1289_46:
	s_or_b64 exec, exec, s[10:11]
	v_cndmask_b32_e64 v7, 0, 1, vcc
	v_lshlrev_b16_e32 v7, 8, v7
	v_or_b32_sdwa v5, v5, v7 dst_sel:DWORD dst_unused:UNUSED_PAD src0_sel:BYTE_0 src1_sel:DWORD
	v_and_b32_e32 v12, 0xffff, v5
	v_mov_b32_e32 v5, 8
	v_lshrrev_b32_sdwa v5, v5, v11 dst_sel:BYTE_1 dst_unused:UNUSED_PAD src0_sel:DWORD src1_sel:DWORD
	v_or_b32_sdwa v5, v11, v5 dst_sel:DWORD dst_unused:UNUSED_PAD src0_sel:BYTE_0 src1_sel:DWORD
	v_and_b32_e32 v5, 0xffff, v5
	v_cndmask_b32_e64 v7, 0, 1, s[8:9]
	v_mov_b32_e32 v6, 0
	v_mov_b32_e32 v9, 0
	v_lshl_or_b32 v10, v7, 16, v5
	v_lshlrev_b16_e64 v7, 8, 0
.LBB1289_47:
	s_or_b64 exec, exec, s[6:7]
	v_add_u32_e32 v5, 2, v35
	v_cmp_le_u32_e32 vcc, s16, v5
	v_lshrrev_b32_e32 v25, 24, v12
                                        ; implicit-def: $vgpr5
                                        ; implicit-def: $vgpr11
	s_and_saveexec_b64 s[4:5], vcc
	s_xor_b64 s[4:5], exec, s[4:5]
	s_cbranch_execz .LBB1289_49
; %bb.48:
	s_mov_b32 s6, 0x40c0100
	v_perm_b32 v11, v25, v12, s6
	v_mov_b32_e32 v12, 8
	v_lshrrev_b32_sdwa v12, v12, v11 dst_sel:BYTE_1 dst_unused:UNUSED_PAD src0_sel:DWORD src1_sel:DWORD
	v_or_b32_sdwa v12, v11, v12 dst_sel:DWORD dst_unused:UNUSED_PAD src0_sel:BYTE_0 src1_sel:DWORD
	v_and_b32_e32 v12, 0xffff, v12
	s_mov_b32 s6, 0xff000000
	v_and_or_b32 v11, v11, s6, v12
	s_mov_b32 s6, 0x3060504
	v_and_b32_e32 v5, 0xff0000, v10
	v_perm_b32 v8, v8, v8, s6
	s_mov_b32 s6, 0x3020504
	v_perm_b32 v5, v10, v5, s6
                                        ; implicit-def: $vgpr12
                                        ; implicit-def: $vgpr25
                                        ; implicit-def: $vgpr10
.LBB1289_49:
	s_andn2_saveexec_b64 s[6:7], s[4:5]
	s_cbranch_execz .LBB1289_53
; %bb.50:
	v_add_u32_e32 v5, s37, v21
	v_add_u32_e32 v11, s39, v21
	v_mul_lo_u32 v5, v5, s36
	v_mul_lo_u32 v11, v11, s38
	s_mov_b64 s[8:9], 0
	v_sub_u32_e32 v5, v5, v11
	v_cmp_lt_u32_e32 vcc, s40, v5
	v_cmp_ge_u32_e64 s[4:5], s40, v5
	s_and_saveexec_b64 s[10:11], s[4:5]
	s_cbranch_execz .LBB1289_52
; %bb.51:
	v_add_u32_e32 v5, s42, v21
	v_add_u32_e32 v11, s56, v21
	v_mul_lo_u32 v5, v5, s41
	v_mul_lo_u32 v11, v11, s43
	v_sub_u32_e32 v5, v5, v11
	v_cmp_lt_u32_e64 s[4:5], s57, v5
	s_and_b64 s[8:9], s[4:5], exec
.LBB1289_52:
	s_or_b64 exec, exec, s[10:11]
	v_mov_b32_e32 v27, 8
	v_lshrrev_b32_sdwa v11, v27, v12 dst_sel:BYTE_1 dst_unused:UNUSED_PAD src0_sel:DWORD src1_sel:DWORD
	v_cndmask_b32_e64 v5, 0, 1, vcc
	v_or_b32_sdwa v11, v12, v11 dst_sel:DWORD dst_unused:UNUSED_PAD src0_sel:BYTE_0 src1_sel:DWORD
	v_lshlrev_b16_e32 v12, 8, v25
	v_or_b32_sdwa v5, v5, v12 dst_sel:WORD_1 dst_unused:UNUSED_PAD src0_sel:DWORD src1_sel:DWORD
	v_cndmask_b32_e64 v26, 0, 1, s[8:9]
	s_movk_i32 s4, 0xff
	v_or_b32_sdwa v11, v11, v5 dst_sel:DWORD dst_unused:UNUSED_PAD src0_sel:WORD_0 src1_sel:DWORD
	v_lshrrev_b32_sdwa v5, v27, v10 dst_sel:BYTE_1 dst_unused:UNUSED_PAD src0_sel:DWORD src1_sel:DWORD
	v_or_b32_sdwa v5, v10, v5 dst_sel:DWORD dst_unused:UNUSED_PAD src0_sel:BYTE_0 src1_sel:DWORD
	v_lshlrev_b16_e32 v12, 8, v26
	v_and_b32_sdwa v10, v10, s4 dst_sel:DWORD dst_unused:UNUSED_PAD src0_sel:WORD_1 src1_sel:DWORD
	v_or_b32_sdwa v10, v10, v12 dst_sel:WORD_1 dst_unused:UNUSED_PAD src0_sel:DWORD src1_sel:DWORD
	v_or_b32_sdwa v5, v5, v10 dst_sel:DWORD dst_unused:UNUSED_PAD src0_sel:WORD_0 src1_sel:DWORD
.LBB1289_53:
	s_or_b64 exec, exec, s[6:7]
	v_add_u32_e32 v10, 3, v35
	v_cmp_le_u32_e32 vcc, s16, v10
	v_lshrrev_b32_e32 v12, 24, v9
                                        ; implicit-def: $vgpr10
                                        ; implicit-def: $vgpr36
	s_and_saveexec_b64 s[4:5], vcc
	s_xor_b64 s[4:5], exec, s[4:5]
	s_cbranch_execz .LBB1289_55
; %bb.54:
	v_and_b32_e32 v10, 0xff0000, v11
	s_mov_b32 s6, 0x3020504
	s_movk_i32 s7, 0xff
	v_perm_b32 v36, v11, v10, s6
	v_lshlrev_b16_e32 v10, 8, v12
	v_and_b32_sdwa v11, v9, s7 dst_sel:DWORD dst_unused:UNUSED_PAD src0_sel:WORD_1 src1_sel:DWORD
	s_mov_b32 s6, 0x3060504
	v_or_b32_sdwa v10, v11, v10 dst_sel:WORD_1 dst_unused:UNUSED_PAD src0_sel:DWORD src1_sel:DWORD
	v_mov_b32_e32 v11, 8
	v_perm_b32 v8, v8, v8, s6
	v_lshrrev_b32_sdwa v10, v11, v9 dst_sel:BYTE_1 dst_unused:UNUSED_PRESERVE src0_sel:DWORD src1_sel:DWORD
	v_perm_b32 v7, v7, v7, s6
                                        ; implicit-def: $vgpr11
                                        ; implicit-def: $vgpr12
                                        ; implicit-def: $vgpr9
.LBB1289_55:
	s_andn2_saveexec_b64 s[6:7], s[4:5]
	s_cbranch_execz .LBB1289_59
; %bb.56:
	v_add_u32_e32 v10, s37, v22
	v_add_u32_e32 v25, s39, v22
	v_mul_lo_u32 v10, v10, s36
	v_mul_lo_u32 v25, v25, s38
	s_mov_b64 s[8:9], 0
	v_sub_u32_e32 v10, v10, v25
	v_cmp_lt_u32_e32 vcc, s40, v10
	v_cmp_ge_u32_e64 s[4:5], s40, v10
	s_and_saveexec_b64 s[10:11], s[4:5]
	s_cbranch_execz .LBB1289_58
; %bb.57:
	v_add_u32_e32 v10, s42, v22
	v_add_u32_e32 v25, s56, v22
	v_mul_lo_u32 v10, v10, s41
	v_mul_lo_u32 v25, v25, s43
	v_sub_u32_e32 v10, v10, v25
	v_cmp_lt_u32_e64 s[4:5], s57, v10
	s_and_b64 s[8:9], s[4:5], exec
.LBB1289_58:
	s_or_b64 exec, exec, s[10:11]
	v_mov_b32_e32 v26, 8
	v_cndmask_b32_e64 v10, 0, 1, vcc
	s_movk_i32 s4, 0xff
	v_lshrrev_b32_sdwa v27, v26, v11 dst_sel:BYTE_1 dst_unused:UNUSED_PAD src0_sel:DWORD src1_sel:DWORD
	v_or_b32_sdwa v27, v11, v27 dst_sel:DWORD dst_unused:UNUSED_PAD src0_sel:BYTE_0 src1_sel:DWORD
	v_lshlrev_b16_e32 v10, 8, v10
	v_and_b32_sdwa v11, v11, s4 dst_sel:DWORD dst_unused:UNUSED_PAD src0_sel:WORD_1 src1_sel:DWORD
	v_or_b32_sdwa v10, v11, v10 dst_sel:WORD_1 dst_unused:UNUSED_PAD src0_sel:DWORD src1_sel:DWORD
	v_cndmask_b32_e64 v25, 0, 1, s[8:9]
	v_or_b32_sdwa v36, v27, v10 dst_sel:DWORD dst_unused:UNUSED_PAD src0_sel:WORD_0 src1_sel:DWORD
	v_lshlrev_b16_e32 v10, 8, v12
	v_and_b32_sdwa v11, v9, s4 dst_sel:DWORD dst_unused:UNUSED_PAD src0_sel:WORD_1 src1_sel:DWORD
	v_lshrrev_b32_sdwa v9, v26, v9 dst_sel:BYTE_1 dst_unused:UNUSED_PAD src0_sel:DWORD src1_sel:DWORD
	v_or_b32_sdwa v10, v11, v10 dst_sel:WORD_1 dst_unused:UNUSED_PAD src0_sel:DWORD src1_sel:DWORD
	v_or_b32_e32 v9, v25, v9
	v_or_b32_sdwa v10, v9, v10 dst_sel:DWORD dst_unused:UNUSED_PAD src0_sel:WORD_0 src1_sel:DWORD
.LBB1289_59:
	s_or_b64 exec, exec, s[6:7]
	v_add_u32_e32 v9, 4, v35
	v_cmp_le_u32_e32 vcc, s16, v9
	v_lshrrev_b32_e32 v25, 24, v8
	v_lshrrev_b32_e32 v12, 24, v10
                                        ; implicit-def: $vgpr11
                                        ; implicit-def: $vgpr9
	s_and_saveexec_b64 s[4:5], vcc
	s_xor_b64 s[4:5], exec, s[4:5]
	s_cbranch_execz .LBB1289_61
; %bb.60:
	s_movk_i32 s6, 0xff
	v_lshlrev_b16_e32 v9, 8, v25
	v_and_b32_sdwa v25, v8, s6 dst_sel:DWORD dst_unused:UNUSED_PAD src0_sel:WORD_1 src1_sel:DWORD
	v_mov_b32_e32 v11, 8
	v_or_b32_sdwa v9, v25, v9 dst_sel:WORD_1 dst_unused:UNUSED_PAD src0_sel:DWORD src1_sel:DWORD
	v_lshrrev_b32_sdwa v9, v11, v8 dst_sel:BYTE_1 dst_unused:UNUSED_PRESERVE src0_sel:DWORD src1_sel:DWORD
	v_lshlrev_b16_e32 v8, 8, v12
	v_and_b32_sdwa v11, v10, s6 dst_sel:DWORD dst_unused:UNUSED_PAD src0_sel:WORD_1 src1_sel:DWORD
	v_or_b32_e32 v8, v11, v8
	s_mov_b32 s6, 0x5040c00
	v_perm_b32 v11, v8, v10, s6
	s_mov_b32 s6, 0x3060504
	v_perm_b32 v7, v7, v7, s6
                                        ; implicit-def: $vgpr25
                                        ; implicit-def: $vgpr8
                                        ; implicit-def: $vgpr10
                                        ; implicit-def: $vgpr12
.LBB1289_61:
	s_andn2_saveexec_b64 s[6:7], s[4:5]
	s_cbranch_execz .LBB1289_65
; %bb.62:
	v_add_u32_e32 v9, s37, v19
	v_add_u32_e32 v11, s39, v19
	v_mul_lo_u32 v9, v9, s36
	v_mul_lo_u32 v11, v11, s38
	s_mov_b64 s[8:9], 0
	v_sub_u32_e32 v9, v9, v11
	v_cmp_lt_u32_e32 vcc, s40, v9
	v_cmp_ge_u32_e64 s[4:5], s40, v9
	s_and_saveexec_b64 s[10:11], s[4:5]
	s_cbranch_execz .LBB1289_64
; %bb.63:
	v_add_u32_e32 v9, s42, v19
	v_add_u32_e32 v11, s56, v19
	v_mul_lo_u32 v9, v9, s41
	v_mul_lo_u32 v11, v11, s43
	v_sub_u32_e32 v9, v9, v11
	v_cmp_lt_u32_e64 s[4:5], s57, v9
	s_and_b64 s[8:9], s[4:5], exec
.LBB1289_64:
	s_or_b64 exec, exec, s[10:11]
	s_movk_i32 s4, 0xff
	v_lshlrev_b16_e32 v25, 8, v25
	v_and_b32_sdwa v26, v8, s4 dst_sel:DWORD dst_unused:UNUSED_PAD src0_sel:WORD_1 src1_sel:DWORD
	v_or_b32_sdwa v25, v26, v25 dst_sel:WORD_1 dst_unused:UNUSED_PAD src0_sel:DWORD src1_sel:DWORD
	v_mov_b32_e32 v26, 8
	v_cndmask_b32_e64 v9, 0, 1, vcc
	v_lshrrev_b32_sdwa v8, v26, v8 dst_sel:BYTE_1 dst_unused:UNUSED_PAD src0_sel:DWORD src1_sel:DWORD
	v_cndmask_b32_e64 v11, 0, 1, s[8:9]
	v_or_b32_e32 v8, v9, v8
	v_or_b32_sdwa v9, v8, v25 dst_sel:DWORD dst_unused:UNUSED_PAD src0_sel:WORD_0 src1_sel:DWORD
	v_lshlrev_b16_e32 v8, 8, v11
	v_or_b32_sdwa v8, v10, v8 dst_sel:DWORD dst_unused:UNUSED_PAD src0_sel:BYTE_0 src1_sel:DWORD
	v_lshlrev_b16_e32 v11, 8, v12
	v_and_b32_sdwa v10, v10, s4 dst_sel:DWORD dst_unused:UNUSED_PAD src0_sel:WORD_1 src1_sel:DWORD
	v_or_b32_sdwa v10, v10, v11 dst_sel:WORD_1 dst_unused:UNUSED_PAD src0_sel:DWORD src1_sel:DWORD
	v_or_b32_sdwa v11, v8, v10 dst_sel:DWORD dst_unused:UNUSED_PAD src0_sel:WORD_0 src1_sel:DWORD
.LBB1289_65:
	s_or_b64 exec, exec, s[6:7]
	v_add_u32_e32 v8, 5, v35
	v_cmp_le_u32_e32 vcc, s16, v8
	v_lshrrev_b32_e32 v12, 24, v11
	v_lshrrev_b32_e32 v25, 24, v9
                                        ; implicit-def: $vgpr8
                                        ; implicit-def: $vgpr10
	s_and_saveexec_b64 s[4:5], vcc
	s_xor_b64 s[4:5], exec, s[4:5]
	s_cbranch_execz .LBB1289_67
; %bb.66:
	s_mov_b32 s6, 0x40c0100
	v_perm_b32 v8, v12, v11, s6
	s_movk_i32 s6, 0xff
	v_lshlrev_b16_e32 v10, 8, v25
	v_and_b32_sdwa v11, v9, s6 dst_sel:DWORD dst_unused:UNUSED_PAD src0_sel:WORD_1 src1_sel:DWORD
	v_or_b32_e32 v10, v11, v10
	s_mov_b32 s6, 0x5040c00
	v_perm_b32 v10, v10, v9, s6
	v_mov_b32_e32 v9, 8
	v_lshrrev_b32_sdwa v9, v9, v8 dst_sel:BYTE_1 dst_unused:UNUSED_PAD src0_sel:DWORD src1_sel:DWORD
	v_or_b32_sdwa v9, v8, v9 dst_sel:DWORD dst_unused:UNUSED_PAD src0_sel:BYTE_0 src1_sel:DWORD
	v_and_b32_e32 v9, 0xffff, v9
	s_mov_b32 s6, 0xff000000
	v_and_or_b32 v8, v8, s6, v9
	s_mov_b32 s6, 0x3060504
	v_perm_b32 v7, v7, v7, s6
                                        ; implicit-def: $vgpr9
                                        ; implicit-def: $vgpr25
                                        ; implicit-def: $vgpr11
                                        ; implicit-def: $vgpr12
.LBB1289_67:
	s_andn2_saveexec_b64 s[6:7], s[4:5]
	s_cbranch_execz .LBB1289_71
; %bb.68:
	v_add_u32_e32 v8, s37, v20
	v_add_u32_e32 v10, s39, v20
	v_mul_lo_u32 v8, v8, s36
	v_mul_lo_u32 v10, v10, s38
	s_mov_b64 s[8:9], 0
	v_sub_u32_e32 v8, v8, v10
	v_cmp_lt_u32_e32 vcc, s40, v8
	v_cmp_ge_u32_e64 s[4:5], s40, v8
	s_and_saveexec_b64 s[10:11], s[4:5]
	s_cbranch_execz .LBB1289_70
; %bb.69:
	v_add_u32_e32 v8, s42, v20
	v_add_u32_e32 v10, s56, v20
	v_mul_lo_u32 v8, v8, s41
	v_mul_lo_u32 v10, v10, s43
	v_sub_u32_e32 v8, v8, v10
	v_cmp_lt_u32_e64 s[4:5], s57, v8
	s_and_b64 s[8:9], s[4:5], exec
.LBB1289_70:
	s_or_b64 exec, exec, s[10:11]
	v_cndmask_b32_e64 v8, 0, 1, vcc
	v_lshlrev_b16_e32 v8, 8, v8
	s_movk_i32 s4, 0xff
	v_or_b32_sdwa v8, v9, v8 dst_sel:DWORD dst_unused:UNUSED_PAD src0_sel:BYTE_0 src1_sel:DWORD
	v_lshlrev_b16_e32 v10, 8, v25
	v_and_b32_sdwa v9, v9, s4 dst_sel:DWORD dst_unused:UNUSED_PAD src0_sel:WORD_1 src1_sel:DWORD
	v_or_b32_sdwa v9, v9, v10 dst_sel:WORD_1 dst_unused:UNUSED_PAD src0_sel:DWORD src1_sel:DWORD
	v_or_b32_sdwa v10, v8, v9 dst_sel:DWORD dst_unused:UNUSED_PAD src0_sel:WORD_0 src1_sel:DWORD
	v_mov_b32_e32 v8, 8
	v_cndmask_b32_e64 v26, 0, 1, s[8:9]
	v_lshrrev_b32_sdwa v8, v8, v11 dst_sel:BYTE_1 dst_unused:UNUSED_PAD src0_sel:DWORD src1_sel:DWORD
	v_lshlrev_b16_e32 v9, 8, v12
	v_or_b32_sdwa v8, v11, v8 dst_sel:DWORD dst_unused:UNUSED_PAD src0_sel:BYTE_0 src1_sel:DWORD
	v_or_b32_sdwa v9, v26, v9 dst_sel:WORD_1 dst_unused:UNUSED_PAD src0_sel:DWORD src1_sel:DWORD
	v_or_b32_sdwa v8, v8, v9 dst_sel:DWORD dst_unused:UNUSED_PAD src0_sel:WORD_0 src1_sel:DWORD
.LBB1289_71:
	s_or_b64 exec, exec, s[6:7]
	v_add_u32_e32 v9, 6, v35
	v_cmp_le_u32_e32 vcc, s16, v9
	v_lshrrev_b32_e32 v11, 24, v10
                                        ; implicit-def: $vgpr37
                                        ; implicit-def: $vgpr9
	s_and_saveexec_b64 s[4:5], vcc
	s_xor_b64 s[4:5], exec, s[4:5]
	s_cbranch_execz .LBB1289_73
; %bb.72:
	s_mov_b32 s6, 0x40c0100
	v_perm_b32 v9, v11, v10, s6
	v_mov_b32_e32 v10, 8
	v_lshrrev_b32_sdwa v10, v10, v9 dst_sel:BYTE_1 dst_unused:UNUSED_PAD src0_sel:DWORD src1_sel:DWORD
	v_or_b32_sdwa v10, v9, v10 dst_sel:DWORD dst_unused:UNUSED_PAD src0_sel:BYTE_0 src1_sel:DWORD
	v_and_b32_e32 v10, 0xffff, v10
	s_mov_b32 s6, 0xff000000
	v_and_b32_e32 v12, 0xff0000, v8
	v_and_or_b32 v9, v9, s6, v10
	s_mov_b32 s6, 0x3020504
	v_perm_b32 v37, v8, v12, s6
	s_mov_b32 s6, 0x3060504
	v_perm_b32 v7, v7, v7, s6
                                        ; implicit-def: $vgpr10
                                        ; implicit-def: $vgpr11
                                        ; implicit-def: $vgpr8
.LBB1289_73:
	s_andn2_saveexec_b64 s[6:7], s[4:5]
	s_cbranch_execz .LBB1289_77
; %bb.74:
	v_add_u32_e32 v9, s37, v17
	v_add_u32_e32 v12, s39, v17
	v_mul_lo_u32 v9, v9, s36
	v_mul_lo_u32 v12, v12, s38
	s_mov_b64 s[8:9], 0
	v_sub_u32_e32 v9, v9, v12
	v_cmp_lt_u32_e32 vcc, s40, v9
	v_cmp_ge_u32_e64 s[4:5], s40, v9
	s_and_saveexec_b64 s[10:11], s[4:5]
	s_cbranch_execz .LBB1289_76
; %bb.75:
	v_add_u32_e32 v9, s42, v17
	v_add_u32_e32 v12, s56, v17
	v_mul_lo_u32 v9, v9, s41
	v_mul_lo_u32 v12, v12, s43
	v_sub_u32_e32 v9, v9, v12
	v_cmp_lt_u32_e64 s[4:5], s57, v9
	s_and_b64 s[8:9], s[4:5], exec
.LBB1289_76:
	s_or_b64 exec, exec, s[10:11]
	v_mov_b32_e32 v25, 8
	v_cndmask_b32_e64 v9, 0, 1, vcc
	v_lshrrev_b32_sdwa v26, v25, v10 dst_sel:BYTE_1 dst_unused:UNUSED_PAD src0_sel:DWORD src1_sel:DWORD
	v_lshlrev_b16_e32 v11, 8, v11
	v_or_b32_sdwa v10, v10, v26 dst_sel:DWORD dst_unused:UNUSED_PAD src0_sel:BYTE_0 src1_sel:DWORD
	v_or_b32_sdwa v9, v9, v11 dst_sel:WORD_1 dst_unused:UNUSED_PAD src0_sel:DWORD src1_sel:DWORD
	v_cndmask_b32_e64 v12, 0, 1, s[8:9]
	s_movk_i32 s4, 0xff
	v_or_b32_sdwa v9, v10, v9 dst_sel:DWORD dst_unused:UNUSED_PAD src0_sel:WORD_0 src1_sel:DWORD
	v_lshrrev_b32_sdwa v10, v25, v8 dst_sel:BYTE_1 dst_unused:UNUSED_PAD src0_sel:DWORD src1_sel:DWORD
	v_or_b32_sdwa v10, v8, v10 dst_sel:DWORD dst_unused:UNUSED_PAD src0_sel:BYTE_0 src1_sel:DWORD
	v_lshlrev_b16_e32 v11, 8, v12
	v_and_b32_sdwa v8, v8, s4 dst_sel:DWORD dst_unused:UNUSED_PAD src0_sel:WORD_1 src1_sel:DWORD
	v_or_b32_sdwa v8, v8, v11 dst_sel:WORD_1 dst_unused:UNUSED_PAD src0_sel:DWORD src1_sel:DWORD
	v_or_b32_sdwa v37, v10, v8 dst_sel:DWORD dst_unused:UNUSED_PAD src0_sel:WORD_0 src1_sel:DWORD
.LBB1289_77:
	s_or_b64 exec, exec, s[6:7]
	v_add_u32_e32 v8, 7, v35
	v_cmp_le_u32_e32 vcc, s16, v8
	v_lshrrev_b32_e32 v10, 24, v7
                                        ; implicit-def: $vgpr8
                                        ; implicit-def: $vgpr38
	s_and_saveexec_b64 s[4:5], vcc
	s_xor_b64 s[4:5], exec, s[4:5]
; %bb.78:
	v_and_b32_e32 v8, 0xff0000, v9
	s_mov_b32 s6, 0x3020504
	v_perm_b32 v38, v9, v8, s6
	s_movk_i32 s6, 0xff
	v_lshlrev_b16_e32 v8, 8, v10
	v_and_b32_sdwa v9, v7, s6 dst_sel:DWORD dst_unused:UNUSED_PAD src0_sel:WORD_1 src1_sel:DWORD
	v_mov_b32_e32 v11, 8
	v_or_b32_sdwa v8, v9, v8 dst_sel:WORD_1 dst_unused:UNUSED_PAD src0_sel:DWORD src1_sel:DWORD
	v_lshrrev_b32_sdwa v8, v11, v7 dst_sel:BYTE_1 dst_unused:UNUSED_PRESERVE src0_sel:DWORD src1_sel:DWORD
                                        ; implicit-def: $vgpr9
                                        ; implicit-def: $vgpr10
                                        ; implicit-def: $vgpr7
; %bb.79:
	s_andn2_saveexec_b64 s[6:7], s[4:5]
	s_cbranch_execz .LBB1289_83
; %bb.80:
	v_add_u32_e32 v8, s37, v18
	v_add_u32_e32 v11, s39, v18
	v_mul_lo_u32 v8, v8, s36
	v_mul_lo_u32 v11, v11, s38
	s_mov_b64 s[8:9], 0
	v_sub_u32_e32 v8, v8, v11
	v_cmp_lt_u32_e32 vcc, s40, v8
	v_cmp_ge_u32_e64 s[4:5], s40, v8
	s_and_saveexec_b64 s[10:11], s[4:5]
	s_cbranch_execz .LBB1289_82
; %bb.81:
	v_add_u32_e32 v8, s42, v18
	v_add_u32_e32 v11, s56, v18
	v_mul_lo_u32 v8, v8, s41
	v_mul_lo_u32 v11, v11, s43
	v_sub_u32_e32 v8, v8, v11
	v_cmp_lt_u32_e64 s[4:5], s57, v8
	s_and_b64 s[8:9], s[4:5], exec
.LBB1289_82:
	s_or_b64 exec, exec, s[10:11]
	v_mov_b32_e32 v12, 8
	v_cndmask_b32_e64 v8, 0, 1, vcc
	s_movk_i32 s4, 0xff
	v_lshrrev_b32_sdwa v25, v12, v9 dst_sel:BYTE_1 dst_unused:UNUSED_PAD src0_sel:DWORD src1_sel:DWORD
	v_or_b32_sdwa v25, v9, v25 dst_sel:DWORD dst_unused:UNUSED_PAD src0_sel:BYTE_0 src1_sel:DWORD
	v_lshlrev_b16_e32 v8, 8, v8
	v_and_b32_sdwa v9, v9, s4 dst_sel:DWORD dst_unused:UNUSED_PAD src0_sel:WORD_1 src1_sel:DWORD
	v_or_b32_sdwa v8, v9, v8 dst_sel:WORD_1 dst_unused:UNUSED_PAD src0_sel:DWORD src1_sel:DWORD
	v_cndmask_b32_e64 v11, 0, 1, s[8:9]
	v_or_b32_sdwa v38, v25, v8 dst_sel:DWORD dst_unused:UNUSED_PAD src0_sel:WORD_0 src1_sel:DWORD
	v_lshlrev_b16_e32 v8, 8, v10
	v_and_b32_sdwa v9, v7, s4 dst_sel:DWORD dst_unused:UNUSED_PAD src0_sel:WORD_1 src1_sel:DWORD
	v_lshrrev_b32_sdwa v7, v12, v7 dst_sel:BYTE_1 dst_unused:UNUSED_PAD src0_sel:DWORD src1_sel:DWORD
	v_or_b32_sdwa v8, v9, v8 dst_sel:WORD_1 dst_unused:UNUSED_PAD src0_sel:DWORD src1_sel:DWORD
	v_or_b32_e32 v7, v11, v7
	v_or_b32_sdwa v8, v7, v8 dst_sel:DWORD dst_unused:UNUSED_PAD src0_sel:WORD_0 src1_sel:DWORD
.LBB1289_83:
	s_or_b64 exec, exec, s[6:7]
	v_add_u32_e32 v7, 8, v35
	v_cmp_le_u32_e32 vcc, s16, v7
	v_lshrrev_b32_e32 v10, 24, v8
	v_lshrrev_b32_e32 v11, 24, v6
                                        ; implicit-def: $vgpr9
                                        ; implicit-def: $vgpr7
	s_and_saveexec_b64 s[4:5], vcc
	s_xor_b64 s[4:5], exec, s[4:5]
	s_cbranch_execz .LBB1289_85
; %bb.84:
	s_movk_i32 s6, 0xff
	v_lshlrev_b16_e32 v7, 8, v11
	v_and_b32_sdwa v9, v6, s6 dst_sel:DWORD dst_unused:UNUSED_PAD src0_sel:WORD_1 src1_sel:DWORD
	v_or_b32_sdwa v7, v9, v7 dst_sel:WORD_1 dst_unused:UNUSED_PAD src0_sel:DWORD src1_sel:DWORD
	v_mov_b32_e32 v9, 8
	v_lshrrev_b32_sdwa v7, v9, v6 dst_sel:BYTE_1 dst_unused:UNUSED_PRESERVE src0_sel:DWORD src1_sel:DWORD
	v_lshlrev_b16_e32 v6, 8, v10
	v_and_b32_sdwa v9, v8, s6 dst_sel:DWORD dst_unused:UNUSED_PAD src0_sel:WORD_1 src1_sel:DWORD
	s_mov_b32 s7, 0x3060504
	v_or_b32_e32 v6, v9, v6
	s_mov_b32 s6, 0x5040c00
	v_perm_b32 v5, v5, v5, s7
	v_perm_b32 v9, v6, v8, s6
                                        ; implicit-def: $vgpr11
                                        ; implicit-def: $vgpr6
                                        ; implicit-def: $vgpr8
                                        ; implicit-def: $vgpr10
.LBB1289_85:
	s_andn2_saveexec_b64 s[6:7], s[4:5]
	s_cbranch_execz .LBB1289_89
; %bb.86:
	v_add_u32_e32 v7, s37, v15
	v_add_u32_e32 v9, s39, v15
	v_mul_lo_u32 v7, v7, s36
	v_mul_lo_u32 v9, v9, s38
	s_mov_b64 s[8:9], 0
	v_sub_u32_e32 v7, v7, v9
	v_cmp_lt_u32_e32 vcc, s40, v7
	v_cmp_ge_u32_e64 s[4:5], s40, v7
	s_and_saveexec_b64 s[10:11], s[4:5]
	s_cbranch_execz .LBB1289_88
; %bb.87:
	v_add_u32_e32 v7, s42, v15
	v_add_u32_e32 v9, s56, v15
	v_mul_lo_u32 v7, v7, s41
	v_mul_lo_u32 v9, v9, s43
	v_sub_u32_e32 v7, v7, v9
	v_cmp_lt_u32_e64 s[4:5], s57, v7
	s_and_b64 s[8:9], s[4:5], exec
.LBB1289_88:
	s_or_b64 exec, exec, s[10:11]
	s_movk_i32 s4, 0xff
	v_lshlrev_b16_e32 v11, 8, v11
	v_and_b32_sdwa v12, v6, s4 dst_sel:DWORD dst_unused:UNUSED_PAD src0_sel:WORD_1 src1_sel:DWORD
	v_or_b32_sdwa v11, v12, v11 dst_sel:WORD_1 dst_unused:UNUSED_PAD src0_sel:DWORD src1_sel:DWORD
	v_mov_b32_e32 v12, 8
	v_cndmask_b32_e64 v7, 0, 1, vcc
	v_lshrrev_b32_sdwa v6, v12, v6 dst_sel:BYTE_1 dst_unused:UNUSED_PAD src0_sel:DWORD src1_sel:DWORD
	v_cndmask_b32_e64 v9, 0, 1, s[8:9]
	v_or_b32_e32 v6, v7, v6
	v_or_b32_sdwa v7, v6, v11 dst_sel:DWORD dst_unused:UNUSED_PAD src0_sel:WORD_0 src1_sel:DWORD
	v_lshlrev_b16_e32 v6, 8, v9
	v_or_b32_sdwa v6, v8, v6 dst_sel:DWORD dst_unused:UNUSED_PAD src0_sel:BYTE_0 src1_sel:DWORD
	v_lshlrev_b16_e32 v9, 8, v10
	v_and_b32_sdwa v8, v8, s4 dst_sel:DWORD dst_unused:UNUSED_PAD src0_sel:WORD_1 src1_sel:DWORD
	v_or_b32_sdwa v8, v8, v9 dst_sel:WORD_1 dst_unused:UNUSED_PAD src0_sel:DWORD src1_sel:DWORD
	v_or_b32_sdwa v9, v6, v8 dst_sel:DWORD dst_unused:UNUSED_PAD src0_sel:WORD_0 src1_sel:DWORD
.LBB1289_89:
	s_or_b64 exec, exec, s[6:7]
	v_add_u32_e32 v6, 9, v35
	v_cmp_le_u32_e32 vcc, s16, v6
	v_lshrrev_b32_e32 v10, 24, v9
	v_lshrrev_b32_e32 v11, 24, v7
                                        ; implicit-def: $vgpr6
                                        ; implicit-def: $vgpr8
	s_and_saveexec_b64 s[4:5], vcc
	s_xor_b64 s[4:5], exec, s[4:5]
	s_cbranch_execz .LBB1289_91
; %bb.90:
	s_mov_b32 s6, 0x40c0100
	v_perm_b32 v6, v10, v9, s6
	v_mov_b32_e32 v8, 8
	s_movk_i32 s6, 0xff
	v_lshrrev_b32_sdwa v9, v8, v6 dst_sel:BYTE_1 dst_unused:UNUSED_PAD src0_sel:DWORD src1_sel:DWORD
	v_lshlrev_b16_e32 v8, 8, v11
	v_and_b32_sdwa v10, v7, s6 dst_sel:DWORD dst_unused:UNUSED_PAD src0_sel:WORD_1 src1_sel:DWORD
	v_or_b32_e32 v8, v10, v8
	s_mov_b32 s6, 0x5040c00
	v_perm_b32 v8, v8, v7, s6
	s_mov_b32 s6, 0x3060504
	v_or_b32_sdwa v7, v6, v9 dst_sel:DWORD dst_unused:UNUSED_PAD src0_sel:BYTE_0 src1_sel:DWORD
	v_perm_b32 v5, v5, v5, s6
	v_and_b32_e32 v7, 0xffff, v7
	s_mov_b32 s6, 0xff000000
	v_and_or_b32 v6, v6, s6, v7
                                        ; implicit-def: $vgpr7
                                        ; implicit-def: $vgpr11
                                        ; implicit-def: $vgpr9
                                        ; implicit-def: $vgpr10
.LBB1289_91:
	s_andn2_saveexec_b64 s[6:7], s[4:5]
	s_cbranch_execz .LBB1289_95
; %bb.92:
	v_add_u32_e32 v6, s37, v16
	v_add_u32_e32 v8, s39, v16
	v_mul_lo_u32 v6, v6, s36
	v_mul_lo_u32 v8, v8, s38
	s_mov_b64 s[8:9], 0
	v_sub_u32_e32 v6, v6, v8
	v_cmp_lt_u32_e32 vcc, s40, v6
	v_cmp_ge_u32_e64 s[4:5], s40, v6
	s_and_saveexec_b64 s[10:11], s[4:5]
	s_cbranch_execz .LBB1289_94
; %bb.93:
	v_add_u32_e32 v6, s42, v16
	v_add_u32_e32 v8, s56, v16
	v_mul_lo_u32 v6, v6, s41
	v_mul_lo_u32 v8, v8, s43
	v_sub_u32_e32 v6, v6, v8
	v_cmp_lt_u32_e64 s[4:5], s57, v6
	s_and_b64 s[8:9], s[4:5], exec
.LBB1289_94:
	s_or_b64 exec, exec, s[10:11]
	v_cndmask_b32_e64 v6, 0, 1, vcc
	v_lshlrev_b16_e32 v6, 8, v6
	s_movk_i32 s4, 0xff
	v_or_b32_sdwa v6, v7, v6 dst_sel:DWORD dst_unused:UNUSED_PAD src0_sel:BYTE_0 src1_sel:DWORD
	v_lshlrev_b16_e32 v8, 8, v11
	v_and_b32_sdwa v7, v7, s4 dst_sel:DWORD dst_unused:UNUSED_PAD src0_sel:WORD_1 src1_sel:DWORD
	v_or_b32_sdwa v7, v7, v8 dst_sel:WORD_1 dst_unused:UNUSED_PAD src0_sel:DWORD src1_sel:DWORD
	v_or_b32_sdwa v8, v6, v7 dst_sel:DWORD dst_unused:UNUSED_PAD src0_sel:WORD_0 src1_sel:DWORD
	v_mov_b32_e32 v6, 8
	v_cndmask_b32_e64 v12, 0, 1, s[8:9]
	v_lshrrev_b32_sdwa v6, v6, v9 dst_sel:BYTE_1 dst_unused:UNUSED_PAD src0_sel:DWORD src1_sel:DWORD
	v_lshlrev_b16_e32 v7, 8, v10
	v_or_b32_sdwa v6, v9, v6 dst_sel:DWORD dst_unused:UNUSED_PAD src0_sel:BYTE_0 src1_sel:DWORD
	v_or_b32_sdwa v7, v12, v7 dst_sel:WORD_1 dst_unused:UNUSED_PAD src0_sel:DWORD src1_sel:DWORD
	v_or_b32_sdwa v6, v6, v7 dst_sel:DWORD dst_unused:UNUSED_PAD src0_sel:WORD_0 src1_sel:DWORD
.LBB1289_95:
	s_or_b64 exec, exec, s[6:7]
	v_add_u32_e32 v7, 10, v35
	v_cmp_le_u32_e32 vcc, s16, v7
	v_lshrrev_b32_e32 v9, 24, v8
                                        ; implicit-def: $vgpr39
                                        ; implicit-def: $vgpr7
	s_and_saveexec_b64 s[4:5], vcc
	s_xor_b64 s[4:5], exec, s[4:5]
	s_cbranch_execz .LBB1289_97
; %bb.96:
	s_mov_b32 s6, 0x40c0100
	v_perm_b32 v7, v9, v8, s6
	v_mov_b32_e32 v8, 8
	v_lshrrev_b32_sdwa v8, v8, v7 dst_sel:BYTE_1 dst_unused:UNUSED_PAD src0_sel:DWORD src1_sel:DWORD
	v_or_b32_sdwa v8, v7, v8 dst_sel:DWORD dst_unused:UNUSED_PAD src0_sel:BYTE_0 src1_sel:DWORD
	v_and_b32_e32 v8, 0xffff, v8
	s_mov_b32 s6, 0xff000000
	v_and_or_b32 v7, v7, s6, v8
	s_mov_b32 s6, 0x3060504
	v_and_b32_e32 v10, 0xff0000, v6
	v_perm_b32 v5, v5, v5, s6
	s_mov_b32 s6, 0x3020504
	v_perm_b32 v39, v6, v10, s6
                                        ; implicit-def: $vgpr8
                                        ; implicit-def: $vgpr9
                                        ; implicit-def: $vgpr6
.LBB1289_97:
	s_andn2_saveexec_b64 s[6:7], s[4:5]
	s_cbranch_execz .LBB1289_101
; %bb.98:
	v_add_u32_e32 v7, s37, v13
	v_add_u32_e32 v10, s39, v13
	v_mul_lo_u32 v7, v7, s36
	v_mul_lo_u32 v10, v10, s38
	s_mov_b64 s[8:9], 0
	v_sub_u32_e32 v7, v7, v10
	v_cmp_lt_u32_e32 vcc, s40, v7
	v_cmp_ge_u32_e64 s[4:5], s40, v7
	s_and_saveexec_b64 s[10:11], s[4:5]
	s_cbranch_execz .LBB1289_100
; %bb.99:
	v_add_u32_e32 v7, s42, v13
	v_add_u32_e32 v10, s56, v13
	v_mul_lo_u32 v7, v7, s41
	v_mul_lo_u32 v10, v10, s43
	v_sub_u32_e32 v7, v7, v10
	v_cmp_lt_u32_e64 s[4:5], s57, v7
	s_and_b64 s[8:9], s[4:5], exec
.LBB1289_100:
	s_or_b64 exec, exec, s[10:11]
	v_mov_b32_e32 v11, 8
	v_cndmask_b32_e64 v7, 0, 1, vcc
	v_lshrrev_b32_sdwa v12, v11, v8 dst_sel:BYTE_1 dst_unused:UNUSED_PAD src0_sel:DWORD src1_sel:DWORD
	v_lshlrev_b16_e32 v9, 8, v9
	v_or_b32_sdwa v8, v8, v12 dst_sel:DWORD dst_unused:UNUSED_PAD src0_sel:BYTE_0 src1_sel:DWORD
	v_or_b32_sdwa v7, v7, v9 dst_sel:WORD_1 dst_unused:UNUSED_PAD src0_sel:DWORD src1_sel:DWORD
	v_cndmask_b32_e64 v10, 0, 1, s[8:9]
	s_movk_i32 s4, 0xff
	v_or_b32_sdwa v7, v8, v7 dst_sel:DWORD dst_unused:UNUSED_PAD src0_sel:WORD_0 src1_sel:DWORD
	v_lshrrev_b32_sdwa v8, v11, v6 dst_sel:BYTE_1 dst_unused:UNUSED_PAD src0_sel:DWORD src1_sel:DWORD
	v_or_b32_sdwa v8, v6, v8 dst_sel:DWORD dst_unused:UNUSED_PAD src0_sel:BYTE_0 src1_sel:DWORD
	v_lshlrev_b16_e32 v9, 8, v10
	v_and_b32_sdwa v6, v6, s4 dst_sel:DWORD dst_unused:UNUSED_PAD src0_sel:WORD_1 src1_sel:DWORD
	v_or_b32_sdwa v6, v6, v9 dst_sel:WORD_1 dst_unused:UNUSED_PAD src0_sel:DWORD src1_sel:DWORD
	v_or_b32_sdwa v39, v8, v6 dst_sel:DWORD dst_unused:UNUSED_PAD src0_sel:WORD_0 src1_sel:DWORD
.LBB1289_101:
	s_or_b64 exec, exec, s[6:7]
	v_add_u32_e32 v6, 11, v35
	v_mov_b32_e32 v40, 0
	v_cmp_le_u32_e32 vcc, s16, v6
                                        ; implicit-def: $vgpr41
	s_and_saveexec_b64 s[4:5], vcc
	s_xor_b64 s[4:5], exec, s[4:5]
; %bb.102:
	v_and_b32_e32 v6, 0xff0000, v7
	s_mov_b32 s6, 0x3020504
	v_perm_b32 v41, v7, v6, s6
	s_mov_b32 s6, 0x3060504
	v_perm_b32 v5, v5, v5, s6
                                        ; implicit-def: $vgpr7
; %bb.103:
	s_andn2_saveexec_b64 s[6:7], s[4:5]
	s_cbranch_execz .LBB1289_107
; %bb.104:
	v_add_u32_e32 v6, s37, v14
	v_add_u32_e32 v8, s39, v14
	v_mul_lo_u32 v6, v6, s36
	v_mul_lo_u32 v8, v8, s38
	s_mov_b64 s[8:9], 0
	v_sub_u32_e32 v6, v6, v8
	v_cmp_lt_u32_e32 vcc, s40, v6
	v_cmp_ge_u32_e64 s[4:5], s40, v6
	s_and_saveexec_b64 s[10:11], s[4:5]
	s_cbranch_execz .LBB1289_106
; %bb.105:
	v_add_u32_e32 v6, s42, v14
	v_add_u32_e32 v8, s56, v14
	v_mul_lo_u32 v6, v6, s41
	v_mul_lo_u32 v8, v8, s43
	v_sub_u32_e32 v6, v6, v8
	v_cmp_lt_u32_e64 s[4:5], s57, v6
	s_and_b64 s[8:9], s[4:5], exec
.LBB1289_106:
	s_or_b64 exec, exec, s[10:11]
	v_mov_b32_e32 v8, 8
	v_cndmask_b32_e64 v6, 0, 1, vcc
	s_movk_i32 s4, 0xff
	v_lshrrev_b32_sdwa v8, v8, v7 dst_sel:BYTE_1 dst_unused:UNUSED_PAD src0_sel:DWORD src1_sel:DWORD
	v_or_b32_sdwa v8, v7, v8 dst_sel:DWORD dst_unused:UNUSED_PAD src0_sel:BYTE_0 src1_sel:DWORD
	v_lshlrev_b16_e32 v6, 8, v6
	v_and_b32_sdwa v7, v7, s4 dst_sel:DWORD dst_unused:UNUSED_PAD src0_sel:WORD_1 src1_sel:DWORD
	v_or_b32_sdwa v6, v7, v6 dst_sel:WORD_1 dst_unused:UNUSED_PAD src0_sel:DWORD src1_sel:DWORD
	v_cndmask_b32_e64 v40, 0, 1, s[8:9]
	v_or_b32_sdwa v41, v8, v6 dst_sel:DWORD dst_unused:UNUSED_PAD src0_sel:WORD_0 src1_sel:DWORD
.LBB1289_107:
	s_or_b64 exec, exec, s[6:7]
	v_add_u32_e32 v6, 12, v35
	v_cmp_le_u32_e32 vcc, s16, v6
	v_lshrrev_b32_e32 v6, 24, v5
                                        ; implicit-def: $vgpr42
	s_and_saveexec_b64 s[4:5], vcc
	s_xor_b64 s[4:5], exec, s[4:5]
; %bb.108:
	s_movk_i32 s6, 0xff
	v_lshlrev_b16_e32 v6, 8, v6
	v_and_b32_sdwa v8, v5, s6 dst_sel:DWORD dst_unused:UNUSED_PAD src0_sel:WORD_1 src1_sel:DWORD
	v_mov_b32_e32 v7, 8
	v_or_b32_sdwa v42, v8, v6 dst_sel:WORD_1 dst_unused:UNUSED_PAD src0_sel:DWORD src1_sel:DWORD
	v_lshrrev_b32_sdwa v42, v7, v5 dst_sel:BYTE_1 dst_unused:UNUSED_PRESERVE src0_sel:DWORD src1_sel:DWORD
                                        ; implicit-def: $vgpr6
                                        ; implicit-def: $vgpr5
; %bb.109:
	s_or_saveexec_b64 s[6:7], s[4:5]
	v_mov_b32_e32 v43, 0
	s_xor_b64 exec, exec, s[6:7]
	s_cbranch_execz .LBB1289_113
; %bb.110:
	v_add_u32_e32 v7, s37, v34
	v_add_u32_e32 v8, s39, v34
	v_mul_lo_u32 v7, v7, s36
	v_mul_lo_u32 v8, v8, s38
	s_mov_b64 s[8:9], 0
	v_sub_u32_e32 v7, v7, v8
	v_cmp_lt_u32_e32 vcc, s40, v7
	v_cmp_ge_u32_e64 s[4:5], s40, v7
	s_and_saveexec_b64 s[10:11], s[4:5]
	s_cbranch_execz .LBB1289_112
; %bb.111:
	v_add_u32_e32 v7, s42, v34
	v_add_u32_e32 v8, s56, v34
	v_mul_lo_u32 v7, v7, s41
	v_mul_lo_u32 v8, v8, s43
	v_sub_u32_e32 v7, v7, v8
	v_cmp_lt_u32_e64 s[4:5], s57, v7
	s_and_b64 s[8:9], s[4:5], exec
.LBB1289_112:
	s_or_b64 exec, exec, s[10:11]
	s_movk_i32 s4, 0xff
	v_lshlrev_b16_e32 v6, 8, v6
	v_and_b32_sdwa v8, v5, s4 dst_sel:DWORD dst_unused:UNUSED_PAD src0_sel:WORD_1 src1_sel:DWORD
	v_or_b32_sdwa v6, v8, v6 dst_sel:WORD_1 dst_unused:UNUSED_PAD src0_sel:DWORD src1_sel:DWORD
	v_mov_b32_e32 v8, 8
	v_cndmask_b32_e64 v7, 0, 1, vcc
	v_lshrrev_b32_sdwa v5, v8, v5 dst_sel:BYTE_1 dst_unused:UNUSED_PAD src0_sel:DWORD src1_sel:DWORD
	v_or_b32_e32 v5, v7, v5
	v_cndmask_b32_e64 v43, 0, 1, s[8:9]
	v_or_b32_sdwa v42, v5, v6 dst_sel:DWORD dst_unused:UNUSED_PAD src0_sel:WORD_0 src1_sel:DWORD
.LBB1289_113:
	s_or_b64 exec, exec, s[6:7]
.LBB1289_114:
	v_and_b32_e32 v53, 0xff, v36
	v_bfe_u32 v50, v36, 8, 8
	v_bfe_u32 v55, v36, 16, 8
	v_lshrrev_b32_e32 v48, 24, v36
	v_and_b32_e32 v56, 0xff, v38
	v_add3_u32 v8, v50, v53, v55
	v_bfe_u32 v51, v38, 8, 8
	v_bfe_u32 v58, v38, 16, 8
	v_add3_u32 v8, v8, v48, v56
	v_bfe_u32 v54, v42, 8, 8
	v_bfe_u32 v62, v42, 16, 8
	v_lshrrev_b32_e32 v49, 24, v42
	v_lshrrev_b32_e32 v46, 24, v38
	v_and_b32_e32 v59, 0xff, v41
	v_add3_u32 v8, v8, v51, v58
	v_and_b32_e32 v63, 0xff, v37
	v_bfe_u32 v57, v37, 8, 8
	v_bfe_u32 v52, v41, 8, 8
	;; [unrolled: 1-line block ×3, first 2 shown]
	v_add3_u32 v7, v62, v54, v49
	v_add3_u32 v8, v8, v46, v59
	v_bfe_u32 v64, v37, 16, 8
	v_lshrrev_b32_e32 v47, 24, v37
	v_lshrrev_b32_e32 v44, 24, v41
	v_and_b32_e32 v5, 0xff, v42
	v_add3_u32 v7, v7, v63, v57
	v_add3_u32 v8, v8, v52, v61
	v_and_b32_e32 v65, 0xff, v39
	v_bfe_u32 v60, v39, 8, 8
	v_add3_u32 v7, v7, v64, v47
	v_add3_u32 v73, v8, v44, v5
	v_mbcnt_lo_u32_b32 v5, -1, 0
	v_bfe_u32 v66, v39, 16, 8
	v_lshrrev_b32_e32 v45, 24, v39
	v_add3_u32 v7, v7, v65, v60
	v_mbcnt_hi_u32_b32 v68, -1, v5
	v_and_b32_e32 v67, 0xff, v40
	v_and_b32_e32 v6, 0xff, v43
	v_add3_u32 v7, v7, v66, v45
	v_and_b32_e32 v72, 15, v68
	s_cmp_lg_u32 s33, 0
	v_add3_u32 v74, v7, v67, v6
	v_cmp_eq_u32_e64 s[6:7], 0, v72
	v_cmp_lt_u32_e64 s[4:5], 1, v72
	v_cmp_lt_u32_e64 s[10:11], 3, v72
	;; [unrolled: 1-line block ×3, first 2 shown]
	v_and_b32_e32 v71, 16, v68
	v_cmp_lt_u32_e32 vcc, 31, v68
	v_lshrrev_b32_e32 v69, 6, v0
	v_or_b32_e32 v70, 63, v0
	s_cbranch_scc0 .LBB1289_136
; %bb.115:
	v_mov_b32_dpp v5, v73 row_shr:1 row_mask:0xf bank_mask:0xf
	v_mov_b32_dpp v6, v74 row_shr:1 row_mask:0xf bank_mask:0xf
	v_add_u32_e32 v5, v5, v73
	v_add_u32_e32 v6, v6, v74
	v_cndmask_b32_e64 v6, v6, v74, s[6:7]
	v_cndmask_b32_e64 v5, v5, v73, s[6:7]
	s_nop 0
	v_mov_b32_dpp v8, v6 row_shr:2 row_mask:0xf bank_mask:0xf
	v_mov_b32_dpp v7, v5 row_shr:2 row_mask:0xf bank_mask:0xf
	v_add_u32_e32 v7, v5, v7
	v_add_u32_e32 v8, v6, v8
	v_cndmask_b32_e64 v6, v6, v8, s[4:5]
	v_cndmask_b32_e64 v5, v5, v7, s[4:5]
	s_nop 0
	;; [unrolled: 7-line block ×3, first 2 shown]
	v_mov_b32_dpp v8, v6 row_shr:8 row_mask:0xf bank_mask:0xf
	v_mov_b32_dpp v7, v5 row_shr:8 row_mask:0xf bank_mask:0xf
	v_add_u32_e32 v7, v5, v7
	v_add_u32_e32 v8, v6, v8
	v_cndmask_b32_e64 v6, v6, v8, s[8:9]
	v_cndmask_b32_e64 v7, v5, v7, s[8:9]
	v_cmp_eq_u32_e64 s[8:9], 0, v71
	v_mov_b32_dpp v8, v6 row_bcast:15 row_mask:0xf bank_mask:0xf
	v_mov_b32_dpp v5, v7 row_bcast:15 row_mask:0xf bank_mask:0xf
	v_add_u32_e32 v9, v7, v5
	v_add_u32_e32 v5, v6, v8
	v_cndmask_b32_e64 v5, v5, v6, s[8:9]
	v_cndmask_b32_e64 v6, v9, v7, s[8:9]
	v_cmp_eq_u32_e64 s[8:9], v0, v70
	v_mov_b32_dpp v7, v5 row_bcast:31 row_mask:0xf bank_mask:0xf
	v_mov_b32_dpp v8, v6 row_bcast:31 row_mask:0xf bank_mask:0xf
	v_add_u32_e32 v7, v5, v7
	v_add_u32_e32 v8, v6, v8
	s_and_saveexec_b64 s[10:11], s[8:9]
; %bb.116:
	v_lshlrev_b32_e32 v11, 3, v69
	v_cndmask_b32_e32 v10, v5, v7, vcc
	v_cndmask_b32_e32 v9, v6, v8, vcc
	ds_write_b64 v11, v[9:10]
; %bb.117:
	s_or_b64 exec, exec, s[10:11]
	v_cmp_gt_u32_e64 s[8:9], 4, v0
	s_waitcnt lgkmcnt(0)
	s_barrier
	s_and_saveexec_b64 s[10:11], s[8:9]
	s_cbranch_execz .LBB1289_119
; %bb.118:
	v_lshlrev_b32_e32 v11, 3, v0
	ds_read_b64 v[9:10], v11
	v_and_b32_e32 v12, 3, v68
	v_cmp_eq_u32_e64 s[8:9], 0, v12
	s_waitcnt lgkmcnt(0)
	v_mov_b32_dpp v25, v9 row_shr:1 row_mask:0xf bank_mask:0xf
	v_mov_b32_dpp v26, v10 row_shr:1 row_mask:0xf bank_mask:0xf
	v_add_u32_e32 v25, v25, v9
	v_add_u32_e32 v26, v26, v10
	v_cndmask_b32_e64 v10, v26, v10, s[8:9]
	v_cndmask_b32_e64 v9, v25, v9, s[8:9]
	v_cmp_lt_u32_e64 s[8:9], 1, v12
	v_mov_b32_dpp v26, v10 row_shr:2 row_mask:0xf bank_mask:0xf
	v_mov_b32_dpp v25, v9 row_shr:2 row_mask:0xf bank_mask:0xf
	v_cndmask_b32_e64 v12, 0, v25, s[8:9]
	v_cndmask_b32_e64 v25, 0, v26, s[8:9]
	v_add_u32_e32 v10, v25, v10
	v_add_u32_e32 v9, v12, v9
	ds_write_b64 v11, v[9:10]
.LBB1289_119:
	s_or_b64 exec, exec, s[10:11]
	v_cndmask_b32_e32 v5, v5, v7, vcc
	v_cndmask_b32_e32 v6, v6, v8, vcc
	v_cmp_gt_u32_e32 vcc, 64, v0
	v_cmp_lt_u32_e64 s[8:9], 63, v0
	s_waitcnt lgkmcnt(0)
	s_barrier
                                        ; implicit-def: $vgpr25
	s_and_saveexec_b64 s[10:11], s[8:9]
	s_cbranch_execz .LBB1289_121
; %bb.120:
	v_lshl_add_u32 v7, v69, 3, -8
	ds_read_b64 v[25:26], v7
	s_waitcnt lgkmcnt(0)
	v_add_u32_e32 v5, v26, v5
	v_add_u32_e32 v6, v25, v6
.LBB1289_121:
	s_or_b64 exec, exec, s[10:11]
	v_subrev_co_u32_e64 v7, s[8:9], 1, v68
	v_and_b32_e32 v8, 64, v68
	v_cmp_lt_i32_e64 s[10:11], v7, v8
	v_cndmask_b32_e64 v7, v7, v68, s[10:11]
	v_lshlrev_b32_e32 v7, 2, v7
	ds_bpermute_b32 v75, v7, v6
	ds_bpermute_b32 v76, v7, v5
	s_and_saveexec_b64 s[10:11], vcc
	s_cbranch_execz .LBB1289_141
; %bb.122:
	v_mov_b32_e32 v8, 0
	ds_read_b64 v[5:6], v8 offset:24
	s_and_saveexec_b64 s[12:13], s[8:9]
	s_cbranch_execz .LBB1289_124
; %bb.123:
	s_add_i32 s14, s33, 64
	s_mov_b32 s15, 0
	s_lshl_b64 s[14:15], s[14:15], 4
	s_add_u32 s14, s54, s14
	s_addc_u32 s15, s55, s15
	v_mov_b32_e32 v9, s14
	v_mov_b32_e32 v7, 1
	;; [unrolled: 1-line block ×3, first 2 shown]
	s_waitcnt lgkmcnt(0)
	;;#ASMSTART
	global_store_dwordx4 v[9:10], v[5:8] off	
s_waitcnt vmcnt(0)
	;;#ASMEND
.LBB1289_124:
	s_or_b64 exec, exec, s[12:13]
	v_xad_u32 v27, v68, -1, s33
	v_add_u32_e32 v7, 64, v27
	v_lshlrev_b64 v[9:10], 4, v[7:8]
	v_mov_b32_e32 v7, s55
	v_add_co_u32_e32 v28, vcc, s54, v9
	v_addc_co_u32_e32 v29, vcc, v7, v10, vcc
	;;#ASMSTART
	global_load_dwordx4 v[9:12], v[28:29] off glc	
s_waitcnt vmcnt(0)
	;;#ASMEND
	v_cmp_eq_u16_sdwa s[14:15], v11, v8 src0_sel:BYTE_0 src1_sel:DWORD
	s_and_saveexec_b64 s[12:13], s[14:15]
	s_cbranch_execz .LBB1289_128
; %bb.125:
	s_mov_b64 s[14:15], 0
	v_mov_b32_e32 v7, 0
.LBB1289_126:                           ; =>This Inner Loop Header: Depth=1
	;;#ASMSTART
	global_load_dwordx4 v[9:12], v[28:29] off glc	
s_waitcnt vmcnt(0)
	;;#ASMEND
	v_cmp_ne_u16_sdwa s[18:19], v11, v7 src0_sel:BYTE_0 src1_sel:DWORD
	s_or_b64 s[14:15], s[18:19], s[14:15]
	s_andn2_b64 exec, exec, s[14:15]
	s_cbranch_execnz .LBB1289_126
; %bb.127:
	s_or_b64 exec, exec, s[14:15]
.LBB1289_128:
	s_or_b64 exec, exec, s[12:13]
	v_and_b32_e32 v78, 63, v68
	v_cmp_ne_u32_e32 vcc, 63, v78
	v_mov_b32_e32 v77, 2
	v_lshlrev_b64 v[29:30], v68, -1
	v_addc_co_u32_e32 v12, vcc, 0, v68, vcc
	v_cmp_eq_u16_sdwa s[12:13], v11, v77 src0_sel:BYTE_0 src1_sel:DWORD
	v_lshlrev_b32_e32 v79, 2, v12
	v_and_b32_e32 v7, s13, v30
	ds_bpermute_b32 v12, v79, v9
	ds_bpermute_b32 v28, v79, v10
	v_or_b32_e32 v7, 0x80000000, v7
	v_and_b32_e32 v8, s12, v29
	v_ffbl_b32_e32 v7, v7
	v_add_u32_e32 v7, 32, v7
	v_ffbl_b32_e32 v8, v8
	v_min_u32_e32 v7, v8, v7
	s_waitcnt lgkmcnt(1)
	v_add_u32_e32 v8, v12, v9
	s_waitcnt lgkmcnt(0)
	v_add_u32_e32 v12, v28, v10
	v_cmp_lt_u32_e32 vcc, v78, v7
	v_cndmask_b32_e32 v10, v10, v12, vcc
	v_cndmask_b32_e32 v8, v9, v8, vcc
	v_cmp_gt_u32_e32 vcc, 62, v78
	v_cndmask_b32_e64 v9, 0, 2, vcc
	v_add_lshl_u32 v80, v9, v68, 2
	ds_bpermute_b32 v9, v80, v8
	ds_bpermute_b32 v12, v80, v10
	v_add_u32_e32 v81, 2, v78
	v_cmp_gt_u32_e32 vcc, v81, v7
	v_add_u32_e32 v83, 4, v78
	s_waitcnt lgkmcnt(1)
	v_add_u32_e32 v9, v8, v9
	s_waitcnt lgkmcnt(0)
	v_add_u32_e32 v12, v10, v12
	v_cndmask_b32_e32 v10, v12, v10, vcc
	v_cndmask_b32_e32 v8, v9, v8, vcc
	v_cmp_gt_u32_e32 vcc, 60, v78
	v_cndmask_b32_e64 v9, 0, 4, vcc
	v_add_lshl_u32 v82, v9, v68, 2
	ds_bpermute_b32 v9, v82, v8
	ds_bpermute_b32 v12, v82, v10
	v_cmp_gt_u32_e32 vcc, v83, v7
	v_add_u32_e32 v85, 8, v78
	v_add_u32_e32 v87, 16, v78
	s_waitcnt lgkmcnt(1)
	v_add_u32_e32 v9, v8, v9
	s_waitcnt lgkmcnt(0)
	v_add_u32_e32 v12, v10, v12
	v_cndmask_b32_e32 v10, v12, v10, vcc
	v_cndmask_b32_e32 v8, v9, v8, vcc
	v_cmp_gt_u32_e32 vcc, 56, v78
	v_cndmask_b32_e64 v9, 0, 8, vcc
	v_add_lshl_u32 v84, v9, v68, 2
	ds_bpermute_b32 v9, v84, v8
	ds_bpermute_b32 v12, v84, v10
	v_cmp_gt_u32_e32 vcc, v85, v7
	v_add_u32_e32 v89, 32, v78
	v_mov_b32_e32 v28, 0
	s_waitcnt lgkmcnt(1)
	v_add_u32_e32 v9, v8, v9
	s_waitcnt lgkmcnt(0)
	v_add_u32_e32 v12, v10, v12
	v_cndmask_b32_e32 v10, v12, v10, vcc
	v_cndmask_b32_e32 v8, v9, v8, vcc
	v_cmp_gt_u32_e32 vcc, 48, v78
	v_cndmask_b32_e64 v9, 0, 16, vcc
	v_add_lshl_u32 v86, v9, v68, 2
	ds_bpermute_b32 v9, v86, v8
	ds_bpermute_b32 v12, v86, v10
	v_cmp_gt_u32_e32 vcc, v87, v7
	s_waitcnt lgkmcnt(1)
	v_add_u32_e32 v9, v8, v9
	s_waitcnt lgkmcnt(0)
	v_add_u32_e32 v12, v10, v12
	v_cndmask_b32_e32 v8, v9, v8, vcc
	v_mov_b32_e32 v9, 0x80
	v_cndmask_b32_e32 v10, v12, v10, vcc
	v_lshl_or_b32 v88, v68, 2, v9
	ds_bpermute_b32 v9, v88, v8
	ds_bpermute_b32 v12, v88, v10
	v_cmp_le_u32_e32 vcc, v89, v7
	s_waitcnt lgkmcnt(1)
	v_cndmask_b32_e32 v7, 0, v9, vcc
	s_waitcnt lgkmcnt(0)
	v_cndmask_b32_e32 v9, 0, v12, vcc
	v_add_u32_e32 v10, v10, v9
	v_add_u32_e32 v9, v8, v7
	s_branch .LBB1289_132
.LBB1289_129:                           ;   in Loop: Header=BB1289_132 Depth=1
	s_or_b64 exec, exec, s[14:15]
.LBB1289_130:                           ;   in Loop: Header=BB1289_132 Depth=1
	s_or_b64 exec, exec, s[12:13]
	v_cmp_eq_u16_sdwa s[12:13], v11, v77 src0_sel:BYTE_0 src1_sel:DWORD
	v_and_b32_e32 v12, s13, v30
	ds_bpermute_b32 v32, v79, v9
	ds_bpermute_b32 v90, v79, v10
	v_or_b32_e32 v12, 0x80000000, v12
	v_and_b32_e32 v31, s12, v29
	v_ffbl_b32_e32 v12, v12
	v_add_u32_e32 v12, 32, v12
	v_ffbl_b32_e32 v31, v31
	v_min_u32_e32 v12, v31, v12
	s_waitcnt lgkmcnt(1)
	v_add_u32_e32 v31, v32, v9
	s_waitcnt lgkmcnt(0)
	v_add_u32_e32 v32, v90, v10
	v_cmp_lt_u32_e32 vcc, v78, v12
	v_cndmask_b32_e32 v10, v10, v32, vcc
	v_cndmask_b32_e32 v9, v9, v31, vcc
	ds_bpermute_b32 v31, v80, v9
	ds_bpermute_b32 v32, v80, v10
	v_cmp_gt_u32_e32 vcc, v81, v12
	v_subrev_u32_e32 v27, 64, v27
	s_mov_b64 s[12:13], 0
	s_waitcnt lgkmcnt(1)
	v_add_u32_e32 v31, v9, v31
	s_waitcnt lgkmcnt(0)
	v_add_u32_e32 v32, v10, v32
	v_cndmask_b32_e32 v10, v32, v10, vcc
	v_cndmask_b32_e32 v9, v31, v9, vcc
	ds_bpermute_b32 v31, v82, v9
	ds_bpermute_b32 v32, v82, v10
	v_cmp_gt_u32_e32 vcc, v83, v12
	s_waitcnt lgkmcnt(1)
	v_add_u32_e32 v31, v9, v31
	s_waitcnt lgkmcnt(0)
	v_add_u32_e32 v32, v10, v32
	v_cndmask_b32_e32 v10, v32, v10, vcc
	v_cndmask_b32_e32 v9, v31, v9, vcc
	ds_bpermute_b32 v31, v84, v9
	ds_bpermute_b32 v32, v84, v10
	v_cmp_gt_u32_e32 vcc, v85, v12
	;; [unrolled: 9-line block ×3, first 2 shown]
	s_waitcnt lgkmcnt(1)
	v_add_u32_e32 v31, v9, v31
	s_waitcnt lgkmcnt(0)
	v_add_u32_e32 v32, v10, v32
	v_cndmask_b32_e32 v10, v32, v10, vcc
	v_cndmask_b32_e32 v9, v31, v9, vcc
	ds_bpermute_b32 v31, v88, v9
	ds_bpermute_b32 v32, v88, v10
	v_cmp_le_u32_e32 vcc, v89, v12
	s_waitcnt lgkmcnt(1)
	v_cndmask_b32_e32 v12, 0, v31, vcc
	s_waitcnt lgkmcnt(0)
	v_cndmask_b32_e32 v31, 0, v32, vcc
	v_add3_u32 v10, v31, v8, v10
	v_add3_u32 v9, v12, v7, v9
.LBB1289_131:                           ;   in Loop: Header=BB1289_132 Depth=1
	s_and_b64 vcc, exec, s[12:13]
	s_cbranch_vccnz .LBB1289_137
.LBB1289_132:                           ; =>This Loop Header: Depth=1
                                        ;     Child Loop BB1289_135 Depth 2
	v_mov_b32_e32 v7, v9
	v_cmp_ne_u16_sdwa s[12:13], v11, v77 src0_sel:BYTE_0 src1_sel:DWORD
	v_mov_b32_e32 v8, v10
	s_cmp_lg_u64 s[12:13], exec
	s_mov_b64 s[12:13], -1
                                        ; implicit-def: $vgpr11
                                        ; implicit-def: $vgpr9_vgpr10
	s_cbranch_scc1 .LBB1289_131
; %bb.133:                              ;   in Loop: Header=BB1289_132 Depth=1
	v_lshlrev_b64 v[9:10], 4, v[27:28]
	v_mov_b32_e32 v11, s55
	v_add_co_u32_e32 v31, vcc, s54, v9
	v_addc_co_u32_e32 v32, vcc, v11, v10, vcc
	;;#ASMSTART
	global_load_dwordx4 v[9:12], v[31:32] off glc	
s_waitcnt vmcnt(0)
	;;#ASMEND
	v_cmp_eq_u16_sdwa s[14:15], v11, v28 src0_sel:BYTE_0 src1_sel:DWORD
	s_and_saveexec_b64 s[12:13], s[14:15]
	s_cbranch_execz .LBB1289_130
; %bb.134:                              ;   in Loop: Header=BB1289_132 Depth=1
	s_mov_b64 s[14:15], 0
.LBB1289_135:                           ;   Parent Loop BB1289_132 Depth=1
                                        ; =>  This Inner Loop Header: Depth=2
	;;#ASMSTART
	global_load_dwordx4 v[9:12], v[31:32] off glc	
s_waitcnt vmcnt(0)
	;;#ASMEND
	v_cmp_ne_u16_sdwa s[18:19], v11, v28 src0_sel:BYTE_0 src1_sel:DWORD
	s_or_b64 s[14:15], s[18:19], s[14:15]
	s_andn2_b64 exec, exec, s[14:15]
	s_cbranch_execnz .LBB1289_135
	s_branch .LBB1289_129
.LBB1289_136:
                                        ; implicit-def: $vgpr12
                                        ; implicit-def: $vgpr7
                                        ; implicit-def: $vgpr25
	s_cbranch_execnz .LBB1289_142
	s_branch .LBB1289_151
.LBB1289_137:
	s_and_saveexec_b64 s[12:13], s[8:9]
	s_cbranch_execnz .LBB1289_379
; %bb.138:
	s_or_b64 exec, exec, s[12:13]
	s_and_saveexec_b64 s[12:13], s[8:9]
	s_cbranch_execnz .LBB1289_380
.LBB1289_139:
	s_or_b64 exec, exec, s[12:13]
	s_and_b64 exec, exec, s[0:1]
.LBB1289_140:
	v_mov_b32_e32 v5, 0
	ds_write_b64 v5, v[7:8] offset:24
.LBB1289_141:
	s_or_b64 exec, exec, s[10:11]
	v_mov_b32_e32 v5, 0
	s_waitcnt lgkmcnt(0)
	s_barrier
	ds_read_b64 v[9:10], v5 offset:24
	v_cndmask_b32_e64 v6, v75, v25, s[8:9]
	s_waitcnt lgkmcnt(0)
	s_barrier
	v_add_u32_e32 v25, v9, v6
	ds_read_b128 v[5:8], v5 offset:13312
	v_cndmask_b32_e64 v11, v76, v26, s[8:9]
	v_add_u32_e32 v11, v10, v11
	v_cndmask_b32_e64 v12, v11, v10, s[0:1]
	v_cndmask_b32_e64 v25, v25, v9, s[0:1]
	s_branch .LBB1289_151
.LBB1289_142:
	s_waitcnt lgkmcnt(0)
	v_mov_b32_dpp v5, v73 row_shr:1 row_mask:0xf bank_mask:0xf
	v_mov_b32_dpp v6, v74 row_shr:1 row_mask:0xf bank_mask:0xf
	v_add_u32_e32 v5, v5, v73
	v_add_u32_e32 v6, v6, v74
	v_cndmask_b32_e64 v6, v6, v74, s[6:7]
	v_cndmask_b32_e64 v5, v5, v73, s[6:7]
	v_cmp_lt_u32_e32 vcc, 3, v72
	v_mov_b32_dpp v8, v6 row_shr:2 row_mask:0xf bank_mask:0xf
	v_mov_b32_dpp v7, v5 row_shr:2 row_mask:0xf bank_mask:0xf
	v_add_u32_e32 v7, v5, v7
	v_add_u32_e32 v8, v6, v8
	v_cndmask_b32_e64 v6, v6, v8, s[4:5]
	v_cndmask_b32_e64 v5, v5, v7, s[4:5]
	v_cmp_eq_u32_e64 s[4:5], v0, v70
	v_mov_b32_dpp v8, v6 row_shr:4 row_mask:0xf bank_mask:0xf
	v_mov_b32_dpp v7, v5 row_shr:4 row_mask:0xf bank_mask:0xf
	v_add_u32_e32 v7, v5, v7
	v_add_u32_e32 v8, v6, v8
	v_cndmask_b32_e32 v6, v6, v8, vcc
	v_cndmask_b32_e32 v5, v5, v7, vcc
	v_cmp_lt_u32_e32 vcc, 7, v72
	v_mov_b32_dpp v8, v6 row_shr:8 row_mask:0xf bank_mask:0xf
	v_mov_b32_dpp v7, v5 row_shr:8 row_mask:0xf bank_mask:0xf
	v_add_u32_e32 v7, v5, v7
	v_add_u32_e32 v8, v6, v8
	v_cndmask_b32_e32 v6, v6, v8, vcc
	v_cndmask_b32_e32 v7, v5, v7, vcc
	v_cmp_eq_u32_e32 vcc, 0, v71
	v_mov_b32_dpp v8, v6 row_bcast:15 row_mask:0xf bank_mask:0xf
	v_mov_b32_dpp v5, v7 row_bcast:15 row_mask:0xf bank_mask:0xf
	v_add_u32_e32 v9, v7, v5
	v_add_u32_e32 v5, v6, v8
	v_cndmask_b32_e32 v5, v5, v6, vcc
	v_cndmask_b32_e32 v6, v9, v7, vcc
	v_cmp_lt_u32_e32 vcc, 31, v68
	v_mov_b32_dpp v7, v5 row_bcast:31 row_mask:0xf bank_mask:0xf
	v_mov_b32_dpp v8, v6 row_bcast:31 row_mask:0xf bank_mask:0xf
	v_add_u32_e32 v7, v5, v7
	v_add_u32_e32 v8, v6, v8
	s_and_saveexec_b64 s[6:7], s[4:5]
; %bb.143:
	v_cndmask_b32_e32 v9, v6, v8, vcc
	v_cndmask_b32_e32 v10, v5, v7, vcc
	v_lshlrev_b32_e32 v11, 3, v69
	ds_write_b64 v11, v[9:10]
; %bb.144:
	s_or_b64 exec, exec, s[6:7]
	v_cmp_gt_u32_e64 s[4:5], 4, v0
	s_waitcnt lgkmcnt(0)
	s_barrier
	s_and_saveexec_b64 s[6:7], s[4:5]
	s_cbranch_execz .LBB1289_146
; %bb.145:
	v_lshlrev_b32_e32 v11, 3, v0
	ds_read_b64 v[9:10], v11
	v_and_b32_e32 v12, 3, v68
	v_cmp_eq_u32_e64 s[4:5], 0, v12
	s_waitcnt lgkmcnt(0)
	v_mov_b32_dpp v25, v9 row_shr:1 row_mask:0xf bank_mask:0xf
	v_mov_b32_dpp v26, v10 row_shr:1 row_mask:0xf bank_mask:0xf
	v_add_u32_e32 v25, v25, v9
	v_add_u32_e32 v26, v26, v10
	v_cndmask_b32_e64 v10, v26, v10, s[4:5]
	v_cndmask_b32_e64 v9, v25, v9, s[4:5]
	v_cmp_lt_u32_e64 s[4:5], 1, v12
	v_mov_b32_dpp v26, v10 row_shr:2 row_mask:0xf bank_mask:0xf
	v_mov_b32_dpp v25, v9 row_shr:2 row_mask:0xf bank_mask:0xf
	v_cndmask_b32_e64 v12, 0, v25, s[4:5]
	v_cndmask_b32_e64 v25, 0, v26, s[4:5]
	v_add_u32_e32 v10, v25, v10
	v_add_u32_e32 v9, v12, v9
	ds_write_b64 v11, v[9:10]
.LBB1289_146:
	s_or_b64 exec, exec, s[6:7]
	v_cmp_lt_u32_e64 s[4:5], 63, v0
	v_mov_b32_e32 v11, 0
	v_mov_b32_e32 v9, 0
	;; [unrolled: 1-line block ×3, first 2 shown]
	s_waitcnt lgkmcnt(0)
	s_barrier
	s_and_saveexec_b64 s[6:7], s[4:5]
; %bb.147:
	v_lshl_add_u32 v9, v69, 3, -8
	ds_read_b64 v[9:10], v9
; %bb.148:
	s_or_b64 exec, exec, s[6:7]
	v_cndmask_b32_e32 v6, v6, v8, vcc
	v_cndmask_b32_e32 v5, v5, v7, vcc
	v_subrev_co_u32_e32 v7, vcc, 1, v68
	v_and_b32_e32 v8, 64, v68
	v_cmp_lt_i32_e64 s[4:5], v7, v8
	v_cndmask_b32_e64 v7, v7, v68, s[4:5]
	s_waitcnt lgkmcnt(0)
	v_add_u32_e32 v5, v10, v5
	v_add_u32_e32 v6, v9, v6
	v_lshlrev_b32_e32 v7, 2, v7
	ds_bpermute_b32 v12, v7, v6
	ds_bpermute_b32 v25, v7, v5
	ds_read_b64 v[5:6], v11 offset:24
	s_and_saveexec_b64 s[4:5], s[0:1]
	s_cbranch_execz .LBB1289_150
; %bb.149:
	s_add_u32 s6, s54, 0x400
	s_addc_u32 s7, s55, 0
	v_mov_b32_e32 v27, s7
	v_mov_b32_e32 v7, 2
	v_mov_b32_e32 v8, 0
	v_mov_b32_e32 v26, s6
	s_waitcnt lgkmcnt(0)
	;;#ASMSTART
	global_store_dwordx4 v[26:27], v[5:8] off	
s_waitcnt vmcnt(0)
	;;#ASMEND
.LBB1289_150:
	s_or_b64 exec, exec, s[4:5]
	s_waitcnt lgkmcnt(2)
	v_cndmask_b32_e32 v7, v12, v9, vcc
	s_waitcnt lgkmcnt(1)
	v_cndmask_b32_e32 v8, v25, v10, vcc
	v_cndmask_b32_e64 v12, v8, 0, s[0:1]
	v_cndmask_b32_e64 v25, v7, 0, s[0:1]
	v_mov_b32_e32 v8, 0
	v_mov_b32_e32 v7, 0
	s_waitcnt lgkmcnt(0)
	s_barrier
.LBB1289_151:
	s_waitcnt lgkmcnt(0)
	v_add_co_u32_e32 v1, vcc, v1, v7
	v_addc_co_u32_e32 v2, vcc, 0, v2, vcc
	v_sub_co_u32_e32 v29, vcc, v3, v5
	v_add_u32_e32 v32, v12, v54
	v_subbrev_co_u32_e32 v30, vcc, 0, v4, vcc
	v_lshlrev_b32_e32 v72, 1, v5
	v_sub_u32_e32 v12, v12, v8
	v_lshrrev_b32_e32 v28, 8, v42
	v_add_u32_e32 v31, v25, v53
	v_add_co_u32_e32 v29, vcc, v29, v8
	v_add_u32_e32 v73, v72, v6
	v_sub_u32_e32 v25, v25, v7
	v_add_u32_e32 v12, v12, v5
	v_addc_co_u32_e32 v30, vcc, 0, v30, vcc
	v_add_u32_e32 v35, v73, v35
	v_and_b32_e32 v28, 1, v28
	v_add_u32_e32 v74, v25, v12
	v_and_b32_e32 v73, 1, v36
	v_sub_u32_e32 v74, v35, v74
	v_cmp_eq_u32_e32 vcc, 1, v28
	v_cndmask_b32_e32 v12, v74, v12, vcc
	v_cmp_eq_u32_e32 vcc, 1, v73
	v_cndmask_b32_e32 v12, v12, v25, vcc
	v_lshlrev_b32_e32 v12, 2, v12
	v_sub_u32_e32 v25, v32, v8
	v_lshrrev_b32_e32 v27, 8, v36
	ds_write_b32 v12, v23
	v_sub_u32_e32 v12, v31, v7
	v_add_u32_e32 v25, v25, v5
	v_add_u32_e32 v50, v31, v50
	v_and_b32_e32 v23, 1, v27
	v_mov_b32_e32 v27, 1
	v_add_u32_e32 v31, v25, v12
	v_and_b32_sdwa v28, v27, v42 dst_sel:DWORD dst_unused:UNUSED_PAD src0_sel:DWORD src1_sel:WORD_1
	v_sub_u32_e32 v31, v35, v31
	v_add_u32_e32 v31, 1, v31
	v_cmp_eq_u32_e32 vcc, 1, v28
	v_cndmask_b32_e32 v25, v31, v25, vcc
	v_cmp_eq_u32_e32 vcc, 1, v23
	v_cndmask_b32_e32 v12, v25, v12, vcc
	v_add_u32_e32 v53, v32, v62
	v_lshlrev_b32_e32 v12, 2, v12
	ds_write_b32 v12, v24
	v_sub_u32_e32 v24, v53, v8
	v_sub_u32_e32 v12, v50, v7
	v_add_u32_e32 v24, v24, v5
	v_add_u32_e32 v28, v24, v12
	v_and_b32_e32 v25, 1, v49
	v_sub_u32_e32 v28, v35, v28
	v_and_b32_sdwa v23, v27, v36 dst_sel:DWORD dst_unused:UNUSED_PAD src0_sel:DWORD src1_sel:WORD_1
	v_add_u32_e32 v28, 2, v28
	v_cmp_eq_u32_e32 vcc, 1, v25
	v_cndmask_b32_e32 v24, v28, v24, vcc
	v_cmp_eq_u32_e32 vcc, 1, v23
	v_add_u32_e32 v54, v50, v55
	v_add_u32_e32 v55, v53, v49
	v_cndmask_b32_e32 v12, v24, v12, vcc
	v_lshlrev_b32_e32 v12, 2, v12
	v_sub_u32_e32 v23, v55, v8
	ds_write_b32 v12, v21
	v_sub_u32_e32 v12, v54, v7
	v_add_u32_e32 v23, v23, v5
	v_add_u32_e32 v25, v12, v23
	v_and_b32_e32 v24, 1, v37
	v_sub_u32_e32 v25, v35, v25
	v_and_b32_e32 v21, 1, v48
	v_add_u32_e32 v25, 3, v25
	v_cmp_eq_u32_e32 vcc, 1, v24
	v_cndmask_b32_e32 v23, v25, v23, vcc
	v_cmp_eq_u32_e32 vcc, 1, v21
	v_cndmask_b32_e32 v12, v23, v12, vcc
	v_add_u32_e32 v62, v55, v63
	v_lshlrev_b32_e32 v12, 2, v12
	v_add_u32_e32 v63, v54, v48
	ds_write_b32 v12, v22
	v_sub_u32_e32 v22, v62, v8
	v_sub_u32_e32 v12, v63, v7
	v_add_u32_e32 v22, v22, v5
	v_lshrrev_b32_e32 v26, 8, v37
	v_add_u32_e32 v24, v12, v22
	v_and_b32_e32 v23, 1, v26
	v_sub_u32_e32 v24, v35, v24
	v_and_b32_e32 v21, 1, v38
	v_add_u32_e32 v24, 4, v24
	v_cmp_eq_u32_e32 vcc, 1, v23
	v_cndmask_b32_e32 v22, v24, v22, vcc
	v_cmp_eq_u32_e32 vcc, 1, v21
	v_cndmask_b32_e32 v12, v22, v12, vcc
	v_add_u32_e32 v57, v62, v57
	v_lshlrev_b32_e32 v12, 2, v12
	v_add_u32_e32 v56, v63, v56
	ds_write_b32 v12, v19
	v_sub_u32_e32 v19, v57, v8
	v_sub_u32_e32 v12, v56, v7
	v_add_u32_e32 v19, v19, v5
	v_add_u32_e32 v22, v12, v19
	v_lshrrev_b32_e32 v11, 8, v38
	v_and_b32_sdwa v21, v27, v37 dst_sel:DWORD dst_unused:UNUSED_PAD src0_sel:DWORD src1_sel:WORD_1
	v_sub_u32_e32 v22, v35, v22
	v_and_b32_e32 v11, 1, v11
	v_add_u32_e32 v22, 5, v22
	v_cmp_eq_u32_e32 vcc, 1, v21
	v_cndmask_b32_e32 v19, v22, v19, vcc
	v_cmp_eq_u32_e32 vcc, 1, v11
	v_add_u32_e32 v64, v57, v64
	v_cndmask_b32_e32 v11, v19, v12, vcc
	v_add_u32_e32 v51, v56, v51
	v_lshlrev_b32_e32 v11, 2, v11
	v_sub_u32_e32 v19, v64, v8
	ds_write_b32 v11, v20
	v_sub_u32_e32 v11, v51, v7
	v_add_u32_e32 v19, v19, v5
	v_add_u32_e32 v21, v11, v19
	v_and_b32_e32 v20, 1, v47
	v_sub_u32_e32 v21, v35, v21
	v_and_b32_sdwa v12, v27, v38 dst_sel:DWORD dst_unused:UNUSED_PAD src0_sel:DWORD src1_sel:WORD_1
	v_add_u32_e32 v21, 6, v21
	v_cmp_eq_u32_e32 vcc, 1, v20
	v_cndmask_b32_e32 v19, v21, v19, vcc
	v_cmp_eq_u32_e32 vcc, 1, v12
	v_cndmask_b32_e32 v11, v19, v11, vcc
	v_add_u32_e32 v68, v64, v47
	v_lshlrev_b32_e32 v11, 2, v11
	v_add_u32_e32 v58, v51, v58
	ds_write_b32 v11, v17
	v_sub_u32_e32 v17, v68, v8
	v_sub_u32_e32 v11, v58, v7
	v_add_u32_e32 v17, v17, v5
	v_add_u32_e32 v20, v11, v17
	v_and_b32_e32 v19, 1, v39
	v_sub_u32_e32 v20, v35, v20
	v_and_b32_e32 v12, 1, v46
	v_add_u32_e32 v20, 7, v20
	v_cmp_eq_u32_e32 vcc, 1, v19
	v_cndmask_b32_e32 v17, v20, v17, vcc
	v_cmp_eq_u32_e32 vcc, 1, v12
	v_add_u32_e32 v65, v68, v65
	v_cndmask_b32_e32 v11, v17, v11, vcc
	v_add_u32_e32 v69, v58, v46
	v_lshlrev_b32_e32 v11, 2, v11
	v_sub_u32_e32 v17, v65, v8
	ds_write_b32 v11, v18
	v_sub_u32_e32 v11, v69, v7
	v_add_u32_e32 v17, v17, v5
	v_lshrrev_b32_e32 v10, 8, v39
	v_add_u32_e32 v18, v11, v17
	v_and_b32_e32 v10, 1, v10
	v_sub_u32_e32 v18, v35, v18
	v_and_b32_e32 v12, 1, v41
	v_add_u32_e32 v18, 8, v18
	v_cmp_eq_u32_e32 vcc, 1, v10
	v_cndmask_b32_e32 v10, v18, v17, vcc
	v_cmp_eq_u32_e32 vcc, 1, v12
	v_add_u32_e32 v60, v65, v60
	v_cndmask_b32_e32 v10, v10, v11, vcc
	v_add_u32_e32 v59, v69, v59
	v_lshlrev_b32_e32 v10, 2, v10
	v_sub_u32_e32 v11, v60, v8
	ds_write_b32 v10, v15
	v_sub_u32_e32 v10, v59, v7
	v_add_u32_e32 v11, v11, v5
	v_add_u32_e32 v15, v10, v11
	v_lshrrev_b32_e32 v9, 8, v41
	v_and_b32_sdwa v12, v27, v39 dst_sel:DWORD dst_unused:UNUSED_PAD src0_sel:DWORD src1_sel:WORD_1
	v_sub_u32_e32 v15, v35, v15
	v_and_b32_e32 v9, 1, v9
	v_add_u32_e32 v15, 9, v15
	v_cmp_eq_u32_e32 vcc, 1, v12
	v_cndmask_b32_e32 v11, v15, v11, vcc
	v_cmp_eq_u32_e32 vcc, 1, v9
	v_add_u32_e32 v66, v60, v66
	v_cndmask_b32_e32 v9, v11, v10, vcc
	v_add_u32_e32 v52, v59, v52
	v_lshlrev_b32_e32 v9, 2, v9
	v_sub_u32_e32 v11, v66, v8
	ds_write_b32 v9, v16
	v_sub_u32_e32 v9, v52, v7
	v_add_u32_e32 v11, v11, v5
	v_add_u32_e32 v15, v9, v11
	v_and_b32_e32 v12, 1, v45
	v_sub_u32_e32 v15, v35, v15
	v_and_b32_sdwa v10, v27, v41 dst_sel:DWORD dst_unused:UNUSED_PAD src0_sel:DWORD src1_sel:WORD_1
	v_add_u32_e32 v15, 10, v15
	v_cmp_eq_u32_e32 vcc, 1, v12
	v_cndmask_b32_e32 v11, v15, v11, vcc
	v_cmp_eq_u32_e32 vcc, 1, v10
	v_add_u32_e32 v70, v66, v45
	v_cndmask_b32_e32 v9, v11, v9, vcc
	v_add_u32_e32 v61, v52, v61
	v_lshlrev_b32_e32 v9, 2, v9
	v_sub_u32_e32 v11, v70, v8
	ds_write_b32 v9, v13
	v_sub_u32_e32 v9, v61, v7
	v_add_u32_e32 v11, v11, v5
	v_add_u32_e32 v13, v9, v11
	v_and_b32_e32 v12, 1, v40
	v_sub_u32_e32 v13, v35, v13
	v_add_u32_e32 v67, v70, v67
	v_and_b32_e32 v10, 1, v44
	v_add_u32_e32 v13, 11, v13
	v_cmp_eq_u32_e32 vcc, 1, v12
	v_add_u32_e32 v71, v61, v44
	v_cndmask_b32_e32 v11, v13, v11, vcc
	v_cmp_eq_u32_e32 vcc, 1, v10
	v_sub_u32_e32 v10, v67, v8
	v_sub_u32_e32 v7, v71, v7
	v_add_u32_e32 v10, v10, v5
	v_cndmask_b32_e32 v9, v11, v9, vcc
	v_add_u32_e32 v12, v7, v10
	v_lshlrev_b32_e32 v9, 2, v9
	v_and_b32_e32 v11, 1, v43
	v_sub_u32_e32 v12, v35, v12
	ds_write_b32 v9, v14
	v_and_b32_e32 v9, 1, v42
	v_add_u32_e32 v12, 12, v12
	v_cmp_eq_u32_e32 vcc, 1, v11
	v_cndmask_b32_e32 v10, v12, v10, vcc
	v_cmp_eq_u32_e32 vcc, 1, v9
	v_cndmask_b32_e32 v7, v10, v7, vcc
	v_lshlrev_b32_e32 v7, 2, v7
	ds_write_b32 v7, v34
	v_mov_b32_e32 v7, s53
	v_add_co_u32_e32 v9, vcc, s52, v33
	v_addc_co_u32_e32 v10, vcc, 0, v7, vcc
	v_add_co_u32_e32 v7, vcc, v6, v72
	v_addc_co_u32_e64 v11, s[4:5], 0, 0, vcc
	v_add_co_u32_e32 v7, vcc, v7, v29
	v_addc_co_u32_e32 v11, vcc, v11, v30, vcc
	v_add_co_u32_e32 v7, vcc, v7, v1
	v_addc_co_u32_e32 v11, vcc, v11, v2, vcc
	v_sub_co_u32_e32 v7, vcc, v9, v7
	v_subb_co_u32_e32 v13, vcc, v10, v11, vcc
	v_lshlrev_b64 v[9:10], 2, v[29:30]
	v_mov_b32_e32 v11, s51
	v_add_co_u32_e32 v9, vcc, s50, v9
	v_addc_co_u32_e32 v10, vcc, v11, v10, vcc
	v_lshlrev_b64 v[11:12], 2, v[1:2]
	v_mov_b32_e32 v15, s49
	v_add_co_u32_e32 v11, vcc, s48, v11
	v_addc_co_u32_e32 v12, vcc, v15, v12, vcc
	v_add_u32_e32 v14, v5, v6
	s_and_b64 vcc, exec, s[2:3]
	s_mov_b64 s[2:3], -1
	s_waitcnt lgkmcnt(0)
	s_barrier
	s_cbranch_vccz .LBB1289_155
; %bb.152:
	s_and_b64 vcc, exec, s[2:3]
	s_cbranch_vccnz .LBB1289_260
.LBB1289_153:
	s_and_b64 s[0:1], s[0:1], s[34:35]
	s_and_saveexec_b64 s[2:3], s[0:1]
	s_cbranch_execnz .LBB1289_378
.LBB1289_154:
	s_endpgm
.LBB1289_155:
	v_cmp_ge_u32_e32 vcc, v0, v5
	s_and_saveexec_b64 s[2:3], vcc
	s_xor_b64 s[2:3], exec, s[2:3]
	s_cbranch_execz .LBB1289_161
; %bb.156:
	v_cmp_ge_u32_e32 vcc, v0, v14
	s_and_saveexec_b64 s[4:5], vcc
	s_xor_b64 s[4:5], exec, s[4:5]
	s_cbranch_execz .LBB1289_158
; %bb.157:
	v_add_co_u32_e32 v15, vcc, v7, v0
	v_lshlrev_b32_e32 v17, 2, v0
	v_addc_co_u32_e32 v16, vcc, 0, v13, vcc
	ds_read_b32 v17, v17
	v_lshlrev_b64 v[15:16], 2, v[15:16]
	v_mov_b32_e32 v18, s31
	v_sub_co_u32_e32 v15, vcc, s30, v15
	v_subb_co_u32_e32 v16, vcc, v18, v16, vcc
	s_waitcnt lgkmcnt(0)
	global_store_dword v[15:16], v17, off offset:-4
.LBB1289_158:
	s_andn2_saveexec_b64 s[4:5], s[4:5]
	s_cbranch_execz .LBB1289_160
; %bb.159:
	v_lshlrev_b32_e32 v15, 2, v0
	ds_read_b32 v16, v15
	v_readfirstlane_b32 s6, v9
	v_readfirstlane_b32 s7, v10
	s_waitcnt lgkmcnt(0)
	s_nop 3
	global_store_dword v15, v16, s[6:7]
.LBB1289_160:
	s_or_b64 exec, exec, s[4:5]
.LBB1289_161:
	s_andn2_saveexec_b64 s[2:3], s[2:3]
	s_cbranch_execz .LBB1289_163
; %bb.162:
	v_lshlrev_b32_e32 v15, 2, v0
	ds_read_b32 v16, v15
	v_readfirstlane_b32 s4, v11
	v_readfirstlane_b32 s5, v12
	s_waitcnt lgkmcnt(0)
	s_nop 3
	global_store_dword v15, v16, s[4:5]
.LBB1289_163:
	s_or_b64 exec, exec, s[2:3]
	v_or_b32_e32 v15, 0x100, v0
	v_cmp_ge_u32_e32 vcc, v15, v5
	s_and_saveexec_b64 s[2:3], vcc
	s_xor_b64 s[2:3], exec, s[2:3]
	s_cbranch_execz .LBB1289_169
; %bb.164:
	v_cmp_ge_u32_e32 vcc, v15, v14
	s_and_saveexec_b64 s[4:5], vcc
	s_xor_b64 s[4:5], exec, s[4:5]
	s_cbranch_execz .LBB1289_166
; %bb.165:
	v_lshlrev_b32_e32 v15, 2, v0
	ds_read_b32 v17, v15 offset:1024
	v_add_co_u32_e32 v15, vcc, v7, v0
	v_addc_co_u32_e32 v16, vcc, 0, v13, vcc
	v_lshlrev_b64 v[15:16], 2, v[15:16]
	v_mov_b32_e32 v18, s31
	v_sub_co_u32_e32 v15, vcc, s30, v15
	v_subb_co_u32_e32 v16, vcc, v18, v16, vcc
	s_waitcnt lgkmcnt(0)
	global_store_dword v[15:16], v17, off offset:-1028
.LBB1289_166:
	s_andn2_saveexec_b64 s[4:5], s[4:5]
	s_cbranch_execz .LBB1289_168
; %bb.167:
	v_lshlrev_b32_e32 v15, 2, v0
	ds_read_b32 v16, v15 offset:1024
	v_readfirstlane_b32 s6, v9
	v_readfirstlane_b32 s7, v10
	s_waitcnt lgkmcnt(0)
	s_nop 3
	global_store_dword v15, v16, s[6:7] offset:1024
.LBB1289_168:
	s_or_b64 exec, exec, s[4:5]
.LBB1289_169:
	s_andn2_saveexec_b64 s[2:3], s[2:3]
	s_cbranch_execz .LBB1289_171
; %bb.170:
	v_lshlrev_b32_e32 v15, 2, v0
	ds_read_b32 v16, v15 offset:1024
	v_readfirstlane_b32 s4, v11
	v_readfirstlane_b32 s5, v12
	s_waitcnt lgkmcnt(0)
	s_nop 3
	global_store_dword v15, v16, s[4:5] offset:1024
.LBB1289_171:
	s_or_b64 exec, exec, s[2:3]
	v_or_b32_e32 v15, 0x200, v0
	v_cmp_ge_u32_e32 vcc, v15, v5
	s_and_saveexec_b64 s[2:3], vcc
	s_xor_b64 s[2:3], exec, s[2:3]
	s_cbranch_execz .LBB1289_177
; %bb.172:
	v_cmp_ge_u32_e32 vcc, v15, v14
	s_and_saveexec_b64 s[4:5], vcc
	s_xor_b64 s[4:5], exec, s[4:5]
	s_cbranch_execz .LBB1289_174
; %bb.173:
	v_lshlrev_b32_e32 v15, 2, v0
	ds_read_b32 v17, v15 offset:2048
	v_add_co_u32_e32 v15, vcc, v7, v0
	v_addc_co_u32_e32 v16, vcc, 0, v13, vcc
	v_lshlrev_b64 v[15:16], 2, v[15:16]
	v_mov_b32_e32 v18, s31
	v_sub_co_u32_e32 v15, vcc, s30, v15
	v_subb_co_u32_e32 v16, vcc, v18, v16, vcc
	s_waitcnt lgkmcnt(0)
	global_store_dword v[15:16], v17, off offset:-2052
.LBB1289_174:
	s_andn2_saveexec_b64 s[4:5], s[4:5]
	s_cbranch_execz .LBB1289_176
; %bb.175:
	v_lshlrev_b32_e32 v15, 2, v0
	ds_read_b32 v16, v15 offset:2048
	v_readfirstlane_b32 s6, v9
	v_readfirstlane_b32 s7, v10
	s_waitcnt lgkmcnt(0)
	s_nop 3
	global_store_dword v15, v16, s[6:7] offset:2048
.LBB1289_176:
	s_or_b64 exec, exec, s[4:5]
.LBB1289_177:
	s_andn2_saveexec_b64 s[2:3], s[2:3]
	s_cbranch_execz .LBB1289_179
; %bb.178:
	v_lshlrev_b32_e32 v15, 2, v0
	ds_read_b32 v16, v15 offset:2048
	v_readfirstlane_b32 s4, v11
	v_readfirstlane_b32 s5, v12
	s_waitcnt lgkmcnt(0)
	s_nop 3
	global_store_dword v15, v16, s[4:5] offset:2048
.LBB1289_179:
	;; [unrolled: 47-line block ×3, first 2 shown]
	s_or_b64 exec, exec, s[2:3]
	v_or_b32_e32 v15, 0x400, v0
	v_cmp_ge_u32_e32 vcc, v15, v5
	s_and_saveexec_b64 s[2:3], vcc
	s_xor_b64 s[2:3], exec, s[2:3]
	s_cbranch_execz .LBB1289_193
; %bb.188:
	v_cmp_ge_u32_e32 vcc, v15, v14
	s_and_saveexec_b64 s[4:5], vcc
	s_xor_b64 s[4:5], exec, s[4:5]
	s_cbranch_execz .LBB1289_190
; %bb.189:
	v_lshlrev_b32_e32 v15, 2, v0
	ds_read_b32 v17, v15 offset:4096
	v_add_co_u32_e32 v15, vcc, v7, v0
	v_addc_co_u32_e32 v16, vcc, 0, v13, vcc
	v_lshlrev_b64 v[15:16], 2, v[15:16]
	v_mov_b32_e32 v18, s31
	v_sub_co_u32_e32 v15, vcc, s30, v15
	v_subb_co_u32_e32 v16, vcc, v18, v16, vcc
	v_add_co_u32_e32 v15, vcc, 0xfffff000, v15
	v_addc_co_u32_e32 v16, vcc, -1, v16, vcc
	s_waitcnt lgkmcnt(0)
	global_store_dword v[15:16], v17, off offset:-4
                                        ; implicit-def: $vgpr15
.LBB1289_190:
	s_andn2_saveexec_b64 s[4:5], s[4:5]
	s_cbranch_execz .LBB1289_192
; %bb.191:
	v_lshlrev_b32_e32 v16, 2, v0
	ds_read_b32 v16, v16 offset:4096
	v_lshlrev_b32_e32 v15, 2, v15
	v_readfirstlane_b32 s6, v9
	v_readfirstlane_b32 s7, v10
	s_waitcnt lgkmcnt(0)
	s_nop 3
	global_store_dword v15, v16, s[6:7]
.LBB1289_192:
	s_or_b64 exec, exec, s[4:5]
                                        ; implicit-def: $vgpr15
.LBB1289_193:
	s_andn2_saveexec_b64 s[2:3], s[2:3]
	s_cbranch_execz .LBB1289_195
; %bb.194:
	v_lshlrev_b32_e32 v16, 2, v0
	ds_read_b32 v16, v16 offset:4096
	v_lshlrev_b32_e32 v15, 2, v15
	v_readfirstlane_b32 s4, v11
	v_readfirstlane_b32 s5, v12
	s_waitcnt lgkmcnt(0)
	s_nop 3
	global_store_dword v15, v16, s[4:5]
.LBB1289_195:
	s_or_b64 exec, exec, s[2:3]
	v_or_b32_e32 v15, 0x500, v0
	v_cmp_ge_u32_e32 vcc, v15, v5
	s_and_saveexec_b64 s[2:3], vcc
	s_xor_b64 s[2:3], exec, s[2:3]
	s_cbranch_execz .LBB1289_201
; %bb.196:
	v_cmp_ge_u32_e32 vcc, v15, v14
	s_and_saveexec_b64 s[4:5], vcc
	s_xor_b64 s[4:5], exec, s[4:5]
	s_cbranch_execz .LBB1289_198
; %bb.197:
	v_add_co_u32_e32 v15, vcc, v7, v15
	v_lshlrev_b32_e32 v17, 2, v0
	v_addc_co_u32_e32 v16, vcc, 0, v13, vcc
	ds_read_b32 v17, v17 offset:5120
	v_lshlrev_b64 v[15:16], 2, v[15:16]
	v_mov_b32_e32 v18, s31
	v_sub_co_u32_e32 v15, vcc, s30, v15
	v_subb_co_u32_e32 v16, vcc, v18, v16, vcc
	s_waitcnt lgkmcnt(0)
	global_store_dword v[15:16], v17, off offset:-4
                                        ; implicit-def: $vgpr15
.LBB1289_198:
	s_andn2_saveexec_b64 s[4:5], s[4:5]
	s_cbranch_execz .LBB1289_200
; %bb.199:
	v_lshlrev_b32_e32 v16, 2, v0
	ds_read_b32 v16, v16 offset:5120
	v_lshlrev_b32_e32 v15, 2, v15
	v_readfirstlane_b32 s6, v9
	v_readfirstlane_b32 s7, v10
	s_waitcnt lgkmcnt(0)
	s_nop 3
	global_store_dword v15, v16, s[6:7]
.LBB1289_200:
	s_or_b64 exec, exec, s[4:5]
                                        ; implicit-def: $vgpr15
.LBB1289_201:
	s_andn2_saveexec_b64 s[2:3], s[2:3]
	s_cbranch_execz .LBB1289_203
; %bb.202:
	v_lshlrev_b32_e32 v16, 2, v0
	ds_read_b32 v16, v16 offset:5120
	v_lshlrev_b32_e32 v15, 2, v15
	v_readfirstlane_b32 s4, v11
	v_readfirstlane_b32 s5, v12
	s_waitcnt lgkmcnt(0)
	s_nop 3
	global_store_dword v15, v16, s[4:5]
.LBB1289_203:
	s_or_b64 exec, exec, s[2:3]
	v_or_b32_e32 v15, 0x600, v0
	v_cmp_ge_u32_e32 vcc, v15, v5
	s_and_saveexec_b64 s[2:3], vcc
	s_xor_b64 s[2:3], exec, s[2:3]
	s_cbranch_execz .LBB1289_209
; %bb.204:
	v_cmp_ge_u32_e32 vcc, v15, v14
	s_and_saveexec_b64 s[4:5], vcc
	s_xor_b64 s[4:5], exec, s[4:5]
	s_cbranch_execz .LBB1289_206
; %bb.205:
	v_add_co_u32_e32 v15, vcc, v7, v15
	v_lshlrev_b32_e32 v17, 2, v0
	v_addc_co_u32_e32 v16, vcc, 0, v13, vcc
	ds_read_b32 v17, v17 offset:6144
	v_lshlrev_b64 v[15:16], 2, v[15:16]
	v_mov_b32_e32 v18, s31
	v_sub_co_u32_e32 v15, vcc, s30, v15
	v_subb_co_u32_e32 v16, vcc, v18, v16, vcc
	s_waitcnt lgkmcnt(0)
	global_store_dword v[15:16], v17, off offset:-4
                                        ; implicit-def: $vgpr15
.LBB1289_206:
	s_andn2_saveexec_b64 s[4:5], s[4:5]
	s_cbranch_execz .LBB1289_208
; %bb.207:
	v_lshlrev_b32_e32 v16, 2, v0
	ds_read_b32 v16, v16 offset:6144
	v_lshlrev_b32_e32 v15, 2, v15
	v_readfirstlane_b32 s6, v9
	v_readfirstlane_b32 s7, v10
	s_waitcnt lgkmcnt(0)
	s_nop 3
	global_store_dword v15, v16, s[6:7]
.LBB1289_208:
	s_or_b64 exec, exec, s[4:5]
                                        ; implicit-def: $vgpr15
.LBB1289_209:
	s_andn2_saveexec_b64 s[2:3], s[2:3]
	s_cbranch_execz .LBB1289_211
; %bb.210:
	v_lshlrev_b32_e32 v16, 2, v0
	ds_read_b32 v16, v16 offset:6144
	v_lshlrev_b32_e32 v15, 2, v15
	v_readfirstlane_b32 s4, v11
	v_readfirstlane_b32 s5, v12
	s_waitcnt lgkmcnt(0)
	s_nop 3
	global_store_dword v15, v16, s[4:5]
.LBB1289_211:
	s_or_b64 exec, exec, s[2:3]
	v_or_b32_e32 v15, 0x700, v0
	v_cmp_ge_u32_e32 vcc, v15, v5
	s_and_saveexec_b64 s[2:3], vcc
	s_xor_b64 s[2:3], exec, s[2:3]
	s_cbranch_execz .LBB1289_217
; %bb.212:
	v_cmp_ge_u32_e32 vcc, v15, v14
	s_and_saveexec_b64 s[4:5], vcc
	s_xor_b64 s[4:5], exec, s[4:5]
	s_cbranch_execz .LBB1289_214
; %bb.213:
	v_add_co_u32_e32 v15, vcc, v7, v15
	v_lshlrev_b32_e32 v17, 2, v0
	v_addc_co_u32_e32 v16, vcc, 0, v13, vcc
	ds_read_b32 v17, v17 offset:7168
	v_lshlrev_b64 v[15:16], 2, v[15:16]
	v_mov_b32_e32 v18, s31
	v_sub_co_u32_e32 v15, vcc, s30, v15
	v_subb_co_u32_e32 v16, vcc, v18, v16, vcc
	s_waitcnt lgkmcnt(0)
	global_store_dword v[15:16], v17, off offset:-4
                                        ; implicit-def: $vgpr15
.LBB1289_214:
	s_andn2_saveexec_b64 s[4:5], s[4:5]
	s_cbranch_execz .LBB1289_216
; %bb.215:
	v_lshlrev_b32_e32 v16, 2, v0
	ds_read_b32 v16, v16 offset:7168
	v_lshlrev_b32_e32 v15, 2, v15
	v_readfirstlane_b32 s6, v9
	v_readfirstlane_b32 s7, v10
	s_waitcnt lgkmcnt(0)
	s_nop 3
	global_store_dword v15, v16, s[6:7]
.LBB1289_216:
	s_or_b64 exec, exec, s[4:5]
                                        ; implicit-def: $vgpr15
.LBB1289_217:
	s_andn2_saveexec_b64 s[2:3], s[2:3]
	s_cbranch_execz .LBB1289_219
; %bb.218:
	v_lshlrev_b32_e32 v16, 2, v0
	ds_read_b32 v16, v16 offset:7168
	v_lshlrev_b32_e32 v15, 2, v15
	v_readfirstlane_b32 s4, v11
	v_readfirstlane_b32 s5, v12
	s_waitcnt lgkmcnt(0)
	s_nop 3
	global_store_dword v15, v16, s[4:5]
.LBB1289_219:
	s_or_b64 exec, exec, s[2:3]
	v_or_b32_e32 v15, 0x800, v0
	v_cmp_ge_u32_e32 vcc, v15, v5
	s_and_saveexec_b64 s[2:3], vcc
	s_xor_b64 s[2:3], exec, s[2:3]
	s_cbranch_execz .LBB1289_225
; %bb.220:
	v_cmp_ge_u32_e32 vcc, v15, v14
	s_and_saveexec_b64 s[4:5], vcc
	s_xor_b64 s[4:5], exec, s[4:5]
	s_cbranch_execz .LBB1289_222
; %bb.221:
	v_add_co_u32_e32 v15, vcc, v7, v15
	v_lshlrev_b32_e32 v17, 2, v0
	v_addc_co_u32_e32 v16, vcc, 0, v13, vcc
	ds_read_b32 v17, v17 offset:8192
	v_lshlrev_b64 v[15:16], 2, v[15:16]
	v_mov_b32_e32 v18, s31
	v_sub_co_u32_e32 v15, vcc, s30, v15
	v_subb_co_u32_e32 v16, vcc, v18, v16, vcc
	s_waitcnt lgkmcnt(0)
	global_store_dword v[15:16], v17, off offset:-4
                                        ; implicit-def: $vgpr15
.LBB1289_222:
	s_andn2_saveexec_b64 s[4:5], s[4:5]
	s_cbranch_execz .LBB1289_224
; %bb.223:
	v_lshlrev_b32_e32 v16, 2, v0
	ds_read_b32 v16, v16 offset:8192
	v_lshlrev_b32_e32 v15, 2, v15
	v_readfirstlane_b32 s6, v9
	v_readfirstlane_b32 s7, v10
	s_waitcnt lgkmcnt(0)
	s_nop 3
	global_store_dword v15, v16, s[6:7]
.LBB1289_224:
	s_or_b64 exec, exec, s[4:5]
                                        ; implicit-def: $vgpr15
.LBB1289_225:
	s_andn2_saveexec_b64 s[2:3], s[2:3]
	s_cbranch_execz .LBB1289_227
; %bb.226:
	v_lshlrev_b32_e32 v16, 2, v0
	ds_read_b32 v16, v16 offset:8192
	v_lshlrev_b32_e32 v15, 2, v15
	v_readfirstlane_b32 s4, v11
	v_readfirstlane_b32 s5, v12
	s_waitcnt lgkmcnt(0)
	s_nop 3
	global_store_dword v15, v16, s[4:5]
.LBB1289_227:
	s_or_b64 exec, exec, s[2:3]
	v_or_b32_e32 v15, 0x900, v0
	v_cmp_ge_u32_e32 vcc, v15, v5
	s_and_saveexec_b64 s[2:3], vcc
	s_xor_b64 s[2:3], exec, s[2:3]
	s_cbranch_execz .LBB1289_233
; %bb.228:
	v_cmp_ge_u32_e32 vcc, v15, v14
	s_and_saveexec_b64 s[4:5], vcc
	s_xor_b64 s[4:5], exec, s[4:5]
	s_cbranch_execz .LBB1289_230
; %bb.229:
	v_add_co_u32_e32 v15, vcc, v7, v15
	v_lshlrev_b32_e32 v17, 2, v0
	v_addc_co_u32_e32 v16, vcc, 0, v13, vcc
	ds_read_b32 v17, v17 offset:9216
	v_lshlrev_b64 v[15:16], 2, v[15:16]
	v_mov_b32_e32 v18, s31
	v_sub_co_u32_e32 v15, vcc, s30, v15
	v_subb_co_u32_e32 v16, vcc, v18, v16, vcc
	s_waitcnt lgkmcnt(0)
	global_store_dword v[15:16], v17, off offset:-4
                                        ; implicit-def: $vgpr15
.LBB1289_230:
	s_andn2_saveexec_b64 s[4:5], s[4:5]
	s_cbranch_execz .LBB1289_232
; %bb.231:
	v_lshlrev_b32_e32 v16, 2, v0
	ds_read_b32 v16, v16 offset:9216
	v_lshlrev_b32_e32 v15, 2, v15
	v_readfirstlane_b32 s6, v9
	v_readfirstlane_b32 s7, v10
	s_waitcnt lgkmcnt(0)
	s_nop 3
	global_store_dword v15, v16, s[6:7]
.LBB1289_232:
	s_or_b64 exec, exec, s[4:5]
                                        ; implicit-def: $vgpr15
.LBB1289_233:
	s_andn2_saveexec_b64 s[2:3], s[2:3]
	s_cbranch_execz .LBB1289_235
; %bb.234:
	v_lshlrev_b32_e32 v16, 2, v0
	ds_read_b32 v16, v16 offset:9216
	v_lshlrev_b32_e32 v15, 2, v15
	v_readfirstlane_b32 s4, v11
	v_readfirstlane_b32 s5, v12
	s_waitcnt lgkmcnt(0)
	s_nop 3
	global_store_dword v15, v16, s[4:5]
.LBB1289_235:
	s_or_b64 exec, exec, s[2:3]
	v_or_b32_e32 v15, 0xa00, v0
	v_cmp_ge_u32_e32 vcc, v15, v5
	s_and_saveexec_b64 s[2:3], vcc
	s_xor_b64 s[2:3], exec, s[2:3]
	s_cbranch_execz .LBB1289_241
; %bb.236:
	v_cmp_ge_u32_e32 vcc, v15, v14
	s_and_saveexec_b64 s[4:5], vcc
	s_xor_b64 s[4:5], exec, s[4:5]
	s_cbranch_execz .LBB1289_238
; %bb.237:
	v_add_co_u32_e32 v15, vcc, v7, v15
	v_lshlrev_b32_e32 v17, 2, v0
	v_addc_co_u32_e32 v16, vcc, 0, v13, vcc
	ds_read_b32 v17, v17 offset:10240
	v_lshlrev_b64 v[15:16], 2, v[15:16]
	v_mov_b32_e32 v18, s31
	v_sub_co_u32_e32 v15, vcc, s30, v15
	v_subb_co_u32_e32 v16, vcc, v18, v16, vcc
	s_waitcnt lgkmcnt(0)
	global_store_dword v[15:16], v17, off offset:-4
                                        ; implicit-def: $vgpr15
.LBB1289_238:
	s_andn2_saveexec_b64 s[4:5], s[4:5]
	s_cbranch_execz .LBB1289_240
; %bb.239:
	v_lshlrev_b32_e32 v16, 2, v0
	ds_read_b32 v16, v16 offset:10240
	v_lshlrev_b32_e32 v15, 2, v15
	v_readfirstlane_b32 s6, v9
	v_readfirstlane_b32 s7, v10
	s_waitcnt lgkmcnt(0)
	s_nop 3
	global_store_dword v15, v16, s[6:7]
.LBB1289_240:
	s_or_b64 exec, exec, s[4:5]
                                        ; implicit-def: $vgpr15
.LBB1289_241:
	s_andn2_saveexec_b64 s[2:3], s[2:3]
	s_cbranch_execz .LBB1289_243
; %bb.242:
	v_lshlrev_b32_e32 v16, 2, v0
	ds_read_b32 v16, v16 offset:10240
	v_lshlrev_b32_e32 v15, 2, v15
	v_readfirstlane_b32 s4, v11
	v_readfirstlane_b32 s5, v12
	s_waitcnt lgkmcnt(0)
	s_nop 3
	global_store_dword v15, v16, s[4:5]
.LBB1289_243:
	s_or_b64 exec, exec, s[2:3]
	v_or_b32_e32 v15, 0xb00, v0
	v_cmp_ge_u32_e32 vcc, v15, v5
	s_and_saveexec_b64 s[2:3], vcc
	s_xor_b64 s[2:3], exec, s[2:3]
	s_cbranch_execz .LBB1289_249
; %bb.244:
	v_cmp_ge_u32_e32 vcc, v15, v14
	s_and_saveexec_b64 s[4:5], vcc
	s_xor_b64 s[4:5], exec, s[4:5]
	s_cbranch_execz .LBB1289_246
; %bb.245:
	v_add_co_u32_e32 v15, vcc, v7, v15
	v_lshlrev_b32_e32 v17, 2, v0
	v_addc_co_u32_e32 v16, vcc, 0, v13, vcc
	ds_read_b32 v17, v17 offset:11264
	v_lshlrev_b64 v[15:16], 2, v[15:16]
	v_mov_b32_e32 v18, s31
	v_sub_co_u32_e32 v15, vcc, s30, v15
	v_subb_co_u32_e32 v16, vcc, v18, v16, vcc
	s_waitcnt lgkmcnt(0)
	global_store_dword v[15:16], v17, off offset:-4
                                        ; implicit-def: $vgpr15
.LBB1289_246:
	s_andn2_saveexec_b64 s[4:5], s[4:5]
	s_cbranch_execz .LBB1289_248
; %bb.247:
	v_lshlrev_b32_e32 v16, 2, v0
	ds_read_b32 v16, v16 offset:11264
	v_lshlrev_b32_e32 v15, 2, v15
	v_readfirstlane_b32 s6, v9
	v_readfirstlane_b32 s7, v10
	s_waitcnt lgkmcnt(0)
	s_nop 3
	global_store_dword v15, v16, s[6:7]
.LBB1289_248:
	s_or_b64 exec, exec, s[4:5]
                                        ; implicit-def: $vgpr15
.LBB1289_249:
	s_andn2_saveexec_b64 s[2:3], s[2:3]
	s_cbranch_execz .LBB1289_251
; %bb.250:
	v_lshlrev_b32_e32 v16, 2, v0
	ds_read_b32 v16, v16 offset:11264
	v_lshlrev_b32_e32 v15, 2, v15
	v_readfirstlane_b32 s4, v11
	v_readfirstlane_b32 s5, v12
	s_waitcnt lgkmcnt(0)
	s_nop 3
	global_store_dword v15, v16, s[4:5]
.LBB1289_251:
	s_or_b64 exec, exec, s[2:3]
	v_or_b32_e32 v15, 0xc00, v0
	v_cmp_ge_u32_e32 vcc, v15, v5
	s_and_saveexec_b64 s[2:3], vcc
	s_xor_b64 s[2:3], exec, s[2:3]
	s_cbranch_execz .LBB1289_257
; %bb.252:
	v_cmp_ge_u32_e32 vcc, v15, v14
	s_and_saveexec_b64 s[4:5], vcc
	s_xor_b64 s[4:5], exec, s[4:5]
	s_cbranch_execz .LBB1289_254
; %bb.253:
	v_add_co_u32_e32 v15, vcc, v7, v15
	v_lshlrev_b32_e32 v17, 2, v0
	v_addc_co_u32_e32 v16, vcc, 0, v13, vcc
	ds_read_b32 v17, v17 offset:12288
	v_lshlrev_b64 v[15:16], 2, v[15:16]
	v_mov_b32_e32 v18, s31
	v_sub_co_u32_e32 v15, vcc, s30, v15
	v_subb_co_u32_e32 v16, vcc, v18, v16, vcc
	s_waitcnt lgkmcnt(0)
	global_store_dword v[15:16], v17, off offset:-4
                                        ; implicit-def: $vgpr15
.LBB1289_254:
	s_andn2_saveexec_b64 s[4:5], s[4:5]
	s_cbranch_execz .LBB1289_256
; %bb.255:
	v_lshlrev_b32_e32 v16, 2, v0
	ds_read_b32 v16, v16 offset:12288
	v_lshlrev_b32_e32 v15, 2, v15
	v_readfirstlane_b32 s6, v9
	v_readfirstlane_b32 s7, v10
	s_waitcnt lgkmcnt(0)
	s_nop 3
	global_store_dword v15, v16, s[6:7]
.LBB1289_256:
	s_or_b64 exec, exec, s[4:5]
                                        ; implicit-def: $vgpr15
.LBB1289_257:
	s_andn2_saveexec_b64 s[2:3], s[2:3]
	s_cbranch_execz .LBB1289_259
; %bb.258:
	v_lshlrev_b32_e32 v16, 2, v0
	ds_read_b32 v16, v16 offset:12288
	v_lshlrev_b32_e32 v15, 2, v15
	v_readfirstlane_b32 s4, v11
	v_readfirstlane_b32 s5, v12
	s_waitcnt lgkmcnt(0)
	s_nop 3
	global_store_dword v15, v16, s[4:5]
.LBB1289_259:
	s_or_b64 exec, exec, s[2:3]
	s_branch .LBB1289_153
.LBB1289_260:
	v_cmp_gt_u32_e32 vcc, s16, v0
	s_and_saveexec_b64 s[2:3], vcc
	s_cbranch_execz .LBB1289_269
; %bb.261:
	v_cmp_ge_u32_e32 vcc, v0, v5
	s_and_saveexec_b64 s[4:5], vcc
	s_xor_b64 s[4:5], exec, s[4:5]
	s_cbranch_execz .LBB1289_267
; %bb.262:
	v_cmp_ge_u32_e32 vcc, v0, v14
	s_and_saveexec_b64 s[6:7], vcc
	s_xor_b64 s[6:7], exec, s[6:7]
	s_cbranch_execz .LBB1289_264
; %bb.263:
	v_add_co_u32_e32 v15, vcc, v7, v0
	v_lshlrev_b32_e32 v17, 2, v0
	v_addc_co_u32_e32 v16, vcc, 0, v13, vcc
	ds_read_b32 v17, v17
	v_lshlrev_b64 v[15:16], 2, v[15:16]
	v_mov_b32_e32 v18, s31
	v_sub_co_u32_e32 v15, vcc, s30, v15
	v_subb_co_u32_e32 v16, vcc, v18, v16, vcc
	s_waitcnt lgkmcnt(0)
	global_store_dword v[15:16], v17, off offset:-4
.LBB1289_264:
	s_andn2_saveexec_b64 s[6:7], s[6:7]
	s_cbranch_execz .LBB1289_266
; %bb.265:
	v_lshlrev_b32_e32 v15, 2, v0
	ds_read_b32 v16, v15
	v_readfirstlane_b32 s8, v9
	v_readfirstlane_b32 s9, v10
	s_waitcnt lgkmcnt(0)
	s_nop 3
	global_store_dword v15, v16, s[8:9]
.LBB1289_266:
	s_or_b64 exec, exec, s[6:7]
.LBB1289_267:
	s_andn2_saveexec_b64 s[4:5], s[4:5]
	s_cbranch_execz .LBB1289_269
; %bb.268:
	v_lshlrev_b32_e32 v15, 2, v0
	ds_read_b32 v16, v15
	v_readfirstlane_b32 s4, v11
	v_readfirstlane_b32 s5, v12
	s_waitcnt lgkmcnt(0)
	s_nop 3
	global_store_dword v15, v16, s[4:5]
.LBB1289_269:
	s_or_b64 exec, exec, s[2:3]
	v_or_b32_e32 v15, 0x100, v0
	v_cmp_gt_u32_e32 vcc, s16, v15
	s_and_saveexec_b64 s[2:3], vcc
	s_cbranch_execz .LBB1289_278
; %bb.270:
	v_cmp_ge_u32_e32 vcc, v15, v5
	s_and_saveexec_b64 s[4:5], vcc
	s_xor_b64 s[4:5], exec, s[4:5]
	s_cbranch_execz .LBB1289_276
; %bb.271:
	v_cmp_ge_u32_e32 vcc, v15, v14
	s_and_saveexec_b64 s[6:7], vcc
	s_xor_b64 s[6:7], exec, s[6:7]
	s_cbranch_execz .LBB1289_273
; %bb.272:
	v_lshlrev_b32_e32 v15, 2, v0
	ds_read_b32 v17, v15 offset:1024
	v_add_co_u32_e32 v15, vcc, v7, v0
	v_addc_co_u32_e32 v16, vcc, 0, v13, vcc
	v_lshlrev_b64 v[15:16], 2, v[15:16]
	v_mov_b32_e32 v18, s31
	v_sub_co_u32_e32 v15, vcc, s30, v15
	v_subb_co_u32_e32 v16, vcc, v18, v16, vcc
	s_waitcnt lgkmcnt(0)
	global_store_dword v[15:16], v17, off offset:-1028
.LBB1289_273:
	s_andn2_saveexec_b64 s[6:7], s[6:7]
	s_cbranch_execz .LBB1289_275
; %bb.274:
	v_lshlrev_b32_e32 v15, 2, v0
	ds_read_b32 v16, v15 offset:1024
	v_readfirstlane_b32 s8, v9
	v_readfirstlane_b32 s9, v10
	s_waitcnt lgkmcnt(0)
	s_nop 3
	global_store_dword v15, v16, s[8:9] offset:1024
.LBB1289_275:
	s_or_b64 exec, exec, s[6:7]
.LBB1289_276:
	s_andn2_saveexec_b64 s[4:5], s[4:5]
	s_cbranch_execz .LBB1289_278
; %bb.277:
	v_lshlrev_b32_e32 v15, 2, v0
	ds_read_b32 v16, v15 offset:1024
	v_readfirstlane_b32 s4, v11
	v_readfirstlane_b32 s5, v12
	s_waitcnt lgkmcnt(0)
	s_nop 3
	global_store_dword v15, v16, s[4:5] offset:1024
.LBB1289_278:
	s_or_b64 exec, exec, s[2:3]
	v_or_b32_e32 v15, 0x200, v0
	v_cmp_gt_u32_e32 vcc, s16, v15
	s_and_saveexec_b64 s[2:3], vcc
	s_cbranch_execz .LBB1289_287
; %bb.279:
	v_cmp_ge_u32_e32 vcc, v15, v5
	s_and_saveexec_b64 s[4:5], vcc
	s_xor_b64 s[4:5], exec, s[4:5]
	s_cbranch_execz .LBB1289_285
; %bb.280:
	v_cmp_ge_u32_e32 vcc, v15, v14
	s_and_saveexec_b64 s[6:7], vcc
	s_xor_b64 s[6:7], exec, s[6:7]
	s_cbranch_execz .LBB1289_282
; %bb.281:
	v_lshlrev_b32_e32 v15, 2, v0
	ds_read_b32 v17, v15 offset:2048
	v_add_co_u32_e32 v15, vcc, v7, v0
	v_addc_co_u32_e32 v16, vcc, 0, v13, vcc
	v_lshlrev_b64 v[15:16], 2, v[15:16]
	v_mov_b32_e32 v18, s31
	v_sub_co_u32_e32 v15, vcc, s30, v15
	v_subb_co_u32_e32 v16, vcc, v18, v16, vcc
	s_waitcnt lgkmcnt(0)
	global_store_dword v[15:16], v17, off offset:-2052
.LBB1289_282:
	s_andn2_saveexec_b64 s[6:7], s[6:7]
	s_cbranch_execz .LBB1289_284
; %bb.283:
	v_lshlrev_b32_e32 v15, 2, v0
	ds_read_b32 v16, v15 offset:2048
	v_readfirstlane_b32 s8, v9
	v_readfirstlane_b32 s9, v10
	s_waitcnt lgkmcnt(0)
	s_nop 3
	global_store_dword v15, v16, s[8:9] offset:2048
.LBB1289_284:
	s_or_b64 exec, exec, s[6:7]
.LBB1289_285:
	s_andn2_saveexec_b64 s[4:5], s[4:5]
	s_cbranch_execz .LBB1289_287
; %bb.286:
	v_lshlrev_b32_e32 v15, 2, v0
	ds_read_b32 v16, v15 offset:2048
	v_readfirstlane_b32 s4, v11
	v_readfirstlane_b32 s5, v12
	s_waitcnt lgkmcnt(0)
	s_nop 3
	global_store_dword v15, v16, s[4:5] offset:2048
.LBB1289_287:
	;; [unrolled: 51-line block ×3, first 2 shown]
	s_or_b64 exec, exec, s[2:3]
	v_or_b32_e32 v15, 0x400, v0
	v_cmp_gt_u32_e32 vcc, s16, v15
	s_and_saveexec_b64 s[2:3], vcc
	s_cbranch_execz .LBB1289_305
; %bb.297:
	v_cmp_ge_u32_e32 vcc, v15, v5
	s_and_saveexec_b64 s[4:5], vcc
	s_xor_b64 s[4:5], exec, s[4:5]
	s_cbranch_execz .LBB1289_303
; %bb.298:
	v_cmp_ge_u32_e32 vcc, v15, v14
	s_and_saveexec_b64 s[6:7], vcc
	s_xor_b64 s[6:7], exec, s[6:7]
	s_cbranch_execz .LBB1289_300
; %bb.299:
	v_lshlrev_b32_e32 v15, 2, v0
	ds_read_b32 v17, v15 offset:4096
	v_add_co_u32_e32 v15, vcc, v7, v0
	v_addc_co_u32_e32 v16, vcc, 0, v13, vcc
	v_lshlrev_b64 v[15:16], 2, v[15:16]
	v_mov_b32_e32 v18, s31
	v_sub_co_u32_e32 v15, vcc, s30, v15
	v_subb_co_u32_e32 v16, vcc, v18, v16, vcc
	v_add_co_u32_e32 v15, vcc, 0xfffff000, v15
	v_addc_co_u32_e32 v16, vcc, -1, v16, vcc
	s_waitcnt lgkmcnt(0)
	global_store_dword v[15:16], v17, off offset:-4
                                        ; implicit-def: $vgpr15
.LBB1289_300:
	s_andn2_saveexec_b64 s[6:7], s[6:7]
	s_cbranch_execz .LBB1289_302
; %bb.301:
	v_lshlrev_b32_e32 v16, 2, v0
	ds_read_b32 v16, v16 offset:4096
	v_lshlrev_b32_e32 v15, 2, v15
	v_readfirstlane_b32 s8, v9
	v_readfirstlane_b32 s9, v10
	s_waitcnt lgkmcnt(0)
	s_nop 3
	global_store_dword v15, v16, s[8:9]
.LBB1289_302:
	s_or_b64 exec, exec, s[6:7]
                                        ; implicit-def: $vgpr15
.LBB1289_303:
	s_andn2_saveexec_b64 s[4:5], s[4:5]
	s_cbranch_execz .LBB1289_305
; %bb.304:
	v_lshlrev_b32_e32 v16, 2, v0
	ds_read_b32 v16, v16 offset:4096
	v_lshlrev_b32_e32 v15, 2, v15
	v_readfirstlane_b32 s4, v11
	v_readfirstlane_b32 s5, v12
	s_waitcnt lgkmcnt(0)
	s_nop 3
	global_store_dword v15, v16, s[4:5]
.LBB1289_305:
	s_or_b64 exec, exec, s[2:3]
	v_or_b32_e32 v15, 0x500, v0
	v_cmp_gt_u32_e32 vcc, s16, v15
	s_and_saveexec_b64 s[2:3], vcc
	s_cbranch_execz .LBB1289_314
; %bb.306:
	v_cmp_ge_u32_e32 vcc, v15, v5
	s_and_saveexec_b64 s[4:5], vcc
	s_xor_b64 s[4:5], exec, s[4:5]
	s_cbranch_execz .LBB1289_312
; %bb.307:
	v_cmp_ge_u32_e32 vcc, v15, v14
	s_and_saveexec_b64 s[6:7], vcc
	s_xor_b64 s[6:7], exec, s[6:7]
	s_cbranch_execz .LBB1289_309
; %bb.308:
	v_add_co_u32_e32 v15, vcc, v7, v15
	v_lshlrev_b32_e32 v17, 2, v0
	v_addc_co_u32_e32 v16, vcc, 0, v13, vcc
	ds_read_b32 v17, v17 offset:5120
	v_lshlrev_b64 v[15:16], 2, v[15:16]
	v_mov_b32_e32 v18, s31
	v_sub_co_u32_e32 v15, vcc, s30, v15
	v_subb_co_u32_e32 v16, vcc, v18, v16, vcc
	s_waitcnt lgkmcnt(0)
	global_store_dword v[15:16], v17, off offset:-4
                                        ; implicit-def: $vgpr15
.LBB1289_309:
	s_andn2_saveexec_b64 s[6:7], s[6:7]
	s_cbranch_execz .LBB1289_311
; %bb.310:
	v_lshlrev_b32_e32 v16, 2, v0
	ds_read_b32 v16, v16 offset:5120
	v_lshlrev_b32_e32 v15, 2, v15
	v_readfirstlane_b32 s8, v9
	v_readfirstlane_b32 s9, v10
	s_waitcnt lgkmcnt(0)
	s_nop 3
	global_store_dword v15, v16, s[8:9]
.LBB1289_311:
	s_or_b64 exec, exec, s[6:7]
                                        ; implicit-def: $vgpr15
.LBB1289_312:
	s_andn2_saveexec_b64 s[4:5], s[4:5]
	s_cbranch_execz .LBB1289_314
; %bb.313:
	v_lshlrev_b32_e32 v16, 2, v0
	ds_read_b32 v16, v16 offset:5120
	v_lshlrev_b32_e32 v15, 2, v15
	v_readfirstlane_b32 s4, v11
	v_readfirstlane_b32 s5, v12
	s_waitcnt lgkmcnt(0)
	s_nop 3
	global_store_dword v15, v16, s[4:5]
.LBB1289_314:
	s_or_b64 exec, exec, s[2:3]
	v_or_b32_e32 v15, 0x600, v0
	v_cmp_gt_u32_e32 vcc, s16, v15
	s_and_saveexec_b64 s[2:3], vcc
	s_cbranch_execz .LBB1289_323
; %bb.315:
	v_cmp_ge_u32_e32 vcc, v15, v5
	s_and_saveexec_b64 s[4:5], vcc
	s_xor_b64 s[4:5], exec, s[4:5]
	s_cbranch_execz .LBB1289_321
; %bb.316:
	v_cmp_ge_u32_e32 vcc, v15, v14
	s_and_saveexec_b64 s[6:7], vcc
	s_xor_b64 s[6:7], exec, s[6:7]
	s_cbranch_execz .LBB1289_318
; %bb.317:
	v_add_co_u32_e32 v15, vcc, v7, v15
	v_lshlrev_b32_e32 v17, 2, v0
	v_addc_co_u32_e32 v16, vcc, 0, v13, vcc
	ds_read_b32 v17, v17 offset:6144
	v_lshlrev_b64 v[15:16], 2, v[15:16]
	v_mov_b32_e32 v18, s31
	v_sub_co_u32_e32 v15, vcc, s30, v15
	v_subb_co_u32_e32 v16, vcc, v18, v16, vcc
	s_waitcnt lgkmcnt(0)
	global_store_dword v[15:16], v17, off offset:-4
                                        ; implicit-def: $vgpr15
.LBB1289_318:
	s_andn2_saveexec_b64 s[6:7], s[6:7]
	s_cbranch_execz .LBB1289_320
; %bb.319:
	v_lshlrev_b32_e32 v16, 2, v0
	ds_read_b32 v16, v16 offset:6144
	v_lshlrev_b32_e32 v15, 2, v15
	v_readfirstlane_b32 s8, v9
	v_readfirstlane_b32 s9, v10
	s_waitcnt lgkmcnt(0)
	s_nop 3
	global_store_dword v15, v16, s[8:9]
.LBB1289_320:
	s_or_b64 exec, exec, s[6:7]
                                        ; implicit-def: $vgpr15
.LBB1289_321:
	s_andn2_saveexec_b64 s[4:5], s[4:5]
	s_cbranch_execz .LBB1289_323
; %bb.322:
	v_lshlrev_b32_e32 v16, 2, v0
	ds_read_b32 v16, v16 offset:6144
	v_lshlrev_b32_e32 v15, 2, v15
	v_readfirstlane_b32 s4, v11
	v_readfirstlane_b32 s5, v12
	s_waitcnt lgkmcnt(0)
	s_nop 3
	global_store_dword v15, v16, s[4:5]
.LBB1289_323:
	;; [unrolled: 55-line block ×7, first 2 shown]
	s_or_b64 exec, exec, s[2:3]
	v_or_b32_e32 v15, 0xc00, v0
	v_cmp_gt_u32_e32 vcc, s16, v15
	s_and_saveexec_b64 s[2:3], vcc
	s_cbranch_execz .LBB1289_377
; %bb.369:
	v_cmp_ge_u32_e32 vcc, v15, v5
	s_and_saveexec_b64 s[4:5], vcc
	s_xor_b64 s[4:5], exec, s[4:5]
	s_cbranch_execz .LBB1289_375
; %bb.370:
	v_cmp_ge_u32_e32 vcc, v15, v14
	s_and_saveexec_b64 s[6:7], vcc
	s_xor_b64 s[6:7], exec, s[6:7]
	s_cbranch_execz .LBB1289_372
; %bb.371:
	v_add_co_u32_e32 v9, vcc, v7, v15
	v_lshlrev_b32_e32 v0, 2, v0
	v_addc_co_u32_e32 v10, vcc, 0, v13, vcc
	ds_read_b32 v0, v0 offset:12288
	v_lshlrev_b64 v[9:10], 2, v[9:10]
	v_mov_b32_e32 v7, s31
	v_sub_co_u32_e32 v9, vcc, s30, v9
	v_subb_co_u32_e32 v10, vcc, v7, v10, vcc
	s_waitcnt lgkmcnt(0)
	global_store_dword v[9:10], v0, off offset:-4
                                        ; implicit-def: $vgpr0
                                        ; implicit-def: $vgpr15
                                        ; implicit-def: $vgpr9_vgpr10
.LBB1289_372:
	s_andn2_saveexec_b64 s[6:7], s[6:7]
	s_cbranch_execz .LBB1289_374
; %bb.373:
	v_lshlrev_b32_e32 v0, 2, v0
	ds_read_b32 v0, v0 offset:12288
	v_lshlrev_b32_e32 v7, 2, v15
	v_readfirstlane_b32 s8, v9
	v_readfirstlane_b32 s9, v10
	s_waitcnt lgkmcnt(0)
	s_nop 3
	global_store_dword v7, v0, s[8:9]
.LBB1289_374:
	s_or_b64 exec, exec, s[6:7]
                                        ; implicit-def: $vgpr0
                                        ; implicit-def: $vgpr15
                                        ; implicit-def: $vgpr11_vgpr12
.LBB1289_375:
	s_andn2_saveexec_b64 s[4:5], s[4:5]
	s_cbranch_execz .LBB1289_377
; %bb.376:
	v_lshlrev_b32_e32 v0, 2, v0
	ds_read_b32 v0, v0 offset:12288
	v_lshlrev_b32_e32 v7, 2, v15
	v_readfirstlane_b32 s4, v11
	v_readfirstlane_b32 s5, v12
	s_waitcnt lgkmcnt(0)
	s_nop 3
	global_store_dword v7, v0, s[4:5]
.LBB1289_377:
	s_or_b64 exec, exec, s[2:3]
	s_and_b64 s[0:1], s[0:1], s[34:35]
	s_and_saveexec_b64 s[2:3], s[0:1]
	s_cbranch_execz .LBB1289_154
.LBB1289_378:
	v_add_co_u32_e32 v3, vcc, v3, v6
	v_addc_co_u32_e32 v4, vcc, 0, v4, vcc
	v_add_co_u32_e32 v3, vcc, v3, v8
	v_addc_co_u32_e32 v4, vcc, 0, v4, vcc
	v_add_co_u32_e32 v1, vcc, v1, v5
	v_mov_b32_e32 v0, 0
	v_addc_co_u32_e32 v2, vcc, 0, v2, vcc
	global_store_dwordx4 v0, v[1:4], s[44:45]
	s_endpgm
.LBB1289_379:
	s_add_i32 s14, s33, 64
	s_mov_b32 s15, 0
	s_lshl_b64 s[14:15], s[14:15], 4
	s_add_u32 s14, s54, s14
	s_addc_u32 s15, s55, s15
	v_mov_b32_e32 v28, s15
	v_add_u32_e32 v10, v8, v6
	v_add_u32_e32 v9, v7, v5
	v_mov_b32_e32 v11, 2
	v_mov_b32_e32 v12, 0
	;; [unrolled: 1-line block ×3, first 2 shown]
	;;#ASMSTART
	global_store_dwordx4 v[27:28], v[9:12] off	
s_waitcnt vmcnt(0)
	;;#ASMEND
	s_or_b64 exec, exec, s[12:13]
	s_and_saveexec_b64 s[12:13], s[8:9]
	s_cbranch_execz .LBB1289_139
.LBB1289_380:
	v_mov_b32_e32 v9, 0
	ds_write_b128 v9, v[5:8] offset:13312
	s_or_b64 exec, exec, s[12:13]
	s_and_b64 exec, exec, s[0:1]
	s_cbranch_execnz .LBB1289_140
	s_branch .LBB1289_141
	.section	.rodata,"a",@progbits
	.p2align	6, 0x0
	.amdhsa_kernel _ZN7rocprim17ROCPRIM_400000_NS6detail17trampoline_kernelINS0_13select_configILj256ELj13ELNS0_17block_load_methodE3ELS4_3ELS4_3ELNS0_20block_scan_algorithmE0ELj4294967295EEENS1_25partition_config_selectorILNS1_17partition_subalgoE4EjNS0_10empty_typeEbEEZZNS1_14partition_implILS8_4ELb0ES6_15HIP_vector_typeIjLj2EENS0_17counting_iteratorIjlEEPS9_SG_NS0_5tupleIJPjSI_NS0_16reverse_iteratorISI_EEEEENSH_IJSG_SG_SG_EEES9_SI_JZNS1_25segmented_radix_sort_implINS0_14default_configELb1EPKfPfPKlPlN2at6native12_GLOBAL__N_18offset_tEEE10hipError_tPvRmT1_PNSt15iterator_traitsIS12_E10value_typeET2_T3_PNS13_IS18_E10value_typeET4_jRbjT5_S1E_jjP12ihipStream_tbEUljE_ZNSN_ISO_Lb1ESQ_SR_ST_SU_SY_EESZ_S10_S11_S12_S16_S17_S18_S1B_S1C_jS1D_jS1E_S1E_jjS1G_bEUljE0_EEESZ_S10_S11_S18_S1C_S1E_T6_T7_T9_mT8_S1G_bDpT10_ENKUlT_T0_E_clISt17integral_constantIbLb0EES1T_IbLb1EEEEDaS1P_S1Q_EUlS1P_E_NS1_11comp_targetILNS1_3genE2ELNS1_11target_archE906ELNS1_3gpuE6ELNS1_3repE0EEENS1_30default_config_static_selectorELNS0_4arch9wavefront6targetE1EEEvS12_
		.amdhsa_group_segment_fixed_size 13328
		.amdhsa_private_segment_fixed_size 0
		.amdhsa_kernarg_size 184
		.amdhsa_user_sgpr_count 6
		.amdhsa_user_sgpr_private_segment_buffer 1
		.amdhsa_user_sgpr_dispatch_ptr 0
		.amdhsa_user_sgpr_queue_ptr 0
		.amdhsa_user_sgpr_kernarg_segment_ptr 1
		.amdhsa_user_sgpr_dispatch_id 0
		.amdhsa_user_sgpr_flat_scratch_init 0
		.amdhsa_user_sgpr_private_segment_size 0
		.amdhsa_uses_dynamic_stack 0
		.amdhsa_system_sgpr_private_segment_wavefront_offset 0
		.amdhsa_system_sgpr_workgroup_id_x 1
		.amdhsa_system_sgpr_workgroup_id_y 0
		.amdhsa_system_sgpr_workgroup_id_z 0
		.amdhsa_system_sgpr_workgroup_info 0
		.amdhsa_system_vgpr_workitem_id 0
		.amdhsa_next_free_vgpr 91
		.amdhsa_next_free_sgpr 98
		.amdhsa_reserve_vcc 1
		.amdhsa_reserve_flat_scratch 0
		.amdhsa_float_round_mode_32 0
		.amdhsa_float_round_mode_16_64 0
		.amdhsa_float_denorm_mode_32 3
		.amdhsa_float_denorm_mode_16_64 3
		.amdhsa_dx10_clamp 1
		.amdhsa_ieee_mode 1
		.amdhsa_fp16_overflow 0
		.amdhsa_exception_fp_ieee_invalid_op 0
		.amdhsa_exception_fp_denorm_src 0
		.amdhsa_exception_fp_ieee_div_zero 0
		.amdhsa_exception_fp_ieee_overflow 0
		.amdhsa_exception_fp_ieee_underflow 0
		.amdhsa_exception_fp_ieee_inexact 0
		.amdhsa_exception_int_div_zero 0
	.end_amdhsa_kernel
	.section	.text._ZN7rocprim17ROCPRIM_400000_NS6detail17trampoline_kernelINS0_13select_configILj256ELj13ELNS0_17block_load_methodE3ELS4_3ELS4_3ELNS0_20block_scan_algorithmE0ELj4294967295EEENS1_25partition_config_selectorILNS1_17partition_subalgoE4EjNS0_10empty_typeEbEEZZNS1_14partition_implILS8_4ELb0ES6_15HIP_vector_typeIjLj2EENS0_17counting_iteratorIjlEEPS9_SG_NS0_5tupleIJPjSI_NS0_16reverse_iteratorISI_EEEEENSH_IJSG_SG_SG_EEES9_SI_JZNS1_25segmented_radix_sort_implINS0_14default_configELb1EPKfPfPKlPlN2at6native12_GLOBAL__N_18offset_tEEE10hipError_tPvRmT1_PNSt15iterator_traitsIS12_E10value_typeET2_T3_PNS13_IS18_E10value_typeET4_jRbjT5_S1E_jjP12ihipStream_tbEUljE_ZNSN_ISO_Lb1ESQ_SR_ST_SU_SY_EESZ_S10_S11_S12_S16_S17_S18_S1B_S1C_jS1D_jS1E_S1E_jjS1G_bEUljE0_EEESZ_S10_S11_S18_S1C_S1E_T6_T7_T9_mT8_S1G_bDpT10_ENKUlT_T0_E_clISt17integral_constantIbLb0EES1T_IbLb1EEEEDaS1P_S1Q_EUlS1P_E_NS1_11comp_targetILNS1_3genE2ELNS1_11target_archE906ELNS1_3gpuE6ELNS1_3repE0EEENS1_30default_config_static_selectorELNS0_4arch9wavefront6targetE1EEEvS12_,"axG",@progbits,_ZN7rocprim17ROCPRIM_400000_NS6detail17trampoline_kernelINS0_13select_configILj256ELj13ELNS0_17block_load_methodE3ELS4_3ELS4_3ELNS0_20block_scan_algorithmE0ELj4294967295EEENS1_25partition_config_selectorILNS1_17partition_subalgoE4EjNS0_10empty_typeEbEEZZNS1_14partition_implILS8_4ELb0ES6_15HIP_vector_typeIjLj2EENS0_17counting_iteratorIjlEEPS9_SG_NS0_5tupleIJPjSI_NS0_16reverse_iteratorISI_EEEEENSH_IJSG_SG_SG_EEES9_SI_JZNS1_25segmented_radix_sort_implINS0_14default_configELb1EPKfPfPKlPlN2at6native12_GLOBAL__N_18offset_tEEE10hipError_tPvRmT1_PNSt15iterator_traitsIS12_E10value_typeET2_T3_PNS13_IS18_E10value_typeET4_jRbjT5_S1E_jjP12ihipStream_tbEUljE_ZNSN_ISO_Lb1ESQ_SR_ST_SU_SY_EESZ_S10_S11_S12_S16_S17_S18_S1B_S1C_jS1D_jS1E_S1E_jjS1G_bEUljE0_EEESZ_S10_S11_S18_S1C_S1E_T6_T7_T9_mT8_S1G_bDpT10_ENKUlT_T0_E_clISt17integral_constantIbLb0EES1T_IbLb1EEEEDaS1P_S1Q_EUlS1P_E_NS1_11comp_targetILNS1_3genE2ELNS1_11target_archE906ELNS1_3gpuE6ELNS1_3repE0EEENS1_30default_config_static_selectorELNS0_4arch9wavefront6targetE1EEEvS12_,comdat
.Lfunc_end1289:
	.size	_ZN7rocprim17ROCPRIM_400000_NS6detail17trampoline_kernelINS0_13select_configILj256ELj13ELNS0_17block_load_methodE3ELS4_3ELS4_3ELNS0_20block_scan_algorithmE0ELj4294967295EEENS1_25partition_config_selectorILNS1_17partition_subalgoE4EjNS0_10empty_typeEbEEZZNS1_14partition_implILS8_4ELb0ES6_15HIP_vector_typeIjLj2EENS0_17counting_iteratorIjlEEPS9_SG_NS0_5tupleIJPjSI_NS0_16reverse_iteratorISI_EEEEENSH_IJSG_SG_SG_EEES9_SI_JZNS1_25segmented_radix_sort_implINS0_14default_configELb1EPKfPfPKlPlN2at6native12_GLOBAL__N_18offset_tEEE10hipError_tPvRmT1_PNSt15iterator_traitsIS12_E10value_typeET2_T3_PNS13_IS18_E10value_typeET4_jRbjT5_S1E_jjP12ihipStream_tbEUljE_ZNSN_ISO_Lb1ESQ_SR_ST_SU_SY_EESZ_S10_S11_S12_S16_S17_S18_S1B_S1C_jS1D_jS1E_S1E_jjS1G_bEUljE0_EEESZ_S10_S11_S18_S1C_S1E_T6_T7_T9_mT8_S1G_bDpT10_ENKUlT_T0_E_clISt17integral_constantIbLb0EES1T_IbLb1EEEEDaS1P_S1Q_EUlS1P_E_NS1_11comp_targetILNS1_3genE2ELNS1_11target_archE906ELNS1_3gpuE6ELNS1_3repE0EEENS1_30default_config_static_selectorELNS0_4arch9wavefront6targetE1EEEvS12_, .Lfunc_end1289-_ZN7rocprim17ROCPRIM_400000_NS6detail17trampoline_kernelINS0_13select_configILj256ELj13ELNS0_17block_load_methodE3ELS4_3ELS4_3ELNS0_20block_scan_algorithmE0ELj4294967295EEENS1_25partition_config_selectorILNS1_17partition_subalgoE4EjNS0_10empty_typeEbEEZZNS1_14partition_implILS8_4ELb0ES6_15HIP_vector_typeIjLj2EENS0_17counting_iteratorIjlEEPS9_SG_NS0_5tupleIJPjSI_NS0_16reverse_iteratorISI_EEEEENSH_IJSG_SG_SG_EEES9_SI_JZNS1_25segmented_radix_sort_implINS0_14default_configELb1EPKfPfPKlPlN2at6native12_GLOBAL__N_18offset_tEEE10hipError_tPvRmT1_PNSt15iterator_traitsIS12_E10value_typeET2_T3_PNS13_IS18_E10value_typeET4_jRbjT5_S1E_jjP12ihipStream_tbEUljE_ZNSN_ISO_Lb1ESQ_SR_ST_SU_SY_EESZ_S10_S11_S12_S16_S17_S18_S1B_S1C_jS1D_jS1E_S1E_jjS1G_bEUljE0_EEESZ_S10_S11_S18_S1C_S1E_T6_T7_T9_mT8_S1G_bDpT10_ENKUlT_T0_E_clISt17integral_constantIbLb0EES1T_IbLb1EEEEDaS1P_S1Q_EUlS1P_E_NS1_11comp_targetILNS1_3genE2ELNS1_11target_archE906ELNS1_3gpuE6ELNS1_3repE0EEENS1_30default_config_static_selectorELNS0_4arch9wavefront6targetE1EEEvS12_
                                        ; -- End function
	.set _ZN7rocprim17ROCPRIM_400000_NS6detail17trampoline_kernelINS0_13select_configILj256ELj13ELNS0_17block_load_methodE3ELS4_3ELS4_3ELNS0_20block_scan_algorithmE0ELj4294967295EEENS1_25partition_config_selectorILNS1_17partition_subalgoE4EjNS0_10empty_typeEbEEZZNS1_14partition_implILS8_4ELb0ES6_15HIP_vector_typeIjLj2EENS0_17counting_iteratorIjlEEPS9_SG_NS0_5tupleIJPjSI_NS0_16reverse_iteratorISI_EEEEENSH_IJSG_SG_SG_EEES9_SI_JZNS1_25segmented_radix_sort_implINS0_14default_configELb1EPKfPfPKlPlN2at6native12_GLOBAL__N_18offset_tEEE10hipError_tPvRmT1_PNSt15iterator_traitsIS12_E10value_typeET2_T3_PNS13_IS18_E10value_typeET4_jRbjT5_S1E_jjP12ihipStream_tbEUljE_ZNSN_ISO_Lb1ESQ_SR_ST_SU_SY_EESZ_S10_S11_S12_S16_S17_S18_S1B_S1C_jS1D_jS1E_S1E_jjS1G_bEUljE0_EEESZ_S10_S11_S18_S1C_S1E_T6_T7_T9_mT8_S1G_bDpT10_ENKUlT_T0_E_clISt17integral_constantIbLb0EES1T_IbLb1EEEEDaS1P_S1Q_EUlS1P_E_NS1_11comp_targetILNS1_3genE2ELNS1_11target_archE906ELNS1_3gpuE6ELNS1_3repE0EEENS1_30default_config_static_selectorELNS0_4arch9wavefront6targetE1EEEvS12_.num_vgpr, 91
	.set _ZN7rocprim17ROCPRIM_400000_NS6detail17trampoline_kernelINS0_13select_configILj256ELj13ELNS0_17block_load_methodE3ELS4_3ELS4_3ELNS0_20block_scan_algorithmE0ELj4294967295EEENS1_25partition_config_selectorILNS1_17partition_subalgoE4EjNS0_10empty_typeEbEEZZNS1_14partition_implILS8_4ELb0ES6_15HIP_vector_typeIjLj2EENS0_17counting_iteratorIjlEEPS9_SG_NS0_5tupleIJPjSI_NS0_16reverse_iteratorISI_EEEEENSH_IJSG_SG_SG_EEES9_SI_JZNS1_25segmented_radix_sort_implINS0_14default_configELb1EPKfPfPKlPlN2at6native12_GLOBAL__N_18offset_tEEE10hipError_tPvRmT1_PNSt15iterator_traitsIS12_E10value_typeET2_T3_PNS13_IS18_E10value_typeET4_jRbjT5_S1E_jjP12ihipStream_tbEUljE_ZNSN_ISO_Lb1ESQ_SR_ST_SU_SY_EESZ_S10_S11_S12_S16_S17_S18_S1B_S1C_jS1D_jS1E_S1E_jjS1G_bEUljE0_EEESZ_S10_S11_S18_S1C_S1E_T6_T7_T9_mT8_S1G_bDpT10_ENKUlT_T0_E_clISt17integral_constantIbLb0EES1T_IbLb1EEEEDaS1P_S1Q_EUlS1P_E_NS1_11comp_targetILNS1_3genE2ELNS1_11target_archE906ELNS1_3gpuE6ELNS1_3repE0EEENS1_30default_config_static_selectorELNS0_4arch9wavefront6targetE1EEEvS12_.num_agpr, 0
	.set _ZN7rocprim17ROCPRIM_400000_NS6detail17trampoline_kernelINS0_13select_configILj256ELj13ELNS0_17block_load_methodE3ELS4_3ELS4_3ELNS0_20block_scan_algorithmE0ELj4294967295EEENS1_25partition_config_selectorILNS1_17partition_subalgoE4EjNS0_10empty_typeEbEEZZNS1_14partition_implILS8_4ELb0ES6_15HIP_vector_typeIjLj2EENS0_17counting_iteratorIjlEEPS9_SG_NS0_5tupleIJPjSI_NS0_16reverse_iteratorISI_EEEEENSH_IJSG_SG_SG_EEES9_SI_JZNS1_25segmented_radix_sort_implINS0_14default_configELb1EPKfPfPKlPlN2at6native12_GLOBAL__N_18offset_tEEE10hipError_tPvRmT1_PNSt15iterator_traitsIS12_E10value_typeET2_T3_PNS13_IS18_E10value_typeET4_jRbjT5_S1E_jjP12ihipStream_tbEUljE_ZNSN_ISO_Lb1ESQ_SR_ST_SU_SY_EESZ_S10_S11_S12_S16_S17_S18_S1B_S1C_jS1D_jS1E_S1E_jjS1G_bEUljE0_EEESZ_S10_S11_S18_S1C_S1E_T6_T7_T9_mT8_S1G_bDpT10_ENKUlT_T0_E_clISt17integral_constantIbLb0EES1T_IbLb1EEEEDaS1P_S1Q_EUlS1P_E_NS1_11comp_targetILNS1_3genE2ELNS1_11target_archE906ELNS1_3gpuE6ELNS1_3repE0EEENS1_30default_config_static_selectorELNS0_4arch9wavefront6targetE1EEEvS12_.numbered_sgpr, 87
	.set _ZN7rocprim17ROCPRIM_400000_NS6detail17trampoline_kernelINS0_13select_configILj256ELj13ELNS0_17block_load_methodE3ELS4_3ELS4_3ELNS0_20block_scan_algorithmE0ELj4294967295EEENS1_25partition_config_selectorILNS1_17partition_subalgoE4EjNS0_10empty_typeEbEEZZNS1_14partition_implILS8_4ELb0ES6_15HIP_vector_typeIjLj2EENS0_17counting_iteratorIjlEEPS9_SG_NS0_5tupleIJPjSI_NS0_16reverse_iteratorISI_EEEEENSH_IJSG_SG_SG_EEES9_SI_JZNS1_25segmented_radix_sort_implINS0_14default_configELb1EPKfPfPKlPlN2at6native12_GLOBAL__N_18offset_tEEE10hipError_tPvRmT1_PNSt15iterator_traitsIS12_E10value_typeET2_T3_PNS13_IS18_E10value_typeET4_jRbjT5_S1E_jjP12ihipStream_tbEUljE_ZNSN_ISO_Lb1ESQ_SR_ST_SU_SY_EESZ_S10_S11_S12_S16_S17_S18_S1B_S1C_jS1D_jS1E_S1E_jjS1G_bEUljE0_EEESZ_S10_S11_S18_S1C_S1E_T6_T7_T9_mT8_S1G_bDpT10_ENKUlT_T0_E_clISt17integral_constantIbLb0EES1T_IbLb1EEEEDaS1P_S1Q_EUlS1P_E_NS1_11comp_targetILNS1_3genE2ELNS1_11target_archE906ELNS1_3gpuE6ELNS1_3repE0EEENS1_30default_config_static_selectorELNS0_4arch9wavefront6targetE1EEEvS12_.num_named_barrier, 0
	.set _ZN7rocprim17ROCPRIM_400000_NS6detail17trampoline_kernelINS0_13select_configILj256ELj13ELNS0_17block_load_methodE3ELS4_3ELS4_3ELNS0_20block_scan_algorithmE0ELj4294967295EEENS1_25partition_config_selectorILNS1_17partition_subalgoE4EjNS0_10empty_typeEbEEZZNS1_14partition_implILS8_4ELb0ES6_15HIP_vector_typeIjLj2EENS0_17counting_iteratorIjlEEPS9_SG_NS0_5tupleIJPjSI_NS0_16reverse_iteratorISI_EEEEENSH_IJSG_SG_SG_EEES9_SI_JZNS1_25segmented_radix_sort_implINS0_14default_configELb1EPKfPfPKlPlN2at6native12_GLOBAL__N_18offset_tEEE10hipError_tPvRmT1_PNSt15iterator_traitsIS12_E10value_typeET2_T3_PNS13_IS18_E10value_typeET4_jRbjT5_S1E_jjP12ihipStream_tbEUljE_ZNSN_ISO_Lb1ESQ_SR_ST_SU_SY_EESZ_S10_S11_S12_S16_S17_S18_S1B_S1C_jS1D_jS1E_S1E_jjS1G_bEUljE0_EEESZ_S10_S11_S18_S1C_S1E_T6_T7_T9_mT8_S1G_bDpT10_ENKUlT_T0_E_clISt17integral_constantIbLb0EES1T_IbLb1EEEEDaS1P_S1Q_EUlS1P_E_NS1_11comp_targetILNS1_3genE2ELNS1_11target_archE906ELNS1_3gpuE6ELNS1_3repE0EEENS1_30default_config_static_selectorELNS0_4arch9wavefront6targetE1EEEvS12_.private_seg_size, 0
	.set _ZN7rocprim17ROCPRIM_400000_NS6detail17trampoline_kernelINS0_13select_configILj256ELj13ELNS0_17block_load_methodE3ELS4_3ELS4_3ELNS0_20block_scan_algorithmE0ELj4294967295EEENS1_25partition_config_selectorILNS1_17partition_subalgoE4EjNS0_10empty_typeEbEEZZNS1_14partition_implILS8_4ELb0ES6_15HIP_vector_typeIjLj2EENS0_17counting_iteratorIjlEEPS9_SG_NS0_5tupleIJPjSI_NS0_16reverse_iteratorISI_EEEEENSH_IJSG_SG_SG_EEES9_SI_JZNS1_25segmented_radix_sort_implINS0_14default_configELb1EPKfPfPKlPlN2at6native12_GLOBAL__N_18offset_tEEE10hipError_tPvRmT1_PNSt15iterator_traitsIS12_E10value_typeET2_T3_PNS13_IS18_E10value_typeET4_jRbjT5_S1E_jjP12ihipStream_tbEUljE_ZNSN_ISO_Lb1ESQ_SR_ST_SU_SY_EESZ_S10_S11_S12_S16_S17_S18_S1B_S1C_jS1D_jS1E_S1E_jjS1G_bEUljE0_EEESZ_S10_S11_S18_S1C_S1E_T6_T7_T9_mT8_S1G_bDpT10_ENKUlT_T0_E_clISt17integral_constantIbLb0EES1T_IbLb1EEEEDaS1P_S1Q_EUlS1P_E_NS1_11comp_targetILNS1_3genE2ELNS1_11target_archE906ELNS1_3gpuE6ELNS1_3repE0EEENS1_30default_config_static_selectorELNS0_4arch9wavefront6targetE1EEEvS12_.uses_vcc, 1
	.set _ZN7rocprim17ROCPRIM_400000_NS6detail17trampoline_kernelINS0_13select_configILj256ELj13ELNS0_17block_load_methodE3ELS4_3ELS4_3ELNS0_20block_scan_algorithmE0ELj4294967295EEENS1_25partition_config_selectorILNS1_17partition_subalgoE4EjNS0_10empty_typeEbEEZZNS1_14partition_implILS8_4ELb0ES6_15HIP_vector_typeIjLj2EENS0_17counting_iteratorIjlEEPS9_SG_NS0_5tupleIJPjSI_NS0_16reverse_iteratorISI_EEEEENSH_IJSG_SG_SG_EEES9_SI_JZNS1_25segmented_radix_sort_implINS0_14default_configELb1EPKfPfPKlPlN2at6native12_GLOBAL__N_18offset_tEEE10hipError_tPvRmT1_PNSt15iterator_traitsIS12_E10value_typeET2_T3_PNS13_IS18_E10value_typeET4_jRbjT5_S1E_jjP12ihipStream_tbEUljE_ZNSN_ISO_Lb1ESQ_SR_ST_SU_SY_EESZ_S10_S11_S12_S16_S17_S18_S1B_S1C_jS1D_jS1E_S1E_jjS1G_bEUljE0_EEESZ_S10_S11_S18_S1C_S1E_T6_T7_T9_mT8_S1G_bDpT10_ENKUlT_T0_E_clISt17integral_constantIbLb0EES1T_IbLb1EEEEDaS1P_S1Q_EUlS1P_E_NS1_11comp_targetILNS1_3genE2ELNS1_11target_archE906ELNS1_3gpuE6ELNS1_3repE0EEENS1_30default_config_static_selectorELNS0_4arch9wavefront6targetE1EEEvS12_.uses_flat_scratch, 0
	.set _ZN7rocprim17ROCPRIM_400000_NS6detail17trampoline_kernelINS0_13select_configILj256ELj13ELNS0_17block_load_methodE3ELS4_3ELS4_3ELNS0_20block_scan_algorithmE0ELj4294967295EEENS1_25partition_config_selectorILNS1_17partition_subalgoE4EjNS0_10empty_typeEbEEZZNS1_14partition_implILS8_4ELb0ES6_15HIP_vector_typeIjLj2EENS0_17counting_iteratorIjlEEPS9_SG_NS0_5tupleIJPjSI_NS0_16reverse_iteratorISI_EEEEENSH_IJSG_SG_SG_EEES9_SI_JZNS1_25segmented_radix_sort_implINS0_14default_configELb1EPKfPfPKlPlN2at6native12_GLOBAL__N_18offset_tEEE10hipError_tPvRmT1_PNSt15iterator_traitsIS12_E10value_typeET2_T3_PNS13_IS18_E10value_typeET4_jRbjT5_S1E_jjP12ihipStream_tbEUljE_ZNSN_ISO_Lb1ESQ_SR_ST_SU_SY_EESZ_S10_S11_S12_S16_S17_S18_S1B_S1C_jS1D_jS1E_S1E_jjS1G_bEUljE0_EEESZ_S10_S11_S18_S1C_S1E_T6_T7_T9_mT8_S1G_bDpT10_ENKUlT_T0_E_clISt17integral_constantIbLb0EES1T_IbLb1EEEEDaS1P_S1Q_EUlS1P_E_NS1_11comp_targetILNS1_3genE2ELNS1_11target_archE906ELNS1_3gpuE6ELNS1_3repE0EEENS1_30default_config_static_selectorELNS0_4arch9wavefront6targetE1EEEvS12_.has_dyn_sized_stack, 0
	.set _ZN7rocprim17ROCPRIM_400000_NS6detail17trampoline_kernelINS0_13select_configILj256ELj13ELNS0_17block_load_methodE3ELS4_3ELS4_3ELNS0_20block_scan_algorithmE0ELj4294967295EEENS1_25partition_config_selectorILNS1_17partition_subalgoE4EjNS0_10empty_typeEbEEZZNS1_14partition_implILS8_4ELb0ES6_15HIP_vector_typeIjLj2EENS0_17counting_iteratorIjlEEPS9_SG_NS0_5tupleIJPjSI_NS0_16reverse_iteratorISI_EEEEENSH_IJSG_SG_SG_EEES9_SI_JZNS1_25segmented_radix_sort_implINS0_14default_configELb1EPKfPfPKlPlN2at6native12_GLOBAL__N_18offset_tEEE10hipError_tPvRmT1_PNSt15iterator_traitsIS12_E10value_typeET2_T3_PNS13_IS18_E10value_typeET4_jRbjT5_S1E_jjP12ihipStream_tbEUljE_ZNSN_ISO_Lb1ESQ_SR_ST_SU_SY_EESZ_S10_S11_S12_S16_S17_S18_S1B_S1C_jS1D_jS1E_S1E_jjS1G_bEUljE0_EEESZ_S10_S11_S18_S1C_S1E_T6_T7_T9_mT8_S1G_bDpT10_ENKUlT_T0_E_clISt17integral_constantIbLb0EES1T_IbLb1EEEEDaS1P_S1Q_EUlS1P_E_NS1_11comp_targetILNS1_3genE2ELNS1_11target_archE906ELNS1_3gpuE6ELNS1_3repE0EEENS1_30default_config_static_selectorELNS0_4arch9wavefront6targetE1EEEvS12_.has_recursion, 0
	.set _ZN7rocprim17ROCPRIM_400000_NS6detail17trampoline_kernelINS0_13select_configILj256ELj13ELNS0_17block_load_methodE3ELS4_3ELS4_3ELNS0_20block_scan_algorithmE0ELj4294967295EEENS1_25partition_config_selectorILNS1_17partition_subalgoE4EjNS0_10empty_typeEbEEZZNS1_14partition_implILS8_4ELb0ES6_15HIP_vector_typeIjLj2EENS0_17counting_iteratorIjlEEPS9_SG_NS0_5tupleIJPjSI_NS0_16reverse_iteratorISI_EEEEENSH_IJSG_SG_SG_EEES9_SI_JZNS1_25segmented_radix_sort_implINS0_14default_configELb1EPKfPfPKlPlN2at6native12_GLOBAL__N_18offset_tEEE10hipError_tPvRmT1_PNSt15iterator_traitsIS12_E10value_typeET2_T3_PNS13_IS18_E10value_typeET4_jRbjT5_S1E_jjP12ihipStream_tbEUljE_ZNSN_ISO_Lb1ESQ_SR_ST_SU_SY_EESZ_S10_S11_S12_S16_S17_S18_S1B_S1C_jS1D_jS1E_S1E_jjS1G_bEUljE0_EEESZ_S10_S11_S18_S1C_S1E_T6_T7_T9_mT8_S1G_bDpT10_ENKUlT_T0_E_clISt17integral_constantIbLb0EES1T_IbLb1EEEEDaS1P_S1Q_EUlS1P_E_NS1_11comp_targetILNS1_3genE2ELNS1_11target_archE906ELNS1_3gpuE6ELNS1_3repE0EEENS1_30default_config_static_selectorELNS0_4arch9wavefront6targetE1EEEvS12_.has_indirect_call, 0
	.section	.AMDGPU.csdata,"",@progbits
; Kernel info:
; codeLenInByte = 15580
; TotalNumSgprs: 91
; NumVgprs: 91
; ScratchSize: 0
; MemoryBound: 0
; FloatMode: 240
; IeeeMode: 1
; LDSByteSize: 13328 bytes/workgroup (compile time only)
; SGPRBlocks: 12
; VGPRBlocks: 22
; NumSGPRsForWavesPerEU: 102
; NumVGPRsForWavesPerEU: 91
; Occupancy: 2
; WaveLimiterHint : 1
; COMPUTE_PGM_RSRC2:SCRATCH_EN: 0
; COMPUTE_PGM_RSRC2:USER_SGPR: 6
; COMPUTE_PGM_RSRC2:TRAP_HANDLER: 0
; COMPUTE_PGM_RSRC2:TGID_X_EN: 1
; COMPUTE_PGM_RSRC2:TGID_Y_EN: 0
; COMPUTE_PGM_RSRC2:TGID_Z_EN: 0
; COMPUTE_PGM_RSRC2:TIDIG_COMP_CNT: 0
	.section	.text._ZN7rocprim17ROCPRIM_400000_NS6detail17trampoline_kernelINS0_13select_configILj256ELj13ELNS0_17block_load_methodE3ELS4_3ELS4_3ELNS0_20block_scan_algorithmE0ELj4294967295EEENS1_25partition_config_selectorILNS1_17partition_subalgoE4EjNS0_10empty_typeEbEEZZNS1_14partition_implILS8_4ELb0ES6_15HIP_vector_typeIjLj2EENS0_17counting_iteratorIjlEEPS9_SG_NS0_5tupleIJPjSI_NS0_16reverse_iteratorISI_EEEEENSH_IJSG_SG_SG_EEES9_SI_JZNS1_25segmented_radix_sort_implINS0_14default_configELb1EPKfPfPKlPlN2at6native12_GLOBAL__N_18offset_tEEE10hipError_tPvRmT1_PNSt15iterator_traitsIS12_E10value_typeET2_T3_PNS13_IS18_E10value_typeET4_jRbjT5_S1E_jjP12ihipStream_tbEUljE_ZNSN_ISO_Lb1ESQ_SR_ST_SU_SY_EESZ_S10_S11_S12_S16_S17_S18_S1B_S1C_jS1D_jS1E_S1E_jjS1G_bEUljE0_EEESZ_S10_S11_S18_S1C_S1E_T6_T7_T9_mT8_S1G_bDpT10_ENKUlT_T0_E_clISt17integral_constantIbLb0EES1T_IbLb1EEEEDaS1P_S1Q_EUlS1P_E_NS1_11comp_targetILNS1_3genE10ELNS1_11target_archE1200ELNS1_3gpuE4ELNS1_3repE0EEENS1_30default_config_static_selectorELNS0_4arch9wavefront6targetE1EEEvS12_,"axG",@progbits,_ZN7rocprim17ROCPRIM_400000_NS6detail17trampoline_kernelINS0_13select_configILj256ELj13ELNS0_17block_load_methodE3ELS4_3ELS4_3ELNS0_20block_scan_algorithmE0ELj4294967295EEENS1_25partition_config_selectorILNS1_17partition_subalgoE4EjNS0_10empty_typeEbEEZZNS1_14partition_implILS8_4ELb0ES6_15HIP_vector_typeIjLj2EENS0_17counting_iteratorIjlEEPS9_SG_NS0_5tupleIJPjSI_NS0_16reverse_iteratorISI_EEEEENSH_IJSG_SG_SG_EEES9_SI_JZNS1_25segmented_radix_sort_implINS0_14default_configELb1EPKfPfPKlPlN2at6native12_GLOBAL__N_18offset_tEEE10hipError_tPvRmT1_PNSt15iterator_traitsIS12_E10value_typeET2_T3_PNS13_IS18_E10value_typeET4_jRbjT5_S1E_jjP12ihipStream_tbEUljE_ZNSN_ISO_Lb1ESQ_SR_ST_SU_SY_EESZ_S10_S11_S12_S16_S17_S18_S1B_S1C_jS1D_jS1E_S1E_jjS1G_bEUljE0_EEESZ_S10_S11_S18_S1C_S1E_T6_T7_T9_mT8_S1G_bDpT10_ENKUlT_T0_E_clISt17integral_constantIbLb0EES1T_IbLb1EEEEDaS1P_S1Q_EUlS1P_E_NS1_11comp_targetILNS1_3genE10ELNS1_11target_archE1200ELNS1_3gpuE4ELNS1_3repE0EEENS1_30default_config_static_selectorELNS0_4arch9wavefront6targetE1EEEvS12_,comdat
	.globl	_ZN7rocprim17ROCPRIM_400000_NS6detail17trampoline_kernelINS0_13select_configILj256ELj13ELNS0_17block_load_methodE3ELS4_3ELS4_3ELNS0_20block_scan_algorithmE0ELj4294967295EEENS1_25partition_config_selectorILNS1_17partition_subalgoE4EjNS0_10empty_typeEbEEZZNS1_14partition_implILS8_4ELb0ES6_15HIP_vector_typeIjLj2EENS0_17counting_iteratorIjlEEPS9_SG_NS0_5tupleIJPjSI_NS0_16reverse_iteratorISI_EEEEENSH_IJSG_SG_SG_EEES9_SI_JZNS1_25segmented_radix_sort_implINS0_14default_configELb1EPKfPfPKlPlN2at6native12_GLOBAL__N_18offset_tEEE10hipError_tPvRmT1_PNSt15iterator_traitsIS12_E10value_typeET2_T3_PNS13_IS18_E10value_typeET4_jRbjT5_S1E_jjP12ihipStream_tbEUljE_ZNSN_ISO_Lb1ESQ_SR_ST_SU_SY_EESZ_S10_S11_S12_S16_S17_S18_S1B_S1C_jS1D_jS1E_S1E_jjS1G_bEUljE0_EEESZ_S10_S11_S18_S1C_S1E_T6_T7_T9_mT8_S1G_bDpT10_ENKUlT_T0_E_clISt17integral_constantIbLb0EES1T_IbLb1EEEEDaS1P_S1Q_EUlS1P_E_NS1_11comp_targetILNS1_3genE10ELNS1_11target_archE1200ELNS1_3gpuE4ELNS1_3repE0EEENS1_30default_config_static_selectorELNS0_4arch9wavefront6targetE1EEEvS12_ ; -- Begin function _ZN7rocprim17ROCPRIM_400000_NS6detail17trampoline_kernelINS0_13select_configILj256ELj13ELNS0_17block_load_methodE3ELS4_3ELS4_3ELNS0_20block_scan_algorithmE0ELj4294967295EEENS1_25partition_config_selectorILNS1_17partition_subalgoE4EjNS0_10empty_typeEbEEZZNS1_14partition_implILS8_4ELb0ES6_15HIP_vector_typeIjLj2EENS0_17counting_iteratorIjlEEPS9_SG_NS0_5tupleIJPjSI_NS0_16reverse_iteratorISI_EEEEENSH_IJSG_SG_SG_EEES9_SI_JZNS1_25segmented_radix_sort_implINS0_14default_configELb1EPKfPfPKlPlN2at6native12_GLOBAL__N_18offset_tEEE10hipError_tPvRmT1_PNSt15iterator_traitsIS12_E10value_typeET2_T3_PNS13_IS18_E10value_typeET4_jRbjT5_S1E_jjP12ihipStream_tbEUljE_ZNSN_ISO_Lb1ESQ_SR_ST_SU_SY_EESZ_S10_S11_S12_S16_S17_S18_S1B_S1C_jS1D_jS1E_S1E_jjS1G_bEUljE0_EEESZ_S10_S11_S18_S1C_S1E_T6_T7_T9_mT8_S1G_bDpT10_ENKUlT_T0_E_clISt17integral_constantIbLb0EES1T_IbLb1EEEEDaS1P_S1Q_EUlS1P_E_NS1_11comp_targetILNS1_3genE10ELNS1_11target_archE1200ELNS1_3gpuE4ELNS1_3repE0EEENS1_30default_config_static_selectorELNS0_4arch9wavefront6targetE1EEEvS12_
	.p2align	8
	.type	_ZN7rocprim17ROCPRIM_400000_NS6detail17trampoline_kernelINS0_13select_configILj256ELj13ELNS0_17block_load_methodE3ELS4_3ELS4_3ELNS0_20block_scan_algorithmE0ELj4294967295EEENS1_25partition_config_selectorILNS1_17partition_subalgoE4EjNS0_10empty_typeEbEEZZNS1_14partition_implILS8_4ELb0ES6_15HIP_vector_typeIjLj2EENS0_17counting_iteratorIjlEEPS9_SG_NS0_5tupleIJPjSI_NS0_16reverse_iteratorISI_EEEEENSH_IJSG_SG_SG_EEES9_SI_JZNS1_25segmented_radix_sort_implINS0_14default_configELb1EPKfPfPKlPlN2at6native12_GLOBAL__N_18offset_tEEE10hipError_tPvRmT1_PNSt15iterator_traitsIS12_E10value_typeET2_T3_PNS13_IS18_E10value_typeET4_jRbjT5_S1E_jjP12ihipStream_tbEUljE_ZNSN_ISO_Lb1ESQ_SR_ST_SU_SY_EESZ_S10_S11_S12_S16_S17_S18_S1B_S1C_jS1D_jS1E_S1E_jjS1G_bEUljE0_EEESZ_S10_S11_S18_S1C_S1E_T6_T7_T9_mT8_S1G_bDpT10_ENKUlT_T0_E_clISt17integral_constantIbLb0EES1T_IbLb1EEEEDaS1P_S1Q_EUlS1P_E_NS1_11comp_targetILNS1_3genE10ELNS1_11target_archE1200ELNS1_3gpuE4ELNS1_3repE0EEENS1_30default_config_static_selectorELNS0_4arch9wavefront6targetE1EEEvS12_,@function
_ZN7rocprim17ROCPRIM_400000_NS6detail17trampoline_kernelINS0_13select_configILj256ELj13ELNS0_17block_load_methodE3ELS4_3ELS4_3ELNS0_20block_scan_algorithmE0ELj4294967295EEENS1_25partition_config_selectorILNS1_17partition_subalgoE4EjNS0_10empty_typeEbEEZZNS1_14partition_implILS8_4ELb0ES6_15HIP_vector_typeIjLj2EENS0_17counting_iteratorIjlEEPS9_SG_NS0_5tupleIJPjSI_NS0_16reverse_iteratorISI_EEEEENSH_IJSG_SG_SG_EEES9_SI_JZNS1_25segmented_radix_sort_implINS0_14default_configELb1EPKfPfPKlPlN2at6native12_GLOBAL__N_18offset_tEEE10hipError_tPvRmT1_PNSt15iterator_traitsIS12_E10value_typeET2_T3_PNS13_IS18_E10value_typeET4_jRbjT5_S1E_jjP12ihipStream_tbEUljE_ZNSN_ISO_Lb1ESQ_SR_ST_SU_SY_EESZ_S10_S11_S12_S16_S17_S18_S1B_S1C_jS1D_jS1E_S1E_jjS1G_bEUljE0_EEESZ_S10_S11_S18_S1C_S1E_T6_T7_T9_mT8_S1G_bDpT10_ENKUlT_T0_E_clISt17integral_constantIbLb0EES1T_IbLb1EEEEDaS1P_S1Q_EUlS1P_E_NS1_11comp_targetILNS1_3genE10ELNS1_11target_archE1200ELNS1_3gpuE4ELNS1_3repE0EEENS1_30default_config_static_selectorELNS0_4arch9wavefront6targetE1EEEvS12_: ; @_ZN7rocprim17ROCPRIM_400000_NS6detail17trampoline_kernelINS0_13select_configILj256ELj13ELNS0_17block_load_methodE3ELS4_3ELS4_3ELNS0_20block_scan_algorithmE0ELj4294967295EEENS1_25partition_config_selectorILNS1_17partition_subalgoE4EjNS0_10empty_typeEbEEZZNS1_14partition_implILS8_4ELb0ES6_15HIP_vector_typeIjLj2EENS0_17counting_iteratorIjlEEPS9_SG_NS0_5tupleIJPjSI_NS0_16reverse_iteratorISI_EEEEENSH_IJSG_SG_SG_EEES9_SI_JZNS1_25segmented_radix_sort_implINS0_14default_configELb1EPKfPfPKlPlN2at6native12_GLOBAL__N_18offset_tEEE10hipError_tPvRmT1_PNSt15iterator_traitsIS12_E10value_typeET2_T3_PNS13_IS18_E10value_typeET4_jRbjT5_S1E_jjP12ihipStream_tbEUljE_ZNSN_ISO_Lb1ESQ_SR_ST_SU_SY_EESZ_S10_S11_S12_S16_S17_S18_S1B_S1C_jS1D_jS1E_S1E_jjS1G_bEUljE0_EEESZ_S10_S11_S18_S1C_S1E_T6_T7_T9_mT8_S1G_bDpT10_ENKUlT_T0_E_clISt17integral_constantIbLb0EES1T_IbLb1EEEEDaS1P_S1Q_EUlS1P_E_NS1_11comp_targetILNS1_3genE10ELNS1_11target_archE1200ELNS1_3gpuE4ELNS1_3repE0EEENS1_30default_config_static_selectorELNS0_4arch9wavefront6targetE1EEEvS12_
; %bb.0:
	.section	.rodata,"a",@progbits
	.p2align	6, 0x0
	.amdhsa_kernel _ZN7rocprim17ROCPRIM_400000_NS6detail17trampoline_kernelINS0_13select_configILj256ELj13ELNS0_17block_load_methodE3ELS4_3ELS4_3ELNS0_20block_scan_algorithmE0ELj4294967295EEENS1_25partition_config_selectorILNS1_17partition_subalgoE4EjNS0_10empty_typeEbEEZZNS1_14partition_implILS8_4ELb0ES6_15HIP_vector_typeIjLj2EENS0_17counting_iteratorIjlEEPS9_SG_NS0_5tupleIJPjSI_NS0_16reverse_iteratorISI_EEEEENSH_IJSG_SG_SG_EEES9_SI_JZNS1_25segmented_radix_sort_implINS0_14default_configELb1EPKfPfPKlPlN2at6native12_GLOBAL__N_18offset_tEEE10hipError_tPvRmT1_PNSt15iterator_traitsIS12_E10value_typeET2_T3_PNS13_IS18_E10value_typeET4_jRbjT5_S1E_jjP12ihipStream_tbEUljE_ZNSN_ISO_Lb1ESQ_SR_ST_SU_SY_EESZ_S10_S11_S12_S16_S17_S18_S1B_S1C_jS1D_jS1E_S1E_jjS1G_bEUljE0_EEESZ_S10_S11_S18_S1C_S1E_T6_T7_T9_mT8_S1G_bDpT10_ENKUlT_T0_E_clISt17integral_constantIbLb0EES1T_IbLb1EEEEDaS1P_S1Q_EUlS1P_E_NS1_11comp_targetILNS1_3genE10ELNS1_11target_archE1200ELNS1_3gpuE4ELNS1_3repE0EEENS1_30default_config_static_selectorELNS0_4arch9wavefront6targetE1EEEvS12_
		.amdhsa_group_segment_fixed_size 0
		.amdhsa_private_segment_fixed_size 0
		.amdhsa_kernarg_size 184
		.amdhsa_user_sgpr_count 6
		.amdhsa_user_sgpr_private_segment_buffer 1
		.amdhsa_user_sgpr_dispatch_ptr 0
		.amdhsa_user_sgpr_queue_ptr 0
		.amdhsa_user_sgpr_kernarg_segment_ptr 1
		.amdhsa_user_sgpr_dispatch_id 0
		.amdhsa_user_sgpr_flat_scratch_init 0
		.amdhsa_user_sgpr_private_segment_size 0
		.amdhsa_uses_dynamic_stack 0
		.amdhsa_system_sgpr_private_segment_wavefront_offset 0
		.amdhsa_system_sgpr_workgroup_id_x 1
		.amdhsa_system_sgpr_workgroup_id_y 0
		.amdhsa_system_sgpr_workgroup_id_z 0
		.amdhsa_system_sgpr_workgroup_info 0
		.amdhsa_system_vgpr_workitem_id 0
		.amdhsa_next_free_vgpr 1
		.amdhsa_next_free_sgpr 0
		.amdhsa_reserve_vcc 0
		.amdhsa_reserve_flat_scratch 0
		.amdhsa_float_round_mode_32 0
		.amdhsa_float_round_mode_16_64 0
		.amdhsa_float_denorm_mode_32 3
		.amdhsa_float_denorm_mode_16_64 3
		.amdhsa_dx10_clamp 1
		.amdhsa_ieee_mode 1
		.amdhsa_fp16_overflow 0
		.amdhsa_exception_fp_ieee_invalid_op 0
		.amdhsa_exception_fp_denorm_src 0
		.amdhsa_exception_fp_ieee_div_zero 0
		.amdhsa_exception_fp_ieee_overflow 0
		.amdhsa_exception_fp_ieee_underflow 0
		.amdhsa_exception_fp_ieee_inexact 0
		.amdhsa_exception_int_div_zero 0
	.end_amdhsa_kernel
	.section	.text._ZN7rocprim17ROCPRIM_400000_NS6detail17trampoline_kernelINS0_13select_configILj256ELj13ELNS0_17block_load_methodE3ELS4_3ELS4_3ELNS0_20block_scan_algorithmE0ELj4294967295EEENS1_25partition_config_selectorILNS1_17partition_subalgoE4EjNS0_10empty_typeEbEEZZNS1_14partition_implILS8_4ELb0ES6_15HIP_vector_typeIjLj2EENS0_17counting_iteratorIjlEEPS9_SG_NS0_5tupleIJPjSI_NS0_16reverse_iteratorISI_EEEEENSH_IJSG_SG_SG_EEES9_SI_JZNS1_25segmented_radix_sort_implINS0_14default_configELb1EPKfPfPKlPlN2at6native12_GLOBAL__N_18offset_tEEE10hipError_tPvRmT1_PNSt15iterator_traitsIS12_E10value_typeET2_T3_PNS13_IS18_E10value_typeET4_jRbjT5_S1E_jjP12ihipStream_tbEUljE_ZNSN_ISO_Lb1ESQ_SR_ST_SU_SY_EESZ_S10_S11_S12_S16_S17_S18_S1B_S1C_jS1D_jS1E_S1E_jjS1G_bEUljE0_EEESZ_S10_S11_S18_S1C_S1E_T6_T7_T9_mT8_S1G_bDpT10_ENKUlT_T0_E_clISt17integral_constantIbLb0EES1T_IbLb1EEEEDaS1P_S1Q_EUlS1P_E_NS1_11comp_targetILNS1_3genE10ELNS1_11target_archE1200ELNS1_3gpuE4ELNS1_3repE0EEENS1_30default_config_static_selectorELNS0_4arch9wavefront6targetE1EEEvS12_,"axG",@progbits,_ZN7rocprim17ROCPRIM_400000_NS6detail17trampoline_kernelINS0_13select_configILj256ELj13ELNS0_17block_load_methodE3ELS4_3ELS4_3ELNS0_20block_scan_algorithmE0ELj4294967295EEENS1_25partition_config_selectorILNS1_17partition_subalgoE4EjNS0_10empty_typeEbEEZZNS1_14partition_implILS8_4ELb0ES6_15HIP_vector_typeIjLj2EENS0_17counting_iteratorIjlEEPS9_SG_NS0_5tupleIJPjSI_NS0_16reverse_iteratorISI_EEEEENSH_IJSG_SG_SG_EEES9_SI_JZNS1_25segmented_radix_sort_implINS0_14default_configELb1EPKfPfPKlPlN2at6native12_GLOBAL__N_18offset_tEEE10hipError_tPvRmT1_PNSt15iterator_traitsIS12_E10value_typeET2_T3_PNS13_IS18_E10value_typeET4_jRbjT5_S1E_jjP12ihipStream_tbEUljE_ZNSN_ISO_Lb1ESQ_SR_ST_SU_SY_EESZ_S10_S11_S12_S16_S17_S18_S1B_S1C_jS1D_jS1E_S1E_jjS1G_bEUljE0_EEESZ_S10_S11_S18_S1C_S1E_T6_T7_T9_mT8_S1G_bDpT10_ENKUlT_T0_E_clISt17integral_constantIbLb0EES1T_IbLb1EEEEDaS1P_S1Q_EUlS1P_E_NS1_11comp_targetILNS1_3genE10ELNS1_11target_archE1200ELNS1_3gpuE4ELNS1_3repE0EEENS1_30default_config_static_selectorELNS0_4arch9wavefront6targetE1EEEvS12_,comdat
.Lfunc_end1290:
	.size	_ZN7rocprim17ROCPRIM_400000_NS6detail17trampoline_kernelINS0_13select_configILj256ELj13ELNS0_17block_load_methodE3ELS4_3ELS4_3ELNS0_20block_scan_algorithmE0ELj4294967295EEENS1_25partition_config_selectorILNS1_17partition_subalgoE4EjNS0_10empty_typeEbEEZZNS1_14partition_implILS8_4ELb0ES6_15HIP_vector_typeIjLj2EENS0_17counting_iteratorIjlEEPS9_SG_NS0_5tupleIJPjSI_NS0_16reverse_iteratorISI_EEEEENSH_IJSG_SG_SG_EEES9_SI_JZNS1_25segmented_radix_sort_implINS0_14default_configELb1EPKfPfPKlPlN2at6native12_GLOBAL__N_18offset_tEEE10hipError_tPvRmT1_PNSt15iterator_traitsIS12_E10value_typeET2_T3_PNS13_IS18_E10value_typeET4_jRbjT5_S1E_jjP12ihipStream_tbEUljE_ZNSN_ISO_Lb1ESQ_SR_ST_SU_SY_EESZ_S10_S11_S12_S16_S17_S18_S1B_S1C_jS1D_jS1E_S1E_jjS1G_bEUljE0_EEESZ_S10_S11_S18_S1C_S1E_T6_T7_T9_mT8_S1G_bDpT10_ENKUlT_T0_E_clISt17integral_constantIbLb0EES1T_IbLb1EEEEDaS1P_S1Q_EUlS1P_E_NS1_11comp_targetILNS1_3genE10ELNS1_11target_archE1200ELNS1_3gpuE4ELNS1_3repE0EEENS1_30default_config_static_selectorELNS0_4arch9wavefront6targetE1EEEvS12_, .Lfunc_end1290-_ZN7rocprim17ROCPRIM_400000_NS6detail17trampoline_kernelINS0_13select_configILj256ELj13ELNS0_17block_load_methodE3ELS4_3ELS4_3ELNS0_20block_scan_algorithmE0ELj4294967295EEENS1_25partition_config_selectorILNS1_17partition_subalgoE4EjNS0_10empty_typeEbEEZZNS1_14partition_implILS8_4ELb0ES6_15HIP_vector_typeIjLj2EENS0_17counting_iteratorIjlEEPS9_SG_NS0_5tupleIJPjSI_NS0_16reverse_iteratorISI_EEEEENSH_IJSG_SG_SG_EEES9_SI_JZNS1_25segmented_radix_sort_implINS0_14default_configELb1EPKfPfPKlPlN2at6native12_GLOBAL__N_18offset_tEEE10hipError_tPvRmT1_PNSt15iterator_traitsIS12_E10value_typeET2_T3_PNS13_IS18_E10value_typeET4_jRbjT5_S1E_jjP12ihipStream_tbEUljE_ZNSN_ISO_Lb1ESQ_SR_ST_SU_SY_EESZ_S10_S11_S12_S16_S17_S18_S1B_S1C_jS1D_jS1E_S1E_jjS1G_bEUljE0_EEESZ_S10_S11_S18_S1C_S1E_T6_T7_T9_mT8_S1G_bDpT10_ENKUlT_T0_E_clISt17integral_constantIbLb0EES1T_IbLb1EEEEDaS1P_S1Q_EUlS1P_E_NS1_11comp_targetILNS1_3genE10ELNS1_11target_archE1200ELNS1_3gpuE4ELNS1_3repE0EEENS1_30default_config_static_selectorELNS0_4arch9wavefront6targetE1EEEvS12_
                                        ; -- End function
	.set _ZN7rocprim17ROCPRIM_400000_NS6detail17trampoline_kernelINS0_13select_configILj256ELj13ELNS0_17block_load_methodE3ELS4_3ELS4_3ELNS0_20block_scan_algorithmE0ELj4294967295EEENS1_25partition_config_selectorILNS1_17partition_subalgoE4EjNS0_10empty_typeEbEEZZNS1_14partition_implILS8_4ELb0ES6_15HIP_vector_typeIjLj2EENS0_17counting_iteratorIjlEEPS9_SG_NS0_5tupleIJPjSI_NS0_16reverse_iteratorISI_EEEEENSH_IJSG_SG_SG_EEES9_SI_JZNS1_25segmented_radix_sort_implINS0_14default_configELb1EPKfPfPKlPlN2at6native12_GLOBAL__N_18offset_tEEE10hipError_tPvRmT1_PNSt15iterator_traitsIS12_E10value_typeET2_T3_PNS13_IS18_E10value_typeET4_jRbjT5_S1E_jjP12ihipStream_tbEUljE_ZNSN_ISO_Lb1ESQ_SR_ST_SU_SY_EESZ_S10_S11_S12_S16_S17_S18_S1B_S1C_jS1D_jS1E_S1E_jjS1G_bEUljE0_EEESZ_S10_S11_S18_S1C_S1E_T6_T7_T9_mT8_S1G_bDpT10_ENKUlT_T0_E_clISt17integral_constantIbLb0EES1T_IbLb1EEEEDaS1P_S1Q_EUlS1P_E_NS1_11comp_targetILNS1_3genE10ELNS1_11target_archE1200ELNS1_3gpuE4ELNS1_3repE0EEENS1_30default_config_static_selectorELNS0_4arch9wavefront6targetE1EEEvS12_.num_vgpr, 0
	.set _ZN7rocprim17ROCPRIM_400000_NS6detail17trampoline_kernelINS0_13select_configILj256ELj13ELNS0_17block_load_methodE3ELS4_3ELS4_3ELNS0_20block_scan_algorithmE0ELj4294967295EEENS1_25partition_config_selectorILNS1_17partition_subalgoE4EjNS0_10empty_typeEbEEZZNS1_14partition_implILS8_4ELb0ES6_15HIP_vector_typeIjLj2EENS0_17counting_iteratorIjlEEPS9_SG_NS0_5tupleIJPjSI_NS0_16reverse_iteratorISI_EEEEENSH_IJSG_SG_SG_EEES9_SI_JZNS1_25segmented_radix_sort_implINS0_14default_configELb1EPKfPfPKlPlN2at6native12_GLOBAL__N_18offset_tEEE10hipError_tPvRmT1_PNSt15iterator_traitsIS12_E10value_typeET2_T3_PNS13_IS18_E10value_typeET4_jRbjT5_S1E_jjP12ihipStream_tbEUljE_ZNSN_ISO_Lb1ESQ_SR_ST_SU_SY_EESZ_S10_S11_S12_S16_S17_S18_S1B_S1C_jS1D_jS1E_S1E_jjS1G_bEUljE0_EEESZ_S10_S11_S18_S1C_S1E_T6_T7_T9_mT8_S1G_bDpT10_ENKUlT_T0_E_clISt17integral_constantIbLb0EES1T_IbLb1EEEEDaS1P_S1Q_EUlS1P_E_NS1_11comp_targetILNS1_3genE10ELNS1_11target_archE1200ELNS1_3gpuE4ELNS1_3repE0EEENS1_30default_config_static_selectorELNS0_4arch9wavefront6targetE1EEEvS12_.num_agpr, 0
	.set _ZN7rocprim17ROCPRIM_400000_NS6detail17trampoline_kernelINS0_13select_configILj256ELj13ELNS0_17block_load_methodE3ELS4_3ELS4_3ELNS0_20block_scan_algorithmE0ELj4294967295EEENS1_25partition_config_selectorILNS1_17partition_subalgoE4EjNS0_10empty_typeEbEEZZNS1_14partition_implILS8_4ELb0ES6_15HIP_vector_typeIjLj2EENS0_17counting_iteratorIjlEEPS9_SG_NS0_5tupleIJPjSI_NS0_16reverse_iteratorISI_EEEEENSH_IJSG_SG_SG_EEES9_SI_JZNS1_25segmented_radix_sort_implINS0_14default_configELb1EPKfPfPKlPlN2at6native12_GLOBAL__N_18offset_tEEE10hipError_tPvRmT1_PNSt15iterator_traitsIS12_E10value_typeET2_T3_PNS13_IS18_E10value_typeET4_jRbjT5_S1E_jjP12ihipStream_tbEUljE_ZNSN_ISO_Lb1ESQ_SR_ST_SU_SY_EESZ_S10_S11_S12_S16_S17_S18_S1B_S1C_jS1D_jS1E_S1E_jjS1G_bEUljE0_EEESZ_S10_S11_S18_S1C_S1E_T6_T7_T9_mT8_S1G_bDpT10_ENKUlT_T0_E_clISt17integral_constantIbLb0EES1T_IbLb1EEEEDaS1P_S1Q_EUlS1P_E_NS1_11comp_targetILNS1_3genE10ELNS1_11target_archE1200ELNS1_3gpuE4ELNS1_3repE0EEENS1_30default_config_static_selectorELNS0_4arch9wavefront6targetE1EEEvS12_.numbered_sgpr, 0
	.set _ZN7rocprim17ROCPRIM_400000_NS6detail17trampoline_kernelINS0_13select_configILj256ELj13ELNS0_17block_load_methodE3ELS4_3ELS4_3ELNS0_20block_scan_algorithmE0ELj4294967295EEENS1_25partition_config_selectorILNS1_17partition_subalgoE4EjNS0_10empty_typeEbEEZZNS1_14partition_implILS8_4ELb0ES6_15HIP_vector_typeIjLj2EENS0_17counting_iteratorIjlEEPS9_SG_NS0_5tupleIJPjSI_NS0_16reverse_iteratorISI_EEEEENSH_IJSG_SG_SG_EEES9_SI_JZNS1_25segmented_radix_sort_implINS0_14default_configELb1EPKfPfPKlPlN2at6native12_GLOBAL__N_18offset_tEEE10hipError_tPvRmT1_PNSt15iterator_traitsIS12_E10value_typeET2_T3_PNS13_IS18_E10value_typeET4_jRbjT5_S1E_jjP12ihipStream_tbEUljE_ZNSN_ISO_Lb1ESQ_SR_ST_SU_SY_EESZ_S10_S11_S12_S16_S17_S18_S1B_S1C_jS1D_jS1E_S1E_jjS1G_bEUljE0_EEESZ_S10_S11_S18_S1C_S1E_T6_T7_T9_mT8_S1G_bDpT10_ENKUlT_T0_E_clISt17integral_constantIbLb0EES1T_IbLb1EEEEDaS1P_S1Q_EUlS1P_E_NS1_11comp_targetILNS1_3genE10ELNS1_11target_archE1200ELNS1_3gpuE4ELNS1_3repE0EEENS1_30default_config_static_selectorELNS0_4arch9wavefront6targetE1EEEvS12_.num_named_barrier, 0
	.set _ZN7rocprim17ROCPRIM_400000_NS6detail17trampoline_kernelINS0_13select_configILj256ELj13ELNS0_17block_load_methodE3ELS4_3ELS4_3ELNS0_20block_scan_algorithmE0ELj4294967295EEENS1_25partition_config_selectorILNS1_17partition_subalgoE4EjNS0_10empty_typeEbEEZZNS1_14partition_implILS8_4ELb0ES6_15HIP_vector_typeIjLj2EENS0_17counting_iteratorIjlEEPS9_SG_NS0_5tupleIJPjSI_NS0_16reverse_iteratorISI_EEEEENSH_IJSG_SG_SG_EEES9_SI_JZNS1_25segmented_radix_sort_implINS0_14default_configELb1EPKfPfPKlPlN2at6native12_GLOBAL__N_18offset_tEEE10hipError_tPvRmT1_PNSt15iterator_traitsIS12_E10value_typeET2_T3_PNS13_IS18_E10value_typeET4_jRbjT5_S1E_jjP12ihipStream_tbEUljE_ZNSN_ISO_Lb1ESQ_SR_ST_SU_SY_EESZ_S10_S11_S12_S16_S17_S18_S1B_S1C_jS1D_jS1E_S1E_jjS1G_bEUljE0_EEESZ_S10_S11_S18_S1C_S1E_T6_T7_T9_mT8_S1G_bDpT10_ENKUlT_T0_E_clISt17integral_constantIbLb0EES1T_IbLb1EEEEDaS1P_S1Q_EUlS1P_E_NS1_11comp_targetILNS1_3genE10ELNS1_11target_archE1200ELNS1_3gpuE4ELNS1_3repE0EEENS1_30default_config_static_selectorELNS0_4arch9wavefront6targetE1EEEvS12_.private_seg_size, 0
	.set _ZN7rocprim17ROCPRIM_400000_NS6detail17trampoline_kernelINS0_13select_configILj256ELj13ELNS0_17block_load_methodE3ELS4_3ELS4_3ELNS0_20block_scan_algorithmE0ELj4294967295EEENS1_25partition_config_selectorILNS1_17partition_subalgoE4EjNS0_10empty_typeEbEEZZNS1_14partition_implILS8_4ELb0ES6_15HIP_vector_typeIjLj2EENS0_17counting_iteratorIjlEEPS9_SG_NS0_5tupleIJPjSI_NS0_16reverse_iteratorISI_EEEEENSH_IJSG_SG_SG_EEES9_SI_JZNS1_25segmented_radix_sort_implINS0_14default_configELb1EPKfPfPKlPlN2at6native12_GLOBAL__N_18offset_tEEE10hipError_tPvRmT1_PNSt15iterator_traitsIS12_E10value_typeET2_T3_PNS13_IS18_E10value_typeET4_jRbjT5_S1E_jjP12ihipStream_tbEUljE_ZNSN_ISO_Lb1ESQ_SR_ST_SU_SY_EESZ_S10_S11_S12_S16_S17_S18_S1B_S1C_jS1D_jS1E_S1E_jjS1G_bEUljE0_EEESZ_S10_S11_S18_S1C_S1E_T6_T7_T9_mT8_S1G_bDpT10_ENKUlT_T0_E_clISt17integral_constantIbLb0EES1T_IbLb1EEEEDaS1P_S1Q_EUlS1P_E_NS1_11comp_targetILNS1_3genE10ELNS1_11target_archE1200ELNS1_3gpuE4ELNS1_3repE0EEENS1_30default_config_static_selectorELNS0_4arch9wavefront6targetE1EEEvS12_.uses_vcc, 0
	.set _ZN7rocprim17ROCPRIM_400000_NS6detail17trampoline_kernelINS0_13select_configILj256ELj13ELNS0_17block_load_methodE3ELS4_3ELS4_3ELNS0_20block_scan_algorithmE0ELj4294967295EEENS1_25partition_config_selectorILNS1_17partition_subalgoE4EjNS0_10empty_typeEbEEZZNS1_14partition_implILS8_4ELb0ES6_15HIP_vector_typeIjLj2EENS0_17counting_iteratorIjlEEPS9_SG_NS0_5tupleIJPjSI_NS0_16reverse_iteratorISI_EEEEENSH_IJSG_SG_SG_EEES9_SI_JZNS1_25segmented_radix_sort_implINS0_14default_configELb1EPKfPfPKlPlN2at6native12_GLOBAL__N_18offset_tEEE10hipError_tPvRmT1_PNSt15iterator_traitsIS12_E10value_typeET2_T3_PNS13_IS18_E10value_typeET4_jRbjT5_S1E_jjP12ihipStream_tbEUljE_ZNSN_ISO_Lb1ESQ_SR_ST_SU_SY_EESZ_S10_S11_S12_S16_S17_S18_S1B_S1C_jS1D_jS1E_S1E_jjS1G_bEUljE0_EEESZ_S10_S11_S18_S1C_S1E_T6_T7_T9_mT8_S1G_bDpT10_ENKUlT_T0_E_clISt17integral_constantIbLb0EES1T_IbLb1EEEEDaS1P_S1Q_EUlS1P_E_NS1_11comp_targetILNS1_3genE10ELNS1_11target_archE1200ELNS1_3gpuE4ELNS1_3repE0EEENS1_30default_config_static_selectorELNS0_4arch9wavefront6targetE1EEEvS12_.uses_flat_scratch, 0
	.set _ZN7rocprim17ROCPRIM_400000_NS6detail17trampoline_kernelINS0_13select_configILj256ELj13ELNS0_17block_load_methodE3ELS4_3ELS4_3ELNS0_20block_scan_algorithmE0ELj4294967295EEENS1_25partition_config_selectorILNS1_17partition_subalgoE4EjNS0_10empty_typeEbEEZZNS1_14partition_implILS8_4ELb0ES6_15HIP_vector_typeIjLj2EENS0_17counting_iteratorIjlEEPS9_SG_NS0_5tupleIJPjSI_NS0_16reverse_iteratorISI_EEEEENSH_IJSG_SG_SG_EEES9_SI_JZNS1_25segmented_radix_sort_implINS0_14default_configELb1EPKfPfPKlPlN2at6native12_GLOBAL__N_18offset_tEEE10hipError_tPvRmT1_PNSt15iterator_traitsIS12_E10value_typeET2_T3_PNS13_IS18_E10value_typeET4_jRbjT5_S1E_jjP12ihipStream_tbEUljE_ZNSN_ISO_Lb1ESQ_SR_ST_SU_SY_EESZ_S10_S11_S12_S16_S17_S18_S1B_S1C_jS1D_jS1E_S1E_jjS1G_bEUljE0_EEESZ_S10_S11_S18_S1C_S1E_T6_T7_T9_mT8_S1G_bDpT10_ENKUlT_T0_E_clISt17integral_constantIbLb0EES1T_IbLb1EEEEDaS1P_S1Q_EUlS1P_E_NS1_11comp_targetILNS1_3genE10ELNS1_11target_archE1200ELNS1_3gpuE4ELNS1_3repE0EEENS1_30default_config_static_selectorELNS0_4arch9wavefront6targetE1EEEvS12_.has_dyn_sized_stack, 0
	.set _ZN7rocprim17ROCPRIM_400000_NS6detail17trampoline_kernelINS0_13select_configILj256ELj13ELNS0_17block_load_methodE3ELS4_3ELS4_3ELNS0_20block_scan_algorithmE0ELj4294967295EEENS1_25partition_config_selectorILNS1_17partition_subalgoE4EjNS0_10empty_typeEbEEZZNS1_14partition_implILS8_4ELb0ES6_15HIP_vector_typeIjLj2EENS0_17counting_iteratorIjlEEPS9_SG_NS0_5tupleIJPjSI_NS0_16reverse_iteratorISI_EEEEENSH_IJSG_SG_SG_EEES9_SI_JZNS1_25segmented_radix_sort_implINS0_14default_configELb1EPKfPfPKlPlN2at6native12_GLOBAL__N_18offset_tEEE10hipError_tPvRmT1_PNSt15iterator_traitsIS12_E10value_typeET2_T3_PNS13_IS18_E10value_typeET4_jRbjT5_S1E_jjP12ihipStream_tbEUljE_ZNSN_ISO_Lb1ESQ_SR_ST_SU_SY_EESZ_S10_S11_S12_S16_S17_S18_S1B_S1C_jS1D_jS1E_S1E_jjS1G_bEUljE0_EEESZ_S10_S11_S18_S1C_S1E_T6_T7_T9_mT8_S1G_bDpT10_ENKUlT_T0_E_clISt17integral_constantIbLb0EES1T_IbLb1EEEEDaS1P_S1Q_EUlS1P_E_NS1_11comp_targetILNS1_3genE10ELNS1_11target_archE1200ELNS1_3gpuE4ELNS1_3repE0EEENS1_30default_config_static_selectorELNS0_4arch9wavefront6targetE1EEEvS12_.has_recursion, 0
	.set _ZN7rocprim17ROCPRIM_400000_NS6detail17trampoline_kernelINS0_13select_configILj256ELj13ELNS0_17block_load_methodE3ELS4_3ELS4_3ELNS0_20block_scan_algorithmE0ELj4294967295EEENS1_25partition_config_selectorILNS1_17partition_subalgoE4EjNS0_10empty_typeEbEEZZNS1_14partition_implILS8_4ELb0ES6_15HIP_vector_typeIjLj2EENS0_17counting_iteratorIjlEEPS9_SG_NS0_5tupleIJPjSI_NS0_16reverse_iteratorISI_EEEEENSH_IJSG_SG_SG_EEES9_SI_JZNS1_25segmented_radix_sort_implINS0_14default_configELb1EPKfPfPKlPlN2at6native12_GLOBAL__N_18offset_tEEE10hipError_tPvRmT1_PNSt15iterator_traitsIS12_E10value_typeET2_T3_PNS13_IS18_E10value_typeET4_jRbjT5_S1E_jjP12ihipStream_tbEUljE_ZNSN_ISO_Lb1ESQ_SR_ST_SU_SY_EESZ_S10_S11_S12_S16_S17_S18_S1B_S1C_jS1D_jS1E_S1E_jjS1G_bEUljE0_EEESZ_S10_S11_S18_S1C_S1E_T6_T7_T9_mT8_S1G_bDpT10_ENKUlT_T0_E_clISt17integral_constantIbLb0EES1T_IbLb1EEEEDaS1P_S1Q_EUlS1P_E_NS1_11comp_targetILNS1_3genE10ELNS1_11target_archE1200ELNS1_3gpuE4ELNS1_3repE0EEENS1_30default_config_static_selectorELNS0_4arch9wavefront6targetE1EEEvS12_.has_indirect_call, 0
	.section	.AMDGPU.csdata,"",@progbits
; Kernel info:
; codeLenInByte = 0
; TotalNumSgprs: 4
; NumVgprs: 0
; ScratchSize: 0
; MemoryBound: 0
; FloatMode: 240
; IeeeMode: 1
; LDSByteSize: 0 bytes/workgroup (compile time only)
; SGPRBlocks: 0
; VGPRBlocks: 0
; NumSGPRsForWavesPerEU: 4
; NumVGPRsForWavesPerEU: 1
; Occupancy: 10
; WaveLimiterHint : 0
; COMPUTE_PGM_RSRC2:SCRATCH_EN: 0
; COMPUTE_PGM_RSRC2:USER_SGPR: 6
; COMPUTE_PGM_RSRC2:TRAP_HANDLER: 0
; COMPUTE_PGM_RSRC2:TGID_X_EN: 1
; COMPUTE_PGM_RSRC2:TGID_Y_EN: 0
; COMPUTE_PGM_RSRC2:TGID_Z_EN: 0
; COMPUTE_PGM_RSRC2:TIDIG_COMP_CNT: 0
	.section	.text._ZN7rocprim17ROCPRIM_400000_NS6detail17trampoline_kernelINS0_13select_configILj256ELj13ELNS0_17block_load_methodE3ELS4_3ELS4_3ELNS0_20block_scan_algorithmE0ELj4294967295EEENS1_25partition_config_selectorILNS1_17partition_subalgoE4EjNS0_10empty_typeEbEEZZNS1_14partition_implILS8_4ELb0ES6_15HIP_vector_typeIjLj2EENS0_17counting_iteratorIjlEEPS9_SG_NS0_5tupleIJPjSI_NS0_16reverse_iteratorISI_EEEEENSH_IJSG_SG_SG_EEES9_SI_JZNS1_25segmented_radix_sort_implINS0_14default_configELb1EPKfPfPKlPlN2at6native12_GLOBAL__N_18offset_tEEE10hipError_tPvRmT1_PNSt15iterator_traitsIS12_E10value_typeET2_T3_PNS13_IS18_E10value_typeET4_jRbjT5_S1E_jjP12ihipStream_tbEUljE_ZNSN_ISO_Lb1ESQ_SR_ST_SU_SY_EESZ_S10_S11_S12_S16_S17_S18_S1B_S1C_jS1D_jS1E_S1E_jjS1G_bEUljE0_EEESZ_S10_S11_S18_S1C_S1E_T6_T7_T9_mT8_S1G_bDpT10_ENKUlT_T0_E_clISt17integral_constantIbLb0EES1T_IbLb1EEEEDaS1P_S1Q_EUlS1P_E_NS1_11comp_targetILNS1_3genE9ELNS1_11target_archE1100ELNS1_3gpuE3ELNS1_3repE0EEENS1_30default_config_static_selectorELNS0_4arch9wavefront6targetE1EEEvS12_,"axG",@progbits,_ZN7rocprim17ROCPRIM_400000_NS6detail17trampoline_kernelINS0_13select_configILj256ELj13ELNS0_17block_load_methodE3ELS4_3ELS4_3ELNS0_20block_scan_algorithmE0ELj4294967295EEENS1_25partition_config_selectorILNS1_17partition_subalgoE4EjNS0_10empty_typeEbEEZZNS1_14partition_implILS8_4ELb0ES6_15HIP_vector_typeIjLj2EENS0_17counting_iteratorIjlEEPS9_SG_NS0_5tupleIJPjSI_NS0_16reverse_iteratorISI_EEEEENSH_IJSG_SG_SG_EEES9_SI_JZNS1_25segmented_radix_sort_implINS0_14default_configELb1EPKfPfPKlPlN2at6native12_GLOBAL__N_18offset_tEEE10hipError_tPvRmT1_PNSt15iterator_traitsIS12_E10value_typeET2_T3_PNS13_IS18_E10value_typeET4_jRbjT5_S1E_jjP12ihipStream_tbEUljE_ZNSN_ISO_Lb1ESQ_SR_ST_SU_SY_EESZ_S10_S11_S12_S16_S17_S18_S1B_S1C_jS1D_jS1E_S1E_jjS1G_bEUljE0_EEESZ_S10_S11_S18_S1C_S1E_T6_T7_T9_mT8_S1G_bDpT10_ENKUlT_T0_E_clISt17integral_constantIbLb0EES1T_IbLb1EEEEDaS1P_S1Q_EUlS1P_E_NS1_11comp_targetILNS1_3genE9ELNS1_11target_archE1100ELNS1_3gpuE3ELNS1_3repE0EEENS1_30default_config_static_selectorELNS0_4arch9wavefront6targetE1EEEvS12_,comdat
	.globl	_ZN7rocprim17ROCPRIM_400000_NS6detail17trampoline_kernelINS0_13select_configILj256ELj13ELNS0_17block_load_methodE3ELS4_3ELS4_3ELNS0_20block_scan_algorithmE0ELj4294967295EEENS1_25partition_config_selectorILNS1_17partition_subalgoE4EjNS0_10empty_typeEbEEZZNS1_14partition_implILS8_4ELb0ES6_15HIP_vector_typeIjLj2EENS0_17counting_iteratorIjlEEPS9_SG_NS0_5tupleIJPjSI_NS0_16reverse_iteratorISI_EEEEENSH_IJSG_SG_SG_EEES9_SI_JZNS1_25segmented_radix_sort_implINS0_14default_configELb1EPKfPfPKlPlN2at6native12_GLOBAL__N_18offset_tEEE10hipError_tPvRmT1_PNSt15iterator_traitsIS12_E10value_typeET2_T3_PNS13_IS18_E10value_typeET4_jRbjT5_S1E_jjP12ihipStream_tbEUljE_ZNSN_ISO_Lb1ESQ_SR_ST_SU_SY_EESZ_S10_S11_S12_S16_S17_S18_S1B_S1C_jS1D_jS1E_S1E_jjS1G_bEUljE0_EEESZ_S10_S11_S18_S1C_S1E_T6_T7_T9_mT8_S1G_bDpT10_ENKUlT_T0_E_clISt17integral_constantIbLb0EES1T_IbLb1EEEEDaS1P_S1Q_EUlS1P_E_NS1_11comp_targetILNS1_3genE9ELNS1_11target_archE1100ELNS1_3gpuE3ELNS1_3repE0EEENS1_30default_config_static_selectorELNS0_4arch9wavefront6targetE1EEEvS12_ ; -- Begin function _ZN7rocprim17ROCPRIM_400000_NS6detail17trampoline_kernelINS0_13select_configILj256ELj13ELNS0_17block_load_methodE3ELS4_3ELS4_3ELNS0_20block_scan_algorithmE0ELj4294967295EEENS1_25partition_config_selectorILNS1_17partition_subalgoE4EjNS0_10empty_typeEbEEZZNS1_14partition_implILS8_4ELb0ES6_15HIP_vector_typeIjLj2EENS0_17counting_iteratorIjlEEPS9_SG_NS0_5tupleIJPjSI_NS0_16reverse_iteratorISI_EEEEENSH_IJSG_SG_SG_EEES9_SI_JZNS1_25segmented_radix_sort_implINS0_14default_configELb1EPKfPfPKlPlN2at6native12_GLOBAL__N_18offset_tEEE10hipError_tPvRmT1_PNSt15iterator_traitsIS12_E10value_typeET2_T3_PNS13_IS18_E10value_typeET4_jRbjT5_S1E_jjP12ihipStream_tbEUljE_ZNSN_ISO_Lb1ESQ_SR_ST_SU_SY_EESZ_S10_S11_S12_S16_S17_S18_S1B_S1C_jS1D_jS1E_S1E_jjS1G_bEUljE0_EEESZ_S10_S11_S18_S1C_S1E_T6_T7_T9_mT8_S1G_bDpT10_ENKUlT_T0_E_clISt17integral_constantIbLb0EES1T_IbLb1EEEEDaS1P_S1Q_EUlS1P_E_NS1_11comp_targetILNS1_3genE9ELNS1_11target_archE1100ELNS1_3gpuE3ELNS1_3repE0EEENS1_30default_config_static_selectorELNS0_4arch9wavefront6targetE1EEEvS12_
	.p2align	8
	.type	_ZN7rocprim17ROCPRIM_400000_NS6detail17trampoline_kernelINS0_13select_configILj256ELj13ELNS0_17block_load_methodE3ELS4_3ELS4_3ELNS0_20block_scan_algorithmE0ELj4294967295EEENS1_25partition_config_selectorILNS1_17partition_subalgoE4EjNS0_10empty_typeEbEEZZNS1_14partition_implILS8_4ELb0ES6_15HIP_vector_typeIjLj2EENS0_17counting_iteratorIjlEEPS9_SG_NS0_5tupleIJPjSI_NS0_16reverse_iteratorISI_EEEEENSH_IJSG_SG_SG_EEES9_SI_JZNS1_25segmented_radix_sort_implINS0_14default_configELb1EPKfPfPKlPlN2at6native12_GLOBAL__N_18offset_tEEE10hipError_tPvRmT1_PNSt15iterator_traitsIS12_E10value_typeET2_T3_PNS13_IS18_E10value_typeET4_jRbjT5_S1E_jjP12ihipStream_tbEUljE_ZNSN_ISO_Lb1ESQ_SR_ST_SU_SY_EESZ_S10_S11_S12_S16_S17_S18_S1B_S1C_jS1D_jS1E_S1E_jjS1G_bEUljE0_EEESZ_S10_S11_S18_S1C_S1E_T6_T7_T9_mT8_S1G_bDpT10_ENKUlT_T0_E_clISt17integral_constantIbLb0EES1T_IbLb1EEEEDaS1P_S1Q_EUlS1P_E_NS1_11comp_targetILNS1_3genE9ELNS1_11target_archE1100ELNS1_3gpuE3ELNS1_3repE0EEENS1_30default_config_static_selectorELNS0_4arch9wavefront6targetE1EEEvS12_,@function
_ZN7rocprim17ROCPRIM_400000_NS6detail17trampoline_kernelINS0_13select_configILj256ELj13ELNS0_17block_load_methodE3ELS4_3ELS4_3ELNS0_20block_scan_algorithmE0ELj4294967295EEENS1_25partition_config_selectorILNS1_17partition_subalgoE4EjNS0_10empty_typeEbEEZZNS1_14partition_implILS8_4ELb0ES6_15HIP_vector_typeIjLj2EENS0_17counting_iteratorIjlEEPS9_SG_NS0_5tupleIJPjSI_NS0_16reverse_iteratorISI_EEEEENSH_IJSG_SG_SG_EEES9_SI_JZNS1_25segmented_radix_sort_implINS0_14default_configELb1EPKfPfPKlPlN2at6native12_GLOBAL__N_18offset_tEEE10hipError_tPvRmT1_PNSt15iterator_traitsIS12_E10value_typeET2_T3_PNS13_IS18_E10value_typeET4_jRbjT5_S1E_jjP12ihipStream_tbEUljE_ZNSN_ISO_Lb1ESQ_SR_ST_SU_SY_EESZ_S10_S11_S12_S16_S17_S18_S1B_S1C_jS1D_jS1E_S1E_jjS1G_bEUljE0_EEESZ_S10_S11_S18_S1C_S1E_T6_T7_T9_mT8_S1G_bDpT10_ENKUlT_T0_E_clISt17integral_constantIbLb0EES1T_IbLb1EEEEDaS1P_S1Q_EUlS1P_E_NS1_11comp_targetILNS1_3genE9ELNS1_11target_archE1100ELNS1_3gpuE3ELNS1_3repE0EEENS1_30default_config_static_selectorELNS0_4arch9wavefront6targetE1EEEvS12_: ; @_ZN7rocprim17ROCPRIM_400000_NS6detail17trampoline_kernelINS0_13select_configILj256ELj13ELNS0_17block_load_methodE3ELS4_3ELS4_3ELNS0_20block_scan_algorithmE0ELj4294967295EEENS1_25partition_config_selectorILNS1_17partition_subalgoE4EjNS0_10empty_typeEbEEZZNS1_14partition_implILS8_4ELb0ES6_15HIP_vector_typeIjLj2EENS0_17counting_iteratorIjlEEPS9_SG_NS0_5tupleIJPjSI_NS0_16reverse_iteratorISI_EEEEENSH_IJSG_SG_SG_EEES9_SI_JZNS1_25segmented_radix_sort_implINS0_14default_configELb1EPKfPfPKlPlN2at6native12_GLOBAL__N_18offset_tEEE10hipError_tPvRmT1_PNSt15iterator_traitsIS12_E10value_typeET2_T3_PNS13_IS18_E10value_typeET4_jRbjT5_S1E_jjP12ihipStream_tbEUljE_ZNSN_ISO_Lb1ESQ_SR_ST_SU_SY_EESZ_S10_S11_S12_S16_S17_S18_S1B_S1C_jS1D_jS1E_S1E_jjS1G_bEUljE0_EEESZ_S10_S11_S18_S1C_S1E_T6_T7_T9_mT8_S1G_bDpT10_ENKUlT_T0_E_clISt17integral_constantIbLb0EES1T_IbLb1EEEEDaS1P_S1Q_EUlS1P_E_NS1_11comp_targetILNS1_3genE9ELNS1_11target_archE1100ELNS1_3gpuE3ELNS1_3repE0EEENS1_30default_config_static_selectorELNS0_4arch9wavefront6targetE1EEEvS12_
; %bb.0:
	.section	.rodata,"a",@progbits
	.p2align	6, 0x0
	.amdhsa_kernel _ZN7rocprim17ROCPRIM_400000_NS6detail17trampoline_kernelINS0_13select_configILj256ELj13ELNS0_17block_load_methodE3ELS4_3ELS4_3ELNS0_20block_scan_algorithmE0ELj4294967295EEENS1_25partition_config_selectorILNS1_17partition_subalgoE4EjNS0_10empty_typeEbEEZZNS1_14partition_implILS8_4ELb0ES6_15HIP_vector_typeIjLj2EENS0_17counting_iteratorIjlEEPS9_SG_NS0_5tupleIJPjSI_NS0_16reverse_iteratorISI_EEEEENSH_IJSG_SG_SG_EEES9_SI_JZNS1_25segmented_radix_sort_implINS0_14default_configELb1EPKfPfPKlPlN2at6native12_GLOBAL__N_18offset_tEEE10hipError_tPvRmT1_PNSt15iterator_traitsIS12_E10value_typeET2_T3_PNS13_IS18_E10value_typeET4_jRbjT5_S1E_jjP12ihipStream_tbEUljE_ZNSN_ISO_Lb1ESQ_SR_ST_SU_SY_EESZ_S10_S11_S12_S16_S17_S18_S1B_S1C_jS1D_jS1E_S1E_jjS1G_bEUljE0_EEESZ_S10_S11_S18_S1C_S1E_T6_T7_T9_mT8_S1G_bDpT10_ENKUlT_T0_E_clISt17integral_constantIbLb0EES1T_IbLb1EEEEDaS1P_S1Q_EUlS1P_E_NS1_11comp_targetILNS1_3genE9ELNS1_11target_archE1100ELNS1_3gpuE3ELNS1_3repE0EEENS1_30default_config_static_selectorELNS0_4arch9wavefront6targetE1EEEvS12_
		.amdhsa_group_segment_fixed_size 0
		.amdhsa_private_segment_fixed_size 0
		.amdhsa_kernarg_size 184
		.amdhsa_user_sgpr_count 6
		.amdhsa_user_sgpr_private_segment_buffer 1
		.amdhsa_user_sgpr_dispatch_ptr 0
		.amdhsa_user_sgpr_queue_ptr 0
		.amdhsa_user_sgpr_kernarg_segment_ptr 1
		.amdhsa_user_sgpr_dispatch_id 0
		.amdhsa_user_sgpr_flat_scratch_init 0
		.amdhsa_user_sgpr_private_segment_size 0
		.amdhsa_uses_dynamic_stack 0
		.amdhsa_system_sgpr_private_segment_wavefront_offset 0
		.amdhsa_system_sgpr_workgroup_id_x 1
		.amdhsa_system_sgpr_workgroup_id_y 0
		.amdhsa_system_sgpr_workgroup_id_z 0
		.amdhsa_system_sgpr_workgroup_info 0
		.amdhsa_system_vgpr_workitem_id 0
		.amdhsa_next_free_vgpr 1
		.amdhsa_next_free_sgpr 0
		.amdhsa_reserve_vcc 0
		.amdhsa_reserve_flat_scratch 0
		.amdhsa_float_round_mode_32 0
		.amdhsa_float_round_mode_16_64 0
		.amdhsa_float_denorm_mode_32 3
		.amdhsa_float_denorm_mode_16_64 3
		.amdhsa_dx10_clamp 1
		.amdhsa_ieee_mode 1
		.amdhsa_fp16_overflow 0
		.amdhsa_exception_fp_ieee_invalid_op 0
		.amdhsa_exception_fp_denorm_src 0
		.amdhsa_exception_fp_ieee_div_zero 0
		.amdhsa_exception_fp_ieee_overflow 0
		.amdhsa_exception_fp_ieee_underflow 0
		.amdhsa_exception_fp_ieee_inexact 0
		.amdhsa_exception_int_div_zero 0
	.end_amdhsa_kernel
	.section	.text._ZN7rocprim17ROCPRIM_400000_NS6detail17trampoline_kernelINS0_13select_configILj256ELj13ELNS0_17block_load_methodE3ELS4_3ELS4_3ELNS0_20block_scan_algorithmE0ELj4294967295EEENS1_25partition_config_selectorILNS1_17partition_subalgoE4EjNS0_10empty_typeEbEEZZNS1_14partition_implILS8_4ELb0ES6_15HIP_vector_typeIjLj2EENS0_17counting_iteratorIjlEEPS9_SG_NS0_5tupleIJPjSI_NS0_16reverse_iteratorISI_EEEEENSH_IJSG_SG_SG_EEES9_SI_JZNS1_25segmented_radix_sort_implINS0_14default_configELb1EPKfPfPKlPlN2at6native12_GLOBAL__N_18offset_tEEE10hipError_tPvRmT1_PNSt15iterator_traitsIS12_E10value_typeET2_T3_PNS13_IS18_E10value_typeET4_jRbjT5_S1E_jjP12ihipStream_tbEUljE_ZNSN_ISO_Lb1ESQ_SR_ST_SU_SY_EESZ_S10_S11_S12_S16_S17_S18_S1B_S1C_jS1D_jS1E_S1E_jjS1G_bEUljE0_EEESZ_S10_S11_S18_S1C_S1E_T6_T7_T9_mT8_S1G_bDpT10_ENKUlT_T0_E_clISt17integral_constantIbLb0EES1T_IbLb1EEEEDaS1P_S1Q_EUlS1P_E_NS1_11comp_targetILNS1_3genE9ELNS1_11target_archE1100ELNS1_3gpuE3ELNS1_3repE0EEENS1_30default_config_static_selectorELNS0_4arch9wavefront6targetE1EEEvS12_,"axG",@progbits,_ZN7rocprim17ROCPRIM_400000_NS6detail17trampoline_kernelINS0_13select_configILj256ELj13ELNS0_17block_load_methodE3ELS4_3ELS4_3ELNS0_20block_scan_algorithmE0ELj4294967295EEENS1_25partition_config_selectorILNS1_17partition_subalgoE4EjNS0_10empty_typeEbEEZZNS1_14partition_implILS8_4ELb0ES6_15HIP_vector_typeIjLj2EENS0_17counting_iteratorIjlEEPS9_SG_NS0_5tupleIJPjSI_NS0_16reverse_iteratorISI_EEEEENSH_IJSG_SG_SG_EEES9_SI_JZNS1_25segmented_radix_sort_implINS0_14default_configELb1EPKfPfPKlPlN2at6native12_GLOBAL__N_18offset_tEEE10hipError_tPvRmT1_PNSt15iterator_traitsIS12_E10value_typeET2_T3_PNS13_IS18_E10value_typeET4_jRbjT5_S1E_jjP12ihipStream_tbEUljE_ZNSN_ISO_Lb1ESQ_SR_ST_SU_SY_EESZ_S10_S11_S12_S16_S17_S18_S1B_S1C_jS1D_jS1E_S1E_jjS1G_bEUljE0_EEESZ_S10_S11_S18_S1C_S1E_T6_T7_T9_mT8_S1G_bDpT10_ENKUlT_T0_E_clISt17integral_constantIbLb0EES1T_IbLb1EEEEDaS1P_S1Q_EUlS1P_E_NS1_11comp_targetILNS1_3genE9ELNS1_11target_archE1100ELNS1_3gpuE3ELNS1_3repE0EEENS1_30default_config_static_selectorELNS0_4arch9wavefront6targetE1EEEvS12_,comdat
.Lfunc_end1291:
	.size	_ZN7rocprim17ROCPRIM_400000_NS6detail17trampoline_kernelINS0_13select_configILj256ELj13ELNS0_17block_load_methodE3ELS4_3ELS4_3ELNS0_20block_scan_algorithmE0ELj4294967295EEENS1_25partition_config_selectorILNS1_17partition_subalgoE4EjNS0_10empty_typeEbEEZZNS1_14partition_implILS8_4ELb0ES6_15HIP_vector_typeIjLj2EENS0_17counting_iteratorIjlEEPS9_SG_NS0_5tupleIJPjSI_NS0_16reverse_iteratorISI_EEEEENSH_IJSG_SG_SG_EEES9_SI_JZNS1_25segmented_radix_sort_implINS0_14default_configELb1EPKfPfPKlPlN2at6native12_GLOBAL__N_18offset_tEEE10hipError_tPvRmT1_PNSt15iterator_traitsIS12_E10value_typeET2_T3_PNS13_IS18_E10value_typeET4_jRbjT5_S1E_jjP12ihipStream_tbEUljE_ZNSN_ISO_Lb1ESQ_SR_ST_SU_SY_EESZ_S10_S11_S12_S16_S17_S18_S1B_S1C_jS1D_jS1E_S1E_jjS1G_bEUljE0_EEESZ_S10_S11_S18_S1C_S1E_T6_T7_T9_mT8_S1G_bDpT10_ENKUlT_T0_E_clISt17integral_constantIbLb0EES1T_IbLb1EEEEDaS1P_S1Q_EUlS1P_E_NS1_11comp_targetILNS1_3genE9ELNS1_11target_archE1100ELNS1_3gpuE3ELNS1_3repE0EEENS1_30default_config_static_selectorELNS0_4arch9wavefront6targetE1EEEvS12_, .Lfunc_end1291-_ZN7rocprim17ROCPRIM_400000_NS6detail17trampoline_kernelINS0_13select_configILj256ELj13ELNS0_17block_load_methodE3ELS4_3ELS4_3ELNS0_20block_scan_algorithmE0ELj4294967295EEENS1_25partition_config_selectorILNS1_17partition_subalgoE4EjNS0_10empty_typeEbEEZZNS1_14partition_implILS8_4ELb0ES6_15HIP_vector_typeIjLj2EENS0_17counting_iteratorIjlEEPS9_SG_NS0_5tupleIJPjSI_NS0_16reverse_iteratorISI_EEEEENSH_IJSG_SG_SG_EEES9_SI_JZNS1_25segmented_radix_sort_implINS0_14default_configELb1EPKfPfPKlPlN2at6native12_GLOBAL__N_18offset_tEEE10hipError_tPvRmT1_PNSt15iterator_traitsIS12_E10value_typeET2_T3_PNS13_IS18_E10value_typeET4_jRbjT5_S1E_jjP12ihipStream_tbEUljE_ZNSN_ISO_Lb1ESQ_SR_ST_SU_SY_EESZ_S10_S11_S12_S16_S17_S18_S1B_S1C_jS1D_jS1E_S1E_jjS1G_bEUljE0_EEESZ_S10_S11_S18_S1C_S1E_T6_T7_T9_mT8_S1G_bDpT10_ENKUlT_T0_E_clISt17integral_constantIbLb0EES1T_IbLb1EEEEDaS1P_S1Q_EUlS1P_E_NS1_11comp_targetILNS1_3genE9ELNS1_11target_archE1100ELNS1_3gpuE3ELNS1_3repE0EEENS1_30default_config_static_selectorELNS0_4arch9wavefront6targetE1EEEvS12_
                                        ; -- End function
	.set _ZN7rocprim17ROCPRIM_400000_NS6detail17trampoline_kernelINS0_13select_configILj256ELj13ELNS0_17block_load_methodE3ELS4_3ELS4_3ELNS0_20block_scan_algorithmE0ELj4294967295EEENS1_25partition_config_selectorILNS1_17partition_subalgoE4EjNS0_10empty_typeEbEEZZNS1_14partition_implILS8_4ELb0ES6_15HIP_vector_typeIjLj2EENS0_17counting_iteratorIjlEEPS9_SG_NS0_5tupleIJPjSI_NS0_16reverse_iteratorISI_EEEEENSH_IJSG_SG_SG_EEES9_SI_JZNS1_25segmented_radix_sort_implINS0_14default_configELb1EPKfPfPKlPlN2at6native12_GLOBAL__N_18offset_tEEE10hipError_tPvRmT1_PNSt15iterator_traitsIS12_E10value_typeET2_T3_PNS13_IS18_E10value_typeET4_jRbjT5_S1E_jjP12ihipStream_tbEUljE_ZNSN_ISO_Lb1ESQ_SR_ST_SU_SY_EESZ_S10_S11_S12_S16_S17_S18_S1B_S1C_jS1D_jS1E_S1E_jjS1G_bEUljE0_EEESZ_S10_S11_S18_S1C_S1E_T6_T7_T9_mT8_S1G_bDpT10_ENKUlT_T0_E_clISt17integral_constantIbLb0EES1T_IbLb1EEEEDaS1P_S1Q_EUlS1P_E_NS1_11comp_targetILNS1_3genE9ELNS1_11target_archE1100ELNS1_3gpuE3ELNS1_3repE0EEENS1_30default_config_static_selectorELNS0_4arch9wavefront6targetE1EEEvS12_.num_vgpr, 0
	.set _ZN7rocprim17ROCPRIM_400000_NS6detail17trampoline_kernelINS0_13select_configILj256ELj13ELNS0_17block_load_methodE3ELS4_3ELS4_3ELNS0_20block_scan_algorithmE0ELj4294967295EEENS1_25partition_config_selectorILNS1_17partition_subalgoE4EjNS0_10empty_typeEbEEZZNS1_14partition_implILS8_4ELb0ES6_15HIP_vector_typeIjLj2EENS0_17counting_iteratorIjlEEPS9_SG_NS0_5tupleIJPjSI_NS0_16reverse_iteratorISI_EEEEENSH_IJSG_SG_SG_EEES9_SI_JZNS1_25segmented_radix_sort_implINS0_14default_configELb1EPKfPfPKlPlN2at6native12_GLOBAL__N_18offset_tEEE10hipError_tPvRmT1_PNSt15iterator_traitsIS12_E10value_typeET2_T3_PNS13_IS18_E10value_typeET4_jRbjT5_S1E_jjP12ihipStream_tbEUljE_ZNSN_ISO_Lb1ESQ_SR_ST_SU_SY_EESZ_S10_S11_S12_S16_S17_S18_S1B_S1C_jS1D_jS1E_S1E_jjS1G_bEUljE0_EEESZ_S10_S11_S18_S1C_S1E_T6_T7_T9_mT8_S1G_bDpT10_ENKUlT_T0_E_clISt17integral_constantIbLb0EES1T_IbLb1EEEEDaS1P_S1Q_EUlS1P_E_NS1_11comp_targetILNS1_3genE9ELNS1_11target_archE1100ELNS1_3gpuE3ELNS1_3repE0EEENS1_30default_config_static_selectorELNS0_4arch9wavefront6targetE1EEEvS12_.num_agpr, 0
	.set _ZN7rocprim17ROCPRIM_400000_NS6detail17trampoline_kernelINS0_13select_configILj256ELj13ELNS0_17block_load_methodE3ELS4_3ELS4_3ELNS0_20block_scan_algorithmE0ELj4294967295EEENS1_25partition_config_selectorILNS1_17partition_subalgoE4EjNS0_10empty_typeEbEEZZNS1_14partition_implILS8_4ELb0ES6_15HIP_vector_typeIjLj2EENS0_17counting_iteratorIjlEEPS9_SG_NS0_5tupleIJPjSI_NS0_16reverse_iteratorISI_EEEEENSH_IJSG_SG_SG_EEES9_SI_JZNS1_25segmented_radix_sort_implINS0_14default_configELb1EPKfPfPKlPlN2at6native12_GLOBAL__N_18offset_tEEE10hipError_tPvRmT1_PNSt15iterator_traitsIS12_E10value_typeET2_T3_PNS13_IS18_E10value_typeET4_jRbjT5_S1E_jjP12ihipStream_tbEUljE_ZNSN_ISO_Lb1ESQ_SR_ST_SU_SY_EESZ_S10_S11_S12_S16_S17_S18_S1B_S1C_jS1D_jS1E_S1E_jjS1G_bEUljE0_EEESZ_S10_S11_S18_S1C_S1E_T6_T7_T9_mT8_S1G_bDpT10_ENKUlT_T0_E_clISt17integral_constantIbLb0EES1T_IbLb1EEEEDaS1P_S1Q_EUlS1P_E_NS1_11comp_targetILNS1_3genE9ELNS1_11target_archE1100ELNS1_3gpuE3ELNS1_3repE0EEENS1_30default_config_static_selectorELNS0_4arch9wavefront6targetE1EEEvS12_.numbered_sgpr, 0
	.set _ZN7rocprim17ROCPRIM_400000_NS6detail17trampoline_kernelINS0_13select_configILj256ELj13ELNS0_17block_load_methodE3ELS4_3ELS4_3ELNS0_20block_scan_algorithmE0ELj4294967295EEENS1_25partition_config_selectorILNS1_17partition_subalgoE4EjNS0_10empty_typeEbEEZZNS1_14partition_implILS8_4ELb0ES6_15HIP_vector_typeIjLj2EENS0_17counting_iteratorIjlEEPS9_SG_NS0_5tupleIJPjSI_NS0_16reverse_iteratorISI_EEEEENSH_IJSG_SG_SG_EEES9_SI_JZNS1_25segmented_radix_sort_implINS0_14default_configELb1EPKfPfPKlPlN2at6native12_GLOBAL__N_18offset_tEEE10hipError_tPvRmT1_PNSt15iterator_traitsIS12_E10value_typeET2_T3_PNS13_IS18_E10value_typeET4_jRbjT5_S1E_jjP12ihipStream_tbEUljE_ZNSN_ISO_Lb1ESQ_SR_ST_SU_SY_EESZ_S10_S11_S12_S16_S17_S18_S1B_S1C_jS1D_jS1E_S1E_jjS1G_bEUljE0_EEESZ_S10_S11_S18_S1C_S1E_T6_T7_T9_mT8_S1G_bDpT10_ENKUlT_T0_E_clISt17integral_constantIbLb0EES1T_IbLb1EEEEDaS1P_S1Q_EUlS1P_E_NS1_11comp_targetILNS1_3genE9ELNS1_11target_archE1100ELNS1_3gpuE3ELNS1_3repE0EEENS1_30default_config_static_selectorELNS0_4arch9wavefront6targetE1EEEvS12_.num_named_barrier, 0
	.set _ZN7rocprim17ROCPRIM_400000_NS6detail17trampoline_kernelINS0_13select_configILj256ELj13ELNS0_17block_load_methodE3ELS4_3ELS4_3ELNS0_20block_scan_algorithmE0ELj4294967295EEENS1_25partition_config_selectorILNS1_17partition_subalgoE4EjNS0_10empty_typeEbEEZZNS1_14partition_implILS8_4ELb0ES6_15HIP_vector_typeIjLj2EENS0_17counting_iteratorIjlEEPS9_SG_NS0_5tupleIJPjSI_NS0_16reverse_iteratorISI_EEEEENSH_IJSG_SG_SG_EEES9_SI_JZNS1_25segmented_radix_sort_implINS0_14default_configELb1EPKfPfPKlPlN2at6native12_GLOBAL__N_18offset_tEEE10hipError_tPvRmT1_PNSt15iterator_traitsIS12_E10value_typeET2_T3_PNS13_IS18_E10value_typeET4_jRbjT5_S1E_jjP12ihipStream_tbEUljE_ZNSN_ISO_Lb1ESQ_SR_ST_SU_SY_EESZ_S10_S11_S12_S16_S17_S18_S1B_S1C_jS1D_jS1E_S1E_jjS1G_bEUljE0_EEESZ_S10_S11_S18_S1C_S1E_T6_T7_T9_mT8_S1G_bDpT10_ENKUlT_T0_E_clISt17integral_constantIbLb0EES1T_IbLb1EEEEDaS1P_S1Q_EUlS1P_E_NS1_11comp_targetILNS1_3genE9ELNS1_11target_archE1100ELNS1_3gpuE3ELNS1_3repE0EEENS1_30default_config_static_selectorELNS0_4arch9wavefront6targetE1EEEvS12_.private_seg_size, 0
	.set _ZN7rocprim17ROCPRIM_400000_NS6detail17trampoline_kernelINS0_13select_configILj256ELj13ELNS0_17block_load_methodE3ELS4_3ELS4_3ELNS0_20block_scan_algorithmE0ELj4294967295EEENS1_25partition_config_selectorILNS1_17partition_subalgoE4EjNS0_10empty_typeEbEEZZNS1_14partition_implILS8_4ELb0ES6_15HIP_vector_typeIjLj2EENS0_17counting_iteratorIjlEEPS9_SG_NS0_5tupleIJPjSI_NS0_16reverse_iteratorISI_EEEEENSH_IJSG_SG_SG_EEES9_SI_JZNS1_25segmented_radix_sort_implINS0_14default_configELb1EPKfPfPKlPlN2at6native12_GLOBAL__N_18offset_tEEE10hipError_tPvRmT1_PNSt15iterator_traitsIS12_E10value_typeET2_T3_PNS13_IS18_E10value_typeET4_jRbjT5_S1E_jjP12ihipStream_tbEUljE_ZNSN_ISO_Lb1ESQ_SR_ST_SU_SY_EESZ_S10_S11_S12_S16_S17_S18_S1B_S1C_jS1D_jS1E_S1E_jjS1G_bEUljE0_EEESZ_S10_S11_S18_S1C_S1E_T6_T7_T9_mT8_S1G_bDpT10_ENKUlT_T0_E_clISt17integral_constantIbLb0EES1T_IbLb1EEEEDaS1P_S1Q_EUlS1P_E_NS1_11comp_targetILNS1_3genE9ELNS1_11target_archE1100ELNS1_3gpuE3ELNS1_3repE0EEENS1_30default_config_static_selectorELNS0_4arch9wavefront6targetE1EEEvS12_.uses_vcc, 0
	.set _ZN7rocprim17ROCPRIM_400000_NS6detail17trampoline_kernelINS0_13select_configILj256ELj13ELNS0_17block_load_methodE3ELS4_3ELS4_3ELNS0_20block_scan_algorithmE0ELj4294967295EEENS1_25partition_config_selectorILNS1_17partition_subalgoE4EjNS0_10empty_typeEbEEZZNS1_14partition_implILS8_4ELb0ES6_15HIP_vector_typeIjLj2EENS0_17counting_iteratorIjlEEPS9_SG_NS0_5tupleIJPjSI_NS0_16reverse_iteratorISI_EEEEENSH_IJSG_SG_SG_EEES9_SI_JZNS1_25segmented_radix_sort_implINS0_14default_configELb1EPKfPfPKlPlN2at6native12_GLOBAL__N_18offset_tEEE10hipError_tPvRmT1_PNSt15iterator_traitsIS12_E10value_typeET2_T3_PNS13_IS18_E10value_typeET4_jRbjT5_S1E_jjP12ihipStream_tbEUljE_ZNSN_ISO_Lb1ESQ_SR_ST_SU_SY_EESZ_S10_S11_S12_S16_S17_S18_S1B_S1C_jS1D_jS1E_S1E_jjS1G_bEUljE0_EEESZ_S10_S11_S18_S1C_S1E_T6_T7_T9_mT8_S1G_bDpT10_ENKUlT_T0_E_clISt17integral_constantIbLb0EES1T_IbLb1EEEEDaS1P_S1Q_EUlS1P_E_NS1_11comp_targetILNS1_3genE9ELNS1_11target_archE1100ELNS1_3gpuE3ELNS1_3repE0EEENS1_30default_config_static_selectorELNS0_4arch9wavefront6targetE1EEEvS12_.uses_flat_scratch, 0
	.set _ZN7rocprim17ROCPRIM_400000_NS6detail17trampoline_kernelINS0_13select_configILj256ELj13ELNS0_17block_load_methodE3ELS4_3ELS4_3ELNS0_20block_scan_algorithmE0ELj4294967295EEENS1_25partition_config_selectorILNS1_17partition_subalgoE4EjNS0_10empty_typeEbEEZZNS1_14partition_implILS8_4ELb0ES6_15HIP_vector_typeIjLj2EENS0_17counting_iteratorIjlEEPS9_SG_NS0_5tupleIJPjSI_NS0_16reverse_iteratorISI_EEEEENSH_IJSG_SG_SG_EEES9_SI_JZNS1_25segmented_radix_sort_implINS0_14default_configELb1EPKfPfPKlPlN2at6native12_GLOBAL__N_18offset_tEEE10hipError_tPvRmT1_PNSt15iterator_traitsIS12_E10value_typeET2_T3_PNS13_IS18_E10value_typeET4_jRbjT5_S1E_jjP12ihipStream_tbEUljE_ZNSN_ISO_Lb1ESQ_SR_ST_SU_SY_EESZ_S10_S11_S12_S16_S17_S18_S1B_S1C_jS1D_jS1E_S1E_jjS1G_bEUljE0_EEESZ_S10_S11_S18_S1C_S1E_T6_T7_T9_mT8_S1G_bDpT10_ENKUlT_T0_E_clISt17integral_constantIbLb0EES1T_IbLb1EEEEDaS1P_S1Q_EUlS1P_E_NS1_11comp_targetILNS1_3genE9ELNS1_11target_archE1100ELNS1_3gpuE3ELNS1_3repE0EEENS1_30default_config_static_selectorELNS0_4arch9wavefront6targetE1EEEvS12_.has_dyn_sized_stack, 0
	.set _ZN7rocprim17ROCPRIM_400000_NS6detail17trampoline_kernelINS0_13select_configILj256ELj13ELNS0_17block_load_methodE3ELS4_3ELS4_3ELNS0_20block_scan_algorithmE0ELj4294967295EEENS1_25partition_config_selectorILNS1_17partition_subalgoE4EjNS0_10empty_typeEbEEZZNS1_14partition_implILS8_4ELb0ES6_15HIP_vector_typeIjLj2EENS0_17counting_iteratorIjlEEPS9_SG_NS0_5tupleIJPjSI_NS0_16reverse_iteratorISI_EEEEENSH_IJSG_SG_SG_EEES9_SI_JZNS1_25segmented_radix_sort_implINS0_14default_configELb1EPKfPfPKlPlN2at6native12_GLOBAL__N_18offset_tEEE10hipError_tPvRmT1_PNSt15iterator_traitsIS12_E10value_typeET2_T3_PNS13_IS18_E10value_typeET4_jRbjT5_S1E_jjP12ihipStream_tbEUljE_ZNSN_ISO_Lb1ESQ_SR_ST_SU_SY_EESZ_S10_S11_S12_S16_S17_S18_S1B_S1C_jS1D_jS1E_S1E_jjS1G_bEUljE0_EEESZ_S10_S11_S18_S1C_S1E_T6_T7_T9_mT8_S1G_bDpT10_ENKUlT_T0_E_clISt17integral_constantIbLb0EES1T_IbLb1EEEEDaS1P_S1Q_EUlS1P_E_NS1_11comp_targetILNS1_3genE9ELNS1_11target_archE1100ELNS1_3gpuE3ELNS1_3repE0EEENS1_30default_config_static_selectorELNS0_4arch9wavefront6targetE1EEEvS12_.has_recursion, 0
	.set _ZN7rocprim17ROCPRIM_400000_NS6detail17trampoline_kernelINS0_13select_configILj256ELj13ELNS0_17block_load_methodE3ELS4_3ELS4_3ELNS0_20block_scan_algorithmE0ELj4294967295EEENS1_25partition_config_selectorILNS1_17partition_subalgoE4EjNS0_10empty_typeEbEEZZNS1_14partition_implILS8_4ELb0ES6_15HIP_vector_typeIjLj2EENS0_17counting_iteratorIjlEEPS9_SG_NS0_5tupleIJPjSI_NS0_16reverse_iteratorISI_EEEEENSH_IJSG_SG_SG_EEES9_SI_JZNS1_25segmented_radix_sort_implINS0_14default_configELb1EPKfPfPKlPlN2at6native12_GLOBAL__N_18offset_tEEE10hipError_tPvRmT1_PNSt15iterator_traitsIS12_E10value_typeET2_T3_PNS13_IS18_E10value_typeET4_jRbjT5_S1E_jjP12ihipStream_tbEUljE_ZNSN_ISO_Lb1ESQ_SR_ST_SU_SY_EESZ_S10_S11_S12_S16_S17_S18_S1B_S1C_jS1D_jS1E_S1E_jjS1G_bEUljE0_EEESZ_S10_S11_S18_S1C_S1E_T6_T7_T9_mT8_S1G_bDpT10_ENKUlT_T0_E_clISt17integral_constantIbLb0EES1T_IbLb1EEEEDaS1P_S1Q_EUlS1P_E_NS1_11comp_targetILNS1_3genE9ELNS1_11target_archE1100ELNS1_3gpuE3ELNS1_3repE0EEENS1_30default_config_static_selectorELNS0_4arch9wavefront6targetE1EEEvS12_.has_indirect_call, 0
	.section	.AMDGPU.csdata,"",@progbits
; Kernel info:
; codeLenInByte = 0
; TotalNumSgprs: 4
; NumVgprs: 0
; ScratchSize: 0
; MemoryBound: 0
; FloatMode: 240
; IeeeMode: 1
; LDSByteSize: 0 bytes/workgroup (compile time only)
; SGPRBlocks: 0
; VGPRBlocks: 0
; NumSGPRsForWavesPerEU: 4
; NumVGPRsForWavesPerEU: 1
; Occupancy: 10
; WaveLimiterHint : 0
; COMPUTE_PGM_RSRC2:SCRATCH_EN: 0
; COMPUTE_PGM_RSRC2:USER_SGPR: 6
; COMPUTE_PGM_RSRC2:TRAP_HANDLER: 0
; COMPUTE_PGM_RSRC2:TGID_X_EN: 1
; COMPUTE_PGM_RSRC2:TGID_Y_EN: 0
; COMPUTE_PGM_RSRC2:TGID_Z_EN: 0
; COMPUTE_PGM_RSRC2:TIDIG_COMP_CNT: 0
	.section	.text._ZN7rocprim17ROCPRIM_400000_NS6detail17trampoline_kernelINS0_13select_configILj256ELj13ELNS0_17block_load_methodE3ELS4_3ELS4_3ELNS0_20block_scan_algorithmE0ELj4294967295EEENS1_25partition_config_selectorILNS1_17partition_subalgoE4EjNS0_10empty_typeEbEEZZNS1_14partition_implILS8_4ELb0ES6_15HIP_vector_typeIjLj2EENS0_17counting_iteratorIjlEEPS9_SG_NS0_5tupleIJPjSI_NS0_16reverse_iteratorISI_EEEEENSH_IJSG_SG_SG_EEES9_SI_JZNS1_25segmented_radix_sort_implINS0_14default_configELb1EPKfPfPKlPlN2at6native12_GLOBAL__N_18offset_tEEE10hipError_tPvRmT1_PNSt15iterator_traitsIS12_E10value_typeET2_T3_PNS13_IS18_E10value_typeET4_jRbjT5_S1E_jjP12ihipStream_tbEUljE_ZNSN_ISO_Lb1ESQ_SR_ST_SU_SY_EESZ_S10_S11_S12_S16_S17_S18_S1B_S1C_jS1D_jS1E_S1E_jjS1G_bEUljE0_EEESZ_S10_S11_S18_S1C_S1E_T6_T7_T9_mT8_S1G_bDpT10_ENKUlT_T0_E_clISt17integral_constantIbLb0EES1T_IbLb1EEEEDaS1P_S1Q_EUlS1P_E_NS1_11comp_targetILNS1_3genE8ELNS1_11target_archE1030ELNS1_3gpuE2ELNS1_3repE0EEENS1_30default_config_static_selectorELNS0_4arch9wavefront6targetE1EEEvS12_,"axG",@progbits,_ZN7rocprim17ROCPRIM_400000_NS6detail17trampoline_kernelINS0_13select_configILj256ELj13ELNS0_17block_load_methodE3ELS4_3ELS4_3ELNS0_20block_scan_algorithmE0ELj4294967295EEENS1_25partition_config_selectorILNS1_17partition_subalgoE4EjNS0_10empty_typeEbEEZZNS1_14partition_implILS8_4ELb0ES6_15HIP_vector_typeIjLj2EENS0_17counting_iteratorIjlEEPS9_SG_NS0_5tupleIJPjSI_NS0_16reverse_iteratorISI_EEEEENSH_IJSG_SG_SG_EEES9_SI_JZNS1_25segmented_radix_sort_implINS0_14default_configELb1EPKfPfPKlPlN2at6native12_GLOBAL__N_18offset_tEEE10hipError_tPvRmT1_PNSt15iterator_traitsIS12_E10value_typeET2_T3_PNS13_IS18_E10value_typeET4_jRbjT5_S1E_jjP12ihipStream_tbEUljE_ZNSN_ISO_Lb1ESQ_SR_ST_SU_SY_EESZ_S10_S11_S12_S16_S17_S18_S1B_S1C_jS1D_jS1E_S1E_jjS1G_bEUljE0_EEESZ_S10_S11_S18_S1C_S1E_T6_T7_T9_mT8_S1G_bDpT10_ENKUlT_T0_E_clISt17integral_constantIbLb0EES1T_IbLb1EEEEDaS1P_S1Q_EUlS1P_E_NS1_11comp_targetILNS1_3genE8ELNS1_11target_archE1030ELNS1_3gpuE2ELNS1_3repE0EEENS1_30default_config_static_selectorELNS0_4arch9wavefront6targetE1EEEvS12_,comdat
	.globl	_ZN7rocprim17ROCPRIM_400000_NS6detail17trampoline_kernelINS0_13select_configILj256ELj13ELNS0_17block_load_methodE3ELS4_3ELS4_3ELNS0_20block_scan_algorithmE0ELj4294967295EEENS1_25partition_config_selectorILNS1_17partition_subalgoE4EjNS0_10empty_typeEbEEZZNS1_14partition_implILS8_4ELb0ES6_15HIP_vector_typeIjLj2EENS0_17counting_iteratorIjlEEPS9_SG_NS0_5tupleIJPjSI_NS0_16reverse_iteratorISI_EEEEENSH_IJSG_SG_SG_EEES9_SI_JZNS1_25segmented_radix_sort_implINS0_14default_configELb1EPKfPfPKlPlN2at6native12_GLOBAL__N_18offset_tEEE10hipError_tPvRmT1_PNSt15iterator_traitsIS12_E10value_typeET2_T3_PNS13_IS18_E10value_typeET4_jRbjT5_S1E_jjP12ihipStream_tbEUljE_ZNSN_ISO_Lb1ESQ_SR_ST_SU_SY_EESZ_S10_S11_S12_S16_S17_S18_S1B_S1C_jS1D_jS1E_S1E_jjS1G_bEUljE0_EEESZ_S10_S11_S18_S1C_S1E_T6_T7_T9_mT8_S1G_bDpT10_ENKUlT_T0_E_clISt17integral_constantIbLb0EES1T_IbLb1EEEEDaS1P_S1Q_EUlS1P_E_NS1_11comp_targetILNS1_3genE8ELNS1_11target_archE1030ELNS1_3gpuE2ELNS1_3repE0EEENS1_30default_config_static_selectorELNS0_4arch9wavefront6targetE1EEEvS12_ ; -- Begin function _ZN7rocprim17ROCPRIM_400000_NS6detail17trampoline_kernelINS0_13select_configILj256ELj13ELNS0_17block_load_methodE3ELS4_3ELS4_3ELNS0_20block_scan_algorithmE0ELj4294967295EEENS1_25partition_config_selectorILNS1_17partition_subalgoE4EjNS0_10empty_typeEbEEZZNS1_14partition_implILS8_4ELb0ES6_15HIP_vector_typeIjLj2EENS0_17counting_iteratorIjlEEPS9_SG_NS0_5tupleIJPjSI_NS0_16reverse_iteratorISI_EEEEENSH_IJSG_SG_SG_EEES9_SI_JZNS1_25segmented_radix_sort_implINS0_14default_configELb1EPKfPfPKlPlN2at6native12_GLOBAL__N_18offset_tEEE10hipError_tPvRmT1_PNSt15iterator_traitsIS12_E10value_typeET2_T3_PNS13_IS18_E10value_typeET4_jRbjT5_S1E_jjP12ihipStream_tbEUljE_ZNSN_ISO_Lb1ESQ_SR_ST_SU_SY_EESZ_S10_S11_S12_S16_S17_S18_S1B_S1C_jS1D_jS1E_S1E_jjS1G_bEUljE0_EEESZ_S10_S11_S18_S1C_S1E_T6_T7_T9_mT8_S1G_bDpT10_ENKUlT_T0_E_clISt17integral_constantIbLb0EES1T_IbLb1EEEEDaS1P_S1Q_EUlS1P_E_NS1_11comp_targetILNS1_3genE8ELNS1_11target_archE1030ELNS1_3gpuE2ELNS1_3repE0EEENS1_30default_config_static_selectorELNS0_4arch9wavefront6targetE1EEEvS12_
	.p2align	8
	.type	_ZN7rocprim17ROCPRIM_400000_NS6detail17trampoline_kernelINS0_13select_configILj256ELj13ELNS0_17block_load_methodE3ELS4_3ELS4_3ELNS0_20block_scan_algorithmE0ELj4294967295EEENS1_25partition_config_selectorILNS1_17partition_subalgoE4EjNS0_10empty_typeEbEEZZNS1_14partition_implILS8_4ELb0ES6_15HIP_vector_typeIjLj2EENS0_17counting_iteratorIjlEEPS9_SG_NS0_5tupleIJPjSI_NS0_16reverse_iteratorISI_EEEEENSH_IJSG_SG_SG_EEES9_SI_JZNS1_25segmented_radix_sort_implINS0_14default_configELb1EPKfPfPKlPlN2at6native12_GLOBAL__N_18offset_tEEE10hipError_tPvRmT1_PNSt15iterator_traitsIS12_E10value_typeET2_T3_PNS13_IS18_E10value_typeET4_jRbjT5_S1E_jjP12ihipStream_tbEUljE_ZNSN_ISO_Lb1ESQ_SR_ST_SU_SY_EESZ_S10_S11_S12_S16_S17_S18_S1B_S1C_jS1D_jS1E_S1E_jjS1G_bEUljE0_EEESZ_S10_S11_S18_S1C_S1E_T6_T7_T9_mT8_S1G_bDpT10_ENKUlT_T0_E_clISt17integral_constantIbLb0EES1T_IbLb1EEEEDaS1P_S1Q_EUlS1P_E_NS1_11comp_targetILNS1_3genE8ELNS1_11target_archE1030ELNS1_3gpuE2ELNS1_3repE0EEENS1_30default_config_static_selectorELNS0_4arch9wavefront6targetE1EEEvS12_,@function
_ZN7rocprim17ROCPRIM_400000_NS6detail17trampoline_kernelINS0_13select_configILj256ELj13ELNS0_17block_load_methodE3ELS4_3ELS4_3ELNS0_20block_scan_algorithmE0ELj4294967295EEENS1_25partition_config_selectorILNS1_17partition_subalgoE4EjNS0_10empty_typeEbEEZZNS1_14partition_implILS8_4ELb0ES6_15HIP_vector_typeIjLj2EENS0_17counting_iteratorIjlEEPS9_SG_NS0_5tupleIJPjSI_NS0_16reverse_iteratorISI_EEEEENSH_IJSG_SG_SG_EEES9_SI_JZNS1_25segmented_radix_sort_implINS0_14default_configELb1EPKfPfPKlPlN2at6native12_GLOBAL__N_18offset_tEEE10hipError_tPvRmT1_PNSt15iterator_traitsIS12_E10value_typeET2_T3_PNS13_IS18_E10value_typeET4_jRbjT5_S1E_jjP12ihipStream_tbEUljE_ZNSN_ISO_Lb1ESQ_SR_ST_SU_SY_EESZ_S10_S11_S12_S16_S17_S18_S1B_S1C_jS1D_jS1E_S1E_jjS1G_bEUljE0_EEESZ_S10_S11_S18_S1C_S1E_T6_T7_T9_mT8_S1G_bDpT10_ENKUlT_T0_E_clISt17integral_constantIbLb0EES1T_IbLb1EEEEDaS1P_S1Q_EUlS1P_E_NS1_11comp_targetILNS1_3genE8ELNS1_11target_archE1030ELNS1_3gpuE2ELNS1_3repE0EEENS1_30default_config_static_selectorELNS0_4arch9wavefront6targetE1EEEvS12_: ; @_ZN7rocprim17ROCPRIM_400000_NS6detail17trampoline_kernelINS0_13select_configILj256ELj13ELNS0_17block_load_methodE3ELS4_3ELS4_3ELNS0_20block_scan_algorithmE0ELj4294967295EEENS1_25partition_config_selectorILNS1_17partition_subalgoE4EjNS0_10empty_typeEbEEZZNS1_14partition_implILS8_4ELb0ES6_15HIP_vector_typeIjLj2EENS0_17counting_iteratorIjlEEPS9_SG_NS0_5tupleIJPjSI_NS0_16reverse_iteratorISI_EEEEENSH_IJSG_SG_SG_EEES9_SI_JZNS1_25segmented_radix_sort_implINS0_14default_configELb1EPKfPfPKlPlN2at6native12_GLOBAL__N_18offset_tEEE10hipError_tPvRmT1_PNSt15iterator_traitsIS12_E10value_typeET2_T3_PNS13_IS18_E10value_typeET4_jRbjT5_S1E_jjP12ihipStream_tbEUljE_ZNSN_ISO_Lb1ESQ_SR_ST_SU_SY_EESZ_S10_S11_S12_S16_S17_S18_S1B_S1C_jS1D_jS1E_S1E_jjS1G_bEUljE0_EEESZ_S10_S11_S18_S1C_S1E_T6_T7_T9_mT8_S1G_bDpT10_ENKUlT_T0_E_clISt17integral_constantIbLb0EES1T_IbLb1EEEEDaS1P_S1Q_EUlS1P_E_NS1_11comp_targetILNS1_3genE8ELNS1_11target_archE1030ELNS1_3gpuE2ELNS1_3repE0EEENS1_30default_config_static_selectorELNS0_4arch9wavefront6targetE1EEEvS12_
; %bb.0:
	.section	.rodata,"a",@progbits
	.p2align	6, 0x0
	.amdhsa_kernel _ZN7rocprim17ROCPRIM_400000_NS6detail17trampoline_kernelINS0_13select_configILj256ELj13ELNS0_17block_load_methodE3ELS4_3ELS4_3ELNS0_20block_scan_algorithmE0ELj4294967295EEENS1_25partition_config_selectorILNS1_17partition_subalgoE4EjNS0_10empty_typeEbEEZZNS1_14partition_implILS8_4ELb0ES6_15HIP_vector_typeIjLj2EENS0_17counting_iteratorIjlEEPS9_SG_NS0_5tupleIJPjSI_NS0_16reverse_iteratorISI_EEEEENSH_IJSG_SG_SG_EEES9_SI_JZNS1_25segmented_radix_sort_implINS0_14default_configELb1EPKfPfPKlPlN2at6native12_GLOBAL__N_18offset_tEEE10hipError_tPvRmT1_PNSt15iterator_traitsIS12_E10value_typeET2_T3_PNS13_IS18_E10value_typeET4_jRbjT5_S1E_jjP12ihipStream_tbEUljE_ZNSN_ISO_Lb1ESQ_SR_ST_SU_SY_EESZ_S10_S11_S12_S16_S17_S18_S1B_S1C_jS1D_jS1E_S1E_jjS1G_bEUljE0_EEESZ_S10_S11_S18_S1C_S1E_T6_T7_T9_mT8_S1G_bDpT10_ENKUlT_T0_E_clISt17integral_constantIbLb0EES1T_IbLb1EEEEDaS1P_S1Q_EUlS1P_E_NS1_11comp_targetILNS1_3genE8ELNS1_11target_archE1030ELNS1_3gpuE2ELNS1_3repE0EEENS1_30default_config_static_selectorELNS0_4arch9wavefront6targetE1EEEvS12_
		.amdhsa_group_segment_fixed_size 0
		.amdhsa_private_segment_fixed_size 0
		.amdhsa_kernarg_size 184
		.amdhsa_user_sgpr_count 6
		.amdhsa_user_sgpr_private_segment_buffer 1
		.amdhsa_user_sgpr_dispatch_ptr 0
		.amdhsa_user_sgpr_queue_ptr 0
		.amdhsa_user_sgpr_kernarg_segment_ptr 1
		.amdhsa_user_sgpr_dispatch_id 0
		.amdhsa_user_sgpr_flat_scratch_init 0
		.amdhsa_user_sgpr_private_segment_size 0
		.amdhsa_uses_dynamic_stack 0
		.amdhsa_system_sgpr_private_segment_wavefront_offset 0
		.amdhsa_system_sgpr_workgroup_id_x 1
		.amdhsa_system_sgpr_workgroup_id_y 0
		.amdhsa_system_sgpr_workgroup_id_z 0
		.amdhsa_system_sgpr_workgroup_info 0
		.amdhsa_system_vgpr_workitem_id 0
		.amdhsa_next_free_vgpr 1
		.amdhsa_next_free_sgpr 0
		.amdhsa_reserve_vcc 0
		.amdhsa_reserve_flat_scratch 0
		.amdhsa_float_round_mode_32 0
		.amdhsa_float_round_mode_16_64 0
		.amdhsa_float_denorm_mode_32 3
		.amdhsa_float_denorm_mode_16_64 3
		.amdhsa_dx10_clamp 1
		.amdhsa_ieee_mode 1
		.amdhsa_fp16_overflow 0
		.amdhsa_exception_fp_ieee_invalid_op 0
		.amdhsa_exception_fp_denorm_src 0
		.amdhsa_exception_fp_ieee_div_zero 0
		.amdhsa_exception_fp_ieee_overflow 0
		.amdhsa_exception_fp_ieee_underflow 0
		.amdhsa_exception_fp_ieee_inexact 0
		.amdhsa_exception_int_div_zero 0
	.end_amdhsa_kernel
	.section	.text._ZN7rocprim17ROCPRIM_400000_NS6detail17trampoline_kernelINS0_13select_configILj256ELj13ELNS0_17block_load_methodE3ELS4_3ELS4_3ELNS0_20block_scan_algorithmE0ELj4294967295EEENS1_25partition_config_selectorILNS1_17partition_subalgoE4EjNS0_10empty_typeEbEEZZNS1_14partition_implILS8_4ELb0ES6_15HIP_vector_typeIjLj2EENS0_17counting_iteratorIjlEEPS9_SG_NS0_5tupleIJPjSI_NS0_16reverse_iteratorISI_EEEEENSH_IJSG_SG_SG_EEES9_SI_JZNS1_25segmented_radix_sort_implINS0_14default_configELb1EPKfPfPKlPlN2at6native12_GLOBAL__N_18offset_tEEE10hipError_tPvRmT1_PNSt15iterator_traitsIS12_E10value_typeET2_T3_PNS13_IS18_E10value_typeET4_jRbjT5_S1E_jjP12ihipStream_tbEUljE_ZNSN_ISO_Lb1ESQ_SR_ST_SU_SY_EESZ_S10_S11_S12_S16_S17_S18_S1B_S1C_jS1D_jS1E_S1E_jjS1G_bEUljE0_EEESZ_S10_S11_S18_S1C_S1E_T6_T7_T9_mT8_S1G_bDpT10_ENKUlT_T0_E_clISt17integral_constantIbLb0EES1T_IbLb1EEEEDaS1P_S1Q_EUlS1P_E_NS1_11comp_targetILNS1_3genE8ELNS1_11target_archE1030ELNS1_3gpuE2ELNS1_3repE0EEENS1_30default_config_static_selectorELNS0_4arch9wavefront6targetE1EEEvS12_,"axG",@progbits,_ZN7rocprim17ROCPRIM_400000_NS6detail17trampoline_kernelINS0_13select_configILj256ELj13ELNS0_17block_load_methodE3ELS4_3ELS4_3ELNS0_20block_scan_algorithmE0ELj4294967295EEENS1_25partition_config_selectorILNS1_17partition_subalgoE4EjNS0_10empty_typeEbEEZZNS1_14partition_implILS8_4ELb0ES6_15HIP_vector_typeIjLj2EENS0_17counting_iteratorIjlEEPS9_SG_NS0_5tupleIJPjSI_NS0_16reverse_iteratorISI_EEEEENSH_IJSG_SG_SG_EEES9_SI_JZNS1_25segmented_radix_sort_implINS0_14default_configELb1EPKfPfPKlPlN2at6native12_GLOBAL__N_18offset_tEEE10hipError_tPvRmT1_PNSt15iterator_traitsIS12_E10value_typeET2_T3_PNS13_IS18_E10value_typeET4_jRbjT5_S1E_jjP12ihipStream_tbEUljE_ZNSN_ISO_Lb1ESQ_SR_ST_SU_SY_EESZ_S10_S11_S12_S16_S17_S18_S1B_S1C_jS1D_jS1E_S1E_jjS1G_bEUljE0_EEESZ_S10_S11_S18_S1C_S1E_T6_T7_T9_mT8_S1G_bDpT10_ENKUlT_T0_E_clISt17integral_constantIbLb0EES1T_IbLb1EEEEDaS1P_S1Q_EUlS1P_E_NS1_11comp_targetILNS1_3genE8ELNS1_11target_archE1030ELNS1_3gpuE2ELNS1_3repE0EEENS1_30default_config_static_selectorELNS0_4arch9wavefront6targetE1EEEvS12_,comdat
.Lfunc_end1292:
	.size	_ZN7rocprim17ROCPRIM_400000_NS6detail17trampoline_kernelINS0_13select_configILj256ELj13ELNS0_17block_load_methodE3ELS4_3ELS4_3ELNS0_20block_scan_algorithmE0ELj4294967295EEENS1_25partition_config_selectorILNS1_17partition_subalgoE4EjNS0_10empty_typeEbEEZZNS1_14partition_implILS8_4ELb0ES6_15HIP_vector_typeIjLj2EENS0_17counting_iteratorIjlEEPS9_SG_NS0_5tupleIJPjSI_NS0_16reverse_iteratorISI_EEEEENSH_IJSG_SG_SG_EEES9_SI_JZNS1_25segmented_radix_sort_implINS0_14default_configELb1EPKfPfPKlPlN2at6native12_GLOBAL__N_18offset_tEEE10hipError_tPvRmT1_PNSt15iterator_traitsIS12_E10value_typeET2_T3_PNS13_IS18_E10value_typeET4_jRbjT5_S1E_jjP12ihipStream_tbEUljE_ZNSN_ISO_Lb1ESQ_SR_ST_SU_SY_EESZ_S10_S11_S12_S16_S17_S18_S1B_S1C_jS1D_jS1E_S1E_jjS1G_bEUljE0_EEESZ_S10_S11_S18_S1C_S1E_T6_T7_T9_mT8_S1G_bDpT10_ENKUlT_T0_E_clISt17integral_constantIbLb0EES1T_IbLb1EEEEDaS1P_S1Q_EUlS1P_E_NS1_11comp_targetILNS1_3genE8ELNS1_11target_archE1030ELNS1_3gpuE2ELNS1_3repE0EEENS1_30default_config_static_selectorELNS0_4arch9wavefront6targetE1EEEvS12_, .Lfunc_end1292-_ZN7rocprim17ROCPRIM_400000_NS6detail17trampoline_kernelINS0_13select_configILj256ELj13ELNS0_17block_load_methodE3ELS4_3ELS4_3ELNS0_20block_scan_algorithmE0ELj4294967295EEENS1_25partition_config_selectorILNS1_17partition_subalgoE4EjNS0_10empty_typeEbEEZZNS1_14partition_implILS8_4ELb0ES6_15HIP_vector_typeIjLj2EENS0_17counting_iteratorIjlEEPS9_SG_NS0_5tupleIJPjSI_NS0_16reverse_iteratorISI_EEEEENSH_IJSG_SG_SG_EEES9_SI_JZNS1_25segmented_radix_sort_implINS0_14default_configELb1EPKfPfPKlPlN2at6native12_GLOBAL__N_18offset_tEEE10hipError_tPvRmT1_PNSt15iterator_traitsIS12_E10value_typeET2_T3_PNS13_IS18_E10value_typeET4_jRbjT5_S1E_jjP12ihipStream_tbEUljE_ZNSN_ISO_Lb1ESQ_SR_ST_SU_SY_EESZ_S10_S11_S12_S16_S17_S18_S1B_S1C_jS1D_jS1E_S1E_jjS1G_bEUljE0_EEESZ_S10_S11_S18_S1C_S1E_T6_T7_T9_mT8_S1G_bDpT10_ENKUlT_T0_E_clISt17integral_constantIbLb0EES1T_IbLb1EEEEDaS1P_S1Q_EUlS1P_E_NS1_11comp_targetILNS1_3genE8ELNS1_11target_archE1030ELNS1_3gpuE2ELNS1_3repE0EEENS1_30default_config_static_selectorELNS0_4arch9wavefront6targetE1EEEvS12_
                                        ; -- End function
	.set _ZN7rocprim17ROCPRIM_400000_NS6detail17trampoline_kernelINS0_13select_configILj256ELj13ELNS0_17block_load_methodE3ELS4_3ELS4_3ELNS0_20block_scan_algorithmE0ELj4294967295EEENS1_25partition_config_selectorILNS1_17partition_subalgoE4EjNS0_10empty_typeEbEEZZNS1_14partition_implILS8_4ELb0ES6_15HIP_vector_typeIjLj2EENS0_17counting_iteratorIjlEEPS9_SG_NS0_5tupleIJPjSI_NS0_16reverse_iteratorISI_EEEEENSH_IJSG_SG_SG_EEES9_SI_JZNS1_25segmented_radix_sort_implINS0_14default_configELb1EPKfPfPKlPlN2at6native12_GLOBAL__N_18offset_tEEE10hipError_tPvRmT1_PNSt15iterator_traitsIS12_E10value_typeET2_T3_PNS13_IS18_E10value_typeET4_jRbjT5_S1E_jjP12ihipStream_tbEUljE_ZNSN_ISO_Lb1ESQ_SR_ST_SU_SY_EESZ_S10_S11_S12_S16_S17_S18_S1B_S1C_jS1D_jS1E_S1E_jjS1G_bEUljE0_EEESZ_S10_S11_S18_S1C_S1E_T6_T7_T9_mT8_S1G_bDpT10_ENKUlT_T0_E_clISt17integral_constantIbLb0EES1T_IbLb1EEEEDaS1P_S1Q_EUlS1P_E_NS1_11comp_targetILNS1_3genE8ELNS1_11target_archE1030ELNS1_3gpuE2ELNS1_3repE0EEENS1_30default_config_static_selectorELNS0_4arch9wavefront6targetE1EEEvS12_.num_vgpr, 0
	.set _ZN7rocprim17ROCPRIM_400000_NS6detail17trampoline_kernelINS0_13select_configILj256ELj13ELNS0_17block_load_methodE3ELS4_3ELS4_3ELNS0_20block_scan_algorithmE0ELj4294967295EEENS1_25partition_config_selectorILNS1_17partition_subalgoE4EjNS0_10empty_typeEbEEZZNS1_14partition_implILS8_4ELb0ES6_15HIP_vector_typeIjLj2EENS0_17counting_iteratorIjlEEPS9_SG_NS0_5tupleIJPjSI_NS0_16reverse_iteratorISI_EEEEENSH_IJSG_SG_SG_EEES9_SI_JZNS1_25segmented_radix_sort_implINS0_14default_configELb1EPKfPfPKlPlN2at6native12_GLOBAL__N_18offset_tEEE10hipError_tPvRmT1_PNSt15iterator_traitsIS12_E10value_typeET2_T3_PNS13_IS18_E10value_typeET4_jRbjT5_S1E_jjP12ihipStream_tbEUljE_ZNSN_ISO_Lb1ESQ_SR_ST_SU_SY_EESZ_S10_S11_S12_S16_S17_S18_S1B_S1C_jS1D_jS1E_S1E_jjS1G_bEUljE0_EEESZ_S10_S11_S18_S1C_S1E_T6_T7_T9_mT8_S1G_bDpT10_ENKUlT_T0_E_clISt17integral_constantIbLb0EES1T_IbLb1EEEEDaS1P_S1Q_EUlS1P_E_NS1_11comp_targetILNS1_3genE8ELNS1_11target_archE1030ELNS1_3gpuE2ELNS1_3repE0EEENS1_30default_config_static_selectorELNS0_4arch9wavefront6targetE1EEEvS12_.num_agpr, 0
	.set _ZN7rocprim17ROCPRIM_400000_NS6detail17trampoline_kernelINS0_13select_configILj256ELj13ELNS0_17block_load_methodE3ELS4_3ELS4_3ELNS0_20block_scan_algorithmE0ELj4294967295EEENS1_25partition_config_selectorILNS1_17partition_subalgoE4EjNS0_10empty_typeEbEEZZNS1_14partition_implILS8_4ELb0ES6_15HIP_vector_typeIjLj2EENS0_17counting_iteratorIjlEEPS9_SG_NS0_5tupleIJPjSI_NS0_16reverse_iteratorISI_EEEEENSH_IJSG_SG_SG_EEES9_SI_JZNS1_25segmented_radix_sort_implINS0_14default_configELb1EPKfPfPKlPlN2at6native12_GLOBAL__N_18offset_tEEE10hipError_tPvRmT1_PNSt15iterator_traitsIS12_E10value_typeET2_T3_PNS13_IS18_E10value_typeET4_jRbjT5_S1E_jjP12ihipStream_tbEUljE_ZNSN_ISO_Lb1ESQ_SR_ST_SU_SY_EESZ_S10_S11_S12_S16_S17_S18_S1B_S1C_jS1D_jS1E_S1E_jjS1G_bEUljE0_EEESZ_S10_S11_S18_S1C_S1E_T6_T7_T9_mT8_S1G_bDpT10_ENKUlT_T0_E_clISt17integral_constantIbLb0EES1T_IbLb1EEEEDaS1P_S1Q_EUlS1P_E_NS1_11comp_targetILNS1_3genE8ELNS1_11target_archE1030ELNS1_3gpuE2ELNS1_3repE0EEENS1_30default_config_static_selectorELNS0_4arch9wavefront6targetE1EEEvS12_.numbered_sgpr, 0
	.set _ZN7rocprim17ROCPRIM_400000_NS6detail17trampoline_kernelINS0_13select_configILj256ELj13ELNS0_17block_load_methodE3ELS4_3ELS4_3ELNS0_20block_scan_algorithmE0ELj4294967295EEENS1_25partition_config_selectorILNS1_17partition_subalgoE4EjNS0_10empty_typeEbEEZZNS1_14partition_implILS8_4ELb0ES6_15HIP_vector_typeIjLj2EENS0_17counting_iteratorIjlEEPS9_SG_NS0_5tupleIJPjSI_NS0_16reverse_iteratorISI_EEEEENSH_IJSG_SG_SG_EEES9_SI_JZNS1_25segmented_radix_sort_implINS0_14default_configELb1EPKfPfPKlPlN2at6native12_GLOBAL__N_18offset_tEEE10hipError_tPvRmT1_PNSt15iterator_traitsIS12_E10value_typeET2_T3_PNS13_IS18_E10value_typeET4_jRbjT5_S1E_jjP12ihipStream_tbEUljE_ZNSN_ISO_Lb1ESQ_SR_ST_SU_SY_EESZ_S10_S11_S12_S16_S17_S18_S1B_S1C_jS1D_jS1E_S1E_jjS1G_bEUljE0_EEESZ_S10_S11_S18_S1C_S1E_T6_T7_T9_mT8_S1G_bDpT10_ENKUlT_T0_E_clISt17integral_constantIbLb0EES1T_IbLb1EEEEDaS1P_S1Q_EUlS1P_E_NS1_11comp_targetILNS1_3genE8ELNS1_11target_archE1030ELNS1_3gpuE2ELNS1_3repE0EEENS1_30default_config_static_selectorELNS0_4arch9wavefront6targetE1EEEvS12_.num_named_barrier, 0
	.set _ZN7rocprim17ROCPRIM_400000_NS6detail17trampoline_kernelINS0_13select_configILj256ELj13ELNS0_17block_load_methodE3ELS4_3ELS4_3ELNS0_20block_scan_algorithmE0ELj4294967295EEENS1_25partition_config_selectorILNS1_17partition_subalgoE4EjNS0_10empty_typeEbEEZZNS1_14partition_implILS8_4ELb0ES6_15HIP_vector_typeIjLj2EENS0_17counting_iteratorIjlEEPS9_SG_NS0_5tupleIJPjSI_NS0_16reverse_iteratorISI_EEEEENSH_IJSG_SG_SG_EEES9_SI_JZNS1_25segmented_radix_sort_implINS0_14default_configELb1EPKfPfPKlPlN2at6native12_GLOBAL__N_18offset_tEEE10hipError_tPvRmT1_PNSt15iterator_traitsIS12_E10value_typeET2_T3_PNS13_IS18_E10value_typeET4_jRbjT5_S1E_jjP12ihipStream_tbEUljE_ZNSN_ISO_Lb1ESQ_SR_ST_SU_SY_EESZ_S10_S11_S12_S16_S17_S18_S1B_S1C_jS1D_jS1E_S1E_jjS1G_bEUljE0_EEESZ_S10_S11_S18_S1C_S1E_T6_T7_T9_mT8_S1G_bDpT10_ENKUlT_T0_E_clISt17integral_constantIbLb0EES1T_IbLb1EEEEDaS1P_S1Q_EUlS1P_E_NS1_11comp_targetILNS1_3genE8ELNS1_11target_archE1030ELNS1_3gpuE2ELNS1_3repE0EEENS1_30default_config_static_selectorELNS0_4arch9wavefront6targetE1EEEvS12_.private_seg_size, 0
	.set _ZN7rocprim17ROCPRIM_400000_NS6detail17trampoline_kernelINS0_13select_configILj256ELj13ELNS0_17block_load_methodE3ELS4_3ELS4_3ELNS0_20block_scan_algorithmE0ELj4294967295EEENS1_25partition_config_selectorILNS1_17partition_subalgoE4EjNS0_10empty_typeEbEEZZNS1_14partition_implILS8_4ELb0ES6_15HIP_vector_typeIjLj2EENS0_17counting_iteratorIjlEEPS9_SG_NS0_5tupleIJPjSI_NS0_16reverse_iteratorISI_EEEEENSH_IJSG_SG_SG_EEES9_SI_JZNS1_25segmented_radix_sort_implINS0_14default_configELb1EPKfPfPKlPlN2at6native12_GLOBAL__N_18offset_tEEE10hipError_tPvRmT1_PNSt15iterator_traitsIS12_E10value_typeET2_T3_PNS13_IS18_E10value_typeET4_jRbjT5_S1E_jjP12ihipStream_tbEUljE_ZNSN_ISO_Lb1ESQ_SR_ST_SU_SY_EESZ_S10_S11_S12_S16_S17_S18_S1B_S1C_jS1D_jS1E_S1E_jjS1G_bEUljE0_EEESZ_S10_S11_S18_S1C_S1E_T6_T7_T9_mT8_S1G_bDpT10_ENKUlT_T0_E_clISt17integral_constantIbLb0EES1T_IbLb1EEEEDaS1P_S1Q_EUlS1P_E_NS1_11comp_targetILNS1_3genE8ELNS1_11target_archE1030ELNS1_3gpuE2ELNS1_3repE0EEENS1_30default_config_static_selectorELNS0_4arch9wavefront6targetE1EEEvS12_.uses_vcc, 0
	.set _ZN7rocprim17ROCPRIM_400000_NS6detail17trampoline_kernelINS0_13select_configILj256ELj13ELNS0_17block_load_methodE3ELS4_3ELS4_3ELNS0_20block_scan_algorithmE0ELj4294967295EEENS1_25partition_config_selectorILNS1_17partition_subalgoE4EjNS0_10empty_typeEbEEZZNS1_14partition_implILS8_4ELb0ES6_15HIP_vector_typeIjLj2EENS0_17counting_iteratorIjlEEPS9_SG_NS0_5tupleIJPjSI_NS0_16reverse_iteratorISI_EEEEENSH_IJSG_SG_SG_EEES9_SI_JZNS1_25segmented_radix_sort_implINS0_14default_configELb1EPKfPfPKlPlN2at6native12_GLOBAL__N_18offset_tEEE10hipError_tPvRmT1_PNSt15iterator_traitsIS12_E10value_typeET2_T3_PNS13_IS18_E10value_typeET4_jRbjT5_S1E_jjP12ihipStream_tbEUljE_ZNSN_ISO_Lb1ESQ_SR_ST_SU_SY_EESZ_S10_S11_S12_S16_S17_S18_S1B_S1C_jS1D_jS1E_S1E_jjS1G_bEUljE0_EEESZ_S10_S11_S18_S1C_S1E_T6_T7_T9_mT8_S1G_bDpT10_ENKUlT_T0_E_clISt17integral_constantIbLb0EES1T_IbLb1EEEEDaS1P_S1Q_EUlS1P_E_NS1_11comp_targetILNS1_3genE8ELNS1_11target_archE1030ELNS1_3gpuE2ELNS1_3repE0EEENS1_30default_config_static_selectorELNS0_4arch9wavefront6targetE1EEEvS12_.uses_flat_scratch, 0
	.set _ZN7rocprim17ROCPRIM_400000_NS6detail17trampoline_kernelINS0_13select_configILj256ELj13ELNS0_17block_load_methodE3ELS4_3ELS4_3ELNS0_20block_scan_algorithmE0ELj4294967295EEENS1_25partition_config_selectorILNS1_17partition_subalgoE4EjNS0_10empty_typeEbEEZZNS1_14partition_implILS8_4ELb0ES6_15HIP_vector_typeIjLj2EENS0_17counting_iteratorIjlEEPS9_SG_NS0_5tupleIJPjSI_NS0_16reverse_iteratorISI_EEEEENSH_IJSG_SG_SG_EEES9_SI_JZNS1_25segmented_radix_sort_implINS0_14default_configELb1EPKfPfPKlPlN2at6native12_GLOBAL__N_18offset_tEEE10hipError_tPvRmT1_PNSt15iterator_traitsIS12_E10value_typeET2_T3_PNS13_IS18_E10value_typeET4_jRbjT5_S1E_jjP12ihipStream_tbEUljE_ZNSN_ISO_Lb1ESQ_SR_ST_SU_SY_EESZ_S10_S11_S12_S16_S17_S18_S1B_S1C_jS1D_jS1E_S1E_jjS1G_bEUljE0_EEESZ_S10_S11_S18_S1C_S1E_T6_T7_T9_mT8_S1G_bDpT10_ENKUlT_T0_E_clISt17integral_constantIbLb0EES1T_IbLb1EEEEDaS1P_S1Q_EUlS1P_E_NS1_11comp_targetILNS1_3genE8ELNS1_11target_archE1030ELNS1_3gpuE2ELNS1_3repE0EEENS1_30default_config_static_selectorELNS0_4arch9wavefront6targetE1EEEvS12_.has_dyn_sized_stack, 0
	.set _ZN7rocprim17ROCPRIM_400000_NS6detail17trampoline_kernelINS0_13select_configILj256ELj13ELNS0_17block_load_methodE3ELS4_3ELS4_3ELNS0_20block_scan_algorithmE0ELj4294967295EEENS1_25partition_config_selectorILNS1_17partition_subalgoE4EjNS0_10empty_typeEbEEZZNS1_14partition_implILS8_4ELb0ES6_15HIP_vector_typeIjLj2EENS0_17counting_iteratorIjlEEPS9_SG_NS0_5tupleIJPjSI_NS0_16reverse_iteratorISI_EEEEENSH_IJSG_SG_SG_EEES9_SI_JZNS1_25segmented_radix_sort_implINS0_14default_configELb1EPKfPfPKlPlN2at6native12_GLOBAL__N_18offset_tEEE10hipError_tPvRmT1_PNSt15iterator_traitsIS12_E10value_typeET2_T3_PNS13_IS18_E10value_typeET4_jRbjT5_S1E_jjP12ihipStream_tbEUljE_ZNSN_ISO_Lb1ESQ_SR_ST_SU_SY_EESZ_S10_S11_S12_S16_S17_S18_S1B_S1C_jS1D_jS1E_S1E_jjS1G_bEUljE0_EEESZ_S10_S11_S18_S1C_S1E_T6_T7_T9_mT8_S1G_bDpT10_ENKUlT_T0_E_clISt17integral_constantIbLb0EES1T_IbLb1EEEEDaS1P_S1Q_EUlS1P_E_NS1_11comp_targetILNS1_3genE8ELNS1_11target_archE1030ELNS1_3gpuE2ELNS1_3repE0EEENS1_30default_config_static_selectorELNS0_4arch9wavefront6targetE1EEEvS12_.has_recursion, 0
	.set _ZN7rocprim17ROCPRIM_400000_NS6detail17trampoline_kernelINS0_13select_configILj256ELj13ELNS0_17block_load_methodE3ELS4_3ELS4_3ELNS0_20block_scan_algorithmE0ELj4294967295EEENS1_25partition_config_selectorILNS1_17partition_subalgoE4EjNS0_10empty_typeEbEEZZNS1_14partition_implILS8_4ELb0ES6_15HIP_vector_typeIjLj2EENS0_17counting_iteratorIjlEEPS9_SG_NS0_5tupleIJPjSI_NS0_16reverse_iteratorISI_EEEEENSH_IJSG_SG_SG_EEES9_SI_JZNS1_25segmented_radix_sort_implINS0_14default_configELb1EPKfPfPKlPlN2at6native12_GLOBAL__N_18offset_tEEE10hipError_tPvRmT1_PNSt15iterator_traitsIS12_E10value_typeET2_T3_PNS13_IS18_E10value_typeET4_jRbjT5_S1E_jjP12ihipStream_tbEUljE_ZNSN_ISO_Lb1ESQ_SR_ST_SU_SY_EESZ_S10_S11_S12_S16_S17_S18_S1B_S1C_jS1D_jS1E_S1E_jjS1G_bEUljE0_EEESZ_S10_S11_S18_S1C_S1E_T6_T7_T9_mT8_S1G_bDpT10_ENKUlT_T0_E_clISt17integral_constantIbLb0EES1T_IbLb1EEEEDaS1P_S1Q_EUlS1P_E_NS1_11comp_targetILNS1_3genE8ELNS1_11target_archE1030ELNS1_3gpuE2ELNS1_3repE0EEENS1_30default_config_static_selectorELNS0_4arch9wavefront6targetE1EEEvS12_.has_indirect_call, 0
	.section	.AMDGPU.csdata,"",@progbits
; Kernel info:
; codeLenInByte = 0
; TotalNumSgprs: 4
; NumVgprs: 0
; ScratchSize: 0
; MemoryBound: 0
; FloatMode: 240
; IeeeMode: 1
; LDSByteSize: 0 bytes/workgroup (compile time only)
; SGPRBlocks: 0
; VGPRBlocks: 0
; NumSGPRsForWavesPerEU: 4
; NumVGPRsForWavesPerEU: 1
; Occupancy: 10
; WaveLimiterHint : 0
; COMPUTE_PGM_RSRC2:SCRATCH_EN: 0
; COMPUTE_PGM_RSRC2:USER_SGPR: 6
; COMPUTE_PGM_RSRC2:TRAP_HANDLER: 0
; COMPUTE_PGM_RSRC2:TGID_X_EN: 1
; COMPUTE_PGM_RSRC2:TGID_Y_EN: 0
; COMPUTE_PGM_RSRC2:TGID_Z_EN: 0
; COMPUTE_PGM_RSRC2:TIDIG_COMP_CNT: 0
	.section	.text._ZN7rocprim17ROCPRIM_400000_NS6detail17trampoline_kernelINS0_13select_configILj256ELj13ELNS0_17block_load_methodE3ELS4_3ELS4_3ELNS0_20block_scan_algorithmE0ELj4294967295EEENS1_25partition_config_selectorILNS1_17partition_subalgoE3EjNS0_10empty_typeEbEEZZNS1_14partition_implILS8_3ELb0ES6_jNS0_17counting_iteratorIjlEEPS9_SE_NS0_5tupleIJPjSE_EEENSF_IJSE_SE_EEES9_SG_JZNS1_25segmented_radix_sort_implINS0_14default_configELb1EPKfPfPKlPlN2at6native12_GLOBAL__N_18offset_tEEE10hipError_tPvRmT1_PNSt15iterator_traitsISY_E10value_typeET2_T3_PNSZ_IS14_E10value_typeET4_jRbjT5_S1A_jjP12ihipStream_tbEUljE_EEESV_SW_SX_S14_S18_S1A_T6_T7_T9_mT8_S1C_bDpT10_ENKUlT_T0_E_clISt17integral_constantIbLb0EES1P_EEDaS1K_S1L_EUlS1K_E_NS1_11comp_targetILNS1_3genE0ELNS1_11target_archE4294967295ELNS1_3gpuE0ELNS1_3repE0EEENS1_30default_config_static_selectorELNS0_4arch9wavefront6targetE1EEEvSY_,"axG",@progbits,_ZN7rocprim17ROCPRIM_400000_NS6detail17trampoline_kernelINS0_13select_configILj256ELj13ELNS0_17block_load_methodE3ELS4_3ELS4_3ELNS0_20block_scan_algorithmE0ELj4294967295EEENS1_25partition_config_selectorILNS1_17partition_subalgoE3EjNS0_10empty_typeEbEEZZNS1_14partition_implILS8_3ELb0ES6_jNS0_17counting_iteratorIjlEEPS9_SE_NS0_5tupleIJPjSE_EEENSF_IJSE_SE_EEES9_SG_JZNS1_25segmented_radix_sort_implINS0_14default_configELb1EPKfPfPKlPlN2at6native12_GLOBAL__N_18offset_tEEE10hipError_tPvRmT1_PNSt15iterator_traitsISY_E10value_typeET2_T3_PNSZ_IS14_E10value_typeET4_jRbjT5_S1A_jjP12ihipStream_tbEUljE_EEESV_SW_SX_S14_S18_S1A_T6_T7_T9_mT8_S1C_bDpT10_ENKUlT_T0_E_clISt17integral_constantIbLb0EES1P_EEDaS1K_S1L_EUlS1K_E_NS1_11comp_targetILNS1_3genE0ELNS1_11target_archE4294967295ELNS1_3gpuE0ELNS1_3repE0EEENS1_30default_config_static_selectorELNS0_4arch9wavefront6targetE1EEEvSY_,comdat
	.globl	_ZN7rocprim17ROCPRIM_400000_NS6detail17trampoline_kernelINS0_13select_configILj256ELj13ELNS0_17block_load_methodE3ELS4_3ELS4_3ELNS0_20block_scan_algorithmE0ELj4294967295EEENS1_25partition_config_selectorILNS1_17partition_subalgoE3EjNS0_10empty_typeEbEEZZNS1_14partition_implILS8_3ELb0ES6_jNS0_17counting_iteratorIjlEEPS9_SE_NS0_5tupleIJPjSE_EEENSF_IJSE_SE_EEES9_SG_JZNS1_25segmented_radix_sort_implINS0_14default_configELb1EPKfPfPKlPlN2at6native12_GLOBAL__N_18offset_tEEE10hipError_tPvRmT1_PNSt15iterator_traitsISY_E10value_typeET2_T3_PNSZ_IS14_E10value_typeET4_jRbjT5_S1A_jjP12ihipStream_tbEUljE_EEESV_SW_SX_S14_S18_S1A_T6_T7_T9_mT8_S1C_bDpT10_ENKUlT_T0_E_clISt17integral_constantIbLb0EES1P_EEDaS1K_S1L_EUlS1K_E_NS1_11comp_targetILNS1_3genE0ELNS1_11target_archE4294967295ELNS1_3gpuE0ELNS1_3repE0EEENS1_30default_config_static_selectorELNS0_4arch9wavefront6targetE1EEEvSY_ ; -- Begin function _ZN7rocprim17ROCPRIM_400000_NS6detail17trampoline_kernelINS0_13select_configILj256ELj13ELNS0_17block_load_methodE3ELS4_3ELS4_3ELNS0_20block_scan_algorithmE0ELj4294967295EEENS1_25partition_config_selectorILNS1_17partition_subalgoE3EjNS0_10empty_typeEbEEZZNS1_14partition_implILS8_3ELb0ES6_jNS0_17counting_iteratorIjlEEPS9_SE_NS0_5tupleIJPjSE_EEENSF_IJSE_SE_EEES9_SG_JZNS1_25segmented_radix_sort_implINS0_14default_configELb1EPKfPfPKlPlN2at6native12_GLOBAL__N_18offset_tEEE10hipError_tPvRmT1_PNSt15iterator_traitsISY_E10value_typeET2_T3_PNSZ_IS14_E10value_typeET4_jRbjT5_S1A_jjP12ihipStream_tbEUljE_EEESV_SW_SX_S14_S18_S1A_T6_T7_T9_mT8_S1C_bDpT10_ENKUlT_T0_E_clISt17integral_constantIbLb0EES1P_EEDaS1K_S1L_EUlS1K_E_NS1_11comp_targetILNS1_3genE0ELNS1_11target_archE4294967295ELNS1_3gpuE0ELNS1_3repE0EEENS1_30default_config_static_selectorELNS0_4arch9wavefront6targetE1EEEvSY_
	.p2align	8
	.type	_ZN7rocprim17ROCPRIM_400000_NS6detail17trampoline_kernelINS0_13select_configILj256ELj13ELNS0_17block_load_methodE3ELS4_3ELS4_3ELNS0_20block_scan_algorithmE0ELj4294967295EEENS1_25partition_config_selectorILNS1_17partition_subalgoE3EjNS0_10empty_typeEbEEZZNS1_14partition_implILS8_3ELb0ES6_jNS0_17counting_iteratorIjlEEPS9_SE_NS0_5tupleIJPjSE_EEENSF_IJSE_SE_EEES9_SG_JZNS1_25segmented_radix_sort_implINS0_14default_configELb1EPKfPfPKlPlN2at6native12_GLOBAL__N_18offset_tEEE10hipError_tPvRmT1_PNSt15iterator_traitsISY_E10value_typeET2_T3_PNSZ_IS14_E10value_typeET4_jRbjT5_S1A_jjP12ihipStream_tbEUljE_EEESV_SW_SX_S14_S18_S1A_T6_T7_T9_mT8_S1C_bDpT10_ENKUlT_T0_E_clISt17integral_constantIbLb0EES1P_EEDaS1K_S1L_EUlS1K_E_NS1_11comp_targetILNS1_3genE0ELNS1_11target_archE4294967295ELNS1_3gpuE0ELNS1_3repE0EEENS1_30default_config_static_selectorELNS0_4arch9wavefront6targetE1EEEvSY_,@function
_ZN7rocprim17ROCPRIM_400000_NS6detail17trampoline_kernelINS0_13select_configILj256ELj13ELNS0_17block_load_methodE3ELS4_3ELS4_3ELNS0_20block_scan_algorithmE0ELj4294967295EEENS1_25partition_config_selectorILNS1_17partition_subalgoE3EjNS0_10empty_typeEbEEZZNS1_14partition_implILS8_3ELb0ES6_jNS0_17counting_iteratorIjlEEPS9_SE_NS0_5tupleIJPjSE_EEENSF_IJSE_SE_EEES9_SG_JZNS1_25segmented_radix_sort_implINS0_14default_configELb1EPKfPfPKlPlN2at6native12_GLOBAL__N_18offset_tEEE10hipError_tPvRmT1_PNSt15iterator_traitsISY_E10value_typeET2_T3_PNSZ_IS14_E10value_typeET4_jRbjT5_S1A_jjP12ihipStream_tbEUljE_EEESV_SW_SX_S14_S18_S1A_T6_T7_T9_mT8_S1C_bDpT10_ENKUlT_T0_E_clISt17integral_constantIbLb0EES1P_EEDaS1K_S1L_EUlS1K_E_NS1_11comp_targetILNS1_3genE0ELNS1_11target_archE4294967295ELNS1_3gpuE0ELNS1_3repE0EEENS1_30default_config_static_selectorELNS0_4arch9wavefront6targetE1EEEvSY_: ; @_ZN7rocprim17ROCPRIM_400000_NS6detail17trampoline_kernelINS0_13select_configILj256ELj13ELNS0_17block_load_methodE3ELS4_3ELS4_3ELNS0_20block_scan_algorithmE0ELj4294967295EEENS1_25partition_config_selectorILNS1_17partition_subalgoE3EjNS0_10empty_typeEbEEZZNS1_14partition_implILS8_3ELb0ES6_jNS0_17counting_iteratorIjlEEPS9_SE_NS0_5tupleIJPjSE_EEENSF_IJSE_SE_EEES9_SG_JZNS1_25segmented_radix_sort_implINS0_14default_configELb1EPKfPfPKlPlN2at6native12_GLOBAL__N_18offset_tEEE10hipError_tPvRmT1_PNSt15iterator_traitsISY_E10value_typeET2_T3_PNSZ_IS14_E10value_typeET4_jRbjT5_S1A_jjP12ihipStream_tbEUljE_EEESV_SW_SX_S14_S18_S1A_T6_T7_T9_mT8_S1C_bDpT10_ENKUlT_T0_E_clISt17integral_constantIbLb0EES1P_EEDaS1K_S1L_EUlS1K_E_NS1_11comp_targetILNS1_3genE0ELNS1_11target_archE4294967295ELNS1_3gpuE0ELNS1_3repE0EEENS1_30default_config_static_selectorELNS0_4arch9wavefront6targetE1EEEvSY_
; %bb.0:
	.section	.rodata,"a",@progbits
	.p2align	6, 0x0
	.amdhsa_kernel _ZN7rocprim17ROCPRIM_400000_NS6detail17trampoline_kernelINS0_13select_configILj256ELj13ELNS0_17block_load_methodE3ELS4_3ELS4_3ELNS0_20block_scan_algorithmE0ELj4294967295EEENS1_25partition_config_selectorILNS1_17partition_subalgoE3EjNS0_10empty_typeEbEEZZNS1_14partition_implILS8_3ELb0ES6_jNS0_17counting_iteratorIjlEEPS9_SE_NS0_5tupleIJPjSE_EEENSF_IJSE_SE_EEES9_SG_JZNS1_25segmented_radix_sort_implINS0_14default_configELb1EPKfPfPKlPlN2at6native12_GLOBAL__N_18offset_tEEE10hipError_tPvRmT1_PNSt15iterator_traitsISY_E10value_typeET2_T3_PNSZ_IS14_E10value_typeET4_jRbjT5_S1A_jjP12ihipStream_tbEUljE_EEESV_SW_SX_S14_S18_S1A_T6_T7_T9_mT8_S1C_bDpT10_ENKUlT_T0_E_clISt17integral_constantIbLb0EES1P_EEDaS1K_S1L_EUlS1K_E_NS1_11comp_targetILNS1_3genE0ELNS1_11target_archE4294967295ELNS1_3gpuE0ELNS1_3repE0EEENS1_30default_config_static_selectorELNS0_4arch9wavefront6targetE1EEEvSY_
		.amdhsa_group_segment_fixed_size 0
		.amdhsa_private_segment_fixed_size 0
		.amdhsa_kernarg_size 144
		.amdhsa_user_sgpr_count 6
		.amdhsa_user_sgpr_private_segment_buffer 1
		.amdhsa_user_sgpr_dispatch_ptr 0
		.amdhsa_user_sgpr_queue_ptr 0
		.amdhsa_user_sgpr_kernarg_segment_ptr 1
		.amdhsa_user_sgpr_dispatch_id 0
		.amdhsa_user_sgpr_flat_scratch_init 0
		.amdhsa_user_sgpr_private_segment_size 0
		.amdhsa_uses_dynamic_stack 0
		.amdhsa_system_sgpr_private_segment_wavefront_offset 0
		.amdhsa_system_sgpr_workgroup_id_x 1
		.amdhsa_system_sgpr_workgroup_id_y 0
		.amdhsa_system_sgpr_workgroup_id_z 0
		.amdhsa_system_sgpr_workgroup_info 0
		.amdhsa_system_vgpr_workitem_id 0
		.amdhsa_next_free_vgpr 1
		.amdhsa_next_free_sgpr 0
		.amdhsa_reserve_vcc 0
		.amdhsa_reserve_flat_scratch 0
		.amdhsa_float_round_mode_32 0
		.amdhsa_float_round_mode_16_64 0
		.amdhsa_float_denorm_mode_32 3
		.amdhsa_float_denorm_mode_16_64 3
		.amdhsa_dx10_clamp 1
		.amdhsa_ieee_mode 1
		.amdhsa_fp16_overflow 0
		.amdhsa_exception_fp_ieee_invalid_op 0
		.amdhsa_exception_fp_denorm_src 0
		.amdhsa_exception_fp_ieee_div_zero 0
		.amdhsa_exception_fp_ieee_overflow 0
		.amdhsa_exception_fp_ieee_underflow 0
		.amdhsa_exception_fp_ieee_inexact 0
		.amdhsa_exception_int_div_zero 0
	.end_amdhsa_kernel
	.section	.text._ZN7rocprim17ROCPRIM_400000_NS6detail17trampoline_kernelINS0_13select_configILj256ELj13ELNS0_17block_load_methodE3ELS4_3ELS4_3ELNS0_20block_scan_algorithmE0ELj4294967295EEENS1_25partition_config_selectorILNS1_17partition_subalgoE3EjNS0_10empty_typeEbEEZZNS1_14partition_implILS8_3ELb0ES6_jNS0_17counting_iteratorIjlEEPS9_SE_NS0_5tupleIJPjSE_EEENSF_IJSE_SE_EEES9_SG_JZNS1_25segmented_radix_sort_implINS0_14default_configELb1EPKfPfPKlPlN2at6native12_GLOBAL__N_18offset_tEEE10hipError_tPvRmT1_PNSt15iterator_traitsISY_E10value_typeET2_T3_PNSZ_IS14_E10value_typeET4_jRbjT5_S1A_jjP12ihipStream_tbEUljE_EEESV_SW_SX_S14_S18_S1A_T6_T7_T9_mT8_S1C_bDpT10_ENKUlT_T0_E_clISt17integral_constantIbLb0EES1P_EEDaS1K_S1L_EUlS1K_E_NS1_11comp_targetILNS1_3genE0ELNS1_11target_archE4294967295ELNS1_3gpuE0ELNS1_3repE0EEENS1_30default_config_static_selectorELNS0_4arch9wavefront6targetE1EEEvSY_,"axG",@progbits,_ZN7rocprim17ROCPRIM_400000_NS6detail17trampoline_kernelINS0_13select_configILj256ELj13ELNS0_17block_load_methodE3ELS4_3ELS4_3ELNS0_20block_scan_algorithmE0ELj4294967295EEENS1_25partition_config_selectorILNS1_17partition_subalgoE3EjNS0_10empty_typeEbEEZZNS1_14partition_implILS8_3ELb0ES6_jNS0_17counting_iteratorIjlEEPS9_SE_NS0_5tupleIJPjSE_EEENSF_IJSE_SE_EEES9_SG_JZNS1_25segmented_radix_sort_implINS0_14default_configELb1EPKfPfPKlPlN2at6native12_GLOBAL__N_18offset_tEEE10hipError_tPvRmT1_PNSt15iterator_traitsISY_E10value_typeET2_T3_PNSZ_IS14_E10value_typeET4_jRbjT5_S1A_jjP12ihipStream_tbEUljE_EEESV_SW_SX_S14_S18_S1A_T6_T7_T9_mT8_S1C_bDpT10_ENKUlT_T0_E_clISt17integral_constantIbLb0EES1P_EEDaS1K_S1L_EUlS1K_E_NS1_11comp_targetILNS1_3genE0ELNS1_11target_archE4294967295ELNS1_3gpuE0ELNS1_3repE0EEENS1_30default_config_static_selectorELNS0_4arch9wavefront6targetE1EEEvSY_,comdat
.Lfunc_end1293:
	.size	_ZN7rocprim17ROCPRIM_400000_NS6detail17trampoline_kernelINS0_13select_configILj256ELj13ELNS0_17block_load_methodE3ELS4_3ELS4_3ELNS0_20block_scan_algorithmE0ELj4294967295EEENS1_25partition_config_selectorILNS1_17partition_subalgoE3EjNS0_10empty_typeEbEEZZNS1_14partition_implILS8_3ELb0ES6_jNS0_17counting_iteratorIjlEEPS9_SE_NS0_5tupleIJPjSE_EEENSF_IJSE_SE_EEES9_SG_JZNS1_25segmented_radix_sort_implINS0_14default_configELb1EPKfPfPKlPlN2at6native12_GLOBAL__N_18offset_tEEE10hipError_tPvRmT1_PNSt15iterator_traitsISY_E10value_typeET2_T3_PNSZ_IS14_E10value_typeET4_jRbjT5_S1A_jjP12ihipStream_tbEUljE_EEESV_SW_SX_S14_S18_S1A_T6_T7_T9_mT8_S1C_bDpT10_ENKUlT_T0_E_clISt17integral_constantIbLb0EES1P_EEDaS1K_S1L_EUlS1K_E_NS1_11comp_targetILNS1_3genE0ELNS1_11target_archE4294967295ELNS1_3gpuE0ELNS1_3repE0EEENS1_30default_config_static_selectorELNS0_4arch9wavefront6targetE1EEEvSY_, .Lfunc_end1293-_ZN7rocprim17ROCPRIM_400000_NS6detail17trampoline_kernelINS0_13select_configILj256ELj13ELNS0_17block_load_methodE3ELS4_3ELS4_3ELNS0_20block_scan_algorithmE0ELj4294967295EEENS1_25partition_config_selectorILNS1_17partition_subalgoE3EjNS0_10empty_typeEbEEZZNS1_14partition_implILS8_3ELb0ES6_jNS0_17counting_iteratorIjlEEPS9_SE_NS0_5tupleIJPjSE_EEENSF_IJSE_SE_EEES9_SG_JZNS1_25segmented_radix_sort_implINS0_14default_configELb1EPKfPfPKlPlN2at6native12_GLOBAL__N_18offset_tEEE10hipError_tPvRmT1_PNSt15iterator_traitsISY_E10value_typeET2_T3_PNSZ_IS14_E10value_typeET4_jRbjT5_S1A_jjP12ihipStream_tbEUljE_EEESV_SW_SX_S14_S18_S1A_T6_T7_T9_mT8_S1C_bDpT10_ENKUlT_T0_E_clISt17integral_constantIbLb0EES1P_EEDaS1K_S1L_EUlS1K_E_NS1_11comp_targetILNS1_3genE0ELNS1_11target_archE4294967295ELNS1_3gpuE0ELNS1_3repE0EEENS1_30default_config_static_selectorELNS0_4arch9wavefront6targetE1EEEvSY_
                                        ; -- End function
	.set _ZN7rocprim17ROCPRIM_400000_NS6detail17trampoline_kernelINS0_13select_configILj256ELj13ELNS0_17block_load_methodE3ELS4_3ELS4_3ELNS0_20block_scan_algorithmE0ELj4294967295EEENS1_25partition_config_selectorILNS1_17partition_subalgoE3EjNS0_10empty_typeEbEEZZNS1_14partition_implILS8_3ELb0ES6_jNS0_17counting_iteratorIjlEEPS9_SE_NS0_5tupleIJPjSE_EEENSF_IJSE_SE_EEES9_SG_JZNS1_25segmented_radix_sort_implINS0_14default_configELb1EPKfPfPKlPlN2at6native12_GLOBAL__N_18offset_tEEE10hipError_tPvRmT1_PNSt15iterator_traitsISY_E10value_typeET2_T3_PNSZ_IS14_E10value_typeET4_jRbjT5_S1A_jjP12ihipStream_tbEUljE_EEESV_SW_SX_S14_S18_S1A_T6_T7_T9_mT8_S1C_bDpT10_ENKUlT_T0_E_clISt17integral_constantIbLb0EES1P_EEDaS1K_S1L_EUlS1K_E_NS1_11comp_targetILNS1_3genE0ELNS1_11target_archE4294967295ELNS1_3gpuE0ELNS1_3repE0EEENS1_30default_config_static_selectorELNS0_4arch9wavefront6targetE1EEEvSY_.num_vgpr, 0
	.set _ZN7rocprim17ROCPRIM_400000_NS6detail17trampoline_kernelINS0_13select_configILj256ELj13ELNS0_17block_load_methodE3ELS4_3ELS4_3ELNS0_20block_scan_algorithmE0ELj4294967295EEENS1_25partition_config_selectorILNS1_17partition_subalgoE3EjNS0_10empty_typeEbEEZZNS1_14partition_implILS8_3ELb0ES6_jNS0_17counting_iteratorIjlEEPS9_SE_NS0_5tupleIJPjSE_EEENSF_IJSE_SE_EEES9_SG_JZNS1_25segmented_radix_sort_implINS0_14default_configELb1EPKfPfPKlPlN2at6native12_GLOBAL__N_18offset_tEEE10hipError_tPvRmT1_PNSt15iterator_traitsISY_E10value_typeET2_T3_PNSZ_IS14_E10value_typeET4_jRbjT5_S1A_jjP12ihipStream_tbEUljE_EEESV_SW_SX_S14_S18_S1A_T6_T7_T9_mT8_S1C_bDpT10_ENKUlT_T0_E_clISt17integral_constantIbLb0EES1P_EEDaS1K_S1L_EUlS1K_E_NS1_11comp_targetILNS1_3genE0ELNS1_11target_archE4294967295ELNS1_3gpuE0ELNS1_3repE0EEENS1_30default_config_static_selectorELNS0_4arch9wavefront6targetE1EEEvSY_.num_agpr, 0
	.set _ZN7rocprim17ROCPRIM_400000_NS6detail17trampoline_kernelINS0_13select_configILj256ELj13ELNS0_17block_load_methodE3ELS4_3ELS4_3ELNS0_20block_scan_algorithmE0ELj4294967295EEENS1_25partition_config_selectorILNS1_17partition_subalgoE3EjNS0_10empty_typeEbEEZZNS1_14partition_implILS8_3ELb0ES6_jNS0_17counting_iteratorIjlEEPS9_SE_NS0_5tupleIJPjSE_EEENSF_IJSE_SE_EEES9_SG_JZNS1_25segmented_radix_sort_implINS0_14default_configELb1EPKfPfPKlPlN2at6native12_GLOBAL__N_18offset_tEEE10hipError_tPvRmT1_PNSt15iterator_traitsISY_E10value_typeET2_T3_PNSZ_IS14_E10value_typeET4_jRbjT5_S1A_jjP12ihipStream_tbEUljE_EEESV_SW_SX_S14_S18_S1A_T6_T7_T9_mT8_S1C_bDpT10_ENKUlT_T0_E_clISt17integral_constantIbLb0EES1P_EEDaS1K_S1L_EUlS1K_E_NS1_11comp_targetILNS1_3genE0ELNS1_11target_archE4294967295ELNS1_3gpuE0ELNS1_3repE0EEENS1_30default_config_static_selectorELNS0_4arch9wavefront6targetE1EEEvSY_.numbered_sgpr, 0
	.set _ZN7rocprim17ROCPRIM_400000_NS6detail17trampoline_kernelINS0_13select_configILj256ELj13ELNS0_17block_load_methodE3ELS4_3ELS4_3ELNS0_20block_scan_algorithmE0ELj4294967295EEENS1_25partition_config_selectorILNS1_17partition_subalgoE3EjNS0_10empty_typeEbEEZZNS1_14partition_implILS8_3ELb0ES6_jNS0_17counting_iteratorIjlEEPS9_SE_NS0_5tupleIJPjSE_EEENSF_IJSE_SE_EEES9_SG_JZNS1_25segmented_radix_sort_implINS0_14default_configELb1EPKfPfPKlPlN2at6native12_GLOBAL__N_18offset_tEEE10hipError_tPvRmT1_PNSt15iterator_traitsISY_E10value_typeET2_T3_PNSZ_IS14_E10value_typeET4_jRbjT5_S1A_jjP12ihipStream_tbEUljE_EEESV_SW_SX_S14_S18_S1A_T6_T7_T9_mT8_S1C_bDpT10_ENKUlT_T0_E_clISt17integral_constantIbLb0EES1P_EEDaS1K_S1L_EUlS1K_E_NS1_11comp_targetILNS1_3genE0ELNS1_11target_archE4294967295ELNS1_3gpuE0ELNS1_3repE0EEENS1_30default_config_static_selectorELNS0_4arch9wavefront6targetE1EEEvSY_.num_named_barrier, 0
	.set _ZN7rocprim17ROCPRIM_400000_NS6detail17trampoline_kernelINS0_13select_configILj256ELj13ELNS0_17block_load_methodE3ELS4_3ELS4_3ELNS0_20block_scan_algorithmE0ELj4294967295EEENS1_25partition_config_selectorILNS1_17partition_subalgoE3EjNS0_10empty_typeEbEEZZNS1_14partition_implILS8_3ELb0ES6_jNS0_17counting_iteratorIjlEEPS9_SE_NS0_5tupleIJPjSE_EEENSF_IJSE_SE_EEES9_SG_JZNS1_25segmented_radix_sort_implINS0_14default_configELb1EPKfPfPKlPlN2at6native12_GLOBAL__N_18offset_tEEE10hipError_tPvRmT1_PNSt15iterator_traitsISY_E10value_typeET2_T3_PNSZ_IS14_E10value_typeET4_jRbjT5_S1A_jjP12ihipStream_tbEUljE_EEESV_SW_SX_S14_S18_S1A_T6_T7_T9_mT8_S1C_bDpT10_ENKUlT_T0_E_clISt17integral_constantIbLb0EES1P_EEDaS1K_S1L_EUlS1K_E_NS1_11comp_targetILNS1_3genE0ELNS1_11target_archE4294967295ELNS1_3gpuE0ELNS1_3repE0EEENS1_30default_config_static_selectorELNS0_4arch9wavefront6targetE1EEEvSY_.private_seg_size, 0
	.set _ZN7rocprim17ROCPRIM_400000_NS6detail17trampoline_kernelINS0_13select_configILj256ELj13ELNS0_17block_load_methodE3ELS4_3ELS4_3ELNS0_20block_scan_algorithmE0ELj4294967295EEENS1_25partition_config_selectorILNS1_17partition_subalgoE3EjNS0_10empty_typeEbEEZZNS1_14partition_implILS8_3ELb0ES6_jNS0_17counting_iteratorIjlEEPS9_SE_NS0_5tupleIJPjSE_EEENSF_IJSE_SE_EEES9_SG_JZNS1_25segmented_radix_sort_implINS0_14default_configELb1EPKfPfPKlPlN2at6native12_GLOBAL__N_18offset_tEEE10hipError_tPvRmT1_PNSt15iterator_traitsISY_E10value_typeET2_T3_PNSZ_IS14_E10value_typeET4_jRbjT5_S1A_jjP12ihipStream_tbEUljE_EEESV_SW_SX_S14_S18_S1A_T6_T7_T9_mT8_S1C_bDpT10_ENKUlT_T0_E_clISt17integral_constantIbLb0EES1P_EEDaS1K_S1L_EUlS1K_E_NS1_11comp_targetILNS1_3genE0ELNS1_11target_archE4294967295ELNS1_3gpuE0ELNS1_3repE0EEENS1_30default_config_static_selectorELNS0_4arch9wavefront6targetE1EEEvSY_.uses_vcc, 0
	.set _ZN7rocprim17ROCPRIM_400000_NS6detail17trampoline_kernelINS0_13select_configILj256ELj13ELNS0_17block_load_methodE3ELS4_3ELS4_3ELNS0_20block_scan_algorithmE0ELj4294967295EEENS1_25partition_config_selectorILNS1_17partition_subalgoE3EjNS0_10empty_typeEbEEZZNS1_14partition_implILS8_3ELb0ES6_jNS0_17counting_iteratorIjlEEPS9_SE_NS0_5tupleIJPjSE_EEENSF_IJSE_SE_EEES9_SG_JZNS1_25segmented_radix_sort_implINS0_14default_configELb1EPKfPfPKlPlN2at6native12_GLOBAL__N_18offset_tEEE10hipError_tPvRmT1_PNSt15iterator_traitsISY_E10value_typeET2_T3_PNSZ_IS14_E10value_typeET4_jRbjT5_S1A_jjP12ihipStream_tbEUljE_EEESV_SW_SX_S14_S18_S1A_T6_T7_T9_mT8_S1C_bDpT10_ENKUlT_T0_E_clISt17integral_constantIbLb0EES1P_EEDaS1K_S1L_EUlS1K_E_NS1_11comp_targetILNS1_3genE0ELNS1_11target_archE4294967295ELNS1_3gpuE0ELNS1_3repE0EEENS1_30default_config_static_selectorELNS0_4arch9wavefront6targetE1EEEvSY_.uses_flat_scratch, 0
	.set _ZN7rocprim17ROCPRIM_400000_NS6detail17trampoline_kernelINS0_13select_configILj256ELj13ELNS0_17block_load_methodE3ELS4_3ELS4_3ELNS0_20block_scan_algorithmE0ELj4294967295EEENS1_25partition_config_selectorILNS1_17partition_subalgoE3EjNS0_10empty_typeEbEEZZNS1_14partition_implILS8_3ELb0ES6_jNS0_17counting_iteratorIjlEEPS9_SE_NS0_5tupleIJPjSE_EEENSF_IJSE_SE_EEES9_SG_JZNS1_25segmented_radix_sort_implINS0_14default_configELb1EPKfPfPKlPlN2at6native12_GLOBAL__N_18offset_tEEE10hipError_tPvRmT1_PNSt15iterator_traitsISY_E10value_typeET2_T3_PNSZ_IS14_E10value_typeET4_jRbjT5_S1A_jjP12ihipStream_tbEUljE_EEESV_SW_SX_S14_S18_S1A_T6_T7_T9_mT8_S1C_bDpT10_ENKUlT_T0_E_clISt17integral_constantIbLb0EES1P_EEDaS1K_S1L_EUlS1K_E_NS1_11comp_targetILNS1_3genE0ELNS1_11target_archE4294967295ELNS1_3gpuE0ELNS1_3repE0EEENS1_30default_config_static_selectorELNS0_4arch9wavefront6targetE1EEEvSY_.has_dyn_sized_stack, 0
	.set _ZN7rocprim17ROCPRIM_400000_NS6detail17trampoline_kernelINS0_13select_configILj256ELj13ELNS0_17block_load_methodE3ELS4_3ELS4_3ELNS0_20block_scan_algorithmE0ELj4294967295EEENS1_25partition_config_selectorILNS1_17partition_subalgoE3EjNS0_10empty_typeEbEEZZNS1_14partition_implILS8_3ELb0ES6_jNS0_17counting_iteratorIjlEEPS9_SE_NS0_5tupleIJPjSE_EEENSF_IJSE_SE_EEES9_SG_JZNS1_25segmented_radix_sort_implINS0_14default_configELb1EPKfPfPKlPlN2at6native12_GLOBAL__N_18offset_tEEE10hipError_tPvRmT1_PNSt15iterator_traitsISY_E10value_typeET2_T3_PNSZ_IS14_E10value_typeET4_jRbjT5_S1A_jjP12ihipStream_tbEUljE_EEESV_SW_SX_S14_S18_S1A_T6_T7_T9_mT8_S1C_bDpT10_ENKUlT_T0_E_clISt17integral_constantIbLb0EES1P_EEDaS1K_S1L_EUlS1K_E_NS1_11comp_targetILNS1_3genE0ELNS1_11target_archE4294967295ELNS1_3gpuE0ELNS1_3repE0EEENS1_30default_config_static_selectorELNS0_4arch9wavefront6targetE1EEEvSY_.has_recursion, 0
	.set _ZN7rocprim17ROCPRIM_400000_NS6detail17trampoline_kernelINS0_13select_configILj256ELj13ELNS0_17block_load_methodE3ELS4_3ELS4_3ELNS0_20block_scan_algorithmE0ELj4294967295EEENS1_25partition_config_selectorILNS1_17partition_subalgoE3EjNS0_10empty_typeEbEEZZNS1_14partition_implILS8_3ELb0ES6_jNS0_17counting_iteratorIjlEEPS9_SE_NS0_5tupleIJPjSE_EEENSF_IJSE_SE_EEES9_SG_JZNS1_25segmented_radix_sort_implINS0_14default_configELb1EPKfPfPKlPlN2at6native12_GLOBAL__N_18offset_tEEE10hipError_tPvRmT1_PNSt15iterator_traitsISY_E10value_typeET2_T3_PNSZ_IS14_E10value_typeET4_jRbjT5_S1A_jjP12ihipStream_tbEUljE_EEESV_SW_SX_S14_S18_S1A_T6_T7_T9_mT8_S1C_bDpT10_ENKUlT_T0_E_clISt17integral_constantIbLb0EES1P_EEDaS1K_S1L_EUlS1K_E_NS1_11comp_targetILNS1_3genE0ELNS1_11target_archE4294967295ELNS1_3gpuE0ELNS1_3repE0EEENS1_30default_config_static_selectorELNS0_4arch9wavefront6targetE1EEEvSY_.has_indirect_call, 0
	.section	.AMDGPU.csdata,"",@progbits
; Kernel info:
; codeLenInByte = 0
; TotalNumSgprs: 4
; NumVgprs: 0
; ScratchSize: 0
; MemoryBound: 0
; FloatMode: 240
; IeeeMode: 1
; LDSByteSize: 0 bytes/workgroup (compile time only)
; SGPRBlocks: 0
; VGPRBlocks: 0
; NumSGPRsForWavesPerEU: 4
; NumVGPRsForWavesPerEU: 1
; Occupancy: 10
; WaveLimiterHint : 0
; COMPUTE_PGM_RSRC2:SCRATCH_EN: 0
; COMPUTE_PGM_RSRC2:USER_SGPR: 6
; COMPUTE_PGM_RSRC2:TRAP_HANDLER: 0
; COMPUTE_PGM_RSRC2:TGID_X_EN: 1
; COMPUTE_PGM_RSRC2:TGID_Y_EN: 0
; COMPUTE_PGM_RSRC2:TGID_Z_EN: 0
; COMPUTE_PGM_RSRC2:TIDIG_COMP_CNT: 0
	.section	.text._ZN7rocprim17ROCPRIM_400000_NS6detail17trampoline_kernelINS0_13select_configILj256ELj13ELNS0_17block_load_methodE3ELS4_3ELS4_3ELNS0_20block_scan_algorithmE0ELj4294967295EEENS1_25partition_config_selectorILNS1_17partition_subalgoE3EjNS0_10empty_typeEbEEZZNS1_14partition_implILS8_3ELb0ES6_jNS0_17counting_iteratorIjlEEPS9_SE_NS0_5tupleIJPjSE_EEENSF_IJSE_SE_EEES9_SG_JZNS1_25segmented_radix_sort_implINS0_14default_configELb1EPKfPfPKlPlN2at6native12_GLOBAL__N_18offset_tEEE10hipError_tPvRmT1_PNSt15iterator_traitsISY_E10value_typeET2_T3_PNSZ_IS14_E10value_typeET4_jRbjT5_S1A_jjP12ihipStream_tbEUljE_EEESV_SW_SX_S14_S18_S1A_T6_T7_T9_mT8_S1C_bDpT10_ENKUlT_T0_E_clISt17integral_constantIbLb0EES1P_EEDaS1K_S1L_EUlS1K_E_NS1_11comp_targetILNS1_3genE5ELNS1_11target_archE942ELNS1_3gpuE9ELNS1_3repE0EEENS1_30default_config_static_selectorELNS0_4arch9wavefront6targetE1EEEvSY_,"axG",@progbits,_ZN7rocprim17ROCPRIM_400000_NS6detail17trampoline_kernelINS0_13select_configILj256ELj13ELNS0_17block_load_methodE3ELS4_3ELS4_3ELNS0_20block_scan_algorithmE0ELj4294967295EEENS1_25partition_config_selectorILNS1_17partition_subalgoE3EjNS0_10empty_typeEbEEZZNS1_14partition_implILS8_3ELb0ES6_jNS0_17counting_iteratorIjlEEPS9_SE_NS0_5tupleIJPjSE_EEENSF_IJSE_SE_EEES9_SG_JZNS1_25segmented_radix_sort_implINS0_14default_configELb1EPKfPfPKlPlN2at6native12_GLOBAL__N_18offset_tEEE10hipError_tPvRmT1_PNSt15iterator_traitsISY_E10value_typeET2_T3_PNSZ_IS14_E10value_typeET4_jRbjT5_S1A_jjP12ihipStream_tbEUljE_EEESV_SW_SX_S14_S18_S1A_T6_T7_T9_mT8_S1C_bDpT10_ENKUlT_T0_E_clISt17integral_constantIbLb0EES1P_EEDaS1K_S1L_EUlS1K_E_NS1_11comp_targetILNS1_3genE5ELNS1_11target_archE942ELNS1_3gpuE9ELNS1_3repE0EEENS1_30default_config_static_selectorELNS0_4arch9wavefront6targetE1EEEvSY_,comdat
	.globl	_ZN7rocprim17ROCPRIM_400000_NS6detail17trampoline_kernelINS0_13select_configILj256ELj13ELNS0_17block_load_methodE3ELS4_3ELS4_3ELNS0_20block_scan_algorithmE0ELj4294967295EEENS1_25partition_config_selectorILNS1_17partition_subalgoE3EjNS0_10empty_typeEbEEZZNS1_14partition_implILS8_3ELb0ES6_jNS0_17counting_iteratorIjlEEPS9_SE_NS0_5tupleIJPjSE_EEENSF_IJSE_SE_EEES9_SG_JZNS1_25segmented_radix_sort_implINS0_14default_configELb1EPKfPfPKlPlN2at6native12_GLOBAL__N_18offset_tEEE10hipError_tPvRmT1_PNSt15iterator_traitsISY_E10value_typeET2_T3_PNSZ_IS14_E10value_typeET4_jRbjT5_S1A_jjP12ihipStream_tbEUljE_EEESV_SW_SX_S14_S18_S1A_T6_T7_T9_mT8_S1C_bDpT10_ENKUlT_T0_E_clISt17integral_constantIbLb0EES1P_EEDaS1K_S1L_EUlS1K_E_NS1_11comp_targetILNS1_3genE5ELNS1_11target_archE942ELNS1_3gpuE9ELNS1_3repE0EEENS1_30default_config_static_selectorELNS0_4arch9wavefront6targetE1EEEvSY_ ; -- Begin function _ZN7rocprim17ROCPRIM_400000_NS6detail17trampoline_kernelINS0_13select_configILj256ELj13ELNS0_17block_load_methodE3ELS4_3ELS4_3ELNS0_20block_scan_algorithmE0ELj4294967295EEENS1_25partition_config_selectorILNS1_17partition_subalgoE3EjNS0_10empty_typeEbEEZZNS1_14partition_implILS8_3ELb0ES6_jNS0_17counting_iteratorIjlEEPS9_SE_NS0_5tupleIJPjSE_EEENSF_IJSE_SE_EEES9_SG_JZNS1_25segmented_radix_sort_implINS0_14default_configELb1EPKfPfPKlPlN2at6native12_GLOBAL__N_18offset_tEEE10hipError_tPvRmT1_PNSt15iterator_traitsISY_E10value_typeET2_T3_PNSZ_IS14_E10value_typeET4_jRbjT5_S1A_jjP12ihipStream_tbEUljE_EEESV_SW_SX_S14_S18_S1A_T6_T7_T9_mT8_S1C_bDpT10_ENKUlT_T0_E_clISt17integral_constantIbLb0EES1P_EEDaS1K_S1L_EUlS1K_E_NS1_11comp_targetILNS1_3genE5ELNS1_11target_archE942ELNS1_3gpuE9ELNS1_3repE0EEENS1_30default_config_static_selectorELNS0_4arch9wavefront6targetE1EEEvSY_
	.p2align	8
	.type	_ZN7rocprim17ROCPRIM_400000_NS6detail17trampoline_kernelINS0_13select_configILj256ELj13ELNS0_17block_load_methodE3ELS4_3ELS4_3ELNS0_20block_scan_algorithmE0ELj4294967295EEENS1_25partition_config_selectorILNS1_17partition_subalgoE3EjNS0_10empty_typeEbEEZZNS1_14partition_implILS8_3ELb0ES6_jNS0_17counting_iteratorIjlEEPS9_SE_NS0_5tupleIJPjSE_EEENSF_IJSE_SE_EEES9_SG_JZNS1_25segmented_radix_sort_implINS0_14default_configELb1EPKfPfPKlPlN2at6native12_GLOBAL__N_18offset_tEEE10hipError_tPvRmT1_PNSt15iterator_traitsISY_E10value_typeET2_T3_PNSZ_IS14_E10value_typeET4_jRbjT5_S1A_jjP12ihipStream_tbEUljE_EEESV_SW_SX_S14_S18_S1A_T6_T7_T9_mT8_S1C_bDpT10_ENKUlT_T0_E_clISt17integral_constantIbLb0EES1P_EEDaS1K_S1L_EUlS1K_E_NS1_11comp_targetILNS1_3genE5ELNS1_11target_archE942ELNS1_3gpuE9ELNS1_3repE0EEENS1_30default_config_static_selectorELNS0_4arch9wavefront6targetE1EEEvSY_,@function
_ZN7rocprim17ROCPRIM_400000_NS6detail17trampoline_kernelINS0_13select_configILj256ELj13ELNS0_17block_load_methodE3ELS4_3ELS4_3ELNS0_20block_scan_algorithmE0ELj4294967295EEENS1_25partition_config_selectorILNS1_17partition_subalgoE3EjNS0_10empty_typeEbEEZZNS1_14partition_implILS8_3ELb0ES6_jNS0_17counting_iteratorIjlEEPS9_SE_NS0_5tupleIJPjSE_EEENSF_IJSE_SE_EEES9_SG_JZNS1_25segmented_radix_sort_implINS0_14default_configELb1EPKfPfPKlPlN2at6native12_GLOBAL__N_18offset_tEEE10hipError_tPvRmT1_PNSt15iterator_traitsISY_E10value_typeET2_T3_PNSZ_IS14_E10value_typeET4_jRbjT5_S1A_jjP12ihipStream_tbEUljE_EEESV_SW_SX_S14_S18_S1A_T6_T7_T9_mT8_S1C_bDpT10_ENKUlT_T0_E_clISt17integral_constantIbLb0EES1P_EEDaS1K_S1L_EUlS1K_E_NS1_11comp_targetILNS1_3genE5ELNS1_11target_archE942ELNS1_3gpuE9ELNS1_3repE0EEENS1_30default_config_static_selectorELNS0_4arch9wavefront6targetE1EEEvSY_: ; @_ZN7rocprim17ROCPRIM_400000_NS6detail17trampoline_kernelINS0_13select_configILj256ELj13ELNS0_17block_load_methodE3ELS4_3ELS4_3ELNS0_20block_scan_algorithmE0ELj4294967295EEENS1_25partition_config_selectorILNS1_17partition_subalgoE3EjNS0_10empty_typeEbEEZZNS1_14partition_implILS8_3ELb0ES6_jNS0_17counting_iteratorIjlEEPS9_SE_NS0_5tupleIJPjSE_EEENSF_IJSE_SE_EEES9_SG_JZNS1_25segmented_radix_sort_implINS0_14default_configELb1EPKfPfPKlPlN2at6native12_GLOBAL__N_18offset_tEEE10hipError_tPvRmT1_PNSt15iterator_traitsISY_E10value_typeET2_T3_PNSZ_IS14_E10value_typeET4_jRbjT5_S1A_jjP12ihipStream_tbEUljE_EEESV_SW_SX_S14_S18_S1A_T6_T7_T9_mT8_S1C_bDpT10_ENKUlT_T0_E_clISt17integral_constantIbLb0EES1P_EEDaS1K_S1L_EUlS1K_E_NS1_11comp_targetILNS1_3genE5ELNS1_11target_archE942ELNS1_3gpuE9ELNS1_3repE0EEENS1_30default_config_static_selectorELNS0_4arch9wavefront6targetE1EEEvSY_
; %bb.0:
	.section	.rodata,"a",@progbits
	.p2align	6, 0x0
	.amdhsa_kernel _ZN7rocprim17ROCPRIM_400000_NS6detail17trampoline_kernelINS0_13select_configILj256ELj13ELNS0_17block_load_methodE3ELS4_3ELS4_3ELNS0_20block_scan_algorithmE0ELj4294967295EEENS1_25partition_config_selectorILNS1_17partition_subalgoE3EjNS0_10empty_typeEbEEZZNS1_14partition_implILS8_3ELb0ES6_jNS0_17counting_iteratorIjlEEPS9_SE_NS0_5tupleIJPjSE_EEENSF_IJSE_SE_EEES9_SG_JZNS1_25segmented_radix_sort_implINS0_14default_configELb1EPKfPfPKlPlN2at6native12_GLOBAL__N_18offset_tEEE10hipError_tPvRmT1_PNSt15iterator_traitsISY_E10value_typeET2_T3_PNSZ_IS14_E10value_typeET4_jRbjT5_S1A_jjP12ihipStream_tbEUljE_EEESV_SW_SX_S14_S18_S1A_T6_T7_T9_mT8_S1C_bDpT10_ENKUlT_T0_E_clISt17integral_constantIbLb0EES1P_EEDaS1K_S1L_EUlS1K_E_NS1_11comp_targetILNS1_3genE5ELNS1_11target_archE942ELNS1_3gpuE9ELNS1_3repE0EEENS1_30default_config_static_selectorELNS0_4arch9wavefront6targetE1EEEvSY_
		.amdhsa_group_segment_fixed_size 0
		.amdhsa_private_segment_fixed_size 0
		.amdhsa_kernarg_size 144
		.amdhsa_user_sgpr_count 6
		.amdhsa_user_sgpr_private_segment_buffer 1
		.amdhsa_user_sgpr_dispatch_ptr 0
		.amdhsa_user_sgpr_queue_ptr 0
		.amdhsa_user_sgpr_kernarg_segment_ptr 1
		.amdhsa_user_sgpr_dispatch_id 0
		.amdhsa_user_sgpr_flat_scratch_init 0
		.amdhsa_user_sgpr_private_segment_size 0
		.amdhsa_uses_dynamic_stack 0
		.amdhsa_system_sgpr_private_segment_wavefront_offset 0
		.amdhsa_system_sgpr_workgroup_id_x 1
		.amdhsa_system_sgpr_workgroup_id_y 0
		.amdhsa_system_sgpr_workgroup_id_z 0
		.amdhsa_system_sgpr_workgroup_info 0
		.amdhsa_system_vgpr_workitem_id 0
		.amdhsa_next_free_vgpr 1
		.amdhsa_next_free_sgpr 0
		.amdhsa_reserve_vcc 0
		.amdhsa_reserve_flat_scratch 0
		.amdhsa_float_round_mode_32 0
		.amdhsa_float_round_mode_16_64 0
		.amdhsa_float_denorm_mode_32 3
		.amdhsa_float_denorm_mode_16_64 3
		.amdhsa_dx10_clamp 1
		.amdhsa_ieee_mode 1
		.amdhsa_fp16_overflow 0
		.amdhsa_exception_fp_ieee_invalid_op 0
		.amdhsa_exception_fp_denorm_src 0
		.amdhsa_exception_fp_ieee_div_zero 0
		.amdhsa_exception_fp_ieee_overflow 0
		.amdhsa_exception_fp_ieee_underflow 0
		.amdhsa_exception_fp_ieee_inexact 0
		.amdhsa_exception_int_div_zero 0
	.end_amdhsa_kernel
	.section	.text._ZN7rocprim17ROCPRIM_400000_NS6detail17trampoline_kernelINS0_13select_configILj256ELj13ELNS0_17block_load_methodE3ELS4_3ELS4_3ELNS0_20block_scan_algorithmE0ELj4294967295EEENS1_25partition_config_selectorILNS1_17partition_subalgoE3EjNS0_10empty_typeEbEEZZNS1_14partition_implILS8_3ELb0ES6_jNS0_17counting_iteratorIjlEEPS9_SE_NS0_5tupleIJPjSE_EEENSF_IJSE_SE_EEES9_SG_JZNS1_25segmented_radix_sort_implINS0_14default_configELb1EPKfPfPKlPlN2at6native12_GLOBAL__N_18offset_tEEE10hipError_tPvRmT1_PNSt15iterator_traitsISY_E10value_typeET2_T3_PNSZ_IS14_E10value_typeET4_jRbjT5_S1A_jjP12ihipStream_tbEUljE_EEESV_SW_SX_S14_S18_S1A_T6_T7_T9_mT8_S1C_bDpT10_ENKUlT_T0_E_clISt17integral_constantIbLb0EES1P_EEDaS1K_S1L_EUlS1K_E_NS1_11comp_targetILNS1_3genE5ELNS1_11target_archE942ELNS1_3gpuE9ELNS1_3repE0EEENS1_30default_config_static_selectorELNS0_4arch9wavefront6targetE1EEEvSY_,"axG",@progbits,_ZN7rocprim17ROCPRIM_400000_NS6detail17trampoline_kernelINS0_13select_configILj256ELj13ELNS0_17block_load_methodE3ELS4_3ELS4_3ELNS0_20block_scan_algorithmE0ELj4294967295EEENS1_25partition_config_selectorILNS1_17partition_subalgoE3EjNS0_10empty_typeEbEEZZNS1_14partition_implILS8_3ELb0ES6_jNS0_17counting_iteratorIjlEEPS9_SE_NS0_5tupleIJPjSE_EEENSF_IJSE_SE_EEES9_SG_JZNS1_25segmented_radix_sort_implINS0_14default_configELb1EPKfPfPKlPlN2at6native12_GLOBAL__N_18offset_tEEE10hipError_tPvRmT1_PNSt15iterator_traitsISY_E10value_typeET2_T3_PNSZ_IS14_E10value_typeET4_jRbjT5_S1A_jjP12ihipStream_tbEUljE_EEESV_SW_SX_S14_S18_S1A_T6_T7_T9_mT8_S1C_bDpT10_ENKUlT_T0_E_clISt17integral_constantIbLb0EES1P_EEDaS1K_S1L_EUlS1K_E_NS1_11comp_targetILNS1_3genE5ELNS1_11target_archE942ELNS1_3gpuE9ELNS1_3repE0EEENS1_30default_config_static_selectorELNS0_4arch9wavefront6targetE1EEEvSY_,comdat
.Lfunc_end1294:
	.size	_ZN7rocprim17ROCPRIM_400000_NS6detail17trampoline_kernelINS0_13select_configILj256ELj13ELNS0_17block_load_methodE3ELS4_3ELS4_3ELNS0_20block_scan_algorithmE0ELj4294967295EEENS1_25partition_config_selectorILNS1_17partition_subalgoE3EjNS0_10empty_typeEbEEZZNS1_14partition_implILS8_3ELb0ES6_jNS0_17counting_iteratorIjlEEPS9_SE_NS0_5tupleIJPjSE_EEENSF_IJSE_SE_EEES9_SG_JZNS1_25segmented_radix_sort_implINS0_14default_configELb1EPKfPfPKlPlN2at6native12_GLOBAL__N_18offset_tEEE10hipError_tPvRmT1_PNSt15iterator_traitsISY_E10value_typeET2_T3_PNSZ_IS14_E10value_typeET4_jRbjT5_S1A_jjP12ihipStream_tbEUljE_EEESV_SW_SX_S14_S18_S1A_T6_T7_T9_mT8_S1C_bDpT10_ENKUlT_T0_E_clISt17integral_constantIbLb0EES1P_EEDaS1K_S1L_EUlS1K_E_NS1_11comp_targetILNS1_3genE5ELNS1_11target_archE942ELNS1_3gpuE9ELNS1_3repE0EEENS1_30default_config_static_selectorELNS0_4arch9wavefront6targetE1EEEvSY_, .Lfunc_end1294-_ZN7rocprim17ROCPRIM_400000_NS6detail17trampoline_kernelINS0_13select_configILj256ELj13ELNS0_17block_load_methodE3ELS4_3ELS4_3ELNS0_20block_scan_algorithmE0ELj4294967295EEENS1_25partition_config_selectorILNS1_17partition_subalgoE3EjNS0_10empty_typeEbEEZZNS1_14partition_implILS8_3ELb0ES6_jNS0_17counting_iteratorIjlEEPS9_SE_NS0_5tupleIJPjSE_EEENSF_IJSE_SE_EEES9_SG_JZNS1_25segmented_radix_sort_implINS0_14default_configELb1EPKfPfPKlPlN2at6native12_GLOBAL__N_18offset_tEEE10hipError_tPvRmT1_PNSt15iterator_traitsISY_E10value_typeET2_T3_PNSZ_IS14_E10value_typeET4_jRbjT5_S1A_jjP12ihipStream_tbEUljE_EEESV_SW_SX_S14_S18_S1A_T6_T7_T9_mT8_S1C_bDpT10_ENKUlT_T0_E_clISt17integral_constantIbLb0EES1P_EEDaS1K_S1L_EUlS1K_E_NS1_11comp_targetILNS1_3genE5ELNS1_11target_archE942ELNS1_3gpuE9ELNS1_3repE0EEENS1_30default_config_static_selectorELNS0_4arch9wavefront6targetE1EEEvSY_
                                        ; -- End function
	.set _ZN7rocprim17ROCPRIM_400000_NS6detail17trampoline_kernelINS0_13select_configILj256ELj13ELNS0_17block_load_methodE3ELS4_3ELS4_3ELNS0_20block_scan_algorithmE0ELj4294967295EEENS1_25partition_config_selectorILNS1_17partition_subalgoE3EjNS0_10empty_typeEbEEZZNS1_14partition_implILS8_3ELb0ES6_jNS0_17counting_iteratorIjlEEPS9_SE_NS0_5tupleIJPjSE_EEENSF_IJSE_SE_EEES9_SG_JZNS1_25segmented_radix_sort_implINS0_14default_configELb1EPKfPfPKlPlN2at6native12_GLOBAL__N_18offset_tEEE10hipError_tPvRmT1_PNSt15iterator_traitsISY_E10value_typeET2_T3_PNSZ_IS14_E10value_typeET4_jRbjT5_S1A_jjP12ihipStream_tbEUljE_EEESV_SW_SX_S14_S18_S1A_T6_T7_T9_mT8_S1C_bDpT10_ENKUlT_T0_E_clISt17integral_constantIbLb0EES1P_EEDaS1K_S1L_EUlS1K_E_NS1_11comp_targetILNS1_3genE5ELNS1_11target_archE942ELNS1_3gpuE9ELNS1_3repE0EEENS1_30default_config_static_selectorELNS0_4arch9wavefront6targetE1EEEvSY_.num_vgpr, 0
	.set _ZN7rocprim17ROCPRIM_400000_NS6detail17trampoline_kernelINS0_13select_configILj256ELj13ELNS0_17block_load_methodE3ELS4_3ELS4_3ELNS0_20block_scan_algorithmE0ELj4294967295EEENS1_25partition_config_selectorILNS1_17partition_subalgoE3EjNS0_10empty_typeEbEEZZNS1_14partition_implILS8_3ELb0ES6_jNS0_17counting_iteratorIjlEEPS9_SE_NS0_5tupleIJPjSE_EEENSF_IJSE_SE_EEES9_SG_JZNS1_25segmented_radix_sort_implINS0_14default_configELb1EPKfPfPKlPlN2at6native12_GLOBAL__N_18offset_tEEE10hipError_tPvRmT1_PNSt15iterator_traitsISY_E10value_typeET2_T3_PNSZ_IS14_E10value_typeET4_jRbjT5_S1A_jjP12ihipStream_tbEUljE_EEESV_SW_SX_S14_S18_S1A_T6_T7_T9_mT8_S1C_bDpT10_ENKUlT_T0_E_clISt17integral_constantIbLb0EES1P_EEDaS1K_S1L_EUlS1K_E_NS1_11comp_targetILNS1_3genE5ELNS1_11target_archE942ELNS1_3gpuE9ELNS1_3repE0EEENS1_30default_config_static_selectorELNS0_4arch9wavefront6targetE1EEEvSY_.num_agpr, 0
	.set _ZN7rocprim17ROCPRIM_400000_NS6detail17trampoline_kernelINS0_13select_configILj256ELj13ELNS0_17block_load_methodE3ELS4_3ELS4_3ELNS0_20block_scan_algorithmE0ELj4294967295EEENS1_25partition_config_selectorILNS1_17partition_subalgoE3EjNS0_10empty_typeEbEEZZNS1_14partition_implILS8_3ELb0ES6_jNS0_17counting_iteratorIjlEEPS9_SE_NS0_5tupleIJPjSE_EEENSF_IJSE_SE_EEES9_SG_JZNS1_25segmented_radix_sort_implINS0_14default_configELb1EPKfPfPKlPlN2at6native12_GLOBAL__N_18offset_tEEE10hipError_tPvRmT1_PNSt15iterator_traitsISY_E10value_typeET2_T3_PNSZ_IS14_E10value_typeET4_jRbjT5_S1A_jjP12ihipStream_tbEUljE_EEESV_SW_SX_S14_S18_S1A_T6_T7_T9_mT8_S1C_bDpT10_ENKUlT_T0_E_clISt17integral_constantIbLb0EES1P_EEDaS1K_S1L_EUlS1K_E_NS1_11comp_targetILNS1_3genE5ELNS1_11target_archE942ELNS1_3gpuE9ELNS1_3repE0EEENS1_30default_config_static_selectorELNS0_4arch9wavefront6targetE1EEEvSY_.numbered_sgpr, 0
	.set _ZN7rocprim17ROCPRIM_400000_NS6detail17trampoline_kernelINS0_13select_configILj256ELj13ELNS0_17block_load_methodE3ELS4_3ELS4_3ELNS0_20block_scan_algorithmE0ELj4294967295EEENS1_25partition_config_selectorILNS1_17partition_subalgoE3EjNS0_10empty_typeEbEEZZNS1_14partition_implILS8_3ELb0ES6_jNS0_17counting_iteratorIjlEEPS9_SE_NS0_5tupleIJPjSE_EEENSF_IJSE_SE_EEES9_SG_JZNS1_25segmented_radix_sort_implINS0_14default_configELb1EPKfPfPKlPlN2at6native12_GLOBAL__N_18offset_tEEE10hipError_tPvRmT1_PNSt15iterator_traitsISY_E10value_typeET2_T3_PNSZ_IS14_E10value_typeET4_jRbjT5_S1A_jjP12ihipStream_tbEUljE_EEESV_SW_SX_S14_S18_S1A_T6_T7_T9_mT8_S1C_bDpT10_ENKUlT_T0_E_clISt17integral_constantIbLb0EES1P_EEDaS1K_S1L_EUlS1K_E_NS1_11comp_targetILNS1_3genE5ELNS1_11target_archE942ELNS1_3gpuE9ELNS1_3repE0EEENS1_30default_config_static_selectorELNS0_4arch9wavefront6targetE1EEEvSY_.num_named_barrier, 0
	.set _ZN7rocprim17ROCPRIM_400000_NS6detail17trampoline_kernelINS0_13select_configILj256ELj13ELNS0_17block_load_methodE3ELS4_3ELS4_3ELNS0_20block_scan_algorithmE0ELj4294967295EEENS1_25partition_config_selectorILNS1_17partition_subalgoE3EjNS0_10empty_typeEbEEZZNS1_14partition_implILS8_3ELb0ES6_jNS0_17counting_iteratorIjlEEPS9_SE_NS0_5tupleIJPjSE_EEENSF_IJSE_SE_EEES9_SG_JZNS1_25segmented_radix_sort_implINS0_14default_configELb1EPKfPfPKlPlN2at6native12_GLOBAL__N_18offset_tEEE10hipError_tPvRmT1_PNSt15iterator_traitsISY_E10value_typeET2_T3_PNSZ_IS14_E10value_typeET4_jRbjT5_S1A_jjP12ihipStream_tbEUljE_EEESV_SW_SX_S14_S18_S1A_T6_T7_T9_mT8_S1C_bDpT10_ENKUlT_T0_E_clISt17integral_constantIbLb0EES1P_EEDaS1K_S1L_EUlS1K_E_NS1_11comp_targetILNS1_3genE5ELNS1_11target_archE942ELNS1_3gpuE9ELNS1_3repE0EEENS1_30default_config_static_selectorELNS0_4arch9wavefront6targetE1EEEvSY_.private_seg_size, 0
	.set _ZN7rocprim17ROCPRIM_400000_NS6detail17trampoline_kernelINS0_13select_configILj256ELj13ELNS0_17block_load_methodE3ELS4_3ELS4_3ELNS0_20block_scan_algorithmE0ELj4294967295EEENS1_25partition_config_selectorILNS1_17partition_subalgoE3EjNS0_10empty_typeEbEEZZNS1_14partition_implILS8_3ELb0ES6_jNS0_17counting_iteratorIjlEEPS9_SE_NS0_5tupleIJPjSE_EEENSF_IJSE_SE_EEES9_SG_JZNS1_25segmented_radix_sort_implINS0_14default_configELb1EPKfPfPKlPlN2at6native12_GLOBAL__N_18offset_tEEE10hipError_tPvRmT1_PNSt15iterator_traitsISY_E10value_typeET2_T3_PNSZ_IS14_E10value_typeET4_jRbjT5_S1A_jjP12ihipStream_tbEUljE_EEESV_SW_SX_S14_S18_S1A_T6_T7_T9_mT8_S1C_bDpT10_ENKUlT_T0_E_clISt17integral_constantIbLb0EES1P_EEDaS1K_S1L_EUlS1K_E_NS1_11comp_targetILNS1_3genE5ELNS1_11target_archE942ELNS1_3gpuE9ELNS1_3repE0EEENS1_30default_config_static_selectorELNS0_4arch9wavefront6targetE1EEEvSY_.uses_vcc, 0
	.set _ZN7rocprim17ROCPRIM_400000_NS6detail17trampoline_kernelINS0_13select_configILj256ELj13ELNS0_17block_load_methodE3ELS4_3ELS4_3ELNS0_20block_scan_algorithmE0ELj4294967295EEENS1_25partition_config_selectorILNS1_17partition_subalgoE3EjNS0_10empty_typeEbEEZZNS1_14partition_implILS8_3ELb0ES6_jNS0_17counting_iteratorIjlEEPS9_SE_NS0_5tupleIJPjSE_EEENSF_IJSE_SE_EEES9_SG_JZNS1_25segmented_radix_sort_implINS0_14default_configELb1EPKfPfPKlPlN2at6native12_GLOBAL__N_18offset_tEEE10hipError_tPvRmT1_PNSt15iterator_traitsISY_E10value_typeET2_T3_PNSZ_IS14_E10value_typeET4_jRbjT5_S1A_jjP12ihipStream_tbEUljE_EEESV_SW_SX_S14_S18_S1A_T6_T7_T9_mT8_S1C_bDpT10_ENKUlT_T0_E_clISt17integral_constantIbLb0EES1P_EEDaS1K_S1L_EUlS1K_E_NS1_11comp_targetILNS1_3genE5ELNS1_11target_archE942ELNS1_3gpuE9ELNS1_3repE0EEENS1_30default_config_static_selectorELNS0_4arch9wavefront6targetE1EEEvSY_.uses_flat_scratch, 0
	.set _ZN7rocprim17ROCPRIM_400000_NS6detail17trampoline_kernelINS0_13select_configILj256ELj13ELNS0_17block_load_methodE3ELS4_3ELS4_3ELNS0_20block_scan_algorithmE0ELj4294967295EEENS1_25partition_config_selectorILNS1_17partition_subalgoE3EjNS0_10empty_typeEbEEZZNS1_14partition_implILS8_3ELb0ES6_jNS0_17counting_iteratorIjlEEPS9_SE_NS0_5tupleIJPjSE_EEENSF_IJSE_SE_EEES9_SG_JZNS1_25segmented_radix_sort_implINS0_14default_configELb1EPKfPfPKlPlN2at6native12_GLOBAL__N_18offset_tEEE10hipError_tPvRmT1_PNSt15iterator_traitsISY_E10value_typeET2_T3_PNSZ_IS14_E10value_typeET4_jRbjT5_S1A_jjP12ihipStream_tbEUljE_EEESV_SW_SX_S14_S18_S1A_T6_T7_T9_mT8_S1C_bDpT10_ENKUlT_T0_E_clISt17integral_constantIbLb0EES1P_EEDaS1K_S1L_EUlS1K_E_NS1_11comp_targetILNS1_3genE5ELNS1_11target_archE942ELNS1_3gpuE9ELNS1_3repE0EEENS1_30default_config_static_selectorELNS0_4arch9wavefront6targetE1EEEvSY_.has_dyn_sized_stack, 0
	.set _ZN7rocprim17ROCPRIM_400000_NS6detail17trampoline_kernelINS0_13select_configILj256ELj13ELNS0_17block_load_methodE3ELS4_3ELS4_3ELNS0_20block_scan_algorithmE0ELj4294967295EEENS1_25partition_config_selectorILNS1_17partition_subalgoE3EjNS0_10empty_typeEbEEZZNS1_14partition_implILS8_3ELb0ES6_jNS0_17counting_iteratorIjlEEPS9_SE_NS0_5tupleIJPjSE_EEENSF_IJSE_SE_EEES9_SG_JZNS1_25segmented_radix_sort_implINS0_14default_configELb1EPKfPfPKlPlN2at6native12_GLOBAL__N_18offset_tEEE10hipError_tPvRmT1_PNSt15iterator_traitsISY_E10value_typeET2_T3_PNSZ_IS14_E10value_typeET4_jRbjT5_S1A_jjP12ihipStream_tbEUljE_EEESV_SW_SX_S14_S18_S1A_T6_T7_T9_mT8_S1C_bDpT10_ENKUlT_T0_E_clISt17integral_constantIbLb0EES1P_EEDaS1K_S1L_EUlS1K_E_NS1_11comp_targetILNS1_3genE5ELNS1_11target_archE942ELNS1_3gpuE9ELNS1_3repE0EEENS1_30default_config_static_selectorELNS0_4arch9wavefront6targetE1EEEvSY_.has_recursion, 0
	.set _ZN7rocprim17ROCPRIM_400000_NS6detail17trampoline_kernelINS0_13select_configILj256ELj13ELNS0_17block_load_methodE3ELS4_3ELS4_3ELNS0_20block_scan_algorithmE0ELj4294967295EEENS1_25partition_config_selectorILNS1_17partition_subalgoE3EjNS0_10empty_typeEbEEZZNS1_14partition_implILS8_3ELb0ES6_jNS0_17counting_iteratorIjlEEPS9_SE_NS0_5tupleIJPjSE_EEENSF_IJSE_SE_EEES9_SG_JZNS1_25segmented_radix_sort_implINS0_14default_configELb1EPKfPfPKlPlN2at6native12_GLOBAL__N_18offset_tEEE10hipError_tPvRmT1_PNSt15iterator_traitsISY_E10value_typeET2_T3_PNSZ_IS14_E10value_typeET4_jRbjT5_S1A_jjP12ihipStream_tbEUljE_EEESV_SW_SX_S14_S18_S1A_T6_T7_T9_mT8_S1C_bDpT10_ENKUlT_T0_E_clISt17integral_constantIbLb0EES1P_EEDaS1K_S1L_EUlS1K_E_NS1_11comp_targetILNS1_3genE5ELNS1_11target_archE942ELNS1_3gpuE9ELNS1_3repE0EEENS1_30default_config_static_selectorELNS0_4arch9wavefront6targetE1EEEvSY_.has_indirect_call, 0
	.section	.AMDGPU.csdata,"",@progbits
; Kernel info:
; codeLenInByte = 0
; TotalNumSgprs: 4
; NumVgprs: 0
; ScratchSize: 0
; MemoryBound: 0
; FloatMode: 240
; IeeeMode: 1
; LDSByteSize: 0 bytes/workgroup (compile time only)
; SGPRBlocks: 0
; VGPRBlocks: 0
; NumSGPRsForWavesPerEU: 4
; NumVGPRsForWavesPerEU: 1
; Occupancy: 10
; WaveLimiterHint : 0
; COMPUTE_PGM_RSRC2:SCRATCH_EN: 0
; COMPUTE_PGM_RSRC2:USER_SGPR: 6
; COMPUTE_PGM_RSRC2:TRAP_HANDLER: 0
; COMPUTE_PGM_RSRC2:TGID_X_EN: 1
; COMPUTE_PGM_RSRC2:TGID_Y_EN: 0
; COMPUTE_PGM_RSRC2:TGID_Z_EN: 0
; COMPUTE_PGM_RSRC2:TIDIG_COMP_CNT: 0
	.section	.text._ZN7rocprim17ROCPRIM_400000_NS6detail17trampoline_kernelINS0_13select_configILj256ELj13ELNS0_17block_load_methodE3ELS4_3ELS4_3ELNS0_20block_scan_algorithmE0ELj4294967295EEENS1_25partition_config_selectorILNS1_17partition_subalgoE3EjNS0_10empty_typeEbEEZZNS1_14partition_implILS8_3ELb0ES6_jNS0_17counting_iteratorIjlEEPS9_SE_NS0_5tupleIJPjSE_EEENSF_IJSE_SE_EEES9_SG_JZNS1_25segmented_radix_sort_implINS0_14default_configELb1EPKfPfPKlPlN2at6native12_GLOBAL__N_18offset_tEEE10hipError_tPvRmT1_PNSt15iterator_traitsISY_E10value_typeET2_T3_PNSZ_IS14_E10value_typeET4_jRbjT5_S1A_jjP12ihipStream_tbEUljE_EEESV_SW_SX_S14_S18_S1A_T6_T7_T9_mT8_S1C_bDpT10_ENKUlT_T0_E_clISt17integral_constantIbLb0EES1P_EEDaS1K_S1L_EUlS1K_E_NS1_11comp_targetILNS1_3genE4ELNS1_11target_archE910ELNS1_3gpuE8ELNS1_3repE0EEENS1_30default_config_static_selectorELNS0_4arch9wavefront6targetE1EEEvSY_,"axG",@progbits,_ZN7rocprim17ROCPRIM_400000_NS6detail17trampoline_kernelINS0_13select_configILj256ELj13ELNS0_17block_load_methodE3ELS4_3ELS4_3ELNS0_20block_scan_algorithmE0ELj4294967295EEENS1_25partition_config_selectorILNS1_17partition_subalgoE3EjNS0_10empty_typeEbEEZZNS1_14partition_implILS8_3ELb0ES6_jNS0_17counting_iteratorIjlEEPS9_SE_NS0_5tupleIJPjSE_EEENSF_IJSE_SE_EEES9_SG_JZNS1_25segmented_radix_sort_implINS0_14default_configELb1EPKfPfPKlPlN2at6native12_GLOBAL__N_18offset_tEEE10hipError_tPvRmT1_PNSt15iterator_traitsISY_E10value_typeET2_T3_PNSZ_IS14_E10value_typeET4_jRbjT5_S1A_jjP12ihipStream_tbEUljE_EEESV_SW_SX_S14_S18_S1A_T6_T7_T9_mT8_S1C_bDpT10_ENKUlT_T0_E_clISt17integral_constantIbLb0EES1P_EEDaS1K_S1L_EUlS1K_E_NS1_11comp_targetILNS1_3genE4ELNS1_11target_archE910ELNS1_3gpuE8ELNS1_3repE0EEENS1_30default_config_static_selectorELNS0_4arch9wavefront6targetE1EEEvSY_,comdat
	.globl	_ZN7rocprim17ROCPRIM_400000_NS6detail17trampoline_kernelINS0_13select_configILj256ELj13ELNS0_17block_load_methodE3ELS4_3ELS4_3ELNS0_20block_scan_algorithmE0ELj4294967295EEENS1_25partition_config_selectorILNS1_17partition_subalgoE3EjNS0_10empty_typeEbEEZZNS1_14partition_implILS8_3ELb0ES6_jNS0_17counting_iteratorIjlEEPS9_SE_NS0_5tupleIJPjSE_EEENSF_IJSE_SE_EEES9_SG_JZNS1_25segmented_radix_sort_implINS0_14default_configELb1EPKfPfPKlPlN2at6native12_GLOBAL__N_18offset_tEEE10hipError_tPvRmT1_PNSt15iterator_traitsISY_E10value_typeET2_T3_PNSZ_IS14_E10value_typeET4_jRbjT5_S1A_jjP12ihipStream_tbEUljE_EEESV_SW_SX_S14_S18_S1A_T6_T7_T9_mT8_S1C_bDpT10_ENKUlT_T0_E_clISt17integral_constantIbLb0EES1P_EEDaS1K_S1L_EUlS1K_E_NS1_11comp_targetILNS1_3genE4ELNS1_11target_archE910ELNS1_3gpuE8ELNS1_3repE0EEENS1_30default_config_static_selectorELNS0_4arch9wavefront6targetE1EEEvSY_ ; -- Begin function _ZN7rocprim17ROCPRIM_400000_NS6detail17trampoline_kernelINS0_13select_configILj256ELj13ELNS0_17block_load_methodE3ELS4_3ELS4_3ELNS0_20block_scan_algorithmE0ELj4294967295EEENS1_25partition_config_selectorILNS1_17partition_subalgoE3EjNS0_10empty_typeEbEEZZNS1_14partition_implILS8_3ELb0ES6_jNS0_17counting_iteratorIjlEEPS9_SE_NS0_5tupleIJPjSE_EEENSF_IJSE_SE_EEES9_SG_JZNS1_25segmented_radix_sort_implINS0_14default_configELb1EPKfPfPKlPlN2at6native12_GLOBAL__N_18offset_tEEE10hipError_tPvRmT1_PNSt15iterator_traitsISY_E10value_typeET2_T3_PNSZ_IS14_E10value_typeET4_jRbjT5_S1A_jjP12ihipStream_tbEUljE_EEESV_SW_SX_S14_S18_S1A_T6_T7_T9_mT8_S1C_bDpT10_ENKUlT_T0_E_clISt17integral_constantIbLb0EES1P_EEDaS1K_S1L_EUlS1K_E_NS1_11comp_targetILNS1_3genE4ELNS1_11target_archE910ELNS1_3gpuE8ELNS1_3repE0EEENS1_30default_config_static_selectorELNS0_4arch9wavefront6targetE1EEEvSY_
	.p2align	8
	.type	_ZN7rocprim17ROCPRIM_400000_NS6detail17trampoline_kernelINS0_13select_configILj256ELj13ELNS0_17block_load_methodE3ELS4_3ELS4_3ELNS0_20block_scan_algorithmE0ELj4294967295EEENS1_25partition_config_selectorILNS1_17partition_subalgoE3EjNS0_10empty_typeEbEEZZNS1_14partition_implILS8_3ELb0ES6_jNS0_17counting_iteratorIjlEEPS9_SE_NS0_5tupleIJPjSE_EEENSF_IJSE_SE_EEES9_SG_JZNS1_25segmented_radix_sort_implINS0_14default_configELb1EPKfPfPKlPlN2at6native12_GLOBAL__N_18offset_tEEE10hipError_tPvRmT1_PNSt15iterator_traitsISY_E10value_typeET2_T3_PNSZ_IS14_E10value_typeET4_jRbjT5_S1A_jjP12ihipStream_tbEUljE_EEESV_SW_SX_S14_S18_S1A_T6_T7_T9_mT8_S1C_bDpT10_ENKUlT_T0_E_clISt17integral_constantIbLb0EES1P_EEDaS1K_S1L_EUlS1K_E_NS1_11comp_targetILNS1_3genE4ELNS1_11target_archE910ELNS1_3gpuE8ELNS1_3repE0EEENS1_30default_config_static_selectorELNS0_4arch9wavefront6targetE1EEEvSY_,@function
_ZN7rocprim17ROCPRIM_400000_NS6detail17trampoline_kernelINS0_13select_configILj256ELj13ELNS0_17block_load_methodE3ELS4_3ELS4_3ELNS0_20block_scan_algorithmE0ELj4294967295EEENS1_25partition_config_selectorILNS1_17partition_subalgoE3EjNS0_10empty_typeEbEEZZNS1_14partition_implILS8_3ELb0ES6_jNS0_17counting_iteratorIjlEEPS9_SE_NS0_5tupleIJPjSE_EEENSF_IJSE_SE_EEES9_SG_JZNS1_25segmented_radix_sort_implINS0_14default_configELb1EPKfPfPKlPlN2at6native12_GLOBAL__N_18offset_tEEE10hipError_tPvRmT1_PNSt15iterator_traitsISY_E10value_typeET2_T3_PNSZ_IS14_E10value_typeET4_jRbjT5_S1A_jjP12ihipStream_tbEUljE_EEESV_SW_SX_S14_S18_S1A_T6_T7_T9_mT8_S1C_bDpT10_ENKUlT_T0_E_clISt17integral_constantIbLb0EES1P_EEDaS1K_S1L_EUlS1K_E_NS1_11comp_targetILNS1_3genE4ELNS1_11target_archE910ELNS1_3gpuE8ELNS1_3repE0EEENS1_30default_config_static_selectorELNS0_4arch9wavefront6targetE1EEEvSY_: ; @_ZN7rocprim17ROCPRIM_400000_NS6detail17trampoline_kernelINS0_13select_configILj256ELj13ELNS0_17block_load_methodE3ELS4_3ELS4_3ELNS0_20block_scan_algorithmE0ELj4294967295EEENS1_25partition_config_selectorILNS1_17partition_subalgoE3EjNS0_10empty_typeEbEEZZNS1_14partition_implILS8_3ELb0ES6_jNS0_17counting_iteratorIjlEEPS9_SE_NS0_5tupleIJPjSE_EEENSF_IJSE_SE_EEES9_SG_JZNS1_25segmented_radix_sort_implINS0_14default_configELb1EPKfPfPKlPlN2at6native12_GLOBAL__N_18offset_tEEE10hipError_tPvRmT1_PNSt15iterator_traitsISY_E10value_typeET2_T3_PNSZ_IS14_E10value_typeET4_jRbjT5_S1A_jjP12ihipStream_tbEUljE_EEESV_SW_SX_S14_S18_S1A_T6_T7_T9_mT8_S1C_bDpT10_ENKUlT_T0_E_clISt17integral_constantIbLb0EES1P_EEDaS1K_S1L_EUlS1K_E_NS1_11comp_targetILNS1_3genE4ELNS1_11target_archE910ELNS1_3gpuE8ELNS1_3repE0EEENS1_30default_config_static_selectorELNS0_4arch9wavefront6targetE1EEEvSY_
; %bb.0:
	.section	.rodata,"a",@progbits
	.p2align	6, 0x0
	.amdhsa_kernel _ZN7rocprim17ROCPRIM_400000_NS6detail17trampoline_kernelINS0_13select_configILj256ELj13ELNS0_17block_load_methodE3ELS4_3ELS4_3ELNS0_20block_scan_algorithmE0ELj4294967295EEENS1_25partition_config_selectorILNS1_17partition_subalgoE3EjNS0_10empty_typeEbEEZZNS1_14partition_implILS8_3ELb0ES6_jNS0_17counting_iteratorIjlEEPS9_SE_NS0_5tupleIJPjSE_EEENSF_IJSE_SE_EEES9_SG_JZNS1_25segmented_radix_sort_implINS0_14default_configELb1EPKfPfPKlPlN2at6native12_GLOBAL__N_18offset_tEEE10hipError_tPvRmT1_PNSt15iterator_traitsISY_E10value_typeET2_T3_PNSZ_IS14_E10value_typeET4_jRbjT5_S1A_jjP12ihipStream_tbEUljE_EEESV_SW_SX_S14_S18_S1A_T6_T7_T9_mT8_S1C_bDpT10_ENKUlT_T0_E_clISt17integral_constantIbLb0EES1P_EEDaS1K_S1L_EUlS1K_E_NS1_11comp_targetILNS1_3genE4ELNS1_11target_archE910ELNS1_3gpuE8ELNS1_3repE0EEENS1_30default_config_static_selectorELNS0_4arch9wavefront6targetE1EEEvSY_
		.amdhsa_group_segment_fixed_size 0
		.amdhsa_private_segment_fixed_size 0
		.amdhsa_kernarg_size 144
		.amdhsa_user_sgpr_count 6
		.amdhsa_user_sgpr_private_segment_buffer 1
		.amdhsa_user_sgpr_dispatch_ptr 0
		.amdhsa_user_sgpr_queue_ptr 0
		.amdhsa_user_sgpr_kernarg_segment_ptr 1
		.amdhsa_user_sgpr_dispatch_id 0
		.amdhsa_user_sgpr_flat_scratch_init 0
		.amdhsa_user_sgpr_private_segment_size 0
		.amdhsa_uses_dynamic_stack 0
		.amdhsa_system_sgpr_private_segment_wavefront_offset 0
		.amdhsa_system_sgpr_workgroup_id_x 1
		.amdhsa_system_sgpr_workgroup_id_y 0
		.amdhsa_system_sgpr_workgroup_id_z 0
		.amdhsa_system_sgpr_workgroup_info 0
		.amdhsa_system_vgpr_workitem_id 0
		.amdhsa_next_free_vgpr 1
		.amdhsa_next_free_sgpr 0
		.amdhsa_reserve_vcc 0
		.amdhsa_reserve_flat_scratch 0
		.amdhsa_float_round_mode_32 0
		.amdhsa_float_round_mode_16_64 0
		.amdhsa_float_denorm_mode_32 3
		.amdhsa_float_denorm_mode_16_64 3
		.amdhsa_dx10_clamp 1
		.amdhsa_ieee_mode 1
		.amdhsa_fp16_overflow 0
		.amdhsa_exception_fp_ieee_invalid_op 0
		.amdhsa_exception_fp_denorm_src 0
		.amdhsa_exception_fp_ieee_div_zero 0
		.amdhsa_exception_fp_ieee_overflow 0
		.amdhsa_exception_fp_ieee_underflow 0
		.amdhsa_exception_fp_ieee_inexact 0
		.amdhsa_exception_int_div_zero 0
	.end_amdhsa_kernel
	.section	.text._ZN7rocprim17ROCPRIM_400000_NS6detail17trampoline_kernelINS0_13select_configILj256ELj13ELNS0_17block_load_methodE3ELS4_3ELS4_3ELNS0_20block_scan_algorithmE0ELj4294967295EEENS1_25partition_config_selectorILNS1_17partition_subalgoE3EjNS0_10empty_typeEbEEZZNS1_14partition_implILS8_3ELb0ES6_jNS0_17counting_iteratorIjlEEPS9_SE_NS0_5tupleIJPjSE_EEENSF_IJSE_SE_EEES9_SG_JZNS1_25segmented_radix_sort_implINS0_14default_configELb1EPKfPfPKlPlN2at6native12_GLOBAL__N_18offset_tEEE10hipError_tPvRmT1_PNSt15iterator_traitsISY_E10value_typeET2_T3_PNSZ_IS14_E10value_typeET4_jRbjT5_S1A_jjP12ihipStream_tbEUljE_EEESV_SW_SX_S14_S18_S1A_T6_T7_T9_mT8_S1C_bDpT10_ENKUlT_T0_E_clISt17integral_constantIbLb0EES1P_EEDaS1K_S1L_EUlS1K_E_NS1_11comp_targetILNS1_3genE4ELNS1_11target_archE910ELNS1_3gpuE8ELNS1_3repE0EEENS1_30default_config_static_selectorELNS0_4arch9wavefront6targetE1EEEvSY_,"axG",@progbits,_ZN7rocprim17ROCPRIM_400000_NS6detail17trampoline_kernelINS0_13select_configILj256ELj13ELNS0_17block_load_methodE3ELS4_3ELS4_3ELNS0_20block_scan_algorithmE0ELj4294967295EEENS1_25partition_config_selectorILNS1_17partition_subalgoE3EjNS0_10empty_typeEbEEZZNS1_14partition_implILS8_3ELb0ES6_jNS0_17counting_iteratorIjlEEPS9_SE_NS0_5tupleIJPjSE_EEENSF_IJSE_SE_EEES9_SG_JZNS1_25segmented_radix_sort_implINS0_14default_configELb1EPKfPfPKlPlN2at6native12_GLOBAL__N_18offset_tEEE10hipError_tPvRmT1_PNSt15iterator_traitsISY_E10value_typeET2_T3_PNSZ_IS14_E10value_typeET4_jRbjT5_S1A_jjP12ihipStream_tbEUljE_EEESV_SW_SX_S14_S18_S1A_T6_T7_T9_mT8_S1C_bDpT10_ENKUlT_T0_E_clISt17integral_constantIbLb0EES1P_EEDaS1K_S1L_EUlS1K_E_NS1_11comp_targetILNS1_3genE4ELNS1_11target_archE910ELNS1_3gpuE8ELNS1_3repE0EEENS1_30default_config_static_selectorELNS0_4arch9wavefront6targetE1EEEvSY_,comdat
.Lfunc_end1295:
	.size	_ZN7rocprim17ROCPRIM_400000_NS6detail17trampoline_kernelINS0_13select_configILj256ELj13ELNS0_17block_load_methodE3ELS4_3ELS4_3ELNS0_20block_scan_algorithmE0ELj4294967295EEENS1_25partition_config_selectorILNS1_17partition_subalgoE3EjNS0_10empty_typeEbEEZZNS1_14partition_implILS8_3ELb0ES6_jNS0_17counting_iteratorIjlEEPS9_SE_NS0_5tupleIJPjSE_EEENSF_IJSE_SE_EEES9_SG_JZNS1_25segmented_radix_sort_implINS0_14default_configELb1EPKfPfPKlPlN2at6native12_GLOBAL__N_18offset_tEEE10hipError_tPvRmT1_PNSt15iterator_traitsISY_E10value_typeET2_T3_PNSZ_IS14_E10value_typeET4_jRbjT5_S1A_jjP12ihipStream_tbEUljE_EEESV_SW_SX_S14_S18_S1A_T6_T7_T9_mT8_S1C_bDpT10_ENKUlT_T0_E_clISt17integral_constantIbLb0EES1P_EEDaS1K_S1L_EUlS1K_E_NS1_11comp_targetILNS1_3genE4ELNS1_11target_archE910ELNS1_3gpuE8ELNS1_3repE0EEENS1_30default_config_static_selectorELNS0_4arch9wavefront6targetE1EEEvSY_, .Lfunc_end1295-_ZN7rocprim17ROCPRIM_400000_NS6detail17trampoline_kernelINS0_13select_configILj256ELj13ELNS0_17block_load_methodE3ELS4_3ELS4_3ELNS0_20block_scan_algorithmE0ELj4294967295EEENS1_25partition_config_selectorILNS1_17partition_subalgoE3EjNS0_10empty_typeEbEEZZNS1_14partition_implILS8_3ELb0ES6_jNS0_17counting_iteratorIjlEEPS9_SE_NS0_5tupleIJPjSE_EEENSF_IJSE_SE_EEES9_SG_JZNS1_25segmented_radix_sort_implINS0_14default_configELb1EPKfPfPKlPlN2at6native12_GLOBAL__N_18offset_tEEE10hipError_tPvRmT1_PNSt15iterator_traitsISY_E10value_typeET2_T3_PNSZ_IS14_E10value_typeET4_jRbjT5_S1A_jjP12ihipStream_tbEUljE_EEESV_SW_SX_S14_S18_S1A_T6_T7_T9_mT8_S1C_bDpT10_ENKUlT_T0_E_clISt17integral_constantIbLb0EES1P_EEDaS1K_S1L_EUlS1K_E_NS1_11comp_targetILNS1_3genE4ELNS1_11target_archE910ELNS1_3gpuE8ELNS1_3repE0EEENS1_30default_config_static_selectorELNS0_4arch9wavefront6targetE1EEEvSY_
                                        ; -- End function
	.set _ZN7rocprim17ROCPRIM_400000_NS6detail17trampoline_kernelINS0_13select_configILj256ELj13ELNS0_17block_load_methodE3ELS4_3ELS4_3ELNS0_20block_scan_algorithmE0ELj4294967295EEENS1_25partition_config_selectorILNS1_17partition_subalgoE3EjNS0_10empty_typeEbEEZZNS1_14partition_implILS8_3ELb0ES6_jNS0_17counting_iteratorIjlEEPS9_SE_NS0_5tupleIJPjSE_EEENSF_IJSE_SE_EEES9_SG_JZNS1_25segmented_radix_sort_implINS0_14default_configELb1EPKfPfPKlPlN2at6native12_GLOBAL__N_18offset_tEEE10hipError_tPvRmT1_PNSt15iterator_traitsISY_E10value_typeET2_T3_PNSZ_IS14_E10value_typeET4_jRbjT5_S1A_jjP12ihipStream_tbEUljE_EEESV_SW_SX_S14_S18_S1A_T6_T7_T9_mT8_S1C_bDpT10_ENKUlT_T0_E_clISt17integral_constantIbLb0EES1P_EEDaS1K_S1L_EUlS1K_E_NS1_11comp_targetILNS1_3genE4ELNS1_11target_archE910ELNS1_3gpuE8ELNS1_3repE0EEENS1_30default_config_static_selectorELNS0_4arch9wavefront6targetE1EEEvSY_.num_vgpr, 0
	.set _ZN7rocprim17ROCPRIM_400000_NS6detail17trampoline_kernelINS0_13select_configILj256ELj13ELNS0_17block_load_methodE3ELS4_3ELS4_3ELNS0_20block_scan_algorithmE0ELj4294967295EEENS1_25partition_config_selectorILNS1_17partition_subalgoE3EjNS0_10empty_typeEbEEZZNS1_14partition_implILS8_3ELb0ES6_jNS0_17counting_iteratorIjlEEPS9_SE_NS0_5tupleIJPjSE_EEENSF_IJSE_SE_EEES9_SG_JZNS1_25segmented_radix_sort_implINS0_14default_configELb1EPKfPfPKlPlN2at6native12_GLOBAL__N_18offset_tEEE10hipError_tPvRmT1_PNSt15iterator_traitsISY_E10value_typeET2_T3_PNSZ_IS14_E10value_typeET4_jRbjT5_S1A_jjP12ihipStream_tbEUljE_EEESV_SW_SX_S14_S18_S1A_T6_T7_T9_mT8_S1C_bDpT10_ENKUlT_T0_E_clISt17integral_constantIbLb0EES1P_EEDaS1K_S1L_EUlS1K_E_NS1_11comp_targetILNS1_3genE4ELNS1_11target_archE910ELNS1_3gpuE8ELNS1_3repE0EEENS1_30default_config_static_selectorELNS0_4arch9wavefront6targetE1EEEvSY_.num_agpr, 0
	.set _ZN7rocprim17ROCPRIM_400000_NS6detail17trampoline_kernelINS0_13select_configILj256ELj13ELNS0_17block_load_methodE3ELS4_3ELS4_3ELNS0_20block_scan_algorithmE0ELj4294967295EEENS1_25partition_config_selectorILNS1_17partition_subalgoE3EjNS0_10empty_typeEbEEZZNS1_14partition_implILS8_3ELb0ES6_jNS0_17counting_iteratorIjlEEPS9_SE_NS0_5tupleIJPjSE_EEENSF_IJSE_SE_EEES9_SG_JZNS1_25segmented_radix_sort_implINS0_14default_configELb1EPKfPfPKlPlN2at6native12_GLOBAL__N_18offset_tEEE10hipError_tPvRmT1_PNSt15iterator_traitsISY_E10value_typeET2_T3_PNSZ_IS14_E10value_typeET4_jRbjT5_S1A_jjP12ihipStream_tbEUljE_EEESV_SW_SX_S14_S18_S1A_T6_T7_T9_mT8_S1C_bDpT10_ENKUlT_T0_E_clISt17integral_constantIbLb0EES1P_EEDaS1K_S1L_EUlS1K_E_NS1_11comp_targetILNS1_3genE4ELNS1_11target_archE910ELNS1_3gpuE8ELNS1_3repE0EEENS1_30default_config_static_selectorELNS0_4arch9wavefront6targetE1EEEvSY_.numbered_sgpr, 0
	.set _ZN7rocprim17ROCPRIM_400000_NS6detail17trampoline_kernelINS0_13select_configILj256ELj13ELNS0_17block_load_methodE3ELS4_3ELS4_3ELNS0_20block_scan_algorithmE0ELj4294967295EEENS1_25partition_config_selectorILNS1_17partition_subalgoE3EjNS0_10empty_typeEbEEZZNS1_14partition_implILS8_3ELb0ES6_jNS0_17counting_iteratorIjlEEPS9_SE_NS0_5tupleIJPjSE_EEENSF_IJSE_SE_EEES9_SG_JZNS1_25segmented_radix_sort_implINS0_14default_configELb1EPKfPfPKlPlN2at6native12_GLOBAL__N_18offset_tEEE10hipError_tPvRmT1_PNSt15iterator_traitsISY_E10value_typeET2_T3_PNSZ_IS14_E10value_typeET4_jRbjT5_S1A_jjP12ihipStream_tbEUljE_EEESV_SW_SX_S14_S18_S1A_T6_T7_T9_mT8_S1C_bDpT10_ENKUlT_T0_E_clISt17integral_constantIbLb0EES1P_EEDaS1K_S1L_EUlS1K_E_NS1_11comp_targetILNS1_3genE4ELNS1_11target_archE910ELNS1_3gpuE8ELNS1_3repE0EEENS1_30default_config_static_selectorELNS0_4arch9wavefront6targetE1EEEvSY_.num_named_barrier, 0
	.set _ZN7rocprim17ROCPRIM_400000_NS6detail17trampoline_kernelINS0_13select_configILj256ELj13ELNS0_17block_load_methodE3ELS4_3ELS4_3ELNS0_20block_scan_algorithmE0ELj4294967295EEENS1_25partition_config_selectorILNS1_17partition_subalgoE3EjNS0_10empty_typeEbEEZZNS1_14partition_implILS8_3ELb0ES6_jNS0_17counting_iteratorIjlEEPS9_SE_NS0_5tupleIJPjSE_EEENSF_IJSE_SE_EEES9_SG_JZNS1_25segmented_radix_sort_implINS0_14default_configELb1EPKfPfPKlPlN2at6native12_GLOBAL__N_18offset_tEEE10hipError_tPvRmT1_PNSt15iterator_traitsISY_E10value_typeET2_T3_PNSZ_IS14_E10value_typeET4_jRbjT5_S1A_jjP12ihipStream_tbEUljE_EEESV_SW_SX_S14_S18_S1A_T6_T7_T9_mT8_S1C_bDpT10_ENKUlT_T0_E_clISt17integral_constantIbLb0EES1P_EEDaS1K_S1L_EUlS1K_E_NS1_11comp_targetILNS1_3genE4ELNS1_11target_archE910ELNS1_3gpuE8ELNS1_3repE0EEENS1_30default_config_static_selectorELNS0_4arch9wavefront6targetE1EEEvSY_.private_seg_size, 0
	.set _ZN7rocprim17ROCPRIM_400000_NS6detail17trampoline_kernelINS0_13select_configILj256ELj13ELNS0_17block_load_methodE3ELS4_3ELS4_3ELNS0_20block_scan_algorithmE0ELj4294967295EEENS1_25partition_config_selectorILNS1_17partition_subalgoE3EjNS0_10empty_typeEbEEZZNS1_14partition_implILS8_3ELb0ES6_jNS0_17counting_iteratorIjlEEPS9_SE_NS0_5tupleIJPjSE_EEENSF_IJSE_SE_EEES9_SG_JZNS1_25segmented_radix_sort_implINS0_14default_configELb1EPKfPfPKlPlN2at6native12_GLOBAL__N_18offset_tEEE10hipError_tPvRmT1_PNSt15iterator_traitsISY_E10value_typeET2_T3_PNSZ_IS14_E10value_typeET4_jRbjT5_S1A_jjP12ihipStream_tbEUljE_EEESV_SW_SX_S14_S18_S1A_T6_T7_T9_mT8_S1C_bDpT10_ENKUlT_T0_E_clISt17integral_constantIbLb0EES1P_EEDaS1K_S1L_EUlS1K_E_NS1_11comp_targetILNS1_3genE4ELNS1_11target_archE910ELNS1_3gpuE8ELNS1_3repE0EEENS1_30default_config_static_selectorELNS0_4arch9wavefront6targetE1EEEvSY_.uses_vcc, 0
	.set _ZN7rocprim17ROCPRIM_400000_NS6detail17trampoline_kernelINS0_13select_configILj256ELj13ELNS0_17block_load_methodE3ELS4_3ELS4_3ELNS0_20block_scan_algorithmE0ELj4294967295EEENS1_25partition_config_selectorILNS1_17partition_subalgoE3EjNS0_10empty_typeEbEEZZNS1_14partition_implILS8_3ELb0ES6_jNS0_17counting_iteratorIjlEEPS9_SE_NS0_5tupleIJPjSE_EEENSF_IJSE_SE_EEES9_SG_JZNS1_25segmented_radix_sort_implINS0_14default_configELb1EPKfPfPKlPlN2at6native12_GLOBAL__N_18offset_tEEE10hipError_tPvRmT1_PNSt15iterator_traitsISY_E10value_typeET2_T3_PNSZ_IS14_E10value_typeET4_jRbjT5_S1A_jjP12ihipStream_tbEUljE_EEESV_SW_SX_S14_S18_S1A_T6_T7_T9_mT8_S1C_bDpT10_ENKUlT_T0_E_clISt17integral_constantIbLb0EES1P_EEDaS1K_S1L_EUlS1K_E_NS1_11comp_targetILNS1_3genE4ELNS1_11target_archE910ELNS1_3gpuE8ELNS1_3repE0EEENS1_30default_config_static_selectorELNS0_4arch9wavefront6targetE1EEEvSY_.uses_flat_scratch, 0
	.set _ZN7rocprim17ROCPRIM_400000_NS6detail17trampoline_kernelINS0_13select_configILj256ELj13ELNS0_17block_load_methodE3ELS4_3ELS4_3ELNS0_20block_scan_algorithmE0ELj4294967295EEENS1_25partition_config_selectorILNS1_17partition_subalgoE3EjNS0_10empty_typeEbEEZZNS1_14partition_implILS8_3ELb0ES6_jNS0_17counting_iteratorIjlEEPS9_SE_NS0_5tupleIJPjSE_EEENSF_IJSE_SE_EEES9_SG_JZNS1_25segmented_radix_sort_implINS0_14default_configELb1EPKfPfPKlPlN2at6native12_GLOBAL__N_18offset_tEEE10hipError_tPvRmT1_PNSt15iterator_traitsISY_E10value_typeET2_T3_PNSZ_IS14_E10value_typeET4_jRbjT5_S1A_jjP12ihipStream_tbEUljE_EEESV_SW_SX_S14_S18_S1A_T6_T7_T9_mT8_S1C_bDpT10_ENKUlT_T0_E_clISt17integral_constantIbLb0EES1P_EEDaS1K_S1L_EUlS1K_E_NS1_11comp_targetILNS1_3genE4ELNS1_11target_archE910ELNS1_3gpuE8ELNS1_3repE0EEENS1_30default_config_static_selectorELNS0_4arch9wavefront6targetE1EEEvSY_.has_dyn_sized_stack, 0
	.set _ZN7rocprim17ROCPRIM_400000_NS6detail17trampoline_kernelINS0_13select_configILj256ELj13ELNS0_17block_load_methodE3ELS4_3ELS4_3ELNS0_20block_scan_algorithmE0ELj4294967295EEENS1_25partition_config_selectorILNS1_17partition_subalgoE3EjNS0_10empty_typeEbEEZZNS1_14partition_implILS8_3ELb0ES6_jNS0_17counting_iteratorIjlEEPS9_SE_NS0_5tupleIJPjSE_EEENSF_IJSE_SE_EEES9_SG_JZNS1_25segmented_radix_sort_implINS0_14default_configELb1EPKfPfPKlPlN2at6native12_GLOBAL__N_18offset_tEEE10hipError_tPvRmT1_PNSt15iterator_traitsISY_E10value_typeET2_T3_PNSZ_IS14_E10value_typeET4_jRbjT5_S1A_jjP12ihipStream_tbEUljE_EEESV_SW_SX_S14_S18_S1A_T6_T7_T9_mT8_S1C_bDpT10_ENKUlT_T0_E_clISt17integral_constantIbLb0EES1P_EEDaS1K_S1L_EUlS1K_E_NS1_11comp_targetILNS1_3genE4ELNS1_11target_archE910ELNS1_3gpuE8ELNS1_3repE0EEENS1_30default_config_static_selectorELNS0_4arch9wavefront6targetE1EEEvSY_.has_recursion, 0
	.set _ZN7rocprim17ROCPRIM_400000_NS6detail17trampoline_kernelINS0_13select_configILj256ELj13ELNS0_17block_load_methodE3ELS4_3ELS4_3ELNS0_20block_scan_algorithmE0ELj4294967295EEENS1_25partition_config_selectorILNS1_17partition_subalgoE3EjNS0_10empty_typeEbEEZZNS1_14partition_implILS8_3ELb0ES6_jNS0_17counting_iteratorIjlEEPS9_SE_NS0_5tupleIJPjSE_EEENSF_IJSE_SE_EEES9_SG_JZNS1_25segmented_radix_sort_implINS0_14default_configELb1EPKfPfPKlPlN2at6native12_GLOBAL__N_18offset_tEEE10hipError_tPvRmT1_PNSt15iterator_traitsISY_E10value_typeET2_T3_PNSZ_IS14_E10value_typeET4_jRbjT5_S1A_jjP12ihipStream_tbEUljE_EEESV_SW_SX_S14_S18_S1A_T6_T7_T9_mT8_S1C_bDpT10_ENKUlT_T0_E_clISt17integral_constantIbLb0EES1P_EEDaS1K_S1L_EUlS1K_E_NS1_11comp_targetILNS1_3genE4ELNS1_11target_archE910ELNS1_3gpuE8ELNS1_3repE0EEENS1_30default_config_static_selectorELNS0_4arch9wavefront6targetE1EEEvSY_.has_indirect_call, 0
	.section	.AMDGPU.csdata,"",@progbits
; Kernel info:
; codeLenInByte = 0
; TotalNumSgprs: 4
; NumVgprs: 0
; ScratchSize: 0
; MemoryBound: 0
; FloatMode: 240
; IeeeMode: 1
; LDSByteSize: 0 bytes/workgroup (compile time only)
; SGPRBlocks: 0
; VGPRBlocks: 0
; NumSGPRsForWavesPerEU: 4
; NumVGPRsForWavesPerEU: 1
; Occupancy: 10
; WaveLimiterHint : 0
; COMPUTE_PGM_RSRC2:SCRATCH_EN: 0
; COMPUTE_PGM_RSRC2:USER_SGPR: 6
; COMPUTE_PGM_RSRC2:TRAP_HANDLER: 0
; COMPUTE_PGM_RSRC2:TGID_X_EN: 1
; COMPUTE_PGM_RSRC2:TGID_Y_EN: 0
; COMPUTE_PGM_RSRC2:TGID_Z_EN: 0
; COMPUTE_PGM_RSRC2:TIDIG_COMP_CNT: 0
	.section	.text._ZN7rocprim17ROCPRIM_400000_NS6detail17trampoline_kernelINS0_13select_configILj256ELj13ELNS0_17block_load_methodE3ELS4_3ELS4_3ELNS0_20block_scan_algorithmE0ELj4294967295EEENS1_25partition_config_selectorILNS1_17partition_subalgoE3EjNS0_10empty_typeEbEEZZNS1_14partition_implILS8_3ELb0ES6_jNS0_17counting_iteratorIjlEEPS9_SE_NS0_5tupleIJPjSE_EEENSF_IJSE_SE_EEES9_SG_JZNS1_25segmented_radix_sort_implINS0_14default_configELb1EPKfPfPKlPlN2at6native12_GLOBAL__N_18offset_tEEE10hipError_tPvRmT1_PNSt15iterator_traitsISY_E10value_typeET2_T3_PNSZ_IS14_E10value_typeET4_jRbjT5_S1A_jjP12ihipStream_tbEUljE_EEESV_SW_SX_S14_S18_S1A_T6_T7_T9_mT8_S1C_bDpT10_ENKUlT_T0_E_clISt17integral_constantIbLb0EES1P_EEDaS1K_S1L_EUlS1K_E_NS1_11comp_targetILNS1_3genE3ELNS1_11target_archE908ELNS1_3gpuE7ELNS1_3repE0EEENS1_30default_config_static_selectorELNS0_4arch9wavefront6targetE1EEEvSY_,"axG",@progbits,_ZN7rocprim17ROCPRIM_400000_NS6detail17trampoline_kernelINS0_13select_configILj256ELj13ELNS0_17block_load_methodE3ELS4_3ELS4_3ELNS0_20block_scan_algorithmE0ELj4294967295EEENS1_25partition_config_selectorILNS1_17partition_subalgoE3EjNS0_10empty_typeEbEEZZNS1_14partition_implILS8_3ELb0ES6_jNS0_17counting_iteratorIjlEEPS9_SE_NS0_5tupleIJPjSE_EEENSF_IJSE_SE_EEES9_SG_JZNS1_25segmented_radix_sort_implINS0_14default_configELb1EPKfPfPKlPlN2at6native12_GLOBAL__N_18offset_tEEE10hipError_tPvRmT1_PNSt15iterator_traitsISY_E10value_typeET2_T3_PNSZ_IS14_E10value_typeET4_jRbjT5_S1A_jjP12ihipStream_tbEUljE_EEESV_SW_SX_S14_S18_S1A_T6_T7_T9_mT8_S1C_bDpT10_ENKUlT_T0_E_clISt17integral_constantIbLb0EES1P_EEDaS1K_S1L_EUlS1K_E_NS1_11comp_targetILNS1_3genE3ELNS1_11target_archE908ELNS1_3gpuE7ELNS1_3repE0EEENS1_30default_config_static_selectorELNS0_4arch9wavefront6targetE1EEEvSY_,comdat
	.globl	_ZN7rocprim17ROCPRIM_400000_NS6detail17trampoline_kernelINS0_13select_configILj256ELj13ELNS0_17block_load_methodE3ELS4_3ELS4_3ELNS0_20block_scan_algorithmE0ELj4294967295EEENS1_25partition_config_selectorILNS1_17partition_subalgoE3EjNS0_10empty_typeEbEEZZNS1_14partition_implILS8_3ELb0ES6_jNS0_17counting_iteratorIjlEEPS9_SE_NS0_5tupleIJPjSE_EEENSF_IJSE_SE_EEES9_SG_JZNS1_25segmented_radix_sort_implINS0_14default_configELb1EPKfPfPKlPlN2at6native12_GLOBAL__N_18offset_tEEE10hipError_tPvRmT1_PNSt15iterator_traitsISY_E10value_typeET2_T3_PNSZ_IS14_E10value_typeET4_jRbjT5_S1A_jjP12ihipStream_tbEUljE_EEESV_SW_SX_S14_S18_S1A_T6_T7_T9_mT8_S1C_bDpT10_ENKUlT_T0_E_clISt17integral_constantIbLb0EES1P_EEDaS1K_S1L_EUlS1K_E_NS1_11comp_targetILNS1_3genE3ELNS1_11target_archE908ELNS1_3gpuE7ELNS1_3repE0EEENS1_30default_config_static_selectorELNS0_4arch9wavefront6targetE1EEEvSY_ ; -- Begin function _ZN7rocprim17ROCPRIM_400000_NS6detail17trampoline_kernelINS0_13select_configILj256ELj13ELNS0_17block_load_methodE3ELS4_3ELS4_3ELNS0_20block_scan_algorithmE0ELj4294967295EEENS1_25partition_config_selectorILNS1_17partition_subalgoE3EjNS0_10empty_typeEbEEZZNS1_14partition_implILS8_3ELb0ES6_jNS0_17counting_iteratorIjlEEPS9_SE_NS0_5tupleIJPjSE_EEENSF_IJSE_SE_EEES9_SG_JZNS1_25segmented_radix_sort_implINS0_14default_configELb1EPKfPfPKlPlN2at6native12_GLOBAL__N_18offset_tEEE10hipError_tPvRmT1_PNSt15iterator_traitsISY_E10value_typeET2_T3_PNSZ_IS14_E10value_typeET4_jRbjT5_S1A_jjP12ihipStream_tbEUljE_EEESV_SW_SX_S14_S18_S1A_T6_T7_T9_mT8_S1C_bDpT10_ENKUlT_T0_E_clISt17integral_constantIbLb0EES1P_EEDaS1K_S1L_EUlS1K_E_NS1_11comp_targetILNS1_3genE3ELNS1_11target_archE908ELNS1_3gpuE7ELNS1_3repE0EEENS1_30default_config_static_selectorELNS0_4arch9wavefront6targetE1EEEvSY_
	.p2align	8
	.type	_ZN7rocprim17ROCPRIM_400000_NS6detail17trampoline_kernelINS0_13select_configILj256ELj13ELNS0_17block_load_methodE3ELS4_3ELS4_3ELNS0_20block_scan_algorithmE0ELj4294967295EEENS1_25partition_config_selectorILNS1_17partition_subalgoE3EjNS0_10empty_typeEbEEZZNS1_14partition_implILS8_3ELb0ES6_jNS0_17counting_iteratorIjlEEPS9_SE_NS0_5tupleIJPjSE_EEENSF_IJSE_SE_EEES9_SG_JZNS1_25segmented_radix_sort_implINS0_14default_configELb1EPKfPfPKlPlN2at6native12_GLOBAL__N_18offset_tEEE10hipError_tPvRmT1_PNSt15iterator_traitsISY_E10value_typeET2_T3_PNSZ_IS14_E10value_typeET4_jRbjT5_S1A_jjP12ihipStream_tbEUljE_EEESV_SW_SX_S14_S18_S1A_T6_T7_T9_mT8_S1C_bDpT10_ENKUlT_T0_E_clISt17integral_constantIbLb0EES1P_EEDaS1K_S1L_EUlS1K_E_NS1_11comp_targetILNS1_3genE3ELNS1_11target_archE908ELNS1_3gpuE7ELNS1_3repE0EEENS1_30default_config_static_selectorELNS0_4arch9wavefront6targetE1EEEvSY_,@function
_ZN7rocprim17ROCPRIM_400000_NS6detail17trampoline_kernelINS0_13select_configILj256ELj13ELNS0_17block_load_methodE3ELS4_3ELS4_3ELNS0_20block_scan_algorithmE0ELj4294967295EEENS1_25partition_config_selectorILNS1_17partition_subalgoE3EjNS0_10empty_typeEbEEZZNS1_14partition_implILS8_3ELb0ES6_jNS0_17counting_iteratorIjlEEPS9_SE_NS0_5tupleIJPjSE_EEENSF_IJSE_SE_EEES9_SG_JZNS1_25segmented_radix_sort_implINS0_14default_configELb1EPKfPfPKlPlN2at6native12_GLOBAL__N_18offset_tEEE10hipError_tPvRmT1_PNSt15iterator_traitsISY_E10value_typeET2_T3_PNSZ_IS14_E10value_typeET4_jRbjT5_S1A_jjP12ihipStream_tbEUljE_EEESV_SW_SX_S14_S18_S1A_T6_T7_T9_mT8_S1C_bDpT10_ENKUlT_T0_E_clISt17integral_constantIbLb0EES1P_EEDaS1K_S1L_EUlS1K_E_NS1_11comp_targetILNS1_3genE3ELNS1_11target_archE908ELNS1_3gpuE7ELNS1_3repE0EEENS1_30default_config_static_selectorELNS0_4arch9wavefront6targetE1EEEvSY_: ; @_ZN7rocprim17ROCPRIM_400000_NS6detail17trampoline_kernelINS0_13select_configILj256ELj13ELNS0_17block_load_methodE3ELS4_3ELS4_3ELNS0_20block_scan_algorithmE0ELj4294967295EEENS1_25partition_config_selectorILNS1_17partition_subalgoE3EjNS0_10empty_typeEbEEZZNS1_14partition_implILS8_3ELb0ES6_jNS0_17counting_iteratorIjlEEPS9_SE_NS0_5tupleIJPjSE_EEENSF_IJSE_SE_EEES9_SG_JZNS1_25segmented_radix_sort_implINS0_14default_configELb1EPKfPfPKlPlN2at6native12_GLOBAL__N_18offset_tEEE10hipError_tPvRmT1_PNSt15iterator_traitsISY_E10value_typeET2_T3_PNSZ_IS14_E10value_typeET4_jRbjT5_S1A_jjP12ihipStream_tbEUljE_EEESV_SW_SX_S14_S18_S1A_T6_T7_T9_mT8_S1C_bDpT10_ENKUlT_T0_E_clISt17integral_constantIbLb0EES1P_EEDaS1K_S1L_EUlS1K_E_NS1_11comp_targetILNS1_3genE3ELNS1_11target_archE908ELNS1_3gpuE7ELNS1_3repE0EEENS1_30default_config_static_selectorELNS0_4arch9wavefront6targetE1EEEvSY_
; %bb.0:
	.section	.rodata,"a",@progbits
	.p2align	6, 0x0
	.amdhsa_kernel _ZN7rocprim17ROCPRIM_400000_NS6detail17trampoline_kernelINS0_13select_configILj256ELj13ELNS0_17block_load_methodE3ELS4_3ELS4_3ELNS0_20block_scan_algorithmE0ELj4294967295EEENS1_25partition_config_selectorILNS1_17partition_subalgoE3EjNS0_10empty_typeEbEEZZNS1_14partition_implILS8_3ELb0ES6_jNS0_17counting_iteratorIjlEEPS9_SE_NS0_5tupleIJPjSE_EEENSF_IJSE_SE_EEES9_SG_JZNS1_25segmented_radix_sort_implINS0_14default_configELb1EPKfPfPKlPlN2at6native12_GLOBAL__N_18offset_tEEE10hipError_tPvRmT1_PNSt15iterator_traitsISY_E10value_typeET2_T3_PNSZ_IS14_E10value_typeET4_jRbjT5_S1A_jjP12ihipStream_tbEUljE_EEESV_SW_SX_S14_S18_S1A_T6_T7_T9_mT8_S1C_bDpT10_ENKUlT_T0_E_clISt17integral_constantIbLb0EES1P_EEDaS1K_S1L_EUlS1K_E_NS1_11comp_targetILNS1_3genE3ELNS1_11target_archE908ELNS1_3gpuE7ELNS1_3repE0EEENS1_30default_config_static_selectorELNS0_4arch9wavefront6targetE1EEEvSY_
		.amdhsa_group_segment_fixed_size 0
		.amdhsa_private_segment_fixed_size 0
		.amdhsa_kernarg_size 144
		.amdhsa_user_sgpr_count 6
		.amdhsa_user_sgpr_private_segment_buffer 1
		.amdhsa_user_sgpr_dispatch_ptr 0
		.amdhsa_user_sgpr_queue_ptr 0
		.amdhsa_user_sgpr_kernarg_segment_ptr 1
		.amdhsa_user_sgpr_dispatch_id 0
		.amdhsa_user_sgpr_flat_scratch_init 0
		.amdhsa_user_sgpr_private_segment_size 0
		.amdhsa_uses_dynamic_stack 0
		.amdhsa_system_sgpr_private_segment_wavefront_offset 0
		.amdhsa_system_sgpr_workgroup_id_x 1
		.amdhsa_system_sgpr_workgroup_id_y 0
		.amdhsa_system_sgpr_workgroup_id_z 0
		.amdhsa_system_sgpr_workgroup_info 0
		.amdhsa_system_vgpr_workitem_id 0
		.amdhsa_next_free_vgpr 1
		.amdhsa_next_free_sgpr 0
		.amdhsa_reserve_vcc 0
		.amdhsa_reserve_flat_scratch 0
		.amdhsa_float_round_mode_32 0
		.amdhsa_float_round_mode_16_64 0
		.amdhsa_float_denorm_mode_32 3
		.amdhsa_float_denorm_mode_16_64 3
		.amdhsa_dx10_clamp 1
		.amdhsa_ieee_mode 1
		.amdhsa_fp16_overflow 0
		.amdhsa_exception_fp_ieee_invalid_op 0
		.amdhsa_exception_fp_denorm_src 0
		.amdhsa_exception_fp_ieee_div_zero 0
		.amdhsa_exception_fp_ieee_overflow 0
		.amdhsa_exception_fp_ieee_underflow 0
		.amdhsa_exception_fp_ieee_inexact 0
		.amdhsa_exception_int_div_zero 0
	.end_amdhsa_kernel
	.section	.text._ZN7rocprim17ROCPRIM_400000_NS6detail17trampoline_kernelINS0_13select_configILj256ELj13ELNS0_17block_load_methodE3ELS4_3ELS4_3ELNS0_20block_scan_algorithmE0ELj4294967295EEENS1_25partition_config_selectorILNS1_17partition_subalgoE3EjNS0_10empty_typeEbEEZZNS1_14partition_implILS8_3ELb0ES6_jNS0_17counting_iteratorIjlEEPS9_SE_NS0_5tupleIJPjSE_EEENSF_IJSE_SE_EEES9_SG_JZNS1_25segmented_radix_sort_implINS0_14default_configELb1EPKfPfPKlPlN2at6native12_GLOBAL__N_18offset_tEEE10hipError_tPvRmT1_PNSt15iterator_traitsISY_E10value_typeET2_T3_PNSZ_IS14_E10value_typeET4_jRbjT5_S1A_jjP12ihipStream_tbEUljE_EEESV_SW_SX_S14_S18_S1A_T6_T7_T9_mT8_S1C_bDpT10_ENKUlT_T0_E_clISt17integral_constantIbLb0EES1P_EEDaS1K_S1L_EUlS1K_E_NS1_11comp_targetILNS1_3genE3ELNS1_11target_archE908ELNS1_3gpuE7ELNS1_3repE0EEENS1_30default_config_static_selectorELNS0_4arch9wavefront6targetE1EEEvSY_,"axG",@progbits,_ZN7rocprim17ROCPRIM_400000_NS6detail17trampoline_kernelINS0_13select_configILj256ELj13ELNS0_17block_load_methodE3ELS4_3ELS4_3ELNS0_20block_scan_algorithmE0ELj4294967295EEENS1_25partition_config_selectorILNS1_17partition_subalgoE3EjNS0_10empty_typeEbEEZZNS1_14partition_implILS8_3ELb0ES6_jNS0_17counting_iteratorIjlEEPS9_SE_NS0_5tupleIJPjSE_EEENSF_IJSE_SE_EEES9_SG_JZNS1_25segmented_radix_sort_implINS0_14default_configELb1EPKfPfPKlPlN2at6native12_GLOBAL__N_18offset_tEEE10hipError_tPvRmT1_PNSt15iterator_traitsISY_E10value_typeET2_T3_PNSZ_IS14_E10value_typeET4_jRbjT5_S1A_jjP12ihipStream_tbEUljE_EEESV_SW_SX_S14_S18_S1A_T6_T7_T9_mT8_S1C_bDpT10_ENKUlT_T0_E_clISt17integral_constantIbLb0EES1P_EEDaS1K_S1L_EUlS1K_E_NS1_11comp_targetILNS1_3genE3ELNS1_11target_archE908ELNS1_3gpuE7ELNS1_3repE0EEENS1_30default_config_static_selectorELNS0_4arch9wavefront6targetE1EEEvSY_,comdat
.Lfunc_end1296:
	.size	_ZN7rocprim17ROCPRIM_400000_NS6detail17trampoline_kernelINS0_13select_configILj256ELj13ELNS0_17block_load_methodE3ELS4_3ELS4_3ELNS0_20block_scan_algorithmE0ELj4294967295EEENS1_25partition_config_selectorILNS1_17partition_subalgoE3EjNS0_10empty_typeEbEEZZNS1_14partition_implILS8_3ELb0ES6_jNS0_17counting_iteratorIjlEEPS9_SE_NS0_5tupleIJPjSE_EEENSF_IJSE_SE_EEES9_SG_JZNS1_25segmented_radix_sort_implINS0_14default_configELb1EPKfPfPKlPlN2at6native12_GLOBAL__N_18offset_tEEE10hipError_tPvRmT1_PNSt15iterator_traitsISY_E10value_typeET2_T3_PNSZ_IS14_E10value_typeET4_jRbjT5_S1A_jjP12ihipStream_tbEUljE_EEESV_SW_SX_S14_S18_S1A_T6_T7_T9_mT8_S1C_bDpT10_ENKUlT_T0_E_clISt17integral_constantIbLb0EES1P_EEDaS1K_S1L_EUlS1K_E_NS1_11comp_targetILNS1_3genE3ELNS1_11target_archE908ELNS1_3gpuE7ELNS1_3repE0EEENS1_30default_config_static_selectorELNS0_4arch9wavefront6targetE1EEEvSY_, .Lfunc_end1296-_ZN7rocprim17ROCPRIM_400000_NS6detail17trampoline_kernelINS0_13select_configILj256ELj13ELNS0_17block_load_methodE3ELS4_3ELS4_3ELNS0_20block_scan_algorithmE0ELj4294967295EEENS1_25partition_config_selectorILNS1_17partition_subalgoE3EjNS0_10empty_typeEbEEZZNS1_14partition_implILS8_3ELb0ES6_jNS0_17counting_iteratorIjlEEPS9_SE_NS0_5tupleIJPjSE_EEENSF_IJSE_SE_EEES9_SG_JZNS1_25segmented_radix_sort_implINS0_14default_configELb1EPKfPfPKlPlN2at6native12_GLOBAL__N_18offset_tEEE10hipError_tPvRmT1_PNSt15iterator_traitsISY_E10value_typeET2_T3_PNSZ_IS14_E10value_typeET4_jRbjT5_S1A_jjP12ihipStream_tbEUljE_EEESV_SW_SX_S14_S18_S1A_T6_T7_T9_mT8_S1C_bDpT10_ENKUlT_T0_E_clISt17integral_constantIbLb0EES1P_EEDaS1K_S1L_EUlS1K_E_NS1_11comp_targetILNS1_3genE3ELNS1_11target_archE908ELNS1_3gpuE7ELNS1_3repE0EEENS1_30default_config_static_selectorELNS0_4arch9wavefront6targetE1EEEvSY_
                                        ; -- End function
	.set _ZN7rocprim17ROCPRIM_400000_NS6detail17trampoline_kernelINS0_13select_configILj256ELj13ELNS0_17block_load_methodE3ELS4_3ELS4_3ELNS0_20block_scan_algorithmE0ELj4294967295EEENS1_25partition_config_selectorILNS1_17partition_subalgoE3EjNS0_10empty_typeEbEEZZNS1_14partition_implILS8_3ELb0ES6_jNS0_17counting_iteratorIjlEEPS9_SE_NS0_5tupleIJPjSE_EEENSF_IJSE_SE_EEES9_SG_JZNS1_25segmented_radix_sort_implINS0_14default_configELb1EPKfPfPKlPlN2at6native12_GLOBAL__N_18offset_tEEE10hipError_tPvRmT1_PNSt15iterator_traitsISY_E10value_typeET2_T3_PNSZ_IS14_E10value_typeET4_jRbjT5_S1A_jjP12ihipStream_tbEUljE_EEESV_SW_SX_S14_S18_S1A_T6_T7_T9_mT8_S1C_bDpT10_ENKUlT_T0_E_clISt17integral_constantIbLb0EES1P_EEDaS1K_S1L_EUlS1K_E_NS1_11comp_targetILNS1_3genE3ELNS1_11target_archE908ELNS1_3gpuE7ELNS1_3repE0EEENS1_30default_config_static_selectorELNS0_4arch9wavefront6targetE1EEEvSY_.num_vgpr, 0
	.set _ZN7rocprim17ROCPRIM_400000_NS6detail17trampoline_kernelINS0_13select_configILj256ELj13ELNS0_17block_load_methodE3ELS4_3ELS4_3ELNS0_20block_scan_algorithmE0ELj4294967295EEENS1_25partition_config_selectorILNS1_17partition_subalgoE3EjNS0_10empty_typeEbEEZZNS1_14partition_implILS8_3ELb0ES6_jNS0_17counting_iteratorIjlEEPS9_SE_NS0_5tupleIJPjSE_EEENSF_IJSE_SE_EEES9_SG_JZNS1_25segmented_radix_sort_implINS0_14default_configELb1EPKfPfPKlPlN2at6native12_GLOBAL__N_18offset_tEEE10hipError_tPvRmT1_PNSt15iterator_traitsISY_E10value_typeET2_T3_PNSZ_IS14_E10value_typeET4_jRbjT5_S1A_jjP12ihipStream_tbEUljE_EEESV_SW_SX_S14_S18_S1A_T6_T7_T9_mT8_S1C_bDpT10_ENKUlT_T0_E_clISt17integral_constantIbLb0EES1P_EEDaS1K_S1L_EUlS1K_E_NS1_11comp_targetILNS1_3genE3ELNS1_11target_archE908ELNS1_3gpuE7ELNS1_3repE0EEENS1_30default_config_static_selectorELNS0_4arch9wavefront6targetE1EEEvSY_.num_agpr, 0
	.set _ZN7rocprim17ROCPRIM_400000_NS6detail17trampoline_kernelINS0_13select_configILj256ELj13ELNS0_17block_load_methodE3ELS4_3ELS4_3ELNS0_20block_scan_algorithmE0ELj4294967295EEENS1_25partition_config_selectorILNS1_17partition_subalgoE3EjNS0_10empty_typeEbEEZZNS1_14partition_implILS8_3ELb0ES6_jNS0_17counting_iteratorIjlEEPS9_SE_NS0_5tupleIJPjSE_EEENSF_IJSE_SE_EEES9_SG_JZNS1_25segmented_radix_sort_implINS0_14default_configELb1EPKfPfPKlPlN2at6native12_GLOBAL__N_18offset_tEEE10hipError_tPvRmT1_PNSt15iterator_traitsISY_E10value_typeET2_T3_PNSZ_IS14_E10value_typeET4_jRbjT5_S1A_jjP12ihipStream_tbEUljE_EEESV_SW_SX_S14_S18_S1A_T6_T7_T9_mT8_S1C_bDpT10_ENKUlT_T0_E_clISt17integral_constantIbLb0EES1P_EEDaS1K_S1L_EUlS1K_E_NS1_11comp_targetILNS1_3genE3ELNS1_11target_archE908ELNS1_3gpuE7ELNS1_3repE0EEENS1_30default_config_static_selectorELNS0_4arch9wavefront6targetE1EEEvSY_.numbered_sgpr, 0
	.set _ZN7rocprim17ROCPRIM_400000_NS6detail17trampoline_kernelINS0_13select_configILj256ELj13ELNS0_17block_load_methodE3ELS4_3ELS4_3ELNS0_20block_scan_algorithmE0ELj4294967295EEENS1_25partition_config_selectorILNS1_17partition_subalgoE3EjNS0_10empty_typeEbEEZZNS1_14partition_implILS8_3ELb0ES6_jNS0_17counting_iteratorIjlEEPS9_SE_NS0_5tupleIJPjSE_EEENSF_IJSE_SE_EEES9_SG_JZNS1_25segmented_radix_sort_implINS0_14default_configELb1EPKfPfPKlPlN2at6native12_GLOBAL__N_18offset_tEEE10hipError_tPvRmT1_PNSt15iterator_traitsISY_E10value_typeET2_T3_PNSZ_IS14_E10value_typeET4_jRbjT5_S1A_jjP12ihipStream_tbEUljE_EEESV_SW_SX_S14_S18_S1A_T6_T7_T9_mT8_S1C_bDpT10_ENKUlT_T0_E_clISt17integral_constantIbLb0EES1P_EEDaS1K_S1L_EUlS1K_E_NS1_11comp_targetILNS1_3genE3ELNS1_11target_archE908ELNS1_3gpuE7ELNS1_3repE0EEENS1_30default_config_static_selectorELNS0_4arch9wavefront6targetE1EEEvSY_.num_named_barrier, 0
	.set _ZN7rocprim17ROCPRIM_400000_NS6detail17trampoline_kernelINS0_13select_configILj256ELj13ELNS0_17block_load_methodE3ELS4_3ELS4_3ELNS0_20block_scan_algorithmE0ELj4294967295EEENS1_25partition_config_selectorILNS1_17partition_subalgoE3EjNS0_10empty_typeEbEEZZNS1_14partition_implILS8_3ELb0ES6_jNS0_17counting_iteratorIjlEEPS9_SE_NS0_5tupleIJPjSE_EEENSF_IJSE_SE_EEES9_SG_JZNS1_25segmented_radix_sort_implINS0_14default_configELb1EPKfPfPKlPlN2at6native12_GLOBAL__N_18offset_tEEE10hipError_tPvRmT1_PNSt15iterator_traitsISY_E10value_typeET2_T3_PNSZ_IS14_E10value_typeET4_jRbjT5_S1A_jjP12ihipStream_tbEUljE_EEESV_SW_SX_S14_S18_S1A_T6_T7_T9_mT8_S1C_bDpT10_ENKUlT_T0_E_clISt17integral_constantIbLb0EES1P_EEDaS1K_S1L_EUlS1K_E_NS1_11comp_targetILNS1_3genE3ELNS1_11target_archE908ELNS1_3gpuE7ELNS1_3repE0EEENS1_30default_config_static_selectorELNS0_4arch9wavefront6targetE1EEEvSY_.private_seg_size, 0
	.set _ZN7rocprim17ROCPRIM_400000_NS6detail17trampoline_kernelINS0_13select_configILj256ELj13ELNS0_17block_load_methodE3ELS4_3ELS4_3ELNS0_20block_scan_algorithmE0ELj4294967295EEENS1_25partition_config_selectorILNS1_17partition_subalgoE3EjNS0_10empty_typeEbEEZZNS1_14partition_implILS8_3ELb0ES6_jNS0_17counting_iteratorIjlEEPS9_SE_NS0_5tupleIJPjSE_EEENSF_IJSE_SE_EEES9_SG_JZNS1_25segmented_radix_sort_implINS0_14default_configELb1EPKfPfPKlPlN2at6native12_GLOBAL__N_18offset_tEEE10hipError_tPvRmT1_PNSt15iterator_traitsISY_E10value_typeET2_T3_PNSZ_IS14_E10value_typeET4_jRbjT5_S1A_jjP12ihipStream_tbEUljE_EEESV_SW_SX_S14_S18_S1A_T6_T7_T9_mT8_S1C_bDpT10_ENKUlT_T0_E_clISt17integral_constantIbLb0EES1P_EEDaS1K_S1L_EUlS1K_E_NS1_11comp_targetILNS1_3genE3ELNS1_11target_archE908ELNS1_3gpuE7ELNS1_3repE0EEENS1_30default_config_static_selectorELNS0_4arch9wavefront6targetE1EEEvSY_.uses_vcc, 0
	.set _ZN7rocprim17ROCPRIM_400000_NS6detail17trampoline_kernelINS0_13select_configILj256ELj13ELNS0_17block_load_methodE3ELS4_3ELS4_3ELNS0_20block_scan_algorithmE0ELj4294967295EEENS1_25partition_config_selectorILNS1_17partition_subalgoE3EjNS0_10empty_typeEbEEZZNS1_14partition_implILS8_3ELb0ES6_jNS0_17counting_iteratorIjlEEPS9_SE_NS0_5tupleIJPjSE_EEENSF_IJSE_SE_EEES9_SG_JZNS1_25segmented_radix_sort_implINS0_14default_configELb1EPKfPfPKlPlN2at6native12_GLOBAL__N_18offset_tEEE10hipError_tPvRmT1_PNSt15iterator_traitsISY_E10value_typeET2_T3_PNSZ_IS14_E10value_typeET4_jRbjT5_S1A_jjP12ihipStream_tbEUljE_EEESV_SW_SX_S14_S18_S1A_T6_T7_T9_mT8_S1C_bDpT10_ENKUlT_T0_E_clISt17integral_constantIbLb0EES1P_EEDaS1K_S1L_EUlS1K_E_NS1_11comp_targetILNS1_3genE3ELNS1_11target_archE908ELNS1_3gpuE7ELNS1_3repE0EEENS1_30default_config_static_selectorELNS0_4arch9wavefront6targetE1EEEvSY_.uses_flat_scratch, 0
	.set _ZN7rocprim17ROCPRIM_400000_NS6detail17trampoline_kernelINS0_13select_configILj256ELj13ELNS0_17block_load_methodE3ELS4_3ELS4_3ELNS0_20block_scan_algorithmE0ELj4294967295EEENS1_25partition_config_selectorILNS1_17partition_subalgoE3EjNS0_10empty_typeEbEEZZNS1_14partition_implILS8_3ELb0ES6_jNS0_17counting_iteratorIjlEEPS9_SE_NS0_5tupleIJPjSE_EEENSF_IJSE_SE_EEES9_SG_JZNS1_25segmented_radix_sort_implINS0_14default_configELb1EPKfPfPKlPlN2at6native12_GLOBAL__N_18offset_tEEE10hipError_tPvRmT1_PNSt15iterator_traitsISY_E10value_typeET2_T3_PNSZ_IS14_E10value_typeET4_jRbjT5_S1A_jjP12ihipStream_tbEUljE_EEESV_SW_SX_S14_S18_S1A_T6_T7_T9_mT8_S1C_bDpT10_ENKUlT_T0_E_clISt17integral_constantIbLb0EES1P_EEDaS1K_S1L_EUlS1K_E_NS1_11comp_targetILNS1_3genE3ELNS1_11target_archE908ELNS1_3gpuE7ELNS1_3repE0EEENS1_30default_config_static_selectorELNS0_4arch9wavefront6targetE1EEEvSY_.has_dyn_sized_stack, 0
	.set _ZN7rocprim17ROCPRIM_400000_NS6detail17trampoline_kernelINS0_13select_configILj256ELj13ELNS0_17block_load_methodE3ELS4_3ELS4_3ELNS0_20block_scan_algorithmE0ELj4294967295EEENS1_25partition_config_selectorILNS1_17partition_subalgoE3EjNS0_10empty_typeEbEEZZNS1_14partition_implILS8_3ELb0ES6_jNS0_17counting_iteratorIjlEEPS9_SE_NS0_5tupleIJPjSE_EEENSF_IJSE_SE_EEES9_SG_JZNS1_25segmented_radix_sort_implINS0_14default_configELb1EPKfPfPKlPlN2at6native12_GLOBAL__N_18offset_tEEE10hipError_tPvRmT1_PNSt15iterator_traitsISY_E10value_typeET2_T3_PNSZ_IS14_E10value_typeET4_jRbjT5_S1A_jjP12ihipStream_tbEUljE_EEESV_SW_SX_S14_S18_S1A_T6_T7_T9_mT8_S1C_bDpT10_ENKUlT_T0_E_clISt17integral_constantIbLb0EES1P_EEDaS1K_S1L_EUlS1K_E_NS1_11comp_targetILNS1_3genE3ELNS1_11target_archE908ELNS1_3gpuE7ELNS1_3repE0EEENS1_30default_config_static_selectorELNS0_4arch9wavefront6targetE1EEEvSY_.has_recursion, 0
	.set _ZN7rocprim17ROCPRIM_400000_NS6detail17trampoline_kernelINS0_13select_configILj256ELj13ELNS0_17block_load_methodE3ELS4_3ELS4_3ELNS0_20block_scan_algorithmE0ELj4294967295EEENS1_25partition_config_selectorILNS1_17partition_subalgoE3EjNS0_10empty_typeEbEEZZNS1_14partition_implILS8_3ELb0ES6_jNS0_17counting_iteratorIjlEEPS9_SE_NS0_5tupleIJPjSE_EEENSF_IJSE_SE_EEES9_SG_JZNS1_25segmented_radix_sort_implINS0_14default_configELb1EPKfPfPKlPlN2at6native12_GLOBAL__N_18offset_tEEE10hipError_tPvRmT1_PNSt15iterator_traitsISY_E10value_typeET2_T3_PNSZ_IS14_E10value_typeET4_jRbjT5_S1A_jjP12ihipStream_tbEUljE_EEESV_SW_SX_S14_S18_S1A_T6_T7_T9_mT8_S1C_bDpT10_ENKUlT_T0_E_clISt17integral_constantIbLb0EES1P_EEDaS1K_S1L_EUlS1K_E_NS1_11comp_targetILNS1_3genE3ELNS1_11target_archE908ELNS1_3gpuE7ELNS1_3repE0EEENS1_30default_config_static_selectorELNS0_4arch9wavefront6targetE1EEEvSY_.has_indirect_call, 0
	.section	.AMDGPU.csdata,"",@progbits
; Kernel info:
; codeLenInByte = 0
; TotalNumSgprs: 4
; NumVgprs: 0
; ScratchSize: 0
; MemoryBound: 0
; FloatMode: 240
; IeeeMode: 1
; LDSByteSize: 0 bytes/workgroup (compile time only)
; SGPRBlocks: 0
; VGPRBlocks: 0
; NumSGPRsForWavesPerEU: 4
; NumVGPRsForWavesPerEU: 1
; Occupancy: 10
; WaveLimiterHint : 0
; COMPUTE_PGM_RSRC2:SCRATCH_EN: 0
; COMPUTE_PGM_RSRC2:USER_SGPR: 6
; COMPUTE_PGM_RSRC2:TRAP_HANDLER: 0
; COMPUTE_PGM_RSRC2:TGID_X_EN: 1
; COMPUTE_PGM_RSRC2:TGID_Y_EN: 0
; COMPUTE_PGM_RSRC2:TGID_Z_EN: 0
; COMPUTE_PGM_RSRC2:TIDIG_COMP_CNT: 0
	.section	.text._ZN7rocprim17ROCPRIM_400000_NS6detail17trampoline_kernelINS0_13select_configILj256ELj13ELNS0_17block_load_methodE3ELS4_3ELS4_3ELNS0_20block_scan_algorithmE0ELj4294967295EEENS1_25partition_config_selectorILNS1_17partition_subalgoE3EjNS0_10empty_typeEbEEZZNS1_14partition_implILS8_3ELb0ES6_jNS0_17counting_iteratorIjlEEPS9_SE_NS0_5tupleIJPjSE_EEENSF_IJSE_SE_EEES9_SG_JZNS1_25segmented_radix_sort_implINS0_14default_configELb1EPKfPfPKlPlN2at6native12_GLOBAL__N_18offset_tEEE10hipError_tPvRmT1_PNSt15iterator_traitsISY_E10value_typeET2_T3_PNSZ_IS14_E10value_typeET4_jRbjT5_S1A_jjP12ihipStream_tbEUljE_EEESV_SW_SX_S14_S18_S1A_T6_T7_T9_mT8_S1C_bDpT10_ENKUlT_T0_E_clISt17integral_constantIbLb0EES1P_EEDaS1K_S1L_EUlS1K_E_NS1_11comp_targetILNS1_3genE2ELNS1_11target_archE906ELNS1_3gpuE6ELNS1_3repE0EEENS1_30default_config_static_selectorELNS0_4arch9wavefront6targetE1EEEvSY_,"axG",@progbits,_ZN7rocprim17ROCPRIM_400000_NS6detail17trampoline_kernelINS0_13select_configILj256ELj13ELNS0_17block_load_methodE3ELS4_3ELS4_3ELNS0_20block_scan_algorithmE0ELj4294967295EEENS1_25partition_config_selectorILNS1_17partition_subalgoE3EjNS0_10empty_typeEbEEZZNS1_14partition_implILS8_3ELb0ES6_jNS0_17counting_iteratorIjlEEPS9_SE_NS0_5tupleIJPjSE_EEENSF_IJSE_SE_EEES9_SG_JZNS1_25segmented_radix_sort_implINS0_14default_configELb1EPKfPfPKlPlN2at6native12_GLOBAL__N_18offset_tEEE10hipError_tPvRmT1_PNSt15iterator_traitsISY_E10value_typeET2_T3_PNSZ_IS14_E10value_typeET4_jRbjT5_S1A_jjP12ihipStream_tbEUljE_EEESV_SW_SX_S14_S18_S1A_T6_T7_T9_mT8_S1C_bDpT10_ENKUlT_T0_E_clISt17integral_constantIbLb0EES1P_EEDaS1K_S1L_EUlS1K_E_NS1_11comp_targetILNS1_3genE2ELNS1_11target_archE906ELNS1_3gpuE6ELNS1_3repE0EEENS1_30default_config_static_selectorELNS0_4arch9wavefront6targetE1EEEvSY_,comdat
	.globl	_ZN7rocprim17ROCPRIM_400000_NS6detail17trampoline_kernelINS0_13select_configILj256ELj13ELNS0_17block_load_methodE3ELS4_3ELS4_3ELNS0_20block_scan_algorithmE0ELj4294967295EEENS1_25partition_config_selectorILNS1_17partition_subalgoE3EjNS0_10empty_typeEbEEZZNS1_14partition_implILS8_3ELb0ES6_jNS0_17counting_iteratorIjlEEPS9_SE_NS0_5tupleIJPjSE_EEENSF_IJSE_SE_EEES9_SG_JZNS1_25segmented_radix_sort_implINS0_14default_configELb1EPKfPfPKlPlN2at6native12_GLOBAL__N_18offset_tEEE10hipError_tPvRmT1_PNSt15iterator_traitsISY_E10value_typeET2_T3_PNSZ_IS14_E10value_typeET4_jRbjT5_S1A_jjP12ihipStream_tbEUljE_EEESV_SW_SX_S14_S18_S1A_T6_T7_T9_mT8_S1C_bDpT10_ENKUlT_T0_E_clISt17integral_constantIbLb0EES1P_EEDaS1K_S1L_EUlS1K_E_NS1_11comp_targetILNS1_3genE2ELNS1_11target_archE906ELNS1_3gpuE6ELNS1_3repE0EEENS1_30default_config_static_selectorELNS0_4arch9wavefront6targetE1EEEvSY_ ; -- Begin function _ZN7rocprim17ROCPRIM_400000_NS6detail17trampoline_kernelINS0_13select_configILj256ELj13ELNS0_17block_load_methodE3ELS4_3ELS4_3ELNS0_20block_scan_algorithmE0ELj4294967295EEENS1_25partition_config_selectorILNS1_17partition_subalgoE3EjNS0_10empty_typeEbEEZZNS1_14partition_implILS8_3ELb0ES6_jNS0_17counting_iteratorIjlEEPS9_SE_NS0_5tupleIJPjSE_EEENSF_IJSE_SE_EEES9_SG_JZNS1_25segmented_radix_sort_implINS0_14default_configELb1EPKfPfPKlPlN2at6native12_GLOBAL__N_18offset_tEEE10hipError_tPvRmT1_PNSt15iterator_traitsISY_E10value_typeET2_T3_PNSZ_IS14_E10value_typeET4_jRbjT5_S1A_jjP12ihipStream_tbEUljE_EEESV_SW_SX_S14_S18_S1A_T6_T7_T9_mT8_S1C_bDpT10_ENKUlT_T0_E_clISt17integral_constantIbLb0EES1P_EEDaS1K_S1L_EUlS1K_E_NS1_11comp_targetILNS1_3genE2ELNS1_11target_archE906ELNS1_3gpuE6ELNS1_3repE0EEENS1_30default_config_static_selectorELNS0_4arch9wavefront6targetE1EEEvSY_
	.p2align	8
	.type	_ZN7rocprim17ROCPRIM_400000_NS6detail17trampoline_kernelINS0_13select_configILj256ELj13ELNS0_17block_load_methodE3ELS4_3ELS4_3ELNS0_20block_scan_algorithmE0ELj4294967295EEENS1_25partition_config_selectorILNS1_17partition_subalgoE3EjNS0_10empty_typeEbEEZZNS1_14partition_implILS8_3ELb0ES6_jNS0_17counting_iteratorIjlEEPS9_SE_NS0_5tupleIJPjSE_EEENSF_IJSE_SE_EEES9_SG_JZNS1_25segmented_radix_sort_implINS0_14default_configELb1EPKfPfPKlPlN2at6native12_GLOBAL__N_18offset_tEEE10hipError_tPvRmT1_PNSt15iterator_traitsISY_E10value_typeET2_T3_PNSZ_IS14_E10value_typeET4_jRbjT5_S1A_jjP12ihipStream_tbEUljE_EEESV_SW_SX_S14_S18_S1A_T6_T7_T9_mT8_S1C_bDpT10_ENKUlT_T0_E_clISt17integral_constantIbLb0EES1P_EEDaS1K_S1L_EUlS1K_E_NS1_11comp_targetILNS1_3genE2ELNS1_11target_archE906ELNS1_3gpuE6ELNS1_3repE0EEENS1_30default_config_static_selectorELNS0_4arch9wavefront6targetE1EEEvSY_,@function
_ZN7rocprim17ROCPRIM_400000_NS6detail17trampoline_kernelINS0_13select_configILj256ELj13ELNS0_17block_load_methodE3ELS4_3ELS4_3ELNS0_20block_scan_algorithmE0ELj4294967295EEENS1_25partition_config_selectorILNS1_17partition_subalgoE3EjNS0_10empty_typeEbEEZZNS1_14partition_implILS8_3ELb0ES6_jNS0_17counting_iteratorIjlEEPS9_SE_NS0_5tupleIJPjSE_EEENSF_IJSE_SE_EEES9_SG_JZNS1_25segmented_radix_sort_implINS0_14default_configELb1EPKfPfPKlPlN2at6native12_GLOBAL__N_18offset_tEEE10hipError_tPvRmT1_PNSt15iterator_traitsISY_E10value_typeET2_T3_PNSZ_IS14_E10value_typeET4_jRbjT5_S1A_jjP12ihipStream_tbEUljE_EEESV_SW_SX_S14_S18_S1A_T6_T7_T9_mT8_S1C_bDpT10_ENKUlT_T0_E_clISt17integral_constantIbLb0EES1P_EEDaS1K_S1L_EUlS1K_E_NS1_11comp_targetILNS1_3genE2ELNS1_11target_archE906ELNS1_3gpuE6ELNS1_3repE0EEENS1_30default_config_static_selectorELNS0_4arch9wavefront6targetE1EEEvSY_: ; @_ZN7rocprim17ROCPRIM_400000_NS6detail17trampoline_kernelINS0_13select_configILj256ELj13ELNS0_17block_load_methodE3ELS4_3ELS4_3ELNS0_20block_scan_algorithmE0ELj4294967295EEENS1_25partition_config_selectorILNS1_17partition_subalgoE3EjNS0_10empty_typeEbEEZZNS1_14partition_implILS8_3ELb0ES6_jNS0_17counting_iteratorIjlEEPS9_SE_NS0_5tupleIJPjSE_EEENSF_IJSE_SE_EEES9_SG_JZNS1_25segmented_radix_sort_implINS0_14default_configELb1EPKfPfPKlPlN2at6native12_GLOBAL__N_18offset_tEEE10hipError_tPvRmT1_PNSt15iterator_traitsISY_E10value_typeET2_T3_PNSZ_IS14_E10value_typeET4_jRbjT5_S1A_jjP12ihipStream_tbEUljE_EEESV_SW_SX_S14_S18_S1A_T6_T7_T9_mT8_S1C_bDpT10_ENKUlT_T0_E_clISt17integral_constantIbLb0EES1P_EEDaS1K_S1L_EUlS1K_E_NS1_11comp_targetILNS1_3genE2ELNS1_11target_archE906ELNS1_3gpuE6ELNS1_3repE0EEENS1_30default_config_static_selectorELNS0_4arch9wavefront6targetE1EEEvSY_
; %bb.0:
	s_load_dwordx2 s[28:29], s[4:5], 0x58
	s_load_dwordx4 s[24:27], s[4:5], 0x48
	s_load_dword s12, s[4:5], 0x8
	s_load_dwordx2 s[30:31], s[4:5], 0x10
	s_load_dword s0, s[4:5], 0x70
	s_load_dword s7, s[4:5], 0x88
	s_load_dwordx4 s[8:11], s[4:5], 0x78
	s_waitcnt lgkmcnt(0)
	s_load_dwordx2 s[34:35], s[26:27], 0x0
	s_mul_i32 s44, s6, 0xd00
	s_add_i32 s2, s0, -1
	s_mulk_i32 s0, 0xd00
	s_add_i32 s1, s0, s30
	s_sub_i32 s33, s28, s1
	s_addk_i32 s33, 0xd00
	s_add_u32 s0, s30, s0
	s_addc_u32 s1, s31, 0
	v_mov_b32_e32 v2, s1
	v_mov_b32_e32 v1, s0
	s_cmp_eq_u32 s6, s2
	v_cmp_gt_u64_e32 vcc, s[28:29], v[1:2]
	s_cselect_b64 s[22:23], -1, 0
	s_cmp_lg_u32 s6, s2
	s_cselect_b64 s[0:1], -1, 0
	s_add_i32 s12, s12, s44
	s_or_b64 s[2:3], s[0:1], vcc
	s_add_i32 s12, s12, s30
	s_mov_b64 s[0:1], -1
	s_and_b64 vcc, exec, s[2:3]
	v_add_u32_e32 v1, s12, v0
	v_lshlrev_b32_e32 v23, 2, v0
	s_cbranch_vccz .LBB1297_2
; %bb.1:
	v_add_u32_e32 v2, 0x100, v1
	v_add_u32_e32 v3, 0x200, v1
	;; [unrolled: 1-line block ×12, first 2 shown]
	ds_write2st64_b32 v23, v1, v2 offset1:4
	ds_write2st64_b32 v23, v3, v4 offset0:8 offset1:12
	ds_write2st64_b32 v23, v5, v6 offset0:16 offset1:20
	;; [unrolled: 1-line block ×5, first 2 shown]
	ds_write_b32 v23, v13 offset:12288
	s_waitcnt lgkmcnt(0)
	s_barrier
	s_mov_b64 s[0:1], 0
.LBB1297_2:
	s_andn2_b64 vcc, exec, s[0:1]
	v_cmp_gt_u32_e64 s[0:1], s33, v0
	s_cbranch_vccnz .LBB1297_4
; %bb.3:
	v_or_b32_e32 v2, 0x100, v0
	v_add_u32_e32 v3, s12, v2
	v_cmp_gt_u32_e32 vcc, s33, v2
	v_cndmask_b32_e32 v2, 0, v3, vcc
	v_or_b32_e32 v3, 0x200, v0
	v_add_u32_e32 v4, s12, v3
	v_cmp_gt_u32_e32 vcc, s33, v3
	v_cndmask_b32_e32 v3, 0, v4, vcc
	;; [unrolled: 4-line block ×11, first 2 shown]
	v_or_b32_e32 v13, 0xc00, v0
	v_cndmask_b32_e64 v1, 0, v1, s[0:1]
	v_add_u32_e32 v14, s12, v13
	v_cmp_gt_u32_e32 vcc, s33, v13
	v_cndmask_b32_e32 v13, 0, v14, vcc
	ds_write2st64_b32 v23, v1, v2 offset1:4
	ds_write2st64_b32 v23, v3, v4 offset0:8 offset1:12
	ds_write2st64_b32 v23, v5, v6 offset0:16 offset1:20
	;; [unrolled: 1-line block ×5, first 2 shown]
	ds_write_b32 v23, v13 offset:12288
	s_waitcnt lgkmcnt(0)
	s_barrier
.LBB1297_4:
	v_mul_u32_u24_e32 v25, 13, v0
	v_lshlrev_b32_e32 v1, 2, v25
	s_waitcnt lgkmcnt(0)
	ds_read2_b32 v[13:14], v1 offset1:1
	ds_read2_b32 v[11:12], v1 offset0:2 offset1:3
	ds_read2_b32 v[9:10], v1 offset0:4 offset1:5
	;; [unrolled: 1-line block ×5, first 2 shown]
	ds_read_b32 v24, v1 offset:48
	v_cndmask_b32_e64 v1, 0, 1, s[2:3]
	v_cmp_ne_u32_e64 s[0:1], 1, v1
	s_andn2_b64 vcc, exec, s[2:3]
	s_waitcnt lgkmcnt(0)
	s_barrier
	s_cbranch_vccnz .LBB1297_6
; %bb.5:
	v_add_u32_e32 v1, s9, v13
	v_add_u32_e32 v2, s11, v13
	v_mul_lo_u32 v1, v1, s8
	v_mul_lo_u32 v2, v2, s10
	v_add_u32_e32 v15, s9, v11
	v_add_u32_e32 v16, s11, v11
	v_mul_lo_u32 v15, v15, s8
	v_sub_u32_e32 v1, v1, v2
	v_cmp_lt_u32_e32 vcc, s7, v1
	v_add_u32_e32 v1, s9, v14
	v_add_u32_e32 v2, s11, v14
	v_mul_lo_u32 v1, v1, s8
	v_mul_lo_u32 v2, v2, s10
	;; [unrolled: 1-line block ×3, first 2 shown]
	v_cndmask_b32_e64 v26, 0, 1, vcc
	v_sub_u32_e32 v1, v1, v2
	v_cmp_lt_u32_e32 vcc, s7, v1
	v_sub_u32_e32 v1, v15, v16
	v_cndmask_b32_e64 v27, 0, 1, vcc
	v_cmp_lt_u32_e32 vcc, s7, v1
	v_add_u32_e32 v1, s9, v12
	v_add_u32_e32 v2, s11, v12
	v_mul_lo_u32 v1, v1, s8
	v_mul_lo_u32 v2, v2, s10
	v_add_u32_e32 v15, s9, v9
	v_add_u32_e32 v16, s11, v9
	v_mul_lo_u32 v15, v15, s8
	v_mul_lo_u32 v16, v16, s10
	v_sub_u32_e32 v1, v1, v2
	v_cndmask_b32_e64 v28, 0, 1, vcc
	v_cmp_lt_u32_e32 vcc, s7, v1
	v_sub_u32_e32 v1, v15, v16
	v_cndmask_b32_e64 v29, 0, 1, vcc
	v_cmp_lt_u32_e32 vcc, s7, v1
	v_add_u32_e32 v1, s9, v10
	v_add_u32_e32 v2, s11, v10
	v_mul_lo_u32 v1, v1, s8
	v_mul_lo_u32 v2, v2, s10
	v_add_u32_e32 v15, s9, v7
	v_add_u32_e32 v16, s11, v7
	v_mul_lo_u32 v15, v15, s8
	v_mul_lo_u32 v16, v16, s10
	v_sub_u32_e32 v1, v1, v2
	v_cndmask_b32_e64 v30, 0, 1, vcc
	;; [unrolled: 14-line block ×5, first 2 shown]
	v_cmp_lt_u32_e32 vcc, s7, v1
	v_sub_u32_e32 v1, v15, v16
	v_cndmask_b32_e64 v37, 0, 1, vcc
	v_cmp_lt_u32_e64 s[38:39], s7, v1
	s_load_dwordx2 s[26:27], s[4:5], 0x28
	s_load_dwordx2 s[36:37], s[4:5], 0x68
	s_cbranch_execz .LBB1297_7
	s_branch .LBB1297_34
.LBB1297_6:
                                        ; implicit-def: $sgpr38_sgpr39
                                        ; implicit-def: $vgpr37
                                        ; implicit-def: $vgpr36
                                        ; implicit-def: $vgpr35
                                        ; implicit-def: $vgpr34
                                        ; implicit-def: $vgpr33
                                        ; implicit-def: $vgpr32
                                        ; implicit-def: $vgpr31
                                        ; implicit-def: $vgpr30
                                        ; implicit-def: $vgpr26
                                        ; implicit-def: $vgpr27
                                        ; implicit-def: $vgpr28
                                        ; implicit-def: $vgpr29
	s_load_dwordx2 s[26:27], s[4:5], 0x28
	s_load_dwordx2 s[36:37], s[4:5], 0x68
.LBB1297_7:
	v_cmp_gt_u32_e32 vcc, s33, v25
	v_mov_b32_e32 v27, 0
	v_mov_b32_e32 v26, 0
	s_and_saveexec_b64 s[2:3], vcc
	s_cbranch_execz .LBB1297_9
; %bb.8:
	v_add_u32_e32 v1, s9, v13
	v_add_u32_e32 v2, s11, v13
	v_mul_lo_u32 v1, v1, s8
	v_mul_lo_u32 v2, v2, s10
	v_sub_u32_e32 v1, v1, v2
	v_cmp_lt_u32_e32 vcc, s7, v1
	v_cndmask_b32_e64 v26, 0, 1, vcc
.LBB1297_9:
	s_or_b64 exec, exec, s[2:3]
	v_add_u32_e32 v1, 1, v25
	v_cmp_gt_u32_e32 vcc, s33, v1
	s_and_saveexec_b64 s[2:3], vcc
	s_cbranch_execz .LBB1297_11
; %bb.10:
	v_add_u32_e32 v1, s9, v14
	v_add_u32_e32 v2, s11, v14
	v_mul_lo_u32 v1, v1, s8
	v_mul_lo_u32 v2, v2, s10
	v_sub_u32_e32 v1, v1, v2
	v_cmp_lt_u32_e32 vcc, s7, v1
	v_cndmask_b32_e64 v27, 0, 1, vcc
.LBB1297_11:
	s_or_b64 exec, exec, s[2:3]
	v_add_u32_e32 v1, 2, v25
	v_cmp_gt_u32_e32 vcc, s33, v1
	v_mov_b32_e32 v29, 0
	v_mov_b32_e32 v28, 0
	s_and_saveexec_b64 s[2:3], vcc
	s_cbranch_execz .LBB1297_13
; %bb.12:
	v_add_u32_e32 v1, s9, v11
	v_add_u32_e32 v2, s11, v11
	v_mul_lo_u32 v1, v1, s8
	v_mul_lo_u32 v2, v2, s10
	v_sub_u32_e32 v1, v1, v2
	v_cmp_lt_u32_e32 vcc, s7, v1
	v_cndmask_b32_e64 v28, 0, 1, vcc
.LBB1297_13:
	s_or_b64 exec, exec, s[2:3]
	v_add_u32_e32 v1, 3, v25
	v_cmp_gt_u32_e32 vcc, s33, v1
	s_and_saveexec_b64 s[2:3], vcc
	s_cbranch_execz .LBB1297_15
; %bb.14:
	v_add_u32_e32 v1, s9, v12
	v_add_u32_e32 v2, s11, v12
	v_mul_lo_u32 v1, v1, s8
	v_mul_lo_u32 v2, v2, s10
	v_sub_u32_e32 v1, v1, v2
	v_cmp_lt_u32_e32 vcc, s7, v1
	v_cndmask_b32_e64 v29, 0, 1, vcc
.LBB1297_15:
	s_or_b64 exec, exec, s[2:3]
	v_add_u32_e32 v1, 4, v25
	;; [unrolled: 30-line block ×6, first 2 shown]
	v_cmp_gt_u32_e32 vcc, s33, v1
	s_mov_b64 s[38:39], 0
	s_and_saveexec_b64 s[2:3], vcc
	s_cbranch_execz .LBB1297_33
; %bb.32:
	v_add_u32_e32 v1, s9, v24
	v_add_u32_e32 v2, s11, v24
	v_mul_lo_u32 v1, v1, s8
	v_mul_lo_u32 v2, v2, s10
	v_sub_u32_e32 v1, v1, v2
	v_cmp_lt_u32_e32 vcc, s7, v1
	s_and_b64 s[38:39], vcc, exec
.LBB1297_33:
	s_or_b64 exec, exec, s[2:3]
.LBB1297_34:
	v_and_b32_e32 v40, 0xff, v27
	v_and_b32_e32 v41, 0xff, v28
	v_and_b32_e32 v42, 0xff, v29
	v_and_b32_e32 v39, 0xff, v26
	v_and_b32_e32 v43, 0xff, v30
	v_add3_u32 v2, v41, v42, v40
	v_and_b32_e32 v44, 0xff, v31
	v_and_b32_e32 v45, 0xff, v32
	v_add3_u32 v2, v2, v39, v43
	v_and_b32_e32 v46, 0xff, v33
	v_and_b32_e32 v47, 0xff, v34
	;; [unrolled: 3-line block ×3, first 2 shown]
	v_add3_u32 v2, v2, v46, v47
	v_and_b32_e32 v38, 0xff, v37
	v_cndmask_b32_e64 v1, 0, 1, s[38:39]
	v_add3_u32 v2, v2, v48, v49
	v_add3_u32 v52, v2, v38, v1
	v_mbcnt_lo_u32_b32 v1, -1, 0
	v_mbcnt_hi_u32_b32 v50, -1, v1
	v_and_b32_e32 v1, 15, v50
	v_cmp_eq_u32_e64 s[14:15], 0, v1
	v_cmp_lt_u32_e64 s[12:13], 1, v1
	v_cmp_lt_u32_e64 s[10:11], 3, v1
	;; [unrolled: 1-line block ×3, first 2 shown]
	v_and_b32_e32 v1, 16, v50
	v_cmp_eq_u32_e64 s[18:19], 0, v1
	v_or_b32_e32 v1, 63, v0
	s_cmp_lg_u32 s6, 0
	v_cmp_lt_u32_e64 s[2:3], 31, v50
	v_lshrrev_b32_e32 v51, 6, v0
	v_cmp_eq_u32_e64 s[4:5], v0, v1
	s_cbranch_scc0 .LBB1297_56
; %bb.35:
	v_mov_b32_dpp v1, v52 row_shr:1 row_mask:0xf bank_mask:0xf
	v_cndmask_b32_e64 v1, v1, 0, s[14:15]
	v_add_u32_e32 v1, v1, v52
	s_nop 1
	v_mov_b32_dpp v2, v1 row_shr:2 row_mask:0xf bank_mask:0xf
	v_cndmask_b32_e64 v2, 0, v2, s[12:13]
	v_add_u32_e32 v1, v1, v2
	s_nop 1
	;; [unrolled: 4-line block ×4, first 2 shown]
	v_mov_b32_dpp v2, v1 row_bcast:15 row_mask:0xf bank_mask:0xf
	v_cndmask_b32_e64 v2, v2, 0, s[18:19]
	v_add_u32_e32 v1, v1, v2
	s_nop 1
	v_mov_b32_dpp v2, v1 row_bcast:31 row_mask:0xf bank_mask:0xf
	v_cndmask_b32_e64 v2, 0, v2, s[2:3]
	v_add_u32_e32 v1, v1, v2
	s_and_saveexec_b64 s[16:17], s[4:5]
; %bb.36:
	v_lshlrev_b32_e32 v2, 2, v51
	ds_write_b32 v2, v1
; %bb.37:
	s_or_b64 exec, exec, s[16:17]
	v_cmp_gt_u32_e32 vcc, 4, v0
	s_waitcnt lgkmcnt(0)
	s_barrier
	s_and_saveexec_b64 s[16:17], vcc
	s_cbranch_execz .LBB1297_39
; %bb.38:
	ds_read_b32 v2, v23
	v_and_b32_e32 v15, 3, v50
	v_cmp_ne_u32_e32 vcc, 0, v15
	s_waitcnt lgkmcnt(0)
	v_mov_b32_dpp v16, v2 row_shr:1 row_mask:0xf bank_mask:0xf
	v_cndmask_b32_e32 v16, 0, v16, vcc
	v_add_u32_e32 v2, v16, v2
	v_cmp_lt_u32_e32 vcc, 1, v15
	s_nop 0
	v_mov_b32_dpp v16, v2 row_shr:2 row_mask:0xf bank_mask:0xf
	v_cndmask_b32_e32 v15, 0, v16, vcc
	v_add_u32_e32 v2, v2, v15
	ds_write_b32 v23, v2
.LBB1297_39:
	s_or_b64 exec, exec, s[16:17]
	v_cmp_gt_u32_e32 vcc, 64, v0
	v_cmp_lt_u32_e64 s[16:17], 63, v0
	s_waitcnt lgkmcnt(0)
	s_barrier
                                        ; implicit-def: $vgpr53
	s_and_saveexec_b64 s[20:21], s[16:17]
	s_cbranch_execz .LBB1297_41
; %bb.40:
	v_lshl_add_u32 v2, v51, 2, -4
	ds_read_b32 v53, v2
	s_waitcnt lgkmcnt(0)
	v_add_u32_e32 v1, v53, v1
.LBB1297_41:
	s_or_b64 exec, exec, s[20:21]
	v_subrev_co_u32_e64 v2, s[16:17], 1, v50
	v_and_b32_e32 v15, 64, v50
	v_cmp_lt_i32_e64 s[20:21], v2, v15
	v_cndmask_b32_e64 v2, v2, v50, s[20:21]
	v_lshlrev_b32_e32 v2, 2, v2
	ds_bpermute_b32 v54, v2, v1
	s_and_saveexec_b64 s[20:21], vcc
	s_cbranch_execz .LBB1297_61
; %bb.42:
	v_mov_b32_e32 v19, 0
	ds_read_b32 v1, v19 offset:12
	s_and_saveexec_b64 s[40:41], s[16:17]
	s_cbranch_execz .LBB1297_44
; %bb.43:
	s_add_i32 s42, s6, 64
	s_mov_b32 s43, 0
	s_lshl_b64 s[42:43], s[42:43], 3
	s_add_u32 s42, s36, s42
	v_mov_b32_e32 v2, 1
	s_addc_u32 s43, s37, s43
	s_waitcnt lgkmcnt(0)
	global_store_dwordx2 v19, v[1:2], s[42:43]
.LBB1297_44:
	s_or_b64 exec, exec, s[40:41]
	v_xad_u32 v15, v50, -1, s6
	v_add_u32_e32 v18, 64, v15
	v_lshlrev_b64 v[16:17], 3, v[18:19]
	v_mov_b32_e32 v2, s37
	v_add_co_u32_e32 v20, vcc, s36, v16
	v_addc_co_u32_e32 v21, vcc, v2, v17, vcc
	global_load_dwordx2 v[17:18], v[20:21], off glc
	s_waitcnt vmcnt(0)
	v_cmp_eq_u16_sdwa s[42:43], v18, v19 src0_sel:BYTE_0 src1_sel:DWORD
	s_and_saveexec_b64 s[40:41], s[42:43]
	s_cbranch_execz .LBB1297_48
; %bb.45:
	s_mov_b64 s[42:43], 0
	v_mov_b32_e32 v2, 0
.LBB1297_46:                            ; =>This Inner Loop Header: Depth=1
	global_load_dwordx2 v[17:18], v[20:21], off glc
	s_waitcnt vmcnt(0)
	v_cmp_ne_u16_sdwa s[46:47], v18, v2 src0_sel:BYTE_0 src1_sel:DWORD
	s_or_b64 s[42:43], s[46:47], s[42:43]
	s_andn2_b64 exec, exec, s[42:43]
	s_cbranch_execnz .LBB1297_46
; %bb.47:
	s_or_b64 exec, exec, s[42:43]
.LBB1297_48:
	s_or_b64 exec, exec, s[40:41]
	v_and_b32_e32 v56, 63, v50
	v_mov_b32_e32 v55, 2
	v_lshlrev_b64 v[19:20], v50, -1
	v_cmp_ne_u32_e32 vcc, 63, v56
	v_cmp_eq_u16_sdwa s[40:41], v18, v55 src0_sel:BYTE_0 src1_sel:DWORD
	v_addc_co_u32_e32 v21, vcc, 0, v50, vcc
	v_and_b32_e32 v2, s41, v20
	v_lshlrev_b32_e32 v57, 2, v21
	v_or_b32_e32 v2, 0x80000000, v2
	ds_bpermute_b32 v21, v57, v17
	v_and_b32_e32 v16, s40, v19
	v_ffbl_b32_e32 v2, v2
	v_add_u32_e32 v2, 32, v2
	v_ffbl_b32_e32 v16, v16
	v_min_u32_e32 v2, v16, v2
	v_cmp_lt_u32_e32 vcc, v56, v2
	s_waitcnt lgkmcnt(0)
	v_cndmask_b32_e32 v16, 0, v21, vcc
	v_cmp_gt_u32_e32 vcc, 62, v56
	v_add_u32_e32 v16, v16, v17
	v_cndmask_b32_e64 v17, 0, 2, vcc
	v_add_lshl_u32 v58, v17, v50, 2
	ds_bpermute_b32 v17, v58, v16
	v_add_u32_e32 v59, 2, v56
	v_cmp_le_u32_e32 vcc, v59, v2
	v_add_u32_e32 v61, 4, v56
	v_add_u32_e32 v63, 8, v56
	s_waitcnt lgkmcnt(0)
	v_cndmask_b32_e32 v17, 0, v17, vcc
	v_cmp_gt_u32_e32 vcc, 60, v56
	v_add_u32_e32 v16, v16, v17
	v_cndmask_b32_e64 v17, 0, 4, vcc
	v_add_lshl_u32 v60, v17, v50, 2
	ds_bpermute_b32 v17, v60, v16
	v_cmp_le_u32_e32 vcc, v61, v2
	v_add_u32_e32 v65, 16, v56
	v_add_u32_e32 v67, 32, v56
	s_waitcnt lgkmcnt(0)
	v_cndmask_b32_e32 v17, 0, v17, vcc
	v_cmp_gt_u32_e32 vcc, 56, v56
	v_add_u32_e32 v16, v16, v17
	v_cndmask_b32_e64 v17, 0, 8, vcc
	v_add_lshl_u32 v62, v17, v50, 2
	ds_bpermute_b32 v17, v62, v16
	v_cmp_le_u32_e32 vcc, v63, v2
	s_waitcnt lgkmcnt(0)
	v_cndmask_b32_e32 v17, 0, v17, vcc
	v_cmp_gt_u32_e32 vcc, 48, v56
	v_add_u32_e32 v16, v16, v17
	v_cndmask_b32_e64 v17, 0, 16, vcc
	v_add_lshl_u32 v64, v17, v50, 2
	ds_bpermute_b32 v17, v64, v16
	v_cmp_le_u32_e32 vcc, v65, v2
	s_waitcnt lgkmcnt(0)
	v_cndmask_b32_e32 v17, 0, v17, vcc
	v_add_u32_e32 v16, v16, v17
	v_mov_b32_e32 v17, 0x80
	v_lshl_or_b32 v66, v50, 2, v17
	ds_bpermute_b32 v17, v66, v16
	v_cmp_le_u32_e32 vcc, v67, v2
	s_waitcnt lgkmcnt(0)
	v_cndmask_b32_e32 v2, 0, v17, vcc
	v_add_u32_e32 v17, v16, v2
	v_mov_b32_e32 v16, 0
	s_branch .LBB1297_52
.LBB1297_49:                            ;   in Loop: Header=BB1297_52 Depth=1
	s_or_b64 exec, exec, s[42:43]
.LBB1297_50:                            ;   in Loop: Header=BB1297_52 Depth=1
	s_or_b64 exec, exec, s[40:41]
	v_cmp_eq_u16_sdwa s[40:41], v18, v55 src0_sel:BYTE_0 src1_sel:DWORD
	v_and_b32_e32 v21, s41, v20
	v_or_b32_e32 v21, 0x80000000, v21
	ds_bpermute_b32 v68, v57, v17
	v_and_b32_e32 v22, s40, v19
	v_ffbl_b32_e32 v21, v21
	v_add_u32_e32 v21, 32, v21
	v_ffbl_b32_e32 v22, v22
	v_min_u32_e32 v21, v22, v21
	v_cmp_lt_u32_e32 vcc, v56, v21
	s_waitcnt lgkmcnt(0)
	v_cndmask_b32_e32 v22, 0, v68, vcc
	v_add_u32_e32 v17, v22, v17
	ds_bpermute_b32 v22, v58, v17
	v_cmp_le_u32_e32 vcc, v59, v21
	v_subrev_u32_e32 v15, 64, v15
	s_mov_b64 s[40:41], 0
	s_waitcnt lgkmcnt(0)
	v_cndmask_b32_e32 v22, 0, v22, vcc
	v_add_u32_e32 v17, v17, v22
	ds_bpermute_b32 v22, v60, v17
	v_cmp_le_u32_e32 vcc, v61, v21
	s_waitcnt lgkmcnt(0)
	v_cndmask_b32_e32 v22, 0, v22, vcc
	v_add_u32_e32 v17, v17, v22
	ds_bpermute_b32 v22, v62, v17
	v_cmp_le_u32_e32 vcc, v63, v21
	s_waitcnt lgkmcnt(0)
	v_cndmask_b32_e32 v22, 0, v22, vcc
	v_add_u32_e32 v17, v17, v22
	ds_bpermute_b32 v22, v64, v17
	v_cmp_le_u32_e32 vcc, v65, v21
	s_waitcnt lgkmcnt(0)
	v_cndmask_b32_e32 v22, 0, v22, vcc
	v_add_u32_e32 v17, v17, v22
	ds_bpermute_b32 v22, v66, v17
	v_cmp_le_u32_e32 vcc, v67, v21
	s_waitcnt lgkmcnt(0)
	v_cndmask_b32_e32 v21, 0, v22, vcc
	v_add3_u32 v17, v21, v2, v17
.LBB1297_51:                            ;   in Loop: Header=BB1297_52 Depth=1
	s_and_b64 vcc, exec, s[40:41]
	s_cbranch_vccnz .LBB1297_57
.LBB1297_52:                            ; =>This Loop Header: Depth=1
                                        ;     Child Loop BB1297_55 Depth 2
	v_cmp_ne_u16_sdwa s[40:41], v18, v55 src0_sel:BYTE_0 src1_sel:DWORD
	v_mov_b32_e32 v2, v17
	s_cmp_lg_u64 s[40:41], exec
	s_mov_b64 s[40:41], -1
                                        ; implicit-def: $vgpr17
                                        ; implicit-def: $vgpr18
	s_cbranch_scc1 .LBB1297_51
; %bb.53:                               ;   in Loop: Header=BB1297_52 Depth=1
	v_lshlrev_b64 v[17:18], 3, v[15:16]
	v_mov_b32_e32 v22, s37
	v_add_co_u32_e32 v21, vcc, s36, v17
	v_addc_co_u32_e32 v22, vcc, v22, v18, vcc
	global_load_dwordx2 v[17:18], v[21:22], off glc
	s_waitcnt vmcnt(0)
	v_cmp_eq_u16_sdwa s[42:43], v18, v16 src0_sel:BYTE_0 src1_sel:DWORD
	s_and_saveexec_b64 s[40:41], s[42:43]
	s_cbranch_execz .LBB1297_50
; %bb.54:                               ;   in Loop: Header=BB1297_52 Depth=1
	s_mov_b64 s[42:43], 0
.LBB1297_55:                            ;   Parent Loop BB1297_52 Depth=1
                                        ; =>  This Inner Loop Header: Depth=2
	global_load_dwordx2 v[17:18], v[21:22], off glc
	s_waitcnt vmcnt(0)
	v_cmp_ne_u16_sdwa s[46:47], v18, v16 src0_sel:BYTE_0 src1_sel:DWORD
	s_or_b64 s[42:43], s[46:47], s[42:43]
	s_andn2_b64 exec, exec, s[42:43]
	s_cbranch_execnz .LBB1297_55
	s_branch .LBB1297_49
.LBB1297_56:
                                        ; implicit-def: $vgpr2
                                        ; implicit-def: $vgpr15
	s_cbranch_execnz .LBB1297_62
	s_branch .LBB1297_71
.LBB1297_57:
	s_and_saveexec_b64 s[40:41], s[16:17]
	s_cbranch_execz .LBB1297_59
; %bb.58:
	s_add_i32 s6, s6, 64
	s_mov_b32 s7, 0
	s_lshl_b64 s[6:7], s[6:7], 3
	s_add_u32 s6, s36, s6
	v_add_u32_e32 v15, v2, v1
	v_mov_b32_e32 v16, 2
	s_addc_u32 s7, s37, s7
	v_mov_b32_e32 v17, 0
	global_store_dwordx2 v17, v[15:16], s[6:7]
	ds_write_b64 v17, v[1:2] offset:13312
.LBB1297_59:
	s_or_b64 exec, exec, s[40:41]
	v_cmp_eq_u32_e32 vcc, 0, v0
	s_and_b64 exec, exec, vcc
; %bb.60:
	v_mov_b32_e32 v1, 0
	ds_write_b32 v1, v2 offset:12
.LBB1297_61:
	s_or_b64 exec, exec, s[20:21]
	v_mov_b32_e32 v1, 0
	s_waitcnt vmcnt(0) lgkmcnt(0)
	s_barrier
	ds_read_b32 v16, v1 offset:12
	s_waitcnt lgkmcnt(0)
	s_barrier
	ds_read_b64 v[1:2], v1 offset:13312
	v_cndmask_b32_e64 v15, v54, v53, s[16:17]
	v_cmp_ne_u32_e32 vcc, 0, v0
	v_cndmask_b32_e32 v15, 0, v15, vcc
	v_add_u32_e32 v15, v16, v15
	s_branch .LBB1297_71
.LBB1297_62:
	s_waitcnt lgkmcnt(0)
	v_mov_b32_dpp v1, v52 row_shr:1 row_mask:0xf bank_mask:0xf
	v_cndmask_b32_e64 v1, v1, 0, s[14:15]
	v_add_u32_e32 v1, v1, v52
	s_nop 1
	v_mov_b32_dpp v2, v1 row_shr:2 row_mask:0xf bank_mask:0xf
	v_cndmask_b32_e64 v2, 0, v2, s[12:13]
	v_add_u32_e32 v1, v1, v2
	s_nop 1
	;; [unrolled: 4-line block ×4, first 2 shown]
	v_mov_b32_dpp v2, v1 row_bcast:15 row_mask:0xf bank_mask:0xf
	v_cndmask_b32_e64 v2, v2, 0, s[18:19]
	v_add_u32_e32 v1, v1, v2
	s_nop 1
	v_mov_b32_dpp v2, v1 row_bcast:31 row_mask:0xf bank_mask:0xf
	v_cndmask_b32_e64 v2, 0, v2, s[2:3]
	v_add_u32_e32 v1, v1, v2
	s_and_saveexec_b64 s[2:3], s[4:5]
; %bb.63:
	v_lshlrev_b32_e32 v2, 2, v51
	ds_write_b32 v2, v1
; %bb.64:
	s_or_b64 exec, exec, s[2:3]
	v_cmp_gt_u32_e32 vcc, 4, v0
	s_waitcnt lgkmcnt(0)
	s_barrier
	s_and_saveexec_b64 s[2:3], vcc
	s_cbranch_execz .LBB1297_66
; %bb.65:
	ds_read_b32 v2, v23
	v_and_b32_e32 v15, 3, v50
	v_cmp_ne_u32_e32 vcc, 0, v15
	s_waitcnt lgkmcnt(0)
	v_mov_b32_dpp v16, v2 row_shr:1 row_mask:0xf bank_mask:0xf
	v_cndmask_b32_e32 v16, 0, v16, vcc
	v_add_u32_e32 v2, v16, v2
	v_cmp_lt_u32_e32 vcc, 1, v15
	s_nop 0
	v_mov_b32_dpp v16, v2 row_shr:2 row_mask:0xf bank_mask:0xf
	v_cndmask_b32_e32 v15, 0, v16, vcc
	v_add_u32_e32 v2, v2, v15
	ds_write_b32 v23, v2
.LBB1297_66:
	s_or_b64 exec, exec, s[2:3]
	v_cmp_lt_u32_e32 vcc, 63, v0
	v_mov_b32_e32 v2, 0
	v_mov_b32_e32 v15, 0
	s_waitcnt lgkmcnt(0)
	s_barrier
	s_and_saveexec_b64 s[2:3], vcc
; %bb.67:
	v_lshl_add_u32 v15, v51, 2, -4
	ds_read_b32 v15, v15
; %bb.68:
	s_or_b64 exec, exec, s[2:3]
	v_subrev_co_u32_e32 v16, vcc, 1, v50
	v_and_b32_e32 v17, 64, v50
	v_cmp_lt_i32_e64 s[2:3], v16, v17
	v_cndmask_b32_e64 v16, v16, v50, s[2:3]
	s_waitcnt lgkmcnt(0)
	v_add_u32_e32 v1, v15, v1
	v_lshlrev_b32_e32 v16, 2, v16
	ds_bpermute_b32 v16, v16, v1
	ds_read_b32 v1, v2 offset:12
	v_cmp_eq_u32_e64 s[2:3], 0, v0
	s_and_saveexec_b64 s[4:5], s[2:3]
	s_cbranch_execz .LBB1297_70
; %bb.69:
	v_mov_b32_e32 v17, 0
	v_mov_b32_e32 v2, 2
	s_waitcnt lgkmcnt(0)
	global_store_dwordx2 v17, v[1:2], s[36:37] offset:512
.LBB1297_70:
	s_or_b64 exec, exec, s[4:5]
	s_waitcnt lgkmcnt(1)
	v_cndmask_b32_e32 v2, v16, v15, vcc
	v_cndmask_b32_e64 v15, v2, 0, s[2:3]
	s_waitcnt vmcnt(0) lgkmcnt(0)
	s_barrier
	v_mov_b32_e32 v2, 0
.LBB1297_71:
	v_add_u32_e32 v16, v15, v39
	v_add_u32_e32 v17, v16, v40
	;; [unrolled: 1-line block ×4, first 2 shown]
	s_waitcnt lgkmcnt(0)
	v_add_u32_e32 v25, v1, v25
	v_sub_u32_e32 v15, v15, v2
	v_and_b32_e32 v26, 1, v26
	v_add_u32_e32 v20, v19, v43
	v_sub_u32_e32 v43, v25, v15
	v_cmp_eq_u32_e32 vcc, 1, v26
	v_cndmask_b32_e32 v15, v43, v15, vcc
	v_lshlrev_b32_e32 v15, 2, v15
	ds_write_b32 v15, v13
	v_sub_u32_e32 v13, v16, v2
	v_sub_u32_e32 v15, v25, v13
	v_and_b32_e32 v16, 1, v27
	v_add_u32_e32 v15, 1, v15
	v_cmp_eq_u32_e32 vcc, 1, v16
	v_cndmask_b32_e32 v13, v15, v13, vcc
	v_lshlrev_b32_e32 v13, 2, v13
	ds_write_b32 v13, v14
	v_sub_u32_e32 v13, v17, v2
	v_sub_u32_e32 v14, v25, v13
	v_and_b32_e32 v15, 1, v28
	v_add_u32_e32 v14, 2, v14
	;; [unrolled: 8-line block ×5, first 2 shown]
	v_cmp_eq_u32_e32 vcc, 1, v12
	v_cndmask_b32_e32 v9, v11, v9, vcc
	v_add_u32_e32 v21, v20, v44
	v_lshlrev_b32_e32 v9, 2, v9
	ds_write_b32 v9, v10
	v_sub_u32_e32 v9, v21, v2
	v_sub_u32_e32 v10, v25, v9
	v_and_b32_e32 v11, 1, v32
	v_add_u32_e32 v10, 6, v10
	v_cmp_eq_u32_e32 vcc, 1, v11
	v_cndmask_b32_e32 v9, v10, v9, vcc
	v_add_u32_e32 v22, v21, v45
	v_lshlrev_b32_e32 v9, 2, v9
	ds_write_b32 v9, v7
	v_sub_u32_e32 v7, v22, v2
	v_sub_u32_e32 v9, v25, v7
	v_and_b32_e32 v10, 1, v33
	v_add_u32_e32 v9, 7, v9
	;; [unrolled: 9-line block ×6, first 2 shown]
	v_cmp_eq_u32_e32 vcc, 1, v6
	v_cndmask_b32_e32 v3, v5, v3, vcc
	v_lshlrev_b32_e32 v3, 2, v3
	ds_write_b32 v3, v4
	v_sub_u32_e32 v3, v38, v2
	v_add_u32_e32 v3, v42, v3
	v_sub_u32_e32 v4, v25, v3
	v_add_u32_e32 v4, 12, v4
	v_cndmask_b32_e64 v3, v4, v3, s[38:39]
	v_lshlrev_b32_e32 v3, 2, v3
	ds_write_b32 v3, v24
	s_waitcnt lgkmcnt(0)
	s_barrier
	ds_read2st64_b32 v[13:14], v23 offset1:4
	ds_read2st64_b32 v[11:12], v23 offset0:8 offset1:12
	ds_read2st64_b32 v[9:10], v23 offset0:16 offset1:20
	;; [unrolled: 1-line block ×5, first 2 shown]
	ds_read_b32 v19, v23 offset:12288
	v_mov_b32_e32 v15, s35
	s_and_b64 vcc, exec, s[0:1]
	v_add_co_u32_e64 v17, s[0:1], s34, v2
	v_or_b32_e32 v33, 0x100, v0
	v_or_b32_e32 v31, 0x200, v0
	;; [unrolled: 1-line block ×12, first 2 shown]
	v_addc_co_u32_e64 v18, s[0:1], 0, v15, s[0:1]
	s_cbranch_vccnz .LBB1297_125
; %bb.72:
	v_mov_b32_e32 v2, s31
	v_subrev_co_u32_e32 v15, vcc, s30, v17
	s_sub_u32 s0, s28, s44
	v_subb_co_u32_e32 v16, vcc, v18, v2, vcc
	s_subb_u32 s1, s29, 0
	v_mov_b32_e32 v2, s1
	v_add_co_u32_e32 v23, vcc, s0, v1
	v_addc_co_u32_e32 v32, vcc, 0, v2, vcc
	v_add_co_u32_e32 v2, vcc, v23, v15
	v_addc_co_u32_e32 v23, vcc, v32, v16, vcc
	v_cmp_ge_u32_e32 vcc, v0, v1
                                        ; implicit-def: $vgpr15_vgpr16
	s_and_saveexec_b64 s[0:1], vcc
	s_xor_b64 s[0:1], exec, s[0:1]
; %bb.73:
	v_not_b32_e32 v15, v0
	v_ashrrev_i32_e32 v16, 31, v15
	v_add_co_u32_e32 v15, vcc, v2, v15
	v_addc_co_u32_e32 v16, vcc, v23, v16, vcc
; %bb.74:
	s_andn2_saveexec_b64 s[0:1], s[0:1]
; %bb.75:
	v_add_co_u32_e32 v15, vcc, v17, v0
	v_addc_co_u32_e32 v16, vcc, 0, v18, vcc
; %bb.76:
	s_or_b64 exec, exec, s[0:1]
	v_lshlrev_b64 v[15:16], 2, v[15:16]
	v_mov_b32_e32 v32, s27
	v_add_co_u32_e32 v15, vcc, s26, v15
	v_addc_co_u32_e32 v16, vcc, v32, v16, vcc
	v_cmp_ge_u32_e32 vcc, v33, v1
	s_waitcnt lgkmcnt(6)
	global_store_dword v[15:16], v13, off
                                        ; implicit-def: $vgpr15_vgpr16
	s_and_saveexec_b64 s[0:1], vcc
	s_xor_b64 s[0:1], exec, s[0:1]
; %bb.77:
	v_xor_b32_e32 v15, 0xfffffeff, v0
	v_ashrrev_i32_e32 v16, 31, v15
	v_add_co_u32_e32 v15, vcc, v2, v15
	v_addc_co_u32_e32 v16, vcc, v23, v16, vcc
; %bb.78:
	s_andn2_saveexec_b64 s[0:1], s[0:1]
; %bb.79:
	v_add_co_u32_e32 v15, vcc, v17, v33
	v_addc_co_u32_e32 v16, vcc, 0, v18, vcc
; %bb.80:
	s_or_b64 exec, exec, s[0:1]
	v_lshlrev_b64 v[15:16], 2, v[15:16]
	v_mov_b32_e32 v32, s27
	v_add_co_u32_e32 v15, vcc, s26, v15
	v_addc_co_u32_e32 v16, vcc, v32, v16, vcc
	v_cmp_ge_u32_e32 vcc, v31, v1
	global_store_dword v[15:16], v14, off
                                        ; implicit-def: $vgpr15_vgpr16
	s_and_saveexec_b64 s[0:1], vcc
	s_xor_b64 s[0:1], exec, s[0:1]
; %bb.81:
	v_xor_b32_e32 v15, 0xfffffdff, v0
	v_ashrrev_i32_e32 v16, 31, v15
	v_add_co_u32_e32 v15, vcc, v2, v15
	v_addc_co_u32_e32 v16, vcc, v23, v16, vcc
; %bb.82:
	s_andn2_saveexec_b64 s[0:1], s[0:1]
; %bb.83:
	v_add_co_u32_e32 v15, vcc, v17, v31
	v_addc_co_u32_e32 v16, vcc, 0, v18, vcc
; %bb.84:
	s_or_b64 exec, exec, s[0:1]
	v_lshlrev_b64 v[15:16], 2, v[15:16]
	v_mov_b32_e32 v32, s27
	v_add_co_u32_e32 v15, vcc, s26, v15
	v_addc_co_u32_e32 v16, vcc, v32, v16, vcc
	v_cmp_ge_u32_e32 vcc, v30, v1
	s_waitcnt lgkmcnt(5)
	global_store_dword v[15:16], v11, off
                                        ; implicit-def: $vgpr15_vgpr16
	s_and_saveexec_b64 s[0:1], vcc
	s_xor_b64 s[0:1], exec, s[0:1]
; %bb.85:
	v_xor_b32_e32 v15, 0xfffffcff, v0
	v_ashrrev_i32_e32 v16, 31, v15
	v_add_co_u32_e32 v15, vcc, v2, v15
	v_addc_co_u32_e32 v16, vcc, v23, v16, vcc
; %bb.86:
	s_andn2_saveexec_b64 s[0:1], s[0:1]
; %bb.87:
	v_add_co_u32_e32 v15, vcc, v17, v30
	v_addc_co_u32_e32 v16, vcc, 0, v18, vcc
; %bb.88:
	s_or_b64 exec, exec, s[0:1]
	v_lshlrev_b64 v[15:16], 2, v[15:16]
	v_mov_b32_e32 v32, s27
	v_add_co_u32_e32 v15, vcc, s26, v15
	v_addc_co_u32_e32 v16, vcc, v32, v16, vcc
	v_cmp_ge_u32_e32 vcc, v29, v1
	global_store_dword v[15:16], v12, off
                                        ; implicit-def: $vgpr15_vgpr16
	s_and_saveexec_b64 s[0:1], vcc
	s_xor_b64 s[0:1], exec, s[0:1]
; %bb.89:
	v_xor_b32_e32 v15, 0xfffffbff, v0
	;; [unrolled: 43-line block ×6, first 2 shown]
	v_ashrrev_i32_e32 v16, 31, v15
	v_add_co_u32_e32 v15, vcc, v2, v15
	v_addc_co_u32_e32 v16, vcc, v23, v16, vcc
; %bb.122:
	s_andn2_saveexec_b64 s[0:1], s[0:1]
; %bb.123:
	v_add_co_u32_e32 v15, vcc, v17, v20
	v_addc_co_u32_e32 v16, vcc, 0, v18, vcc
; %bb.124:
	s_or_b64 exec, exec, s[0:1]
	s_mov_b64 s[0:1], -1
	s_branch .LBB1297_205
.LBB1297_125:
	s_mov_b64 s[0:1], 0
                                        ; implicit-def: $vgpr15_vgpr16
	s_cbranch_execz .LBB1297_205
; %bb.126:
	s_add_u32 s2, s30, s44
	s_addc_u32 s3, s31, 0
	s_sub_u32 s2, s28, s2
	s_subb_u32 s3, s29, s3
	v_mov_b32_e32 v2, s3
	v_add_co_u32_e32 v15, vcc, s2, v1
	v_addc_co_u32_e32 v2, vcc, 0, v2, vcc
	v_add_co_u32_e32 v23, vcc, v15, v17
	v_addc_co_u32_e32 v32, vcc, v2, v18, vcc
	v_cmp_gt_u32_e32 vcc, s33, v0
	s_and_saveexec_b64 s[2:3], vcc
	s_cbranch_execz .LBB1297_162
; %bb.127:
	v_cmp_ge_u32_e32 vcc, v0, v1
                                        ; implicit-def: $vgpr15_vgpr16
	s_and_saveexec_b64 s[4:5], vcc
	s_xor_b64 s[4:5], exec, s[4:5]
; %bb.128:
	v_not_b32_e32 v2, v0
	v_ashrrev_i32_e32 v16, 31, v2
	v_add_co_u32_e32 v15, vcc, v23, v2
	v_addc_co_u32_e32 v16, vcc, v32, v16, vcc
; %bb.129:
	s_andn2_saveexec_b64 s[4:5], s[4:5]
; %bb.130:
	v_add_co_u32_e32 v15, vcc, v17, v0
	v_addc_co_u32_e32 v16, vcc, 0, v18, vcc
; %bb.131:
	s_or_b64 exec, exec, s[4:5]
	v_lshlrev_b64 v[15:16], 2, v[15:16]
	v_mov_b32_e32 v2, s27
	v_add_co_u32_e32 v15, vcc, s26, v15
	v_addc_co_u32_e32 v16, vcc, v2, v16, vcc
	s_waitcnt lgkmcnt(6)
	global_store_dword v[15:16], v13, off
	s_or_b64 exec, exec, s[2:3]
	v_cmp_gt_u32_e32 vcc, s33, v33
	s_and_saveexec_b64 s[2:3], vcc
	s_cbranch_execnz .LBB1297_163
.LBB1297_132:
	s_or_b64 exec, exec, s[2:3]
	v_cmp_gt_u32_e32 vcc, s33, v31
	s_and_saveexec_b64 s[2:3], vcc
	s_cbranch_execz .LBB1297_168
.LBB1297_133:
	v_cmp_ge_u32_e32 vcc, v31, v1
                                        ; implicit-def: $vgpr13_vgpr14
	s_and_saveexec_b64 s[4:5], vcc
	s_xor_b64 s[4:5], exec, s[4:5]
	s_cbranch_execz .LBB1297_135
; %bb.134:
	v_xor_b32_e32 v2, 0xfffffdff, v0
	s_waitcnt lgkmcnt(6)
	v_ashrrev_i32_e32 v14, 31, v2
	v_add_co_u32_e32 v13, vcc, v23, v2
	v_addc_co_u32_e32 v14, vcc, v32, v14, vcc
                                        ; implicit-def: $vgpr31
.LBB1297_135:
	s_andn2_saveexec_b64 s[4:5], s[4:5]
	s_cbranch_execz .LBB1297_137
; %bb.136:
	s_waitcnt lgkmcnt(6)
	v_add_co_u32_e32 v13, vcc, v17, v31
	v_addc_co_u32_e32 v14, vcc, 0, v18, vcc
.LBB1297_137:
	s_or_b64 exec, exec, s[4:5]
	s_waitcnt lgkmcnt(6)
	v_lshlrev_b64 v[13:14], 2, v[13:14]
	v_mov_b32_e32 v2, s27
	v_add_co_u32_e32 v13, vcc, s26, v13
	v_addc_co_u32_e32 v14, vcc, v2, v14, vcc
	s_waitcnt lgkmcnt(5)
	global_store_dword v[13:14], v11, off
	s_or_b64 exec, exec, s[2:3]
	v_cmp_gt_u32_e32 vcc, s33, v30
	s_and_saveexec_b64 s[2:3], vcc
	s_cbranch_execnz .LBB1297_169
.LBB1297_138:
	s_or_b64 exec, exec, s[2:3]
	v_cmp_gt_u32_e32 vcc, s33, v29
	s_and_saveexec_b64 s[2:3], vcc
	s_cbranch_execz .LBB1297_174
.LBB1297_139:
	v_cmp_ge_u32_e32 vcc, v29, v1
                                        ; implicit-def: $vgpr11_vgpr12
	s_and_saveexec_b64 s[4:5], vcc
	s_xor_b64 s[4:5], exec, s[4:5]
	s_cbranch_execz .LBB1297_141
; %bb.140:
	v_xor_b32_e32 v2, 0xfffffbff, v0
	s_waitcnt lgkmcnt(5)
	v_ashrrev_i32_e32 v12, 31, v2
	v_add_co_u32_e32 v11, vcc, v23, v2
	v_addc_co_u32_e32 v12, vcc, v32, v12, vcc
                                        ; implicit-def: $vgpr29
.LBB1297_141:
	s_andn2_saveexec_b64 s[4:5], s[4:5]
	s_cbranch_execz .LBB1297_143
; %bb.142:
	s_waitcnt lgkmcnt(5)
	v_add_co_u32_e32 v11, vcc, v17, v29
	v_addc_co_u32_e32 v12, vcc, 0, v18, vcc
.LBB1297_143:
	s_or_b64 exec, exec, s[4:5]
	s_waitcnt lgkmcnt(5)
	v_lshlrev_b64 v[11:12], 2, v[11:12]
	v_mov_b32_e32 v2, s27
	v_add_co_u32_e32 v11, vcc, s26, v11
	v_addc_co_u32_e32 v12, vcc, v2, v12, vcc
	s_waitcnt lgkmcnt(4)
	global_store_dword v[11:12], v9, off
	s_or_b64 exec, exec, s[2:3]
	v_cmp_gt_u32_e32 vcc, s33, v28
	s_and_saveexec_b64 s[2:3], vcc
	s_cbranch_execnz .LBB1297_175
.LBB1297_144:
	s_or_b64 exec, exec, s[2:3]
	v_cmp_gt_u32_e32 vcc, s33, v27
	s_and_saveexec_b64 s[2:3], vcc
	s_cbranch_execz .LBB1297_180
.LBB1297_145:
	v_cmp_ge_u32_e32 vcc, v27, v1
                                        ; implicit-def: $vgpr9_vgpr10
	s_and_saveexec_b64 s[4:5], vcc
	s_xor_b64 s[4:5], exec, s[4:5]
	s_cbranch_execz .LBB1297_147
; %bb.146:
	v_xor_b32_e32 v2, 0xfffff9ff, v0
	s_waitcnt lgkmcnt(4)
	v_ashrrev_i32_e32 v10, 31, v2
	v_add_co_u32_e32 v9, vcc, v23, v2
	v_addc_co_u32_e32 v10, vcc, v32, v10, vcc
                                        ; implicit-def: $vgpr27
.LBB1297_147:
	s_andn2_saveexec_b64 s[4:5], s[4:5]
	s_cbranch_execz .LBB1297_149
; %bb.148:
	s_waitcnt lgkmcnt(4)
	v_add_co_u32_e32 v9, vcc, v17, v27
	v_addc_co_u32_e32 v10, vcc, 0, v18, vcc
.LBB1297_149:
	s_or_b64 exec, exec, s[4:5]
	s_waitcnt lgkmcnt(4)
	v_lshlrev_b64 v[9:10], 2, v[9:10]
	v_mov_b32_e32 v2, s27
	v_add_co_u32_e32 v9, vcc, s26, v9
	v_addc_co_u32_e32 v10, vcc, v2, v10, vcc
	s_waitcnt lgkmcnt(3)
	global_store_dword v[9:10], v7, off
	s_or_b64 exec, exec, s[2:3]
	v_cmp_gt_u32_e32 vcc, s33, v26
	s_and_saveexec_b64 s[2:3], vcc
	s_cbranch_execnz .LBB1297_181
.LBB1297_150:
	s_or_b64 exec, exec, s[2:3]
	v_cmp_gt_u32_e32 vcc, s33, v25
	s_and_saveexec_b64 s[2:3], vcc
	s_cbranch_execz .LBB1297_186
.LBB1297_151:
	v_cmp_ge_u32_e32 vcc, v25, v1
                                        ; implicit-def: $vgpr7_vgpr8
	s_and_saveexec_b64 s[4:5], vcc
	s_xor_b64 s[4:5], exec, s[4:5]
	s_cbranch_execz .LBB1297_153
; %bb.152:
	v_xor_b32_e32 v2, 0xfffff7ff, v0
	s_waitcnt lgkmcnt(3)
	v_ashrrev_i32_e32 v8, 31, v2
	v_add_co_u32_e32 v7, vcc, v23, v2
	v_addc_co_u32_e32 v8, vcc, v32, v8, vcc
                                        ; implicit-def: $vgpr25
.LBB1297_153:
	s_andn2_saveexec_b64 s[4:5], s[4:5]
	s_cbranch_execz .LBB1297_155
; %bb.154:
	s_waitcnt lgkmcnt(3)
	v_add_co_u32_e32 v7, vcc, v17, v25
	v_addc_co_u32_e32 v8, vcc, 0, v18, vcc
.LBB1297_155:
	s_or_b64 exec, exec, s[4:5]
	s_waitcnt lgkmcnt(3)
	v_lshlrev_b64 v[7:8], 2, v[7:8]
	v_mov_b32_e32 v2, s27
	v_add_co_u32_e32 v7, vcc, s26, v7
	v_addc_co_u32_e32 v8, vcc, v2, v8, vcc
	s_waitcnt lgkmcnt(2)
	global_store_dword v[7:8], v5, off
	s_or_b64 exec, exec, s[2:3]
	v_cmp_gt_u32_e32 vcc, s33, v24
	s_and_saveexec_b64 s[2:3], vcc
	s_cbranch_execnz .LBB1297_187
.LBB1297_156:
	s_or_b64 exec, exec, s[2:3]
	v_cmp_gt_u32_e32 vcc, s33, v22
	s_and_saveexec_b64 s[2:3], vcc
	s_cbranch_execz .LBB1297_192
.LBB1297_157:
	v_cmp_ge_u32_e32 vcc, v22, v1
                                        ; implicit-def: $vgpr5_vgpr6
	s_and_saveexec_b64 s[4:5], vcc
	s_xor_b64 s[4:5], exec, s[4:5]
	s_cbranch_execz .LBB1297_159
; %bb.158:
	v_xor_b32_e32 v2, 0xfffff5ff, v0
	s_waitcnt lgkmcnt(2)
	v_ashrrev_i32_e32 v6, 31, v2
	v_add_co_u32_e32 v5, vcc, v23, v2
	v_addc_co_u32_e32 v6, vcc, v32, v6, vcc
                                        ; implicit-def: $vgpr22
.LBB1297_159:
	s_andn2_saveexec_b64 s[4:5], s[4:5]
	s_cbranch_execz .LBB1297_161
; %bb.160:
	s_waitcnt lgkmcnt(2)
	v_add_co_u32_e32 v5, vcc, v17, v22
	v_addc_co_u32_e32 v6, vcc, 0, v18, vcc
.LBB1297_161:
	s_or_b64 exec, exec, s[4:5]
	s_waitcnt lgkmcnt(2)
	v_lshlrev_b64 v[5:6], 2, v[5:6]
	v_mov_b32_e32 v2, s27
	v_add_co_u32_e32 v5, vcc, s26, v5
	v_addc_co_u32_e32 v6, vcc, v2, v6, vcc
	s_waitcnt lgkmcnt(1)
	global_store_dword v[5:6], v3, off
	s_or_b64 exec, exec, s[2:3]
	v_cmp_gt_u32_e32 vcc, s33, v21
	s_and_saveexec_b64 s[2:3], vcc
	s_cbranch_execz .LBB1297_198
	s_branch .LBB1297_193
.LBB1297_162:
	s_or_b64 exec, exec, s[2:3]
	v_cmp_gt_u32_e32 vcc, s33, v33
	s_and_saveexec_b64 s[2:3], vcc
	s_cbranch_execz .LBB1297_132
.LBB1297_163:
	v_cmp_ge_u32_e32 vcc, v33, v1
                                        ; implicit-def: $vgpr15_vgpr16
	s_and_saveexec_b64 s[4:5], vcc
	s_xor_b64 s[4:5], exec, s[4:5]
	s_cbranch_execz .LBB1297_165
; %bb.164:
	v_xor_b32_e32 v2, 0xfffffeff, v0
	s_waitcnt lgkmcnt(6)
	v_ashrrev_i32_e32 v13, 31, v2
	v_add_co_u32_e32 v15, vcc, v23, v2
	v_addc_co_u32_e32 v16, vcc, v32, v13, vcc
                                        ; implicit-def: $vgpr33
.LBB1297_165:
	s_andn2_saveexec_b64 s[4:5], s[4:5]
; %bb.166:
	v_add_co_u32_e32 v15, vcc, v17, v33
	v_addc_co_u32_e32 v16, vcc, 0, v18, vcc
; %bb.167:
	s_or_b64 exec, exec, s[4:5]
	v_lshlrev_b64 v[15:16], 2, v[15:16]
	v_mov_b32_e32 v2, s27
	v_add_co_u32_e32 v15, vcc, s26, v15
	v_addc_co_u32_e32 v16, vcc, v2, v16, vcc
	s_waitcnt lgkmcnt(6)
	global_store_dword v[15:16], v14, off
	s_or_b64 exec, exec, s[2:3]
	v_cmp_gt_u32_e32 vcc, s33, v31
	s_and_saveexec_b64 s[2:3], vcc
	s_cbranch_execnz .LBB1297_133
.LBB1297_168:
	s_or_b64 exec, exec, s[2:3]
	v_cmp_gt_u32_e32 vcc, s33, v30
	s_and_saveexec_b64 s[2:3], vcc
	s_cbranch_execz .LBB1297_138
.LBB1297_169:
	v_cmp_ge_u32_e32 vcc, v30, v1
                                        ; implicit-def: $vgpr13_vgpr14
	s_and_saveexec_b64 s[4:5], vcc
	s_xor_b64 s[4:5], exec, s[4:5]
	s_cbranch_execz .LBB1297_171
; %bb.170:
	v_xor_b32_e32 v2, 0xfffffcff, v0
	s_waitcnt lgkmcnt(5)
	v_ashrrev_i32_e32 v11, 31, v2
	v_add_co_u32_e32 v13, vcc, v23, v2
	v_addc_co_u32_e32 v14, vcc, v32, v11, vcc
                                        ; implicit-def: $vgpr30
.LBB1297_171:
	s_andn2_saveexec_b64 s[4:5], s[4:5]
	s_cbranch_execz .LBB1297_173
; %bb.172:
	s_waitcnt lgkmcnt(6)
	v_add_co_u32_e32 v13, vcc, v17, v30
	v_addc_co_u32_e32 v14, vcc, 0, v18, vcc
.LBB1297_173:
	s_or_b64 exec, exec, s[4:5]
	s_waitcnt lgkmcnt(6)
	v_lshlrev_b64 v[13:14], 2, v[13:14]
	v_mov_b32_e32 v2, s27
	v_add_co_u32_e32 v13, vcc, s26, v13
	v_addc_co_u32_e32 v14, vcc, v2, v14, vcc
	s_waitcnt lgkmcnt(5)
	global_store_dword v[13:14], v12, off
	s_or_b64 exec, exec, s[2:3]
	v_cmp_gt_u32_e32 vcc, s33, v29
	s_and_saveexec_b64 s[2:3], vcc
	s_cbranch_execnz .LBB1297_139
.LBB1297_174:
	s_or_b64 exec, exec, s[2:3]
	v_cmp_gt_u32_e32 vcc, s33, v28
	s_and_saveexec_b64 s[2:3], vcc
	s_cbranch_execz .LBB1297_144
.LBB1297_175:
	v_cmp_ge_u32_e32 vcc, v28, v1
                                        ; implicit-def: $vgpr11_vgpr12
	s_and_saveexec_b64 s[4:5], vcc
	s_xor_b64 s[4:5], exec, s[4:5]
	s_cbranch_execz .LBB1297_177
; %bb.176:
	v_xor_b32_e32 v2, 0xfffffaff, v0
	s_waitcnt lgkmcnt(4)
	v_ashrrev_i32_e32 v9, 31, v2
	v_add_co_u32_e32 v11, vcc, v23, v2
	v_addc_co_u32_e32 v12, vcc, v32, v9, vcc
                                        ; implicit-def: $vgpr28
.LBB1297_177:
	s_andn2_saveexec_b64 s[4:5], s[4:5]
	s_cbranch_execz .LBB1297_179
; %bb.178:
	s_waitcnt lgkmcnt(5)
	v_add_co_u32_e32 v11, vcc, v17, v28
	v_addc_co_u32_e32 v12, vcc, 0, v18, vcc
.LBB1297_179:
	s_or_b64 exec, exec, s[4:5]
	s_waitcnt lgkmcnt(5)
	v_lshlrev_b64 v[11:12], 2, v[11:12]
	v_mov_b32_e32 v2, s27
	v_add_co_u32_e32 v11, vcc, s26, v11
	v_addc_co_u32_e32 v12, vcc, v2, v12, vcc
	s_waitcnt lgkmcnt(4)
	global_store_dword v[11:12], v10, off
	s_or_b64 exec, exec, s[2:3]
	v_cmp_gt_u32_e32 vcc, s33, v27
	s_and_saveexec_b64 s[2:3], vcc
	s_cbranch_execnz .LBB1297_145
.LBB1297_180:
	s_or_b64 exec, exec, s[2:3]
	v_cmp_gt_u32_e32 vcc, s33, v26
	s_and_saveexec_b64 s[2:3], vcc
	s_cbranch_execz .LBB1297_150
.LBB1297_181:
	v_cmp_ge_u32_e32 vcc, v26, v1
                                        ; implicit-def: $vgpr9_vgpr10
	s_and_saveexec_b64 s[4:5], vcc
	s_xor_b64 s[4:5], exec, s[4:5]
	s_cbranch_execz .LBB1297_183
; %bb.182:
	v_xor_b32_e32 v2, 0xfffff8ff, v0
	s_waitcnt lgkmcnt(3)
	v_ashrrev_i32_e32 v7, 31, v2
	v_add_co_u32_e32 v9, vcc, v23, v2
	v_addc_co_u32_e32 v10, vcc, v32, v7, vcc
                                        ; implicit-def: $vgpr26
.LBB1297_183:
	s_andn2_saveexec_b64 s[4:5], s[4:5]
	s_cbranch_execz .LBB1297_185
; %bb.184:
	s_waitcnt lgkmcnt(4)
	v_add_co_u32_e32 v9, vcc, v17, v26
	v_addc_co_u32_e32 v10, vcc, 0, v18, vcc
.LBB1297_185:
	s_or_b64 exec, exec, s[4:5]
	s_waitcnt lgkmcnt(4)
	v_lshlrev_b64 v[9:10], 2, v[9:10]
	v_mov_b32_e32 v2, s27
	v_add_co_u32_e32 v9, vcc, s26, v9
	v_addc_co_u32_e32 v10, vcc, v2, v10, vcc
	s_waitcnt lgkmcnt(3)
	global_store_dword v[9:10], v8, off
	s_or_b64 exec, exec, s[2:3]
	v_cmp_gt_u32_e32 vcc, s33, v25
	s_and_saveexec_b64 s[2:3], vcc
	s_cbranch_execnz .LBB1297_151
.LBB1297_186:
	s_or_b64 exec, exec, s[2:3]
	v_cmp_gt_u32_e32 vcc, s33, v24
	s_and_saveexec_b64 s[2:3], vcc
	s_cbranch_execz .LBB1297_156
.LBB1297_187:
	v_cmp_ge_u32_e32 vcc, v24, v1
                                        ; implicit-def: $vgpr7_vgpr8
	s_and_saveexec_b64 s[4:5], vcc
	s_xor_b64 s[4:5], exec, s[4:5]
	s_cbranch_execz .LBB1297_189
; %bb.188:
	v_xor_b32_e32 v2, 0xfffff6ff, v0
	s_waitcnt lgkmcnt(2)
	v_ashrrev_i32_e32 v5, 31, v2
	v_add_co_u32_e32 v7, vcc, v23, v2
	v_addc_co_u32_e32 v8, vcc, v32, v5, vcc
                                        ; implicit-def: $vgpr24
.LBB1297_189:
	s_andn2_saveexec_b64 s[4:5], s[4:5]
	s_cbranch_execz .LBB1297_191
; %bb.190:
	s_waitcnt lgkmcnt(3)
	v_add_co_u32_e32 v7, vcc, v17, v24
	v_addc_co_u32_e32 v8, vcc, 0, v18, vcc
.LBB1297_191:
	s_or_b64 exec, exec, s[4:5]
	s_waitcnt lgkmcnt(3)
	v_lshlrev_b64 v[7:8], 2, v[7:8]
	v_mov_b32_e32 v2, s27
	v_add_co_u32_e32 v7, vcc, s26, v7
	v_addc_co_u32_e32 v8, vcc, v2, v8, vcc
	s_waitcnt lgkmcnt(2)
	global_store_dword v[7:8], v6, off
	s_or_b64 exec, exec, s[2:3]
	v_cmp_gt_u32_e32 vcc, s33, v22
	s_and_saveexec_b64 s[2:3], vcc
	s_cbranch_execnz .LBB1297_157
.LBB1297_192:
	s_or_b64 exec, exec, s[2:3]
	v_cmp_gt_u32_e32 vcc, s33, v21
	s_and_saveexec_b64 s[2:3], vcc
	s_cbranch_execz .LBB1297_198
.LBB1297_193:
	v_cmp_ge_u32_e32 vcc, v21, v1
                                        ; implicit-def: $vgpr2_vgpr3
	s_and_saveexec_b64 s[4:5], vcc
	s_xor_b64 s[4:5], exec, s[4:5]
	s_cbranch_execz .LBB1297_195
; %bb.194:
	v_xor_b32_e32 v2, 0xfffff4ff, v0
	s_waitcnt lgkmcnt(1)
	v_ashrrev_i32_e32 v3, 31, v2
	v_add_co_u32_e32 v2, vcc, v23, v2
	v_addc_co_u32_e32 v3, vcc, v32, v3, vcc
                                        ; implicit-def: $vgpr21
.LBB1297_195:
	s_andn2_saveexec_b64 s[4:5], s[4:5]
	s_cbranch_execz .LBB1297_197
; %bb.196:
	v_add_co_u32_e32 v2, vcc, v17, v21
	s_waitcnt lgkmcnt(1)
	v_addc_co_u32_e32 v3, vcc, 0, v18, vcc
.LBB1297_197:
	s_or_b64 exec, exec, s[4:5]
	s_waitcnt lgkmcnt(1)
	v_lshlrev_b64 v[2:3], 2, v[2:3]
	v_mov_b32_e32 v5, s27
	v_add_co_u32_e32 v2, vcc, s26, v2
	v_addc_co_u32_e32 v3, vcc, v5, v3, vcc
	global_store_dword v[2:3], v4, off
.LBB1297_198:
	s_or_b64 exec, exec, s[2:3]
	v_cmp_gt_u32_e32 vcc, s33, v20
                                        ; implicit-def: $vgpr15_vgpr16
	s_and_saveexec_b64 s[2:3], vcc
	s_cbranch_execz .LBB1297_204
; %bb.199:
	v_cmp_ge_u32_e32 vcc, v20, v1
                                        ; implicit-def: $vgpr15_vgpr16
	s_and_saveexec_b64 s[4:5], vcc
	s_xor_b64 s[4:5], exec, s[4:5]
	s_cbranch_execz .LBB1297_201
; %bb.200:
	v_xor_b32_e32 v2, 0xfffff3ff, v0
	s_waitcnt lgkmcnt(1)
	v_ashrrev_i32_e32 v3, 31, v2
	v_add_co_u32_e32 v15, vcc, v23, v2
	v_addc_co_u32_e32 v16, vcc, v32, v3, vcc
                                        ; implicit-def: $vgpr20
.LBB1297_201:
	s_andn2_saveexec_b64 s[4:5], s[4:5]
; %bb.202:
	v_add_co_u32_e32 v15, vcc, v17, v20
	v_addc_co_u32_e32 v16, vcc, 0, v18, vcc
; %bb.203:
	s_or_b64 exec, exec, s[4:5]
	s_or_b64 s[0:1], s[0:1], exec
.LBB1297_204:
	s_or_b64 exec, exec, s[2:3]
.LBB1297_205:
	s_and_saveexec_b64 s[2:3], s[0:1]
	s_cbranch_execz .LBB1297_207
; %bb.206:
	s_waitcnt lgkmcnt(1)
	v_lshlrev_b64 v[2:3], 2, v[15:16]
	v_mov_b32_e32 v4, s27
	v_add_co_u32_e32 v2, vcc, s26, v2
	v_addc_co_u32_e32 v3, vcc, v4, v3, vcc
	s_waitcnt lgkmcnt(0)
	global_store_dword v[2:3], v19, off
.LBB1297_207:
	s_or_b64 exec, exec, s[2:3]
	v_cmp_eq_u32_e32 vcc, 0, v0
	s_and_b64 s[0:1], vcc, s[22:23]
	s_and_saveexec_b64 s[2:3], s[0:1]
	s_cbranch_execz .LBB1297_209
; %bb.208:
	v_add_co_u32_e32 v0, vcc, v17, v1
	v_mov_b32_e32 v2, 0
	v_addc_co_u32_e32 v1, vcc, 0, v18, vcc
	global_store_dwordx2 v2, v[0:1], s[24:25]
.LBB1297_209:
	s_endpgm
	.section	.rodata,"a",@progbits
	.p2align	6, 0x0
	.amdhsa_kernel _ZN7rocprim17ROCPRIM_400000_NS6detail17trampoline_kernelINS0_13select_configILj256ELj13ELNS0_17block_load_methodE3ELS4_3ELS4_3ELNS0_20block_scan_algorithmE0ELj4294967295EEENS1_25partition_config_selectorILNS1_17partition_subalgoE3EjNS0_10empty_typeEbEEZZNS1_14partition_implILS8_3ELb0ES6_jNS0_17counting_iteratorIjlEEPS9_SE_NS0_5tupleIJPjSE_EEENSF_IJSE_SE_EEES9_SG_JZNS1_25segmented_radix_sort_implINS0_14default_configELb1EPKfPfPKlPlN2at6native12_GLOBAL__N_18offset_tEEE10hipError_tPvRmT1_PNSt15iterator_traitsISY_E10value_typeET2_T3_PNSZ_IS14_E10value_typeET4_jRbjT5_S1A_jjP12ihipStream_tbEUljE_EEESV_SW_SX_S14_S18_S1A_T6_T7_T9_mT8_S1C_bDpT10_ENKUlT_T0_E_clISt17integral_constantIbLb0EES1P_EEDaS1K_S1L_EUlS1K_E_NS1_11comp_targetILNS1_3genE2ELNS1_11target_archE906ELNS1_3gpuE6ELNS1_3repE0EEENS1_30default_config_static_selectorELNS0_4arch9wavefront6targetE1EEEvSY_
		.amdhsa_group_segment_fixed_size 13320
		.amdhsa_private_segment_fixed_size 0
		.amdhsa_kernarg_size 144
		.amdhsa_user_sgpr_count 6
		.amdhsa_user_sgpr_private_segment_buffer 1
		.amdhsa_user_sgpr_dispatch_ptr 0
		.amdhsa_user_sgpr_queue_ptr 0
		.amdhsa_user_sgpr_kernarg_segment_ptr 1
		.amdhsa_user_sgpr_dispatch_id 0
		.amdhsa_user_sgpr_flat_scratch_init 0
		.amdhsa_user_sgpr_private_segment_size 0
		.amdhsa_uses_dynamic_stack 0
		.amdhsa_system_sgpr_private_segment_wavefront_offset 0
		.amdhsa_system_sgpr_workgroup_id_x 1
		.amdhsa_system_sgpr_workgroup_id_y 0
		.amdhsa_system_sgpr_workgroup_id_z 0
		.amdhsa_system_sgpr_workgroup_info 0
		.amdhsa_system_vgpr_workitem_id 0
		.amdhsa_next_free_vgpr 69
		.amdhsa_next_free_sgpr 98
		.amdhsa_reserve_vcc 1
		.amdhsa_reserve_flat_scratch 0
		.amdhsa_float_round_mode_32 0
		.amdhsa_float_round_mode_16_64 0
		.amdhsa_float_denorm_mode_32 3
		.amdhsa_float_denorm_mode_16_64 3
		.amdhsa_dx10_clamp 1
		.amdhsa_ieee_mode 1
		.amdhsa_fp16_overflow 0
		.amdhsa_exception_fp_ieee_invalid_op 0
		.amdhsa_exception_fp_denorm_src 0
		.amdhsa_exception_fp_ieee_div_zero 0
		.amdhsa_exception_fp_ieee_overflow 0
		.amdhsa_exception_fp_ieee_underflow 0
		.amdhsa_exception_fp_ieee_inexact 0
		.amdhsa_exception_int_div_zero 0
	.end_amdhsa_kernel
	.section	.text._ZN7rocprim17ROCPRIM_400000_NS6detail17trampoline_kernelINS0_13select_configILj256ELj13ELNS0_17block_load_methodE3ELS4_3ELS4_3ELNS0_20block_scan_algorithmE0ELj4294967295EEENS1_25partition_config_selectorILNS1_17partition_subalgoE3EjNS0_10empty_typeEbEEZZNS1_14partition_implILS8_3ELb0ES6_jNS0_17counting_iteratorIjlEEPS9_SE_NS0_5tupleIJPjSE_EEENSF_IJSE_SE_EEES9_SG_JZNS1_25segmented_radix_sort_implINS0_14default_configELb1EPKfPfPKlPlN2at6native12_GLOBAL__N_18offset_tEEE10hipError_tPvRmT1_PNSt15iterator_traitsISY_E10value_typeET2_T3_PNSZ_IS14_E10value_typeET4_jRbjT5_S1A_jjP12ihipStream_tbEUljE_EEESV_SW_SX_S14_S18_S1A_T6_T7_T9_mT8_S1C_bDpT10_ENKUlT_T0_E_clISt17integral_constantIbLb0EES1P_EEDaS1K_S1L_EUlS1K_E_NS1_11comp_targetILNS1_3genE2ELNS1_11target_archE906ELNS1_3gpuE6ELNS1_3repE0EEENS1_30default_config_static_selectorELNS0_4arch9wavefront6targetE1EEEvSY_,"axG",@progbits,_ZN7rocprim17ROCPRIM_400000_NS6detail17trampoline_kernelINS0_13select_configILj256ELj13ELNS0_17block_load_methodE3ELS4_3ELS4_3ELNS0_20block_scan_algorithmE0ELj4294967295EEENS1_25partition_config_selectorILNS1_17partition_subalgoE3EjNS0_10empty_typeEbEEZZNS1_14partition_implILS8_3ELb0ES6_jNS0_17counting_iteratorIjlEEPS9_SE_NS0_5tupleIJPjSE_EEENSF_IJSE_SE_EEES9_SG_JZNS1_25segmented_radix_sort_implINS0_14default_configELb1EPKfPfPKlPlN2at6native12_GLOBAL__N_18offset_tEEE10hipError_tPvRmT1_PNSt15iterator_traitsISY_E10value_typeET2_T3_PNSZ_IS14_E10value_typeET4_jRbjT5_S1A_jjP12ihipStream_tbEUljE_EEESV_SW_SX_S14_S18_S1A_T6_T7_T9_mT8_S1C_bDpT10_ENKUlT_T0_E_clISt17integral_constantIbLb0EES1P_EEDaS1K_S1L_EUlS1K_E_NS1_11comp_targetILNS1_3genE2ELNS1_11target_archE906ELNS1_3gpuE6ELNS1_3repE0EEENS1_30default_config_static_selectorELNS0_4arch9wavefront6targetE1EEEvSY_,comdat
.Lfunc_end1297:
	.size	_ZN7rocprim17ROCPRIM_400000_NS6detail17trampoline_kernelINS0_13select_configILj256ELj13ELNS0_17block_load_methodE3ELS4_3ELS4_3ELNS0_20block_scan_algorithmE0ELj4294967295EEENS1_25partition_config_selectorILNS1_17partition_subalgoE3EjNS0_10empty_typeEbEEZZNS1_14partition_implILS8_3ELb0ES6_jNS0_17counting_iteratorIjlEEPS9_SE_NS0_5tupleIJPjSE_EEENSF_IJSE_SE_EEES9_SG_JZNS1_25segmented_radix_sort_implINS0_14default_configELb1EPKfPfPKlPlN2at6native12_GLOBAL__N_18offset_tEEE10hipError_tPvRmT1_PNSt15iterator_traitsISY_E10value_typeET2_T3_PNSZ_IS14_E10value_typeET4_jRbjT5_S1A_jjP12ihipStream_tbEUljE_EEESV_SW_SX_S14_S18_S1A_T6_T7_T9_mT8_S1C_bDpT10_ENKUlT_T0_E_clISt17integral_constantIbLb0EES1P_EEDaS1K_S1L_EUlS1K_E_NS1_11comp_targetILNS1_3genE2ELNS1_11target_archE906ELNS1_3gpuE6ELNS1_3repE0EEENS1_30default_config_static_selectorELNS0_4arch9wavefront6targetE1EEEvSY_, .Lfunc_end1297-_ZN7rocprim17ROCPRIM_400000_NS6detail17trampoline_kernelINS0_13select_configILj256ELj13ELNS0_17block_load_methodE3ELS4_3ELS4_3ELNS0_20block_scan_algorithmE0ELj4294967295EEENS1_25partition_config_selectorILNS1_17partition_subalgoE3EjNS0_10empty_typeEbEEZZNS1_14partition_implILS8_3ELb0ES6_jNS0_17counting_iteratorIjlEEPS9_SE_NS0_5tupleIJPjSE_EEENSF_IJSE_SE_EEES9_SG_JZNS1_25segmented_radix_sort_implINS0_14default_configELb1EPKfPfPKlPlN2at6native12_GLOBAL__N_18offset_tEEE10hipError_tPvRmT1_PNSt15iterator_traitsISY_E10value_typeET2_T3_PNSZ_IS14_E10value_typeET4_jRbjT5_S1A_jjP12ihipStream_tbEUljE_EEESV_SW_SX_S14_S18_S1A_T6_T7_T9_mT8_S1C_bDpT10_ENKUlT_T0_E_clISt17integral_constantIbLb0EES1P_EEDaS1K_S1L_EUlS1K_E_NS1_11comp_targetILNS1_3genE2ELNS1_11target_archE906ELNS1_3gpuE6ELNS1_3repE0EEENS1_30default_config_static_selectorELNS0_4arch9wavefront6targetE1EEEvSY_
                                        ; -- End function
	.set _ZN7rocprim17ROCPRIM_400000_NS6detail17trampoline_kernelINS0_13select_configILj256ELj13ELNS0_17block_load_methodE3ELS4_3ELS4_3ELNS0_20block_scan_algorithmE0ELj4294967295EEENS1_25partition_config_selectorILNS1_17partition_subalgoE3EjNS0_10empty_typeEbEEZZNS1_14partition_implILS8_3ELb0ES6_jNS0_17counting_iteratorIjlEEPS9_SE_NS0_5tupleIJPjSE_EEENSF_IJSE_SE_EEES9_SG_JZNS1_25segmented_radix_sort_implINS0_14default_configELb1EPKfPfPKlPlN2at6native12_GLOBAL__N_18offset_tEEE10hipError_tPvRmT1_PNSt15iterator_traitsISY_E10value_typeET2_T3_PNSZ_IS14_E10value_typeET4_jRbjT5_S1A_jjP12ihipStream_tbEUljE_EEESV_SW_SX_S14_S18_S1A_T6_T7_T9_mT8_S1C_bDpT10_ENKUlT_T0_E_clISt17integral_constantIbLb0EES1P_EEDaS1K_S1L_EUlS1K_E_NS1_11comp_targetILNS1_3genE2ELNS1_11target_archE906ELNS1_3gpuE6ELNS1_3repE0EEENS1_30default_config_static_selectorELNS0_4arch9wavefront6targetE1EEEvSY_.num_vgpr, 69
	.set _ZN7rocprim17ROCPRIM_400000_NS6detail17trampoline_kernelINS0_13select_configILj256ELj13ELNS0_17block_load_methodE3ELS4_3ELS4_3ELNS0_20block_scan_algorithmE0ELj4294967295EEENS1_25partition_config_selectorILNS1_17partition_subalgoE3EjNS0_10empty_typeEbEEZZNS1_14partition_implILS8_3ELb0ES6_jNS0_17counting_iteratorIjlEEPS9_SE_NS0_5tupleIJPjSE_EEENSF_IJSE_SE_EEES9_SG_JZNS1_25segmented_radix_sort_implINS0_14default_configELb1EPKfPfPKlPlN2at6native12_GLOBAL__N_18offset_tEEE10hipError_tPvRmT1_PNSt15iterator_traitsISY_E10value_typeET2_T3_PNSZ_IS14_E10value_typeET4_jRbjT5_S1A_jjP12ihipStream_tbEUljE_EEESV_SW_SX_S14_S18_S1A_T6_T7_T9_mT8_S1C_bDpT10_ENKUlT_T0_E_clISt17integral_constantIbLb0EES1P_EEDaS1K_S1L_EUlS1K_E_NS1_11comp_targetILNS1_3genE2ELNS1_11target_archE906ELNS1_3gpuE6ELNS1_3repE0EEENS1_30default_config_static_selectorELNS0_4arch9wavefront6targetE1EEEvSY_.num_agpr, 0
	.set _ZN7rocprim17ROCPRIM_400000_NS6detail17trampoline_kernelINS0_13select_configILj256ELj13ELNS0_17block_load_methodE3ELS4_3ELS4_3ELNS0_20block_scan_algorithmE0ELj4294967295EEENS1_25partition_config_selectorILNS1_17partition_subalgoE3EjNS0_10empty_typeEbEEZZNS1_14partition_implILS8_3ELb0ES6_jNS0_17counting_iteratorIjlEEPS9_SE_NS0_5tupleIJPjSE_EEENSF_IJSE_SE_EEES9_SG_JZNS1_25segmented_radix_sort_implINS0_14default_configELb1EPKfPfPKlPlN2at6native12_GLOBAL__N_18offset_tEEE10hipError_tPvRmT1_PNSt15iterator_traitsISY_E10value_typeET2_T3_PNSZ_IS14_E10value_typeET4_jRbjT5_S1A_jjP12ihipStream_tbEUljE_EEESV_SW_SX_S14_S18_S1A_T6_T7_T9_mT8_S1C_bDpT10_ENKUlT_T0_E_clISt17integral_constantIbLb0EES1P_EEDaS1K_S1L_EUlS1K_E_NS1_11comp_targetILNS1_3genE2ELNS1_11target_archE906ELNS1_3gpuE6ELNS1_3repE0EEENS1_30default_config_static_selectorELNS0_4arch9wavefront6targetE1EEEvSY_.numbered_sgpr, 48
	.set _ZN7rocprim17ROCPRIM_400000_NS6detail17trampoline_kernelINS0_13select_configILj256ELj13ELNS0_17block_load_methodE3ELS4_3ELS4_3ELNS0_20block_scan_algorithmE0ELj4294967295EEENS1_25partition_config_selectorILNS1_17partition_subalgoE3EjNS0_10empty_typeEbEEZZNS1_14partition_implILS8_3ELb0ES6_jNS0_17counting_iteratorIjlEEPS9_SE_NS0_5tupleIJPjSE_EEENSF_IJSE_SE_EEES9_SG_JZNS1_25segmented_radix_sort_implINS0_14default_configELb1EPKfPfPKlPlN2at6native12_GLOBAL__N_18offset_tEEE10hipError_tPvRmT1_PNSt15iterator_traitsISY_E10value_typeET2_T3_PNSZ_IS14_E10value_typeET4_jRbjT5_S1A_jjP12ihipStream_tbEUljE_EEESV_SW_SX_S14_S18_S1A_T6_T7_T9_mT8_S1C_bDpT10_ENKUlT_T0_E_clISt17integral_constantIbLb0EES1P_EEDaS1K_S1L_EUlS1K_E_NS1_11comp_targetILNS1_3genE2ELNS1_11target_archE906ELNS1_3gpuE6ELNS1_3repE0EEENS1_30default_config_static_selectorELNS0_4arch9wavefront6targetE1EEEvSY_.num_named_barrier, 0
	.set _ZN7rocprim17ROCPRIM_400000_NS6detail17trampoline_kernelINS0_13select_configILj256ELj13ELNS0_17block_load_methodE3ELS4_3ELS4_3ELNS0_20block_scan_algorithmE0ELj4294967295EEENS1_25partition_config_selectorILNS1_17partition_subalgoE3EjNS0_10empty_typeEbEEZZNS1_14partition_implILS8_3ELb0ES6_jNS0_17counting_iteratorIjlEEPS9_SE_NS0_5tupleIJPjSE_EEENSF_IJSE_SE_EEES9_SG_JZNS1_25segmented_radix_sort_implINS0_14default_configELb1EPKfPfPKlPlN2at6native12_GLOBAL__N_18offset_tEEE10hipError_tPvRmT1_PNSt15iterator_traitsISY_E10value_typeET2_T3_PNSZ_IS14_E10value_typeET4_jRbjT5_S1A_jjP12ihipStream_tbEUljE_EEESV_SW_SX_S14_S18_S1A_T6_T7_T9_mT8_S1C_bDpT10_ENKUlT_T0_E_clISt17integral_constantIbLb0EES1P_EEDaS1K_S1L_EUlS1K_E_NS1_11comp_targetILNS1_3genE2ELNS1_11target_archE906ELNS1_3gpuE6ELNS1_3repE0EEENS1_30default_config_static_selectorELNS0_4arch9wavefront6targetE1EEEvSY_.private_seg_size, 0
	.set _ZN7rocprim17ROCPRIM_400000_NS6detail17trampoline_kernelINS0_13select_configILj256ELj13ELNS0_17block_load_methodE3ELS4_3ELS4_3ELNS0_20block_scan_algorithmE0ELj4294967295EEENS1_25partition_config_selectorILNS1_17partition_subalgoE3EjNS0_10empty_typeEbEEZZNS1_14partition_implILS8_3ELb0ES6_jNS0_17counting_iteratorIjlEEPS9_SE_NS0_5tupleIJPjSE_EEENSF_IJSE_SE_EEES9_SG_JZNS1_25segmented_radix_sort_implINS0_14default_configELb1EPKfPfPKlPlN2at6native12_GLOBAL__N_18offset_tEEE10hipError_tPvRmT1_PNSt15iterator_traitsISY_E10value_typeET2_T3_PNSZ_IS14_E10value_typeET4_jRbjT5_S1A_jjP12ihipStream_tbEUljE_EEESV_SW_SX_S14_S18_S1A_T6_T7_T9_mT8_S1C_bDpT10_ENKUlT_T0_E_clISt17integral_constantIbLb0EES1P_EEDaS1K_S1L_EUlS1K_E_NS1_11comp_targetILNS1_3genE2ELNS1_11target_archE906ELNS1_3gpuE6ELNS1_3repE0EEENS1_30default_config_static_selectorELNS0_4arch9wavefront6targetE1EEEvSY_.uses_vcc, 1
	.set _ZN7rocprim17ROCPRIM_400000_NS6detail17trampoline_kernelINS0_13select_configILj256ELj13ELNS0_17block_load_methodE3ELS4_3ELS4_3ELNS0_20block_scan_algorithmE0ELj4294967295EEENS1_25partition_config_selectorILNS1_17partition_subalgoE3EjNS0_10empty_typeEbEEZZNS1_14partition_implILS8_3ELb0ES6_jNS0_17counting_iteratorIjlEEPS9_SE_NS0_5tupleIJPjSE_EEENSF_IJSE_SE_EEES9_SG_JZNS1_25segmented_radix_sort_implINS0_14default_configELb1EPKfPfPKlPlN2at6native12_GLOBAL__N_18offset_tEEE10hipError_tPvRmT1_PNSt15iterator_traitsISY_E10value_typeET2_T3_PNSZ_IS14_E10value_typeET4_jRbjT5_S1A_jjP12ihipStream_tbEUljE_EEESV_SW_SX_S14_S18_S1A_T6_T7_T9_mT8_S1C_bDpT10_ENKUlT_T0_E_clISt17integral_constantIbLb0EES1P_EEDaS1K_S1L_EUlS1K_E_NS1_11comp_targetILNS1_3genE2ELNS1_11target_archE906ELNS1_3gpuE6ELNS1_3repE0EEENS1_30default_config_static_selectorELNS0_4arch9wavefront6targetE1EEEvSY_.uses_flat_scratch, 0
	.set _ZN7rocprim17ROCPRIM_400000_NS6detail17trampoline_kernelINS0_13select_configILj256ELj13ELNS0_17block_load_methodE3ELS4_3ELS4_3ELNS0_20block_scan_algorithmE0ELj4294967295EEENS1_25partition_config_selectorILNS1_17partition_subalgoE3EjNS0_10empty_typeEbEEZZNS1_14partition_implILS8_3ELb0ES6_jNS0_17counting_iteratorIjlEEPS9_SE_NS0_5tupleIJPjSE_EEENSF_IJSE_SE_EEES9_SG_JZNS1_25segmented_radix_sort_implINS0_14default_configELb1EPKfPfPKlPlN2at6native12_GLOBAL__N_18offset_tEEE10hipError_tPvRmT1_PNSt15iterator_traitsISY_E10value_typeET2_T3_PNSZ_IS14_E10value_typeET4_jRbjT5_S1A_jjP12ihipStream_tbEUljE_EEESV_SW_SX_S14_S18_S1A_T6_T7_T9_mT8_S1C_bDpT10_ENKUlT_T0_E_clISt17integral_constantIbLb0EES1P_EEDaS1K_S1L_EUlS1K_E_NS1_11comp_targetILNS1_3genE2ELNS1_11target_archE906ELNS1_3gpuE6ELNS1_3repE0EEENS1_30default_config_static_selectorELNS0_4arch9wavefront6targetE1EEEvSY_.has_dyn_sized_stack, 0
	.set _ZN7rocprim17ROCPRIM_400000_NS6detail17trampoline_kernelINS0_13select_configILj256ELj13ELNS0_17block_load_methodE3ELS4_3ELS4_3ELNS0_20block_scan_algorithmE0ELj4294967295EEENS1_25partition_config_selectorILNS1_17partition_subalgoE3EjNS0_10empty_typeEbEEZZNS1_14partition_implILS8_3ELb0ES6_jNS0_17counting_iteratorIjlEEPS9_SE_NS0_5tupleIJPjSE_EEENSF_IJSE_SE_EEES9_SG_JZNS1_25segmented_radix_sort_implINS0_14default_configELb1EPKfPfPKlPlN2at6native12_GLOBAL__N_18offset_tEEE10hipError_tPvRmT1_PNSt15iterator_traitsISY_E10value_typeET2_T3_PNSZ_IS14_E10value_typeET4_jRbjT5_S1A_jjP12ihipStream_tbEUljE_EEESV_SW_SX_S14_S18_S1A_T6_T7_T9_mT8_S1C_bDpT10_ENKUlT_T0_E_clISt17integral_constantIbLb0EES1P_EEDaS1K_S1L_EUlS1K_E_NS1_11comp_targetILNS1_3genE2ELNS1_11target_archE906ELNS1_3gpuE6ELNS1_3repE0EEENS1_30default_config_static_selectorELNS0_4arch9wavefront6targetE1EEEvSY_.has_recursion, 0
	.set _ZN7rocprim17ROCPRIM_400000_NS6detail17trampoline_kernelINS0_13select_configILj256ELj13ELNS0_17block_load_methodE3ELS4_3ELS4_3ELNS0_20block_scan_algorithmE0ELj4294967295EEENS1_25partition_config_selectorILNS1_17partition_subalgoE3EjNS0_10empty_typeEbEEZZNS1_14partition_implILS8_3ELb0ES6_jNS0_17counting_iteratorIjlEEPS9_SE_NS0_5tupleIJPjSE_EEENSF_IJSE_SE_EEES9_SG_JZNS1_25segmented_radix_sort_implINS0_14default_configELb1EPKfPfPKlPlN2at6native12_GLOBAL__N_18offset_tEEE10hipError_tPvRmT1_PNSt15iterator_traitsISY_E10value_typeET2_T3_PNSZ_IS14_E10value_typeET4_jRbjT5_S1A_jjP12ihipStream_tbEUljE_EEESV_SW_SX_S14_S18_S1A_T6_T7_T9_mT8_S1C_bDpT10_ENKUlT_T0_E_clISt17integral_constantIbLb0EES1P_EEDaS1K_S1L_EUlS1K_E_NS1_11comp_targetILNS1_3genE2ELNS1_11target_archE906ELNS1_3gpuE6ELNS1_3repE0EEENS1_30default_config_static_selectorELNS0_4arch9wavefront6targetE1EEEvSY_.has_indirect_call, 0
	.section	.AMDGPU.csdata,"",@progbits
; Kernel info:
; codeLenInByte = 7612
; TotalNumSgprs: 52
; NumVgprs: 69
; ScratchSize: 0
; MemoryBound: 0
; FloatMode: 240
; IeeeMode: 1
; LDSByteSize: 13320 bytes/workgroup (compile time only)
; SGPRBlocks: 12
; VGPRBlocks: 17
; NumSGPRsForWavesPerEU: 102
; NumVGPRsForWavesPerEU: 69
; Occupancy: 3
; WaveLimiterHint : 0
; COMPUTE_PGM_RSRC2:SCRATCH_EN: 0
; COMPUTE_PGM_RSRC2:USER_SGPR: 6
; COMPUTE_PGM_RSRC2:TRAP_HANDLER: 0
; COMPUTE_PGM_RSRC2:TGID_X_EN: 1
; COMPUTE_PGM_RSRC2:TGID_Y_EN: 0
; COMPUTE_PGM_RSRC2:TGID_Z_EN: 0
; COMPUTE_PGM_RSRC2:TIDIG_COMP_CNT: 0
	.section	.text._ZN7rocprim17ROCPRIM_400000_NS6detail17trampoline_kernelINS0_13select_configILj256ELj13ELNS0_17block_load_methodE3ELS4_3ELS4_3ELNS0_20block_scan_algorithmE0ELj4294967295EEENS1_25partition_config_selectorILNS1_17partition_subalgoE3EjNS0_10empty_typeEbEEZZNS1_14partition_implILS8_3ELb0ES6_jNS0_17counting_iteratorIjlEEPS9_SE_NS0_5tupleIJPjSE_EEENSF_IJSE_SE_EEES9_SG_JZNS1_25segmented_radix_sort_implINS0_14default_configELb1EPKfPfPKlPlN2at6native12_GLOBAL__N_18offset_tEEE10hipError_tPvRmT1_PNSt15iterator_traitsISY_E10value_typeET2_T3_PNSZ_IS14_E10value_typeET4_jRbjT5_S1A_jjP12ihipStream_tbEUljE_EEESV_SW_SX_S14_S18_S1A_T6_T7_T9_mT8_S1C_bDpT10_ENKUlT_T0_E_clISt17integral_constantIbLb0EES1P_EEDaS1K_S1L_EUlS1K_E_NS1_11comp_targetILNS1_3genE10ELNS1_11target_archE1200ELNS1_3gpuE4ELNS1_3repE0EEENS1_30default_config_static_selectorELNS0_4arch9wavefront6targetE1EEEvSY_,"axG",@progbits,_ZN7rocprim17ROCPRIM_400000_NS6detail17trampoline_kernelINS0_13select_configILj256ELj13ELNS0_17block_load_methodE3ELS4_3ELS4_3ELNS0_20block_scan_algorithmE0ELj4294967295EEENS1_25partition_config_selectorILNS1_17partition_subalgoE3EjNS0_10empty_typeEbEEZZNS1_14partition_implILS8_3ELb0ES6_jNS0_17counting_iteratorIjlEEPS9_SE_NS0_5tupleIJPjSE_EEENSF_IJSE_SE_EEES9_SG_JZNS1_25segmented_radix_sort_implINS0_14default_configELb1EPKfPfPKlPlN2at6native12_GLOBAL__N_18offset_tEEE10hipError_tPvRmT1_PNSt15iterator_traitsISY_E10value_typeET2_T3_PNSZ_IS14_E10value_typeET4_jRbjT5_S1A_jjP12ihipStream_tbEUljE_EEESV_SW_SX_S14_S18_S1A_T6_T7_T9_mT8_S1C_bDpT10_ENKUlT_T0_E_clISt17integral_constantIbLb0EES1P_EEDaS1K_S1L_EUlS1K_E_NS1_11comp_targetILNS1_3genE10ELNS1_11target_archE1200ELNS1_3gpuE4ELNS1_3repE0EEENS1_30default_config_static_selectorELNS0_4arch9wavefront6targetE1EEEvSY_,comdat
	.globl	_ZN7rocprim17ROCPRIM_400000_NS6detail17trampoline_kernelINS0_13select_configILj256ELj13ELNS0_17block_load_methodE3ELS4_3ELS4_3ELNS0_20block_scan_algorithmE0ELj4294967295EEENS1_25partition_config_selectorILNS1_17partition_subalgoE3EjNS0_10empty_typeEbEEZZNS1_14partition_implILS8_3ELb0ES6_jNS0_17counting_iteratorIjlEEPS9_SE_NS0_5tupleIJPjSE_EEENSF_IJSE_SE_EEES9_SG_JZNS1_25segmented_radix_sort_implINS0_14default_configELb1EPKfPfPKlPlN2at6native12_GLOBAL__N_18offset_tEEE10hipError_tPvRmT1_PNSt15iterator_traitsISY_E10value_typeET2_T3_PNSZ_IS14_E10value_typeET4_jRbjT5_S1A_jjP12ihipStream_tbEUljE_EEESV_SW_SX_S14_S18_S1A_T6_T7_T9_mT8_S1C_bDpT10_ENKUlT_T0_E_clISt17integral_constantIbLb0EES1P_EEDaS1K_S1L_EUlS1K_E_NS1_11comp_targetILNS1_3genE10ELNS1_11target_archE1200ELNS1_3gpuE4ELNS1_3repE0EEENS1_30default_config_static_selectorELNS0_4arch9wavefront6targetE1EEEvSY_ ; -- Begin function _ZN7rocprim17ROCPRIM_400000_NS6detail17trampoline_kernelINS0_13select_configILj256ELj13ELNS0_17block_load_methodE3ELS4_3ELS4_3ELNS0_20block_scan_algorithmE0ELj4294967295EEENS1_25partition_config_selectorILNS1_17partition_subalgoE3EjNS0_10empty_typeEbEEZZNS1_14partition_implILS8_3ELb0ES6_jNS0_17counting_iteratorIjlEEPS9_SE_NS0_5tupleIJPjSE_EEENSF_IJSE_SE_EEES9_SG_JZNS1_25segmented_radix_sort_implINS0_14default_configELb1EPKfPfPKlPlN2at6native12_GLOBAL__N_18offset_tEEE10hipError_tPvRmT1_PNSt15iterator_traitsISY_E10value_typeET2_T3_PNSZ_IS14_E10value_typeET4_jRbjT5_S1A_jjP12ihipStream_tbEUljE_EEESV_SW_SX_S14_S18_S1A_T6_T7_T9_mT8_S1C_bDpT10_ENKUlT_T0_E_clISt17integral_constantIbLb0EES1P_EEDaS1K_S1L_EUlS1K_E_NS1_11comp_targetILNS1_3genE10ELNS1_11target_archE1200ELNS1_3gpuE4ELNS1_3repE0EEENS1_30default_config_static_selectorELNS0_4arch9wavefront6targetE1EEEvSY_
	.p2align	8
	.type	_ZN7rocprim17ROCPRIM_400000_NS6detail17trampoline_kernelINS0_13select_configILj256ELj13ELNS0_17block_load_methodE3ELS4_3ELS4_3ELNS0_20block_scan_algorithmE0ELj4294967295EEENS1_25partition_config_selectorILNS1_17partition_subalgoE3EjNS0_10empty_typeEbEEZZNS1_14partition_implILS8_3ELb0ES6_jNS0_17counting_iteratorIjlEEPS9_SE_NS0_5tupleIJPjSE_EEENSF_IJSE_SE_EEES9_SG_JZNS1_25segmented_radix_sort_implINS0_14default_configELb1EPKfPfPKlPlN2at6native12_GLOBAL__N_18offset_tEEE10hipError_tPvRmT1_PNSt15iterator_traitsISY_E10value_typeET2_T3_PNSZ_IS14_E10value_typeET4_jRbjT5_S1A_jjP12ihipStream_tbEUljE_EEESV_SW_SX_S14_S18_S1A_T6_T7_T9_mT8_S1C_bDpT10_ENKUlT_T0_E_clISt17integral_constantIbLb0EES1P_EEDaS1K_S1L_EUlS1K_E_NS1_11comp_targetILNS1_3genE10ELNS1_11target_archE1200ELNS1_3gpuE4ELNS1_3repE0EEENS1_30default_config_static_selectorELNS0_4arch9wavefront6targetE1EEEvSY_,@function
_ZN7rocprim17ROCPRIM_400000_NS6detail17trampoline_kernelINS0_13select_configILj256ELj13ELNS0_17block_load_methodE3ELS4_3ELS4_3ELNS0_20block_scan_algorithmE0ELj4294967295EEENS1_25partition_config_selectorILNS1_17partition_subalgoE3EjNS0_10empty_typeEbEEZZNS1_14partition_implILS8_3ELb0ES6_jNS0_17counting_iteratorIjlEEPS9_SE_NS0_5tupleIJPjSE_EEENSF_IJSE_SE_EEES9_SG_JZNS1_25segmented_radix_sort_implINS0_14default_configELb1EPKfPfPKlPlN2at6native12_GLOBAL__N_18offset_tEEE10hipError_tPvRmT1_PNSt15iterator_traitsISY_E10value_typeET2_T3_PNSZ_IS14_E10value_typeET4_jRbjT5_S1A_jjP12ihipStream_tbEUljE_EEESV_SW_SX_S14_S18_S1A_T6_T7_T9_mT8_S1C_bDpT10_ENKUlT_T0_E_clISt17integral_constantIbLb0EES1P_EEDaS1K_S1L_EUlS1K_E_NS1_11comp_targetILNS1_3genE10ELNS1_11target_archE1200ELNS1_3gpuE4ELNS1_3repE0EEENS1_30default_config_static_selectorELNS0_4arch9wavefront6targetE1EEEvSY_: ; @_ZN7rocprim17ROCPRIM_400000_NS6detail17trampoline_kernelINS0_13select_configILj256ELj13ELNS0_17block_load_methodE3ELS4_3ELS4_3ELNS0_20block_scan_algorithmE0ELj4294967295EEENS1_25partition_config_selectorILNS1_17partition_subalgoE3EjNS0_10empty_typeEbEEZZNS1_14partition_implILS8_3ELb0ES6_jNS0_17counting_iteratorIjlEEPS9_SE_NS0_5tupleIJPjSE_EEENSF_IJSE_SE_EEES9_SG_JZNS1_25segmented_radix_sort_implINS0_14default_configELb1EPKfPfPKlPlN2at6native12_GLOBAL__N_18offset_tEEE10hipError_tPvRmT1_PNSt15iterator_traitsISY_E10value_typeET2_T3_PNSZ_IS14_E10value_typeET4_jRbjT5_S1A_jjP12ihipStream_tbEUljE_EEESV_SW_SX_S14_S18_S1A_T6_T7_T9_mT8_S1C_bDpT10_ENKUlT_T0_E_clISt17integral_constantIbLb0EES1P_EEDaS1K_S1L_EUlS1K_E_NS1_11comp_targetILNS1_3genE10ELNS1_11target_archE1200ELNS1_3gpuE4ELNS1_3repE0EEENS1_30default_config_static_selectorELNS0_4arch9wavefront6targetE1EEEvSY_
; %bb.0:
	.section	.rodata,"a",@progbits
	.p2align	6, 0x0
	.amdhsa_kernel _ZN7rocprim17ROCPRIM_400000_NS6detail17trampoline_kernelINS0_13select_configILj256ELj13ELNS0_17block_load_methodE3ELS4_3ELS4_3ELNS0_20block_scan_algorithmE0ELj4294967295EEENS1_25partition_config_selectorILNS1_17partition_subalgoE3EjNS0_10empty_typeEbEEZZNS1_14partition_implILS8_3ELb0ES6_jNS0_17counting_iteratorIjlEEPS9_SE_NS0_5tupleIJPjSE_EEENSF_IJSE_SE_EEES9_SG_JZNS1_25segmented_radix_sort_implINS0_14default_configELb1EPKfPfPKlPlN2at6native12_GLOBAL__N_18offset_tEEE10hipError_tPvRmT1_PNSt15iterator_traitsISY_E10value_typeET2_T3_PNSZ_IS14_E10value_typeET4_jRbjT5_S1A_jjP12ihipStream_tbEUljE_EEESV_SW_SX_S14_S18_S1A_T6_T7_T9_mT8_S1C_bDpT10_ENKUlT_T0_E_clISt17integral_constantIbLb0EES1P_EEDaS1K_S1L_EUlS1K_E_NS1_11comp_targetILNS1_3genE10ELNS1_11target_archE1200ELNS1_3gpuE4ELNS1_3repE0EEENS1_30default_config_static_selectorELNS0_4arch9wavefront6targetE1EEEvSY_
		.amdhsa_group_segment_fixed_size 0
		.amdhsa_private_segment_fixed_size 0
		.amdhsa_kernarg_size 144
		.amdhsa_user_sgpr_count 6
		.amdhsa_user_sgpr_private_segment_buffer 1
		.amdhsa_user_sgpr_dispatch_ptr 0
		.amdhsa_user_sgpr_queue_ptr 0
		.amdhsa_user_sgpr_kernarg_segment_ptr 1
		.amdhsa_user_sgpr_dispatch_id 0
		.amdhsa_user_sgpr_flat_scratch_init 0
		.amdhsa_user_sgpr_private_segment_size 0
		.amdhsa_uses_dynamic_stack 0
		.amdhsa_system_sgpr_private_segment_wavefront_offset 0
		.amdhsa_system_sgpr_workgroup_id_x 1
		.amdhsa_system_sgpr_workgroup_id_y 0
		.amdhsa_system_sgpr_workgroup_id_z 0
		.amdhsa_system_sgpr_workgroup_info 0
		.amdhsa_system_vgpr_workitem_id 0
		.amdhsa_next_free_vgpr 1
		.amdhsa_next_free_sgpr 0
		.amdhsa_reserve_vcc 0
		.amdhsa_reserve_flat_scratch 0
		.amdhsa_float_round_mode_32 0
		.amdhsa_float_round_mode_16_64 0
		.amdhsa_float_denorm_mode_32 3
		.amdhsa_float_denorm_mode_16_64 3
		.amdhsa_dx10_clamp 1
		.amdhsa_ieee_mode 1
		.amdhsa_fp16_overflow 0
		.amdhsa_exception_fp_ieee_invalid_op 0
		.amdhsa_exception_fp_denorm_src 0
		.amdhsa_exception_fp_ieee_div_zero 0
		.amdhsa_exception_fp_ieee_overflow 0
		.amdhsa_exception_fp_ieee_underflow 0
		.amdhsa_exception_fp_ieee_inexact 0
		.amdhsa_exception_int_div_zero 0
	.end_amdhsa_kernel
	.section	.text._ZN7rocprim17ROCPRIM_400000_NS6detail17trampoline_kernelINS0_13select_configILj256ELj13ELNS0_17block_load_methodE3ELS4_3ELS4_3ELNS0_20block_scan_algorithmE0ELj4294967295EEENS1_25partition_config_selectorILNS1_17partition_subalgoE3EjNS0_10empty_typeEbEEZZNS1_14partition_implILS8_3ELb0ES6_jNS0_17counting_iteratorIjlEEPS9_SE_NS0_5tupleIJPjSE_EEENSF_IJSE_SE_EEES9_SG_JZNS1_25segmented_radix_sort_implINS0_14default_configELb1EPKfPfPKlPlN2at6native12_GLOBAL__N_18offset_tEEE10hipError_tPvRmT1_PNSt15iterator_traitsISY_E10value_typeET2_T3_PNSZ_IS14_E10value_typeET4_jRbjT5_S1A_jjP12ihipStream_tbEUljE_EEESV_SW_SX_S14_S18_S1A_T6_T7_T9_mT8_S1C_bDpT10_ENKUlT_T0_E_clISt17integral_constantIbLb0EES1P_EEDaS1K_S1L_EUlS1K_E_NS1_11comp_targetILNS1_3genE10ELNS1_11target_archE1200ELNS1_3gpuE4ELNS1_3repE0EEENS1_30default_config_static_selectorELNS0_4arch9wavefront6targetE1EEEvSY_,"axG",@progbits,_ZN7rocprim17ROCPRIM_400000_NS6detail17trampoline_kernelINS0_13select_configILj256ELj13ELNS0_17block_load_methodE3ELS4_3ELS4_3ELNS0_20block_scan_algorithmE0ELj4294967295EEENS1_25partition_config_selectorILNS1_17partition_subalgoE3EjNS0_10empty_typeEbEEZZNS1_14partition_implILS8_3ELb0ES6_jNS0_17counting_iteratorIjlEEPS9_SE_NS0_5tupleIJPjSE_EEENSF_IJSE_SE_EEES9_SG_JZNS1_25segmented_radix_sort_implINS0_14default_configELb1EPKfPfPKlPlN2at6native12_GLOBAL__N_18offset_tEEE10hipError_tPvRmT1_PNSt15iterator_traitsISY_E10value_typeET2_T3_PNSZ_IS14_E10value_typeET4_jRbjT5_S1A_jjP12ihipStream_tbEUljE_EEESV_SW_SX_S14_S18_S1A_T6_T7_T9_mT8_S1C_bDpT10_ENKUlT_T0_E_clISt17integral_constantIbLb0EES1P_EEDaS1K_S1L_EUlS1K_E_NS1_11comp_targetILNS1_3genE10ELNS1_11target_archE1200ELNS1_3gpuE4ELNS1_3repE0EEENS1_30default_config_static_selectorELNS0_4arch9wavefront6targetE1EEEvSY_,comdat
.Lfunc_end1298:
	.size	_ZN7rocprim17ROCPRIM_400000_NS6detail17trampoline_kernelINS0_13select_configILj256ELj13ELNS0_17block_load_methodE3ELS4_3ELS4_3ELNS0_20block_scan_algorithmE0ELj4294967295EEENS1_25partition_config_selectorILNS1_17partition_subalgoE3EjNS0_10empty_typeEbEEZZNS1_14partition_implILS8_3ELb0ES6_jNS0_17counting_iteratorIjlEEPS9_SE_NS0_5tupleIJPjSE_EEENSF_IJSE_SE_EEES9_SG_JZNS1_25segmented_radix_sort_implINS0_14default_configELb1EPKfPfPKlPlN2at6native12_GLOBAL__N_18offset_tEEE10hipError_tPvRmT1_PNSt15iterator_traitsISY_E10value_typeET2_T3_PNSZ_IS14_E10value_typeET4_jRbjT5_S1A_jjP12ihipStream_tbEUljE_EEESV_SW_SX_S14_S18_S1A_T6_T7_T9_mT8_S1C_bDpT10_ENKUlT_T0_E_clISt17integral_constantIbLb0EES1P_EEDaS1K_S1L_EUlS1K_E_NS1_11comp_targetILNS1_3genE10ELNS1_11target_archE1200ELNS1_3gpuE4ELNS1_3repE0EEENS1_30default_config_static_selectorELNS0_4arch9wavefront6targetE1EEEvSY_, .Lfunc_end1298-_ZN7rocprim17ROCPRIM_400000_NS6detail17trampoline_kernelINS0_13select_configILj256ELj13ELNS0_17block_load_methodE3ELS4_3ELS4_3ELNS0_20block_scan_algorithmE0ELj4294967295EEENS1_25partition_config_selectorILNS1_17partition_subalgoE3EjNS0_10empty_typeEbEEZZNS1_14partition_implILS8_3ELb0ES6_jNS0_17counting_iteratorIjlEEPS9_SE_NS0_5tupleIJPjSE_EEENSF_IJSE_SE_EEES9_SG_JZNS1_25segmented_radix_sort_implINS0_14default_configELb1EPKfPfPKlPlN2at6native12_GLOBAL__N_18offset_tEEE10hipError_tPvRmT1_PNSt15iterator_traitsISY_E10value_typeET2_T3_PNSZ_IS14_E10value_typeET4_jRbjT5_S1A_jjP12ihipStream_tbEUljE_EEESV_SW_SX_S14_S18_S1A_T6_T7_T9_mT8_S1C_bDpT10_ENKUlT_T0_E_clISt17integral_constantIbLb0EES1P_EEDaS1K_S1L_EUlS1K_E_NS1_11comp_targetILNS1_3genE10ELNS1_11target_archE1200ELNS1_3gpuE4ELNS1_3repE0EEENS1_30default_config_static_selectorELNS0_4arch9wavefront6targetE1EEEvSY_
                                        ; -- End function
	.set _ZN7rocprim17ROCPRIM_400000_NS6detail17trampoline_kernelINS0_13select_configILj256ELj13ELNS0_17block_load_methodE3ELS4_3ELS4_3ELNS0_20block_scan_algorithmE0ELj4294967295EEENS1_25partition_config_selectorILNS1_17partition_subalgoE3EjNS0_10empty_typeEbEEZZNS1_14partition_implILS8_3ELb0ES6_jNS0_17counting_iteratorIjlEEPS9_SE_NS0_5tupleIJPjSE_EEENSF_IJSE_SE_EEES9_SG_JZNS1_25segmented_radix_sort_implINS0_14default_configELb1EPKfPfPKlPlN2at6native12_GLOBAL__N_18offset_tEEE10hipError_tPvRmT1_PNSt15iterator_traitsISY_E10value_typeET2_T3_PNSZ_IS14_E10value_typeET4_jRbjT5_S1A_jjP12ihipStream_tbEUljE_EEESV_SW_SX_S14_S18_S1A_T6_T7_T9_mT8_S1C_bDpT10_ENKUlT_T0_E_clISt17integral_constantIbLb0EES1P_EEDaS1K_S1L_EUlS1K_E_NS1_11comp_targetILNS1_3genE10ELNS1_11target_archE1200ELNS1_3gpuE4ELNS1_3repE0EEENS1_30default_config_static_selectorELNS0_4arch9wavefront6targetE1EEEvSY_.num_vgpr, 0
	.set _ZN7rocprim17ROCPRIM_400000_NS6detail17trampoline_kernelINS0_13select_configILj256ELj13ELNS0_17block_load_methodE3ELS4_3ELS4_3ELNS0_20block_scan_algorithmE0ELj4294967295EEENS1_25partition_config_selectorILNS1_17partition_subalgoE3EjNS0_10empty_typeEbEEZZNS1_14partition_implILS8_3ELb0ES6_jNS0_17counting_iteratorIjlEEPS9_SE_NS0_5tupleIJPjSE_EEENSF_IJSE_SE_EEES9_SG_JZNS1_25segmented_radix_sort_implINS0_14default_configELb1EPKfPfPKlPlN2at6native12_GLOBAL__N_18offset_tEEE10hipError_tPvRmT1_PNSt15iterator_traitsISY_E10value_typeET2_T3_PNSZ_IS14_E10value_typeET4_jRbjT5_S1A_jjP12ihipStream_tbEUljE_EEESV_SW_SX_S14_S18_S1A_T6_T7_T9_mT8_S1C_bDpT10_ENKUlT_T0_E_clISt17integral_constantIbLb0EES1P_EEDaS1K_S1L_EUlS1K_E_NS1_11comp_targetILNS1_3genE10ELNS1_11target_archE1200ELNS1_3gpuE4ELNS1_3repE0EEENS1_30default_config_static_selectorELNS0_4arch9wavefront6targetE1EEEvSY_.num_agpr, 0
	.set _ZN7rocprim17ROCPRIM_400000_NS6detail17trampoline_kernelINS0_13select_configILj256ELj13ELNS0_17block_load_methodE3ELS4_3ELS4_3ELNS0_20block_scan_algorithmE0ELj4294967295EEENS1_25partition_config_selectorILNS1_17partition_subalgoE3EjNS0_10empty_typeEbEEZZNS1_14partition_implILS8_3ELb0ES6_jNS0_17counting_iteratorIjlEEPS9_SE_NS0_5tupleIJPjSE_EEENSF_IJSE_SE_EEES9_SG_JZNS1_25segmented_radix_sort_implINS0_14default_configELb1EPKfPfPKlPlN2at6native12_GLOBAL__N_18offset_tEEE10hipError_tPvRmT1_PNSt15iterator_traitsISY_E10value_typeET2_T3_PNSZ_IS14_E10value_typeET4_jRbjT5_S1A_jjP12ihipStream_tbEUljE_EEESV_SW_SX_S14_S18_S1A_T6_T7_T9_mT8_S1C_bDpT10_ENKUlT_T0_E_clISt17integral_constantIbLb0EES1P_EEDaS1K_S1L_EUlS1K_E_NS1_11comp_targetILNS1_3genE10ELNS1_11target_archE1200ELNS1_3gpuE4ELNS1_3repE0EEENS1_30default_config_static_selectorELNS0_4arch9wavefront6targetE1EEEvSY_.numbered_sgpr, 0
	.set _ZN7rocprim17ROCPRIM_400000_NS6detail17trampoline_kernelINS0_13select_configILj256ELj13ELNS0_17block_load_methodE3ELS4_3ELS4_3ELNS0_20block_scan_algorithmE0ELj4294967295EEENS1_25partition_config_selectorILNS1_17partition_subalgoE3EjNS0_10empty_typeEbEEZZNS1_14partition_implILS8_3ELb0ES6_jNS0_17counting_iteratorIjlEEPS9_SE_NS0_5tupleIJPjSE_EEENSF_IJSE_SE_EEES9_SG_JZNS1_25segmented_radix_sort_implINS0_14default_configELb1EPKfPfPKlPlN2at6native12_GLOBAL__N_18offset_tEEE10hipError_tPvRmT1_PNSt15iterator_traitsISY_E10value_typeET2_T3_PNSZ_IS14_E10value_typeET4_jRbjT5_S1A_jjP12ihipStream_tbEUljE_EEESV_SW_SX_S14_S18_S1A_T6_T7_T9_mT8_S1C_bDpT10_ENKUlT_T0_E_clISt17integral_constantIbLb0EES1P_EEDaS1K_S1L_EUlS1K_E_NS1_11comp_targetILNS1_3genE10ELNS1_11target_archE1200ELNS1_3gpuE4ELNS1_3repE0EEENS1_30default_config_static_selectorELNS0_4arch9wavefront6targetE1EEEvSY_.num_named_barrier, 0
	.set _ZN7rocprim17ROCPRIM_400000_NS6detail17trampoline_kernelINS0_13select_configILj256ELj13ELNS0_17block_load_methodE3ELS4_3ELS4_3ELNS0_20block_scan_algorithmE0ELj4294967295EEENS1_25partition_config_selectorILNS1_17partition_subalgoE3EjNS0_10empty_typeEbEEZZNS1_14partition_implILS8_3ELb0ES6_jNS0_17counting_iteratorIjlEEPS9_SE_NS0_5tupleIJPjSE_EEENSF_IJSE_SE_EEES9_SG_JZNS1_25segmented_radix_sort_implINS0_14default_configELb1EPKfPfPKlPlN2at6native12_GLOBAL__N_18offset_tEEE10hipError_tPvRmT1_PNSt15iterator_traitsISY_E10value_typeET2_T3_PNSZ_IS14_E10value_typeET4_jRbjT5_S1A_jjP12ihipStream_tbEUljE_EEESV_SW_SX_S14_S18_S1A_T6_T7_T9_mT8_S1C_bDpT10_ENKUlT_T0_E_clISt17integral_constantIbLb0EES1P_EEDaS1K_S1L_EUlS1K_E_NS1_11comp_targetILNS1_3genE10ELNS1_11target_archE1200ELNS1_3gpuE4ELNS1_3repE0EEENS1_30default_config_static_selectorELNS0_4arch9wavefront6targetE1EEEvSY_.private_seg_size, 0
	.set _ZN7rocprim17ROCPRIM_400000_NS6detail17trampoline_kernelINS0_13select_configILj256ELj13ELNS0_17block_load_methodE3ELS4_3ELS4_3ELNS0_20block_scan_algorithmE0ELj4294967295EEENS1_25partition_config_selectorILNS1_17partition_subalgoE3EjNS0_10empty_typeEbEEZZNS1_14partition_implILS8_3ELb0ES6_jNS0_17counting_iteratorIjlEEPS9_SE_NS0_5tupleIJPjSE_EEENSF_IJSE_SE_EEES9_SG_JZNS1_25segmented_radix_sort_implINS0_14default_configELb1EPKfPfPKlPlN2at6native12_GLOBAL__N_18offset_tEEE10hipError_tPvRmT1_PNSt15iterator_traitsISY_E10value_typeET2_T3_PNSZ_IS14_E10value_typeET4_jRbjT5_S1A_jjP12ihipStream_tbEUljE_EEESV_SW_SX_S14_S18_S1A_T6_T7_T9_mT8_S1C_bDpT10_ENKUlT_T0_E_clISt17integral_constantIbLb0EES1P_EEDaS1K_S1L_EUlS1K_E_NS1_11comp_targetILNS1_3genE10ELNS1_11target_archE1200ELNS1_3gpuE4ELNS1_3repE0EEENS1_30default_config_static_selectorELNS0_4arch9wavefront6targetE1EEEvSY_.uses_vcc, 0
	.set _ZN7rocprim17ROCPRIM_400000_NS6detail17trampoline_kernelINS0_13select_configILj256ELj13ELNS0_17block_load_methodE3ELS4_3ELS4_3ELNS0_20block_scan_algorithmE0ELj4294967295EEENS1_25partition_config_selectorILNS1_17partition_subalgoE3EjNS0_10empty_typeEbEEZZNS1_14partition_implILS8_3ELb0ES6_jNS0_17counting_iteratorIjlEEPS9_SE_NS0_5tupleIJPjSE_EEENSF_IJSE_SE_EEES9_SG_JZNS1_25segmented_radix_sort_implINS0_14default_configELb1EPKfPfPKlPlN2at6native12_GLOBAL__N_18offset_tEEE10hipError_tPvRmT1_PNSt15iterator_traitsISY_E10value_typeET2_T3_PNSZ_IS14_E10value_typeET4_jRbjT5_S1A_jjP12ihipStream_tbEUljE_EEESV_SW_SX_S14_S18_S1A_T6_T7_T9_mT8_S1C_bDpT10_ENKUlT_T0_E_clISt17integral_constantIbLb0EES1P_EEDaS1K_S1L_EUlS1K_E_NS1_11comp_targetILNS1_3genE10ELNS1_11target_archE1200ELNS1_3gpuE4ELNS1_3repE0EEENS1_30default_config_static_selectorELNS0_4arch9wavefront6targetE1EEEvSY_.uses_flat_scratch, 0
	.set _ZN7rocprim17ROCPRIM_400000_NS6detail17trampoline_kernelINS0_13select_configILj256ELj13ELNS0_17block_load_methodE3ELS4_3ELS4_3ELNS0_20block_scan_algorithmE0ELj4294967295EEENS1_25partition_config_selectorILNS1_17partition_subalgoE3EjNS0_10empty_typeEbEEZZNS1_14partition_implILS8_3ELb0ES6_jNS0_17counting_iteratorIjlEEPS9_SE_NS0_5tupleIJPjSE_EEENSF_IJSE_SE_EEES9_SG_JZNS1_25segmented_radix_sort_implINS0_14default_configELb1EPKfPfPKlPlN2at6native12_GLOBAL__N_18offset_tEEE10hipError_tPvRmT1_PNSt15iterator_traitsISY_E10value_typeET2_T3_PNSZ_IS14_E10value_typeET4_jRbjT5_S1A_jjP12ihipStream_tbEUljE_EEESV_SW_SX_S14_S18_S1A_T6_T7_T9_mT8_S1C_bDpT10_ENKUlT_T0_E_clISt17integral_constantIbLb0EES1P_EEDaS1K_S1L_EUlS1K_E_NS1_11comp_targetILNS1_3genE10ELNS1_11target_archE1200ELNS1_3gpuE4ELNS1_3repE0EEENS1_30default_config_static_selectorELNS0_4arch9wavefront6targetE1EEEvSY_.has_dyn_sized_stack, 0
	.set _ZN7rocprim17ROCPRIM_400000_NS6detail17trampoline_kernelINS0_13select_configILj256ELj13ELNS0_17block_load_methodE3ELS4_3ELS4_3ELNS0_20block_scan_algorithmE0ELj4294967295EEENS1_25partition_config_selectorILNS1_17partition_subalgoE3EjNS0_10empty_typeEbEEZZNS1_14partition_implILS8_3ELb0ES6_jNS0_17counting_iteratorIjlEEPS9_SE_NS0_5tupleIJPjSE_EEENSF_IJSE_SE_EEES9_SG_JZNS1_25segmented_radix_sort_implINS0_14default_configELb1EPKfPfPKlPlN2at6native12_GLOBAL__N_18offset_tEEE10hipError_tPvRmT1_PNSt15iterator_traitsISY_E10value_typeET2_T3_PNSZ_IS14_E10value_typeET4_jRbjT5_S1A_jjP12ihipStream_tbEUljE_EEESV_SW_SX_S14_S18_S1A_T6_T7_T9_mT8_S1C_bDpT10_ENKUlT_T0_E_clISt17integral_constantIbLb0EES1P_EEDaS1K_S1L_EUlS1K_E_NS1_11comp_targetILNS1_3genE10ELNS1_11target_archE1200ELNS1_3gpuE4ELNS1_3repE0EEENS1_30default_config_static_selectorELNS0_4arch9wavefront6targetE1EEEvSY_.has_recursion, 0
	.set _ZN7rocprim17ROCPRIM_400000_NS6detail17trampoline_kernelINS0_13select_configILj256ELj13ELNS0_17block_load_methodE3ELS4_3ELS4_3ELNS0_20block_scan_algorithmE0ELj4294967295EEENS1_25partition_config_selectorILNS1_17partition_subalgoE3EjNS0_10empty_typeEbEEZZNS1_14partition_implILS8_3ELb0ES6_jNS0_17counting_iteratorIjlEEPS9_SE_NS0_5tupleIJPjSE_EEENSF_IJSE_SE_EEES9_SG_JZNS1_25segmented_radix_sort_implINS0_14default_configELb1EPKfPfPKlPlN2at6native12_GLOBAL__N_18offset_tEEE10hipError_tPvRmT1_PNSt15iterator_traitsISY_E10value_typeET2_T3_PNSZ_IS14_E10value_typeET4_jRbjT5_S1A_jjP12ihipStream_tbEUljE_EEESV_SW_SX_S14_S18_S1A_T6_T7_T9_mT8_S1C_bDpT10_ENKUlT_T0_E_clISt17integral_constantIbLb0EES1P_EEDaS1K_S1L_EUlS1K_E_NS1_11comp_targetILNS1_3genE10ELNS1_11target_archE1200ELNS1_3gpuE4ELNS1_3repE0EEENS1_30default_config_static_selectorELNS0_4arch9wavefront6targetE1EEEvSY_.has_indirect_call, 0
	.section	.AMDGPU.csdata,"",@progbits
; Kernel info:
; codeLenInByte = 0
; TotalNumSgprs: 4
; NumVgprs: 0
; ScratchSize: 0
; MemoryBound: 0
; FloatMode: 240
; IeeeMode: 1
; LDSByteSize: 0 bytes/workgroup (compile time only)
; SGPRBlocks: 0
; VGPRBlocks: 0
; NumSGPRsForWavesPerEU: 4
; NumVGPRsForWavesPerEU: 1
; Occupancy: 10
; WaveLimiterHint : 0
; COMPUTE_PGM_RSRC2:SCRATCH_EN: 0
; COMPUTE_PGM_RSRC2:USER_SGPR: 6
; COMPUTE_PGM_RSRC2:TRAP_HANDLER: 0
; COMPUTE_PGM_RSRC2:TGID_X_EN: 1
; COMPUTE_PGM_RSRC2:TGID_Y_EN: 0
; COMPUTE_PGM_RSRC2:TGID_Z_EN: 0
; COMPUTE_PGM_RSRC2:TIDIG_COMP_CNT: 0
	.section	.text._ZN7rocprim17ROCPRIM_400000_NS6detail17trampoline_kernelINS0_13select_configILj256ELj13ELNS0_17block_load_methodE3ELS4_3ELS4_3ELNS0_20block_scan_algorithmE0ELj4294967295EEENS1_25partition_config_selectorILNS1_17partition_subalgoE3EjNS0_10empty_typeEbEEZZNS1_14partition_implILS8_3ELb0ES6_jNS0_17counting_iteratorIjlEEPS9_SE_NS0_5tupleIJPjSE_EEENSF_IJSE_SE_EEES9_SG_JZNS1_25segmented_radix_sort_implINS0_14default_configELb1EPKfPfPKlPlN2at6native12_GLOBAL__N_18offset_tEEE10hipError_tPvRmT1_PNSt15iterator_traitsISY_E10value_typeET2_T3_PNSZ_IS14_E10value_typeET4_jRbjT5_S1A_jjP12ihipStream_tbEUljE_EEESV_SW_SX_S14_S18_S1A_T6_T7_T9_mT8_S1C_bDpT10_ENKUlT_T0_E_clISt17integral_constantIbLb0EES1P_EEDaS1K_S1L_EUlS1K_E_NS1_11comp_targetILNS1_3genE9ELNS1_11target_archE1100ELNS1_3gpuE3ELNS1_3repE0EEENS1_30default_config_static_selectorELNS0_4arch9wavefront6targetE1EEEvSY_,"axG",@progbits,_ZN7rocprim17ROCPRIM_400000_NS6detail17trampoline_kernelINS0_13select_configILj256ELj13ELNS0_17block_load_methodE3ELS4_3ELS4_3ELNS0_20block_scan_algorithmE0ELj4294967295EEENS1_25partition_config_selectorILNS1_17partition_subalgoE3EjNS0_10empty_typeEbEEZZNS1_14partition_implILS8_3ELb0ES6_jNS0_17counting_iteratorIjlEEPS9_SE_NS0_5tupleIJPjSE_EEENSF_IJSE_SE_EEES9_SG_JZNS1_25segmented_radix_sort_implINS0_14default_configELb1EPKfPfPKlPlN2at6native12_GLOBAL__N_18offset_tEEE10hipError_tPvRmT1_PNSt15iterator_traitsISY_E10value_typeET2_T3_PNSZ_IS14_E10value_typeET4_jRbjT5_S1A_jjP12ihipStream_tbEUljE_EEESV_SW_SX_S14_S18_S1A_T6_T7_T9_mT8_S1C_bDpT10_ENKUlT_T0_E_clISt17integral_constantIbLb0EES1P_EEDaS1K_S1L_EUlS1K_E_NS1_11comp_targetILNS1_3genE9ELNS1_11target_archE1100ELNS1_3gpuE3ELNS1_3repE0EEENS1_30default_config_static_selectorELNS0_4arch9wavefront6targetE1EEEvSY_,comdat
	.globl	_ZN7rocprim17ROCPRIM_400000_NS6detail17trampoline_kernelINS0_13select_configILj256ELj13ELNS0_17block_load_methodE3ELS4_3ELS4_3ELNS0_20block_scan_algorithmE0ELj4294967295EEENS1_25partition_config_selectorILNS1_17partition_subalgoE3EjNS0_10empty_typeEbEEZZNS1_14partition_implILS8_3ELb0ES6_jNS0_17counting_iteratorIjlEEPS9_SE_NS0_5tupleIJPjSE_EEENSF_IJSE_SE_EEES9_SG_JZNS1_25segmented_radix_sort_implINS0_14default_configELb1EPKfPfPKlPlN2at6native12_GLOBAL__N_18offset_tEEE10hipError_tPvRmT1_PNSt15iterator_traitsISY_E10value_typeET2_T3_PNSZ_IS14_E10value_typeET4_jRbjT5_S1A_jjP12ihipStream_tbEUljE_EEESV_SW_SX_S14_S18_S1A_T6_T7_T9_mT8_S1C_bDpT10_ENKUlT_T0_E_clISt17integral_constantIbLb0EES1P_EEDaS1K_S1L_EUlS1K_E_NS1_11comp_targetILNS1_3genE9ELNS1_11target_archE1100ELNS1_3gpuE3ELNS1_3repE0EEENS1_30default_config_static_selectorELNS0_4arch9wavefront6targetE1EEEvSY_ ; -- Begin function _ZN7rocprim17ROCPRIM_400000_NS6detail17trampoline_kernelINS0_13select_configILj256ELj13ELNS0_17block_load_methodE3ELS4_3ELS4_3ELNS0_20block_scan_algorithmE0ELj4294967295EEENS1_25partition_config_selectorILNS1_17partition_subalgoE3EjNS0_10empty_typeEbEEZZNS1_14partition_implILS8_3ELb0ES6_jNS0_17counting_iteratorIjlEEPS9_SE_NS0_5tupleIJPjSE_EEENSF_IJSE_SE_EEES9_SG_JZNS1_25segmented_radix_sort_implINS0_14default_configELb1EPKfPfPKlPlN2at6native12_GLOBAL__N_18offset_tEEE10hipError_tPvRmT1_PNSt15iterator_traitsISY_E10value_typeET2_T3_PNSZ_IS14_E10value_typeET4_jRbjT5_S1A_jjP12ihipStream_tbEUljE_EEESV_SW_SX_S14_S18_S1A_T6_T7_T9_mT8_S1C_bDpT10_ENKUlT_T0_E_clISt17integral_constantIbLb0EES1P_EEDaS1K_S1L_EUlS1K_E_NS1_11comp_targetILNS1_3genE9ELNS1_11target_archE1100ELNS1_3gpuE3ELNS1_3repE0EEENS1_30default_config_static_selectorELNS0_4arch9wavefront6targetE1EEEvSY_
	.p2align	8
	.type	_ZN7rocprim17ROCPRIM_400000_NS6detail17trampoline_kernelINS0_13select_configILj256ELj13ELNS0_17block_load_methodE3ELS4_3ELS4_3ELNS0_20block_scan_algorithmE0ELj4294967295EEENS1_25partition_config_selectorILNS1_17partition_subalgoE3EjNS0_10empty_typeEbEEZZNS1_14partition_implILS8_3ELb0ES6_jNS0_17counting_iteratorIjlEEPS9_SE_NS0_5tupleIJPjSE_EEENSF_IJSE_SE_EEES9_SG_JZNS1_25segmented_radix_sort_implINS0_14default_configELb1EPKfPfPKlPlN2at6native12_GLOBAL__N_18offset_tEEE10hipError_tPvRmT1_PNSt15iterator_traitsISY_E10value_typeET2_T3_PNSZ_IS14_E10value_typeET4_jRbjT5_S1A_jjP12ihipStream_tbEUljE_EEESV_SW_SX_S14_S18_S1A_T6_T7_T9_mT8_S1C_bDpT10_ENKUlT_T0_E_clISt17integral_constantIbLb0EES1P_EEDaS1K_S1L_EUlS1K_E_NS1_11comp_targetILNS1_3genE9ELNS1_11target_archE1100ELNS1_3gpuE3ELNS1_3repE0EEENS1_30default_config_static_selectorELNS0_4arch9wavefront6targetE1EEEvSY_,@function
_ZN7rocprim17ROCPRIM_400000_NS6detail17trampoline_kernelINS0_13select_configILj256ELj13ELNS0_17block_load_methodE3ELS4_3ELS4_3ELNS0_20block_scan_algorithmE0ELj4294967295EEENS1_25partition_config_selectorILNS1_17partition_subalgoE3EjNS0_10empty_typeEbEEZZNS1_14partition_implILS8_3ELb0ES6_jNS0_17counting_iteratorIjlEEPS9_SE_NS0_5tupleIJPjSE_EEENSF_IJSE_SE_EEES9_SG_JZNS1_25segmented_radix_sort_implINS0_14default_configELb1EPKfPfPKlPlN2at6native12_GLOBAL__N_18offset_tEEE10hipError_tPvRmT1_PNSt15iterator_traitsISY_E10value_typeET2_T3_PNSZ_IS14_E10value_typeET4_jRbjT5_S1A_jjP12ihipStream_tbEUljE_EEESV_SW_SX_S14_S18_S1A_T6_T7_T9_mT8_S1C_bDpT10_ENKUlT_T0_E_clISt17integral_constantIbLb0EES1P_EEDaS1K_S1L_EUlS1K_E_NS1_11comp_targetILNS1_3genE9ELNS1_11target_archE1100ELNS1_3gpuE3ELNS1_3repE0EEENS1_30default_config_static_selectorELNS0_4arch9wavefront6targetE1EEEvSY_: ; @_ZN7rocprim17ROCPRIM_400000_NS6detail17trampoline_kernelINS0_13select_configILj256ELj13ELNS0_17block_load_methodE3ELS4_3ELS4_3ELNS0_20block_scan_algorithmE0ELj4294967295EEENS1_25partition_config_selectorILNS1_17partition_subalgoE3EjNS0_10empty_typeEbEEZZNS1_14partition_implILS8_3ELb0ES6_jNS0_17counting_iteratorIjlEEPS9_SE_NS0_5tupleIJPjSE_EEENSF_IJSE_SE_EEES9_SG_JZNS1_25segmented_radix_sort_implINS0_14default_configELb1EPKfPfPKlPlN2at6native12_GLOBAL__N_18offset_tEEE10hipError_tPvRmT1_PNSt15iterator_traitsISY_E10value_typeET2_T3_PNSZ_IS14_E10value_typeET4_jRbjT5_S1A_jjP12ihipStream_tbEUljE_EEESV_SW_SX_S14_S18_S1A_T6_T7_T9_mT8_S1C_bDpT10_ENKUlT_T0_E_clISt17integral_constantIbLb0EES1P_EEDaS1K_S1L_EUlS1K_E_NS1_11comp_targetILNS1_3genE9ELNS1_11target_archE1100ELNS1_3gpuE3ELNS1_3repE0EEENS1_30default_config_static_selectorELNS0_4arch9wavefront6targetE1EEEvSY_
; %bb.0:
	.section	.rodata,"a",@progbits
	.p2align	6, 0x0
	.amdhsa_kernel _ZN7rocprim17ROCPRIM_400000_NS6detail17trampoline_kernelINS0_13select_configILj256ELj13ELNS0_17block_load_methodE3ELS4_3ELS4_3ELNS0_20block_scan_algorithmE0ELj4294967295EEENS1_25partition_config_selectorILNS1_17partition_subalgoE3EjNS0_10empty_typeEbEEZZNS1_14partition_implILS8_3ELb0ES6_jNS0_17counting_iteratorIjlEEPS9_SE_NS0_5tupleIJPjSE_EEENSF_IJSE_SE_EEES9_SG_JZNS1_25segmented_radix_sort_implINS0_14default_configELb1EPKfPfPKlPlN2at6native12_GLOBAL__N_18offset_tEEE10hipError_tPvRmT1_PNSt15iterator_traitsISY_E10value_typeET2_T3_PNSZ_IS14_E10value_typeET4_jRbjT5_S1A_jjP12ihipStream_tbEUljE_EEESV_SW_SX_S14_S18_S1A_T6_T7_T9_mT8_S1C_bDpT10_ENKUlT_T0_E_clISt17integral_constantIbLb0EES1P_EEDaS1K_S1L_EUlS1K_E_NS1_11comp_targetILNS1_3genE9ELNS1_11target_archE1100ELNS1_3gpuE3ELNS1_3repE0EEENS1_30default_config_static_selectorELNS0_4arch9wavefront6targetE1EEEvSY_
		.amdhsa_group_segment_fixed_size 0
		.amdhsa_private_segment_fixed_size 0
		.amdhsa_kernarg_size 144
		.amdhsa_user_sgpr_count 6
		.amdhsa_user_sgpr_private_segment_buffer 1
		.amdhsa_user_sgpr_dispatch_ptr 0
		.amdhsa_user_sgpr_queue_ptr 0
		.amdhsa_user_sgpr_kernarg_segment_ptr 1
		.amdhsa_user_sgpr_dispatch_id 0
		.amdhsa_user_sgpr_flat_scratch_init 0
		.amdhsa_user_sgpr_private_segment_size 0
		.amdhsa_uses_dynamic_stack 0
		.amdhsa_system_sgpr_private_segment_wavefront_offset 0
		.amdhsa_system_sgpr_workgroup_id_x 1
		.amdhsa_system_sgpr_workgroup_id_y 0
		.amdhsa_system_sgpr_workgroup_id_z 0
		.amdhsa_system_sgpr_workgroup_info 0
		.amdhsa_system_vgpr_workitem_id 0
		.amdhsa_next_free_vgpr 1
		.amdhsa_next_free_sgpr 0
		.amdhsa_reserve_vcc 0
		.amdhsa_reserve_flat_scratch 0
		.amdhsa_float_round_mode_32 0
		.amdhsa_float_round_mode_16_64 0
		.amdhsa_float_denorm_mode_32 3
		.amdhsa_float_denorm_mode_16_64 3
		.amdhsa_dx10_clamp 1
		.amdhsa_ieee_mode 1
		.amdhsa_fp16_overflow 0
		.amdhsa_exception_fp_ieee_invalid_op 0
		.amdhsa_exception_fp_denorm_src 0
		.amdhsa_exception_fp_ieee_div_zero 0
		.amdhsa_exception_fp_ieee_overflow 0
		.amdhsa_exception_fp_ieee_underflow 0
		.amdhsa_exception_fp_ieee_inexact 0
		.amdhsa_exception_int_div_zero 0
	.end_amdhsa_kernel
	.section	.text._ZN7rocprim17ROCPRIM_400000_NS6detail17trampoline_kernelINS0_13select_configILj256ELj13ELNS0_17block_load_methodE3ELS4_3ELS4_3ELNS0_20block_scan_algorithmE0ELj4294967295EEENS1_25partition_config_selectorILNS1_17partition_subalgoE3EjNS0_10empty_typeEbEEZZNS1_14partition_implILS8_3ELb0ES6_jNS0_17counting_iteratorIjlEEPS9_SE_NS0_5tupleIJPjSE_EEENSF_IJSE_SE_EEES9_SG_JZNS1_25segmented_radix_sort_implINS0_14default_configELb1EPKfPfPKlPlN2at6native12_GLOBAL__N_18offset_tEEE10hipError_tPvRmT1_PNSt15iterator_traitsISY_E10value_typeET2_T3_PNSZ_IS14_E10value_typeET4_jRbjT5_S1A_jjP12ihipStream_tbEUljE_EEESV_SW_SX_S14_S18_S1A_T6_T7_T9_mT8_S1C_bDpT10_ENKUlT_T0_E_clISt17integral_constantIbLb0EES1P_EEDaS1K_S1L_EUlS1K_E_NS1_11comp_targetILNS1_3genE9ELNS1_11target_archE1100ELNS1_3gpuE3ELNS1_3repE0EEENS1_30default_config_static_selectorELNS0_4arch9wavefront6targetE1EEEvSY_,"axG",@progbits,_ZN7rocprim17ROCPRIM_400000_NS6detail17trampoline_kernelINS0_13select_configILj256ELj13ELNS0_17block_load_methodE3ELS4_3ELS4_3ELNS0_20block_scan_algorithmE0ELj4294967295EEENS1_25partition_config_selectorILNS1_17partition_subalgoE3EjNS0_10empty_typeEbEEZZNS1_14partition_implILS8_3ELb0ES6_jNS0_17counting_iteratorIjlEEPS9_SE_NS0_5tupleIJPjSE_EEENSF_IJSE_SE_EEES9_SG_JZNS1_25segmented_radix_sort_implINS0_14default_configELb1EPKfPfPKlPlN2at6native12_GLOBAL__N_18offset_tEEE10hipError_tPvRmT1_PNSt15iterator_traitsISY_E10value_typeET2_T3_PNSZ_IS14_E10value_typeET4_jRbjT5_S1A_jjP12ihipStream_tbEUljE_EEESV_SW_SX_S14_S18_S1A_T6_T7_T9_mT8_S1C_bDpT10_ENKUlT_T0_E_clISt17integral_constantIbLb0EES1P_EEDaS1K_S1L_EUlS1K_E_NS1_11comp_targetILNS1_3genE9ELNS1_11target_archE1100ELNS1_3gpuE3ELNS1_3repE0EEENS1_30default_config_static_selectorELNS0_4arch9wavefront6targetE1EEEvSY_,comdat
.Lfunc_end1299:
	.size	_ZN7rocprim17ROCPRIM_400000_NS6detail17trampoline_kernelINS0_13select_configILj256ELj13ELNS0_17block_load_methodE3ELS4_3ELS4_3ELNS0_20block_scan_algorithmE0ELj4294967295EEENS1_25partition_config_selectorILNS1_17partition_subalgoE3EjNS0_10empty_typeEbEEZZNS1_14partition_implILS8_3ELb0ES6_jNS0_17counting_iteratorIjlEEPS9_SE_NS0_5tupleIJPjSE_EEENSF_IJSE_SE_EEES9_SG_JZNS1_25segmented_radix_sort_implINS0_14default_configELb1EPKfPfPKlPlN2at6native12_GLOBAL__N_18offset_tEEE10hipError_tPvRmT1_PNSt15iterator_traitsISY_E10value_typeET2_T3_PNSZ_IS14_E10value_typeET4_jRbjT5_S1A_jjP12ihipStream_tbEUljE_EEESV_SW_SX_S14_S18_S1A_T6_T7_T9_mT8_S1C_bDpT10_ENKUlT_T0_E_clISt17integral_constantIbLb0EES1P_EEDaS1K_S1L_EUlS1K_E_NS1_11comp_targetILNS1_3genE9ELNS1_11target_archE1100ELNS1_3gpuE3ELNS1_3repE0EEENS1_30default_config_static_selectorELNS0_4arch9wavefront6targetE1EEEvSY_, .Lfunc_end1299-_ZN7rocprim17ROCPRIM_400000_NS6detail17trampoline_kernelINS0_13select_configILj256ELj13ELNS0_17block_load_methodE3ELS4_3ELS4_3ELNS0_20block_scan_algorithmE0ELj4294967295EEENS1_25partition_config_selectorILNS1_17partition_subalgoE3EjNS0_10empty_typeEbEEZZNS1_14partition_implILS8_3ELb0ES6_jNS0_17counting_iteratorIjlEEPS9_SE_NS0_5tupleIJPjSE_EEENSF_IJSE_SE_EEES9_SG_JZNS1_25segmented_radix_sort_implINS0_14default_configELb1EPKfPfPKlPlN2at6native12_GLOBAL__N_18offset_tEEE10hipError_tPvRmT1_PNSt15iterator_traitsISY_E10value_typeET2_T3_PNSZ_IS14_E10value_typeET4_jRbjT5_S1A_jjP12ihipStream_tbEUljE_EEESV_SW_SX_S14_S18_S1A_T6_T7_T9_mT8_S1C_bDpT10_ENKUlT_T0_E_clISt17integral_constantIbLb0EES1P_EEDaS1K_S1L_EUlS1K_E_NS1_11comp_targetILNS1_3genE9ELNS1_11target_archE1100ELNS1_3gpuE3ELNS1_3repE0EEENS1_30default_config_static_selectorELNS0_4arch9wavefront6targetE1EEEvSY_
                                        ; -- End function
	.set _ZN7rocprim17ROCPRIM_400000_NS6detail17trampoline_kernelINS0_13select_configILj256ELj13ELNS0_17block_load_methodE3ELS4_3ELS4_3ELNS0_20block_scan_algorithmE0ELj4294967295EEENS1_25partition_config_selectorILNS1_17partition_subalgoE3EjNS0_10empty_typeEbEEZZNS1_14partition_implILS8_3ELb0ES6_jNS0_17counting_iteratorIjlEEPS9_SE_NS0_5tupleIJPjSE_EEENSF_IJSE_SE_EEES9_SG_JZNS1_25segmented_radix_sort_implINS0_14default_configELb1EPKfPfPKlPlN2at6native12_GLOBAL__N_18offset_tEEE10hipError_tPvRmT1_PNSt15iterator_traitsISY_E10value_typeET2_T3_PNSZ_IS14_E10value_typeET4_jRbjT5_S1A_jjP12ihipStream_tbEUljE_EEESV_SW_SX_S14_S18_S1A_T6_T7_T9_mT8_S1C_bDpT10_ENKUlT_T0_E_clISt17integral_constantIbLb0EES1P_EEDaS1K_S1L_EUlS1K_E_NS1_11comp_targetILNS1_3genE9ELNS1_11target_archE1100ELNS1_3gpuE3ELNS1_3repE0EEENS1_30default_config_static_selectorELNS0_4arch9wavefront6targetE1EEEvSY_.num_vgpr, 0
	.set _ZN7rocprim17ROCPRIM_400000_NS6detail17trampoline_kernelINS0_13select_configILj256ELj13ELNS0_17block_load_methodE3ELS4_3ELS4_3ELNS0_20block_scan_algorithmE0ELj4294967295EEENS1_25partition_config_selectorILNS1_17partition_subalgoE3EjNS0_10empty_typeEbEEZZNS1_14partition_implILS8_3ELb0ES6_jNS0_17counting_iteratorIjlEEPS9_SE_NS0_5tupleIJPjSE_EEENSF_IJSE_SE_EEES9_SG_JZNS1_25segmented_radix_sort_implINS0_14default_configELb1EPKfPfPKlPlN2at6native12_GLOBAL__N_18offset_tEEE10hipError_tPvRmT1_PNSt15iterator_traitsISY_E10value_typeET2_T3_PNSZ_IS14_E10value_typeET4_jRbjT5_S1A_jjP12ihipStream_tbEUljE_EEESV_SW_SX_S14_S18_S1A_T6_T7_T9_mT8_S1C_bDpT10_ENKUlT_T0_E_clISt17integral_constantIbLb0EES1P_EEDaS1K_S1L_EUlS1K_E_NS1_11comp_targetILNS1_3genE9ELNS1_11target_archE1100ELNS1_3gpuE3ELNS1_3repE0EEENS1_30default_config_static_selectorELNS0_4arch9wavefront6targetE1EEEvSY_.num_agpr, 0
	.set _ZN7rocprim17ROCPRIM_400000_NS6detail17trampoline_kernelINS0_13select_configILj256ELj13ELNS0_17block_load_methodE3ELS4_3ELS4_3ELNS0_20block_scan_algorithmE0ELj4294967295EEENS1_25partition_config_selectorILNS1_17partition_subalgoE3EjNS0_10empty_typeEbEEZZNS1_14partition_implILS8_3ELb0ES6_jNS0_17counting_iteratorIjlEEPS9_SE_NS0_5tupleIJPjSE_EEENSF_IJSE_SE_EEES9_SG_JZNS1_25segmented_radix_sort_implINS0_14default_configELb1EPKfPfPKlPlN2at6native12_GLOBAL__N_18offset_tEEE10hipError_tPvRmT1_PNSt15iterator_traitsISY_E10value_typeET2_T3_PNSZ_IS14_E10value_typeET4_jRbjT5_S1A_jjP12ihipStream_tbEUljE_EEESV_SW_SX_S14_S18_S1A_T6_T7_T9_mT8_S1C_bDpT10_ENKUlT_T0_E_clISt17integral_constantIbLb0EES1P_EEDaS1K_S1L_EUlS1K_E_NS1_11comp_targetILNS1_3genE9ELNS1_11target_archE1100ELNS1_3gpuE3ELNS1_3repE0EEENS1_30default_config_static_selectorELNS0_4arch9wavefront6targetE1EEEvSY_.numbered_sgpr, 0
	.set _ZN7rocprim17ROCPRIM_400000_NS6detail17trampoline_kernelINS0_13select_configILj256ELj13ELNS0_17block_load_methodE3ELS4_3ELS4_3ELNS0_20block_scan_algorithmE0ELj4294967295EEENS1_25partition_config_selectorILNS1_17partition_subalgoE3EjNS0_10empty_typeEbEEZZNS1_14partition_implILS8_3ELb0ES6_jNS0_17counting_iteratorIjlEEPS9_SE_NS0_5tupleIJPjSE_EEENSF_IJSE_SE_EEES9_SG_JZNS1_25segmented_radix_sort_implINS0_14default_configELb1EPKfPfPKlPlN2at6native12_GLOBAL__N_18offset_tEEE10hipError_tPvRmT1_PNSt15iterator_traitsISY_E10value_typeET2_T3_PNSZ_IS14_E10value_typeET4_jRbjT5_S1A_jjP12ihipStream_tbEUljE_EEESV_SW_SX_S14_S18_S1A_T6_T7_T9_mT8_S1C_bDpT10_ENKUlT_T0_E_clISt17integral_constantIbLb0EES1P_EEDaS1K_S1L_EUlS1K_E_NS1_11comp_targetILNS1_3genE9ELNS1_11target_archE1100ELNS1_3gpuE3ELNS1_3repE0EEENS1_30default_config_static_selectorELNS0_4arch9wavefront6targetE1EEEvSY_.num_named_barrier, 0
	.set _ZN7rocprim17ROCPRIM_400000_NS6detail17trampoline_kernelINS0_13select_configILj256ELj13ELNS0_17block_load_methodE3ELS4_3ELS4_3ELNS0_20block_scan_algorithmE0ELj4294967295EEENS1_25partition_config_selectorILNS1_17partition_subalgoE3EjNS0_10empty_typeEbEEZZNS1_14partition_implILS8_3ELb0ES6_jNS0_17counting_iteratorIjlEEPS9_SE_NS0_5tupleIJPjSE_EEENSF_IJSE_SE_EEES9_SG_JZNS1_25segmented_radix_sort_implINS0_14default_configELb1EPKfPfPKlPlN2at6native12_GLOBAL__N_18offset_tEEE10hipError_tPvRmT1_PNSt15iterator_traitsISY_E10value_typeET2_T3_PNSZ_IS14_E10value_typeET4_jRbjT5_S1A_jjP12ihipStream_tbEUljE_EEESV_SW_SX_S14_S18_S1A_T6_T7_T9_mT8_S1C_bDpT10_ENKUlT_T0_E_clISt17integral_constantIbLb0EES1P_EEDaS1K_S1L_EUlS1K_E_NS1_11comp_targetILNS1_3genE9ELNS1_11target_archE1100ELNS1_3gpuE3ELNS1_3repE0EEENS1_30default_config_static_selectorELNS0_4arch9wavefront6targetE1EEEvSY_.private_seg_size, 0
	.set _ZN7rocprim17ROCPRIM_400000_NS6detail17trampoline_kernelINS0_13select_configILj256ELj13ELNS0_17block_load_methodE3ELS4_3ELS4_3ELNS0_20block_scan_algorithmE0ELj4294967295EEENS1_25partition_config_selectorILNS1_17partition_subalgoE3EjNS0_10empty_typeEbEEZZNS1_14partition_implILS8_3ELb0ES6_jNS0_17counting_iteratorIjlEEPS9_SE_NS0_5tupleIJPjSE_EEENSF_IJSE_SE_EEES9_SG_JZNS1_25segmented_radix_sort_implINS0_14default_configELb1EPKfPfPKlPlN2at6native12_GLOBAL__N_18offset_tEEE10hipError_tPvRmT1_PNSt15iterator_traitsISY_E10value_typeET2_T3_PNSZ_IS14_E10value_typeET4_jRbjT5_S1A_jjP12ihipStream_tbEUljE_EEESV_SW_SX_S14_S18_S1A_T6_T7_T9_mT8_S1C_bDpT10_ENKUlT_T0_E_clISt17integral_constantIbLb0EES1P_EEDaS1K_S1L_EUlS1K_E_NS1_11comp_targetILNS1_3genE9ELNS1_11target_archE1100ELNS1_3gpuE3ELNS1_3repE0EEENS1_30default_config_static_selectorELNS0_4arch9wavefront6targetE1EEEvSY_.uses_vcc, 0
	.set _ZN7rocprim17ROCPRIM_400000_NS6detail17trampoline_kernelINS0_13select_configILj256ELj13ELNS0_17block_load_methodE3ELS4_3ELS4_3ELNS0_20block_scan_algorithmE0ELj4294967295EEENS1_25partition_config_selectorILNS1_17partition_subalgoE3EjNS0_10empty_typeEbEEZZNS1_14partition_implILS8_3ELb0ES6_jNS0_17counting_iteratorIjlEEPS9_SE_NS0_5tupleIJPjSE_EEENSF_IJSE_SE_EEES9_SG_JZNS1_25segmented_radix_sort_implINS0_14default_configELb1EPKfPfPKlPlN2at6native12_GLOBAL__N_18offset_tEEE10hipError_tPvRmT1_PNSt15iterator_traitsISY_E10value_typeET2_T3_PNSZ_IS14_E10value_typeET4_jRbjT5_S1A_jjP12ihipStream_tbEUljE_EEESV_SW_SX_S14_S18_S1A_T6_T7_T9_mT8_S1C_bDpT10_ENKUlT_T0_E_clISt17integral_constantIbLb0EES1P_EEDaS1K_S1L_EUlS1K_E_NS1_11comp_targetILNS1_3genE9ELNS1_11target_archE1100ELNS1_3gpuE3ELNS1_3repE0EEENS1_30default_config_static_selectorELNS0_4arch9wavefront6targetE1EEEvSY_.uses_flat_scratch, 0
	.set _ZN7rocprim17ROCPRIM_400000_NS6detail17trampoline_kernelINS0_13select_configILj256ELj13ELNS0_17block_load_methodE3ELS4_3ELS4_3ELNS0_20block_scan_algorithmE0ELj4294967295EEENS1_25partition_config_selectorILNS1_17partition_subalgoE3EjNS0_10empty_typeEbEEZZNS1_14partition_implILS8_3ELb0ES6_jNS0_17counting_iteratorIjlEEPS9_SE_NS0_5tupleIJPjSE_EEENSF_IJSE_SE_EEES9_SG_JZNS1_25segmented_radix_sort_implINS0_14default_configELb1EPKfPfPKlPlN2at6native12_GLOBAL__N_18offset_tEEE10hipError_tPvRmT1_PNSt15iterator_traitsISY_E10value_typeET2_T3_PNSZ_IS14_E10value_typeET4_jRbjT5_S1A_jjP12ihipStream_tbEUljE_EEESV_SW_SX_S14_S18_S1A_T6_T7_T9_mT8_S1C_bDpT10_ENKUlT_T0_E_clISt17integral_constantIbLb0EES1P_EEDaS1K_S1L_EUlS1K_E_NS1_11comp_targetILNS1_3genE9ELNS1_11target_archE1100ELNS1_3gpuE3ELNS1_3repE0EEENS1_30default_config_static_selectorELNS0_4arch9wavefront6targetE1EEEvSY_.has_dyn_sized_stack, 0
	.set _ZN7rocprim17ROCPRIM_400000_NS6detail17trampoline_kernelINS0_13select_configILj256ELj13ELNS0_17block_load_methodE3ELS4_3ELS4_3ELNS0_20block_scan_algorithmE0ELj4294967295EEENS1_25partition_config_selectorILNS1_17partition_subalgoE3EjNS0_10empty_typeEbEEZZNS1_14partition_implILS8_3ELb0ES6_jNS0_17counting_iteratorIjlEEPS9_SE_NS0_5tupleIJPjSE_EEENSF_IJSE_SE_EEES9_SG_JZNS1_25segmented_radix_sort_implINS0_14default_configELb1EPKfPfPKlPlN2at6native12_GLOBAL__N_18offset_tEEE10hipError_tPvRmT1_PNSt15iterator_traitsISY_E10value_typeET2_T3_PNSZ_IS14_E10value_typeET4_jRbjT5_S1A_jjP12ihipStream_tbEUljE_EEESV_SW_SX_S14_S18_S1A_T6_T7_T9_mT8_S1C_bDpT10_ENKUlT_T0_E_clISt17integral_constantIbLb0EES1P_EEDaS1K_S1L_EUlS1K_E_NS1_11comp_targetILNS1_3genE9ELNS1_11target_archE1100ELNS1_3gpuE3ELNS1_3repE0EEENS1_30default_config_static_selectorELNS0_4arch9wavefront6targetE1EEEvSY_.has_recursion, 0
	.set _ZN7rocprim17ROCPRIM_400000_NS6detail17trampoline_kernelINS0_13select_configILj256ELj13ELNS0_17block_load_methodE3ELS4_3ELS4_3ELNS0_20block_scan_algorithmE0ELj4294967295EEENS1_25partition_config_selectorILNS1_17partition_subalgoE3EjNS0_10empty_typeEbEEZZNS1_14partition_implILS8_3ELb0ES6_jNS0_17counting_iteratorIjlEEPS9_SE_NS0_5tupleIJPjSE_EEENSF_IJSE_SE_EEES9_SG_JZNS1_25segmented_radix_sort_implINS0_14default_configELb1EPKfPfPKlPlN2at6native12_GLOBAL__N_18offset_tEEE10hipError_tPvRmT1_PNSt15iterator_traitsISY_E10value_typeET2_T3_PNSZ_IS14_E10value_typeET4_jRbjT5_S1A_jjP12ihipStream_tbEUljE_EEESV_SW_SX_S14_S18_S1A_T6_T7_T9_mT8_S1C_bDpT10_ENKUlT_T0_E_clISt17integral_constantIbLb0EES1P_EEDaS1K_S1L_EUlS1K_E_NS1_11comp_targetILNS1_3genE9ELNS1_11target_archE1100ELNS1_3gpuE3ELNS1_3repE0EEENS1_30default_config_static_selectorELNS0_4arch9wavefront6targetE1EEEvSY_.has_indirect_call, 0
	.section	.AMDGPU.csdata,"",@progbits
; Kernel info:
; codeLenInByte = 0
; TotalNumSgprs: 4
; NumVgprs: 0
; ScratchSize: 0
; MemoryBound: 0
; FloatMode: 240
; IeeeMode: 1
; LDSByteSize: 0 bytes/workgroup (compile time only)
; SGPRBlocks: 0
; VGPRBlocks: 0
; NumSGPRsForWavesPerEU: 4
; NumVGPRsForWavesPerEU: 1
; Occupancy: 10
; WaveLimiterHint : 0
; COMPUTE_PGM_RSRC2:SCRATCH_EN: 0
; COMPUTE_PGM_RSRC2:USER_SGPR: 6
; COMPUTE_PGM_RSRC2:TRAP_HANDLER: 0
; COMPUTE_PGM_RSRC2:TGID_X_EN: 1
; COMPUTE_PGM_RSRC2:TGID_Y_EN: 0
; COMPUTE_PGM_RSRC2:TGID_Z_EN: 0
; COMPUTE_PGM_RSRC2:TIDIG_COMP_CNT: 0
	.section	.text._ZN7rocprim17ROCPRIM_400000_NS6detail17trampoline_kernelINS0_13select_configILj256ELj13ELNS0_17block_load_methodE3ELS4_3ELS4_3ELNS0_20block_scan_algorithmE0ELj4294967295EEENS1_25partition_config_selectorILNS1_17partition_subalgoE3EjNS0_10empty_typeEbEEZZNS1_14partition_implILS8_3ELb0ES6_jNS0_17counting_iteratorIjlEEPS9_SE_NS0_5tupleIJPjSE_EEENSF_IJSE_SE_EEES9_SG_JZNS1_25segmented_radix_sort_implINS0_14default_configELb1EPKfPfPKlPlN2at6native12_GLOBAL__N_18offset_tEEE10hipError_tPvRmT1_PNSt15iterator_traitsISY_E10value_typeET2_T3_PNSZ_IS14_E10value_typeET4_jRbjT5_S1A_jjP12ihipStream_tbEUljE_EEESV_SW_SX_S14_S18_S1A_T6_T7_T9_mT8_S1C_bDpT10_ENKUlT_T0_E_clISt17integral_constantIbLb0EES1P_EEDaS1K_S1L_EUlS1K_E_NS1_11comp_targetILNS1_3genE8ELNS1_11target_archE1030ELNS1_3gpuE2ELNS1_3repE0EEENS1_30default_config_static_selectorELNS0_4arch9wavefront6targetE1EEEvSY_,"axG",@progbits,_ZN7rocprim17ROCPRIM_400000_NS6detail17trampoline_kernelINS0_13select_configILj256ELj13ELNS0_17block_load_methodE3ELS4_3ELS4_3ELNS0_20block_scan_algorithmE0ELj4294967295EEENS1_25partition_config_selectorILNS1_17partition_subalgoE3EjNS0_10empty_typeEbEEZZNS1_14partition_implILS8_3ELb0ES6_jNS0_17counting_iteratorIjlEEPS9_SE_NS0_5tupleIJPjSE_EEENSF_IJSE_SE_EEES9_SG_JZNS1_25segmented_radix_sort_implINS0_14default_configELb1EPKfPfPKlPlN2at6native12_GLOBAL__N_18offset_tEEE10hipError_tPvRmT1_PNSt15iterator_traitsISY_E10value_typeET2_T3_PNSZ_IS14_E10value_typeET4_jRbjT5_S1A_jjP12ihipStream_tbEUljE_EEESV_SW_SX_S14_S18_S1A_T6_T7_T9_mT8_S1C_bDpT10_ENKUlT_T0_E_clISt17integral_constantIbLb0EES1P_EEDaS1K_S1L_EUlS1K_E_NS1_11comp_targetILNS1_3genE8ELNS1_11target_archE1030ELNS1_3gpuE2ELNS1_3repE0EEENS1_30default_config_static_selectorELNS0_4arch9wavefront6targetE1EEEvSY_,comdat
	.globl	_ZN7rocprim17ROCPRIM_400000_NS6detail17trampoline_kernelINS0_13select_configILj256ELj13ELNS0_17block_load_methodE3ELS4_3ELS4_3ELNS0_20block_scan_algorithmE0ELj4294967295EEENS1_25partition_config_selectorILNS1_17partition_subalgoE3EjNS0_10empty_typeEbEEZZNS1_14partition_implILS8_3ELb0ES6_jNS0_17counting_iteratorIjlEEPS9_SE_NS0_5tupleIJPjSE_EEENSF_IJSE_SE_EEES9_SG_JZNS1_25segmented_radix_sort_implINS0_14default_configELb1EPKfPfPKlPlN2at6native12_GLOBAL__N_18offset_tEEE10hipError_tPvRmT1_PNSt15iterator_traitsISY_E10value_typeET2_T3_PNSZ_IS14_E10value_typeET4_jRbjT5_S1A_jjP12ihipStream_tbEUljE_EEESV_SW_SX_S14_S18_S1A_T6_T7_T9_mT8_S1C_bDpT10_ENKUlT_T0_E_clISt17integral_constantIbLb0EES1P_EEDaS1K_S1L_EUlS1K_E_NS1_11comp_targetILNS1_3genE8ELNS1_11target_archE1030ELNS1_3gpuE2ELNS1_3repE0EEENS1_30default_config_static_selectorELNS0_4arch9wavefront6targetE1EEEvSY_ ; -- Begin function _ZN7rocprim17ROCPRIM_400000_NS6detail17trampoline_kernelINS0_13select_configILj256ELj13ELNS0_17block_load_methodE3ELS4_3ELS4_3ELNS0_20block_scan_algorithmE0ELj4294967295EEENS1_25partition_config_selectorILNS1_17partition_subalgoE3EjNS0_10empty_typeEbEEZZNS1_14partition_implILS8_3ELb0ES6_jNS0_17counting_iteratorIjlEEPS9_SE_NS0_5tupleIJPjSE_EEENSF_IJSE_SE_EEES9_SG_JZNS1_25segmented_radix_sort_implINS0_14default_configELb1EPKfPfPKlPlN2at6native12_GLOBAL__N_18offset_tEEE10hipError_tPvRmT1_PNSt15iterator_traitsISY_E10value_typeET2_T3_PNSZ_IS14_E10value_typeET4_jRbjT5_S1A_jjP12ihipStream_tbEUljE_EEESV_SW_SX_S14_S18_S1A_T6_T7_T9_mT8_S1C_bDpT10_ENKUlT_T0_E_clISt17integral_constantIbLb0EES1P_EEDaS1K_S1L_EUlS1K_E_NS1_11comp_targetILNS1_3genE8ELNS1_11target_archE1030ELNS1_3gpuE2ELNS1_3repE0EEENS1_30default_config_static_selectorELNS0_4arch9wavefront6targetE1EEEvSY_
	.p2align	8
	.type	_ZN7rocprim17ROCPRIM_400000_NS6detail17trampoline_kernelINS0_13select_configILj256ELj13ELNS0_17block_load_methodE3ELS4_3ELS4_3ELNS0_20block_scan_algorithmE0ELj4294967295EEENS1_25partition_config_selectorILNS1_17partition_subalgoE3EjNS0_10empty_typeEbEEZZNS1_14partition_implILS8_3ELb0ES6_jNS0_17counting_iteratorIjlEEPS9_SE_NS0_5tupleIJPjSE_EEENSF_IJSE_SE_EEES9_SG_JZNS1_25segmented_radix_sort_implINS0_14default_configELb1EPKfPfPKlPlN2at6native12_GLOBAL__N_18offset_tEEE10hipError_tPvRmT1_PNSt15iterator_traitsISY_E10value_typeET2_T3_PNSZ_IS14_E10value_typeET4_jRbjT5_S1A_jjP12ihipStream_tbEUljE_EEESV_SW_SX_S14_S18_S1A_T6_T7_T9_mT8_S1C_bDpT10_ENKUlT_T0_E_clISt17integral_constantIbLb0EES1P_EEDaS1K_S1L_EUlS1K_E_NS1_11comp_targetILNS1_3genE8ELNS1_11target_archE1030ELNS1_3gpuE2ELNS1_3repE0EEENS1_30default_config_static_selectorELNS0_4arch9wavefront6targetE1EEEvSY_,@function
_ZN7rocprim17ROCPRIM_400000_NS6detail17trampoline_kernelINS0_13select_configILj256ELj13ELNS0_17block_load_methodE3ELS4_3ELS4_3ELNS0_20block_scan_algorithmE0ELj4294967295EEENS1_25partition_config_selectorILNS1_17partition_subalgoE3EjNS0_10empty_typeEbEEZZNS1_14partition_implILS8_3ELb0ES6_jNS0_17counting_iteratorIjlEEPS9_SE_NS0_5tupleIJPjSE_EEENSF_IJSE_SE_EEES9_SG_JZNS1_25segmented_radix_sort_implINS0_14default_configELb1EPKfPfPKlPlN2at6native12_GLOBAL__N_18offset_tEEE10hipError_tPvRmT1_PNSt15iterator_traitsISY_E10value_typeET2_T3_PNSZ_IS14_E10value_typeET4_jRbjT5_S1A_jjP12ihipStream_tbEUljE_EEESV_SW_SX_S14_S18_S1A_T6_T7_T9_mT8_S1C_bDpT10_ENKUlT_T0_E_clISt17integral_constantIbLb0EES1P_EEDaS1K_S1L_EUlS1K_E_NS1_11comp_targetILNS1_3genE8ELNS1_11target_archE1030ELNS1_3gpuE2ELNS1_3repE0EEENS1_30default_config_static_selectorELNS0_4arch9wavefront6targetE1EEEvSY_: ; @_ZN7rocprim17ROCPRIM_400000_NS6detail17trampoline_kernelINS0_13select_configILj256ELj13ELNS0_17block_load_methodE3ELS4_3ELS4_3ELNS0_20block_scan_algorithmE0ELj4294967295EEENS1_25partition_config_selectorILNS1_17partition_subalgoE3EjNS0_10empty_typeEbEEZZNS1_14partition_implILS8_3ELb0ES6_jNS0_17counting_iteratorIjlEEPS9_SE_NS0_5tupleIJPjSE_EEENSF_IJSE_SE_EEES9_SG_JZNS1_25segmented_radix_sort_implINS0_14default_configELb1EPKfPfPKlPlN2at6native12_GLOBAL__N_18offset_tEEE10hipError_tPvRmT1_PNSt15iterator_traitsISY_E10value_typeET2_T3_PNSZ_IS14_E10value_typeET4_jRbjT5_S1A_jjP12ihipStream_tbEUljE_EEESV_SW_SX_S14_S18_S1A_T6_T7_T9_mT8_S1C_bDpT10_ENKUlT_T0_E_clISt17integral_constantIbLb0EES1P_EEDaS1K_S1L_EUlS1K_E_NS1_11comp_targetILNS1_3genE8ELNS1_11target_archE1030ELNS1_3gpuE2ELNS1_3repE0EEENS1_30default_config_static_selectorELNS0_4arch9wavefront6targetE1EEEvSY_
; %bb.0:
	.section	.rodata,"a",@progbits
	.p2align	6, 0x0
	.amdhsa_kernel _ZN7rocprim17ROCPRIM_400000_NS6detail17trampoline_kernelINS0_13select_configILj256ELj13ELNS0_17block_load_methodE3ELS4_3ELS4_3ELNS0_20block_scan_algorithmE0ELj4294967295EEENS1_25partition_config_selectorILNS1_17partition_subalgoE3EjNS0_10empty_typeEbEEZZNS1_14partition_implILS8_3ELb0ES6_jNS0_17counting_iteratorIjlEEPS9_SE_NS0_5tupleIJPjSE_EEENSF_IJSE_SE_EEES9_SG_JZNS1_25segmented_radix_sort_implINS0_14default_configELb1EPKfPfPKlPlN2at6native12_GLOBAL__N_18offset_tEEE10hipError_tPvRmT1_PNSt15iterator_traitsISY_E10value_typeET2_T3_PNSZ_IS14_E10value_typeET4_jRbjT5_S1A_jjP12ihipStream_tbEUljE_EEESV_SW_SX_S14_S18_S1A_T6_T7_T9_mT8_S1C_bDpT10_ENKUlT_T0_E_clISt17integral_constantIbLb0EES1P_EEDaS1K_S1L_EUlS1K_E_NS1_11comp_targetILNS1_3genE8ELNS1_11target_archE1030ELNS1_3gpuE2ELNS1_3repE0EEENS1_30default_config_static_selectorELNS0_4arch9wavefront6targetE1EEEvSY_
		.amdhsa_group_segment_fixed_size 0
		.amdhsa_private_segment_fixed_size 0
		.amdhsa_kernarg_size 144
		.amdhsa_user_sgpr_count 6
		.amdhsa_user_sgpr_private_segment_buffer 1
		.amdhsa_user_sgpr_dispatch_ptr 0
		.amdhsa_user_sgpr_queue_ptr 0
		.amdhsa_user_sgpr_kernarg_segment_ptr 1
		.amdhsa_user_sgpr_dispatch_id 0
		.amdhsa_user_sgpr_flat_scratch_init 0
		.amdhsa_user_sgpr_private_segment_size 0
		.amdhsa_uses_dynamic_stack 0
		.amdhsa_system_sgpr_private_segment_wavefront_offset 0
		.amdhsa_system_sgpr_workgroup_id_x 1
		.amdhsa_system_sgpr_workgroup_id_y 0
		.amdhsa_system_sgpr_workgroup_id_z 0
		.amdhsa_system_sgpr_workgroup_info 0
		.amdhsa_system_vgpr_workitem_id 0
		.amdhsa_next_free_vgpr 1
		.amdhsa_next_free_sgpr 0
		.amdhsa_reserve_vcc 0
		.amdhsa_reserve_flat_scratch 0
		.amdhsa_float_round_mode_32 0
		.amdhsa_float_round_mode_16_64 0
		.amdhsa_float_denorm_mode_32 3
		.amdhsa_float_denorm_mode_16_64 3
		.amdhsa_dx10_clamp 1
		.amdhsa_ieee_mode 1
		.amdhsa_fp16_overflow 0
		.amdhsa_exception_fp_ieee_invalid_op 0
		.amdhsa_exception_fp_denorm_src 0
		.amdhsa_exception_fp_ieee_div_zero 0
		.amdhsa_exception_fp_ieee_overflow 0
		.amdhsa_exception_fp_ieee_underflow 0
		.amdhsa_exception_fp_ieee_inexact 0
		.amdhsa_exception_int_div_zero 0
	.end_amdhsa_kernel
	.section	.text._ZN7rocprim17ROCPRIM_400000_NS6detail17trampoline_kernelINS0_13select_configILj256ELj13ELNS0_17block_load_methodE3ELS4_3ELS4_3ELNS0_20block_scan_algorithmE0ELj4294967295EEENS1_25partition_config_selectorILNS1_17partition_subalgoE3EjNS0_10empty_typeEbEEZZNS1_14partition_implILS8_3ELb0ES6_jNS0_17counting_iteratorIjlEEPS9_SE_NS0_5tupleIJPjSE_EEENSF_IJSE_SE_EEES9_SG_JZNS1_25segmented_radix_sort_implINS0_14default_configELb1EPKfPfPKlPlN2at6native12_GLOBAL__N_18offset_tEEE10hipError_tPvRmT1_PNSt15iterator_traitsISY_E10value_typeET2_T3_PNSZ_IS14_E10value_typeET4_jRbjT5_S1A_jjP12ihipStream_tbEUljE_EEESV_SW_SX_S14_S18_S1A_T6_T7_T9_mT8_S1C_bDpT10_ENKUlT_T0_E_clISt17integral_constantIbLb0EES1P_EEDaS1K_S1L_EUlS1K_E_NS1_11comp_targetILNS1_3genE8ELNS1_11target_archE1030ELNS1_3gpuE2ELNS1_3repE0EEENS1_30default_config_static_selectorELNS0_4arch9wavefront6targetE1EEEvSY_,"axG",@progbits,_ZN7rocprim17ROCPRIM_400000_NS6detail17trampoline_kernelINS0_13select_configILj256ELj13ELNS0_17block_load_methodE3ELS4_3ELS4_3ELNS0_20block_scan_algorithmE0ELj4294967295EEENS1_25partition_config_selectorILNS1_17partition_subalgoE3EjNS0_10empty_typeEbEEZZNS1_14partition_implILS8_3ELb0ES6_jNS0_17counting_iteratorIjlEEPS9_SE_NS0_5tupleIJPjSE_EEENSF_IJSE_SE_EEES9_SG_JZNS1_25segmented_radix_sort_implINS0_14default_configELb1EPKfPfPKlPlN2at6native12_GLOBAL__N_18offset_tEEE10hipError_tPvRmT1_PNSt15iterator_traitsISY_E10value_typeET2_T3_PNSZ_IS14_E10value_typeET4_jRbjT5_S1A_jjP12ihipStream_tbEUljE_EEESV_SW_SX_S14_S18_S1A_T6_T7_T9_mT8_S1C_bDpT10_ENKUlT_T0_E_clISt17integral_constantIbLb0EES1P_EEDaS1K_S1L_EUlS1K_E_NS1_11comp_targetILNS1_3genE8ELNS1_11target_archE1030ELNS1_3gpuE2ELNS1_3repE0EEENS1_30default_config_static_selectorELNS0_4arch9wavefront6targetE1EEEvSY_,comdat
.Lfunc_end1300:
	.size	_ZN7rocprim17ROCPRIM_400000_NS6detail17trampoline_kernelINS0_13select_configILj256ELj13ELNS0_17block_load_methodE3ELS4_3ELS4_3ELNS0_20block_scan_algorithmE0ELj4294967295EEENS1_25partition_config_selectorILNS1_17partition_subalgoE3EjNS0_10empty_typeEbEEZZNS1_14partition_implILS8_3ELb0ES6_jNS0_17counting_iteratorIjlEEPS9_SE_NS0_5tupleIJPjSE_EEENSF_IJSE_SE_EEES9_SG_JZNS1_25segmented_radix_sort_implINS0_14default_configELb1EPKfPfPKlPlN2at6native12_GLOBAL__N_18offset_tEEE10hipError_tPvRmT1_PNSt15iterator_traitsISY_E10value_typeET2_T3_PNSZ_IS14_E10value_typeET4_jRbjT5_S1A_jjP12ihipStream_tbEUljE_EEESV_SW_SX_S14_S18_S1A_T6_T7_T9_mT8_S1C_bDpT10_ENKUlT_T0_E_clISt17integral_constantIbLb0EES1P_EEDaS1K_S1L_EUlS1K_E_NS1_11comp_targetILNS1_3genE8ELNS1_11target_archE1030ELNS1_3gpuE2ELNS1_3repE0EEENS1_30default_config_static_selectorELNS0_4arch9wavefront6targetE1EEEvSY_, .Lfunc_end1300-_ZN7rocprim17ROCPRIM_400000_NS6detail17trampoline_kernelINS0_13select_configILj256ELj13ELNS0_17block_load_methodE3ELS4_3ELS4_3ELNS0_20block_scan_algorithmE0ELj4294967295EEENS1_25partition_config_selectorILNS1_17partition_subalgoE3EjNS0_10empty_typeEbEEZZNS1_14partition_implILS8_3ELb0ES6_jNS0_17counting_iteratorIjlEEPS9_SE_NS0_5tupleIJPjSE_EEENSF_IJSE_SE_EEES9_SG_JZNS1_25segmented_radix_sort_implINS0_14default_configELb1EPKfPfPKlPlN2at6native12_GLOBAL__N_18offset_tEEE10hipError_tPvRmT1_PNSt15iterator_traitsISY_E10value_typeET2_T3_PNSZ_IS14_E10value_typeET4_jRbjT5_S1A_jjP12ihipStream_tbEUljE_EEESV_SW_SX_S14_S18_S1A_T6_T7_T9_mT8_S1C_bDpT10_ENKUlT_T0_E_clISt17integral_constantIbLb0EES1P_EEDaS1K_S1L_EUlS1K_E_NS1_11comp_targetILNS1_3genE8ELNS1_11target_archE1030ELNS1_3gpuE2ELNS1_3repE0EEENS1_30default_config_static_selectorELNS0_4arch9wavefront6targetE1EEEvSY_
                                        ; -- End function
	.set _ZN7rocprim17ROCPRIM_400000_NS6detail17trampoline_kernelINS0_13select_configILj256ELj13ELNS0_17block_load_methodE3ELS4_3ELS4_3ELNS0_20block_scan_algorithmE0ELj4294967295EEENS1_25partition_config_selectorILNS1_17partition_subalgoE3EjNS0_10empty_typeEbEEZZNS1_14partition_implILS8_3ELb0ES6_jNS0_17counting_iteratorIjlEEPS9_SE_NS0_5tupleIJPjSE_EEENSF_IJSE_SE_EEES9_SG_JZNS1_25segmented_radix_sort_implINS0_14default_configELb1EPKfPfPKlPlN2at6native12_GLOBAL__N_18offset_tEEE10hipError_tPvRmT1_PNSt15iterator_traitsISY_E10value_typeET2_T3_PNSZ_IS14_E10value_typeET4_jRbjT5_S1A_jjP12ihipStream_tbEUljE_EEESV_SW_SX_S14_S18_S1A_T6_T7_T9_mT8_S1C_bDpT10_ENKUlT_T0_E_clISt17integral_constantIbLb0EES1P_EEDaS1K_S1L_EUlS1K_E_NS1_11comp_targetILNS1_3genE8ELNS1_11target_archE1030ELNS1_3gpuE2ELNS1_3repE0EEENS1_30default_config_static_selectorELNS0_4arch9wavefront6targetE1EEEvSY_.num_vgpr, 0
	.set _ZN7rocprim17ROCPRIM_400000_NS6detail17trampoline_kernelINS0_13select_configILj256ELj13ELNS0_17block_load_methodE3ELS4_3ELS4_3ELNS0_20block_scan_algorithmE0ELj4294967295EEENS1_25partition_config_selectorILNS1_17partition_subalgoE3EjNS0_10empty_typeEbEEZZNS1_14partition_implILS8_3ELb0ES6_jNS0_17counting_iteratorIjlEEPS9_SE_NS0_5tupleIJPjSE_EEENSF_IJSE_SE_EEES9_SG_JZNS1_25segmented_radix_sort_implINS0_14default_configELb1EPKfPfPKlPlN2at6native12_GLOBAL__N_18offset_tEEE10hipError_tPvRmT1_PNSt15iterator_traitsISY_E10value_typeET2_T3_PNSZ_IS14_E10value_typeET4_jRbjT5_S1A_jjP12ihipStream_tbEUljE_EEESV_SW_SX_S14_S18_S1A_T6_T7_T9_mT8_S1C_bDpT10_ENKUlT_T0_E_clISt17integral_constantIbLb0EES1P_EEDaS1K_S1L_EUlS1K_E_NS1_11comp_targetILNS1_3genE8ELNS1_11target_archE1030ELNS1_3gpuE2ELNS1_3repE0EEENS1_30default_config_static_selectorELNS0_4arch9wavefront6targetE1EEEvSY_.num_agpr, 0
	.set _ZN7rocprim17ROCPRIM_400000_NS6detail17trampoline_kernelINS0_13select_configILj256ELj13ELNS0_17block_load_methodE3ELS4_3ELS4_3ELNS0_20block_scan_algorithmE0ELj4294967295EEENS1_25partition_config_selectorILNS1_17partition_subalgoE3EjNS0_10empty_typeEbEEZZNS1_14partition_implILS8_3ELb0ES6_jNS0_17counting_iteratorIjlEEPS9_SE_NS0_5tupleIJPjSE_EEENSF_IJSE_SE_EEES9_SG_JZNS1_25segmented_radix_sort_implINS0_14default_configELb1EPKfPfPKlPlN2at6native12_GLOBAL__N_18offset_tEEE10hipError_tPvRmT1_PNSt15iterator_traitsISY_E10value_typeET2_T3_PNSZ_IS14_E10value_typeET4_jRbjT5_S1A_jjP12ihipStream_tbEUljE_EEESV_SW_SX_S14_S18_S1A_T6_T7_T9_mT8_S1C_bDpT10_ENKUlT_T0_E_clISt17integral_constantIbLb0EES1P_EEDaS1K_S1L_EUlS1K_E_NS1_11comp_targetILNS1_3genE8ELNS1_11target_archE1030ELNS1_3gpuE2ELNS1_3repE0EEENS1_30default_config_static_selectorELNS0_4arch9wavefront6targetE1EEEvSY_.numbered_sgpr, 0
	.set _ZN7rocprim17ROCPRIM_400000_NS6detail17trampoline_kernelINS0_13select_configILj256ELj13ELNS0_17block_load_methodE3ELS4_3ELS4_3ELNS0_20block_scan_algorithmE0ELj4294967295EEENS1_25partition_config_selectorILNS1_17partition_subalgoE3EjNS0_10empty_typeEbEEZZNS1_14partition_implILS8_3ELb0ES6_jNS0_17counting_iteratorIjlEEPS9_SE_NS0_5tupleIJPjSE_EEENSF_IJSE_SE_EEES9_SG_JZNS1_25segmented_radix_sort_implINS0_14default_configELb1EPKfPfPKlPlN2at6native12_GLOBAL__N_18offset_tEEE10hipError_tPvRmT1_PNSt15iterator_traitsISY_E10value_typeET2_T3_PNSZ_IS14_E10value_typeET4_jRbjT5_S1A_jjP12ihipStream_tbEUljE_EEESV_SW_SX_S14_S18_S1A_T6_T7_T9_mT8_S1C_bDpT10_ENKUlT_T0_E_clISt17integral_constantIbLb0EES1P_EEDaS1K_S1L_EUlS1K_E_NS1_11comp_targetILNS1_3genE8ELNS1_11target_archE1030ELNS1_3gpuE2ELNS1_3repE0EEENS1_30default_config_static_selectorELNS0_4arch9wavefront6targetE1EEEvSY_.num_named_barrier, 0
	.set _ZN7rocprim17ROCPRIM_400000_NS6detail17trampoline_kernelINS0_13select_configILj256ELj13ELNS0_17block_load_methodE3ELS4_3ELS4_3ELNS0_20block_scan_algorithmE0ELj4294967295EEENS1_25partition_config_selectorILNS1_17partition_subalgoE3EjNS0_10empty_typeEbEEZZNS1_14partition_implILS8_3ELb0ES6_jNS0_17counting_iteratorIjlEEPS9_SE_NS0_5tupleIJPjSE_EEENSF_IJSE_SE_EEES9_SG_JZNS1_25segmented_radix_sort_implINS0_14default_configELb1EPKfPfPKlPlN2at6native12_GLOBAL__N_18offset_tEEE10hipError_tPvRmT1_PNSt15iterator_traitsISY_E10value_typeET2_T3_PNSZ_IS14_E10value_typeET4_jRbjT5_S1A_jjP12ihipStream_tbEUljE_EEESV_SW_SX_S14_S18_S1A_T6_T7_T9_mT8_S1C_bDpT10_ENKUlT_T0_E_clISt17integral_constantIbLb0EES1P_EEDaS1K_S1L_EUlS1K_E_NS1_11comp_targetILNS1_3genE8ELNS1_11target_archE1030ELNS1_3gpuE2ELNS1_3repE0EEENS1_30default_config_static_selectorELNS0_4arch9wavefront6targetE1EEEvSY_.private_seg_size, 0
	.set _ZN7rocprim17ROCPRIM_400000_NS6detail17trampoline_kernelINS0_13select_configILj256ELj13ELNS0_17block_load_methodE3ELS4_3ELS4_3ELNS0_20block_scan_algorithmE0ELj4294967295EEENS1_25partition_config_selectorILNS1_17partition_subalgoE3EjNS0_10empty_typeEbEEZZNS1_14partition_implILS8_3ELb0ES6_jNS0_17counting_iteratorIjlEEPS9_SE_NS0_5tupleIJPjSE_EEENSF_IJSE_SE_EEES9_SG_JZNS1_25segmented_radix_sort_implINS0_14default_configELb1EPKfPfPKlPlN2at6native12_GLOBAL__N_18offset_tEEE10hipError_tPvRmT1_PNSt15iterator_traitsISY_E10value_typeET2_T3_PNSZ_IS14_E10value_typeET4_jRbjT5_S1A_jjP12ihipStream_tbEUljE_EEESV_SW_SX_S14_S18_S1A_T6_T7_T9_mT8_S1C_bDpT10_ENKUlT_T0_E_clISt17integral_constantIbLb0EES1P_EEDaS1K_S1L_EUlS1K_E_NS1_11comp_targetILNS1_3genE8ELNS1_11target_archE1030ELNS1_3gpuE2ELNS1_3repE0EEENS1_30default_config_static_selectorELNS0_4arch9wavefront6targetE1EEEvSY_.uses_vcc, 0
	.set _ZN7rocprim17ROCPRIM_400000_NS6detail17trampoline_kernelINS0_13select_configILj256ELj13ELNS0_17block_load_methodE3ELS4_3ELS4_3ELNS0_20block_scan_algorithmE0ELj4294967295EEENS1_25partition_config_selectorILNS1_17partition_subalgoE3EjNS0_10empty_typeEbEEZZNS1_14partition_implILS8_3ELb0ES6_jNS0_17counting_iteratorIjlEEPS9_SE_NS0_5tupleIJPjSE_EEENSF_IJSE_SE_EEES9_SG_JZNS1_25segmented_radix_sort_implINS0_14default_configELb1EPKfPfPKlPlN2at6native12_GLOBAL__N_18offset_tEEE10hipError_tPvRmT1_PNSt15iterator_traitsISY_E10value_typeET2_T3_PNSZ_IS14_E10value_typeET4_jRbjT5_S1A_jjP12ihipStream_tbEUljE_EEESV_SW_SX_S14_S18_S1A_T6_T7_T9_mT8_S1C_bDpT10_ENKUlT_T0_E_clISt17integral_constantIbLb0EES1P_EEDaS1K_S1L_EUlS1K_E_NS1_11comp_targetILNS1_3genE8ELNS1_11target_archE1030ELNS1_3gpuE2ELNS1_3repE0EEENS1_30default_config_static_selectorELNS0_4arch9wavefront6targetE1EEEvSY_.uses_flat_scratch, 0
	.set _ZN7rocprim17ROCPRIM_400000_NS6detail17trampoline_kernelINS0_13select_configILj256ELj13ELNS0_17block_load_methodE3ELS4_3ELS4_3ELNS0_20block_scan_algorithmE0ELj4294967295EEENS1_25partition_config_selectorILNS1_17partition_subalgoE3EjNS0_10empty_typeEbEEZZNS1_14partition_implILS8_3ELb0ES6_jNS0_17counting_iteratorIjlEEPS9_SE_NS0_5tupleIJPjSE_EEENSF_IJSE_SE_EEES9_SG_JZNS1_25segmented_radix_sort_implINS0_14default_configELb1EPKfPfPKlPlN2at6native12_GLOBAL__N_18offset_tEEE10hipError_tPvRmT1_PNSt15iterator_traitsISY_E10value_typeET2_T3_PNSZ_IS14_E10value_typeET4_jRbjT5_S1A_jjP12ihipStream_tbEUljE_EEESV_SW_SX_S14_S18_S1A_T6_T7_T9_mT8_S1C_bDpT10_ENKUlT_T0_E_clISt17integral_constantIbLb0EES1P_EEDaS1K_S1L_EUlS1K_E_NS1_11comp_targetILNS1_3genE8ELNS1_11target_archE1030ELNS1_3gpuE2ELNS1_3repE0EEENS1_30default_config_static_selectorELNS0_4arch9wavefront6targetE1EEEvSY_.has_dyn_sized_stack, 0
	.set _ZN7rocprim17ROCPRIM_400000_NS6detail17trampoline_kernelINS0_13select_configILj256ELj13ELNS0_17block_load_methodE3ELS4_3ELS4_3ELNS0_20block_scan_algorithmE0ELj4294967295EEENS1_25partition_config_selectorILNS1_17partition_subalgoE3EjNS0_10empty_typeEbEEZZNS1_14partition_implILS8_3ELb0ES6_jNS0_17counting_iteratorIjlEEPS9_SE_NS0_5tupleIJPjSE_EEENSF_IJSE_SE_EEES9_SG_JZNS1_25segmented_radix_sort_implINS0_14default_configELb1EPKfPfPKlPlN2at6native12_GLOBAL__N_18offset_tEEE10hipError_tPvRmT1_PNSt15iterator_traitsISY_E10value_typeET2_T3_PNSZ_IS14_E10value_typeET4_jRbjT5_S1A_jjP12ihipStream_tbEUljE_EEESV_SW_SX_S14_S18_S1A_T6_T7_T9_mT8_S1C_bDpT10_ENKUlT_T0_E_clISt17integral_constantIbLb0EES1P_EEDaS1K_S1L_EUlS1K_E_NS1_11comp_targetILNS1_3genE8ELNS1_11target_archE1030ELNS1_3gpuE2ELNS1_3repE0EEENS1_30default_config_static_selectorELNS0_4arch9wavefront6targetE1EEEvSY_.has_recursion, 0
	.set _ZN7rocprim17ROCPRIM_400000_NS6detail17trampoline_kernelINS0_13select_configILj256ELj13ELNS0_17block_load_methodE3ELS4_3ELS4_3ELNS0_20block_scan_algorithmE0ELj4294967295EEENS1_25partition_config_selectorILNS1_17partition_subalgoE3EjNS0_10empty_typeEbEEZZNS1_14partition_implILS8_3ELb0ES6_jNS0_17counting_iteratorIjlEEPS9_SE_NS0_5tupleIJPjSE_EEENSF_IJSE_SE_EEES9_SG_JZNS1_25segmented_radix_sort_implINS0_14default_configELb1EPKfPfPKlPlN2at6native12_GLOBAL__N_18offset_tEEE10hipError_tPvRmT1_PNSt15iterator_traitsISY_E10value_typeET2_T3_PNSZ_IS14_E10value_typeET4_jRbjT5_S1A_jjP12ihipStream_tbEUljE_EEESV_SW_SX_S14_S18_S1A_T6_T7_T9_mT8_S1C_bDpT10_ENKUlT_T0_E_clISt17integral_constantIbLb0EES1P_EEDaS1K_S1L_EUlS1K_E_NS1_11comp_targetILNS1_3genE8ELNS1_11target_archE1030ELNS1_3gpuE2ELNS1_3repE0EEENS1_30default_config_static_selectorELNS0_4arch9wavefront6targetE1EEEvSY_.has_indirect_call, 0
	.section	.AMDGPU.csdata,"",@progbits
; Kernel info:
; codeLenInByte = 0
; TotalNumSgprs: 4
; NumVgprs: 0
; ScratchSize: 0
; MemoryBound: 0
; FloatMode: 240
; IeeeMode: 1
; LDSByteSize: 0 bytes/workgroup (compile time only)
; SGPRBlocks: 0
; VGPRBlocks: 0
; NumSGPRsForWavesPerEU: 4
; NumVGPRsForWavesPerEU: 1
; Occupancy: 10
; WaveLimiterHint : 0
; COMPUTE_PGM_RSRC2:SCRATCH_EN: 0
; COMPUTE_PGM_RSRC2:USER_SGPR: 6
; COMPUTE_PGM_RSRC2:TRAP_HANDLER: 0
; COMPUTE_PGM_RSRC2:TGID_X_EN: 1
; COMPUTE_PGM_RSRC2:TGID_Y_EN: 0
; COMPUTE_PGM_RSRC2:TGID_Z_EN: 0
; COMPUTE_PGM_RSRC2:TIDIG_COMP_CNT: 0
	.section	.text._ZN7rocprim17ROCPRIM_400000_NS6detail17trampoline_kernelINS0_13select_configILj256ELj13ELNS0_17block_load_methodE3ELS4_3ELS4_3ELNS0_20block_scan_algorithmE0ELj4294967295EEENS1_25partition_config_selectorILNS1_17partition_subalgoE3EjNS0_10empty_typeEbEEZZNS1_14partition_implILS8_3ELb0ES6_jNS0_17counting_iteratorIjlEEPS9_SE_NS0_5tupleIJPjSE_EEENSF_IJSE_SE_EEES9_SG_JZNS1_25segmented_radix_sort_implINS0_14default_configELb1EPKfPfPKlPlN2at6native12_GLOBAL__N_18offset_tEEE10hipError_tPvRmT1_PNSt15iterator_traitsISY_E10value_typeET2_T3_PNSZ_IS14_E10value_typeET4_jRbjT5_S1A_jjP12ihipStream_tbEUljE_EEESV_SW_SX_S14_S18_S1A_T6_T7_T9_mT8_S1C_bDpT10_ENKUlT_T0_E_clISt17integral_constantIbLb1EES1P_EEDaS1K_S1L_EUlS1K_E_NS1_11comp_targetILNS1_3genE0ELNS1_11target_archE4294967295ELNS1_3gpuE0ELNS1_3repE0EEENS1_30default_config_static_selectorELNS0_4arch9wavefront6targetE1EEEvSY_,"axG",@progbits,_ZN7rocprim17ROCPRIM_400000_NS6detail17trampoline_kernelINS0_13select_configILj256ELj13ELNS0_17block_load_methodE3ELS4_3ELS4_3ELNS0_20block_scan_algorithmE0ELj4294967295EEENS1_25partition_config_selectorILNS1_17partition_subalgoE3EjNS0_10empty_typeEbEEZZNS1_14partition_implILS8_3ELb0ES6_jNS0_17counting_iteratorIjlEEPS9_SE_NS0_5tupleIJPjSE_EEENSF_IJSE_SE_EEES9_SG_JZNS1_25segmented_radix_sort_implINS0_14default_configELb1EPKfPfPKlPlN2at6native12_GLOBAL__N_18offset_tEEE10hipError_tPvRmT1_PNSt15iterator_traitsISY_E10value_typeET2_T3_PNSZ_IS14_E10value_typeET4_jRbjT5_S1A_jjP12ihipStream_tbEUljE_EEESV_SW_SX_S14_S18_S1A_T6_T7_T9_mT8_S1C_bDpT10_ENKUlT_T0_E_clISt17integral_constantIbLb1EES1P_EEDaS1K_S1L_EUlS1K_E_NS1_11comp_targetILNS1_3genE0ELNS1_11target_archE4294967295ELNS1_3gpuE0ELNS1_3repE0EEENS1_30default_config_static_selectorELNS0_4arch9wavefront6targetE1EEEvSY_,comdat
	.globl	_ZN7rocprim17ROCPRIM_400000_NS6detail17trampoline_kernelINS0_13select_configILj256ELj13ELNS0_17block_load_methodE3ELS4_3ELS4_3ELNS0_20block_scan_algorithmE0ELj4294967295EEENS1_25partition_config_selectorILNS1_17partition_subalgoE3EjNS0_10empty_typeEbEEZZNS1_14partition_implILS8_3ELb0ES6_jNS0_17counting_iteratorIjlEEPS9_SE_NS0_5tupleIJPjSE_EEENSF_IJSE_SE_EEES9_SG_JZNS1_25segmented_radix_sort_implINS0_14default_configELb1EPKfPfPKlPlN2at6native12_GLOBAL__N_18offset_tEEE10hipError_tPvRmT1_PNSt15iterator_traitsISY_E10value_typeET2_T3_PNSZ_IS14_E10value_typeET4_jRbjT5_S1A_jjP12ihipStream_tbEUljE_EEESV_SW_SX_S14_S18_S1A_T6_T7_T9_mT8_S1C_bDpT10_ENKUlT_T0_E_clISt17integral_constantIbLb1EES1P_EEDaS1K_S1L_EUlS1K_E_NS1_11comp_targetILNS1_3genE0ELNS1_11target_archE4294967295ELNS1_3gpuE0ELNS1_3repE0EEENS1_30default_config_static_selectorELNS0_4arch9wavefront6targetE1EEEvSY_ ; -- Begin function _ZN7rocprim17ROCPRIM_400000_NS6detail17trampoline_kernelINS0_13select_configILj256ELj13ELNS0_17block_load_methodE3ELS4_3ELS4_3ELNS0_20block_scan_algorithmE0ELj4294967295EEENS1_25partition_config_selectorILNS1_17partition_subalgoE3EjNS0_10empty_typeEbEEZZNS1_14partition_implILS8_3ELb0ES6_jNS0_17counting_iteratorIjlEEPS9_SE_NS0_5tupleIJPjSE_EEENSF_IJSE_SE_EEES9_SG_JZNS1_25segmented_radix_sort_implINS0_14default_configELb1EPKfPfPKlPlN2at6native12_GLOBAL__N_18offset_tEEE10hipError_tPvRmT1_PNSt15iterator_traitsISY_E10value_typeET2_T3_PNSZ_IS14_E10value_typeET4_jRbjT5_S1A_jjP12ihipStream_tbEUljE_EEESV_SW_SX_S14_S18_S1A_T6_T7_T9_mT8_S1C_bDpT10_ENKUlT_T0_E_clISt17integral_constantIbLb1EES1P_EEDaS1K_S1L_EUlS1K_E_NS1_11comp_targetILNS1_3genE0ELNS1_11target_archE4294967295ELNS1_3gpuE0ELNS1_3repE0EEENS1_30default_config_static_selectorELNS0_4arch9wavefront6targetE1EEEvSY_
	.p2align	8
	.type	_ZN7rocprim17ROCPRIM_400000_NS6detail17trampoline_kernelINS0_13select_configILj256ELj13ELNS0_17block_load_methodE3ELS4_3ELS4_3ELNS0_20block_scan_algorithmE0ELj4294967295EEENS1_25partition_config_selectorILNS1_17partition_subalgoE3EjNS0_10empty_typeEbEEZZNS1_14partition_implILS8_3ELb0ES6_jNS0_17counting_iteratorIjlEEPS9_SE_NS0_5tupleIJPjSE_EEENSF_IJSE_SE_EEES9_SG_JZNS1_25segmented_radix_sort_implINS0_14default_configELb1EPKfPfPKlPlN2at6native12_GLOBAL__N_18offset_tEEE10hipError_tPvRmT1_PNSt15iterator_traitsISY_E10value_typeET2_T3_PNSZ_IS14_E10value_typeET4_jRbjT5_S1A_jjP12ihipStream_tbEUljE_EEESV_SW_SX_S14_S18_S1A_T6_T7_T9_mT8_S1C_bDpT10_ENKUlT_T0_E_clISt17integral_constantIbLb1EES1P_EEDaS1K_S1L_EUlS1K_E_NS1_11comp_targetILNS1_3genE0ELNS1_11target_archE4294967295ELNS1_3gpuE0ELNS1_3repE0EEENS1_30default_config_static_selectorELNS0_4arch9wavefront6targetE1EEEvSY_,@function
_ZN7rocprim17ROCPRIM_400000_NS6detail17trampoline_kernelINS0_13select_configILj256ELj13ELNS0_17block_load_methodE3ELS4_3ELS4_3ELNS0_20block_scan_algorithmE0ELj4294967295EEENS1_25partition_config_selectorILNS1_17partition_subalgoE3EjNS0_10empty_typeEbEEZZNS1_14partition_implILS8_3ELb0ES6_jNS0_17counting_iteratorIjlEEPS9_SE_NS0_5tupleIJPjSE_EEENSF_IJSE_SE_EEES9_SG_JZNS1_25segmented_radix_sort_implINS0_14default_configELb1EPKfPfPKlPlN2at6native12_GLOBAL__N_18offset_tEEE10hipError_tPvRmT1_PNSt15iterator_traitsISY_E10value_typeET2_T3_PNSZ_IS14_E10value_typeET4_jRbjT5_S1A_jjP12ihipStream_tbEUljE_EEESV_SW_SX_S14_S18_S1A_T6_T7_T9_mT8_S1C_bDpT10_ENKUlT_T0_E_clISt17integral_constantIbLb1EES1P_EEDaS1K_S1L_EUlS1K_E_NS1_11comp_targetILNS1_3genE0ELNS1_11target_archE4294967295ELNS1_3gpuE0ELNS1_3repE0EEENS1_30default_config_static_selectorELNS0_4arch9wavefront6targetE1EEEvSY_: ; @_ZN7rocprim17ROCPRIM_400000_NS6detail17trampoline_kernelINS0_13select_configILj256ELj13ELNS0_17block_load_methodE3ELS4_3ELS4_3ELNS0_20block_scan_algorithmE0ELj4294967295EEENS1_25partition_config_selectorILNS1_17partition_subalgoE3EjNS0_10empty_typeEbEEZZNS1_14partition_implILS8_3ELb0ES6_jNS0_17counting_iteratorIjlEEPS9_SE_NS0_5tupleIJPjSE_EEENSF_IJSE_SE_EEES9_SG_JZNS1_25segmented_radix_sort_implINS0_14default_configELb1EPKfPfPKlPlN2at6native12_GLOBAL__N_18offset_tEEE10hipError_tPvRmT1_PNSt15iterator_traitsISY_E10value_typeET2_T3_PNSZ_IS14_E10value_typeET4_jRbjT5_S1A_jjP12ihipStream_tbEUljE_EEESV_SW_SX_S14_S18_S1A_T6_T7_T9_mT8_S1C_bDpT10_ENKUlT_T0_E_clISt17integral_constantIbLb1EES1P_EEDaS1K_S1L_EUlS1K_E_NS1_11comp_targetILNS1_3genE0ELNS1_11target_archE4294967295ELNS1_3gpuE0ELNS1_3repE0EEENS1_30default_config_static_selectorELNS0_4arch9wavefront6targetE1EEEvSY_
; %bb.0:
	.section	.rodata,"a",@progbits
	.p2align	6, 0x0
	.amdhsa_kernel _ZN7rocprim17ROCPRIM_400000_NS6detail17trampoline_kernelINS0_13select_configILj256ELj13ELNS0_17block_load_methodE3ELS4_3ELS4_3ELNS0_20block_scan_algorithmE0ELj4294967295EEENS1_25partition_config_selectorILNS1_17partition_subalgoE3EjNS0_10empty_typeEbEEZZNS1_14partition_implILS8_3ELb0ES6_jNS0_17counting_iteratorIjlEEPS9_SE_NS0_5tupleIJPjSE_EEENSF_IJSE_SE_EEES9_SG_JZNS1_25segmented_radix_sort_implINS0_14default_configELb1EPKfPfPKlPlN2at6native12_GLOBAL__N_18offset_tEEE10hipError_tPvRmT1_PNSt15iterator_traitsISY_E10value_typeET2_T3_PNSZ_IS14_E10value_typeET4_jRbjT5_S1A_jjP12ihipStream_tbEUljE_EEESV_SW_SX_S14_S18_S1A_T6_T7_T9_mT8_S1C_bDpT10_ENKUlT_T0_E_clISt17integral_constantIbLb1EES1P_EEDaS1K_S1L_EUlS1K_E_NS1_11comp_targetILNS1_3genE0ELNS1_11target_archE4294967295ELNS1_3gpuE0ELNS1_3repE0EEENS1_30default_config_static_selectorELNS0_4arch9wavefront6targetE1EEEvSY_
		.amdhsa_group_segment_fixed_size 0
		.amdhsa_private_segment_fixed_size 0
		.amdhsa_kernarg_size 152
		.amdhsa_user_sgpr_count 6
		.amdhsa_user_sgpr_private_segment_buffer 1
		.amdhsa_user_sgpr_dispatch_ptr 0
		.amdhsa_user_sgpr_queue_ptr 0
		.amdhsa_user_sgpr_kernarg_segment_ptr 1
		.amdhsa_user_sgpr_dispatch_id 0
		.amdhsa_user_sgpr_flat_scratch_init 0
		.amdhsa_user_sgpr_private_segment_size 0
		.amdhsa_uses_dynamic_stack 0
		.amdhsa_system_sgpr_private_segment_wavefront_offset 0
		.amdhsa_system_sgpr_workgroup_id_x 1
		.amdhsa_system_sgpr_workgroup_id_y 0
		.amdhsa_system_sgpr_workgroup_id_z 0
		.amdhsa_system_sgpr_workgroup_info 0
		.amdhsa_system_vgpr_workitem_id 0
		.amdhsa_next_free_vgpr 1
		.amdhsa_next_free_sgpr 0
		.amdhsa_reserve_vcc 0
		.amdhsa_reserve_flat_scratch 0
		.amdhsa_float_round_mode_32 0
		.amdhsa_float_round_mode_16_64 0
		.amdhsa_float_denorm_mode_32 3
		.amdhsa_float_denorm_mode_16_64 3
		.amdhsa_dx10_clamp 1
		.amdhsa_ieee_mode 1
		.amdhsa_fp16_overflow 0
		.amdhsa_exception_fp_ieee_invalid_op 0
		.amdhsa_exception_fp_denorm_src 0
		.amdhsa_exception_fp_ieee_div_zero 0
		.amdhsa_exception_fp_ieee_overflow 0
		.amdhsa_exception_fp_ieee_underflow 0
		.amdhsa_exception_fp_ieee_inexact 0
		.amdhsa_exception_int_div_zero 0
	.end_amdhsa_kernel
	.section	.text._ZN7rocprim17ROCPRIM_400000_NS6detail17trampoline_kernelINS0_13select_configILj256ELj13ELNS0_17block_load_methodE3ELS4_3ELS4_3ELNS0_20block_scan_algorithmE0ELj4294967295EEENS1_25partition_config_selectorILNS1_17partition_subalgoE3EjNS0_10empty_typeEbEEZZNS1_14partition_implILS8_3ELb0ES6_jNS0_17counting_iteratorIjlEEPS9_SE_NS0_5tupleIJPjSE_EEENSF_IJSE_SE_EEES9_SG_JZNS1_25segmented_radix_sort_implINS0_14default_configELb1EPKfPfPKlPlN2at6native12_GLOBAL__N_18offset_tEEE10hipError_tPvRmT1_PNSt15iterator_traitsISY_E10value_typeET2_T3_PNSZ_IS14_E10value_typeET4_jRbjT5_S1A_jjP12ihipStream_tbEUljE_EEESV_SW_SX_S14_S18_S1A_T6_T7_T9_mT8_S1C_bDpT10_ENKUlT_T0_E_clISt17integral_constantIbLb1EES1P_EEDaS1K_S1L_EUlS1K_E_NS1_11comp_targetILNS1_3genE0ELNS1_11target_archE4294967295ELNS1_3gpuE0ELNS1_3repE0EEENS1_30default_config_static_selectorELNS0_4arch9wavefront6targetE1EEEvSY_,"axG",@progbits,_ZN7rocprim17ROCPRIM_400000_NS6detail17trampoline_kernelINS0_13select_configILj256ELj13ELNS0_17block_load_methodE3ELS4_3ELS4_3ELNS0_20block_scan_algorithmE0ELj4294967295EEENS1_25partition_config_selectorILNS1_17partition_subalgoE3EjNS0_10empty_typeEbEEZZNS1_14partition_implILS8_3ELb0ES6_jNS0_17counting_iteratorIjlEEPS9_SE_NS0_5tupleIJPjSE_EEENSF_IJSE_SE_EEES9_SG_JZNS1_25segmented_radix_sort_implINS0_14default_configELb1EPKfPfPKlPlN2at6native12_GLOBAL__N_18offset_tEEE10hipError_tPvRmT1_PNSt15iterator_traitsISY_E10value_typeET2_T3_PNSZ_IS14_E10value_typeET4_jRbjT5_S1A_jjP12ihipStream_tbEUljE_EEESV_SW_SX_S14_S18_S1A_T6_T7_T9_mT8_S1C_bDpT10_ENKUlT_T0_E_clISt17integral_constantIbLb1EES1P_EEDaS1K_S1L_EUlS1K_E_NS1_11comp_targetILNS1_3genE0ELNS1_11target_archE4294967295ELNS1_3gpuE0ELNS1_3repE0EEENS1_30default_config_static_selectorELNS0_4arch9wavefront6targetE1EEEvSY_,comdat
.Lfunc_end1301:
	.size	_ZN7rocprim17ROCPRIM_400000_NS6detail17trampoline_kernelINS0_13select_configILj256ELj13ELNS0_17block_load_methodE3ELS4_3ELS4_3ELNS0_20block_scan_algorithmE0ELj4294967295EEENS1_25partition_config_selectorILNS1_17partition_subalgoE3EjNS0_10empty_typeEbEEZZNS1_14partition_implILS8_3ELb0ES6_jNS0_17counting_iteratorIjlEEPS9_SE_NS0_5tupleIJPjSE_EEENSF_IJSE_SE_EEES9_SG_JZNS1_25segmented_radix_sort_implINS0_14default_configELb1EPKfPfPKlPlN2at6native12_GLOBAL__N_18offset_tEEE10hipError_tPvRmT1_PNSt15iterator_traitsISY_E10value_typeET2_T3_PNSZ_IS14_E10value_typeET4_jRbjT5_S1A_jjP12ihipStream_tbEUljE_EEESV_SW_SX_S14_S18_S1A_T6_T7_T9_mT8_S1C_bDpT10_ENKUlT_T0_E_clISt17integral_constantIbLb1EES1P_EEDaS1K_S1L_EUlS1K_E_NS1_11comp_targetILNS1_3genE0ELNS1_11target_archE4294967295ELNS1_3gpuE0ELNS1_3repE0EEENS1_30default_config_static_selectorELNS0_4arch9wavefront6targetE1EEEvSY_, .Lfunc_end1301-_ZN7rocprim17ROCPRIM_400000_NS6detail17trampoline_kernelINS0_13select_configILj256ELj13ELNS0_17block_load_methodE3ELS4_3ELS4_3ELNS0_20block_scan_algorithmE0ELj4294967295EEENS1_25partition_config_selectorILNS1_17partition_subalgoE3EjNS0_10empty_typeEbEEZZNS1_14partition_implILS8_3ELb0ES6_jNS0_17counting_iteratorIjlEEPS9_SE_NS0_5tupleIJPjSE_EEENSF_IJSE_SE_EEES9_SG_JZNS1_25segmented_radix_sort_implINS0_14default_configELb1EPKfPfPKlPlN2at6native12_GLOBAL__N_18offset_tEEE10hipError_tPvRmT1_PNSt15iterator_traitsISY_E10value_typeET2_T3_PNSZ_IS14_E10value_typeET4_jRbjT5_S1A_jjP12ihipStream_tbEUljE_EEESV_SW_SX_S14_S18_S1A_T6_T7_T9_mT8_S1C_bDpT10_ENKUlT_T0_E_clISt17integral_constantIbLb1EES1P_EEDaS1K_S1L_EUlS1K_E_NS1_11comp_targetILNS1_3genE0ELNS1_11target_archE4294967295ELNS1_3gpuE0ELNS1_3repE0EEENS1_30default_config_static_selectorELNS0_4arch9wavefront6targetE1EEEvSY_
                                        ; -- End function
	.set _ZN7rocprim17ROCPRIM_400000_NS6detail17trampoline_kernelINS0_13select_configILj256ELj13ELNS0_17block_load_methodE3ELS4_3ELS4_3ELNS0_20block_scan_algorithmE0ELj4294967295EEENS1_25partition_config_selectorILNS1_17partition_subalgoE3EjNS0_10empty_typeEbEEZZNS1_14partition_implILS8_3ELb0ES6_jNS0_17counting_iteratorIjlEEPS9_SE_NS0_5tupleIJPjSE_EEENSF_IJSE_SE_EEES9_SG_JZNS1_25segmented_radix_sort_implINS0_14default_configELb1EPKfPfPKlPlN2at6native12_GLOBAL__N_18offset_tEEE10hipError_tPvRmT1_PNSt15iterator_traitsISY_E10value_typeET2_T3_PNSZ_IS14_E10value_typeET4_jRbjT5_S1A_jjP12ihipStream_tbEUljE_EEESV_SW_SX_S14_S18_S1A_T6_T7_T9_mT8_S1C_bDpT10_ENKUlT_T0_E_clISt17integral_constantIbLb1EES1P_EEDaS1K_S1L_EUlS1K_E_NS1_11comp_targetILNS1_3genE0ELNS1_11target_archE4294967295ELNS1_3gpuE0ELNS1_3repE0EEENS1_30default_config_static_selectorELNS0_4arch9wavefront6targetE1EEEvSY_.num_vgpr, 0
	.set _ZN7rocprim17ROCPRIM_400000_NS6detail17trampoline_kernelINS0_13select_configILj256ELj13ELNS0_17block_load_methodE3ELS4_3ELS4_3ELNS0_20block_scan_algorithmE0ELj4294967295EEENS1_25partition_config_selectorILNS1_17partition_subalgoE3EjNS0_10empty_typeEbEEZZNS1_14partition_implILS8_3ELb0ES6_jNS0_17counting_iteratorIjlEEPS9_SE_NS0_5tupleIJPjSE_EEENSF_IJSE_SE_EEES9_SG_JZNS1_25segmented_radix_sort_implINS0_14default_configELb1EPKfPfPKlPlN2at6native12_GLOBAL__N_18offset_tEEE10hipError_tPvRmT1_PNSt15iterator_traitsISY_E10value_typeET2_T3_PNSZ_IS14_E10value_typeET4_jRbjT5_S1A_jjP12ihipStream_tbEUljE_EEESV_SW_SX_S14_S18_S1A_T6_T7_T9_mT8_S1C_bDpT10_ENKUlT_T0_E_clISt17integral_constantIbLb1EES1P_EEDaS1K_S1L_EUlS1K_E_NS1_11comp_targetILNS1_3genE0ELNS1_11target_archE4294967295ELNS1_3gpuE0ELNS1_3repE0EEENS1_30default_config_static_selectorELNS0_4arch9wavefront6targetE1EEEvSY_.num_agpr, 0
	.set _ZN7rocprim17ROCPRIM_400000_NS6detail17trampoline_kernelINS0_13select_configILj256ELj13ELNS0_17block_load_methodE3ELS4_3ELS4_3ELNS0_20block_scan_algorithmE0ELj4294967295EEENS1_25partition_config_selectorILNS1_17partition_subalgoE3EjNS0_10empty_typeEbEEZZNS1_14partition_implILS8_3ELb0ES6_jNS0_17counting_iteratorIjlEEPS9_SE_NS0_5tupleIJPjSE_EEENSF_IJSE_SE_EEES9_SG_JZNS1_25segmented_radix_sort_implINS0_14default_configELb1EPKfPfPKlPlN2at6native12_GLOBAL__N_18offset_tEEE10hipError_tPvRmT1_PNSt15iterator_traitsISY_E10value_typeET2_T3_PNSZ_IS14_E10value_typeET4_jRbjT5_S1A_jjP12ihipStream_tbEUljE_EEESV_SW_SX_S14_S18_S1A_T6_T7_T9_mT8_S1C_bDpT10_ENKUlT_T0_E_clISt17integral_constantIbLb1EES1P_EEDaS1K_S1L_EUlS1K_E_NS1_11comp_targetILNS1_3genE0ELNS1_11target_archE4294967295ELNS1_3gpuE0ELNS1_3repE0EEENS1_30default_config_static_selectorELNS0_4arch9wavefront6targetE1EEEvSY_.numbered_sgpr, 0
	.set _ZN7rocprim17ROCPRIM_400000_NS6detail17trampoline_kernelINS0_13select_configILj256ELj13ELNS0_17block_load_methodE3ELS4_3ELS4_3ELNS0_20block_scan_algorithmE0ELj4294967295EEENS1_25partition_config_selectorILNS1_17partition_subalgoE3EjNS0_10empty_typeEbEEZZNS1_14partition_implILS8_3ELb0ES6_jNS0_17counting_iteratorIjlEEPS9_SE_NS0_5tupleIJPjSE_EEENSF_IJSE_SE_EEES9_SG_JZNS1_25segmented_radix_sort_implINS0_14default_configELb1EPKfPfPKlPlN2at6native12_GLOBAL__N_18offset_tEEE10hipError_tPvRmT1_PNSt15iterator_traitsISY_E10value_typeET2_T3_PNSZ_IS14_E10value_typeET4_jRbjT5_S1A_jjP12ihipStream_tbEUljE_EEESV_SW_SX_S14_S18_S1A_T6_T7_T9_mT8_S1C_bDpT10_ENKUlT_T0_E_clISt17integral_constantIbLb1EES1P_EEDaS1K_S1L_EUlS1K_E_NS1_11comp_targetILNS1_3genE0ELNS1_11target_archE4294967295ELNS1_3gpuE0ELNS1_3repE0EEENS1_30default_config_static_selectorELNS0_4arch9wavefront6targetE1EEEvSY_.num_named_barrier, 0
	.set _ZN7rocprim17ROCPRIM_400000_NS6detail17trampoline_kernelINS0_13select_configILj256ELj13ELNS0_17block_load_methodE3ELS4_3ELS4_3ELNS0_20block_scan_algorithmE0ELj4294967295EEENS1_25partition_config_selectorILNS1_17partition_subalgoE3EjNS0_10empty_typeEbEEZZNS1_14partition_implILS8_3ELb0ES6_jNS0_17counting_iteratorIjlEEPS9_SE_NS0_5tupleIJPjSE_EEENSF_IJSE_SE_EEES9_SG_JZNS1_25segmented_radix_sort_implINS0_14default_configELb1EPKfPfPKlPlN2at6native12_GLOBAL__N_18offset_tEEE10hipError_tPvRmT1_PNSt15iterator_traitsISY_E10value_typeET2_T3_PNSZ_IS14_E10value_typeET4_jRbjT5_S1A_jjP12ihipStream_tbEUljE_EEESV_SW_SX_S14_S18_S1A_T6_T7_T9_mT8_S1C_bDpT10_ENKUlT_T0_E_clISt17integral_constantIbLb1EES1P_EEDaS1K_S1L_EUlS1K_E_NS1_11comp_targetILNS1_3genE0ELNS1_11target_archE4294967295ELNS1_3gpuE0ELNS1_3repE0EEENS1_30default_config_static_selectorELNS0_4arch9wavefront6targetE1EEEvSY_.private_seg_size, 0
	.set _ZN7rocprim17ROCPRIM_400000_NS6detail17trampoline_kernelINS0_13select_configILj256ELj13ELNS0_17block_load_methodE3ELS4_3ELS4_3ELNS0_20block_scan_algorithmE0ELj4294967295EEENS1_25partition_config_selectorILNS1_17partition_subalgoE3EjNS0_10empty_typeEbEEZZNS1_14partition_implILS8_3ELb0ES6_jNS0_17counting_iteratorIjlEEPS9_SE_NS0_5tupleIJPjSE_EEENSF_IJSE_SE_EEES9_SG_JZNS1_25segmented_radix_sort_implINS0_14default_configELb1EPKfPfPKlPlN2at6native12_GLOBAL__N_18offset_tEEE10hipError_tPvRmT1_PNSt15iterator_traitsISY_E10value_typeET2_T3_PNSZ_IS14_E10value_typeET4_jRbjT5_S1A_jjP12ihipStream_tbEUljE_EEESV_SW_SX_S14_S18_S1A_T6_T7_T9_mT8_S1C_bDpT10_ENKUlT_T0_E_clISt17integral_constantIbLb1EES1P_EEDaS1K_S1L_EUlS1K_E_NS1_11comp_targetILNS1_3genE0ELNS1_11target_archE4294967295ELNS1_3gpuE0ELNS1_3repE0EEENS1_30default_config_static_selectorELNS0_4arch9wavefront6targetE1EEEvSY_.uses_vcc, 0
	.set _ZN7rocprim17ROCPRIM_400000_NS6detail17trampoline_kernelINS0_13select_configILj256ELj13ELNS0_17block_load_methodE3ELS4_3ELS4_3ELNS0_20block_scan_algorithmE0ELj4294967295EEENS1_25partition_config_selectorILNS1_17partition_subalgoE3EjNS0_10empty_typeEbEEZZNS1_14partition_implILS8_3ELb0ES6_jNS0_17counting_iteratorIjlEEPS9_SE_NS0_5tupleIJPjSE_EEENSF_IJSE_SE_EEES9_SG_JZNS1_25segmented_radix_sort_implINS0_14default_configELb1EPKfPfPKlPlN2at6native12_GLOBAL__N_18offset_tEEE10hipError_tPvRmT1_PNSt15iterator_traitsISY_E10value_typeET2_T3_PNSZ_IS14_E10value_typeET4_jRbjT5_S1A_jjP12ihipStream_tbEUljE_EEESV_SW_SX_S14_S18_S1A_T6_T7_T9_mT8_S1C_bDpT10_ENKUlT_T0_E_clISt17integral_constantIbLb1EES1P_EEDaS1K_S1L_EUlS1K_E_NS1_11comp_targetILNS1_3genE0ELNS1_11target_archE4294967295ELNS1_3gpuE0ELNS1_3repE0EEENS1_30default_config_static_selectorELNS0_4arch9wavefront6targetE1EEEvSY_.uses_flat_scratch, 0
	.set _ZN7rocprim17ROCPRIM_400000_NS6detail17trampoline_kernelINS0_13select_configILj256ELj13ELNS0_17block_load_methodE3ELS4_3ELS4_3ELNS0_20block_scan_algorithmE0ELj4294967295EEENS1_25partition_config_selectorILNS1_17partition_subalgoE3EjNS0_10empty_typeEbEEZZNS1_14partition_implILS8_3ELb0ES6_jNS0_17counting_iteratorIjlEEPS9_SE_NS0_5tupleIJPjSE_EEENSF_IJSE_SE_EEES9_SG_JZNS1_25segmented_radix_sort_implINS0_14default_configELb1EPKfPfPKlPlN2at6native12_GLOBAL__N_18offset_tEEE10hipError_tPvRmT1_PNSt15iterator_traitsISY_E10value_typeET2_T3_PNSZ_IS14_E10value_typeET4_jRbjT5_S1A_jjP12ihipStream_tbEUljE_EEESV_SW_SX_S14_S18_S1A_T6_T7_T9_mT8_S1C_bDpT10_ENKUlT_T0_E_clISt17integral_constantIbLb1EES1P_EEDaS1K_S1L_EUlS1K_E_NS1_11comp_targetILNS1_3genE0ELNS1_11target_archE4294967295ELNS1_3gpuE0ELNS1_3repE0EEENS1_30default_config_static_selectorELNS0_4arch9wavefront6targetE1EEEvSY_.has_dyn_sized_stack, 0
	.set _ZN7rocprim17ROCPRIM_400000_NS6detail17trampoline_kernelINS0_13select_configILj256ELj13ELNS0_17block_load_methodE3ELS4_3ELS4_3ELNS0_20block_scan_algorithmE0ELj4294967295EEENS1_25partition_config_selectorILNS1_17partition_subalgoE3EjNS0_10empty_typeEbEEZZNS1_14partition_implILS8_3ELb0ES6_jNS0_17counting_iteratorIjlEEPS9_SE_NS0_5tupleIJPjSE_EEENSF_IJSE_SE_EEES9_SG_JZNS1_25segmented_radix_sort_implINS0_14default_configELb1EPKfPfPKlPlN2at6native12_GLOBAL__N_18offset_tEEE10hipError_tPvRmT1_PNSt15iterator_traitsISY_E10value_typeET2_T3_PNSZ_IS14_E10value_typeET4_jRbjT5_S1A_jjP12ihipStream_tbEUljE_EEESV_SW_SX_S14_S18_S1A_T6_T7_T9_mT8_S1C_bDpT10_ENKUlT_T0_E_clISt17integral_constantIbLb1EES1P_EEDaS1K_S1L_EUlS1K_E_NS1_11comp_targetILNS1_3genE0ELNS1_11target_archE4294967295ELNS1_3gpuE0ELNS1_3repE0EEENS1_30default_config_static_selectorELNS0_4arch9wavefront6targetE1EEEvSY_.has_recursion, 0
	.set _ZN7rocprim17ROCPRIM_400000_NS6detail17trampoline_kernelINS0_13select_configILj256ELj13ELNS0_17block_load_methodE3ELS4_3ELS4_3ELNS0_20block_scan_algorithmE0ELj4294967295EEENS1_25partition_config_selectorILNS1_17partition_subalgoE3EjNS0_10empty_typeEbEEZZNS1_14partition_implILS8_3ELb0ES6_jNS0_17counting_iteratorIjlEEPS9_SE_NS0_5tupleIJPjSE_EEENSF_IJSE_SE_EEES9_SG_JZNS1_25segmented_radix_sort_implINS0_14default_configELb1EPKfPfPKlPlN2at6native12_GLOBAL__N_18offset_tEEE10hipError_tPvRmT1_PNSt15iterator_traitsISY_E10value_typeET2_T3_PNSZ_IS14_E10value_typeET4_jRbjT5_S1A_jjP12ihipStream_tbEUljE_EEESV_SW_SX_S14_S18_S1A_T6_T7_T9_mT8_S1C_bDpT10_ENKUlT_T0_E_clISt17integral_constantIbLb1EES1P_EEDaS1K_S1L_EUlS1K_E_NS1_11comp_targetILNS1_3genE0ELNS1_11target_archE4294967295ELNS1_3gpuE0ELNS1_3repE0EEENS1_30default_config_static_selectorELNS0_4arch9wavefront6targetE1EEEvSY_.has_indirect_call, 0
	.section	.AMDGPU.csdata,"",@progbits
; Kernel info:
; codeLenInByte = 0
; TotalNumSgprs: 4
; NumVgprs: 0
; ScratchSize: 0
; MemoryBound: 0
; FloatMode: 240
; IeeeMode: 1
; LDSByteSize: 0 bytes/workgroup (compile time only)
; SGPRBlocks: 0
; VGPRBlocks: 0
; NumSGPRsForWavesPerEU: 4
; NumVGPRsForWavesPerEU: 1
; Occupancy: 10
; WaveLimiterHint : 0
; COMPUTE_PGM_RSRC2:SCRATCH_EN: 0
; COMPUTE_PGM_RSRC2:USER_SGPR: 6
; COMPUTE_PGM_RSRC2:TRAP_HANDLER: 0
; COMPUTE_PGM_RSRC2:TGID_X_EN: 1
; COMPUTE_PGM_RSRC2:TGID_Y_EN: 0
; COMPUTE_PGM_RSRC2:TGID_Z_EN: 0
; COMPUTE_PGM_RSRC2:TIDIG_COMP_CNT: 0
	.section	.text._ZN7rocprim17ROCPRIM_400000_NS6detail17trampoline_kernelINS0_13select_configILj256ELj13ELNS0_17block_load_methodE3ELS4_3ELS4_3ELNS0_20block_scan_algorithmE0ELj4294967295EEENS1_25partition_config_selectorILNS1_17partition_subalgoE3EjNS0_10empty_typeEbEEZZNS1_14partition_implILS8_3ELb0ES6_jNS0_17counting_iteratorIjlEEPS9_SE_NS0_5tupleIJPjSE_EEENSF_IJSE_SE_EEES9_SG_JZNS1_25segmented_radix_sort_implINS0_14default_configELb1EPKfPfPKlPlN2at6native12_GLOBAL__N_18offset_tEEE10hipError_tPvRmT1_PNSt15iterator_traitsISY_E10value_typeET2_T3_PNSZ_IS14_E10value_typeET4_jRbjT5_S1A_jjP12ihipStream_tbEUljE_EEESV_SW_SX_S14_S18_S1A_T6_T7_T9_mT8_S1C_bDpT10_ENKUlT_T0_E_clISt17integral_constantIbLb1EES1P_EEDaS1K_S1L_EUlS1K_E_NS1_11comp_targetILNS1_3genE5ELNS1_11target_archE942ELNS1_3gpuE9ELNS1_3repE0EEENS1_30default_config_static_selectorELNS0_4arch9wavefront6targetE1EEEvSY_,"axG",@progbits,_ZN7rocprim17ROCPRIM_400000_NS6detail17trampoline_kernelINS0_13select_configILj256ELj13ELNS0_17block_load_methodE3ELS4_3ELS4_3ELNS0_20block_scan_algorithmE0ELj4294967295EEENS1_25partition_config_selectorILNS1_17partition_subalgoE3EjNS0_10empty_typeEbEEZZNS1_14partition_implILS8_3ELb0ES6_jNS0_17counting_iteratorIjlEEPS9_SE_NS0_5tupleIJPjSE_EEENSF_IJSE_SE_EEES9_SG_JZNS1_25segmented_radix_sort_implINS0_14default_configELb1EPKfPfPKlPlN2at6native12_GLOBAL__N_18offset_tEEE10hipError_tPvRmT1_PNSt15iterator_traitsISY_E10value_typeET2_T3_PNSZ_IS14_E10value_typeET4_jRbjT5_S1A_jjP12ihipStream_tbEUljE_EEESV_SW_SX_S14_S18_S1A_T6_T7_T9_mT8_S1C_bDpT10_ENKUlT_T0_E_clISt17integral_constantIbLb1EES1P_EEDaS1K_S1L_EUlS1K_E_NS1_11comp_targetILNS1_3genE5ELNS1_11target_archE942ELNS1_3gpuE9ELNS1_3repE0EEENS1_30default_config_static_selectorELNS0_4arch9wavefront6targetE1EEEvSY_,comdat
	.globl	_ZN7rocprim17ROCPRIM_400000_NS6detail17trampoline_kernelINS0_13select_configILj256ELj13ELNS0_17block_load_methodE3ELS4_3ELS4_3ELNS0_20block_scan_algorithmE0ELj4294967295EEENS1_25partition_config_selectorILNS1_17partition_subalgoE3EjNS0_10empty_typeEbEEZZNS1_14partition_implILS8_3ELb0ES6_jNS0_17counting_iteratorIjlEEPS9_SE_NS0_5tupleIJPjSE_EEENSF_IJSE_SE_EEES9_SG_JZNS1_25segmented_radix_sort_implINS0_14default_configELb1EPKfPfPKlPlN2at6native12_GLOBAL__N_18offset_tEEE10hipError_tPvRmT1_PNSt15iterator_traitsISY_E10value_typeET2_T3_PNSZ_IS14_E10value_typeET4_jRbjT5_S1A_jjP12ihipStream_tbEUljE_EEESV_SW_SX_S14_S18_S1A_T6_T7_T9_mT8_S1C_bDpT10_ENKUlT_T0_E_clISt17integral_constantIbLb1EES1P_EEDaS1K_S1L_EUlS1K_E_NS1_11comp_targetILNS1_3genE5ELNS1_11target_archE942ELNS1_3gpuE9ELNS1_3repE0EEENS1_30default_config_static_selectorELNS0_4arch9wavefront6targetE1EEEvSY_ ; -- Begin function _ZN7rocprim17ROCPRIM_400000_NS6detail17trampoline_kernelINS0_13select_configILj256ELj13ELNS0_17block_load_methodE3ELS4_3ELS4_3ELNS0_20block_scan_algorithmE0ELj4294967295EEENS1_25partition_config_selectorILNS1_17partition_subalgoE3EjNS0_10empty_typeEbEEZZNS1_14partition_implILS8_3ELb0ES6_jNS0_17counting_iteratorIjlEEPS9_SE_NS0_5tupleIJPjSE_EEENSF_IJSE_SE_EEES9_SG_JZNS1_25segmented_radix_sort_implINS0_14default_configELb1EPKfPfPKlPlN2at6native12_GLOBAL__N_18offset_tEEE10hipError_tPvRmT1_PNSt15iterator_traitsISY_E10value_typeET2_T3_PNSZ_IS14_E10value_typeET4_jRbjT5_S1A_jjP12ihipStream_tbEUljE_EEESV_SW_SX_S14_S18_S1A_T6_T7_T9_mT8_S1C_bDpT10_ENKUlT_T0_E_clISt17integral_constantIbLb1EES1P_EEDaS1K_S1L_EUlS1K_E_NS1_11comp_targetILNS1_3genE5ELNS1_11target_archE942ELNS1_3gpuE9ELNS1_3repE0EEENS1_30default_config_static_selectorELNS0_4arch9wavefront6targetE1EEEvSY_
	.p2align	8
	.type	_ZN7rocprim17ROCPRIM_400000_NS6detail17trampoline_kernelINS0_13select_configILj256ELj13ELNS0_17block_load_methodE3ELS4_3ELS4_3ELNS0_20block_scan_algorithmE0ELj4294967295EEENS1_25partition_config_selectorILNS1_17partition_subalgoE3EjNS0_10empty_typeEbEEZZNS1_14partition_implILS8_3ELb0ES6_jNS0_17counting_iteratorIjlEEPS9_SE_NS0_5tupleIJPjSE_EEENSF_IJSE_SE_EEES9_SG_JZNS1_25segmented_radix_sort_implINS0_14default_configELb1EPKfPfPKlPlN2at6native12_GLOBAL__N_18offset_tEEE10hipError_tPvRmT1_PNSt15iterator_traitsISY_E10value_typeET2_T3_PNSZ_IS14_E10value_typeET4_jRbjT5_S1A_jjP12ihipStream_tbEUljE_EEESV_SW_SX_S14_S18_S1A_T6_T7_T9_mT8_S1C_bDpT10_ENKUlT_T0_E_clISt17integral_constantIbLb1EES1P_EEDaS1K_S1L_EUlS1K_E_NS1_11comp_targetILNS1_3genE5ELNS1_11target_archE942ELNS1_3gpuE9ELNS1_3repE0EEENS1_30default_config_static_selectorELNS0_4arch9wavefront6targetE1EEEvSY_,@function
_ZN7rocprim17ROCPRIM_400000_NS6detail17trampoline_kernelINS0_13select_configILj256ELj13ELNS0_17block_load_methodE3ELS4_3ELS4_3ELNS0_20block_scan_algorithmE0ELj4294967295EEENS1_25partition_config_selectorILNS1_17partition_subalgoE3EjNS0_10empty_typeEbEEZZNS1_14partition_implILS8_3ELb0ES6_jNS0_17counting_iteratorIjlEEPS9_SE_NS0_5tupleIJPjSE_EEENSF_IJSE_SE_EEES9_SG_JZNS1_25segmented_radix_sort_implINS0_14default_configELb1EPKfPfPKlPlN2at6native12_GLOBAL__N_18offset_tEEE10hipError_tPvRmT1_PNSt15iterator_traitsISY_E10value_typeET2_T3_PNSZ_IS14_E10value_typeET4_jRbjT5_S1A_jjP12ihipStream_tbEUljE_EEESV_SW_SX_S14_S18_S1A_T6_T7_T9_mT8_S1C_bDpT10_ENKUlT_T0_E_clISt17integral_constantIbLb1EES1P_EEDaS1K_S1L_EUlS1K_E_NS1_11comp_targetILNS1_3genE5ELNS1_11target_archE942ELNS1_3gpuE9ELNS1_3repE0EEENS1_30default_config_static_selectorELNS0_4arch9wavefront6targetE1EEEvSY_: ; @_ZN7rocprim17ROCPRIM_400000_NS6detail17trampoline_kernelINS0_13select_configILj256ELj13ELNS0_17block_load_methodE3ELS4_3ELS4_3ELNS0_20block_scan_algorithmE0ELj4294967295EEENS1_25partition_config_selectorILNS1_17partition_subalgoE3EjNS0_10empty_typeEbEEZZNS1_14partition_implILS8_3ELb0ES6_jNS0_17counting_iteratorIjlEEPS9_SE_NS0_5tupleIJPjSE_EEENSF_IJSE_SE_EEES9_SG_JZNS1_25segmented_radix_sort_implINS0_14default_configELb1EPKfPfPKlPlN2at6native12_GLOBAL__N_18offset_tEEE10hipError_tPvRmT1_PNSt15iterator_traitsISY_E10value_typeET2_T3_PNSZ_IS14_E10value_typeET4_jRbjT5_S1A_jjP12ihipStream_tbEUljE_EEESV_SW_SX_S14_S18_S1A_T6_T7_T9_mT8_S1C_bDpT10_ENKUlT_T0_E_clISt17integral_constantIbLb1EES1P_EEDaS1K_S1L_EUlS1K_E_NS1_11comp_targetILNS1_3genE5ELNS1_11target_archE942ELNS1_3gpuE9ELNS1_3repE0EEENS1_30default_config_static_selectorELNS0_4arch9wavefront6targetE1EEEvSY_
; %bb.0:
	.section	.rodata,"a",@progbits
	.p2align	6, 0x0
	.amdhsa_kernel _ZN7rocprim17ROCPRIM_400000_NS6detail17trampoline_kernelINS0_13select_configILj256ELj13ELNS0_17block_load_methodE3ELS4_3ELS4_3ELNS0_20block_scan_algorithmE0ELj4294967295EEENS1_25partition_config_selectorILNS1_17partition_subalgoE3EjNS0_10empty_typeEbEEZZNS1_14partition_implILS8_3ELb0ES6_jNS0_17counting_iteratorIjlEEPS9_SE_NS0_5tupleIJPjSE_EEENSF_IJSE_SE_EEES9_SG_JZNS1_25segmented_radix_sort_implINS0_14default_configELb1EPKfPfPKlPlN2at6native12_GLOBAL__N_18offset_tEEE10hipError_tPvRmT1_PNSt15iterator_traitsISY_E10value_typeET2_T3_PNSZ_IS14_E10value_typeET4_jRbjT5_S1A_jjP12ihipStream_tbEUljE_EEESV_SW_SX_S14_S18_S1A_T6_T7_T9_mT8_S1C_bDpT10_ENKUlT_T0_E_clISt17integral_constantIbLb1EES1P_EEDaS1K_S1L_EUlS1K_E_NS1_11comp_targetILNS1_3genE5ELNS1_11target_archE942ELNS1_3gpuE9ELNS1_3repE0EEENS1_30default_config_static_selectorELNS0_4arch9wavefront6targetE1EEEvSY_
		.amdhsa_group_segment_fixed_size 0
		.amdhsa_private_segment_fixed_size 0
		.amdhsa_kernarg_size 152
		.amdhsa_user_sgpr_count 6
		.amdhsa_user_sgpr_private_segment_buffer 1
		.amdhsa_user_sgpr_dispatch_ptr 0
		.amdhsa_user_sgpr_queue_ptr 0
		.amdhsa_user_sgpr_kernarg_segment_ptr 1
		.amdhsa_user_sgpr_dispatch_id 0
		.amdhsa_user_sgpr_flat_scratch_init 0
		.amdhsa_user_sgpr_private_segment_size 0
		.amdhsa_uses_dynamic_stack 0
		.amdhsa_system_sgpr_private_segment_wavefront_offset 0
		.amdhsa_system_sgpr_workgroup_id_x 1
		.amdhsa_system_sgpr_workgroup_id_y 0
		.amdhsa_system_sgpr_workgroup_id_z 0
		.amdhsa_system_sgpr_workgroup_info 0
		.amdhsa_system_vgpr_workitem_id 0
		.amdhsa_next_free_vgpr 1
		.amdhsa_next_free_sgpr 0
		.amdhsa_reserve_vcc 0
		.amdhsa_reserve_flat_scratch 0
		.amdhsa_float_round_mode_32 0
		.amdhsa_float_round_mode_16_64 0
		.amdhsa_float_denorm_mode_32 3
		.amdhsa_float_denorm_mode_16_64 3
		.amdhsa_dx10_clamp 1
		.amdhsa_ieee_mode 1
		.amdhsa_fp16_overflow 0
		.amdhsa_exception_fp_ieee_invalid_op 0
		.amdhsa_exception_fp_denorm_src 0
		.amdhsa_exception_fp_ieee_div_zero 0
		.amdhsa_exception_fp_ieee_overflow 0
		.amdhsa_exception_fp_ieee_underflow 0
		.amdhsa_exception_fp_ieee_inexact 0
		.amdhsa_exception_int_div_zero 0
	.end_amdhsa_kernel
	.section	.text._ZN7rocprim17ROCPRIM_400000_NS6detail17trampoline_kernelINS0_13select_configILj256ELj13ELNS0_17block_load_methodE3ELS4_3ELS4_3ELNS0_20block_scan_algorithmE0ELj4294967295EEENS1_25partition_config_selectorILNS1_17partition_subalgoE3EjNS0_10empty_typeEbEEZZNS1_14partition_implILS8_3ELb0ES6_jNS0_17counting_iteratorIjlEEPS9_SE_NS0_5tupleIJPjSE_EEENSF_IJSE_SE_EEES9_SG_JZNS1_25segmented_radix_sort_implINS0_14default_configELb1EPKfPfPKlPlN2at6native12_GLOBAL__N_18offset_tEEE10hipError_tPvRmT1_PNSt15iterator_traitsISY_E10value_typeET2_T3_PNSZ_IS14_E10value_typeET4_jRbjT5_S1A_jjP12ihipStream_tbEUljE_EEESV_SW_SX_S14_S18_S1A_T6_T7_T9_mT8_S1C_bDpT10_ENKUlT_T0_E_clISt17integral_constantIbLb1EES1P_EEDaS1K_S1L_EUlS1K_E_NS1_11comp_targetILNS1_3genE5ELNS1_11target_archE942ELNS1_3gpuE9ELNS1_3repE0EEENS1_30default_config_static_selectorELNS0_4arch9wavefront6targetE1EEEvSY_,"axG",@progbits,_ZN7rocprim17ROCPRIM_400000_NS6detail17trampoline_kernelINS0_13select_configILj256ELj13ELNS0_17block_load_methodE3ELS4_3ELS4_3ELNS0_20block_scan_algorithmE0ELj4294967295EEENS1_25partition_config_selectorILNS1_17partition_subalgoE3EjNS0_10empty_typeEbEEZZNS1_14partition_implILS8_3ELb0ES6_jNS0_17counting_iteratorIjlEEPS9_SE_NS0_5tupleIJPjSE_EEENSF_IJSE_SE_EEES9_SG_JZNS1_25segmented_radix_sort_implINS0_14default_configELb1EPKfPfPKlPlN2at6native12_GLOBAL__N_18offset_tEEE10hipError_tPvRmT1_PNSt15iterator_traitsISY_E10value_typeET2_T3_PNSZ_IS14_E10value_typeET4_jRbjT5_S1A_jjP12ihipStream_tbEUljE_EEESV_SW_SX_S14_S18_S1A_T6_T7_T9_mT8_S1C_bDpT10_ENKUlT_T0_E_clISt17integral_constantIbLb1EES1P_EEDaS1K_S1L_EUlS1K_E_NS1_11comp_targetILNS1_3genE5ELNS1_11target_archE942ELNS1_3gpuE9ELNS1_3repE0EEENS1_30default_config_static_selectorELNS0_4arch9wavefront6targetE1EEEvSY_,comdat
.Lfunc_end1302:
	.size	_ZN7rocprim17ROCPRIM_400000_NS6detail17trampoline_kernelINS0_13select_configILj256ELj13ELNS0_17block_load_methodE3ELS4_3ELS4_3ELNS0_20block_scan_algorithmE0ELj4294967295EEENS1_25partition_config_selectorILNS1_17partition_subalgoE3EjNS0_10empty_typeEbEEZZNS1_14partition_implILS8_3ELb0ES6_jNS0_17counting_iteratorIjlEEPS9_SE_NS0_5tupleIJPjSE_EEENSF_IJSE_SE_EEES9_SG_JZNS1_25segmented_radix_sort_implINS0_14default_configELb1EPKfPfPKlPlN2at6native12_GLOBAL__N_18offset_tEEE10hipError_tPvRmT1_PNSt15iterator_traitsISY_E10value_typeET2_T3_PNSZ_IS14_E10value_typeET4_jRbjT5_S1A_jjP12ihipStream_tbEUljE_EEESV_SW_SX_S14_S18_S1A_T6_T7_T9_mT8_S1C_bDpT10_ENKUlT_T0_E_clISt17integral_constantIbLb1EES1P_EEDaS1K_S1L_EUlS1K_E_NS1_11comp_targetILNS1_3genE5ELNS1_11target_archE942ELNS1_3gpuE9ELNS1_3repE0EEENS1_30default_config_static_selectorELNS0_4arch9wavefront6targetE1EEEvSY_, .Lfunc_end1302-_ZN7rocprim17ROCPRIM_400000_NS6detail17trampoline_kernelINS0_13select_configILj256ELj13ELNS0_17block_load_methodE3ELS4_3ELS4_3ELNS0_20block_scan_algorithmE0ELj4294967295EEENS1_25partition_config_selectorILNS1_17partition_subalgoE3EjNS0_10empty_typeEbEEZZNS1_14partition_implILS8_3ELb0ES6_jNS0_17counting_iteratorIjlEEPS9_SE_NS0_5tupleIJPjSE_EEENSF_IJSE_SE_EEES9_SG_JZNS1_25segmented_radix_sort_implINS0_14default_configELb1EPKfPfPKlPlN2at6native12_GLOBAL__N_18offset_tEEE10hipError_tPvRmT1_PNSt15iterator_traitsISY_E10value_typeET2_T3_PNSZ_IS14_E10value_typeET4_jRbjT5_S1A_jjP12ihipStream_tbEUljE_EEESV_SW_SX_S14_S18_S1A_T6_T7_T9_mT8_S1C_bDpT10_ENKUlT_T0_E_clISt17integral_constantIbLb1EES1P_EEDaS1K_S1L_EUlS1K_E_NS1_11comp_targetILNS1_3genE5ELNS1_11target_archE942ELNS1_3gpuE9ELNS1_3repE0EEENS1_30default_config_static_selectorELNS0_4arch9wavefront6targetE1EEEvSY_
                                        ; -- End function
	.set _ZN7rocprim17ROCPRIM_400000_NS6detail17trampoline_kernelINS0_13select_configILj256ELj13ELNS0_17block_load_methodE3ELS4_3ELS4_3ELNS0_20block_scan_algorithmE0ELj4294967295EEENS1_25partition_config_selectorILNS1_17partition_subalgoE3EjNS0_10empty_typeEbEEZZNS1_14partition_implILS8_3ELb0ES6_jNS0_17counting_iteratorIjlEEPS9_SE_NS0_5tupleIJPjSE_EEENSF_IJSE_SE_EEES9_SG_JZNS1_25segmented_radix_sort_implINS0_14default_configELb1EPKfPfPKlPlN2at6native12_GLOBAL__N_18offset_tEEE10hipError_tPvRmT1_PNSt15iterator_traitsISY_E10value_typeET2_T3_PNSZ_IS14_E10value_typeET4_jRbjT5_S1A_jjP12ihipStream_tbEUljE_EEESV_SW_SX_S14_S18_S1A_T6_T7_T9_mT8_S1C_bDpT10_ENKUlT_T0_E_clISt17integral_constantIbLb1EES1P_EEDaS1K_S1L_EUlS1K_E_NS1_11comp_targetILNS1_3genE5ELNS1_11target_archE942ELNS1_3gpuE9ELNS1_3repE0EEENS1_30default_config_static_selectorELNS0_4arch9wavefront6targetE1EEEvSY_.num_vgpr, 0
	.set _ZN7rocprim17ROCPRIM_400000_NS6detail17trampoline_kernelINS0_13select_configILj256ELj13ELNS0_17block_load_methodE3ELS4_3ELS4_3ELNS0_20block_scan_algorithmE0ELj4294967295EEENS1_25partition_config_selectorILNS1_17partition_subalgoE3EjNS0_10empty_typeEbEEZZNS1_14partition_implILS8_3ELb0ES6_jNS0_17counting_iteratorIjlEEPS9_SE_NS0_5tupleIJPjSE_EEENSF_IJSE_SE_EEES9_SG_JZNS1_25segmented_radix_sort_implINS0_14default_configELb1EPKfPfPKlPlN2at6native12_GLOBAL__N_18offset_tEEE10hipError_tPvRmT1_PNSt15iterator_traitsISY_E10value_typeET2_T3_PNSZ_IS14_E10value_typeET4_jRbjT5_S1A_jjP12ihipStream_tbEUljE_EEESV_SW_SX_S14_S18_S1A_T6_T7_T9_mT8_S1C_bDpT10_ENKUlT_T0_E_clISt17integral_constantIbLb1EES1P_EEDaS1K_S1L_EUlS1K_E_NS1_11comp_targetILNS1_3genE5ELNS1_11target_archE942ELNS1_3gpuE9ELNS1_3repE0EEENS1_30default_config_static_selectorELNS0_4arch9wavefront6targetE1EEEvSY_.num_agpr, 0
	.set _ZN7rocprim17ROCPRIM_400000_NS6detail17trampoline_kernelINS0_13select_configILj256ELj13ELNS0_17block_load_methodE3ELS4_3ELS4_3ELNS0_20block_scan_algorithmE0ELj4294967295EEENS1_25partition_config_selectorILNS1_17partition_subalgoE3EjNS0_10empty_typeEbEEZZNS1_14partition_implILS8_3ELb0ES6_jNS0_17counting_iteratorIjlEEPS9_SE_NS0_5tupleIJPjSE_EEENSF_IJSE_SE_EEES9_SG_JZNS1_25segmented_radix_sort_implINS0_14default_configELb1EPKfPfPKlPlN2at6native12_GLOBAL__N_18offset_tEEE10hipError_tPvRmT1_PNSt15iterator_traitsISY_E10value_typeET2_T3_PNSZ_IS14_E10value_typeET4_jRbjT5_S1A_jjP12ihipStream_tbEUljE_EEESV_SW_SX_S14_S18_S1A_T6_T7_T9_mT8_S1C_bDpT10_ENKUlT_T0_E_clISt17integral_constantIbLb1EES1P_EEDaS1K_S1L_EUlS1K_E_NS1_11comp_targetILNS1_3genE5ELNS1_11target_archE942ELNS1_3gpuE9ELNS1_3repE0EEENS1_30default_config_static_selectorELNS0_4arch9wavefront6targetE1EEEvSY_.numbered_sgpr, 0
	.set _ZN7rocprim17ROCPRIM_400000_NS6detail17trampoline_kernelINS0_13select_configILj256ELj13ELNS0_17block_load_methodE3ELS4_3ELS4_3ELNS0_20block_scan_algorithmE0ELj4294967295EEENS1_25partition_config_selectorILNS1_17partition_subalgoE3EjNS0_10empty_typeEbEEZZNS1_14partition_implILS8_3ELb0ES6_jNS0_17counting_iteratorIjlEEPS9_SE_NS0_5tupleIJPjSE_EEENSF_IJSE_SE_EEES9_SG_JZNS1_25segmented_radix_sort_implINS0_14default_configELb1EPKfPfPKlPlN2at6native12_GLOBAL__N_18offset_tEEE10hipError_tPvRmT1_PNSt15iterator_traitsISY_E10value_typeET2_T3_PNSZ_IS14_E10value_typeET4_jRbjT5_S1A_jjP12ihipStream_tbEUljE_EEESV_SW_SX_S14_S18_S1A_T6_T7_T9_mT8_S1C_bDpT10_ENKUlT_T0_E_clISt17integral_constantIbLb1EES1P_EEDaS1K_S1L_EUlS1K_E_NS1_11comp_targetILNS1_3genE5ELNS1_11target_archE942ELNS1_3gpuE9ELNS1_3repE0EEENS1_30default_config_static_selectorELNS0_4arch9wavefront6targetE1EEEvSY_.num_named_barrier, 0
	.set _ZN7rocprim17ROCPRIM_400000_NS6detail17trampoline_kernelINS0_13select_configILj256ELj13ELNS0_17block_load_methodE3ELS4_3ELS4_3ELNS0_20block_scan_algorithmE0ELj4294967295EEENS1_25partition_config_selectorILNS1_17partition_subalgoE3EjNS0_10empty_typeEbEEZZNS1_14partition_implILS8_3ELb0ES6_jNS0_17counting_iteratorIjlEEPS9_SE_NS0_5tupleIJPjSE_EEENSF_IJSE_SE_EEES9_SG_JZNS1_25segmented_radix_sort_implINS0_14default_configELb1EPKfPfPKlPlN2at6native12_GLOBAL__N_18offset_tEEE10hipError_tPvRmT1_PNSt15iterator_traitsISY_E10value_typeET2_T3_PNSZ_IS14_E10value_typeET4_jRbjT5_S1A_jjP12ihipStream_tbEUljE_EEESV_SW_SX_S14_S18_S1A_T6_T7_T9_mT8_S1C_bDpT10_ENKUlT_T0_E_clISt17integral_constantIbLb1EES1P_EEDaS1K_S1L_EUlS1K_E_NS1_11comp_targetILNS1_3genE5ELNS1_11target_archE942ELNS1_3gpuE9ELNS1_3repE0EEENS1_30default_config_static_selectorELNS0_4arch9wavefront6targetE1EEEvSY_.private_seg_size, 0
	.set _ZN7rocprim17ROCPRIM_400000_NS6detail17trampoline_kernelINS0_13select_configILj256ELj13ELNS0_17block_load_methodE3ELS4_3ELS4_3ELNS0_20block_scan_algorithmE0ELj4294967295EEENS1_25partition_config_selectorILNS1_17partition_subalgoE3EjNS0_10empty_typeEbEEZZNS1_14partition_implILS8_3ELb0ES6_jNS0_17counting_iteratorIjlEEPS9_SE_NS0_5tupleIJPjSE_EEENSF_IJSE_SE_EEES9_SG_JZNS1_25segmented_radix_sort_implINS0_14default_configELb1EPKfPfPKlPlN2at6native12_GLOBAL__N_18offset_tEEE10hipError_tPvRmT1_PNSt15iterator_traitsISY_E10value_typeET2_T3_PNSZ_IS14_E10value_typeET4_jRbjT5_S1A_jjP12ihipStream_tbEUljE_EEESV_SW_SX_S14_S18_S1A_T6_T7_T9_mT8_S1C_bDpT10_ENKUlT_T0_E_clISt17integral_constantIbLb1EES1P_EEDaS1K_S1L_EUlS1K_E_NS1_11comp_targetILNS1_3genE5ELNS1_11target_archE942ELNS1_3gpuE9ELNS1_3repE0EEENS1_30default_config_static_selectorELNS0_4arch9wavefront6targetE1EEEvSY_.uses_vcc, 0
	.set _ZN7rocprim17ROCPRIM_400000_NS6detail17trampoline_kernelINS0_13select_configILj256ELj13ELNS0_17block_load_methodE3ELS4_3ELS4_3ELNS0_20block_scan_algorithmE0ELj4294967295EEENS1_25partition_config_selectorILNS1_17partition_subalgoE3EjNS0_10empty_typeEbEEZZNS1_14partition_implILS8_3ELb0ES6_jNS0_17counting_iteratorIjlEEPS9_SE_NS0_5tupleIJPjSE_EEENSF_IJSE_SE_EEES9_SG_JZNS1_25segmented_radix_sort_implINS0_14default_configELb1EPKfPfPKlPlN2at6native12_GLOBAL__N_18offset_tEEE10hipError_tPvRmT1_PNSt15iterator_traitsISY_E10value_typeET2_T3_PNSZ_IS14_E10value_typeET4_jRbjT5_S1A_jjP12ihipStream_tbEUljE_EEESV_SW_SX_S14_S18_S1A_T6_T7_T9_mT8_S1C_bDpT10_ENKUlT_T0_E_clISt17integral_constantIbLb1EES1P_EEDaS1K_S1L_EUlS1K_E_NS1_11comp_targetILNS1_3genE5ELNS1_11target_archE942ELNS1_3gpuE9ELNS1_3repE0EEENS1_30default_config_static_selectorELNS0_4arch9wavefront6targetE1EEEvSY_.uses_flat_scratch, 0
	.set _ZN7rocprim17ROCPRIM_400000_NS6detail17trampoline_kernelINS0_13select_configILj256ELj13ELNS0_17block_load_methodE3ELS4_3ELS4_3ELNS0_20block_scan_algorithmE0ELj4294967295EEENS1_25partition_config_selectorILNS1_17partition_subalgoE3EjNS0_10empty_typeEbEEZZNS1_14partition_implILS8_3ELb0ES6_jNS0_17counting_iteratorIjlEEPS9_SE_NS0_5tupleIJPjSE_EEENSF_IJSE_SE_EEES9_SG_JZNS1_25segmented_radix_sort_implINS0_14default_configELb1EPKfPfPKlPlN2at6native12_GLOBAL__N_18offset_tEEE10hipError_tPvRmT1_PNSt15iterator_traitsISY_E10value_typeET2_T3_PNSZ_IS14_E10value_typeET4_jRbjT5_S1A_jjP12ihipStream_tbEUljE_EEESV_SW_SX_S14_S18_S1A_T6_T7_T9_mT8_S1C_bDpT10_ENKUlT_T0_E_clISt17integral_constantIbLb1EES1P_EEDaS1K_S1L_EUlS1K_E_NS1_11comp_targetILNS1_3genE5ELNS1_11target_archE942ELNS1_3gpuE9ELNS1_3repE0EEENS1_30default_config_static_selectorELNS0_4arch9wavefront6targetE1EEEvSY_.has_dyn_sized_stack, 0
	.set _ZN7rocprim17ROCPRIM_400000_NS6detail17trampoline_kernelINS0_13select_configILj256ELj13ELNS0_17block_load_methodE3ELS4_3ELS4_3ELNS0_20block_scan_algorithmE0ELj4294967295EEENS1_25partition_config_selectorILNS1_17partition_subalgoE3EjNS0_10empty_typeEbEEZZNS1_14partition_implILS8_3ELb0ES6_jNS0_17counting_iteratorIjlEEPS9_SE_NS0_5tupleIJPjSE_EEENSF_IJSE_SE_EEES9_SG_JZNS1_25segmented_radix_sort_implINS0_14default_configELb1EPKfPfPKlPlN2at6native12_GLOBAL__N_18offset_tEEE10hipError_tPvRmT1_PNSt15iterator_traitsISY_E10value_typeET2_T3_PNSZ_IS14_E10value_typeET4_jRbjT5_S1A_jjP12ihipStream_tbEUljE_EEESV_SW_SX_S14_S18_S1A_T6_T7_T9_mT8_S1C_bDpT10_ENKUlT_T0_E_clISt17integral_constantIbLb1EES1P_EEDaS1K_S1L_EUlS1K_E_NS1_11comp_targetILNS1_3genE5ELNS1_11target_archE942ELNS1_3gpuE9ELNS1_3repE0EEENS1_30default_config_static_selectorELNS0_4arch9wavefront6targetE1EEEvSY_.has_recursion, 0
	.set _ZN7rocprim17ROCPRIM_400000_NS6detail17trampoline_kernelINS0_13select_configILj256ELj13ELNS0_17block_load_methodE3ELS4_3ELS4_3ELNS0_20block_scan_algorithmE0ELj4294967295EEENS1_25partition_config_selectorILNS1_17partition_subalgoE3EjNS0_10empty_typeEbEEZZNS1_14partition_implILS8_3ELb0ES6_jNS0_17counting_iteratorIjlEEPS9_SE_NS0_5tupleIJPjSE_EEENSF_IJSE_SE_EEES9_SG_JZNS1_25segmented_radix_sort_implINS0_14default_configELb1EPKfPfPKlPlN2at6native12_GLOBAL__N_18offset_tEEE10hipError_tPvRmT1_PNSt15iterator_traitsISY_E10value_typeET2_T3_PNSZ_IS14_E10value_typeET4_jRbjT5_S1A_jjP12ihipStream_tbEUljE_EEESV_SW_SX_S14_S18_S1A_T6_T7_T9_mT8_S1C_bDpT10_ENKUlT_T0_E_clISt17integral_constantIbLb1EES1P_EEDaS1K_S1L_EUlS1K_E_NS1_11comp_targetILNS1_3genE5ELNS1_11target_archE942ELNS1_3gpuE9ELNS1_3repE0EEENS1_30default_config_static_selectorELNS0_4arch9wavefront6targetE1EEEvSY_.has_indirect_call, 0
	.section	.AMDGPU.csdata,"",@progbits
; Kernel info:
; codeLenInByte = 0
; TotalNumSgprs: 4
; NumVgprs: 0
; ScratchSize: 0
; MemoryBound: 0
; FloatMode: 240
; IeeeMode: 1
; LDSByteSize: 0 bytes/workgroup (compile time only)
; SGPRBlocks: 0
; VGPRBlocks: 0
; NumSGPRsForWavesPerEU: 4
; NumVGPRsForWavesPerEU: 1
; Occupancy: 10
; WaveLimiterHint : 0
; COMPUTE_PGM_RSRC2:SCRATCH_EN: 0
; COMPUTE_PGM_RSRC2:USER_SGPR: 6
; COMPUTE_PGM_RSRC2:TRAP_HANDLER: 0
; COMPUTE_PGM_RSRC2:TGID_X_EN: 1
; COMPUTE_PGM_RSRC2:TGID_Y_EN: 0
; COMPUTE_PGM_RSRC2:TGID_Z_EN: 0
; COMPUTE_PGM_RSRC2:TIDIG_COMP_CNT: 0
	.section	.text._ZN7rocprim17ROCPRIM_400000_NS6detail17trampoline_kernelINS0_13select_configILj256ELj13ELNS0_17block_load_methodE3ELS4_3ELS4_3ELNS0_20block_scan_algorithmE0ELj4294967295EEENS1_25partition_config_selectorILNS1_17partition_subalgoE3EjNS0_10empty_typeEbEEZZNS1_14partition_implILS8_3ELb0ES6_jNS0_17counting_iteratorIjlEEPS9_SE_NS0_5tupleIJPjSE_EEENSF_IJSE_SE_EEES9_SG_JZNS1_25segmented_radix_sort_implINS0_14default_configELb1EPKfPfPKlPlN2at6native12_GLOBAL__N_18offset_tEEE10hipError_tPvRmT1_PNSt15iterator_traitsISY_E10value_typeET2_T3_PNSZ_IS14_E10value_typeET4_jRbjT5_S1A_jjP12ihipStream_tbEUljE_EEESV_SW_SX_S14_S18_S1A_T6_T7_T9_mT8_S1C_bDpT10_ENKUlT_T0_E_clISt17integral_constantIbLb1EES1P_EEDaS1K_S1L_EUlS1K_E_NS1_11comp_targetILNS1_3genE4ELNS1_11target_archE910ELNS1_3gpuE8ELNS1_3repE0EEENS1_30default_config_static_selectorELNS0_4arch9wavefront6targetE1EEEvSY_,"axG",@progbits,_ZN7rocprim17ROCPRIM_400000_NS6detail17trampoline_kernelINS0_13select_configILj256ELj13ELNS0_17block_load_methodE3ELS4_3ELS4_3ELNS0_20block_scan_algorithmE0ELj4294967295EEENS1_25partition_config_selectorILNS1_17partition_subalgoE3EjNS0_10empty_typeEbEEZZNS1_14partition_implILS8_3ELb0ES6_jNS0_17counting_iteratorIjlEEPS9_SE_NS0_5tupleIJPjSE_EEENSF_IJSE_SE_EEES9_SG_JZNS1_25segmented_radix_sort_implINS0_14default_configELb1EPKfPfPKlPlN2at6native12_GLOBAL__N_18offset_tEEE10hipError_tPvRmT1_PNSt15iterator_traitsISY_E10value_typeET2_T3_PNSZ_IS14_E10value_typeET4_jRbjT5_S1A_jjP12ihipStream_tbEUljE_EEESV_SW_SX_S14_S18_S1A_T6_T7_T9_mT8_S1C_bDpT10_ENKUlT_T0_E_clISt17integral_constantIbLb1EES1P_EEDaS1K_S1L_EUlS1K_E_NS1_11comp_targetILNS1_3genE4ELNS1_11target_archE910ELNS1_3gpuE8ELNS1_3repE0EEENS1_30default_config_static_selectorELNS0_4arch9wavefront6targetE1EEEvSY_,comdat
	.globl	_ZN7rocprim17ROCPRIM_400000_NS6detail17trampoline_kernelINS0_13select_configILj256ELj13ELNS0_17block_load_methodE3ELS4_3ELS4_3ELNS0_20block_scan_algorithmE0ELj4294967295EEENS1_25partition_config_selectorILNS1_17partition_subalgoE3EjNS0_10empty_typeEbEEZZNS1_14partition_implILS8_3ELb0ES6_jNS0_17counting_iteratorIjlEEPS9_SE_NS0_5tupleIJPjSE_EEENSF_IJSE_SE_EEES9_SG_JZNS1_25segmented_radix_sort_implINS0_14default_configELb1EPKfPfPKlPlN2at6native12_GLOBAL__N_18offset_tEEE10hipError_tPvRmT1_PNSt15iterator_traitsISY_E10value_typeET2_T3_PNSZ_IS14_E10value_typeET4_jRbjT5_S1A_jjP12ihipStream_tbEUljE_EEESV_SW_SX_S14_S18_S1A_T6_T7_T9_mT8_S1C_bDpT10_ENKUlT_T0_E_clISt17integral_constantIbLb1EES1P_EEDaS1K_S1L_EUlS1K_E_NS1_11comp_targetILNS1_3genE4ELNS1_11target_archE910ELNS1_3gpuE8ELNS1_3repE0EEENS1_30default_config_static_selectorELNS0_4arch9wavefront6targetE1EEEvSY_ ; -- Begin function _ZN7rocprim17ROCPRIM_400000_NS6detail17trampoline_kernelINS0_13select_configILj256ELj13ELNS0_17block_load_methodE3ELS4_3ELS4_3ELNS0_20block_scan_algorithmE0ELj4294967295EEENS1_25partition_config_selectorILNS1_17partition_subalgoE3EjNS0_10empty_typeEbEEZZNS1_14partition_implILS8_3ELb0ES6_jNS0_17counting_iteratorIjlEEPS9_SE_NS0_5tupleIJPjSE_EEENSF_IJSE_SE_EEES9_SG_JZNS1_25segmented_radix_sort_implINS0_14default_configELb1EPKfPfPKlPlN2at6native12_GLOBAL__N_18offset_tEEE10hipError_tPvRmT1_PNSt15iterator_traitsISY_E10value_typeET2_T3_PNSZ_IS14_E10value_typeET4_jRbjT5_S1A_jjP12ihipStream_tbEUljE_EEESV_SW_SX_S14_S18_S1A_T6_T7_T9_mT8_S1C_bDpT10_ENKUlT_T0_E_clISt17integral_constantIbLb1EES1P_EEDaS1K_S1L_EUlS1K_E_NS1_11comp_targetILNS1_3genE4ELNS1_11target_archE910ELNS1_3gpuE8ELNS1_3repE0EEENS1_30default_config_static_selectorELNS0_4arch9wavefront6targetE1EEEvSY_
	.p2align	8
	.type	_ZN7rocprim17ROCPRIM_400000_NS6detail17trampoline_kernelINS0_13select_configILj256ELj13ELNS0_17block_load_methodE3ELS4_3ELS4_3ELNS0_20block_scan_algorithmE0ELj4294967295EEENS1_25partition_config_selectorILNS1_17partition_subalgoE3EjNS0_10empty_typeEbEEZZNS1_14partition_implILS8_3ELb0ES6_jNS0_17counting_iteratorIjlEEPS9_SE_NS0_5tupleIJPjSE_EEENSF_IJSE_SE_EEES9_SG_JZNS1_25segmented_radix_sort_implINS0_14default_configELb1EPKfPfPKlPlN2at6native12_GLOBAL__N_18offset_tEEE10hipError_tPvRmT1_PNSt15iterator_traitsISY_E10value_typeET2_T3_PNSZ_IS14_E10value_typeET4_jRbjT5_S1A_jjP12ihipStream_tbEUljE_EEESV_SW_SX_S14_S18_S1A_T6_T7_T9_mT8_S1C_bDpT10_ENKUlT_T0_E_clISt17integral_constantIbLb1EES1P_EEDaS1K_S1L_EUlS1K_E_NS1_11comp_targetILNS1_3genE4ELNS1_11target_archE910ELNS1_3gpuE8ELNS1_3repE0EEENS1_30default_config_static_selectorELNS0_4arch9wavefront6targetE1EEEvSY_,@function
_ZN7rocprim17ROCPRIM_400000_NS6detail17trampoline_kernelINS0_13select_configILj256ELj13ELNS0_17block_load_methodE3ELS4_3ELS4_3ELNS0_20block_scan_algorithmE0ELj4294967295EEENS1_25partition_config_selectorILNS1_17partition_subalgoE3EjNS0_10empty_typeEbEEZZNS1_14partition_implILS8_3ELb0ES6_jNS0_17counting_iteratorIjlEEPS9_SE_NS0_5tupleIJPjSE_EEENSF_IJSE_SE_EEES9_SG_JZNS1_25segmented_radix_sort_implINS0_14default_configELb1EPKfPfPKlPlN2at6native12_GLOBAL__N_18offset_tEEE10hipError_tPvRmT1_PNSt15iterator_traitsISY_E10value_typeET2_T3_PNSZ_IS14_E10value_typeET4_jRbjT5_S1A_jjP12ihipStream_tbEUljE_EEESV_SW_SX_S14_S18_S1A_T6_T7_T9_mT8_S1C_bDpT10_ENKUlT_T0_E_clISt17integral_constantIbLb1EES1P_EEDaS1K_S1L_EUlS1K_E_NS1_11comp_targetILNS1_3genE4ELNS1_11target_archE910ELNS1_3gpuE8ELNS1_3repE0EEENS1_30default_config_static_selectorELNS0_4arch9wavefront6targetE1EEEvSY_: ; @_ZN7rocprim17ROCPRIM_400000_NS6detail17trampoline_kernelINS0_13select_configILj256ELj13ELNS0_17block_load_methodE3ELS4_3ELS4_3ELNS0_20block_scan_algorithmE0ELj4294967295EEENS1_25partition_config_selectorILNS1_17partition_subalgoE3EjNS0_10empty_typeEbEEZZNS1_14partition_implILS8_3ELb0ES6_jNS0_17counting_iteratorIjlEEPS9_SE_NS0_5tupleIJPjSE_EEENSF_IJSE_SE_EEES9_SG_JZNS1_25segmented_radix_sort_implINS0_14default_configELb1EPKfPfPKlPlN2at6native12_GLOBAL__N_18offset_tEEE10hipError_tPvRmT1_PNSt15iterator_traitsISY_E10value_typeET2_T3_PNSZ_IS14_E10value_typeET4_jRbjT5_S1A_jjP12ihipStream_tbEUljE_EEESV_SW_SX_S14_S18_S1A_T6_T7_T9_mT8_S1C_bDpT10_ENKUlT_T0_E_clISt17integral_constantIbLb1EES1P_EEDaS1K_S1L_EUlS1K_E_NS1_11comp_targetILNS1_3genE4ELNS1_11target_archE910ELNS1_3gpuE8ELNS1_3repE0EEENS1_30default_config_static_selectorELNS0_4arch9wavefront6targetE1EEEvSY_
; %bb.0:
	.section	.rodata,"a",@progbits
	.p2align	6, 0x0
	.amdhsa_kernel _ZN7rocprim17ROCPRIM_400000_NS6detail17trampoline_kernelINS0_13select_configILj256ELj13ELNS0_17block_load_methodE3ELS4_3ELS4_3ELNS0_20block_scan_algorithmE0ELj4294967295EEENS1_25partition_config_selectorILNS1_17partition_subalgoE3EjNS0_10empty_typeEbEEZZNS1_14partition_implILS8_3ELb0ES6_jNS0_17counting_iteratorIjlEEPS9_SE_NS0_5tupleIJPjSE_EEENSF_IJSE_SE_EEES9_SG_JZNS1_25segmented_radix_sort_implINS0_14default_configELb1EPKfPfPKlPlN2at6native12_GLOBAL__N_18offset_tEEE10hipError_tPvRmT1_PNSt15iterator_traitsISY_E10value_typeET2_T3_PNSZ_IS14_E10value_typeET4_jRbjT5_S1A_jjP12ihipStream_tbEUljE_EEESV_SW_SX_S14_S18_S1A_T6_T7_T9_mT8_S1C_bDpT10_ENKUlT_T0_E_clISt17integral_constantIbLb1EES1P_EEDaS1K_S1L_EUlS1K_E_NS1_11comp_targetILNS1_3genE4ELNS1_11target_archE910ELNS1_3gpuE8ELNS1_3repE0EEENS1_30default_config_static_selectorELNS0_4arch9wavefront6targetE1EEEvSY_
		.amdhsa_group_segment_fixed_size 0
		.amdhsa_private_segment_fixed_size 0
		.amdhsa_kernarg_size 152
		.amdhsa_user_sgpr_count 6
		.amdhsa_user_sgpr_private_segment_buffer 1
		.amdhsa_user_sgpr_dispatch_ptr 0
		.amdhsa_user_sgpr_queue_ptr 0
		.amdhsa_user_sgpr_kernarg_segment_ptr 1
		.amdhsa_user_sgpr_dispatch_id 0
		.amdhsa_user_sgpr_flat_scratch_init 0
		.amdhsa_user_sgpr_private_segment_size 0
		.amdhsa_uses_dynamic_stack 0
		.amdhsa_system_sgpr_private_segment_wavefront_offset 0
		.amdhsa_system_sgpr_workgroup_id_x 1
		.amdhsa_system_sgpr_workgroup_id_y 0
		.amdhsa_system_sgpr_workgroup_id_z 0
		.amdhsa_system_sgpr_workgroup_info 0
		.amdhsa_system_vgpr_workitem_id 0
		.amdhsa_next_free_vgpr 1
		.amdhsa_next_free_sgpr 0
		.amdhsa_reserve_vcc 0
		.amdhsa_reserve_flat_scratch 0
		.amdhsa_float_round_mode_32 0
		.amdhsa_float_round_mode_16_64 0
		.amdhsa_float_denorm_mode_32 3
		.amdhsa_float_denorm_mode_16_64 3
		.amdhsa_dx10_clamp 1
		.amdhsa_ieee_mode 1
		.amdhsa_fp16_overflow 0
		.amdhsa_exception_fp_ieee_invalid_op 0
		.amdhsa_exception_fp_denorm_src 0
		.amdhsa_exception_fp_ieee_div_zero 0
		.amdhsa_exception_fp_ieee_overflow 0
		.amdhsa_exception_fp_ieee_underflow 0
		.amdhsa_exception_fp_ieee_inexact 0
		.amdhsa_exception_int_div_zero 0
	.end_amdhsa_kernel
	.section	.text._ZN7rocprim17ROCPRIM_400000_NS6detail17trampoline_kernelINS0_13select_configILj256ELj13ELNS0_17block_load_methodE3ELS4_3ELS4_3ELNS0_20block_scan_algorithmE0ELj4294967295EEENS1_25partition_config_selectorILNS1_17partition_subalgoE3EjNS0_10empty_typeEbEEZZNS1_14partition_implILS8_3ELb0ES6_jNS0_17counting_iteratorIjlEEPS9_SE_NS0_5tupleIJPjSE_EEENSF_IJSE_SE_EEES9_SG_JZNS1_25segmented_radix_sort_implINS0_14default_configELb1EPKfPfPKlPlN2at6native12_GLOBAL__N_18offset_tEEE10hipError_tPvRmT1_PNSt15iterator_traitsISY_E10value_typeET2_T3_PNSZ_IS14_E10value_typeET4_jRbjT5_S1A_jjP12ihipStream_tbEUljE_EEESV_SW_SX_S14_S18_S1A_T6_T7_T9_mT8_S1C_bDpT10_ENKUlT_T0_E_clISt17integral_constantIbLb1EES1P_EEDaS1K_S1L_EUlS1K_E_NS1_11comp_targetILNS1_3genE4ELNS1_11target_archE910ELNS1_3gpuE8ELNS1_3repE0EEENS1_30default_config_static_selectorELNS0_4arch9wavefront6targetE1EEEvSY_,"axG",@progbits,_ZN7rocprim17ROCPRIM_400000_NS6detail17trampoline_kernelINS0_13select_configILj256ELj13ELNS0_17block_load_methodE3ELS4_3ELS4_3ELNS0_20block_scan_algorithmE0ELj4294967295EEENS1_25partition_config_selectorILNS1_17partition_subalgoE3EjNS0_10empty_typeEbEEZZNS1_14partition_implILS8_3ELb0ES6_jNS0_17counting_iteratorIjlEEPS9_SE_NS0_5tupleIJPjSE_EEENSF_IJSE_SE_EEES9_SG_JZNS1_25segmented_radix_sort_implINS0_14default_configELb1EPKfPfPKlPlN2at6native12_GLOBAL__N_18offset_tEEE10hipError_tPvRmT1_PNSt15iterator_traitsISY_E10value_typeET2_T3_PNSZ_IS14_E10value_typeET4_jRbjT5_S1A_jjP12ihipStream_tbEUljE_EEESV_SW_SX_S14_S18_S1A_T6_T7_T9_mT8_S1C_bDpT10_ENKUlT_T0_E_clISt17integral_constantIbLb1EES1P_EEDaS1K_S1L_EUlS1K_E_NS1_11comp_targetILNS1_3genE4ELNS1_11target_archE910ELNS1_3gpuE8ELNS1_3repE0EEENS1_30default_config_static_selectorELNS0_4arch9wavefront6targetE1EEEvSY_,comdat
.Lfunc_end1303:
	.size	_ZN7rocprim17ROCPRIM_400000_NS6detail17trampoline_kernelINS0_13select_configILj256ELj13ELNS0_17block_load_methodE3ELS4_3ELS4_3ELNS0_20block_scan_algorithmE0ELj4294967295EEENS1_25partition_config_selectorILNS1_17partition_subalgoE3EjNS0_10empty_typeEbEEZZNS1_14partition_implILS8_3ELb0ES6_jNS0_17counting_iteratorIjlEEPS9_SE_NS0_5tupleIJPjSE_EEENSF_IJSE_SE_EEES9_SG_JZNS1_25segmented_radix_sort_implINS0_14default_configELb1EPKfPfPKlPlN2at6native12_GLOBAL__N_18offset_tEEE10hipError_tPvRmT1_PNSt15iterator_traitsISY_E10value_typeET2_T3_PNSZ_IS14_E10value_typeET4_jRbjT5_S1A_jjP12ihipStream_tbEUljE_EEESV_SW_SX_S14_S18_S1A_T6_T7_T9_mT8_S1C_bDpT10_ENKUlT_T0_E_clISt17integral_constantIbLb1EES1P_EEDaS1K_S1L_EUlS1K_E_NS1_11comp_targetILNS1_3genE4ELNS1_11target_archE910ELNS1_3gpuE8ELNS1_3repE0EEENS1_30default_config_static_selectorELNS0_4arch9wavefront6targetE1EEEvSY_, .Lfunc_end1303-_ZN7rocprim17ROCPRIM_400000_NS6detail17trampoline_kernelINS0_13select_configILj256ELj13ELNS0_17block_load_methodE3ELS4_3ELS4_3ELNS0_20block_scan_algorithmE0ELj4294967295EEENS1_25partition_config_selectorILNS1_17partition_subalgoE3EjNS0_10empty_typeEbEEZZNS1_14partition_implILS8_3ELb0ES6_jNS0_17counting_iteratorIjlEEPS9_SE_NS0_5tupleIJPjSE_EEENSF_IJSE_SE_EEES9_SG_JZNS1_25segmented_radix_sort_implINS0_14default_configELb1EPKfPfPKlPlN2at6native12_GLOBAL__N_18offset_tEEE10hipError_tPvRmT1_PNSt15iterator_traitsISY_E10value_typeET2_T3_PNSZ_IS14_E10value_typeET4_jRbjT5_S1A_jjP12ihipStream_tbEUljE_EEESV_SW_SX_S14_S18_S1A_T6_T7_T9_mT8_S1C_bDpT10_ENKUlT_T0_E_clISt17integral_constantIbLb1EES1P_EEDaS1K_S1L_EUlS1K_E_NS1_11comp_targetILNS1_3genE4ELNS1_11target_archE910ELNS1_3gpuE8ELNS1_3repE0EEENS1_30default_config_static_selectorELNS0_4arch9wavefront6targetE1EEEvSY_
                                        ; -- End function
	.set _ZN7rocprim17ROCPRIM_400000_NS6detail17trampoline_kernelINS0_13select_configILj256ELj13ELNS0_17block_load_methodE3ELS4_3ELS4_3ELNS0_20block_scan_algorithmE0ELj4294967295EEENS1_25partition_config_selectorILNS1_17partition_subalgoE3EjNS0_10empty_typeEbEEZZNS1_14partition_implILS8_3ELb0ES6_jNS0_17counting_iteratorIjlEEPS9_SE_NS0_5tupleIJPjSE_EEENSF_IJSE_SE_EEES9_SG_JZNS1_25segmented_radix_sort_implINS0_14default_configELb1EPKfPfPKlPlN2at6native12_GLOBAL__N_18offset_tEEE10hipError_tPvRmT1_PNSt15iterator_traitsISY_E10value_typeET2_T3_PNSZ_IS14_E10value_typeET4_jRbjT5_S1A_jjP12ihipStream_tbEUljE_EEESV_SW_SX_S14_S18_S1A_T6_T7_T9_mT8_S1C_bDpT10_ENKUlT_T0_E_clISt17integral_constantIbLb1EES1P_EEDaS1K_S1L_EUlS1K_E_NS1_11comp_targetILNS1_3genE4ELNS1_11target_archE910ELNS1_3gpuE8ELNS1_3repE0EEENS1_30default_config_static_selectorELNS0_4arch9wavefront6targetE1EEEvSY_.num_vgpr, 0
	.set _ZN7rocprim17ROCPRIM_400000_NS6detail17trampoline_kernelINS0_13select_configILj256ELj13ELNS0_17block_load_methodE3ELS4_3ELS4_3ELNS0_20block_scan_algorithmE0ELj4294967295EEENS1_25partition_config_selectorILNS1_17partition_subalgoE3EjNS0_10empty_typeEbEEZZNS1_14partition_implILS8_3ELb0ES6_jNS0_17counting_iteratorIjlEEPS9_SE_NS0_5tupleIJPjSE_EEENSF_IJSE_SE_EEES9_SG_JZNS1_25segmented_radix_sort_implINS0_14default_configELb1EPKfPfPKlPlN2at6native12_GLOBAL__N_18offset_tEEE10hipError_tPvRmT1_PNSt15iterator_traitsISY_E10value_typeET2_T3_PNSZ_IS14_E10value_typeET4_jRbjT5_S1A_jjP12ihipStream_tbEUljE_EEESV_SW_SX_S14_S18_S1A_T6_T7_T9_mT8_S1C_bDpT10_ENKUlT_T0_E_clISt17integral_constantIbLb1EES1P_EEDaS1K_S1L_EUlS1K_E_NS1_11comp_targetILNS1_3genE4ELNS1_11target_archE910ELNS1_3gpuE8ELNS1_3repE0EEENS1_30default_config_static_selectorELNS0_4arch9wavefront6targetE1EEEvSY_.num_agpr, 0
	.set _ZN7rocprim17ROCPRIM_400000_NS6detail17trampoline_kernelINS0_13select_configILj256ELj13ELNS0_17block_load_methodE3ELS4_3ELS4_3ELNS0_20block_scan_algorithmE0ELj4294967295EEENS1_25partition_config_selectorILNS1_17partition_subalgoE3EjNS0_10empty_typeEbEEZZNS1_14partition_implILS8_3ELb0ES6_jNS0_17counting_iteratorIjlEEPS9_SE_NS0_5tupleIJPjSE_EEENSF_IJSE_SE_EEES9_SG_JZNS1_25segmented_radix_sort_implINS0_14default_configELb1EPKfPfPKlPlN2at6native12_GLOBAL__N_18offset_tEEE10hipError_tPvRmT1_PNSt15iterator_traitsISY_E10value_typeET2_T3_PNSZ_IS14_E10value_typeET4_jRbjT5_S1A_jjP12ihipStream_tbEUljE_EEESV_SW_SX_S14_S18_S1A_T6_T7_T9_mT8_S1C_bDpT10_ENKUlT_T0_E_clISt17integral_constantIbLb1EES1P_EEDaS1K_S1L_EUlS1K_E_NS1_11comp_targetILNS1_3genE4ELNS1_11target_archE910ELNS1_3gpuE8ELNS1_3repE0EEENS1_30default_config_static_selectorELNS0_4arch9wavefront6targetE1EEEvSY_.numbered_sgpr, 0
	.set _ZN7rocprim17ROCPRIM_400000_NS6detail17trampoline_kernelINS0_13select_configILj256ELj13ELNS0_17block_load_methodE3ELS4_3ELS4_3ELNS0_20block_scan_algorithmE0ELj4294967295EEENS1_25partition_config_selectorILNS1_17partition_subalgoE3EjNS0_10empty_typeEbEEZZNS1_14partition_implILS8_3ELb0ES6_jNS0_17counting_iteratorIjlEEPS9_SE_NS0_5tupleIJPjSE_EEENSF_IJSE_SE_EEES9_SG_JZNS1_25segmented_radix_sort_implINS0_14default_configELb1EPKfPfPKlPlN2at6native12_GLOBAL__N_18offset_tEEE10hipError_tPvRmT1_PNSt15iterator_traitsISY_E10value_typeET2_T3_PNSZ_IS14_E10value_typeET4_jRbjT5_S1A_jjP12ihipStream_tbEUljE_EEESV_SW_SX_S14_S18_S1A_T6_T7_T9_mT8_S1C_bDpT10_ENKUlT_T0_E_clISt17integral_constantIbLb1EES1P_EEDaS1K_S1L_EUlS1K_E_NS1_11comp_targetILNS1_3genE4ELNS1_11target_archE910ELNS1_3gpuE8ELNS1_3repE0EEENS1_30default_config_static_selectorELNS0_4arch9wavefront6targetE1EEEvSY_.num_named_barrier, 0
	.set _ZN7rocprim17ROCPRIM_400000_NS6detail17trampoline_kernelINS0_13select_configILj256ELj13ELNS0_17block_load_methodE3ELS4_3ELS4_3ELNS0_20block_scan_algorithmE0ELj4294967295EEENS1_25partition_config_selectorILNS1_17partition_subalgoE3EjNS0_10empty_typeEbEEZZNS1_14partition_implILS8_3ELb0ES6_jNS0_17counting_iteratorIjlEEPS9_SE_NS0_5tupleIJPjSE_EEENSF_IJSE_SE_EEES9_SG_JZNS1_25segmented_radix_sort_implINS0_14default_configELb1EPKfPfPKlPlN2at6native12_GLOBAL__N_18offset_tEEE10hipError_tPvRmT1_PNSt15iterator_traitsISY_E10value_typeET2_T3_PNSZ_IS14_E10value_typeET4_jRbjT5_S1A_jjP12ihipStream_tbEUljE_EEESV_SW_SX_S14_S18_S1A_T6_T7_T9_mT8_S1C_bDpT10_ENKUlT_T0_E_clISt17integral_constantIbLb1EES1P_EEDaS1K_S1L_EUlS1K_E_NS1_11comp_targetILNS1_3genE4ELNS1_11target_archE910ELNS1_3gpuE8ELNS1_3repE0EEENS1_30default_config_static_selectorELNS0_4arch9wavefront6targetE1EEEvSY_.private_seg_size, 0
	.set _ZN7rocprim17ROCPRIM_400000_NS6detail17trampoline_kernelINS0_13select_configILj256ELj13ELNS0_17block_load_methodE3ELS4_3ELS4_3ELNS0_20block_scan_algorithmE0ELj4294967295EEENS1_25partition_config_selectorILNS1_17partition_subalgoE3EjNS0_10empty_typeEbEEZZNS1_14partition_implILS8_3ELb0ES6_jNS0_17counting_iteratorIjlEEPS9_SE_NS0_5tupleIJPjSE_EEENSF_IJSE_SE_EEES9_SG_JZNS1_25segmented_radix_sort_implINS0_14default_configELb1EPKfPfPKlPlN2at6native12_GLOBAL__N_18offset_tEEE10hipError_tPvRmT1_PNSt15iterator_traitsISY_E10value_typeET2_T3_PNSZ_IS14_E10value_typeET4_jRbjT5_S1A_jjP12ihipStream_tbEUljE_EEESV_SW_SX_S14_S18_S1A_T6_T7_T9_mT8_S1C_bDpT10_ENKUlT_T0_E_clISt17integral_constantIbLb1EES1P_EEDaS1K_S1L_EUlS1K_E_NS1_11comp_targetILNS1_3genE4ELNS1_11target_archE910ELNS1_3gpuE8ELNS1_3repE0EEENS1_30default_config_static_selectorELNS0_4arch9wavefront6targetE1EEEvSY_.uses_vcc, 0
	.set _ZN7rocprim17ROCPRIM_400000_NS6detail17trampoline_kernelINS0_13select_configILj256ELj13ELNS0_17block_load_methodE3ELS4_3ELS4_3ELNS0_20block_scan_algorithmE0ELj4294967295EEENS1_25partition_config_selectorILNS1_17partition_subalgoE3EjNS0_10empty_typeEbEEZZNS1_14partition_implILS8_3ELb0ES6_jNS0_17counting_iteratorIjlEEPS9_SE_NS0_5tupleIJPjSE_EEENSF_IJSE_SE_EEES9_SG_JZNS1_25segmented_radix_sort_implINS0_14default_configELb1EPKfPfPKlPlN2at6native12_GLOBAL__N_18offset_tEEE10hipError_tPvRmT1_PNSt15iterator_traitsISY_E10value_typeET2_T3_PNSZ_IS14_E10value_typeET4_jRbjT5_S1A_jjP12ihipStream_tbEUljE_EEESV_SW_SX_S14_S18_S1A_T6_T7_T9_mT8_S1C_bDpT10_ENKUlT_T0_E_clISt17integral_constantIbLb1EES1P_EEDaS1K_S1L_EUlS1K_E_NS1_11comp_targetILNS1_3genE4ELNS1_11target_archE910ELNS1_3gpuE8ELNS1_3repE0EEENS1_30default_config_static_selectorELNS0_4arch9wavefront6targetE1EEEvSY_.uses_flat_scratch, 0
	.set _ZN7rocprim17ROCPRIM_400000_NS6detail17trampoline_kernelINS0_13select_configILj256ELj13ELNS0_17block_load_methodE3ELS4_3ELS4_3ELNS0_20block_scan_algorithmE0ELj4294967295EEENS1_25partition_config_selectorILNS1_17partition_subalgoE3EjNS0_10empty_typeEbEEZZNS1_14partition_implILS8_3ELb0ES6_jNS0_17counting_iteratorIjlEEPS9_SE_NS0_5tupleIJPjSE_EEENSF_IJSE_SE_EEES9_SG_JZNS1_25segmented_radix_sort_implINS0_14default_configELb1EPKfPfPKlPlN2at6native12_GLOBAL__N_18offset_tEEE10hipError_tPvRmT1_PNSt15iterator_traitsISY_E10value_typeET2_T3_PNSZ_IS14_E10value_typeET4_jRbjT5_S1A_jjP12ihipStream_tbEUljE_EEESV_SW_SX_S14_S18_S1A_T6_T7_T9_mT8_S1C_bDpT10_ENKUlT_T0_E_clISt17integral_constantIbLb1EES1P_EEDaS1K_S1L_EUlS1K_E_NS1_11comp_targetILNS1_3genE4ELNS1_11target_archE910ELNS1_3gpuE8ELNS1_3repE0EEENS1_30default_config_static_selectorELNS0_4arch9wavefront6targetE1EEEvSY_.has_dyn_sized_stack, 0
	.set _ZN7rocprim17ROCPRIM_400000_NS6detail17trampoline_kernelINS0_13select_configILj256ELj13ELNS0_17block_load_methodE3ELS4_3ELS4_3ELNS0_20block_scan_algorithmE0ELj4294967295EEENS1_25partition_config_selectorILNS1_17partition_subalgoE3EjNS0_10empty_typeEbEEZZNS1_14partition_implILS8_3ELb0ES6_jNS0_17counting_iteratorIjlEEPS9_SE_NS0_5tupleIJPjSE_EEENSF_IJSE_SE_EEES9_SG_JZNS1_25segmented_radix_sort_implINS0_14default_configELb1EPKfPfPKlPlN2at6native12_GLOBAL__N_18offset_tEEE10hipError_tPvRmT1_PNSt15iterator_traitsISY_E10value_typeET2_T3_PNSZ_IS14_E10value_typeET4_jRbjT5_S1A_jjP12ihipStream_tbEUljE_EEESV_SW_SX_S14_S18_S1A_T6_T7_T9_mT8_S1C_bDpT10_ENKUlT_T0_E_clISt17integral_constantIbLb1EES1P_EEDaS1K_S1L_EUlS1K_E_NS1_11comp_targetILNS1_3genE4ELNS1_11target_archE910ELNS1_3gpuE8ELNS1_3repE0EEENS1_30default_config_static_selectorELNS0_4arch9wavefront6targetE1EEEvSY_.has_recursion, 0
	.set _ZN7rocprim17ROCPRIM_400000_NS6detail17trampoline_kernelINS0_13select_configILj256ELj13ELNS0_17block_load_methodE3ELS4_3ELS4_3ELNS0_20block_scan_algorithmE0ELj4294967295EEENS1_25partition_config_selectorILNS1_17partition_subalgoE3EjNS0_10empty_typeEbEEZZNS1_14partition_implILS8_3ELb0ES6_jNS0_17counting_iteratorIjlEEPS9_SE_NS0_5tupleIJPjSE_EEENSF_IJSE_SE_EEES9_SG_JZNS1_25segmented_radix_sort_implINS0_14default_configELb1EPKfPfPKlPlN2at6native12_GLOBAL__N_18offset_tEEE10hipError_tPvRmT1_PNSt15iterator_traitsISY_E10value_typeET2_T3_PNSZ_IS14_E10value_typeET4_jRbjT5_S1A_jjP12ihipStream_tbEUljE_EEESV_SW_SX_S14_S18_S1A_T6_T7_T9_mT8_S1C_bDpT10_ENKUlT_T0_E_clISt17integral_constantIbLb1EES1P_EEDaS1K_S1L_EUlS1K_E_NS1_11comp_targetILNS1_3genE4ELNS1_11target_archE910ELNS1_3gpuE8ELNS1_3repE0EEENS1_30default_config_static_selectorELNS0_4arch9wavefront6targetE1EEEvSY_.has_indirect_call, 0
	.section	.AMDGPU.csdata,"",@progbits
; Kernel info:
; codeLenInByte = 0
; TotalNumSgprs: 4
; NumVgprs: 0
; ScratchSize: 0
; MemoryBound: 0
; FloatMode: 240
; IeeeMode: 1
; LDSByteSize: 0 bytes/workgroup (compile time only)
; SGPRBlocks: 0
; VGPRBlocks: 0
; NumSGPRsForWavesPerEU: 4
; NumVGPRsForWavesPerEU: 1
; Occupancy: 10
; WaveLimiterHint : 0
; COMPUTE_PGM_RSRC2:SCRATCH_EN: 0
; COMPUTE_PGM_RSRC2:USER_SGPR: 6
; COMPUTE_PGM_RSRC2:TRAP_HANDLER: 0
; COMPUTE_PGM_RSRC2:TGID_X_EN: 1
; COMPUTE_PGM_RSRC2:TGID_Y_EN: 0
; COMPUTE_PGM_RSRC2:TGID_Z_EN: 0
; COMPUTE_PGM_RSRC2:TIDIG_COMP_CNT: 0
	.section	.text._ZN7rocprim17ROCPRIM_400000_NS6detail17trampoline_kernelINS0_13select_configILj256ELj13ELNS0_17block_load_methodE3ELS4_3ELS4_3ELNS0_20block_scan_algorithmE0ELj4294967295EEENS1_25partition_config_selectorILNS1_17partition_subalgoE3EjNS0_10empty_typeEbEEZZNS1_14partition_implILS8_3ELb0ES6_jNS0_17counting_iteratorIjlEEPS9_SE_NS0_5tupleIJPjSE_EEENSF_IJSE_SE_EEES9_SG_JZNS1_25segmented_radix_sort_implINS0_14default_configELb1EPKfPfPKlPlN2at6native12_GLOBAL__N_18offset_tEEE10hipError_tPvRmT1_PNSt15iterator_traitsISY_E10value_typeET2_T3_PNSZ_IS14_E10value_typeET4_jRbjT5_S1A_jjP12ihipStream_tbEUljE_EEESV_SW_SX_S14_S18_S1A_T6_T7_T9_mT8_S1C_bDpT10_ENKUlT_T0_E_clISt17integral_constantIbLb1EES1P_EEDaS1K_S1L_EUlS1K_E_NS1_11comp_targetILNS1_3genE3ELNS1_11target_archE908ELNS1_3gpuE7ELNS1_3repE0EEENS1_30default_config_static_selectorELNS0_4arch9wavefront6targetE1EEEvSY_,"axG",@progbits,_ZN7rocprim17ROCPRIM_400000_NS6detail17trampoline_kernelINS0_13select_configILj256ELj13ELNS0_17block_load_methodE3ELS4_3ELS4_3ELNS0_20block_scan_algorithmE0ELj4294967295EEENS1_25partition_config_selectorILNS1_17partition_subalgoE3EjNS0_10empty_typeEbEEZZNS1_14partition_implILS8_3ELb0ES6_jNS0_17counting_iteratorIjlEEPS9_SE_NS0_5tupleIJPjSE_EEENSF_IJSE_SE_EEES9_SG_JZNS1_25segmented_radix_sort_implINS0_14default_configELb1EPKfPfPKlPlN2at6native12_GLOBAL__N_18offset_tEEE10hipError_tPvRmT1_PNSt15iterator_traitsISY_E10value_typeET2_T3_PNSZ_IS14_E10value_typeET4_jRbjT5_S1A_jjP12ihipStream_tbEUljE_EEESV_SW_SX_S14_S18_S1A_T6_T7_T9_mT8_S1C_bDpT10_ENKUlT_T0_E_clISt17integral_constantIbLb1EES1P_EEDaS1K_S1L_EUlS1K_E_NS1_11comp_targetILNS1_3genE3ELNS1_11target_archE908ELNS1_3gpuE7ELNS1_3repE0EEENS1_30default_config_static_selectorELNS0_4arch9wavefront6targetE1EEEvSY_,comdat
	.globl	_ZN7rocprim17ROCPRIM_400000_NS6detail17trampoline_kernelINS0_13select_configILj256ELj13ELNS0_17block_load_methodE3ELS4_3ELS4_3ELNS0_20block_scan_algorithmE0ELj4294967295EEENS1_25partition_config_selectorILNS1_17partition_subalgoE3EjNS0_10empty_typeEbEEZZNS1_14partition_implILS8_3ELb0ES6_jNS0_17counting_iteratorIjlEEPS9_SE_NS0_5tupleIJPjSE_EEENSF_IJSE_SE_EEES9_SG_JZNS1_25segmented_radix_sort_implINS0_14default_configELb1EPKfPfPKlPlN2at6native12_GLOBAL__N_18offset_tEEE10hipError_tPvRmT1_PNSt15iterator_traitsISY_E10value_typeET2_T3_PNSZ_IS14_E10value_typeET4_jRbjT5_S1A_jjP12ihipStream_tbEUljE_EEESV_SW_SX_S14_S18_S1A_T6_T7_T9_mT8_S1C_bDpT10_ENKUlT_T0_E_clISt17integral_constantIbLb1EES1P_EEDaS1K_S1L_EUlS1K_E_NS1_11comp_targetILNS1_3genE3ELNS1_11target_archE908ELNS1_3gpuE7ELNS1_3repE0EEENS1_30default_config_static_selectorELNS0_4arch9wavefront6targetE1EEEvSY_ ; -- Begin function _ZN7rocprim17ROCPRIM_400000_NS6detail17trampoline_kernelINS0_13select_configILj256ELj13ELNS0_17block_load_methodE3ELS4_3ELS4_3ELNS0_20block_scan_algorithmE0ELj4294967295EEENS1_25partition_config_selectorILNS1_17partition_subalgoE3EjNS0_10empty_typeEbEEZZNS1_14partition_implILS8_3ELb0ES6_jNS0_17counting_iteratorIjlEEPS9_SE_NS0_5tupleIJPjSE_EEENSF_IJSE_SE_EEES9_SG_JZNS1_25segmented_radix_sort_implINS0_14default_configELb1EPKfPfPKlPlN2at6native12_GLOBAL__N_18offset_tEEE10hipError_tPvRmT1_PNSt15iterator_traitsISY_E10value_typeET2_T3_PNSZ_IS14_E10value_typeET4_jRbjT5_S1A_jjP12ihipStream_tbEUljE_EEESV_SW_SX_S14_S18_S1A_T6_T7_T9_mT8_S1C_bDpT10_ENKUlT_T0_E_clISt17integral_constantIbLb1EES1P_EEDaS1K_S1L_EUlS1K_E_NS1_11comp_targetILNS1_3genE3ELNS1_11target_archE908ELNS1_3gpuE7ELNS1_3repE0EEENS1_30default_config_static_selectorELNS0_4arch9wavefront6targetE1EEEvSY_
	.p2align	8
	.type	_ZN7rocprim17ROCPRIM_400000_NS6detail17trampoline_kernelINS0_13select_configILj256ELj13ELNS0_17block_load_methodE3ELS4_3ELS4_3ELNS0_20block_scan_algorithmE0ELj4294967295EEENS1_25partition_config_selectorILNS1_17partition_subalgoE3EjNS0_10empty_typeEbEEZZNS1_14partition_implILS8_3ELb0ES6_jNS0_17counting_iteratorIjlEEPS9_SE_NS0_5tupleIJPjSE_EEENSF_IJSE_SE_EEES9_SG_JZNS1_25segmented_radix_sort_implINS0_14default_configELb1EPKfPfPKlPlN2at6native12_GLOBAL__N_18offset_tEEE10hipError_tPvRmT1_PNSt15iterator_traitsISY_E10value_typeET2_T3_PNSZ_IS14_E10value_typeET4_jRbjT5_S1A_jjP12ihipStream_tbEUljE_EEESV_SW_SX_S14_S18_S1A_T6_T7_T9_mT8_S1C_bDpT10_ENKUlT_T0_E_clISt17integral_constantIbLb1EES1P_EEDaS1K_S1L_EUlS1K_E_NS1_11comp_targetILNS1_3genE3ELNS1_11target_archE908ELNS1_3gpuE7ELNS1_3repE0EEENS1_30default_config_static_selectorELNS0_4arch9wavefront6targetE1EEEvSY_,@function
_ZN7rocprim17ROCPRIM_400000_NS6detail17trampoline_kernelINS0_13select_configILj256ELj13ELNS0_17block_load_methodE3ELS4_3ELS4_3ELNS0_20block_scan_algorithmE0ELj4294967295EEENS1_25partition_config_selectorILNS1_17partition_subalgoE3EjNS0_10empty_typeEbEEZZNS1_14partition_implILS8_3ELb0ES6_jNS0_17counting_iteratorIjlEEPS9_SE_NS0_5tupleIJPjSE_EEENSF_IJSE_SE_EEES9_SG_JZNS1_25segmented_radix_sort_implINS0_14default_configELb1EPKfPfPKlPlN2at6native12_GLOBAL__N_18offset_tEEE10hipError_tPvRmT1_PNSt15iterator_traitsISY_E10value_typeET2_T3_PNSZ_IS14_E10value_typeET4_jRbjT5_S1A_jjP12ihipStream_tbEUljE_EEESV_SW_SX_S14_S18_S1A_T6_T7_T9_mT8_S1C_bDpT10_ENKUlT_T0_E_clISt17integral_constantIbLb1EES1P_EEDaS1K_S1L_EUlS1K_E_NS1_11comp_targetILNS1_3genE3ELNS1_11target_archE908ELNS1_3gpuE7ELNS1_3repE0EEENS1_30default_config_static_selectorELNS0_4arch9wavefront6targetE1EEEvSY_: ; @_ZN7rocprim17ROCPRIM_400000_NS6detail17trampoline_kernelINS0_13select_configILj256ELj13ELNS0_17block_load_methodE3ELS4_3ELS4_3ELNS0_20block_scan_algorithmE0ELj4294967295EEENS1_25partition_config_selectorILNS1_17partition_subalgoE3EjNS0_10empty_typeEbEEZZNS1_14partition_implILS8_3ELb0ES6_jNS0_17counting_iteratorIjlEEPS9_SE_NS0_5tupleIJPjSE_EEENSF_IJSE_SE_EEES9_SG_JZNS1_25segmented_radix_sort_implINS0_14default_configELb1EPKfPfPKlPlN2at6native12_GLOBAL__N_18offset_tEEE10hipError_tPvRmT1_PNSt15iterator_traitsISY_E10value_typeET2_T3_PNSZ_IS14_E10value_typeET4_jRbjT5_S1A_jjP12ihipStream_tbEUljE_EEESV_SW_SX_S14_S18_S1A_T6_T7_T9_mT8_S1C_bDpT10_ENKUlT_T0_E_clISt17integral_constantIbLb1EES1P_EEDaS1K_S1L_EUlS1K_E_NS1_11comp_targetILNS1_3genE3ELNS1_11target_archE908ELNS1_3gpuE7ELNS1_3repE0EEENS1_30default_config_static_selectorELNS0_4arch9wavefront6targetE1EEEvSY_
; %bb.0:
	.section	.rodata,"a",@progbits
	.p2align	6, 0x0
	.amdhsa_kernel _ZN7rocprim17ROCPRIM_400000_NS6detail17trampoline_kernelINS0_13select_configILj256ELj13ELNS0_17block_load_methodE3ELS4_3ELS4_3ELNS0_20block_scan_algorithmE0ELj4294967295EEENS1_25partition_config_selectorILNS1_17partition_subalgoE3EjNS0_10empty_typeEbEEZZNS1_14partition_implILS8_3ELb0ES6_jNS0_17counting_iteratorIjlEEPS9_SE_NS0_5tupleIJPjSE_EEENSF_IJSE_SE_EEES9_SG_JZNS1_25segmented_radix_sort_implINS0_14default_configELb1EPKfPfPKlPlN2at6native12_GLOBAL__N_18offset_tEEE10hipError_tPvRmT1_PNSt15iterator_traitsISY_E10value_typeET2_T3_PNSZ_IS14_E10value_typeET4_jRbjT5_S1A_jjP12ihipStream_tbEUljE_EEESV_SW_SX_S14_S18_S1A_T6_T7_T9_mT8_S1C_bDpT10_ENKUlT_T0_E_clISt17integral_constantIbLb1EES1P_EEDaS1K_S1L_EUlS1K_E_NS1_11comp_targetILNS1_3genE3ELNS1_11target_archE908ELNS1_3gpuE7ELNS1_3repE0EEENS1_30default_config_static_selectorELNS0_4arch9wavefront6targetE1EEEvSY_
		.amdhsa_group_segment_fixed_size 0
		.amdhsa_private_segment_fixed_size 0
		.amdhsa_kernarg_size 152
		.amdhsa_user_sgpr_count 6
		.amdhsa_user_sgpr_private_segment_buffer 1
		.amdhsa_user_sgpr_dispatch_ptr 0
		.amdhsa_user_sgpr_queue_ptr 0
		.amdhsa_user_sgpr_kernarg_segment_ptr 1
		.amdhsa_user_sgpr_dispatch_id 0
		.amdhsa_user_sgpr_flat_scratch_init 0
		.amdhsa_user_sgpr_private_segment_size 0
		.amdhsa_uses_dynamic_stack 0
		.amdhsa_system_sgpr_private_segment_wavefront_offset 0
		.amdhsa_system_sgpr_workgroup_id_x 1
		.amdhsa_system_sgpr_workgroup_id_y 0
		.amdhsa_system_sgpr_workgroup_id_z 0
		.amdhsa_system_sgpr_workgroup_info 0
		.amdhsa_system_vgpr_workitem_id 0
		.amdhsa_next_free_vgpr 1
		.amdhsa_next_free_sgpr 0
		.amdhsa_reserve_vcc 0
		.amdhsa_reserve_flat_scratch 0
		.amdhsa_float_round_mode_32 0
		.amdhsa_float_round_mode_16_64 0
		.amdhsa_float_denorm_mode_32 3
		.amdhsa_float_denorm_mode_16_64 3
		.amdhsa_dx10_clamp 1
		.amdhsa_ieee_mode 1
		.amdhsa_fp16_overflow 0
		.amdhsa_exception_fp_ieee_invalid_op 0
		.amdhsa_exception_fp_denorm_src 0
		.amdhsa_exception_fp_ieee_div_zero 0
		.amdhsa_exception_fp_ieee_overflow 0
		.amdhsa_exception_fp_ieee_underflow 0
		.amdhsa_exception_fp_ieee_inexact 0
		.amdhsa_exception_int_div_zero 0
	.end_amdhsa_kernel
	.section	.text._ZN7rocprim17ROCPRIM_400000_NS6detail17trampoline_kernelINS0_13select_configILj256ELj13ELNS0_17block_load_methodE3ELS4_3ELS4_3ELNS0_20block_scan_algorithmE0ELj4294967295EEENS1_25partition_config_selectorILNS1_17partition_subalgoE3EjNS0_10empty_typeEbEEZZNS1_14partition_implILS8_3ELb0ES6_jNS0_17counting_iteratorIjlEEPS9_SE_NS0_5tupleIJPjSE_EEENSF_IJSE_SE_EEES9_SG_JZNS1_25segmented_radix_sort_implINS0_14default_configELb1EPKfPfPKlPlN2at6native12_GLOBAL__N_18offset_tEEE10hipError_tPvRmT1_PNSt15iterator_traitsISY_E10value_typeET2_T3_PNSZ_IS14_E10value_typeET4_jRbjT5_S1A_jjP12ihipStream_tbEUljE_EEESV_SW_SX_S14_S18_S1A_T6_T7_T9_mT8_S1C_bDpT10_ENKUlT_T0_E_clISt17integral_constantIbLb1EES1P_EEDaS1K_S1L_EUlS1K_E_NS1_11comp_targetILNS1_3genE3ELNS1_11target_archE908ELNS1_3gpuE7ELNS1_3repE0EEENS1_30default_config_static_selectorELNS0_4arch9wavefront6targetE1EEEvSY_,"axG",@progbits,_ZN7rocprim17ROCPRIM_400000_NS6detail17trampoline_kernelINS0_13select_configILj256ELj13ELNS0_17block_load_methodE3ELS4_3ELS4_3ELNS0_20block_scan_algorithmE0ELj4294967295EEENS1_25partition_config_selectorILNS1_17partition_subalgoE3EjNS0_10empty_typeEbEEZZNS1_14partition_implILS8_3ELb0ES6_jNS0_17counting_iteratorIjlEEPS9_SE_NS0_5tupleIJPjSE_EEENSF_IJSE_SE_EEES9_SG_JZNS1_25segmented_radix_sort_implINS0_14default_configELb1EPKfPfPKlPlN2at6native12_GLOBAL__N_18offset_tEEE10hipError_tPvRmT1_PNSt15iterator_traitsISY_E10value_typeET2_T3_PNSZ_IS14_E10value_typeET4_jRbjT5_S1A_jjP12ihipStream_tbEUljE_EEESV_SW_SX_S14_S18_S1A_T6_T7_T9_mT8_S1C_bDpT10_ENKUlT_T0_E_clISt17integral_constantIbLb1EES1P_EEDaS1K_S1L_EUlS1K_E_NS1_11comp_targetILNS1_3genE3ELNS1_11target_archE908ELNS1_3gpuE7ELNS1_3repE0EEENS1_30default_config_static_selectorELNS0_4arch9wavefront6targetE1EEEvSY_,comdat
.Lfunc_end1304:
	.size	_ZN7rocprim17ROCPRIM_400000_NS6detail17trampoline_kernelINS0_13select_configILj256ELj13ELNS0_17block_load_methodE3ELS4_3ELS4_3ELNS0_20block_scan_algorithmE0ELj4294967295EEENS1_25partition_config_selectorILNS1_17partition_subalgoE3EjNS0_10empty_typeEbEEZZNS1_14partition_implILS8_3ELb0ES6_jNS0_17counting_iteratorIjlEEPS9_SE_NS0_5tupleIJPjSE_EEENSF_IJSE_SE_EEES9_SG_JZNS1_25segmented_radix_sort_implINS0_14default_configELb1EPKfPfPKlPlN2at6native12_GLOBAL__N_18offset_tEEE10hipError_tPvRmT1_PNSt15iterator_traitsISY_E10value_typeET2_T3_PNSZ_IS14_E10value_typeET4_jRbjT5_S1A_jjP12ihipStream_tbEUljE_EEESV_SW_SX_S14_S18_S1A_T6_T7_T9_mT8_S1C_bDpT10_ENKUlT_T0_E_clISt17integral_constantIbLb1EES1P_EEDaS1K_S1L_EUlS1K_E_NS1_11comp_targetILNS1_3genE3ELNS1_11target_archE908ELNS1_3gpuE7ELNS1_3repE0EEENS1_30default_config_static_selectorELNS0_4arch9wavefront6targetE1EEEvSY_, .Lfunc_end1304-_ZN7rocprim17ROCPRIM_400000_NS6detail17trampoline_kernelINS0_13select_configILj256ELj13ELNS0_17block_load_methodE3ELS4_3ELS4_3ELNS0_20block_scan_algorithmE0ELj4294967295EEENS1_25partition_config_selectorILNS1_17partition_subalgoE3EjNS0_10empty_typeEbEEZZNS1_14partition_implILS8_3ELb0ES6_jNS0_17counting_iteratorIjlEEPS9_SE_NS0_5tupleIJPjSE_EEENSF_IJSE_SE_EEES9_SG_JZNS1_25segmented_radix_sort_implINS0_14default_configELb1EPKfPfPKlPlN2at6native12_GLOBAL__N_18offset_tEEE10hipError_tPvRmT1_PNSt15iterator_traitsISY_E10value_typeET2_T3_PNSZ_IS14_E10value_typeET4_jRbjT5_S1A_jjP12ihipStream_tbEUljE_EEESV_SW_SX_S14_S18_S1A_T6_T7_T9_mT8_S1C_bDpT10_ENKUlT_T0_E_clISt17integral_constantIbLb1EES1P_EEDaS1K_S1L_EUlS1K_E_NS1_11comp_targetILNS1_3genE3ELNS1_11target_archE908ELNS1_3gpuE7ELNS1_3repE0EEENS1_30default_config_static_selectorELNS0_4arch9wavefront6targetE1EEEvSY_
                                        ; -- End function
	.set _ZN7rocprim17ROCPRIM_400000_NS6detail17trampoline_kernelINS0_13select_configILj256ELj13ELNS0_17block_load_methodE3ELS4_3ELS4_3ELNS0_20block_scan_algorithmE0ELj4294967295EEENS1_25partition_config_selectorILNS1_17partition_subalgoE3EjNS0_10empty_typeEbEEZZNS1_14partition_implILS8_3ELb0ES6_jNS0_17counting_iteratorIjlEEPS9_SE_NS0_5tupleIJPjSE_EEENSF_IJSE_SE_EEES9_SG_JZNS1_25segmented_radix_sort_implINS0_14default_configELb1EPKfPfPKlPlN2at6native12_GLOBAL__N_18offset_tEEE10hipError_tPvRmT1_PNSt15iterator_traitsISY_E10value_typeET2_T3_PNSZ_IS14_E10value_typeET4_jRbjT5_S1A_jjP12ihipStream_tbEUljE_EEESV_SW_SX_S14_S18_S1A_T6_T7_T9_mT8_S1C_bDpT10_ENKUlT_T0_E_clISt17integral_constantIbLb1EES1P_EEDaS1K_S1L_EUlS1K_E_NS1_11comp_targetILNS1_3genE3ELNS1_11target_archE908ELNS1_3gpuE7ELNS1_3repE0EEENS1_30default_config_static_selectorELNS0_4arch9wavefront6targetE1EEEvSY_.num_vgpr, 0
	.set _ZN7rocprim17ROCPRIM_400000_NS6detail17trampoline_kernelINS0_13select_configILj256ELj13ELNS0_17block_load_methodE3ELS4_3ELS4_3ELNS0_20block_scan_algorithmE0ELj4294967295EEENS1_25partition_config_selectorILNS1_17partition_subalgoE3EjNS0_10empty_typeEbEEZZNS1_14partition_implILS8_3ELb0ES6_jNS0_17counting_iteratorIjlEEPS9_SE_NS0_5tupleIJPjSE_EEENSF_IJSE_SE_EEES9_SG_JZNS1_25segmented_radix_sort_implINS0_14default_configELb1EPKfPfPKlPlN2at6native12_GLOBAL__N_18offset_tEEE10hipError_tPvRmT1_PNSt15iterator_traitsISY_E10value_typeET2_T3_PNSZ_IS14_E10value_typeET4_jRbjT5_S1A_jjP12ihipStream_tbEUljE_EEESV_SW_SX_S14_S18_S1A_T6_T7_T9_mT8_S1C_bDpT10_ENKUlT_T0_E_clISt17integral_constantIbLb1EES1P_EEDaS1K_S1L_EUlS1K_E_NS1_11comp_targetILNS1_3genE3ELNS1_11target_archE908ELNS1_3gpuE7ELNS1_3repE0EEENS1_30default_config_static_selectorELNS0_4arch9wavefront6targetE1EEEvSY_.num_agpr, 0
	.set _ZN7rocprim17ROCPRIM_400000_NS6detail17trampoline_kernelINS0_13select_configILj256ELj13ELNS0_17block_load_methodE3ELS4_3ELS4_3ELNS0_20block_scan_algorithmE0ELj4294967295EEENS1_25partition_config_selectorILNS1_17partition_subalgoE3EjNS0_10empty_typeEbEEZZNS1_14partition_implILS8_3ELb0ES6_jNS0_17counting_iteratorIjlEEPS9_SE_NS0_5tupleIJPjSE_EEENSF_IJSE_SE_EEES9_SG_JZNS1_25segmented_radix_sort_implINS0_14default_configELb1EPKfPfPKlPlN2at6native12_GLOBAL__N_18offset_tEEE10hipError_tPvRmT1_PNSt15iterator_traitsISY_E10value_typeET2_T3_PNSZ_IS14_E10value_typeET4_jRbjT5_S1A_jjP12ihipStream_tbEUljE_EEESV_SW_SX_S14_S18_S1A_T6_T7_T9_mT8_S1C_bDpT10_ENKUlT_T0_E_clISt17integral_constantIbLb1EES1P_EEDaS1K_S1L_EUlS1K_E_NS1_11comp_targetILNS1_3genE3ELNS1_11target_archE908ELNS1_3gpuE7ELNS1_3repE0EEENS1_30default_config_static_selectorELNS0_4arch9wavefront6targetE1EEEvSY_.numbered_sgpr, 0
	.set _ZN7rocprim17ROCPRIM_400000_NS6detail17trampoline_kernelINS0_13select_configILj256ELj13ELNS0_17block_load_methodE3ELS4_3ELS4_3ELNS0_20block_scan_algorithmE0ELj4294967295EEENS1_25partition_config_selectorILNS1_17partition_subalgoE3EjNS0_10empty_typeEbEEZZNS1_14partition_implILS8_3ELb0ES6_jNS0_17counting_iteratorIjlEEPS9_SE_NS0_5tupleIJPjSE_EEENSF_IJSE_SE_EEES9_SG_JZNS1_25segmented_radix_sort_implINS0_14default_configELb1EPKfPfPKlPlN2at6native12_GLOBAL__N_18offset_tEEE10hipError_tPvRmT1_PNSt15iterator_traitsISY_E10value_typeET2_T3_PNSZ_IS14_E10value_typeET4_jRbjT5_S1A_jjP12ihipStream_tbEUljE_EEESV_SW_SX_S14_S18_S1A_T6_T7_T9_mT8_S1C_bDpT10_ENKUlT_T0_E_clISt17integral_constantIbLb1EES1P_EEDaS1K_S1L_EUlS1K_E_NS1_11comp_targetILNS1_3genE3ELNS1_11target_archE908ELNS1_3gpuE7ELNS1_3repE0EEENS1_30default_config_static_selectorELNS0_4arch9wavefront6targetE1EEEvSY_.num_named_barrier, 0
	.set _ZN7rocprim17ROCPRIM_400000_NS6detail17trampoline_kernelINS0_13select_configILj256ELj13ELNS0_17block_load_methodE3ELS4_3ELS4_3ELNS0_20block_scan_algorithmE0ELj4294967295EEENS1_25partition_config_selectorILNS1_17partition_subalgoE3EjNS0_10empty_typeEbEEZZNS1_14partition_implILS8_3ELb0ES6_jNS0_17counting_iteratorIjlEEPS9_SE_NS0_5tupleIJPjSE_EEENSF_IJSE_SE_EEES9_SG_JZNS1_25segmented_radix_sort_implINS0_14default_configELb1EPKfPfPKlPlN2at6native12_GLOBAL__N_18offset_tEEE10hipError_tPvRmT1_PNSt15iterator_traitsISY_E10value_typeET2_T3_PNSZ_IS14_E10value_typeET4_jRbjT5_S1A_jjP12ihipStream_tbEUljE_EEESV_SW_SX_S14_S18_S1A_T6_T7_T9_mT8_S1C_bDpT10_ENKUlT_T0_E_clISt17integral_constantIbLb1EES1P_EEDaS1K_S1L_EUlS1K_E_NS1_11comp_targetILNS1_3genE3ELNS1_11target_archE908ELNS1_3gpuE7ELNS1_3repE0EEENS1_30default_config_static_selectorELNS0_4arch9wavefront6targetE1EEEvSY_.private_seg_size, 0
	.set _ZN7rocprim17ROCPRIM_400000_NS6detail17trampoline_kernelINS0_13select_configILj256ELj13ELNS0_17block_load_methodE3ELS4_3ELS4_3ELNS0_20block_scan_algorithmE0ELj4294967295EEENS1_25partition_config_selectorILNS1_17partition_subalgoE3EjNS0_10empty_typeEbEEZZNS1_14partition_implILS8_3ELb0ES6_jNS0_17counting_iteratorIjlEEPS9_SE_NS0_5tupleIJPjSE_EEENSF_IJSE_SE_EEES9_SG_JZNS1_25segmented_radix_sort_implINS0_14default_configELb1EPKfPfPKlPlN2at6native12_GLOBAL__N_18offset_tEEE10hipError_tPvRmT1_PNSt15iterator_traitsISY_E10value_typeET2_T3_PNSZ_IS14_E10value_typeET4_jRbjT5_S1A_jjP12ihipStream_tbEUljE_EEESV_SW_SX_S14_S18_S1A_T6_T7_T9_mT8_S1C_bDpT10_ENKUlT_T0_E_clISt17integral_constantIbLb1EES1P_EEDaS1K_S1L_EUlS1K_E_NS1_11comp_targetILNS1_3genE3ELNS1_11target_archE908ELNS1_3gpuE7ELNS1_3repE0EEENS1_30default_config_static_selectorELNS0_4arch9wavefront6targetE1EEEvSY_.uses_vcc, 0
	.set _ZN7rocprim17ROCPRIM_400000_NS6detail17trampoline_kernelINS0_13select_configILj256ELj13ELNS0_17block_load_methodE3ELS4_3ELS4_3ELNS0_20block_scan_algorithmE0ELj4294967295EEENS1_25partition_config_selectorILNS1_17partition_subalgoE3EjNS0_10empty_typeEbEEZZNS1_14partition_implILS8_3ELb0ES6_jNS0_17counting_iteratorIjlEEPS9_SE_NS0_5tupleIJPjSE_EEENSF_IJSE_SE_EEES9_SG_JZNS1_25segmented_radix_sort_implINS0_14default_configELb1EPKfPfPKlPlN2at6native12_GLOBAL__N_18offset_tEEE10hipError_tPvRmT1_PNSt15iterator_traitsISY_E10value_typeET2_T3_PNSZ_IS14_E10value_typeET4_jRbjT5_S1A_jjP12ihipStream_tbEUljE_EEESV_SW_SX_S14_S18_S1A_T6_T7_T9_mT8_S1C_bDpT10_ENKUlT_T0_E_clISt17integral_constantIbLb1EES1P_EEDaS1K_S1L_EUlS1K_E_NS1_11comp_targetILNS1_3genE3ELNS1_11target_archE908ELNS1_3gpuE7ELNS1_3repE0EEENS1_30default_config_static_selectorELNS0_4arch9wavefront6targetE1EEEvSY_.uses_flat_scratch, 0
	.set _ZN7rocprim17ROCPRIM_400000_NS6detail17trampoline_kernelINS0_13select_configILj256ELj13ELNS0_17block_load_methodE3ELS4_3ELS4_3ELNS0_20block_scan_algorithmE0ELj4294967295EEENS1_25partition_config_selectorILNS1_17partition_subalgoE3EjNS0_10empty_typeEbEEZZNS1_14partition_implILS8_3ELb0ES6_jNS0_17counting_iteratorIjlEEPS9_SE_NS0_5tupleIJPjSE_EEENSF_IJSE_SE_EEES9_SG_JZNS1_25segmented_radix_sort_implINS0_14default_configELb1EPKfPfPKlPlN2at6native12_GLOBAL__N_18offset_tEEE10hipError_tPvRmT1_PNSt15iterator_traitsISY_E10value_typeET2_T3_PNSZ_IS14_E10value_typeET4_jRbjT5_S1A_jjP12ihipStream_tbEUljE_EEESV_SW_SX_S14_S18_S1A_T6_T7_T9_mT8_S1C_bDpT10_ENKUlT_T0_E_clISt17integral_constantIbLb1EES1P_EEDaS1K_S1L_EUlS1K_E_NS1_11comp_targetILNS1_3genE3ELNS1_11target_archE908ELNS1_3gpuE7ELNS1_3repE0EEENS1_30default_config_static_selectorELNS0_4arch9wavefront6targetE1EEEvSY_.has_dyn_sized_stack, 0
	.set _ZN7rocprim17ROCPRIM_400000_NS6detail17trampoline_kernelINS0_13select_configILj256ELj13ELNS0_17block_load_methodE3ELS4_3ELS4_3ELNS0_20block_scan_algorithmE0ELj4294967295EEENS1_25partition_config_selectorILNS1_17partition_subalgoE3EjNS0_10empty_typeEbEEZZNS1_14partition_implILS8_3ELb0ES6_jNS0_17counting_iteratorIjlEEPS9_SE_NS0_5tupleIJPjSE_EEENSF_IJSE_SE_EEES9_SG_JZNS1_25segmented_radix_sort_implINS0_14default_configELb1EPKfPfPKlPlN2at6native12_GLOBAL__N_18offset_tEEE10hipError_tPvRmT1_PNSt15iterator_traitsISY_E10value_typeET2_T3_PNSZ_IS14_E10value_typeET4_jRbjT5_S1A_jjP12ihipStream_tbEUljE_EEESV_SW_SX_S14_S18_S1A_T6_T7_T9_mT8_S1C_bDpT10_ENKUlT_T0_E_clISt17integral_constantIbLb1EES1P_EEDaS1K_S1L_EUlS1K_E_NS1_11comp_targetILNS1_3genE3ELNS1_11target_archE908ELNS1_3gpuE7ELNS1_3repE0EEENS1_30default_config_static_selectorELNS0_4arch9wavefront6targetE1EEEvSY_.has_recursion, 0
	.set _ZN7rocprim17ROCPRIM_400000_NS6detail17trampoline_kernelINS0_13select_configILj256ELj13ELNS0_17block_load_methodE3ELS4_3ELS4_3ELNS0_20block_scan_algorithmE0ELj4294967295EEENS1_25partition_config_selectorILNS1_17partition_subalgoE3EjNS0_10empty_typeEbEEZZNS1_14partition_implILS8_3ELb0ES6_jNS0_17counting_iteratorIjlEEPS9_SE_NS0_5tupleIJPjSE_EEENSF_IJSE_SE_EEES9_SG_JZNS1_25segmented_radix_sort_implINS0_14default_configELb1EPKfPfPKlPlN2at6native12_GLOBAL__N_18offset_tEEE10hipError_tPvRmT1_PNSt15iterator_traitsISY_E10value_typeET2_T3_PNSZ_IS14_E10value_typeET4_jRbjT5_S1A_jjP12ihipStream_tbEUljE_EEESV_SW_SX_S14_S18_S1A_T6_T7_T9_mT8_S1C_bDpT10_ENKUlT_T0_E_clISt17integral_constantIbLb1EES1P_EEDaS1K_S1L_EUlS1K_E_NS1_11comp_targetILNS1_3genE3ELNS1_11target_archE908ELNS1_3gpuE7ELNS1_3repE0EEENS1_30default_config_static_selectorELNS0_4arch9wavefront6targetE1EEEvSY_.has_indirect_call, 0
	.section	.AMDGPU.csdata,"",@progbits
; Kernel info:
; codeLenInByte = 0
; TotalNumSgprs: 4
; NumVgprs: 0
; ScratchSize: 0
; MemoryBound: 0
; FloatMode: 240
; IeeeMode: 1
; LDSByteSize: 0 bytes/workgroup (compile time only)
; SGPRBlocks: 0
; VGPRBlocks: 0
; NumSGPRsForWavesPerEU: 4
; NumVGPRsForWavesPerEU: 1
; Occupancy: 10
; WaveLimiterHint : 0
; COMPUTE_PGM_RSRC2:SCRATCH_EN: 0
; COMPUTE_PGM_RSRC2:USER_SGPR: 6
; COMPUTE_PGM_RSRC2:TRAP_HANDLER: 0
; COMPUTE_PGM_RSRC2:TGID_X_EN: 1
; COMPUTE_PGM_RSRC2:TGID_Y_EN: 0
; COMPUTE_PGM_RSRC2:TGID_Z_EN: 0
; COMPUTE_PGM_RSRC2:TIDIG_COMP_CNT: 0
	.section	.text._ZN7rocprim17ROCPRIM_400000_NS6detail17trampoline_kernelINS0_13select_configILj256ELj13ELNS0_17block_load_methodE3ELS4_3ELS4_3ELNS0_20block_scan_algorithmE0ELj4294967295EEENS1_25partition_config_selectorILNS1_17partition_subalgoE3EjNS0_10empty_typeEbEEZZNS1_14partition_implILS8_3ELb0ES6_jNS0_17counting_iteratorIjlEEPS9_SE_NS0_5tupleIJPjSE_EEENSF_IJSE_SE_EEES9_SG_JZNS1_25segmented_radix_sort_implINS0_14default_configELb1EPKfPfPKlPlN2at6native12_GLOBAL__N_18offset_tEEE10hipError_tPvRmT1_PNSt15iterator_traitsISY_E10value_typeET2_T3_PNSZ_IS14_E10value_typeET4_jRbjT5_S1A_jjP12ihipStream_tbEUljE_EEESV_SW_SX_S14_S18_S1A_T6_T7_T9_mT8_S1C_bDpT10_ENKUlT_T0_E_clISt17integral_constantIbLb1EES1P_EEDaS1K_S1L_EUlS1K_E_NS1_11comp_targetILNS1_3genE2ELNS1_11target_archE906ELNS1_3gpuE6ELNS1_3repE0EEENS1_30default_config_static_selectorELNS0_4arch9wavefront6targetE1EEEvSY_,"axG",@progbits,_ZN7rocprim17ROCPRIM_400000_NS6detail17trampoline_kernelINS0_13select_configILj256ELj13ELNS0_17block_load_methodE3ELS4_3ELS4_3ELNS0_20block_scan_algorithmE0ELj4294967295EEENS1_25partition_config_selectorILNS1_17partition_subalgoE3EjNS0_10empty_typeEbEEZZNS1_14partition_implILS8_3ELb0ES6_jNS0_17counting_iteratorIjlEEPS9_SE_NS0_5tupleIJPjSE_EEENSF_IJSE_SE_EEES9_SG_JZNS1_25segmented_radix_sort_implINS0_14default_configELb1EPKfPfPKlPlN2at6native12_GLOBAL__N_18offset_tEEE10hipError_tPvRmT1_PNSt15iterator_traitsISY_E10value_typeET2_T3_PNSZ_IS14_E10value_typeET4_jRbjT5_S1A_jjP12ihipStream_tbEUljE_EEESV_SW_SX_S14_S18_S1A_T6_T7_T9_mT8_S1C_bDpT10_ENKUlT_T0_E_clISt17integral_constantIbLb1EES1P_EEDaS1K_S1L_EUlS1K_E_NS1_11comp_targetILNS1_3genE2ELNS1_11target_archE906ELNS1_3gpuE6ELNS1_3repE0EEENS1_30default_config_static_selectorELNS0_4arch9wavefront6targetE1EEEvSY_,comdat
	.globl	_ZN7rocprim17ROCPRIM_400000_NS6detail17trampoline_kernelINS0_13select_configILj256ELj13ELNS0_17block_load_methodE3ELS4_3ELS4_3ELNS0_20block_scan_algorithmE0ELj4294967295EEENS1_25partition_config_selectorILNS1_17partition_subalgoE3EjNS0_10empty_typeEbEEZZNS1_14partition_implILS8_3ELb0ES6_jNS0_17counting_iteratorIjlEEPS9_SE_NS0_5tupleIJPjSE_EEENSF_IJSE_SE_EEES9_SG_JZNS1_25segmented_radix_sort_implINS0_14default_configELb1EPKfPfPKlPlN2at6native12_GLOBAL__N_18offset_tEEE10hipError_tPvRmT1_PNSt15iterator_traitsISY_E10value_typeET2_T3_PNSZ_IS14_E10value_typeET4_jRbjT5_S1A_jjP12ihipStream_tbEUljE_EEESV_SW_SX_S14_S18_S1A_T6_T7_T9_mT8_S1C_bDpT10_ENKUlT_T0_E_clISt17integral_constantIbLb1EES1P_EEDaS1K_S1L_EUlS1K_E_NS1_11comp_targetILNS1_3genE2ELNS1_11target_archE906ELNS1_3gpuE6ELNS1_3repE0EEENS1_30default_config_static_selectorELNS0_4arch9wavefront6targetE1EEEvSY_ ; -- Begin function _ZN7rocprim17ROCPRIM_400000_NS6detail17trampoline_kernelINS0_13select_configILj256ELj13ELNS0_17block_load_methodE3ELS4_3ELS4_3ELNS0_20block_scan_algorithmE0ELj4294967295EEENS1_25partition_config_selectorILNS1_17partition_subalgoE3EjNS0_10empty_typeEbEEZZNS1_14partition_implILS8_3ELb0ES6_jNS0_17counting_iteratorIjlEEPS9_SE_NS0_5tupleIJPjSE_EEENSF_IJSE_SE_EEES9_SG_JZNS1_25segmented_radix_sort_implINS0_14default_configELb1EPKfPfPKlPlN2at6native12_GLOBAL__N_18offset_tEEE10hipError_tPvRmT1_PNSt15iterator_traitsISY_E10value_typeET2_T3_PNSZ_IS14_E10value_typeET4_jRbjT5_S1A_jjP12ihipStream_tbEUljE_EEESV_SW_SX_S14_S18_S1A_T6_T7_T9_mT8_S1C_bDpT10_ENKUlT_T0_E_clISt17integral_constantIbLb1EES1P_EEDaS1K_S1L_EUlS1K_E_NS1_11comp_targetILNS1_3genE2ELNS1_11target_archE906ELNS1_3gpuE6ELNS1_3repE0EEENS1_30default_config_static_selectorELNS0_4arch9wavefront6targetE1EEEvSY_
	.p2align	8
	.type	_ZN7rocprim17ROCPRIM_400000_NS6detail17trampoline_kernelINS0_13select_configILj256ELj13ELNS0_17block_load_methodE3ELS4_3ELS4_3ELNS0_20block_scan_algorithmE0ELj4294967295EEENS1_25partition_config_selectorILNS1_17partition_subalgoE3EjNS0_10empty_typeEbEEZZNS1_14partition_implILS8_3ELb0ES6_jNS0_17counting_iteratorIjlEEPS9_SE_NS0_5tupleIJPjSE_EEENSF_IJSE_SE_EEES9_SG_JZNS1_25segmented_radix_sort_implINS0_14default_configELb1EPKfPfPKlPlN2at6native12_GLOBAL__N_18offset_tEEE10hipError_tPvRmT1_PNSt15iterator_traitsISY_E10value_typeET2_T3_PNSZ_IS14_E10value_typeET4_jRbjT5_S1A_jjP12ihipStream_tbEUljE_EEESV_SW_SX_S14_S18_S1A_T6_T7_T9_mT8_S1C_bDpT10_ENKUlT_T0_E_clISt17integral_constantIbLb1EES1P_EEDaS1K_S1L_EUlS1K_E_NS1_11comp_targetILNS1_3genE2ELNS1_11target_archE906ELNS1_3gpuE6ELNS1_3repE0EEENS1_30default_config_static_selectorELNS0_4arch9wavefront6targetE1EEEvSY_,@function
_ZN7rocprim17ROCPRIM_400000_NS6detail17trampoline_kernelINS0_13select_configILj256ELj13ELNS0_17block_load_methodE3ELS4_3ELS4_3ELNS0_20block_scan_algorithmE0ELj4294967295EEENS1_25partition_config_selectorILNS1_17partition_subalgoE3EjNS0_10empty_typeEbEEZZNS1_14partition_implILS8_3ELb0ES6_jNS0_17counting_iteratorIjlEEPS9_SE_NS0_5tupleIJPjSE_EEENSF_IJSE_SE_EEES9_SG_JZNS1_25segmented_radix_sort_implINS0_14default_configELb1EPKfPfPKlPlN2at6native12_GLOBAL__N_18offset_tEEE10hipError_tPvRmT1_PNSt15iterator_traitsISY_E10value_typeET2_T3_PNSZ_IS14_E10value_typeET4_jRbjT5_S1A_jjP12ihipStream_tbEUljE_EEESV_SW_SX_S14_S18_S1A_T6_T7_T9_mT8_S1C_bDpT10_ENKUlT_T0_E_clISt17integral_constantIbLb1EES1P_EEDaS1K_S1L_EUlS1K_E_NS1_11comp_targetILNS1_3genE2ELNS1_11target_archE906ELNS1_3gpuE6ELNS1_3repE0EEENS1_30default_config_static_selectorELNS0_4arch9wavefront6targetE1EEEvSY_: ; @_ZN7rocprim17ROCPRIM_400000_NS6detail17trampoline_kernelINS0_13select_configILj256ELj13ELNS0_17block_load_methodE3ELS4_3ELS4_3ELNS0_20block_scan_algorithmE0ELj4294967295EEENS1_25partition_config_selectorILNS1_17partition_subalgoE3EjNS0_10empty_typeEbEEZZNS1_14partition_implILS8_3ELb0ES6_jNS0_17counting_iteratorIjlEEPS9_SE_NS0_5tupleIJPjSE_EEENSF_IJSE_SE_EEES9_SG_JZNS1_25segmented_radix_sort_implINS0_14default_configELb1EPKfPfPKlPlN2at6native12_GLOBAL__N_18offset_tEEE10hipError_tPvRmT1_PNSt15iterator_traitsISY_E10value_typeET2_T3_PNSZ_IS14_E10value_typeET4_jRbjT5_S1A_jjP12ihipStream_tbEUljE_EEESV_SW_SX_S14_S18_S1A_T6_T7_T9_mT8_S1C_bDpT10_ENKUlT_T0_E_clISt17integral_constantIbLb1EES1P_EEDaS1K_S1L_EUlS1K_E_NS1_11comp_targetILNS1_3genE2ELNS1_11target_archE906ELNS1_3gpuE6ELNS1_3repE0EEENS1_30default_config_static_selectorELNS0_4arch9wavefront6targetE1EEEvSY_
; %bb.0:
	s_endpgm
	.section	.rodata,"a",@progbits
	.p2align	6, 0x0
	.amdhsa_kernel _ZN7rocprim17ROCPRIM_400000_NS6detail17trampoline_kernelINS0_13select_configILj256ELj13ELNS0_17block_load_methodE3ELS4_3ELS4_3ELNS0_20block_scan_algorithmE0ELj4294967295EEENS1_25partition_config_selectorILNS1_17partition_subalgoE3EjNS0_10empty_typeEbEEZZNS1_14partition_implILS8_3ELb0ES6_jNS0_17counting_iteratorIjlEEPS9_SE_NS0_5tupleIJPjSE_EEENSF_IJSE_SE_EEES9_SG_JZNS1_25segmented_radix_sort_implINS0_14default_configELb1EPKfPfPKlPlN2at6native12_GLOBAL__N_18offset_tEEE10hipError_tPvRmT1_PNSt15iterator_traitsISY_E10value_typeET2_T3_PNSZ_IS14_E10value_typeET4_jRbjT5_S1A_jjP12ihipStream_tbEUljE_EEESV_SW_SX_S14_S18_S1A_T6_T7_T9_mT8_S1C_bDpT10_ENKUlT_T0_E_clISt17integral_constantIbLb1EES1P_EEDaS1K_S1L_EUlS1K_E_NS1_11comp_targetILNS1_3genE2ELNS1_11target_archE906ELNS1_3gpuE6ELNS1_3repE0EEENS1_30default_config_static_selectorELNS0_4arch9wavefront6targetE1EEEvSY_
		.amdhsa_group_segment_fixed_size 0
		.amdhsa_private_segment_fixed_size 0
		.amdhsa_kernarg_size 152
		.amdhsa_user_sgpr_count 6
		.amdhsa_user_sgpr_private_segment_buffer 1
		.amdhsa_user_sgpr_dispatch_ptr 0
		.amdhsa_user_sgpr_queue_ptr 0
		.amdhsa_user_sgpr_kernarg_segment_ptr 1
		.amdhsa_user_sgpr_dispatch_id 0
		.amdhsa_user_sgpr_flat_scratch_init 0
		.amdhsa_user_sgpr_private_segment_size 0
		.amdhsa_uses_dynamic_stack 0
		.amdhsa_system_sgpr_private_segment_wavefront_offset 0
		.amdhsa_system_sgpr_workgroup_id_x 1
		.amdhsa_system_sgpr_workgroup_id_y 0
		.amdhsa_system_sgpr_workgroup_id_z 0
		.amdhsa_system_sgpr_workgroup_info 0
		.amdhsa_system_vgpr_workitem_id 0
		.amdhsa_next_free_vgpr 1
		.amdhsa_next_free_sgpr 0
		.amdhsa_reserve_vcc 0
		.amdhsa_reserve_flat_scratch 0
		.amdhsa_float_round_mode_32 0
		.amdhsa_float_round_mode_16_64 0
		.amdhsa_float_denorm_mode_32 3
		.amdhsa_float_denorm_mode_16_64 3
		.amdhsa_dx10_clamp 1
		.amdhsa_ieee_mode 1
		.amdhsa_fp16_overflow 0
		.amdhsa_exception_fp_ieee_invalid_op 0
		.amdhsa_exception_fp_denorm_src 0
		.amdhsa_exception_fp_ieee_div_zero 0
		.amdhsa_exception_fp_ieee_overflow 0
		.amdhsa_exception_fp_ieee_underflow 0
		.amdhsa_exception_fp_ieee_inexact 0
		.amdhsa_exception_int_div_zero 0
	.end_amdhsa_kernel
	.section	.text._ZN7rocprim17ROCPRIM_400000_NS6detail17trampoline_kernelINS0_13select_configILj256ELj13ELNS0_17block_load_methodE3ELS4_3ELS4_3ELNS0_20block_scan_algorithmE0ELj4294967295EEENS1_25partition_config_selectorILNS1_17partition_subalgoE3EjNS0_10empty_typeEbEEZZNS1_14partition_implILS8_3ELb0ES6_jNS0_17counting_iteratorIjlEEPS9_SE_NS0_5tupleIJPjSE_EEENSF_IJSE_SE_EEES9_SG_JZNS1_25segmented_radix_sort_implINS0_14default_configELb1EPKfPfPKlPlN2at6native12_GLOBAL__N_18offset_tEEE10hipError_tPvRmT1_PNSt15iterator_traitsISY_E10value_typeET2_T3_PNSZ_IS14_E10value_typeET4_jRbjT5_S1A_jjP12ihipStream_tbEUljE_EEESV_SW_SX_S14_S18_S1A_T6_T7_T9_mT8_S1C_bDpT10_ENKUlT_T0_E_clISt17integral_constantIbLb1EES1P_EEDaS1K_S1L_EUlS1K_E_NS1_11comp_targetILNS1_3genE2ELNS1_11target_archE906ELNS1_3gpuE6ELNS1_3repE0EEENS1_30default_config_static_selectorELNS0_4arch9wavefront6targetE1EEEvSY_,"axG",@progbits,_ZN7rocprim17ROCPRIM_400000_NS6detail17trampoline_kernelINS0_13select_configILj256ELj13ELNS0_17block_load_methodE3ELS4_3ELS4_3ELNS0_20block_scan_algorithmE0ELj4294967295EEENS1_25partition_config_selectorILNS1_17partition_subalgoE3EjNS0_10empty_typeEbEEZZNS1_14partition_implILS8_3ELb0ES6_jNS0_17counting_iteratorIjlEEPS9_SE_NS0_5tupleIJPjSE_EEENSF_IJSE_SE_EEES9_SG_JZNS1_25segmented_radix_sort_implINS0_14default_configELb1EPKfPfPKlPlN2at6native12_GLOBAL__N_18offset_tEEE10hipError_tPvRmT1_PNSt15iterator_traitsISY_E10value_typeET2_T3_PNSZ_IS14_E10value_typeET4_jRbjT5_S1A_jjP12ihipStream_tbEUljE_EEESV_SW_SX_S14_S18_S1A_T6_T7_T9_mT8_S1C_bDpT10_ENKUlT_T0_E_clISt17integral_constantIbLb1EES1P_EEDaS1K_S1L_EUlS1K_E_NS1_11comp_targetILNS1_3genE2ELNS1_11target_archE906ELNS1_3gpuE6ELNS1_3repE0EEENS1_30default_config_static_selectorELNS0_4arch9wavefront6targetE1EEEvSY_,comdat
.Lfunc_end1305:
	.size	_ZN7rocprim17ROCPRIM_400000_NS6detail17trampoline_kernelINS0_13select_configILj256ELj13ELNS0_17block_load_methodE3ELS4_3ELS4_3ELNS0_20block_scan_algorithmE0ELj4294967295EEENS1_25partition_config_selectorILNS1_17partition_subalgoE3EjNS0_10empty_typeEbEEZZNS1_14partition_implILS8_3ELb0ES6_jNS0_17counting_iteratorIjlEEPS9_SE_NS0_5tupleIJPjSE_EEENSF_IJSE_SE_EEES9_SG_JZNS1_25segmented_radix_sort_implINS0_14default_configELb1EPKfPfPKlPlN2at6native12_GLOBAL__N_18offset_tEEE10hipError_tPvRmT1_PNSt15iterator_traitsISY_E10value_typeET2_T3_PNSZ_IS14_E10value_typeET4_jRbjT5_S1A_jjP12ihipStream_tbEUljE_EEESV_SW_SX_S14_S18_S1A_T6_T7_T9_mT8_S1C_bDpT10_ENKUlT_T0_E_clISt17integral_constantIbLb1EES1P_EEDaS1K_S1L_EUlS1K_E_NS1_11comp_targetILNS1_3genE2ELNS1_11target_archE906ELNS1_3gpuE6ELNS1_3repE0EEENS1_30default_config_static_selectorELNS0_4arch9wavefront6targetE1EEEvSY_, .Lfunc_end1305-_ZN7rocprim17ROCPRIM_400000_NS6detail17trampoline_kernelINS0_13select_configILj256ELj13ELNS0_17block_load_methodE3ELS4_3ELS4_3ELNS0_20block_scan_algorithmE0ELj4294967295EEENS1_25partition_config_selectorILNS1_17partition_subalgoE3EjNS0_10empty_typeEbEEZZNS1_14partition_implILS8_3ELb0ES6_jNS0_17counting_iteratorIjlEEPS9_SE_NS0_5tupleIJPjSE_EEENSF_IJSE_SE_EEES9_SG_JZNS1_25segmented_radix_sort_implINS0_14default_configELb1EPKfPfPKlPlN2at6native12_GLOBAL__N_18offset_tEEE10hipError_tPvRmT1_PNSt15iterator_traitsISY_E10value_typeET2_T3_PNSZ_IS14_E10value_typeET4_jRbjT5_S1A_jjP12ihipStream_tbEUljE_EEESV_SW_SX_S14_S18_S1A_T6_T7_T9_mT8_S1C_bDpT10_ENKUlT_T0_E_clISt17integral_constantIbLb1EES1P_EEDaS1K_S1L_EUlS1K_E_NS1_11comp_targetILNS1_3genE2ELNS1_11target_archE906ELNS1_3gpuE6ELNS1_3repE0EEENS1_30default_config_static_selectorELNS0_4arch9wavefront6targetE1EEEvSY_
                                        ; -- End function
	.set _ZN7rocprim17ROCPRIM_400000_NS6detail17trampoline_kernelINS0_13select_configILj256ELj13ELNS0_17block_load_methodE3ELS4_3ELS4_3ELNS0_20block_scan_algorithmE0ELj4294967295EEENS1_25partition_config_selectorILNS1_17partition_subalgoE3EjNS0_10empty_typeEbEEZZNS1_14partition_implILS8_3ELb0ES6_jNS0_17counting_iteratorIjlEEPS9_SE_NS0_5tupleIJPjSE_EEENSF_IJSE_SE_EEES9_SG_JZNS1_25segmented_radix_sort_implINS0_14default_configELb1EPKfPfPKlPlN2at6native12_GLOBAL__N_18offset_tEEE10hipError_tPvRmT1_PNSt15iterator_traitsISY_E10value_typeET2_T3_PNSZ_IS14_E10value_typeET4_jRbjT5_S1A_jjP12ihipStream_tbEUljE_EEESV_SW_SX_S14_S18_S1A_T6_T7_T9_mT8_S1C_bDpT10_ENKUlT_T0_E_clISt17integral_constantIbLb1EES1P_EEDaS1K_S1L_EUlS1K_E_NS1_11comp_targetILNS1_3genE2ELNS1_11target_archE906ELNS1_3gpuE6ELNS1_3repE0EEENS1_30default_config_static_selectorELNS0_4arch9wavefront6targetE1EEEvSY_.num_vgpr, 0
	.set _ZN7rocprim17ROCPRIM_400000_NS6detail17trampoline_kernelINS0_13select_configILj256ELj13ELNS0_17block_load_methodE3ELS4_3ELS4_3ELNS0_20block_scan_algorithmE0ELj4294967295EEENS1_25partition_config_selectorILNS1_17partition_subalgoE3EjNS0_10empty_typeEbEEZZNS1_14partition_implILS8_3ELb0ES6_jNS0_17counting_iteratorIjlEEPS9_SE_NS0_5tupleIJPjSE_EEENSF_IJSE_SE_EEES9_SG_JZNS1_25segmented_radix_sort_implINS0_14default_configELb1EPKfPfPKlPlN2at6native12_GLOBAL__N_18offset_tEEE10hipError_tPvRmT1_PNSt15iterator_traitsISY_E10value_typeET2_T3_PNSZ_IS14_E10value_typeET4_jRbjT5_S1A_jjP12ihipStream_tbEUljE_EEESV_SW_SX_S14_S18_S1A_T6_T7_T9_mT8_S1C_bDpT10_ENKUlT_T0_E_clISt17integral_constantIbLb1EES1P_EEDaS1K_S1L_EUlS1K_E_NS1_11comp_targetILNS1_3genE2ELNS1_11target_archE906ELNS1_3gpuE6ELNS1_3repE0EEENS1_30default_config_static_selectorELNS0_4arch9wavefront6targetE1EEEvSY_.num_agpr, 0
	.set _ZN7rocprim17ROCPRIM_400000_NS6detail17trampoline_kernelINS0_13select_configILj256ELj13ELNS0_17block_load_methodE3ELS4_3ELS4_3ELNS0_20block_scan_algorithmE0ELj4294967295EEENS1_25partition_config_selectorILNS1_17partition_subalgoE3EjNS0_10empty_typeEbEEZZNS1_14partition_implILS8_3ELb0ES6_jNS0_17counting_iteratorIjlEEPS9_SE_NS0_5tupleIJPjSE_EEENSF_IJSE_SE_EEES9_SG_JZNS1_25segmented_radix_sort_implINS0_14default_configELb1EPKfPfPKlPlN2at6native12_GLOBAL__N_18offset_tEEE10hipError_tPvRmT1_PNSt15iterator_traitsISY_E10value_typeET2_T3_PNSZ_IS14_E10value_typeET4_jRbjT5_S1A_jjP12ihipStream_tbEUljE_EEESV_SW_SX_S14_S18_S1A_T6_T7_T9_mT8_S1C_bDpT10_ENKUlT_T0_E_clISt17integral_constantIbLb1EES1P_EEDaS1K_S1L_EUlS1K_E_NS1_11comp_targetILNS1_3genE2ELNS1_11target_archE906ELNS1_3gpuE6ELNS1_3repE0EEENS1_30default_config_static_selectorELNS0_4arch9wavefront6targetE1EEEvSY_.numbered_sgpr, 0
	.set _ZN7rocprim17ROCPRIM_400000_NS6detail17trampoline_kernelINS0_13select_configILj256ELj13ELNS0_17block_load_methodE3ELS4_3ELS4_3ELNS0_20block_scan_algorithmE0ELj4294967295EEENS1_25partition_config_selectorILNS1_17partition_subalgoE3EjNS0_10empty_typeEbEEZZNS1_14partition_implILS8_3ELb0ES6_jNS0_17counting_iteratorIjlEEPS9_SE_NS0_5tupleIJPjSE_EEENSF_IJSE_SE_EEES9_SG_JZNS1_25segmented_radix_sort_implINS0_14default_configELb1EPKfPfPKlPlN2at6native12_GLOBAL__N_18offset_tEEE10hipError_tPvRmT1_PNSt15iterator_traitsISY_E10value_typeET2_T3_PNSZ_IS14_E10value_typeET4_jRbjT5_S1A_jjP12ihipStream_tbEUljE_EEESV_SW_SX_S14_S18_S1A_T6_T7_T9_mT8_S1C_bDpT10_ENKUlT_T0_E_clISt17integral_constantIbLb1EES1P_EEDaS1K_S1L_EUlS1K_E_NS1_11comp_targetILNS1_3genE2ELNS1_11target_archE906ELNS1_3gpuE6ELNS1_3repE0EEENS1_30default_config_static_selectorELNS0_4arch9wavefront6targetE1EEEvSY_.num_named_barrier, 0
	.set _ZN7rocprim17ROCPRIM_400000_NS6detail17trampoline_kernelINS0_13select_configILj256ELj13ELNS0_17block_load_methodE3ELS4_3ELS4_3ELNS0_20block_scan_algorithmE0ELj4294967295EEENS1_25partition_config_selectorILNS1_17partition_subalgoE3EjNS0_10empty_typeEbEEZZNS1_14partition_implILS8_3ELb0ES6_jNS0_17counting_iteratorIjlEEPS9_SE_NS0_5tupleIJPjSE_EEENSF_IJSE_SE_EEES9_SG_JZNS1_25segmented_radix_sort_implINS0_14default_configELb1EPKfPfPKlPlN2at6native12_GLOBAL__N_18offset_tEEE10hipError_tPvRmT1_PNSt15iterator_traitsISY_E10value_typeET2_T3_PNSZ_IS14_E10value_typeET4_jRbjT5_S1A_jjP12ihipStream_tbEUljE_EEESV_SW_SX_S14_S18_S1A_T6_T7_T9_mT8_S1C_bDpT10_ENKUlT_T0_E_clISt17integral_constantIbLb1EES1P_EEDaS1K_S1L_EUlS1K_E_NS1_11comp_targetILNS1_3genE2ELNS1_11target_archE906ELNS1_3gpuE6ELNS1_3repE0EEENS1_30default_config_static_selectorELNS0_4arch9wavefront6targetE1EEEvSY_.private_seg_size, 0
	.set _ZN7rocprim17ROCPRIM_400000_NS6detail17trampoline_kernelINS0_13select_configILj256ELj13ELNS0_17block_load_methodE3ELS4_3ELS4_3ELNS0_20block_scan_algorithmE0ELj4294967295EEENS1_25partition_config_selectorILNS1_17partition_subalgoE3EjNS0_10empty_typeEbEEZZNS1_14partition_implILS8_3ELb0ES6_jNS0_17counting_iteratorIjlEEPS9_SE_NS0_5tupleIJPjSE_EEENSF_IJSE_SE_EEES9_SG_JZNS1_25segmented_radix_sort_implINS0_14default_configELb1EPKfPfPKlPlN2at6native12_GLOBAL__N_18offset_tEEE10hipError_tPvRmT1_PNSt15iterator_traitsISY_E10value_typeET2_T3_PNSZ_IS14_E10value_typeET4_jRbjT5_S1A_jjP12ihipStream_tbEUljE_EEESV_SW_SX_S14_S18_S1A_T6_T7_T9_mT8_S1C_bDpT10_ENKUlT_T0_E_clISt17integral_constantIbLb1EES1P_EEDaS1K_S1L_EUlS1K_E_NS1_11comp_targetILNS1_3genE2ELNS1_11target_archE906ELNS1_3gpuE6ELNS1_3repE0EEENS1_30default_config_static_selectorELNS0_4arch9wavefront6targetE1EEEvSY_.uses_vcc, 0
	.set _ZN7rocprim17ROCPRIM_400000_NS6detail17trampoline_kernelINS0_13select_configILj256ELj13ELNS0_17block_load_methodE3ELS4_3ELS4_3ELNS0_20block_scan_algorithmE0ELj4294967295EEENS1_25partition_config_selectorILNS1_17partition_subalgoE3EjNS0_10empty_typeEbEEZZNS1_14partition_implILS8_3ELb0ES6_jNS0_17counting_iteratorIjlEEPS9_SE_NS0_5tupleIJPjSE_EEENSF_IJSE_SE_EEES9_SG_JZNS1_25segmented_radix_sort_implINS0_14default_configELb1EPKfPfPKlPlN2at6native12_GLOBAL__N_18offset_tEEE10hipError_tPvRmT1_PNSt15iterator_traitsISY_E10value_typeET2_T3_PNSZ_IS14_E10value_typeET4_jRbjT5_S1A_jjP12ihipStream_tbEUljE_EEESV_SW_SX_S14_S18_S1A_T6_T7_T9_mT8_S1C_bDpT10_ENKUlT_T0_E_clISt17integral_constantIbLb1EES1P_EEDaS1K_S1L_EUlS1K_E_NS1_11comp_targetILNS1_3genE2ELNS1_11target_archE906ELNS1_3gpuE6ELNS1_3repE0EEENS1_30default_config_static_selectorELNS0_4arch9wavefront6targetE1EEEvSY_.uses_flat_scratch, 0
	.set _ZN7rocprim17ROCPRIM_400000_NS6detail17trampoline_kernelINS0_13select_configILj256ELj13ELNS0_17block_load_methodE3ELS4_3ELS4_3ELNS0_20block_scan_algorithmE0ELj4294967295EEENS1_25partition_config_selectorILNS1_17partition_subalgoE3EjNS0_10empty_typeEbEEZZNS1_14partition_implILS8_3ELb0ES6_jNS0_17counting_iteratorIjlEEPS9_SE_NS0_5tupleIJPjSE_EEENSF_IJSE_SE_EEES9_SG_JZNS1_25segmented_radix_sort_implINS0_14default_configELb1EPKfPfPKlPlN2at6native12_GLOBAL__N_18offset_tEEE10hipError_tPvRmT1_PNSt15iterator_traitsISY_E10value_typeET2_T3_PNSZ_IS14_E10value_typeET4_jRbjT5_S1A_jjP12ihipStream_tbEUljE_EEESV_SW_SX_S14_S18_S1A_T6_T7_T9_mT8_S1C_bDpT10_ENKUlT_T0_E_clISt17integral_constantIbLb1EES1P_EEDaS1K_S1L_EUlS1K_E_NS1_11comp_targetILNS1_3genE2ELNS1_11target_archE906ELNS1_3gpuE6ELNS1_3repE0EEENS1_30default_config_static_selectorELNS0_4arch9wavefront6targetE1EEEvSY_.has_dyn_sized_stack, 0
	.set _ZN7rocprim17ROCPRIM_400000_NS6detail17trampoline_kernelINS0_13select_configILj256ELj13ELNS0_17block_load_methodE3ELS4_3ELS4_3ELNS0_20block_scan_algorithmE0ELj4294967295EEENS1_25partition_config_selectorILNS1_17partition_subalgoE3EjNS0_10empty_typeEbEEZZNS1_14partition_implILS8_3ELb0ES6_jNS0_17counting_iteratorIjlEEPS9_SE_NS0_5tupleIJPjSE_EEENSF_IJSE_SE_EEES9_SG_JZNS1_25segmented_radix_sort_implINS0_14default_configELb1EPKfPfPKlPlN2at6native12_GLOBAL__N_18offset_tEEE10hipError_tPvRmT1_PNSt15iterator_traitsISY_E10value_typeET2_T3_PNSZ_IS14_E10value_typeET4_jRbjT5_S1A_jjP12ihipStream_tbEUljE_EEESV_SW_SX_S14_S18_S1A_T6_T7_T9_mT8_S1C_bDpT10_ENKUlT_T0_E_clISt17integral_constantIbLb1EES1P_EEDaS1K_S1L_EUlS1K_E_NS1_11comp_targetILNS1_3genE2ELNS1_11target_archE906ELNS1_3gpuE6ELNS1_3repE0EEENS1_30default_config_static_selectorELNS0_4arch9wavefront6targetE1EEEvSY_.has_recursion, 0
	.set _ZN7rocprim17ROCPRIM_400000_NS6detail17trampoline_kernelINS0_13select_configILj256ELj13ELNS0_17block_load_methodE3ELS4_3ELS4_3ELNS0_20block_scan_algorithmE0ELj4294967295EEENS1_25partition_config_selectorILNS1_17partition_subalgoE3EjNS0_10empty_typeEbEEZZNS1_14partition_implILS8_3ELb0ES6_jNS0_17counting_iteratorIjlEEPS9_SE_NS0_5tupleIJPjSE_EEENSF_IJSE_SE_EEES9_SG_JZNS1_25segmented_radix_sort_implINS0_14default_configELb1EPKfPfPKlPlN2at6native12_GLOBAL__N_18offset_tEEE10hipError_tPvRmT1_PNSt15iterator_traitsISY_E10value_typeET2_T3_PNSZ_IS14_E10value_typeET4_jRbjT5_S1A_jjP12ihipStream_tbEUljE_EEESV_SW_SX_S14_S18_S1A_T6_T7_T9_mT8_S1C_bDpT10_ENKUlT_T0_E_clISt17integral_constantIbLb1EES1P_EEDaS1K_S1L_EUlS1K_E_NS1_11comp_targetILNS1_3genE2ELNS1_11target_archE906ELNS1_3gpuE6ELNS1_3repE0EEENS1_30default_config_static_selectorELNS0_4arch9wavefront6targetE1EEEvSY_.has_indirect_call, 0
	.section	.AMDGPU.csdata,"",@progbits
; Kernel info:
; codeLenInByte = 4
; TotalNumSgprs: 4
; NumVgprs: 0
; ScratchSize: 0
; MemoryBound: 0
; FloatMode: 240
; IeeeMode: 1
; LDSByteSize: 0 bytes/workgroup (compile time only)
; SGPRBlocks: 0
; VGPRBlocks: 0
; NumSGPRsForWavesPerEU: 4
; NumVGPRsForWavesPerEU: 1
; Occupancy: 10
; WaveLimiterHint : 0
; COMPUTE_PGM_RSRC2:SCRATCH_EN: 0
; COMPUTE_PGM_RSRC2:USER_SGPR: 6
; COMPUTE_PGM_RSRC2:TRAP_HANDLER: 0
; COMPUTE_PGM_RSRC2:TGID_X_EN: 1
; COMPUTE_PGM_RSRC2:TGID_Y_EN: 0
; COMPUTE_PGM_RSRC2:TGID_Z_EN: 0
; COMPUTE_PGM_RSRC2:TIDIG_COMP_CNT: 0
	.section	.text._ZN7rocprim17ROCPRIM_400000_NS6detail17trampoline_kernelINS0_13select_configILj256ELj13ELNS0_17block_load_methodE3ELS4_3ELS4_3ELNS0_20block_scan_algorithmE0ELj4294967295EEENS1_25partition_config_selectorILNS1_17partition_subalgoE3EjNS0_10empty_typeEbEEZZNS1_14partition_implILS8_3ELb0ES6_jNS0_17counting_iteratorIjlEEPS9_SE_NS0_5tupleIJPjSE_EEENSF_IJSE_SE_EEES9_SG_JZNS1_25segmented_radix_sort_implINS0_14default_configELb1EPKfPfPKlPlN2at6native12_GLOBAL__N_18offset_tEEE10hipError_tPvRmT1_PNSt15iterator_traitsISY_E10value_typeET2_T3_PNSZ_IS14_E10value_typeET4_jRbjT5_S1A_jjP12ihipStream_tbEUljE_EEESV_SW_SX_S14_S18_S1A_T6_T7_T9_mT8_S1C_bDpT10_ENKUlT_T0_E_clISt17integral_constantIbLb1EES1P_EEDaS1K_S1L_EUlS1K_E_NS1_11comp_targetILNS1_3genE10ELNS1_11target_archE1200ELNS1_3gpuE4ELNS1_3repE0EEENS1_30default_config_static_selectorELNS0_4arch9wavefront6targetE1EEEvSY_,"axG",@progbits,_ZN7rocprim17ROCPRIM_400000_NS6detail17trampoline_kernelINS0_13select_configILj256ELj13ELNS0_17block_load_methodE3ELS4_3ELS4_3ELNS0_20block_scan_algorithmE0ELj4294967295EEENS1_25partition_config_selectorILNS1_17partition_subalgoE3EjNS0_10empty_typeEbEEZZNS1_14partition_implILS8_3ELb0ES6_jNS0_17counting_iteratorIjlEEPS9_SE_NS0_5tupleIJPjSE_EEENSF_IJSE_SE_EEES9_SG_JZNS1_25segmented_radix_sort_implINS0_14default_configELb1EPKfPfPKlPlN2at6native12_GLOBAL__N_18offset_tEEE10hipError_tPvRmT1_PNSt15iterator_traitsISY_E10value_typeET2_T3_PNSZ_IS14_E10value_typeET4_jRbjT5_S1A_jjP12ihipStream_tbEUljE_EEESV_SW_SX_S14_S18_S1A_T6_T7_T9_mT8_S1C_bDpT10_ENKUlT_T0_E_clISt17integral_constantIbLb1EES1P_EEDaS1K_S1L_EUlS1K_E_NS1_11comp_targetILNS1_3genE10ELNS1_11target_archE1200ELNS1_3gpuE4ELNS1_3repE0EEENS1_30default_config_static_selectorELNS0_4arch9wavefront6targetE1EEEvSY_,comdat
	.globl	_ZN7rocprim17ROCPRIM_400000_NS6detail17trampoline_kernelINS0_13select_configILj256ELj13ELNS0_17block_load_methodE3ELS4_3ELS4_3ELNS0_20block_scan_algorithmE0ELj4294967295EEENS1_25partition_config_selectorILNS1_17partition_subalgoE3EjNS0_10empty_typeEbEEZZNS1_14partition_implILS8_3ELb0ES6_jNS0_17counting_iteratorIjlEEPS9_SE_NS0_5tupleIJPjSE_EEENSF_IJSE_SE_EEES9_SG_JZNS1_25segmented_radix_sort_implINS0_14default_configELb1EPKfPfPKlPlN2at6native12_GLOBAL__N_18offset_tEEE10hipError_tPvRmT1_PNSt15iterator_traitsISY_E10value_typeET2_T3_PNSZ_IS14_E10value_typeET4_jRbjT5_S1A_jjP12ihipStream_tbEUljE_EEESV_SW_SX_S14_S18_S1A_T6_T7_T9_mT8_S1C_bDpT10_ENKUlT_T0_E_clISt17integral_constantIbLb1EES1P_EEDaS1K_S1L_EUlS1K_E_NS1_11comp_targetILNS1_3genE10ELNS1_11target_archE1200ELNS1_3gpuE4ELNS1_3repE0EEENS1_30default_config_static_selectorELNS0_4arch9wavefront6targetE1EEEvSY_ ; -- Begin function _ZN7rocprim17ROCPRIM_400000_NS6detail17trampoline_kernelINS0_13select_configILj256ELj13ELNS0_17block_load_methodE3ELS4_3ELS4_3ELNS0_20block_scan_algorithmE0ELj4294967295EEENS1_25partition_config_selectorILNS1_17partition_subalgoE3EjNS0_10empty_typeEbEEZZNS1_14partition_implILS8_3ELb0ES6_jNS0_17counting_iteratorIjlEEPS9_SE_NS0_5tupleIJPjSE_EEENSF_IJSE_SE_EEES9_SG_JZNS1_25segmented_radix_sort_implINS0_14default_configELb1EPKfPfPKlPlN2at6native12_GLOBAL__N_18offset_tEEE10hipError_tPvRmT1_PNSt15iterator_traitsISY_E10value_typeET2_T3_PNSZ_IS14_E10value_typeET4_jRbjT5_S1A_jjP12ihipStream_tbEUljE_EEESV_SW_SX_S14_S18_S1A_T6_T7_T9_mT8_S1C_bDpT10_ENKUlT_T0_E_clISt17integral_constantIbLb1EES1P_EEDaS1K_S1L_EUlS1K_E_NS1_11comp_targetILNS1_3genE10ELNS1_11target_archE1200ELNS1_3gpuE4ELNS1_3repE0EEENS1_30default_config_static_selectorELNS0_4arch9wavefront6targetE1EEEvSY_
	.p2align	8
	.type	_ZN7rocprim17ROCPRIM_400000_NS6detail17trampoline_kernelINS0_13select_configILj256ELj13ELNS0_17block_load_methodE3ELS4_3ELS4_3ELNS0_20block_scan_algorithmE0ELj4294967295EEENS1_25partition_config_selectorILNS1_17partition_subalgoE3EjNS0_10empty_typeEbEEZZNS1_14partition_implILS8_3ELb0ES6_jNS0_17counting_iteratorIjlEEPS9_SE_NS0_5tupleIJPjSE_EEENSF_IJSE_SE_EEES9_SG_JZNS1_25segmented_radix_sort_implINS0_14default_configELb1EPKfPfPKlPlN2at6native12_GLOBAL__N_18offset_tEEE10hipError_tPvRmT1_PNSt15iterator_traitsISY_E10value_typeET2_T3_PNSZ_IS14_E10value_typeET4_jRbjT5_S1A_jjP12ihipStream_tbEUljE_EEESV_SW_SX_S14_S18_S1A_T6_T7_T9_mT8_S1C_bDpT10_ENKUlT_T0_E_clISt17integral_constantIbLb1EES1P_EEDaS1K_S1L_EUlS1K_E_NS1_11comp_targetILNS1_3genE10ELNS1_11target_archE1200ELNS1_3gpuE4ELNS1_3repE0EEENS1_30default_config_static_selectorELNS0_4arch9wavefront6targetE1EEEvSY_,@function
_ZN7rocprim17ROCPRIM_400000_NS6detail17trampoline_kernelINS0_13select_configILj256ELj13ELNS0_17block_load_methodE3ELS4_3ELS4_3ELNS0_20block_scan_algorithmE0ELj4294967295EEENS1_25partition_config_selectorILNS1_17partition_subalgoE3EjNS0_10empty_typeEbEEZZNS1_14partition_implILS8_3ELb0ES6_jNS0_17counting_iteratorIjlEEPS9_SE_NS0_5tupleIJPjSE_EEENSF_IJSE_SE_EEES9_SG_JZNS1_25segmented_radix_sort_implINS0_14default_configELb1EPKfPfPKlPlN2at6native12_GLOBAL__N_18offset_tEEE10hipError_tPvRmT1_PNSt15iterator_traitsISY_E10value_typeET2_T3_PNSZ_IS14_E10value_typeET4_jRbjT5_S1A_jjP12ihipStream_tbEUljE_EEESV_SW_SX_S14_S18_S1A_T6_T7_T9_mT8_S1C_bDpT10_ENKUlT_T0_E_clISt17integral_constantIbLb1EES1P_EEDaS1K_S1L_EUlS1K_E_NS1_11comp_targetILNS1_3genE10ELNS1_11target_archE1200ELNS1_3gpuE4ELNS1_3repE0EEENS1_30default_config_static_selectorELNS0_4arch9wavefront6targetE1EEEvSY_: ; @_ZN7rocprim17ROCPRIM_400000_NS6detail17trampoline_kernelINS0_13select_configILj256ELj13ELNS0_17block_load_methodE3ELS4_3ELS4_3ELNS0_20block_scan_algorithmE0ELj4294967295EEENS1_25partition_config_selectorILNS1_17partition_subalgoE3EjNS0_10empty_typeEbEEZZNS1_14partition_implILS8_3ELb0ES6_jNS0_17counting_iteratorIjlEEPS9_SE_NS0_5tupleIJPjSE_EEENSF_IJSE_SE_EEES9_SG_JZNS1_25segmented_radix_sort_implINS0_14default_configELb1EPKfPfPKlPlN2at6native12_GLOBAL__N_18offset_tEEE10hipError_tPvRmT1_PNSt15iterator_traitsISY_E10value_typeET2_T3_PNSZ_IS14_E10value_typeET4_jRbjT5_S1A_jjP12ihipStream_tbEUljE_EEESV_SW_SX_S14_S18_S1A_T6_T7_T9_mT8_S1C_bDpT10_ENKUlT_T0_E_clISt17integral_constantIbLb1EES1P_EEDaS1K_S1L_EUlS1K_E_NS1_11comp_targetILNS1_3genE10ELNS1_11target_archE1200ELNS1_3gpuE4ELNS1_3repE0EEENS1_30default_config_static_selectorELNS0_4arch9wavefront6targetE1EEEvSY_
; %bb.0:
	.section	.rodata,"a",@progbits
	.p2align	6, 0x0
	.amdhsa_kernel _ZN7rocprim17ROCPRIM_400000_NS6detail17trampoline_kernelINS0_13select_configILj256ELj13ELNS0_17block_load_methodE3ELS4_3ELS4_3ELNS0_20block_scan_algorithmE0ELj4294967295EEENS1_25partition_config_selectorILNS1_17partition_subalgoE3EjNS0_10empty_typeEbEEZZNS1_14partition_implILS8_3ELb0ES6_jNS0_17counting_iteratorIjlEEPS9_SE_NS0_5tupleIJPjSE_EEENSF_IJSE_SE_EEES9_SG_JZNS1_25segmented_radix_sort_implINS0_14default_configELb1EPKfPfPKlPlN2at6native12_GLOBAL__N_18offset_tEEE10hipError_tPvRmT1_PNSt15iterator_traitsISY_E10value_typeET2_T3_PNSZ_IS14_E10value_typeET4_jRbjT5_S1A_jjP12ihipStream_tbEUljE_EEESV_SW_SX_S14_S18_S1A_T6_T7_T9_mT8_S1C_bDpT10_ENKUlT_T0_E_clISt17integral_constantIbLb1EES1P_EEDaS1K_S1L_EUlS1K_E_NS1_11comp_targetILNS1_3genE10ELNS1_11target_archE1200ELNS1_3gpuE4ELNS1_3repE0EEENS1_30default_config_static_selectorELNS0_4arch9wavefront6targetE1EEEvSY_
		.amdhsa_group_segment_fixed_size 0
		.amdhsa_private_segment_fixed_size 0
		.amdhsa_kernarg_size 152
		.amdhsa_user_sgpr_count 6
		.amdhsa_user_sgpr_private_segment_buffer 1
		.amdhsa_user_sgpr_dispatch_ptr 0
		.amdhsa_user_sgpr_queue_ptr 0
		.amdhsa_user_sgpr_kernarg_segment_ptr 1
		.amdhsa_user_sgpr_dispatch_id 0
		.amdhsa_user_sgpr_flat_scratch_init 0
		.amdhsa_user_sgpr_private_segment_size 0
		.amdhsa_uses_dynamic_stack 0
		.amdhsa_system_sgpr_private_segment_wavefront_offset 0
		.amdhsa_system_sgpr_workgroup_id_x 1
		.amdhsa_system_sgpr_workgroup_id_y 0
		.amdhsa_system_sgpr_workgroup_id_z 0
		.amdhsa_system_sgpr_workgroup_info 0
		.amdhsa_system_vgpr_workitem_id 0
		.amdhsa_next_free_vgpr 1
		.amdhsa_next_free_sgpr 0
		.amdhsa_reserve_vcc 0
		.amdhsa_reserve_flat_scratch 0
		.amdhsa_float_round_mode_32 0
		.amdhsa_float_round_mode_16_64 0
		.amdhsa_float_denorm_mode_32 3
		.amdhsa_float_denorm_mode_16_64 3
		.amdhsa_dx10_clamp 1
		.amdhsa_ieee_mode 1
		.amdhsa_fp16_overflow 0
		.amdhsa_exception_fp_ieee_invalid_op 0
		.amdhsa_exception_fp_denorm_src 0
		.amdhsa_exception_fp_ieee_div_zero 0
		.amdhsa_exception_fp_ieee_overflow 0
		.amdhsa_exception_fp_ieee_underflow 0
		.amdhsa_exception_fp_ieee_inexact 0
		.amdhsa_exception_int_div_zero 0
	.end_amdhsa_kernel
	.section	.text._ZN7rocprim17ROCPRIM_400000_NS6detail17trampoline_kernelINS0_13select_configILj256ELj13ELNS0_17block_load_methodE3ELS4_3ELS4_3ELNS0_20block_scan_algorithmE0ELj4294967295EEENS1_25partition_config_selectorILNS1_17partition_subalgoE3EjNS0_10empty_typeEbEEZZNS1_14partition_implILS8_3ELb0ES6_jNS0_17counting_iteratorIjlEEPS9_SE_NS0_5tupleIJPjSE_EEENSF_IJSE_SE_EEES9_SG_JZNS1_25segmented_radix_sort_implINS0_14default_configELb1EPKfPfPKlPlN2at6native12_GLOBAL__N_18offset_tEEE10hipError_tPvRmT1_PNSt15iterator_traitsISY_E10value_typeET2_T3_PNSZ_IS14_E10value_typeET4_jRbjT5_S1A_jjP12ihipStream_tbEUljE_EEESV_SW_SX_S14_S18_S1A_T6_T7_T9_mT8_S1C_bDpT10_ENKUlT_T0_E_clISt17integral_constantIbLb1EES1P_EEDaS1K_S1L_EUlS1K_E_NS1_11comp_targetILNS1_3genE10ELNS1_11target_archE1200ELNS1_3gpuE4ELNS1_3repE0EEENS1_30default_config_static_selectorELNS0_4arch9wavefront6targetE1EEEvSY_,"axG",@progbits,_ZN7rocprim17ROCPRIM_400000_NS6detail17trampoline_kernelINS0_13select_configILj256ELj13ELNS0_17block_load_methodE3ELS4_3ELS4_3ELNS0_20block_scan_algorithmE0ELj4294967295EEENS1_25partition_config_selectorILNS1_17partition_subalgoE3EjNS0_10empty_typeEbEEZZNS1_14partition_implILS8_3ELb0ES6_jNS0_17counting_iteratorIjlEEPS9_SE_NS0_5tupleIJPjSE_EEENSF_IJSE_SE_EEES9_SG_JZNS1_25segmented_radix_sort_implINS0_14default_configELb1EPKfPfPKlPlN2at6native12_GLOBAL__N_18offset_tEEE10hipError_tPvRmT1_PNSt15iterator_traitsISY_E10value_typeET2_T3_PNSZ_IS14_E10value_typeET4_jRbjT5_S1A_jjP12ihipStream_tbEUljE_EEESV_SW_SX_S14_S18_S1A_T6_T7_T9_mT8_S1C_bDpT10_ENKUlT_T0_E_clISt17integral_constantIbLb1EES1P_EEDaS1K_S1L_EUlS1K_E_NS1_11comp_targetILNS1_3genE10ELNS1_11target_archE1200ELNS1_3gpuE4ELNS1_3repE0EEENS1_30default_config_static_selectorELNS0_4arch9wavefront6targetE1EEEvSY_,comdat
.Lfunc_end1306:
	.size	_ZN7rocprim17ROCPRIM_400000_NS6detail17trampoline_kernelINS0_13select_configILj256ELj13ELNS0_17block_load_methodE3ELS4_3ELS4_3ELNS0_20block_scan_algorithmE0ELj4294967295EEENS1_25partition_config_selectorILNS1_17partition_subalgoE3EjNS0_10empty_typeEbEEZZNS1_14partition_implILS8_3ELb0ES6_jNS0_17counting_iteratorIjlEEPS9_SE_NS0_5tupleIJPjSE_EEENSF_IJSE_SE_EEES9_SG_JZNS1_25segmented_radix_sort_implINS0_14default_configELb1EPKfPfPKlPlN2at6native12_GLOBAL__N_18offset_tEEE10hipError_tPvRmT1_PNSt15iterator_traitsISY_E10value_typeET2_T3_PNSZ_IS14_E10value_typeET4_jRbjT5_S1A_jjP12ihipStream_tbEUljE_EEESV_SW_SX_S14_S18_S1A_T6_T7_T9_mT8_S1C_bDpT10_ENKUlT_T0_E_clISt17integral_constantIbLb1EES1P_EEDaS1K_S1L_EUlS1K_E_NS1_11comp_targetILNS1_3genE10ELNS1_11target_archE1200ELNS1_3gpuE4ELNS1_3repE0EEENS1_30default_config_static_selectorELNS0_4arch9wavefront6targetE1EEEvSY_, .Lfunc_end1306-_ZN7rocprim17ROCPRIM_400000_NS6detail17trampoline_kernelINS0_13select_configILj256ELj13ELNS0_17block_load_methodE3ELS4_3ELS4_3ELNS0_20block_scan_algorithmE0ELj4294967295EEENS1_25partition_config_selectorILNS1_17partition_subalgoE3EjNS0_10empty_typeEbEEZZNS1_14partition_implILS8_3ELb0ES6_jNS0_17counting_iteratorIjlEEPS9_SE_NS0_5tupleIJPjSE_EEENSF_IJSE_SE_EEES9_SG_JZNS1_25segmented_radix_sort_implINS0_14default_configELb1EPKfPfPKlPlN2at6native12_GLOBAL__N_18offset_tEEE10hipError_tPvRmT1_PNSt15iterator_traitsISY_E10value_typeET2_T3_PNSZ_IS14_E10value_typeET4_jRbjT5_S1A_jjP12ihipStream_tbEUljE_EEESV_SW_SX_S14_S18_S1A_T6_T7_T9_mT8_S1C_bDpT10_ENKUlT_T0_E_clISt17integral_constantIbLb1EES1P_EEDaS1K_S1L_EUlS1K_E_NS1_11comp_targetILNS1_3genE10ELNS1_11target_archE1200ELNS1_3gpuE4ELNS1_3repE0EEENS1_30default_config_static_selectorELNS0_4arch9wavefront6targetE1EEEvSY_
                                        ; -- End function
	.set _ZN7rocprim17ROCPRIM_400000_NS6detail17trampoline_kernelINS0_13select_configILj256ELj13ELNS0_17block_load_methodE3ELS4_3ELS4_3ELNS0_20block_scan_algorithmE0ELj4294967295EEENS1_25partition_config_selectorILNS1_17partition_subalgoE3EjNS0_10empty_typeEbEEZZNS1_14partition_implILS8_3ELb0ES6_jNS0_17counting_iteratorIjlEEPS9_SE_NS0_5tupleIJPjSE_EEENSF_IJSE_SE_EEES9_SG_JZNS1_25segmented_radix_sort_implINS0_14default_configELb1EPKfPfPKlPlN2at6native12_GLOBAL__N_18offset_tEEE10hipError_tPvRmT1_PNSt15iterator_traitsISY_E10value_typeET2_T3_PNSZ_IS14_E10value_typeET4_jRbjT5_S1A_jjP12ihipStream_tbEUljE_EEESV_SW_SX_S14_S18_S1A_T6_T7_T9_mT8_S1C_bDpT10_ENKUlT_T0_E_clISt17integral_constantIbLb1EES1P_EEDaS1K_S1L_EUlS1K_E_NS1_11comp_targetILNS1_3genE10ELNS1_11target_archE1200ELNS1_3gpuE4ELNS1_3repE0EEENS1_30default_config_static_selectorELNS0_4arch9wavefront6targetE1EEEvSY_.num_vgpr, 0
	.set _ZN7rocprim17ROCPRIM_400000_NS6detail17trampoline_kernelINS0_13select_configILj256ELj13ELNS0_17block_load_methodE3ELS4_3ELS4_3ELNS0_20block_scan_algorithmE0ELj4294967295EEENS1_25partition_config_selectorILNS1_17partition_subalgoE3EjNS0_10empty_typeEbEEZZNS1_14partition_implILS8_3ELb0ES6_jNS0_17counting_iteratorIjlEEPS9_SE_NS0_5tupleIJPjSE_EEENSF_IJSE_SE_EEES9_SG_JZNS1_25segmented_radix_sort_implINS0_14default_configELb1EPKfPfPKlPlN2at6native12_GLOBAL__N_18offset_tEEE10hipError_tPvRmT1_PNSt15iterator_traitsISY_E10value_typeET2_T3_PNSZ_IS14_E10value_typeET4_jRbjT5_S1A_jjP12ihipStream_tbEUljE_EEESV_SW_SX_S14_S18_S1A_T6_T7_T9_mT8_S1C_bDpT10_ENKUlT_T0_E_clISt17integral_constantIbLb1EES1P_EEDaS1K_S1L_EUlS1K_E_NS1_11comp_targetILNS1_3genE10ELNS1_11target_archE1200ELNS1_3gpuE4ELNS1_3repE0EEENS1_30default_config_static_selectorELNS0_4arch9wavefront6targetE1EEEvSY_.num_agpr, 0
	.set _ZN7rocprim17ROCPRIM_400000_NS6detail17trampoline_kernelINS0_13select_configILj256ELj13ELNS0_17block_load_methodE3ELS4_3ELS4_3ELNS0_20block_scan_algorithmE0ELj4294967295EEENS1_25partition_config_selectorILNS1_17partition_subalgoE3EjNS0_10empty_typeEbEEZZNS1_14partition_implILS8_3ELb0ES6_jNS0_17counting_iteratorIjlEEPS9_SE_NS0_5tupleIJPjSE_EEENSF_IJSE_SE_EEES9_SG_JZNS1_25segmented_radix_sort_implINS0_14default_configELb1EPKfPfPKlPlN2at6native12_GLOBAL__N_18offset_tEEE10hipError_tPvRmT1_PNSt15iterator_traitsISY_E10value_typeET2_T3_PNSZ_IS14_E10value_typeET4_jRbjT5_S1A_jjP12ihipStream_tbEUljE_EEESV_SW_SX_S14_S18_S1A_T6_T7_T9_mT8_S1C_bDpT10_ENKUlT_T0_E_clISt17integral_constantIbLb1EES1P_EEDaS1K_S1L_EUlS1K_E_NS1_11comp_targetILNS1_3genE10ELNS1_11target_archE1200ELNS1_3gpuE4ELNS1_3repE0EEENS1_30default_config_static_selectorELNS0_4arch9wavefront6targetE1EEEvSY_.numbered_sgpr, 0
	.set _ZN7rocprim17ROCPRIM_400000_NS6detail17trampoline_kernelINS0_13select_configILj256ELj13ELNS0_17block_load_methodE3ELS4_3ELS4_3ELNS0_20block_scan_algorithmE0ELj4294967295EEENS1_25partition_config_selectorILNS1_17partition_subalgoE3EjNS0_10empty_typeEbEEZZNS1_14partition_implILS8_3ELb0ES6_jNS0_17counting_iteratorIjlEEPS9_SE_NS0_5tupleIJPjSE_EEENSF_IJSE_SE_EEES9_SG_JZNS1_25segmented_radix_sort_implINS0_14default_configELb1EPKfPfPKlPlN2at6native12_GLOBAL__N_18offset_tEEE10hipError_tPvRmT1_PNSt15iterator_traitsISY_E10value_typeET2_T3_PNSZ_IS14_E10value_typeET4_jRbjT5_S1A_jjP12ihipStream_tbEUljE_EEESV_SW_SX_S14_S18_S1A_T6_T7_T9_mT8_S1C_bDpT10_ENKUlT_T0_E_clISt17integral_constantIbLb1EES1P_EEDaS1K_S1L_EUlS1K_E_NS1_11comp_targetILNS1_3genE10ELNS1_11target_archE1200ELNS1_3gpuE4ELNS1_3repE0EEENS1_30default_config_static_selectorELNS0_4arch9wavefront6targetE1EEEvSY_.num_named_barrier, 0
	.set _ZN7rocprim17ROCPRIM_400000_NS6detail17trampoline_kernelINS0_13select_configILj256ELj13ELNS0_17block_load_methodE3ELS4_3ELS4_3ELNS0_20block_scan_algorithmE0ELj4294967295EEENS1_25partition_config_selectorILNS1_17partition_subalgoE3EjNS0_10empty_typeEbEEZZNS1_14partition_implILS8_3ELb0ES6_jNS0_17counting_iteratorIjlEEPS9_SE_NS0_5tupleIJPjSE_EEENSF_IJSE_SE_EEES9_SG_JZNS1_25segmented_radix_sort_implINS0_14default_configELb1EPKfPfPKlPlN2at6native12_GLOBAL__N_18offset_tEEE10hipError_tPvRmT1_PNSt15iterator_traitsISY_E10value_typeET2_T3_PNSZ_IS14_E10value_typeET4_jRbjT5_S1A_jjP12ihipStream_tbEUljE_EEESV_SW_SX_S14_S18_S1A_T6_T7_T9_mT8_S1C_bDpT10_ENKUlT_T0_E_clISt17integral_constantIbLb1EES1P_EEDaS1K_S1L_EUlS1K_E_NS1_11comp_targetILNS1_3genE10ELNS1_11target_archE1200ELNS1_3gpuE4ELNS1_3repE0EEENS1_30default_config_static_selectorELNS0_4arch9wavefront6targetE1EEEvSY_.private_seg_size, 0
	.set _ZN7rocprim17ROCPRIM_400000_NS6detail17trampoline_kernelINS0_13select_configILj256ELj13ELNS0_17block_load_methodE3ELS4_3ELS4_3ELNS0_20block_scan_algorithmE0ELj4294967295EEENS1_25partition_config_selectorILNS1_17partition_subalgoE3EjNS0_10empty_typeEbEEZZNS1_14partition_implILS8_3ELb0ES6_jNS0_17counting_iteratorIjlEEPS9_SE_NS0_5tupleIJPjSE_EEENSF_IJSE_SE_EEES9_SG_JZNS1_25segmented_radix_sort_implINS0_14default_configELb1EPKfPfPKlPlN2at6native12_GLOBAL__N_18offset_tEEE10hipError_tPvRmT1_PNSt15iterator_traitsISY_E10value_typeET2_T3_PNSZ_IS14_E10value_typeET4_jRbjT5_S1A_jjP12ihipStream_tbEUljE_EEESV_SW_SX_S14_S18_S1A_T6_T7_T9_mT8_S1C_bDpT10_ENKUlT_T0_E_clISt17integral_constantIbLb1EES1P_EEDaS1K_S1L_EUlS1K_E_NS1_11comp_targetILNS1_3genE10ELNS1_11target_archE1200ELNS1_3gpuE4ELNS1_3repE0EEENS1_30default_config_static_selectorELNS0_4arch9wavefront6targetE1EEEvSY_.uses_vcc, 0
	.set _ZN7rocprim17ROCPRIM_400000_NS6detail17trampoline_kernelINS0_13select_configILj256ELj13ELNS0_17block_load_methodE3ELS4_3ELS4_3ELNS0_20block_scan_algorithmE0ELj4294967295EEENS1_25partition_config_selectorILNS1_17partition_subalgoE3EjNS0_10empty_typeEbEEZZNS1_14partition_implILS8_3ELb0ES6_jNS0_17counting_iteratorIjlEEPS9_SE_NS0_5tupleIJPjSE_EEENSF_IJSE_SE_EEES9_SG_JZNS1_25segmented_radix_sort_implINS0_14default_configELb1EPKfPfPKlPlN2at6native12_GLOBAL__N_18offset_tEEE10hipError_tPvRmT1_PNSt15iterator_traitsISY_E10value_typeET2_T3_PNSZ_IS14_E10value_typeET4_jRbjT5_S1A_jjP12ihipStream_tbEUljE_EEESV_SW_SX_S14_S18_S1A_T6_T7_T9_mT8_S1C_bDpT10_ENKUlT_T0_E_clISt17integral_constantIbLb1EES1P_EEDaS1K_S1L_EUlS1K_E_NS1_11comp_targetILNS1_3genE10ELNS1_11target_archE1200ELNS1_3gpuE4ELNS1_3repE0EEENS1_30default_config_static_selectorELNS0_4arch9wavefront6targetE1EEEvSY_.uses_flat_scratch, 0
	.set _ZN7rocprim17ROCPRIM_400000_NS6detail17trampoline_kernelINS0_13select_configILj256ELj13ELNS0_17block_load_methodE3ELS4_3ELS4_3ELNS0_20block_scan_algorithmE0ELj4294967295EEENS1_25partition_config_selectorILNS1_17partition_subalgoE3EjNS0_10empty_typeEbEEZZNS1_14partition_implILS8_3ELb0ES6_jNS0_17counting_iteratorIjlEEPS9_SE_NS0_5tupleIJPjSE_EEENSF_IJSE_SE_EEES9_SG_JZNS1_25segmented_radix_sort_implINS0_14default_configELb1EPKfPfPKlPlN2at6native12_GLOBAL__N_18offset_tEEE10hipError_tPvRmT1_PNSt15iterator_traitsISY_E10value_typeET2_T3_PNSZ_IS14_E10value_typeET4_jRbjT5_S1A_jjP12ihipStream_tbEUljE_EEESV_SW_SX_S14_S18_S1A_T6_T7_T9_mT8_S1C_bDpT10_ENKUlT_T0_E_clISt17integral_constantIbLb1EES1P_EEDaS1K_S1L_EUlS1K_E_NS1_11comp_targetILNS1_3genE10ELNS1_11target_archE1200ELNS1_3gpuE4ELNS1_3repE0EEENS1_30default_config_static_selectorELNS0_4arch9wavefront6targetE1EEEvSY_.has_dyn_sized_stack, 0
	.set _ZN7rocprim17ROCPRIM_400000_NS6detail17trampoline_kernelINS0_13select_configILj256ELj13ELNS0_17block_load_methodE3ELS4_3ELS4_3ELNS0_20block_scan_algorithmE0ELj4294967295EEENS1_25partition_config_selectorILNS1_17partition_subalgoE3EjNS0_10empty_typeEbEEZZNS1_14partition_implILS8_3ELb0ES6_jNS0_17counting_iteratorIjlEEPS9_SE_NS0_5tupleIJPjSE_EEENSF_IJSE_SE_EEES9_SG_JZNS1_25segmented_radix_sort_implINS0_14default_configELb1EPKfPfPKlPlN2at6native12_GLOBAL__N_18offset_tEEE10hipError_tPvRmT1_PNSt15iterator_traitsISY_E10value_typeET2_T3_PNSZ_IS14_E10value_typeET4_jRbjT5_S1A_jjP12ihipStream_tbEUljE_EEESV_SW_SX_S14_S18_S1A_T6_T7_T9_mT8_S1C_bDpT10_ENKUlT_T0_E_clISt17integral_constantIbLb1EES1P_EEDaS1K_S1L_EUlS1K_E_NS1_11comp_targetILNS1_3genE10ELNS1_11target_archE1200ELNS1_3gpuE4ELNS1_3repE0EEENS1_30default_config_static_selectorELNS0_4arch9wavefront6targetE1EEEvSY_.has_recursion, 0
	.set _ZN7rocprim17ROCPRIM_400000_NS6detail17trampoline_kernelINS0_13select_configILj256ELj13ELNS0_17block_load_methodE3ELS4_3ELS4_3ELNS0_20block_scan_algorithmE0ELj4294967295EEENS1_25partition_config_selectorILNS1_17partition_subalgoE3EjNS0_10empty_typeEbEEZZNS1_14partition_implILS8_3ELb0ES6_jNS0_17counting_iteratorIjlEEPS9_SE_NS0_5tupleIJPjSE_EEENSF_IJSE_SE_EEES9_SG_JZNS1_25segmented_radix_sort_implINS0_14default_configELb1EPKfPfPKlPlN2at6native12_GLOBAL__N_18offset_tEEE10hipError_tPvRmT1_PNSt15iterator_traitsISY_E10value_typeET2_T3_PNSZ_IS14_E10value_typeET4_jRbjT5_S1A_jjP12ihipStream_tbEUljE_EEESV_SW_SX_S14_S18_S1A_T6_T7_T9_mT8_S1C_bDpT10_ENKUlT_T0_E_clISt17integral_constantIbLb1EES1P_EEDaS1K_S1L_EUlS1K_E_NS1_11comp_targetILNS1_3genE10ELNS1_11target_archE1200ELNS1_3gpuE4ELNS1_3repE0EEENS1_30default_config_static_selectorELNS0_4arch9wavefront6targetE1EEEvSY_.has_indirect_call, 0
	.section	.AMDGPU.csdata,"",@progbits
; Kernel info:
; codeLenInByte = 0
; TotalNumSgprs: 4
; NumVgprs: 0
; ScratchSize: 0
; MemoryBound: 0
; FloatMode: 240
; IeeeMode: 1
; LDSByteSize: 0 bytes/workgroup (compile time only)
; SGPRBlocks: 0
; VGPRBlocks: 0
; NumSGPRsForWavesPerEU: 4
; NumVGPRsForWavesPerEU: 1
; Occupancy: 10
; WaveLimiterHint : 0
; COMPUTE_PGM_RSRC2:SCRATCH_EN: 0
; COMPUTE_PGM_RSRC2:USER_SGPR: 6
; COMPUTE_PGM_RSRC2:TRAP_HANDLER: 0
; COMPUTE_PGM_RSRC2:TGID_X_EN: 1
; COMPUTE_PGM_RSRC2:TGID_Y_EN: 0
; COMPUTE_PGM_RSRC2:TGID_Z_EN: 0
; COMPUTE_PGM_RSRC2:TIDIG_COMP_CNT: 0
	.section	.text._ZN7rocprim17ROCPRIM_400000_NS6detail17trampoline_kernelINS0_13select_configILj256ELj13ELNS0_17block_load_methodE3ELS4_3ELS4_3ELNS0_20block_scan_algorithmE0ELj4294967295EEENS1_25partition_config_selectorILNS1_17partition_subalgoE3EjNS0_10empty_typeEbEEZZNS1_14partition_implILS8_3ELb0ES6_jNS0_17counting_iteratorIjlEEPS9_SE_NS0_5tupleIJPjSE_EEENSF_IJSE_SE_EEES9_SG_JZNS1_25segmented_radix_sort_implINS0_14default_configELb1EPKfPfPKlPlN2at6native12_GLOBAL__N_18offset_tEEE10hipError_tPvRmT1_PNSt15iterator_traitsISY_E10value_typeET2_T3_PNSZ_IS14_E10value_typeET4_jRbjT5_S1A_jjP12ihipStream_tbEUljE_EEESV_SW_SX_S14_S18_S1A_T6_T7_T9_mT8_S1C_bDpT10_ENKUlT_T0_E_clISt17integral_constantIbLb1EES1P_EEDaS1K_S1L_EUlS1K_E_NS1_11comp_targetILNS1_3genE9ELNS1_11target_archE1100ELNS1_3gpuE3ELNS1_3repE0EEENS1_30default_config_static_selectorELNS0_4arch9wavefront6targetE1EEEvSY_,"axG",@progbits,_ZN7rocprim17ROCPRIM_400000_NS6detail17trampoline_kernelINS0_13select_configILj256ELj13ELNS0_17block_load_methodE3ELS4_3ELS4_3ELNS0_20block_scan_algorithmE0ELj4294967295EEENS1_25partition_config_selectorILNS1_17partition_subalgoE3EjNS0_10empty_typeEbEEZZNS1_14partition_implILS8_3ELb0ES6_jNS0_17counting_iteratorIjlEEPS9_SE_NS0_5tupleIJPjSE_EEENSF_IJSE_SE_EEES9_SG_JZNS1_25segmented_radix_sort_implINS0_14default_configELb1EPKfPfPKlPlN2at6native12_GLOBAL__N_18offset_tEEE10hipError_tPvRmT1_PNSt15iterator_traitsISY_E10value_typeET2_T3_PNSZ_IS14_E10value_typeET4_jRbjT5_S1A_jjP12ihipStream_tbEUljE_EEESV_SW_SX_S14_S18_S1A_T6_T7_T9_mT8_S1C_bDpT10_ENKUlT_T0_E_clISt17integral_constantIbLb1EES1P_EEDaS1K_S1L_EUlS1K_E_NS1_11comp_targetILNS1_3genE9ELNS1_11target_archE1100ELNS1_3gpuE3ELNS1_3repE0EEENS1_30default_config_static_selectorELNS0_4arch9wavefront6targetE1EEEvSY_,comdat
	.globl	_ZN7rocprim17ROCPRIM_400000_NS6detail17trampoline_kernelINS0_13select_configILj256ELj13ELNS0_17block_load_methodE3ELS4_3ELS4_3ELNS0_20block_scan_algorithmE0ELj4294967295EEENS1_25partition_config_selectorILNS1_17partition_subalgoE3EjNS0_10empty_typeEbEEZZNS1_14partition_implILS8_3ELb0ES6_jNS0_17counting_iteratorIjlEEPS9_SE_NS0_5tupleIJPjSE_EEENSF_IJSE_SE_EEES9_SG_JZNS1_25segmented_radix_sort_implINS0_14default_configELb1EPKfPfPKlPlN2at6native12_GLOBAL__N_18offset_tEEE10hipError_tPvRmT1_PNSt15iterator_traitsISY_E10value_typeET2_T3_PNSZ_IS14_E10value_typeET4_jRbjT5_S1A_jjP12ihipStream_tbEUljE_EEESV_SW_SX_S14_S18_S1A_T6_T7_T9_mT8_S1C_bDpT10_ENKUlT_T0_E_clISt17integral_constantIbLb1EES1P_EEDaS1K_S1L_EUlS1K_E_NS1_11comp_targetILNS1_3genE9ELNS1_11target_archE1100ELNS1_3gpuE3ELNS1_3repE0EEENS1_30default_config_static_selectorELNS0_4arch9wavefront6targetE1EEEvSY_ ; -- Begin function _ZN7rocprim17ROCPRIM_400000_NS6detail17trampoline_kernelINS0_13select_configILj256ELj13ELNS0_17block_load_methodE3ELS4_3ELS4_3ELNS0_20block_scan_algorithmE0ELj4294967295EEENS1_25partition_config_selectorILNS1_17partition_subalgoE3EjNS0_10empty_typeEbEEZZNS1_14partition_implILS8_3ELb0ES6_jNS0_17counting_iteratorIjlEEPS9_SE_NS0_5tupleIJPjSE_EEENSF_IJSE_SE_EEES9_SG_JZNS1_25segmented_radix_sort_implINS0_14default_configELb1EPKfPfPKlPlN2at6native12_GLOBAL__N_18offset_tEEE10hipError_tPvRmT1_PNSt15iterator_traitsISY_E10value_typeET2_T3_PNSZ_IS14_E10value_typeET4_jRbjT5_S1A_jjP12ihipStream_tbEUljE_EEESV_SW_SX_S14_S18_S1A_T6_T7_T9_mT8_S1C_bDpT10_ENKUlT_T0_E_clISt17integral_constantIbLb1EES1P_EEDaS1K_S1L_EUlS1K_E_NS1_11comp_targetILNS1_3genE9ELNS1_11target_archE1100ELNS1_3gpuE3ELNS1_3repE0EEENS1_30default_config_static_selectorELNS0_4arch9wavefront6targetE1EEEvSY_
	.p2align	8
	.type	_ZN7rocprim17ROCPRIM_400000_NS6detail17trampoline_kernelINS0_13select_configILj256ELj13ELNS0_17block_load_methodE3ELS4_3ELS4_3ELNS0_20block_scan_algorithmE0ELj4294967295EEENS1_25partition_config_selectorILNS1_17partition_subalgoE3EjNS0_10empty_typeEbEEZZNS1_14partition_implILS8_3ELb0ES6_jNS0_17counting_iteratorIjlEEPS9_SE_NS0_5tupleIJPjSE_EEENSF_IJSE_SE_EEES9_SG_JZNS1_25segmented_radix_sort_implINS0_14default_configELb1EPKfPfPKlPlN2at6native12_GLOBAL__N_18offset_tEEE10hipError_tPvRmT1_PNSt15iterator_traitsISY_E10value_typeET2_T3_PNSZ_IS14_E10value_typeET4_jRbjT5_S1A_jjP12ihipStream_tbEUljE_EEESV_SW_SX_S14_S18_S1A_T6_T7_T9_mT8_S1C_bDpT10_ENKUlT_T0_E_clISt17integral_constantIbLb1EES1P_EEDaS1K_S1L_EUlS1K_E_NS1_11comp_targetILNS1_3genE9ELNS1_11target_archE1100ELNS1_3gpuE3ELNS1_3repE0EEENS1_30default_config_static_selectorELNS0_4arch9wavefront6targetE1EEEvSY_,@function
_ZN7rocprim17ROCPRIM_400000_NS6detail17trampoline_kernelINS0_13select_configILj256ELj13ELNS0_17block_load_methodE3ELS4_3ELS4_3ELNS0_20block_scan_algorithmE0ELj4294967295EEENS1_25partition_config_selectorILNS1_17partition_subalgoE3EjNS0_10empty_typeEbEEZZNS1_14partition_implILS8_3ELb0ES6_jNS0_17counting_iteratorIjlEEPS9_SE_NS0_5tupleIJPjSE_EEENSF_IJSE_SE_EEES9_SG_JZNS1_25segmented_radix_sort_implINS0_14default_configELb1EPKfPfPKlPlN2at6native12_GLOBAL__N_18offset_tEEE10hipError_tPvRmT1_PNSt15iterator_traitsISY_E10value_typeET2_T3_PNSZ_IS14_E10value_typeET4_jRbjT5_S1A_jjP12ihipStream_tbEUljE_EEESV_SW_SX_S14_S18_S1A_T6_T7_T9_mT8_S1C_bDpT10_ENKUlT_T0_E_clISt17integral_constantIbLb1EES1P_EEDaS1K_S1L_EUlS1K_E_NS1_11comp_targetILNS1_3genE9ELNS1_11target_archE1100ELNS1_3gpuE3ELNS1_3repE0EEENS1_30default_config_static_selectorELNS0_4arch9wavefront6targetE1EEEvSY_: ; @_ZN7rocprim17ROCPRIM_400000_NS6detail17trampoline_kernelINS0_13select_configILj256ELj13ELNS0_17block_load_methodE3ELS4_3ELS4_3ELNS0_20block_scan_algorithmE0ELj4294967295EEENS1_25partition_config_selectorILNS1_17partition_subalgoE3EjNS0_10empty_typeEbEEZZNS1_14partition_implILS8_3ELb0ES6_jNS0_17counting_iteratorIjlEEPS9_SE_NS0_5tupleIJPjSE_EEENSF_IJSE_SE_EEES9_SG_JZNS1_25segmented_radix_sort_implINS0_14default_configELb1EPKfPfPKlPlN2at6native12_GLOBAL__N_18offset_tEEE10hipError_tPvRmT1_PNSt15iterator_traitsISY_E10value_typeET2_T3_PNSZ_IS14_E10value_typeET4_jRbjT5_S1A_jjP12ihipStream_tbEUljE_EEESV_SW_SX_S14_S18_S1A_T6_T7_T9_mT8_S1C_bDpT10_ENKUlT_T0_E_clISt17integral_constantIbLb1EES1P_EEDaS1K_S1L_EUlS1K_E_NS1_11comp_targetILNS1_3genE9ELNS1_11target_archE1100ELNS1_3gpuE3ELNS1_3repE0EEENS1_30default_config_static_selectorELNS0_4arch9wavefront6targetE1EEEvSY_
; %bb.0:
	.section	.rodata,"a",@progbits
	.p2align	6, 0x0
	.amdhsa_kernel _ZN7rocprim17ROCPRIM_400000_NS6detail17trampoline_kernelINS0_13select_configILj256ELj13ELNS0_17block_load_methodE3ELS4_3ELS4_3ELNS0_20block_scan_algorithmE0ELj4294967295EEENS1_25partition_config_selectorILNS1_17partition_subalgoE3EjNS0_10empty_typeEbEEZZNS1_14partition_implILS8_3ELb0ES6_jNS0_17counting_iteratorIjlEEPS9_SE_NS0_5tupleIJPjSE_EEENSF_IJSE_SE_EEES9_SG_JZNS1_25segmented_radix_sort_implINS0_14default_configELb1EPKfPfPKlPlN2at6native12_GLOBAL__N_18offset_tEEE10hipError_tPvRmT1_PNSt15iterator_traitsISY_E10value_typeET2_T3_PNSZ_IS14_E10value_typeET4_jRbjT5_S1A_jjP12ihipStream_tbEUljE_EEESV_SW_SX_S14_S18_S1A_T6_T7_T9_mT8_S1C_bDpT10_ENKUlT_T0_E_clISt17integral_constantIbLb1EES1P_EEDaS1K_S1L_EUlS1K_E_NS1_11comp_targetILNS1_3genE9ELNS1_11target_archE1100ELNS1_3gpuE3ELNS1_3repE0EEENS1_30default_config_static_selectorELNS0_4arch9wavefront6targetE1EEEvSY_
		.amdhsa_group_segment_fixed_size 0
		.amdhsa_private_segment_fixed_size 0
		.amdhsa_kernarg_size 152
		.amdhsa_user_sgpr_count 6
		.amdhsa_user_sgpr_private_segment_buffer 1
		.amdhsa_user_sgpr_dispatch_ptr 0
		.amdhsa_user_sgpr_queue_ptr 0
		.amdhsa_user_sgpr_kernarg_segment_ptr 1
		.amdhsa_user_sgpr_dispatch_id 0
		.amdhsa_user_sgpr_flat_scratch_init 0
		.amdhsa_user_sgpr_private_segment_size 0
		.amdhsa_uses_dynamic_stack 0
		.amdhsa_system_sgpr_private_segment_wavefront_offset 0
		.amdhsa_system_sgpr_workgroup_id_x 1
		.amdhsa_system_sgpr_workgroup_id_y 0
		.amdhsa_system_sgpr_workgroup_id_z 0
		.amdhsa_system_sgpr_workgroup_info 0
		.amdhsa_system_vgpr_workitem_id 0
		.amdhsa_next_free_vgpr 1
		.amdhsa_next_free_sgpr 0
		.amdhsa_reserve_vcc 0
		.amdhsa_reserve_flat_scratch 0
		.amdhsa_float_round_mode_32 0
		.amdhsa_float_round_mode_16_64 0
		.amdhsa_float_denorm_mode_32 3
		.amdhsa_float_denorm_mode_16_64 3
		.amdhsa_dx10_clamp 1
		.amdhsa_ieee_mode 1
		.amdhsa_fp16_overflow 0
		.amdhsa_exception_fp_ieee_invalid_op 0
		.amdhsa_exception_fp_denorm_src 0
		.amdhsa_exception_fp_ieee_div_zero 0
		.amdhsa_exception_fp_ieee_overflow 0
		.amdhsa_exception_fp_ieee_underflow 0
		.amdhsa_exception_fp_ieee_inexact 0
		.amdhsa_exception_int_div_zero 0
	.end_amdhsa_kernel
	.section	.text._ZN7rocprim17ROCPRIM_400000_NS6detail17trampoline_kernelINS0_13select_configILj256ELj13ELNS0_17block_load_methodE3ELS4_3ELS4_3ELNS0_20block_scan_algorithmE0ELj4294967295EEENS1_25partition_config_selectorILNS1_17partition_subalgoE3EjNS0_10empty_typeEbEEZZNS1_14partition_implILS8_3ELb0ES6_jNS0_17counting_iteratorIjlEEPS9_SE_NS0_5tupleIJPjSE_EEENSF_IJSE_SE_EEES9_SG_JZNS1_25segmented_radix_sort_implINS0_14default_configELb1EPKfPfPKlPlN2at6native12_GLOBAL__N_18offset_tEEE10hipError_tPvRmT1_PNSt15iterator_traitsISY_E10value_typeET2_T3_PNSZ_IS14_E10value_typeET4_jRbjT5_S1A_jjP12ihipStream_tbEUljE_EEESV_SW_SX_S14_S18_S1A_T6_T7_T9_mT8_S1C_bDpT10_ENKUlT_T0_E_clISt17integral_constantIbLb1EES1P_EEDaS1K_S1L_EUlS1K_E_NS1_11comp_targetILNS1_3genE9ELNS1_11target_archE1100ELNS1_3gpuE3ELNS1_3repE0EEENS1_30default_config_static_selectorELNS0_4arch9wavefront6targetE1EEEvSY_,"axG",@progbits,_ZN7rocprim17ROCPRIM_400000_NS6detail17trampoline_kernelINS0_13select_configILj256ELj13ELNS0_17block_load_methodE3ELS4_3ELS4_3ELNS0_20block_scan_algorithmE0ELj4294967295EEENS1_25partition_config_selectorILNS1_17partition_subalgoE3EjNS0_10empty_typeEbEEZZNS1_14partition_implILS8_3ELb0ES6_jNS0_17counting_iteratorIjlEEPS9_SE_NS0_5tupleIJPjSE_EEENSF_IJSE_SE_EEES9_SG_JZNS1_25segmented_radix_sort_implINS0_14default_configELb1EPKfPfPKlPlN2at6native12_GLOBAL__N_18offset_tEEE10hipError_tPvRmT1_PNSt15iterator_traitsISY_E10value_typeET2_T3_PNSZ_IS14_E10value_typeET4_jRbjT5_S1A_jjP12ihipStream_tbEUljE_EEESV_SW_SX_S14_S18_S1A_T6_T7_T9_mT8_S1C_bDpT10_ENKUlT_T0_E_clISt17integral_constantIbLb1EES1P_EEDaS1K_S1L_EUlS1K_E_NS1_11comp_targetILNS1_3genE9ELNS1_11target_archE1100ELNS1_3gpuE3ELNS1_3repE0EEENS1_30default_config_static_selectorELNS0_4arch9wavefront6targetE1EEEvSY_,comdat
.Lfunc_end1307:
	.size	_ZN7rocprim17ROCPRIM_400000_NS6detail17trampoline_kernelINS0_13select_configILj256ELj13ELNS0_17block_load_methodE3ELS4_3ELS4_3ELNS0_20block_scan_algorithmE0ELj4294967295EEENS1_25partition_config_selectorILNS1_17partition_subalgoE3EjNS0_10empty_typeEbEEZZNS1_14partition_implILS8_3ELb0ES6_jNS0_17counting_iteratorIjlEEPS9_SE_NS0_5tupleIJPjSE_EEENSF_IJSE_SE_EEES9_SG_JZNS1_25segmented_radix_sort_implINS0_14default_configELb1EPKfPfPKlPlN2at6native12_GLOBAL__N_18offset_tEEE10hipError_tPvRmT1_PNSt15iterator_traitsISY_E10value_typeET2_T3_PNSZ_IS14_E10value_typeET4_jRbjT5_S1A_jjP12ihipStream_tbEUljE_EEESV_SW_SX_S14_S18_S1A_T6_T7_T9_mT8_S1C_bDpT10_ENKUlT_T0_E_clISt17integral_constantIbLb1EES1P_EEDaS1K_S1L_EUlS1K_E_NS1_11comp_targetILNS1_3genE9ELNS1_11target_archE1100ELNS1_3gpuE3ELNS1_3repE0EEENS1_30default_config_static_selectorELNS0_4arch9wavefront6targetE1EEEvSY_, .Lfunc_end1307-_ZN7rocprim17ROCPRIM_400000_NS6detail17trampoline_kernelINS0_13select_configILj256ELj13ELNS0_17block_load_methodE3ELS4_3ELS4_3ELNS0_20block_scan_algorithmE0ELj4294967295EEENS1_25partition_config_selectorILNS1_17partition_subalgoE3EjNS0_10empty_typeEbEEZZNS1_14partition_implILS8_3ELb0ES6_jNS0_17counting_iteratorIjlEEPS9_SE_NS0_5tupleIJPjSE_EEENSF_IJSE_SE_EEES9_SG_JZNS1_25segmented_radix_sort_implINS0_14default_configELb1EPKfPfPKlPlN2at6native12_GLOBAL__N_18offset_tEEE10hipError_tPvRmT1_PNSt15iterator_traitsISY_E10value_typeET2_T3_PNSZ_IS14_E10value_typeET4_jRbjT5_S1A_jjP12ihipStream_tbEUljE_EEESV_SW_SX_S14_S18_S1A_T6_T7_T9_mT8_S1C_bDpT10_ENKUlT_T0_E_clISt17integral_constantIbLb1EES1P_EEDaS1K_S1L_EUlS1K_E_NS1_11comp_targetILNS1_3genE9ELNS1_11target_archE1100ELNS1_3gpuE3ELNS1_3repE0EEENS1_30default_config_static_selectorELNS0_4arch9wavefront6targetE1EEEvSY_
                                        ; -- End function
	.set _ZN7rocprim17ROCPRIM_400000_NS6detail17trampoline_kernelINS0_13select_configILj256ELj13ELNS0_17block_load_methodE3ELS4_3ELS4_3ELNS0_20block_scan_algorithmE0ELj4294967295EEENS1_25partition_config_selectorILNS1_17partition_subalgoE3EjNS0_10empty_typeEbEEZZNS1_14partition_implILS8_3ELb0ES6_jNS0_17counting_iteratorIjlEEPS9_SE_NS0_5tupleIJPjSE_EEENSF_IJSE_SE_EEES9_SG_JZNS1_25segmented_radix_sort_implINS0_14default_configELb1EPKfPfPKlPlN2at6native12_GLOBAL__N_18offset_tEEE10hipError_tPvRmT1_PNSt15iterator_traitsISY_E10value_typeET2_T3_PNSZ_IS14_E10value_typeET4_jRbjT5_S1A_jjP12ihipStream_tbEUljE_EEESV_SW_SX_S14_S18_S1A_T6_T7_T9_mT8_S1C_bDpT10_ENKUlT_T0_E_clISt17integral_constantIbLb1EES1P_EEDaS1K_S1L_EUlS1K_E_NS1_11comp_targetILNS1_3genE9ELNS1_11target_archE1100ELNS1_3gpuE3ELNS1_3repE0EEENS1_30default_config_static_selectorELNS0_4arch9wavefront6targetE1EEEvSY_.num_vgpr, 0
	.set _ZN7rocprim17ROCPRIM_400000_NS6detail17trampoline_kernelINS0_13select_configILj256ELj13ELNS0_17block_load_methodE3ELS4_3ELS4_3ELNS0_20block_scan_algorithmE0ELj4294967295EEENS1_25partition_config_selectorILNS1_17partition_subalgoE3EjNS0_10empty_typeEbEEZZNS1_14partition_implILS8_3ELb0ES6_jNS0_17counting_iteratorIjlEEPS9_SE_NS0_5tupleIJPjSE_EEENSF_IJSE_SE_EEES9_SG_JZNS1_25segmented_radix_sort_implINS0_14default_configELb1EPKfPfPKlPlN2at6native12_GLOBAL__N_18offset_tEEE10hipError_tPvRmT1_PNSt15iterator_traitsISY_E10value_typeET2_T3_PNSZ_IS14_E10value_typeET4_jRbjT5_S1A_jjP12ihipStream_tbEUljE_EEESV_SW_SX_S14_S18_S1A_T6_T7_T9_mT8_S1C_bDpT10_ENKUlT_T0_E_clISt17integral_constantIbLb1EES1P_EEDaS1K_S1L_EUlS1K_E_NS1_11comp_targetILNS1_3genE9ELNS1_11target_archE1100ELNS1_3gpuE3ELNS1_3repE0EEENS1_30default_config_static_selectorELNS0_4arch9wavefront6targetE1EEEvSY_.num_agpr, 0
	.set _ZN7rocprim17ROCPRIM_400000_NS6detail17trampoline_kernelINS0_13select_configILj256ELj13ELNS0_17block_load_methodE3ELS4_3ELS4_3ELNS0_20block_scan_algorithmE0ELj4294967295EEENS1_25partition_config_selectorILNS1_17partition_subalgoE3EjNS0_10empty_typeEbEEZZNS1_14partition_implILS8_3ELb0ES6_jNS0_17counting_iteratorIjlEEPS9_SE_NS0_5tupleIJPjSE_EEENSF_IJSE_SE_EEES9_SG_JZNS1_25segmented_radix_sort_implINS0_14default_configELb1EPKfPfPKlPlN2at6native12_GLOBAL__N_18offset_tEEE10hipError_tPvRmT1_PNSt15iterator_traitsISY_E10value_typeET2_T3_PNSZ_IS14_E10value_typeET4_jRbjT5_S1A_jjP12ihipStream_tbEUljE_EEESV_SW_SX_S14_S18_S1A_T6_T7_T9_mT8_S1C_bDpT10_ENKUlT_T0_E_clISt17integral_constantIbLb1EES1P_EEDaS1K_S1L_EUlS1K_E_NS1_11comp_targetILNS1_3genE9ELNS1_11target_archE1100ELNS1_3gpuE3ELNS1_3repE0EEENS1_30default_config_static_selectorELNS0_4arch9wavefront6targetE1EEEvSY_.numbered_sgpr, 0
	.set _ZN7rocprim17ROCPRIM_400000_NS6detail17trampoline_kernelINS0_13select_configILj256ELj13ELNS0_17block_load_methodE3ELS4_3ELS4_3ELNS0_20block_scan_algorithmE0ELj4294967295EEENS1_25partition_config_selectorILNS1_17partition_subalgoE3EjNS0_10empty_typeEbEEZZNS1_14partition_implILS8_3ELb0ES6_jNS0_17counting_iteratorIjlEEPS9_SE_NS0_5tupleIJPjSE_EEENSF_IJSE_SE_EEES9_SG_JZNS1_25segmented_radix_sort_implINS0_14default_configELb1EPKfPfPKlPlN2at6native12_GLOBAL__N_18offset_tEEE10hipError_tPvRmT1_PNSt15iterator_traitsISY_E10value_typeET2_T3_PNSZ_IS14_E10value_typeET4_jRbjT5_S1A_jjP12ihipStream_tbEUljE_EEESV_SW_SX_S14_S18_S1A_T6_T7_T9_mT8_S1C_bDpT10_ENKUlT_T0_E_clISt17integral_constantIbLb1EES1P_EEDaS1K_S1L_EUlS1K_E_NS1_11comp_targetILNS1_3genE9ELNS1_11target_archE1100ELNS1_3gpuE3ELNS1_3repE0EEENS1_30default_config_static_selectorELNS0_4arch9wavefront6targetE1EEEvSY_.num_named_barrier, 0
	.set _ZN7rocprim17ROCPRIM_400000_NS6detail17trampoline_kernelINS0_13select_configILj256ELj13ELNS0_17block_load_methodE3ELS4_3ELS4_3ELNS0_20block_scan_algorithmE0ELj4294967295EEENS1_25partition_config_selectorILNS1_17partition_subalgoE3EjNS0_10empty_typeEbEEZZNS1_14partition_implILS8_3ELb0ES6_jNS0_17counting_iteratorIjlEEPS9_SE_NS0_5tupleIJPjSE_EEENSF_IJSE_SE_EEES9_SG_JZNS1_25segmented_radix_sort_implINS0_14default_configELb1EPKfPfPKlPlN2at6native12_GLOBAL__N_18offset_tEEE10hipError_tPvRmT1_PNSt15iterator_traitsISY_E10value_typeET2_T3_PNSZ_IS14_E10value_typeET4_jRbjT5_S1A_jjP12ihipStream_tbEUljE_EEESV_SW_SX_S14_S18_S1A_T6_T7_T9_mT8_S1C_bDpT10_ENKUlT_T0_E_clISt17integral_constantIbLb1EES1P_EEDaS1K_S1L_EUlS1K_E_NS1_11comp_targetILNS1_3genE9ELNS1_11target_archE1100ELNS1_3gpuE3ELNS1_3repE0EEENS1_30default_config_static_selectorELNS0_4arch9wavefront6targetE1EEEvSY_.private_seg_size, 0
	.set _ZN7rocprim17ROCPRIM_400000_NS6detail17trampoline_kernelINS0_13select_configILj256ELj13ELNS0_17block_load_methodE3ELS4_3ELS4_3ELNS0_20block_scan_algorithmE0ELj4294967295EEENS1_25partition_config_selectorILNS1_17partition_subalgoE3EjNS0_10empty_typeEbEEZZNS1_14partition_implILS8_3ELb0ES6_jNS0_17counting_iteratorIjlEEPS9_SE_NS0_5tupleIJPjSE_EEENSF_IJSE_SE_EEES9_SG_JZNS1_25segmented_radix_sort_implINS0_14default_configELb1EPKfPfPKlPlN2at6native12_GLOBAL__N_18offset_tEEE10hipError_tPvRmT1_PNSt15iterator_traitsISY_E10value_typeET2_T3_PNSZ_IS14_E10value_typeET4_jRbjT5_S1A_jjP12ihipStream_tbEUljE_EEESV_SW_SX_S14_S18_S1A_T6_T7_T9_mT8_S1C_bDpT10_ENKUlT_T0_E_clISt17integral_constantIbLb1EES1P_EEDaS1K_S1L_EUlS1K_E_NS1_11comp_targetILNS1_3genE9ELNS1_11target_archE1100ELNS1_3gpuE3ELNS1_3repE0EEENS1_30default_config_static_selectorELNS0_4arch9wavefront6targetE1EEEvSY_.uses_vcc, 0
	.set _ZN7rocprim17ROCPRIM_400000_NS6detail17trampoline_kernelINS0_13select_configILj256ELj13ELNS0_17block_load_methodE3ELS4_3ELS4_3ELNS0_20block_scan_algorithmE0ELj4294967295EEENS1_25partition_config_selectorILNS1_17partition_subalgoE3EjNS0_10empty_typeEbEEZZNS1_14partition_implILS8_3ELb0ES6_jNS0_17counting_iteratorIjlEEPS9_SE_NS0_5tupleIJPjSE_EEENSF_IJSE_SE_EEES9_SG_JZNS1_25segmented_radix_sort_implINS0_14default_configELb1EPKfPfPKlPlN2at6native12_GLOBAL__N_18offset_tEEE10hipError_tPvRmT1_PNSt15iterator_traitsISY_E10value_typeET2_T3_PNSZ_IS14_E10value_typeET4_jRbjT5_S1A_jjP12ihipStream_tbEUljE_EEESV_SW_SX_S14_S18_S1A_T6_T7_T9_mT8_S1C_bDpT10_ENKUlT_T0_E_clISt17integral_constantIbLb1EES1P_EEDaS1K_S1L_EUlS1K_E_NS1_11comp_targetILNS1_3genE9ELNS1_11target_archE1100ELNS1_3gpuE3ELNS1_3repE0EEENS1_30default_config_static_selectorELNS0_4arch9wavefront6targetE1EEEvSY_.uses_flat_scratch, 0
	.set _ZN7rocprim17ROCPRIM_400000_NS6detail17trampoline_kernelINS0_13select_configILj256ELj13ELNS0_17block_load_methodE3ELS4_3ELS4_3ELNS0_20block_scan_algorithmE0ELj4294967295EEENS1_25partition_config_selectorILNS1_17partition_subalgoE3EjNS0_10empty_typeEbEEZZNS1_14partition_implILS8_3ELb0ES6_jNS0_17counting_iteratorIjlEEPS9_SE_NS0_5tupleIJPjSE_EEENSF_IJSE_SE_EEES9_SG_JZNS1_25segmented_radix_sort_implINS0_14default_configELb1EPKfPfPKlPlN2at6native12_GLOBAL__N_18offset_tEEE10hipError_tPvRmT1_PNSt15iterator_traitsISY_E10value_typeET2_T3_PNSZ_IS14_E10value_typeET4_jRbjT5_S1A_jjP12ihipStream_tbEUljE_EEESV_SW_SX_S14_S18_S1A_T6_T7_T9_mT8_S1C_bDpT10_ENKUlT_T0_E_clISt17integral_constantIbLb1EES1P_EEDaS1K_S1L_EUlS1K_E_NS1_11comp_targetILNS1_3genE9ELNS1_11target_archE1100ELNS1_3gpuE3ELNS1_3repE0EEENS1_30default_config_static_selectorELNS0_4arch9wavefront6targetE1EEEvSY_.has_dyn_sized_stack, 0
	.set _ZN7rocprim17ROCPRIM_400000_NS6detail17trampoline_kernelINS0_13select_configILj256ELj13ELNS0_17block_load_methodE3ELS4_3ELS4_3ELNS0_20block_scan_algorithmE0ELj4294967295EEENS1_25partition_config_selectorILNS1_17partition_subalgoE3EjNS0_10empty_typeEbEEZZNS1_14partition_implILS8_3ELb0ES6_jNS0_17counting_iteratorIjlEEPS9_SE_NS0_5tupleIJPjSE_EEENSF_IJSE_SE_EEES9_SG_JZNS1_25segmented_radix_sort_implINS0_14default_configELb1EPKfPfPKlPlN2at6native12_GLOBAL__N_18offset_tEEE10hipError_tPvRmT1_PNSt15iterator_traitsISY_E10value_typeET2_T3_PNSZ_IS14_E10value_typeET4_jRbjT5_S1A_jjP12ihipStream_tbEUljE_EEESV_SW_SX_S14_S18_S1A_T6_T7_T9_mT8_S1C_bDpT10_ENKUlT_T0_E_clISt17integral_constantIbLb1EES1P_EEDaS1K_S1L_EUlS1K_E_NS1_11comp_targetILNS1_3genE9ELNS1_11target_archE1100ELNS1_3gpuE3ELNS1_3repE0EEENS1_30default_config_static_selectorELNS0_4arch9wavefront6targetE1EEEvSY_.has_recursion, 0
	.set _ZN7rocprim17ROCPRIM_400000_NS6detail17trampoline_kernelINS0_13select_configILj256ELj13ELNS0_17block_load_methodE3ELS4_3ELS4_3ELNS0_20block_scan_algorithmE0ELj4294967295EEENS1_25partition_config_selectorILNS1_17partition_subalgoE3EjNS0_10empty_typeEbEEZZNS1_14partition_implILS8_3ELb0ES6_jNS0_17counting_iteratorIjlEEPS9_SE_NS0_5tupleIJPjSE_EEENSF_IJSE_SE_EEES9_SG_JZNS1_25segmented_radix_sort_implINS0_14default_configELb1EPKfPfPKlPlN2at6native12_GLOBAL__N_18offset_tEEE10hipError_tPvRmT1_PNSt15iterator_traitsISY_E10value_typeET2_T3_PNSZ_IS14_E10value_typeET4_jRbjT5_S1A_jjP12ihipStream_tbEUljE_EEESV_SW_SX_S14_S18_S1A_T6_T7_T9_mT8_S1C_bDpT10_ENKUlT_T0_E_clISt17integral_constantIbLb1EES1P_EEDaS1K_S1L_EUlS1K_E_NS1_11comp_targetILNS1_3genE9ELNS1_11target_archE1100ELNS1_3gpuE3ELNS1_3repE0EEENS1_30default_config_static_selectorELNS0_4arch9wavefront6targetE1EEEvSY_.has_indirect_call, 0
	.section	.AMDGPU.csdata,"",@progbits
; Kernel info:
; codeLenInByte = 0
; TotalNumSgprs: 4
; NumVgprs: 0
; ScratchSize: 0
; MemoryBound: 0
; FloatMode: 240
; IeeeMode: 1
; LDSByteSize: 0 bytes/workgroup (compile time only)
; SGPRBlocks: 0
; VGPRBlocks: 0
; NumSGPRsForWavesPerEU: 4
; NumVGPRsForWavesPerEU: 1
; Occupancy: 10
; WaveLimiterHint : 0
; COMPUTE_PGM_RSRC2:SCRATCH_EN: 0
; COMPUTE_PGM_RSRC2:USER_SGPR: 6
; COMPUTE_PGM_RSRC2:TRAP_HANDLER: 0
; COMPUTE_PGM_RSRC2:TGID_X_EN: 1
; COMPUTE_PGM_RSRC2:TGID_Y_EN: 0
; COMPUTE_PGM_RSRC2:TGID_Z_EN: 0
; COMPUTE_PGM_RSRC2:TIDIG_COMP_CNT: 0
	.section	.text._ZN7rocprim17ROCPRIM_400000_NS6detail17trampoline_kernelINS0_13select_configILj256ELj13ELNS0_17block_load_methodE3ELS4_3ELS4_3ELNS0_20block_scan_algorithmE0ELj4294967295EEENS1_25partition_config_selectorILNS1_17partition_subalgoE3EjNS0_10empty_typeEbEEZZNS1_14partition_implILS8_3ELb0ES6_jNS0_17counting_iteratorIjlEEPS9_SE_NS0_5tupleIJPjSE_EEENSF_IJSE_SE_EEES9_SG_JZNS1_25segmented_radix_sort_implINS0_14default_configELb1EPKfPfPKlPlN2at6native12_GLOBAL__N_18offset_tEEE10hipError_tPvRmT1_PNSt15iterator_traitsISY_E10value_typeET2_T3_PNSZ_IS14_E10value_typeET4_jRbjT5_S1A_jjP12ihipStream_tbEUljE_EEESV_SW_SX_S14_S18_S1A_T6_T7_T9_mT8_S1C_bDpT10_ENKUlT_T0_E_clISt17integral_constantIbLb1EES1P_EEDaS1K_S1L_EUlS1K_E_NS1_11comp_targetILNS1_3genE8ELNS1_11target_archE1030ELNS1_3gpuE2ELNS1_3repE0EEENS1_30default_config_static_selectorELNS0_4arch9wavefront6targetE1EEEvSY_,"axG",@progbits,_ZN7rocprim17ROCPRIM_400000_NS6detail17trampoline_kernelINS0_13select_configILj256ELj13ELNS0_17block_load_methodE3ELS4_3ELS4_3ELNS0_20block_scan_algorithmE0ELj4294967295EEENS1_25partition_config_selectorILNS1_17partition_subalgoE3EjNS0_10empty_typeEbEEZZNS1_14partition_implILS8_3ELb0ES6_jNS0_17counting_iteratorIjlEEPS9_SE_NS0_5tupleIJPjSE_EEENSF_IJSE_SE_EEES9_SG_JZNS1_25segmented_radix_sort_implINS0_14default_configELb1EPKfPfPKlPlN2at6native12_GLOBAL__N_18offset_tEEE10hipError_tPvRmT1_PNSt15iterator_traitsISY_E10value_typeET2_T3_PNSZ_IS14_E10value_typeET4_jRbjT5_S1A_jjP12ihipStream_tbEUljE_EEESV_SW_SX_S14_S18_S1A_T6_T7_T9_mT8_S1C_bDpT10_ENKUlT_T0_E_clISt17integral_constantIbLb1EES1P_EEDaS1K_S1L_EUlS1K_E_NS1_11comp_targetILNS1_3genE8ELNS1_11target_archE1030ELNS1_3gpuE2ELNS1_3repE0EEENS1_30default_config_static_selectorELNS0_4arch9wavefront6targetE1EEEvSY_,comdat
	.globl	_ZN7rocprim17ROCPRIM_400000_NS6detail17trampoline_kernelINS0_13select_configILj256ELj13ELNS0_17block_load_methodE3ELS4_3ELS4_3ELNS0_20block_scan_algorithmE0ELj4294967295EEENS1_25partition_config_selectorILNS1_17partition_subalgoE3EjNS0_10empty_typeEbEEZZNS1_14partition_implILS8_3ELb0ES6_jNS0_17counting_iteratorIjlEEPS9_SE_NS0_5tupleIJPjSE_EEENSF_IJSE_SE_EEES9_SG_JZNS1_25segmented_radix_sort_implINS0_14default_configELb1EPKfPfPKlPlN2at6native12_GLOBAL__N_18offset_tEEE10hipError_tPvRmT1_PNSt15iterator_traitsISY_E10value_typeET2_T3_PNSZ_IS14_E10value_typeET4_jRbjT5_S1A_jjP12ihipStream_tbEUljE_EEESV_SW_SX_S14_S18_S1A_T6_T7_T9_mT8_S1C_bDpT10_ENKUlT_T0_E_clISt17integral_constantIbLb1EES1P_EEDaS1K_S1L_EUlS1K_E_NS1_11comp_targetILNS1_3genE8ELNS1_11target_archE1030ELNS1_3gpuE2ELNS1_3repE0EEENS1_30default_config_static_selectorELNS0_4arch9wavefront6targetE1EEEvSY_ ; -- Begin function _ZN7rocprim17ROCPRIM_400000_NS6detail17trampoline_kernelINS0_13select_configILj256ELj13ELNS0_17block_load_methodE3ELS4_3ELS4_3ELNS0_20block_scan_algorithmE0ELj4294967295EEENS1_25partition_config_selectorILNS1_17partition_subalgoE3EjNS0_10empty_typeEbEEZZNS1_14partition_implILS8_3ELb0ES6_jNS0_17counting_iteratorIjlEEPS9_SE_NS0_5tupleIJPjSE_EEENSF_IJSE_SE_EEES9_SG_JZNS1_25segmented_radix_sort_implINS0_14default_configELb1EPKfPfPKlPlN2at6native12_GLOBAL__N_18offset_tEEE10hipError_tPvRmT1_PNSt15iterator_traitsISY_E10value_typeET2_T3_PNSZ_IS14_E10value_typeET4_jRbjT5_S1A_jjP12ihipStream_tbEUljE_EEESV_SW_SX_S14_S18_S1A_T6_T7_T9_mT8_S1C_bDpT10_ENKUlT_T0_E_clISt17integral_constantIbLb1EES1P_EEDaS1K_S1L_EUlS1K_E_NS1_11comp_targetILNS1_3genE8ELNS1_11target_archE1030ELNS1_3gpuE2ELNS1_3repE0EEENS1_30default_config_static_selectorELNS0_4arch9wavefront6targetE1EEEvSY_
	.p2align	8
	.type	_ZN7rocprim17ROCPRIM_400000_NS6detail17trampoline_kernelINS0_13select_configILj256ELj13ELNS0_17block_load_methodE3ELS4_3ELS4_3ELNS0_20block_scan_algorithmE0ELj4294967295EEENS1_25partition_config_selectorILNS1_17partition_subalgoE3EjNS0_10empty_typeEbEEZZNS1_14partition_implILS8_3ELb0ES6_jNS0_17counting_iteratorIjlEEPS9_SE_NS0_5tupleIJPjSE_EEENSF_IJSE_SE_EEES9_SG_JZNS1_25segmented_radix_sort_implINS0_14default_configELb1EPKfPfPKlPlN2at6native12_GLOBAL__N_18offset_tEEE10hipError_tPvRmT1_PNSt15iterator_traitsISY_E10value_typeET2_T3_PNSZ_IS14_E10value_typeET4_jRbjT5_S1A_jjP12ihipStream_tbEUljE_EEESV_SW_SX_S14_S18_S1A_T6_T7_T9_mT8_S1C_bDpT10_ENKUlT_T0_E_clISt17integral_constantIbLb1EES1P_EEDaS1K_S1L_EUlS1K_E_NS1_11comp_targetILNS1_3genE8ELNS1_11target_archE1030ELNS1_3gpuE2ELNS1_3repE0EEENS1_30default_config_static_selectorELNS0_4arch9wavefront6targetE1EEEvSY_,@function
_ZN7rocprim17ROCPRIM_400000_NS6detail17trampoline_kernelINS0_13select_configILj256ELj13ELNS0_17block_load_methodE3ELS4_3ELS4_3ELNS0_20block_scan_algorithmE0ELj4294967295EEENS1_25partition_config_selectorILNS1_17partition_subalgoE3EjNS0_10empty_typeEbEEZZNS1_14partition_implILS8_3ELb0ES6_jNS0_17counting_iteratorIjlEEPS9_SE_NS0_5tupleIJPjSE_EEENSF_IJSE_SE_EEES9_SG_JZNS1_25segmented_radix_sort_implINS0_14default_configELb1EPKfPfPKlPlN2at6native12_GLOBAL__N_18offset_tEEE10hipError_tPvRmT1_PNSt15iterator_traitsISY_E10value_typeET2_T3_PNSZ_IS14_E10value_typeET4_jRbjT5_S1A_jjP12ihipStream_tbEUljE_EEESV_SW_SX_S14_S18_S1A_T6_T7_T9_mT8_S1C_bDpT10_ENKUlT_T0_E_clISt17integral_constantIbLb1EES1P_EEDaS1K_S1L_EUlS1K_E_NS1_11comp_targetILNS1_3genE8ELNS1_11target_archE1030ELNS1_3gpuE2ELNS1_3repE0EEENS1_30default_config_static_selectorELNS0_4arch9wavefront6targetE1EEEvSY_: ; @_ZN7rocprim17ROCPRIM_400000_NS6detail17trampoline_kernelINS0_13select_configILj256ELj13ELNS0_17block_load_methodE3ELS4_3ELS4_3ELNS0_20block_scan_algorithmE0ELj4294967295EEENS1_25partition_config_selectorILNS1_17partition_subalgoE3EjNS0_10empty_typeEbEEZZNS1_14partition_implILS8_3ELb0ES6_jNS0_17counting_iteratorIjlEEPS9_SE_NS0_5tupleIJPjSE_EEENSF_IJSE_SE_EEES9_SG_JZNS1_25segmented_radix_sort_implINS0_14default_configELb1EPKfPfPKlPlN2at6native12_GLOBAL__N_18offset_tEEE10hipError_tPvRmT1_PNSt15iterator_traitsISY_E10value_typeET2_T3_PNSZ_IS14_E10value_typeET4_jRbjT5_S1A_jjP12ihipStream_tbEUljE_EEESV_SW_SX_S14_S18_S1A_T6_T7_T9_mT8_S1C_bDpT10_ENKUlT_T0_E_clISt17integral_constantIbLb1EES1P_EEDaS1K_S1L_EUlS1K_E_NS1_11comp_targetILNS1_3genE8ELNS1_11target_archE1030ELNS1_3gpuE2ELNS1_3repE0EEENS1_30default_config_static_selectorELNS0_4arch9wavefront6targetE1EEEvSY_
; %bb.0:
	.section	.rodata,"a",@progbits
	.p2align	6, 0x0
	.amdhsa_kernel _ZN7rocprim17ROCPRIM_400000_NS6detail17trampoline_kernelINS0_13select_configILj256ELj13ELNS0_17block_load_methodE3ELS4_3ELS4_3ELNS0_20block_scan_algorithmE0ELj4294967295EEENS1_25partition_config_selectorILNS1_17partition_subalgoE3EjNS0_10empty_typeEbEEZZNS1_14partition_implILS8_3ELb0ES6_jNS0_17counting_iteratorIjlEEPS9_SE_NS0_5tupleIJPjSE_EEENSF_IJSE_SE_EEES9_SG_JZNS1_25segmented_radix_sort_implINS0_14default_configELb1EPKfPfPKlPlN2at6native12_GLOBAL__N_18offset_tEEE10hipError_tPvRmT1_PNSt15iterator_traitsISY_E10value_typeET2_T3_PNSZ_IS14_E10value_typeET4_jRbjT5_S1A_jjP12ihipStream_tbEUljE_EEESV_SW_SX_S14_S18_S1A_T6_T7_T9_mT8_S1C_bDpT10_ENKUlT_T0_E_clISt17integral_constantIbLb1EES1P_EEDaS1K_S1L_EUlS1K_E_NS1_11comp_targetILNS1_3genE8ELNS1_11target_archE1030ELNS1_3gpuE2ELNS1_3repE0EEENS1_30default_config_static_selectorELNS0_4arch9wavefront6targetE1EEEvSY_
		.amdhsa_group_segment_fixed_size 0
		.amdhsa_private_segment_fixed_size 0
		.amdhsa_kernarg_size 152
		.amdhsa_user_sgpr_count 6
		.amdhsa_user_sgpr_private_segment_buffer 1
		.amdhsa_user_sgpr_dispatch_ptr 0
		.amdhsa_user_sgpr_queue_ptr 0
		.amdhsa_user_sgpr_kernarg_segment_ptr 1
		.amdhsa_user_sgpr_dispatch_id 0
		.amdhsa_user_sgpr_flat_scratch_init 0
		.amdhsa_user_sgpr_private_segment_size 0
		.amdhsa_uses_dynamic_stack 0
		.amdhsa_system_sgpr_private_segment_wavefront_offset 0
		.amdhsa_system_sgpr_workgroup_id_x 1
		.amdhsa_system_sgpr_workgroup_id_y 0
		.amdhsa_system_sgpr_workgroup_id_z 0
		.amdhsa_system_sgpr_workgroup_info 0
		.amdhsa_system_vgpr_workitem_id 0
		.amdhsa_next_free_vgpr 1
		.amdhsa_next_free_sgpr 0
		.amdhsa_reserve_vcc 0
		.amdhsa_reserve_flat_scratch 0
		.amdhsa_float_round_mode_32 0
		.amdhsa_float_round_mode_16_64 0
		.amdhsa_float_denorm_mode_32 3
		.amdhsa_float_denorm_mode_16_64 3
		.amdhsa_dx10_clamp 1
		.amdhsa_ieee_mode 1
		.amdhsa_fp16_overflow 0
		.amdhsa_exception_fp_ieee_invalid_op 0
		.amdhsa_exception_fp_denorm_src 0
		.amdhsa_exception_fp_ieee_div_zero 0
		.amdhsa_exception_fp_ieee_overflow 0
		.amdhsa_exception_fp_ieee_underflow 0
		.amdhsa_exception_fp_ieee_inexact 0
		.amdhsa_exception_int_div_zero 0
	.end_amdhsa_kernel
	.section	.text._ZN7rocprim17ROCPRIM_400000_NS6detail17trampoline_kernelINS0_13select_configILj256ELj13ELNS0_17block_load_methodE3ELS4_3ELS4_3ELNS0_20block_scan_algorithmE0ELj4294967295EEENS1_25partition_config_selectorILNS1_17partition_subalgoE3EjNS0_10empty_typeEbEEZZNS1_14partition_implILS8_3ELb0ES6_jNS0_17counting_iteratorIjlEEPS9_SE_NS0_5tupleIJPjSE_EEENSF_IJSE_SE_EEES9_SG_JZNS1_25segmented_radix_sort_implINS0_14default_configELb1EPKfPfPKlPlN2at6native12_GLOBAL__N_18offset_tEEE10hipError_tPvRmT1_PNSt15iterator_traitsISY_E10value_typeET2_T3_PNSZ_IS14_E10value_typeET4_jRbjT5_S1A_jjP12ihipStream_tbEUljE_EEESV_SW_SX_S14_S18_S1A_T6_T7_T9_mT8_S1C_bDpT10_ENKUlT_T0_E_clISt17integral_constantIbLb1EES1P_EEDaS1K_S1L_EUlS1K_E_NS1_11comp_targetILNS1_3genE8ELNS1_11target_archE1030ELNS1_3gpuE2ELNS1_3repE0EEENS1_30default_config_static_selectorELNS0_4arch9wavefront6targetE1EEEvSY_,"axG",@progbits,_ZN7rocprim17ROCPRIM_400000_NS6detail17trampoline_kernelINS0_13select_configILj256ELj13ELNS0_17block_load_methodE3ELS4_3ELS4_3ELNS0_20block_scan_algorithmE0ELj4294967295EEENS1_25partition_config_selectorILNS1_17partition_subalgoE3EjNS0_10empty_typeEbEEZZNS1_14partition_implILS8_3ELb0ES6_jNS0_17counting_iteratorIjlEEPS9_SE_NS0_5tupleIJPjSE_EEENSF_IJSE_SE_EEES9_SG_JZNS1_25segmented_radix_sort_implINS0_14default_configELb1EPKfPfPKlPlN2at6native12_GLOBAL__N_18offset_tEEE10hipError_tPvRmT1_PNSt15iterator_traitsISY_E10value_typeET2_T3_PNSZ_IS14_E10value_typeET4_jRbjT5_S1A_jjP12ihipStream_tbEUljE_EEESV_SW_SX_S14_S18_S1A_T6_T7_T9_mT8_S1C_bDpT10_ENKUlT_T0_E_clISt17integral_constantIbLb1EES1P_EEDaS1K_S1L_EUlS1K_E_NS1_11comp_targetILNS1_3genE8ELNS1_11target_archE1030ELNS1_3gpuE2ELNS1_3repE0EEENS1_30default_config_static_selectorELNS0_4arch9wavefront6targetE1EEEvSY_,comdat
.Lfunc_end1308:
	.size	_ZN7rocprim17ROCPRIM_400000_NS6detail17trampoline_kernelINS0_13select_configILj256ELj13ELNS0_17block_load_methodE3ELS4_3ELS4_3ELNS0_20block_scan_algorithmE0ELj4294967295EEENS1_25partition_config_selectorILNS1_17partition_subalgoE3EjNS0_10empty_typeEbEEZZNS1_14partition_implILS8_3ELb0ES6_jNS0_17counting_iteratorIjlEEPS9_SE_NS0_5tupleIJPjSE_EEENSF_IJSE_SE_EEES9_SG_JZNS1_25segmented_radix_sort_implINS0_14default_configELb1EPKfPfPKlPlN2at6native12_GLOBAL__N_18offset_tEEE10hipError_tPvRmT1_PNSt15iterator_traitsISY_E10value_typeET2_T3_PNSZ_IS14_E10value_typeET4_jRbjT5_S1A_jjP12ihipStream_tbEUljE_EEESV_SW_SX_S14_S18_S1A_T6_T7_T9_mT8_S1C_bDpT10_ENKUlT_T0_E_clISt17integral_constantIbLb1EES1P_EEDaS1K_S1L_EUlS1K_E_NS1_11comp_targetILNS1_3genE8ELNS1_11target_archE1030ELNS1_3gpuE2ELNS1_3repE0EEENS1_30default_config_static_selectorELNS0_4arch9wavefront6targetE1EEEvSY_, .Lfunc_end1308-_ZN7rocprim17ROCPRIM_400000_NS6detail17trampoline_kernelINS0_13select_configILj256ELj13ELNS0_17block_load_methodE3ELS4_3ELS4_3ELNS0_20block_scan_algorithmE0ELj4294967295EEENS1_25partition_config_selectorILNS1_17partition_subalgoE3EjNS0_10empty_typeEbEEZZNS1_14partition_implILS8_3ELb0ES6_jNS0_17counting_iteratorIjlEEPS9_SE_NS0_5tupleIJPjSE_EEENSF_IJSE_SE_EEES9_SG_JZNS1_25segmented_radix_sort_implINS0_14default_configELb1EPKfPfPKlPlN2at6native12_GLOBAL__N_18offset_tEEE10hipError_tPvRmT1_PNSt15iterator_traitsISY_E10value_typeET2_T3_PNSZ_IS14_E10value_typeET4_jRbjT5_S1A_jjP12ihipStream_tbEUljE_EEESV_SW_SX_S14_S18_S1A_T6_T7_T9_mT8_S1C_bDpT10_ENKUlT_T0_E_clISt17integral_constantIbLb1EES1P_EEDaS1K_S1L_EUlS1K_E_NS1_11comp_targetILNS1_3genE8ELNS1_11target_archE1030ELNS1_3gpuE2ELNS1_3repE0EEENS1_30default_config_static_selectorELNS0_4arch9wavefront6targetE1EEEvSY_
                                        ; -- End function
	.set _ZN7rocprim17ROCPRIM_400000_NS6detail17trampoline_kernelINS0_13select_configILj256ELj13ELNS0_17block_load_methodE3ELS4_3ELS4_3ELNS0_20block_scan_algorithmE0ELj4294967295EEENS1_25partition_config_selectorILNS1_17partition_subalgoE3EjNS0_10empty_typeEbEEZZNS1_14partition_implILS8_3ELb0ES6_jNS0_17counting_iteratorIjlEEPS9_SE_NS0_5tupleIJPjSE_EEENSF_IJSE_SE_EEES9_SG_JZNS1_25segmented_radix_sort_implINS0_14default_configELb1EPKfPfPKlPlN2at6native12_GLOBAL__N_18offset_tEEE10hipError_tPvRmT1_PNSt15iterator_traitsISY_E10value_typeET2_T3_PNSZ_IS14_E10value_typeET4_jRbjT5_S1A_jjP12ihipStream_tbEUljE_EEESV_SW_SX_S14_S18_S1A_T6_T7_T9_mT8_S1C_bDpT10_ENKUlT_T0_E_clISt17integral_constantIbLb1EES1P_EEDaS1K_S1L_EUlS1K_E_NS1_11comp_targetILNS1_3genE8ELNS1_11target_archE1030ELNS1_3gpuE2ELNS1_3repE0EEENS1_30default_config_static_selectorELNS0_4arch9wavefront6targetE1EEEvSY_.num_vgpr, 0
	.set _ZN7rocprim17ROCPRIM_400000_NS6detail17trampoline_kernelINS0_13select_configILj256ELj13ELNS0_17block_load_methodE3ELS4_3ELS4_3ELNS0_20block_scan_algorithmE0ELj4294967295EEENS1_25partition_config_selectorILNS1_17partition_subalgoE3EjNS0_10empty_typeEbEEZZNS1_14partition_implILS8_3ELb0ES6_jNS0_17counting_iteratorIjlEEPS9_SE_NS0_5tupleIJPjSE_EEENSF_IJSE_SE_EEES9_SG_JZNS1_25segmented_radix_sort_implINS0_14default_configELb1EPKfPfPKlPlN2at6native12_GLOBAL__N_18offset_tEEE10hipError_tPvRmT1_PNSt15iterator_traitsISY_E10value_typeET2_T3_PNSZ_IS14_E10value_typeET4_jRbjT5_S1A_jjP12ihipStream_tbEUljE_EEESV_SW_SX_S14_S18_S1A_T6_T7_T9_mT8_S1C_bDpT10_ENKUlT_T0_E_clISt17integral_constantIbLb1EES1P_EEDaS1K_S1L_EUlS1K_E_NS1_11comp_targetILNS1_3genE8ELNS1_11target_archE1030ELNS1_3gpuE2ELNS1_3repE0EEENS1_30default_config_static_selectorELNS0_4arch9wavefront6targetE1EEEvSY_.num_agpr, 0
	.set _ZN7rocprim17ROCPRIM_400000_NS6detail17trampoline_kernelINS0_13select_configILj256ELj13ELNS0_17block_load_methodE3ELS4_3ELS4_3ELNS0_20block_scan_algorithmE0ELj4294967295EEENS1_25partition_config_selectorILNS1_17partition_subalgoE3EjNS0_10empty_typeEbEEZZNS1_14partition_implILS8_3ELb0ES6_jNS0_17counting_iteratorIjlEEPS9_SE_NS0_5tupleIJPjSE_EEENSF_IJSE_SE_EEES9_SG_JZNS1_25segmented_radix_sort_implINS0_14default_configELb1EPKfPfPKlPlN2at6native12_GLOBAL__N_18offset_tEEE10hipError_tPvRmT1_PNSt15iterator_traitsISY_E10value_typeET2_T3_PNSZ_IS14_E10value_typeET4_jRbjT5_S1A_jjP12ihipStream_tbEUljE_EEESV_SW_SX_S14_S18_S1A_T6_T7_T9_mT8_S1C_bDpT10_ENKUlT_T0_E_clISt17integral_constantIbLb1EES1P_EEDaS1K_S1L_EUlS1K_E_NS1_11comp_targetILNS1_3genE8ELNS1_11target_archE1030ELNS1_3gpuE2ELNS1_3repE0EEENS1_30default_config_static_selectorELNS0_4arch9wavefront6targetE1EEEvSY_.numbered_sgpr, 0
	.set _ZN7rocprim17ROCPRIM_400000_NS6detail17trampoline_kernelINS0_13select_configILj256ELj13ELNS0_17block_load_methodE3ELS4_3ELS4_3ELNS0_20block_scan_algorithmE0ELj4294967295EEENS1_25partition_config_selectorILNS1_17partition_subalgoE3EjNS0_10empty_typeEbEEZZNS1_14partition_implILS8_3ELb0ES6_jNS0_17counting_iteratorIjlEEPS9_SE_NS0_5tupleIJPjSE_EEENSF_IJSE_SE_EEES9_SG_JZNS1_25segmented_radix_sort_implINS0_14default_configELb1EPKfPfPKlPlN2at6native12_GLOBAL__N_18offset_tEEE10hipError_tPvRmT1_PNSt15iterator_traitsISY_E10value_typeET2_T3_PNSZ_IS14_E10value_typeET4_jRbjT5_S1A_jjP12ihipStream_tbEUljE_EEESV_SW_SX_S14_S18_S1A_T6_T7_T9_mT8_S1C_bDpT10_ENKUlT_T0_E_clISt17integral_constantIbLb1EES1P_EEDaS1K_S1L_EUlS1K_E_NS1_11comp_targetILNS1_3genE8ELNS1_11target_archE1030ELNS1_3gpuE2ELNS1_3repE0EEENS1_30default_config_static_selectorELNS0_4arch9wavefront6targetE1EEEvSY_.num_named_barrier, 0
	.set _ZN7rocprim17ROCPRIM_400000_NS6detail17trampoline_kernelINS0_13select_configILj256ELj13ELNS0_17block_load_methodE3ELS4_3ELS4_3ELNS0_20block_scan_algorithmE0ELj4294967295EEENS1_25partition_config_selectorILNS1_17partition_subalgoE3EjNS0_10empty_typeEbEEZZNS1_14partition_implILS8_3ELb0ES6_jNS0_17counting_iteratorIjlEEPS9_SE_NS0_5tupleIJPjSE_EEENSF_IJSE_SE_EEES9_SG_JZNS1_25segmented_radix_sort_implINS0_14default_configELb1EPKfPfPKlPlN2at6native12_GLOBAL__N_18offset_tEEE10hipError_tPvRmT1_PNSt15iterator_traitsISY_E10value_typeET2_T3_PNSZ_IS14_E10value_typeET4_jRbjT5_S1A_jjP12ihipStream_tbEUljE_EEESV_SW_SX_S14_S18_S1A_T6_T7_T9_mT8_S1C_bDpT10_ENKUlT_T0_E_clISt17integral_constantIbLb1EES1P_EEDaS1K_S1L_EUlS1K_E_NS1_11comp_targetILNS1_3genE8ELNS1_11target_archE1030ELNS1_3gpuE2ELNS1_3repE0EEENS1_30default_config_static_selectorELNS0_4arch9wavefront6targetE1EEEvSY_.private_seg_size, 0
	.set _ZN7rocprim17ROCPRIM_400000_NS6detail17trampoline_kernelINS0_13select_configILj256ELj13ELNS0_17block_load_methodE3ELS4_3ELS4_3ELNS0_20block_scan_algorithmE0ELj4294967295EEENS1_25partition_config_selectorILNS1_17partition_subalgoE3EjNS0_10empty_typeEbEEZZNS1_14partition_implILS8_3ELb0ES6_jNS0_17counting_iteratorIjlEEPS9_SE_NS0_5tupleIJPjSE_EEENSF_IJSE_SE_EEES9_SG_JZNS1_25segmented_radix_sort_implINS0_14default_configELb1EPKfPfPKlPlN2at6native12_GLOBAL__N_18offset_tEEE10hipError_tPvRmT1_PNSt15iterator_traitsISY_E10value_typeET2_T3_PNSZ_IS14_E10value_typeET4_jRbjT5_S1A_jjP12ihipStream_tbEUljE_EEESV_SW_SX_S14_S18_S1A_T6_T7_T9_mT8_S1C_bDpT10_ENKUlT_T0_E_clISt17integral_constantIbLb1EES1P_EEDaS1K_S1L_EUlS1K_E_NS1_11comp_targetILNS1_3genE8ELNS1_11target_archE1030ELNS1_3gpuE2ELNS1_3repE0EEENS1_30default_config_static_selectorELNS0_4arch9wavefront6targetE1EEEvSY_.uses_vcc, 0
	.set _ZN7rocprim17ROCPRIM_400000_NS6detail17trampoline_kernelINS0_13select_configILj256ELj13ELNS0_17block_load_methodE3ELS4_3ELS4_3ELNS0_20block_scan_algorithmE0ELj4294967295EEENS1_25partition_config_selectorILNS1_17partition_subalgoE3EjNS0_10empty_typeEbEEZZNS1_14partition_implILS8_3ELb0ES6_jNS0_17counting_iteratorIjlEEPS9_SE_NS0_5tupleIJPjSE_EEENSF_IJSE_SE_EEES9_SG_JZNS1_25segmented_radix_sort_implINS0_14default_configELb1EPKfPfPKlPlN2at6native12_GLOBAL__N_18offset_tEEE10hipError_tPvRmT1_PNSt15iterator_traitsISY_E10value_typeET2_T3_PNSZ_IS14_E10value_typeET4_jRbjT5_S1A_jjP12ihipStream_tbEUljE_EEESV_SW_SX_S14_S18_S1A_T6_T7_T9_mT8_S1C_bDpT10_ENKUlT_T0_E_clISt17integral_constantIbLb1EES1P_EEDaS1K_S1L_EUlS1K_E_NS1_11comp_targetILNS1_3genE8ELNS1_11target_archE1030ELNS1_3gpuE2ELNS1_3repE0EEENS1_30default_config_static_selectorELNS0_4arch9wavefront6targetE1EEEvSY_.uses_flat_scratch, 0
	.set _ZN7rocprim17ROCPRIM_400000_NS6detail17trampoline_kernelINS0_13select_configILj256ELj13ELNS0_17block_load_methodE3ELS4_3ELS4_3ELNS0_20block_scan_algorithmE0ELj4294967295EEENS1_25partition_config_selectorILNS1_17partition_subalgoE3EjNS0_10empty_typeEbEEZZNS1_14partition_implILS8_3ELb0ES6_jNS0_17counting_iteratorIjlEEPS9_SE_NS0_5tupleIJPjSE_EEENSF_IJSE_SE_EEES9_SG_JZNS1_25segmented_radix_sort_implINS0_14default_configELb1EPKfPfPKlPlN2at6native12_GLOBAL__N_18offset_tEEE10hipError_tPvRmT1_PNSt15iterator_traitsISY_E10value_typeET2_T3_PNSZ_IS14_E10value_typeET4_jRbjT5_S1A_jjP12ihipStream_tbEUljE_EEESV_SW_SX_S14_S18_S1A_T6_T7_T9_mT8_S1C_bDpT10_ENKUlT_T0_E_clISt17integral_constantIbLb1EES1P_EEDaS1K_S1L_EUlS1K_E_NS1_11comp_targetILNS1_3genE8ELNS1_11target_archE1030ELNS1_3gpuE2ELNS1_3repE0EEENS1_30default_config_static_selectorELNS0_4arch9wavefront6targetE1EEEvSY_.has_dyn_sized_stack, 0
	.set _ZN7rocprim17ROCPRIM_400000_NS6detail17trampoline_kernelINS0_13select_configILj256ELj13ELNS0_17block_load_methodE3ELS4_3ELS4_3ELNS0_20block_scan_algorithmE0ELj4294967295EEENS1_25partition_config_selectorILNS1_17partition_subalgoE3EjNS0_10empty_typeEbEEZZNS1_14partition_implILS8_3ELb0ES6_jNS0_17counting_iteratorIjlEEPS9_SE_NS0_5tupleIJPjSE_EEENSF_IJSE_SE_EEES9_SG_JZNS1_25segmented_radix_sort_implINS0_14default_configELb1EPKfPfPKlPlN2at6native12_GLOBAL__N_18offset_tEEE10hipError_tPvRmT1_PNSt15iterator_traitsISY_E10value_typeET2_T3_PNSZ_IS14_E10value_typeET4_jRbjT5_S1A_jjP12ihipStream_tbEUljE_EEESV_SW_SX_S14_S18_S1A_T6_T7_T9_mT8_S1C_bDpT10_ENKUlT_T0_E_clISt17integral_constantIbLb1EES1P_EEDaS1K_S1L_EUlS1K_E_NS1_11comp_targetILNS1_3genE8ELNS1_11target_archE1030ELNS1_3gpuE2ELNS1_3repE0EEENS1_30default_config_static_selectorELNS0_4arch9wavefront6targetE1EEEvSY_.has_recursion, 0
	.set _ZN7rocprim17ROCPRIM_400000_NS6detail17trampoline_kernelINS0_13select_configILj256ELj13ELNS0_17block_load_methodE3ELS4_3ELS4_3ELNS0_20block_scan_algorithmE0ELj4294967295EEENS1_25partition_config_selectorILNS1_17partition_subalgoE3EjNS0_10empty_typeEbEEZZNS1_14partition_implILS8_3ELb0ES6_jNS0_17counting_iteratorIjlEEPS9_SE_NS0_5tupleIJPjSE_EEENSF_IJSE_SE_EEES9_SG_JZNS1_25segmented_radix_sort_implINS0_14default_configELb1EPKfPfPKlPlN2at6native12_GLOBAL__N_18offset_tEEE10hipError_tPvRmT1_PNSt15iterator_traitsISY_E10value_typeET2_T3_PNSZ_IS14_E10value_typeET4_jRbjT5_S1A_jjP12ihipStream_tbEUljE_EEESV_SW_SX_S14_S18_S1A_T6_T7_T9_mT8_S1C_bDpT10_ENKUlT_T0_E_clISt17integral_constantIbLb1EES1P_EEDaS1K_S1L_EUlS1K_E_NS1_11comp_targetILNS1_3genE8ELNS1_11target_archE1030ELNS1_3gpuE2ELNS1_3repE0EEENS1_30default_config_static_selectorELNS0_4arch9wavefront6targetE1EEEvSY_.has_indirect_call, 0
	.section	.AMDGPU.csdata,"",@progbits
; Kernel info:
; codeLenInByte = 0
; TotalNumSgprs: 4
; NumVgprs: 0
; ScratchSize: 0
; MemoryBound: 0
; FloatMode: 240
; IeeeMode: 1
; LDSByteSize: 0 bytes/workgroup (compile time only)
; SGPRBlocks: 0
; VGPRBlocks: 0
; NumSGPRsForWavesPerEU: 4
; NumVGPRsForWavesPerEU: 1
; Occupancy: 10
; WaveLimiterHint : 0
; COMPUTE_PGM_RSRC2:SCRATCH_EN: 0
; COMPUTE_PGM_RSRC2:USER_SGPR: 6
; COMPUTE_PGM_RSRC2:TRAP_HANDLER: 0
; COMPUTE_PGM_RSRC2:TGID_X_EN: 1
; COMPUTE_PGM_RSRC2:TGID_Y_EN: 0
; COMPUTE_PGM_RSRC2:TGID_Z_EN: 0
; COMPUTE_PGM_RSRC2:TIDIG_COMP_CNT: 0
	.section	.text._ZN7rocprim17ROCPRIM_400000_NS6detail17trampoline_kernelINS0_13select_configILj256ELj13ELNS0_17block_load_methodE3ELS4_3ELS4_3ELNS0_20block_scan_algorithmE0ELj4294967295EEENS1_25partition_config_selectorILNS1_17partition_subalgoE3EjNS0_10empty_typeEbEEZZNS1_14partition_implILS8_3ELb0ES6_jNS0_17counting_iteratorIjlEEPS9_SE_NS0_5tupleIJPjSE_EEENSF_IJSE_SE_EEES9_SG_JZNS1_25segmented_radix_sort_implINS0_14default_configELb1EPKfPfPKlPlN2at6native12_GLOBAL__N_18offset_tEEE10hipError_tPvRmT1_PNSt15iterator_traitsISY_E10value_typeET2_T3_PNSZ_IS14_E10value_typeET4_jRbjT5_S1A_jjP12ihipStream_tbEUljE_EEESV_SW_SX_S14_S18_S1A_T6_T7_T9_mT8_S1C_bDpT10_ENKUlT_T0_E_clISt17integral_constantIbLb1EES1O_IbLb0EEEEDaS1K_S1L_EUlS1K_E_NS1_11comp_targetILNS1_3genE0ELNS1_11target_archE4294967295ELNS1_3gpuE0ELNS1_3repE0EEENS1_30default_config_static_selectorELNS0_4arch9wavefront6targetE1EEEvSY_,"axG",@progbits,_ZN7rocprim17ROCPRIM_400000_NS6detail17trampoline_kernelINS0_13select_configILj256ELj13ELNS0_17block_load_methodE3ELS4_3ELS4_3ELNS0_20block_scan_algorithmE0ELj4294967295EEENS1_25partition_config_selectorILNS1_17partition_subalgoE3EjNS0_10empty_typeEbEEZZNS1_14partition_implILS8_3ELb0ES6_jNS0_17counting_iteratorIjlEEPS9_SE_NS0_5tupleIJPjSE_EEENSF_IJSE_SE_EEES9_SG_JZNS1_25segmented_radix_sort_implINS0_14default_configELb1EPKfPfPKlPlN2at6native12_GLOBAL__N_18offset_tEEE10hipError_tPvRmT1_PNSt15iterator_traitsISY_E10value_typeET2_T3_PNSZ_IS14_E10value_typeET4_jRbjT5_S1A_jjP12ihipStream_tbEUljE_EEESV_SW_SX_S14_S18_S1A_T6_T7_T9_mT8_S1C_bDpT10_ENKUlT_T0_E_clISt17integral_constantIbLb1EES1O_IbLb0EEEEDaS1K_S1L_EUlS1K_E_NS1_11comp_targetILNS1_3genE0ELNS1_11target_archE4294967295ELNS1_3gpuE0ELNS1_3repE0EEENS1_30default_config_static_selectorELNS0_4arch9wavefront6targetE1EEEvSY_,comdat
	.globl	_ZN7rocprim17ROCPRIM_400000_NS6detail17trampoline_kernelINS0_13select_configILj256ELj13ELNS0_17block_load_methodE3ELS4_3ELS4_3ELNS0_20block_scan_algorithmE0ELj4294967295EEENS1_25partition_config_selectorILNS1_17partition_subalgoE3EjNS0_10empty_typeEbEEZZNS1_14partition_implILS8_3ELb0ES6_jNS0_17counting_iteratorIjlEEPS9_SE_NS0_5tupleIJPjSE_EEENSF_IJSE_SE_EEES9_SG_JZNS1_25segmented_radix_sort_implINS0_14default_configELb1EPKfPfPKlPlN2at6native12_GLOBAL__N_18offset_tEEE10hipError_tPvRmT1_PNSt15iterator_traitsISY_E10value_typeET2_T3_PNSZ_IS14_E10value_typeET4_jRbjT5_S1A_jjP12ihipStream_tbEUljE_EEESV_SW_SX_S14_S18_S1A_T6_T7_T9_mT8_S1C_bDpT10_ENKUlT_T0_E_clISt17integral_constantIbLb1EES1O_IbLb0EEEEDaS1K_S1L_EUlS1K_E_NS1_11comp_targetILNS1_3genE0ELNS1_11target_archE4294967295ELNS1_3gpuE0ELNS1_3repE0EEENS1_30default_config_static_selectorELNS0_4arch9wavefront6targetE1EEEvSY_ ; -- Begin function _ZN7rocprim17ROCPRIM_400000_NS6detail17trampoline_kernelINS0_13select_configILj256ELj13ELNS0_17block_load_methodE3ELS4_3ELS4_3ELNS0_20block_scan_algorithmE0ELj4294967295EEENS1_25partition_config_selectorILNS1_17partition_subalgoE3EjNS0_10empty_typeEbEEZZNS1_14partition_implILS8_3ELb0ES6_jNS0_17counting_iteratorIjlEEPS9_SE_NS0_5tupleIJPjSE_EEENSF_IJSE_SE_EEES9_SG_JZNS1_25segmented_radix_sort_implINS0_14default_configELb1EPKfPfPKlPlN2at6native12_GLOBAL__N_18offset_tEEE10hipError_tPvRmT1_PNSt15iterator_traitsISY_E10value_typeET2_T3_PNSZ_IS14_E10value_typeET4_jRbjT5_S1A_jjP12ihipStream_tbEUljE_EEESV_SW_SX_S14_S18_S1A_T6_T7_T9_mT8_S1C_bDpT10_ENKUlT_T0_E_clISt17integral_constantIbLb1EES1O_IbLb0EEEEDaS1K_S1L_EUlS1K_E_NS1_11comp_targetILNS1_3genE0ELNS1_11target_archE4294967295ELNS1_3gpuE0ELNS1_3repE0EEENS1_30default_config_static_selectorELNS0_4arch9wavefront6targetE1EEEvSY_
	.p2align	8
	.type	_ZN7rocprim17ROCPRIM_400000_NS6detail17trampoline_kernelINS0_13select_configILj256ELj13ELNS0_17block_load_methodE3ELS4_3ELS4_3ELNS0_20block_scan_algorithmE0ELj4294967295EEENS1_25partition_config_selectorILNS1_17partition_subalgoE3EjNS0_10empty_typeEbEEZZNS1_14partition_implILS8_3ELb0ES6_jNS0_17counting_iteratorIjlEEPS9_SE_NS0_5tupleIJPjSE_EEENSF_IJSE_SE_EEES9_SG_JZNS1_25segmented_radix_sort_implINS0_14default_configELb1EPKfPfPKlPlN2at6native12_GLOBAL__N_18offset_tEEE10hipError_tPvRmT1_PNSt15iterator_traitsISY_E10value_typeET2_T3_PNSZ_IS14_E10value_typeET4_jRbjT5_S1A_jjP12ihipStream_tbEUljE_EEESV_SW_SX_S14_S18_S1A_T6_T7_T9_mT8_S1C_bDpT10_ENKUlT_T0_E_clISt17integral_constantIbLb1EES1O_IbLb0EEEEDaS1K_S1L_EUlS1K_E_NS1_11comp_targetILNS1_3genE0ELNS1_11target_archE4294967295ELNS1_3gpuE0ELNS1_3repE0EEENS1_30default_config_static_selectorELNS0_4arch9wavefront6targetE1EEEvSY_,@function
_ZN7rocprim17ROCPRIM_400000_NS6detail17trampoline_kernelINS0_13select_configILj256ELj13ELNS0_17block_load_methodE3ELS4_3ELS4_3ELNS0_20block_scan_algorithmE0ELj4294967295EEENS1_25partition_config_selectorILNS1_17partition_subalgoE3EjNS0_10empty_typeEbEEZZNS1_14partition_implILS8_3ELb0ES6_jNS0_17counting_iteratorIjlEEPS9_SE_NS0_5tupleIJPjSE_EEENSF_IJSE_SE_EEES9_SG_JZNS1_25segmented_radix_sort_implINS0_14default_configELb1EPKfPfPKlPlN2at6native12_GLOBAL__N_18offset_tEEE10hipError_tPvRmT1_PNSt15iterator_traitsISY_E10value_typeET2_T3_PNSZ_IS14_E10value_typeET4_jRbjT5_S1A_jjP12ihipStream_tbEUljE_EEESV_SW_SX_S14_S18_S1A_T6_T7_T9_mT8_S1C_bDpT10_ENKUlT_T0_E_clISt17integral_constantIbLb1EES1O_IbLb0EEEEDaS1K_S1L_EUlS1K_E_NS1_11comp_targetILNS1_3genE0ELNS1_11target_archE4294967295ELNS1_3gpuE0ELNS1_3repE0EEENS1_30default_config_static_selectorELNS0_4arch9wavefront6targetE1EEEvSY_: ; @_ZN7rocprim17ROCPRIM_400000_NS6detail17trampoline_kernelINS0_13select_configILj256ELj13ELNS0_17block_load_methodE3ELS4_3ELS4_3ELNS0_20block_scan_algorithmE0ELj4294967295EEENS1_25partition_config_selectorILNS1_17partition_subalgoE3EjNS0_10empty_typeEbEEZZNS1_14partition_implILS8_3ELb0ES6_jNS0_17counting_iteratorIjlEEPS9_SE_NS0_5tupleIJPjSE_EEENSF_IJSE_SE_EEES9_SG_JZNS1_25segmented_radix_sort_implINS0_14default_configELb1EPKfPfPKlPlN2at6native12_GLOBAL__N_18offset_tEEE10hipError_tPvRmT1_PNSt15iterator_traitsISY_E10value_typeET2_T3_PNSZ_IS14_E10value_typeET4_jRbjT5_S1A_jjP12ihipStream_tbEUljE_EEESV_SW_SX_S14_S18_S1A_T6_T7_T9_mT8_S1C_bDpT10_ENKUlT_T0_E_clISt17integral_constantIbLb1EES1O_IbLb0EEEEDaS1K_S1L_EUlS1K_E_NS1_11comp_targetILNS1_3genE0ELNS1_11target_archE4294967295ELNS1_3gpuE0ELNS1_3repE0EEENS1_30default_config_static_selectorELNS0_4arch9wavefront6targetE1EEEvSY_
; %bb.0:
	.section	.rodata,"a",@progbits
	.p2align	6, 0x0
	.amdhsa_kernel _ZN7rocprim17ROCPRIM_400000_NS6detail17trampoline_kernelINS0_13select_configILj256ELj13ELNS0_17block_load_methodE3ELS4_3ELS4_3ELNS0_20block_scan_algorithmE0ELj4294967295EEENS1_25partition_config_selectorILNS1_17partition_subalgoE3EjNS0_10empty_typeEbEEZZNS1_14partition_implILS8_3ELb0ES6_jNS0_17counting_iteratorIjlEEPS9_SE_NS0_5tupleIJPjSE_EEENSF_IJSE_SE_EEES9_SG_JZNS1_25segmented_radix_sort_implINS0_14default_configELb1EPKfPfPKlPlN2at6native12_GLOBAL__N_18offset_tEEE10hipError_tPvRmT1_PNSt15iterator_traitsISY_E10value_typeET2_T3_PNSZ_IS14_E10value_typeET4_jRbjT5_S1A_jjP12ihipStream_tbEUljE_EEESV_SW_SX_S14_S18_S1A_T6_T7_T9_mT8_S1C_bDpT10_ENKUlT_T0_E_clISt17integral_constantIbLb1EES1O_IbLb0EEEEDaS1K_S1L_EUlS1K_E_NS1_11comp_targetILNS1_3genE0ELNS1_11target_archE4294967295ELNS1_3gpuE0ELNS1_3repE0EEENS1_30default_config_static_selectorELNS0_4arch9wavefront6targetE1EEEvSY_
		.amdhsa_group_segment_fixed_size 0
		.amdhsa_private_segment_fixed_size 0
		.amdhsa_kernarg_size 144
		.amdhsa_user_sgpr_count 6
		.amdhsa_user_sgpr_private_segment_buffer 1
		.amdhsa_user_sgpr_dispatch_ptr 0
		.amdhsa_user_sgpr_queue_ptr 0
		.amdhsa_user_sgpr_kernarg_segment_ptr 1
		.amdhsa_user_sgpr_dispatch_id 0
		.amdhsa_user_sgpr_flat_scratch_init 0
		.amdhsa_user_sgpr_private_segment_size 0
		.amdhsa_uses_dynamic_stack 0
		.amdhsa_system_sgpr_private_segment_wavefront_offset 0
		.amdhsa_system_sgpr_workgroup_id_x 1
		.amdhsa_system_sgpr_workgroup_id_y 0
		.amdhsa_system_sgpr_workgroup_id_z 0
		.amdhsa_system_sgpr_workgroup_info 0
		.amdhsa_system_vgpr_workitem_id 0
		.amdhsa_next_free_vgpr 1
		.amdhsa_next_free_sgpr 0
		.amdhsa_reserve_vcc 0
		.amdhsa_reserve_flat_scratch 0
		.amdhsa_float_round_mode_32 0
		.amdhsa_float_round_mode_16_64 0
		.amdhsa_float_denorm_mode_32 3
		.amdhsa_float_denorm_mode_16_64 3
		.amdhsa_dx10_clamp 1
		.amdhsa_ieee_mode 1
		.amdhsa_fp16_overflow 0
		.amdhsa_exception_fp_ieee_invalid_op 0
		.amdhsa_exception_fp_denorm_src 0
		.amdhsa_exception_fp_ieee_div_zero 0
		.amdhsa_exception_fp_ieee_overflow 0
		.amdhsa_exception_fp_ieee_underflow 0
		.amdhsa_exception_fp_ieee_inexact 0
		.amdhsa_exception_int_div_zero 0
	.end_amdhsa_kernel
	.section	.text._ZN7rocprim17ROCPRIM_400000_NS6detail17trampoline_kernelINS0_13select_configILj256ELj13ELNS0_17block_load_methodE3ELS4_3ELS4_3ELNS0_20block_scan_algorithmE0ELj4294967295EEENS1_25partition_config_selectorILNS1_17partition_subalgoE3EjNS0_10empty_typeEbEEZZNS1_14partition_implILS8_3ELb0ES6_jNS0_17counting_iteratorIjlEEPS9_SE_NS0_5tupleIJPjSE_EEENSF_IJSE_SE_EEES9_SG_JZNS1_25segmented_radix_sort_implINS0_14default_configELb1EPKfPfPKlPlN2at6native12_GLOBAL__N_18offset_tEEE10hipError_tPvRmT1_PNSt15iterator_traitsISY_E10value_typeET2_T3_PNSZ_IS14_E10value_typeET4_jRbjT5_S1A_jjP12ihipStream_tbEUljE_EEESV_SW_SX_S14_S18_S1A_T6_T7_T9_mT8_S1C_bDpT10_ENKUlT_T0_E_clISt17integral_constantIbLb1EES1O_IbLb0EEEEDaS1K_S1L_EUlS1K_E_NS1_11comp_targetILNS1_3genE0ELNS1_11target_archE4294967295ELNS1_3gpuE0ELNS1_3repE0EEENS1_30default_config_static_selectorELNS0_4arch9wavefront6targetE1EEEvSY_,"axG",@progbits,_ZN7rocprim17ROCPRIM_400000_NS6detail17trampoline_kernelINS0_13select_configILj256ELj13ELNS0_17block_load_methodE3ELS4_3ELS4_3ELNS0_20block_scan_algorithmE0ELj4294967295EEENS1_25partition_config_selectorILNS1_17partition_subalgoE3EjNS0_10empty_typeEbEEZZNS1_14partition_implILS8_3ELb0ES6_jNS0_17counting_iteratorIjlEEPS9_SE_NS0_5tupleIJPjSE_EEENSF_IJSE_SE_EEES9_SG_JZNS1_25segmented_radix_sort_implINS0_14default_configELb1EPKfPfPKlPlN2at6native12_GLOBAL__N_18offset_tEEE10hipError_tPvRmT1_PNSt15iterator_traitsISY_E10value_typeET2_T3_PNSZ_IS14_E10value_typeET4_jRbjT5_S1A_jjP12ihipStream_tbEUljE_EEESV_SW_SX_S14_S18_S1A_T6_T7_T9_mT8_S1C_bDpT10_ENKUlT_T0_E_clISt17integral_constantIbLb1EES1O_IbLb0EEEEDaS1K_S1L_EUlS1K_E_NS1_11comp_targetILNS1_3genE0ELNS1_11target_archE4294967295ELNS1_3gpuE0ELNS1_3repE0EEENS1_30default_config_static_selectorELNS0_4arch9wavefront6targetE1EEEvSY_,comdat
.Lfunc_end1309:
	.size	_ZN7rocprim17ROCPRIM_400000_NS6detail17trampoline_kernelINS0_13select_configILj256ELj13ELNS0_17block_load_methodE3ELS4_3ELS4_3ELNS0_20block_scan_algorithmE0ELj4294967295EEENS1_25partition_config_selectorILNS1_17partition_subalgoE3EjNS0_10empty_typeEbEEZZNS1_14partition_implILS8_3ELb0ES6_jNS0_17counting_iteratorIjlEEPS9_SE_NS0_5tupleIJPjSE_EEENSF_IJSE_SE_EEES9_SG_JZNS1_25segmented_radix_sort_implINS0_14default_configELb1EPKfPfPKlPlN2at6native12_GLOBAL__N_18offset_tEEE10hipError_tPvRmT1_PNSt15iterator_traitsISY_E10value_typeET2_T3_PNSZ_IS14_E10value_typeET4_jRbjT5_S1A_jjP12ihipStream_tbEUljE_EEESV_SW_SX_S14_S18_S1A_T6_T7_T9_mT8_S1C_bDpT10_ENKUlT_T0_E_clISt17integral_constantIbLb1EES1O_IbLb0EEEEDaS1K_S1L_EUlS1K_E_NS1_11comp_targetILNS1_3genE0ELNS1_11target_archE4294967295ELNS1_3gpuE0ELNS1_3repE0EEENS1_30default_config_static_selectorELNS0_4arch9wavefront6targetE1EEEvSY_, .Lfunc_end1309-_ZN7rocprim17ROCPRIM_400000_NS6detail17trampoline_kernelINS0_13select_configILj256ELj13ELNS0_17block_load_methodE3ELS4_3ELS4_3ELNS0_20block_scan_algorithmE0ELj4294967295EEENS1_25partition_config_selectorILNS1_17partition_subalgoE3EjNS0_10empty_typeEbEEZZNS1_14partition_implILS8_3ELb0ES6_jNS0_17counting_iteratorIjlEEPS9_SE_NS0_5tupleIJPjSE_EEENSF_IJSE_SE_EEES9_SG_JZNS1_25segmented_radix_sort_implINS0_14default_configELb1EPKfPfPKlPlN2at6native12_GLOBAL__N_18offset_tEEE10hipError_tPvRmT1_PNSt15iterator_traitsISY_E10value_typeET2_T3_PNSZ_IS14_E10value_typeET4_jRbjT5_S1A_jjP12ihipStream_tbEUljE_EEESV_SW_SX_S14_S18_S1A_T6_T7_T9_mT8_S1C_bDpT10_ENKUlT_T0_E_clISt17integral_constantIbLb1EES1O_IbLb0EEEEDaS1K_S1L_EUlS1K_E_NS1_11comp_targetILNS1_3genE0ELNS1_11target_archE4294967295ELNS1_3gpuE0ELNS1_3repE0EEENS1_30default_config_static_selectorELNS0_4arch9wavefront6targetE1EEEvSY_
                                        ; -- End function
	.set _ZN7rocprim17ROCPRIM_400000_NS6detail17trampoline_kernelINS0_13select_configILj256ELj13ELNS0_17block_load_methodE3ELS4_3ELS4_3ELNS0_20block_scan_algorithmE0ELj4294967295EEENS1_25partition_config_selectorILNS1_17partition_subalgoE3EjNS0_10empty_typeEbEEZZNS1_14partition_implILS8_3ELb0ES6_jNS0_17counting_iteratorIjlEEPS9_SE_NS0_5tupleIJPjSE_EEENSF_IJSE_SE_EEES9_SG_JZNS1_25segmented_radix_sort_implINS0_14default_configELb1EPKfPfPKlPlN2at6native12_GLOBAL__N_18offset_tEEE10hipError_tPvRmT1_PNSt15iterator_traitsISY_E10value_typeET2_T3_PNSZ_IS14_E10value_typeET4_jRbjT5_S1A_jjP12ihipStream_tbEUljE_EEESV_SW_SX_S14_S18_S1A_T6_T7_T9_mT8_S1C_bDpT10_ENKUlT_T0_E_clISt17integral_constantIbLb1EES1O_IbLb0EEEEDaS1K_S1L_EUlS1K_E_NS1_11comp_targetILNS1_3genE0ELNS1_11target_archE4294967295ELNS1_3gpuE0ELNS1_3repE0EEENS1_30default_config_static_selectorELNS0_4arch9wavefront6targetE1EEEvSY_.num_vgpr, 0
	.set _ZN7rocprim17ROCPRIM_400000_NS6detail17trampoline_kernelINS0_13select_configILj256ELj13ELNS0_17block_load_methodE3ELS4_3ELS4_3ELNS0_20block_scan_algorithmE0ELj4294967295EEENS1_25partition_config_selectorILNS1_17partition_subalgoE3EjNS0_10empty_typeEbEEZZNS1_14partition_implILS8_3ELb0ES6_jNS0_17counting_iteratorIjlEEPS9_SE_NS0_5tupleIJPjSE_EEENSF_IJSE_SE_EEES9_SG_JZNS1_25segmented_radix_sort_implINS0_14default_configELb1EPKfPfPKlPlN2at6native12_GLOBAL__N_18offset_tEEE10hipError_tPvRmT1_PNSt15iterator_traitsISY_E10value_typeET2_T3_PNSZ_IS14_E10value_typeET4_jRbjT5_S1A_jjP12ihipStream_tbEUljE_EEESV_SW_SX_S14_S18_S1A_T6_T7_T9_mT8_S1C_bDpT10_ENKUlT_T0_E_clISt17integral_constantIbLb1EES1O_IbLb0EEEEDaS1K_S1L_EUlS1K_E_NS1_11comp_targetILNS1_3genE0ELNS1_11target_archE4294967295ELNS1_3gpuE0ELNS1_3repE0EEENS1_30default_config_static_selectorELNS0_4arch9wavefront6targetE1EEEvSY_.num_agpr, 0
	.set _ZN7rocprim17ROCPRIM_400000_NS6detail17trampoline_kernelINS0_13select_configILj256ELj13ELNS0_17block_load_methodE3ELS4_3ELS4_3ELNS0_20block_scan_algorithmE0ELj4294967295EEENS1_25partition_config_selectorILNS1_17partition_subalgoE3EjNS0_10empty_typeEbEEZZNS1_14partition_implILS8_3ELb0ES6_jNS0_17counting_iteratorIjlEEPS9_SE_NS0_5tupleIJPjSE_EEENSF_IJSE_SE_EEES9_SG_JZNS1_25segmented_radix_sort_implINS0_14default_configELb1EPKfPfPKlPlN2at6native12_GLOBAL__N_18offset_tEEE10hipError_tPvRmT1_PNSt15iterator_traitsISY_E10value_typeET2_T3_PNSZ_IS14_E10value_typeET4_jRbjT5_S1A_jjP12ihipStream_tbEUljE_EEESV_SW_SX_S14_S18_S1A_T6_T7_T9_mT8_S1C_bDpT10_ENKUlT_T0_E_clISt17integral_constantIbLb1EES1O_IbLb0EEEEDaS1K_S1L_EUlS1K_E_NS1_11comp_targetILNS1_3genE0ELNS1_11target_archE4294967295ELNS1_3gpuE0ELNS1_3repE0EEENS1_30default_config_static_selectorELNS0_4arch9wavefront6targetE1EEEvSY_.numbered_sgpr, 0
	.set _ZN7rocprim17ROCPRIM_400000_NS6detail17trampoline_kernelINS0_13select_configILj256ELj13ELNS0_17block_load_methodE3ELS4_3ELS4_3ELNS0_20block_scan_algorithmE0ELj4294967295EEENS1_25partition_config_selectorILNS1_17partition_subalgoE3EjNS0_10empty_typeEbEEZZNS1_14partition_implILS8_3ELb0ES6_jNS0_17counting_iteratorIjlEEPS9_SE_NS0_5tupleIJPjSE_EEENSF_IJSE_SE_EEES9_SG_JZNS1_25segmented_radix_sort_implINS0_14default_configELb1EPKfPfPKlPlN2at6native12_GLOBAL__N_18offset_tEEE10hipError_tPvRmT1_PNSt15iterator_traitsISY_E10value_typeET2_T3_PNSZ_IS14_E10value_typeET4_jRbjT5_S1A_jjP12ihipStream_tbEUljE_EEESV_SW_SX_S14_S18_S1A_T6_T7_T9_mT8_S1C_bDpT10_ENKUlT_T0_E_clISt17integral_constantIbLb1EES1O_IbLb0EEEEDaS1K_S1L_EUlS1K_E_NS1_11comp_targetILNS1_3genE0ELNS1_11target_archE4294967295ELNS1_3gpuE0ELNS1_3repE0EEENS1_30default_config_static_selectorELNS0_4arch9wavefront6targetE1EEEvSY_.num_named_barrier, 0
	.set _ZN7rocprim17ROCPRIM_400000_NS6detail17trampoline_kernelINS0_13select_configILj256ELj13ELNS0_17block_load_methodE3ELS4_3ELS4_3ELNS0_20block_scan_algorithmE0ELj4294967295EEENS1_25partition_config_selectorILNS1_17partition_subalgoE3EjNS0_10empty_typeEbEEZZNS1_14partition_implILS8_3ELb0ES6_jNS0_17counting_iteratorIjlEEPS9_SE_NS0_5tupleIJPjSE_EEENSF_IJSE_SE_EEES9_SG_JZNS1_25segmented_radix_sort_implINS0_14default_configELb1EPKfPfPKlPlN2at6native12_GLOBAL__N_18offset_tEEE10hipError_tPvRmT1_PNSt15iterator_traitsISY_E10value_typeET2_T3_PNSZ_IS14_E10value_typeET4_jRbjT5_S1A_jjP12ihipStream_tbEUljE_EEESV_SW_SX_S14_S18_S1A_T6_T7_T9_mT8_S1C_bDpT10_ENKUlT_T0_E_clISt17integral_constantIbLb1EES1O_IbLb0EEEEDaS1K_S1L_EUlS1K_E_NS1_11comp_targetILNS1_3genE0ELNS1_11target_archE4294967295ELNS1_3gpuE0ELNS1_3repE0EEENS1_30default_config_static_selectorELNS0_4arch9wavefront6targetE1EEEvSY_.private_seg_size, 0
	.set _ZN7rocprim17ROCPRIM_400000_NS6detail17trampoline_kernelINS0_13select_configILj256ELj13ELNS0_17block_load_methodE3ELS4_3ELS4_3ELNS0_20block_scan_algorithmE0ELj4294967295EEENS1_25partition_config_selectorILNS1_17partition_subalgoE3EjNS0_10empty_typeEbEEZZNS1_14partition_implILS8_3ELb0ES6_jNS0_17counting_iteratorIjlEEPS9_SE_NS0_5tupleIJPjSE_EEENSF_IJSE_SE_EEES9_SG_JZNS1_25segmented_radix_sort_implINS0_14default_configELb1EPKfPfPKlPlN2at6native12_GLOBAL__N_18offset_tEEE10hipError_tPvRmT1_PNSt15iterator_traitsISY_E10value_typeET2_T3_PNSZ_IS14_E10value_typeET4_jRbjT5_S1A_jjP12ihipStream_tbEUljE_EEESV_SW_SX_S14_S18_S1A_T6_T7_T9_mT8_S1C_bDpT10_ENKUlT_T0_E_clISt17integral_constantIbLb1EES1O_IbLb0EEEEDaS1K_S1L_EUlS1K_E_NS1_11comp_targetILNS1_3genE0ELNS1_11target_archE4294967295ELNS1_3gpuE0ELNS1_3repE0EEENS1_30default_config_static_selectorELNS0_4arch9wavefront6targetE1EEEvSY_.uses_vcc, 0
	.set _ZN7rocprim17ROCPRIM_400000_NS6detail17trampoline_kernelINS0_13select_configILj256ELj13ELNS0_17block_load_methodE3ELS4_3ELS4_3ELNS0_20block_scan_algorithmE0ELj4294967295EEENS1_25partition_config_selectorILNS1_17partition_subalgoE3EjNS0_10empty_typeEbEEZZNS1_14partition_implILS8_3ELb0ES6_jNS0_17counting_iteratorIjlEEPS9_SE_NS0_5tupleIJPjSE_EEENSF_IJSE_SE_EEES9_SG_JZNS1_25segmented_radix_sort_implINS0_14default_configELb1EPKfPfPKlPlN2at6native12_GLOBAL__N_18offset_tEEE10hipError_tPvRmT1_PNSt15iterator_traitsISY_E10value_typeET2_T3_PNSZ_IS14_E10value_typeET4_jRbjT5_S1A_jjP12ihipStream_tbEUljE_EEESV_SW_SX_S14_S18_S1A_T6_T7_T9_mT8_S1C_bDpT10_ENKUlT_T0_E_clISt17integral_constantIbLb1EES1O_IbLb0EEEEDaS1K_S1L_EUlS1K_E_NS1_11comp_targetILNS1_3genE0ELNS1_11target_archE4294967295ELNS1_3gpuE0ELNS1_3repE0EEENS1_30default_config_static_selectorELNS0_4arch9wavefront6targetE1EEEvSY_.uses_flat_scratch, 0
	.set _ZN7rocprim17ROCPRIM_400000_NS6detail17trampoline_kernelINS0_13select_configILj256ELj13ELNS0_17block_load_methodE3ELS4_3ELS4_3ELNS0_20block_scan_algorithmE0ELj4294967295EEENS1_25partition_config_selectorILNS1_17partition_subalgoE3EjNS0_10empty_typeEbEEZZNS1_14partition_implILS8_3ELb0ES6_jNS0_17counting_iteratorIjlEEPS9_SE_NS0_5tupleIJPjSE_EEENSF_IJSE_SE_EEES9_SG_JZNS1_25segmented_radix_sort_implINS0_14default_configELb1EPKfPfPKlPlN2at6native12_GLOBAL__N_18offset_tEEE10hipError_tPvRmT1_PNSt15iterator_traitsISY_E10value_typeET2_T3_PNSZ_IS14_E10value_typeET4_jRbjT5_S1A_jjP12ihipStream_tbEUljE_EEESV_SW_SX_S14_S18_S1A_T6_T7_T9_mT8_S1C_bDpT10_ENKUlT_T0_E_clISt17integral_constantIbLb1EES1O_IbLb0EEEEDaS1K_S1L_EUlS1K_E_NS1_11comp_targetILNS1_3genE0ELNS1_11target_archE4294967295ELNS1_3gpuE0ELNS1_3repE0EEENS1_30default_config_static_selectorELNS0_4arch9wavefront6targetE1EEEvSY_.has_dyn_sized_stack, 0
	.set _ZN7rocprim17ROCPRIM_400000_NS6detail17trampoline_kernelINS0_13select_configILj256ELj13ELNS0_17block_load_methodE3ELS4_3ELS4_3ELNS0_20block_scan_algorithmE0ELj4294967295EEENS1_25partition_config_selectorILNS1_17partition_subalgoE3EjNS0_10empty_typeEbEEZZNS1_14partition_implILS8_3ELb0ES6_jNS0_17counting_iteratorIjlEEPS9_SE_NS0_5tupleIJPjSE_EEENSF_IJSE_SE_EEES9_SG_JZNS1_25segmented_radix_sort_implINS0_14default_configELb1EPKfPfPKlPlN2at6native12_GLOBAL__N_18offset_tEEE10hipError_tPvRmT1_PNSt15iterator_traitsISY_E10value_typeET2_T3_PNSZ_IS14_E10value_typeET4_jRbjT5_S1A_jjP12ihipStream_tbEUljE_EEESV_SW_SX_S14_S18_S1A_T6_T7_T9_mT8_S1C_bDpT10_ENKUlT_T0_E_clISt17integral_constantIbLb1EES1O_IbLb0EEEEDaS1K_S1L_EUlS1K_E_NS1_11comp_targetILNS1_3genE0ELNS1_11target_archE4294967295ELNS1_3gpuE0ELNS1_3repE0EEENS1_30default_config_static_selectorELNS0_4arch9wavefront6targetE1EEEvSY_.has_recursion, 0
	.set _ZN7rocprim17ROCPRIM_400000_NS6detail17trampoline_kernelINS0_13select_configILj256ELj13ELNS0_17block_load_methodE3ELS4_3ELS4_3ELNS0_20block_scan_algorithmE0ELj4294967295EEENS1_25partition_config_selectorILNS1_17partition_subalgoE3EjNS0_10empty_typeEbEEZZNS1_14partition_implILS8_3ELb0ES6_jNS0_17counting_iteratorIjlEEPS9_SE_NS0_5tupleIJPjSE_EEENSF_IJSE_SE_EEES9_SG_JZNS1_25segmented_radix_sort_implINS0_14default_configELb1EPKfPfPKlPlN2at6native12_GLOBAL__N_18offset_tEEE10hipError_tPvRmT1_PNSt15iterator_traitsISY_E10value_typeET2_T3_PNSZ_IS14_E10value_typeET4_jRbjT5_S1A_jjP12ihipStream_tbEUljE_EEESV_SW_SX_S14_S18_S1A_T6_T7_T9_mT8_S1C_bDpT10_ENKUlT_T0_E_clISt17integral_constantIbLb1EES1O_IbLb0EEEEDaS1K_S1L_EUlS1K_E_NS1_11comp_targetILNS1_3genE0ELNS1_11target_archE4294967295ELNS1_3gpuE0ELNS1_3repE0EEENS1_30default_config_static_selectorELNS0_4arch9wavefront6targetE1EEEvSY_.has_indirect_call, 0
	.section	.AMDGPU.csdata,"",@progbits
; Kernel info:
; codeLenInByte = 0
; TotalNumSgprs: 4
; NumVgprs: 0
; ScratchSize: 0
; MemoryBound: 0
; FloatMode: 240
; IeeeMode: 1
; LDSByteSize: 0 bytes/workgroup (compile time only)
; SGPRBlocks: 0
; VGPRBlocks: 0
; NumSGPRsForWavesPerEU: 4
; NumVGPRsForWavesPerEU: 1
; Occupancy: 10
; WaveLimiterHint : 0
; COMPUTE_PGM_RSRC2:SCRATCH_EN: 0
; COMPUTE_PGM_RSRC2:USER_SGPR: 6
; COMPUTE_PGM_RSRC2:TRAP_HANDLER: 0
; COMPUTE_PGM_RSRC2:TGID_X_EN: 1
; COMPUTE_PGM_RSRC2:TGID_Y_EN: 0
; COMPUTE_PGM_RSRC2:TGID_Z_EN: 0
; COMPUTE_PGM_RSRC2:TIDIG_COMP_CNT: 0
	.section	.text._ZN7rocprim17ROCPRIM_400000_NS6detail17trampoline_kernelINS0_13select_configILj256ELj13ELNS0_17block_load_methodE3ELS4_3ELS4_3ELNS0_20block_scan_algorithmE0ELj4294967295EEENS1_25partition_config_selectorILNS1_17partition_subalgoE3EjNS0_10empty_typeEbEEZZNS1_14partition_implILS8_3ELb0ES6_jNS0_17counting_iteratorIjlEEPS9_SE_NS0_5tupleIJPjSE_EEENSF_IJSE_SE_EEES9_SG_JZNS1_25segmented_radix_sort_implINS0_14default_configELb1EPKfPfPKlPlN2at6native12_GLOBAL__N_18offset_tEEE10hipError_tPvRmT1_PNSt15iterator_traitsISY_E10value_typeET2_T3_PNSZ_IS14_E10value_typeET4_jRbjT5_S1A_jjP12ihipStream_tbEUljE_EEESV_SW_SX_S14_S18_S1A_T6_T7_T9_mT8_S1C_bDpT10_ENKUlT_T0_E_clISt17integral_constantIbLb1EES1O_IbLb0EEEEDaS1K_S1L_EUlS1K_E_NS1_11comp_targetILNS1_3genE5ELNS1_11target_archE942ELNS1_3gpuE9ELNS1_3repE0EEENS1_30default_config_static_selectorELNS0_4arch9wavefront6targetE1EEEvSY_,"axG",@progbits,_ZN7rocprim17ROCPRIM_400000_NS6detail17trampoline_kernelINS0_13select_configILj256ELj13ELNS0_17block_load_methodE3ELS4_3ELS4_3ELNS0_20block_scan_algorithmE0ELj4294967295EEENS1_25partition_config_selectorILNS1_17partition_subalgoE3EjNS0_10empty_typeEbEEZZNS1_14partition_implILS8_3ELb0ES6_jNS0_17counting_iteratorIjlEEPS9_SE_NS0_5tupleIJPjSE_EEENSF_IJSE_SE_EEES9_SG_JZNS1_25segmented_radix_sort_implINS0_14default_configELb1EPKfPfPKlPlN2at6native12_GLOBAL__N_18offset_tEEE10hipError_tPvRmT1_PNSt15iterator_traitsISY_E10value_typeET2_T3_PNSZ_IS14_E10value_typeET4_jRbjT5_S1A_jjP12ihipStream_tbEUljE_EEESV_SW_SX_S14_S18_S1A_T6_T7_T9_mT8_S1C_bDpT10_ENKUlT_T0_E_clISt17integral_constantIbLb1EES1O_IbLb0EEEEDaS1K_S1L_EUlS1K_E_NS1_11comp_targetILNS1_3genE5ELNS1_11target_archE942ELNS1_3gpuE9ELNS1_3repE0EEENS1_30default_config_static_selectorELNS0_4arch9wavefront6targetE1EEEvSY_,comdat
	.globl	_ZN7rocprim17ROCPRIM_400000_NS6detail17trampoline_kernelINS0_13select_configILj256ELj13ELNS0_17block_load_methodE3ELS4_3ELS4_3ELNS0_20block_scan_algorithmE0ELj4294967295EEENS1_25partition_config_selectorILNS1_17partition_subalgoE3EjNS0_10empty_typeEbEEZZNS1_14partition_implILS8_3ELb0ES6_jNS0_17counting_iteratorIjlEEPS9_SE_NS0_5tupleIJPjSE_EEENSF_IJSE_SE_EEES9_SG_JZNS1_25segmented_radix_sort_implINS0_14default_configELb1EPKfPfPKlPlN2at6native12_GLOBAL__N_18offset_tEEE10hipError_tPvRmT1_PNSt15iterator_traitsISY_E10value_typeET2_T3_PNSZ_IS14_E10value_typeET4_jRbjT5_S1A_jjP12ihipStream_tbEUljE_EEESV_SW_SX_S14_S18_S1A_T6_T7_T9_mT8_S1C_bDpT10_ENKUlT_T0_E_clISt17integral_constantIbLb1EES1O_IbLb0EEEEDaS1K_S1L_EUlS1K_E_NS1_11comp_targetILNS1_3genE5ELNS1_11target_archE942ELNS1_3gpuE9ELNS1_3repE0EEENS1_30default_config_static_selectorELNS0_4arch9wavefront6targetE1EEEvSY_ ; -- Begin function _ZN7rocprim17ROCPRIM_400000_NS6detail17trampoline_kernelINS0_13select_configILj256ELj13ELNS0_17block_load_methodE3ELS4_3ELS4_3ELNS0_20block_scan_algorithmE0ELj4294967295EEENS1_25partition_config_selectorILNS1_17partition_subalgoE3EjNS0_10empty_typeEbEEZZNS1_14partition_implILS8_3ELb0ES6_jNS0_17counting_iteratorIjlEEPS9_SE_NS0_5tupleIJPjSE_EEENSF_IJSE_SE_EEES9_SG_JZNS1_25segmented_radix_sort_implINS0_14default_configELb1EPKfPfPKlPlN2at6native12_GLOBAL__N_18offset_tEEE10hipError_tPvRmT1_PNSt15iterator_traitsISY_E10value_typeET2_T3_PNSZ_IS14_E10value_typeET4_jRbjT5_S1A_jjP12ihipStream_tbEUljE_EEESV_SW_SX_S14_S18_S1A_T6_T7_T9_mT8_S1C_bDpT10_ENKUlT_T0_E_clISt17integral_constantIbLb1EES1O_IbLb0EEEEDaS1K_S1L_EUlS1K_E_NS1_11comp_targetILNS1_3genE5ELNS1_11target_archE942ELNS1_3gpuE9ELNS1_3repE0EEENS1_30default_config_static_selectorELNS0_4arch9wavefront6targetE1EEEvSY_
	.p2align	8
	.type	_ZN7rocprim17ROCPRIM_400000_NS6detail17trampoline_kernelINS0_13select_configILj256ELj13ELNS0_17block_load_methodE3ELS4_3ELS4_3ELNS0_20block_scan_algorithmE0ELj4294967295EEENS1_25partition_config_selectorILNS1_17partition_subalgoE3EjNS0_10empty_typeEbEEZZNS1_14partition_implILS8_3ELb0ES6_jNS0_17counting_iteratorIjlEEPS9_SE_NS0_5tupleIJPjSE_EEENSF_IJSE_SE_EEES9_SG_JZNS1_25segmented_radix_sort_implINS0_14default_configELb1EPKfPfPKlPlN2at6native12_GLOBAL__N_18offset_tEEE10hipError_tPvRmT1_PNSt15iterator_traitsISY_E10value_typeET2_T3_PNSZ_IS14_E10value_typeET4_jRbjT5_S1A_jjP12ihipStream_tbEUljE_EEESV_SW_SX_S14_S18_S1A_T6_T7_T9_mT8_S1C_bDpT10_ENKUlT_T0_E_clISt17integral_constantIbLb1EES1O_IbLb0EEEEDaS1K_S1L_EUlS1K_E_NS1_11comp_targetILNS1_3genE5ELNS1_11target_archE942ELNS1_3gpuE9ELNS1_3repE0EEENS1_30default_config_static_selectorELNS0_4arch9wavefront6targetE1EEEvSY_,@function
_ZN7rocprim17ROCPRIM_400000_NS6detail17trampoline_kernelINS0_13select_configILj256ELj13ELNS0_17block_load_methodE3ELS4_3ELS4_3ELNS0_20block_scan_algorithmE0ELj4294967295EEENS1_25partition_config_selectorILNS1_17partition_subalgoE3EjNS0_10empty_typeEbEEZZNS1_14partition_implILS8_3ELb0ES6_jNS0_17counting_iteratorIjlEEPS9_SE_NS0_5tupleIJPjSE_EEENSF_IJSE_SE_EEES9_SG_JZNS1_25segmented_radix_sort_implINS0_14default_configELb1EPKfPfPKlPlN2at6native12_GLOBAL__N_18offset_tEEE10hipError_tPvRmT1_PNSt15iterator_traitsISY_E10value_typeET2_T3_PNSZ_IS14_E10value_typeET4_jRbjT5_S1A_jjP12ihipStream_tbEUljE_EEESV_SW_SX_S14_S18_S1A_T6_T7_T9_mT8_S1C_bDpT10_ENKUlT_T0_E_clISt17integral_constantIbLb1EES1O_IbLb0EEEEDaS1K_S1L_EUlS1K_E_NS1_11comp_targetILNS1_3genE5ELNS1_11target_archE942ELNS1_3gpuE9ELNS1_3repE0EEENS1_30default_config_static_selectorELNS0_4arch9wavefront6targetE1EEEvSY_: ; @_ZN7rocprim17ROCPRIM_400000_NS6detail17trampoline_kernelINS0_13select_configILj256ELj13ELNS0_17block_load_methodE3ELS4_3ELS4_3ELNS0_20block_scan_algorithmE0ELj4294967295EEENS1_25partition_config_selectorILNS1_17partition_subalgoE3EjNS0_10empty_typeEbEEZZNS1_14partition_implILS8_3ELb0ES6_jNS0_17counting_iteratorIjlEEPS9_SE_NS0_5tupleIJPjSE_EEENSF_IJSE_SE_EEES9_SG_JZNS1_25segmented_radix_sort_implINS0_14default_configELb1EPKfPfPKlPlN2at6native12_GLOBAL__N_18offset_tEEE10hipError_tPvRmT1_PNSt15iterator_traitsISY_E10value_typeET2_T3_PNSZ_IS14_E10value_typeET4_jRbjT5_S1A_jjP12ihipStream_tbEUljE_EEESV_SW_SX_S14_S18_S1A_T6_T7_T9_mT8_S1C_bDpT10_ENKUlT_T0_E_clISt17integral_constantIbLb1EES1O_IbLb0EEEEDaS1K_S1L_EUlS1K_E_NS1_11comp_targetILNS1_3genE5ELNS1_11target_archE942ELNS1_3gpuE9ELNS1_3repE0EEENS1_30default_config_static_selectorELNS0_4arch9wavefront6targetE1EEEvSY_
; %bb.0:
	.section	.rodata,"a",@progbits
	.p2align	6, 0x0
	.amdhsa_kernel _ZN7rocprim17ROCPRIM_400000_NS6detail17trampoline_kernelINS0_13select_configILj256ELj13ELNS0_17block_load_methodE3ELS4_3ELS4_3ELNS0_20block_scan_algorithmE0ELj4294967295EEENS1_25partition_config_selectorILNS1_17partition_subalgoE3EjNS0_10empty_typeEbEEZZNS1_14partition_implILS8_3ELb0ES6_jNS0_17counting_iteratorIjlEEPS9_SE_NS0_5tupleIJPjSE_EEENSF_IJSE_SE_EEES9_SG_JZNS1_25segmented_radix_sort_implINS0_14default_configELb1EPKfPfPKlPlN2at6native12_GLOBAL__N_18offset_tEEE10hipError_tPvRmT1_PNSt15iterator_traitsISY_E10value_typeET2_T3_PNSZ_IS14_E10value_typeET4_jRbjT5_S1A_jjP12ihipStream_tbEUljE_EEESV_SW_SX_S14_S18_S1A_T6_T7_T9_mT8_S1C_bDpT10_ENKUlT_T0_E_clISt17integral_constantIbLb1EES1O_IbLb0EEEEDaS1K_S1L_EUlS1K_E_NS1_11comp_targetILNS1_3genE5ELNS1_11target_archE942ELNS1_3gpuE9ELNS1_3repE0EEENS1_30default_config_static_selectorELNS0_4arch9wavefront6targetE1EEEvSY_
		.amdhsa_group_segment_fixed_size 0
		.amdhsa_private_segment_fixed_size 0
		.amdhsa_kernarg_size 144
		.amdhsa_user_sgpr_count 6
		.amdhsa_user_sgpr_private_segment_buffer 1
		.amdhsa_user_sgpr_dispatch_ptr 0
		.amdhsa_user_sgpr_queue_ptr 0
		.amdhsa_user_sgpr_kernarg_segment_ptr 1
		.amdhsa_user_sgpr_dispatch_id 0
		.amdhsa_user_sgpr_flat_scratch_init 0
		.amdhsa_user_sgpr_private_segment_size 0
		.amdhsa_uses_dynamic_stack 0
		.amdhsa_system_sgpr_private_segment_wavefront_offset 0
		.amdhsa_system_sgpr_workgroup_id_x 1
		.amdhsa_system_sgpr_workgroup_id_y 0
		.amdhsa_system_sgpr_workgroup_id_z 0
		.amdhsa_system_sgpr_workgroup_info 0
		.amdhsa_system_vgpr_workitem_id 0
		.amdhsa_next_free_vgpr 1
		.amdhsa_next_free_sgpr 0
		.amdhsa_reserve_vcc 0
		.amdhsa_reserve_flat_scratch 0
		.amdhsa_float_round_mode_32 0
		.amdhsa_float_round_mode_16_64 0
		.amdhsa_float_denorm_mode_32 3
		.amdhsa_float_denorm_mode_16_64 3
		.amdhsa_dx10_clamp 1
		.amdhsa_ieee_mode 1
		.amdhsa_fp16_overflow 0
		.amdhsa_exception_fp_ieee_invalid_op 0
		.amdhsa_exception_fp_denorm_src 0
		.amdhsa_exception_fp_ieee_div_zero 0
		.amdhsa_exception_fp_ieee_overflow 0
		.amdhsa_exception_fp_ieee_underflow 0
		.amdhsa_exception_fp_ieee_inexact 0
		.amdhsa_exception_int_div_zero 0
	.end_amdhsa_kernel
	.section	.text._ZN7rocprim17ROCPRIM_400000_NS6detail17trampoline_kernelINS0_13select_configILj256ELj13ELNS0_17block_load_methodE3ELS4_3ELS4_3ELNS0_20block_scan_algorithmE0ELj4294967295EEENS1_25partition_config_selectorILNS1_17partition_subalgoE3EjNS0_10empty_typeEbEEZZNS1_14partition_implILS8_3ELb0ES6_jNS0_17counting_iteratorIjlEEPS9_SE_NS0_5tupleIJPjSE_EEENSF_IJSE_SE_EEES9_SG_JZNS1_25segmented_radix_sort_implINS0_14default_configELb1EPKfPfPKlPlN2at6native12_GLOBAL__N_18offset_tEEE10hipError_tPvRmT1_PNSt15iterator_traitsISY_E10value_typeET2_T3_PNSZ_IS14_E10value_typeET4_jRbjT5_S1A_jjP12ihipStream_tbEUljE_EEESV_SW_SX_S14_S18_S1A_T6_T7_T9_mT8_S1C_bDpT10_ENKUlT_T0_E_clISt17integral_constantIbLb1EES1O_IbLb0EEEEDaS1K_S1L_EUlS1K_E_NS1_11comp_targetILNS1_3genE5ELNS1_11target_archE942ELNS1_3gpuE9ELNS1_3repE0EEENS1_30default_config_static_selectorELNS0_4arch9wavefront6targetE1EEEvSY_,"axG",@progbits,_ZN7rocprim17ROCPRIM_400000_NS6detail17trampoline_kernelINS0_13select_configILj256ELj13ELNS0_17block_load_methodE3ELS4_3ELS4_3ELNS0_20block_scan_algorithmE0ELj4294967295EEENS1_25partition_config_selectorILNS1_17partition_subalgoE3EjNS0_10empty_typeEbEEZZNS1_14partition_implILS8_3ELb0ES6_jNS0_17counting_iteratorIjlEEPS9_SE_NS0_5tupleIJPjSE_EEENSF_IJSE_SE_EEES9_SG_JZNS1_25segmented_radix_sort_implINS0_14default_configELb1EPKfPfPKlPlN2at6native12_GLOBAL__N_18offset_tEEE10hipError_tPvRmT1_PNSt15iterator_traitsISY_E10value_typeET2_T3_PNSZ_IS14_E10value_typeET4_jRbjT5_S1A_jjP12ihipStream_tbEUljE_EEESV_SW_SX_S14_S18_S1A_T6_T7_T9_mT8_S1C_bDpT10_ENKUlT_T0_E_clISt17integral_constantIbLb1EES1O_IbLb0EEEEDaS1K_S1L_EUlS1K_E_NS1_11comp_targetILNS1_3genE5ELNS1_11target_archE942ELNS1_3gpuE9ELNS1_3repE0EEENS1_30default_config_static_selectorELNS0_4arch9wavefront6targetE1EEEvSY_,comdat
.Lfunc_end1310:
	.size	_ZN7rocprim17ROCPRIM_400000_NS6detail17trampoline_kernelINS0_13select_configILj256ELj13ELNS0_17block_load_methodE3ELS4_3ELS4_3ELNS0_20block_scan_algorithmE0ELj4294967295EEENS1_25partition_config_selectorILNS1_17partition_subalgoE3EjNS0_10empty_typeEbEEZZNS1_14partition_implILS8_3ELb0ES6_jNS0_17counting_iteratorIjlEEPS9_SE_NS0_5tupleIJPjSE_EEENSF_IJSE_SE_EEES9_SG_JZNS1_25segmented_radix_sort_implINS0_14default_configELb1EPKfPfPKlPlN2at6native12_GLOBAL__N_18offset_tEEE10hipError_tPvRmT1_PNSt15iterator_traitsISY_E10value_typeET2_T3_PNSZ_IS14_E10value_typeET4_jRbjT5_S1A_jjP12ihipStream_tbEUljE_EEESV_SW_SX_S14_S18_S1A_T6_T7_T9_mT8_S1C_bDpT10_ENKUlT_T0_E_clISt17integral_constantIbLb1EES1O_IbLb0EEEEDaS1K_S1L_EUlS1K_E_NS1_11comp_targetILNS1_3genE5ELNS1_11target_archE942ELNS1_3gpuE9ELNS1_3repE0EEENS1_30default_config_static_selectorELNS0_4arch9wavefront6targetE1EEEvSY_, .Lfunc_end1310-_ZN7rocprim17ROCPRIM_400000_NS6detail17trampoline_kernelINS0_13select_configILj256ELj13ELNS0_17block_load_methodE3ELS4_3ELS4_3ELNS0_20block_scan_algorithmE0ELj4294967295EEENS1_25partition_config_selectorILNS1_17partition_subalgoE3EjNS0_10empty_typeEbEEZZNS1_14partition_implILS8_3ELb0ES6_jNS0_17counting_iteratorIjlEEPS9_SE_NS0_5tupleIJPjSE_EEENSF_IJSE_SE_EEES9_SG_JZNS1_25segmented_radix_sort_implINS0_14default_configELb1EPKfPfPKlPlN2at6native12_GLOBAL__N_18offset_tEEE10hipError_tPvRmT1_PNSt15iterator_traitsISY_E10value_typeET2_T3_PNSZ_IS14_E10value_typeET4_jRbjT5_S1A_jjP12ihipStream_tbEUljE_EEESV_SW_SX_S14_S18_S1A_T6_T7_T9_mT8_S1C_bDpT10_ENKUlT_T0_E_clISt17integral_constantIbLb1EES1O_IbLb0EEEEDaS1K_S1L_EUlS1K_E_NS1_11comp_targetILNS1_3genE5ELNS1_11target_archE942ELNS1_3gpuE9ELNS1_3repE0EEENS1_30default_config_static_selectorELNS0_4arch9wavefront6targetE1EEEvSY_
                                        ; -- End function
	.set _ZN7rocprim17ROCPRIM_400000_NS6detail17trampoline_kernelINS0_13select_configILj256ELj13ELNS0_17block_load_methodE3ELS4_3ELS4_3ELNS0_20block_scan_algorithmE0ELj4294967295EEENS1_25partition_config_selectorILNS1_17partition_subalgoE3EjNS0_10empty_typeEbEEZZNS1_14partition_implILS8_3ELb0ES6_jNS0_17counting_iteratorIjlEEPS9_SE_NS0_5tupleIJPjSE_EEENSF_IJSE_SE_EEES9_SG_JZNS1_25segmented_radix_sort_implINS0_14default_configELb1EPKfPfPKlPlN2at6native12_GLOBAL__N_18offset_tEEE10hipError_tPvRmT1_PNSt15iterator_traitsISY_E10value_typeET2_T3_PNSZ_IS14_E10value_typeET4_jRbjT5_S1A_jjP12ihipStream_tbEUljE_EEESV_SW_SX_S14_S18_S1A_T6_T7_T9_mT8_S1C_bDpT10_ENKUlT_T0_E_clISt17integral_constantIbLb1EES1O_IbLb0EEEEDaS1K_S1L_EUlS1K_E_NS1_11comp_targetILNS1_3genE5ELNS1_11target_archE942ELNS1_3gpuE9ELNS1_3repE0EEENS1_30default_config_static_selectorELNS0_4arch9wavefront6targetE1EEEvSY_.num_vgpr, 0
	.set _ZN7rocprim17ROCPRIM_400000_NS6detail17trampoline_kernelINS0_13select_configILj256ELj13ELNS0_17block_load_methodE3ELS4_3ELS4_3ELNS0_20block_scan_algorithmE0ELj4294967295EEENS1_25partition_config_selectorILNS1_17partition_subalgoE3EjNS0_10empty_typeEbEEZZNS1_14partition_implILS8_3ELb0ES6_jNS0_17counting_iteratorIjlEEPS9_SE_NS0_5tupleIJPjSE_EEENSF_IJSE_SE_EEES9_SG_JZNS1_25segmented_radix_sort_implINS0_14default_configELb1EPKfPfPKlPlN2at6native12_GLOBAL__N_18offset_tEEE10hipError_tPvRmT1_PNSt15iterator_traitsISY_E10value_typeET2_T3_PNSZ_IS14_E10value_typeET4_jRbjT5_S1A_jjP12ihipStream_tbEUljE_EEESV_SW_SX_S14_S18_S1A_T6_T7_T9_mT8_S1C_bDpT10_ENKUlT_T0_E_clISt17integral_constantIbLb1EES1O_IbLb0EEEEDaS1K_S1L_EUlS1K_E_NS1_11comp_targetILNS1_3genE5ELNS1_11target_archE942ELNS1_3gpuE9ELNS1_3repE0EEENS1_30default_config_static_selectorELNS0_4arch9wavefront6targetE1EEEvSY_.num_agpr, 0
	.set _ZN7rocprim17ROCPRIM_400000_NS6detail17trampoline_kernelINS0_13select_configILj256ELj13ELNS0_17block_load_methodE3ELS4_3ELS4_3ELNS0_20block_scan_algorithmE0ELj4294967295EEENS1_25partition_config_selectorILNS1_17partition_subalgoE3EjNS0_10empty_typeEbEEZZNS1_14partition_implILS8_3ELb0ES6_jNS0_17counting_iteratorIjlEEPS9_SE_NS0_5tupleIJPjSE_EEENSF_IJSE_SE_EEES9_SG_JZNS1_25segmented_radix_sort_implINS0_14default_configELb1EPKfPfPKlPlN2at6native12_GLOBAL__N_18offset_tEEE10hipError_tPvRmT1_PNSt15iterator_traitsISY_E10value_typeET2_T3_PNSZ_IS14_E10value_typeET4_jRbjT5_S1A_jjP12ihipStream_tbEUljE_EEESV_SW_SX_S14_S18_S1A_T6_T7_T9_mT8_S1C_bDpT10_ENKUlT_T0_E_clISt17integral_constantIbLb1EES1O_IbLb0EEEEDaS1K_S1L_EUlS1K_E_NS1_11comp_targetILNS1_3genE5ELNS1_11target_archE942ELNS1_3gpuE9ELNS1_3repE0EEENS1_30default_config_static_selectorELNS0_4arch9wavefront6targetE1EEEvSY_.numbered_sgpr, 0
	.set _ZN7rocprim17ROCPRIM_400000_NS6detail17trampoline_kernelINS0_13select_configILj256ELj13ELNS0_17block_load_methodE3ELS4_3ELS4_3ELNS0_20block_scan_algorithmE0ELj4294967295EEENS1_25partition_config_selectorILNS1_17partition_subalgoE3EjNS0_10empty_typeEbEEZZNS1_14partition_implILS8_3ELb0ES6_jNS0_17counting_iteratorIjlEEPS9_SE_NS0_5tupleIJPjSE_EEENSF_IJSE_SE_EEES9_SG_JZNS1_25segmented_radix_sort_implINS0_14default_configELb1EPKfPfPKlPlN2at6native12_GLOBAL__N_18offset_tEEE10hipError_tPvRmT1_PNSt15iterator_traitsISY_E10value_typeET2_T3_PNSZ_IS14_E10value_typeET4_jRbjT5_S1A_jjP12ihipStream_tbEUljE_EEESV_SW_SX_S14_S18_S1A_T6_T7_T9_mT8_S1C_bDpT10_ENKUlT_T0_E_clISt17integral_constantIbLb1EES1O_IbLb0EEEEDaS1K_S1L_EUlS1K_E_NS1_11comp_targetILNS1_3genE5ELNS1_11target_archE942ELNS1_3gpuE9ELNS1_3repE0EEENS1_30default_config_static_selectorELNS0_4arch9wavefront6targetE1EEEvSY_.num_named_barrier, 0
	.set _ZN7rocprim17ROCPRIM_400000_NS6detail17trampoline_kernelINS0_13select_configILj256ELj13ELNS0_17block_load_methodE3ELS4_3ELS4_3ELNS0_20block_scan_algorithmE0ELj4294967295EEENS1_25partition_config_selectorILNS1_17partition_subalgoE3EjNS0_10empty_typeEbEEZZNS1_14partition_implILS8_3ELb0ES6_jNS0_17counting_iteratorIjlEEPS9_SE_NS0_5tupleIJPjSE_EEENSF_IJSE_SE_EEES9_SG_JZNS1_25segmented_radix_sort_implINS0_14default_configELb1EPKfPfPKlPlN2at6native12_GLOBAL__N_18offset_tEEE10hipError_tPvRmT1_PNSt15iterator_traitsISY_E10value_typeET2_T3_PNSZ_IS14_E10value_typeET4_jRbjT5_S1A_jjP12ihipStream_tbEUljE_EEESV_SW_SX_S14_S18_S1A_T6_T7_T9_mT8_S1C_bDpT10_ENKUlT_T0_E_clISt17integral_constantIbLb1EES1O_IbLb0EEEEDaS1K_S1L_EUlS1K_E_NS1_11comp_targetILNS1_3genE5ELNS1_11target_archE942ELNS1_3gpuE9ELNS1_3repE0EEENS1_30default_config_static_selectorELNS0_4arch9wavefront6targetE1EEEvSY_.private_seg_size, 0
	.set _ZN7rocprim17ROCPRIM_400000_NS6detail17trampoline_kernelINS0_13select_configILj256ELj13ELNS0_17block_load_methodE3ELS4_3ELS4_3ELNS0_20block_scan_algorithmE0ELj4294967295EEENS1_25partition_config_selectorILNS1_17partition_subalgoE3EjNS0_10empty_typeEbEEZZNS1_14partition_implILS8_3ELb0ES6_jNS0_17counting_iteratorIjlEEPS9_SE_NS0_5tupleIJPjSE_EEENSF_IJSE_SE_EEES9_SG_JZNS1_25segmented_radix_sort_implINS0_14default_configELb1EPKfPfPKlPlN2at6native12_GLOBAL__N_18offset_tEEE10hipError_tPvRmT1_PNSt15iterator_traitsISY_E10value_typeET2_T3_PNSZ_IS14_E10value_typeET4_jRbjT5_S1A_jjP12ihipStream_tbEUljE_EEESV_SW_SX_S14_S18_S1A_T6_T7_T9_mT8_S1C_bDpT10_ENKUlT_T0_E_clISt17integral_constantIbLb1EES1O_IbLb0EEEEDaS1K_S1L_EUlS1K_E_NS1_11comp_targetILNS1_3genE5ELNS1_11target_archE942ELNS1_3gpuE9ELNS1_3repE0EEENS1_30default_config_static_selectorELNS0_4arch9wavefront6targetE1EEEvSY_.uses_vcc, 0
	.set _ZN7rocprim17ROCPRIM_400000_NS6detail17trampoline_kernelINS0_13select_configILj256ELj13ELNS0_17block_load_methodE3ELS4_3ELS4_3ELNS0_20block_scan_algorithmE0ELj4294967295EEENS1_25partition_config_selectorILNS1_17partition_subalgoE3EjNS0_10empty_typeEbEEZZNS1_14partition_implILS8_3ELb0ES6_jNS0_17counting_iteratorIjlEEPS9_SE_NS0_5tupleIJPjSE_EEENSF_IJSE_SE_EEES9_SG_JZNS1_25segmented_radix_sort_implINS0_14default_configELb1EPKfPfPKlPlN2at6native12_GLOBAL__N_18offset_tEEE10hipError_tPvRmT1_PNSt15iterator_traitsISY_E10value_typeET2_T3_PNSZ_IS14_E10value_typeET4_jRbjT5_S1A_jjP12ihipStream_tbEUljE_EEESV_SW_SX_S14_S18_S1A_T6_T7_T9_mT8_S1C_bDpT10_ENKUlT_T0_E_clISt17integral_constantIbLb1EES1O_IbLb0EEEEDaS1K_S1L_EUlS1K_E_NS1_11comp_targetILNS1_3genE5ELNS1_11target_archE942ELNS1_3gpuE9ELNS1_3repE0EEENS1_30default_config_static_selectorELNS0_4arch9wavefront6targetE1EEEvSY_.uses_flat_scratch, 0
	.set _ZN7rocprim17ROCPRIM_400000_NS6detail17trampoline_kernelINS0_13select_configILj256ELj13ELNS0_17block_load_methodE3ELS4_3ELS4_3ELNS0_20block_scan_algorithmE0ELj4294967295EEENS1_25partition_config_selectorILNS1_17partition_subalgoE3EjNS0_10empty_typeEbEEZZNS1_14partition_implILS8_3ELb0ES6_jNS0_17counting_iteratorIjlEEPS9_SE_NS0_5tupleIJPjSE_EEENSF_IJSE_SE_EEES9_SG_JZNS1_25segmented_radix_sort_implINS0_14default_configELb1EPKfPfPKlPlN2at6native12_GLOBAL__N_18offset_tEEE10hipError_tPvRmT1_PNSt15iterator_traitsISY_E10value_typeET2_T3_PNSZ_IS14_E10value_typeET4_jRbjT5_S1A_jjP12ihipStream_tbEUljE_EEESV_SW_SX_S14_S18_S1A_T6_T7_T9_mT8_S1C_bDpT10_ENKUlT_T0_E_clISt17integral_constantIbLb1EES1O_IbLb0EEEEDaS1K_S1L_EUlS1K_E_NS1_11comp_targetILNS1_3genE5ELNS1_11target_archE942ELNS1_3gpuE9ELNS1_3repE0EEENS1_30default_config_static_selectorELNS0_4arch9wavefront6targetE1EEEvSY_.has_dyn_sized_stack, 0
	.set _ZN7rocprim17ROCPRIM_400000_NS6detail17trampoline_kernelINS0_13select_configILj256ELj13ELNS0_17block_load_methodE3ELS4_3ELS4_3ELNS0_20block_scan_algorithmE0ELj4294967295EEENS1_25partition_config_selectorILNS1_17partition_subalgoE3EjNS0_10empty_typeEbEEZZNS1_14partition_implILS8_3ELb0ES6_jNS0_17counting_iteratorIjlEEPS9_SE_NS0_5tupleIJPjSE_EEENSF_IJSE_SE_EEES9_SG_JZNS1_25segmented_radix_sort_implINS0_14default_configELb1EPKfPfPKlPlN2at6native12_GLOBAL__N_18offset_tEEE10hipError_tPvRmT1_PNSt15iterator_traitsISY_E10value_typeET2_T3_PNSZ_IS14_E10value_typeET4_jRbjT5_S1A_jjP12ihipStream_tbEUljE_EEESV_SW_SX_S14_S18_S1A_T6_T7_T9_mT8_S1C_bDpT10_ENKUlT_T0_E_clISt17integral_constantIbLb1EES1O_IbLb0EEEEDaS1K_S1L_EUlS1K_E_NS1_11comp_targetILNS1_3genE5ELNS1_11target_archE942ELNS1_3gpuE9ELNS1_3repE0EEENS1_30default_config_static_selectorELNS0_4arch9wavefront6targetE1EEEvSY_.has_recursion, 0
	.set _ZN7rocprim17ROCPRIM_400000_NS6detail17trampoline_kernelINS0_13select_configILj256ELj13ELNS0_17block_load_methodE3ELS4_3ELS4_3ELNS0_20block_scan_algorithmE0ELj4294967295EEENS1_25partition_config_selectorILNS1_17partition_subalgoE3EjNS0_10empty_typeEbEEZZNS1_14partition_implILS8_3ELb0ES6_jNS0_17counting_iteratorIjlEEPS9_SE_NS0_5tupleIJPjSE_EEENSF_IJSE_SE_EEES9_SG_JZNS1_25segmented_radix_sort_implINS0_14default_configELb1EPKfPfPKlPlN2at6native12_GLOBAL__N_18offset_tEEE10hipError_tPvRmT1_PNSt15iterator_traitsISY_E10value_typeET2_T3_PNSZ_IS14_E10value_typeET4_jRbjT5_S1A_jjP12ihipStream_tbEUljE_EEESV_SW_SX_S14_S18_S1A_T6_T7_T9_mT8_S1C_bDpT10_ENKUlT_T0_E_clISt17integral_constantIbLb1EES1O_IbLb0EEEEDaS1K_S1L_EUlS1K_E_NS1_11comp_targetILNS1_3genE5ELNS1_11target_archE942ELNS1_3gpuE9ELNS1_3repE0EEENS1_30default_config_static_selectorELNS0_4arch9wavefront6targetE1EEEvSY_.has_indirect_call, 0
	.section	.AMDGPU.csdata,"",@progbits
; Kernel info:
; codeLenInByte = 0
; TotalNumSgprs: 4
; NumVgprs: 0
; ScratchSize: 0
; MemoryBound: 0
; FloatMode: 240
; IeeeMode: 1
; LDSByteSize: 0 bytes/workgroup (compile time only)
; SGPRBlocks: 0
; VGPRBlocks: 0
; NumSGPRsForWavesPerEU: 4
; NumVGPRsForWavesPerEU: 1
; Occupancy: 10
; WaveLimiterHint : 0
; COMPUTE_PGM_RSRC2:SCRATCH_EN: 0
; COMPUTE_PGM_RSRC2:USER_SGPR: 6
; COMPUTE_PGM_RSRC2:TRAP_HANDLER: 0
; COMPUTE_PGM_RSRC2:TGID_X_EN: 1
; COMPUTE_PGM_RSRC2:TGID_Y_EN: 0
; COMPUTE_PGM_RSRC2:TGID_Z_EN: 0
; COMPUTE_PGM_RSRC2:TIDIG_COMP_CNT: 0
	.section	.text._ZN7rocprim17ROCPRIM_400000_NS6detail17trampoline_kernelINS0_13select_configILj256ELj13ELNS0_17block_load_methodE3ELS4_3ELS4_3ELNS0_20block_scan_algorithmE0ELj4294967295EEENS1_25partition_config_selectorILNS1_17partition_subalgoE3EjNS0_10empty_typeEbEEZZNS1_14partition_implILS8_3ELb0ES6_jNS0_17counting_iteratorIjlEEPS9_SE_NS0_5tupleIJPjSE_EEENSF_IJSE_SE_EEES9_SG_JZNS1_25segmented_radix_sort_implINS0_14default_configELb1EPKfPfPKlPlN2at6native12_GLOBAL__N_18offset_tEEE10hipError_tPvRmT1_PNSt15iterator_traitsISY_E10value_typeET2_T3_PNSZ_IS14_E10value_typeET4_jRbjT5_S1A_jjP12ihipStream_tbEUljE_EEESV_SW_SX_S14_S18_S1A_T6_T7_T9_mT8_S1C_bDpT10_ENKUlT_T0_E_clISt17integral_constantIbLb1EES1O_IbLb0EEEEDaS1K_S1L_EUlS1K_E_NS1_11comp_targetILNS1_3genE4ELNS1_11target_archE910ELNS1_3gpuE8ELNS1_3repE0EEENS1_30default_config_static_selectorELNS0_4arch9wavefront6targetE1EEEvSY_,"axG",@progbits,_ZN7rocprim17ROCPRIM_400000_NS6detail17trampoline_kernelINS0_13select_configILj256ELj13ELNS0_17block_load_methodE3ELS4_3ELS4_3ELNS0_20block_scan_algorithmE0ELj4294967295EEENS1_25partition_config_selectorILNS1_17partition_subalgoE3EjNS0_10empty_typeEbEEZZNS1_14partition_implILS8_3ELb0ES6_jNS0_17counting_iteratorIjlEEPS9_SE_NS0_5tupleIJPjSE_EEENSF_IJSE_SE_EEES9_SG_JZNS1_25segmented_radix_sort_implINS0_14default_configELb1EPKfPfPKlPlN2at6native12_GLOBAL__N_18offset_tEEE10hipError_tPvRmT1_PNSt15iterator_traitsISY_E10value_typeET2_T3_PNSZ_IS14_E10value_typeET4_jRbjT5_S1A_jjP12ihipStream_tbEUljE_EEESV_SW_SX_S14_S18_S1A_T6_T7_T9_mT8_S1C_bDpT10_ENKUlT_T0_E_clISt17integral_constantIbLb1EES1O_IbLb0EEEEDaS1K_S1L_EUlS1K_E_NS1_11comp_targetILNS1_3genE4ELNS1_11target_archE910ELNS1_3gpuE8ELNS1_3repE0EEENS1_30default_config_static_selectorELNS0_4arch9wavefront6targetE1EEEvSY_,comdat
	.globl	_ZN7rocprim17ROCPRIM_400000_NS6detail17trampoline_kernelINS0_13select_configILj256ELj13ELNS0_17block_load_methodE3ELS4_3ELS4_3ELNS0_20block_scan_algorithmE0ELj4294967295EEENS1_25partition_config_selectorILNS1_17partition_subalgoE3EjNS0_10empty_typeEbEEZZNS1_14partition_implILS8_3ELb0ES6_jNS0_17counting_iteratorIjlEEPS9_SE_NS0_5tupleIJPjSE_EEENSF_IJSE_SE_EEES9_SG_JZNS1_25segmented_radix_sort_implINS0_14default_configELb1EPKfPfPKlPlN2at6native12_GLOBAL__N_18offset_tEEE10hipError_tPvRmT1_PNSt15iterator_traitsISY_E10value_typeET2_T3_PNSZ_IS14_E10value_typeET4_jRbjT5_S1A_jjP12ihipStream_tbEUljE_EEESV_SW_SX_S14_S18_S1A_T6_T7_T9_mT8_S1C_bDpT10_ENKUlT_T0_E_clISt17integral_constantIbLb1EES1O_IbLb0EEEEDaS1K_S1L_EUlS1K_E_NS1_11comp_targetILNS1_3genE4ELNS1_11target_archE910ELNS1_3gpuE8ELNS1_3repE0EEENS1_30default_config_static_selectorELNS0_4arch9wavefront6targetE1EEEvSY_ ; -- Begin function _ZN7rocprim17ROCPRIM_400000_NS6detail17trampoline_kernelINS0_13select_configILj256ELj13ELNS0_17block_load_methodE3ELS4_3ELS4_3ELNS0_20block_scan_algorithmE0ELj4294967295EEENS1_25partition_config_selectorILNS1_17partition_subalgoE3EjNS0_10empty_typeEbEEZZNS1_14partition_implILS8_3ELb0ES6_jNS0_17counting_iteratorIjlEEPS9_SE_NS0_5tupleIJPjSE_EEENSF_IJSE_SE_EEES9_SG_JZNS1_25segmented_radix_sort_implINS0_14default_configELb1EPKfPfPKlPlN2at6native12_GLOBAL__N_18offset_tEEE10hipError_tPvRmT1_PNSt15iterator_traitsISY_E10value_typeET2_T3_PNSZ_IS14_E10value_typeET4_jRbjT5_S1A_jjP12ihipStream_tbEUljE_EEESV_SW_SX_S14_S18_S1A_T6_T7_T9_mT8_S1C_bDpT10_ENKUlT_T0_E_clISt17integral_constantIbLb1EES1O_IbLb0EEEEDaS1K_S1L_EUlS1K_E_NS1_11comp_targetILNS1_3genE4ELNS1_11target_archE910ELNS1_3gpuE8ELNS1_3repE0EEENS1_30default_config_static_selectorELNS0_4arch9wavefront6targetE1EEEvSY_
	.p2align	8
	.type	_ZN7rocprim17ROCPRIM_400000_NS6detail17trampoline_kernelINS0_13select_configILj256ELj13ELNS0_17block_load_methodE3ELS4_3ELS4_3ELNS0_20block_scan_algorithmE0ELj4294967295EEENS1_25partition_config_selectorILNS1_17partition_subalgoE3EjNS0_10empty_typeEbEEZZNS1_14partition_implILS8_3ELb0ES6_jNS0_17counting_iteratorIjlEEPS9_SE_NS0_5tupleIJPjSE_EEENSF_IJSE_SE_EEES9_SG_JZNS1_25segmented_radix_sort_implINS0_14default_configELb1EPKfPfPKlPlN2at6native12_GLOBAL__N_18offset_tEEE10hipError_tPvRmT1_PNSt15iterator_traitsISY_E10value_typeET2_T3_PNSZ_IS14_E10value_typeET4_jRbjT5_S1A_jjP12ihipStream_tbEUljE_EEESV_SW_SX_S14_S18_S1A_T6_T7_T9_mT8_S1C_bDpT10_ENKUlT_T0_E_clISt17integral_constantIbLb1EES1O_IbLb0EEEEDaS1K_S1L_EUlS1K_E_NS1_11comp_targetILNS1_3genE4ELNS1_11target_archE910ELNS1_3gpuE8ELNS1_3repE0EEENS1_30default_config_static_selectorELNS0_4arch9wavefront6targetE1EEEvSY_,@function
_ZN7rocprim17ROCPRIM_400000_NS6detail17trampoline_kernelINS0_13select_configILj256ELj13ELNS0_17block_load_methodE3ELS4_3ELS4_3ELNS0_20block_scan_algorithmE0ELj4294967295EEENS1_25partition_config_selectorILNS1_17partition_subalgoE3EjNS0_10empty_typeEbEEZZNS1_14partition_implILS8_3ELb0ES6_jNS0_17counting_iteratorIjlEEPS9_SE_NS0_5tupleIJPjSE_EEENSF_IJSE_SE_EEES9_SG_JZNS1_25segmented_radix_sort_implINS0_14default_configELb1EPKfPfPKlPlN2at6native12_GLOBAL__N_18offset_tEEE10hipError_tPvRmT1_PNSt15iterator_traitsISY_E10value_typeET2_T3_PNSZ_IS14_E10value_typeET4_jRbjT5_S1A_jjP12ihipStream_tbEUljE_EEESV_SW_SX_S14_S18_S1A_T6_T7_T9_mT8_S1C_bDpT10_ENKUlT_T0_E_clISt17integral_constantIbLb1EES1O_IbLb0EEEEDaS1K_S1L_EUlS1K_E_NS1_11comp_targetILNS1_3genE4ELNS1_11target_archE910ELNS1_3gpuE8ELNS1_3repE0EEENS1_30default_config_static_selectorELNS0_4arch9wavefront6targetE1EEEvSY_: ; @_ZN7rocprim17ROCPRIM_400000_NS6detail17trampoline_kernelINS0_13select_configILj256ELj13ELNS0_17block_load_methodE3ELS4_3ELS4_3ELNS0_20block_scan_algorithmE0ELj4294967295EEENS1_25partition_config_selectorILNS1_17partition_subalgoE3EjNS0_10empty_typeEbEEZZNS1_14partition_implILS8_3ELb0ES6_jNS0_17counting_iteratorIjlEEPS9_SE_NS0_5tupleIJPjSE_EEENSF_IJSE_SE_EEES9_SG_JZNS1_25segmented_radix_sort_implINS0_14default_configELb1EPKfPfPKlPlN2at6native12_GLOBAL__N_18offset_tEEE10hipError_tPvRmT1_PNSt15iterator_traitsISY_E10value_typeET2_T3_PNSZ_IS14_E10value_typeET4_jRbjT5_S1A_jjP12ihipStream_tbEUljE_EEESV_SW_SX_S14_S18_S1A_T6_T7_T9_mT8_S1C_bDpT10_ENKUlT_T0_E_clISt17integral_constantIbLb1EES1O_IbLb0EEEEDaS1K_S1L_EUlS1K_E_NS1_11comp_targetILNS1_3genE4ELNS1_11target_archE910ELNS1_3gpuE8ELNS1_3repE0EEENS1_30default_config_static_selectorELNS0_4arch9wavefront6targetE1EEEvSY_
; %bb.0:
	.section	.rodata,"a",@progbits
	.p2align	6, 0x0
	.amdhsa_kernel _ZN7rocprim17ROCPRIM_400000_NS6detail17trampoline_kernelINS0_13select_configILj256ELj13ELNS0_17block_load_methodE3ELS4_3ELS4_3ELNS0_20block_scan_algorithmE0ELj4294967295EEENS1_25partition_config_selectorILNS1_17partition_subalgoE3EjNS0_10empty_typeEbEEZZNS1_14partition_implILS8_3ELb0ES6_jNS0_17counting_iteratorIjlEEPS9_SE_NS0_5tupleIJPjSE_EEENSF_IJSE_SE_EEES9_SG_JZNS1_25segmented_radix_sort_implINS0_14default_configELb1EPKfPfPKlPlN2at6native12_GLOBAL__N_18offset_tEEE10hipError_tPvRmT1_PNSt15iterator_traitsISY_E10value_typeET2_T3_PNSZ_IS14_E10value_typeET4_jRbjT5_S1A_jjP12ihipStream_tbEUljE_EEESV_SW_SX_S14_S18_S1A_T6_T7_T9_mT8_S1C_bDpT10_ENKUlT_T0_E_clISt17integral_constantIbLb1EES1O_IbLb0EEEEDaS1K_S1L_EUlS1K_E_NS1_11comp_targetILNS1_3genE4ELNS1_11target_archE910ELNS1_3gpuE8ELNS1_3repE0EEENS1_30default_config_static_selectorELNS0_4arch9wavefront6targetE1EEEvSY_
		.amdhsa_group_segment_fixed_size 0
		.amdhsa_private_segment_fixed_size 0
		.amdhsa_kernarg_size 144
		.amdhsa_user_sgpr_count 6
		.amdhsa_user_sgpr_private_segment_buffer 1
		.amdhsa_user_sgpr_dispatch_ptr 0
		.amdhsa_user_sgpr_queue_ptr 0
		.amdhsa_user_sgpr_kernarg_segment_ptr 1
		.amdhsa_user_sgpr_dispatch_id 0
		.amdhsa_user_sgpr_flat_scratch_init 0
		.amdhsa_user_sgpr_private_segment_size 0
		.amdhsa_uses_dynamic_stack 0
		.amdhsa_system_sgpr_private_segment_wavefront_offset 0
		.amdhsa_system_sgpr_workgroup_id_x 1
		.amdhsa_system_sgpr_workgroup_id_y 0
		.amdhsa_system_sgpr_workgroup_id_z 0
		.amdhsa_system_sgpr_workgroup_info 0
		.amdhsa_system_vgpr_workitem_id 0
		.amdhsa_next_free_vgpr 1
		.amdhsa_next_free_sgpr 0
		.amdhsa_reserve_vcc 0
		.amdhsa_reserve_flat_scratch 0
		.amdhsa_float_round_mode_32 0
		.amdhsa_float_round_mode_16_64 0
		.amdhsa_float_denorm_mode_32 3
		.amdhsa_float_denorm_mode_16_64 3
		.amdhsa_dx10_clamp 1
		.amdhsa_ieee_mode 1
		.amdhsa_fp16_overflow 0
		.amdhsa_exception_fp_ieee_invalid_op 0
		.amdhsa_exception_fp_denorm_src 0
		.amdhsa_exception_fp_ieee_div_zero 0
		.amdhsa_exception_fp_ieee_overflow 0
		.amdhsa_exception_fp_ieee_underflow 0
		.amdhsa_exception_fp_ieee_inexact 0
		.amdhsa_exception_int_div_zero 0
	.end_amdhsa_kernel
	.section	.text._ZN7rocprim17ROCPRIM_400000_NS6detail17trampoline_kernelINS0_13select_configILj256ELj13ELNS0_17block_load_methodE3ELS4_3ELS4_3ELNS0_20block_scan_algorithmE0ELj4294967295EEENS1_25partition_config_selectorILNS1_17partition_subalgoE3EjNS0_10empty_typeEbEEZZNS1_14partition_implILS8_3ELb0ES6_jNS0_17counting_iteratorIjlEEPS9_SE_NS0_5tupleIJPjSE_EEENSF_IJSE_SE_EEES9_SG_JZNS1_25segmented_radix_sort_implINS0_14default_configELb1EPKfPfPKlPlN2at6native12_GLOBAL__N_18offset_tEEE10hipError_tPvRmT1_PNSt15iterator_traitsISY_E10value_typeET2_T3_PNSZ_IS14_E10value_typeET4_jRbjT5_S1A_jjP12ihipStream_tbEUljE_EEESV_SW_SX_S14_S18_S1A_T6_T7_T9_mT8_S1C_bDpT10_ENKUlT_T0_E_clISt17integral_constantIbLb1EES1O_IbLb0EEEEDaS1K_S1L_EUlS1K_E_NS1_11comp_targetILNS1_3genE4ELNS1_11target_archE910ELNS1_3gpuE8ELNS1_3repE0EEENS1_30default_config_static_selectorELNS0_4arch9wavefront6targetE1EEEvSY_,"axG",@progbits,_ZN7rocprim17ROCPRIM_400000_NS6detail17trampoline_kernelINS0_13select_configILj256ELj13ELNS0_17block_load_methodE3ELS4_3ELS4_3ELNS0_20block_scan_algorithmE0ELj4294967295EEENS1_25partition_config_selectorILNS1_17partition_subalgoE3EjNS0_10empty_typeEbEEZZNS1_14partition_implILS8_3ELb0ES6_jNS0_17counting_iteratorIjlEEPS9_SE_NS0_5tupleIJPjSE_EEENSF_IJSE_SE_EEES9_SG_JZNS1_25segmented_radix_sort_implINS0_14default_configELb1EPKfPfPKlPlN2at6native12_GLOBAL__N_18offset_tEEE10hipError_tPvRmT1_PNSt15iterator_traitsISY_E10value_typeET2_T3_PNSZ_IS14_E10value_typeET4_jRbjT5_S1A_jjP12ihipStream_tbEUljE_EEESV_SW_SX_S14_S18_S1A_T6_T7_T9_mT8_S1C_bDpT10_ENKUlT_T0_E_clISt17integral_constantIbLb1EES1O_IbLb0EEEEDaS1K_S1L_EUlS1K_E_NS1_11comp_targetILNS1_3genE4ELNS1_11target_archE910ELNS1_3gpuE8ELNS1_3repE0EEENS1_30default_config_static_selectorELNS0_4arch9wavefront6targetE1EEEvSY_,comdat
.Lfunc_end1311:
	.size	_ZN7rocprim17ROCPRIM_400000_NS6detail17trampoline_kernelINS0_13select_configILj256ELj13ELNS0_17block_load_methodE3ELS4_3ELS4_3ELNS0_20block_scan_algorithmE0ELj4294967295EEENS1_25partition_config_selectorILNS1_17partition_subalgoE3EjNS0_10empty_typeEbEEZZNS1_14partition_implILS8_3ELb0ES6_jNS0_17counting_iteratorIjlEEPS9_SE_NS0_5tupleIJPjSE_EEENSF_IJSE_SE_EEES9_SG_JZNS1_25segmented_radix_sort_implINS0_14default_configELb1EPKfPfPKlPlN2at6native12_GLOBAL__N_18offset_tEEE10hipError_tPvRmT1_PNSt15iterator_traitsISY_E10value_typeET2_T3_PNSZ_IS14_E10value_typeET4_jRbjT5_S1A_jjP12ihipStream_tbEUljE_EEESV_SW_SX_S14_S18_S1A_T6_T7_T9_mT8_S1C_bDpT10_ENKUlT_T0_E_clISt17integral_constantIbLb1EES1O_IbLb0EEEEDaS1K_S1L_EUlS1K_E_NS1_11comp_targetILNS1_3genE4ELNS1_11target_archE910ELNS1_3gpuE8ELNS1_3repE0EEENS1_30default_config_static_selectorELNS0_4arch9wavefront6targetE1EEEvSY_, .Lfunc_end1311-_ZN7rocprim17ROCPRIM_400000_NS6detail17trampoline_kernelINS0_13select_configILj256ELj13ELNS0_17block_load_methodE3ELS4_3ELS4_3ELNS0_20block_scan_algorithmE0ELj4294967295EEENS1_25partition_config_selectorILNS1_17partition_subalgoE3EjNS0_10empty_typeEbEEZZNS1_14partition_implILS8_3ELb0ES6_jNS0_17counting_iteratorIjlEEPS9_SE_NS0_5tupleIJPjSE_EEENSF_IJSE_SE_EEES9_SG_JZNS1_25segmented_radix_sort_implINS0_14default_configELb1EPKfPfPKlPlN2at6native12_GLOBAL__N_18offset_tEEE10hipError_tPvRmT1_PNSt15iterator_traitsISY_E10value_typeET2_T3_PNSZ_IS14_E10value_typeET4_jRbjT5_S1A_jjP12ihipStream_tbEUljE_EEESV_SW_SX_S14_S18_S1A_T6_T7_T9_mT8_S1C_bDpT10_ENKUlT_T0_E_clISt17integral_constantIbLb1EES1O_IbLb0EEEEDaS1K_S1L_EUlS1K_E_NS1_11comp_targetILNS1_3genE4ELNS1_11target_archE910ELNS1_3gpuE8ELNS1_3repE0EEENS1_30default_config_static_selectorELNS0_4arch9wavefront6targetE1EEEvSY_
                                        ; -- End function
	.set _ZN7rocprim17ROCPRIM_400000_NS6detail17trampoline_kernelINS0_13select_configILj256ELj13ELNS0_17block_load_methodE3ELS4_3ELS4_3ELNS0_20block_scan_algorithmE0ELj4294967295EEENS1_25partition_config_selectorILNS1_17partition_subalgoE3EjNS0_10empty_typeEbEEZZNS1_14partition_implILS8_3ELb0ES6_jNS0_17counting_iteratorIjlEEPS9_SE_NS0_5tupleIJPjSE_EEENSF_IJSE_SE_EEES9_SG_JZNS1_25segmented_radix_sort_implINS0_14default_configELb1EPKfPfPKlPlN2at6native12_GLOBAL__N_18offset_tEEE10hipError_tPvRmT1_PNSt15iterator_traitsISY_E10value_typeET2_T3_PNSZ_IS14_E10value_typeET4_jRbjT5_S1A_jjP12ihipStream_tbEUljE_EEESV_SW_SX_S14_S18_S1A_T6_T7_T9_mT8_S1C_bDpT10_ENKUlT_T0_E_clISt17integral_constantIbLb1EES1O_IbLb0EEEEDaS1K_S1L_EUlS1K_E_NS1_11comp_targetILNS1_3genE4ELNS1_11target_archE910ELNS1_3gpuE8ELNS1_3repE0EEENS1_30default_config_static_selectorELNS0_4arch9wavefront6targetE1EEEvSY_.num_vgpr, 0
	.set _ZN7rocprim17ROCPRIM_400000_NS6detail17trampoline_kernelINS0_13select_configILj256ELj13ELNS0_17block_load_methodE3ELS4_3ELS4_3ELNS0_20block_scan_algorithmE0ELj4294967295EEENS1_25partition_config_selectorILNS1_17partition_subalgoE3EjNS0_10empty_typeEbEEZZNS1_14partition_implILS8_3ELb0ES6_jNS0_17counting_iteratorIjlEEPS9_SE_NS0_5tupleIJPjSE_EEENSF_IJSE_SE_EEES9_SG_JZNS1_25segmented_radix_sort_implINS0_14default_configELb1EPKfPfPKlPlN2at6native12_GLOBAL__N_18offset_tEEE10hipError_tPvRmT1_PNSt15iterator_traitsISY_E10value_typeET2_T3_PNSZ_IS14_E10value_typeET4_jRbjT5_S1A_jjP12ihipStream_tbEUljE_EEESV_SW_SX_S14_S18_S1A_T6_T7_T9_mT8_S1C_bDpT10_ENKUlT_T0_E_clISt17integral_constantIbLb1EES1O_IbLb0EEEEDaS1K_S1L_EUlS1K_E_NS1_11comp_targetILNS1_3genE4ELNS1_11target_archE910ELNS1_3gpuE8ELNS1_3repE0EEENS1_30default_config_static_selectorELNS0_4arch9wavefront6targetE1EEEvSY_.num_agpr, 0
	.set _ZN7rocprim17ROCPRIM_400000_NS6detail17trampoline_kernelINS0_13select_configILj256ELj13ELNS0_17block_load_methodE3ELS4_3ELS4_3ELNS0_20block_scan_algorithmE0ELj4294967295EEENS1_25partition_config_selectorILNS1_17partition_subalgoE3EjNS0_10empty_typeEbEEZZNS1_14partition_implILS8_3ELb0ES6_jNS0_17counting_iteratorIjlEEPS9_SE_NS0_5tupleIJPjSE_EEENSF_IJSE_SE_EEES9_SG_JZNS1_25segmented_radix_sort_implINS0_14default_configELb1EPKfPfPKlPlN2at6native12_GLOBAL__N_18offset_tEEE10hipError_tPvRmT1_PNSt15iterator_traitsISY_E10value_typeET2_T3_PNSZ_IS14_E10value_typeET4_jRbjT5_S1A_jjP12ihipStream_tbEUljE_EEESV_SW_SX_S14_S18_S1A_T6_T7_T9_mT8_S1C_bDpT10_ENKUlT_T0_E_clISt17integral_constantIbLb1EES1O_IbLb0EEEEDaS1K_S1L_EUlS1K_E_NS1_11comp_targetILNS1_3genE4ELNS1_11target_archE910ELNS1_3gpuE8ELNS1_3repE0EEENS1_30default_config_static_selectorELNS0_4arch9wavefront6targetE1EEEvSY_.numbered_sgpr, 0
	.set _ZN7rocprim17ROCPRIM_400000_NS6detail17trampoline_kernelINS0_13select_configILj256ELj13ELNS0_17block_load_methodE3ELS4_3ELS4_3ELNS0_20block_scan_algorithmE0ELj4294967295EEENS1_25partition_config_selectorILNS1_17partition_subalgoE3EjNS0_10empty_typeEbEEZZNS1_14partition_implILS8_3ELb0ES6_jNS0_17counting_iteratorIjlEEPS9_SE_NS0_5tupleIJPjSE_EEENSF_IJSE_SE_EEES9_SG_JZNS1_25segmented_radix_sort_implINS0_14default_configELb1EPKfPfPKlPlN2at6native12_GLOBAL__N_18offset_tEEE10hipError_tPvRmT1_PNSt15iterator_traitsISY_E10value_typeET2_T3_PNSZ_IS14_E10value_typeET4_jRbjT5_S1A_jjP12ihipStream_tbEUljE_EEESV_SW_SX_S14_S18_S1A_T6_T7_T9_mT8_S1C_bDpT10_ENKUlT_T0_E_clISt17integral_constantIbLb1EES1O_IbLb0EEEEDaS1K_S1L_EUlS1K_E_NS1_11comp_targetILNS1_3genE4ELNS1_11target_archE910ELNS1_3gpuE8ELNS1_3repE0EEENS1_30default_config_static_selectorELNS0_4arch9wavefront6targetE1EEEvSY_.num_named_barrier, 0
	.set _ZN7rocprim17ROCPRIM_400000_NS6detail17trampoline_kernelINS0_13select_configILj256ELj13ELNS0_17block_load_methodE3ELS4_3ELS4_3ELNS0_20block_scan_algorithmE0ELj4294967295EEENS1_25partition_config_selectorILNS1_17partition_subalgoE3EjNS0_10empty_typeEbEEZZNS1_14partition_implILS8_3ELb0ES6_jNS0_17counting_iteratorIjlEEPS9_SE_NS0_5tupleIJPjSE_EEENSF_IJSE_SE_EEES9_SG_JZNS1_25segmented_radix_sort_implINS0_14default_configELb1EPKfPfPKlPlN2at6native12_GLOBAL__N_18offset_tEEE10hipError_tPvRmT1_PNSt15iterator_traitsISY_E10value_typeET2_T3_PNSZ_IS14_E10value_typeET4_jRbjT5_S1A_jjP12ihipStream_tbEUljE_EEESV_SW_SX_S14_S18_S1A_T6_T7_T9_mT8_S1C_bDpT10_ENKUlT_T0_E_clISt17integral_constantIbLb1EES1O_IbLb0EEEEDaS1K_S1L_EUlS1K_E_NS1_11comp_targetILNS1_3genE4ELNS1_11target_archE910ELNS1_3gpuE8ELNS1_3repE0EEENS1_30default_config_static_selectorELNS0_4arch9wavefront6targetE1EEEvSY_.private_seg_size, 0
	.set _ZN7rocprim17ROCPRIM_400000_NS6detail17trampoline_kernelINS0_13select_configILj256ELj13ELNS0_17block_load_methodE3ELS4_3ELS4_3ELNS0_20block_scan_algorithmE0ELj4294967295EEENS1_25partition_config_selectorILNS1_17partition_subalgoE3EjNS0_10empty_typeEbEEZZNS1_14partition_implILS8_3ELb0ES6_jNS0_17counting_iteratorIjlEEPS9_SE_NS0_5tupleIJPjSE_EEENSF_IJSE_SE_EEES9_SG_JZNS1_25segmented_radix_sort_implINS0_14default_configELb1EPKfPfPKlPlN2at6native12_GLOBAL__N_18offset_tEEE10hipError_tPvRmT1_PNSt15iterator_traitsISY_E10value_typeET2_T3_PNSZ_IS14_E10value_typeET4_jRbjT5_S1A_jjP12ihipStream_tbEUljE_EEESV_SW_SX_S14_S18_S1A_T6_T7_T9_mT8_S1C_bDpT10_ENKUlT_T0_E_clISt17integral_constantIbLb1EES1O_IbLb0EEEEDaS1K_S1L_EUlS1K_E_NS1_11comp_targetILNS1_3genE4ELNS1_11target_archE910ELNS1_3gpuE8ELNS1_3repE0EEENS1_30default_config_static_selectorELNS0_4arch9wavefront6targetE1EEEvSY_.uses_vcc, 0
	.set _ZN7rocprim17ROCPRIM_400000_NS6detail17trampoline_kernelINS0_13select_configILj256ELj13ELNS0_17block_load_methodE3ELS4_3ELS4_3ELNS0_20block_scan_algorithmE0ELj4294967295EEENS1_25partition_config_selectorILNS1_17partition_subalgoE3EjNS0_10empty_typeEbEEZZNS1_14partition_implILS8_3ELb0ES6_jNS0_17counting_iteratorIjlEEPS9_SE_NS0_5tupleIJPjSE_EEENSF_IJSE_SE_EEES9_SG_JZNS1_25segmented_radix_sort_implINS0_14default_configELb1EPKfPfPKlPlN2at6native12_GLOBAL__N_18offset_tEEE10hipError_tPvRmT1_PNSt15iterator_traitsISY_E10value_typeET2_T3_PNSZ_IS14_E10value_typeET4_jRbjT5_S1A_jjP12ihipStream_tbEUljE_EEESV_SW_SX_S14_S18_S1A_T6_T7_T9_mT8_S1C_bDpT10_ENKUlT_T0_E_clISt17integral_constantIbLb1EES1O_IbLb0EEEEDaS1K_S1L_EUlS1K_E_NS1_11comp_targetILNS1_3genE4ELNS1_11target_archE910ELNS1_3gpuE8ELNS1_3repE0EEENS1_30default_config_static_selectorELNS0_4arch9wavefront6targetE1EEEvSY_.uses_flat_scratch, 0
	.set _ZN7rocprim17ROCPRIM_400000_NS6detail17trampoline_kernelINS0_13select_configILj256ELj13ELNS0_17block_load_methodE3ELS4_3ELS4_3ELNS0_20block_scan_algorithmE0ELj4294967295EEENS1_25partition_config_selectorILNS1_17partition_subalgoE3EjNS0_10empty_typeEbEEZZNS1_14partition_implILS8_3ELb0ES6_jNS0_17counting_iteratorIjlEEPS9_SE_NS0_5tupleIJPjSE_EEENSF_IJSE_SE_EEES9_SG_JZNS1_25segmented_radix_sort_implINS0_14default_configELb1EPKfPfPKlPlN2at6native12_GLOBAL__N_18offset_tEEE10hipError_tPvRmT1_PNSt15iterator_traitsISY_E10value_typeET2_T3_PNSZ_IS14_E10value_typeET4_jRbjT5_S1A_jjP12ihipStream_tbEUljE_EEESV_SW_SX_S14_S18_S1A_T6_T7_T9_mT8_S1C_bDpT10_ENKUlT_T0_E_clISt17integral_constantIbLb1EES1O_IbLb0EEEEDaS1K_S1L_EUlS1K_E_NS1_11comp_targetILNS1_3genE4ELNS1_11target_archE910ELNS1_3gpuE8ELNS1_3repE0EEENS1_30default_config_static_selectorELNS0_4arch9wavefront6targetE1EEEvSY_.has_dyn_sized_stack, 0
	.set _ZN7rocprim17ROCPRIM_400000_NS6detail17trampoline_kernelINS0_13select_configILj256ELj13ELNS0_17block_load_methodE3ELS4_3ELS4_3ELNS0_20block_scan_algorithmE0ELj4294967295EEENS1_25partition_config_selectorILNS1_17partition_subalgoE3EjNS0_10empty_typeEbEEZZNS1_14partition_implILS8_3ELb0ES6_jNS0_17counting_iteratorIjlEEPS9_SE_NS0_5tupleIJPjSE_EEENSF_IJSE_SE_EEES9_SG_JZNS1_25segmented_radix_sort_implINS0_14default_configELb1EPKfPfPKlPlN2at6native12_GLOBAL__N_18offset_tEEE10hipError_tPvRmT1_PNSt15iterator_traitsISY_E10value_typeET2_T3_PNSZ_IS14_E10value_typeET4_jRbjT5_S1A_jjP12ihipStream_tbEUljE_EEESV_SW_SX_S14_S18_S1A_T6_T7_T9_mT8_S1C_bDpT10_ENKUlT_T0_E_clISt17integral_constantIbLb1EES1O_IbLb0EEEEDaS1K_S1L_EUlS1K_E_NS1_11comp_targetILNS1_3genE4ELNS1_11target_archE910ELNS1_3gpuE8ELNS1_3repE0EEENS1_30default_config_static_selectorELNS0_4arch9wavefront6targetE1EEEvSY_.has_recursion, 0
	.set _ZN7rocprim17ROCPRIM_400000_NS6detail17trampoline_kernelINS0_13select_configILj256ELj13ELNS0_17block_load_methodE3ELS4_3ELS4_3ELNS0_20block_scan_algorithmE0ELj4294967295EEENS1_25partition_config_selectorILNS1_17partition_subalgoE3EjNS0_10empty_typeEbEEZZNS1_14partition_implILS8_3ELb0ES6_jNS0_17counting_iteratorIjlEEPS9_SE_NS0_5tupleIJPjSE_EEENSF_IJSE_SE_EEES9_SG_JZNS1_25segmented_radix_sort_implINS0_14default_configELb1EPKfPfPKlPlN2at6native12_GLOBAL__N_18offset_tEEE10hipError_tPvRmT1_PNSt15iterator_traitsISY_E10value_typeET2_T3_PNSZ_IS14_E10value_typeET4_jRbjT5_S1A_jjP12ihipStream_tbEUljE_EEESV_SW_SX_S14_S18_S1A_T6_T7_T9_mT8_S1C_bDpT10_ENKUlT_T0_E_clISt17integral_constantIbLb1EES1O_IbLb0EEEEDaS1K_S1L_EUlS1K_E_NS1_11comp_targetILNS1_3genE4ELNS1_11target_archE910ELNS1_3gpuE8ELNS1_3repE0EEENS1_30default_config_static_selectorELNS0_4arch9wavefront6targetE1EEEvSY_.has_indirect_call, 0
	.section	.AMDGPU.csdata,"",@progbits
; Kernel info:
; codeLenInByte = 0
; TotalNumSgprs: 4
; NumVgprs: 0
; ScratchSize: 0
; MemoryBound: 0
; FloatMode: 240
; IeeeMode: 1
; LDSByteSize: 0 bytes/workgroup (compile time only)
; SGPRBlocks: 0
; VGPRBlocks: 0
; NumSGPRsForWavesPerEU: 4
; NumVGPRsForWavesPerEU: 1
; Occupancy: 10
; WaveLimiterHint : 0
; COMPUTE_PGM_RSRC2:SCRATCH_EN: 0
; COMPUTE_PGM_RSRC2:USER_SGPR: 6
; COMPUTE_PGM_RSRC2:TRAP_HANDLER: 0
; COMPUTE_PGM_RSRC2:TGID_X_EN: 1
; COMPUTE_PGM_RSRC2:TGID_Y_EN: 0
; COMPUTE_PGM_RSRC2:TGID_Z_EN: 0
; COMPUTE_PGM_RSRC2:TIDIG_COMP_CNT: 0
	.section	.text._ZN7rocprim17ROCPRIM_400000_NS6detail17trampoline_kernelINS0_13select_configILj256ELj13ELNS0_17block_load_methodE3ELS4_3ELS4_3ELNS0_20block_scan_algorithmE0ELj4294967295EEENS1_25partition_config_selectorILNS1_17partition_subalgoE3EjNS0_10empty_typeEbEEZZNS1_14partition_implILS8_3ELb0ES6_jNS0_17counting_iteratorIjlEEPS9_SE_NS0_5tupleIJPjSE_EEENSF_IJSE_SE_EEES9_SG_JZNS1_25segmented_radix_sort_implINS0_14default_configELb1EPKfPfPKlPlN2at6native12_GLOBAL__N_18offset_tEEE10hipError_tPvRmT1_PNSt15iterator_traitsISY_E10value_typeET2_T3_PNSZ_IS14_E10value_typeET4_jRbjT5_S1A_jjP12ihipStream_tbEUljE_EEESV_SW_SX_S14_S18_S1A_T6_T7_T9_mT8_S1C_bDpT10_ENKUlT_T0_E_clISt17integral_constantIbLb1EES1O_IbLb0EEEEDaS1K_S1L_EUlS1K_E_NS1_11comp_targetILNS1_3genE3ELNS1_11target_archE908ELNS1_3gpuE7ELNS1_3repE0EEENS1_30default_config_static_selectorELNS0_4arch9wavefront6targetE1EEEvSY_,"axG",@progbits,_ZN7rocprim17ROCPRIM_400000_NS6detail17trampoline_kernelINS0_13select_configILj256ELj13ELNS0_17block_load_methodE3ELS4_3ELS4_3ELNS0_20block_scan_algorithmE0ELj4294967295EEENS1_25partition_config_selectorILNS1_17partition_subalgoE3EjNS0_10empty_typeEbEEZZNS1_14partition_implILS8_3ELb0ES6_jNS0_17counting_iteratorIjlEEPS9_SE_NS0_5tupleIJPjSE_EEENSF_IJSE_SE_EEES9_SG_JZNS1_25segmented_radix_sort_implINS0_14default_configELb1EPKfPfPKlPlN2at6native12_GLOBAL__N_18offset_tEEE10hipError_tPvRmT1_PNSt15iterator_traitsISY_E10value_typeET2_T3_PNSZ_IS14_E10value_typeET4_jRbjT5_S1A_jjP12ihipStream_tbEUljE_EEESV_SW_SX_S14_S18_S1A_T6_T7_T9_mT8_S1C_bDpT10_ENKUlT_T0_E_clISt17integral_constantIbLb1EES1O_IbLb0EEEEDaS1K_S1L_EUlS1K_E_NS1_11comp_targetILNS1_3genE3ELNS1_11target_archE908ELNS1_3gpuE7ELNS1_3repE0EEENS1_30default_config_static_selectorELNS0_4arch9wavefront6targetE1EEEvSY_,comdat
	.globl	_ZN7rocprim17ROCPRIM_400000_NS6detail17trampoline_kernelINS0_13select_configILj256ELj13ELNS0_17block_load_methodE3ELS4_3ELS4_3ELNS0_20block_scan_algorithmE0ELj4294967295EEENS1_25partition_config_selectorILNS1_17partition_subalgoE3EjNS0_10empty_typeEbEEZZNS1_14partition_implILS8_3ELb0ES6_jNS0_17counting_iteratorIjlEEPS9_SE_NS0_5tupleIJPjSE_EEENSF_IJSE_SE_EEES9_SG_JZNS1_25segmented_radix_sort_implINS0_14default_configELb1EPKfPfPKlPlN2at6native12_GLOBAL__N_18offset_tEEE10hipError_tPvRmT1_PNSt15iterator_traitsISY_E10value_typeET2_T3_PNSZ_IS14_E10value_typeET4_jRbjT5_S1A_jjP12ihipStream_tbEUljE_EEESV_SW_SX_S14_S18_S1A_T6_T7_T9_mT8_S1C_bDpT10_ENKUlT_T0_E_clISt17integral_constantIbLb1EES1O_IbLb0EEEEDaS1K_S1L_EUlS1K_E_NS1_11comp_targetILNS1_3genE3ELNS1_11target_archE908ELNS1_3gpuE7ELNS1_3repE0EEENS1_30default_config_static_selectorELNS0_4arch9wavefront6targetE1EEEvSY_ ; -- Begin function _ZN7rocprim17ROCPRIM_400000_NS6detail17trampoline_kernelINS0_13select_configILj256ELj13ELNS0_17block_load_methodE3ELS4_3ELS4_3ELNS0_20block_scan_algorithmE0ELj4294967295EEENS1_25partition_config_selectorILNS1_17partition_subalgoE3EjNS0_10empty_typeEbEEZZNS1_14partition_implILS8_3ELb0ES6_jNS0_17counting_iteratorIjlEEPS9_SE_NS0_5tupleIJPjSE_EEENSF_IJSE_SE_EEES9_SG_JZNS1_25segmented_radix_sort_implINS0_14default_configELb1EPKfPfPKlPlN2at6native12_GLOBAL__N_18offset_tEEE10hipError_tPvRmT1_PNSt15iterator_traitsISY_E10value_typeET2_T3_PNSZ_IS14_E10value_typeET4_jRbjT5_S1A_jjP12ihipStream_tbEUljE_EEESV_SW_SX_S14_S18_S1A_T6_T7_T9_mT8_S1C_bDpT10_ENKUlT_T0_E_clISt17integral_constantIbLb1EES1O_IbLb0EEEEDaS1K_S1L_EUlS1K_E_NS1_11comp_targetILNS1_3genE3ELNS1_11target_archE908ELNS1_3gpuE7ELNS1_3repE0EEENS1_30default_config_static_selectorELNS0_4arch9wavefront6targetE1EEEvSY_
	.p2align	8
	.type	_ZN7rocprim17ROCPRIM_400000_NS6detail17trampoline_kernelINS0_13select_configILj256ELj13ELNS0_17block_load_methodE3ELS4_3ELS4_3ELNS0_20block_scan_algorithmE0ELj4294967295EEENS1_25partition_config_selectorILNS1_17partition_subalgoE3EjNS0_10empty_typeEbEEZZNS1_14partition_implILS8_3ELb0ES6_jNS0_17counting_iteratorIjlEEPS9_SE_NS0_5tupleIJPjSE_EEENSF_IJSE_SE_EEES9_SG_JZNS1_25segmented_radix_sort_implINS0_14default_configELb1EPKfPfPKlPlN2at6native12_GLOBAL__N_18offset_tEEE10hipError_tPvRmT1_PNSt15iterator_traitsISY_E10value_typeET2_T3_PNSZ_IS14_E10value_typeET4_jRbjT5_S1A_jjP12ihipStream_tbEUljE_EEESV_SW_SX_S14_S18_S1A_T6_T7_T9_mT8_S1C_bDpT10_ENKUlT_T0_E_clISt17integral_constantIbLb1EES1O_IbLb0EEEEDaS1K_S1L_EUlS1K_E_NS1_11comp_targetILNS1_3genE3ELNS1_11target_archE908ELNS1_3gpuE7ELNS1_3repE0EEENS1_30default_config_static_selectorELNS0_4arch9wavefront6targetE1EEEvSY_,@function
_ZN7rocprim17ROCPRIM_400000_NS6detail17trampoline_kernelINS0_13select_configILj256ELj13ELNS0_17block_load_methodE3ELS4_3ELS4_3ELNS0_20block_scan_algorithmE0ELj4294967295EEENS1_25partition_config_selectorILNS1_17partition_subalgoE3EjNS0_10empty_typeEbEEZZNS1_14partition_implILS8_3ELb0ES6_jNS0_17counting_iteratorIjlEEPS9_SE_NS0_5tupleIJPjSE_EEENSF_IJSE_SE_EEES9_SG_JZNS1_25segmented_radix_sort_implINS0_14default_configELb1EPKfPfPKlPlN2at6native12_GLOBAL__N_18offset_tEEE10hipError_tPvRmT1_PNSt15iterator_traitsISY_E10value_typeET2_T3_PNSZ_IS14_E10value_typeET4_jRbjT5_S1A_jjP12ihipStream_tbEUljE_EEESV_SW_SX_S14_S18_S1A_T6_T7_T9_mT8_S1C_bDpT10_ENKUlT_T0_E_clISt17integral_constantIbLb1EES1O_IbLb0EEEEDaS1K_S1L_EUlS1K_E_NS1_11comp_targetILNS1_3genE3ELNS1_11target_archE908ELNS1_3gpuE7ELNS1_3repE0EEENS1_30default_config_static_selectorELNS0_4arch9wavefront6targetE1EEEvSY_: ; @_ZN7rocprim17ROCPRIM_400000_NS6detail17trampoline_kernelINS0_13select_configILj256ELj13ELNS0_17block_load_methodE3ELS4_3ELS4_3ELNS0_20block_scan_algorithmE0ELj4294967295EEENS1_25partition_config_selectorILNS1_17partition_subalgoE3EjNS0_10empty_typeEbEEZZNS1_14partition_implILS8_3ELb0ES6_jNS0_17counting_iteratorIjlEEPS9_SE_NS0_5tupleIJPjSE_EEENSF_IJSE_SE_EEES9_SG_JZNS1_25segmented_radix_sort_implINS0_14default_configELb1EPKfPfPKlPlN2at6native12_GLOBAL__N_18offset_tEEE10hipError_tPvRmT1_PNSt15iterator_traitsISY_E10value_typeET2_T3_PNSZ_IS14_E10value_typeET4_jRbjT5_S1A_jjP12ihipStream_tbEUljE_EEESV_SW_SX_S14_S18_S1A_T6_T7_T9_mT8_S1C_bDpT10_ENKUlT_T0_E_clISt17integral_constantIbLb1EES1O_IbLb0EEEEDaS1K_S1L_EUlS1K_E_NS1_11comp_targetILNS1_3genE3ELNS1_11target_archE908ELNS1_3gpuE7ELNS1_3repE0EEENS1_30default_config_static_selectorELNS0_4arch9wavefront6targetE1EEEvSY_
; %bb.0:
	.section	.rodata,"a",@progbits
	.p2align	6, 0x0
	.amdhsa_kernel _ZN7rocprim17ROCPRIM_400000_NS6detail17trampoline_kernelINS0_13select_configILj256ELj13ELNS0_17block_load_methodE3ELS4_3ELS4_3ELNS0_20block_scan_algorithmE0ELj4294967295EEENS1_25partition_config_selectorILNS1_17partition_subalgoE3EjNS0_10empty_typeEbEEZZNS1_14partition_implILS8_3ELb0ES6_jNS0_17counting_iteratorIjlEEPS9_SE_NS0_5tupleIJPjSE_EEENSF_IJSE_SE_EEES9_SG_JZNS1_25segmented_radix_sort_implINS0_14default_configELb1EPKfPfPKlPlN2at6native12_GLOBAL__N_18offset_tEEE10hipError_tPvRmT1_PNSt15iterator_traitsISY_E10value_typeET2_T3_PNSZ_IS14_E10value_typeET4_jRbjT5_S1A_jjP12ihipStream_tbEUljE_EEESV_SW_SX_S14_S18_S1A_T6_T7_T9_mT8_S1C_bDpT10_ENKUlT_T0_E_clISt17integral_constantIbLb1EES1O_IbLb0EEEEDaS1K_S1L_EUlS1K_E_NS1_11comp_targetILNS1_3genE3ELNS1_11target_archE908ELNS1_3gpuE7ELNS1_3repE0EEENS1_30default_config_static_selectorELNS0_4arch9wavefront6targetE1EEEvSY_
		.amdhsa_group_segment_fixed_size 0
		.amdhsa_private_segment_fixed_size 0
		.amdhsa_kernarg_size 144
		.amdhsa_user_sgpr_count 6
		.amdhsa_user_sgpr_private_segment_buffer 1
		.amdhsa_user_sgpr_dispatch_ptr 0
		.amdhsa_user_sgpr_queue_ptr 0
		.amdhsa_user_sgpr_kernarg_segment_ptr 1
		.amdhsa_user_sgpr_dispatch_id 0
		.amdhsa_user_sgpr_flat_scratch_init 0
		.amdhsa_user_sgpr_private_segment_size 0
		.amdhsa_uses_dynamic_stack 0
		.amdhsa_system_sgpr_private_segment_wavefront_offset 0
		.amdhsa_system_sgpr_workgroup_id_x 1
		.amdhsa_system_sgpr_workgroup_id_y 0
		.amdhsa_system_sgpr_workgroup_id_z 0
		.amdhsa_system_sgpr_workgroup_info 0
		.amdhsa_system_vgpr_workitem_id 0
		.amdhsa_next_free_vgpr 1
		.amdhsa_next_free_sgpr 0
		.amdhsa_reserve_vcc 0
		.amdhsa_reserve_flat_scratch 0
		.amdhsa_float_round_mode_32 0
		.amdhsa_float_round_mode_16_64 0
		.amdhsa_float_denorm_mode_32 3
		.amdhsa_float_denorm_mode_16_64 3
		.amdhsa_dx10_clamp 1
		.amdhsa_ieee_mode 1
		.amdhsa_fp16_overflow 0
		.amdhsa_exception_fp_ieee_invalid_op 0
		.amdhsa_exception_fp_denorm_src 0
		.amdhsa_exception_fp_ieee_div_zero 0
		.amdhsa_exception_fp_ieee_overflow 0
		.amdhsa_exception_fp_ieee_underflow 0
		.amdhsa_exception_fp_ieee_inexact 0
		.amdhsa_exception_int_div_zero 0
	.end_amdhsa_kernel
	.section	.text._ZN7rocprim17ROCPRIM_400000_NS6detail17trampoline_kernelINS0_13select_configILj256ELj13ELNS0_17block_load_methodE3ELS4_3ELS4_3ELNS0_20block_scan_algorithmE0ELj4294967295EEENS1_25partition_config_selectorILNS1_17partition_subalgoE3EjNS0_10empty_typeEbEEZZNS1_14partition_implILS8_3ELb0ES6_jNS0_17counting_iteratorIjlEEPS9_SE_NS0_5tupleIJPjSE_EEENSF_IJSE_SE_EEES9_SG_JZNS1_25segmented_radix_sort_implINS0_14default_configELb1EPKfPfPKlPlN2at6native12_GLOBAL__N_18offset_tEEE10hipError_tPvRmT1_PNSt15iterator_traitsISY_E10value_typeET2_T3_PNSZ_IS14_E10value_typeET4_jRbjT5_S1A_jjP12ihipStream_tbEUljE_EEESV_SW_SX_S14_S18_S1A_T6_T7_T9_mT8_S1C_bDpT10_ENKUlT_T0_E_clISt17integral_constantIbLb1EES1O_IbLb0EEEEDaS1K_S1L_EUlS1K_E_NS1_11comp_targetILNS1_3genE3ELNS1_11target_archE908ELNS1_3gpuE7ELNS1_3repE0EEENS1_30default_config_static_selectorELNS0_4arch9wavefront6targetE1EEEvSY_,"axG",@progbits,_ZN7rocprim17ROCPRIM_400000_NS6detail17trampoline_kernelINS0_13select_configILj256ELj13ELNS0_17block_load_methodE3ELS4_3ELS4_3ELNS0_20block_scan_algorithmE0ELj4294967295EEENS1_25partition_config_selectorILNS1_17partition_subalgoE3EjNS0_10empty_typeEbEEZZNS1_14partition_implILS8_3ELb0ES6_jNS0_17counting_iteratorIjlEEPS9_SE_NS0_5tupleIJPjSE_EEENSF_IJSE_SE_EEES9_SG_JZNS1_25segmented_radix_sort_implINS0_14default_configELb1EPKfPfPKlPlN2at6native12_GLOBAL__N_18offset_tEEE10hipError_tPvRmT1_PNSt15iterator_traitsISY_E10value_typeET2_T3_PNSZ_IS14_E10value_typeET4_jRbjT5_S1A_jjP12ihipStream_tbEUljE_EEESV_SW_SX_S14_S18_S1A_T6_T7_T9_mT8_S1C_bDpT10_ENKUlT_T0_E_clISt17integral_constantIbLb1EES1O_IbLb0EEEEDaS1K_S1L_EUlS1K_E_NS1_11comp_targetILNS1_3genE3ELNS1_11target_archE908ELNS1_3gpuE7ELNS1_3repE0EEENS1_30default_config_static_selectorELNS0_4arch9wavefront6targetE1EEEvSY_,comdat
.Lfunc_end1312:
	.size	_ZN7rocprim17ROCPRIM_400000_NS6detail17trampoline_kernelINS0_13select_configILj256ELj13ELNS0_17block_load_methodE3ELS4_3ELS4_3ELNS0_20block_scan_algorithmE0ELj4294967295EEENS1_25partition_config_selectorILNS1_17partition_subalgoE3EjNS0_10empty_typeEbEEZZNS1_14partition_implILS8_3ELb0ES6_jNS0_17counting_iteratorIjlEEPS9_SE_NS0_5tupleIJPjSE_EEENSF_IJSE_SE_EEES9_SG_JZNS1_25segmented_radix_sort_implINS0_14default_configELb1EPKfPfPKlPlN2at6native12_GLOBAL__N_18offset_tEEE10hipError_tPvRmT1_PNSt15iterator_traitsISY_E10value_typeET2_T3_PNSZ_IS14_E10value_typeET4_jRbjT5_S1A_jjP12ihipStream_tbEUljE_EEESV_SW_SX_S14_S18_S1A_T6_T7_T9_mT8_S1C_bDpT10_ENKUlT_T0_E_clISt17integral_constantIbLb1EES1O_IbLb0EEEEDaS1K_S1L_EUlS1K_E_NS1_11comp_targetILNS1_3genE3ELNS1_11target_archE908ELNS1_3gpuE7ELNS1_3repE0EEENS1_30default_config_static_selectorELNS0_4arch9wavefront6targetE1EEEvSY_, .Lfunc_end1312-_ZN7rocprim17ROCPRIM_400000_NS6detail17trampoline_kernelINS0_13select_configILj256ELj13ELNS0_17block_load_methodE3ELS4_3ELS4_3ELNS0_20block_scan_algorithmE0ELj4294967295EEENS1_25partition_config_selectorILNS1_17partition_subalgoE3EjNS0_10empty_typeEbEEZZNS1_14partition_implILS8_3ELb0ES6_jNS0_17counting_iteratorIjlEEPS9_SE_NS0_5tupleIJPjSE_EEENSF_IJSE_SE_EEES9_SG_JZNS1_25segmented_radix_sort_implINS0_14default_configELb1EPKfPfPKlPlN2at6native12_GLOBAL__N_18offset_tEEE10hipError_tPvRmT1_PNSt15iterator_traitsISY_E10value_typeET2_T3_PNSZ_IS14_E10value_typeET4_jRbjT5_S1A_jjP12ihipStream_tbEUljE_EEESV_SW_SX_S14_S18_S1A_T6_T7_T9_mT8_S1C_bDpT10_ENKUlT_T0_E_clISt17integral_constantIbLb1EES1O_IbLb0EEEEDaS1K_S1L_EUlS1K_E_NS1_11comp_targetILNS1_3genE3ELNS1_11target_archE908ELNS1_3gpuE7ELNS1_3repE0EEENS1_30default_config_static_selectorELNS0_4arch9wavefront6targetE1EEEvSY_
                                        ; -- End function
	.set _ZN7rocprim17ROCPRIM_400000_NS6detail17trampoline_kernelINS0_13select_configILj256ELj13ELNS0_17block_load_methodE3ELS4_3ELS4_3ELNS0_20block_scan_algorithmE0ELj4294967295EEENS1_25partition_config_selectorILNS1_17partition_subalgoE3EjNS0_10empty_typeEbEEZZNS1_14partition_implILS8_3ELb0ES6_jNS0_17counting_iteratorIjlEEPS9_SE_NS0_5tupleIJPjSE_EEENSF_IJSE_SE_EEES9_SG_JZNS1_25segmented_radix_sort_implINS0_14default_configELb1EPKfPfPKlPlN2at6native12_GLOBAL__N_18offset_tEEE10hipError_tPvRmT1_PNSt15iterator_traitsISY_E10value_typeET2_T3_PNSZ_IS14_E10value_typeET4_jRbjT5_S1A_jjP12ihipStream_tbEUljE_EEESV_SW_SX_S14_S18_S1A_T6_T7_T9_mT8_S1C_bDpT10_ENKUlT_T0_E_clISt17integral_constantIbLb1EES1O_IbLb0EEEEDaS1K_S1L_EUlS1K_E_NS1_11comp_targetILNS1_3genE3ELNS1_11target_archE908ELNS1_3gpuE7ELNS1_3repE0EEENS1_30default_config_static_selectorELNS0_4arch9wavefront6targetE1EEEvSY_.num_vgpr, 0
	.set _ZN7rocprim17ROCPRIM_400000_NS6detail17trampoline_kernelINS0_13select_configILj256ELj13ELNS0_17block_load_methodE3ELS4_3ELS4_3ELNS0_20block_scan_algorithmE0ELj4294967295EEENS1_25partition_config_selectorILNS1_17partition_subalgoE3EjNS0_10empty_typeEbEEZZNS1_14partition_implILS8_3ELb0ES6_jNS0_17counting_iteratorIjlEEPS9_SE_NS0_5tupleIJPjSE_EEENSF_IJSE_SE_EEES9_SG_JZNS1_25segmented_radix_sort_implINS0_14default_configELb1EPKfPfPKlPlN2at6native12_GLOBAL__N_18offset_tEEE10hipError_tPvRmT1_PNSt15iterator_traitsISY_E10value_typeET2_T3_PNSZ_IS14_E10value_typeET4_jRbjT5_S1A_jjP12ihipStream_tbEUljE_EEESV_SW_SX_S14_S18_S1A_T6_T7_T9_mT8_S1C_bDpT10_ENKUlT_T0_E_clISt17integral_constantIbLb1EES1O_IbLb0EEEEDaS1K_S1L_EUlS1K_E_NS1_11comp_targetILNS1_3genE3ELNS1_11target_archE908ELNS1_3gpuE7ELNS1_3repE0EEENS1_30default_config_static_selectorELNS0_4arch9wavefront6targetE1EEEvSY_.num_agpr, 0
	.set _ZN7rocprim17ROCPRIM_400000_NS6detail17trampoline_kernelINS0_13select_configILj256ELj13ELNS0_17block_load_methodE3ELS4_3ELS4_3ELNS0_20block_scan_algorithmE0ELj4294967295EEENS1_25partition_config_selectorILNS1_17partition_subalgoE3EjNS0_10empty_typeEbEEZZNS1_14partition_implILS8_3ELb0ES6_jNS0_17counting_iteratorIjlEEPS9_SE_NS0_5tupleIJPjSE_EEENSF_IJSE_SE_EEES9_SG_JZNS1_25segmented_radix_sort_implINS0_14default_configELb1EPKfPfPKlPlN2at6native12_GLOBAL__N_18offset_tEEE10hipError_tPvRmT1_PNSt15iterator_traitsISY_E10value_typeET2_T3_PNSZ_IS14_E10value_typeET4_jRbjT5_S1A_jjP12ihipStream_tbEUljE_EEESV_SW_SX_S14_S18_S1A_T6_T7_T9_mT8_S1C_bDpT10_ENKUlT_T0_E_clISt17integral_constantIbLb1EES1O_IbLb0EEEEDaS1K_S1L_EUlS1K_E_NS1_11comp_targetILNS1_3genE3ELNS1_11target_archE908ELNS1_3gpuE7ELNS1_3repE0EEENS1_30default_config_static_selectorELNS0_4arch9wavefront6targetE1EEEvSY_.numbered_sgpr, 0
	.set _ZN7rocprim17ROCPRIM_400000_NS6detail17trampoline_kernelINS0_13select_configILj256ELj13ELNS0_17block_load_methodE3ELS4_3ELS4_3ELNS0_20block_scan_algorithmE0ELj4294967295EEENS1_25partition_config_selectorILNS1_17partition_subalgoE3EjNS0_10empty_typeEbEEZZNS1_14partition_implILS8_3ELb0ES6_jNS0_17counting_iteratorIjlEEPS9_SE_NS0_5tupleIJPjSE_EEENSF_IJSE_SE_EEES9_SG_JZNS1_25segmented_radix_sort_implINS0_14default_configELb1EPKfPfPKlPlN2at6native12_GLOBAL__N_18offset_tEEE10hipError_tPvRmT1_PNSt15iterator_traitsISY_E10value_typeET2_T3_PNSZ_IS14_E10value_typeET4_jRbjT5_S1A_jjP12ihipStream_tbEUljE_EEESV_SW_SX_S14_S18_S1A_T6_T7_T9_mT8_S1C_bDpT10_ENKUlT_T0_E_clISt17integral_constantIbLb1EES1O_IbLb0EEEEDaS1K_S1L_EUlS1K_E_NS1_11comp_targetILNS1_3genE3ELNS1_11target_archE908ELNS1_3gpuE7ELNS1_3repE0EEENS1_30default_config_static_selectorELNS0_4arch9wavefront6targetE1EEEvSY_.num_named_barrier, 0
	.set _ZN7rocprim17ROCPRIM_400000_NS6detail17trampoline_kernelINS0_13select_configILj256ELj13ELNS0_17block_load_methodE3ELS4_3ELS4_3ELNS0_20block_scan_algorithmE0ELj4294967295EEENS1_25partition_config_selectorILNS1_17partition_subalgoE3EjNS0_10empty_typeEbEEZZNS1_14partition_implILS8_3ELb0ES6_jNS0_17counting_iteratorIjlEEPS9_SE_NS0_5tupleIJPjSE_EEENSF_IJSE_SE_EEES9_SG_JZNS1_25segmented_radix_sort_implINS0_14default_configELb1EPKfPfPKlPlN2at6native12_GLOBAL__N_18offset_tEEE10hipError_tPvRmT1_PNSt15iterator_traitsISY_E10value_typeET2_T3_PNSZ_IS14_E10value_typeET4_jRbjT5_S1A_jjP12ihipStream_tbEUljE_EEESV_SW_SX_S14_S18_S1A_T6_T7_T9_mT8_S1C_bDpT10_ENKUlT_T0_E_clISt17integral_constantIbLb1EES1O_IbLb0EEEEDaS1K_S1L_EUlS1K_E_NS1_11comp_targetILNS1_3genE3ELNS1_11target_archE908ELNS1_3gpuE7ELNS1_3repE0EEENS1_30default_config_static_selectorELNS0_4arch9wavefront6targetE1EEEvSY_.private_seg_size, 0
	.set _ZN7rocprim17ROCPRIM_400000_NS6detail17trampoline_kernelINS0_13select_configILj256ELj13ELNS0_17block_load_methodE3ELS4_3ELS4_3ELNS0_20block_scan_algorithmE0ELj4294967295EEENS1_25partition_config_selectorILNS1_17partition_subalgoE3EjNS0_10empty_typeEbEEZZNS1_14partition_implILS8_3ELb0ES6_jNS0_17counting_iteratorIjlEEPS9_SE_NS0_5tupleIJPjSE_EEENSF_IJSE_SE_EEES9_SG_JZNS1_25segmented_radix_sort_implINS0_14default_configELb1EPKfPfPKlPlN2at6native12_GLOBAL__N_18offset_tEEE10hipError_tPvRmT1_PNSt15iterator_traitsISY_E10value_typeET2_T3_PNSZ_IS14_E10value_typeET4_jRbjT5_S1A_jjP12ihipStream_tbEUljE_EEESV_SW_SX_S14_S18_S1A_T6_T7_T9_mT8_S1C_bDpT10_ENKUlT_T0_E_clISt17integral_constantIbLb1EES1O_IbLb0EEEEDaS1K_S1L_EUlS1K_E_NS1_11comp_targetILNS1_3genE3ELNS1_11target_archE908ELNS1_3gpuE7ELNS1_3repE0EEENS1_30default_config_static_selectorELNS0_4arch9wavefront6targetE1EEEvSY_.uses_vcc, 0
	.set _ZN7rocprim17ROCPRIM_400000_NS6detail17trampoline_kernelINS0_13select_configILj256ELj13ELNS0_17block_load_methodE3ELS4_3ELS4_3ELNS0_20block_scan_algorithmE0ELj4294967295EEENS1_25partition_config_selectorILNS1_17partition_subalgoE3EjNS0_10empty_typeEbEEZZNS1_14partition_implILS8_3ELb0ES6_jNS0_17counting_iteratorIjlEEPS9_SE_NS0_5tupleIJPjSE_EEENSF_IJSE_SE_EEES9_SG_JZNS1_25segmented_radix_sort_implINS0_14default_configELb1EPKfPfPKlPlN2at6native12_GLOBAL__N_18offset_tEEE10hipError_tPvRmT1_PNSt15iterator_traitsISY_E10value_typeET2_T3_PNSZ_IS14_E10value_typeET4_jRbjT5_S1A_jjP12ihipStream_tbEUljE_EEESV_SW_SX_S14_S18_S1A_T6_T7_T9_mT8_S1C_bDpT10_ENKUlT_T0_E_clISt17integral_constantIbLb1EES1O_IbLb0EEEEDaS1K_S1L_EUlS1K_E_NS1_11comp_targetILNS1_3genE3ELNS1_11target_archE908ELNS1_3gpuE7ELNS1_3repE0EEENS1_30default_config_static_selectorELNS0_4arch9wavefront6targetE1EEEvSY_.uses_flat_scratch, 0
	.set _ZN7rocprim17ROCPRIM_400000_NS6detail17trampoline_kernelINS0_13select_configILj256ELj13ELNS0_17block_load_methodE3ELS4_3ELS4_3ELNS0_20block_scan_algorithmE0ELj4294967295EEENS1_25partition_config_selectorILNS1_17partition_subalgoE3EjNS0_10empty_typeEbEEZZNS1_14partition_implILS8_3ELb0ES6_jNS0_17counting_iteratorIjlEEPS9_SE_NS0_5tupleIJPjSE_EEENSF_IJSE_SE_EEES9_SG_JZNS1_25segmented_radix_sort_implINS0_14default_configELb1EPKfPfPKlPlN2at6native12_GLOBAL__N_18offset_tEEE10hipError_tPvRmT1_PNSt15iterator_traitsISY_E10value_typeET2_T3_PNSZ_IS14_E10value_typeET4_jRbjT5_S1A_jjP12ihipStream_tbEUljE_EEESV_SW_SX_S14_S18_S1A_T6_T7_T9_mT8_S1C_bDpT10_ENKUlT_T0_E_clISt17integral_constantIbLb1EES1O_IbLb0EEEEDaS1K_S1L_EUlS1K_E_NS1_11comp_targetILNS1_3genE3ELNS1_11target_archE908ELNS1_3gpuE7ELNS1_3repE0EEENS1_30default_config_static_selectorELNS0_4arch9wavefront6targetE1EEEvSY_.has_dyn_sized_stack, 0
	.set _ZN7rocprim17ROCPRIM_400000_NS6detail17trampoline_kernelINS0_13select_configILj256ELj13ELNS0_17block_load_methodE3ELS4_3ELS4_3ELNS0_20block_scan_algorithmE0ELj4294967295EEENS1_25partition_config_selectorILNS1_17partition_subalgoE3EjNS0_10empty_typeEbEEZZNS1_14partition_implILS8_3ELb0ES6_jNS0_17counting_iteratorIjlEEPS9_SE_NS0_5tupleIJPjSE_EEENSF_IJSE_SE_EEES9_SG_JZNS1_25segmented_radix_sort_implINS0_14default_configELb1EPKfPfPKlPlN2at6native12_GLOBAL__N_18offset_tEEE10hipError_tPvRmT1_PNSt15iterator_traitsISY_E10value_typeET2_T3_PNSZ_IS14_E10value_typeET4_jRbjT5_S1A_jjP12ihipStream_tbEUljE_EEESV_SW_SX_S14_S18_S1A_T6_T7_T9_mT8_S1C_bDpT10_ENKUlT_T0_E_clISt17integral_constantIbLb1EES1O_IbLb0EEEEDaS1K_S1L_EUlS1K_E_NS1_11comp_targetILNS1_3genE3ELNS1_11target_archE908ELNS1_3gpuE7ELNS1_3repE0EEENS1_30default_config_static_selectorELNS0_4arch9wavefront6targetE1EEEvSY_.has_recursion, 0
	.set _ZN7rocprim17ROCPRIM_400000_NS6detail17trampoline_kernelINS0_13select_configILj256ELj13ELNS0_17block_load_methodE3ELS4_3ELS4_3ELNS0_20block_scan_algorithmE0ELj4294967295EEENS1_25partition_config_selectorILNS1_17partition_subalgoE3EjNS0_10empty_typeEbEEZZNS1_14partition_implILS8_3ELb0ES6_jNS0_17counting_iteratorIjlEEPS9_SE_NS0_5tupleIJPjSE_EEENSF_IJSE_SE_EEES9_SG_JZNS1_25segmented_radix_sort_implINS0_14default_configELb1EPKfPfPKlPlN2at6native12_GLOBAL__N_18offset_tEEE10hipError_tPvRmT1_PNSt15iterator_traitsISY_E10value_typeET2_T3_PNSZ_IS14_E10value_typeET4_jRbjT5_S1A_jjP12ihipStream_tbEUljE_EEESV_SW_SX_S14_S18_S1A_T6_T7_T9_mT8_S1C_bDpT10_ENKUlT_T0_E_clISt17integral_constantIbLb1EES1O_IbLb0EEEEDaS1K_S1L_EUlS1K_E_NS1_11comp_targetILNS1_3genE3ELNS1_11target_archE908ELNS1_3gpuE7ELNS1_3repE0EEENS1_30default_config_static_selectorELNS0_4arch9wavefront6targetE1EEEvSY_.has_indirect_call, 0
	.section	.AMDGPU.csdata,"",@progbits
; Kernel info:
; codeLenInByte = 0
; TotalNumSgprs: 4
; NumVgprs: 0
; ScratchSize: 0
; MemoryBound: 0
; FloatMode: 240
; IeeeMode: 1
; LDSByteSize: 0 bytes/workgroup (compile time only)
; SGPRBlocks: 0
; VGPRBlocks: 0
; NumSGPRsForWavesPerEU: 4
; NumVGPRsForWavesPerEU: 1
; Occupancy: 10
; WaveLimiterHint : 0
; COMPUTE_PGM_RSRC2:SCRATCH_EN: 0
; COMPUTE_PGM_RSRC2:USER_SGPR: 6
; COMPUTE_PGM_RSRC2:TRAP_HANDLER: 0
; COMPUTE_PGM_RSRC2:TGID_X_EN: 1
; COMPUTE_PGM_RSRC2:TGID_Y_EN: 0
; COMPUTE_PGM_RSRC2:TGID_Z_EN: 0
; COMPUTE_PGM_RSRC2:TIDIG_COMP_CNT: 0
	.section	.text._ZN7rocprim17ROCPRIM_400000_NS6detail17trampoline_kernelINS0_13select_configILj256ELj13ELNS0_17block_load_methodE3ELS4_3ELS4_3ELNS0_20block_scan_algorithmE0ELj4294967295EEENS1_25partition_config_selectorILNS1_17partition_subalgoE3EjNS0_10empty_typeEbEEZZNS1_14partition_implILS8_3ELb0ES6_jNS0_17counting_iteratorIjlEEPS9_SE_NS0_5tupleIJPjSE_EEENSF_IJSE_SE_EEES9_SG_JZNS1_25segmented_radix_sort_implINS0_14default_configELb1EPKfPfPKlPlN2at6native12_GLOBAL__N_18offset_tEEE10hipError_tPvRmT1_PNSt15iterator_traitsISY_E10value_typeET2_T3_PNSZ_IS14_E10value_typeET4_jRbjT5_S1A_jjP12ihipStream_tbEUljE_EEESV_SW_SX_S14_S18_S1A_T6_T7_T9_mT8_S1C_bDpT10_ENKUlT_T0_E_clISt17integral_constantIbLb1EES1O_IbLb0EEEEDaS1K_S1L_EUlS1K_E_NS1_11comp_targetILNS1_3genE2ELNS1_11target_archE906ELNS1_3gpuE6ELNS1_3repE0EEENS1_30default_config_static_selectorELNS0_4arch9wavefront6targetE1EEEvSY_,"axG",@progbits,_ZN7rocprim17ROCPRIM_400000_NS6detail17trampoline_kernelINS0_13select_configILj256ELj13ELNS0_17block_load_methodE3ELS4_3ELS4_3ELNS0_20block_scan_algorithmE0ELj4294967295EEENS1_25partition_config_selectorILNS1_17partition_subalgoE3EjNS0_10empty_typeEbEEZZNS1_14partition_implILS8_3ELb0ES6_jNS0_17counting_iteratorIjlEEPS9_SE_NS0_5tupleIJPjSE_EEENSF_IJSE_SE_EEES9_SG_JZNS1_25segmented_radix_sort_implINS0_14default_configELb1EPKfPfPKlPlN2at6native12_GLOBAL__N_18offset_tEEE10hipError_tPvRmT1_PNSt15iterator_traitsISY_E10value_typeET2_T3_PNSZ_IS14_E10value_typeET4_jRbjT5_S1A_jjP12ihipStream_tbEUljE_EEESV_SW_SX_S14_S18_S1A_T6_T7_T9_mT8_S1C_bDpT10_ENKUlT_T0_E_clISt17integral_constantIbLb1EES1O_IbLb0EEEEDaS1K_S1L_EUlS1K_E_NS1_11comp_targetILNS1_3genE2ELNS1_11target_archE906ELNS1_3gpuE6ELNS1_3repE0EEENS1_30default_config_static_selectorELNS0_4arch9wavefront6targetE1EEEvSY_,comdat
	.globl	_ZN7rocprim17ROCPRIM_400000_NS6detail17trampoline_kernelINS0_13select_configILj256ELj13ELNS0_17block_load_methodE3ELS4_3ELS4_3ELNS0_20block_scan_algorithmE0ELj4294967295EEENS1_25partition_config_selectorILNS1_17partition_subalgoE3EjNS0_10empty_typeEbEEZZNS1_14partition_implILS8_3ELb0ES6_jNS0_17counting_iteratorIjlEEPS9_SE_NS0_5tupleIJPjSE_EEENSF_IJSE_SE_EEES9_SG_JZNS1_25segmented_radix_sort_implINS0_14default_configELb1EPKfPfPKlPlN2at6native12_GLOBAL__N_18offset_tEEE10hipError_tPvRmT1_PNSt15iterator_traitsISY_E10value_typeET2_T3_PNSZ_IS14_E10value_typeET4_jRbjT5_S1A_jjP12ihipStream_tbEUljE_EEESV_SW_SX_S14_S18_S1A_T6_T7_T9_mT8_S1C_bDpT10_ENKUlT_T0_E_clISt17integral_constantIbLb1EES1O_IbLb0EEEEDaS1K_S1L_EUlS1K_E_NS1_11comp_targetILNS1_3genE2ELNS1_11target_archE906ELNS1_3gpuE6ELNS1_3repE0EEENS1_30default_config_static_selectorELNS0_4arch9wavefront6targetE1EEEvSY_ ; -- Begin function _ZN7rocprim17ROCPRIM_400000_NS6detail17trampoline_kernelINS0_13select_configILj256ELj13ELNS0_17block_load_methodE3ELS4_3ELS4_3ELNS0_20block_scan_algorithmE0ELj4294967295EEENS1_25partition_config_selectorILNS1_17partition_subalgoE3EjNS0_10empty_typeEbEEZZNS1_14partition_implILS8_3ELb0ES6_jNS0_17counting_iteratorIjlEEPS9_SE_NS0_5tupleIJPjSE_EEENSF_IJSE_SE_EEES9_SG_JZNS1_25segmented_radix_sort_implINS0_14default_configELb1EPKfPfPKlPlN2at6native12_GLOBAL__N_18offset_tEEE10hipError_tPvRmT1_PNSt15iterator_traitsISY_E10value_typeET2_T3_PNSZ_IS14_E10value_typeET4_jRbjT5_S1A_jjP12ihipStream_tbEUljE_EEESV_SW_SX_S14_S18_S1A_T6_T7_T9_mT8_S1C_bDpT10_ENKUlT_T0_E_clISt17integral_constantIbLb1EES1O_IbLb0EEEEDaS1K_S1L_EUlS1K_E_NS1_11comp_targetILNS1_3genE2ELNS1_11target_archE906ELNS1_3gpuE6ELNS1_3repE0EEENS1_30default_config_static_selectorELNS0_4arch9wavefront6targetE1EEEvSY_
	.p2align	8
	.type	_ZN7rocprim17ROCPRIM_400000_NS6detail17trampoline_kernelINS0_13select_configILj256ELj13ELNS0_17block_load_methodE3ELS4_3ELS4_3ELNS0_20block_scan_algorithmE0ELj4294967295EEENS1_25partition_config_selectorILNS1_17partition_subalgoE3EjNS0_10empty_typeEbEEZZNS1_14partition_implILS8_3ELb0ES6_jNS0_17counting_iteratorIjlEEPS9_SE_NS0_5tupleIJPjSE_EEENSF_IJSE_SE_EEES9_SG_JZNS1_25segmented_radix_sort_implINS0_14default_configELb1EPKfPfPKlPlN2at6native12_GLOBAL__N_18offset_tEEE10hipError_tPvRmT1_PNSt15iterator_traitsISY_E10value_typeET2_T3_PNSZ_IS14_E10value_typeET4_jRbjT5_S1A_jjP12ihipStream_tbEUljE_EEESV_SW_SX_S14_S18_S1A_T6_T7_T9_mT8_S1C_bDpT10_ENKUlT_T0_E_clISt17integral_constantIbLb1EES1O_IbLb0EEEEDaS1K_S1L_EUlS1K_E_NS1_11comp_targetILNS1_3genE2ELNS1_11target_archE906ELNS1_3gpuE6ELNS1_3repE0EEENS1_30default_config_static_selectorELNS0_4arch9wavefront6targetE1EEEvSY_,@function
_ZN7rocprim17ROCPRIM_400000_NS6detail17trampoline_kernelINS0_13select_configILj256ELj13ELNS0_17block_load_methodE3ELS4_3ELS4_3ELNS0_20block_scan_algorithmE0ELj4294967295EEENS1_25partition_config_selectorILNS1_17partition_subalgoE3EjNS0_10empty_typeEbEEZZNS1_14partition_implILS8_3ELb0ES6_jNS0_17counting_iteratorIjlEEPS9_SE_NS0_5tupleIJPjSE_EEENSF_IJSE_SE_EEES9_SG_JZNS1_25segmented_radix_sort_implINS0_14default_configELb1EPKfPfPKlPlN2at6native12_GLOBAL__N_18offset_tEEE10hipError_tPvRmT1_PNSt15iterator_traitsISY_E10value_typeET2_T3_PNSZ_IS14_E10value_typeET4_jRbjT5_S1A_jjP12ihipStream_tbEUljE_EEESV_SW_SX_S14_S18_S1A_T6_T7_T9_mT8_S1C_bDpT10_ENKUlT_T0_E_clISt17integral_constantIbLb1EES1O_IbLb0EEEEDaS1K_S1L_EUlS1K_E_NS1_11comp_targetILNS1_3genE2ELNS1_11target_archE906ELNS1_3gpuE6ELNS1_3repE0EEENS1_30default_config_static_selectorELNS0_4arch9wavefront6targetE1EEEvSY_: ; @_ZN7rocprim17ROCPRIM_400000_NS6detail17trampoline_kernelINS0_13select_configILj256ELj13ELNS0_17block_load_methodE3ELS4_3ELS4_3ELNS0_20block_scan_algorithmE0ELj4294967295EEENS1_25partition_config_selectorILNS1_17partition_subalgoE3EjNS0_10empty_typeEbEEZZNS1_14partition_implILS8_3ELb0ES6_jNS0_17counting_iteratorIjlEEPS9_SE_NS0_5tupleIJPjSE_EEENSF_IJSE_SE_EEES9_SG_JZNS1_25segmented_radix_sort_implINS0_14default_configELb1EPKfPfPKlPlN2at6native12_GLOBAL__N_18offset_tEEE10hipError_tPvRmT1_PNSt15iterator_traitsISY_E10value_typeET2_T3_PNSZ_IS14_E10value_typeET4_jRbjT5_S1A_jjP12ihipStream_tbEUljE_EEESV_SW_SX_S14_S18_S1A_T6_T7_T9_mT8_S1C_bDpT10_ENKUlT_T0_E_clISt17integral_constantIbLb1EES1O_IbLb0EEEEDaS1K_S1L_EUlS1K_E_NS1_11comp_targetILNS1_3genE2ELNS1_11target_archE906ELNS1_3gpuE6ELNS1_3repE0EEENS1_30default_config_static_selectorELNS0_4arch9wavefront6targetE1EEEvSY_
; %bb.0:
	s_endpgm
	.section	.rodata,"a",@progbits
	.p2align	6, 0x0
	.amdhsa_kernel _ZN7rocprim17ROCPRIM_400000_NS6detail17trampoline_kernelINS0_13select_configILj256ELj13ELNS0_17block_load_methodE3ELS4_3ELS4_3ELNS0_20block_scan_algorithmE0ELj4294967295EEENS1_25partition_config_selectorILNS1_17partition_subalgoE3EjNS0_10empty_typeEbEEZZNS1_14partition_implILS8_3ELb0ES6_jNS0_17counting_iteratorIjlEEPS9_SE_NS0_5tupleIJPjSE_EEENSF_IJSE_SE_EEES9_SG_JZNS1_25segmented_radix_sort_implINS0_14default_configELb1EPKfPfPKlPlN2at6native12_GLOBAL__N_18offset_tEEE10hipError_tPvRmT1_PNSt15iterator_traitsISY_E10value_typeET2_T3_PNSZ_IS14_E10value_typeET4_jRbjT5_S1A_jjP12ihipStream_tbEUljE_EEESV_SW_SX_S14_S18_S1A_T6_T7_T9_mT8_S1C_bDpT10_ENKUlT_T0_E_clISt17integral_constantIbLb1EES1O_IbLb0EEEEDaS1K_S1L_EUlS1K_E_NS1_11comp_targetILNS1_3genE2ELNS1_11target_archE906ELNS1_3gpuE6ELNS1_3repE0EEENS1_30default_config_static_selectorELNS0_4arch9wavefront6targetE1EEEvSY_
		.amdhsa_group_segment_fixed_size 0
		.amdhsa_private_segment_fixed_size 0
		.amdhsa_kernarg_size 144
		.amdhsa_user_sgpr_count 6
		.amdhsa_user_sgpr_private_segment_buffer 1
		.amdhsa_user_sgpr_dispatch_ptr 0
		.amdhsa_user_sgpr_queue_ptr 0
		.amdhsa_user_sgpr_kernarg_segment_ptr 1
		.amdhsa_user_sgpr_dispatch_id 0
		.amdhsa_user_sgpr_flat_scratch_init 0
		.amdhsa_user_sgpr_private_segment_size 0
		.amdhsa_uses_dynamic_stack 0
		.amdhsa_system_sgpr_private_segment_wavefront_offset 0
		.amdhsa_system_sgpr_workgroup_id_x 1
		.amdhsa_system_sgpr_workgroup_id_y 0
		.amdhsa_system_sgpr_workgroup_id_z 0
		.amdhsa_system_sgpr_workgroup_info 0
		.amdhsa_system_vgpr_workitem_id 0
		.amdhsa_next_free_vgpr 1
		.amdhsa_next_free_sgpr 0
		.amdhsa_reserve_vcc 0
		.amdhsa_reserve_flat_scratch 0
		.amdhsa_float_round_mode_32 0
		.amdhsa_float_round_mode_16_64 0
		.amdhsa_float_denorm_mode_32 3
		.amdhsa_float_denorm_mode_16_64 3
		.amdhsa_dx10_clamp 1
		.amdhsa_ieee_mode 1
		.amdhsa_fp16_overflow 0
		.amdhsa_exception_fp_ieee_invalid_op 0
		.amdhsa_exception_fp_denorm_src 0
		.amdhsa_exception_fp_ieee_div_zero 0
		.amdhsa_exception_fp_ieee_overflow 0
		.amdhsa_exception_fp_ieee_underflow 0
		.amdhsa_exception_fp_ieee_inexact 0
		.amdhsa_exception_int_div_zero 0
	.end_amdhsa_kernel
	.section	.text._ZN7rocprim17ROCPRIM_400000_NS6detail17trampoline_kernelINS0_13select_configILj256ELj13ELNS0_17block_load_methodE3ELS4_3ELS4_3ELNS0_20block_scan_algorithmE0ELj4294967295EEENS1_25partition_config_selectorILNS1_17partition_subalgoE3EjNS0_10empty_typeEbEEZZNS1_14partition_implILS8_3ELb0ES6_jNS0_17counting_iteratorIjlEEPS9_SE_NS0_5tupleIJPjSE_EEENSF_IJSE_SE_EEES9_SG_JZNS1_25segmented_radix_sort_implINS0_14default_configELb1EPKfPfPKlPlN2at6native12_GLOBAL__N_18offset_tEEE10hipError_tPvRmT1_PNSt15iterator_traitsISY_E10value_typeET2_T3_PNSZ_IS14_E10value_typeET4_jRbjT5_S1A_jjP12ihipStream_tbEUljE_EEESV_SW_SX_S14_S18_S1A_T6_T7_T9_mT8_S1C_bDpT10_ENKUlT_T0_E_clISt17integral_constantIbLb1EES1O_IbLb0EEEEDaS1K_S1L_EUlS1K_E_NS1_11comp_targetILNS1_3genE2ELNS1_11target_archE906ELNS1_3gpuE6ELNS1_3repE0EEENS1_30default_config_static_selectorELNS0_4arch9wavefront6targetE1EEEvSY_,"axG",@progbits,_ZN7rocprim17ROCPRIM_400000_NS6detail17trampoline_kernelINS0_13select_configILj256ELj13ELNS0_17block_load_methodE3ELS4_3ELS4_3ELNS0_20block_scan_algorithmE0ELj4294967295EEENS1_25partition_config_selectorILNS1_17partition_subalgoE3EjNS0_10empty_typeEbEEZZNS1_14partition_implILS8_3ELb0ES6_jNS0_17counting_iteratorIjlEEPS9_SE_NS0_5tupleIJPjSE_EEENSF_IJSE_SE_EEES9_SG_JZNS1_25segmented_radix_sort_implINS0_14default_configELb1EPKfPfPKlPlN2at6native12_GLOBAL__N_18offset_tEEE10hipError_tPvRmT1_PNSt15iterator_traitsISY_E10value_typeET2_T3_PNSZ_IS14_E10value_typeET4_jRbjT5_S1A_jjP12ihipStream_tbEUljE_EEESV_SW_SX_S14_S18_S1A_T6_T7_T9_mT8_S1C_bDpT10_ENKUlT_T0_E_clISt17integral_constantIbLb1EES1O_IbLb0EEEEDaS1K_S1L_EUlS1K_E_NS1_11comp_targetILNS1_3genE2ELNS1_11target_archE906ELNS1_3gpuE6ELNS1_3repE0EEENS1_30default_config_static_selectorELNS0_4arch9wavefront6targetE1EEEvSY_,comdat
.Lfunc_end1313:
	.size	_ZN7rocprim17ROCPRIM_400000_NS6detail17trampoline_kernelINS0_13select_configILj256ELj13ELNS0_17block_load_methodE3ELS4_3ELS4_3ELNS0_20block_scan_algorithmE0ELj4294967295EEENS1_25partition_config_selectorILNS1_17partition_subalgoE3EjNS0_10empty_typeEbEEZZNS1_14partition_implILS8_3ELb0ES6_jNS0_17counting_iteratorIjlEEPS9_SE_NS0_5tupleIJPjSE_EEENSF_IJSE_SE_EEES9_SG_JZNS1_25segmented_radix_sort_implINS0_14default_configELb1EPKfPfPKlPlN2at6native12_GLOBAL__N_18offset_tEEE10hipError_tPvRmT1_PNSt15iterator_traitsISY_E10value_typeET2_T3_PNSZ_IS14_E10value_typeET4_jRbjT5_S1A_jjP12ihipStream_tbEUljE_EEESV_SW_SX_S14_S18_S1A_T6_T7_T9_mT8_S1C_bDpT10_ENKUlT_T0_E_clISt17integral_constantIbLb1EES1O_IbLb0EEEEDaS1K_S1L_EUlS1K_E_NS1_11comp_targetILNS1_3genE2ELNS1_11target_archE906ELNS1_3gpuE6ELNS1_3repE0EEENS1_30default_config_static_selectorELNS0_4arch9wavefront6targetE1EEEvSY_, .Lfunc_end1313-_ZN7rocprim17ROCPRIM_400000_NS6detail17trampoline_kernelINS0_13select_configILj256ELj13ELNS0_17block_load_methodE3ELS4_3ELS4_3ELNS0_20block_scan_algorithmE0ELj4294967295EEENS1_25partition_config_selectorILNS1_17partition_subalgoE3EjNS0_10empty_typeEbEEZZNS1_14partition_implILS8_3ELb0ES6_jNS0_17counting_iteratorIjlEEPS9_SE_NS0_5tupleIJPjSE_EEENSF_IJSE_SE_EEES9_SG_JZNS1_25segmented_radix_sort_implINS0_14default_configELb1EPKfPfPKlPlN2at6native12_GLOBAL__N_18offset_tEEE10hipError_tPvRmT1_PNSt15iterator_traitsISY_E10value_typeET2_T3_PNSZ_IS14_E10value_typeET4_jRbjT5_S1A_jjP12ihipStream_tbEUljE_EEESV_SW_SX_S14_S18_S1A_T6_T7_T9_mT8_S1C_bDpT10_ENKUlT_T0_E_clISt17integral_constantIbLb1EES1O_IbLb0EEEEDaS1K_S1L_EUlS1K_E_NS1_11comp_targetILNS1_3genE2ELNS1_11target_archE906ELNS1_3gpuE6ELNS1_3repE0EEENS1_30default_config_static_selectorELNS0_4arch9wavefront6targetE1EEEvSY_
                                        ; -- End function
	.set _ZN7rocprim17ROCPRIM_400000_NS6detail17trampoline_kernelINS0_13select_configILj256ELj13ELNS0_17block_load_methodE3ELS4_3ELS4_3ELNS0_20block_scan_algorithmE0ELj4294967295EEENS1_25partition_config_selectorILNS1_17partition_subalgoE3EjNS0_10empty_typeEbEEZZNS1_14partition_implILS8_3ELb0ES6_jNS0_17counting_iteratorIjlEEPS9_SE_NS0_5tupleIJPjSE_EEENSF_IJSE_SE_EEES9_SG_JZNS1_25segmented_radix_sort_implINS0_14default_configELb1EPKfPfPKlPlN2at6native12_GLOBAL__N_18offset_tEEE10hipError_tPvRmT1_PNSt15iterator_traitsISY_E10value_typeET2_T3_PNSZ_IS14_E10value_typeET4_jRbjT5_S1A_jjP12ihipStream_tbEUljE_EEESV_SW_SX_S14_S18_S1A_T6_T7_T9_mT8_S1C_bDpT10_ENKUlT_T0_E_clISt17integral_constantIbLb1EES1O_IbLb0EEEEDaS1K_S1L_EUlS1K_E_NS1_11comp_targetILNS1_3genE2ELNS1_11target_archE906ELNS1_3gpuE6ELNS1_3repE0EEENS1_30default_config_static_selectorELNS0_4arch9wavefront6targetE1EEEvSY_.num_vgpr, 0
	.set _ZN7rocprim17ROCPRIM_400000_NS6detail17trampoline_kernelINS0_13select_configILj256ELj13ELNS0_17block_load_methodE3ELS4_3ELS4_3ELNS0_20block_scan_algorithmE0ELj4294967295EEENS1_25partition_config_selectorILNS1_17partition_subalgoE3EjNS0_10empty_typeEbEEZZNS1_14partition_implILS8_3ELb0ES6_jNS0_17counting_iteratorIjlEEPS9_SE_NS0_5tupleIJPjSE_EEENSF_IJSE_SE_EEES9_SG_JZNS1_25segmented_radix_sort_implINS0_14default_configELb1EPKfPfPKlPlN2at6native12_GLOBAL__N_18offset_tEEE10hipError_tPvRmT1_PNSt15iterator_traitsISY_E10value_typeET2_T3_PNSZ_IS14_E10value_typeET4_jRbjT5_S1A_jjP12ihipStream_tbEUljE_EEESV_SW_SX_S14_S18_S1A_T6_T7_T9_mT8_S1C_bDpT10_ENKUlT_T0_E_clISt17integral_constantIbLb1EES1O_IbLb0EEEEDaS1K_S1L_EUlS1K_E_NS1_11comp_targetILNS1_3genE2ELNS1_11target_archE906ELNS1_3gpuE6ELNS1_3repE0EEENS1_30default_config_static_selectorELNS0_4arch9wavefront6targetE1EEEvSY_.num_agpr, 0
	.set _ZN7rocprim17ROCPRIM_400000_NS6detail17trampoline_kernelINS0_13select_configILj256ELj13ELNS0_17block_load_methodE3ELS4_3ELS4_3ELNS0_20block_scan_algorithmE0ELj4294967295EEENS1_25partition_config_selectorILNS1_17partition_subalgoE3EjNS0_10empty_typeEbEEZZNS1_14partition_implILS8_3ELb0ES6_jNS0_17counting_iteratorIjlEEPS9_SE_NS0_5tupleIJPjSE_EEENSF_IJSE_SE_EEES9_SG_JZNS1_25segmented_radix_sort_implINS0_14default_configELb1EPKfPfPKlPlN2at6native12_GLOBAL__N_18offset_tEEE10hipError_tPvRmT1_PNSt15iterator_traitsISY_E10value_typeET2_T3_PNSZ_IS14_E10value_typeET4_jRbjT5_S1A_jjP12ihipStream_tbEUljE_EEESV_SW_SX_S14_S18_S1A_T6_T7_T9_mT8_S1C_bDpT10_ENKUlT_T0_E_clISt17integral_constantIbLb1EES1O_IbLb0EEEEDaS1K_S1L_EUlS1K_E_NS1_11comp_targetILNS1_3genE2ELNS1_11target_archE906ELNS1_3gpuE6ELNS1_3repE0EEENS1_30default_config_static_selectorELNS0_4arch9wavefront6targetE1EEEvSY_.numbered_sgpr, 0
	.set _ZN7rocprim17ROCPRIM_400000_NS6detail17trampoline_kernelINS0_13select_configILj256ELj13ELNS0_17block_load_methodE3ELS4_3ELS4_3ELNS0_20block_scan_algorithmE0ELj4294967295EEENS1_25partition_config_selectorILNS1_17partition_subalgoE3EjNS0_10empty_typeEbEEZZNS1_14partition_implILS8_3ELb0ES6_jNS0_17counting_iteratorIjlEEPS9_SE_NS0_5tupleIJPjSE_EEENSF_IJSE_SE_EEES9_SG_JZNS1_25segmented_radix_sort_implINS0_14default_configELb1EPKfPfPKlPlN2at6native12_GLOBAL__N_18offset_tEEE10hipError_tPvRmT1_PNSt15iterator_traitsISY_E10value_typeET2_T3_PNSZ_IS14_E10value_typeET4_jRbjT5_S1A_jjP12ihipStream_tbEUljE_EEESV_SW_SX_S14_S18_S1A_T6_T7_T9_mT8_S1C_bDpT10_ENKUlT_T0_E_clISt17integral_constantIbLb1EES1O_IbLb0EEEEDaS1K_S1L_EUlS1K_E_NS1_11comp_targetILNS1_3genE2ELNS1_11target_archE906ELNS1_3gpuE6ELNS1_3repE0EEENS1_30default_config_static_selectorELNS0_4arch9wavefront6targetE1EEEvSY_.num_named_barrier, 0
	.set _ZN7rocprim17ROCPRIM_400000_NS6detail17trampoline_kernelINS0_13select_configILj256ELj13ELNS0_17block_load_methodE3ELS4_3ELS4_3ELNS0_20block_scan_algorithmE0ELj4294967295EEENS1_25partition_config_selectorILNS1_17partition_subalgoE3EjNS0_10empty_typeEbEEZZNS1_14partition_implILS8_3ELb0ES6_jNS0_17counting_iteratorIjlEEPS9_SE_NS0_5tupleIJPjSE_EEENSF_IJSE_SE_EEES9_SG_JZNS1_25segmented_radix_sort_implINS0_14default_configELb1EPKfPfPKlPlN2at6native12_GLOBAL__N_18offset_tEEE10hipError_tPvRmT1_PNSt15iterator_traitsISY_E10value_typeET2_T3_PNSZ_IS14_E10value_typeET4_jRbjT5_S1A_jjP12ihipStream_tbEUljE_EEESV_SW_SX_S14_S18_S1A_T6_T7_T9_mT8_S1C_bDpT10_ENKUlT_T0_E_clISt17integral_constantIbLb1EES1O_IbLb0EEEEDaS1K_S1L_EUlS1K_E_NS1_11comp_targetILNS1_3genE2ELNS1_11target_archE906ELNS1_3gpuE6ELNS1_3repE0EEENS1_30default_config_static_selectorELNS0_4arch9wavefront6targetE1EEEvSY_.private_seg_size, 0
	.set _ZN7rocprim17ROCPRIM_400000_NS6detail17trampoline_kernelINS0_13select_configILj256ELj13ELNS0_17block_load_methodE3ELS4_3ELS4_3ELNS0_20block_scan_algorithmE0ELj4294967295EEENS1_25partition_config_selectorILNS1_17partition_subalgoE3EjNS0_10empty_typeEbEEZZNS1_14partition_implILS8_3ELb0ES6_jNS0_17counting_iteratorIjlEEPS9_SE_NS0_5tupleIJPjSE_EEENSF_IJSE_SE_EEES9_SG_JZNS1_25segmented_radix_sort_implINS0_14default_configELb1EPKfPfPKlPlN2at6native12_GLOBAL__N_18offset_tEEE10hipError_tPvRmT1_PNSt15iterator_traitsISY_E10value_typeET2_T3_PNSZ_IS14_E10value_typeET4_jRbjT5_S1A_jjP12ihipStream_tbEUljE_EEESV_SW_SX_S14_S18_S1A_T6_T7_T9_mT8_S1C_bDpT10_ENKUlT_T0_E_clISt17integral_constantIbLb1EES1O_IbLb0EEEEDaS1K_S1L_EUlS1K_E_NS1_11comp_targetILNS1_3genE2ELNS1_11target_archE906ELNS1_3gpuE6ELNS1_3repE0EEENS1_30default_config_static_selectorELNS0_4arch9wavefront6targetE1EEEvSY_.uses_vcc, 0
	.set _ZN7rocprim17ROCPRIM_400000_NS6detail17trampoline_kernelINS0_13select_configILj256ELj13ELNS0_17block_load_methodE3ELS4_3ELS4_3ELNS0_20block_scan_algorithmE0ELj4294967295EEENS1_25partition_config_selectorILNS1_17partition_subalgoE3EjNS0_10empty_typeEbEEZZNS1_14partition_implILS8_3ELb0ES6_jNS0_17counting_iteratorIjlEEPS9_SE_NS0_5tupleIJPjSE_EEENSF_IJSE_SE_EEES9_SG_JZNS1_25segmented_radix_sort_implINS0_14default_configELb1EPKfPfPKlPlN2at6native12_GLOBAL__N_18offset_tEEE10hipError_tPvRmT1_PNSt15iterator_traitsISY_E10value_typeET2_T3_PNSZ_IS14_E10value_typeET4_jRbjT5_S1A_jjP12ihipStream_tbEUljE_EEESV_SW_SX_S14_S18_S1A_T6_T7_T9_mT8_S1C_bDpT10_ENKUlT_T0_E_clISt17integral_constantIbLb1EES1O_IbLb0EEEEDaS1K_S1L_EUlS1K_E_NS1_11comp_targetILNS1_3genE2ELNS1_11target_archE906ELNS1_3gpuE6ELNS1_3repE0EEENS1_30default_config_static_selectorELNS0_4arch9wavefront6targetE1EEEvSY_.uses_flat_scratch, 0
	.set _ZN7rocprim17ROCPRIM_400000_NS6detail17trampoline_kernelINS0_13select_configILj256ELj13ELNS0_17block_load_methodE3ELS4_3ELS4_3ELNS0_20block_scan_algorithmE0ELj4294967295EEENS1_25partition_config_selectorILNS1_17partition_subalgoE3EjNS0_10empty_typeEbEEZZNS1_14partition_implILS8_3ELb0ES6_jNS0_17counting_iteratorIjlEEPS9_SE_NS0_5tupleIJPjSE_EEENSF_IJSE_SE_EEES9_SG_JZNS1_25segmented_radix_sort_implINS0_14default_configELb1EPKfPfPKlPlN2at6native12_GLOBAL__N_18offset_tEEE10hipError_tPvRmT1_PNSt15iterator_traitsISY_E10value_typeET2_T3_PNSZ_IS14_E10value_typeET4_jRbjT5_S1A_jjP12ihipStream_tbEUljE_EEESV_SW_SX_S14_S18_S1A_T6_T7_T9_mT8_S1C_bDpT10_ENKUlT_T0_E_clISt17integral_constantIbLb1EES1O_IbLb0EEEEDaS1K_S1L_EUlS1K_E_NS1_11comp_targetILNS1_3genE2ELNS1_11target_archE906ELNS1_3gpuE6ELNS1_3repE0EEENS1_30default_config_static_selectorELNS0_4arch9wavefront6targetE1EEEvSY_.has_dyn_sized_stack, 0
	.set _ZN7rocprim17ROCPRIM_400000_NS6detail17trampoline_kernelINS0_13select_configILj256ELj13ELNS0_17block_load_methodE3ELS4_3ELS4_3ELNS0_20block_scan_algorithmE0ELj4294967295EEENS1_25partition_config_selectorILNS1_17partition_subalgoE3EjNS0_10empty_typeEbEEZZNS1_14partition_implILS8_3ELb0ES6_jNS0_17counting_iteratorIjlEEPS9_SE_NS0_5tupleIJPjSE_EEENSF_IJSE_SE_EEES9_SG_JZNS1_25segmented_radix_sort_implINS0_14default_configELb1EPKfPfPKlPlN2at6native12_GLOBAL__N_18offset_tEEE10hipError_tPvRmT1_PNSt15iterator_traitsISY_E10value_typeET2_T3_PNSZ_IS14_E10value_typeET4_jRbjT5_S1A_jjP12ihipStream_tbEUljE_EEESV_SW_SX_S14_S18_S1A_T6_T7_T9_mT8_S1C_bDpT10_ENKUlT_T0_E_clISt17integral_constantIbLb1EES1O_IbLb0EEEEDaS1K_S1L_EUlS1K_E_NS1_11comp_targetILNS1_3genE2ELNS1_11target_archE906ELNS1_3gpuE6ELNS1_3repE0EEENS1_30default_config_static_selectorELNS0_4arch9wavefront6targetE1EEEvSY_.has_recursion, 0
	.set _ZN7rocprim17ROCPRIM_400000_NS6detail17trampoline_kernelINS0_13select_configILj256ELj13ELNS0_17block_load_methodE3ELS4_3ELS4_3ELNS0_20block_scan_algorithmE0ELj4294967295EEENS1_25partition_config_selectorILNS1_17partition_subalgoE3EjNS0_10empty_typeEbEEZZNS1_14partition_implILS8_3ELb0ES6_jNS0_17counting_iteratorIjlEEPS9_SE_NS0_5tupleIJPjSE_EEENSF_IJSE_SE_EEES9_SG_JZNS1_25segmented_radix_sort_implINS0_14default_configELb1EPKfPfPKlPlN2at6native12_GLOBAL__N_18offset_tEEE10hipError_tPvRmT1_PNSt15iterator_traitsISY_E10value_typeET2_T3_PNSZ_IS14_E10value_typeET4_jRbjT5_S1A_jjP12ihipStream_tbEUljE_EEESV_SW_SX_S14_S18_S1A_T6_T7_T9_mT8_S1C_bDpT10_ENKUlT_T0_E_clISt17integral_constantIbLb1EES1O_IbLb0EEEEDaS1K_S1L_EUlS1K_E_NS1_11comp_targetILNS1_3genE2ELNS1_11target_archE906ELNS1_3gpuE6ELNS1_3repE0EEENS1_30default_config_static_selectorELNS0_4arch9wavefront6targetE1EEEvSY_.has_indirect_call, 0
	.section	.AMDGPU.csdata,"",@progbits
; Kernel info:
; codeLenInByte = 4
; TotalNumSgprs: 4
; NumVgprs: 0
; ScratchSize: 0
; MemoryBound: 0
; FloatMode: 240
; IeeeMode: 1
; LDSByteSize: 0 bytes/workgroup (compile time only)
; SGPRBlocks: 0
; VGPRBlocks: 0
; NumSGPRsForWavesPerEU: 4
; NumVGPRsForWavesPerEU: 1
; Occupancy: 10
; WaveLimiterHint : 0
; COMPUTE_PGM_RSRC2:SCRATCH_EN: 0
; COMPUTE_PGM_RSRC2:USER_SGPR: 6
; COMPUTE_PGM_RSRC2:TRAP_HANDLER: 0
; COMPUTE_PGM_RSRC2:TGID_X_EN: 1
; COMPUTE_PGM_RSRC2:TGID_Y_EN: 0
; COMPUTE_PGM_RSRC2:TGID_Z_EN: 0
; COMPUTE_PGM_RSRC2:TIDIG_COMP_CNT: 0
	.section	.text._ZN7rocprim17ROCPRIM_400000_NS6detail17trampoline_kernelINS0_13select_configILj256ELj13ELNS0_17block_load_methodE3ELS4_3ELS4_3ELNS0_20block_scan_algorithmE0ELj4294967295EEENS1_25partition_config_selectorILNS1_17partition_subalgoE3EjNS0_10empty_typeEbEEZZNS1_14partition_implILS8_3ELb0ES6_jNS0_17counting_iteratorIjlEEPS9_SE_NS0_5tupleIJPjSE_EEENSF_IJSE_SE_EEES9_SG_JZNS1_25segmented_radix_sort_implINS0_14default_configELb1EPKfPfPKlPlN2at6native12_GLOBAL__N_18offset_tEEE10hipError_tPvRmT1_PNSt15iterator_traitsISY_E10value_typeET2_T3_PNSZ_IS14_E10value_typeET4_jRbjT5_S1A_jjP12ihipStream_tbEUljE_EEESV_SW_SX_S14_S18_S1A_T6_T7_T9_mT8_S1C_bDpT10_ENKUlT_T0_E_clISt17integral_constantIbLb1EES1O_IbLb0EEEEDaS1K_S1L_EUlS1K_E_NS1_11comp_targetILNS1_3genE10ELNS1_11target_archE1200ELNS1_3gpuE4ELNS1_3repE0EEENS1_30default_config_static_selectorELNS0_4arch9wavefront6targetE1EEEvSY_,"axG",@progbits,_ZN7rocprim17ROCPRIM_400000_NS6detail17trampoline_kernelINS0_13select_configILj256ELj13ELNS0_17block_load_methodE3ELS4_3ELS4_3ELNS0_20block_scan_algorithmE0ELj4294967295EEENS1_25partition_config_selectorILNS1_17partition_subalgoE3EjNS0_10empty_typeEbEEZZNS1_14partition_implILS8_3ELb0ES6_jNS0_17counting_iteratorIjlEEPS9_SE_NS0_5tupleIJPjSE_EEENSF_IJSE_SE_EEES9_SG_JZNS1_25segmented_radix_sort_implINS0_14default_configELb1EPKfPfPKlPlN2at6native12_GLOBAL__N_18offset_tEEE10hipError_tPvRmT1_PNSt15iterator_traitsISY_E10value_typeET2_T3_PNSZ_IS14_E10value_typeET4_jRbjT5_S1A_jjP12ihipStream_tbEUljE_EEESV_SW_SX_S14_S18_S1A_T6_T7_T9_mT8_S1C_bDpT10_ENKUlT_T0_E_clISt17integral_constantIbLb1EES1O_IbLb0EEEEDaS1K_S1L_EUlS1K_E_NS1_11comp_targetILNS1_3genE10ELNS1_11target_archE1200ELNS1_3gpuE4ELNS1_3repE0EEENS1_30default_config_static_selectorELNS0_4arch9wavefront6targetE1EEEvSY_,comdat
	.globl	_ZN7rocprim17ROCPRIM_400000_NS6detail17trampoline_kernelINS0_13select_configILj256ELj13ELNS0_17block_load_methodE3ELS4_3ELS4_3ELNS0_20block_scan_algorithmE0ELj4294967295EEENS1_25partition_config_selectorILNS1_17partition_subalgoE3EjNS0_10empty_typeEbEEZZNS1_14partition_implILS8_3ELb0ES6_jNS0_17counting_iteratorIjlEEPS9_SE_NS0_5tupleIJPjSE_EEENSF_IJSE_SE_EEES9_SG_JZNS1_25segmented_radix_sort_implINS0_14default_configELb1EPKfPfPKlPlN2at6native12_GLOBAL__N_18offset_tEEE10hipError_tPvRmT1_PNSt15iterator_traitsISY_E10value_typeET2_T3_PNSZ_IS14_E10value_typeET4_jRbjT5_S1A_jjP12ihipStream_tbEUljE_EEESV_SW_SX_S14_S18_S1A_T6_T7_T9_mT8_S1C_bDpT10_ENKUlT_T0_E_clISt17integral_constantIbLb1EES1O_IbLb0EEEEDaS1K_S1L_EUlS1K_E_NS1_11comp_targetILNS1_3genE10ELNS1_11target_archE1200ELNS1_3gpuE4ELNS1_3repE0EEENS1_30default_config_static_selectorELNS0_4arch9wavefront6targetE1EEEvSY_ ; -- Begin function _ZN7rocprim17ROCPRIM_400000_NS6detail17trampoline_kernelINS0_13select_configILj256ELj13ELNS0_17block_load_methodE3ELS4_3ELS4_3ELNS0_20block_scan_algorithmE0ELj4294967295EEENS1_25partition_config_selectorILNS1_17partition_subalgoE3EjNS0_10empty_typeEbEEZZNS1_14partition_implILS8_3ELb0ES6_jNS0_17counting_iteratorIjlEEPS9_SE_NS0_5tupleIJPjSE_EEENSF_IJSE_SE_EEES9_SG_JZNS1_25segmented_radix_sort_implINS0_14default_configELb1EPKfPfPKlPlN2at6native12_GLOBAL__N_18offset_tEEE10hipError_tPvRmT1_PNSt15iterator_traitsISY_E10value_typeET2_T3_PNSZ_IS14_E10value_typeET4_jRbjT5_S1A_jjP12ihipStream_tbEUljE_EEESV_SW_SX_S14_S18_S1A_T6_T7_T9_mT8_S1C_bDpT10_ENKUlT_T0_E_clISt17integral_constantIbLb1EES1O_IbLb0EEEEDaS1K_S1L_EUlS1K_E_NS1_11comp_targetILNS1_3genE10ELNS1_11target_archE1200ELNS1_3gpuE4ELNS1_3repE0EEENS1_30default_config_static_selectorELNS0_4arch9wavefront6targetE1EEEvSY_
	.p2align	8
	.type	_ZN7rocprim17ROCPRIM_400000_NS6detail17trampoline_kernelINS0_13select_configILj256ELj13ELNS0_17block_load_methodE3ELS4_3ELS4_3ELNS0_20block_scan_algorithmE0ELj4294967295EEENS1_25partition_config_selectorILNS1_17partition_subalgoE3EjNS0_10empty_typeEbEEZZNS1_14partition_implILS8_3ELb0ES6_jNS0_17counting_iteratorIjlEEPS9_SE_NS0_5tupleIJPjSE_EEENSF_IJSE_SE_EEES9_SG_JZNS1_25segmented_radix_sort_implINS0_14default_configELb1EPKfPfPKlPlN2at6native12_GLOBAL__N_18offset_tEEE10hipError_tPvRmT1_PNSt15iterator_traitsISY_E10value_typeET2_T3_PNSZ_IS14_E10value_typeET4_jRbjT5_S1A_jjP12ihipStream_tbEUljE_EEESV_SW_SX_S14_S18_S1A_T6_T7_T9_mT8_S1C_bDpT10_ENKUlT_T0_E_clISt17integral_constantIbLb1EES1O_IbLb0EEEEDaS1K_S1L_EUlS1K_E_NS1_11comp_targetILNS1_3genE10ELNS1_11target_archE1200ELNS1_3gpuE4ELNS1_3repE0EEENS1_30default_config_static_selectorELNS0_4arch9wavefront6targetE1EEEvSY_,@function
_ZN7rocprim17ROCPRIM_400000_NS6detail17trampoline_kernelINS0_13select_configILj256ELj13ELNS0_17block_load_methodE3ELS4_3ELS4_3ELNS0_20block_scan_algorithmE0ELj4294967295EEENS1_25partition_config_selectorILNS1_17partition_subalgoE3EjNS0_10empty_typeEbEEZZNS1_14partition_implILS8_3ELb0ES6_jNS0_17counting_iteratorIjlEEPS9_SE_NS0_5tupleIJPjSE_EEENSF_IJSE_SE_EEES9_SG_JZNS1_25segmented_radix_sort_implINS0_14default_configELb1EPKfPfPKlPlN2at6native12_GLOBAL__N_18offset_tEEE10hipError_tPvRmT1_PNSt15iterator_traitsISY_E10value_typeET2_T3_PNSZ_IS14_E10value_typeET4_jRbjT5_S1A_jjP12ihipStream_tbEUljE_EEESV_SW_SX_S14_S18_S1A_T6_T7_T9_mT8_S1C_bDpT10_ENKUlT_T0_E_clISt17integral_constantIbLb1EES1O_IbLb0EEEEDaS1K_S1L_EUlS1K_E_NS1_11comp_targetILNS1_3genE10ELNS1_11target_archE1200ELNS1_3gpuE4ELNS1_3repE0EEENS1_30default_config_static_selectorELNS0_4arch9wavefront6targetE1EEEvSY_: ; @_ZN7rocprim17ROCPRIM_400000_NS6detail17trampoline_kernelINS0_13select_configILj256ELj13ELNS0_17block_load_methodE3ELS4_3ELS4_3ELNS0_20block_scan_algorithmE0ELj4294967295EEENS1_25partition_config_selectorILNS1_17partition_subalgoE3EjNS0_10empty_typeEbEEZZNS1_14partition_implILS8_3ELb0ES6_jNS0_17counting_iteratorIjlEEPS9_SE_NS0_5tupleIJPjSE_EEENSF_IJSE_SE_EEES9_SG_JZNS1_25segmented_radix_sort_implINS0_14default_configELb1EPKfPfPKlPlN2at6native12_GLOBAL__N_18offset_tEEE10hipError_tPvRmT1_PNSt15iterator_traitsISY_E10value_typeET2_T3_PNSZ_IS14_E10value_typeET4_jRbjT5_S1A_jjP12ihipStream_tbEUljE_EEESV_SW_SX_S14_S18_S1A_T6_T7_T9_mT8_S1C_bDpT10_ENKUlT_T0_E_clISt17integral_constantIbLb1EES1O_IbLb0EEEEDaS1K_S1L_EUlS1K_E_NS1_11comp_targetILNS1_3genE10ELNS1_11target_archE1200ELNS1_3gpuE4ELNS1_3repE0EEENS1_30default_config_static_selectorELNS0_4arch9wavefront6targetE1EEEvSY_
; %bb.0:
	.section	.rodata,"a",@progbits
	.p2align	6, 0x0
	.amdhsa_kernel _ZN7rocprim17ROCPRIM_400000_NS6detail17trampoline_kernelINS0_13select_configILj256ELj13ELNS0_17block_load_methodE3ELS4_3ELS4_3ELNS0_20block_scan_algorithmE0ELj4294967295EEENS1_25partition_config_selectorILNS1_17partition_subalgoE3EjNS0_10empty_typeEbEEZZNS1_14partition_implILS8_3ELb0ES6_jNS0_17counting_iteratorIjlEEPS9_SE_NS0_5tupleIJPjSE_EEENSF_IJSE_SE_EEES9_SG_JZNS1_25segmented_radix_sort_implINS0_14default_configELb1EPKfPfPKlPlN2at6native12_GLOBAL__N_18offset_tEEE10hipError_tPvRmT1_PNSt15iterator_traitsISY_E10value_typeET2_T3_PNSZ_IS14_E10value_typeET4_jRbjT5_S1A_jjP12ihipStream_tbEUljE_EEESV_SW_SX_S14_S18_S1A_T6_T7_T9_mT8_S1C_bDpT10_ENKUlT_T0_E_clISt17integral_constantIbLb1EES1O_IbLb0EEEEDaS1K_S1L_EUlS1K_E_NS1_11comp_targetILNS1_3genE10ELNS1_11target_archE1200ELNS1_3gpuE4ELNS1_3repE0EEENS1_30default_config_static_selectorELNS0_4arch9wavefront6targetE1EEEvSY_
		.amdhsa_group_segment_fixed_size 0
		.amdhsa_private_segment_fixed_size 0
		.amdhsa_kernarg_size 144
		.amdhsa_user_sgpr_count 6
		.amdhsa_user_sgpr_private_segment_buffer 1
		.amdhsa_user_sgpr_dispatch_ptr 0
		.amdhsa_user_sgpr_queue_ptr 0
		.amdhsa_user_sgpr_kernarg_segment_ptr 1
		.amdhsa_user_sgpr_dispatch_id 0
		.amdhsa_user_sgpr_flat_scratch_init 0
		.amdhsa_user_sgpr_private_segment_size 0
		.amdhsa_uses_dynamic_stack 0
		.amdhsa_system_sgpr_private_segment_wavefront_offset 0
		.amdhsa_system_sgpr_workgroup_id_x 1
		.amdhsa_system_sgpr_workgroup_id_y 0
		.amdhsa_system_sgpr_workgroup_id_z 0
		.amdhsa_system_sgpr_workgroup_info 0
		.amdhsa_system_vgpr_workitem_id 0
		.amdhsa_next_free_vgpr 1
		.amdhsa_next_free_sgpr 0
		.amdhsa_reserve_vcc 0
		.amdhsa_reserve_flat_scratch 0
		.amdhsa_float_round_mode_32 0
		.amdhsa_float_round_mode_16_64 0
		.amdhsa_float_denorm_mode_32 3
		.amdhsa_float_denorm_mode_16_64 3
		.amdhsa_dx10_clamp 1
		.amdhsa_ieee_mode 1
		.amdhsa_fp16_overflow 0
		.amdhsa_exception_fp_ieee_invalid_op 0
		.amdhsa_exception_fp_denorm_src 0
		.amdhsa_exception_fp_ieee_div_zero 0
		.amdhsa_exception_fp_ieee_overflow 0
		.amdhsa_exception_fp_ieee_underflow 0
		.amdhsa_exception_fp_ieee_inexact 0
		.amdhsa_exception_int_div_zero 0
	.end_amdhsa_kernel
	.section	.text._ZN7rocprim17ROCPRIM_400000_NS6detail17trampoline_kernelINS0_13select_configILj256ELj13ELNS0_17block_load_methodE3ELS4_3ELS4_3ELNS0_20block_scan_algorithmE0ELj4294967295EEENS1_25partition_config_selectorILNS1_17partition_subalgoE3EjNS0_10empty_typeEbEEZZNS1_14partition_implILS8_3ELb0ES6_jNS0_17counting_iteratorIjlEEPS9_SE_NS0_5tupleIJPjSE_EEENSF_IJSE_SE_EEES9_SG_JZNS1_25segmented_radix_sort_implINS0_14default_configELb1EPKfPfPKlPlN2at6native12_GLOBAL__N_18offset_tEEE10hipError_tPvRmT1_PNSt15iterator_traitsISY_E10value_typeET2_T3_PNSZ_IS14_E10value_typeET4_jRbjT5_S1A_jjP12ihipStream_tbEUljE_EEESV_SW_SX_S14_S18_S1A_T6_T7_T9_mT8_S1C_bDpT10_ENKUlT_T0_E_clISt17integral_constantIbLb1EES1O_IbLb0EEEEDaS1K_S1L_EUlS1K_E_NS1_11comp_targetILNS1_3genE10ELNS1_11target_archE1200ELNS1_3gpuE4ELNS1_3repE0EEENS1_30default_config_static_selectorELNS0_4arch9wavefront6targetE1EEEvSY_,"axG",@progbits,_ZN7rocprim17ROCPRIM_400000_NS6detail17trampoline_kernelINS0_13select_configILj256ELj13ELNS0_17block_load_methodE3ELS4_3ELS4_3ELNS0_20block_scan_algorithmE0ELj4294967295EEENS1_25partition_config_selectorILNS1_17partition_subalgoE3EjNS0_10empty_typeEbEEZZNS1_14partition_implILS8_3ELb0ES6_jNS0_17counting_iteratorIjlEEPS9_SE_NS0_5tupleIJPjSE_EEENSF_IJSE_SE_EEES9_SG_JZNS1_25segmented_radix_sort_implINS0_14default_configELb1EPKfPfPKlPlN2at6native12_GLOBAL__N_18offset_tEEE10hipError_tPvRmT1_PNSt15iterator_traitsISY_E10value_typeET2_T3_PNSZ_IS14_E10value_typeET4_jRbjT5_S1A_jjP12ihipStream_tbEUljE_EEESV_SW_SX_S14_S18_S1A_T6_T7_T9_mT8_S1C_bDpT10_ENKUlT_T0_E_clISt17integral_constantIbLb1EES1O_IbLb0EEEEDaS1K_S1L_EUlS1K_E_NS1_11comp_targetILNS1_3genE10ELNS1_11target_archE1200ELNS1_3gpuE4ELNS1_3repE0EEENS1_30default_config_static_selectorELNS0_4arch9wavefront6targetE1EEEvSY_,comdat
.Lfunc_end1314:
	.size	_ZN7rocprim17ROCPRIM_400000_NS6detail17trampoline_kernelINS0_13select_configILj256ELj13ELNS0_17block_load_methodE3ELS4_3ELS4_3ELNS0_20block_scan_algorithmE0ELj4294967295EEENS1_25partition_config_selectorILNS1_17partition_subalgoE3EjNS0_10empty_typeEbEEZZNS1_14partition_implILS8_3ELb0ES6_jNS0_17counting_iteratorIjlEEPS9_SE_NS0_5tupleIJPjSE_EEENSF_IJSE_SE_EEES9_SG_JZNS1_25segmented_radix_sort_implINS0_14default_configELb1EPKfPfPKlPlN2at6native12_GLOBAL__N_18offset_tEEE10hipError_tPvRmT1_PNSt15iterator_traitsISY_E10value_typeET2_T3_PNSZ_IS14_E10value_typeET4_jRbjT5_S1A_jjP12ihipStream_tbEUljE_EEESV_SW_SX_S14_S18_S1A_T6_T7_T9_mT8_S1C_bDpT10_ENKUlT_T0_E_clISt17integral_constantIbLb1EES1O_IbLb0EEEEDaS1K_S1L_EUlS1K_E_NS1_11comp_targetILNS1_3genE10ELNS1_11target_archE1200ELNS1_3gpuE4ELNS1_3repE0EEENS1_30default_config_static_selectorELNS0_4arch9wavefront6targetE1EEEvSY_, .Lfunc_end1314-_ZN7rocprim17ROCPRIM_400000_NS6detail17trampoline_kernelINS0_13select_configILj256ELj13ELNS0_17block_load_methodE3ELS4_3ELS4_3ELNS0_20block_scan_algorithmE0ELj4294967295EEENS1_25partition_config_selectorILNS1_17partition_subalgoE3EjNS0_10empty_typeEbEEZZNS1_14partition_implILS8_3ELb0ES6_jNS0_17counting_iteratorIjlEEPS9_SE_NS0_5tupleIJPjSE_EEENSF_IJSE_SE_EEES9_SG_JZNS1_25segmented_radix_sort_implINS0_14default_configELb1EPKfPfPKlPlN2at6native12_GLOBAL__N_18offset_tEEE10hipError_tPvRmT1_PNSt15iterator_traitsISY_E10value_typeET2_T3_PNSZ_IS14_E10value_typeET4_jRbjT5_S1A_jjP12ihipStream_tbEUljE_EEESV_SW_SX_S14_S18_S1A_T6_T7_T9_mT8_S1C_bDpT10_ENKUlT_T0_E_clISt17integral_constantIbLb1EES1O_IbLb0EEEEDaS1K_S1L_EUlS1K_E_NS1_11comp_targetILNS1_3genE10ELNS1_11target_archE1200ELNS1_3gpuE4ELNS1_3repE0EEENS1_30default_config_static_selectorELNS0_4arch9wavefront6targetE1EEEvSY_
                                        ; -- End function
	.set _ZN7rocprim17ROCPRIM_400000_NS6detail17trampoline_kernelINS0_13select_configILj256ELj13ELNS0_17block_load_methodE3ELS4_3ELS4_3ELNS0_20block_scan_algorithmE0ELj4294967295EEENS1_25partition_config_selectorILNS1_17partition_subalgoE3EjNS0_10empty_typeEbEEZZNS1_14partition_implILS8_3ELb0ES6_jNS0_17counting_iteratorIjlEEPS9_SE_NS0_5tupleIJPjSE_EEENSF_IJSE_SE_EEES9_SG_JZNS1_25segmented_radix_sort_implINS0_14default_configELb1EPKfPfPKlPlN2at6native12_GLOBAL__N_18offset_tEEE10hipError_tPvRmT1_PNSt15iterator_traitsISY_E10value_typeET2_T3_PNSZ_IS14_E10value_typeET4_jRbjT5_S1A_jjP12ihipStream_tbEUljE_EEESV_SW_SX_S14_S18_S1A_T6_T7_T9_mT8_S1C_bDpT10_ENKUlT_T0_E_clISt17integral_constantIbLb1EES1O_IbLb0EEEEDaS1K_S1L_EUlS1K_E_NS1_11comp_targetILNS1_3genE10ELNS1_11target_archE1200ELNS1_3gpuE4ELNS1_3repE0EEENS1_30default_config_static_selectorELNS0_4arch9wavefront6targetE1EEEvSY_.num_vgpr, 0
	.set _ZN7rocprim17ROCPRIM_400000_NS6detail17trampoline_kernelINS0_13select_configILj256ELj13ELNS0_17block_load_methodE3ELS4_3ELS4_3ELNS0_20block_scan_algorithmE0ELj4294967295EEENS1_25partition_config_selectorILNS1_17partition_subalgoE3EjNS0_10empty_typeEbEEZZNS1_14partition_implILS8_3ELb0ES6_jNS0_17counting_iteratorIjlEEPS9_SE_NS0_5tupleIJPjSE_EEENSF_IJSE_SE_EEES9_SG_JZNS1_25segmented_radix_sort_implINS0_14default_configELb1EPKfPfPKlPlN2at6native12_GLOBAL__N_18offset_tEEE10hipError_tPvRmT1_PNSt15iterator_traitsISY_E10value_typeET2_T3_PNSZ_IS14_E10value_typeET4_jRbjT5_S1A_jjP12ihipStream_tbEUljE_EEESV_SW_SX_S14_S18_S1A_T6_T7_T9_mT8_S1C_bDpT10_ENKUlT_T0_E_clISt17integral_constantIbLb1EES1O_IbLb0EEEEDaS1K_S1L_EUlS1K_E_NS1_11comp_targetILNS1_3genE10ELNS1_11target_archE1200ELNS1_3gpuE4ELNS1_3repE0EEENS1_30default_config_static_selectorELNS0_4arch9wavefront6targetE1EEEvSY_.num_agpr, 0
	.set _ZN7rocprim17ROCPRIM_400000_NS6detail17trampoline_kernelINS0_13select_configILj256ELj13ELNS0_17block_load_methodE3ELS4_3ELS4_3ELNS0_20block_scan_algorithmE0ELj4294967295EEENS1_25partition_config_selectorILNS1_17partition_subalgoE3EjNS0_10empty_typeEbEEZZNS1_14partition_implILS8_3ELb0ES6_jNS0_17counting_iteratorIjlEEPS9_SE_NS0_5tupleIJPjSE_EEENSF_IJSE_SE_EEES9_SG_JZNS1_25segmented_radix_sort_implINS0_14default_configELb1EPKfPfPKlPlN2at6native12_GLOBAL__N_18offset_tEEE10hipError_tPvRmT1_PNSt15iterator_traitsISY_E10value_typeET2_T3_PNSZ_IS14_E10value_typeET4_jRbjT5_S1A_jjP12ihipStream_tbEUljE_EEESV_SW_SX_S14_S18_S1A_T6_T7_T9_mT8_S1C_bDpT10_ENKUlT_T0_E_clISt17integral_constantIbLb1EES1O_IbLb0EEEEDaS1K_S1L_EUlS1K_E_NS1_11comp_targetILNS1_3genE10ELNS1_11target_archE1200ELNS1_3gpuE4ELNS1_3repE0EEENS1_30default_config_static_selectorELNS0_4arch9wavefront6targetE1EEEvSY_.numbered_sgpr, 0
	.set _ZN7rocprim17ROCPRIM_400000_NS6detail17trampoline_kernelINS0_13select_configILj256ELj13ELNS0_17block_load_methodE3ELS4_3ELS4_3ELNS0_20block_scan_algorithmE0ELj4294967295EEENS1_25partition_config_selectorILNS1_17partition_subalgoE3EjNS0_10empty_typeEbEEZZNS1_14partition_implILS8_3ELb0ES6_jNS0_17counting_iteratorIjlEEPS9_SE_NS0_5tupleIJPjSE_EEENSF_IJSE_SE_EEES9_SG_JZNS1_25segmented_radix_sort_implINS0_14default_configELb1EPKfPfPKlPlN2at6native12_GLOBAL__N_18offset_tEEE10hipError_tPvRmT1_PNSt15iterator_traitsISY_E10value_typeET2_T3_PNSZ_IS14_E10value_typeET4_jRbjT5_S1A_jjP12ihipStream_tbEUljE_EEESV_SW_SX_S14_S18_S1A_T6_T7_T9_mT8_S1C_bDpT10_ENKUlT_T0_E_clISt17integral_constantIbLb1EES1O_IbLb0EEEEDaS1K_S1L_EUlS1K_E_NS1_11comp_targetILNS1_3genE10ELNS1_11target_archE1200ELNS1_3gpuE4ELNS1_3repE0EEENS1_30default_config_static_selectorELNS0_4arch9wavefront6targetE1EEEvSY_.num_named_barrier, 0
	.set _ZN7rocprim17ROCPRIM_400000_NS6detail17trampoline_kernelINS0_13select_configILj256ELj13ELNS0_17block_load_methodE3ELS4_3ELS4_3ELNS0_20block_scan_algorithmE0ELj4294967295EEENS1_25partition_config_selectorILNS1_17partition_subalgoE3EjNS0_10empty_typeEbEEZZNS1_14partition_implILS8_3ELb0ES6_jNS0_17counting_iteratorIjlEEPS9_SE_NS0_5tupleIJPjSE_EEENSF_IJSE_SE_EEES9_SG_JZNS1_25segmented_radix_sort_implINS0_14default_configELb1EPKfPfPKlPlN2at6native12_GLOBAL__N_18offset_tEEE10hipError_tPvRmT1_PNSt15iterator_traitsISY_E10value_typeET2_T3_PNSZ_IS14_E10value_typeET4_jRbjT5_S1A_jjP12ihipStream_tbEUljE_EEESV_SW_SX_S14_S18_S1A_T6_T7_T9_mT8_S1C_bDpT10_ENKUlT_T0_E_clISt17integral_constantIbLb1EES1O_IbLb0EEEEDaS1K_S1L_EUlS1K_E_NS1_11comp_targetILNS1_3genE10ELNS1_11target_archE1200ELNS1_3gpuE4ELNS1_3repE0EEENS1_30default_config_static_selectorELNS0_4arch9wavefront6targetE1EEEvSY_.private_seg_size, 0
	.set _ZN7rocprim17ROCPRIM_400000_NS6detail17trampoline_kernelINS0_13select_configILj256ELj13ELNS0_17block_load_methodE3ELS4_3ELS4_3ELNS0_20block_scan_algorithmE0ELj4294967295EEENS1_25partition_config_selectorILNS1_17partition_subalgoE3EjNS0_10empty_typeEbEEZZNS1_14partition_implILS8_3ELb0ES6_jNS0_17counting_iteratorIjlEEPS9_SE_NS0_5tupleIJPjSE_EEENSF_IJSE_SE_EEES9_SG_JZNS1_25segmented_radix_sort_implINS0_14default_configELb1EPKfPfPKlPlN2at6native12_GLOBAL__N_18offset_tEEE10hipError_tPvRmT1_PNSt15iterator_traitsISY_E10value_typeET2_T3_PNSZ_IS14_E10value_typeET4_jRbjT5_S1A_jjP12ihipStream_tbEUljE_EEESV_SW_SX_S14_S18_S1A_T6_T7_T9_mT8_S1C_bDpT10_ENKUlT_T0_E_clISt17integral_constantIbLb1EES1O_IbLb0EEEEDaS1K_S1L_EUlS1K_E_NS1_11comp_targetILNS1_3genE10ELNS1_11target_archE1200ELNS1_3gpuE4ELNS1_3repE0EEENS1_30default_config_static_selectorELNS0_4arch9wavefront6targetE1EEEvSY_.uses_vcc, 0
	.set _ZN7rocprim17ROCPRIM_400000_NS6detail17trampoline_kernelINS0_13select_configILj256ELj13ELNS0_17block_load_methodE3ELS4_3ELS4_3ELNS0_20block_scan_algorithmE0ELj4294967295EEENS1_25partition_config_selectorILNS1_17partition_subalgoE3EjNS0_10empty_typeEbEEZZNS1_14partition_implILS8_3ELb0ES6_jNS0_17counting_iteratorIjlEEPS9_SE_NS0_5tupleIJPjSE_EEENSF_IJSE_SE_EEES9_SG_JZNS1_25segmented_radix_sort_implINS0_14default_configELb1EPKfPfPKlPlN2at6native12_GLOBAL__N_18offset_tEEE10hipError_tPvRmT1_PNSt15iterator_traitsISY_E10value_typeET2_T3_PNSZ_IS14_E10value_typeET4_jRbjT5_S1A_jjP12ihipStream_tbEUljE_EEESV_SW_SX_S14_S18_S1A_T6_T7_T9_mT8_S1C_bDpT10_ENKUlT_T0_E_clISt17integral_constantIbLb1EES1O_IbLb0EEEEDaS1K_S1L_EUlS1K_E_NS1_11comp_targetILNS1_3genE10ELNS1_11target_archE1200ELNS1_3gpuE4ELNS1_3repE0EEENS1_30default_config_static_selectorELNS0_4arch9wavefront6targetE1EEEvSY_.uses_flat_scratch, 0
	.set _ZN7rocprim17ROCPRIM_400000_NS6detail17trampoline_kernelINS0_13select_configILj256ELj13ELNS0_17block_load_methodE3ELS4_3ELS4_3ELNS0_20block_scan_algorithmE0ELj4294967295EEENS1_25partition_config_selectorILNS1_17partition_subalgoE3EjNS0_10empty_typeEbEEZZNS1_14partition_implILS8_3ELb0ES6_jNS0_17counting_iteratorIjlEEPS9_SE_NS0_5tupleIJPjSE_EEENSF_IJSE_SE_EEES9_SG_JZNS1_25segmented_radix_sort_implINS0_14default_configELb1EPKfPfPKlPlN2at6native12_GLOBAL__N_18offset_tEEE10hipError_tPvRmT1_PNSt15iterator_traitsISY_E10value_typeET2_T3_PNSZ_IS14_E10value_typeET4_jRbjT5_S1A_jjP12ihipStream_tbEUljE_EEESV_SW_SX_S14_S18_S1A_T6_T7_T9_mT8_S1C_bDpT10_ENKUlT_T0_E_clISt17integral_constantIbLb1EES1O_IbLb0EEEEDaS1K_S1L_EUlS1K_E_NS1_11comp_targetILNS1_3genE10ELNS1_11target_archE1200ELNS1_3gpuE4ELNS1_3repE0EEENS1_30default_config_static_selectorELNS0_4arch9wavefront6targetE1EEEvSY_.has_dyn_sized_stack, 0
	.set _ZN7rocprim17ROCPRIM_400000_NS6detail17trampoline_kernelINS0_13select_configILj256ELj13ELNS0_17block_load_methodE3ELS4_3ELS4_3ELNS0_20block_scan_algorithmE0ELj4294967295EEENS1_25partition_config_selectorILNS1_17partition_subalgoE3EjNS0_10empty_typeEbEEZZNS1_14partition_implILS8_3ELb0ES6_jNS0_17counting_iteratorIjlEEPS9_SE_NS0_5tupleIJPjSE_EEENSF_IJSE_SE_EEES9_SG_JZNS1_25segmented_radix_sort_implINS0_14default_configELb1EPKfPfPKlPlN2at6native12_GLOBAL__N_18offset_tEEE10hipError_tPvRmT1_PNSt15iterator_traitsISY_E10value_typeET2_T3_PNSZ_IS14_E10value_typeET4_jRbjT5_S1A_jjP12ihipStream_tbEUljE_EEESV_SW_SX_S14_S18_S1A_T6_T7_T9_mT8_S1C_bDpT10_ENKUlT_T0_E_clISt17integral_constantIbLb1EES1O_IbLb0EEEEDaS1K_S1L_EUlS1K_E_NS1_11comp_targetILNS1_3genE10ELNS1_11target_archE1200ELNS1_3gpuE4ELNS1_3repE0EEENS1_30default_config_static_selectorELNS0_4arch9wavefront6targetE1EEEvSY_.has_recursion, 0
	.set _ZN7rocprim17ROCPRIM_400000_NS6detail17trampoline_kernelINS0_13select_configILj256ELj13ELNS0_17block_load_methodE3ELS4_3ELS4_3ELNS0_20block_scan_algorithmE0ELj4294967295EEENS1_25partition_config_selectorILNS1_17partition_subalgoE3EjNS0_10empty_typeEbEEZZNS1_14partition_implILS8_3ELb0ES6_jNS0_17counting_iteratorIjlEEPS9_SE_NS0_5tupleIJPjSE_EEENSF_IJSE_SE_EEES9_SG_JZNS1_25segmented_radix_sort_implINS0_14default_configELb1EPKfPfPKlPlN2at6native12_GLOBAL__N_18offset_tEEE10hipError_tPvRmT1_PNSt15iterator_traitsISY_E10value_typeET2_T3_PNSZ_IS14_E10value_typeET4_jRbjT5_S1A_jjP12ihipStream_tbEUljE_EEESV_SW_SX_S14_S18_S1A_T6_T7_T9_mT8_S1C_bDpT10_ENKUlT_T0_E_clISt17integral_constantIbLb1EES1O_IbLb0EEEEDaS1K_S1L_EUlS1K_E_NS1_11comp_targetILNS1_3genE10ELNS1_11target_archE1200ELNS1_3gpuE4ELNS1_3repE0EEENS1_30default_config_static_selectorELNS0_4arch9wavefront6targetE1EEEvSY_.has_indirect_call, 0
	.section	.AMDGPU.csdata,"",@progbits
; Kernel info:
; codeLenInByte = 0
; TotalNumSgprs: 4
; NumVgprs: 0
; ScratchSize: 0
; MemoryBound: 0
; FloatMode: 240
; IeeeMode: 1
; LDSByteSize: 0 bytes/workgroup (compile time only)
; SGPRBlocks: 0
; VGPRBlocks: 0
; NumSGPRsForWavesPerEU: 4
; NumVGPRsForWavesPerEU: 1
; Occupancy: 10
; WaveLimiterHint : 0
; COMPUTE_PGM_RSRC2:SCRATCH_EN: 0
; COMPUTE_PGM_RSRC2:USER_SGPR: 6
; COMPUTE_PGM_RSRC2:TRAP_HANDLER: 0
; COMPUTE_PGM_RSRC2:TGID_X_EN: 1
; COMPUTE_PGM_RSRC2:TGID_Y_EN: 0
; COMPUTE_PGM_RSRC2:TGID_Z_EN: 0
; COMPUTE_PGM_RSRC2:TIDIG_COMP_CNT: 0
	.section	.text._ZN7rocprim17ROCPRIM_400000_NS6detail17trampoline_kernelINS0_13select_configILj256ELj13ELNS0_17block_load_methodE3ELS4_3ELS4_3ELNS0_20block_scan_algorithmE0ELj4294967295EEENS1_25partition_config_selectorILNS1_17partition_subalgoE3EjNS0_10empty_typeEbEEZZNS1_14partition_implILS8_3ELb0ES6_jNS0_17counting_iteratorIjlEEPS9_SE_NS0_5tupleIJPjSE_EEENSF_IJSE_SE_EEES9_SG_JZNS1_25segmented_radix_sort_implINS0_14default_configELb1EPKfPfPKlPlN2at6native12_GLOBAL__N_18offset_tEEE10hipError_tPvRmT1_PNSt15iterator_traitsISY_E10value_typeET2_T3_PNSZ_IS14_E10value_typeET4_jRbjT5_S1A_jjP12ihipStream_tbEUljE_EEESV_SW_SX_S14_S18_S1A_T6_T7_T9_mT8_S1C_bDpT10_ENKUlT_T0_E_clISt17integral_constantIbLb1EES1O_IbLb0EEEEDaS1K_S1L_EUlS1K_E_NS1_11comp_targetILNS1_3genE9ELNS1_11target_archE1100ELNS1_3gpuE3ELNS1_3repE0EEENS1_30default_config_static_selectorELNS0_4arch9wavefront6targetE1EEEvSY_,"axG",@progbits,_ZN7rocprim17ROCPRIM_400000_NS6detail17trampoline_kernelINS0_13select_configILj256ELj13ELNS0_17block_load_methodE3ELS4_3ELS4_3ELNS0_20block_scan_algorithmE0ELj4294967295EEENS1_25partition_config_selectorILNS1_17partition_subalgoE3EjNS0_10empty_typeEbEEZZNS1_14partition_implILS8_3ELb0ES6_jNS0_17counting_iteratorIjlEEPS9_SE_NS0_5tupleIJPjSE_EEENSF_IJSE_SE_EEES9_SG_JZNS1_25segmented_radix_sort_implINS0_14default_configELb1EPKfPfPKlPlN2at6native12_GLOBAL__N_18offset_tEEE10hipError_tPvRmT1_PNSt15iterator_traitsISY_E10value_typeET2_T3_PNSZ_IS14_E10value_typeET4_jRbjT5_S1A_jjP12ihipStream_tbEUljE_EEESV_SW_SX_S14_S18_S1A_T6_T7_T9_mT8_S1C_bDpT10_ENKUlT_T0_E_clISt17integral_constantIbLb1EES1O_IbLb0EEEEDaS1K_S1L_EUlS1K_E_NS1_11comp_targetILNS1_3genE9ELNS1_11target_archE1100ELNS1_3gpuE3ELNS1_3repE0EEENS1_30default_config_static_selectorELNS0_4arch9wavefront6targetE1EEEvSY_,comdat
	.globl	_ZN7rocprim17ROCPRIM_400000_NS6detail17trampoline_kernelINS0_13select_configILj256ELj13ELNS0_17block_load_methodE3ELS4_3ELS4_3ELNS0_20block_scan_algorithmE0ELj4294967295EEENS1_25partition_config_selectorILNS1_17partition_subalgoE3EjNS0_10empty_typeEbEEZZNS1_14partition_implILS8_3ELb0ES6_jNS0_17counting_iteratorIjlEEPS9_SE_NS0_5tupleIJPjSE_EEENSF_IJSE_SE_EEES9_SG_JZNS1_25segmented_radix_sort_implINS0_14default_configELb1EPKfPfPKlPlN2at6native12_GLOBAL__N_18offset_tEEE10hipError_tPvRmT1_PNSt15iterator_traitsISY_E10value_typeET2_T3_PNSZ_IS14_E10value_typeET4_jRbjT5_S1A_jjP12ihipStream_tbEUljE_EEESV_SW_SX_S14_S18_S1A_T6_T7_T9_mT8_S1C_bDpT10_ENKUlT_T0_E_clISt17integral_constantIbLb1EES1O_IbLb0EEEEDaS1K_S1L_EUlS1K_E_NS1_11comp_targetILNS1_3genE9ELNS1_11target_archE1100ELNS1_3gpuE3ELNS1_3repE0EEENS1_30default_config_static_selectorELNS0_4arch9wavefront6targetE1EEEvSY_ ; -- Begin function _ZN7rocprim17ROCPRIM_400000_NS6detail17trampoline_kernelINS0_13select_configILj256ELj13ELNS0_17block_load_methodE3ELS4_3ELS4_3ELNS0_20block_scan_algorithmE0ELj4294967295EEENS1_25partition_config_selectorILNS1_17partition_subalgoE3EjNS0_10empty_typeEbEEZZNS1_14partition_implILS8_3ELb0ES6_jNS0_17counting_iteratorIjlEEPS9_SE_NS0_5tupleIJPjSE_EEENSF_IJSE_SE_EEES9_SG_JZNS1_25segmented_radix_sort_implINS0_14default_configELb1EPKfPfPKlPlN2at6native12_GLOBAL__N_18offset_tEEE10hipError_tPvRmT1_PNSt15iterator_traitsISY_E10value_typeET2_T3_PNSZ_IS14_E10value_typeET4_jRbjT5_S1A_jjP12ihipStream_tbEUljE_EEESV_SW_SX_S14_S18_S1A_T6_T7_T9_mT8_S1C_bDpT10_ENKUlT_T0_E_clISt17integral_constantIbLb1EES1O_IbLb0EEEEDaS1K_S1L_EUlS1K_E_NS1_11comp_targetILNS1_3genE9ELNS1_11target_archE1100ELNS1_3gpuE3ELNS1_3repE0EEENS1_30default_config_static_selectorELNS0_4arch9wavefront6targetE1EEEvSY_
	.p2align	8
	.type	_ZN7rocprim17ROCPRIM_400000_NS6detail17trampoline_kernelINS0_13select_configILj256ELj13ELNS0_17block_load_methodE3ELS4_3ELS4_3ELNS0_20block_scan_algorithmE0ELj4294967295EEENS1_25partition_config_selectorILNS1_17partition_subalgoE3EjNS0_10empty_typeEbEEZZNS1_14partition_implILS8_3ELb0ES6_jNS0_17counting_iteratorIjlEEPS9_SE_NS0_5tupleIJPjSE_EEENSF_IJSE_SE_EEES9_SG_JZNS1_25segmented_radix_sort_implINS0_14default_configELb1EPKfPfPKlPlN2at6native12_GLOBAL__N_18offset_tEEE10hipError_tPvRmT1_PNSt15iterator_traitsISY_E10value_typeET2_T3_PNSZ_IS14_E10value_typeET4_jRbjT5_S1A_jjP12ihipStream_tbEUljE_EEESV_SW_SX_S14_S18_S1A_T6_T7_T9_mT8_S1C_bDpT10_ENKUlT_T0_E_clISt17integral_constantIbLb1EES1O_IbLb0EEEEDaS1K_S1L_EUlS1K_E_NS1_11comp_targetILNS1_3genE9ELNS1_11target_archE1100ELNS1_3gpuE3ELNS1_3repE0EEENS1_30default_config_static_selectorELNS0_4arch9wavefront6targetE1EEEvSY_,@function
_ZN7rocprim17ROCPRIM_400000_NS6detail17trampoline_kernelINS0_13select_configILj256ELj13ELNS0_17block_load_methodE3ELS4_3ELS4_3ELNS0_20block_scan_algorithmE0ELj4294967295EEENS1_25partition_config_selectorILNS1_17partition_subalgoE3EjNS0_10empty_typeEbEEZZNS1_14partition_implILS8_3ELb0ES6_jNS0_17counting_iteratorIjlEEPS9_SE_NS0_5tupleIJPjSE_EEENSF_IJSE_SE_EEES9_SG_JZNS1_25segmented_radix_sort_implINS0_14default_configELb1EPKfPfPKlPlN2at6native12_GLOBAL__N_18offset_tEEE10hipError_tPvRmT1_PNSt15iterator_traitsISY_E10value_typeET2_T3_PNSZ_IS14_E10value_typeET4_jRbjT5_S1A_jjP12ihipStream_tbEUljE_EEESV_SW_SX_S14_S18_S1A_T6_T7_T9_mT8_S1C_bDpT10_ENKUlT_T0_E_clISt17integral_constantIbLb1EES1O_IbLb0EEEEDaS1K_S1L_EUlS1K_E_NS1_11comp_targetILNS1_3genE9ELNS1_11target_archE1100ELNS1_3gpuE3ELNS1_3repE0EEENS1_30default_config_static_selectorELNS0_4arch9wavefront6targetE1EEEvSY_: ; @_ZN7rocprim17ROCPRIM_400000_NS6detail17trampoline_kernelINS0_13select_configILj256ELj13ELNS0_17block_load_methodE3ELS4_3ELS4_3ELNS0_20block_scan_algorithmE0ELj4294967295EEENS1_25partition_config_selectorILNS1_17partition_subalgoE3EjNS0_10empty_typeEbEEZZNS1_14partition_implILS8_3ELb0ES6_jNS0_17counting_iteratorIjlEEPS9_SE_NS0_5tupleIJPjSE_EEENSF_IJSE_SE_EEES9_SG_JZNS1_25segmented_radix_sort_implINS0_14default_configELb1EPKfPfPKlPlN2at6native12_GLOBAL__N_18offset_tEEE10hipError_tPvRmT1_PNSt15iterator_traitsISY_E10value_typeET2_T3_PNSZ_IS14_E10value_typeET4_jRbjT5_S1A_jjP12ihipStream_tbEUljE_EEESV_SW_SX_S14_S18_S1A_T6_T7_T9_mT8_S1C_bDpT10_ENKUlT_T0_E_clISt17integral_constantIbLb1EES1O_IbLb0EEEEDaS1K_S1L_EUlS1K_E_NS1_11comp_targetILNS1_3genE9ELNS1_11target_archE1100ELNS1_3gpuE3ELNS1_3repE0EEENS1_30default_config_static_selectorELNS0_4arch9wavefront6targetE1EEEvSY_
; %bb.0:
	.section	.rodata,"a",@progbits
	.p2align	6, 0x0
	.amdhsa_kernel _ZN7rocprim17ROCPRIM_400000_NS6detail17trampoline_kernelINS0_13select_configILj256ELj13ELNS0_17block_load_methodE3ELS4_3ELS4_3ELNS0_20block_scan_algorithmE0ELj4294967295EEENS1_25partition_config_selectorILNS1_17partition_subalgoE3EjNS0_10empty_typeEbEEZZNS1_14partition_implILS8_3ELb0ES6_jNS0_17counting_iteratorIjlEEPS9_SE_NS0_5tupleIJPjSE_EEENSF_IJSE_SE_EEES9_SG_JZNS1_25segmented_radix_sort_implINS0_14default_configELb1EPKfPfPKlPlN2at6native12_GLOBAL__N_18offset_tEEE10hipError_tPvRmT1_PNSt15iterator_traitsISY_E10value_typeET2_T3_PNSZ_IS14_E10value_typeET4_jRbjT5_S1A_jjP12ihipStream_tbEUljE_EEESV_SW_SX_S14_S18_S1A_T6_T7_T9_mT8_S1C_bDpT10_ENKUlT_T0_E_clISt17integral_constantIbLb1EES1O_IbLb0EEEEDaS1K_S1L_EUlS1K_E_NS1_11comp_targetILNS1_3genE9ELNS1_11target_archE1100ELNS1_3gpuE3ELNS1_3repE0EEENS1_30default_config_static_selectorELNS0_4arch9wavefront6targetE1EEEvSY_
		.amdhsa_group_segment_fixed_size 0
		.amdhsa_private_segment_fixed_size 0
		.amdhsa_kernarg_size 144
		.amdhsa_user_sgpr_count 6
		.amdhsa_user_sgpr_private_segment_buffer 1
		.amdhsa_user_sgpr_dispatch_ptr 0
		.amdhsa_user_sgpr_queue_ptr 0
		.amdhsa_user_sgpr_kernarg_segment_ptr 1
		.amdhsa_user_sgpr_dispatch_id 0
		.amdhsa_user_sgpr_flat_scratch_init 0
		.amdhsa_user_sgpr_private_segment_size 0
		.amdhsa_uses_dynamic_stack 0
		.amdhsa_system_sgpr_private_segment_wavefront_offset 0
		.amdhsa_system_sgpr_workgroup_id_x 1
		.amdhsa_system_sgpr_workgroup_id_y 0
		.amdhsa_system_sgpr_workgroup_id_z 0
		.amdhsa_system_sgpr_workgroup_info 0
		.amdhsa_system_vgpr_workitem_id 0
		.amdhsa_next_free_vgpr 1
		.amdhsa_next_free_sgpr 0
		.amdhsa_reserve_vcc 0
		.amdhsa_reserve_flat_scratch 0
		.amdhsa_float_round_mode_32 0
		.amdhsa_float_round_mode_16_64 0
		.amdhsa_float_denorm_mode_32 3
		.amdhsa_float_denorm_mode_16_64 3
		.amdhsa_dx10_clamp 1
		.amdhsa_ieee_mode 1
		.amdhsa_fp16_overflow 0
		.amdhsa_exception_fp_ieee_invalid_op 0
		.amdhsa_exception_fp_denorm_src 0
		.amdhsa_exception_fp_ieee_div_zero 0
		.amdhsa_exception_fp_ieee_overflow 0
		.amdhsa_exception_fp_ieee_underflow 0
		.amdhsa_exception_fp_ieee_inexact 0
		.amdhsa_exception_int_div_zero 0
	.end_amdhsa_kernel
	.section	.text._ZN7rocprim17ROCPRIM_400000_NS6detail17trampoline_kernelINS0_13select_configILj256ELj13ELNS0_17block_load_methodE3ELS4_3ELS4_3ELNS0_20block_scan_algorithmE0ELj4294967295EEENS1_25partition_config_selectorILNS1_17partition_subalgoE3EjNS0_10empty_typeEbEEZZNS1_14partition_implILS8_3ELb0ES6_jNS0_17counting_iteratorIjlEEPS9_SE_NS0_5tupleIJPjSE_EEENSF_IJSE_SE_EEES9_SG_JZNS1_25segmented_radix_sort_implINS0_14default_configELb1EPKfPfPKlPlN2at6native12_GLOBAL__N_18offset_tEEE10hipError_tPvRmT1_PNSt15iterator_traitsISY_E10value_typeET2_T3_PNSZ_IS14_E10value_typeET4_jRbjT5_S1A_jjP12ihipStream_tbEUljE_EEESV_SW_SX_S14_S18_S1A_T6_T7_T9_mT8_S1C_bDpT10_ENKUlT_T0_E_clISt17integral_constantIbLb1EES1O_IbLb0EEEEDaS1K_S1L_EUlS1K_E_NS1_11comp_targetILNS1_3genE9ELNS1_11target_archE1100ELNS1_3gpuE3ELNS1_3repE0EEENS1_30default_config_static_selectorELNS0_4arch9wavefront6targetE1EEEvSY_,"axG",@progbits,_ZN7rocprim17ROCPRIM_400000_NS6detail17trampoline_kernelINS0_13select_configILj256ELj13ELNS0_17block_load_methodE3ELS4_3ELS4_3ELNS0_20block_scan_algorithmE0ELj4294967295EEENS1_25partition_config_selectorILNS1_17partition_subalgoE3EjNS0_10empty_typeEbEEZZNS1_14partition_implILS8_3ELb0ES6_jNS0_17counting_iteratorIjlEEPS9_SE_NS0_5tupleIJPjSE_EEENSF_IJSE_SE_EEES9_SG_JZNS1_25segmented_radix_sort_implINS0_14default_configELb1EPKfPfPKlPlN2at6native12_GLOBAL__N_18offset_tEEE10hipError_tPvRmT1_PNSt15iterator_traitsISY_E10value_typeET2_T3_PNSZ_IS14_E10value_typeET4_jRbjT5_S1A_jjP12ihipStream_tbEUljE_EEESV_SW_SX_S14_S18_S1A_T6_T7_T9_mT8_S1C_bDpT10_ENKUlT_T0_E_clISt17integral_constantIbLb1EES1O_IbLb0EEEEDaS1K_S1L_EUlS1K_E_NS1_11comp_targetILNS1_3genE9ELNS1_11target_archE1100ELNS1_3gpuE3ELNS1_3repE0EEENS1_30default_config_static_selectorELNS0_4arch9wavefront6targetE1EEEvSY_,comdat
.Lfunc_end1315:
	.size	_ZN7rocprim17ROCPRIM_400000_NS6detail17trampoline_kernelINS0_13select_configILj256ELj13ELNS0_17block_load_methodE3ELS4_3ELS4_3ELNS0_20block_scan_algorithmE0ELj4294967295EEENS1_25partition_config_selectorILNS1_17partition_subalgoE3EjNS0_10empty_typeEbEEZZNS1_14partition_implILS8_3ELb0ES6_jNS0_17counting_iteratorIjlEEPS9_SE_NS0_5tupleIJPjSE_EEENSF_IJSE_SE_EEES9_SG_JZNS1_25segmented_radix_sort_implINS0_14default_configELb1EPKfPfPKlPlN2at6native12_GLOBAL__N_18offset_tEEE10hipError_tPvRmT1_PNSt15iterator_traitsISY_E10value_typeET2_T3_PNSZ_IS14_E10value_typeET4_jRbjT5_S1A_jjP12ihipStream_tbEUljE_EEESV_SW_SX_S14_S18_S1A_T6_T7_T9_mT8_S1C_bDpT10_ENKUlT_T0_E_clISt17integral_constantIbLb1EES1O_IbLb0EEEEDaS1K_S1L_EUlS1K_E_NS1_11comp_targetILNS1_3genE9ELNS1_11target_archE1100ELNS1_3gpuE3ELNS1_3repE0EEENS1_30default_config_static_selectorELNS0_4arch9wavefront6targetE1EEEvSY_, .Lfunc_end1315-_ZN7rocprim17ROCPRIM_400000_NS6detail17trampoline_kernelINS0_13select_configILj256ELj13ELNS0_17block_load_methodE3ELS4_3ELS4_3ELNS0_20block_scan_algorithmE0ELj4294967295EEENS1_25partition_config_selectorILNS1_17partition_subalgoE3EjNS0_10empty_typeEbEEZZNS1_14partition_implILS8_3ELb0ES6_jNS0_17counting_iteratorIjlEEPS9_SE_NS0_5tupleIJPjSE_EEENSF_IJSE_SE_EEES9_SG_JZNS1_25segmented_radix_sort_implINS0_14default_configELb1EPKfPfPKlPlN2at6native12_GLOBAL__N_18offset_tEEE10hipError_tPvRmT1_PNSt15iterator_traitsISY_E10value_typeET2_T3_PNSZ_IS14_E10value_typeET4_jRbjT5_S1A_jjP12ihipStream_tbEUljE_EEESV_SW_SX_S14_S18_S1A_T6_T7_T9_mT8_S1C_bDpT10_ENKUlT_T0_E_clISt17integral_constantIbLb1EES1O_IbLb0EEEEDaS1K_S1L_EUlS1K_E_NS1_11comp_targetILNS1_3genE9ELNS1_11target_archE1100ELNS1_3gpuE3ELNS1_3repE0EEENS1_30default_config_static_selectorELNS0_4arch9wavefront6targetE1EEEvSY_
                                        ; -- End function
	.set _ZN7rocprim17ROCPRIM_400000_NS6detail17trampoline_kernelINS0_13select_configILj256ELj13ELNS0_17block_load_methodE3ELS4_3ELS4_3ELNS0_20block_scan_algorithmE0ELj4294967295EEENS1_25partition_config_selectorILNS1_17partition_subalgoE3EjNS0_10empty_typeEbEEZZNS1_14partition_implILS8_3ELb0ES6_jNS0_17counting_iteratorIjlEEPS9_SE_NS0_5tupleIJPjSE_EEENSF_IJSE_SE_EEES9_SG_JZNS1_25segmented_radix_sort_implINS0_14default_configELb1EPKfPfPKlPlN2at6native12_GLOBAL__N_18offset_tEEE10hipError_tPvRmT1_PNSt15iterator_traitsISY_E10value_typeET2_T3_PNSZ_IS14_E10value_typeET4_jRbjT5_S1A_jjP12ihipStream_tbEUljE_EEESV_SW_SX_S14_S18_S1A_T6_T7_T9_mT8_S1C_bDpT10_ENKUlT_T0_E_clISt17integral_constantIbLb1EES1O_IbLb0EEEEDaS1K_S1L_EUlS1K_E_NS1_11comp_targetILNS1_3genE9ELNS1_11target_archE1100ELNS1_3gpuE3ELNS1_3repE0EEENS1_30default_config_static_selectorELNS0_4arch9wavefront6targetE1EEEvSY_.num_vgpr, 0
	.set _ZN7rocprim17ROCPRIM_400000_NS6detail17trampoline_kernelINS0_13select_configILj256ELj13ELNS0_17block_load_methodE3ELS4_3ELS4_3ELNS0_20block_scan_algorithmE0ELj4294967295EEENS1_25partition_config_selectorILNS1_17partition_subalgoE3EjNS0_10empty_typeEbEEZZNS1_14partition_implILS8_3ELb0ES6_jNS0_17counting_iteratorIjlEEPS9_SE_NS0_5tupleIJPjSE_EEENSF_IJSE_SE_EEES9_SG_JZNS1_25segmented_radix_sort_implINS0_14default_configELb1EPKfPfPKlPlN2at6native12_GLOBAL__N_18offset_tEEE10hipError_tPvRmT1_PNSt15iterator_traitsISY_E10value_typeET2_T3_PNSZ_IS14_E10value_typeET4_jRbjT5_S1A_jjP12ihipStream_tbEUljE_EEESV_SW_SX_S14_S18_S1A_T6_T7_T9_mT8_S1C_bDpT10_ENKUlT_T0_E_clISt17integral_constantIbLb1EES1O_IbLb0EEEEDaS1K_S1L_EUlS1K_E_NS1_11comp_targetILNS1_3genE9ELNS1_11target_archE1100ELNS1_3gpuE3ELNS1_3repE0EEENS1_30default_config_static_selectorELNS0_4arch9wavefront6targetE1EEEvSY_.num_agpr, 0
	.set _ZN7rocprim17ROCPRIM_400000_NS6detail17trampoline_kernelINS0_13select_configILj256ELj13ELNS0_17block_load_methodE3ELS4_3ELS4_3ELNS0_20block_scan_algorithmE0ELj4294967295EEENS1_25partition_config_selectorILNS1_17partition_subalgoE3EjNS0_10empty_typeEbEEZZNS1_14partition_implILS8_3ELb0ES6_jNS0_17counting_iteratorIjlEEPS9_SE_NS0_5tupleIJPjSE_EEENSF_IJSE_SE_EEES9_SG_JZNS1_25segmented_radix_sort_implINS0_14default_configELb1EPKfPfPKlPlN2at6native12_GLOBAL__N_18offset_tEEE10hipError_tPvRmT1_PNSt15iterator_traitsISY_E10value_typeET2_T3_PNSZ_IS14_E10value_typeET4_jRbjT5_S1A_jjP12ihipStream_tbEUljE_EEESV_SW_SX_S14_S18_S1A_T6_T7_T9_mT8_S1C_bDpT10_ENKUlT_T0_E_clISt17integral_constantIbLb1EES1O_IbLb0EEEEDaS1K_S1L_EUlS1K_E_NS1_11comp_targetILNS1_3genE9ELNS1_11target_archE1100ELNS1_3gpuE3ELNS1_3repE0EEENS1_30default_config_static_selectorELNS0_4arch9wavefront6targetE1EEEvSY_.numbered_sgpr, 0
	.set _ZN7rocprim17ROCPRIM_400000_NS6detail17trampoline_kernelINS0_13select_configILj256ELj13ELNS0_17block_load_methodE3ELS4_3ELS4_3ELNS0_20block_scan_algorithmE0ELj4294967295EEENS1_25partition_config_selectorILNS1_17partition_subalgoE3EjNS0_10empty_typeEbEEZZNS1_14partition_implILS8_3ELb0ES6_jNS0_17counting_iteratorIjlEEPS9_SE_NS0_5tupleIJPjSE_EEENSF_IJSE_SE_EEES9_SG_JZNS1_25segmented_radix_sort_implINS0_14default_configELb1EPKfPfPKlPlN2at6native12_GLOBAL__N_18offset_tEEE10hipError_tPvRmT1_PNSt15iterator_traitsISY_E10value_typeET2_T3_PNSZ_IS14_E10value_typeET4_jRbjT5_S1A_jjP12ihipStream_tbEUljE_EEESV_SW_SX_S14_S18_S1A_T6_T7_T9_mT8_S1C_bDpT10_ENKUlT_T0_E_clISt17integral_constantIbLb1EES1O_IbLb0EEEEDaS1K_S1L_EUlS1K_E_NS1_11comp_targetILNS1_3genE9ELNS1_11target_archE1100ELNS1_3gpuE3ELNS1_3repE0EEENS1_30default_config_static_selectorELNS0_4arch9wavefront6targetE1EEEvSY_.num_named_barrier, 0
	.set _ZN7rocprim17ROCPRIM_400000_NS6detail17trampoline_kernelINS0_13select_configILj256ELj13ELNS0_17block_load_methodE3ELS4_3ELS4_3ELNS0_20block_scan_algorithmE0ELj4294967295EEENS1_25partition_config_selectorILNS1_17partition_subalgoE3EjNS0_10empty_typeEbEEZZNS1_14partition_implILS8_3ELb0ES6_jNS0_17counting_iteratorIjlEEPS9_SE_NS0_5tupleIJPjSE_EEENSF_IJSE_SE_EEES9_SG_JZNS1_25segmented_radix_sort_implINS0_14default_configELb1EPKfPfPKlPlN2at6native12_GLOBAL__N_18offset_tEEE10hipError_tPvRmT1_PNSt15iterator_traitsISY_E10value_typeET2_T3_PNSZ_IS14_E10value_typeET4_jRbjT5_S1A_jjP12ihipStream_tbEUljE_EEESV_SW_SX_S14_S18_S1A_T6_T7_T9_mT8_S1C_bDpT10_ENKUlT_T0_E_clISt17integral_constantIbLb1EES1O_IbLb0EEEEDaS1K_S1L_EUlS1K_E_NS1_11comp_targetILNS1_3genE9ELNS1_11target_archE1100ELNS1_3gpuE3ELNS1_3repE0EEENS1_30default_config_static_selectorELNS0_4arch9wavefront6targetE1EEEvSY_.private_seg_size, 0
	.set _ZN7rocprim17ROCPRIM_400000_NS6detail17trampoline_kernelINS0_13select_configILj256ELj13ELNS0_17block_load_methodE3ELS4_3ELS4_3ELNS0_20block_scan_algorithmE0ELj4294967295EEENS1_25partition_config_selectorILNS1_17partition_subalgoE3EjNS0_10empty_typeEbEEZZNS1_14partition_implILS8_3ELb0ES6_jNS0_17counting_iteratorIjlEEPS9_SE_NS0_5tupleIJPjSE_EEENSF_IJSE_SE_EEES9_SG_JZNS1_25segmented_radix_sort_implINS0_14default_configELb1EPKfPfPKlPlN2at6native12_GLOBAL__N_18offset_tEEE10hipError_tPvRmT1_PNSt15iterator_traitsISY_E10value_typeET2_T3_PNSZ_IS14_E10value_typeET4_jRbjT5_S1A_jjP12ihipStream_tbEUljE_EEESV_SW_SX_S14_S18_S1A_T6_T7_T9_mT8_S1C_bDpT10_ENKUlT_T0_E_clISt17integral_constantIbLb1EES1O_IbLb0EEEEDaS1K_S1L_EUlS1K_E_NS1_11comp_targetILNS1_3genE9ELNS1_11target_archE1100ELNS1_3gpuE3ELNS1_3repE0EEENS1_30default_config_static_selectorELNS0_4arch9wavefront6targetE1EEEvSY_.uses_vcc, 0
	.set _ZN7rocprim17ROCPRIM_400000_NS6detail17trampoline_kernelINS0_13select_configILj256ELj13ELNS0_17block_load_methodE3ELS4_3ELS4_3ELNS0_20block_scan_algorithmE0ELj4294967295EEENS1_25partition_config_selectorILNS1_17partition_subalgoE3EjNS0_10empty_typeEbEEZZNS1_14partition_implILS8_3ELb0ES6_jNS0_17counting_iteratorIjlEEPS9_SE_NS0_5tupleIJPjSE_EEENSF_IJSE_SE_EEES9_SG_JZNS1_25segmented_radix_sort_implINS0_14default_configELb1EPKfPfPKlPlN2at6native12_GLOBAL__N_18offset_tEEE10hipError_tPvRmT1_PNSt15iterator_traitsISY_E10value_typeET2_T3_PNSZ_IS14_E10value_typeET4_jRbjT5_S1A_jjP12ihipStream_tbEUljE_EEESV_SW_SX_S14_S18_S1A_T6_T7_T9_mT8_S1C_bDpT10_ENKUlT_T0_E_clISt17integral_constantIbLb1EES1O_IbLb0EEEEDaS1K_S1L_EUlS1K_E_NS1_11comp_targetILNS1_3genE9ELNS1_11target_archE1100ELNS1_3gpuE3ELNS1_3repE0EEENS1_30default_config_static_selectorELNS0_4arch9wavefront6targetE1EEEvSY_.uses_flat_scratch, 0
	.set _ZN7rocprim17ROCPRIM_400000_NS6detail17trampoline_kernelINS0_13select_configILj256ELj13ELNS0_17block_load_methodE3ELS4_3ELS4_3ELNS0_20block_scan_algorithmE0ELj4294967295EEENS1_25partition_config_selectorILNS1_17partition_subalgoE3EjNS0_10empty_typeEbEEZZNS1_14partition_implILS8_3ELb0ES6_jNS0_17counting_iteratorIjlEEPS9_SE_NS0_5tupleIJPjSE_EEENSF_IJSE_SE_EEES9_SG_JZNS1_25segmented_radix_sort_implINS0_14default_configELb1EPKfPfPKlPlN2at6native12_GLOBAL__N_18offset_tEEE10hipError_tPvRmT1_PNSt15iterator_traitsISY_E10value_typeET2_T3_PNSZ_IS14_E10value_typeET4_jRbjT5_S1A_jjP12ihipStream_tbEUljE_EEESV_SW_SX_S14_S18_S1A_T6_T7_T9_mT8_S1C_bDpT10_ENKUlT_T0_E_clISt17integral_constantIbLb1EES1O_IbLb0EEEEDaS1K_S1L_EUlS1K_E_NS1_11comp_targetILNS1_3genE9ELNS1_11target_archE1100ELNS1_3gpuE3ELNS1_3repE0EEENS1_30default_config_static_selectorELNS0_4arch9wavefront6targetE1EEEvSY_.has_dyn_sized_stack, 0
	.set _ZN7rocprim17ROCPRIM_400000_NS6detail17trampoline_kernelINS0_13select_configILj256ELj13ELNS0_17block_load_methodE3ELS4_3ELS4_3ELNS0_20block_scan_algorithmE0ELj4294967295EEENS1_25partition_config_selectorILNS1_17partition_subalgoE3EjNS0_10empty_typeEbEEZZNS1_14partition_implILS8_3ELb0ES6_jNS0_17counting_iteratorIjlEEPS9_SE_NS0_5tupleIJPjSE_EEENSF_IJSE_SE_EEES9_SG_JZNS1_25segmented_radix_sort_implINS0_14default_configELb1EPKfPfPKlPlN2at6native12_GLOBAL__N_18offset_tEEE10hipError_tPvRmT1_PNSt15iterator_traitsISY_E10value_typeET2_T3_PNSZ_IS14_E10value_typeET4_jRbjT5_S1A_jjP12ihipStream_tbEUljE_EEESV_SW_SX_S14_S18_S1A_T6_T7_T9_mT8_S1C_bDpT10_ENKUlT_T0_E_clISt17integral_constantIbLb1EES1O_IbLb0EEEEDaS1K_S1L_EUlS1K_E_NS1_11comp_targetILNS1_3genE9ELNS1_11target_archE1100ELNS1_3gpuE3ELNS1_3repE0EEENS1_30default_config_static_selectorELNS0_4arch9wavefront6targetE1EEEvSY_.has_recursion, 0
	.set _ZN7rocprim17ROCPRIM_400000_NS6detail17trampoline_kernelINS0_13select_configILj256ELj13ELNS0_17block_load_methodE3ELS4_3ELS4_3ELNS0_20block_scan_algorithmE0ELj4294967295EEENS1_25partition_config_selectorILNS1_17partition_subalgoE3EjNS0_10empty_typeEbEEZZNS1_14partition_implILS8_3ELb0ES6_jNS0_17counting_iteratorIjlEEPS9_SE_NS0_5tupleIJPjSE_EEENSF_IJSE_SE_EEES9_SG_JZNS1_25segmented_radix_sort_implINS0_14default_configELb1EPKfPfPKlPlN2at6native12_GLOBAL__N_18offset_tEEE10hipError_tPvRmT1_PNSt15iterator_traitsISY_E10value_typeET2_T3_PNSZ_IS14_E10value_typeET4_jRbjT5_S1A_jjP12ihipStream_tbEUljE_EEESV_SW_SX_S14_S18_S1A_T6_T7_T9_mT8_S1C_bDpT10_ENKUlT_T0_E_clISt17integral_constantIbLb1EES1O_IbLb0EEEEDaS1K_S1L_EUlS1K_E_NS1_11comp_targetILNS1_3genE9ELNS1_11target_archE1100ELNS1_3gpuE3ELNS1_3repE0EEENS1_30default_config_static_selectorELNS0_4arch9wavefront6targetE1EEEvSY_.has_indirect_call, 0
	.section	.AMDGPU.csdata,"",@progbits
; Kernel info:
; codeLenInByte = 0
; TotalNumSgprs: 4
; NumVgprs: 0
; ScratchSize: 0
; MemoryBound: 0
; FloatMode: 240
; IeeeMode: 1
; LDSByteSize: 0 bytes/workgroup (compile time only)
; SGPRBlocks: 0
; VGPRBlocks: 0
; NumSGPRsForWavesPerEU: 4
; NumVGPRsForWavesPerEU: 1
; Occupancy: 10
; WaveLimiterHint : 0
; COMPUTE_PGM_RSRC2:SCRATCH_EN: 0
; COMPUTE_PGM_RSRC2:USER_SGPR: 6
; COMPUTE_PGM_RSRC2:TRAP_HANDLER: 0
; COMPUTE_PGM_RSRC2:TGID_X_EN: 1
; COMPUTE_PGM_RSRC2:TGID_Y_EN: 0
; COMPUTE_PGM_RSRC2:TGID_Z_EN: 0
; COMPUTE_PGM_RSRC2:TIDIG_COMP_CNT: 0
	.section	.text._ZN7rocprim17ROCPRIM_400000_NS6detail17trampoline_kernelINS0_13select_configILj256ELj13ELNS0_17block_load_methodE3ELS4_3ELS4_3ELNS0_20block_scan_algorithmE0ELj4294967295EEENS1_25partition_config_selectorILNS1_17partition_subalgoE3EjNS0_10empty_typeEbEEZZNS1_14partition_implILS8_3ELb0ES6_jNS0_17counting_iteratorIjlEEPS9_SE_NS0_5tupleIJPjSE_EEENSF_IJSE_SE_EEES9_SG_JZNS1_25segmented_radix_sort_implINS0_14default_configELb1EPKfPfPKlPlN2at6native12_GLOBAL__N_18offset_tEEE10hipError_tPvRmT1_PNSt15iterator_traitsISY_E10value_typeET2_T3_PNSZ_IS14_E10value_typeET4_jRbjT5_S1A_jjP12ihipStream_tbEUljE_EEESV_SW_SX_S14_S18_S1A_T6_T7_T9_mT8_S1C_bDpT10_ENKUlT_T0_E_clISt17integral_constantIbLb1EES1O_IbLb0EEEEDaS1K_S1L_EUlS1K_E_NS1_11comp_targetILNS1_3genE8ELNS1_11target_archE1030ELNS1_3gpuE2ELNS1_3repE0EEENS1_30default_config_static_selectorELNS0_4arch9wavefront6targetE1EEEvSY_,"axG",@progbits,_ZN7rocprim17ROCPRIM_400000_NS6detail17trampoline_kernelINS0_13select_configILj256ELj13ELNS0_17block_load_methodE3ELS4_3ELS4_3ELNS0_20block_scan_algorithmE0ELj4294967295EEENS1_25partition_config_selectorILNS1_17partition_subalgoE3EjNS0_10empty_typeEbEEZZNS1_14partition_implILS8_3ELb0ES6_jNS0_17counting_iteratorIjlEEPS9_SE_NS0_5tupleIJPjSE_EEENSF_IJSE_SE_EEES9_SG_JZNS1_25segmented_radix_sort_implINS0_14default_configELb1EPKfPfPKlPlN2at6native12_GLOBAL__N_18offset_tEEE10hipError_tPvRmT1_PNSt15iterator_traitsISY_E10value_typeET2_T3_PNSZ_IS14_E10value_typeET4_jRbjT5_S1A_jjP12ihipStream_tbEUljE_EEESV_SW_SX_S14_S18_S1A_T6_T7_T9_mT8_S1C_bDpT10_ENKUlT_T0_E_clISt17integral_constantIbLb1EES1O_IbLb0EEEEDaS1K_S1L_EUlS1K_E_NS1_11comp_targetILNS1_3genE8ELNS1_11target_archE1030ELNS1_3gpuE2ELNS1_3repE0EEENS1_30default_config_static_selectorELNS0_4arch9wavefront6targetE1EEEvSY_,comdat
	.globl	_ZN7rocprim17ROCPRIM_400000_NS6detail17trampoline_kernelINS0_13select_configILj256ELj13ELNS0_17block_load_methodE3ELS4_3ELS4_3ELNS0_20block_scan_algorithmE0ELj4294967295EEENS1_25partition_config_selectorILNS1_17partition_subalgoE3EjNS0_10empty_typeEbEEZZNS1_14partition_implILS8_3ELb0ES6_jNS0_17counting_iteratorIjlEEPS9_SE_NS0_5tupleIJPjSE_EEENSF_IJSE_SE_EEES9_SG_JZNS1_25segmented_radix_sort_implINS0_14default_configELb1EPKfPfPKlPlN2at6native12_GLOBAL__N_18offset_tEEE10hipError_tPvRmT1_PNSt15iterator_traitsISY_E10value_typeET2_T3_PNSZ_IS14_E10value_typeET4_jRbjT5_S1A_jjP12ihipStream_tbEUljE_EEESV_SW_SX_S14_S18_S1A_T6_T7_T9_mT8_S1C_bDpT10_ENKUlT_T0_E_clISt17integral_constantIbLb1EES1O_IbLb0EEEEDaS1K_S1L_EUlS1K_E_NS1_11comp_targetILNS1_3genE8ELNS1_11target_archE1030ELNS1_3gpuE2ELNS1_3repE0EEENS1_30default_config_static_selectorELNS0_4arch9wavefront6targetE1EEEvSY_ ; -- Begin function _ZN7rocprim17ROCPRIM_400000_NS6detail17trampoline_kernelINS0_13select_configILj256ELj13ELNS0_17block_load_methodE3ELS4_3ELS4_3ELNS0_20block_scan_algorithmE0ELj4294967295EEENS1_25partition_config_selectorILNS1_17partition_subalgoE3EjNS0_10empty_typeEbEEZZNS1_14partition_implILS8_3ELb0ES6_jNS0_17counting_iteratorIjlEEPS9_SE_NS0_5tupleIJPjSE_EEENSF_IJSE_SE_EEES9_SG_JZNS1_25segmented_radix_sort_implINS0_14default_configELb1EPKfPfPKlPlN2at6native12_GLOBAL__N_18offset_tEEE10hipError_tPvRmT1_PNSt15iterator_traitsISY_E10value_typeET2_T3_PNSZ_IS14_E10value_typeET4_jRbjT5_S1A_jjP12ihipStream_tbEUljE_EEESV_SW_SX_S14_S18_S1A_T6_T7_T9_mT8_S1C_bDpT10_ENKUlT_T0_E_clISt17integral_constantIbLb1EES1O_IbLb0EEEEDaS1K_S1L_EUlS1K_E_NS1_11comp_targetILNS1_3genE8ELNS1_11target_archE1030ELNS1_3gpuE2ELNS1_3repE0EEENS1_30default_config_static_selectorELNS0_4arch9wavefront6targetE1EEEvSY_
	.p2align	8
	.type	_ZN7rocprim17ROCPRIM_400000_NS6detail17trampoline_kernelINS0_13select_configILj256ELj13ELNS0_17block_load_methodE3ELS4_3ELS4_3ELNS0_20block_scan_algorithmE0ELj4294967295EEENS1_25partition_config_selectorILNS1_17partition_subalgoE3EjNS0_10empty_typeEbEEZZNS1_14partition_implILS8_3ELb0ES6_jNS0_17counting_iteratorIjlEEPS9_SE_NS0_5tupleIJPjSE_EEENSF_IJSE_SE_EEES9_SG_JZNS1_25segmented_radix_sort_implINS0_14default_configELb1EPKfPfPKlPlN2at6native12_GLOBAL__N_18offset_tEEE10hipError_tPvRmT1_PNSt15iterator_traitsISY_E10value_typeET2_T3_PNSZ_IS14_E10value_typeET4_jRbjT5_S1A_jjP12ihipStream_tbEUljE_EEESV_SW_SX_S14_S18_S1A_T6_T7_T9_mT8_S1C_bDpT10_ENKUlT_T0_E_clISt17integral_constantIbLb1EES1O_IbLb0EEEEDaS1K_S1L_EUlS1K_E_NS1_11comp_targetILNS1_3genE8ELNS1_11target_archE1030ELNS1_3gpuE2ELNS1_3repE0EEENS1_30default_config_static_selectorELNS0_4arch9wavefront6targetE1EEEvSY_,@function
_ZN7rocprim17ROCPRIM_400000_NS6detail17trampoline_kernelINS0_13select_configILj256ELj13ELNS0_17block_load_methodE3ELS4_3ELS4_3ELNS0_20block_scan_algorithmE0ELj4294967295EEENS1_25partition_config_selectorILNS1_17partition_subalgoE3EjNS0_10empty_typeEbEEZZNS1_14partition_implILS8_3ELb0ES6_jNS0_17counting_iteratorIjlEEPS9_SE_NS0_5tupleIJPjSE_EEENSF_IJSE_SE_EEES9_SG_JZNS1_25segmented_radix_sort_implINS0_14default_configELb1EPKfPfPKlPlN2at6native12_GLOBAL__N_18offset_tEEE10hipError_tPvRmT1_PNSt15iterator_traitsISY_E10value_typeET2_T3_PNSZ_IS14_E10value_typeET4_jRbjT5_S1A_jjP12ihipStream_tbEUljE_EEESV_SW_SX_S14_S18_S1A_T6_T7_T9_mT8_S1C_bDpT10_ENKUlT_T0_E_clISt17integral_constantIbLb1EES1O_IbLb0EEEEDaS1K_S1L_EUlS1K_E_NS1_11comp_targetILNS1_3genE8ELNS1_11target_archE1030ELNS1_3gpuE2ELNS1_3repE0EEENS1_30default_config_static_selectorELNS0_4arch9wavefront6targetE1EEEvSY_: ; @_ZN7rocprim17ROCPRIM_400000_NS6detail17trampoline_kernelINS0_13select_configILj256ELj13ELNS0_17block_load_methodE3ELS4_3ELS4_3ELNS0_20block_scan_algorithmE0ELj4294967295EEENS1_25partition_config_selectorILNS1_17partition_subalgoE3EjNS0_10empty_typeEbEEZZNS1_14partition_implILS8_3ELb0ES6_jNS0_17counting_iteratorIjlEEPS9_SE_NS0_5tupleIJPjSE_EEENSF_IJSE_SE_EEES9_SG_JZNS1_25segmented_radix_sort_implINS0_14default_configELb1EPKfPfPKlPlN2at6native12_GLOBAL__N_18offset_tEEE10hipError_tPvRmT1_PNSt15iterator_traitsISY_E10value_typeET2_T3_PNSZ_IS14_E10value_typeET4_jRbjT5_S1A_jjP12ihipStream_tbEUljE_EEESV_SW_SX_S14_S18_S1A_T6_T7_T9_mT8_S1C_bDpT10_ENKUlT_T0_E_clISt17integral_constantIbLb1EES1O_IbLb0EEEEDaS1K_S1L_EUlS1K_E_NS1_11comp_targetILNS1_3genE8ELNS1_11target_archE1030ELNS1_3gpuE2ELNS1_3repE0EEENS1_30default_config_static_selectorELNS0_4arch9wavefront6targetE1EEEvSY_
; %bb.0:
	.section	.rodata,"a",@progbits
	.p2align	6, 0x0
	.amdhsa_kernel _ZN7rocprim17ROCPRIM_400000_NS6detail17trampoline_kernelINS0_13select_configILj256ELj13ELNS0_17block_load_methodE3ELS4_3ELS4_3ELNS0_20block_scan_algorithmE0ELj4294967295EEENS1_25partition_config_selectorILNS1_17partition_subalgoE3EjNS0_10empty_typeEbEEZZNS1_14partition_implILS8_3ELb0ES6_jNS0_17counting_iteratorIjlEEPS9_SE_NS0_5tupleIJPjSE_EEENSF_IJSE_SE_EEES9_SG_JZNS1_25segmented_radix_sort_implINS0_14default_configELb1EPKfPfPKlPlN2at6native12_GLOBAL__N_18offset_tEEE10hipError_tPvRmT1_PNSt15iterator_traitsISY_E10value_typeET2_T3_PNSZ_IS14_E10value_typeET4_jRbjT5_S1A_jjP12ihipStream_tbEUljE_EEESV_SW_SX_S14_S18_S1A_T6_T7_T9_mT8_S1C_bDpT10_ENKUlT_T0_E_clISt17integral_constantIbLb1EES1O_IbLb0EEEEDaS1K_S1L_EUlS1K_E_NS1_11comp_targetILNS1_3genE8ELNS1_11target_archE1030ELNS1_3gpuE2ELNS1_3repE0EEENS1_30default_config_static_selectorELNS0_4arch9wavefront6targetE1EEEvSY_
		.amdhsa_group_segment_fixed_size 0
		.amdhsa_private_segment_fixed_size 0
		.amdhsa_kernarg_size 144
		.amdhsa_user_sgpr_count 6
		.amdhsa_user_sgpr_private_segment_buffer 1
		.amdhsa_user_sgpr_dispatch_ptr 0
		.amdhsa_user_sgpr_queue_ptr 0
		.amdhsa_user_sgpr_kernarg_segment_ptr 1
		.amdhsa_user_sgpr_dispatch_id 0
		.amdhsa_user_sgpr_flat_scratch_init 0
		.amdhsa_user_sgpr_private_segment_size 0
		.amdhsa_uses_dynamic_stack 0
		.amdhsa_system_sgpr_private_segment_wavefront_offset 0
		.amdhsa_system_sgpr_workgroup_id_x 1
		.amdhsa_system_sgpr_workgroup_id_y 0
		.amdhsa_system_sgpr_workgroup_id_z 0
		.amdhsa_system_sgpr_workgroup_info 0
		.amdhsa_system_vgpr_workitem_id 0
		.amdhsa_next_free_vgpr 1
		.amdhsa_next_free_sgpr 0
		.amdhsa_reserve_vcc 0
		.amdhsa_reserve_flat_scratch 0
		.amdhsa_float_round_mode_32 0
		.amdhsa_float_round_mode_16_64 0
		.amdhsa_float_denorm_mode_32 3
		.amdhsa_float_denorm_mode_16_64 3
		.amdhsa_dx10_clamp 1
		.amdhsa_ieee_mode 1
		.amdhsa_fp16_overflow 0
		.amdhsa_exception_fp_ieee_invalid_op 0
		.amdhsa_exception_fp_denorm_src 0
		.amdhsa_exception_fp_ieee_div_zero 0
		.amdhsa_exception_fp_ieee_overflow 0
		.amdhsa_exception_fp_ieee_underflow 0
		.amdhsa_exception_fp_ieee_inexact 0
		.amdhsa_exception_int_div_zero 0
	.end_amdhsa_kernel
	.section	.text._ZN7rocprim17ROCPRIM_400000_NS6detail17trampoline_kernelINS0_13select_configILj256ELj13ELNS0_17block_load_methodE3ELS4_3ELS4_3ELNS0_20block_scan_algorithmE0ELj4294967295EEENS1_25partition_config_selectorILNS1_17partition_subalgoE3EjNS0_10empty_typeEbEEZZNS1_14partition_implILS8_3ELb0ES6_jNS0_17counting_iteratorIjlEEPS9_SE_NS0_5tupleIJPjSE_EEENSF_IJSE_SE_EEES9_SG_JZNS1_25segmented_radix_sort_implINS0_14default_configELb1EPKfPfPKlPlN2at6native12_GLOBAL__N_18offset_tEEE10hipError_tPvRmT1_PNSt15iterator_traitsISY_E10value_typeET2_T3_PNSZ_IS14_E10value_typeET4_jRbjT5_S1A_jjP12ihipStream_tbEUljE_EEESV_SW_SX_S14_S18_S1A_T6_T7_T9_mT8_S1C_bDpT10_ENKUlT_T0_E_clISt17integral_constantIbLb1EES1O_IbLb0EEEEDaS1K_S1L_EUlS1K_E_NS1_11comp_targetILNS1_3genE8ELNS1_11target_archE1030ELNS1_3gpuE2ELNS1_3repE0EEENS1_30default_config_static_selectorELNS0_4arch9wavefront6targetE1EEEvSY_,"axG",@progbits,_ZN7rocprim17ROCPRIM_400000_NS6detail17trampoline_kernelINS0_13select_configILj256ELj13ELNS0_17block_load_methodE3ELS4_3ELS4_3ELNS0_20block_scan_algorithmE0ELj4294967295EEENS1_25partition_config_selectorILNS1_17partition_subalgoE3EjNS0_10empty_typeEbEEZZNS1_14partition_implILS8_3ELb0ES6_jNS0_17counting_iteratorIjlEEPS9_SE_NS0_5tupleIJPjSE_EEENSF_IJSE_SE_EEES9_SG_JZNS1_25segmented_radix_sort_implINS0_14default_configELb1EPKfPfPKlPlN2at6native12_GLOBAL__N_18offset_tEEE10hipError_tPvRmT1_PNSt15iterator_traitsISY_E10value_typeET2_T3_PNSZ_IS14_E10value_typeET4_jRbjT5_S1A_jjP12ihipStream_tbEUljE_EEESV_SW_SX_S14_S18_S1A_T6_T7_T9_mT8_S1C_bDpT10_ENKUlT_T0_E_clISt17integral_constantIbLb1EES1O_IbLb0EEEEDaS1K_S1L_EUlS1K_E_NS1_11comp_targetILNS1_3genE8ELNS1_11target_archE1030ELNS1_3gpuE2ELNS1_3repE0EEENS1_30default_config_static_selectorELNS0_4arch9wavefront6targetE1EEEvSY_,comdat
.Lfunc_end1316:
	.size	_ZN7rocprim17ROCPRIM_400000_NS6detail17trampoline_kernelINS0_13select_configILj256ELj13ELNS0_17block_load_methodE3ELS4_3ELS4_3ELNS0_20block_scan_algorithmE0ELj4294967295EEENS1_25partition_config_selectorILNS1_17partition_subalgoE3EjNS0_10empty_typeEbEEZZNS1_14partition_implILS8_3ELb0ES6_jNS0_17counting_iteratorIjlEEPS9_SE_NS0_5tupleIJPjSE_EEENSF_IJSE_SE_EEES9_SG_JZNS1_25segmented_radix_sort_implINS0_14default_configELb1EPKfPfPKlPlN2at6native12_GLOBAL__N_18offset_tEEE10hipError_tPvRmT1_PNSt15iterator_traitsISY_E10value_typeET2_T3_PNSZ_IS14_E10value_typeET4_jRbjT5_S1A_jjP12ihipStream_tbEUljE_EEESV_SW_SX_S14_S18_S1A_T6_T7_T9_mT8_S1C_bDpT10_ENKUlT_T0_E_clISt17integral_constantIbLb1EES1O_IbLb0EEEEDaS1K_S1L_EUlS1K_E_NS1_11comp_targetILNS1_3genE8ELNS1_11target_archE1030ELNS1_3gpuE2ELNS1_3repE0EEENS1_30default_config_static_selectorELNS0_4arch9wavefront6targetE1EEEvSY_, .Lfunc_end1316-_ZN7rocprim17ROCPRIM_400000_NS6detail17trampoline_kernelINS0_13select_configILj256ELj13ELNS0_17block_load_methodE3ELS4_3ELS4_3ELNS0_20block_scan_algorithmE0ELj4294967295EEENS1_25partition_config_selectorILNS1_17partition_subalgoE3EjNS0_10empty_typeEbEEZZNS1_14partition_implILS8_3ELb0ES6_jNS0_17counting_iteratorIjlEEPS9_SE_NS0_5tupleIJPjSE_EEENSF_IJSE_SE_EEES9_SG_JZNS1_25segmented_radix_sort_implINS0_14default_configELb1EPKfPfPKlPlN2at6native12_GLOBAL__N_18offset_tEEE10hipError_tPvRmT1_PNSt15iterator_traitsISY_E10value_typeET2_T3_PNSZ_IS14_E10value_typeET4_jRbjT5_S1A_jjP12ihipStream_tbEUljE_EEESV_SW_SX_S14_S18_S1A_T6_T7_T9_mT8_S1C_bDpT10_ENKUlT_T0_E_clISt17integral_constantIbLb1EES1O_IbLb0EEEEDaS1K_S1L_EUlS1K_E_NS1_11comp_targetILNS1_3genE8ELNS1_11target_archE1030ELNS1_3gpuE2ELNS1_3repE0EEENS1_30default_config_static_selectorELNS0_4arch9wavefront6targetE1EEEvSY_
                                        ; -- End function
	.set _ZN7rocprim17ROCPRIM_400000_NS6detail17trampoline_kernelINS0_13select_configILj256ELj13ELNS0_17block_load_methodE3ELS4_3ELS4_3ELNS0_20block_scan_algorithmE0ELj4294967295EEENS1_25partition_config_selectorILNS1_17partition_subalgoE3EjNS0_10empty_typeEbEEZZNS1_14partition_implILS8_3ELb0ES6_jNS0_17counting_iteratorIjlEEPS9_SE_NS0_5tupleIJPjSE_EEENSF_IJSE_SE_EEES9_SG_JZNS1_25segmented_radix_sort_implINS0_14default_configELb1EPKfPfPKlPlN2at6native12_GLOBAL__N_18offset_tEEE10hipError_tPvRmT1_PNSt15iterator_traitsISY_E10value_typeET2_T3_PNSZ_IS14_E10value_typeET4_jRbjT5_S1A_jjP12ihipStream_tbEUljE_EEESV_SW_SX_S14_S18_S1A_T6_T7_T9_mT8_S1C_bDpT10_ENKUlT_T0_E_clISt17integral_constantIbLb1EES1O_IbLb0EEEEDaS1K_S1L_EUlS1K_E_NS1_11comp_targetILNS1_3genE8ELNS1_11target_archE1030ELNS1_3gpuE2ELNS1_3repE0EEENS1_30default_config_static_selectorELNS0_4arch9wavefront6targetE1EEEvSY_.num_vgpr, 0
	.set _ZN7rocprim17ROCPRIM_400000_NS6detail17trampoline_kernelINS0_13select_configILj256ELj13ELNS0_17block_load_methodE3ELS4_3ELS4_3ELNS0_20block_scan_algorithmE0ELj4294967295EEENS1_25partition_config_selectorILNS1_17partition_subalgoE3EjNS0_10empty_typeEbEEZZNS1_14partition_implILS8_3ELb0ES6_jNS0_17counting_iteratorIjlEEPS9_SE_NS0_5tupleIJPjSE_EEENSF_IJSE_SE_EEES9_SG_JZNS1_25segmented_radix_sort_implINS0_14default_configELb1EPKfPfPKlPlN2at6native12_GLOBAL__N_18offset_tEEE10hipError_tPvRmT1_PNSt15iterator_traitsISY_E10value_typeET2_T3_PNSZ_IS14_E10value_typeET4_jRbjT5_S1A_jjP12ihipStream_tbEUljE_EEESV_SW_SX_S14_S18_S1A_T6_T7_T9_mT8_S1C_bDpT10_ENKUlT_T0_E_clISt17integral_constantIbLb1EES1O_IbLb0EEEEDaS1K_S1L_EUlS1K_E_NS1_11comp_targetILNS1_3genE8ELNS1_11target_archE1030ELNS1_3gpuE2ELNS1_3repE0EEENS1_30default_config_static_selectorELNS0_4arch9wavefront6targetE1EEEvSY_.num_agpr, 0
	.set _ZN7rocprim17ROCPRIM_400000_NS6detail17trampoline_kernelINS0_13select_configILj256ELj13ELNS0_17block_load_methodE3ELS4_3ELS4_3ELNS0_20block_scan_algorithmE0ELj4294967295EEENS1_25partition_config_selectorILNS1_17partition_subalgoE3EjNS0_10empty_typeEbEEZZNS1_14partition_implILS8_3ELb0ES6_jNS0_17counting_iteratorIjlEEPS9_SE_NS0_5tupleIJPjSE_EEENSF_IJSE_SE_EEES9_SG_JZNS1_25segmented_radix_sort_implINS0_14default_configELb1EPKfPfPKlPlN2at6native12_GLOBAL__N_18offset_tEEE10hipError_tPvRmT1_PNSt15iterator_traitsISY_E10value_typeET2_T3_PNSZ_IS14_E10value_typeET4_jRbjT5_S1A_jjP12ihipStream_tbEUljE_EEESV_SW_SX_S14_S18_S1A_T6_T7_T9_mT8_S1C_bDpT10_ENKUlT_T0_E_clISt17integral_constantIbLb1EES1O_IbLb0EEEEDaS1K_S1L_EUlS1K_E_NS1_11comp_targetILNS1_3genE8ELNS1_11target_archE1030ELNS1_3gpuE2ELNS1_3repE0EEENS1_30default_config_static_selectorELNS0_4arch9wavefront6targetE1EEEvSY_.numbered_sgpr, 0
	.set _ZN7rocprim17ROCPRIM_400000_NS6detail17trampoline_kernelINS0_13select_configILj256ELj13ELNS0_17block_load_methodE3ELS4_3ELS4_3ELNS0_20block_scan_algorithmE0ELj4294967295EEENS1_25partition_config_selectorILNS1_17partition_subalgoE3EjNS0_10empty_typeEbEEZZNS1_14partition_implILS8_3ELb0ES6_jNS0_17counting_iteratorIjlEEPS9_SE_NS0_5tupleIJPjSE_EEENSF_IJSE_SE_EEES9_SG_JZNS1_25segmented_radix_sort_implINS0_14default_configELb1EPKfPfPKlPlN2at6native12_GLOBAL__N_18offset_tEEE10hipError_tPvRmT1_PNSt15iterator_traitsISY_E10value_typeET2_T3_PNSZ_IS14_E10value_typeET4_jRbjT5_S1A_jjP12ihipStream_tbEUljE_EEESV_SW_SX_S14_S18_S1A_T6_T7_T9_mT8_S1C_bDpT10_ENKUlT_T0_E_clISt17integral_constantIbLb1EES1O_IbLb0EEEEDaS1K_S1L_EUlS1K_E_NS1_11comp_targetILNS1_3genE8ELNS1_11target_archE1030ELNS1_3gpuE2ELNS1_3repE0EEENS1_30default_config_static_selectorELNS0_4arch9wavefront6targetE1EEEvSY_.num_named_barrier, 0
	.set _ZN7rocprim17ROCPRIM_400000_NS6detail17trampoline_kernelINS0_13select_configILj256ELj13ELNS0_17block_load_methodE3ELS4_3ELS4_3ELNS0_20block_scan_algorithmE0ELj4294967295EEENS1_25partition_config_selectorILNS1_17partition_subalgoE3EjNS0_10empty_typeEbEEZZNS1_14partition_implILS8_3ELb0ES6_jNS0_17counting_iteratorIjlEEPS9_SE_NS0_5tupleIJPjSE_EEENSF_IJSE_SE_EEES9_SG_JZNS1_25segmented_radix_sort_implINS0_14default_configELb1EPKfPfPKlPlN2at6native12_GLOBAL__N_18offset_tEEE10hipError_tPvRmT1_PNSt15iterator_traitsISY_E10value_typeET2_T3_PNSZ_IS14_E10value_typeET4_jRbjT5_S1A_jjP12ihipStream_tbEUljE_EEESV_SW_SX_S14_S18_S1A_T6_T7_T9_mT8_S1C_bDpT10_ENKUlT_T0_E_clISt17integral_constantIbLb1EES1O_IbLb0EEEEDaS1K_S1L_EUlS1K_E_NS1_11comp_targetILNS1_3genE8ELNS1_11target_archE1030ELNS1_3gpuE2ELNS1_3repE0EEENS1_30default_config_static_selectorELNS0_4arch9wavefront6targetE1EEEvSY_.private_seg_size, 0
	.set _ZN7rocprim17ROCPRIM_400000_NS6detail17trampoline_kernelINS0_13select_configILj256ELj13ELNS0_17block_load_methodE3ELS4_3ELS4_3ELNS0_20block_scan_algorithmE0ELj4294967295EEENS1_25partition_config_selectorILNS1_17partition_subalgoE3EjNS0_10empty_typeEbEEZZNS1_14partition_implILS8_3ELb0ES6_jNS0_17counting_iteratorIjlEEPS9_SE_NS0_5tupleIJPjSE_EEENSF_IJSE_SE_EEES9_SG_JZNS1_25segmented_radix_sort_implINS0_14default_configELb1EPKfPfPKlPlN2at6native12_GLOBAL__N_18offset_tEEE10hipError_tPvRmT1_PNSt15iterator_traitsISY_E10value_typeET2_T3_PNSZ_IS14_E10value_typeET4_jRbjT5_S1A_jjP12ihipStream_tbEUljE_EEESV_SW_SX_S14_S18_S1A_T6_T7_T9_mT8_S1C_bDpT10_ENKUlT_T0_E_clISt17integral_constantIbLb1EES1O_IbLb0EEEEDaS1K_S1L_EUlS1K_E_NS1_11comp_targetILNS1_3genE8ELNS1_11target_archE1030ELNS1_3gpuE2ELNS1_3repE0EEENS1_30default_config_static_selectorELNS0_4arch9wavefront6targetE1EEEvSY_.uses_vcc, 0
	.set _ZN7rocprim17ROCPRIM_400000_NS6detail17trampoline_kernelINS0_13select_configILj256ELj13ELNS0_17block_load_methodE3ELS4_3ELS4_3ELNS0_20block_scan_algorithmE0ELj4294967295EEENS1_25partition_config_selectorILNS1_17partition_subalgoE3EjNS0_10empty_typeEbEEZZNS1_14partition_implILS8_3ELb0ES6_jNS0_17counting_iteratorIjlEEPS9_SE_NS0_5tupleIJPjSE_EEENSF_IJSE_SE_EEES9_SG_JZNS1_25segmented_radix_sort_implINS0_14default_configELb1EPKfPfPKlPlN2at6native12_GLOBAL__N_18offset_tEEE10hipError_tPvRmT1_PNSt15iterator_traitsISY_E10value_typeET2_T3_PNSZ_IS14_E10value_typeET4_jRbjT5_S1A_jjP12ihipStream_tbEUljE_EEESV_SW_SX_S14_S18_S1A_T6_T7_T9_mT8_S1C_bDpT10_ENKUlT_T0_E_clISt17integral_constantIbLb1EES1O_IbLb0EEEEDaS1K_S1L_EUlS1K_E_NS1_11comp_targetILNS1_3genE8ELNS1_11target_archE1030ELNS1_3gpuE2ELNS1_3repE0EEENS1_30default_config_static_selectorELNS0_4arch9wavefront6targetE1EEEvSY_.uses_flat_scratch, 0
	.set _ZN7rocprim17ROCPRIM_400000_NS6detail17trampoline_kernelINS0_13select_configILj256ELj13ELNS0_17block_load_methodE3ELS4_3ELS4_3ELNS0_20block_scan_algorithmE0ELj4294967295EEENS1_25partition_config_selectorILNS1_17partition_subalgoE3EjNS0_10empty_typeEbEEZZNS1_14partition_implILS8_3ELb0ES6_jNS0_17counting_iteratorIjlEEPS9_SE_NS0_5tupleIJPjSE_EEENSF_IJSE_SE_EEES9_SG_JZNS1_25segmented_radix_sort_implINS0_14default_configELb1EPKfPfPKlPlN2at6native12_GLOBAL__N_18offset_tEEE10hipError_tPvRmT1_PNSt15iterator_traitsISY_E10value_typeET2_T3_PNSZ_IS14_E10value_typeET4_jRbjT5_S1A_jjP12ihipStream_tbEUljE_EEESV_SW_SX_S14_S18_S1A_T6_T7_T9_mT8_S1C_bDpT10_ENKUlT_T0_E_clISt17integral_constantIbLb1EES1O_IbLb0EEEEDaS1K_S1L_EUlS1K_E_NS1_11comp_targetILNS1_3genE8ELNS1_11target_archE1030ELNS1_3gpuE2ELNS1_3repE0EEENS1_30default_config_static_selectorELNS0_4arch9wavefront6targetE1EEEvSY_.has_dyn_sized_stack, 0
	.set _ZN7rocprim17ROCPRIM_400000_NS6detail17trampoline_kernelINS0_13select_configILj256ELj13ELNS0_17block_load_methodE3ELS4_3ELS4_3ELNS0_20block_scan_algorithmE0ELj4294967295EEENS1_25partition_config_selectorILNS1_17partition_subalgoE3EjNS0_10empty_typeEbEEZZNS1_14partition_implILS8_3ELb0ES6_jNS0_17counting_iteratorIjlEEPS9_SE_NS0_5tupleIJPjSE_EEENSF_IJSE_SE_EEES9_SG_JZNS1_25segmented_radix_sort_implINS0_14default_configELb1EPKfPfPKlPlN2at6native12_GLOBAL__N_18offset_tEEE10hipError_tPvRmT1_PNSt15iterator_traitsISY_E10value_typeET2_T3_PNSZ_IS14_E10value_typeET4_jRbjT5_S1A_jjP12ihipStream_tbEUljE_EEESV_SW_SX_S14_S18_S1A_T6_T7_T9_mT8_S1C_bDpT10_ENKUlT_T0_E_clISt17integral_constantIbLb1EES1O_IbLb0EEEEDaS1K_S1L_EUlS1K_E_NS1_11comp_targetILNS1_3genE8ELNS1_11target_archE1030ELNS1_3gpuE2ELNS1_3repE0EEENS1_30default_config_static_selectorELNS0_4arch9wavefront6targetE1EEEvSY_.has_recursion, 0
	.set _ZN7rocprim17ROCPRIM_400000_NS6detail17trampoline_kernelINS0_13select_configILj256ELj13ELNS0_17block_load_methodE3ELS4_3ELS4_3ELNS0_20block_scan_algorithmE0ELj4294967295EEENS1_25partition_config_selectorILNS1_17partition_subalgoE3EjNS0_10empty_typeEbEEZZNS1_14partition_implILS8_3ELb0ES6_jNS0_17counting_iteratorIjlEEPS9_SE_NS0_5tupleIJPjSE_EEENSF_IJSE_SE_EEES9_SG_JZNS1_25segmented_radix_sort_implINS0_14default_configELb1EPKfPfPKlPlN2at6native12_GLOBAL__N_18offset_tEEE10hipError_tPvRmT1_PNSt15iterator_traitsISY_E10value_typeET2_T3_PNSZ_IS14_E10value_typeET4_jRbjT5_S1A_jjP12ihipStream_tbEUljE_EEESV_SW_SX_S14_S18_S1A_T6_T7_T9_mT8_S1C_bDpT10_ENKUlT_T0_E_clISt17integral_constantIbLb1EES1O_IbLb0EEEEDaS1K_S1L_EUlS1K_E_NS1_11comp_targetILNS1_3genE8ELNS1_11target_archE1030ELNS1_3gpuE2ELNS1_3repE0EEENS1_30default_config_static_selectorELNS0_4arch9wavefront6targetE1EEEvSY_.has_indirect_call, 0
	.section	.AMDGPU.csdata,"",@progbits
; Kernel info:
; codeLenInByte = 0
; TotalNumSgprs: 4
; NumVgprs: 0
; ScratchSize: 0
; MemoryBound: 0
; FloatMode: 240
; IeeeMode: 1
; LDSByteSize: 0 bytes/workgroup (compile time only)
; SGPRBlocks: 0
; VGPRBlocks: 0
; NumSGPRsForWavesPerEU: 4
; NumVGPRsForWavesPerEU: 1
; Occupancy: 10
; WaveLimiterHint : 0
; COMPUTE_PGM_RSRC2:SCRATCH_EN: 0
; COMPUTE_PGM_RSRC2:USER_SGPR: 6
; COMPUTE_PGM_RSRC2:TRAP_HANDLER: 0
; COMPUTE_PGM_RSRC2:TGID_X_EN: 1
; COMPUTE_PGM_RSRC2:TGID_Y_EN: 0
; COMPUTE_PGM_RSRC2:TGID_Z_EN: 0
; COMPUTE_PGM_RSRC2:TIDIG_COMP_CNT: 0
	.section	.text._ZN7rocprim17ROCPRIM_400000_NS6detail17trampoline_kernelINS0_13select_configILj256ELj13ELNS0_17block_load_methodE3ELS4_3ELS4_3ELNS0_20block_scan_algorithmE0ELj4294967295EEENS1_25partition_config_selectorILNS1_17partition_subalgoE3EjNS0_10empty_typeEbEEZZNS1_14partition_implILS8_3ELb0ES6_jNS0_17counting_iteratorIjlEEPS9_SE_NS0_5tupleIJPjSE_EEENSF_IJSE_SE_EEES9_SG_JZNS1_25segmented_radix_sort_implINS0_14default_configELb1EPKfPfPKlPlN2at6native12_GLOBAL__N_18offset_tEEE10hipError_tPvRmT1_PNSt15iterator_traitsISY_E10value_typeET2_T3_PNSZ_IS14_E10value_typeET4_jRbjT5_S1A_jjP12ihipStream_tbEUljE_EEESV_SW_SX_S14_S18_S1A_T6_T7_T9_mT8_S1C_bDpT10_ENKUlT_T0_E_clISt17integral_constantIbLb0EES1O_IbLb1EEEEDaS1K_S1L_EUlS1K_E_NS1_11comp_targetILNS1_3genE0ELNS1_11target_archE4294967295ELNS1_3gpuE0ELNS1_3repE0EEENS1_30default_config_static_selectorELNS0_4arch9wavefront6targetE1EEEvSY_,"axG",@progbits,_ZN7rocprim17ROCPRIM_400000_NS6detail17trampoline_kernelINS0_13select_configILj256ELj13ELNS0_17block_load_methodE3ELS4_3ELS4_3ELNS0_20block_scan_algorithmE0ELj4294967295EEENS1_25partition_config_selectorILNS1_17partition_subalgoE3EjNS0_10empty_typeEbEEZZNS1_14partition_implILS8_3ELb0ES6_jNS0_17counting_iteratorIjlEEPS9_SE_NS0_5tupleIJPjSE_EEENSF_IJSE_SE_EEES9_SG_JZNS1_25segmented_radix_sort_implINS0_14default_configELb1EPKfPfPKlPlN2at6native12_GLOBAL__N_18offset_tEEE10hipError_tPvRmT1_PNSt15iterator_traitsISY_E10value_typeET2_T3_PNSZ_IS14_E10value_typeET4_jRbjT5_S1A_jjP12ihipStream_tbEUljE_EEESV_SW_SX_S14_S18_S1A_T6_T7_T9_mT8_S1C_bDpT10_ENKUlT_T0_E_clISt17integral_constantIbLb0EES1O_IbLb1EEEEDaS1K_S1L_EUlS1K_E_NS1_11comp_targetILNS1_3genE0ELNS1_11target_archE4294967295ELNS1_3gpuE0ELNS1_3repE0EEENS1_30default_config_static_selectorELNS0_4arch9wavefront6targetE1EEEvSY_,comdat
	.globl	_ZN7rocprim17ROCPRIM_400000_NS6detail17trampoline_kernelINS0_13select_configILj256ELj13ELNS0_17block_load_methodE3ELS4_3ELS4_3ELNS0_20block_scan_algorithmE0ELj4294967295EEENS1_25partition_config_selectorILNS1_17partition_subalgoE3EjNS0_10empty_typeEbEEZZNS1_14partition_implILS8_3ELb0ES6_jNS0_17counting_iteratorIjlEEPS9_SE_NS0_5tupleIJPjSE_EEENSF_IJSE_SE_EEES9_SG_JZNS1_25segmented_radix_sort_implINS0_14default_configELb1EPKfPfPKlPlN2at6native12_GLOBAL__N_18offset_tEEE10hipError_tPvRmT1_PNSt15iterator_traitsISY_E10value_typeET2_T3_PNSZ_IS14_E10value_typeET4_jRbjT5_S1A_jjP12ihipStream_tbEUljE_EEESV_SW_SX_S14_S18_S1A_T6_T7_T9_mT8_S1C_bDpT10_ENKUlT_T0_E_clISt17integral_constantIbLb0EES1O_IbLb1EEEEDaS1K_S1L_EUlS1K_E_NS1_11comp_targetILNS1_3genE0ELNS1_11target_archE4294967295ELNS1_3gpuE0ELNS1_3repE0EEENS1_30default_config_static_selectorELNS0_4arch9wavefront6targetE1EEEvSY_ ; -- Begin function _ZN7rocprim17ROCPRIM_400000_NS6detail17trampoline_kernelINS0_13select_configILj256ELj13ELNS0_17block_load_methodE3ELS4_3ELS4_3ELNS0_20block_scan_algorithmE0ELj4294967295EEENS1_25partition_config_selectorILNS1_17partition_subalgoE3EjNS0_10empty_typeEbEEZZNS1_14partition_implILS8_3ELb0ES6_jNS0_17counting_iteratorIjlEEPS9_SE_NS0_5tupleIJPjSE_EEENSF_IJSE_SE_EEES9_SG_JZNS1_25segmented_radix_sort_implINS0_14default_configELb1EPKfPfPKlPlN2at6native12_GLOBAL__N_18offset_tEEE10hipError_tPvRmT1_PNSt15iterator_traitsISY_E10value_typeET2_T3_PNSZ_IS14_E10value_typeET4_jRbjT5_S1A_jjP12ihipStream_tbEUljE_EEESV_SW_SX_S14_S18_S1A_T6_T7_T9_mT8_S1C_bDpT10_ENKUlT_T0_E_clISt17integral_constantIbLb0EES1O_IbLb1EEEEDaS1K_S1L_EUlS1K_E_NS1_11comp_targetILNS1_3genE0ELNS1_11target_archE4294967295ELNS1_3gpuE0ELNS1_3repE0EEENS1_30default_config_static_selectorELNS0_4arch9wavefront6targetE1EEEvSY_
	.p2align	8
	.type	_ZN7rocprim17ROCPRIM_400000_NS6detail17trampoline_kernelINS0_13select_configILj256ELj13ELNS0_17block_load_methodE3ELS4_3ELS4_3ELNS0_20block_scan_algorithmE0ELj4294967295EEENS1_25partition_config_selectorILNS1_17partition_subalgoE3EjNS0_10empty_typeEbEEZZNS1_14partition_implILS8_3ELb0ES6_jNS0_17counting_iteratorIjlEEPS9_SE_NS0_5tupleIJPjSE_EEENSF_IJSE_SE_EEES9_SG_JZNS1_25segmented_radix_sort_implINS0_14default_configELb1EPKfPfPKlPlN2at6native12_GLOBAL__N_18offset_tEEE10hipError_tPvRmT1_PNSt15iterator_traitsISY_E10value_typeET2_T3_PNSZ_IS14_E10value_typeET4_jRbjT5_S1A_jjP12ihipStream_tbEUljE_EEESV_SW_SX_S14_S18_S1A_T6_T7_T9_mT8_S1C_bDpT10_ENKUlT_T0_E_clISt17integral_constantIbLb0EES1O_IbLb1EEEEDaS1K_S1L_EUlS1K_E_NS1_11comp_targetILNS1_3genE0ELNS1_11target_archE4294967295ELNS1_3gpuE0ELNS1_3repE0EEENS1_30default_config_static_selectorELNS0_4arch9wavefront6targetE1EEEvSY_,@function
_ZN7rocprim17ROCPRIM_400000_NS6detail17trampoline_kernelINS0_13select_configILj256ELj13ELNS0_17block_load_methodE3ELS4_3ELS4_3ELNS0_20block_scan_algorithmE0ELj4294967295EEENS1_25partition_config_selectorILNS1_17partition_subalgoE3EjNS0_10empty_typeEbEEZZNS1_14partition_implILS8_3ELb0ES6_jNS0_17counting_iteratorIjlEEPS9_SE_NS0_5tupleIJPjSE_EEENSF_IJSE_SE_EEES9_SG_JZNS1_25segmented_radix_sort_implINS0_14default_configELb1EPKfPfPKlPlN2at6native12_GLOBAL__N_18offset_tEEE10hipError_tPvRmT1_PNSt15iterator_traitsISY_E10value_typeET2_T3_PNSZ_IS14_E10value_typeET4_jRbjT5_S1A_jjP12ihipStream_tbEUljE_EEESV_SW_SX_S14_S18_S1A_T6_T7_T9_mT8_S1C_bDpT10_ENKUlT_T0_E_clISt17integral_constantIbLb0EES1O_IbLb1EEEEDaS1K_S1L_EUlS1K_E_NS1_11comp_targetILNS1_3genE0ELNS1_11target_archE4294967295ELNS1_3gpuE0ELNS1_3repE0EEENS1_30default_config_static_selectorELNS0_4arch9wavefront6targetE1EEEvSY_: ; @_ZN7rocprim17ROCPRIM_400000_NS6detail17trampoline_kernelINS0_13select_configILj256ELj13ELNS0_17block_load_methodE3ELS4_3ELS4_3ELNS0_20block_scan_algorithmE0ELj4294967295EEENS1_25partition_config_selectorILNS1_17partition_subalgoE3EjNS0_10empty_typeEbEEZZNS1_14partition_implILS8_3ELb0ES6_jNS0_17counting_iteratorIjlEEPS9_SE_NS0_5tupleIJPjSE_EEENSF_IJSE_SE_EEES9_SG_JZNS1_25segmented_radix_sort_implINS0_14default_configELb1EPKfPfPKlPlN2at6native12_GLOBAL__N_18offset_tEEE10hipError_tPvRmT1_PNSt15iterator_traitsISY_E10value_typeET2_T3_PNSZ_IS14_E10value_typeET4_jRbjT5_S1A_jjP12ihipStream_tbEUljE_EEESV_SW_SX_S14_S18_S1A_T6_T7_T9_mT8_S1C_bDpT10_ENKUlT_T0_E_clISt17integral_constantIbLb0EES1O_IbLb1EEEEDaS1K_S1L_EUlS1K_E_NS1_11comp_targetILNS1_3genE0ELNS1_11target_archE4294967295ELNS1_3gpuE0ELNS1_3repE0EEENS1_30default_config_static_selectorELNS0_4arch9wavefront6targetE1EEEvSY_
; %bb.0:
	.section	.rodata,"a",@progbits
	.p2align	6, 0x0
	.amdhsa_kernel _ZN7rocprim17ROCPRIM_400000_NS6detail17trampoline_kernelINS0_13select_configILj256ELj13ELNS0_17block_load_methodE3ELS4_3ELS4_3ELNS0_20block_scan_algorithmE0ELj4294967295EEENS1_25partition_config_selectorILNS1_17partition_subalgoE3EjNS0_10empty_typeEbEEZZNS1_14partition_implILS8_3ELb0ES6_jNS0_17counting_iteratorIjlEEPS9_SE_NS0_5tupleIJPjSE_EEENSF_IJSE_SE_EEES9_SG_JZNS1_25segmented_radix_sort_implINS0_14default_configELb1EPKfPfPKlPlN2at6native12_GLOBAL__N_18offset_tEEE10hipError_tPvRmT1_PNSt15iterator_traitsISY_E10value_typeET2_T3_PNSZ_IS14_E10value_typeET4_jRbjT5_S1A_jjP12ihipStream_tbEUljE_EEESV_SW_SX_S14_S18_S1A_T6_T7_T9_mT8_S1C_bDpT10_ENKUlT_T0_E_clISt17integral_constantIbLb0EES1O_IbLb1EEEEDaS1K_S1L_EUlS1K_E_NS1_11comp_targetILNS1_3genE0ELNS1_11target_archE4294967295ELNS1_3gpuE0ELNS1_3repE0EEENS1_30default_config_static_selectorELNS0_4arch9wavefront6targetE1EEEvSY_
		.amdhsa_group_segment_fixed_size 0
		.amdhsa_private_segment_fixed_size 0
		.amdhsa_kernarg_size 152
		.amdhsa_user_sgpr_count 6
		.amdhsa_user_sgpr_private_segment_buffer 1
		.amdhsa_user_sgpr_dispatch_ptr 0
		.amdhsa_user_sgpr_queue_ptr 0
		.amdhsa_user_sgpr_kernarg_segment_ptr 1
		.amdhsa_user_sgpr_dispatch_id 0
		.amdhsa_user_sgpr_flat_scratch_init 0
		.amdhsa_user_sgpr_private_segment_size 0
		.amdhsa_uses_dynamic_stack 0
		.amdhsa_system_sgpr_private_segment_wavefront_offset 0
		.amdhsa_system_sgpr_workgroup_id_x 1
		.amdhsa_system_sgpr_workgroup_id_y 0
		.amdhsa_system_sgpr_workgroup_id_z 0
		.amdhsa_system_sgpr_workgroup_info 0
		.amdhsa_system_vgpr_workitem_id 0
		.amdhsa_next_free_vgpr 1
		.amdhsa_next_free_sgpr 0
		.amdhsa_reserve_vcc 0
		.amdhsa_reserve_flat_scratch 0
		.amdhsa_float_round_mode_32 0
		.amdhsa_float_round_mode_16_64 0
		.amdhsa_float_denorm_mode_32 3
		.amdhsa_float_denorm_mode_16_64 3
		.amdhsa_dx10_clamp 1
		.amdhsa_ieee_mode 1
		.amdhsa_fp16_overflow 0
		.amdhsa_exception_fp_ieee_invalid_op 0
		.amdhsa_exception_fp_denorm_src 0
		.amdhsa_exception_fp_ieee_div_zero 0
		.amdhsa_exception_fp_ieee_overflow 0
		.amdhsa_exception_fp_ieee_underflow 0
		.amdhsa_exception_fp_ieee_inexact 0
		.amdhsa_exception_int_div_zero 0
	.end_amdhsa_kernel
	.section	.text._ZN7rocprim17ROCPRIM_400000_NS6detail17trampoline_kernelINS0_13select_configILj256ELj13ELNS0_17block_load_methodE3ELS4_3ELS4_3ELNS0_20block_scan_algorithmE0ELj4294967295EEENS1_25partition_config_selectorILNS1_17partition_subalgoE3EjNS0_10empty_typeEbEEZZNS1_14partition_implILS8_3ELb0ES6_jNS0_17counting_iteratorIjlEEPS9_SE_NS0_5tupleIJPjSE_EEENSF_IJSE_SE_EEES9_SG_JZNS1_25segmented_radix_sort_implINS0_14default_configELb1EPKfPfPKlPlN2at6native12_GLOBAL__N_18offset_tEEE10hipError_tPvRmT1_PNSt15iterator_traitsISY_E10value_typeET2_T3_PNSZ_IS14_E10value_typeET4_jRbjT5_S1A_jjP12ihipStream_tbEUljE_EEESV_SW_SX_S14_S18_S1A_T6_T7_T9_mT8_S1C_bDpT10_ENKUlT_T0_E_clISt17integral_constantIbLb0EES1O_IbLb1EEEEDaS1K_S1L_EUlS1K_E_NS1_11comp_targetILNS1_3genE0ELNS1_11target_archE4294967295ELNS1_3gpuE0ELNS1_3repE0EEENS1_30default_config_static_selectorELNS0_4arch9wavefront6targetE1EEEvSY_,"axG",@progbits,_ZN7rocprim17ROCPRIM_400000_NS6detail17trampoline_kernelINS0_13select_configILj256ELj13ELNS0_17block_load_methodE3ELS4_3ELS4_3ELNS0_20block_scan_algorithmE0ELj4294967295EEENS1_25partition_config_selectorILNS1_17partition_subalgoE3EjNS0_10empty_typeEbEEZZNS1_14partition_implILS8_3ELb0ES6_jNS0_17counting_iteratorIjlEEPS9_SE_NS0_5tupleIJPjSE_EEENSF_IJSE_SE_EEES9_SG_JZNS1_25segmented_radix_sort_implINS0_14default_configELb1EPKfPfPKlPlN2at6native12_GLOBAL__N_18offset_tEEE10hipError_tPvRmT1_PNSt15iterator_traitsISY_E10value_typeET2_T3_PNSZ_IS14_E10value_typeET4_jRbjT5_S1A_jjP12ihipStream_tbEUljE_EEESV_SW_SX_S14_S18_S1A_T6_T7_T9_mT8_S1C_bDpT10_ENKUlT_T0_E_clISt17integral_constantIbLb0EES1O_IbLb1EEEEDaS1K_S1L_EUlS1K_E_NS1_11comp_targetILNS1_3genE0ELNS1_11target_archE4294967295ELNS1_3gpuE0ELNS1_3repE0EEENS1_30default_config_static_selectorELNS0_4arch9wavefront6targetE1EEEvSY_,comdat
.Lfunc_end1317:
	.size	_ZN7rocprim17ROCPRIM_400000_NS6detail17trampoline_kernelINS0_13select_configILj256ELj13ELNS0_17block_load_methodE3ELS4_3ELS4_3ELNS0_20block_scan_algorithmE0ELj4294967295EEENS1_25partition_config_selectorILNS1_17partition_subalgoE3EjNS0_10empty_typeEbEEZZNS1_14partition_implILS8_3ELb0ES6_jNS0_17counting_iteratorIjlEEPS9_SE_NS0_5tupleIJPjSE_EEENSF_IJSE_SE_EEES9_SG_JZNS1_25segmented_radix_sort_implINS0_14default_configELb1EPKfPfPKlPlN2at6native12_GLOBAL__N_18offset_tEEE10hipError_tPvRmT1_PNSt15iterator_traitsISY_E10value_typeET2_T3_PNSZ_IS14_E10value_typeET4_jRbjT5_S1A_jjP12ihipStream_tbEUljE_EEESV_SW_SX_S14_S18_S1A_T6_T7_T9_mT8_S1C_bDpT10_ENKUlT_T0_E_clISt17integral_constantIbLb0EES1O_IbLb1EEEEDaS1K_S1L_EUlS1K_E_NS1_11comp_targetILNS1_3genE0ELNS1_11target_archE4294967295ELNS1_3gpuE0ELNS1_3repE0EEENS1_30default_config_static_selectorELNS0_4arch9wavefront6targetE1EEEvSY_, .Lfunc_end1317-_ZN7rocprim17ROCPRIM_400000_NS6detail17trampoline_kernelINS0_13select_configILj256ELj13ELNS0_17block_load_methodE3ELS4_3ELS4_3ELNS0_20block_scan_algorithmE0ELj4294967295EEENS1_25partition_config_selectorILNS1_17partition_subalgoE3EjNS0_10empty_typeEbEEZZNS1_14partition_implILS8_3ELb0ES6_jNS0_17counting_iteratorIjlEEPS9_SE_NS0_5tupleIJPjSE_EEENSF_IJSE_SE_EEES9_SG_JZNS1_25segmented_radix_sort_implINS0_14default_configELb1EPKfPfPKlPlN2at6native12_GLOBAL__N_18offset_tEEE10hipError_tPvRmT1_PNSt15iterator_traitsISY_E10value_typeET2_T3_PNSZ_IS14_E10value_typeET4_jRbjT5_S1A_jjP12ihipStream_tbEUljE_EEESV_SW_SX_S14_S18_S1A_T6_T7_T9_mT8_S1C_bDpT10_ENKUlT_T0_E_clISt17integral_constantIbLb0EES1O_IbLb1EEEEDaS1K_S1L_EUlS1K_E_NS1_11comp_targetILNS1_3genE0ELNS1_11target_archE4294967295ELNS1_3gpuE0ELNS1_3repE0EEENS1_30default_config_static_selectorELNS0_4arch9wavefront6targetE1EEEvSY_
                                        ; -- End function
	.set _ZN7rocprim17ROCPRIM_400000_NS6detail17trampoline_kernelINS0_13select_configILj256ELj13ELNS0_17block_load_methodE3ELS4_3ELS4_3ELNS0_20block_scan_algorithmE0ELj4294967295EEENS1_25partition_config_selectorILNS1_17partition_subalgoE3EjNS0_10empty_typeEbEEZZNS1_14partition_implILS8_3ELb0ES6_jNS0_17counting_iteratorIjlEEPS9_SE_NS0_5tupleIJPjSE_EEENSF_IJSE_SE_EEES9_SG_JZNS1_25segmented_radix_sort_implINS0_14default_configELb1EPKfPfPKlPlN2at6native12_GLOBAL__N_18offset_tEEE10hipError_tPvRmT1_PNSt15iterator_traitsISY_E10value_typeET2_T3_PNSZ_IS14_E10value_typeET4_jRbjT5_S1A_jjP12ihipStream_tbEUljE_EEESV_SW_SX_S14_S18_S1A_T6_T7_T9_mT8_S1C_bDpT10_ENKUlT_T0_E_clISt17integral_constantIbLb0EES1O_IbLb1EEEEDaS1K_S1L_EUlS1K_E_NS1_11comp_targetILNS1_3genE0ELNS1_11target_archE4294967295ELNS1_3gpuE0ELNS1_3repE0EEENS1_30default_config_static_selectorELNS0_4arch9wavefront6targetE1EEEvSY_.num_vgpr, 0
	.set _ZN7rocprim17ROCPRIM_400000_NS6detail17trampoline_kernelINS0_13select_configILj256ELj13ELNS0_17block_load_methodE3ELS4_3ELS4_3ELNS0_20block_scan_algorithmE0ELj4294967295EEENS1_25partition_config_selectorILNS1_17partition_subalgoE3EjNS0_10empty_typeEbEEZZNS1_14partition_implILS8_3ELb0ES6_jNS0_17counting_iteratorIjlEEPS9_SE_NS0_5tupleIJPjSE_EEENSF_IJSE_SE_EEES9_SG_JZNS1_25segmented_radix_sort_implINS0_14default_configELb1EPKfPfPKlPlN2at6native12_GLOBAL__N_18offset_tEEE10hipError_tPvRmT1_PNSt15iterator_traitsISY_E10value_typeET2_T3_PNSZ_IS14_E10value_typeET4_jRbjT5_S1A_jjP12ihipStream_tbEUljE_EEESV_SW_SX_S14_S18_S1A_T6_T7_T9_mT8_S1C_bDpT10_ENKUlT_T0_E_clISt17integral_constantIbLb0EES1O_IbLb1EEEEDaS1K_S1L_EUlS1K_E_NS1_11comp_targetILNS1_3genE0ELNS1_11target_archE4294967295ELNS1_3gpuE0ELNS1_3repE0EEENS1_30default_config_static_selectorELNS0_4arch9wavefront6targetE1EEEvSY_.num_agpr, 0
	.set _ZN7rocprim17ROCPRIM_400000_NS6detail17trampoline_kernelINS0_13select_configILj256ELj13ELNS0_17block_load_methodE3ELS4_3ELS4_3ELNS0_20block_scan_algorithmE0ELj4294967295EEENS1_25partition_config_selectorILNS1_17partition_subalgoE3EjNS0_10empty_typeEbEEZZNS1_14partition_implILS8_3ELb0ES6_jNS0_17counting_iteratorIjlEEPS9_SE_NS0_5tupleIJPjSE_EEENSF_IJSE_SE_EEES9_SG_JZNS1_25segmented_radix_sort_implINS0_14default_configELb1EPKfPfPKlPlN2at6native12_GLOBAL__N_18offset_tEEE10hipError_tPvRmT1_PNSt15iterator_traitsISY_E10value_typeET2_T3_PNSZ_IS14_E10value_typeET4_jRbjT5_S1A_jjP12ihipStream_tbEUljE_EEESV_SW_SX_S14_S18_S1A_T6_T7_T9_mT8_S1C_bDpT10_ENKUlT_T0_E_clISt17integral_constantIbLb0EES1O_IbLb1EEEEDaS1K_S1L_EUlS1K_E_NS1_11comp_targetILNS1_3genE0ELNS1_11target_archE4294967295ELNS1_3gpuE0ELNS1_3repE0EEENS1_30default_config_static_selectorELNS0_4arch9wavefront6targetE1EEEvSY_.numbered_sgpr, 0
	.set _ZN7rocprim17ROCPRIM_400000_NS6detail17trampoline_kernelINS0_13select_configILj256ELj13ELNS0_17block_load_methodE3ELS4_3ELS4_3ELNS0_20block_scan_algorithmE0ELj4294967295EEENS1_25partition_config_selectorILNS1_17partition_subalgoE3EjNS0_10empty_typeEbEEZZNS1_14partition_implILS8_3ELb0ES6_jNS0_17counting_iteratorIjlEEPS9_SE_NS0_5tupleIJPjSE_EEENSF_IJSE_SE_EEES9_SG_JZNS1_25segmented_radix_sort_implINS0_14default_configELb1EPKfPfPKlPlN2at6native12_GLOBAL__N_18offset_tEEE10hipError_tPvRmT1_PNSt15iterator_traitsISY_E10value_typeET2_T3_PNSZ_IS14_E10value_typeET4_jRbjT5_S1A_jjP12ihipStream_tbEUljE_EEESV_SW_SX_S14_S18_S1A_T6_T7_T9_mT8_S1C_bDpT10_ENKUlT_T0_E_clISt17integral_constantIbLb0EES1O_IbLb1EEEEDaS1K_S1L_EUlS1K_E_NS1_11comp_targetILNS1_3genE0ELNS1_11target_archE4294967295ELNS1_3gpuE0ELNS1_3repE0EEENS1_30default_config_static_selectorELNS0_4arch9wavefront6targetE1EEEvSY_.num_named_barrier, 0
	.set _ZN7rocprim17ROCPRIM_400000_NS6detail17trampoline_kernelINS0_13select_configILj256ELj13ELNS0_17block_load_methodE3ELS4_3ELS4_3ELNS0_20block_scan_algorithmE0ELj4294967295EEENS1_25partition_config_selectorILNS1_17partition_subalgoE3EjNS0_10empty_typeEbEEZZNS1_14partition_implILS8_3ELb0ES6_jNS0_17counting_iteratorIjlEEPS9_SE_NS0_5tupleIJPjSE_EEENSF_IJSE_SE_EEES9_SG_JZNS1_25segmented_radix_sort_implINS0_14default_configELb1EPKfPfPKlPlN2at6native12_GLOBAL__N_18offset_tEEE10hipError_tPvRmT1_PNSt15iterator_traitsISY_E10value_typeET2_T3_PNSZ_IS14_E10value_typeET4_jRbjT5_S1A_jjP12ihipStream_tbEUljE_EEESV_SW_SX_S14_S18_S1A_T6_T7_T9_mT8_S1C_bDpT10_ENKUlT_T0_E_clISt17integral_constantIbLb0EES1O_IbLb1EEEEDaS1K_S1L_EUlS1K_E_NS1_11comp_targetILNS1_3genE0ELNS1_11target_archE4294967295ELNS1_3gpuE0ELNS1_3repE0EEENS1_30default_config_static_selectorELNS0_4arch9wavefront6targetE1EEEvSY_.private_seg_size, 0
	.set _ZN7rocprim17ROCPRIM_400000_NS6detail17trampoline_kernelINS0_13select_configILj256ELj13ELNS0_17block_load_methodE3ELS4_3ELS4_3ELNS0_20block_scan_algorithmE0ELj4294967295EEENS1_25partition_config_selectorILNS1_17partition_subalgoE3EjNS0_10empty_typeEbEEZZNS1_14partition_implILS8_3ELb0ES6_jNS0_17counting_iteratorIjlEEPS9_SE_NS0_5tupleIJPjSE_EEENSF_IJSE_SE_EEES9_SG_JZNS1_25segmented_radix_sort_implINS0_14default_configELb1EPKfPfPKlPlN2at6native12_GLOBAL__N_18offset_tEEE10hipError_tPvRmT1_PNSt15iterator_traitsISY_E10value_typeET2_T3_PNSZ_IS14_E10value_typeET4_jRbjT5_S1A_jjP12ihipStream_tbEUljE_EEESV_SW_SX_S14_S18_S1A_T6_T7_T9_mT8_S1C_bDpT10_ENKUlT_T0_E_clISt17integral_constantIbLb0EES1O_IbLb1EEEEDaS1K_S1L_EUlS1K_E_NS1_11comp_targetILNS1_3genE0ELNS1_11target_archE4294967295ELNS1_3gpuE0ELNS1_3repE0EEENS1_30default_config_static_selectorELNS0_4arch9wavefront6targetE1EEEvSY_.uses_vcc, 0
	.set _ZN7rocprim17ROCPRIM_400000_NS6detail17trampoline_kernelINS0_13select_configILj256ELj13ELNS0_17block_load_methodE3ELS4_3ELS4_3ELNS0_20block_scan_algorithmE0ELj4294967295EEENS1_25partition_config_selectorILNS1_17partition_subalgoE3EjNS0_10empty_typeEbEEZZNS1_14partition_implILS8_3ELb0ES6_jNS0_17counting_iteratorIjlEEPS9_SE_NS0_5tupleIJPjSE_EEENSF_IJSE_SE_EEES9_SG_JZNS1_25segmented_radix_sort_implINS0_14default_configELb1EPKfPfPKlPlN2at6native12_GLOBAL__N_18offset_tEEE10hipError_tPvRmT1_PNSt15iterator_traitsISY_E10value_typeET2_T3_PNSZ_IS14_E10value_typeET4_jRbjT5_S1A_jjP12ihipStream_tbEUljE_EEESV_SW_SX_S14_S18_S1A_T6_T7_T9_mT8_S1C_bDpT10_ENKUlT_T0_E_clISt17integral_constantIbLb0EES1O_IbLb1EEEEDaS1K_S1L_EUlS1K_E_NS1_11comp_targetILNS1_3genE0ELNS1_11target_archE4294967295ELNS1_3gpuE0ELNS1_3repE0EEENS1_30default_config_static_selectorELNS0_4arch9wavefront6targetE1EEEvSY_.uses_flat_scratch, 0
	.set _ZN7rocprim17ROCPRIM_400000_NS6detail17trampoline_kernelINS0_13select_configILj256ELj13ELNS0_17block_load_methodE3ELS4_3ELS4_3ELNS0_20block_scan_algorithmE0ELj4294967295EEENS1_25partition_config_selectorILNS1_17partition_subalgoE3EjNS0_10empty_typeEbEEZZNS1_14partition_implILS8_3ELb0ES6_jNS0_17counting_iteratorIjlEEPS9_SE_NS0_5tupleIJPjSE_EEENSF_IJSE_SE_EEES9_SG_JZNS1_25segmented_radix_sort_implINS0_14default_configELb1EPKfPfPKlPlN2at6native12_GLOBAL__N_18offset_tEEE10hipError_tPvRmT1_PNSt15iterator_traitsISY_E10value_typeET2_T3_PNSZ_IS14_E10value_typeET4_jRbjT5_S1A_jjP12ihipStream_tbEUljE_EEESV_SW_SX_S14_S18_S1A_T6_T7_T9_mT8_S1C_bDpT10_ENKUlT_T0_E_clISt17integral_constantIbLb0EES1O_IbLb1EEEEDaS1K_S1L_EUlS1K_E_NS1_11comp_targetILNS1_3genE0ELNS1_11target_archE4294967295ELNS1_3gpuE0ELNS1_3repE0EEENS1_30default_config_static_selectorELNS0_4arch9wavefront6targetE1EEEvSY_.has_dyn_sized_stack, 0
	.set _ZN7rocprim17ROCPRIM_400000_NS6detail17trampoline_kernelINS0_13select_configILj256ELj13ELNS0_17block_load_methodE3ELS4_3ELS4_3ELNS0_20block_scan_algorithmE0ELj4294967295EEENS1_25partition_config_selectorILNS1_17partition_subalgoE3EjNS0_10empty_typeEbEEZZNS1_14partition_implILS8_3ELb0ES6_jNS0_17counting_iteratorIjlEEPS9_SE_NS0_5tupleIJPjSE_EEENSF_IJSE_SE_EEES9_SG_JZNS1_25segmented_radix_sort_implINS0_14default_configELb1EPKfPfPKlPlN2at6native12_GLOBAL__N_18offset_tEEE10hipError_tPvRmT1_PNSt15iterator_traitsISY_E10value_typeET2_T3_PNSZ_IS14_E10value_typeET4_jRbjT5_S1A_jjP12ihipStream_tbEUljE_EEESV_SW_SX_S14_S18_S1A_T6_T7_T9_mT8_S1C_bDpT10_ENKUlT_T0_E_clISt17integral_constantIbLb0EES1O_IbLb1EEEEDaS1K_S1L_EUlS1K_E_NS1_11comp_targetILNS1_3genE0ELNS1_11target_archE4294967295ELNS1_3gpuE0ELNS1_3repE0EEENS1_30default_config_static_selectorELNS0_4arch9wavefront6targetE1EEEvSY_.has_recursion, 0
	.set _ZN7rocprim17ROCPRIM_400000_NS6detail17trampoline_kernelINS0_13select_configILj256ELj13ELNS0_17block_load_methodE3ELS4_3ELS4_3ELNS0_20block_scan_algorithmE0ELj4294967295EEENS1_25partition_config_selectorILNS1_17partition_subalgoE3EjNS0_10empty_typeEbEEZZNS1_14partition_implILS8_3ELb0ES6_jNS0_17counting_iteratorIjlEEPS9_SE_NS0_5tupleIJPjSE_EEENSF_IJSE_SE_EEES9_SG_JZNS1_25segmented_radix_sort_implINS0_14default_configELb1EPKfPfPKlPlN2at6native12_GLOBAL__N_18offset_tEEE10hipError_tPvRmT1_PNSt15iterator_traitsISY_E10value_typeET2_T3_PNSZ_IS14_E10value_typeET4_jRbjT5_S1A_jjP12ihipStream_tbEUljE_EEESV_SW_SX_S14_S18_S1A_T6_T7_T9_mT8_S1C_bDpT10_ENKUlT_T0_E_clISt17integral_constantIbLb0EES1O_IbLb1EEEEDaS1K_S1L_EUlS1K_E_NS1_11comp_targetILNS1_3genE0ELNS1_11target_archE4294967295ELNS1_3gpuE0ELNS1_3repE0EEENS1_30default_config_static_selectorELNS0_4arch9wavefront6targetE1EEEvSY_.has_indirect_call, 0
	.section	.AMDGPU.csdata,"",@progbits
; Kernel info:
; codeLenInByte = 0
; TotalNumSgprs: 4
; NumVgprs: 0
; ScratchSize: 0
; MemoryBound: 0
; FloatMode: 240
; IeeeMode: 1
; LDSByteSize: 0 bytes/workgroup (compile time only)
; SGPRBlocks: 0
; VGPRBlocks: 0
; NumSGPRsForWavesPerEU: 4
; NumVGPRsForWavesPerEU: 1
; Occupancy: 10
; WaveLimiterHint : 0
; COMPUTE_PGM_RSRC2:SCRATCH_EN: 0
; COMPUTE_PGM_RSRC2:USER_SGPR: 6
; COMPUTE_PGM_RSRC2:TRAP_HANDLER: 0
; COMPUTE_PGM_RSRC2:TGID_X_EN: 1
; COMPUTE_PGM_RSRC2:TGID_Y_EN: 0
; COMPUTE_PGM_RSRC2:TGID_Z_EN: 0
; COMPUTE_PGM_RSRC2:TIDIG_COMP_CNT: 0
	.section	.text._ZN7rocprim17ROCPRIM_400000_NS6detail17trampoline_kernelINS0_13select_configILj256ELj13ELNS0_17block_load_methodE3ELS4_3ELS4_3ELNS0_20block_scan_algorithmE0ELj4294967295EEENS1_25partition_config_selectorILNS1_17partition_subalgoE3EjNS0_10empty_typeEbEEZZNS1_14partition_implILS8_3ELb0ES6_jNS0_17counting_iteratorIjlEEPS9_SE_NS0_5tupleIJPjSE_EEENSF_IJSE_SE_EEES9_SG_JZNS1_25segmented_radix_sort_implINS0_14default_configELb1EPKfPfPKlPlN2at6native12_GLOBAL__N_18offset_tEEE10hipError_tPvRmT1_PNSt15iterator_traitsISY_E10value_typeET2_T3_PNSZ_IS14_E10value_typeET4_jRbjT5_S1A_jjP12ihipStream_tbEUljE_EEESV_SW_SX_S14_S18_S1A_T6_T7_T9_mT8_S1C_bDpT10_ENKUlT_T0_E_clISt17integral_constantIbLb0EES1O_IbLb1EEEEDaS1K_S1L_EUlS1K_E_NS1_11comp_targetILNS1_3genE5ELNS1_11target_archE942ELNS1_3gpuE9ELNS1_3repE0EEENS1_30default_config_static_selectorELNS0_4arch9wavefront6targetE1EEEvSY_,"axG",@progbits,_ZN7rocprim17ROCPRIM_400000_NS6detail17trampoline_kernelINS0_13select_configILj256ELj13ELNS0_17block_load_methodE3ELS4_3ELS4_3ELNS0_20block_scan_algorithmE0ELj4294967295EEENS1_25partition_config_selectorILNS1_17partition_subalgoE3EjNS0_10empty_typeEbEEZZNS1_14partition_implILS8_3ELb0ES6_jNS0_17counting_iteratorIjlEEPS9_SE_NS0_5tupleIJPjSE_EEENSF_IJSE_SE_EEES9_SG_JZNS1_25segmented_radix_sort_implINS0_14default_configELb1EPKfPfPKlPlN2at6native12_GLOBAL__N_18offset_tEEE10hipError_tPvRmT1_PNSt15iterator_traitsISY_E10value_typeET2_T3_PNSZ_IS14_E10value_typeET4_jRbjT5_S1A_jjP12ihipStream_tbEUljE_EEESV_SW_SX_S14_S18_S1A_T6_T7_T9_mT8_S1C_bDpT10_ENKUlT_T0_E_clISt17integral_constantIbLb0EES1O_IbLb1EEEEDaS1K_S1L_EUlS1K_E_NS1_11comp_targetILNS1_3genE5ELNS1_11target_archE942ELNS1_3gpuE9ELNS1_3repE0EEENS1_30default_config_static_selectorELNS0_4arch9wavefront6targetE1EEEvSY_,comdat
	.globl	_ZN7rocprim17ROCPRIM_400000_NS6detail17trampoline_kernelINS0_13select_configILj256ELj13ELNS0_17block_load_methodE3ELS4_3ELS4_3ELNS0_20block_scan_algorithmE0ELj4294967295EEENS1_25partition_config_selectorILNS1_17partition_subalgoE3EjNS0_10empty_typeEbEEZZNS1_14partition_implILS8_3ELb0ES6_jNS0_17counting_iteratorIjlEEPS9_SE_NS0_5tupleIJPjSE_EEENSF_IJSE_SE_EEES9_SG_JZNS1_25segmented_radix_sort_implINS0_14default_configELb1EPKfPfPKlPlN2at6native12_GLOBAL__N_18offset_tEEE10hipError_tPvRmT1_PNSt15iterator_traitsISY_E10value_typeET2_T3_PNSZ_IS14_E10value_typeET4_jRbjT5_S1A_jjP12ihipStream_tbEUljE_EEESV_SW_SX_S14_S18_S1A_T6_T7_T9_mT8_S1C_bDpT10_ENKUlT_T0_E_clISt17integral_constantIbLb0EES1O_IbLb1EEEEDaS1K_S1L_EUlS1K_E_NS1_11comp_targetILNS1_3genE5ELNS1_11target_archE942ELNS1_3gpuE9ELNS1_3repE0EEENS1_30default_config_static_selectorELNS0_4arch9wavefront6targetE1EEEvSY_ ; -- Begin function _ZN7rocprim17ROCPRIM_400000_NS6detail17trampoline_kernelINS0_13select_configILj256ELj13ELNS0_17block_load_methodE3ELS4_3ELS4_3ELNS0_20block_scan_algorithmE0ELj4294967295EEENS1_25partition_config_selectorILNS1_17partition_subalgoE3EjNS0_10empty_typeEbEEZZNS1_14partition_implILS8_3ELb0ES6_jNS0_17counting_iteratorIjlEEPS9_SE_NS0_5tupleIJPjSE_EEENSF_IJSE_SE_EEES9_SG_JZNS1_25segmented_radix_sort_implINS0_14default_configELb1EPKfPfPKlPlN2at6native12_GLOBAL__N_18offset_tEEE10hipError_tPvRmT1_PNSt15iterator_traitsISY_E10value_typeET2_T3_PNSZ_IS14_E10value_typeET4_jRbjT5_S1A_jjP12ihipStream_tbEUljE_EEESV_SW_SX_S14_S18_S1A_T6_T7_T9_mT8_S1C_bDpT10_ENKUlT_T0_E_clISt17integral_constantIbLb0EES1O_IbLb1EEEEDaS1K_S1L_EUlS1K_E_NS1_11comp_targetILNS1_3genE5ELNS1_11target_archE942ELNS1_3gpuE9ELNS1_3repE0EEENS1_30default_config_static_selectorELNS0_4arch9wavefront6targetE1EEEvSY_
	.p2align	8
	.type	_ZN7rocprim17ROCPRIM_400000_NS6detail17trampoline_kernelINS0_13select_configILj256ELj13ELNS0_17block_load_methodE3ELS4_3ELS4_3ELNS0_20block_scan_algorithmE0ELj4294967295EEENS1_25partition_config_selectorILNS1_17partition_subalgoE3EjNS0_10empty_typeEbEEZZNS1_14partition_implILS8_3ELb0ES6_jNS0_17counting_iteratorIjlEEPS9_SE_NS0_5tupleIJPjSE_EEENSF_IJSE_SE_EEES9_SG_JZNS1_25segmented_radix_sort_implINS0_14default_configELb1EPKfPfPKlPlN2at6native12_GLOBAL__N_18offset_tEEE10hipError_tPvRmT1_PNSt15iterator_traitsISY_E10value_typeET2_T3_PNSZ_IS14_E10value_typeET4_jRbjT5_S1A_jjP12ihipStream_tbEUljE_EEESV_SW_SX_S14_S18_S1A_T6_T7_T9_mT8_S1C_bDpT10_ENKUlT_T0_E_clISt17integral_constantIbLb0EES1O_IbLb1EEEEDaS1K_S1L_EUlS1K_E_NS1_11comp_targetILNS1_3genE5ELNS1_11target_archE942ELNS1_3gpuE9ELNS1_3repE0EEENS1_30default_config_static_selectorELNS0_4arch9wavefront6targetE1EEEvSY_,@function
_ZN7rocprim17ROCPRIM_400000_NS6detail17trampoline_kernelINS0_13select_configILj256ELj13ELNS0_17block_load_methodE3ELS4_3ELS4_3ELNS0_20block_scan_algorithmE0ELj4294967295EEENS1_25partition_config_selectorILNS1_17partition_subalgoE3EjNS0_10empty_typeEbEEZZNS1_14partition_implILS8_3ELb0ES6_jNS0_17counting_iteratorIjlEEPS9_SE_NS0_5tupleIJPjSE_EEENSF_IJSE_SE_EEES9_SG_JZNS1_25segmented_radix_sort_implINS0_14default_configELb1EPKfPfPKlPlN2at6native12_GLOBAL__N_18offset_tEEE10hipError_tPvRmT1_PNSt15iterator_traitsISY_E10value_typeET2_T3_PNSZ_IS14_E10value_typeET4_jRbjT5_S1A_jjP12ihipStream_tbEUljE_EEESV_SW_SX_S14_S18_S1A_T6_T7_T9_mT8_S1C_bDpT10_ENKUlT_T0_E_clISt17integral_constantIbLb0EES1O_IbLb1EEEEDaS1K_S1L_EUlS1K_E_NS1_11comp_targetILNS1_3genE5ELNS1_11target_archE942ELNS1_3gpuE9ELNS1_3repE0EEENS1_30default_config_static_selectorELNS0_4arch9wavefront6targetE1EEEvSY_: ; @_ZN7rocprim17ROCPRIM_400000_NS6detail17trampoline_kernelINS0_13select_configILj256ELj13ELNS0_17block_load_methodE3ELS4_3ELS4_3ELNS0_20block_scan_algorithmE0ELj4294967295EEENS1_25partition_config_selectorILNS1_17partition_subalgoE3EjNS0_10empty_typeEbEEZZNS1_14partition_implILS8_3ELb0ES6_jNS0_17counting_iteratorIjlEEPS9_SE_NS0_5tupleIJPjSE_EEENSF_IJSE_SE_EEES9_SG_JZNS1_25segmented_radix_sort_implINS0_14default_configELb1EPKfPfPKlPlN2at6native12_GLOBAL__N_18offset_tEEE10hipError_tPvRmT1_PNSt15iterator_traitsISY_E10value_typeET2_T3_PNSZ_IS14_E10value_typeET4_jRbjT5_S1A_jjP12ihipStream_tbEUljE_EEESV_SW_SX_S14_S18_S1A_T6_T7_T9_mT8_S1C_bDpT10_ENKUlT_T0_E_clISt17integral_constantIbLb0EES1O_IbLb1EEEEDaS1K_S1L_EUlS1K_E_NS1_11comp_targetILNS1_3genE5ELNS1_11target_archE942ELNS1_3gpuE9ELNS1_3repE0EEENS1_30default_config_static_selectorELNS0_4arch9wavefront6targetE1EEEvSY_
; %bb.0:
	.section	.rodata,"a",@progbits
	.p2align	6, 0x0
	.amdhsa_kernel _ZN7rocprim17ROCPRIM_400000_NS6detail17trampoline_kernelINS0_13select_configILj256ELj13ELNS0_17block_load_methodE3ELS4_3ELS4_3ELNS0_20block_scan_algorithmE0ELj4294967295EEENS1_25partition_config_selectorILNS1_17partition_subalgoE3EjNS0_10empty_typeEbEEZZNS1_14partition_implILS8_3ELb0ES6_jNS0_17counting_iteratorIjlEEPS9_SE_NS0_5tupleIJPjSE_EEENSF_IJSE_SE_EEES9_SG_JZNS1_25segmented_radix_sort_implINS0_14default_configELb1EPKfPfPKlPlN2at6native12_GLOBAL__N_18offset_tEEE10hipError_tPvRmT1_PNSt15iterator_traitsISY_E10value_typeET2_T3_PNSZ_IS14_E10value_typeET4_jRbjT5_S1A_jjP12ihipStream_tbEUljE_EEESV_SW_SX_S14_S18_S1A_T6_T7_T9_mT8_S1C_bDpT10_ENKUlT_T0_E_clISt17integral_constantIbLb0EES1O_IbLb1EEEEDaS1K_S1L_EUlS1K_E_NS1_11comp_targetILNS1_3genE5ELNS1_11target_archE942ELNS1_3gpuE9ELNS1_3repE0EEENS1_30default_config_static_selectorELNS0_4arch9wavefront6targetE1EEEvSY_
		.amdhsa_group_segment_fixed_size 0
		.amdhsa_private_segment_fixed_size 0
		.amdhsa_kernarg_size 152
		.amdhsa_user_sgpr_count 6
		.amdhsa_user_sgpr_private_segment_buffer 1
		.amdhsa_user_sgpr_dispatch_ptr 0
		.amdhsa_user_sgpr_queue_ptr 0
		.amdhsa_user_sgpr_kernarg_segment_ptr 1
		.amdhsa_user_sgpr_dispatch_id 0
		.amdhsa_user_sgpr_flat_scratch_init 0
		.amdhsa_user_sgpr_private_segment_size 0
		.amdhsa_uses_dynamic_stack 0
		.amdhsa_system_sgpr_private_segment_wavefront_offset 0
		.amdhsa_system_sgpr_workgroup_id_x 1
		.amdhsa_system_sgpr_workgroup_id_y 0
		.amdhsa_system_sgpr_workgroup_id_z 0
		.amdhsa_system_sgpr_workgroup_info 0
		.amdhsa_system_vgpr_workitem_id 0
		.amdhsa_next_free_vgpr 1
		.amdhsa_next_free_sgpr 0
		.amdhsa_reserve_vcc 0
		.amdhsa_reserve_flat_scratch 0
		.amdhsa_float_round_mode_32 0
		.amdhsa_float_round_mode_16_64 0
		.amdhsa_float_denorm_mode_32 3
		.amdhsa_float_denorm_mode_16_64 3
		.amdhsa_dx10_clamp 1
		.amdhsa_ieee_mode 1
		.amdhsa_fp16_overflow 0
		.amdhsa_exception_fp_ieee_invalid_op 0
		.amdhsa_exception_fp_denorm_src 0
		.amdhsa_exception_fp_ieee_div_zero 0
		.amdhsa_exception_fp_ieee_overflow 0
		.amdhsa_exception_fp_ieee_underflow 0
		.amdhsa_exception_fp_ieee_inexact 0
		.amdhsa_exception_int_div_zero 0
	.end_amdhsa_kernel
	.section	.text._ZN7rocprim17ROCPRIM_400000_NS6detail17trampoline_kernelINS0_13select_configILj256ELj13ELNS0_17block_load_methodE3ELS4_3ELS4_3ELNS0_20block_scan_algorithmE0ELj4294967295EEENS1_25partition_config_selectorILNS1_17partition_subalgoE3EjNS0_10empty_typeEbEEZZNS1_14partition_implILS8_3ELb0ES6_jNS0_17counting_iteratorIjlEEPS9_SE_NS0_5tupleIJPjSE_EEENSF_IJSE_SE_EEES9_SG_JZNS1_25segmented_radix_sort_implINS0_14default_configELb1EPKfPfPKlPlN2at6native12_GLOBAL__N_18offset_tEEE10hipError_tPvRmT1_PNSt15iterator_traitsISY_E10value_typeET2_T3_PNSZ_IS14_E10value_typeET4_jRbjT5_S1A_jjP12ihipStream_tbEUljE_EEESV_SW_SX_S14_S18_S1A_T6_T7_T9_mT8_S1C_bDpT10_ENKUlT_T0_E_clISt17integral_constantIbLb0EES1O_IbLb1EEEEDaS1K_S1L_EUlS1K_E_NS1_11comp_targetILNS1_3genE5ELNS1_11target_archE942ELNS1_3gpuE9ELNS1_3repE0EEENS1_30default_config_static_selectorELNS0_4arch9wavefront6targetE1EEEvSY_,"axG",@progbits,_ZN7rocprim17ROCPRIM_400000_NS6detail17trampoline_kernelINS0_13select_configILj256ELj13ELNS0_17block_load_methodE3ELS4_3ELS4_3ELNS0_20block_scan_algorithmE0ELj4294967295EEENS1_25partition_config_selectorILNS1_17partition_subalgoE3EjNS0_10empty_typeEbEEZZNS1_14partition_implILS8_3ELb0ES6_jNS0_17counting_iteratorIjlEEPS9_SE_NS0_5tupleIJPjSE_EEENSF_IJSE_SE_EEES9_SG_JZNS1_25segmented_radix_sort_implINS0_14default_configELb1EPKfPfPKlPlN2at6native12_GLOBAL__N_18offset_tEEE10hipError_tPvRmT1_PNSt15iterator_traitsISY_E10value_typeET2_T3_PNSZ_IS14_E10value_typeET4_jRbjT5_S1A_jjP12ihipStream_tbEUljE_EEESV_SW_SX_S14_S18_S1A_T6_T7_T9_mT8_S1C_bDpT10_ENKUlT_T0_E_clISt17integral_constantIbLb0EES1O_IbLb1EEEEDaS1K_S1L_EUlS1K_E_NS1_11comp_targetILNS1_3genE5ELNS1_11target_archE942ELNS1_3gpuE9ELNS1_3repE0EEENS1_30default_config_static_selectorELNS0_4arch9wavefront6targetE1EEEvSY_,comdat
.Lfunc_end1318:
	.size	_ZN7rocprim17ROCPRIM_400000_NS6detail17trampoline_kernelINS0_13select_configILj256ELj13ELNS0_17block_load_methodE3ELS4_3ELS4_3ELNS0_20block_scan_algorithmE0ELj4294967295EEENS1_25partition_config_selectorILNS1_17partition_subalgoE3EjNS0_10empty_typeEbEEZZNS1_14partition_implILS8_3ELb0ES6_jNS0_17counting_iteratorIjlEEPS9_SE_NS0_5tupleIJPjSE_EEENSF_IJSE_SE_EEES9_SG_JZNS1_25segmented_radix_sort_implINS0_14default_configELb1EPKfPfPKlPlN2at6native12_GLOBAL__N_18offset_tEEE10hipError_tPvRmT1_PNSt15iterator_traitsISY_E10value_typeET2_T3_PNSZ_IS14_E10value_typeET4_jRbjT5_S1A_jjP12ihipStream_tbEUljE_EEESV_SW_SX_S14_S18_S1A_T6_T7_T9_mT8_S1C_bDpT10_ENKUlT_T0_E_clISt17integral_constantIbLb0EES1O_IbLb1EEEEDaS1K_S1L_EUlS1K_E_NS1_11comp_targetILNS1_3genE5ELNS1_11target_archE942ELNS1_3gpuE9ELNS1_3repE0EEENS1_30default_config_static_selectorELNS0_4arch9wavefront6targetE1EEEvSY_, .Lfunc_end1318-_ZN7rocprim17ROCPRIM_400000_NS6detail17trampoline_kernelINS0_13select_configILj256ELj13ELNS0_17block_load_methodE3ELS4_3ELS4_3ELNS0_20block_scan_algorithmE0ELj4294967295EEENS1_25partition_config_selectorILNS1_17partition_subalgoE3EjNS0_10empty_typeEbEEZZNS1_14partition_implILS8_3ELb0ES6_jNS0_17counting_iteratorIjlEEPS9_SE_NS0_5tupleIJPjSE_EEENSF_IJSE_SE_EEES9_SG_JZNS1_25segmented_radix_sort_implINS0_14default_configELb1EPKfPfPKlPlN2at6native12_GLOBAL__N_18offset_tEEE10hipError_tPvRmT1_PNSt15iterator_traitsISY_E10value_typeET2_T3_PNSZ_IS14_E10value_typeET4_jRbjT5_S1A_jjP12ihipStream_tbEUljE_EEESV_SW_SX_S14_S18_S1A_T6_T7_T9_mT8_S1C_bDpT10_ENKUlT_T0_E_clISt17integral_constantIbLb0EES1O_IbLb1EEEEDaS1K_S1L_EUlS1K_E_NS1_11comp_targetILNS1_3genE5ELNS1_11target_archE942ELNS1_3gpuE9ELNS1_3repE0EEENS1_30default_config_static_selectorELNS0_4arch9wavefront6targetE1EEEvSY_
                                        ; -- End function
	.set _ZN7rocprim17ROCPRIM_400000_NS6detail17trampoline_kernelINS0_13select_configILj256ELj13ELNS0_17block_load_methodE3ELS4_3ELS4_3ELNS0_20block_scan_algorithmE0ELj4294967295EEENS1_25partition_config_selectorILNS1_17partition_subalgoE3EjNS0_10empty_typeEbEEZZNS1_14partition_implILS8_3ELb0ES6_jNS0_17counting_iteratorIjlEEPS9_SE_NS0_5tupleIJPjSE_EEENSF_IJSE_SE_EEES9_SG_JZNS1_25segmented_radix_sort_implINS0_14default_configELb1EPKfPfPKlPlN2at6native12_GLOBAL__N_18offset_tEEE10hipError_tPvRmT1_PNSt15iterator_traitsISY_E10value_typeET2_T3_PNSZ_IS14_E10value_typeET4_jRbjT5_S1A_jjP12ihipStream_tbEUljE_EEESV_SW_SX_S14_S18_S1A_T6_T7_T9_mT8_S1C_bDpT10_ENKUlT_T0_E_clISt17integral_constantIbLb0EES1O_IbLb1EEEEDaS1K_S1L_EUlS1K_E_NS1_11comp_targetILNS1_3genE5ELNS1_11target_archE942ELNS1_3gpuE9ELNS1_3repE0EEENS1_30default_config_static_selectorELNS0_4arch9wavefront6targetE1EEEvSY_.num_vgpr, 0
	.set _ZN7rocprim17ROCPRIM_400000_NS6detail17trampoline_kernelINS0_13select_configILj256ELj13ELNS0_17block_load_methodE3ELS4_3ELS4_3ELNS0_20block_scan_algorithmE0ELj4294967295EEENS1_25partition_config_selectorILNS1_17partition_subalgoE3EjNS0_10empty_typeEbEEZZNS1_14partition_implILS8_3ELb0ES6_jNS0_17counting_iteratorIjlEEPS9_SE_NS0_5tupleIJPjSE_EEENSF_IJSE_SE_EEES9_SG_JZNS1_25segmented_radix_sort_implINS0_14default_configELb1EPKfPfPKlPlN2at6native12_GLOBAL__N_18offset_tEEE10hipError_tPvRmT1_PNSt15iterator_traitsISY_E10value_typeET2_T3_PNSZ_IS14_E10value_typeET4_jRbjT5_S1A_jjP12ihipStream_tbEUljE_EEESV_SW_SX_S14_S18_S1A_T6_T7_T9_mT8_S1C_bDpT10_ENKUlT_T0_E_clISt17integral_constantIbLb0EES1O_IbLb1EEEEDaS1K_S1L_EUlS1K_E_NS1_11comp_targetILNS1_3genE5ELNS1_11target_archE942ELNS1_3gpuE9ELNS1_3repE0EEENS1_30default_config_static_selectorELNS0_4arch9wavefront6targetE1EEEvSY_.num_agpr, 0
	.set _ZN7rocprim17ROCPRIM_400000_NS6detail17trampoline_kernelINS0_13select_configILj256ELj13ELNS0_17block_load_methodE3ELS4_3ELS4_3ELNS0_20block_scan_algorithmE0ELj4294967295EEENS1_25partition_config_selectorILNS1_17partition_subalgoE3EjNS0_10empty_typeEbEEZZNS1_14partition_implILS8_3ELb0ES6_jNS0_17counting_iteratorIjlEEPS9_SE_NS0_5tupleIJPjSE_EEENSF_IJSE_SE_EEES9_SG_JZNS1_25segmented_radix_sort_implINS0_14default_configELb1EPKfPfPKlPlN2at6native12_GLOBAL__N_18offset_tEEE10hipError_tPvRmT1_PNSt15iterator_traitsISY_E10value_typeET2_T3_PNSZ_IS14_E10value_typeET4_jRbjT5_S1A_jjP12ihipStream_tbEUljE_EEESV_SW_SX_S14_S18_S1A_T6_T7_T9_mT8_S1C_bDpT10_ENKUlT_T0_E_clISt17integral_constantIbLb0EES1O_IbLb1EEEEDaS1K_S1L_EUlS1K_E_NS1_11comp_targetILNS1_3genE5ELNS1_11target_archE942ELNS1_3gpuE9ELNS1_3repE0EEENS1_30default_config_static_selectorELNS0_4arch9wavefront6targetE1EEEvSY_.numbered_sgpr, 0
	.set _ZN7rocprim17ROCPRIM_400000_NS6detail17trampoline_kernelINS0_13select_configILj256ELj13ELNS0_17block_load_methodE3ELS4_3ELS4_3ELNS0_20block_scan_algorithmE0ELj4294967295EEENS1_25partition_config_selectorILNS1_17partition_subalgoE3EjNS0_10empty_typeEbEEZZNS1_14partition_implILS8_3ELb0ES6_jNS0_17counting_iteratorIjlEEPS9_SE_NS0_5tupleIJPjSE_EEENSF_IJSE_SE_EEES9_SG_JZNS1_25segmented_radix_sort_implINS0_14default_configELb1EPKfPfPKlPlN2at6native12_GLOBAL__N_18offset_tEEE10hipError_tPvRmT1_PNSt15iterator_traitsISY_E10value_typeET2_T3_PNSZ_IS14_E10value_typeET4_jRbjT5_S1A_jjP12ihipStream_tbEUljE_EEESV_SW_SX_S14_S18_S1A_T6_T7_T9_mT8_S1C_bDpT10_ENKUlT_T0_E_clISt17integral_constantIbLb0EES1O_IbLb1EEEEDaS1K_S1L_EUlS1K_E_NS1_11comp_targetILNS1_3genE5ELNS1_11target_archE942ELNS1_3gpuE9ELNS1_3repE0EEENS1_30default_config_static_selectorELNS0_4arch9wavefront6targetE1EEEvSY_.num_named_barrier, 0
	.set _ZN7rocprim17ROCPRIM_400000_NS6detail17trampoline_kernelINS0_13select_configILj256ELj13ELNS0_17block_load_methodE3ELS4_3ELS4_3ELNS0_20block_scan_algorithmE0ELj4294967295EEENS1_25partition_config_selectorILNS1_17partition_subalgoE3EjNS0_10empty_typeEbEEZZNS1_14partition_implILS8_3ELb0ES6_jNS0_17counting_iteratorIjlEEPS9_SE_NS0_5tupleIJPjSE_EEENSF_IJSE_SE_EEES9_SG_JZNS1_25segmented_radix_sort_implINS0_14default_configELb1EPKfPfPKlPlN2at6native12_GLOBAL__N_18offset_tEEE10hipError_tPvRmT1_PNSt15iterator_traitsISY_E10value_typeET2_T3_PNSZ_IS14_E10value_typeET4_jRbjT5_S1A_jjP12ihipStream_tbEUljE_EEESV_SW_SX_S14_S18_S1A_T6_T7_T9_mT8_S1C_bDpT10_ENKUlT_T0_E_clISt17integral_constantIbLb0EES1O_IbLb1EEEEDaS1K_S1L_EUlS1K_E_NS1_11comp_targetILNS1_3genE5ELNS1_11target_archE942ELNS1_3gpuE9ELNS1_3repE0EEENS1_30default_config_static_selectorELNS0_4arch9wavefront6targetE1EEEvSY_.private_seg_size, 0
	.set _ZN7rocprim17ROCPRIM_400000_NS6detail17trampoline_kernelINS0_13select_configILj256ELj13ELNS0_17block_load_methodE3ELS4_3ELS4_3ELNS0_20block_scan_algorithmE0ELj4294967295EEENS1_25partition_config_selectorILNS1_17partition_subalgoE3EjNS0_10empty_typeEbEEZZNS1_14partition_implILS8_3ELb0ES6_jNS0_17counting_iteratorIjlEEPS9_SE_NS0_5tupleIJPjSE_EEENSF_IJSE_SE_EEES9_SG_JZNS1_25segmented_radix_sort_implINS0_14default_configELb1EPKfPfPKlPlN2at6native12_GLOBAL__N_18offset_tEEE10hipError_tPvRmT1_PNSt15iterator_traitsISY_E10value_typeET2_T3_PNSZ_IS14_E10value_typeET4_jRbjT5_S1A_jjP12ihipStream_tbEUljE_EEESV_SW_SX_S14_S18_S1A_T6_T7_T9_mT8_S1C_bDpT10_ENKUlT_T0_E_clISt17integral_constantIbLb0EES1O_IbLb1EEEEDaS1K_S1L_EUlS1K_E_NS1_11comp_targetILNS1_3genE5ELNS1_11target_archE942ELNS1_3gpuE9ELNS1_3repE0EEENS1_30default_config_static_selectorELNS0_4arch9wavefront6targetE1EEEvSY_.uses_vcc, 0
	.set _ZN7rocprim17ROCPRIM_400000_NS6detail17trampoline_kernelINS0_13select_configILj256ELj13ELNS0_17block_load_methodE3ELS4_3ELS4_3ELNS0_20block_scan_algorithmE0ELj4294967295EEENS1_25partition_config_selectorILNS1_17partition_subalgoE3EjNS0_10empty_typeEbEEZZNS1_14partition_implILS8_3ELb0ES6_jNS0_17counting_iteratorIjlEEPS9_SE_NS0_5tupleIJPjSE_EEENSF_IJSE_SE_EEES9_SG_JZNS1_25segmented_radix_sort_implINS0_14default_configELb1EPKfPfPKlPlN2at6native12_GLOBAL__N_18offset_tEEE10hipError_tPvRmT1_PNSt15iterator_traitsISY_E10value_typeET2_T3_PNSZ_IS14_E10value_typeET4_jRbjT5_S1A_jjP12ihipStream_tbEUljE_EEESV_SW_SX_S14_S18_S1A_T6_T7_T9_mT8_S1C_bDpT10_ENKUlT_T0_E_clISt17integral_constantIbLb0EES1O_IbLb1EEEEDaS1K_S1L_EUlS1K_E_NS1_11comp_targetILNS1_3genE5ELNS1_11target_archE942ELNS1_3gpuE9ELNS1_3repE0EEENS1_30default_config_static_selectorELNS0_4arch9wavefront6targetE1EEEvSY_.uses_flat_scratch, 0
	.set _ZN7rocprim17ROCPRIM_400000_NS6detail17trampoline_kernelINS0_13select_configILj256ELj13ELNS0_17block_load_methodE3ELS4_3ELS4_3ELNS0_20block_scan_algorithmE0ELj4294967295EEENS1_25partition_config_selectorILNS1_17partition_subalgoE3EjNS0_10empty_typeEbEEZZNS1_14partition_implILS8_3ELb0ES6_jNS0_17counting_iteratorIjlEEPS9_SE_NS0_5tupleIJPjSE_EEENSF_IJSE_SE_EEES9_SG_JZNS1_25segmented_radix_sort_implINS0_14default_configELb1EPKfPfPKlPlN2at6native12_GLOBAL__N_18offset_tEEE10hipError_tPvRmT1_PNSt15iterator_traitsISY_E10value_typeET2_T3_PNSZ_IS14_E10value_typeET4_jRbjT5_S1A_jjP12ihipStream_tbEUljE_EEESV_SW_SX_S14_S18_S1A_T6_T7_T9_mT8_S1C_bDpT10_ENKUlT_T0_E_clISt17integral_constantIbLb0EES1O_IbLb1EEEEDaS1K_S1L_EUlS1K_E_NS1_11comp_targetILNS1_3genE5ELNS1_11target_archE942ELNS1_3gpuE9ELNS1_3repE0EEENS1_30default_config_static_selectorELNS0_4arch9wavefront6targetE1EEEvSY_.has_dyn_sized_stack, 0
	.set _ZN7rocprim17ROCPRIM_400000_NS6detail17trampoline_kernelINS0_13select_configILj256ELj13ELNS0_17block_load_methodE3ELS4_3ELS4_3ELNS0_20block_scan_algorithmE0ELj4294967295EEENS1_25partition_config_selectorILNS1_17partition_subalgoE3EjNS0_10empty_typeEbEEZZNS1_14partition_implILS8_3ELb0ES6_jNS0_17counting_iteratorIjlEEPS9_SE_NS0_5tupleIJPjSE_EEENSF_IJSE_SE_EEES9_SG_JZNS1_25segmented_radix_sort_implINS0_14default_configELb1EPKfPfPKlPlN2at6native12_GLOBAL__N_18offset_tEEE10hipError_tPvRmT1_PNSt15iterator_traitsISY_E10value_typeET2_T3_PNSZ_IS14_E10value_typeET4_jRbjT5_S1A_jjP12ihipStream_tbEUljE_EEESV_SW_SX_S14_S18_S1A_T6_T7_T9_mT8_S1C_bDpT10_ENKUlT_T0_E_clISt17integral_constantIbLb0EES1O_IbLb1EEEEDaS1K_S1L_EUlS1K_E_NS1_11comp_targetILNS1_3genE5ELNS1_11target_archE942ELNS1_3gpuE9ELNS1_3repE0EEENS1_30default_config_static_selectorELNS0_4arch9wavefront6targetE1EEEvSY_.has_recursion, 0
	.set _ZN7rocprim17ROCPRIM_400000_NS6detail17trampoline_kernelINS0_13select_configILj256ELj13ELNS0_17block_load_methodE3ELS4_3ELS4_3ELNS0_20block_scan_algorithmE0ELj4294967295EEENS1_25partition_config_selectorILNS1_17partition_subalgoE3EjNS0_10empty_typeEbEEZZNS1_14partition_implILS8_3ELb0ES6_jNS0_17counting_iteratorIjlEEPS9_SE_NS0_5tupleIJPjSE_EEENSF_IJSE_SE_EEES9_SG_JZNS1_25segmented_radix_sort_implINS0_14default_configELb1EPKfPfPKlPlN2at6native12_GLOBAL__N_18offset_tEEE10hipError_tPvRmT1_PNSt15iterator_traitsISY_E10value_typeET2_T3_PNSZ_IS14_E10value_typeET4_jRbjT5_S1A_jjP12ihipStream_tbEUljE_EEESV_SW_SX_S14_S18_S1A_T6_T7_T9_mT8_S1C_bDpT10_ENKUlT_T0_E_clISt17integral_constantIbLb0EES1O_IbLb1EEEEDaS1K_S1L_EUlS1K_E_NS1_11comp_targetILNS1_3genE5ELNS1_11target_archE942ELNS1_3gpuE9ELNS1_3repE0EEENS1_30default_config_static_selectorELNS0_4arch9wavefront6targetE1EEEvSY_.has_indirect_call, 0
	.section	.AMDGPU.csdata,"",@progbits
; Kernel info:
; codeLenInByte = 0
; TotalNumSgprs: 4
; NumVgprs: 0
; ScratchSize: 0
; MemoryBound: 0
; FloatMode: 240
; IeeeMode: 1
; LDSByteSize: 0 bytes/workgroup (compile time only)
; SGPRBlocks: 0
; VGPRBlocks: 0
; NumSGPRsForWavesPerEU: 4
; NumVGPRsForWavesPerEU: 1
; Occupancy: 10
; WaveLimiterHint : 0
; COMPUTE_PGM_RSRC2:SCRATCH_EN: 0
; COMPUTE_PGM_RSRC2:USER_SGPR: 6
; COMPUTE_PGM_RSRC2:TRAP_HANDLER: 0
; COMPUTE_PGM_RSRC2:TGID_X_EN: 1
; COMPUTE_PGM_RSRC2:TGID_Y_EN: 0
; COMPUTE_PGM_RSRC2:TGID_Z_EN: 0
; COMPUTE_PGM_RSRC2:TIDIG_COMP_CNT: 0
	.section	.text._ZN7rocprim17ROCPRIM_400000_NS6detail17trampoline_kernelINS0_13select_configILj256ELj13ELNS0_17block_load_methodE3ELS4_3ELS4_3ELNS0_20block_scan_algorithmE0ELj4294967295EEENS1_25partition_config_selectorILNS1_17partition_subalgoE3EjNS0_10empty_typeEbEEZZNS1_14partition_implILS8_3ELb0ES6_jNS0_17counting_iteratorIjlEEPS9_SE_NS0_5tupleIJPjSE_EEENSF_IJSE_SE_EEES9_SG_JZNS1_25segmented_radix_sort_implINS0_14default_configELb1EPKfPfPKlPlN2at6native12_GLOBAL__N_18offset_tEEE10hipError_tPvRmT1_PNSt15iterator_traitsISY_E10value_typeET2_T3_PNSZ_IS14_E10value_typeET4_jRbjT5_S1A_jjP12ihipStream_tbEUljE_EEESV_SW_SX_S14_S18_S1A_T6_T7_T9_mT8_S1C_bDpT10_ENKUlT_T0_E_clISt17integral_constantIbLb0EES1O_IbLb1EEEEDaS1K_S1L_EUlS1K_E_NS1_11comp_targetILNS1_3genE4ELNS1_11target_archE910ELNS1_3gpuE8ELNS1_3repE0EEENS1_30default_config_static_selectorELNS0_4arch9wavefront6targetE1EEEvSY_,"axG",@progbits,_ZN7rocprim17ROCPRIM_400000_NS6detail17trampoline_kernelINS0_13select_configILj256ELj13ELNS0_17block_load_methodE3ELS4_3ELS4_3ELNS0_20block_scan_algorithmE0ELj4294967295EEENS1_25partition_config_selectorILNS1_17partition_subalgoE3EjNS0_10empty_typeEbEEZZNS1_14partition_implILS8_3ELb0ES6_jNS0_17counting_iteratorIjlEEPS9_SE_NS0_5tupleIJPjSE_EEENSF_IJSE_SE_EEES9_SG_JZNS1_25segmented_radix_sort_implINS0_14default_configELb1EPKfPfPKlPlN2at6native12_GLOBAL__N_18offset_tEEE10hipError_tPvRmT1_PNSt15iterator_traitsISY_E10value_typeET2_T3_PNSZ_IS14_E10value_typeET4_jRbjT5_S1A_jjP12ihipStream_tbEUljE_EEESV_SW_SX_S14_S18_S1A_T6_T7_T9_mT8_S1C_bDpT10_ENKUlT_T0_E_clISt17integral_constantIbLb0EES1O_IbLb1EEEEDaS1K_S1L_EUlS1K_E_NS1_11comp_targetILNS1_3genE4ELNS1_11target_archE910ELNS1_3gpuE8ELNS1_3repE0EEENS1_30default_config_static_selectorELNS0_4arch9wavefront6targetE1EEEvSY_,comdat
	.globl	_ZN7rocprim17ROCPRIM_400000_NS6detail17trampoline_kernelINS0_13select_configILj256ELj13ELNS0_17block_load_methodE3ELS4_3ELS4_3ELNS0_20block_scan_algorithmE0ELj4294967295EEENS1_25partition_config_selectorILNS1_17partition_subalgoE3EjNS0_10empty_typeEbEEZZNS1_14partition_implILS8_3ELb0ES6_jNS0_17counting_iteratorIjlEEPS9_SE_NS0_5tupleIJPjSE_EEENSF_IJSE_SE_EEES9_SG_JZNS1_25segmented_radix_sort_implINS0_14default_configELb1EPKfPfPKlPlN2at6native12_GLOBAL__N_18offset_tEEE10hipError_tPvRmT1_PNSt15iterator_traitsISY_E10value_typeET2_T3_PNSZ_IS14_E10value_typeET4_jRbjT5_S1A_jjP12ihipStream_tbEUljE_EEESV_SW_SX_S14_S18_S1A_T6_T7_T9_mT8_S1C_bDpT10_ENKUlT_T0_E_clISt17integral_constantIbLb0EES1O_IbLb1EEEEDaS1K_S1L_EUlS1K_E_NS1_11comp_targetILNS1_3genE4ELNS1_11target_archE910ELNS1_3gpuE8ELNS1_3repE0EEENS1_30default_config_static_selectorELNS0_4arch9wavefront6targetE1EEEvSY_ ; -- Begin function _ZN7rocprim17ROCPRIM_400000_NS6detail17trampoline_kernelINS0_13select_configILj256ELj13ELNS0_17block_load_methodE3ELS4_3ELS4_3ELNS0_20block_scan_algorithmE0ELj4294967295EEENS1_25partition_config_selectorILNS1_17partition_subalgoE3EjNS0_10empty_typeEbEEZZNS1_14partition_implILS8_3ELb0ES6_jNS0_17counting_iteratorIjlEEPS9_SE_NS0_5tupleIJPjSE_EEENSF_IJSE_SE_EEES9_SG_JZNS1_25segmented_radix_sort_implINS0_14default_configELb1EPKfPfPKlPlN2at6native12_GLOBAL__N_18offset_tEEE10hipError_tPvRmT1_PNSt15iterator_traitsISY_E10value_typeET2_T3_PNSZ_IS14_E10value_typeET4_jRbjT5_S1A_jjP12ihipStream_tbEUljE_EEESV_SW_SX_S14_S18_S1A_T6_T7_T9_mT8_S1C_bDpT10_ENKUlT_T0_E_clISt17integral_constantIbLb0EES1O_IbLb1EEEEDaS1K_S1L_EUlS1K_E_NS1_11comp_targetILNS1_3genE4ELNS1_11target_archE910ELNS1_3gpuE8ELNS1_3repE0EEENS1_30default_config_static_selectorELNS0_4arch9wavefront6targetE1EEEvSY_
	.p2align	8
	.type	_ZN7rocprim17ROCPRIM_400000_NS6detail17trampoline_kernelINS0_13select_configILj256ELj13ELNS0_17block_load_methodE3ELS4_3ELS4_3ELNS0_20block_scan_algorithmE0ELj4294967295EEENS1_25partition_config_selectorILNS1_17partition_subalgoE3EjNS0_10empty_typeEbEEZZNS1_14partition_implILS8_3ELb0ES6_jNS0_17counting_iteratorIjlEEPS9_SE_NS0_5tupleIJPjSE_EEENSF_IJSE_SE_EEES9_SG_JZNS1_25segmented_radix_sort_implINS0_14default_configELb1EPKfPfPKlPlN2at6native12_GLOBAL__N_18offset_tEEE10hipError_tPvRmT1_PNSt15iterator_traitsISY_E10value_typeET2_T3_PNSZ_IS14_E10value_typeET4_jRbjT5_S1A_jjP12ihipStream_tbEUljE_EEESV_SW_SX_S14_S18_S1A_T6_T7_T9_mT8_S1C_bDpT10_ENKUlT_T0_E_clISt17integral_constantIbLb0EES1O_IbLb1EEEEDaS1K_S1L_EUlS1K_E_NS1_11comp_targetILNS1_3genE4ELNS1_11target_archE910ELNS1_3gpuE8ELNS1_3repE0EEENS1_30default_config_static_selectorELNS0_4arch9wavefront6targetE1EEEvSY_,@function
_ZN7rocprim17ROCPRIM_400000_NS6detail17trampoline_kernelINS0_13select_configILj256ELj13ELNS0_17block_load_methodE3ELS4_3ELS4_3ELNS0_20block_scan_algorithmE0ELj4294967295EEENS1_25partition_config_selectorILNS1_17partition_subalgoE3EjNS0_10empty_typeEbEEZZNS1_14partition_implILS8_3ELb0ES6_jNS0_17counting_iteratorIjlEEPS9_SE_NS0_5tupleIJPjSE_EEENSF_IJSE_SE_EEES9_SG_JZNS1_25segmented_radix_sort_implINS0_14default_configELb1EPKfPfPKlPlN2at6native12_GLOBAL__N_18offset_tEEE10hipError_tPvRmT1_PNSt15iterator_traitsISY_E10value_typeET2_T3_PNSZ_IS14_E10value_typeET4_jRbjT5_S1A_jjP12ihipStream_tbEUljE_EEESV_SW_SX_S14_S18_S1A_T6_T7_T9_mT8_S1C_bDpT10_ENKUlT_T0_E_clISt17integral_constantIbLb0EES1O_IbLb1EEEEDaS1K_S1L_EUlS1K_E_NS1_11comp_targetILNS1_3genE4ELNS1_11target_archE910ELNS1_3gpuE8ELNS1_3repE0EEENS1_30default_config_static_selectorELNS0_4arch9wavefront6targetE1EEEvSY_: ; @_ZN7rocprim17ROCPRIM_400000_NS6detail17trampoline_kernelINS0_13select_configILj256ELj13ELNS0_17block_load_methodE3ELS4_3ELS4_3ELNS0_20block_scan_algorithmE0ELj4294967295EEENS1_25partition_config_selectorILNS1_17partition_subalgoE3EjNS0_10empty_typeEbEEZZNS1_14partition_implILS8_3ELb0ES6_jNS0_17counting_iteratorIjlEEPS9_SE_NS0_5tupleIJPjSE_EEENSF_IJSE_SE_EEES9_SG_JZNS1_25segmented_radix_sort_implINS0_14default_configELb1EPKfPfPKlPlN2at6native12_GLOBAL__N_18offset_tEEE10hipError_tPvRmT1_PNSt15iterator_traitsISY_E10value_typeET2_T3_PNSZ_IS14_E10value_typeET4_jRbjT5_S1A_jjP12ihipStream_tbEUljE_EEESV_SW_SX_S14_S18_S1A_T6_T7_T9_mT8_S1C_bDpT10_ENKUlT_T0_E_clISt17integral_constantIbLb0EES1O_IbLb1EEEEDaS1K_S1L_EUlS1K_E_NS1_11comp_targetILNS1_3genE4ELNS1_11target_archE910ELNS1_3gpuE8ELNS1_3repE0EEENS1_30default_config_static_selectorELNS0_4arch9wavefront6targetE1EEEvSY_
; %bb.0:
	.section	.rodata,"a",@progbits
	.p2align	6, 0x0
	.amdhsa_kernel _ZN7rocprim17ROCPRIM_400000_NS6detail17trampoline_kernelINS0_13select_configILj256ELj13ELNS0_17block_load_methodE3ELS4_3ELS4_3ELNS0_20block_scan_algorithmE0ELj4294967295EEENS1_25partition_config_selectorILNS1_17partition_subalgoE3EjNS0_10empty_typeEbEEZZNS1_14partition_implILS8_3ELb0ES6_jNS0_17counting_iteratorIjlEEPS9_SE_NS0_5tupleIJPjSE_EEENSF_IJSE_SE_EEES9_SG_JZNS1_25segmented_radix_sort_implINS0_14default_configELb1EPKfPfPKlPlN2at6native12_GLOBAL__N_18offset_tEEE10hipError_tPvRmT1_PNSt15iterator_traitsISY_E10value_typeET2_T3_PNSZ_IS14_E10value_typeET4_jRbjT5_S1A_jjP12ihipStream_tbEUljE_EEESV_SW_SX_S14_S18_S1A_T6_T7_T9_mT8_S1C_bDpT10_ENKUlT_T0_E_clISt17integral_constantIbLb0EES1O_IbLb1EEEEDaS1K_S1L_EUlS1K_E_NS1_11comp_targetILNS1_3genE4ELNS1_11target_archE910ELNS1_3gpuE8ELNS1_3repE0EEENS1_30default_config_static_selectorELNS0_4arch9wavefront6targetE1EEEvSY_
		.amdhsa_group_segment_fixed_size 0
		.amdhsa_private_segment_fixed_size 0
		.amdhsa_kernarg_size 152
		.amdhsa_user_sgpr_count 6
		.amdhsa_user_sgpr_private_segment_buffer 1
		.amdhsa_user_sgpr_dispatch_ptr 0
		.amdhsa_user_sgpr_queue_ptr 0
		.amdhsa_user_sgpr_kernarg_segment_ptr 1
		.amdhsa_user_sgpr_dispatch_id 0
		.amdhsa_user_sgpr_flat_scratch_init 0
		.amdhsa_user_sgpr_private_segment_size 0
		.amdhsa_uses_dynamic_stack 0
		.amdhsa_system_sgpr_private_segment_wavefront_offset 0
		.amdhsa_system_sgpr_workgroup_id_x 1
		.amdhsa_system_sgpr_workgroup_id_y 0
		.amdhsa_system_sgpr_workgroup_id_z 0
		.amdhsa_system_sgpr_workgroup_info 0
		.amdhsa_system_vgpr_workitem_id 0
		.amdhsa_next_free_vgpr 1
		.amdhsa_next_free_sgpr 0
		.amdhsa_reserve_vcc 0
		.amdhsa_reserve_flat_scratch 0
		.amdhsa_float_round_mode_32 0
		.amdhsa_float_round_mode_16_64 0
		.amdhsa_float_denorm_mode_32 3
		.amdhsa_float_denorm_mode_16_64 3
		.amdhsa_dx10_clamp 1
		.amdhsa_ieee_mode 1
		.amdhsa_fp16_overflow 0
		.amdhsa_exception_fp_ieee_invalid_op 0
		.amdhsa_exception_fp_denorm_src 0
		.amdhsa_exception_fp_ieee_div_zero 0
		.amdhsa_exception_fp_ieee_overflow 0
		.amdhsa_exception_fp_ieee_underflow 0
		.amdhsa_exception_fp_ieee_inexact 0
		.amdhsa_exception_int_div_zero 0
	.end_amdhsa_kernel
	.section	.text._ZN7rocprim17ROCPRIM_400000_NS6detail17trampoline_kernelINS0_13select_configILj256ELj13ELNS0_17block_load_methodE3ELS4_3ELS4_3ELNS0_20block_scan_algorithmE0ELj4294967295EEENS1_25partition_config_selectorILNS1_17partition_subalgoE3EjNS0_10empty_typeEbEEZZNS1_14partition_implILS8_3ELb0ES6_jNS0_17counting_iteratorIjlEEPS9_SE_NS0_5tupleIJPjSE_EEENSF_IJSE_SE_EEES9_SG_JZNS1_25segmented_radix_sort_implINS0_14default_configELb1EPKfPfPKlPlN2at6native12_GLOBAL__N_18offset_tEEE10hipError_tPvRmT1_PNSt15iterator_traitsISY_E10value_typeET2_T3_PNSZ_IS14_E10value_typeET4_jRbjT5_S1A_jjP12ihipStream_tbEUljE_EEESV_SW_SX_S14_S18_S1A_T6_T7_T9_mT8_S1C_bDpT10_ENKUlT_T0_E_clISt17integral_constantIbLb0EES1O_IbLb1EEEEDaS1K_S1L_EUlS1K_E_NS1_11comp_targetILNS1_3genE4ELNS1_11target_archE910ELNS1_3gpuE8ELNS1_3repE0EEENS1_30default_config_static_selectorELNS0_4arch9wavefront6targetE1EEEvSY_,"axG",@progbits,_ZN7rocprim17ROCPRIM_400000_NS6detail17trampoline_kernelINS0_13select_configILj256ELj13ELNS0_17block_load_methodE3ELS4_3ELS4_3ELNS0_20block_scan_algorithmE0ELj4294967295EEENS1_25partition_config_selectorILNS1_17partition_subalgoE3EjNS0_10empty_typeEbEEZZNS1_14partition_implILS8_3ELb0ES6_jNS0_17counting_iteratorIjlEEPS9_SE_NS0_5tupleIJPjSE_EEENSF_IJSE_SE_EEES9_SG_JZNS1_25segmented_radix_sort_implINS0_14default_configELb1EPKfPfPKlPlN2at6native12_GLOBAL__N_18offset_tEEE10hipError_tPvRmT1_PNSt15iterator_traitsISY_E10value_typeET2_T3_PNSZ_IS14_E10value_typeET4_jRbjT5_S1A_jjP12ihipStream_tbEUljE_EEESV_SW_SX_S14_S18_S1A_T6_T7_T9_mT8_S1C_bDpT10_ENKUlT_T0_E_clISt17integral_constantIbLb0EES1O_IbLb1EEEEDaS1K_S1L_EUlS1K_E_NS1_11comp_targetILNS1_3genE4ELNS1_11target_archE910ELNS1_3gpuE8ELNS1_3repE0EEENS1_30default_config_static_selectorELNS0_4arch9wavefront6targetE1EEEvSY_,comdat
.Lfunc_end1319:
	.size	_ZN7rocprim17ROCPRIM_400000_NS6detail17trampoline_kernelINS0_13select_configILj256ELj13ELNS0_17block_load_methodE3ELS4_3ELS4_3ELNS0_20block_scan_algorithmE0ELj4294967295EEENS1_25partition_config_selectorILNS1_17partition_subalgoE3EjNS0_10empty_typeEbEEZZNS1_14partition_implILS8_3ELb0ES6_jNS0_17counting_iteratorIjlEEPS9_SE_NS0_5tupleIJPjSE_EEENSF_IJSE_SE_EEES9_SG_JZNS1_25segmented_radix_sort_implINS0_14default_configELb1EPKfPfPKlPlN2at6native12_GLOBAL__N_18offset_tEEE10hipError_tPvRmT1_PNSt15iterator_traitsISY_E10value_typeET2_T3_PNSZ_IS14_E10value_typeET4_jRbjT5_S1A_jjP12ihipStream_tbEUljE_EEESV_SW_SX_S14_S18_S1A_T6_T7_T9_mT8_S1C_bDpT10_ENKUlT_T0_E_clISt17integral_constantIbLb0EES1O_IbLb1EEEEDaS1K_S1L_EUlS1K_E_NS1_11comp_targetILNS1_3genE4ELNS1_11target_archE910ELNS1_3gpuE8ELNS1_3repE0EEENS1_30default_config_static_selectorELNS0_4arch9wavefront6targetE1EEEvSY_, .Lfunc_end1319-_ZN7rocprim17ROCPRIM_400000_NS6detail17trampoline_kernelINS0_13select_configILj256ELj13ELNS0_17block_load_methodE3ELS4_3ELS4_3ELNS0_20block_scan_algorithmE0ELj4294967295EEENS1_25partition_config_selectorILNS1_17partition_subalgoE3EjNS0_10empty_typeEbEEZZNS1_14partition_implILS8_3ELb0ES6_jNS0_17counting_iteratorIjlEEPS9_SE_NS0_5tupleIJPjSE_EEENSF_IJSE_SE_EEES9_SG_JZNS1_25segmented_radix_sort_implINS0_14default_configELb1EPKfPfPKlPlN2at6native12_GLOBAL__N_18offset_tEEE10hipError_tPvRmT1_PNSt15iterator_traitsISY_E10value_typeET2_T3_PNSZ_IS14_E10value_typeET4_jRbjT5_S1A_jjP12ihipStream_tbEUljE_EEESV_SW_SX_S14_S18_S1A_T6_T7_T9_mT8_S1C_bDpT10_ENKUlT_T0_E_clISt17integral_constantIbLb0EES1O_IbLb1EEEEDaS1K_S1L_EUlS1K_E_NS1_11comp_targetILNS1_3genE4ELNS1_11target_archE910ELNS1_3gpuE8ELNS1_3repE0EEENS1_30default_config_static_selectorELNS0_4arch9wavefront6targetE1EEEvSY_
                                        ; -- End function
	.set _ZN7rocprim17ROCPRIM_400000_NS6detail17trampoline_kernelINS0_13select_configILj256ELj13ELNS0_17block_load_methodE3ELS4_3ELS4_3ELNS0_20block_scan_algorithmE0ELj4294967295EEENS1_25partition_config_selectorILNS1_17partition_subalgoE3EjNS0_10empty_typeEbEEZZNS1_14partition_implILS8_3ELb0ES6_jNS0_17counting_iteratorIjlEEPS9_SE_NS0_5tupleIJPjSE_EEENSF_IJSE_SE_EEES9_SG_JZNS1_25segmented_radix_sort_implINS0_14default_configELb1EPKfPfPKlPlN2at6native12_GLOBAL__N_18offset_tEEE10hipError_tPvRmT1_PNSt15iterator_traitsISY_E10value_typeET2_T3_PNSZ_IS14_E10value_typeET4_jRbjT5_S1A_jjP12ihipStream_tbEUljE_EEESV_SW_SX_S14_S18_S1A_T6_T7_T9_mT8_S1C_bDpT10_ENKUlT_T0_E_clISt17integral_constantIbLb0EES1O_IbLb1EEEEDaS1K_S1L_EUlS1K_E_NS1_11comp_targetILNS1_3genE4ELNS1_11target_archE910ELNS1_3gpuE8ELNS1_3repE0EEENS1_30default_config_static_selectorELNS0_4arch9wavefront6targetE1EEEvSY_.num_vgpr, 0
	.set _ZN7rocprim17ROCPRIM_400000_NS6detail17trampoline_kernelINS0_13select_configILj256ELj13ELNS0_17block_load_methodE3ELS4_3ELS4_3ELNS0_20block_scan_algorithmE0ELj4294967295EEENS1_25partition_config_selectorILNS1_17partition_subalgoE3EjNS0_10empty_typeEbEEZZNS1_14partition_implILS8_3ELb0ES6_jNS0_17counting_iteratorIjlEEPS9_SE_NS0_5tupleIJPjSE_EEENSF_IJSE_SE_EEES9_SG_JZNS1_25segmented_radix_sort_implINS0_14default_configELb1EPKfPfPKlPlN2at6native12_GLOBAL__N_18offset_tEEE10hipError_tPvRmT1_PNSt15iterator_traitsISY_E10value_typeET2_T3_PNSZ_IS14_E10value_typeET4_jRbjT5_S1A_jjP12ihipStream_tbEUljE_EEESV_SW_SX_S14_S18_S1A_T6_T7_T9_mT8_S1C_bDpT10_ENKUlT_T0_E_clISt17integral_constantIbLb0EES1O_IbLb1EEEEDaS1K_S1L_EUlS1K_E_NS1_11comp_targetILNS1_3genE4ELNS1_11target_archE910ELNS1_3gpuE8ELNS1_3repE0EEENS1_30default_config_static_selectorELNS0_4arch9wavefront6targetE1EEEvSY_.num_agpr, 0
	.set _ZN7rocprim17ROCPRIM_400000_NS6detail17trampoline_kernelINS0_13select_configILj256ELj13ELNS0_17block_load_methodE3ELS4_3ELS4_3ELNS0_20block_scan_algorithmE0ELj4294967295EEENS1_25partition_config_selectorILNS1_17partition_subalgoE3EjNS0_10empty_typeEbEEZZNS1_14partition_implILS8_3ELb0ES6_jNS0_17counting_iteratorIjlEEPS9_SE_NS0_5tupleIJPjSE_EEENSF_IJSE_SE_EEES9_SG_JZNS1_25segmented_radix_sort_implINS0_14default_configELb1EPKfPfPKlPlN2at6native12_GLOBAL__N_18offset_tEEE10hipError_tPvRmT1_PNSt15iterator_traitsISY_E10value_typeET2_T3_PNSZ_IS14_E10value_typeET4_jRbjT5_S1A_jjP12ihipStream_tbEUljE_EEESV_SW_SX_S14_S18_S1A_T6_T7_T9_mT8_S1C_bDpT10_ENKUlT_T0_E_clISt17integral_constantIbLb0EES1O_IbLb1EEEEDaS1K_S1L_EUlS1K_E_NS1_11comp_targetILNS1_3genE4ELNS1_11target_archE910ELNS1_3gpuE8ELNS1_3repE0EEENS1_30default_config_static_selectorELNS0_4arch9wavefront6targetE1EEEvSY_.numbered_sgpr, 0
	.set _ZN7rocprim17ROCPRIM_400000_NS6detail17trampoline_kernelINS0_13select_configILj256ELj13ELNS0_17block_load_methodE3ELS4_3ELS4_3ELNS0_20block_scan_algorithmE0ELj4294967295EEENS1_25partition_config_selectorILNS1_17partition_subalgoE3EjNS0_10empty_typeEbEEZZNS1_14partition_implILS8_3ELb0ES6_jNS0_17counting_iteratorIjlEEPS9_SE_NS0_5tupleIJPjSE_EEENSF_IJSE_SE_EEES9_SG_JZNS1_25segmented_radix_sort_implINS0_14default_configELb1EPKfPfPKlPlN2at6native12_GLOBAL__N_18offset_tEEE10hipError_tPvRmT1_PNSt15iterator_traitsISY_E10value_typeET2_T3_PNSZ_IS14_E10value_typeET4_jRbjT5_S1A_jjP12ihipStream_tbEUljE_EEESV_SW_SX_S14_S18_S1A_T6_T7_T9_mT8_S1C_bDpT10_ENKUlT_T0_E_clISt17integral_constantIbLb0EES1O_IbLb1EEEEDaS1K_S1L_EUlS1K_E_NS1_11comp_targetILNS1_3genE4ELNS1_11target_archE910ELNS1_3gpuE8ELNS1_3repE0EEENS1_30default_config_static_selectorELNS0_4arch9wavefront6targetE1EEEvSY_.num_named_barrier, 0
	.set _ZN7rocprim17ROCPRIM_400000_NS6detail17trampoline_kernelINS0_13select_configILj256ELj13ELNS0_17block_load_methodE3ELS4_3ELS4_3ELNS0_20block_scan_algorithmE0ELj4294967295EEENS1_25partition_config_selectorILNS1_17partition_subalgoE3EjNS0_10empty_typeEbEEZZNS1_14partition_implILS8_3ELb0ES6_jNS0_17counting_iteratorIjlEEPS9_SE_NS0_5tupleIJPjSE_EEENSF_IJSE_SE_EEES9_SG_JZNS1_25segmented_radix_sort_implINS0_14default_configELb1EPKfPfPKlPlN2at6native12_GLOBAL__N_18offset_tEEE10hipError_tPvRmT1_PNSt15iterator_traitsISY_E10value_typeET2_T3_PNSZ_IS14_E10value_typeET4_jRbjT5_S1A_jjP12ihipStream_tbEUljE_EEESV_SW_SX_S14_S18_S1A_T6_T7_T9_mT8_S1C_bDpT10_ENKUlT_T0_E_clISt17integral_constantIbLb0EES1O_IbLb1EEEEDaS1K_S1L_EUlS1K_E_NS1_11comp_targetILNS1_3genE4ELNS1_11target_archE910ELNS1_3gpuE8ELNS1_3repE0EEENS1_30default_config_static_selectorELNS0_4arch9wavefront6targetE1EEEvSY_.private_seg_size, 0
	.set _ZN7rocprim17ROCPRIM_400000_NS6detail17trampoline_kernelINS0_13select_configILj256ELj13ELNS0_17block_load_methodE3ELS4_3ELS4_3ELNS0_20block_scan_algorithmE0ELj4294967295EEENS1_25partition_config_selectorILNS1_17partition_subalgoE3EjNS0_10empty_typeEbEEZZNS1_14partition_implILS8_3ELb0ES6_jNS0_17counting_iteratorIjlEEPS9_SE_NS0_5tupleIJPjSE_EEENSF_IJSE_SE_EEES9_SG_JZNS1_25segmented_radix_sort_implINS0_14default_configELb1EPKfPfPKlPlN2at6native12_GLOBAL__N_18offset_tEEE10hipError_tPvRmT1_PNSt15iterator_traitsISY_E10value_typeET2_T3_PNSZ_IS14_E10value_typeET4_jRbjT5_S1A_jjP12ihipStream_tbEUljE_EEESV_SW_SX_S14_S18_S1A_T6_T7_T9_mT8_S1C_bDpT10_ENKUlT_T0_E_clISt17integral_constantIbLb0EES1O_IbLb1EEEEDaS1K_S1L_EUlS1K_E_NS1_11comp_targetILNS1_3genE4ELNS1_11target_archE910ELNS1_3gpuE8ELNS1_3repE0EEENS1_30default_config_static_selectorELNS0_4arch9wavefront6targetE1EEEvSY_.uses_vcc, 0
	.set _ZN7rocprim17ROCPRIM_400000_NS6detail17trampoline_kernelINS0_13select_configILj256ELj13ELNS0_17block_load_methodE3ELS4_3ELS4_3ELNS0_20block_scan_algorithmE0ELj4294967295EEENS1_25partition_config_selectorILNS1_17partition_subalgoE3EjNS0_10empty_typeEbEEZZNS1_14partition_implILS8_3ELb0ES6_jNS0_17counting_iteratorIjlEEPS9_SE_NS0_5tupleIJPjSE_EEENSF_IJSE_SE_EEES9_SG_JZNS1_25segmented_radix_sort_implINS0_14default_configELb1EPKfPfPKlPlN2at6native12_GLOBAL__N_18offset_tEEE10hipError_tPvRmT1_PNSt15iterator_traitsISY_E10value_typeET2_T3_PNSZ_IS14_E10value_typeET4_jRbjT5_S1A_jjP12ihipStream_tbEUljE_EEESV_SW_SX_S14_S18_S1A_T6_T7_T9_mT8_S1C_bDpT10_ENKUlT_T0_E_clISt17integral_constantIbLb0EES1O_IbLb1EEEEDaS1K_S1L_EUlS1K_E_NS1_11comp_targetILNS1_3genE4ELNS1_11target_archE910ELNS1_3gpuE8ELNS1_3repE0EEENS1_30default_config_static_selectorELNS0_4arch9wavefront6targetE1EEEvSY_.uses_flat_scratch, 0
	.set _ZN7rocprim17ROCPRIM_400000_NS6detail17trampoline_kernelINS0_13select_configILj256ELj13ELNS0_17block_load_methodE3ELS4_3ELS4_3ELNS0_20block_scan_algorithmE0ELj4294967295EEENS1_25partition_config_selectorILNS1_17partition_subalgoE3EjNS0_10empty_typeEbEEZZNS1_14partition_implILS8_3ELb0ES6_jNS0_17counting_iteratorIjlEEPS9_SE_NS0_5tupleIJPjSE_EEENSF_IJSE_SE_EEES9_SG_JZNS1_25segmented_radix_sort_implINS0_14default_configELb1EPKfPfPKlPlN2at6native12_GLOBAL__N_18offset_tEEE10hipError_tPvRmT1_PNSt15iterator_traitsISY_E10value_typeET2_T3_PNSZ_IS14_E10value_typeET4_jRbjT5_S1A_jjP12ihipStream_tbEUljE_EEESV_SW_SX_S14_S18_S1A_T6_T7_T9_mT8_S1C_bDpT10_ENKUlT_T0_E_clISt17integral_constantIbLb0EES1O_IbLb1EEEEDaS1K_S1L_EUlS1K_E_NS1_11comp_targetILNS1_3genE4ELNS1_11target_archE910ELNS1_3gpuE8ELNS1_3repE0EEENS1_30default_config_static_selectorELNS0_4arch9wavefront6targetE1EEEvSY_.has_dyn_sized_stack, 0
	.set _ZN7rocprim17ROCPRIM_400000_NS6detail17trampoline_kernelINS0_13select_configILj256ELj13ELNS0_17block_load_methodE3ELS4_3ELS4_3ELNS0_20block_scan_algorithmE0ELj4294967295EEENS1_25partition_config_selectorILNS1_17partition_subalgoE3EjNS0_10empty_typeEbEEZZNS1_14partition_implILS8_3ELb0ES6_jNS0_17counting_iteratorIjlEEPS9_SE_NS0_5tupleIJPjSE_EEENSF_IJSE_SE_EEES9_SG_JZNS1_25segmented_radix_sort_implINS0_14default_configELb1EPKfPfPKlPlN2at6native12_GLOBAL__N_18offset_tEEE10hipError_tPvRmT1_PNSt15iterator_traitsISY_E10value_typeET2_T3_PNSZ_IS14_E10value_typeET4_jRbjT5_S1A_jjP12ihipStream_tbEUljE_EEESV_SW_SX_S14_S18_S1A_T6_T7_T9_mT8_S1C_bDpT10_ENKUlT_T0_E_clISt17integral_constantIbLb0EES1O_IbLb1EEEEDaS1K_S1L_EUlS1K_E_NS1_11comp_targetILNS1_3genE4ELNS1_11target_archE910ELNS1_3gpuE8ELNS1_3repE0EEENS1_30default_config_static_selectorELNS0_4arch9wavefront6targetE1EEEvSY_.has_recursion, 0
	.set _ZN7rocprim17ROCPRIM_400000_NS6detail17trampoline_kernelINS0_13select_configILj256ELj13ELNS0_17block_load_methodE3ELS4_3ELS4_3ELNS0_20block_scan_algorithmE0ELj4294967295EEENS1_25partition_config_selectorILNS1_17partition_subalgoE3EjNS0_10empty_typeEbEEZZNS1_14partition_implILS8_3ELb0ES6_jNS0_17counting_iteratorIjlEEPS9_SE_NS0_5tupleIJPjSE_EEENSF_IJSE_SE_EEES9_SG_JZNS1_25segmented_radix_sort_implINS0_14default_configELb1EPKfPfPKlPlN2at6native12_GLOBAL__N_18offset_tEEE10hipError_tPvRmT1_PNSt15iterator_traitsISY_E10value_typeET2_T3_PNSZ_IS14_E10value_typeET4_jRbjT5_S1A_jjP12ihipStream_tbEUljE_EEESV_SW_SX_S14_S18_S1A_T6_T7_T9_mT8_S1C_bDpT10_ENKUlT_T0_E_clISt17integral_constantIbLb0EES1O_IbLb1EEEEDaS1K_S1L_EUlS1K_E_NS1_11comp_targetILNS1_3genE4ELNS1_11target_archE910ELNS1_3gpuE8ELNS1_3repE0EEENS1_30default_config_static_selectorELNS0_4arch9wavefront6targetE1EEEvSY_.has_indirect_call, 0
	.section	.AMDGPU.csdata,"",@progbits
; Kernel info:
; codeLenInByte = 0
; TotalNumSgprs: 4
; NumVgprs: 0
; ScratchSize: 0
; MemoryBound: 0
; FloatMode: 240
; IeeeMode: 1
; LDSByteSize: 0 bytes/workgroup (compile time only)
; SGPRBlocks: 0
; VGPRBlocks: 0
; NumSGPRsForWavesPerEU: 4
; NumVGPRsForWavesPerEU: 1
; Occupancy: 10
; WaveLimiterHint : 0
; COMPUTE_PGM_RSRC2:SCRATCH_EN: 0
; COMPUTE_PGM_RSRC2:USER_SGPR: 6
; COMPUTE_PGM_RSRC2:TRAP_HANDLER: 0
; COMPUTE_PGM_RSRC2:TGID_X_EN: 1
; COMPUTE_PGM_RSRC2:TGID_Y_EN: 0
; COMPUTE_PGM_RSRC2:TGID_Z_EN: 0
; COMPUTE_PGM_RSRC2:TIDIG_COMP_CNT: 0
	.section	.text._ZN7rocprim17ROCPRIM_400000_NS6detail17trampoline_kernelINS0_13select_configILj256ELj13ELNS0_17block_load_methodE3ELS4_3ELS4_3ELNS0_20block_scan_algorithmE0ELj4294967295EEENS1_25partition_config_selectorILNS1_17partition_subalgoE3EjNS0_10empty_typeEbEEZZNS1_14partition_implILS8_3ELb0ES6_jNS0_17counting_iteratorIjlEEPS9_SE_NS0_5tupleIJPjSE_EEENSF_IJSE_SE_EEES9_SG_JZNS1_25segmented_radix_sort_implINS0_14default_configELb1EPKfPfPKlPlN2at6native12_GLOBAL__N_18offset_tEEE10hipError_tPvRmT1_PNSt15iterator_traitsISY_E10value_typeET2_T3_PNSZ_IS14_E10value_typeET4_jRbjT5_S1A_jjP12ihipStream_tbEUljE_EEESV_SW_SX_S14_S18_S1A_T6_T7_T9_mT8_S1C_bDpT10_ENKUlT_T0_E_clISt17integral_constantIbLb0EES1O_IbLb1EEEEDaS1K_S1L_EUlS1K_E_NS1_11comp_targetILNS1_3genE3ELNS1_11target_archE908ELNS1_3gpuE7ELNS1_3repE0EEENS1_30default_config_static_selectorELNS0_4arch9wavefront6targetE1EEEvSY_,"axG",@progbits,_ZN7rocprim17ROCPRIM_400000_NS6detail17trampoline_kernelINS0_13select_configILj256ELj13ELNS0_17block_load_methodE3ELS4_3ELS4_3ELNS0_20block_scan_algorithmE0ELj4294967295EEENS1_25partition_config_selectorILNS1_17partition_subalgoE3EjNS0_10empty_typeEbEEZZNS1_14partition_implILS8_3ELb0ES6_jNS0_17counting_iteratorIjlEEPS9_SE_NS0_5tupleIJPjSE_EEENSF_IJSE_SE_EEES9_SG_JZNS1_25segmented_radix_sort_implINS0_14default_configELb1EPKfPfPKlPlN2at6native12_GLOBAL__N_18offset_tEEE10hipError_tPvRmT1_PNSt15iterator_traitsISY_E10value_typeET2_T3_PNSZ_IS14_E10value_typeET4_jRbjT5_S1A_jjP12ihipStream_tbEUljE_EEESV_SW_SX_S14_S18_S1A_T6_T7_T9_mT8_S1C_bDpT10_ENKUlT_T0_E_clISt17integral_constantIbLb0EES1O_IbLb1EEEEDaS1K_S1L_EUlS1K_E_NS1_11comp_targetILNS1_3genE3ELNS1_11target_archE908ELNS1_3gpuE7ELNS1_3repE0EEENS1_30default_config_static_selectorELNS0_4arch9wavefront6targetE1EEEvSY_,comdat
	.globl	_ZN7rocprim17ROCPRIM_400000_NS6detail17trampoline_kernelINS0_13select_configILj256ELj13ELNS0_17block_load_methodE3ELS4_3ELS4_3ELNS0_20block_scan_algorithmE0ELj4294967295EEENS1_25partition_config_selectorILNS1_17partition_subalgoE3EjNS0_10empty_typeEbEEZZNS1_14partition_implILS8_3ELb0ES6_jNS0_17counting_iteratorIjlEEPS9_SE_NS0_5tupleIJPjSE_EEENSF_IJSE_SE_EEES9_SG_JZNS1_25segmented_radix_sort_implINS0_14default_configELb1EPKfPfPKlPlN2at6native12_GLOBAL__N_18offset_tEEE10hipError_tPvRmT1_PNSt15iterator_traitsISY_E10value_typeET2_T3_PNSZ_IS14_E10value_typeET4_jRbjT5_S1A_jjP12ihipStream_tbEUljE_EEESV_SW_SX_S14_S18_S1A_T6_T7_T9_mT8_S1C_bDpT10_ENKUlT_T0_E_clISt17integral_constantIbLb0EES1O_IbLb1EEEEDaS1K_S1L_EUlS1K_E_NS1_11comp_targetILNS1_3genE3ELNS1_11target_archE908ELNS1_3gpuE7ELNS1_3repE0EEENS1_30default_config_static_selectorELNS0_4arch9wavefront6targetE1EEEvSY_ ; -- Begin function _ZN7rocprim17ROCPRIM_400000_NS6detail17trampoline_kernelINS0_13select_configILj256ELj13ELNS0_17block_load_methodE3ELS4_3ELS4_3ELNS0_20block_scan_algorithmE0ELj4294967295EEENS1_25partition_config_selectorILNS1_17partition_subalgoE3EjNS0_10empty_typeEbEEZZNS1_14partition_implILS8_3ELb0ES6_jNS0_17counting_iteratorIjlEEPS9_SE_NS0_5tupleIJPjSE_EEENSF_IJSE_SE_EEES9_SG_JZNS1_25segmented_radix_sort_implINS0_14default_configELb1EPKfPfPKlPlN2at6native12_GLOBAL__N_18offset_tEEE10hipError_tPvRmT1_PNSt15iterator_traitsISY_E10value_typeET2_T3_PNSZ_IS14_E10value_typeET4_jRbjT5_S1A_jjP12ihipStream_tbEUljE_EEESV_SW_SX_S14_S18_S1A_T6_T7_T9_mT8_S1C_bDpT10_ENKUlT_T0_E_clISt17integral_constantIbLb0EES1O_IbLb1EEEEDaS1K_S1L_EUlS1K_E_NS1_11comp_targetILNS1_3genE3ELNS1_11target_archE908ELNS1_3gpuE7ELNS1_3repE0EEENS1_30default_config_static_selectorELNS0_4arch9wavefront6targetE1EEEvSY_
	.p2align	8
	.type	_ZN7rocprim17ROCPRIM_400000_NS6detail17trampoline_kernelINS0_13select_configILj256ELj13ELNS0_17block_load_methodE3ELS4_3ELS4_3ELNS0_20block_scan_algorithmE0ELj4294967295EEENS1_25partition_config_selectorILNS1_17partition_subalgoE3EjNS0_10empty_typeEbEEZZNS1_14partition_implILS8_3ELb0ES6_jNS0_17counting_iteratorIjlEEPS9_SE_NS0_5tupleIJPjSE_EEENSF_IJSE_SE_EEES9_SG_JZNS1_25segmented_radix_sort_implINS0_14default_configELb1EPKfPfPKlPlN2at6native12_GLOBAL__N_18offset_tEEE10hipError_tPvRmT1_PNSt15iterator_traitsISY_E10value_typeET2_T3_PNSZ_IS14_E10value_typeET4_jRbjT5_S1A_jjP12ihipStream_tbEUljE_EEESV_SW_SX_S14_S18_S1A_T6_T7_T9_mT8_S1C_bDpT10_ENKUlT_T0_E_clISt17integral_constantIbLb0EES1O_IbLb1EEEEDaS1K_S1L_EUlS1K_E_NS1_11comp_targetILNS1_3genE3ELNS1_11target_archE908ELNS1_3gpuE7ELNS1_3repE0EEENS1_30default_config_static_selectorELNS0_4arch9wavefront6targetE1EEEvSY_,@function
_ZN7rocprim17ROCPRIM_400000_NS6detail17trampoline_kernelINS0_13select_configILj256ELj13ELNS0_17block_load_methodE3ELS4_3ELS4_3ELNS0_20block_scan_algorithmE0ELj4294967295EEENS1_25partition_config_selectorILNS1_17partition_subalgoE3EjNS0_10empty_typeEbEEZZNS1_14partition_implILS8_3ELb0ES6_jNS0_17counting_iteratorIjlEEPS9_SE_NS0_5tupleIJPjSE_EEENSF_IJSE_SE_EEES9_SG_JZNS1_25segmented_radix_sort_implINS0_14default_configELb1EPKfPfPKlPlN2at6native12_GLOBAL__N_18offset_tEEE10hipError_tPvRmT1_PNSt15iterator_traitsISY_E10value_typeET2_T3_PNSZ_IS14_E10value_typeET4_jRbjT5_S1A_jjP12ihipStream_tbEUljE_EEESV_SW_SX_S14_S18_S1A_T6_T7_T9_mT8_S1C_bDpT10_ENKUlT_T0_E_clISt17integral_constantIbLb0EES1O_IbLb1EEEEDaS1K_S1L_EUlS1K_E_NS1_11comp_targetILNS1_3genE3ELNS1_11target_archE908ELNS1_3gpuE7ELNS1_3repE0EEENS1_30default_config_static_selectorELNS0_4arch9wavefront6targetE1EEEvSY_: ; @_ZN7rocprim17ROCPRIM_400000_NS6detail17trampoline_kernelINS0_13select_configILj256ELj13ELNS0_17block_load_methodE3ELS4_3ELS4_3ELNS0_20block_scan_algorithmE0ELj4294967295EEENS1_25partition_config_selectorILNS1_17partition_subalgoE3EjNS0_10empty_typeEbEEZZNS1_14partition_implILS8_3ELb0ES6_jNS0_17counting_iteratorIjlEEPS9_SE_NS0_5tupleIJPjSE_EEENSF_IJSE_SE_EEES9_SG_JZNS1_25segmented_radix_sort_implINS0_14default_configELb1EPKfPfPKlPlN2at6native12_GLOBAL__N_18offset_tEEE10hipError_tPvRmT1_PNSt15iterator_traitsISY_E10value_typeET2_T3_PNSZ_IS14_E10value_typeET4_jRbjT5_S1A_jjP12ihipStream_tbEUljE_EEESV_SW_SX_S14_S18_S1A_T6_T7_T9_mT8_S1C_bDpT10_ENKUlT_T0_E_clISt17integral_constantIbLb0EES1O_IbLb1EEEEDaS1K_S1L_EUlS1K_E_NS1_11comp_targetILNS1_3genE3ELNS1_11target_archE908ELNS1_3gpuE7ELNS1_3repE0EEENS1_30default_config_static_selectorELNS0_4arch9wavefront6targetE1EEEvSY_
; %bb.0:
	.section	.rodata,"a",@progbits
	.p2align	6, 0x0
	.amdhsa_kernel _ZN7rocprim17ROCPRIM_400000_NS6detail17trampoline_kernelINS0_13select_configILj256ELj13ELNS0_17block_load_methodE3ELS4_3ELS4_3ELNS0_20block_scan_algorithmE0ELj4294967295EEENS1_25partition_config_selectorILNS1_17partition_subalgoE3EjNS0_10empty_typeEbEEZZNS1_14partition_implILS8_3ELb0ES6_jNS0_17counting_iteratorIjlEEPS9_SE_NS0_5tupleIJPjSE_EEENSF_IJSE_SE_EEES9_SG_JZNS1_25segmented_radix_sort_implINS0_14default_configELb1EPKfPfPKlPlN2at6native12_GLOBAL__N_18offset_tEEE10hipError_tPvRmT1_PNSt15iterator_traitsISY_E10value_typeET2_T3_PNSZ_IS14_E10value_typeET4_jRbjT5_S1A_jjP12ihipStream_tbEUljE_EEESV_SW_SX_S14_S18_S1A_T6_T7_T9_mT8_S1C_bDpT10_ENKUlT_T0_E_clISt17integral_constantIbLb0EES1O_IbLb1EEEEDaS1K_S1L_EUlS1K_E_NS1_11comp_targetILNS1_3genE3ELNS1_11target_archE908ELNS1_3gpuE7ELNS1_3repE0EEENS1_30default_config_static_selectorELNS0_4arch9wavefront6targetE1EEEvSY_
		.amdhsa_group_segment_fixed_size 0
		.amdhsa_private_segment_fixed_size 0
		.amdhsa_kernarg_size 152
		.amdhsa_user_sgpr_count 6
		.amdhsa_user_sgpr_private_segment_buffer 1
		.amdhsa_user_sgpr_dispatch_ptr 0
		.amdhsa_user_sgpr_queue_ptr 0
		.amdhsa_user_sgpr_kernarg_segment_ptr 1
		.amdhsa_user_sgpr_dispatch_id 0
		.amdhsa_user_sgpr_flat_scratch_init 0
		.amdhsa_user_sgpr_private_segment_size 0
		.amdhsa_uses_dynamic_stack 0
		.amdhsa_system_sgpr_private_segment_wavefront_offset 0
		.amdhsa_system_sgpr_workgroup_id_x 1
		.amdhsa_system_sgpr_workgroup_id_y 0
		.amdhsa_system_sgpr_workgroup_id_z 0
		.amdhsa_system_sgpr_workgroup_info 0
		.amdhsa_system_vgpr_workitem_id 0
		.amdhsa_next_free_vgpr 1
		.amdhsa_next_free_sgpr 0
		.amdhsa_reserve_vcc 0
		.amdhsa_reserve_flat_scratch 0
		.amdhsa_float_round_mode_32 0
		.amdhsa_float_round_mode_16_64 0
		.amdhsa_float_denorm_mode_32 3
		.amdhsa_float_denorm_mode_16_64 3
		.amdhsa_dx10_clamp 1
		.amdhsa_ieee_mode 1
		.amdhsa_fp16_overflow 0
		.amdhsa_exception_fp_ieee_invalid_op 0
		.amdhsa_exception_fp_denorm_src 0
		.amdhsa_exception_fp_ieee_div_zero 0
		.amdhsa_exception_fp_ieee_overflow 0
		.amdhsa_exception_fp_ieee_underflow 0
		.amdhsa_exception_fp_ieee_inexact 0
		.amdhsa_exception_int_div_zero 0
	.end_amdhsa_kernel
	.section	.text._ZN7rocprim17ROCPRIM_400000_NS6detail17trampoline_kernelINS0_13select_configILj256ELj13ELNS0_17block_load_methodE3ELS4_3ELS4_3ELNS0_20block_scan_algorithmE0ELj4294967295EEENS1_25partition_config_selectorILNS1_17partition_subalgoE3EjNS0_10empty_typeEbEEZZNS1_14partition_implILS8_3ELb0ES6_jNS0_17counting_iteratorIjlEEPS9_SE_NS0_5tupleIJPjSE_EEENSF_IJSE_SE_EEES9_SG_JZNS1_25segmented_radix_sort_implINS0_14default_configELb1EPKfPfPKlPlN2at6native12_GLOBAL__N_18offset_tEEE10hipError_tPvRmT1_PNSt15iterator_traitsISY_E10value_typeET2_T3_PNSZ_IS14_E10value_typeET4_jRbjT5_S1A_jjP12ihipStream_tbEUljE_EEESV_SW_SX_S14_S18_S1A_T6_T7_T9_mT8_S1C_bDpT10_ENKUlT_T0_E_clISt17integral_constantIbLb0EES1O_IbLb1EEEEDaS1K_S1L_EUlS1K_E_NS1_11comp_targetILNS1_3genE3ELNS1_11target_archE908ELNS1_3gpuE7ELNS1_3repE0EEENS1_30default_config_static_selectorELNS0_4arch9wavefront6targetE1EEEvSY_,"axG",@progbits,_ZN7rocprim17ROCPRIM_400000_NS6detail17trampoline_kernelINS0_13select_configILj256ELj13ELNS0_17block_load_methodE3ELS4_3ELS4_3ELNS0_20block_scan_algorithmE0ELj4294967295EEENS1_25partition_config_selectorILNS1_17partition_subalgoE3EjNS0_10empty_typeEbEEZZNS1_14partition_implILS8_3ELb0ES6_jNS0_17counting_iteratorIjlEEPS9_SE_NS0_5tupleIJPjSE_EEENSF_IJSE_SE_EEES9_SG_JZNS1_25segmented_radix_sort_implINS0_14default_configELb1EPKfPfPKlPlN2at6native12_GLOBAL__N_18offset_tEEE10hipError_tPvRmT1_PNSt15iterator_traitsISY_E10value_typeET2_T3_PNSZ_IS14_E10value_typeET4_jRbjT5_S1A_jjP12ihipStream_tbEUljE_EEESV_SW_SX_S14_S18_S1A_T6_T7_T9_mT8_S1C_bDpT10_ENKUlT_T0_E_clISt17integral_constantIbLb0EES1O_IbLb1EEEEDaS1K_S1L_EUlS1K_E_NS1_11comp_targetILNS1_3genE3ELNS1_11target_archE908ELNS1_3gpuE7ELNS1_3repE0EEENS1_30default_config_static_selectorELNS0_4arch9wavefront6targetE1EEEvSY_,comdat
.Lfunc_end1320:
	.size	_ZN7rocprim17ROCPRIM_400000_NS6detail17trampoline_kernelINS0_13select_configILj256ELj13ELNS0_17block_load_methodE3ELS4_3ELS4_3ELNS0_20block_scan_algorithmE0ELj4294967295EEENS1_25partition_config_selectorILNS1_17partition_subalgoE3EjNS0_10empty_typeEbEEZZNS1_14partition_implILS8_3ELb0ES6_jNS0_17counting_iteratorIjlEEPS9_SE_NS0_5tupleIJPjSE_EEENSF_IJSE_SE_EEES9_SG_JZNS1_25segmented_radix_sort_implINS0_14default_configELb1EPKfPfPKlPlN2at6native12_GLOBAL__N_18offset_tEEE10hipError_tPvRmT1_PNSt15iterator_traitsISY_E10value_typeET2_T3_PNSZ_IS14_E10value_typeET4_jRbjT5_S1A_jjP12ihipStream_tbEUljE_EEESV_SW_SX_S14_S18_S1A_T6_T7_T9_mT8_S1C_bDpT10_ENKUlT_T0_E_clISt17integral_constantIbLb0EES1O_IbLb1EEEEDaS1K_S1L_EUlS1K_E_NS1_11comp_targetILNS1_3genE3ELNS1_11target_archE908ELNS1_3gpuE7ELNS1_3repE0EEENS1_30default_config_static_selectorELNS0_4arch9wavefront6targetE1EEEvSY_, .Lfunc_end1320-_ZN7rocprim17ROCPRIM_400000_NS6detail17trampoline_kernelINS0_13select_configILj256ELj13ELNS0_17block_load_methodE3ELS4_3ELS4_3ELNS0_20block_scan_algorithmE0ELj4294967295EEENS1_25partition_config_selectorILNS1_17partition_subalgoE3EjNS0_10empty_typeEbEEZZNS1_14partition_implILS8_3ELb0ES6_jNS0_17counting_iteratorIjlEEPS9_SE_NS0_5tupleIJPjSE_EEENSF_IJSE_SE_EEES9_SG_JZNS1_25segmented_radix_sort_implINS0_14default_configELb1EPKfPfPKlPlN2at6native12_GLOBAL__N_18offset_tEEE10hipError_tPvRmT1_PNSt15iterator_traitsISY_E10value_typeET2_T3_PNSZ_IS14_E10value_typeET4_jRbjT5_S1A_jjP12ihipStream_tbEUljE_EEESV_SW_SX_S14_S18_S1A_T6_T7_T9_mT8_S1C_bDpT10_ENKUlT_T0_E_clISt17integral_constantIbLb0EES1O_IbLb1EEEEDaS1K_S1L_EUlS1K_E_NS1_11comp_targetILNS1_3genE3ELNS1_11target_archE908ELNS1_3gpuE7ELNS1_3repE0EEENS1_30default_config_static_selectorELNS0_4arch9wavefront6targetE1EEEvSY_
                                        ; -- End function
	.set _ZN7rocprim17ROCPRIM_400000_NS6detail17trampoline_kernelINS0_13select_configILj256ELj13ELNS0_17block_load_methodE3ELS4_3ELS4_3ELNS0_20block_scan_algorithmE0ELj4294967295EEENS1_25partition_config_selectorILNS1_17partition_subalgoE3EjNS0_10empty_typeEbEEZZNS1_14partition_implILS8_3ELb0ES6_jNS0_17counting_iteratorIjlEEPS9_SE_NS0_5tupleIJPjSE_EEENSF_IJSE_SE_EEES9_SG_JZNS1_25segmented_radix_sort_implINS0_14default_configELb1EPKfPfPKlPlN2at6native12_GLOBAL__N_18offset_tEEE10hipError_tPvRmT1_PNSt15iterator_traitsISY_E10value_typeET2_T3_PNSZ_IS14_E10value_typeET4_jRbjT5_S1A_jjP12ihipStream_tbEUljE_EEESV_SW_SX_S14_S18_S1A_T6_T7_T9_mT8_S1C_bDpT10_ENKUlT_T0_E_clISt17integral_constantIbLb0EES1O_IbLb1EEEEDaS1K_S1L_EUlS1K_E_NS1_11comp_targetILNS1_3genE3ELNS1_11target_archE908ELNS1_3gpuE7ELNS1_3repE0EEENS1_30default_config_static_selectorELNS0_4arch9wavefront6targetE1EEEvSY_.num_vgpr, 0
	.set _ZN7rocprim17ROCPRIM_400000_NS6detail17trampoline_kernelINS0_13select_configILj256ELj13ELNS0_17block_load_methodE3ELS4_3ELS4_3ELNS0_20block_scan_algorithmE0ELj4294967295EEENS1_25partition_config_selectorILNS1_17partition_subalgoE3EjNS0_10empty_typeEbEEZZNS1_14partition_implILS8_3ELb0ES6_jNS0_17counting_iteratorIjlEEPS9_SE_NS0_5tupleIJPjSE_EEENSF_IJSE_SE_EEES9_SG_JZNS1_25segmented_radix_sort_implINS0_14default_configELb1EPKfPfPKlPlN2at6native12_GLOBAL__N_18offset_tEEE10hipError_tPvRmT1_PNSt15iterator_traitsISY_E10value_typeET2_T3_PNSZ_IS14_E10value_typeET4_jRbjT5_S1A_jjP12ihipStream_tbEUljE_EEESV_SW_SX_S14_S18_S1A_T6_T7_T9_mT8_S1C_bDpT10_ENKUlT_T0_E_clISt17integral_constantIbLb0EES1O_IbLb1EEEEDaS1K_S1L_EUlS1K_E_NS1_11comp_targetILNS1_3genE3ELNS1_11target_archE908ELNS1_3gpuE7ELNS1_3repE0EEENS1_30default_config_static_selectorELNS0_4arch9wavefront6targetE1EEEvSY_.num_agpr, 0
	.set _ZN7rocprim17ROCPRIM_400000_NS6detail17trampoline_kernelINS0_13select_configILj256ELj13ELNS0_17block_load_methodE3ELS4_3ELS4_3ELNS0_20block_scan_algorithmE0ELj4294967295EEENS1_25partition_config_selectorILNS1_17partition_subalgoE3EjNS0_10empty_typeEbEEZZNS1_14partition_implILS8_3ELb0ES6_jNS0_17counting_iteratorIjlEEPS9_SE_NS0_5tupleIJPjSE_EEENSF_IJSE_SE_EEES9_SG_JZNS1_25segmented_radix_sort_implINS0_14default_configELb1EPKfPfPKlPlN2at6native12_GLOBAL__N_18offset_tEEE10hipError_tPvRmT1_PNSt15iterator_traitsISY_E10value_typeET2_T3_PNSZ_IS14_E10value_typeET4_jRbjT5_S1A_jjP12ihipStream_tbEUljE_EEESV_SW_SX_S14_S18_S1A_T6_T7_T9_mT8_S1C_bDpT10_ENKUlT_T0_E_clISt17integral_constantIbLb0EES1O_IbLb1EEEEDaS1K_S1L_EUlS1K_E_NS1_11comp_targetILNS1_3genE3ELNS1_11target_archE908ELNS1_3gpuE7ELNS1_3repE0EEENS1_30default_config_static_selectorELNS0_4arch9wavefront6targetE1EEEvSY_.numbered_sgpr, 0
	.set _ZN7rocprim17ROCPRIM_400000_NS6detail17trampoline_kernelINS0_13select_configILj256ELj13ELNS0_17block_load_methodE3ELS4_3ELS4_3ELNS0_20block_scan_algorithmE0ELj4294967295EEENS1_25partition_config_selectorILNS1_17partition_subalgoE3EjNS0_10empty_typeEbEEZZNS1_14partition_implILS8_3ELb0ES6_jNS0_17counting_iteratorIjlEEPS9_SE_NS0_5tupleIJPjSE_EEENSF_IJSE_SE_EEES9_SG_JZNS1_25segmented_radix_sort_implINS0_14default_configELb1EPKfPfPKlPlN2at6native12_GLOBAL__N_18offset_tEEE10hipError_tPvRmT1_PNSt15iterator_traitsISY_E10value_typeET2_T3_PNSZ_IS14_E10value_typeET4_jRbjT5_S1A_jjP12ihipStream_tbEUljE_EEESV_SW_SX_S14_S18_S1A_T6_T7_T9_mT8_S1C_bDpT10_ENKUlT_T0_E_clISt17integral_constantIbLb0EES1O_IbLb1EEEEDaS1K_S1L_EUlS1K_E_NS1_11comp_targetILNS1_3genE3ELNS1_11target_archE908ELNS1_3gpuE7ELNS1_3repE0EEENS1_30default_config_static_selectorELNS0_4arch9wavefront6targetE1EEEvSY_.num_named_barrier, 0
	.set _ZN7rocprim17ROCPRIM_400000_NS6detail17trampoline_kernelINS0_13select_configILj256ELj13ELNS0_17block_load_methodE3ELS4_3ELS4_3ELNS0_20block_scan_algorithmE0ELj4294967295EEENS1_25partition_config_selectorILNS1_17partition_subalgoE3EjNS0_10empty_typeEbEEZZNS1_14partition_implILS8_3ELb0ES6_jNS0_17counting_iteratorIjlEEPS9_SE_NS0_5tupleIJPjSE_EEENSF_IJSE_SE_EEES9_SG_JZNS1_25segmented_radix_sort_implINS0_14default_configELb1EPKfPfPKlPlN2at6native12_GLOBAL__N_18offset_tEEE10hipError_tPvRmT1_PNSt15iterator_traitsISY_E10value_typeET2_T3_PNSZ_IS14_E10value_typeET4_jRbjT5_S1A_jjP12ihipStream_tbEUljE_EEESV_SW_SX_S14_S18_S1A_T6_T7_T9_mT8_S1C_bDpT10_ENKUlT_T0_E_clISt17integral_constantIbLb0EES1O_IbLb1EEEEDaS1K_S1L_EUlS1K_E_NS1_11comp_targetILNS1_3genE3ELNS1_11target_archE908ELNS1_3gpuE7ELNS1_3repE0EEENS1_30default_config_static_selectorELNS0_4arch9wavefront6targetE1EEEvSY_.private_seg_size, 0
	.set _ZN7rocprim17ROCPRIM_400000_NS6detail17trampoline_kernelINS0_13select_configILj256ELj13ELNS0_17block_load_methodE3ELS4_3ELS4_3ELNS0_20block_scan_algorithmE0ELj4294967295EEENS1_25partition_config_selectorILNS1_17partition_subalgoE3EjNS0_10empty_typeEbEEZZNS1_14partition_implILS8_3ELb0ES6_jNS0_17counting_iteratorIjlEEPS9_SE_NS0_5tupleIJPjSE_EEENSF_IJSE_SE_EEES9_SG_JZNS1_25segmented_radix_sort_implINS0_14default_configELb1EPKfPfPKlPlN2at6native12_GLOBAL__N_18offset_tEEE10hipError_tPvRmT1_PNSt15iterator_traitsISY_E10value_typeET2_T3_PNSZ_IS14_E10value_typeET4_jRbjT5_S1A_jjP12ihipStream_tbEUljE_EEESV_SW_SX_S14_S18_S1A_T6_T7_T9_mT8_S1C_bDpT10_ENKUlT_T0_E_clISt17integral_constantIbLb0EES1O_IbLb1EEEEDaS1K_S1L_EUlS1K_E_NS1_11comp_targetILNS1_3genE3ELNS1_11target_archE908ELNS1_3gpuE7ELNS1_3repE0EEENS1_30default_config_static_selectorELNS0_4arch9wavefront6targetE1EEEvSY_.uses_vcc, 0
	.set _ZN7rocprim17ROCPRIM_400000_NS6detail17trampoline_kernelINS0_13select_configILj256ELj13ELNS0_17block_load_methodE3ELS4_3ELS4_3ELNS0_20block_scan_algorithmE0ELj4294967295EEENS1_25partition_config_selectorILNS1_17partition_subalgoE3EjNS0_10empty_typeEbEEZZNS1_14partition_implILS8_3ELb0ES6_jNS0_17counting_iteratorIjlEEPS9_SE_NS0_5tupleIJPjSE_EEENSF_IJSE_SE_EEES9_SG_JZNS1_25segmented_radix_sort_implINS0_14default_configELb1EPKfPfPKlPlN2at6native12_GLOBAL__N_18offset_tEEE10hipError_tPvRmT1_PNSt15iterator_traitsISY_E10value_typeET2_T3_PNSZ_IS14_E10value_typeET4_jRbjT5_S1A_jjP12ihipStream_tbEUljE_EEESV_SW_SX_S14_S18_S1A_T6_T7_T9_mT8_S1C_bDpT10_ENKUlT_T0_E_clISt17integral_constantIbLb0EES1O_IbLb1EEEEDaS1K_S1L_EUlS1K_E_NS1_11comp_targetILNS1_3genE3ELNS1_11target_archE908ELNS1_3gpuE7ELNS1_3repE0EEENS1_30default_config_static_selectorELNS0_4arch9wavefront6targetE1EEEvSY_.uses_flat_scratch, 0
	.set _ZN7rocprim17ROCPRIM_400000_NS6detail17trampoline_kernelINS0_13select_configILj256ELj13ELNS0_17block_load_methodE3ELS4_3ELS4_3ELNS0_20block_scan_algorithmE0ELj4294967295EEENS1_25partition_config_selectorILNS1_17partition_subalgoE3EjNS0_10empty_typeEbEEZZNS1_14partition_implILS8_3ELb0ES6_jNS0_17counting_iteratorIjlEEPS9_SE_NS0_5tupleIJPjSE_EEENSF_IJSE_SE_EEES9_SG_JZNS1_25segmented_radix_sort_implINS0_14default_configELb1EPKfPfPKlPlN2at6native12_GLOBAL__N_18offset_tEEE10hipError_tPvRmT1_PNSt15iterator_traitsISY_E10value_typeET2_T3_PNSZ_IS14_E10value_typeET4_jRbjT5_S1A_jjP12ihipStream_tbEUljE_EEESV_SW_SX_S14_S18_S1A_T6_T7_T9_mT8_S1C_bDpT10_ENKUlT_T0_E_clISt17integral_constantIbLb0EES1O_IbLb1EEEEDaS1K_S1L_EUlS1K_E_NS1_11comp_targetILNS1_3genE3ELNS1_11target_archE908ELNS1_3gpuE7ELNS1_3repE0EEENS1_30default_config_static_selectorELNS0_4arch9wavefront6targetE1EEEvSY_.has_dyn_sized_stack, 0
	.set _ZN7rocprim17ROCPRIM_400000_NS6detail17trampoline_kernelINS0_13select_configILj256ELj13ELNS0_17block_load_methodE3ELS4_3ELS4_3ELNS0_20block_scan_algorithmE0ELj4294967295EEENS1_25partition_config_selectorILNS1_17partition_subalgoE3EjNS0_10empty_typeEbEEZZNS1_14partition_implILS8_3ELb0ES6_jNS0_17counting_iteratorIjlEEPS9_SE_NS0_5tupleIJPjSE_EEENSF_IJSE_SE_EEES9_SG_JZNS1_25segmented_radix_sort_implINS0_14default_configELb1EPKfPfPKlPlN2at6native12_GLOBAL__N_18offset_tEEE10hipError_tPvRmT1_PNSt15iterator_traitsISY_E10value_typeET2_T3_PNSZ_IS14_E10value_typeET4_jRbjT5_S1A_jjP12ihipStream_tbEUljE_EEESV_SW_SX_S14_S18_S1A_T6_T7_T9_mT8_S1C_bDpT10_ENKUlT_T0_E_clISt17integral_constantIbLb0EES1O_IbLb1EEEEDaS1K_S1L_EUlS1K_E_NS1_11comp_targetILNS1_3genE3ELNS1_11target_archE908ELNS1_3gpuE7ELNS1_3repE0EEENS1_30default_config_static_selectorELNS0_4arch9wavefront6targetE1EEEvSY_.has_recursion, 0
	.set _ZN7rocprim17ROCPRIM_400000_NS6detail17trampoline_kernelINS0_13select_configILj256ELj13ELNS0_17block_load_methodE3ELS4_3ELS4_3ELNS0_20block_scan_algorithmE0ELj4294967295EEENS1_25partition_config_selectorILNS1_17partition_subalgoE3EjNS0_10empty_typeEbEEZZNS1_14partition_implILS8_3ELb0ES6_jNS0_17counting_iteratorIjlEEPS9_SE_NS0_5tupleIJPjSE_EEENSF_IJSE_SE_EEES9_SG_JZNS1_25segmented_radix_sort_implINS0_14default_configELb1EPKfPfPKlPlN2at6native12_GLOBAL__N_18offset_tEEE10hipError_tPvRmT1_PNSt15iterator_traitsISY_E10value_typeET2_T3_PNSZ_IS14_E10value_typeET4_jRbjT5_S1A_jjP12ihipStream_tbEUljE_EEESV_SW_SX_S14_S18_S1A_T6_T7_T9_mT8_S1C_bDpT10_ENKUlT_T0_E_clISt17integral_constantIbLb0EES1O_IbLb1EEEEDaS1K_S1L_EUlS1K_E_NS1_11comp_targetILNS1_3genE3ELNS1_11target_archE908ELNS1_3gpuE7ELNS1_3repE0EEENS1_30default_config_static_selectorELNS0_4arch9wavefront6targetE1EEEvSY_.has_indirect_call, 0
	.section	.AMDGPU.csdata,"",@progbits
; Kernel info:
; codeLenInByte = 0
; TotalNumSgprs: 4
; NumVgprs: 0
; ScratchSize: 0
; MemoryBound: 0
; FloatMode: 240
; IeeeMode: 1
; LDSByteSize: 0 bytes/workgroup (compile time only)
; SGPRBlocks: 0
; VGPRBlocks: 0
; NumSGPRsForWavesPerEU: 4
; NumVGPRsForWavesPerEU: 1
; Occupancy: 10
; WaveLimiterHint : 0
; COMPUTE_PGM_RSRC2:SCRATCH_EN: 0
; COMPUTE_PGM_RSRC2:USER_SGPR: 6
; COMPUTE_PGM_RSRC2:TRAP_HANDLER: 0
; COMPUTE_PGM_RSRC2:TGID_X_EN: 1
; COMPUTE_PGM_RSRC2:TGID_Y_EN: 0
; COMPUTE_PGM_RSRC2:TGID_Z_EN: 0
; COMPUTE_PGM_RSRC2:TIDIG_COMP_CNT: 0
	.section	.text._ZN7rocprim17ROCPRIM_400000_NS6detail17trampoline_kernelINS0_13select_configILj256ELj13ELNS0_17block_load_methodE3ELS4_3ELS4_3ELNS0_20block_scan_algorithmE0ELj4294967295EEENS1_25partition_config_selectorILNS1_17partition_subalgoE3EjNS0_10empty_typeEbEEZZNS1_14partition_implILS8_3ELb0ES6_jNS0_17counting_iteratorIjlEEPS9_SE_NS0_5tupleIJPjSE_EEENSF_IJSE_SE_EEES9_SG_JZNS1_25segmented_radix_sort_implINS0_14default_configELb1EPKfPfPKlPlN2at6native12_GLOBAL__N_18offset_tEEE10hipError_tPvRmT1_PNSt15iterator_traitsISY_E10value_typeET2_T3_PNSZ_IS14_E10value_typeET4_jRbjT5_S1A_jjP12ihipStream_tbEUljE_EEESV_SW_SX_S14_S18_S1A_T6_T7_T9_mT8_S1C_bDpT10_ENKUlT_T0_E_clISt17integral_constantIbLb0EES1O_IbLb1EEEEDaS1K_S1L_EUlS1K_E_NS1_11comp_targetILNS1_3genE2ELNS1_11target_archE906ELNS1_3gpuE6ELNS1_3repE0EEENS1_30default_config_static_selectorELNS0_4arch9wavefront6targetE1EEEvSY_,"axG",@progbits,_ZN7rocprim17ROCPRIM_400000_NS6detail17trampoline_kernelINS0_13select_configILj256ELj13ELNS0_17block_load_methodE3ELS4_3ELS4_3ELNS0_20block_scan_algorithmE0ELj4294967295EEENS1_25partition_config_selectorILNS1_17partition_subalgoE3EjNS0_10empty_typeEbEEZZNS1_14partition_implILS8_3ELb0ES6_jNS0_17counting_iteratorIjlEEPS9_SE_NS0_5tupleIJPjSE_EEENSF_IJSE_SE_EEES9_SG_JZNS1_25segmented_radix_sort_implINS0_14default_configELb1EPKfPfPKlPlN2at6native12_GLOBAL__N_18offset_tEEE10hipError_tPvRmT1_PNSt15iterator_traitsISY_E10value_typeET2_T3_PNSZ_IS14_E10value_typeET4_jRbjT5_S1A_jjP12ihipStream_tbEUljE_EEESV_SW_SX_S14_S18_S1A_T6_T7_T9_mT8_S1C_bDpT10_ENKUlT_T0_E_clISt17integral_constantIbLb0EES1O_IbLb1EEEEDaS1K_S1L_EUlS1K_E_NS1_11comp_targetILNS1_3genE2ELNS1_11target_archE906ELNS1_3gpuE6ELNS1_3repE0EEENS1_30default_config_static_selectorELNS0_4arch9wavefront6targetE1EEEvSY_,comdat
	.globl	_ZN7rocprim17ROCPRIM_400000_NS6detail17trampoline_kernelINS0_13select_configILj256ELj13ELNS0_17block_load_methodE3ELS4_3ELS4_3ELNS0_20block_scan_algorithmE0ELj4294967295EEENS1_25partition_config_selectorILNS1_17partition_subalgoE3EjNS0_10empty_typeEbEEZZNS1_14partition_implILS8_3ELb0ES6_jNS0_17counting_iteratorIjlEEPS9_SE_NS0_5tupleIJPjSE_EEENSF_IJSE_SE_EEES9_SG_JZNS1_25segmented_radix_sort_implINS0_14default_configELb1EPKfPfPKlPlN2at6native12_GLOBAL__N_18offset_tEEE10hipError_tPvRmT1_PNSt15iterator_traitsISY_E10value_typeET2_T3_PNSZ_IS14_E10value_typeET4_jRbjT5_S1A_jjP12ihipStream_tbEUljE_EEESV_SW_SX_S14_S18_S1A_T6_T7_T9_mT8_S1C_bDpT10_ENKUlT_T0_E_clISt17integral_constantIbLb0EES1O_IbLb1EEEEDaS1K_S1L_EUlS1K_E_NS1_11comp_targetILNS1_3genE2ELNS1_11target_archE906ELNS1_3gpuE6ELNS1_3repE0EEENS1_30default_config_static_selectorELNS0_4arch9wavefront6targetE1EEEvSY_ ; -- Begin function _ZN7rocprim17ROCPRIM_400000_NS6detail17trampoline_kernelINS0_13select_configILj256ELj13ELNS0_17block_load_methodE3ELS4_3ELS4_3ELNS0_20block_scan_algorithmE0ELj4294967295EEENS1_25partition_config_selectorILNS1_17partition_subalgoE3EjNS0_10empty_typeEbEEZZNS1_14partition_implILS8_3ELb0ES6_jNS0_17counting_iteratorIjlEEPS9_SE_NS0_5tupleIJPjSE_EEENSF_IJSE_SE_EEES9_SG_JZNS1_25segmented_radix_sort_implINS0_14default_configELb1EPKfPfPKlPlN2at6native12_GLOBAL__N_18offset_tEEE10hipError_tPvRmT1_PNSt15iterator_traitsISY_E10value_typeET2_T3_PNSZ_IS14_E10value_typeET4_jRbjT5_S1A_jjP12ihipStream_tbEUljE_EEESV_SW_SX_S14_S18_S1A_T6_T7_T9_mT8_S1C_bDpT10_ENKUlT_T0_E_clISt17integral_constantIbLb0EES1O_IbLb1EEEEDaS1K_S1L_EUlS1K_E_NS1_11comp_targetILNS1_3genE2ELNS1_11target_archE906ELNS1_3gpuE6ELNS1_3repE0EEENS1_30default_config_static_selectorELNS0_4arch9wavefront6targetE1EEEvSY_
	.p2align	8
	.type	_ZN7rocprim17ROCPRIM_400000_NS6detail17trampoline_kernelINS0_13select_configILj256ELj13ELNS0_17block_load_methodE3ELS4_3ELS4_3ELNS0_20block_scan_algorithmE0ELj4294967295EEENS1_25partition_config_selectorILNS1_17partition_subalgoE3EjNS0_10empty_typeEbEEZZNS1_14partition_implILS8_3ELb0ES6_jNS0_17counting_iteratorIjlEEPS9_SE_NS0_5tupleIJPjSE_EEENSF_IJSE_SE_EEES9_SG_JZNS1_25segmented_radix_sort_implINS0_14default_configELb1EPKfPfPKlPlN2at6native12_GLOBAL__N_18offset_tEEE10hipError_tPvRmT1_PNSt15iterator_traitsISY_E10value_typeET2_T3_PNSZ_IS14_E10value_typeET4_jRbjT5_S1A_jjP12ihipStream_tbEUljE_EEESV_SW_SX_S14_S18_S1A_T6_T7_T9_mT8_S1C_bDpT10_ENKUlT_T0_E_clISt17integral_constantIbLb0EES1O_IbLb1EEEEDaS1K_S1L_EUlS1K_E_NS1_11comp_targetILNS1_3genE2ELNS1_11target_archE906ELNS1_3gpuE6ELNS1_3repE0EEENS1_30default_config_static_selectorELNS0_4arch9wavefront6targetE1EEEvSY_,@function
_ZN7rocprim17ROCPRIM_400000_NS6detail17trampoline_kernelINS0_13select_configILj256ELj13ELNS0_17block_load_methodE3ELS4_3ELS4_3ELNS0_20block_scan_algorithmE0ELj4294967295EEENS1_25partition_config_selectorILNS1_17partition_subalgoE3EjNS0_10empty_typeEbEEZZNS1_14partition_implILS8_3ELb0ES6_jNS0_17counting_iteratorIjlEEPS9_SE_NS0_5tupleIJPjSE_EEENSF_IJSE_SE_EEES9_SG_JZNS1_25segmented_radix_sort_implINS0_14default_configELb1EPKfPfPKlPlN2at6native12_GLOBAL__N_18offset_tEEE10hipError_tPvRmT1_PNSt15iterator_traitsISY_E10value_typeET2_T3_PNSZ_IS14_E10value_typeET4_jRbjT5_S1A_jjP12ihipStream_tbEUljE_EEESV_SW_SX_S14_S18_S1A_T6_T7_T9_mT8_S1C_bDpT10_ENKUlT_T0_E_clISt17integral_constantIbLb0EES1O_IbLb1EEEEDaS1K_S1L_EUlS1K_E_NS1_11comp_targetILNS1_3genE2ELNS1_11target_archE906ELNS1_3gpuE6ELNS1_3repE0EEENS1_30default_config_static_selectorELNS0_4arch9wavefront6targetE1EEEvSY_: ; @_ZN7rocprim17ROCPRIM_400000_NS6detail17trampoline_kernelINS0_13select_configILj256ELj13ELNS0_17block_load_methodE3ELS4_3ELS4_3ELNS0_20block_scan_algorithmE0ELj4294967295EEENS1_25partition_config_selectorILNS1_17partition_subalgoE3EjNS0_10empty_typeEbEEZZNS1_14partition_implILS8_3ELb0ES6_jNS0_17counting_iteratorIjlEEPS9_SE_NS0_5tupleIJPjSE_EEENSF_IJSE_SE_EEES9_SG_JZNS1_25segmented_radix_sort_implINS0_14default_configELb1EPKfPfPKlPlN2at6native12_GLOBAL__N_18offset_tEEE10hipError_tPvRmT1_PNSt15iterator_traitsISY_E10value_typeET2_T3_PNSZ_IS14_E10value_typeET4_jRbjT5_S1A_jjP12ihipStream_tbEUljE_EEESV_SW_SX_S14_S18_S1A_T6_T7_T9_mT8_S1C_bDpT10_ENKUlT_T0_E_clISt17integral_constantIbLb0EES1O_IbLb1EEEEDaS1K_S1L_EUlS1K_E_NS1_11comp_targetILNS1_3genE2ELNS1_11target_archE906ELNS1_3gpuE6ELNS1_3repE0EEENS1_30default_config_static_selectorELNS0_4arch9wavefront6targetE1EEEvSY_
; %bb.0:
	s_load_dwordx2 s[28:29], s[4:5], 0x10
	s_load_dwordx2 s[22:23], s[4:5], 0x28
	;; [unrolled: 1-line block ×3, first 2 shown]
	s_load_dwordx4 s[24:27], s[4:5], 0x48
	s_load_dword s14, s[4:5], 0x90
	s_load_dwordx2 s[34:35], s[4:5], 0x68
	s_load_dwordx4 s[8:11], s[4:5], 0x80
	v_cmp_eq_u32_e64 s[0:1], 0, v0
	s_and_saveexec_b64 s[2:3], s[0:1]
	s_cbranch_execz .LBB1321_4
; %bb.1:
	s_mov_b64 s[12:13], exec
	v_mbcnt_lo_u32_b32 v1, s12, 0
	v_mbcnt_hi_u32_b32 v1, s13, v1
	v_cmp_eq_u32_e32 vcc, 0, v1
                                        ; implicit-def: $vgpr2
	s_and_saveexec_b64 s[6:7], vcc
	s_cbranch_execz .LBB1321_3
; %bb.2:
	s_load_dwordx2 s[16:17], s[4:5], 0x78
	s_bcnt1_i32_b64 s12, s[12:13]
	v_mov_b32_e32 v2, 0
	v_mov_b32_e32 v3, s12
	s_waitcnt lgkmcnt(0)
	global_atomic_add v2, v2, v3, s[16:17] glc
.LBB1321_3:
	s_or_b64 exec, exec, s[6:7]
	s_waitcnt vmcnt(0)
	v_readfirstlane_b32 s6, v2
	v_add_u32_e32 v1, s6, v1
	v_mov_b32_e32 v2, 0
	ds_write_b32 v2, v1
.LBB1321_4:
	s_or_b64 exec, exec, s[2:3]
	v_mov_b32_e32 v1, 0
	s_load_dword s6, s[4:5], 0x8
	s_load_dword s2, s[4:5], 0x70
	s_waitcnt lgkmcnt(0)
	s_barrier
	ds_read_b32 v5, v1
	s_waitcnt lgkmcnt(0)
	s_barrier
	global_load_dwordx2 v[3:4], v1, s[26:27]
	s_add_i32 s4, s2, -1
	s_mulk_i32 s2, 0xd00
	s_add_i32 s3, s2, s28
	s_sub_i32 s33, s30, s3
	s_add_i32 s6, s6, s28
	s_addk_i32 s33, 0xd00
	s_add_u32 s2, s28, s2
	s_addc_u32 s3, s29, 0
	v_mov_b32_e32 v1, s2
	v_mov_b32_e32 v2, s3
	v_readfirstlane_b32 s43, v5
	v_cmp_gt_u64_e32 vcc, s[30:31], v[1:2]
	s_cmp_eq_u32 s43, s4
	v_cmp_ne_u32_e64 s[2:3], s4, v5
	s_cselect_b64 s[26:27], -1, 0
	s_or_b64 s[4:5], vcc, s[2:3]
	s_mul_i32 s42, s43, 0xd00
	s_mov_b64 s[2:3], -1
	s_and_b64 vcc, exec, s[4:5]
	v_lshlrev_b32_e32 v25, 2, v0
	s_cbranch_vccz .LBB1321_6
; %bb.5:
	s_add_i32 s2, s42, s6
	v_add_u32_e32 v1, s2, v0
	v_add_u32_e32 v2, 0x100, v1
	;; [unrolled: 1-line block ×13, first 2 shown]
	ds_write2st64_b32 v25, v1, v2 offset1:4
	ds_write2st64_b32 v25, v5, v6 offset0:8 offset1:12
	ds_write2st64_b32 v25, v7, v8 offset0:16 offset1:20
	;; [unrolled: 1-line block ×5, first 2 shown]
	ds_write_b32 v25, v15 offset:12288
	s_waitcnt vmcnt(0) lgkmcnt(0)
	s_barrier
	s_mov_b64 s[2:3], 0
.LBB1321_6:
	s_andn2_b64 vcc, exec, s[2:3]
	v_cmp_gt_u32_e64 s[2:3], s33, v0
	s_cbranch_vccnz .LBB1321_8
; %bb.7:
	s_add_i32 s6, s42, s6
	v_or_b32_e32 v2, 0x100, v0
	v_add_u32_e32 v5, s6, v2
	v_cmp_gt_u32_e32 vcc, s33, v2
	v_cndmask_b32_e32 v2, 0, v5, vcc
	v_or_b32_e32 v5, 0x200, v0
	v_add_u32_e32 v6, s6, v5
	v_cmp_gt_u32_e32 vcc, s33, v5
	v_cndmask_b32_e32 v5, 0, v6, vcc
	;; [unrolled: 4-line block ×10, first 2 shown]
	v_or_b32_e32 v14, 0xb00, v0
	v_add_u32_e32 v15, s6, v14
	v_cmp_gt_u32_e32 vcc, s33, v14
	v_add_u32_e32 v1, s6, v0
	v_cndmask_b32_e32 v14, 0, v15, vcc
	v_or_b32_e32 v15, 0xc00, v0
	v_cndmask_b32_e64 v1, 0, v1, s[2:3]
	v_add_u32_e32 v16, s6, v15
	v_cmp_gt_u32_e32 vcc, s33, v15
	v_cndmask_b32_e32 v15, 0, v16, vcc
	ds_write2st64_b32 v25, v1, v2 offset1:4
	ds_write2st64_b32 v25, v5, v6 offset0:8 offset1:12
	ds_write2st64_b32 v25, v7, v8 offset0:16 offset1:20
	;; [unrolled: 1-line block ×5, first 2 shown]
	ds_write_b32 v25, v15 offset:12288
	s_waitcnt vmcnt(0) lgkmcnt(0)
	s_barrier
.LBB1321_8:
	v_mul_u32_u24_e32 v27, 13, v0
	v_lshlrev_b32_e32 v1, 2, v27
	ds_read2_b32 v[15:16], v1 offset1:1
	ds_read2_b32 v[13:14], v1 offset0:2 offset1:3
	ds_read2_b32 v[11:12], v1 offset0:4 offset1:5
	;; [unrolled: 1-line block ×5, first 2 shown]
	ds_read_b32 v26, v1 offset:48
	v_cndmask_b32_e64 v1, 0, 1, s[4:5]
	v_cmp_ne_u32_e64 s[2:3], 1, v1
	s_andn2_b64 vcc, exec, s[4:5]
	s_waitcnt vmcnt(0) lgkmcnt(0)
	s_barrier
	s_cbranch_vccnz .LBB1321_10
; %bb.9:
	v_add_u32_e32 v1, s9, v15
	v_add_u32_e32 v2, s11, v15
	v_mul_lo_u32 v1, v1, s8
	v_mul_lo_u32 v2, v2, s10
	v_add_u32_e32 v17, s9, v13
	v_add_u32_e32 v18, s11, v13
	v_mul_lo_u32 v17, v17, s8
	v_sub_u32_e32 v1, v1, v2
	v_cmp_lt_u32_e32 vcc, s14, v1
	v_add_u32_e32 v1, s9, v16
	v_add_u32_e32 v2, s11, v16
	v_mul_lo_u32 v1, v1, s8
	v_mul_lo_u32 v2, v2, s10
	;; [unrolled: 1-line block ×3, first 2 shown]
	v_cndmask_b32_e64 v28, 0, 1, vcc
	v_sub_u32_e32 v1, v1, v2
	v_cmp_lt_u32_e32 vcc, s14, v1
	v_sub_u32_e32 v1, v17, v18
	v_cndmask_b32_e64 v29, 0, 1, vcc
	v_cmp_lt_u32_e32 vcc, s14, v1
	v_add_u32_e32 v1, s9, v14
	v_add_u32_e32 v2, s11, v14
	v_mul_lo_u32 v1, v1, s8
	v_mul_lo_u32 v2, v2, s10
	v_add_u32_e32 v17, s9, v11
	v_add_u32_e32 v18, s11, v11
	v_mul_lo_u32 v17, v17, s8
	v_mul_lo_u32 v18, v18, s10
	v_sub_u32_e32 v1, v1, v2
	v_cndmask_b32_e64 v30, 0, 1, vcc
	v_cmp_lt_u32_e32 vcc, s14, v1
	v_sub_u32_e32 v1, v17, v18
	v_cndmask_b32_e64 v31, 0, 1, vcc
	v_cmp_lt_u32_e32 vcc, s14, v1
	v_add_u32_e32 v1, s9, v12
	v_add_u32_e32 v2, s11, v12
	v_mul_lo_u32 v1, v1, s8
	v_mul_lo_u32 v2, v2, s10
	v_add_u32_e32 v17, s9, v9
	v_add_u32_e32 v18, s11, v9
	v_mul_lo_u32 v17, v17, s8
	v_mul_lo_u32 v18, v18, s10
	v_sub_u32_e32 v1, v1, v2
	v_cndmask_b32_e64 v32, 0, 1, vcc
	;; [unrolled: 14-line block ×5, first 2 shown]
	v_cmp_lt_u32_e32 vcc, s14, v1
	v_sub_u32_e32 v1, v17, v18
	v_cndmask_b32_e64 v39, 0, 1, vcc
	v_cmp_lt_u32_e64 s[36:37], s14, v1
	s_cbranch_execz .LBB1321_11
	s_branch .LBB1321_38
.LBB1321_10:
                                        ; implicit-def: $sgpr36_sgpr37
                                        ; implicit-def: $vgpr39
                                        ; implicit-def: $vgpr38
                                        ; implicit-def: $vgpr37
                                        ; implicit-def: $vgpr36
                                        ; implicit-def: $vgpr35
                                        ; implicit-def: $vgpr34
                                        ; implicit-def: $vgpr33
                                        ; implicit-def: $vgpr32
                                        ; implicit-def: $vgpr28
                                        ; implicit-def: $vgpr29
                                        ; implicit-def: $vgpr30
                                        ; implicit-def: $vgpr31
.LBB1321_11:
	v_cmp_gt_u32_e32 vcc, s33, v27
	v_mov_b32_e32 v29, 0
	v_mov_b32_e32 v28, 0
	s_and_saveexec_b64 s[4:5], vcc
	s_cbranch_execz .LBB1321_13
; %bb.12:
	v_add_u32_e32 v1, s9, v15
	v_add_u32_e32 v2, s11, v15
	v_mul_lo_u32 v1, v1, s8
	v_mul_lo_u32 v2, v2, s10
	v_sub_u32_e32 v1, v1, v2
	v_cmp_lt_u32_e32 vcc, s14, v1
	v_cndmask_b32_e64 v28, 0, 1, vcc
.LBB1321_13:
	s_or_b64 exec, exec, s[4:5]
	v_add_u32_e32 v1, 1, v27
	v_cmp_gt_u32_e32 vcc, s33, v1
	s_and_saveexec_b64 s[4:5], vcc
	s_cbranch_execz .LBB1321_15
; %bb.14:
	v_add_u32_e32 v1, s9, v16
	v_add_u32_e32 v2, s11, v16
	v_mul_lo_u32 v1, v1, s8
	v_mul_lo_u32 v2, v2, s10
	v_sub_u32_e32 v1, v1, v2
	v_cmp_lt_u32_e32 vcc, s14, v1
	v_cndmask_b32_e64 v29, 0, 1, vcc
.LBB1321_15:
	s_or_b64 exec, exec, s[4:5]
	v_add_u32_e32 v1, 2, v27
	v_cmp_gt_u32_e32 vcc, s33, v1
	v_mov_b32_e32 v31, 0
	v_mov_b32_e32 v30, 0
	s_and_saveexec_b64 s[4:5], vcc
	s_cbranch_execz .LBB1321_17
; %bb.16:
	v_add_u32_e32 v1, s9, v13
	v_add_u32_e32 v2, s11, v13
	v_mul_lo_u32 v1, v1, s8
	v_mul_lo_u32 v2, v2, s10
	v_sub_u32_e32 v1, v1, v2
	v_cmp_lt_u32_e32 vcc, s14, v1
	v_cndmask_b32_e64 v30, 0, 1, vcc
.LBB1321_17:
	s_or_b64 exec, exec, s[4:5]
	v_add_u32_e32 v1, 3, v27
	v_cmp_gt_u32_e32 vcc, s33, v1
	s_and_saveexec_b64 s[4:5], vcc
	s_cbranch_execz .LBB1321_19
; %bb.18:
	v_add_u32_e32 v1, s9, v14
	v_add_u32_e32 v2, s11, v14
	v_mul_lo_u32 v1, v1, s8
	v_mul_lo_u32 v2, v2, s10
	v_sub_u32_e32 v1, v1, v2
	v_cmp_lt_u32_e32 vcc, s14, v1
	v_cndmask_b32_e64 v31, 0, 1, vcc
.LBB1321_19:
	s_or_b64 exec, exec, s[4:5]
	v_add_u32_e32 v1, 4, v27
	;; [unrolled: 30-line block ×6, first 2 shown]
	v_cmp_gt_u32_e32 vcc, s33, v1
	s_mov_b64 s[36:37], 0
	s_and_saveexec_b64 s[4:5], vcc
	s_cbranch_execz .LBB1321_37
; %bb.36:
	v_add_u32_e32 v1, s9, v26
	v_add_u32_e32 v2, s11, v26
	v_mul_lo_u32 v1, v1, s8
	v_mul_lo_u32 v2, v2, s10
	v_sub_u32_e32 v1, v1, v2
	v_cmp_lt_u32_e32 vcc, s14, v1
	s_and_b64 s[36:37], vcc, exec
.LBB1321_37:
	s_or_b64 exec, exec, s[4:5]
.LBB1321_38:
	v_and_b32_e32 v42, 0xff, v29
	v_and_b32_e32 v43, 0xff, v30
	;; [unrolled: 1-line block ×5, first 2 shown]
	v_add3_u32 v2, v43, v44, v42
	v_and_b32_e32 v46, 0xff, v33
	v_and_b32_e32 v47, 0xff, v34
	v_add3_u32 v2, v2, v41, v45
	v_and_b32_e32 v48, 0xff, v35
	v_and_b32_e32 v49, 0xff, v36
	;; [unrolled: 3-line block ×3, first 2 shown]
	v_add3_u32 v2, v2, v48, v49
	v_and_b32_e32 v40, 0xff, v39
	v_cndmask_b32_e64 v1, 0, 1, s[36:37]
	v_add3_u32 v2, v2, v50, v51
	v_add3_u32 v54, v2, v40, v1
	v_mbcnt_lo_u32_b32 v1, -1, 0
	v_mbcnt_hi_u32_b32 v52, -1, v1
	v_and_b32_e32 v1, 15, v52
	v_cmp_eq_u32_e64 s[16:17], 0, v1
	v_cmp_lt_u32_e64 s[14:15], 1, v1
	v_cmp_lt_u32_e64 s[12:13], 3, v1
	;; [unrolled: 1-line block ×3, first 2 shown]
	v_and_b32_e32 v1, 16, v52
	v_cmp_eq_u32_e64 s[8:9], 0, v1
	v_or_b32_e32 v1, 63, v0
	s_cmp_lg_u32 s43, 0
	v_cmp_lt_u32_e64 s[4:5], 31, v52
	v_lshrrev_b32_e32 v53, 6, v0
	v_cmp_eq_u32_e64 s[6:7], v0, v1
	s_cbranch_scc0 .LBB1321_60
; %bb.39:
	v_mov_b32_dpp v1, v54 row_shr:1 row_mask:0xf bank_mask:0xf
	v_cndmask_b32_e64 v1, v1, 0, s[16:17]
	v_add_u32_e32 v1, v1, v54
	s_nop 1
	v_mov_b32_dpp v2, v1 row_shr:2 row_mask:0xf bank_mask:0xf
	v_cndmask_b32_e64 v2, 0, v2, s[14:15]
	v_add_u32_e32 v1, v1, v2
	s_nop 1
	;; [unrolled: 4-line block ×4, first 2 shown]
	v_mov_b32_dpp v2, v1 row_bcast:15 row_mask:0xf bank_mask:0xf
	v_cndmask_b32_e64 v2, v2, 0, s[8:9]
	v_add_u32_e32 v1, v1, v2
	s_nop 1
	v_mov_b32_dpp v2, v1 row_bcast:31 row_mask:0xf bank_mask:0xf
	v_cndmask_b32_e64 v2, 0, v2, s[4:5]
	v_add_u32_e32 v1, v1, v2
	s_and_saveexec_b64 s[18:19], s[6:7]
; %bb.40:
	v_lshlrev_b32_e32 v2, 2, v53
	ds_write_b32 v2, v1
; %bb.41:
	s_or_b64 exec, exec, s[18:19]
	v_cmp_gt_u32_e32 vcc, 4, v0
	s_waitcnt lgkmcnt(0)
	s_barrier
	s_and_saveexec_b64 s[18:19], vcc
	s_cbranch_execz .LBB1321_43
; %bb.42:
	ds_read_b32 v2, v25
	v_and_b32_e32 v17, 3, v52
	v_cmp_ne_u32_e32 vcc, 0, v17
	s_waitcnt lgkmcnt(0)
	v_mov_b32_dpp v18, v2 row_shr:1 row_mask:0xf bank_mask:0xf
	v_cndmask_b32_e32 v18, 0, v18, vcc
	v_add_u32_e32 v2, v18, v2
	v_cmp_lt_u32_e32 vcc, 1, v17
	s_nop 0
	v_mov_b32_dpp v18, v2 row_shr:2 row_mask:0xf bank_mask:0xf
	v_cndmask_b32_e32 v17, 0, v18, vcc
	v_add_u32_e32 v2, v2, v17
	ds_write_b32 v25, v2
.LBB1321_43:
	s_or_b64 exec, exec, s[18:19]
	v_cmp_gt_u32_e32 vcc, 64, v0
	v_cmp_lt_u32_e64 s[18:19], 63, v0
	s_waitcnt lgkmcnt(0)
	s_barrier
                                        ; implicit-def: $vgpr55
	s_and_saveexec_b64 s[20:21], s[18:19]
	s_cbranch_execz .LBB1321_45
; %bb.44:
	v_lshl_add_u32 v2, v53, 2, -4
	ds_read_b32 v55, v2
	s_waitcnt lgkmcnt(0)
	v_add_u32_e32 v1, v55, v1
.LBB1321_45:
	s_or_b64 exec, exec, s[20:21]
	v_subrev_co_u32_e64 v2, s[18:19], 1, v52
	v_and_b32_e32 v17, 64, v52
	v_cmp_lt_i32_e64 s[20:21], v2, v17
	v_cndmask_b32_e64 v2, v2, v52, s[20:21]
	v_lshlrev_b32_e32 v2, 2, v2
	ds_bpermute_b32 v56, v2, v1
	s_and_saveexec_b64 s[20:21], vcc
	s_cbranch_execz .LBB1321_65
; %bb.46:
	v_mov_b32_e32 v21, 0
	ds_read_b32 v1, v21 offset:12
	s_and_saveexec_b64 s[38:39], s[18:19]
	s_cbranch_execz .LBB1321_48
; %bb.47:
	s_add_i32 s40, s43, 64
	s_mov_b32 s41, 0
	s_lshl_b64 s[40:41], s[40:41], 3
	s_add_u32 s40, s34, s40
	v_mov_b32_e32 v2, 1
	s_addc_u32 s41, s35, s41
	s_waitcnt lgkmcnt(0)
	global_store_dwordx2 v21, v[1:2], s[40:41]
.LBB1321_48:
	s_or_b64 exec, exec, s[38:39]
	v_xad_u32 v17, v52, -1, s43
	v_add_u32_e32 v20, 64, v17
	v_lshlrev_b64 v[18:19], 3, v[20:21]
	v_mov_b32_e32 v2, s35
	v_add_co_u32_e32 v22, vcc, s34, v18
	v_addc_co_u32_e32 v23, vcc, v2, v19, vcc
	global_load_dwordx2 v[19:20], v[22:23], off glc
	s_waitcnt vmcnt(0)
	v_cmp_eq_u16_sdwa s[40:41], v20, v21 src0_sel:BYTE_0 src1_sel:DWORD
	s_and_saveexec_b64 s[38:39], s[40:41]
	s_cbranch_execz .LBB1321_52
; %bb.49:
	s_mov_b64 s[40:41], 0
	v_mov_b32_e32 v2, 0
.LBB1321_50:                            ; =>This Inner Loop Header: Depth=1
	global_load_dwordx2 v[19:20], v[22:23], off glc
	s_waitcnt vmcnt(0)
	v_cmp_ne_u16_sdwa s[44:45], v20, v2 src0_sel:BYTE_0 src1_sel:DWORD
	s_or_b64 s[40:41], s[44:45], s[40:41]
	s_andn2_b64 exec, exec, s[40:41]
	s_cbranch_execnz .LBB1321_50
; %bb.51:
	s_or_b64 exec, exec, s[40:41]
.LBB1321_52:
	s_or_b64 exec, exec, s[38:39]
	v_and_b32_e32 v58, 63, v52
	v_mov_b32_e32 v57, 2
	v_lshlrev_b64 v[21:22], v52, -1
	v_cmp_ne_u32_e32 vcc, 63, v58
	v_cmp_eq_u16_sdwa s[38:39], v20, v57 src0_sel:BYTE_0 src1_sel:DWORD
	v_addc_co_u32_e32 v23, vcc, 0, v52, vcc
	v_and_b32_e32 v2, s39, v22
	v_lshlrev_b32_e32 v59, 2, v23
	v_or_b32_e32 v2, 0x80000000, v2
	ds_bpermute_b32 v23, v59, v19
	v_and_b32_e32 v18, s38, v21
	v_ffbl_b32_e32 v2, v2
	v_add_u32_e32 v2, 32, v2
	v_ffbl_b32_e32 v18, v18
	v_min_u32_e32 v2, v18, v2
	v_cmp_lt_u32_e32 vcc, v58, v2
	s_waitcnt lgkmcnt(0)
	v_cndmask_b32_e32 v18, 0, v23, vcc
	v_cmp_gt_u32_e32 vcc, 62, v58
	v_add_u32_e32 v18, v18, v19
	v_cndmask_b32_e64 v19, 0, 2, vcc
	v_add_lshl_u32 v60, v19, v52, 2
	ds_bpermute_b32 v19, v60, v18
	v_add_u32_e32 v61, 2, v58
	v_cmp_le_u32_e32 vcc, v61, v2
	v_add_u32_e32 v63, 4, v58
	v_add_u32_e32 v65, 8, v58
	s_waitcnt lgkmcnt(0)
	v_cndmask_b32_e32 v19, 0, v19, vcc
	v_cmp_gt_u32_e32 vcc, 60, v58
	v_add_u32_e32 v18, v18, v19
	v_cndmask_b32_e64 v19, 0, 4, vcc
	v_add_lshl_u32 v62, v19, v52, 2
	ds_bpermute_b32 v19, v62, v18
	v_cmp_le_u32_e32 vcc, v63, v2
	v_add_u32_e32 v67, 16, v58
	v_add_u32_e32 v69, 32, v58
	s_waitcnt lgkmcnt(0)
	v_cndmask_b32_e32 v19, 0, v19, vcc
	v_cmp_gt_u32_e32 vcc, 56, v58
	v_add_u32_e32 v18, v18, v19
	v_cndmask_b32_e64 v19, 0, 8, vcc
	v_add_lshl_u32 v64, v19, v52, 2
	ds_bpermute_b32 v19, v64, v18
	v_cmp_le_u32_e32 vcc, v65, v2
	s_waitcnt lgkmcnt(0)
	v_cndmask_b32_e32 v19, 0, v19, vcc
	v_cmp_gt_u32_e32 vcc, 48, v58
	v_add_u32_e32 v18, v18, v19
	v_cndmask_b32_e64 v19, 0, 16, vcc
	v_add_lshl_u32 v66, v19, v52, 2
	ds_bpermute_b32 v19, v66, v18
	v_cmp_le_u32_e32 vcc, v67, v2
	s_waitcnt lgkmcnt(0)
	v_cndmask_b32_e32 v19, 0, v19, vcc
	v_add_u32_e32 v18, v18, v19
	v_mov_b32_e32 v19, 0x80
	v_lshl_or_b32 v68, v52, 2, v19
	ds_bpermute_b32 v19, v68, v18
	v_cmp_le_u32_e32 vcc, v69, v2
	s_waitcnt lgkmcnt(0)
	v_cndmask_b32_e32 v2, 0, v19, vcc
	v_add_u32_e32 v19, v18, v2
	v_mov_b32_e32 v18, 0
	s_branch .LBB1321_56
.LBB1321_53:                            ;   in Loop: Header=BB1321_56 Depth=1
	s_or_b64 exec, exec, s[40:41]
.LBB1321_54:                            ;   in Loop: Header=BB1321_56 Depth=1
	s_or_b64 exec, exec, s[38:39]
	v_cmp_eq_u16_sdwa s[38:39], v20, v57 src0_sel:BYTE_0 src1_sel:DWORD
	v_and_b32_e32 v23, s39, v22
	v_or_b32_e32 v23, 0x80000000, v23
	ds_bpermute_b32 v70, v59, v19
	v_and_b32_e32 v24, s38, v21
	v_ffbl_b32_e32 v23, v23
	v_add_u32_e32 v23, 32, v23
	v_ffbl_b32_e32 v24, v24
	v_min_u32_e32 v23, v24, v23
	v_cmp_lt_u32_e32 vcc, v58, v23
	s_waitcnt lgkmcnt(0)
	v_cndmask_b32_e32 v24, 0, v70, vcc
	v_add_u32_e32 v19, v24, v19
	ds_bpermute_b32 v24, v60, v19
	v_cmp_le_u32_e32 vcc, v61, v23
	v_subrev_u32_e32 v17, 64, v17
	s_mov_b64 s[38:39], 0
	s_waitcnt lgkmcnt(0)
	v_cndmask_b32_e32 v24, 0, v24, vcc
	v_add_u32_e32 v19, v19, v24
	ds_bpermute_b32 v24, v62, v19
	v_cmp_le_u32_e32 vcc, v63, v23
	s_waitcnt lgkmcnt(0)
	v_cndmask_b32_e32 v24, 0, v24, vcc
	v_add_u32_e32 v19, v19, v24
	ds_bpermute_b32 v24, v64, v19
	v_cmp_le_u32_e32 vcc, v65, v23
	;; [unrolled: 5-line block ×4, first 2 shown]
	s_waitcnt lgkmcnt(0)
	v_cndmask_b32_e32 v23, 0, v24, vcc
	v_add3_u32 v19, v23, v2, v19
.LBB1321_55:                            ;   in Loop: Header=BB1321_56 Depth=1
	s_and_b64 vcc, exec, s[38:39]
	s_cbranch_vccnz .LBB1321_61
.LBB1321_56:                            ; =>This Loop Header: Depth=1
                                        ;     Child Loop BB1321_59 Depth 2
	v_cmp_ne_u16_sdwa s[38:39], v20, v57 src0_sel:BYTE_0 src1_sel:DWORD
	v_mov_b32_e32 v2, v19
	s_cmp_lg_u64 s[38:39], exec
	s_mov_b64 s[38:39], -1
                                        ; implicit-def: $vgpr19
                                        ; implicit-def: $vgpr20
	s_cbranch_scc1 .LBB1321_55
; %bb.57:                               ;   in Loop: Header=BB1321_56 Depth=1
	v_lshlrev_b64 v[19:20], 3, v[17:18]
	v_mov_b32_e32 v24, s35
	v_add_co_u32_e32 v23, vcc, s34, v19
	v_addc_co_u32_e32 v24, vcc, v24, v20, vcc
	global_load_dwordx2 v[19:20], v[23:24], off glc
	s_waitcnt vmcnt(0)
	v_cmp_eq_u16_sdwa s[40:41], v20, v18 src0_sel:BYTE_0 src1_sel:DWORD
	s_and_saveexec_b64 s[38:39], s[40:41]
	s_cbranch_execz .LBB1321_54
; %bb.58:                               ;   in Loop: Header=BB1321_56 Depth=1
	s_mov_b64 s[40:41], 0
.LBB1321_59:                            ;   Parent Loop BB1321_56 Depth=1
                                        ; =>  This Inner Loop Header: Depth=2
	global_load_dwordx2 v[19:20], v[23:24], off glc
	s_waitcnt vmcnt(0)
	v_cmp_ne_u16_sdwa s[44:45], v20, v18 src0_sel:BYTE_0 src1_sel:DWORD
	s_or_b64 s[40:41], s[44:45], s[40:41]
	s_andn2_b64 exec, exec, s[40:41]
	s_cbranch_execnz .LBB1321_59
	s_branch .LBB1321_53
.LBB1321_60:
                                        ; implicit-def: $vgpr2
                                        ; implicit-def: $vgpr17
	s_cbranch_execnz .LBB1321_66
	s_branch .LBB1321_75
.LBB1321_61:
	s_and_saveexec_b64 s[38:39], s[18:19]
	s_cbranch_execz .LBB1321_63
; %bb.62:
	s_add_i32 s40, s43, 64
	s_mov_b32 s41, 0
	s_lshl_b64 s[40:41], s[40:41], 3
	s_add_u32 s40, s34, s40
	v_add_u32_e32 v17, v2, v1
	v_mov_b32_e32 v18, 2
	s_addc_u32 s41, s35, s41
	v_mov_b32_e32 v19, 0
	global_store_dwordx2 v19, v[17:18], s[40:41]
	ds_write_b64 v19, v[1:2] offset:13312
.LBB1321_63:
	s_or_b64 exec, exec, s[38:39]
	s_and_b64 exec, exec, s[0:1]
; %bb.64:
	v_mov_b32_e32 v1, 0
	ds_write_b32 v1, v2 offset:12
.LBB1321_65:
	s_or_b64 exec, exec, s[20:21]
	v_mov_b32_e32 v1, 0
	s_waitcnt vmcnt(0) lgkmcnt(0)
	s_barrier
	ds_read_b32 v17, v1 offset:12
	s_waitcnt lgkmcnt(0)
	s_barrier
	ds_read_b64 v[1:2], v1 offset:13312
	v_cndmask_b32_e64 v18, v56, v55, s[18:19]
	v_cndmask_b32_e64 v18, v18, 0, s[0:1]
	v_add_u32_e32 v17, v17, v18
	s_branch .LBB1321_75
.LBB1321_66:
	s_waitcnt lgkmcnt(0)
	v_mov_b32_dpp v1, v54 row_shr:1 row_mask:0xf bank_mask:0xf
	v_cndmask_b32_e64 v1, v1, 0, s[16:17]
	v_add_u32_e32 v1, v1, v54
	s_nop 1
	v_mov_b32_dpp v2, v1 row_shr:2 row_mask:0xf bank_mask:0xf
	v_cndmask_b32_e64 v2, 0, v2, s[14:15]
	v_add_u32_e32 v1, v1, v2
	s_nop 1
	;; [unrolled: 4-line block ×4, first 2 shown]
	v_mov_b32_dpp v2, v1 row_bcast:15 row_mask:0xf bank_mask:0xf
	v_cndmask_b32_e64 v2, v2, 0, s[8:9]
	v_add_u32_e32 v1, v1, v2
	s_nop 1
	v_mov_b32_dpp v2, v1 row_bcast:31 row_mask:0xf bank_mask:0xf
	v_cndmask_b32_e64 v2, 0, v2, s[4:5]
	v_add_u32_e32 v1, v1, v2
	s_and_saveexec_b64 s[4:5], s[6:7]
; %bb.67:
	v_lshlrev_b32_e32 v2, 2, v53
	ds_write_b32 v2, v1
; %bb.68:
	s_or_b64 exec, exec, s[4:5]
	v_cmp_gt_u32_e32 vcc, 4, v0
	s_waitcnt lgkmcnt(0)
	s_barrier
	s_and_saveexec_b64 s[4:5], vcc
	s_cbranch_execz .LBB1321_70
; %bb.69:
	ds_read_b32 v2, v25
	v_and_b32_e32 v17, 3, v52
	v_cmp_ne_u32_e32 vcc, 0, v17
	s_waitcnt lgkmcnt(0)
	v_mov_b32_dpp v18, v2 row_shr:1 row_mask:0xf bank_mask:0xf
	v_cndmask_b32_e32 v18, 0, v18, vcc
	v_add_u32_e32 v2, v18, v2
	v_cmp_lt_u32_e32 vcc, 1, v17
	s_nop 0
	v_mov_b32_dpp v18, v2 row_shr:2 row_mask:0xf bank_mask:0xf
	v_cndmask_b32_e32 v17, 0, v18, vcc
	v_add_u32_e32 v2, v2, v17
	ds_write_b32 v25, v2
.LBB1321_70:
	s_or_b64 exec, exec, s[4:5]
	v_cmp_lt_u32_e32 vcc, 63, v0
	v_mov_b32_e32 v2, 0
	v_mov_b32_e32 v17, 0
	s_waitcnt lgkmcnt(0)
	s_barrier
	s_and_saveexec_b64 s[4:5], vcc
; %bb.71:
	v_lshl_add_u32 v17, v53, 2, -4
	ds_read_b32 v17, v17
; %bb.72:
	s_or_b64 exec, exec, s[4:5]
	v_subrev_co_u32_e32 v18, vcc, 1, v52
	v_and_b32_e32 v19, 64, v52
	v_cmp_lt_i32_e64 s[4:5], v18, v19
	v_cndmask_b32_e64 v18, v18, v52, s[4:5]
	s_waitcnt lgkmcnt(0)
	v_add_u32_e32 v1, v17, v1
	v_lshlrev_b32_e32 v18, 2, v18
	ds_bpermute_b32 v18, v18, v1
	ds_read_b32 v1, v2 offset:12
	s_and_saveexec_b64 s[4:5], s[0:1]
	s_cbranch_execz .LBB1321_74
; %bb.73:
	v_mov_b32_e32 v19, 0
	v_mov_b32_e32 v2, 2
	s_waitcnt lgkmcnt(0)
	global_store_dwordx2 v19, v[1:2], s[34:35] offset:512
.LBB1321_74:
	s_or_b64 exec, exec, s[4:5]
	s_waitcnt lgkmcnt(1)
	v_cndmask_b32_e32 v2, v18, v17, vcc
	v_cndmask_b32_e64 v17, v2, 0, s[0:1]
	s_waitcnt vmcnt(0) lgkmcnt(0)
	s_barrier
	v_mov_b32_e32 v2, 0
.LBB1321_75:
	v_add_u32_e32 v18, v17, v41
	v_add_u32_e32 v19, v18, v42
	;; [unrolled: 1-line block ×4, first 2 shown]
	s_waitcnt lgkmcnt(0)
	v_add_u32_e32 v27, v1, v27
	v_sub_u32_e32 v17, v17, v2
	v_and_b32_e32 v28, 1, v28
	v_add_u32_e32 v22, v21, v45
	v_sub_u32_e32 v45, v27, v17
	v_cmp_eq_u32_e32 vcc, 1, v28
	v_cndmask_b32_e32 v17, v45, v17, vcc
	v_lshlrev_b32_e32 v17, 2, v17
	ds_write_b32 v17, v15
	v_sub_u32_e32 v15, v18, v2
	v_sub_u32_e32 v17, v27, v15
	v_and_b32_e32 v18, 1, v29
	v_add_u32_e32 v17, 1, v17
	v_cmp_eq_u32_e32 vcc, 1, v18
	v_cndmask_b32_e32 v15, v17, v15, vcc
	v_lshlrev_b32_e32 v15, 2, v15
	ds_write_b32 v15, v16
	v_sub_u32_e32 v15, v19, v2
	v_sub_u32_e32 v16, v27, v15
	v_and_b32_e32 v17, 1, v30
	v_add_u32_e32 v16, 2, v16
	;; [unrolled: 8-line block ×5, first 2 shown]
	v_cmp_eq_u32_e32 vcc, 1, v14
	v_cndmask_b32_e32 v11, v13, v11, vcc
	v_add_u32_e32 v23, v22, v46
	v_lshlrev_b32_e32 v11, 2, v11
	ds_write_b32 v11, v12
	v_sub_u32_e32 v11, v23, v2
	v_sub_u32_e32 v12, v27, v11
	v_and_b32_e32 v13, 1, v34
	v_add_u32_e32 v12, 6, v12
	v_cmp_eq_u32_e32 vcc, 1, v13
	v_cndmask_b32_e32 v11, v12, v11, vcc
	v_add_u32_e32 v24, v23, v47
	v_lshlrev_b32_e32 v11, 2, v11
	ds_write_b32 v11, v9
	v_sub_u32_e32 v9, v24, v2
	v_sub_u32_e32 v11, v27, v9
	v_and_b32_e32 v12, 1, v35
	v_add_u32_e32 v11, 7, v11
	;; [unrolled: 9-line block ×6, first 2 shown]
	v_cmp_eq_u32_e32 vcc, 1, v8
	v_cndmask_b32_e32 v5, v7, v5, vcc
	v_lshlrev_b32_e32 v5, 2, v5
	ds_write_b32 v5, v6
	v_sub_u32_e32 v5, v40, v2
	v_add_u32_e32 v5, v44, v5
	v_sub_u32_e32 v6, v27, v5
	v_add_u32_e32 v6, 12, v6
	v_cndmask_b32_e64 v5, v6, v5, s[36:37]
	v_lshlrev_b32_e32 v5, 2, v5
	ds_write_b32 v5, v26
	s_waitcnt lgkmcnt(0)
	s_barrier
	ds_read2st64_b32 v[15:16], v25 offset1:4
	ds_read2st64_b32 v[13:14], v25 offset0:8 offset1:12
	ds_read2st64_b32 v[11:12], v25 offset0:16 offset1:20
	;; [unrolled: 1-line block ×5, first 2 shown]
	ds_read_b32 v18, v25 offset:12288
	s_and_b64 vcc, exec, s[2:3]
	v_add_co_u32_e64 v17, s[2:3], v3, v2
	v_or_b32_e32 v32, 0x100, v0
	v_or_b32_e32 v30, 0x200, v0
	;; [unrolled: 1-line block ×12, first 2 shown]
	v_addc_co_u32_e64 v4, s[2:3], 0, v4, s[2:3]
	s_cbranch_vccnz .LBB1321_132
; %bb.76:
	v_mov_b32_e32 v2, s29
	v_subrev_co_u32_e32 v3, vcc, s28, v17
	s_sub_u32 s2, s30, s42
	v_subb_co_u32_e32 v2, vcc, v4, v2, vcc
	s_subb_u32 s3, s31, 0
	v_mov_b32_e32 v25, s3
	v_add_co_u32_e32 v31, vcc, s2, v1
	v_addc_co_u32_e32 v33, vcc, 0, v25, vcc
	v_add_co_u32_e32 v25, vcc, v31, v3
	v_addc_co_u32_e32 v31, vcc, v33, v2, vcc
	v_cmp_ge_u32_e32 vcc, v0, v1
                                        ; implicit-def: $vgpr2_vgpr3
	s_and_saveexec_b64 s[2:3], vcc
	s_xor_b64 s[2:3], exec, s[2:3]
; %bb.77:
	v_not_b32_e32 v2, v0
	v_ashrrev_i32_e32 v3, 31, v2
	v_add_co_u32_e32 v2, vcc, v25, v2
	v_addc_co_u32_e32 v3, vcc, v31, v3, vcc
; %bb.78:
	s_andn2_saveexec_b64 s[2:3], s[2:3]
; %bb.79:
	v_add_co_u32_e32 v2, vcc, v17, v0
	v_addc_co_u32_e32 v3, vcc, 0, v4, vcc
; %bb.80:
	s_or_b64 exec, exec, s[2:3]
	v_lshlrev_b64 v[2:3], 2, v[2:3]
	v_mov_b32_e32 v33, s23
	v_add_co_u32_e32 v2, vcc, s22, v2
	v_addc_co_u32_e32 v3, vcc, v33, v3, vcc
	v_cmp_ge_u32_e32 vcc, v32, v1
	s_waitcnt lgkmcnt(6)
	global_store_dword v[2:3], v15, off
                                        ; implicit-def: $vgpr2_vgpr3
	s_and_saveexec_b64 s[2:3], vcc
	s_xor_b64 s[2:3], exec, s[2:3]
; %bb.81:
	v_xor_b32_e32 v2, 0xfffffeff, v0
	v_ashrrev_i32_e32 v3, 31, v2
	v_add_co_u32_e32 v2, vcc, v25, v2
	v_addc_co_u32_e32 v3, vcc, v31, v3, vcc
; %bb.82:
	s_andn2_saveexec_b64 s[2:3], s[2:3]
; %bb.83:
	v_add_co_u32_e32 v2, vcc, v17, v32
	v_addc_co_u32_e32 v3, vcc, 0, v4, vcc
; %bb.84:
	s_or_b64 exec, exec, s[2:3]
	v_lshlrev_b64 v[2:3], 2, v[2:3]
	v_mov_b32_e32 v33, s23
	v_add_co_u32_e32 v2, vcc, s22, v2
	v_addc_co_u32_e32 v3, vcc, v33, v3, vcc
	v_cmp_ge_u32_e32 vcc, v30, v1
	global_store_dword v[2:3], v16, off
                                        ; implicit-def: $vgpr2_vgpr3
	s_and_saveexec_b64 s[2:3], vcc
	s_xor_b64 s[2:3], exec, s[2:3]
; %bb.85:
	v_xor_b32_e32 v2, 0xfffffdff, v0
	v_ashrrev_i32_e32 v3, 31, v2
	v_add_co_u32_e32 v2, vcc, v25, v2
	v_addc_co_u32_e32 v3, vcc, v31, v3, vcc
; %bb.86:
	s_andn2_saveexec_b64 s[2:3], s[2:3]
; %bb.87:
	v_add_co_u32_e32 v2, vcc, v17, v30
	v_addc_co_u32_e32 v3, vcc, 0, v4, vcc
; %bb.88:
	s_or_b64 exec, exec, s[2:3]
	v_lshlrev_b64 v[2:3], 2, v[2:3]
	v_mov_b32_e32 v33, s23
	v_add_co_u32_e32 v2, vcc, s22, v2
	v_addc_co_u32_e32 v3, vcc, v33, v3, vcc
	v_cmp_ge_u32_e32 vcc, v29, v1
	s_waitcnt lgkmcnt(5)
	global_store_dword v[2:3], v13, off
                                        ; implicit-def: $vgpr2_vgpr3
	s_and_saveexec_b64 s[2:3], vcc
	s_xor_b64 s[2:3], exec, s[2:3]
; %bb.89:
	v_xor_b32_e32 v2, 0xfffffcff, v0
	v_ashrrev_i32_e32 v3, 31, v2
	v_add_co_u32_e32 v2, vcc, v25, v2
	v_addc_co_u32_e32 v3, vcc, v31, v3, vcc
; %bb.90:
	s_andn2_saveexec_b64 s[2:3], s[2:3]
; %bb.91:
	v_add_co_u32_e32 v2, vcc, v17, v29
	v_addc_co_u32_e32 v3, vcc, 0, v4, vcc
; %bb.92:
	s_or_b64 exec, exec, s[2:3]
	v_lshlrev_b64 v[2:3], 2, v[2:3]
	v_mov_b32_e32 v33, s23
	v_add_co_u32_e32 v2, vcc, s22, v2
	v_addc_co_u32_e32 v3, vcc, v33, v3, vcc
	v_cmp_ge_u32_e32 vcc, v28, v1
	global_store_dword v[2:3], v14, off
                                        ; implicit-def: $vgpr2_vgpr3
	s_and_saveexec_b64 s[2:3], vcc
	s_xor_b64 s[2:3], exec, s[2:3]
; %bb.93:
	v_xor_b32_e32 v2, 0xfffffbff, v0
	;; [unrolled: 43-line block ×6, first 2 shown]
	v_ashrrev_i32_e32 v3, 31, v2
	v_add_co_u32_e32 v2, vcc, v25, v2
	v_addc_co_u32_e32 v3, vcc, v31, v3, vcc
; %bb.126:
	s_andn2_saveexec_b64 s[2:3], s[2:3]
; %bb.127:
	v_add_co_u32_e32 v2, vcc, v17, v19
	v_addc_co_u32_e32 v3, vcc, 0, v4, vcc
; %bb.128:
	s_or_b64 exec, exec, s[2:3]
	s_mov_b64 s[2:3], -1
.LBB1321_129:
	s_and_saveexec_b64 s[4:5], s[2:3]
	s_cbranch_execz .LBB1321_212
.LBB1321_130:
	v_lshlrev_b64 v[2:3], 2, v[2:3]
	v_mov_b32_e32 v0, s23
	v_add_co_u32_e32 v2, vcc, s22, v2
	v_addc_co_u32_e32 v3, vcc, v0, v3, vcc
	s_waitcnt lgkmcnt(0)
	global_store_dword v[2:3], v18, off
	s_or_b64 exec, exec, s[4:5]
	s_and_b64 s[0:1], s[0:1], s[26:27]
	s_and_saveexec_b64 s[2:3], s[0:1]
	s_cbranch_execnz .LBB1321_213
.LBB1321_131:
	s_endpgm
.LBB1321_132:
	s_mov_b64 s[2:3], 0
                                        ; implicit-def: $vgpr2_vgpr3
	s_cbranch_execz .LBB1321_129
; %bb.133:
	s_add_u32 s4, s28, s42
	s_addc_u32 s5, s29, 0
	s_sub_u32 s4, s30, s4
	s_subb_u32 s5, s31, s5
	v_mov_b32_e32 v2, s5
	v_add_co_u32_e32 v3, vcc, s4, v1
	v_addc_co_u32_e32 v2, vcc, 0, v2, vcc
	v_add_co_u32_e32 v25, vcc, v3, v17
	v_addc_co_u32_e32 v31, vcc, v2, v4, vcc
	v_cmp_gt_u32_e32 vcc, s33, v0
	s_and_saveexec_b64 s[4:5], vcc
	s_cbranch_execz .LBB1321_169
; %bb.134:
	v_cmp_ge_u32_e32 vcc, v0, v1
                                        ; implicit-def: $vgpr2_vgpr3
	s_and_saveexec_b64 s[6:7], vcc
	s_xor_b64 s[6:7], exec, s[6:7]
; %bb.135:
	v_not_b32_e32 v2, v0
	v_ashrrev_i32_e32 v3, 31, v2
	v_add_co_u32_e32 v2, vcc, v25, v2
	v_addc_co_u32_e32 v3, vcc, v31, v3, vcc
; %bb.136:
	s_andn2_saveexec_b64 s[6:7], s[6:7]
; %bb.137:
	v_add_co_u32_e32 v2, vcc, v17, v0
	v_addc_co_u32_e32 v3, vcc, 0, v4, vcc
; %bb.138:
	s_or_b64 exec, exec, s[6:7]
	v_lshlrev_b64 v[2:3], 2, v[2:3]
	v_mov_b32_e32 v33, s23
	v_add_co_u32_e32 v2, vcc, s22, v2
	v_addc_co_u32_e32 v3, vcc, v33, v3, vcc
	s_waitcnt lgkmcnt(6)
	global_store_dword v[2:3], v15, off
	s_or_b64 exec, exec, s[4:5]
	v_cmp_gt_u32_e32 vcc, s33, v32
	s_and_saveexec_b64 s[4:5], vcc
	s_cbranch_execnz .LBB1321_170
.LBB1321_139:
	s_or_b64 exec, exec, s[4:5]
	v_cmp_gt_u32_e32 vcc, s33, v30
	s_and_saveexec_b64 s[4:5], vcc
	s_cbranch_execz .LBB1321_175
.LBB1321_140:
	v_cmp_ge_u32_e32 vcc, v30, v1
                                        ; implicit-def: $vgpr2_vgpr3
	s_and_saveexec_b64 s[6:7], vcc
	s_xor_b64 s[6:7], exec, s[6:7]
; %bb.141:
	v_xor_b32_e32 v2, 0xfffffdff, v0
	v_ashrrev_i32_e32 v3, 31, v2
	v_add_co_u32_e32 v2, vcc, v25, v2
	v_addc_co_u32_e32 v3, vcc, v31, v3, vcc
                                        ; implicit-def: $vgpr30
; %bb.142:
	s_andn2_saveexec_b64 s[6:7], s[6:7]
; %bb.143:
	v_add_co_u32_e32 v2, vcc, v17, v30
	v_addc_co_u32_e32 v3, vcc, 0, v4, vcc
; %bb.144:
	s_or_b64 exec, exec, s[6:7]
	v_lshlrev_b64 v[2:3], 2, v[2:3]
	s_waitcnt lgkmcnt(6)
	v_mov_b32_e32 v15, s23
	v_add_co_u32_e32 v2, vcc, s22, v2
	v_addc_co_u32_e32 v3, vcc, v15, v3, vcc
	s_waitcnt lgkmcnt(5)
	global_store_dword v[2:3], v13, off
	s_or_b64 exec, exec, s[4:5]
	v_cmp_gt_u32_e32 vcc, s33, v29
	s_and_saveexec_b64 s[4:5], vcc
	s_cbranch_execnz .LBB1321_176
.LBB1321_145:
	s_or_b64 exec, exec, s[4:5]
	v_cmp_gt_u32_e32 vcc, s33, v28
	s_and_saveexec_b64 s[4:5], vcc
	s_cbranch_execz .LBB1321_181
.LBB1321_146:
	v_cmp_ge_u32_e32 vcc, v28, v1
                                        ; implicit-def: $vgpr2_vgpr3
	s_and_saveexec_b64 s[6:7], vcc
	s_xor_b64 s[6:7], exec, s[6:7]
; %bb.147:
	v_xor_b32_e32 v2, 0xfffffbff, v0
	v_ashrrev_i32_e32 v3, 31, v2
	v_add_co_u32_e32 v2, vcc, v25, v2
	v_addc_co_u32_e32 v3, vcc, v31, v3, vcc
                                        ; implicit-def: $vgpr28
; %bb.148:
	s_andn2_saveexec_b64 s[6:7], s[6:7]
; %bb.149:
	v_add_co_u32_e32 v2, vcc, v17, v28
	v_addc_co_u32_e32 v3, vcc, 0, v4, vcc
; %bb.150:
	s_or_b64 exec, exec, s[6:7]
	v_lshlrev_b64 v[2:3], 2, v[2:3]
	s_waitcnt lgkmcnt(5)
	v_mov_b32_e32 v13, s23
	v_add_co_u32_e32 v2, vcc, s22, v2
	v_addc_co_u32_e32 v3, vcc, v13, v3, vcc
	s_waitcnt lgkmcnt(4)
	global_store_dword v[2:3], v11, off
	s_or_b64 exec, exec, s[4:5]
	v_cmp_gt_u32_e32 vcc, s33, v27
	s_and_saveexec_b64 s[4:5], vcc
	s_cbranch_execnz .LBB1321_182
.LBB1321_151:
	s_or_b64 exec, exec, s[4:5]
	v_cmp_gt_u32_e32 vcc, s33, v26
	s_and_saveexec_b64 s[4:5], vcc
	s_cbranch_execz .LBB1321_187
.LBB1321_152:
	v_cmp_ge_u32_e32 vcc, v26, v1
                                        ; implicit-def: $vgpr2_vgpr3
	s_and_saveexec_b64 s[6:7], vcc
	s_xor_b64 s[6:7], exec, s[6:7]
; %bb.153:
	v_xor_b32_e32 v2, 0xfffff9ff, v0
	v_ashrrev_i32_e32 v3, 31, v2
	v_add_co_u32_e32 v2, vcc, v25, v2
	v_addc_co_u32_e32 v3, vcc, v31, v3, vcc
                                        ; implicit-def: $vgpr26
; %bb.154:
	s_andn2_saveexec_b64 s[6:7], s[6:7]
; %bb.155:
	v_add_co_u32_e32 v2, vcc, v17, v26
	v_addc_co_u32_e32 v3, vcc, 0, v4, vcc
; %bb.156:
	s_or_b64 exec, exec, s[6:7]
	v_lshlrev_b64 v[2:3], 2, v[2:3]
	s_waitcnt lgkmcnt(4)
	v_mov_b32_e32 v11, s23
	v_add_co_u32_e32 v2, vcc, s22, v2
	v_addc_co_u32_e32 v3, vcc, v11, v3, vcc
	s_waitcnt lgkmcnt(3)
	global_store_dword v[2:3], v9, off
	s_or_b64 exec, exec, s[4:5]
	v_cmp_gt_u32_e32 vcc, s33, v24
	s_and_saveexec_b64 s[4:5], vcc
	s_cbranch_execnz .LBB1321_188
.LBB1321_157:
	s_or_b64 exec, exec, s[4:5]
	v_cmp_gt_u32_e32 vcc, s33, v23
	s_and_saveexec_b64 s[4:5], vcc
	s_cbranch_execz .LBB1321_193
.LBB1321_158:
	v_cmp_ge_u32_e32 vcc, v23, v1
                                        ; implicit-def: $vgpr2_vgpr3
	s_and_saveexec_b64 s[6:7], vcc
	s_xor_b64 s[6:7], exec, s[6:7]
; %bb.159:
	v_xor_b32_e32 v2, 0xfffff7ff, v0
	v_ashrrev_i32_e32 v3, 31, v2
	v_add_co_u32_e32 v2, vcc, v25, v2
	v_addc_co_u32_e32 v3, vcc, v31, v3, vcc
                                        ; implicit-def: $vgpr23
; %bb.160:
	s_andn2_saveexec_b64 s[6:7], s[6:7]
; %bb.161:
	v_add_co_u32_e32 v2, vcc, v17, v23
	v_addc_co_u32_e32 v3, vcc, 0, v4, vcc
; %bb.162:
	s_or_b64 exec, exec, s[6:7]
	v_lshlrev_b64 v[2:3], 2, v[2:3]
	s_waitcnt lgkmcnt(3)
	v_mov_b32_e32 v9, s23
	v_add_co_u32_e32 v2, vcc, s22, v2
	v_addc_co_u32_e32 v3, vcc, v9, v3, vcc
	s_waitcnt lgkmcnt(2)
	global_store_dword v[2:3], v7, off
	s_or_b64 exec, exec, s[4:5]
	v_cmp_gt_u32_e32 vcc, s33, v22
	s_and_saveexec_b64 s[4:5], vcc
	s_cbranch_execnz .LBB1321_194
.LBB1321_163:
	s_or_b64 exec, exec, s[4:5]
	v_cmp_gt_u32_e32 vcc, s33, v21
	s_and_saveexec_b64 s[4:5], vcc
	s_cbranch_execz .LBB1321_199
.LBB1321_164:
	v_cmp_ge_u32_e32 vcc, v21, v1
                                        ; implicit-def: $vgpr2_vgpr3
	s_and_saveexec_b64 s[6:7], vcc
	s_xor_b64 s[6:7], exec, s[6:7]
; %bb.165:
	v_xor_b32_e32 v2, 0xfffff5ff, v0
	v_ashrrev_i32_e32 v3, 31, v2
	v_add_co_u32_e32 v2, vcc, v25, v2
	v_addc_co_u32_e32 v3, vcc, v31, v3, vcc
                                        ; implicit-def: $vgpr21
; %bb.166:
	s_andn2_saveexec_b64 s[6:7], s[6:7]
; %bb.167:
	v_add_co_u32_e32 v2, vcc, v17, v21
	v_addc_co_u32_e32 v3, vcc, 0, v4, vcc
; %bb.168:
	s_or_b64 exec, exec, s[6:7]
	v_lshlrev_b64 v[2:3], 2, v[2:3]
	s_waitcnt lgkmcnt(2)
	v_mov_b32_e32 v7, s23
	v_add_co_u32_e32 v2, vcc, s22, v2
	v_addc_co_u32_e32 v3, vcc, v7, v3, vcc
	s_waitcnt lgkmcnt(1)
	global_store_dword v[2:3], v5, off
	s_or_b64 exec, exec, s[4:5]
	v_cmp_gt_u32_e32 vcc, s33, v20
	s_and_saveexec_b64 s[4:5], vcc
	s_cbranch_execz .LBB1321_205
	s_branch .LBB1321_200
.LBB1321_169:
	s_or_b64 exec, exec, s[4:5]
	v_cmp_gt_u32_e32 vcc, s33, v32
	s_and_saveexec_b64 s[4:5], vcc
	s_cbranch_execz .LBB1321_139
.LBB1321_170:
	v_cmp_ge_u32_e32 vcc, v32, v1
                                        ; implicit-def: $vgpr2_vgpr3
	s_and_saveexec_b64 s[6:7], vcc
	s_xor_b64 s[6:7], exec, s[6:7]
; %bb.171:
	v_xor_b32_e32 v2, 0xfffffeff, v0
	v_ashrrev_i32_e32 v3, 31, v2
	v_add_co_u32_e32 v2, vcc, v25, v2
	v_addc_co_u32_e32 v3, vcc, v31, v3, vcc
                                        ; implicit-def: $vgpr32
; %bb.172:
	s_andn2_saveexec_b64 s[6:7], s[6:7]
; %bb.173:
	v_add_co_u32_e32 v2, vcc, v17, v32
	v_addc_co_u32_e32 v3, vcc, 0, v4, vcc
; %bb.174:
	s_or_b64 exec, exec, s[6:7]
	v_lshlrev_b64 v[2:3], 2, v[2:3]
	s_waitcnt lgkmcnt(6)
	v_mov_b32_e32 v15, s23
	v_add_co_u32_e32 v2, vcc, s22, v2
	v_addc_co_u32_e32 v3, vcc, v15, v3, vcc
	global_store_dword v[2:3], v16, off
	s_or_b64 exec, exec, s[4:5]
	v_cmp_gt_u32_e32 vcc, s33, v30
	s_and_saveexec_b64 s[4:5], vcc
	s_cbranch_execnz .LBB1321_140
.LBB1321_175:
	s_or_b64 exec, exec, s[4:5]
	v_cmp_gt_u32_e32 vcc, s33, v29
	s_and_saveexec_b64 s[4:5], vcc
	s_cbranch_execz .LBB1321_145
.LBB1321_176:
	v_cmp_ge_u32_e32 vcc, v29, v1
                                        ; implicit-def: $vgpr2_vgpr3
	s_and_saveexec_b64 s[6:7], vcc
	s_xor_b64 s[6:7], exec, s[6:7]
; %bb.177:
	v_xor_b32_e32 v2, 0xfffffcff, v0
	v_ashrrev_i32_e32 v3, 31, v2
	v_add_co_u32_e32 v2, vcc, v25, v2
	v_addc_co_u32_e32 v3, vcc, v31, v3, vcc
                                        ; implicit-def: $vgpr29
; %bb.178:
	s_andn2_saveexec_b64 s[6:7], s[6:7]
; %bb.179:
	v_add_co_u32_e32 v2, vcc, v17, v29
	v_addc_co_u32_e32 v3, vcc, 0, v4, vcc
; %bb.180:
	s_or_b64 exec, exec, s[6:7]
	v_lshlrev_b64 v[2:3], 2, v[2:3]
	s_waitcnt lgkmcnt(5)
	v_mov_b32_e32 v13, s23
	v_add_co_u32_e32 v2, vcc, s22, v2
	v_addc_co_u32_e32 v3, vcc, v13, v3, vcc
	global_store_dword v[2:3], v14, off
	s_or_b64 exec, exec, s[4:5]
	v_cmp_gt_u32_e32 vcc, s33, v28
	s_and_saveexec_b64 s[4:5], vcc
	s_cbranch_execnz .LBB1321_146
.LBB1321_181:
	s_or_b64 exec, exec, s[4:5]
	v_cmp_gt_u32_e32 vcc, s33, v27
	s_and_saveexec_b64 s[4:5], vcc
	s_cbranch_execz .LBB1321_151
.LBB1321_182:
	v_cmp_ge_u32_e32 vcc, v27, v1
                                        ; implicit-def: $vgpr2_vgpr3
	s_and_saveexec_b64 s[6:7], vcc
	s_xor_b64 s[6:7], exec, s[6:7]
; %bb.183:
	v_xor_b32_e32 v2, 0xfffffaff, v0
	v_ashrrev_i32_e32 v3, 31, v2
	v_add_co_u32_e32 v2, vcc, v25, v2
	v_addc_co_u32_e32 v3, vcc, v31, v3, vcc
                                        ; implicit-def: $vgpr27
; %bb.184:
	s_andn2_saveexec_b64 s[6:7], s[6:7]
; %bb.185:
	v_add_co_u32_e32 v2, vcc, v17, v27
	v_addc_co_u32_e32 v3, vcc, 0, v4, vcc
; %bb.186:
	s_or_b64 exec, exec, s[6:7]
	v_lshlrev_b64 v[2:3], 2, v[2:3]
	s_waitcnt lgkmcnt(4)
	v_mov_b32_e32 v11, s23
	v_add_co_u32_e32 v2, vcc, s22, v2
	v_addc_co_u32_e32 v3, vcc, v11, v3, vcc
	global_store_dword v[2:3], v12, off
	s_or_b64 exec, exec, s[4:5]
	v_cmp_gt_u32_e32 vcc, s33, v26
	s_and_saveexec_b64 s[4:5], vcc
	s_cbranch_execnz .LBB1321_152
.LBB1321_187:
	s_or_b64 exec, exec, s[4:5]
	v_cmp_gt_u32_e32 vcc, s33, v24
	s_and_saveexec_b64 s[4:5], vcc
	s_cbranch_execz .LBB1321_157
.LBB1321_188:
	v_cmp_ge_u32_e32 vcc, v24, v1
                                        ; implicit-def: $vgpr2_vgpr3
	s_and_saveexec_b64 s[6:7], vcc
	s_xor_b64 s[6:7], exec, s[6:7]
; %bb.189:
	v_xor_b32_e32 v2, 0xfffff8ff, v0
	v_ashrrev_i32_e32 v3, 31, v2
	v_add_co_u32_e32 v2, vcc, v25, v2
	v_addc_co_u32_e32 v3, vcc, v31, v3, vcc
                                        ; implicit-def: $vgpr24
; %bb.190:
	s_andn2_saveexec_b64 s[6:7], s[6:7]
; %bb.191:
	v_add_co_u32_e32 v2, vcc, v17, v24
	v_addc_co_u32_e32 v3, vcc, 0, v4, vcc
; %bb.192:
	s_or_b64 exec, exec, s[6:7]
	v_lshlrev_b64 v[2:3], 2, v[2:3]
	s_waitcnt lgkmcnt(3)
	v_mov_b32_e32 v9, s23
	v_add_co_u32_e32 v2, vcc, s22, v2
	v_addc_co_u32_e32 v3, vcc, v9, v3, vcc
	global_store_dword v[2:3], v10, off
	s_or_b64 exec, exec, s[4:5]
	v_cmp_gt_u32_e32 vcc, s33, v23
	s_and_saveexec_b64 s[4:5], vcc
	s_cbranch_execnz .LBB1321_158
.LBB1321_193:
	s_or_b64 exec, exec, s[4:5]
	v_cmp_gt_u32_e32 vcc, s33, v22
	s_and_saveexec_b64 s[4:5], vcc
	s_cbranch_execz .LBB1321_163
.LBB1321_194:
	v_cmp_ge_u32_e32 vcc, v22, v1
                                        ; implicit-def: $vgpr2_vgpr3
	s_and_saveexec_b64 s[6:7], vcc
	s_xor_b64 s[6:7], exec, s[6:7]
; %bb.195:
	v_xor_b32_e32 v2, 0xfffff6ff, v0
	v_ashrrev_i32_e32 v3, 31, v2
	v_add_co_u32_e32 v2, vcc, v25, v2
	v_addc_co_u32_e32 v3, vcc, v31, v3, vcc
                                        ; implicit-def: $vgpr22
; %bb.196:
	s_andn2_saveexec_b64 s[6:7], s[6:7]
; %bb.197:
	v_add_co_u32_e32 v2, vcc, v17, v22
	v_addc_co_u32_e32 v3, vcc, 0, v4, vcc
; %bb.198:
	s_or_b64 exec, exec, s[6:7]
	v_lshlrev_b64 v[2:3], 2, v[2:3]
	s_waitcnt lgkmcnt(2)
	v_mov_b32_e32 v7, s23
	v_add_co_u32_e32 v2, vcc, s22, v2
	v_addc_co_u32_e32 v3, vcc, v7, v3, vcc
	global_store_dword v[2:3], v8, off
	s_or_b64 exec, exec, s[4:5]
	v_cmp_gt_u32_e32 vcc, s33, v21
	s_and_saveexec_b64 s[4:5], vcc
	s_cbranch_execnz .LBB1321_164
.LBB1321_199:
	s_or_b64 exec, exec, s[4:5]
	v_cmp_gt_u32_e32 vcc, s33, v20
	s_and_saveexec_b64 s[4:5], vcc
	s_cbranch_execz .LBB1321_205
.LBB1321_200:
	v_cmp_ge_u32_e32 vcc, v20, v1
                                        ; implicit-def: $vgpr2_vgpr3
	s_and_saveexec_b64 s[6:7], vcc
	s_xor_b64 s[6:7], exec, s[6:7]
; %bb.201:
	v_xor_b32_e32 v2, 0xfffff4ff, v0
	v_ashrrev_i32_e32 v3, 31, v2
	v_add_co_u32_e32 v2, vcc, v25, v2
	v_addc_co_u32_e32 v3, vcc, v31, v3, vcc
                                        ; implicit-def: $vgpr20
; %bb.202:
	s_andn2_saveexec_b64 s[6:7], s[6:7]
; %bb.203:
	v_add_co_u32_e32 v2, vcc, v17, v20
	v_addc_co_u32_e32 v3, vcc, 0, v4, vcc
; %bb.204:
	s_or_b64 exec, exec, s[6:7]
	v_lshlrev_b64 v[2:3], 2, v[2:3]
	s_waitcnt lgkmcnt(1)
	v_mov_b32_e32 v5, s23
	v_add_co_u32_e32 v2, vcc, s22, v2
	v_addc_co_u32_e32 v3, vcc, v5, v3, vcc
	global_store_dword v[2:3], v6, off
.LBB1321_205:
	s_or_b64 exec, exec, s[4:5]
	v_cmp_gt_u32_e32 vcc, s33, v19
                                        ; implicit-def: $vgpr2_vgpr3
	s_and_saveexec_b64 s[4:5], vcc
	s_cbranch_execz .LBB1321_211
; %bb.206:
	v_cmp_ge_u32_e32 vcc, v19, v1
                                        ; implicit-def: $vgpr2_vgpr3
	s_and_saveexec_b64 s[6:7], vcc
	s_xor_b64 s[6:7], exec, s[6:7]
; %bb.207:
	v_xor_b32_e32 v0, 0xfffff3ff, v0
	v_ashrrev_i32_e32 v3, 31, v0
	v_add_co_u32_e32 v2, vcc, v25, v0
	v_addc_co_u32_e32 v3, vcc, v31, v3, vcc
                                        ; implicit-def: $vgpr19
; %bb.208:
	s_andn2_saveexec_b64 s[6:7], s[6:7]
; %bb.209:
	v_add_co_u32_e32 v2, vcc, v17, v19
	v_addc_co_u32_e32 v3, vcc, 0, v4, vcc
; %bb.210:
	s_or_b64 exec, exec, s[6:7]
	s_or_b64 s[2:3], s[2:3], exec
.LBB1321_211:
	s_or_b64 exec, exec, s[4:5]
	s_and_saveexec_b64 s[4:5], s[2:3]
	s_cbranch_execnz .LBB1321_130
.LBB1321_212:
	s_or_b64 exec, exec, s[4:5]
	s_and_b64 s[0:1], s[0:1], s[26:27]
	s_and_saveexec_b64 s[2:3], s[0:1]
	s_cbranch_execz .LBB1321_131
.LBB1321_213:
	v_add_co_u32_e32 v0, vcc, v17, v1
	v_mov_b32_e32 v2, 0
	v_addc_co_u32_e32 v1, vcc, 0, v4, vcc
	global_store_dwordx2 v2, v[0:1], s[24:25]
	s_endpgm
	.section	.rodata,"a",@progbits
	.p2align	6, 0x0
	.amdhsa_kernel _ZN7rocprim17ROCPRIM_400000_NS6detail17trampoline_kernelINS0_13select_configILj256ELj13ELNS0_17block_load_methodE3ELS4_3ELS4_3ELNS0_20block_scan_algorithmE0ELj4294967295EEENS1_25partition_config_selectorILNS1_17partition_subalgoE3EjNS0_10empty_typeEbEEZZNS1_14partition_implILS8_3ELb0ES6_jNS0_17counting_iteratorIjlEEPS9_SE_NS0_5tupleIJPjSE_EEENSF_IJSE_SE_EEES9_SG_JZNS1_25segmented_radix_sort_implINS0_14default_configELb1EPKfPfPKlPlN2at6native12_GLOBAL__N_18offset_tEEE10hipError_tPvRmT1_PNSt15iterator_traitsISY_E10value_typeET2_T3_PNSZ_IS14_E10value_typeET4_jRbjT5_S1A_jjP12ihipStream_tbEUljE_EEESV_SW_SX_S14_S18_S1A_T6_T7_T9_mT8_S1C_bDpT10_ENKUlT_T0_E_clISt17integral_constantIbLb0EES1O_IbLb1EEEEDaS1K_S1L_EUlS1K_E_NS1_11comp_targetILNS1_3genE2ELNS1_11target_archE906ELNS1_3gpuE6ELNS1_3repE0EEENS1_30default_config_static_selectorELNS0_4arch9wavefront6targetE1EEEvSY_
		.amdhsa_group_segment_fixed_size 13320
		.amdhsa_private_segment_fixed_size 0
		.amdhsa_kernarg_size 152
		.amdhsa_user_sgpr_count 6
		.amdhsa_user_sgpr_private_segment_buffer 1
		.amdhsa_user_sgpr_dispatch_ptr 0
		.amdhsa_user_sgpr_queue_ptr 0
		.amdhsa_user_sgpr_kernarg_segment_ptr 1
		.amdhsa_user_sgpr_dispatch_id 0
		.amdhsa_user_sgpr_flat_scratch_init 0
		.amdhsa_user_sgpr_private_segment_size 0
		.amdhsa_uses_dynamic_stack 0
		.amdhsa_system_sgpr_private_segment_wavefront_offset 0
		.amdhsa_system_sgpr_workgroup_id_x 1
		.amdhsa_system_sgpr_workgroup_id_y 0
		.amdhsa_system_sgpr_workgroup_id_z 0
		.amdhsa_system_sgpr_workgroup_info 0
		.amdhsa_system_vgpr_workitem_id 0
		.amdhsa_next_free_vgpr 71
		.amdhsa_next_free_sgpr 98
		.amdhsa_reserve_vcc 1
		.amdhsa_reserve_flat_scratch 0
		.amdhsa_float_round_mode_32 0
		.amdhsa_float_round_mode_16_64 0
		.amdhsa_float_denorm_mode_32 3
		.amdhsa_float_denorm_mode_16_64 3
		.amdhsa_dx10_clamp 1
		.amdhsa_ieee_mode 1
		.amdhsa_fp16_overflow 0
		.amdhsa_exception_fp_ieee_invalid_op 0
		.amdhsa_exception_fp_denorm_src 0
		.amdhsa_exception_fp_ieee_div_zero 0
		.amdhsa_exception_fp_ieee_overflow 0
		.amdhsa_exception_fp_ieee_underflow 0
		.amdhsa_exception_fp_ieee_inexact 0
		.amdhsa_exception_int_div_zero 0
	.end_amdhsa_kernel
	.section	.text._ZN7rocprim17ROCPRIM_400000_NS6detail17trampoline_kernelINS0_13select_configILj256ELj13ELNS0_17block_load_methodE3ELS4_3ELS4_3ELNS0_20block_scan_algorithmE0ELj4294967295EEENS1_25partition_config_selectorILNS1_17partition_subalgoE3EjNS0_10empty_typeEbEEZZNS1_14partition_implILS8_3ELb0ES6_jNS0_17counting_iteratorIjlEEPS9_SE_NS0_5tupleIJPjSE_EEENSF_IJSE_SE_EEES9_SG_JZNS1_25segmented_radix_sort_implINS0_14default_configELb1EPKfPfPKlPlN2at6native12_GLOBAL__N_18offset_tEEE10hipError_tPvRmT1_PNSt15iterator_traitsISY_E10value_typeET2_T3_PNSZ_IS14_E10value_typeET4_jRbjT5_S1A_jjP12ihipStream_tbEUljE_EEESV_SW_SX_S14_S18_S1A_T6_T7_T9_mT8_S1C_bDpT10_ENKUlT_T0_E_clISt17integral_constantIbLb0EES1O_IbLb1EEEEDaS1K_S1L_EUlS1K_E_NS1_11comp_targetILNS1_3genE2ELNS1_11target_archE906ELNS1_3gpuE6ELNS1_3repE0EEENS1_30default_config_static_selectorELNS0_4arch9wavefront6targetE1EEEvSY_,"axG",@progbits,_ZN7rocprim17ROCPRIM_400000_NS6detail17trampoline_kernelINS0_13select_configILj256ELj13ELNS0_17block_load_methodE3ELS4_3ELS4_3ELNS0_20block_scan_algorithmE0ELj4294967295EEENS1_25partition_config_selectorILNS1_17partition_subalgoE3EjNS0_10empty_typeEbEEZZNS1_14partition_implILS8_3ELb0ES6_jNS0_17counting_iteratorIjlEEPS9_SE_NS0_5tupleIJPjSE_EEENSF_IJSE_SE_EEES9_SG_JZNS1_25segmented_radix_sort_implINS0_14default_configELb1EPKfPfPKlPlN2at6native12_GLOBAL__N_18offset_tEEE10hipError_tPvRmT1_PNSt15iterator_traitsISY_E10value_typeET2_T3_PNSZ_IS14_E10value_typeET4_jRbjT5_S1A_jjP12ihipStream_tbEUljE_EEESV_SW_SX_S14_S18_S1A_T6_T7_T9_mT8_S1C_bDpT10_ENKUlT_T0_E_clISt17integral_constantIbLb0EES1O_IbLb1EEEEDaS1K_S1L_EUlS1K_E_NS1_11comp_targetILNS1_3genE2ELNS1_11target_archE906ELNS1_3gpuE6ELNS1_3repE0EEENS1_30default_config_static_selectorELNS0_4arch9wavefront6targetE1EEEvSY_,comdat
.Lfunc_end1321:
	.size	_ZN7rocprim17ROCPRIM_400000_NS6detail17trampoline_kernelINS0_13select_configILj256ELj13ELNS0_17block_load_methodE3ELS4_3ELS4_3ELNS0_20block_scan_algorithmE0ELj4294967295EEENS1_25partition_config_selectorILNS1_17partition_subalgoE3EjNS0_10empty_typeEbEEZZNS1_14partition_implILS8_3ELb0ES6_jNS0_17counting_iteratorIjlEEPS9_SE_NS0_5tupleIJPjSE_EEENSF_IJSE_SE_EEES9_SG_JZNS1_25segmented_radix_sort_implINS0_14default_configELb1EPKfPfPKlPlN2at6native12_GLOBAL__N_18offset_tEEE10hipError_tPvRmT1_PNSt15iterator_traitsISY_E10value_typeET2_T3_PNSZ_IS14_E10value_typeET4_jRbjT5_S1A_jjP12ihipStream_tbEUljE_EEESV_SW_SX_S14_S18_S1A_T6_T7_T9_mT8_S1C_bDpT10_ENKUlT_T0_E_clISt17integral_constantIbLb0EES1O_IbLb1EEEEDaS1K_S1L_EUlS1K_E_NS1_11comp_targetILNS1_3genE2ELNS1_11target_archE906ELNS1_3gpuE6ELNS1_3repE0EEENS1_30default_config_static_selectorELNS0_4arch9wavefront6targetE1EEEvSY_, .Lfunc_end1321-_ZN7rocprim17ROCPRIM_400000_NS6detail17trampoline_kernelINS0_13select_configILj256ELj13ELNS0_17block_load_methodE3ELS4_3ELS4_3ELNS0_20block_scan_algorithmE0ELj4294967295EEENS1_25partition_config_selectorILNS1_17partition_subalgoE3EjNS0_10empty_typeEbEEZZNS1_14partition_implILS8_3ELb0ES6_jNS0_17counting_iteratorIjlEEPS9_SE_NS0_5tupleIJPjSE_EEENSF_IJSE_SE_EEES9_SG_JZNS1_25segmented_radix_sort_implINS0_14default_configELb1EPKfPfPKlPlN2at6native12_GLOBAL__N_18offset_tEEE10hipError_tPvRmT1_PNSt15iterator_traitsISY_E10value_typeET2_T3_PNSZ_IS14_E10value_typeET4_jRbjT5_S1A_jjP12ihipStream_tbEUljE_EEESV_SW_SX_S14_S18_S1A_T6_T7_T9_mT8_S1C_bDpT10_ENKUlT_T0_E_clISt17integral_constantIbLb0EES1O_IbLb1EEEEDaS1K_S1L_EUlS1K_E_NS1_11comp_targetILNS1_3genE2ELNS1_11target_archE906ELNS1_3gpuE6ELNS1_3repE0EEENS1_30default_config_static_selectorELNS0_4arch9wavefront6targetE1EEEvSY_
                                        ; -- End function
	.set _ZN7rocprim17ROCPRIM_400000_NS6detail17trampoline_kernelINS0_13select_configILj256ELj13ELNS0_17block_load_methodE3ELS4_3ELS4_3ELNS0_20block_scan_algorithmE0ELj4294967295EEENS1_25partition_config_selectorILNS1_17partition_subalgoE3EjNS0_10empty_typeEbEEZZNS1_14partition_implILS8_3ELb0ES6_jNS0_17counting_iteratorIjlEEPS9_SE_NS0_5tupleIJPjSE_EEENSF_IJSE_SE_EEES9_SG_JZNS1_25segmented_radix_sort_implINS0_14default_configELb1EPKfPfPKlPlN2at6native12_GLOBAL__N_18offset_tEEE10hipError_tPvRmT1_PNSt15iterator_traitsISY_E10value_typeET2_T3_PNSZ_IS14_E10value_typeET4_jRbjT5_S1A_jjP12ihipStream_tbEUljE_EEESV_SW_SX_S14_S18_S1A_T6_T7_T9_mT8_S1C_bDpT10_ENKUlT_T0_E_clISt17integral_constantIbLb0EES1O_IbLb1EEEEDaS1K_S1L_EUlS1K_E_NS1_11comp_targetILNS1_3genE2ELNS1_11target_archE906ELNS1_3gpuE6ELNS1_3repE0EEENS1_30default_config_static_selectorELNS0_4arch9wavefront6targetE1EEEvSY_.num_vgpr, 71
	.set _ZN7rocprim17ROCPRIM_400000_NS6detail17trampoline_kernelINS0_13select_configILj256ELj13ELNS0_17block_load_methodE3ELS4_3ELS4_3ELNS0_20block_scan_algorithmE0ELj4294967295EEENS1_25partition_config_selectorILNS1_17partition_subalgoE3EjNS0_10empty_typeEbEEZZNS1_14partition_implILS8_3ELb0ES6_jNS0_17counting_iteratorIjlEEPS9_SE_NS0_5tupleIJPjSE_EEENSF_IJSE_SE_EEES9_SG_JZNS1_25segmented_radix_sort_implINS0_14default_configELb1EPKfPfPKlPlN2at6native12_GLOBAL__N_18offset_tEEE10hipError_tPvRmT1_PNSt15iterator_traitsISY_E10value_typeET2_T3_PNSZ_IS14_E10value_typeET4_jRbjT5_S1A_jjP12ihipStream_tbEUljE_EEESV_SW_SX_S14_S18_S1A_T6_T7_T9_mT8_S1C_bDpT10_ENKUlT_T0_E_clISt17integral_constantIbLb0EES1O_IbLb1EEEEDaS1K_S1L_EUlS1K_E_NS1_11comp_targetILNS1_3genE2ELNS1_11target_archE906ELNS1_3gpuE6ELNS1_3repE0EEENS1_30default_config_static_selectorELNS0_4arch9wavefront6targetE1EEEvSY_.num_agpr, 0
	.set _ZN7rocprim17ROCPRIM_400000_NS6detail17trampoline_kernelINS0_13select_configILj256ELj13ELNS0_17block_load_methodE3ELS4_3ELS4_3ELNS0_20block_scan_algorithmE0ELj4294967295EEENS1_25partition_config_selectorILNS1_17partition_subalgoE3EjNS0_10empty_typeEbEEZZNS1_14partition_implILS8_3ELb0ES6_jNS0_17counting_iteratorIjlEEPS9_SE_NS0_5tupleIJPjSE_EEENSF_IJSE_SE_EEES9_SG_JZNS1_25segmented_radix_sort_implINS0_14default_configELb1EPKfPfPKlPlN2at6native12_GLOBAL__N_18offset_tEEE10hipError_tPvRmT1_PNSt15iterator_traitsISY_E10value_typeET2_T3_PNSZ_IS14_E10value_typeET4_jRbjT5_S1A_jjP12ihipStream_tbEUljE_EEESV_SW_SX_S14_S18_S1A_T6_T7_T9_mT8_S1C_bDpT10_ENKUlT_T0_E_clISt17integral_constantIbLb0EES1O_IbLb1EEEEDaS1K_S1L_EUlS1K_E_NS1_11comp_targetILNS1_3genE2ELNS1_11target_archE906ELNS1_3gpuE6ELNS1_3repE0EEENS1_30default_config_static_selectorELNS0_4arch9wavefront6targetE1EEEvSY_.numbered_sgpr, 46
	.set _ZN7rocprim17ROCPRIM_400000_NS6detail17trampoline_kernelINS0_13select_configILj256ELj13ELNS0_17block_load_methodE3ELS4_3ELS4_3ELNS0_20block_scan_algorithmE0ELj4294967295EEENS1_25partition_config_selectorILNS1_17partition_subalgoE3EjNS0_10empty_typeEbEEZZNS1_14partition_implILS8_3ELb0ES6_jNS0_17counting_iteratorIjlEEPS9_SE_NS0_5tupleIJPjSE_EEENSF_IJSE_SE_EEES9_SG_JZNS1_25segmented_radix_sort_implINS0_14default_configELb1EPKfPfPKlPlN2at6native12_GLOBAL__N_18offset_tEEE10hipError_tPvRmT1_PNSt15iterator_traitsISY_E10value_typeET2_T3_PNSZ_IS14_E10value_typeET4_jRbjT5_S1A_jjP12ihipStream_tbEUljE_EEESV_SW_SX_S14_S18_S1A_T6_T7_T9_mT8_S1C_bDpT10_ENKUlT_T0_E_clISt17integral_constantIbLb0EES1O_IbLb1EEEEDaS1K_S1L_EUlS1K_E_NS1_11comp_targetILNS1_3genE2ELNS1_11target_archE906ELNS1_3gpuE6ELNS1_3repE0EEENS1_30default_config_static_selectorELNS0_4arch9wavefront6targetE1EEEvSY_.num_named_barrier, 0
	.set _ZN7rocprim17ROCPRIM_400000_NS6detail17trampoline_kernelINS0_13select_configILj256ELj13ELNS0_17block_load_methodE3ELS4_3ELS4_3ELNS0_20block_scan_algorithmE0ELj4294967295EEENS1_25partition_config_selectorILNS1_17partition_subalgoE3EjNS0_10empty_typeEbEEZZNS1_14partition_implILS8_3ELb0ES6_jNS0_17counting_iteratorIjlEEPS9_SE_NS0_5tupleIJPjSE_EEENSF_IJSE_SE_EEES9_SG_JZNS1_25segmented_radix_sort_implINS0_14default_configELb1EPKfPfPKlPlN2at6native12_GLOBAL__N_18offset_tEEE10hipError_tPvRmT1_PNSt15iterator_traitsISY_E10value_typeET2_T3_PNSZ_IS14_E10value_typeET4_jRbjT5_S1A_jjP12ihipStream_tbEUljE_EEESV_SW_SX_S14_S18_S1A_T6_T7_T9_mT8_S1C_bDpT10_ENKUlT_T0_E_clISt17integral_constantIbLb0EES1O_IbLb1EEEEDaS1K_S1L_EUlS1K_E_NS1_11comp_targetILNS1_3genE2ELNS1_11target_archE906ELNS1_3gpuE6ELNS1_3repE0EEENS1_30default_config_static_selectorELNS0_4arch9wavefront6targetE1EEEvSY_.private_seg_size, 0
	.set _ZN7rocprim17ROCPRIM_400000_NS6detail17trampoline_kernelINS0_13select_configILj256ELj13ELNS0_17block_load_methodE3ELS4_3ELS4_3ELNS0_20block_scan_algorithmE0ELj4294967295EEENS1_25partition_config_selectorILNS1_17partition_subalgoE3EjNS0_10empty_typeEbEEZZNS1_14partition_implILS8_3ELb0ES6_jNS0_17counting_iteratorIjlEEPS9_SE_NS0_5tupleIJPjSE_EEENSF_IJSE_SE_EEES9_SG_JZNS1_25segmented_radix_sort_implINS0_14default_configELb1EPKfPfPKlPlN2at6native12_GLOBAL__N_18offset_tEEE10hipError_tPvRmT1_PNSt15iterator_traitsISY_E10value_typeET2_T3_PNSZ_IS14_E10value_typeET4_jRbjT5_S1A_jjP12ihipStream_tbEUljE_EEESV_SW_SX_S14_S18_S1A_T6_T7_T9_mT8_S1C_bDpT10_ENKUlT_T0_E_clISt17integral_constantIbLb0EES1O_IbLb1EEEEDaS1K_S1L_EUlS1K_E_NS1_11comp_targetILNS1_3genE2ELNS1_11target_archE906ELNS1_3gpuE6ELNS1_3repE0EEENS1_30default_config_static_selectorELNS0_4arch9wavefront6targetE1EEEvSY_.uses_vcc, 1
	.set _ZN7rocprim17ROCPRIM_400000_NS6detail17trampoline_kernelINS0_13select_configILj256ELj13ELNS0_17block_load_methodE3ELS4_3ELS4_3ELNS0_20block_scan_algorithmE0ELj4294967295EEENS1_25partition_config_selectorILNS1_17partition_subalgoE3EjNS0_10empty_typeEbEEZZNS1_14partition_implILS8_3ELb0ES6_jNS0_17counting_iteratorIjlEEPS9_SE_NS0_5tupleIJPjSE_EEENSF_IJSE_SE_EEES9_SG_JZNS1_25segmented_radix_sort_implINS0_14default_configELb1EPKfPfPKlPlN2at6native12_GLOBAL__N_18offset_tEEE10hipError_tPvRmT1_PNSt15iterator_traitsISY_E10value_typeET2_T3_PNSZ_IS14_E10value_typeET4_jRbjT5_S1A_jjP12ihipStream_tbEUljE_EEESV_SW_SX_S14_S18_S1A_T6_T7_T9_mT8_S1C_bDpT10_ENKUlT_T0_E_clISt17integral_constantIbLb0EES1O_IbLb1EEEEDaS1K_S1L_EUlS1K_E_NS1_11comp_targetILNS1_3genE2ELNS1_11target_archE906ELNS1_3gpuE6ELNS1_3repE0EEENS1_30default_config_static_selectorELNS0_4arch9wavefront6targetE1EEEvSY_.uses_flat_scratch, 0
	.set _ZN7rocprim17ROCPRIM_400000_NS6detail17trampoline_kernelINS0_13select_configILj256ELj13ELNS0_17block_load_methodE3ELS4_3ELS4_3ELNS0_20block_scan_algorithmE0ELj4294967295EEENS1_25partition_config_selectorILNS1_17partition_subalgoE3EjNS0_10empty_typeEbEEZZNS1_14partition_implILS8_3ELb0ES6_jNS0_17counting_iteratorIjlEEPS9_SE_NS0_5tupleIJPjSE_EEENSF_IJSE_SE_EEES9_SG_JZNS1_25segmented_radix_sort_implINS0_14default_configELb1EPKfPfPKlPlN2at6native12_GLOBAL__N_18offset_tEEE10hipError_tPvRmT1_PNSt15iterator_traitsISY_E10value_typeET2_T3_PNSZ_IS14_E10value_typeET4_jRbjT5_S1A_jjP12ihipStream_tbEUljE_EEESV_SW_SX_S14_S18_S1A_T6_T7_T9_mT8_S1C_bDpT10_ENKUlT_T0_E_clISt17integral_constantIbLb0EES1O_IbLb1EEEEDaS1K_S1L_EUlS1K_E_NS1_11comp_targetILNS1_3genE2ELNS1_11target_archE906ELNS1_3gpuE6ELNS1_3repE0EEENS1_30default_config_static_selectorELNS0_4arch9wavefront6targetE1EEEvSY_.has_dyn_sized_stack, 0
	.set _ZN7rocprim17ROCPRIM_400000_NS6detail17trampoline_kernelINS0_13select_configILj256ELj13ELNS0_17block_load_methodE3ELS4_3ELS4_3ELNS0_20block_scan_algorithmE0ELj4294967295EEENS1_25partition_config_selectorILNS1_17partition_subalgoE3EjNS0_10empty_typeEbEEZZNS1_14partition_implILS8_3ELb0ES6_jNS0_17counting_iteratorIjlEEPS9_SE_NS0_5tupleIJPjSE_EEENSF_IJSE_SE_EEES9_SG_JZNS1_25segmented_radix_sort_implINS0_14default_configELb1EPKfPfPKlPlN2at6native12_GLOBAL__N_18offset_tEEE10hipError_tPvRmT1_PNSt15iterator_traitsISY_E10value_typeET2_T3_PNSZ_IS14_E10value_typeET4_jRbjT5_S1A_jjP12ihipStream_tbEUljE_EEESV_SW_SX_S14_S18_S1A_T6_T7_T9_mT8_S1C_bDpT10_ENKUlT_T0_E_clISt17integral_constantIbLb0EES1O_IbLb1EEEEDaS1K_S1L_EUlS1K_E_NS1_11comp_targetILNS1_3genE2ELNS1_11target_archE906ELNS1_3gpuE6ELNS1_3repE0EEENS1_30default_config_static_selectorELNS0_4arch9wavefront6targetE1EEEvSY_.has_recursion, 0
	.set _ZN7rocprim17ROCPRIM_400000_NS6detail17trampoline_kernelINS0_13select_configILj256ELj13ELNS0_17block_load_methodE3ELS4_3ELS4_3ELNS0_20block_scan_algorithmE0ELj4294967295EEENS1_25partition_config_selectorILNS1_17partition_subalgoE3EjNS0_10empty_typeEbEEZZNS1_14partition_implILS8_3ELb0ES6_jNS0_17counting_iteratorIjlEEPS9_SE_NS0_5tupleIJPjSE_EEENSF_IJSE_SE_EEES9_SG_JZNS1_25segmented_radix_sort_implINS0_14default_configELb1EPKfPfPKlPlN2at6native12_GLOBAL__N_18offset_tEEE10hipError_tPvRmT1_PNSt15iterator_traitsISY_E10value_typeET2_T3_PNSZ_IS14_E10value_typeET4_jRbjT5_S1A_jjP12ihipStream_tbEUljE_EEESV_SW_SX_S14_S18_S1A_T6_T7_T9_mT8_S1C_bDpT10_ENKUlT_T0_E_clISt17integral_constantIbLb0EES1O_IbLb1EEEEDaS1K_S1L_EUlS1K_E_NS1_11comp_targetILNS1_3genE2ELNS1_11target_archE906ELNS1_3gpuE6ELNS1_3repE0EEENS1_30default_config_static_selectorELNS0_4arch9wavefront6targetE1EEEvSY_.has_indirect_call, 0
	.section	.AMDGPU.csdata,"",@progbits
; Kernel info:
; codeLenInByte = 7548
; TotalNumSgprs: 50
; NumVgprs: 71
; ScratchSize: 0
; MemoryBound: 0
; FloatMode: 240
; IeeeMode: 1
; LDSByteSize: 13320 bytes/workgroup (compile time only)
; SGPRBlocks: 12
; VGPRBlocks: 17
; NumSGPRsForWavesPerEU: 102
; NumVGPRsForWavesPerEU: 71
; Occupancy: 3
; WaveLimiterHint : 0
; COMPUTE_PGM_RSRC2:SCRATCH_EN: 0
; COMPUTE_PGM_RSRC2:USER_SGPR: 6
; COMPUTE_PGM_RSRC2:TRAP_HANDLER: 0
; COMPUTE_PGM_RSRC2:TGID_X_EN: 1
; COMPUTE_PGM_RSRC2:TGID_Y_EN: 0
; COMPUTE_PGM_RSRC2:TGID_Z_EN: 0
; COMPUTE_PGM_RSRC2:TIDIG_COMP_CNT: 0
	.section	.text._ZN7rocprim17ROCPRIM_400000_NS6detail17trampoline_kernelINS0_13select_configILj256ELj13ELNS0_17block_load_methodE3ELS4_3ELS4_3ELNS0_20block_scan_algorithmE0ELj4294967295EEENS1_25partition_config_selectorILNS1_17partition_subalgoE3EjNS0_10empty_typeEbEEZZNS1_14partition_implILS8_3ELb0ES6_jNS0_17counting_iteratorIjlEEPS9_SE_NS0_5tupleIJPjSE_EEENSF_IJSE_SE_EEES9_SG_JZNS1_25segmented_radix_sort_implINS0_14default_configELb1EPKfPfPKlPlN2at6native12_GLOBAL__N_18offset_tEEE10hipError_tPvRmT1_PNSt15iterator_traitsISY_E10value_typeET2_T3_PNSZ_IS14_E10value_typeET4_jRbjT5_S1A_jjP12ihipStream_tbEUljE_EEESV_SW_SX_S14_S18_S1A_T6_T7_T9_mT8_S1C_bDpT10_ENKUlT_T0_E_clISt17integral_constantIbLb0EES1O_IbLb1EEEEDaS1K_S1L_EUlS1K_E_NS1_11comp_targetILNS1_3genE10ELNS1_11target_archE1200ELNS1_3gpuE4ELNS1_3repE0EEENS1_30default_config_static_selectorELNS0_4arch9wavefront6targetE1EEEvSY_,"axG",@progbits,_ZN7rocprim17ROCPRIM_400000_NS6detail17trampoline_kernelINS0_13select_configILj256ELj13ELNS0_17block_load_methodE3ELS4_3ELS4_3ELNS0_20block_scan_algorithmE0ELj4294967295EEENS1_25partition_config_selectorILNS1_17partition_subalgoE3EjNS0_10empty_typeEbEEZZNS1_14partition_implILS8_3ELb0ES6_jNS0_17counting_iteratorIjlEEPS9_SE_NS0_5tupleIJPjSE_EEENSF_IJSE_SE_EEES9_SG_JZNS1_25segmented_radix_sort_implINS0_14default_configELb1EPKfPfPKlPlN2at6native12_GLOBAL__N_18offset_tEEE10hipError_tPvRmT1_PNSt15iterator_traitsISY_E10value_typeET2_T3_PNSZ_IS14_E10value_typeET4_jRbjT5_S1A_jjP12ihipStream_tbEUljE_EEESV_SW_SX_S14_S18_S1A_T6_T7_T9_mT8_S1C_bDpT10_ENKUlT_T0_E_clISt17integral_constantIbLb0EES1O_IbLb1EEEEDaS1K_S1L_EUlS1K_E_NS1_11comp_targetILNS1_3genE10ELNS1_11target_archE1200ELNS1_3gpuE4ELNS1_3repE0EEENS1_30default_config_static_selectorELNS0_4arch9wavefront6targetE1EEEvSY_,comdat
	.globl	_ZN7rocprim17ROCPRIM_400000_NS6detail17trampoline_kernelINS0_13select_configILj256ELj13ELNS0_17block_load_methodE3ELS4_3ELS4_3ELNS0_20block_scan_algorithmE0ELj4294967295EEENS1_25partition_config_selectorILNS1_17partition_subalgoE3EjNS0_10empty_typeEbEEZZNS1_14partition_implILS8_3ELb0ES6_jNS0_17counting_iteratorIjlEEPS9_SE_NS0_5tupleIJPjSE_EEENSF_IJSE_SE_EEES9_SG_JZNS1_25segmented_radix_sort_implINS0_14default_configELb1EPKfPfPKlPlN2at6native12_GLOBAL__N_18offset_tEEE10hipError_tPvRmT1_PNSt15iterator_traitsISY_E10value_typeET2_T3_PNSZ_IS14_E10value_typeET4_jRbjT5_S1A_jjP12ihipStream_tbEUljE_EEESV_SW_SX_S14_S18_S1A_T6_T7_T9_mT8_S1C_bDpT10_ENKUlT_T0_E_clISt17integral_constantIbLb0EES1O_IbLb1EEEEDaS1K_S1L_EUlS1K_E_NS1_11comp_targetILNS1_3genE10ELNS1_11target_archE1200ELNS1_3gpuE4ELNS1_3repE0EEENS1_30default_config_static_selectorELNS0_4arch9wavefront6targetE1EEEvSY_ ; -- Begin function _ZN7rocprim17ROCPRIM_400000_NS6detail17trampoline_kernelINS0_13select_configILj256ELj13ELNS0_17block_load_methodE3ELS4_3ELS4_3ELNS0_20block_scan_algorithmE0ELj4294967295EEENS1_25partition_config_selectorILNS1_17partition_subalgoE3EjNS0_10empty_typeEbEEZZNS1_14partition_implILS8_3ELb0ES6_jNS0_17counting_iteratorIjlEEPS9_SE_NS0_5tupleIJPjSE_EEENSF_IJSE_SE_EEES9_SG_JZNS1_25segmented_radix_sort_implINS0_14default_configELb1EPKfPfPKlPlN2at6native12_GLOBAL__N_18offset_tEEE10hipError_tPvRmT1_PNSt15iterator_traitsISY_E10value_typeET2_T3_PNSZ_IS14_E10value_typeET4_jRbjT5_S1A_jjP12ihipStream_tbEUljE_EEESV_SW_SX_S14_S18_S1A_T6_T7_T9_mT8_S1C_bDpT10_ENKUlT_T0_E_clISt17integral_constantIbLb0EES1O_IbLb1EEEEDaS1K_S1L_EUlS1K_E_NS1_11comp_targetILNS1_3genE10ELNS1_11target_archE1200ELNS1_3gpuE4ELNS1_3repE0EEENS1_30default_config_static_selectorELNS0_4arch9wavefront6targetE1EEEvSY_
	.p2align	8
	.type	_ZN7rocprim17ROCPRIM_400000_NS6detail17trampoline_kernelINS0_13select_configILj256ELj13ELNS0_17block_load_methodE3ELS4_3ELS4_3ELNS0_20block_scan_algorithmE0ELj4294967295EEENS1_25partition_config_selectorILNS1_17partition_subalgoE3EjNS0_10empty_typeEbEEZZNS1_14partition_implILS8_3ELb0ES6_jNS0_17counting_iteratorIjlEEPS9_SE_NS0_5tupleIJPjSE_EEENSF_IJSE_SE_EEES9_SG_JZNS1_25segmented_radix_sort_implINS0_14default_configELb1EPKfPfPKlPlN2at6native12_GLOBAL__N_18offset_tEEE10hipError_tPvRmT1_PNSt15iterator_traitsISY_E10value_typeET2_T3_PNSZ_IS14_E10value_typeET4_jRbjT5_S1A_jjP12ihipStream_tbEUljE_EEESV_SW_SX_S14_S18_S1A_T6_T7_T9_mT8_S1C_bDpT10_ENKUlT_T0_E_clISt17integral_constantIbLb0EES1O_IbLb1EEEEDaS1K_S1L_EUlS1K_E_NS1_11comp_targetILNS1_3genE10ELNS1_11target_archE1200ELNS1_3gpuE4ELNS1_3repE0EEENS1_30default_config_static_selectorELNS0_4arch9wavefront6targetE1EEEvSY_,@function
_ZN7rocprim17ROCPRIM_400000_NS6detail17trampoline_kernelINS0_13select_configILj256ELj13ELNS0_17block_load_methodE3ELS4_3ELS4_3ELNS0_20block_scan_algorithmE0ELj4294967295EEENS1_25partition_config_selectorILNS1_17partition_subalgoE3EjNS0_10empty_typeEbEEZZNS1_14partition_implILS8_3ELb0ES6_jNS0_17counting_iteratorIjlEEPS9_SE_NS0_5tupleIJPjSE_EEENSF_IJSE_SE_EEES9_SG_JZNS1_25segmented_radix_sort_implINS0_14default_configELb1EPKfPfPKlPlN2at6native12_GLOBAL__N_18offset_tEEE10hipError_tPvRmT1_PNSt15iterator_traitsISY_E10value_typeET2_T3_PNSZ_IS14_E10value_typeET4_jRbjT5_S1A_jjP12ihipStream_tbEUljE_EEESV_SW_SX_S14_S18_S1A_T6_T7_T9_mT8_S1C_bDpT10_ENKUlT_T0_E_clISt17integral_constantIbLb0EES1O_IbLb1EEEEDaS1K_S1L_EUlS1K_E_NS1_11comp_targetILNS1_3genE10ELNS1_11target_archE1200ELNS1_3gpuE4ELNS1_3repE0EEENS1_30default_config_static_selectorELNS0_4arch9wavefront6targetE1EEEvSY_: ; @_ZN7rocprim17ROCPRIM_400000_NS6detail17trampoline_kernelINS0_13select_configILj256ELj13ELNS0_17block_load_methodE3ELS4_3ELS4_3ELNS0_20block_scan_algorithmE0ELj4294967295EEENS1_25partition_config_selectorILNS1_17partition_subalgoE3EjNS0_10empty_typeEbEEZZNS1_14partition_implILS8_3ELb0ES6_jNS0_17counting_iteratorIjlEEPS9_SE_NS0_5tupleIJPjSE_EEENSF_IJSE_SE_EEES9_SG_JZNS1_25segmented_radix_sort_implINS0_14default_configELb1EPKfPfPKlPlN2at6native12_GLOBAL__N_18offset_tEEE10hipError_tPvRmT1_PNSt15iterator_traitsISY_E10value_typeET2_T3_PNSZ_IS14_E10value_typeET4_jRbjT5_S1A_jjP12ihipStream_tbEUljE_EEESV_SW_SX_S14_S18_S1A_T6_T7_T9_mT8_S1C_bDpT10_ENKUlT_T0_E_clISt17integral_constantIbLb0EES1O_IbLb1EEEEDaS1K_S1L_EUlS1K_E_NS1_11comp_targetILNS1_3genE10ELNS1_11target_archE1200ELNS1_3gpuE4ELNS1_3repE0EEENS1_30default_config_static_selectorELNS0_4arch9wavefront6targetE1EEEvSY_
; %bb.0:
	.section	.rodata,"a",@progbits
	.p2align	6, 0x0
	.amdhsa_kernel _ZN7rocprim17ROCPRIM_400000_NS6detail17trampoline_kernelINS0_13select_configILj256ELj13ELNS0_17block_load_methodE3ELS4_3ELS4_3ELNS0_20block_scan_algorithmE0ELj4294967295EEENS1_25partition_config_selectorILNS1_17partition_subalgoE3EjNS0_10empty_typeEbEEZZNS1_14partition_implILS8_3ELb0ES6_jNS0_17counting_iteratorIjlEEPS9_SE_NS0_5tupleIJPjSE_EEENSF_IJSE_SE_EEES9_SG_JZNS1_25segmented_radix_sort_implINS0_14default_configELb1EPKfPfPKlPlN2at6native12_GLOBAL__N_18offset_tEEE10hipError_tPvRmT1_PNSt15iterator_traitsISY_E10value_typeET2_T3_PNSZ_IS14_E10value_typeET4_jRbjT5_S1A_jjP12ihipStream_tbEUljE_EEESV_SW_SX_S14_S18_S1A_T6_T7_T9_mT8_S1C_bDpT10_ENKUlT_T0_E_clISt17integral_constantIbLb0EES1O_IbLb1EEEEDaS1K_S1L_EUlS1K_E_NS1_11comp_targetILNS1_3genE10ELNS1_11target_archE1200ELNS1_3gpuE4ELNS1_3repE0EEENS1_30default_config_static_selectorELNS0_4arch9wavefront6targetE1EEEvSY_
		.amdhsa_group_segment_fixed_size 0
		.amdhsa_private_segment_fixed_size 0
		.amdhsa_kernarg_size 152
		.amdhsa_user_sgpr_count 6
		.amdhsa_user_sgpr_private_segment_buffer 1
		.amdhsa_user_sgpr_dispatch_ptr 0
		.amdhsa_user_sgpr_queue_ptr 0
		.amdhsa_user_sgpr_kernarg_segment_ptr 1
		.amdhsa_user_sgpr_dispatch_id 0
		.amdhsa_user_sgpr_flat_scratch_init 0
		.amdhsa_user_sgpr_private_segment_size 0
		.amdhsa_uses_dynamic_stack 0
		.amdhsa_system_sgpr_private_segment_wavefront_offset 0
		.amdhsa_system_sgpr_workgroup_id_x 1
		.amdhsa_system_sgpr_workgroup_id_y 0
		.amdhsa_system_sgpr_workgroup_id_z 0
		.amdhsa_system_sgpr_workgroup_info 0
		.amdhsa_system_vgpr_workitem_id 0
		.amdhsa_next_free_vgpr 1
		.amdhsa_next_free_sgpr 0
		.amdhsa_reserve_vcc 0
		.amdhsa_reserve_flat_scratch 0
		.amdhsa_float_round_mode_32 0
		.amdhsa_float_round_mode_16_64 0
		.amdhsa_float_denorm_mode_32 3
		.amdhsa_float_denorm_mode_16_64 3
		.amdhsa_dx10_clamp 1
		.amdhsa_ieee_mode 1
		.amdhsa_fp16_overflow 0
		.amdhsa_exception_fp_ieee_invalid_op 0
		.amdhsa_exception_fp_denorm_src 0
		.amdhsa_exception_fp_ieee_div_zero 0
		.amdhsa_exception_fp_ieee_overflow 0
		.amdhsa_exception_fp_ieee_underflow 0
		.amdhsa_exception_fp_ieee_inexact 0
		.amdhsa_exception_int_div_zero 0
	.end_amdhsa_kernel
	.section	.text._ZN7rocprim17ROCPRIM_400000_NS6detail17trampoline_kernelINS0_13select_configILj256ELj13ELNS0_17block_load_methodE3ELS4_3ELS4_3ELNS0_20block_scan_algorithmE0ELj4294967295EEENS1_25partition_config_selectorILNS1_17partition_subalgoE3EjNS0_10empty_typeEbEEZZNS1_14partition_implILS8_3ELb0ES6_jNS0_17counting_iteratorIjlEEPS9_SE_NS0_5tupleIJPjSE_EEENSF_IJSE_SE_EEES9_SG_JZNS1_25segmented_radix_sort_implINS0_14default_configELb1EPKfPfPKlPlN2at6native12_GLOBAL__N_18offset_tEEE10hipError_tPvRmT1_PNSt15iterator_traitsISY_E10value_typeET2_T3_PNSZ_IS14_E10value_typeET4_jRbjT5_S1A_jjP12ihipStream_tbEUljE_EEESV_SW_SX_S14_S18_S1A_T6_T7_T9_mT8_S1C_bDpT10_ENKUlT_T0_E_clISt17integral_constantIbLb0EES1O_IbLb1EEEEDaS1K_S1L_EUlS1K_E_NS1_11comp_targetILNS1_3genE10ELNS1_11target_archE1200ELNS1_3gpuE4ELNS1_3repE0EEENS1_30default_config_static_selectorELNS0_4arch9wavefront6targetE1EEEvSY_,"axG",@progbits,_ZN7rocprim17ROCPRIM_400000_NS6detail17trampoline_kernelINS0_13select_configILj256ELj13ELNS0_17block_load_methodE3ELS4_3ELS4_3ELNS0_20block_scan_algorithmE0ELj4294967295EEENS1_25partition_config_selectorILNS1_17partition_subalgoE3EjNS0_10empty_typeEbEEZZNS1_14partition_implILS8_3ELb0ES6_jNS0_17counting_iteratorIjlEEPS9_SE_NS0_5tupleIJPjSE_EEENSF_IJSE_SE_EEES9_SG_JZNS1_25segmented_radix_sort_implINS0_14default_configELb1EPKfPfPKlPlN2at6native12_GLOBAL__N_18offset_tEEE10hipError_tPvRmT1_PNSt15iterator_traitsISY_E10value_typeET2_T3_PNSZ_IS14_E10value_typeET4_jRbjT5_S1A_jjP12ihipStream_tbEUljE_EEESV_SW_SX_S14_S18_S1A_T6_T7_T9_mT8_S1C_bDpT10_ENKUlT_T0_E_clISt17integral_constantIbLb0EES1O_IbLb1EEEEDaS1K_S1L_EUlS1K_E_NS1_11comp_targetILNS1_3genE10ELNS1_11target_archE1200ELNS1_3gpuE4ELNS1_3repE0EEENS1_30default_config_static_selectorELNS0_4arch9wavefront6targetE1EEEvSY_,comdat
.Lfunc_end1322:
	.size	_ZN7rocprim17ROCPRIM_400000_NS6detail17trampoline_kernelINS0_13select_configILj256ELj13ELNS0_17block_load_methodE3ELS4_3ELS4_3ELNS0_20block_scan_algorithmE0ELj4294967295EEENS1_25partition_config_selectorILNS1_17partition_subalgoE3EjNS0_10empty_typeEbEEZZNS1_14partition_implILS8_3ELb0ES6_jNS0_17counting_iteratorIjlEEPS9_SE_NS0_5tupleIJPjSE_EEENSF_IJSE_SE_EEES9_SG_JZNS1_25segmented_radix_sort_implINS0_14default_configELb1EPKfPfPKlPlN2at6native12_GLOBAL__N_18offset_tEEE10hipError_tPvRmT1_PNSt15iterator_traitsISY_E10value_typeET2_T3_PNSZ_IS14_E10value_typeET4_jRbjT5_S1A_jjP12ihipStream_tbEUljE_EEESV_SW_SX_S14_S18_S1A_T6_T7_T9_mT8_S1C_bDpT10_ENKUlT_T0_E_clISt17integral_constantIbLb0EES1O_IbLb1EEEEDaS1K_S1L_EUlS1K_E_NS1_11comp_targetILNS1_3genE10ELNS1_11target_archE1200ELNS1_3gpuE4ELNS1_3repE0EEENS1_30default_config_static_selectorELNS0_4arch9wavefront6targetE1EEEvSY_, .Lfunc_end1322-_ZN7rocprim17ROCPRIM_400000_NS6detail17trampoline_kernelINS0_13select_configILj256ELj13ELNS0_17block_load_methodE3ELS4_3ELS4_3ELNS0_20block_scan_algorithmE0ELj4294967295EEENS1_25partition_config_selectorILNS1_17partition_subalgoE3EjNS0_10empty_typeEbEEZZNS1_14partition_implILS8_3ELb0ES6_jNS0_17counting_iteratorIjlEEPS9_SE_NS0_5tupleIJPjSE_EEENSF_IJSE_SE_EEES9_SG_JZNS1_25segmented_radix_sort_implINS0_14default_configELb1EPKfPfPKlPlN2at6native12_GLOBAL__N_18offset_tEEE10hipError_tPvRmT1_PNSt15iterator_traitsISY_E10value_typeET2_T3_PNSZ_IS14_E10value_typeET4_jRbjT5_S1A_jjP12ihipStream_tbEUljE_EEESV_SW_SX_S14_S18_S1A_T6_T7_T9_mT8_S1C_bDpT10_ENKUlT_T0_E_clISt17integral_constantIbLb0EES1O_IbLb1EEEEDaS1K_S1L_EUlS1K_E_NS1_11comp_targetILNS1_3genE10ELNS1_11target_archE1200ELNS1_3gpuE4ELNS1_3repE0EEENS1_30default_config_static_selectorELNS0_4arch9wavefront6targetE1EEEvSY_
                                        ; -- End function
	.set _ZN7rocprim17ROCPRIM_400000_NS6detail17trampoline_kernelINS0_13select_configILj256ELj13ELNS0_17block_load_methodE3ELS4_3ELS4_3ELNS0_20block_scan_algorithmE0ELj4294967295EEENS1_25partition_config_selectorILNS1_17partition_subalgoE3EjNS0_10empty_typeEbEEZZNS1_14partition_implILS8_3ELb0ES6_jNS0_17counting_iteratorIjlEEPS9_SE_NS0_5tupleIJPjSE_EEENSF_IJSE_SE_EEES9_SG_JZNS1_25segmented_radix_sort_implINS0_14default_configELb1EPKfPfPKlPlN2at6native12_GLOBAL__N_18offset_tEEE10hipError_tPvRmT1_PNSt15iterator_traitsISY_E10value_typeET2_T3_PNSZ_IS14_E10value_typeET4_jRbjT5_S1A_jjP12ihipStream_tbEUljE_EEESV_SW_SX_S14_S18_S1A_T6_T7_T9_mT8_S1C_bDpT10_ENKUlT_T0_E_clISt17integral_constantIbLb0EES1O_IbLb1EEEEDaS1K_S1L_EUlS1K_E_NS1_11comp_targetILNS1_3genE10ELNS1_11target_archE1200ELNS1_3gpuE4ELNS1_3repE0EEENS1_30default_config_static_selectorELNS0_4arch9wavefront6targetE1EEEvSY_.num_vgpr, 0
	.set _ZN7rocprim17ROCPRIM_400000_NS6detail17trampoline_kernelINS0_13select_configILj256ELj13ELNS0_17block_load_methodE3ELS4_3ELS4_3ELNS0_20block_scan_algorithmE0ELj4294967295EEENS1_25partition_config_selectorILNS1_17partition_subalgoE3EjNS0_10empty_typeEbEEZZNS1_14partition_implILS8_3ELb0ES6_jNS0_17counting_iteratorIjlEEPS9_SE_NS0_5tupleIJPjSE_EEENSF_IJSE_SE_EEES9_SG_JZNS1_25segmented_radix_sort_implINS0_14default_configELb1EPKfPfPKlPlN2at6native12_GLOBAL__N_18offset_tEEE10hipError_tPvRmT1_PNSt15iterator_traitsISY_E10value_typeET2_T3_PNSZ_IS14_E10value_typeET4_jRbjT5_S1A_jjP12ihipStream_tbEUljE_EEESV_SW_SX_S14_S18_S1A_T6_T7_T9_mT8_S1C_bDpT10_ENKUlT_T0_E_clISt17integral_constantIbLb0EES1O_IbLb1EEEEDaS1K_S1L_EUlS1K_E_NS1_11comp_targetILNS1_3genE10ELNS1_11target_archE1200ELNS1_3gpuE4ELNS1_3repE0EEENS1_30default_config_static_selectorELNS0_4arch9wavefront6targetE1EEEvSY_.num_agpr, 0
	.set _ZN7rocprim17ROCPRIM_400000_NS6detail17trampoline_kernelINS0_13select_configILj256ELj13ELNS0_17block_load_methodE3ELS4_3ELS4_3ELNS0_20block_scan_algorithmE0ELj4294967295EEENS1_25partition_config_selectorILNS1_17partition_subalgoE3EjNS0_10empty_typeEbEEZZNS1_14partition_implILS8_3ELb0ES6_jNS0_17counting_iteratorIjlEEPS9_SE_NS0_5tupleIJPjSE_EEENSF_IJSE_SE_EEES9_SG_JZNS1_25segmented_radix_sort_implINS0_14default_configELb1EPKfPfPKlPlN2at6native12_GLOBAL__N_18offset_tEEE10hipError_tPvRmT1_PNSt15iterator_traitsISY_E10value_typeET2_T3_PNSZ_IS14_E10value_typeET4_jRbjT5_S1A_jjP12ihipStream_tbEUljE_EEESV_SW_SX_S14_S18_S1A_T6_T7_T9_mT8_S1C_bDpT10_ENKUlT_T0_E_clISt17integral_constantIbLb0EES1O_IbLb1EEEEDaS1K_S1L_EUlS1K_E_NS1_11comp_targetILNS1_3genE10ELNS1_11target_archE1200ELNS1_3gpuE4ELNS1_3repE0EEENS1_30default_config_static_selectorELNS0_4arch9wavefront6targetE1EEEvSY_.numbered_sgpr, 0
	.set _ZN7rocprim17ROCPRIM_400000_NS6detail17trampoline_kernelINS0_13select_configILj256ELj13ELNS0_17block_load_methodE3ELS4_3ELS4_3ELNS0_20block_scan_algorithmE0ELj4294967295EEENS1_25partition_config_selectorILNS1_17partition_subalgoE3EjNS0_10empty_typeEbEEZZNS1_14partition_implILS8_3ELb0ES6_jNS0_17counting_iteratorIjlEEPS9_SE_NS0_5tupleIJPjSE_EEENSF_IJSE_SE_EEES9_SG_JZNS1_25segmented_radix_sort_implINS0_14default_configELb1EPKfPfPKlPlN2at6native12_GLOBAL__N_18offset_tEEE10hipError_tPvRmT1_PNSt15iterator_traitsISY_E10value_typeET2_T3_PNSZ_IS14_E10value_typeET4_jRbjT5_S1A_jjP12ihipStream_tbEUljE_EEESV_SW_SX_S14_S18_S1A_T6_T7_T9_mT8_S1C_bDpT10_ENKUlT_T0_E_clISt17integral_constantIbLb0EES1O_IbLb1EEEEDaS1K_S1L_EUlS1K_E_NS1_11comp_targetILNS1_3genE10ELNS1_11target_archE1200ELNS1_3gpuE4ELNS1_3repE0EEENS1_30default_config_static_selectorELNS0_4arch9wavefront6targetE1EEEvSY_.num_named_barrier, 0
	.set _ZN7rocprim17ROCPRIM_400000_NS6detail17trampoline_kernelINS0_13select_configILj256ELj13ELNS0_17block_load_methodE3ELS4_3ELS4_3ELNS0_20block_scan_algorithmE0ELj4294967295EEENS1_25partition_config_selectorILNS1_17partition_subalgoE3EjNS0_10empty_typeEbEEZZNS1_14partition_implILS8_3ELb0ES6_jNS0_17counting_iteratorIjlEEPS9_SE_NS0_5tupleIJPjSE_EEENSF_IJSE_SE_EEES9_SG_JZNS1_25segmented_radix_sort_implINS0_14default_configELb1EPKfPfPKlPlN2at6native12_GLOBAL__N_18offset_tEEE10hipError_tPvRmT1_PNSt15iterator_traitsISY_E10value_typeET2_T3_PNSZ_IS14_E10value_typeET4_jRbjT5_S1A_jjP12ihipStream_tbEUljE_EEESV_SW_SX_S14_S18_S1A_T6_T7_T9_mT8_S1C_bDpT10_ENKUlT_T0_E_clISt17integral_constantIbLb0EES1O_IbLb1EEEEDaS1K_S1L_EUlS1K_E_NS1_11comp_targetILNS1_3genE10ELNS1_11target_archE1200ELNS1_3gpuE4ELNS1_3repE0EEENS1_30default_config_static_selectorELNS0_4arch9wavefront6targetE1EEEvSY_.private_seg_size, 0
	.set _ZN7rocprim17ROCPRIM_400000_NS6detail17trampoline_kernelINS0_13select_configILj256ELj13ELNS0_17block_load_methodE3ELS4_3ELS4_3ELNS0_20block_scan_algorithmE0ELj4294967295EEENS1_25partition_config_selectorILNS1_17partition_subalgoE3EjNS0_10empty_typeEbEEZZNS1_14partition_implILS8_3ELb0ES6_jNS0_17counting_iteratorIjlEEPS9_SE_NS0_5tupleIJPjSE_EEENSF_IJSE_SE_EEES9_SG_JZNS1_25segmented_radix_sort_implINS0_14default_configELb1EPKfPfPKlPlN2at6native12_GLOBAL__N_18offset_tEEE10hipError_tPvRmT1_PNSt15iterator_traitsISY_E10value_typeET2_T3_PNSZ_IS14_E10value_typeET4_jRbjT5_S1A_jjP12ihipStream_tbEUljE_EEESV_SW_SX_S14_S18_S1A_T6_T7_T9_mT8_S1C_bDpT10_ENKUlT_T0_E_clISt17integral_constantIbLb0EES1O_IbLb1EEEEDaS1K_S1L_EUlS1K_E_NS1_11comp_targetILNS1_3genE10ELNS1_11target_archE1200ELNS1_3gpuE4ELNS1_3repE0EEENS1_30default_config_static_selectorELNS0_4arch9wavefront6targetE1EEEvSY_.uses_vcc, 0
	.set _ZN7rocprim17ROCPRIM_400000_NS6detail17trampoline_kernelINS0_13select_configILj256ELj13ELNS0_17block_load_methodE3ELS4_3ELS4_3ELNS0_20block_scan_algorithmE0ELj4294967295EEENS1_25partition_config_selectorILNS1_17partition_subalgoE3EjNS0_10empty_typeEbEEZZNS1_14partition_implILS8_3ELb0ES6_jNS0_17counting_iteratorIjlEEPS9_SE_NS0_5tupleIJPjSE_EEENSF_IJSE_SE_EEES9_SG_JZNS1_25segmented_radix_sort_implINS0_14default_configELb1EPKfPfPKlPlN2at6native12_GLOBAL__N_18offset_tEEE10hipError_tPvRmT1_PNSt15iterator_traitsISY_E10value_typeET2_T3_PNSZ_IS14_E10value_typeET4_jRbjT5_S1A_jjP12ihipStream_tbEUljE_EEESV_SW_SX_S14_S18_S1A_T6_T7_T9_mT8_S1C_bDpT10_ENKUlT_T0_E_clISt17integral_constantIbLb0EES1O_IbLb1EEEEDaS1K_S1L_EUlS1K_E_NS1_11comp_targetILNS1_3genE10ELNS1_11target_archE1200ELNS1_3gpuE4ELNS1_3repE0EEENS1_30default_config_static_selectorELNS0_4arch9wavefront6targetE1EEEvSY_.uses_flat_scratch, 0
	.set _ZN7rocprim17ROCPRIM_400000_NS6detail17trampoline_kernelINS0_13select_configILj256ELj13ELNS0_17block_load_methodE3ELS4_3ELS4_3ELNS0_20block_scan_algorithmE0ELj4294967295EEENS1_25partition_config_selectorILNS1_17partition_subalgoE3EjNS0_10empty_typeEbEEZZNS1_14partition_implILS8_3ELb0ES6_jNS0_17counting_iteratorIjlEEPS9_SE_NS0_5tupleIJPjSE_EEENSF_IJSE_SE_EEES9_SG_JZNS1_25segmented_radix_sort_implINS0_14default_configELb1EPKfPfPKlPlN2at6native12_GLOBAL__N_18offset_tEEE10hipError_tPvRmT1_PNSt15iterator_traitsISY_E10value_typeET2_T3_PNSZ_IS14_E10value_typeET4_jRbjT5_S1A_jjP12ihipStream_tbEUljE_EEESV_SW_SX_S14_S18_S1A_T6_T7_T9_mT8_S1C_bDpT10_ENKUlT_T0_E_clISt17integral_constantIbLb0EES1O_IbLb1EEEEDaS1K_S1L_EUlS1K_E_NS1_11comp_targetILNS1_3genE10ELNS1_11target_archE1200ELNS1_3gpuE4ELNS1_3repE0EEENS1_30default_config_static_selectorELNS0_4arch9wavefront6targetE1EEEvSY_.has_dyn_sized_stack, 0
	.set _ZN7rocprim17ROCPRIM_400000_NS6detail17trampoline_kernelINS0_13select_configILj256ELj13ELNS0_17block_load_methodE3ELS4_3ELS4_3ELNS0_20block_scan_algorithmE0ELj4294967295EEENS1_25partition_config_selectorILNS1_17partition_subalgoE3EjNS0_10empty_typeEbEEZZNS1_14partition_implILS8_3ELb0ES6_jNS0_17counting_iteratorIjlEEPS9_SE_NS0_5tupleIJPjSE_EEENSF_IJSE_SE_EEES9_SG_JZNS1_25segmented_radix_sort_implINS0_14default_configELb1EPKfPfPKlPlN2at6native12_GLOBAL__N_18offset_tEEE10hipError_tPvRmT1_PNSt15iterator_traitsISY_E10value_typeET2_T3_PNSZ_IS14_E10value_typeET4_jRbjT5_S1A_jjP12ihipStream_tbEUljE_EEESV_SW_SX_S14_S18_S1A_T6_T7_T9_mT8_S1C_bDpT10_ENKUlT_T0_E_clISt17integral_constantIbLb0EES1O_IbLb1EEEEDaS1K_S1L_EUlS1K_E_NS1_11comp_targetILNS1_3genE10ELNS1_11target_archE1200ELNS1_3gpuE4ELNS1_3repE0EEENS1_30default_config_static_selectorELNS0_4arch9wavefront6targetE1EEEvSY_.has_recursion, 0
	.set _ZN7rocprim17ROCPRIM_400000_NS6detail17trampoline_kernelINS0_13select_configILj256ELj13ELNS0_17block_load_methodE3ELS4_3ELS4_3ELNS0_20block_scan_algorithmE0ELj4294967295EEENS1_25partition_config_selectorILNS1_17partition_subalgoE3EjNS0_10empty_typeEbEEZZNS1_14partition_implILS8_3ELb0ES6_jNS0_17counting_iteratorIjlEEPS9_SE_NS0_5tupleIJPjSE_EEENSF_IJSE_SE_EEES9_SG_JZNS1_25segmented_radix_sort_implINS0_14default_configELb1EPKfPfPKlPlN2at6native12_GLOBAL__N_18offset_tEEE10hipError_tPvRmT1_PNSt15iterator_traitsISY_E10value_typeET2_T3_PNSZ_IS14_E10value_typeET4_jRbjT5_S1A_jjP12ihipStream_tbEUljE_EEESV_SW_SX_S14_S18_S1A_T6_T7_T9_mT8_S1C_bDpT10_ENKUlT_T0_E_clISt17integral_constantIbLb0EES1O_IbLb1EEEEDaS1K_S1L_EUlS1K_E_NS1_11comp_targetILNS1_3genE10ELNS1_11target_archE1200ELNS1_3gpuE4ELNS1_3repE0EEENS1_30default_config_static_selectorELNS0_4arch9wavefront6targetE1EEEvSY_.has_indirect_call, 0
	.section	.AMDGPU.csdata,"",@progbits
; Kernel info:
; codeLenInByte = 0
; TotalNumSgprs: 4
; NumVgprs: 0
; ScratchSize: 0
; MemoryBound: 0
; FloatMode: 240
; IeeeMode: 1
; LDSByteSize: 0 bytes/workgroup (compile time only)
; SGPRBlocks: 0
; VGPRBlocks: 0
; NumSGPRsForWavesPerEU: 4
; NumVGPRsForWavesPerEU: 1
; Occupancy: 10
; WaveLimiterHint : 0
; COMPUTE_PGM_RSRC2:SCRATCH_EN: 0
; COMPUTE_PGM_RSRC2:USER_SGPR: 6
; COMPUTE_PGM_RSRC2:TRAP_HANDLER: 0
; COMPUTE_PGM_RSRC2:TGID_X_EN: 1
; COMPUTE_PGM_RSRC2:TGID_Y_EN: 0
; COMPUTE_PGM_RSRC2:TGID_Z_EN: 0
; COMPUTE_PGM_RSRC2:TIDIG_COMP_CNT: 0
	.section	.text._ZN7rocprim17ROCPRIM_400000_NS6detail17trampoline_kernelINS0_13select_configILj256ELj13ELNS0_17block_load_methodE3ELS4_3ELS4_3ELNS0_20block_scan_algorithmE0ELj4294967295EEENS1_25partition_config_selectorILNS1_17partition_subalgoE3EjNS0_10empty_typeEbEEZZNS1_14partition_implILS8_3ELb0ES6_jNS0_17counting_iteratorIjlEEPS9_SE_NS0_5tupleIJPjSE_EEENSF_IJSE_SE_EEES9_SG_JZNS1_25segmented_radix_sort_implINS0_14default_configELb1EPKfPfPKlPlN2at6native12_GLOBAL__N_18offset_tEEE10hipError_tPvRmT1_PNSt15iterator_traitsISY_E10value_typeET2_T3_PNSZ_IS14_E10value_typeET4_jRbjT5_S1A_jjP12ihipStream_tbEUljE_EEESV_SW_SX_S14_S18_S1A_T6_T7_T9_mT8_S1C_bDpT10_ENKUlT_T0_E_clISt17integral_constantIbLb0EES1O_IbLb1EEEEDaS1K_S1L_EUlS1K_E_NS1_11comp_targetILNS1_3genE9ELNS1_11target_archE1100ELNS1_3gpuE3ELNS1_3repE0EEENS1_30default_config_static_selectorELNS0_4arch9wavefront6targetE1EEEvSY_,"axG",@progbits,_ZN7rocprim17ROCPRIM_400000_NS6detail17trampoline_kernelINS0_13select_configILj256ELj13ELNS0_17block_load_methodE3ELS4_3ELS4_3ELNS0_20block_scan_algorithmE0ELj4294967295EEENS1_25partition_config_selectorILNS1_17partition_subalgoE3EjNS0_10empty_typeEbEEZZNS1_14partition_implILS8_3ELb0ES6_jNS0_17counting_iteratorIjlEEPS9_SE_NS0_5tupleIJPjSE_EEENSF_IJSE_SE_EEES9_SG_JZNS1_25segmented_radix_sort_implINS0_14default_configELb1EPKfPfPKlPlN2at6native12_GLOBAL__N_18offset_tEEE10hipError_tPvRmT1_PNSt15iterator_traitsISY_E10value_typeET2_T3_PNSZ_IS14_E10value_typeET4_jRbjT5_S1A_jjP12ihipStream_tbEUljE_EEESV_SW_SX_S14_S18_S1A_T6_T7_T9_mT8_S1C_bDpT10_ENKUlT_T0_E_clISt17integral_constantIbLb0EES1O_IbLb1EEEEDaS1K_S1L_EUlS1K_E_NS1_11comp_targetILNS1_3genE9ELNS1_11target_archE1100ELNS1_3gpuE3ELNS1_3repE0EEENS1_30default_config_static_selectorELNS0_4arch9wavefront6targetE1EEEvSY_,comdat
	.globl	_ZN7rocprim17ROCPRIM_400000_NS6detail17trampoline_kernelINS0_13select_configILj256ELj13ELNS0_17block_load_methodE3ELS4_3ELS4_3ELNS0_20block_scan_algorithmE0ELj4294967295EEENS1_25partition_config_selectorILNS1_17partition_subalgoE3EjNS0_10empty_typeEbEEZZNS1_14partition_implILS8_3ELb0ES6_jNS0_17counting_iteratorIjlEEPS9_SE_NS0_5tupleIJPjSE_EEENSF_IJSE_SE_EEES9_SG_JZNS1_25segmented_radix_sort_implINS0_14default_configELb1EPKfPfPKlPlN2at6native12_GLOBAL__N_18offset_tEEE10hipError_tPvRmT1_PNSt15iterator_traitsISY_E10value_typeET2_T3_PNSZ_IS14_E10value_typeET4_jRbjT5_S1A_jjP12ihipStream_tbEUljE_EEESV_SW_SX_S14_S18_S1A_T6_T7_T9_mT8_S1C_bDpT10_ENKUlT_T0_E_clISt17integral_constantIbLb0EES1O_IbLb1EEEEDaS1K_S1L_EUlS1K_E_NS1_11comp_targetILNS1_3genE9ELNS1_11target_archE1100ELNS1_3gpuE3ELNS1_3repE0EEENS1_30default_config_static_selectorELNS0_4arch9wavefront6targetE1EEEvSY_ ; -- Begin function _ZN7rocprim17ROCPRIM_400000_NS6detail17trampoline_kernelINS0_13select_configILj256ELj13ELNS0_17block_load_methodE3ELS4_3ELS4_3ELNS0_20block_scan_algorithmE0ELj4294967295EEENS1_25partition_config_selectorILNS1_17partition_subalgoE3EjNS0_10empty_typeEbEEZZNS1_14partition_implILS8_3ELb0ES6_jNS0_17counting_iteratorIjlEEPS9_SE_NS0_5tupleIJPjSE_EEENSF_IJSE_SE_EEES9_SG_JZNS1_25segmented_radix_sort_implINS0_14default_configELb1EPKfPfPKlPlN2at6native12_GLOBAL__N_18offset_tEEE10hipError_tPvRmT1_PNSt15iterator_traitsISY_E10value_typeET2_T3_PNSZ_IS14_E10value_typeET4_jRbjT5_S1A_jjP12ihipStream_tbEUljE_EEESV_SW_SX_S14_S18_S1A_T6_T7_T9_mT8_S1C_bDpT10_ENKUlT_T0_E_clISt17integral_constantIbLb0EES1O_IbLb1EEEEDaS1K_S1L_EUlS1K_E_NS1_11comp_targetILNS1_3genE9ELNS1_11target_archE1100ELNS1_3gpuE3ELNS1_3repE0EEENS1_30default_config_static_selectorELNS0_4arch9wavefront6targetE1EEEvSY_
	.p2align	8
	.type	_ZN7rocprim17ROCPRIM_400000_NS6detail17trampoline_kernelINS0_13select_configILj256ELj13ELNS0_17block_load_methodE3ELS4_3ELS4_3ELNS0_20block_scan_algorithmE0ELj4294967295EEENS1_25partition_config_selectorILNS1_17partition_subalgoE3EjNS0_10empty_typeEbEEZZNS1_14partition_implILS8_3ELb0ES6_jNS0_17counting_iteratorIjlEEPS9_SE_NS0_5tupleIJPjSE_EEENSF_IJSE_SE_EEES9_SG_JZNS1_25segmented_radix_sort_implINS0_14default_configELb1EPKfPfPKlPlN2at6native12_GLOBAL__N_18offset_tEEE10hipError_tPvRmT1_PNSt15iterator_traitsISY_E10value_typeET2_T3_PNSZ_IS14_E10value_typeET4_jRbjT5_S1A_jjP12ihipStream_tbEUljE_EEESV_SW_SX_S14_S18_S1A_T6_T7_T9_mT8_S1C_bDpT10_ENKUlT_T0_E_clISt17integral_constantIbLb0EES1O_IbLb1EEEEDaS1K_S1L_EUlS1K_E_NS1_11comp_targetILNS1_3genE9ELNS1_11target_archE1100ELNS1_3gpuE3ELNS1_3repE0EEENS1_30default_config_static_selectorELNS0_4arch9wavefront6targetE1EEEvSY_,@function
_ZN7rocprim17ROCPRIM_400000_NS6detail17trampoline_kernelINS0_13select_configILj256ELj13ELNS0_17block_load_methodE3ELS4_3ELS4_3ELNS0_20block_scan_algorithmE0ELj4294967295EEENS1_25partition_config_selectorILNS1_17partition_subalgoE3EjNS0_10empty_typeEbEEZZNS1_14partition_implILS8_3ELb0ES6_jNS0_17counting_iteratorIjlEEPS9_SE_NS0_5tupleIJPjSE_EEENSF_IJSE_SE_EEES9_SG_JZNS1_25segmented_radix_sort_implINS0_14default_configELb1EPKfPfPKlPlN2at6native12_GLOBAL__N_18offset_tEEE10hipError_tPvRmT1_PNSt15iterator_traitsISY_E10value_typeET2_T3_PNSZ_IS14_E10value_typeET4_jRbjT5_S1A_jjP12ihipStream_tbEUljE_EEESV_SW_SX_S14_S18_S1A_T6_T7_T9_mT8_S1C_bDpT10_ENKUlT_T0_E_clISt17integral_constantIbLb0EES1O_IbLb1EEEEDaS1K_S1L_EUlS1K_E_NS1_11comp_targetILNS1_3genE9ELNS1_11target_archE1100ELNS1_3gpuE3ELNS1_3repE0EEENS1_30default_config_static_selectorELNS0_4arch9wavefront6targetE1EEEvSY_: ; @_ZN7rocprim17ROCPRIM_400000_NS6detail17trampoline_kernelINS0_13select_configILj256ELj13ELNS0_17block_load_methodE3ELS4_3ELS4_3ELNS0_20block_scan_algorithmE0ELj4294967295EEENS1_25partition_config_selectorILNS1_17partition_subalgoE3EjNS0_10empty_typeEbEEZZNS1_14partition_implILS8_3ELb0ES6_jNS0_17counting_iteratorIjlEEPS9_SE_NS0_5tupleIJPjSE_EEENSF_IJSE_SE_EEES9_SG_JZNS1_25segmented_radix_sort_implINS0_14default_configELb1EPKfPfPKlPlN2at6native12_GLOBAL__N_18offset_tEEE10hipError_tPvRmT1_PNSt15iterator_traitsISY_E10value_typeET2_T3_PNSZ_IS14_E10value_typeET4_jRbjT5_S1A_jjP12ihipStream_tbEUljE_EEESV_SW_SX_S14_S18_S1A_T6_T7_T9_mT8_S1C_bDpT10_ENKUlT_T0_E_clISt17integral_constantIbLb0EES1O_IbLb1EEEEDaS1K_S1L_EUlS1K_E_NS1_11comp_targetILNS1_3genE9ELNS1_11target_archE1100ELNS1_3gpuE3ELNS1_3repE0EEENS1_30default_config_static_selectorELNS0_4arch9wavefront6targetE1EEEvSY_
; %bb.0:
	.section	.rodata,"a",@progbits
	.p2align	6, 0x0
	.amdhsa_kernel _ZN7rocprim17ROCPRIM_400000_NS6detail17trampoline_kernelINS0_13select_configILj256ELj13ELNS0_17block_load_methodE3ELS4_3ELS4_3ELNS0_20block_scan_algorithmE0ELj4294967295EEENS1_25partition_config_selectorILNS1_17partition_subalgoE3EjNS0_10empty_typeEbEEZZNS1_14partition_implILS8_3ELb0ES6_jNS0_17counting_iteratorIjlEEPS9_SE_NS0_5tupleIJPjSE_EEENSF_IJSE_SE_EEES9_SG_JZNS1_25segmented_radix_sort_implINS0_14default_configELb1EPKfPfPKlPlN2at6native12_GLOBAL__N_18offset_tEEE10hipError_tPvRmT1_PNSt15iterator_traitsISY_E10value_typeET2_T3_PNSZ_IS14_E10value_typeET4_jRbjT5_S1A_jjP12ihipStream_tbEUljE_EEESV_SW_SX_S14_S18_S1A_T6_T7_T9_mT8_S1C_bDpT10_ENKUlT_T0_E_clISt17integral_constantIbLb0EES1O_IbLb1EEEEDaS1K_S1L_EUlS1K_E_NS1_11comp_targetILNS1_3genE9ELNS1_11target_archE1100ELNS1_3gpuE3ELNS1_3repE0EEENS1_30default_config_static_selectorELNS0_4arch9wavefront6targetE1EEEvSY_
		.amdhsa_group_segment_fixed_size 0
		.amdhsa_private_segment_fixed_size 0
		.amdhsa_kernarg_size 152
		.amdhsa_user_sgpr_count 6
		.amdhsa_user_sgpr_private_segment_buffer 1
		.amdhsa_user_sgpr_dispatch_ptr 0
		.amdhsa_user_sgpr_queue_ptr 0
		.amdhsa_user_sgpr_kernarg_segment_ptr 1
		.amdhsa_user_sgpr_dispatch_id 0
		.amdhsa_user_sgpr_flat_scratch_init 0
		.amdhsa_user_sgpr_private_segment_size 0
		.amdhsa_uses_dynamic_stack 0
		.amdhsa_system_sgpr_private_segment_wavefront_offset 0
		.amdhsa_system_sgpr_workgroup_id_x 1
		.amdhsa_system_sgpr_workgroup_id_y 0
		.amdhsa_system_sgpr_workgroup_id_z 0
		.amdhsa_system_sgpr_workgroup_info 0
		.amdhsa_system_vgpr_workitem_id 0
		.amdhsa_next_free_vgpr 1
		.amdhsa_next_free_sgpr 0
		.amdhsa_reserve_vcc 0
		.amdhsa_reserve_flat_scratch 0
		.amdhsa_float_round_mode_32 0
		.amdhsa_float_round_mode_16_64 0
		.amdhsa_float_denorm_mode_32 3
		.amdhsa_float_denorm_mode_16_64 3
		.amdhsa_dx10_clamp 1
		.amdhsa_ieee_mode 1
		.amdhsa_fp16_overflow 0
		.amdhsa_exception_fp_ieee_invalid_op 0
		.amdhsa_exception_fp_denorm_src 0
		.amdhsa_exception_fp_ieee_div_zero 0
		.amdhsa_exception_fp_ieee_overflow 0
		.amdhsa_exception_fp_ieee_underflow 0
		.amdhsa_exception_fp_ieee_inexact 0
		.amdhsa_exception_int_div_zero 0
	.end_amdhsa_kernel
	.section	.text._ZN7rocprim17ROCPRIM_400000_NS6detail17trampoline_kernelINS0_13select_configILj256ELj13ELNS0_17block_load_methodE3ELS4_3ELS4_3ELNS0_20block_scan_algorithmE0ELj4294967295EEENS1_25partition_config_selectorILNS1_17partition_subalgoE3EjNS0_10empty_typeEbEEZZNS1_14partition_implILS8_3ELb0ES6_jNS0_17counting_iteratorIjlEEPS9_SE_NS0_5tupleIJPjSE_EEENSF_IJSE_SE_EEES9_SG_JZNS1_25segmented_radix_sort_implINS0_14default_configELb1EPKfPfPKlPlN2at6native12_GLOBAL__N_18offset_tEEE10hipError_tPvRmT1_PNSt15iterator_traitsISY_E10value_typeET2_T3_PNSZ_IS14_E10value_typeET4_jRbjT5_S1A_jjP12ihipStream_tbEUljE_EEESV_SW_SX_S14_S18_S1A_T6_T7_T9_mT8_S1C_bDpT10_ENKUlT_T0_E_clISt17integral_constantIbLb0EES1O_IbLb1EEEEDaS1K_S1L_EUlS1K_E_NS1_11comp_targetILNS1_3genE9ELNS1_11target_archE1100ELNS1_3gpuE3ELNS1_3repE0EEENS1_30default_config_static_selectorELNS0_4arch9wavefront6targetE1EEEvSY_,"axG",@progbits,_ZN7rocprim17ROCPRIM_400000_NS6detail17trampoline_kernelINS0_13select_configILj256ELj13ELNS0_17block_load_methodE3ELS4_3ELS4_3ELNS0_20block_scan_algorithmE0ELj4294967295EEENS1_25partition_config_selectorILNS1_17partition_subalgoE3EjNS0_10empty_typeEbEEZZNS1_14partition_implILS8_3ELb0ES6_jNS0_17counting_iteratorIjlEEPS9_SE_NS0_5tupleIJPjSE_EEENSF_IJSE_SE_EEES9_SG_JZNS1_25segmented_radix_sort_implINS0_14default_configELb1EPKfPfPKlPlN2at6native12_GLOBAL__N_18offset_tEEE10hipError_tPvRmT1_PNSt15iterator_traitsISY_E10value_typeET2_T3_PNSZ_IS14_E10value_typeET4_jRbjT5_S1A_jjP12ihipStream_tbEUljE_EEESV_SW_SX_S14_S18_S1A_T6_T7_T9_mT8_S1C_bDpT10_ENKUlT_T0_E_clISt17integral_constantIbLb0EES1O_IbLb1EEEEDaS1K_S1L_EUlS1K_E_NS1_11comp_targetILNS1_3genE9ELNS1_11target_archE1100ELNS1_3gpuE3ELNS1_3repE0EEENS1_30default_config_static_selectorELNS0_4arch9wavefront6targetE1EEEvSY_,comdat
.Lfunc_end1323:
	.size	_ZN7rocprim17ROCPRIM_400000_NS6detail17trampoline_kernelINS0_13select_configILj256ELj13ELNS0_17block_load_methodE3ELS4_3ELS4_3ELNS0_20block_scan_algorithmE0ELj4294967295EEENS1_25partition_config_selectorILNS1_17partition_subalgoE3EjNS0_10empty_typeEbEEZZNS1_14partition_implILS8_3ELb0ES6_jNS0_17counting_iteratorIjlEEPS9_SE_NS0_5tupleIJPjSE_EEENSF_IJSE_SE_EEES9_SG_JZNS1_25segmented_radix_sort_implINS0_14default_configELb1EPKfPfPKlPlN2at6native12_GLOBAL__N_18offset_tEEE10hipError_tPvRmT1_PNSt15iterator_traitsISY_E10value_typeET2_T3_PNSZ_IS14_E10value_typeET4_jRbjT5_S1A_jjP12ihipStream_tbEUljE_EEESV_SW_SX_S14_S18_S1A_T6_T7_T9_mT8_S1C_bDpT10_ENKUlT_T0_E_clISt17integral_constantIbLb0EES1O_IbLb1EEEEDaS1K_S1L_EUlS1K_E_NS1_11comp_targetILNS1_3genE9ELNS1_11target_archE1100ELNS1_3gpuE3ELNS1_3repE0EEENS1_30default_config_static_selectorELNS0_4arch9wavefront6targetE1EEEvSY_, .Lfunc_end1323-_ZN7rocprim17ROCPRIM_400000_NS6detail17trampoline_kernelINS0_13select_configILj256ELj13ELNS0_17block_load_methodE3ELS4_3ELS4_3ELNS0_20block_scan_algorithmE0ELj4294967295EEENS1_25partition_config_selectorILNS1_17partition_subalgoE3EjNS0_10empty_typeEbEEZZNS1_14partition_implILS8_3ELb0ES6_jNS0_17counting_iteratorIjlEEPS9_SE_NS0_5tupleIJPjSE_EEENSF_IJSE_SE_EEES9_SG_JZNS1_25segmented_radix_sort_implINS0_14default_configELb1EPKfPfPKlPlN2at6native12_GLOBAL__N_18offset_tEEE10hipError_tPvRmT1_PNSt15iterator_traitsISY_E10value_typeET2_T3_PNSZ_IS14_E10value_typeET4_jRbjT5_S1A_jjP12ihipStream_tbEUljE_EEESV_SW_SX_S14_S18_S1A_T6_T7_T9_mT8_S1C_bDpT10_ENKUlT_T0_E_clISt17integral_constantIbLb0EES1O_IbLb1EEEEDaS1K_S1L_EUlS1K_E_NS1_11comp_targetILNS1_3genE9ELNS1_11target_archE1100ELNS1_3gpuE3ELNS1_3repE0EEENS1_30default_config_static_selectorELNS0_4arch9wavefront6targetE1EEEvSY_
                                        ; -- End function
	.set _ZN7rocprim17ROCPRIM_400000_NS6detail17trampoline_kernelINS0_13select_configILj256ELj13ELNS0_17block_load_methodE3ELS4_3ELS4_3ELNS0_20block_scan_algorithmE0ELj4294967295EEENS1_25partition_config_selectorILNS1_17partition_subalgoE3EjNS0_10empty_typeEbEEZZNS1_14partition_implILS8_3ELb0ES6_jNS0_17counting_iteratorIjlEEPS9_SE_NS0_5tupleIJPjSE_EEENSF_IJSE_SE_EEES9_SG_JZNS1_25segmented_radix_sort_implINS0_14default_configELb1EPKfPfPKlPlN2at6native12_GLOBAL__N_18offset_tEEE10hipError_tPvRmT1_PNSt15iterator_traitsISY_E10value_typeET2_T3_PNSZ_IS14_E10value_typeET4_jRbjT5_S1A_jjP12ihipStream_tbEUljE_EEESV_SW_SX_S14_S18_S1A_T6_T7_T9_mT8_S1C_bDpT10_ENKUlT_T0_E_clISt17integral_constantIbLb0EES1O_IbLb1EEEEDaS1K_S1L_EUlS1K_E_NS1_11comp_targetILNS1_3genE9ELNS1_11target_archE1100ELNS1_3gpuE3ELNS1_3repE0EEENS1_30default_config_static_selectorELNS0_4arch9wavefront6targetE1EEEvSY_.num_vgpr, 0
	.set _ZN7rocprim17ROCPRIM_400000_NS6detail17trampoline_kernelINS0_13select_configILj256ELj13ELNS0_17block_load_methodE3ELS4_3ELS4_3ELNS0_20block_scan_algorithmE0ELj4294967295EEENS1_25partition_config_selectorILNS1_17partition_subalgoE3EjNS0_10empty_typeEbEEZZNS1_14partition_implILS8_3ELb0ES6_jNS0_17counting_iteratorIjlEEPS9_SE_NS0_5tupleIJPjSE_EEENSF_IJSE_SE_EEES9_SG_JZNS1_25segmented_radix_sort_implINS0_14default_configELb1EPKfPfPKlPlN2at6native12_GLOBAL__N_18offset_tEEE10hipError_tPvRmT1_PNSt15iterator_traitsISY_E10value_typeET2_T3_PNSZ_IS14_E10value_typeET4_jRbjT5_S1A_jjP12ihipStream_tbEUljE_EEESV_SW_SX_S14_S18_S1A_T6_T7_T9_mT8_S1C_bDpT10_ENKUlT_T0_E_clISt17integral_constantIbLb0EES1O_IbLb1EEEEDaS1K_S1L_EUlS1K_E_NS1_11comp_targetILNS1_3genE9ELNS1_11target_archE1100ELNS1_3gpuE3ELNS1_3repE0EEENS1_30default_config_static_selectorELNS0_4arch9wavefront6targetE1EEEvSY_.num_agpr, 0
	.set _ZN7rocprim17ROCPRIM_400000_NS6detail17trampoline_kernelINS0_13select_configILj256ELj13ELNS0_17block_load_methodE3ELS4_3ELS4_3ELNS0_20block_scan_algorithmE0ELj4294967295EEENS1_25partition_config_selectorILNS1_17partition_subalgoE3EjNS0_10empty_typeEbEEZZNS1_14partition_implILS8_3ELb0ES6_jNS0_17counting_iteratorIjlEEPS9_SE_NS0_5tupleIJPjSE_EEENSF_IJSE_SE_EEES9_SG_JZNS1_25segmented_radix_sort_implINS0_14default_configELb1EPKfPfPKlPlN2at6native12_GLOBAL__N_18offset_tEEE10hipError_tPvRmT1_PNSt15iterator_traitsISY_E10value_typeET2_T3_PNSZ_IS14_E10value_typeET4_jRbjT5_S1A_jjP12ihipStream_tbEUljE_EEESV_SW_SX_S14_S18_S1A_T6_T7_T9_mT8_S1C_bDpT10_ENKUlT_T0_E_clISt17integral_constantIbLb0EES1O_IbLb1EEEEDaS1K_S1L_EUlS1K_E_NS1_11comp_targetILNS1_3genE9ELNS1_11target_archE1100ELNS1_3gpuE3ELNS1_3repE0EEENS1_30default_config_static_selectorELNS0_4arch9wavefront6targetE1EEEvSY_.numbered_sgpr, 0
	.set _ZN7rocprim17ROCPRIM_400000_NS6detail17trampoline_kernelINS0_13select_configILj256ELj13ELNS0_17block_load_methodE3ELS4_3ELS4_3ELNS0_20block_scan_algorithmE0ELj4294967295EEENS1_25partition_config_selectorILNS1_17partition_subalgoE3EjNS0_10empty_typeEbEEZZNS1_14partition_implILS8_3ELb0ES6_jNS0_17counting_iteratorIjlEEPS9_SE_NS0_5tupleIJPjSE_EEENSF_IJSE_SE_EEES9_SG_JZNS1_25segmented_radix_sort_implINS0_14default_configELb1EPKfPfPKlPlN2at6native12_GLOBAL__N_18offset_tEEE10hipError_tPvRmT1_PNSt15iterator_traitsISY_E10value_typeET2_T3_PNSZ_IS14_E10value_typeET4_jRbjT5_S1A_jjP12ihipStream_tbEUljE_EEESV_SW_SX_S14_S18_S1A_T6_T7_T9_mT8_S1C_bDpT10_ENKUlT_T0_E_clISt17integral_constantIbLb0EES1O_IbLb1EEEEDaS1K_S1L_EUlS1K_E_NS1_11comp_targetILNS1_3genE9ELNS1_11target_archE1100ELNS1_3gpuE3ELNS1_3repE0EEENS1_30default_config_static_selectorELNS0_4arch9wavefront6targetE1EEEvSY_.num_named_barrier, 0
	.set _ZN7rocprim17ROCPRIM_400000_NS6detail17trampoline_kernelINS0_13select_configILj256ELj13ELNS0_17block_load_methodE3ELS4_3ELS4_3ELNS0_20block_scan_algorithmE0ELj4294967295EEENS1_25partition_config_selectorILNS1_17partition_subalgoE3EjNS0_10empty_typeEbEEZZNS1_14partition_implILS8_3ELb0ES6_jNS0_17counting_iteratorIjlEEPS9_SE_NS0_5tupleIJPjSE_EEENSF_IJSE_SE_EEES9_SG_JZNS1_25segmented_radix_sort_implINS0_14default_configELb1EPKfPfPKlPlN2at6native12_GLOBAL__N_18offset_tEEE10hipError_tPvRmT1_PNSt15iterator_traitsISY_E10value_typeET2_T3_PNSZ_IS14_E10value_typeET4_jRbjT5_S1A_jjP12ihipStream_tbEUljE_EEESV_SW_SX_S14_S18_S1A_T6_T7_T9_mT8_S1C_bDpT10_ENKUlT_T0_E_clISt17integral_constantIbLb0EES1O_IbLb1EEEEDaS1K_S1L_EUlS1K_E_NS1_11comp_targetILNS1_3genE9ELNS1_11target_archE1100ELNS1_3gpuE3ELNS1_3repE0EEENS1_30default_config_static_selectorELNS0_4arch9wavefront6targetE1EEEvSY_.private_seg_size, 0
	.set _ZN7rocprim17ROCPRIM_400000_NS6detail17trampoline_kernelINS0_13select_configILj256ELj13ELNS0_17block_load_methodE3ELS4_3ELS4_3ELNS0_20block_scan_algorithmE0ELj4294967295EEENS1_25partition_config_selectorILNS1_17partition_subalgoE3EjNS0_10empty_typeEbEEZZNS1_14partition_implILS8_3ELb0ES6_jNS0_17counting_iteratorIjlEEPS9_SE_NS0_5tupleIJPjSE_EEENSF_IJSE_SE_EEES9_SG_JZNS1_25segmented_radix_sort_implINS0_14default_configELb1EPKfPfPKlPlN2at6native12_GLOBAL__N_18offset_tEEE10hipError_tPvRmT1_PNSt15iterator_traitsISY_E10value_typeET2_T3_PNSZ_IS14_E10value_typeET4_jRbjT5_S1A_jjP12ihipStream_tbEUljE_EEESV_SW_SX_S14_S18_S1A_T6_T7_T9_mT8_S1C_bDpT10_ENKUlT_T0_E_clISt17integral_constantIbLb0EES1O_IbLb1EEEEDaS1K_S1L_EUlS1K_E_NS1_11comp_targetILNS1_3genE9ELNS1_11target_archE1100ELNS1_3gpuE3ELNS1_3repE0EEENS1_30default_config_static_selectorELNS0_4arch9wavefront6targetE1EEEvSY_.uses_vcc, 0
	.set _ZN7rocprim17ROCPRIM_400000_NS6detail17trampoline_kernelINS0_13select_configILj256ELj13ELNS0_17block_load_methodE3ELS4_3ELS4_3ELNS0_20block_scan_algorithmE0ELj4294967295EEENS1_25partition_config_selectorILNS1_17partition_subalgoE3EjNS0_10empty_typeEbEEZZNS1_14partition_implILS8_3ELb0ES6_jNS0_17counting_iteratorIjlEEPS9_SE_NS0_5tupleIJPjSE_EEENSF_IJSE_SE_EEES9_SG_JZNS1_25segmented_radix_sort_implINS0_14default_configELb1EPKfPfPKlPlN2at6native12_GLOBAL__N_18offset_tEEE10hipError_tPvRmT1_PNSt15iterator_traitsISY_E10value_typeET2_T3_PNSZ_IS14_E10value_typeET4_jRbjT5_S1A_jjP12ihipStream_tbEUljE_EEESV_SW_SX_S14_S18_S1A_T6_T7_T9_mT8_S1C_bDpT10_ENKUlT_T0_E_clISt17integral_constantIbLb0EES1O_IbLb1EEEEDaS1K_S1L_EUlS1K_E_NS1_11comp_targetILNS1_3genE9ELNS1_11target_archE1100ELNS1_3gpuE3ELNS1_3repE0EEENS1_30default_config_static_selectorELNS0_4arch9wavefront6targetE1EEEvSY_.uses_flat_scratch, 0
	.set _ZN7rocprim17ROCPRIM_400000_NS6detail17trampoline_kernelINS0_13select_configILj256ELj13ELNS0_17block_load_methodE3ELS4_3ELS4_3ELNS0_20block_scan_algorithmE0ELj4294967295EEENS1_25partition_config_selectorILNS1_17partition_subalgoE3EjNS0_10empty_typeEbEEZZNS1_14partition_implILS8_3ELb0ES6_jNS0_17counting_iteratorIjlEEPS9_SE_NS0_5tupleIJPjSE_EEENSF_IJSE_SE_EEES9_SG_JZNS1_25segmented_radix_sort_implINS0_14default_configELb1EPKfPfPKlPlN2at6native12_GLOBAL__N_18offset_tEEE10hipError_tPvRmT1_PNSt15iterator_traitsISY_E10value_typeET2_T3_PNSZ_IS14_E10value_typeET4_jRbjT5_S1A_jjP12ihipStream_tbEUljE_EEESV_SW_SX_S14_S18_S1A_T6_T7_T9_mT8_S1C_bDpT10_ENKUlT_T0_E_clISt17integral_constantIbLb0EES1O_IbLb1EEEEDaS1K_S1L_EUlS1K_E_NS1_11comp_targetILNS1_3genE9ELNS1_11target_archE1100ELNS1_3gpuE3ELNS1_3repE0EEENS1_30default_config_static_selectorELNS0_4arch9wavefront6targetE1EEEvSY_.has_dyn_sized_stack, 0
	.set _ZN7rocprim17ROCPRIM_400000_NS6detail17trampoline_kernelINS0_13select_configILj256ELj13ELNS0_17block_load_methodE3ELS4_3ELS4_3ELNS0_20block_scan_algorithmE0ELj4294967295EEENS1_25partition_config_selectorILNS1_17partition_subalgoE3EjNS0_10empty_typeEbEEZZNS1_14partition_implILS8_3ELb0ES6_jNS0_17counting_iteratorIjlEEPS9_SE_NS0_5tupleIJPjSE_EEENSF_IJSE_SE_EEES9_SG_JZNS1_25segmented_radix_sort_implINS0_14default_configELb1EPKfPfPKlPlN2at6native12_GLOBAL__N_18offset_tEEE10hipError_tPvRmT1_PNSt15iterator_traitsISY_E10value_typeET2_T3_PNSZ_IS14_E10value_typeET4_jRbjT5_S1A_jjP12ihipStream_tbEUljE_EEESV_SW_SX_S14_S18_S1A_T6_T7_T9_mT8_S1C_bDpT10_ENKUlT_T0_E_clISt17integral_constantIbLb0EES1O_IbLb1EEEEDaS1K_S1L_EUlS1K_E_NS1_11comp_targetILNS1_3genE9ELNS1_11target_archE1100ELNS1_3gpuE3ELNS1_3repE0EEENS1_30default_config_static_selectorELNS0_4arch9wavefront6targetE1EEEvSY_.has_recursion, 0
	.set _ZN7rocprim17ROCPRIM_400000_NS6detail17trampoline_kernelINS0_13select_configILj256ELj13ELNS0_17block_load_methodE3ELS4_3ELS4_3ELNS0_20block_scan_algorithmE0ELj4294967295EEENS1_25partition_config_selectorILNS1_17partition_subalgoE3EjNS0_10empty_typeEbEEZZNS1_14partition_implILS8_3ELb0ES6_jNS0_17counting_iteratorIjlEEPS9_SE_NS0_5tupleIJPjSE_EEENSF_IJSE_SE_EEES9_SG_JZNS1_25segmented_radix_sort_implINS0_14default_configELb1EPKfPfPKlPlN2at6native12_GLOBAL__N_18offset_tEEE10hipError_tPvRmT1_PNSt15iterator_traitsISY_E10value_typeET2_T3_PNSZ_IS14_E10value_typeET4_jRbjT5_S1A_jjP12ihipStream_tbEUljE_EEESV_SW_SX_S14_S18_S1A_T6_T7_T9_mT8_S1C_bDpT10_ENKUlT_T0_E_clISt17integral_constantIbLb0EES1O_IbLb1EEEEDaS1K_S1L_EUlS1K_E_NS1_11comp_targetILNS1_3genE9ELNS1_11target_archE1100ELNS1_3gpuE3ELNS1_3repE0EEENS1_30default_config_static_selectorELNS0_4arch9wavefront6targetE1EEEvSY_.has_indirect_call, 0
	.section	.AMDGPU.csdata,"",@progbits
; Kernel info:
; codeLenInByte = 0
; TotalNumSgprs: 4
; NumVgprs: 0
; ScratchSize: 0
; MemoryBound: 0
; FloatMode: 240
; IeeeMode: 1
; LDSByteSize: 0 bytes/workgroup (compile time only)
; SGPRBlocks: 0
; VGPRBlocks: 0
; NumSGPRsForWavesPerEU: 4
; NumVGPRsForWavesPerEU: 1
; Occupancy: 10
; WaveLimiterHint : 0
; COMPUTE_PGM_RSRC2:SCRATCH_EN: 0
; COMPUTE_PGM_RSRC2:USER_SGPR: 6
; COMPUTE_PGM_RSRC2:TRAP_HANDLER: 0
; COMPUTE_PGM_RSRC2:TGID_X_EN: 1
; COMPUTE_PGM_RSRC2:TGID_Y_EN: 0
; COMPUTE_PGM_RSRC2:TGID_Z_EN: 0
; COMPUTE_PGM_RSRC2:TIDIG_COMP_CNT: 0
	.section	.text._ZN7rocprim17ROCPRIM_400000_NS6detail17trampoline_kernelINS0_13select_configILj256ELj13ELNS0_17block_load_methodE3ELS4_3ELS4_3ELNS0_20block_scan_algorithmE0ELj4294967295EEENS1_25partition_config_selectorILNS1_17partition_subalgoE3EjNS0_10empty_typeEbEEZZNS1_14partition_implILS8_3ELb0ES6_jNS0_17counting_iteratorIjlEEPS9_SE_NS0_5tupleIJPjSE_EEENSF_IJSE_SE_EEES9_SG_JZNS1_25segmented_radix_sort_implINS0_14default_configELb1EPKfPfPKlPlN2at6native12_GLOBAL__N_18offset_tEEE10hipError_tPvRmT1_PNSt15iterator_traitsISY_E10value_typeET2_T3_PNSZ_IS14_E10value_typeET4_jRbjT5_S1A_jjP12ihipStream_tbEUljE_EEESV_SW_SX_S14_S18_S1A_T6_T7_T9_mT8_S1C_bDpT10_ENKUlT_T0_E_clISt17integral_constantIbLb0EES1O_IbLb1EEEEDaS1K_S1L_EUlS1K_E_NS1_11comp_targetILNS1_3genE8ELNS1_11target_archE1030ELNS1_3gpuE2ELNS1_3repE0EEENS1_30default_config_static_selectorELNS0_4arch9wavefront6targetE1EEEvSY_,"axG",@progbits,_ZN7rocprim17ROCPRIM_400000_NS6detail17trampoline_kernelINS0_13select_configILj256ELj13ELNS0_17block_load_methodE3ELS4_3ELS4_3ELNS0_20block_scan_algorithmE0ELj4294967295EEENS1_25partition_config_selectorILNS1_17partition_subalgoE3EjNS0_10empty_typeEbEEZZNS1_14partition_implILS8_3ELb0ES6_jNS0_17counting_iteratorIjlEEPS9_SE_NS0_5tupleIJPjSE_EEENSF_IJSE_SE_EEES9_SG_JZNS1_25segmented_radix_sort_implINS0_14default_configELb1EPKfPfPKlPlN2at6native12_GLOBAL__N_18offset_tEEE10hipError_tPvRmT1_PNSt15iterator_traitsISY_E10value_typeET2_T3_PNSZ_IS14_E10value_typeET4_jRbjT5_S1A_jjP12ihipStream_tbEUljE_EEESV_SW_SX_S14_S18_S1A_T6_T7_T9_mT8_S1C_bDpT10_ENKUlT_T0_E_clISt17integral_constantIbLb0EES1O_IbLb1EEEEDaS1K_S1L_EUlS1K_E_NS1_11comp_targetILNS1_3genE8ELNS1_11target_archE1030ELNS1_3gpuE2ELNS1_3repE0EEENS1_30default_config_static_selectorELNS0_4arch9wavefront6targetE1EEEvSY_,comdat
	.globl	_ZN7rocprim17ROCPRIM_400000_NS6detail17trampoline_kernelINS0_13select_configILj256ELj13ELNS0_17block_load_methodE3ELS4_3ELS4_3ELNS0_20block_scan_algorithmE0ELj4294967295EEENS1_25partition_config_selectorILNS1_17partition_subalgoE3EjNS0_10empty_typeEbEEZZNS1_14partition_implILS8_3ELb0ES6_jNS0_17counting_iteratorIjlEEPS9_SE_NS0_5tupleIJPjSE_EEENSF_IJSE_SE_EEES9_SG_JZNS1_25segmented_radix_sort_implINS0_14default_configELb1EPKfPfPKlPlN2at6native12_GLOBAL__N_18offset_tEEE10hipError_tPvRmT1_PNSt15iterator_traitsISY_E10value_typeET2_T3_PNSZ_IS14_E10value_typeET4_jRbjT5_S1A_jjP12ihipStream_tbEUljE_EEESV_SW_SX_S14_S18_S1A_T6_T7_T9_mT8_S1C_bDpT10_ENKUlT_T0_E_clISt17integral_constantIbLb0EES1O_IbLb1EEEEDaS1K_S1L_EUlS1K_E_NS1_11comp_targetILNS1_3genE8ELNS1_11target_archE1030ELNS1_3gpuE2ELNS1_3repE0EEENS1_30default_config_static_selectorELNS0_4arch9wavefront6targetE1EEEvSY_ ; -- Begin function _ZN7rocprim17ROCPRIM_400000_NS6detail17trampoline_kernelINS0_13select_configILj256ELj13ELNS0_17block_load_methodE3ELS4_3ELS4_3ELNS0_20block_scan_algorithmE0ELj4294967295EEENS1_25partition_config_selectorILNS1_17partition_subalgoE3EjNS0_10empty_typeEbEEZZNS1_14partition_implILS8_3ELb0ES6_jNS0_17counting_iteratorIjlEEPS9_SE_NS0_5tupleIJPjSE_EEENSF_IJSE_SE_EEES9_SG_JZNS1_25segmented_radix_sort_implINS0_14default_configELb1EPKfPfPKlPlN2at6native12_GLOBAL__N_18offset_tEEE10hipError_tPvRmT1_PNSt15iterator_traitsISY_E10value_typeET2_T3_PNSZ_IS14_E10value_typeET4_jRbjT5_S1A_jjP12ihipStream_tbEUljE_EEESV_SW_SX_S14_S18_S1A_T6_T7_T9_mT8_S1C_bDpT10_ENKUlT_T0_E_clISt17integral_constantIbLb0EES1O_IbLb1EEEEDaS1K_S1L_EUlS1K_E_NS1_11comp_targetILNS1_3genE8ELNS1_11target_archE1030ELNS1_3gpuE2ELNS1_3repE0EEENS1_30default_config_static_selectorELNS0_4arch9wavefront6targetE1EEEvSY_
	.p2align	8
	.type	_ZN7rocprim17ROCPRIM_400000_NS6detail17trampoline_kernelINS0_13select_configILj256ELj13ELNS0_17block_load_methodE3ELS4_3ELS4_3ELNS0_20block_scan_algorithmE0ELj4294967295EEENS1_25partition_config_selectorILNS1_17partition_subalgoE3EjNS0_10empty_typeEbEEZZNS1_14partition_implILS8_3ELb0ES6_jNS0_17counting_iteratorIjlEEPS9_SE_NS0_5tupleIJPjSE_EEENSF_IJSE_SE_EEES9_SG_JZNS1_25segmented_radix_sort_implINS0_14default_configELb1EPKfPfPKlPlN2at6native12_GLOBAL__N_18offset_tEEE10hipError_tPvRmT1_PNSt15iterator_traitsISY_E10value_typeET2_T3_PNSZ_IS14_E10value_typeET4_jRbjT5_S1A_jjP12ihipStream_tbEUljE_EEESV_SW_SX_S14_S18_S1A_T6_T7_T9_mT8_S1C_bDpT10_ENKUlT_T0_E_clISt17integral_constantIbLb0EES1O_IbLb1EEEEDaS1K_S1L_EUlS1K_E_NS1_11comp_targetILNS1_3genE8ELNS1_11target_archE1030ELNS1_3gpuE2ELNS1_3repE0EEENS1_30default_config_static_selectorELNS0_4arch9wavefront6targetE1EEEvSY_,@function
_ZN7rocprim17ROCPRIM_400000_NS6detail17trampoline_kernelINS0_13select_configILj256ELj13ELNS0_17block_load_methodE3ELS4_3ELS4_3ELNS0_20block_scan_algorithmE0ELj4294967295EEENS1_25partition_config_selectorILNS1_17partition_subalgoE3EjNS0_10empty_typeEbEEZZNS1_14partition_implILS8_3ELb0ES6_jNS0_17counting_iteratorIjlEEPS9_SE_NS0_5tupleIJPjSE_EEENSF_IJSE_SE_EEES9_SG_JZNS1_25segmented_radix_sort_implINS0_14default_configELb1EPKfPfPKlPlN2at6native12_GLOBAL__N_18offset_tEEE10hipError_tPvRmT1_PNSt15iterator_traitsISY_E10value_typeET2_T3_PNSZ_IS14_E10value_typeET4_jRbjT5_S1A_jjP12ihipStream_tbEUljE_EEESV_SW_SX_S14_S18_S1A_T6_T7_T9_mT8_S1C_bDpT10_ENKUlT_T0_E_clISt17integral_constantIbLb0EES1O_IbLb1EEEEDaS1K_S1L_EUlS1K_E_NS1_11comp_targetILNS1_3genE8ELNS1_11target_archE1030ELNS1_3gpuE2ELNS1_3repE0EEENS1_30default_config_static_selectorELNS0_4arch9wavefront6targetE1EEEvSY_: ; @_ZN7rocprim17ROCPRIM_400000_NS6detail17trampoline_kernelINS0_13select_configILj256ELj13ELNS0_17block_load_methodE3ELS4_3ELS4_3ELNS0_20block_scan_algorithmE0ELj4294967295EEENS1_25partition_config_selectorILNS1_17partition_subalgoE3EjNS0_10empty_typeEbEEZZNS1_14partition_implILS8_3ELb0ES6_jNS0_17counting_iteratorIjlEEPS9_SE_NS0_5tupleIJPjSE_EEENSF_IJSE_SE_EEES9_SG_JZNS1_25segmented_radix_sort_implINS0_14default_configELb1EPKfPfPKlPlN2at6native12_GLOBAL__N_18offset_tEEE10hipError_tPvRmT1_PNSt15iterator_traitsISY_E10value_typeET2_T3_PNSZ_IS14_E10value_typeET4_jRbjT5_S1A_jjP12ihipStream_tbEUljE_EEESV_SW_SX_S14_S18_S1A_T6_T7_T9_mT8_S1C_bDpT10_ENKUlT_T0_E_clISt17integral_constantIbLb0EES1O_IbLb1EEEEDaS1K_S1L_EUlS1K_E_NS1_11comp_targetILNS1_3genE8ELNS1_11target_archE1030ELNS1_3gpuE2ELNS1_3repE0EEENS1_30default_config_static_selectorELNS0_4arch9wavefront6targetE1EEEvSY_
; %bb.0:
	.section	.rodata,"a",@progbits
	.p2align	6, 0x0
	.amdhsa_kernel _ZN7rocprim17ROCPRIM_400000_NS6detail17trampoline_kernelINS0_13select_configILj256ELj13ELNS0_17block_load_methodE3ELS4_3ELS4_3ELNS0_20block_scan_algorithmE0ELj4294967295EEENS1_25partition_config_selectorILNS1_17partition_subalgoE3EjNS0_10empty_typeEbEEZZNS1_14partition_implILS8_3ELb0ES6_jNS0_17counting_iteratorIjlEEPS9_SE_NS0_5tupleIJPjSE_EEENSF_IJSE_SE_EEES9_SG_JZNS1_25segmented_radix_sort_implINS0_14default_configELb1EPKfPfPKlPlN2at6native12_GLOBAL__N_18offset_tEEE10hipError_tPvRmT1_PNSt15iterator_traitsISY_E10value_typeET2_T3_PNSZ_IS14_E10value_typeET4_jRbjT5_S1A_jjP12ihipStream_tbEUljE_EEESV_SW_SX_S14_S18_S1A_T6_T7_T9_mT8_S1C_bDpT10_ENKUlT_T0_E_clISt17integral_constantIbLb0EES1O_IbLb1EEEEDaS1K_S1L_EUlS1K_E_NS1_11comp_targetILNS1_3genE8ELNS1_11target_archE1030ELNS1_3gpuE2ELNS1_3repE0EEENS1_30default_config_static_selectorELNS0_4arch9wavefront6targetE1EEEvSY_
		.amdhsa_group_segment_fixed_size 0
		.amdhsa_private_segment_fixed_size 0
		.amdhsa_kernarg_size 152
		.amdhsa_user_sgpr_count 6
		.amdhsa_user_sgpr_private_segment_buffer 1
		.amdhsa_user_sgpr_dispatch_ptr 0
		.amdhsa_user_sgpr_queue_ptr 0
		.amdhsa_user_sgpr_kernarg_segment_ptr 1
		.amdhsa_user_sgpr_dispatch_id 0
		.amdhsa_user_sgpr_flat_scratch_init 0
		.amdhsa_user_sgpr_private_segment_size 0
		.amdhsa_uses_dynamic_stack 0
		.amdhsa_system_sgpr_private_segment_wavefront_offset 0
		.amdhsa_system_sgpr_workgroup_id_x 1
		.amdhsa_system_sgpr_workgroup_id_y 0
		.amdhsa_system_sgpr_workgroup_id_z 0
		.amdhsa_system_sgpr_workgroup_info 0
		.amdhsa_system_vgpr_workitem_id 0
		.amdhsa_next_free_vgpr 1
		.amdhsa_next_free_sgpr 0
		.amdhsa_reserve_vcc 0
		.amdhsa_reserve_flat_scratch 0
		.amdhsa_float_round_mode_32 0
		.amdhsa_float_round_mode_16_64 0
		.amdhsa_float_denorm_mode_32 3
		.amdhsa_float_denorm_mode_16_64 3
		.amdhsa_dx10_clamp 1
		.amdhsa_ieee_mode 1
		.amdhsa_fp16_overflow 0
		.amdhsa_exception_fp_ieee_invalid_op 0
		.amdhsa_exception_fp_denorm_src 0
		.amdhsa_exception_fp_ieee_div_zero 0
		.amdhsa_exception_fp_ieee_overflow 0
		.amdhsa_exception_fp_ieee_underflow 0
		.amdhsa_exception_fp_ieee_inexact 0
		.amdhsa_exception_int_div_zero 0
	.end_amdhsa_kernel
	.section	.text._ZN7rocprim17ROCPRIM_400000_NS6detail17trampoline_kernelINS0_13select_configILj256ELj13ELNS0_17block_load_methodE3ELS4_3ELS4_3ELNS0_20block_scan_algorithmE0ELj4294967295EEENS1_25partition_config_selectorILNS1_17partition_subalgoE3EjNS0_10empty_typeEbEEZZNS1_14partition_implILS8_3ELb0ES6_jNS0_17counting_iteratorIjlEEPS9_SE_NS0_5tupleIJPjSE_EEENSF_IJSE_SE_EEES9_SG_JZNS1_25segmented_radix_sort_implINS0_14default_configELb1EPKfPfPKlPlN2at6native12_GLOBAL__N_18offset_tEEE10hipError_tPvRmT1_PNSt15iterator_traitsISY_E10value_typeET2_T3_PNSZ_IS14_E10value_typeET4_jRbjT5_S1A_jjP12ihipStream_tbEUljE_EEESV_SW_SX_S14_S18_S1A_T6_T7_T9_mT8_S1C_bDpT10_ENKUlT_T0_E_clISt17integral_constantIbLb0EES1O_IbLb1EEEEDaS1K_S1L_EUlS1K_E_NS1_11comp_targetILNS1_3genE8ELNS1_11target_archE1030ELNS1_3gpuE2ELNS1_3repE0EEENS1_30default_config_static_selectorELNS0_4arch9wavefront6targetE1EEEvSY_,"axG",@progbits,_ZN7rocprim17ROCPRIM_400000_NS6detail17trampoline_kernelINS0_13select_configILj256ELj13ELNS0_17block_load_methodE3ELS4_3ELS4_3ELNS0_20block_scan_algorithmE0ELj4294967295EEENS1_25partition_config_selectorILNS1_17partition_subalgoE3EjNS0_10empty_typeEbEEZZNS1_14partition_implILS8_3ELb0ES6_jNS0_17counting_iteratorIjlEEPS9_SE_NS0_5tupleIJPjSE_EEENSF_IJSE_SE_EEES9_SG_JZNS1_25segmented_radix_sort_implINS0_14default_configELb1EPKfPfPKlPlN2at6native12_GLOBAL__N_18offset_tEEE10hipError_tPvRmT1_PNSt15iterator_traitsISY_E10value_typeET2_T3_PNSZ_IS14_E10value_typeET4_jRbjT5_S1A_jjP12ihipStream_tbEUljE_EEESV_SW_SX_S14_S18_S1A_T6_T7_T9_mT8_S1C_bDpT10_ENKUlT_T0_E_clISt17integral_constantIbLb0EES1O_IbLb1EEEEDaS1K_S1L_EUlS1K_E_NS1_11comp_targetILNS1_3genE8ELNS1_11target_archE1030ELNS1_3gpuE2ELNS1_3repE0EEENS1_30default_config_static_selectorELNS0_4arch9wavefront6targetE1EEEvSY_,comdat
.Lfunc_end1324:
	.size	_ZN7rocprim17ROCPRIM_400000_NS6detail17trampoline_kernelINS0_13select_configILj256ELj13ELNS0_17block_load_methodE3ELS4_3ELS4_3ELNS0_20block_scan_algorithmE0ELj4294967295EEENS1_25partition_config_selectorILNS1_17partition_subalgoE3EjNS0_10empty_typeEbEEZZNS1_14partition_implILS8_3ELb0ES6_jNS0_17counting_iteratorIjlEEPS9_SE_NS0_5tupleIJPjSE_EEENSF_IJSE_SE_EEES9_SG_JZNS1_25segmented_radix_sort_implINS0_14default_configELb1EPKfPfPKlPlN2at6native12_GLOBAL__N_18offset_tEEE10hipError_tPvRmT1_PNSt15iterator_traitsISY_E10value_typeET2_T3_PNSZ_IS14_E10value_typeET4_jRbjT5_S1A_jjP12ihipStream_tbEUljE_EEESV_SW_SX_S14_S18_S1A_T6_T7_T9_mT8_S1C_bDpT10_ENKUlT_T0_E_clISt17integral_constantIbLb0EES1O_IbLb1EEEEDaS1K_S1L_EUlS1K_E_NS1_11comp_targetILNS1_3genE8ELNS1_11target_archE1030ELNS1_3gpuE2ELNS1_3repE0EEENS1_30default_config_static_selectorELNS0_4arch9wavefront6targetE1EEEvSY_, .Lfunc_end1324-_ZN7rocprim17ROCPRIM_400000_NS6detail17trampoline_kernelINS0_13select_configILj256ELj13ELNS0_17block_load_methodE3ELS4_3ELS4_3ELNS0_20block_scan_algorithmE0ELj4294967295EEENS1_25partition_config_selectorILNS1_17partition_subalgoE3EjNS0_10empty_typeEbEEZZNS1_14partition_implILS8_3ELb0ES6_jNS0_17counting_iteratorIjlEEPS9_SE_NS0_5tupleIJPjSE_EEENSF_IJSE_SE_EEES9_SG_JZNS1_25segmented_radix_sort_implINS0_14default_configELb1EPKfPfPKlPlN2at6native12_GLOBAL__N_18offset_tEEE10hipError_tPvRmT1_PNSt15iterator_traitsISY_E10value_typeET2_T3_PNSZ_IS14_E10value_typeET4_jRbjT5_S1A_jjP12ihipStream_tbEUljE_EEESV_SW_SX_S14_S18_S1A_T6_T7_T9_mT8_S1C_bDpT10_ENKUlT_T0_E_clISt17integral_constantIbLb0EES1O_IbLb1EEEEDaS1K_S1L_EUlS1K_E_NS1_11comp_targetILNS1_3genE8ELNS1_11target_archE1030ELNS1_3gpuE2ELNS1_3repE0EEENS1_30default_config_static_selectorELNS0_4arch9wavefront6targetE1EEEvSY_
                                        ; -- End function
	.set _ZN7rocprim17ROCPRIM_400000_NS6detail17trampoline_kernelINS0_13select_configILj256ELj13ELNS0_17block_load_methodE3ELS4_3ELS4_3ELNS0_20block_scan_algorithmE0ELj4294967295EEENS1_25partition_config_selectorILNS1_17partition_subalgoE3EjNS0_10empty_typeEbEEZZNS1_14partition_implILS8_3ELb0ES6_jNS0_17counting_iteratorIjlEEPS9_SE_NS0_5tupleIJPjSE_EEENSF_IJSE_SE_EEES9_SG_JZNS1_25segmented_radix_sort_implINS0_14default_configELb1EPKfPfPKlPlN2at6native12_GLOBAL__N_18offset_tEEE10hipError_tPvRmT1_PNSt15iterator_traitsISY_E10value_typeET2_T3_PNSZ_IS14_E10value_typeET4_jRbjT5_S1A_jjP12ihipStream_tbEUljE_EEESV_SW_SX_S14_S18_S1A_T6_T7_T9_mT8_S1C_bDpT10_ENKUlT_T0_E_clISt17integral_constantIbLb0EES1O_IbLb1EEEEDaS1K_S1L_EUlS1K_E_NS1_11comp_targetILNS1_3genE8ELNS1_11target_archE1030ELNS1_3gpuE2ELNS1_3repE0EEENS1_30default_config_static_selectorELNS0_4arch9wavefront6targetE1EEEvSY_.num_vgpr, 0
	.set _ZN7rocprim17ROCPRIM_400000_NS6detail17trampoline_kernelINS0_13select_configILj256ELj13ELNS0_17block_load_methodE3ELS4_3ELS4_3ELNS0_20block_scan_algorithmE0ELj4294967295EEENS1_25partition_config_selectorILNS1_17partition_subalgoE3EjNS0_10empty_typeEbEEZZNS1_14partition_implILS8_3ELb0ES6_jNS0_17counting_iteratorIjlEEPS9_SE_NS0_5tupleIJPjSE_EEENSF_IJSE_SE_EEES9_SG_JZNS1_25segmented_radix_sort_implINS0_14default_configELb1EPKfPfPKlPlN2at6native12_GLOBAL__N_18offset_tEEE10hipError_tPvRmT1_PNSt15iterator_traitsISY_E10value_typeET2_T3_PNSZ_IS14_E10value_typeET4_jRbjT5_S1A_jjP12ihipStream_tbEUljE_EEESV_SW_SX_S14_S18_S1A_T6_T7_T9_mT8_S1C_bDpT10_ENKUlT_T0_E_clISt17integral_constantIbLb0EES1O_IbLb1EEEEDaS1K_S1L_EUlS1K_E_NS1_11comp_targetILNS1_3genE8ELNS1_11target_archE1030ELNS1_3gpuE2ELNS1_3repE0EEENS1_30default_config_static_selectorELNS0_4arch9wavefront6targetE1EEEvSY_.num_agpr, 0
	.set _ZN7rocprim17ROCPRIM_400000_NS6detail17trampoline_kernelINS0_13select_configILj256ELj13ELNS0_17block_load_methodE3ELS4_3ELS4_3ELNS0_20block_scan_algorithmE0ELj4294967295EEENS1_25partition_config_selectorILNS1_17partition_subalgoE3EjNS0_10empty_typeEbEEZZNS1_14partition_implILS8_3ELb0ES6_jNS0_17counting_iteratorIjlEEPS9_SE_NS0_5tupleIJPjSE_EEENSF_IJSE_SE_EEES9_SG_JZNS1_25segmented_radix_sort_implINS0_14default_configELb1EPKfPfPKlPlN2at6native12_GLOBAL__N_18offset_tEEE10hipError_tPvRmT1_PNSt15iterator_traitsISY_E10value_typeET2_T3_PNSZ_IS14_E10value_typeET4_jRbjT5_S1A_jjP12ihipStream_tbEUljE_EEESV_SW_SX_S14_S18_S1A_T6_T7_T9_mT8_S1C_bDpT10_ENKUlT_T0_E_clISt17integral_constantIbLb0EES1O_IbLb1EEEEDaS1K_S1L_EUlS1K_E_NS1_11comp_targetILNS1_3genE8ELNS1_11target_archE1030ELNS1_3gpuE2ELNS1_3repE0EEENS1_30default_config_static_selectorELNS0_4arch9wavefront6targetE1EEEvSY_.numbered_sgpr, 0
	.set _ZN7rocprim17ROCPRIM_400000_NS6detail17trampoline_kernelINS0_13select_configILj256ELj13ELNS0_17block_load_methodE3ELS4_3ELS4_3ELNS0_20block_scan_algorithmE0ELj4294967295EEENS1_25partition_config_selectorILNS1_17partition_subalgoE3EjNS0_10empty_typeEbEEZZNS1_14partition_implILS8_3ELb0ES6_jNS0_17counting_iteratorIjlEEPS9_SE_NS0_5tupleIJPjSE_EEENSF_IJSE_SE_EEES9_SG_JZNS1_25segmented_radix_sort_implINS0_14default_configELb1EPKfPfPKlPlN2at6native12_GLOBAL__N_18offset_tEEE10hipError_tPvRmT1_PNSt15iterator_traitsISY_E10value_typeET2_T3_PNSZ_IS14_E10value_typeET4_jRbjT5_S1A_jjP12ihipStream_tbEUljE_EEESV_SW_SX_S14_S18_S1A_T6_T7_T9_mT8_S1C_bDpT10_ENKUlT_T0_E_clISt17integral_constantIbLb0EES1O_IbLb1EEEEDaS1K_S1L_EUlS1K_E_NS1_11comp_targetILNS1_3genE8ELNS1_11target_archE1030ELNS1_3gpuE2ELNS1_3repE0EEENS1_30default_config_static_selectorELNS0_4arch9wavefront6targetE1EEEvSY_.num_named_barrier, 0
	.set _ZN7rocprim17ROCPRIM_400000_NS6detail17trampoline_kernelINS0_13select_configILj256ELj13ELNS0_17block_load_methodE3ELS4_3ELS4_3ELNS0_20block_scan_algorithmE0ELj4294967295EEENS1_25partition_config_selectorILNS1_17partition_subalgoE3EjNS0_10empty_typeEbEEZZNS1_14partition_implILS8_3ELb0ES6_jNS0_17counting_iteratorIjlEEPS9_SE_NS0_5tupleIJPjSE_EEENSF_IJSE_SE_EEES9_SG_JZNS1_25segmented_radix_sort_implINS0_14default_configELb1EPKfPfPKlPlN2at6native12_GLOBAL__N_18offset_tEEE10hipError_tPvRmT1_PNSt15iterator_traitsISY_E10value_typeET2_T3_PNSZ_IS14_E10value_typeET4_jRbjT5_S1A_jjP12ihipStream_tbEUljE_EEESV_SW_SX_S14_S18_S1A_T6_T7_T9_mT8_S1C_bDpT10_ENKUlT_T0_E_clISt17integral_constantIbLb0EES1O_IbLb1EEEEDaS1K_S1L_EUlS1K_E_NS1_11comp_targetILNS1_3genE8ELNS1_11target_archE1030ELNS1_3gpuE2ELNS1_3repE0EEENS1_30default_config_static_selectorELNS0_4arch9wavefront6targetE1EEEvSY_.private_seg_size, 0
	.set _ZN7rocprim17ROCPRIM_400000_NS6detail17trampoline_kernelINS0_13select_configILj256ELj13ELNS0_17block_load_methodE3ELS4_3ELS4_3ELNS0_20block_scan_algorithmE0ELj4294967295EEENS1_25partition_config_selectorILNS1_17partition_subalgoE3EjNS0_10empty_typeEbEEZZNS1_14partition_implILS8_3ELb0ES6_jNS0_17counting_iteratorIjlEEPS9_SE_NS0_5tupleIJPjSE_EEENSF_IJSE_SE_EEES9_SG_JZNS1_25segmented_radix_sort_implINS0_14default_configELb1EPKfPfPKlPlN2at6native12_GLOBAL__N_18offset_tEEE10hipError_tPvRmT1_PNSt15iterator_traitsISY_E10value_typeET2_T3_PNSZ_IS14_E10value_typeET4_jRbjT5_S1A_jjP12ihipStream_tbEUljE_EEESV_SW_SX_S14_S18_S1A_T6_T7_T9_mT8_S1C_bDpT10_ENKUlT_T0_E_clISt17integral_constantIbLb0EES1O_IbLb1EEEEDaS1K_S1L_EUlS1K_E_NS1_11comp_targetILNS1_3genE8ELNS1_11target_archE1030ELNS1_3gpuE2ELNS1_3repE0EEENS1_30default_config_static_selectorELNS0_4arch9wavefront6targetE1EEEvSY_.uses_vcc, 0
	.set _ZN7rocprim17ROCPRIM_400000_NS6detail17trampoline_kernelINS0_13select_configILj256ELj13ELNS0_17block_load_methodE3ELS4_3ELS4_3ELNS0_20block_scan_algorithmE0ELj4294967295EEENS1_25partition_config_selectorILNS1_17partition_subalgoE3EjNS0_10empty_typeEbEEZZNS1_14partition_implILS8_3ELb0ES6_jNS0_17counting_iteratorIjlEEPS9_SE_NS0_5tupleIJPjSE_EEENSF_IJSE_SE_EEES9_SG_JZNS1_25segmented_radix_sort_implINS0_14default_configELb1EPKfPfPKlPlN2at6native12_GLOBAL__N_18offset_tEEE10hipError_tPvRmT1_PNSt15iterator_traitsISY_E10value_typeET2_T3_PNSZ_IS14_E10value_typeET4_jRbjT5_S1A_jjP12ihipStream_tbEUljE_EEESV_SW_SX_S14_S18_S1A_T6_T7_T9_mT8_S1C_bDpT10_ENKUlT_T0_E_clISt17integral_constantIbLb0EES1O_IbLb1EEEEDaS1K_S1L_EUlS1K_E_NS1_11comp_targetILNS1_3genE8ELNS1_11target_archE1030ELNS1_3gpuE2ELNS1_3repE0EEENS1_30default_config_static_selectorELNS0_4arch9wavefront6targetE1EEEvSY_.uses_flat_scratch, 0
	.set _ZN7rocprim17ROCPRIM_400000_NS6detail17trampoline_kernelINS0_13select_configILj256ELj13ELNS0_17block_load_methodE3ELS4_3ELS4_3ELNS0_20block_scan_algorithmE0ELj4294967295EEENS1_25partition_config_selectorILNS1_17partition_subalgoE3EjNS0_10empty_typeEbEEZZNS1_14partition_implILS8_3ELb0ES6_jNS0_17counting_iteratorIjlEEPS9_SE_NS0_5tupleIJPjSE_EEENSF_IJSE_SE_EEES9_SG_JZNS1_25segmented_radix_sort_implINS0_14default_configELb1EPKfPfPKlPlN2at6native12_GLOBAL__N_18offset_tEEE10hipError_tPvRmT1_PNSt15iterator_traitsISY_E10value_typeET2_T3_PNSZ_IS14_E10value_typeET4_jRbjT5_S1A_jjP12ihipStream_tbEUljE_EEESV_SW_SX_S14_S18_S1A_T6_T7_T9_mT8_S1C_bDpT10_ENKUlT_T0_E_clISt17integral_constantIbLb0EES1O_IbLb1EEEEDaS1K_S1L_EUlS1K_E_NS1_11comp_targetILNS1_3genE8ELNS1_11target_archE1030ELNS1_3gpuE2ELNS1_3repE0EEENS1_30default_config_static_selectorELNS0_4arch9wavefront6targetE1EEEvSY_.has_dyn_sized_stack, 0
	.set _ZN7rocprim17ROCPRIM_400000_NS6detail17trampoline_kernelINS0_13select_configILj256ELj13ELNS0_17block_load_methodE3ELS4_3ELS4_3ELNS0_20block_scan_algorithmE0ELj4294967295EEENS1_25partition_config_selectorILNS1_17partition_subalgoE3EjNS0_10empty_typeEbEEZZNS1_14partition_implILS8_3ELb0ES6_jNS0_17counting_iteratorIjlEEPS9_SE_NS0_5tupleIJPjSE_EEENSF_IJSE_SE_EEES9_SG_JZNS1_25segmented_radix_sort_implINS0_14default_configELb1EPKfPfPKlPlN2at6native12_GLOBAL__N_18offset_tEEE10hipError_tPvRmT1_PNSt15iterator_traitsISY_E10value_typeET2_T3_PNSZ_IS14_E10value_typeET4_jRbjT5_S1A_jjP12ihipStream_tbEUljE_EEESV_SW_SX_S14_S18_S1A_T6_T7_T9_mT8_S1C_bDpT10_ENKUlT_T0_E_clISt17integral_constantIbLb0EES1O_IbLb1EEEEDaS1K_S1L_EUlS1K_E_NS1_11comp_targetILNS1_3genE8ELNS1_11target_archE1030ELNS1_3gpuE2ELNS1_3repE0EEENS1_30default_config_static_selectorELNS0_4arch9wavefront6targetE1EEEvSY_.has_recursion, 0
	.set _ZN7rocprim17ROCPRIM_400000_NS6detail17trampoline_kernelINS0_13select_configILj256ELj13ELNS0_17block_load_methodE3ELS4_3ELS4_3ELNS0_20block_scan_algorithmE0ELj4294967295EEENS1_25partition_config_selectorILNS1_17partition_subalgoE3EjNS0_10empty_typeEbEEZZNS1_14partition_implILS8_3ELb0ES6_jNS0_17counting_iteratorIjlEEPS9_SE_NS0_5tupleIJPjSE_EEENSF_IJSE_SE_EEES9_SG_JZNS1_25segmented_radix_sort_implINS0_14default_configELb1EPKfPfPKlPlN2at6native12_GLOBAL__N_18offset_tEEE10hipError_tPvRmT1_PNSt15iterator_traitsISY_E10value_typeET2_T3_PNSZ_IS14_E10value_typeET4_jRbjT5_S1A_jjP12ihipStream_tbEUljE_EEESV_SW_SX_S14_S18_S1A_T6_T7_T9_mT8_S1C_bDpT10_ENKUlT_T0_E_clISt17integral_constantIbLb0EES1O_IbLb1EEEEDaS1K_S1L_EUlS1K_E_NS1_11comp_targetILNS1_3genE8ELNS1_11target_archE1030ELNS1_3gpuE2ELNS1_3repE0EEENS1_30default_config_static_selectorELNS0_4arch9wavefront6targetE1EEEvSY_.has_indirect_call, 0
	.section	.AMDGPU.csdata,"",@progbits
; Kernel info:
; codeLenInByte = 0
; TotalNumSgprs: 4
; NumVgprs: 0
; ScratchSize: 0
; MemoryBound: 0
; FloatMode: 240
; IeeeMode: 1
; LDSByteSize: 0 bytes/workgroup (compile time only)
; SGPRBlocks: 0
; VGPRBlocks: 0
; NumSGPRsForWavesPerEU: 4
; NumVGPRsForWavesPerEU: 1
; Occupancy: 10
; WaveLimiterHint : 0
; COMPUTE_PGM_RSRC2:SCRATCH_EN: 0
; COMPUTE_PGM_RSRC2:USER_SGPR: 6
; COMPUTE_PGM_RSRC2:TRAP_HANDLER: 0
; COMPUTE_PGM_RSRC2:TGID_X_EN: 1
; COMPUTE_PGM_RSRC2:TGID_Y_EN: 0
; COMPUTE_PGM_RSRC2:TGID_Z_EN: 0
; COMPUTE_PGM_RSRC2:TIDIG_COMP_CNT: 0
	.section	.text._ZN7rocprim17ROCPRIM_400000_NS6detail17trampoline_kernelINS0_14default_configENS1_36segmented_radix_sort_config_selectorIflEEZNS1_25segmented_radix_sort_implIS3_Lb1EPKfPfPKlPlN2at6native12_GLOBAL__N_18offset_tEEE10hipError_tPvRmT1_PNSt15iterator_traitsISK_E10value_typeET2_T3_PNSL_ISQ_E10value_typeET4_jRbjT5_SW_jjP12ihipStream_tbEUlT_E_NS1_11comp_targetILNS1_3genE0ELNS1_11target_archE4294967295ELNS1_3gpuE0ELNS1_3repE0EEENS1_30default_config_static_selectorELNS0_4arch9wavefront6targetE1EEEvSK_,"axG",@progbits,_ZN7rocprim17ROCPRIM_400000_NS6detail17trampoline_kernelINS0_14default_configENS1_36segmented_radix_sort_config_selectorIflEEZNS1_25segmented_radix_sort_implIS3_Lb1EPKfPfPKlPlN2at6native12_GLOBAL__N_18offset_tEEE10hipError_tPvRmT1_PNSt15iterator_traitsISK_E10value_typeET2_T3_PNSL_ISQ_E10value_typeET4_jRbjT5_SW_jjP12ihipStream_tbEUlT_E_NS1_11comp_targetILNS1_3genE0ELNS1_11target_archE4294967295ELNS1_3gpuE0ELNS1_3repE0EEENS1_30default_config_static_selectorELNS0_4arch9wavefront6targetE1EEEvSK_,comdat
	.globl	_ZN7rocprim17ROCPRIM_400000_NS6detail17trampoline_kernelINS0_14default_configENS1_36segmented_radix_sort_config_selectorIflEEZNS1_25segmented_radix_sort_implIS3_Lb1EPKfPfPKlPlN2at6native12_GLOBAL__N_18offset_tEEE10hipError_tPvRmT1_PNSt15iterator_traitsISK_E10value_typeET2_T3_PNSL_ISQ_E10value_typeET4_jRbjT5_SW_jjP12ihipStream_tbEUlT_E_NS1_11comp_targetILNS1_3genE0ELNS1_11target_archE4294967295ELNS1_3gpuE0ELNS1_3repE0EEENS1_30default_config_static_selectorELNS0_4arch9wavefront6targetE1EEEvSK_ ; -- Begin function _ZN7rocprim17ROCPRIM_400000_NS6detail17trampoline_kernelINS0_14default_configENS1_36segmented_radix_sort_config_selectorIflEEZNS1_25segmented_radix_sort_implIS3_Lb1EPKfPfPKlPlN2at6native12_GLOBAL__N_18offset_tEEE10hipError_tPvRmT1_PNSt15iterator_traitsISK_E10value_typeET2_T3_PNSL_ISQ_E10value_typeET4_jRbjT5_SW_jjP12ihipStream_tbEUlT_E_NS1_11comp_targetILNS1_3genE0ELNS1_11target_archE4294967295ELNS1_3gpuE0ELNS1_3repE0EEENS1_30default_config_static_selectorELNS0_4arch9wavefront6targetE1EEEvSK_
	.p2align	8
	.type	_ZN7rocprim17ROCPRIM_400000_NS6detail17trampoline_kernelINS0_14default_configENS1_36segmented_radix_sort_config_selectorIflEEZNS1_25segmented_radix_sort_implIS3_Lb1EPKfPfPKlPlN2at6native12_GLOBAL__N_18offset_tEEE10hipError_tPvRmT1_PNSt15iterator_traitsISK_E10value_typeET2_T3_PNSL_ISQ_E10value_typeET4_jRbjT5_SW_jjP12ihipStream_tbEUlT_E_NS1_11comp_targetILNS1_3genE0ELNS1_11target_archE4294967295ELNS1_3gpuE0ELNS1_3repE0EEENS1_30default_config_static_selectorELNS0_4arch9wavefront6targetE1EEEvSK_,@function
_ZN7rocprim17ROCPRIM_400000_NS6detail17trampoline_kernelINS0_14default_configENS1_36segmented_radix_sort_config_selectorIflEEZNS1_25segmented_radix_sort_implIS3_Lb1EPKfPfPKlPlN2at6native12_GLOBAL__N_18offset_tEEE10hipError_tPvRmT1_PNSt15iterator_traitsISK_E10value_typeET2_T3_PNSL_ISQ_E10value_typeET4_jRbjT5_SW_jjP12ihipStream_tbEUlT_E_NS1_11comp_targetILNS1_3genE0ELNS1_11target_archE4294967295ELNS1_3gpuE0ELNS1_3repE0EEENS1_30default_config_static_selectorELNS0_4arch9wavefront6targetE1EEEvSK_: ; @_ZN7rocprim17ROCPRIM_400000_NS6detail17trampoline_kernelINS0_14default_configENS1_36segmented_radix_sort_config_selectorIflEEZNS1_25segmented_radix_sort_implIS3_Lb1EPKfPfPKlPlN2at6native12_GLOBAL__N_18offset_tEEE10hipError_tPvRmT1_PNSt15iterator_traitsISK_E10value_typeET2_T3_PNSL_ISQ_E10value_typeET4_jRbjT5_SW_jjP12ihipStream_tbEUlT_E_NS1_11comp_targetILNS1_3genE0ELNS1_11target_archE4294967295ELNS1_3gpuE0ELNS1_3repE0EEENS1_30default_config_static_selectorELNS0_4arch9wavefront6targetE1EEEvSK_
; %bb.0:
	.section	.rodata,"a",@progbits
	.p2align	6, 0x0
	.amdhsa_kernel _ZN7rocprim17ROCPRIM_400000_NS6detail17trampoline_kernelINS0_14default_configENS1_36segmented_radix_sort_config_selectorIflEEZNS1_25segmented_radix_sort_implIS3_Lb1EPKfPfPKlPlN2at6native12_GLOBAL__N_18offset_tEEE10hipError_tPvRmT1_PNSt15iterator_traitsISK_E10value_typeET2_T3_PNSL_ISQ_E10value_typeET4_jRbjT5_SW_jjP12ihipStream_tbEUlT_E_NS1_11comp_targetILNS1_3genE0ELNS1_11target_archE4294967295ELNS1_3gpuE0ELNS1_3repE0EEENS1_30default_config_static_selectorELNS0_4arch9wavefront6targetE1EEEvSK_
		.amdhsa_group_segment_fixed_size 0
		.amdhsa_private_segment_fixed_size 0
		.amdhsa_kernarg_size 96
		.amdhsa_user_sgpr_count 6
		.amdhsa_user_sgpr_private_segment_buffer 1
		.amdhsa_user_sgpr_dispatch_ptr 0
		.amdhsa_user_sgpr_queue_ptr 0
		.amdhsa_user_sgpr_kernarg_segment_ptr 1
		.amdhsa_user_sgpr_dispatch_id 0
		.amdhsa_user_sgpr_flat_scratch_init 0
		.amdhsa_user_sgpr_private_segment_size 0
		.amdhsa_uses_dynamic_stack 0
		.amdhsa_system_sgpr_private_segment_wavefront_offset 0
		.amdhsa_system_sgpr_workgroup_id_x 1
		.amdhsa_system_sgpr_workgroup_id_y 0
		.amdhsa_system_sgpr_workgroup_id_z 0
		.amdhsa_system_sgpr_workgroup_info 0
		.amdhsa_system_vgpr_workitem_id 0
		.amdhsa_next_free_vgpr 1
		.amdhsa_next_free_sgpr 0
		.amdhsa_reserve_vcc 0
		.amdhsa_reserve_flat_scratch 0
		.amdhsa_float_round_mode_32 0
		.amdhsa_float_round_mode_16_64 0
		.amdhsa_float_denorm_mode_32 3
		.amdhsa_float_denorm_mode_16_64 3
		.amdhsa_dx10_clamp 1
		.amdhsa_ieee_mode 1
		.amdhsa_fp16_overflow 0
		.amdhsa_exception_fp_ieee_invalid_op 0
		.amdhsa_exception_fp_denorm_src 0
		.amdhsa_exception_fp_ieee_div_zero 0
		.amdhsa_exception_fp_ieee_overflow 0
		.amdhsa_exception_fp_ieee_underflow 0
		.amdhsa_exception_fp_ieee_inexact 0
		.amdhsa_exception_int_div_zero 0
	.end_amdhsa_kernel
	.section	.text._ZN7rocprim17ROCPRIM_400000_NS6detail17trampoline_kernelINS0_14default_configENS1_36segmented_radix_sort_config_selectorIflEEZNS1_25segmented_radix_sort_implIS3_Lb1EPKfPfPKlPlN2at6native12_GLOBAL__N_18offset_tEEE10hipError_tPvRmT1_PNSt15iterator_traitsISK_E10value_typeET2_T3_PNSL_ISQ_E10value_typeET4_jRbjT5_SW_jjP12ihipStream_tbEUlT_E_NS1_11comp_targetILNS1_3genE0ELNS1_11target_archE4294967295ELNS1_3gpuE0ELNS1_3repE0EEENS1_30default_config_static_selectorELNS0_4arch9wavefront6targetE1EEEvSK_,"axG",@progbits,_ZN7rocprim17ROCPRIM_400000_NS6detail17trampoline_kernelINS0_14default_configENS1_36segmented_radix_sort_config_selectorIflEEZNS1_25segmented_radix_sort_implIS3_Lb1EPKfPfPKlPlN2at6native12_GLOBAL__N_18offset_tEEE10hipError_tPvRmT1_PNSt15iterator_traitsISK_E10value_typeET2_T3_PNSL_ISQ_E10value_typeET4_jRbjT5_SW_jjP12ihipStream_tbEUlT_E_NS1_11comp_targetILNS1_3genE0ELNS1_11target_archE4294967295ELNS1_3gpuE0ELNS1_3repE0EEENS1_30default_config_static_selectorELNS0_4arch9wavefront6targetE1EEEvSK_,comdat
.Lfunc_end1325:
	.size	_ZN7rocprim17ROCPRIM_400000_NS6detail17trampoline_kernelINS0_14default_configENS1_36segmented_radix_sort_config_selectorIflEEZNS1_25segmented_radix_sort_implIS3_Lb1EPKfPfPKlPlN2at6native12_GLOBAL__N_18offset_tEEE10hipError_tPvRmT1_PNSt15iterator_traitsISK_E10value_typeET2_T3_PNSL_ISQ_E10value_typeET4_jRbjT5_SW_jjP12ihipStream_tbEUlT_E_NS1_11comp_targetILNS1_3genE0ELNS1_11target_archE4294967295ELNS1_3gpuE0ELNS1_3repE0EEENS1_30default_config_static_selectorELNS0_4arch9wavefront6targetE1EEEvSK_, .Lfunc_end1325-_ZN7rocprim17ROCPRIM_400000_NS6detail17trampoline_kernelINS0_14default_configENS1_36segmented_radix_sort_config_selectorIflEEZNS1_25segmented_radix_sort_implIS3_Lb1EPKfPfPKlPlN2at6native12_GLOBAL__N_18offset_tEEE10hipError_tPvRmT1_PNSt15iterator_traitsISK_E10value_typeET2_T3_PNSL_ISQ_E10value_typeET4_jRbjT5_SW_jjP12ihipStream_tbEUlT_E_NS1_11comp_targetILNS1_3genE0ELNS1_11target_archE4294967295ELNS1_3gpuE0ELNS1_3repE0EEENS1_30default_config_static_selectorELNS0_4arch9wavefront6targetE1EEEvSK_
                                        ; -- End function
	.set _ZN7rocprim17ROCPRIM_400000_NS6detail17trampoline_kernelINS0_14default_configENS1_36segmented_radix_sort_config_selectorIflEEZNS1_25segmented_radix_sort_implIS3_Lb1EPKfPfPKlPlN2at6native12_GLOBAL__N_18offset_tEEE10hipError_tPvRmT1_PNSt15iterator_traitsISK_E10value_typeET2_T3_PNSL_ISQ_E10value_typeET4_jRbjT5_SW_jjP12ihipStream_tbEUlT_E_NS1_11comp_targetILNS1_3genE0ELNS1_11target_archE4294967295ELNS1_3gpuE0ELNS1_3repE0EEENS1_30default_config_static_selectorELNS0_4arch9wavefront6targetE1EEEvSK_.num_vgpr, 0
	.set _ZN7rocprim17ROCPRIM_400000_NS6detail17trampoline_kernelINS0_14default_configENS1_36segmented_radix_sort_config_selectorIflEEZNS1_25segmented_radix_sort_implIS3_Lb1EPKfPfPKlPlN2at6native12_GLOBAL__N_18offset_tEEE10hipError_tPvRmT1_PNSt15iterator_traitsISK_E10value_typeET2_T3_PNSL_ISQ_E10value_typeET4_jRbjT5_SW_jjP12ihipStream_tbEUlT_E_NS1_11comp_targetILNS1_3genE0ELNS1_11target_archE4294967295ELNS1_3gpuE0ELNS1_3repE0EEENS1_30default_config_static_selectorELNS0_4arch9wavefront6targetE1EEEvSK_.num_agpr, 0
	.set _ZN7rocprim17ROCPRIM_400000_NS6detail17trampoline_kernelINS0_14default_configENS1_36segmented_radix_sort_config_selectorIflEEZNS1_25segmented_radix_sort_implIS3_Lb1EPKfPfPKlPlN2at6native12_GLOBAL__N_18offset_tEEE10hipError_tPvRmT1_PNSt15iterator_traitsISK_E10value_typeET2_T3_PNSL_ISQ_E10value_typeET4_jRbjT5_SW_jjP12ihipStream_tbEUlT_E_NS1_11comp_targetILNS1_3genE0ELNS1_11target_archE4294967295ELNS1_3gpuE0ELNS1_3repE0EEENS1_30default_config_static_selectorELNS0_4arch9wavefront6targetE1EEEvSK_.numbered_sgpr, 0
	.set _ZN7rocprim17ROCPRIM_400000_NS6detail17trampoline_kernelINS0_14default_configENS1_36segmented_radix_sort_config_selectorIflEEZNS1_25segmented_radix_sort_implIS3_Lb1EPKfPfPKlPlN2at6native12_GLOBAL__N_18offset_tEEE10hipError_tPvRmT1_PNSt15iterator_traitsISK_E10value_typeET2_T3_PNSL_ISQ_E10value_typeET4_jRbjT5_SW_jjP12ihipStream_tbEUlT_E_NS1_11comp_targetILNS1_3genE0ELNS1_11target_archE4294967295ELNS1_3gpuE0ELNS1_3repE0EEENS1_30default_config_static_selectorELNS0_4arch9wavefront6targetE1EEEvSK_.num_named_barrier, 0
	.set _ZN7rocprim17ROCPRIM_400000_NS6detail17trampoline_kernelINS0_14default_configENS1_36segmented_radix_sort_config_selectorIflEEZNS1_25segmented_radix_sort_implIS3_Lb1EPKfPfPKlPlN2at6native12_GLOBAL__N_18offset_tEEE10hipError_tPvRmT1_PNSt15iterator_traitsISK_E10value_typeET2_T3_PNSL_ISQ_E10value_typeET4_jRbjT5_SW_jjP12ihipStream_tbEUlT_E_NS1_11comp_targetILNS1_3genE0ELNS1_11target_archE4294967295ELNS1_3gpuE0ELNS1_3repE0EEENS1_30default_config_static_selectorELNS0_4arch9wavefront6targetE1EEEvSK_.private_seg_size, 0
	.set _ZN7rocprim17ROCPRIM_400000_NS6detail17trampoline_kernelINS0_14default_configENS1_36segmented_radix_sort_config_selectorIflEEZNS1_25segmented_radix_sort_implIS3_Lb1EPKfPfPKlPlN2at6native12_GLOBAL__N_18offset_tEEE10hipError_tPvRmT1_PNSt15iterator_traitsISK_E10value_typeET2_T3_PNSL_ISQ_E10value_typeET4_jRbjT5_SW_jjP12ihipStream_tbEUlT_E_NS1_11comp_targetILNS1_3genE0ELNS1_11target_archE4294967295ELNS1_3gpuE0ELNS1_3repE0EEENS1_30default_config_static_selectorELNS0_4arch9wavefront6targetE1EEEvSK_.uses_vcc, 0
	.set _ZN7rocprim17ROCPRIM_400000_NS6detail17trampoline_kernelINS0_14default_configENS1_36segmented_radix_sort_config_selectorIflEEZNS1_25segmented_radix_sort_implIS3_Lb1EPKfPfPKlPlN2at6native12_GLOBAL__N_18offset_tEEE10hipError_tPvRmT1_PNSt15iterator_traitsISK_E10value_typeET2_T3_PNSL_ISQ_E10value_typeET4_jRbjT5_SW_jjP12ihipStream_tbEUlT_E_NS1_11comp_targetILNS1_3genE0ELNS1_11target_archE4294967295ELNS1_3gpuE0ELNS1_3repE0EEENS1_30default_config_static_selectorELNS0_4arch9wavefront6targetE1EEEvSK_.uses_flat_scratch, 0
	.set _ZN7rocprim17ROCPRIM_400000_NS6detail17trampoline_kernelINS0_14default_configENS1_36segmented_radix_sort_config_selectorIflEEZNS1_25segmented_radix_sort_implIS3_Lb1EPKfPfPKlPlN2at6native12_GLOBAL__N_18offset_tEEE10hipError_tPvRmT1_PNSt15iterator_traitsISK_E10value_typeET2_T3_PNSL_ISQ_E10value_typeET4_jRbjT5_SW_jjP12ihipStream_tbEUlT_E_NS1_11comp_targetILNS1_3genE0ELNS1_11target_archE4294967295ELNS1_3gpuE0ELNS1_3repE0EEENS1_30default_config_static_selectorELNS0_4arch9wavefront6targetE1EEEvSK_.has_dyn_sized_stack, 0
	.set _ZN7rocprim17ROCPRIM_400000_NS6detail17trampoline_kernelINS0_14default_configENS1_36segmented_radix_sort_config_selectorIflEEZNS1_25segmented_radix_sort_implIS3_Lb1EPKfPfPKlPlN2at6native12_GLOBAL__N_18offset_tEEE10hipError_tPvRmT1_PNSt15iterator_traitsISK_E10value_typeET2_T3_PNSL_ISQ_E10value_typeET4_jRbjT5_SW_jjP12ihipStream_tbEUlT_E_NS1_11comp_targetILNS1_3genE0ELNS1_11target_archE4294967295ELNS1_3gpuE0ELNS1_3repE0EEENS1_30default_config_static_selectorELNS0_4arch9wavefront6targetE1EEEvSK_.has_recursion, 0
	.set _ZN7rocprim17ROCPRIM_400000_NS6detail17trampoline_kernelINS0_14default_configENS1_36segmented_radix_sort_config_selectorIflEEZNS1_25segmented_radix_sort_implIS3_Lb1EPKfPfPKlPlN2at6native12_GLOBAL__N_18offset_tEEE10hipError_tPvRmT1_PNSt15iterator_traitsISK_E10value_typeET2_T3_PNSL_ISQ_E10value_typeET4_jRbjT5_SW_jjP12ihipStream_tbEUlT_E_NS1_11comp_targetILNS1_3genE0ELNS1_11target_archE4294967295ELNS1_3gpuE0ELNS1_3repE0EEENS1_30default_config_static_selectorELNS0_4arch9wavefront6targetE1EEEvSK_.has_indirect_call, 0
	.section	.AMDGPU.csdata,"",@progbits
; Kernel info:
; codeLenInByte = 0
; TotalNumSgprs: 4
; NumVgprs: 0
; ScratchSize: 0
; MemoryBound: 0
; FloatMode: 240
; IeeeMode: 1
; LDSByteSize: 0 bytes/workgroup (compile time only)
; SGPRBlocks: 0
; VGPRBlocks: 0
; NumSGPRsForWavesPerEU: 4
; NumVGPRsForWavesPerEU: 1
; Occupancy: 10
; WaveLimiterHint : 0
; COMPUTE_PGM_RSRC2:SCRATCH_EN: 0
; COMPUTE_PGM_RSRC2:USER_SGPR: 6
; COMPUTE_PGM_RSRC2:TRAP_HANDLER: 0
; COMPUTE_PGM_RSRC2:TGID_X_EN: 1
; COMPUTE_PGM_RSRC2:TGID_Y_EN: 0
; COMPUTE_PGM_RSRC2:TGID_Z_EN: 0
; COMPUTE_PGM_RSRC2:TIDIG_COMP_CNT: 0
	.section	.text._ZN7rocprim17ROCPRIM_400000_NS6detail17trampoline_kernelINS0_14default_configENS1_36segmented_radix_sort_config_selectorIflEEZNS1_25segmented_radix_sort_implIS3_Lb1EPKfPfPKlPlN2at6native12_GLOBAL__N_18offset_tEEE10hipError_tPvRmT1_PNSt15iterator_traitsISK_E10value_typeET2_T3_PNSL_ISQ_E10value_typeET4_jRbjT5_SW_jjP12ihipStream_tbEUlT_E_NS1_11comp_targetILNS1_3genE5ELNS1_11target_archE942ELNS1_3gpuE9ELNS1_3repE0EEENS1_30default_config_static_selectorELNS0_4arch9wavefront6targetE1EEEvSK_,"axG",@progbits,_ZN7rocprim17ROCPRIM_400000_NS6detail17trampoline_kernelINS0_14default_configENS1_36segmented_radix_sort_config_selectorIflEEZNS1_25segmented_radix_sort_implIS3_Lb1EPKfPfPKlPlN2at6native12_GLOBAL__N_18offset_tEEE10hipError_tPvRmT1_PNSt15iterator_traitsISK_E10value_typeET2_T3_PNSL_ISQ_E10value_typeET4_jRbjT5_SW_jjP12ihipStream_tbEUlT_E_NS1_11comp_targetILNS1_3genE5ELNS1_11target_archE942ELNS1_3gpuE9ELNS1_3repE0EEENS1_30default_config_static_selectorELNS0_4arch9wavefront6targetE1EEEvSK_,comdat
	.globl	_ZN7rocprim17ROCPRIM_400000_NS6detail17trampoline_kernelINS0_14default_configENS1_36segmented_radix_sort_config_selectorIflEEZNS1_25segmented_radix_sort_implIS3_Lb1EPKfPfPKlPlN2at6native12_GLOBAL__N_18offset_tEEE10hipError_tPvRmT1_PNSt15iterator_traitsISK_E10value_typeET2_T3_PNSL_ISQ_E10value_typeET4_jRbjT5_SW_jjP12ihipStream_tbEUlT_E_NS1_11comp_targetILNS1_3genE5ELNS1_11target_archE942ELNS1_3gpuE9ELNS1_3repE0EEENS1_30default_config_static_selectorELNS0_4arch9wavefront6targetE1EEEvSK_ ; -- Begin function _ZN7rocprim17ROCPRIM_400000_NS6detail17trampoline_kernelINS0_14default_configENS1_36segmented_radix_sort_config_selectorIflEEZNS1_25segmented_radix_sort_implIS3_Lb1EPKfPfPKlPlN2at6native12_GLOBAL__N_18offset_tEEE10hipError_tPvRmT1_PNSt15iterator_traitsISK_E10value_typeET2_T3_PNSL_ISQ_E10value_typeET4_jRbjT5_SW_jjP12ihipStream_tbEUlT_E_NS1_11comp_targetILNS1_3genE5ELNS1_11target_archE942ELNS1_3gpuE9ELNS1_3repE0EEENS1_30default_config_static_selectorELNS0_4arch9wavefront6targetE1EEEvSK_
	.p2align	8
	.type	_ZN7rocprim17ROCPRIM_400000_NS6detail17trampoline_kernelINS0_14default_configENS1_36segmented_radix_sort_config_selectorIflEEZNS1_25segmented_radix_sort_implIS3_Lb1EPKfPfPKlPlN2at6native12_GLOBAL__N_18offset_tEEE10hipError_tPvRmT1_PNSt15iterator_traitsISK_E10value_typeET2_T3_PNSL_ISQ_E10value_typeET4_jRbjT5_SW_jjP12ihipStream_tbEUlT_E_NS1_11comp_targetILNS1_3genE5ELNS1_11target_archE942ELNS1_3gpuE9ELNS1_3repE0EEENS1_30default_config_static_selectorELNS0_4arch9wavefront6targetE1EEEvSK_,@function
_ZN7rocprim17ROCPRIM_400000_NS6detail17trampoline_kernelINS0_14default_configENS1_36segmented_radix_sort_config_selectorIflEEZNS1_25segmented_radix_sort_implIS3_Lb1EPKfPfPKlPlN2at6native12_GLOBAL__N_18offset_tEEE10hipError_tPvRmT1_PNSt15iterator_traitsISK_E10value_typeET2_T3_PNSL_ISQ_E10value_typeET4_jRbjT5_SW_jjP12ihipStream_tbEUlT_E_NS1_11comp_targetILNS1_3genE5ELNS1_11target_archE942ELNS1_3gpuE9ELNS1_3repE0EEENS1_30default_config_static_selectorELNS0_4arch9wavefront6targetE1EEEvSK_: ; @_ZN7rocprim17ROCPRIM_400000_NS6detail17trampoline_kernelINS0_14default_configENS1_36segmented_radix_sort_config_selectorIflEEZNS1_25segmented_radix_sort_implIS3_Lb1EPKfPfPKlPlN2at6native12_GLOBAL__N_18offset_tEEE10hipError_tPvRmT1_PNSt15iterator_traitsISK_E10value_typeET2_T3_PNSL_ISQ_E10value_typeET4_jRbjT5_SW_jjP12ihipStream_tbEUlT_E_NS1_11comp_targetILNS1_3genE5ELNS1_11target_archE942ELNS1_3gpuE9ELNS1_3repE0EEENS1_30default_config_static_selectorELNS0_4arch9wavefront6targetE1EEEvSK_
; %bb.0:
	.section	.rodata,"a",@progbits
	.p2align	6, 0x0
	.amdhsa_kernel _ZN7rocprim17ROCPRIM_400000_NS6detail17trampoline_kernelINS0_14default_configENS1_36segmented_radix_sort_config_selectorIflEEZNS1_25segmented_radix_sort_implIS3_Lb1EPKfPfPKlPlN2at6native12_GLOBAL__N_18offset_tEEE10hipError_tPvRmT1_PNSt15iterator_traitsISK_E10value_typeET2_T3_PNSL_ISQ_E10value_typeET4_jRbjT5_SW_jjP12ihipStream_tbEUlT_E_NS1_11comp_targetILNS1_3genE5ELNS1_11target_archE942ELNS1_3gpuE9ELNS1_3repE0EEENS1_30default_config_static_selectorELNS0_4arch9wavefront6targetE1EEEvSK_
		.amdhsa_group_segment_fixed_size 0
		.amdhsa_private_segment_fixed_size 0
		.amdhsa_kernarg_size 96
		.amdhsa_user_sgpr_count 6
		.amdhsa_user_sgpr_private_segment_buffer 1
		.amdhsa_user_sgpr_dispatch_ptr 0
		.amdhsa_user_sgpr_queue_ptr 0
		.amdhsa_user_sgpr_kernarg_segment_ptr 1
		.amdhsa_user_sgpr_dispatch_id 0
		.amdhsa_user_sgpr_flat_scratch_init 0
		.amdhsa_user_sgpr_private_segment_size 0
		.amdhsa_uses_dynamic_stack 0
		.amdhsa_system_sgpr_private_segment_wavefront_offset 0
		.amdhsa_system_sgpr_workgroup_id_x 1
		.amdhsa_system_sgpr_workgroup_id_y 0
		.amdhsa_system_sgpr_workgroup_id_z 0
		.amdhsa_system_sgpr_workgroup_info 0
		.amdhsa_system_vgpr_workitem_id 0
		.amdhsa_next_free_vgpr 1
		.amdhsa_next_free_sgpr 0
		.amdhsa_reserve_vcc 0
		.amdhsa_reserve_flat_scratch 0
		.amdhsa_float_round_mode_32 0
		.amdhsa_float_round_mode_16_64 0
		.amdhsa_float_denorm_mode_32 3
		.amdhsa_float_denorm_mode_16_64 3
		.amdhsa_dx10_clamp 1
		.amdhsa_ieee_mode 1
		.amdhsa_fp16_overflow 0
		.amdhsa_exception_fp_ieee_invalid_op 0
		.amdhsa_exception_fp_denorm_src 0
		.amdhsa_exception_fp_ieee_div_zero 0
		.amdhsa_exception_fp_ieee_overflow 0
		.amdhsa_exception_fp_ieee_underflow 0
		.amdhsa_exception_fp_ieee_inexact 0
		.amdhsa_exception_int_div_zero 0
	.end_amdhsa_kernel
	.section	.text._ZN7rocprim17ROCPRIM_400000_NS6detail17trampoline_kernelINS0_14default_configENS1_36segmented_radix_sort_config_selectorIflEEZNS1_25segmented_radix_sort_implIS3_Lb1EPKfPfPKlPlN2at6native12_GLOBAL__N_18offset_tEEE10hipError_tPvRmT1_PNSt15iterator_traitsISK_E10value_typeET2_T3_PNSL_ISQ_E10value_typeET4_jRbjT5_SW_jjP12ihipStream_tbEUlT_E_NS1_11comp_targetILNS1_3genE5ELNS1_11target_archE942ELNS1_3gpuE9ELNS1_3repE0EEENS1_30default_config_static_selectorELNS0_4arch9wavefront6targetE1EEEvSK_,"axG",@progbits,_ZN7rocprim17ROCPRIM_400000_NS6detail17trampoline_kernelINS0_14default_configENS1_36segmented_radix_sort_config_selectorIflEEZNS1_25segmented_radix_sort_implIS3_Lb1EPKfPfPKlPlN2at6native12_GLOBAL__N_18offset_tEEE10hipError_tPvRmT1_PNSt15iterator_traitsISK_E10value_typeET2_T3_PNSL_ISQ_E10value_typeET4_jRbjT5_SW_jjP12ihipStream_tbEUlT_E_NS1_11comp_targetILNS1_3genE5ELNS1_11target_archE942ELNS1_3gpuE9ELNS1_3repE0EEENS1_30default_config_static_selectorELNS0_4arch9wavefront6targetE1EEEvSK_,comdat
.Lfunc_end1326:
	.size	_ZN7rocprim17ROCPRIM_400000_NS6detail17trampoline_kernelINS0_14default_configENS1_36segmented_radix_sort_config_selectorIflEEZNS1_25segmented_radix_sort_implIS3_Lb1EPKfPfPKlPlN2at6native12_GLOBAL__N_18offset_tEEE10hipError_tPvRmT1_PNSt15iterator_traitsISK_E10value_typeET2_T3_PNSL_ISQ_E10value_typeET4_jRbjT5_SW_jjP12ihipStream_tbEUlT_E_NS1_11comp_targetILNS1_3genE5ELNS1_11target_archE942ELNS1_3gpuE9ELNS1_3repE0EEENS1_30default_config_static_selectorELNS0_4arch9wavefront6targetE1EEEvSK_, .Lfunc_end1326-_ZN7rocprim17ROCPRIM_400000_NS6detail17trampoline_kernelINS0_14default_configENS1_36segmented_radix_sort_config_selectorIflEEZNS1_25segmented_radix_sort_implIS3_Lb1EPKfPfPKlPlN2at6native12_GLOBAL__N_18offset_tEEE10hipError_tPvRmT1_PNSt15iterator_traitsISK_E10value_typeET2_T3_PNSL_ISQ_E10value_typeET4_jRbjT5_SW_jjP12ihipStream_tbEUlT_E_NS1_11comp_targetILNS1_3genE5ELNS1_11target_archE942ELNS1_3gpuE9ELNS1_3repE0EEENS1_30default_config_static_selectorELNS0_4arch9wavefront6targetE1EEEvSK_
                                        ; -- End function
	.set _ZN7rocprim17ROCPRIM_400000_NS6detail17trampoline_kernelINS0_14default_configENS1_36segmented_radix_sort_config_selectorIflEEZNS1_25segmented_radix_sort_implIS3_Lb1EPKfPfPKlPlN2at6native12_GLOBAL__N_18offset_tEEE10hipError_tPvRmT1_PNSt15iterator_traitsISK_E10value_typeET2_T3_PNSL_ISQ_E10value_typeET4_jRbjT5_SW_jjP12ihipStream_tbEUlT_E_NS1_11comp_targetILNS1_3genE5ELNS1_11target_archE942ELNS1_3gpuE9ELNS1_3repE0EEENS1_30default_config_static_selectorELNS0_4arch9wavefront6targetE1EEEvSK_.num_vgpr, 0
	.set _ZN7rocprim17ROCPRIM_400000_NS6detail17trampoline_kernelINS0_14default_configENS1_36segmented_radix_sort_config_selectorIflEEZNS1_25segmented_radix_sort_implIS3_Lb1EPKfPfPKlPlN2at6native12_GLOBAL__N_18offset_tEEE10hipError_tPvRmT1_PNSt15iterator_traitsISK_E10value_typeET2_T3_PNSL_ISQ_E10value_typeET4_jRbjT5_SW_jjP12ihipStream_tbEUlT_E_NS1_11comp_targetILNS1_3genE5ELNS1_11target_archE942ELNS1_3gpuE9ELNS1_3repE0EEENS1_30default_config_static_selectorELNS0_4arch9wavefront6targetE1EEEvSK_.num_agpr, 0
	.set _ZN7rocprim17ROCPRIM_400000_NS6detail17trampoline_kernelINS0_14default_configENS1_36segmented_radix_sort_config_selectorIflEEZNS1_25segmented_radix_sort_implIS3_Lb1EPKfPfPKlPlN2at6native12_GLOBAL__N_18offset_tEEE10hipError_tPvRmT1_PNSt15iterator_traitsISK_E10value_typeET2_T3_PNSL_ISQ_E10value_typeET4_jRbjT5_SW_jjP12ihipStream_tbEUlT_E_NS1_11comp_targetILNS1_3genE5ELNS1_11target_archE942ELNS1_3gpuE9ELNS1_3repE0EEENS1_30default_config_static_selectorELNS0_4arch9wavefront6targetE1EEEvSK_.numbered_sgpr, 0
	.set _ZN7rocprim17ROCPRIM_400000_NS6detail17trampoline_kernelINS0_14default_configENS1_36segmented_radix_sort_config_selectorIflEEZNS1_25segmented_radix_sort_implIS3_Lb1EPKfPfPKlPlN2at6native12_GLOBAL__N_18offset_tEEE10hipError_tPvRmT1_PNSt15iterator_traitsISK_E10value_typeET2_T3_PNSL_ISQ_E10value_typeET4_jRbjT5_SW_jjP12ihipStream_tbEUlT_E_NS1_11comp_targetILNS1_3genE5ELNS1_11target_archE942ELNS1_3gpuE9ELNS1_3repE0EEENS1_30default_config_static_selectorELNS0_4arch9wavefront6targetE1EEEvSK_.num_named_barrier, 0
	.set _ZN7rocprim17ROCPRIM_400000_NS6detail17trampoline_kernelINS0_14default_configENS1_36segmented_radix_sort_config_selectorIflEEZNS1_25segmented_radix_sort_implIS3_Lb1EPKfPfPKlPlN2at6native12_GLOBAL__N_18offset_tEEE10hipError_tPvRmT1_PNSt15iterator_traitsISK_E10value_typeET2_T3_PNSL_ISQ_E10value_typeET4_jRbjT5_SW_jjP12ihipStream_tbEUlT_E_NS1_11comp_targetILNS1_3genE5ELNS1_11target_archE942ELNS1_3gpuE9ELNS1_3repE0EEENS1_30default_config_static_selectorELNS0_4arch9wavefront6targetE1EEEvSK_.private_seg_size, 0
	.set _ZN7rocprim17ROCPRIM_400000_NS6detail17trampoline_kernelINS0_14default_configENS1_36segmented_radix_sort_config_selectorIflEEZNS1_25segmented_radix_sort_implIS3_Lb1EPKfPfPKlPlN2at6native12_GLOBAL__N_18offset_tEEE10hipError_tPvRmT1_PNSt15iterator_traitsISK_E10value_typeET2_T3_PNSL_ISQ_E10value_typeET4_jRbjT5_SW_jjP12ihipStream_tbEUlT_E_NS1_11comp_targetILNS1_3genE5ELNS1_11target_archE942ELNS1_3gpuE9ELNS1_3repE0EEENS1_30default_config_static_selectorELNS0_4arch9wavefront6targetE1EEEvSK_.uses_vcc, 0
	.set _ZN7rocprim17ROCPRIM_400000_NS6detail17trampoline_kernelINS0_14default_configENS1_36segmented_radix_sort_config_selectorIflEEZNS1_25segmented_radix_sort_implIS3_Lb1EPKfPfPKlPlN2at6native12_GLOBAL__N_18offset_tEEE10hipError_tPvRmT1_PNSt15iterator_traitsISK_E10value_typeET2_T3_PNSL_ISQ_E10value_typeET4_jRbjT5_SW_jjP12ihipStream_tbEUlT_E_NS1_11comp_targetILNS1_3genE5ELNS1_11target_archE942ELNS1_3gpuE9ELNS1_3repE0EEENS1_30default_config_static_selectorELNS0_4arch9wavefront6targetE1EEEvSK_.uses_flat_scratch, 0
	.set _ZN7rocprim17ROCPRIM_400000_NS6detail17trampoline_kernelINS0_14default_configENS1_36segmented_radix_sort_config_selectorIflEEZNS1_25segmented_radix_sort_implIS3_Lb1EPKfPfPKlPlN2at6native12_GLOBAL__N_18offset_tEEE10hipError_tPvRmT1_PNSt15iterator_traitsISK_E10value_typeET2_T3_PNSL_ISQ_E10value_typeET4_jRbjT5_SW_jjP12ihipStream_tbEUlT_E_NS1_11comp_targetILNS1_3genE5ELNS1_11target_archE942ELNS1_3gpuE9ELNS1_3repE0EEENS1_30default_config_static_selectorELNS0_4arch9wavefront6targetE1EEEvSK_.has_dyn_sized_stack, 0
	.set _ZN7rocprim17ROCPRIM_400000_NS6detail17trampoline_kernelINS0_14default_configENS1_36segmented_radix_sort_config_selectorIflEEZNS1_25segmented_radix_sort_implIS3_Lb1EPKfPfPKlPlN2at6native12_GLOBAL__N_18offset_tEEE10hipError_tPvRmT1_PNSt15iterator_traitsISK_E10value_typeET2_T3_PNSL_ISQ_E10value_typeET4_jRbjT5_SW_jjP12ihipStream_tbEUlT_E_NS1_11comp_targetILNS1_3genE5ELNS1_11target_archE942ELNS1_3gpuE9ELNS1_3repE0EEENS1_30default_config_static_selectorELNS0_4arch9wavefront6targetE1EEEvSK_.has_recursion, 0
	.set _ZN7rocprim17ROCPRIM_400000_NS6detail17trampoline_kernelINS0_14default_configENS1_36segmented_radix_sort_config_selectorIflEEZNS1_25segmented_radix_sort_implIS3_Lb1EPKfPfPKlPlN2at6native12_GLOBAL__N_18offset_tEEE10hipError_tPvRmT1_PNSt15iterator_traitsISK_E10value_typeET2_T3_PNSL_ISQ_E10value_typeET4_jRbjT5_SW_jjP12ihipStream_tbEUlT_E_NS1_11comp_targetILNS1_3genE5ELNS1_11target_archE942ELNS1_3gpuE9ELNS1_3repE0EEENS1_30default_config_static_selectorELNS0_4arch9wavefront6targetE1EEEvSK_.has_indirect_call, 0
	.section	.AMDGPU.csdata,"",@progbits
; Kernel info:
; codeLenInByte = 0
; TotalNumSgprs: 4
; NumVgprs: 0
; ScratchSize: 0
; MemoryBound: 0
; FloatMode: 240
; IeeeMode: 1
; LDSByteSize: 0 bytes/workgroup (compile time only)
; SGPRBlocks: 0
; VGPRBlocks: 0
; NumSGPRsForWavesPerEU: 4
; NumVGPRsForWavesPerEU: 1
; Occupancy: 10
; WaveLimiterHint : 0
; COMPUTE_PGM_RSRC2:SCRATCH_EN: 0
; COMPUTE_PGM_RSRC2:USER_SGPR: 6
; COMPUTE_PGM_RSRC2:TRAP_HANDLER: 0
; COMPUTE_PGM_RSRC2:TGID_X_EN: 1
; COMPUTE_PGM_RSRC2:TGID_Y_EN: 0
; COMPUTE_PGM_RSRC2:TGID_Z_EN: 0
; COMPUTE_PGM_RSRC2:TIDIG_COMP_CNT: 0
	.section	.text._ZN7rocprim17ROCPRIM_400000_NS6detail17trampoline_kernelINS0_14default_configENS1_36segmented_radix_sort_config_selectorIflEEZNS1_25segmented_radix_sort_implIS3_Lb1EPKfPfPKlPlN2at6native12_GLOBAL__N_18offset_tEEE10hipError_tPvRmT1_PNSt15iterator_traitsISK_E10value_typeET2_T3_PNSL_ISQ_E10value_typeET4_jRbjT5_SW_jjP12ihipStream_tbEUlT_E_NS1_11comp_targetILNS1_3genE4ELNS1_11target_archE910ELNS1_3gpuE8ELNS1_3repE0EEENS1_30default_config_static_selectorELNS0_4arch9wavefront6targetE1EEEvSK_,"axG",@progbits,_ZN7rocprim17ROCPRIM_400000_NS6detail17trampoline_kernelINS0_14default_configENS1_36segmented_radix_sort_config_selectorIflEEZNS1_25segmented_radix_sort_implIS3_Lb1EPKfPfPKlPlN2at6native12_GLOBAL__N_18offset_tEEE10hipError_tPvRmT1_PNSt15iterator_traitsISK_E10value_typeET2_T3_PNSL_ISQ_E10value_typeET4_jRbjT5_SW_jjP12ihipStream_tbEUlT_E_NS1_11comp_targetILNS1_3genE4ELNS1_11target_archE910ELNS1_3gpuE8ELNS1_3repE0EEENS1_30default_config_static_selectorELNS0_4arch9wavefront6targetE1EEEvSK_,comdat
	.globl	_ZN7rocprim17ROCPRIM_400000_NS6detail17trampoline_kernelINS0_14default_configENS1_36segmented_radix_sort_config_selectorIflEEZNS1_25segmented_radix_sort_implIS3_Lb1EPKfPfPKlPlN2at6native12_GLOBAL__N_18offset_tEEE10hipError_tPvRmT1_PNSt15iterator_traitsISK_E10value_typeET2_T3_PNSL_ISQ_E10value_typeET4_jRbjT5_SW_jjP12ihipStream_tbEUlT_E_NS1_11comp_targetILNS1_3genE4ELNS1_11target_archE910ELNS1_3gpuE8ELNS1_3repE0EEENS1_30default_config_static_selectorELNS0_4arch9wavefront6targetE1EEEvSK_ ; -- Begin function _ZN7rocprim17ROCPRIM_400000_NS6detail17trampoline_kernelINS0_14default_configENS1_36segmented_radix_sort_config_selectorIflEEZNS1_25segmented_radix_sort_implIS3_Lb1EPKfPfPKlPlN2at6native12_GLOBAL__N_18offset_tEEE10hipError_tPvRmT1_PNSt15iterator_traitsISK_E10value_typeET2_T3_PNSL_ISQ_E10value_typeET4_jRbjT5_SW_jjP12ihipStream_tbEUlT_E_NS1_11comp_targetILNS1_3genE4ELNS1_11target_archE910ELNS1_3gpuE8ELNS1_3repE0EEENS1_30default_config_static_selectorELNS0_4arch9wavefront6targetE1EEEvSK_
	.p2align	8
	.type	_ZN7rocprim17ROCPRIM_400000_NS6detail17trampoline_kernelINS0_14default_configENS1_36segmented_radix_sort_config_selectorIflEEZNS1_25segmented_radix_sort_implIS3_Lb1EPKfPfPKlPlN2at6native12_GLOBAL__N_18offset_tEEE10hipError_tPvRmT1_PNSt15iterator_traitsISK_E10value_typeET2_T3_PNSL_ISQ_E10value_typeET4_jRbjT5_SW_jjP12ihipStream_tbEUlT_E_NS1_11comp_targetILNS1_3genE4ELNS1_11target_archE910ELNS1_3gpuE8ELNS1_3repE0EEENS1_30default_config_static_selectorELNS0_4arch9wavefront6targetE1EEEvSK_,@function
_ZN7rocprim17ROCPRIM_400000_NS6detail17trampoline_kernelINS0_14default_configENS1_36segmented_radix_sort_config_selectorIflEEZNS1_25segmented_radix_sort_implIS3_Lb1EPKfPfPKlPlN2at6native12_GLOBAL__N_18offset_tEEE10hipError_tPvRmT1_PNSt15iterator_traitsISK_E10value_typeET2_T3_PNSL_ISQ_E10value_typeET4_jRbjT5_SW_jjP12ihipStream_tbEUlT_E_NS1_11comp_targetILNS1_3genE4ELNS1_11target_archE910ELNS1_3gpuE8ELNS1_3repE0EEENS1_30default_config_static_selectorELNS0_4arch9wavefront6targetE1EEEvSK_: ; @_ZN7rocprim17ROCPRIM_400000_NS6detail17trampoline_kernelINS0_14default_configENS1_36segmented_radix_sort_config_selectorIflEEZNS1_25segmented_radix_sort_implIS3_Lb1EPKfPfPKlPlN2at6native12_GLOBAL__N_18offset_tEEE10hipError_tPvRmT1_PNSt15iterator_traitsISK_E10value_typeET2_T3_PNSL_ISQ_E10value_typeET4_jRbjT5_SW_jjP12ihipStream_tbEUlT_E_NS1_11comp_targetILNS1_3genE4ELNS1_11target_archE910ELNS1_3gpuE8ELNS1_3repE0EEENS1_30default_config_static_selectorELNS0_4arch9wavefront6targetE1EEEvSK_
; %bb.0:
	.section	.rodata,"a",@progbits
	.p2align	6, 0x0
	.amdhsa_kernel _ZN7rocprim17ROCPRIM_400000_NS6detail17trampoline_kernelINS0_14default_configENS1_36segmented_radix_sort_config_selectorIflEEZNS1_25segmented_radix_sort_implIS3_Lb1EPKfPfPKlPlN2at6native12_GLOBAL__N_18offset_tEEE10hipError_tPvRmT1_PNSt15iterator_traitsISK_E10value_typeET2_T3_PNSL_ISQ_E10value_typeET4_jRbjT5_SW_jjP12ihipStream_tbEUlT_E_NS1_11comp_targetILNS1_3genE4ELNS1_11target_archE910ELNS1_3gpuE8ELNS1_3repE0EEENS1_30default_config_static_selectorELNS0_4arch9wavefront6targetE1EEEvSK_
		.amdhsa_group_segment_fixed_size 0
		.amdhsa_private_segment_fixed_size 0
		.amdhsa_kernarg_size 96
		.amdhsa_user_sgpr_count 6
		.amdhsa_user_sgpr_private_segment_buffer 1
		.amdhsa_user_sgpr_dispatch_ptr 0
		.amdhsa_user_sgpr_queue_ptr 0
		.amdhsa_user_sgpr_kernarg_segment_ptr 1
		.amdhsa_user_sgpr_dispatch_id 0
		.amdhsa_user_sgpr_flat_scratch_init 0
		.amdhsa_user_sgpr_private_segment_size 0
		.amdhsa_uses_dynamic_stack 0
		.amdhsa_system_sgpr_private_segment_wavefront_offset 0
		.amdhsa_system_sgpr_workgroup_id_x 1
		.amdhsa_system_sgpr_workgroup_id_y 0
		.amdhsa_system_sgpr_workgroup_id_z 0
		.amdhsa_system_sgpr_workgroup_info 0
		.amdhsa_system_vgpr_workitem_id 0
		.amdhsa_next_free_vgpr 1
		.amdhsa_next_free_sgpr 0
		.amdhsa_reserve_vcc 0
		.amdhsa_reserve_flat_scratch 0
		.amdhsa_float_round_mode_32 0
		.amdhsa_float_round_mode_16_64 0
		.amdhsa_float_denorm_mode_32 3
		.amdhsa_float_denorm_mode_16_64 3
		.amdhsa_dx10_clamp 1
		.amdhsa_ieee_mode 1
		.amdhsa_fp16_overflow 0
		.amdhsa_exception_fp_ieee_invalid_op 0
		.amdhsa_exception_fp_denorm_src 0
		.amdhsa_exception_fp_ieee_div_zero 0
		.amdhsa_exception_fp_ieee_overflow 0
		.amdhsa_exception_fp_ieee_underflow 0
		.amdhsa_exception_fp_ieee_inexact 0
		.amdhsa_exception_int_div_zero 0
	.end_amdhsa_kernel
	.section	.text._ZN7rocprim17ROCPRIM_400000_NS6detail17trampoline_kernelINS0_14default_configENS1_36segmented_radix_sort_config_selectorIflEEZNS1_25segmented_radix_sort_implIS3_Lb1EPKfPfPKlPlN2at6native12_GLOBAL__N_18offset_tEEE10hipError_tPvRmT1_PNSt15iterator_traitsISK_E10value_typeET2_T3_PNSL_ISQ_E10value_typeET4_jRbjT5_SW_jjP12ihipStream_tbEUlT_E_NS1_11comp_targetILNS1_3genE4ELNS1_11target_archE910ELNS1_3gpuE8ELNS1_3repE0EEENS1_30default_config_static_selectorELNS0_4arch9wavefront6targetE1EEEvSK_,"axG",@progbits,_ZN7rocprim17ROCPRIM_400000_NS6detail17trampoline_kernelINS0_14default_configENS1_36segmented_radix_sort_config_selectorIflEEZNS1_25segmented_radix_sort_implIS3_Lb1EPKfPfPKlPlN2at6native12_GLOBAL__N_18offset_tEEE10hipError_tPvRmT1_PNSt15iterator_traitsISK_E10value_typeET2_T3_PNSL_ISQ_E10value_typeET4_jRbjT5_SW_jjP12ihipStream_tbEUlT_E_NS1_11comp_targetILNS1_3genE4ELNS1_11target_archE910ELNS1_3gpuE8ELNS1_3repE0EEENS1_30default_config_static_selectorELNS0_4arch9wavefront6targetE1EEEvSK_,comdat
.Lfunc_end1327:
	.size	_ZN7rocprim17ROCPRIM_400000_NS6detail17trampoline_kernelINS0_14default_configENS1_36segmented_radix_sort_config_selectorIflEEZNS1_25segmented_radix_sort_implIS3_Lb1EPKfPfPKlPlN2at6native12_GLOBAL__N_18offset_tEEE10hipError_tPvRmT1_PNSt15iterator_traitsISK_E10value_typeET2_T3_PNSL_ISQ_E10value_typeET4_jRbjT5_SW_jjP12ihipStream_tbEUlT_E_NS1_11comp_targetILNS1_3genE4ELNS1_11target_archE910ELNS1_3gpuE8ELNS1_3repE0EEENS1_30default_config_static_selectorELNS0_4arch9wavefront6targetE1EEEvSK_, .Lfunc_end1327-_ZN7rocprim17ROCPRIM_400000_NS6detail17trampoline_kernelINS0_14default_configENS1_36segmented_radix_sort_config_selectorIflEEZNS1_25segmented_radix_sort_implIS3_Lb1EPKfPfPKlPlN2at6native12_GLOBAL__N_18offset_tEEE10hipError_tPvRmT1_PNSt15iterator_traitsISK_E10value_typeET2_T3_PNSL_ISQ_E10value_typeET4_jRbjT5_SW_jjP12ihipStream_tbEUlT_E_NS1_11comp_targetILNS1_3genE4ELNS1_11target_archE910ELNS1_3gpuE8ELNS1_3repE0EEENS1_30default_config_static_selectorELNS0_4arch9wavefront6targetE1EEEvSK_
                                        ; -- End function
	.set _ZN7rocprim17ROCPRIM_400000_NS6detail17trampoline_kernelINS0_14default_configENS1_36segmented_radix_sort_config_selectorIflEEZNS1_25segmented_radix_sort_implIS3_Lb1EPKfPfPKlPlN2at6native12_GLOBAL__N_18offset_tEEE10hipError_tPvRmT1_PNSt15iterator_traitsISK_E10value_typeET2_T3_PNSL_ISQ_E10value_typeET4_jRbjT5_SW_jjP12ihipStream_tbEUlT_E_NS1_11comp_targetILNS1_3genE4ELNS1_11target_archE910ELNS1_3gpuE8ELNS1_3repE0EEENS1_30default_config_static_selectorELNS0_4arch9wavefront6targetE1EEEvSK_.num_vgpr, 0
	.set _ZN7rocprim17ROCPRIM_400000_NS6detail17trampoline_kernelINS0_14default_configENS1_36segmented_radix_sort_config_selectorIflEEZNS1_25segmented_radix_sort_implIS3_Lb1EPKfPfPKlPlN2at6native12_GLOBAL__N_18offset_tEEE10hipError_tPvRmT1_PNSt15iterator_traitsISK_E10value_typeET2_T3_PNSL_ISQ_E10value_typeET4_jRbjT5_SW_jjP12ihipStream_tbEUlT_E_NS1_11comp_targetILNS1_3genE4ELNS1_11target_archE910ELNS1_3gpuE8ELNS1_3repE0EEENS1_30default_config_static_selectorELNS0_4arch9wavefront6targetE1EEEvSK_.num_agpr, 0
	.set _ZN7rocprim17ROCPRIM_400000_NS6detail17trampoline_kernelINS0_14default_configENS1_36segmented_radix_sort_config_selectorIflEEZNS1_25segmented_radix_sort_implIS3_Lb1EPKfPfPKlPlN2at6native12_GLOBAL__N_18offset_tEEE10hipError_tPvRmT1_PNSt15iterator_traitsISK_E10value_typeET2_T3_PNSL_ISQ_E10value_typeET4_jRbjT5_SW_jjP12ihipStream_tbEUlT_E_NS1_11comp_targetILNS1_3genE4ELNS1_11target_archE910ELNS1_3gpuE8ELNS1_3repE0EEENS1_30default_config_static_selectorELNS0_4arch9wavefront6targetE1EEEvSK_.numbered_sgpr, 0
	.set _ZN7rocprim17ROCPRIM_400000_NS6detail17trampoline_kernelINS0_14default_configENS1_36segmented_radix_sort_config_selectorIflEEZNS1_25segmented_radix_sort_implIS3_Lb1EPKfPfPKlPlN2at6native12_GLOBAL__N_18offset_tEEE10hipError_tPvRmT1_PNSt15iterator_traitsISK_E10value_typeET2_T3_PNSL_ISQ_E10value_typeET4_jRbjT5_SW_jjP12ihipStream_tbEUlT_E_NS1_11comp_targetILNS1_3genE4ELNS1_11target_archE910ELNS1_3gpuE8ELNS1_3repE0EEENS1_30default_config_static_selectorELNS0_4arch9wavefront6targetE1EEEvSK_.num_named_barrier, 0
	.set _ZN7rocprim17ROCPRIM_400000_NS6detail17trampoline_kernelINS0_14default_configENS1_36segmented_radix_sort_config_selectorIflEEZNS1_25segmented_radix_sort_implIS3_Lb1EPKfPfPKlPlN2at6native12_GLOBAL__N_18offset_tEEE10hipError_tPvRmT1_PNSt15iterator_traitsISK_E10value_typeET2_T3_PNSL_ISQ_E10value_typeET4_jRbjT5_SW_jjP12ihipStream_tbEUlT_E_NS1_11comp_targetILNS1_3genE4ELNS1_11target_archE910ELNS1_3gpuE8ELNS1_3repE0EEENS1_30default_config_static_selectorELNS0_4arch9wavefront6targetE1EEEvSK_.private_seg_size, 0
	.set _ZN7rocprim17ROCPRIM_400000_NS6detail17trampoline_kernelINS0_14default_configENS1_36segmented_radix_sort_config_selectorIflEEZNS1_25segmented_radix_sort_implIS3_Lb1EPKfPfPKlPlN2at6native12_GLOBAL__N_18offset_tEEE10hipError_tPvRmT1_PNSt15iterator_traitsISK_E10value_typeET2_T3_PNSL_ISQ_E10value_typeET4_jRbjT5_SW_jjP12ihipStream_tbEUlT_E_NS1_11comp_targetILNS1_3genE4ELNS1_11target_archE910ELNS1_3gpuE8ELNS1_3repE0EEENS1_30default_config_static_selectorELNS0_4arch9wavefront6targetE1EEEvSK_.uses_vcc, 0
	.set _ZN7rocprim17ROCPRIM_400000_NS6detail17trampoline_kernelINS0_14default_configENS1_36segmented_radix_sort_config_selectorIflEEZNS1_25segmented_radix_sort_implIS3_Lb1EPKfPfPKlPlN2at6native12_GLOBAL__N_18offset_tEEE10hipError_tPvRmT1_PNSt15iterator_traitsISK_E10value_typeET2_T3_PNSL_ISQ_E10value_typeET4_jRbjT5_SW_jjP12ihipStream_tbEUlT_E_NS1_11comp_targetILNS1_3genE4ELNS1_11target_archE910ELNS1_3gpuE8ELNS1_3repE0EEENS1_30default_config_static_selectorELNS0_4arch9wavefront6targetE1EEEvSK_.uses_flat_scratch, 0
	.set _ZN7rocprim17ROCPRIM_400000_NS6detail17trampoline_kernelINS0_14default_configENS1_36segmented_radix_sort_config_selectorIflEEZNS1_25segmented_radix_sort_implIS3_Lb1EPKfPfPKlPlN2at6native12_GLOBAL__N_18offset_tEEE10hipError_tPvRmT1_PNSt15iterator_traitsISK_E10value_typeET2_T3_PNSL_ISQ_E10value_typeET4_jRbjT5_SW_jjP12ihipStream_tbEUlT_E_NS1_11comp_targetILNS1_3genE4ELNS1_11target_archE910ELNS1_3gpuE8ELNS1_3repE0EEENS1_30default_config_static_selectorELNS0_4arch9wavefront6targetE1EEEvSK_.has_dyn_sized_stack, 0
	.set _ZN7rocprim17ROCPRIM_400000_NS6detail17trampoline_kernelINS0_14default_configENS1_36segmented_radix_sort_config_selectorIflEEZNS1_25segmented_radix_sort_implIS3_Lb1EPKfPfPKlPlN2at6native12_GLOBAL__N_18offset_tEEE10hipError_tPvRmT1_PNSt15iterator_traitsISK_E10value_typeET2_T3_PNSL_ISQ_E10value_typeET4_jRbjT5_SW_jjP12ihipStream_tbEUlT_E_NS1_11comp_targetILNS1_3genE4ELNS1_11target_archE910ELNS1_3gpuE8ELNS1_3repE0EEENS1_30default_config_static_selectorELNS0_4arch9wavefront6targetE1EEEvSK_.has_recursion, 0
	.set _ZN7rocprim17ROCPRIM_400000_NS6detail17trampoline_kernelINS0_14default_configENS1_36segmented_radix_sort_config_selectorIflEEZNS1_25segmented_radix_sort_implIS3_Lb1EPKfPfPKlPlN2at6native12_GLOBAL__N_18offset_tEEE10hipError_tPvRmT1_PNSt15iterator_traitsISK_E10value_typeET2_T3_PNSL_ISQ_E10value_typeET4_jRbjT5_SW_jjP12ihipStream_tbEUlT_E_NS1_11comp_targetILNS1_3genE4ELNS1_11target_archE910ELNS1_3gpuE8ELNS1_3repE0EEENS1_30default_config_static_selectorELNS0_4arch9wavefront6targetE1EEEvSK_.has_indirect_call, 0
	.section	.AMDGPU.csdata,"",@progbits
; Kernel info:
; codeLenInByte = 0
; TotalNumSgprs: 4
; NumVgprs: 0
; ScratchSize: 0
; MemoryBound: 0
; FloatMode: 240
; IeeeMode: 1
; LDSByteSize: 0 bytes/workgroup (compile time only)
; SGPRBlocks: 0
; VGPRBlocks: 0
; NumSGPRsForWavesPerEU: 4
; NumVGPRsForWavesPerEU: 1
; Occupancy: 10
; WaveLimiterHint : 0
; COMPUTE_PGM_RSRC2:SCRATCH_EN: 0
; COMPUTE_PGM_RSRC2:USER_SGPR: 6
; COMPUTE_PGM_RSRC2:TRAP_HANDLER: 0
; COMPUTE_PGM_RSRC2:TGID_X_EN: 1
; COMPUTE_PGM_RSRC2:TGID_Y_EN: 0
; COMPUTE_PGM_RSRC2:TGID_Z_EN: 0
; COMPUTE_PGM_RSRC2:TIDIG_COMP_CNT: 0
	.section	.text._ZN7rocprim17ROCPRIM_400000_NS6detail17trampoline_kernelINS0_14default_configENS1_36segmented_radix_sort_config_selectorIflEEZNS1_25segmented_radix_sort_implIS3_Lb1EPKfPfPKlPlN2at6native12_GLOBAL__N_18offset_tEEE10hipError_tPvRmT1_PNSt15iterator_traitsISK_E10value_typeET2_T3_PNSL_ISQ_E10value_typeET4_jRbjT5_SW_jjP12ihipStream_tbEUlT_E_NS1_11comp_targetILNS1_3genE3ELNS1_11target_archE908ELNS1_3gpuE7ELNS1_3repE0EEENS1_30default_config_static_selectorELNS0_4arch9wavefront6targetE1EEEvSK_,"axG",@progbits,_ZN7rocprim17ROCPRIM_400000_NS6detail17trampoline_kernelINS0_14default_configENS1_36segmented_radix_sort_config_selectorIflEEZNS1_25segmented_radix_sort_implIS3_Lb1EPKfPfPKlPlN2at6native12_GLOBAL__N_18offset_tEEE10hipError_tPvRmT1_PNSt15iterator_traitsISK_E10value_typeET2_T3_PNSL_ISQ_E10value_typeET4_jRbjT5_SW_jjP12ihipStream_tbEUlT_E_NS1_11comp_targetILNS1_3genE3ELNS1_11target_archE908ELNS1_3gpuE7ELNS1_3repE0EEENS1_30default_config_static_selectorELNS0_4arch9wavefront6targetE1EEEvSK_,comdat
	.globl	_ZN7rocprim17ROCPRIM_400000_NS6detail17trampoline_kernelINS0_14default_configENS1_36segmented_radix_sort_config_selectorIflEEZNS1_25segmented_radix_sort_implIS3_Lb1EPKfPfPKlPlN2at6native12_GLOBAL__N_18offset_tEEE10hipError_tPvRmT1_PNSt15iterator_traitsISK_E10value_typeET2_T3_PNSL_ISQ_E10value_typeET4_jRbjT5_SW_jjP12ihipStream_tbEUlT_E_NS1_11comp_targetILNS1_3genE3ELNS1_11target_archE908ELNS1_3gpuE7ELNS1_3repE0EEENS1_30default_config_static_selectorELNS0_4arch9wavefront6targetE1EEEvSK_ ; -- Begin function _ZN7rocprim17ROCPRIM_400000_NS6detail17trampoline_kernelINS0_14default_configENS1_36segmented_radix_sort_config_selectorIflEEZNS1_25segmented_radix_sort_implIS3_Lb1EPKfPfPKlPlN2at6native12_GLOBAL__N_18offset_tEEE10hipError_tPvRmT1_PNSt15iterator_traitsISK_E10value_typeET2_T3_PNSL_ISQ_E10value_typeET4_jRbjT5_SW_jjP12ihipStream_tbEUlT_E_NS1_11comp_targetILNS1_3genE3ELNS1_11target_archE908ELNS1_3gpuE7ELNS1_3repE0EEENS1_30default_config_static_selectorELNS0_4arch9wavefront6targetE1EEEvSK_
	.p2align	8
	.type	_ZN7rocprim17ROCPRIM_400000_NS6detail17trampoline_kernelINS0_14default_configENS1_36segmented_radix_sort_config_selectorIflEEZNS1_25segmented_radix_sort_implIS3_Lb1EPKfPfPKlPlN2at6native12_GLOBAL__N_18offset_tEEE10hipError_tPvRmT1_PNSt15iterator_traitsISK_E10value_typeET2_T3_PNSL_ISQ_E10value_typeET4_jRbjT5_SW_jjP12ihipStream_tbEUlT_E_NS1_11comp_targetILNS1_3genE3ELNS1_11target_archE908ELNS1_3gpuE7ELNS1_3repE0EEENS1_30default_config_static_selectorELNS0_4arch9wavefront6targetE1EEEvSK_,@function
_ZN7rocprim17ROCPRIM_400000_NS6detail17trampoline_kernelINS0_14default_configENS1_36segmented_radix_sort_config_selectorIflEEZNS1_25segmented_radix_sort_implIS3_Lb1EPKfPfPKlPlN2at6native12_GLOBAL__N_18offset_tEEE10hipError_tPvRmT1_PNSt15iterator_traitsISK_E10value_typeET2_T3_PNSL_ISQ_E10value_typeET4_jRbjT5_SW_jjP12ihipStream_tbEUlT_E_NS1_11comp_targetILNS1_3genE3ELNS1_11target_archE908ELNS1_3gpuE7ELNS1_3repE0EEENS1_30default_config_static_selectorELNS0_4arch9wavefront6targetE1EEEvSK_: ; @_ZN7rocprim17ROCPRIM_400000_NS6detail17trampoline_kernelINS0_14default_configENS1_36segmented_radix_sort_config_selectorIflEEZNS1_25segmented_radix_sort_implIS3_Lb1EPKfPfPKlPlN2at6native12_GLOBAL__N_18offset_tEEE10hipError_tPvRmT1_PNSt15iterator_traitsISK_E10value_typeET2_T3_PNSL_ISQ_E10value_typeET4_jRbjT5_SW_jjP12ihipStream_tbEUlT_E_NS1_11comp_targetILNS1_3genE3ELNS1_11target_archE908ELNS1_3gpuE7ELNS1_3repE0EEENS1_30default_config_static_selectorELNS0_4arch9wavefront6targetE1EEEvSK_
; %bb.0:
	.section	.rodata,"a",@progbits
	.p2align	6, 0x0
	.amdhsa_kernel _ZN7rocprim17ROCPRIM_400000_NS6detail17trampoline_kernelINS0_14default_configENS1_36segmented_radix_sort_config_selectorIflEEZNS1_25segmented_radix_sort_implIS3_Lb1EPKfPfPKlPlN2at6native12_GLOBAL__N_18offset_tEEE10hipError_tPvRmT1_PNSt15iterator_traitsISK_E10value_typeET2_T3_PNSL_ISQ_E10value_typeET4_jRbjT5_SW_jjP12ihipStream_tbEUlT_E_NS1_11comp_targetILNS1_3genE3ELNS1_11target_archE908ELNS1_3gpuE7ELNS1_3repE0EEENS1_30default_config_static_selectorELNS0_4arch9wavefront6targetE1EEEvSK_
		.amdhsa_group_segment_fixed_size 0
		.amdhsa_private_segment_fixed_size 0
		.amdhsa_kernarg_size 96
		.amdhsa_user_sgpr_count 6
		.amdhsa_user_sgpr_private_segment_buffer 1
		.amdhsa_user_sgpr_dispatch_ptr 0
		.amdhsa_user_sgpr_queue_ptr 0
		.amdhsa_user_sgpr_kernarg_segment_ptr 1
		.amdhsa_user_sgpr_dispatch_id 0
		.amdhsa_user_sgpr_flat_scratch_init 0
		.amdhsa_user_sgpr_private_segment_size 0
		.amdhsa_uses_dynamic_stack 0
		.amdhsa_system_sgpr_private_segment_wavefront_offset 0
		.amdhsa_system_sgpr_workgroup_id_x 1
		.amdhsa_system_sgpr_workgroup_id_y 0
		.amdhsa_system_sgpr_workgroup_id_z 0
		.amdhsa_system_sgpr_workgroup_info 0
		.amdhsa_system_vgpr_workitem_id 0
		.amdhsa_next_free_vgpr 1
		.amdhsa_next_free_sgpr 0
		.amdhsa_reserve_vcc 0
		.amdhsa_reserve_flat_scratch 0
		.amdhsa_float_round_mode_32 0
		.amdhsa_float_round_mode_16_64 0
		.amdhsa_float_denorm_mode_32 3
		.amdhsa_float_denorm_mode_16_64 3
		.amdhsa_dx10_clamp 1
		.amdhsa_ieee_mode 1
		.amdhsa_fp16_overflow 0
		.amdhsa_exception_fp_ieee_invalid_op 0
		.amdhsa_exception_fp_denorm_src 0
		.amdhsa_exception_fp_ieee_div_zero 0
		.amdhsa_exception_fp_ieee_overflow 0
		.amdhsa_exception_fp_ieee_underflow 0
		.amdhsa_exception_fp_ieee_inexact 0
		.amdhsa_exception_int_div_zero 0
	.end_amdhsa_kernel
	.section	.text._ZN7rocprim17ROCPRIM_400000_NS6detail17trampoline_kernelINS0_14default_configENS1_36segmented_radix_sort_config_selectorIflEEZNS1_25segmented_radix_sort_implIS3_Lb1EPKfPfPKlPlN2at6native12_GLOBAL__N_18offset_tEEE10hipError_tPvRmT1_PNSt15iterator_traitsISK_E10value_typeET2_T3_PNSL_ISQ_E10value_typeET4_jRbjT5_SW_jjP12ihipStream_tbEUlT_E_NS1_11comp_targetILNS1_3genE3ELNS1_11target_archE908ELNS1_3gpuE7ELNS1_3repE0EEENS1_30default_config_static_selectorELNS0_4arch9wavefront6targetE1EEEvSK_,"axG",@progbits,_ZN7rocprim17ROCPRIM_400000_NS6detail17trampoline_kernelINS0_14default_configENS1_36segmented_radix_sort_config_selectorIflEEZNS1_25segmented_radix_sort_implIS3_Lb1EPKfPfPKlPlN2at6native12_GLOBAL__N_18offset_tEEE10hipError_tPvRmT1_PNSt15iterator_traitsISK_E10value_typeET2_T3_PNSL_ISQ_E10value_typeET4_jRbjT5_SW_jjP12ihipStream_tbEUlT_E_NS1_11comp_targetILNS1_3genE3ELNS1_11target_archE908ELNS1_3gpuE7ELNS1_3repE0EEENS1_30default_config_static_selectorELNS0_4arch9wavefront6targetE1EEEvSK_,comdat
.Lfunc_end1328:
	.size	_ZN7rocprim17ROCPRIM_400000_NS6detail17trampoline_kernelINS0_14default_configENS1_36segmented_radix_sort_config_selectorIflEEZNS1_25segmented_radix_sort_implIS3_Lb1EPKfPfPKlPlN2at6native12_GLOBAL__N_18offset_tEEE10hipError_tPvRmT1_PNSt15iterator_traitsISK_E10value_typeET2_T3_PNSL_ISQ_E10value_typeET4_jRbjT5_SW_jjP12ihipStream_tbEUlT_E_NS1_11comp_targetILNS1_3genE3ELNS1_11target_archE908ELNS1_3gpuE7ELNS1_3repE0EEENS1_30default_config_static_selectorELNS0_4arch9wavefront6targetE1EEEvSK_, .Lfunc_end1328-_ZN7rocprim17ROCPRIM_400000_NS6detail17trampoline_kernelINS0_14default_configENS1_36segmented_radix_sort_config_selectorIflEEZNS1_25segmented_radix_sort_implIS3_Lb1EPKfPfPKlPlN2at6native12_GLOBAL__N_18offset_tEEE10hipError_tPvRmT1_PNSt15iterator_traitsISK_E10value_typeET2_T3_PNSL_ISQ_E10value_typeET4_jRbjT5_SW_jjP12ihipStream_tbEUlT_E_NS1_11comp_targetILNS1_3genE3ELNS1_11target_archE908ELNS1_3gpuE7ELNS1_3repE0EEENS1_30default_config_static_selectorELNS0_4arch9wavefront6targetE1EEEvSK_
                                        ; -- End function
	.set _ZN7rocprim17ROCPRIM_400000_NS6detail17trampoline_kernelINS0_14default_configENS1_36segmented_radix_sort_config_selectorIflEEZNS1_25segmented_radix_sort_implIS3_Lb1EPKfPfPKlPlN2at6native12_GLOBAL__N_18offset_tEEE10hipError_tPvRmT1_PNSt15iterator_traitsISK_E10value_typeET2_T3_PNSL_ISQ_E10value_typeET4_jRbjT5_SW_jjP12ihipStream_tbEUlT_E_NS1_11comp_targetILNS1_3genE3ELNS1_11target_archE908ELNS1_3gpuE7ELNS1_3repE0EEENS1_30default_config_static_selectorELNS0_4arch9wavefront6targetE1EEEvSK_.num_vgpr, 0
	.set _ZN7rocprim17ROCPRIM_400000_NS6detail17trampoline_kernelINS0_14default_configENS1_36segmented_radix_sort_config_selectorIflEEZNS1_25segmented_radix_sort_implIS3_Lb1EPKfPfPKlPlN2at6native12_GLOBAL__N_18offset_tEEE10hipError_tPvRmT1_PNSt15iterator_traitsISK_E10value_typeET2_T3_PNSL_ISQ_E10value_typeET4_jRbjT5_SW_jjP12ihipStream_tbEUlT_E_NS1_11comp_targetILNS1_3genE3ELNS1_11target_archE908ELNS1_3gpuE7ELNS1_3repE0EEENS1_30default_config_static_selectorELNS0_4arch9wavefront6targetE1EEEvSK_.num_agpr, 0
	.set _ZN7rocprim17ROCPRIM_400000_NS6detail17trampoline_kernelINS0_14default_configENS1_36segmented_radix_sort_config_selectorIflEEZNS1_25segmented_radix_sort_implIS3_Lb1EPKfPfPKlPlN2at6native12_GLOBAL__N_18offset_tEEE10hipError_tPvRmT1_PNSt15iterator_traitsISK_E10value_typeET2_T3_PNSL_ISQ_E10value_typeET4_jRbjT5_SW_jjP12ihipStream_tbEUlT_E_NS1_11comp_targetILNS1_3genE3ELNS1_11target_archE908ELNS1_3gpuE7ELNS1_3repE0EEENS1_30default_config_static_selectorELNS0_4arch9wavefront6targetE1EEEvSK_.numbered_sgpr, 0
	.set _ZN7rocprim17ROCPRIM_400000_NS6detail17trampoline_kernelINS0_14default_configENS1_36segmented_radix_sort_config_selectorIflEEZNS1_25segmented_radix_sort_implIS3_Lb1EPKfPfPKlPlN2at6native12_GLOBAL__N_18offset_tEEE10hipError_tPvRmT1_PNSt15iterator_traitsISK_E10value_typeET2_T3_PNSL_ISQ_E10value_typeET4_jRbjT5_SW_jjP12ihipStream_tbEUlT_E_NS1_11comp_targetILNS1_3genE3ELNS1_11target_archE908ELNS1_3gpuE7ELNS1_3repE0EEENS1_30default_config_static_selectorELNS0_4arch9wavefront6targetE1EEEvSK_.num_named_barrier, 0
	.set _ZN7rocprim17ROCPRIM_400000_NS6detail17trampoline_kernelINS0_14default_configENS1_36segmented_radix_sort_config_selectorIflEEZNS1_25segmented_radix_sort_implIS3_Lb1EPKfPfPKlPlN2at6native12_GLOBAL__N_18offset_tEEE10hipError_tPvRmT1_PNSt15iterator_traitsISK_E10value_typeET2_T3_PNSL_ISQ_E10value_typeET4_jRbjT5_SW_jjP12ihipStream_tbEUlT_E_NS1_11comp_targetILNS1_3genE3ELNS1_11target_archE908ELNS1_3gpuE7ELNS1_3repE0EEENS1_30default_config_static_selectorELNS0_4arch9wavefront6targetE1EEEvSK_.private_seg_size, 0
	.set _ZN7rocprim17ROCPRIM_400000_NS6detail17trampoline_kernelINS0_14default_configENS1_36segmented_radix_sort_config_selectorIflEEZNS1_25segmented_radix_sort_implIS3_Lb1EPKfPfPKlPlN2at6native12_GLOBAL__N_18offset_tEEE10hipError_tPvRmT1_PNSt15iterator_traitsISK_E10value_typeET2_T3_PNSL_ISQ_E10value_typeET4_jRbjT5_SW_jjP12ihipStream_tbEUlT_E_NS1_11comp_targetILNS1_3genE3ELNS1_11target_archE908ELNS1_3gpuE7ELNS1_3repE0EEENS1_30default_config_static_selectorELNS0_4arch9wavefront6targetE1EEEvSK_.uses_vcc, 0
	.set _ZN7rocprim17ROCPRIM_400000_NS6detail17trampoline_kernelINS0_14default_configENS1_36segmented_radix_sort_config_selectorIflEEZNS1_25segmented_radix_sort_implIS3_Lb1EPKfPfPKlPlN2at6native12_GLOBAL__N_18offset_tEEE10hipError_tPvRmT1_PNSt15iterator_traitsISK_E10value_typeET2_T3_PNSL_ISQ_E10value_typeET4_jRbjT5_SW_jjP12ihipStream_tbEUlT_E_NS1_11comp_targetILNS1_3genE3ELNS1_11target_archE908ELNS1_3gpuE7ELNS1_3repE0EEENS1_30default_config_static_selectorELNS0_4arch9wavefront6targetE1EEEvSK_.uses_flat_scratch, 0
	.set _ZN7rocprim17ROCPRIM_400000_NS6detail17trampoline_kernelINS0_14default_configENS1_36segmented_radix_sort_config_selectorIflEEZNS1_25segmented_radix_sort_implIS3_Lb1EPKfPfPKlPlN2at6native12_GLOBAL__N_18offset_tEEE10hipError_tPvRmT1_PNSt15iterator_traitsISK_E10value_typeET2_T3_PNSL_ISQ_E10value_typeET4_jRbjT5_SW_jjP12ihipStream_tbEUlT_E_NS1_11comp_targetILNS1_3genE3ELNS1_11target_archE908ELNS1_3gpuE7ELNS1_3repE0EEENS1_30default_config_static_selectorELNS0_4arch9wavefront6targetE1EEEvSK_.has_dyn_sized_stack, 0
	.set _ZN7rocprim17ROCPRIM_400000_NS6detail17trampoline_kernelINS0_14default_configENS1_36segmented_radix_sort_config_selectorIflEEZNS1_25segmented_radix_sort_implIS3_Lb1EPKfPfPKlPlN2at6native12_GLOBAL__N_18offset_tEEE10hipError_tPvRmT1_PNSt15iterator_traitsISK_E10value_typeET2_T3_PNSL_ISQ_E10value_typeET4_jRbjT5_SW_jjP12ihipStream_tbEUlT_E_NS1_11comp_targetILNS1_3genE3ELNS1_11target_archE908ELNS1_3gpuE7ELNS1_3repE0EEENS1_30default_config_static_selectorELNS0_4arch9wavefront6targetE1EEEvSK_.has_recursion, 0
	.set _ZN7rocprim17ROCPRIM_400000_NS6detail17trampoline_kernelINS0_14default_configENS1_36segmented_radix_sort_config_selectorIflEEZNS1_25segmented_radix_sort_implIS3_Lb1EPKfPfPKlPlN2at6native12_GLOBAL__N_18offset_tEEE10hipError_tPvRmT1_PNSt15iterator_traitsISK_E10value_typeET2_T3_PNSL_ISQ_E10value_typeET4_jRbjT5_SW_jjP12ihipStream_tbEUlT_E_NS1_11comp_targetILNS1_3genE3ELNS1_11target_archE908ELNS1_3gpuE7ELNS1_3repE0EEENS1_30default_config_static_selectorELNS0_4arch9wavefront6targetE1EEEvSK_.has_indirect_call, 0
	.section	.AMDGPU.csdata,"",@progbits
; Kernel info:
; codeLenInByte = 0
; TotalNumSgprs: 4
; NumVgprs: 0
; ScratchSize: 0
; MemoryBound: 0
; FloatMode: 240
; IeeeMode: 1
; LDSByteSize: 0 bytes/workgroup (compile time only)
; SGPRBlocks: 0
; VGPRBlocks: 0
; NumSGPRsForWavesPerEU: 4
; NumVGPRsForWavesPerEU: 1
; Occupancy: 10
; WaveLimiterHint : 0
; COMPUTE_PGM_RSRC2:SCRATCH_EN: 0
; COMPUTE_PGM_RSRC2:USER_SGPR: 6
; COMPUTE_PGM_RSRC2:TRAP_HANDLER: 0
; COMPUTE_PGM_RSRC2:TGID_X_EN: 1
; COMPUTE_PGM_RSRC2:TGID_Y_EN: 0
; COMPUTE_PGM_RSRC2:TGID_Z_EN: 0
; COMPUTE_PGM_RSRC2:TIDIG_COMP_CNT: 0
	.text
	.p2align	2                               ; -- Begin function _ZN7rocprim17ROCPRIM_400000_NS6detail40segmented_radix_sort_single_block_helperIflLj256ELj8ELb1EE4sortIPKfPfPKlPlEEbT_T0_T1_T2_jjjjRNS3_12storage_typeE
	.type	_ZN7rocprim17ROCPRIM_400000_NS6detail40segmented_radix_sort_single_block_helperIflLj256ELj8ELb1EE4sortIPKfPfPKlPlEEbT_T0_T1_T2_jjjjRNS3_12storage_typeE,@function
_ZN7rocprim17ROCPRIM_400000_NS6detail40segmented_radix_sort_single_block_helperIflLj256ELj8ELb1EE4sortIPKfPfPKlPlEEbT_T0_T1_T2_jjjjRNS3_12storage_typeE: ; @_ZN7rocprim17ROCPRIM_400000_NS6detail40segmented_radix_sort_single_block_helperIflLj256ELj8ELb1EE4sortIPKfPfPKlPlEEbT_T0_T1_T2_jjjjRNS3_12storage_typeE
; %bb.0:
	s_waitcnt vmcnt(0) expcnt(0) lgkmcnt(0)
	v_sub_u32_e32 v86, v9, v8
	s_movk_i32 s4, 0x801
	v_cmp_gt_u32_e32 vcc, s4, v86
	s_and_saveexec_b64 s[46:47], vcc
	s_cbranch_execz .LBB1329_199
; %bb.1:
	s_movk_i32 s4, 0x400
	v_cmp_lt_u32_e32 vcc, s4, v86
	v_bfe_u32 v20, v31, 10, 10
	v_bfe_u32 v22, v31, 20, 10
	v_mbcnt_lo_u32_b32 v18, -1, 0
	s_and_saveexec_b64 s[4:5], vcc
	s_xor_b64 s[56:57], exec, s[4:5]
	s_cbranch_execz .LBB1329_79
; %bb.2:
	s_load_dwordx2 s[4:5], s[8:9], 0x0
	v_mov_b32_e32 v9, 0
	v_lshlrev_b64 v[26:27], 2, v[8:9]
	v_and_b32_e32 v21, 0x3ff, v31
	v_add_co_u32_e32 v31, vcc, v0, v26
	s_waitcnt lgkmcnt(0)
	s_cmp_lt_u32 s13, s5
	s_cselect_b32 s5, 14, 20
	s_add_u32 s6, s8, s5
	s_addc_u32 s7, s9, 0
	s_cmp_lt_u32 s12, s4
	s_cselect_b32 s4, 12, 18
	s_add_u32 s4, s8, s4
	global_load_ushort v24, v9, s[6:7]
	s_addc_u32 s5, s9, 0
	global_load_ushort v25, v9, s[4:5]
	v_addc_co_u32_e32 v32, vcc, v1, v27, vcc
	v_mbcnt_hi_u32_b32 v28, -1, v18
	v_and_b32_e32 v29, 63, v28
	v_mov_b32_e32 v23, v9
	v_lshlrev_b32_e32 v30, 2, v29
	v_mov_b32_e32 v13, -1
	v_mov_b32_e32 v14, v13
	v_mov_b32_e32 v15, v13
	v_mov_b32_e32 v16, v13
	v_mov_b32_e32 v17, v13
	v_mov_b32_e32 v18, v13
	v_mov_b32_e32 v19, v13
	s_waitcnt vmcnt(1)
	v_mad_u32_u24 v0, v22, v24, v20
	v_add_co_u32_e32 v20, vcc, v31, v30
	s_waitcnt vmcnt(0)
	v_mad_u64_u32 v[0:1], s[4:5], v0, v25, v[21:22]
	v_addc_co_u32_e32 v30, vcc, 0, v32, vcc
	v_lshlrev_b32_e32 v1, 3, v0
	v_and_b32_e32 v22, 0xfffffe00, v1
	v_lshlrev_b64 v[24:25], 2, v[22:23]
	v_or_b32_e32 v1, v22, v29
	v_add_co_u32_e64 v24, s[4:5], v20, v24
	v_cmp_lt_u32_e32 vcc, v1, v86
	v_addc_co_u32_e64 v25, s[4:5], v30, v25, s[4:5]
	v_mov_b32_e32 v20, v13
	s_and_saveexec_b64 s[4:5], vcc
	s_cbranch_execz .LBB1329_4
; %bb.3:
	flat_load_dword v30, v[24:25]
	v_mov_b32_e32 v31, v13
	v_mov_b32_e32 v32, v13
	;; [unrolled: 1-line block ×7, first 2 shown]
	s_waitcnt vmcnt(0) lgkmcnt(0)
	v_mov_b32_e32 v13, v30
	v_mov_b32_e32 v14, v31
	;; [unrolled: 1-line block ×8, first 2 shown]
.LBB1329_4:
	s_or_b64 exec, exec, s[4:5]
	v_or_b32_e32 v30, 64, v1
	v_cmp_lt_u32_e64 s[4:5], v30, v86
	s_and_saveexec_b64 s[6:7], s[4:5]
	s_cbranch_execz .LBB1329_6
; %bb.5:
	flat_load_dword v14, v[24:25] offset:256
.LBB1329_6:
	s_or_b64 exec, exec, s[6:7]
	v_or_b32_e32 v30, 0x80, v1
	v_cmp_lt_u32_e64 s[6:7], v30, v86
	s_and_saveexec_b64 s[10:11], s[6:7]
	s_cbranch_execz .LBB1329_8
; %bb.7:
	flat_load_dword v15, v[24:25] offset:512
.LBB1329_8:
	;; [unrolled: 8-line block ×7, first 2 shown]
	s_or_b64 exec, exec, s[22:23]
	v_lshlrev_b64 v[24:25], 3, v[8:9]
                                        ; implicit-def: $vgpr32_vgpr33
	v_add_co_u32_e64 v1, s[22:23], v4, v24
	v_addc_co_u32_e64 v4, s[22:23], v5, v25, s[22:23]
	v_lshlrev_b32_e32 v5, 3, v29
	v_add_co_u32_e64 v1, s[22:23], v1, v5
	v_addc_co_u32_e64 v8, s[22:23], 0, v4, s[22:23]
	v_lshlrev_b64 v[4:5], 3, v[22:23]
	v_add_co_u32_e64 v4, s[22:23], v1, v4
	v_addc_co_u32_e64 v5, s[22:23], v8, v5, s[22:23]
	s_and_saveexec_b64 s[22:23], vcc
	s_cbranch_execnz .LBB1329_112
; %bb.19:
	s_or_b64 exec, exec, s[22:23]
                                        ; implicit-def: $vgpr34_vgpr35
	s_and_saveexec_b64 s[22:23], s[4:5]
	s_cbranch_execnz .LBB1329_113
.LBB1329_20:
	s_or_b64 exec, exec, s[22:23]
                                        ; implicit-def: $vgpr36_vgpr37
	s_and_saveexec_b64 s[4:5], s[6:7]
	s_cbranch_execnz .LBB1329_114
.LBB1329_21:
	s_or_b64 exec, exec, s[4:5]
                                        ; implicit-def: $vgpr38_vgpr39
	s_and_saveexec_b64 s[4:5], s[10:11]
	s_cbranch_execnz .LBB1329_115
.LBB1329_22:
	s_or_b64 exec, exec, s[4:5]
                                        ; implicit-def: $vgpr48_vgpr49
	s_and_saveexec_b64 s[4:5], s[20:21]
	s_cbranch_execnz .LBB1329_116
.LBB1329_23:
	s_or_b64 exec, exec, s[4:5]
                                        ; implicit-def: $vgpr50_vgpr51
	s_and_saveexec_b64 s[4:5], s[14:15]
	s_cbranch_execnz .LBB1329_117
.LBB1329_24:
	s_or_b64 exec, exec, s[4:5]
                                        ; implicit-def: $vgpr52_vgpr53
	s_and_saveexec_b64 s[4:5], s[16:17]
	s_cbranch_execnz .LBB1329_118
.LBB1329_25:
	s_or_b64 exec, exec, s[4:5]
                                        ; implicit-def: $vgpr80_vgpr81
	s_and_saveexec_b64 s[4:5], s[18:19]
	s_cbranch_execz .LBB1329_27
.LBB1329_26:
	flat_load_dwordx2 v[80:81], v[4:5] offset:3584
.LBB1329_27:
	s_or_b64 exec, exec, s[4:5]
	v_bfrev_b32_e32 v1, -2
	v_cmp_gt_i32_e32 vcc, 0, v13
	v_cndmask_b32_e64 v4, v1, 0, vcc
	s_waitcnt vmcnt(0) lgkmcnt(0)
	v_cmp_gt_i32_e32 vcc, 0, v14
	v_xor_b32_e32 v55, v4, v13
	v_cndmask_b32_e64 v4, v1, 0, vcc
	v_cmp_gt_i32_e32 vcc, 0, v15
	v_xor_b32_e32 v65, v4, v14
	v_cndmask_b32_e64 v4, v1, 0, vcc
	;; [unrolled: 3-line block ×5, first 2 shown]
	v_cmp_gt_i32_e32 vcc, 0, v19
	v_lshl_add_u32 v8, v21, 4, v12
	v_xor_b32_e32 v83, v4, v18
	v_cndmask_b32_e64 v4, v1, 0, vcc
	v_cmp_gt_i32_e32 vcc, 0, v20
	s_getpc_b64 s[4:5]
	s_add_u32 s4, s4, _ZN7rocprim17ROCPRIM_400000_NS16block_radix_sortIfLj256ELj8ElLj1ELj1ELj8ELNS0_26block_radix_rank_algorithmE2ELNS0_18block_padding_hintE2ELNS0_4arch9wavefront6targetE1EE19radix_bits_per_passE@rel32@lo+4
	s_addc_u32 s5, s5, _ZN7rocprim17ROCPRIM_400000_NS16block_radix_sortIfLj256ELj8ElLj1ELj1ELj8ELNS0_26block_radix_rank_algorithmE2ELNS0_18block_padding_hintE2ELNS0_4arch9wavefront6targetE1EE19radix_bits_per_passE@rel32@hi+12
	v_add_u32_e32 v87, 16, v8
	v_add_u32_e32 v96, 20, v8
	;; [unrolled: 1-line block ×4, first 2 shown]
	v_and_b32_e32 v8, 15, v28
	v_xor_b32_e32 v85, v4, v19
	v_cndmask_b32_e64 v4, v1, 0, vcc
	s_load_dword s62, s[4:5], 0x0
	v_cmp_eq_u32_e32 vcc, 0, v8
	v_cmp_lt_u32_e64 s[4:5], 1, v8
	v_cmp_lt_u32_e64 s[6:7], 3, v8
	;; [unrolled: 1-line block ×3, first 2 shown]
	v_and_b32_e32 v8, 16, v28
	v_cmp_eq_u32_e64 s[40:41], 0, v8
	v_and_b32_e32 v8, 0x3c0, v21
	v_min_u32_e32 v8, 0xc0, v8
	v_xor_b32_e32 v161, v4, v20
	v_lshlrev_b32_e32 v4, 2, v21
	v_or_b32_e32 v8, 63, v8
	v_cmp_eq_u32_e64 s[16:17], v21, v8
	v_subrev_co_u32_e64 v8, s[22:23], 1, v28
	v_and_b32_e32 v9, 64, v28
	v_add_co_u32_e64 v100, s[26:27], v12, v4
	v_and_b32_e32 v4, 3, v28
	v_cmp_lt_i32_e64 s[24:25], v8, v9
	v_cmp_eq_u32_e64 s[26:27], 0, v4
	v_cmp_lt_u32_e64 s[28:29], 1, v4
	v_lshlrev_b32_e32 v4, 3, v21
	s_movk_i32 s42, 0x1e00
	v_cndmask_b32_e64 v8, v8, v28, s[24:25]
	v_and_or_b32 v4, v4, s42, v29
	v_lshlrev_b32_e32 v101, 2, v8
	v_lshrrev_b32_e32 v8, 4, v21
	v_lshlrev_b32_e32 v4, 2, v4
	v_and_b32_e32 v8, 60, v8
	v_add_u32_e32 v112, v12, v4
	v_add_u32_e32 v102, v12, v8
	;; [unrolled: 1-line block ×3, first 2 shown]
	v_mov_b32_e32 v5, 0
	v_lshrrev_b32_e32 v99, 6, v0
	v_cmp_lt_u32_e64 s[14:15], 31, v28
	v_cmp_gt_u32_e64 s[18:19], 4, v21
	v_cmp_lt_u32_e64 s[20:21], 63, v21
	v_cmp_eq_u32_e64 s[24:25], 0, v21
	v_add_u32_e32 v103, -4, v102
	v_add_u32_e32 v113, 0x100, v112
	v_add_u32_e32 v114, 0x200, v112
	;; [unrolled: 1-line block ×14, first 2 shown]
	v_sub_u32_e32 v144, v11, v10
	s_mov_b64 s[58:59], 0
	s_brev_b32 s63, 1
	s_waitcnt lgkmcnt(0)
	s_barrier
	s_branch .LBB1329_29
.LBB1329_28:                            ;   in Loop: Header=BB1329_29 Depth=1
	s_or_b64 exec, exec, s[44:45]
	s_and_b64 s[42:43], exec, s[60:61]
	s_or_b64 s[58:59], s[42:43], s[58:59]
	s_andn2_b64 exec, exec, s[58:59]
	s_cbranch_execz .LBB1329_53
.LBB1329_29:                            ; =>This Inner Loop Header: Depth=1
	v_mov_b32_e32 v160, v55
	v_min_u32_e32 v4, s62, v144
	v_mov_b32_e32 v22, v36
	v_lshlrev_b32_e64 v4, v4, -1
	v_cmp_ne_u32_e64 s[42:43], s63, v160
	v_mov_b32_e32 v23, v37
	v_not_b32_e32 v37, v4
	v_cndmask_b32_e64 v4, v1, v160, s[42:43]
	v_mov_b32_e32 v28, v34
	v_lshrrev_b32_e32 v4, v10, v4
	v_mov_b32_e32 v29, v35
	v_and_b32_e32 v34, v4, v37
	v_mov_b32_e32 v30, v32
	v_lshl_add_u32 v4, v34, 2, v99
	v_mov_b32_e32 v31, v33
	v_lshlrev_b64 v[32:33], 2, v[4:5]
	v_mov_b32_e32 v19, v38
	v_add_co_u32_e64 v4, s[42:43], v12, v32
	v_add_co_u32_e64 v4, s[42:43], 16, v4
	v_and_b32_e32 v32, 1, v34
	v_add_co_u32_e64 v33, s[42:43], -1, v32
	v_addc_co_u32_e64 v35, s[42:43], 0, -1, s[42:43]
	v_cmp_ne_u32_e64 s[42:43], 0, v32
	v_xor_b32_e32 v32, s43, v35
	v_xor_b32_e32 v33, s42, v33
	v_and_b32_e32 v35, exec_hi, v32
	v_and_b32_e32 v36, exec_lo, v33
	v_lshlrev_b32_e32 v33, 30, v34
	v_mov_b32_e32 v32, v5
	v_cmp_gt_i64_e64 s[42:43], 0, v[32:33]
	v_not_b32_e32 v32, v33
	v_ashrrev_i32_e32 v32, 31, v32
	v_xor_b32_e32 v33, s43, v32
	v_xor_b32_e32 v32, s42, v32
	v_and_b32_e32 v35, v35, v33
	v_and_b32_e32 v36, v36, v32
	v_lshlrev_b32_e32 v33, 29, v34
	v_mov_b32_e32 v32, v5
	v_cmp_gt_i64_e64 s[42:43], 0, v[32:33]
	v_not_b32_e32 v32, v33
	v_ashrrev_i32_e32 v32, 31, v32
	v_xor_b32_e32 v33, s43, v32
	v_xor_b32_e32 v32, s42, v32
	v_and_b32_e32 v35, v35, v33
	v_and_b32_e32 v36, v36, v32
	v_lshlrev_b32_e32 v33, 28, v34
	v_mov_b32_e32 v32, v5
	v_cmp_gt_i64_e64 s[42:43], 0, v[32:33]
	v_not_b32_e32 v32, v33
	v_ashrrev_i32_e32 v32, 31, v32
	v_xor_b32_e32 v33, s43, v32
	v_xor_b32_e32 v32, s42, v32
	v_and_b32_e32 v35, v35, v33
	v_and_b32_e32 v36, v36, v32
	v_lshlrev_b32_e32 v33, 27, v34
	v_mov_b32_e32 v32, v5
	v_cmp_gt_i64_e64 s[42:43], 0, v[32:33]
	v_not_b32_e32 v32, v33
	v_ashrrev_i32_e32 v32, 31, v32
	v_xor_b32_e32 v33, s43, v32
	v_xor_b32_e32 v32, s42, v32
	v_and_b32_e32 v35, v35, v33
	v_and_b32_e32 v36, v36, v32
	v_lshlrev_b32_e32 v33, 26, v34
	v_mov_b32_e32 v32, v5
	v_cmp_gt_i64_e64 s[42:43], 0, v[32:33]
	v_not_b32_e32 v32, v33
	v_ashrrev_i32_e32 v32, 31, v32
	v_xor_b32_e32 v33, s43, v32
	v_xor_b32_e32 v32, s42, v32
	v_and_b32_e32 v35, v35, v33
	v_and_b32_e32 v36, v36, v32
	v_lshlrev_b32_e32 v33, 25, v34
	v_mov_b32_e32 v32, v5
	v_cmp_gt_i64_e64 s[42:43], 0, v[32:33]
	v_not_b32_e32 v32, v33
	v_ashrrev_i32_e32 v32, 31, v32
	v_xor_b32_e32 v33, s43, v32
	v_xor_b32_e32 v32, s42, v32
	v_and_b32_e32 v35, v35, v33
	v_and_b32_e32 v36, v36, v32
	v_lshlrev_b32_e32 v33, 24, v34
	v_mov_b32_e32 v32, v5
	v_cmp_gt_i64_e64 s[42:43], 0, v[32:33]
	v_not_b32_e32 v32, v33
	v_ashrrev_i32_e32 v32, 31, v32
	v_xor_b32_e32 v33, s43, v32
	v_xor_b32_e32 v32, s42, v32
	v_and_b32_e32 v32, v36, v32
	v_and_b32_e32 v33, v35, v33
	v_mbcnt_lo_u32_b32 v34, v32, 0
	v_mbcnt_hi_u32_b32 v34, v33, v34
	v_cmp_ne_u64_e64 s[42:43], 0, v[32:33]
	v_mov_b32_e32 v17, v48
	v_mov_b32_e32 v15, v50
	;; [unrolled: 1-line block ×4, first 2 shown]
	v_cmp_eq_u32_e64 s[44:45], 0, v34
	v_mov_b32_e32 v145, v161
	v_mov_b32_e32 v146, v85
	;; [unrolled: 1-line block ×12, first 2 shown]
	s_and_b64 s[44:45], s[42:43], s[44:45]
	ds_write_b32 v87, v5
	ds_write_b32 v96, v5
	;; [unrolled: 1-line block ×4, first 2 shown]
	s_waitcnt lgkmcnt(0)
	s_barrier
	; wave barrier
	s_and_saveexec_b64 s[42:43], s[44:45]
; %bb.30:                               ;   in Loop: Header=BB1329_29 Depth=1
	v_bcnt_u32_b32 v32, v32, 0
	v_bcnt_u32_b32 v32, v33, v32
	ds_write_b32 v4, v32
; %bb.31:                               ;   in Loop: Header=BB1329_29 Depth=1
	s_or_b64 exec, exec, s[42:43]
	v_cmp_ne_u32_e64 s[42:43], s63, v151
	v_cndmask_b32_e64 v32, v1, v151, s[42:43]
	v_lshrrev_b32_e32 v32, v10, v32
	v_and_b32_e32 v38, v32, v37
	v_lshl_add_u32 v32, v38, 2, v99
	v_lshl_add_u32 v32, v32, 2, v12
	; wave barrier
	v_add_u32_e32 v36, 16, v32
	ds_read_b32 v35, v32 offset:16
	v_and_b32_e32 v32, 1, v38
	v_add_co_u32_e64 v33, s[42:43], -1, v32
	v_addc_co_u32_e64 v39, s[42:43], 0, -1, s[42:43]
	v_cmp_ne_u32_e64 s[42:43], 0, v32
	v_xor_b32_e32 v32, s43, v39
	v_xor_b32_e32 v33, s42, v33
	v_and_b32_e32 v39, exec_hi, v32
	v_and_b32_e32 v48, exec_lo, v33
	v_lshlrev_b32_e32 v33, 30, v38
	v_mov_b32_e32 v32, v5
	v_cmp_gt_i64_e64 s[42:43], 0, v[32:33]
	v_not_b32_e32 v32, v33
	v_ashrrev_i32_e32 v32, 31, v32
	v_xor_b32_e32 v33, s43, v32
	v_xor_b32_e32 v32, s42, v32
	v_and_b32_e32 v39, v39, v33
	v_and_b32_e32 v48, v48, v32
	v_lshlrev_b32_e32 v33, 29, v38
	v_mov_b32_e32 v32, v5
	v_cmp_gt_i64_e64 s[42:43], 0, v[32:33]
	v_not_b32_e32 v32, v33
	v_ashrrev_i32_e32 v32, 31, v32
	v_xor_b32_e32 v33, s43, v32
	v_xor_b32_e32 v32, s42, v32
	v_and_b32_e32 v39, v39, v33
	v_and_b32_e32 v48, v48, v32
	;; [unrolled: 9-line block ×7, first 2 shown]
	v_mbcnt_lo_u32_b32 v38, v32, 0
	v_mbcnt_hi_u32_b32 v38, v33, v38
	v_cmp_ne_u64_e64 s[42:43], 0, v[32:33]
	v_cmp_eq_u32_e64 s[44:45], 0, v38
	s_and_b64 s[44:45], s[42:43], s[44:45]
	; wave barrier
	s_and_saveexec_b64 s[42:43], s[44:45]
	s_cbranch_execz .LBB1329_33
; %bb.32:                               ;   in Loop: Header=BB1329_29 Depth=1
	v_bcnt_u32_b32 v32, v32, 0
	v_bcnt_u32_b32 v32, v33, v32
	s_waitcnt lgkmcnt(0)
	v_add_u32_e32 v32, v35, v32
	ds_write_b32 v36, v32
.LBB1329_33:                            ;   in Loop: Header=BB1329_29 Depth=1
	s_or_b64 exec, exec, s[42:43]
	v_cmp_ne_u32_e64 s[42:43], s63, v150
	v_cndmask_b32_e64 v32, v1, v150, s[42:43]
	v_lshrrev_b32_e32 v32, v10, v32
	v_and_b32_e32 v49, v32, v37
	v_lshl_add_u32 v32, v49, 2, v99
	v_lshl_add_u32 v32, v32, 2, v12
	; wave barrier
	v_add_u32_e32 v48, 16, v32
	ds_read_b32 v39, v32 offset:16
	v_and_b32_e32 v32, 1, v49
	v_add_co_u32_e64 v33, s[42:43], -1, v32
	v_addc_co_u32_e64 v50, s[42:43], 0, -1, s[42:43]
	v_cmp_ne_u32_e64 s[42:43], 0, v32
	v_xor_b32_e32 v32, s43, v50
	v_xor_b32_e32 v33, s42, v33
	v_and_b32_e32 v50, exec_hi, v32
	v_and_b32_e32 v51, exec_lo, v33
	v_lshlrev_b32_e32 v33, 30, v49
	v_mov_b32_e32 v32, v5
	v_cmp_gt_i64_e64 s[42:43], 0, v[32:33]
	v_not_b32_e32 v32, v33
	v_ashrrev_i32_e32 v32, 31, v32
	v_xor_b32_e32 v33, s43, v32
	v_xor_b32_e32 v32, s42, v32
	v_and_b32_e32 v50, v50, v33
	v_and_b32_e32 v51, v51, v32
	v_lshlrev_b32_e32 v33, 29, v49
	v_mov_b32_e32 v32, v5
	v_cmp_gt_i64_e64 s[42:43], 0, v[32:33]
	v_not_b32_e32 v32, v33
	v_ashrrev_i32_e32 v32, 31, v32
	v_xor_b32_e32 v33, s43, v32
	v_xor_b32_e32 v32, s42, v32
	v_and_b32_e32 v50, v50, v33
	v_and_b32_e32 v51, v51, v32
	v_lshlrev_b32_e32 v33, 28, v49
	v_mov_b32_e32 v32, v5
	v_cmp_gt_i64_e64 s[42:43], 0, v[32:33]
	v_not_b32_e32 v32, v33
	v_ashrrev_i32_e32 v32, 31, v32
	v_xor_b32_e32 v33, s43, v32
	v_xor_b32_e32 v32, s42, v32
	v_and_b32_e32 v50, v50, v33
	v_and_b32_e32 v51, v51, v32
	v_lshlrev_b32_e32 v33, 27, v49
	v_mov_b32_e32 v32, v5
	v_cmp_gt_i64_e64 s[42:43], 0, v[32:33]
	v_not_b32_e32 v32, v33
	v_ashrrev_i32_e32 v32, 31, v32
	v_xor_b32_e32 v33, s43, v32
	v_xor_b32_e32 v32, s42, v32
	v_and_b32_e32 v50, v50, v33
	v_and_b32_e32 v51, v51, v32
	v_lshlrev_b32_e32 v33, 26, v49
	v_mov_b32_e32 v32, v5
	v_cmp_gt_i64_e64 s[42:43], 0, v[32:33]
	v_not_b32_e32 v32, v33
	v_ashrrev_i32_e32 v32, 31, v32
	v_xor_b32_e32 v33, s43, v32
	v_xor_b32_e32 v32, s42, v32
	v_and_b32_e32 v50, v50, v33
	v_and_b32_e32 v51, v51, v32
	v_lshlrev_b32_e32 v33, 25, v49
	v_mov_b32_e32 v32, v5
	v_cmp_gt_i64_e64 s[42:43], 0, v[32:33]
	v_not_b32_e32 v32, v33
	v_ashrrev_i32_e32 v32, 31, v32
	v_xor_b32_e32 v33, s43, v32
	v_xor_b32_e32 v32, s42, v32
	v_and_b32_e32 v50, v50, v33
	v_and_b32_e32 v51, v51, v32
	v_lshlrev_b32_e32 v33, 24, v49
	v_mov_b32_e32 v32, v5
	v_cmp_gt_i64_e64 s[42:43], 0, v[32:33]
	v_not_b32_e32 v32, v33
	v_ashrrev_i32_e32 v32, 31, v32
	v_xor_b32_e32 v33, s43, v32
	v_xor_b32_e32 v32, s42, v32
	v_and_b32_e32 v32, v51, v32
	v_and_b32_e32 v33, v50, v33
	v_mbcnt_lo_u32_b32 v49, v32, 0
	v_mbcnt_hi_u32_b32 v49, v33, v49
	v_cmp_ne_u64_e64 s[42:43], 0, v[32:33]
	v_cmp_eq_u32_e64 s[44:45], 0, v49
	s_and_b64 s[44:45], s[42:43], s[44:45]
	; wave barrier
	s_and_saveexec_b64 s[42:43], s[44:45]
	s_cbranch_execz .LBB1329_35
; %bb.34:                               ;   in Loop: Header=BB1329_29 Depth=1
	v_bcnt_u32_b32 v32, v32, 0
	v_bcnt_u32_b32 v32, v33, v32
	s_waitcnt lgkmcnt(0)
	v_add_u32_e32 v32, v39, v32
	ds_write_b32 v48, v32
.LBB1329_35:                            ;   in Loop: Header=BB1329_29 Depth=1
	s_or_b64 exec, exec, s[42:43]
	v_cmp_ne_u32_e64 s[42:43], s63, v149
	v_cndmask_b32_e64 v32, v1, v149, s[42:43]
	v_lshrrev_b32_e32 v32, v10, v32
	v_and_b32_e32 v52, v32, v37
	v_lshl_add_u32 v32, v52, 2, v99
	v_lshl_add_u32 v32, v32, 2, v12
	; wave barrier
	v_add_u32_e32 v51, 16, v32
	ds_read_b32 v50, v32 offset:16
	v_and_b32_e32 v32, 1, v52
	v_add_co_u32_e64 v33, s[42:43], -1, v32
	v_addc_co_u32_e64 v53, s[42:43], 0, -1, s[42:43]
	v_cmp_ne_u32_e64 s[42:43], 0, v32
	v_xor_b32_e32 v32, s43, v53
	v_xor_b32_e32 v33, s42, v33
	v_and_b32_e32 v53, exec_hi, v32
	v_and_b32_e32 v54, exec_lo, v33
	v_lshlrev_b32_e32 v33, 30, v52
	v_mov_b32_e32 v32, v5
	v_cmp_gt_i64_e64 s[42:43], 0, v[32:33]
	v_not_b32_e32 v32, v33
	v_ashrrev_i32_e32 v32, 31, v32
	v_xor_b32_e32 v33, s43, v32
	v_xor_b32_e32 v32, s42, v32
	v_and_b32_e32 v53, v53, v33
	v_and_b32_e32 v54, v54, v32
	v_lshlrev_b32_e32 v33, 29, v52
	v_mov_b32_e32 v32, v5
	v_cmp_gt_i64_e64 s[42:43], 0, v[32:33]
	v_not_b32_e32 v32, v33
	v_ashrrev_i32_e32 v32, 31, v32
	v_xor_b32_e32 v33, s43, v32
	v_xor_b32_e32 v32, s42, v32
	v_and_b32_e32 v53, v53, v33
	v_and_b32_e32 v54, v54, v32
	;; [unrolled: 9-line block ×7, first 2 shown]
	v_mbcnt_lo_u32_b32 v52, v32, 0
	v_mbcnt_hi_u32_b32 v52, v33, v52
	v_cmp_ne_u64_e64 s[42:43], 0, v[32:33]
	v_cmp_eq_u32_e64 s[44:45], 0, v52
	s_and_b64 s[44:45], s[42:43], s[44:45]
	; wave barrier
	s_and_saveexec_b64 s[42:43], s[44:45]
	s_cbranch_execz .LBB1329_37
; %bb.36:                               ;   in Loop: Header=BB1329_29 Depth=1
	v_bcnt_u32_b32 v32, v32, 0
	v_bcnt_u32_b32 v32, v33, v32
	s_waitcnt lgkmcnt(0)
	v_add_u32_e32 v32, v50, v32
	ds_write_b32 v51, v32
.LBB1329_37:                            ;   in Loop: Header=BB1329_29 Depth=1
	s_or_b64 exec, exec, s[42:43]
	v_cmp_ne_u32_e64 s[42:43], s63, v148
	v_cndmask_b32_e64 v32, v1, v148, s[42:43]
	v_lshrrev_b32_e32 v32, v10, v32
	v_and_b32_e32 v54, v32, v37
	v_lshl_add_u32 v32, v54, 2, v99
	v_lshl_add_u32 v32, v32, 2, v12
	; wave barrier
	v_add_u32_e32 v55, 16, v32
	ds_read_b32 v53, v32 offset:16
	v_and_b32_e32 v32, 1, v54
	v_add_co_u32_e64 v33, s[42:43], -1, v32
	v_addc_co_u32_e64 v64, s[42:43], 0, -1, s[42:43]
	v_cmp_ne_u32_e64 s[42:43], 0, v32
	v_xor_b32_e32 v32, s43, v64
	v_xor_b32_e32 v33, s42, v33
	v_and_b32_e32 v64, exec_hi, v32
	v_and_b32_e32 v65, exec_lo, v33
	v_lshlrev_b32_e32 v33, 30, v54
	v_mov_b32_e32 v32, v5
	v_cmp_gt_i64_e64 s[42:43], 0, v[32:33]
	v_not_b32_e32 v32, v33
	v_ashrrev_i32_e32 v32, 31, v32
	v_xor_b32_e32 v33, s43, v32
	v_xor_b32_e32 v32, s42, v32
	v_and_b32_e32 v64, v64, v33
	v_and_b32_e32 v65, v65, v32
	v_lshlrev_b32_e32 v33, 29, v54
	v_mov_b32_e32 v32, v5
	v_cmp_gt_i64_e64 s[42:43], 0, v[32:33]
	v_not_b32_e32 v32, v33
	v_ashrrev_i32_e32 v32, 31, v32
	v_xor_b32_e32 v33, s43, v32
	v_xor_b32_e32 v32, s42, v32
	v_and_b32_e32 v64, v64, v33
	v_and_b32_e32 v65, v65, v32
	v_lshlrev_b32_e32 v33, 28, v54
	v_mov_b32_e32 v32, v5
	v_cmp_gt_i64_e64 s[42:43], 0, v[32:33]
	v_not_b32_e32 v32, v33
	v_ashrrev_i32_e32 v32, 31, v32
	v_xor_b32_e32 v33, s43, v32
	v_xor_b32_e32 v32, s42, v32
	v_and_b32_e32 v64, v64, v33
	v_and_b32_e32 v65, v65, v32
	v_lshlrev_b32_e32 v33, 27, v54
	v_mov_b32_e32 v32, v5
	v_cmp_gt_i64_e64 s[42:43], 0, v[32:33]
	v_not_b32_e32 v32, v33
	v_ashrrev_i32_e32 v32, 31, v32
	v_xor_b32_e32 v33, s43, v32
	v_xor_b32_e32 v32, s42, v32
	v_and_b32_e32 v64, v64, v33
	v_and_b32_e32 v65, v65, v32
	v_lshlrev_b32_e32 v33, 26, v54
	v_mov_b32_e32 v32, v5
	v_cmp_gt_i64_e64 s[42:43], 0, v[32:33]
	v_not_b32_e32 v32, v33
	v_ashrrev_i32_e32 v32, 31, v32
	v_xor_b32_e32 v33, s43, v32
	v_xor_b32_e32 v32, s42, v32
	v_and_b32_e32 v64, v64, v33
	v_and_b32_e32 v65, v65, v32
	v_lshlrev_b32_e32 v33, 25, v54
	v_mov_b32_e32 v32, v5
	v_cmp_gt_i64_e64 s[42:43], 0, v[32:33]
	v_not_b32_e32 v32, v33
	v_ashrrev_i32_e32 v32, 31, v32
	v_xor_b32_e32 v33, s43, v32
	v_xor_b32_e32 v32, s42, v32
	v_and_b32_e32 v64, v64, v33
	v_and_b32_e32 v65, v65, v32
	v_lshlrev_b32_e32 v33, 24, v54
	v_mov_b32_e32 v32, v5
	v_cmp_gt_i64_e64 s[42:43], 0, v[32:33]
	v_not_b32_e32 v32, v33
	v_ashrrev_i32_e32 v32, 31, v32
	v_xor_b32_e32 v33, s43, v32
	v_xor_b32_e32 v32, s42, v32
	v_and_b32_e32 v32, v65, v32
	v_and_b32_e32 v33, v64, v33
	v_mbcnt_lo_u32_b32 v54, v32, 0
	v_mbcnt_hi_u32_b32 v65, v33, v54
	v_cmp_ne_u64_e64 s[42:43], 0, v[32:33]
	v_cmp_eq_u32_e64 s[44:45], 0, v65
	s_and_b64 s[44:45], s[42:43], s[44:45]
	; wave barrier
	s_and_saveexec_b64 s[42:43], s[44:45]
	s_cbranch_execz .LBB1329_39
; %bb.38:                               ;   in Loop: Header=BB1329_29 Depth=1
	v_bcnt_u32_b32 v32, v32, 0
	v_bcnt_u32_b32 v32, v33, v32
	s_waitcnt lgkmcnt(0)
	v_add_u32_e32 v32, v53, v32
	ds_write_b32 v55, v32
.LBB1329_39:                            ;   in Loop: Header=BB1329_29 Depth=1
	s_or_b64 exec, exec, s[42:43]
	v_cmp_ne_u32_e64 s[42:43], s63, v147
	v_cndmask_b32_e64 v32, v1, v147, s[42:43]
	v_lshrrev_b32_e32 v32, v10, v32
	v_and_b32_e32 v54, v32, v37
	v_lshl_add_u32 v32, v54, 2, v99
	v_lshl_add_u32 v32, v32, 2, v12
	; wave barrier
	v_add_u32_e32 v67, 16, v32
	ds_read_b32 v66, v32 offset:16
	v_and_b32_e32 v32, 1, v54
	v_add_co_u32_e64 v33, s[42:43], -1, v32
	v_addc_co_u32_e64 v64, s[42:43], 0, -1, s[42:43]
	v_cmp_ne_u32_e64 s[42:43], 0, v32
	v_xor_b32_e32 v32, s43, v64
	v_xor_b32_e32 v33, s42, v33
	v_and_b32_e32 v64, exec_hi, v32
	v_and_b32_e32 v68, exec_lo, v33
	v_lshlrev_b32_e32 v33, 30, v54
	v_mov_b32_e32 v32, v5
	v_cmp_gt_i64_e64 s[42:43], 0, v[32:33]
	v_not_b32_e32 v32, v33
	v_ashrrev_i32_e32 v32, 31, v32
	v_xor_b32_e32 v33, s43, v32
	v_xor_b32_e32 v32, s42, v32
	v_and_b32_e32 v64, v64, v33
	v_and_b32_e32 v68, v68, v32
	v_lshlrev_b32_e32 v33, 29, v54
	v_mov_b32_e32 v32, v5
	v_cmp_gt_i64_e64 s[42:43], 0, v[32:33]
	v_not_b32_e32 v32, v33
	v_ashrrev_i32_e32 v32, 31, v32
	v_xor_b32_e32 v33, s43, v32
	v_xor_b32_e32 v32, s42, v32
	v_and_b32_e32 v64, v64, v33
	v_and_b32_e32 v68, v68, v32
	;; [unrolled: 9-line block ×7, first 2 shown]
	v_mbcnt_lo_u32_b32 v54, v32, 0
	v_mbcnt_hi_u32_b32 v68, v33, v54
	v_cmp_ne_u64_e64 s[42:43], 0, v[32:33]
	v_cmp_eq_u32_e64 s[44:45], 0, v68
	s_and_b64 s[44:45], s[42:43], s[44:45]
	; wave barrier
	s_and_saveexec_b64 s[42:43], s[44:45]
	s_cbranch_execz .LBB1329_41
; %bb.40:                               ;   in Loop: Header=BB1329_29 Depth=1
	v_bcnt_u32_b32 v32, v32, 0
	v_bcnt_u32_b32 v32, v33, v32
	s_waitcnt lgkmcnt(0)
	v_add_u32_e32 v32, v66, v32
	ds_write_b32 v67, v32
.LBB1329_41:                            ;   in Loop: Header=BB1329_29 Depth=1
	s_or_b64 exec, exec, s[42:43]
	v_cmp_ne_u32_e64 s[42:43], s63, v146
	v_cndmask_b32_e64 v32, v1, v146, s[42:43]
	v_lshrrev_b32_e32 v32, v10, v32
	v_and_b32_e32 v54, v32, v37
	v_lshl_add_u32 v32, v54, 2, v99
	v_lshl_add_u32 v32, v32, 2, v12
	; wave barrier
	v_add_u32_e32 v70, 16, v32
	ds_read_b32 v69, v32 offset:16
	v_and_b32_e32 v32, 1, v54
	v_add_co_u32_e64 v33, s[42:43], -1, v32
	v_addc_co_u32_e64 v64, s[42:43], 0, -1, s[42:43]
	v_cmp_ne_u32_e64 s[42:43], 0, v32
	v_xor_b32_e32 v32, s43, v64
	v_xor_b32_e32 v33, s42, v33
	v_and_b32_e32 v64, exec_hi, v32
	v_and_b32_e32 v71, exec_lo, v33
	v_lshlrev_b32_e32 v33, 30, v54
	v_mov_b32_e32 v32, v5
	v_cmp_gt_i64_e64 s[42:43], 0, v[32:33]
	v_not_b32_e32 v32, v33
	v_ashrrev_i32_e32 v32, 31, v32
	v_xor_b32_e32 v33, s43, v32
	v_xor_b32_e32 v32, s42, v32
	v_and_b32_e32 v64, v64, v33
	v_and_b32_e32 v71, v71, v32
	v_lshlrev_b32_e32 v33, 29, v54
	v_mov_b32_e32 v32, v5
	v_cmp_gt_i64_e64 s[42:43], 0, v[32:33]
	v_not_b32_e32 v32, v33
	v_ashrrev_i32_e32 v32, 31, v32
	v_xor_b32_e32 v33, s43, v32
	v_xor_b32_e32 v32, s42, v32
	v_and_b32_e32 v64, v64, v33
	v_and_b32_e32 v71, v71, v32
	;; [unrolled: 9-line block ×7, first 2 shown]
	v_mbcnt_lo_u32_b32 v54, v32, 0
	v_mbcnt_hi_u32_b32 v71, v33, v54
	v_cmp_ne_u64_e64 s[42:43], 0, v[32:33]
	v_cmp_eq_u32_e64 s[44:45], 0, v71
	s_and_b64 s[44:45], s[42:43], s[44:45]
	; wave barrier
	s_and_saveexec_b64 s[42:43], s[44:45]
	s_cbranch_execz .LBB1329_43
; %bb.42:                               ;   in Loop: Header=BB1329_29 Depth=1
	v_bcnt_u32_b32 v32, v32, 0
	v_bcnt_u32_b32 v32, v33, v32
	s_waitcnt lgkmcnt(0)
	v_add_u32_e32 v32, v69, v32
	ds_write_b32 v70, v32
.LBB1329_43:                            ;   in Loop: Header=BB1329_29 Depth=1
	s_or_b64 exec, exec, s[42:43]
	v_cmp_ne_u32_e64 s[42:43], s63, v145
	v_cndmask_b32_e64 v32, v1, v145, s[42:43]
	v_lshrrev_b32_e32 v32, v10, v32
	v_and_b32_e32 v54, v32, v37
	v_lshl_add_u32 v32, v54, 2, v99
	v_lshl_add_u32 v32, v32, 2, v12
	; wave barrier
	v_add_u32_e32 v80, 16, v32
	ds_read_b32 v37, v32 offset:16
	v_and_b32_e32 v32, 1, v54
	v_add_co_u32_e64 v33, s[42:43], -1, v32
	v_addc_co_u32_e64 v64, s[42:43], 0, -1, s[42:43]
	v_cmp_ne_u32_e64 s[42:43], 0, v32
	v_xor_b32_e32 v32, s43, v64
	v_xor_b32_e32 v33, s42, v33
	v_and_b32_e32 v64, exec_hi, v32
	v_and_b32_e32 v81, exec_lo, v33
	v_lshlrev_b32_e32 v33, 30, v54
	v_mov_b32_e32 v32, v5
	v_cmp_gt_i64_e64 s[42:43], 0, v[32:33]
	v_not_b32_e32 v32, v33
	v_ashrrev_i32_e32 v32, 31, v32
	v_xor_b32_e32 v33, s43, v32
	v_xor_b32_e32 v32, s42, v32
	v_and_b32_e32 v64, v64, v33
	v_and_b32_e32 v81, v81, v32
	v_lshlrev_b32_e32 v33, 29, v54
	v_mov_b32_e32 v32, v5
	v_cmp_gt_i64_e64 s[42:43], 0, v[32:33]
	v_not_b32_e32 v32, v33
	v_ashrrev_i32_e32 v32, 31, v32
	v_xor_b32_e32 v33, s43, v32
	v_xor_b32_e32 v32, s42, v32
	v_and_b32_e32 v64, v64, v33
	v_and_b32_e32 v81, v81, v32
	;; [unrolled: 9-line block ×7, first 2 shown]
	v_mbcnt_lo_u32_b32 v54, v32, 0
	v_mbcnt_hi_u32_b32 v81, v33, v54
	v_cmp_ne_u64_e64 s[42:43], 0, v[32:33]
	v_cmp_eq_u32_e64 s[44:45], 0, v81
	s_and_b64 s[44:45], s[42:43], s[44:45]
	; wave barrier
	s_and_saveexec_b64 s[42:43], s[44:45]
	s_cbranch_execz .LBB1329_45
; %bb.44:                               ;   in Loop: Header=BB1329_29 Depth=1
	v_bcnt_u32_b32 v32, v32, 0
	v_bcnt_u32_b32 v32, v33, v32
	s_waitcnt lgkmcnt(0)
	v_add_u32_e32 v32, v37, v32
	ds_write_b32 v80, v32
.LBB1329_45:                            ;   in Loop: Header=BB1329_29 Depth=1
	s_or_b64 exec, exec, s[42:43]
	; wave barrier
	s_waitcnt lgkmcnt(0)
	s_barrier
	ds_read_b32 v54, v87
	ds_read_b32 v33, v96
	;; [unrolled: 1-line block ×4, first 2 shown]
	s_waitcnt lgkmcnt(2)
	v_add_u32_e32 v82, v33, v54
	s_waitcnt lgkmcnt(0)
	v_add3_u32 v64, v82, v32, v64
	s_nop 1
	v_mov_b32_dpp v82, v64 row_shr:1 row_mask:0xf bank_mask:0xf
	v_cndmask_b32_e64 v82, v82, 0, vcc
	v_add_u32_e32 v64, v82, v64
	s_nop 1
	v_mov_b32_dpp v82, v64 row_shr:2 row_mask:0xf bank_mask:0xf
	v_cndmask_b32_e64 v82, 0, v82, s[4:5]
	v_add_u32_e32 v64, v64, v82
	s_nop 1
	v_mov_b32_dpp v82, v64 row_shr:4 row_mask:0xf bank_mask:0xf
	v_cndmask_b32_e64 v82, 0, v82, s[6:7]
	;; [unrolled: 4-line block ×3, first 2 shown]
	v_add_u32_e32 v64, v64, v82
	s_nop 1
	v_mov_b32_dpp v82, v64 row_bcast:15 row_mask:0xf bank_mask:0xf
	v_cndmask_b32_e64 v82, v82, 0, s[40:41]
	v_add_u32_e32 v64, v64, v82
	s_nop 1
	v_mov_b32_dpp v82, v64 row_bcast:31 row_mask:0xf bank_mask:0xf
	v_cndmask_b32_e64 v82, 0, v82, s[14:15]
	v_add_u32_e32 v64, v64, v82
	s_and_saveexec_b64 s[42:43], s[16:17]
; %bb.46:                               ;   in Loop: Header=BB1329_29 Depth=1
	ds_write_b32 v102, v64
; %bb.47:                               ;   in Loop: Header=BB1329_29 Depth=1
	s_or_b64 exec, exec, s[42:43]
	s_waitcnt lgkmcnt(0)
	s_barrier
	s_and_saveexec_b64 s[42:43], s[18:19]
	s_cbranch_execz .LBB1329_49
; %bb.48:                               ;   in Loop: Header=BB1329_29 Depth=1
	ds_read_b32 v82, v100
	s_waitcnt lgkmcnt(0)
	s_nop 0
	v_mov_b32_dpp v83, v82 row_shr:1 row_mask:0xf bank_mask:0xf
	v_cndmask_b32_e64 v83, v83, 0, s[26:27]
	v_add_u32_e32 v82, v83, v82
	s_nop 1
	v_mov_b32_dpp v83, v82 row_shr:2 row_mask:0xf bank_mask:0xf
	v_cndmask_b32_e64 v83, 0, v83, s[28:29]
	v_add_u32_e32 v82, v82, v83
	ds_write_b32 v100, v82
.LBB1329_49:                            ;   in Loop: Header=BB1329_29 Depth=1
	s_or_b64 exec, exec, s[42:43]
	v_mov_b32_e32 v82, 0
	s_waitcnt lgkmcnt(0)
	s_barrier
	s_and_saveexec_b64 s[42:43], s[20:21]
; %bb.50:                               ;   in Loop: Header=BB1329_29 Depth=1
	ds_read_b32 v82, v103
; %bb.51:                               ;   in Loop: Header=BB1329_29 Depth=1
	s_or_b64 exec, exec, s[42:43]
	s_waitcnt lgkmcnt(0)
	v_add_u32_e32 v64, v82, v64
	ds_bpermute_b32 v64, v101, v64
	v_mov_b32_e32 v85, v5
	v_mov_b32_e32 v83, v5
	v_add_u32_e32 v10, 8, v10
	v_cmp_lt_u32_e64 s[42:43], v10, v11
	s_waitcnt lgkmcnt(0)
	v_cndmask_b32_e64 v64, v64, v82, s[22:23]
	v_cndmask_b32_e64 v64, v64, 0, s[24:25]
	v_add_u32_e32 v54, v64, v54
	v_add_u32_e32 v33, v54, v33
	;; [unrolled: 1-line block ×3, first 2 shown]
	ds_write_b32 v87, v64
	ds_write_b32 v96, v54
	;; [unrolled: 1-line block ×4, first 2 shown]
	s_waitcnt lgkmcnt(0)
	s_barrier
	ds_read_b32 v4, v4
	ds_read_b32 v32, v36
	;; [unrolled: 1-line block ×3, first 2 shown]
	s_mov_b64 s[60:61], -1
                                        ; implicit-def: $vgpr161
	s_waitcnt lgkmcnt(2)
	v_add_u32_e32 v4, v4, v34
	s_waitcnt lgkmcnt(1)
	v_add3_u32 v64, v38, v35, v32
	s_waitcnt lgkmcnt(0)
	v_add3_u32 v54, v49, v39, v33
	ds_read_b32 v32, v51
	ds_read_b32 v33, v55
	;; [unrolled: 1-line block ×5, first 2 shown]
	s_waitcnt lgkmcnt(4)
	v_add3_u32 v84, v52, v50, v32
	s_waitcnt lgkmcnt(3)
	v_add3_u32 v82, v65, v53, v33
	v_lshlrev_b64 v[32:33], 2, v[4:5]
	v_mov_b32_e32 v65, v5
	v_add_co_u32_e64 v162, s[44:45], v12, v32
	v_lshlrev_b64 v[32:33], 2, v[64:65]
	v_mov_b32_e32 v55, v5
	v_add_co_u32_e64 v163, s[44:45], v12, v32
	v_lshlrev_b64 v[32:33], 2, v[54:55]
	s_waitcnt lgkmcnt(2)
	v_add3_u32 v70, v68, v66, v34
	v_add_co_u32_e64 v164, s[44:45], v12, v32
	v_lshlrev_b64 v[32:33], 2, v[84:85]
	s_waitcnt lgkmcnt(1)
	v_add3_u32 v68, v71, v69, v35
	v_add_co_u32_e64 v165, s[44:45], v12, v32
	v_lshlrev_b64 v[32:33], 2, v[82:83]
	v_mov_b32_e32 v71, v5
	v_add_co_u32_e64 v166, s[44:45], v12, v32
	v_lshlrev_b64 v[32:33], 2, v[70:71]
	v_mov_b32_e32 v69, v5
	v_add_co_u32_e64 v167, s[44:45], v12, v32
	v_lshlrev_b64 v[32:33], 2, v[68:69]
	s_waitcnt lgkmcnt(0)
	v_add3_u32 v66, v81, v37, v36
	v_mov_b32_e32 v67, v5
	v_add_co_u32_e64 v176, s[44:45], v12, v32
	v_lshlrev_b64 v[32:33], 2, v[66:67]
	v_add_co_u32_e64 v177, s[44:45], v12, v32
                                        ; implicit-def: $vgpr85
                                        ; implicit-def: $vgpr83
                                        ; implicit-def: $vgpr71
                                        ; implicit-def: $vgpr69
                                        ; implicit-def: $vgpr67
                                        ; implicit-def: $vgpr65
                                        ; implicit-def: $vgpr55
                                        ; implicit-def: $vgpr32_vgpr33
                                        ; implicit-def: $vgpr34_vgpr35
                                        ; implicit-def: $vgpr36_vgpr37
                                        ; implicit-def: $vgpr38_vgpr39
                                        ; implicit-def: $vgpr48_vgpr49
                                        ; implicit-def: $vgpr50_vgpr51
                                        ; implicit-def: $vgpr52_vgpr53
                                        ; implicit-def: $vgpr80_vgpr81
	s_and_saveexec_b64 s[44:45], s[42:43]
	s_cbranch_execz .LBB1329_28
; %bb.52:                               ;   in Loop: Header=BB1329_29 Depth=1
	v_lshl_add_u32 v32, v4, 2, v162
	s_barrier
	ds_write_b32 v162, v160
	ds_write_b32 v163, v151
	;; [unrolled: 1-line block ×8, first 2 shown]
	s_waitcnt lgkmcnt(0)
	s_barrier
	ds_read_b32 v55, v112
	ds_read_b32 v65, v113
	;; [unrolled: 1-line block ×8, first 2 shown]
	s_waitcnt lgkmcnt(0)
	s_barrier
	ds_write_b64 v32, v[30:31]
	v_lshl_add_u32 v32, v64, 2, v163
	ds_write_b64 v32, v[28:29]
	v_lshl_add_u32 v32, v54, 2, v164
	;; [unrolled: 2-line block ×7, first 2 shown]
	ds_write_b64 v32, v[8:9]
	s_waitcnt lgkmcnt(0)
	s_barrier
	ds_read_b64 v[32:33], v128
	ds_read_b64 v[34:35], v129
	ds_read_b64 v[36:37], v130
	ds_read_b64 v[38:39], v131
	ds_read_b64 v[48:49], v132
	ds_read_b64 v[50:51], v133
	ds_read_b64 v[52:53], v134
	ds_read_b64 v[80:81], v135
	v_add_u32_e32 v144, -8, v144
	s_xor_b64 s[60:61], exec, -1
	s_waitcnt lgkmcnt(0)
	s_barrier
	s_branch .LBB1329_28
.LBB1329_53:
	s_or_b64 exec, exec, s[58:59]
	v_lshl_add_u32 v1, v4, 2, v162
	s_barrier
	ds_write_b32 v162, v160
	ds_write_b32 v163, v151
	ds_write_b32 v164, v150
	ds_write_b32 v165, v149
	ds_write_b32 v166, v148
	ds_write_b32 v167, v147
	ds_write_b32 v176, v146
	ds_write_b32 v177, v145
	s_waitcnt lgkmcnt(0)
	s_barrier
	ds_read2st64_b32 v[38:39], v100 offset1:4
	ds_read2st64_b32 v[36:37], v100 offset0:8 offset1:12
	ds_read2st64_b32 v[34:35], v100 offset0:16 offset1:20
	;; [unrolled: 1-line block ×3, first 2 shown]
	s_waitcnt lgkmcnt(0)
	s_barrier
	ds_write_b64 v1, v[30:31]
	v_lshl_add_u32 v1, v64, 2, v163
	ds_write_b64 v1, v[28:29]
	v_lshl_add_u32 v1, v54, 2, v164
	;; [unrolled: 2-line block ×8, first 2 shown]
	s_waitcnt lgkmcnt(0)
	s_barrier
	ds_read2st64_b64 v[20:23], v1 offset1:4
	ds_read2st64_b64 v[16:19], v1 offset0:8 offset1:12
	ds_read2st64_b64 v[12:15], v1 offset0:16 offset1:20
	;; [unrolled: 1-line block ×3, first 2 shown]
	v_add_co_u32_e32 v4, vcc, v2, v26
	v_mov_b32_e32 v1, 0
	v_addc_co_u32_e32 v5, vcc, v3, v27, vcc
	v_lshlrev_b64 v[2:3], 2, v[0:1]
	v_cmp_lt_u32_e64 s[4:5], v0, v86
	v_add_co_u32_e32 v2, vcc, v4, v2
	v_addc_co_u32_e32 v3, vcc, v5, v3, vcc
	s_waitcnt lgkmcnt(0)
	s_barrier
	s_and_saveexec_b64 s[6:7], s[4:5]
	s_cbranch_execz .LBB1329_55
; %bb.54:
	v_bfrev_b32_e32 v4, -2
	v_cmp_gt_i32_e32 vcc, 0, v38
	v_cndmask_b32_e64 v4, v4, 0, vcc
	v_xor_b32_e32 v4, v4, v38
	flat_store_dword v[2:3], v4
.LBB1329_55:
	s_or_b64 exec, exec, s[6:7]
	v_add_u32_e32 v4, 0x100, v0
	v_cmp_lt_u32_e64 s[6:7], v4, v86
	s_and_saveexec_b64 s[10:11], s[6:7]
	s_cbranch_execz .LBB1329_57
; %bb.56:
	v_bfrev_b32_e32 v4, -2
	v_cmp_gt_i32_e32 vcc, 0, v39
	v_cndmask_b32_e64 v4, v4, 0, vcc
	v_xor_b32_e32 v4, v4, v39
	flat_store_dword v[2:3], v4 offset:1024
.LBB1329_57:
	s_or_b64 exec, exec, s[10:11]
	v_add_u32_e32 v4, 0x200, v0
	v_cmp_lt_u32_e64 s[10:11], v4, v86
	s_and_saveexec_b64 s[14:15], s[10:11]
	s_cbranch_execz .LBB1329_59
; %bb.58:
	v_bfrev_b32_e32 v4, -2
	v_cmp_gt_i32_e32 vcc, 0, v36
	v_cndmask_b32_e64 v4, v4, 0, vcc
	v_xor_b32_e32 v4, v4, v36
	flat_store_dword v[2:3], v4 offset:2048
.LBB1329_59:
	s_or_b64 exec, exec, s[14:15]
	v_add_u32_e32 v4, 0x300, v0
	v_cmp_lt_u32_e64 s[22:23], v4, v86
	s_and_saveexec_b64 s[14:15], s[22:23]
	s_cbranch_execz .LBB1329_61
; %bb.60:
	v_bfrev_b32_e32 v4, -2
	v_cmp_gt_i32_e32 vcc, 0, v37
	v_cndmask_b32_e64 v4, v4, 0, vcc
	v_xor_b32_e32 v4, v4, v37
	flat_store_dword v[2:3], v4 offset:3072
.LBB1329_61:
	s_or_b64 exec, exec, s[14:15]
	v_add_u32_e32 v4, 0x400, v0
	v_cmp_lt_u32_e64 s[14:15], v4, v86
	s_and_saveexec_b64 s[16:17], s[14:15]
	s_cbranch_execz .LBB1329_63
; %bb.62:
	v_bfrev_b32_e32 v4, -2
	v_cmp_gt_i32_e32 vcc, 0, v34
	v_cndmask_b32_e64 v4, v4, 0, vcc
	v_xor_b32_e32 v26, v4, v34
	v_add_co_u32_e32 v4, vcc, 0x1000, v2
	v_addc_co_u32_e32 v5, vcc, 0, v3, vcc
	flat_store_dword v[4:5], v26
.LBB1329_63:
	s_or_b64 exec, exec, s[16:17]
	v_add_u32_e32 v4, 0x500, v0
	v_cmp_lt_u32_e64 s[16:17], v4, v86
	s_and_saveexec_b64 s[18:19], s[16:17]
	s_cbranch_execz .LBB1329_65
; %bb.64:
	v_bfrev_b32_e32 v4, -2
	v_cmp_gt_i32_e32 vcc, 0, v35
	v_cndmask_b32_e64 v4, v4, 0, vcc
	v_xor_b32_e32 v26, v4, v35
	v_add_co_u32_e32 v4, vcc, 0x1000, v2
	v_addc_co_u32_e32 v5, vcc, 0, v3, vcc
	flat_store_dword v[4:5], v26 offset:1024
.LBB1329_65:
	s_or_b64 exec, exec, s[18:19]
	v_add_u32_e32 v4, 0x600, v0
	v_cmp_lt_u32_e64 s[18:19], v4, v86
	s_and_saveexec_b64 s[20:21], s[18:19]
	s_cbranch_execz .LBB1329_67
; %bb.66:
	v_bfrev_b32_e32 v4, -2
	v_cmp_gt_i32_e32 vcc, 0, v32
	v_cndmask_b32_e64 v4, v4, 0, vcc
	v_xor_b32_e32 v26, v4, v32
	v_add_co_u32_e32 v4, vcc, 0x1000, v2
	v_addc_co_u32_e32 v5, vcc, 0, v3, vcc
	flat_store_dword v[4:5], v26 offset:2048
.LBB1329_67:
	s_or_b64 exec, exec, s[20:21]
	v_add_u32_e32 v4, 0x700, v0
	v_cmp_lt_u32_e64 s[20:21], v4, v86
	s_and_saveexec_b64 s[24:25], s[20:21]
	s_cbranch_execz .LBB1329_69
; %bb.68:
	v_bfrev_b32_e32 v4, -2
	v_cmp_gt_i32_e32 vcc, 0, v33
	v_cndmask_b32_e64 v4, v4, 0, vcc
	v_add_co_u32_e32 v2, vcc, 0x1000, v2
	v_xor_b32_e32 v4, v4, v33
	v_addc_co_u32_e32 v3, vcc, 0, v3, vcc
	flat_store_dword v[2:3], v4 offset:3072
.LBB1329_69:
	s_or_b64 exec, exec, s[24:25]
	v_add_co_u32_e32 v2, vcc, v6, v24
	v_lshlrev_b64 v[0:1], 3, v[0:1]
	v_addc_co_u32_e32 v3, vcc, v7, v25, vcc
	v_add_co_u32_e32 v0, vcc, v2, v0
	v_addc_co_u32_e32 v1, vcc, v3, v1, vcc
	s_and_saveexec_b64 s[24:25], s[4:5]
	s_cbranch_execnz .LBB1329_119
; %bb.70:
	s_or_b64 exec, exec, s[24:25]
	s_and_saveexec_b64 s[4:5], s[6:7]
	s_cbranch_execnz .LBB1329_120
.LBB1329_71:
	s_or_b64 exec, exec, s[4:5]
	s_and_saveexec_b64 s[4:5], s[10:11]
	s_cbranch_execnz .LBB1329_121
.LBB1329_72:
	s_or_b64 exec, exec, s[4:5]
	s_and_saveexec_b64 s[4:5], s[22:23]
	s_cbranch_execnz .LBB1329_122
.LBB1329_73:
	s_or_b64 exec, exec, s[4:5]
	s_and_saveexec_b64 s[4:5], s[14:15]
	s_cbranch_execnz .LBB1329_123
.LBB1329_74:
	s_or_b64 exec, exec, s[4:5]
	s_and_saveexec_b64 s[4:5], s[16:17]
	s_cbranch_execnz .LBB1329_124
.LBB1329_75:
	s_or_b64 exec, exec, s[4:5]
	s_and_saveexec_b64 s[4:5], s[18:19]
	s_cbranch_execnz .LBB1329_125
.LBB1329_76:
	s_or_b64 exec, exec, s[4:5]
	s_and_saveexec_b64 s[4:5], s[20:21]
	s_cbranch_execz .LBB1329_78
.LBB1329_77:
	v_add_co_u32_e32 v0, vcc, 0x3000, v0
	v_addc_co_u32_e32 v1, vcc, 0, v1, vcc
	flat_store_dwordx2 v[0:1], v[10:11] offset:2048
.LBB1329_78:
	s_or_b64 exec, exec, s[4:5]
                                        ; implicit-def: $vgpr86
                                        ; implicit-def: $vgpr0
                                        ; implicit-def: $vgpr1
                                        ; implicit-def: $vgpr2
                                        ; implicit-def: $vgpr3
                                        ; implicit-def: $vgpr4
                                        ; implicit-def: $vgpr5
                                        ; implicit-def: $vgpr6
                                        ; implicit-def: $vgpr7
                                        ; implicit-def: $vgpr8
                                        ; implicit-def: $vgpr10
                                        ; implicit-def: $vgpr11
                                        ; implicit-def: $vgpr12
                                        ; implicit-def: $vgpr31
                                        ; implicit-def: $vgpr20
                                        ; implicit-def: $vgpr22
                                        ; implicit-def: $vgpr18
.LBB1329_79:
	s_andn2_saveexec_b64 s[4:5], s[56:57]
	s_cbranch_execz .LBB1329_199
; %bb.80:
	s_movk_i32 s4, 0x200
	v_cmp_lt_u32_e32 vcc, s4, v86
	s_and_saveexec_b64 s[4:5], vcc
	s_xor_b64 s[56:57], exec, s[4:5]
	s_cbranch_execz .LBB1329_140
; %bb.81:
	s_load_dwordx2 s[4:5], s[8:9], 0x0
	v_mov_b32_e32 v9, 0
	v_mbcnt_hi_u32_b32 v32, -1, v18
	v_lshlrev_b64 v[18:19], 2, v[8:9]
	v_and_b32_e32 v17, 0x3ff, v31
	s_waitcnt lgkmcnt(0)
	s_cmp_lt_u32 s13, s5
	s_cselect_b32 s5, 14, 20
	s_add_u32 s6, s8, s5
	s_addc_u32 s7, s9, 0
	s_cmp_lt_u32 s12, s4
	s_cselect_b32 s4, 12, 18
	s_add_u32 s4, s8, s4
	global_load_ushort v16, v9, s[6:7]
	s_addc_u32 s5, s9, 0
	global_load_ushort v21, v9, s[4:5]
	v_add_co_u32_e32 v25, vcc, v0, v18
	v_addc_co_u32_e32 v26, vcc, v1, v19, vcc
	v_and_b32_e32 v33, 63, v32
	v_mov_b32_e32 v23, v9
	v_lshlrev_b32_e32 v24, 2, v33
	v_mov_b32_e32 v13, -1
	v_mov_b32_e32 v14, v13
	v_mov_b32_e32 v15, v13
	s_waitcnt vmcnt(0)
	v_mad_u32_u24 v0, v22, v16, v20
	v_add_co_u32_e32 v16, vcc, v25, v24
	v_mad_u64_u32 v[0:1], s[4:5], v0, v21, v[17:18]
	v_addc_co_u32_e32 v24, vcc, 0, v26, vcc
	v_lshlrev_b32_e32 v1, 2, v0
	v_and_b32_e32 v22, 0xffffff00, v1
	v_lshlrev_b64 v[20:21], 2, v[22:23]
	v_or_b32_e32 v1, v22, v33
	v_add_co_u32_e64 v20, s[4:5], v16, v20
	v_cmp_lt_u32_e32 vcc, v1, v86
	v_addc_co_u32_e64 v21, s[4:5], v24, v21, s[4:5]
	v_mov_b32_e32 v16, v13
	s_and_saveexec_b64 s[4:5], vcc
	s_cbranch_execz .LBB1329_83
; %bb.82:
	flat_load_dword v24, v[20:21]
	v_mov_b32_e32 v25, v13
	v_mov_b32_e32 v26, v13
	;; [unrolled: 1-line block ×3, first 2 shown]
	s_waitcnt vmcnt(0) lgkmcnt(0)
	v_mov_b32_e32 v13, v24
	v_mov_b32_e32 v14, v25
	v_mov_b32_e32 v15, v26
	v_mov_b32_e32 v16, v27
.LBB1329_83:
	s_or_b64 exec, exec, s[4:5]
	v_or_b32_e32 v24, 64, v1
	v_cmp_lt_u32_e64 s[4:5], v24, v86
	s_and_saveexec_b64 s[6:7], s[4:5]
	s_cbranch_execz .LBB1329_85
; %bb.84:
	flat_load_dword v14, v[20:21] offset:256
.LBB1329_85:
	s_or_b64 exec, exec, s[6:7]
	v_or_b32_e32 v24, 0x80, v1
	v_cmp_lt_u32_e64 s[6:7], v24, v86
	s_and_saveexec_b64 s[10:11], s[6:7]
	s_cbranch_execz .LBB1329_87
; %bb.86:
	flat_load_dword v15, v[20:21] offset:512
.LBB1329_87:
	s_or_b64 exec, exec, s[10:11]
	v_or_b32_e32 v1, 0xc0, v1
	v_cmp_lt_u32_e64 s[10:11], v1, v86
	s_and_saveexec_b64 s[14:15], s[10:11]
	s_cbranch_execz .LBB1329_89
; %bb.88:
	flat_load_dword v16, v[20:21] offset:768
.LBB1329_89:
	s_or_b64 exec, exec, s[14:15]
	v_lshlrev_b64 v[20:21], 3, v[8:9]
                                        ; implicit-def: $vgpr24_vgpr25
	v_add_co_u32_e64 v1, s[14:15], v4, v20
	v_addc_co_u32_e64 v4, s[14:15], v5, v21, s[14:15]
	v_lshlrev_b32_e32 v5, 3, v33
	v_add_co_u32_e64 v1, s[14:15], v1, v5
	v_addc_co_u32_e64 v8, s[14:15], 0, v4, s[14:15]
	v_lshlrev_b64 v[4:5], 3, v[22:23]
	v_add_co_u32_e64 v4, s[14:15], v1, v4
	v_addc_co_u32_e64 v5, s[14:15], v8, v5, s[14:15]
	s_and_saveexec_b64 s[14:15], vcc
	s_cbranch_execnz .LBB1329_164
; %bb.90:
	s_or_b64 exec, exec, s[14:15]
                                        ; implicit-def: $vgpr26_vgpr27
	s_and_saveexec_b64 s[14:15], s[4:5]
	s_cbranch_execnz .LBB1329_165
.LBB1329_91:
	s_or_b64 exec, exec, s[14:15]
                                        ; implicit-def: $vgpr28_vgpr29
	s_and_saveexec_b64 s[4:5], s[6:7]
	s_cbranch_execnz .LBB1329_166
.LBB1329_92:
	s_or_b64 exec, exec, s[4:5]
                                        ; implicit-def: $vgpr30_vgpr31
	s_and_saveexec_b64 s[4:5], s[10:11]
	s_cbranch_execz .LBB1329_94
.LBB1329_93:
	flat_load_dwordx2 v[30:31], v[4:5] offset:1536
.LBB1329_94:
	s_or_b64 exec, exec, s[4:5]
	v_bfrev_b32_e32 v1, -2
	v_cmp_gt_i32_e32 vcc, 0, v13
	v_cndmask_b32_e64 v4, v1, 0, vcc
	s_waitcnt vmcnt(0) lgkmcnt(0)
	v_cmp_gt_i32_e32 vcc, 0, v14
	v_xor_b32_e32 v35, v4, v13
	v_cndmask_b32_e64 v4, v1, 0, vcc
	v_cmp_gt_i32_e32 vcc, 0, v15
	v_lshl_add_u32 v8, v17, 4, v12
	v_xor_b32_e32 v37, v4, v14
	v_cndmask_b32_e64 v4, v1, 0, vcc
	v_cmp_gt_i32_e32 vcc, 0, v16
	s_getpc_b64 s[4:5]
	s_add_u32 s4, s4, _ZN7rocprim17ROCPRIM_400000_NS16block_radix_sortIfLj256ELj4ElLj1ELj1ELj8ELNS0_26block_radix_rank_algorithmE2ELNS0_18block_padding_hintE2ELNS0_4arch9wavefront6targetE1EE19radix_bits_per_passE@rel32@lo+4
	s_addc_u32 s5, s5, _ZN7rocprim17ROCPRIM_400000_NS16block_radix_sortIfLj256ELj4ElLj1ELj1ELj8ELNS0_26block_radix_rank_algorithmE2ELNS0_18block_padding_hintE2ELNS0_4arch9wavefront6targetE1EE19radix_bits_per_passE@rel32@hi+12
	v_add_u32_e32 v38, 16, v8
	v_add_u32_e32 v39, 20, v8
	;; [unrolled: 1-line block ×4, first 2 shown]
	v_and_b32_e32 v8, 15, v32
	v_xor_b32_e32 v84, v4, v15
	v_cndmask_b32_e64 v4, v1, 0, vcc
	s_load_dword s62, s[4:5], 0x0
	v_cmp_eq_u32_e32 vcc, 0, v8
	v_cmp_lt_u32_e64 s[4:5], 1, v8
	v_cmp_lt_u32_e64 s[6:7], 3, v8
	;; [unrolled: 1-line block ×3, first 2 shown]
	v_and_b32_e32 v8, 16, v32
	v_cmp_eq_u32_e64 s[40:41], 0, v8
	v_and_b32_e32 v8, 0x3c0, v17
	v_min_u32_e32 v8, 0xc0, v8
	v_or_b32_e32 v8, 63, v8
	v_cmp_eq_u32_e64 s[16:17], v17, v8
	v_subrev_co_u32_e64 v8, s[22:23], 1, v32
	v_and_b32_e32 v9, 64, v32
	v_xor_b32_e32 v85, v4, v16
	v_lshlrev_b32_e32 v4, 2, v17
	v_cmp_lt_i32_e64 s[24:25], v8, v9
	s_movk_i32 s42, 0xf00
	v_cndmask_b32_e64 v8, v8, v32, s[24:25]
	v_add_co_u32_e64 v51, s[26:27], v12, v4
	v_and_or_b32 v4, v4, s42, v33
	v_lshlrev_b32_e32 v52, 2, v8
	v_lshrrev_b32_e32 v8, 4, v17
	v_lshlrev_b32_e32 v4, 2, v4
	v_and_b32_e32 v8, 60, v8
	v_add_u32_e32 v55, v12, v4
	v_add_u32_e32 v53, v12, v8
	v_and_b32_e32 v8, 3, v32
	v_add_u32_e32 v67, v55, v4
	v_mov_b32_e32 v5, 0
	v_lshrrev_b32_e32 v50, 6, v0
	v_cmp_lt_u32_e64 s[14:15], 31, v32
	v_cmp_gt_u32_e64 s[18:19], 4, v17
	v_cmp_lt_u32_e64 s[20:21], 63, v17
	v_cmp_eq_u32_e64 s[24:25], 0, v17
	v_cmp_eq_u32_e64 s[26:27], 0, v8
	v_cmp_lt_u32_e64 s[28:29], 1, v8
	v_add_u32_e32 v54, -4, v53
	v_add_u32_e32 v64, 0x100, v55
	v_add_u32_e32 v65, 0x200, v55
	;; [unrolled: 1-line block ×6, first 2 shown]
	v_sub_u32_e32 v71, v11, v10
	s_mov_b64 s[58:59], 0
	s_brev_b32 s63, 1
	s_waitcnt lgkmcnt(0)
	s_barrier
	s_branch .LBB1329_96
.LBB1329_95:                            ;   in Loop: Header=BB1329_96 Depth=1
	s_or_b64 exec, exec, s[44:45]
	s_and_b64 s[42:43], exec, s[60:61]
	s_or_b64 s[58:59], s[42:43], s[58:59]
	s_andn2_b64 exec, exec, s[58:59]
	s_cbranch_execz .LBB1329_126
.LBB1329_96:                            ; =>This Inner Loop Header: Depth=1
	v_mov_b32_e32 v83, v35
	v_min_u32_e32 v4, s62, v71
	v_mov_b32_e32 v13, v28
	v_lshlrev_b32_e64 v4, v4, -1
	v_cmp_ne_u32_e64 s[42:43], s63, v83
	v_mov_b32_e32 v14, v29
	v_not_b32_e32 v29, v4
	v_cndmask_b32_e64 v4, v1, v83, s[42:43]
	v_mov_b32_e32 v15, v26
	v_lshrrev_b32_e32 v4, v10, v4
	v_mov_b32_e32 v16, v27
	v_and_b32_e32 v26, v4, v29
	v_mov_b32_e32 v22, v24
	v_lshl_add_u32 v4, v26, 2, v50
	v_mov_b32_e32 v23, v25
	v_lshlrev_b64 v[24:25], 2, v[4:5]
	v_mov_b32_e32 v8, v30
	v_add_co_u32_e64 v4, s[42:43], v12, v24
	v_add_co_u32_e64 v4, s[42:43], 16, v4
	v_and_b32_e32 v24, 1, v26
	v_add_co_u32_e64 v25, s[42:43], -1, v24
	v_addc_co_u32_e64 v27, s[42:43], 0, -1, s[42:43]
	v_cmp_ne_u32_e64 s[42:43], 0, v24
	v_xor_b32_e32 v24, s43, v27
	v_xor_b32_e32 v25, s42, v25
	v_and_b32_e32 v27, exec_hi, v24
	v_and_b32_e32 v28, exec_lo, v25
	v_lshlrev_b32_e32 v25, 30, v26
	v_mov_b32_e32 v24, v5
	v_cmp_gt_i64_e64 s[42:43], 0, v[24:25]
	v_not_b32_e32 v24, v25
	v_ashrrev_i32_e32 v24, 31, v24
	v_xor_b32_e32 v25, s43, v24
	v_xor_b32_e32 v24, s42, v24
	v_and_b32_e32 v27, v27, v25
	v_and_b32_e32 v28, v28, v24
	v_lshlrev_b32_e32 v25, 29, v26
	v_mov_b32_e32 v24, v5
	v_cmp_gt_i64_e64 s[42:43], 0, v[24:25]
	v_not_b32_e32 v24, v25
	v_ashrrev_i32_e32 v24, 31, v24
	v_xor_b32_e32 v25, s43, v24
	v_xor_b32_e32 v24, s42, v24
	v_and_b32_e32 v27, v27, v25
	v_and_b32_e32 v28, v28, v24
	;; [unrolled: 9-line block ×7, first 2 shown]
	v_mbcnt_lo_u32_b32 v26, v24, 0
	v_mbcnt_hi_u32_b32 v26, v25, v26
	v_cmp_ne_u64_e64 s[42:43], 0, v[24:25]
	v_cmp_eq_u32_e64 s[44:45], 0, v26
	v_mov_b32_e32 v80, v85
	v_mov_b32_e32 v81, v84
	;; [unrolled: 1-line block ×4, first 2 shown]
	s_and_b64 s[44:45], s[42:43], s[44:45]
	ds_write_b32 v38, v5
	ds_write_b32 v39, v5
	;; [unrolled: 1-line block ×4, first 2 shown]
	s_waitcnt lgkmcnt(0)
	s_barrier
	; wave barrier
	s_and_saveexec_b64 s[42:43], s[44:45]
; %bb.97:                               ;   in Loop: Header=BB1329_96 Depth=1
	v_bcnt_u32_b32 v24, v24, 0
	v_bcnt_u32_b32 v24, v25, v24
	ds_write_b32 v4, v24
; %bb.98:                               ;   in Loop: Header=BB1329_96 Depth=1
	s_or_b64 exec, exec, s[42:43]
	v_cmp_ne_u32_e64 s[42:43], s63, v82
	v_cndmask_b32_e64 v24, v1, v82, s[42:43]
	v_lshrrev_b32_e32 v24, v10, v24
	v_and_b32_e32 v30, v24, v29
	v_lshl_add_u32 v24, v30, 2, v50
	v_lshl_add_u32 v24, v24, 2, v12
	; wave barrier
	v_add_u32_e32 v28, 16, v24
	ds_read_b32 v27, v24 offset:16
	v_and_b32_e32 v24, 1, v30
	v_add_co_u32_e64 v25, s[42:43], -1, v24
	v_addc_co_u32_e64 v31, s[42:43], 0, -1, s[42:43]
	v_cmp_ne_u32_e64 s[42:43], 0, v24
	v_xor_b32_e32 v24, s43, v31
	v_xor_b32_e32 v25, s42, v25
	v_and_b32_e32 v31, exec_hi, v24
	v_and_b32_e32 v32, exec_lo, v25
	v_lshlrev_b32_e32 v25, 30, v30
	v_mov_b32_e32 v24, v5
	v_cmp_gt_i64_e64 s[42:43], 0, v[24:25]
	v_not_b32_e32 v24, v25
	v_ashrrev_i32_e32 v24, 31, v24
	v_xor_b32_e32 v25, s43, v24
	v_xor_b32_e32 v24, s42, v24
	v_and_b32_e32 v31, v31, v25
	v_and_b32_e32 v32, v32, v24
	v_lshlrev_b32_e32 v25, 29, v30
	v_mov_b32_e32 v24, v5
	v_cmp_gt_i64_e64 s[42:43], 0, v[24:25]
	v_not_b32_e32 v24, v25
	v_ashrrev_i32_e32 v24, 31, v24
	v_xor_b32_e32 v25, s43, v24
	v_xor_b32_e32 v24, s42, v24
	v_and_b32_e32 v31, v31, v25
	v_and_b32_e32 v32, v32, v24
	;; [unrolled: 9-line block ×7, first 2 shown]
	v_mbcnt_lo_u32_b32 v30, v24, 0
	v_mbcnt_hi_u32_b32 v30, v25, v30
	v_cmp_ne_u64_e64 s[42:43], 0, v[24:25]
	v_cmp_eq_u32_e64 s[44:45], 0, v30
	s_and_b64 s[44:45], s[42:43], s[44:45]
	; wave barrier
	s_and_saveexec_b64 s[42:43], s[44:45]
	s_cbranch_execz .LBB1329_100
; %bb.99:                               ;   in Loop: Header=BB1329_96 Depth=1
	v_bcnt_u32_b32 v24, v24, 0
	v_bcnt_u32_b32 v24, v25, v24
	s_waitcnt lgkmcnt(0)
	v_add_u32_e32 v24, v27, v24
	ds_write_b32 v28, v24
.LBB1329_100:                           ;   in Loop: Header=BB1329_96 Depth=1
	s_or_b64 exec, exec, s[42:43]
	v_cmp_ne_u32_e64 s[42:43], s63, v81
	v_cndmask_b32_e64 v24, v1, v81, s[42:43]
	v_lshrrev_b32_e32 v24, v10, v24
	v_and_b32_e32 v33, v24, v29
	v_lshl_add_u32 v24, v33, 2, v50
	v_lshl_add_u32 v24, v24, 2, v12
	; wave barrier
	v_add_u32_e32 v32, 16, v24
	ds_read_b32 v31, v24 offset:16
	v_and_b32_e32 v24, 1, v33
	v_add_co_u32_e64 v25, s[42:43], -1, v24
	v_addc_co_u32_e64 v34, s[42:43], 0, -1, s[42:43]
	v_cmp_ne_u32_e64 s[42:43], 0, v24
	v_xor_b32_e32 v24, s43, v34
	v_xor_b32_e32 v25, s42, v25
	v_and_b32_e32 v34, exec_hi, v24
	v_and_b32_e32 v35, exec_lo, v25
	v_lshlrev_b32_e32 v25, 30, v33
	v_mov_b32_e32 v24, v5
	v_cmp_gt_i64_e64 s[42:43], 0, v[24:25]
	v_not_b32_e32 v24, v25
	v_ashrrev_i32_e32 v24, 31, v24
	v_xor_b32_e32 v25, s43, v24
	v_xor_b32_e32 v24, s42, v24
	v_and_b32_e32 v34, v34, v25
	v_and_b32_e32 v35, v35, v24
	v_lshlrev_b32_e32 v25, 29, v33
	v_mov_b32_e32 v24, v5
	v_cmp_gt_i64_e64 s[42:43], 0, v[24:25]
	v_not_b32_e32 v24, v25
	v_ashrrev_i32_e32 v24, 31, v24
	v_xor_b32_e32 v25, s43, v24
	v_xor_b32_e32 v24, s42, v24
	v_and_b32_e32 v34, v34, v25
	v_and_b32_e32 v35, v35, v24
	;; [unrolled: 9-line block ×7, first 2 shown]
	v_mbcnt_lo_u32_b32 v33, v24, 0
	v_mbcnt_hi_u32_b32 v33, v25, v33
	v_cmp_ne_u64_e64 s[42:43], 0, v[24:25]
	v_cmp_eq_u32_e64 s[44:45], 0, v33
	s_and_b64 s[44:45], s[42:43], s[44:45]
	; wave barrier
	s_and_saveexec_b64 s[42:43], s[44:45]
	s_cbranch_execz .LBB1329_102
; %bb.101:                              ;   in Loop: Header=BB1329_96 Depth=1
	v_bcnt_u32_b32 v24, v24, 0
	v_bcnt_u32_b32 v24, v25, v24
	s_waitcnt lgkmcnt(0)
	v_add_u32_e32 v24, v31, v24
	ds_write_b32 v32, v24
.LBB1329_102:                           ;   in Loop: Header=BB1329_96 Depth=1
	s_or_b64 exec, exec, s[42:43]
	v_cmp_ne_u32_e64 s[42:43], s63, v80
	v_cndmask_b32_e64 v24, v1, v80, s[42:43]
	v_lshrrev_b32_e32 v24, v10, v24
	v_and_b32_e32 v35, v24, v29
	v_lshl_add_u32 v24, v35, 2, v50
	v_lshl_add_u32 v24, v24, 2, v12
	; wave barrier
	v_add_u32_e32 v34, 16, v24
	ds_read_b32 v29, v24 offset:16
	v_and_b32_e32 v24, 1, v35
	v_add_co_u32_e64 v25, s[42:43], -1, v24
	v_addc_co_u32_e64 v36, s[42:43], 0, -1, s[42:43]
	v_cmp_ne_u32_e64 s[42:43], 0, v24
	v_xor_b32_e32 v24, s43, v36
	v_xor_b32_e32 v25, s42, v25
	v_and_b32_e32 v36, exec_hi, v24
	v_and_b32_e32 v37, exec_lo, v25
	v_lshlrev_b32_e32 v25, 30, v35
	v_mov_b32_e32 v24, v5
	v_cmp_gt_i64_e64 s[42:43], 0, v[24:25]
	v_not_b32_e32 v24, v25
	v_ashrrev_i32_e32 v24, 31, v24
	v_xor_b32_e32 v25, s43, v24
	v_xor_b32_e32 v24, s42, v24
	v_and_b32_e32 v36, v36, v25
	v_and_b32_e32 v37, v37, v24
	v_lshlrev_b32_e32 v25, 29, v35
	v_mov_b32_e32 v24, v5
	v_cmp_gt_i64_e64 s[42:43], 0, v[24:25]
	v_not_b32_e32 v24, v25
	v_ashrrev_i32_e32 v24, 31, v24
	v_xor_b32_e32 v25, s43, v24
	v_xor_b32_e32 v24, s42, v24
	v_and_b32_e32 v36, v36, v25
	v_and_b32_e32 v37, v37, v24
	;; [unrolled: 9-line block ×7, first 2 shown]
	v_mbcnt_lo_u32_b32 v35, v24, 0
	v_mbcnt_hi_u32_b32 v35, v25, v35
	v_cmp_ne_u64_e64 s[42:43], 0, v[24:25]
	v_cmp_eq_u32_e64 s[44:45], 0, v35
	s_and_b64 s[44:45], s[42:43], s[44:45]
	; wave barrier
	s_and_saveexec_b64 s[42:43], s[44:45]
	s_cbranch_execz .LBB1329_104
; %bb.103:                              ;   in Loop: Header=BB1329_96 Depth=1
	v_bcnt_u32_b32 v24, v24, 0
	v_bcnt_u32_b32 v24, v25, v24
	s_waitcnt lgkmcnt(0)
	v_add_u32_e32 v24, v29, v24
	ds_write_b32 v34, v24
.LBB1329_104:                           ;   in Loop: Header=BB1329_96 Depth=1
	s_or_b64 exec, exec, s[42:43]
	; wave barrier
	s_waitcnt lgkmcnt(0)
	s_barrier
	ds_read_b32 v36, v38
	ds_read_b32 v25, v39
	;; [unrolled: 1-line block ×4, first 2 shown]
	s_waitcnt lgkmcnt(2)
	v_add_u32_e32 v84, v25, v36
	s_waitcnt lgkmcnt(0)
	v_add3_u32 v37, v84, v24, v37
	s_nop 1
	v_mov_b32_dpp v84, v37 row_shr:1 row_mask:0xf bank_mask:0xf
	v_cndmask_b32_e64 v84, v84, 0, vcc
	v_add_u32_e32 v37, v84, v37
	s_nop 1
	v_mov_b32_dpp v84, v37 row_shr:2 row_mask:0xf bank_mask:0xf
	v_cndmask_b32_e64 v84, 0, v84, s[4:5]
	v_add_u32_e32 v37, v37, v84
	s_nop 1
	v_mov_b32_dpp v84, v37 row_shr:4 row_mask:0xf bank_mask:0xf
	v_cndmask_b32_e64 v84, 0, v84, s[6:7]
	;; [unrolled: 4-line block ×3, first 2 shown]
	v_add_u32_e32 v37, v37, v84
	s_nop 1
	v_mov_b32_dpp v84, v37 row_bcast:15 row_mask:0xf bank_mask:0xf
	v_cndmask_b32_e64 v84, v84, 0, s[40:41]
	v_add_u32_e32 v37, v37, v84
	s_nop 1
	v_mov_b32_dpp v84, v37 row_bcast:31 row_mask:0xf bank_mask:0xf
	v_cndmask_b32_e64 v84, 0, v84, s[14:15]
	v_add_u32_e32 v37, v37, v84
	s_and_saveexec_b64 s[42:43], s[16:17]
; %bb.105:                              ;   in Loop: Header=BB1329_96 Depth=1
	ds_write_b32 v53, v37
; %bb.106:                              ;   in Loop: Header=BB1329_96 Depth=1
	s_or_b64 exec, exec, s[42:43]
	s_waitcnt lgkmcnt(0)
	s_barrier
	s_and_saveexec_b64 s[42:43], s[18:19]
	s_cbranch_execz .LBB1329_108
; %bb.107:                              ;   in Loop: Header=BB1329_96 Depth=1
	ds_read_b32 v84, v51
	s_waitcnt lgkmcnt(0)
	s_nop 0
	v_mov_b32_dpp v85, v84 row_shr:1 row_mask:0xf bank_mask:0xf
	v_cndmask_b32_e64 v85, v85, 0, s[26:27]
	v_add_u32_e32 v84, v85, v84
	s_nop 1
	v_mov_b32_dpp v85, v84 row_shr:2 row_mask:0xf bank_mask:0xf
	v_cndmask_b32_e64 v85, 0, v85, s[28:29]
	v_add_u32_e32 v84, v84, v85
	ds_write_b32 v51, v84
.LBB1329_108:                           ;   in Loop: Header=BB1329_96 Depth=1
	s_or_b64 exec, exec, s[42:43]
	v_mov_b32_e32 v84, 0
	s_waitcnt lgkmcnt(0)
	s_barrier
	s_and_saveexec_b64 s[42:43], s[20:21]
; %bb.109:                              ;   in Loop: Header=BB1329_96 Depth=1
	ds_read_b32 v84, v54
; %bb.110:                              ;   in Loop: Header=BB1329_96 Depth=1
	s_or_b64 exec, exec, s[42:43]
	s_waitcnt lgkmcnt(0)
	v_add_u32_e32 v37, v84, v37
	ds_bpermute_b32 v37, v52, v37
	v_add_u32_e32 v10, 8, v10
	v_cmp_lt_u32_e64 s[42:43], v10, v11
	s_mov_b64 s[60:61], -1
                                        ; implicit-def: $vgpr85
	s_waitcnt lgkmcnt(0)
	v_cndmask_b32_e64 v37, v37, v84, s[22:23]
	v_cndmask_b32_e64 v37, v37, 0, s[24:25]
	v_add_u32_e32 v36, v37, v36
	v_add_u32_e32 v25, v36, v25
	v_add_u32_e32 v24, v25, v24
	ds_write_b32 v38, v37
	ds_write_b32 v39, v36
	;; [unrolled: 1-line block ×4, first 2 shown]
	s_waitcnt lgkmcnt(0)
	s_barrier
	ds_read_b32 v4, v4
	ds_read_b32 v24, v28
	;; [unrolled: 1-line block ×4, first 2 shown]
	v_mov_b32_e32 v37, v5
	s_waitcnt lgkmcnt(3)
	v_add_u32_e32 v4, v4, v26
	s_waitcnt lgkmcnt(2)
	v_add3_u32 v36, v30, v27, v24
	s_waitcnt lgkmcnt(1)
	v_add3_u32 v34, v33, v31, v25
	v_lshlrev_b64 v[24:25], 2, v[4:5]
	s_waitcnt lgkmcnt(0)
	v_add3_u32 v32, v35, v29, v28
	v_add_co_u32_e64 v87, s[44:45], v12, v24
	v_lshlrev_b64 v[24:25], 2, v[36:37]
	v_mov_b32_e32 v35, v5
	v_add_co_u32_e64 v96, s[44:45], v12, v24
	v_lshlrev_b64 v[24:25], 2, v[34:35]
	v_mov_b32_e32 v33, v5
	v_add_co_u32_e64 v97, s[44:45], v12, v24
	v_lshlrev_b64 v[24:25], 2, v[32:33]
	v_add_co_u32_e64 v33, s[44:45], v12, v24
                                        ; implicit-def: $vgpr84
                                        ; implicit-def: $vgpr37
                                        ; implicit-def: $vgpr35
                                        ; implicit-def: $vgpr24_vgpr25
                                        ; implicit-def: $vgpr26_vgpr27
                                        ; implicit-def: $vgpr28_vgpr29
                                        ; implicit-def: $vgpr30_vgpr31
	s_and_saveexec_b64 s[44:45], s[42:43]
	s_cbranch_execz .LBB1329_95
; %bb.111:                              ;   in Loop: Header=BB1329_96 Depth=1
	v_lshl_add_u32 v24, v4, 2, v87
	s_barrier
	ds_write_b32 v87, v83
	ds_write_b32 v96, v82
	;; [unrolled: 1-line block ×4, first 2 shown]
	s_waitcnt lgkmcnt(0)
	s_barrier
	ds_read_b32 v35, v55
	ds_read_b32 v37, v64
	;; [unrolled: 1-line block ×4, first 2 shown]
	s_waitcnt lgkmcnt(0)
	s_barrier
	ds_write_b64 v24, v[22:23]
	v_lshl_add_u32 v24, v36, 2, v96
	ds_write_b64 v24, v[15:16]
	v_lshl_add_u32 v24, v34, 2, v97
	;; [unrolled: 2-line block ×3, first 2 shown]
	ds_write_b64 v24, v[8:9]
	s_waitcnt lgkmcnt(0)
	s_barrier
	ds_read_b64 v[24:25], v67
	ds_read_b64 v[26:27], v68
	;; [unrolled: 1-line block ×4, first 2 shown]
	v_add_u32_e32 v71, -8, v71
	s_xor_b64 s[60:61], exec, -1
	s_waitcnt lgkmcnt(0)
	s_barrier
	s_branch .LBB1329_95
.LBB1329_112:
	flat_load_dwordx2 v[32:33], v[4:5]
	s_or_b64 exec, exec, s[22:23]
                                        ; implicit-def: $vgpr34_vgpr35
	s_and_saveexec_b64 s[22:23], s[4:5]
	s_cbranch_execz .LBB1329_20
.LBB1329_113:
	flat_load_dwordx2 v[34:35], v[4:5] offset:512
	s_or_b64 exec, exec, s[22:23]
                                        ; implicit-def: $vgpr36_vgpr37
	s_and_saveexec_b64 s[4:5], s[6:7]
	s_cbranch_execz .LBB1329_21
.LBB1329_114:
	flat_load_dwordx2 v[36:37], v[4:5] offset:1024
	s_or_b64 exec, exec, s[4:5]
                                        ; implicit-def: $vgpr38_vgpr39
	s_and_saveexec_b64 s[4:5], s[10:11]
	s_cbranch_execz .LBB1329_22
.LBB1329_115:
	flat_load_dwordx2 v[38:39], v[4:5] offset:1536
	s_or_b64 exec, exec, s[4:5]
                                        ; implicit-def: $vgpr48_vgpr49
	s_and_saveexec_b64 s[4:5], s[20:21]
	s_cbranch_execz .LBB1329_23
.LBB1329_116:
	flat_load_dwordx2 v[48:49], v[4:5] offset:2048
	s_or_b64 exec, exec, s[4:5]
                                        ; implicit-def: $vgpr50_vgpr51
	s_and_saveexec_b64 s[4:5], s[14:15]
	s_cbranch_execz .LBB1329_24
.LBB1329_117:
	flat_load_dwordx2 v[50:51], v[4:5] offset:2560
	s_or_b64 exec, exec, s[4:5]
                                        ; implicit-def: $vgpr52_vgpr53
	s_and_saveexec_b64 s[4:5], s[16:17]
	s_cbranch_execz .LBB1329_25
.LBB1329_118:
	flat_load_dwordx2 v[52:53], v[4:5] offset:3072
	s_or_b64 exec, exec, s[4:5]
                                        ; implicit-def: $vgpr80_vgpr81
	s_and_saveexec_b64 s[4:5], s[18:19]
	s_cbranch_execnz .LBB1329_26
	s_branch .LBB1329_27
.LBB1329_119:
	flat_store_dwordx2 v[0:1], v[20:21]
	s_or_b64 exec, exec, s[24:25]
	s_and_saveexec_b64 s[4:5], s[6:7]
	s_cbranch_execz .LBB1329_71
.LBB1329_120:
	flat_store_dwordx2 v[0:1], v[22:23] offset:2048
	s_or_b64 exec, exec, s[4:5]
	s_and_saveexec_b64 s[4:5], s[10:11]
	s_cbranch_execz .LBB1329_72
.LBB1329_121:
	v_add_co_u32_e32 v2, vcc, 0x1000, v0
	v_addc_co_u32_e32 v3, vcc, 0, v1, vcc
	flat_store_dwordx2 v[2:3], v[16:17]
	s_or_b64 exec, exec, s[4:5]
	s_and_saveexec_b64 s[4:5], s[22:23]
	s_cbranch_execz .LBB1329_73
.LBB1329_122:
	v_add_co_u32_e32 v2, vcc, 0x1000, v0
	v_addc_co_u32_e32 v3, vcc, 0, v1, vcc
	flat_store_dwordx2 v[2:3], v[18:19] offset:2048
	s_or_b64 exec, exec, s[4:5]
	s_and_saveexec_b64 s[4:5], s[14:15]
	s_cbranch_execz .LBB1329_74
.LBB1329_123:
	v_add_co_u32_e32 v2, vcc, 0x2000, v0
	v_addc_co_u32_e32 v3, vcc, 0, v1, vcc
	flat_store_dwordx2 v[2:3], v[12:13]
	s_or_b64 exec, exec, s[4:5]
	s_and_saveexec_b64 s[4:5], s[16:17]
	s_cbranch_execz .LBB1329_75
.LBB1329_124:
	v_add_co_u32_e32 v2, vcc, 0x2000, v0
	v_addc_co_u32_e32 v3, vcc, 0, v1, vcc
	flat_store_dwordx2 v[2:3], v[14:15] offset:2048
	s_or_b64 exec, exec, s[4:5]
	s_and_saveexec_b64 s[4:5], s[18:19]
	s_cbranch_execz .LBB1329_76
.LBB1329_125:
	v_add_co_u32_e32 v2, vcc, 0x3000, v0
	v_addc_co_u32_e32 v3, vcc, 0, v1, vcc
	flat_store_dwordx2 v[2:3], v[8:9]
	s_or_b64 exec, exec, s[4:5]
	s_and_saveexec_b64 s[4:5], s[20:21]
	s_cbranch_execnz .LBB1329_77
	s_branch .LBB1329_78
.LBB1329_126:
	s_or_b64 exec, exec, s[58:59]
	v_lshl_add_u32 v1, v4, 2, v87
	s_barrier
	ds_write_b32 v87, v83
	ds_write_b32 v96, v82
	;; [unrolled: 1-line block ×4, first 2 shown]
	s_waitcnt lgkmcnt(0)
	s_barrier
	ds_read2st64_b32 v[26:27], v51 offset1:4
	ds_read2st64_b32 v[24:25], v51 offset0:8 offset1:12
	s_waitcnt lgkmcnt(0)
	s_barrier
	ds_write_b64 v1, v[22:23]
	v_lshl_add_u32 v1, v36, 2, v96
	ds_write_b64 v1, v[15:16]
	v_lshl_add_u32 v1, v34, 2, v97
	;; [unrolled: 2-line block ×4, first 2 shown]
	s_waitcnt lgkmcnt(0)
	s_barrier
	ds_read2st64_b64 v[12:15], v1 offset1:4
	ds_read2st64_b64 v[8:11], v1 offset0:8 offset1:12
	v_add_co_u32_e32 v4, vcc, v2, v18
	v_mov_b32_e32 v1, 0
	v_addc_co_u32_e32 v5, vcc, v3, v19, vcc
	v_lshlrev_b64 v[2:3], 2, v[0:1]
	s_waitcnt lgkmcnt(0)
	v_add_co_u32_e32 v2, vcc, v4, v2
	v_addc_co_u32_e32 v3, vcc, v5, v3, vcc
	v_cmp_lt_u32_e32 vcc, v0, v86
	s_barrier
	s_and_saveexec_b64 s[6:7], vcc
	s_cbranch_execz .LBB1329_128
; %bb.127:
	v_bfrev_b32_e32 v4, -2
	v_cmp_gt_i32_e64 s[4:5], 0, v26
	v_cndmask_b32_e64 v4, v4, 0, s[4:5]
	v_xor_b32_e32 v4, v4, v26
	flat_store_dword v[2:3], v4
.LBB1329_128:
	s_or_b64 exec, exec, s[6:7]
	v_add_u32_e32 v4, 0x100, v0
	v_cmp_lt_u32_e64 s[4:5], v4, v86
	s_and_saveexec_b64 s[10:11], s[4:5]
	s_cbranch_execz .LBB1329_130
; %bb.129:
	v_bfrev_b32_e32 v4, -2
	v_cmp_gt_i32_e64 s[6:7], 0, v27
	v_cndmask_b32_e64 v4, v4, 0, s[6:7]
	v_xor_b32_e32 v4, v4, v27
	flat_store_dword v[2:3], v4 offset:1024
.LBB1329_130:
	s_or_b64 exec, exec, s[10:11]
	v_add_u32_e32 v4, 0x200, v0
	v_cmp_lt_u32_e64 s[6:7], v4, v86
	s_and_saveexec_b64 s[14:15], s[6:7]
	s_cbranch_execz .LBB1329_132
; %bb.131:
	v_bfrev_b32_e32 v4, -2
	v_cmp_gt_i32_e64 s[10:11], 0, v24
	v_cndmask_b32_e64 v4, v4, 0, s[10:11]
	v_xor_b32_e32 v4, v4, v24
	flat_store_dword v[2:3], v4 offset:2048
.LBB1329_132:
	;; [unrolled: 12-line block ×3, first 2 shown]
	s_or_b64 exec, exec, s[16:17]
	v_add_co_u32_e64 v2, s[14:15], v6, v20
	v_lshlrev_b64 v[0:1], 3, v[0:1]
	v_addc_co_u32_e64 v3, s[14:15], v7, v21, s[14:15]
	v_add_co_u32_e64 v0, s[14:15], v2, v0
	v_addc_co_u32_e64 v1, s[14:15], v3, v1, s[14:15]
	s_and_saveexec_b64 s[14:15], vcc
	s_cbranch_execnz .LBB1329_167
; %bb.135:
	s_or_b64 exec, exec, s[14:15]
	s_and_saveexec_b64 s[14:15], s[4:5]
	s_cbranch_execnz .LBB1329_168
.LBB1329_136:
	s_or_b64 exec, exec, s[14:15]
	s_and_saveexec_b64 s[4:5], s[6:7]
	s_cbranch_execnz .LBB1329_169
.LBB1329_137:
	s_or_b64 exec, exec, s[4:5]
	s_and_saveexec_b64 s[4:5], s[10:11]
	s_cbranch_execz .LBB1329_139
.LBB1329_138:
	v_add_co_u32_e32 v0, vcc, 0x1000, v0
	v_addc_co_u32_e32 v1, vcc, 0, v1, vcc
	flat_store_dwordx2 v[0:1], v[10:11] offset:2048
.LBB1329_139:
	s_or_b64 exec, exec, s[4:5]
                                        ; implicit-def: $vgpr86
                                        ; implicit-def: $vgpr0
                                        ; implicit-def: $vgpr1
                                        ; implicit-def: $vgpr2
                                        ; implicit-def: $vgpr3
                                        ; implicit-def: $vgpr4
                                        ; implicit-def: $vgpr5
                                        ; implicit-def: $vgpr6
                                        ; implicit-def: $vgpr7
                                        ; implicit-def: $vgpr8
                                        ; implicit-def: $vgpr10
                                        ; implicit-def: $vgpr11
                                        ; implicit-def: $vgpr12
                                        ; implicit-def: $vgpr31
                                        ; implicit-def: $vgpr20
                                        ; implicit-def: $vgpr22
                                        ; implicit-def: $vgpr18
.LBB1329_140:
	s_andn2_saveexec_b64 s[4:5], s[56:57]
	s_cbranch_execz .LBB1329_199
; %bb.141:
	s_load_dwordx2 s[4:5], s[8:9], 0x0
	v_mov_b32_e32 v9, 0
	v_and_b32_e32 v17, 0x3ff, v31
	v_lshlrev_b64 v[15:16], 2, v[8:9]
	s_waitcnt lgkmcnt(0)
	s_cmp_lt_u32 s13, s5
	s_cselect_b32 s5, 14, 20
	s_add_u32 s6, s8, s5
	s_addc_u32 s7, s9, 0
	s_cmp_lt_u32 s12, s4
	s_cselect_b32 s4, 12, 18
	s_add_u32 s4, s8, s4
	global_load_ushort v13, v9, s[6:7]
	s_addc_u32 s5, s9, 0
	global_load_ushort v14, v9, s[4:5]
	s_waitcnt vmcnt(0)
	v_mad_u32_u24 v13, v22, v13, v20
	v_mad_u64_u32 v[13:14], s[4:5], v13, v14, v[17:18]
	s_movk_i32 s4, 0x100
	v_cmp_lt_u32_e32 vcc, s4, v86
	s_and_saveexec_b64 s[4:5], vcc
	s_xor_b64 s[42:43], exec, s[4:5]
	s_cbranch_execz .LBB1329_179
; %bb.142:
	v_mbcnt_hi_u32_b32 v25, -1, v18
	v_add_co_u32_e32 v0, vcc, v0, v15
	v_and_b32_e32 v24, 63, v25
	v_lshlrev_b32_e32 v14, 1, v13
	v_addc_co_u32_e32 v1, vcc, v1, v16, vcc
	v_and_b32_e32 v20, 0xffffff80, v14
	v_lshlrev_b32_e32 v14, 2, v24
	v_add_co_u32_e32 v14, vcc, v0, v14
	v_mov_b32_e32 v21, v9
	v_addc_co_u32_e32 v18, vcc, 0, v1, vcc
	v_lshlrev_b64 v[0:1], 2, v[20:21]
	v_add_co_u32_e32 v0, vcc, v14, v0
	v_addc_co_u32_e32 v1, vcc, v18, v1, vcc
	v_or_b32_e32 v14, v24, v20
	v_mov_b32_e32 v18, -1
	v_cmp_lt_u32_e32 vcc, v14, v86
	v_mov_b32_e32 v19, v18
	s_and_saveexec_b64 s[4:5], vcc
	s_cbranch_execz .LBB1329_144
; %bb.143:
	flat_load_dword v22, v[0:1]
	v_mov_b32_e32 v23, v18
	s_waitcnt vmcnt(0) lgkmcnt(0)
	v_mov_b32_e32 v18, v22
	v_mov_b32_e32 v19, v23
.LBB1329_144:
	s_or_b64 exec, exec, s[4:5]
	v_or_b32_e32 v14, 64, v14
	v_cmp_lt_u32_e64 s[4:5], v14, v86
	s_and_saveexec_b64 s[6:7], s[4:5]
	s_cbranch_execz .LBB1329_146
; %bb.145:
	flat_load_dword v19, v[0:1] offset:256
.LBB1329_146:
	s_or_b64 exec, exec, s[6:7]
	v_lshlrev_b64 v[0:1], 3, v[8:9]
	v_lshlrev_b32_e32 v8, 3, v24
	v_add_co_u32_e64 v4, s[6:7], v4, v0
	v_addc_co_u32_e64 v5, s[6:7], v5, v1, s[6:7]
	v_add_co_u32_e64 v8, s[6:7], v4, v8
	v_addc_co_u32_e64 v9, s[6:7], 0, v5, s[6:7]
	v_lshlrev_b64 v[4:5], 3, v[20:21]
	v_mov_b32_e32 v22, 0
	v_mov_b32_e32 v20, 0
	v_add_co_u32_e64 v4, s[6:7], v8, v4
	v_mov_b32_e32 v23, 0
	v_mov_b32_e32 v21, 0
	v_addc_co_u32_e64 v5, s[6:7], v9, v5, s[6:7]
	s_and_saveexec_b64 s[6:7], vcc
	s_cbranch_execz .LBB1329_148
; %bb.147:
	flat_load_dwordx2 v[20:21], v[4:5]
.LBB1329_148:
	s_or_b64 exec, exec, s[6:7]
	s_and_saveexec_b64 s[6:7], s[4:5]
	s_cbranch_execz .LBB1329_150
; %bb.149:
	flat_load_dwordx2 v[22:23], v[4:5] offset:512
.LBB1329_150:
	s_or_b64 exec, exec, s[6:7]
	v_bfrev_b32_e32 v14, -2
	v_cmp_gt_i32_e32 vcc, 0, v18
	v_lshl_add_u32 v8, v17, 4, v12
	v_cndmask_b32_e64 v4, v14, 0, vcc
	s_waitcnt vmcnt(0) lgkmcnt(0)
	v_cmp_gt_i32_e32 vcc, 0, v19
	s_getpc_b64 s[4:5]
	s_add_u32 s4, s4, _ZN7rocprim17ROCPRIM_400000_NS16block_radix_sortIfLj256ELj2ElLj1ELj1ELj8ELNS0_26block_radix_rank_algorithmE2ELNS0_18block_padding_hintE2ELNS0_4arch9wavefront6targetE1EE19radix_bits_per_passE@rel32@lo+4
	s_addc_u32 s5, s5, _ZN7rocprim17ROCPRIM_400000_NS16block_radix_sortIfLj256ELj2ElLj1ELj1ELj8ELNS0_26block_radix_rank_algorithmE2ELNS0_18block_padding_hintE2ELNS0_4arch9wavefront6targetE1EE19radix_bits_per_passE@rel32@hi+12
	v_add_u32_e32 v26, 16, v8
	v_add_u32_e32 v27, 20, v8
	v_add_u32_e32 v28, 24, v8
	v_add_u32_e32 v29, 28, v8
	v_and_b32_e32 v8, 15, v25
	v_xor_b32_e32 v50, v4, v18
	v_cndmask_b32_e64 v4, v14, 0, vcc
	s_load_dword s58, s[4:5], 0x0
	v_cmp_eq_u32_e32 vcc, 0, v8
	v_cmp_lt_u32_e64 s[4:5], 1, v8
	v_cmp_lt_u32_e64 s[6:7], 3, v8
	;; [unrolled: 1-line block ×3, first 2 shown]
	v_and_b32_e32 v8, 16, v25
	v_cmp_eq_u32_e64 s[10:11], 0, v8
	v_and_b32_e32 v8, 0x3c0, v17
	v_min_u32_e32 v8, 0xc0, v8
	v_xor_b32_e32 v51, v4, v19
	v_lshlrev_b32_e32 v4, 2, v17
	v_or_b32_e32 v8, 63, v8
	v_cmp_eq_u32_e64 s[14:15], v17, v8
	v_subrev_co_u32_e64 v8, s[20:21], 1, v25
	v_and_b32_e32 v9, 64, v25
	v_add_co_u32_e64 v31, s[24:25], v12, v4
	v_and_b32_e32 v4, 3, v25
	v_cmp_lt_i32_e64 s[22:23], v8, v9
	v_cmp_eq_u32_e64 s[24:25], 0, v4
	v_cmp_lt_u32_e64 s[26:27], 1, v4
	v_lshlrev_b32_e32 v4, 1, v17
	s_movk_i32 s28, 0x780
	v_cndmask_b32_e64 v8, v8, v25, s[22:23]
	v_and_or_b32 v4, v4, s28, v24
	v_lshlrev_b32_e32 v32, 2, v8
	v_lshrrev_b32_e32 v8, 4, v17
	v_lshlrev_b32_e32 v4, 2, v4
	v_and_b32_e32 v8, 60, v8
	v_add_u32_e32 v35, v12, v4
	v_add_u32_e32 v33, v12, v8
	;; [unrolled: 1-line block ×3, first 2 shown]
	v_mov_b32_e32 v5, 0
	v_lshrrev_b32_e32 v30, 6, v13
	v_cmp_lt_u32_e64 s[12:13], 31, v25
	v_cmp_gt_u32_e64 s[16:17], 4, v17
	v_cmp_lt_u32_e64 s[18:19], 63, v17
	v_cmp_eq_u32_e64 s[22:23], 0, v17
	v_add_u32_e32 v34, -4, v33
	v_add_u32_e32 v36, 0x100, v35
	v_add_u32_e32 v38, 0x200, v37
	v_sub_u32_e32 v39, v11, v10
	s_mov_b64 s[44:45], 0
	s_brev_b32 s59, 1
	s_waitcnt lgkmcnt(0)
	s_barrier
	s_branch .LBB1329_152
.LBB1329_151:                           ;   in Loop: Header=BB1329_152 Depth=1
	s_or_b64 exec, exec, s[40:41]
	s_and_b64 s[28:29], exec, s[56:57]
	s_or_b64 s[44:45], s[28:29], s[44:45]
	s_andn2_b64 exec, exec, s[44:45]
	s_cbranch_execz .LBB1329_170
.LBB1329_152:                           ; =>This Inner Loop Header: Depth=1
	v_mov_b32_e32 v49, v50
	v_min_u32_e32 v4, s58, v39
	v_mov_b32_e32 v8, v22
	v_lshlrev_b32_e64 v4, v4, -1
	v_cmp_ne_u32_e64 s[28:29], s59, v49
	v_mov_b32_e32 v9, v23
	v_not_b32_e32 v23, v4
	v_cndmask_b32_e64 v4, v14, v49, s[28:29]
	v_lshrrev_b32_e32 v4, v10, v4
	v_and_b32_e32 v22, v4, v23
	v_mov_b32_e32 v18, v20
	v_lshl_add_u32 v4, v22, 2, v30
	v_mov_b32_e32 v19, v21
	v_lshlrev_b64 v[20:21], 2, v[4:5]
	v_mov_b32_e32 v48, v51
	v_add_co_u32_e64 v4, s[28:29], v12, v20
	v_add_co_u32_e64 v4, s[28:29], 16, v4
	v_and_b32_e32 v20, 1, v22
	v_add_co_u32_e64 v21, s[28:29], -1, v20
	v_addc_co_u32_e64 v24, s[28:29], 0, -1, s[28:29]
	v_cmp_ne_u32_e64 s[28:29], 0, v20
	v_xor_b32_e32 v20, s29, v24
	v_xor_b32_e32 v21, s28, v21
	v_and_b32_e32 v24, exec_hi, v20
	v_and_b32_e32 v25, exec_lo, v21
	v_lshlrev_b32_e32 v21, 30, v22
	v_mov_b32_e32 v20, v5
	v_cmp_gt_i64_e64 s[28:29], 0, v[20:21]
	v_not_b32_e32 v20, v21
	v_ashrrev_i32_e32 v20, 31, v20
	v_xor_b32_e32 v21, s29, v20
	v_xor_b32_e32 v20, s28, v20
	v_and_b32_e32 v24, v24, v21
	v_and_b32_e32 v25, v25, v20
	v_lshlrev_b32_e32 v21, 29, v22
	v_mov_b32_e32 v20, v5
	v_cmp_gt_i64_e64 s[28:29], 0, v[20:21]
	v_not_b32_e32 v20, v21
	v_ashrrev_i32_e32 v20, 31, v20
	v_xor_b32_e32 v21, s29, v20
	v_xor_b32_e32 v20, s28, v20
	v_and_b32_e32 v24, v24, v21
	v_and_b32_e32 v25, v25, v20
	v_lshlrev_b32_e32 v21, 28, v22
	v_mov_b32_e32 v20, v5
	v_cmp_gt_i64_e64 s[28:29], 0, v[20:21]
	v_not_b32_e32 v20, v21
	v_ashrrev_i32_e32 v20, 31, v20
	v_xor_b32_e32 v21, s29, v20
	v_xor_b32_e32 v20, s28, v20
	v_and_b32_e32 v24, v24, v21
	v_and_b32_e32 v25, v25, v20
	v_lshlrev_b32_e32 v21, 27, v22
	v_mov_b32_e32 v20, v5
	v_cmp_gt_i64_e64 s[28:29], 0, v[20:21]
	v_not_b32_e32 v20, v21
	v_ashrrev_i32_e32 v20, 31, v20
	v_xor_b32_e32 v21, s29, v20
	v_xor_b32_e32 v20, s28, v20
	v_and_b32_e32 v24, v24, v21
	v_and_b32_e32 v25, v25, v20
	v_lshlrev_b32_e32 v21, 26, v22
	v_mov_b32_e32 v20, v5
	v_cmp_gt_i64_e64 s[28:29], 0, v[20:21]
	v_not_b32_e32 v20, v21
	v_ashrrev_i32_e32 v20, 31, v20
	v_xor_b32_e32 v21, s29, v20
	v_xor_b32_e32 v20, s28, v20
	v_and_b32_e32 v24, v24, v21
	v_and_b32_e32 v25, v25, v20
	v_lshlrev_b32_e32 v21, 25, v22
	v_mov_b32_e32 v20, v5
	v_cmp_gt_i64_e64 s[28:29], 0, v[20:21]
	v_not_b32_e32 v20, v21
	v_ashrrev_i32_e32 v20, 31, v20
	v_xor_b32_e32 v21, s29, v20
	v_xor_b32_e32 v20, s28, v20
	v_and_b32_e32 v24, v24, v21
	v_and_b32_e32 v25, v25, v20
	v_lshlrev_b32_e32 v21, 24, v22
	v_mov_b32_e32 v20, v5
	v_cmp_gt_i64_e64 s[28:29], 0, v[20:21]
	v_not_b32_e32 v20, v21
	v_ashrrev_i32_e32 v20, 31, v20
	v_xor_b32_e32 v21, s29, v20
	v_xor_b32_e32 v20, s28, v20
	v_and_b32_e32 v20, v25, v20
	v_and_b32_e32 v21, v24, v21
	v_mbcnt_lo_u32_b32 v22, v20, 0
	v_mbcnt_hi_u32_b32 v22, v21, v22
	v_cmp_ne_u64_e64 s[28:29], 0, v[20:21]
	v_cmp_eq_u32_e64 s[40:41], 0, v22
	s_and_b64 s[40:41], s[28:29], s[40:41]
	ds_write_b32 v26, v5
	ds_write_b32 v27, v5
	;; [unrolled: 1-line block ×4, first 2 shown]
	s_waitcnt lgkmcnt(0)
	s_barrier
	; wave barrier
	s_and_saveexec_b64 s[28:29], s[40:41]
; %bb.153:                              ;   in Loop: Header=BB1329_152 Depth=1
	v_bcnt_u32_b32 v20, v20, 0
	v_bcnt_u32_b32 v20, v21, v20
	ds_write_b32 v4, v20
; %bb.154:                              ;   in Loop: Header=BB1329_152 Depth=1
	s_or_b64 exec, exec, s[28:29]
	v_cmp_ne_u32_e64 s[28:29], s59, v48
	v_cndmask_b32_e64 v20, v14, v48, s[28:29]
	v_lshrrev_b32_e32 v20, v10, v20
	v_and_b32_e32 v25, v20, v23
	v_lshl_add_u32 v20, v25, 2, v30
	v_lshl_add_u32 v20, v20, 2, v12
	; wave barrier
	v_add_u32_e32 v24, 16, v20
	ds_read_b32 v23, v20 offset:16
	v_and_b32_e32 v20, 1, v25
	v_add_co_u32_e64 v21, s[28:29], -1, v20
	v_addc_co_u32_e64 v50, s[28:29], 0, -1, s[28:29]
	v_cmp_ne_u32_e64 s[28:29], 0, v20
	v_xor_b32_e32 v20, s29, v50
	v_xor_b32_e32 v21, s28, v21
	v_and_b32_e32 v50, exec_hi, v20
	v_and_b32_e32 v51, exec_lo, v21
	v_lshlrev_b32_e32 v21, 30, v25
	v_mov_b32_e32 v20, v5
	v_cmp_gt_i64_e64 s[28:29], 0, v[20:21]
	v_not_b32_e32 v20, v21
	v_ashrrev_i32_e32 v20, 31, v20
	v_xor_b32_e32 v21, s29, v20
	v_xor_b32_e32 v20, s28, v20
	v_and_b32_e32 v50, v50, v21
	v_and_b32_e32 v51, v51, v20
	v_lshlrev_b32_e32 v21, 29, v25
	v_mov_b32_e32 v20, v5
	v_cmp_gt_i64_e64 s[28:29], 0, v[20:21]
	v_not_b32_e32 v20, v21
	v_ashrrev_i32_e32 v20, 31, v20
	v_xor_b32_e32 v21, s29, v20
	v_xor_b32_e32 v20, s28, v20
	v_and_b32_e32 v50, v50, v21
	v_and_b32_e32 v51, v51, v20
	v_lshlrev_b32_e32 v21, 28, v25
	v_mov_b32_e32 v20, v5
	v_cmp_gt_i64_e64 s[28:29], 0, v[20:21]
	v_not_b32_e32 v20, v21
	v_ashrrev_i32_e32 v20, 31, v20
	v_xor_b32_e32 v21, s29, v20
	v_xor_b32_e32 v20, s28, v20
	v_and_b32_e32 v50, v50, v21
	v_and_b32_e32 v51, v51, v20
	v_lshlrev_b32_e32 v21, 27, v25
	v_mov_b32_e32 v20, v5
	v_cmp_gt_i64_e64 s[28:29], 0, v[20:21]
	v_not_b32_e32 v20, v21
	v_ashrrev_i32_e32 v20, 31, v20
	v_xor_b32_e32 v21, s29, v20
	v_xor_b32_e32 v20, s28, v20
	v_and_b32_e32 v50, v50, v21
	v_and_b32_e32 v51, v51, v20
	v_lshlrev_b32_e32 v21, 26, v25
	v_mov_b32_e32 v20, v5
	v_cmp_gt_i64_e64 s[28:29], 0, v[20:21]
	v_not_b32_e32 v20, v21
	v_ashrrev_i32_e32 v20, 31, v20
	v_xor_b32_e32 v21, s29, v20
	v_xor_b32_e32 v20, s28, v20
	v_and_b32_e32 v50, v50, v21
	v_and_b32_e32 v51, v51, v20
	v_lshlrev_b32_e32 v21, 25, v25
	v_mov_b32_e32 v20, v5
	v_cmp_gt_i64_e64 s[28:29], 0, v[20:21]
	v_not_b32_e32 v20, v21
	v_ashrrev_i32_e32 v20, 31, v20
	v_xor_b32_e32 v21, s29, v20
	v_xor_b32_e32 v20, s28, v20
	v_and_b32_e32 v50, v50, v21
	v_and_b32_e32 v51, v51, v20
	v_lshlrev_b32_e32 v21, 24, v25
	v_mov_b32_e32 v20, v5
	v_cmp_gt_i64_e64 s[28:29], 0, v[20:21]
	v_not_b32_e32 v20, v21
	v_ashrrev_i32_e32 v20, 31, v20
	v_xor_b32_e32 v21, s29, v20
	v_xor_b32_e32 v20, s28, v20
	v_and_b32_e32 v20, v51, v20
	v_and_b32_e32 v21, v50, v21
	v_mbcnt_lo_u32_b32 v25, v20, 0
	v_mbcnt_hi_u32_b32 v25, v21, v25
	v_cmp_ne_u64_e64 s[28:29], 0, v[20:21]
	v_cmp_eq_u32_e64 s[40:41], 0, v25
	s_and_b64 s[40:41], s[28:29], s[40:41]
	; wave barrier
	s_and_saveexec_b64 s[28:29], s[40:41]
	s_cbranch_execz .LBB1329_156
; %bb.155:                              ;   in Loop: Header=BB1329_152 Depth=1
	v_bcnt_u32_b32 v20, v20, 0
	v_bcnt_u32_b32 v20, v21, v20
	s_waitcnt lgkmcnt(0)
	v_add_u32_e32 v20, v23, v20
	ds_write_b32 v24, v20
.LBB1329_156:                           ;   in Loop: Header=BB1329_152 Depth=1
	s_or_b64 exec, exec, s[28:29]
	; wave barrier
	s_waitcnt lgkmcnt(0)
	s_barrier
	ds_read_b32 v50, v26
	ds_read_b32 v21, v27
	;; [unrolled: 1-line block ×4, first 2 shown]
	s_waitcnt lgkmcnt(2)
	v_add_u32_e32 v52, v21, v50
	s_waitcnt lgkmcnt(0)
	v_add3_u32 v51, v52, v20, v51
	s_nop 1
	v_mov_b32_dpp v52, v51 row_shr:1 row_mask:0xf bank_mask:0xf
	v_cndmask_b32_e64 v52, v52, 0, vcc
	v_add_u32_e32 v51, v52, v51
	s_nop 1
	v_mov_b32_dpp v52, v51 row_shr:2 row_mask:0xf bank_mask:0xf
	v_cndmask_b32_e64 v52, 0, v52, s[4:5]
	v_add_u32_e32 v51, v51, v52
	s_nop 1
	v_mov_b32_dpp v52, v51 row_shr:4 row_mask:0xf bank_mask:0xf
	v_cndmask_b32_e64 v52, 0, v52, s[6:7]
	;; [unrolled: 4-line block ×3, first 2 shown]
	v_add_u32_e32 v51, v51, v52
	s_nop 1
	v_mov_b32_dpp v52, v51 row_bcast:15 row_mask:0xf bank_mask:0xf
	v_cndmask_b32_e64 v52, v52, 0, s[10:11]
	v_add_u32_e32 v51, v51, v52
	s_nop 1
	v_mov_b32_dpp v52, v51 row_bcast:31 row_mask:0xf bank_mask:0xf
	v_cndmask_b32_e64 v52, 0, v52, s[12:13]
	v_add_u32_e32 v51, v51, v52
	s_and_saveexec_b64 s[28:29], s[14:15]
; %bb.157:                              ;   in Loop: Header=BB1329_152 Depth=1
	ds_write_b32 v33, v51
; %bb.158:                              ;   in Loop: Header=BB1329_152 Depth=1
	s_or_b64 exec, exec, s[28:29]
	s_waitcnt lgkmcnt(0)
	s_barrier
	s_and_saveexec_b64 s[28:29], s[16:17]
	s_cbranch_execz .LBB1329_160
; %bb.159:                              ;   in Loop: Header=BB1329_152 Depth=1
	ds_read_b32 v52, v31
	s_waitcnt lgkmcnt(0)
	s_nop 0
	v_mov_b32_dpp v53, v52 row_shr:1 row_mask:0xf bank_mask:0xf
	v_cndmask_b32_e64 v53, v53, 0, s[24:25]
	v_add_u32_e32 v52, v53, v52
	s_nop 1
	v_mov_b32_dpp v53, v52 row_shr:2 row_mask:0xf bank_mask:0xf
	v_cndmask_b32_e64 v53, 0, v53, s[26:27]
	v_add_u32_e32 v52, v52, v53
	ds_write_b32 v31, v52
.LBB1329_160:                           ;   in Loop: Header=BB1329_152 Depth=1
	s_or_b64 exec, exec, s[28:29]
	v_mov_b32_e32 v52, 0
	s_waitcnt lgkmcnt(0)
	s_barrier
	s_and_saveexec_b64 s[28:29], s[18:19]
; %bb.161:                              ;   in Loop: Header=BB1329_152 Depth=1
	ds_read_b32 v52, v34
; %bb.162:                              ;   in Loop: Header=BB1329_152 Depth=1
	s_or_b64 exec, exec, s[28:29]
	s_waitcnt lgkmcnt(0)
	v_add_u32_e32 v51, v52, v51
	ds_bpermute_b32 v51, v32, v51
	v_add_u32_e32 v10, 8, v10
	v_cmp_lt_u32_e64 s[28:29], v10, v11
	s_mov_b64 s[56:57], -1
	s_waitcnt lgkmcnt(0)
	v_cndmask_b32_e64 v51, v51, v52, s[20:21]
	v_cndmask_b32_e64 v51, v51, 0, s[22:23]
	v_add_u32_e32 v50, v51, v50
	v_add_u32_e32 v21, v50, v21
	;; [unrolled: 1-line block ×3, first 2 shown]
	ds_write_b32 v26, v51
	ds_write_b32 v27, v50
	;; [unrolled: 1-line block ×4, first 2 shown]
	s_waitcnt lgkmcnt(0)
	s_barrier
	ds_read_b32 v4, v4
	ds_read_b32 v20, v24
	s_waitcnt lgkmcnt(0)
                                        ; implicit-def: $vgpr51
                                        ; implicit-def: $vgpr50
	v_add_u32_e32 v4, v4, v22
	v_add3_u32 v24, v25, v23, v20
	v_lshlrev_b64 v[20:21], 2, v[4:5]
	v_mov_b32_e32 v25, v5
	v_add_co_u32_e64 v52, s[40:41], v12, v20
	v_lshlrev_b64 v[20:21], 2, v[24:25]
                                        ; implicit-def: $vgpr22_vgpr23
	v_add_co_u32_e64 v25, s[40:41], v12, v20
                                        ; implicit-def: $vgpr20_vgpr21
	s_and_saveexec_b64 s[40:41], s[28:29]
	s_cbranch_execz .LBB1329_151
; %bb.163:                              ;   in Loop: Header=BB1329_152 Depth=1
	v_lshl_add_u32 v20, v4, 2, v52
	s_barrier
	ds_write_b32 v52, v49
	ds_write_b32 v25, v48
	s_waitcnt lgkmcnt(0)
	s_barrier
	ds_read_b32 v50, v35
	ds_read_b32 v51, v36
	s_waitcnt lgkmcnt(0)
	s_barrier
	ds_write_b64 v20, v[18:19]
	v_lshl_add_u32 v20, v24, 2, v25
	ds_write_b64 v20, v[8:9]
	s_waitcnt lgkmcnt(0)
	s_barrier
	ds_read_b64 v[20:21], v37
	ds_read_b64 v[22:23], v38
	v_add_u32_e32 v39, -8, v39
	s_xor_b64 s[56:57], exec, -1
	s_waitcnt lgkmcnt(0)
	s_barrier
	s_branch .LBB1329_151
.LBB1329_164:
	flat_load_dwordx2 v[24:25], v[4:5]
	s_or_b64 exec, exec, s[14:15]
                                        ; implicit-def: $vgpr26_vgpr27
	s_and_saveexec_b64 s[14:15], s[4:5]
	s_cbranch_execz .LBB1329_91
.LBB1329_165:
	flat_load_dwordx2 v[26:27], v[4:5] offset:512
	s_or_b64 exec, exec, s[14:15]
                                        ; implicit-def: $vgpr28_vgpr29
	s_and_saveexec_b64 s[4:5], s[6:7]
	s_cbranch_execz .LBB1329_92
.LBB1329_166:
	flat_load_dwordx2 v[28:29], v[4:5] offset:1024
	s_or_b64 exec, exec, s[4:5]
                                        ; implicit-def: $vgpr30_vgpr31
	s_and_saveexec_b64 s[4:5], s[10:11]
	s_cbranch_execnz .LBB1329_93
	s_branch .LBB1329_94
.LBB1329_167:
	flat_store_dwordx2 v[0:1], v[12:13]
	s_or_b64 exec, exec, s[14:15]
	s_and_saveexec_b64 s[14:15], s[4:5]
	s_cbranch_execz .LBB1329_136
.LBB1329_168:
	flat_store_dwordx2 v[0:1], v[14:15] offset:2048
	s_or_b64 exec, exec, s[14:15]
	s_and_saveexec_b64 s[4:5], s[6:7]
	s_cbranch_execz .LBB1329_137
.LBB1329_169:
	v_add_co_u32_e32 v2, vcc, 0x1000, v0
	v_addc_co_u32_e32 v3, vcc, 0, v1, vcc
	flat_store_dwordx2 v[2:3], v[8:9]
	s_or_b64 exec, exec, s[4:5]
	s_and_saveexec_b64 s[4:5], s[10:11]
	s_cbranch_execnz .LBB1329_138
	s_branch .LBB1329_139
.LBB1329_170:
	s_or_b64 exec, exec, s[44:45]
	v_lshl_add_u32 v4, v4, 2, v52
	s_barrier
	ds_write_b32 v52, v49
	ds_write_b32 v25, v48
	s_waitcnt lgkmcnt(0)
	s_barrier
	ds_read2st64_b32 v[20:21], v31 offset1:4
	s_waitcnt lgkmcnt(0)
	s_barrier
	ds_write_b64 v4, v[18:19]
	v_lshl_add_u32 v4, v24, 2, v25
	ds_write_b64 v4, v[8:9]
	v_lshl_add_u32 v4, v17, 3, v12
	s_waitcnt lgkmcnt(0)
	s_barrier
	ds_read2st64_b64 v[8:11], v4 offset1:4
	v_add_co_u32_e32 v4, vcc, v2, v15
	v_mov_b32_e32 v14, 0
	v_addc_co_u32_e32 v5, vcc, v3, v16, vcc
	v_lshlrev_b64 v[2:3], 2, v[13:14]
	s_waitcnt lgkmcnt(0)
	v_add_co_u32_e32 v2, vcc, v4, v2
	v_addc_co_u32_e32 v3, vcc, v5, v3, vcc
	v_cmp_lt_u32_e32 vcc, v13, v86
	s_barrier
	s_and_saveexec_b64 s[6:7], vcc
	s_cbranch_execz .LBB1329_172
; %bb.171:
	v_bfrev_b32_e32 v4, -2
	v_cmp_gt_i32_e64 s[4:5], 0, v20
	v_cndmask_b32_e64 v4, v4, 0, s[4:5]
	v_xor_b32_e32 v4, v4, v20
	flat_store_dword v[2:3], v4
.LBB1329_172:
	s_or_b64 exec, exec, s[6:7]
	v_add_u32_e32 v4, 0x100, v13
	v_cmp_lt_u32_e64 s[4:5], v4, v86
	s_and_saveexec_b64 s[8:9], s[4:5]
	s_cbranch_execz .LBB1329_174
; %bb.173:
	v_bfrev_b32_e32 v4, -2
	v_cmp_gt_i32_e64 s[6:7], 0, v21
	v_cndmask_b32_e64 v4, v4, 0, s[6:7]
	v_xor_b32_e32 v4, v4, v21
	flat_store_dword v[2:3], v4 offset:1024
.LBB1329_174:
	s_or_b64 exec, exec, s[8:9]
	v_add_co_u32_e64 v2, s[6:7], v6, v0
	v_addc_co_u32_e64 v3, s[6:7], v7, v1, s[6:7]
	v_lshlrev_b64 v[0:1], 3, v[13:14]
	v_add_co_u32_e64 v0, s[6:7], v2, v0
	v_addc_co_u32_e64 v1, s[6:7], v3, v1, s[6:7]
	s_and_saveexec_b64 s[6:7], vcc
	s_cbranch_execz .LBB1329_176
; %bb.175:
	flat_store_dwordx2 v[0:1], v[8:9]
.LBB1329_176:
	s_or_b64 exec, exec, s[6:7]
	s_and_saveexec_b64 s[6:7], s[4:5]
	s_cbranch_execz .LBB1329_178
; %bb.177:
	flat_store_dwordx2 v[0:1], v[10:11] offset:2048
.LBB1329_178:
	s_or_b64 exec, exec, s[6:7]
                                        ; implicit-def: $vgpr17
                                        ; implicit-def: $vgpr13_vgpr14
                                        ; implicit-def: $vgpr8_vgpr9
                                        ; implicit-def: $vgpr15_vgpr16
                                        ; implicit-def: $vgpr86
                                        ; implicit-def: $vgpr0
                                        ; implicit-def: $vgpr1
                                        ; implicit-def: $vgpr2
                                        ; implicit-def: $vgpr3
                                        ; implicit-def: $vgpr4
                                        ; implicit-def: $vgpr5
                                        ; implicit-def: $vgpr6
                                        ; implicit-def: $vgpr7
                                        ; implicit-def: $vgpr10
                                        ; implicit-def: $vgpr11
                                        ; implicit-def: $vgpr12
                                        ; implicit-def: $vgpr18
.LBB1329_179:
	s_andn2_saveexec_b64 s[4:5], s[42:43]
	s_cbranch_execz .LBB1329_199
; %bb.180:
	v_mbcnt_hi_u32_b32 v28, -1, v18
	v_bfi_b32 v14, 63, v28, v13
	v_mov_b32_e32 v22, -1
	v_and_b32_e32 v29, 63, v28
	v_and_b32_e32 v20, 0xffffffc0, v13
	v_cmp_lt_u32_e32 vcc, v14, v86
	s_and_saveexec_b64 s[6:7], vcc
	s_cbranch_execz .LBB1329_182
; %bb.181:
	v_add_co_u32_e64 v0, s[4:5], v0, v15
	v_addc_co_u32_e64 v1, s[4:5], v1, v16, s[4:5]
	v_lshlrev_b32_e32 v14, 2, v29
	v_mov_b32_e32 v21, 0
	v_add_co_u32_e64 v14, s[4:5], v0, v14
	v_addc_co_u32_e64 v18, s[4:5], 0, v1, s[4:5]
	v_lshlrev_b64 v[0:1], 2, v[20:21]
	v_add_co_u32_e64 v0, s[4:5], v14, v0
	v_addc_co_u32_e64 v1, s[4:5], v18, v1, s[4:5]
	flat_load_dword v22, v[0:1]
.LBB1329_182:
	s_or_b64 exec, exec, s[6:7]
	v_lshlrev_b64 v[0:1], 3, v[8:9]
                                        ; implicit-def: $vgpr18_vgpr19
	s_and_saveexec_b64 s[4:5], vcc
	s_cbranch_execz .LBB1329_184
; %bb.183:
	v_add_co_u32_e32 v4, vcc, v4, v0
	v_addc_co_u32_e32 v5, vcc, v5, v1, vcc
	v_lshlrev_b32_e32 v8, 3, v29
	v_mov_b32_e32 v21, 0
	v_add_co_u32_e32 v8, vcc, v4, v8
	v_addc_co_u32_e32 v9, vcc, 0, v5, vcc
	v_lshlrev_b64 v[4:5], 3, v[20:21]
	v_add_co_u32_e32 v4, vcc, v8, v4
	v_addc_co_u32_e32 v5, vcc, v9, v5, vcc
	flat_load_dwordx2 v[18:19], v[4:5]
.LBB1329_184:
	s_or_b64 exec, exec, s[4:5]
	v_bfrev_b32_e32 v14, -2
	s_waitcnt vmcnt(0) lgkmcnt(0)
	v_cmp_gt_i32_e32 vcc, 0, v22
	v_cndmask_b32_e64 v4, v14, 0, vcc
	v_lshl_add_u32 v5, v17, 4, v12
	v_xor_b32_e32 v8, v4, v22
	s_getpc_b64 s[4:5]
	s_add_u32 s4, s4, _ZN7rocprim17ROCPRIM_400000_NS16block_radix_sortIfLj256ELj1ElLj1ELj1ELj8ELNS0_26block_radix_rank_algorithmE2ELNS0_18block_padding_hintE2ELNS0_4arch9wavefront6targetE1EE19radix_bits_per_passE@rel32@lo+4
	s_addc_u32 s5, s5, _ZN7rocprim17ROCPRIM_400000_NS16block_radix_sortIfLj256ELj1ElLj1ELj1ELj8ELNS0_26block_radix_rank_algorithmE2ELNS0_18block_padding_hintE2ELNS0_4arch9wavefront6targetE1EE19radix_bits_per_passE@rel32@hi+12
	v_add_u32_e32 v20, 16, v5
	v_add_u32_e32 v21, 20, v5
	;; [unrolled: 1-line block ×4, first 2 shown]
	v_and_b32_e32 v5, 15, v28
	s_load_dword s56, s[4:5], 0x0
	v_cmp_eq_u32_e32 vcc, 0, v5
	v_cmp_lt_u32_e64 s[4:5], 1, v5
	v_cmp_lt_u32_e64 s[6:7], 3, v5
	;; [unrolled: 1-line block ×3, first 2 shown]
	v_and_b32_e32 v5, 16, v28
	v_cmp_eq_u32_e64 s[10:11], 0, v5
	v_and_b32_e32 v5, 0x3c0, v17
	v_min_u32_e32 v9, 0xc0, v5
	v_or_b32_e32 v9, 63, v9
	v_cmp_eq_u32_e64 s[14:15], v17, v9
	v_subrev_co_u32_e64 v9, s[20:21], 1, v28
	v_and_b32_e32 v25, 64, v28
	v_lshlrev_b32_e32 v4, 2, v17
	v_cmp_lt_i32_e64 s[22:23], v9, v25
	v_cndmask_b32_e64 v9, v9, v28, s[22:23]
	v_add_co_u32_e64 v25, s[24:25], v12, v4
	v_and_b32_e32 v4, 3, v28
	v_lshlrev_b32_e32 v26, 2, v9
	v_lshrrev_b32_e32 v9, 4, v17
	v_cmp_eq_u32_e64 s[24:25], 0, v4
	v_cmp_lt_u32_e64 s[26:27], 1, v4
	v_or_b32_e32 v4, v29, v5
	v_and_b32_e32 v9, 60, v9
	v_lshlrev_b32_e32 v4, 2, v4
	v_add_u32_e32 v27, v12, v9
	v_add_u32_e32 v29, v12, v4
	v_lshrrev_b32_e32 v24, 6, v13
	v_cmp_lt_u32_e64 s[12:13], 31, v28
	v_cmp_gt_u32_e64 s[16:17], 4, v17
	v_cmp_lt_u32_e64 s[18:19], 63, v17
	v_cmp_eq_u32_e64 s[22:23], 0, v17
	v_add_u32_e32 v28, -4, v27
	v_add_u32_e32 v30, v29, v4
	s_mov_b64 s[42:43], 0
	s_brev_b32 s57, 1
	v_sub_u32_e32 v31, v11, v10
	v_mov_b32_e32 v9, 0
	s_waitcnt lgkmcnt(0)
	s_barrier
	s_branch .LBB1329_186
.LBB1329_185:                           ;   in Loop: Header=BB1329_186 Depth=1
	s_or_b64 exec, exec, s[40:41]
	s_and_b64 s[28:29], exec, s[44:45]
	s_or_b64 s[42:43], s[28:29], s[42:43]
	s_andn2_b64 exec, exec, s[42:43]
	s_cbranch_execz .LBB1329_196
.LBB1329_186:                           ; =>This Inner Loop Header: Depth=1
	v_mov_b32_e32 v32, v8
	v_mov_b32_e32 v4, v18
	v_cmp_ne_u32_e64 s[28:29], s57, v32
	v_mov_b32_e32 v5, v19
	v_cndmask_b32_e64 v18, v14, v32, s[28:29]
	v_min_u32_e32 v8, s56, v31
	v_lshrrev_b32_e32 v18, v10, v18
	v_bfe_u32 v33, v18, 0, v8
	v_lshl_add_u32 v8, v33, 2, v24
	v_lshlrev_b64 v[18:19], 2, v[8:9]
	ds_write_b32 v20, v9
	ds_write_b32 v21, v9
	;; [unrolled: 1-line block ×4, first 2 shown]
	v_add_co_u32_e64 v8, s[28:29], v12, v18
	v_add_co_u32_e64 v8, s[28:29], 16, v8
	v_and_b32_e32 v18, 1, v33
	v_add_co_u32_e64 v19, s[28:29], -1, v18
	v_addc_co_u32_e64 v34, s[28:29], 0, -1, s[28:29]
	v_cmp_ne_u32_e64 s[28:29], 0, v18
	v_xor_b32_e32 v18, s29, v34
	v_xor_b32_e32 v19, s28, v19
	v_and_b32_e32 v34, exec_hi, v18
	v_and_b32_e32 v35, exec_lo, v19
	v_lshlrev_b32_e32 v19, 30, v33
	v_mov_b32_e32 v18, v9
	v_cmp_gt_i64_e64 s[28:29], 0, v[18:19]
	v_not_b32_e32 v18, v19
	v_ashrrev_i32_e32 v18, 31, v18
	v_xor_b32_e32 v19, s29, v18
	v_xor_b32_e32 v18, s28, v18
	v_and_b32_e32 v34, v34, v19
	v_and_b32_e32 v35, v35, v18
	v_lshlrev_b32_e32 v19, 29, v33
	v_mov_b32_e32 v18, v9
	v_cmp_gt_i64_e64 s[28:29], 0, v[18:19]
	v_not_b32_e32 v18, v19
	v_ashrrev_i32_e32 v18, 31, v18
	v_xor_b32_e32 v19, s29, v18
	v_xor_b32_e32 v18, s28, v18
	v_and_b32_e32 v34, v34, v19
	v_and_b32_e32 v35, v35, v18
	;; [unrolled: 9-line block ×7, first 2 shown]
	v_mbcnt_lo_u32_b32 v33, v18, 0
	v_mbcnt_hi_u32_b32 v33, v19, v33
	v_cmp_ne_u64_e64 s[28:29], 0, v[18:19]
	v_cmp_eq_u32_e64 s[40:41], 0, v33
	s_and_b64 s[40:41], s[28:29], s[40:41]
	s_waitcnt lgkmcnt(0)
	s_barrier
	; wave barrier
	s_and_saveexec_b64 s[28:29], s[40:41]
; %bb.187:                              ;   in Loop: Header=BB1329_186 Depth=1
	v_bcnt_u32_b32 v18, v18, 0
	v_bcnt_u32_b32 v18, v19, v18
	ds_write_b32 v8, v18
; %bb.188:                              ;   in Loop: Header=BB1329_186 Depth=1
	s_or_b64 exec, exec, s[28:29]
	; wave barrier
	s_waitcnt lgkmcnt(0)
	s_barrier
	ds_read_b32 v34, v20
	ds_read_b32 v19, v21
	;; [unrolled: 1-line block ×4, first 2 shown]
	s_waitcnt lgkmcnt(2)
	v_add_u32_e32 v36, v19, v34
	s_waitcnt lgkmcnt(0)
	v_add3_u32 v35, v36, v18, v35
	s_nop 1
	v_mov_b32_dpp v36, v35 row_shr:1 row_mask:0xf bank_mask:0xf
	v_cndmask_b32_e64 v36, v36, 0, vcc
	v_add_u32_e32 v35, v36, v35
	s_nop 1
	v_mov_b32_dpp v36, v35 row_shr:2 row_mask:0xf bank_mask:0xf
	v_cndmask_b32_e64 v36, 0, v36, s[4:5]
	v_add_u32_e32 v35, v35, v36
	s_nop 1
	v_mov_b32_dpp v36, v35 row_shr:4 row_mask:0xf bank_mask:0xf
	v_cndmask_b32_e64 v36, 0, v36, s[6:7]
	;; [unrolled: 4-line block ×3, first 2 shown]
	v_add_u32_e32 v35, v35, v36
	s_nop 1
	v_mov_b32_dpp v36, v35 row_bcast:15 row_mask:0xf bank_mask:0xf
	v_cndmask_b32_e64 v36, v36, 0, s[10:11]
	v_add_u32_e32 v35, v35, v36
	s_nop 1
	v_mov_b32_dpp v36, v35 row_bcast:31 row_mask:0xf bank_mask:0xf
	v_cndmask_b32_e64 v36, 0, v36, s[12:13]
	v_add_u32_e32 v35, v35, v36
	s_and_saveexec_b64 s[28:29], s[14:15]
; %bb.189:                              ;   in Loop: Header=BB1329_186 Depth=1
	ds_write_b32 v27, v35
; %bb.190:                              ;   in Loop: Header=BB1329_186 Depth=1
	s_or_b64 exec, exec, s[28:29]
	s_waitcnt lgkmcnt(0)
	s_barrier
	s_and_saveexec_b64 s[28:29], s[16:17]
	s_cbranch_execz .LBB1329_192
; %bb.191:                              ;   in Loop: Header=BB1329_186 Depth=1
	ds_read_b32 v36, v25
	s_waitcnt lgkmcnt(0)
	s_nop 0
	v_mov_b32_dpp v37, v36 row_shr:1 row_mask:0xf bank_mask:0xf
	v_cndmask_b32_e64 v37, v37, 0, s[24:25]
	v_add_u32_e32 v36, v37, v36
	s_nop 1
	v_mov_b32_dpp v37, v36 row_shr:2 row_mask:0xf bank_mask:0xf
	v_cndmask_b32_e64 v37, 0, v37, s[26:27]
	v_add_u32_e32 v36, v36, v37
	ds_write_b32 v25, v36
.LBB1329_192:                           ;   in Loop: Header=BB1329_186 Depth=1
	s_or_b64 exec, exec, s[28:29]
	v_mov_b32_e32 v36, 0
	s_waitcnt lgkmcnt(0)
	s_barrier
	s_and_saveexec_b64 s[28:29], s[18:19]
; %bb.193:                              ;   in Loop: Header=BB1329_186 Depth=1
	ds_read_b32 v36, v28
; %bb.194:                              ;   in Loop: Header=BB1329_186 Depth=1
	s_or_b64 exec, exec, s[28:29]
	s_waitcnt lgkmcnt(0)
	v_add_u32_e32 v35, v36, v35
	ds_bpermute_b32 v35, v26, v35
	v_add_u32_e32 v10, 8, v10
	v_cmp_lt_u32_e64 s[28:29], v10, v11
	s_mov_b64 s[44:45], -1
	s_waitcnt lgkmcnt(0)
	v_cndmask_b32_e64 v35, v35, v36, s[20:21]
	v_cndmask_b32_e64 v35, v35, 0, s[22:23]
	v_add_u32_e32 v34, v35, v34
	v_add_u32_e32 v19, v34, v19
	ds_write_b32 v20, v35
	ds_write_b32 v21, v34
	v_add_u32_e32 v18, v19, v18
	ds_write_b32 v22, v19
	ds_write_b32 v23, v18
	s_waitcnt lgkmcnt(0)
	s_barrier
	ds_read_b32 v8, v8
	s_waitcnt lgkmcnt(0)
	v_add_u32_e32 v8, v8, v33
	v_lshlrev_b64 v[18:19], 2, v[8:9]
                                        ; implicit-def: $vgpr8
	v_add_co_u32_e64 v34, s[40:41], v12, v18
	v_add_co_u32_e64 v33, s[40:41], v34, v18
                                        ; implicit-def: $vgpr18_vgpr19
	s_and_saveexec_b64 s[40:41], s[28:29]
	s_cbranch_execz .LBB1329_185
; %bb.195:                              ;   in Loop: Header=BB1329_186 Depth=1
	s_barrier
	ds_write_b32 v34, v32
	s_waitcnt lgkmcnt(0)
	s_barrier
	ds_read_b32 v8, v29
	s_waitcnt lgkmcnt(0)
	s_barrier
	ds_write_b64 v33, v[4:5]
	s_waitcnt lgkmcnt(0)
	s_barrier
	ds_read_b64 v[18:19], v30
	v_add_u32_e32 v31, -8, v31
	s_xor_b64 s[44:45], exec, -1
	s_waitcnt lgkmcnt(0)
	s_barrier
	s_branch .LBB1329_185
.LBB1329_196:
	s_or_b64 exec, exec, s[42:43]
	s_barrier
	ds_write_b32 v34, v32
	s_waitcnt lgkmcnt(0)
	s_barrier
	ds_read_b32 v8, v25
	s_waitcnt lgkmcnt(0)
	s_barrier
	ds_write_b64 v33, v[4:5]
	v_lshl_add_u32 v4, v17, 2, v25
	s_waitcnt lgkmcnt(0)
	s_barrier
	ds_read_b64 v[4:5], v4
	v_cmp_lt_u32_e32 vcc, v13, v86
	s_waitcnt lgkmcnt(0)
	s_barrier
	s_and_saveexec_b64 s[4:5], vcc
	s_cbranch_execz .LBB1329_198
; %bb.197:
	v_add_co_u32_e32 v6, vcc, v6, v0
	v_mov_b32_e32 v14, 0
	v_addc_co_u32_e32 v7, vcc, v7, v1, vcc
	v_lshlrev_b64 v[0:1], 3, v[13:14]
	v_add_co_u32_e32 v0, vcc, v6, v0
	v_addc_co_u32_e32 v1, vcc, v7, v1, vcc
	v_bfrev_b32_e32 v6, -2
	v_cmp_gt_i32_e32 vcc, 0, v8
	v_cndmask_b32_e64 v6, v6, 0, vcc
	v_add_co_u32_e32 v7, vcc, v2, v15
	v_xor_b32_e32 v6, v6, v8
	v_addc_co_u32_e32 v8, vcc, v3, v16, vcc
	v_lshlrev_b64 v[2:3], 2, v[13:14]
	v_add_co_u32_e32 v2, vcc, v7, v2
	v_addc_co_u32_e32 v3, vcc, v8, v3, vcc
	flat_store_dword v[2:3], v6
	flat_store_dwordx2 v[0:1], v[4:5]
.LBB1329_198:
	s_or_b64 exec, exec, s[4:5]
.LBB1329_199:
	s_or_b64 exec, exec, s[46:47]
	s_waitcnt vmcnt(0) lgkmcnt(0)
	s_setpc_b64 s[30:31]
.Lfunc_end1329:
	.size	_ZN7rocprim17ROCPRIM_400000_NS6detail40segmented_radix_sort_single_block_helperIflLj256ELj8ELb1EE4sortIPKfPfPKlPlEEbT_T0_T1_T2_jjjjRNS3_12storage_typeE, .Lfunc_end1329-_ZN7rocprim17ROCPRIM_400000_NS6detail40segmented_radix_sort_single_block_helperIflLj256ELj8ELb1EE4sortIPKfPfPKlPlEEbT_T0_T1_T2_jjjjRNS3_12storage_typeE
                                        ; -- End function
	.set .L_ZN7rocprim17ROCPRIM_400000_NS6detail40segmented_radix_sort_single_block_helperIflLj256ELj8ELb1EE4sortIPKfPfPKlPlEEbT_T0_T1_T2_jjjjRNS3_12storage_typeE.num_vgpr, 178
	.set .L_ZN7rocprim17ROCPRIM_400000_NS6detail40segmented_radix_sort_single_block_helperIflLj256ELj8ELb1EE4sortIPKfPfPKlPlEEbT_T0_T1_T2_jjjjRNS3_12storage_typeE.num_agpr, 0
	.set .L_ZN7rocprim17ROCPRIM_400000_NS6detail40segmented_radix_sort_single_block_helperIflLj256ELj8ELb1EE4sortIPKfPfPKlPlEEbT_T0_T1_T2_jjjjRNS3_12storage_typeE.numbered_sgpr, 64
	.set .L_ZN7rocprim17ROCPRIM_400000_NS6detail40segmented_radix_sort_single_block_helperIflLj256ELj8ELb1EE4sortIPKfPfPKlPlEEbT_T0_T1_T2_jjjjRNS3_12storage_typeE.num_named_barrier, 0
	.set .L_ZN7rocprim17ROCPRIM_400000_NS6detail40segmented_radix_sort_single_block_helperIflLj256ELj8ELb1EE4sortIPKfPfPKlPlEEbT_T0_T1_T2_jjjjRNS3_12storage_typeE.private_seg_size, 0
	.set .L_ZN7rocprim17ROCPRIM_400000_NS6detail40segmented_radix_sort_single_block_helperIflLj256ELj8ELb1EE4sortIPKfPfPKlPlEEbT_T0_T1_T2_jjjjRNS3_12storage_typeE.uses_vcc, 1
	.set .L_ZN7rocprim17ROCPRIM_400000_NS6detail40segmented_radix_sort_single_block_helperIflLj256ELj8ELb1EE4sortIPKfPfPKlPlEEbT_T0_T1_T2_jjjjRNS3_12storage_typeE.uses_flat_scratch, 0
	.set .L_ZN7rocprim17ROCPRIM_400000_NS6detail40segmented_radix_sort_single_block_helperIflLj256ELj8ELb1EE4sortIPKfPfPKlPlEEbT_T0_T1_T2_jjjjRNS3_12storage_typeE.has_dyn_sized_stack, 0
	.set .L_ZN7rocprim17ROCPRIM_400000_NS6detail40segmented_radix_sort_single_block_helperIflLj256ELj8ELb1EE4sortIPKfPfPKlPlEEbT_T0_T1_T2_jjjjRNS3_12storage_typeE.has_recursion, 0
	.set .L_ZN7rocprim17ROCPRIM_400000_NS6detail40segmented_radix_sort_single_block_helperIflLj256ELj8ELb1EE4sortIPKfPfPKlPlEEbT_T0_T1_T2_jjjjRNS3_12storage_typeE.has_indirect_call, 0
	.section	.AMDGPU.csdata,"",@progbits
; Function info:
; codeLenInByte = 16448
; TotalNumSgprs: 68
; NumVgprs: 178
; ScratchSize: 0
; MemoryBound: 1
	.section	.text._ZN7rocprim17ROCPRIM_400000_NS6detail17trampoline_kernelINS0_14default_configENS1_36segmented_radix_sort_config_selectorIflEEZNS1_25segmented_radix_sort_implIS3_Lb1EPKfPfPKlPlN2at6native12_GLOBAL__N_18offset_tEEE10hipError_tPvRmT1_PNSt15iterator_traitsISK_E10value_typeET2_T3_PNSL_ISQ_E10value_typeET4_jRbjT5_SW_jjP12ihipStream_tbEUlT_E_NS1_11comp_targetILNS1_3genE2ELNS1_11target_archE906ELNS1_3gpuE6ELNS1_3repE0EEENS1_30default_config_static_selectorELNS0_4arch9wavefront6targetE1EEEvSK_,"axG",@progbits,_ZN7rocprim17ROCPRIM_400000_NS6detail17trampoline_kernelINS0_14default_configENS1_36segmented_radix_sort_config_selectorIflEEZNS1_25segmented_radix_sort_implIS3_Lb1EPKfPfPKlPlN2at6native12_GLOBAL__N_18offset_tEEE10hipError_tPvRmT1_PNSt15iterator_traitsISK_E10value_typeET2_T3_PNSL_ISQ_E10value_typeET4_jRbjT5_SW_jjP12ihipStream_tbEUlT_E_NS1_11comp_targetILNS1_3genE2ELNS1_11target_archE906ELNS1_3gpuE6ELNS1_3repE0EEENS1_30default_config_static_selectorELNS0_4arch9wavefront6targetE1EEEvSK_,comdat
	.globl	_ZN7rocprim17ROCPRIM_400000_NS6detail17trampoline_kernelINS0_14default_configENS1_36segmented_radix_sort_config_selectorIflEEZNS1_25segmented_radix_sort_implIS3_Lb1EPKfPfPKlPlN2at6native12_GLOBAL__N_18offset_tEEE10hipError_tPvRmT1_PNSt15iterator_traitsISK_E10value_typeET2_T3_PNSL_ISQ_E10value_typeET4_jRbjT5_SW_jjP12ihipStream_tbEUlT_E_NS1_11comp_targetILNS1_3genE2ELNS1_11target_archE906ELNS1_3gpuE6ELNS1_3repE0EEENS1_30default_config_static_selectorELNS0_4arch9wavefront6targetE1EEEvSK_ ; -- Begin function _ZN7rocprim17ROCPRIM_400000_NS6detail17trampoline_kernelINS0_14default_configENS1_36segmented_radix_sort_config_selectorIflEEZNS1_25segmented_radix_sort_implIS3_Lb1EPKfPfPKlPlN2at6native12_GLOBAL__N_18offset_tEEE10hipError_tPvRmT1_PNSt15iterator_traitsISK_E10value_typeET2_T3_PNSL_ISQ_E10value_typeET4_jRbjT5_SW_jjP12ihipStream_tbEUlT_E_NS1_11comp_targetILNS1_3genE2ELNS1_11target_archE906ELNS1_3gpuE6ELNS1_3repE0EEENS1_30default_config_static_selectorELNS0_4arch9wavefront6targetE1EEEvSK_
	.p2align	8
	.type	_ZN7rocprim17ROCPRIM_400000_NS6detail17trampoline_kernelINS0_14default_configENS1_36segmented_radix_sort_config_selectorIflEEZNS1_25segmented_radix_sort_implIS3_Lb1EPKfPfPKlPlN2at6native12_GLOBAL__N_18offset_tEEE10hipError_tPvRmT1_PNSt15iterator_traitsISK_E10value_typeET2_T3_PNSL_ISQ_E10value_typeET4_jRbjT5_SW_jjP12ihipStream_tbEUlT_E_NS1_11comp_targetILNS1_3genE2ELNS1_11target_archE906ELNS1_3gpuE6ELNS1_3repE0EEENS1_30default_config_static_selectorELNS0_4arch9wavefront6targetE1EEEvSK_,@function
_ZN7rocprim17ROCPRIM_400000_NS6detail17trampoline_kernelINS0_14default_configENS1_36segmented_radix_sort_config_selectorIflEEZNS1_25segmented_radix_sort_implIS3_Lb1EPKfPfPKlPlN2at6native12_GLOBAL__N_18offset_tEEE10hipError_tPvRmT1_PNSt15iterator_traitsISK_E10value_typeET2_T3_PNSL_ISQ_E10value_typeET4_jRbjT5_SW_jjP12ihipStream_tbEUlT_E_NS1_11comp_targetILNS1_3genE2ELNS1_11target_archE906ELNS1_3gpuE6ELNS1_3repE0EEENS1_30default_config_static_selectorELNS0_4arch9wavefront6targetE1EEEvSK_: ; @_ZN7rocprim17ROCPRIM_400000_NS6detail17trampoline_kernelINS0_14default_configENS1_36segmented_radix_sort_config_selectorIflEEZNS1_25segmented_radix_sort_implIS3_Lb1EPKfPfPKlPlN2at6native12_GLOBAL__N_18offset_tEEE10hipError_tPvRmT1_PNSt15iterator_traitsISK_E10value_typeET2_T3_PNSL_ISQ_E10value_typeET4_jRbjT5_SW_jjP12ihipStream_tbEUlT_E_NS1_11comp_targetILNS1_3genE2ELNS1_11target_archE906ELNS1_3gpuE6ELNS1_3repE0EEENS1_30default_config_static_selectorELNS0_4arch9wavefront6targetE1EEEvSK_
; %bb.0:
	s_add_u32 s0, s0, s8
	s_mov_b64 s[34:35], s[4:5]
	s_load_dwordx2 s[4:5], s[4:5], 0x38
	s_nop 0
	s_load_dwordx4 s[8:11], s[34:35], 0x40
	s_mov_b32 s33, s7
	s_mov_b32 s7, 0
	s_addc_u32 s1, s1, 0
	s_lshl_b64 s[12:13], s[6:7], 2
	s_waitcnt lgkmcnt(0)
	s_add_u32 s4, s4, s12
	s_addc_u32 s5, s5, s13
	s_load_dword s4, s[4:5], 0x0
	s_mov_b32 s32, 0
	s_waitcnt lgkmcnt(0)
	s_add_i32 s80, s4, s9
	s_add_i32 s81, s4, s11
	s_mul_i32 s80, s80, s8
	s_mul_i32 s81, s81, s10
	s_cmp_le_u32 s81, s80
	s_cbranch_scc1 .LBB1330_670
; %bb.1:
	s_load_dword s4, s[34:35], 0x30
	s_load_dwordx4 s[72:75], s[34:35], 0x20
	s_load_dwordx4 s[76:79], s[34:35], 0x50
	s_load_dwordx8 s[64:71], s[34:35], 0x0
	s_waitcnt lgkmcnt(0)
	s_bitcmp1_b32 s4, 0
	s_cselect_b64 s[54:55], -1, 0
	s_sub_i32 s79, s81, s80
	s_cmpk_lt_u32 s79, 0x801
	s_mov_b64 s[4:5], -1
	s_cbranch_scc0 .LBB1330_7
; %bb.2:
	s_and_b32 s4, s76, 1
	v_cndmask_b32_e64 v3, 0, 1, s[54:55]
	v_cmp_ne_u32_e32 vcc, s4, v3
	s_mov_b64 s[4:5], -1
	v_lshlrev_b32_e32 v41, 20, v2
	v_lshlrev_b32_e32 v42, 10, v1
	s_cbranch_vccnz .LBB1330_4
; %bb.3:
	s_add_u32 s8, s34, 0x60
	s_mov_b64 s[4:5], src_shared_base
	s_addc_u32 s9, s35, 0
	s_getpc_b64 s[10:11]
	s_add_u32 s10, s10, _ZN7rocprim17ROCPRIM_400000_NS6detail40segmented_radix_sort_single_block_helperIflLj256ELj8ELb1EE4sortIPKfPfPKlPlEEbT_T0_T1_T2_jjjjRNS3_12storage_typeE@rel32@lo+4
	s_addc_u32 s11, s11, _ZN7rocprim17ROCPRIM_400000_NS6detail40segmented_radix_sort_single_block_helperIflLj256ELj8ELb1EE4sortIPKfPfPKlPlEEbT_T0_T1_T2_jjjjRNS3_12storage_typeE@rel32@hi+12
	v_or3_b32 v31, v0, v42, v41
	s_mov_b32 s12, s6
	s_mov_b32 s13, s33
	v_mov_b32_e32 v40, v0
	v_mov_b32_e32 v0, s64
	;; [unrolled: 1-line block ×17, first 2 shown]
	s_mov_b32 s36, s6
	s_swappc_b64 s[30:31], s[10:11]
	v_mov_b32_e32 v1, v43
	v_mov_b32_e32 v2, v44
	v_mov_b32_e32 v0, v40
	s_mov_b32 s6, s36
	s_mov_b64 s[4:5], 0
.LBB1330_4:
	s_andn2_b64 vcc, exec, s[4:5]
	s_cbranch_vccnz .LBB1330_6
; %bb.5:
	s_add_u32 s8, s34, 0x60
	s_mov_b64 s[4:5], src_shared_base
	s_addc_u32 s9, s35, 0
	s_getpc_b64 s[10:11]
	s_add_u32 s10, s10, _ZN7rocprim17ROCPRIM_400000_NS6detail40segmented_radix_sort_single_block_helperIflLj256ELj8ELb1EE4sortIPKfPfPKlPlEEbT_T0_T1_T2_jjjjRNS3_12storage_typeE@rel32@lo+4
	s_addc_u32 s11, s11, _ZN7rocprim17ROCPRIM_400000_NS6detail40segmented_radix_sort_single_block_helperIflLj256ELj8ELb1EE4sortIPKfPfPKlPlEEbT_T0_T1_T2_jjjjRNS3_12storage_typeE@rel32@hi+12
	v_or3_b32 v31, v0, v42, v41
	s_mov_b32 s12, s6
	s_mov_b32 s13, s33
	v_mov_b32_e32 v40, v0
	v_mov_b32_e32 v0, s64
	;; [unrolled: 1-line block ×17, first 2 shown]
	s_mov_b32 s36, s6
	s_swappc_b64 s[30:31], s[10:11]
	v_mov_b32_e32 v1, v41
	v_mov_b32_e32 v2, v42
	;; [unrolled: 1-line block ×3, first 2 shown]
	s_mov_b32 s6, s36
.LBB1330_6:
	s_mov_b64 s[4:5], 0
.LBB1330_7:
	s_andn2_b64 vcc, exec, s[4:5]
	s_cbranch_vccnz .LBB1330_670
; %bb.8:
	s_cmp_ge_u32 s77, s78
	s_cbranch_scc1 .LBB1330_670
; %bb.9:
	v_and_b32_e32 v4, 3, v0
	v_lshlrev_b32_e32 v42, 2, v4
	v_or_b32_e32 v4, 63, v0
	v_lshlrev_b32_e32 v32, 2, v0
	v_cmp_eq_u32_e64 s[8:9], v0, v4
	v_lshrrev_b32_e32 v4, 4, v0
	v_mad_u32_u24 v43, v0, 12, v32
	v_and_b32_e32 v44, 12, v4
	v_lshlrev_b32_e32 v4, 3, v0
	v_mov_b32_e32 v5, s69
	v_add_co_u32_e32 v36, vcc, s68, v32
	v_and_b32_e32 v48, 0x600, v4
	v_add_u32_e32 v49, v43, v32
	v_lshlrev_b32_e32 v4, 4, v0
	v_addc_co_u32_e32 v37, vcc, 0, v5, vcc
	v_sub_u32_e32 v50, v49, v4
	v_lshlrev_b32_e32 v4, 3, v48
	v_mov_b32_e32 v5, s75
	v_add_co_u32_e32 v51, vcc, s74, v4
	v_addc_co_u32_e32 v52, vcc, 0, v5, vcc
	v_lshlrev_b32_e32 v5, 2, v48
	v_mov_b32_e32 v6, s69
	v_add_co_u32_e32 v53, vcc, s68, v5
	v_addc_co_u32_e32 v54, vcc, 0, v6, vcc
	v_mov_b32_e32 v6, s67
	v_add_co_u32_e32 v55, vcc, s66, v32
	v_addc_co_u32_e32 v56, vcc, 0, v6, vcc
	;; [unrolled: 3-line block ×7, first 2 shown]
	v_mbcnt_lo_u32_b32 v4, -1, 0
	s_movk_i32 s4, 0x100
	v_or_b32_e32 v38, 0x400, v0
	v_or_b32_e32 v39, 0x500, v0
	;; [unrolled: 1-line block ×4, first 2 shown]
	s_add_u32 s56, s34, 0x60
	s_movk_i32 s7, 0xff
	v_mbcnt_hi_u32_b32 v74, -1, v4
	v_mov_b32_e32 v3, 0
	v_or_b32_e32 v33, 0x100, v0
	v_or_b32_e32 v34, 0x200, v0
	;; [unrolled: 1-line block ×3, first 2 shown]
	v_cmp_gt_u32_e64 s[4:5], s4, v0
	v_or_b32_e32 v45, 0x4400, v44
	v_cmp_gt_u32_e64 s[10:11], 4, v0
	v_or_b32_e32 v46, 0x4400, v32
	v_cmp_lt_u32_e64 s[12:13], 63, v0
	v_add_u32_e32 v47, 0x43fc, v44
	s_addc_u32 s57, s35, 0
	s_mov_b32 s59, 0
	v_cmp_eq_u32_e64 s[14:15], 0, v0
	v_cmp_ne_u32_e64 s[16:17], s7, v0
	s_brev_b32 s7, 1
	v_mov_b32_e32 v67, 1
	v_mov_b32_e32 v11, -1
	v_lshlrev_b32_e32 v68, 2, v0
	v_lshlrev_b32_e32 v69, 2, v38
	;; [unrolled: 1-line block ×5, first 2 shown]
	v_bfrev_b32_e32 v73, -2
	v_and_b32_e32 v75, 15, v74
	v_bfe_i32 v76, v74, 4, 1
	v_and_b32_e32 v77, 16, v74
	v_and_b32_e32 v78, 3, v74
	s_mov_b32 s62, s77
	s_branch .LBB1330_12
.LBB1330_10:                            ;   in Loop: Header=BB1330_12 Depth=1
	s_waitcnt lgkmcnt(0)
	s_barrier
.LBB1330_11:                            ;   in Loop: Header=BB1330_12 Depth=1
	s_add_i32 s62, s62, 8
	s_cmp_ge_u32 s62, s78
	s_cbranch_scc1 .LBB1330_670
.LBB1330_12:                            ; =>This Loop Header: Depth=1
                                        ;     Child Loop BB1330_16 Depth 2
                                        ;     Child Loop BB1330_64 Depth 2
	;; [unrolled: 1-line block ×8, first 2 shown]
	s_sub_i32 s18, s78, s62
	s_min_u32 s18, s18, 8
	s_lshl_b32 s18, -1, s18
	s_xor_b64 s[54:55], s[54:55], -1
	s_not_b32 s63, s18
	s_cmp_lg_u32 s62, s77
	s_mov_b64 s[18:19], -1
	ds_write2st64_b32 v32, v3, v3 offset1:4
	ds_write2st64_b32 v32, v3, v3 offset0:8 offset1:12
	s_waitcnt lgkmcnt(0)
	s_cbranch_scc0 .LBB1330_342
; %bb.13:                               ;   in Loop: Header=BB1330_12 Depth=1
	s_and_b64 vcc, exec, s[54:55]
	s_cbranch_vccz .LBB1330_177
; %bb.14:                               ;   in Loop: Header=BB1330_12 Depth=1
	v_mov_b32_e32 v10, v3
	v_mov_b32_e32 v4, v3
	;; [unrolled: 1-line block ×8, first 2 shown]
	s_mov_b32 s22, s79
	s_mov_b32 s58, s80
	v_mov_b32_e32 v18, v9
	v_mov_b32_e32 v17, v8
	v_mov_b32_e32 v16, v7
	v_mov_b32_e32 v15, v6
	v_mov_b32_e32 v14, v5
	v_mov_b32_e32 v13, v4
	v_mov_b32_e32 v12, v3
	s_barrier
	s_branch .LBB1330_16
.LBB1330_15:                            ;   in Loop: Header=BB1330_16 Depth=2
	s_or_b64 exec, exec, s[18:19]
	s_addk_i32 s22, 0xf800
	s_cmp_ge_u32 s23, s81
	s_mov_b32 s58, s23
	s_cbranch_scc1 .LBB1330_52
.LBB1330_16:                            ;   Parent Loop BB1330_12 Depth=1
                                        ; =>  This Inner Loop Header: Depth=2
	s_add_i32 s23, s58, 0x800
	s_cmp_gt_u32 s23, s81
	s_mov_b64 s[18:19], -1
                                        ; implicit-def: $vgpr20_vgpr21_vgpr22_vgpr23_vgpr24_vgpr25_vgpr26_vgpr27
	s_cbranch_scc1 .LBB1330_18
; %bb.17:                               ;   in Loop: Header=BB1330_16 Depth=2
	s_lshl_b64 s[18:19], s[58:59], 2
	v_mov_b32_e32 v5, s19
	v_add_co_u32_e32 v4, vcc, s18, v36
	v_addc_co_u32_e32 v5, vcc, v37, v5, vcc
	v_add_co_u32_e32 v6, vcc, 0x1000, v4
	v_addc_co_u32_e32 v7, vcc, 0, v5, vcc
	global_load_dword v20, v[4:5], off
	global_load_dword v21, v[4:5], off offset:1024
	global_load_dword v22, v[4:5], off offset:2048
	;; [unrolled: 1-line block ×3, first 2 shown]
	global_load_dword v24, v[6:7], off
	global_load_dword v25, v[6:7], off offset:1024
	global_load_dword v26, v[6:7], off offset:2048
	global_load_dword v27, v[6:7], off offset:3072
	s_mov_b64 s[18:19], 0
.LBB1330_18:                            ;   in Loop: Header=BB1330_16 Depth=2
	s_andn2_b64 vcc, exec, s[18:19]
	s_movk_i32 s20, 0x800
	s_cbranch_vccnz .LBB1330_29
; %bb.19:                               ;   in Loop: Header=BB1330_16 Depth=2
	s_lshl_b64 s[18:19], s[58:59], 2
	s_add_u32 s18, s68, s18
	s_addc_u32 s19, s69, s19
	v_cmp_gt_u32_e32 vcc, s22, v0
	s_and_saveexec_b64 s[20:21], vcc
	s_cbranch_execnz .LBB1330_45
; %bb.20:                               ;   in Loop: Header=BB1330_16 Depth=2
	s_or_b64 exec, exec, s[20:21]
	v_cmp_gt_u32_e32 vcc, s22, v33
	s_and_saveexec_b64 s[20:21], vcc
	s_cbranch_execnz .LBB1330_46
.LBB1330_21:                            ;   in Loop: Header=BB1330_16 Depth=2
	s_or_b64 exec, exec, s[20:21]
	v_cmp_gt_u32_e32 vcc, s22, v34
	s_and_saveexec_b64 s[20:21], vcc
	s_cbranch_execnz .LBB1330_47
.LBB1330_22:                            ;   in Loop: Header=BB1330_16 Depth=2
	s_or_b64 exec, exec, s[20:21]
	v_cmp_gt_u32_e32 vcc, s22, v35
	s_and_saveexec_b64 s[20:21], vcc
	s_cbranch_execnz .LBB1330_48
.LBB1330_23:                            ;   in Loop: Header=BB1330_16 Depth=2
	s_or_b64 exec, exec, s[20:21]
	v_cmp_gt_u32_e32 vcc, s22, v38
	s_and_saveexec_b64 s[20:21], vcc
	s_cbranch_execnz .LBB1330_49
.LBB1330_24:                            ;   in Loop: Header=BB1330_16 Depth=2
	s_or_b64 exec, exec, s[20:21]
	v_cmp_gt_u32_e32 vcc, s22, v39
	s_and_saveexec_b64 s[20:21], vcc
	s_cbranch_execnz .LBB1330_50
.LBB1330_25:                            ;   in Loop: Header=BB1330_16 Depth=2
	s_or_b64 exec, exec, s[20:21]
	v_cmp_gt_u32_e32 vcc, s22, v40
	s_and_saveexec_b64 s[20:21], vcc
	s_cbranch_execnz .LBB1330_51
.LBB1330_26:                            ;   in Loop: Header=BB1330_16 Depth=2
	s_or_b64 exec, exec, s[20:21]
	v_cmp_gt_u32_e32 vcc, s22, v41
	s_and_saveexec_b64 s[20:21], vcc
	s_cbranch_execz .LBB1330_28
.LBB1330_27:                            ;   in Loop: Header=BB1330_16 Depth=2
	global_load_dword v19, v72, s[18:19]
.LBB1330_28:                            ;   in Loop: Header=BB1330_16 Depth=2
	s_or_b64 exec, exec, s[20:21]
	s_waitcnt vmcnt(0)
	v_mov_b32_e32 v27, v19
	s_mov_b32 s20, s22
	v_mov_b32_e32 v26, v18
	v_mov_b32_e32 v25, v17
	;; [unrolled: 1-line block ×7, first 2 shown]
.LBB1330_29:                            ;   in Loop: Header=BB1330_16 Depth=2
	s_waitcnt vmcnt(0)
	v_mov_b32_e32 v12, v20
	v_mov_b32_e32 v13, v21
	;; [unrolled: 1-line block ×8, first 2 shown]
	v_cmp_gt_u32_e32 vcc, s20, v0
	s_and_saveexec_b64 s[18:19], vcc
	s_cbranch_execnz .LBB1330_37
; %bb.30:                               ;   in Loop: Header=BB1330_16 Depth=2
	s_or_b64 exec, exec, s[18:19]
	v_cmp_gt_u32_e32 vcc, s20, v33
	s_and_saveexec_b64 s[18:19], vcc
	s_cbranch_execnz .LBB1330_38
.LBB1330_31:                            ;   in Loop: Header=BB1330_16 Depth=2
	s_or_b64 exec, exec, s[18:19]
	v_cmp_gt_u32_e32 vcc, s20, v34
	s_and_saveexec_b64 s[18:19], vcc
	s_cbranch_execnz .LBB1330_39
.LBB1330_32:                            ;   in Loop: Header=BB1330_16 Depth=2
	s_or_b64 exec, exec, s[18:19]
	v_cmp_gt_u32_e32 vcc, s20, v35
	s_and_saveexec_b64 s[18:19], vcc
	s_cbranch_execnz .LBB1330_40
.LBB1330_33:                            ;   in Loop: Header=BB1330_16 Depth=2
	s_or_b64 exec, exec, s[18:19]
	v_cmp_gt_u32_e32 vcc, s20, v38
	s_and_saveexec_b64 s[18:19], vcc
	s_cbranch_execnz .LBB1330_41
.LBB1330_34:                            ;   in Loop: Header=BB1330_16 Depth=2
	s_or_b64 exec, exec, s[18:19]
	v_cmp_gt_u32_e32 vcc, s20, v39
	s_and_saveexec_b64 s[18:19], vcc
	s_cbranch_execnz .LBB1330_42
.LBB1330_35:                            ;   in Loop: Header=BB1330_16 Depth=2
	s_or_b64 exec, exec, s[18:19]
	v_cmp_gt_u32_e32 vcc, s20, v40
	s_and_saveexec_b64 s[18:19], vcc
	s_cbranch_execnz .LBB1330_43
.LBB1330_36:                            ;   in Loop: Header=BB1330_16 Depth=2
	s_or_b64 exec, exec, s[18:19]
	v_cmp_gt_u32_e32 vcc, s20, v41
	s_and_saveexec_b64 s[18:19], vcc
	s_cbranch_execz .LBB1330_15
	s_branch .LBB1330_44
.LBB1330_37:                            ;   in Loop: Header=BB1330_16 Depth=2
	v_cmp_gt_i32_e32 vcc, 0, v12
	v_cndmask_b32_e64 v4, v73, 0, vcc
	v_xor_b32_e32 v4, v4, v12
	v_cmp_ne_u32_e32 vcc, s7, v4
	v_cndmask_b32_e32 v4, v73, v4, vcc
	v_lshrrev_b32_e32 v4, s62, v4
	v_and_b32_e32 v4, s63, v4
	v_lshl_or_b32 v4, v4, 4, v42
	ds_add_u32 v4, v67
	s_or_b64 exec, exec, s[18:19]
	v_cmp_gt_u32_e32 vcc, s20, v33
	s_and_saveexec_b64 s[18:19], vcc
	s_cbranch_execz .LBB1330_31
.LBB1330_38:                            ;   in Loop: Header=BB1330_16 Depth=2
	v_cmp_gt_i32_e32 vcc, 0, v13
	v_cndmask_b32_e64 v4, v73, 0, vcc
	v_xor_b32_e32 v4, v4, v13
	v_cmp_ne_u32_e32 vcc, s7, v4
	v_cndmask_b32_e32 v4, v73, v4, vcc
	v_lshrrev_b32_e32 v4, s62, v4
	v_and_b32_e32 v4, s63, v4
	v_lshl_or_b32 v4, v4, 4, v42
	ds_add_u32 v4, v67
	s_or_b64 exec, exec, s[18:19]
	v_cmp_gt_u32_e32 vcc, s20, v34
	s_and_saveexec_b64 s[18:19], vcc
	s_cbranch_execz .LBB1330_32
.LBB1330_39:                            ;   in Loop: Header=BB1330_16 Depth=2
	v_cmp_gt_i32_e32 vcc, 0, v14
	v_cndmask_b32_e64 v4, v73, 0, vcc
	v_xor_b32_e32 v4, v4, v14
	v_cmp_ne_u32_e32 vcc, s7, v4
	v_cndmask_b32_e32 v4, v73, v4, vcc
	v_lshrrev_b32_e32 v4, s62, v4
	v_and_b32_e32 v4, s63, v4
	v_lshl_or_b32 v4, v4, 4, v42
	ds_add_u32 v4, v67
	s_or_b64 exec, exec, s[18:19]
	v_cmp_gt_u32_e32 vcc, s20, v35
	s_and_saveexec_b64 s[18:19], vcc
	s_cbranch_execz .LBB1330_33
.LBB1330_40:                            ;   in Loop: Header=BB1330_16 Depth=2
	v_cmp_gt_i32_e32 vcc, 0, v15
	v_cndmask_b32_e64 v4, v73, 0, vcc
	v_xor_b32_e32 v4, v4, v15
	v_cmp_ne_u32_e32 vcc, s7, v4
	v_cndmask_b32_e32 v4, v73, v4, vcc
	v_lshrrev_b32_e32 v4, s62, v4
	v_and_b32_e32 v4, s63, v4
	v_lshl_or_b32 v4, v4, 4, v42
	ds_add_u32 v4, v67
	s_or_b64 exec, exec, s[18:19]
	v_cmp_gt_u32_e32 vcc, s20, v38
	s_and_saveexec_b64 s[18:19], vcc
	s_cbranch_execz .LBB1330_34
.LBB1330_41:                            ;   in Loop: Header=BB1330_16 Depth=2
	v_cmp_gt_i32_e32 vcc, 0, v16
	v_cndmask_b32_e64 v4, v73, 0, vcc
	v_xor_b32_e32 v4, v4, v16
	v_cmp_ne_u32_e32 vcc, s7, v4
	v_cndmask_b32_e32 v4, v73, v4, vcc
	v_lshrrev_b32_e32 v4, s62, v4
	v_and_b32_e32 v4, s63, v4
	v_lshl_or_b32 v4, v4, 4, v42
	ds_add_u32 v4, v67
	s_or_b64 exec, exec, s[18:19]
	v_cmp_gt_u32_e32 vcc, s20, v39
	s_and_saveexec_b64 s[18:19], vcc
	s_cbranch_execz .LBB1330_35
.LBB1330_42:                            ;   in Loop: Header=BB1330_16 Depth=2
	v_cmp_gt_i32_e32 vcc, 0, v17
	v_cndmask_b32_e64 v4, v73, 0, vcc
	v_xor_b32_e32 v4, v4, v17
	v_cmp_ne_u32_e32 vcc, s7, v4
	v_cndmask_b32_e32 v4, v73, v4, vcc
	v_lshrrev_b32_e32 v4, s62, v4
	v_and_b32_e32 v4, s63, v4
	v_lshl_or_b32 v4, v4, 4, v42
	ds_add_u32 v4, v67
	s_or_b64 exec, exec, s[18:19]
	v_cmp_gt_u32_e32 vcc, s20, v40
	s_and_saveexec_b64 s[18:19], vcc
	s_cbranch_execz .LBB1330_36
.LBB1330_43:                            ;   in Loop: Header=BB1330_16 Depth=2
	v_cmp_gt_i32_e32 vcc, 0, v18
	v_cndmask_b32_e64 v4, v73, 0, vcc
	v_xor_b32_e32 v4, v4, v18
	v_cmp_ne_u32_e32 vcc, s7, v4
	v_cndmask_b32_e32 v4, v73, v4, vcc
	v_lshrrev_b32_e32 v4, s62, v4
	v_and_b32_e32 v4, s63, v4
	v_lshl_or_b32 v4, v4, 4, v42
	ds_add_u32 v4, v67
	s_or_b64 exec, exec, s[18:19]
	v_cmp_gt_u32_e32 vcc, s20, v41
	s_and_saveexec_b64 s[18:19], vcc
	s_cbranch_execz .LBB1330_15
.LBB1330_44:                            ;   in Loop: Header=BB1330_16 Depth=2
	v_cmp_gt_i32_e32 vcc, 0, v19
	v_cndmask_b32_e64 v4, v73, 0, vcc
	v_xor_b32_e32 v4, v4, v19
	v_cmp_ne_u32_e32 vcc, s7, v4
	v_cndmask_b32_e32 v4, v73, v4, vcc
	v_lshrrev_b32_e32 v4, s62, v4
	v_and_b32_e32 v4, s63, v4
	v_lshl_or_b32 v4, v4, 4, v42
	ds_add_u32 v4, v67
	s_branch .LBB1330_15
.LBB1330_45:                            ;   in Loop: Header=BB1330_16 Depth=2
	global_load_dword v12, v68, s[18:19]
	s_or_b64 exec, exec, s[20:21]
	v_cmp_gt_u32_e32 vcc, s22, v33
	s_and_saveexec_b64 s[20:21], vcc
	s_cbranch_execz .LBB1330_21
.LBB1330_46:                            ;   in Loop: Header=BB1330_16 Depth=2
	global_load_dword v13, v68, s[18:19] offset:1024
	s_or_b64 exec, exec, s[20:21]
	v_cmp_gt_u32_e32 vcc, s22, v34
	s_and_saveexec_b64 s[20:21], vcc
	s_cbranch_execz .LBB1330_22
.LBB1330_47:                            ;   in Loop: Header=BB1330_16 Depth=2
	global_load_dword v14, v68, s[18:19] offset:2048
	s_or_b64 exec, exec, s[20:21]
	v_cmp_gt_u32_e32 vcc, s22, v35
	s_and_saveexec_b64 s[20:21], vcc
	s_cbranch_execz .LBB1330_23
.LBB1330_48:                            ;   in Loop: Header=BB1330_16 Depth=2
	global_load_dword v15, v68, s[18:19] offset:3072
	s_or_b64 exec, exec, s[20:21]
	v_cmp_gt_u32_e32 vcc, s22, v38
	s_and_saveexec_b64 s[20:21], vcc
	s_cbranch_execz .LBB1330_24
.LBB1330_49:                            ;   in Loop: Header=BB1330_16 Depth=2
	global_load_dword v16, v69, s[18:19]
	s_or_b64 exec, exec, s[20:21]
	v_cmp_gt_u32_e32 vcc, s22, v39
	s_and_saveexec_b64 s[20:21], vcc
	s_cbranch_execz .LBB1330_25
.LBB1330_50:                            ;   in Loop: Header=BB1330_16 Depth=2
	global_load_dword v17, v70, s[18:19]
	s_or_b64 exec, exec, s[20:21]
	v_cmp_gt_u32_e32 vcc, s22, v40
	s_and_saveexec_b64 s[20:21], vcc
	s_cbranch_execz .LBB1330_26
.LBB1330_51:                            ;   in Loop: Header=BB1330_16 Depth=2
	global_load_dword v18, v71, s[18:19]
	s_or_b64 exec, exec, s[20:21]
	v_cmp_gt_u32_e32 vcc, s22, v41
	s_and_saveexec_b64 s[20:21], vcc
	s_cbranch_execnz .LBB1330_27
	s_branch .LBB1330_28
.LBB1330_52:                            ;   in Loop: Header=BB1330_12 Depth=1
	v_mov_b32_e32 v4, 0
	s_waitcnt lgkmcnt(0)
	s_barrier
	s_and_saveexec_b64 s[18:19], s[4:5]
	s_cbranch_execz .LBB1330_54
; %bb.53:                               ;   in Loop: Header=BB1330_12 Depth=1
	ds_read2_b64 v[4:7], v43 offset1:1
	s_waitcnt lgkmcnt(0)
	v_add_u32_e32 v4, v5, v4
	v_add3_u32 v4, v4, v6, v7
.LBB1330_54:                            ;   in Loop: Header=BB1330_12 Depth=1
	s_or_b64 exec, exec, s[18:19]
	s_nop 0
	v_mov_b32_dpp v5, v4 row_shr:1 row_mask:0xf bank_mask:0xf
	v_cmp_eq_u32_e64 s[18:19], 0, v75
	v_cndmask_b32_e64 v5, v5, 0, s[18:19]
	v_add_u32_e32 v4, v5, v4
	v_cmp_lt_u32_e64 s[20:21], 1, v75
	v_cmp_lt_u32_e64 s[22:23], 3, v75
	v_mov_b32_dpp v5, v4 row_shr:2 row_mask:0xf bank_mask:0xf
	v_cndmask_b32_e64 v5, 0, v5, s[20:21]
	v_add_u32_e32 v4, v4, v5
	v_cmp_lt_u32_e64 s[24:25], 7, v75
	v_cmp_lt_u32_e64 s[28:29], 31, v74
	v_mov_b32_dpp v5, v4 row_shr:4 row_mask:0xf bank_mask:0xf
	v_cndmask_b32_e64 v5, 0, v5, s[22:23]
	v_add_u32_e32 v4, v4, v5
	v_cmp_eq_u32_e64 s[26:27], 0, v77
	s_nop 0
	v_mov_b32_dpp v5, v4 row_shr:8 row_mask:0xf bank_mask:0xf
	v_cndmask_b32_e64 v5, 0, v5, s[24:25]
	v_add_u32_e32 v4, v4, v5
	s_nop 1
	v_mov_b32_dpp v5, v4 row_bcast:15 row_mask:0xf bank_mask:0xf
	v_and_b32_e32 v5, v76, v5
	v_add_u32_e32 v4, v4, v5
	s_nop 1
	v_mov_b32_dpp v5, v4 row_bcast:31 row_mask:0xf bank_mask:0xf
	v_cndmask_b32_e64 v5, 0, v5, s[28:29]
	v_add_u32_e32 v4, v4, v5
	s_and_saveexec_b64 s[30:31], s[8:9]
; %bb.55:                               ;   in Loop: Header=BB1330_12 Depth=1
	ds_write_b32 v45, v4
; %bb.56:                               ;   in Loop: Header=BB1330_12 Depth=1
	s_or_b64 exec, exec, s[30:31]
	s_waitcnt lgkmcnt(0)
	s_barrier
	s_and_saveexec_b64 s[30:31], s[10:11]
	s_cbranch_execz .LBB1330_58
; %bb.57:                               ;   in Loop: Header=BB1330_12 Depth=1
	ds_read_b32 v5, v46
	v_cmp_ne_u32_e32 vcc, 0, v78
	s_waitcnt lgkmcnt(0)
	v_mov_b32_dpp v6, v5 row_shr:1 row_mask:0xf bank_mask:0xf
	v_cndmask_b32_e32 v6, 0, v6, vcc
	v_add_u32_e32 v5, v6, v5
	v_cmp_lt_u32_e32 vcc, 1, v78
	s_nop 0
	v_mov_b32_dpp v6, v5 row_shr:2 row_mask:0xf bank_mask:0xf
	v_cndmask_b32_e32 v6, 0, v6, vcc
	v_add_u32_e32 v5, v5, v6
	ds_write_b32 v46, v5
.LBB1330_58:                            ;   in Loop: Header=BB1330_12 Depth=1
	s_or_b64 exec, exec, s[30:31]
	v_mov_b32_e32 v5, 0
	s_waitcnt lgkmcnt(0)
	s_barrier
	s_and_saveexec_b64 s[30:31], s[12:13]
; %bb.59:                               ;   in Loop: Header=BB1330_12 Depth=1
	ds_read_b32 v5, v47
; %bb.60:                               ;   in Loop: Header=BB1330_12 Depth=1
	s_or_b64 exec, exec, s[30:31]
	v_subrev_co_u32_e64 v6, s[30:31], 1, v74
	v_and_b32_e32 v7, 64, v74
	v_cmp_lt_i32_e32 vcc, v6, v7
	v_cndmask_b32_e32 v6, v6, v74, vcc
	s_waitcnt lgkmcnt(0)
	v_add_u32_e32 v4, v5, v4
	v_lshlrev_b32_e32 v79, 2, v6
	ds_bpermute_b32 v4, v79, v4
	s_waitcnt lgkmcnt(0)
	s_barrier
	s_and_saveexec_b64 s[34:35], s[4:5]
; %bb.61:                               ;   in Loop: Header=BB1330_12 Depth=1
	v_cndmask_b32_e64 v4, v4, v5, s[30:31]
	v_add_u32_e32 v4, s80, v4
	ds_write_b32 v32, v4
; %bb.62:                               ;   in Loop: Header=BB1330_12 Depth=1
	s_or_b64 exec, exec, s[34:35]
	s_load_dword s34, s[56:57], 0x4
	s_load_dword s38, s[56:57], 0xc
	v_and_b32_e32 v12, 63, v74
	v_lshlrev_b32_e32 v13, 3, v12
	v_or_b32_e32 v84, v12, v48
	s_waitcnt lgkmcnt(0)
	s_cmp_lt_u32 s33, s34
	s_cselect_b32 s34, 14, 20
	s_add_u32 s34, s56, s34
	s_addc_u32 s35, s57, 0
	global_load_ushort v4, v3, s[34:35]
	s_and_b32 s38, s38, 0xffff
	v_lshlrev_b32_e32 v14, 2, v12
	v_add_co_u32_e32 v87, vcc, v51, v13
	v_addc_co_u32_e32 v89, vcc, 0, v52, vcc
	v_add_co_u32_e32 v98, vcc, v53, v14
	v_cmp_eq_u32_e64 s[34:35], 0, v78
	v_cmp_lt_u32_e64 s[36:37], 1, v78
	s_mov_b32 s70, s79
	v_or_b32_e32 v91, 64, v84
	v_or_b32_e32 v92, 0x80, v84
	;; [unrolled: 1-line block ×7, first 2 shown]
	v_addc_co_u32_e32 v99, vcc, 0, v54, vcc
	s_mov_b32 s58, s80
                                        ; implicit-def: $vgpr5_vgpr6
                                        ; implicit-def: $vgpr7_vgpr8
                                        ; implicit-def: $vgpr9_vgpr10
                                        ; implicit-def: $vgpr20_vgpr21
                                        ; implicit-def: $vgpr22_vgpr23
                                        ; implicit-def: $vgpr24_vgpr25
                                        ; implicit-def: $vgpr26_vgpr27
                                        ; implicit-def: $vgpr28_vgpr29
                                        ; implicit-def: $vgpr80
                                        ; implicit-def: $vgpr81
                                        ; implicit-def: $vgpr82
                                        ; implicit-def: $vgpr83
                                        ; implicit-def: $vgpr85
                                        ; implicit-def: $vgpr86
                                        ; implicit-def: $vgpr88
                                        ; implicit-def: $vgpr90
	s_waitcnt vmcnt(0)
	v_mad_u32_u24 v4, v2, v4, v1
	v_mad_u64_u32 v[12:13], s[38:39], v4, s38, v[0:1]
	v_lshrrev_b32_e32 v4, 4, v12
	v_and_b32_e32 v100, 0xffffffc, v4
	s_branch .LBB1330_64
.LBB1330_63:                            ;   in Loop: Header=BB1330_64 Depth=2
	s_or_b64 exec, exec, s[38:39]
	s_addk_i32 s70, 0xf800
	s_cmp_lt_u32 s71, s81
	s_mov_b32 s58, s71
	s_cbranch_scc0 .LBB1330_176
.LBB1330_64:                            ;   Parent Loop BB1330_12 Depth=1
                                        ; =>  This Inner Loop Header: Depth=2
	s_add_i32 s71, s58, 0x800
	s_cmp_gt_u32 s71, s81
	s_cbranch_scc1 .LBB1330_66
; %bb.65:                               ;   in Loop: Header=BB1330_64 Depth=2
	s_lshl_b64 s[38:39], s[58:59], 2
	v_mov_b32_e32 v4, s39
	v_add_co_u32_e32 v18, vcc, s38, v98
	v_addc_co_u32_e32 v19, vcc, v99, v4, vcc
	global_load_dword v12, v[18:19], off
	global_load_dword v13, v[18:19], off offset:256
	global_load_dword v14, v[18:19], off offset:512
	global_load_dword v15, v[18:19], off offset:768
	global_load_dword v16, v[18:19], off offset:1024
	global_load_dword v17, v[18:19], off offset:1280
	s_nop 0
	global_load_dword v18, v[18:19], off offset:1536
	s_mov_b64 s[38:39], -1
	s_movk_i32 s42, 0x800
	s_cbranch_execz .LBB1330_67
	s_branch .LBB1330_76
.LBB1330_66:                            ;   in Loop: Header=BB1330_64 Depth=2
	s_mov_b64 s[38:39], 0
                                        ; implicit-def: $vgpr12_vgpr13_vgpr14_vgpr15_vgpr16_vgpr17_vgpr18_vgpr19
	s_movk_i32 s42, 0x800
.LBB1330_67:                            ;   in Loop: Header=BB1330_64 Depth=2
	s_lshl_b64 s[38:39], s[58:59], 2
	v_mov_b32_e32 v4, s39
	v_add_co_u32_e32 v30, vcc, s38, v98
	s_waitcnt vmcnt(6)
	v_mov_b32_e32 v12, v11
	s_waitcnt vmcnt(5)
	v_mov_b32_e32 v13, v11
	;; [unrolled: 2-line block ×7, first 2 shown]
	v_addc_co_u32_e32 v31, vcc, v99, v4, vcc
	v_mov_b32_e32 v19, v18
	v_cmp_gt_u32_e32 vcc, s70, v84
	v_mov_b32_e32 v18, v17
	v_mov_b32_e32 v17, v16
	;; [unrolled: 1-line block ×7, first 2 shown]
	s_and_saveexec_b64 s[38:39], vcc
	s_cbranch_execnz .LBB1330_170
; %bb.68:                               ;   in Loop: Header=BB1330_64 Depth=2
	s_or_b64 exec, exec, s[38:39]
	v_cmp_gt_u32_e32 vcc, s70, v91
	s_and_saveexec_b64 s[38:39], vcc
	s_cbranch_execnz .LBB1330_171
.LBB1330_69:                            ;   in Loop: Header=BB1330_64 Depth=2
	s_or_b64 exec, exec, s[38:39]
	v_cmp_gt_u32_e32 vcc, s70, v92
	s_and_saveexec_b64 s[38:39], vcc
	s_cbranch_execnz .LBB1330_172
.LBB1330_70:                            ;   in Loop: Header=BB1330_64 Depth=2
	s_or_b64 exec, exec, s[38:39]
	v_cmp_gt_u32_e32 vcc, s70, v93
	s_and_saveexec_b64 s[38:39], vcc
	s_cbranch_execnz .LBB1330_173
.LBB1330_71:                            ;   in Loop: Header=BB1330_64 Depth=2
	s_or_b64 exec, exec, s[38:39]
	v_cmp_gt_u32_e32 vcc, s70, v94
	s_and_saveexec_b64 s[38:39], vcc
	s_cbranch_execnz .LBB1330_174
.LBB1330_72:                            ;   in Loop: Header=BB1330_64 Depth=2
	s_or_b64 exec, exec, s[38:39]
	v_cmp_gt_u32_e32 vcc, s70, v95
	s_and_saveexec_b64 s[38:39], vcc
	s_cbranch_execnz .LBB1330_175
.LBB1330_73:                            ;   in Loop: Header=BB1330_64 Depth=2
	s_or_b64 exec, exec, s[38:39]
	v_cmp_gt_u32_e32 vcc, s70, v96
	s_and_saveexec_b64 s[38:39], vcc
	s_cbranch_execz .LBB1330_75
.LBB1330_74:                            ;   in Loop: Header=BB1330_64 Depth=2
	global_load_dword v18, v[30:31], off offset:1536
.LBB1330_75:                            ;   in Loop: Header=BB1330_64 Depth=2
	s_or_b64 exec, exec, s[38:39]
	s_sub_i32 s42, s81, s58
	v_cmp_gt_u32_e64 s[38:39], s70, v97
.LBB1330_76:                            ;   in Loop: Header=BB1330_64 Depth=2
	v_mov_b32_e32 v101, s70
	s_and_saveexec_b64 s[40:41], s[38:39]
	s_cbranch_execz .LBB1330_78
; %bb.77:                               ;   in Loop: Header=BB1330_64 Depth=2
	s_lshl_b64 s[38:39], s[58:59], 2
	v_mov_b32_e32 v4, s39
	v_add_co_u32_e32 v30, vcc, s38, v98
	v_addc_co_u32_e32 v31, vcc, v99, v4, vcc
	global_load_dword v19, v[30:31], off offset:1792
	v_mov_b32_e32 v101, s42
.LBB1330_78:                            ;   in Loop: Header=BB1330_64 Depth=2
	s_or_b64 exec, exec, s[40:41]
	s_waitcnt vmcnt(0)
	v_cmp_gt_i32_e32 vcc, 0, v12
	v_cndmask_b32_e64 v4, v73, 0, vcc
	v_xor_b32_e32 v102, v4, v12
	v_cmp_ne_u32_e32 vcc, s7, v102
	v_cndmask_b32_e32 v4, v73, v102, vcc
	v_lshrrev_b32_e32 v4, s62, v4
	v_and_b32_e32 v12, s63, v4
	v_and_b32_e32 v4, 1, v12
	v_add_co_u32_e32 v30, vcc, -1, v4
	v_addc_co_u32_e64 v31, s[38:39], 0, -1, vcc
	v_cmp_ne_u32_e32 vcc, 0, v4
	v_xor_b32_e32 v4, vcc_hi, v31
	v_and_b32_e32 v31, exec_hi, v4
	v_lshlrev_b32_e32 v4, 30, v12
	v_xor_b32_e32 v30, vcc_lo, v30
	v_cmp_gt_i64_e32 vcc, 0, v[3:4]
	v_not_b32_e32 v4, v4
	v_ashrrev_i32_e32 v4, 31, v4
	v_and_b32_e32 v30, exec_lo, v30
	v_xor_b32_e32 v105, vcc_hi, v4
	v_xor_b32_e32 v4, vcc_lo, v4
	v_and_b32_e32 v30, v30, v4
	v_lshlrev_b32_e32 v4, 29, v12
	v_cmp_gt_i64_e32 vcc, 0, v[3:4]
	v_not_b32_e32 v4, v4
	v_ashrrev_i32_e32 v4, 31, v4
	v_and_b32_e32 v31, v31, v105
	v_xor_b32_e32 v105, vcc_hi, v4
	v_xor_b32_e32 v4, vcc_lo, v4
	v_and_b32_e32 v30, v30, v4
	v_lshlrev_b32_e32 v4, 28, v12
	v_cmp_gt_i64_e32 vcc, 0, v[3:4]
	v_not_b32_e32 v4, v4
	v_ashrrev_i32_e32 v4, 31, v4
	v_and_b32_e32 v31, v31, v105
	;; [unrolled: 8-line block ×5, first 2 shown]
	v_xor_b32_e32 v105, vcc_hi, v4
	v_xor_b32_e32 v4, vcc_lo, v4
	v_and_b32_e32 v30, v30, v4
	v_lshlrev_b32_e32 v4, 24, v12
	v_cmp_gt_i64_e32 vcc, 0, v[3:4]
	v_not_b32_e32 v4, v4
	v_ashrrev_i32_e32 v4, 31, v4
	v_mul_u32_u24_e32 v106, 20, v12
	v_xor_b32_e32 v12, vcc_hi, v4
	v_xor_b32_e32 v4, vcc_lo, v4
	v_and_b32_e32 v31, v31, v105
	v_and_b32_e32 v30, v30, v4
	;; [unrolled: 1-line block ×3, first 2 shown]
	v_mbcnt_lo_u32_b32 v4, v30, 0
	v_mbcnt_hi_u32_b32 v105, v31, v4
	v_cmp_ne_u64_e32 vcc, 0, v[30:31]
	v_cmp_eq_u32_e64 s[38:39], 0, v105
	v_add_u32_e32 v104, 0x410, v49
	v_add_u32_e32 v103, 0x418, v49
	s_and_b64 s[40:41], vcc, s[38:39]
	v_add_u32_e32 v106, v100, v106
	ds_write2_b32 v104, v3, v3 offset1:1
	ds_write2_b32 v103, v3, v3 offset1:1
	ds_write_b32 v49, v3 offset:1056
	s_waitcnt lgkmcnt(0)
	s_barrier
	; wave barrier
	s_and_saveexec_b64 s[38:39], s[40:41]
; %bb.79:                               ;   in Loop: Header=BB1330_64 Depth=2
	v_bcnt_u32_b32 v4, v30, 0
	v_bcnt_u32_b32 v4, v31, v4
	ds_write_b32 v106, v4 offset:1040
; %bb.80:                               ;   in Loop: Header=BB1330_64 Depth=2
	s_or_b64 exec, exec, s[38:39]
	v_cmp_gt_i32_e32 vcc, 0, v13
	v_cndmask_b32_e64 v4, v73, 0, vcc
	v_xor_b32_e32 v30, v4, v13
	v_cmp_ne_u32_e32 vcc, s7, v30
	v_cndmask_b32_e32 v4, v73, v30, vcc
	v_lshrrev_b32_e32 v4, s62, v4
	v_and_b32_e32 v12, s63, v4
	v_mad_u32_u24 v4, v12, 20, v100
	; wave barrier
	ds_read_b32 v31, v4 offset:1040
	v_and_b32_e32 v4, 1, v12
	v_add_co_u32_e32 v13, vcc, -1, v4
	v_addc_co_u32_e64 v107, s[38:39], 0, -1, vcc
	v_cmp_ne_u32_e32 vcc, 0, v4
	v_xor_b32_e32 v4, vcc_hi, v107
	v_and_b32_e32 v107, exec_hi, v4
	v_lshlrev_b32_e32 v4, 30, v12
	v_xor_b32_e32 v13, vcc_lo, v13
	v_cmp_gt_i64_e32 vcc, 0, v[3:4]
	v_not_b32_e32 v4, v4
	v_ashrrev_i32_e32 v4, 31, v4
	v_and_b32_e32 v13, exec_lo, v13
	v_xor_b32_e32 v109, vcc_hi, v4
	v_xor_b32_e32 v4, vcc_lo, v4
	v_and_b32_e32 v13, v13, v4
	v_lshlrev_b32_e32 v4, 29, v12
	v_cmp_gt_i64_e32 vcc, 0, v[3:4]
	v_not_b32_e32 v4, v4
	v_ashrrev_i32_e32 v4, 31, v4
	v_and_b32_e32 v107, v107, v109
	v_xor_b32_e32 v109, vcc_hi, v4
	v_xor_b32_e32 v4, vcc_lo, v4
	v_and_b32_e32 v13, v13, v4
	v_lshlrev_b32_e32 v4, 28, v12
	v_cmp_gt_i64_e32 vcc, 0, v[3:4]
	v_not_b32_e32 v4, v4
	v_ashrrev_i32_e32 v4, 31, v4
	v_and_b32_e32 v107, v107, v109
	;; [unrolled: 8-line block ×5, first 2 shown]
	v_xor_b32_e32 v109, vcc_hi, v4
	v_xor_b32_e32 v4, vcc_lo, v4
	v_and_b32_e32 v107, v107, v109
	v_and_b32_e32 v109, v13, v4
	v_lshlrev_b32_e32 v4, 24, v12
	v_cmp_gt_i64_e32 vcc, 0, v[3:4]
	v_not_b32_e32 v4, v4
	v_ashrrev_i32_e32 v4, 31, v4
	v_mul_u32_u24_e32 v108, 20, v12
	v_xor_b32_e32 v12, vcc_hi, v4
	v_xor_b32_e32 v4, vcc_lo, v4
	v_and_b32_e32 v13, v107, v12
	v_and_b32_e32 v12, v109, v4
	v_mbcnt_lo_u32_b32 v4, v12, 0
	v_mbcnt_hi_u32_b32 v107, v13, v4
	v_cmp_ne_u64_e32 vcc, 0, v[12:13]
	v_cmp_eq_u32_e64 s[38:39], 0, v107
	s_and_b64 s[40:41], vcc, s[38:39]
	v_add_u32_e32 v110, v100, v108
	; wave barrier
	s_and_saveexec_b64 s[38:39], s[40:41]
	s_cbranch_execz .LBB1330_82
; %bb.81:                               ;   in Loop: Header=BB1330_64 Depth=2
	v_bcnt_u32_b32 v4, v12, 0
	v_bcnt_u32_b32 v4, v13, v4
	s_waitcnt lgkmcnt(0)
	v_add_u32_e32 v4, v31, v4
	ds_write_b32 v110, v4 offset:1040
.LBB1330_82:                            ;   in Loop: Header=BB1330_64 Depth=2
	s_or_b64 exec, exec, s[38:39]
	v_cmp_gt_i32_e32 vcc, 0, v14
	v_cndmask_b32_e64 v4, v73, 0, vcc
	v_xor_b32_e32 v108, v4, v14
	v_cmp_ne_u32_e32 vcc, s7, v108
	v_cndmask_b32_e32 v4, v73, v108, vcc
	v_lshrrev_b32_e32 v4, s62, v4
	v_and_b32_e32 v12, s63, v4
	v_mad_u32_u24 v4, v12, 20, v100
	; wave barrier
	ds_read_b32 v109, v4 offset:1040
	v_and_b32_e32 v4, 1, v12
	v_add_co_u32_e32 v13, vcc, -1, v4
	v_addc_co_u32_e64 v111, s[38:39], 0, -1, vcc
	v_cmp_ne_u32_e32 vcc, 0, v4
	v_xor_b32_e32 v4, vcc_hi, v111
	v_and_b32_e32 v111, exec_hi, v4
	v_lshlrev_b32_e32 v4, 30, v12
	v_xor_b32_e32 v13, vcc_lo, v13
	v_cmp_gt_i64_e32 vcc, 0, v[3:4]
	v_not_b32_e32 v4, v4
	v_ashrrev_i32_e32 v4, 31, v4
	v_and_b32_e32 v13, exec_lo, v13
	v_xor_b32_e32 v112, vcc_hi, v4
	v_xor_b32_e32 v4, vcc_lo, v4
	v_and_b32_e32 v13, v13, v4
	v_lshlrev_b32_e32 v4, 29, v12
	v_cmp_gt_i64_e32 vcc, 0, v[3:4]
	v_not_b32_e32 v4, v4
	v_ashrrev_i32_e32 v4, 31, v4
	v_and_b32_e32 v111, v111, v112
	v_xor_b32_e32 v112, vcc_hi, v4
	v_xor_b32_e32 v4, vcc_lo, v4
	v_and_b32_e32 v13, v13, v4
	v_lshlrev_b32_e32 v4, 28, v12
	v_cmp_gt_i64_e32 vcc, 0, v[3:4]
	v_not_b32_e32 v4, v4
	v_ashrrev_i32_e32 v4, 31, v4
	v_and_b32_e32 v111, v111, v112
	;; [unrolled: 8-line block ×5, first 2 shown]
	v_xor_b32_e32 v112, vcc_hi, v4
	v_xor_b32_e32 v4, vcc_lo, v4
	v_and_b32_e32 v111, v111, v112
	v_and_b32_e32 v112, v13, v4
	v_lshlrev_b32_e32 v4, 24, v12
	v_cmp_gt_i64_e32 vcc, 0, v[3:4]
	v_not_b32_e32 v4, v4
	v_ashrrev_i32_e32 v4, 31, v4
	v_mul_u32_u24_e32 v14, 20, v12
	v_xor_b32_e32 v12, vcc_hi, v4
	v_xor_b32_e32 v4, vcc_lo, v4
	v_and_b32_e32 v13, v111, v12
	v_and_b32_e32 v12, v112, v4
	v_mbcnt_lo_u32_b32 v4, v12, 0
	v_mbcnt_hi_u32_b32 v111, v13, v4
	v_cmp_ne_u64_e32 vcc, 0, v[12:13]
	v_cmp_eq_u32_e64 s[38:39], 0, v111
	s_and_b64 s[40:41], vcc, s[38:39]
	v_add_u32_e32 v114, v100, v14
	; wave barrier
	s_and_saveexec_b64 s[38:39], s[40:41]
	s_cbranch_execz .LBB1330_84
; %bb.83:                               ;   in Loop: Header=BB1330_64 Depth=2
	v_bcnt_u32_b32 v4, v12, 0
	v_bcnt_u32_b32 v4, v13, v4
	s_waitcnt lgkmcnt(0)
	v_add_u32_e32 v4, v109, v4
	ds_write_b32 v114, v4 offset:1040
.LBB1330_84:                            ;   in Loop: Header=BB1330_64 Depth=2
	s_or_b64 exec, exec, s[38:39]
	v_cmp_gt_i32_e32 vcc, 0, v15
	v_cndmask_b32_e64 v4, v73, 0, vcc
	v_xor_b32_e32 v112, v4, v15
	v_cmp_ne_u32_e32 vcc, s7, v112
	v_cndmask_b32_e32 v4, v73, v112, vcc
	v_lshrrev_b32_e32 v4, s62, v4
	v_and_b32_e32 v12, s63, v4
	v_mad_u32_u24 v4, v12, 20, v100
	; wave barrier
	ds_read_b32 v113, v4 offset:1040
	v_and_b32_e32 v4, 1, v12
	v_add_co_u32_e32 v13, vcc, -1, v4
	v_addc_co_u32_e64 v15, s[38:39], 0, -1, vcc
	v_cmp_ne_u32_e32 vcc, 0, v4
	v_xor_b32_e32 v4, vcc_hi, v15
	v_and_b32_e32 v15, exec_hi, v4
	v_lshlrev_b32_e32 v4, 30, v12
	v_xor_b32_e32 v13, vcc_lo, v13
	v_cmp_gt_i64_e32 vcc, 0, v[3:4]
	v_not_b32_e32 v4, v4
	v_ashrrev_i32_e32 v4, 31, v4
	v_and_b32_e32 v13, exec_lo, v13
	v_xor_b32_e32 v115, vcc_hi, v4
	v_xor_b32_e32 v4, vcc_lo, v4
	v_and_b32_e32 v13, v13, v4
	v_lshlrev_b32_e32 v4, 29, v12
	v_cmp_gt_i64_e32 vcc, 0, v[3:4]
	v_not_b32_e32 v4, v4
	v_ashrrev_i32_e32 v4, 31, v4
	v_and_b32_e32 v15, v15, v115
	v_xor_b32_e32 v115, vcc_hi, v4
	v_xor_b32_e32 v4, vcc_lo, v4
	v_and_b32_e32 v13, v13, v4
	v_lshlrev_b32_e32 v4, 28, v12
	v_cmp_gt_i64_e32 vcc, 0, v[3:4]
	v_not_b32_e32 v4, v4
	v_ashrrev_i32_e32 v4, 31, v4
	v_and_b32_e32 v15, v15, v115
	;; [unrolled: 8-line block ×5, first 2 shown]
	v_xor_b32_e32 v115, vcc_hi, v4
	v_xor_b32_e32 v4, vcc_lo, v4
	v_and_b32_e32 v15, v15, v115
	v_and_b32_e32 v115, v13, v4
	v_lshlrev_b32_e32 v4, 24, v12
	v_cmp_gt_i64_e32 vcc, 0, v[3:4]
	v_not_b32_e32 v4, v4
	v_ashrrev_i32_e32 v4, 31, v4
	v_mul_u32_u24_e32 v14, 20, v12
	v_xor_b32_e32 v12, vcc_hi, v4
	v_xor_b32_e32 v4, vcc_lo, v4
	v_and_b32_e32 v13, v15, v12
	v_and_b32_e32 v12, v115, v4
	v_mbcnt_lo_u32_b32 v4, v12, 0
	v_mbcnt_hi_u32_b32 v115, v13, v4
	v_cmp_ne_u64_e32 vcc, 0, v[12:13]
	v_cmp_eq_u32_e64 s[38:39], 0, v115
	s_and_b64 s[40:41], vcc, s[38:39]
	v_add_u32_e32 v117, v100, v14
	; wave barrier
	s_and_saveexec_b64 s[38:39], s[40:41]
	s_cbranch_execz .LBB1330_86
; %bb.85:                               ;   in Loop: Header=BB1330_64 Depth=2
	v_bcnt_u32_b32 v4, v12, 0
	v_bcnt_u32_b32 v4, v13, v4
	s_waitcnt lgkmcnt(0)
	v_add_u32_e32 v4, v113, v4
	ds_write_b32 v117, v4 offset:1040
.LBB1330_86:                            ;   in Loop: Header=BB1330_64 Depth=2
	s_or_b64 exec, exec, s[38:39]
	v_cmp_gt_i32_e32 vcc, 0, v16
	v_cndmask_b32_e64 v4, v73, 0, vcc
	v_xor_b32_e32 v116, v4, v16
	v_cmp_ne_u32_e32 vcc, s7, v116
	v_cndmask_b32_e32 v4, v73, v116, vcc
	v_lshrrev_b32_e32 v4, s62, v4
	v_and_b32_e32 v12, s63, v4
	v_mad_u32_u24 v4, v12, 20, v100
	; wave barrier
	ds_read_b32 v16, v4 offset:1040
	v_and_b32_e32 v4, 1, v12
	v_add_co_u32_e32 v13, vcc, -1, v4
	v_addc_co_u32_e64 v15, s[38:39], 0, -1, vcc
	v_cmp_ne_u32_e32 vcc, 0, v4
	v_xor_b32_e32 v4, vcc_hi, v15
	v_and_b32_e32 v15, exec_hi, v4
	v_lshlrev_b32_e32 v4, 30, v12
	v_xor_b32_e32 v13, vcc_lo, v13
	v_cmp_gt_i64_e32 vcc, 0, v[3:4]
	v_not_b32_e32 v4, v4
	v_ashrrev_i32_e32 v4, 31, v4
	v_and_b32_e32 v13, exec_lo, v13
	v_xor_b32_e32 v118, vcc_hi, v4
	v_xor_b32_e32 v4, vcc_lo, v4
	v_and_b32_e32 v13, v13, v4
	v_lshlrev_b32_e32 v4, 29, v12
	v_cmp_gt_i64_e32 vcc, 0, v[3:4]
	v_not_b32_e32 v4, v4
	v_ashrrev_i32_e32 v4, 31, v4
	v_and_b32_e32 v15, v15, v118
	v_xor_b32_e32 v118, vcc_hi, v4
	v_xor_b32_e32 v4, vcc_lo, v4
	v_and_b32_e32 v13, v13, v4
	v_lshlrev_b32_e32 v4, 28, v12
	v_cmp_gt_i64_e32 vcc, 0, v[3:4]
	v_not_b32_e32 v4, v4
	v_ashrrev_i32_e32 v4, 31, v4
	v_and_b32_e32 v15, v15, v118
	;; [unrolled: 8-line block ×5, first 2 shown]
	v_xor_b32_e32 v118, vcc_hi, v4
	v_xor_b32_e32 v4, vcc_lo, v4
	v_and_b32_e32 v15, v15, v118
	v_and_b32_e32 v118, v13, v4
	v_lshlrev_b32_e32 v4, 24, v12
	v_cmp_gt_i64_e32 vcc, 0, v[3:4]
	v_not_b32_e32 v4, v4
	v_ashrrev_i32_e32 v4, 31, v4
	v_mul_u32_u24_e32 v14, 20, v12
	v_xor_b32_e32 v12, vcc_hi, v4
	v_xor_b32_e32 v4, vcc_lo, v4
	v_and_b32_e32 v13, v15, v12
	v_and_b32_e32 v12, v118, v4
	v_mbcnt_lo_u32_b32 v4, v12, 0
	v_mbcnt_hi_u32_b32 v118, v13, v4
	v_cmp_ne_u64_e32 vcc, 0, v[12:13]
	v_cmp_eq_u32_e64 s[38:39], 0, v118
	s_and_b64 s[40:41], vcc, s[38:39]
	v_add_u32_e32 v121, v100, v14
	; wave barrier
	s_and_saveexec_b64 s[38:39], s[40:41]
	s_cbranch_execz .LBB1330_88
; %bb.87:                               ;   in Loop: Header=BB1330_64 Depth=2
	v_bcnt_u32_b32 v4, v12, 0
	v_bcnt_u32_b32 v4, v13, v4
	s_waitcnt lgkmcnt(0)
	v_add_u32_e32 v4, v16, v4
	ds_write_b32 v121, v4 offset:1040
.LBB1330_88:                            ;   in Loop: Header=BB1330_64 Depth=2
	s_or_b64 exec, exec, s[38:39]
	v_cmp_gt_i32_e32 vcc, 0, v17
	v_cndmask_b32_e64 v4, v73, 0, vcc
	v_xor_b32_e32 v119, v4, v17
	v_cmp_ne_u32_e32 vcc, s7, v119
	v_cndmask_b32_e32 v4, v73, v119, vcc
	v_lshrrev_b32_e32 v4, s62, v4
	v_and_b32_e32 v12, s63, v4
	v_mad_u32_u24 v4, v12, 20, v100
	; wave barrier
	ds_read_b32 v120, v4 offset:1040
	v_and_b32_e32 v4, 1, v12
	v_add_co_u32_e32 v13, vcc, -1, v4
	v_addc_co_u32_e64 v15, s[38:39], 0, -1, vcc
	v_cmp_ne_u32_e32 vcc, 0, v4
	v_xor_b32_e32 v4, vcc_hi, v15
	v_and_b32_e32 v15, exec_hi, v4
	v_lshlrev_b32_e32 v4, 30, v12
	v_xor_b32_e32 v13, vcc_lo, v13
	v_cmp_gt_i64_e32 vcc, 0, v[3:4]
	v_not_b32_e32 v4, v4
	v_ashrrev_i32_e32 v4, 31, v4
	v_and_b32_e32 v13, exec_lo, v13
	v_xor_b32_e32 v17, vcc_hi, v4
	v_xor_b32_e32 v4, vcc_lo, v4
	v_and_b32_e32 v13, v13, v4
	v_lshlrev_b32_e32 v4, 29, v12
	v_cmp_gt_i64_e32 vcc, 0, v[3:4]
	v_not_b32_e32 v4, v4
	v_ashrrev_i32_e32 v4, 31, v4
	v_and_b32_e32 v15, v15, v17
	v_xor_b32_e32 v17, vcc_hi, v4
	v_xor_b32_e32 v4, vcc_lo, v4
	v_and_b32_e32 v13, v13, v4
	v_lshlrev_b32_e32 v4, 28, v12
	v_cmp_gt_i64_e32 vcc, 0, v[3:4]
	v_not_b32_e32 v4, v4
	v_ashrrev_i32_e32 v4, 31, v4
	v_and_b32_e32 v15, v15, v17
	;; [unrolled: 8-line block ×5, first 2 shown]
	v_xor_b32_e32 v17, vcc_hi, v4
	v_xor_b32_e32 v4, vcc_lo, v4
	v_and_b32_e32 v15, v15, v17
	v_and_b32_e32 v17, v13, v4
	v_lshlrev_b32_e32 v4, 24, v12
	v_cmp_gt_i64_e32 vcc, 0, v[3:4]
	v_not_b32_e32 v4, v4
	v_ashrrev_i32_e32 v4, 31, v4
	v_mul_u32_u24_e32 v14, 20, v12
	v_xor_b32_e32 v12, vcc_hi, v4
	v_xor_b32_e32 v4, vcc_lo, v4
	v_and_b32_e32 v13, v15, v12
	v_and_b32_e32 v12, v17, v4
	v_mbcnt_lo_u32_b32 v4, v12, 0
	v_mbcnt_hi_u32_b32 v122, v13, v4
	v_cmp_ne_u64_e32 vcc, 0, v[12:13]
	v_cmp_eq_u32_e64 s[38:39], 0, v122
	s_and_b64 s[40:41], vcc, s[38:39]
	v_add_u32_e32 v17, v100, v14
	; wave barrier
	s_and_saveexec_b64 s[38:39], s[40:41]
	s_cbranch_execz .LBB1330_90
; %bb.89:                               ;   in Loop: Header=BB1330_64 Depth=2
	v_bcnt_u32_b32 v4, v12, 0
	v_bcnt_u32_b32 v4, v13, v4
	s_waitcnt lgkmcnt(0)
	v_add_u32_e32 v4, v120, v4
	ds_write_b32 v17, v4 offset:1040
.LBB1330_90:                            ;   in Loop: Header=BB1330_64 Depth=2
	s_or_b64 exec, exec, s[38:39]
	v_cmp_gt_i32_e32 vcc, 0, v18
	v_cndmask_b32_e64 v4, v73, 0, vcc
	v_xor_b32_e32 v123, v4, v18
	v_cmp_ne_u32_e32 vcc, s7, v123
	v_cndmask_b32_e32 v4, v73, v123, vcc
	v_lshrrev_b32_e32 v4, s62, v4
	v_and_b32_e32 v12, s63, v4
	v_mad_u32_u24 v4, v12, 20, v100
	; wave barrier
	ds_read_b32 v124, v4 offset:1040
	v_and_b32_e32 v4, 1, v12
	v_add_co_u32_e32 v13, vcc, -1, v4
	v_addc_co_u32_e64 v15, s[38:39], 0, -1, vcc
	v_cmp_ne_u32_e32 vcc, 0, v4
	v_xor_b32_e32 v4, vcc_hi, v15
	v_and_b32_e32 v15, exec_hi, v4
	v_lshlrev_b32_e32 v4, 30, v12
	v_xor_b32_e32 v13, vcc_lo, v13
	v_cmp_gt_i64_e32 vcc, 0, v[3:4]
	v_not_b32_e32 v4, v4
	v_ashrrev_i32_e32 v4, 31, v4
	v_and_b32_e32 v13, exec_lo, v13
	v_xor_b32_e32 v18, vcc_hi, v4
	v_xor_b32_e32 v4, vcc_lo, v4
	v_and_b32_e32 v13, v13, v4
	v_lshlrev_b32_e32 v4, 29, v12
	v_cmp_gt_i64_e32 vcc, 0, v[3:4]
	v_not_b32_e32 v4, v4
	v_ashrrev_i32_e32 v4, 31, v4
	v_and_b32_e32 v15, v15, v18
	v_xor_b32_e32 v18, vcc_hi, v4
	v_xor_b32_e32 v4, vcc_lo, v4
	v_and_b32_e32 v13, v13, v4
	v_lshlrev_b32_e32 v4, 28, v12
	v_cmp_gt_i64_e32 vcc, 0, v[3:4]
	v_not_b32_e32 v4, v4
	v_ashrrev_i32_e32 v4, 31, v4
	v_and_b32_e32 v15, v15, v18
	;; [unrolled: 8-line block ×5, first 2 shown]
	v_xor_b32_e32 v18, vcc_hi, v4
	v_xor_b32_e32 v4, vcc_lo, v4
	v_and_b32_e32 v15, v15, v18
	v_and_b32_e32 v18, v13, v4
	v_lshlrev_b32_e32 v4, 24, v12
	v_cmp_gt_i64_e32 vcc, 0, v[3:4]
	v_not_b32_e32 v4, v4
	v_ashrrev_i32_e32 v4, 31, v4
	v_mul_u32_u24_e32 v14, 20, v12
	v_xor_b32_e32 v12, vcc_hi, v4
	v_xor_b32_e32 v4, vcc_lo, v4
	v_and_b32_e32 v13, v15, v12
	v_and_b32_e32 v12, v18, v4
	v_mbcnt_lo_u32_b32 v4, v12, 0
	v_mbcnt_hi_u32_b32 v125, v13, v4
	v_cmp_ne_u64_e32 vcc, 0, v[12:13]
	v_cmp_eq_u32_e64 s[38:39], 0, v125
	s_and_b64 s[40:41], vcc, s[38:39]
	v_add_u32_e32 v18, v100, v14
	; wave barrier
	s_and_saveexec_b64 s[38:39], s[40:41]
	s_cbranch_execz .LBB1330_92
; %bb.91:                               ;   in Loop: Header=BB1330_64 Depth=2
	v_bcnt_u32_b32 v4, v12, 0
	v_bcnt_u32_b32 v4, v13, v4
	s_waitcnt lgkmcnt(0)
	v_add_u32_e32 v4, v124, v4
	ds_write_b32 v18, v4 offset:1040
.LBB1330_92:                            ;   in Loop: Header=BB1330_64 Depth=2
	s_or_b64 exec, exec, s[38:39]
	v_cmp_gt_i32_e32 vcc, 0, v19
	v_cndmask_b32_e64 v4, v73, 0, vcc
	v_xor_b32_e32 v126, v4, v19
	v_cmp_ne_u32_e32 vcc, s7, v126
	v_cndmask_b32_e32 v4, v73, v126, vcc
	v_lshrrev_b32_e32 v4, s62, v4
	v_and_b32_e32 v12, s63, v4
	v_mad_u32_u24 v4, v12, 20, v100
	; wave barrier
	ds_read_b32 v127, v4 offset:1040
	v_and_b32_e32 v4, 1, v12
	v_add_co_u32_e32 v13, vcc, -1, v4
	v_addc_co_u32_e64 v15, s[38:39], 0, -1, vcc
	v_cmp_ne_u32_e32 vcc, 0, v4
	v_xor_b32_e32 v4, vcc_hi, v15
	v_and_b32_e32 v15, exec_hi, v4
	v_lshlrev_b32_e32 v4, 30, v12
	v_xor_b32_e32 v13, vcc_lo, v13
	v_cmp_gt_i64_e32 vcc, 0, v[3:4]
	v_not_b32_e32 v4, v4
	v_ashrrev_i32_e32 v4, 31, v4
	v_and_b32_e32 v13, exec_lo, v13
	v_xor_b32_e32 v19, vcc_hi, v4
	v_xor_b32_e32 v4, vcc_lo, v4
	v_and_b32_e32 v13, v13, v4
	v_lshlrev_b32_e32 v4, 29, v12
	v_cmp_gt_i64_e32 vcc, 0, v[3:4]
	v_not_b32_e32 v4, v4
	v_ashrrev_i32_e32 v4, 31, v4
	v_and_b32_e32 v15, v15, v19
	v_xor_b32_e32 v19, vcc_hi, v4
	v_xor_b32_e32 v4, vcc_lo, v4
	v_and_b32_e32 v13, v13, v4
	v_lshlrev_b32_e32 v4, 28, v12
	v_cmp_gt_i64_e32 vcc, 0, v[3:4]
	v_not_b32_e32 v4, v4
	v_ashrrev_i32_e32 v4, 31, v4
	v_and_b32_e32 v15, v15, v19
	;; [unrolled: 8-line block ×5, first 2 shown]
	v_xor_b32_e32 v19, vcc_hi, v4
	v_xor_b32_e32 v4, vcc_lo, v4
	v_and_b32_e32 v15, v15, v19
	v_and_b32_e32 v19, v13, v4
	v_lshlrev_b32_e32 v4, 24, v12
	v_cmp_gt_i64_e32 vcc, 0, v[3:4]
	v_not_b32_e32 v4, v4
	v_ashrrev_i32_e32 v4, 31, v4
	v_mul_u32_u24_e32 v14, 20, v12
	v_xor_b32_e32 v12, vcc_hi, v4
	v_xor_b32_e32 v4, vcc_lo, v4
	v_and_b32_e32 v13, v15, v12
	v_and_b32_e32 v12, v19, v4
	v_mbcnt_lo_u32_b32 v4, v12, 0
	v_mbcnt_hi_u32_b32 v128, v13, v4
	v_cmp_ne_u64_e32 vcc, 0, v[12:13]
	v_cmp_eq_u32_e64 s[38:39], 0, v128
	s_and_b64 s[40:41], vcc, s[38:39]
	v_add_u32_e32 v4, v100, v14
	; wave barrier
	s_and_saveexec_b64 s[38:39], s[40:41]
	s_cbranch_execz .LBB1330_94
; %bb.93:                               ;   in Loop: Header=BB1330_64 Depth=2
	v_bcnt_u32_b32 v12, v12, 0
	v_bcnt_u32_b32 v12, v13, v12
	s_waitcnt lgkmcnt(0)
	v_add_u32_e32 v12, v127, v12
	ds_write_b32 v4, v12 offset:1040
.LBB1330_94:                            ;   in Loop: Header=BB1330_64 Depth=2
	s_or_b64 exec, exec, s[38:39]
	; wave barrier
	s_waitcnt lgkmcnt(0)
	s_barrier
	ds_read2_b32 v[14:15], v104 offset1:1
	ds_read2_b32 v[12:13], v103 offset1:1
	ds_read_b32 v19, v49 offset:1056
	s_waitcnt lgkmcnt(1)
	v_add3_u32 v129, v15, v14, v12
	s_waitcnt lgkmcnt(0)
	v_add3_u32 v19, v129, v13, v19
	s_nop 1
	v_mov_b32_dpp v129, v19 row_shr:1 row_mask:0xf bank_mask:0xf
	v_cndmask_b32_e64 v129, v129, 0, s[18:19]
	v_add_u32_e32 v19, v129, v19
	s_nop 1
	v_mov_b32_dpp v129, v19 row_shr:2 row_mask:0xf bank_mask:0xf
	v_cndmask_b32_e64 v129, 0, v129, s[20:21]
	v_add_u32_e32 v19, v19, v129
	;; [unrolled: 4-line block ×4, first 2 shown]
	s_nop 1
	v_mov_b32_dpp v129, v19 row_bcast:15 row_mask:0xf bank_mask:0xf
	v_cndmask_b32_e64 v129, v129, 0, s[26:27]
	v_add_u32_e32 v19, v19, v129
	s_nop 1
	v_mov_b32_dpp v129, v19 row_bcast:31 row_mask:0xf bank_mask:0xf
	v_cndmask_b32_e64 v129, 0, v129, s[28:29]
	v_add_u32_e32 v19, v19, v129
	s_and_saveexec_b64 s[38:39], s[8:9]
; %bb.95:                               ;   in Loop: Header=BB1330_64 Depth=2
	ds_write_b32 v44, v19 offset:1024
; %bb.96:                               ;   in Loop: Header=BB1330_64 Depth=2
	s_or_b64 exec, exec, s[38:39]
	s_waitcnt lgkmcnt(0)
	s_barrier
	s_and_saveexec_b64 s[38:39], s[10:11]
	s_cbranch_execz .LBB1330_98
; %bb.97:                               ;   in Loop: Header=BB1330_64 Depth=2
	ds_read_b32 v129, v50 offset:1024
	s_waitcnt lgkmcnt(0)
	s_nop 0
	v_mov_b32_dpp v130, v129 row_shr:1 row_mask:0xf bank_mask:0xf
	v_cndmask_b32_e64 v130, v130, 0, s[34:35]
	v_add_u32_e32 v129, v130, v129
	s_nop 1
	v_mov_b32_dpp v130, v129 row_shr:2 row_mask:0xf bank_mask:0xf
	v_cndmask_b32_e64 v130, 0, v130, s[36:37]
	v_add_u32_e32 v129, v129, v130
	ds_write_b32 v50, v129 offset:1024
.LBB1330_98:                            ;   in Loop: Header=BB1330_64 Depth=2
	s_or_b64 exec, exec, s[38:39]
	v_mov_b32_e32 v129, 0
	s_waitcnt lgkmcnt(0)
	s_barrier
	s_and_saveexec_b64 s[38:39], s[12:13]
; %bb.99:                               ;   in Loop: Header=BB1330_64 Depth=2
	ds_read_b32 v129, v44 offset:1020
; %bb.100:                              ;   in Loop: Header=BB1330_64 Depth=2
	s_or_b64 exec, exec, s[38:39]
	s_waitcnt lgkmcnt(0)
	v_add_u32_e32 v19, v129, v19
	ds_bpermute_b32 v19, v79, v19
	s_waitcnt lgkmcnt(0)
	v_cndmask_b32_e64 v19, v19, v129, s[30:31]
	v_cndmask_b32_e64 v19, v19, 0, s[14:15]
	v_add_u32_e32 v14, v19, v14
	v_add_u32_e32 v15, v14, v15
	;; [unrolled: 1-line block ×4, first 2 shown]
	ds_write2_b32 v104, v19, v14 offset1:1
	ds_write2_b32 v103, v15, v12 offset1:1
	ds_write_b32 v49, v13 offset:1056
	s_waitcnt lgkmcnt(0)
	s_barrier
	ds_read_b32 v12, v106 offset:1040
	ds_read_b32 v13, v110 offset:1040
	;; [unrolled: 1-line block ×9, first 2 shown]
	v_mov_b32_e32 v4, 0x800
	s_and_saveexec_b64 s[38:39], s[16:17]
; %bb.101:                              ;   in Loop: Header=BB1330_64 Depth=2
	ds_read_b32 v4, v49 offset:1060
; %bb.102:                              ;   in Loop: Header=BB1330_64 Depth=2
	s_or_b64 exec, exec, s[38:39]
	s_waitcnt lgkmcnt(0)
	s_barrier
	s_and_saveexec_b64 s[38:39], s[4:5]
	s_cbranch_execz .LBB1330_104
; %bb.103:                              ;   in Loop: Header=BB1330_64 Depth=2
	ds_read_b32 v18, v32
	s_waitcnt lgkmcnt(0)
	v_sub_u32_e32 v17, v18, v17
	ds_write_b32 v32, v17
.LBB1330_104:                           ;   in Loop: Header=BB1330_64 Depth=2
	s_or_b64 exec, exec, s[38:39]
	v_add_u32_e32 v103, v12, v105
	v_add3_u32 v31, v107, v31, v13
	v_lshlrev_b32_e32 v12, 2, v103
	v_add3_u32 v19, v111, v109, v14
	ds_write_b32 v12, v102 offset:1024
	v_lshlrev_b32_e32 v12, 2, v31
	v_add3_u32 v18, v115, v113, v15
	ds_write_b32 v12, v30 offset:1024
	;; [unrolled: 3-line block ×6, first 2 shown]
	v_lshlrev_b32_e32 v12, 2, v15
	ds_write_b32 v12, v123 offset:1024
	v_lshlrev_b32_e32 v12, 2, v14
	v_cmp_lt_u32_e32 vcc, v0, v101
	ds_write_b32 v12, v126 offset:1024
	s_waitcnt lgkmcnt(0)
	s_barrier
	s_and_saveexec_b64 s[40:41], vcc
	s_cbranch_execnz .LBB1330_141
; %bb.105:                              ;   in Loop: Header=BB1330_64 Depth=2
	s_or_b64 exec, exec, s[40:41]
	v_cmp_lt_u32_e64 s[38:39], v33, v101
	s_and_saveexec_b64 s[42:43], s[38:39]
	s_cbranch_execnz .LBB1330_142
.LBB1330_106:                           ;   in Loop: Header=BB1330_64 Depth=2
	s_or_b64 exec, exec, s[42:43]
	v_cmp_lt_u32_e64 s[40:41], v34, v101
	s_and_saveexec_b64 s[44:45], s[40:41]
	s_cbranch_execnz .LBB1330_143
.LBB1330_107:                           ;   in Loop: Header=BB1330_64 Depth=2
	s_or_b64 exec, exec, s[44:45]
	v_cmp_lt_u32_e64 s[42:43], v35, v101
	s_and_saveexec_b64 s[46:47], s[42:43]
	s_cbranch_execnz .LBB1330_144
.LBB1330_108:                           ;   in Loop: Header=BB1330_64 Depth=2
	s_or_b64 exec, exec, s[46:47]
	v_cmp_lt_u32_e64 s[44:45], v38, v101
	s_and_saveexec_b64 s[48:49], s[44:45]
	s_cbranch_execnz .LBB1330_145
.LBB1330_109:                           ;   in Loop: Header=BB1330_64 Depth=2
	s_or_b64 exec, exec, s[48:49]
	v_cmp_lt_u32_e64 s[46:47], v39, v101
	s_and_saveexec_b64 s[50:51], s[46:47]
	s_cbranch_execnz .LBB1330_146
.LBB1330_110:                           ;   in Loop: Header=BB1330_64 Depth=2
	s_or_b64 exec, exec, s[50:51]
	v_cmp_lt_u32_e64 s[48:49], v40, v101
	s_and_saveexec_b64 s[52:53], s[48:49]
	s_cbranch_execnz .LBB1330_147
.LBB1330_111:                           ;   in Loop: Header=BB1330_64 Depth=2
	s_or_b64 exec, exec, s[52:53]
	v_cmp_lt_u32_e64 s[50:51], v41, v101
	s_and_saveexec_b64 s[60:61], s[50:51]
	s_cbranch_execz .LBB1330_113
.LBB1330_112:                           ;   in Loop: Header=BB1330_64 Depth=2
	ds_read_b32 v12, v50 offset:8192
	v_mov_b32_e32 v13, v3
	v_mov_b32_e32 v102, s67
	s_waitcnt lgkmcnt(0)
	v_cmp_ne_u32_e64 s[52:53], s7, v12
	v_cndmask_b32_e64 v30, v73, v12, s[52:53]
	v_lshrrev_b32_e32 v30, s62, v30
	v_and_b32_e32 v30, s63, v30
	v_lshlrev_b32_e32 v30, 2, v30
	ds_read_b32 v30, v30
	v_cmp_gt_i32_e64 s[52:53], 0, v12
	v_cndmask_b32_e64 v104, v73, 0, s[52:53]
	v_xor_b32_e32 v104, v104, v12
	s_waitcnt lgkmcnt(0)
	v_add_u32_e32 v12, v30, v41
	v_lshlrev_b64 v[12:13], 2, v[12:13]
	v_add_co_u32_e64 v12, s[52:53], s66, v12
	v_addc_co_u32_e64 v13, s[52:53], v102, v13, s[52:53]
	global_store_dword v[12:13], v104, off
.LBB1330_113:                           ;   in Loop: Header=BB1330_64 Depth=2
	s_or_b64 exec, exec, s[60:61]
	s_lshl_b64 s[52:53], s[58:59], 3
	v_mov_b32_e32 v13, s53
	v_add_co_u32_e64 v12, s[52:53], s52, v87
	v_addc_co_u32_e64 v13, s[52:53], v89, v13, s[52:53]
	v_cmp_lt_u32_e64 s[52:53], v84, v101
	s_and_saveexec_b64 s[60:61], s[52:53]
	s_xor_b64 s[52:53], exec, s[60:61]
	s_cbranch_execnz .LBB1330_148
; %bb.114:                              ;   in Loop: Header=BB1330_64 Depth=2
	s_or_b64 exec, exec, s[52:53]
	v_cmp_lt_u32_e64 s[52:53], v91, v101
	s_and_saveexec_b64 s[60:61], s[52:53]
	s_cbranch_execnz .LBB1330_149
.LBB1330_115:                           ;   in Loop: Header=BB1330_64 Depth=2
	s_or_b64 exec, exec, s[60:61]
	v_cmp_lt_u32_e64 s[52:53], v92, v101
	s_and_saveexec_b64 s[60:61], s[52:53]
	s_cbranch_execnz .LBB1330_150
.LBB1330_116:                           ;   in Loop: Header=BB1330_64 Depth=2
	s_or_b64 exec, exec, s[60:61]
	v_cmp_lt_u32_e64 s[52:53], v93, v101
	s_and_saveexec_b64 s[60:61], s[52:53]
	s_cbranch_execnz .LBB1330_151
.LBB1330_117:                           ;   in Loop: Header=BB1330_64 Depth=2
	s_or_b64 exec, exec, s[60:61]
	v_cmp_lt_u32_e64 s[52:53], v94, v101
	s_and_saveexec_b64 s[60:61], s[52:53]
	s_cbranch_execnz .LBB1330_152
.LBB1330_118:                           ;   in Loop: Header=BB1330_64 Depth=2
	s_or_b64 exec, exec, s[60:61]
	v_cmp_lt_u32_e64 s[52:53], v95, v101
	s_and_saveexec_b64 s[60:61], s[52:53]
	s_cbranch_execnz .LBB1330_153
.LBB1330_119:                           ;   in Loop: Header=BB1330_64 Depth=2
	s_or_b64 exec, exec, s[60:61]
	v_cmp_lt_u32_e64 s[52:53], v96, v101
	s_and_saveexec_b64 s[60:61], s[52:53]
	s_cbranch_execnz .LBB1330_154
.LBB1330_120:                           ;   in Loop: Header=BB1330_64 Depth=2
	s_or_b64 exec, exec, s[60:61]
	v_cmp_lt_u32_e64 s[52:53], v97, v101
	s_and_saveexec_b64 s[60:61], s[52:53]
	s_cbranch_execnz .LBB1330_155
.LBB1330_121:                           ;   in Loop: Header=BB1330_64 Depth=2
	s_or_b64 exec, exec, s[60:61]
	s_and_saveexec_b64 s[60:61], vcc
	s_cbranch_execnz .LBB1330_156
.LBB1330_122:                           ;   in Loop: Header=BB1330_64 Depth=2
	s_or_b64 exec, exec, s[60:61]
	s_and_saveexec_b64 s[60:61], s[38:39]
	s_cbranch_execnz .LBB1330_157
.LBB1330_123:                           ;   in Loop: Header=BB1330_64 Depth=2
	s_or_b64 exec, exec, s[60:61]
	s_and_saveexec_b64 s[60:61], s[40:41]
	s_cbranch_execnz .LBB1330_158
.LBB1330_124:                           ;   in Loop: Header=BB1330_64 Depth=2
	s_or_b64 exec, exec, s[60:61]
	s_and_saveexec_b64 s[60:61], s[42:43]
	s_cbranch_execnz .LBB1330_159
.LBB1330_125:                           ;   in Loop: Header=BB1330_64 Depth=2
	s_or_b64 exec, exec, s[60:61]
	s_and_saveexec_b64 s[60:61], s[44:45]
	s_cbranch_execnz .LBB1330_160
.LBB1330_126:                           ;   in Loop: Header=BB1330_64 Depth=2
	s_or_b64 exec, exec, s[60:61]
	s_and_saveexec_b64 s[60:61], s[46:47]
	s_cbranch_execnz .LBB1330_161
.LBB1330_127:                           ;   in Loop: Header=BB1330_64 Depth=2
	s_or_b64 exec, exec, s[60:61]
	s_and_saveexec_b64 s[60:61], s[48:49]
	s_cbranch_execnz .LBB1330_162
.LBB1330_128:                           ;   in Loop: Header=BB1330_64 Depth=2
	s_or_b64 exec, exec, s[60:61]
	s_and_saveexec_b64 s[60:61], s[50:51]
	s_cbranch_execz .LBB1330_130
.LBB1330_129:                           ;   in Loop: Header=BB1330_64 Depth=2
	ds_read_b32 v12, v50 offset:8192
	s_waitcnt lgkmcnt(0)
	v_cmp_ne_u32_e64 s[52:53], s7, v12
	v_cndmask_b32_e64 v12, v73, v12, s[52:53]
	v_lshrrev_b32_e32 v12, s62, v12
	v_and_b32_e32 v80, s63, v12
.LBB1330_130:                           ;   in Loop: Header=BB1330_64 Depth=2
	s_or_b64 exec, exec, s[60:61]
	v_lshlrev_b32_e32 v12, 3, v103
	s_waitcnt vmcnt(0)
	s_barrier
	ds_write_b64 v12, v[28:29] offset:1024
	v_lshlrev_b32_e32 v12, 3, v31
	ds_write_b64 v12, v[26:27] offset:1024
	v_lshlrev_b32_e32 v12, 3, v19
	;; [unrolled: 2-line block ×7, first 2 shown]
	ds_write_b64 v12, v[5:6] offset:1024
	s_waitcnt lgkmcnt(0)
	s_barrier
	s_and_saveexec_b64 s[52:53], vcc
	s_cbranch_execnz .LBB1330_163
; %bb.131:                              ;   in Loop: Header=BB1330_64 Depth=2
	s_or_b64 exec, exec, s[52:53]
	s_and_saveexec_b64 s[52:53], s[38:39]
	s_cbranch_execnz .LBB1330_164
.LBB1330_132:                           ;   in Loop: Header=BB1330_64 Depth=2
	s_or_b64 exec, exec, s[52:53]
	s_and_saveexec_b64 s[38:39], s[40:41]
	s_cbranch_execnz .LBB1330_165
.LBB1330_133:                           ;   in Loop: Header=BB1330_64 Depth=2
	s_or_b64 exec, exec, s[38:39]
	s_and_saveexec_b64 s[38:39], s[42:43]
	s_cbranch_execnz .LBB1330_166
.LBB1330_134:                           ;   in Loop: Header=BB1330_64 Depth=2
	s_or_b64 exec, exec, s[38:39]
	s_and_saveexec_b64 s[38:39], s[44:45]
	s_cbranch_execnz .LBB1330_167
.LBB1330_135:                           ;   in Loop: Header=BB1330_64 Depth=2
	s_or_b64 exec, exec, s[38:39]
	s_and_saveexec_b64 s[38:39], s[46:47]
	s_cbranch_execnz .LBB1330_168
.LBB1330_136:                           ;   in Loop: Header=BB1330_64 Depth=2
	s_or_b64 exec, exec, s[38:39]
	s_and_saveexec_b64 s[38:39], s[48:49]
	s_cbranch_execnz .LBB1330_169
.LBB1330_137:                           ;   in Loop: Header=BB1330_64 Depth=2
	s_or_b64 exec, exec, s[38:39]
	s_and_saveexec_b64 s[38:39], s[50:51]
	s_cbranch_execz .LBB1330_139
.LBB1330_138:                           ;   in Loop: Header=BB1330_64 Depth=2
	v_lshlrev_b32_e32 v12, 2, v80
	ds_read_b32 v14, v12
	v_add_u32_e32 v12, v50, v32
	ds_read_b64 v[12:13], v12 offset:15360
	v_mov_b32_e32 v15, v3
	v_mov_b32_e32 v16, s73
	s_waitcnt lgkmcnt(1)
	v_add_u32_e32 v14, v14, v41
	v_lshlrev_b64 v[14:15], 3, v[14:15]
	v_add_co_u32_e32 v14, vcc, s72, v14
	v_addc_co_u32_e32 v15, vcc, v16, v15, vcc
	s_waitcnt lgkmcnt(0)
	global_store_dwordx2 v[14:15], v[12:13], off
.LBB1330_139:                           ;   in Loop: Header=BB1330_64 Depth=2
	s_or_b64 exec, exec, s[38:39]
	s_waitcnt vmcnt(0)
	s_barrier
	s_and_saveexec_b64 s[38:39], s[4:5]
	s_cbranch_execz .LBB1330_63
; %bb.140:                              ;   in Loop: Header=BB1330_64 Depth=2
	ds_read_b32 v12, v32
	s_waitcnt lgkmcnt(0)
	v_add_u32_e32 v4, v12, v4
	ds_write_b32 v32, v4
	s_branch .LBB1330_63
.LBB1330_141:                           ;   in Loop: Header=BB1330_64 Depth=2
	ds_read_b32 v12, v50 offset:1024
	v_mov_b32_e32 v13, v3
	v_mov_b32_e32 v102, s67
	s_waitcnt lgkmcnt(0)
	v_cmp_ne_u32_e64 s[38:39], s7, v12
	v_cndmask_b32_e64 v30, v73, v12, s[38:39]
	v_lshrrev_b32_e32 v30, s62, v30
	v_and_b32_e32 v30, s63, v30
	v_lshlrev_b32_e32 v30, 2, v30
	ds_read_b32 v30, v30
	v_cmp_gt_i32_e64 s[38:39], 0, v12
	v_cndmask_b32_e64 v104, v73, 0, s[38:39]
	v_xor_b32_e32 v104, v104, v12
	s_waitcnt lgkmcnt(0)
	v_add_u32_e32 v12, v30, v0
	v_lshlrev_b64 v[12:13], 2, v[12:13]
	v_add_co_u32_e64 v12, s[38:39], s66, v12
	v_addc_co_u32_e64 v13, s[38:39], v102, v13, s[38:39]
	global_store_dword v[12:13], v104, off
	s_or_b64 exec, exec, s[40:41]
	v_cmp_lt_u32_e64 s[38:39], v33, v101
	s_and_saveexec_b64 s[42:43], s[38:39]
	s_cbranch_execz .LBB1330_106
.LBB1330_142:                           ;   in Loop: Header=BB1330_64 Depth=2
	ds_read_b32 v12, v50 offset:2048
	v_mov_b32_e32 v13, v3
	v_mov_b32_e32 v102, s67
	s_waitcnt lgkmcnt(0)
	v_cmp_ne_u32_e64 s[40:41], s7, v12
	v_cndmask_b32_e64 v30, v73, v12, s[40:41]
	v_lshrrev_b32_e32 v30, s62, v30
	v_and_b32_e32 v30, s63, v30
	v_lshlrev_b32_e32 v30, 2, v30
	ds_read_b32 v30, v30
	v_cmp_gt_i32_e64 s[40:41], 0, v12
	v_cndmask_b32_e64 v104, v73, 0, s[40:41]
	v_xor_b32_e32 v104, v104, v12
	s_waitcnt lgkmcnt(0)
	v_add_u32_e32 v12, v30, v33
	v_lshlrev_b64 v[12:13], 2, v[12:13]
	v_add_co_u32_e64 v12, s[40:41], s66, v12
	v_addc_co_u32_e64 v13, s[40:41], v102, v13, s[40:41]
	global_store_dword v[12:13], v104, off
	s_or_b64 exec, exec, s[42:43]
	v_cmp_lt_u32_e64 s[40:41], v34, v101
	s_and_saveexec_b64 s[44:45], s[40:41]
	s_cbranch_execz .LBB1330_107
.LBB1330_143:                           ;   in Loop: Header=BB1330_64 Depth=2
	ds_read_b32 v12, v50 offset:3072
	v_mov_b32_e32 v13, v3
	v_mov_b32_e32 v102, s67
	s_waitcnt lgkmcnt(0)
	v_cmp_ne_u32_e64 s[42:43], s7, v12
	v_cndmask_b32_e64 v30, v73, v12, s[42:43]
	v_lshrrev_b32_e32 v30, s62, v30
	v_and_b32_e32 v30, s63, v30
	v_lshlrev_b32_e32 v30, 2, v30
	ds_read_b32 v30, v30
	v_cmp_gt_i32_e64 s[42:43], 0, v12
	v_cndmask_b32_e64 v104, v73, 0, s[42:43]
	v_xor_b32_e32 v104, v104, v12
	s_waitcnt lgkmcnt(0)
	v_add_u32_e32 v12, v30, v34
	v_lshlrev_b64 v[12:13], 2, v[12:13]
	v_add_co_u32_e64 v12, s[42:43], s66, v12
	v_addc_co_u32_e64 v13, s[42:43], v102, v13, s[42:43]
	global_store_dword v[12:13], v104, off
	s_or_b64 exec, exec, s[44:45]
	v_cmp_lt_u32_e64 s[42:43], v35, v101
	s_and_saveexec_b64 s[46:47], s[42:43]
	s_cbranch_execz .LBB1330_108
.LBB1330_144:                           ;   in Loop: Header=BB1330_64 Depth=2
	ds_read_b32 v12, v50 offset:4096
	v_mov_b32_e32 v13, v3
	v_mov_b32_e32 v102, s67
	s_waitcnt lgkmcnt(0)
	v_cmp_ne_u32_e64 s[44:45], s7, v12
	v_cndmask_b32_e64 v30, v73, v12, s[44:45]
	v_lshrrev_b32_e32 v30, s62, v30
	v_and_b32_e32 v30, s63, v30
	v_lshlrev_b32_e32 v30, 2, v30
	ds_read_b32 v30, v30
	v_cmp_gt_i32_e64 s[44:45], 0, v12
	v_cndmask_b32_e64 v104, v73, 0, s[44:45]
	v_xor_b32_e32 v104, v104, v12
	s_waitcnt lgkmcnt(0)
	v_add_u32_e32 v12, v30, v35
	v_lshlrev_b64 v[12:13], 2, v[12:13]
	v_add_co_u32_e64 v12, s[44:45], s66, v12
	v_addc_co_u32_e64 v13, s[44:45], v102, v13, s[44:45]
	global_store_dword v[12:13], v104, off
	s_or_b64 exec, exec, s[46:47]
	v_cmp_lt_u32_e64 s[44:45], v38, v101
	s_and_saveexec_b64 s[48:49], s[44:45]
	s_cbranch_execz .LBB1330_109
.LBB1330_145:                           ;   in Loop: Header=BB1330_64 Depth=2
	ds_read_b32 v12, v50 offset:5120
	v_mov_b32_e32 v13, v3
	v_mov_b32_e32 v102, s67
	s_waitcnt lgkmcnt(0)
	v_cmp_ne_u32_e64 s[46:47], s7, v12
	v_cndmask_b32_e64 v30, v73, v12, s[46:47]
	v_lshrrev_b32_e32 v30, s62, v30
	v_and_b32_e32 v30, s63, v30
	v_lshlrev_b32_e32 v30, 2, v30
	ds_read_b32 v30, v30
	v_cmp_gt_i32_e64 s[46:47], 0, v12
	v_cndmask_b32_e64 v104, v73, 0, s[46:47]
	v_xor_b32_e32 v104, v104, v12
	s_waitcnt lgkmcnt(0)
	v_add_u32_e32 v12, v30, v38
	v_lshlrev_b64 v[12:13], 2, v[12:13]
	v_add_co_u32_e64 v12, s[46:47], s66, v12
	v_addc_co_u32_e64 v13, s[46:47], v102, v13, s[46:47]
	global_store_dword v[12:13], v104, off
	s_or_b64 exec, exec, s[48:49]
	v_cmp_lt_u32_e64 s[46:47], v39, v101
	s_and_saveexec_b64 s[50:51], s[46:47]
	s_cbranch_execz .LBB1330_110
.LBB1330_146:                           ;   in Loop: Header=BB1330_64 Depth=2
	ds_read_b32 v12, v50 offset:6144
	v_mov_b32_e32 v13, v3
	v_mov_b32_e32 v102, s67
	s_waitcnt lgkmcnt(0)
	v_cmp_ne_u32_e64 s[48:49], s7, v12
	v_cndmask_b32_e64 v30, v73, v12, s[48:49]
	v_lshrrev_b32_e32 v30, s62, v30
	v_and_b32_e32 v30, s63, v30
	v_lshlrev_b32_e32 v30, 2, v30
	ds_read_b32 v30, v30
	v_cmp_gt_i32_e64 s[48:49], 0, v12
	v_cndmask_b32_e64 v104, v73, 0, s[48:49]
	v_xor_b32_e32 v104, v104, v12
	s_waitcnt lgkmcnt(0)
	v_add_u32_e32 v12, v30, v39
	v_lshlrev_b64 v[12:13], 2, v[12:13]
	v_add_co_u32_e64 v12, s[48:49], s66, v12
	v_addc_co_u32_e64 v13, s[48:49], v102, v13, s[48:49]
	global_store_dword v[12:13], v104, off
	s_or_b64 exec, exec, s[50:51]
	v_cmp_lt_u32_e64 s[48:49], v40, v101
	s_and_saveexec_b64 s[52:53], s[48:49]
	s_cbranch_execz .LBB1330_111
.LBB1330_147:                           ;   in Loop: Header=BB1330_64 Depth=2
	ds_read_b32 v12, v50 offset:7168
	v_mov_b32_e32 v13, v3
	v_mov_b32_e32 v102, s67
	s_waitcnt lgkmcnt(0)
	v_cmp_ne_u32_e64 s[50:51], s7, v12
	v_cndmask_b32_e64 v30, v73, v12, s[50:51]
	v_lshrrev_b32_e32 v30, s62, v30
	v_and_b32_e32 v30, s63, v30
	v_lshlrev_b32_e32 v30, 2, v30
	ds_read_b32 v30, v30
	v_cmp_gt_i32_e64 s[50:51], 0, v12
	v_cndmask_b32_e64 v104, v73, 0, s[50:51]
	v_xor_b32_e32 v104, v104, v12
	s_waitcnt lgkmcnt(0)
	v_add_u32_e32 v12, v30, v40
	v_lshlrev_b64 v[12:13], 2, v[12:13]
	v_add_co_u32_e64 v12, s[50:51], s66, v12
	v_addc_co_u32_e64 v13, s[50:51], v102, v13, s[50:51]
	global_store_dword v[12:13], v104, off
	s_or_b64 exec, exec, s[52:53]
	v_cmp_lt_u32_e64 s[50:51], v41, v101
	s_and_saveexec_b64 s[60:61], s[50:51]
	s_cbranch_execnz .LBB1330_112
	s_branch .LBB1330_113
.LBB1330_148:                           ;   in Loop: Header=BB1330_64 Depth=2
	global_load_dwordx2 v[28:29], v[12:13], off
	s_or_b64 exec, exec, s[52:53]
	v_cmp_lt_u32_e64 s[52:53], v91, v101
	s_and_saveexec_b64 s[60:61], s[52:53]
	s_cbranch_execz .LBB1330_115
.LBB1330_149:                           ;   in Loop: Header=BB1330_64 Depth=2
	global_load_dwordx2 v[26:27], v[12:13], off offset:512
	s_or_b64 exec, exec, s[60:61]
	v_cmp_lt_u32_e64 s[52:53], v92, v101
	s_and_saveexec_b64 s[60:61], s[52:53]
	s_cbranch_execz .LBB1330_116
.LBB1330_150:                           ;   in Loop: Header=BB1330_64 Depth=2
	global_load_dwordx2 v[24:25], v[12:13], off offset:1024
	s_or_b64 exec, exec, s[60:61]
	v_cmp_lt_u32_e64 s[52:53], v93, v101
	s_and_saveexec_b64 s[60:61], s[52:53]
	s_cbranch_execz .LBB1330_117
.LBB1330_151:                           ;   in Loop: Header=BB1330_64 Depth=2
	global_load_dwordx2 v[22:23], v[12:13], off offset:1536
	s_or_b64 exec, exec, s[60:61]
	v_cmp_lt_u32_e64 s[52:53], v94, v101
	s_and_saveexec_b64 s[60:61], s[52:53]
	s_cbranch_execz .LBB1330_118
.LBB1330_152:                           ;   in Loop: Header=BB1330_64 Depth=2
	global_load_dwordx2 v[20:21], v[12:13], off offset:2048
	s_or_b64 exec, exec, s[60:61]
	v_cmp_lt_u32_e64 s[52:53], v95, v101
	s_and_saveexec_b64 s[60:61], s[52:53]
	s_cbranch_execz .LBB1330_119
.LBB1330_153:                           ;   in Loop: Header=BB1330_64 Depth=2
	global_load_dwordx2 v[9:10], v[12:13], off offset:2560
	s_or_b64 exec, exec, s[60:61]
	v_cmp_lt_u32_e64 s[52:53], v96, v101
	s_and_saveexec_b64 s[60:61], s[52:53]
	s_cbranch_execz .LBB1330_120
.LBB1330_154:                           ;   in Loop: Header=BB1330_64 Depth=2
	global_load_dwordx2 v[7:8], v[12:13], off offset:3072
	s_or_b64 exec, exec, s[60:61]
	v_cmp_lt_u32_e64 s[52:53], v97, v101
	s_and_saveexec_b64 s[60:61], s[52:53]
	s_cbranch_execz .LBB1330_121
.LBB1330_155:                           ;   in Loop: Header=BB1330_64 Depth=2
	global_load_dwordx2 v[5:6], v[12:13], off offset:3584
	s_or_b64 exec, exec, s[60:61]
	s_and_saveexec_b64 s[60:61], vcc
	s_cbranch_execz .LBB1330_122
.LBB1330_156:                           ;   in Loop: Header=BB1330_64 Depth=2
	ds_read_b32 v12, v50 offset:1024
	s_waitcnt lgkmcnt(0)
	v_cmp_ne_u32_e64 s[52:53], s7, v12
	v_cndmask_b32_e64 v12, v73, v12, s[52:53]
	v_lshrrev_b32_e32 v12, s62, v12
	v_and_b32_e32 v90, s63, v12
	s_or_b64 exec, exec, s[60:61]
	s_and_saveexec_b64 s[60:61], s[38:39]
	s_cbranch_execz .LBB1330_123
.LBB1330_157:                           ;   in Loop: Header=BB1330_64 Depth=2
	ds_read_b32 v12, v50 offset:2048
	s_waitcnt lgkmcnt(0)
	v_cmp_ne_u32_e64 s[52:53], s7, v12
	v_cndmask_b32_e64 v12, v73, v12, s[52:53]
	v_lshrrev_b32_e32 v12, s62, v12
	v_and_b32_e32 v88, s63, v12
	s_or_b64 exec, exec, s[60:61]
	s_and_saveexec_b64 s[60:61], s[40:41]
	s_cbranch_execz .LBB1330_124
.LBB1330_158:                           ;   in Loop: Header=BB1330_64 Depth=2
	ds_read_b32 v12, v50 offset:3072
	s_waitcnt lgkmcnt(0)
	v_cmp_ne_u32_e64 s[52:53], s7, v12
	v_cndmask_b32_e64 v12, v73, v12, s[52:53]
	v_lshrrev_b32_e32 v12, s62, v12
	v_and_b32_e32 v86, s63, v12
	s_or_b64 exec, exec, s[60:61]
	s_and_saveexec_b64 s[60:61], s[42:43]
	s_cbranch_execz .LBB1330_125
.LBB1330_159:                           ;   in Loop: Header=BB1330_64 Depth=2
	ds_read_b32 v12, v50 offset:4096
	s_waitcnt lgkmcnt(0)
	v_cmp_ne_u32_e64 s[52:53], s7, v12
	v_cndmask_b32_e64 v12, v73, v12, s[52:53]
	v_lshrrev_b32_e32 v12, s62, v12
	v_and_b32_e32 v85, s63, v12
	s_or_b64 exec, exec, s[60:61]
	s_and_saveexec_b64 s[60:61], s[44:45]
	s_cbranch_execz .LBB1330_126
.LBB1330_160:                           ;   in Loop: Header=BB1330_64 Depth=2
	ds_read_b32 v12, v50 offset:5120
	s_waitcnt lgkmcnt(0)
	v_cmp_ne_u32_e64 s[52:53], s7, v12
	v_cndmask_b32_e64 v12, v73, v12, s[52:53]
	v_lshrrev_b32_e32 v12, s62, v12
	v_and_b32_e32 v83, s63, v12
	s_or_b64 exec, exec, s[60:61]
	s_and_saveexec_b64 s[60:61], s[46:47]
	s_cbranch_execz .LBB1330_127
.LBB1330_161:                           ;   in Loop: Header=BB1330_64 Depth=2
	ds_read_b32 v12, v50 offset:6144
	s_waitcnt lgkmcnt(0)
	v_cmp_ne_u32_e64 s[52:53], s7, v12
	v_cndmask_b32_e64 v12, v73, v12, s[52:53]
	v_lshrrev_b32_e32 v12, s62, v12
	v_and_b32_e32 v82, s63, v12
	s_or_b64 exec, exec, s[60:61]
	s_and_saveexec_b64 s[60:61], s[48:49]
	s_cbranch_execz .LBB1330_128
.LBB1330_162:                           ;   in Loop: Header=BB1330_64 Depth=2
	ds_read_b32 v12, v50 offset:7168
	s_waitcnt lgkmcnt(0)
	v_cmp_ne_u32_e64 s[52:53], s7, v12
	v_cndmask_b32_e64 v12, v73, v12, s[52:53]
	v_lshrrev_b32_e32 v12, s62, v12
	v_and_b32_e32 v81, s63, v12
	s_or_b64 exec, exec, s[60:61]
	s_and_saveexec_b64 s[60:61], s[50:51]
	s_cbranch_execnz .LBB1330_129
	s_branch .LBB1330_130
.LBB1330_163:                           ;   in Loop: Header=BB1330_64 Depth=2
	v_lshlrev_b32_e32 v12, 2, v90
	ds_read_b32 v14, v12
	v_add_u32_e32 v12, v50, v32
	ds_read_b64 v[12:13], v12 offset:1024
	v_mov_b32_e32 v15, v3
	v_mov_b32_e32 v16, s73
	s_waitcnt lgkmcnt(1)
	v_add_u32_e32 v14, v14, v0
	v_lshlrev_b64 v[14:15], 3, v[14:15]
	v_add_co_u32_e32 v14, vcc, s72, v14
	v_addc_co_u32_e32 v15, vcc, v16, v15, vcc
	s_waitcnt lgkmcnt(0)
	global_store_dwordx2 v[14:15], v[12:13], off
	s_or_b64 exec, exec, s[52:53]
	s_and_saveexec_b64 s[52:53], s[38:39]
	s_cbranch_execz .LBB1330_132
.LBB1330_164:                           ;   in Loop: Header=BB1330_64 Depth=2
	v_lshlrev_b32_e32 v12, 2, v88
	ds_read_b32 v14, v12
	v_add_u32_e32 v12, v50, v32
	ds_read_b64 v[12:13], v12 offset:3072
	v_mov_b32_e32 v15, v3
	v_mov_b32_e32 v16, s73
	s_waitcnt lgkmcnt(1)
	v_add_u32_e32 v14, v14, v33
	v_lshlrev_b64 v[14:15], 3, v[14:15]
	v_add_co_u32_e32 v14, vcc, s72, v14
	v_addc_co_u32_e32 v15, vcc, v16, v15, vcc
	s_waitcnt lgkmcnt(0)
	global_store_dwordx2 v[14:15], v[12:13], off
	s_or_b64 exec, exec, s[52:53]
	s_and_saveexec_b64 s[38:39], s[40:41]
	s_cbranch_execz .LBB1330_133
.LBB1330_165:                           ;   in Loop: Header=BB1330_64 Depth=2
	v_lshlrev_b32_e32 v12, 2, v86
	ds_read_b32 v14, v12
	v_add_u32_e32 v12, v50, v32
	ds_read_b64 v[12:13], v12 offset:5120
	v_mov_b32_e32 v15, v3
	v_mov_b32_e32 v16, s73
	s_waitcnt lgkmcnt(1)
	v_add_u32_e32 v14, v14, v34
	v_lshlrev_b64 v[14:15], 3, v[14:15]
	v_add_co_u32_e32 v14, vcc, s72, v14
	v_addc_co_u32_e32 v15, vcc, v16, v15, vcc
	s_waitcnt lgkmcnt(0)
	global_store_dwordx2 v[14:15], v[12:13], off
	s_or_b64 exec, exec, s[38:39]
	s_and_saveexec_b64 s[38:39], s[42:43]
	s_cbranch_execz .LBB1330_134
.LBB1330_166:                           ;   in Loop: Header=BB1330_64 Depth=2
	v_lshlrev_b32_e32 v12, 2, v85
	ds_read_b32 v14, v12
	v_add_u32_e32 v12, v50, v32
	ds_read_b64 v[12:13], v12 offset:7168
	v_mov_b32_e32 v15, v3
	v_mov_b32_e32 v16, s73
	s_waitcnt lgkmcnt(1)
	v_add_u32_e32 v14, v14, v35
	v_lshlrev_b64 v[14:15], 3, v[14:15]
	v_add_co_u32_e32 v14, vcc, s72, v14
	v_addc_co_u32_e32 v15, vcc, v16, v15, vcc
	s_waitcnt lgkmcnt(0)
	global_store_dwordx2 v[14:15], v[12:13], off
	s_or_b64 exec, exec, s[38:39]
	s_and_saveexec_b64 s[38:39], s[44:45]
	s_cbranch_execz .LBB1330_135
.LBB1330_167:                           ;   in Loop: Header=BB1330_64 Depth=2
	v_lshlrev_b32_e32 v12, 2, v83
	ds_read_b32 v14, v12
	v_add_u32_e32 v12, v50, v32
	ds_read_b64 v[12:13], v12 offset:9216
	v_mov_b32_e32 v15, v3
	v_mov_b32_e32 v16, s73
	s_waitcnt lgkmcnt(1)
	v_add_u32_e32 v14, v14, v38
	v_lshlrev_b64 v[14:15], 3, v[14:15]
	v_add_co_u32_e32 v14, vcc, s72, v14
	v_addc_co_u32_e32 v15, vcc, v16, v15, vcc
	s_waitcnt lgkmcnt(0)
	global_store_dwordx2 v[14:15], v[12:13], off
	s_or_b64 exec, exec, s[38:39]
	s_and_saveexec_b64 s[38:39], s[46:47]
	s_cbranch_execz .LBB1330_136
.LBB1330_168:                           ;   in Loop: Header=BB1330_64 Depth=2
	v_lshlrev_b32_e32 v12, 2, v82
	ds_read_b32 v14, v12
	v_add_u32_e32 v12, v50, v32
	ds_read_b64 v[12:13], v12 offset:11264
	v_mov_b32_e32 v15, v3
	v_mov_b32_e32 v16, s73
	s_waitcnt lgkmcnt(1)
	v_add_u32_e32 v14, v14, v39
	v_lshlrev_b64 v[14:15], 3, v[14:15]
	v_add_co_u32_e32 v14, vcc, s72, v14
	v_addc_co_u32_e32 v15, vcc, v16, v15, vcc
	s_waitcnt lgkmcnt(0)
	global_store_dwordx2 v[14:15], v[12:13], off
	s_or_b64 exec, exec, s[38:39]
	s_and_saveexec_b64 s[38:39], s[48:49]
	s_cbranch_execz .LBB1330_137
.LBB1330_169:                           ;   in Loop: Header=BB1330_64 Depth=2
	v_lshlrev_b32_e32 v12, 2, v81
	ds_read_b32 v14, v12
	v_add_u32_e32 v12, v50, v32
	ds_read_b64 v[12:13], v12 offset:13312
	v_mov_b32_e32 v15, v3
	v_mov_b32_e32 v16, s73
	s_waitcnt lgkmcnt(1)
	v_add_u32_e32 v14, v14, v40
	v_lshlrev_b64 v[14:15], 3, v[14:15]
	v_add_co_u32_e32 v14, vcc, s72, v14
	v_addc_co_u32_e32 v15, vcc, v16, v15, vcc
	s_waitcnt lgkmcnt(0)
	global_store_dwordx2 v[14:15], v[12:13], off
	s_or_b64 exec, exec, s[38:39]
	s_and_saveexec_b64 s[38:39], s[50:51]
	s_cbranch_execnz .LBB1330_138
	s_branch .LBB1330_139
.LBB1330_170:                           ;   in Loop: Header=BB1330_64 Depth=2
	global_load_dword v12, v[30:31], off
	v_mov_b32_e32 v13, v11
	v_mov_b32_e32 v14, v11
	;; [unrolled: 1-line block ×7, first 2 shown]
	s_or_b64 exec, exec, s[38:39]
	v_cmp_gt_u32_e32 vcc, s70, v91
	s_and_saveexec_b64 s[38:39], vcc
	s_cbranch_execz .LBB1330_69
.LBB1330_171:                           ;   in Loop: Header=BB1330_64 Depth=2
	global_load_dword v13, v[30:31], off offset:256
	s_or_b64 exec, exec, s[38:39]
	v_cmp_gt_u32_e32 vcc, s70, v92
	s_and_saveexec_b64 s[38:39], vcc
	s_cbranch_execz .LBB1330_70
.LBB1330_172:                           ;   in Loop: Header=BB1330_64 Depth=2
	global_load_dword v14, v[30:31], off offset:512
	s_or_b64 exec, exec, s[38:39]
	v_cmp_gt_u32_e32 vcc, s70, v93
	s_and_saveexec_b64 s[38:39], vcc
	s_cbranch_execz .LBB1330_71
.LBB1330_173:                           ;   in Loop: Header=BB1330_64 Depth=2
	global_load_dword v15, v[30:31], off offset:768
	s_or_b64 exec, exec, s[38:39]
	v_cmp_gt_u32_e32 vcc, s70, v94
	s_and_saveexec_b64 s[38:39], vcc
	s_cbranch_execz .LBB1330_72
.LBB1330_174:                           ;   in Loop: Header=BB1330_64 Depth=2
	global_load_dword v16, v[30:31], off offset:1024
	s_or_b64 exec, exec, s[38:39]
	v_cmp_gt_u32_e32 vcc, s70, v95
	s_and_saveexec_b64 s[38:39], vcc
	s_cbranch_execz .LBB1330_73
.LBB1330_175:                           ;   in Loop: Header=BB1330_64 Depth=2
	global_load_dword v17, v[30:31], off offset:1280
	s_or_b64 exec, exec, s[38:39]
	v_cmp_gt_u32_e32 vcc, s70, v96
	s_and_saveexec_b64 s[38:39], vcc
	s_cbranch_execnz .LBB1330_74
	s_branch .LBB1330_75
.LBB1330_176:                           ;   in Loop: Header=BB1330_12 Depth=1
	s_waitcnt lgkmcnt(0)
	s_barrier
	s_mov_b64 s[18:19], 0
.LBB1330_177:                           ;   in Loop: Header=BB1330_12 Depth=1
	s_and_b64 vcc, exec, s[18:19]
	s_cbranch_vccz .LBB1330_341
; %bb.178:                              ;   in Loop: Header=BB1330_12 Depth=1
	v_mov_b32_e32 v10, v3
	v_mov_b32_e32 v4, v3
	;; [unrolled: 1-line block ×8, first 2 shown]
	s_mov_b32 s22, s79
	s_mov_b32 s58, s80
	v_mov_b32_e32 v18, v9
	v_mov_b32_e32 v17, v8
	;; [unrolled: 1-line block ×7, first 2 shown]
	s_barrier
	s_branch .LBB1330_180
.LBB1330_179:                           ;   in Loop: Header=BB1330_180 Depth=2
	s_or_b64 exec, exec, s[18:19]
	s_addk_i32 s22, 0xf800
	s_cmp_ge_u32 s23, s81
	s_mov_b32 s58, s23
	s_cbranch_scc1 .LBB1330_216
.LBB1330_180:                           ;   Parent Loop BB1330_12 Depth=1
                                        ; =>  This Inner Loop Header: Depth=2
	s_add_i32 s23, s58, 0x800
	s_cmp_gt_u32 s23, s81
	s_mov_b64 s[18:19], -1
                                        ; implicit-def: $vgpr20_vgpr21_vgpr22_vgpr23_vgpr24_vgpr25_vgpr26_vgpr27
	s_cbranch_scc1 .LBB1330_182
; %bb.181:                              ;   in Loop: Header=BB1330_180 Depth=2
	s_lshl_b64 s[18:19], s[58:59], 2
	v_mov_b32_e32 v5, s19
	v_add_co_u32_e32 v4, vcc, s18, v55
	v_addc_co_u32_e32 v5, vcc, v56, v5, vcc
	v_add_co_u32_e32 v6, vcc, 0x1000, v4
	v_addc_co_u32_e32 v7, vcc, 0, v5, vcc
	global_load_dword v20, v[4:5], off
	global_load_dword v21, v[4:5], off offset:1024
	global_load_dword v22, v[4:5], off offset:2048
	;; [unrolled: 1-line block ×3, first 2 shown]
	global_load_dword v24, v[6:7], off
	global_load_dword v25, v[6:7], off offset:1024
	global_load_dword v26, v[6:7], off offset:2048
	;; [unrolled: 1-line block ×3, first 2 shown]
	s_mov_b64 s[18:19], 0
.LBB1330_182:                           ;   in Loop: Header=BB1330_180 Depth=2
	s_andn2_b64 vcc, exec, s[18:19]
	s_movk_i32 s20, 0x800
	s_cbranch_vccnz .LBB1330_193
; %bb.183:                              ;   in Loop: Header=BB1330_180 Depth=2
	s_lshl_b64 s[18:19], s[58:59], 2
	s_add_u32 s18, s66, s18
	s_addc_u32 s19, s67, s19
	v_cmp_gt_u32_e32 vcc, s22, v0
	s_and_saveexec_b64 s[20:21], vcc
	s_cbranch_execnz .LBB1330_209
; %bb.184:                              ;   in Loop: Header=BB1330_180 Depth=2
	s_or_b64 exec, exec, s[20:21]
	v_cmp_gt_u32_e32 vcc, s22, v33
	s_and_saveexec_b64 s[20:21], vcc
	s_cbranch_execnz .LBB1330_210
.LBB1330_185:                           ;   in Loop: Header=BB1330_180 Depth=2
	s_or_b64 exec, exec, s[20:21]
	v_cmp_gt_u32_e32 vcc, s22, v34
	s_and_saveexec_b64 s[20:21], vcc
	s_cbranch_execnz .LBB1330_211
.LBB1330_186:                           ;   in Loop: Header=BB1330_180 Depth=2
	s_or_b64 exec, exec, s[20:21]
	v_cmp_gt_u32_e32 vcc, s22, v35
	s_and_saveexec_b64 s[20:21], vcc
	s_cbranch_execnz .LBB1330_212
.LBB1330_187:                           ;   in Loop: Header=BB1330_180 Depth=2
	s_or_b64 exec, exec, s[20:21]
	v_cmp_gt_u32_e32 vcc, s22, v38
	s_and_saveexec_b64 s[20:21], vcc
	s_cbranch_execnz .LBB1330_213
.LBB1330_188:                           ;   in Loop: Header=BB1330_180 Depth=2
	s_or_b64 exec, exec, s[20:21]
	v_cmp_gt_u32_e32 vcc, s22, v39
	s_and_saveexec_b64 s[20:21], vcc
	s_cbranch_execnz .LBB1330_214
.LBB1330_189:                           ;   in Loop: Header=BB1330_180 Depth=2
	s_or_b64 exec, exec, s[20:21]
	v_cmp_gt_u32_e32 vcc, s22, v40
	s_and_saveexec_b64 s[20:21], vcc
	s_cbranch_execnz .LBB1330_215
.LBB1330_190:                           ;   in Loop: Header=BB1330_180 Depth=2
	s_or_b64 exec, exec, s[20:21]
	v_cmp_gt_u32_e32 vcc, s22, v41
	s_and_saveexec_b64 s[20:21], vcc
	s_cbranch_execz .LBB1330_192
.LBB1330_191:                           ;   in Loop: Header=BB1330_180 Depth=2
	global_load_dword v19, v72, s[18:19]
.LBB1330_192:                           ;   in Loop: Header=BB1330_180 Depth=2
	s_or_b64 exec, exec, s[20:21]
	s_waitcnt vmcnt(0)
	v_mov_b32_e32 v27, v19
	s_mov_b32 s20, s22
	v_mov_b32_e32 v26, v18
	v_mov_b32_e32 v25, v17
	;; [unrolled: 1-line block ×7, first 2 shown]
.LBB1330_193:                           ;   in Loop: Header=BB1330_180 Depth=2
	s_waitcnt vmcnt(0)
	v_mov_b32_e32 v12, v20
	v_mov_b32_e32 v13, v21
	;; [unrolled: 1-line block ×8, first 2 shown]
	v_cmp_gt_u32_e32 vcc, s20, v0
	s_and_saveexec_b64 s[18:19], vcc
	s_cbranch_execnz .LBB1330_201
; %bb.194:                              ;   in Loop: Header=BB1330_180 Depth=2
	s_or_b64 exec, exec, s[18:19]
	v_cmp_gt_u32_e32 vcc, s20, v33
	s_and_saveexec_b64 s[18:19], vcc
	s_cbranch_execnz .LBB1330_202
.LBB1330_195:                           ;   in Loop: Header=BB1330_180 Depth=2
	s_or_b64 exec, exec, s[18:19]
	v_cmp_gt_u32_e32 vcc, s20, v34
	s_and_saveexec_b64 s[18:19], vcc
	s_cbranch_execnz .LBB1330_203
.LBB1330_196:                           ;   in Loop: Header=BB1330_180 Depth=2
	s_or_b64 exec, exec, s[18:19]
	v_cmp_gt_u32_e32 vcc, s20, v35
	s_and_saveexec_b64 s[18:19], vcc
	s_cbranch_execnz .LBB1330_204
.LBB1330_197:                           ;   in Loop: Header=BB1330_180 Depth=2
	s_or_b64 exec, exec, s[18:19]
	v_cmp_gt_u32_e32 vcc, s20, v38
	s_and_saveexec_b64 s[18:19], vcc
	s_cbranch_execnz .LBB1330_205
.LBB1330_198:                           ;   in Loop: Header=BB1330_180 Depth=2
	s_or_b64 exec, exec, s[18:19]
	v_cmp_gt_u32_e32 vcc, s20, v39
	s_and_saveexec_b64 s[18:19], vcc
	s_cbranch_execnz .LBB1330_206
.LBB1330_199:                           ;   in Loop: Header=BB1330_180 Depth=2
	s_or_b64 exec, exec, s[18:19]
	v_cmp_gt_u32_e32 vcc, s20, v40
	s_and_saveexec_b64 s[18:19], vcc
	s_cbranch_execnz .LBB1330_207
.LBB1330_200:                           ;   in Loop: Header=BB1330_180 Depth=2
	s_or_b64 exec, exec, s[18:19]
	v_cmp_gt_u32_e32 vcc, s20, v41
	s_and_saveexec_b64 s[18:19], vcc
	s_cbranch_execz .LBB1330_179
	s_branch .LBB1330_208
.LBB1330_201:                           ;   in Loop: Header=BB1330_180 Depth=2
	v_cmp_gt_i32_e32 vcc, 0, v12
	v_cndmask_b32_e64 v4, v73, 0, vcc
	v_xor_b32_e32 v4, v4, v12
	v_cmp_ne_u32_e32 vcc, s7, v4
	v_cndmask_b32_e32 v4, v73, v4, vcc
	v_lshrrev_b32_e32 v4, s62, v4
	v_and_b32_e32 v4, s63, v4
	v_lshl_or_b32 v4, v4, 4, v42
	ds_add_u32 v4, v67
	s_or_b64 exec, exec, s[18:19]
	v_cmp_gt_u32_e32 vcc, s20, v33
	s_and_saveexec_b64 s[18:19], vcc
	s_cbranch_execz .LBB1330_195
.LBB1330_202:                           ;   in Loop: Header=BB1330_180 Depth=2
	v_cmp_gt_i32_e32 vcc, 0, v13
	v_cndmask_b32_e64 v4, v73, 0, vcc
	v_xor_b32_e32 v4, v4, v13
	v_cmp_ne_u32_e32 vcc, s7, v4
	v_cndmask_b32_e32 v4, v73, v4, vcc
	v_lshrrev_b32_e32 v4, s62, v4
	v_and_b32_e32 v4, s63, v4
	v_lshl_or_b32 v4, v4, 4, v42
	ds_add_u32 v4, v67
	s_or_b64 exec, exec, s[18:19]
	v_cmp_gt_u32_e32 vcc, s20, v34
	s_and_saveexec_b64 s[18:19], vcc
	s_cbranch_execz .LBB1330_196
.LBB1330_203:                           ;   in Loop: Header=BB1330_180 Depth=2
	v_cmp_gt_i32_e32 vcc, 0, v14
	v_cndmask_b32_e64 v4, v73, 0, vcc
	v_xor_b32_e32 v4, v4, v14
	v_cmp_ne_u32_e32 vcc, s7, v4
	v_cndmask_b32_e32 v4, v73, v4, vcc
	v_lshrrev_b32_e32 v4, s62, v4
	v_and_b32_e32 v4, s63, v4
	v_lshl_or_b32 v4, v4, 4, v42
	ds_add_u32 v4, v67
	s_or_b64 exec, exec, s[18:19]
	v_cmp_gt_u32_e32 vcc, s20, v35
	s_and_saveexec_b64 s[18:19], vcc
	s_cbranch_execz .LBB1330_197
.LBB1330_204:                           ;   in Loop: Header=BB1330_180 Depth=2
	v_cmp_gt_i32_e32 vcc, 0, v15
	v_cndmask_b32_e64 v4, v73, 0, vcc
	v_xor_b32_e32 v4, v4, v15
	v_cmp_ne_u32_e32 vcc, s7, v4
	v_cndmask_b32_e32 v4, v73, v4, vcc
	v_lshrrev_b32_e32 v4, s62, v4
	v_and_b32_e32 v4, s63, v4
	v_lshl_or_b32 v4, v4, 4, v42
	ds_add_u32 v4, v67
	s_or_b64 exec, exec, s[18:19]
	v_cmp_gt_u32_e32 vcc, s20, v38
	s_and_saveexec_b64 s[18:19], vcc
	s_cbranch_execz .LBB1330_198
.LBB1330_205:                           ;   in Loop: Header=BB1330_180 Depth=2
	v_cmp_gt_i32_e32 vcc, 0, v16
	v_cndmask_b32_e64 v4, v73, 0, vcc
	v_xor_b32_e32 v4, v4, v16
	v_cmp_ne_u32_e32 vcc, s7, v4
	v_cndmask_b32_e32 v4, v73, v4, vcc
	v_lshrrev_b32_e32 v4, s62, v4
	v_and_b32_e32 v4, s63, v4
	v_lshl_or_b32 v4, v4, 4, v42
	ds_add_u32 v4, v67
	s_or_b64 exec, exec, s[18:19]
	v_cmp_gt_u32_e32 vcc, s20, v39
	s_and_saveexec_b64 s[18:19], vcc
	s_cbranch_execz .LBB1330_199
.LBB1330_206:                           ;   in Loop: Header=BB1330_180 Depth=2
	v_cmp_gt_i32_e32 vcc, 0, v17
	v_cndmask_b32_e64 v4, v73, 0, vcc
	v_xor_b32_e32 v4, v4, v17
	v_cmp_ne_u32_e32 vcc, s7, v4
	v_cndmask_b32_e32 v4, v73, v4, vcc
	v_lshrrev_b32_e32 v4, s62, v4
	v_and_b32_e32 v4, s63, v4
	v_lshl_or_b32 v4, v4, 4, v42
	ds_add_u32 v4, v67
	s_or_b64 exec, exec, s[18:19]
	v_cmp_gt_u32_e32 vcc, s20, v40
	s_and_saveexec_b64 s[18:19], vcc
	s_cbranch_execz .LBB1330_200
.LBB1330_207:                           ;   in Loop: Header=BB1330_180 Depth=2
	v_cmp_gt_i32_e32 vcc, 0, v18
	v_cndmask_b32_e64 v4, v73, 0, vcc
	v_xor_b32_e32 v4, v4, v18
	v_cmp_ne_u32_e32 vcc, s7, v4
	v_cndmask_b32_e32 v4, v73, v4, vcc
	v_lshrrev_b32_e32 v4, s62, v4
	v_and_b32_e32 v4, s63, v4
	v_lshl_or_b32 v4, v4, 4, v42
	ds_add_u32 v4, v67
	s_or_b64 exec, exec, s[18:19]
	v_cmp_gt_u32_e32 vcc, s20, v41
	s_and_saveexec_b64 s[18:19], vcc
	s_cbranch_execz .LBB1330_179
.LBB1330_208:                           ;   in Loop: Header=BB1330_180 Depth=2
	v_cmp_gt_i32_e32 vcc, 0, v19
	v_cndmask_b32_e64 v4, v73, 0, vcc
	v_xor_b32_e32 v4, v4, v19
	v_cmp_ne_u32_e32 vcc, s7, v4
	v_cndmask_b32_e32 v4, v73, v4, vcc
	v_lshrrev_b32_e32 v4, s62, v4
	v_and_b32_e32 v4, s63, v4
	v_lshl_or_b32 v4, v4, 4, v42
	ds_add_u32 v4, v67
	s_branch .LBB1330_179
.LBB1330_209:                           ;   in Loop: Header=BB1330_180 Depth=2
	global_load_dword v12, v68, s[18:19]
	s_or_b64 exec, exec, s[20:21]
	v_cmp_gt_u32_e32 vcc, s22, v33
	s_and_saveexec_b64 s[20:21], vcc
	s_cbranch_execz .LBB1330_185
.LBB1330_210:                           ;   in Loop: Header=BB1330_180 Depth=2
	global_load_dword v13, v68, s[18:19] offset:1024
	s_or_b64 exec, exec, s[20:21]
	v_cmp_gt_u32_e32 vcc, s22, v34
	s_and_saveexec_b64 s[20:21], vcc
	s_cbranch_execz .LBB1330_186
.LBB1330_211:                           ;   in Loop: Header=BB1330_180 Depth=2
	global_load_dword v14, v68, s[18:19] offset:2048
	s_or_b64 exec, exec, s[20:21]
	v_cmp_gt_u32_e32 vcc, s22, v35
	s_and_saveexec_b64 s[20:21], vcc
	s_cbranch_execz .LBB1330_187
.LBB1330_212:                           ;   in Loop: Header=BB1330_180 Depth=2
	global_load_dword v15, v68, s[18:19] offset:3072
	s_or_b64 exec, exec, s[20:21]
	v_cmp_gt_u32_e32 vcc, s22, v38
	s_and_saveexec_b64 s[20:21], vcc
	s_cbranch_execz .LBB1330_188
.LBB1330_213:                           ;   in Loop: Header=BB1330_180 Depth=2
	global_load_dword v16, v69, s[18:19]
	s_or_b64 exec, exec, s[20:21]
	v_cmp_gt_u32_e32 vcc, s22, v39
	s_and_saveexec_b64 s[20:21], vcc
	s_cbranch_execz .LBB1330_189
.LBB1330_214:                           ;   in Loop: Header=BB1330_180 Depth=2
	global_load_dword v17, v70, s[18:19]
	s_or_b64 exec, exec, s[20:21]
	v_cmp_gt_u32_e32 vcc, s22, v40
	s_and_saveexec_b64 s[20:21], vcc
	s_cbranch_execz .LBB1330_190
.LBB1330_215:                           ;   in Loop: Header=BB1330_180 Depth=2
	global_load_dword v18, v71, s[18:19]
	s_or_b64 exec, exec, s[20:21]
	v_cmp_gt_u32_e32 vcc, s22, v41
	s_and_saveexec_b64 s[20:21], vcc
	s_cbranch_execnz .LBB1330_191
	s_branch .LBB1330_192
.LBB1330_216:                           ;   in Loop: Header=BB1330_12 Depth=1
	v_mov_b32_e32 v4, 0
	s_waitcnt lgkmcnt(0)
	s_barrier
	s_and_saveexec_b64 s[18:19], s[4:5]
	s_cbranch_execz .LBB1330_218
; %bb.217:                              ;   in Loop: Header=BB1330_12 Depth=1
	ds_read2_b64 v[4:7], v43 offset1:1
	s_waitcnt lgkmcnt(0)
	v_add_u32_e32 v4, v5, v4
	v_add3_u32 v4, v4, v6, v7
.LBB1330_218:                           ;   in Loop: Header=BB1330_12 Depth=1
	s_or_b64 exec, exec, s[18:19]
	s_nop 0
	v_mov_b32_dpp v5, v4 row_shr:1 row_mask:0xf bank_mask:0xf
	v_cmp_eq_u32_e64 s[18:19], 0, v75
	v_cndmask_b32_e64 v5, v5, 0, s[18:19]
	v_add_u32_e32 v4, v5, v4
	v_cmp_lt_u32_e64 s[20:21], 1, v75
	v_cmp_lt_u32_e64 s[22:23], 3, v75
	v_mov_b32_dpp v5, v4 row_shr:2 row_mask:0xf bank_mask:0xf
	v_cndmask_b32_e64 v5, 0, v5, s[20:21]
	v_add_u32_e32 v4, v4, v5
	v_cmp_lt_u32_e64 s[24:25], 7, v75
	v_cmp_lt_u32_e64 s[28:29], 31, v74
	v_mov_b32_dpp v5, v4 row_shr:4 row_mask:0xf bank_mask:0xf
	v_cndmask_b32_e64 v5, 0, v5, s[22:23]
	v_add_u32_e32 v4, v4, v5
	v_cmp_eq_u32_e64 s[26:27], 0, v77
	s_nop 0
	v_mov_b32_dpp v5, v4 row_shr:8 row_mask:0xf bank_mask:0xf
	v_cndmask_b32_e64 v5, 0, v5, s[24:25]
	v_add_u32_e32 v4, v4, v5
	s_nop 1
	v_mov_b32_dpp v5, v4 row_bcast:15 row_mask:0xf bank_mask:0xf
	v_and_b32_e32 v5, v76, v5
	v_add_u32_e32 v4, v4, v5
	s_nop 1
	v_mov_b32_dpp v5, v4 row_bcast:31 row_mask:0xf bank_mask:0xf
	v_cndmask_b32_e64 v5, 0, v5, s[28:29]
	v_add_u32_e32 v4, v4, v5
	s_and_saveexec_b64 s[30:31], s[8:9]
; %bb.219:                              ;   in Loop: Header=BB1330_12 Depth=1
	ds_write_b32 v45, v4
; %bb.220:                              ;   in Loop: Header=BB1330_12 Depth=1
	s_or_b64 exec, exec, s[30:31]
	s_waitcnt lgkmcnt(0)
	s_barrier
	s_and_saveexec_b64 s[30:31], s[10:11]
	s_cbranch_execz .LBB1330_222
; %bb.221:                              ;   in Loop: Header=BB1330_12 Depth=1
	ds_read_b32 v5, v46
	v_cmp_ne_u32_e32 vcc, 0, v78
	s_waitcnt lgkmcnt(0)
	v_mov_b32_dpp v6, v5 row_shr:1 row_mask:0xf bank_mask:0xf
	v_cndmask_b32_e32 v6, 0, v6, vcc
	v_add_u32_e32 v5, v6, v5
	v_cmp_lt_u32_e32 vcc, 1, v78
	s_nop 0
	v_mov_b32_dpp v6, v5 row_shr:2 row_mask:0xf bank_mask:0xf
	v_cndmask_b32_e32 v6, 0, v6, vcc
	v_add_u32_e32 v5, v5, v6
	ds_write_b32 v46, v5
.LBB1330_222:                           ;   in Loop: Header=BB1330_12 Depth=1
	s_or_b64 exec, exec, s[30:31]
	v_mov_b32_e32 v5, 0
	s_waitcnt lgkmcnt(0)
	s_barrier
	s_and_saveexec_b64 s[30:31], s[12:13]
; %bb.223:                              ;   in Loop: Header=BB1330_12 Depth=1
	ds_read_b32 v5, v47
; %bb.224:                              ;   in Loop: Header=BB1330_12 Depth=1
	s_or_b64 exec, exec, s[30:31]
	v_subrev_co_u32_e64 v6, s[30:31], 1, v74
	v_and_b32_e32 v7, 64, v74
	v_cmp_lt_i32_e32 vcc, v6, v7
	v_cndmask_b32_e32 v6, v6, v74, vcc
	s_waitcnt lgkmcnt(0)
	v_add_u32_e32 v4, v5, v4
	v_lshlrev_b32_e32 v79, 2, v6
	ds_bpermute_b32 v4, v79, v4
	s_waitcnt lgkmcnt(0)
	s_barrier
	s_and_saveexec_b64 s[34:35], s[4:5]
; %bb.225:                              ;   in Loop: Header=BB1330_12 Depth=1
	v_cndmask_b32_e64 v4, v4, v5, s[30:31]
	v_add_u32_e32 v4, s80, v4
	ds_write_b32 v32, v4
; %bb.226:                              ;   in Loop: Header=BB1330_12 Depth=1
	s_or_b64 exec, exec, s[34:35]
	s_load_dwordx2 s[34:35], s[56:57], 0x0
	v_and_b32_e32 v13, 63, v74
	v_lshlrev_b32_e32 v14, 3, v13
	v_or_b32_e32 v84, v13, v48
	v_lshlrev_b32_e32 v15, 2, v13
	s_waitcnt lgkmcnt(0)
	s_cmp_lt_u32 s33, s35
	s_cselect_b32 s35, 14, 20
	s_add_u32 s36, s56, s35
	s_addc_u32 s37, s57, 0
	s_cmp_lt_u32 s6, s34
	s_cselect_b32 s34, 12, 18
	s_add_u32 s34, s56, s34
	global_load_ushort v4, v3, s[36:37]
	s_addc_u32 s35, s57, 0
	global_load_ushort v12, v3, s[34:35]
	v_add_co_u32_e32 v87, vcc, v57, v14
	v_addc_co_u32_e32 v89, vcc, 0, v58, vcc
	v_add_co_u32_e32 v98, vcc, v59, v15
	v_cmp_eq_u32_e64 s[34:35], 0, v78
	v_cmp_lt_u32_e64 s[36:37], 1, v78
	s_mov_b32 s70, s79
	v_or_b32_e32 v91, 64, v84
	v_or_b32_e32 v92, 0x80, v84
	;; [unrolled: 1-line block ×7, first 2 shown]
	v_addc_co_u32_e32 v99, vcc, 0, v60, vcc
	s_mov_b32 s58, s80
                                        ; implicit-def: $vgpr5_vgpr6
                                        ; implicit-def: $vgpr7_vgpr8
                                        ; implicit-def: $vgpr9_vgpr10
                                        ; implicit-def: $vgpr20_vgpr21
                                        ; implicit-def: $vgpr22_vgpr23
                                        ; implicit-def: $vgpr24_vgpr25
                                        ; implicit-def: $vgpr26_vgpr27
                                        ; implicit-def: $vgpr28_vgpr29
                                        ; implicit-def: $vgpr80
                                        ; implicit-def: $vgpr81
                                        ; implicit-def: $vgpr82
                                        ; implicit-def: $vgpr83
                                        ; implicit-def: $vgpr85
                                        ; implicit-def: $vgpr86
                                        ; implicit-def: $vgpr88
                                        ; implicit-def: $vgpr90
	s_waitcnt vmcnt(1)
	v_mad_u32_u24 v4, v2, v4, v1
	s_waitcnt vmcnt(0)
	v_mad_u64_u32 v[12:13], s[38:39], v4, v12, v[0:1]
	v_lshrrev_b32_e32 v4, 4, v12
	v_and_b32_e32 v100, 0xffffffc, v4
	s_branch .LBB1330_228
.LBB1330_227:                           ;   in Loop: Header=BB1330_228 Depth=2
	s_or_b64 exec, exec, s[38:39]
	s_addk_i32 s70, 0xf800
	s_cmp_lt_u32 s71, s81
	s_mov_b32 s58, s71
	s_cbranch_scc0 .LBB1330_340
.LBB1330_228:                           ;   Parent Loop BB1330_12 Depth=1
                                        ; =>  This Inner Loop Header: Depth=2
	s_add_i32 s71, s58, 0x800
	s_cmp_gt_u32 s71, s81
	s_cbranch_scc1 .LBB1330_230
; %bb.229:                              ;   in Loop: Header=BB1330_228 Depth=2
	s_lshl_b64 s[38:39], s[58:59], 2
	v_mov_b32_e32 v4, s39
	v_add_co_u32_e32 v18, vcc, s38, v98
	v_addc_co_u32_e32 v19, vcc, v99, v4, vcc
	global_load_dword v12, v[18:19], off
	global_load_dword v13, v[18:19], off offset:256
	global_load_dword v14, v[18:19], off offset:512
	;; [unrolled: 1-line block ×5, first 2 shown]
	s_nop 0
	global_load_dword v18, v[18:19], off offset:1536
	s_mov_b64 s[38:39], -1
	s_movk_i32 s42, 0x800
	s_cbranch_execz .LBB1330_231
	s_branch .LBB1330_240
.LBB1330_230:                           ;   in Loop: Header=BB1330_228 Depth=2
	s_mov_b64 s[38:39], 0
                                        ; implicit-def: $vgpr12_vgpr13_vgpr14_vgpr15_vgpr16_vgpr17_vgpr18_vgpr19
	s_movk_i32 s42, 0x800
.LBB1330_231:                           ;   in Loop: Header=BB1330_228 Depth=2
	s_lshl_b64 s[38:39], s[58:59], 2
	v_mov_b32_e32 v4, s39
	v_add_co_u32_e32 v30, vcc, s38, v98
	s_waitcnt vmcnt(6)
	v_mov_b32_e32 v12, v11
	s_waitcnt vmcnt(5)
	v_mov_b32_e32 v13, v11
	;; [unrolled: 2-line block ×7, first 2 shown]
	v_addc_co_u32_e32 v31, vcc, v99, v4, vcc
	v_mov_b32_e32 v19, v18
	v_cmp_gt_u32_e32 vcc, s70, v84
	v_mov_b32_e32 v18, v17
	v_mov_b32_e32 v17, v16
	;; [unrolled: 1-line block ×7, first 2 shown]
	s_and_saveexec_b64 s[38:39], vcc
	s_cbranch_execnz .LBB1330_334
; %bb.232:                              ;   in Loop: Header=BB1330_228 Depth=2
	s_or_b64 exec, exec, s[38:39]
	v_cmp_gt_u32_e32 vcc, s70, v91
	s_and_saveexec_b64 s[38:39], vcc
	s_cbranch_execnz .LBB1330_335
.LBB1330_233:                           ;   in Loop: Header=BB1330_228 Depth=2
	s_or_b64 exec, exec, s[38:39]
	v_cmp_gt_u32_e32 vcc, s70, v92
	s_and_saveexec_b64 s[38:39], vcc
	s_cbranch_execnz .LBB1330_336
.LBB1330_234:                           ;   in Loop: Header=BB1330_228 Depth=2
	s_or_b64 exec, exec, s[38:39]
	v_cmp_gt_u32_e32 vcc, s70, v93
	s_and_saveexec_b64 s[38:39], vcc
	s_cbranch_execnz .LBB1330_337
.LBB1330_235:                           ;   in Loop: Header=BB1330_228 Depth=2
	s_or_b64 exec, exec, s[38:39]
	v_cmp_gt_u32_e32 vcc, s70, v94
	s_and_saveexec_b64 s[38:39], vcc
	s_cbranch_execnz .LBB1330_338
.LBB1330_236:                           ;   in Loop: Header=BB1330_228 Depth=2
	s_or_b64 exec, exec, s[38:39]
	v_cmp_gt_u32_e32 vcc, s70, v95
	s_and_saveexec_b64 s[38:39], vcc
	s_cbranch_execnz .LBB1330_339
.LBB1330_237:                           ;   in Loop: Header=BB1330_228 Depth=2
	s_or_b64 exec, exec, s[38:39]
	v_cmp_gt_u32_e32 vcc, s70, v96
	s_and_saveexec_b64 s[38:39], vcc
	s_cbranch_execz .LBB1330_239
.LBB1330_238:                           ;   in Loop: Header=BB1330_228 Depth=2
	global_load_dword v18, v[30:31], off offset:1536
.LBB1330_239:                           ;   in Loop: Header=BB1330_228 Depth=2
	s_or_b64 exec, exec, s[38:39]
	s_sub_i32 s42, s81, s58
	v_cmp_gt_u32_e64 s[38:39], s70, v97
.LBB1330_240:                           ;   in Loop: Header=BB1330_228 Depth=2
	v_mov_b32_e32 v101, s70
	s_and_saveexec_b64 s[40:41], s[38:39]
	s_cbranch_execz .LBB1330_242
; %bb.241:                              ;   in Loop: Header=BB1330_228 Depth=2
	s_lshl_b64 s[38:39], s[58:59], 2
	v_mov_b32_e32 v4, s39
	v_add_co_u32_e32 v30, vcc, s38, v98
	v_addc_co_u32_e32 v31, vcc, v99, v4, vcc
	global_load_dword v19, v[30:31], off offset:1792
	v_mov_b32_e32 v101, s42
.LBB1330_242:                           ;   in Loop: Header=BB1330_228 Depth=2
	s_or_b64 exec, exec, s[40:41]
	s_waitcnt vmcnt(0)
	v_cmp_gt_i32_e32 vcc, 0, v12
	v_cndmask_b32_e64 v4, v73, 0, vcc
	v_xor_b32_e32 v102, v4, v12
	v_cmp_ne_u32_e32 vcc, s7, v102
	v_cndmask_b32_e32 v4, v73, v102, vcc
	v_lshrrev_b32_e32 v4, s62, v4
	v_and_b32_e32 v12, s63, v4
	v_and_b32_e32 v4, 1, v12
	v_add_co_u32_e32 v30, vcc, -1, v4
	v_addc_co_u32_e64 v31, s[38:39], 0, -1, vcc
	v_cmp_ne_u32_e32 vcc, 0, v4
	v_xor_b32_e32 v4, vcc_hi, v31
	v_and_b32_e32 v31, exec_hi, v4
	v_lshlrev_b32_e32 v4, 30, v12
	v_xor_b32_e32 v30, vcc_lo, v30
	v_cmp_gt_i64_e32 vcc, 0, v[3:4]
	v_not_b32_e32 v4, v4
	v_ashrrev_i32_e32 v4, 31, v4
	v_and_b32_e32 v30, exec_lo, v30
	v_xor_b32_e32 v105, vcc_hi, v4
	v_xor_b32_e32 v4, vcc_lo, v4
	v_and_b32_e32 v30, v30, v4
	v_lshlrev_b32_e32 v4, 29, v12
	v_cmp_gt_i64_e32 vcc, 0, v[3:4]
	v_not_b32_e32 v4, v4
	v_ashrrev_i32_e32 v4, 31, v4
	v_and_b32_e32 v31, v31, v105
	v_xor_b32_e32 v105, vcc_hi, v4
	v_xor_b32_e32 v4, vcc_lo, v4
	v_and_b32_e32 v30, v30, v4
	v_lshlrev_b32_e32 v4, 28, v12
	v_cmp_gt_i64_e32 vcc, 0, v[3:4]
	v_not_b32_e32 v4, v4
	v_ashrrev_i32_e32 v4, 31, v4
	v_and_b32_e32 v31, v31, v105
	;; [unrolled: 8-line block ×5, first 2 shown]
	v_xor_b32_e32 v105, vcc_hi, v4
	v_xor_b32_e32 v4, vcc_lo, v4
	v_and_b32_e32 v30, v30, v4
	v_lshlrev_b32_e32 v4, 24, v12
	v_cmp_gt_i64_e32 vcc, 0, v[3:4]
	v_not_b32_e32 v4, v4
	v_ashrrev_i32_e32 v4, 31, v4
	v_mul_u32_u24_e32 v106, 20, v12
	v_xor_b32_e32 v12, vcc_hi, v4
	v_xor_b32_e32 v4, vcc_lo, v4
	v_and_b32_e32 v31, v31, v105
	v_and_b32_e32 v30, v30, v4
	v_and_b32_e32 v31, v31, v12
	v_mbcnt_lo_u32_b32 v4, v30, 0
	v_mbcnt_hi_u32_b32 v105, v31, v4
	v_cmp_ne_u64_e32 vcc, 0, v[30:31]
	v_cmp_eq_u32_e64 s[38:39], 0, v105
	v_add_u32_e32 v104, 0x410, v49
	v_add_u32_e32 v103, 0x418, v49
	s_and_b64 s[40:41], vcc, s[38:39]
	v_add_u32_e32 v106, v100, v106
	ds_write2_b32 v104, v3, v3 offset1:1
	ds_write2_b32 v103, v3, v3 offset1:1
	ds_write_b32 v49, v3 offset:1056
	s_waitcnt lgkmcnt(0)
	s_barrier
	; wave barrier
	s_and_saveexec_b64 s[38:39], s[40:41]
; %bb.243:                              ;   in Loop: Header=BB1330_228 Depth=2
	v_bcnt_u32_b32 v4, v30, 0
	v_bcnt_u32_b32 v4, v31, v4
	ds_write_b32 v106, v4 offset:1040
; %bb.244:                              ;   in Loop: Header=BB1330_228 Depth=2
	s_or_b64 exec, exec, s[38:39]
	v_cmp_gt_i32_e32 vcc, 0, v13
	v_cndmask_b32_e64 v4, v73, 0, vcc
	v_xor_b32_e32 v30, v4, v13
	v_cmp_ne_u32_e32 vcc, s7, v30
	v_cndmask_b32_e32 v4, v73, v30, vcc
	v_lshrrev_b32_e32 v4, s62, v4
	v_and_b32_e32 v12, s63, v4
	v_mad_u32_u24 v4, v12, 20, v100
	; wave barrier
	ds_read_b32 v31, v4 offset:1040
	v_and_b32_e32 v4, 1, v12
	v_add_co_u32_e32 v13, vcc, -1, v4
	v_addc_co_u32_e64 v107, s[38:39], 0, -1, vcc
	v_cmp_ne_u32_e32 vcc, 0, v4
	v_xor_b32_e32 v4, vcc_hi, v107
	v_and_b32_e32 v107, exec_hi, v4
	v_lshlrev_b32_e32 v4, 30, v12
	v_xor_b32_e32 v13, vcc_lo, v13
	v_cmp_gt_i64_e32 vcc, 0, v[3:4]
	v_not_b32_e32 v4, v4
	v_ashrrev_i32_e32 v4, 31, v4
	v_and_b32_e32 v13, exec_lo, v13
	v_xor_b32_e32 v109, vcc_hi, v4
	v_xor_b32_e32 v4, vcc_lo, v4
	v_and_b32_e32 v13, v13, v4
	v_lshlrev_b32_e32 v4, 29, v12
	v_cmp_gt_i64_e32 vcc, 0, v[3:4]
	v_not_b32_e32 v4, v4
	v_ashrrev_i32_e32 v4, 31, v4
	v_and_b32_e32 v107, v107, v109
	v_xor_b32_e32 v109, vcc_hi, v4
	v_xor_b32_e32 v4, vcc_lo, v4
	v_and_b32_e32 v13, v13, v4
	v_lshlrev_b32_e32 v4, 28, v12
	v_cmp_gt_i64_e32 vcc, 0, v[3:4]
	v_not_b32_e32 v4, v4
	v_ashrrev_i32_e32 v4, 31, v4
	v_and_b32_e32 v107, v107, v109
	;; [unrolled: 8-line block ×5, first 2 shown]
	v_xor_b32_e32 v109, vcc_hi, v4
	v_xor_b32_e32 v4, vcc_lo, v4
	v_and_b32_e32 v107, v107, v109
	v_and_b32_e32 v109, v13, v4
	v_lshlrev_b32_e32 v4, 24, v12
	v_cmp_gt_i64_e32 vcc, 0, v[3:4]
	v_not_b32_e32 v4, v4
	v_ashrrev_i32_e32 v4, 31, v4
	v_mul_u32_u24_e32 v108, 20, v12
	v_xor_b32_e32 v12, vcc_hi, v4
	v_xor_b32_e32 v4, vcc_lo, v4
	v_and_b32_e32 v13, v107, v12
	v_and_b32_e32 v12, v109, v4
	v_mbcnt_lo_u32_b32 v4, v12, 0
	v_mbcnt_hi_u32_b32 v107, v13, v4
	v_cmp_ne_u64_e32 vcc, 0, v[12:13]
	v_cmp_eq_u32_e64 s[38:39], 0, v107
	s_and_b64 s[40:41], vcc, s[38:39]
	v_add_u32_e32 v110, v100, v108
	; wave barrier
	s_and_saveexec_b64 s[38:39], s[40:41]
	s_cbranch_execz .LBB1330_246
; %bb.245:                              ;   in Loop: Header=BB1330_228 Depth=2
	v_bcnt_u32_b32 v4, v12, 0
	v_bcnt_u32_b32 v4, v13, v4
	s_waitcnt lgkmcnt(0)
	v_add_u32_e32 v4, v31, v4
	ds_write_b32 v110, v4 offset:1040
.LBB1330_246:                           ;   in Loop: Header=BB1330_228 Depth=2
	s_or_b64 exec, exec, s[38:39]
	v_cmp_gt_i32_e32 vcc, 0, v14
	v_cndmask_b32_e64 v4, v73, 0, vcc
	v_xor_b32_e32 v108, v4, v14
	v_cmp_ne_u32_e32 vcc, s7, v108
	v_cndmask_b32_e32 v4, v73, v108, vcc
	v_lshrrev_b32_e32 v4, s62, v4
	v_and_b32_e32 v12, s63, v4
	v_mad_u32_u24 v4, v12, 20, v100
	; wave barrier
	ds_read_b32 v109, v4 offset:1040
	v_and_b32_e32 v4, 1, v12
	v_add_co_u32_e32 v13, vcc, -1, v4
	v_addc_co_u32_e64 v111, s[38:39], 0, -1, vcc
	v_cmp_ne_u32_e32 vcc, 0, v4
	v_xor_b32_e32 v4, vcc_hi, v111
	v_and_b32_e32 v111, exec_hi, v4
	v_lshlrev_b32_e32 v4, 30, v12
	v_xor_b32_e32 v13, vcc_lo, v13
	v_cmp_gt_i64_e32 vcc, 0, v[3:4]
	v_not_b32_e32 v4, v4
	v_ashrrev_i32_e32 v4, 31, v4
	v_and_b32_e32 v13, exec_lo, v13
	v_xor_b32_e32 v112, vcc_hi, v4
	v_xor_b32_e32 v4, vcc_lo, v4
	v_and_b32_e32 v13, v13, v4
	v_lshlrev_b32_e32 v4, 29, v12
	v_cmp_gt_i64_e32 vcc, 0, v[3:4]
	v_not_b32_e32 v4, v4
	v_ashrrev_i32_e32 v4, 31, v4
	v_and_b32_e32 v111, v111, v112
	v_xor_b32_e32 v112, vcc_hi, v4
	v_xor_b32_e32 v4, vcc_lo, v4
	v_and_b32_e32 v13, v13, v4
	v_lshlrev_b32_e32 v4, 28, v12
	v_cmp_gt_i64_e32 vcc, 0, v[3:4]
	v_not_b32_e32 v4, v4
	v_ashrrev_i32_e32 v4, 31, v4
	v_and_b32_e32 v111, v111, v112
	;; [unrolled: 8-line block ×5, first 2 shown]
	v_xor_b32_e32 v112, vcc_hi, v4
	v_xor_b32_e32 v4, vcc_lo, v4
	v_and_b32_e32 v111, v111, v112
	v_and_b32_e32 v112, v13, v4
	v_lshlrev_b32_e32 v4, 24, v12
	v_cmp_gt_i64_e32 vcc, 0, v[3:4]
	v_not_b32_e32 v4, v4
	v_ashrrev_i32_e32 v4, 31, v4
	v_mul_u32_u24_e32 v14, 20, v12
	v_xor_b32_e32 v12, vcc_hi, v4
	v_xor_b32_e32 v4, vcc_lo, v4
	v_and_b32_e32 v13, v111, v12
	v_and_b32_e32 v12, v112, v4
	v_mbcnt_lo_u32_b32 v4, v12, 0
	v_mbcnt_hi_u32_b32 v111, v13, v4
	v_cmp_ne_u64_e32 vcc, 0, v[12:13]
	v_cmp_eq_u32_e64 s[38:39], 0, v111
	s_and_b64 s[40:41], vcc, s[38:39]
	v_add_u32_e32 v114, v100, v14
	; wave barrier
	s_and_saveexec_b64 s[38:39], s[40:41]
	s_cbranch_execz .LBB1330_248
; %bb.247:                              ;   in Loop: Header=BB1330_228 Depth=2
	v_bcnt_u32_b32 v4, v12, 0
	v_bcnt_u32_b32 v4, v13, v4
	s_waitcnt lgkmcnt(0)
	v_add_u32_e32 v4, v109, v4
	ds_write_b32 v114, v4 offset:1040
.LBB1330_248:                           ;   in Loop: Header=BB1330_228 Depth=2
	s_or_b64 exec, exec, s[38:39]
	v_cmp_gt_i32_e32 vcc, 0, v15
	v_cndmask_b32_e64 v4, v73, 0, vcc
	v_xor_b32_e32 v112, v4, v15
	v_cmp_ne_u32_e32 vcc, s7, v112
	v_cndmask_b32_e32 v4, v73, v112, vcc
	v_lshrrev_b32_e32 v4, s62, v4
	v_and_b32_e32 v12, s63, v4
	v_mad_u32_u24 v4, v12, 20, v100
	; wave barrier
	ds_read_b32 v113, v4 offset:1040
	v_and_b32_e32 v4, 1, v12
	v_add_co_u32_e32 v13, vcc, -1, v4
	v_addc_co_u32_e64 v15, s[38:39], 0, -1, vcc
	v_cmp_ne_u32_e32 vcc, 0, v4
	v_xor_b32_e32 v4, vcc_hi, v15
	v_and_b32_e32 v15, exec_hi, v4
	v_lshlrev_b32_e32 v4, 30, v12
	v_xor_b32_e32 v13, vcc_lo, v13
	v_cmp_gt_i64_e32 vcc, 0, v[3:4]
	v_not_b32_e32 v4, v4
	v_ashrrev_i32_e32 v4, 31, v4
	v_and_b32_e32 v13, exec_lo, v13
	v_xor_b32_e32 v115, vcc_hi, v4
	v_xor_b32_e32 v4, vcc_lo, v4
	v_and_b32_e32 v13, v13, v4
	v_lshlrev_b32_e32 v4, 29, v12
	v_cmp_gt_i64_e32 vcc, 0, v[3:4]
	v_not_b32_e32 v4, v4
	v_ashrrev_i32_e32 v4, 31, v4
	v_and_b32_e32 v15, v15, v115
	v_xor_b32_e32 v115, vcc_hi, v4
	v_xor_b32_e32 v4, vcc_lo, v4
	v_and_b32_e32 v13, v13, v4
	v_lshlrev_b32_e32 v4, 28, v12
	v_cmp_gt_i64_e32 vcc, 0, v[3:4]
	v_not_b32_e32 v4, v4
	v_ashrrev_i32_e32 v4, 31, v4
	v_and_b32_e32 v15, v15, v115
	;; [unrolled: 8-line block ×5, first 2 shown]
	v_xor_b32_e32 v115, vcc_hi, v4
	v_xor_b32_e32 v4, vcc_lo, v4
	v_and_b32_e32 v15, v15, v115
	v_and_b32_e32 v115, v13, v4
	v_lshlrev_b32_e32 v4, 24, v12
	v_cmp_gt_i64_e32 vcc, 0, v[3:4]
	v_not_b32_e32 v4, v4
	v_ashrrev_i32_e32 v4, 31, v4
	v_mul_u32_u24_e32 v14, 20, v12
	v_xor_b32_e32 v12, vcc_hi, v4
	v_xor_b32_e32 v4, vcc_lo, v4
	v_and_b32_e32 v13, v15, v12
	v_and_b32_e32 v12, v115, v4
	v_mbcnt_lo_u32_b32 v4, v12, 0
	v_mbcnt_hi_u32_b32 v115, v13, v4
	v_cmp_ne_u64_e32 vcc, 0, v[12:13]
	v_cmp_eq_u32_e64 s[38:39], 0, v115
	s_and_b64 s[40:41], vcc, s[38:39]
	v_add_u32_e32 v117, v100, v14
	; wave barrier
	s_and_saveexec_b64 s[38:39], s[40:41]
	s_cbranch_execz .LBB1330_250
; %bb.249:                              ;   in Loop: Header=BB1330_228 Depth=2
	v_bcnt_u32_b32 v4, v12, 0
	v_bcnt_u32_b32 v4, v13, v4
	s_waitcnt lgkmcnt(0)
	v_add_u32_e32 v4, v113, v4
	ds_write_b32 v117, v4 offset:1040
.LBB1330_250:                           ;   in Loop: Header=BB1330_228 Depth=2
	s_or_b64 exec, exec, s[38:39]
	v_cmp_gt_i32_e32 vcc, 0, v16
	v_cndmask_b32_e64 v4, v73, 0, vcc
	v_xor_b32_e32 v116, v4, v16
	v_cmp_ne_u32_e32 vcc, s7, v116
	v_cndmask_b32_e32 v4, v73, v116, vcc
	v_lshrrev_b32_e32 v4, s62, v4
	v_and_b32_e32 v12, s63, v4
	v_mad_u32_u24 v4, v12, 20, v100
	; wave barrier
	ds_read_b32 v16, v4 offset:1040
	v_and_b32_e32 v4, 1, v12
	v_add_co_u32_e32 v13, vcc, -1, v4
	v_addc_co_u32_e64 v15, s[38:39], 0, -1, vcc
	v_cmp_ne_u32_e32 vcc, 0, v4
	v_xor_b32_e32 v4, vcc_hi, v15
	v_and_b32_e32 v15, exec_hi, v4
	v_lshlrev_b32_e32 v4, 30, v12
	v_xor_b32_e32 v13, vcc_lo, v13
	v_cmp_gt_i64_e32 vcc, 0, v[3:4]
	v_not_b32_e32 v4, v4
	v_ashrrev_i32_e32 v4, 31, v4
	v_and_b32_e32 v13, exec_lo, v13
	v_xor_b32_e32 v118, vcc_hi, v4
	v_xor_b32_e32 v4, vcc_lo, v4
	v_and_b32_e32 v13, v13, v4
	v_lshlrev_b32_e32 v4, 29, v12
	v_cmp_gt_i64_e32 vcc, 0, v[3:4]
	v_not_b32_e32 v4, v4
	v_ashrrev_i32_e32 v4, 31, v4
	v_and_b32_e32 v15, v15, v118
	v_xor_b32_e32 v118, vcc_hi, v4
	v_xor_b32_e32 v4, vcc_lo, v4
	v_and_b32_e32 v13, v13, v4
	v_lshlrev_b32_e32 v4, 28, v12
	v_cmp_gt_i64_e32 vcc, 0, v[3:4]
	v_not_b32_e32 v4, v4
	v_ashrrev_i32_e32 v4, 31, v4
	v_and_b32_e32 v15, v15, v118
	;; [unrolled: 8-line block ×5, first 2 shown]
	v_xor_b32_e32 v118, vcc_hi, v4
	v_xor_b32_e32 v4, vcc_lo, v4
	v_and_b32_e32 v15, v15, v118
	v_and_b32_e32 v118, v13, v4
	v_lshlrev_b32_e32 v4, 24, v12
	v_cmp_gt_i64_e32 vcc, 0, v[3:4]
	v_not_b32_e32 v4, v4
	v_ashrrev_i32_e32 v4, 31, v4
	v_mul_u32_u24_e32 v14, 20, v12
	v_xor_b32_e32 v12, vcc_hi, v4
	v_xor_b32_e32 v4, vcc_lo, v4
	v_and_b32_e32 v13, v15, v12
	v_and_b32_e32 v12, v118, v4
	v_mbcnt_lo_u32_b32 v4, v12, 0
	v_mbcnt_hi_u32_b32 v118, v13, v4
	v_cmp_ne_u64_e32 vcc, 0, v[12:13]
	v_cmp_eq_u32_e64 s[38:39], 0, v118
	s_and_b64 s[40:41], vcc, s[38:39]
	v_add_u32_e32 v121, v100, v14
	; wave barrier
	s_and_saveexec_b64 s[38:39], s[40:41]
	s_cbranch_execz .LBB1330_252
; %bb.251:                              ;   in Loop: Header=BB1330_228 Depth=2
	v_bcnt_u32_b32 v4, v12, 0
	v_bcnt_u32_b32 v4, v13, v4
	s_waitcnt lgkmcnt(0)
	v_add_u32_e32 v4, v16, v4
	ds_write_b32 v121, v4 offset:1040
.LBB1330_252:                           ;   in Loop: Header=BB1330_228 Depth=2
	s_or_b64 exec, exec, s[38:39]
	v_cmp_gt_i32_e32 vcc, 0, v17
	v_cndmask_b32_e64 v4, v73, 0, vcc
	v_xor_b32_e32 v119, v4, v17
	v_cmp_ne_u32_e32 vcc, s7, v119
	v_cndmask_b32_e32 v4, v73, v119, vcc
	v_lshrrev_b32_e32 v4, s62, v4
	v_and_b32_e32 v12, s63, v4
	v_mad_u32_u24 v4, v12, 20, v100
	; wave barrier
	ds_read_b32 v120, v4 offset:1040
	v_and_b32_e32 v4, 1, v12
	v_add_co_u32_e32 v13, vcc, -1, v4
	v_addc_co_u32_e64 v15, s[38:39], 0, -1, vcc
	v_cmp_ne_u32_e32 vcc, 0, v4
	v_xor_b32_e32 v4, vcc_hi, v15
	v_and_b32_e32 v15, exec_hi, v4
	v_lshlrev_b32_e32 v4, 30, v12
	v_xor_b32_e32 v13, vcc_lo, v13
	v_cmp_gt_i64_e32 vcc, 0, v[3:4]
	v_not_b32_e32 v4, v4
	v_ashrrev_i32_e32 v4, 31, v4
	v_and_b32_e32 v13, exec_lo, v13
	v_xor_b32_e32 v17, vcc_hi, v4
	v_xor_b32_e32 v4, vcc_lo, v4
	v_and_b32_e32 v13, v13, v4
	v_lshlrev_b32_e32 v4, 29, v12
	v_cmp_gt_i64_e32 vcc, 0, v[3:4]
	v_not_b32_e32 v4, v4
	v_ashrrev_i32_e32 v4, 31, v4
	v_and_b32_e32 v15, v15, v17
	v_xor_b32_e32 v17, vcc_hi, v4
	v_xor_b32_e32 v4, vcc_lo, v4
	v_and_b32_e32 v13, v13, v4
	v_lshlrev_b32_e32 v4, 28, v12
	v_cmp_gt_i64_e32 vcc, 0, v[3:4]
	v_not_b32_e32 v4, v4
	v_ashrrev_i32_e32 v4, 31, v4
	v_and_b32_e32 v15, v15, v17
	;; [unrolled: 8-line block ×5, first 2 shown]
	v_xor_b32_e32 v17, vcc_hi, v4
	v_xor_b32_e32 v4, vcc_lo, v4
	v_and_b32_e32 v15, v15, v17
	v_and_b32_e32 v17, v13, v4
	v_lshlrev_b32_e32 v4, 24, v12
	v_cmp_gt_i64_e32 vcc, 0, v[3:4]
	v_not_b32_e32 v4, v4
	v_ashrrev_i32_e32 v4, 31, v4
	v_mul_u32_u24_e32 v14, 20, v12
	v_xor_b32_e32 v12, vcc_hi, v4
	v_xor_b32_e32 v4, vcc_lo, v4
	v_and_b32_e32 v13, v15, v12
	v_and_b32_e32 v12, v17, v4
	v_mbcnt_lo_u32_b32 v4, v12, 0
	v_mbcnt_hi_u32_b32 v122, v13, v4
	v_cmp_ne_u64_e32 vcc, 0, v[12:13]
	v_cmp_eq_u32_e64 s[38:39], 0, v122
	s_and_b64 s[40:41], vcc, s[38:39]
	v_add_u32_e32 v17, v100, v14
	; wave barrier
	s_and_saveexec_b64 s[38:39], s[40:41]
	s_cbranch_execz .LBB1330_254
; %bb.253:                              ;   in Loop: Header=BB1330_228 Depth=2
	v_bcnt_u32_b32 v4, v12, 0
	v_bcnt_u32_b32 v4, v13, v4
	s_waitcnt lgkmcnt(0)
	v_add_u32_e32 v4, v120, v4
	ds_write_b32 v17, v4 offset:1040
.LBB1330_254:                           ;   in Loop: Header=BB1330_228 Depth=2
	s_or_b64 exec, exec, s[38:39]
	v_cmp_gt_i32_e32 vcc, 0, v18
	v_cndmask_b32_e64 v4, v73, 0, vcc
	v_xor_b32_e32 v123, v4, v18
	v_cmp_ne_u32_e32 vcc, s7, v123
	v_cndmask_b32_e32 v4, v73, v123, vcc
	v_lshrrev_b32_e32 v4, s62, v4
	v_and_b32_e32 v12, s63, v4
	v_mad_u32_u24 v4, v12, 20, v100
	; wave barrier
	ds_read_b32 v124, v4 offset:1040
	v_and_b32_e32 v4, 1, v12
	v_add_co_u32_e32 v13, vcc, -1, v4
	v_addc_co_u32_e64 v15, s[38:39], 0, -1, vcc
	v_cmp_ne_u32_e32 vcc, 0, v4
	v_xor_b32_e32 v4, vcc_hi, v15
	v_and_b32_e32 v15, exec_hi, v4
	v_lshlrev_b32_e32 v4, 30, v12
	v_xor_b32_e32 v13, vcc_lo, v13
	v_cmp_gt_i64_e32 vcc, 0, v[3:4]
	v_not_b32_e32 v4, v4
	v_ashrrev_i32_e32 v4, 31, v4
	v_and_b32_e32 v13, exec_lo, v13
	v_xor_b32_e32 v18, vcc_hi, v4
	v_xor_b32_e32 v4, vcc_lo, v4
	v_and_b32_e32 v13, v13, v4
	v_lshlrev_b32_e32 v4, 29, v12
	v_cmp_gt_i64_e32 vcc, 0, v[3:4]
	v_not_b32_e32 v4, v4
	v_ashrrev_i32_e32 v4, 31, v4
	v_and_b32_e32 v15, v15, v18
	v_xor_b32_e32 v18, vcc_hi, v4
	v_xor_b32_e32 v4, vcc_lo, v4
	v_and_b32_e32 v13, v13, v4
	v_lshlrev_b32_e32 v4, 28, v12
	v_cmp_gt_i64_e32 vcc, 0, v[3:4]
	v_not_b32_e32 v4, v4
	v_ashrrev_i32_e32 v4, 31, v4
	v_and_b32_e32 v15, v15, v18
	;; [unrolled: 8-line block ×5, first 2 shown]
	v_xor_b32_e32 v18, vcc_hi, v4
	v_xor_b32_e32 v4, vcc_lo, v4
	v_and_b32_e32 v15, v15, v18
	v_and_b32_e32 v18, v13, v4
	v_lshlrev_b32_e32 v4, 24, v12
	v_cmp_gt_i64_e32 vcc, 0, v[3:4]
	v_not_b32_e32 v4, v4
	v_ashrrev_i32_e32 v4, 31, v4
	v_mul_u32_u24_e32 v14, 20, v12
	v_xor_b32_e32 v12, vcc_hi, v4
	v_xor_b32_e32 v4, vcc_lo, v4
	v_and_b32_e32 v13, v15, v12
	v_and_b32_e32 v12, v18, v4
	v_mbcnt_lo_u32_b32 v4, v12, 0
	v_mbcnt_hi_u32_b32 v125, v13, v4
	v_cmp_ne_u64_e32 vcc, 0, v[12:13]
	v_cmp_eq_u32_e64 s[38:39], 0, v125
	s_and_b64 s[40:41], vcc, s[38:39]
	v_add_u32_e32 v18, v100, v14
	; wave barrier
	s_and_saveexec_b64 s[38:39], s[40:41]
	s_cbranch_execz .LBB1330_256
; %bb.255:                              ;   in Loop: Header=BB1330_228 Depth=2
	v_bcnt_u32_b32 v4, v12, 0
	v_bcnt_u32_b32 v4, v13, v4
	s_waitcnt lgkmcnt(0)
	v_add_u32_e32 v4, v124, v4
	ds_write_b32 v18, v4 offset:1040
.LBB1330_256:                           ;   in Loop: Header=BB1330_228 Depth=2
	s_or_b64 exec, exec, s[38:39]
	v_cmp_gt_i32_e32 vcc, 0, v19
	v_cndmask_b32_e64 v4, v73, 0, vcc
	v_xor_b32_e32 v126, v4, v19
	v_cmp_ne_u32_e32 vcc, s7, v126
	v_cndmask_b32_e32 v4, v73, v126, vcc
	v_lshrrev_b32_e32 v4, s62, v4
	v_and_b32_e32 v12, s63, v4
	v_mad_u32_u24 v4, v12, 20, v100
	; wave barrier
	ds_read_b32 v127, v4 offset:1040
	v_and_b32_e32 v4, 1, v12
	v_add_co_u32_e32 v13, vcc, -1, v4
	v_addc_co_u32_e64 v15, s[38:39], 0, -1, vcc
	v_cmp_ne_u32_e32 vcc, 0, v4
	v_xor_b32_e32 v4, vcc_hi, v15
	v_and_b32_e32 v15, exec_hi, v4
	v_lshlrev_b32_e32 v4, 30, v12
	v_xor_b32_e32 v13, vcc_lo, v13
	v_cmp_gt_i64_e32 vcc, 0, v[3:4]
	v_not_b32_e32 v4, v4
	v_ashrrev_i32_e32 v4, 31, v4
	v_and_b32_e32 v13, exec_lo, v13
	v_xor_b32_e32 v19, vcc_hi, v4
	v_xor_b32_e32 v4, vcc_lo, v4
	v_and_b32_e32 v13, v13, v4
	v_lshlrev_b32_e32 v4, 29, v12
	v_cmp_gt_i64_e32 vcc, 0, v[3:4]
	v_not_b32_e32 v4, v4
	v_ashrrev_i32_e32 v4, 31, v4
	v_and_b32_e32 v15, v15, v19
	v_xor_b32_e32 v19, vcc_hi, v4
	v_xor_b32_e32 v4, vcc_lo, v4
	v_and_b32_e32 v13, v13, v4
	v_lshlrev_b32_e32 v4, 28, v12
	v_cmp_gt_i64_e32 vcc, 0, v[3:4]
	v_not_b32_e32 v4, v4
	v_ashrrev_i32_e32 v4, 31, v4
	v_and_b32_e32 v15, v15, v19
	v_xor_b32_e32 v19, vcc_hi, v4
	v_xor_b32_e32 v4, vcc_lo, v4
	v_and_b32_e32 v13, v13, v4
	v_lshlrev_b32_e32 v4, 27, v12
	v_cmp_gt_i64_e32 vcc, 0, v[3:4]
	v_not_b32_e32 v4, v4
	v_ashrrev_i32_e32 v4, 31, v4
	v_and_b32_e32 v15, v15, v19
	v_xor_b32_e32 v19, vcc_hi, v4
	v_xor_b32_e32 v4, vcc_lo, v4
	v_and_b32_e32 v13, v13, v4
	v_lshlrev_b32_e32 v4, 26, v12
	v_cmp_gt_i64_e32 vcc, 0, v[3:4]
	v_not_b32_e32 v4, v4
	v_ashrrev_i32_e32 v4, 31, v4
	v_and_b32_e32 v15, v15, v19
	v_xor_b32_e32 v19, vcc_hi, v4
	v_xor_b32_e32 v4, vcc_lo, v4
	v_and_b32_e32 v13, v13, v4
	v_lshlrev_b32_e32 v4, 25, v12
	v_cmp_gt_i64_e32 vcc, 0, v[3:4]
	v_not_b32_e32 v4, v4
	v_ashrrev_i32_e32 v4, 31, v4
	v_and_b32_e32 v15, v15, v19
	v_xor_b32_e32 v19, vcc_hi, v4
	v_xor_b32_e32 v4, vcc_lo, v4
	v_and_b32_e32 v15, v15, v19
	v_and_b32_e32 v19, v13, v4
	v_lshlrev_b32_e32 v4, 24, v12
	v_cmp_gt_i64_e32 vcc, 0, v[3:4]
	v_not_b32_e32 v4, v4
	v_ashrrev_i32_e32 v4, 31, v4
	v_mul_u32_u24_e32 v14, 20, v12
	v_xor_b32_e32 v12, vcc_hi, v4
	v_xor_b32_e32 v4, vcc_lo, v4
	v_and_b32_e32 v13, v15, v12
	v_and_b32_e32 v12, v19, v4
	v_mbcnt_lo_u32_b32 v4, v12, 0
	v_mbcnt_hi_u32_b32 v128, v13, v4
	v_cmp_ne_u64_e32 vcc, 0, v[12:13]
	v_cmp_eq_u32_e64 s[38:39], 0, v128
	s_and_b64 s[40:41], vcc, s[38:39]
	v_add_u32_e32 v4, v100, v14
	; wave barrier
	s_and_saveexec_b64 s[38:39], s[40:41]
	s_cbranch_execz .LBB1330_258
; %bb.257:                              ;   in Loop: Header=BB1330_228 Depth=2
	v_bcnt_u32_b32 v12, v12, 0
	v_bcnt_u32_b32 v12, v13, v12
	s_waitcnt lgkmcnt(0)
	v_add_u32_e32 v12, v127, v12
	ds_write_b32 v4, v12 offset:1040
.LBB1330_258:                           ;   in Loop: Header=BB1330_228 Depth=2
	s_or_b64 exec, exec, s[38:39]
	; wave barrier
	s_waitcnt lgkmcnt(0)
	s_barrier
	ds_read2_b32 v[14:15], v104 offset1:1
	ds_read2_b32 v[12:13], v103 offset1:1
	ds_read_b32 v19, v49 offset:1056
	s_waitcnt lgkmcnt(1)
	v_add3_u32 v129, v15, v14, v12
	s_waitcnt lgkmcnt(0)
	v_add3_u32 v19, v129, v13, v19
	s_nop 1
	v_mov_b32_dpp v129, v19 row_shr:1 row_mask:0xf bank_mask:0xf
	v_cndmask_b32_e64 v129, v129, 0, s[18:19]
	v_add_u32_e32 v19, v129, v19
	s_nop 1
	v_mov_b32_dpp v129, v19 row_shr:2 row_mask:0xf bank_mask:0xf
	v_cndmask_b32_e64 v129, 0, v129, s[20:21]
	v_add_u32_e32 v19, v19, v129
	;; [unrolled: 4-line block ×4, first 2 shown]
	s_nop 1
	v_mov_b32_dpp v129, v19 row_bcast:15 row_mask:0xf bank_mask:0xf
	v_cndmask_b32_e64 v129, v129, 0, s[26:27]
	v_add_u32_e32 v19, v19, v129
	s_nop 1
	v_mov_b32_dpp v129, v19 row_bcast:31 row_mask:0xf bank_mask:0xf
	v_cndmask_b32_e64 v129, 0, v129, s[28:29]
	v_add_u32_e32 v19, v19, v129
	s_and_saveexec_b64 s[38:39], s[8:9]
; %bb.259:                              ;   in Loop: Header=BB1330_228 Depth=2
	ds_write_b32 v44, v19 offset:1024
; %bb.260:                              ;   in Loop: Header=BB1330_228 Depth=2
	s_or_b64 exec, exec, s[38:39]
	s_waitcnt lgkmcnt(0)
	s_barrier
	s_and_saveexec_b64 s[38:39], s[10:11]
	s_cbranch_execz .LBB1330_262
; %bb.261:                              ;   in Loop: Header=BB1330_228 Depth=2
	ds_read_b32 v129, v50 offset:1024
	s_waitcnt lgkmcnt(0)
	s_nop 0
	v_mov_b32_dpp v130, v129 row_shr:1 row_mask:0xf bank_mask:0xf
	v_cndmask_b32_e64 v130, v130, 0, s[34:35]
	v_add_u32_e32 v129, v130, v129
	s_nop 1
	v_mov_b32_dpp v130, v129 row_shr:2 row_mask:0xf bank_mask:0xf
	v_cndmask_b32_e64 v130, 0, v130, s[36:37]
	v_add_u32_e32 v129, v129, v130
	ds_write_b32 v50, v129 offset:1024
.LBB1330_262:                           ;   in Loop: Header=BB1330_228 Depth=2
	s_or_b64 exec, exec, s[38:39]
	v_mov_b32_e32 v129, 0
	s_waitcnt lgkmcnt(0)
	s_barrier
	s_and_saveexec_b64 s[38:39], s[12:13]
; %bb.263:                              ;   in Loop: Header=BB1330_228 Depth=2
	ds_read_b32 v129, v44 offset:1020
; %bb.264:                              ;   in Loop: Header=BB1330_228 Depth=2
	s_or_b64 exec, exec, s[38:39]
	s_waitcnt lgkmcnt(0)
	v_add_u32_e32 v19, v129, v19
	ds_bpermute_b32 v19, v79, v19
	s_waitcnt lgkmcnt(0)
	v_cndmask_b32_e64 v19, v19, v129, s[30:31]
	v_cndmask_b32_e64 v19, v19, 0, s[14:15]
	v_add_u32_e32 v14, v19, v14
	v_add_u32_e32 v15, v14, v15
	;; [unrolled: 1-line block ×4, first 2 shown]
	ds_write2_b32 v104, v19, v14 offset1:1
	ds_write2_b32 v103, v15, v12 offset1:1
	ds_write_b32 v49, v13 offset:1056
	s_waitcnt lgkmcnt(0)
	s_barrier
	ds_read_b32 v12, v106 offset:1040
	ds_read_b32 v13, v110 offset:1040
	;; [unrolled: 1-line block ×9, first 2 shown]
	v_mov_b32_e32 v4, 0x800
	s_and_saveexec_b64 s[38:39], s[16:17]
; %bb.265:                              ;   in Loop: Header=BB1330_228 Depth=2
	ds_read_b32 v4, v49 offset:1060
; %bb.266:                              ;   in Loop: Header=BB1330_228 Depth=2
	s_or_b64 exec, exec, s[38:39]
	s_waitcnt lgkmcnt(0)
	s_barrier
	s_and_saveexec_b64 s[38:39], s[4:5]
	s_cbranch_execz .LBB1330_268
; %bb.267:                              ;   in Loop: Header=BB1330_228 Depth=2
	ds_read_b32 v18, v32
	s_waitcnt lgkmcnt(0)
	v_sub_u32_e32 v17, v18, v17
	ds_write_b32 v32, v17
.LBB1330_268:                           ;   in Loop: Header=BB1330_228 Depth=2
	s_or_b64 exec, exec, s[38:39]
	v_add_u32_e32 v103, v12, v105
	v_add3_u32 v31, v107, v31, v13
	v_lshlrev_b32_e32 v12, 2, v103
	v_add3_u32 v19, v111, v109, v14
	ds_write_b32 v12, v102 offset:1024
	v_lshlrev_b32_e32 v12, 2, v31
	v_add3_u32 v18, v115, v113, v15
	ds_write_b32 v12, v30 offset:1024
	;; [unrolled: 3-line block ×6, first 2 shown]
	v_lshlrev_b32_e32 v12, 2, v15
	ds_write_b32 v12, v123 offset:1024
	v_lshlrev_b32_e32 v12, 2, v14
	v_cmp_lt_u32_e32 vcc, v0, v101
	ds_write_b32 v12, v126 offset:1024
	s_waitcnt lgkmcnt(0)
	s_barrier
	s_and_saveexec_b64 s[40:41], vcc
	s_cbranch_execnz .LBB1330_305
; %bb.269:                              ;   in Loop: Header=BB1330_228 Depth=2
	s_or_b64 exec, exec, s[40:41]
	v_cmp_lt_u32_e64 s[38:39], v33, v101
	s_and_saveexec_b64 s[42:43], s[38:39]
	s_cbranch_execnz .LBB1330_306
.LBB1330_270:                           ;   in Loop: Header=BB1330_228 Depth=2
	s_or_b64 exec, exec, s[42:43]
	v_cmp_lt_u32_e64 s[40:41], v34, v101
	s_and_saveexec_b64 s[44:45], s[40:41]
	s_cbranch_execnz .LBB1330_307
.LBB1330_271:                           ;   in Loop: Header=BB1330_228 Depth=2
	s_or_b64 exec, exec, s[44:45]
	v_cmp_lt_u32_e64 s[42:43], v35, v101
	s_and_saveexec_b64 s[46:47], s[42:43]
	s_cbranch_execnz .LBB1330_308
.LBB1330_272:                           ;   in Loop: Header=BB1330_228 Depth=2
	s_or_b64 exec, exec, s[46:47]
	v_cmp_lt_u32_e64 s[44:45], v38, v101
	s_and_saveexec_b64 s[48:49], s[44:45]
	s_cbranch_execnz .LBB1330_309
.LBB1330_273:                           ;   in Loop: Header=BB1330_228 Depth=2
	s_or_b64 exec, exec, s[48:49]
	v_cmp_lt_u32_e64 s[46:47], v39, v101
	s_and_saveexec_b64 s[50:51], s[46:47]
	s_cbranch_execnz .LBB1330_310
.LBB1330_274:                           ;   in Loop: Header=BB1330_228 Depth=2
	s_or_b64 exec, exec, s[50:51]
	v_cmp_lt_u32_e64 s[48:49], v40, v101
	s_and_saveexec_b64 s[52:53], s[48:49]
	s_cbranch_execnz .LBB1330_311
.LBB1330_275:                           ;   in Loop: Header=BB1330_228 Depth=2
	s_or_b64 exec, exec, s[52:53]
	v_cmp_lt_u32_e64 s[50:51], v41, v101
	s_and_saveexec_b64 s[60:61], s[50:51]
	s_cbranch_execz .LBB1330_277
.LBB1330_276:                           ;   in Loop: Header=BB1330_228 Depth=2
	ds_read_b32 v12, v50 offset:8192
	v_mov_b32_e32 v13, v3
	v_mov_b32_e32 v102, s69
	s_waitcnt lgkmcnt(0)
	v_cmp_ne_u32_e64 s[52:53], s7, v12
	v_cndmask_b32_e64 v30, v73, v12, s[52:53]
	v_lshrrev_b32_e32 v30, s62, v30
	v_and_b32_e32 v30, s63, v30
	v_lshlrev_b32_e32 v30, 2, v30
	ds_read_b32 v30, v30
	v_cmp_gt_i32_e64 s[52:53], 0, v12
	v_cndmask_b32_e64 v104, v73, 0, s[52:53]
	v_xor_b32_e32 v104, v104, v12
	s_waitcnt lgkmcnt(0)
	v_add_u32_e32 v12, v30, v41
	v_lshlrev_b64 v[12:13], 2, v[12:13]
	v_add_co_u32_e64 v12, s[52:53], s68, v12
	v_addc_co_u32_e64 v13, s[52:53], v102, v13, s[52:53]
	global_store_dword v[12:13], v104, off
.LBB1330_277:                           ;   in Loop: Header=BB1330_228 Depth=2
	s_or_b64 exec, exec, s[60:61]
	s_lshl_b64 s[52:53], s[58:59], 3
	v_mov_b32_e32 v13, s53
	v_add_co_u32_e64 v12, s[52:53], s52, v87
	v_addc_co_u32_e64 v13, s[52:53], v89, v13, s[52:53]
	v_cmp_lt_u32_e64 s[52:53], v84, v101
	s_and_saveexec_b64 s[60:61], s[52:53]
	s_xor_b64 s[52:53], exec, s[60:61]
	s_cbranch_execnz .LBB1330_312
; %bb.278:                              ;   in Loop: Header=BB1330_228 Depth=2
	s_or_b64 exec, exec, s[52:53]
	v_cmp_lt_u32_e64 s[52:53], v91, v101
	s_and_saveexec_b64 s[60:61], s[52:53]
	s_cbranch_execnz .LBB1330_313
.LBB1330_279:                           ;   in Loop: Header=BB1330_228 Depth=2
	s_or_b64 exec, exec, s[60:61]
	v_cmp_lt_u32_e64 s[52:53], v92, v101
	s_and_saveexec_b64 s[60:61], s[52:53]
	s_cbranch_execnz .LBB1330_314
.LBB1330_280:                           ;   in Loop: Header=BB1330_228 Depth=2
	s_or_b64 exec, exec, s[60:61]
	v_cmp_lt_u32_e64 s[52:53], v93, v101
	s_and_saveexec_b64 s[60:61], s[52:53]
	s_cbranch_execnz .LBB1330_315
.LBB1330_281:                           ;   in Loop: Header=BB1330_228 Depth=2
	s_or_b64 exec, exec, s[60:61]
	v_cmp_lt_u32_e64 s[52:53], v94, v101
	s_and_saveexec_b64 s[60:61], s[52:53]
	s_cbranch_execnz .LBB1330_316
.LBB1330_282:                           ;   in Loop: Header=BB1330_228 Depth=2
	s_or_b64 exec, exec, s[60:61]
	v_cmp_lt_u32_e64 s[52:53], v95, v101
	s_and_saveexec_b64 s[60:61], s[52:53]
	s_cbranch_execnz .LBB1330_317
.LBB1330_283:                           ;   in Loop: Header=BB1330_228 Depth=2
	s_or_b64 exec, exec, s[60:61]
	v_cmp_lt_u32_e64 s[52:53], v96, v101
	s_and_saveexec_b64 s[60:61], s[52:53]
	s_cbranch_execnz .LBB1330_318
.LBB1330_284:                           ;   in Loop: Header=BB1330_228 Depth=2
	s_or_b64 exec, exec, s[60:61]
	v_cmp_lt_u32_e64 s[52:53], v97, v101
	s_and_saveexec_b64 s[60:61], s[52:53]
	s_cbranch_execnz .LBB1330_319
.LBB1330_285:                           ;   in Loop: Header=BB1330_228 Depth=2
	s_or_b64 exec, exec, s[60:61]
	s_and_saveexec_b64 s[60:61], vcc
	s_cbranch_execnz .LBB1330_320
.LBB1330_286:                           ;   in Loop: Header=BB1330_228 Depth=2
	s_or_b64 exec, exec, s[60:61]
	s_and_saveexec_b64 s[60:61], s[38:39]
	s_cbranch_execnz .LBB1330_321
.LBB1330_287:                           ;   in Loop: Header=BB1330_228 Depth=2
	s_or_b64 exec, exec, s[60:61]
	s_and_saveexec_b64 s[60:61], s[40:41]
	s_cbranch_execnz .LBB1330_322
.LBB1330_288:                           ;   in Loop: Header=BB1330_228 Depth=2
	s_or_b64 exec, exec, s[60:61]
	s_and_saveexec_b64 s[60:61], s[42:43]
	s_cbranch_execnz .LBB1330_323
.LBB1330_289:                           ;   in Loop: Header=BB1330_228 Depth=2
	s_or_b64 exec, exec, s[60:61]
	s_and_saveexec_b64 s[60:61], s[44:45]
	s_cbranch_execnz .LBB1330_324
.LBB1330_290:                           ;   in Loop: Header=BB1330_228 Depth=2
	s_or_b64 exec, exec, s[60:61]
	s_and_saveexec_b64 s[60:61], s[46:47]
	s_cbranch_execnz .LBB1330_325
.LBB1330_291:                           ;   in Loop: Header=BB1330_228 Depth=2
	s_or_b64 exec, exec, s[60:61]
	s_and_saveexec_b64 s[60:61], s[48:49]
	s_cbranch_execnz .LBB1330_326
.LBB1330_292:                           ;   in Loop: Header=BB1330_228 Depth=2
	s_or_b64 exec, exec, s[60:61]
	s_and_saveexec_b64 s[60:61], s[50:51]
	s_cbranch_execz .LBB1330_294
.LBB1330_293:                           ;   in Loop: Header=BB1330_228 Depth=2
	ds_read_b32 v12, v50 offset:8192
	s_waitcnt lgkmcnt(0)
	v_cmp_ne_u32_e64 s[52:53], s7, v12
	v_cndmask_b32_e64 v12, v73, v12, s[52:53]
	v_lshrrev_b32_e32 v12, s62, v12
	v_and_b32_e32 v80, s63, v12
.LBB1330_294:                           ;   in Loop: Header=BB1330_228 Depth=2
	s_or_b64 exec, exec, s[60:61]
	v_lshlrev_b32_e32 v12, 3, v103
	s_waitcnt vmcnt(0)
	s_barrier
	ds_write_b64 v12, v[28:29] offset:1024
	v_lshlrev_b32_e32 v12, 3, v31
	ds_write_b64 v12, v[26:27] offset:1024
	v_lshlrev_b32_e32 v12, 3, v19
	ds_write_b64 v12, v[24:25] offset:1024
	v_lshlrev_b32_e32 v12, 3, v18
	ds_write_b64 v12, v[22:23] offset:1024
	v_lshlrev_b32_e32 v12, 3, v17
	ds_write_b64 v12, v[20:21] offset:1024
	v_lshlrev_b32_e32 v12, 3, v16
	ds_write_b64 v12, v[9:10] offset:1024
	v_lshlrev_b32_e32 v12, 3, v15
	ds_write_b64 v12, v[7:8] offset:1024
	v_lshlrev_b32_e32 v12, 3, v14
	ds_write_b64 v12, v[5:6] offset:1024
	s_waitcnt lgkmcnt(0)
	s_barrier
	s_and_saveexec_b64 s[52:53], vcc
	s_cbranch_execnz .LBB1330_327
; %bb.295:                              ;   in Loop: Header=BB1330_228 Depth=2
	s_or_b64 exec, exec, s[52:53]
	s_and_saveexec_b64 s[52:53], s[38:39]
	s_cbranch_execnz .LBB1330_328
.LBB1330_296:                           ;   in Loop: Header=BB1330_228 Depth=2
	s_or_b64 exec, exec, s[52:53]
	s_and_saveexec_b64 s[38:39], s[40:41]
	s_cbranch_execnz .LBB1330_329
.LBB1330_297:                           ;   in Loop: Header=BB1330_228 Depth=2
	s_or_b64 exec, exec, s[38:39]
	s_and_saveexec_b64 s[38:39], s[42:43]
	s_cbranch_execnz .LBB1330_330
.LBB1330_298:                           ;   in Loop: Header=BB1330_228 Depth=2
	s_or_b64 exec, exec, s[38:39]
	s_and_saveexec_b64 s[38:39], s[44:45]
	s_cbranch_execnz .LBB1330_331
.LBB1330_299:                           ;   in Loop: Header=BB1330_228 Depth=2
	s_or_b64 exec, exec, s[38:39]
	s_and_saveexec_b64 s[38:39], s[46:47]
	s_cbranch_execnz .LBB1330_332
.LBB1330_300:                           ;   in Loop: Header=BB1330_228 Depth=2
	s_or_b64 exec, exec, s[38:39]
	s_and_saveexec_b64 s[38:39], s[48:49]
	s_cbranch_execnz .LBB1330_333
.LBB1330_301:                           ;   in Loop: Header=BB1330_228 Depth=2
	s_or_b64 exec, exec, s[38:39]
	s_and_saveexec_b64 s[38:39], s[50:51]
	s_cbranch_execz .LBB1330_303
.LBB1330_302:                           ;   in Loop: Header=BB1330_228 Depth=2
	v_lshlrev_b32_e32 v12, 2, v80
	ds_read_b32 v14, v12
	v_add_u32_e32 v12, v50, v32
	ds_read_b64 v[12:13], v12 offset:15360
	v_mov_b32_e32 v15, v3
	v_mov_b32_e32 v16, s75
	s_waitcnt lgkmcnt(1)
	v_add_u32_e32 v14, v14, v41
	v_lshlrev_b64 v[14:15], 3, v[14:15]
	v_add_co_u32_e32 v14, vcc, s74, v14
	v_addc_co_u32_e32 v15, vcc, v16, v15, vcc
	s_waitcnt lgkmcnt(0)
	global_store_dwordx2 v[14:15], v[12:13], off
.LBB1330_303:                           ;   in Loop: Header=BB1330_228 Depth=2
	s_or_b64 exec, exec, s[38:39]
	s_waitcnt vmcnt(0)
	s_barrier
	s_and_saveexec_b64 s[38:39], s[4:5]
	s_cbranch_execz .LBB1330_227
; %bb.304:                              ;   in Loop: Header=BB1330_228 Depth=2
	ds_read_b32 v12, v32
	s_waitcnt lgkmcnt(0)
	v_add_u32_e32 v4, v12, v4
	ds_write_b32 v32, v4
	s_branch .LBB1330_227
.LBB1330_305:                           ;   in Loop: Header=BB1330_228 Depth=2
	ds_read_b32 v12, v50 offset:1024
	v_mov_b32_e32 v13, v3
	v_mov_b32_e32 v102, s69
	s_waitcnt lgkmcnt(0)
	v_cmp_ne_u32_e64 s[38:39], s7, v12
	v_cndmask_b32_e64 v30, v73, v12, s[38:39]
	v_lshrrev_b32_e32 v30, s62, v30
	v_and_b32_e32 v30, s63, v30
	v_lshlrev_b32_e32 v30, 2, v30
	ds_read_b32 v30, v30
	v_cmp_gt_i32_e64 s[38:39], 0, v12
	v_cndmask_b32_e64 v104, v73, 0, s[38:39]
	v_xor_b32_e32 v104, v104, v12
	s_waitcnt lgkmcnt(0)
	v_add_u32_e32 v12, v30, v0
	v_lshlrev_b64 v[12:13], 2, v[12:13]
	v_add_co_u32_e64 v12, s[38:39], s68, v12
	v_addc_co_u32_e64 v13, s[38:39], v102, v13, s[38:39]
	global_store_dword v[12:13], v104, off
	s_or_b64 exec, exec, s[40:41]
	v_cmp_lt_u32_e64 s[38:39], v33, v101
	s_and_saveexec_b64 s[42:43], s[38:39]
	s_cbranch_execz .LBB1330_270
.LBB1330_306:                           ;   in Loop: Header=BB1330_228 Depth=2
	ds_read_b32 v12, v50 offset:2048
	v_mov_b32_e32 v13, v3
	v_mov_b32_e32 v102, s69
	s_waitcnt lgkmcnt(0)
	v_cmp_ne_u32_e64 s[40:41], s7, v12
	v_cndmask_b32_e64 v30, v73, v12, s[40:41]
	v_lshrrev_b32_e32 v30, s62, v30
	v_and_b32_e32 v30, s63, v30
	v_lshlrev_b32_e32 v30, 2, v30
	ds_read_b32 v30, v30
	v_cmp_gt_i32_e64 s[40:41], 0, v12
	v_cndmask_b32_e64 v104, v73, 0, s[40:41]
	v_xor_b32_e32 v104, v104, v12
	s_waitcnt lgkmcnt(0)
	v_add_u32_e32 v12, v30, v33
	v_lshlrev_b64 v[12:13], 2, v[12:13]
	v_add_co_u32_e64 v12, s[40:41], s68, v12
	v_addc_co_u32_e64 v13, s[40:41], v102, v13, s[40:41]
	global_store_dword v[12:13], v104, off
	s_or_b64 exec, exec, s[42:43]
	v_cmp_lt_u32_e64 s[40:41], v34, v101
	s_and_saveexec_b64 s[44:45], s[40:41]
	s_cbranch_execz .LBB1330_271
.LBB1330_307:                           ;   in Loop: Header=BB1330_228 Depth=2
	ds_read_b32 v12, v50 offset:3072
	v_mov_b32_e32 v13, v3
	v_mov_b32_e32 v102, s69
	s_waitcnt lgkmcnt(0)
	v_cmp_ne_u32_e64 s[42:43], s7, v12
	v_cndmask_b32_e64 v30, v73, v12, s[42:43]
	v_lshrrev_b32_e32 v30, s62, v30
	v_and_b32_e32 v30, s63, v30
	v_lshlrev_b32_e32 v30, 2, v30
	ds_read_b32 v30, v30
	v_cmp_gt_i32_e64 s[42:43], 0, v12
	v_cndmask_b32_e64 v104, v73, 0, s[42:43]
	v_xor_b32_e32 v104, v104, v12
	s_waitcnt lgkmcnt(0)
	v_add_u32_e32 v12, v30, v34
	v_lshlrev_b64 v[12:13], 2, v[12:13]
	v_add_co_u32_e64 v12, s[42:43], s68, v12
	v_addc_co_u32_e64 v13, s[42:43], v102, v13, s[42:43]
	global_store_dword v[12:13], v104, off
	s_or_b64 exec, exec, s[44:45]
	v_cmp_lt_u32_e64 s[42:43], v35, v101
	s_and_saveexec_b64 s[46:47], s[42:43]
	s_cbranch_execz .LBB1330_272
.LBB1330_308:                           ;   in Loop: Header=BB1330_228 Depth=2
	ds_read_b32 v12, v50 offset:4096
	v_mov_b32_e32 v13, v3
	v_mov_b32_e32 v102, s69
	s_waitcnt lgkmcnt(0)
	v_cmp_ne_u32_e64 s[44:45], s7, v12
	v_cndmask_b32_e64 v30, v73, v12, s[44:45]
	v_lshrrev_b32_e32 v30, s62, v30
	v_and_b32_e32 v30, s63, v30
	v_lshlrev_b32_e32 v30, 2, v30
	ds_read_b32 v30, v30
	v_cmp_gt_i32_e64 s[44:45], 0, v12
	v_cndmask_b32_e64 v104, v73, 0, s[44:45]
	v_xor_b32_e32 v104, v104, v12
	s_waitcnt lgkmcnt(0)
	v_add_u32_e32 v12, v30, v35
	v_lshlrev_b64 v[12:13], 2, v[12:13]
	v_add_co_u32_e64 v12, s[44:45], s68, v12
	v_addc_co_u32_e64 v13, s[44:45], v102, v13, s[44:45]
	global_store_dword v[12:13], v104, off
	s_or_b64 exec, exec, s[46:47]
	v_cmp_lt_u32_e64 s[44:45], v38, v101
	s_and_saveexec_b64 s[48:49], s[44:45]
	s_cbranch_execz .LBB1330_273
.LBB1330_309:                           ;   in Loop: Header=BB1330_228 Depth=2
	ds_read_b32 v12, v50 offset:5120
	v_mov_b32_e32 v13, v3
	v_mov_b32_e32 v102, s69
	s_waitcnt lgkmcnt(0)
	v_cmp_ne_u32_e64 s[46:47], s7, v12
	v_cndmask_b32_e64 v30, v73, v12, s[46:47]
	v_lshrrev_b32_e32 v30, s62, v30
	v_and_b32_e32 v30, s63, v30
	v_lshlrev_b32_e32 v30, 2, v30
	ds_read_b32 v30, v30
	v_cmp_gt_i32_e64 s[46:47], 0, v12
	v_cndmask_b32_e64 v104, v73, 0, s[46:47]
	v_xor_b32_e32 v104, v104, v12
	s_waitcnt lgkmcnt(0)
	v_add_u32_e32 v12, v30, v38
	v_lshlrev_b64 v[12:13], 2, v[12:13]
	v_add_co_u32_e64 v12, s[46:47], s68, v12
	v_addc_co_u32_e64 v13, s[46:47], v102, v13, s[46:47]
	global_store_dword v[12:13], v104, off
	s_or_b64 exec, exec, s[48:49]
	v_cmp_lt_u32_e64 s[46:47], v39, v101
	s_and_saveexec_b64 s[50:51], s[46:47]
	s_cbranch_execz .LBB1330_274
.LBB1330_310:                           ;   in Loop: Header=BB1330_228 Depth=2
	ds_read_b32 v12, v50 offset:6144
	v_mov_b32_e32 v13, v3
	v_mov_b32_e32 v102, s69
	s_waitcnt lgkmcnt(0)
	v_cmp_ne_u32_e64 s[48:49], s7, v12
	v_cndmask_b32_e64 v30, v73, v12, s[48:49]
	v_lshrrev_b32_e32 v30, s62, v30
	v_and_b32_e32 v30, s63, v30
	v_lshlrev_b32_e32 v30, 2, v30
	ds_read_b32 v30, v30
	v_cmp_gt_i32_e64 s[48:49], 0, v12
	v_cndmask_b32_e64 v104, v73, 0, s[48:49]
	v_xor_b32_e32 v104, v104, v12
	s_waitcnt lgkmcnt(0)
	v_add_u32_e32 v12, v30, v39
	v_lshlrev_b64 v[12:13], 2, v[12:13]
	v_add_co_u32_e64 v12, s[48:49], s68, v12
	v_addc_co_u32_e64 v13, s[48:49], v102, v13, s[48:49]
	global_store_dword v[12:13], v104, off
	s_or_b64 exec, exec, s[50:51]
	v_cmp_lt_u32_e64 s[48:49], v40, v101
	s_and_saveexec_b64 s[52:53], s[48:49]
	s_cbranch_execz .LBB1330_275
.LBB1330_311:                           ;   in Loop: Header=BB1330_228 Depth=2
	ds_read_b32 v12, v50 offset:7168
	v_mov_b32_e32 v13, v3
	v_mov_b32_e32 v102, s69
	s_waitcnt lgkmcnt(0)
	v_cmp_ne_u32_e64 s[50:51], s7, v12
	v_cndmask_b32_e64 v30, v73, v12, s[50:51]
	v_lshrrev_b32_e32 v30, s62, v30
	v_and_b32_e32 v30, s63, v30
	v_lshlrev_b32_e32 v30, 2, v30
	ds_read_b32 v30, v30
	v_cmp_gt_i32_e64 s[50:51], 0, v12
	v_cndmask_b32_e64 v104, v73, 0, s[50:51]
	v_xor_b32_e32 v104, v104, v12
	s_waitcnt lgkmcnt(0)
	v_add_u32_e32 v12, v30, v40
	v_lshlrev_b64 v[12:13], 2, v[12:13]
	v_add_co_u32_e64 v12, s[50:51], s68, v12
	v_addc_co_u32_e64 v13, s[50:51], v102, v13, s[50:51]
	global_store_dword v[12:13], v104, off
	s_or_b64 exec, exec, s[52:53]
	v_cmp_lt_u32_e64 s[50:51], v41, v101
	s_and_saveexec_b64 s[60:61], s[50:51]
	s_cbranch_execnz .LBB1330_276
	s_branch .LBB1330_277
.LBB1330_312:                           ;   in Loop: Header=BB1330_228 Depth=2
	global_load_dwordx2 v[28:29], v[12:13], off
	s_or_b64 exec, exec, s[52:53]
	v_cmp_lt_u32_e64 s[52:53], v91, v101
	s_and_saveexec_b64 s[60:61], s[52:53]
	s_cbranch_execz .LBB1330_279
.LBB1330_313:                           ;   in Loop: Header=BB1330_228 Depth=2
	global_load_dwordx2 v[26:27], v[12:13], off offset:512
	s_or_b64 exec, exec, s[60:61]
	v_cmp_lt_u32_e64 s[52:53], v92, v101
	s_and_saveexec_b64 s[60:61], s[52:53]
	s_cbranch_execz .LBB1330_280
.LBB1330_314:                           ;   in Loop: Header=BB1330_228 Depth=2
	global_load_dwordx2 v[24:25], v[12:13], off offset:1024
	s_or_b64 exec, exec, s[60:61]
	v_cmp_lt_u32_e64 s[52:53], v93, v101
	s_and_saveexec_b64 s[60:61], s[52:53]
	s_cbranch_execz .LBB1330_281
.LBB1330_315:                           ;   in Loop: Header=BB1330_228 Depth=2
	global_load_dwordx2 v[22:23], v[12:13], off offset:1536
	s_or_b64 exec, exec, s[60:61]
	v_cmp_lt_u32_e64 s[52:53], v94, v101
	s_and_saveexec_b64 s[60:61], s[52:53]
	s_cbranch_execz .LBB1330_282
.LBB1330_316:                           ;   in Loop: Header=BB1330_228 Depth=2
	global_load_dwordx2 v[20:21], v[12:13], off offset:2048
	s_or_b64 exec, exec, s[60:61]
	v_cmp_lt_u32_e64 s[52:53], v95, v101
	s_and_saveexec_b64 s[60:61], s[52:53]
	s_cbranch_execz .LBB1330_283
.LBB1330_317:                           ;   in Loop: Header=BB1330_228 Depth=2
	global_load_dwordx2 v[9:10], v[12:13], off offset:2560
	s_or_b64 exec, exec, s[60:61]
	v_cmp_lt_u32_e64 s[52:53], v96, v101
	s_and_saveexec_b64 s[60:61], s[52:53]
	s_cbranch_execz .LBB1330_284
.LBB1330_318:                           ;   in Loop: Header=BB1330_228 Depth=2
	global_load_dwordx2 v[7:8], v[12:13], off offset:3072
	s_or_b64 exec, exec, s[60:61]
	v_cmp_lt_u32_e64 s[52:53], v97, v101
	s_and_saveexec_b64 s[60:61], s[52:53]
	s_cbranch_execz .LBB1330_285
.LBB1330_319:                           ;   in Loop: Header=BB1330_228 Depth=2
	global_load_dwordx2 v[5:6], v[12:13], off offset:3584
	s_or_b64 exec, exec, s[60:61]
	s_and_saveexec_b64 s[60:61], vcc
	s_cbranch_execz .LBB1330_286
.LBB1330_320:                           ;   in Loop: Header=BB1330_228 Depth=2
	ds_read_b32 v12, v50 offset:1024
	s_waitcnt lgkmcnt(0)
	v_cmp_ne_u32_e64 s[52:53], s7, v12
	v_cndmask_b32_e64 v12, v73, v12, s[52:53]
	v_lshrrev_b32_e32 v12, s62, v12
	v_and_b32_e32 v90, s63, v12
	s_or_b64 exec, exec, s[60:61]
	s_and_saveexec_b64 s[60:61], s[38:39]
	s_cbranch_execz .LBB1330_287
.LBB1330_321:                           ;   in Loop: Header=BB1330_228 Depth=2
	ds_read_b32 v12, v50 offset:2048
	s_waitcnt lgkmcnt(0)
	v_cmp_ne_u32_e64 s[52:53], s7, v12
	v_cndmask_b32_e64 v12, v73, v12, s[52:53]
	v_lshrrev_b32_e32 v12, s62, v12
	v_and_b32_e32 v88, s63, v12
	s_or_b64 exec, exec, s[60:61]
	s_and_saveexec_b64 s[60:61], s[40:41]
	s_cbranch_execz .LBB1330_288
.LBB1330_322:                           ;   in Loop: Header=BB1330_228 Depth=2
	ds_read_b32 v12, v50 offset:3072
	s_waitcnt lgkmcnt(0)
	v_cmp_ne_u32_e64 s[52:53], s7, v12
	v_cndmask_b32_e64 v12, v73, v12, s[52:53]
	v_lshrrev_b32_e32 v12, s62, v12
	v_and_b32_e32 v86, s63, v12
	s_or_b64 exec, exec, s[60:61]
	s_and_saveexec_b64 s[60:61], s[42:43]
	s_cbranch_execz .LBB1330_289
.LBB1330_323:                           ;   in Loop: Header=BB1330_228 Depth=2
	ds_read_b32 v12, v50 offset:4096
	s_waitcnt lgkmcnt(0)
	v_cmp_ne_u32_e64 s[52:53], s7, v12
	v_cndmask_b32_e64 v12, v73, v12, s[52:53]
	v_lshrrev_b32_e32 v12, s62, v12
	v_and_b32_e32 v85, s63, v12
	s_or_b64 exec, exec, s[60:61]
	s_and_saveexec_b64 s[60:61], s[44:45]
	s_cbranch_execz .LBB1330_290
.LBB1330_324:                           ;   in Loop: Header=BB1330_228 Depth=2
	ds_read_b32 v12, v50 offset:5120
	s_waitcnt lgkmcnt(0)
	v_cmp_ne_u32_e64 s[52:53], s7, v12
	v_cndmask_b32_e64 v12, v73, v12, s[52:53]
	v_lshrrev_b32_e32 v12, s62, v12
	v_and_b32_e32 v83, s63, v12
	s_or_b64 exec, exec, s[60:61]
	s_and_saveexec_b64 s[60:61], s[46:47]
	s_cbranch_execz .LBB1330_291
.LBB1330_325:                           ;   in Loop: Header=BB1330_228 Depth=2
	ds_read_b32 v12, v50 offset:6144
	s_waitcnt lgkmcnt(0)
	v_cmp_ne_u32_e64 s[52:53], s7, v12
	v_cndmask_b32_e64 v12, v73, v12, s[52:53]
	v_lshrrev_b32_e32 v12, s62, v12
	v_and_b32_e32 v82, s63, v12
	s_or_b64 exec, exec, s[60:61]
	s_and_saveexec_b64 s[60:61], s[48:49]
	s_cbranch_execz .LBB1330_292
.LBB1330_326:                           ;   in Loop: Header=BB1330_228 Depth=2
	ds_read_b32 v12, v50 offset:7168
	s_waitcnt lgkmcnt(0)
	v_cmp_ne_u32_e64 s[52:53], s7, v12
	v_cndmask_b32_e64 v12, v73, v12, s[52:53]
	v_lshrrev_b32_e32 v12, s62, v12
	v_and_b32_e32 v81, s63, v12
	s_or_b64 exec, exec, s[60:61]
	s_and_saveexec_b64 s[60:61], s[50:51]
	s_cbranch_execnz .LBB1330_293
	s_branch .LBB1330_294
.LBB1330_327:                           ;   in Loop: Header=BB1330_228 Depth=2
	v_lshlrev_b32_e32 v12, 2, v90
	ds_read_b32 v14, v12
	v_add_u32_e32 v12, v50, v32
	ds_read_b64 v[12:13], v12 offset:1024
	v_mov_b32_e32 v15, v3
	v_mov_b32_e32 v16, s75
	s_waitcnt lgkmcnt(1)
	v_add_u32_e32 v14, v14, v0
	v_lshlrev_b64 v[14:15], 3, v[14:15]
	v_add_co_u32_e32 v14, vcc, s74, v14
	v_addc_co_u32_e32 v15, vcc, v16, v15, vcc
	s_waitcnt lgkmcnt(0)
	global_store_dwordx2 v[14:15], v[12:13], off
	s_or_b64 exec, exec, s[52:53]
	s_and_saveexec_b64 s[52:53], s[38:39]
	s_cbranch_execz .LBB1330_296
.LBB1330_328:                           ;   in Loop: Header=BB1330_228 Depth=2
	v_lshlrev_b32_e32 v12, 2, v88
	ds_read_b32 v14, v12
	v_add_u32_e32 v12, v50, v32
	ds_read_b64 v[12:13], v12 offset:3072
	v_mov_b32_e32 v15, v3
	v_mov_b32_e32 v16, s75
	s_waitcnt lgkmcnt(1)
	v_add_u32_e32 v14, v14, v33
	v_lshlrev_b64 v[14:15], 3, v[14:15]
	v_add_co_u32_e32 v14, vcc, s74, v14
	v_addc_co_u32_e32 v15, vcc, v16, v15, vcc
	s_waitcnt lgkmcnt(0)
	global_store_dwordx2 v[14:15], v[12:13], off
	s_or_b64 exec, exec, s[52:53]
	s_and_saveexec_b64 s[38:39], s[40:41]
	s_cbranch_execz .LBB1330_297
.LBB1330_329:                           ;   in Loop: Header=BB1330_228 Depth=2
	v_lshlrev_b32_e32 v12, 2, v86
	ds_read_b32 v14, v12
	v_add_u32_e32 v12, v50, v32
	ds_read_b64 v[12:13], v12 offset:5120
	v_mov_b32_e32 v15, v3
	v_mov_b32_e32 v16, s75
	s_waitcnt lgkmcnt(1)
	v_add_u32_e32 v14, v14, v34
	v_lshlrev_b64 v[14:15], 3, v[14:15]
	v_add_co_u32_e32 v14, vcc, s74, v14
	v_addc_co_u32_e32 v15, vcc, v16, v15, vcc
	s_waitcnt lgkmcnt(0)
	global_store_dwordx2 v[14:15], v[12:13], off
	s_or_b64 exec, exec, s[38:39]
	s_and_saveexec_b64 s[38:39], s[42:43]
	s_cbranch_execz .LBB1330_298
.LBB1330_330:                           ;   in Loop: Header=BB1330_228 Depth=2
	v_lshlrev_b32_e32 v12, 2, v85
	ds_read_b32 v14, v12
	v_add_u32_e32 v12, v50, v32
	ds_read_b64 v[12:13], v12 offset:7168
	v_mov_b32_e32 v15, v3
	v_mov_b32_e32 v16, s75
	s_waitcnt lgkmcnt(1)
	v_add_u32_e32 v14, v14, v35
	v_lshlrev_b64 v[14:15], 3, v[14:15]
	v_add_co_u32_e32 v14, vcc, s74, v14
	v_addc_co_u32_e32 v15, vcc, v16, v15, vcc
	s_waitcnt lgkmcnt(0)
	global_store_dwordx2 v[14:15], v[12:13], off
	s_or_b64 exec, exec, s[38:39]
	s_and_saveexec_b64 s[38:39], s[44:45]
	s_cbranch_execz .LBB1330_299
.LBB1330_331:                           ;   in Loop: Header=BB1330_228 Depth=2
	v_lshlrev_b32_e32 v12, 2, v83
	ds_read_b32 v14, v12
	v_add_u32_e32 v12, v50, v32
	ds_read_b64 v[12:13], v12 offset:9216
	v_mov_b32_e32 v15, v3
	v_mov_b32_e32 v16, s75
	s_waitcnt lgkmcnt(1)
	v_add_u32_e32 v14, v14, v38
	v_lshlrev_b64 v[14:15], 3, v[14:15]
	v_add_co_u32_e32 v14, vcc, s74, v14
	v_addc_co_u32_e32 v15, vcc, v16, v15, vcc
	s_waitcnt lgkmcnt(0)
	global_store_dwordx2 v[14:15], v[12:13], off
	s_or_b64 exec, exec, s[38:39]
	s_and_saveexec_b64 s[38:39], s[46:47]
	s_cbranch_execz .LBB1330_300
.LBB1330_332:                           ;   in Loop: Header=BB1330_228 Depth=2
	v_lshlrev_b32_e32 v12, 2, v82
	ds_read_b32 v14, v12
	v_add_u32_e32 v12, v50, v32
	ds_read_b64 v[12:13], v12 offset:11264
	v_mov_b32_e32 v15, v3
	v_mov_b32_e32 v16, s75
	s_waitcnt lgkmcnt(1)
	v_add_u32_e32 v14, v14, v39
	v_lshlrev_b64 v[14:15], 3, v[14:15]
	v_add_co_u32_e32 v14, vcc, s74, v14
	v_addc_co_u32_e32 v15, vcc, v16, v15, vcc
	s_waitcnt lgkmcnt(0)
	global_store_dwordx2 v[14:15], v[12:13], off
	s_or_b64 exec, exec, s[38:39]
	s_and_saveexec_b64 s[38:39], s[48:49]
	s_cbranch_execz .LBB1330_301
.LBB1330_333:                           ;   in Loop: Header=BB1330_228 Depth=2
	v_lshlrev_b32_e32 v12, 2, v81
	ds_read_b32 v14, v12
	v_add_u32_e32 v12, v50, v32
	ds_read_b64 v[12:13], v12 offset:13312
	v_mov_b32_e32 v15, v3
	v_mov_b32_e32 v16, s75
	s_waitcnt lgkmcnt(1)
	v_add_u32_e32 v14, v14, v40
	v_lshlrev_b64 v[14:15], 3, v[14:15]
	v_add_co_u32_e32 v14, vcc, s74, v14
	v_addc_co_u32_e32 v15, vcc, v16, v15, vcc
	s_waitcnt lgkmcnt(0)
	global_store_dwordx2 v[14:15], v[12:13], off
	s_or_b64 exec, exec, s[38:39]
	s_and_saveexec_b64 s[38:39], s[50:51]
	s_cbranch_execnz .LBB1330_302
	s_branch .LBB1330_303
.LBB1330_334:                           ;   in Loop: Header=BB1330_228 Depth=2
	global_load_dword v12, v[30:31], off
	v_mov_b32_e32 v13, v11
	v_mov_b32_e32 v14, v11
	;; [unrolled: 1-line block ×7, first 2 shown]
	s_or_b64 exec, exec, s[38:39]
	v_cmp_gt_u32_e32 vcc, s70, v91
	s_and_saveexec_b64 s[38:39], vcc
	s_cbranch_execz .LBB1330_233
.LBB1330_335:                           ;   in Loop: Header=BB1330_228 Depth=2
	global_load_dword v13, v[30:31], off offset:256
	s_or_b64 exec, exec, s[38:39]
	v_cmp_gt_u32_e32 vcc, s70, v92
	s_and_saveexec_b64 s[38:39], vcc
	s_cbranch_execz .LBB1330_234
.LBB1330_336:                           ;   in Loop: Header=BB1330_228 Depth=2
	global_load_dword v14, v[30:31], off offset:512
	s_or_b64 exec, exec, s[38:39]
	v_cmp_gt_u32_e32 vcc, s70, v93
	s_and_saveexec_b64 s[38:39], vcc
	s_cbranch_execz .LBB1330_235
.LBB1330_337:                           ;   in Loop: Header=BB1330_228 Depth=2
	global_load_dword v15, v[30:31], off offset:768
	s_or_b64 exec, exec, s[38:39]
	v_cmp_gt_u32_e32 vcc, s70, v94
	s_and_saveexec_b64 s[38:39], vcc
	s_cbranch_execz .LBB1330_236
.LBB1330_338:                           ;   in Loop: Header=BB1330_228 Depth=2
	global_load_dword v16, v[30:31], off offset:1024
	s_or_b64 exec, exec, s[38:39]
	v_cmp_gt_u32_e32 vcc, s70, v95
	s_and_saveexec_b64 s[38:39], vcc
	s_cbranch_execz .LBB1330_237
.LBB1330_339:                           ;   in Loop: Header=BB1330_228 Depth=2
	global_load_dword v17, v[30:31], off offset:1280
	s_or_b64 exec, exec, s[38:39]
	v_cmp_gt_u32_e32 vcc, s70, v96
	s_and_saveexec_b64 s[38:39], vcc
	s_cbranch_execnz .LBB1330_238
	s_branch .LBB1330_239
.LBB1330_340:                           ;   in Loop: Header=BB1330_12 Depth=1
	s_waitcnt lgkmcnt(0)
	s_barrier
.LBB1330_341:                           ;   in Loop: Header=BB1330_12 Depth=1
	s_mov_b64 s[18:19], 0
.LBB1330_342:                           ;   in Loop: Header=BB1330_12 Depth=1
	s_andn2_b64 vcc, exec, s[18:19]
	s_cbranch_vccnz .LBB1330_11
; %bb.343:                              ;   in Loop: Header=BB1330_12 Depth=1
	s_mov_b64 s[18:19], -1
	s_and_b64 vcc, exec, s[54:55]
	s_cbranch_vccz .LBB1330_507
; %bb.344:                              ;   in Loop: Header=BB1330_12 Depth=1
	v_mov_b32_e32 v10, v3
	v_mov_b32_e32 v4, v3
	;; [unrolled: 1-line block ×8, first 2 shown]
	s_mov_b32 s22, s79
	s_mov_b32 s58, s80
	v_mov_b32_e32 v18, v9
	v_mov_b32_e32 v17, v8
	;; [unrolled: 1-line block ×7, first 2 shown]
	s_barrier
	s_branch .LBB1330_346
.LBB1330_345:                           ;   in Loop: Header=BB1330_346 Depth=2
	s_or_b64 exec, exec, s[18:19]
	s_addk_i32 s22, 0xf800
	s_cmp_ge_u32 s23, s81
	s_mov_b32 s58, s23
	s_cbranch_scc1 .LBB1330_382
.LBB1330_346:                           ;   Parent Loop BB1330_12 Depth=1
                                        ; =>  This Inner Loop Header: Depth=2
	s_add_i32 s23, s58, 0x800
	s_cmp_gt_u32 s23, s81
	s_mov_b64 s[18:19], -1
                                        ; implicit-def: $vgpr20_vgpr21_vgpr22_vgpr23_vgpr24_vgpr25_vgpr26_vgpr27
	s_cbranch_scc1 .LBB1330_348
; %bb.347:                              ;   in Loop: Header=BB1330_346 Depth=2
	s_lshl_b64 s[18:19], s[58:59], 2
	v_mov_b32_e32 v5, s19
	v_add_co_u32_e32 v4, vcc, s18, v61
	v_addc_co_u32_e32 v5, vcc, v62, v5, vcc
	v_add_co_u32_e32 v6, vcc, 0x1000, v4
	v_addc_co_u32_e32 v7, vcc, 0, v5, vcc
	global_load_dword v20, v[4:5], off
	global_load_dword v21, v[4:5], off offset:1024
	global_load_dword v22, v[4:5], off offset:2048
	;; [unrolled: 1-line block ×3, first 2 shown]
	global_load_dword v24, v[6:7], off
	global_load_dword v25, v[6:7], off offset:1024
	global_load_dword v26, v[6:7], off offset:2048
	;; [unrolled: 1-line block ×3, first 2 shown]
	s_mov_b64 s[18:19], 0
.LBB1330_348:                           ;   in Loop: Header=BB1330_346 Depth=2
	s_andn2_b64 vcc, exec, s[18:19]
	s_movk_i32 s20, 0x800
	s_cbranch_vccnz .LBB1330_359
; %bb.349:                              ;   in Loop: Header=BB1330_346 Depth=2
	s_lshl_b64 s[18:19], s[58:59], 2
	s_add_u32 s18, s64, s18
	s_addc_u32 s19, s65, s19
	v_cmp_gt_u32_e32 vcc, s22, v0
	s_and_saveexec_b64 s[20:21], vcc
	s_cbranch_execnz .LBB1330_375
; %bb.350:                              ;   in Loop: Header=BB1330_346 Depth=2
	s_or_b64 exec, exec, s[20:21]
	v_cmp_gt_u32_e32 vcc, s22, v33
	s_and_saveexec_b64 s[20:21], vcc
	s_cbranch_execnz .LBB1330_376
.LBB1330_351:                           ;   in Loop: Header=BB1330_346 Depth=2
	s_or_b64 exec, exec, s[20:21]
	v_cmp_gt_u32_e32 vcc, s22, v34
	s_and_saveexec_b64 s[20:21], vcc
	s_cbranch_execnz .LBB1330_377
.LBB1330_352:                           ;   in Loop: Header=BB1330_346 Depth=2
	s_or_b64 exec, exec, s[20:21]
	v_cmp_gt_u32_e32 vcc, s22, v35
	s_and_saveexec_b64 s[20:21], vcc
	s_cbranch_execnz .LBB1330_378
.LBB1330_353:                           ;   in Loop: Header=BB1330_346 Depth=2
	s_or_b64 exec, exec, s[20:21]
	v_cmp_gt_u32_e32 vcc, s22, v38
	s_and_saveexec_b64 s[20:21], vcc
	s_cbranch_execnz .LBB1330_379
.LBB1330_354:                           ;   in Loop: Header=BB1330_346 Depth=2
	s_or_b64 exec, exec, s[20:21]
	v_cmp_gt_u32_e32 vcc, s22, v39
	s_and_saveexec_b64 s[20:21], vcc
	s_cbranch_execnz .LBB1330_380
.LBB1330_355:                           ;   in Loop: Header=BB1330_346 Depth=2
	s_or_b64 exec, exec, s[20:21]
	v_cmp_gt_u32_e32 vcc, s22, v40
	s_and_saveexec_b64 s[20:21], vcc
	s_cbranch_execnz .LBB1330_381
.LBB1330_356:                           ;   in Loop: Header=BB1330_346 Depth=2
	s_or_b64 exec, exec, s[20:21]
	v_cmp_gt_u32_e32 vcc, s22, v41
	s_and_saveexec_b64 s[20:21], vcc
	s_cbranch_execz .LBB1330_358
.LBB1330_357:                           ;   in Loop: Header=BB1330_346 Depth=2
	global_load_dword v19, v72, s[18:19]
.LBB1330_358:                           ;   in Loop: Header=BB1330_346 Depth=2
	s_or_b64 exec, exec, s[20:21]
	s_waitcnt vmcnt(0)
	v_mov_b32_e32 v27, v19
	s_mov_b32 s20, s22
	v_mov_b32_e32 v26, v18
	v_mov_b32_e32 v25, v17
	;; [unrolled: 1-line block ×7, first 2 shown]
.LBB1330_359:                           ;   in Loop: Header=BB1330_346 Depth=2
	s_waitcnt vmcnt(0)
	v_mov_b32_e32 v12, v20
	v_mov_b32_e32 v13, v21
	v_mov_b32_e32 v14, v22
	v_mov_b32_e32 v15, v23
	v_mov_b32_e32 v16, v24
	v_mov_b32_e32 v17, v25
	v_mov_b32_e32 v18, v26
	v_mov_b32_e32 v19, v27
	v_cmp_gt_u32_e32 vcc, s20, v0
	s_and_saveexec_b64 s[18:19], vcc
	s_cbranch_execnz .LBB1330_367
; %bb.360:                              ;   in Loop: Header=BB1330_346 Depth=2
	s_or_b64 exec, exec, s[18:19]
	v_cmp_gt_u32_e32 vcc, s20, v33
	s_and_saveexec_b64 s[18:19], vcc
	s_cbranch_execnz .LBB1330_368
.LBB1330_361:                           ;   in Loop: Header=BB1330_346 Depth=2
	s_or_b64 exec, exec, s[18:19]
	v_cmp_gt_u32_e32 vcc, s20, v34
	s_and_saveexec_b64 s[18:19], vcc
	s_cbranch_execnz .LBB1330_369
.LBB1330_362:                           ;   in Loop: Header=BB1330_346 Depth=2
	s_or_b64 exec, exec, s[18:19]
	v_cmp_gt_u32_e32 vcc, s20, v35
	s_and_saveexec_b64 s[18:19], vcc
	s_cbranch_execnz .LBB1330_370
.LBB1330_363:                           ;   in Loop: Header=BB1330_346 Depth=2
	s_or_b64 exec, exec, s[18:19]
	v_cmp_gt_u32_e32 vcc, s20, v38
	s_and_saveexec_b64 s[18:19], vcc
	s_cbranch_execnz .LBB1330_371
.LBB1330_364:                           ;   in Loop: Header=BB1330_346 Depth=2
	s_or_b64 exec, exec, s[18:19]
	v_cmp_gt_u32_e32 vcc, s20, v39
	s_and_saveexec_b64 s[18:19], vcc
	s_cbranch_execnz .LBB1330_372
.LBB1330_365:                           ;   in Loop: Header=BB1330_346 Depth=2
	s_or_b64 exec, exec, s[18:19]
	v_cmp_gt_u32_e32 vcc, s20, v40
	s_and_saveexec_b64 s[18:19], vcc
	s_cbranch_execnz .LBB1330_373
.LBB1330_366:                           ;   in Loop: Header=BB1330_346 Depth=2
	s_or_b64 exec, exec, s[18:19]
	v_cmp_gt_u32_e32 vcc, s20, v41
	s_and_saveexec_b64 s[18:19], vcc
	s_cbranch_execz .LBB1330_345
	s_branch .LBB1330_374
.LBB1330_367:                           ;   in Loop: Header=BB1330_346 Depth=2
	v_cmp_gt_i32_e32 vcc, 0, v12
	v_cndmask_b32_e64 v4, v73, 0, vcc
	v_xor_b32_e32 v4, v4, v12
	v_cmp_ne_u32_e32 vcc, s7, v4
	v_cndmask_b32_e32 v4, v73, v4, vcc
	v_lshrrev_b32_e32 v4, s77, v4
	v_and_b32_e32 v4, s63, v4
	v_lshl_or_b32 v4, v4, 4, v42
	ds_add_u32 v4, v67
	s_or_b64 exec, exec, s[18:19]
	v_cmp_gt_u32_e32 vcc, s20, v33
	s_and_saveexec_b64 s[18:19], vcc
	s_cbranch_execz .LBB1330_361
.LBB1330_368:                           ;   in Loop: Header=BB1330_346 Depth=2
	v_cmp_gt_i32_e32 vcc, 0, v13
	v_cndmask_b32_e64 v4, v73, 0, vcc
	v_xor_b32_e32 v4, v4, v13
	v_cmp_ne_u32_e32 vcc, s7, v4
	v_cndmask_b32_e32 v4, v73, v4, vcc
	v_lshrrev_b32_e32 v4, s77, v4
	v_and_b32_e32 v4, s63, v4
	v_lshl_or_b32 v4, v4, 4, v42
	ds_add_u32 v4, v67
	s_or_b64 exec, exec, s[18:19]
	v_cmp_gt_u32_e32 vcc, s20, v34
	s_and_saveexec_b64 s[18:19], vcc
	s_cbranch_execz .LBB1330_362
.LBB1330_369:                           ;   in Loop: Header=BB1330_346 Depth=2
	v_cmp_gt_i32_e32 vcc, 0, v14
	v_cndmask_b32_e64 v4, v73, 0, vcc
	v_xor_b32_e32 v4, v4, v14
	v_cmp_ne_u32_e32 vcc, s7, v4
	v_cndmask_b32_e32 v4, v73, v4, vcc
	v_lshrrev_b32_e32 v4, s77, v4
	v_and_b32_e32 v4, s63, v4
	v_lshl_or_b32 v4, v4, 4, v42
	ds_add_u32 v4, v67
	s_or_b64 exec, exec, s[18:19]
	v_cmp_gt_u32_e32 vcc, s20, v35
	s_and_saveexec_b64 s[18:19], vcc
	s_cbranch_execz .LBB1330_363
.LBB1330_370:                           ;   in Loop: Header=BB1330_346 Depth=2
	v_cmp_gt_i32_e32 vcc, 0, v15
	v_cndmask_b32_e64 v4, v73, 0, vcc
	v_xor_b32_e32 v4, v4, v15
	v_cmp_ne_u32_e32 vcc, s7, v4
	v_cndmask_b32_e32 v4, v73, v4, vcc
	v_lshrrev_b32_e32 v4, s77, v4
	v_and_b32_e32 v4, s63, v4
	v_lshl_or_b32 v4, v4, 4, v42
	ds_add_u32 v4, v67
	s_or_b64 exec, exec, s[18:19]
	v_cmp_gt_u32_e32 vcc, s20, v38
	s_and_saveexec_b64 s[18:19], vcc
	s_cbranch_execz .LBB1330_364
.LBB1330_371:                           ;   in Loop: Header=BB1330_346 Depth=2
	v_cmp_gt_i32_e32 vcc, 0, v16
	v_cndmask_b32_e64 v4, v73, 0, vcc
	v_xor_b32_e32 v4, v4, v16
	v_cmp_ne_u32_e32 vcc, s7, v4
	v_cndmask_b32_e32 v4, v73, v4, vcc
	v_lshrrev_b32_e32 v4, s77, v4
	v_and_b32_e32 v4, s63, v4
	v_lshl_or_b32 v4, v4, 4, v42
	ds_add_u32 v4, v67
	s_or_b64 exec, exec, s[18:19]
	v_cmp_gt_u32_e32 vcc, s20, v39
	s_and_saveexec_b64 s[18:19], vcc
	s_cbranch_execz .LBB1330_365
.LBB1330_372:                           ;   in Loop: Header=BB1330_346 Depth=2
	v_cmp_gt_i32_e32 vcc, 0, v17
	v_cndmask_b32_e64 v4, v73, 0, vcc
	v_xor_b32_e32 v4, v4, v17
	v_cmp_ne_u32_e32 vcc, s7, v4
	v_cndmask_b32_e32 v4, v73, v4, vcc
	v_lshrrev_b32_e32 v4, s77, v4
	v_and_b32_e32 v4, s63, v4
	v_lshl_or_b32 v4, v4, 4, v42
	ds_add_u32 v4, v67
	s_or_b64 exec, exec, s[18:19]
	v_cmp_gt_u32_e32 vcc, s20, v40
	s_and_saveexec_b64 s[18:19], vcc
	s_cbranch_execz .LBB1330_366
.LBB1330_373:                           ;   in Loop: Header=BB1330_346 Depth=2
	v_cmp_gt_i32_e32 vcc, 0, v18
	v_cndmask_b32_e64 v4, v73, 0, vcc
	v_xor_b32_e32 v4, v4, v18
	v_cmp_ne_u32_e32 vcc, s7, v4
	v_cndmask_b32_e32 v4, v73, v4, vcc
	v_lshrrev_b32_e32 v4, s77, v4
	v_and_b32_e32 v4, s63, v4
	v_lshl_or_b32 v4, v4, 4, v42
	ds_add_u32 v4, v67
	s_or_b64 exec, exec, s[18:19]
	v_cmp_gt_u32_e32 vcc, s20, v41
	s_and_saveexec_b64 s[18:19], vcc
	s_cbranch_execz .LBB1330_345
.LBB1330_374:                           ;   in Loop: Header=BB1330_346 Depth=2
	v_cmp_gt_i32_e32 vcc, 0, v19
	v_cndmask_b32_e64 v4, v73, 0, vcc
	v_xor_b32_e32 v4, v4, v19
	v_cmp_ne_u32_e32 vcc, s7, v4
	v_cndmask_b32_e32 v4, v73, v4, vcc
	v_lshrrev_b32_e32 v4, s77, v4
	v_and_b32_e32 v4, s63, v4
	v_lshl_or_b32 v4, v4, 4, v42
	ds_add_u32 v4, v67
	s_branch .LBB1330_345
.LBB1330_375:                           ;   in Loop: Header=BB1330_346 Depth=2
	global_load_dword v12, v68, s[18:19]
	s_or_b64 exec, exec, s[20:21]
	v_cmp_gt_u32_e32 vcc, s22, v33
	s_and_saveexec_b64 s[20:21], vcc
	s_cbranch_execz .LBB1330_351
.LBB1330_376:                           ;   in Loop: Header=BB1330_346 Depth=2
	global_load_dword v13, v68, s[18:19] offset:1024
	s_or_b64 exec, exec, s[20:21]
	v_cmp_gt_u32_e32 vcc, s22, v34
	s_and_saveexec_b64 s[20:21], vcc
	s_cbranch_execz .LBB1330_352
.LBB1330_377:                           ;   in Loop: Header=BB1330_346 Depth=2
	global_load_dword v14, v68, s[18:19] offset:2048
	s_or_b64 exec, exec, s[20:21]
	v_cmp_gt_u32_e32 vcc, s22, v35
	s_and_saveexec_b64 s[20:21], vcc
	s_cbranch_execz .LBB1330_353
.LBB1330_378:                           ;   in Loop: Header=BB1330_346 Depth=2
	global_load_dword v15, v68, s[18:19] offset:3072
	s_or_b64 exec, exec, s[20:21]
	v_cmp_gt_u32_e32 vcc, s22, v38
	s_and_saveexec_b64 s[20:21], vcc
	s_cbranch_execz .LBB1330_354
.LBB1330_379:                           ;   in Loop: Header=BB1330_346 Depth=2
	global_load_dword v16, v69, s[18:19]
	s_or_b64 exec, exec, s[20:21]
	v_cmp_gt_u32_e32 vcc, s22, v39
	s_and_saveexec_b64 s[20:21], vcc
	s_cbranch_execz .LBB1330_355
.LBB1330_380:                           ;   in Loop: Header=BB1330_346 Depth=2
	global_load_dword v17, v70, s[18:19]
	s_or_b64 exec, exec, s[20:21]
	v_cmp_gt_u32_e32 vcc, s22, v40
	s_and_saveexec_b64 s[20:21], vcc
	s_cbranch_execz .LBB1330_356
.LBB1330_381:                           ;   in Loop: Header=BB1330_346 Depth=2
	global_load_dword v18, v71, s[18:19]
	s_or_b64 exec, exec, s[20:21]
	v_cmp_gt_u32_e32 vcc, s22, v41
	s_and_saveexec_b64 s[20:21], vcc
	s_cbranch_execnz .LBB1330_357
	s_branch .LBB1330_358
.LBB1330_382:                           ;   in Loop: Header=BB1330_12 Depth=1
	v_mov_b32_e32 v4, 0
	s_waitcnt lgkmcnt(0)
	s_barrier
	s_and_saveexec_b64 s[18:19], s[4:5]
	s_cbranch_execz .LBB1330_384
; %bb.383:                              ;   in Loop: Header=BB1330_12 Depth=1
	ds_read2_b64 v[4:7], v43 offset1:1
	s_waitcnt lgkmcnt(0)
	v_add_u32_e32 v4, v5, v4
	v_add3_u32 v4, v4, v6, v7
.LBB1330_384:                           ;   in Loop: Header=BB1330_12 Depth=1
	s_or_b64 exec, exec, s[18:19]
	s_nop 0
	v_mov_b32_dpp v5, v4 row_shr:1 row_mask:0xf bank_mask:0xf
	v_cmp_eq_u32_e64 s[18:19], 0, v75
	v_cndmask_b32_e64 v5, v5, 0, s[18:19]
	v_add_u32_e32 v4, v5, v4
	v_cmp_lt_u32_e64 s[20:21], 1, v75
	v_cmp_lt_u32_e64 s[22:23], 3, v75
	v_mov_b32_dpp v5, v4 row_shr:2 row_mask:0xf bank_mask:0xf
	v_cndmask_b32_e64 v5, 0, v5, s[20:21]
	v_add_u32_e32 v4, v4, v5
	v_cmp_lt_u32_e64 s[24:25], 7, v75
	v_cmp_lt_u32_e64 s[28:29], 31, v74
	v_mov_b32_dpp v5, v4 row_shr:4 row_mask:0xf bank_mask:0xf
	v_cndmask_b32_e64 v5, 0, v5, s[22:23]
	v_add_u32_e32 v4, v4, v5
	v_cmp_eq_u32_e64 s[26:27], 0, v77
	s_nop 0
	v_mov_b32_dpp v5, v4 row_shr:8 row_mask:0xf bank_mask:0xf
	v_cndmask_b32_e64 v5, 0, v5, s[24:25]
	v_add_u32_e32 v4, v4, v5
	s_nop 1
	v_mov_b32_dpp v5, v4 row_bcast:15 row_mask:0xf bank_mask:0xf
	v_and_b32_e32 v5, v76, v5
	v_add_u32_e32 v4, v4, v5
	s_nop 1
	v_mov_b32_dpp v5, v4 row_bcast:31 row_mask:0xf bank_mask:0xf
	v_cndmask_b32_e64 v5, 0, v5, s[28:29]
	v_add_u32_e32 v4, v4, v5
	s_and_saveexec_b64 s[30:31], s[8:9]
; %bb.385:                              ;   in Loop: Header=BB1330_12 Depth=1
	ds_write_b32 v45, v4
; %bb.386:                              ;   in Loop: Header=BB1330_12 Depth=1
	s_or_b64 exec, exec, s[30:31]
	s_waitcnt lgkmcnt(0)
	s_barrier
	s_and_saveexec_b64 s[30:31], s[10:11]
	s_cbranch_execz .LBB1330_388
; %bb.387:                              ;   in Loop: Header=BB1330_12 Depth=1
	ds_read_b32 v5, v46
	v_cmp_ne_u32_e32 vcc, 0, v78
	s_waitcnt lgkmcnt(0)
	v_mov_b32_dpp v6, v5 row_shr:1 row_mask:0xf bank_mask:0xf
	v_cndmask_b32_e32 v6, 0, v6, vcc
	v_add_u32_e32 v5, v6, v5
	v_cmp_lt_u32_e32 vcc, 1, v78
	s_nop 0
	v_mov_b32_dpp v6, v5 row_shr:2 row_mask:0xf bank_mask:0xf
	v_cndmask_b32_e32 v6, 0, v6, vcc
	v_add_u32_e32 v5, v5, v6
	ds_write_b32 v46, v5
.LBB1330_388:                           ;   in Loop: Header=BB1330_12 Depth=1
	s_or_b64 exec, exec, s[30:31]
	v_mov_b32_e32 v5, 0
	s_waitcnt lgkmcnt(0)
	s_barrier
	s_and_saveexec_b64 s[30:31], s[12:13]
; %bb.389:                              ;   in Loop: Header=BB1330_12 Depth=1
	ds_read_b32 v5, v47
; %bb.390:                              ;   in Loop: Header=BB1330_12 Depth=1
	s_or_b64 exec, exec, s[30:31]
	v_subrev_co_u32_e64 v6, s[30:31], 1, v74
	v_and_b32_e32 v7, 64, v74
	v_cmp_lt_i32_e32 vcc, v6, v7
	v_cndmask_b32_e32 v6, v6, v74, vcc
	s_waitcnt lgkmcnt(0)
	v_add_u32_e32 v4, v5, v4
	v_lshlrev_b32_e32 v79, 2, v6
	ds_bpermute_b32 v4, v79, v4
	s_waitcnt lgkmcnt(0)
	s_barrier
	s_and_saveexec_b64 s[34:35], s[4:5]
; %bb.391:                              ;   in Loop: Header=BB1330_12 Depth=1
	v_cndmask_b32_e64 v4, v4, v5, s[30:31]
	v_add_u32_e32 v4, s80, v4
	ds_write_b32 v32, v4
; %bb.392:                              ;   in Loop: Header=BB1330_12 Depth=1
	s_or_b64 exec, exec, s[34:35]
	s_load_dwordx2 s[34:35], s[56:57], 0x0
	v_and_b32_e32 v13, 63, v74
	v_lshlrev_b32_e32 v14, 3, v13
	v_or_b32_e32 v84, v13, v48
	v_lshlrev_b32_e32 v15, 2, v13
	s_waitcnt lgkmcnt(0)
	s_cmp_lt_u32 s33, s35
	s_cselect_b32 s35, 14, 20
	s_add_u32 s36, s56, s35
	s_addc_u32 s37, s57, 0
	s_cmp_lt_u32 s6, s34
	s_cselect_b32 s34, 12, 18
	s_add_u32 s34, s56, s34
	global_load_ushort v4, v3, s[36:37]
	s_addc_u32 s35, s57, 0
	global_load_ushort v12, v3, s[34:35]
	v_add_co_u32_e32 v87, vcc, v63, v14
	v_addc_co_u32_e32 v89, vcc, 0, v64, vcc
	v_add_co_u32_e32 v98, vcc, v65, v15
	v_cmp_eq_u32_e64 s[34:35], 0, v78
	v_cmp_lt_u32_e64 s[36:37], 1, v78
	s_mov_b32 s70, s79
	v_or_b32_e32 v91, 64, v84
	v_or_b32_e32 v92, 0x80, v84
	;; [unrolled: 1-line block ×7, first 2 shown]
	v_addc_co_u32_e32 v99, vcc, 0, v66, vcc
	s_mov_b32 s58, s80
                                        ; implicit-def: $vgpr5_vgpr6
                                        ; implicit-def: $vgpr7_vgpr8
                                        ; implicit-def: $vgpr9_vgpr10
                                        ; implicit-def: $vgpr20_vgpr21
                                        ; implicit-def: $vgpr22_vgpr23
                                        ; implicit-def: $vgpr24_vgpr25
                                        ; implicit-def: $vgpr26_vgpr27
                                        ; implicit-def: $vgpr28_vgpr29
                                        ; implicit-def: $vgpr80
                                        ; implicit-def: $vgpr81
                                        ; implicit-def: $vgpr82
                                        ; implicit-def: $vgpr83
                                        ; implicit-def: $vgpr85
                                        ; implicit-def: $vgpr86
                                        ; implicit-def: $vgpr88
                                        ; implicit-def: $vgpr90
	s_waitcnt vmcnt(1)
	v_mad_u32_u24 v4, v2, v4, v1
	s_waitcnt vmcnt(0)
	v_mad_u64_u32 v[12:13], s[38:39], v4, v12, v[0:1]
	v_lshrrev_b32_e32 v4, 4, v12
	v_and_b32_e32 v100, 0xffffffc, v4
	s_branch .LBB1330_394
.LBB1330_393:                           ;   in Loop: Header=BB1330_394 Depth=2
	s_or_b64 exec, exec, s[38:39]
	s_addk_i32 s70, 0xf800
	s_cmp_lt_u32 s71, s81
	s_mov_b32 s58, s71
	s_cbranch_scc0 .LBB1330_506
.LBB1330_394:                           ;   Parent Loop BB1330_12 Depth=1
                                        ; =>  This Inner Loop Header: Depth=2
	s_add_i32 s71, s58, 0x800
	s_cmp_gt_u32 s71, s81
	s_cbranch_scc1 .LBB1330_396
; %bb.395:                              ;   in Loop: Header=BB1330_394 Depth=2
	s_lshl_b64 s[38:39], s[58:59], 2
	v_mov_b32_e32 v4, s39
	v_add_co_u32_e32 v18, vcc, s38, v98
	v_addc_co_u32_e32 v19, vcc, v99, v4, vcc
	global_load_dword v12, v[18:19], off
	global_load_dword v13, v[18:19], off offset:256
	global_load_dword v14, v[18:19], off offset:512
	;; [unrolled: 1-line block ×5, first 2 shown]
	s_nop 0
	global_load_dword v18, v[18:19], off offset:1536
	s_mov_b64 s[38:39], -1
	s_movk_i32 s42, 0x800
	s_cbranch_execz .LBB1330_397
	s_branch .LBB1330_406
.LBB1330_396:                           ;   in Loop: Header=BB1330_394 Depth=2
	s_mov_b64 s[38:39], 0
                                        ; implicit-def: $vgpr12_vgpr13_vgpr14_vgpr15_vgpr16_vgpr17_vgpr18_vgpr19
	s_movk_i32 s42, 0x800
.LBB1330_397:                           ;   in Loop: Header=BB1330_394 Depth=2
	s_lshl_b64 s[38:39], s[58:59], 2
	v_mov_b32_e32 v4, s39
	v_add_co_u32_e32 v30, vcc, s38, v98
	s_waitcnt vmcnt(6)
	v_mov_b32_e32 v12, v11
	s_waitcnt vmcnt(5)
	v_mov_b32_e32 v13, v11
	;; [unrolled: 2-line block ×7, first 2 shown]
	v_addc_co_u32_e32 v31, vcc, v99, v4, vcc
	v_mov_b32_e32 v19, v18
	v_cmp_gt_u32_e32 vcc, s70, v84
	v_mov_b32_e32 v18, v17
	v_mov_b32_e32 v17, v16
	;; [unrolled: 1-line block ×7, first 2 shown]
	s_and_saveexec_b64 s[38:39], vcc
	s_cbranch_execnz .LBB1330_500
; %bb.398:                              ;   in Loop: Header=BB1330_394 Depth=2
	s_or_b64 exec, exec, s[38:39]
	v_cmp_gt_u32_e32 vcc, s70, v91
	s_and_saveexec_b64 s[38:39], vcc
	s_cbranch_execnz .LBB1330_501
.LBB1330_399:                           ;   in Loop: Header=BB1330_394 Depth=2
	s_or_b64 exec, exec, s[38:39]
	v_cmp_gt_u32_e32 vcc, s70, v92
	s_and_saveexec_b64 s[38:39], vcc
	s_cbranch_execnz .LBB1330_502
.LBB1330_400:                           ;   in Loop: Header=BB1330_394 Depth=2
	s_or_b64 exec, exec, s[38:39]
	v_cmp_gt_u32_e32 vcc, s70, v93
	s_and_saveexec_b64 s[38:39], vcc
	s_cbranch_execnz .LBB1330_503
.LBB1330_401:                           ;   in Loop: Header=BB1330_394 Depth=2
	s_or_b64 exec, exec, s[38:39]
	v_cmp_gt_u32_e32 vcc, s70, v94
	s_and_saveexec_b64 s[38:39], vcc
	s_cbranch_execnz .LBB1330_504
.LBB1330_402:                           ;   in Loop: Header=BB1330_394 Depth=2
	s_or_b64 exec, exec, s[38:39]
	v_cmp_gt_u32_e32 vcc, s70, v95
	s_and_saveexec_b64 s[38:39], vcc
	s_cbranch_execnz .LBB1330_505
.LBB1330_403:                           ;   in Loop: Header=BB1330_394 Depth=2
	s_or_b64 exec, exec, s[38:39]
	v_cmp_gt_u32_e32 vcc, s70, v96
	s_and_saveexec_b64 s[38:39], vcc
	s_cbranch_execz .LBB1330_405
.LBB1330_404:                           ;   in Loop: Header=BB1330_394 Depth=2
	global_load_dword v18, v[30:31], off offset:1536
.LBB1330_405:                           ;   in Loop: Header=BB1330_394 Depth=2
	s_or_b64 exec, exec, s[38:39]
	s_sub_i32 s42, s81, s58
	v_cmp_gt_u32_e64 s[38:39], s70, v97
.LBB1330_406:                           ;   in Loop: Header=BB1330_394 Depth=2
	v_mov_b32_e32 v101, s70
	s_and_saveexec_b64 s[40:41], s[38:39]
	s_cbranch_execz .LBB1330_408
; %bb.407:                              ;   in Loop: Header=BB1330_394 Depth=2
	s_lshl_b64 s[38:39], s[58:59], 2
	v_mov_b32_e32 v4, s39
	v_add_co_u32_e32 v30, vcc, s38, v98
	v_addc_co_u32_e32 v31, vcc, v99, v4, vcc
	global_load_dword v19, v[30:31], off offset:1792
	v_mov_b32_e32 v101, s42
.LBB1330_408:                           ;   in Loop: Header=BB1330_394 Depth=2
	s_or_b64 exec, exec, s[40:41]
	s_waitcnt vmcnt(0)
	v_cmp_gt_i32_e32 vcc, 0, v12
	v_cndmask_b32_e64 v4, v73, 0, vcc
	v_xor_b32_e32 v102, v4, v12
	v_cmp_ne_u32_e32 vcc, s7, v102
	v_cndmask_b32_e32 v4, v73, v102, vcc
	v_lshrrev_b32_e32 v4, s77, v4
	v_and_b32_e32 v12, s63, v4
	v_and_b32_e32 v4, 1, v12
	v_add_co_u32_e32 v30, vcc, -1, v4
	v_addc_co_u32_e64 v31, s[38:39], 0, -1, vcc
	v_cmp_ne_u32_e32 vcc, 0, v4
	v_xor_b32_e32 v4, vcc_hi, v31
	v_and_b32_e32 v31, exec_hi, v4
	v_lshlrev_b32_e32 v4, 30, v12
	v_xor_b32_e32 v30, vcc_lo, v30
	v_cmp_gt_i64_e32 vcc, 0, v[3:4]
	v_not_b32_e32 v4, v4
	v_ashrrev_i32_e32 v4, 31, v4
	v_and_b32_e32 v30, exec_lo, v30
	v_xor_b32_e32 v105, vcc_hi, v4
	v_xor_b32_e32 v4, vcc_lo, v4
	v_and_b32_e32 v30, v30, v4
	v_lshlrev_b32_e32 v4, 29, v12
	v_cmp_gt_i64_e32 vcc, 0, v[3:4]
	v_not_b32_e32 v4, v4
	v_ashrrev_i32_e32 v4, 31, v4
	v_and_b32_e32 v31, v31, v105
	v_xor_b32_e32 v105, vcc_hi, v4
	v_xor_b32_e32 v4, vcc_lo, v4
	v_and_b32_e32 v30, v30, v4
	v_lshlrev_b32_e32 v4, 28, v12
	v_cmp_gt_i64_e32 vcc, 0, v[3:4]
	v_not_b32_e32 v4, v4
	v_ashrrev_i32_e32 v4, 31, v4
	v_and_b32_e32 v31, v31, v105
	;; [unrolled: 8-line block ×5, first 2 shown]
	v_xor_b32_e32 v105, vcc_hi, v4
	v_xor_b32_e32 v4, vcc_lo, v4
	v_and_b32_e32 v30, v30, v4
	v_lshlrev_b32_e32 v4, 24, v12
	v_cmp_gt_i64_e32 vcc, 0, v[3:4]
	v_not_b32_e32 v4, v4
	v_ashrrev_i32_e32 v4, 31, v4
	v_mul_u32_u24_e32 v106, 20, v12
	v_xor_b32_e32 v12, vcc_hi, v4
	v_xor_b32_e32 v4, vcc_lo, v4
	v_and_b32_e32 v31, v31, v105
	v_and_b32_e32 v30, v30, v4
	v_and_b32_e32 v31, v31, v12
	v_mbcnt_lo_u32_b32 v4, v30, 0
	v_mbcnt_hi_u32_b32 v105, v31, v4
	v_cmp_ne_u64_e32 vcc, 0, v[30:31]
	v_cmp_eq_u32_e64 s[38:39], 0, v105
	v_add_u32_e32 v104, 0x410, v49
	v_add_u32_e32 v103, 0x418, v49
	s_and_b64 s[40:41], vcc, s[38:39]
	v_add_u32_e32 v106, v100, v106
	ds_write2_b32 v104, v3, v3 offset1:1
	ds_write2_b32 v103, v3, v3 offset1:1
	ds_write_b32 v49, v3 offset:1056
	s_waitcnt lgkmcnt(0)
	s_barrier
	; wave barrier
	s_and_saveexec_b64 s[38:39], s[40:41]
; %bb.409:                              ;   in Loop: Header=BB1330_394 Depth=2
	v_bcnt_u32_b32 v4, v30, 0
	v_bcnt_u32_b32 v4, v31, v4
	ds_write_b32 v106, v4 offset:1040
; %bb.410:                              ;   in Loop: Header=BB1330_394 Depth=2
	s_or_b64 exec, exec, s[38:39]
	v_cmp_gt_i32_e32 vcc, 0, v13
	v_cndmask_b32_e64 v4, v73, 0, vcc
	v_xor_b32_e32 v30, v4, v13
	v_cmp_ne_u32_e32 vcc, s7, v30
	v_cndmask_b32_e32 v4, v73, v30, vcc
	v_lshrrev_b32_e32 v4, s77, v4
	v_and_b32_e32 v12, s63, v4
	v_mad_u32_u24 v4, v12, 20, v100
	; wave barrier
	ds_read_b32 v31, v4 offset:1040
	v_and_b32_e32 v4, 1, v12
	v_add_co_u32_e32 v13, vcc, -1, v4
	v_addc_co_u32_e64 v107, s[38:39], 0, -1, vcc
	v_cmp_ne_u32_e32 vcc, 0, v4
	v_xor_b32_e32 v4, vcc_hi, v107
	v_and_b32_e32 v107, exec_hi, v4
	v_lshlrev_b32_e32 v4, 30, v12
	v_xor_b32_e32 v13, vcc_lo, v13
	v_cmp_gt_i64_e32 vcc, 0, v[3:4]
	v_not_b32_e32 v4, v4
	v_ashrrev_i32_e32 v4, 31, v4
	v_and_b32_e32 v13, exec_lo, v13
	v_xor_b32_e32 v109, vcc_hi, v4
	v_xor_b32_e32 v4, vcc_lo, v4
	v_and_b32_e32 v13, v13, v4
	v_lshlrev_b32_e32 v4, 29, v12
	v_cmp_gt_i64_e32 vcc, 0, v[3:4]
	v_not_b32_e32 v4, v4
	v_ashrrev_i32_e32 v4, 31, v4
	v_and_b32_e32 v107, v107, v109
	v_xor_b32_e32 v109, vcc_hi, v4
	v_xor_b32_e32 v4, vcc_lo, v4
	v_and_b32_e32 v13, v13, v4
	v_lshlrev_b32_e32 v4, 28, v12
	v_cmp_gt_i64_e32 vcc, 0, v[3:4]
	v_not_b32_e32 v4, v4
	v_ashrrev_i32_e32 v4, 31, v4
	v_and_b32_e32 v107, v107, v109
	;; [unrolled: 8-line block ×5, first 2 shown]
	v_xor_b32_e32 v109, vcc_hi, v4
	v_xor_b32_e32 v4, vcc_lo, v4
	v_and_b32_e32 v107, v107, v109
	v_and_b32_e32 v109, v13, v4
	v_lshlrev_b32_e32 v4, 24, v12
	v_cmp_gt_i64_e32 vcc, 0, v[3:4]
	v_not_b32_e32 v4, v4
	v_ashrrev_i32_e32 v4, 31, v4
	v_mul_u32_u24_e32 v108, 20, v12
	v_xor_b32_e32 v12, vcc_hi, v4
	v_xor_b32_e32 v4, vcc_lo, v4
	v_and_b32_e32 v13, v107, v12
	v_and_b32_e32 v12, v109, v4
	v_mbcnt_lo_u32_b32 v4, v12, 0
	v_mbcnt_hi_u32_b32 v107, v13, v4
	v_cmp_ne_u64_e32 vcc, 0, v[12:13]
	v_cmp_eq_u32_e64 s[38:39], 0, v107
	s_and_b64 s[40:41], vcc, s[38:39]
	v_add_u32_e32 v110, v100, v108
	; wave barrier
	s_and_saveexec_b64 s[38:39], s[40:41]
	s_cbranch_execz .LBB1330_412
; %bb.411:                              ;   in Loop: Header=BB1330_394 Depth=2
	v_bcnt_u32_b32 v4, v12, 0
	v_bcnt_u32_b32 v4, v13, v4
	s_waitcnt lgkmcnt(0)
	v_add_u32_e32 v4, v31, v4
	ds_write_b32 v110, v4 offset:1040
.LBB1330_412:                           ;   in Loop: Header=BB1330_394 Depth=2
	s_or_b64 exec, exec, s[38:39]
	v_cmp_gt_i32_e32 vcc, 0, v14
	v_cndmask_b32_e64 v4, v73, 0, vcc
	v_xor_b32_e32 v108, v4, v14
	v_cmp_ne_u32_e32 vcc, s7, v108
	v_cndmask_b32_e32 v4, v73, v108, vcc
	v_lshrrev_b32_e32 v4, s77, v4
	v_and_b32_e32 v12, s63, v4
	v_mad_u32_u24 v4, v12, 20, v100
	; wave barrier
	ds_read_b32 v109, v4 offset:1040
	v_and_b32_e32 v4, 1, v12
	v_add_co_u32_e32 v13, vcc, -1, v4
	v_addc_co_u32_e64 v111, s[38:39], 0, -1, vcc
	v_cmp_ne_u32_e32 vcc, 0, v4
	v_xor_b32_e32 v4, vcc_hi, v111
	v_and_b32_e32 v111, exec_hi, v4
	v_lshlrev_b32_e32 v4, 30, v12
	v_xor_b32_e32 v13, vcc_lo, v13
	v_cmp_gt_i64_e32 vcc, 0, v[3:4]
	v_not_b32_e32 v4, v4
	v_ashrrev_i32_e32 v4, 31, v4
	v_and_b32_e32 v13, exec_lo, v13
	v_xor_b32_e32 v112, vcc_hi, v4
	v_xor_b32_e32 v4, vcc_lo, v4
	v_and_b32_e32 v13, v13, v4
	v_lshlrev_b32_e32 v4, 29, v12
	v_cmp_gt_i64_e32 vcc, 0, v[3:4]
	v_not_b32_e32 v4, v4
	v_ashrrev_i32_e32 v4, 31, v4
	v_and_b32_e32 v111, v111, v112
	v_xor_b32_e32 v112, vcc_hi, v4
	v_xor_b32_e32 v4, vcc_lo, v4
	v_and_b32_e32 v13, v13, v4
	v_lshlrev_b32_e32 v4, 28, v12
	v_cmp_gt_i64_e32 vcc, 0, v[3:4]
	v_not_b32_e32 v4, v4
	v_ashrrev_i32_e32 v4, 31, v4
	v_and_b32_e32 v111, v111, v112
	;; [unrolled: 8-line block ×5, first 2 shown]
	v_xor_b32_e32 v112, vcc_hi, v4
	v_xor_b32_e32 v4, vcc_lo, v4
	v_and_b32_e32 v111, v111, v112
	v_and_b32_e32 v112, v13, v4
	v_lshlrev_b32_e32 v4, 24, v12
	v_cmp_gt_i64_e32 vcc, 0, v[3:4]
	v_not_b32_e32 v4, v4
	v_ashrrev_i32_e32 v4, 31, v4
	v_mul_u32_u24_e32 v14, 20, v12
	v_xor_b32_e32 v12, vcc_hi, v4
	v_xor_b32_e32 v4, vcc_lo, v4
	v_and_b32_e32 v13, v111, v12
	v_and_b32_e32 v12, v112, v4
	v_mbcnt_lo_u32_b32 v4, v12, 0
	v_mbcnt_hi_u32_b32 v111, v13, v4
	v_cmp_ne_u64_e32 vcc, 0, v[12:13]
	v_cmp_eq_u32_e64 s[38:39], 0, v111
	s_and_b64 s[40:41], vcc, s[38:39]
	v_add_u32_e32 v114, v100, v14
	; wave barrier
	s_and_saveexec_b64 s[38:39], s[40:41]
	s_cbranch_execz .LBB1330_414
; %bb.413:                              ;   in Loop: Header=BB1330_394 Depth=2
	v_bcnt_u32_b32 v4, v12, 0
	v_bcnt_u32_b32 v4, v13, v4
	s_waitcnt lgkmcnt(0)
	v_add_u32_e32 v4, v109, v4
	ds_write_b32 v114, v4 offset:1040
.LBB1330_414:                           ;   in Loop: Header=BB1330_394 Depth=2
	s_or_b64 exec, exec, s[38:39]
	v_cmp_gt_i32_e32 vcc, 0, v15
	v_cndmask_b32_e64 v4, v73, 0, vcc
	v_xor_b32_e32 v112, v4, v15
	v_cmp_ne_u32_e32 vcc, s7, v112
	v_cndmask_b32_e32 v4, v73, v112, vcc
	v_lshrrev_b32_e32 v4, s77, v4
	v_and_b32_e32 v12, s63, v4
	v_mad_u32_u24 v4, v12, 20, v100
	; wave barrier
	ds_read_b32 v113, v4 offset:1040
	v_and_b32_e32 v4, 1, v12
	v_add_co_u32_e32 v13, vcc, -1, v4
	v_addc_co_u32_e64 v15, s[38:39], 0, -1, vcc
	v_cmp_ne_u32_e32 vcc, 0, v4
	v_xor_b32_e32 v4, vcc_hi, v15
	v_and_b32_e32 v15, exec_hi, v4
	v_lshlrev_b32_e32 v4, 30, v12
	v_xor_b32_e32 v13, vcc_lo, v13
	v_cmp_gt_i64_e32 vcc, 0, v[3:4]
	v_not_b32_e32 v4, v4
	v_ashrrev_i32_e32 v4, 31, v4
	v_and_b32_e32 v13, exec_lo, v13
	v_xor_b32_e32 v115, vcc_hi, v4
	v_xor_b32_e32 v4, vcc_lo, v4
	v_and_b32_e32 v13, v13, v4
	v_lshlrev_b32_e32 v4, 29, v12
	v_cmp_gt_i64_e32 vcc, 0, v[3:4]
	v_not_b32_e32 v4, v4
	v_ashrrev_i32_e32 v4, 31, v4
	v_and_b32_e32 v15, v15, v115
	v_xor_b32_e32 v115, vcc_hi, v4
	v_xor_b32_e32 v4, vcc_lo, v4
	v_and_b32_e32 v13, v13, v4
	v_lshlrev_b32_e32 v4, 28, v12
	v_cmp_gt_i64_e32 vcc, 0, v[3:4]
	v_not_b32_e32 v4, v4
	v_ashrrev_i32_e32 v4, 31, v4
	v_and_b32_e32 v15, v15, v115
	;; [unrolled: 8-line block ×5, first 2 shown]
	v_xor_b32_e32 v115, vcc_hi, v4
	v_xor_b32_e32 v4, vcc_lo, v4
	v_and_b32_e32 v15, v15, v115
	v_and_b32_e32 v115, v13, v4
	v_lshlrev_b32_e32 v4, 24, v12
	v_cmp_gt_i64_e32 vcc, 0, v[3:4]
	v_not_b32_e32 v4, v4
	v_ashrrev_i32_e32 v4, 31, v4
	v_mul_u32_u24_e32 v14, 20, v12
	v_xor_b32_e32 v12, vcc_hi, v4
	v_xor_b32_e32 v4, vcc_lo, v4
	v_and_b32_e32 v13, v15, v12
	v_and_b32_e32 v12, v115, v4
	v_mbcnt_lo_u32_b32 v4, v12, 0
	v_mbcnt_hi_u32_b32 v115, v13, v4
	v_cmp_ne_u64_e32 vcc, 0, v[12:13]
	v_cmp_eq_u32_e64 s[38:39], 0, v115
	s_and_b64 s[40:41], vcc, s[38:39]
	v_add_u32_e32 v117, v100, v14
	; wave barrier
	s_and_saveexec_b64 s[38:39], s[40:41]
	s_cbranch_execz .LBB1330_416
; %bb.415:                              ;   in Loop: Header=BB1330_394 Depth=2
	v_bcnt_u32_b32 v4, v12, 0
	v_bcnt_u32_b32 v4, v13, v4
	s_waitcnt lgkmcnt(0)
	v_add_u32_e32 v4, v113, v4
	ds_write_b32 v117, v4 offset:1040
.LBB1330_416:                           ;   in Loop: Header=BB1330_394 Depth=2
	s_or_b64 exec, exec, s[38:39]
	v_cmp_gt_i32_e32 vcc, 0, v16
	v_cndmask_b32_e64 v4, v73, 0, vcc
	v_xor_b32_e32 v116, v4, v16
	v_cmp_ne_u32_e32 vcc, s7, v116
	v_cndmask_b32_e32 v4, v73, v116, vcc
	v_lshrrev_b32_e32 v4, s77, v4
	v_and_b32_e32 v12, s63, v4
	v_mad_u32_u24 v4, v12, 20, v100
	; wave barrier
	ds_read_b32 v16, v4 offset:1040
	v_and_b32_e32 v4, 1, v12
	v_add_co_u32_e32 v13, vcc, -1, v4
	v_addc_co_u32_e64 v15, s[38:39], 0, -1, vcc
	v_cmp_ne_u32_e32 vcc, 0, v4
	v_xor_b32_e32 v4, vcc_hi, v15
	v_and_b32_e32 v15, exec_hi, v4
	v_lshlrev_b32_e32 v4, 30, v12
	v_xor_b32_e32 v13, vcc_lo, v13
	v_cmp_gt_i64_e32 vcc, 0, v[3:4]
	v_not_b32_e32 v4, v4
	v_ashrrev_i32_e32 v4, 31, v4
	v_and_b32_e32 v13, exec_lo, v13
	v_xor_b32_e32 v118, vcc_hi, v4
	v_xor_b32_e32 v4, vcc_lo, v4
	v_and_b32_e32 v13, v13, v4
	v_lshlrev_b32_e32 v4, 29, v12
	v_cmp_gt_i64_e32 vcc, 0, v[3:4]
	v_not_b32_e32 v4, v4
	v_ashrrev_i32_e32 v4, 31, v4
	v_and_b32_e32 v15, v15, v118
	v_xor_b32_e32 v118, vcc_hi, v4
	v_xor_b32_e32 v4, vcc_lo, v4
	v_and_b32_e32 v13, v13, v4
	v_lshlrev_b32_e32 v4, 28, v12
	v_cmp_gt_i64_e32 vcc, 0, v[3:4]
	v_not_b32_e32 v4, v4
	v_ashrrev_i32_e32 v4, 31, v4
	v_and_b32_e32 v15, v15, v118
	;; [unrolled: 8-line block ×5, first 2 shown]
	v_xor_b32_e32 v118, vcc_hi, v4
	v_xor_b32_e32 v4, vcc_lo, v4
	v_and_b32_e32 v15, v15, v118
	v_and_b32_e32 v118, v13, v4
	v_lshlrev_b32_e32 v4, 24, v12
	v_cmp_gt_i64_e32 vcc, 0, v[3:4]
	v_not_b32_e32 v4, v4
	v_ashrrev_i32_e32 v4, 31, v4
	v_mul_u32_u24_e32 v14, 20, v12
	v_xor_b32_e32 v12, vcc_hi, v4
	v_xor_b32_e32 v4, vcc_lo, v4
	v_and_b32_e32 v13, v15, v12
	v_and_b32_e32 v12, v118, v4
	v_mbcnt_lo_u32_b32 v4, v12, 0
	v_mbcnt_hi_u32_b32 v118, v13, v4
	v_cmp_ne_u64_e32 vcc, 0, v[12:13]
	v_cmp_eq_u32_e64 s[38:39], 0, v118
	s_and_b64 s[40:41], vcc, s[38:39]
	v_add_u32_e32 v121, v100, v14
	; wave barrier
	s_and_saveexec_b64 s[38:39], s[40:41]
	s_cbranch_execz .LBB1330_418
; %bb.417:                              ;   in Loop: Header=BB1330_394 Depth=2
	v_bcnt_u32_b32 v4, v12, 0
	v_bcnt_u32_b32 v4, v13, v4
	s_waitcnt lgkmcnt(0)
	v_add_u32_e32 v4, v16, v4
	ds_write_b32 v121, v4 offset:1040
.LBB1330_418:                           ;   in Loop: Header=BB1330_394 Depth=2
	s_or_b64 exec, exec, s[38:39]
	v_cmp_gt_i32_e32 vcc, 0, v17
	v_cndmask_b32_e64 v4, v73, 0, vcc
	v_xor_b32_e32 v119, v4, v17
	v_cmp_ne_u32_e32 vcc, s7, v119
	v_cndmask_b32_e32 v4, v73, v119, vcc
	v_lshrrev_b32_e32 v4, s77, v4
	v_and_b32_e32 v12, s63, v4
	v_mad_u32_u24 v4, v12, 20, v100
	; wave barrier
	ds_read_b32 v120, v4 offset:1040
	v_and_b32_e32 v4, 1, v12
	v_add_co_u32_e32 v13, vcc, -1, v4
	v_addc_co_u32_e64 v15, s[38:39], 0, -1, vcc
	v_cmp_ne_u32_e32 vcc, 0, v4
	v_xor_b32_e32 v4, vcc_hi, v15
	v_and_b32_e32 v15, exec_hi, v4
	v_lshlrev_b32_e32 v4, 30, v12
	v_xor_b32_e32 v13, vcc_lo, v13
	v_cmp_gt_i64_e32 vcc, 0, v[3:4]
	v_not_b32_e32 v4, v4
	v_ashrrev_i32_e32 v4, 31, v4
	v_and_b32_e32 v13, exec_lo, v13
	v_xor_b32_e32 v17, vcc_hi, v4
	v_xor_b32_e32 v4, vcc_lo, v4
	v_and_b32_e32 v13, v13, v4
	v_lshlrev_b32_e32 v4, 29, v12
	v_cmp_gt_i64_e32 vcc, 0, v[3:4]
	v_not_b32_e32 v4, v4
	v_ashrrev_i32_e32 v4, 31, v4
	v_and_b32_e32 v15, v15, v17
	v_xor_b32_e32 v17, vcc_hi, v4
	v_xor_b32_e32 v4, vcc_lo, v4
	v_and_b32_e32 v13, v13, v4
	v_lshlrev_b32_e32 v4, 28, v12
	v_cmp_gt_i64_e32 vcc, 0, v[3:4]
	v_not_b32_e32 v4, v4
	v_ashrrev_i32_e32 v4, 31, v4
	v_and_b32_e32 v15, v15, v17
	;; [unrolled: 8-line block ×5, first 2 shown]
	v_xor_b32_e32 v17, vcc_hi, v4
	v_xor_b32_e32 v4, vcc_lo, v4
	v_and_b32_e32 v15, v15, v17
	v_and_b32_e32 v17, v13, v4
	v_lshlrev_b32_e32 v4, 24, v12
	v_cmp_gt_i64_e32 vcc, 0, v[3:4]
	v_not_b32_e32 v4, v4
	v_ashrrev_i32_e32 v4, 31, v4
	v_mul_u32_u24_e32 v14, 20, v12
	v_xor_b32_e32 v12, vcc_hi, v4
	v_xor_b32_e32 v4, vcc_lo, v4
	v_and_b32_e32 v13, v15, v12
	v_and_b32_e32 v12, v17, v4
	v_mbcnt_lo_u32_b32 v4, v12, 0
	v_mbcnt_hi_u32_b32 v122, v13, v4
	v_cmp_ne_u64_e32 vcc, 0, v[12:13]
	v_cmp_eq_u32_e64 s[38:39], 0, v122
	s_and_b64 s[40:41], vcc, s[38:39]
	v_add_u32_e32 v17, v100, v14
	; wave barrier
	s_and_saveexec_b64 s[38:39], s[40:41]
	s_cbranch_execz .LBB1330_420
; %bb.419:                              ;   in Loop: Header=BB1330_394 Depth=2
	v_bcnt_u32_b32 v4, v12, 0
	v_bcnt_u32_b32 v4, v13, v4
	s_waitcnt lgkmcnt(0)
	v_add_u32_e32 v4, v120, v4
	ds_write_b32 v17, v4 offset:1040
.LBB1330_420:                           ;   in Loop: Header=BB1330_394 Depth=2
	s_or_b64 exec, exec, s[38:39]
	v_cmp_gt_i32_e32 vcc, 0, v18
	v_cndmask_b32_e64 v4, v73, 0, vcc
	v_xor_b32_e32 v123, v4, v18
	v_cmp_ne_u32_e32 vcc, s7, v123
	v_cndmask_b32_e32 v4, v73, v123, vcc
	v_lshrrev_b32_e32 v4, s77, v4
	v_and_b32_e32 v12, s63, v4
	v_mad_u32_u24 v4, v12, 20, v100
	; wave barrier
	ds_read_b32 v124, v4 offset:1040
	v_and_b32_e32 v4, 1, v12
	v_add_co_u32_e32 v13, vcc, -1, v4
	v_addc_co_u32_e64 v15, s[38:39], 0, -1, vcc
	v_cmp_ne_u32_e32 vcc, 0, v4
	v_xor_b32_e32 v4, vcc_hi, v15
	v_and_b32_e32 v15, exec_hi, v4
	v_lshlrev_b32_e32 v4, 30, v12
	v_xor_b32_e32 v13, vcc_lo, v13
	v_cmp_gt_i64_e32 vcc, 0, v[3:4]
	v_not_b32_e32 v4, v4
	v_ashrrev_i32_e32 v4, 31, v4
	v_and_b32_e32 v13, exec_lo, v13
	v_xor_b32_e32 v18, vcc_hi, v4
	v_xor_b32_e32 v4, vcc_lo, v4
	v_and_b32_e32 v13, v13, v4
	v_lshlrev_b32_e32 v4, 29, v12
	v_cmp_gt_i64_e32 vcc, 0, v[3:4]
	v_not_b32_e32 v4, v4
	v_ashrrev_i32_e32 v4, 31, v4
	v_and_b32_e32 v15, v15, v18
	v_xor_b32_e32 v18, vcc_hi, v4
	v_xor_b32_e32 v4, vcc_lo, v4
	v_and_b32_e32 v13, v13, v4
	v_lshlrev_b32_e32 v4, 28, v12
	v_cmp_gt_i64_e32 vcc, 0, v[3:4]
	v_not_b32_e32 v4, v4
	v_ashrrev_i32_e32 v4, 31, v4
	v_and_b32_e32 v15, v15, v18
	;; [unrolled: 8-line block ×5, first 2 shown]
	v_xor_b32_e32 v18, vcc_hi, v4
	v_xor_b32_e32 v4, vcc_lo, v4
	v_and_b32_e32 v15, v15, v18
	v_and_b32_e32 v18, v13, v4
	v_lshlrev_b32_e32 v4, 24, v12
	v_cmp_gt_i64_e32 vcc, 0, v[3:4]
	v_not_b32_e32 v4, v4
	v_ashrrev_i32_e32 v4, 31, v4
	v_mul_u32_u24_e32 v14, 20, v12
	v_xor_b32_e32 v12, vcc_hi, v4
	v_xor_b32_e32 v4, vcc_lo, v4
	v_and_b32_e32 v13, v15, v12
	v_and_b32_e32 v12, v18, v4
	v_mbcnt_lo_u32_b32 v4, v12, 0
	v_mbcnt_hi_u32_b32 v125, v13, v4
	v_cmp_ne_u64_e32 vcc, 0, v[12:13]
	v_cmp_eq_u32_e64 s[38:39], 0, v125
	s_and_b64 s[40:41], vcc, s[38:39]
	v_add_u32_e32 v18, v100, v14
	; wave barrier
	s_and_saveexec_b64 s[38:39], s[40:41]
	s_cbranch_execz .LBB1330_422
; %bb.421:                              ;   in Loop: Header=BB1330_394 Depth=2
	v_bcnt_u32_b32 v4, v12, 0
	v_bcnt_u32_b32 v4, v13, v4
	s_waitcnt lgkmcnt(0)
	v_add_u32_e32 v4, v124, v4
	ds_write_b32 v18, v4 offset:1040
.LBB1330_422:                           ;   in Loop: Header=BB1330_394 Depth=2
	s_or_b64 exec, exec, s[38:39]
	v_cmp_gt_i32_e32 vcc, 0, v19
	v_cndmask_b32_e64 v4, v73, 0, vcc
	v_xor_b32_e32 v126, v4, v19
	v_cmp_ne_u32_e32 vcc, s7, v126
	v_cndmask_b32_e32 v4, v73, v126, vcc
	v_lshrrev_b32_e32 v4, s77, v4
	v_and_b32_e32 v12, s63, v4
	v_mad_u32_u24 v4, v12, 20, v100
	; wave barrier
	ds_read_b32 v127, v4 offset:1040
	v_and_b32_e32 v4, 1, v12
	v_add_co_u32_e32 v13, vcc, -1, v4
	v_addc_co_u32_e64 v15, s[38:39], 0, -1, vcc
	v_cmp_ne_u32_e32 vcc, 0, v4
	v_xor_b32_e32 v4, vcc_hi, v15
	v_and_b32_e32 v15, exec_hi, v4
	v_lshlrev_b32_e32 v4, 30, v12
	v_xor_b32_e32 v13, vcc_lo, v13
	v_cmp_gt_i64_e32 vcc, 0, v[3:4]
	v_not_b32_e32 v4, v4
	v_ashrrev_i32_e32 v4, 31, v4
	v_and_b32_e32 v13, exec_lo, v13
	v_xor_b32_e32 v19, vcc_hi, v4
	v_xor_b32_e32 v4, vcc_lo, v4
	v_and_b32_e32 v13, v13, v4
	v_lshlrev_b32_e32 v4, 29, v12
	v_cmp_gt_i64_e32 vcc, 0, v[3:4]
	v_not_b32_e32 v4, v4
	v_ashrrev_i32_e32 v4, 31, v4
	v_and_b32_e32 v15, v15, v19
	v_xor_b32_e32 v19, vcc_hi, v4
	v_xor_b32_e32 v4, vcc_lo, v4
	v_and_b32_e32 v13, v13, v4
	v_lshlrev_b32_e32 v4, 28, v12
	v_cmp_gt_i64_e32 vcc, 0, v[3:4]
	v_not_b32_e32 v4, v4
	v_ashrrev_i32_e32 v4, 31, v4
	v_and_b32_e32 v15, v15, v19
	v_xor_b32_e32 v19, vcc_hi, v4
	v_xor_b32_e32 v4, vcc_lo, v4
	v_and_b32_e32 v13, v13, v4
	v_lshlrev_b32_e32 v4, 27, v12
	v_cmp_gt_i64_e32 vcc, 0, v[3:4]
	v_not_b32_e32 v4, v4
	v_ashrrev_i32_e32 v4, 31, v4
	v_and_b32_e32 v15, v15, v19
	v_xor_b32_e32 v19, vcc_hi, v4
	v_xor_b32_e32 v4, vcc_lo, v4
	v_and_b32_e32 v13, v13, v4
	v_lshlrev_b32_e32 v4, 26, v12
	v_cmp_gt_i64_e32 vcc, 0, v[3:4]
	v_not_b32_e32 v4, v4
	v_ashrrev_i32_e32 v4, 31, v4
	v_and_b32_e32 v15, v15, v19
	v_xor_b32_e32 v19, vcc_hi, v4
	v_xor_b32_e32 v4, vcc_lo, v4
	v_and_b32_e32 v13, v13, v4
	v_lshlrev_b32_e32 v4, 25, v12
	v_cmp_gt_i64_e32 vcc, 0, v[3:4]
	v_not_b32_e32 v4, v4
	v_ashrrev_i32_e32 v4, 31, v4
	v_and_b32_e32 v15, v15, v19
	v_xor_b32_e32 v19, vcc_hi, v4
	v_xor_b32_e32 v4, vcc_lo, v4
	v_and_b32_e32 v15, v15, v19
	v_and_b32_e32 v19, v13, v4
	v_lshlrev_b32_e32 v4, 24, v12
	v_cmp_gt_i64_e32 vcc, 0, v[3:4]
	v_not_b32_e32 v4, v4
	v_ashrrev_i32_e32 v4, 31, v4
	v_mul_u32_u24_e32 v14, 20, v12
	v_xor_b32_e32 v12, vcc_hi, v4
	v_xor_b32_e32 v4, vcc_lo, v4
	v_and_b32_e32 v13, v15, v12
	v_and_b32_e32 v12, v19, v4
	v_mbcnt_lo_u32_b32 v4, v12, 0
	v_mbcnt_hi_u32_b32 v128, v13, v4
	v_cmp_ne_u64_e32 vcc, 0, v[12:13]
	v_cmp_eq_u32_e64 s[38:39], 0, v128
	s_and_b64 s[40:41], vcc, s[38:39]
	v_add_u32_e32 v4, v100, v14
	; wave barrier
	s_and_saveexec_b64 s[38:39], s[40:41]
	s_cbranch_execz .LBB1330_424
; %bb.423:                              ;   in Loop: Header=BB1330_394 Depth=2
	v_bcnt_u32_b32 v12, v12, 0
	v_bcnt_u32_b32 v12, v13, v12
	s_waitcnt lgkmcnt(0)
	v_add_u32_e32 v12, v127, v12
	ds_write_b32 v4, v12 offset:1040
.LBB1330_424:                           ;   in Loop: Header=BB1330_394 Depth=2
	s_or_b64 exec, exec, s[38:39]
	; wave barrier
	s_waitcnt lgkmcnt(0)
	s_barrier
	ds_read2_b32 v[14:15], v104 offset1:1
	ds_read2_b32 v[12:13], v103 offset1:1
	ds_read_b32 v19, v49 offset:1056
	s_waitcnt lgkmcnt(1)
	v_add3_u32 v129, v15, v14, v12
	s_waitcnt lgkmcnt(0)
	v_add3_u32 v19, v129, v13, v19
	s_nop 1
	v_mov_b32_dpp v129, v19 row_shr:1 row_mask:0xf bank_mask:0xf
	v_cndmask_b32_e64 v129, v129, 0, s[18:19]
	v_add_u32_e32 v19, v129, v19
	s_nop 1
	v_mov_b32_dpp v129, v19 row_shr:2 row_mask:0xf bank_mask:0xf
	v_cndmask_b32_e64 v129, 0, v129, s[20:21]
	v_add_u32_e32 v19, v19, v129
	;; [unrolled: 4-line block ×4, first 2 shown]
	s_nop 1
	v_mov_b32_dpp v129, v19 row_bcast:15 row_mask:0xf bank_mask:0xf
	v_cndmask_b32_e64 v129, v129, 0, s[26:27]
	v_add_u32_e32 v19, v19, v129
	s_nop 1
	v_mov_b32_dpp v129, v19 row_bcast:31 row_mask:0xf bank_mask:0xf
	v_cndmask_b32_e64 v129, 0, v129, s[28:29]
	v_add_u32_e32 v19, v19, v129
	s_and_saveexec_b64 s[38:39], s[8:9]
; %bb.425:                              ;   in Loop: Header=BB1330_394 Depth=2
	ds_write_b32 v44, v19 offset:1024
; %bb.426:                              ;   in Loop: Header=BB1330_394 Depth=2
	s_or_b64 exec, exec, s[38:39]
	s_waitcnt lgkmcnt(0)
	s_barrier
	s_and_saveexec_b64 s[38:39], s[10:11]
	s_cbranch_execz .LBB1330_428
; %bb.427:                              ;   in Loop: Header=BB1330_394 Depth=2
	ds_read_b32 v129, v50 offset:1024
	s_waitcnt lgkmcnt(0)
	s_nop 0
	v_mov_b32_dpp v130, v129 row_shr:1 row_mask:0xf bank_mask:0xf
	v_cndmask_b32_e64 v130, v130, 0, s[34:35]
	v_add_u32_e32 v129, v130, v129
	s_nop 1
	v_mov_b32_dpp v130, v129 row_shr:2 row_mask:0xf bank_mask:0xf
	v_cndmask_b32_e64 v130, 0, v130, s[36:37]
	v_add_u32_e32 v129, v129, v130
	ds_write_b32 v50, v129 offset:1024
.LBB1330_428:                           ;   in Loop: Header=BB1330_394 Depth=2
	s_or_b64 exec, exec, s[38:39]
	v_mov_b32_e32 v129, 0
	s_waitcnt lgkmcnt(0)
	s_barrier
	s_and_saveexec_b64 s[38:39], s[12:13]
; %bb.429:                              ;   in Loop: Header=BB1330_394 Depth=2
	ds_read_b32 v129, v44 offset:1020
; %bb.430:                              ;   in Loop: Header=BB1330_394 Depth=2
	s_or_b64 exec, exec, s[38:39]
	s_waitcnt lgkmcnt(0)
	v_add_u32_e32 v19, v129, v19
	ds_bpermute_b32 v19, v79, v19
	s_waitcnt lgkmcnt(0)
	v_cndmask_b32_e64 v19, v19, v129, s[30:31]
	v_cndmask_b32_e64 v19, v19, 0, s[14:15]
	v_add_u32_e32 v14, v19, v14
	v_add_u32_e32 v15, v14, v15
	;; [unrolled: 1-line block ×4, first 2 shown]
	ds_write2_b32 v104, v19, v14 offset1:1
	ds_write2_b32 v103, v15, v12 offset1:1
	ds_write_b32 v49, v13 offset:1056
	s_waitcnt lgkmcnt(0)
	s_barrier
	ds_read_b32 v12, v106 offset:1040
	ds_read_b32 v13, v110 offset:1040
	;; [unrolled: 1-line block ×9, first 2 shown]
	v_mov_b32_e32 v4, 0x800
	s_and_saveexec_b64 s[38:39], s[16:17]
; %bb.431:                              ;   in Loop: Header=BB1330_394 Depth=2
	ds_read_b32 v4, v49 offset:1060
; %bb.432:                              ;   in Loop: Header=BB1330_394 Depth=2
	s_or_b64 exec, exec, s[38:39]
	s_waitcnt lgkmcnt(0)
	s_barrier
	s_and_saveexec_b64 s[38:39], s[4:5]
	s_cbranch_execz .LBB1330_434
; %bb.433:                              ;   in Loop: Header=BB1330_394 Depth=2
	ds_read_b32 v18, v32
	s_waitcnt lgkmcnt(0)
	v_sub_u32_e32 v17, v18, v17
	ds_write_b32 v32, v17
.LBB1330_434:                           ;   in Loop: Header=BB1330_394 Depth=2
	s_or_b64 exec, exec, s[38:39]
	v_add_u32_e32 v103, v12, v105
	v_add3_u32 v31, v107, v31, v13
	v_lshlrev_b32_e32 v12, 2, v103
	v_add3_u32 v19, v111, v109, v14
	ds_write_b32 v12, v102 offset:1024
	v_lshlrev_b32_e32 v12, 2, v31
	v_add3_u32 v18, v115, v113, v15
	ds_write_b32 v12, v30 offset:1024
	;; [unrolled: 3-line block ×6, first 2 shown]
	v_lshlrev_b32_e32 v12, 2, v15
	ds_write_b32 v12, v123 offset:1024
	v_lshlrev_b32_e32 v12, 2, v14
	v_cmp_lt_u32_e32 vcc, v0, v101
	ds_write_b32 v12, v126 offset:1024
	s_waitcnt lgkmcnt(0)
	s_barrier
	s_and_saveexec_b64 s[40:41], vcc
	s_cbranch_execnz .LBB1330_471
; %bb.435:                              ;   in Loop: Header=BB1330_394 Depth=2
	s_or_b64 exec, exec, s[40:41]
	v_cmp_lt_u32_e64 s[38:39], v33, v101
	s_and_saveexec_b64 s[42:43], s[38:39]
	s_cbranch_execnz .LBB1330_472
.LBB1330_436:                           ;   in Loop: Header=BB1330_394 Depth=2
	s_or_b64 exec, exec, s[42:43]
	v_cmp_lt_u32_e64 s[40:41], v34, v101
	s_and_saveexec_b64 s[44:45], s[40:41]
	s_cbranch_execnz .LBB1330_473
.LBB1330_437:                           ;   in Loop: Header=BB1330_394 Depth=2
	s_or_b64 exec, exec, s[44:45]
	v_cmp_lt_u32_e64 s[42:43], v35, v101
	s_and_saveexec_b64 s[46:47], s[42:43]
	s_cbranch_execnz .LBB1330_474
.LBB1330_438:                           ;   in Loop: Header=BB1330_394 Depth=2
	s_or_b64 exec, exec, s[46:47]
	v_cmp_lt_u32_e64 s[44:45], v38, v101
	s_and_saveexec_b64 s[48:49], s[44:45]
	s_cbranch_execnz .LBB1330_475
.LBB1330_439:                           ;   in Loop: Header=BB1330_394 Depth=2
	s_or_b64 exec, exec, s[48:49]
	v_cmp_lt_u32_e64 s[46:47], v39, v101
	s_and_saveexec_b64 s[50:51], s[46:47]
	s_cbranch_execnz .LBB1330_476
.LBB1330_440:                           ;   in Loop: Header=BB1330_394 Depth=2
	s_or_b64 exec, exec, s[50:51]
	v_cmp_lt_u32_e64 s[48:49], v40, v101
	s_and_saveexec_b64 s[52:53], s[48:49]
	s_cbranch_execnz .LBB1330_477
.LBB1330_441:                           ;   in Loop: Header=BB1330_394 Depth=2
	s_or_b64 exec, exec, s[52:53]
	v_cmp_lt_u32_e64 s[50:51], v41, v101
	s_and_saveexec_b64 s[60:61], s[50:51]
	s_cbranch_execz .LBB1330_443
.LBB1330_442:                           ;   in Loop: Header=BB1330_394 Depth=2
	ds_read_b32 v12, v50 offset:8192
	v_mov_b32_e32 v13, v3
	v_mov_b32_e32 v102, s67
	s_waitcnt lgkmcnt(0)
	v_cmp_ne_u32_e64 s[52:53], s7, v12
	v_cndmask_b32_e64 v30, v73, v12, s[52:53]
	v_lshrrev_b32_e32 v30, s77, v30
	v_and_b32_e32 v30, s63, v30
	v_lshlrev_b32_e32 v30, 2, v30
	ds_read_b32 v30, v30
	v_cmp_gt_i32_e64 s[52:53], 0, v12
	v_cndmask_b32_e64 v104, v73, 0, s[52:53]
	v_xor_b32_e32 v104, v104, v12
	s_waitcnt lgkmcnt(0)
	v_add_u32_e32 v12, v30, v41
	v_lshlrev_b64 v[12:13], 2, v[12:13]
	v_add_co_u32_e64 v12, s[52:53], s66, v12
	v_addc_co_u32_e64 v13, s[52:53], v102, v13, s[52:53]
	global_store_dword v[12:13], v104, off
.LBB1330_443:                           ;   in Loop: Header=BB1330_394 Depth=2
	s_or_b64 exec, exec, s[60:61]
	s_lshl_b64 s[52:53], s[58:59], 3
	v_mov_b32_e32 v13, s53
	v_add_co_u32_e64 v12, s[52:53], s52, v87
	v_addc_co_u32_e64 v13, s[52:53], v89, v13, s[52:53]
	v_cmp_lt_u32_e64 s[52:53], v84, v101
	s_and_saveexec_b64 s[60:61], s[52:53]
	s_xor_b64 s[52:53], exec, s[60:61]
	s_cbranch_execnz .LBB1330_478
; %bb.444:                              ;   in Loop: Header=BB1330_394 Depth=2
	s_or_b64 exec, exec, s[52:53]
	v_cmp_lt_u32_e64 s[52:53], v91, v101
	s_and_saveexec_b64 s[60:61], s[52:53]
	s_cbranch_execnz .LBB1330_479
.LBB1330_445:                           ;   in Loop: Header=BB1330_394 Depth=2
	s_or_b64 exec, exec, s[60:61]
	v_cmp_lt_u32_e64 s[52:53], v92, v101
	s_and_saveexec_b64 s[60:61], s[52:53]
	s_cbranch_execnz .LBB1330_480
.LBB1330_446:                           ;   in Loop: Header=BB1330_394 Depth=2
	s_or_b64 exec, exec, s[60:61]
	v_cmp_lt_u32_e64 s[52:53], v93, v101
	s_and_saveexec_b64 s[60:61], s[52:53]
	s_cbranch_execnz .LBB1330_481
.LBB1330_447:                           ;   in Loop: Header=BB1330_394 Depth=2
	s_or_b64 exec, exec, s[60:61]
	v_cmp_lt_u32_e64 s[52:53], v94, v101
	s_and_saveexec_b64 s[60:61], s[52:53]
	s_cbranch_execnz .LBB1330_482
.LBB1330_448:                           ;   in Loop: Header=BB1330_394 Depth=2
	s_or_b64 exec, exec, s[60:61]
	v_cmp_lt_u32_e64 s[52:53], v95, v101
	s_and_saveexec_b64 s[60:61], s[52:53]
	s_cbranch_execnz .LBB1330_483
.LBB1330_449:                           ;   in Loop: Header=BB1330_394 Depth=2
	s_or_b64 exec, exec, s[60:61]
	v_cmp_lt_u32_e64 s[52:53], v96, v101
	s_and_saveexec_b64 s[60:61], s[52:53]
	s_cbranch_execnz .LBB1330_484
.LBB1330_450:                           ;   in Loop: Header=BB1330_394 Depth=2
	s_or_b64 exec, exec, s[60:61]
	v_cmp_lt_u32_e64 s[52:53], v97, v101
	s_and_saveexec_b64 s[60:61], s[52:53]
	s_cbranch_execnz .LBB1330_485
.LBB1330_451:                           ;   in Loop: Header=BB1330_394 Depth=2
	s_or_b64 exec, exec, s[60:61]
	s_and_saveexec_b64 s[60:61], vcc
	s_cbranch_execnz .LBB1330_486
.LBB1330_452:                           ;   in Loop: Header=BB1330_394 Depth=2
	s_or_b64 exec, exec, s[60:61]
	s_and_saveexec_b64 s[60:61], s[38:39]
	s_cbranch_execnz .LBB1330_487
.LBB1330_453:                           ;   in Loop: Header=BB1330_394 Depth=2
	s_or_b64 exec, exec, s[60:61]
	s_and_saveexec_b64 s[60:61], s[40:41]
	s_cbranch_execnz .LBB1330_488
.LBB1330_454:                           ;   in Loop: Header=BB1330_394 Depth=2
	s_or_b64 exec, exec, s[60:61]
	s_and_saveexec_b64 s[60:61], s[42:43]
	s_cbranch_execnz .LBB1330_489
.LBB1330_455:                           ;   in Loop: Header=BB1330_394 Depth=2
	s_or_b64 exec, exec, s[60:61]
	s_and_saveexec_b64 s[60:61], s[44:45]
	s_cbranch_execnz .LBB1330_490
.LBB1330_456:                           ;   in Loop: Header=BB1330_394 Depth=2
	s_or_b64 exec, exec, s[60:61]
	s_and_saveexec_b64 s[60:61], s[46:47]
	s_cbranch_execnz .LBB1330_491
.LBB1330_457:                           ;   in Loop: Header=BB1330_394 Depth=2
	s_or_b64 exec, exec, s[60:61]
	s_and_saveexec_b64 s[60:61], s[48:49]
	s_cbranch_execnz .LBB1330_492
.LBB1330_458:                           ;   in Loop: Header=BB1330_394 Depth=2
	s_or_b64 exec, exec, s[60:61]
	s_and_saveexec_b64 s[60:61], s[50:51]
	s_cbranch_execz .LBB1330_460
.LBB1330_459:                           ;   in Loop: Header=BB1330_394 Depth=2
	ds_read_b32 v12, v50 offset:8192
	s_waitcnt lgkmcnt(0)
	v_cmp_ne_u32_e64 s[52:53], s7, v12
	v_cndmask_b32_e64 v12, v73, v12, s[52:53]
	v_lshrrev_b32_e32 v12, s77, v12
	v_and_b32_e32 v80, s63, v12
.LBB1330_460:                           ;   in Loop: Header=BB1330_394 Depth=2
	s_or_b64 exec, exec, s[60:61]
	v_lshlrev_b32_e32 v12, 3, v103
	s_waitcnt vmcnt(0)
	s_barrier
	ds_write_b64 v12, v[28:29] offset:1024
	v_lshlrev_b32_e32 v12, 3, v31
	ds_write_b64 v12, v[26:27] offset:1024
	v_lshlrev_b32_e32 v12, 3, v19
	ds_write_b64 v12, v[24:25] offset:1024
	v_lshlrev_b32_e32 v12, 3, v18
	ds_write_b64 v12, v[22:23] offset:1024
	v_lshlrev_b32_e32 v12, 3, v17
	ds_write_b64 v12, v[20:21] offset:1024
	v_lshlrev_b32_e32 v12, 3, v16
	ds_write_b64 v12, v[9:10] offset:1024
	v_lshlrev_b32_e32 v12, 3, v15
	ds_write_b64 v12, v[7:8] offset:1024
	v_lshlrev_b32_e32 v12, 3, v14
	ds_write_b64 v12, v[5:6] offset:1024
	s_waitcnt lgkmcnt(0)
	s_barrier
	s_and_saveexec_b64 s[52:53], vcc
	s_cbranch_execnz .LBB1330_493
; %bb.461:                              ;   in Loop: Header=BB1330_394 Depth=2
	s_or_b64 exec, exec, s[52:53]
	s_and_saveexec_b64 s[52:53], s[38:39]
	s_cbranch_execnz .LBB1330_494
.LBB1330_462:                           ;   in Loop: Header=BB1330_394 Depth=2
	s_or_b64 exec, exec, s[52:53]
	s_and_saveexec_b64 s[38:39], s[40:41]
	s_cbranch_execnz .LBB1330_495
.LBB1330_463:                           ;   in Loop: Header=BB1330_394 Depth=2
	s_or_b64 exec, exec, s[38:39]
	s_and_saveexec_b64 s[38:39], s[42:43]
	s_cbranch_execnz .LBB1330_496
.LBB1330_464:                           ;   in Loop: Header=BB1330_394 Depth=2
	s_or_b64 exec, exec, s[38:39]
	s_and_saveexec_b64 s[38:39], s[44:45]
	s_cbranch_execnz .LBB1330_497
.LBB1330_465:                           ;   in Loop: Header=BB1330_394 Depth=2
	s_or_b64 exec, exec, s[38:39]
	s_and_saveexec_b64 s[38:39], s[46:47]
	s_cbranch_execnz .LBB1330_498
.LBB1330_466:                           ;   in Loop: Header=BB1330_394 Depth=2
	s_or_b64 exec, exec, s[38:39]
	s_and_saveexec_b64 s[38:39], s[48:49]
	s_cbranch_execnz .LBB1330_499
.LBB1330_467:                           ;   in Loop: Header=BB1330_394 Depth=2
	s_or_b64 exec, exec, s[38:39]
	s_and_saveexec_b64 s[38:39], s[50:51]
	s_cbranch_execz .LBB1330_469
.LBB1330_468:                           ;   in Loop: Header=BB1330_394 Depth=2
	v_lshlrev_b32_e32 v12, 2, v80
	ds_read_b32 v14, v12
	v_add_u32_e32 v12, v50, v32
	ds_read_b64 v[12:13], v12 offset:15360
	v_mov_b32_e32 v15, v3
	v_mov_b32_e32 v16, s73
	s_waitcnt lgkmcnt(1)
	v_add_u32_e32 v14, v14, v41
	v_lshlrev_b64 v[14:15], 3, v[14:15]
	v_add_co_u32_e32 v14, vcc, s72, v14
	v_addc_co_u32_e32 v15, vcc, v16, v15, vcc
	s_waitcnt lgkmcnt(0)
	global_store_dwordx2 v[14:15], v[12:13], off
.LBB1330_469:                           ;   in Loop: Header=BB1330_394 Depth=2
	s_or_b64 exec, exec, s[38:39]
	s_waitcnt vmcnt(0)
	s_barrier
	s_and_saveexec_b64 s[38:39], s[4:5]
	s_cbranch_execz .LBB1330_393
; %bb.470:                              ;   in Loop: Header=BB1330_394 Depth=2
	ds_read_b32 v12, v32
	s_waitcnt lgkmcnt(0)
	v_add_u32_e32 v4, v12, v4
	ds_write_b32 v32, v4
	s_branch .LBB1330_393
.LBB1330_471:                           ;   in Loop: Header=BB1330_394 Depth=2
	ds_read_b32 v12, v50 offset:1024
	v_mov_b32_e32 v13, v3
	v_mov_b32_e32 v102, s67
	s_waitcnt lgkmcnt(0)
	v_cmp_ne_u32_e64 s[38:39], s7, v12
	v_cndmask_b32_e64 v30, v73, v12, s[38:39]
	v_lshrrev_b32_e32 v30, s77, v30
	v_and_b32_e32 v30, s63, v30
	v_lshlrev_b32_e32 v30, 2, v30
	ds_read_b32 v30, v30
	v_cmp_gt_i32_e64 s[38:39], 0, v12
	v_cndmask_b32_e64 v104, v73, 0, s[38:39]
	v_xor_b32_e32 v104, v104, v12
	s_waitcnt lgkmcnt(0)
	v_add_u32_e32 v12, v30, v0
	v_lshlrev_b64 v[12:13], 2, v[12:13]
	v_add_co_u32_e64 v12, s[38:39], s66, v12
	v_addc_co_u32_e64 v13, s[38:39], v102, v13, s[38:39]
	global_store_dword v[12:13], v104, off
	s_or_b64 exec, exec, s[40:41]
	v_cmp_lt_u32_e64 s[38:39], v33, v101
	s_and_saveexec_b64 s[42:43], s[38:39]
	s_cbranch_execz .LBB1330_436
.LBB1330_472:                           ;   in Loop: Header=BB1330_394 Depth=2
	ds_read_b32 v12, v50 offset:2048
	v_mov_b32_e32 v13, v3
	v_mov_b32_e32 v102, s67
	s_waitcnt lgkmcnt(0)
	v_cmp_ne_u32_e64 s[40:41], s7, v12
	v_cndmask_b32_e64 v30, v73, v12, s[40:41]
	v_lshrrev_b32_e32 v30, s77, v30
	v_and_b32_e32 v30, s63, v30
	v_lshlrev_b32_e32 v30, 2, v30
	ds_read_b32 v30, v30
	v_cmp_gt_i32_e64 s[40:41], 0, v12
	v_cndmask_b32_e64 v104, v73, 0, s[40:41]
	v_xor_b32_e32 v104, v104, v12
	s_waitcnt lgkmcnt(0)
	v_add_u32_e32 v12, v30, v33
	v_lshlrev_b64 v[12:13], 2, v[12:13]
	v_add_co_u32_e64 v12, s[40:41], s66, v12
	v_addc_co_u32_e64 v13, s[40:41], v102, v13, s[40:41]
	global_store_dword v[12:13], v104, off
	s_or_b64 exec, exec, s[42:43]
	v_cmp_lt_u32_e64 s[40:41], v34, v101
	s_and_saveexec_b64 s[44:45], s[40:41]
	s_cbranch_execz .LBB1330_437
.LBB1330_473:                           ;   in Loop: Header=BB1330_394 Depth=2
	ds_read_b32 v12, v50 offset:3072
	v_mov_b32_e32 v13, v3
	v_mov_b32_e32 v102, s67
	s_waitcnt lgkmcnt(0)
	v_cmp_ne_u32_e64 s[42:43], s7, v12
	v_cndmask_b32_e64 v30, v73, v12, s[42:43]
	v_lshrrev_b32_e32 v30, s77, v30
	v_and_b32_e32 v30, s63, v30
	v_lshlrev_b32_e32 v30, 2, v30
	ds_read_b32 v30, v30
	v_cmp_gt_i32_e64 s[42:43], 0, v12
	v_cndmask_b32_e64 v104, v73, 0, s[42:43]
	v_xor_b32_e32 v104, v104, v12
	s_waitcnt lgkmcnt(0)
	v_add_u32_e32 v12, v30, v34
	v_lshlrev_b64 v[12:13], 2, v[12:13]
	v_add_co_u32_e64 v12, s[42:43], s66, v12
	v_addc_co_u32_e64 v13, s[42:43], v102, v13, s[42:43]
	global_store_dword v[12:13], v104, off
	s_or_b64 exec, exec, s[44:45]
	v_cmp_lt_u32_e64 s[42:43], v35, v101
	s_and_saveexec_b64 s[46:47], s[42:43]
	s_cbranch_execz .LBB1330_438
.LBB1330_474:                           ;   in Loop: Header=BB1330_394 Depth=2
	ds_read_b32 v12, v50 offset:4096
	v_mov_b32_e32 v13, v3
	v_mov_b32_e32 v102, s67
	s_waitcnt lgkmcnt(0)
	v_cmp_ne_u32_e64 s[44:45], s7, v12
	v_cndmask_b32_e64 v30, v73, v12, s[44:45]
	v_lshrrev_b32_e32 v30, s77, v30
	v_and_b32_e32 v30, s63, v30
	v_lshlrev_b32_e32 v30, 2, v30
	ds_read_b32 v30, v30
	v_cmp_gt_i32_e64 s[44:45], 0, v12
	v_cndmask_b32_e64 v104, v73, 0, s[44:45]
	v_xor_b32_e32 v104, v104, v12
	s_waitcnt lgkmcnt(0)
	v_add_u32_e32 v12, v30, v35
	v_lshlrev_b64 v[12:13], 2, v[12:13]
	v_add_co_u32_e64 v12, s[44:45], s66, v12
	v_addc_co_u32_e64 v13, s[44:45], v102, v13, s[44:45]
	global_store_dword v[12:13], v104, off
	s_or_b64 exec, exec, s[46:47]
	v_cmp_lt_u32_e64 s[44:45], v38, v101
	s_and_saveexec_b64 s[48:49], s[44:45]
	s_cbranch_execz .LBB1330_439
.LBB1330_475:                           ;   in Loop: Header=BB1330_394 Depth=2
	ds_read_b32 v12, v50 offset:5120
	v_mov_b32_e32 v13, v3
	v_mov_b32_e32 v102, s67
	s_waitcnt lgkmcnt(0)
	v_cmp_ne_u32_e64 s[46:47], s7, v12
	v_cndmask_b32_e64 v30, v73, v12, s[46:47]
	v_lshrrev_b32_e32 v30, s77, v30
	v_and_b32_e32 v30, s63, v30
	v_lshlrev_b32_e32 v30, 2, v30
	ds_read_b32 v30, v30
	v_cmp_gt_i32_e64 s[46:47], 0, v12
	v_cndmask_b32_e64 v104, v73, 0, s[46:47]
	v_xor_b32_e32 v104, v104, v12
	s_waitcnt lgkmcnt(0)
	v_add_u32_e32 v12, v30, v38
	v_lshlrev_b64 v[12:13], 2, v[12:13]
	v_add_co_u32_e64 v12, s[46:47], s66, v12
	v_addc_co_u32_e64 v13, s[46:47], v102, v13, s[46:47]
	global_store_dword v[12:13], v104, off
	s_or_b64 exec, exec, s[48:49]
	v_cmp_lt_u32_e64 s[46:47], v39, v101
	s_and_saveexec_b64 s[50:51], s[46:47]
	s_cbranch_execz .LBB1330_440
.LBB1330_476:                           ;   in Loop: Header=BB1330_394 Depth=2
	ds_read_b32 v12, v50 offset:6144
	v_mov_b32_e32 v13, v3
	v_mov_b32_e32 v102, s67
	s_waitcnt lgkmcnt(0)
	v_cmp_ne_u32_e64 s[48:49], s7, v12
	v_cndmask_b32_e64 v30, v73, v12, s[48:49]
	v_lshrrev_b32_e32 v30, s77, v30
	v_and_b32_e32 v30, s63, v30
	v_lshlrev_b32_e32 v30, 2, v30
	ds_read_b32 v30, v30
	v_cmp_gt_i32_e64 s[48:49], 0, v12
	v_cndmask_b32_e64 v104, v73, 0, s[48:49]
	v_xor_b32_e32 v104, v104, v12
	s_waitcnt lgkmcnt(0)
	v_add_u32_e32 v12, v30, v39
	v_lshlrev_b64 v[12:13], 2, v[12:13]
	v_add_co_u32_e64 v12, s[48:49], s66, v12
	v_addc_co_u32_e64 v13, s[48:49], v102, v13, s[48:49]
	global_store_dword v[12:13], v104, off
	s_or_b64 exec, exec, s[50:51]
	v_cmp_lt_u32_e64 s[48:49], v40, v101
	s_and_saveexec_b64 s[52:53], s[48:49]
	s_cbranch_execz .LBB1330_441
.LBB1330_477:                           ;   in Loop: Header=BB1330_394 Depth=2
	ds_read_b32 v12, v50 offset:7168
	v_mov_b32_e32 v13, v3
	v_mov_b32_e32 v102, s67
	s_waitcnt lgkmcnt(0)
	v_cmp_ne_u32_e64 s[50:51], s7, v12
	v_cndmask_b32_e64 v30, v73, v12, s[50:51]
	v_lshrrev_b32_e32 v30, s77, v30
	v_and_b32_e32 v30, s63, v30
	v_lshlrev_b32_e32 v30, 2, v30
	ds_read_b32 v30, v30
	v_cmp_gt_i32_e64 s[50:51], 0, v12
	v_cndmask_b32_e64 v104, v73, 0, s[50:51]
	v_xor_b32_e32 v104, v104, v12
	s_waitcnt lgkmcnt(0)
	v_add_u32_e32 v12, v30, v40
	v_lshlrev_b64 v[12:13], 2, v[12:13]
	v_add_co_u32_e64 v12, s[50:51], s66, v12
	v_addc_co_u32_e64 v13, s[50:51], v102, v13, s[50:51]
	global_store_dword v[12:13], v104, off
	s_or_b64 exec, exec, s[52:53]
	v_cmp_lt_u32_e64 s[50:51], v41, v101
	s_and_saveexec_b64 s[60:61], s[50:51]
	s_cbranch_execnz .LBB1330_442
	s_branch .LBB1330_443
.LBB1330_478:                           ;   in Loop: Header=BB1330_394 Depth=2
	global_load_dwordx2 v[28:29], v[12:13], off
	s_or_b64 exec, exec, s[52:53]
	v_cmp_lt_u32_e64 s[52:53], v91, v101
	s_and_saveexec_b64 s[60:61], s[52:53]
	s_cbranch_execz .LBB1330_445
.LBB1330_479:                           ;   in Loop: Header=BB1330_394 Depth=2
	global_load_dwordx2 v[26:27], v[12:13], off offset:512
	s_or_b64 exec, exec, s[60:61]
	v_cmp_lt_u32_e64 s[52:53], v92, v101
	s_and_saveexec_b64 s[60:61], s[52:53]
	s_cbranch_execz .LBB1330_446
.LBB1330_480:                           ;   in Loop: Header=BB1330_394 Depth=2
	global_load_dwordx2 v[24:25], v[12:13], off offset:1024
	s_or_b64 exec, exec, s[60:61]
	v_cmp_lt_u32_e64 s[52:53], v93, v101
	s_and_saveexec_b64 s[60:61], s[52:53]
	s_cbranch_execz .LBB1330_447
.LBB1330_481:                           ;   in Loop: Header=BB1330_394 Depth=2
	global_load_dwordx2 v[22:23], v[12:13], off offset:1536
	s_or_b64 exec, exec, s[60:61]
	v_cmp_lt_u32_e64 s[52:53], v94, v101
	s_and_saveexec_b64 s[60:61], s[52:53]
	s_cbranch_execz .LBB1330_448
.LBB1330_482:                           ;   in Loop: Header=BB1330_394 Depth=2
	global_load_dwordx2 v[20:21], v[12:13], off offset:2048
	s_or_b64 exec, exec, s[60:61]
	v_cmp_lt_u32_e64 s[52:53], v95, v101
	s_and_saveexec_b64 s[60:61], s[52:53]
	s_cbranch_execz .LBB1330_449
.LBB1330_483:                           ;   in Loop: Header=BB1330_394 Depth=2
	global_load_dwordx2 v[9:10], v[12:13], off offset:2560
	s_or_b64 exec, exec, s[60:61]
	v_cmp_lt_u32_e64 s[52:53], v96, v101
	s_and_saveexec_b64 s[60:61], s[52:53]
	s_cbranch_execz .LBB1330_450
.LBB1330_484:                           ;   in Loop: Header=BB1330_394 Depth=2
	global_load_dwordx2 v[7:8], v[12:13], off offset:3072
	s_or_b64 exec, exec, s[60:61]
	v_cmp_lt_u32_e64 s[52:53], v97, v101
	s_and_saveexec_b64 s[60:61], s[52:53]
	s_cbranch_execz .LBB1330_451
.LBB1330_485:                           ;   in Loop: Header=BB1330_394 Depth=2
	global_load_dwordx2 v[5:6], v[12:13], off offset:3584
	s_or_b64 exec, exec, s[60:61]
	s_and_saveexec_b64 s[60:61], vcc
	s_cbranch_execz .LBB1330_452
.LBB1330_486:                           ;   in Loop: Header=BB1330_394 Depth=2
	ds_read_b32 v12, v50 offset:1024
	s_waitcnt lgkmcnt(0)
	v_cmp_ne_u32_e64 s[52:53], s7, v12
	v_cndmask_b32_e64 v12, v73, v12, s[52:53]
	v_lshrrev_b32_e32 v12, s77, v12
	v_and_b32_e32 v90, s63, v12
	s_or_b64 exec, exec, s[60:61]
	s_and_saveexec_b64 s[60:61], s[38:39]
	s_cbranch_execz .LBB1330_453
.LBB1330_487:                           ;   in Loop: Header=BB1330_394 Depth=2
	ds_read_b32 v12, v50 offset:2048
	s_waitcnt lgkmcnt(0)
	v_cmp_ne_u32_e64 s[52:53], s7, v12
	v_cndmask_b32_e64 v12, v73, v12, s[52:53]
	v_lshrrev_b32_e32 v12, s77, v12
	v_and_b32_e32 v88, s63, v12
	s_or_b64 exec, exec, s[60:61]
	s_and_saveexec_b64 s[60:61], s[40:41]
	s_cbranch_execz .LBB1330_454
.LBB1330_488:                           ;   in Loop: Header=BB1330_394 Depth=2
	ds_read_b32 v12, v50 offset:3072
	s_waitcnt lgkmcnt(0)
	v_cmp_ne_u32_e64 s[52:53], s7, v12
	v_cndmask_b32_e64 v12, v73, v12, s[52:53]
	v_lshrrev_b32_e32 v12, s77, v12
	v_and_b32_e32 v86, s63, v12
	s_or_b64 exec, exec, s[60:61]
	s_and_saveexec_b64 s[60:61], s[42:43]
	s_cbranch_execz .LBB1330_455
.LBB1330_489:                           ;   in Loop: Header=BB1330_394 Depth=2
	ds_read_b32 v12, v50 offset:4096
	s_waitcnt lgkmcnt(0)
	v_cmp_ne_u32_e64 s[52:53], s7, v12
	v_cndmask_b32_e64 v12, v73, v12, s[52:53]
	v_lshrrev_b32_e32 v12, s77, v12
	v_and_b32_e32 v85, s63, v12
	s_or_b64 exec, exec, s[60:61]
	s_and_saveexec_b64 s[60:61], s[44:45]
	s_cbranch_execz .LBB1330_456
.LBB1330_490:                           ;   in Loop: Header=BB1330_394 Depth=2
	ds_read_b32 v12, v50 offset:5120
	s_waitcnt lgkmcnt(0)
	v_cmp_ne_u32_e64 s[52:53], s7, v12
	v_cndmask_b32_e64 v12, v73, v12, s[52:53]
	v_lshrrev_b32_e32 v12, s77, v12
	v_and_b32_e32 v83, s63, v12
	s_or_b64 exec, exec, s[60:61]
	s_and_saveexec_b64 s[60:61], s[46:47]
	s_cbranch_execz .LBB1330_457
.LBB1330_491:                           ;   in Loop: Header=BB1330_394 Depth=2
	ds_read_b32 v12, v50 offset:6144
	s_waitcnt lgkmcnt(0)
	v_cmp_ne_u32_e64 s[52:53], s7, v12
	v_cndmask_b32_e64 v12, v73, v12, s[52:53]
	v_lshrrev_b32_e32 v12, s77, v12
	v_and_b32_e32 v82, s63, v12
	s_or_b64 exec, exec, s[60:61]
	s_and_saveexec_b64 s[60:61], s[48:49]
	s_cbranch_execz .LBB1330_458
.LBB1330_492:                           ;   in Loop: Header=BB1330_394 Depth=2
	ds_read_b32 v12, v50 offset:7168
	s_waitcnt lgkmcnt(0)
	v_cmp_ne_u32_e64 s[52:53], s7, v12
	v_cndmask_b32_e64 v12, v73, v12, s[52:53]
	v_lshrrev_b32_e32 v12, s77, v12
	v_and_b32_e32 v81, s63, v12
	s_or_b64 exec, exec, s[60:61]
	s_and_saveexec_b64 s[60:61], s[50:51]
	s_cbranch_execnz .LBB1330_459
	s_branch .LBB1330_460
.LBB1330_493:                           ;   in Loop: Header=BB1330_394 Depth=2
	v_lshlrev_b32_e32 v12, 2, v90
	ds_read_b32 v14, v12
	v_add_u32_e32 v12, v50, v32
	ds_read_b64 v[12:13], v12 offset:1024
	v_mov_b32_e32 v15, v3
	v_mov_b32_e32 v16, s73
	s_waitcnt lgkmcnt(1)
	v_add_u32_e32 v14, v14, v0
	v_lshlrev_b64 v[14:15], 3, v[14:15]
	v_add_co_u32_e32 v14, vcc, s72, v14
	v_addc_co_u32_e32 v15, vcc, v16, v15, vcc
	s_waitcnt lgkmcnt(0)
	global_store_dwordx2 v[14:15], v[12:13], off
	s_or_b64 exec, exec, s[52:53]
	s_and_saveexec_b64 s[52:53], s[38:39]
	s_cbranch_execz .LBB1330_462
.LBB1330_494:                           ;   in Loop: Header=BB1330_394 Depth=2
	v_lshlrev_b32_e32 v12, 2, v88
	ds_read_b32 v14, v12
	v_add_u32_e32 v12, v50, v32
	ds_read_b64 v[12:13], v12 offset:3072
	v_mov_b32_e32 v15, v3
	v_mov_b32_e32 v16, s73
	s_waitcnt lgkmcnt(1)
	v_add_u32_e32 v14, v14, v33
	v_lshlrev_b64 v[14:15], 3, v[14:15]
	v_add_co_u32_e32 v14, vcc, s72, v14
	v_addc_co_u32_e32 v15, vcc, v16, v15, vcc
	s_waitcnt lgkmcnt(0)
	global_store_dwordx2 v[14:15], v[12:13], off
	s_or_b64 exec, exec, s[52:53]
	s_and_saveexec_b64 s[38:39], s[40:41]
	s_cbranch_execz .LBB1330_463
.LBB1330_495:                           ;   in Loop: Header=BB1330_394 Depth=2
	v_lshlrev_b32_e32 v12, 2, v86
	ds_read_b32 v14, v12
	v_add_u32_e32 v12, v50, v32
	ds_read_b64 v[12:13], v12 offset:5120
	v_mov_b32_e32 v15, v3
	v_mov_b32_e32 v16, s73
	s_waitcnt lgkmcnt(1)
	v_add_u32_e32 v14, v14, v34
	v_lshlrev_b64 v[14:15], 3, v[14:15]
	v_add_co_u32_e32 v14, vcc, s72, v14
	v_addc_co_u32_e32 v15, vcc, v16, v15, vcc
	s_waitcnt lgkmcnt(0)
	global_store_dwordx2 v[14:15], v[12:13], off
	s_or_b64 exec, exec, s[38:39]
	s_and_saveexec_b64 s[38:39], s[42:43]
	s_cbranch_execz .LBB1330_464
.LBB1330_496:                           ;   in Loop: Header=BB1330_394 Depth=2
	v_lshlrev_b32_e32 v12, 2, v85
	ds_read_b32 v14, v12
	v_add_u32_e32 v12, v50, v32
	ds_read_b64 v[12:13], v12 offset:7168
	v_mov_b32_e32 v15, v3
	v_mov_b32_e32 v16, s73
	s_waitcnt lgkmcnt(1)
	v_add_u32_e32 v14, v14, v35
	v_lshlrev_b64 v[14:15], 3, v[14:15]
	v_add_co_u32_e32 v14, vcc, s72, v14
	v_addc_co_u32_e32 v15, vcc, v16, v15, vcc
	s_waitcnt lgkmcnt(0)
	global_store_dwordx2 v[14:15], v[12:13], off
	s_or_b64 exec, exec, s[38:39]
	s_and_saveexec_b64 s[38:39], s[44:45]
	s_cbranch_execz .LBB1330_465
.LBB1330_497:                           ;   in Loop: Header=BB1330_394 Depth=2
	v_lshlrev_b32_e32 v12, 2, v83
	ds_read_b32 v14, v12
	v_add_u32_e32 v12, v50, v32
	ds_read_b64 v[12:13], v12 offset:9216
	v_mov_b32_e32 v15, v3
	v_mov_b32_e32 v16, s73
	s_waitcnt lgkmcnt(1)
	v_add_u32_e32 v14, v14, v38
	v_lshlrev_b64 v[14:15], 3, v[14:15]
	v_add_co_u32_e32 v14, vcc, s72, v14
	v_addc_co_u32_e32 v15, vcc, v16, v15, vcc
	s_waitcnt lgkmcnt(0)
	global_store_dwordx2 v[14:15], v[12:13], off
	s_or_b64 exec, exec, s[38:39]
	s_and_saveexec_b64 s[38:39], s[46:47]
	s_cbranch_execz .LBB1330_466
.LBB1330_498:                           ;   in Loop: Header=BB1330_394 Depth=2
	v_lshlrev_b32_e32 v12, 2, v82
	ds_read_b32 v14, v12
	v_add_u32_e32 v12, v50, v32
	ds_read_b64 v[12:13], v12 offset:11264
	v_mov_b32_e32 v15, v3
	v_mov_b32_e32 v16, s73
	s_waitcnt lgkmcnt(1)
	v_add_u32_e32 v14, v14, v39
	v_lshlrev_b64 v[14:15], 3, v[14:15]
	v_add_co_u32_e32 v14, vcc, s72, v14
	v_addc_co_u32_e32 v15, vcc, v16, v15, vcc
	s_waitcnt lgkmcnt(0)
	global_store_dwordx2 v[14:15], v[12:13], off
	s_or_b64 exec, exec, s[38:39]
	s_and_saveexec_b64 s[38:39], s[48:49]
	s_cbranch_execz .LBB1330_467
.LBB1330_499:                           ;   in Loop: Header=BB1330_394 Depth=2
	v_lshlrev_b32_e32 v12, 2, v81
	ds_read_b32 v14, v12
	v_add_u32_e32 v12, v50, v32
	ds_read_b64 v[12:13], v12 offset:13312
	v_mov_b32_e32 v15, v3
	v_mov_b32_e32 v16, s73
	s_waitcnt lgkmcnt(1)
	v_add_u32_e32 v14, v14, v40
	v_lshlrev_b64 v[14:15], 3, v[14:15]
	v_add_co_u32_e32 v14, vcc, s72, v14
	v_addc_co_u32_e32 v15, vcc, v16, v15, vcc
	s_waitcnt lgkmcnt(0)
	global_store_dwordx2 v[14:15], v[12:13], off
	s_or_b64 exec, exec, s[38:39]
	s_and_saveexec_b64 s[38:39], s[50:51]
	s_cbranch_execnz .LBB1330_468
	s_branch .LBB1330_469
.LBB1330_500:                           ;   in Loop: Header=BB1330_394 Depth=2
	global_load_dword v12, v[30:31], off
	v_mov_b32_e32 v13, v11
	v_mov_b32_e32 v14, v11
	;; [unrolled: 1-line block ×7, first 2 shown]
	s_or_b64 exec, exec, s[38:39]
	v_cmp_gt_u32_e32 vcc, s70, v91
	s_and_saveexec_b64 s[38:39], vcc
	s_cbranch_execz .LBB1330_399
.LBB1330_501:                           ;   in Loop: Header=BB1330_394 Depth=2
	global_load_dword v13, v[30:31], off offset:256
	s_or_b64 exec, exec, s[38:39]
	v_cmp_gt_u32_e32 vcc, s70, v92
	s_and_saveexec_b64 s[38:39], vcc
	s_cbranch_execz .LBB1330_400
.LBB1330_502:                           ;   in Loop: Header=BB1330_394 Depth=2
	global_load_dword v14, v[30:31], off offset:512
	s_or_b64 exec, exec, s[38:39]
	v_cmp_gt_u32_e32 vcc, s70, v93
	s_and_saveexec_b64 s[38:39], vcc
	s_cbranch_execz .LBB1330_401
.LBB1330_503:                           ;   in Loop: Header=BB1330_394 Depth=2
	global_load_dword v15, v[30:31], off offset:768
	s_or_b64 exec, exec, s[38:39]
	v_cmp_gt_u32_e32 vcc, s70, v94
	s_and_saveexec_b64 s[38:39], vcc
	s_cbranch_execz .LBB1330_402
.LBB1330_504:                           ;   in Loop: Header=BB1330_394 Depth=2
	global_load_dword v16, v[30:31], off offset:1024
	s_or_b64 exec, exec, s[38:39]
	v_cmp_gt_u32_e32 vcc, s70, v95
	s_and_saveexec_b64 s[38:39], vcc
	s_cbranch_execz .LBB1330_403
.LBB1330_505:                           ;   in Loop: Header=BB1330_394 Depth=2
	global_load_dword v17, v[30:31], off offset:1280
	s_or_b64 exec, exec, s[38:39]
	v_cmp_gt_u32_e32 vcc, s70, v96
	s_and_saveexec_b64 s[38:39], vcc
	s_cbranch_execnz .LBB1330_404
	s_branch .LBB1330_405
.LBB1330_506:                           ;   in Loop: Header=BB1330_12 Depth=1
	s_waitcnt lgkmcnt(0)
	s_barrier
	s_mov_b64 s[18:19], 0
.LBB1330_507:                           ;   in Loop: Header=BB1330_12 Depth=1
	s_and_b64 vcc, exec, s[18:19]
	s_cbranch_vccz .LBB1330_11
; %bb.508:                              ;   in Loop: Header=BB1330_12 Depth=1
	v_mov_b32_e32 v10, v3
	v_mov_b32_e32 v4, v3
	;; [unrolled: 1-line block ×8, first 2 shown]
	s_mov_b32 s22, s79
	s_mov_b32 s58, s80
	v_mov_b32_e32 v18, v9
	v_mov_b32_e32 v17, v8
	;; [unrolled: 1-line block ×7, first 2 shown]
	s_barrier
	s_branch .LBB1330_510
.LBB1330_509:                           ;   in Loop: Header=BB1330_510 Depth=2
	s_or_b64 exec, exec, s[18:19]
	s_addk_i32 s22, 0xf800
	s_cmp_ge_u32 s23, s81
	s_mov_b32 s58, s23
	s_cbranch_scc1 .LBB1330_546
.LBB1330_510:                           ;   Parent Loop BB1330_12 Depth=1
                                        ; =>  This Inner Loop Header: Depth=2
	s_add_i32 s23, s58, 0x800
	s_cmp_gt_u32 s23, s81
	s_mov_b64 s[18:19], -1
                                        ; implicit-def: $vgpr20_vgpr21_vgpr22_vgpr23_vgpr24_vgpr25_vgpr26_vgpr27
	s_cbranch_scc1 .LBB1330_512
; %bb.511:                              ;   in Loop: Header=BB1330_510 Depth=2
	s_lshl_b64 s[18:19], s[58:59], 2
	v_mov_b32_e32 v5, s19
	v_add_co_u32_e32 v4, vcc, s18, v61
	v_addc_co_u32_e32 v5, vcc, v62, v5, vcc
	v_add_co_u32_e32 v6, vcc, 0x1000, v4
	v_addc_co_u32_e32 v7, vcc, 0, v5, vcc
	global_load_dword v20, v[4:5], off
	global_load_dword v21, v[4:5], off offset:1024
	global_load_dword v22, v[4:5], off offset:2048
	;; [unrolled: 1-line block ×3, first 2 shown]
	global_load_dword v24, v[6:7], off
	global_load_dword v25, v[6:7], off offset:1024
	global_load_dword v26, v[6:7], off offset:2048
	;; [unrolled: 1-line block ×3, first 2 shown]
	s_mov_b64 s[18:19], 0
.LBB1330_512:                           ;   in Loop: Header=BB1330_510 Depth=2
	s_andn2_b64 vcc, exec, s[18:19]
	s_movk_i32 s20, 0x800
	s_cbranch_vccnz .LBB1330_523
; %bb.513:                              ;   in Loop: Header=BB1330_510 Depth=2
	s_lshl_b64 s[18:19], s[58:59], 2
	s_add_u32 s18, s64, s18
	s_addc_u32 s19, s65, s19
	v_cmp_gt_u32_e32 vcc, s22, v0
	s_and_saveexec_b64 s[20:21], vcc
	s_cbranch_execnz .LBB1330_539
; %bb.514:                              ;   in Loop: Header=BB1330_510 Depth=2
	s_or_b64 exec, exec, s[20:21]
	v_cmp_gt_u32_e32 vcc, s22, v33
	s_and_saveexec_b64 s[20:21], vcc
	s_cbranch_execnz .LBB1330_540
.LBB1330_515:                           ;   in Loop: Header=BB1330_510 Depth=2
	s_or_b64 exec, exec, s[20:21]
	v_cmp_gt_u32_e32 vcc, s22, v34
	s_and_saveexec_b64 s[20:21], vcc
	s_cbranch_execnz .LBB1330_541
.LBB1330_516:                           ;   in Loop: Header=BB1330_510 Depth=2
	s_or_b64 exec, exec, s[20:21]
	v_cmp_gt_u32_e32 vcc, s22, v35
	s_and_saveexec_b64 s[20:21], vcc
	s_cbranch_execnz .LBB1330_542
.LBB1330_517:                           ;   in Loop: Header=BB1330_510 Depth=2
	s_or_b64 exec, exec, s[20:21]
	v_cmp_gt_u32_e32 vcc, s22, v38
	s_and_saveexec_b64 s[20:21], vcc
	s_cbranch_execnz .LBB1330_543
.LBB1330_518:                           ;   in Loop: Header=BB1330_510 Depth=2
	s_or_b64 exec, exec, s[20:21]
	v_cmp_gt_u32_e32 vcc, s22, v39
	s_and_saveexec_b64 s[20:21], vcc
	s_cbranch_execnz .LBB1330_544
.LBB1330_519:                           ;   in Loop: Header=BB1330_510 Depth=2
	s_or_b64 exec, exec, s[20:21]
	v_cmp_gt_u32_e32 vcc, s22, v40
	s_and_saveexec_b64 s[20:21], vcc
	s_cbranch_execnz .LBB1330_545
.LBB1330_520:                           ;   in Loop: Header=BB1330_510 Depth=2
	s_or_b64 exec, exec, s[20:21]
	v_cmp_gt_u32_e32 vcc, s22, v41
	s_and_saveexec_b64 s[20:21], vcc
	s_cbranch_execz .LBB1330_522
.LBB1330_521:                           ;   in Loop: Header=BB1330_510 Depth=2
	global_load_dword v19, v72, s[18:19]
.LBB1330_522:                           ;   in Loop: Header=BB1330_510 Depth=2
	s_or_b64 exec, exec, s[20:21]
	s_waitcnt vmcnt(0)
	v_mov_b32_e32 v27, v19
	s_mov_b32 s20, s22
	v_mov_b32_e32 v26, v18
	v_mov_b32_e32 v25, v17
	;; [unrolled: 1-line block ×7, first 2 shown]
.LBB1330_523:                           ;   in Loop: Header=BB1330_510 Depth=2
	s_waitcnt vmcnt(0)
	v_mov_b32_e32 v12, v20
	v_mov_b32_e32 v13, v21
	;; [unrolled: 1-line block ×8, first 2 shown]
	v_cmp_gt_u32_e32 vcc, s20, v0
	s_and_saveexec_b64 s[18:19], vcc
	s_cbranch_execnz .LBB1330_531
; %bb.524:                              ;   in Loop: Header=BB1330_510 Depth=2
	s_or_b64 exec, exec, s[18:19]
	v_cmp_gt_u32_e32 vcc, s20, v33
	s_and_saveexec_b64 s[18:19], vcc
	s_cbranch_execnz .LBB1330_532
.LBB1330_525:                           ;   in Loop: Header=BB1330_510 Depth=2
	s_or_b64 exec, exec, s[18:19]
	v_cmp_gt_u32_e32 vcc, s20, v34
	s_and_saveexec_b64 s[18:19], vcc
	s_cbranch_execnz .LBB1330_533
.LBB1330_526:                           ;   in Loop: Header=BB1330_510 Depth=2
	s_or_b64 exec, exec, s[18:19]
	v_cmp_gt_u32_e32 vcc, s20, v35
	s_and_saveexec_b64 s[18:19], vcc
	s_cbranch_execnz .LBB1330_534
.LBB1330_527:                           ;   in Loop: Header=BB1330_510 Depth=2
	s_or_b64 exec, exec, s[18:19]
	v_cmp_gt_u32_e32 vcc, s20, v38
	s_and_saveexec_b64 s[18:19], vcc
	s_cbranch_execnz .LBB1330_535
.LBB1330_528:                           ;   in Loop: Header=BB1330_510 Depth=2
	s_or_b64 exec, exec, s[18:19]
	v_cmp_gt_u32_e32 vcc, s20, v39
	s_and_saveexec_b64 s[18:19], vcc
	s_cbranch_execnz .LBB1330_536
.LBB1330_529:                           ;   in Loop: Header=BB1330_510 Depth=2
	s_or_b64 exec, exec, s[18:19]
	v_cmp_gt_u32_e32 vcc, s20, v40
	s_and_saveexec_b64 s[18:19], vcc
	s_cbranch_execnz .LBB1330_537
.LBB1330_530:                           ;   in Loop: Header=BB1330_510 Depth=2
	s_or_b64 exec, exec, s[18:19]
	v_cmp_gt_u32_e32 vcc, s20, v41
	s_and_saveexec_b64 s[18:19], vcc
	s_cbranch_execz .LBB1330_509
	s_branch .LBB1330_538
.LBB1330_531:                           ;   in Loop: Header=BB1330_510 Depth=2
	v_cmp_gt_i32_e32 vcc, 0, v12
	v_cndmask_b32_e64 v4, v73, 0, vcc
	v_xor_b32_e32 v4, v4, v12
	v_cmp_ne_u32_e32 vcc, s7, v4
	v_cndmask_b32_e32 v4, v73, v4, vcc
	v_lshrrev_b32_e32 v4, s77, v4
	v_and_b32_e32 v4, s63, v4
	v_lshl_or_b32 v4, v4, 4, v42
	ds_add_u32 v4, v67
	s_or_b64 exec, exec, s[18:19]
	v_cmp_gt_u32_e32 vcc, s20, v33
	s_and_saveexec_b64 s[18:19], vcc
	s_cbranch_execz .LBB1330_525
.LBB1330_532:                           ;   in Loop: Header=BB1330_510 Depth=2
	v_cmp_gt_i32_e32 vcc, 0, v13
	v_cndmask_b32_e64 v4, v73, 0, vcc
	v_xor_b32_e32 v4, v4, v13
	v_cmp_ne_u32_e32 vcc, s7, v4
	v_cndmask_b32_e32 v4, v73, v4, vcc
	v_lshrrev_b32_e32 v4, s77, v4
	v_and_b32_e32 v4, s63, v4
	v_lshl_or_b32 v4, v4, 4, v42
	ds_add_u32 v4, v67
	s_or_b64 exec, exec, s[18:19]
	v_cmp_gt_u32_e32 vcc, s20, v34
	s_and_saveexec_b64 s[18:19], vcc
	s_cbranch_execz .LBB1330_526
.LBB1330_533:                           ;   in Loop: Header=BB1330_510 Depth=2
	v_cmp_gt_i32_e32 vcc, 0, v14
	v_cndmask_b32_e64 v4, v73, 0, vcc
	v_xor_b32_e32 v4, v4, v14
	v_cmp_ne_u32_e32 vcc, s7, v4
	v_cndmask_b32_e32 v4, v73, v4, vcc
	v_lshrrev_b32_e32 v4, s77, v4
	v_and_b32_e32 v4, s63, v4
	v_lshl_or_b32 v4, v4, 4, v42
	ds_add_u32 v4, v67
	s_or_b64 exec, exec, s[18:19]
	v_cmp_gt_u32_e32 vcc, s20, v35
	s_and_saveexec_b64 s[18:19], vcc
	s_cbranch_execz .LBB1330_527
.LBB1330_534:                           ;   in Loop: Header=BB1330_510 Depth=2
	v_cmp_gt_i32_e32 vcc, 0, v15
	v_cndmask_b32_e64 v4, v73, 0, vcc
	v_xor_b32_e32 v4, v4, v15
	v_cmp_ne_u32_e32 vcc, s7, v4
	v_cndmask_b32_e32 v4, v73, v4, vcc
	v_lshrrev_b32_e32 v4, s77, v4
	v_and_b32_e32 v4, s63, v4
	v_lshl_or_b32 v4, v4, 4, v42
	ds_add_u32 v4, v67
	s_or_b64 exec, exec, s[18:19]
	v_cmp_gt_u32_e32 vcc, s20, v38
	s_and_saveexec_b64 s[18:19], vcc
	s_cbranch_execz .LBB1330_528
.LBB1330_535:                           ;   in Loop: Header=BB1330_510 Depth=2
	v_cmp_gt_i32_e32 vcc, 0, v16
	v_cndmask_b32_e64 v4, v73, 0, vcc
	v_xor_b32_e32 v4, v4, v16
	v_cmp_ne_u32_e32 vcc, s7, v4
	v_cndmask_b32_e32 v4, v73, v4, vcc
	v_lshrrev_b32_e32 v4, s77, v4
	v_and_b32_e32 v4, s63, v4
	v_lshl_or_b32 v4, v4, 4, v42
	ds_add_u32 v4, v67
	s_or_b64 exec, exec, s[18:19]
	v_cmp_gt_u32_e32 vcc, s20, v39
	s_and_saveexec_b64 s[18:19], vcc
	s_cbranch_execz .LBB1330_529
.LBB1330_536:                           ;   in Loop: Header=BB1330_510 Depth=2
	v_cmp_gt_i32_e32 vcc, 0, v17
	v_cndmask_b32_e64 v4, v73, 0, vcc
	v_xor_b32_e32 v4, v4, v17
	v_cmp_ne_u32_e32 vcc, s7, v4
	v_cndmask_b32_e32 v4, v73, v4, vcc
	v_lshrrev_b32_e32 v4, s77, v4
	v_and_b32_e32 v4, s63, v4
	v_lshl_or_b32 v4, v4, 4, v42
	ds_add_u32 v4, v67
	s_or_b64 exec, exec, s[18:19]
	v_cmp_gt_u32_e32 vcc, s20, v40
	s_and_saveexec_b64 s[18:19], vcc
	s_cbranch_execz .LBB1330_530
.LBB1330_537:                           ;   in Loop: Header=BB1330_510 Depth=2
	v_cmp_gt_i32_e32 vcc, 0, v18
	v_cndmask_b32_e64 v4, v73, 0, vcc
	v_xor_b32_e32 v4, v4, v18
	v_cmp_ne_u32_e32 vcc, s7, v4
	v_cndmask_b32_e32 v4, v73, v4, vcc
	v_lshrrev_b32_e32 v4, s77, v4
	v_and_b32_e32 v4, s63, v4
	v_lshl_or_b32 v4, v4, 4, v42
	ds_add_u32 v4, v67
	s_or_b64 exec, exec, s[18:19]
	v_cmp_gt_u32_e32 vcc, s20, v41
	s_and_saveexec_b64 s[18:19], vcc
	s_cbranch_execz .LBB1330_509
.LBB1330_538:                           ;   in Loop: Header=BB1330_510 Depth=2
	v_cmp_gt_i32_e32 vcc, 0, v19
	v_cndmask_b32_e64 v4, v73, 0, vcc
	v_xor_b32_e32 v4, v4, v19
	v_cmp_ne_u32_e32 vcc, s7, v4
	v_cndmask_b32_e32 v4, v73, v4, vcc
	v_lshrrev_b32_e32 v4, s77, v4
	v_and_b32_e32 v4, s63, v4
	v_lshl_or_b32 v4, v4, 4, v42
	ds_add_u32 v4, v67
	s_branch .LBB1330_509
.LBB1330_539:                           ;   in Loop: Header=BB1330_510 Depth=2
	global_load_dword v12, v68, s[18:19]
	s_or_b64 exec, exec, s[20:21]
	v_cmp_gt_u32_e32 vcc, s22, v33
	s_and_saveexec_b64 s[20:21], vcc
	s_cbranch_execz .LBB1330_515
.LBB1330_540:                           ;   in Loop: Header=BB1330_510 Depth=2
	global_load_dword v13, v68, s[18:19] offset:1024
	s_or_b64 exec, exec, s[20:21]
	v_cmp_gt_u32_e32 vcc, s22, v34
	s_and_saveexec_b64 s[20:21], vcc
	s_cbranch_execz .LBB1330_516
.LBB1330_541:                           ;   in Loop: Header=BB1330_510 Depth=2
	global_load_dword v14, v68, s[18:19] offset:2048
	s_or_b64 exec, exec, s[20:21]
	v_cmp_gt_u32_e32 vcc, s22, v35
	s_and_saveexec_b64 s[20:21], vcc
	s_cbranch_execz .LBB1330_517
.LBB1330_542:                           ;   in Loop: Header=BB1330_510 Depth=2
	global_load_dword v15, v68, s[18:19] offset:3072
	s_or_b64 exec, exec, s[20:21]
	v_cmp_gt_u32_e32 vcc, s22, v38
	s_and_saveexec_b64 s[20:21], vcc
	s_cbranch_execz .LBB1330_518
.LBB1330_543:                           ;   in Loop: Header=BB1330_510 Depth=2
	global_load_dword v16, v69, s[18:19]
	s_or_b64 exec, exec, s[20:21]
	v_cmp_gt_u32_e32 vcc, s22, v39
	s_and_saveexec_b64 s[20:21], vcc
	s_cbranch_execz .LBB1330_519
.LBB1330_544:                           ;   in Loop: Header=BB1330_510 Depth=2
	global_load_dword v17, v70, s[18:19]
	s_or_b64 exec, exec, s[20:21]
	v_cmp_gt_u32_e32 vcc, s22, v40
	s_and_saveexec_b64 s[20:21], vcc
	s_cbranch_execz .LBB1330_520
.LBB1330_545:                           ;   in Loop: Header=BB1330_510 Depth=2
	global_load_dword v18, v71, s[18:19]
	s_or_b64 exec, exec, s[20:21]
	v_cmp_gt_u32_e32 vcc, s22, v41
	s_and_saveexec_b64 s[20:21], vcc
	s_cbranch_execnz .LBB1330_521
	s_branch .LBB1330_522
.LBB1330_546:                           ;   in Loop: Header=BB1330_12 Depth=1
	v_mov_b32_e32 v4, 0
	s_waitcnt lgkmcnt(0)
	s_barrier
	s_and_saveexec_b64 s[18:19], s[4:5]
	s_cbranch_execz .LBB1330_548
; %bb.547:                              ;   in Loop: Header=BB1330_12 Depth=1
	ds_read2_b64 v[4:7], v43 offset1:1
	s_waitcnt lgkmcnt(0)
	v_add_u32_e32 v4, v5, v4
	v_add3_u32 v4, v4, v6, v7
.LBB1330_548:                           ;   in Loop: Header=BB1330_12 Depth=1
	s_or_b64 exec, exec, s[18:19]
	s_nop 0
	v_mov_b32_dpp v5, v4 row_shr:1 row_mask:0xf bank_mask:0xf
	v_cmp_eq_u32_e64 s[18:19], 0, v75
	v_cndmask_b32_e64 v5, v5, 0, s[18:19]
	v_add_u32_e32 v4, v5, v4
	v_cmp_lt_u32_e64 s[20:21], 1, v75
	v_cmp_lt_u32_e64 s[22:23], 3, v75
	v_mov_b32_dpp v5, v4 row_shr:2 row_mask:0xf bank_mask:0xf
	v_cndmask_b32_e64 v5, 0, v5, s[20:21]
	v_add_u32_e32 v4, v4, v5
	v_cmp_lt_u32_e64 s[24:25], 7, v75
	v_cmp_lt_u32_e64 s[28:29], 31, v74
	v_mov_b32_dpp v5, v4 row_shr:4 row_mask:0xf bank_mask:0xf
	v_cndmask_b32_e64 v5, 0, v5, s[22:23]
	v_add_u32_e32 v4, v4, v5
	v_cmp_eq_u32_e64 s[26:27], 0, v77
	s_nop 0
	v_mov_b32_dpp v5, v4 row_shr:8 row_mask:0xf bank_mask:0xf
	v_cndmask_b32_e64 v5, 0, v5, s[24:25]
	v_add_u32_e32 v4, v4, v5
	s_nop 1
	v_mov_b32_dpp v5, v4 row_bcast:15 row_mask:0xf bank_mask:0xf
	v_and_b32_e32 v5, v76, v5
	v_add_u32_e32 v4, v4, v5
	s_nop 1
	v_mov_b32_dpp v5, v4 row_bcast:31 row_mask:0xf bank_mask:0xf
	v_cndmask_b32_e64 v5, 0, v5, s[28:29]
	v_add_u32_e32 v4, v4, v5
	s_and_saveexec_b64 s[30:31], s[8:9]
; %bb.549:                              ;   in Loop: Header=BB1330_12 Depth=1
	ds_write_b32 v45, v4
; %bb.550:                              ;   in Loop: Header=BB1330_12 Depth=1
	s_or_b64 exec, exec, s[30:31]
	s_waitcnt lgkmcnt(0)
	s_barrier
	s_and_saveexec_b64 s[30:31], s[10:11]
	s_cbranch_execz .LBB1330_552
; %bb.551:                              ;   in Loop: Header=BB1330_12 Depth=1
	ds_read_b32 v5, v46
	v_cmp_ne_u32_e32 vcc, 0, v78
	s_waitcnt lgkmcnt(0)
	v_mov_b32_dpp v6, v5 row_shr:1 row_mask:0xf bank_mask:0xf
	v_cndmask_b32_e32 v6, 0, v6, vcc
	v_add_u32_e32 v5, v6, v5
	v_cmp_lt_u32_e32 vcc, 1, v78
	s_nop 0
	v_mov_b32_dpp v6, v5 row_shr:2 row_mask:0xf bank_mask:0xf
	v_cndmask_b32_e32 v6, 0, v6, vcc
	v_add_u32_e32 v5, v5, v6
	ds_write_b32 v46, v5
.LBB1330_552:                           ;   in Loop: Header=BB1330_12 Depth=1
	s_or_b64 exec, exec, s[30:31]
	v_mov_b32_e32 v5, 0
	s_waitcnt lgkmcnt(0)
	s_barrier
	s_and_saveexec_b64 s[30:31], s[12:13]
; %bb.553:                              ;   in Loop: Header=BB1330_12 Depth=1
	ds_read_b32 v5, v47
; %bb.554:                              ;   in Loop: Header=BB1330_12 Depth=1
	s_or_b64 exec, exec, s[30:31]
	v_subrev_co_u32_e64 v6, s[30:31], 1, v74
	v_and_b32_e32 v7, 64, v74
	v_cmp_lt_i32_e32 vcc, v6, v7
	v_cndmask_b32_e32 v6, v6, v74, vcc
	s_waitcnt lgkmcnt(0)
	v_add_u32_e32 v4, v5, v4
	v_lshlrev_b32_e32 v79, 2, v6
	ds_bpermute_b32 v4, v79, v4
	s_waitcnt lgkmcnt(0)
	s_barrier
	s_and_saveexec_b64 s[34:35], s[4:5]
; %bb.555:                              ;   in Loop: Header=BB1330_12 Depth=1
	v_cndmask_b32_e64 v4, v4, v5, s[30:31]
	v_add_u32_e32 v4, s80, v4
	ds_write_b32 v32, v4
; %bb.556:                              ;   in Loop: Header=BB1330_12 Depth=1
	s_or_b64 exec, exec, s[34:35]
	s_load_dwordx2 s[34:35], s[56:57], 0x0
	v_and_b32_e32 v13, 63, v74
	v_lshlrev_b32_e32 v14, 3, v13
	v_or_b32_e32 v84, v13, v48
	v_lshlrev_b32_e32 v15, 2, v13
	s_waitcnt lgkmcnt(0)
	s_cmp_lt_u32 s33, s35
	s_cselect_b32 s35, 14, 20
	s_add_u32 s36, s56, s35
	s_addc_u32 s37, s57, 0
	s_cmp_lt_u32 s6, s34
	s_cselect_b32 s34, 12, 18
	s_add_u32 s34, s56, s34
	global_load_ushort v4, v3, s[36:37]
	s_addc_u32 s35, s57, 0
	global_load_ushort v12, v3, s[34:35]
	v_add_co_u32_e32 v87, vcc, v63, v14
	v_addc_co_u32_e32 v89, vcc, 0, v64, vcc
	v_add_co_u32_e32 v98, vcc, v65, v15
	v_cmp_eq_u32_e64 s[34:35], 0, v78
	v_cmp_lt_u32_e64 s[36:37], 1, v78
	s_mov_b32 s70, s79
	v_or_b32_e32 v91, 64, v84
	v_or_b32_e32 v92, 0x80, v84
	;; [unrolled: 1-line block ×7, first 2 shown]
	v_addc_co_u32_e32 v99, vcc, 0, v66, vcc
	s_mov_b32 s58, s80
                                        ; implicit-def: $vgpr5_vgpr6
                                        ; implicit-def: $vgpr7_vgpr8
                                        ; implicit-def: $vgpr9_vgpr10
                                        ; implicit-def: $vgpr20_vgpr21
                                        ; implicit-def: $vgpr22_vgpr23
                                        ; implicit-def: $vgpr24_vgpr25
                                        ; implicit-def: $vgpr26_vgpr27
                                        ; implicit-def: $vgpr28_vgpr29
                                        ; implicit-def: $vgpr80
                                        ; implicit-def: $vgpr81
                                        ; implicit-def: $vgpr82
                                        ; implicit-def: $vgpr83
                                        ; implicit-def: $vgpr85
                                        ; implicit-def: $vgpr86
                                        ; implicit-def: $vgpr88
                                        ; implicit-def: $vgpr90
	s_waitcnt vmcnt(1)
	v_mad_u32_u24 v4, v2, v4, v1
	s_waitcnt vmcnt(0)
	v_mad_u64_u32 v[12:13], s[38:39], v4, v12, v[0:1]
	v_lshrrev_b32_e32 v4, 4, v12
	v_and_b32_e32 v100, 0xffffffc, v4
	s_branch .LBB1330_558
.LBB1330_557:                           ;   in Loop: Header=BB1330_558 Depth=2
	s_or_b64 exec, exec, s[38:39]
	s_addk_i32 s70, 0xf800
	s_cmp_lt_u32 s71, s81
	s_mov_b32 s58, s71
	s_cbranch_scc0 .LBB1330_10
.LBB1330_558:                           ;   Parent Loop BB1330_12 Depth=1
                                        ; =>  This Inner Loop Header: Depth=2
	s_add_i32 s71, s58, 0x800
	s_cmp_gt_u32 s71, s81
	s_cbranch_scc1 .LBB1330_560
; %bb.559:                              ;   in Loop: Header=BB1330_558 Depth=2
	s_lshl_b64 s[38:39], s[58:59], 2
	v_mov_b32_e32 v4, s39
	v_add_co_u32_e32 v18, vcc, s38, v98
	v_addc_co_u32_e32 v19, vcc, v99, v4, vcc
	global_load_dword v12, v[18:19], off
	global_load_dword v13, v[18:19], off offset:256
	global_load_dword v14, v[18:19], off offset:512
	;; [unrolled: 1-line block ×5, first 2 shown]
	s_nop 0
	global_load_dword v18, v[18:19], off offset:1536
	s_mov_b64 s[38:39], -1
	s_movk_i32 s42, 0x800
	s_cbranch_execz .LBB1330_561
	s_branch .LBB1330_570
.LBB1330_560:                           ;   in Loop: Header=BB1330_558 Depth=2
	s_mov_b64 s[38:39], 0
                                        ; implicit-def: $vgpr12_vgpr13_vgpr14_vgpr15_vgpr16_vgpr17_vgpr18_vgpr19
	s_movk_i32 s42, 0x800
.LBB1330_561:                           ;   in Loop: Header=BB1330_558 Depth=2
	s_lshl_b64 s[38:39], s[58:59], 2
	v_mov_b32_e32 v4, s39
	v_add_co_u32_e32 v30, vcc, s38, v98
	s_waitcnt vmcnt(6)
	v_mov_b32_e32 v12, v11
	s_waitcnt vmcnt(5)
	v_mov_b32_e32 v13, v11
	;; [unrolled: 2-line block ×7, first 2 shown]
	v_addc_co_u32_e32 v31, vcc, v99, v4, vcc
	v_mov_b32_e32 v19, v18
	v_cmp_gt_u32_e32 vcc, s70, v84
	v_mov_b32_e32 v18, v17
	v_mov_b32_e32 v17, v16
	;; [unrolled: 1-line block ×7, first 2 shown]
	s_and_saveexec_b64 s[38:39], vcc
	s_cbranch_execnz .LBB1330_664
; %bb.562:                              ;   in Loop: Header=BB1330_558 Depth=2
	s_or_b64 exec, exec, s[38:39]
	v_cmp_gt_u32_e32 vcc, s70, v91
	s_and_saveexec_b64 s[38:39], vcc
	s_cbranch_execnz .LBB1330_665
.LBB1330_563:                           ;   in Loop: Header=BB1330_558 Depth=2
	s_or_b64 exec, exec, s[38:39]
	v_cmp_gt_u32_e32 vcc, s70, v92
	s_and_saveexec_b64 s[38:39], vcc
	s_cbranch_execnz .LBB1330_666
.LBB1330_564:                           ;   in Loop: Header=BB1330_558 Depth=2
	s_or_b64 exec, exec, s[38:39]
	v_cmp_gt_u32_e32 vcc, s70, v93
	s_and_saveexec_b64 s[38:39], vcc
	s_cbranch_execnz .LBB1330_667
.LBB1330_565:                           ;   in Loop: Header=BB1330_558 Depth=2
	s_or_b64 exec, exec, s[38:39]
	v_cmp_gt_u32_e32 vcc, s70, v94
	s_and_saveexec_b64 s[38:39], vcc
	s_cbranch_execnz .LBB1330_668
.LBB1330_566:                           ;   in Loop: Header=BB1330_558 Depth=2
	s_or_b64 exec, exec, s[38:39]
	v_cmp_gt_u32_e32 vcc, s70, v95
	s_and_saveexec_b64 s[38:39], vcc
	s_cbranch_execnz .LBB1330_669
.LBB1330_567:                           ;   in Loop: Header=BB1330_558 Depth=2
	s_or_b64 exec, exec, s[38:39]
	v_cmp_gt_u32_e32 vcc, s70, v96
	s_and_saveexec_b64 s[38:39], vcc
	s_cbranch_execz .LBB1330_569
.LBB1330_568:                           ;   in Loop: Header=BB1330_558 Depth=2
	global_load_dword v18, v[30:31], off offset:1536
.LBB1330_569:                           ;   in Loop: Header=BB1330_558 Depth=2
	s_or_b64 exec, exec, s[38:39]
	s_sub_i32 s42, s81, s58
	v_cmp_gt_u32_e64 s[38:39], s70, v97
.LBB1330_570:                           ;   in Loop: Header=BB1330_558 Depth=2
	v_mov_b32_e32 v101, s70
	s_and_saveexec_b64 s[40:41], s[38:39]
	s_cbranch_execz .LBB1330_572
; %bb.571:                              ;   in Loop: Header=BB1330_558 Depth=2
	s_lshl_b64 s[38:39], s[58:59], 2
	v_mov_b32_e32 v4, s39
	v_add_co_u32_e32 v30, vcc, s38, v98
	v_addc_co_u32_e32 v31, vcc, v99, v4, vcc
	global_load_dword v19, v[30:31], off offset:1792
	v_mov_b32_e32 v101, s42
.LBB1330_572:                           ;   in Loop: Header=BB1330_558 Depth=2
	s_or_b64 exec, exec, s[40:41]
	s_waitcnt vmcnt(0)
	v_cmp_gt_i32_e32 vcc, 0, v12
	v_cndmask_b32_e64 v4, v73, 0, vcc
	v_xor_b32_e32 v102, v4, v12
	v_cmp_ne_u32_e32 vcc, s7, v102
	v_cndmask_b32_e32 v4, v73, v102, vcc
	v_lshrrev_b32_e32 v4, s77, v4
	v_and_b32_e32 v12, s63, v4
	v_and_b32_e32 v4, 1, v12
	v_add_co_u32_e32 v30, vcc, -1, v4
	v_addc_co_u32_e64 v31, s[38:39], 0, -1, vcc
	v_cmp_ne_u32_e32 vcc, 0, v4
	v_xor_b32_e32 v4, vcc_hi, v31
	v_and_b32_e32 v31, exec_hi, v4
	v_lshlrev_b32_e32 v4, 30, v12
	v_xor_b32_e32 v30, vcc_lo, v30
	v_cmp_gt_i64_e32 vcc, 0, v[3:4]
	v_not_b32_e32 v4, v4
	v_ashrrev_i32_e32 v4, 31, v4
	v_and_b32_e32 v30, exec_lo, v30
	v_xor_b32_e32 v105, vcc_hi, v4
	v_xor_b32_e32 v4, vcc_lo, v4
	v_and_b32_e32 v30, v30, v4
	v_lshlrev_b32_e32 v4, 29, v12
	v_cmp_gt_i64_e32 vcc, 0, v[3:4]
	v_not_b32_e32 v4, v4
	v_ashrrev_i32_e32 v4, 31, v4
	v_and_b32_e32 v31, v31, v105
	v_xor_b32_e32 v105, vcc_hi, v4
	v_xor_b32_e32 v4, vcc_lo, v4
	v_and_b32_e32 v30, v30, v4
	v_lshlrev_b32_e32 v4, 28, v12
	v_cmp_gt_i64_e32 vcc, 0, v[3:4]
	v_not_b32_e32 v4, v4
	v_ashrrev_i32_e32 v4, 31, v4
	v_and_b32_e32 v31, v31, v105
	;; [unrolled: 8-line block ×5, first 2 shown]
	v_xor_b32_e32 v105, vcc_hi, v4
	v_xor_b32_e32 v4, vcc_lo, v4
	v_and_b32_e32 v30, v30, v4
	v_lshlrev_b32_e32 v4, 24, v12
	v_cmp_gt_i64_e32 vcc, 0, v[3:4]
	v_not_b32_e32 v4, v4
	v_ashrrev_i32_e32 v4, 31, v4
	v_mul_u32_u24_e32 v106, 20, v12
	v_xor_b32_e32 v12, vcc_hi, v4
	v_xor_b32_e32 v4, vcc_lo, v4
	v_and_b32_e32 v31, v31, v105
	v_and_b32_e32 v30, v30, v4
	;; [unrolled: 1-line block ×3, first 2 shown]
	v_mbcnt_lo_u32_b32 v4, v30, 0
	v_mbcnt_hi_u32_b32 v105, v31, v4
	v_cmp_ne_u64_e32 vcc, 0, v[30:31]
	v_cmp_eq_u32_e64 s[38:39], 0, v105
	v_add_u32_e32 v104, 0x410, v49
	v_add_u32_e32 v103, 0x418, v49
	s_and_b64 s[40:41], vcc, s[38:39]
	v_add_u32_e32 v106, v100, v106
	ds_write2_b32 v104, v3, v3 offset1:1
	ds_write2_b32 v103, v3, v3 offset1:1
	ds_write_b32 v49, v3 offset:1056
	s_waitcnt lgkmcnt(0)
	s_barrier
	; wave barrier
	s_and_saveexec_b64 s[38:39], s[40:41]
; %bb.573:                              ;   in Loop: Header=BB1330_558 Depth=2
	v_bcnt_u32_b32 v4, v30, 0
	v_bcnt_u32_b32 v4, v31, v4
	ds_write_b32 v106, v4 offset:1040
; %bb.574:                              ;   in Loop: Header=BB1330_558 Depth=2
	s_or_b64 exec, exec, s[38:39]
	v_cmp_gt_i32_e32 vcc, 0, v13
	v_cndmask_b32_e64 v4, v73, 0, vcc
	v_xor_b32_e32 v30, v4, v13
	v_cmp_ne_u32_e32 vcc, s7, v30
	v_cndmask_b32_e32 v4, v73, v30, vcc
	v_lshrrev_b32_e32 v4, s77, v4
	v_and_b32_e32 v12, s63, v4
	v_mad_u32_u24 v4, v12, 20, v100
	; wave barrier
	ds_read_b32 v31, v4 offset:1040
	v_and_b32_e32 v4, 1, v12
	v_add_co_u32_e32 v13, vcc, -1, v4
	v_addc_co_u32_e64 v107, s[38:39], 0, -1, vcc
	v_cmp_ne_u32_e32 vcc, 0, v4
	v_xor_b32_e32 v4, vcc_hi, v107
	v_and_b32_e32 v107, exec_hi, v4
	v_lshlrev_b32_e32 v4, 30, v12
	v_xor_b32_e32 v13, vcc_lo, v13
	v_cmp_gt_i64_e32 vcc, 0, v[3:4]
	v_not_b32_e32 v4, v4
	v_ashrrev_i32_e32 v4, 31, v4
	v_and_b32_e32 v13, exec_lo, v13
	v_xor_b32_e32 v109, vcc_hi, v4
	v_xor_b32_e32 v4, vcc_lo, v4
	v_and_b32_e32 v13, v13, v4
	v_lshlrev_b32_e32 v4, 29, v12
	v_cmp_gt_i64_e32 vcc, 0, v[3:4]
	v_not_b32_e32 v4, v4
	v_ashrrev_i32_e32 v4, 31, v4
	v_and_b32_e32 v107, v107, v109
	v_xor_b32_e32 v109, vcc_hi, v4
	v_xor_b32_e32 v4, vcc_lo, v4
	v_and_b32_e32 v13, v13, v4
	v_lshlrev_b32_e32 v4, 28, v12
	v_cmp_gt_i64_e32 vcc, 0, v[3:4]
	v_not_b32_e32 v4, v4
	v_ashrrev_i32_e32 v4, 31, v4
	v_and_b32_e32 v107, v107, v109
	;; [unrolled: 8-line block ×5, first 2 shown]
	v_xor_b32_e32 v109, vcc_hi, v4
	v_xor_b32_e32 v4, vcc_lo, v4
	v_and_b32_e32 v107, v107, v109
	v_and_b32_e32 v109, v13, v4
	v_lshlrev_b32_e32 v4, 24, v12
	v_cmp_gt_i64_e32 vcc, 0, v[3:4]
	v_not_b32_e32 v4, v4
	v_ashrrev_i32_e32 v4, 31, v4
	v_mul_u32_u24_e32 v108, 20, v12
	v_xor_b32_e32 v12, vcc_hi, v4
	v_xor_b32_e32 v4, vcc_lo, v4
	v_and_b32_e32 v13, v107, v12
	v_and_b32_e32 v12, v109, v4
	v_mbcnt_lo_u32_b32 v4, v12, 0
	v_mbcnt_hi_u32_b32 v107, v13, v4
	v_cmp_ne_u64_e32 vcc, 0, v[12:13]
	v_cmp_eq_u32_e64 s[38:39], 0, v107
	s_and_b64 s[40:41], vcc, s[38:39]
	v_add_u32_e32 v110, v100, v108
	; wave barrier
	s_and_saveexec_b64 s[38:39], s[40:41]
	s_cbranch_execz .LBB1330_576
; %bb.575:                              ;   in Loop: Header=BB1330_558 Depth=2
	v_bcnt_u32_b32 v4, v12, 0
	v_bcnt_u32_b32 v4, v13, v4
	s_waitcnt lgkmcnt(0)
	v_add_u32_e32 v4, v31, v4
	ds_write_b32 v110, v4 offset:1040
.LBB1330_576:                           ;   in Loop: Header=BB1330_558 Depth=2
	s_or_b64 exec, exec, s[38:39]
	v_cmp_gt_i32_e32 vcc, 0, v14
	v_cndmask_b32_e64 v4, v73, 0, vcc
	v_xor_b32_e32 v108, v4, v14
	v_cmp_ne_u32_e32 vcc, s7, v108
	v_cndmask_b32_e32 v4, v73, v108, vcc
	v_lshrrev_b32_e32 v4, s77, v4
	v_and_b32_e32 v12, s63, v4
	v_mad_u32_u24 v4, v12, 20, v100
	; wave barrier
	ds_read_b32 v109, v4 offset:1040
	v_and_b32_e32 v4, 1, v12
	v_add_co_u32_e32 v13, vcc, -1, v4
	v_addc_co_u32_e64 v111, s[38:39], 0, -1, vcc
	v_cmp_ne_u32_e32 vcc, 0, v4
	v_xor_b32_e32 v4, vcc_hi, v111
	v_and_b32_e32 v111, exec_hi, v4
	v_lshlrev_b32_e32 v4, 30, v12
	v_xor_b32_e32 v13, vcc_lo, v13
	v_cmp_gt_i64_e32 vcc, 0, v[3:4]
	v_not_b32_e32 v4, v4
	v_ashrrev_i32_e32 v4, 31, v4
	v_and_b32_e32 v13, exec_lo, v13
	v_xor_b32_e32 v112, vcc_hi, v4
	v_xor_b32_e32 v4, vcc_lo, v4
	v_and_b32_e32 v13, v13, v4
	v_lshlrev_b32_e32 v4, 29, v12
	v_cmp_gt_i64_e32 vcc, 0, v[3:4]
	v_not_b32_e32 v4, v4
	v_ashrrev_i32_e32 v4, 31, v4
	v_and_b32_e32 v111, v111, v112
	v_xor_b32_e32 v112, vcc_hi, v4
	v_xor_b32_e32 v4, vcc_lo, v4
	v_and_b32_e32 v13, v13, v4
	v_lshlrev_b32_e32 v4, 28, v12
	v_cmp_gt_i64_e32 vcc, 0, v[3:4]
	v_not_b32_e32 v4, v4
	v_ashrrev_i32_e32 v4, 31, v4
	v_and_b32_e32 v111, v111, v112
	;; [unrolled: 8-line block ×5, first 2 shown]
	v_xor_b32_e32 v112, vcc_hi, v4
	v_xor_b32_e32 v4, vcc_lo, v4
	v_and_b32_e32 v111, v111, v112
	v_and_b32_e32 v112, v13, v4
	v_lshlrev_b32_e32 v4, 24, v12
	v_cmp_gt_i64_e32 vcc, 0, v[3:4]
	v_not_b32_e32 v4, v4
	v_ashrrev_i32_e32 v4, 31, v4
	v_mul_u32_u24_e32 v14, 20, v12
	v_xor_b32_e32 v12, vcc_hi, v4
	v_xor_b32_e32 v4, vcc_lo, v4
	v_and_b32_e32 v13, v111, v12
	v_and_b32_e32 v12, v112, v4
	v_mbcnt_lo_u32_b32 v4, v12, 0
	v_mbcnt_hi_u32_b32 v111, v13, v4
	v_cmp_ne_u64_e32 vcc, 0, v[12:13]
	v_cmp_eq_u32_e64 s[38:39], 0, v111
	s_and_b64 s[40:41], vcc, s[38:39]
	v_add_u32_e32 v114, v100, v14
	; wave barrier
	s_and_saveexec_b64 s[38:39], s[40:41]
	s_cbranch_execz .LBB1330_578
; %bb.577:                              ;   in Loop: Header=BB1330_558 Depth=2
	v_bcnt_u32_b32 v4, v12, 0
	v_bcnt_u32_b32 v4, v13, v4
	s_waitcnt lgkmcnt(0)
	v_add_u32_e32 v4, v109, v4
	ds_write_b32 v114, v4 offset:1040
.LBB1330_578:                           ;   in Loop: Header=BB1330_558 Depth=2
	s_or_b64 exec, exec, s[38:39]
	v_cmp_gt_i32_e32 vcc, 0, v15
	v_cndmask_b32_e64 v4, v73, 0, vcc
	v_xor_b32_e32 v112, v4, v15
	v_cmp_ne_u32_e32 vcc, s7, v112
	v_cndmask_b32_e32 v4, v73, v112, vcc
	v_lshrrev_b32_e32 v4, s77, v4
	v_and_b32_e32 v12, s63, v4
	v_mad_u32_u24 v4, v12, 20, v100
	; wave barrier
	ds_read_b32 v113, v4 offset:1040
	v_and_b32_e32 v4, 1, v12
	v_add_co_u32_e32 v13, vcc, -1, v4
	v_addc_co_u32_e64 v15, s[38:39], 0, -1, vcc
	v_cmp_ne_u32_e32 vcc, 0, v4
	v_xor_b32_e32 v4, vcc_hi, v15
	v_and_b32_e32 v15, exec_hi, v4
	v_lshlrev_b32_e32 v4, 30, v12
	v_xor_b32_e32 v13, vcc_lo, v13
	v_cmp_gt_i64_e32 vcc, 0, v[3:4]
	v_not_b32_e32 v4, v4
	v_ashrrev_i32_e32 v4, 31, v4
	v_and_b32_e32 v13, exec_lo, v13
	v_xor_b32_e32 v115, vcc_hi, v4
	v_xor_b32_e32 v4, vcc_lo, v4
	v_and_b32_e32 v13, v13, v4
	v_lshlrev_b32_e32 v4, 29, v12
	v_cmp_gt_i64_e32 vcc, 0, v[3:4]
	v_not_b32_e32 v4, v4
	v_ashrrev_i32_e32 v4, 31, v4
	v_and_b32_e32 v15, v15, v115
	v_xor_b32_e32 v115, vcc_hi, v4
	v_xor_b32_e32 v4, vcc_lo, v4
	v_and_b32_e32 v13, v13, v4
	v_lshlrev_b32_e32 v4, 28, v12
	v_cmp_gt_i64_e32 vcc, 0, v[3:4]
	v_not_b32_e32 v4, v4
	v_ashrrev_i32_e32 v4, 31, v4
	v_and_b32_e32 v15, v15, v115
	;; [unrolled: 8-line block ×5, first 2 shown]
	v_xor_b32_e32 v115, vcc_hi, v4
	v_xor_b32_e32 v4, vcc_lo, v4
	v_and_b32_e32 v15, v15, v115
	v_and_b32_e32 v115, v13, v4
	v_lshlrev_b32_e32 v4, 24, v12
	v_cmp_gt_i64_e32 vcc, 0, v[3:4]
	v_not_b32_e32 v4, v4
	v_ashrrev_i32_e32 v4, 31, v4
	v_mul_u32_u24_e32 v14, 20, v12
	v_xor_b32_e32 v12, vcc_hi, v4
	v_xor_b32_e32 v4, vcc_lo, v4
	v_and_b32_e32 v13, v15, v12
	v_and_b32_e32 v12, v115, v4
	v_mbcnt_lo_u32_b32 v4, v12, 0
	v_mbcnt_hi_u32_b32 v115, v13, v4
	v_cmp_ne_u64_e32 vcc, 0, v[12:13]
	v_cmp_eq_u32_e64 s[38:39], 0, v115
	s_and_b64 s[40:41], vcc, s[38:39]
	v_add_u32_e32 v117, v100, v14
	; wave barrier
	s_and_saveexec_b64 s[38:39], s[40:41]
	s_cbranch_execz .LBB1330_580
; %bb.579:                              ;   in Loop: Header=BB1330_558 Depth=2
	v_bcnt_u32_b32 v4, v12, 0
	v_bcnt_u32_b32 v4, v13, v4
	s_waitcnt lgkmcnt(0)
	v_add_u32_e32 v4, v113, v4
	ds_write_b32 v117, v4 offset:1040
.LBB1330_580:                           ;   in Loop: Header=BB1330_558 Depth=2
	s_or_b64 exec, exec, s[38:39]
	v_cmp_gt_i32_e32 vcc, 0, v16
	v_cndmask_b32_e64 v4, v73, 0, vcc
	v_xor_b32_e32 v116, v4, v16
	v_cmp_ne_u32_e32 vcc, s7, v116
	v_cndmask_b32_e32 v4, v73, v116, vcc
	v_lshrrev_b32_e32 v4, s77, v4
	v_and_b32_e32 v12, s63, v4
	v_mad_u32_u24 v4, v12, 20, v100
	; wave barrier
	ds_read_b32 v16, v4 offset:1040
	v_and_b32_e32 v4, 1, v12
	v_add_co_u32_e32 v13, vcc, -1, v4
	v_addc_co_u32_e64 v15, s[38:39], 0, -1, vcc
	v_cmp_ne_u32_e32 vcc, 0, v4
	v_xor_b32_e32 v4, vcc_hi, v15
	v_and_b32_e32 v15, exec_hi, v4
	v_lshlrev_b32_e32 v4, 30, v12
	v_xor_b32_e32 v13, vcc_lo, v13
	v_cmp_gt_i64_e32 vcc, 0, v[3:4]
	v_not_b32_e32 v4, v4
	v_ashrrev_i32_e32 v4, 31, v4
	v_and_b32_e32 v13, exec_lo, v13
	v_xor_b32_e32 v118, vcc_hi, v4
	v_xor_b32_e32 v4, vcc_lo, v4
	v_and_b32_e32 v13, v13, v4
	v_lshlrev_b32_e32 v4, 29, v12
	v_cmp_gt_i64_e32 vcc, 0, v[3:4]
	v_not_b32_e32 v4, v4
	v_ashrrev_i32_e32 v4, 31, v4
	v_and_b32_e32 v15, v15, v118
	v_xor_b32_e32 v118, vcc_hi, v4
	v_xor_b32_e32 v4, vcc_lo, v4
	v_and_b32_e32 v13, v13, v4
	v_lshlrev_b32_e32 v4, 28, v12
	v_cmp_gt_i64_e32 vcc, 0, v[3:4]
	v_not_b32_e32 v4, v4
	v_ashrrev_i32_e32 v4, 31, v4
	v_and_b32_e32 v15, v15, v118
	;; [unrolled: 8-line block ×5, first 2 shown]
	v_xor_b32_e32 v118, vcc_hi, v4
	v_xor_b32_e32 v4, vcc_lo, v4
	v_and_b32_e32 v15, v15, v118
	v_and_b32_e32 v118, v13, v4
	v_lshlrev_b32_e32 v4, 24, v12
	v_cmp_gt_i64_e32 vcc, 0, v[3:4]
	v_not_b32_e32 v4, v4
	v_ashrrev_i32_e32 v4, 31, v4
	v_mul_u32_u24_e32 v14, 20, v12
	v_xor_b32_e32 v12, vcc_hi, v4
	v_xor_b32_e32 v4, vcc_lo, v4
	v_and_b32_e32 v13, v15, v12
	v_and_b32_e32 v12, v118, v4
	v_mbcnt_lo_u32_b32 v4, v12, 0
	v_mbcnt_hi_u32_b32 v118, v13, v4
	v_cmp_ne_u64_e32 vcc, 0, v[12:13]
	v_cmp_eq_u32_e64 s[38:39], 0, v118
	s_and_b64 s[40:41], vcc, s[38:39]
	v_add_u32_e32 v121, v100, v14
	; wave barrier
	s_and_saveexec_b64 s[38:39], s[40:41]
	s_cbranch_execz .LBB1330_582
; %bb.581:                              ;   in Loop: Header=BB1330_558 Depth=2
	v_bcnt_u32_b32 v4, v12, 0
	v_bcnt_u32_b32 v4, v13, v4
	s_waitcnt lgkmcnt(0)
	v_add_u32_e32 v4, v16, v4
	ds_write_b32 v121, v4 offset:1040
.LBB1330_582:                           ;   in Loop: Header=BB1330_558 Depth=2
	s_or_b64 exec, exec, s[38:39]
	v_cmp_gt_i32_e32 vcc, 0, v17
	v_cndmask_b32_e64 v4, v73, 0, vcc
	v_xor_b32_e32 v119, v4, v17
	v_cmp_ne_u32_e32 vcc, s7, v119
	v_cndmask_b32_e32 v4, v73, v119, vcc
	v_lshrrev_b32_e32 v4, s77, v4
	v_and_b32_e32 v12, s63, v4
	v_mad_u32_u24 v4, v12, 20, v100
	; wave barrier
	ds_read_b32 v120, v4 offset:1040
	v_and_b32_e32 v4, 1, v12
	v_add_co_u32_e32 v13, vcc, -1, v4
	v_addc_co_u32_e64 v15, s[38:39], 0, -1, vcc
	v_cmp_ne_u32_e32 vcc, 0, v4
	v_xor_b32_e32 v4, vcc_hi, v15
	v_and_b32_e32 v15, exec_hi, v4
	v_lshlrev_b32_e32 v4, 30, v12
	v_xor_b32_e32 v13, vcc_lo, v13
	v_cmp_gt_i64_e32 vcc, 0, v[3:4]
	v_not_b32_e32 v4, v4
	v_ashrrev_i32_e32 v4, 31, v4
	v_and_b32_e32 v13, exec_lo, v13
	v_xor_b32_e32 v17, vcc_hi, v4
	v_xor_b32_e32 v4, vcc_lo, v4
	v_and_b32_e32 v13, v13, v4
	v_lshlrev_b32_e32 v4, 29, v12
	v_cmp_gt_i64_e32 vcc, 0, v[3:4]
	v_not_b32_e32 v4, v4
	v_ashrrev_i32_e32 v4, 31, v4
	v_and_b32_e32 v15, v15, v17
	v_xor_b32_e32 v17, vcc_hi, v4
	v_xor_b32_e32 v4, vcc_lo, v4
	v_and_b32_e32 v13, v13, v4
	v_lshlrev_b32_e32 v4, 28, v12
	v_cmp_gt_i64_e32 vcc, 0, v[3:4]
	v_not_b32_e32 v4, v4
	v_ashrrev_i32_e32 v4, 31, v4
	v_and_b32_e32 v15, v15, v17
	;; [unrolled: 8-line block ×5, first 2 shown]
	v_xor_b32_e32 v17, vcc_hi, v4
	v_xor_b32_e32 v4, vcc_lo, v4
	v_and_b32_e32 v15, v15, v17
	v_and_b32_e32 v17, v13, v4
	v_lshlrev_b32_e32 v4, 24, v12
	v_cmp_gt_i64_e32 vcc, 0, v[3:4]
	v_not_b32_e32 v4, v4
	v_ashrrev_i32_e32 v4, 31, v4
	v_mul_u32_u24_e32 v14, 20, v12
	v_xor_b32_e32 v12, vcc_hi, v4
	v_xor_b32_e32 v4, vcc_lo, v4
	v_and_b32_e32 v13, v15, v12
	v_and_b32_e32 v12, v17, v4
	v_mbcnt_lo_u32_b32 v4, v12, 0
	v_mbcnt_hi_u32_b32 v122, v13, v4
	v_cmp_ne_u64_e32 vcc, 0, v[12:13]
	v_cmp_eq_u32_e64 s[38:39], 0, v122
	s_and_b64 s[40:41], vcc, s[38:39]
	v_add_u32_e32 v17, v100, v14
	; wave barrier
	s_and_saveexec_b64 s[38:39], s[40:41]
	s_cbranch_execz .LBB1330_584
; %bb.583:                              ;   in Loop: Header=BB1330_558 Depth=2
	v_bcnt_u32_b32 v4, v12, 0
	v_bcnt_u32_b32 v4, v13, v4
	s_waitcnt lgkmcnt(0)
	v_add_u32_e32 v4, v120, v4
	ds_write_b32 v17, v4 offset:1040
.LBB1330_584:                           ;   in Loop: Header=BB1330_558 Depth=2
	s_or_b64 exec, exec, s[38:39]
	v_cmp_gt_i32_e32 vcc, 0, v18
	v_cndmask_b32_e64 v4, v73, 0, vcc
	v_xor_b32_e32 v123, v4, v18
	v_cmp_ne_u32_e32 vcc, s7, v123
	v_cndmask_b32_e32 v4, v73, v123, vcc
	v_lshrrev_b32_e32 v4, s77, v4
	v_and_b32_e32 v12, s63, v4
	v_mad_u32_u24 v4, v12, 20, v100
	; wave barrier
	ds_read_b32 v124, v4 offset:1040
	v_and_b32_e32 v4, 1, v12
	v_add_co_u32_e32 v13, vcc, -1, v4
	v_addc_co_u32_e64 v15, s[38:39], 0, -1, vcc
	v_cmp_ne_u32_e32 vcc, 0, v4
	v_xor_b32_e32 v4, vcc_hi, v15
	v_and_b32_e32 v15, exec_hi, v4
	v_lshlrev_b32_e32 v4, 30, v12
	v_xor_b32_e32 v13, vcc_lo, v13
	v_cmp_gt_i64_e32 vcc, 0, v[3:4]
	v_not_b32_e32 v4, v4
	v_ashrrev_i32_e32 v4, 31, v4
	v_and_b32_e32 v13, exec_lo, v13
	v_xor_b32_e32 v18, vcc_hi, v4
	v_xor_b32_e32 v4, vcc_lo, v4
	v_and_b32_e32 v13, v13, v4
	v_lshlrev_b32_e32 v4, 29, v12
	v_cmp_gt_i64_e32 vcc, 0, v[3:4]
	v_not_b32_e32 v4, v4
	v_ashrrev_i32_e32 v4, 31, v4
	v_and_b32_e32 v15, v15, v18
	v_xor_b32_e32 v18, vcc_hi, v4
	v_xor_b32_e32 v4, vcc_lo, v4
	v_and_b32_e32 v13, v13, v4
	v_lshlrev_b32_e32 v4, 28, v12
	v_cmp_gt_i64_e32 vcc, 0, v[3:4]
	v_not_b32_e32 v4, v4
	v_ashrrev_i32_e32 v4, 31, v4
	v_and_b32_e32 v15, v15, v18
	;; [unrolled: 8-line block ×5, first 2 shown]
	v_xor_b32_e32 v18, vcc_hi, v4
	v_xor_b32_e32 v4, vcc_lo, v4
	v_and_b32_e32 v15, v15, v18
	v_and_b32_e32 v18, v13, v4
	v_lshlrev_b32_e32 v4, 24, v12
	v_cmp_gt_i64_e32 vcc, 0, v[3:4]
	v_not_b32_e32 v4, v4
	v_ashrrev_i32_e32 v4, 31, v4
	v_mul_u32_u24_e32 v14, 20, v12
	v_xor_b32_e32 v12, vcc_hi, v4
	v_xor_b32_e32 v4, vcc_lo, v4
	v_and_b32_e32 v13, v15, v12
	v_and_b32_e32 v12, v18, v4
	v_mbcnt_lo_u32_b32 v4, v12, 0
	v_mbcnt_hi_u32_b32 v125, v13, v4
	v_cmp_ne_u64_e32 vcc, 0, v[12:13]
	v_cmp_eq_u32_e64 s[38:39], 0, v125
	s_and_b64 s[40:41], vcc, s[38:39]
	v_add_u32_e32 v18, v100, v14
	; wave barrier
	s_and_saveexec_b64 s[38:39], s[40:41]
	s_cbranch_execz .LBB1330_586
; %bb.585:                              ;   in Loop: Header=BB1330_558 Depth=2
	v_bcnt_u32_b32 v4, v12, 0
	v_bcnt_u32_b32 v4, v13, v4
	s_waitcnt lgkmcnt(0)
	v_add_u32_e32 v4, v124, v4
	ds_write_b32 v18, v4 offset:1040
.LBB1330_586:                           ;   in Loop: Header=BB1330_558 Depth=2
	s_or_b64 exec, exec, s[38:39]
	v_cmp_gt_i32_e32 vcc, 0, v19
	v_cndmask_b32_e64 v4, v73, 0, vcc
	v_xor_b32_e32 v126, v4, v19
	v_cmp_ne_u32_e32 vcc, s7, v126
	v_cndmask_b32_e32 v4, v73, v126, vcc
	v_lshrrev_b32_e32 v4, s77, v4
	v_and_b32_e32 v12, s63, v4
	v_mad_u32_u24 v4, v12, 20, v100
	; wave barrier
	ds_read_b32 v127, v4 offset:1040
	v_and_b32_e32 v4, 1, v12
	v_add_co_u32_e32 v13, vcc, -1, v4
	v_addc_co_u32_e64 v15, s[38:39], 0, -1, vcc
	v_cmp_ne_u32_e32 vcc, 0, v4
	v_xor_b32_e32 v4, vcc_hi, v15
	v_and_b32_e32 v15, exec_hi, v4
	v_lshlrev_b32_e32 v4, 30, v12
	v_xor_b32_e32 v13, vcc_lo, v13
	v_cmp_gt_i64_e32 vcc, 0, v[3:4]
	v_not_b32_e32 v4, v4
	v_ashrrev_i32_e32 v4, 31, v4
	v_and_b32_e32 v13, exec_lo, v13
	v_xor_b32_e32 v19, vcc_hi, v4
	v_xor_b32_e32 v4, vcc_lo, v4
	v_and_b32_e32 v13, v13, v4
	v_lshlrev_b32_e32 v4, 29, v12
	v_cmp_gt_i64_e32 vcc, 0, v[3:4]
	v_not_b32_e32 v4, v4
	v_ashrrev_i32_e32 v4, 31, v4
	v_and_b32_e32 v15, v15, v19
	v_xor_b32_e32 v19, vcc_hi, v4
	v_xor_b32_e32 v4, vcc_lo, v4
	v_and_b32_e32 v13, v13, v4
	v_lshlrev_b32_e32 v4, 28, v12
	v_cmp_gt_i64_e32 vcc, 0, v[3:4]
	v_not_b32_e32 v4, v4
	v_ashrrev_i32_e32 v4, 31, v4
	v_and_b32_e32 v15, v15, v19
	;; [unrolled: 8-line block ×5, first 2 shown]
	v_xor_b32_e32 v19, vcc_hi, v4
	v_xor_b32_e32 v4, vcc_lo, v4
	v_and_b32_e32 v15, v15, v19
	v_and_b32_e32 v19, v13, v4
	v_lshlrev_b32_e32 v4, 24, v12
	v_cmp_gt_i64_e32 vcc, 0, v[3:4]
	v_not_b32_e32 v4, v4
	v_ashrrev_i32_e32 v4, 31, v4
	v_mul_u32_u24_e32 v14, 20, v12
	v_xor_b32_e32 v12, vcc_hi, v4
	v_xor_b32_e32 v4, vcc_lo, v4
	v_and_b32_e32 v13, v15, v12
	v_and_b32_e32 v12, v19, v4
	v_mbcnt_lo_u32_b32 v4, v12, 0
	v_mbcnt_hi_u32_b32 v128, v13, v4
	v_cmp_ne_u64_e32 vcc, 0, v[12:13]
	v_cmp_eq_u32_e64 s[38:39], 0, v128
	s_and_b64 s[40:41], vcc, s[38:39]
	v_add_u32_e32 v4, v100, v14
	; wave barrier
	s_and_saveexec_b64 s[38:39], s[40:41]
	s_cbranch_execz .LBB1330_588
; %bb.587:                              ;   in Loop: Header=BB1330_558 Depth=2
	v_bcnt_u32_b32 v12, v12, 0
	v_bcnt_u32_b32 v12, v13, v12
	s_waitcnt lgkmcnt(0)
	v_add_u32_e32 v12, v127, v12
	ds_write_b32 v4, v12 offset:1040
.LBB1330_588:                           ;   in Loop: Header=BB1330_558 Depth=2
	s_or_b64 exec, exec, s[38:39]
	; wave barrier
	s_waitcnt lgkmcnt(0)
	s_barrier
	ds_read2_b32 v[14:15], v104 offset1:1
	ds_read2_b32 v[12:13], v103 offset1:1
	ds_read_b32 v19, v49 offset:1056
	s_waitcnt lgkmcnt(1)
	v_add3_u32 v129, v15, v14, v12
	s_waitcnt lgkmcnt(0)
	v_add3_u32 v19, v129, v13, v19
	s_nop 1
	v_mov_b32_dpp v129, v19 row_shr:1 row_mask:0xf bank_mask:0xf
	v_cndmask_b32_e64 v129, v129, 0, s[18:19]
	v_add_u32_e32 v19, v129, v19
	s_nop 1
	v_mov_b32_dpp v129, v19 row_shr:2 row_mask:0xf bank_mask:0xf
	v_cndmask_b32_e64 v129, 0, v129, s[20:21]
	v_add_u32_e32 v19, v19, v129
	;; [unrolled: 4-line block ×4, first 2 shown]
	s_nop 1
	v_mov_b32_dpp v129, v19 row_bcast:15 row_mask:0xf bank_mask:0xf
	v_cndmask_b32_e64 v129, v129, 0, s[26:27]
	v_add_u32_e32 v19, v19, v129
	s_nop 1
	v_mov_b32_dpp v129, v19 row_bcast:31 row_mask:0xf bank_mask:0xf
	v_cndmask_b32_e64 v129, 0, v129, s[28:29]
	v_add_u32_e32 v19, v19, v129
	s_and_saveexec_b64 s[38:39], s[8:9]
; %bb.589:                              ;   in Loop: Header=BB1330_558 Depth=2
	ds_write_b32 v44, v19 offset:1024
; %bb.590:                              ;   in Loop: Header=BB1330_558 Depth=2
	s_or_b64 exec, exec, s[38:39]
	s_waitcnt lgkmcnt(0)
	s_barrier
	s_and_saveexec_b64 s[38:39], s[10:11]
	s_cbranch_execz .LBB1330_592
; %bb.591:                              ;   in Loop: Header=BB1330_558 Depth=2
	ds_read_b32 v129, v50 offset:1024
	s_waitcnt lgkmcnt(0)
	s_nop 0
	v_mov_b32_dpp v130, v129 row_shr:1 row_mask:0xf bank_mask:0xf
	v_cndmask_b32_e64 v130, v130, 0, s[34:35]
	v_add_u32_e32 v129, v130, v129
	s_nop 1
	v_mov_b32_dpp v130, v129 row_shr:2 row_mask:0xf bank_mask:0xf
	v_cndmask_b32_e64 v130, 0, v130, s[36:37]
	v_add_u32_e32 v129, v129, v130
	ds_write_b32 v50, v129 offset:1024
.LBB1330_592:                           ;   in Loop: Header=BB1330_558 Depth=2
	s_or_b64 exec, exec, s[38:39]
	v_mov_b32_e32 v129, 0
	s_waitcnt lgkmcnt(0)
	s_barrier
	s_and_saveexec_b64 s[38:39], s[12:13]
; %bb.593:                              ;   in Loop: Header=BB1330_558 Depth=2
	ds_read_b32 v129, v44 offset:1020
; %bb.594:                              ;   in Loop: Header=BB1330_558 Depth=2
	s_or_b64 exec, exec, s[38:39]
	s_waitcnt lgkmcnt(0)
	v_add_u32_e32 v19, v129, v19
	ds_bpermute_b32 v19, v79, v19
	s_waitcnt lgkmcnt(0)
	v_cndmask_b32_e64 v19, v19, v129, s[30:31]
	v_cndmask_b32_e64 v19, v19, 0, s[14:15]
	v_add_u32_e32 v14, v19, v14
	v_add_u32_e32 v15, v14, v15
	;; [unrolled: 1-line block ×4, first 2 shown]
	ds_write2_b32 v104, v19, v14 offset1:1
	ds_write2_b32 v103, v15, v12 offset1:1
	ds_write_b32 v49, v13 offset:1056
	s_waitcnt lgkmcnt(0)
	s_barrier
	ds_read_b32 v12, v106 offset:1040
	ds_read_b32 v13, v110 offset:1040
	;; [unrolled: 1-line block ×9, first 2 shown]
	v_mov_b32_e32 v4, 0x800
	s_and_saveexec_b64 s[38:39], s[16:17]
; %bb.595:                              ;   in Loop: Header=BB1330_558 Depth=2
	ds_read_b32 v4, v49 offset:1060
; %bb.596:                              ;   in Loop: Header=BB1330_558 Depth=2
	s_or_b64 exec, exec, s[38:39]
	s_waitcnt lgkmcnt(0)
	s_barrier
	s_and_saveexec_b64 s[38:39], s[4:5]
	s_cbranch_execz .LBB1330_598
; %bb.597:                              ;   in Loop: Header=BB1330_558 Depth=2
	ds_read_b32 v18, v32
	s_waitcnt lgkmcnt(0)
	v_sub_u32_e32 v17, v18, v17
	ds_write_b32 v32, v17
.LBB1330_598:                           ;   in Loop: Header=BB1330_558 Depth=2
	s_or_b64 exec, exec, s[38:39]
	v_add_u32_e32 v103, v12, v105
	v_add3_u32 v31, v107, v31, v13
	v_lshlrev_b32_e32 v12, 2, v103
	v_add3_u32 v19, v111, v109, v14
	ds_write_b32 v12, v102 offset:1024
	v_lshlrev_b32_e32 v12, 2, v31
	v_add3_u32 v18, v115, v113, v15
	ds_write_b32 v12, v30 offset:1024
	;; [unrolled: 3-line block ×6, first 2 shown]
	v_lshlrev_b32_e32 v12, 2, v15
	ds_write_b32 v12, v123 offset:1024
	v_lshlrev_b32_e32 v12, 2, v14
	v_cmp_lt_u32_e32 vcc, v0, v101
	ds_write_b32 v12, v126 offset:1024
	s_waitcnt lgkmcnt(0)
	s_barrier
	s_and_saveexec_b64 s[40:41], vcc
	s_cbranch_execnz .LBB1330_635
; %bb.599:                              ;   in Loop: Header=BB1330_558 Depth=2
	s_or_b64 exec, exec, s[40:41]
	v_cmp_lt_u32_e64 s[38:39], v33, v101
	s_and_saveexec_b64 s[42:43], s[38:39]
	s_cbranch_execnz .LBB1330_636
.LBB1330_600:                           ;   in Loop: Header=BB1330_558 Depth=2
	s_or_b64 exec, exec, s[42:43]
	v_cmp_lt_u32_e64 s[40:41], v34, v101
	s_and_saveexec_b64 s[44:45], s[40:41]
	s_cbranch_execnz .LBB1330_637
.LBB1330_601:                           ;   in Loop: Header=BB1330_558 Depth=2
	s_or_b64 exec, exec, s[44:45]
	v_cmp_lt_u32_e64 s[42:43], v35, v101
	s_and_saveexec_b64 s[46:47], s[42:43]
	s_cbranch_execnz .LBB1330_638
.LBB1330_602:                           ;   in Loop: Header=BB1330_558 Depth=2
	s_or_b64 exec, exec, s[46:47]
	v_cmp_lt_u32_e64 s[44:45], v38, v101
	s_and_saveexec_b64 s[48:49], s[44:45]
	s_cbranch_execnz .LBB1330_639
.LBB1330_603:                           ;   in Loop: Header=BB1330_558 Depth=2
	s_or_b64 exec, exec, s[48:49]
	v_cmp_lt_u32_e64 s[46:47], v39, v101
	s_and_saveexec_b64 s[50:51], s[46:47]
	s_cbranch_execnz .LBB1330_640
.LBB1330_604:                           ;   in Loop: Header=BB1330_558 Depth=2
	s_or_b64 exec, exec, s[50:51]
	v_cmp_lt_u32_e64 s[48:49], v40, v101
	s_and_saveexec_b64 s[52:53], s[48:49]
	s_cbranch_execnz .LBB1330_641
.LBB1330_605:                           ;   in Loop: Header=BB1330_558 Depth=2
	s_or_b64 exec, exec, s[52:53]
	v_cmp_lt_u32_e64 s[50:51], v41, v101
	s_and_saveexec_b64 s[60:61], s[50:51]
	s_cbranch_execz .LBB1330_607
.LBB1330_606:                           ;   in Loop: Header=BB1330_558 Depth=2
	ds_read_b32 v12, v50 offset:8192
	v_mov_b32_e32 v13, v3
	v_mov_b32_e32 v102, s69
	s_waitcnt lgkmcnt(0)
	v_cmp_ne_u32_e64 s[52:53], s7, v12
	v_cndmask_b32_e64 v30, v73, v12, s[52:53]
	v_lshrrev_b32_e32 v30, s77, v30
	v_and_b32_e32 v30, s63, v30
	v_lshlrev_b32_e32 v30, 2, v30
	ds_read_b32 v30, v30
	v_cmp_gt_i32_e64 s[52:53], 0, v12
	v_cndmask_b32_e64 v104, v73, 0, s[52:53]
	v_xor_b32_e32 v104, v104, v12
	s_waitcnt lgkmcnt(0)
	v_add_u32_e32 v12, v30, v41
	v_lshlrev_b64 v[12:13], 2, v[12:13]
	v_add_co_u32_e64 v12, s[52:53], s68, v12
	v_addc_co_u32_e64 v13, s[52:53], v102, v13, s[52:53]
	global_store_dword v[12:13], v104, off
.LBB1330_607:                           ;   in Loop: Header=BB1330_558 Depth=2
	s_or_b64 exec, exec, s[60:61]
	s_lshl_b64 s[52:53], s[58:59], 3
	v_mov_b32_e32 v13, s53
	v_add_co_u32_e64 v12, s[52:53], s52, v87
	v_addc_co_u32_e64 v13, s[52:53], v89, v13, s[52:53]
	v_cmp_lt_u32_e64 s[52:53], v84, v101
	s_and_saveexec_b64 s[60:61], s[52:53]
	s_xor_b64 s[52:53], exec, s[60:61]
	s_cbranch_execnz .LBB1330_642
; %bb.608:                              ;   in Loop: Header=BB1330_558 Depth=2
	s_or_b64 exec, exec, s[52:53]
	v_cmp_lt_u32_e64 s[52:53], v91, v101
	s_and_saveexec_b64 s[60:61], s[52:53]
	s_cbranch_execnz .LBB1330_643
.LBB1330_609:                           ;   in Loop: Header=BB1330_558 Depth=2
	s_or_b64 exec, exec, s[60:61]
	v_cmp_lt_u32_e64 s[52:53], v92, v101
	s_and_saveexec_b64 s[60:61], s[52:53]
	s_cbranch_execnz .LBB1330_644
.LBB1330_610:                           ;   in Loop: Header=BB1330_558 Depth=2
	s_or_b64 exec, exec, s[60:61]
	v_cmp_lt_u32_e64 s[52:53], v93, v101
	s_and_saveexec_b64 s[60:61], s[52:53]
	s_cbranch_execnz .LBB1330_645
.LBB1330_611:                           ;   in Loop: Header=BB1330_558 Depth=2
	s_or_b64 exec, exec, s[60:61]
	v_cmp_lt_u32_e64 s[52:53], v94, v101
	s_and_saveexec_b64 s[60:61], s[52:53]
	s_cbranch_execnz .LBB1330_646
.LBB1330_612:                           ;   in Loop: Header=BB1330_558 Depth=2
	s_or_b64 exec, exec, s[60:61]
	v_cmp_lt_u32_e64 s[52:53], v95, v101
	s_and_saveexec_b64 s[60:61], s[52:53]
	s_cbranch_execnz .LBB1330_647
.LBB1330_613:                           ;   in Loop: Header=BB1330_558 Depth=2
	s_or_b64 exec, exec, s[60:61]
	v_cmp_lt_u32_e64 s[52:53], v96, v101
	s_and_saveexec_b64 s[60:61], s[52:53]
	s_cbranch_execnz .LBB1330_648
.LBB1330_614:                           ;   in Loop: Header=BB1330_558 Depth=2
	s_or_b64 exec, exec, s[60:61]
	v_cmp_lt_u32_e64 s[52:53], v97, v101
	s_and_saveexec_b64 s[60:61], s[52:53]
	s_cbranch_execnz .LBB1330_649
.LBB1330_615:                           ;   in Loop: Header=BB1330_558 Depth=2
	s_or_b64 exec, exec, s[60:61]
	s_and_saveexec_b64 s[60:61], vcc
	s_cbranch_execnz .LBB1330_650
.LBB1330_616:                           ;   in Loop: Header=BB1330_558 Depth=2
	s_or_b64 exec, exec, s[60:61]
	s_and_saveexec_b64 s[60:61], s[38:39]
	s_cbranch_execnz .LBB1330_651
.LBB1330_617:                           ;   in Loop: Header=BB1330_558 Depth=2
	s_or_b64 exec, exec, s[60:61]
	s_and_saveexec_b64 s[60:61], s[40:41]
	s_cbranch_execnz .LBB1330_652
.LBB1330_618:                           ;   in Loop: Header=BB1330_558 Depth=2
	s_or_b64 exec, exec, s[60:61]
	s_and_saveexec_b64 s[60:61], s[42:43]
	s_cbranch_execnz .LBB1330_653
.LBB1330_619:                           ;   in Loop: Header=BB1330_558 Depth=2
	s_or_b64 exec, exec, s[60:61]
	s_and_saveexec_b64 s[60:61], s[44:45]
	s_cbranch_execnz .LBB1330_654
.LBB1330_620:                           ;   in Loop: Header=BB1330_558 Depth=2
	s_or_b64 exec, exec, s[60:61]
	s_and_saveexec_b64 s[60:61], s[46:47]
	s_cbranch_execnz .LBB1330_655
.LBB1330_621:                           ;   in Loop: Header=BB1330_558 Depth=2
	s_or_b64 exec, exec, s[60:61]
	s_and_saveexec_b64 s[60:61], s[48:49]
	s_cbranch_execnz .LBB1330_656
.LBB1330_622:                           ;   in Loop: Header=BB1330_558 Depth=2
	s_or_b64 exec, exec, s[60:61]
	s_and_saveexec_b64 s[60:61], s[50:51]
	s_cbranch_execz .LBB1330_624
.LBB1330_623:                           ;   in Loop: Header=BB1330_558 Depth=2
	ds_read_b32 v12, v50 offset:8192
	s_waitcnt lgkmcnt(0)
	v_cmp_ne_u32_e64 s[52:53], s7, v12
	v_cndmask_b32_e64 v12, v73, v12, s[52:53]
	v_lshrrev_b32_e32 v12, s77, v12
	v_and_b32_e32 v80, s63, v12
.LBB1330_624:                           ;   in Loop: Header=BB1330_558 Depth=2
	s_or_b64 exec, exec, s[60:61]
	v_lshlrev_b32_e32 v12, 3, v103
	s_waitcnt vmcnt(0)
	s_barrier
	ds_write_b64 v12, v[28:29] offset:1024
	v_lshlrev_b32_e32 v12, 3, v31
	ds_write_b64 v12, v[26:27] offset:1024
	v_lshlrev_b32_e32 v12, 3, v19
	;; [unrolled: 2-line block ×7, first 2 shown]
	ds_write_b64 v12, v[5:6] offset:1024
	v_add_u32_e32 v12, v50, v32
	s_waitcnt lgkmcnt(0)
	s_barrier
	s_and_saveexec_b64 s[52:53], vcc
	s_cbranch_execnz .LBB1330_657
; %bb.625:                              ;   in Loop: Header=BB1330_558 Depth=2
	s_or_b64 exec, exec, s[52:53]
	s_and_saveexec_b64 s[52:53], s[38:39]
	s_cbranch_execnz .LBB1330_658
.LBB1330_626:                           ;   in Loop: Header=BB1330_558 Depth=2
	s_or_b64 exec, exec, s[52:53]
	s_and_saveexec_b64 s[38:39], s[40:41]
	s_cbranch_execnz .LBB1330_659
.LBB1330_627:                           ;   in Loop: Header=BB1330_558 Depth=2
	s_or_b64 exec, exec, s[38:39]
	s_and_saveexec_b64 s[38:39], s[42:43]
	s_cbranch_execnz .LBB1330_660
.LBB1330_628:                           ;   in Loop: Header=BB1330_558 Depth=2
	s_or_b64 exec, exec, s[38:39]
	s_and_saveexec_b64 s[38:39], s[44:45]
	s_cbranch_execnz .LBB1330_661
.LBB1330_629:                           ;   in Loop: Header=BB1330_558 Depth=2
	s_or_b64 exec, exec, s[38:39]
	s_and_saveexec_b64 s[38:39], s[46:47]
	s_cbranch_execnz .LBB1330_662
.LBB1330_630:                           ;   in Loop: Header=BB1330_558 Depth=2
	s_or_b64 exec, exec, s[38:39]
	s_and_saveexec_b64 s[38:39], s[48:49]
	s_cbranch_execnz .LBB1330_663
.LBB1330_631:                           ;   in Loop: Header=BB1330_558 Depth=2
	s_or_b64 exec, exec, s[38:39]
	s_and_saveexec_b64 s[38:39], s[50:51]
	s_cbranch_execz .LBB1330_633
.LBB1330_632:                           ;   in Loop: Header=BB1330_558 Depth=2
	v_lshlrev_b32_e32 v13, 2, v80
	ds_read_b32 v14, v13
	ds_read_b64 v[12:13], v12 offset:15360
	v_mov_b32_e32 v15, v3
	v_mov_b32_e32 v16, s75
	s_waitcnt lgkmcnt(1)
	v_add_u32_e32 v14, v14, v41
	v_lshlrev_b64 v[14:15], 3, v[14:15]
	v_add_co_u32_e32 v14, vcc, s74, v14
	v_addc_co_u32_e32 v15, vcc, v16, v15, vcc
	s_waitcnt lgkmcnt(0)
	global_store_dwordx2 v[14:15], v[12:13], off
.LBB1330_633:                           ;   in Loop: Header=BB1330_558 Depth=2
	s_or_b64 exec, exec, s[38:39]
	s_waitcnt vmcnt(0)
	s_barrier
	s_and_saveexec_b64 s[38:39], s[4:5]
	s_cbranch_execz .LBB1330_557
; %bb.634:                              ;   in Loop: Header=BB1330_558 Depth=2
	ds_read_b32 v12, v32
	s_waitcnt lgkmcnt(0)
	v_add_u32_e32 v4, v12, v4
	ds_write_b32 v32, v4
	s_branch .LBB1330_557
.LBB1330_635:                           ;   in Loop: Header=BB1330_558 Depth=2
	ds_read_b32 v12, v50 offset:1024
	v_mov_b32_e32 v13, v3
	v_mov_b32_e32 v102, s69
	s_waitcnt lgkmcnt(0)
	v_cmp_ne_u32_e64 s[38:39], s7, v12
	v_cndmask_b32_e64 v30, v73, v12, s[38:39]
	v_lshrrev_b32_e32 v30, s77, v30
	v_and_b32_e32 v30, s63, v30
	v_lshlrev_b32_e32 v30, 2, v30
	ds_read_b32 v30, v30
	v_cmp_gt_i32_e64 s[38:39], 0, v12
	v_cndmask_b32_e64 v104, v73, 0, s[38:39]
	v_xor_b32_e32 v104, v104, v12
	s_waitcnt lgkmcnt(0)
	v_add_u32_e32 v12, v30, v0
	v_lshlrev_b64 v[12:13], 2, v[12:13]
	v_add_co_u32_e64 v12, s[38:39], s68, v12
	v_addc_co_u32_e64 v13, s[38:39], v102, v13, s[38:39]
	global_store_dword v[12:13], v104, off
	s_or_b64 exec, exec, s[40:41]
	v_cmp_lt_u32_e64 s[38:39], v33, v101
	s_and_saveexec_b64 s[42:43], s[38:39]
	s_cbranch_execz .LBB1330_600
.LBB1330_636:                           ;   in Loop: Header=BB1330_558 Depth=2
	ds_read_b32 v12, v50 offset:2048
	v_mov_b32_e32 v13, v3
	v_mov_b32_e32 v102, s69
	s_waitcnt lgkmcnt(0)
	v_cmp_ne_u32_e64 s[40:41], s7, v12
	v_cndmask_b32_e64 v30, v73, v12, s[40:41]
	v_lshrrev_b32_e32 v30, s77, v30
	v_and_b32_e32 v30, s63, v30
	v_lshlrev_b32_e32 v30, 2, v30
	ds_read_b32 v30, v30
	v_cmp_gt_i32_e64 s[40:41], 0, v12
	v_cndmask_b32_e64 v104, v73, 0, s[40:41]
	v_xor_b32_e32 v104, v104, v12
	s_waitcnt lgkmcnt(0)
	v_add_u32_e32 v12, v30, v33
	v_lshlrev_b64 v[12:13], 2, v[12:13]
	v_add_co_u32_e64 v12, s[40:41], s68, v12
	v_addc_co_u32_e64 v13, s[40:41], v102, v13, s[40:41]
	global_store_dword v[12:13], v104, off
	s_or_b64 exec, exec, s[42:43]
	v_cmp_lt_u32_e64 s[40:41], v34, v101
	s_and_saveexec_b64 s[44:45], s[40:41]
	s_cbranch_execz .LBB1330_601
.LBB1330_637:                           ;   in Loop: Header=BB1330_558 Depth=2
	ds_read_b32 v12, v50 offset:3072
	v_mov_b32_e32 v13, v3
	v_mov_b32_e32 v102, s69
	s_waitcnt lgkmcnt(0)
	v_cmp_ne_u32_e64 s[42:43], s7, v12
	v_cndmask_b32_e64 v30, v73, v12, s[42:43]
	v_lshrrev_b32_e32 v30, s77, v30
	v_and_b32_e32 v30, s63, v30
	v_lshlrev_b32_e32 v30, 2, v30
	ds_read_b32 v30, v30
	v_cmp_gt_i32_e64 s[42:43], 0, v12
	v_cndmask_b32_e64 v104, v73, 0, s[42:43]
	v_xor_b32_e32 v104, v104, v12
	s_waitcnt lgkmcnt(0)
	v_add_u32_e32 v12, v30, v34
	v_lshlrev_b64 v[12:13], 2, v[12:13]
	v_add_co_u32_e64 v12, s[42:43], s68, v12
	v_addc_co_u32_e64 v13, s[42:43], v102, v13, s[42:43]
	global_store_dword v[12:13], v104, off
	s_or_b64 exec, exec, s[44:45]
	v_cmp_lt_u32_e64 s[42:43], v35, v101
	s_and_saveexec_b64 s[46:47], s[42:43]
	s_cbranch_execz .LBB1330_602
.LBB1330_638:                           ;   in Loop: Header=BB1330_558 Depth=2
	ds_read_b32 v12, v50 offset:4096
	v_mov_b32_e32 v13, v3
	v_mov_b32_e32 v102, s69
	s_waitcnt lgkmcnt(0)
	v_cmp_ne_u32_e64 s[44:45], s7, v12
	v_cndmask_b32_e64 v30, v73, v12, s[44:45]
	v_lshrrev_b32_e32 v30, s77, v30
	v_and_b32_e32 v30, s63, v30
	v_lshlrev_b32_e32 v30, 2, v30
	ds_read_b32 v30, v30
	v_cmp_gt_i32_e64 s[44:45], 0, v12
	v_cndmask_b32_e64 v104, v73, 0, s[44:45]
	v_xor_b32_e32 v104, v104, v12
	s_waitcnt lgkmcnt(0)
	v_add_u32_e32 v12, v30, v35
	v_lshlrev_b64 v[12:13], 2, v[12:13]
	v_add_co_u32_e64 v12, s[44:45], s68, v12
	v_addc_co_u32_e64 v13, s[44:45], v102, v13, s[44:45]
	global_store_dword v[12:13], v104, off
	s_or_b64 exec, exec, s[46:47]
	v_cmp_lt_u32_e64 s[44:45], v38, v101
	s_and_saveexec_b64 s[48:49], s[44:45]
	s_cbranch_execz .LBB1330_603
.LBB1330_639:                           ;   in Loop: Header=BB1330_558 Depth=2
	ds_read_b32 v12, v50 offset:5120
	v_mov_b32_e32 v13, v3
	v_mov_b32_e32 v102, s69
	s_waitcnt lgkmcnt(0)
	v_cmp_ne_u32_e64 s[46:47], s7, v12
	v_cndmask_b32_e64 v30, v73, v12, s[46:47]
	v_lshrrev_b32_e32 v30, s77, v30
	v_and_b32_e32 v30, s63, v30
	v_lshlrev_b32_e32 v30, 2, v30
	ds_read_b32 v30, v30
	v_cmp_gt_i32_e64 s[46:47], 0, v12
	v_cndmask_b32_e64 v104, v73, 0, s[46:47]
	v_xor_b32_e32 v104, v104, v12
	s_waitcnt lgkmcnt(0)
	v_add_u32_e32 v12, v30, v38
	v_lshlrev_b64 v[12:13], 2, v[12:13]
	v_add_co_u32_e64 v12, s[46:47], s68, v12
	v_addc_co_u32_e64 v13, s[46:47], v102, v13, s[46:47]
	global_store_dword v[12:13], v104, off
	s_or_b64 exec, exec, s[48:49]
	v_cmp_lt_u32_e64 s[46:47], v39, v101
	s_and_saveexec_b64 s[50:51], s[46:47]
	s_cbranch_execz .LBB1330_604
.LBB1330_640:                           ;   in Loop: Header=BB1330_558 Depth=2
	ds_read_b32 v12, v50 offset:6144
	v_mov_b32_e32 v13, v3
	v_mov_b32_e32 v102, s69
	s_waitcnt lgkmcnt(0)
	v_cmp_ne_u32_e64 s[48:49], s7, v12
	v_cndmask_b32_e64 v30, v73, v12, s[48:49]
	v_lshrrev_b32_e32 v30, s77, v30
	v_and_b32_e32 v30, s63, v30
	v_lshlrev_b32_e32 v30, 2, v30
	ds_read_b32 v30, v30
	v_cmp_gt_i32_e64 s[48:49], 0, v12
	v_cndmask_b32_e64 v104, v73, 0, s[48:49]
	v_xor_b32_e32 v104, v104, v12
	s_waitcnt lgkmcnt(0)
	v_add_u32_e32 v12, v30, v39
	v_lshlrev_b64 v[12:13], 2, v[12:13]
	v_add_co_u32_e64 v12, s[48:49], s68, v12
	v_addc_co_u32_e64 v13, s[48:49], v102, v13, s[48:49]
	global_store_dword v[12:13], v104, off
	s_or_b64 exec, exec, s[50:51]
	v_cmp_lt_u32_e64 s[48:49], v40, v101
	s_and_saveexec_b64 s[52:53], s[48:49]
	s_cbranch_execz .LBB1330_605
.LBB1330_641:                           ;   in Loop: Header=BB1330_558 Depth=2
	ds_read_b32 v12, v50 offset:7168
	v_mov_b32_e32 v13, v3
	v_mov_b32_e32 v102, s69
	s_waitcnt lgkmcnt(0)
	v_cmp_ne_u32_e64 s[50:51], s7, v12
	v_cndmask_b32_e64 v30, v73, v12, s[50:51]
	v_lshrrev_b32_e32 v30, s77, v30
	v_and_b32_e32 v30, s63, v30
	v_lshlrev_b32_e32 v30, 2, v30
	ds_read_b32 v30, v30
	v_cmp_gt_i32_e64 s[50:51], 0, v12
	v_cndmask_b32_e64 v104, v73, 0, s[50:51]
	v_xor_b32_e32 v104, v104, v12
	s_waitcnt lgkmcnt(0)
	v_add_u32_e32 v12, v30, v40
	v_lshlrev_b64 v[12:13], 2, v[12:13]
	v_add_co_u32_e64 v12, s[50:51], s68, v12
	v_addc_co_u32_e64 v13, s[50:51], v102, v13, s[50:51]
	global_store_dword v[12:13], v104, off
	s_or_b64 exec, exec, s[52:53]
	v_cmp_lt_u32_e64 s[50:51], v41, v101
	s_and_saveexec_b64 s[60:61], s[50:51]
	s_cbranch_execnz .LBB1330_606
	s_branch .LBB1330_607
.LBB1330_642:                           ;   in Loop: Header=BB1330_558 Depth=2
	global_load_dwordx2 v[28:29], v[12:13], off
	s_or_b64 exec, exec, s[52:53]
	v_cmp_lt_u32_e64 s[52:53], v91, v101
	s_and_saveexec_b64 s[60:61], s[52:53]
	s_cbranch_execz .LBB1330_609
.LBB1330_643:                           ;   in Loop: Header=BB1330_558 Depth=2
	global_load_dwordx2 v[26:27], v[12:13], off offset:512
	s_or_b64 exec, exec, s[60:61]
	v_cmp_lt_u32_e64 s[52:53], v92, v101
	s_and_saveexec_b64 s[60:61], s[52:53]
	s_cbranch_execz .LBB1330_610
.LBB1330_644:                           ;   in Loop: Header=BB1330_558 Depth=2
	global_load_dwordx2 v[24:25], v[12:13], off offset:1024
	s_or_b64 exec, exec, s[60:61]
	v_cmp_lt_u32_e64 s[52:53], v93, v101
	s_and_saveexec_b64 s[60:61], s[52:53]
	s_cbranch_execz .LBB1330_611
.LBB1330_645:                           ;   in Loop: Header=BB1330_558 Depth=2
	global_load_dwordx2 v[22:23], v[12:13], off offset:1536
	s_or_b64 exec, exec, s[60:61]
	v_cmp_lt_u32_e64 s[52:53], v94, v101
	s_and_saveexec_b64 s[60:61], s[52:53]
	s_cbranch_execz .LBB1330_612
.LBB1330_646:                           ;   in Loop: Header=BB1330_558 Depth=2
	global_load_dwordx2 v[20:21], v[12:13], off offset:2048
	s_or_b64 exec, exec, s[60:61]
	v_cmp_lt_u32_e64 s[52:53], v95, v101
	s_and_saveexec_b64 s[60:61], s[52:53]
	s_cbranch_execz .LBB1330_613
.LBB1330_647:                           ;   in Loop: Header=BB1330_558 Depth=2
	global_load_dwordx2 v[9:10], v[12:13], off offset:2560
	s_or_b64 exec, exec, s[60:61]
	v_cmp_lt_u32_e64 s[52:53], v96, v101
	s_and_saveexec_b64 s[60:61], s[52:53]
	s_cbranch_execz .LBB1330_614
.LBB1330_648:                           ;   in Loop: Header=BB1330_558 Depth=2
	global_load_dwordx2 v[7:8], v[12:13], off offset:3072
	s_or_b64 exec, exec, s[60:61]
	v_cmp_lt_u32_e64 s[52:53], v97, v101
	s_and_saveexec_b64 s[60:61], s[52:53]
	s_cbranch_execz .LBB1330_615
.LBB1330_649:                           ;   in Loop: Header=BB1330_558 Depth=2
	global_load_dwordx2 v[5:6], v[12:13], off offset:3584
	s_or_b64 exec, exec, s[60:61]
	s_and_saveexec_b64 s[60:61], vcc
	s_cbranch_execz .LBB1330_616
.LBB1330_650:                           ;   in Loop: Header=BB1330_558 Depth=2
	ds_read_b32 v12, v50 offset:1024
	s_waitcnt lgkmcnt(0)
	v_cmp_ne_u32_e64 s[52:53], s7, v12
	v_cndmask_b32_e64 v12, v73, v12, s[52:53]
	v_lshrrev_b32_e32 v12, s77, v12
	v_and_b32_e32 v90, s63, v12
	s_or_b64 exec, exec, s[60:61]
	s_and_saveexec_b64 s[60:61], s[38:39]
	s_cbranch_execz .LBB1330_617
.LBB1330_651:                           ;   in Loop: Header=BB1330_558 Depth=2
	ds_read_b32 v12, v50 offset:2048
	s_waitcnt lgkmcnt(0)
	v_cmp_ne_u32_e64 s[52:53], s7, v12
	v_cndmask_b32_e64 v12, v73, v12, s[52:53]
	v_lshrrev_b32_e32 v12, s77, v12
	v_and_b32_e32 v88, s63, v12
	s_or_b64 exec, exec, s[60:61]
	s_and_saveexec_b64 s[60:61], s[40:41]
	s_cbranch_execz .LBB1330_618
.LBB1330_652:                           ;   in Loop: Header=BB1330_558 Depth=2
	ds_read_b32 v12, v50 offset:3072
	s_waitcnt lgkmcnt(0)
	v_cmp_ne_u32_e64 s[52:53], s7, v12
	v_cndmask_b32_e64 v12, v73, v12, s[52:53]
	v_lshrrev_b32_e32 v12, s77, v12
	v_and_b32_e32 v86, s63, v12
	s_or_b64 exec, exec, s[60:61]
	s_and_saveexec_b64 s[60:61], s[42:43]
	s_cbranch_execz .LBB1330_619
.LBB1330_653:                           ;   in Loop: Header=BB1330_558 Depth=2
	ds_read_b32 v12, v50 offset:4096
	s_waitcnt lgkmcnt(0)
	v_cmp_ne_u32_e64 s[52:53], s7, v12
	v_cndmask_b32_e64 v12, v73, v12, s[52:53]
	v_lshrrev_b32_e32 v12, s77, v12
	v_and_b32_e32 v85, s63, v12
	s_or_b64 exec, exec, s[60:61]
	s_and_saveexec_b64 s[60:61], s[44:45]
	s_cbranch_execz .LBB1330_620
.LBB1330_654:                           ;   in Loop: Header=BB1330_558 Depth=2
	ds_read_b32 v12, v50 offset:5120
	s_waitcnt lgkmcnt(0)
	v_cmp_ne_u32_e64 s[52:53], s7, v12
	v_cndmask_b32_e64 v12, v73, v12, s[52:53]
	v_lshrrev_b32_e32 v12, s77, v12
	v_and_b32_e32 v83, s63, v12
	s_or_b64 exec, exec, s[60:61]
	s_and_saveexec_b64 s[60:61], s[46:47]
	s_cbranch_execz .LBB1330_621
.LBB1330_655:                           ;   in Loop: Header=BB1330_558 Depth=2
	ds_read_b32 v12, v50 offset:6144
	s_waitcnt lgkmcnt(0)
	v_cmp_ne_u32_e64 s[52:53], s7, v12
	v_cndmask_b32_e64 v12, v73, v12, s[52:53]
	v_lshrrev_b32_e32 v12, s77, v12
	v_and_b32_e32 v82, s63, v12
	s_or_b64 exec, exec, s[60:61]
	s_and_saveexec_b64 s[60:61], s[48:49]
	s_cbranch_execz .LBB1330_622
.LBB1330_656:                           ;   in Loop: Header=BB1330_558 Depth=2
	ds_read_b32 v12, v50 offset:7168
	s_waitcnt lgkmcnt(0)
	v_cmp_ne_u32_e64 s[52:53], s7, v12
	v_cndmask_b32_e64 v12, v73, v12, s[52:53]
	v_lshrrev_b32_e32 v12, s77, v12
	v_and_b32_e32 v81, s63, v12
	s_or_b64 exec, exec, s[60:61]
	s_and_saveexec_b64 s[60:61], s[50:51]
	s_cbranch_execnz .LBB1330_623
	s_branch .LBB1330_624
.LBB1330_657:                           ;   in Loop: Header=BB1330_558 Depth=2
	v_lshlrev_b32_e32 v13, 2, v90
	ds_read_b32 v15, v13
	ds_read_b64 v[13:14], v12 offset:1024
	v_mov_b32_e32 v16, v3
	v_mov_b32_e32 v17, s75
	s_waitcnt lgkmcnt(1)
	v_add_u32_e32 v15, v15, v0
	v_lshlrev_b64 v[15:16], 3, v[15:16]
	v_add_co_u32_e32 v15, vcc, s74, v15
	v_addc_co_u32_e32 v16, vcc, v17, v16, vcc
	s_waitcnt lgkmcnt(0)
	global_store_dwordx2 v[15:16], v[13:14], off
	s_or_b64 exec, exec, s[52:53]
	s_and_saveexec_b64 s[52:53], s[38:39]
	s_cbranch_execz .LBB1330_626
.LBB1330_658:                           ;   in Loop: Header=BB1330_558 Depth=2
	v_lshlrev_b32_e32 v13, 2, v88
	ds_read_b32 v15, v13
	ds_read_b64 v[13:14], v12 offset:3072
	v_mov_b32_e32 v16, v3
	v_mov_b32_e32 v17, s75
	s_waitcnt lgkmcnt(1)
	v_add_u32_e32 v15, v15, v33
	v_lshlrev_b64 v[15:16], 3, v[15:16]
	v_add_co_u32_e32 v15, vcc, s74, v15
	v_addc_co_u32_e32 v16, vcc, v17, v16, vcc
	s_waitcnt lgkmcnt(0)
	global_store_dwordx2 v[15:16], v[13:14], off
	s_or_b64 exec, exec, s[52:53]
	s_and_saveexec_b64 s[38:39], s[40:41]
	s_cbranch_execz .LBB1330_627
.LBB1330_659:                           ;   in Loop: Header=BB1330_558 Depth=2
	v_lshlrev_b32_e32 v13, 2, v86
	ds_read_b32 v15, v13
	ds_read_b64 v[13:14], v12 offset:5120
	v_mov_b32_e32 v16, v3
	v_mov_b32_e32 v17, s75
	s_waitcnt lgkmcnt(1)
	v_add_u32_e32 v15, v15, v34
	v_lshlrev_b64 v[15:16], 3, v[15:16]
	v_add_co_u32_e32 v15, vcc, s74, v15
	v_addc_co_u32_e32 v16, vcc, v17, v16, vcc
	s_waitcnt lgkmcnt(0)
	global_store_dwordx2 v[15:16], v[13:14], off
	s_or_b64 exec, exec, s[38:39]
	s_and_saveexec_b64 s[38:39], s[42:43]
	s_cbranch_execz .LBB1330_628
.LBB1330_660:                           ;   in Loop: Header=BB1330_558 Depth=2
	v_lshlrev_b32_e32 v13, 2, v85
	ds_read_b32 v15, v13
	ds_read_b64 v[13:14], v12 offset:7168
	v_mov_b32_e32 v16, v3
	v_mov_b32_e32 v17, s75
	s_waitcnt lgkmcnt(1)
	v_add_u32_e32 v15, v15, v35
	v_lshlrev_b64 v[15:16], 3, v[15:16]
	v_add_co_u32_e32 v15, vcc, s74, v15
	v_addc_co_u32_e32 v16, vcc, v17, v16, vcc
	s_waitcnt lgkmcnt(0)
	global_store_dwordx2 v[15:16], v[13:14], off
	s_or_b64 exec, exec, s[38:39]
	s_and_saveexec_b64 s[38:39], s[44:45]
	s_cbranch_execz .LBB1330_629
.LBB1330_661:                           ;   in Loop: Header=BB1330_558 Depth=2
	v_lshlrev_b32_e32 v13, 2, v83
	ds_read_b32 v15, v13
	ds_read_b64 v[13:14], v12 offset:9216
	v_mov_b32_e32 v16, v3
	v_mov_b32_e32 v17, s75
	s_waitcnt lgkmcnt(1)
	v_add_u32_e32 v15, v15, v38
	v_lshlrev_b64 v[15:16], 3, v[15:16]
	v_add_co_u32_e32 v15, vcc, s74, v15
	v_addc_co_u32_e32 v16, vcc, v17, v16, vcc
	s_waitcnt lgkmcnt(0)
	global_store_dwordx2 v[15:16], v[13:14], off
	s_or_b64 exec, exec, s[38:39]
	s_and_saveexec_b64 s[38:39], s[46:47]
	s_cbranch_execz .LBB1330_630
.LBB1330_662:                           ;   in Loop: Header=BB1330_558 Depth=2
	v_lshlrev_b32_e32 v13, 2, v82
	ds_read_b32 v15, v13
	ds_read_b64 v[13:14], v12 offset:11264
	v_mov_b32_e32 v16, v3
	v_mov_b32_e32 v17, s75
	s_waitcnt lgkmcnt(1)
	v_add_u32_e32 v15, v15, v39
	v_lshlrev_b64 v[15:16], 3, v[15:16]
	v_add_co_u32_e32 v15, vcc, s74, v15
	v_addc_co_u32_e32 v16, vcc, v17, v16, vcc
	s_waitcnt lgkmcnt(0)
	global_store_dwordx2 v[15:16], v[13:14], off
	s_or_b64 exec, exec, s[38:39]
	s_and_saveexec_b64 s[38:39], s[48:49]
	s_cbranch_execz .LBB1330_631
.LBB1330_663:                           ;   in Loop: Header=BB1330_558 Depth=2
	v_lshlrev_b32_e32 v13, 2, v81
	ds_read_b32 v15, v13
	ds_read_b64 v[13:14], v12 offset:13312
	v_mov_b32_e32 v16, v3
	v_mov_b32_e32 v17, s75
	s_waitcnt lgkmcnt(1)
	v_add_u32_e32 v15, v15, v40
	v_lshlrev_b64 v[15:16], 3, v[15:16]
	v_add_co_u32_e32 v15, vcc, s74, v15
	v_addc_co_u32_e32 v16, vcc, v17, v16, vcc
	s_waitcnt lgkmcnt(0)
	global_store_dwordx2 v[15:16], v[13:14], off
	s_or_b64 exec, exec, s[38:39]
	s_and_saveexec_b64 s[38:39], s[50:51]
	s_cbranch_execnz .LBB1330_632
	s_branch .LBB1330_633
.LBB1330_664:                           ;   in Loop: Header=BB1330_558 Depth=2
	global_load_dword v12, v[30:31], off
	v_mov_b32_e32 v13, v11
	v_mov_b32_e32 v14, v11
	;; [unrolled: 1-line block ×7, first 2 shown]
	s_or_b64 exec, exec, s[38:39]
	v_cmp_gt_u32_e32 vcc, s70, v91
	s_and_saveexec_b64 s[38:39], vcc
	s_cbranch_execz .LBB1330_563
.LBB1330_665:                           ;   in Loop: Header=BB1330_558 Depth=2
	global_load_dword v13, v[30:31], off offset:256
	s_or_b64 exec, exec, s[38:39]
	v_cmp_gt_u32_e32 vcc, s70, v92
	s_and_saveexec_b64 s[38:39], vcc
	s_cbranch_execz .LBB1330_564
.LBB1330_666:                           ;   in Loop: Header=BB1330_558 Depth=2
	global_load_dword v14, v[30:31], off offset:512
	s_or_b64 exec, exec, s[38:39]
	v_cmp_gt_u32_e32 vcc, s70, v93
	s_and_saveexec_b64 s[38:39], vcc
	s_cbranch_execz .LBB1330_565
.LBB1330_667:                           ;   in Loop: Header=BB1330_558 Depth=2
	global_load_dword v15, v[30:31], off offset:768
	s_or_b64 exec, exec, s[38:39]
	v_cmp_gt_u32_e32 vcc, s70, v94
	s_and_saveexec_b64 s[38:39], vcc
	s_cbranch_execz .LBB1330_566
.LBB1330_668:                           ;   in Loop: Header=BB1330_558 Depth=2
	global_load_dword v16, v[30:31], off offset:1024
	s_or_b64 exec, exec, s[38:39]
	v_cmp_gt_u32_e32 vcc, s70, v95
	s_and_saveexec_b64 s[38:39], vcc
	s_cbranch_execz .LBB1330_567
.LBB1330_669:                           ;   in Loop: Header=BB1330_558 Depth=2
	global_load_dword v17, v[30:31], off offset:1280
	s_or_b64 exec, exec, s[38:39]
	v_cmp_gt_u32_e32 vcc, s70, v96
	s_and_saveexec_b64 s[38:39], vcc
	s_cbranch_execnz .LBB1330_568
	s_branch .LBB1330_569
.LBB1330_670:
	s_endpgm
	.section	.rodata,"a",@progbits
	.p2align	6, 0x0
	.amdhsa_kernel _ZN7rocprim17ROCPRIM_400000_NS6detail17trampoline_kernelINS0_14default_configENS1_36segmented_radix_sort_config_selectorIflEEZNS1_25segmented_radix_sort_implIS3_Lb1EPKfPfPKlPlN2at6native12_GLOBAL__N_18offset_tEEE10hipError_tPvRmT1_PNSt15iterator_traitsISK_E10value_typeET2_T3_PNSL_ISQ_E10value_typeET4_jRbjT5_SW_jjP12ihipStream_tbEUlT_E_NS1_11comp_targetILNS1_3genE2ELNS1_11target_archE906ELNS1_3gpuE6ELNS1_3repE0EEENS1_30default_config_static_selectorELNS0_4arch9wavefront6targetE1EEEvSK_
		.amdhsa_group_segment_fixed_size 17424
		.amdhsa_private_segment_fixed_size 0
		.amdhsa_kernarg_size 352
		.amdhsa_user_sgpr_count 6
		.amdhsa_user_sgpr_private_segment_buffer 1
		.amdhsa_user_sgpr_dispatch_ptr 0
		.amdhsa_user_sgpr_queue_ptr 0
		.amdhsa_user_sgpr_kernarg_segment_ptr 1
		.amdhsa_user_sgpr_dispatch_id 0
		.amdhsa_user_sgpr_flat_scratch_init 0
		.amdhsa_user_sgpr_private_segment_size 0
		.amdhsa_uses_dynamic_stack 0
		.amdhsa_system_sgpr_private_segment_wavefront_offset 0
		.amdhsa_system_sgpr_workgroup_id_x 1
		.amdhsa_system_sgpr_workgroup_id_y 1
		.amdhsa_system_sgpr_workgroup_id_z 0
		.amdhsa_system_sgpr_workgroup_info 0
		.amdhsa_system_vgpr_workitem_id 2
		.amdhsa_next_free_vgpr 178
		.amdhsa_next_free_sgpr 98
		.amdhsa_reserve_vcc 1
		.amdhsa_reserve_flat_scratch 0
		.amdhsa_float_round_mode_32 0
		.amdhsa_float_round_mode_16_64 0
		.amdhsa_float_denorm_mode_32 3
		.amdhsa_float_denorm_mode_16_64 3
		.amdhsa_dx10_clamp 1
		.amdhsa_ieee_mode 1
		.amdhsa_fp16_overflow 0
		.amdhsa_exception_fp_ieee_invalid_op 0
		.amdhsa_exception_fp_denorm_src 0
		.amdhsa_exception_fp_ieee_div_zero 0
		.amdhsa_exception_fp_ieee_overflow 0
		.amdhsa_exception_fp_ieee_underflow 0
		.amdhsa_exception_fp_ieee_inexact 0
		.amdhsa_exception_int_div_zero 0
	.end_amdhsa_kernel
	.section	.text._ZN7rocprim17ROCPRIM_400000_NS6detail17trampoline_kernelINS0_14default_configENS1_36segmented_radix_sort_config_selectorIflEEZNS1_25segmented_radix_sort_implIS3_Lb1EPKfPfPKlPlN2at6native12_GLOBAL__N_18offset_tEEE10hipError_tPvRmT1_PNSt15iterator_traitsISK_E10value_typeET2_T3_PNSL_ISQ_E10value_typeET4_jRbjT5_SW_jjP12ihipStream_tbEUlT_E_NS1_11comp_targetILNS1_3genE2ELNS1_11target_archE906ELNS1_3gpuE6ELNS1_3repE0EEENS1_30default_config_static_selectorELNS0_4arch9wavefront6targetE1EEEvSK_,"axG",@progbits,_ZN7rocprim17ROCPRIM_400000_NS6detail17trampoline_kernelINS0_14default_configENS1_36segmented_radix_sort_config_selectorIflEEZNS1_25segmented_radix_sort_implIS3_Lb1EPKfPfPKlPlN2at6native12_GLOBAL__N_18offset_tEEE10hipError_tPvRmT1_PNSt15iterator_traitsISK_E10value_typeET2_T3_PNSL_ISQ_E10value_typeET4_jRbjT5_SW_jjP12ihipStream_tbEUlT_E_NS1_11comp_targetILNS1_3genE2ELNS1_11target_archE906ELNS1_3gpuE6ELNS1_3repE0EEENS1_30default_config_static_selectorELNS0_4arch9wavefront6targetE1EEEvSK_,comdat
.Lfunc_end1330:
	.size	_ZN7rocprim17ROCPRIM_400000_NS6detail17trampoline_kernelINS0_14default_configENS1_36segmented_radix_sort_config_selectorIflEEZNS1_25segmented_radix_sort_implIS3_Lb1EPKfPfPKlPlN2at6native12_GLOBAL__N_18offset_tEEE10hipError_tPvRmT1_PNSt15iterator_traitsISK_E10value_typeET2_T3_PNSL_ISQ_E10value_typeET4_jRbjT5_SW_jjP12ihipStream_tbEUlT_E_NS1_11comp_targetILNS1_3genE2ELNS1_11target_archE906ELNS1_3gpuE6ELNS1_3repE0EEENS1_30default_config_static_selectorELNS0_4arch9wavefront6targetE1EEEvSK_, .Lfunc_end1330-_ZN7rocprim17ROCPRIM_400000_NS6detail17trampoline_kernelINS0_14default_configENS1_36segmented_radix_sort_config_selectorIflEEZNS1_25segmented_radix_sort_implIS3_Lb1EPKfPfPKlPlN2at6native12_GLOBAL__N_18offset_tEEE10hipError_tPvRmT1_PNSt15iterator_traitsISK_E10value_typeET2_T3_PNSL_ISQ_E10value_typeET4_jRbjT5_SW_jjP12ihipStream_tbEUlT_E_NS1_11comp_targetILNS1_3genE2ELNS1_11target_archE906ELNS1_3gpuE6ELNS1_3repE0EEENS1_30default_config_static_selectorELNS0_4arch9wavefront6targetE1EEEvSK_
                                        ; -- End function
	.set _ZN7rocprim17ROCPRIM_400000_NS6detail17trampoline_kernelINS0_14default_configENS1_36segmented_radix_sort_config_selectorIflEEZNS1_25segmented_radix_sort_implIS3_Lb1EPKfPfPKlPlN2at6native12_GLOBAL__N_18offset_tEEE10hipError_tPvRmT1_PNSt15iterator_traitsISK_E10value_typeET2_T3_PNSL_ISQ_E10value_typeET4_jRbjT5_SW_jjP12ihipStream_tbEUlT_E_NS1_11comp_targetILNS1_3genE2ELNS1_11target_archE906ELNS1_3gpuE6ELNS1_3repE0EEENS1_30default_config_static_selectorELNS0_4arch9wavefront6targetE1EEEvSK_.num_vgpr, max(131, .L_ZN7rocprim17ROCPRIM_400000_NS6detail40segmented_radix_sort_single_block_helperIflLj256ELj8ELb1EE4sortIPKfPfPKlPlEEbT_T0_T1_T2_jjjjRNS3_12storage_typeE.num_vgpr)
	.set _ZN7rocprim17ROCPRIM_400000_NS6detail17trampoline_kernelINS0_14default_configENS1_36segmented_radix_sort_config_selectorIflEEZNS1_25segmented_radix_sort_implIS3_Lb1EPKfPfPKlPlN2at6native12_GLOBAL__N_18offset_tEEE10hipError_tPvRmT1_PNSt15iterator_traitsISK_E10value_typeET2_T3_PNSL_ISQ_E10value_typeET4_jRbjT5_SW_jjP12ihipStream_tbEUlT_E_NS1_11comp_targetILNS1_3genE2ELNS1_11target_archE906ELNS1_3gpuE6ELNS1_3repE0EEENS1_30default_config_static_selectorELNS0_4arch9wavefront6targetE1EEEvSK_.num_agpr, max(0, .L_ZN7rocprim17ROCPRIM_400000_NS6detail40segmented_radix_sort_single_block_helperIflLj256ELj8ELb1EE4sortIPKfPfPKlPlEEbT_T0_T1_T2_jjjjRNS3_12storage_typeE.num_agpr)
	.set _ZN7rocprim17ROCPRIM_400000_NS6detail17trampoline_kernelINS0_14default_configENS1_36segmented_radix_sort_config_selectorIflEEZNS1_25segmented_radix_sort_implIS3_Lb1EPKfPfPKlPlN2at6native12_GLOBAL__N_18offset_tEEE10hipError_tPvRmT1_PNSt15iterator_traitsISK_E10value_typeET2_T3_PNSL_ISQ_E10value_typeET4_jRbjT5_SW_jjP12ihipStream_tbEUlT_E_NS1_11comp_targetILNS1_3genE2ELNS1_11target_archE906ELNS1_3gpuE6ELNS1_3repE0EEENS1_30default_config_static_selectorELNS0_4arch9wavefront6targetE1EEEvSK_.numbered_sgpr, max(82, .L_ZN7rocprim17ROCPRIM_400000_NS6detail40segmented_radix_sort_single_block_helperIflLj256ELj8ELb1EE4sortIPKfPfPKlPlEEbT_T0_T1_T2_jjjjRNS3_12storage_typeE.numbered_sgpr)
	.set _ZN7rocprim17ROCPRIM_400000_NS6detail17trampoline_kernelINS0_14default_configENS1_36segmented_radix_sort_config_selectorIflEEZNS1_25segmented_radix_sort_implIS3_Lb1EPKfPfPKlPlN2at6native12_GLOBAL__N_18offset_tEEE10hipError_tPvRmT1_PNSt15iterator_traitsISK_E10value_typeET2_T3_PNSL_ISQ_E10value_typeET4_jRbjT5_SW_jjP12ihipStream_tbEUlT_E_NS1_11comp_targetILNS1_3genE2ELNS1_11target_archE906ELNS1_3gpuE6ELNS1_3repE0EEENS1_30default_config_static_selectorELNS0_4arch9wavefront6targetE1EEEvSK_.num_named_barrier, max(0, .L_ZN7rocprim17ROCPRIM_400000_NS6detail40segmented_radix_sort_single_block_helperIflLj256ELj8ELb1EE4sortIPKfPfPKlPlEEbT_T0_T1_T2_jjjjRNS3_12storage_typeE.num_named_barrier)
	.set _ZN7rocprim17ROCPRIM_400000_NS6detail17trampoline_kernelINS0_14default_configENS1_36segmented_radix_sort_config_selectorIflEEZNS1_25segmented_radix_sort_implIS3_Lb1EPKfPfPKlPlN2at6native12_GLOBAL__N_18offset_tEEE10hipError_tPvRmT1_PNSt15iterator_traitsISK_E10value_typeET2_T3_PNSL_ISQ_E10value_typeET4_jRbjT5_SW_jjP12ihipStream_tbEUlT_E_NS1_11comp_targetILNS1_3genE2ELNS1_11target_archE906ELNS1_3gpuE6ELNS1_3repE0EEENS1_30default_config_static_selectorELNS0_4arch9wavefront6targetE1EEEvSK_.private_seg_size, 0+max(.L_ZN7rocprim17ROCPRIM_400000_NS6detail40segmented_radix_sort_single_block_helperIflLj256ELj8ELb1EE4sortIPKfPfPKlPlEEbT_T0_T1_T2_jjjjRNS3_12storage_typeE.private_seg_size)
	.set _ZN7rocprim17ROCPRIM_400000_NS6detail17trampoline_kernelINS0_14default_configENS1_36segmented_radix_sort_config_selectorIflEEZNS1_25segmented_radix_sort_implIS3_Lb1EPKfPfPKlPlN2at6native12_GLOBAL__N_18offset_tEEE10hipError_tPvRmT1_PNSt15iterator_traitsISK_E10value_typeET2_T3_PNSL_ISQ_E10value_typeET4_jRbjT5_SW_jjP12ihipStream_tbEUlT_E_NS1_11comp_targetILNS1_3genE2ELNS1_11target_archE906ELNS1_3gpuE6ELNS1_3repE0EEENS1_30default_config_static_selectorELNS0_4arch9wavefront6targetE1EEEvSK_.uses_vcc, or(1, .L_ZN7rocprim17ROCPRIM_400000_NS6detail40segmented_radix_sort_single_block_helperIflLj256ELj8ELb1EE4sortIPKfPfPKlPlEEbT_T0_T1_T2_jjjjRNS3_12storage_typeE.uses_vcc)
	.set _ZN7rocprim17ROCPRIM_400000_NS6detail17trampoline_kernelINS0_14default_configENS1_36segmented_radix_sort_config_selectorIflEEZNS1_25segmented_radix_sort_implIS3_Lb1EPKfPfPKlPlN2at6native12_GLOBAL__N_18offset_tEEE10hipError_tPvRmT1_PNSt15iterator_traitsISK_E10value_typeET2_T3_PNSL_ISQ_E10value_typeET4_jRbjT5_SW_jjP12ihipStream_tbEUlT_E_NS1_11comp_targetILNS1_3genE2ELNS1_11target_archE906ELNS1_3gpuE6ELNS1_3repE0EEENS1_30default_config_static_selectorELNS0_4arch9wavefront6targetE1EEEvSK_.uses_flat_scratch, or(0, .L_ZN7rocprim17ROCPRIM_400000_NS6detail40segmented_radix_sort_single_block_helperIflLj256ELj8ELb1EE4sortIPKfPfPKlPlEEbT_T0_T1_T2_jjjjRNS3_12storage_typeE.uses_flat_scratch)
	.set _ZN7rocprim17ROCPRIM_400000_NS6detail17trampoline_kernelINS0_14default_configENS1_36segmented_radix_sort_config_selectorIflEEZNS1_25segmented_radix_sort_implIS3_Lb1EPKfPfPKlPlN2at6native12_GLOBAL__N_18offset_tEEE10hipError_tPvRmT1_PNSt15iterator_traitsISK_E10value_typeET2_T3_PNSL_ISQ_E10value_typeET4_jRbjT5_SW_jjP12ihipStream_tbEUlT_E_NS1_11comp_targetILNS1_3genE2ELNS1_11target_archE906ELNS1_3gpuE6ELNS1_3repE0EEENS1_30default_config_static_selectorELNS0_4arch9wavefront6targetE1EEEvSK_.has_dyn_sized_stack, or(0, .L_ZN7rocprim17ROCPRIM_400000_NS6detail40segmented_radix_sort_single_block_helperIflLj256ELj8ELb1EE4sortIPKfPfPKlPlEEbT_T0_T1_T2_jjjjRNS3_12storage_typeE.has_dyn_sized_stack)
	.set _ZN7rocprim17ROCPRIM_400000_NS6detail17trampoline_kernelINS0_14default_configENS1_36segmented_radix_sort_config_selectorIflEEZNS1_25segmented_radix_sort_implIS3_Lb1EPKfPfPKlPlN2at6native12_GLOBAL__N_18offset_tEEE10hipError_tPvRmT1_PNSt15iterator_traitsISK_E10value_typeET2_T3_PNSL_ISQ_E10value_typeET4_jRbjT5_SW_jjP12ihipStream_tbEUlT_E_NS1_11comp_targetILNS1_3genE2ELNS1_11target_archE906ELNS1_3gpuE6ELNS1_3repE0EEENS1_30default_config_static_selectorELNS0_4arch9wavefront6targetE1EEEvSK_.has_recursion, or(0, .L_ZN7rocprim17ROCPRIM_400000_NS6detail40segmented_radix_sort_single_block_helperIflLj256ELj8ELb1EE4sortIPKfPfPKlPlEEbT_T0_T1_T2_jjjjRNS3_12storage_typeE.has_recursion)
	.set _ZN7rocprim17ROCPRIM_400000_NS6detail17trampoline_kernelINS0_14default_configENS1_36segmented_radix_sort_config_selectorIflEEZNS1_25segmented_radix_sort_implIS3_Lb1EPKfPfPKlPlN2at6native12_GLOBAL__N_18offset_tEEE10hipError_tPvRmT1_PNSt15iterator_traitsISK_E10value_typeET2_T3_PNSL_ISQ_E10value_typeET4_jRbjT5_SW_jjP12ihipStream_tbEUlT_E_NS1_11comp_targetILNS1_3genE2ELNS1_11target_archE906ELNS1_3gpuE6ELNS1_3repE0EEENS1_30default_config_static_selectorELNS0_4arch9wavefront6targetE1EEEvSK_.has_indirect_call, or(0, .L_ZN7rocprim17ROCPRIM_400000_NS6detail40segmented_radix_sort_single_block_helperIflLj256ELj8ELb1EE4sortIPKfPfPKlPlEEbT_T0_T1_T2_jjjjRNS3_12storage_typeE.has_indirect_call)
	.section	.AMDGPU.csdata,"",@progbits
; Kernel info:
; codeLenInByte = 38424
; TotalNumSgprs: 86
; NumVgprs: 178
; ScratchSize: 0
; MemoryBound: 0
; FloatMode: 240
; IeeeMode: 1
; LDSByteSize: 17424 bytes/workgroup (compile time only)
; SGPRBlocks: 12
; VGPRBlocks: 44
; NumSGPRsForWavesPerEU: 102
; NumVGPRsForWavesPerEU: 178
; Occupancy: 1
; WaveLimiterHint : 1
; COMPUTE_PGM_RSRC2:SCRATCH_EN: 0
; COMPUTE_PGM_RSRC2:USER_SGPR: 6
; COMPUTE_PGM_RSRC2:TRAP_HANDLER: 0
; COMPUTE_PGM_RSRC2:TGID_X_EN: 1
; COMPUTE_PGM_RSRC2:TGID_Y_EN: 1
; COMPUTE_PGM_RSRC2:TGID_Z_EN: 0
; COMPUTE_PGM_RSRC2:TIDIG_COMP_CNT: 2
	.section	.text._ZN7rocprim17ROCPRIM_400000_NS6detail17trampoline_kernelINS0_14default_configENS1_36segmented_radix_sort_config_selectorIflEEZNS1_25segmented_radix_sort_implIS3_Lb1EPKfPfPKlPlN2at6native12_GLOBAL__N_18offset_tEEE10hipError_tPvRmT1_PNSt15iterator_traitsISK_E10value_typeET2_T3_PNSL_ISQ_E10value_typeET4_jRbjT5_SW_jjP12ihipStream_tbEUlT_E_NS1_11comp_targetILNS1_3genE10ELNS1_11target_archE1201ELNS1_3gpuE5ELNS1_3repE0EEENS1_30default_config_static_selectorELNS0_4arch9wavefront6targetE1EEEvSK_,"axG",@progbits,_ZN7rocprim17ROCPRIM_400000_NS6detail17trampoline_kernelINS0_14default_configENS1_36segmented_radix_sort_config_selectorIflEEZNS1_25segmented_radix_sort_implIS3_Lb1EPKfPfPKlPlN2at6native12_GLOBAL__N_18offset_tEEE10hipError_tPvRmT1_PNSt15iterator_traitsISK_E10value_typeET2_T3_PNSL_ISQ_E10value_typeET4_jRbjT5_SW_jjP12ihipStream_tbEUlT_E_NS1_11comp_targetILNS1_3genE10ELNS1_11target_archE1201ELNS1_3gpuE5ELNS1_3repE0EEENS1_30default_config_static_selectorELNS0_4arch9wavefront6targetE1EEEvSK_,comdat
	.globl	_ZN7rocprim17ROCPRIM_400000_NS6detail17trampoline_kernelINS0_14default_configENS1_36segmented_radix_sort_config_selectorIflEEZNS1_25segmented_radix_sort_implIS3_Lb1EPKfPfPKlPlN2at6native12_GLOBAL__N_18offset_tEEE10hipError_tPvRmT1_PNSt15iterator_traitsISK_E10value_typeET2_T3_PNSL_ISQ_E10value_typeET4_jRbjT5_SW_jjP12ihipStream_tbEUlT_E_NS1_11comp_targetILNS1_3genE10ELNS1_11target_archE1201ELNS1_3gpuE5ELNS1_3repE0EEENS1_30default_config_static_selectorELNS0_4arch9wavefront6targetE1EEEvSK_ ; -- Begin function _ZN7rocprim17ROCPRIM_400000_NS6detail17trampoline_kernelINS0_14default_configENS1_36segmented_radix_sort_config_selectorIflEEZNS1_25segmented_radix_sort_implIS3_Lb1EPKfPfPKlPlN2at6native12_GLOBAL__N_18offset_tEEE10hipError_tPvRmT1_PNSt15iterator_traitsISK_E10value_typeET2_T3_PNSL_ISQ_E10value_typeET4_jRbjT5_SW_jjP12ihipStream_tbEUlT_E_NS1_11comp_targetILNS1_3genE10ELNS1_11target_archE1201ELNS1_3gpuE5ELNS1_3repE0EEENS1_30default_config_static_selectorELNS0_4arch9wavefront6targetE1EEEvSK_
	.p2align	8
	.type	_ZN7rocprim17ROCPRIM_400000_NS6detail17trampoline_kernelINS0_14default_configENS1_36segmented_radix_sort_config_selectorIflEEZNS1_25segmented_radix_sort_implIS3_Lb1EPKfPfPKlPlN2at6native12_GLOBAL__N_18offset_tEEE10hipError_tPvRmT1_PNSt15iterator_traitsISK_E10value_typeET2_T3_PNSL_ISQ_E10value_typeET4_jRbjT5_SW_jjP12ihipStream_tbEUlT_E_NS1_11comp_targetILNS1_3genE10ELNS1_11target_archE1201ELNS1_3gpuE5ELNS1_3repE0EEENS1_30default_config_static_selectorELNS0_4arch9wavefront6targetE1EEEvSK_,@function
_ZN7rocprim17ROCPRIM_400000_NS6detail17trampoline_kernelINS0_14default_configENS1_36segmented_radix_sort_config_selectorIflEEZNS1_25segmented_radix_sort_implIS3_Lb1EPKfPfPKlPlN2at6native12_GLOBAL__N_18offset_tEEE10hipError_tPvRmT1_PNSt15iterator_traitsISK_E10value_typeET2_T3_PNSL_ISQ_E10value_typeET4_jRbjT5_SW_jjP12ihipStream_tbEUlT_E_NS1_11comp_targetILNS1_3genE10ELNS1_11target_archE1201ELNS1_3gpuE5ELNS1_3repE0EEENS1_30default_config_static_selectorELNS0_4arch9wavefront6targetE1EEEvSK_: ; @_ZN7rocprim17ROCPRIM_400000_NS6detail17trampoline_kernelINS0_14default_configENS1_36segmented_radix_sort_config_selectorIflEEZNS1_25segmented_radix_sort_implIS3_Lb1EPKfPfPKlPlN2at6native12_GLOBAL__N_18offset_tEEE10hipError_tPvRmT1_PNSt15iterator_traitsISK_E10value_typeET2_T3_PNSL_ISQ_E10value_typeET4_jRbjT5_SW_jjP12ihipStream_tbEUlT_E_NS1_11comp_targetILNS1_3genE10ELNS1_11target_archE1201ELNS1_3gpuE5ELNS1_3repE0EEENS1_30default_config_static_selectorELNS0_4arch9wavefront6targetE1EEEvSK_
; %bb.0:
	.section	.rodata,"a",@progbits
	.p2align	6, 0x0
	.amdhsa_kernel _ZN7rocprim17ROCPRIM_400000_NS6detail17trampoline_kernelINS0_14default_configENS1_36segmented_radix_sort_config_selectorIflEEZNS1_25segmented_radix_sort_implIS3_Lb1EPKfPfPKlPlN2at6native12_GLOBAL__N_18offset_tEEE10hipError_tPvRmT1_PNSt15iterator_traitsISK_E10value_typeET2_T3_PNSL_ISQ_E10value_typeET4_jRbjT5_SW_jjP12ihipStream_tbEUlT_E_NS1_11comp_targetILNS1_3genE10ELNS1_11target_archE1201ELNS1_3gpuE5ELNS1_3repE0EEENS1_30default_config_static_selectorELNS0_4arch9wavefront6targetE1EEEvSK_
		.amdhsa_group_segment_fixed_size 0
		.amdhsa_private_segment_fixed_size 0
		.amdhsa_kernarg_size 96
		.amdhsa_user_sgpr_count 6
		.amdhsa_user_sgpr_private_segment_buffer 1
		.amdhsa_user_sgpr_dispatch_ptr 0
		.amdhsa_user_sgpr_queue_ptr 0
		.amdhsa_user_sgpr_kernarg_segment_ptr 1
		.amdhsa_user_sgpr_dispatch_id 0
		.amdhsa_user_sgpr_flat_scratch_init 0
		.amdhsa_user_sgpr_private_segment_size 0
		.amdhsa_uses_dynamic_stack 0
		.amdhsa_system_sgpr_private_segment_wavefront_offset 0
		.amdhsa_system_sgpr_workgroup_id_x 1
		.amdhsa_system_sgpr_workgroup_id_y 0
		.amdhsa_system_sgpr_workgroup_id_z 0
		.amdhsa_system_sgpr_workgroup_info 0
		.amdhsa_system_vgpr_workitem_id 0
		.amdhsa_next_free_vgpr 1
		.amdhsa_next_free_sgpr 0
		.amdhsa_reserve_vcc 0
		.amdhsa_reserve_flat_scratch 0
		.amdhsa_float_round_mode_32 0
		.amdhsa_float_round_mode_16_64 0
		.amdhsa_float_denorm_mode_32 3
		.amdhsa_float_denorm_mode_16_64 3
		.amdhsa_dx10_clamp 1
		.amdhsa_ieee_mode 1
		.amdhsa_fp16_overflow 0
		.amdhsa_exception_fp_ieee_invalid_op 0
		.amdhsa_exception_fp_denorm_src 0
		.amdhsa_exception_fp_ieee_div_zero 0
		.amdhsa_exception_fp_ieee_overflow 0
		.amdhsa_exception_fp_ieee_underflow 0
		.amdhsa_exception_fp_ieee_inexact 0
		.amdhsa_exception_int_div_zero 0
	.end_amdhsa_kernel
	.section	.text._ZN7rocprim17ROCPRIM_400000_NS6detail17trampoline_kernelINS0_14default_configENS1_36segmented_radix_sort_config_selectorIflEEZNS1_25segmented_radix_sort_implIS3_Lb1EPKfPfPKlPlN2at6native12_GLOBAL__N_18offset_tEEE10hipError_tPvRmT1_PNSt15iterator_traitsISK_E10value_typeET2_T3_PNSL_ISQ_E10value_typeET4_jRbjT5_SW_jjP12ihipStream_tbEUlT_E_NS1_11comp_targetILNS1_3genE10ELNS1_11target_archE1201ELNS1_3gpuE5ELNS1_3repE0EEENS1_30default_config_static_selectorELNS0_4arch9wavefront6targetE1EEEvSK_,"axG",@progbits,_ZN7rocprim17ROCPRIM_400000_NS6detail17trampoline_kernelINS0_14default_configENS1_36segmented_radix_sort_config_selectorIflEEZNS1_25segmented_radix_sort_implIS3_Lb1EPKfPfPKlPlN2at6native12_GLOBAL__N_18offset_tEEE10hipError_tPvRmT1_PNSt15iterator_traitsISK_E10value_typeET2_T3_PNSL_ISQ_E10value_typeET4_jRbjT5_SW_jjP12ihipStream_tbEUlT_E_NS1_11comp_targetILNS1_3genE10ELNS1_11target_archE1201ELNS1_3gpuE5ELNS1_3repE0EEENS1_30default_config_static_selectorELNS0_4arch9wavefront6targetE1EEEvSK_,comdat
.Lfunc_end1331:
	.size	_ZN7rocprim17ROCPRIM_400000_NS6detail17trampoline_kernelINS0_14default_configENS1_36segmented_radix_sort_config_selectorIflEEZNS1_25segmented_radix_sort_implIS3_Lb1EPKfPfPKlPlN2at6native12_GLOBAL__N_18offset_tEEE10hipError_tPvRmT1_PNSt15iterator_traitsISK_E10value_typeET2_T3_PNSL_ISQ_E10value_typeET4_jRbjT5_SW_jjP12ihipStream_tbEUlT_E_NS1_11comp_targetILNS1_3genE10ELNS1_11target_archE1201ELNS1_3gpuE5ELNS1_3repE0EEENS1_30default_config_static_selectorELNS0_4arch9wavefront6targetE1EEEvSK_, .Lfunc_end1331-_ZN7rocprim17ROCPRIM_400000_NS6detail17trampoline_kernelINS0_14default_configENS1_36segmented_radix_sort_config_selectorIflEEZNS1_25segmented_radix_sort_implIS3_Lb1EPKfPfPKlPlN2at6native12_GLOBAL__N_18offset_tEEE10hipError_tPvRmT1_PNSt15iterator_traitsISK_E10value_typeET2_T3_PNSL_ISQ_E10value_typeET4_jRbjT5_SW_jjP12ihipStream_tbEUlT_E_NS1_11comp_targetILNS1_3genE10ELNS1_11target_archE1201ELNS1_3gpuE5ELNS1_3repE0EEENS1_30default_config_static_selectorELNS0_4arch9wavefront6targetE1EEEvSK_
                                        ; -- End function
	.set _ZN7rocprim17ROCPRIM_400000_NS6detail17trampoline_kernelINS0_14default_configENS1_36segmented_radix_sort_config_selectorIflEEZNS1_25segmented_radix_sort_implIS3_Lb1EPKfPfPKlPlN2at6native12_GLOBAL__N_18offset_tEEE10hipError_tPvRmT1_PNSt15iterator_traitsISK_E10value_typeET2_T3_PNSL_ISQ_E10value_typeET4_jRbjT5_SW_jjP12ihipStream_tbEUlT_E_NS1_11comp_targetILNS1_3genE10ELNS1_11target_archE1201ELNS1_3gpuE5ELNS1_3repE0EEENS1_30default_config_static_selectorELNS0_4arch9wavefront6targetE1EEEvSK_.num_vgpr, 0
	.set _ZN7rocprim17ROCPRIM_400000_NS6detail17trampoline_kernelINS0_14default_configENS1_36segmented_radix_sort_config_selectorIflEEZNS1_25segmented_radix_sort_implIS3_Lb1EPKfPfPKlPlN2at6native12_GLOBAL__N_18offset_tEEE10hipError_tPvRmT1_PNSt15iterator_traitsISK_E10value_typeET2_T3_PNSL_ISQ_E10value_typeET4_jRbjT5_SW_jjP12ihipStream_tbEUlT_E_NS1_11comp_targetILNS1_3genE10ELNS1_11target_archE1201ELNS1_3gpuE5ELNS1_3repE0EEENS1_30default_config_static_selectorELNS0_4arch9wavefront6targetE1EEEvSK_.num_agpr, 0
	.set _ZN7rocprim17ROCPRIM_400000_NS6detail17trampoline_kernelINS0_14default_configENS1_36segmented_radix_sort_config_selectorIflEEZNS1_25segmented_radix_sort_implIS3_Lb1EPKfPfPKlPlN2at6native12_GLOBAL__N_18offset_tEEE10hipError_tPvRmT1_PNSt15iterator_traitsISK_E10value_typeET2_T3_PNSL_ISQ_E10value_typeET4_jRbjT5_SW_jjP12ihipStream_tbEUlT_E_NS1_11comp_targetILNS1_3genE10ELNS1_11target_archE1201ELNS1_3gpuE5ELNS1_3repE0EEENS1_30default_config_static_selectorELNS0_4arch9wavefront6targetE1EEEvSK_.numbered_sgpr, 0
	.set _ZN7rocprim17ROCPRIM_400000_NS6detail17trampoline_kernelINS0_14default_configENS1_36segmented_radix_sort_config_selectorIflEEZNS1_25segmented_radix_sort_implIS3_Lb1EPKfPfPKlPlN2at6native12_GLOBAL__N_18offset_tEEE10hipError_tPvRmT1_PNSt15iterator_traitsISK_E10value_typeET2_T3_PNSL_ISQ_E10value_typeET4_jRbjT5_SW_jjP12ihipStream_tbEUlT_E_NS1_11comp_targetILNS1_3genE10ELNS1_11target_archE1201ELNS1_3gpuE5ELNS1_3repE0EEENS1_30default_config_static_selectorELNS0_4arch9wavefront6targetE1EEEvSK_.num_named_barrier, 0
	.set _ZN7rocprim17ROCPRIM_400000_NS6detail17trampoline_kernelINS0_14default_configENS1_36segmented_radix_sort_config_selectorIflEEZNS1_25segmented_radix_sort_implIS3_Lb1EPKfPfPKlPlN2at6native12_GLOBAL__N_18offset_tEEE10hipError_tPvRmT1_PNSt15iterator_traitsISK_E10value_typeET2_T3_PNSL_ISQ_E10value_typeET4_jRbjT5_SW_jjP12ihipStream_tbEUlT_E_NS1_11comp_targetILNS1_3genE10ELNS1_11target_archE1201ELNS1_3gpuE5ELNS1_3repE0EEENS1_30default_config_static_selectorELNS0_4arch9wavefront6targetE1EEEvSK_.private_seg_size, 0
	.set _ZN7rocprim17ROCPRIM_400000_NS6detail17trampoline_kernelINS0_14default_configENS1_36segmented_radix_sort_config_selectorIflEEZNS1_25segmented_radix_sort_implIS3_Lb1EPKfPfPKlPlN2at6native12_GLOBAL__N_18offset_tEEE10hipError_tPvRmT1_PNSt15iterator_traitsISK_E10value_typeET2_T3_PNSL_ISQ_E10value_typeET4_jRbjT5_SW_jjP12ihipStream_tbEUlT_E_NS1_11comp_targetILNS1_3genE10ELNS1_11target_archE1201ELNS1_3gpuE5ELNS1_3repE0EEENS1_30default_config_static_selectorELNS0_4arch9wavefront6targetE1EEEvSK_.uses_vcc, 0
	.set _ZN7rocprim17ROCPRIM_400000_NS6detail17trampoline_kernelINS0_14default_configENS1_36segmented_radix_sort_config_selectorIflEEZNS1_25segmented_radix_sort_implIS3_Lb1EPKfPfPKlPlN2at6native12_GLOBAL__N_18offset_tEEE10hipError_tPvRmT1_PNSt15iterator_traitsISK_E10value_typeET2_T3_PNSL_ISQ_E10value_typeET4_jRbjT5_SW_jjP12ihipStream_tbEUlT_E_NS1_11comp_targetILNS1_3genE10ELNS1_11target_archE1201ELNS1_3gpuE5ELNS1_3repE0EEENS1_30default_config_static_selectorELNS0_4arch9wavefront6targetE1EEEvSK_.uses_flat_scratch, 0
	.set _ZN7rocprim17ROCPRIM_400000_NS6detail17trampoline_kernelINS0_14default_configENS1_36segmented_radix_sort_config_selectorIflEEZNS1_25segmented_radix_sort_implIS3_Lb1EPKfPfPKlPlN2at6native12_GLOBAL__N_18offset_tEEE10hipError_tPvRmT1_PNSt15iterator_traitsISK_E10value_typeET2_T3_PNSL_ISQ_E10value_typeET4_jRbjT5_SW_jjP12ihipStream_tbEUlT_E_NS1_11comp_targetILNS1_3genE10ELNS1_11target_archE1201ELNS1_3gpuE5ELNS1_3repE0EEENS1_30default_config_static_selectorELNS0_4arch9wavefront6targetE1EEEvSK_.has_dyn_sized_stack, 0
	.set _ZN7rocprim17ROCPRIM_400000_NS6detail17trampoline_kernelINS0_14default_configENS1_36segmented_radix_sort_config_selectorIflEEZNS1_25segmented_radix_sort_implIS3_Lb1EPKfPfPKlPlN2at6native12_GLOBAL__N_18offset_tEEE10hipError_tPvRmT1_PNSt15iterator_traitsISK_E10value_typeET2_T3_PNSL_ISQ_E10value_typeET4_jRbjT5_SW_jjP12ihipStream_tbEUlT_E_NS1_11comp_targetILNS1_3genE10ELNS1_11target_archE1201ELNS1_3gpuE5ELNS1_3repE0EEENS1_30default_config_static_selectorELNS0_4arch9wavefront6targetE1EEEvSK_.has_recursion, 0
	.set _ZN7rocprim17ROCPRIM_400000_NS6detail17trampoline_kernelINS0_14default_configENS1_36segmented_radix_sort_config_selectorIflEEZNS1_25segmented_radix_sort_implIS3_Lb1EPKfPfPKlPlN2at6native12_GLOBAL__N_18offset_tEEE10hipError_tPvRmT1_PNSt15iterator_traitsISK_E10value_typeET2_T3_PNSL_ISQ_E10value_typeET4_jRbjT5_SW_jjP12ihipStream_tbEUlT_E_NS1_11comp_targetILNS1_3genE10ELNS1_11target_archE1201ELNS1_3gpuE5ELNS1_3repE0EEENS1_30default_config_static_selectorELNS0_4arch9wavefront6targetE1EEEvSK_.has_indirect_call, 0
	.section	.AMDGPU.csdata,"",@progbits
; Kernel info:
; codeLenInByte = 0
; TotalNumSgprs: 4
; NumVgprs: 0
; ScratchSize: 0
; MemoryBound: 0
; FloatMode: 240
; IeeeMode: 1
; LDSByteSize: 0 bytes/workgroup (compile time only)
; SGPRBlocks: 0
; VGPRBlocks: 0
; NumSGPRsForWavesPerEU: 4
; NumVGPRsForWavesPerEU: 1
; Occupancy: 10
; WaveLimiterHint : 0
; COMPUTE_PGM_RSRC2:SCRATCH_EN: 0
; COMPUTE_PGM_RSRC2:USER_SGPR: 6
; COMPUTE_PGM_RSRC2:TRAP_HANDLER: 0
; COMPUTE_PGM_RSRC2:TGID_X_EN: 1
; COMPUTE_PGM_RSRC2:TGID_Y_EN: 0
; COMPUTE_PGM_RSRC2:TGID_Z_EN: 0
; COMPUTE_PGM_RSRC2:TIDIG_COMP_CNT: 0
	.section	.text._ZN7rocprim17ROCPRIM_400000_NS6detail17trampoline_kernelINS0_14default_configENS1_36segmented_radix_sort_config_selectorIflEEZNS1_25segmented_radix_sort_implIS3_Lb1EPKfPfPKlPlN2at6native12_GLOBAL__N_18offset_tEEE10hipError_tPvRmT1_PNSt15iterator_traitsISK_E10value_typeET2_T3_PNSL_ISQ_E10value_typeET4_jRbjT5_SW_jjP12ihipStream_tbEUlT_E_NS1_11comp_targetILNS1_3genE10ELNS1_11target_archE1200ELNS1_3gpuE4ELNS1_3repE0EEENS1_30default_config_static_selectorELNS0_4arch9wavefront6targetE1EEEvSK_,"axG",@progbits,_ZN7rocprim17ROCPRIM_400000_NS6detail17trampoline_kernelINS0_14default_configENS1_36segmented_radix_sort_config_selectorIflEEZNS1_25segmented_radix_sort_implIS3_Lb1EPKfPfPKlPlN2at6native12_GLOBAL__N_18offset_tEEE10hipError_tPvRmT1_PNSt15iterator_traitsISK_E10value_typeET2_T3_PNSL_ISQ_E10value_typeET4_jRbjT5_SW_jjP12ihipStream_tbEUlT_E_NS1_11comp_targetILNS1_3genE10ELNS1_11target_archE1200ELNS1_3gpuE4ELNS1_3repE0EEENS1_30default_config_static_selectorELNS0_4arch9wavefront6targetE1EEEvSK_,comdat
	.globl	_ZN7rocprim17ROCPRIM_400000_NS6detail17trampoline_kernelINS0_14default_configENS1_36segmented_radix_sort_config_selectorIflEEZNS1_25segmented_radix_sort_implIS3_Lb1EPKfPfPKlPlN2at6native12_GLOBAL__N_18offset_tEEE10hipError_tPvRmT1_PNSt15iterator_traitsISK_E10value_typeET2_T3_PNSL_ISQ_E10value_typeET4_jRbjT5_SW_jjP12ihipStream_tbEUlT_E_NS1_11comp_targetILNS1_3genE10ELNS1_11target_archE1200ELNS1_3gpuE4ELNS1_3repE0EEENS1_30default_config_static_selectorELNS0_4arch9wavefront6targetE1EEEvSK_ ; -- Begin function _ZN7rocprim17ROCPRIM_400000_NS6detail17trampoline_kernelINS0_14default_configENS1_36segmented_radix_sort_config_selectorIflEEZNS1_25segmented_radix_sort_implIS3_Lb1EPKfPfPKlPlN2at6native12_GLOBAL__N_18offset_tEEE10hipError_tPvRmT1_PNSt15iterator_traitsISK_E10value_typeET2_T3_PNSL_ISQ_E10value_typeET4_jRbjT5_SW_jjP12ihipStream_tbEUlT_E_NS1_11comp_targetILNS1_3genE10ELNS1_11target_archE1200ELNS1_3gpuE4ELNS1_3repE0EEENS1_30default_config_static_selectorELNS0_4arch9wavefront6targetE1EEEvSK_
	.p2align	8
	.type	_ZN7rocprim17ROCPRIM_400000_NS6detail17trampoline_kernelINS0_14default_configENS1_36segmented_radix_sort_config_selectorIflEEZNS1_25segmented_radix_sort_implIS3_Lb1EPKfPfPKlPlN2at6native12_GLOBAL__N_18offset_tEEE10hipError_tPvRmT1_PNSt15iterator_traitsISK_E10value_typeET2_T3_PNSL_ISQ_E10value_typeET4_jRbjT5_SW_jjP12ihipStream_tbEUlT_E_NS1_11comp_targetILNS1_3genE10ELNS1_11target_archE1200ELNS1_3gpuE4ELNS1_3repE0EEENS1_30default_config_static_selectorELNS0_4arch9wavefront6targetE1EEEvSK_,@function
_ZN7rocprim17ROCPRIM_400000_NS6detail17trampoline_kernelINS0_14default_configENS1_36segmented_radix_sort_config_selectorIflEEZNS1_25segmented_radix_sort_implIS3_Lb1EPKfPfPKlPlN2at6native12_GLOBAL__N_18offset_tEEE10hipError_tPvRmT1_PNSt15iterator_traitsISK_E10value_typeET2_T3_PNSL_ISQ_E10value_typeET4_jRbjT5_SW_jjP12ihipStream_tbEUlT_E_NS1_11comp_targetILNS1_3genE10ELNS1_11target_archE1200ELNS1_3gpuE4ELNS1_3repE0EEENS1_30default_config_static_selectorELNS0_4arch9wavefront6targetE1EEEvSK_: ; @_ZN7rocprim17ROCPRIM_400000_NS6detail17trampoline_kernelINS0_14default_configENS1_36segmented_radix_sort_config_selectorIflEEZNS1_25segmented_radix_sort_implIS3_Lb1EPKfPfPKlPlN2at6native12_GLOBAL__N_18offset_tEEE10hipError_tPvRmT1_PNSt15iterator_traitsISK_E10value_typeET2_T3_PNSL_ISQ_E10value_typeET4_jRbjT5_SW_jjP12ihipStream_tbEUlT_E_NS1_11comp_targetILNS1_3genE10ELNS1_11target_archE1200ELNS1_3gpuE4ELNS1_3repE0EEENS1_30default_config_static_selectorELNS0_4arch9wavefront6targetE1EEEvSK_
; %bb.0:
	.section	.rodata,"a",@progbits
	.p2align	6, 0x0
	.amdhsa_kernel _ZN7rocprim17ROCPRIM_400000_NS6detail17trampoline_kernelINS0_14default_configENS1_36segmented_radix_sort_config_selectorIflEEZNS1_25segmented_radix_sort_implIS3_Lb1EPKfPfPKlPlN2at6native12_GLOBAL__N_18offset_tEEE10hipError_tPvRmT1_PNSt15iterator_traitsISK_E10value_typeET2_T3_PNSL_ISQ_E10value_typeET4_jRbjT5_SW_jjP12ihipStream_tbEUlT_E_NS1_11comp_targetILNS1_3genE10ELNS1_11target_archE1200ELNS1_3gpuE4ELNS1_3repE0EEENS1_30default_config_static_selectorELNS0_4arch9wavefront6targetE1EEEvSK_
		.amdhsa_group_segment_fixed_size 0
		.amdhsa_private_segment_fixed_size 0
		.amdhsa_kernarg_size 96
		.amdhsa_user_sgpr_count 6
		.amdhsa_user_sgpr_private_segment_buffer 1
		.amdhsa_user_sgpr_dispatch_ptr 0
		.amdhsa_user_sgpr_queue_ptr 0
		.amdhsa_user_sgpr_kernarg_segment_ptr 1
		.amdhsa_user_sgpr_dispatch_id 0
		.amdhsa_user_sgpr_flat_scratch_init 0
		.amdhsa_user_sgpr_private_segment_size 0
		.amdhsa_uses_dynamic_stack 0
		.amdhsa_system_sgpr_private_segment_wavefront_offset 0
		.amdhsa_system_sgpr_workgroup_id_x 1
		.amdhsa_system_sgpr_workgroup_id_y 0
		.amdhsa_system_sgpr_workgroup_id_z 0
		.amdhsa_system_sgpr_workgroup_info 0
		.amdhsa_system_vgpr_workitem_id 0
		.amdhsa_next_free_vgpr 1
		.amdhsa_next_free_sgpr 0
		.amdhsa_reserve_vcc 0
		.amdhsa_reserve_flat_scratch 0
		.amdhsa_float_round_mode_32 0
		.amdhsa_float_round_mode_16_64 0
		.amdhsa_float_denorm_mode_32 3
		.amdhsa_float_denorm_mode_16_64 3
		.amdhsa_dx10_clamp 1
		.amdhsa_ieee_mode 1
		.amdhsa_fp16_overflow 0
		.amdhsa_exception_fp_ieee_invalid_op 0
		.amdhsa_exception_fp_denorm_src 0
		.amdhsa_exception_fp_ieee_div_zero 0
		.amdhsa_exception_fp_ieee_overflow 0
		.amdhsa_exception_fp_ieee_underflow 0
		.amdhsa_exception_fp_ieee_inexact 0
		.amdhsa_exception_int_div_zero 0
	.end_amdhsa_kernel
	.section	.text._ZN7rocprim17ROCPRIM_400000_NS6detail17trampoline_kernelINS0_14default_configENS1_36segmented_radix_sort_config_selectorIflEEZNS1_25segmented_radix_sort_implIS3_Lb1EPKfPfPKlPlN2at6native12_GLOBAL__N_18offset_tEEE10hipError_tPvRmT1_PNSt15iterator_traitsISK_E10value_typeET2_T3_PNSL_ISQ_E10value_typeET4_jRbjT5_SW_jjP12ihipStream_tbEUlT_E_NS1_11comp_targetILNS1_3genE10ELNS1_11target_archE1200ELNS1_3gpuE4ELNS1_3repE0EEENS1_30default_config_static_selectorELNS0_4arch9wavefront6targetE1EEEvSK_,"axG",@progbits,_ZN7rocprim17ROCPRIM_400000_NS6detail17trampoline_kernelINS0_14default_configENS1_36segmented_radix_sort_config_selectorIflEEZNS1_25segmented_radix_sort_implIS3_Lb1EPKfPfPKlPlN2at6native12_GLOBAL__N_18offset_tEEE10hipError_tPvRmT1_PNSt15iterator_traitsISK_E10value_typeET2_T3_PNSL_ISQ_E10value_typeET4_jRbjT5_SW_jjP12ihipStream_tbEUlT_E_NS1_11comp_targetILNS1_3genE10ELNS1_11target_archE1200ELNS1_3gpuE4ELNS1_3repE0EEENS1_30default_config_static_selectorELNS0_4arch9wavefront6targetE1EEEvSK_,comdat
.Lfunc_end1332:
	.size	_ZN7rocprim17ROCPRIM_400000_NS6detail17trampoline_kernelINS0_14default_configENS1_36segmented_radix_sort_config_selectorIflEEZNS1_25segmented_radix_sort_implIS3_Lb1EPKfPfPKlPlN2at6native12_GLOBAL__N_18offset_tEEE10hipError_tPvRmT1_PNSt15iterator_traitsISK_E10value_typeET2_T3_PNSL_ISQ_E10value_typeET4_jRbjT5_SW_jjP12ihipStream_tbEUlT_E_NS1_11comp_targetILNS1_3genE10ELNS1_11target_archE1200ELNS1_3gpuE4ELNS1_3repE0EEENS1_30default_config_static_selectorELNS0_4arch9wavefront6targetE1EEEvSK_, .Lfunc_end1332-_ZN7rocprim17ROCPRIM_400000_NS6detail17trampoline_kernelINS0_14default_configENS1_36segmented_radix_sort_config_selectorIflEEZNS1_25segmented_radix_sort_implIS3_Lb1EPKfPfPKlPlN2at6native12_GLOBAL__N_18offset_tEEE10hipError_tPvRmT1_PNSt15iterator_traitsISK_E10value_typeET2_T3_PNSL_ISQ_E10value_typeET4_jRbjT5_SW_jjP12ihipStream_tbEUlT_E_NS1_11comp_targetILNS1_3genE10ELNS1_11target_archE1200ELNS1_3gpuE4ELNS1_3repE0EEENS1_30default_config_static_selectorELNS0_4arch9wavefront6targetE1EEEvSK_
                                        ; -- End function
	.set _ZN7rocprim17ROCPRIM_400000_NS6detail17trampoline_kernelINS0_14default_configENS1_36segmented_radix_sort_config_selectorIflEEZNS1_25segmented_radix_sort_implIS3_Lb1EPKfPfPKlPlN2at6native12_GLOBAL__N_18offset_tEEE10hipError_tPvRmT1_PNSt15iterator_traitsISK_E10value_typeET2_T3_PNSL_ISQ_E10value_typeET4_jRbjT5_SW_jjP12ihipStream_tbEUlT_E_NS1_11comp_targetILNS1_3genE10ELNS1_11target_archE1200ELNS1_3gpuE4ELNS1_3repE0EEENS1_30default_config_static_selectorELNS0_4arch9wavefront6targetE1EEEvSK_.num_vgpr, 0
	.set _ZN7rocprim17ROCPRIM_400000_NS6detail17trampoline_kernelINS0_14default_configENS1_36segmented_radix_sort_config_selectorIflEEZNS1_25segmented_radix_sort_implIS3_Lb1EPKfPfPKlPlN2at6native12_GLOBAL__N_18offset_tEEE10hipError_tPvRmT1_PNSt15iterator_traitsISK_E10value_typeET2_T3_PNSL_ISQ_E10value_typeET4_jRbjT5_SW_jjP12ihipStream_tbEUlT_E_NS1_11comp_targetILNS1_3genE10ELNS1_11target_archE1200ELNS1_3gpuE4ELNS1_3repE0EEENS1_30default_config_static_selectorELNS0_4arch9wavefront6targetE1EEEvSK_.num_agpr, 0
	.set _ZN7rocprim17ROCPRIM_400000_NS6detail17trampoline_kernelINS0_14default_configENS1_36segmented_radix_sort_config_selectorIflEEZNS1_25segmented_radix_sort_implIS3_Lb1EPKfPfPKlPlN2at6native12_GLOBAL__N_18offset_tEEE10hipError_tPvRmT1_PNSt15iterator_traitsISK_E10value_typeET2_T3_PNSL_ISQ_E10value_typeET4_jRbjT5_SW_jjP12ihipStream_tbEUlT_E_NS1_11comp_targetILNS1_3genE10ELNS1_11target_archE1200ELNS1_3gpuE4ELNS1_3repE0EEENS1_30default_config_static_selectorELNS0_4arch9wavefront6targetE1EEEvSK_.numbered_sgpr, 0
	.set _ZN7rocprim17ROCPRIM_400000_NS6detail17trampoline_kernelINS0_14default_configENS1_36segmented_radix_sort_config_selectorIflEEZNS1_25segmented_radix_sort_implIS3_Lb1EPKfPfPKlPlN2at6native12_GLOBAL__N_18offset_tEEE10hipError_tPvRmT1_PNSt15iterator_traitsISK_E10value_typeET2_T3_PNSL_ISQ_E10value_typeET4_jRbjT5_SW_jjP12ihipStream_tbEUlT_E_NS1_11comp_targetILNS1_3genE10ELNS1_11target_archE1200ELNS1_3gpuE4ELNS1_3repE0EEENS1_30default_config_static_selectorELNS0_4arch9wavefront6targetE1EEEvSK_.num_named_barrier, 0
	.set _ZN7rocprim17ROCPRIM_400000_NS6detail17trampoline_kernelINS0_14default_configENS1_36segmented_radix_sort_config_selectorIflEEZNS1_25segmented_radix_sort_implIS3_Lb1EPKfPfPKlPlN2at6native12_GLOBAL__N_18offset_tEEE10hipError_tPvRmT1_PNSt15iterator_traitsISK_E10value_typeET2_T3_PNSL_ISQ_E10value_typeET4_jRbjT5_SW_jjP12ihipStream_tbEUlT_E_NS1_11comp_targetILNS1_3genE10ELNS1_11target_archE1200ELNS1_3gpuE4ELNS1_3repE0EEENS1_30default_config_static_selectorELNS0_4arch9wavefront6targetE1EEEvSK_.private_seg_size, 0
	.set _ZN7rocprim17ROCPRIM_400000_NS6detail17trampoline_kernelINS0_14default_configENS1_36segmented_radix_sort_config_selectorIflEEZNS1_25segmented_radix_sort_implIS3_Lb1EPKfPfPKlPlN2at6native12_GLOBAL__N_18offset_tEEE10hipError_tPvRmT1_PNSt15iterator_traitsISK_E10value_typeET2_T3_PNSL_ISQ_E10value_typeET4_jRbjT5_SW_jjP12ihipStream_tbEUlT_E_NS1_11comp_targetILNS1_3genE10ELNS1_11target_archE1200ELNS1_3gpuE4ELNS1_3repE0EEENS1_30default_config_static_selectorELNS0_4arch9wavefront6targetE1EEEvSK_.uses_vcc, 0
	.set _ZN7rocprim17ROCPRIM_400000_NS6detail17trampoline_kernelINS0_14default_configENS1_36segmented_radix_sort_config_selectorIflEEZNS1_25segmented_radix_sort_implIS3_Lb1EPKfPfPKlPlN2at6native12_GLOBAL__N_18offset_tEEE10hipError_tPvRmT1_PNSt15iterator_traitsISK_E10value_typeET2_T3_PNSL_ISQ_E10value_typeET4_jRbjT5_SW_jjP12ihipStream_tbEUlT_E_NS1_11comp_targetILNS1_3genE10ELNS1_11target_archE1200ELNS1_3gpuE4ELNS1_3repE0EEENS1_30default_config_static_selectorELNS0_4arch9wavefront6targetE1EEEvSK_.uses_flat_scratch, 0
	.set _ZN7rocprim17ROCPRIM_400000_NS6detail17trampoline_kernelINS0_14default_configENS1_36segmented_radix_sort_config_selectorIflEEZNS1_25segmented_radix_sort_implIS3_Lb1EPKfPfPKlPlN2at6native12_GLOBAL__N_18offset_tEEE10hipError_tPvRmT1_PNSt15iterator_traitsISK_E10value_typeET2_T3_PNSL_ISQ_E10value_typeET4_jRbjT5_SW_jjP12ihipStream_tbEUlT_E_NS1_11comp_targetILNS1_3genE10ELNS1_11target_archE1200ELNS1_3gpuE4ELNS1_3repE0EEENS1_30default_config_static_selectorELNS0_4arch9wavefront6targetE1EEEvSK_.has_dyn_sized_stack, 0
	.set _ZN7rocprim17ROCPRIM_400000_NS6detail17trampoline_kernelINS0_14default_configENS1_36segmented_radix_sort_config_selectorIflEEZNS1_25segmented_radix_sort_implIS3_Lb1EPKfPfPKlPlN2at6native12_GLOBAL__N_18offset_tEEE10hipError_tPvRmT1_PNSt15iterator_traitsISK_E10value_typeET2_T3_PNSL_ISQ_E10value_typeET4_jRbjT5_SW_jjP12ihipStream_tbEUlT_E_NS1_11comp_targetILNS1_3genE10ELNS1_11target_archE1200ELNS1_3gpuE4ELNS1_3repE0EEENS1_30default_config_static_selectorELNS0_4arch9wavefront6targetE1EEEvSK_.has_recursion, 0
	.set _ZN7rocprim17ROCPRIM_400000_NS6detail17trampoline_kernelINS0_14default_configENS1_36segmented_radix_sort_config_selectorIflEEZNS1_25segmented_radix_sort_implIS3_Lb1EPKfPfPKlPlN2at6native12_GLOBAL__N_18offset_tEEE10hipError_tPvRmT1_PNSt15iterator_traitsISK_E10value_typeET2_T3_PNSL_ISQ_E10value_typeET4_jRbjT5_SW_jjP12ihipStream_tbEUlT_E_NS1_11comp_targetILNS1_3genE10ELNS1_11target_archE1200ELNS1_3gpuE4ELNS1_3repE0EEENS1_30default_config_static_selectorELNS0_4arch9wavefront6targetE1EEEvSK_.has_indirect_call, 0
	.section	.AMDGPU.csdata,"",@progbits
; Kernel info:
; codeLenInByte = 0
; TotalNumSgprs: 4
; NumVgprs: 0
; ScratchSize: 0
; MemoryBound: 0
; FloatMode: 240
; IeeeMode: 1
; LDSByteSize: 0 bytes/workgroup (compile time only)
; SGPRBlocks: 0
; VGPRBlocks: 0
; NumSGPRsForWavesPerEU: 4
; NumVGPRsForWavesPerEU: 1
; Occupancy: 10
; WaveLimiterHint : 0
; COMPUTE_PGM_RSRC2:SCRATCH_EN: 0
; COMPUTE_PGM_RSRC2:USER_SGPR: 6
; COMPUTE_PGM_RSRC2:TRAP_HANDLER: 0
; COMPUTE_PGM_RSRC2:TGID_X_EN: 1
; COMPUTE_PGM_RSRC2:TGID_Y_EN: 0
; COMPUTE_PGM_RSRC2:TGID_Z_EN: 0
; COMPUTE_PGM_RSRC2:TIDIG_COMP_CNT: 0
	.section	.text._ZN7rocprim17ROCPRIM_400000_NS6detail17trampoline_kernelINS0_14default_configENS1_36segmented_radix_sort_config_selectorIflEEZNS1_25segmented_radix_sort_implIS3_Lb1EPKfPfPKlPlN2at6native12_GLOBAL__N_18offset_tEEE10hipError_tPvRmT1_PNSt15iterator_traitsISK_E10value_typeET2_T3_PNSL_ISQ_E10value_typeET4_jRbjT5_SW_jjP12ihipStream_tbEUlT_E_NS1_11comp_targetILNS1_3genE9ELNS1_11target_archE1100ELNS1_3gpuE3ELNS1_3repE0EEENS1_30default_config_static_selectorELNS0_4arch9wavefront6targetE1EEEvSK_,"axG",@progbits,_ZN7rocprim17ROCPRIM_400000_NS6detail17trampoline_kernelINS0_14default_configENS1_36segmented_radix_sort_config_selectorIflEEZNS1_25segmented_radix_sort_implIS3_Lb1EPKfPfPKlPlN2at6native12_GLOBAL__N_18offset_tEEE10hipError_tPvRmT1_PNSt15iterator_traitsISK_E10value_typeET2_T3_PNSL_ISQ_E10value_typeET4_jRbjT5_SW_jjP12ihipStream_tbEUlT_E_NS1_11comp_targetILNS1_3genE9ELNS1_11target_archE1100ELNS1_3gpuE3ELNS1_3repE0EEENS1_30default_config_static_selectorELNS0_4arch9wavefront6targetE1EEEvSK_,comdat
	.globl	_ZN7rocprim17ROCPRIM_400000_NS6detail17trampoline_kernelINS0_14default_configENS1_36segmented_radix_sort_config_selectorIflEEZNS1_25segmented_radix_sort_implIS3_Lb1EPKfPfPKlPlN2at6native12_GLOBAL__N_18offset_tEEE10hipError_tPvRmT1_PNSt15iterator_traitsISK_E10value_typeET2_T3_PNSL_ISQ_E10value_typeET4_jRbjT5_SW_jjP12ihipStream_tbEUlT_E_NS1_11comp_targetILNS1_3genE9ELNS1_11target_archE1100ELNS1_3gpuE3ELNS1_3repE0EEENS1_30default_config_static_selectorELNS0_4arch9wavefront6targetE1EEEvSK_ ; -- Begin function _ZN7rocprim17ROCPRIM_400000_NS6detail17trampoline_kernelINS0_14default_configENS1_36segmented_radix_sort_config_selectorIflEEZNS1_25segmented_radix_sort_implIS3_Lb1EPKfPfPKlPlN2at6native12_GLOBAL__N_18offset_tEEE10hipError_tPvRmT1_PNSt15iterator_traitsISK_E10value_typeET2_T3_PNSL_ISQ_E10value_typeET4_jRbjT5_SW_jjP12ihipStream_tbEUlT_E_NS1_11comp_targetILNS1_3genE9ELNS1_11target_archE1100ELNS1_3gpuE3ELNS1_3repE0EEENS1_30default_config_static_selectorELNS0_4arch9wavefront6targetE1EEEvSK_
	.p2align	8
	.type	_ZN7rocprim17ROCPRIM_400000_NS6detail17trampoline_kernelINS0_14default_configENS1_36segmented_radix_sort_config_selectorIflEEZNS1_25segmented_radix_sort_implIS3_Lb1EPKfPfPKlPlN2at6native12_GLOBAL__N_18offset_tEEE10hipError_tPvRmT1_PNSt15iterator_traitsISK_E10value_typeET2_T3_PNSL_ISQ_E10value_typeET4_jRbjT5_SW_jjP12ihipStream_tbEUlT_E_NS1_11comp_targetILNS1_3genE9ELNS1_11target_archE1100ELNS1_3gpuE3ELNS1_3repE0EEENS1_30default_config_static_selectorELNS0_4arch9wavefront6targetE1EEEvSK_,@function
_ZN7rocprim17ROCPRIM_400000_NS6detail17trampoline_kernelINS0_14default_configENS1_36segmented_radix_sort_config_selectorIflEEZNS1_25segmented_radix_sort_implIS3_Lb1EPKfPfPKlPlN2at6native12_GLOBAL__N_18offset_tEEE10hipError_tPvRmT1_PNSt15iterator_traitsISK_E10value_typeET2_T3_PNSL_ISQ_E10value_typeET4_jRbjT5_SW_jjP12ihipStream_tbEUlT_E_NS1_11comp_targetILNS1_3genE9ELNS1_11target_archE1100ELNS1_3gpuE3ELNS1_3repE0EEENS1_30default_config_static_selectorELNS0_4arch9wavefront6targetE1EEEvSK_: ; @_ZN7rocprim17ROCPRIM_400000_NS6detail17trampoline_kernelINS0_14default_configENS1_36segmented_radix_sort_config_selectorIflEEZNS1_25segmented_radix_sort_implIS3_Lb1EPKfPfPKlPlN2at6native12_GLOBAL__N_18offset_tEEE10hipError_tPvRmT1_PNSt15iterator_traitsISK_E10value_typeET2_T3_PNSL_ISQ_E10value_typeET4_jRbjT5_SW_jjP12ihipStream_tbEUlT_E_NS1_11comp_targetILNS1_3genE9ELNS1_11target_archE1100ELNS1_3gpuE3ELNS1_3repE0EEENS1_30default_config_static_selectorELNS0_4arch9wavefront6targetE1EEEvSK_
; %bb.0:
	.section	.rodata,"a",@progbits
	.p2align	6, 0x0
	.amdhsa_kernel _ZN7rocprim17ROCPRIM_400000_NS6detail17trampoline_kernelINS0_14default_configENS1_36segmented_radix_sort_config_selectorIflEEZNS1_25segmented_radix_sort_implIS3_Lb1EPKfPfPKlPlN2at6native12_GLOBAL__N_18offset_tEEE10hipError_tPvRmT1_PNSt15iterator_traitsISK_E10value_typeET2_T3_PNSL_ISQ_E10value_typeET4_jRbjT5_SW_jjP12ihipStream_tbEUlT_E_NS1_11comp_targetILNS1_3genE9ELNS1_11target_archE1100ELNS1_3gpuE3ELNS1_3repE0EEENS1_30default_config_static_selectorELNS0_4arch9wavefront6targetE1EEEvSK_
		.amdhsa_group_segment_fixed_size 0
		.amdhsa_private_segment_fixed_size 0
		.amdhsa_kernarg_size 96
		.amdhsa_user_sgpr_count 6
		.amdhsa_user_sgpr_private_segment_buffer 1
		.amdhsa_user_sgpr_dispatch_ptr 0
		.amdhsa_user_sgpr_queue_ptr 0
		.amdhsa_user_sgpr_kernarg_segment_ptr 1
		.amdhsa_user_sgpr_dispatch_id 0
		.amdhsa_user_sgpr_flat_scratch_init 0
		.amdhsa_user_sgpr_private_segment_size 0
		.amdhsa_uses_dynamic_stack 0
		.amdhsa_system_sgpr_private_segment_wavefront_offset 0
		.amdhsa_system_sgpr_workgroup_id_x 1
		.amdhsa_system_sgpr_workgroup_id_y 0
		.amdhsa_system_sgpr_workgroup_id_z 0
		.amdhsa_system_sgpr_workgroup_info 0
		.amdhsa_system_vgpr_workitem_id 0
		.amdhsa_next_free_vgpr 1
		.amdhsa_next_free_sgpr 0
		.amdhsa_reserve_vcc 0
		.amdhsa_reserve_flat_scratch 0
		.amdhsa_float_round_mode_32 0
		.amdhsa_float_round_mode_16_64 0
		.amdhsa_float_denorm_mode_32 3
		.amdhsa_float_denorm_mode_16_64 3
		.amdhsa_dx10_clamp 1
		.amdhsa_ieee_mode 1
		.amdhsa_fp16_overflow 0
		.amdhsa_exception_fp_ieee_invalid_op 0
		.amdhsa_exception_fp_denorm_src 0
		.amdhsa_exception_fp_ieee_div_zero 0
		.amdhsa_exception_fp_ieee_overflow 0
		.amdhsa_exception_fp_ieee_underflow 0
		.amdhsa_exception_fp_ieee_inexact 0
		.amdhsa_exception_int_div_zero 0
	.end_amdhsa_kernel
	.section	.text._ZN7rocprim17ROCPRIM_400000_NS6detail17trampoline_kernelINS0_14default_configENS1_36segmented_radix_sort_config_selectorIflEEZNS1_25segmented_radix_sort_implIS3_Lb1EPKfPfPKlPlN2at6native12_GLOBAL__N_18offset_tEEE10hipError_tPvRmT1_PNSt15iterator_traitsISK_E10value_typeET2_T3_PNSL_ISQ_E10value_typeET4_jRbjT5_SW_jjP12ihipStream_tbEUlT_E_NS1_11comp_targetILNS1_3genE9ELNS1_11target_archE1100ELNS1_3gpuE3ELNS1_3repE0EEENS1_30default_config_static_selectorELNS0_4arch9wavefront6targetE1EEEvSK_,"axG",@progbits,_ZN7rocprim17ROCPRIM_400000_NS6detail17trampoline_kernelINS0_14default_configENS1_36segmented_radix_sort_config_selectorIflEEZNS1_25segmented_radix_sort_implIS3_Lb1EPKfPfPKlPlN2at6native12_GLOBAL__N_18offset_tEEE10hipError_tPvRmT1_PNSt15iterator_traitsISK_E10value_typeET2_T3_PNSL_ISQ_E10value_typeET4_jRbjT5_SW_jjP12ihipStream_tbEUlT_E_NS1_11comp_targetILNS1_3genE9ELNS1_11target_archE1100ELNS1_3gpuE3ELNS1_3repE0EEENS1_30default_config_static_selectorELNS0_4arch9wavefront6targetE1EEEvSK_,comdat
.Lfunc_end1333:
	.size	_ZN7rocprim17ROCPRIM_400000_NS6detail17trampoline_kernelINS0_14default_configENS1_36segmented_radix_sort_config_selectorIflEEZNS1_25segmented_radix_sort_implIS3_Lb1EPKfPfPKlPlN2at6native12_GLOBAL__N_18offset_tEEE10hipError_tPvRmT1_PNSt15iterator_traitsISK_E10value_typeET2_T3_PNSL_ISQ_E10value_typeET4_jRbjT5_SW_jjP12ihipStream_tbEUlT_E_NS1_11comp_targetILNS1_3genE9ELNS1_11target_archE1100ELNS1_3gpuE3ELNS1_3repE0EEENS1_30default_config_static_selectorELNS0_4arch9wavefront6targetE1EEEvSK_, .Lfunc_end1333-_ZN7rocprim17ROCPRIM_400000_NS6detail17trampoline_kernelINS0_14default_configENS1_36segmented_radix_sort_config_selectorIflEEZNS1_25segmented_radix_sort_implIS3_Lb1EPKfPfPKlPlN2at6native12_GLOBAL__N_18offset_tEEE10hipError_tPvRmT1_PNSt15iterator_traitsISK_E10value_typeET2_T3_PNSL_ISQ_E10value_typeET4_jRbjT5_SW_jjP12ihipStream_tbEUlT_E_NS1_11comp_targetILNS1_3genE9ELNS1_11target_archE1100ELNS1_3gpuE3ELNS1_3repE0EEENS1_30default_config_static_selectorELNS0_4arch9wavefront6targetE1EEEvSK_
                                        ; -- End function
	.set _ZN7rocprim17ROCPRIM_400000_NS6detail17trampoline_kernelINS0_14default_configENS1_36segmented_radix_sort_config_selectorIflEEZNS1_25segmented_radix_sort_implIS3_Lb1EPKfPfPKlPlN2at6native12_GLOBAL__N_18offset_tEEE10hipError_tPvRmT1_PNSt15iterator_traitsISK_E10value_typeET2_T3_PNSL_ISQ_E10value_typeET4_jRbjT5_SW_jjP12ihipStream_tbEUlT_E_NS1_11comp_targetILNS1_3genE9ELNS1_11target_archE1100ELNS1_3gpuE3ELNS1_3repE0EEENS1_30default_config_static_selectorELNS0_4arch9wavefront6targetE1EEEvSK_.num_vgpr, 0
	.set _ZN7rocprim17ROCPRIM_400000_NS6detail17trampoline_kernelINS0_14default_configENS1_36segmented_radix_sort_config_selectorIflEEZNS1_25segmented_radix_sort_implIS3_Lb1EPKfPfPKlPlN2at6native12_GLOBAL__N_18offset_tEEE10hipError_tPvRmT1_PNSt15iterator_traitsISK_E10value_typeET2_T3_PNSL_ISQ_E10value_typeET4_jRbjT5_SW_jjP12ihipStream_tbEUlT_E_NS1_11comp_targetILNS1_3genE9ELNS1_11target_archE1100ELNS1_3gpuE3ELNS1_3repE0EEENS1_30default_config_static_selectorELNS0_4arch9wavefront6targetE1EEEvSK_.num_agpr, 0
	.set _ZN7rocprim17ROCPRIM_400000_NS6detail17trampoline_kernelINS0_14default_configENS1_36segmented_radix_sort_config_selectorIflEEZNS1_25segmented_radix_sort_implIS3_Lb1EPKfPfPKlPlN2at6native12_GLOBAL__N_18offset_tEEE10hipError_tPvRmT1_PNSt15iterator_traitsISK_E10value_typeET2_T3_PNSL_ISQ_E10value_typeET4_jRbjT5_SW_jjP12ihipStream_tbEUlT_E_NS1_11comp_targetILNS1_3genE9ELNS1_11target_archE1100ELNS1_3gpuE3ELNS1_3repE0EEENS1_30default_config_static_selectorELNS0_4arch9wavefront6targetE1EEEvSK_.numbered_sgpr, 0
	.set _ZN7rocprim17ROCPRIM_400000_NS6detail17trampoline_kernelINS0_14default_configENS1_36segmented_radix_sort_config_selectorIflEEZNS1_25segmented_radix_sort_implIS3_Lb1EPKfPfPKlPlN2at6native12_GLOBAL__N_18offset_tEEE10hipError_tPvRmT1_PNSt15iterator_traitsISK_E10value_typeET2_T3_PNSL_ISQ_E10value_typeET4_jRbjT5_SW_jjP12ihipStream_tbEUlT_E_NS1_11comp_targetILNS1_3genE9ELNS1_11target_archE1100ELNS1_3gpuE3ELNS1_3repE0EEENS1_30default_config_static_selectorELNS0_4arch9wavefront6targetE1EEEvSK_.num_named_barrier, 0
	.set _ZN7rocprim17ROCPRIM_400000_NS6detail17trampoline_kernelINS0_14default_configENS1_36segmented_radix_sort_config_selectorIflEEZNS1_25segmented_radix_sort_implIS3_Lb1EPKfPfPKlPlN2at6native12_GLOBAL__N_18offset_tEEE10hipError_tPvRmT1_PNSt15iterator_traitsISK_E10value_typeET2_T3_PNSL_ISQ_E10value_typeET4_jRbjT5_SW_jjP12ihipStream_tbEUlT_E_NS1_11comp_targetILNS1_3genE9ELNS1_11target_archE1100ELNS1_3gpuE3ELNS1_3repE0EEENS1_30default_config_static_selectorELNS0_4arch9wavefront6targetE1EEEvSK_.private_seg_size, 0
	.set _ZN7rocprim17ROCPRIM_400000_NS6detail17trampoline_kernelINS0_14default_configENS1_36segmented_radix_sort_config_selectorIflEEZNS1_25segmented_radix_sort_implIS3_Lb1EPKfPfPKlPlN2at6native12_GLOBAL__N_18offset_tEEE10hipError_tPvRmT1_PNSt15iterator_traitsISK_E10value_typeET2_T3_PNSL_ISQ_E10value_typeET4_jRbjT5_SW_jjP12ihipStream_tbEUlT_E_NS1_11comp_targetILNS1_3genE9ELNS1_11target_archE1100ELNS1_3gpuE3ELNS1_3repE0EEENS1_30default_config_static_selectorELNS0_4arch9wavefront6targetE1EEEvSK_.uses_vcc, 0
	.set _ZN7rocprim17ROCPRIM_400000_NS6detail17trampoline_kernelINS0_14default_configENS1_36segmented_radix_sort_config_selectorIflEEZNS1_25segmented_radix_sort_implIS3_Lb1EPKfPfPKlPlN2at6native12_GLOBAL__N_18offset_tEEE10hipError_tPvRmT1_PNSt15iterator_traitsISK_E10value_typeET2_T3_PNSL_ISQ_E10value_typeET4_jRbjT5_SW_jjP12ihipStream_tbEUlT_E_NS1_11comp_targetILNS1_3genE9ELNS1_11target_archE1100ELNS1_3gpuE3ELNS1_3repE0EEENS1_30default_config_static_selectorELNS0_4arch9wavefront6targetE1EEEvSK_.uses_flat_scratch, 0
	.set _ZN7rocprim17ROCPRIM_400000_NS6detail17trampoline_kernelINS0_14default_configENS1_36segmented_radix_sort_config_selectorIflEEZNS1_25segmented_radix_sort_implIS3_Lb1EPKfPfPKlPlN2at6native12_GLOBAL__N_18offset_tEEE10hipError_tPvRmT1_PNSt15iterator_traitsISK_E10value_typeET2_T3_PNSL_ISQ_E10value_typeET4_jRbjT5_SW_jjP12ihipStream_tbEUlT_E_NS1_11comp_targetILNS1_3genE9ELNS1_11target_archE1100ELNS1_3gpuE3ELNS1_3repE0EEENS1_30default_config_static_selectorELNS0_4arch9wavefront6targetE1EEEvSK_.has_dyn_sized_stack, 0
	.set _ZN7rocprim17ROCPRIM_400000_NS6detail17trampoline_kernelINS0_14default_configENS1_36segmented_radix_sort_config_selectorIflEEZNS1_25segmented_radix_sort_implIS3_Lb1EPKfPfPKlPlN2at6native12_GLOBAL__N_18offset_tEEE10hipError_tPvRmT1_PNSt15iterator_traitsISK_E10value_typeET2_T3_PNSL_ISQ_E10value_typeET4_jRbjT5_SW_jjP12ihipStream_tbEUlT_E_NS1_11comp_targetILNS1_3genE9ELNS1_11target_archE1100ELNS1_3gpuE3ELNS1_3repE0EEENS1_30default_config_static_selectorELNS0_4arch9wavefront6targetE1EEEvSK_.has_recursion, 0
	.set _ZN7rocprim17ROCPRIM_400000_NS6detail17trampoline_kernelINS0_14default_configENS1_36segmented_radix_sort_config_selectorIflEEZNS1_25segmented_radix_sort_implIS3_Lb1EPKfPfPKlPlN2at6native12_GLOBAL__N_18offset_tEEE10hipError_tPvRmT1_PNSt15iterator_traitsISK_E10value_typeET2_T3_PNSL_ISQ_E10value_typeET4_jRbjT5_SW_jjP12ihipStream_tbEUlT_E_NS1_11comp_targetILNS1_3genE9ELNS1_11target_archE1100ELNS1_3gpuE3ELNS1_3repE0EEENS1_30default_config_static_selectorELNS0_4arch9wavefront6targetE1EEEvSK_.has_indirect_call, 0
	.section	.AMDGPU.csdata,"",@progbits
; Kernel info:
; codeLenInByte = 0
; TotalNumSgprs: 4
; NumVgprs: 0
; ScratchSize: 0
; MemoryBound: 0
; FloatMode: 240
; IeeeMode: 1
; LDSByteSize: 0 bytes/workgroup (compile time only)
; SGPRBlocks: 0
; VGPRBlocks: 0
; NumSGPRsForWavesPerEU: 4
; NumVGPRsForWavesPerEU: 1
; Occupancy: 10
; WaveLimiterHint : 0
; COMPUTE_PGM_RSRC2:SCRATCH_EN: 0
; COMPUTE_PGM_RSRC2:USER_SGPR: 6
; COMPUTE_PGM_RSRC2:TRAP_HANDLER: 0
; COMPUTE_PGM_RSRC2:TGID_X_EN: 1
; COMPUTE_PGM_RSRC2:TGID_Y_EN: 0
; COMPUTE_PGM_RSRC2:TGID_Z_EN: 0
; COMPUTE_PGM_RSRC2:TIDIG_COMP_CNT: 0
	.section	.text._ZN7rocprim17ROCPRIM_400000_NS6detail17trampoline_kernelINS0_14default_configENS1_36segmented_radix_sort_config_selectorIflEEZNS1_25segmented_radix_sort_implIS3_Lb1EPKfPfPKlPlN2at6native12_GLOBAL__N_18offset_tEEE10hipError_tPvRmT1_PNSt15iterator_traitsISK_E10value_typeET2_T3_PNSL_ISQ_E10value_typeET4_jRbjT5_SW_jjP12ihipStream_tbEUlT_E_NS1_11comp_targetILNS1_3genE8ELNS1_11target_archE1030ELNS1_3gpuE2ELNS1_3repE0EEENS1_30default_config_static_selectorELNS0_4arch9wavefront6targetE1EEEvSK_,"axG",@progbits,_ZN7rocprim17ROCPRIM_400000_NS6detail17trampoline_kernelINS0_14default_configENS1_36segmented_radix_sort_config_selectorIflEEZNS1_25segmented_radix_sort_implIS3_Lb1EPKfPfPKlPlN2at6native12_GLOBAL__N_18offset_tEEE10hipError_tPvRmT1_PNSt15iterator_traitsISK_E10value_typeET2_T3_PNSL_ISQ_E10value_typeET4_jRbjT5_SW_jjP12ihipStream_tbEUlT_E_NS1_11comp_targetILNS1_3genE8ELNS1_11target_archE1030ELNS1_3gpuE2ELNS1_3repE0EEENS1_30default_config_static_selectorELNS0_4arch9wavefront6targetE1EEEvSK_,comdat
	.globl	_ZN7rocprim17ROCPRIM_400000_NS6detail17trampoline_kernelINS0_14default_configENS1_36segmented_radix_sort_config_selectorIflEEZNS1_25segmented_radix_sort_implIS3_Lb1EPKfPfPKlPlN2at6native12_GLOBAL__N_18offset_tEEE10hipError_tPvRmT1_PNSt15iterator_traitsISK_E10value_typeET2_T3_PNSL_ISQ_E10value_typeET4_jRbjT5_SW_jjP12ihipStream_tbEUlT_E_NS1_11comp_targetILNS1_3genE8ELNS1_11target_archE1030ELNS1_3gpuE2ELNS1_3repE0EEENS1_30default_config_static_selectorELNS0_4arch9wavefront6targetE1EEEvSK_ ; -- Begin function _ZN7rocprim17ROCPRIM_400000_NS6detail17trampoline_kernelINS0_14default_configENS1_36segmented_radix_sort_config_selectorIflEEZNS1_25segmented_radix_sort_implIS3_Lb1EPKfPfPKlPlN2at6native12_GLOBAL__N_18offset_tEEE10hipError_tPvRmT1_PNSt15iterator_traitsISK_E10value_typeET2_T3_PNSL_ISQ_E10value_typeET4_jRbjT5_SW_jjP12ihipStream_tbEUlT_E_NS1_11comp_targetILNS1_3genE8ELNS1_11target_archE1030ELNS1_3gpuE2ELNS1_3repE0EEENS1_30default_config_static_selectorELNS0_4arch9wavefront6targetE1EEEvSK_
	.p2align	8
	.type	_ZN7rocprim17ROCPRIM_400000_NS6detail17trampoline_kernelINS0_14default_configENS1_36segmented_radix_sort_config_selectorIflEEZNS1_25segmented_radix_sort_implIS3_Lb1EPKfPfPKlPlN2at6native12_GLOBAL__N_18offset_tEEE10hipError_tPvRmT1_PNSt15iterator_traitsISK_E10value_typeET2_T3_PNSL_ISQ_E10value_typeET4_jRbjT5_SW_jjP12ihipStream_tbEUlT_E_NS1_11comp_targetILNS1_3genE8ELNS1_11target_archE1030ELNS1_3gpuE2ELNS1_3repE0EEENS1_30default_config_static_selectorELNS0_4arch9wavefront6targetE1EEEvSK_,@function
_ZN7rocprim17ROCPRIM_400000_NS6detail17trampoline_kernelINS0_14default_configENS1_36segmented_radix_sort_config_selectorIflEEZNS1_25segmented_radix_sort_implIS3_Lb1EPKfPfPKlPlN2at6native12_GLOBAL__N_18offset_tEEE10hipError_tPvRmT1_PNSt15iterator_traitsISK_E10value_typeET2_T3_PNSL_ISQ_E10value_typeET4_jRbjT5_SW_jjP12ihipStream_tbEUlT_E_NS1_11comp_targetILNS1_3genE8ELNS1_11target_archE1030ELNS1_3gpuE2ELNS1_3repE0EEENS1_30default_config_static_selectorELNS0_4arch9wavefront6targetE1EEEvSK_: ; @_ZN7rocprim17ROCPRIM_400000_NS6detail17trampoline_kernelINS0_14default_configENS1_36segmented_radix_sort_config_selectorIflEEZNS1_25segmented_radix_sort_implIS3_Lb1EPKfPfPKlPlN2at6native12_GLOBAL__N_18offset_tEEE10hipError_tPvRmT1_PNSt15iterator_traitsISK_E10value_typeET2_T3_PNSL_ISQ_E10value_typeET4_jRbjT5_SW_jjP12ihipStream_tbEUlT_E_NS1_11comp_targetILNS1_3genE8ELNS1_11target_archE1030ELNS1_3gpuE2ELNS1_3repE0EEENS1_30default_config_static_selectorELNS0_4arch9wavefront6targetE1EEEvSK_
; %bb.0:
	.section	.rodata,"a",@progbits
	.p2align	6, 0x0
	.amdhsa_kernel _ZN7rocprim17ROCPRIM_400000_NS6detail17trampoline_kernelINS0_14default_configENS1_36segmented_radix_sort_config_selectorIflEEZNS1_25segmented_radix_sort_implIS3_Lb1EPKfPfPKlPlN2at6native12_GLOBAL__N_18offset_tEEE10hipError_tPvRmT1_PNSt15iterator_traitsISK_E10value_typeET2_T3_PNSL_ISQ_E10value_typeET4_jRbjT5_SW_jjP12ihipStream_tbEUlT_E_NS1_11comp_targetILNS1_3genE8ELNS1_11target_archE1030ELNS1_3gpuE2ELNS1_3repE0EEENS1_30default_config_static_selectorELNS0_4arch9wavefront6targetE1EEEvSK_
		.amdhsa_group_segment_fixed_size 0
		.amdhsa_private_segment_fixed_size 0
		.amdhsa_kernarg_size 96
		.amdhsa_user_sgpr_count 6
		.amdhsa_user_sgpr_private_segment_buffer 1
		.amdhsa_user_sgpr_dispatch_ptr 0
		.amdhsa_user_sgpr_queue_ptr 0
		.amdhsa_user_sgpr_kernarg_segment_ptr 1
		.amdhsa_user_sgpr_dispatch_id 0
		.amdhsa_user_sgpr_flat_scratch_init 0
		.amdhsa_user_sgpr_private_segment_size 0
		.amdhsa_uses_dynamic_stack 0
		.amdhsa_system_sgpr_private_segment_wavefront_offset 0
		.amdhsa_system_sgpr_workgroup_id_x 1
		.amdhsa_system_sgpr_workgroup_id_y 0
		.amdhsa_system_sgpr_workgroup_id_z 0
		.amdhsa_system_sgpr_workgroup_info 0
		.amdhsa_system_vgpr_workitem_id 0
		.amdhsa_next_free_vgpr 1
		.amdhsa_next_free_sgpr 0
		.amdhsa_reserve_vcc 0
		.amdhsa_reserve_flat_scratch 0
		.amdhsa_float_round_mode_32 0
		.amdhsa_float_round_mode_16_64 0
		.amdhsa_float_denorm_mode_32 3
		.amdhsa_float_denorm_mode_16_64 3
		.amdhsa_dx10_clamp 1
		.amdhsa_ieee_mode 1
		.amdhsa_fp16_overflow 0
		.amdhsa_exception_fp_ieee_invalid_op 0
		.amdhsa_exception_fp_denorm_src 0
		.amdhsa_exception_fp_ieee_div_zero 0
		.amdhsa_exception_fp_ieee_overflow 0
		.amdhsa_exception_fp_ieee_underflow 0
		.amdhsa_exception_fp_ieee_inexact 0
		.amdhsa_exception_int_div_zero 0
	.end_amdhsa_kernel
	.section	.text._ZN7rocprim17ROCPRIM_400000_NS6detail17trampoline_kernelINS0_14default_configENS1_36segmented_radix_sort_config_selectorIflEEZNS1_25segmented_radix_sort_implIS3_Lb1EPKfPfPKlPlN2at6native12_GLOBAL__N_18offset_tEEE10hipError_tPvRmT1_PNSt15iterator_traitsISK_E10value_typeET2_T3_PNSL_ISQ_E10value_typeET4_jRbjT5_SW_jjP12ihipStream_tbEUlT_E_NS1_11comp_targetILNS1_3genE8ELNS1_11target_archE1030ELNS1_3gpuE2ELNS1_3repE0EEENS1_30default_config_static_selectorELNS0_4arch9wavefront6targetE1EEEvSK_,"axG",@progbits,_ZN7rocprim17ROCPRIM_400000_NS6detail17trampoline_kernelINS0_14default_configENS1_36segmented_radix_sort_config_selectorIflEEZNS1_25segmented_radix_sort_implIS3_Lb1EPKfPfPKlPlN2at6native12_GLOBAL__N_18offset_tEEE10hipError_tPvRmT1_PNSt15iterator_traitsISK_E10value_typeET2_T3_PNSL_ISQ_E10value_typeET4_jRbjT5_SW_jjP12ihipStream_tbEUlT_E_NS1_11comp_targetILNS1_3genE8ELNS1_11target_archE1030ELNS1_3gpuE2ELNS1_3repE0EEENS1_30default_config_static_selectorELNS0_4arch9wavefront6targetE1EEEvSK_,comdat
.Lfunc_end1334:
	.size	_ZN7rocprim17ROCPRIM_400000_NS6detail17trampoline_kernelINS0_14default_configENS1_36segmented_radix_sort_config_selectorIflEEZNS1_25segmented_radix_sort_implIS3_Lb1EPKfPfPKlPlN2at6native12_GLOBAL__N_18offset_tEEE10hipError_tPvRmT1_PNSt15iterator_traitsISK_E10value_typeET2_T3_PNSL_ISQ_E10value_typeET4_jRbjT5_SW_jjP12ihipStream_tbEUlT_E_NS1_11comp_targetILNS1_3genE8ELNS1_11target_archE1030ELNS1_3gpuE2ELNS1_3repE0EEENS1_30default_config_static_selectorELNS0_4arch9wavefront6targetE1EEEvSK_, .Lfunc_end1334-_ZN7rocprim17ROCPRIM_400000_NS6detail17trampoline_kernelINS0_14default_configENS1_36segmented_radix_sort_config_selectorIflEEZNS1_25segmented_radix_sort_implIS3_Lb1EPKfPfPKlPlN2at6native12_GLOBAL__N_18offset_tEEE10hipError_tPvRmT1_PNSt15iterator_traitsISK_E10value_typeET2_T3_PNSL_ISQ_E10value_typeET4_jRbjT5_SW_jjP12ihipStream_tbEUlT_E_NS1_11comp_targetILNS1_3genE8ELNS1_11target_archE1030ELNS1_3gpuE2ELNS1_3repE0EEENS1_30default_config_static_selectorELNS0_4arch9wavefront6targetE1EEEvSK_
                                        ; -- End function
	.set _ZN7rocprim17ROCPRIM_400000_NS6detail17trampoline_kernelINS0_14default_configENS1_36segmented_radix_sort_config_selectorIflEEZNS1_25segmented_radix_sort_implIS3_Lb1EPKfPfPKlPlN2at6native12_GLOBAL__N_18offset_tEEE10hipError_tPvRmT1_PNSt15iterator_traitsISK_E10value_typeET2_T3_PNSL_ISQ_E10value_typeET4_jRbjT5_SW_jjP12ihipStream_tbEUlT_E_NS1_11comp_targetILNS1_3genE8ELNS1_11target_archE1030ELNS1_3gpuE2ELNS1_3repE0EEENS1_30default_config_static_selectorELNS0_4arch9wavefront6targetE1EEEvSK_.num_vgpr, 0
	.set _ZN7rocprim17ROCPRIM_400000_NS6detail17trampoline_kernelINS0_14default_configENS1_36segmented_radix_sort_config_selectorIflEEZNS1_25segmented_radix_sort_implIS3_Lb1EPKfPfPKlPlN2at6native12_GLOBAL__N_18offset_tEEE10hipError_tPvRmT1_PNSt15iterator_traitsISK_E10value_typeET2_T3_PNSL_ISQ_E10value_typeET4_jRbjT5_SW_jjP12ihipStream_tbEUlT_E_NS1_11comp_targetILNS1_3genE8ELNS1_11target_archE1030ELNS1_3gpuE2ELNS1_3repE0EEENS1_30default_config_static_selectorELNS0_4arch9wavefront6targetE1EEEvSK_.num_agpr, 0
	.set _ZN7rocprim17ROCPRIM_400000_NS6detail17trampoline_kernelINS0_14default_configENS1_36segmented_radix_sort_config_selectorIflEEZNS1_25segmented_radix_sort_implIS3_Lb1EPKfPfPKlPlN2at6native12_GLOBAL__N_18offset_tEEE10hipError_tPvRmT1_PNSt15iterator_traitsISK_E10value_typeET2_T3_PNSL_ISQ_E10value_typeET4_jRbjT5_SW_jjP12ihipStream_tbEUlT_E_NS1_11comp_targetILNS1_3genE8ELNS1_11target_archE1030ELNS1_3gpuE2ELNS1_3repE0EEENS1_30default_config_static_selectorELNS0_4arch9wavefront6targetE1EEEvSK_.numbered_sgpr, 0
	.set _ZN7rocprim17ROCPRIM_400000_NS6detail17trampoline_kernelINS0_14default_configENS1_36segmented_radix_sort_config_selectorIflEEZNS1_25segmented_radix_sort_implIS3_Lb1EPKfPfPKlPlN2at6native12_GLOBAL__N_18offset_tEEE10hipError_tPvRmT1_PNSt15iterator_traitsISK_E10value_typeET2_T3_PNSL_ISQ_E10value_typeET4_jRbjT5_SW_jjP12ihipStream_tbEUlT_E_NS1_11comp_targetILNS1_3genE8ELNS1_11target_archE1030ELNS1_3gpuE2ELNS1_3repE0EEENS1_30default_config_static_selectorELNS0_4arch9wavefront6targetE1EEEvSK_.num_named_barrier, 0
	.set _ZN7rocprim17ROCPRIM_400000_NS6detail17trampoline_kernelINS0_14default_configENS1_36segmented_radix_sort_config_selectorIflEEZNS1_25segmented_radix_sort_implIS3_Lb1EPKfPfPKlPlN2at6native12_GLOBAL__N_18offset_tEEE10hipError_tPvRmT1_PNSt15iterator_traitsISK_E10value_typeET2_T3_PNSL_ISQ_E10value_typeET4_jRbjT5_SW_jjP12ihipStream_tbEUlT_E_NS1_11comp_targetILNS1_3genE8ELNS1_11target_archE1030ELNS1_3gpuE2ELNS1_3repE0EEENS1_30default_config_static_selectorELNS0_4arch9wavefront6targetE1EEEvSK_.private_seg_size, 0
	.set _ZN7rocprim17ROCPRIM_400000_NS6detail17trampoline_kernelINS0_14default_configENS1_36segmented_radix_sort_config_selectorIflEEZNS1_25segmented_radix_sort_implIS3_Lb1EPKfPfPKlPlN2at6native12_GLOBAL__N_18offset_tEEE10hipError_tPvRmT1_PNSt15iterator_traitsISK_E10value_typeET2_T3_PNSL_ISQ_E10value_typeET4_jRbjT5_SW_jjP12ihipStream_tbEUlT_E_NS1_11comp_targetILNS1_3genE8ELNS1_11target_archE1030ELNS1_3gpuE2ELNS1_3repE0EEENS1_30default_config_static_selectorELNS0_4arch9wavefront6targetE1EEEvSK_.uses_vcc, 0
	.set _ZN7rocprim17ROCPRIM_400000_NS6detail17trampoline_kernelINS0_14default_configENS1_36segmented_radix_sort_config_selectorIflEEZNS1_25segmented_radix_sort_implIS3_Lb1EPKfPfPKlPlN2at6native12_GLOBAL__N_18offset_tEEE10hipError_tPvRmT1_PNSt15iterator_traitsISK_E10value_typeET2_T3_PNSL_ISQ_E10value_typeET4_jRbjT5_SW_jjP12ihipStream_tbEUlT_E_NS1_11comp_targetILNS1_3genE8ELNS1_11target_archE1030ELNS1_3gpuE2ELNS1_3repE0EEENS1_30default_config_static_selectorELNS0_4arch9wavefront6targetE1EEEvSK_.uses_flat_scratch, 0
	.set _ZN7rocprim17ROCPRIM_400000_NS6detail17trampoline_kernelINS0_14default_configENS1_36segmented_radix_sort_config_selectorIflEEZNS1_25segmented_radix_sort_implIS3_Lb1EPKfPfPKlPlN2at6native12_GLOBAL__N_18offset_tEEE10hipError_tPvRmT1_PNSt15iterator_traitsISK_E10value_typeET2_T3_PNSL_ISQ_E10value_typeET4_jRbjT5_SW_jjP12ihipStream_tbEUlT_E_NS1_11comp_targetILNS1_3genE8ELNS1_11target_archE1030ELNS1_3gpuE2ELNS1_3repE0EEENS1_30default_config_static_selectorELNS0_4arch9wavefront6targetE1EEEvSK_.has_dyn_sized_stack, 0
	.set _ZN7rocprim17ROCPRIM_400000_NS6detail17trampoline_kernelINS0_14default_configENS1_36segmented_radix_sort_config_selectorIflEEZNS1_25segmented_radix_sort_implIS3_Lb1EPKfPfPKlPlN2at6native12_GLOBAL__N_18offset_tEEE10hipError_tPvRmT1_PNSt15iterator_traitsISK_E10value_typeET2_T3_PNSL_ISQ_E10value_typeET4_jRbjT5_SW_jjP12ihipStream_tbEUlT_E_NS1_11comp_targetILNS1_3genE8ELNS1_11target_archE1030ELNS1_3gpuE2ELNS1_3repE0EEENS1_30default_config_static_selectorELNS0_4arch9wavefront6targetE1EEEvSK_.has_recursion, 0
	.set _ZN7rocprim17ROCPRIM_400000_NS6detail17trampoline_kernelINS0_14default_configENS1_36segmented_radix_sort_config_selectorIflEEZNS1_25segmented_radix_sort_implIS3_Lb1EPKfPfPKlPlN2at6native12_GLOBAL__N_18offset_tEEE10hipError_tPvRmT1_PNSt15iterator_traitsISK_E10value_typeET2_T3_PNSL_ISQ_E10value_typeET4_jRbjT5_SW_jjP12ihipStream_tbEUlT_E_NS1_11comp_targetILNS1_3genE8ELNS1_11target_archE1030ELNS1_3gpuE2ELNS1_3repE0EEENS1_30default_config_static_selectorELNS0_4arch9wavefront6targetE1EEEvSK_.has_indirect_call, 0
	.section	.AMDGPU.csdata,"",@progbits
; Kernel info:
; codeLenInByte = 0
; TotalNumSgprs: 4
; NumVgprs: 0
; ScratchSize: 0
; MemoryBound: 0
; FloatMode: 240
; IeeeMode: 1
; LDSByteSize: 0 bytes/workgroup (compile time only)
; SGPRBlocks: 0
; VGPRBlocks: 0
; NumSGPRsForWavesPerEU: 4
; NumVGPRsForWavesPerEU: 1
; Occupancy: 10
; WaveLimiterHint : 0
; COMPUTE_PGM_RSRC2:SCRATCH_EN: 0
; COMPUTE_PGM_RSRC2:USER_SGPR: 6
; COMPUTE_PGM_RSRC2:TRAP_HANDLER: 0
; COMPUTE_PGM_RSRC2:TGID_X_EN: 1
; COMPUTE_PGM_RSRC2:TGID_Y_EN: 0
; COMPUTE_PGM_RSRC2:TGID_Z_EN: 0
; COMPUTE_PGM_RSRC2:TIDIG_COMP_CNT: 0
	.section	.text._ZN7rocprim17ROCPRIM_400000_NS6detail17trampoline_kernelINS0_14default_configENS1_36segmented_radix_sort_config_selectorIflEEZNS1_25segmented_radix_sort_implIS3_Lb1EPKfPfPKlPlN2at6native12_GLOBAL__N_18offset_tEEE10hipError_tPvRmT1_PNSt15iterator_traitsISK_E10value_typeET2_T3_PNSL_ISQ_E10value_typeET4_jRbjT5_SW_jjP12ihipStream_tbEUlT_E0_NS1_11comp_targetILNS1_3genE0ELNS1_11target_archE4294967295ELNS1_3gpuE0ELNS1_3repE0EEENS1_60segmented_radix_sort_warp_sort_medium_config_static_selectorELNS0_4arch9wavefront6targetE1EEEvSK_,"axG",@progbits,_ZN7rocprim17ROCPRIM_400000_NS6detail17trampoline_kernelINS0_14default_configENS1_36segmented_radix_sort_config_selectorIflEEZNS1_25segmented_radix_sort_implIS3_Lb1EPKfPfPKlPlN2at6native12_GLOBAL__N_18offset_tEEE10hipError_tPvRmT1_PNSt15iterator_traitsISK_E10value_typeET2_T3_PNSL_ISQ_E10value_typeET4_jRbjT5_SW_jjP12ihipStream_tbEUlT_E0_NS1_11comp_targetILNS1_3genE0ELNS1_11target_archE4294967295ELNS1_3gpuE0ELNS1_3repE0EEENS1_60segmented_radix_sort_warp_sort_medium_config_static_selectorELNS0_4arch9wavefront6targetE1EEEvSK_,comdat
	.globl	_ZN7rocprim17ROCPRIM_400000_NS6detail17trampoline_kernelINS0_14default_configENS1_36segmented_radix_sort_config_selectorIflEEZNS1_25segmented_radix_sort_implIS3_Lb1EPKfPfPKlPlN2at6native12_GLOBAL__N_18offset_tEEE10hipError_tPvRmT1_PNSt15iterator_traitsISK_E10value_typeET2_T3_PNSL_ISQ_E10value_typeET4_jRbjT5_SW_jjP12ihipStream_tbEUlT_E0_NS1_11comp_targetILNS1_3genE0ELNS1_11target_archE4294967295ELNS1_3gpuE0ELNS1_3repE0EEENS1_60segmented_radix_sort_warp_sort_medium_config_static_selectorELNS0_4arch9wavefront6targetE1EEEvSK_ ; -- Begin function _ZN7rocprim17ROCPRIM_400000_NS6detail17trampoline_kernelINS0_14default_configENS1_36segmented_radix_sort_config_selectorIflEEZNS1_25segmented_radix_sort_implIS3_Lb1EPKfPfPKlPlN2at6native12_GLOBAL__N_18offset_tEEE10hipError_tPvRmT1_PNSt15iterator_traitsISK_E10value_typeET2_T3_PNSL_ISQ_E10value_typeET4_jRbjT5_SW_jjP12ihipStream_tbEUlT_E0_NS1_11comp_targetILNS1_3genE0ELNS1_11target_archE4294967295ELNS1_3gpuE0ELNS1_3repE0EEENS1_60segmented_radix_sort_warp_sort_medium_config_static_selectorELNS0_4arch9wavefront6targetE1EEEvSK_
	.p2align	8
	.type	_ZN7rocprim17ROCPRIM_400000_NS6detail17trampoline_kernelINS0_14default_configENS1_36segmented_radix_sort_config_selectorIflEEZNS1_25segmented_radix_sort_implIS3_Lb1EPKfPfPKlPlN2at6native12_GLOBAL__N_18offset_tEEE10hipError_tPvRmT1_PNSt15iterator_traitsISK_E10value_typeET2_T3_PNSL_ISQ_E10value_typeET4_jRbjT5_SW_jjP12ihipStream_tbEUlT_E0_NS1_11comp_targetILNS1_3genE0ELNS1_11target_archE4294967295ELNS1_3gpuE0ELNS1_3repE0EEENS1_60segmented_radix_sort_warp_sort_medium_config_static_selectorELNS0_4arch9wavefront6targetE1EEEvSK_,@function
_ZN7rocprim17ROCPRIM_400000_NS6detail17trampoline_kernelINS0_14default_configENS1_36segmented_radix_sort_config_selectorIflEEZNS1_25segmented_radix_sort_implIS3_Lb1EPKfPfPKlPlN2at6native12_GLOBAL__N_18offset_tEEE10hipError_tPvRmT1_PNSt15iterator_traitsISK_E10value_typeET2_T3_PNSL_ISQ_E10value_typeET4_jRbjT5_SW_jjP12ihipStream_tbEUlT_E0_NS1_11comp_targetILNS1_3genE0ELNS1_11target_archE4294967295ELNS1_3gpuE0ELNS1_3repE0EEENS1_60segmented_radix_sort_warp_sort_medium_config_static_selectorELNS0_4arch9wavefront6targetE1EEEvSK_: ; @_ZN7rocprim17ROCPRIM_400000_NS6detail17trampoline_kernelINS0_14default_configENS1_36segmented_radix_sort_config_selectorIflEEZNS1_25segmented_radix_sort_implIS3_Lb1EPKfPfPKlPlN2at6native12_GLOBAL__N_18offset_tEEE10hipError_tPvRmT1_PNSt15iterator_traitsISK_E10value_typeET2_T3_PNSL_ISQ_E10value_typeET4_jRbjT5_SW_jjP12ihipStream_tbEUlT_E0_NS1_11comp_targetILNS1_3genE0ELNS1_11target_archE4294967295ELNS1_3gpuE0ELNS1_3repE0EEENS1_60segmented_radix_sort_warp_sort_medium_config_static_selectorELNS0_4arch9wavefront6targetE1EEEvSK_
; %bb.0:
	.section	.rodata,"a",@progbits
	.p2align	6, 0x0
	.amdhsa_kernel _ZN7rocprim17ROCPRIM_400000_NS6detail17trampoline_kernelINS0_14default_configENS1_36segmented_radix_sort_config_selectorIflEEZNS1_25segmented_radix_sort_implIS3_Lb1EPKfPfPKlPlN2at6native12_GLOBAL__N_18offset_tEEE10hipError_tPvRmT1_PNSt15iterator_traitsISK_E10value_typeET2_T3_PNSL_ISQ_E10value_typeET4_jRbjT5_SW_jjP12ihipStream_tbEUlT_E0_NS1_11comp_targetILNS1_3genE0ELNS1_11target_archE4294967295ELNS1_3gpuE0ELNS1_3repE0EEENS1_60segmented_radix_sort_warp_sort_medium_config_static_selectorELNS0_4arch9wavefront6targetE1EEEvSK_
		.amdhsa_group_segment_fixed_size 0
		.amdhsa_private_segment_fixed_size 0
		.amdhsa_kernarg_size 88
		.amdhsa_user_sgpr_count 6
		.amdhsa_user_sgpr_private_segment_buffer 1
		.amdhsa_user_sgpr_dispatch_ptr 0
		.amdhsa_user_sgpr_queue_ptr 0
		.amdhsa_user_sgpr_kernarg_segment_ptr 1
		.amdhsa_user_sgpr_dispatch_id 0
		.amdhsa_user_sgpr_flat_scratch_init 0
		.amdhsa_user_sgpr_private_segment_size 0
		.amdhsa_uses_dynamic_stack 0
		.amdhsa_system_sgpr_private_segment_wavefront_offset 0
		.amdhsa_system_sgpr_workgroup_id_x 1
		.amdhsa_system_sgpr_workgroup_id_y 0
		.amdhsa_system_sgpr_workgroup_id_z 0
		.amdhsa_system_sgpr_workgroup_info 0
		.amdhsa_system_vgpr_workitem_id 0
		.amdhsa_next_free_vgpr 1
		.amdhsa_next_free_sgpr 0
		.amdhsa_reserve_vcc 0
		.amdhsa_reserve_flat_scratch 0
		.amdhsa_float_round_mode_32 0
		.amdhsa_float_round_mode_16_64 0
		.amdhsa_float_denorm_mode_32 3
		.amdhsa_float_denorm_mode_16_64 3
		.amdhsa_dx10_clamp 1
		.amdhsa_ieee_mode 1
		.amdhsa_fp16_overflow 0
		.amdhsa_exception_fp_ieee_invalid_op 0
		.amdhsa_exception_fp_denorm_src 0
		.amdhsa_exception_fp_ieee_div_zero 0
		.amdhsa_exception_fp_ieee_overflow 0
		.amdhsa_exception_fp_ieee_underflow 0
		.amdhsa_exception_fp_ieee_inexact 0
		.amdhsa_exception_int_div_zero 0
	.end_amdhsa_kernel
	.section	.text._ZN7rocprim17ROCPRIM_400000_NS6detail17trampoline_kernelINS0_14default_configENS1_36segmented_radix_sort_config_selectorIflEEZNS1_25segmented_radix_sort_implIS3_Lb1EPKfPfPKlPlN2at6native12_GLOBAL__N_18offset_tEEE10hipError_tPvRmT1_PNSt15iterator_traitsISK_E10value_typeET2_T3_PNSL_ISQ_E10value_typeET4_jRbjT5_SW_jjP12ihipStream_tbEUlT_E0_NS1_11comp_targetILNS1_3genE0ELNS1_11target_archE4294967295ELNS1_3gpuE0ELNS1_3repE0EEENS1_60segmented_radix_sort_warp_sort_medium_config_static_selectorELNS0_4arch9wavefront6targetE1EEEvSK_,"axG",@progbits,_ZN7rocprim17ROCPRIM_400000_NS6detail17trampoline_kernelINS0_14default_configENS1_36segmented_radix_sort_config_selectorIflEEZNS1_25segmented_radix_sort_implIS3_Lb1EPKfPfPKlPlN2at6native12_GLOBAL__N_18offset_tEEE10hipError_tPvRmT1_PNSt15iterator_traitsISK_E10value_typeET2_T3_PNSL_ISQ_E10value_typeET4_jRbjT5_SW_jjP12ihipStream_tbEUlT_E0_NS1_11comp_targetILNS1_3genE0ELNS1_11target_archE4294967295ELNS1_3gpuE0ELNS1_3repE0EEENS1_60segmented_radix_sort_warp_sort_medium_config_static_selectorELNS0_4arch9wavefront6targetE1EEEvSK_,comdat
.Lfunc_end1335:
	.size	_ZN7rocprim17ROCPRIM_400000_NS6detail17trampoline_kernelINS0_14default_configENS1_36segmented_radix_sort_config_selectorIflEEZNS1_25segmented_radix_sort_implIS3_Lb1EPKfPfPKlPlN2at6native12_GLOBAL__N_18offset_tEEE10hipError_tPvRmT1_PNSt15iterator_traitsISK_E10value_typeET2_T3_PNSL_ISQ_E10value_typeET4_jRbjT5_SW_jjP12ihipStream_tbEUlT_E0_NS1_11comp_targetILNS1_3genE0ELNS1_11target_archE4294967295ELNS1_3gpuE0ELNS1_3repE0EEENS1_60segmented_radix_sort_warp_sort_medium_config_static_selectorELNS0_4arch9wavefront6targetE1EEEvSK_, .Lfunc_end1335-_ZN7rocprim17ROCPRIM_400000_NS6detail17trampoline_kernelINS0_14default_configENS1_36segmented_radix_sort_config_selectorIflEEZNS1_25segmented_radix_sort_implIS3_Lb1EPKfPfPKlPlN2at6native12_GLOBAL__N_18offset_tEEE10hipError_tPvRmT1_PNSt15iterator_traitsISK_E10value_typeET2_T3_PNSL_ISQ_E10value_typeET4_jRbjT5_SW_jjP12ihipStream_tbEUlT_E0_NS1_11comp_targetILNS1_3genE0ELNS1_11target_archE4294967295ELNS1_3gpuE0ELNS1_3repE0EEENS1_60segmented_radix_sort_warp_sort_medium_config_static_selectorELNS0_4arch9wavefront6targetE1EEEvSK_
                                        ; -- End function
	.set _ZN7rocprim17ROCPRIM_400000_NS6detail17trampoline_kernelINS0_14default_configENS1_36segmented_radix_sort_config_selectorIflEEZNS1_25segmented_radix_sort_implIS3_Lb1EPKfPfPKlPlN2at6native12_GLOBAL__N_18offset_tEEE10hipError_tPvRmT1_PNSt15iterator_traitsISK_E10value_typeET2_T3_PNSL_ISQ_E10value_typeET4_jRbjT5_SW_jjP12ihipStream_tbEUlT_E0_NS1_11comp_targetILNS1_3genE0ELNS1_11target_archE4294967295ELNS1_3gpuE0ELNS1_3repE0EEENS1_60segmented_radix_sort_warp_sort_medium_config_static_selectorELNS0_4arch9wavefront6targetE1EEEvSK_.num_vgpr, 0
	.set _ZN7rocprim17ROCPRIM_400000_NS6detail17trampoline_kernelINS0_14default_configENS1_36segmented_radix_sort_config_selectorIflEEZNS1_25segmented_radix_sort_implIS3_Lb1EPKfPfPKlPlN2at6native12_GLOBAL__N_18offset_tEEE10hipError_tPvRmT1_PNSt15iterator_traitsISK_E10value_typeET2_T3_PNSL_ISQ_E10value_typeET4_jRbjT5_SW_jjP12ihipStream_tbEUlT_E0_NS1_11comp_targetILNS1_3genE0ELNS1_11target_archE4294967295ELNS1_3gpuE0ELNS1_3repE0EEENS1_60segmented_radix_sort_warp_sort_medium_config_static_selectorELNS0_4arch9wavefront6targetE1EEEvSK_.num_agpr, 0
	.set _ZN7rocprim17ROCPRIM_400000_NS6detail17trampoline_kernelINS0_14default_configENS1_36segmented_radix_sort_config_selectorIflEEZNS1_25segmented_radix_sort_implIS3_Lb1EPKfPfPKlPlN2at6native12_GLOBAL__N_18offset_tEEE10hipError_tPvRmT1_PNSt15iterator_traitsISK_E10value_typeET2_T3_PNSL_ISQ_E10value_typeET4_jRbjT5_SW_jjP12ihipStream_tbEUlT_E0_NS1_11comp_targetILNS1_3genE0ELNS1_11target_archE4294967295ELNS1_3gpuE0ELNS1_3repE0EEENS1_60segmented_radix_sort_warp_sort_medium_config_static_selectorELNS0_4arch9wavefront6targetE1EEEvSK_.numbered_sgpr, 0
	.set _ZN7rocprim17ROCPRIM_400000_NS6detail17trampoline_kernelINS0_14default_configENS1_36segmented_radix_sort_config_selectorIflEEZNS1_25segmented_radix_sort_implIS3_Lb1EPKfPfPKlPlN2at6native12_GLOBAL__N_18offset_tEEE10hipError_tPvRmT1_PNSt15iterator_traitsISK_E10value_typeET2_T3_PNSL_ISQ_E10value_typeET4_jRbjT5_SW_jjP12ihipStream_tbEUlT_E0_NS1_11comp_targetILNS1_3genE0ELNS1_11target_archE4294967295ELNS1_3gpuE0ELNS1_3repE0EEENS1_60segmented_radix_sort_warp_sort_medium_config_static_selectorELNS0_4arch9wavefront6targetE1EEEvSK_.num_named_barrier, 0
	.set _ZN7rocprim17ROCPRIM_400000_NS6detail17trampoline_kernelINS0_14default_configENS1_36segmented_radix_sort_config_selectorIflEEZNS1_25segmented_radix_sort_implIS3_Lb1EPKfPfPKlPlN2at6native12_GLOBAL__N_18offset_tEEE10hipError_tPvRmT1_PNSt15iterator_traitsISK_E10value_typeET2_T3_PNSL_ISQ_E10value_typeET4_jRbjT5_SW_jjP12ihipStream_tbEUlT_E0_NS1_11comp_targetILNS1_3genE0ELNS1_11target_archE4294967295ELNS1_3gpuE0ELNS1_3repE0EEENS1_60segmented_radix_sort_warp_sort_medium_config_static_selectorELNS0_4arch9wavefront6targetE1EEEvSK_.private_seg_size, 0
	.set _ZN7rocprim17ROCPRIM_400000_NS6detail17trampoline_kernelINS0_14default_configENS1_36segmented_radix_sort_config_selectorIflEEZNS1_25segmented_radix_sort_implIS3_Lb1EPKfPfPKlPlN2at6native12_GLOBAL__N_18offset_tEEE10hipError_tPvRmT1_PNSt15iterator_traitsISK_E10value_typeET2_T3_PNSL_ISQ_E10value_typeET4_jRbjT5_SW_jjP12ihipStream_tbEUlT_E0_NS1_11comp_targetILNS1_3genE0ELNS1_11target_archE4294967295ELNS1_3gpuE0ELNS1_3repE0EEENS1_60segmented_radix_sort_warp_sort_medium_config_static_selectorELNS0_4arch9wavefront6targetE1EEEvSK_.uses_vcc, 0
	.set _ZN7rocprim17ROCPRIM_400000_NS6detail17trampoline_kernelINS0_14default_configENS1_36segmented_radix_sort_config_selectorIflEEZNS1_25segmented_radix_sort_implIS3_Lb1EPKfPfPKlPlN2at6native12_GLOBAL__N_18offset_tEEE10hipError_tPvRmT1_PNSt15iterator_traitsISK_E10value_typeET2_T3_PNSL_ISQ_E10value_typeET4_jRbjT5_SW_jjP12ihipStream_tbEUlT_E0_NS1_11comp_targetILNS1_3genE0ELNS1_11target_archE4294967295ELNS1_3gpuE0ELNS1_3repE0EEENS1_60segmented_radix_sort_warp_sort_medium_config_static_selectorELNS0_4arch9wavefront6targetE1EEEvSK_.uses_flat_scratch, 0
	.set _ZN7rocprim17ROCPRIM_400000_NS6detail17trampoline_kernelINS0_14default_configENS1_36segmented_radix_sort_config_selectorIflEEZNS1_25segmented_radix_sort_implIS3_Lb1EPKfPfPKlPlN2at6native12_GLOBAL__N_18offset_tEEE10hipError_tPvRmT1_PNSt15iterator_traitsISK_E10value_typeET2_T3_PNSL_ISQ_E10value_typeET4_jRbjT5_SW_jjP12ihipStream_tbEUlT_E0_NS1_11comp_targetILNS1_3genE0ELNS1_11target_archE4294967295ELNS1_3gpuE0ELNS1_3repE0EEENS1_60segmented_radix_sort_warp_sort_medium_config_static_selectorELNS0_4arch9wavefront6targetE1EEEvSK_.has_dyn_sized_stack, 0
	.set _ZN7rocprim17ROCPRIM_400000_NS6detail17trampoline_kernelINS0_14default_configENS1_36segmented_radix_sort_config_selectorIflEEZNS1_25segmented_radix_sort_implIS3_Lb1EPKfPfPKlPlN2at6native12_GLOBAL__N_18offset_tEEE10hipError_tPvRmT1_PNSt15iterator_traitsISK_E10value_typeET2_T3_PNSL_ISQ_E10value_typeET4_jRbjT5_SW_jjP12ihipStream_tbEUlT_E0_NS1_11comp_targetILNS1_3genE0ELNS1_11target_archE4294967295ELNS1_3gpuE0ELNS1_3repE0EEENS1_60segmented_radix_sort_warp_sort_medium_config_static_selectorELNS0_4arch9wavefront6targetE1EEEvSK_.has_recursion, 0
	.set _ZN7rocprim17ROCPRIM_400000_NS6detail17trampoline_kernelINS0_14default_configENS1_36segmented_radix_sort_config_selectorIflEEZNS1_25segmented_radix_sort_implIS3_Lb1EPKfPfPKlPlN2at6native12_GLOBAL__N_18offset_tEEE10hipError_tPvRmT1_PNSt15iterator_traitsISK_E10value_typeET2_T3_PNSL_ISQ_E10value_typeET4_jRbjT5_SW_jjP12ihipStream_tbEUlT_E0_NS1_11comp_targetILNS1_3genE0ELNS1_11target_archE4294967295ELNS1_3gpuE0ELNS1_3repE0EEENS1_60segmented_radix_sort_warp_sort_medium_config_static_selectorELNS0_4arch9wavefront6targetE1EEEvSK_.has_indirect_call, 0
	.section	.AMDGPU.csdata,"",@progbits
; Kernel info:
; codeLenInByte = 0
; TotalNumSgprs: 4
; NumVgprs: 0
; ScratchSize: 0
; MemoryBound: 0
; FloatMode: 240
; IeeeMode: 1
; LDSByteSize: 0 bytes/workgroup (compile time only)
; SGPRBlocks: 0
; VGPRBlocks: 0
; NumSGPRsForWavesPerEU: 4
; NumVGPRsForWavesPerEU: 1
; Occupancy: 10
; WaveLimiterHint : 0
; COMPUTE_PGM_RSRC2:SCRATCH_EN: 0
; COMPUTE_PGM_RSRC2:USER_SGPR: 6
; COMPUTE_PGM_RSRC2:TRAP_HANDLER: 0
; COMPUTE_PGM_RSRC2:TGID_X_EN: 1
; COMPUTE_PGM_RSRC2:TGID_Y_EN: 0
; COMPUTE_PGM_RSRC2:TGID_Z_EN: 0
; COMPUTE_PGM_RSRC2:TIDIG_COMP_CNT: 0
	.section	.text._ZN7rocprim17ROCPRIM_400000_NS6detail17trampoline_kernelINS0_14default_configENS1_36segmented_radix_sort_config_selectorIflEEZNS1_25segmented_radix_sort_implIS3_Lb1EPKfPfPKlPlN2at6native12_GLOBAL__N_18offset_tEEE10hipError_tPvRmT1_PNSt15iterator_traitsISK_E10value_typeET2_T3_PNSL_ISQ_E10value_typeET4_jRbjT5_SW_jjP12ihipStream_tbEUlT_E0_NS1_11comp_targetILNS1_3genE5ELNS1_11target_archE942ELNS1_3gpuE9ELNS1_3repE0EEENS1_60segmented_radix_sort_warp_sort_medium_config_static_selectorELNS0_4arch9wavefront6targetE1EEEvSK_,"axG",@progbits,_ZN7rocprim17ROCPRIM_400000_NS6detail17trampoline_kernelINS0_14default_configENS1_36segmented_radix_sort_config_selectorIflEEZNS1_25segmented_radix_sort_implIS3_Lb1EPKfPfPKlPlN2at6native12_GLOBAL__N_18offset_tEEE10hipError_tPvRmT1_PNSt15iterator_traitsISK_E10value_typeET2_T3_PNSL_ISQ_E10value_typeET4_jRbjT5_SW_jjP12ihipStream_tbEUlT_E0_NS1_11comp_targetILNS1_3genE5ELNS1_11target_archE942ELNS1_3gpuE9ELNS1_3repE0EEENS1_60segmented_radix_sort_warp_sort_medium_config_static_selectorELNS0_4arch9wavefront6targetE1EEEvSK_,comdat
	.globl	_ZN7rocprim17ROCPRIM_400000_NS6detail17trampoline_kernelINS0_14default_configENS1_36segmented_radix_sort_config_selectorIflEEZNS1_25segmented_radix_sort_implIS3_Lb1EPKfPfPKlPlN2at6native12_GLOBAL__N_18offset_tEEE10hipError_tPvRmT1_PNSt15iterator_traitsISK_E10value_typeET2_T3_PNSL_ISQ_E10value_typeET4_jRbjT5_SW_jjP12ihipStream_tbEUlT_E0_NS1_11comp_targetILNS1_3genE5ELNS1_11target_archE942ELNS1_3gpuE9ELNS1_3repE0EEENS1_60segmented_radix_sort_warp_sort_medium_config_static_selectorELNS0_4arch9wavefront6targetE1EEEvSK_ ; -- Begin function _ZN7rocprim17ROCPRIM_400000_NS6detail17trampoline_kernelINS0_14default_configENS1_36segmented_radix_sort_config_selectorIflEEZNS1_25segmented_radix_sort_implIS3_Lb1EPKfPfPKlPlN2at6native12_GLOBAL__N_18offset_tEEE10hipError_tPvRmT1_PNSt15iterator_traitsISK_E10value_typeET2_T3_PNSL_ISQ_E10value_typeET4_jRbjT5_SW_jjP12ihipStream_tbEUlT_E0_NS1_11comp_targetILNS1_3genE5ELNS1_11target_archE942ELNS1_3gpuE9ELNS1_3repE0EEENS1_60segmented_radix_sort_warp_sort_medium_config_static_selectorELNS0_4arch9wavefront6targetE1EEEvSK_
	.p2align	8
	.type	_ZN7rocprim17ROCPRIM_400000_NS6detail17trampoline_kernelINS0_14default_configENS1_36segmented_radix_sort_config_selectorIflEEZNS1_25segmented_radix_sort_implIS3_Lb1EPKfPfPKlPlN2at6native12_GLOBAL__N_18offset_tEEE10hipError_tPvRmT1_PNSt15iterator_traitsISK_E10value_typeET2_T3_PNSL_ISQ_E10value_typeET4_jRbjT5_SW_jjP12ihipStream_tbEUlT_E0_NS1_11comp_targetILNS1_3genE5ELNS1_11target_archE942ELNS1_3gpuE9ELNS1_3repE0EEENS1_60segmented_radix_sort_warp_sort_medium_config_static_selectorELNS0_4arch9wavefront6targetE1EEEvSK_,@function
_ZN7rocprim17ROCPRIM_400000_NS6detail17trampoline_kernelINS0_14default_configENS1_36segmented_radix_sort_config_selectorIflEEZNS1_25segmented_radix_sort_implIS3_Lb1EPKfPfPKlPlN2at6native12_GLOBAL__N_18offset_tEEE10hipError_tPvRmT1_PNSt15iterator_traitsISK_E10value_typeET2_T3_PNSL_ISQ_E10value_typeET4_jRbjT5_SW_jjP12ihipStream_tbEUlT_E0_NS1_11comp_targetILNS1_3genE5ELNS1_11target_archE942ELNS1_3gpuE9ELNS1_3repE0EEENS1_60segmented_radix_sort_warp_sort_medium_config_static_selectorELNS0_4arch9wavefront6targetE1EEEvSK_: ; @_ZN7rocprim17ROCPRIM_400000_NS6detail17trampoline_kernelINS0_14default_configENS1_36segmented_radix_sort_config_selectorIflEEZNS1_25segmented_radix_sort_implIS3_Lb1EPKfPfPKlPlN2at6native12_GLOBAL__N_18offset_tEEE10hipError_tPvRmT1_PNSt15iterator_traitsISK_E10value_typeET2_T3_PNSL_ISQ_E10value_typeET4_jRbjT5_SW_jjP12ihipStream_tbEUlT_E0_NS1_11comp_targetILNS1_3genE5ELNS1_11target_archE942ELNS1_3gpuE9ELNS1_3repE0EEENS1_60segmented_radix_sort_warp_sort_medium_config_static_selectorELNS0_4arch9wavefront6targetE1EEEvSK_
; %bb.0:
	.section	.rodata,"a",@progbits
	.p2align	6, 0x0
	.amdhsa_kernel _ZN7rocprim17ROCPRIM_400000_NS6detail17trampoline_kernelINS0_14default_configENS1_36segmented_radix_sort_config_selectorIflEEZNS1_25segmented_radix_sort_implIS3_Lb1EPKfPfPKlPlN2at6native12_GLOBAL__N_18offset_tEEE10hipError_tPvRmT1_PNSt15iterator_traitsISK_E10value_typeET2_T3_PNSL_ISQ_E10value_typeET4_jRbjT5_SW_jjP12ihipStream_tbEUlT_E0_NS1_11comp_targetILNS1_3genE5ELNS1_11target_archE942ELNS1_3gpuE9ELNS1_3repE0EEENS1_60segmented_radix_sort_warp_sort_medium_config_static_selectorELNS0_4arch9wavefront6targetE1EEEvSK_
		.amdhsa_group_segment_fixed_size 0
		.amdhsa_private_segment_fixed_size 0
		.amdhsa_kernarg_size 88
		.amdhsa_user_sgpr_count 6
		.amdhsa_user_sgpr_private_segment_buffer 1
		.amdhsa_user_sgpr_dispatch_ptr 0
		.amdhsa_user_sgpr_queue_ptr 0
		.amdhsa_user_sgpr_kernarg_segment_ptr 1
		.amdhsa_user_sgpr_dispatch_id 0
		.amdhsa_user_sgpr_flat_scratch_init 0
		.amdhsa_user_sgpr_private_segment_size 0
		.amdhsa_uses_dynamic_stack 0
		.amdhsa_system_sgpr_private_segment_wavefront_offset 0
		.amdhsa_system_sgpr_workgroup_id_x 1
		.amdhsa_system_sgpr_workgroup_id_y 0
		.amdhsa_system_sgpr_workgroup_id_z 0
		.amdhsa_system_sgpr_workgroup_info 0
		.amdhsa_system_vgpr_workitem_id 0
		.amdhsa_next_free_vgpr 1
		.amdhsa_next_free_sgpr 0
		.amdhsa_reserve_vcc 0
		.amdhsa_reserve_flat_scratch 0
		.amdhsa_float_round_mode_32 0
		.amdhsa_float_round_mode_16_64 0
		.amdhsa_float_denorm_mode_32 3
		.amdhsa_float_denorm_mode_16_64 3
		.amdhsa_dx10_clamp 1
		.amdhsa_ieee_mode 1
		.amdhsa_fp16_overflow 0
		.amdhsa_exception_fp_ieee_invalid_op 0
		.amdhsa_exception_fp_denorm_src 0
		.amdhsa_exception_fp_ieee_div_zero 0
		.amdhsa_exception_fp_ieee_overflow 0
		.amdhsa_exception_fp_ieee_underflow 0
		.amdhsa_exception_fp_ieee_inexact 0
		.amdhsa_exception_int_div_zero 0
	.end_amdhsa_kernel
	.section	.text._ZN7rocprim17ROCPRIM_400000_NS6detail17trampoline_kernelINS0_14default_configENS1_36segmented_radix_sort_config_selectorIflEEZNS1_25segmented_radix_sort_implIS3_Lb1EPKfPfPKlPlN2at6native12_GLOBAL__N_18offset_tEEE10hipError_tPvRmT1_PNSt15iterator_traitsISK_E10value_typeET2_T3_PNSL_ISQ_E10value_typeET4_jRbjT5_SW_jjP12ihipStream_tbEUlT_E0_NS1_11comp_targetILNS1_3genE5ELNS1_11target_archE942ELNS1_3gpuE9ELNS1_3repE0EEENS1_60segmented_radix_sort_warp_sort_medium_config_static_selectorELNS0_4arch9wavefront6targetE1EEEvSK_,"axG",@progbits,_ZN7rocprim17ROCPRIM_400000_NS6detail17trampoline_kernelINS0_14default_configENS1_36segmented_radix_sort_config_selectorIflEEZNS1_25segmented_radix_sort_implIS3_Lb1EPKfPfPKlPlN2at6native12_GLOBAL__N_18offset_tEEE10hipError_tPvRmT1_PNSt15iterator_traitsISK_E10value_typeET2_T3_PNSL_ISQ_E10value_typeET4_jRbjT5_SW_jjP12ihipStream_tbEUlT_E0_NS1_11comp_targetILNS1_3genE5ELNS1_11target_archE942ELNS1_3gpuE9ELNS1_3repE0EEENS1_60segmented_radix_sort_warp_sort_medium_config_static_selectorELNS0_4arch9wavefront6targetE1EEEvSK_,comdat
.Lfunc_end1336:
	.size	_ZN7rocprim17ROCPRIM_400000_NS6detail17trampoline_kernelINS0_14default_configENS1_36segmented_radix_sort_config_selectorIflEEZNS1_25segmented_radix_sort_implIS3_Lb1EPKfPfPKlPlN2at6native12_GLOBAL__N_18offset_tEEE10hipError_tPvRmT1_PNSt15iterator_traitsISK_E10value_typeET2_T3_PNSL_ISQ_E10value_typeET4_jRbjT5_SW_jjP12ihipStream_tbEUlT_E0_NS1_11comp_targetILNS1_3genE5ELNS1_11target_archE942ELNS1_3gpuE9ELNS1_3repE0EEENS1_60segmented_radix_sort_warp_sort_medium_config_static_selectorELNS0_4arch9wavefront6targetE1EEEvSK_, .Lfunc_end1336-_ZN7rocprim17ROCPRIM_400000_NS6detail17trampoline_kernelINS0_14default_configENS1_36segmented_radix_sort_config_selectorIflEEZNS1_25segmented_radix_sort_implIS3_Lb1EPKfPfPKlPlN2at6native12_GLOBAL__N_18offset_tEEE10hipError_tPvRmT1_PNSt15iterator_traitsISK_E10value_typeET2_T3_PNSL_ISQ_E10value_typeET4_jRbjT5_SW_jjP12ihipStream_tbEUlT_E0_NS1_11comp_targetILNS1_3genE5ELNS1_11target_archE942ELNS1_3gpuE9ELNS1_3repE0EEENS1_60segmented_radix_sort_warp_sort_medium_config_static_selectorELNS0_4arch9wavefront6targetE1EEEvSK_
                                        ; -- End function
	.set _ZN7rocprim17ROCPRIM_400000_NS6detail17trampoline_kernelINS0_14default_configENS1_36segmented_radix_sort_config_selectorIflEEZNS1_25segmented_radix_sort_implIS3_Lb1EPKfPfPKlPlN2at6native12_GLOBAL__N_18offset_tEEE10hipError_tPvRmT1_PNSt15iterator_traitsISK_E10value_typeET2_T3_PNSL_ISQ_E10value_typeET4_jRbjT5_SW_jjP12ihipStream_tbEUlT_E0_NS1_11comp_targetILNS1_3genE5ELNS1_11target_archE942ELNS1_3gpuE9ELNS1_3repE0EEENS1_60segmented_radix_sort_warp_sort_medium_config_static_selectorELNS0_4arch9wavefront6targetE1EEEvSK_.num_vgpr, 0
	.set _ZN7rocprim17ROCPRIM_400000_NS6detail17trampoline_kernelINS0_14default_configENS1_36segmented_radix_sort_config_selectorIflEEZNS1_25segmented_radix_sort_implIS3_Lb1EPKfPfPKlPlN2at6native12_GLOBAL__N_18offset_tEEE10hipError_tPvRmT1_PNSt15iterator_traitsISK_E10value_typeET2_T3_PNSL_ISQ_E10value_typeET4_jRbjT5_SW_jjP12ihipStream_tbEUlT_E0_NS1_11comp_targetILNS1_3genE5ELNS1_11target_archE942ELNS1_3gpuE9ELNS1_3repE0EEENS1_60segmented_radix_sort_warp_sort_medium_config_static_selectorELNS0_4arch9wavefront6targetE1EEEvSK_.num_agpr, 0
	.set _ZN7rocprim17ROCPRIM_400000_NS6detail17trampoline_kernelINS0_14default_configENS1_36segmented_radix_sort_config_selectorIflEEZNS1_25segmented_radix_sort_implIS3_Lb1EPKfPfPKlPlN2at6native12_GLOBAL__N_18offset_tEEE10hipError_tPvRmT1_PNSt15iterator_traitsISK_E10value_typeET2_T3_PNSL_ISQ_E10value_typeET4_jRbjT5_SW_jjP12ihipStream_tbEUlT_E0_NS1_11comp_targetILNS1_3genE5ELNS1_11target_archE942ELNS1_3gpuE9ELNS1_3repE0EEENS1_60segmented_radix_sort_warp_sort_medium_config_static_selectorELNS0_4arch9wavefront6targetE1EEEvSK_.numbered_sgpr, 0
	.set _ZN7rocprim17ROCPRIM_400000_NS6detail17trampoline_kernelINS0_14default_configENS1_36segmented_radix_sort_config_selectorIflEEZNS1_25segmented_radix_sort_implIS3_Lb1EPKfPfPKlPlN2at6native12_GLOBAL__N_18offset_tEEE10hipError_tPvRmT1_PNSt15iterator_traitsISK_E10value_typeET2_T3_PNSL_ISQ_E10value_typeET4_jRbjT5_SW_jjP12ihipStream_tbEUlT_E0_NS1_11comp_targetILNS1_3genE5ELNS1_11target_archE942ELNS1_3gpuE9ELNS1_3repE0EEENS1_60segmented_radix_sort_warp_sort_medium_config_static_selectorELNS0_4arch9wavefront6targetE1EEEvSK_.num_named_barrier, 0
	.set _ZN7rocprim17ROCPRIM_400000_NS6detail17trampoline_kernelINS0_14default_configENS1_36segmented_radix_sort_config_selectorIflEEZNS1_25segmented_radix_sort_implIS3_Lb1EPKfPfPKlPlN2at6native12_GLOBAL__N_18offset_tEEE10hipError_tPvRmT1_PNSt15iterator_traitsISK_E10value_typeET2_T3_PNSL_ISQ_E10value_typeET4_jRbjT5_SW_jjP12ihipStream_tbEUlT_E0_NS1_11comp_targetILNS1_3genE5ELNS1_11target_archE942ELNS1_3gpuE9ELNS1_3repE0EEENS1_60segmented_radix_sort_warp_sort_medium_config_static_selectorELNS0_4arch9wavefront6targetE1EEEvSK_.private_seg_size, 0
	.set _ZN7rocprim17ROCPRIM_400000_NS6detail17trampoline_kernelINS0_14default_configENS1_36segmented_radix_sort_config_selectorIflEEZNS1_25segmented_radix_sort_implIS3_Lb1EPKfPfPKlPlN2at6native12_GLOBAL__N_18offset_tEEE10hipError_tPvRmT1_PNSt15iterator_traitsISK_E10value_typeET2_T3_PNSL_ISQ_E10value_typeET4_jRbjT5_SW_jjP12ihipStream_tbEUlT_E0_NS1_11comp_targetILNS1_3genE5ELNS1_11target_archE942ELNS1_3gpuE9ELNS1_3repE0EEENS1_60segmented_radix_sort_warp_sort_medium_config_static_selectorELNS0_4arch9wavefront6targetE1EEEvSK_.uses_vcc, 0
	.set _ZN7rocprim17ROCPRIM_400000_NS6detail17trampoline_kernelINS0_14default_configENS1_36segmented_radix_sort_config_selectorIflEEZNS1_25segmented_radix_sort_implIS3_Lb1EPKfPfPKlPlN2at6native12_GLOBAL__N_18offset_tEEE10hipError_tPvRmT1_PNSt15iterator_traitsISK_E10value_typeET2_T3_PNSL_ISQ_E10value_typeET4_jRbjT5_SW_jjP12ihipStream_tbEUlT_E0_NS1_11comp_targetILNS1_3genE5ELNS1_11target_archE942ELNS1_3gpuE9ELNS1_3repE0EEENS1_60segmented_radix_sort_warp_sort_medium_config_static_selectorELNS0_4arch9wavefront6targetE1EEEvSK_.uses_flat_scratch, 0
	.set _ZN7rocprim17ROCPRIM_400000_NS6detail17trampoline_kernelINS0_14default_configENS1_36segmented_radix_sort_config_selectorIflEEZNS1_25segmented_radix_sort_implIS3_Lb1EPKfPfPKlPlN2at6native12_GLOBAL__N_18offset_tEEE10hipError_tPvRmT1_PNSt15iterator_traitsISK_E10value_typeET2_T3_PNSL_ISQ_E10value_typeET4_jRbjT5_SW_jjP12ihipStream_tbEUlT_E0_NS1_11comp_targetILNS1_3genE5ELNS1_11target_archE942ELNS1_3gpuE9ELNS1_3repE0EEENS1_60segmented_radix_sort_warp_sort_medium_config_static_selectorELNS0_4arch9wavefront6targetE1EEEvSK_.has_dyn_sized_stack, 0
	.set _ZN7rocprim17ROCPRIM_400000_NS6detail17trampoline_kernelINS0_14default_configENS1_36segmented_radix_sort_config_selectorIflEEZNS1_25segmented_radix_sort_implIS3_Lb1EPKfPfPKlPlN2at6native12_GLOBAL__N_18offset_tEEE10hipError_tPvRmT1_PNSt15iterator_traitsISK_E10value_typeET2_T3_PNSL_ISQ_E10value_typeET4_jRbjT5_SW_jjP12ihipStream_tbEUlT_E0_NS1_11comp_targetILNS1_3genE5ELNS1_11target_archE942ELNS1_3gpuE9ELNS1_3repE0EEENS1_60segmented_radix_sort_warp_sort_medium_config_static_selectorELNS0_4arch9wavefront6targetE1EEEvSK_.has_recursion, 0
	.set _ZN7rocprim17ROCPRIM_400000_NS6detail17trampoline_kernelINS0_14default_configENS1_36segmented_radix_sort_config_selectorIflEEZNS1_25segmented_radix_sort_implIS3_Lb1EPKfPfPKlPlN2at6native12_GLOBAL__N_18offset_tEEE10hipError_tPvRmT1_PNSt15iterator_traitsISK_E10value_typeET2_T3_PNSL_ISQ_E10value_typeET4_jRbjT5_SW_jjP12ihipStream_tbEUlT_E0_NS1_11comp_targetILNS1_3genE5ELNS1_11target_archE942ELNS1_3gpuE9ELNS1_3repE0EEENS1_60segmented_radix_sort_warp_sort_medium_config_static_selectorELNS0_4arch9wavefront6targetE1EEEvSK_.has_indirect_call, 0
	.section	.AMDGPU.csdata,"",@progbits
; Kernel info:
; codeLenInByte = 0
; TotalNumSgprs: 4
; NumVgprs: 0
; ScratchSize: 0
; MemoryBound: 0
; FloatMode: 240
; IeeeMode: 1
; LDSByteSize: 0 bytes/workgroup (compile time only)
; SGPRBlocks: 0
; VGPRBlocks: 0
; NumSGPRsForWavesPerEU: 4
; NumVGPRsForWavesPerEU: 1
; Occupancy: 10
; WaveLimiterHint : 0
; COMPUTE_PGM_RSRC2:SCRATCH_EN: 0
; COMPUTE_PGM_RSRC2:USER_SGPR: 6
; COMPUTE_PGM_RSRC2:TRAP_HANDLER: 0
; COMPUTE_PGM_RSRC2:TGID_X_EN: 1
; COMPUTE_PGM_RSRC2:TGID_Y_EN: 0
; COMPUTE_PGM_RSRC2:TGID_Z_EN: 0
; COMPUTE_PGM_RSRC2:TIDIG_COMP_CNT: 0
	.section	.text._ZN7rocprim17ROCPRIM_400000_NS6detail17trampoline_kernelINS0_14default_configENS1_36segmented_radix_sort_config_selectorIflEEZNS1_25segmented_radix_sort_implIS3_Lb1EPKfPfPKlPlN2at6native12_GLOBAL__N_18offset_tEEE10hipError_tPvRmT1_PNSt15iterator_traitsISK_E10value_typeET2_T3_PNSL_ISQ_E10value_typeET4_jRbjT5_SW_jjP12ihipStream_tbEUlT_E0_NS1_11comp_targetILNS1_3genE4ELNS1_11target_archE910ELNS1_3gpuE8ELNS1_3repE0EEENS1_60segmented_radix_sort_warp_sort_medium_config_static_selectorELNS0_4arch9wavefront6targetE1EEEvSK_,"axG",@progbits,_ZN7rocprim17ROCPRIM_400000_NS6detail17trampoline_kernelINS0_14default_configENS1_36segmented_radix_sort_config_selectorIflEEZNS1_25segmented_radix_sort_implIS3_Lb1EPKfPfPKlPlN2at6native12_GLOBAL__N_18offset_tEEE10hipError_tPvRmT1_PNSt15iterator_traitsISK_E10value_typeET2_T3_PNSL_ISQ_E10value_typeET4_jRbjT5_SW_jjP12ihipStream_tbEUlT_E0_NS1_11comp_targetILNS1_3genE4ELNS1_11target_archE910ELNS1_3gpuE8ELNS1_3repE0EEENS1_60segmented_radix_sort_warp_sort_medium_config_static_selectorELNS0_4arch9wavefront6targetE1EEEvSK_,comdat
	.globl	_ZN7rocprim17ROCPRIM_400000_NS6detail17trampoline_kernelINS0_14default_configENS1_36segmented_radix_sort_config_selectorIflEEZNS1_25segmented_radix_sort_implIS3_Lb1EPKfPfPKlPlN2at6native12_GLOBAL__N_18offset_tEEE10hipError_tPvRmT1_PNSt15iterator_traitsISK_E10value_typeET2_T3_PNSL_ISQ_E10value_typeET4_jRbjT5_SW_jjP12ihipStream_tbEUlT_E0_NS1_11comp_targetILNS1_3genE4ELNS1_11target_archE910ELNS1_3gpuE8ELNS1_3repE0EEENS1_60segmented_radix_sort_warp_sort_medium_config_static_selectorELNS0_4arch9wavefront6targetE1EEEvSK_ ; -- Begin function _ZN7rocprim17ROCPRIM_400000_NS6detail17trampoline_kernelINS0_14default_configENS1_36segmented_radix_sort_config_selectorIflEEZNS1_25segmented_radix_sort_implIS3_Lb1EPKfPfPKlPlN2at6native12_GLOBAL__N_18offset_tEEE10hipError_tPvRmT1_PNSt15iterator_traitsISK_E10value_typeET2_T3_PNSL_ISQ_E10value_typeET4_jRbjT5_SW_jjP12ihipStream_tbEUlT_E0_NS1_11comp_targetILNS1_3genE4ELNS1_11target_archE910ELNS1_3gpuE8ELNS1_3repE0EEENS1_60segmented_radix_sort_warp_sort_medium_config_static_selectorELNS0_4arch9wavefront6targetE1EEEvSK_
	.p2align	8
	.type	_ZN7rocprim17ROCPRIM_400000_NS6detail17trampoline_kernelINS0_14default_configENS1_36segmented_radix_sort_config_selectorIflEEZNS1_25segmented_radix_sort_implIS3_Lb1EPKfPfPKlPlN2at6native12_GLOBAL__N_18offset_tEEE10hipError_tPvRmT1_PNSt15iterator_traitsISK_E10value_typeET2_T3_PNSL_ISQ_E10value_typeET4_jRbjT5_SW_jjP12ihipStream_tbEUlT_E0_NS1_11comp_targetILNS1_3genE4ELNS1_11target_archE910ELNS1_3gpuE8ELNS1_3repE0EEENS1_60segmented_radix_sort_warp_sort_medium_config_static_selectorELNS0_4arch9wavefront6targetE1EEEvSK_,@function
_ZN7rocprim17ROCPRIM_400000_NS6detail17trampoline_kernelINS0_14default_configENS1_36segmented_radix_sort_config_selectorIflEEZNS1_25segmented_radix_sort_implIS3_Lb1EPKfPfPKlPlN2at6native12_GLOBAL__N_18offset_tEEE10hipError_tPvRmT1_PNSt15iterator_traitsISK_E10value_typeET2_T3_PNSL_ISQ_E10value_typeET4_jRbjT5_SW_jjP12ihipStream_tbEUlT_E0_NS1_11comp_targetILNS1_3genE4ELNS1_11target_archE910ELNS1_3gpuE8ELNS1_3repE0EEENS1_60segmented_radix_sort_warp_sort_medium_config_static_selectorELNS0_4arch9wavefront6targetE1EEEvSK_: ; @_ZN7rocprim17ROCPRIM_400000_NS6detail17trampoline_kernelINS0_14default_configENS1_36segmented_radix_sort_config_selectorIflEEZNS1_25segmented_radix_sort_implIS3_Lb1EPKfPfPKlPlN2at6native12_GLOBAL__N_18offset_tEEE10hipError_tPvRmT1_PNSt15iterator_traitsISK_E10value_typeET2_T3_PNSL_ISQ_E10value_typeET4_jRbjT5_SW_jjP12ihipStream_tbEUlT_E0_NS1_11comp_targetILNS1_3genE4ELNS1_11target_archE910ELNS1_3gpuE8ELNS1_3repE0EEENS1_60segmented_radix_sort_warp_sort_medium_config_static_selectorELNS0_4arch9wavefront6targetE1EEEvSK_
; %bb.0:
	.section	.rodata,"a",@progbits
	.p2align	6, 0x0
	.amdhsa_kernel _ZN7rocprim17ROCPRIM_400000_NS6detail17trampoline_kernelINS0_14default_configENS1_36segmented_radix_sort_config_selectorIflEEZNS1_25segmented_radix_sort_implIS3_Lb1EPKfPfPKlPlN2at6native12_GLOBAL__N_18offset_tEEE10hipError_tPvRmT1_PNSt15iterator_traitsISK_E10value_typeET2_T3_PNSL_ISQ_E10value_typeET4_jRbjT5_SW_jjP12ihipStream_tbEUlT_E0_NS1_11comp_targetILNS1_3genE4ELNS1_11target_archE910ELNS1_3gpuE8ELNS1_3repE0EEENS1_60segmented_radix_sort_warp_sort_medium_config_static_selectorELNS0_4arch9wavefront6targetE1EEEvSK_
		.amdhsa_group_segment_fixed_size 0
		.amdhsa_private_segment_fixed_size 0
		.amdhsa_kernarg_size 88
		.amdhsa_user_sgpr_count 6
		.amdhsa_user_sgpr_private_segment_buffer 1
		.amdhsa_user_sgpr_dispatch_ptr 0
		.amdhsa_user_sgpr_queue_ptr 0
		.amdhsa_user_sgpr_kernarg_segment_ptr 1
		.amdhsa_user_sgpr_dispatch_id 0
		.amdhsa_user_sgpr_flat_scratch_init 0
		.amdhsa_user_sgpr_private_segment_size 0
		.amdhsa_uses_dynamic_stack 0
		.amdhsa_system_sgpr_private_segment_wavefront_offset 0
		.amdhsa_system_sgpr_workgroup_id_x 1
		.amdhsa_system_sgpr_workgroup_id_y 0
		.amdhsa_system_sgpr_workgroup_id_z 0
		.amdhsa_system_sgpr_workgroup_info 0
		.amdhsa_system_vgpr_workitem_id 0
		.amdhsa_next_free_vgpr 1
		.amdhsa_next_free_sgpr 0
		.amdhsa_reserve_vcc 0
		.amdhsa_reserve_flat_scratch 0
		.amdhsa_float_round_mode_32 0
		.amdhsa_float_round_mode_16_64 0
		.amdhsa_float_denorm_mode_32 3
		.amdhsa_float_denorm_mode_16_64 3
		.amdhsa_dx10_clamp 1
		.amdhsa_ieee_mode 1
		.amdhsa_fp16_overflow 0
		.amdhsa_exception_fp_ieee_invalid_op 0
		.amdhsa_exception_fp_denorm_src 0
		.amdhsa_exception_fp_ieee_div_zero 0
		.amdhsa_exception_fp_ieee_overflow 0
		.amdhsa_exception_fp_ieee_underflow 0
		.amdhsa_exception_fp_ieee_inexact 0
		.amdhsa_exception_int_div_zero 0
	.end_amdhsa_kernel
	.section	.text._ZN7rocprim17ROCPRIM_400000_NS6detail17trampoline_kernelINS0_14default_configENS1_36segmented_radix_sort_config_selectorIflEEZNS1_25segmented_radix_sort_implIS3_Lb1EPKfPfPKlPlN2at6native12_GLOBAL__N_18offset_tEEE10hipError_tPvRmT1_PNSt15iterator_traitsISK_E10value_typeET2_T3_PNSL_ISQ_E10value_typeET4_jRbjT5_SW_jjP12ihipStream_tbEUlT_E0_NS1_11comp_targetILNS1_3genE4ELNS1_11target_archE910ELNS1_3gpuE8ELNS1_3repE0EEENS1_60segmented_radix_sort_warp_sort_medium_config_static_selectorELNS0_4arch9wavefront6targetE1EEEvSK_,"axG",@progbits,_ZN7rocprim17ROCPRIM_400000_NS6detail17trampoline_kernelINS0_14default_configENS1_36segmented_radix_sort_config_selectorIflEEZNS1_25segmented_radix_sort_implIS3_Lb1EPKfPfPKlPlN2at6native12_GLOBAL__N_18offset_tEEE10hipError_tPvRmT1_PNSt15iterator_traitsISK_E10value_typeET2_T3_PNSL_ISQ_E10value_typeET4_jRbjT5_SW_jjP12ihipStream_tbEUlT_E0_NS1_11comp_targetILNS1_3genE4ELNS1_11target_archE910ELNS1_3gpuE8ELNS1_3repE0EEENS1_60segmented_radix_sort_warp_sort_medium_config_static_selectorELNS0_4arch9wavefront6targetE1EEEvSK_,comdat
.Lfunc_end1337:
	.size	_ZN7rocprim17ROCPRIM_400000_NS6detail17trampoline_kernelINS0_14default_configENS1_36segmented_radix_sort_config_selectorIflEEZNS1_25segmented_radix_sort_implIS3_Lb1EPKfPfPKlPlN2at6native12_GLOBAL__N_18offset_tEEE10hipError_tPvRmT1_PNSt15iterator_traitsISK_E10value_typeET2_T3_PNSL_ISQ_E10value_typeET4_jRbjT5_SW_jjP12ihipStream_tbEUlT_E0_NS1_11comp_targetILNS1_3genE4ELNS1_11target_archE910ELNS1_3gpuE8ELNS1_3repE0EEENS1_60segmented_radix_sort_warp_sort_medium_config_static_selectorELNS0_4arch9wavefront6targetE1EEEvSK_, .Lfunc_end1337-_ZN7rocprim17ROCPRIM_400000_NS6detail17trampoline_kernelINS0_14default_configENS1_36segmented_radix_sort_config_selectorIflEEZNS1_25segmented_radix_sort_implIS3_Lb1EPKfPfPKlPlN2at6native12_GLOBAL__N_18offset_tEEE10hipError_tPvRmT1_PNSt15iterator_traitsISK_E10value_typeET2_T3_PNSL_ISQ_E10value_typeET4_jRbjT5_SW_jjP12ihipStream_tbEUlT_E0_NS1_11comp_targetILNS1_3genE4ELNS1_11target_archE910ELNS1_3gpuE8ELNS1_3repE0EEENS1_60segmented_radix_sort_warp_sort_medium_config_static_selectorELNS0_4arch9wavefront6targetE1EEEvSK_
                                        ; -- End function
	.set _ZN7rocprim17ROCPRIM_400000_NS6detail17trampoline_kernelINS0_14default_configENS1_36segmented_radix_sort_config_selectorIflEEZNS1_25segmented_radix_sort_implIS3_Lb1EPKfPfPKlPlN2at6native12_GLOBAL__N_18offset_tEEE10hipError_tPvRmT1_PNSt15iterator_traitsISK_E10value_typeET2_T3_PNSL_ISQ_E10value_typeET4_jRbjT5_SW_jjP12ihipStream_tbEUlT_E0_NS1_11comp_targetILNS1_3genE4ELNS1_11target_archE910ELNS1_3gpuE8ELNS1_3repE0EEENS1_60segmented_radix_sort_warp_sort_medium_config_static_selectorELNS0_4arch9wavefront6targetE1EEEvSK_.num_vgpr, 0
	.set _ZN7rocprim17ROCPRIM_400000_NS6detail17trampoline_kernelINS0_14default_configENS1_36segmented_radix_sort_config_selectorIflEEZNS1_25segmented_radix_sort_implIS3_Lb1EPKfPfPKlPlN2at6native12_GLOBAL__N_18offset_tEEE10hipError_tPvRmT1_PNSt15iterator_traitsISK_E10value_typeET2_T3_PNSL_ISQ_E10value_typeET4_jRbjT5_SW_jjP12ihipStream_tbEUlT_E0_NS1_11comp_targetILNS1_3genE4ELNS1_11target_archE910ELNS1_3gpuE8ELNS1_3repE0EEENS1_60segmented_radix_sort_warp_sort_medium_config_static_selectorELNS0_4arch9wavefront6targetE1EEEvSK_.num_agpr, 0
	.set _ZN7rocprim17ROCPRIM_400000_NS6detail17trampoline_kernelINS0_14default_configENS1_36segmented_radix_sort_config_selectorIflEEZNS1_25segmented_radix_sort_implIS3_Lb1EPKfPfPKlPlN2at6native12_GLOBAL__N_18offset_tEEE10hipError_tPvRmT1_PNSt15iterator_traitsISK_E10value_typeET2_T3_PNSL_ISQ_E10value_typeET4_jRbjT5_SW_jjP12ihipStream_tbEUlT_E0_NS1_11comp_targetILNS1_3genE4ELNS1_11target_archE910ELNS1_3gpuE8ELNS1_3repE0EEENS1_60segmented_radix_sort_warp_sort_medium_config_static_selectorELNS0_4arch9wavefront6targetE1EEEvSK_.numbered_sgpr, 0
	.set _ZN7rocprim17ROCPRIM_400000_NS6detail17trampoline_kernelINS0_14default_configENS1_36segmented_radix_sort_config_selectorIflEEZNS1_25segmented_radix_sort_implIS3_Lb1EPKfPfPKlPlN2at6native12_GLOBAL__N_18offset_tEEE10hipError_tPvRmT1_PNSt15iterator_traitsISK_E10value_typeET2_T3_PNSL_ISQ_E10value_typeET4_jRbjT5_SW_jjP12ihipStream_tbEUlT_E0_NS1_11comp_targetILNS1_3genE4ELNS1_11target_archE910ELNS1_3gpuE8ELNS1_3repE0EEENS1_60segmented_radix_sort_warp_sort_medium_config_static_selectorELNS0_4arch9wavefront6targetE1EEEvSK_.num_named_barrier, 0
	.set _ZN7rocprim17ROCPRIM_400000_NS6detail17trampoline_kernelINS0_14default_configENS1_36segmented_radix_sort_config_selectorIflEEZNS1_25segmented_radix_sort_implIS3_Lb1EPKfPfPKlPlN2at6native12_GLOBAL__N_18offset_tEEE10hipError_tPvRmT1_PNSt15iterator_traitsISK_E10value_typeET2_T3_PNSL_ISQ_E10value_typeET4_jRbjT5_SW_jjP12ihipStream_tbEUlT_E0_NS1_11comp_targetILNS1_3genE4ELNS1_11target_archE910ELNS1_3gpuE8ELNS1_3repE0EEENS1_60segmented_radix_sort_warp_sort_medium_config_static_selectorELNS0_4arch9wavefront6targetE1EEEvSK_.private_seg_size, 0
	.set _ZN7rocprim17ROCPRIM_400000_NS6detail17trampoline_kernelINS0_14default_configENS1_36segmented_radix_sort_config_selectorIflEEZNS1_25segmented_radix_sort_implIS3_Lb1EPKfPfPKlPlN2at6native12_GLOBAL__N_18offset_tEEE10hipError_tPvRmT1_PNSt15iterator_traitsISK_E10value_typeET2_T3_PNSL_ISQ_E10value_typeET4_jRbjT5_SW_jjP12ihipStream_tbEUlT_E0_NS1_11comp_targetILNS1_3genE4ELNS1_11target_archE910ELNS1_3gpuE8ELNS1_3repE0EEENS1_60segmented_radix_sort_warp_sort_medium_config_static_selectorELNS0_4arch9wavefront6targetE1EEEvSK_.uses_vcc, 0
	.set _ZN7rocprim17ROCPRIM_400000_NS6detail17trampoline_kernelINS0_14default_configENS1_36segmented_radix_sort_config_selectorIflEEZNS1_25segmented_radix_sort_implIS3_Lb1EPKfPfPKlPlN2at6native12_GLOBAL__N_18offset_tEEE10hipError_tPvRmT1_PNSt15iterator_traitsISK_E10value_typeET2_T3_PNSL_ISQ_E10value_typeET4_jRbjT5_SW_jjP12ihipStream_tbEUlT_E0_NS1_11comp_targetILNS1_3genE4ELNS1_11target_archE910ELNS1_3gpuE8ELNS1_3repE0EEENS1_60segmented_radix_sort_warp_sort_medium_config_static_selectorELNS0_4arch9wavefront6targetE1EEEvSK_.uses_flat_scratch, 0
	.set _ZN7rocprim17ROCPRIM_400000_NS6detail17trampoline_kernelINS0_14default_configENS1_36segmented_radix_sort_config_selectorIflEEZNS1_25segmented_radix_sort_implIS3_Lb1EPKfPfPKlPlN2at6native12_GLOBAL__N_18offset_tEEE10hipError_tPvRmT1_PNSt15iterator_traitsISK_E10value_typeET2_T3_PNSL_ISQ_E10value_typeET4_jRbjT5_SW_jjP12ihipStream_tbEUlT_E0_NS1_11comp_targetILNS1_3genE4ELNS1_11target_archE910ELNS1_3gpuE8ELNS1_3repE0EEENS1_60segmented_radix_sort_warp_sort_medium_config_static_selectorELNS0_4arch9wavefront6targetE1EEEvSK_.has_dyn_sized_stack, 0
	.set _ZN7rocprim17ROCPRIM_400000_NS6detail17trampoline_kernelINS0_14default_configENS1_36segmented_radix_sort_config_selectorIflEEZNS1_25segmented_radix_sort_implIS3_Lb1EPKfPfPKlPlN2at6native12_GLOBAL__N_18offset_tEEE10hipError_tPvRmT1_PNSt15iterator_traitsISK_E10value_typeET2_T3_PNSL_ISQ_E10value_typeET4_jRbjT5_SW_jjP12ihipStream_tbEUlT_E0_NS1_11comp_targetILNS1_3genE4ELNS1_11target_archE910ELNS1_3gpuE8ELNS1_3repE0EEENS1_60segmented_radix_sort_warp_sort_medium_config_static_selectorELNS0_4arch9wavefront6targetE1EEEvSK_.has_recursion, 0
	.set _ZN7rocprim17ROCPRIM_400000_NS6detail17trampoline_kernelINS0_14default_configENS1_36segmented_radix_sort_config_selectorIflEEZNS1_25segmented_radix_sort_implIS3_Lb1EPKfPfPKlPlN2at6native12_GLOBAL__N_18offset_tEEE10hipError_tPvRmT1_PNSt15iterator_traitsISK_E10value_typeET2_T3_PNSL_ISQ_E10value_typeET4_jRbjT5_SW_jjP12ihipStream_tbEUlT_E0_NS1_11comp_targetILNS1_3genE4ELNS1_11target_archE910ELNS1_3gpuE8ELNS1_3repE0EEENS1_60segmented_radix_sort_warp_sort_medium_config_static_selectorELNS0_4arch9wavefront6targetE1EEEvSK_.has_indirect_call, 0
	.section	.AMDGPU.csdata,"",@progbits
; Kernel info:
; codeLenInByte = 0
; TotalNumSgprs: 4
; NumVgprs: 0
; ScratchSize: 0
; MemoryBound: 0
; FloatMode: 240
; IeeeMode: 1
; LDSByteSize: 0 bytes/workgroup (compile time only)
; SGPRBlocks: 0
; VGPRBlocks: 0
; NumSGPRsForWavesPerEU: 4
; NumVGPRsForWavesPerEU: 1
; Occupancy: 10
; WaveLimiterHint : 0
; COMPUTE_PGM_RSRC2:SCRATCH_EN: 0
; COMPUTE_PGM_RSRC2:USER_SGPR: 6
; COMPUTE_PGM_RSRC2:TRAP_HANDLER: 0
; COMPUTE_PGM_RSRC2:TGID_X_EN: 1
; COMPUTE_PGM_RSRC2:TGID_Y_EN: 0
; COMPUTE_PGM_RSRC2:TGID_Z_EN: 0
; COMPUTE_PGM_RSRC2:TIDIG_COMP_CNT: 0
	.section	.text._ZN7rocprim17ROCPRIM_400000_NS6detail17trampoline_kernelINS0_14default_configENS1_36segmented_radix_sort_config_selectorIflEEZNS1_25segmented_radix_sort_implIS3_Lb1EPKfPfPKlPlN2at6native12_GLOBAL__N_18offset_tEEE10hipError_tPvRmT1_PNSt15iterator_traitsISK_E10value_typeET2_T3_PNSL_ISQ_E10value_typeET4_jRbjT5_SW_jjP12ihipStream_tbEUlT_E0_NS1_11comp_targetILNS1_3genE3ELNS1_11target_archE908ELNS1_3gpuE7ELNS1_3repE0EEENS1_60segmented_radix_sort_warp_sort_medium_config_static_selectorELNS0_4arch9wavefront6targetE1EEEvSK_,"axG",@progbits,_ZN7rocprim17ROCPRIM_400000_NS6detail17trampoline_kernelINS0_14default_configENS1_36segmented_radix_sort_config_selectorIflEEZNS1_25segmented_radix_sort_implIS3_Lb1EPKfPfPKlPlN2at6native12_GLOBAL__N_18offset_tEEE10hipError_tPvRmT1_PNSt15iterator_traitsISK_E10value_typeET2_T3_PNSL_ISQ_E10value_typeET4_jRbjT5_SW_jjP12ihipStream_tbEUlT_E0_NS1_11comp_targetILNS1_3genE3ELNS1_11target_archE908ELNS1_3gpuE7ELNS1_3repE0EEENS1_60segmented_radix_sort_warp_sort_medium_config_static_selectorELNS0_4arch9wavefront6targetE1EEEvSK_,comdat
	.globl	_ZN7rocprim17ROCPRIM_400000_NS6detail17trampoline_kernelINS0_14default_configENS1_36segmented_radix_sort_config_selectorIflEEZNS1_25segmented_radix_sort_implIS3_Lb1EPKfPfPKlPlN2at6native12_GLOBAL__N_18offset_tEEE10hipError_tPvRmT1_PNSt15iterator_traitsISK_E10value_typeET2_T3_PNSL_ISQ_E10value_typeET4_jRbjT5_SW_jjP12ihipStream_tbEUlT_E0_NS1_11comp_targetILNS1_3genE3ELNS1_11target_archE908ELNS1_3gpuE7ELNS1_3repE0EEENS1_60segmented_radix_sort_warp_sort_medium_config_static_selectorELNS0_4arch9wavefront6targetE1EEEvSK_ ; -- Begin function _ZN7rocprim17ROCPRIM_400000_NS6detail17trampoline_kernelINS0_14default_configENS1_36segmented_radix_sort_config_selectorIflEEZNS1_25segmented_radix_sort_implIS3_Lb1EPKfPfPKlPlN2at6native12_GLOBAL__N_18offset_tEEE10hipError_tPvRmT1_PNSt15iterator_traitsISK_E10value_typeET2_T3_PNSL_ISQ_E10value_typeET4_jRbjT5_SW_jjP12ihipStream_tbEUlT_E0_NS1_11comp_targetILNS1_3genE3ELNS1_11target_archE908ELNS1_3gpuE7ELNS1_3repE0EEENS1_60segmented_radix_sort_warp_sort_medium_config_static_selectorELNS0_4arch9wavefront6targetE1EEEvSK_
	.p2align	8
	.type	_ZN7rocprim17ROCPRIM_400000_NS6detail17trampoline_kernelINS0_14default_configENS1_36segmented_radix_sort_config_selectorIflEEZNS1_25segmented_radix_sort_implIS3_Lb1EPKfPfPKlPlN2at6native12_GLOBAL__N_18offset_tEEE10hipError_tPvRmT1_PNSt15iterator_traitsISK_E10value_typeET2_T3_PNSL_ISQ_E10value_typeET4_jRbjT5_SW_jjP12ihipStream_tbEUlT_E0_NS1_11comp_targetILNS1_3genE3ELNS1_11target_archE908ELNS1_3gpuE7ELNS1_3repE0EEENS1_60segmented_radix_sort_warp_sort_medium_config_static_selectorELNS0_4arch9wavefront6targetE1EEEvSK_,@function
_ZN7rocprim17ROCPRIM_400000_NS6detail17trampoline_kernelINS0_14default_configENS1_36segmented_radix_sort_config_selectorIflEEZNS1_25segmented_radix_sort_implIS3_Lb1EPKfPfPKlPlN2at6native12_GLOBAL__N_18offset_tEEE10hipError_tPvRmT1_PNSt15iterator_traitsISK_E10value_typeET2_T3_PNSL_ISQ_E10value_typeET4_jRbjT5_SW_jjP12ihipStream_tbEUlT_E0_NS1_11comp_targetILNS1_3genE3ELNS1_11target_archE908ELNS1_3gpuE7ELNS1_3repE0EEENS1_60segmented_radix_sort_warp_sort_medium_config_static_selectorELNS0_4arch9wavefront6targetE1EEEvSK_: ; @_ZN7rocprim17ROCPRIM_400000_NS6detail17trampoline_kernelINS0_14default_configENS1_36segmented_radix_sort_config_selectorIflEEZNS1_25segmented_radix_sort_implIS3_Lb1EPKfPfPKlPlN2at6native12_GLOBAL__N_18offset_tEEE10hipError_tPvRmT1_PNSt15iterator_traitsISK_E10value_typeET2_T3_PNSL_ISQ_E10value_typeET4_jRbjT5_SW_jjP12ihipStream_tbEUlT_E0_NS1_11comp_targetILNS1_3genE3ELNS1_11target_archE908ELNS1_3gpuE7ELNS1_3repE0EEENS1_60segmented_radix_sort_warp_sort_medium_config_static_selectorELNS0_4arch9wavefront6targetE1EEEvSK_
; %bb.0:
	.section	.rodata,"a",@progbits
	.p2align	6, 0x0
	.amdhsa_kernel _ZN7rocprim17ROCPRIM_400000_NS6detail17trampoline_kernelINS0_14default_configENS1_36segmented_radix_sort_config_selectorIflEEZNS1_25segmented_radix_sort_implIS3_Lb1EPKfPfPKlPlN2at6native12_GLOBAL__N_18offset_tEEE10hipError_tPvRmT1_PNSt15iterator_traitsISK_E10value_typeET2_T3_PNSL_ISQ_E10value_typeET4_jRbjT5_SW_jjP12ihipStream_tbEUlT_E0_NS1_11comp_targetILNS1_3genE3ELNS1_11target_archE908ELNS1_3gpuE7ELNS1_3repE0EEENS1_60segmented_radix_sort_warp_sort_medium_config_static_selectorELNS0_4arch9wavefront6targetE1EEEvSK_
		.amdhsa_group_segment_fixed_size 0
		.amdhsa_private_segment_fixed_size 0
		.amdhsa_kernarg_size 88
		.amdhsa_user_sgpr_count 6
		.amdhsa_user_sgpr_private_segment_buffer 1
		.amdhsa_user_sgpr_dispatch_ptr 0
		.amdhsa_user_sgpr_queue_ptr 0
		.amdhsa_user_sgpr_kernarg_segment_ptr 1
		.amdhsa_user_sgpr_dispatch_id 0
		.amdhsa_user_sgpr_flat_scratch_init 0
		.amdhsa_user_sgpr_private_segment_size 0
		.amdhsa_uses_dynamic_stack 0
		.amdhsa_system_sgpr_private_segment_wavefront_offset 0
		.amdhsa_system_sgpr_workgroup_id_x 1
		.amdhsa_system_sgpr_workgroup_id_y 0
		.amdhsa_system_sgpr_workgroup_id_z 0
		.amdhsa_system_sgpr_workgroup_info 0
		.amdhsa_system_vgpr_workitem_id 0
		.amdhsa_next_free_vgpr 1
		.amdhsa_next_free_sgpr 0
		.amdhsa_reserve_vcc 0
		.amdhsa_reserve_flat_scratch 0
		.amdhsa_float_round_mode_32 0
		.amdhsa_float_round_mode_16_64 0
		.amdhsa_float_denorm_mode_32 3
		.amdhsa_float_denorm_mode_16_64 3
		.amdhsa_dx10_clamp 1
		.amdhsa_ieee_mode 1
		.amdhsa_fp16_overflow 0
		.amdhsa_exception_fp_ieee_invalid_op 0
		.amdhsa_exception_fp_denorm_src 0
		.amdhsa_exception_fp_ieee_div_zero 0
		.amdhsa_exception_fp_ieee_overflow 0
		.amdhsa_exception_fp_ieee_underflow 0
		.amdhsa_exception_fp_ieee_inexact 0
		.amdhsa_exception_int_div_zero 0
	.end_amdhsa_kernel
	.section	.text._ZN7rocprim17ROCPRIM_400000_NS6detail17trampoline_kernelINS0_14default_configENS1_36segmented_radix_sort_config_selectorIflEEZNS1_25segmented_radix_sort_implIS3_Lb1EPKfPfPKlPlN2at6native12_GLOBAL__N_18offset_tEEE10hipError_tPvRmT1_PNSt15iterator_traitsISK_E10value_typeET2_T3_PNSL_ISQ_E10value_typeET4_jRbjT5_SW_jjP12ihipStream_tbEUlT_E0_NS1_11comp_targetILNS1_3genE3ELNS1_11target_archE908ELNS1_3gpuE7ELNS1_3repE0EEENS1_60segmented_radix_sort_warp_sort_medium_config_static_selectorELNS0_4arch9wavefront6targetE1EEEvSK_,"axG",@progbits,_ZN7rocprim17ROCPRIM_400000_NS6detail17trampoline_kernelINS0_14default_configENS1_36segmented_radix_sort_config_selectorIflEEZNS1_25segmented_radix_sort_implIS3_Lb1EPKfPfPKlPlN2at6native12_GLOBAL__N_18offset_tEEE10hipError_tPvRmT1_PNSt15iterator_traitsISK_E10value_typeET2_T3_PNSL_ISQ_E10value_typeET4_jRbjT5_SW_jjP12ihipStream_tbEUlT_E0_NS1_11comp_targetILNS1_3genE3ELNS1_11target_archE908ELNS1_3gpuE7ELNS1_3repE0EEENS1_60segmented_radix_sort_warp_sort_medium_config_static_selectorELNS0_4arch9wavefront6targetE1EEEvSK_,comdat
.Lfunc_end1338:
	.size	_ZN7rocprim17ROCPRIM_400000_NS6detail17trampoline_kernelINS0_14default_configENS1_36segmented_radix_sort_config_selectorIflEEZNS1_25segmented_radix_sort_implIS3_Lb1EPKfPfPKlPlN2at6native12_GLOBAL__N_18offset_tEEE10hipError_tPvRmT1_PNSt15iterator_traitsISK_E10value_typeET2_T3_PNSL_ISQ_E10value_typeET4_jRbjT5_SW_jjP12ihipStream_tbEUlT_E0_NS1_11comp_targetILNS1_3genE3ELNS1_11target_archE908ELNS1_3gpuE7ELNS1_3repE0EEENS1_60segmented_radix_sort_warp_sort_medium_config_static_selectorELNS0_4arch9wavefront6targetE1EEEvSK_, .Lfunc_end1338-_ZN7rocprim17ROCPRIM_400000_NS6detail17trampoline_kernelINS0_14default_configENS1_36segmented_radix_sort_config_selectorIflEEZNS1_25segmented_radix_sort_implIS3_Lb1EPKfPfPKlPlN2at6native12_GLOBAL__N_18offset_tEEE10hipError_tPvRmT1_PNSt15iterator_traitsISK_E10value_typeET2_T3_PNSL_ISQ_E10value_typeET4_jRbjT5_SW_jjP12ihipStream_tbEUlT_E0_NS1_11comp_targetILNS1_3genE3ELNS1_11target_archE908ELNS1_3gpuE7ELNS1_3repE0EEENS1_60segmented_radix_sort_warp_sort_medium_config_static_selectorELNS0_4arch9wavefront6targetE1EEEvSK_
                                        ; -- End function
	.set _ZN7rocprim17ROCPRIM_400000_NS6detail17trampoline_kernelINS0_14default_configENS1_36segmented_radix_sort_config_selectorIflEEZNS1_25segmented_radix_sort_implIS3_Lb1EPKfPfPKlPlN2at6native12_GLOBAL__N_18offset_tEEE10hipError_tPvRmT1_PNSt15iterator_traitsISK_E10value_typeET2_T3_PNSL_ISQ_E10value_typeET4_jRbjT5_SW_jjP12ihipStream_tbEUlT_E0_NS1_11comp_targetILNS1_3genE3ELNS1_11target_archE908ELNS1_3gpuE7ELNS1_3repE0EEENS1_60segmented_radix_sort_warp_sort_medium_config_static_selectorELNS0_4arch9wavefront6targetE1EEEvSK_.num_vgpr, 0
	.set _ZN7rocprim17ROCPRIM_400000_NS6detail17trampoline_kernelINS0_14default_configENS1_36segmented_radix_sort_config_selectorIflEEZNS1_25segmented_radix_sort_implIS3_Lb1EPKfPfPKlPlN2at6native12_GLOBAL__N_18offset_tEEE10hipError_tPvRmT1_PNSt15iterator_traitsISK_E10value_typeET2_T3_PNSL_ISQ_E10value_typeET4_jRbjT5_SW_jjP12ihipStream_tbEUlT_E0_NS1_11comp_targetILNS1_3genE3ELNS1_11target_archE908ELNS1_3gpuE7ELNS1_3repE0EEENS1_60segmented_radix_sort_warp_sort_medium_config_static_selectorELNS0_4arch9wavefront6targetE1EEEvSK_.num_agpr, 0
	.set _ZN7rocprim17ROCPRIM_400000_NS6detail17trampoline_kernelINS0_14default_configENS1_36segmented_radix_sort_config_selectorIflEEZNS1_25segmented_radix_sort_implIS3_Lb1EPKfPfPKlPlN2at6native12_GLOBAL__N_18offset_tEEE10hipError_tPvRmT1_PNSt15iterator_traitsISK_E10value_typeET2_T3_PNSL_ISQ_E10value_typeET4_jRbjT5_SW_jjP12ihipStream_tbEUlT_E0_NS1_11comp_targetILNS1_3genE3ELNS1_11target_archE908ELNS1_3gpuE7ELNS1_3repE0EEENS1_60segmented_radix_sort_warp_sort_medium_config_static_selectorELNS0_4arch9wavefront6targetE1EEEvSK_.numbered_sgpr, 0
	.set _ZN7rocprim17ROCPRIM_400000_NS6detail17trampoline_kernelINS0_14default_configENS1_36segmented_radix_sort_config_selectorIflEEZNS1_25segmented_radix_sort_implIS3_Lb1EPKfPfPKlPlN2at6native12_GLOBAL__N_18offset_tEEE10hipError_tPvRmT1_PNSt15iterator_traitsISK_E10value_typeET2_T3_PNSL_ISQ_E10value_typeET4_jRbjT5_SW_jjP12ihipStream_tbEUlT_E0_NS1_11comp_targetILNS1_3genE3ELNS1_11target_archE908ELNS1_3gpuE7ELNS1_3repE0EEENS1_60segmented_radix_sort_warp_sort_medium_config_static_selectorELNS0_4arch9wavefront6targetE1EEEvSK_.num_named_barrier, 0
	.set _ZN7rocprim17ROCPRIM_400000_NS6detail17trampoline_kernelINS0_14default_configENS1_36segmented_radix_sort_config_selectorIflEEZNS1_25segmented_radix_sort_implIS3_Lb1EPKfPfPKlPlN2at6native12_GLOBAL__N_18offset_tEEE10hipError_tPvRmT1_PNSt15iterator_traitsISK_E10value_typeET2_T3_PNSL_ISQ_E10value_typeET4_jRbjT5_SW_jjP12ihipStream_tbEUlT_E0_NS1_11comp_targetILNS1_3genE3ELNS1_11target_archE908ELNS1_3gpuE7ELNS1_3repE0EEENS1_60segmented_radix_sort_warp_sort_medium_config_static_selectorELNS0_4arch9wavefront6targetE1EEEvSK_.private_seg_size, 0
	.set _ZN7rocprim17ROCPRIM_400000_NS6detail17trampoline_kernelINS0_14default_configENS1_36segmented_radix_sort_config_selectorIflEEZNS1_25segmented_radix_sort_implIS3_Lb1EPKfPfPKlPlN2at6native12_GLOBAL__N_18offset_tEEE10hipError_tPvRmT1_PNSt15iterator_traitsISK_E10value_typeET2_T3_PNSL_ISQ_E10value_typeET4_jRbjT5_SW_jjP12ihipStream_tbEUlT_E0_NS1_11comp_targetILNS1_3genE3ELNS1_11target_archE908ELNS1_3gpuE7ELNS1_3repE0EEENS1_60segmented_radix_sort_warp_sort_medium_config_static_selectorELNS0_4arch9wavefront6targetE1EEEvSK_.uses_vcc, 0
	.set _ZN7rocprim17ROCPRIM_400000_NS6detail17trampoline_kernelINS0_14default_configENS1_36segmented_radix_sort_config_selectorIflEEZNS1_25segmented_radix_sort_implIS3_Lb1EPKfPfPKlPlN2at6native12_GLOBAL__N_18offset_tEEE10hipError_tPvRmT1_PNSt15iterator_traitsISK_E10value_typeET2_T3_PNSL_ISQ_E10value_typeET4_jRbjT5_SW_jjP12ihipStream_tbEUlT_E0_NS1_11comp_targetILNS1_3genE3ELNS1_11target_archE908ELNS1_3gpuE7ELNS1_3repE0EEENS1_60segmented_radix_sort_warp_sort_medium_config_static_selectorELNS0_4arch9wavefront6targetE1EEEvSK_.uses_flat_scratch, 0
	.set _ZN7rocprim17ROCPRIM_400000_NS6detail17trampoline_kernelINS0_14default_configENS1_36segmented_radix_sort_config_selectorIflEEZNS1_25segmented_radix_sort_implIS3_Lb1EPKfPfPKlPlN2at6native12_GLOBAL__N_18offset_tEEE10hipError_tPvRmT1_PNSt15iterator_traitsISK_E10value_typeET2_T3_PNSL_ISQ_E10value_typeET4_jRbjT5_SW_jjP12ihipStream_tbEUlT_E0_NS1_11comp_targetILNS1_3genE3ELNS1_11target_archE908ELNS1_3gpuE7ELNS1_3repE0EEENS1_60segmented_radix_sort_warp_sort_medium_config_static_selectorELNS0_4arch9wavefront6targetE1EEEvSK_.has_dyn_sized_stack, 0
	.set _ZN7rocprim17ROCPRIM_400000_NS6detail17trampoline_kernelINS0_14default_configENS1_36segmented_radix_sort_config_selectorIflEEZNS1_25segmented_radix_sort_implIS3_Lb1EPKfPfPKlPlN2at6native12_GLOBAL__N_18offset_tEEE10hipError_tPvRmT1_PNSt15iterator_traitsISK_E10value_typeET2_T3_PNSL_ISQ_E10value_typeET4_jRbjT5_SW_jjP12ihipStream_tbEUlT_E0_NS1_11comp_targetILNS1_3genE3ELNS1_11target_archE908ELNS1_3gpuE7ELNS1_3repE0EEENS1_60segmented_radix_sort_warp_sort_medium_config_static_selectorELNS0_4arch9wavefront6targetE1EEEvSK_.has_recursion, 0
	.set _ZN7rocprim17ROCPRIM_400000_NS6detail17trampoline_kernelINS0_14default_configENS1_36segmented_radix_sort_config_selectorIflEEZNS1_25segmented_radix_sort_implIS3_Lb1EPKfPfPKlPlN2at6native12_GLOBAL__N_18offset_tEEE10hipError_tPvRmT1_PNSt15iterator_traitsISK_E10value_typeET2_T3_PNSL_ISQ_E10value_typeET4_jRbjT5_SW_jjP12ihipStream_tbEUlT_E0_NS1_11comp_targetILNS1_3genE3ELNS1_11target_archE908ELNS1_3gpuE7ELNS1_3repE0EEENS1_60segmented_radix_sort_warp_sort_medium_config_static_selectorELNS0_4arch9wavefront6targetE1EEEvSK_.has_indirect_call, 0
	.section	.AMDGPU.csdata,"",@progbits
; Kernel info:
; codeLenInByte = 0
; TotalNumSgprs: 4
; NumVgprs: 0
; ScratchSize: 0
; MemoryBound: 0
; FloatMode: 240
; IeeeMode: 1
; LDSByteSize: 0 bytes/workgroup (compile time only)
; SGPRBlocks: 0
; VGPRBlocks: 0
; NumSGPRsForWavesPerEU: 4
; NumVGPRsForWavesPerEU: 1
; Occupancy: 10
; WaveLimiterHint : 0
; COMPUTE_PGM_RSRC2:SCRATCH_EN: 0
; COMPUTE_PGM_RSRC2:USER_SGPR: 6
; COMPUTE_PGM_RSRC2:TRAP_HANDLER: 0
; COMPUTE_PGM_RSRC2:TGID_X_EN: 1
; COMPUTE_PGM_RSRC2:TGID_Y_EN: 0
; COMPUTE_PGM_RSRC2:TGID_Z_EN: 0
; COMPUTE_PGM_RSRC2:TIDIG_COMP_CNT: 0
	.text
	.p2align	2                               ; -- Begin function _ZN7rocprim17ROCPRIM_400000_NS6detail26segmented_warp_sort_helperINS1_20WarpSortHelperConfigILj16ELj8ELj256EEEflLi256ELb1EvE4sortIPKfPfPKlPlEEvT_T0_T1_T2_jjjjRNS5_12storage_typeE
	.type	_ZN7rocprim17ROCPRIM_400000_NS6detail26segmented_warp_sort_helperINS1_20WarpSortHelperConfigILj16ELj8ELj256EEEflLi256ELb1EvE4sortIPKfPfPKlPlEEvT_T0_T1_T2_jjjjRNS5_12storage_typeE,@function
_ZN7rocprim17ROCPRIM_400000_NS6detail26segmented_warp_sort_helperINS1_20WarpSortHelperConfigILj16ELj8ELj256EEEflLi256ELb1EvE4sortIPKfPfPKlPlEEvT_T0_T1_T2_jjjjRNS5_12storage_typeE: ; @_ZN7rocprim17ROCPRIM_400000_NS6detail26segmented_warp_sort_helperINS1_20WarpSortHelperConfigILj16ELj8ELj256EEEflLi256ELb1EvE4sortIPKfPfPKlPlEEvT_T0_T1_T2_jjjjRNS5_12storage_typeE
; %bb.0:
	s_waitcnt vmcnt(0) expcnt(0) lgkmcnt(0)
	v_sub_u32_e32 v12, v9, v8
	v_mov_b32_e32 v9, 0
	v_mbcnt_lo_u32_b32 v13, -1, 0
	v_lshlrev_b64 v[10:11], 2, v[8:9]
	v_mbcnt_hi_u32_b32 v13, -1, v13
	v_lshlrev_b32_e32 v49, 3, v13
	v_add_co_u32_e32 v0, vcc, v0, v10
	v_and_b32_e32 v48, 0x78, v49
	v_addc_co_u32_e32 v1, vcc, v1, v11, vcc
	v_lshlrev_b32_e32 v38, 2, v48
	v_add_co_u32_e32 v0, vcc, v0, v38
	v_addc_co_u32_e32 v1, vcc, 0, v1, vcc
	v_cmp_lt_u32_e32 vcc, v48, v12
	v_mov_b32_e32 v19, -1
	v_mov_b32_e32 v18, -1
	s_and_saveexec_b64 s[4:5], vcc
	s_cbranch_execz .LBB1339_2
; %bb.1:
	flat_load_dword v18, v[0:1]
.LBB1339_2:
	s_or_b64 exec, exec, s[4:5]
	v_or_b32_e32 v13, 1, v48
	v_cmp_lt_u32_e64 s[4:5], v13, v12
	s_and_saveexec_b64 s[6:7], s[4:5]
	s_cbranch_execz .LBB1339_4
; %bb.3:
	flat_load_dword v19, v[0:1] offset:4
.LBB1339_4:
	s_or_b64 exec, exec, s[6:7]
	v_or_b32_e32 v13, 2, v48
	v_cmp_lt_u32_e64 s[6:7], v13, v12
	v_mov_b32_e32 v29, -1
	v_mov_b32_e32 v28, -1
	s_and_saveexec_b64 s[10:11], s[6:7]
	s_cbranch_execz .LBB1339_6
; %bb.5:
	flat_load_dword v28, v[0:1] offset:8
.LBB1339_6:
	s_or_b64 exec, exec, s[10:11]
	v_or_b32_e32 v13, 3, v48
	v_cmp_lt_u32_e64 s[18:19], v13, v12
	s_and_saveexec_b64 s[10:11], s[18:19]
	s_cbranch_execz .LBB1339_8
; %bb.7:
	flat_load_dword v29, v[0:1] offset:12
.LBB1339_8:
	s_or_b64 exec, exec, s[10:11]
	v_or_b32_e32 v13, 4, v48
	v_cmp_lt_u32_e64 s[10:11], v13, v12
	v_mov_b32_e32 v27, -1
	v_mov_b32_e32 v26, -1
	s_and_saveexec_b64 s[14:15], s[10:11]
	s_cbranch_execz .LBB1339_10
; %bb.9:
	flat_load_dword v26, v[0:1] offset:16
.LBB1339_10:
	;; [unrolled: 18-line block ×3, first 2 shown]
	s_or_b64 exec, exec, s[16:17]
	v_or_b32_e32 v13, 7, v48
	v_cmp_lt_u32_e64 s[16:17], v13, v12
	s_and_saveexec_b64 s[22:23], s[16:17]
	s_cbranch_execz .LBB1339_16
; %bb.15:
	flat_load_dword v17, v[0:1] offset:28
.LBB1339_16:
	s_or_b64 exec, exec, s[22:23]
	v_lshlrev_b64 v[0:1], 3, v[8:9]
	v_lshlrev_b32_e32 v39, 3, v48
	v_add_co_u32_e64 v4, s[22:23], v4, v0
	v_addc_co_u32_e64 v5, s[22:23], v5, v1, s[22:23]
	v_add_co_u32_e64 v34, s[22:23], v4, v39
	v_addc_co_u32_e64 v35, s[22:23], 0, v5, s[22:23]
	; wave barrier
                                        ; implicit-def: $vgpr4_vgpr5
	s_and_saveexec_b64 s[22:23], vcc
	s_cbranch_execnz .LBB1339_261
; %bb.17:
	s_or_b64 exec, exec, s[22:23]
	s_and_saveexec_b64 s[22:23], s[4:5]
                                        ; implicit-def: $vgpr8_vgpr9
	s_cbranch_execnz .LBB1339_262
.LBB1339_18:
	s_or_b64 exec, exec, s[22:23]
                                        ; implicit-def: $vgpr12_vgpr13
	s_and_saveexec_b64 s[22:23], s[6:7]
	s_cbranch_execnz .LBB1339_263
.LBB1339_19:
	s_or_b64 exec, exec, s[22:23]
	s_and_saveexec_b64 s[22:23], s[18:19]
                                        ; implicit-def: $vgpr14_vgpr15
	s_cbranch_execnz .LBB1339_264
.LBB1339_20:
	s_or_b64 exec, exec, s[22:23]
                                        ; implicit-def: $vgpr20_vgpr21
	s_and_saveexec_b64 s[22:23], s[10:11]
	s_cbranch_execnz .LBB1339_265
.LBB1339_21:
	s_or_b64 exec, exec, s[22:23]
	s_and_saveexec_b64 s[22:23], s[20:21]
                                        ; implicit-def: $vgpr24_vgpr25
	s_cbranch_execnz .LBB1339_266
.LBB1339_22:
	s_or_b64 exec, exec, s[22:23]
                                        ; implicit-def: $vgpr22_vgpr23
	s_and_saveexec_b64 s[22:23], s[14:15]
	s_cbranch_execnz .LBB1339_267
.LBB1339_23:
	s_or_b64 exec, exec, s[22:23]
	s_and_saveexec_b64 s[22:23], s[16:17]
                                        ; implicit-def: $vgpr32_vgpr33
	s_cbranch_execz .LBB1339_25
.LBB1339_24:
	flat_load_dwordx2 v[32:33], v[34:35] offset:56
.LBB1339_25:
	s_or_b64 exec, exec, s[22:23]
	; wave barrier
	s_load_dwordx2 s[22:23], s[8:9], 0x0
	v_mov_b32_e32 v30, 0
	v_bfe_u32 v36, v31, 20, 10
	s_waitcnt lgkmcnt(0)
	s_cmp_lt_u32 s13, s23
	s_cselect_b32 s13, 14, 20
	s_add_u32 s24, s8, s13
	s_addc_u32 s25, s9, 0
	s_cmp_lt_u32 s12, s22
	s_cselect_b32 s12, 12, 18
	s_add_u32 s8, s8, s12
	s_addc_u32 s9, s9, 0
	global_load_ushort v34, v30, s[24:25]
	global_load_ushort v35, v30, s[8:9]
	v_bfe_u32 v30, v31, 10, 10
	v_and_b32_e32 v31, 0x3ff, v31
	s_movk_i32 s8, 0x800
	s_waitcnt vmcnt(0)
	v_mad_u32_u24 v30, v36, v34, v30
	v_mul_lo_u32 v30, v30, v35
	v_add_lshl_u32 v50, v30, v31, 3
	v_cmp_gt_u32_e64 s[8:9], s8, v50
	s_and_saveexec_b64 s[12:13], s[8:9]
	s_cbranch_execz .LBB1339_83
; %bb.26:
	v_add_f32_e32 v30, 0, v19
	v_ashrrev_i32_e32 v34, 31, v30
	v_add_f32_e32 v31, 0, v18
	v_or_b32_e32 v34, 0x80000000, v34
	v_xor_b32_e32 v30, v34, v30
	v_ashrrev_i32_e32 v34, 31, v31
	v_or_b32_e32 v34, 0x80000000, v34
	v_xor_b32_e32 v31, v34, v31
	v_cmp_gt_u32_e64 s[8:9], v30, v31
	v_mov_b32_e32 v31, v9
	v_mov_b32_e32 v36, v19
	v_mov_b32_e32 v30, v8
	s_and_saveexec_b64 s[22:23], s[8:9]
; %bb.27:
	v_mov_b32_e32 v31, v5
	v_mov_b32_e32 v30, v4
	;; [unrolled: 1-line block ×6, first 2 shown]
; %bb.28:
	s_or_b64 exec, exec, s[22:23]
	v_add_f32_e32 v8, 0, v29
	v_ashrrev_i32_e32 v19, 31, v8
	v_add_f32_e32 v9, 0, v28
	v_or_b32_e32 v19, 0x80000000, v19
	v_xor_b32_e32 v8, v19, v8
	v_ashrrev_i32_e32 v19, 31, v9
	v_or_b32_e32 v19, 0x80000000, v19
	v_xor_b32_e32 v9, v19, v9
	v_mov_b32_e32 v35, v15
	v_cmp_gt_u32_e64 s[8:9], v8, v9
	v_mov_b32_e32 v19, v29
	v_mov_b32_e32 v34, v14
	s_and_saveexec_b64 s[22:23], s[8:9]
; %bb.29:
	v_mov_b32_e32 v35, v13
	v_mov_b32_e32 v34, v12
	;; [unrolled: 1-line block ×6, first 2 shown]
; %bb.30:
	s_or_b64 exec, exec, s[22:23]
	v_add_f32_e32 v8, 0, v27
	v_ashrrev_i32_e32 v14, 31, v8
	v_add_f32_e32 v9, 0, v26
	v_or_b32_e32 v14, 0x80000000, v14
	v_xor_b32_e32 v8, v14, v8
	v_ashrrev_i32_e32 v14, 31, v9
	v_or_b32_e32 v14, 0x80000000, v14
	v_xor_b32_e32 v9, v14, v9
	v_mov_b32_e32 v14, v24
	v_cmp_gt_u32_e64 s[8:9], v8, v9
	v_mov_b32_e32 v15, v25
	v_mov_b32_e32 v51, v26
	s_and_saveexec_b64 s[22:23], s[8:9]
; %bb.31:
	v_mov_b32_e32 v14, v20
	v_mov_b32_e32 v15, v21
	;; [unrolled: 1-line block ×6, first 2 shown]
; %bb.32:
	s_or_b64 exec, exec, s[22:23]
	v_add_f32_e32 v8, 0, v17
	v_ashrrev_i32_e32 v24, 31, v8
	v_add_f32_e32 v9, 0, v16
	v_or_b32_e32 v24, 0x80000000, v24
	v_xor_b32_e32 v8, v24, v8
	v_ashrrev_i32_e32 v24, 31, v9
	v_or_b32_e32 v24, 0x80000000, v24
	v_xor_b32_e32 v9, v24, v9
	v_cmp_gt_u32_e64 s[8:9], v8, v9
	v_mov_b32_e32 v8, v32
	v_mov_b32_e32 v9, v33
	;; [unrolled: 1-line block ×3, first 2 shown]
	s_and_saveexec_b64 s[22:23], s[8:9]
; %bb.33:
	v_mov_b32_e32 v8, v22
	v_mov_b32_e32 v9, v23
	;; [unrolled: 1-line block ×6, first 2 shown]
; %bb.34:
	s_or_b64 exec, exec, s[22:23]
	v_add_f32_e32 v16, 0, v28
	v_ashrrev_i32_e32 v25, 31, v16
	v_add_f32_e32 v24, 0, v36
	v_or_b32_e32 v25, 0x80000000, v25
	v_xor_b32_e32 v16, v25, v16
	v_ashrrev_i32_e32 v25, 31, v24
	v_or_b32_e32 v25, 0x80000000, v25
	v_xor_b32_e32 v24, v25, v24
	v_cmp_gt_u32_e64 s[8:9], v16, v24
	v_mov_b32_e32 v25, v13
	v_mov_b32_e32 v16, v28
	;; [unrolled: 1-line block ×3, first 2 shown]
	s_and_saveexec_b64 s[22:23], s[8:9]
	s_xor_b64 s[8:9], exec, s[22:23]
; %bb.35:
	v_mov_b32_e32 v24, v30
	v_mov_b32_e32 v25, v31
	v_mov_b32_e32 v31, v13
	v_mov_b32_e32 v16, v36
	v_mov_b32_e32 v36, v28
	v_mov_b32_e32 v30, v12
; %bb.36:
	s_or_b64 exec, exec, s[8:9]
	v_add_f32_e32 v12, 0, v51
	v_ashrrev_i32_e32 v26, 31, v12
	v_add_f32_e32 v13, 0, v19
	v_or_b32_e32 v26, 0x80000000, v26
	v_xor_b32_e32 v12, v26, v12
	v_ashrrev_i32_e32 v26, 31, v13
	v_or_b32_e32 v26, 0x80000000, v26
	v_xor_b32_e32 v13, v26, v13
	v_mov_b32_e32 v29, v21
	v_cmp_gt_u32_e64 s[8:9], v12, v13
	v_mov_b32_e32 v12, v19
	v_mov_b32_e32 v28, v20
	s_and_saveexec_b64 s[22:23], s[8:9]
; %bb.37:
	v_mov_b32_e32 v28, v34
	v_mov_b32_e32 v29, v35
	;; [unrolled: 1-line block ×6, first 2 shown]
; %bb.38:
	s_or_b64 exec, exec, s[22:23]
	v_add_f32_e32 v13, 0, v37
	v_ashrrev_i32_e32 v20, 31, v13
	v_add_f32_e32 v19, 0, v27
	v_or_b32_e32 v20, 0x80000000, v20
	v_xor_b32_e32 v13, v20, v13
	v_ashrrev_i32_e32 v20, 31, v19
	v_or_b32_e32 v20, 0x80000000, v20
	v_xor_b32_e32 v19, v20, v19
	v_cmp_gt_u32_e64 s[8:9], v13, v19
	v_mov_b32_e32 v19, v22
	v_mov_b32_e32 v20, v23
	v_mov_b32_e32 v52, v27
	s_and_saveexec_b64 s[22:23], s[8:9]
; %bb.39:
	v_mov_b32_e32 v20, v15
	v_mov_b32_e32 v19, v14
	v_mov_b32_e32 v14, v22
	v_mov_b32_e32 v15, v23
	v_mov_b32_e32 v52, v37
	v_mov_b32_e32 v37, v27
; %bb.40:
	s_or_b64 exec, exec, s[22:23]
	v_add_f32_e32 v13, 0, v36
	v_ashrrev_i32_e32 v22, 31, v13
	v_add_f32_e32 v21, 0, v18
	v_or_b32_e32 v22, 0x80000000, v22
	v_xor_b32_e32 v13, v22, v13
	v_ashrrev_i32_e32 v22, 31, v21
	v_or_b32_e32 v22, 0x80000000, v22
	v_xor_b32_e32 v21, v22, v21
	v_mov_b32_e32 v26, v30
	v_cmp_gt_u32_e64 s[8:9], v13, v21
	v_mov_b32_e32 v23, v36
	v_mov_b32_e32 v27, v31
	s_and_saveexec_b64 s[22:23], s[8:9]
; %bb.41:
	v_mov_b32_e32 v27, v5
	v_mov_b32_e32 v26, v4
	v_mov_b32_e32 v4, v30
	v_mov_b32_e32 v23, v18
	v_mov_b32_e32 v18, v36
	v_mov_b32_e32 v5, v31
; %bb.42:
	s_or_b64 exec, exec, s[22:23]
	v_add_f32_e32 v13, 0, v12
	v_ashrrev_i32_e32 v22, 31, v13
	v_add_f32_e32 v21, 0, v16
	v_or_b32_e32 v22, 0x80000000, v22
	v_xor_b32_e32 v13, v22, v13
	v_ashrrev_i32_e32 v22, 31, v21
	v_or_b32_e32 v22, 0x80000000, v22
	v_xor_b32_e32 v21, v22, v21
	v_mov_b32_e32 v30, v34
	v_cmp_gt_u32_e64 s[8:9], v13, v21
	v_mov_b32_e32 v53, v12
	v_mov_b32_e32 v31, v35
	;; [unrolled: 22-line block ×3, first 2 shown]
	s_and_saveexec_b64 s[22:23], s[8:9]
; %bb.45:
	v_mov_b32_e32 v21, v28
	v_mov_b32_e32 v22, v29
	;; [unrolled: 1-line block ×6, first 2 shown]
; %bb.46:
	s_or_b64 exec, exec, s[22:23]
	v_add_f32_e32 v12, 0, v17
	v_ashrrev_i32_e32 v14, 31, v12
	v_add_f32_e32 v13, 0, v37
	v_or_b32_e32 v14, 0x80000000, v14
	v_xor_b32_e32 v12, v14, v12
	v_ashrrev_i32_e32 v14, 31, v13
	v_or_b32_e32 v14, 0x80000000, v14
	v_xor_b32_e32 v13, v14, v13
	v_cmp_gt_u32_e64 s[8:9], v12, v13
	v_mov_b32_e32 v13, v9
	v_mov_b32_e32 v12, v8
	;; [unrolled: 1-line block ×3, first 2 shown]
	s_and_saveexec_b64 s[22:23], s[8:9]
; %bb.47:
	v_mov_b32_e32 v12, v19
	v_mov_b32_e32 v13, v20
	;; [unrolled: 1-line block ×6, first 2 shown]
; %bb.48:
	s_or_b64 exec, exec, s[22:23]
	v_add_f32_e32 v8, 0, v16
	v_ashrrev_i32_e32 v14, 31, v8
	v_add_f32_e32 v9, 0, v23
	v_or_b32_e32 v14, 0x80000000, v14
	v_xor_b32_e32 v8, v14, v8
	v_ashrrev_i32_e32 v14, 31, v9
	v_or_b32_e32 v14, 0x80000000, v14
	v_xor_b32_e32 v9, v14, v9
	v_mov_b32_e32 v33, v25
	v_cmp_gt_u32_e64 s[8:9], v8, v9
	v_mov_b32_e32 v51, v16
	v_mov_b32_e32 v32, v24
	s_and_saveexec_b64 s[22:23], s[8:9]
; %bb.49:
	v_mov_b32_e32 v33, v27
	v_mov_b32_e32 v32, v26
	;; [unrolled: 1-line block ×6, first 2 shown]
; %bb.50:
	s_or_b64 exec, exec, s[22:23]
	v_add_f32_e32 v8, 0, v54
	v_ashrrev_i32_e32 v14, 31, v8
	v_add_f32_e32 v9, 0, v53
	v_or_b32_e32 v14, 0x80000000, v14
	v_xor_b32_e32 v8, v14, v8
	v_ashrrev_i32_e32 v14, 31, v9
	v_or_b32_e32 v14, 0x80000000, v14
	v_xor_b32_e32 v9, v14, v9
	v_mov_b32_e32 v14, v28
	v_cmp_gt_u32_e64 s[8:9], v8, v9
	v_mov_b32_e32 v24, v53
	v_mov_b32_e32 v15, v29
	s_and_saveexec_b64 s[22:23], s[8:9]
; %bb.51:
	v_mov_b32_e32 v14, v30
	v_mov_b32_e32 v15, v31
	;; [unrolled: 1-line block ×6, first 2 shown]
; %bb.52:
	s_or_b64 exec, exec, s[22:23]
	v_add_f32_e32 v8, 0, v36
	v_ashrrev_i32_e32 v16, 31, v8
	v_add_f32_e32 v9, 0, v52
	v_or_b32_e32 v16, 0x80000000, v16
	v_xor_b32_e32 v8, v16, v8
	v_ashrrev_i32_e32 v16, 31, v9
	v_or_b32_e32 v16, 0x80000000, v16
	v_xor_b32_e32 v9, v16, v9
	v_cmp_gt_u32_e64 s[8:9], v8, v9
	v_mov_b32_e32 v8, v19
	v_mov_b32_e32 v9, v20
	;; [unrolled: 1-line block ×3, first 2 shown]
	s_and_saveexec_b64 s[22:23], s[8:9]
; %bb.53:
	v_mov_b32_e32 v8, v21
	v_mov_b32_e32 v9, v22
	v_mov_b32_e32 v22, v20
	v_mov_b32_e32 v21, v19
	v_mov_b32_e32 v53, v36
	v_mov_b32_e32 v36, v52
; %bb.54:
	s_or_b64 exec, exec, s[22:23]
	v_add_f32_e32 v16, 0, v23
	v_ashrrev_i32_e32 v20, 31, v16
	v_add_f32_e32 v19, 0, v18
	v_or_b32_e32 v20, 0x80000000, v20
	v_xor_b32_e32 v16, v20, v16
	v_ashrrev_i32_e32 v20, 31, v19
	v_or_b32_e32 v20, 0x80000000, v20
	v_xor_b32_e32 v19, v20, v19
	v_mov_b32_e32 v29, v27
	v_cmp_gt_u32_e64 s[8:9], v16, v19
	v_mov_b32_e32 v16, v23
	v_mov_b32_e32 v28, v26
	s_and_saveexec_b64 s[22:23], s[8:9]
; %bb.55:
	v_mov_b32_e32 v29, v5
	v_mov_b32_e32 v28, v4
	v_mov_b32_e32 v4, v26
	v_mov_b32_e32 v16, v18
	v_mov_b32_e32 v18, v23
	v_mov_b32_e32 v5, v27
; %bb.56:
	s_or_b64 exec, exec, s[22:23]
	v_add_f32_e32 v19, 0, v24
	v_ashrrev_i32_e32 v23, 31, v19
	v_add_f32_e32 v20, 0, v51
	v_or_b32_e32 v23, 0x80000000, v23
	v_xor_b32_e32 v19, v23, v19
	v_ashrrev_i32_e32 v23, 31, v20
	v_or_b32_e32 v23, 0x80000000, v23
	v_xor_b32_e32 v20, v23, v20
	v_mov_b32_e32 v35, v31
	v_cmp_gt_u32_e64 s[8:9], v19, v20
	v_mov_b32_e32 v19, v24
	v_mov_b32_e32 v34, v30
	;; [unrolled: 22-line block ×3, first 2 shown]
	s_and_saveexec_b64 s[22:23], s[8:9]
; %bb.59:
	v_mov_b32_e32 v25, v15
	v_mov_b32_e32 v24, v14
	;; [unrolled: 1-line block ×6, first 2 shown]
; %bb.60:
	s_or_b64 exec, exec, s[22:23]
	v_add_f32_e32 v20, 0, v17
	v_ashrrev_i32_e32 v22, 31, v20
	v_add_f32_e32 v21, 0, v36
	v_or_b32_e32 v22, 0x80000000, v22
	v_xor_b32_e32 v20, v22, v20
	v_ashrrev_i32_e32 v22, 31, v21
	v_or_b32_e32 v22, 0x80000000, v22
	v_xor_b32_e32 v21, v22, v21
	v_cmp_gt_u32_e64 s[8:9], v20, v21
	v_mov_b32_e32 v21, v13
	v_mov_b32_e32 v20, v12
	;; [unrolled: 1-line block ×3, first 2 shown]
	s_and_saveexec_b64 s[22:23], s[8:9]
; %bb.61:
	v_mov_b32_e32 v21, v9
	v_mov_b32_e32 v20, v8
	v_mov_b32_e32 v8, v12
	v_mov_b32_e32 v9, v13
	v_mov_b32_e32 v54, v17
	v_mov_b32_e32 v17, v36
; %bb.62:
	s_or_b64 exec, exec, s[22:23]
	v_add_f32_e32 v12, 0, v51
	v_ashrrev_i32_e32 v22, 31, v12
	v_add_f32_e32 v13, 0, v16
	v_or_b32_e32 v22, 0x80000000, v22
	v_xor_b32_e32 v12, v22, v12
	v_ashrrev_i32_e32 v22, 31, v13
	v_or_b32_e32 v22, 0x80000000, v22
	v_xor_b32_e32 v13, v22, v13
	v_mov_b32_e32 v37, v33
	v_cmp_gt_u32_e64 s[8:9], v12, v13
	v_mov_b32_e32 v52, v51
	v_mov_b32_e32 v36, v32
	s_and_saveexec_b64 s[22:23], s[8:9]
; %bb.63:
	v_mov_b32_e32 v37, v29
	v_mov_b32_e32 v36, v28
	v_mov_b32_e32 v28, v32
	v_mov_b32_e32 v52, v16
	v_mov_b32_e32 v16, v51
	v_mov_b32_e32 v29, v33
; %bb.64:
	s_or_b64 exec, exec, s[22:23]
	v_add_f32_e32 v12, 0, v55
	v_ashrrev_i32_e32 v22, 31, v12
	v_add_f32_e32 v13, 0, v19
	v_or_b32_e32 v22, 0x80000000, v22
	v_xor_b32_e32 v12, v22, v12
	v_ashrrev_i32_e32 v22, 31, v13
	v_or_b32_e32 v22, 0x80000000, v22
	v_xor_b32_e32 v13, v22, v13
	v_mov_b32_e32 v31, v15
	v_cmp_gt_u32_e64 s[8:9], v12, v13
	v_mov_b32_e32 v12, v19
	v_mov_b32_e32 v30, v14
	;; [unrolled: 22-line block ×3, first 2 shown]
	s_and_saveexec_b64 s[22:23], s[8:9]
; %bb.67:
	v_mov_b32_e32 v22, v24
	v_mov_b32_e32 v23, v25
	;; [unrolled: 1-line block ×6, first 2 shown]
; %bb.68:
	s_or_b64 exec, exec, s[22:23]
	v_add_f32_e32 v8, 0, v16
	v_ashrrev_i32_e32 v13, 31, v8
	v_add_f32_e32 v9, 0, v18
	v_or_b32_e32 v13, 0x80000000, v13
	v_xor_b32_e32 v8, v13, v8
	v_ashrrev_i32_e32 v13, 31, v9
	v_or_b32_e32 v13, 0x80000000, v13
	v_xor_b32_e32 v9, v13, v9
	v_cmp_gt_u32_e64 s[8:9], v8, v9
	v_mov_b32_e32 v8, v28
	v_mov_b32_e32 v19, v16
	;; [unrolled: 1-line block ×3, first 2 shown]
	s_and_saveexec_b64 s[22:23], s[8:9]
; %bb.69:
	v_mov_b32_e32 v9, v5
	v_mov_b32_e32 v8, v4
	;; [unrolled: 1-line block ×6, first 2 shown]
; %bb.70:
	s_or_b64 exec, exec, s[22:23]
	v_add_f32_e32 v13, 0, v12
	v_ashrrev_i32_e32 v15, 31, v13
	v_add_f32_e32 v14, 0, v52
	v_or_b32_e32 v15, 0x80000000, v15
	v_xor_b32_e32 v13, v15, v13
	v_ashrrev_i32_e32 v15, 31, v14
	v_or_b32_e32 v15, 0x80000000, v15
	v_xor_b32_e32 v14, v15, v14
	v_cmp_gt_u32_e64 s[8:9], v13, v14
	v_mov_b32_e32 v14, v34
	v_mov_b32_e32 v16, v12
	;; [unrolled: 1-line block ×3, first 2 shown]
	s_and_saveexec_b64 s[22:23], s[8:9]
; %bb.71:
	v_mov_b32_e32 v14, v36
	v_mov_b32_e32 v15, v37
	;; [unrolled: 1-line block ×6, first 2 shown]
; %bb.72:
	s_or_b64 exec, exec, s[22:23]
	v_add_f32_e32 v12, 0, v27
	v_ashrrev_i32_e32 v26, 31, v12
	v_add_f32_e32 v13, 0, v55
	v_or_b32_e32 v26, 0x80000000, v26
	v_xor_b32_e32 v12, v26, v12
	v_ashrrev_i32_e32 v26, 31, v13
	v_or_b32_e32 v26, 0x80000000, v26
	v_xor_b32_e32 v13, v26, v13
	v_mov_b32_e32 v35, v25
	v_cmp_gt_u32_e64 s[8:9], v12, v13
	v_mov_b32_e32 v34, v24
	v_mov_b32_e32 v26, v55
	s_and_saveexec_b64 s[22:23], s[8:9]
; %bb.73:
	v_mov_b32_e32 v35, v31
	v_mov_b32_e32 v34, v30
	;; [unrolled: 1-line block ×6, first 2 shown]
; %bb.74:
	s_or_b64 exec, exec, s[22:23]
	v_add_f32_e32 v12, 0, v17
	v_ashrrev_i32_e32 v24, 31, v12
	v_add_f32_e32 v13, 0, v54
	v_or_b32_e32 v24, 0x80000000, v24
	v_xor_b32_e32 v12, v24, v12
	v_ashrrev_i32_e32 v24, 31, v13
	v_or_b32_e32 v24, 0x80000000, v24
	v_xor_b32_e32 v13, v24, v13
	v_mov_b32_e32 v33, v21
	v_cmp_gt_u32_e64 s[8:9], v12, v13
	v_mov_b32_e32 v32, v20
	v_mov_b32_e32 v51, v54
	s_and_saveexec_b64 s[22:23], s[8:9]
; %bb.75:
	v_mov_b32_e32 v33, v23
	v_mov_b32_e32 v32, v22
	v_mov_b32_e32 v23, v21
	v_mov_b32_e32 v22, v20
	v_mov_b32_e32 v51, v17
	v_mov_b32_e32 v17, v54
; %bb.76:
	s_or_b64 exec, exec, s[22:23]
	v_add_f32_e32 v12, 0, v52
	v_ashrrev_i32_e32 v20, 31, v12
	v_add_f32_e32 v13, 0, v19
	v_or_b32_e32 v20, 0x80000000, v20
	v_xor_b32_e32 v12, v20, v12
	v_ashrrev_i32_e32 v20, 31, v13
	v_or_b32_e32 v20, 0x80000000, v20
	v_xor_b32_e32 v13, v20, v13
	v_cmp_gt_u32_e64 s[8:9], v12, v13
	v_mov_b32_e32 v12, v36
	v_mov_b32_e32 v28, v52
	v_mov_b32_e32 v13, v37
	s_and_saveexec_b64 s[22:23], s[8:9]
; %bb.77:
	v_mov_b32_e32 v13, v9
	v_mov_b32_e32 v12, v8
	v_mov_b32_e32 v8, v36
	v_mov_b32_e32 v28, v19
	v_mov_b32_e32 v19, v52
	v_mov_b32_e32 v9, v37
; %bb.78:
	s_or_b64 exec, exec, s[22:23]
	v_add_f32_e32 v20, 0, v26
	v_ashrrev_i32_e32 v24, 31, v20
	v_add_f32_e32 v21, 0, v16
	v_or_b32_e32 v24, 0x80000000, v24
	v_xor_b32_e32 v20, v24, v20
	v_ashrrev_i32_e32 v24, 31, v21
	v_or_b32_e32 v24, 0x80000000, v24
	v_xor_b32_e32 v21, v24, v21
	v_cmp_gt_u32_e64 s[8:9], v20, v21
	v_mov_b32_e32 v20, v30
	;; [unrolled: 22-line block ×3, first 2 shown]
	v_mov_b32_e32 v16, v51
	v_mov_b32_e32 v25, v35
	s_and_saveexec_b64 s[22:23], s[8:9]
; %bb.81:
	v_mov_b32_e32 v25, v23
	v_mov_b32_e32 v24, v22
	;; [unrolled: 1-line block ×6, first 2 shown]
; %bb.82:
	s_or_b64 exec, exec, s[22:23]
.LBB1339_83:
	s_or_b64 exec, exec, s[12:13]
	v_and_b32_e32 v30, 0xfffffe00, v50
	s_movk_i32 s8, 0x800
	v_lshlrev_b32_e32 v31, 2, v30
	v_sub_u32_e64 v34, s8, v30 clamp
	v_add_u32_e32 v30, v31, v31
	v_lshl_add_u32 v36, v49, 3, v30
	v_add_u32_e32 v37, 0x2000, v36
	v_lshl_add_u32 v35, v49, 2, v31
	ds_write2_b64 v37, v[4:5], v[8:9] offset1:1
	v_add_u32_e32 v37, 0x2010, v36
	ds_write2_b64 v35, v[18:19], v[28:29] offset1:1
	ds_write2_b64 v37, v[12:13], v[14:15] offset1:1
	v_add_u32_e32 v37, 0x2020, v36
	ds_write2_b64 v37, v[20:21], v[24:25] offset1:1
	v_add_u32_e32 v37, 0x2030, v36
	ds_write2_b64 v35, v[26:27], v[16:17] offset0:2 offset1:3
	ds_write2_b64 v37, v[22:23], v[32:33] offset1:1
	v_or_b32_e32 v37, 8, v49
	v_min_u32_e32 v37, v34, v37
	v_add_u32_e32 v50, 8, v37
	v_and_b32_e32 v53, 0x3f0, v49
	v_min_u32_e32 v50, v34, v50
	v_and_b32_e32 v51, 8, v49
	v_min_u32_e32 v54, v34, v51
	v_sub_u32_e32 v55, v37, v53
	v_sub_u32_e32 v52, v50, v37
	v_sub_u32_e64 v52, v54, v52 clamp
	v_min_u32_e32 v55, v54, v55
	v_lshl_add_u32 v51, v53, 2, v31
	v_cmp_lt_u32_e64 s[8:9], v52, v55
	; wave barrier
	s_and_saveexec_b64 s[12:13], s[8:9]
	s_cbranch_execz .LBB1339_87
; %bb.84:
	v_lshlrev_b32_e32 v64, 2, v37
	v_lshlrev_b32_e32 v65, 2, v54
	v_add3_u32 v64, v31, v64, v65
	s_mov_b64 s[22:23], 0
.LBB1339_85:                            ; =>This Inner Loop Header: Depth=1
	v_add_u32_e32 v65, v55, v52
	v_lshrrev_b32_e32 v65, 1, v65
	v_not_b32_e32 v66, v65
	v_lshl_add_u32 v67, v65, 2, v51
	v_lshl_add_u32 v66, v66, 2, v64
	ds_read_b32 v67, v67
	ds_read_b32 v66, v66
	v_add_u32_e32 v68, 1, v65
	s_waitcnt lgkmcnt(1)
	v_add_f32_e32 v67, 0, v67
	s_waitcnt lgkmcnt(0)
	v_add_f32_e32 v66, 0, v66
	v_ashrrev_i32_e32 v69, 31, v67
	v_ashrrev_i32_e32 v70, 31, v66
	v_or_b32_e32 v69, 0x80000000, v69
	v_or_b32_e32 v70, 0x80000000, v70
	v_xor_b32_e32 v67, v69, v67
	v_xor_b32_e32 v66, v70, v66
	v_cmp_gt_u32_e64 s[8:9], v66, v67
	v_cndmask_b32_e64 v55, v55, v65, s[8:9]
	v_cndmask_b32_e64 v52, v68, v52, s[8:9]
	v_cmp_ge_u32_e64 s[8:9], v52, v55
	s_or_b64 s[22:23], s[8:9], s[22:23]
	s_andn2_b64 exec, exec, s[22:23]
	s_cbranch_execnz .LBB1339_85
; %bb.86:
	s_or_b64 exec, exec, s[22:23]
.LBB1339_87:
	s_or_b64 exec, exec, s[12:13]
	v_add_u32_e32 v54, v37, v54
	v_add_u32_e32 v53, v52, v53
	v_sub_u32_e32 v54, v54, v52
	v_cmp_le_u32_e64 s[8:9], v53, v37
	v_cmp_le_u32_e64 s[12:13], v54, v50
	s_or_b64 s[8:9], s[8:9], s[12:13]
	s_and_saveexec_b64 s[22:23], s[8:9]
	s_cbranch_execz .LBB1339_123
; %bb.88:
	v_cmp_ge_u32_e64 s[8:9], v53, v37
	v_cmp_lt_u32_e64 s[12:13], v53, v37
                                        ; implicit-def: $vgpr17
	s_and_saveexec_b64 s[24:25], s[12:13]
; %bb.89:
	v_lshl_add_u32 v4, v52, 2, v51
	ds_read_b32 v17, v4
; %bb.90:
	s_or_b64 exec, exec, s[24:25]
	v_cmp_ge_u32_e64 s[24:25], v54, v50
	v_cmp_lt_u32_e64 s[12:13], v54, v50
                                        ; implicit-def: $vgpr18
	s_and_saveexec_b64 s[26:27], s[12:13]
; %bb.91:
	v_lshl_add_u32 v4, v54, 2, v31
	ds_read_b32 v18, v4
; %bb.92:
	s_or_b64 exec, exec, s[26:27]
	s_nor_b64 s[8:9], s[8:9], s[24:25]
	s_and_saveexec_b64 s[12:13], s[8:9]
	s_cbranch_execz .LBB1339_94
; %bb.93:
	s_waitcnt lgkmcnt(0)
	v_add_f32_e32 v4, 0, v18
	v_ashrrev_i32_e32 v8, 31, v4
	v_add_f32_e32 v5, 0, v17
	v_or_b32_e32 v8, 0x80000000, v8
	v_xor_b32_e32 v4, v8, v4
	v_ashrrev_i32_e32 v8, 31, v5
	v_or_b32_e32 v8, 0x80000000, v8
	v_xor_b32_e32 v5, v8, v5
	v_cmp_le_u32_e64 s[8:9], v4, v5
	s_andn2_b64 s[24:25], s[24:25], exec
	s_and_b64 s[8:9], s[8:9], exec
	s_or_b64 s[24:25], s[24:25], s[8:9]
.LBB1339_94:
	s_or_b64 exec, exec, s[12:13]
	v_cndmask_b32_e64 v4, v54, v53, s[24:25]
	v_cndmask_b32_e64 v5, v50, v37, s[24:25]
	v_add_u32_e32 v8, 1, v4
	v_add_u32_e32 v5, -1, v5
	v_min_u32_e32 v5, v8, v5
	v_lshl_add_u32 v5, v5, 2, v31
	ds_read_b32 v9, v5
	v_lshl_add_u32 v4, v4, 3, v30
	ds_read_b64 v[4:5], v4 offset:8192
	v_cndmask_b32_e64 v12, v8, v54, s[24:25]
	v_cndmask_b32_e64 v13, v53, v8, s[24:25]
	s_waitcnt lgkmcnt(1)
	v_cndmask_b32_e64 v19, v9, v18, s[24:25]
	v_cndmask_b32_e64 v51, v17, v9, s[24:25]
	v_cmp_lt_u32_e64 s[8:9], v12, v50
	s_mov_b64 s[26:27], -1
	s_mov_b64 s[12:13], -1
	s_and_saveexec_b64 s[28:29], s[8:9]
	s_cbranch_execz .LBB1339_98
; %bb.95:
	v_cmp_lt_u32_e64 s[8:9], v13, v37
	s_mov_b64 s[40:41], 0
	s_and_saveexec_b64 s[12:13], s[8:9]
	s_cbranch_execz .LBB1339_97
; %bb.96:
	v_add_f32_e32 v8, 0, v19
	v_ashrrev_i32_e32 v14, 31, v8
	v_add_f32_e32 v9, 0, v51
	v_or_b32_e32 v14, 0x80000000, v14
	v_xor_b32_e32 v8, v14, v8
	v_ashrrev_i32_e32 v14, 31, v9
	v_or_b32_e32 v14, 0x80000000, v14
	v_xor_b32_e32 v9, v14, v9
	v_cmp_le_u32_e64 s[8:9], v8, v9
	s_and_b64 s[40:41], s[8:9], exec
.LBB1339_97:
	s_or_b64 exec, exec, s[12:13]
	s_orn2_b64 s[12:13], s[40:41], exec
.LBB1339_98:
	s_or_b64 exec, exec, s[28:29]
	v_cndmask_b32_e64 v8, v12, v13, s[12:13]
	v_cndmask_b32_e64 v9, v50, v37, s[12:13]
	v_add_u32_e32 v15, 1, v8
	v_add_u32_e32 v9, -1, v9
	v_min_u32_e32 v9, v15, v9
	v_lshl_add_u32 v9, v9, 2, v31
	ds_read_b32 v14, v9
	v_lshl_add_u32 v8, v8, 3, v30
	ds_read_b64 v[8:9], v8 offset:8192
	s_waitcnt lgkmcnt(1)
	v_cndmask_b32_e64 v28, v14, v19, s[12:13]
	v_cndmask_b32_e64 v52, v51, v14, s[12:13]
	;; [unrolled: 1-line block ×4, first 2 shown]
	v_cmp_lt_u32_e64 s[8:9], v14, v50
	s_and_saveexec_b64 s[28:29], s[8:9]
	s_cbranch_execz .LBB1339_102
; %bb.99:
	v_cmp_lt_u32_e64 s[8:9], v15, v37
	s_mov_b64 s[40:41], 0
	s_and_saveexec_b64 s[26:27], s[8:9]
	s_cbranch_execz .LBB1339_101
; %bb.100:
	v_add_f32_e32 v12, 0, v28
	v_ashrrev_i32_e32 v16, 31, v12
	v_add_f32_e32 v13, 0, v52
	v_or_b32_e32 v16, 0x80000000, v16
	v_xor_b32_e32 v12, v16, v12
	v_ashrrev_i32_e32 v16, 31, v13
	v_or_b32_e32 v16, 0x80000000, v16
	v_xor_b32_e32 v13, v16, v13
	v_cmp_le_u32_e64 s[8:9], v12, v13
	s_and_b64 s[40:41], s[8:9], exec
.LBB1339_101:
	s_or_b64 exec, exec, s[26:27]
	s_orn2_b64 s[26:27], s[40:41], exec
.LBB1339_102:
	s_or_b64 exec, exec, s[28:29]
	v_cndmask_b32_e64 v12, v14, v15, s[26:27]
	v_cndmask_b32_e64 v13, v50, v37, s[26:27]
	v_add_u32_e32 v20, 1, v12
	v_add_u32_e32 v13, -1, v13
	v_min_u32_e32 v13, v20, v13
	v_lshl_add_u32 v13, v13, 2, v31
	ds_read_b32 v16, v13
	v_lshl_add_u32 v12, v12, 3, v30
	ds_read_b64 v[12:13], v12 offset:8192
	s_mov_b64 s[40:41], -1
	s_mov_b64 s[28:29], -1
	s_waitcnt lgkmcnt(1)
	v_cndmask_b32_e64 v29, v16, v28, s[26:27]
	v_cndmask_b32_e64 v32, v52, v16, s[26:27]
	v_cndmask_b32_e64 v16, v20, v14, s[26:27]
	v_cndmask_b32_e64 v20, v15, v20, s[26:27]
	v_cmp_lt_u32_e64 s[8:9], v16, v50
	s_and_saveexec_b64 s[42:43], s[8:9]
	s_cbranch_execz .LBB1339_106
; %bb.103:
	v_cmp_lt_u32_e64 s[8:9], v20, v37
	s_mov_b64 s[44:45], 0
	s_and_saveexec_b64 s[28:29], s[8:9]
	s_cbranch_execz .LBB1339_105
; %bb.104:
	v_add_f32_e32 v14, 0, v29
	v_ashrrev_i32_e32 v21, 31, v14
	v_add_f32_e32 v15, 0, v32
	v_or_b32_e32 v21, 0x80000000, v21
	v_xor_b32_e32 v14, v21, v14
	v_ashrrev_i32_e32 v21, 31, v15
	v_or_b32_e32 v21, 0x80000000, v21
	v_xor_b32_e32 v15, v21, v15
	v_cmp_le_u32_e64 s[8:9], v14, v15
	s_and_b64 s[44:45], s[8:9], exec
.LBB1339_105:
	s_or_b64 exec, exec, s[28:29]
	s_orn2_b64 s[28:29], s[44:45], exec
.LBB1339_106:
	s_or_b64 exec, exec, s[42:43]
	v_cndmask_b32_e64 v14, v16, v20, s[28:29]
	v_cndmask_b32_e64 v15, v50, v37, s[28:29]
	v_add_u32_e32 v21, 1, v14
	v_add_u32_e32 v15, -1, v15
	v_min_u32_e32 v15, v21, v15
	v_lshl_add_u32 v15, v15, 2, v31
	ds_read_b32 v22, v15
	v_lshl_add_u32 v14, v14, 3, v30
	ds_read_b64 v[14:15], v14 offset:8192
	v_cndmask_b32_e64 v16, v21, v16, s[28:29]
	v_cndmask_b32_e64 v23, v20, v21, s[28:29]
	s_waitcnt lgkmcnt(1)
	v_cndmask_b32_e64 v26, v22, v29, s[28:29]
	v_cndmask_b32_e64 v33, v32, v22, s[28:29]
	v_cmp_lt_u32_e64 s[8:9], v16, v50
	s_and_saveexec_b64 s[42:43], s[8:9]
	s_cbranch_execz .LBB1339_110
; %bb.107:
	v_cmp_lt_u32_e64 s[8:9], v23, v37
	s_mov_b64 s[44:45], 0
	s_and_saveexec_b64 s[40:41], s[8:9]
	s_cbranch_execz .LBB1339_109
; %bb.108:
	v_add_f32_e32 v20, 0, v26
	v_ashrrev_i32_e32 v22, 31, v20
	v_add_f32_e32 v21, 0, v33
	v_or_b32_e32 v22, 0x80000000, v22
	v_xor_b32_e32 v20, v22, v20
	v_ashrrev_i32_e32 v22, 31, v21
	v_or_b32_e32 v22, 0x80000000, v22
	v_xor_b32_e32 v21, v22, v21
	v_cmp_le_u32_e64 s[8:9], v20, v21
	s_and_b64 s[44:45], s[8:9], exec
.LBB1339_109:
	s_or_b64 exec, exec, s[40:41]
	s_orn2_b64 s[40:41], s[44:45], exec
.LBB1339_110:
	s_or_b64 exec, exec, s[42:43]
	v_cndmask_b32_e64 v20, v16, v23, s[40:41]
	v_cndmask_b32_e64 v21, v50, v37, s[40:41]
	v_add_u32_e32 v24, 1, v20
	v_add_u32_e32 v21, -1, v21
	v_min_u32_e32 v21, v24, v21
	v_lshl_add_u32 v21, v21, 2, v31
	ds_read_b32 v22, v21
	v_lshl_add_u32 v20, v20, 3, v30
	ds_read_b64 v[20:21], v20 offset:8192
	v_cndmask_b32_e64 v23, v23, v24, s[40:41]
	s_mov_b64 s[44:45], -1
	s_waitcnt lgkmcnt(1)
	v_cndmask_b32_e64 v27, v22, v26, s[40:41]
	v_cndmask_b32_e64 v53, v33, v22, s[40:41]
	;; [unrolled: 1-line block ×3, first 2 shown]
	v_cmp_lt_u32_e64 s[8:9], v22, v50
	s_mov_b64 s[42:43], -1
	s_and_saveexec_b64 s[46:47], s[8:9]
	s_cbranch_execz .LBB1339_114
; %bb.111:
	v_cmp_lt_u32_e64 s[8:9], v23, v37
	s_mov_b64 s[56:57], 0
	s_and_saveexec_b64 s[42:43], s[8:9]
	s_cbranch_execz .LBB1339_113
; %bb.112:
	v_add_f32_e32 v16, 0, v27
	v_ashrrev_i32_e32 v25, 31, v16
	v_add_f32_e32 v24, 0, v53
	v_or_b32_e32 v25, 0x80000000, v25
	v_xor_b32_e32 v16, v25, v16
	v_ashrrev_i32_e32 v25, 31, v24
	v_or_b32_e32 v25, 0x80000000, v25
	v_xor_b32_e32 v24, v25, v24
	v_cmp_le_u32_e64 s[8:9], v16, v24
	s_and_b64 s[56:57], s[8:9], exec
.LBB1339_113:
	s_or_b64 exec, exec, s[42:43]
	s_orn2_b64 s[42:43], s[56:57], exec
.LBB1339_114:
	s_or_b64 exec, exec, s[46:47]
	v_cndmask_b32_e64 v16, v22, v23, s[42:43]
	v_cndmask_b32_e64 v24, v50, v37, s[42:43]
	v_add_u32_e32 v55, 1, v16
	v_add_u32_e32 v24, -1, v24
	v_min_u32_e32 v24, v55, v24
	v_lshl_add_u32 v24, v24, 2, v31
	ds_read_b32 v54, v24
	v_lshl_add_u32 v16, v16, 3, v30
	ds_read_b64 v[24:25], v16 offset:8192
	v_cndmask_b32_e64 v65, v55, v22, s[42:43]
	v_cndmask_b32_e64 v66, v23, v55, s[42:43]
	s_waitcnt lgkmcnt(1)
	v_cndmask_b32_e64 v16, v54, v27, s[42:43]
	v_cndmask_b32_e64 v54, v53, v54, s[42:43]
	v_cmp_lt_u32_e64 s[8:9], v65, v50
	s_and_saveexec_b64 s[46:47], s[8:9]
	s_cbranch_execz .LBB1339_118
; %bb.115:
	v_cmp_lt_u32_e64 s[8:9], v66, v37
	s_mov_b64 s[56:57], 0
	s_and_saveexec_b64 s[44:45], s[8:9]
	s_cbranch_execz .LBB1339_117
; %bb.116:
	v_add_f32_e32 v22, 0, v16
	v_ashrrev_i32_e32 v55, 31, v22
	v_add_f32_e32 v23, 0, v54
	v_or_b32_e32 v55, 0x80000000, v55
	v_xor_b32_e32 v22, v55, v22
	v_ashrrev_i32_e32 v55, 31, v23
	v_or_b32_e32 v55, 0x80000000, v55
	v_xor_b32_e32 v23, v55, v23
	v_cmp_le_u32_e64 s[8:9], v22, v23
	s_and_b64 s[56:57], s[8:9], exec
.LBB1339_117:
	s_or_b64 exec, exec, s[44:45]
	s_orn2_b64 s[44:45], s[56:57], exec
.LBB1339_118:
	s_or_b64 exec, exec, s[46:47]
	v_cndmask_b32_e64 v22, v65, v66, s[44:45]
	v_cndmask_b32_e64 v23, v50, v37, s[44:45]
	v_add_u32_e32 v67, 1, v22
	v_add_u32_e32 v23, -1, v23
	v_min_u32_e32 v23, v67, v23
	v_lshl_add_u32 v23, v23, 2, v31
	ds_read_b32 v64, v23
	v_lshl_add_u32 v22, v22, 3, v30
	ds_read_b64 v[22:23], v22 offset:8192
	v_cndmask_b32_e64 v65, v67, v65, s[44:45]
	v_cndmask_b32_e64 v66, v66, v67, s[44:45]
	s_waitcnt lgkmcnt(1)
	v_cndmask_b32_e64 v55, v64, v16, s[44:45]
	v_cndmask_b32_e64 v64, v54, v64, s[44:45]
	v_cmp_lt_u32_e64 s[8:9], v65, v50
	s_mov_b64 s[56:57], -1
	s_and_saveexec_b64 s[46:47], s[8:9]
	s_cbranch_execz .LBB1339_122
; %bb.119:
	v_cmp_lt_u32_e64 s[8:9], v66, v37
	s_mov_b64 s[58:59], 0
	s_and_saveexec_b64 s[56:57], s[8:9]
	s_cbranch_execz .LBB1339_121
; %bb.120:
	v_add_f32_e32 v37, 0, v55
	v_ashrrev_i32_e32 v67, 31, v37
	v_add_f32_e32 v50, 0, v64
	v_or_b32_e32 v67, 0x80000000, v67
	v_xor_b32_e32 v37, v67, v37
	v_ashrrev_i32_e32 v67, 31, v50
	v_or_b32_e32 v67, 0x80000000, v67
	v_xor_b32_e32 v50, v67, v50
	v_cmp_le_u32_e64 s[8:9], v37, v50
	s_and_b64 s[58:59], s[8:9], exec
.LBB1339_121:
	s_or_b64 exec, exec, s[56:57]
	s_orn2_b64 s[56:57], s[58:59], exec
.LBB1339_122:
	s_or_b64 exec, exec, s[46:47]
	v_cndmask_b32_e64 v29, v29, v32, s[28:29]
	v_cndmask_b32_e64 v32, v65, v66, s[56:57]
	v_lshl_add_u32 v32, v32, 3, v30
	v_cndmask_b32_e64 v26, v26, v33, s[40:41]
	ds_read_b64 v[32:33], v32 offset:8192
	v_cndmask_b32_e64 v16, v16, v54, s[44:45]
	v_cndmask_b32_e64 v27, v27, v53, s[42:43]
	;; [unrolled: 1-line block ×6, first 2 shown]
.LBB1339_123:
	s_or_b64 exec, exec, s[22:23]
	v_add_u32_e32 v37, 0x2000, v36
	; wave barrier
	ds_write2_b64 v37, v[4:5], v[8:9] offset1:1
	v_add_u32_e32 v37, 0x2010, v36
	ds_write2_b64 v35, v[18:19], v[28:29] offset1:1
	ds_write2_b64 v37, v[12:13], v[14:15] offset1:1
	v_add_u32_e32 v37, 0x2020, v36
	ds_write2_b64 v37, v[20:21], v[24:25] offset1:1
	v_add_u32_e32 v37, 0x2030, v36
	v_and_b32_e32 v53, 0x3e0, v49
	ds_write2_b64 v35, v[26:27], v[16:17] offset0:2 offset1:3
	s_waitcnt lgkmcnt(5)
	ds_write2_b64 v37, v[22:23], v[32:33] offset1:1
	v_or_b32_e32 v37, 16, v53
	v_min_u32_e32 v37, v34, v37
	v_add_u32_e32 v50, 16, v37
	v_min_u32_e32 v50, v34, v50
	v_and_b32_e32 v51, 24, v49
	v_min_u32_e32 v54, v34, v51
	v_sub_u32_e32 v55, v37, v53
	v_sub_u32_e32 v52, v50, v37
	v_sub_u32_e64 v52, v54, v52 clamp
	v_min_u32_e32 v55, v54, v55
	v_lshl_add_u32 v51, v53, 2, v31
	v_cmp_lt_u32_e64 s[8:9], v52, v55
	; wave barrier
	s_and_saveexec_b64 s[12:13], s[8:9]
	s_cbranch_execz .LBB1339_127
; %bb.124:
	v_lshlrev_b32_e32 v64, 2, v37
	v_lshlrev_b32_e32 v65, 2, v54
	v_add3_u32 v64, v31, v64, v65
	s_mov_b64 s[22:23], 0
.LBB1339_125:                           ; =>This Inner Loop Header: Depth=1
	v_add_u32_e32 v65, v55, v52
	v_lshrrev_b32_e32 v65, 1, v65
	v_not_b32_e32 v66, v65
	v_lshl_add_u32 v67, v65, 2, v51
	v_lshl_add_u32 v66, v66, 2, v64
	ds_read_b32 v67, v67
	ds_read_b32 v66, v66
	v_add_u32_e32 v68, 1, v65
	s_waitcnt lgkmcnt(1)
	v_add_f32_e32 v67, 0, v67
	s_waitcnt lgkmcnt(0)
	v_add_f32_e32 v66, 0, v66
	v_ashrrev_i32_e32 v69, 31, v67
	v_ashrrev_i32_e32 v70, 31, v66
	v_or_b32_e32 v69, 0x80000000, v69
	v_or_b32_e32 v70, 0x80000000, v70
	v_xor_b32_e32 v67, v69, v67
	v_xor_b32_e32 v66, v70, v66
	v_cmp_gt_u32_e64 s[8:9], v66, v67
	v_cndmask_b32_e64 v55, v55, v65, s[8:9]
	v_cndmask_b32_e64 v52, v68, v52, s[8:9]
	v_cmp_ge_u32_e64 s[8:9], v52, v55
	s_or_b64 s[22:23], s[8:9], s[22:23]
	s_andn2_b64 exec, exec, s[22:23]
	s_cbranch_execnz .LBB1339_125
; %bb.126:
	s_or_b64 exec, exec, s[22:23]
.LBB1339_127:
	s_or_b64 exec, exec, s[12:13]
	v_add_u32_e32 v54, v37, v54
	v_add_u32_e32 v53, v52, v53
	v_sub_u32_e32 v54, v54, v52
	v_cmp_le_u32_e64 s[8:9], v53, v37
	v_cmp_le_u32_e64 s[12:13], v54, v50
	s_or_b64 s[8:9], s[8:9], s[12:13]
	s_and_saveexec_b64 s[22:23], s[8:9]
	s_cbranch_execz .LBB1339_163
; %bb.128:
	v_cmp_ge_u32_e64 s[8:9], v53, v37
	v_cmp_lt_u32_e64 s[12:13], v53, v37
                                        ; implicit-def: $vgpr17
	s_and_saveexec_b64 s[24:25], s[12:13]
; %bb.129:
	v_lshl_add_u32 v4, v52, 2, v51
	ds_read_b32 v17, v4
; %bb.130:
	s_or_b64 exec, exec, s[24:25]
	v_cmp_ge_u32_e64 s[24:25], v54, v50
	v_cmp_lt_u32_e64 s[12:13], v54, v50
                                        ; implicit-def: $vgpr18
	s_and_saveexec_b64 s[26:27], s[12:13]
; %bb.131:
	v_lshl_add_u32 v4, v54, 2, v31
	ds_read_b32 v18, v4
; %bb.132:
	s_or_b64 exec, exec, s[26:27]
	s_nor_b64 s[8:9], s[8:9], s[24:25]
	s_and_saveexec_b64 s[12:13], s[8:9]
	s_cbranch_execz .LBB1339_134
; %bb.133:
	s_waitcnt lgkmcnt(0)
	v_add_f32_e32 v4, 0, v18
	v_ashrrev_i32_e32 v8, 31, v4
	v_add_f32_e32 v5, 0, v17
	v_or_b32_e32 v8, 0x80000000, v8
	v_xor_b32_e32 v4, v8, v4
	v_ashrrev_i32_e32 v8, 31, v5
	v_or_b32_e32 v8, 0x80000000, v8
	v_xor_b32_e32 v5, v8, v5
	v_cmp_le_u32_e64 s[8:9], v4, v5
	s_andn2_b64 s[24:25], s[24:25], exec
	s_and_b64 s[8:9], s[8:9], exec
	s_or_b64 s[24:25], s[24:25], s[8:9]
.LBB1339_134:
	s_or_b64 exec, exec, s[12:13]
	v_cndmask_b32_e64 v4, v54, v53, s[24:25]
	v_cndmask_b32_e64 v5, v50, v37, s[24:25]
	v_add_u32_e32 v8, 1, v4
	v_add_u32_e32 v5, -1, v5
	v_min_u32_e32 v5, v8, v5
	v_lshl_add_u32 v5, v5, 2, v31
	ds_read_b32 v9, v5
	v_lshl_add_u32 v4, v4, 3, v30
	ds_read_b64 v[4:5], v4 offset:8192
	v_cndmask_b32_e64 v12, v8, v54, s[24:25]
	v_cndmask_b32_e64 v13, v53, v8, s[24:25]
	s_waitcnt lgkmcnt(1)
	v_cndmask_b32_e64 v19, v9, v18, s[24:25]
	v_cndmask_b32_e64 v51, v17, v9, s[24:25]
	v_cmp_lt_u32_e64 s[8:9], v12, v50
	s_mov_b64 s[26:27], -1
	s_mov_b64 s[12:13], -1
	s_and_saveexec_b64 s[28:29], s[8:9]
	s_cbranch_execz .LBB1339_138
; %bb.135:
	v_cmp_lt_u32_e64 s[8:9], v13, v37
	s_mov_b64 s[40:41], 0
	s_and_saveexec_b64 s[12:13], s[8:9]
	s_cbranch_execz .LBB1339_137
; %bb.136:
	v_add_f32_e32 v8, 0, v19
	v_ashrrev_i32_e32 v14, 31, v8
	v_add_f32_e32 v9, 0, v51
	v_or_b32_e32 v14, 0x80000000, v14
	v_xor_b32_e32 v8, v14, v8
	v_ashrrev_i32_e32 v14, 31, v9
	v_or_b32_e32 v14, 0x80000000, v14
	v_xor_b32_e32 v9, v14, v9
	v_cmp_le_u32_e64 s[8:9], v8, v9
	s_and_b64 s[40:41], s[8:9], exec
.LBB1339_137:
	s_or_b64 exec, exec, s[12:13]
	s_orn2_b64 s[12:13], s[40:41], exec
.LBB1339_138:
	s_or_b64 exec, exec, s[28:29]
	v_cndmask_b32_e64 v8, v12, v13, s[12:13]
	v_cndmask_b32_e64 v9, v50, v37, s[12:13]
	v_add_u32_e32 v15, 1, v8
	v_add_u32_e32 v9, -1, v9
	v_min_u32_e32 v9, v15, v9
	v_lshl_add_u32 v9, v9, 2, v31
	ds_read_b32 v14, v9
	v_lshl_add_u32 v8, v8, 3, v30
	ds_read_b64 v[8:9], v8 offset:8192
	s_waitcnt lgkmcnt(1)
	v_cndmask_b32_e64 v28, v14, v19, s[12:13]
	v_cndmask_b32_e64 v52, v51, v14, s[12:13]
	;; [unrolled: 1-line block ×4, first 2 shown]
	v_cmp_lt_u32_e64 s[8:9], v14, v50
	s_and_saveexec_b64 s[28:29], s[8:9]
	s_cbranch_execz .LBB1339_142
; %bb.139:
	v_cmp_lt_u32_e64 s[8:9], v15, v37
	s_mov_b64 s[40:41], 0
	s_and_saveexec_b64 s[26:27], s[8:9]
	s_cbranch_execz .LBB1339_141
; %bb.140:
	v_add_f32_e32 v12, 0, v28
	v_ashrrev_i32_e32 v16, 31, v12
	v_add_f32_e32 v13, 0, v52
	v_or_b32_e32 v16, 0x80000000, v16
	v_xor_b32_e32 v12, v16, v12
	v_ashrrev_i32_e32 v16, 31, v13
	v_or_b32_e32 v16, 0x80000000, v16
	v_xor_b32_e32 v13, v16, v13
	v_cmp_le_u32_e64 s[8:9], v12, v13
	s_and_b64 s[40:41], s[8:9], exec
.LBB1339_141:
	s_or_b64 exec, exec, s[26:27]
	s_orn2_b64 s[26:27], s[40:41], exec
.LBB1339_142:
	s_or_b64 exec, exec, s[28:29]
	v_cndmask_b32_e64 v12, v14, v15, s[26:27]
	v_cndmask_b32_e64 v13, v50, v37, s[26:27]
	v_add_u32_e32 v20, 1, v12
	v_add_u32_e32 v13, -1, v13
	v_min_u32_e32 v13, v20, v13
	v_lshl_add_u32 v13, v13, 2, v31
	ds_read_b32 v16, v13
	v_lshl_add_u32 v12, v12, 3, v30
	ds_read_b64 v[12:13], v12 offset:8192
	s_mov_b64 s[40:41], -1
	s_mov_b64 s[28:29], -1
	s_waitcnt lgkmcnt(1)
	v_cndmask_b32_e64 v29, v16, v28, s[26:27]
	v_cndmask_b32_e64 v32, v52, v16, s[26:27]
	;; [unrolled: 1-line block ×4, first 2 shown]
	v_cmp_lt_u32_e64 s[8:9], v16, v50
	s_and_saveexec_b64 s[42:43], s[8:9]
	s_cbranch_execz .LBB1339_146
; %bb.143:
	v_cmp_lt_u32_e64 s[8:9], v20, v37
	s_mov_b64 s[44:45], 0
	s_and_saveexec_b64 s[28:29], s[8:9]
	s_cbranch_execz .LBB1339_145
; %bb.144:
	v_add_f32_e32 v14, 0, v29
	v_ashrrev_i32_e32 v21, 31, v14
	v_add_f32_e32 v15, 0, v32
	v_or_b32_e32 v21, 0x80000000, v21
	v_xor_b32_e32 v14, v21, v14
	v_ashrrev_i32_e32 v21, 31, v15
	v_or_b32_e32 v21, 0x80000000, v21
	v_xor_b32_e32 v15, v21, v15
	v_cmp_le_u32_e64 s[8:9], v14, v15
	s_and_b64 s[44:45], s[8:9], exec
.LBB1339_145:
	s_or_b64 exec, exec, s[28:29]
	s_orn2_b64 s[28:29], s[44:45], exec
.LBB1339_146:
	s_or_b64 exec, exec, s[42:43]
	v_cndmask_b32_e64 v14, v16, v20, s[28:29]
	v_cndmask_b32_e64 v15, v50, v37, s[28:29]
	v_add_u32_e32 v21, 1, v14
	v_add_u32_e32 v15, -1, v15
	v_min_u32_e32 v15, v21, v15
	v_lshl_add_u32 v15, v15, 2, v31
	ds_read_b32 v22, v15
	v_lshl_add_u32 v14, v14, 3, v30
	ds_read_b64 v[14:15], v14 offset:8192
	v_cndmask_b32_e64 v16, v21, v16, s[28:29]
	v_cndmask_b32_e64 v23, v20, v21, s[28:29]
	s_waitcnt lgkmcnt(1)
	v_cndmask_b32_e64 v26, v22, v29, s[28:29]
	v_cndmask_b32_e64 v33, v32, v22, s[28:29]
	v_cmp_lt_u32_e64 s[8:9], v16, v50
	s_and_saveexec_b64 s[42:43], s[8:9]
	s_cbranch_execz .LBB1339_150
; %bb.147:
	v_cmp_lt_u32_e64 s[8:9], v23, v37
	s_mov_b64 s[44:45], 0
	s_and_saveexec_b64 s[40:41], s[8:9]
	s_cbranch_execz .LBB1339_149
; %bb.148:
	v_add_f32_e32 v20, 0, v26
	v_ashrrev_i32_e32 v22, 31, v20
	v_add_f32_e32 v21, 0, v33
	v_or_b32_e32 v22, 0x80000000, v22
	v_xor_b32_e32 v20, v22, v20
	v_ashrrev_i32_e32 v22, 31, v21
	v_or_b32_e32 v22, 0x80000000, v22
	v_xor_b32_e32 v21, v22, v21
	v_cmp_le_u32_e64 s[8:9], v20, v21
	s_and_b64 s[44:45], s[8:9], exec
.LBB1339_149:
	s_or_b64 exec, exec, s[40:41]
	s_orn2_b64 s[40:41], s[44:45], exec
.LBB1339_150:
	s_or_b64 exec, exec, s[42:43]
	v_cndmask_b32_e64 v20, v16, v23, s[40:41]
	v_cndmask_b32_e64 v21, v50, v37, s[40:41]
	v_add_u32_e32 v24, 1, v20
	v_add_u32_e32 v21, -1, v21
	v_min_u32_e32 v21, v24, v21
	v_lshl_add_u32 v21, v21, 2, v31
	ds_read_b32 v22, v21
	v_lshl_add_u32 v20, v20, 3, v30
	ds_read_b64 v[20:21], v20 offset:8192
	v_cndmask_b32_e64 v23, v23, v24, s[40:41]
	s_mov_b64 s[44:45], -1
	s_waitcnt lgkmcnt(1)
	v_cndmask_b32_e64 v27, v22, v26, s[40:41]
	v_cndmask_b32_e64 v53, v33, v22, s[40:41]
	;; [unrolled: 1-line block ×3, first 2 shown]
	v_cmp_lt_u32_e64 s[8:9], v22, v50
	s_mov_b64 s[42:43], -1
	s_and_saveexec_b64 s[46:47], s[8:9]
	s_cbranch_execz .LBB1339_154
; %bb.151:
	v_cmp_lt_u32_e64 s[8:9], v23, v37
	s_mov_b64 s[56:57], 0
	s_and_saveexec_b64 s[42:43], s[8:9]
	s_cbranch_execz .LBB1339_153
; %bb.152:
	v_add_f32_e32 v16, 0, v27
	v_ashrrev_i32_e32 v25, 31, v16
	v_add_f32_e32 v24, 0, v53
	v_or_b32_e32 v25, 0x80000000, v25
	v_xor_b32_e32 v16, v25, v16
	v_ashrrev_i32_e32 v25, 31, v24
	v_or_b32_e32 v25, 0x80000000, v25
	v_xor_b32_e32 v24, v25, v24
	v_cmp_le_u32_e64 s[8:9], v16, v24
	s_and_b64 s[56:57], s[8:9], exec
.LBB1339_153:
	s_or_b64 exec, exec, s[42:43]
	s_orn2_b64 s[42:43], s[56:57], exec
.LBB1339_154:
	s_or_b64 exec, exec, s[46:47]
	v_cndmask_b32_e64 v16, v22, v23, s[42:43]
	v_cndmask_b32_e64 v24, v50, v37, s[42:43]
	v_add_u32_e32 v55, 1, v16
	v_add_u32_e32 v24, -1, v24
	v_min_u32_e32 v24, v55, v24
	v_lshl_add_u32 v24, v24, 2, v31
	ds_read_b32 v54, v24
	v_lshl_add_u32 v16, v16, 3, v30
	ds_read_b64 v[24:25], v16 offset:8192
	v_cndmask_b32_e64 v65, v55, v22, s[42:43]
	v_cndmask_b32_e64 v66, v23, v55, s[42:43]
	s_waitcnt lgkmcnt(1)
	v_cndmask_b32_e64 v16, v54, v27, s[42:43]
	v_cndmask_b32_e64 v54, v53, v54, s[42:43]
	v_cmp_lt_u32_e64 s[8:9], v65, v50
	s_and_saveexec_b64 s[46:47], s[8:9]
	s_cbranch_execz .LBB1339_158
; %bb.155:
	v_cmp_lt_u32_e64 s[8:9], v66, v37
	s_mov_b64 s[56:57], 0
	s_and_saveexec_b64 s[44:45], s[8:9]
	s_cbranch_execz .LBB1339_157
; %bb.156:
	v_add_f32_e32 v22, 0, v16
	v_ashrrev_i32_e32 v55, 31, v22
	v_add_f32_e32 v23, 0, v54
	v_or_b32_e32 v55, 0x80000000, v55
	v_xor_b32_e32 v22, v55, v22
	v_ashrrev_i32_e32 v55, 31, v23
	v_or_b32_e32 v55, 0x80000000, v55
	v_xor_b32_e32 v23, v55, v23
	v_cmp_le_u32_e64 s[8:9], v22, v23
	s_and_b64 s[56:57], s[8:9], exec
.LBB1339_157:
	s_or_b64 exec, exec, s[44:45]
	s_orn2_b64 s[44:45], s[56:57], exec
.LBB1339_158:
	s_or_b64 exec, exec, s[46:47]
	v_cndmask_b32_e64 v22, v65, v66, s[44:45]
	v_cndmask_b32_e64 v23, v50, v37, s[44:45]
	v_add_u32_e32 v67, 1, v22
	v_add_u32_e32 v23, -1, v23
	v_min_u32_e32 v23, v67, v23
	v_lshl_add_u32 v23, v23, 2, v31
	ds_read_b32 v64, v23
	v_lshl_add_u32 v22, v22, 3, v30
	ds_read_b64 v[22:23], v22 offset:8192
	v_cndmask_b32_e64 v65, v67, v65, s[44:45]
	v_cndmask_b32_e64 v66, v66, v67, s[44:45]
	s_waitcnt lgkmcnt(1)
	v_cndmask_b32_e64 v55, v64, v16, s[44:45]
	v_cndmask_b32_e64 v64, v54, v64, s[44:45]
	v_cmp_lt_u32_e64 s[8:9], v65, v50
	s_mov_b64 s[56:57], -1
	s_and_saveexec_b64 s[46:47], s[8:9]
	s_cbranch_execz .LBB1339_162
; %bb.159:
	v_cmp_lt_u32_e64 s[8:9], v66, v37
	s_mov_b64 s[58:59], 0
	s_and_saveexec_b64 s[56:57], s[8:9]
	s_cbranch_execz .LBB1339_161
; %bb.160:
	v_add_f32_e32 v37, 0, v55
	v_ashrrev_i32_e32 v67, 31, v37
	v_add_f32_e32 v50, 0, v64
	v_or_b32_e32 v67, 0x80000000, v67
	v_xor_b32_e32 v37, v67, v37
	v_ashrrev_i32_e32 v67, 31, v50
	v_or_b32_e32 v67, 0x80000000, v67
	v_xor_b32_e32 v50, v67, v50
	v_cmp_le_u32_e64 s[8:9], v37, v50
	s_and_b64 s[58:59], s[8:9], exec
.LBB1339_161:
	s_or_b64 exec, exec, s[56:57]
	s_orn2_b64 s[56:57], s[58:59], exec
.LBB1339_162:
	s_or_b64 exec, exec, s[46:47]
	v_cndmask_b32_e64 v29, v29, v32, s[28:29]
	v_cndmask_b32_e64 v32, v65, v66, s[56:57]
	v_lshl_add_u32 v32, v32, 3, v30
	v_cndmask_b32_e64 v26, v26, v33, s[40:41]
	ds_read_b64 v[32:33], v32 offset:8192
	v_cndmask_b32_e64 v16, v16, v54, s[44:45]
	v_cndmask_b32_e64 v27, v27, v53, s[42:43]
	v_cndmask_b32_e64 v28, v28, v52, s[26:27]
	v_cndmask_b32_e64 v19, v19, v51, s[12:13]
	v_cndmask_b32_e64 v18, v18, v17, s[24:25]
	v_cndmask_b32_e64 v17, v55, v64, s[56:57]
.LBB1339_163:
	s_or_b64 exec, exec, s[22:23]
	v_add_u32_e32 v37, 0x2000, v36
	; wave barrier
	ds_write2_b64 v37, v[4:5], v[8:9] offset1:1
	v_add_u32_e32 v37, 0x2010, v36
	ds_write2_b64 v35, v[18:19], v[28:29] offset1:1
	ds_write2_b64 v37, v[12:13], v[14:15] offset1:1
	v_add_u32_e32 v37, 0x2020, v36
	ds_write2_b64 v37, v[20:21], v[24:25] offset1:1
	v_add_u32_e32 v37, 0x2030, v36
	v_and_b32_e32 v53, 0x3c0, v49
	ds_write2_b64 v35, v[26:27], v[16:17] offset0:2 offset1:3
	s_waitcnt lgkmcnt(5)
	ds_write2_b64 v37, v[22:23], v[32:33] offset1:1
	v_or_b32_e32 v37, 32, v53
	v_min_u32_e32 v37, v34, v37
	v_add_u32_e32 v50, 32, v37
	v_min_u32_e32 v50, v34, v50
	v_and_b32_e32 v51, 56, v49
	v_min_u32_e32 v54, v34, v51
	v_sub_u32_e32 v55, v37, v53
	v_sub_u32_e32 v52, v50, v37
	v_sub_u32_e64 v52, v54, v52 clamp
	v_min_u32_e32 v55, v54, v55
	v_lshl_add_u32 v51, v53, 2, v31
	v_cmp_lt_u32_e64 s[8:9], v52, v55
	; wave barrier
	s_and_saveexec_b64 s[12:13], s[8:9]
	s_cbranch_execz .LBB1339_167
; %bb.164:
	v_lshlrev_b32_e32 v64, 2, v37
	v_lshlrev_b32_e32 v65, 2, v54
	v_add3_u32 v64, v31, v64, v65
	s_mov_b64 s[22:23], 0
.LBB1339_165:                           ; =>This Inner Loop Header: Depth=1
	v_add_u32_e32 v65, v55, v52
	v_lshrrev_b32_e32 v65, 1, v65
	v_not_b32_e32 v66, v65
	v_lshl_add_u32 v67, v65, 2, v51
	v_lshl_add_u32 v66, v66, 2, v64
	ds_read_b32 v67, v67
	ds_read_b32 v66, v66
	v_add_u32_e32 v68, 1, v65
	s_waitcnt lgkmcnt(1)
	v_add_f32_e32 v67, 0, v67
	s_waitcnt lgkmcnt(0)
	v_add_f32_e32 v66, 0, v66
	v_ashrrev_i32_e32 v69, 31, v67
	v_ashrrev_i32_e32 v70, 31, v66
	v_or_b32_e32 v69, 0x80000000, v69
	v_or_b32_e32 v70, 0x80000000, v70
	v_xor_b32_e32 v67, v69, v67
	v_xor_b32_e32 v66, v70, v66
	v_cmp_gt_u32_e64 s[8:9], v66, v67
	v_cndmask_b32_e64 v55, v55, v65, s[8:9]
	v_cndmask_b32_e64 v52, v68, v52, s[8:9]
	v_cmp_ge_u32_e64 s[8:9], v52, v55
	s_or_b64 s[22:23], s[8:9], s[22:23]
	s_andn2_b64 exec, exec, s[22:23]
	s_cbranch_execnz .LBB1339_165
; %bb.166:
	s_or_b64 exec, exec, s[22:23]
.LBB1339_167:
	s_or_b64 exec, exec, s[12:13]
	v_add_u32_e32 v54, v37, v54
	v_add_u32_e32 v53, v52, v53
	v_sub_u32_e32 v54, v54, v52
	v_cmp_le_u32_e64 s[8:9], v53, v37
	v_cmp_le_u32_e64 s[12:13], v54, v50
	s_or_b64 s[8:9], s[8:9], s[12:13]
	s_and_saveexec_b64 s[22:23], s[8:9]
	s_cbranch_execz .LBB1339_203
; %bb.168:
	v_cmp_ge_u32_e64 s[8:9], v53, v37
	v_cmp_lt_u32_e64 s[12:13], v53, v37
                                        ; implicit-def: $vgpr17
	s_and_saveexec_b64 s[24:25], s[12:13]
; %bb.169:
	v_lshl_add_u32 v4, v52, 2, v51
	ds_read_b32 v17, v4
; %bb.170:
	s_or_b64 exec, exec, s[24:25]
	v_cmp_ge_u32_e64 s[24:25], v54, v50
	v_cmp_lt_u32_e64 s[12:13], v54, v50
                                        ; implicit-def: $vgpr18
	s_and_saveexec_b64 s[26:27], s[12:13]
; %bb.171:
	v_lshl_add_u32 v4, v54, 2, v31
	ds_read_b32 v18, v4
; %bb.172:
	s_or_b64 exec, exec, s[26:27]
	s_nor_b64 s[8:9], s[8:9], s[24:25]
	s_and_saveexec_b64 s[12:13], s[8:9]
	s_cbranch_execz .LBB1339_174
; %bb.173:
	s_waitcnt lgkmcnt(0)
	v_add_f32_e32 v4, 0, v18
	v_ashrrev_i32_e32 v8, 31, v4
	v_add_f32_e32 v5, 0, v17
	v_or_b32_e32 v8, 0x80000000, v8
	v_xor_b32_e32 v4, v8, v4
	v_ashrrev_i32_e32 v8, 31, v5
	v_or_b32_e32 v8, 0x80000000, v8
	v_xor_b32_e32 v5, v8, v5
	v_cmp_le_u32_e64 s[8:9], v4, v5
	s_andn2_b64 s[24:25], s[24:25], exec
	s_and_b64 s[8:9], s[8:9], exec
	s_or_b64 s[24:25], s[24:25], s[8:9]
.LBB1339_174:
	s_or_b64 exec, exec, s[12:13]
	v_cndmask_b32_e64 v4, v54, v53, s[24:25]
	v_cndmask_b32_e64 v5, v50, v37, s[24:25]
	v_add_u32_e32 v8, 1, v4
	v_add_u32_e32 v5, -1, v5
	v_min_u32_e32 v5, v8, v5
	v_lshl_add_u32 v5, v5, 2, v31
	ds_read_b32 v9, v5
	v_lshl_add_u32 v4, v4, 3, v30
	ds_read_b64 v[4:5], v4 offset:8192
	v_cndmask_b32_e64 v12, v8, v54, s[24:25]
	v_cndmask_b32_e64 v13, v53, v8, s[24:25]
	s_waitcnt lgkmcnt(1)
	v_cndmask_b32_e64 v19, v9, v18, s[24:25]
	v_cndmask_b32_e64 v51, v17, v9, s[24:25]
	v_cmp_lt_u32_e64 s[8:9], v12, v50
	s_mov_b64 s[26:27], -1
	s_mov_b64 s[12:13], -1
	s_and_saveexec_b64 s[28:29], s[8:9]
	s_cbranch_execz .LBB1339_178
; %bb.175:
	v_cmp_lt_u32_e64 s[8:9], v13, v37
	s_mov_b64 s[40:41], 0
	s_and_saveexec_b64 s[12:13], s[8:9]
	s_cbranch_execz .LBB1339_177
; %bb.176:
	v_add_f32_e32 v8, 0, v19
	v_ashrrev_i32_e32 v14, 31, v8
	v_add_f32_e32 v9, 0, v51
	v_or_b32_e32 v14, 0x80000000, v14
	v_xor_b32_e32 v8, v14, v8
	v_ashrrev_i32_e32 v14, 31, v9
	v_or_b32_e32 v14, 0x80000000, v14
	v_xor_b32_e32 v9, v14, v9
	v_cmp_le_u32_e64 s[8:9], v8, v9
	s_and_b64 s[40:41], s[8:9], exec
.LBB1339_177:
	s_or_b64 exec, exec, s[12:13]
	s_orn2_b64 s[12:13], s[40:41], exec
.LBB1339_178:
	s_or_b64 exec, exec, s[28:29]
	v_cndmask_b32_e64 v8, v12, v13, s[12:13]
	v_cndmask_b32_e64 v9, v50, v37, s[12:13]
	v_add_u32_e32 v15, 1, v8
	v_add_u32_e32 v9, -1, v9
	v_min_u32_e32 v9, v15, v9
	v_lshl_add_u32 v9, v9, 2, v31
	ds_read_b32 v14, v9
	v_lshl_add_u32 v8, v8, 3, v30
	ds_read_b64 v[8:9], v8 offset:8192
	s_waitcnt lgkmcnt(1)
	v_cndmask_b32_e64 v28, v14, v19, s[12:13]
	v_cndmask_b32_e64 v52, v51, v14, s[12:13]
	;; [unrolled: 1-line block ×4, first 2 shown]
	v_cmp_lt_u32_e64 s[8:9], v14, v50
	s_and_saveexec_b64 s[28:29], s[8:9]
	s_cbranch_execz .LBB1339_182
; %bb.179:
	v_cmp_lt_u32_e64 s[8:9], v15, v37
	s_mov_b64 s[40:41], 0
	s_and_saveexec_b64 s[26:27], s[8:9]
	s_cbranch_execz .LBB1339_181
; %bb.180:
	v_add_f32_e32 v12, 0, v28
	v_ashrrev_i32_e32 v16, 31, v12
	v_add_f32_e32 v13, 0, v52
	v_or_b32_e32 v16, 0x80000000, v16
	v_xor_b32_e32 v12, v16, v12
	v_ashrrev_i32_e32 v16, 31, v13
	v_or_b32_e32 v16, 0x80000000, v16
	v_xor_b32_e32 v13, v16, v13
	v_cmp_le_u32_e64 s[8:9], v12, v13
	s_and_b64 s[40:41], s[8:9], exec
.LBB1339_181:
	s_or_b64 exec, exec, s[26:27]
	s_orn2_b64 s[26:27], s[40:41], exec
.LBB1339_182:
	s_or_b64 exec, exec, s[28:29]
	v_cndmask_b32_e64 v12, v14, v15, s[26:27]
	v_cndmask_b32_e64 v13, v50, v37, s[26:27]
	v_add_u32_e32 v20, 1, v12
	v_add_u32_e32 v13, -1, v13
	v_min_u32_e32 v13, v20, v13
	v_lshl_add_u32 v13, v13, 2, v31
	ds_read_b32 v16, v13
	v_lshl_add_u32 v12, v12, 3, v30
	ds_read_b64 v[12:13], v12 offset:8192
	s_mov_b64 s[40:41], -1
	s_mov_b64 s[28:29], -1
	s_waitcnt lgkmcnt(1)
	v_cndmask_b32_e64 v29, v16, v28, s[26:27]
	v_cndmask_b32_e64 v32, v52, v16, s[26:27]
	;; [unrolled: 1-line block ×4, first 2 shown]
	v_cmp_lt_u32_e64 s[8:9], v16, v50
	s_and_saveexec_b64 s[42:43], s[8:9]
	s_cbranch_execz .LBB1339_186
; %bb.183:
	v_cmp_lt_u32_e64 s[8:9], v20, v37
	s_mov_b64 s[44:45], 0
	s_and_saveexec_b64 s[28:29], s[8:9]
	s_cbranch_execz .LBB1339_185
; %bb.184:
	v_add_f32_e32 v14, 0, v29
	v_ashrrev_i32_e32 v21, 31, v14
	v_add_f32_e32 v15, 0, v32
	v_or_b32_e32 v21, 0x80000000, v21
	v_xor_b32_e32 v14, v21, v14
	v_ashrrev_i32_e32 v21, 31, v15
	v_or_b32_e32 v21, 0x80000000, v21
	v_xor_b32_e32 v15, v21, v15
	v_cmp_le_u32_e64 s[8:9], v14, v15
	s_and_b64 s[44:45], s[8:9], exec
.LBB1339_185:
	s_or_b64 exec, exec, s[28:29]
	s_orn2_b64 s[28:29], s[44:45], exec
.LBB1339_186:
	s_or_b64 exec, exec, s[42:43]
	v_cndmask_b32_e64 v14, v16, v20, s[28:29]
	v_cndmask_b32_e64 v15, v50, v37, s[28:29]
	v_add_u32_e32 v21, 1, v14
	v_add_u32_e32 v15, -1, v15
	v_min_u32_e32 v15, v21, v15
	v_lshl_add_u32 v15, v15, 2, v31
	ds_read_b32 v22, v15
	v_lshl_add_u32 v14, v14, 3, v30
	ds_read_b64 v[14:15], v14 offset:8192
	v_cndmask_b32_e64 v16, v21, v16, s[28:29]
	v_cndmask_b32_e64 v23, v20, v21, s[28:29]
	s_waitcnt lgkmcnt(1)
	v_cndmask_b32_e64 v26, v22, v29, s[28:29]
	v_cndmask_b32_e64 v33, v32, v22, s[28:29]
	v_cmp_lt_u32_e64 s[8:9], v16, v50
	s_and_saveexec_b64 s[42:43], s[8:9]
	s_cbranch_execz .LBB1339_190
; %bb.187:
	v_cmp_lt_u32_e64 s[8:9], v23, v37
	s_mov_b64 s[44:45], 0
	s_and_saveexec_b64 s[40:41], s[8:9]
	s_cbranch_execz .LBB1339_189
; %bb.188:
	v_add_f32_e32 v20, 0, v26
	v_ashrrev_i32_e32 v22, 31, v20
	v_add_f32_e32 v21, 0, v33
	v_or_b32_e32 v22, 0x80000000, v22
	v_xor_b32_e32 v20, v22, v20
	v_ashrrev_i32_e32 v22, 31, v21
	v_or_b32_e32 v22, 0x80000000, v22
	v_xor_b32_e32 v21, v22, v21
	v_cmp_le_u32_e64 s[8:9], v20, v21
	s_and_b64 s[44:45], s[8:9], exec
.LBB1339_189:
	s_or_b64 exec, exec, s[40:41]
	s_orn2_b64 s[40:41], s[44:45], exec
.LBB1339_190:
	s_or_b64 exec, exec, s[42:43]
	v_cndmask_b32_e64 v20, v16, v23, s[40:41]
	v_cndmask_b32_e64 v21, v50, v37, s[40:41]
	v_add_u32_e32 v24, 1, v20
	v_add_u32_e32 v21, -1, v21
	v_min_u32_e32 v21, v24, v21
	v_lshl_add_u32 v21, v21, 2, v31
	ds_read_b32 v22, v21
	v_lshl_add_u32 v20, v20, 3, v30
	ds_read_b64 v[20:21], v20 offset:8192
	v_cndmask_b32_e64 v23, v23, v24, s[40:41]
	s_mov_b64 s[44:45], -1
	s_waitcnt lgkmcnt(1)
	v_cndmask_b32_e64 v27, v22, v26, s[40:41]
	v_cndmask_b32_e64 v53, v33, v22, s[40:41]
	;; [unrolled: 1-line block ×3, first 2 shown]
	v_cmp_lt_u32_e64 s[8:9], v22, v50
	s_mov_b64 s[42:43], -1
	s_and_saveexec_b64 s[46:47], s[8:9]
	s_cbranch_execz .LBB1339_194
; %bb.191:
	v_cmp_lt_u32_e64 s[8:9], v23, v37
	s_mov_b64 s[56:57], 0
	s_and_saveexec_b64 s[42:43], s[8:9]
	s_cbranch_execz .LBB1339_193
; %bb.192:
	v_add_f32_e32 v16, 0, v27
	v_ashrrev_i32_e32 v25, 31, v16
	v_add_f32_e32 v24, 0, v53
	v_or_b32_e32 v25, 0x80000000, v25
	v_xor_b32_e32 v16, v25, v16
	v_ashrrev_i32_e32 v25, 31, v24
	v_or_b32_e32 v25, 0x80000000, v25
	v_xor_b32_e32 v24, v25, v24
	v_cmp_le_u32_e64 s[8:9], v16, v24
	s_and_b64 s[56:57], s[8:9], exec
.LBB1339_193:
	s_or_b64 exec, exec, s[42:43]
	s_orn2_b64 s[42:43], s[56:57], exec
.LBB1339_194:
	s_or_b64 exec, exec, s[46:47]
	v_cndmask_b32_e64 v16, v22, v23, s[42:43]
	v_cndmask_b32_e64 v24, v50, v37, s[42:43]
	v_add_u32_e32 v55, 1, v16
	v_add_u32_e32 v24, -1, v24
	v_min_u32_e32 v24, v55, v24
	v_lshl_add_u32 v24, v24, 2, v31
	ds_read_b32 v54, v24
	v_lshl_add_u32 v16, v16, 3, v30
	ds_read_b64 v[24:25], v16 offset:8192
	v_cndmask_b32_e64 v65, v55, v22, s[42:43]
	v_cndmask_b32_e64 v66, v23, v55, s[42:43]
	s_waitcnt lgkmcnt(1)
	v_cndmask_b32_e64 v16, v54, v27, s[42:43]
	v_cndmask_b32_e64 v54, v53, v54, s[42:43]
	v_cmp_lt_u32_e64 s[8:9], v65, v50
	s_and_saveexec_b64 s[46:47], s[8:9]
	s_cbranch_execz .LBB1339_198
; %bb.195:
	v_cmp_lt_u32_e64 s[8:9], v66, v37
	s_mov_b64 s[56:57], 0
	s_and_saveexec_b64 s[44:45], s[8:9]
	s_cbranch_execz .LBB1339_197
; %bb.196:
	v_add_f32_e32 v22, 0, v16
	v_ashrrev_i32_e32 v55, 31, v22
	v_add_f32_e32 v23, 0, v54
	v_or_b32_e32 v55, 0x80000000, v55
	v_xor_b32_e32 v22, v55, v22
	v_ashrrev_i32_e32 v55, 31, v23
	v_or_b32_e32 v55, 0x80000000, v55
	v_xor_b32_e32 v23, v55, v23
	v_cmp_le_u32_e64 s[8:9], v22, v23
	s_and_b64 s[56:57], s[8:9], exec
.LBB1339_197:
	s_or_b64 exec, exec, s[44:45]
	s_orn2_b64 s[44:45], s[56:57], exec
.LBB1339_198:
	s_or_b64 exec, exec, s[46:47]
	v_cndmask_b32_e64 v22, v65, v66, s[44:45]
	v_cndmask_b32_e64 v23, v50, v37, s[44:45]
	v_add_u32_e32 v67, 1, v22
	v_add_u32_e32 v23, -1, v23
	v_min_u32_e32 v23, v67, v23
	v_lshl_add_u32 v23, v23, 2, v31
	ds_read_b32 v64, v23
	v_lshl_add_u32 v22, v22, 3, v30
	ds_read_b64 v[22:23], v22 offset:8192
	v_cndmask_b32_e64 v65, v67, v65, s[44:45]
	v_cndmask_b32_e64 v66, v66, v67, s[44:45]
	s_waitcnt lgkmcnt(1)
	v_cndmask_b32_e64 v55, v64, v16, s[44:45]
	v_cndmask_b32_e64 v64, v54, v64, s[44:45]
	v_cmp_lt_u32_e64 s[8:9], v65, v50
	s_mov_b64 s[56:57], -1
	s_and_saveexec_b64 s[46:47], s[8:9]
	s_cbranch_execz .LBB1339_202
; %bb.199:
	v_cmp_lt_u32_e64 s[8:9], v66, v37
	s_mov_b64 s[58:59], 0
	s_and_saveexec_b64 s[56:57], s[8:9]
	s_cbranch_execz .LBB1339_201
; %bb.200:
	v_add_f32_e32 v37, 0, v55
	v_ashrrev_i32_e32 v67, 31, v37
	v_add_f32_e32 v50, 0, v64
	v_or_b32_e32 v67, 0x80000000, v67
	v_xor_b32_e32 v37, v67, v37
	v_ashrrev_i32_e32 v67, 31, v50
	v_or_b32_e32 v67, 0x80000000, v67
	v_xor_b32_e32 v50, v67, v50
	v_cmp_le_u32_e64 s[8:9], v37, v50
	s_and_b64 s[58:59], s[8:9], exec
.LBB1339_201:
	s_or_b64 exec, exec, s[56:57]
	s_orn2_b64 s[56:57], s[58:59], exec
.LBB1339_202:
	s_or_b64 exec, exec, s[46:47]
	v_cndmask_b32_e64 v29, v29, v32, s[28:29]
	v_cndmask_b32_e64 v32, v65, v66, s[56:57]
	v_lshl_add_u32 v32, v32, 3, v30
	v_cndmask_b32_e64 v26, v26, v33, s[40:41]
	ds_read_b64 v[32:33], v32 offset:8192
	v_cndmask_b32_e64 v16, v16, v54, s[44:45]
	v_cndmask_b32_e64 v27, v27, v53, s[42:43]
	;; [unrolled: 1-line block ×6, first 2 shown]
.LBB1339_203:
	s_or_b64 exec, exec, s[22:23]
	v_add_u32_e32 v37, 0x2000, v36
	; wave barrier
	ds_write2_b64 v37, v[4:5], v[8:9] offset1:1
	v_add_u32_e32 v37, 0x2010, v36
	ds_write2_b64 v35, v[18:19], v[28:29] offset1:1
	ds_write2_b64 v37, v[12:13], v[14:15] offset1:1
	v_add_u32_e32 v37, 0x2020, v36
	v_and_b32_e32 v49, 0x380, v49
	ds_write2_b64 v37, v[20:21], v[24:25] offset1:1
	v_add_u32_e32 v36, 0x2030, v36
	ds_write2_b64 v35, v[26:27], v[16:17] offset0:2 offset1:3
	s_waitcnt lgkmcnt(5)
	ds_write2_b64 v36, v[22:23], v[32:33] offset1:1
	v_or_b32_e32 v35, 64, v49
	v_min_u32_e32 v35, v34, v35
	v_add_u32_e32 v36, 64, v35
	v_min_u32_e32 v36, v34, v36
	v_min_u32_e32 v50, v34, v48
	v_sub_u32_e32 v48, v35, v49
	v_sub_u32_e32 v37, v36, v35
	v_sub_u32_e64 v37, v50, v37 clamp
	v_min_u32_e32 v48, v50, v48
	v_lshl_add_u32 v34, v49, 2, v31
	v_cmp_lt_u32_e64 s[8:9], v37, v48
	; wave barrier
	s_and_saveexec_b64 s[12:13], s[8:9]
	s_cbranch_execz .LBB1339_207
; %bb.204:
	v_lshlrev_b32_e32 v51, 2, v35
	v_lshlrev_b32_e32 v52, 2, v50
	v_add3_u32 v51, v31, v51, v52
	s_mov_b64 s[22:23], 0
.LBB1339_205:                           ; =>This Inner Loop Header: Depth=1
	v_add_u32_e32 v52, v48, v37
	v_lshrrev_b32_e32 v52, 1, v52
	v_not_b32_e32 v53, v52
	v_lshl_add_u32 v54, v52, 2, v34
	v_lshl_add_u32 v53, v53, 2, v51
	ds_read_b32 v54, v54
	ds_read_b32 v53, v53
	v_add_u32_e32 v55, 1, v52
	s_waitcnt lgkmcnt(1)
	v_add_f32_e32 v54, 0, v54
	s_waitcnt lgkmcnt(0)
	v_add_f32_e32 v53, 0, v53
	v_ashrrev_i32_e32 v64, 31, v54
	v_ashrrev_i32_e32 v65, 31, v53
	v_or_b32_e32 v64, 0x80000000, v64
	v_or_b32_e32 v65, 0x80000000, v65
	v_xor_b32_e32 v54, v64, v54
	v_xor_b32_e32 v53, v65, v53
	v_cmp_gt_u32_e64 s[8:9], v53, v54
	v_cndmask_b32_e64 v48, v48, v52, s[8:9]
	v_cndmask_b32_e64 v37, v55, v37, s[8:9]
	v_cmp_ge_u32_e64 s[8:9], v37, v48
	s_or_b64 s[22:23], s[8:9], s[22:23]
	s_andn2_b64 exec, exec, s[22:23]
	s_cbranch_execnz .LBB1339_205
; %bb.206:
	s_or_b64 exec, exec, s[22:23]
.LBB1339_207:
	s_or_b64 exec, exec, s[12:13]
	v_add_u32_e32 v48, v37, v49
	v_add_u32_e32 v49, v35, v50
	v_sub_u32_e32 v49, v49, v37
	v_cmp_le_u32_e64 s[8:9], v48, v35
	v_cmp_le_u32_e64 s[12:13], v49, v36
	s_or_b64 s[8:9], s[8:9], s[12:13]
	s_and_saveexec_b64 s[22:23], s[8:9]
	s_cbranch_execz .LBB1339_243
; %bb.208:
	v_cmp_ge_u32_e64 s[8:9], v48, v35
	v_cmp_lt_u32_e64 s[12:13], v48, v35
                                        ; implicit-def: $vgpr17
	s_and_saveexec_b64 s[24:25], s[12:13]
; %bb.209:
	v_lshl_add_u32 v4, v37, 2, v34
	ds_read_b32 v17, v4
; %bb.210:
	s_or_b64 exec, exec, s[24:25]
	v_cmp_ge_u32_e64 s[24:25], v49, v36
	v_cmp_lt_u32_e64 s[12:13], v49, v36
                                        ; implicit-def: $vgpr18
	s_and_saveexec_b64 s[26:27], s[12:13]
; %bb.211:
	v_lshl_add_u32 v4, v49, 2, v31
	ds_read_b32 v18, v4
; %bb.212:
	s_or_b64 exec, exec, s[26:27]
	s_nor_b64 s[8:9], s[8:9], s[24:25]
	s_and_saveexec_b64 s[12:13], s[8:9]
	s_cbranch_execz .LBB1339_214
; %bb.213:
	s_waitcnt lgkmcnt(0)
	v_add_f32_e32 v4, 0, v18
	v_ashrrev_i32_e32 v8, 31, v4
	v_add_f32_e32 v5, 0, v17
	v_or_b32_e32 v8, 0x80000000, v8
	v_xor_b32_e32 v4, v8, v4
	v_ashrrev_i32_e32 v8, 31, v5
	v_or_b32_e32 v8, 0x80000000, v8
	v_xor_b32_e32 v5, v8, v5
	v_cmp_le_u32_e64 s[8:9], v4, v5
	s_andn2_b64 s[24:25], s[24:25], exec
	s_and_b64 s[8:9], s[8:9], exec
	s_or_b64 s[24:25], s[24:25], s[8:9]
.LBB1339_214:
	s_or_b64 exec, exec, s[12:13]
	v_cndmask_b32_e64 v4, v49, v48, s[24:25]
	v_cndmask_b32_e64 v5, v36, v35, s[24:25]
	v_add_u32_e32 v8, 1, v4
	v_add_u32_e32 v5, -1, v5
	v_min_u32_e32 v5, v8, v5
	v_lshl_add_u32 v5, v5, 2, v31
	ds_read_b32 v9, v5
	v_lshl_add_u32 v4, v4, 3, v30
	ds_read_b64 v[4:5], v4 offset:8192
	v_cndmask_b32_e64 v12, v8, v49, s[24:25]
	v_cndmask_b32_e64 v13, v48, v8, s[24:25]
	s_waitcnt lgkmcnt(1)
	v_cndmask_b32_e64 v19, v9, v18, s[24:25]
	v_cndmask_b32_e64 v34, v17, v9, s[24:25]
	v_cmp_lt_u32_e64 s[8:9], v12, v36
	s_mov_b64 s[26:27], -1
	s_mov_b64 s[12:13], -1
	s_and_saveexec_b64 s[28:29], s[8:9]
	s_cbranch_execz .LBB1339_218
; %bb.215:
	v_cmp_lt_u32_e64 s[8:9], v13, v35
	s_mov_b64 s[40:41], 0
	s_and_saveexec_b64 s[12:13], s[8:9]
	s_cbranch_execz .LBB1339_217
; %bb.216:
	v_add_f32_e32 v8, 0, v19
	v_ashrrev_i32_e32 v14, 31, v8
	v_add_f32_e32 v9, 0, v34
	v_or_b32_e32 v14, 0x80000000, v14
	v_xor_b32_e32 v8, v14, v8
	v_ashrrev_i32_e32 v14, 31, v9
	v_or_b32_e32 v14, 0x80000000, v14
	v_xor_b32_e32 v9, v14, v9
	v_cmp_le_u32_e64 s[8:9], v8, v9
	s_and_b64 s[40:41], s[8:9], exec
.LBB1339_217:
	s_or_b64 exec, exec, s[12:13]
	s_orn2_b64 s[12:13], s[40:41], exec
.LBB1339_218:
	s_or_b64 exec, exec, s[28:29]
	v_cndmask_b32_e64 v8, v12, v13, s[12:13]
	v_cndmask_b32_e64 v9, v36, v35, s[12:13]
	v_add_u32_e32 v15, 1, v8
	v_add_u32_e32 v9, -1, v9
	v_min_u32_e32 v9, v15, v9
	v_lshl_add_u32 v9, v9, 2, v31
	ds_read_b32 v14, v9
	v_lshl_add_u32 v8, v8, 3, v30
	ds_read_b64 v[8:9], v8 offset:8192
	s_waitcnt lgkmcnt(1)
	v_cndmask_b32_e64 v28, v14, v19, s[12:13]
	v_cndmask_b32_e64 v37, v34, v14, s[12:13]
	;; [unrolled: 1-line block ×4, first 2 shown]
	v_cmp_lt_u32_e64 s[8:9], v14, v36
	s_and_saveexec_b64 s[28:29], s[8:9]
	s_cbranch_execz .LBB1339_222
; %bb.219:
	v_cmp_lt_u32_e64 s[8:9], v15, v35
	s_mov_b64 s[40:41], 0
	s_and_saveexec_b64 s[26:27], s[8:9]
	s_cbranch_execz .LBB1339_221
; %bb.220:
	v_add_f32_e32 v12, 0, v28
	v_ashrrev_i32_e32 v16, 31, v12
	v_add_f32_e32 v13, 0, v37
	v_or_b32_e32 v16, 0x80000000, v16
	v_xor_b32_e32 v12, v16, v12
	v_ashrrev_i32_e32 v16, 31, v13
	v_or_b32_e32 v16, 0x80000000, v16
	v_xor_b32_e32 v13, v16, v13
	v_cmp_le_u32_e64 s[8:9], v12, v13
	s_and_b64 s[40:41], s[8:9], exec
.LBB1339_221:
	s_or_b64 exec, exec, s[26:27]
	s_orn2_b64 s[26:27], s[40:41], exec
.LBB1339_222:
	s_or_b64 exec, exec, s[28:29]
	v_cndmask_b32_e64 v12, v14, v15, s[26:27]
	v_cndmask_b32_e64 v13, v36, v35, s[26:27]
	v_add_u32_e32 v20, 1, v12
	v_add_u32_e32 v13, -1, v13
	v_min_u32_e32 v13, v20, v13
	v_lshl_add_u32 v13, v13, 2, v31
	ds_read_b32 v16, v13
	v_lshl_add_u32 v12, v12, 3, v30
	ds_read_b64 v[12:13], v12 offset:8192
	s_mov_b64 s[40:41], -1
	s_mov_b64 s[28:29], -1
	s_waitcnt lgkmcnt(1)
	v_cndmask_b32_e64 v29, v16, v28, s[26:27]
	v_cndmask_b32_e64 v32, v37, v16, s[26:27]
	;; [unrolled: 1-line block ×4, first 2 shown]
	v_cmp_lt_u32_e64 s[8:9], v16, v36
	s_and_saveexec_b64 s[42:43], s[8:9]
	s_cbranch_execz .LBB1339_226
; %bb.223:
	v_cmp_lt_u32_e64 s[8:9], v20, v35
	s_mov_b64 s[44:45], 0
	s_and_saveexec_b64 s[28:29], s[8:9]
	s_cbranch_execz .LBB1339_225
; %bb.224:
	v_add_f32_e32 v14, 0, v29
	v_ashrrev_i32_e32 v21, 31, v14
	v_add_f32_e32 v15, 0, v32
	v_or_b32_e32 v21, 0x80000000, v21
	v_xor_b32_e32 v14, v21, v14
	v_ashrrev_i32_e32 v21, 31, v15
	v_or_b32_e32 v21, 0x80000000, v21
	v_xor_b32_e32 v15, v21, v15
	v_cmp_le_u32_e64 s[8:9], v14, v15
	s_and_b64 s[44:45], s[8:9], exec
.LBB1339_225:
	s_or_b64 exec, exec, s[28:29]
	s_orn2_b64 s[28:29], s[44:45], exec
.LBB1339_226:
	s_or_b64 exec, exec, s[42:43]
	v_cndmask_b32_e64 v14, v16, v20, s[28:29]
	v_cndmask_b32_e64 v15, v36, v35, s[28:29]
	v_add_u32_e32 v21, 1, v14
	v_add_u32_e32 v15, -1, v15
	v_min_u32_e32 v15, v21, v15
	v_lshl_add_u32 v15, v15, 2, v31
	ds_read_b32 v22, v15
	v_lshl_add_u32 v14, v14, 3, v30
	ds_read_b64 v[14:15], v14 offset:8192
	v_cndmask_b32_e64 v16, v21, v16, s[28:29]
	v_cndmask_b32_e64 v23, v20, v21, s[28:29]
	s_waitcnt lgkmcnt(1)
	v_cndmask_b32_e64 v26, v22, v29, s[28:29]
	v_cndmask_b32_e64 v33, v32, v22, s[28:29]
	v_cmp_lt_u32_e64 s[8:9], v16, v36
	s_and_saveexec_b64 s[42:43], s[8:9]
	s_cbranch_execz .LBB1339_230
; %bb.227:
	v_cmp_lt_u32_e64 s[8:9], v23, v35
	s_mov_b64 s[44:45], 0
	s_and_saveexec_b64 s[40:41], s[8:9]
	s_cbranch_execz .LBB1339_229
; %bb.228:
	v_add_f32_e32 v20, 0, v26
	v_ashrrev_i32_e32 v22, 31, v20
	v_add_f32_e32 v21, 0, v33
	v_or_b32_e32 v22, 0x80000000, v22
	v_xor_b32_e32 v20, v22, v20
	v_ashrrev_i32_e32 v22, 31, v21
	v_or_b32_e32 v22, 0x80000000, v22
	v_xor_b32_e32 v21, v22, v21
	v_cmp_le_u32_e64 s[8:9], v20, v21
	s_and_b64 s[44:45], s[8:9], exec
.LBB1339_229:
	s_or_b64 exec, exec, s[40:41]
	s_orn2_b64 s[40:41], s[44:45], exec
.LBB1339_230:
	s_or_b64 exec, exec, s[42:43]
	v_cndmask_b32_e64 v20, v16, v23, s[40:41]
	v_cndmask_b32_e64 v21, v36, v35, s[40:41]
	v_add_u32_e32 v24, 1, v20
	v_add_u32_e32 v21, -1, v21
	v_min_u32_e32 v21, v24, v21
	v_lshl_add_u32 v21, v21, 2, v31
	ds_read_b32 v22, v21
	v_lshl_add_u32 v20, v20, 3, v30
	ds_read_b64 v[20:21], v20 offset:8192
	v_cndmask_b32_e64 v23, v23, v24, s[40:41]
	s_mov_b64 s[44:45], -1
	s_waitcnt lgkmcnt(1)
	v_cndmask_b32_e64 v27, v22, v26, s[40:41]
	v_cndmask_b32_e64 v48, v33, v22, s[40:41]
	;; [unrolled: 1-line block ×3, first 2 shown]
	v_cmp_lt_u32_e64 s[8:9], v22, v36
	s_mov_b64 s[42:43], -1
	s_and_saveexec_b64 s[46:47], s[8:9]
	s_cbranch_execz .LBB1339_234
; %bb.231:
	v_cmp_lt_u32_e64 s[8:9], v23, v35
	s_mov_b64 s[56:57], 0
	s_and_saveexec_b64 s[42:43], s[8:9]
	s_cbranch_execz .LBB1339_233
; %bb.232:
	v_add_f32_e32 v16, 0, v27
	v_ashrrev_i32_e32 v25, 31, v16
	v_add_f32_e32 v24, 0, v48
	v_or_b32_e32 v25, 0x80000000, v25
	v_xor_b32_e32 v16, v25, v16
	v_ashrrev_i32_e32 v25, 31, v24
	v_or_b32_e32 v25, 0x80000000, v25
	v_xor_b32_e32 v24, v25, v24
	v_cmp_le_u32_e64 s[8:9], v16, v24
	s_and_b64 s[56:57], s[8:9], exec
.LBB1339_233:
	s_or_b64 exec, exec, s[42:43]
	s_orn2_b64 s[42:43], s[56:57], exec
.LBB1339_234:
	s_or_b64 exec, exec, s[46:47]
	v_cndmask_b32_e64 v16, v22, v23, s[42:43]
	v_cndmask_b32_e64 v24, v36, v35, s[42:43]
	v_add_u32_e32 v50, 1, v16
	v_add_u32_e32 v24, -1, v24
	v_min_u32_e32 v24, v50, v24
	v_lshl_add_u32 v24, v24, 2, v31
	ds_read_b32 v49, v24
	v_lshl_add_u32 v16, v16, 3, v30
	ds_read_b64 v[24:25], v16 offset:8192
	v_cndmask_b32_e64 v51, v50, v22, s[42:43]
	v_cndmask_b32_e64 v52, v23, v50, s[42:43]
	s_waitcnt lgkmcnt(1)
	v_cndmask_b32_e64 v16, v49, v27, s[42:43]
	v_cndmask_b32_e64 v49, v48, v49, s[42:43]
	v_cmp_lt_u32_e64 s[8:9], v51, v36
	s_and_saveexec_b64 s[46:47], s[8:9]
	s_cbranch_execz .LBB1339_238
; %bb.235:
	v_cmp_lt_u32_e64 s[8:9], v52, v35
	s_mov_b64 s[56:57], 0
	s_and_saveexec_b64 s[44:45], s[8:9]
	s_cbranch_execz .LBB1339_237
; %bb.236:
	v_add_f32_e32 v22, 0, v16
	v_ashrrev_i32_e32 v50, 31, v22
	v_add_f32_e32 v23, 0, v49
	v_or_b32_e32 v50, 0x80000000, v50
	v_xor_b32_e32 v22, v50, v22
	v_ashrrev_i32_e32 v50, 31, v23
	v_or_b32_e32 v50, 0x80000000, v50
	v_xor_b32_e32 v23, v50, v23
	v_cmp_le_u32_e64 s[8:9], v22, v23
	s_and_b64 s[56:57], s[8:9], exec
.LBB1339_237:
	s_or_b64 exec, exec, s[44:45]
	s_orn2_b64 s[44:45], s[56:57], exec
.LBB1339_238:
	s_or_b64 exec, exec, s[46:47]
	v_cndmask_b32_e64 v22, v51, v52, s[44:45]
	v_cndmask_b32_e64 v23, v36, v35, s[44:45]
	v_add_u32_e32 v53, 1, v22
	v_add_u32_e32 v23, -1, v23
	v_min_u32_e32 v23, v53, v23
	v_lshl_add_u32 v23, v23, 2, v31
	ds_read_b32 v50, v23
	v_lshl_add_u32 v22, v22, 3, v30
	ds_read_b64 v[22:23], v22 offset:8192
	v_cndmask_b32_e64 v51, v53, v51, s[44:45]
	v_cndmask_b32_e64 v52, v52, v53, s[44:45]
	s_waitcnt lgkmcnt(1)
	v_cndmask_b32_e64 v31, v50, v16, s[44:45]
	v_cndmask_b32_e64 v50, v49, v50, s[44:45]
	v_cmp_lt_u32_e64 s[8:9], v51, v36
	s_mov_b64 s[56:57], -1
	s_and_saveexec_b64 s[46:47], s[8:9]
	s_cbranch_execz .LBB1339_242
; %bb.239:
	v_cmp_lt_u32_e64 s[8:9], v52, v35
	s_mov_b64 s[58:59], 0
	s_and_saveexec_b64 s[56:57], s[8:9]
	s_cbranch_execz .LBB1339_241
; %bb.240:
	v_add_f32_e32 v35, 0, v31
	v_ashrrev_i32_e32 v53, 31, v35
	v_add_f32_e32 v36, 0, v50
	v_or_b32_e32 v53, 0x80000000, v53
	v_xor_b32_e32 v35, v53, v35
	v_ashrrev_i32_e32 v53, 31, v36
	v_or_b32_e32 v53, 0x80000000, v53
	v_xor_b32_e32 v36, v53, v36
	v_cmp_le_u32_e64 s[8:9], v35, v36
	s_and_b64 s[58:59], s[8:9], exec
.LBB1339_241:
	s_or_b64 exec, exec, s[56:57]
	s_orn2_b64 s[56:57], s[58:59], exec
.LBB1339_242:
	s_or_b64 exec, exec, s[46:47]
	v_cndmask_b32_e64 v29, v29, v32, s[28:29]
	v_cndmask_b32_e64 v32, v51, v52, s[56:57]
	v_lshl_add_u32 v30, v32, 3, v30
	v_cndmask_b32_e64 v26, v26, v33, s[40:41]
	ds_read_b64 v[32:33], v30 offset:8192
	v_cndmask_b32_e64 v16, v16, v49, s[44:45]
	v_cndmask_b32_e64 v27, v27, v48, s[42:43]
	;; [unrolled: 1-line block ×6, first 2 shown]
.LBB1339_243:
	s_or_b64 exec, exec, s[22:23]
	v_add_co_u32_e64 v2, s[8:9], v2, v10
	v_addc_co_u32_e64 v3, s[8:9], v3, v11, s[8:9]
	v_add_co_u32_e64 v2, s[8:9], v2, v38
	v_addc_co_u32_e64 v3, s[8:9], 0, v3, s[8:9]
	; wave barrier
	s_waitcnt lgkmcnt(0)
	s_barrier
	; wave barrier
	s_and_saveexec_b64 s[8:9], vcc
	s_cbranch_execnz .LBB1339_268
; %bb.244:
	s_or_b64 exec, exec, s[8:9]
	s_and_saveexec_b64 s[8:9], s[4:5]
	s_cbranch_execnz .LBB1339_269
.LBB1339_245:
	s_or_b64 exec, exec, s[8:9]
	s_and_saveexec_b64 s[8:9], s[6:7]
	s_cbranch_execnz .LBB1339_270
.LBB1339_246:
	s_or_b64 exec, exec, s[8:9]
	s_and_saveexec_b64 s[8:9], s[18:19]
	s_cbranch_execnz .LBB1339_271
.LBB1339_247:
	s_or_b64 exec, exec, s[8:9]
	s_and_saveexec_b64 s[8:9], s[10:11]
	s_cbranch_execnz .LBB1339_272
.LBB1339_248:
	s_or_b64 exec, exec, s[8:9]
	s_and_saveexec_b64 s[8:9], s[20:21]
	s_cbranch_execnz .LBB1339_273
.LBB1339_249:
	s_or_b64 exec, exec, s[8:9]
	s_and_saveexec_b64 s[8:9], s[14:15]
	s_cbranch_execnz .LBB1339_274
.LBB1339_250:
	s_or_b64 exec, exec, s[8:9]
	s_and_saveexec_b64 s[8:9], s[16:17]
	s_cbranch_execz .LBB1339_252
.LBB1339_251:
	flat_store_dword v[2:3], v17 offset:28
.LBB1339_252:
	s_or_b64 exec, exec, s[8:9]
	v_add_co_u32_e64 v0, s[8:9], v6, v0
	v_addc_co_u32_e64 v1, s[8:9], v7, v1, s[8:9]
	v_add_co_u32_e64 v0, s[8:9], v0, v39
	v_addc_co_u32_e64 v1, s[8:9], 0, v1, s[8:9]
	; wave barrier
	s_and_saveexec_b64 s[8:9], vcc
	s_cbranch_execnz .LBB1339_275
; %bb.253:
	s_or_b64 exec, exec, s[8:9]
	s_and_saveexec_b64 s[8:9], s[4:5]
	s_cbranch_execnz .LBB1339_276
.LBB1339_254:
	s_or_b64 exec, exec, s[8:9]
	s_and_saveexec_b64 s[4:5], s[6:7]
	s_cbranch_execnz .LBB1339_277
.LBB1339_255:
	s_or_b64 exec, exec, s[4:5]
	s_and_saveexec_b64 s[4:5], s[18:19]
	s_cbranch_execnz .LBB1339_278
.LBB1339_256:
	s_or_b64 exec, exec, s[4:5]
	s_and_saveexec_b64 s[4:5], s[10:11]
	s_cbranch_execnz .LBB1339_279
.LBB1339_257:
	s_or_b64 exec, exec, s[4:5]
	s_and_saveexec_b64 s[4:5], s[20:21]
	s_cbranch_execnz .LBB1339_280
.LBB1339_258:
	s_or_b64 exec, exec, s[4:5]
	s_and_saveexec_b64 s[4:5], s[14:15]
	s_cbranch_execnz .LBB1339_281
.LBB1339_259:
	s_or_b64 exec, exec, s[4:5]
	s_and_saveexec_b64 s[4:5], s[16:17]
	s_cbranch_execnz .LBB1339_282
.LBB1339_260:
	s_or_b64 exec, exec, s[4:5]
	s_waitcnt vmcnt(0) lgkmcnt(0)
	s_setpc_b64 s[30:31]
.LBB1339_261:
	flat_load_dwordx2 v[4:5], v[34:35]
	s_or_b64 exec, exec, s[22:23]
	s_and_saveexec_b64 s[22:23], s[4:5]
                                        ; implicit-def: $vgpr8_vgpr9
	s_cbranch_execz .LBB1339_18
.LBB1339_262:
	flat_load_dwordx2 v[8:9], v[34:35] offset:8
	s_or_b64 exec, exec, s[22:23]
                                        ; implicit-def: $vgpr12_vgpr13
	s_and_saveexec_b64 s[22:23], s[6:7]
	s_cbranch_execz .LBB1339_19
.LBB1339_263:
	flat_load_dwordx2 v[12:13], v[34:35] offset:16
	s_or_b64 exec, exec, s[22:23]
	s_and_saveexec_b64 s[22:23], s[18:19]
                                        ; implicit-def: $vgpr14_vgpr15
	s_cbranch_execz .LBB1339_20
.LBB1339_264:
	flat_load_dwordx2 v[14:15], v[34:35] offset:24
	s_or_b64 exec, exec, s[22:23]
                                        ; implicit-def: $vgpr20_vgpr21
	s_and_saveexec_b64 s[22:23], s[10:11]
	s_cbranch_execz .LBB1339_21
.LBB1339_265:
	flat_load_dwordx2 v[20:21], v[34:35] offset:32
	s_or_b64 exec, exec, s[22:23]
	s_and_saveexec_b64 s[22:23], s[20:21]
                                        ; implicit-def: $vgpr24_vgpr25
	s_cbranch_execz .LBB1339_22
.LBB1339_266:
	flat_load_dwordx2 v[24:25], v[34:35] offset:40
	s_or_b64 exec, exec, s[22:23]
                                        ; implicit-def: $vgpr22_vgpr23
	s_and_saveexec_b64 s[22:23], s[14:15]
	s_cbranch_execz .LBB1339_23
.LBB1339_267:
	flat_load_dwordx2 v[22:23], v[34:35] offset:48
	s_or_b64 exec, exec, s[22:23]
	s_and_saveexec_b64 s[22:23], s[16:17]
                                        ; implicit-def: $vgpr32_vgpr33
	s_cbranch_execnz .LBB1339_24
	s_branch .LBB1339_25
.LBB1339_268:
	flat_store_dword v[2:3], v18
	s_or_b64 exec, exec, s[8:9]
	s_and_saveexec_b64 s[8:9], s[4:5]
	s_cbranch_execz .LBB1339_245
.LBB1339_269:
	flat_store_dword v[2:3], v19 offset:4
	s_or_b64 exec, exec, s[8:9]
	s_and_saveexec_b64 s[8:9], s[6:7]
	s_cbranch_execz .LBB1339_246
.LBB1339_270:
	flat_store_dword v[2:3], v28 offset:8
	s_or_b64 exec, exec, s[8:9]
	s_and_saveexec_b64 s[8:9], s[18:19]
	s_cbranch_execz .LBB1339_247
.LBB1339_271:
	flat_store_dword v[2:3], v29 offset:12
	s_or_b64 exec, exec, s[8:9]
	s_and_saveexec_b64 s[8:9], s[10:11]
	s_cbranch_execz .LBB1339_248
.LBB1339_272:
	flat_store_dword v[2:3], v26 offset:16
	s_or_b64 exec, exec, s[8:9]
	s_and_saveexec_b64 s[8:9], s[20:21]
	s_cbranch_execz .LBB1339_249
.LBB1339_273:
	flat_store_dword v[2:3], v27 offset:20
	s_or_b64 exec, exec, s[8:9]
	s_and_saveexec_b64 s[8:9], s[14:15]
	s_cbranch_execz .LBB1339_250
.LBB1339_274:
	flat_store_dword v[2:3], v16 offset:24
	s_or_b64 exec, exec, s[8:9]
	s_and_saveexec_b64 s[8:9], s[16:17]
	s_cbranch_execnz .LBB1339_251
	s_branch .LBB1339_252
.LBB1339_275:
	flat_store_dwordx2 v[0:1], v[4:5]
	s_or_b64 exec, exec, s[8:9]
	s_and_saveexec_b64 s[8:9], s[4:5]
	s_cbranch_execz .LBB1339_254
.LBB1339_276:
	flat_store_dwordx2 v[0:1], v[8:9] offset:8
	s_or_b64 exec, exec, s[8:9]
	s_and_saveexec_b64 s[4:5], s[6:7]
	s_cbranch_execz .LBB1339_255
.LBB1339_277:
	flat_store_dwordx2 v[0:1], v[12:13] offset:16
	s_or_b64 exec, exec, s[4:5]
	s_and_saveexec_b64 s[4:5], s[18:19]
	s_cbranch_execz .LBB1339_256
.LBB1339_278:
	flat_store_dwordx2 v[0:1], v[14:15] offset:24
	s_or_b64 exec, exec, s[4:5]
	s_and_saveexec_b64 s[4:5], s[10:11]
	s_cbranch_execz .LBB1339_257
.LBB1339_279:
	flat_store_dwordx2 v[0:1], v[20:21] offset:32
	s_or_b64 exec, exec, s[4:5]
	s_and_saveexec_b64 s[4:5], s[20:21]
	s_cbranch_execz .LBB1339_258
.LBB1339_280:
	flat_store_dwordx2 v[0:1], v[24:25] offset:40
	s_or_b64 exec, exec, s[4:5]
	s_and_saveexec_b64 s[4:5], s[14:15]
	s_cbranch_execz .LBB1339_259
.LBB1339_281:
	flat_store_dwordx2 v[0:1], v[22:23] offset:48
	s_or_b64 exec, exec, s[4:5]
	s_and_saveexec_b64 s[4:5], s[16:17]
	s_cbranch_execz .LBB1339_260
.LBB1339_282:
	flat_store_dwordx2 v[0:1], v[32:33] offset:56
	s_or_b64 exec, exec, s[4:5]
	s_waitcnt vmcnt(0) lgkmcnt(0)
	s_setpc_b64 s[30:31]
.Lfunc_end1339:
	.size	_ZN7rocprim17ROCPRIM_400000_NS6detail26segmented_warp_sort_helperINS1_20WarpSortHelperConfigILj16ELj8ELj256EEEflLi256ELb1EvE4sortIPKfPfPKlPlEEvT_T0_T1_T2_jjjjRNS5_12storage_typeE, .Lfunc_end1339-_ZN7rocprim17ROCPRIM_400000_NS6detail26segmented_warp_sort_helperINS1_20WarpSortHelperConfigILj16ELj8ELj256EEEflLi256ELb1EvE4sortIPKfPfPKlPlEEvT_T0_T1_T2_jjjjRNS5_12storage_typeE
                                        ; -- End function
	.set .L_ZN7rocprim17ROCPRIM_400000_NS6detail26segmented_warp_sort_helperINS1_20WarpSortHelperConfigILj16ELj8ELj256EEEflLi256ELb1EvE4sortIPKfPfPKlPlEEvT_T0_T1_T2_jjjjRNS5_12storage_typeE.num_vgpr, 71
	.set .L_ZN7rocprim17ROCPRIM_400000_NS6detail26segmented_warp_sort_helperINS1_20WarpSortHelperConfigILj16ELj8ELj256EEEflLi256ELb1EvE4sortIPKfPfPKlPlEEvT_T0_T1_T2_jjjjRNS5_12storage_typeE.num_agpr, 0
	.set .L_ZN7rocprim17ROCPRIM_400000_NS6detail26segmented_warp_sort_helperINS1_20WarpSortHelperConfigILj16ELj8ELj256EEEflLi256ELb1EvE4sortIPKfPfPKlPlEEvT_T0_T1_T2_jjjjRNS5_12storage_typeE.numbered_sgpr, 60
	.set .L_ZN7rocprim17ROCPRIM_400000_NS6detail26segmented_warp_sort_helperINS1_20WarpSortHelperConfigILj16ELj8ELj256EEEflLi256ELb1EvE4sortIPKfPfPKlPlEEvT_T0_T1_T2_jjjjRNS5_12storage_typeE.num_named_barrier, 0
	.set .L_ZN7rocprim17ROCPRIM_400000_NS6detail26segmented_warp_sort_helperINS1_20WarpSortHelperConfigILj16ELj8ELj256EEEflLi256ELb1EvE4sortIPKfPfPKlPlEEvT_T0_T1_T2_jjjjRNS5_12storage_typeE.private_seg_size, 0
	.set .L_ZN7rocprim17ROCPRIM_400000_NS6detail26segmented_warp_sort_helperINS1_20WarpSortHelperConfigILj16ELj8ELj256EEEflLi256ELb1EvE4sortIPKfPfPKlPlEEvT_T0_T1_T2_jjjjRNS5_12storage_typeE.uses_vcc, 1
	.set .L_ZN7rocprim17ROCPRIM_400000_NS6detail26segmented_warp_sort_helperINS1_20WarpSortHelperConfigILj16ELj8ELj256EEEflLi256ELb1EvE4sortIPKfPfPKlPlEEvT_T0_T1_T2_jjjjRNS5_12storage_typeE.uses_flat_scratch, 0
	.set .L_ZN7rocprim17ROCPRIM_400000_NS6detail26segmented_warp_sort_helperINS1_20WarpSortHelperConfigILj16ELj8ELj256EEEflLi256ELb1EvE4sortIPKfPfPKlPlEEvT_T0_T1_T2_jjjjRNS5_12storage_typeE.has_dyn_sized_stack, 0
	.set .L_ZN7rocprim17ROCPRIM_400000_NS6detail26segmented_warp_sort_helperINS1_20WarpSortHelperConfigILj16ELj8ELj256EEEflLi256ELb1EvE4sortIPKfPfPKlPlEEvT_T0_T1_T2_jjjjRNS5_12storage_typeE.has_recursion, 0
	.set .L_ZN7rocprim17ROCPRIM_400000_NS6detail26segmented_warp_sort_helperINS1_20WarpSortHelperConfigILj16ELj8ELj256EEEflLi256ELb1EvE4sortIPKfPfPKlPlEEvT_T0_T1_T2_jjjjRNS5_12storage_typeE.has_indirect_call, 0
	.section	.AMDGPU.csdata,"",@progbits
; Function info:
; codeLenInByte = 12060
; TotalNumSgprs: 64
; NumVgprs: 71
; ScratchSize: 0
; MemoryBound: 0
	.section	.text._ZN7rocprim17ROCPRIM_400000_NS6detail17trampoline_kernelINS0_14default_configENS1_36segmented_radix_sort_config_selectorIflEEZNS1_25segmented_radix_sort_implIS3_Lb1EPKfPfPKlPlN2at6native12_GLOBAL__N_18offset_tEEE10hipError_tPvRmT1_PNSt15iterator_traitsISK_E10value_typeET2_T3_PNSL_ISQ_E10value_typeET4_jRbjT5_SW_jjP12ihipStream_tbEUlT_E0_NS1_11comp_targetILNS1_3genE2ELNS1_11target_archE906ELNS1_3gpuE6ELNS1_3repE0EEENS1_60segmented_radix_sort_warp_sort_medium_config_static_selectorELNS0_4arch9wavefront6targetE1EEEvSK_,"axG",@progbits,_ZN7rocprim17ROCPRIM_400000_NS6detail17trampoline_kernelINS0_14default_configENS1_36segmented_radix_sort_config_selectorIflEEZNS1_25segmented_radix_sort_implIS3_Lb1EPKfPfPKlPlN2at6native12_GLOBAL__N_18offset_tEEE10hipError_tPvRmT1_PNSt15iterator_traitsISK_E10value_typeET2_T3_PNSL_ISQ_E10value_typeET4_jRbjT5_SW_jjP12ihipStream_tbEUlT_E0_NS1_11comp_targetILNS1_3genE2ELNS1_11target_archE906ELNS1_3gpuE6ELNS1_3repE0EEENS1_60segmented_radix_sort_warp_sort_medium_config_static_selectorELNS0_4arch9wavefront6targetE1EEEvSK_,comdat
	.globl	_ZN7rocprim17ROCPRIM_400000_NS6detail17trampoline_kernelINS0_14default_configENS1_36segmented_radix_sort_config_selectorIflEEZNS1_25segmented_radix_sort_implIS3_Lb1EPKfPfPKlPlN2at6native12_GLOBAL__N_18offset_tEEE10hipError_tPvRmT1_PNSt15iterator_traitsISK_E10value_typeET2_T3_PNSL_ISQ_E10value_typeET4_jRbjT5_SW_jjP12ihipStream_tbEUlT_E0_NS1_11comp_targetILNS1_3genE2ELNS1_11target_archE906ELNS1_3gpuE6ELNS1_3repE0EEENS1_60segmented_radix_sort_warp_sort_medium_config_static_selectorELNS0_4arch9wavefront6targetE1EEEvSK_ ; -- Begin function _ZN7rocprim17ROCPRIM_400000_NS6detail17trampoline_kernelINS0_14default_configENS1_36segmented_radix_sort_config_selectorIflEEZNS1_25segmented_radix_sort_implIS3_Lb1EPKfPfPKlPlN2at6native12_GLOBAL__N_18offset_tEEE10hipError_tPvRmT1_PNSt15iterator_traitsISK_E10value_typeET2_T3_PNSL_ISQ_E10value_typeET4_jRbjT5_SW_jjP12ihipStream_tbEUlT_E0_NS1_11comp_targetILNS1_3genE2ELNS1_11target_archE906ELNS1_3gpuE6ELNS1_3repE0EEENS1_60segmented_radix_sort_warp_sort_medium_config_static_selectorELNS0_4arch9wavefront6targetE1EEEvSK_
	.p2align	8
	.type	_ZN7rocprim17ROCPRIM_400000_NS6detail17trampoline_kernelINS0_14default_configENS1_36segmented_radix_sort_config_selectorIflEEZNS1_25segmented_radix_sort_implIS3_Lb1EPKfPfPKlPlN2at6native12_GLOBAL__N_18offset_tEEE10hipError_tPvRmT1_PNSt15iterator_traitsISK_E10value_typeET2_T3_PNSL_ISQ_E10value_typeET4_jRbjT5_SW_jjP12ihipStream_tbEUlT_E0_NS1_11comp_targetILNS1_3genE2ELNS1_11target_archE906ELNS1_3gpuE6ELNS1_3repE0EEENS1_60segmented_radix_sort_warp_sort_medium_config_static_selectorELNS0_4arch9wavefront6targetE1EEEvSK_,@function
_ZN7rocprim17ROCPRIM_400000_NS6detail17trampoline_kernelINS0_14default_configENS1_36segmented_radix_sort_config_selectorIflEEZNS1_25segmented_radix_sort_implIS3_Lb1EPKfPfPKlPlN2at6native12_GLOBAL__N_18offset_tEEE10hipError_tPvRmT1_PNSt15iterator_traitsISK_E10value_typeET2_T3_PNSL_ISQ_E10value_typeET4_jRbjT5_SW_jjP12ihipStream_tbEUlT_E0_NS1_11comp_targetILNS1_3genE2ELNS1_11target_archE906ELNS1_3gpuE6ELNS1_3repE0EEENS1_60segmented_radix_sort_warp_sort_medium_config_static_selectorELNS0_4arch9wavefront6targetE1EEEvSK_: ; @_ZN7rocprim17ROCPRIM_400000_NS6detail17trampoline_kernelINS0_14default_configENS1_36segmented_radix_sort_config_selectorIflEEZNS1_25segmented_radix_sort_implIS3_Lb1EPKfPfPKlPlN2at6native12_GLOBAL__N_18offset_tEEE10hipError_tPvRmT1_PNSt15iterator_traitsISK_E10value_typeET2_T3_PNSL_ISQ_E10value_typeET4_jRbjT5_SW_jjP12ihipStream_tbEUlT_E0_NS1_11comp_targetILNS1_3genE2ELNS1_11target_archE906ELNS1_3gpuE6ELNS1_3repE0EEENS1_60segmented_radix_sort_warp_sort_medium_config_static_selectorELNS0_4arch9wavefront6targetE1EEEvSK_
; %bb.0:
	s_add_u32 s0, s0, s8
	s_load_dword s8, s[4:5], 0x64
	s_addc_u32 s1, s1, 0
	s_mov_b32 s32, 0
	s_waitcnt lgkmcnt(0)
	s_lshr_b32 s9, s8, 16
	s_and_b32 s8, s8, 0xffff
	v_mad_u32_u24 v3, v2, s9, v1
	v_mad_u64_u32 v[3:4], s[8:9], v3, s8, v[0:1]
	s_load_dword s8, s[4:5], 0x34
	v_lshrrev_b32_e32 v3, 4, v3
	v_lshl_add_u32 v3, s6, 4, v3
	s_waitcnt lgkmcnt(0)
	v_cmp_gt_u32_e32 vcc, s8, v3
	s_and_saveexec_b64 s[8:9], vcc
	s_cbranch_execz .LBB1340_6
; %bb.1:
	s_load_dwordx2 s[12:13], s[4:5], 0x38
	s_load_dwordx4 s[8:11], s[4:5], 0x40
	v_mov_b32_e32 v4, 0
	v_lshlrev_b64 v[3:4], 2, v[3:4]
	s_waitcnt lgkmcnt(0)
	v_mov_b32_e32 v5, s13
	v_add_co_u32_e32 v3, vcc, s12, v3
	v_addc_co_u32_e32 v4, vcc, v5, v4, vcc
	global_load_dword v3, v[3:4], off
	s_waitcnt vmcnt(0)
	v_add_u32_e32 v4, s9, v3
	v_add_u32_e32 v3, s11, v3
	v_mul_lo_u32 v40, v4, s8
	v_mul_lo_u32 v41, v3, s10
	v_cmp_gt_u32_e32 vcc, v41, v40
	s_and_b64 exec, exec, vcc
	s_cbranch_execz .LBB1340_6
; %bb.2:
	s_load_dword s10, s[4:5], 0x30
	s_load_dwordx4 s[36:39], s[4:5], 0x20
	s_load_dwordx8 s[48:55], s[4:5], 0x0
	s_mov_b64 s[8:9], -1
	v_lshlrev_b32_e32 v43, 20, v2
	s_waitcnt lgkmcnt(0)
	s_bitcmp0_b32 s10, 0
	v_lshlrev_b32_e32 v44, 10, v1
	s_cbranch_scc0 .LBB1340_4
; %bb.3:
	s_add_u32 s8, s4, 0x58
	s_addc_u32 s9, s5, 0
	s_getpc_b64 s[10:11]
	s_add_u32 s10, s10, _ZN7rocprim17ROCPRIM_400000_NS6detail26segmented_warp_sort_helperINS1_20WarpSortHelperConfigILj16ELj8ELj256EEEflLi256ELb1EvE4sortIPKfPfPKlPlEEvT_T0_T1_T2_jjjjRNS5_12storage_typeE@rel32@lo+4
	s_addc_u32 s11, s11, _ZN7rocprim17ROCPRIM_400000_NS6detail26segmented_warp_sort_helperINS1_20WarpSortHelperConfigILj16ELj8ELj256EEEflLi256ELb1EvE4sortIPKfPfPKlPlEEvT_T0_T1_T2_jjjjRNS5_12storage_typeE@rel32@hi+12
	v_or3_b32 v31, v0, v44, v43
	s_mov_b32 s12, s6
	s_mov_b32 s13, s7
	v_mov_b32_e32 v42, v0
	v_mov_b32_e32 v0, s48
	;; [unrolled: 1-line block ×11, first 2 shown]
	s_mov_b64 s[34:35], s[4:5]
	s_mov_b32 s36, s7
	s_mov_b32 s33, s6
	s_swappc_b64 s[30:31], s[10:11]
	v_mov_b32_e32 v0, v42
	s_mov_b32 s6, s33
	s_mov_b32 s7, s36
	s_mov_b64 s[4:5], s[34:35]
	s_mov_b64 s[8:9], 0
.LBB1340_4:
	s_andn2_b64 vcc, exec, s[8:9]
	s_cbranch_vccnz .LBB1340_6
; %bb.5:
	s_add_u32 s8, s4, 0x58
	s_addc_u32 s9, s5, 0
	s_getpc_b64 s[4:5]
	s_add_u32 s4, s4, _ZN7rocprim17ROCPRIM_400000_NS6detail26segmented_warp_sort_helperINS1_20WarpSortHelperConfigILj16ELj8ELj256EEEflLi256ELb1EvE4sortIPKfPfPKlPlEEvT_T0_T1_T2_jjjjRNS5_12storage_typeE@rel32@lo+4
	s_addc_u32 s5, s5, _ZN7rocprim17ROCPRIM_400000_NS6detail26segmented_warp_sort_helperINS1_20WarpSortHelperConfigILj16ELj8ELj256EEEflLi256ELb1EvE4sortIPKfPfPKlPlEEvT_T0_T1_T2_jjjjRNS5_12storage_typeE@rel32@hi+12
	v_or3_b32 v31, v0, v44, v43
	s_mov_b32 s12, s6
	s_mov_b32 s13, s7
	v_mov_b32_e32 v0, s48
	v_mov_b32_e32 v1, s49
	;; [unrolled: 1-line block ×10, first 2 shown]
	s_swappc_b64 s[30:31], s[4:5]
.LBB1340_6:
	s_endpgm
	.section	.rodata,"a",@progbits
	.p2align	6, 0x0
	.amdhsa_kernel _ZN7rocprim17ROCPRIM_400000_NS6detail17trampoline_kernelINS0_14default_configENS1_36segmented_radix_sort_config_selectorIflEEZNS1_25segmented_radix_sort_implIS3_Lb1EPKfPfPKlPlN2at6native12_GLOBAL__N_18offset_tEEE10hipError_tPvRmT1_PNSt15iterator_traitsISK_E10value_typeET2_T3_PNSL_ISQ_E10value_typeET4_jRbjT5_SW_jjP12ihipStream_tbEUlT_E0_NS1_11comp_targetILNS1_3genE2ELNS1_11target_archE906ELNS1_3gpuE6ELNS1_3repE0EEENS1_60segmented_radix_sort_warp_sort_medium_config_static_selectorELNS0_4arch9wavefront6targetE1EEEvSK_
		.amdhsa_group_segment_fixed_size 24576
		.amdhsa_private_segment_fixed_size 0
		.amdhsa_kernarg_size 344
		.amdhsa_user_sgpr_count 6
		.amdhsa_user_sgpr_private_segment_buffer 1
		.amdhsa_user_sgpr_dispatch_ptr 0
		.amdhsa_user_sgpr_queue_ptr 0
		.amdhsa_user_sgpr_kernarg_segment_ptr 1
		.amdhsa_user_sgpr_dispatch_id 0
		.amdhsa_user_sgpr_flat_scratch_init 0
		.amdhsa_user_sgpr_private_segment_size 0
		.amdhsa_uses_dynamic_stack 0
		.amdhsa_system_sgpr_private_segment_wavefront_offset 0
		.amdhsa_system_sgpr_workgroup_id_x 1
		.amdhsa_system_sgpr_workgroup_id_y 1
		.amdhsa_system_sgpr_workgroup_id_z 0
		.amdhsa_system_sgpr_workgroup_info 0
		.amdhsa_system_vgpr_workitem_id 2
		.amdhsa_next_free_vgpr 85
		.amdhsa_next_free_sgpr 98
		.amdhsa_reserve_vcc 1
		.amdhsa_reserve_flat_scratch 0
		.amdhsa_float_round_mode_32 0
		.amdhsa_float_round_mode_16_64 0
		.amdhsa_float_denorm_mode_32 3
		.amdhsa_float_denorm_mode_16_64 3
		.amdhsa_dx10_clamp 1
		.amdhsa_ieee_mode 1
		.amdhsa_fp16_overflow 0
		.amdhsa_exception_fp_ieee_invalid_op 0
		.amdhsa_exception_fp_denorm_src 0
		.amdhsa_exception_fp_ieee_div_zero 0
		.amdhsa_exception_fp_ieee_overflow 0
		.amdhsa_exception_fp_ieee_underflow 0
		.amdhsa_exception_fp_ieee_inexact 0
		.amdhsa_exception_int_div_zero 0
	.end_amdhsa_kernel
	.section	.text._ZN7rocprim17ROCPRIM_400000_NS6detail17trampoline_kernelINS0_14default_configENS1_36segmented_radix_sort_config_selectorIflEEZNS1_25segmented_radix_sort_implIS3_Lb1EPKfPfPKlPlN2at6native12_GLOBAL__N_18offset_tEEE10hipError_tPvRmT1_PNSt15iterator_traitsISK_E10value_typeET2_T3_PNSL_ISQ_E10value_typeET4_jRbjT5_SW_jjP12ihipStream_tbEUlT_E0_NS1_11comp_targetILNS1_3genE2ELNS1_11target_archE906ELNS1_3gpuE6ELNS1_3repE0EEENS1_60segmented_radix_sort_warp_sort_medium_config_static_selectorELNS0_4arch9wavefront6targetE1EEEvSK_,"axG",@progbits,_ZN7rocprim17ROCPRIM_400000_NS6detail17trampoline_kernelINS0_14default_configENS1_36segmented_radix_sort_config_selectorIflEEZNS1_25segmented_radix_sort_implIS3_Lb1EPKfPfPKlPlN2at6native12_GLOBAL__N_18offset_tEEE10hipError_tPvRmT1_PNSt15iterator_traitsISK_E10value_typeET2_T3_PNSL_ISQ_E10value_typeET4_jRbjT5_SW_jjP12ihipStream_tbEUlT_E0_NS1_11comp_targetILNS1_3genE2ELNS1_11target_archE906ELNS1_3gpuE6ELNS1_3repE0EEENS1_60segmented_radix_sort_warp_sort_medium_config_static_selectorELNS0_4arch9wavefront6targetE1EEEvSK_,comdat
.Lfunc_end1340:
	.size	_ZN7rocprim17ROCPRIM_400000_NS6detail17trampoline_kernelINS0_14default_configENS1_36segmented_radix_sort_config_selectorIflEEZNS1_25segmented_radix_sort_implIS3_Lb1EPKfPfPKlPlN2at6native12_GLOBAL__N_18offset_tEEE10hipError_tPvRmT1_PNSt15iterator_traitsISK_E10value_typeET2_T3_PNSL_ISQ_E10value_typeET4_jRbjT5_SW_jjP12ihipStream_tbEUlT_E0_NS1_11comp_targetILNS1_3genE2ELNS1_11target_archE906ELNS1_3gpuE6ELNS1_3repE0EEENS1_60segmented_radix_sort_warp_sort_medium_config_static_selectorELNS0_4arch9wavefront6targetE1EEEvSK_, .Lfunc_end1340-_ZN7rocprim17ROCPRIM_400000_NS6detail17trampoline_kernelINS0_14default_configENS1_36segmented_radix_sort_config_selectorIflEEZNS1_25segmented_radix_sort_implIS3_Lb1EPKfPfPKlPlN2at6native12_GLOBAL__N_18offset_tEEE10hipError_tPvRmT1_PNSt15iterator_traitsISK_E10value_typeET2_T3_PNSL_ISQ_E10value_typeET4_jRbjT5_SW_jjP12ihipStream_tbEUlT_E0_NS1_11comp_targetILNS1_3genE2ELNS1_11target_archE906ELNS1_3gpuE6ELNS1_3repE0EEENS1_60segmented_radix_sort_warp_sort_medium_config_static_selectorELNS0_4arch9wavefront6targetE1EEEvSK_
                                        ; -- End function
	.set _ZN7rocprim17ROCPRIM_400000_NS6detail17trampoline_kernelINS0_14default_configENS1_36segmented_radix_sort_config_selectorIflEEZNS1_25segmented_radix_sort_implIS3_Lb1EPKfPfPKlPlN2at6native12_GLOBAL__N_18offset_tEEE10hipError_tPvRmT1_PNSt15iterator_traitsISK_E10value_typeET2_T3_PNSL_ISQ_E10value_typeET4_jRbjT5_SW_jjP12ihipStream_tbEUlT_E0_NS1_11comp_targetILNS1_3genE2ELNS1_11target_archE906ELNS1_3gpuE6ELNS1_3repE0EEENS1_60segmented_radix_sort_warp_sort_medium_config_static_selectorELNS0_4arch9wavefront6targetE1EEEvSK_.num_vgpr, max(45, .L_ZN7rocprim17ROCPRIM_400000_NS6detail26segmented_warp_sort_helperINS1_20WarpSortHelperConfigILj16ELj8ELj256EEEflLi256ELb1EvE4sortIPKfPfPKlPlEEvT_T0_T1_T2_jjjjRNS5_12storage_typeE.num_vgpr)
	.set _ZN7rocprim17ROCPRIM_400000_NS6detail17trampoline_kernelINS0_14default_configENS1_36segmented_radix_sort_config_selectorIflEEZNS1_25segmented_radix_sort_implIS3_Lb1EPKfPfPKlPlN2at6native12_GLOBAL__N_18offset_tEEE10hipError_tPvRmT1_PNSt15iterator_traitsISK_E10value_typeET2_T3_PNSL_ISQ_E10value_typeET4_jRbjT5_SW_jjP12ihipStream_tbEUlT_E0_NS1_11comp_targetILNS1_3genE2ELNS1_11target_archE906ELNS1_3gpuE6ELNS1_3repE0EEENS1_60segmented_radix_sort_warp_sort_medium_config_static_selectorELNS0_4arch9wavefront6targetE1EEEvSK_.num_agpr, max(0, .L_ZN7rocprim17ROCPRIM_400000_NS6detail26segmented_warp_sort_helperINS1_20WarpSortHelperConfigILj16ELj8ELj256EEEflLi256ELb1EvE4sortIPKfPfPKlPlEEvT_T0_T1_T2_jjjjRNS5_12storage_typeE.num_agpr)
	.set _ZN7rocprim17ROCPRIM_400000_NS6detail17trampoline_kernelINS0_14default_configENS1_36segmented_radix_sort_config_selectorIflEEZNS1_25segmented_radix_sort_implIS3_Lb1EPKfPfPKlPlN2at6native12_GLOBAL__N_18offset_tEEE10hipError_tPvRmT1_PNSt15iterator_traitsISK_E10value_typeET2_T3_PNSL_ISQ_E10value_typeET4_jRbjT5_SW_jjP12ihipStream_tbEUlT_E0_NS1_11comp_targetILNS1_3genE2ELNS1_11target_archE906ELNS1_3gpuE6ELNS1_3repE0EEENS1_60segmented_radix_sort_warp_sort_medium_config_static_selectorELNS0_4arch9wavefront6targetE1EEEvSK_.numbered_sgpr, max(56, .L_ZN7rocprim17ROCPRIM_400000_NS6detail26segmented_warp_sort_helperINS1_20WarpSortHelperConfigILj16ELj8ELj256EEEflLi256ELb1EvE4sortIPKfPfPKlPlEEvT_T0_T1_T2_jjjjRNS5_12storage_typeE.numbered_sgpr)
	.set _ZN7rocprim17ROCPRIM_400000_NS6detail17trampoline_kernelINS0_14default_configENS1_36segmented_radix_sort_config_selectorIflEEZNS1_25segmented_radix_sort_implIS3_Lb1EPKfPfPKlPlN2at6native12_GLOBAL__N_18offset_tEEE10hipError_tPvRmT1_PNSt15iterator_traitsISK_E10value_typeET2_T3_PNSL_ISQ_E10value_typeET4_jRbjT5_SW_jjP12ihipStream_tbEUlT_E0_NS1_11comp_targetILNS1_3genE2ELNS1_11target_archE906ELNS1_3gpuE6ELNS1_3repE0EEENS1_60segmented_radix_sort_warp_sort_medium_config_static_selectorELNS0_4arch9wavefront6targetE1EEEvSK_.num_named_barrier, max(0, .L_ZN7rocprim17ROCPRIM_400000_NS6detail26segmented_warp_sort_helperINS1_20WarpSortHelperConfigILj16ELj8ELj256EEEflLi256ELb1EvE4sortIPKfPfPKlPlEEvT_T0_T1_T2_jjjjRNS5_12storage_typeE.num_named_barrier)
	.set _ZN7rocprim17ROCPRIM_400000_NS6detail17trampoline_kernelINS0_14default_configENS1_36segmented_radix_sort_config_selectorIflEEZNS1_25segmented_radix_sort_implIS3_Lb1EPKfPfPKlPlN2at6native12_GLOBAL__N_18offset_tEEE10hipError_tPvRmT1_PNSt15iterator_traitsISK_E10value_typeET2_T3_PNSL_ISQ_E10value_typeET4_jRbjT5_SW_jjP12ihipStream_tbEUlT_E0_NS1_11comp_targetILNS1_3genE2ELNS1_11target_archE906ELNS1_3gpuE6ELNS1_3repE0EEENS1_60segmented_radix_sort_warp_sort_medium_config_static_selectorELNS0_4arch9wavefront6targetE1EEEvSK_.private_seg_size, 0+max(.L_ZN7rocprim17ROCPRIM_400000_NS6detail26segmented_warp_sort_helperINS1_20WarpSortHelperConfigILj16ELj8ELj256EEEflLi256ELb1EvE4sortIPKfPfPKlPlEEvT_T0_T1_T2_jjjjRNS5_12storage_typeE.private_seg_size)
	.set _ZN7rocprim17ROCPRIM_400000_NS6detail17trampoline_kernelINS0_14default_configENS1_36segmented_radix_sort_config_selectorIflEEZNS1_25segmented_radix_sort_implIS3_Lb1EPKfPfPKlPlN2at6native12_GLOBAL__N_18offset_tEEE10hipError_tPvRmT1_PNSt15iterator_traitsISK_E10value_typeET2_T3_PNSL_ISQ_E10value_typeET4_jRbjT5_SW_jjP12ihipStream_tbEUlT_E0_NS1_11comp_targetILNS1_3genE2ELNS1_11target_archE906ELNS1_3gpuE6ELNS1_3repE0EEENS1_60segmented_radix_sort_warp_sort_medium_config_static_selectorELNS0_4arch9wavefront6targetE1EEEvSK_.uses_vcc, or(1, .L_ZN7rocprim17ROCPRIM_400000_NS6detail26segmented_warp_sort_helperINS1_20WarpSortHelperConfigILj16ELj8ELj256EEEflLi256ELb1EvE4sortIPKfPfPKlPlEEvT_T0_T1_T2_jjjjRNS5_12storage_typeE.uses_vcc)
	.set _ZN7rocprim17ROCPRIM_400000_NS6detail17trampoline_kernelINS0_14default_configENS1_36segmented_radix_sort_config_selectorIflEEZNS1_25segmented_radix_sort_implIS3_Lb1EPKfPfPKlPlN2at6native12_GLOBAL__N_18offset_tEEE10hipError_tPvRmT1_PNSt15iterator_traitsISK_E10value_typeET2_T3_PNSL_ISQ_E10value_typeET4_jRbjT5_SW_jjP12ihipStream_tbEUlT_E0_NS1_11comp_targetILNS1_3genE2ELNS1_11target_archE906ELNS1_3gpuE6ELNS1_3repE0EEENS1_60segmented_radix_sort_warp_sort_medium_config_static_selectorELNS0_4arch9wavefront6targetE1EEEvSK_.uses_flat_scratch, or(0, .L_ZN7rocprim17ROCPRIM_400000_NS6detail26segmented_warp_sort_helperINS1_20WarpSortHelperConfigILj16ELj8ELj256EEEflLi256ELb1EvE4sortIPKfPfPKlPlEEvT_T0_T1_T2_jjjjRNS5_12storage_typeE.uses_flat_scratch)
	.set _ZN7rocprim17ROCPRIM_400000_NS6detail17trampoline_kernelINS0_14default_configENS1_36segmented_radix_sort_config_selectorIflEEZNS1_25segmented_radix_sort_implIS3_Lb1EPKfPfPKlPlN2at6native12_GLOBAL__N_18offset_tEEE10hipError_tPvRmT1_PNSt15iterator_traitsISK_E10value_typeET2_T3_PNSL_ISQ_E10value_typeET4_jRbjT5_SW_jjP12ihipStream_tbEUlT_E0_NS1_11comp_targetILNS1_3genE2ELNS1_11target_archE906ELNS1_3gpuE6ELNS1_3repE0EEENS1_60segmented_radix_sort_warp_sort_medium_config_static_selectorELNS0_4arch9wavefront6targetE1EEEvSK_.has_dyn_sized_stack, or(0, .L_ZN7rocprim17ROCPRIM_400000_NS6detail26segmented_warp_sort_helperINS1_20WarpSortHelperConfigILj16ELj8ELj256EEEflLi256ELb1EvE4sortIPKfPfPKlPlEEvT_T0_T1_T2_jjjjRNS5_12storage_typeE.has_dyn_sized_stack)
	.set _ZN7rocprim17ROCPRIM_400000_NS6detail17trampoline_kernelINS0_14default_configENS1_36segmented_radix_sort_config_selectorIflEEZNS1_25segmented_radix_sort_implIS3_Lb1EPKfPfPKlPlN2at6native12_GLOBAL__N_18offset_tEEE10hipError_tPvRmT1_PNSt15iterator_traitsISK_E10value_typeET2_T3_PNSL_ISQ_E10value_typeET4_jRbjT5_SW_jjP12ihipStream_tbEUlT_E0_NS1_11comp_targetILNS1_3genE2ELNS1_11target_archE906ELNS1_3gpuE6ELNS1_3repE0EEENS1_60segmented_radix_sort_warp_sort_medium_config_static_selectorELNS0_4arch9wavefront6targetE1EEEvSK_.has_recursion, or(0, .L_ZN7rocprim17ROCPRIM_400000_NS6detail26segmented_warp_sort_helperINS1_20WarpSortHelperConfigILj16ELj8ELj256EEEflLi256ELb1EvE4sortIPKfPfPKlPlEEvT_T0_T1_T2_jjjjRNS5_12storage_typeE.has_recursion)
	.set _ZN7rocprim17ROCPRIM_400000_NS6detail17trampoline_kernelINS0_14default_configENS1_36segmented_radix_sort_config_selectorIflEEZNS1_25segmented_radix_sort_implIS3_Lb1EPKfPfPKlPlN2at6native12_GLOBAL__N_18offset_tEEE10hipError_tPvRmT1_PNSt15iterator_traitsISK_E10value_typeET2_T3_PNSL_ISQ_E10value_typeET4_jRbjT5_SW_jjP12ihipStream_tbEUlT_E0_NS1_11comp_targetILNS1_3genE2ELNS1_11target_archE906ELNS1_3gpuE6ELNS1_3repE0EEENS1_60segmented_radix_sort_warp_sort_medium_config_static_selectorELNS0_4arch9wavefront6targetE1EEEvSK_.has_indirect_call, or(0, .L_ZN7rocprim17ROCPRIM_400000_NS6detail26segmented_warp_sort_helperINS1_20WarpSortHelperConfigILj16ELj8ELj256EEEflLi256ELb1EvE4sortIPKfPfPKlPlEEvT_T0_T1_T2_jjjjRNS5_12storage_typeE.has_indirect_call)
	.section	.AMDGPU.csdata,"",@progbits
; Kernel info:
; codeLenInByte = 460
; TotalNumSgprs: 64
; NumVgprs: 71
; ScratchSize: 0
; MemoryBound: 0
; FloatMode: 240
; IeeeMode: 1
; LDSByteSize: 24576 bytes/workgroup (compile time only)
; SGPRBlocks: 12
; VGPRBlocks: 21
; NumSGPRsForWavesPerEU: 102
; NumVGPRsForWavesPerEU: 85
; Occupancy: 2
; WaveLimiterHint : 0
; COMPUTE_PGM_RSRC2:SCRATCH_EN: 0
; COMPUTE_PGM_RSRC2:USER_SGPR: 6
; COMPUTE_PGM_RSRC2:TRAP_HANDLER: 0
; COMPUTE_PGM_RSRC2:TGID_X_EN: 1
; COMPUTE_PGM_RSRC2:TGID_Y_EN: 1
; COMPUTE_PGM_RSRC2:TGID_Z_EN: 0
; COMPUTE_PGM_RSRC2:TIDIG_COMP_CNT: 2
	.section	.text._ZN7rocprim17ROCPRIM_400000_NS6detail17trampoline_kernelINS0_14default_configENS1_36segmented_radix_sort_config_selectorIflEEZNS1_25segmented_radix_sort_implIS3_Lb1EPKfPfPKlPlN2at6native12_GLOBAL__N_18offset_tEEE10hipError_tPvRmT1_PNSt15iterator_traitsISK_E10value_typeET2_T3_PNSL_ISQ_E10value_typeET4_jRbjT5_SW_jjP12ihipStream_tbEUlT_E0_NS1_11comp_targetILNS1_3genE10ELNS1_11target_archE1201ELNS1_3gpuE5ELNS1_3repE0EEENS1_60segmented_radix_sort_warp_sort_medium_config_static_selectorELNS0_4arch9wavefront6targetE1EEEvSK_,"axG",@progbits,_ZN7rocprim17ROCPRIM_400000_NS6detail17trampoline_kernelINS0_14default_configENS1_36segmented_radix_sort_config_selectorIflEEZNS1_25segmented_radix_sort_implIS3_Lb1EPKfPfPKlPlN2at6native12_GLOBAL__N_18offset_tEEE10hipError_tPvRmT1_PNSt15iterator_traitsISK_E10value_typeET2_T3_PNSL_ISQ_E10value_typeET4_jRbjT5_SW_jjP12ihipStream_tbEUlT_E0_NS1_11comp_targetILNS1_3genE10ELNS1_11target_archE1201ELNS1_3gpuE5ELNS1_3repE0EEENS1_60segmented_radix_sort_warp_sort_medium_config_static_selectorELNS0_4arch9wavefront6targetE1EEEvSK_,comdat
	.globl	_ZN7rocprim17ROCPRIM_400000_NS6detail17trampoline_kernelINS0_14default_configENS1_36segmented_radix_sort_config_selectorIflEEZNS1_25segmented_radix_sort_implIS3_Lb1EPKfPfPKlPlN2at6native12_GLOBAL__N_18offset_tEEE10hipError_tPvRmT1_PNSt15iterator_traitsISK_E10value_typeET2_T3_PNSL_ISQ_E10value_typeET4_jRbjT5_SW_jjP12ihipStream_tbEUlT_E0_NS1_11comp_targetILNS1_3genE10ELNS1_11target_archE1201ELNS1_3gpuE5ELNS1_3repE0EEENS1_60segmented_radix_sort_warp_sort_medium_config_static_selectorELNS0_4arch9wavefront6targetE1EEEvSK_ ; -- Begin function _ZN7rocprim17ROCPRIM_400000_NS6detail17trampoline_kernelINS0_14default_configENS1_36segmented_radix_sort_config_selectorIflEEZNS1_25segmented_radix_sort_implIS3_Lb1EPKfPfPKlPlN2at6native12_GLOBAL__N_18offset_tEEE10hipError_tPvRmT1_PNSt15iterator_traitsISK_E10value_typeET2_T3_PNSL_ISQ_E10value_typeET4_jRbjT5_SW_jjP12ihipStream_tbEUlT_E0_NS1_11comp_targetILNS1_3genE10ELNS1_11target_archE1201ELNS1_3gpuE5ELNS1_3repE0EEENS1_60segmented_radix_sort_warp_sort_medium_config_static_selectorELNS0_4arch9wavefront6targetE1EEEvSK_
	.p2align	8
	.type	_ZN7rocprim17ROCPRIM_400000_NS6detail17trampoline_kernelINS0_14default_configENS1_36segmented_radix_sort_config_selectorIflEEZNS1_25segmented_radix_sort_implIS3_Lb1EPKfPfPKlPlN2at6native12_GLOBAL__N_18offset_tEEE10hipError_tPvRmT1_PNSt15iterator_traitsISK_E10value_typeET2_T3_PNSL_ISQ_E10value_typeET4_jRbjT5_SW_jjP12ihipStream_tbEUlT_E0_NS1_11comp_targetILNS1_3genE10ELNS1_11target_archE1201ELNS1_3gpuE5ELNS1_3repE0EEENS1_60segmented_radix_sort_warp_sort_medium_config_static_selectorELNS0_4arch9wavefront6targetE1EEEvSK_,@function
_ZN7rocprim17ROCPRIM_400000_NS6detail17trampoline_kernelINS0_14default_configENS1_36segmented_radix_sort_config_selectorIflEEZNS1_25segmented_radix_sort_implIS3_Lb1EPKfPfPKlPlN2at6native12_GLOBAL__N_18offset_tEEE10hipError_tPvRmT1_PNSt15iterator_traitsISK_E10value_typeET2_T3_PNSL_ISQ_E10value_typeET4_jRbjT5_SW_jjP12ihipStream_tbEUlT_E0_NS1_11comp_targetILNS1_3genE10ELNS1_11target_archE1201ELNS1_3gpuE5ELNS1_3repE0EEENS1_60segmented_radix_sort_warp_sort_medium_config_static_selectorELNS0_4arch9wavefront6targetE1EEEvSK_: ; @_ZN7rocprim17ROCPRIM_400000_NS6detail17trampoline_kernelINS0_14default_configENS1_36segmented_radix_sort_config_selectorIflEEZNS1_25segmented_radix_sort_implIS3_Lb1EPKfPfPKlPlN2at6native12_GLOBAL__N_18offset_tEEE10hipError_tPvRmT1_PNSt15iterator_traitsISK_E10value_typeET2_T3_PNSL_ISQ_E10value_typeET4_jRbjT5_SW_jjP12ihipStream_tbEUlT_E0_NS1_11comp_targetILNS1_3genE10ELNS1_11target_archE1201ELNS1_3gpuE5ELNS1_3repE0EEENS1_60segmented_radix_sort_warp_sort_medium_config_static_selectorELNS0_4arch9wavefront6targetE1EEEvSK_
; %bb.0:
	.section	.rodata,"a",@progbits
	.p2align	6, 0x0
	.amdhsa_kernel _ZN7rocprim17ROCPRIM_400000_NS6detail17trampoline_kernelINS0_14default_configENS1_36segmented_radix_sort_config_selectorIflEEZNS1_25segmented_radix_sort_implIS3_Lb1EPKfPfPKlPlN2at6native12_GLOBAL__N_18offset_tEEE10hipError_tPvRmT1_PNSt15iterator_traitsISK_E10value_typeET2_T3_PNSL_ISQ_E10value_typeET4_jRbjT5_SW_jjP12ihipStream_tbEUlT_E0_NS1_11comp_targetILNS1_3genE10ELNS1_11target_archE1201ELNS1_3gpuE5ELNS1_3repE0EEENS1_60segmented_radix_sort_warp_sort_medium_config_static_selectorELNS0_4arch9wavefront6targetE1EEEvSK_
		.amdhsa_group_segment_fixed_size 0
		.amdhsa_private_segment_fixed_size 0
		.amdhsa_kernarg_size 88
		.amdhsa_user_sgpr_count 6
		.amdhsa_user_sgpr_private_segment_buffer 1
		.amdhsa_user_sgpr_dispatch_ptr 0
		.amdhsa_user_sgpr_queue_ptr 0
		.amdhsa_user_sgpr_kernarg_segment_ptr 1
		.amdhsa_user_sgpr_dispatch_id 0
		.amdhsa_user_sgpr_flat_scratch_init 0
		.amdhsa_user_sgpr_private_segment_size 0
		.amdhsa_uses_dynamic_stack 0
		.amdhsa_system_sgpr_private_segment_wavefront_offset 0
		.amdhsa_system_sgpr_workgroup_id_x 1
		.amdhsa_system_sgpr_workgroup_id_y 0
		.amdhsa_system_sgpr_workgroup_id_z 0
		.amdhsa_system_sgpr_workgroup_info 0
		.amdhsa_system_vgpr_workitem_id 0
		.amdhsa_next_free_vgpr 1
		.amdhsa_next_free_sgpr 0
		.amdhsa_reserve_vcc 0
		.amdhsa_reserve_flat_scratch 0
		.amdhsa_float_round_mode_32 0
		.amdhsa_float_round_mode_16_64 0
		.amdhsa_float_denorm_mode_32 3
		.amdhsa_float_denorm_mode_16_64 3
		.amdhsa_dx10_clamp 1
		.amdhsa_ieee_mode 1
		.amdhsa_fp16_overflow 0
		.amdhsa_exception_fp_ieee_invalid_op 0
		.amdhsa_exception_fp_denorm_src 0
		.amdhsa_exception_fp_ieee_div_zero 0
		.amdhsa_exception_fp_ieee_overflow 0
		.amdhsa_exception_fp_ieee_underflow 0
		.amdhsa_exception_fp_ieee_inexact 0
		.amdhsa_exception_int_div_zero 0
	.end_amdhsa_kernel
	.section	.text._ZN7rocprim17ROCPRIM_400000_NS6detail17trampoline_kernelINS0_14default_configENS1_36segmented_radix_sort_config_selectorIflEEZNS1_25segmented_radix_sort_implIS3_Lb1EPKfPfPKlPlN2at6native12_GLOBAL__N_18offset_tEEE10hipError_tPvRmT1_PNSt15iterator_traitsISK_E10value_typeET2_T3_PNSL_ISQ_E10value_typeET4_jRbjT5_SW_jjP12ihipStream_tbEUlT_E0_NS1_11comp_targetILNS1_3genE10ELNS1_11target_archE1201ELNS1_3gpuE5ELNS1_3repE0EEENS1_60segmented_radix_sort_warp_sort_medium_config_static_selectorELNS0_4arch9wavefront6targetE1EEEvSK_,"axG",@progbits,_ZN7rocprim17ROCPRIM_400000_NS6detail17trampoline_kernelINS0_14default_configENS1_36segmented_radix_sort_config_selectorIflEEZNS1_25segmented_radix_sort_implIS3_Lb1EPKfPfPKlPlN2at6native12_GLOBAL__N_18offset_tEEE10hipError_tPvRmT1_PNSt15iterator_traitsISK_E10value_typeET2_T3_PNSL_ISQ_E10value_typeET4_jRbjT5_SW_jjP12ihipStream_tbEUlT_E0_NS1_11comp_targetILNS1_3genE10ELNS1_11target_archE1201ELNS1_3gpuE5ELNS1_3repE0EEENS1_60segmented_radix_sort_warp_sort_medium_config_static_selectorELNS0_4arch9wavefront6targetE1EEEvSK_,comdat
.Lfunc_end1341:
	.size	_ZN7rocprim17ROCPRIM_400000_NS6detail17trampoline_kernelINS0_14default_configENS1_36segmented_radix_sort_config_selectorIflEEZNS1_25segmented_radix_sort_implIS3_Lb1EPKfPfPKlPlN2at6native12_GLOBAL__N_18offset_tEEE10hipError_tPvRmT1_PNSt15iterator_traitsISK_E10value_typeET2_T3_PNSL_ISQ_E10value_typeET4_jRbjT5_SW_jjP12ihipStream_tbEUlT_E0_NS1_11comp_targetILNS1_3genE10ELNS1_11target_archE1201ELNS1_3gpuE5ELNS1_3repE0EEENS1_60segmented_radix_sort_warp_sort_medium_config_static_selectorELNS0_4arch9wavefront6targetE1EEEvSK_, .Lfunc_end1341-_ZN7rocprim17ROCPRIM_400000_NS6detail17trampoline_kernelINS0_14default_configENS1_36segmented_radix_sort_config_selectorIflEEZNS1_25segmented_radix_sort_implIS3_Lb1EPKfPfPKlPlN2at6native12_GLOBAL__N_18offset_tEEE10hipError_tPvRmT1_PNSt15iterator_traitsISK_E10value_typeET2_T3_PNSL_ISQ_E10value_typeET4_jRbjT5_SW_jjP12ihipStream_tbEUlT_E0_NS1_11comp_targetILNS1_3genE10ELNS1_11target_archE1201ELNS1_3gpuE5ELNS1_3repE0EEENS1_60segmented_radix_sort_warp_sort_medium_config_static_selectorELNS0_4arch9wavefront6targetE1EEEvSK_
                                        ; -- End function
	.set _ZN7rocprim17ROCPRIM_400000_NS6detail17trampoline_kernelINS0_14default_configENS1_36segmented_radix_sort_config_selectorIflEEZNS1_25segmented_radix_sort_implIS3_Lb1EPKfPfPKlPlN2at6native12_GLOBAL__N_18offset_tEEE10hipError_tPvRmT1_PNSt15iterator_traitsISK_E10value_typeET2_T3_PNSL_ISQ_E10value_typeET4_jRbjT5_SW_jjP12ihipStream_tbEUlT_E0_NS1_11comp_targetILNS1_3genE10ELNS1_11target_archE1201ELNS1_3gpuE5ELNS1_3repE0EEENS1_60segmented_radix_sort_warp_sort_medium_config_static_selectorELNS0_4arch9wavefront6targetE1EEEvSK_.num_vgpr, 0
	.set _ZN7rocprim17ROCPRIM_400000_NS6detail17trampoline_kernelINS0_14default_configENS1_36segmented_radix_sort_config_selectorIflEEZNS1_25segmented_radix_sort_implIS3_Lb1EPKfPfPKlPlN2at6native12_GLOBAL__N_18offset_tEEE10hipError_tPvRmT1_PNSt15iterator_traitsISK_E10value_typeET2_T3_PNSL_ISQ_E10value_typeET4_jRbjT5_SW_jjP12ihipStream_tbEUlT_E0_NS1_11comp_targetILNS1_3genE10ELNS1_11target_archE1201ELNS1_3gpuE5ELNS1_3repE0EEENS1_60segmented_radix_sort_warp_sort_medium_config_static_selectorELNS0_4arch9wavefront6targetE1EEEvSK_.num_agpr, 0
	.set _ZN7rocprim17ROCPRIM_400000_NS6detail17trampoline_kernelINS0_14default_configENS1_36segmented_radix_sort_config_selectorIflEEZNS1_25segmented_radix_sort_implIS3_Lb1EPKfPfPKlPlN2at6native12_GLOBAL__N_18offset_tEEE10hipError_tPvRmT1_PNSt15iterator_traitsISK_E10value_typeET2_T3_PNSL_ISQ_E10value_typeET4_jRbjT5_SW_jjP12ihipStream_tbEUlT_E0_NS1_11comp_targetILNS1_3genE10ELNS1_11target_archE1201ELNS1_3gpuE5ELNS1_3repE0EEENS1_60segmented_radix_sort_warp_sort_medium_config_static_selectorELNS0_4arch9wavefront6targetE1EEEvSK_.numbered_sgpr, 0
	.set _ZN7rocprim17ROCPRIM_400000_NS6detail17trampoline_kernelINS0_14default_configENS1_36segmented_radix_sort_config_selectorIflEEZNS1_25segmented_radix_sort_implIS3_Lb1EPKfPfPKlPlN2at6native12_GLOBAL__N_18offset_tEEE10hipError_tPvRmT1_PNSt15iterator_traitsISK_E10value_typeET2_T3_PNSL_ISQ_E10value_typeET4_jRbjT5_SW_jjP12ihipStream_tbEUlT_E0_NS1_11comp_targetILNS1_3genE10ELNS1_11target_archE1201ELNS1_3gpuE5ELNS1_3repE0EEENS1_60segmented_radix_sort_warp_sort_medium_config_static_selectorELNS0_4arch9wavefront6targetE1EEEvSK_.num_named_barrier, 0
	.set _ZN7rocprim17ROCPRIM_400000_NS6detail17trampoline_kernelINS0_14default_configENS1_36segmented_radix_sort_config_selectorIflEEZNS1_25segmented_radix_sort_implIS3_Lb1EPKfPfPKlPlN2at6native12_GLOBAL__N_18offset_tEEE10hipError_tPvRmT1_PNSt15iterator_traitsISK_E10value_typeET2_T3_PNSL_ISQ_E10value_typeET4_jRbjT5_SW_jjP12ihipStream_tbEUlT_E0_NS1_11comp_targetILNS1_3genE10ELNS1_11target_archE1201ELNS1_3gpuE5ELNS1_3repE0EEENS1_60segmented_radix_sort_warp_sort_medium_config_static_selectorELNS0_4arch9wavefront6targetE1EEEvSK_.private_seg_size, 0
	.set _ZN7rocprim17ROCPRIM_400000_NS6detail17trampoline_kernelINS0_14default_configENS1_36segmented_radix_sort_config_selectorIflEEZNS1_25segmented_radix_sort_implIS3_Lb1EPKfPfPKlPlN2at6native12_GLOBAL__N_18offset_tEEE10hipError_tPvRmT1_PNSt15iterator_traitsISK_E10value_typeET2_T3_PNSL_ISQ_E10value_typeET4_jRbjT5_SW_jjP12ihipStream_tbEUlT_E0_NS1_11comp_targetILNS1_3genE10ELNS1_11target_archE1201ELNS1_3gpuE5ELNS1_3repE0EEENS1_60segmented_radix_sort_warp_sort_medium_config_static_selectorELNS0_4arch9wavefront6targetE1EEEvSK_.uses_vcc, 0
	.set _ZN7rocprim17ROCPRIM_400000_NS6detail17trampoline_kernelINS0_14default_configENS1_36segmented_radix_sort_config_selectorIflEEZNS1_25segmented_radix_sort_implIS3_Lb1EPKfPfPKlPlN2at6native12_GLOBAL__N_18offset_tEEE10hipError_tPvRmT1_PNSt15iterator_traitsISK_E10value_typeET2_T3_PNSL_ISQ_E10value_typeET4_jRbjT5_SW_jjP12ihipStream_tbEUlT_E0_NS1_11comp_targetILNS1_3genE10ELNS1_11target_archE1201ELNS1_3gpuE5ELNS1_3repE0EEENS1_60segmented_radix_sort_warp_sort_medium_config_static_selectorELNS0_4arch9wavefront6targetE1EEEvSK_.uses_flat_scratch, 0
	.set _ZN7rocprim17ROCPRIM_400000_NS6detail17trampoline_kernelINS0_14default_configENS1_36segmented_radix_sort_config_selectorIflEEZNS1_25segmented_radix_sort_implIS3_Lb1EPKfPfPKlPlN2at6native12_GLOBAL__N_18offset_tEEE10hipError_tPvRmT1_PNSt15iterator_traitsISK_E10value_typeET2_T3_PNSL_ISQ_E10value_typeET4_jRbjT5_SW_jjP12ihipStream_tbEUlT_E0_NS1_11comp_targetILNS1_3genE10ELNS1_11target_archE1201ELNS1_3gpuE5ELNS1_3repE0EEENS1_60segmented_radix_sort_warp_sort_medium_config_static_selectorELNS0_4arch9wavefront6targetE1EEEvSK_.has_dyn_sized_stack, 0
	.set _ZN7rocprim17ROCPRIM_400000_NS6detail17trampoline_kernelINS0_14default_configENS1_36segmented_radix_sort_config_selectorIflEEZNS1_25segmented_radix_sort_implIS3_Lb1EPKfPfPKlPlN2at6native12_GLOBAL__N_18offset_tEEE10hipError_tPvRmT1_PNSt15iterator_traitsISK_E10value_typeET2_T3_PNSL_ISQ_E10value_typeET4_jRbjT5_SW_jjP12ihipStream_tbEUlT_E0_NS1_11comp_targetILNS1_3genE10ELNS1_11target_archE1201ELNS1_3gpuE5ELNS1_3repE0EEENS1_60segmented_radix_sort_warp_sort_medium_config_static_selectorELNS0_4arch9wavefront6targetE1EEEvSK_.has_recursion, 0
	.set _ZN7rocprim17ROCPRIM_400000_NS6detail17trampoline_kernelINS0_14default_configENS1_36segmented_radix_sort_config_selectorIflEEZNS1_25segmented_radix_sort_implIS3_Lb1EPKfPfPKlPlN2at6native12_GLOBAL__N_18offset_tEEE10hipError_tPvRmT1_PNSt15iterator_traitsISK_E10value_typeET2_T3_PNSL_ISQ_E10value_typeET4_jRbjT5_SW_jjP12ihipStream_tbEUlT_E0_NS1_11comp_targetILNS1_3genE10ELNS1_11target_archE1201ELNS1_3gpuE5ELNS1_3repE0EEENS1_60segmented_radix_sort_warp_sort_medium_config_static_selectorELNS0_4arch9wavefront6targetE1EEEvSK_.has_indirect_call, 0
	.section	.AMDGPU.csdata,"",@progbits
; Kernel info:
; codeLenInByte = 0
; TotalNumSgprs: 4
; NumVgprs: 0
; ScratchSize: 0
; MemoryBound: 0
; FloatMode: 240
; IeeeMode: 1
; LDSByteSize: 0 bytes/workgroup (compile time only)
; SGPRBlocks: 0
; VGPRBlocks: 0
; NumSGPRsForWavesPerEU: 4
; NumVGPRsForWavesPerEU: 1
; Occupancy: 10
; WaveLimiterHint : 0
; COMPUTE_PGM_RSRC2:SCRATCH_EN: 0
; COMPUTE_PGM_RSRC2:USER_SGPR: 6
; COMPUTE_PGM_RSRC2:TRAP_HANDLER: 0
; COMPUTE_PGM_RSRC2:TGID_X_EN: 1
; COMPUTE_PGM_RSRC2:TGID_Y_EN: 0
; COMPUTE_PGM_RSRC2:TGID_Z_EN: 0
; COMPUTE_PGM_RSRC2:TIDIG_COMP_CNT: 0
	.section	.text._ZN7rocprim17ROCPRIM_400000_NS6detail17trampoline_kernelINS0_14default_configENS1_36segmented_radix_sort_config_selectorIflEEZNS1_25segmented_radix_sort_implIS3_Lb1EPKfPfPKlPlN2at6native12_GLOBAL__N_18offset_tEEE10hipError_tPvRmT1_PNSt15iterator_traitsISK_E10value_typeET2_T3_PNSL_ISQ_E10value_typeET4_jRbjT5_SW_jjP12ihipStream_tbEUlT_E0_NS1_11comp_targetILNS1_3genE10ELNS1_11target_archE1200ELNS1_3gpuE4ELNS1_3repE0EEENS1_60segmented_radix_sort_warp_sort_medium_config_static_selectorELNS0_4arch9wavefront6targetE1EEEvSK_,"axG",@progbits,_ZN7rocprim17ROCPRIM_400000_NS6detail17trampoline_kernelINS0_14default_configENS1_36segmented_radix_sort_config_selectorIflEEZNS1_25segmented_radix_sort_implIS3_Lb1EPKfPfPKlPlN2at6native12_GLOBAL__N_18offset_tEEE10hipError_tPvRmT1_PNSt15iterator_traitsISK_E10value_typeET2_T3_PNSL_ISQ_E10value_typeET4_jRbjT5_SW_jjP12ihipStream_tbEUlT_E0_NS1_11comp_targetILNS1_3genE10ELNS1_11target_archE1200ELNS1_3gpuE4ELNS1_3repE0EEENS1_60segmented_radix_sort_warp_sort_medium_config_static_selectorELNS0_4arch9wavefront6targetE1EEEvSK_,comdat
	.globl	_ZN7rocprim17ROCPRIM_400000_NS6detail17trampoline_kernelINS0_14default_configENS1_36segmented_radix_sort_config_selectorIflEEZNS1_25segmented_radix_sort_implIS3_Lb1EPKfPfPKlPlN2at6native12_GLOBAL__N_18offset_tEEE10hipError_tPvRmT1_PNSt15iterator_traitsISK_E10value_typeET2_T3_PNSL_ISQ_E10value_typeET4_jRbjT5_SW_jjP12ihipStream_tbEUlT_E0_NS1_11comp_targetILNS1_3genE10ELNS1_11target_archE1200ELNS1_3gpuE4ELNS1_3repE0EEENS1_60segmented_radix_sort_warp_sort_medium_config_static_selectorELNS0_4arch9wavefront6targetE1EEEvSK_ ; -- Begin function _ZN7rocprim17ROCPRIM_400000_NS6detail17trampoline_kernelINS0_14default_configENS1_36segmented_radix_sort_config_selectorIflEEZNS1_25segmented_radix_sort_implIS3_Lb1EPKfPfPKlPlN2at6native12_GLOBAL__N_18offset_tEEE10hipError_tPvRmT1_PNSt15iterator_traitsISK_E10value_typeET2_T3_PNSL_ISQ_E10value_typeET4_jRbjT5_SW_jjP12ihipStream_tbEUlT_E0_NS1_11comp_targetILNS1_3genE10ELNS1_11target_archE1200ELNS1_3gpuE4ELNS1_3repE0EEENS1_60segmented_radix_sort_warp_sort_medium_config_static_selectorELNS0_4arch9wavefront6targetE1EEEvSK_
	.p2align	8
	.type	_ZN7rocprim17ROCPRIM_400000_NS6detail17trampoline_kernelINS0_14default_configENS1_36segmented_radix_sort_config_selectorIflEEZNS1_25segmented_radix_sort_implIS3_Lb1EPKfPfPKlPlN2at6native12_GLOBAL__N_18offset_tEEE10hipError_tPvRmT1_PNSt15iterator_traitsISK_E10value_typeET2_T3_PNSL_ISQ_E10value_typeET4_jRbjT5_SW_jjP12ihipStream_tbEUlT_E0_NS1_11comp_targetILNS1_3genE10ELNS1_11target_archE1200ELNS1_3gpuE4ELNS1_3repE0EEENS1_60segmented_radix_sort_warp_sort_medium_config_static_selectorELNS0_4arch9wavefront6targetE1EEEvSK_,@function
_ZN7rocprim17ROCPRIM_400000_NS6detail17trampoline_kernelINS0_14default_configENS1_36segmented_radix_sort_config_selectorIflEEZNS1_25segmented_radix_sort_implIS3_Lb1EPKfPfPKlPlN2at6native12_GLOBAL__N_18offset_tEEE10hipError_tPvRmT1_PNSt15iterator_traitsISK_E10value_typeET2_T3_PNSL_ISQ_E10value_typeET4_jRbjT5_SW_jjP12ihipStream_tbEUlT_E0_NS1_11comp_targetILNS1_3genE10ELNS1_11target_archE1200ELNS1_3gpuE4ELNS1_3repE0EEENS1_60segmented_radix_sort_warp_sort_medium_config_static_selectorELNS0_4arch9wavefront6targetE1EEEvSK_: ; @_ZN7rocprim17ROCPRIM_400000_NS6detail17trampoline_kernelINS0_14default_configENS1_36segmented_radix_sort_config_selectorIflEEZNS1_25segmented_radix_sort_implIS3_Lb1EPKfPfPKlPlN2at6native12_GLOBAL__N_18offset_tEEE10hipError_tPvRmT1_PNSt15iterator_traitsISK_E10value_typeET2_T3_PNSL_ISQ_E10value_typeET4_jRbjT5_SW_jjP12ihipStream_tbEUlT_E0_NS1_11comp_targetILNS1_3genE10ELNS1_11target_archE1200ELNS1_3gpuE4ELNS1_3repE0EEENS1_60segmented_radix_sort_warp_sort_medium_config_static_selectorELNS0_4arch9wavefront6targetE1EEEvSK_
; %bb.0:
	.section	.rodata,"a",@progbits
	.p2align	6, 0x0
	.amdhsa_kernel _ZN7rocprim17ROCPRIM_400000_NS6detail17trampoline_kernelINS0_14default_configENS1_36segmented_radix_sort_config_selectorIflEEZNS1_25segmented_radix_sort_implIS3_Lb1EPKfPfPKlPlN2at6native12_GLOBAL__N_18offset_tEEE10hipError_tPvRmT1_PNSt15iterator_traitsISK_E10value_typeET2_T3_PNSL_ISQ_E10value_typeET4_jRbjT5_SW_jjP12ihipStream_tbEUlT_E0_NS1_11comp_targetILNS1_3genE10ELNS1_11target_archE1200ELNS1_3gpuE4ELNS1_3repE0EEENS1_60segmented_radix_sort_warp_sort_medium_config_static_selectorELNS0_4arch9wavefront6targetE1EEEvSK_
		.amdhsa_group_segment_fixed_size 0
		.amdhsa_private_segment_fixed_size 0
		.amdhsa_kernarg_size 88
		.amdhsa_user_sgpr_count 6
		.amdhsa_user_sgpr_private_segment_buffer 1
		.amdhsa_user_sgpr_dispatch_ptr 0
		.amdhsa_user_sgpr_queue_ptr 0
		.amdhsa_user_sgpr_kernarg_segment_ptr 1
		.amdhsa_user_sgpr_dispatch_id 0
		.amdhsa_user_sgpr_flat_scratch_init 0
		.amdhsa_user_sgpr_private_segment_size 0
		.amdhsa_uses_dynamic_stack 0
		.amdhsa_system_sgpr_private_segment_wavefront_offset 0
		.amdhsa_system_sgpr_workgroup_id_x 1
		.amdhsa_system_sgpr_workgroup_id_y 0
		.amdhsa_system_sgpr_workgroup_id_z 0
		.amdhsa_system_sgpr_workgroup_info 0
		.amdhsa_system_vgpr_workitem_id 0
		.amdhsa_next_free_vgpr 1
		.amdhsa_next_free_sgpr 0
		.amdhsa_reserve_vcc 0
		.amdhsa_reserve_flat_scratch 0
		.amdhsa_float_round_mode_32 0
		.amdhsa_float_round_mode_16_64 0
		.amdhsa_float_denorm_mode_32 3
		.amdhsa_float_denorm_mode_16_64 3
		.amdhsa_dx10_clamp 1
		.amdhsa_ieee_mode 1
		.amdhsa_fp16_overflow 0
		.amdhsa_exception_fp_ieee_invalid_op 0
		.amdhsa_exception_fp_denorm_src 0
		.amdhsa_exception_fp_ieee_div_zero 0
		.amdhsa_exception_fp_ieee_overflow 0
		.amdhsa_exception_fp_ieee_underflow 0
		.amdhsa_exception_fp_ieee_inexact 0
		.amdhsa_exception_int_div_zero 0
	.end_amdhsa_kernel
	.section	.text._ZN7rocprim17ROCPRIM_400000_NS6detail17trampoline_kernelINS0_14default_configENS1_36segmented_radix_sort_config_selectorIflEEZNS1_25segmented_radix_sort_implIS3_Lb1EPKfPfPKlPlN2at6native12_GLOBAL__N_18offset_tEEE10hipError_tPvRmT1_PNSt15iterator_traitsISK_E10value_typeET2_T3_PNSL_ISQ_E10value_typeET4_jRbjT5_SW_jjP12ihipStream_tbEUlT_E0_NS1_11comp_targetILNS1_3genE10ELNS1_11target_archE1200ELNS1_3gpuE4ELNS1_3repE0EEENS1_60segmented_radix_sort_warp_sort_medium_config_static_selectorELNS0_4arch9wavefront6targetE1EEEvSK_,"axG",@progbits,_ZN7rocprim17ROCPRIM_400000_NS6detail17trampoline_kernelINS0_14default_configENS1_36segmented_radix_sort_config_selectorIflEEZNS1_25segmented_radix_sort_implIS3_Lb1EPKfPfPKlPlN2at6native12_GLOBAL__N_18offset_tEEE10hipError_tPvRmT1_PNSt15iterator_traitsISK_E10value_typeET2_T3_PNSL_ISQ_E10value_typeET4_jRbjT5_SW_jjP12ihipStream_tbEUlT_E0_NS1_11comp_targetILNS1_3genE10ELNS1_11target_archE1200ELNS1_3gpuE4ELNS1_3repE0EEENS1_60segmented_radix_sort_warp_sort_medium_config_static_selectorELNS0_4arch9wavefront6targetE1EEEvSK_,comdat
.Lfunc_end1342:
	.size	_ZN7rocprim17ROCPRIM_400000_NS6detail17trampoline_kernelINS0_14default_configENS1_36segmented_radix_sort_config_selectorIflEEZNS1_25segmented_radix_sort_implIS3_Lb1EPKfPfPKlPlN2at6native12_GLOBAL__N_18offset_tEEE10hipError_tPvRmT1_PNSt15iterator_traitsISK_E10value_typeET2_T3_PNSL_ISQ_E10value_typeET4_jRbjT5_SW_jjP12ihipStream_tbEUlT_E0_NS1_11comp_targetILNS1_3genE10ELNS1_11target_archE1200ELNS1_3gpuE4ELNS1_3repE0EEENS1_60segmented_radix_sort_warp_sort_medium_config_static_selectorELNS0_4arch9wavefront6targetE1EEEvSK_, .Lfunc_end1342-_ZN7rocprim17ROCPRIM_400000_NS6detail17trampoline_kernelINS0_14default_configENS1_36segmented_radix_sort_config_selectorIflEEZNS1_25segmented_radix_sort_implIS3_Lb1EPKfPfPKlPlN2at6native12_GLOBAL__N_18offset_tEEE10hipError_tPvRmT1_PNSt15iterator_traitsISK_E10value_typeET2_T3_PNSL_ISQ_E10value_typeET4_jRbjT5_SW_jjP12ihipStream_tbEUlT_E0_NS1_11comp_targetILNS1_3genE10ELNS1_11target_archE1200ELNS1_3gpuE4ELNS1_3repE0EEENS1_60segmented_radix_sort_warp_sort_medium_config_static_selectorELNS0_4arch9wavefront6targetE1EEEvSK_
                                        ; -- End function
	.set _ZN7rocprim17ROCPRIM_400000_NS6detail17trampoline_kernelINS0_14default_configENS1_36segmented_radix_sort_config_selectorIflEEZNS1_25segmented_radix_sort_implIS3_Lb1EPKfPfPKlPlN2at6native12_GLOBAL__N_18offset_tEEE10hipError_tPvRmT1_PNSt15iterator_traitsISK_E10value_typeET2_T3_PNSL_ISQ_E10value_typeET4_jRbjT5_SW_jjP12ihipStream_tbEUlT_E0_NS1_11comp_targetILNS1_3genE10ELNS1_11target_archE1200ELNS1_3gpuE4ELNS1_3repE0EEENS1_60segmented_radix_sort_warp_sort_medium_config_static_selectorELNS0_4arch9wavefront6targetE1EEEvSK_.num_vgpr, 0
	.set _ZN7rocprim17ROCPRIM_400000_NS6detail17trampoline_kernelINS0_14default_configENS1_36segmented_radix_sort_config_selectorIflEEZNS1_25segmented_radix_sort_implIS3_Lb1EPKfPfPKlPlN2at6native12_GLOBAL__N_18offset_tEEE10hipError_tPvRmT1_PNSt15iterator_traitsISK_E10value_typeET2_T3_PNSL_ISQ_E10value_typeET4_jRbjT5_SW_jjP12ihipStream_tbEUlT_E0_NS1_11comp_targetILNS1_3genE10ELNS1_11target_archE1200ELNS1_3gpuE4ELNS1_3repE0EEENS1_60segmented_radix_sort_warp_sort_medium_config_static_selectorELNS0_4arch9wavefront6targetE1EEEvSK_.num_agpr, 0
	.set _ZN7rocprim17ROCPRIM_400000_NS6detail17trampoline_kernelINS0_14default_configENS1_36segmented_radix_sort_config_selectorIflEEZNS1_25segmented_radix_sort_implIS3_Lb1EPKfPfPKlPlN2at6native12_GLOBAL__N_18offset_tEEE10hipError_tPvRmT1_PNSt15iterator_traitsISK_E10value_typeET2_T3_PNSL_ISQ_E10value_typeET4_jRbjT5_SW_jjP12ihipStream_tbEUlT_E0_NS1_11comp_targetILNS1_3genE10ELNS1_11target_archE1200ELNS1_3gpuE4ELNS1_3repE0EEENS1_60segmented_radix_sort_warp_sort_medium_config_static_selectorELNS0_4arch9wavefront6targetE1EEEvSK_.numbered_sgpr, 0
	.set _ZN7rocprim17ROCPRIM_400000_NS6detail17trampoline_kernelINS0_14default_configENS1_36segmented_radix_sort_config_selectorIflEEZNS1_25segmented_radix_sort_implIS3_Lb1EPKfPfPKlPlN2at6native12_GLOBAL__N_18offset_tEEE10hipError_tPvRmT1_PNSt15iterator_traitsISK_E10value_typeET2_T3_PNSL_ISQ_E10value_typeET4_jRbjT5_SW_jjP12ihipStream_tbEUlT_E0_NS1_11comp_targetILNS1_3genE10ELNS1_11target_archE1200ELNS1_3gpuE4ELNS1_3repE0EEENS1_60segmented_radix_sort_warp_sort_medium_config_static_selectorELNS0_4arch9wavefront6targetE1EEEvSK_.num_named_barrier, 0
	.set _ZN7rocprim17ROCPRIM_400000_NS6detail17trampoline_kernelINS0_14default_configENS1_36segmented_radix_sort_config_selectorIflEEZNS1_25segmented_radix_sort_implIS3_Lb1EPKfPfPKlPlN2at6native12_GLOBAL__N_18offset_tEEE10hipError_tPvRmT1_PNSt15iterator_traitsISK_E10value_typeET2_T3_PNSL_ISQ_E10value_typeET4_jRbjT5_SW_jjP12ihipStream_tbEUlT_E0_NS1_11comp_targetILNS1_3genE10ELNS1_11target_archE1200ELNS1_3gpuE4ELNS1_3repE0EEENS1_60segmented_radix_sort_warp_sort_medium_config_static_selectorELNS0_4arch9wavefront6targetE1EEEvSK_.private_seg_size, 0
	.set _ZN7rocprim17ROCPRIM_400000_NS6detail17trampoline_kernelINS0_14default_configENS1_36segmented_radix_sort_config_selectorIflEEZNS1_25segmented_radix_sort_implIS3_Lb1EPKfPfPKlPlN2at6native12_GLOBAL__N_18offset_tEEE10hipError_tPvRmT1_PNSt15iterator_traitsISK_E10value_typeET2_T3_PNSL_ISQ_E10value_typeET4_jRbjT5_SW_jjP12ihipStream_tbEUlT_E0_NS1_11comp_targetILNS1_3genE10ELNS1_11target_archE1200ELNS1_3gpuE4ELNS1_3repE0EEENS1_60segmented_radix_sort_warp_sort_medium_config_static_selectorELNS0_4arch9wavefront6targetE1EEEvSK_.uses_vcc, 0
	.set _ZN7rocprim17ROCPRIM_400000_NS6detail17trampoline_kernelINS0_14default_configENS1_36segmented_radix_sort_config_selectorIflEEZNS1_25segmented_radix_sort_implIS3_Lb1EPKfPfPKlPlN2at6native12_GLOBAL__N_18offset_tEEE10hipError_tPvRmT1_PNSt15iterator_traitsISK_E10value_typeET2_T3_PNSL_ISQ_E10value_typeET4_jRbjT5_SW_jjP12ihipStream_tbEUlT_E0_NS1_11comp_targetILNS1_3genE10ELNS1_11target_archE1200ELNS1_3gpuE4ELNS1_3repE0EEENS1_60segmented_radix_sort_warp_sort_medium_config_static_selectorELNS0_4arch9wavefront6targetE1EEEvSK_.uses_flat_scratch, 0
	.set _ZN7rocprim17ROCPRIM_400000_NS6detail17trampoline_kernelINS0_14default_configENS1_36segmented_radix_sort_config_selectorIflEEZNS1_25segmented_radix_sort_implIS3_Lb1EPKfPfPKlPlN2at6native12_GLOBAL__N_18offset_tEEE10hipError_tPvRmT1_PNSt15iterator_traitsISK_E10value_typeET2_T3_PNSL_ISQ_E10value_typeET4_jRbjT5_SW_jjP12ihipStream_tbEUlT_E0_NS1_11comp_targetILNS1_3genE10ELNS1_11target_archE1200ELNS1_3gpuE4ELNS1_3repE0EEENS1_60segmented_radix_sort_warp_sort_medium_config_static_selectorELNS0_4arch9wavefront6targetE1EEEvSK_.has_dyn_sized_stack, 0
	.set _ZN7rocprim17ROCPRIM_400000_NS6detail17trampoline_kernelINS0_14default_configENS1_36segmented_radix_sort_config_selectorIflEEZNS1_25segmented_radix_sort_implIS3_Lb1EPKfPfPKlPlN2at6native12_GLOBAL__N_18offset_tEEE10hipError_tPvRmT1_PNSt15iterator_traitsISK_E10value_typeET2_T3_PNSL_ISQ_E10value_typeET4_jRbjT5_SW_jjP12ihipStream_tbEUlT_E0_NS1_11comp_targetILNS1_3genE10ELNS1_11target_archE1200ELNS1_3gpuE4ELNS1_3repE0EEENS1_60segmented_radix_sort_warp_sort_medium_config_static_selectorELNS0_4arch9wavefront6targetE1EEEvSK_.has_recursion, 0
	.set _ZN7rocprim17ROCPRIM_400000_NS6detail17trampoline_kernelINS0_14default_configENS1_36segmented_radix_sort_config_selectorIflEEZNS1_25segmented_radix_sort_implIS3_Lb1EPKfPfPKlPlN2at6native12_GLOBAL__N_18offset_tEEE10hipError_tPvRmT1_PNSt15iterator_traitsISK_E10value_typeET2_T3_PNSL_ISQ_E10value_typeET4_jRbjT5_SW_jjP12ihipStream_tbEUlT_E0_NS1_11comp_targetILNS1_3genE10ELNS1_11target_archE1200ELNS1_3gpuE4ELNS1_3repE0EEENS1_60segmented_radix_sort_warp_sort_medium_config_static_selectorELNS0_4arch9wavefront6targetE1EEEvSK_.has_indirect_call, 0
	.section	.AMDGPU.csdata,"",@progbits
; Kernel info:
; codeLenInByte = 0
; TotalNumSgprs: 4
; NumVgprs: 0
; ScratchSize: 0
; MemoryBound: 0
; FloatMode: 240
; IeeeMode: 1
; LDSByteSize: 0 bytes/workgroup (compile time only)
; SGPRBlocks: 0
; VGPRBlocks: 0
; NumSGPRsForWavesPerEU: 4
; NumVGPRsForWavesPerEU: 1
; Occupancy: 10
; WaveLimiterHint : 0
; COMPUTE_PGM_RSRC2:SCRATCH_EN: 0
; COMPUTE_PGM_RSRC2:USER_SGPR: 6
; COMPUTE_PGM_RSRC2:TRAP_HANDLER: 0
; COMPUTE_PGM_RSRC2:TGID_X_EN: 1
; COMPUTE_PGM_RSRC2:TGID_Y_EN: 0
; COMPUTE_PGM_RSRC2:TGID_Z_EN: 0
; COMPUTE_PGM_RSRC2:TIDIG_COMP_CNT: 0
	.section	.text._ZN7rocprim17ROCPRIM_400000_NS6detail17trampoline_kernelINS0_14default_configENS1_36segmented_radix_sort_config_selectorIflEEZNS1_25segmented_radix_sort_implIS3_Lb1EPKfPfPKlPlN2at6native12_GLOBAL__N_18offset_tEEE10hipError_tPvRmT1_PNSt15iterator_traitsISK_E10value_typeET2_T3_PNSL_ISQ_E10value_typeET4_jRbjT5_SW_jjP12ihipStream_tbEUlT_E0_NS1_11comp_targetILNS1_3genE9ELNS1_11target_archE1100ELNS1_3gpuE3ELNS1_3repE0EEENS1_60segmented_radix_sort_warp_sort_medium_config_static_selectorELNS0_4arch9wavefront6targetE1EEEvSK_,"axG",@progbits,_ZN7rocprim17ROCPRIM_400000_NS6detail17trampoline_kernelINS0_14default_configENS1_36segmented_radix_sort_config_selectorIflEEZNS1_25segmented_radix_sort_implIS3_Lb1EPKfPfPKlPlN2at6native12_GLOBAL__N_18offset_tEEE10hipError_tPvRmT1_PNSt15iterator_traitsISK_E10value_typeET2_T3_PNSL_ISQ_E10value_typeET4_jRbjT5_SW_jjP12ihipStream_tbEUlT_E0_NS1_11comp_targetILNS1_3genE9ELNS1_11target_archE1100ELNS1_3gpuE3ELNS1_3repE0EEENS1_60segmented_radix_sort_warp_sort_medium_config_static_selectorELNS0_4arch9wavefront6targetE1EEEvSK_,comdat
	.globl	_ZN7rocprim17ROCPRIM_400000_NS6detail17trampoline_kernelINS0_14default_configENS1_36segmented_radix_sort_config_selectorIflEEZNS1_25segmented_radix_sort_implIS3_Lb1EPKfPfPKlPlN2at6native12_GLOBAL__N_18offset_tEEE10hipError_tPvRmT1_PNSt15iterator_traitsISK_E10value_typeET2_T3_PNSL_ISQ_E10value_typeET4_jRbjT5_SW_jjP12ihipStream_tbEUlT_E0_NS1_11comp_targetILNS1_3genE9ELNS1_11target_archE1100ELNS1_3gpuE3ELNS1_3repE0EEENS1_60segmented_radix_sort_warp_sort_medium_config_static_selectorELNS0_4arch9wavefront6targetE1EEEvSK_ ; -- Begin function _ZN7rocprim17ROCPRIM_400000_NS6detail17trampoline_kernelINS0_14default_configENS1_36segmented_radix_sort_config_selectorIflEEZNS1_25segmented_radix_sort_implIS3_Lb1EPKfPfPKlPlN2at6native12_GLOBAL__N_18offset_tEEE10hipError_tPvRmT1_PNSt15iterator_traitsISK_E10value_typeET2_T3_PNSL_ISQ_E10value_typeET4_jRbjT5_SW_jjP12ihipStream_tbEUlT_E0_NS1_11comp_targetILNS1_3genE9ELNS1_11target_archE1100ELNS1_3gpuE3ELNS1_3repE0EEENS1_60segmented_radix_sort_warp_sort_medium_config_static_selectorELNS0_4arch9wavefront6targetE1EEEvSK_
	.p2align	8
	.type	_ZN7rocprim17ROCPRIM_400000_NS6detail17trampoline_kernelINS0_14default_configENS1_36segmented_radix_sort_config_selectorIflEEZNS1_25segmented_radix_sort_implIS3_Lb1EPKfPfPKlPlN2at6native12_GLOBAL__N_18offset_tEEE10hipError_tPvRmT1_PNSt15iterator_traitsISK_E10value_typeET2_T3_PNSL_ISQ_E10value_typeET4_jRbjT5_SW_jjP12ihipStream_tbEUlT_E0_NS1_11comp_targetILNS1_3genE9ELNS1_11target_archE1100ELNS1_3gpuE3ELNS1_3repE0EEENS1_60segmented_radix_sort_warp_sort_medium_config_static_selectorELNS0_4arch9wavefront6targetE1EEEvSK_,@function
_ZN7rocprim17ROCPRIM_400000_NS6detail17trampoline_kernelINS0_14default_configENS1_36segmented_radix_sort_config_selectorIflEEZNS1_25segmented_radix_sort_implIS3_Lb1EPKfPfPKlPlN2at6native12_GLOBAL__N_18offset_tEEE10hipError_tPvRmT1_PNSt15iterator_traitsISK_E10value_typeET2_T3_PNSL_ISQ_E10value_typeET4_jRbjT5_SW_jjP12ihipStream_tbEUlT_E0_NS1_11comp_targetILNS1_3genE9ELNS1_11target_archE1100ELNS1_3gpuE3ELNS1_3repE0EEENS1_60segmented_radix_sort_warp_sort_medium_config_static_selectorELNS0_4arch9wavefront6targetE1EEEvSK_: ; @_ZN7rocprim17ROCPRIM_400000_NS6detail17trampoline_kernelINS0_14default_configENS1_36segmented_radix_sort_config_selectorIflEEZNS1_25segmented_radix_sort_implIS3_Lb1EPKfPfPKlPlN2at6native12_GLOBAL__N_18offset_tEEE10hipError_tPvRmT1_PNSt15iterator_traitsISK_E10value_typeET2_T3_PNSL_ISQ_E10value_typeET4_jRbjT5_SW_jjP12ihipStream_tbEUlT_E0_NS1_11comp_targetILNS1_3genE9ELNS1_11target_archE1100ELNS1_3gpuE3ELNS1_3repE0EEENS1_60segmented_radix_sort_warp_sort_medium_config_static_selectorELNS0_4arch9wavefront6targetE1EEEvSK_
; %bb.0:
	.section	.rodata,"a",@progbits
	.p2align	6, 0x0
	.amdhsa_kernel _ZN7rocprim17ROCPRIM_400000_NS6detail17trampoline_kernelINS0_14default_configENS1_36segmented_radix_sort_config_selectorIflEEZNS1_25segmented_radix_sort_implIS3_Lb1EPKfPfPKlPlN2at6native12_GLOBAL__N_18offset_tEEE10hipError_tPvRmT1_PNSt15iterator_traitsISK_E10value_typeET2_T3_PNSL_ISQ_E10value_typeET4_jRbjT5_SW_jjP12ihipStream_tbEUlT_E0_NS1_11comp_targetILNS1_3genE9ELNS1_11target_archE1100ELNS1_3gpuE3ELNS1_3repE0EEENS1_60segmented_radix_sort_warp_sort_medium_config_static_selectorELNS0_4arch9wavefront6targetE1EEEvSK_
		.amdhsa_group_segment_fixed_size 0
		.amdhsa_private_segment_fixed_size 0
		.amdhsa_kernarg_size 88
		.amdhsa_user_sgpr_count 6
		.amdhsa_user_sgpr_private_segment_buffer 1
		.amdhsa_user_sgpr_dispatch_ptr 0
		.amdhsa_user_sgpr_queue_ptr 0
		.amdhsa_user_sgpr_kernarg_segment_ptr 1
		.amdhsa_user_sgpr_dispatch_id 0
		.amdhsa_user_sgpr_flat_scratch_init 0
		.amdhsa_user_sgpr_private_segment_size 0
		.amdhsa_uses_dynamic_stack 0
		.amdhsa_system_sgpr_private_segment_wavefront_offset 0
		.amdhsa_system_sgpr_workgroup_id_x 1
		.amdhsa_system_sgpr_workgroup_id_y 0
		.amdhsa_system_sgpr_workgroup_id_z 0
		.amdhsa_system_sgpr_workgroup_info 0
		.amdhsa_system_vgpr_workitem_id 0
		.amdhsa_next_free_vgpr 1
		.amdhsa_next_free_sgpr 0
		.amdhsa_reserve_vcc 0
		.amdhsa_reserve_flat_scratch 0
		.amdhsa_float_round_mode_32 0
		.amdhsa_float_round_mode_16_64 0
		.amdhsa_float_denorm_mode_32 3
		.amdhsa_float_denorm_mode_16_64 3
		.amdhsa_dx10_clamp 1
		.amdhsa_ieee_mode 1
		.amdhsa_fp16_overflow 0
		.amdhsa_exception_fp_ieee_invalid_op 0
		.amdhsa_exception_fp_denorm_src 0
		.amdhsa_exception_fp_ieee_div_zero 0
		.amdhsa_exception_fp_ieee_overflow 0
		.amdhsa_exception_fp_ieee_underflow 0
		.amdhsa_exception_fp_ieee_inexact 0
		.amdhsa_exception_int_div_zero 0
	.end_amdhsa_kernel
	.section	.text._ZN7rocprim17ROCPRIM_400000_NS6detail17trampoline_kernelINS0_14default_configENS1_36segmented_radix_sort_config_selectorIflEEZNS1_25segmented_radix_sort_implIS3_Lb1EPKfPfPKlPlN2at6native12_GLOBAL__N_18offset_tEEE10hipError_tPvRmT1_PNSt15iterator_traitsISK_E10value_typeET2_T3_PNSL_ISQ_E10value_typeET4_jRbjT5_SW_jjP12ihipStream_tbEUlT_E0_NS1_11comp_targetILNS1_3genE9ELNS1_11target_archE1100ELNS1_3gpuE3ELNS1_3repE0EEENS1_60segmented_radix_sort_warp_sort_medium_config_static_selectorELNS0_4arch9wavefront6targetE1EEEvSK_,"axG",@progbits,_ZN7rocprim17ROCPRIM_400000_NS6detail17trampoline_kernelINS0_14default_configENS1_36segmented_radix_sort_config_selectorIflEEZNS1_25segmented_radix_sort_implIS3_Lb1EPKfPfPKlPlN2at6native12_GLOBAL__N_18offset_tEEE10hipError_tPvRmT1_PNSt15iterator_traitsISK_E10value_typeET2_T3_PNSL_ISQ_E10value_typeET4_jRbjT5_SW_jjP12ihipStream_tbEUlT_E0_NS1_11comp_targetILNS1_3genE9ELNS1_11target_archE1100ELNS1_3gpuE3ELNS1_3repE0EEENS1_60segmented_radix_sort_warp_sort_medium_config_static_selectorELNS0_4arch9wavefront6targetE1EEEvSK_,comdat
.Lfunc_end1343:
	.size	_ZN7rocprim17ROCPRIM_400000_NS6detail17trampoline_kernelINS0_14default_configENS1_36segmented_radix_sort_config_selectorIflEEZNS1_25segmented_radix_sort_implIS3_Lb1EPKfPfPKlPlN2at6native12_GLOBAL__N_18offset_tEEE10hipError_tPvRmT1_PNSt15iterator_traitsISK_E10value_typeET2_T3_PNSL_ISQ_E10value_typeET4_jRbjT5_SW_jjP12ihipStream_tbEUlT_E0_NS1_11comp_targetILNS1_3genE9ELNS1_11target_archE1100ELNS1_3gpuE3ELNS1_3repE0EEENS1_60segmented_radix_sort_warp_sort_medium_config_static_selectorELNS0_4arch9wavefront6targetE1EEEvSK_, .Lfunc_end1343-_ZN7rocprim17ROCPRIM_400000_NS6detail17trampoline_kernelINS0_14default_configENS1_36segmented_radix_sort_config_selectorIflEEZNS1_25segmented_radix_sort_implIS3_Lb1EPKfPfPKlPlN2at6native12_GLOBAL__N_18offset_tEEE10hipError_tPvRmT1_PNSt15iterator_traitsISK_E10value_typeET2_T3_PNSL_ISQ_E10value_typeET4_jRbjT5_SW_jjP12ihipStream_tbEUlT_E0_NS1_11comp_targetILNS1_3genE9ELNS1_11target_archE1100ELNS1_3gpuE3ELNS1_3repE0EEENS1_60segmented_radix_sort_warp_sort_medium_config_static_selectorELNS0_4arch9wavefront6targetE1EEEvSK_
                                        ; -- End function
	.set _ZN7rocprim17ROCPRIM_400000_NS6detail17trampoline_kernelINS0_14default_configENS1_36segmented_radix_sort_config_selectorIflEEZNS1_25segmented_radix_sort_implIS3_Lb1EPKfPfPKlPlN2at6native12_GLOBAL__N_18offset_tEEE10hipError_tPvRmT1_PNSt15iterator_traitsISK_E10value_typeET2_T3_PNSL_ISQ_E10value_typeET4_jRbjT5_SW_jjP12ihipStream_tbEUlT_E0_NS1_11comp_targetILNS1_3genE9ELNS1_11target_archE1100ELNS1_3gpuE3ELNS1_3repE0EEENS1_60segmented_radix_sort_warp_sort_medium_config_static_selectorELNS0_4arch9wavefront6targetE1EEEvSK_.num_vgpr, 0
	.set _ZN7rocprim17ROCPRIM_400000_NS6detail17trampoline_kernelINS0_14default_configENS1_36segmented_radix_sort_config_selectorIflEEZNS1_25segmented_radix_sort_implIS3_Lb1EPKfPfPKlPlN2at6native12_GLOBAL__N_18offset_tEEE10hipError_tPvRmT1_PNSt15iterator_traitsISK_E10value_typeET2_T3_PNSL_ISQ_E10value_typeET4_jRbjT5_SW_jjP12ihipStream_tbEUlT_E0_NS1_11comp_targetILNS1_3genE9ELNS1_11target_archE1100ELNS1_3gpuE3ELNS1_3repE0EEENS1_60segmented_radix_sort_warp_sort_medium_config_static_selectorELNS0_4arch9wavefront6targetE1EEEvSK_.num_agpr, 0
	.set _ZN7rocprim17ROCPRIM_400000_NS6detail17trampoline_kernelINS0_14default_configENS1_36segmented_radix_sort_config_selectorIflEEZNS1_25segmented_radix_sort_implIS3_Lb1EPKfPfPKlPlN2at6native12_GLOBAL__N_18offset_tEEE10hipError_tPvRmT1_PNSt15iterator_traitsISK_E10value_typeET2_T3_PNSL_ISQ_E10value_typeET4_jRbjT5_SW_jjP12ihipStream_tbEUlT_E0_NS1_11comp_targetILNS1_3genE9ELNS1_11target_archE1100ELNS1_3gpuE3ELNS1_3repE0EEENS1_60segmented_radix_sort_warp_sort_medium_config_static_selectorELNS0_4arch9wavefront6targetE1EEEvSK_.numbered_sgpr, 0
	.set _ZN7rocprim17ROCPRIM_400000_NS6detail17trampoline_kernelINS0_14default_configENS1_36segmented_radix_sort_config_selectorIflEEZNS1_25segmented_radix_sort_implIS3_Lb1EPKfPfPKlPlN2at6native12_GLOBAL__N_18offset_tEEE10hipError_tPvRmT1_PNSt15iterator_traitsISK_E10value_typeET2_T3_PNSL_ISQ_E10value_typeET4_jRbjT5_SW_jjP12ihipStream_tbEUlT_E0_NS1_11comp_targetILNS1_3genE9ELNS1_11target_archE1100ELNS1_3gpuE3ELNS1_3repE0EEENS1_60segmented_radix_sort_warp_sort_medium_config_static_selectorELNS0_4arch9wavefront6targetE1EEEvSK_.num_named_barrier, 0
	.set _ZN7rocprim17ROCPRIM_400000_NS6detail17trampoline_kernelINS0_14default_configENS1_36segmented_radix_sort_config_selectorIflEEZNS1_25segmented_radix_sort_implIS3_Lb1EPKfPfPKlPlN2at6native12_GLOBAL__N_18offset_tEEE10hipError_tPvRmT1_PNSt15iterator_traitsISK_E10value_typeET2_T3_PNSL_ISQ_E10value_typeET4_jRbjT5_SW_jjP12ihipStream_tbEUlT_E0_NS1_11comp_targetILNS1_3genE9ELNS1_11target_archE1100ELNS1_3gpuE3ELNS1_3repE0EEENS1_60segmented_radix_sort_warp_sort_medium_config_static_selectorELNS0_4arch9wavefront6targetE1EEEvSK_.private_seg_size, 0
	.set _ZN7rocprim17ROCPRIM_400000_NS6detail17trampoline_kernelINS0_14default_configENS1_36segmented_radix_sort_config_selectorIflEEZNS1_25segmented_radix_sort_implIS3_Lb1EPKfPfPKlPlN2at6native12_GLOBAL__N_18offset_tEEE10hipError_tPvRmT1_PNSt15iterator_traitsISK_E10value_typeET2_T3_PNSL_ISQ_E10value_typeET4_jRbjT5_SW_jjP12ihipStream_tbEUlT_E0_NS1_11comp_targetILNS1_3genE9ELNS1_11target_archE1100ELNS1_3gpuE3ELNS1_3repE0EEENS1_60segmented_radix_sort_warp_sort_medium_config_static_selectorELNS0_4arch9wavefront6targetE1EEEvSK_.uses_vcc, 0
	.set _ZN7rocprim17ROCPRIM_400000_NS6detail17trampoline_kernelINS0_14default_configENS1_36segmented_radix_sort_config_selectorIflEEZNS1_25segmented_radix_sort_implIS3_Lb1EPKfPfPKlPlN2at6native12_GLOBAL__N_18offset_tEEE10hipError_tPvRmT1_PNSt15iterator_traitsISK_E10value_typeET2_T3_PNSL_ISQ_E10value_typeET4_jRbjT5_SW_jjP12ihipStream_tbEUlT_E0_NS1_11comp_targetILNS1_3genE9ELNS1_11target_archE1100ELNS1_3gpuE3ELNS1_3repE0EEENS1_60segmented_radix_sort_warp_sort_medium_config_static_selectorELNS0_4arch9wavefront6targetE1EEEvSK_.uses_flat_scratch, 0
	.set _ZN7rocprim17ROCPRIM_400000_NS6detail17trampoline_kernelINS0_14default_configENS1_36segmented_radix_sort_config_selectorIflEEZNS1_25segmented_radix_sort_implIS3_Lb1EPKfPfPKlPlN2at6native12_GLOBAL__N_18offset_tEEE10hipError_tPvRmT1_PNSt15iterator_traitsISK_E10value_typeET2_T3_PNSL_ISQ_E10value_typeET4_jRbjT5_SW_jjP12ihipStream_tbEUlT_E0_NS1_11comp_targetILNS1_3genE9ELNS1_11target_archE1100ELNS1_3gpuE3ELNS1_3repE0EEENS1_60segmented_radix_sort_warp_sort_medium_config_static_selectorELNS0_4arch9wavefront6targetE1EEEvSK_.has_dyn_sized_stack, 0
	.set _ZN7rocprim17ROCPRIM_400000_NS6detail17trampoline_kernelINS0_14default_configENS1_36segmented_radix_sort_config_selectorIflEEZNS1_25segmented_radix_sort_implIS3_Lb1EPKfPfPKlPlN2at6native12_GLOBAL__N_18offset_tEEE10hipError_tPvRmT1_PNSt15iterator_traitsISK_E10value_typeET2_T3_PNSL_ISQ_E10value_typeET4_jRbjT5_SW_jjP12ihipStream_tbEUlT_E0_NS1_11comp_targetILNS1_3genE9ELNS1_11target_archE1100ELNS1_3gpuE3ELNS1_3repE0EEENS1_60segmented_radix_sort_warp_sort_medium_config_static_selectorELNS0_4arch9wavefront6targetE1EEEvSK_.has_recursion, 0
	.set _ZN7rocprim17ROCPRIM_400000_NS6detail17trampoline_kernelINS0_14default_configENS1_36segmented_radix_sort_config_selectorIflEEZNS1_25segmented_radix_sort_implIS3_Lb1EPKfPfPKlPlN2at6native12_GLOBAL__N_18offset_tEEE10hipError_tPvRmT1_PNSt15iterator_traitsISK_E10value_typeET2_T3_PNSL_ISQ_E10value_typeET4_jRbjT5_SW_jjP12ihipStream_tbEUlT_E0_NS1_11comp_targetILNS1_3genE9ELNS1_11target_archE1100ELNS1_3gpuE3ELNS1_3repE0EEENS1_60segmented_radix_sort_warp_sort_medium_config_static_selectorELNS0_4arch9wavefront6targetE1EEEvSK_.has_indirect_call, 0
	.section	.AMDGPU.csdata,"",@progbits
; Kernel info:
; codeLenInByte = 0
; TotalNumSgprs: 4
; NumVgprs: 0
; ScratchSize: 0
; MemoryBound: 0
; FloatMode: 240
; IeeeMode: 1
; LDSByteSize: 0 bytes/workgroup (compile time only)
; SGPRBlocks: 0
; VGPRBlocks: 0
; NumSGPRsForWavesPerEU: 4
; NumVGPRsForWavesPerEU: 1
; Occupancy: 10
; WaveLimiterHint : 0
; COMPUTE_PGM_RSRC2:SCRATCH_EN: 0
; COMPUTE_PGM_RSRC2:USER_SGPR: 6
; COMPUTE_PGM_RSRC2:TRAP_HANDLER: 0
; COMPUTE_PGM_RSRC2:TGID_X_EN: 1
; COMPUTE_PGM_RSRC2:TGID_Y_EN: 0
; COMPUTE_PGM_RSRC2:TGID_Z_EN: 0
; COMPUTE_PGM_RSRC2:TIDIG_COMP_CNT: 0
	.section	.text._ZN7rocprim17ROCPRIM_400000_NS6detail17trampoline_kernelINS0_14default_configENS1_36segmented_radix_sort_config_selectorIflEEZNS1_25segmented_radix_sort_implIS3_Lb1EPKfPfPKlPlN2at6native12_GLOBAL__N_18offset_tEEE10hipError_tPvRmT1_PNSt15iterator_traitsISK_E10value_typeET2_T3_PNSL_ISQ_E10value_typeET4_jRbjT5_SW_jjP12ihipStream_tbEUlT_E0_NS1_11comp_targetILNS1_3genE8ELNS1_11target_archE1030ELNS1_3gpuE2ELNS1_3repE0EEENS1_60segmented_radix_sort_warp_sort_medium_config_static_selectorELNS0_4arch9wavefront6targetE1EEEvSK_,"axG",@progbits,_ZN7rocprim17ROCPRIM_400000_NS6detail17trampoline_kernelINS0_14default_configENS1_36segmented_radix_sort_config_selectorIflEEZNS1_25segmented_radix_sort_implIS3_Lb1EPKfPfPKlPlN2at6native12_GLOBAL__N_18offset_tEEE10hipError_tPvRmT1_PNSt15iterator_traitsISK_E10value_typeET2_T3_PNSL_ISQ_E10value_typeET4_jRbjT5_SW_jjP12ihipStream_tbEUlT_E0_NS1_11comp_targetILNS1_3genE8ELNS1_11target_archE1030ELNS1_3gpuE2ELNS1_3repE0EEENS1_60segmented_radix_sort_warp_sort_medium_config_static_selectorELNS0_4arch9wavefront6targetE1EEEvSK_,comdat
	.globl	_ZN7rocprim17ROCPRIM_400000_NS6detail17trampoline_kernelINS0_14default_configENS1_36segmented_radix_sort_config_selectorIflEEZNS1_25segmented_radix_sort_implIS3_Lb1EPKfPfPKlPlN2at6native12_GLOBAL__N_18offset_tEEE10hipError_tPvRmT1_PNSt15iterator_traitsISK_E10value_typeET2_T3_PNSL_ISQ_E10value_typeET4_jRbjT5_SW_jjP12ihipStream_tbEUlT_E0_NS1_11comp_targetILNS1_3genE8ELNS1_11target_archE1030ELNS1_3gpuE2ELNS1_3repE0EEENS1_60segmented_radix_sort_warp_sort_medium_config_static_selectorELNS0_4arch9wavefront6targetE1EEEvSK_ ; -- Begin function _ZN7rocprim17ROCPRIM_400000_NS6detail17trampoline_kernelINS0_14default_configENS1_36segmented_radix_sort_config_selectorIflEEZNS1_25segmented_radix_sort_implIS3_Lb1EPKfPfPKlPlN2at6native12_GLOBAL__N_18offset_tEEE10hipError_tPvRmT1_PNSt15iterator_traitsISK_E10value_typeET2_T3_PNSL_ISQ_E10value_typeET4_jRbjT5_SW_jjP12ihipStream_tbEUlT_E0_NS1_11comp_targetILNS1_3genE8ELNS1_11target_archE1030ELNS1_3gpuE2ELNS1_3repE0EEENS1_60segmented_radix_sort_warp_sort_medium_config_static_selectorELNS0_4arch9wavefront6targetE1EEEvSK_
	.p2align	8
	.type	_ZN7rocprim17ROCPRIM_400000_NS6detail17trampoline_kernelINS0_14default_configENS1_36segmented_radix_sort_config_selectorIflEEZNS1_25segmented_radix_sort_implIS3_Lb1EPKfPfPKlPlN2at6native12_GLOBAL__N_18offset_tEEE10hipError_tPvRmT1_PNSt15iterator_traitsISK_E10value_typeET2_T3_PNSL_ISQ_E10value_typeET4_jRbjT5_SW_jjP12ihipStream_tbEUlT_E0_NS1_11comp_targetILNS1_3genE8ELNS1_11target_archE1030ELNS1_3gpuE2ELNS1_3repE0EEENS1_60segmented_radix_sort_warp_sort_medium_config_static_selectorELNS0_4arch9wavefront6targetE1EEEvSK_,@function
_ZN7rocprim17ROCPRIM_400000_NS6detail17trampoline_kernelINS0_14default_configENS1_36segmented_radix_sort_config_selectorIflEEZNS1_25segmented_radix_sort_implIS3_Lb1EPKfPfPKlPlN2at6native12_GLOBAL__N_18offset_tEEE10hipError_tPvRmT1_PNSt15iterator_traitsISK_E10value_typeET2_T3_PNSL_ISQ_E10value_typeET4_jRbjT5_SW_jjP12ihipStream_tbEUlT_E0_NS1_11comp_targetILNS1_3genE8ELNS1_11target_archE1030ELNS1_3gpuE2ELNS1_3repE0EEENS1_60segmented_radix_sort_warp_sort_medium_config_static_selectorELNS0_4arch9wavefront6targetE1EEEvSK_: ; @_ZN7rocprim17ROCPRIM_400000_NS6detail17trampoline_kernelINS0_14default_configENS1_36segmented_radix_sort_config_selectorIflEEZNS1_25segmented_radix_sort_implIS3_Lb1EPKfPfPKlPlN2at6native12_GLOBAL__N_18offset_tEEE10hipError_tPvRmT1_PNSt15iterator_traitsISK_E10value_typeET2_T3_PNSL_ISQ_E10value_typeET4_jRbjT5_SW_jjP12ihipStream_tbEUlT_E0_NS1_11comp_targetILNS1_3genE8ELNS1_11target_archE1030ELNS1_3gpuE2ELNS1_3repE0EEENS1_60segmented_radix_sort_warp_sort_medium_config_static_selectorELNS0_4arch9wavefront6targetE1EEEvSK_
; %bb.0:
	.section	.rodata,"a",@progbits
	.p2align	6, 0x0
	.amdhsa_kernel _ZN7rocprim17ROCPRIM_400000_NS6detail17trampoline_kernelINS0_14default_configENS1_36segmented_radix_sort_config_selectorIflEEZNS1_25segmented_radix_sort_implIS3_Lb1EPKfPfPKlPlN2at6native12_GLOBAL__N_18offset_tEEE10hipError_tPvRmT1_PNSt15iterator_traitsISK_E10value_typeET2_T3_PNSL_ISQ_E10value_typeET4_jRbjT5_SW_jjP12ihipStream_tbEUlT_E0_NS1_11comp_targetILNS1_3genE8ELNS1_11target_archE1030ELNS1_3gpuE2ELNS1_3repE0EEENS1_60segmented_radix_sort_warp_sort_medium_config_static_selectorELNS0_4arch9wavefront6targetE1EEEvSK_
		.amdhsa_group_segment_fixed_size 0
		.amdhsa_private_segment_fixed_size 0
		.amdhsa_kernarg_size 88
		.amdhsa_user_sgpr_count 6
		.amdhsa_user_sgpr_private_segment_buffer 1
		.amdhsa_user_sgpr_dispatch_ptr 0
		.amdhsa_user_sgpr_queue_ptr 0
		.amdhsa_user_sgpr_kernarg_segment_ptr 1
		.amdhsa_user_sgpr_dispatch_id 0
		.amdhsa_user_sgpr_flat_scratch_init 0
		.amdhsa_user_sgpr_private_segment_size 0
		.amdhsa_uses_dynamic_stack 0
		.amdhsa_system_sgpr_private_segment_wavefront_offset 0
		.amdhsa_system_sgpr_workgroup_id_x 1
		.amdhsa_system_sgpr_workgroup_id_y 0
		.amdhsa_system_sgpr_workgroup_id_z 0
		.amdhsa_system_sgpr_workgroup_info 0
		.amdhsa_system_vgpr_workitem_id 0
		.amdhsa_next_free_vgpr 1
		.amdhsa_next_free_sgpr 0
		.amdhsa_reserve_vcc 0
		.amdhsa_reserve_flat_scratch 0
		.amdhsa_float_round_mode_32 0
		.amdhsa_float_round_mode_16_64 0
		.amdhsa_float_denorm_mode_32 3
		.amdhsa_float_denorm_mode_16_64 3
		.amdhsa_dx10_clamp 1
		.amdhsa_ieee_mode 1
		.amdhsa_fp16_overflow 0
		.amdhsa_exception_fp_ieee_invalid_op 0
		.amdhsa_exception_fp_denorm_src 0
		.amdhsa_exception_fp_ieee_div_zero 0
		.amdhsa_exception_fp_ieee_overflow 0
		.amdhsa_exception_fp_ieee_underflow 0
		.amdhsa_exception_fp_ieee_inexact 0
		.amdhsa_exception_int_div_zero 0
	.end_amdhsa_kernel
	.section	.text._ZN7rocprim17ROCPRIM_400000_NS6detail17trampoline_kernelINS0_14default_configENS1_36segmented_radix_sort_config_selectorIflEEZNS1_25segmented_radix_sort_implIS3_Lb1EPKfPfPKlPlN2at6native12_GLOBAL__N_18offset_tEEE10hipError_tPvRmT1_PNSt15iterator_traitsISK_E10value_typeET2_T3_PNSL_ISQ_E10value_typeET4_jRbjT5_SW_jjP12ihipStream_tbEUlT_E0_NS1_11comp_targetILNS1_3genE8ELNS1_11target_archE1030ELNS1_3gpuE2ELNS1_3repE0EEENS1_60segmented_radix_sort_warp_sort_medium_config_static_selectorELNS0_4arch9wavefront6targetE1EEEvSK_,"axG",@progbits,_ZN7rocprim17ROCPRIM_400000_NS6detail17trampoline_kernelINS0_14default_configENS1_36segmented_radix_sort_config_selectorIflEEZNS1_25segmented_radix_sort_implIS3_Lb1EPKfPfPKlPlN2at6native12_GLOBAL__N_18offset_tEEE10hipError_tPvRmT1_PNSt15iterator_traitsISK_E10value_typeET2_T3_PNSL_ISQ_E10value_typeET4_jRbjT5_SW_jjP12ihipStream_tbEUlT_E0_NS1_11comp_targetILNS1_3genE8ELNS1_11target_archE1030ELNS1_3gpuE2ELNS1_3repE0EEENS1_60segmented_radix_sort_warp_sort_medium_config_static_selectorELNS0_4arch9wavefront6targetE1EEEvSK_,comdat
.Lfunc_end1344:
	.size	_ZN7rocprim17ROCPRIM_400000_NS6detail17trampoline_kernelINS0_14default_configENS1_36segmented_radix_sort_config_selectorIflEEZNS1_25segmented_radix_sort_implIS3_Lb1EPKfPfPKlPlN2at6native12_GLOBAL__N_18offset_tEEE10hipError_tPvRmT1_PNSt15iterator_traitsISK_E10value_typeET2_T3_PNSL_ISQ_E10value_typeET4_jRbjT5_SW_jjP12ihipStream_tbEUlT_E0_NS1_11comp_targetILNS1_3genE8ELNS1_11target_archE1030ELNS1_3gpuE2ELNS1_3repE0EEENS1_60segmented_radix_sort_warp_sort_medium_config_static_selectorELNS0_4arch9wavefront6targetE1EEEvSK_, .Lfunc_end1344-_ZN7rocprim17ROCPRIM_400000_NS6detail17trampoline_kernelINS0_14default_configENS1_36segmented_radix_sort_config_selectorIflEEZNS1_25segmented_radix_sort_implIS3_Lb1EPKfPfPKlPlN2at6native12_GLOBAL__N_18offset_tEEE10hipError_tPvRmT1_PNSt15iterator_traitsISK_E10value_typeET2_T3_PNSL_ISQ_E10value_typeET4_jRbjT5_SW_jjP12ihipStream_tbEUlT_E0_NS1_11comp_targetILNS1_3genE8ELNS1_11target_archE1030ELNS1_3gpuE2ELNS1_3repE0EEENS1_60segmented_radix_sort_warp_sort_medium_config_static_selectorELNS0_4arch9wavefront6targetE1EEEvSK_
                                        ; -- End function
	.set _ZN7rocprim17ROCPRIM_400000_NS6detail17trampoline_kernelINS0_14default_configENS1_36segmented_radix_sort_config_selectorIflEEZNS1_25segmented_radix_sort_implIS3_Lb1EPKfPfPKlPlN2at6native12_GLOBAL__N_18offset_tEEE10hipError_tPvRmT1_PNSt15iterator_traitsISK_E10value_typeET2_T3_PNSL_ISQ_E10value_typeET4_jRbjT5_SW_jjP12ihipStream_tbEUlT_E0_NS1_11comp_targetILNS1_3genE8ELNS1_11target_archE1030ELNS1_3gpuE2ELNS1_3repE0EEENS1_60segmented_radix_sort_warp_sort_medium_config_static_selectorELNS0_4arch9wavefront6targetE1EEEvSK_.num_vgpr, 0
	.set _ZN7rocprim17ROCPRIM_400000_NS6detail17trampoline_kernelINS0_14default_configENS1_36segmented_radix_sort_config_selectorIflEEZNS1_25segmented_radix_sort_implIS3_Lb1EPKfPfPKlPlN2at6native12_GLOBAL__N_18offset_tEEE10hipError_tPvRmT1_PNSt15iterator_traitsISK_E10value_typeET2_T3_PNSL_ISQ_E10value_typeET4_jRbjT5_SW_jjP12ihipStream_tbEUlT_E0_NS1_11comp_targetILNS1_3genE8ELNS1_11target_archE1030ELNS1_3gpuE2ELNS1_3repE0EEENS1_60segmented_radix_sort_warp_sort_medium_config_static_selectorELNS0_4arch9wavefront6targetE1EEEvSK_.num_agpr, 0
	.set _ZN7rocprim17ROCPRIM_400000_NS6detail17trampoline_kernelINS0_14default_configENS1_36segmented_radix_sort_config_selectorIflEEZNS1_25segmented_radix_sort_implIS3_Lb1EPKfPfPKlPlN2at6native12_GLOBAL__N_18offset_tEEE10hipError_tPvRmT1_PNSt15iterator_traitsISK_E10value_typeET2_T3_PNSL_ISQ_E10value_typeET4_jRbjT5_SW_jjP12ihipStream_tbEUlT_E0_NS1_11comp_targetILNS1_3genE8ELNS1_11target_archE1030ELNS1_3gpuE2ELNS1_3repE0EEENS1_60segmented_radix_sort_warp_sort_medium_config_static_selectorELNS0_4arch9wavefront6targetE1EEEvSK_.numbered_sgpr, 0
	.set _ZN7rocprim17ROCPRIM_400000_NS6detail17trampoline_kernelINS0_14default_configENS1_36segmented_radix_sort_config_selectorIflEEZNS1_25segmented_radix_sort_implIS3_Lb1EPKfPfPKlPlN2at6native12_GLOBAL__N_18offset_tEEE10hipError_tPvRmT1_PNSt15iterator_traitsISK_E10value_typeET2_T3_PNSL_ISQ_E10value_typeET4_jRbjT5_SW_jjP12ihipStream_tbEUlT_E0_NS1_11comp_targetILNS1_3genE8ELNS1_11target_archE1030ELNS1_3gpuE2ELNS1_3repE0EEENS1_60segmented_radix_sort_warp_sort_medium_config_static_selectorELNS0_4arch9wavefront6targetE1EEEvSK_.num_named_barrier, 0
	.set _ZN7rocprim17ROCPRIM_400000_NS6detail17trampoline_kernelINS0_14default_configENS1_36segmented_radix_sort_config_selectorIflEEZNS1_25segmented_radix_sort_implIS3_Lb1EPKfPfPKlPlN2at6native12_GLOBAL__N_18offset_tEEE10hipError_tPvRmT1_PNSt15iterator_traitsISK_E10value_typeET2_T3_PNSL_ISQ_E10value_typeET4_jRbjT5_SW_jjP12ihipStream_tbEUlT_E0_NS1_11comp_targetILNS1_3genE8ELNS1_11target_archE1030ELNS1_3gpuE2ELNS1_3repE0EEENS1_60segmented_radix_sort_warp_sort_medium_config_static_selectorELNS0_4arch9wavefront6targetE1EEEvSK_.private_seg_size, 0
	.set _ZN7rocprim17ROCPRIM_400000_NS6detail17trampoline_kernelINS0_14default_configENS1_36segmented_radix_sort_config_selectorIflEEZNS1_25segmented_radix_sort_implIS3_Lb1EPKfPfPKlPlN2at6native12_GLOBAL__N_18offset_tEEE10hipError_tPvRmT1_PNSt15iterator_traitsISK_E10value_typeET2_T3_PNSL_ISQ_E10value_typeET4_jRbjT5_SW_jjP12ihipStream_tbEUlT_E0_NS1_11comp_targetILNS1_3genE8ELNS1_11target_archE1030ELNS1_3gpuE2ELNS1_3repE0EEENS1_60segmented_radix_sort_warp_sort_medium_config_static_selectorELNS0_4arch9wavefront6targetE1EEEvSK_.uses_vcc, 0
	.set _ZN7rocprim17ROCPRIM_400000_NS6detail17trampoline_kernelINS0_14default_configENS1_36segmented_radix_sort_config_selectorIflEEZNS1_25segmented_radix_sort_implIS3_Lb1EPKfPfPKlPlN2at6native12_GLOBAL__N_18offset_tEEE10hipError_tPvRmT1_PNSt15iterator_traitsISK_E10value_typeET2_T3_PNSL_ISQ_E10value_typeET4_jRbjT5_SW_jjP12ihipStream_tbEUlT_E0_NS1_11comp_targetILNS1_3genE8ELNS1_11target_archE1030ELNS1_3gpuE2ELNS1_3repE0EEENS1_60segmented_radix_sort_warp_sort_medium_config_static_selectorELNS0_4arch9wavefront6targetE1EEEvSK_.uses_flat_scratch, 0
	.set _ZN7rocprim17ROCPRIM_400000_NS6detail17trampoline_kernelINS0_14default_configENS1_36segmented_radix_sort_config_selectorIflEEZNS1_25segmented_radix_sort_implIS3_Lb1EPKfPfPKlPlN2at6native12_GLOBAL__N_18offset_tEEE10hipError_tPvRmT1_PNSt15iterator_traitsISK_E10value_typeET2_T3_PNSL_ISQ_E10value_typeET4_jRbjT5_SW_jjP12ihipStream_tbEUlT_E0_NS1_11comp_targetILNS1_3genE8ELNS1_11target_archE1030ELNS1_3gpuE2ELNS1_3repE0EEENS1_60segmented_radix_sort_warp_sort_medium_config_static_selectorELNS0_4arch9wavefront6targetE1EEEvSK_.has_dyn_sized_stack, 0
	.set _ZN7rocprim17ROCPRIM_400000_NS6detail17trampoline_kernelINS0_14default_configENS1_36segmented_radix_sort_config_selectorIflEEZNS1_25segmented_radix_sort_implIS3_Lb1EPKfPfPKlPlN2at6native12_GLOBAL__N_18offset_tEEE10hipError_tPvRmT1_PNSt15iterator_traitsISK_E10value_typeET2_T3_PNSL_ISQ_E10value_typeET4_jRbjT5_SW_jjP12ihipStream_tbEUlT_E0_NS1_11comp_targetILNS1_3genE8ELNS1_11target_archE1030ELNS1_3gpuE2ELNS1_3repE0EEENS1_60segmented_radix_sort_warp_sort_medium_config_static_selectorELNS0_4arch9wavefront6targetE1EEEvSK_.has_recursion, 0
	.set _ZN7rocprim17ROCPRIM_400000_NS6detail17trampoline_kernelINS0_14default_configENS1_36segmented_radix_sort_config_selectorIflEEZNS1_25segmented_radix_sort_implIS3_Lb1EPKfPfPKlPlN2at6native12_GLOBAL__N_18offset_tEEE10hipError_tPvRmT1_PNSt15iterator_traitsISK_E10value_typeET2_T3_PNSL_ISQ_E10value_typeET4_jRbjT5_SW_jjP12ihipStream_tbEUlT_E0_NS1_11comp_targetILNS1_3genE8ELNS1_11target_archE1030ELNS1_3gpuE2ELNS1_3repE0EEENS1_60segmented_radix_sort_warp_sort_medium_config_static_selectorELNS0_4arch9wavefront6targetE1EEEvSK_.has_indirect_call, 0
	.section	.AMDGPU.csdata,"",@progbits
; Kernel info:
; codeLenInByte = 0
; TotalNumSgprs: 4
; NumVgprs: 0
; ScratchSize: 0
; MemoryBound: 0
; FloatMode: 240
; IeeeMode: 1
; LDSByteSize: 0 bytes/workgroup (compile time only)
; SGPRBlocks: 0
; VGPRBlocks: 0
; NumSGPRsForWavesPerEU: 4
; NumVGPRsForWavesPerEU: 1
; Occupancy: 10
; WaveLimiterHint : 0
; COMPUTE_PGM_RSRC2:SCRATCH_EN: 0
; COMPUTE_PGM_RSRC2:USER_SGPR: 6
; COMPUTE_PGM_RSRC2:TRAP_HANDLER: 0
; COMPUTE_PGM_RSRC2:TGID_X_EN: 1
; COMPUTE_PGM_RSRC2:TGID_Y_EN: 0
; COMPUTE_PGM_RSRC2:TGID_Z_EN: 0
; COMPUTE_PGM_RSRC2:TIDIG_COMP_CNT: 0
	.section	.text._ZN7rocprim17ROCPRIM_400000_NS6detail17trampoline_kernelINS0_14default_configENS1_36segmented_radix_sort_config_selectorIflEEZNS1_25segmented_radix_sort_implIS3_Lb1EPKfPfPKlPlN2at6native12_GLOBAL__N_18offset_tEEE10hipError_tPvRmT1_PNSt15iterator_traitsISK_E10value_typeET2_T3_PNSL_ISQ_E10value_typeET4_jRbjT5_SW_jjP12ihipStream_tbEUlT_E1_NS1_11comp_targetILNS1_3genE0ELNS1_11target_archE4294967295ELNS1_3gpuE0ELNS1_3repE0EEENS1_59segmented_radix_sort_warp_sort_small_config_static_selectorELNS0_4arch9wavefront6targetE1EEEvSK_,"axG",@progbits,_ZN7rocprim17ROCPRIM_400000_NS6detail17trampoline_kernelINS0_14default_configENS1_36segmented_radix_sort_config_selectorIflEEZNS1_25segmented_radix_sort_implIS3_Lb1EPKfPfPKlPlN2at6native12_GLOBAL__N_18offset_tEEE10hipError_tPvRmT1_PNSt15iterator_traitsISK_E10value_typeET2_T3_PNSL_ISQ_E10value_typeET4_jRbjT5_SW_jjP12ihipStream_tbEUlT_E1_NS1_11comp_targetILNS1_3genE0ELNS1_11target_archE4294967295ELNS1_3gpuE0ELNS1_3repE0EEENS1_59segmented_radix_sort_warp_sort_small_config_static_selectorELNS0_4arch9wavefront6targetE1EEEvSK_,comdat
	.globl	_ZN7rocprim17ROCPRIM_400000_NS6detail17trampoline_kernelINS0_14default_configENS1_36segmented_radix_sort_config_selectorIflEEZNS1_25segmented_radix_sort_implIS3_Lb1EPKfPfPKlPlN2at6native12_GLOBAL__N_18offset_tEEE10hipError_tPvRmT1_PNSt15iterator_traitsISK_E10value_typeET2_T3_PNSL_ISQ_E10value_typeET4_jRbjT5_SW_jjP12ihipStream_tbEUlT_E1_NS1_11comp_targetILNS1_3genE0ELNS1_11target_archE4294967295ELNS1_3gpuE0ELNS1_3repE0EEENS1_59segmented_radix_sort_warp_sort_small_config_static_selectorELNS0_4arch9wavefront6targetE1EEEvSK_ ; -- Begin function _ZN7rocprim17ROCPRIM_400000_NS6detail17trampoline_kernelINS0_14default_configENS1_36segmented_radix_sort_config_selectorIflEEZNS1_25segmented_radix_sort_implIS3_Lb1EPKfPfPKlPlN2at6native12_GLOBAL__N_18offset_tEEE10hipError_tPvRmT1_PNSt15iterator_traitsISK_E10value_typeET2_T3_PNSL_ISQ_E10value_typeET4_jRbjT5_SW_jjP12ihipStream_tbEUlT_E1_NS1_11comp_targetILNS1_3genE0ELNS1_11target_archE4294967295ELNS1_3gpuE0ELNS1_3repE0EEENS1_59segmented_radix_sort_warp_sort_small_config_static_selectorELNS0_4arch9wavefront6targetE1EEEvSK_
	.p2align	8
	.type	_ZN7rocprim17ROCPRIM_400000_NS6detail17trampoline_kernelINS0_14default_configENS1_36segmented_radix_sort_config_selectorIflEEZNS1_25segmented_radix_sort_implIS3_Lb1EPKfPfPKlPlN2at6native12_GLOBAL__N_18offset_tEEE10hipError_tPvRmT1_PNSt15iterator_traitsISK_E10value_typeET2_T3_PNSL_ISQ_E10value_typeET4_jRbjT5_SW_jjP12ihipStream_tbEUlT_E1_NS1_11comp_targetILNS1_3genE0ELNS1_11target_archE4294967295ELNS1_3gpuE0ELNS1_3repE0EEENS1_59segmented_radix_sort_warp_sort_small_config_static_selectorELNS0_4arch9wavefront6targetE1EEEvSK_,@function
_ZN7rocprim17ROCPRIM_400000_NS6detail17trampoline_kernelINS0_14default_configENS1_36segmented_radix_sort_config_selectorIflEEZNS1_25segmented_radix_sort_implIS3_Lb1EPKfPfPKlPlN2at6native12_GLOBAL__N_18offset_tEEE10hipError_tPvRmT1_PNSt15iterator_traitsISK_E10value_typeET2_T3_PNSL_ISQ_E10value_typeET4_jRbjT5_SW_jjP12ihipStream_tbEUlT_E1_NS1_11comp_targetILNS1_3genE0ELNS1_11target_archE4294967295ELNS1_3gpuE0ELNS1_3repE0EEENS1_59segmented_radix_sort_warp_sort_small_config_static_selectorELNS0_4arch9wavefront6targetE1EEEvSK_: ; @_ZN7rocprim17ROCPRIM_400000_NS6detail17trampoline_kernelINS0_14default_configENS1_36segmented_radix_sort_config_selectorIflEEZNS1_25segmented_radix_sort_implIS3_Lb1EPKfPfPKlPlN2at6native12_GLOBAL__N_18offset_tEEE10hipError_tPvRmT1_PNSt15iterator_traitsISK_E10value_typeET2_T3_PNSL_ISQ_E10value_typeET4_jRbjT5_SW_jjP12ihipStream_tbEUlT_E1_NS1_11comp_targetILNS1_3genE0ELNS1_11target_archE4294967295ELNS1_3gpuE0ELNS1_3repE0EEENS1_59segmented_radix_sort_warp_sort_small_config_static_selectorELNS0_4arch9wavefront6targetE1EEEvSK_
; %bb.0:
	.section	.rodata,"a",@progbits
	.p2align	6, 0x0
	.amdhsa_kernel _ZN7rocprim17ROCPRIM_400000_NS6detail17trampoline_kernelINS0_14default_configENS1_36segmented_radix_sort_config_selectorIflEEZNS1_25segmented_radix_sort_implIS3_Lb1EPKfPfPKlPlN2at6native12_GLOBAL__N_18offset_tEEE10hipError_tPvRmT1_PNSt15iterator_traitsISK_E10value_typeET2_T3_PNSL_ISQ_E10value_typeET4_jRbjT5_SW_jjP12ihipStream_tbEUlT_E1_NS1_11comp_targetILNS1_3genE0ELNS1_11target_archE4294967295ELNS1_3gpuE0ELNS1_3repE0EEENS1_59segmented_radix_sort_warp_sort_small_config_static_selectorELNS0_4arch9wavefront6targetE1EEEvSK_
		.amdhsa_group_segment_fixed_size 0
		.amdhsa_private_segment_fixed_size 0
		.amdhsa_kernarg_size 88
		.amdhsa_user_sgpr_count 6
		.amdhsa_user_sgpr_private_segment_buffer 1
		.amdhsa_user_sgpr_dispatch_ptr 0
		.amdhsa_user_sgpr_queue_ptr 0
		.amdhsa_user_sgpr_kernarg_segment_ptr 1
		.amdhsa_user_sgpr_dispatch_id 0
		.amdhsa_user_sgpr_flat_scratch_init 0
		.amdhsa_user_sgpr_private_segment_size 0
		.amdhsa_uses_dynamic_stack 0
		.amdhsa_system_sgpr_private_segment_wavefront_offset 0
		.amdhsa_system_sgpr_workgroup_id_x 1
		.amdhsa_system_sgpr_workgroup_id_y 0
		.amdhsa_system_sgpr_workgroup_id_z 0
		.amdhsa_system_sgpr_workgroup_info 0
		.amdhsa_system_vgpr_workitem_id 0
		.amdhsa_next_free_vgpr 1
		.amdhsa_next_free_sgpr 0
		.amdhsa_reserve_vcc 0
		.amdhsa_reserve_flat_scratch 0
		.amdhsa_float_round_mode_32 0
		.amdhsa_float_round_mode_16_64 0
		.amdhsa_float_denorm_mode_32 3
		.amdhsa_float_denorm_mode_16_64 3
		.amdhsa_dx10_clamp 1
		.amdhsa_ieee_mode 1
		.amdhsa_fp16_overflow 0
		.amdhsa_exception_fp_ieee_invalid_op 0
		.amdhsa_exception_fp_denorm_src 0
		.amdhsa_exception_fp_ieee_div_zero 0
		.amdhsa_exception_fp_ieee_overflow 0
		.amdhsa_exception_fp_ieee_underflow 0
		.amdhsa_exception_fp_ieee_inexact 0
		.amdhsa_exception_int_div_zero 0
	.end_amdhsa_kernel
	.section	.text._ZN7rocprim17ROCPRIM_400000_NS6detail17trampoline_kernelINS0_14default_configENS1_36segmented_radix_sort_config_selectorIflEEZNS1_25segmented_radix_sort_implIS3_Lb1EPKfPfPKlPlN2at6native12_GLOBAL__N_18offset_tEEE10hipError_tPvRmT1_PNSt15iterator_traitsISK_E10value_typeET2_T3_PNSL_ISQ_E10value_typeET4_jRbjT5_SW_jjP12ihipStream_tbEUlT_E1_NS1_11comp_targetILNS1_3genE0ELNS1_11target_archE4294967295ELNS1_3gpuE0ELNS1_3repE0EEENS1_59segmented_radix_sort_warp_sort_small_config_static_selectorELNS0_4arch9wavefront6targetE1EEEvSK_,"axG",@progbits,_ZN7rocprim17ROCPRIM_400000_NS6detail17trampoline_kernelINS0_14default_configENS1_36segmented_radix_sort_config_selectorIflEEZNS1_25segmented_radix_sort_implIS3_Lb1EPKfPfPKlPlN2at6native12_GLOBAL__N_18offset_tEEE10hipError_tPvRmT1_PNSt15iterator_traitsISK_E10value_typeET2_T3_PNSL_ISQ_E10value_typeET4_jRbjT5_SW_jjP12ihipStream_tbEUlT_E1_NS1_11comp_targetILNS1_3genE0ELNS1_11target_archE4294967295ELNS1_3gpuE0ELNS1_3repE0EEENS1_59segmented_radix_sort_warp_sort_small_config_static_selectorELNS0_4arch9wavefront6targetE1EEEvSK_,comdat
.Lfunc_end1345:
	.size	_ZN7rocprim17ROCPRIM_400000_NS6detail17trampoline_kernelINS0_14default_configENS1_36segmented_radix_sort_config_selectorIflEEZNS1_25segmented_radix_sort_implIS3_Lb1EPKfPfPKlPlN2at6native12_GLOBAL__N_18offset_tEEE10hipError_tPvRmT1_PNSt15iterator_traitsISK_E10value_typeET2_T3_PNSL_ISQ_E10value_typeET4_jRbjT5_SW_jjP12ihipStream_tbEUlT_E1_NS1_11comp_targetILNS1_3genE0ELNS1_11target_archE4294967295ELNS1_3gpuE0ELNS1_3repE0EEENS1_59segmented_radix_sort_warp_sort_small_config_static_selectorELNS0_4arch9wavefront6targetE1EEEvSK_, .Lfunc_end1345-_ZN7rocprim17ROCPRIM_400000_NS6detail17trampoline_kernelINS0_14default_configENS1_36segmented_radix_sort_config_selectorIflEEZNS1_25segmented_radix_sort_implIS3_Lb1EPKfPfPKlPlN2at6native12_GLOBAL__N_18offset_tEEE10hipError_tPvRmT1_PNSt15iterator_traitsISK_E10value_typeET2_T3_PNSL_ISQ_E10value_typeET4_jRbjT5_SW_jjP12ihipStream_tbEUlT_E1_NS1_11comp_targetILNS1_3genE0ELNS1_11target_archE4294967295ELNS1_3gpuE0ELNS1_3repE0EEENS1_59segmented_radix_sort_warp_sort_small_config_static_selectorELNS0_4arch9wavefront6targetE1EEEvSK_
                                        ; -- End function
	.set _ZN7rocprim17ROCPRIM_400000_NS6detail17trampoline_kernelINS0_14default_configENS1_36segmented_radix_sort_config_selectorIflEEZNS1_25segmented_radix_sort_implIS3_Lb1EPKfPfPKlPlN2at6native12_GLOBAL__N_18offset_tEEE10hipError_tPvRmT1_PNSt15iterator_traitsISK_E10value_typeET2_T3_PNSL_ISQ_E10value_typeET4_jRbjT5_SW_jjP12ihipStream_tbEUlT_E1_NS1_11comp_targetILNS1_3genE0ELNS1_11target_archE4294967295ELNS1_3gpuE0ELNS1_3repE0EEENS1_59segmented_radix_sort_warp_sort_small_config_static_selectorELNS0_4arch9wavefront6targetE1EEEvSK_.num_vgpr, 0
	.set _ZN7rocprim17ROCPRIM_400000_NS6detail17trampoline_kernelINS0_14default_configENS1_36segmented_radix_sort_config_selectorIflEEZNS1_25segmented_radix_sort_implIS3_Lb1EPKfPfPKlPlN2at6native12_GLOBAL__N_18offset_tEEE10hipError_tPvRmT1_PNSt15iterator_traitsISK_E10value_typeET2_T3_PNSL_ISQ_E10value_typeET4_jRbjT5_SW_jjP12ihipStream_tbEUlT_E1_NS1_11comp_targetILNS1_3genE0ELNS1_11target_archE4294967295ELNS1_3gpuE0ELNS1_3repE0EEENS1_59segmented_radix_sort_warp_sort_small_config_static_selectorELNS0_4arch9wavefront6targetE1EEEvSK_.num_agpr, 0
	.set _ZN7rocprim17ROCPRIM_400000_NS6detail17trampoline_kernelINS0_14default_configENS1_36segmented_radix_sort_config_selectorIflEEZNS1_25segmented_radix_sort_implIS3_Lb1EPKfPfPKlPlN2at6native12_GLOBAL__N_18offset_tEEE10hipError_tPvRmT1_PNSt15iterator_traitsISK_E10value_typeET2_T3_PNSL_ISQ_E10value_typeET4_jRbjT5_SW_jjP12ihipStream_tbEUlT_E1_NS1_11comp_targetILNS1_3genE0ELNS1_11target_archE4294967295ELNS1_3gpuE0ELNS1_3repE0EEENS1_59segmented_radix_sort_warp_sort_small_config_static_selectorELNS0_4arch9wavefront6targetE1EEEvSK_.numbered_sgpr, 0
	.set _ZN7rocprim17ROCPRIM_400000_NS6detail17trampoline_kernelINS0_14default_configENS1_36segmented_radix_sort_config_selectorIflEEZNS1_25segmented_radix_sort_implIS3_Lb1EPKfPfPKlPlN2at6native12_GLOBAL__N_18offset_tEEE10hipError_tPvRmT1_PNSt15iterator_traitsISK_E10value_typeET2_T3_PNSL_ISQ_E10value_typeET4_jRbjT5_SW_jjP12ihipStream_tbEUlT_E1_NS1_11comp_targetILNS1_3genE0ELNS1_11target_archE4294967295ELNS1_3gpuE0ELNS1_3repE0EEENS1_59segmented_radix_sort_warp_sort_small_config_static_selectorELNS0_4arch9wavefront6targetE1EEEvSK_.num_named_barrier, 0
	.set _ZN7rocprim17ROCPRIM_400000_NS6detail17trampoline_kernelINS0_14default_configENS1_36segmented_radix_sort_config_selectorIflEEZNS1_25segmented_radix_sort_implIS3_Lb1EPKfPfPKlPlN2at6native12_GLOBAL__N_18offset_tEEE10hipError_tPvRmT1_PNSt15iterator_traitsISK_E10value_typeET2_T3_PNSL_ISQ_E10value_typeET4_jRbjT5_SW_jjP12ihipStream_tbEUlT_E1_NS1_11comp_targetILNS1_3genE0ELNS1_11target_archE4294967295ELNS1_3gpuE0ELNS1_3repE0EEENS1_59segmented_radix_sort_warp_sort_small_config_static_selectorELNS0_4arch9wavefront6targetE1EEEvSK_.private_seg_size, 0
	.set _ZN7rocprim17ROCPRIM_400000_NS6detail17trampoline_kernelINS0_14default_configENS1_36segmented_radix_sort_config_selectorIflEEZNS1_25segmented_radix_sort_implIS3_Lb1EPKfPfPKlPlN2at6native12_GLOBAL__N_18offset_tEEE10hipError_tPvRmT1_PNSt15iterator_traitsISK_E10value_typeET2_T3_PNSL_ISQ_E10value_typeET4_jRbjT5_SW_jjP12ihipStream_tbEUlT_E1_NS1_11comp_targetILNS1_3genE0ELNS1_11target_archE4294967295ELNS1_3gpuE0ELNS1_3repE0EEENS1_59segmented_radix_sort_warp_sort_small_config_static_selectorELNS0_4arch9wavefront6targetE1EEEvSK_.uses_vcc, 0
	.set _ZN7rocprim17ROCPRIM_400000_NS6detail17trampoline_kernelINS0_14default_configENS1_36segmented_radix_sort_config_selectorIflEEZNS1_25segmented_radix_sort_implIS3_Lb1EPKfPfPKlPlN2at6native12_GLOBAL__N_18offset_tEEE10hipError_tPvRmT1_PNSt15iterator_traitsISK_E10value_typeET2_T3_PNSL_ISQ_E10value_typeET4_jRbjT5_SW_jjP12ihipStream_tbEUlT_E1_NS1_11comp_targetILNS1_3genE0ELNS1_11target_archE4294967295ELNS1_3gpuE0ELNS1_3repE0EEENS1_59segmented_radix_sort_warp_sort_small_config_static_selectorELNS0_4arch9wavefront6targetE1EEEvSK_.uses_flat_scratch, 0
	.set _ZN7rocprim17ROCPRIM_400000_NS6detail17trampoline_kernelINS0_14default_configENS1_36segmented_radix_sort_config_selectorIflEEZNS1_25segmented_radix_sort_implIS3_Lb1EPKfPfPKlPlN2at6native12_GLOBAL__N_18offset_tEEE10hipError_tPvRmT1_PNSt15iterator_traitsISK_E10value_typeET2_T3_PNSL_ISQ_E10value_typeET4_jRbjT5_SW_jjP12ihipStream_tbEUlT_E1_NS1_11comp_targetILNS1_3genE0ELNS1_11target_archE4294967295ELNS1_3gpuE0ELNS1_3repE0EEENS1_59segmented_radix_sort_warp_sort_small_config_static_selectorELNS0_4arch9wavefront6targetE1EEEvSK_.has_dyn_sized_stack, 0
	.set _ZN7rocprim17ROCPRIM_400000_NS6detail17trampoline_kernelINS0_14default_configENS1_36segmented_radix_sort_config_selectorIflEEZNS1_25segmented_radix_sort_implIS3_Lb1EPKfPfPKlPlN2at6native12_GLOBAL__N_18offset_tEEE10hipError_tPvRmT1_PNSt15iterator_traitsISK_E10value_typeET2_T3_PNSL_ISQ_E10value_typeET4_jRbjT5_SW_jjP12ihipStream_tbEUlT_E1_NS1_11comp_targetILNS1_3genE0ELNS1_11target_archE4294967295ELNS1_3gpuE0ELNS1_3repE0EEENS1_59segmented_radix_sort_warp_sort_small_config_static_selectorELNS0_4arch9wavefront6targetE1EEEvSK_.has_recursion, 0
	.set _ZN7rocprim17ROCPRIM_400000_NS6detail17trampoline_kernelINS0_14default_configENS1_36segmented_radix_sort_config_selectorIflEEZNS1_25segmented_radix_sort_implIS3_Lb1EPKfPfPKlPlN2at6native12_GLOBAL__N_18offset_tEEE10hipError_tPvRmT1_PNSt15iterator_traitsISK_E10value_typeET2_T3_PNSL_ISQ_E10value_typeET4_jRbjT5_SW_jjP12ihipStream_tbEUlT_E1_NS1_11comp_targetILNS1_3genE0ELNS1_11target_archE4294967295ELNS1_3gpuE0ELNS1_3repE0EEENS1_59segmented_radix_sort_warp_sort_small_config_static_selectorELNS0_4arch9wavefront6targetE1EEEvSK_.has_indirect_call, 0
	.section	.AMDGPU.csdata,"",@progbits
; Kernel info:
; codeLenInByte = 0
; TotalNumSgprs: 4
; NumVgprs: 0
; ScratchSize: 0
; MemoryBound: 0
; FloatMode: 240
; IeeeMode: 1
; LDSByteSize: 0 bytes/workgroup (compile time only)
; SGPRBlocks: 0
; VGPRBlocks: 0
; NumSGPRsForWavesPerEU: 4
; NumVGPRsForWavesPerEU: 1
; Occupancy: 10
; WaveLimiterHint : 0
; COMPUTE_PGM_RSRC2:SCRATCH_EN: 0
; COMPUTE_PGM_RSRC2:USER_SGPR: 6
; COMPUTE_PGM_RSRC2:TRAP_HANDLER: 0
; COMPUTE_PGM_RSRC2:TGID_X_EN: 1
; COMPUTE_PGM_RSRC2:TGID_Y_EN: 0
; COMPUTE_PGM_RSRC2:TGID_Z_EN: 0
; COMPUTE_PGM_RSRC2:TIDIG_COMP_CNT: 0
	.section	.text._ZN7rocprim17ROCPRIM_400000_NS6detail17trampoline_kernelINS0_14default_configENS1_36segmented_radix_sort_config_selectorIflEEZNS1_25segmented_radix_sort_implIS3_Lb1EPKfPfPKlPlN2at6native12_GLOBAL__N_18offset_tEEE10hipError_tPvRmT1_PNSt15iterator_traitsISK_E10value_typeET2_T3_PNSL_ISQ_E10value_typeET4_jRbjT5_SW_jjP12ihipStream_tbEUlT_E1_NS1_11comp_targetILNS1_3genE5ELNS1_11target_archE942ELNS1_3gpuE9ELNS1_3repE0EEENS1_59segmented_radix_sort_warp_sort_small_config_static_selectorELNS0_4arch9wavefront6targetE1EEEvSK_,"axG",@progbits,_ZN7rocprim17ROCPRIM_400000_NS6detail17trampoline_kernelINS0_14default_configENS1_36segmented_radix_sort_config_selectorIflEEZNS1_25segmented_radix_sort_implIS3_Lb1EPKfPfPKlPlN2at6native12_GLOBAL__N_18offset_tEEE10hipError_tPvRmT1_PNSt15iterator_traitsISK_E10value_typeET2_T3_PNSL_ISQ_E10value_typeET4_jRbjT5_SW_jjP12ihipStream_tbEUlT_E1_NS1_11comp_targetILNS1_3genE5ELNS1_11target_archE942ELNS1_3gpuE9ELNS1_3repE0EEENS1_59segmented_radix_sort_warp_sort_small_config_static_selectorELNS0_4arch9wavefront6targetE1EEEvSK_,comdat
	.globl	_ZN7rocprim17ROCPRIM_400000_NS6detail17trampoline_kernelINS0_14default_configENS1_36segmented_radix_sort_config_selectorIflEEZNS1_25segmented_radix_sort_implIS3_Lb1EPKfPfPKlPlN2at6native12_GLOBAL__N_18offset_tEEE10hipError_tPvRmT1_PNSt15iterator_traitsISK_E10value_typeET2_T3_PNSL_ISQ_E10value_typeET4_jRbjT5_SW_jjP12ihipStream_tbEUlT_E1_NS1_11comp_targetILNS1_3genE5ELNS1_11target_archE942ELNS1_3gpuE9ELNS1_3repE0EEENS1_59segmented_radix_sort_warp_sort_small_config_static_selectorELNS0_4arch9wavefront6targetE1EEEvSK_ ; -- Begin function _ZN7rocprim17ROCPRIM_400000_NS6detail17trampoline_kernelINS0_14default_configENS1_36segmented_radix_sort_config_selectorIflEEZNS1_25segmented_radix_sort_implIS3_Lb1EPKfPfPKlPlN2at6native12_GLOBAL__N_18offset_tEEE10hipError_tPvRmT1_PNSt15iterator_traitsISK_E10value_typeET2_T3_PNSL_ISQ_E10value_typeET4_jRbjT5_SW_jjP12ihipStream_tbEUlT_E1_NS1_11comp_targetILNS1_3genE5ELNS1_11target_archE942ELNS1_3gpuE9ELNS1_3repE0EEENS1_59segmented_radix_sort_warp_sort_small_config_static_selectorELNS0_4arch9wavefront6targetE1EEEvSK_
	.p2align	8
	.type	_ZN7rocprim17ROCPRIM_400000_NS6detail17trampoline_kernelINS0_14default_configENS1_36segmented_radix_sort_config_selectorIflEEZNS1_25segmented_radix_sort_implIS3_Lb1EPKfPfPKlPlN2at6native12_GLOBAL__N_18offset_tEEE10hipError_tPvRmT1_PNSt15iterator_traitsISK_E10value_typeET2_T3_PNSL_ISQ_E10value_typeET4_jRbjT5_SW_jjP12ihipStream_tbEUlT_E1_NS1_11comp_targetILNS1_3genE5ELNS1_11target_archE942ELNS1_3gpuE9ELNS1_3repE0EEENS1_59segmented_radix_sort_warp_sort_small_config_static_selectorELNS0_4arch9wavefront6targetE1EEEvSK_,@function
_ZN7rocprim17ROCPRIM_400000_NS6detail17trampoline_kernelINS0_14default_configENS1_36segmented_radix_sort_config_selectorIflEEZNS1_25segmented_radix_sort_implIS3_Lb1EPKfPfPKlPlN2at6native12_GLOBAL__N_18offset_tEEE10hipError_tPvRmT1_PNSt15iterator_traitsISK_E10value_typeET2_T3_PNSL_ISQ_E10value_typeET4_jRbjT5_SW_jjP12ihipStream_tbEUlT_E1_NS1_11comp_targetILNS1_3genE5ELNS1_11target_archE942ELNS1_3gpuE9ELNS1_3repE0EEENS1_59segmented_radix_sort_warp_sort_small_config_static_selectorELNS0_4arch9wavefront6targetE1EEEvSK_: ; @_ZN7rocprim17ROCPRIM_400000_NS6detail17trampoline_kernelINS0_14default_configENS1_36segmented_radix_sort_config_selectorIflEEZNS1_25segmented_radix_sort_implIS3_Lb1EPKfPfPKlPlN2at6native12_GLOBAL__N_18offset_tEEE10hipError_tPvRmT1_PNSt15iterator_traitsISK_E10value_typeET2_T3_PNSL_ISQ_E10value_typeET4_jRbjT5_SW_jjP12ihipStream_tbEUlT_E1_NS1_11comp_targetILNS1_3genE5ELNS1_11target_archE942ELNS1_3gpuE9ELNS1_3repE0EEENS1_59segmented_radix_sort_warp_sort_small_config_static_selectorELNS0_4arch9wavefront6targetE1EEEvSK_
; %bb.0:
	.section	.rodata,"a",@progbits
	.p2align	6, 0x0
	.amdhsa_kernel _ZN7rocprim17ROCPRIM_400000_NS6detail17trampoline_kernelINS0_14default_configENS1_36segmented_radix_sort_config_selectorIflEEZNS1_25segmented_radix_sort_implIS3_Lb1EPKfPfPKlPlN2at6native12_GLOBAL__N_18offset_tEEE10hipError_tPvRmT1_PNSt15iterator_traitsISK_E10value_typeET2_T3_PNSL_ISQ_E10value_typeET4_jRbjT5_SW_jjP12ihipStream_tbEUlT_E1_NS1_11comp_targetILNS1_3genE5ELNS1_11target_archE942ELNS1_3gpuE9ELNS1_3repE0EEENS1_59segmented_radix_sort_warp_sort_small_config_static_selectorELNS0_4arch9wavefront6targetE1EEEvSK_
		.amdhsa_group_segment_fixed_size 0
		.amdhsa_private_segment_fixed_size 0
		.amdhsa_kernarg_size 88
		.amdhsa_user_sgpr_count 6
		.amdhsa_user_sgpr_private_segment_buffer 1
		.amdhsa_user_sgpr_dispatch_ptr 0
		.amdhsa_user_sgpr_queue_ptr 0
		.amdhsa_user_sgpr_kernarg_segment_ptr 1
		.amdhsa_user_sgpr_dispatch_id 0
		.amdhsa_user_sgpr_flat_scratch_init 0
		.amdhsa_user_sgpr_private_segment_size 0
		.amdhsa_uses_dynamic_stack 0
		.amdhsa_system_sgpr_private_segment_wavefront_offset 0
		.amdhsa_system_sgpr_workgroup_id_x 1
		.amdhsa_system_sgpr_workgroup_id_y 0
		.amdhsa_system_sgpr_workgroup_id_z 0
		.amdhsa_system_sgpr_workgroup_info 0
		.amdhsa_system_vgpr_workitem_id 0
		.amdhsa_next_free_vgpr 1
		.amdhsa_next_free_sgpr 0
		.amdhsa_reserve_vcc 0
		.amdhsa_reserve_flat_scratch 0
		.amdhsa_float_round_mode_32 0
		.amdhsa_float_round_mode_16_64 0
		.amdhsa_float_denorm_mode_32 3
		.amdhsa_float_denorm_mode_16_64 3
		.amdhsa_dx10_clamp 1
		.amdhsa_ieee_mode 1
		.amdhsa_fp16_overflow 0
		.amdhsa_exception_fp_ieee_invalid_op 0
		.amdhsa_exception_fp_denorm_src 0
		.amdhsa_exception_fp_ieee_div_zero 0
		.amdhsa_exception_fp_ieee_overflow 0
		.amdhsa_exception_fp_ieee_underflow 0
		.amdhsa_exception_fp_ieee_inexact 0
		.amdhsa_exception_int_div_zero 0
	.end_amdhsa_kernel
	.section	.text._ZN7rocprim17ROCPRIM_400000_NS6detail17trampoline_kernelINS0_14default_configENS1_36segmented_radix_sort_config_selectorIflEEZNS1_25segmented_radix_sort_implIS3_Lb1EPKfPfPKlPlN2at6native12_GLOBAL__N_18offset_tEEE10hipError_tPvRmT1_PNSt15iterator_traitsISK_E10value_typeET2_T3_PNSL_ISQ_E10value_typeET4_jRbjT5_SW_jjP12ihipStream_tbEUlT_E1_NS1_11comp_targetILNS1_3genE5ELNS1_11target_archE942ELNS1_3gpuE9ELNS1_3repE0EEENS1_59segmented_radix_sort_warp_sort_small_config_static_selectorELNS0_4arch9wavefront6targetE1EEEvSK_,"axG",@progbits,_ZN7rocprim17ROCPRIM_400000_NS6detail17trampoline_kernelINS0_14default_configENS1_36segmented_radix_sort_config_selectorIflEEZNS1_25segmented_radix_sort_implIS3_Lb1EPKfPfPKlPlN2at6native12_GLOBAL__N_18offset_tEEE10hipError_tPvRmT1_PNSt15iterator_traitsISK_E10value_typeET2_T3_PNSL_ISQ_E10value_typeET4_jRbjT5_SW_jjP12ihipStream_tbEUlT_E1_NS1_11comp_targetILNS1_3genE5ELNS1_11target_archE942ELNS1_3gpuE9ELNS1_3repE0EEENS1_59segmented_radix_sort_warp_sort_small_config_static_selectorELNS0_4arch9wavefront6targetE1EEEvSK_,comdat
.Lfunc_end1346:
	.size	_ZN7rocprim17ROCPRIM_400000_NS6detail17trampoline_kernelINS0_14default_configENS1_36segmented_radix_sort_config_selectorIflEEZNS1_25segmented_radix_sort_implIS3_Lb1EPKfPfPKlPlN2at6native12_GLOBAL__N_18offset_tEEE10hipError_tPvRmT1_PNSt15iterator_traitsISK_E10value_typeET2_T3_PNSL_ISQ_E10value_typeET4_jRbjT5_SW_jjP12ihipStream_tbEUlT_E1_NS1_11comp_targetILNS1_3genE5ELNS1_11target_archE942ELNS1_3gpuE9ELNS1_3repE0EEENS1_59segmented_radix_sort_warp_sort_small_config_static_selectorELNS0_4arch9wavefront6targetE1EEEvSK_, .Lfunc_end1346-_ZN7rocprim17ROCPRIM_400000_NS6detail17trampoline_kernelINS0_14default_configENS1_36segmented_radix_sort_config_selectorIflEEZNS1_25segmented_radix_sort_implIS3_Lb1EPKfPfPKlPlN2at6native12_GLOBAL__N_18offset_tEEE10hipError_tPvRmT1_PNSt15iterator_traitsISK_E10value_typeET2_T3_PNSL_ISQ_E10value_typeET4_jRbjT5_SW_jjP12ihipStream_tbEUlT_E1_NS1_11comp_targetILNS1_3genE5ELNS1_11target_archE942ELNS1_3gpuE9ELNS1_3repE0EEENS1_59segmented_radix_sort_warp_sort_small_config_static_selectorELNS0_4arch9wavefront6targetE1EEEvSK_
                                        ; -- End function
	.set _ZN7rocprim17ROCPRIM_400000_NS6detail17trampoline_kernelINS0_14default_configENS1_36segmented_radix_sort_config_selectorIflEEZNS1_25segmented_radix_sort_implIS3_Lb1EPKfPfPKlPlN2at6native12_GLOBAL__N_18offset_tEEE10hipError_tPvRmT1_PNSt15iterator_traitsISK_E10value_typeET2_T3_PNSL_ISQ_E10value_typeET4_jRbjT5_SW_jjP12ihipStream_tbEUlT_E1_NS1_11comp_targetILNS1_3genE5ELNS1_11target_archE942ELNS1_3gpuE9ELNS1_3repE0EEENS1_59segmented_radix_sort_warp_sort_small_config_static_selectorELNS0_4arch9wavefront6targetE1EEEvSK_.num_vgpr, 0
	.set _ZN7rocprim17ROCPRIM_400000_NS6detail17trampoline_kernelINS0_14default_configENS1_36segmented_radix_sort_config_selectorIflEEZNS1_25segmented_radix_sort_implIS3_Lb1EPKfPfPKlPlN2at6native12_GLOBAL__N_18offset_tEEE10hipError_tPvRmT1_PNSt15iterator_traitsISK_E10value_typeET2_T3_PNSL_ISQ_E10value_typeET4_jRbjT5_SW_jjP12ihipStream_tbEUlT_E1_NS1_11comp_targetILNS1_3genE5ELNS1_11target_archE942ELNS1_3gpuE9ELNS1_3repE0EEENS1_59segmented_radix_sort_warp_sort_small_config_static_selectorELNS0_4arch9wavefront6targetE1EEEvSK_.num_agpr, 0
	.set _ZN7rocprim17ROCPRIM_400000_NS6detail17trampoline_kernelINS0_14default_configENS1_36segmented_radix_sort_config_selectorIflEEZNS1_25segmented_radix_sort_implIS3_Lb1EPKfPfPKlPlN2at6native12_GLOBAL__N_18offset_tEEE10hipError_tPvRmT1_PNSt15iterator_traitsISK_E10value_typeET2_T3_PNSL_ISQ_E10value_typeET4_jRbjT5_SW_jjP12ihipStream_tbEUlT_E1_NS1_11comp_targetILNS1_3genE5ELNS1_11target_archE942ELNS1_3gpuE9ELNS1_3repE0EEENS1_59segmented_radix_sort_warp_sort_small_config_static_selectorELNS0_4arch9wavefront6targetE1EEEvSK_.numbered_sgpr, 0
	.set _ZN7rocprim17ROCPRIM_400000_NS6detail17trampoline_kernelINS0_14default_configENS1_36segmented_radix_sort_config_selectorIflEEZNS1_25segmented_radix_sort_implIS3_Lb1EPKfPfPKlPlN2at6native12_GLOBAL__N_18offset_tEEE10hipError_tPvRmT1_PNSt15iterator_traitsISK_E10value_typeET2_T3_PNSL_ISQ_E10value_typeET4_jRbjT5_SW_jjP12ihipStream_tbEUlT_E1_NS1_11comp_targetILNS1_3genE5ELNS1_11target_archE942ELNS1_3gpuE9ELNS1_3repE0EEENS1_59segmented_radix_sort_warp_sort_small_config_static_selectorELNS0_4arch9wavefront6targetE1EEEvSK_.num_named_barrier, 0
	.set _ZN7rocprim17ROCPRIM_400000_NS6detail17trampoline_kernelINS0_14default_configENS1_36segmented_radix_sort_config_selectorIflEEZNS1_25segmented_radix_sort_implIS3_Lb1EPKfPfPKlPlN2at6native12_GLOBAL__N_18offset_tEEE10hipError_tPvRmT1_PNSt15iterator_traitsISK_E10value_typeET2_T3_PNSL_ISQ_E10value_typeET4_jRbjT5_SW_jjP12ihipStream_tbEUlT_E1_NS1_11comp_targetILNS1_3genE5ELNS1_11target_archE942ELNS1_3gpuE9ELNS1_3repE0EEENS1_59segmented_radix_sort_warp_sort_small_config_static_selectorELNS0_4arch9wavefront6targetE1EEEvSK_.private_seg_size, 0
	.set _ZN7rocprim17ROCPRIM_400000_NS6detail17trampoline_kernelINS0_14default_configENS1_36segmented_radix_sort_config_selectorIflEEZNS1_25segmented_radix_sort_implIS3_Lb1EPKfPfPKlPlN2at6native12_GLOBAL__N_18offset_tEEE10hipError_tPvRmT1_PNSt15iterator_traitsISK_E10value_typeET2_T3_PNSL_ISQ_E10value_typeET4_jRbjT5_SW_jjP12ihipStream_tbEUlT_E1_NS1_11comp_targetILNS1_3genE5ELNS1_11target_archE942ELNS1_3gpuE9ELNS1_3repE0EEENS1_59segmented_radix_sort_warp_sort_small_config_static_selectorELNS0_4arch9wavefront6targetE1EEEvSK_.uses_vcc, 0
	.set _ZN7rocprim17ROCPRIM_400000_NS6detail17trampoline_kernelINS0_14default_configENS1_36segmented_radix_sort_config_selectorIflEEZNS1_25segmented_radix_sort_implIS3_Lb1EPKfPfPKlPlN2at6native12_GLOBAL__N_18offset_tEEE10hipError_tPvRmT1_PNSt15iterator_traitsISK_E10value_typeET2_T3_PNSL_ISQ_E10value_typeET4_jRbjT5_SW_jjP12ihipStream_tbEUlT_E1_NS1_11comp_targetILNS1_3genE5ELNS1_11target_archE942ELNS1_3gpuE9ELNS1_3repE0EEENS1_59segmented_radix_sort_warp_sort_small_config_static_selectorELNS0_4arch9wavefront6targetE1EEEvSK_.uses_flat_scratch, 0
	.set _ZN7rocprim17ROCPRIM_400000_NS6detail17trampoline_kernelINS0_14default_configENS1_36segmented_radix_sort_config_selectorIflEEZNS1_25segmented_radix_sort_implIS3_Lb1EPKfPfPKlPlN2at6native12_GLOBAL__N_18offset_tEEE10hipError_tPvRmT1_PNSt15iterator_traitsISK_E10value_typeET2_T3_PNSL_ISQ_E10value_typeET4_jRbjT5_SW_jjP12ihipStream_tbEUlT_E1_NS1_11comp_targetILNS1_3genE5ELNS1_11target_archE942ELNS1_3gpuE9ELNS1_3repE0EEENS1_59segmented_radix_sort_warp_sort_small_config_static_selectorELNS0_4arch9wavefront6targetE1EEEvSK_.has_dyn_sized_stack, 0
	.set _ZN7rocprim17ROCPRIM_400000_NS6detail17trampoline_kernelINS0_14default_configENS1_36segmented_radix_sort_config_selectorIflEEZNS1_25segmented_radix_sort_implIS3_Lb1EPKfPfPKlPlN2at6native12_GLOBAL__N_18offset_tEEE10hipError_tPvRmT1_PNSt15iterator_traitsISK_E10value_typeET2_T3_PNSL_ISQ_E10value_typeET4_jRbjT5_SW_jjP12ihipStream_tbEUlT_E1_NS1_11comp_targetILNS1_3genE5ELNS1_11target_archE942ELNS1_3gpuE9ELNS1_3repE0EEENS1_59segmented_radix_sort_warp_sort_small_config_static_selectorELNS0_4arch9wavefront6targetE1EEEvSK_.has_recursion, 0
	.set _ZN7rocprim17ROCPRIM_400000_NS6detail17trampoline_kernelINS0_14default_configENS1_36segmented_radix_sort_config_selectorIflEEZNS1_25segmented_radix_sort_implIS3_Lb1EPKfPfPKlPlN2at6native12_GLOBAL__N_18offset_tEEE10hipError_tPvRmT1_PNSt15iterator_traitsISK_E10value_typeET2_T3_PNSL_ISQ_E10value_typeET4_jRbjT5_SW_jjP12ihipStream_tbEUlT_E1_NS1_11comp_targetILNS1_3genE5ELNS1_11target_archE942ELNS1_3gpuE9ELNS1_3repE0EEENS1_59segmented_radix_sort_warp_sort_small_config_static_selectorELNS0_4arch9wavefront6targetE1EEEvSK_.has_indirect_call, 0
	.section	.AMDGPU.csdata,"",@progbits
; Kernel info:
; codeLenInByte = 0
; TotalNumSgprs: 4
; NumVgprs: 0
; ScratchSize: 0
; MemoryBound: 0
; FloatMode: 240
; IeeeMode: 1
; LDSByteSize: 0 bytes/workgroup (compile time only)
; SGPRBlocks: 0
; VGPRBlocks: 0
; NumSGPRsForWavesPerEU: 4
; NumVGPRsForWavesPerEU: 1
; Occupancy: 10
; WaveLimiterHint : 0
; COMPUTE_PGM_RSRC2:SCRATCH_EN: 0
; COMPUTE_PGM_RSRC2:USER_SGPR: 6
; COMPUTE_PGM_RSRC2:TRAP_HANDLER: 0
; COMPUTE_PGM_RSRC2:TGID_X_EN: 1
; COMPUTE_PGM_RSRC2:TGID_Y_EN: 0
; COMPUTE_PGM_RSRC2:TGID_Z_EN: 0
; COMPUTE_PGM_RSRC2:TIDIG_COMP_CNT: 0
	.section	.text._ZN7rocprim17ROCPRIM_400000_NS6detail17trampoline_kernelINS0_14default_configENS1_36segmented_radix_sort_config_selectorIflEEZNS1_25segmented_radix_sort_implIS3_Lb1EPKfPfPKlPlN2at6native12_GLOBAL__N_18offset_tEEE10hipError_tPvRmT1_PNSt15iterator_traitsISK_E10value_typeET2_T3_PNSL_ISQ_E10value_typeET4_jRbjT5_SW_jjP12ihipStream_tbEUlT_E1_NS1_11comp_targetILNS1_3genE4ELNS1_11target_archE910ELNS1_3gpuE8ELNS1_3repE0EEENS1_59segmented_radix_sort_warp_sort_small_config_static_selectorELNS0_4arch9wavefront6targetE1EEEvSK_,"axG",@progbits,_ZN7rocprim17ROCPRIM_400000_NS6detail17trampoline_kernelINS0_14default_configENS1_36segmented_radix_sort_config_selectorIflEEZNS1_25segmented_radix_sort_implIS3_Lb1EPKfPfPKlPlN2at6native12_GLOBAL__N_18offset_tEEE10hipError_tPvRmT1_PNSt15iterator_traitsISK_E10value_typeET2_T3_PNSL_ISQ_E10value_typeET4_jRbjT5_SW_jjP12ihipStream_tbEUlT_E1_NS1_11comp_targetILNS1_3genE4ELNS1_11target_archE910ELNS1_3gpuE8ELNS1_3repE0EEENS1_59segmented_radix_sort_warp_sort_small_config_static_selectorELNS0_4arch9wavefront6targetE1EEEvSK_,comdat
	.globl	_ZN7rocprim17ROCPRIM_400000_NS6detail17trampoline_kernelINS0_14default_configENS1_36segmented_radix_sort_config_selectorIflEEZNS1_25segmented_radix_sort_implIS3_Lb1EPKfPfPKlPlN2at6native12_GLOBAL__N_18offset_tEEE10hipError_tPvRmT1_PNSt15iterator_traitsISK_E10value_typeET2_T3_PNSL_ISQ_E10value_typeET4_jRbjT5_SW_jjP12ihipStream_tbEUlT_E1_NS1_11comp_targetILNS1_3genE4ELNS1_11target_archE910ELNS1_3gpuE8ELNS1_3repE0EEENS1_59segmented_radix_sort_warp_sort_small_config_static_selectorELNS0_4arch9wavefront6targetE1EEEvSK_ ; -- Begin function _ZN7rocprim17ROCPRIM_400000_NS6detail17trampoline_kernelINS0_14default_configENS1_36segmented_radix_sort_config_selectorIflEEZNS1_25segmented_radix_sort_implIS3_Lb1EPKfPfPKlPlN2at6native12_GLOBAL__N_18offset_tEEE10hipError_tPvRmT1_PNSt15iterator_traitsISK_E10value_typeET2_T3_PNSL_ISQ_E10value_typeET4_jRbjT5_SW_jjP12ihipStream_tbEUlT_E1_NS1_11comp_targetILNS1_3genE4ELNS1_11target_archE910ELNS1_3gpuE8ELNS1_3repE0EEENS1_59segmented_radix_sort_warp_sort_small_config_static_selectorELNS0_4arch9wavefront6targetE1EEEvSK_
	.p2align	8
	.type	_ZN7rocprim17ROCPRIM_400000_NS6detail17trampoline_kernelINS0_14default_configENS1_36segmented_radix_sort_config_selectorIflEEZNS1_25segmented_radix_sort_implIS3_Lb1EPKfPfPKlPlN2at6native12_GLOBAL__N_18offset_tEEE10hipError_tPvRmT1_PNSt15iterator_traitsISK_E10value_typeET2_T3_PNSL_ISQ_E10value_typeET4_jRbjT5_SW_jjP12ihipStream_tbEUlT_E1_NS1_11comp_targetILNS1_3genE4ELNS1_11target_archE910ELNS1_3gpuE8ELNS1_3repE0EEENS1_59segmented_radix_sort_warp_sort_small_config_static_selectorELNS0_4arch9wavefront6targetE1EEEvSK_,@function
_ZN7rocprim17ROCPRIM_400000_NS6detail17trampoline_kernelINS0_14default_configENS1_36segmented_radix_sort_config_selectorIflEEZNS1_25segmented_radix_sort_implIS3_Lb1EPKfPfPKlPlN2at6native12_GLOBAL__N_18offset_tEEE10hipError_tPvRmT1_PNSt15iterator_traitsISK_E10value_typeET2_T3_PNSL_ISQ_E10value_typeET4_jRbjT5_SW_jjP12ihipStream_tbEUlT_E1_NS1_11comp_targetILNS1_3genE4ELNS1_11target_archE910ELNS1_3gpuE8ELNS1_3repE0EEENS1_59segmented_radix_sort_warp_sort_small_config_static_selectorELNS0_4arch9wavefront6targetE1EEEvSK_: ; @_ZN7rocprim17ROCPRIM_400000_NS6detail17trampoline_kernelINS0_14default_configENS1_36segmented_radix_sort_config_selectorIflEEZNS1_25segmented_radix_sort_implIS3_Lb1EPKfPfPKlPlN2at6native12_GLOBAL__N_18offset_tEEE10hipError_tPvRmT1_PNSt15iterator_traitsISK_E10value_typeET2_T3_PNSL_ISQ_E10value_typeET4_jRbjT5_SW_jjP12ihipStream_tbEUlT_E1_NS1_11comp_targetILNS1_3genE4ELNS1_11target_archE910ELNS1_3gpuE8ELNS1_3repE0EEENS1_59segmented_radix_sort_warp_sort_small_config_static_selectorELNS0_4arch9wavefront6targetE1EEEvSK_
; %bb.0:
	.section	.rodata,"a",@progbits
	.p2align	6, 0x0
	.amdhsa_kernel _ZN7rocprim17ROCPRIM_400000_NS6detail17trampoline_kernelINS0_14default_configENS1_36segmented_radix_sort_config_selectorIflEEZNS1_25segmented_radix_sort_implIS3_Lb1EPKfPfPKlPlN2at6native12_GLOBAL__N_18offset_tEEE10hipError_tPvRmT1_PNSt15iterator_traitsISK_E10value_typeET2_T3_PNSL_ISQ_E10value_typeET4_jRbjT5_SW_jjP12ihipStream_tbEUlT_E1_NS1_11comp_targetILNS1_3genE4ELNS1_11target_archE910ELNS1_3gpuE8ELNS1_3repE0EEENS1_59segmented_radix_sort_warp_sort_small_config_static_selectorELNS0_4arch9wavefront6targetE1EEEvSK_
		.amdhsa_group_segment_fixed_size 0
		.amdhsa_private_segment_fixed_size 0
		.amdhsa_kernarg_size 88
		.amdhsa_user_sgpr_count 6
		.amdhsa_user_sgpr_private_segment_buffer 1
		.amdhsa_user_sgpr_dispatch_ptr 0
		.amdhsa_user_sgpr_queue_ptr 0
		.amdhsa_user_sgpr_kernarg_segment_ptr 1
		.amdhsa_user_sgpr_dispatch_id 0
		.amdhsa_user_sgpr_flat_scratch_init 0
		.amdhsa_user_sgpr_private_segment_size 0
		.amdhsa_uses_dynamic_stack 0
		.amdhsa_system_sgpr_private_segment_wavefront_offset 0
		.amdhsa_system_sgpr_workgroup_id_x 1
		.amdhsa_system_sgpr_workgroup_id_y 0
		.amdhsa_system_sgpr_workgroup_id_z 0
		.amdhsa_system_sgpr_workgroup_info 0
		.amdhsa_system_vgpr_workitem_id 0
		.amdhsa_next_free_vgpr 1
		.amdhsa_next_free_sgpr 0
		.amdhsa_reserve_vcc 0
		.amdhsa_reserve_flat_scratch 0
		.amdhsa_float_round_mode_32 0
		.amdhsa_float_round_mode_16_64 0
		.amdhsa_float_denorm_mode_32 3
		.amdhsa_float_denorm_mode_16_64 3
		.amdhsa_dx10_clamp 1
		.amdhsa_ieee_mode 1
		.amdhsa_fp16_overflow 0
		.amdhsa_exception_fp_ieee_invalid_op 0
		.amdhsa_exception_fp_denorm_src 0
		.amdhsa_exception_fp_ieee_div_zero 0
		.amdhsa_exception_fp_ieee_overflow 0
		.amdhsa_exception_fp_ieee_underflow 0
		.amdhsa_exception_fp_ieee_inexact 0
		.amdhsa_exception_int_div_zero 0
	.end_amdhsa_kernel
	.section	.text._ZN7rocprim17ROCPRIM_400000_NS6detail17trampoline_kernelINS0_14default_configENS1_36segmented_radix_sort_config_selectorIflEEZNS1_25segmented_radix_sort_implIS3_Lb1EPKfPfPKlPlN2at6native12_GLOBAL__N_18offset_tEEE10hipError_tPvRmT1_PNSt15iterator_traitsISK_E10value_typeET2_T3_PNSL_ISQ_E10value_typeET4_jRbjT5_SW_jjP12ihipStream_tbEUlT_E1_NS1_11comp_targetILNS1_3genE4ELNS1_11target_archE910ELNS1_3gpuE8ELNS1_3repE0EEENS1_59segmented_radix_sort_warp_sort_small_config_static_selectorELNS0_4arch9wavefront6targetE1EEEvSK_,"axG",@progbits,_ZN7rocprim17ROCPRIM_400000_NS6detail17trampoline_kernelINS0_14default_configENS1_36segmented_radix_sort_config_selectorIflEEZNS1_25segmented_radix_sort_implIS3_Lb1EPKfPfPKlPlN2at6native12_GLOBAL__N_18offset_tEEE10hipError_tPvRmT1_PNSt15iterator_traitsISK_E10value_typeET2_T3_PNSL_ISQ_E10value_typeET4_jRbjT5_SW_jjP12ihipStream_tbEUlT_E1_NS1_11comp_targetILNS1_3genE4ELNS1_11target_archE910ELNS1_3gpuE8ELNS1_3repE0EEENS1_59segmented_radix_sort_warp_sort_small_config_static_selectorELNS0_4arch9wavefront6targetE1EEEvSK_,comdat
.Lfunc_end1347:
	.size	_ZN7rocprim17ROCPRIM_400000_NS6detail17trampoline_kernelINS0_14default_configENS1_36segmented_radix_sort_config_selectorIflEEZNS1_25segmented_radix_sort_implIS3_Lb1EPKfPfPKlPlN2at6native12_GLOBAL__N_18offset_tEEE10hipError_tPvRmT1_PNSt15iterator_traitsISK_E10value_typeET2_T3_PNSL_ISQ_E10value_typeET4_jRbjT5_SW_jjP12ihipStream_tbEUlT_E1_NS1_11comp_targetILNS1_3genE4ELNS1_11target_archE910ELNS1_3gpuE8ELNS1_3repE0EEENS1_59segmented_radix_sort_warp_sort_small_config_static_selectorELNS0_4arch9wavefront6targetE1EEEvSK_, .Lfunc_end1347-_ZN7rocprim17ROCPRIM_400000_NS6detail17trampoline_kernelINS0_14default_configENS1_36segmented_radix_sort_config_selectorIflEEZNS1_25segmented_radix_sort_implIS3_Lb1EPKfPfPKlPlN2at6native12_GLOBAL__N_18offset_tEEE10hipError_tPvRmT1_PNSt15iterator_traitsISK_E10value_typeET2_T3_PNSL_ISQ_E10value_typeET4_jRbjT5_SW_jjP12ihipStream_tbEUlT_E1_NS1_11comp_targetILNS1_3genE4ELNS1_11target_archE910ELNS1_3gpuE8ELNS1_3repE0EEENS1_59segmented_radix_sort_warp_sort_small_config_static_selectorELNS0_4arch9wavefront6targetE1EEEvSK_
                                        ; -- End function
	.set _ZN7rocprim17ROCPRIM_400000_NS6detail17trampoline_kernelINS0_14default_configENS1_36segmented_radix_sort_config_selectorIflEEZNS1_25segmented_radix_sort_implIS3_Lb1EPKfPfPKlPlN2at6native12_GLOBAL__N_18offset_tEEE10hipError_tPvRmT1_PNSt15iterator_traitsISK_E10value_typeET2_T3_PNSL_ISQ_E10value_typeET4_jRbjT5_SW_jjP12ihipStream_tbEUlT_E1_NS1_11comp_targetILNS1_3genE4ELNS1_11target_archE910ELNS1_3gpuE8ELNS1_3repE0EEENS1_59segmented_radix_sort_warp_sort_small_config_static_selectorELNS0_4arch9wavefront6targetE1EEEvSK_.num_vgpr, 0
	.set _ZN7rocprim17ROCPRIM_400000_NS6detail17trampoline_kernelINS0_14default_configENS1_36segmented_radix_sort_config_selectorIflEEZNS1_25segmented_radix_sort_implIS3_Lb1EPKfPfPKlPlN2at6native12_GLOBAL__N_18offset_tEEE10hipError_tPvRmT1_PNSt15iterator_traitsISK_E10value_typeET2_T3_PNSL_ISQ_E10value_typeET4_jRbjT5_SW_jjP12ihipStream_tbEUlT_E1_NS1_11comp_targetILNS1_3genE4ELNS1_11target_archE910ELNS1_3gpuE8ELNS1_3repE0EEENS1_59segmented_radix_sort_warp_sort_small_config_static_selectorELNS0_4arch9wavefront6targetE1EEEvSK_.num_agpr, 0
	.set _ZN7rocprim17ROCPRIM_400000_NS6detail17trampoline_kernelINS0_14default_configENS1_36segmented_radix_sort_config_selectorIflEEZNS1_25segmented_radix_sort_implIS3_Lb1EPKfPfPKlPlN2at6native12_GLOBAL__N_18offset_tEEE10hipError_tPvRmT1_PNSt15iterator_traitsISK_E10value_typeET2_T3_PNSL_ISQ_E10value_typeET4_jRbjT5_SW_jjP12ihipStream_tbEUlT_E1_NS1_11comp_targetILNS1_3genE4ELNS1_11target_archE910ELNS1_3gpuE8ELNS1_3repE0EEENS1_59segmented_radix_sort_warp_sort_small_config_static_selectorELNS0_4arch9wavefront6targetE1EEEvSK_.numbered_sgpr, 0
	.set _ZN7rocprim17ROCPRIM_400000_NS6detail17trampoline_kernelINS0_14default_configENS1_36segmented_radix_sort_config_selectorIflEEZNS1_25segmented_radix_sort_implIS3_Lb1EPKfPfPKlPlN2at6native12_GLOBAL__N_18offset_tEEE10hipError_tPvRmT1_PNSt15iterator_traitsISK_E10value_typeET2_T3_PNSL_ISQ_E10value_typeET4_jRbjT5_SW_jjP12ihipStream_tbEUlT_E1_NS1_11comp_targetILNS1_3genE4ELNS1_11target_archE910ELNS1_3gpuE8ELNS1_3repE0EEENS1_59segmented_radix_sort_warp_sort_small_config_static_selectorELNS0_4arch9wavefront6targetE1EEEvSK_.num_named_barrier, 0
	.set _ZN7rocprim17ROCPRIM_400000_NS6detail17trampoline_kernelINS0_14default_configENS1_36segmented_radix_sort_config_selectorIflEEZNS1_25segmented_radix_sort_implIS3_Lb1EPKfPfPKlPlN2at6native12_GLOBAL__N_18offset_tEEE10hipError_tPvRmT1_PNSt15iterator_traitsISK_E10value_typeET2_T3_PNSL_ISQ_E10value_typeET4_jRbjT5_SW_jjP12ihipStream_tbEUlT_E1_NS1_11comp_targetILNS1_3genE4ELNS1_11target_archE910ELNS1_3gpuE8ELNS1_3repE0EEENS1_59segmented_radix_sort_warp_sort_small_config_static_selectorELNS0_4arch9wavefront6targetE1EEEvSK_.private_seg_size, 0
	.set _ZN7rocprim17ROCPRIM_400000_NS6detail17trampoline_kernelINS0_14default_configENS1_36segmented_radix_sort_config_selectorIflEEZNS1_25segmented_radix_sort_implIS3_Lb1EPKfPfPKlPlN2at6native12_GLOBAL__N_18offset_tEEE10hipError_tPvRmT1_PNSt15iterator_traitsISK_E10value_typeET2_T3_PNSL_ISQ_E10value_typeET4_jRbjT5_SW_jjP12ihipStream_tbEUlT_E1_NS1_11comp_targetILNS1_3genE4ELNS1_11target_archE910ELNS1_3gpuE8ELNS1_3repE0EEENS1_59segmented_radix_sort_warp_sort_small_config_static_selectorELNS0_4arch9wavefront6targetE1EEEvSK_.uses_vcc, 0
	.set _ZN7rocprim17ROCPRIM_400000_NS6detail17trampoline_kernelINS0_14default_configENS1_36segmented_radix_sort_config_selectorIflEEZNS1_25segmented_radix_sort_implIS3_Lb1EPKfPfPKlPlN2at6native12_GLOBAL__N_18offset_tEEE10hipError_tPvRmT1_PNSt15iterator_traitsISK_E10value_typeET2_T3_PNSL_ISQ_E10value_typeET4_jRbjT5_SW_jjP12ihipStream_tbEUlT_E1_NS1_11comp_targetILNS1_3genE4ELNS1_11target_archE910ELNS1_3gpuE8ELNS1_3repE0EEENS1_59segmented_radix_sort_warp_sort_small_config_static_selectorELNS0_4arch9wavefront6targetE1EEEvSK_.uses_flat_scratch, 0
	.set _ZN7rocprim17ROCPRIM_400000_NS6detail17trampoline_kernelINS0_14default_configENS1_36segmented_radix_sort_config_selectorIflEEZNS1_25segmented_radix_sort_implIS3_Lb1EPKfPfPKlPlN2at6native12_GLOBAL__N_18offset_tEEE10hipError_tPvRmT1_PNSt15iterator_traitsISK_E10value_typeET2_T3_PNSL_ISQ_E10value_typeET4_jRbjT5_SW_jjP12ihipStream_tbEUlT_E1_NS1_11comp_targetILNS1_3genE4ELNS1_11target_archE910ELNS1_3gpuE8ELNS1_3repE0EEENS1_59segmented_radix_sort_warp_sort_small_config_static_selectorELNS0_4arch9wavefront6targetE1EEEvSK_.has_dyn_sized_stack, 0
	.set _ZN7rocprim17ROCPRIM_400000_NS6detail17trampoline_kernelINS0_14default_configENS1_36segmented_radix_sort_config_selectorIflEEZNS1_25segmented_radix_sort_implIS3_Lb1EPKfPfPKlPlN2at6native12_GLOBAL__N_18offset_tEEE10hipError_tPvRmT1_PNSt15iterator_traitsISK_E10value_typeET2_T3_PNSL_ISQ_E10value_typeET4_jRbjT5_SW_jjP12ihipStream_tbEUlT_E1_NS1_11comp_targetILNS1_3genE4ELNS1_11target_archE910ELNS1_3gpuE8ELNS1_3repE0EEENS1_59segmented_radix_sort_warp_sort_small_config_static_selectorELNS0_4arch9wavefront6targetE1EEEvSK_.has_recursion, 0
	.set _ZN7rocprim17ROCPRIM_400000_NS6detail17trampoline_kernelINS0_14default_configENS1_36segmented_radix_sort_config_selectorIflEEZNS1_25segmented_radix_sort_implIS3_Lb1EPKfPfPKlPlN2at6native12_GLOBAL__N_18offset_tEEE10hipError_tPvRmT1_PNSt15iterator_traitsISK_E10value_typeET2_T3_PNSL_ISQ_E10value_typeET4_jRbjT5_SW_jjP12ihipStream_tbEUlT_E1_NS1_11comp_targetILNS1_3genE4ELNS1_11target_archE910ELNS1_3gpuE8ELNS1_3repE0EEENS1_59segmented_radix_sort_warp_sort_small_config_static_selectorELNS0_4arch9wavefront6targetE1EEEvSK_.has_indirect_call, 0
	.section	.AMDGPU.csdata,"",@progbits
; Kernel info:
; codeLenInByte = 0
; TotalNumSgprs: 4
; NumVgprs: 0
; ScratchSize: 0
; MemoryBound: 0
; FloatMode: 240
; IeeeMode: 1
; LDSByteSize: 0 bytes/workgroup (compile time only)
; SGPRBlocks: 0
; VGPRBlocks: 0
; NumSGPRsForWavesPerEU: 4
; NumVGPRsForWavesPerEU: 1
; Occupancy: 10
; WaveLimiterHint : 0
; COMPUTE_PGM_RSRC2:SCRATCH_EN: 0
; COMPUTE_PGM_RSRC2:USER_SGPR: 6
; COMPUTE_PGM_RSRC2:TRAP_HANDLER: 0
; COMPUTE_PGM_RSRC2:TGID_X_EN: 1
; COMPUTE_PGM_RSRC2:TGID_Y_EN: 0
; COMPUTE_PGM_RSRC2:TGID_Z_EN: 0
; COMPUTE_PGM_RSRC2:TIDIG_COMP_CNT: 0
	.section	.text._ZN7rocprim17ROCPRIM_400000_NS6detail17trampoline_kernelINS0_14default_configENS1_36segmented_radix_sort_config_selectorIflEEZNS1_25segmented_radix_sort_implIS3_Lb1EPKfPfPKlPlN2at6native12_GLOBAL__N_18offset_tEEE10hipError_tPvRmT1_PNSt15iterator_traitsISK_E10value_typeET2_T3_PNSL_ISQ_E10value_typeET4_jRbjT5_SW_jjP12ihipStream_tbEUlT_E1_NS1_11comp_targetILNS1_3genE3ELNS1_11target_archE908ELNS1_3gpuE7ELNS1_3repE0EEENS1_59segmented_radix_sort_warp_sort_small_config_static_selectorELNS0_4arch9wavefront6targetE1EEEvSK_,"axG",@progbits,_ZN7rocprim17ROCPRIM_400000_NS6detail17trampoline_kernelINS0_14default_configENS1_36segmented_radix_sort_config_selectorIflEEZNS1_25segmented_radix_sort_implIS3_Lb1EPKfPfPKlPlN2at6native12_GLOBAL__N_18offset_tEEE10hipError_tPvRmT1_PNSt15iterator_traitsISK_E10value_typeET2_T3_PNSL_ISQ_E10value_typeET4_jRbjT5_SW_jjP12ihipStream_tbEUlT_E1_NS1_11comp_targetILNS1_3genE3ELNS1_11target_archE908ELNS1_3gpuE7ELNS1_3repE0EEENS1_59segmented_radix_sort_warp_sort_small_config_static_selectorELNS0_4arch9wavefront6targetE1EEEvSK_,comdat
	.globl	_ZN7rocprim17ROCPRIM_400000_NS6detail17trampoline_kernelINS0_14default_configENS1_36segmented_radix_sort_config_selectorIflEEZNS1_25segmented_radix_sort_implIS3_Lb1EPKfPfPKlPlN2at6native12_GLOBAL__N_18offset_tEEE10hipError_tPvRmT1_PNSt15iterator_traitsISK_E10value_typeET2_T3_PNSL_ISQ_E10value_typeET4_jRbjT5_SW_jjP12ihipStream_tbEUlT_E1_NS1_11comp_targetILNS1_3genE3ELNS1_11target_archE908ELNS1_3gpuE7ELNS1_3repE0EEENS1_59segmented_radix_sort_warp_sort_small_config_static_selectorELNS0_4arch9wavefront6targetE1EEEvSK_ ; -- Begin function _ZN7rocprim17ROCPRIM_400000_NS6detail17trampoline_kernelINS0_14default_configENS1_36segmented_radix_sort_config_selectorIflEEZNS1_25segmented_radix_sort_implIS3_Lb1EPKfPfPKlPlN2at6native12_GLOBAL__N_18offset_tEEE10hipError_tPvRmT1_PNSt15iterator_traitsISK_E10value_typeET2_T3_PNSL_ISQ_E10value_typeET4_jRbjT5_SW_jjP12ihipStream_tbEUlT_E1_NS1_11comp_targetILNS1_3genE3ELNS1_11target_archE908ELNS1_3gpuE7ELNS1_3repE0EEENS1_59segmented_radix_sort_warp_sort_small_config_static_selectorELNS0_4arch9wavefront6targetE1EEEvSK_
	.p2align	8
	.type	_ZN7rocprim17ROCPRIM_400000_NS6detail17trampoline_kernelINS0_14default_configENS1_36segmented_radix_sort_config_selectorIflEEZNS1_25segmented_radix_sort_implIS3_Lb1EPKfPfPKlPlN2at6native12_GLOBAL__N_18offset_tEEE10hipError_tPvRmT1_PNSt15iterator_traitsISK_E10value_typeET2_T3_PNSL_ISQ_E10value_typeET4_jRbjT5_SW_jjP12ihipStream_tbEUlT_E1_NS1_11comp_targetILNS1_3genE3ELNS1_11target_archE908ELNS1_3gpuE7ELNS1_3repE0EEENS1_59segmented_radix_sort_warp_sort_small_config_static_selectorELNS0_4arch9wavefront6targetE1EEEvSK_,@function
_ZN7rocprim17ROCPRIM_400000_NS6detail17trampoline_kernelINS0_14default_configENS1_36segmented_radix_sort_config_selectorIflEEZNS1_25segmented_radix_sort_implIS3_Lb1EPKfPfPKlPlN2at6native12_GLOBAL__N_18offset_tEEE10hipError_tPvRmT1_PNSt15iterator_traitsISK_E10value_typeET2_T3_PNSL_ISQ_E10value_typeET4_jRbjT5_SW_jjP12ihipStream_tbEUlT_E1_NS1_11comp_targetILNS1_3genE3ELNS1_11target_archE908ELNS1_3gpuE7ELNS1_3repE0EEENS1_59segmented_radix_sort_warp_sort_small_config_static_selectorELNS0_4arch9wavefront6targetE1EEEvSK_: ; @_ZN7rocprim17ROCPRIM_400000_NS6detail17trampoline_kernelINS0_14default_configENS1_36segmented_radix_sort_config_selectorIflEEZNS1_25segmented_radix_sort_implIS3_Lb1EPKfPfPKlPlN2at6native12_GLOBAL__N_18offset_tEEE10hipError_tPvRmT1_PNSt15iterator_traitsISK_E10value_typeET2_T3_PNSL_ISQ_E10value_typeET4_jRbjT5_SW_jjP12ihipStream_tbEUlT_E1_NS1_11comp_targetILNS1_3genE3ELNS1_11target_archE908ELNS1_3gpuE7ELNS1_3repE0EEENS1_59segmented_radix_sort_warp_sort_small_config_static_selectorELNS0_4arch9wavefront6targetE1EEEvSK_
; %bb.0:
	.section	.rodata,"a",@progbits
	.p2align	6, 0x0
	.amdhsa_kernel _ZN7rocprim17ROCPRIM_400000_NS6detail17trampoline_kernelINS0_14default_configENS1_36segmented_radix_sort_config_selectorIflEEZNS1_25segmented_radix_sort_implIS3_Lb1EPKfPfPKlPlN2at6native12_GLOBAL__N_18offset_tEEE10hipError_tPvRmT1_PNSt15iterator_traitsISK_E10value_typeET2_T3_PNSL_ISQ_E10value_typeET4_jRbjT5_SW_jjP12ihipStream_tbEUlT_E1_NS1_11comp_targetILNS1_3genE3ELNS1_11target_archE908ELNS1_3gpuE7ELNS1_3repE0EEENS1_59segmented_radix_sort_warp_sort_small_config_static_selectorELNS0_4arch9wavefront6targetE1EEEvSK_
		.amdhsa_group_segment_fixed_size 0
		.amdhsa_private_segment_fixed_size 0
		.amdhsa_kernarg_size 88
		.amdhsa_user_sgpr_count 6
		.amdhsa_user_sgpr_private_segment_buffer 1
		.amdhsa_user_sgpr_dispatch_ptr 0
		.amdhsa_user_sgpr_queue_ptr 0
		.amdhsa_user_sgpr_kernarg_segment_ptr 1
		.amdhsa_user_sgpr_dispatch_id 0
		.amdhsa_user_sgpr_flat_scratch_init 0
		.amdhsa_user_sgpr_private_segment_size 0
		.amdhsa_uses_dynamic_stack 0
		.amdhsa_system_sgpr_private_segment_wavefront_offset 0
		.amdhsa_system_sgpr_workgroup_id_x 1
		.amdhsa_system_sgpr_workgroup_id_y 0
		.amdhsa_system_sgpr_workgroup_id_z 0
		.amdhsa_system_sgpr_workgroup_info 0
		.amdhsa_system_vgpr_workitem_id 0
		.amdhsa_next_free_vgpr 1
		.amdhsa_next_free_sgpr 0
		.amdhsa_reserve_vcc 0
		.amdhsa_reserve_flat_scratch 0
		.amdhsa_float_round_mode_32 0
		.amdhsa_float_round_mode_16_64 0
		.amdhsa_float_denorm_mode_32 3
		.amdhsa_float_denorm_mode_16_64 3
		.amdhsa_dx10_clamp 1
		.amdhsa_ieee_mode 1
		.amdhsa_fp16_overflow 0
		.amdhsa_exception_fp_ieee_invalid_op 0
		.amdhsa_exception_fp_denorm_src 0
		.amdhsa_exception_fp_ieee_div_zero 0
		.amdhsa_exception_fp_ieee_overflow 0
		.amdhsa_exception_fp_ieee_underflow 0
		.amdhsa_exception_fp_ieee_inexact 0
		.amdhsa_exception_int_div_zero 0
	.end_amdhsa_kernel
	.section	.text._ZN7rocprim17ROCPRIM_400000_NS6detail17trampoline_kernelINS0_14default_configENS1_36segmented_radix_sort_config_selectorIflEEZNS1_25segmented_radix_sort_implIS3_Lb1EPKfPfPKlPlN2at6native12_GLOBAL__N_18offset_tEEE10hipError_tPvRmT1_PNSt15iterator_traitsISK_E10value_typeET2_T3_PNSL_ISQ_E10value_typeET4_jRbjT5_SW_jjP12ihipStream_tbEUlT_E1_NS1_11comp_targetILNS1_3genE3ELNS1_11target_archE908ELNS1_3gpuE7ELNS1_3repE0EEENS1_59segmented_radix_sort_warp_sort_small_config_static_selectorELNS0_4arch9wavefront6targetE1EEEvSK_,"axG",@progbits,_ZN7rocprim17ROCPRIM_400000_NS6detail17trampoline_kernelINS0_14default_configENS1_36segmented_radix_sort_config_selectorIflEEZNS1_25segmented_radix_sort_implIS3_Lb1EPKfPfPKlPlN2at6native12_GLOBAL__N_18offset_tEEE10hipError_tPvRmT1_PNSt15iterator_traitsISK_E10value_typeET2_T3_PNSL_ISQ_E10value_typeET4_jRbjT5_SW_jjP12ihipStream_tbEUlT_E1_NS1_11comp_targetILNS1_3genE3ELNS1_11target_archE908ELNS1_3gpuE7ELNS1_3repE0EEENS1_59segmented_radix_sort_warp_sort_small_config_static_selectorELNS0_4arch9wavefront6targetE1EEEvSK_,comdat
.Lfunc_end1348:
	.size	_ZN7rocprim17ROCPRIM_400000_NS6detail17trampoline_kernelINS0_14default_configENS1_36segmented_radix_sort_config_selectorIflEEZNS1_25segmented_radix_sort_implIS3_Lb1EPKfPfPKlPlN2at6native12_GLOBAL__N_18offset_tEEE10hipError_tPvRmT1_PNSt15iterator_traitsISK_E10value_typeET2_T3_PNSL_ISQ_E10value_typeET4_jRbjT5_SW_jjP12ihipStream_tbEUlT_E1_NS1_11comp_targetILNS1_3genE3ELNS1_11target_archE908ELNS1_3gpuE7ELNS1_3repE0EEENS1_59segmented_radix_sort_warp_sort_small_config_static_selectorELNS0_4arch9wavefront6targetE1EEEvSK_, .Lfunc_end1348-_ZN7rocprim17ROCPRIM_400000_NS6detail17trampoline_kernelINS0_14default_configENS1_36segmented_radix_sort_config_selectorIflEEZNS1_25segmented_radix_sort_implIS3_Lb1EPKfPfPKlPlN2at6native12_GLOBAL__N_18offset_tEEE10hipError_tPvRmT1_PNSt15iterator_traitsISK_E10value_typeET2_T3_PNSL_ISQ_E10value_typeET4_jRbjT5_SW_jjP12ihipStream_tbEUlT_E1_NS1_11comp_targetILNS1_3genE3ELNS1_11target_archE908ELNS1_3gpuE7ELNS1_3repE0EEENS1_59segmented_radix_sort_warp_sort_small_config_static_selectorELNS0_4arch9wavefront6targetE1EEEvSK_
                                        ; -- End function
	.set _ZN7rocprim17ROCPRIM_400000_NS6detail17trampoline_kernelINS0_14default_configENS1_36segmented_radix_sort_config_selectorIflEEZNS1_25segmented_radix_sort_implIS3_Lb1EPKfPfPKlPlN2at6native12_GLOBAL__N_18offset_tEEE10hipError_tPvRmT1_PNSt15iterator_traitsISK_E10value_typeET2_T3_PNSL_ISQ_E10value_typeET4_jRbjT5_SW_jjP12ihipStream_tbEUlT_E1_NS1_11comp_targetILNS1_3genE3ELNS1_11target_archE908ELNS1_3gpuE7ELNS1_3repE0EEENS1_59segmented_radix_sort_warp_sort_small_config_static_selectorELNS0_4arch9wavefront6targetE1EEEvSK_.num_vgpr, 0
	.set _ZN7rocprim17ROCPRIM_400000_NS6detail17trampoline_kernelINS0_14default_configENS1_36segmented_radix_sort_config_selectorIflEEZNS1_25segmented_radix_sort_implIS3_Lb1EPKfPfPKlPlN2at6native12_GLOBAL__N_18offset_tEEE10hipError_tPvRmT1_PNSt15iterator_traitsISK_E10value_typeET2_T3_PNSL_ISQ_E10value_typeET4_jRbjT5_SW_jjP12ihipStream_tbEUlT_E1_NS1_11comp_targetILNS1_3genE3ELNS1_11target_archE908ELNS1_3gpuE7ELNS1_3repE0EEENS1_59segmented_radix_sort_warp_sort_small_config_static_selectorELNS0_4arch9wavefront6targetE1EEEvSK_.num_agpr, 0
	.set _ZN7rocprim17ROCPRIM_400000_NS6detail17trampoline_kernelINS0_14default_configENS1_36segmented_radix_sort_config_selectorIflEEZNS1_25segmented_radix_sort_implIS3_Lb1EPKfPfPKlPlN2at6native12_GLOBAL__N_18offset_tEEE10hipError_tPvRmT1_PNSt15iterator_traitsISK_E10value_typeET2_T3_PNSL_ISQ_E10value_typeET4_jRbjT5_SW_jjP12ihipStream_tbEUlT_E1_NS1_11comp_targetILNS1_3genE3ELNS1_11target_archE908ELNS1_3gpuE7ELNS1_3repE0EEENS1_59segmented_radix_sort_warp_sort_small_config_static_selectorELNS0_4arch9wavefront6targetE1EEEvSK_.numbered_sgpr, 0
	.set _ZN7rocprim17ROCPRIM_400000_NS6detail17trampoline_kernelINS0_14default_configENS1_36segmented_radix_sort_config_selectorIflEEZNS1_25segmented_radix_sort_implIS3_Lb1EPKfPfPKlPlN2at6native12_GLOBAL__N_18offset_tEEE10hipError_tPvRmT1_PNSt15iterator_traitsISK_E10value_typeET2_T3_PNSL_ISQ_E10value_typeET4_jRbjT5_SW_jjP12ihipStream_tbEUlT_E1_NS1_11comp_targetILNS1_3genE3ELNS1_11target_archE908ELNS1_3gpuE7ELNS1_3repE0EEENS1_59segmented_radix_sort_warp_sort_small_config_static_selectorELNS0_4arch9wavefront6targetE1EEEvSK_.num_named_barrier, 0
	.set _ZN7rocprim17ROCPRIM_400000_NS6detail17trampoline_kernelINS0_14default_configENS1_36segmented_radix_sort_config_selectorIflEEZNS1_25segmented_radix_sort_implIS3_Lb1EPKfPfPKlPlN2at6native12_GLOBAL__N_18offset_tEEE10hipError_tPvRmT1_PNSt15iterator_traitsISK_E10value_typeET2_T3_PNSL_ISQ_E10value_typeET4_jRbjT5_SW_jjP12ihipStream_tbEUlT_E1_NS1_11comp_targetILNS1_3genE3ELNS1_11target_archE908ELNS1_3gpuE7ELNS1_3repE0EEENS1_59segmented_radix_sort_warp_sort_small_config_static_selectorELNS0_4arch9wavefront6targetE1EEEvSK_.private_seg_size, 0
	.set _ZN7rocprim17ROCPRIM_400000_NS6detail17trampoline_kernelINS0_14default_configENS1_36segmented_radix_sort_config_selectorIflEEZNS1_25segmented_radix_sort_implIS3_Lb1EPKfPfPKlPlN2at6native12_GLOBAL__N_18offset_tEEE10hipError_tPvRmT1_PNSt15iterator_traitsISK_E10value_typeET2_T3_PNSL_ISQ_E10value_typeET4_jRbjT5_SW_jjP12ihipStream_tbEUlT_E1_NS1_11comp_targetILNS1_3genE3ELNS1_11target_archE908ELNS1_3gpuE7ELNS1_3repE0EEENS1_59segmented_radix_sort_warp_sort_small_config_static_selectorELNS0_4arch9wavefront6targetE1EEEvSK_.uses_vcc, 0
	.set _ZN7rocprim17ROCPRIM_400000_NS6detail17trampoline_kernelINS0_14default_configENS1_36segmented_radix_sort_config_selectorIflEEZNS1_25segmented_radix_sort_implIS3_Lb1EPKfPfPKlPlN2at6native12_GLOBAL__N_18offset_tEEE10hipError_tPvRmT1_PNSt15iterator_traitsISK_E10value_typeET2_T3_PNSL_ISQ_E10value_typeET4_jRbjT5_SW_jjP12ihipStream_tbEUlT_E1_NS1_11comp_targetILNS1_3genE3ELNS1_11target_archE908ELNS1_3gpuE7ELNS1_3repE0EEENS1_59segmented_radix_sort_warp_sort_small_config_static_selectorELNS0_4arch9wavefront6targetE1EEEvSK_.uses_flat_scratch, 0
	.set _ZN7rocprim17ROCPRIM_400000_NS6detail17trampoline_kernelINS0_14default_configENS1_36segmented_radix_sort_config_selectorIflEEZNS1_25segmented_radix_sort_implIS3_Lb1EPKfPfPKlPlN2at6native12_GLOBAL__N_18offset_tEEE10hipError_tPvRmT1_PNSt15iterator_traitsISK_E10value_typeET2_T3_PNSL_ISQ_E10value_typeET4_jRbjT5_SW_jjP12ihipStream_tbEUlT_E1_NS1_11comp_targetILNS1_3genE3ELNS1_11target_archE908ELNS1_3gpuE7ELNS1_3repE0EEENS1_59segmented_radix_sort_warp_sort_small_config_static_selectorELNS0_4arch9wavefront6targetE1EEEvSK_.has_dyn_sized_stack, 0
	.set _ZN7rocprim17ROCPRIM_400000_NS6detail17trampoline_kernelINS0_14default_configENS1_36segmented_radix_sort_config_selectorIflEEZNS1_25segmented_radix_sort_implIS3_Lb1EPKfPfPKlPlN2at6native12_GLOBAL__N_18offset_tEEE10hipError_tPvRmT1_PNSt15iterator_traitsISK_E10value_typeET2_T3_PNSL_ISQ_E10value_typeET4_jRbjT5_SW_jjP12ihipStream_tbEUlT_E1_NS1_11comp_targetILNS1_3genE3ELNS1_11target_archE908ELNS1_3gpuE7ELNS1_3repE0EEENS1_59segmented_radix_sort_warp_sort_small_config_static_selectorELNS0_4arch9wavefront6targetE1EEEvSK_.has_recursion, 0
	.set _ZN7rocprim17ROCPRIM_400000_NS6detail17trampoline_kernelINS0_14default_configENS1_36segmented_radix_sort_config_selectorIflEEZNS1_25segmented_radix_sort_implIS3_Lb1EPKfPfPKlPlN2at6native12_GLOBAL__N_18offset_tEEE10hipError_tPvRmT1_PNSt15iterator_traitsISK_E10value_typeET2_T3_PNSL_ISQ_E10value_typeET4_jRbjT5_SW_jjP12ihipStream_tbEUlT_E1_NS1_11comp_targetILNS1_3genE3ELNS1_11target_archE908ELNS1_3gpuE7ELNS1_3repE0EEENS1_59segmented_radix_sort_warp_sort_small_config_static_selectorELNS0_4arch9wavefront6targetE1EEEvSK_.has_indirect_call, 0
	.section	.AMDGPU.csdata,"",@progbits
; Kernel info:
; codeLenInByte = 0
; TotalNumSgprs: 4
; NumVgprs: 0
; ScratchSize: 0
; MemoryBound: 0
; FloatMode: 240
; IeeeMode: 1
; LDSByteSize: 0 bytes/workgroup (compile time only)
; SGPRBlocks: 0
; VGPRBlocks: 0
; NumSGPRsForWavesPerEU: 4
; NumVGPRsForWavesPerEU: 1
; Occupancy: 10
; WaveLimiterHint : 0
; COMPUTE_PGM_RSRC2:SCRATCH_EN: 0
; COMPUTE_PGM_RSRC2:USER_SGPR: 6
; COMPUTE_PGM_RSRC2:TRAP_HANDLER: 0
; COMPUTE_PGM_RSRC2:TGID_X_EN: 1
; COMPUTE_PGM_RSRC2:TGID_Y_EN: 0
; COMPUTE_PGM_RSRC2:TGID_Z_EN: 0
; COMPUTE_PGM_RSRC2:TIDIG_COMP_CNT: 0
	.text
	.p2align	2                               ; -- Begin function _ZN7rocprim17ROCPRIM_400000_NS6detail26segmented_warp_sort_helperINS1_20WarpSortHelperConfigILj8ELj4ELj256EEEflLi256ELb1EvE4sortIPKfPfPKlPlEEvT_S9_T0_T1_SC_T2_bjjjjRNS5_12storage_typeE
	.type	_ZN7rocprim17ROCPRIM_400000_NS6detail26segmented_warp_sort_helperINS1_20WarpSortHelperConfigILj8ELj4ELj256EEEflLi256ELb1EvE4sortIPKfPfPKlPlEEvT_S9_T0_T1_SC_T2_bjjjjRNS5_12storage_typeE,@function
_ZN7rocprim17ROCPRIM_400000_NS6detail26segmented_warp_sort_helperINS1_20WarpSortHelperConfigILj8ELj4ELj256EEEflLi256ELb1EvE4sortIPKfPfPKlPlEEvT_S9_T0_T1_SC_T2_bjjjjRNS5_12storage_typeE: ; @_ZN7rocprim17ROCPRIM_400000_NS6detail26segmented_warp_sort_helperINS1_20WarpSortHelperConfigILj8ELj4ELj256EEEflLi256ELb1EvE4sortIPKfPfPKlPlEEvT_S9_T0_T1_SC_T2_bjjjjRNS5_12storage_typeE
; %bb.0:
	s_waitcnt vmcnt(0) expcnt(0) lgkmcnt(0)
	v_and_b32_e32 v12, 1, v12
	v_mov_b32_e32 v16, v14
	v_cmp_ne_u32_e32 vcc, 1, v12
	v_mov_b32_e32 v14, 0
	v_mbcnt_lo_u32_b32 v12, -1, 0
	v_lshlrev_b64 v[48:49], 2, v[13:14]
	v_mbcnt_hi_u32_b32 v12, -1, v12
	v_lshlrev_b32_e32 v51, 2, v12
	v_add_co_u32_e64 v0, s[4:5], v0, v48
	v_and_b32_e32 v12, 28, v51
	v_addc_co_u32_e64 v1, s[4:5], v1, v49, s[4:5]
	v_lshlrev_b32_e32 v50, 2, v12
	v_add_co_u32_e64 v0, s[4:5], v0, v50
	v_addc_co_u32_e64 v1, s[4:5], 0, v1, s[4:5]
	v_sub_u32_e32 v24, v16, v13
	v_cmp_lt_u32_e64 s[4:5], v12, v24
	s_mov_b64 s[16:17], 0
                                        ; implicit-def: $vgpr16_vgpr17_vgpr18_vgpr19_vgpr20_vgpr21_vgpr22_vgpr23
	s_and_saveexec_b64 s[6:7], vcc
	s_xor_b64 s[18:19], exec, s[6:7]
	s_cbranch_execnz .LBB1349_4
; %bb.1:
	s_andn2_saveexec_b64 s[18:19], s[18:19]
	s_cbranch_execnz .LBB1349_111
.LBB1349_2:
	s_or_b64 exec, exec, s[18:19]
	s_and_saveexec_b64 s[4:5], s[16:17]
	s_cbranch_execnz .LBB1349_218
.LBB1349_3:
	s_or_b64 exec, exec, s[4:5]
	s_waitcnt vmcnt(0) lgkmcnt(0)
	s_setpc_b64 s[30:31]
.LBB1349_4:
	v_mov_b32_e32 v11, -1
	v_mov_b32_e32 v52, -1
	s_and_saveexec_b64 s[6:7], s[4:5]
	s_cbranch_execz .LBB1349_6
; %bb.5:
	flat_load_dword v52, v[0:1]
.LBB1349_6:
	s_or_b64 exec, exec, s[6:7]
	v_or_b32_e32 v4, 1, v12
	v_cmp_lt_u32_e64 s[6:7], v4, v24
	s_and_saveexec_b64 s[10:11], s[6:7]
	s_cbranch_execz .LBB1349_8
; %bb.7:
	flat_load_dword v11, v[0:1] offset:4
.LBB1349_8:
	s_or_b64 exec, exec, s[10:11]
	v_or_b32_e32 v4, 2, v12
	v_cmp_lt_u32_e64 s[10:11], v4, v24
	v_mov_b32_e32 v10, -1
	v_mov_b32_e32 v30, -1
	s_and_saveexec_b64 s[14:15], s[10:11]
	s_cbranch_execz .LBB1349_10
; %bb.9:
	flat_load_dword v30, v[0:1] offset:8
.LBB1349_10:
	s_or_b64 exec, exec, s[14:15]
	v_or_b32_e32 v4, 3, v12
	v_cmp_lt_u32_e64 s[14:15], v4, v24
	s_and_saveexec_b64 s[16:17], s[14:15]
	s_cbranch_execz .LBB1349_12
; %bb.11:
	flat_load_dword v10, v[0:1] offset:12
.LBB1349_12:
	s_or_b64 exec, exec, s[16:17]
	v_lshlrev_b64 v[0:1], 3, v[13:14]
	v_mov_b32_e32 v16, 0
	v_add_co_u32_e32 v4, vcc, v6, v0
	v_addc_co_u32_e32 v5, vcc, v7, v1, vcc
	v_lshlrev_b32_e32 v6, 3, v12
	v_add_co_u32_e32 v4, vcc, v4, v6
	v_addc_co_u32_e32 v5, vcc, 0, v5, vcc
	v_mov_b32_e32 v17, v16
	v_mov_b32_e32 v18, v16
	;; [unrolled: 1-line block ×7, first 2 shown]
	; wave barrier
	s_and_saveexec_b64 s[16:17], s[4:5]
	s_cbranch_execnz .LBB1349_219
; %bb.13:
	s_or_b64 exec, exec, s[16:17]
	s_and_saveexec_b64 s[16:17], s[6:7]
	s_cbranch_execnz .LBB1349_220
.LBB1349_14:
	s_or_b64 exec, exec, s[16:17]
	s_and_saveexec_b64 s[16:17], s[10:11]
	s_cbranch_execnz .LBB1349_221
.LBB1349_15:
	s_or_b64 exec, exec, s[16:17]
	s_and_saveexec_b64 s[16:17], s[14:15]
	s_cbranch_execz .LBB1349_17
.LBB1349_16:
	flat_load_dwordx2 v[22:23], v[4:5] offset:24
.LBB1349_17:
	s_or_b64 exec, exec, s[16:17]
	; wave barrier
	s_load_dwordx2 s[16:17], s[8:9], 0x0
	v_mov_b32_e32 v4, 0
	v_bfe_u32 v24, v31, 20, 10
	s_waitcnt lgkmcnt(0)
	s_cmp_lt_u32 s13, s17
	s_cselect_b32 s17, 14, 20
	s_add_u32 s20, s8, s17
	s_addc_u32 s21, s9, 0
	s_cmp_lt_u32 s12, s16
	s_cselect_b32 s16, 12, 18
	s_add_u32 s16, s8, s16
	s_addc_u32 s17, s9, 0
	global_load_ushort v5, v4, s[20:21]
	global_load_ushort v7, v4, s[16:17]
	v_bfe_u32 v4, v31, 10, 10
	s_movk_i32 s16, 0x400
	s_waitcnt vmcnt(0)
	v_mad_u32_u24 v4, v24, v5, v4
	v_mul_lo_u32 v4, v4, v7
	v_and_b32_e32 v5, 0x3ff, v31
	v_add_lshl_u32 v4, v4, v5, 2
	v_cmp_gt_u32_e32 vcc, s16, v4
	s_and_saveexec_b64 s[20:21], vcc
	s_cbranch_execz .LBB1349_29
; %bb.18:
	v_add_f32_e32 v5, 0, v11
	v_ashrrev_i32_e32 v24, 31, v5
	v_add_f32_e32 v7, 0, v52
	v_or_b32_e32 v24, 0x80000000, v24
	v_xor_b32_e32 v5, v24, v5
	v_ashrrev_i32_e32 v24, 31, v7
	v_or_b32_e32 v24, 0x80000000, v24
	v_xor_b32_e32 v7, v24, v7
	v_cmp_gt_u32_e32 vcc, v5, v7
	v_add_f32_e32 v5, 0, v10
	v_ashrrev_i32_e32 v7, 31, v5
	v_cndmask_b32_e32 v26, v18, v16, vcc
	v_cndmask_b32_e32 v24, v16, v18, vcc
	v_add_f32_e32 v16, 0, v30
	v_or_b32_e32 v7, 0x80000000, v7
	v_xor_b32_e32 v7, v7, v5
	v_ashrrev_i32_e32 v5, 31, v16
	v_or_b32_e32 v5, 0x80000000, v5
	v_xor_b32_e32 v16, v5, v16
	v_mov_b32_e32 v29, v21
	v_cndmask_b32_e32 v27, v19, v17, vcc
	v_cndmask_b32_e32 v25, v17, v19, vcc
	v_cmp_gt_u32_e64 s[16:17], v7, v16
	v_mov_b32_e32 v5, v30
	v_mov_b32_e32 v28, v20
	s_and_saveexec_b64 s[22:23], s[16:17]
; %bb.19:
	v_mov_b32_e32 v29, v23
	v_mov_b32_e32 v28, v22
	;; [unrolled: 1-line block ×7, first 2 shown]
; %bb.20:
	s_or_b64 exec, exec, s[22:23]
	v_cndmask_b32_e32 v17, v11, v52, vcc
	v_add_f32_e32 v7, 0, v17
	v_ashrrev_i32_e32 v18, 31, v7
	v_or_b32_e32 v18, 0x80000000, v18
	v_mov_b32_e32 v30, v22
	v_xor_b32_e32 v18, v18, v7
	v_mov_b32_e32 v39, v31
	v_cmp_le_u32_e64 s[16:17], v16, v18
	v_mov_b32_e32 v33, v25
	v_mov_b32_e32 v32, v24
                                        ; implicit-def: $vgpr53
	v_mov_b32_e32 v38, v30
	v_mov_b32_e32 v37, v29
	;; [unrolled: 1-line block ×5, first 2 shown]
	s_and_saveexec_b64 s[22:23], s[16:17]
	s_xor_b64 s[16:17], exec, s[22:23]
; %bb.21:
	v_add_f32_e32 v7, 0, v5
	v_ashrrev_i32_e32 v16, 31, v7
	v_or_b32_e32 v16, 0x80000000, v16
	v_xor_b32_e32 v53, v16, v7
                                        ; implicit-def: $vgpr32_vgpr33_vgpr34_vgpr35_vgpr36_vgpr37_vgpr38_vgpr39
                                        ; implicit-def: $vgpr16
; %bb.22:
	s_or_saveexec_b64 s[16:17], s[16:17]
	v_mov_b32_e32 v31, v23
	v_mov_b32_e32 v7, v17
	s_xor_b64 exec, exec, s[16:17]
	s_cbranch_execz .LBB1349_24
; %bb.23:
	v_mov_b32_e32 v34, v28
	v_mov_b32_e32 v35, v29
	;; [unrolled: 1-line block ×18, first 2 shown]
.LBB1349_24:
	s_or_b64 exec, exec, s[16:17]
	v_cndmask_b32_e32 v32, v52, v11, vcc
	v_add_f32_e32 v11, 0, v32
	v_ashrrev_i32_e32 v16, 31, v11
	v_or_b32_e32 v16, 0x80000000, v16
	v_xor_b32_e32 v11, v16, v11
	v_cmp_gt_u32_e32 vcc, v18, v11
	v_add_f32_e32 v11, 0, v10
	v_cndmask_b32_e32 v18, v26, v24, vcc
	v_cndmask_b32_e32 v16, v24, v26, vcc
	v_ashrrev_i32_e32 v24, 31, v11
	v_or_b32_e32 v24, 0x80000000, v24
	v_xor_b32_e32 v11, v24, v11
	v_cndmask_b32_e32 v19, v27, v25, vcc
	v_cndmask_b32_e32 v17, v25, v27, vcc
	v_mov_b32_e32 v20, v28
	v_mov_b32_e32 v21, v29
	v_mov_b32_e32 v22, v30
	v_mov_b32_e32 v23, v31
	v_cmp_gt_u32_e64 s[16:17], v11, v53
	v_mov_b32_e32 v24, v5
	s_and_saveexec_b64 s[22:23], s[16:17]
; %bb.25:
	v_mov_b32_e32 v20, v30
	v_mov_b32_e32 v21, v31
	;; [unrolled: 1-line block ×7, first 2 shown]
; %bb.26:
	s_or_b64 exec, exec, s[22:23]
	v_cndmask_b32_e32 v11, v7, v32, vcc
	v_add_f32_e32 v5, 0, v11
	v_ashrrev_i32_e32 v25, 31, v5
	v_or_b32_e32 v25, 0x80000000, v25
	v_xor_b32_e32 v5, v25, v5
	v_cmp_gt_u32_e64 s[16:17], v53, v5
	v_mov_b32_e32 v30, v24
	s_and_saveexec_b64 s[22:23], s[16:17]
	s_cbranch_execz .LBB1349_28
; %bb.27:
	v_mov_b32_e32 v64, v16
	v_mov_b32_e32 v65, v17
	;; [unrolled: 1-line block ×18, first 2 shown]
.LBB1349_28:
	s_or_b64 exec, exec, s[22:23]
	v_cndmask_b32_e32 v52, v32, v7, vcc
.LBB1349_29:
	s_or_b64 exec, exec, s[20:21]
	v_and_b32_e32 v24, 0xffffff00, v4
	s_movk_i32 s16, 0x400
	v_mov_b32_e32 v25, 0
	v_sub_u32_e64 v7, s16, v24 clamp
	v_lshlrev_b64 v[4:5], 2, v[24:25]
	v_lshlrev_b64 v[24:25], 3, v[24:25]
	v_or_b32_e32 v25, 4, v51
	v_min_u32_e32 v32, v7, v25
	v_add_u32_e32 v25, 4, v32
	v_and_b32_e32 v34, 0x1f8, v51
	v_min_u32_e32 v33, v7, v25
	v_and_b32_e32 v25, 4, v51
	v_add_co_u32_e32 v5, vcc, v15, v4
	v_add_co_u32_e32 v4, vcc, v15, v24
	v_min_u32_e32 v35, v7, v25
	v_sub_u32_e32 v25, v32, v34
	v_sub_u32_e32 v26, v33, v32
	v_add_co_u32_e32 v4, vcc, 0x1000, v4
	v_sub_u32_e64 v37, v35, v26 clamp
	v_min_u32_e32 v25, v35, v25
	v_lshl_add_u32 v15, v51, 2, v5
	v_lshl_add_u32 v24, v51, 3, v4
	v_cmp_lt_u32_e32 vcc, v37, v25
	ds_write2_b32 v15, v52, v11 offset1:1
	ds_write2_b64 v24, v[16:17], v[18:19] offset1:1
	ds_write2_b32 v15, v30, v10 offset0:2 offset1:3
	ds_write2_b64 v24, v[20:21], v[22:23] offset0:2 offset1:3
	; wave barrier
	s_and_saveexec_b64 s[16:17], vcc
	s_cbranch_execz .LBB1349_33
; %bb.30:
	v_lshlrev_b32_e32 v26, 2, v34
	v_lshlrev_b32_e32 v27, 2, v32
	v_add_co_u32_e32 v26, vcc, v5, v26
	v_add_co_u32_e32 v27, vcc, v5, v27
	s_mov_b64 s[20:21], 0
.LBB1349_31:                            ; =>This Inner Loop Header: Depth=1
	v_add_u32_e32 v28, v25, v37
	v_lshrrev_b32_e32 v28, 1, v28
	v_xad_u32 v29, v28, -1, v35
	v_lshl_add_u32 v31, v28, 2, v26
	v_lshl_add_u32 v29, v29, 2, v27
	ds_read_b32 v31, v31
	ds_read_b32 v29, v29
	v_add_u32_e32 v36, 1, v28
	s_waitcnt lgkmcnt(1)
	v_add_f32_e32 v31, 0, v31
	s_waitcnt lgkmcnt(0)
	v_add_f32_e32 v29, 0, v29
	v_ashrrev_i32_e32 v38, 31, v31
	v_ashrrev_i32_e32 v39, 31, v29
	v_or_b32_e32 v38, 0x80000000, v38
	v_or_b32_e32 v39, 0x80000000, v39
	v_xor_b32_e32 v31, v38, v31
	v_xor_b32_e32 v29, v39, v29
	v_cmp_gt_u32_e32 vcc, v29, v31
	v_cndmask_b32_e32 v25, v25, v28, vcc
	v_cndmask_b32_e32 v37, v36, v37, vcc
	v_cmp_ge_u32_e32 vcc, v37, v25
	s_or_b64 s[20:21], vcc, s[20:21]
	s_andn2_b64 exec, exec, s[20:21]
	s_cbranch_execnz .LBB1349_31
; %bb.32:
	s_or_b64 exec, exec, s[20:21]
.LBB1349_33:
	s_or_b64 exec, exec, s[16:17]
	v_add_u32_e32 v36, v37, v34
	v_add_u32_e32 v34, v32, v35
	v_sub_u32_e32 v37, v34, v37
	v_cmp_le_u32_e32 vcc, v36, v32
	v_cmp_le_u32_e64 s[16:17], v37, v33
	v_add_u32_e32 v25, 4, v15
	v_add_u32_e32 v26, 8, v24
	;; [unrolled: 1-line block ×6, first 2 shown]
	s_or_b64 s[16:17], vcc, s[16:17]
	s_and_saveexec_b64 s[20:21], s[16:17]
	s_cbranch_execz .LBB1349_53
; %bb.34:
	v_cmp_ge_u32_e32 vcc, v36, v32
	v_cmp_lt_u32_e64 s[16:17], v36, v32
                                        ; implicit-def: $vgpr10
	s_and_saveexec_b64 s[22:23], s[16:17]
; %bb.35:
	v_lshl_add_u32 v10, v36, 2, v5
	ds_read_b32 v10, v10
; %bb.36:
	s_or_b64 exec, exec, s[22:23]
	v_cmp_ge_u32_e64 s[22:23], v37, v33
	v_cmp_lt_u32_e64 s[16:17], v37, v33
                                        ; implicit-def: $vgpr34
	s_and_saveexec_b64 s[24:25], s[16:17]
; %bb.37:
	v_lshl_add_u32 v11, v37, 2, v5
	ds_read_b32 v34, v11
; %bb.38:
	s_or_b64 exec, exec, s[24:25]
	s_nor_b64 s[24:25], vcc, s[22:23]
	s_and_saveexec_b64 s[16:17], s[24:25]
	s_cbranch_execz .LBB1349_40
; %bb.39:
	s_waitcnt lgkmcnt(0)
	v_add_f32_e32 v11, 0, v34
	v_ashrrev_i32_e32 v17, 31, v11
	v_add_f32_e32 v16, 0, v10
	v_or_b32_e32 v17, 0x80000000, v17
	v_xor_b32_e32 v11, v17, v11
	v_ashrrev_i32_e32 v17, 31, v16
	v_or_b32_e32 v17, 0x80000000, v17
	v_xor_b32_e32 v16, v17, v16
	v_cmp_le_u32_e32 vcc, v11, v16
	s_andn2_b64 s[22:23], s[22:23], exec
	s_and_b64 s[24:25], vcc, exec
	s_or_b64 s[22:23], s[22:23], s[24:25]
.LBB1349_40:
	s_or_b64 exec, exec, s[16:17]
	v_cndmask_b32_e64 v11, v37, v36, s[22:23]
	v_cndmask_b32_e64 v16, v33, v32, s[22:23]
	v_add_u32_e32 v18, 1, v11
	v_add_u32_e32 v16, -1, v16
	v_min_u32_e32 v16, v18, v16
	v_lshl_add_u32 v16, v16, 2, v5
	ds_read_b32 v19, v16
	v_lshl_add_u32 v11, v11, 3, v4
	ds_read_b64 v[16:17], v11
	v_cndmask_b32_e64 v20, v18, v37, s[22:23]
	v_cndmask_b32_e64 v21, v36, v18, s[22:23]
	s_waitcnt lgkmcnt(1)
	v_cndmask_b32_e64 v11, v19, v34, s[22:23]
	v_cndmask_b32_e64 v35, v10, v19, s[22:23]
	v_cmp_lt_u32_e32 vcc, v20, v33
	s_mov_b64 s[24:25], -1
	s_mov_b64 s[16:17], -1
	s_and_saveexec_b64 s[26:27], vcc
	s_cbranch_execz .LBB1349_44
; %bb.41:
	v_cmp_lt_u32_e32 vcc, v21, v32
	s_mov_b64 s[28:29], 0
	s_and_saveexec_b64 s[16:17], vcc
	s_cbranch_execz .LBB1349_43
; %bb.42:
	v_add_f32_e32 v18, 0, v11
	v_ashrrev_i32_e32 v22, 31, v18
	v_add_f32_e32 v19, 0, v35
	v_or_b32_e32 v22, 0x80000000, v22
	v_xor_b32_e32 v18, v22, v18
	v_ashrrev_i32_e32 v22, 31, v19
	v_or_b32_e32 v22, 0x80000000, v22
	v_xor_b32_e32 v19, v22, v19
	v_cmp_le_u32_e32 vcc, v18, v19
	s_and_b64 s[28:29], vcc, exec
.LBB1349_43:
	s_or_b64 exec, exec, s[16:17]
	s_orn2_b64 s[16:17], s[28:29], exec
.LBB1349_44:
	s_or_b64 exec, exec, s[26:27]
	v_cndmask_b32_e64 v18, v20, v21, s[16:17]
	v_cndmask_b32_e64 v19, v33, v32, s[16:17]
	v_add_u32_e32 v23, 1, v18
	v_add_u32_e32 v19, -1, v19
	v_min_u32_e32 v19, v23, v19
	v_lshl_add_u32 v19, v19, 2, v5
	ds_read_b32 v22, v19
	v_lshl_add_u32 v18, v18, 3, v4
	ds_read_b64 v[18:19], v18
	s_waitcnt lgkmcnt(1)
	v_cndmask_b32_e64 v30, v22, v11, s[16:17]
	v_cndmask_b32_e64 v36, v35, v22, s[16:17]
	;; [unrolled: 1-line block ×4, first 2 shown]
	v_cmp_lt_u32_e32 vcc, v22, v33
	s_and_saveexec_b64 s[26:27], vcc
	s_cbranch_execz .LBB1349_48
; %bb.45:
	v_cmp_lt_u32_e32 vcc, v23, v32
	s_mov_b64 s[28:29], 0
	s_and_saveexec_b64 s[24:25], vcc
	s_cbranch_execz .LBB1349_47
; %bb.46:
	v_add_f32_e32 v20, 0, v30
	v_ashrrev_i32_e32 v37, 31, v20
	v_add_f32_e32 v21, 0, v36
	v_or_b32_e32 v37, 0x80000000, v37
	v_xor_b32_e32 v20, v37, v20
	v_ashrrev_i32_e32 v37, 31, v21
	v_or_b32_e32 v37, 0x80000000, v37
	v_xor_b32_e32 v21, v37, v21
	v_cmp_le_u32_e32 vcc, v20, v21
	s_and_b64 s[28:29], vcc, exec
.LBB1349_47:
	s_or_b64 exec, exec, s[24:25]
	s_orn2_b64 s[24:25], s[28:29], exec
.LBB1349_48:
	s_or_b64 exec, exec, s[26:27]
	v_cndmask_b32_e64 v20, v22, v23, s[24:25]
	v_cndmask_b32_e64 v21, v33, v32, s[24:25]
	v_add_u32_e32 v39, 1, v20
	v_add_u32_e32 v21, -1, v21
	v_min_u32_e32 v21, v39, v21
	v_lshl_add_u32 v21, v21, 2, v5
	ds_read_b32 v38, v21
	v_lshl_add_u32 v20, v20, 3, v4
	ds_read_b64 v[20:21], v20
	v_cndmask_b32_e64 v22, v39, v22, s[24:25]
	v_cndmask_b32_e64 v23, v23, v39, s[24:25]
	s_waitcnt lgkmcnt(1)
	v_cndmask_b32_e64 v37, v38, v30, s[24:25]
	v_cndmask_b32_e64 v38, v36, v38, s[24:25]
	v_cmp_lt_u32_e32 vcc, v22, v33
	s_mov_b64 s[28:29], -1
	s_and_saveexec_b64 s[26:27], vcc
	s_cbranch_execz .LBB1349_52
; %bb.49:
	v_cmp_lt_u32_e32 vcc, v23, v32
	s_mov_b64 s[40:41], 0
	s_and_saveexec_b64 s[28:29], vcc
	s_cbranch_execz .LBB1349_51
; %bb.50:
	v_add_f32_e32 v32, 0, v37
	v_ashrrev_i32_e32 v39, 31, v32
	v_add_f32_e32 v33, 0, v38
	v_or_b32_e32 v39, 0x80000000, v39
	v_xor_b32_e32 v32, v39, v32
	v_ashrrev_i32_e32 v39, 31, v33
	v_or_b32_e32 v39, 0x80000000, v39
	v_xor_b32_e32 v33, v39, v33
	v_cmp_le_u32_e32 vcc, v32, v33
	s_and_b64 s[40:41], vcc, exec
.LBB1349_51:
	s_or_b64 exec, exec, s[28:29]
	s_orn2_b64 s[28:29], s[40:41], exec
.LBB1349_52:
	s_or_b64 exec, exec, s[26:27]
	v_cndmask_b32_e64 v22, v22, v23, s[28:29]
	v_lshl_add_u32 v22, v22, 3, v4
	ds_read_b64 v[22:23], v22
	v_cndmask_b32_e64 v30, v30, v36, s[24:25]
	v_cndmask_b32_e64 v11, v11, v35, s[16:17]
	;; [unrolled: 1-line block ×4, first 2 shown]
.LBB1349_53:
	s_or_b64 exec, exec, s[20:21]
	v_and_b32_e32 v34, 0x1f0, v51
	v_or_b32_e32 v32, 8, v34
	v_min_u32_e32 v32, v7, v32
	v_add_u32_e32 v33, 8, v32
	v_min_u32_e32 v33, v7, v33
	v_and_b32_e32 v35, 12, v51
	v_min_u32_e32 v35, v7, v35
	v_sub_u32_e32 v36, v32, v34
	v_sub_u32_e32 v37, v33, v32
	v_sub_u32_e64 v37, v35, v37 clamp
	v_min_u32_e32 v36, v35, v36
	v_cmp_lt_u32_e32 vcc, v37, v36
	; wave barrier
	ds_write_b32 v15, v52
	ds_write_b64 v24, v[16:17]
	ds_write_b32 v25, v11
	ds_write_b64 v26, v[18:19]
	ds_write_b32 v27, v30
	s_waitcnt lgkmcnt(6)
	ds_write_b64 v28, v[20:21]
	ds_write_b32 v29, v10
	s_waitcnt lgkmcnt(7)
	ds_write_b64 v31, v[22:23]
	; wave barrier
	s_and_saveexec_b64 s[16:17], vcc
	s_cbranch_execz .LBB1349_57
; %bb.54:
	v_lshlrev_b32_e32 v38, 2, v34
	v_lshlrev_b32_e32 v39, 2, v32
	v_add_co_u32_e32 v38, vcc, v5, v38
	v_add_co_u32_e32 v39, vcc, v5, v39
	s_mov_b64 s[20:21], 0
.LBB1349_55:                            ; =>This Inner Loop Header: Depth=1
	v_add_u32_e32 v53, v36, v37
	v_lshrrev_b32_e32 v53, 1, v53
	v_xad_u32 v54, v53, -1, v35
	v_lshl_add_u32 v55, v53, 2, v38
	v_lshl_add_u32 v54, v54, 2, v39
	ds_read_b32 v55, v55
	ds_read_b32 v54, v54
	v_add_u32_e32 v64, 1, v53
	s_waitcnt lgkmcnt(1)
	v_add_f32_e32 v55, 0, v55
	s_waitcnt lgkmcnt(0)
	v_add_f32_e32 v54, 0, v54
	v_ashrrev_i32_e32 v65, 31, v55
	v_ashrrev_i32_e32 v66, 31, v54
	v_or_b32_e32 v65, 0x80000000, v65
	v_or_b32_e32 v66, 0x80000000, v66
	v_xor_b32_e32 v55, v65, v55
	v_xor_b32_e32 v54, v66, v54
	v_cmp_gt_u32_e32 vcc, v54, v55
	v_cndmask_b32_e32 v36, v36, v53, vcc
	v_cndmask_b32_e32 v37, v64, v37, vcc
	v_cmp_ge_u32_e32 vcc, v37, v36
	s_or_b64 s[20:21], vcc, s[20:21]
	s_andn2_b64 exec, exec, s[20:21]
	s_cbranch_execnz .LBB1349_55
; %bb.56:
	s_or_b64 exec, exec, s[20:21]
.LBB1349_57:
	s_or_b64 exec, exec, s[16:17]
	v_add_u32_e32 v36, v37, v34
	v_add_u32_e32 v34, v32, v35
	v_sub_u32_e32 v37, v34, v37
	v_cmp_le_u32_e32 vcc, v36, v32
	v_cmp_le_u32_e64 s[16:17], v37, v33
	s_or_b64 s[16:17], vcc, s[16:17]
	s_and_saveexec_b64 s[20:21], s[16:17]
	s_cbranch_execz .LBB1349_77
; %bb.58:
	v_cmp_ge_u32_e32 vcc, v36, v32
	v_cmp_lt_u32_e64 s[16:17], v36, v32
                                        ; implicit-def: $vgpr10
	s_and_saveexec_b64 s[22:23], s[16:17]
; %bb.59:
	v_lshl_add_u32 v10, v36, 2, v5
	ds_read_b32 v10, v10
; %bb.60:
	s_or_b64 exec, exec, s[22:23]
	v_cmp_ge_u32_e64 s[22:23], v37, v33
	v_cmp_lt_u32_e64 s[16:17], v37, v33
                                        ; implicit-def: $vgpr34
	s_and_saveexec_b64 s[24:25], s[16:17]
; %bb.61:
	v_lshl_add_u32 v11, v37, 2, v5
	ds_read_b32 v34, v11
; %bb.62:
	s_or_b64 exec, exec, s[24:25]
	s_nor_b64 s[24:25], vcc, s[22:23]
	s_and_saveexec_b64 s[16:17], s[24:25]
	s_cbranch_execz .LBB1349_64
; %bb.63:
	s_waitcnt lgkmcnt(0)
	v_add_f32_e32 v11, 0, v34
	v_ashrrev_i32_e32 v17, 31, v11
	v_add_f32_e32 v16, 0, v10
	v_or_b32_e32 v17, 0x80000000, v17
	v_xor_b32_e32 v11, v17, v11
	v_ashrrev_i32_e32 v17, 31, v16
	v_or_b32_e32 v17, 0x80000000, v17
	v_xor_b32_e32 v16, v17, v16
	v_cmp_le_u32_e32 vcc, v11, v16
	s_andn2_b64 s[22:23], s[22:23], exec
	s_and_b64 s[24:25], vcc, exec
	s_or_b64 s[22:23], s[22:23], s[24:25]
.LBB1349_64:
	s_or_b64 exec, exec, s[16:17]
	v_cndmask_b32_e64 v11, v37, v36, s[22:23]
	v_cndmask_b32_e64 v16, v33, v32, s[22:23]
	v_add_u32_e32 v18, 1, v11
	v_add_u32_e32 v16, -1, v16
	v_min_u32_e32 v16, v18, v16
	v_lshl_add_u32 v16, v16, 2, v5
	ds_read_b32 v19, v16
	v_lshl_add_u32 v11, v11, 3, v4
	ds_read_b64 v[16:17], v11
	v_cndmask_b32_e64 v20, v18, v37, s[22:23]
	v_cndmask_b32_e64 v21, v36, v18, s[22:23]
	s_waitcnt lgkmcnt(1)
	v_cndmask_b32_e64 v11, v19, v34, s[22:23]
	v_cndmask_b32_e64 v35, v10, v19, s[22:23]
	v_cmp_lt_u32_e32 vcc, v20, v33
	s_mov_b64 s[24:25], -1
	s_mov_b64 s[16:17], -1
	s_and_saveexec_b64 s[26:27], vcc
	s_cbranch_execz .LBB1349_68
; %bb.65:
	v_cmp_lt_u32_e32 vcc, v21, v32
	s_mov_b64 s[28:29], 0
	s_and_saveexec_b64 s[16:17], vcc
	s_cbranch_execz .LBB1349_67
; %bb.66:
	v_add_f32_e32 v18, 0, v11
	v_ashrrev_i32_e32 v22, 31, v18
	v_add_f32_e32 v19, 0, v35
	v_or_b32_e32 v22, 0x80000000, v22
	v_xor_b32_e32 v18, v22, v18
	v_ashrrev_i32_e32 v22, 31, v19
	v_or_b32_e32 v22, 0x80000000, v22
	v_xor_b32_e32 v19, v22, v19
	v_cmp_le_u32_e32 vcc, v18, v19
	s_and_b64 s[28:29], vcc, exec
.LBB1349_67:
	s_or_b64 exec, exec, s[16:17]
	s_orn2_b64 s[16:17], s[28:29], exec
.LBB1349_68:
	s_or_b64 exec, exec, s[26:27]
	v_cndmask_b32_e64 v18, v20, v21, s[16:17]
	v_cndmask_b32_e64 v19, v33, v32, s[16:17]
	v_add_u32_e32 v23, 1, v18
	v_add_u32_e32 v19, -1, v19
	v_min_u32_e32 v19, v23, v19
	v_lshl_add_u32 v19, v19, 2, v5
	ds_read_b32 v22, v19
	v_lshl_add_u32 v18, v18, 3, v4
	ds_read_b64 v[18:19], v18
	s_waitcnt lgkmcnt(1)
	v_cndmask_b32_e64 v30, v22, v11, s[16:17]
	v_cndmask_b32_e64 v36, v35, v22, s[16:17]
	;; [unrolled: 1-line block ×4, first 2 shown]
	v_cmp_lt_u32_e32 vcc, v22, v33
	s_and_saveexec_b64 s[26:27], vcc
	s_cbranch_execz .LBB1349_72
; %bb.69:
	v_cmp_lt_u32_e32 vcc, v23, v32
	s_mov_b64 s[28:29], 0
	s_and_saveexec_b64 s[24:25], vcc
	s_cbranch_execz .LBB1349_71
; %bb.70:
	v_add_f32_e32 v20, 0, v30
	v_ashrrev_i32_e32 v37, 31, v20
	v_add_f32_e32 v21, 0, v36
	v_or_b32_e32 v37, 0x80000000, v37
	v_xor_b32_e32 v20, v37, v20
	v_ashrrev_i32_e32 v37, 31, v21
	v_or_b32_e32 v37, 0x80000000, v37
	v_xor_b32_e32 v21, v37, v21
	v_cmp_le_u32_e32 vcc, v20, v21
	s_and_b64 s[28:29], vcc, exec
.LBB1349_71:
	s_or_b64 exec, exec, s[24:25]
	s_orn2_b64 s[24:25], s[28:29], exec
.LBB1349_72:
	s_or_b64 exec, exec, s[26:27]
	v_cndmask_b32_e64 v20, v22, v23, s[24:25]
	v_cndmask_b32_e64 v21, v33, v32, s[24:25]
	v_add_u32_e32 v39, 1, v20
	v_add_u32_e32 v21, -1, v21
	v_min_u32_e32 v21, v39, v21
	v_lshl_add_u32 v21, v21, 2, v5
	ds_read_b32 v38, v21
	v_lshl_add_u32 v20, v20, 3, v4
	ds_read_b64 v[20:21], v20
	v_cndmask_b32_e64 v22, v39, v22, s[24:25]
	v_cndmask_b32_e64 v23, v23, v39, s[24:25]
	s_waitcnt lgkmcnt(1)
	v_cndmask_b32_e64 v37, v38, v30, s[24:25]
	v_cndmask_b32_e64 v38, v36, v38, s[24:25]
	v_cmp_lt_u32_e32 vcc, v22, v33
	s_mov_b64 s[28:29], -1
	s_and_saveexec_b64 s[26:27], vcc
	s_cbranch_execz .LBB1349_76
; %bb.73:
	v_cmp_lt_u32_e32 vcc, v23, v32
	s_mov_b64 s[40:41], 0
	s_and_saveexec_b64 s[28:29], vcc
	s_cbranch_execz .LBB1349_75
; %bb.74:
	v_add_f32_e32 v32, 0, v37
	v_ashrrev_i32_e32 v39, 31, v32
	v_add_f32_e32 v33, 0, v38
	v_or_b32_e32 v39, 0x80000000, v39
	v_xor_b32_e32 v32, v39, v32
	v_ashrrev_i32_e32 v39, 31, v33
	v_or_b32_e32 v39, 0x80000000, v39
	v_xor_b32_e32 v33, v39, v33
	v_cmp_le_u32_e32 vcc, v32, v33
	s_and_b64 s[40:41], vcc, exec
.LBB1349_75:
	s_or_b64 exec, exec, s[28:29]
	s_orn2_b64 s[28:29], s[40:41], exec
.LBB1349_76:
	s_or_b64 exec, exec, s[26:27]
	v_cndmask_b32_e64 v22, v22, v23, s[28:29]
	v_lshl_add_u32 v22, v22, 3, v4
	ds_read_b64 v[22:23], v22
	v_cndmask_b32_e64 v30, v30, v36, s[24:25]
	v_cndmask_b32_e64 v11, v11, v35, s[16:17]
	;; [unrolled: 1-line block ×4, first 2 shown]
.LBB1349_77:
	s_or_b64 exec, exec, s[20:21]
	; wave barrier
	ds_write_b32 v15, v52
	ds_write_b64 v24, v[16:17]
	ds_write_b32 v25, v11
	ds_write_b64 v26, v[18:19]
	ds_write_b32 v27, v30
	s_waitcnt lgkmcnt(6)
	ds_write_b64 v28, v[20:21]
	ds_write_b32 v29, v10
	s_waitcnt lgkmcnt(7)
	ds_write_b64 v31, v[22:23]
	v_and_b32_e32 v25, 0x1e0, v51
	v_or_b32_e32 v15, 16, v25
	v_min_u32_e32 v15, v7, v15
	v_add_u32_e32 v24, 16, v15
	v_min_u32_e32 v24, v7, v24
	v_min_u32_e32 v7, v7, v12
	v_sub_u32_e32 v26, v15, v25
	v_sub_u32_e32 v27, v24, v15
	v_sub_u32_e64 v27, v7, v27 clamp
	v_min_u32_e32 v26, v7, v26
	v_cmp_lt_u32_e32 vcc, v27, v26
	; wave barrier
	s_and_saveexec_b64 s[16:17], vcc
	s_cbranch_execz .LBB1349_81
; %bb.78:
	v_lshlrev_b32_e32 v28, 2, v25
	v_lshlrev_b32_e32 v29, 2, v15
	v_add_co_u32_e32 v28, vcc, v5, v28
	v_add_co_u32_e32 v29, vcc, v5, v29
	s_mov_b64 s[20:21], 0
.LBB1349_79:                            ; =>This Inner Loop Header: Depth=1
	v_add_u32_e32 v31, v26, v27
	v_lshrrev_b32_e32 v31, 1, v31
	v_xad_u32 v32, v31, -1, v7
	v_lshl_add_u32 v33, v31, 2, v28
	v_lshl_add_u32 v32, v32, 2, v29
	ds_read_b32 v33, v33
	ds_read_b32 v32, v32
	v_add_u32_e32 v34, 1, v31
	s_waitcnt lgkmcnt(1)
	v_add_f32_e32 v33, 0, v33
	s_waitcnt lgkmcnt(0)
	v_add_f32_e32 v32, 0, v32
	v_ashrrev_i32_e32 v35, 31, v33
	v_ashrrev_i32_e32 v36, 31, v32
	v_or_b32_e32 v35, 0x80000000, v35
	v_or_b32_e32 v36, 0x80000000, v36
	v_xor_b32_e32 v33, v35, v33
	v_xor_b32_e32 v32, v36, v32
	v_cmp_gt_u32_e32 vcc, v32, v33
	v_cndmask_b32_e32 v26, v26, v31, vcc
	v_cndmask_b32_e32 v27, v34, v27, vcc
	v_cmp_ge_u32_e32 vcc, v27, v26
	s_or_b64 s[20:21], vcc, s[20:21]
	s_andn2_b64 exec, exec, s[20:21]
	s_cbranch_execnz .LBB1349_79
; %bb.80:
	s_or_b64 exec, exec, s[20:21]
.LBB1349_81:
	s_or_b64 exec, exec, s[16:17]
	v_add_u32_e32 v7, v15, v7
	v_add_u32_e32 v26, v27, v25
	v_sub_u32_e32 v27, v7, v27
	v_cmp_le_u32_e32 vcc, v26, v15
	v_cmp_le_u32_e64 s[16:17], v27, v24
	s_or_b64 s[16:17], vcc, s[16:17]
	s_and_saveexec_b64 s[20:21], s[16:17]
	s_cbranch_execz .LBB1349_101
; %bb.82:
	v_cmp_ge_u32_e32 vcc, v26, v15
	v_cmp_lt_u32_e64 s[16:17], v26, v15
                                        ; implicit-def: $vgpr7
	s_and_saveexec_b64 s[22:23], s[16:17]
; %bb.83:
	v_lshl_add_u32 v7, v26, 2, v5
	ds_read_b32 v7, v7
; %bb.84:
	s_or_b64 exec, exec, s[22:23]
	v_cmp_ge_u32_e64 s[22:23], v27, v24
	v_cmp_lt_u32_e64 s[16:17], v27, v24
                                        ; implicit-def: $vgpr10
	s_and_saveexec_b64 s[24:25], s[16:17]
; %bb.85:
	v_lshl_add_u32 v10, v27, 2, v5
	ds_read_b32 v10, v10
; %bb.86:
	s_or_b64 exec, exec, s[24:25]
	s_nor_b64 s[24:25], vcc, s[22:23]
	s_and_saveexec_b64 s[16:17], s[24:25]
	s_cbranch_execz .LBB1349_88
; %bb.87:
	s_waitcnt lgkmcnt(0)
	v_add_f32_e32 v11, 0, v10
	v_ashrrev_i32_e32 v17, 31, v11
	v_add_f32_e32 v16, 0, v7
	v_or_b32_e32 v17, 0x80000000, v17
	v_xor_b32_e32 v11, v17, v11
	v_ashrrev_i32_e32 v17, 31, v16
	v_or_b32_e32 v17, 0x80000000, v17
	v_xor_b32_e32 v16, v17, v16
	v_cmp_le_u32_e32 vcc, v11, v16
	s_andn2_b64 s[22:23], s[22:23], exec
	s_and_b64 s[24:25], vcc, exec
	s_or_b64 s[22:23], s[22:23], s[24:25]
.LBB1349_88:
	s_or_b64 exec, exec, s[16:17]
	v_cndmask_b32_e64 v11, v27, v26, s[22:23]
	v_cndmask_b32_e64 v16, v24, v15, s[22:23]
	v_add_u32_e32 v18, 1, v11
	v_add_u32_e32 v16, -1, v16
	v_min_u32_e32 v16, v18, v16
	v_lshl_add_u32 v16, v16, 2, v5
	ds_read_b32 v19, v16
	v_lshl_add_u32 v11, v11, 3, v4
	ds_read_b64 v[16:17], v11
	v_cndmask_b32_e64 v20, v18, v27, s[22:23]
	v_cndmask_b32_e64 v21, v26, v18, s[22:23]
	s_waitcnt lgkmcnt(1)
	v_cndmask_b32_e64 v11, v19, v10, s[22:23]
	v_cndmask_b32_e64 v25, v7, v19, s[22:23]
	v_cmp_lt_u32_e32 vcc, v20, v24
	s_mov_b64 s[24:25], -1
	s_mov_b64 s[16:17], -1
	s_and_saveexec_b64 s[26:27], vcc
	s_cbranch_execz .LBB1349_92
; %bb.89:
	v_cmp_lt_u32_e32 vcc, v21, v15
	s_mov_b64 s[28:29], 0
	s_and_saveexec_b64 s[16:17], vcc
	s_cbranch_execz .LBB1349_91
; %bb.90:
	v_add_f32_e32 v18, 0, v11
	v_ashrrev_i32_e32 v22, 31, v18
	v_add_f32_e32 v19, 0, v25
	v_or_b32_e32 v22, 0x80000000, v22
	v_xor_b32_e32 v18, v22, v18
	v_ashrrev_i32_e32 v22, 31, v19
	v_or_b32_e32 v22, 0x80000000, v22
	v_xor_b32_e32 v19, v22, v19
	v_cmp_le_u32_e32 vcc, v18, v19
	s_and_b64 s[28:29], vcc, exec
.LBB1349_91:
	s_or_b64 exec, exec, s[16:17]
	s_orn2_b64 s[16:17], s[28:29], exec
.LBB1349_92:
	s_or_b64 exec, exec, s[26:27]
	v_cndmask_b32_e64 v18, v20, v21, s[16:17]
	v_cndmask_b32_e64 v19, v24, v15, s[16:17]
	v_add_u32_e32 v23, 1, v18
	v_add_u32_e32 v19, -1, v19
	v_min_u32_e32 v19, v23, v19
	v_lshl_add_u32 v19, v19, 2, v5
	ds_read_b32 v22, v19
	v_lshl_add_u32 v18, v18, 3, v4
	ds_read_b64 v[18:19], v18
	s_waitcnt lgkmcnt(1)
	v_cndmask_b32_e64 v26, v22, v11, s[16:17]
	v_cndmask_b32_e64 v27, v25, v22, s[16:17]
	;; [unrolled: 1-line block ×4, first 2 shown]
	v_cmp_lt_u32_e32 vcc, v22, v24
	s_and_saveexec_b64 s[26:27], vcc
	s_cbranch_execz .LBB1349_96
; %bb.93:
	v_cmp_lt_u32_e32 vcc, v23, v15
	s_mov_b64 s[28:29], 0
	s_and_saveexec_b64 s[24:25], vcc
	s_cbranch_execz .LBB1349_95
; %bb.94:
	v_add_f32_e32 v20, 0, v26
	v_ashrrev_i32_e32 v28, 31, v20
	v_add_f32_e32 v21, 0, v27
	v_or_b32_e32 v28, 0x80000000, v28
	v_xor_b32_e32 v20, v28, v20
	v_ashrrev_i32_e32 v28, 31, v21
	v_or_b32_e32 v28, 0x80000000, v28
	v_xor_b32_e32 v21, v28, v21
	v_cmp_le_u32_e32 vcc, v20, v21
	s_and_b64 s[28:29], vcc, exec
.LBB1349_95:
	s_or_b64 exec, exec, s[24:25]
	s_orn2_b64 s[24:25], s[28:29], exec
.LBB1349_96:
	s_or_b64 exec, exec, s[26:27]
	v_cndmask_b32_e64 v20, v22, v23, s[24:25]
	v_cndmask_b32_e64 v21, v24, v15, s[24:25]
	v_add_u32_e32 v29, 1, v20
	v_add_u32_e32 v21, -1, v21
	v_min_u32_e32 v21, v29, v21
	v_lshl_add_u32 v5, v21, 2, v5
	ds_read_b32 v28, v5
	v_lshl_add_u32 v5, v20, 3, v4
	ds_read_b64 v[20:21], v5
	v_cndmask_b32_e64 v22, v29, v22, s[24:25]
	v_cndmask_b32_e64 v23, v23, v29, s[24:25]
	s_waitcnt lgkmcnt(1)
	v_cndmask_b32_e64 v5, v28, v26, s[24:25]
	v_cndmask_b32_e64 v28, v27, v28, s[24:25]
	v_cmp_lt_u32_e32 vcc, v22, v24
	s_mov_b64 s[28:29], -1
	s_and_saveexec_b64 s[26:27], vcc
	s_cbranch_execz .LBB1349_100
; %bb.97:
	v_cmp_lt_u32_e32 vcc, v23, v15
	s_mov_b64 s[40:41], 0
	s_and_saveexec_b64 s[28:29], vcc
	s_cbranch_execz .LBB1349_99
; %bb.98:
	v_add_f32_e32 v15, 0, v5
	v_ashrrev_i32_e32 v29, 31, v15
	v_add_f32_e32 v24, 0, v28
	v_or_b32_e32 v29, 0x80000000, v29
	v_xor_b32_e32 v15, v29, v15
	v_ashrrev_i32_e32 v29, 31, v24
	v_or_b32_e32 v29, 0x80000000, v29
	v_xor_b32_e32 v24, v29, v24
	v_cmp_le_u32_e32 vcc, v15, v24
	s_and_b64 s[40:41], vcc, exec
.LBB1349_99:
	s_or_b64 exec, exec, s[28:29]
	s_orn2_b64 s[28:29], s[40:41], exec
.LBB1349_100:
	s_or_b64 exec, exec, s[26:27]
	v_cndmask_b32_e64 v15, v22, v23, s[28:29]
	v_lshl_add_u32 v4, v15, 3, v4
	ds_read_b64 v[22:23], v4
	v_cndmask_b32_e64 v30, v26, v27, s[24:25]
	v_cndmask_b32_e64 v11, v11, v25, s[16:17]
	;; [unrolled: 1-line block ×4, first 2 shown]
.LBB1349_101:
	s_or_b64 exec, exec, s[20:21]
	v_add_co_u32_e32 v2, vcc, v2, v48
	v_addc_co_u32_e32 v3, vcc, v3, v49, vcc
	v_add_co_u32_e32 v2, vcc, v2, v50
	v_addc_co_u32_e32 v3, vcc, 0, v3, vcc
	; wave barrier
	s_waitcnt lgkmcnt(0)
	s_barrier
	; wave barrier
	s_and_saveexec_b64 s[16:17], s[4:5]
	s_cbranch_execnz .LBB1349_222
; %bb.102:
	s_or_b64 exec, exec, s[16:17]
	s_and_saveexec_b64 s[16:17], s[6:7]
	s_cbranch_execnz .LBB1349_223
.LBB1349_103:
	s_or_b64 exec, exec, s[16:17]
	s_and_saveexec_b64 s[16:17], s[10:11]
	s_cbranch_execnz .LBB1349_224
.LBB1349_104:
	s_or_b64 exec, exec, s[16:17]
	s_and_saveexec_b64 s[16:17], s[14:15]
	s_cbranch_execz .LBB1349_106
.LBB1349_105:
	flat_store_dword v[2:3], v10 offset:12
.LBB1349_106:
	s_or_b64 exec, exec, s[16:17]
	v_add_co_u32_e32 v0, vcc, v8, v0
	v_addc_co_u32_e32 v1, vcc, v9, v1, vcc
	v_add_co_u32_e32 v0, vcc, v0, v6
	v_addc_co_u32_e32 v1, vcc, 0, v1, vcc
	; wave barrier
	s_and_saveexec_b64 s[16:17], s[4:5]
	s_cbranch_execnz .LBB1349_225
; %bb.107:
	s_or_b64 exec, exec, s[16:17]
	s_and_saveexec_b64 s[16:17], s[6:7]
	s_cbranch_execnz .LBB1349_226
.LBB1349_108:
	s_or_b64 exec, exec, s[16:17]
	s_and_saveexec_b64 s[6:7], s[10:11]
	s_cbranch_execz .LBB1349_110
.LBB1349_109:
	flat_store_dwordx2 v[0:1], v[20:21] offset:16
.LBB1349_110:
	s_or_b64 exec, exec, s[6:7]
	s_and_b64 s[16:17], s[14:15], exec
                                        ; implicit-def: $vgpr24
                                        ; implicit-def: $vgpr51
                                        ; implicit-def: $vgpr0_vgpr1
                                        ; implicit-def: $vgpr4
                                        ; implicit-def: $vgpr5
                                        ; implicit-def: $vgpr6
                                        ; implicit-def: $vgpr7
                                        ; implicit-def: $vgpr10
                                        ; implicit-def: $vgpr15
                                        ; implicit-def: $vgpr48_vgpr49
                                        ; implicit-def: $vgpr50
                                        ; implicit-def: $vgpr31
	s_andn2_saveexec_b64 s[18:19], s[18:19]
	s_cbranch_execz .LBB1349_2
.LBB1349_111:
	v_mov_b32_e32 v9, -1
	v_mov_b32_e32 v52, -1
	s_and_saveexec_b64 s[6:7], s[4:5]
	s_cbranch_execz .LBB1349_113
; %bb.112:
	flat_load_dword v52, v[0:1]
.LBB1349_113:
	s_or_b64 exec, exec, s[6:7]
	v_or_b32_e32 v2, 1, v12
	v_cmp_lt_u32_e64 s[6:7], v2, v24
	s_and_saveexec_b64 s[10:11], s[6:7]
	s_cbranch_execz .LBB1349_115
; %bb.114:
	flat_load_dword v9, v[0:1] offset:4
.LBB1349_115:
	s_or_b64 exec, exec, s[10:11]
	v_or_b32_e32 v2, 2, v12
	v_cmp_lt_u32_e64 s[10:11], v2, v24
	v_mov_b32_e32 v8, -1
	v_mov_b32_e32 v30, -1
	s_and_saveexec_b64 s[14:15], s[10:11]
	s_cbranch_execz .LBB1349_117
; %bb.116:
	flat_load_dword v30, v[0:1] offset:8
.LBB1349_117:
	s_or_b64 exec, exec, s[14:15]
	v_or_b32_e32 v2, 3, v12
	v_cmp_lt_u32_e64 s[14:15], v2, v24
	s_and_saveexec_b64 s[20:21], s[14:15]
	s_cbranch_execz .LBB1349_119
; %bb.118:
	flat_load_dword v8, v[0:1] offset:12
.LBB1349_119:
	s_or_b64 exec, exec, s[20:21]
	v_lshlrev_b64 v[0:1], 3, v[13:14]
	v_mov_b32_e32 v16, 0
	v_add_co_u32_e32 v2, vcc, v6, v0
	v_addc_co_u32_e32 v3, vcc, v7, v1, vcc
	v_lshlrev_b32_e32 v6, 3, v12
	v_add_co_u32_e32 v2, vcc, v2, v6
	v_addc_co_u32_e32 v3, vcc, 0, v3, vcc
	v_mov_b32_e32 v17, v16
	v_mov_b32_e32 v18, v16
	;; [unrolled: 1-line block ×7, first 2 shown]
	; wave barrier
	s_and_saveexec_b64 s[20:21], s[4:5]
	s_cbranch_execnz .LBB1349_227
; %bb.120:
	s_or_b64 exec, exec, s[20:21]
	s_and_saveexec_b64 s[20:21], s[6:7]
	s_cbranch_execnz .LBB1349_228
.LBB1349_121:
	s_or_b64 exec, exec, s[20:21]
	s_and_saveexec_b64 s[20:21], s[10:11]
	s_cbranch_execnz .LBB1349_229
.LBB1349_122:
	s_or_b64 exec, exec, s[20:21]
	s_and_saveexec_b64 s[20:21], s[14:15]
	s_cbranch_execz .LBB1349_124
.LBB1349_123:
	flat_load_dwordx2 v[22:23], v[2:3] offset:24
.LBB1349_124:
	s_or_b64 exec, exec, s[20:21]
	; wave barrier
	s_load_dwordx2 s[20:21], s[8:9], 0x0
	v_mov_b32_e32 v2, 0
	v_bfe_u32 v24, v31, 20, 10
	s_waitcnt lgkmcnt(0)
	s_cmp_lt_u32 s13, s21
	s_cselect_b32 s13, 14, 20
	s_add_u32 s22, s8, s13
	s_addc_u32 s23, s9, 0
	s_cmp_lt_u32 s12, s20
	s_cselect_b32 s12, 12, 18
	s_add_u32 s8, s8, s12
	s_addc_u32 s9, s9, 0
	global_load_ushort v3, v2, s[22:23]
	global_load_ushort v7, v2, s[8:9]
	v_bfe_u32 v2, v31, 10, 10
	s_movk_i32 s8, 0x400
	s_waitcnt vmcnt(0)
	v_mad_u32_u24 v2, v24, v3, v2
	v_mul_lo_u32 v2, v2, v7
	v_and_b32_e32 v3, 0x3ff, v31
	v_add_lshl_u32 v2, v2, v3, 2
	v_cmp_gt_u32_e32 vcc, s8, v2
	s_and_saveexec_b64 s[12:13], vcc
	s_cbranch_execz .LBB1349_136
; %bb.125:
	v_add_f32_e32 v3, 0, v9
	v_ashrrev_i32_e32 v24, 31, v3
	v_add_f32_e32 v7, 0, v52
	v_or_b32_e32 v24, 0x80000000, v24
	v_xor_b32_e32 v3, v24, v3
	v_ashrrev_i32_e32 v24, 31, v7
	v_or_b32_e32 v24, 0x80000000, v24
	v_xor_b32_e32 v7, v24, v7
	v_cmp_gt_u32_e32 vcc, v3, v7
	v_add_f32_e32 v3, 0, v8
	v_ashrrev_i32_e32 v7, 31, v3
	v_cndmask_b32_e32 v26, v18, v16, vcc
	v_cndmask_b32_e32 v24, v16, v18, vcc
	v_add_f32_e32 v16, 0, v30
	v_or_b32_e32 v7, 0x80000000, v7
	v_xor_b32_e32 v7, v7, v3
	v_ashrrev_i32_e32 v3, 31, v16
	v_or_b32_e32 v3, 0x80000000, v3
	v_xor_b32_e32 v16, v3, v16
	v_mov_b32_e32 v29, v21
	v_cndmask_b32_e32 v27, v19, v17, vcc
	v_cndmask_b32_e32 v25, v17, v19, vcc
	v_cmp_gt_u32_e64 s[8:9], v7, v16
	v_mov_b32_e32 v3, v30
	v_mov_b32_e32 v28, v20
	s_and_saveexec_b64 s[20:21], s[8:9]
; %bb.126:
	v_mov_b32_e32 v29, v23
	v_mov_b32_e32 v28, v22
	;; [unrolled: 1-line block ×7, first 2 shown]
; %bb.127:
	s_or_b64 exec, exec, s[20:21]
	v_cndmask_b32_e32 v17, v9, v52, vcc
	v_add_f32_e32 v7, 0, v17
	v_ashrrev_i32_e32 v18, 31, v7
	v_or_b32_e32 v18, 0x80000000, v18
	v_mov_b32_e32 v30, v22
	v_xor_b32_e32 v18, v18, v7
	v_mov_b32_e32 v39, v31
	v_cmp_le_u32_e64 s[8:9], v16, v18
	v_mov_b32_e32 v33, v25
	v_mov_b32_e32 v32, v24
                                        ; implicit-def: $vgpr53
	v_mov_b32_e32 v38, v30
	v_mov_b32_e32 v37, v29
	;; [unrolled: 1-line block ×5, first 2 shown]
	s_and_saveexec_b64 s[20:21], s[8:9]
	s_xor_b64 s[8:9], exec, s[20:21]
; %bb.128:
	v_add_f32_e32 v7, 0, v3
	v_ashrrev_i32_e32 v16, 31, v7
	v_or_b32_e32 v16, 0x80000000, v16
	v_xor_b32_e32 v53, v16, v7
                                        ; implicit-def: $vgpr32_vgpr33_vgpr34_vgpr35_vgpr36_vgpr37_vgpr38_vgpr39
                                        ; implicit-def: $vgpr16
; %bb.129:
	s_or_saveexec_b64 s[8:9], s[8:9]
	v_mov_b32_e32 v31, v23
	v_mov_b32_e32 v7, v17
	s_xor_b64 exec, exec, s[8:9]
	s_cbranch_execz .LBB1349_131
; %bb.130:
	v_mov_b32_e32 v34, v28
	v_mov_b32_e32 v35, v29
	;; [unrolled: 1-line block ×18, first 2 shown]
.LBB1349_131:
	s_or_b64 exec, exec, s[8:9]
	v_cndmask_b32_e32 v32, v52, v9, vcc
	v_add_f32_e32 v9, 0, v32
	v_ashrrev_i32_e32 v16, 31, v9
	v_or_b32_e32 v16, 0x80000000, v16
	v_xor_b32_e32 v9, v16, v9
	v_cmp_gt_u32_e32 vcc, v18, v9
	v_add_f32_e32 v9, 0, v8
	v_cndmask_b32_e32 v18, v26, v24, vcc
	v_cndmask_b32_e32 v16, v24, v26, vcc
	v_ashrrev_i32_e32 v24, 31, v9
	v_or_b32_e32 v24, 0x80000000, v24
	v_xor_b32_e32 v9, v24, v9
	v_cndmask_b32_e32 v19, v27, v25, vcc
	v_cndmask_b32_e32 v17, v25, v27, vcc
	v_mov_b32_e32 v20, v28
	v_mov_b32_e32 v21, v29
	;; [unrolled: 1-line block ×4, first 2 shown]
	v_cmp_gt_u32_e64 s[8:9], v9, v53
	v_mov_b32_e32 v24, v3
	s_and_saveexec_b64 s[20:21], s[8:9]
; %bb.132:
	v_mov_b32_e32 v20, v30
	v_mov_b32_e32 v21, v31
	;; [unrolled: 1-line block ×7, first 2 shown]
; %bb.133:
	s_or_b64 exec, exec, s[20:21]
	v_cndmask_b32_e32 v9, v7, v32, vcc
	v_add_f32_e32 v3, 0, v9
	v_ashrrev_i32_e32 v25, 31, v3
	v_or_b32_e32 v25, 0x80000000, v25
	v_xor_b32_e32 v3, v25, v3
	v_cmp_gt_u32_e64 s[8:9], v53, v3
	v_mov_b32_e32 v30, v24
	s_and_saveexec_b64 s[20:21], s[8:9]
	s_cbranch_execz .LBB1349_135
; %bb.134:
	v_mov_b32_e32 v64, v16
	v_mov_b32_e32 v65, v17
	;; [unrolled: 1-line block ×18, first 2 shown]
.LBB1349_135:
	s_or_b64 exec, exec, s[20:21]
	v_cndmask_b32_e32 v52, v32, v7, vcc
.LBB1349_136:
	s_or_b64 exec, exec, s[12:13]
	v_and_b32_e32 v24, 0xffffff00, v2
	s_movk_i32 s8, 0x400
	v_mov_b32_e32 v25, 0
	v_sub_u32_e64 v7, s8, v24 clamp
	v_lshlrev_b64 v[2:3], 2, v[24:25]
	v_lshlrev_b64 v[24:25], 3, v[24:25]
	v_or_b32_e32 v25, 4, v51
	v_min_u32_e32 v32, v7, v25
	v_add_u32_e32 v25, 4, v32
	v_and_b32_e32 v34, 0x1f8, v51
	v_min_u32_e32 v33, v7, v25
	v_and_b32_e32 v25, 4, v51
	v_add_co_u32_e32 v3, vcc, v15, v2
	v_add_co_u32_e32 v2, vcc, v15, v24
	v_min_u32_e32 v35, v7, v25
	v_sub_u32_e32 v25, v32, v34
	v_sub_u32_e32 v26, v33, v32
	v_add_co_u32_e32 v2, vcc, 0x1000, v2
	v_sub_u32_e64 v37, v35, v26 clamp
	v_min_u32_e32 v25, v35, v25
	v_lshl_add_u32 v15, v51, 2, v3
	v_lshl_add_u32 v24, v51, 3, v2
	v_cmp_lt_u32_e32 vcc, v37, v25
	ds_write2_b32 v15, v52, v9 offset1:1
	ds_write2_b64 v24, v[16:17], v[18:19] offset1:1
	ds_write2_b32 v15, v30, v8 offset0:2 offset1:3
	ds_write2_b64 v24, v[20:21], v[22:23] offset0:2 offset1:3
	; wave barrier
	s_and_saveexec_b64 s[8:9], vcc
	s_cbranch_execz .LBB1349_140
; %bb.137:
	v_lshlrev_b32_e32 v26, 2, v34
	v_lshlrev_b32_e32 v27, 2, v32
	v_add_co_u32_e32 v26, vcc, v3, v26
	v_add_co_u32_e32 v27, vcc, v3, v27
	s_mov_b64 s[12:13], 0
.LBB1349_138:                           ; =>This Inner Loop Header: Depth=1
	v_add_u32_e32 v28, v25, v37
	v_lshrrev_b32_e32 v28, 1, v28
	v_xad_u32 v29, v28, -1, v35
	v_lshl_add_u32 v31, v28, 2, v26
	v_lshl_add_u32 v29, v29, 2, v27
	ds_read_b32 v31, v31
	ds_read_b32 v29, v29
	v_add_u32_e32 v36, 1, v28
	s_waitcnt lgkmcnt(1)
	v_add_f32_e32 v31, 0, v31
	s_waitcnt lgkmcnt(0)
	v_add_f32_e32 v29, 0, v29
	v_ashrrev_i32_e32 v38, 31, v31
	v_ashrrev_i32_e32 v39, 31, v29
	v_or_b32_e32 v38, 0x80000000, v38
	v_or_b32_e32 v39, 0x80000000, v39
	v_xor_b32_e32 v31, v38, v31
	v_xor_b32_e32 v29, v39, v29
	v_cmp_gt_u32_e32 vcc, v29, v31
	v_cndmask_b32_e32 v25, v25, v28, vcc
	v_cndmask_b32_e32 v37, v36, v37, vcc
	v_cmp_ge_u32_e32 vcc, v37, v25
	s_or_b64 s[12:13], vcc, s[12:13]
	s_andn2_b64 exec, exec, s[12:13]
	s_cbranch_execnz .LBB1349_138
; %bb.139:
	s_or_b64 exec, exec, s[12:13]
.LBB1349_140:
	s_or_b64 exec, exec, s[8:9]
	v_add_u32_e32 v36, v37, v34
	v_add_u32_e32 v34, v32, v35
	v_sub_u32_e32 v37, v34, v37
	v_cmp_le_u32_e32 vcc, v36, v32
	v_cmp_le_u32_e64 s[8:9], v37, v33
	v_add_u32_e32 v25, 4, v15
	v_add_u32_e32 v26, 8, v24
	;; [unrolled: 1-line block ×6, first 2 shown]
	s_or_b64 s[8:9], vcc, s[8:9]
	s_and_saveexec_b64 s[12:13], s[8:9]
	s_cbranch_execz .LBB1349_160
; %bb.141:
	v_cmp_ge_u32_e32 vcc, v36, v32
	v_cmp_lt_u32_e64 s[8:9], v36, v32
                                        ; implicit-def: $vgpr8
	s_and_saveexec_b64 s[20:21], s[8:9]
; %bb.142:
	v_lshl_add_u32 v8, v36, 2, v3
	ds_read_b32 v8, v8
; %bb.143:
	s_or_b64 exec, exec, s[20:21]
	v_cmp_ge_u32_e64 s[20:21], v37, v33
	v_cmp_lt_u32_e64 s[8:9], v37, v33
                                        ; implicit-def: $vgpr34
	s_and_saveexec_b64 s[22:23], s[8:9]
; %bb.144:
	v_lshl_add_u32 v9, v37, 2, v3
	ds_read_b32 v34, v9
; %bb.145:
	s_or_b64 exec, exec, s[22:23]
	s_nor_b64 s[22:23], vcc, s[20:21]
	s_and_saveexec_b64 s[8:9], s[22:23]
	s_cbranch_execz .LBB1349_147
; %bb.146:
	s_waitcnt lgkmcnt(0)
	v_add_f32_e32 v9, 0, v34
	v_ashrrev_i32_e32 v17, 31, v9
	v_add_f32_e32 v16, 0, v8
	v_or_b32_e32 v17, 0x80000000, v17
	v_xor_b32_e32 v9, v17, v9
	v_ashrrev_i32_e32 v17, 31, v16
	v_or_b32_e32 v17, 0x80000000, v17
	v_xor_b32_e32 v16, v17, v16
	v_cmp_le_u32_e32 vcc, v9, v16
	s_andn2_b64 s[20:21], s[20:21], exec
	s_and_b64 s[22:23], vcc, exec
	s_or_b64 s[20:21], s[20:21], s[22:23]
.LBB1349_147:
	s_or_b64 exec, exec, s[8:9]
	v_cndmask_b32_e64 v9, v37, v36, s[20:21]
	v_cndmask_b32_e64 v16, v33, v32, s[20:21]
	v_add_u32_e32 v18, 1, v9
	v_add_u32_e32 v16, -1, v16
	v_min_u32_e32 v16, v18, v16
	v_lshl_add_u32 v16, v16, 2, v3
	ds_read_b32 v19, v16
	v_lshl_add_u32 v9, v9, 3, v2
	ds_read_b64 v[16:17], v9
	v_cndmask_b32_e64 v20, v18, v37, s[20:21]
	v_cndmask_b32_e64 v21, v36, v18, s[20:21]
	s_waitcnt lgkmcnt(1)
	v_cndmask_b32_e64 v9, v19, v34, s[20:21]
	v_cndmask_b32_e64 v35, v8, v19, s[20:21]
	v_cmp_lt_u32_e32 vcc, v20, v33
	s_mov_b64 s[22:23], -1
	s_mov_b64 s[8:9], -1
	s_and_saveexec_b64 s[24:25], vcc
	s_cbranch_execz .LBB1349_151
; %bb.148:
	v_cmp_lt_u32_e32 vcc, v21, v32
	s_mov_b64 s[26:27], 0
	s_and_saveexec_b64 s[8:9], vcc
	s_cbranch_execz .LBB1349_150
; %bb.149:
	v_add_f32_e32 v18, 0, v9
	v_ashrrev_i32_e32 v22, 31, v18
	v_add_f32_e32 v19, 0, v35
	v_or_b32_e32 v22, 0x80000000, v22
	v_xor_b32_e32 v18, v22, v18
	v_ashrrev_i32_e32 v22, 31, v19
	v_or_b32_e32 v22, 0x80000000, v22
	v_xor_b32_e32 v19, v22, v19
	v_cmp_le_u32_e32 vcc, v18, v19
	s_and_b64 s[26:27], vcc, exec
.LBB1349_150:
	s_or_b64 exec, exec, s[8:9]
	s_orn2_b64 s[8:9], s[26:27], exec
.LBB1349_151:
	s_or_b64 exec, exec, s[24:25]
	v_cndmask_b32_e64 v18, v20, v21, s[8:9]
	v_cndmask_b32_e64 v19, v33, v32, s[8:9]
	v_add_u32_e32 v23, 1, v18
	v_add_u32_e32 v19, -1, v19
	v_min_u32_e32 v19, v23, v19
	v_lshl_add_u32 v19, v19, 2, v3
	ds_read_b32 v22, v19
	v_lshl_add_u32 v18, v18, 3, v2
	ds_read_b64 v[18:19], v18
	s_waitcnt lgkmcnt(1)
	v_cndmask_b32_e64 v30, v22, v9, s[8:9]
	v_cndmask_b32_e64 v36, v35, v22, s[8:9]
	;; [unrolled: 1-line block ×4, first 2 shown]
	v_cmp_lt_u32_e32 vcc, v22, v33
	s_and_saveexec_b64 s[24:25], vcc
	s_cbranch_execz .LBB1349_155
; %bb.152:
	v_cmp_lt_u32_e32 vcc, v23, v32
	s_mov_b64 s[26:27], 0
	s_and_saveexec_b64 s[22:23], vcc
	s_cbranch_execz .LBB1349_154
; %bb.153:
	v_add_f32_e32 v20, 0, v30
	v_ashrrev_i32_e32 v37, 31, v20
	v_add_f32_e32 v21, 0, v36
	v_or_b32_e32 v37, 0x80000000, v37
	v_xor_b32_e32 v20, v37, v20
	v_ashrrev_i32_e32 v37, 31, v21
	v_or_b32_e32 v37, 0x80000000, v37
	v_xor_b32_e32 v21, v37, v21
	v_cmp_le_u32_e32 vcc, v20, v21
	s_and_b64 s[26:27], vcc, exec
.LBB1349_154:
	s_or_b64 exec, exec, s[22:23]
	s_orn2_b64 s[22:23], s[26:27], exec
.LBB1349_155:
	s_or_b64 exec, exec, s[24:25]
	v_cndmask_b32_e64 v20, v22, v23, s[22:23]
	v_cndmask_b32_e64 v21, v33, v32, s[22:23]
	v_add_u32_e32 v39, 1, v20
	v_add_u32_e32 v21, -1, v21
	v_min_u32_e32 v21, v39, v21
	v_lshl_add_u32 v21, v21, 2, v3
	ds_read_b32 v38, v21
	v_lshl_add_u32 v20, v20, 3, v2
	ds_read_b64 v[20:21], v20
	v_cndmask_b32_e64 v22, v39, v22, s[22:23]
	v_cndmask_b32_e64 v23, v23, v39, s[22:23]
	s_waitcnt lgkmcnt(1)
	v_cndmask_b32_e64 v37, v38, v30, s[22:23]
	v_cndmask_b32_e64 v38, v36, v38, s[22:23]
	v_cmp_lt_u32_e32 vcc, v22, v33
	s_mov_b64 s[26:27], -1
	s_and_saveexec_b64 s[24:25], vcc
	s_cbranch_execz .LBB1349_159
; %bb.156:
	v_cmp_lt_u32_e32 vcc, v23, v32
	s_mov_b64 s[28:29], 0
	s_and_saveexec_b64 s[26:27], vcc
	s_cbranch_execz .LBB1349_158
; %bb.157:
	v_add_f32_e32 v32, 0, v37
	v_ashrrev_i32_e32 v39, 31, v32
	v_add_f32_e32 v33, 0, v38
	v_or_b32_e32 v39, 0x80000000, v39
	v_xor_b32_e32 v32, v39, v32
	v_ashrrev_i32_e32 v39, 31, v33
	v_or_b32_e32 v39, 0x80000000, v39
	v_xor_b32_e32 v33, v39, v33
	v_cmp_le_u32_e32 vcc, v32, v33
	s_and_b64 s[28:29], vcc, exec
.LBB1349_158:
	s_or_b64 exec, exec, s[26:27]
	s_orn2_b64 s[26:27], s[28:29], exec
.LBB1349_159:
	s_or_b64 exec, exec, s[24:25]
	v_cndmask_b32_e64 v22, v22, v23, s[26:27]
	v_lshl_add_u32 v22, v22, 3, v2
	ds_read_b64 v[22:23], v22
	v_cndmask_b32_e64 v30, v30, v36, s[22:23]
	v_cndmask_b32_e64 v9, v9, v35, s[8:9]
	;; [unrolled: 1-line block ×4, first 2 shown]
.LBB1349_160:
	s_or_b64 exec, exec, s[12:13]
	v_and_b32_e32 v34, 0x1f0, v51
	v_or_b32_e32 v32, 8, v34
	v_min_u32_e32 v32, v7, v32
	v_add_u32_e32 v33, 8, v32
	v_min_u32_e32 v33, v7, v33
	v_and_b32_e32 v35, 12, v51
	v_min_u32_e32 v35, v7, v35
	v_sub_u32_e32 v36, v32, v34
	v_sub_u32_e32 v37, v33, v32
	v_sub_u32_e64 v37, v35, v37 clamp
	v_min_u32_e32 v36, v35, v36
	v_cmp_lt_u32_e32 vcc, v37, v36
	; wave barrier
	ds_write_b32 v15, v52
	ds_write_b64 v24, v[16:17]
	ds_write_b32 v25, v9
	ds_write_b64 v26, v[18:19]
	ds_write_b32 v27, v30
	s_waitcnt lgkmcnt(6)
	ds_write_b64 v28, v[20:21]
	ds_write_b32 v29, v8
	s_waitcnt lgkmcnt(7)
	ds_write_b64 v31, v[22:23]
	; wave barrier
	s_and_saveexec_b64 s[8:9], vcc
	s_cbranch_execz .LBB1349_164
; %bb.161:
	v_lshlrev_b32_e32 v38, 2, v34
	v_lshlrev_b32_e32 v39, 2, v32
	v_add_co_u32_e32 v38, vcc, v3, v38
	v_add_co_u32_e32 v39, vcc, v3, v39
	s_mov_b64 s[12:13], 0
.LBB1349_162:                           ; =>This Inner Loop Header: Depth=1
	v_add_u32_e32 v53, v36, v37
	v_lshrrev_b32_e32 v53, 1, v53
	v_xad_u32 v54, v53, -1, v35
	v_lshl_add_u32 v55, v53, 2, v38
	v_lshl_add_u32 v54, v54, 2, v39
	ds_read_b32 v55, v55
	ds_read_b32 v54, v54
	v_add_u32_e32 v64, 1, v53
	s_waitcnt lgkmcnt(1)
	v_add_f32_e32 v55, 0, v55
	s_waitcnt lgkmcnt(0)
	v_add_f32_e32 v54, 0, v54
	v_ashrrev_i32_e32 v65, 31, v55
	v_ashrrev_i32_e32 v66, 31, v54
	v_or_b32_e32 v65, 0x80000000, v65
	v_or_b32_e32 v66, 0x80000000, v66
	v_xor_b32_e32 v55, v65, v55
	v_xor_b32_e32 v54, v66, v54
	v_cmp_gt_u32_e32 vcc, v54, v55
	v_cndmask_b32_e32 v36, v36, v53, vcc
	v_cndmask_b32_e32 v37, v64, v37, vcc
	v_cmp_ge_u32_e32 vcc, v37, v36
	s_or_b64 s[12:13], vcc, s[12:13]
	s_andn2_b64 exec, exec, s[12:13]
	s_cbranch_execnz .LBB1349_162
; %bb.163:
	s_or_b64 exec, exec, s[12:13]
.LBB1349_164:
	s_or_b64 exec, exec, s[8:9]
	v_add_u32_e32 v36, v37, v34
	v_add_u32_e32 v34, v32, v35
	v_sub_u32_e32 v37, v34, v37
	v_cmp_le_u32_e32 vcc, v36, v32
	v_cmp_le_u32_e64 s[8:9], v37, v33
	s_or_b64 s[8:9], vcc, s[8:9]
	s_and_saveexec_b64 s[12:13], s[8:9]
	s_cbranch_execz .LBB1349_184
; %bb.165:
	v_cmp_ge_u32_e32 vcc, v36, v32
	v_cmp_lt_u32_e64 s[8:9], v36, v32
                                        ; implicit-def: $vgpr8
	s_and_saveexec_b64 s[20:21], s[8:9]
; %bb.166:
	v_lshl_add_u32 v8, v36, 2, v3
	ds_read_b32 v8, v8
; %bb.167:
	s_or_b64 exec, exec, s[20:21]
	v_cmp_ge_u32_e64 s[20:21], v37, v33
	v_cmp_lt_u32_e64 s[8:9], v37, v33
                                        ; implicit-def: $vgpr34
	s_and_saveexec_b64 s[22:23], s[8:9]
; %bb.168:
	v_lshl_add_u32 v9, v37, 2, v3
	ds_read_b32 v34, v9
; %bb.169:
	s_or_b64 exec, exec, s[22:23]
	s_nor_b64 s[22:23], vcc, s[20:21]
	s_and_saveexec_b64 s[8:9], s[22:23]
	s_cbranch_execz .LBB1349_171
; %bb.170:
	s_waitcnt lgkmcnt(0)
	v_add_f32_e32 v9, 0, v34
	v_ashrrev_i32_e32 v17, 31, v9
	v_add_f32_e32 v16, 0, v8
	v_or_b32_e32 v17, 0x80000000, v17
	v_xor_b32_e32 v9, v17, v9
	v_ashrrev_i32_e32 v17, 31, v16
	v_or_b32_e32 v17, 0x80000000, v17
	v_xor_b32_e32 v16, v17, v16
	v_cmp_le_u32_e32 vcc, v9, v16
	s_andn2_b64 s[20:21], s[20:21], exec
	s_and_b64 s[22:23], vcc, exec
	s_or_b64 s[20:21], s[20:21], s[22:23]
.LBB1349_171:
	s_or_b64 exec, exec, s[8:9]
	v_cndmask_b32_e64 v9, v37, v36, s[20:21]
	v_cndmask_b32_e64 v16, v33, v32, s[20:21]
	v_add_u32_e32 v18, 1, v9
	v_add_u32_e32 v16, -1, v16
	v_min_u32_e32 v16, v18, v16
	v_lshl_add_u32 v16, v16, 2, v3
	ds_read_b32 v19, v16
	v_lshl_add_u32 v9, v9, 3, v2
	ds_read_b64 v[16:17], v9
	v_cndmask_b32_e64 v20, v18, v37, s[20:21]
	v_cndmask_b32_e64 v21, v36, v18, s[20:21]
	s_waitcnt lgkmcnt(1)
	v_cndmask_b32_e64 v9, v19, v34, s[20:21]
	v_cndmask_b32_e64 v35, v8, v19, s[20:21]
	v_cmp_lt_u32_e32 vcc, v20, v33
	s_mov_b64 s[22:23], -1
	s_mov_b64 s[8:9], -1
	s_and_saveexec_b64 s[24:25], vcc
	s_cbranch_execz .LBB1349_175
; %bb.172:
	v_cmp_lt_u32_e32 vcc, v21, v32
	s_mov_b64 s[26:27], 0
	s_and_saveexec_b64 s[8:9], vcc
	s_cbranch_execz .LBB1349_174
; %bb.173:
	v_add_f32_e32 v18, 0, v9
	v_ashrrev_i32_e32 v22, 31, v18
	v_add_f32_e32 v19, 0, v35
	v_or_b32_e32 v22, 0x80000000, v22
	v_xor_b32_e32 v18, v22, v18
	v_ashrrev_i32_e32 v22, 31, v19
	v_or_b32_e32 v22, 0x80000000, v22
	v_xor_b32_e32 v19, v22, v19
	v_cmp_le_u32_e32 vcc, v18, v19
	s_and_b64 s[26:27], vcc, exec
.LBB1349_174:
	s_or_b64 exec, exec, s[8:9]
	s_orn2_b64 s[8:9], s[26:27], exec
.LBB1349_175:
	s_or_b64 exec, exec, s[24:25]
	v_cndmask_b32_e64 v18, v20, v21, s[8:9]
	v_cndmask_b32_e64 v19, v33, v32, s[8:9]
	v_add_u32_e32 v23, 1, v18
	v_add_u32_e32 v19, -1, v19
	v_min_u32_e32 v19, v23, v19
	v_lshl_add_u32 v19, v19, 2, v3
	ds_read_b32 v22, v19
	v_lshl_add_u32 v18, v18, 3, v2
	ds_read_b64 v[18:19], v18
	s_waitcnt lgkmcnt(1)
	v_cndmask_b32_e64 v30, v22, v9, s[8:9]
	v_cndmask_b32_e64 v36, v35, v22, s[8:9]
	;; [unrolled: 1-line block ×4, first 2 shown]
	v_cmp_lt_u32_e32 vcc, v22, v33
	s_and_saveexec_b64 s[24:25], vcc
	s_cbranch_execz .LBB1349_179
; %bb.176:
	v_cmp_lt_u32_e32 vcc, v23, v32
	s_mov_b64 s[26:27], 0
	s_and_saveexec_b64 s[22:23], vcc
	s_cbranch_execz .LBB1349_178
; %bb.177:
	v_add_f32_e32 v20, 0, v30
	v_ashrrev_i32_e32 v37, 31, v20
	v_add_f32_e32 v21, 0, v36
	v_or_b32_e32 v37, 0x80000000, v37
	v_xor_b32_e32 v20, v37, v20
	v_ashrrev_i32_e32 v37, 31, v21
	v_or_b32_e32 v37, 0x80000000, v37
	v_xor_b32_e32 v21, v37, v21
	v_cmp_le_u32_e32 vcc, v20, v21
	s_and_b64 s[26:27], vcc, exec
.LBB1349_178:
	s_or_b64 exec, exec, s[22:23]
	s_orn2_b64 s[22:23], s[26:27], exec
.LBB1349_179:
	s_or_b64 exec, exec, s[24:25]
	v_cndmask_b32_e64 v20, v22, v23, s[22:23]
	v_cndmask_b32_e64 v21, v33, v32, s[22:23]
	v_add_u32_e32 v39, 1, v20
	v_add_u32_e32 v21, -1, v21
	v_min_u32_e32 v21, v39, v21
	v_lshl_add_u32 v21, v21, 2, v3
	ds_read_b32 v38, v21
	v_lshl_add_u32 v20, v20, 3, v2
	ds_read_b64 v[20:21], v20
	v_cndmask_b32_e64 v22, v39, v22, s[22:23]
	v_cndmask_b32_e64 v23, v23, v39, s[22:23]
	s_waitcnt lgkmcnt(1)
	v_cndmask_b32_e64 v37, v38, v30, s[22:23]
	v_cndmask_b32_e64 v38, v36, v38, s[22:23]
	v_cmp_lt_u32_e32 vcc, v22, v33
	s_mov_b64 s[26:27], -1
	s_and_saveexec_b64 s[24:25], vcc
	s_cbranch_execz .LBB1349_183
; %bb.180:
	v_cmp_lt_u32_e32 vcc, v23, v32
	s_mov_b64 s[28:29], 0
	s_and_saveexec_b64 s[26:27], vcc
	s_cbranch_execz .LBB1349_182
; %bb.181:
	v_add_f32_e32 v32, 0, v37
	v_ashrrev_i32_e32 v39, 31, v32
	v_add_f32_e32 v33, 0, v38
	v_or_b32_e32 v39, 0x80000000, v39
	v_xor_b32_e32 v32, v39, v32
	v_ashrrev_i32_e32 v39, 31, v33
	v_or_b32_e32 v39, 0x80000000, v39
	v_xor_b32_e32 v33, v39, v33
	v_cmp_le_u32_e32 vcc, v32, v33
	s_and_b64 s[28:29], vcc, exec
.LBB1349_182:
	s_or_b64 exec, exec, s[26:27]
	s_orn2_b64 s[26:27], s[28:29], exec
.LBB1349_183:
	s_or_b64 exec, exec, s[24:25]
	v_cndmask_b32_e64 v22, v22, v23, s[26:27]
	v_lshl_add_u32 v22, v22, 3, v2
	ds_read_b64 v[22:23], v22
	v_cndmask_b32_e64 v30, v30, v36, s[22:23]
	v_cndmask_b32_e64 v9, v9, v35, s[8:9]
	;; [unrolled: 1-line block ×4, first 2 shown]
.LBB1349_184:
	s_or_b64 exec, exec, s[12:13]
	; wave barrier
	ds_write_b32 v15, v52
	ds_write_b64 v24, v[16:17]
	ds_write_b32 v25, v9
	ds_write_b64 v26, v[18:19]
	ds_write_b32 v27, v30
	s_waitcnt lgkmcnt(6)
	ds_write_b64 v28, v[20:21]
	ds_write_b32 v29, v8
	s_waitcnt lgkmcnt(7)
	ds_write_b64 v31, v[22:23]
	v_and_b32_e32 v25, 0x1e0, v51
	v_or_b32_e32 v15, 16, v25
	v_min_u32_e32 v15, v7, v15
	v_add_u32_e32 v24, 16, v15
	v_min_u32_e32 v24, v7, v24
	v_min_u32_e32 v7, v7, v12
	v_sub_u32_e32 v26, v15, v25
	v_sub_u32_e32 v27, v24, v15
	v_sub_u32_e64 v27, v7, v27 clamp
	v_min_u32_e32 v26, v7, v26
	v_cmp_lt_u32_e32 vcc, v27, v26
	; wave barrier
	s_and_saveexec_b64 s[8:9], vcc
	s_cbranch_execz .LBB1349_188
; %bb.185:
	v_lshlrev_b32_e32 v28, 2, v25
	v_lshlrev_b32_e32 v29, 2, v15
	v_add_co_u32_e32 v28, vcc, v3, v28
	v_add_co_u32_e32 v29, vcc, v3, v29
	s_mov_b64 s[12:13], 0
.LBB1349_186:                           ; =>This Inner Loop Header: Depth=1
	v_add_u32_e32 v31, v26, v27
	v_lshrrev_b32_e32 v31, 1, v31
	v_xad_u32 v32, v31, -1, v7
	v_lshl_add_u32 v33, v31, 2, v28
	v_lshl_add_u32 v32, v32, 2, v29
	ds_read_b32 v33, v33
	ds_read_b32 v32, v32
	v_add_u32_e32 v34, 1, v31
	s_waitcnt lgkmcnt(1)
	v_add_f32_e32 v33, 0, v33
	s_waitcnt lgkmcnt(0)
	v_add_f32_e32 v32, 0, v32
	v_ashrrev_i32_e32 v35, 31, v33
	v_ashrrev_i32_e32 v36, 31, v32
	v_or_b32_e32 v35, 0x80000000, v35
	v_or_b32_e32 v36, 0x80000000, v36
	v_xor_b32_e32 v33, v35, v33
	v_xor_b32_e32 v32, v36, v32
	v_cmp_gt_u32_e32 vcc, v32, v33
	v_cndmask_b32_e32 v26, v26, v31, vcc
	v_cndmask_b32_e32 v27, v34, v27, vcc
	v_cmp_ge_u32_e32 vcc, v27, v26
	s_or_b64 s[12:13], vcc, s[12:13]
	s_andn2_b64 exec, exec, s[12:13]
	s_cbranch_execnz .LBB1349_186
; %bb.187:
	s_or_b64 exec, exec, s[12:13]
.LBB1349_188:
	s_or_b64 exec, exec, s[8:9]
	v_add_u32_e32 v7, v15, v7
	v_add_u32_e32 v26, v27, v25
	v_sub_u32_e32 v27, v7, v27
	v_cmp_le_u32_e32 vcc, v26, v15
	v_cmp_le_u32_e64 s[8:9], v27, v24
	s_or_b64 s[8:9], vcc, s[8:9]
	s_and_saveexec_b64 s[12:13], s[8:9]
	s_cbranch_execz .LBB1349_208
; %bb.189:
	v_cmp_ge_u32_e32 vcc, v26, v15
	v_cmp_lt_u32_e64 s[8:9], v26, v15
                                        ; implicit-def: $vgpr7
	s_and_saveexec_b64 s[20:21], s[8:9]
; %bb.190:
	v_lshl_add_u32 v7, v26, 2, v3
	ds_read_b32 v7, v7
; %bb.191:
	s_or_b64 exec, exec, s[20:21]
	v_cmp_ge_u32_e64 s[20:21], v27, v24
	v_cmp_lt_u32_e64 s[8:9], v27, v24
                                        ; implicit-def: $vgpr8
	s_and_saveexec_b64 s[22:23], s[8:9]
; %bb.192:
	v_lshl_add_u32 v8, v27, 2, v3
	ds_read_b32 v8, v8
; %bb.193:
	s_or_b64 exec, exec, s[22:23]
	s_nor_b64 s[22:23], vcc, s[20:21]
	s_and_saveexec_b64 s[8:9], s[22:23]
	s_cbranch_execz .LBB1349_195
; %bb.194:
	s_waitcnt lgkmcnt(0)
	v_add_f32_e32 v9, 0, v8
	v_ashrrev_i32_e32 v17, 31, v9
	v_add_f32_e32 v16, 0, v7
	v_or_b32_e32 v17, 0x80000000, v17
	v_xor_b32_e32 v9, v17, v9
	v_ashrrev_i32_e32 v17, 31, v16
	v_or_b32_e32 v17, 0x80000000, v17
	v_xor_b32_e32 v16, v17, v16
	v_cmp_le_u32_e32 vcc, v9, v16
	s_andn2_b64 s[20:21], s[20:21], exec
	s_and_b64 s[22:23], vcc, exec
	s_or_b64 s[20:21], s[20:21], s[22:23]
.LBB1349_195:
	s_or_b64 exec, exec, s[8:9]
	v_cndmask_b32_e64 v9, v27, v26, s[20:21]
	v_cndmask_b32_e64 v16, v24, v15, s[20:21]
	v_add_u32_e32 v18, 1, v9
	v_add_u32_e32 v16, -1, v16
	v_min_u32_e32 v16, v18, v16
	v_lshl_add_u32 v16, v16, 2, v3
	ds_read_b32 v19, v16
	v_lshl_add_u32 v9, v9, 3, v2
	ds_read_b64 v[16:17], v9
	v_cndmask_b32_e64 v20, v18, v27, s[20:21]
	v_cndmask_b32_e64 v21, v26, v18, s[20:21]
	s_waitcnt lgkmcnt(1)
	v_cndmask_b32_e64 v9, v19, v8, s[20:21]
	v_cndmask_b32_e64 v25, v7, v19, s[20:21]
	v_cmp_lt_u32_e32 vcc, v20, v24
	s_mov_b64 s[22:23], -1
	s_mov_b64 s[8:9], -1
	s_and_saveexec_b64 s[24:25], vcc
	s_cbranch_execz .LBB1349_199
; %bb.196:
	v_cmp_lt_u32_e32 vcc, v21, v15
	s_mov_b64 s[26:27], 0
	s_and_saveexec_b64 s[8:9], vcc
	s_cbranch_execz .LBB1349_198
; %bb.197:
	v_add_f32_e32 v18, 0, v9
	v_ashrrev_i32_e32 v22, 31, v18
	v_add_f32_e32 v19, 0, v25
	v_or_b32_e32 v22, 0x80000000, v22
	v_xor_b32_e32 v18, v22, v18
	v_ashrrev_i32_e32 v22, 31, v19
	v_or_b32_e32 v22, 0x80000000, v22
	v_xor_b32_e32 v19, v22, v19
	v_cmp_le_u32_e32 vcc, v18, v19
	s_and_b64 s[26:27], vcc, exec
.LBB1349_198:
	s_or_b64 exec, exec, s[8:9]
	s_orn2_b64 s[8:9], s[26:27], exec
.LBB1349_199:
	s_or_b64 exec, exec, s[24:25]
	v_cndmask_b32_e64 v18, v20, v21, s[8:9]
	v_cndmask_b32_e64 v19, v24, v15, s[8:9]
	v_add_u32_e32 v23, 1, v18
	v_add_u32_e32 v19, -1, v19
	v_min_u32_e32 v19, v23, v19
	v_lshl_add_u32 v19, v19, 2, v3
	ds_read_b32 v22, v19
	v_lshl_add_u32 v18, v18, 3, v2
	ds_read_b64 v[18:19], v18
	s_waitcnt lgkmcnt(1)
	v_cndmask_b32_e64 v26, v22, v9, s[8:9]
	v_cndmask_b32_e64 v27, v25, v22, s[8:9]
	v_cndmask_b32_e64 v22, v23, v20, s[8:9]
	v_cndmask_b32_e64 v23, v21, v23, s[8:9]
	v_cmp_lt_u32_e32 vcc, v22, v24
	s_and_saveexec_b64 s[24:25], vcc
	s_cbranch_execz .LBB1349_203
; %bb.200:
	v_cmp_lt_u32_e32 vcc, v23, v15
	s_mov_b64 s[26:27], 0
	s_and_saveexec_b64 s[22:23], vcc
	s_cbranch_execz .LBB1349_202
; %bb.201:
	v_add_f32_e32 v20, 0, v26
	v_ashrrev_i32_e32 v28, 31, v20
	v_add_f32_e32 v21, 0, v27
	v_or_b32_e32 v28, 0x80000000, v28
	v_xor_b32_e32 v20, v28, v20
	v_ashrrev_i32_e32 v28, 31, v21
	v_or_b32_e32 v28, 0x80000000, v28
	v_xor_b32_e32 v21, v28, v21
	v_cmp_le_u32_e32 vcc, v20, v21
	s_and_b64 s[26:27], vcc, exec
.LBB1349_202:
	s_or_b64 exec, exec, s[22:23]
	s_orn2_b64 s[22:23], s[26:27], exec
.LBB1349_203:
	s_or_b64 exec, exec, s[24:25]
	v_cndmask_b32_e64 v20, v22, v23, s[22:23]
	v_cndmask_b32_e64 v21, v24, v15, s[22:23]
	v_add_u32_e32 v29, 1, v20
	v_add_u32_e32 v21, -1, v21
	v_min_u32_e32 v21, v29, v21
	v_lshl_add_u32 v3, v21, 2, v3
	ds_read_b32 v28, v3
	v_lshl_add_u32 v3, v20, 3, v2
	ds_read_b64 v[20:21], v3
	v_cndmask_b32_e64 v22, v29, v22, s[22:23]
	v_cndmask_b32_e64 v23, v23, v29, s[22:23]
	s_waitcnt lgkmcnt(1)
	v_cndmask_b32_e64 v3, v28, v26, s[22:23]
	v_cndmask_b32_e64 v28, v27, v28, s[22:23]
	v_cmp_lt_u32_e32 vcc, v22, v24
	s_mov_b64 s[26:27], -1
	s_and_saveexec_b64 s[24:25], vcc
	s_cbranch_execz .LBB1349_207
; %bb.204:
	v_cmp_lt_u32_e32 vcc, v23, v15
	s_mov_b64 s[28:29], 0
	s_and_saveexec_b64 s[26:27], vcc
	s_cbranch_execz .LBB1349_206
; %bb.205:
	v_add_f32_e32 v15, 0, v3
	v_ashrrev_i32_e32 v29, 31, v15
	v_add_f32_e32 v24, 0, v28
	v_or_b32_e32 v29, 0x80000000, v29
	v_xor_b32_e32 v15, v29, v15
	v_ashrrev_i32_e32 v29, 31, v24
	v_or_b32_e32 v29, 0x80000000, v29
	v_xor_b32_e32 v24, v29, v24
	v_cmp_le_u32_e32 vcc, v15, v24
	s_and_b64 s[28:29], vcc, exec
.LBB1349_206:
	s_or_b64 exec, exec, s[26:27]
	s_orn2_b64 s[26:27], s[28:29], exec
.LBB1349_207:
	s_or_b64 exec, exec, s[24:25]
	v_cndmask_b32_e64 v15, v22, v23, s[26:27]
	v_lshl_add_u32 v2, v15, 3, v2
	ds_read_b64 v[22:23], v2
	v_cndmask_b32_e64 v30, v26, v27, s[22:23]
	v_cndmask_b32_e64 v9, v9, v25, s[8:9]
	;; [unrolled: 1-line block ×4, first 2 shown]
.LBB1349_208:
	s_or_b64 exec, exec, s[12:13]
	v_add_co_u32_e32 v2, vcc, v4, v48
	v_addc_co_u32_e32 v3, vcc, v5, v49, vcc
	v_add_co_u32_e32 v2, vcc, v2, v50
	v_addc_co_u32_e32 v3, vcc, 0, v3, vcc
	; wave barrier
	s_waitcnt lgkmcnt(0)
	s_barrier
	; wave barrier
	s_and_saveexec_b64 s[8:9], s[4:5]
	s_cbranch_execnz .LBB1349_230
; %bb.209:
	s_or_b64 exec, exec, s[8:9]
	s_and_saveexec_b64 s[8:9], s[6:7]
	s_cbranch_execnz .LBB1349_231
.LBB1349_210:
	s_or_b64 exec, exec, s[8:9]
	s_and_saveexec_b64 s[8:9], s[10:11]
	s_cbranch_execnz .LBB1349_232
.LBB1349_211:
	s_or_b64 exec, exec, s[8:9]
	s_and_saveexec_b64 s[8:9], s[14:15]
	s_cbranch_execz .LBB1349_213
.LBB1349_212:
	flat_store_dword v[2:3], v8 offset:12
.LBB1349_213:
	s_or_b64 exec, exec, s[8:9]
	v_add_co_u32_e32 v0, vcc, v10, v0
	v_addc_co_u32_e32 v1, vcc, v11, v1, vcc
	v_add_co_u32_e32 v0, vcc, v0, v6
	v_addc_co_u32_e32 v1, vcc, 0, v1, vcc
	; wave barrier
	s_and_saveexec_b64 s[8:9], s[4:5]
	s_cbranch_execnz .LBB1349_233
; %bb.214:
	s_or_b64 exec, exec, s[8:9]
	s_and_saveexec_b64 s[4:5], s[6:7]
	s_cbranch_execnz .LBB1349_234
.LBB1349_215:
	s_or_b64 exec, exec, s[4:5]
	s_and_saveexec_b64 s[4:5], s[10:11]
	s_cbranch_execz .LBB1349_217
.LBB1349_216:
	flat_store_dwordx2 v[0:1], v[20:21] offset:16
.LBB1349_217:
	s_or_b64 exec, exec, s[4:5]
	s_andn2_b64 s[4:5], s[16:17], exec
	s_and_b64 s[6:7], s[14:15], exec
	v_mov_b32_e32 v8, v10
	s_or_b64 s[16:17], s[4:5], s[6:7]
	v_mov_b32_e32 v9, v11
	s_or_b64 exec, exec, s[18:19]
	s_and_saveexec_b64 s[4:5], s[16:17]
	s_cbranch_execz .LBB1349_3
.LBB1349_218:
	v_lshlrev_b64 v[0:1], 3, v[13:14]
	v_lshlrev_b32_e32 v2, 3, v12
	v_add_co_u32_e32 v0, vcc, v8, v0
	v_addc_co_u32_e32 v1, vcc, v9, v1, vcc
	v_add_co_u32_e32 v0, vcc, v0, v2
	v_addc_co_u32_e32 v1, vcc, 0, v1, vcc
	flat_store_dwordx2 v[0:1], v[22:23] offset:24
	s_or_b64 exec, exec, s[4:5]
	s_waitcnt vmcnt(0) lgkmcnt(0)
	s_setpc_b64 s[30:31]
.LBB1349_219:
	flat_load_dwordx2 v[17:18], v[4:5]
	v_mov_b32_e32 v19, v16
	v_mov_b32_e32 v20, v16
	;; [unrolled: 1-line block ×6, first 2 shown]
	s_waitcnt vmcnt(0) lgkmcnt(0)
	v_mov_b32_e32 v16, v17
	v_mov_b32_e32 v17, v18
	;; [unrolled: 1-line block ×8, first 2 shown]
	s_or_b64 exec, exec, s[16:17]
	s_and_saveexec_b64 s[16:17], s[6:7]
	s_cbranch_execz .LBB1349_14
.LBB1349_220:
	flat_load_dwordx2 v[18:19], v[4:5] offset:8
	s_or_b64 exec, exec, s[16:17]
	s_and_saveexec_b64 s[16:17], s[10:11]
	s_cbranch_execz .LBB1349_15
.LBB1349_221:
	flat_load_dwordx2 v[20:21], v[4:5] offset:16
	s_or_b64 exec, exec, s[16:17]
	s_and_saveexec_b64 s[16:17], s[14:15]
	s_cbranch_execnz .LBB1349_16
	s_branch .LBB1349_17
.LBB1349_222:
	flat_store_dword v[2:3], v52
	s_or_b64 exec, exec, s[16:17]
	s_and_saveexec_b64 s[16:17], s[6:7]
	s_cbranch_execz .LBB1349_103
.LBB1349_223:
	flat_store_dword v[2:3], v11 offset:4
	s_or_b64 exec, exec, s[16:17]
	s_and_saveexec_b64 s[16:17], s[10:11]
	s_cbranch_execz .LBB1349_104
.LBB1349_224:
	flat_store_dword v[2:3], v30 offset:8
	s_or_b64 exec, exec, s[16:17]
	s_and_saveexec_b64 s[16:17], s[14:15]
	s_cbranch_execnz .LBB1349_105
	s_branch .LBB1349_106
.LBB1349_225:
	flat_store_dwordx2 v[0:1], v[16:17]
	s_or_b64 exec, exec, s[16:17]
	s_and_saveexec_b64 s[16:17], s[6:7]
	s_cbranch_execz .LBB1349_108
.LBB1349_226:
	flat_store_dwordx2 v[0:1], v[18:19] offset:8
	s_or_b64 exec, exec, s[16:17]
	s_and_saveexec_b64 s[6:7], s[10:11]
	s_cbranch_execnz .LBB1349_109
	s_branch .LBB1349_110
.LBB1349_227:
	flat_load_dwordx2 v[17:18], v[2:3]
	v_mov_b32_e32 v19, v16
	v_mov_b32_e32 v20, v16
	;; [unrolled: 1-line block ×6, first 2 shown]
	s_waitcnt vmcnt(0) lgkmcnt(0)
	v_mov_b32_e32 v16, v17
	v_mov_b32_e32 v17, v18
	;; [unrolled: 1-line block ×8, first 2 shown]
	s_or_b64 exec, exec, s[20:21]
	s_and_saveexec_b64 s[20:21], s[6:7]
	s_cbranch_execz .LBB1349_121
.LBB1349_228:
	flat_load_dwordx2 v[18:19], v[2:3] offset:8
	s_or_b64 exec, exec, s[20:21]
	s_and_saveexec_b64 s[20:21], s[10:11]
	s_cbranch_execz .LBB1349_122
.LBB1349_229:
	flat_load_dwordx2 v[20:21], v[2:3] offset:16
	s_or_b64 exec, exec, s[20:21]
	s_and_saveexec_b64 s[20:21], s[14:15]
	s_cbranch_execnz .LBB1349_123
	s_branch .LBB1349_124
.LBB1349_230:
	flat_store_dword v[2:3], v52
	s_or_b64 exec, exec, s[8:9]
	s_and_saveexec_b64 s[8:9], s[6:7]
	s_cbranch_execz .LBB1349_210
.LBB1349_231:
	flat_store_dword v[2:3], v9 offset:4
	s_or_b64 exec, exec, s[8:9]
	s_and_saveexec_b64 s[8:9], s[10:11]
	s_cbranch_execz .LBB1349_211
.LBB1349_232:
	flat_store_dword v[2:3], v30 offset:8
	s_or_b64 exec, exec, s[8:9]
	s_and_saveexec_b64 s[8:9], s[14:15]
	s_cbranch_execnz .LBB1349_212
	s_branch .LBB1349_213
.LBB1349_233:
	flat_store_dwordx2 v[0:1], v[16:17]
	s_or_b64 exec, exec, s[8:9]
	s_and_saveexec_b64 s[4:5], s[6:7]
	s_cbranch_execz .LBB1349_215
.LBB1349_234:
	flat_store_dwordx2 v[0:1], v[18:19] offset:8
	s_or_b64 exec, exec, s[4:5]
	s_and_saveexec_b64 s[4:5], s[10:11]
	s_cbranch_execnz .LBB1349_216
	s_branch .LBB1349_217
.Lfunc_end1349:
	.size	_ZN7rocprim17ROCPRIM_400000_NS6detail26segmented_warp_sort_helperINS1_20WarpSortHelperConfigILj8ELj4ELj256EEEflLi256ELb1EvE4sortIPKfPfPKlPlEEvT_S9_T0_T1_SC_T2_bjjjjRNS5_12storage_typeE, .Lfunc_end1349-_ZN7rocprim17ROCPRIM_400000_NS6detail26segmented_warp_sort_helperINS1_20WarpSortHelperConfigILj8ELj4ELj256EEEflLi256ELb1EvE4sortIPKfPfPKlPlEEvT_S9_T0_T1_SC_T2_bjjjjRNS5_12storage_typeE
                                        ; -- End function
	.set .L_ZN7rocprim17ROCPRIM_400000_NS6detail26segmented_warp_sort_helperINS1_20WarpSortHelperConfigILj8ELj4ELj256EEEflLi256ELb1EvE4sortIPKfPfPKlPlEEvT_S9_T0_T1_SC_T2_bjjjjRNS5_12storage_typeE.num_vgpr, 72
	.set .L_ZN7rocprim17ROCPRIM_400000_NS6detail26segmented_warp_sort_helperINS1_20WarpSortHelperConfigILj8ELj4ELj256EEEflLi256ELb1EvE4sortIPKfPfPKlPlEEvT_S9_T0_T1_SC_T2_bjjjjRNS5_12storage_typeE.num_agpr, 0
	.set .L_ZN7rocprim17ROCPRIM_400000_NS6detail26segmented_warp_sort_helperINS1_20WarpSortHelperConfigILj8ELj4ELj256EEEflLi256ELb1EvE4sortIPKfPfPKlPlEEvT_S9_T0_T1_SC_T2_bjjjjRNS5_12storage_typeE.numbered_sgpr, 42
	.set .L_ZN7rocprim17ROCPRIM_400000_NS6detail26segmented_warp_sort_helperINS1_20WarpSortHelperConfigILj8ELj4ELj256EEEflLi256ELb1EvE4sortIPKfPfPKlPlEEvT_S9_T0_T1_SC_T2_bjjjjRNS5_12storage_typeE.num_named_barrier, 0
	.set .L_ZN7rocprim17ROCPRIM_400000_NS6detail26segmented_warp_sort_helperINS1_20WarpSortHelperConfigILj8ELj4ELj256EEEflLi256ELb1EvE4sortIPKfPfPKlPlEEvT_S9_T0_T1_SC_T2_bjjjjRNS5_12storage_typeE.private_seg_size, 0
	.set .L_ZN7rocprim17ROCPRIM_400000_NS6detail26segmented_warp_sort_helperINS1_20WarpSortHelperConfigILj8ELj4ELj256EEEflLi256ELb1EvE4sortIPKfPfPKlPlEEvT_S9_T0_T1_SC_T2_bjjjjRNS5_12storage_typeE.uses_vcc, 1
	.set .L_ZN7rocprim17ROCPRIM_400000_NS6detail26segmented_warp_sort_helperINS1_20WarpSortHelperConfigILj8ELj4ELj256EEEflLi256ELb1EvE4sortIPKfPfPKlPlEEvT_S9_T0_T1_SC_T2_bjjjjRNS5_12storage_typeE.uses_flat_scratch, 0
	.set .L_ZN7rocprim17ROCPRIM_400000_NS6detail26segmented_warp_sort_helperINS1_20WarpSortHelperConfigILj8ELj4ELj256EEEflLi256ELb1EvE4sortIPKfPfPKlPlEEvT_S9_T0_T1_SC_T2_bjjjjRNS5_12storage_typeE.has_dyn_sized_stack, 0
	.set .L_ZN7rocprim17ROCPRIM_400000_NS6detail26segmented_warp_sort_helperINS1_20WarpSortHelperConfigILj8ELj4ELj256EEEflLi256ELb1EvE4sortIPKfPfPKlPlEEvT_S9_T0_T1_SC_T2_bjjjjRNS5_12storage_typeE.has_recursion, 0
	.set .L_ZN7rocprim17ROCPRIM_400000_NS6detail26segmented_warp_sort_helperINS1_20WarpSortHelperConfigILj8ELj4ELj256EEEflLi256ELb1EvE4sortIPKfPfPKlPlEEvT_S9_T0_T1_SC_T2_bjjjjRNS5_12storage_typeE.has_indirect_call, 0
	.section	.AMDGPU.csdata,"",@progbits
; Function info:
; codeLenInByte = 9680
; TotalNumSgprs: 46
; NumVgprs: 72
; ScratchSize: 0
; MemoryBound: 1
	.section	.text._ZN7rocprim17ROCPRIM_400000_NS6detail17trampoline_kernelINS0_14default_configENS1_36segmented_radix_sort_config_selectorIflEEZNS1_25segmented_radix_sort_implIS3_Lb1EPKfPfPKlPlN2at6native12_GLOBAL__N_18offset_tEEE10hipError_tPvRmT1_PNSt15iterator_traitsISK_E10value_typeET2_T3_PNSL_ISQ_E10value_typeET4_jRbjT5_SW_jjP12ihipStream_tbEUlT_E1_NS1_11comp_targetILNS1_3genE2ELNS1_11target_archE906ELNS1_3gpuE6ELNS1_3repE0EEENS1_59segmented_radix_sort_warp_sort_small_config_static_selectorELNS0_4arch9wavefront6targetE1EEEvSK_,"axG",@progbits,_ZN7rocprim17ROCPRIM_400000_NS6detail17trampoline_kernelINS0_14default_configENS1_36segmented_radix_sort_config_selectorIflEEZNS1_25segmented_radix_sort_implIS3_Lb1EPKfPfPKlPlN2at6native12_GLOBAL__N_18offset_tEEE10hipError_tPvRmT1_PNSt15iterator_traitsISK_E10value_typeET2_T3_PNSL_ISQ_E10value_typeET4_jRbjT5_SW_jjP12ihipStream_tbEUlT_E1_NS1_11comp_targetILNS1_3genE2ELNS1_11target_archE906ELNS1_3gpuE6ELNS1_3repE0EEENS1_59segmented_radix_sort_warp_sort_small_config_static_selectorELNS0_4arch9wavefront6targetE1EEEvSK_,comdat
	.globl	_ZN7rocprim17ROCPRIM_400000_NS6detail17trampoline_kernelINS0_14default_configENS1_36segmented_radix_sort_config_selectorIflEEZNS1_25segmented_radix_sort_implIS3_Lb1EPKfPfPKlPlN2at6native12_GLOBAL__N_18offset_tEEE10hipError_tPvRmT1_PNSt15iterator_traitsISK_E10value_typeET2_T3_PNSL_ISQ_E10value_typeET4_jRbjT5_SW_jjP12ihipStream_tbEUlT_E1_NS1_11comp_targetILNS1_3genE2ELNS1_11target_archE906ELNS1_3gpuE6ELNS1_3repE0EEENS1_59segmented_radix_sort_warp_sort_small_config_static_selectorELNS0_4arch9wavefront6targetE1EEEvSK_ ; -- Begin function _ZN7rocprim17ROCPRIM_400000_NS6detail17trampoline_kernelINS0_14default_configENS1_36segmented_radix_sort_config_selectorIflEEZNS1_25segmented_radix_sort_implIS3_Lb1EPKfPfPKlPlN2at6native12_GLOBAL__N_18offset_tEEE10hipError_tPvRmT1_PNSt15iterator_traitsISK_E10value_typeET2_T3_PNSL_ISQ_E10value_typeET4_jRbjT5_SW_jjP12ihipStream_tbEUlT_E1_NS1_11comp_targetILNS1_3genE2ELNS1_11target_archE906ELNS1_3gpuE6ELNS1_3repE0EEENS1_59segmented_radix_sort_warp_sort_small_config_static_selectorELNS0_4arch9wavefront6targetE1EEEvSK_
	.p2align	8
	.type	_ZN7rocprim17ROCPRIM_400000_NS6detail17trampoline_kernelINS0_14default_configENS1_36segmented_radix_sort_config_selectorIflEEZNS1_25segmented_radix_sort_implIS3_Lb1EPKfPfPKlPlN2at6native12_GLOBAL__N_18offset_tEEE10hipError_tPvRmT1_PNSt15iterator_traitsISK_E10value_typeET2_T3_PNSL_ISQ_E10value_typeET4_jRbjT5_SW_jjP12ihipStream_tbEUlT_E1_NS1_11comp_targetILNS1_3genE2ELNS1_11target_archE906ELNS1_3gpuE6ELNS1_3repE0EEENS1_59segmented_radix_sort_warp_sort_small_config_static_selectorELNS0_4arch9wavefront6targetE1EEEvSK_,@function
_ZN7rocprim17ROCPRIM_400000_NS6detail17trampoline_kernelINS0_14default_configENS1_36segmented_radix_sort_config_selectorIflEEZNS1_25segmented_radix_sort_implIS3_Lb1EPKfPfPKlPlN2at6native12_GLOBAL__N_18offset_tEEE10hipError_tPvRmT1_PNSt15iterator_traitsISK_E10value_typeET2_T3_PNSL_ISQ_E10value_typeET4_jRbjT5_SW_jjP12ihipStream_tbEUlT_E1_NS1_11comp_targetILNS1_3genE2ELNS1_11target_archE906ELNS1_3gpuE6ELNS1_3repE0EEENS1_59segmented_radix_sort_warp_sort_small_config_static_selectorELNS0_4arch9wavefront6targetE1EEEvSK_: ; @_ZN7rocprim17ROCPRIM_400000_NS6detail17trampoline_kernelINS0_14default_configENS1_36segmented_radix_sort_config_selectorIflEEZNS1_25segmented_radix_sort_implIS3_Lb1EPKfPfPKlPlN2at6native12_GLOBAL__N_18offset_tEEE10hipError_tPvRmT1_PNSt15iterator_traitsISK_E10value_typeET2_T3_PNSL_ISQ_E10value_typeET4_jRbjT5_SW_jjP12ihipStream_tbEUlT_E1_NS1_11comp_targetILNS1_3genE2ELNS1_11target_archE906ELNS1_3gpuE6ELNS1_3repE0EEENS1_59segmented_radix_sort_warp_sort_small_config_static_selectorELNS0_4arch9wavefront6targetE1EEEvSK_
; %bb.0:
	s_add_u32 s0, s0, s8
	s_load_dword s8, s[4:5], 0x64
	s_addc_u32 s1, s1, 0
	s_mov_b32 s32, 0
	s_waitcnt lgkmcnt(0)
	s_lshr_b32 s9, s8, 16
	s_and_b32 s8, s8, 0xffff
	v_mad_u32_u24 v3, v2, s9, v1
	v_mad_u64_u32 v[3:4], s[8:9], v3, s8, v[0:1]
	s_load_dword s8, s[4:5], 0x34
	v_lshrrev_b32_e32 v3, 3, v3
	v_lshl_add_u32 v3, s6, 5, v3
	s_waitcnt lgkmcnt(0)
	v_cmp_gt_u32_e32 vcc, s8, v3
	s_and_saveexec_b64 s[8:9], vcc
	s_cbranch_execz .LBB1350_3
; %bb.1:
	s_load_dwordx2 s[12:13], s[4:5], 0x38
	s_load_dwordx4 s[8:11], s[4:5], 0x40
	v_mov_b32_e32 v4, 0
	v_lshlrev_b64 v[3:4], 2, v[3:4]
	s_waitcnt lgkmcnt(0)
	v_mov_b32_e32 v5, s13
	v_sub_co_u32_e32 v3, vcc, s12, v3
	v_subb_co_u32_e32 v4, vcc, v5, v4, vcc
	global_load_dword v3, v[3:4], off offset:-4
	s_waitcnt vmcnt(0)
	v_add_u32_e32 v4, s9, v3
	v_add_u32_e32 v3, s11, v3
	v_mul_lo_u32 v13, v4, s8
	v_mul_lo_u32 v14, v3, s10
	v_cmp_gt_u32_e32 vcc, v14, v13
	s_and_b64 exec, exec, vcc
	s_cbranch_execz .LBB1350_3
; %bb.2:
	s_load_dword s8, s[4:5], 0x30
	s_load_dwordx4 s[24:27], s[4:5], 0x20
	s_load_dwordx8 s[16:23], s[4:5], 0x0
	s_mov_b64 s[10:11], src_shared_base
	v_lshlrev_b32_e32 v2, 20, v2
	s_waitcnt lgkmcnt(0)
	s_and_b32 s10, s8, 0xff
	s_add_u32 s8, s4, 0x58
	s_addc_u32 s9, s5, 0
	v_lshlrev_b32_e32 v1, 10, v1
	s_getpc_b64 s[4:5]
	s_add_u32 s4, s4, _ZN7rocprim17ROCPRIM_400000_NS6detail26segmented_warp_sort_helperINS1_20WarpSortHelperConfigILj8ELj4ELj256EEEflLi256ELb1EvE4sortIPKfPfPKlPlEEvT_S9_T0_T1_SC_T2_bjjjjRNS5_12storage_typeE@rel32@lo+4
	s_addc_u32 s5, s5, _ZN7rocprim17ROCPRIM_400000_NS6detail26segmented_warp_sort_helperINS1_20WarpSortHelperConfigILj8ELj4ELj256EEEflLi256ELb1EvE4sortIPKfPfPKlPlEEvT_S9_T0_T1_SC_T2_bjjjjRNS5_12storage_typeE@rel32@hi+12
	v_or3_b32 v31, v0, v1, v2
	s_mov_b32 s12, s6
	s_mov_b32 s13, s7
	v_mov_b32_e32 v0, s16
	v_mov_b32_e32 v1, s17
	v_mov_b32_e32 v2, s18
	v_mov_b32_e32 v3, s19
	v_mov_b32_e32 v4, s20
	v_mov_b32_e32 v5, s21
	v_mov_b32_e32 v6, s22
	v_mov_b32_e32 v7, s23
	v_mov_b32_e32 v8, s24
	v_mov_b32_e32 v9, s25
	v_mov_b32_e32 v10, s26
	v_mov_b32_e32 v11, s27
	v_mov_b32_e32 v12, s10
	v_mov_b32_e32 v15, 0
	v_mov_b32_e32 v16, s11
	s_swappc_b64 s[30:31], s[4:5]
.LBB1350_3:
	s_endpgm
	.section	.rodata,"a",@progbits
	.p2align	6, 0x0
	.amdhsa_kernel _ZN7rocprim17ROCPRIM_400000_NS6detail17trampoline_kernelINS0_14default_configENS1_36segmented_radix_sort_config_selectorIflEEZNS1_25segmented_radix_sort_implIS3_Lb1EPKfPfPKlPlN2at6native12_GLOBAL__N_18offset_tEEE10hipError_tPvRmT1_PNSt15iterator_traitsISK_E10value_typeET2_T3_PNSL_ISQ_E10value_typeET4_jRbjT5_SW_jjP12ihipStream_tbEUlT_E1_NS1_11comp_targetILNS1_3genE2ELNS1_11target_archE906ELNS1_3gpuE6ELNS1_3repE0EEENS1_59segmented_radix_sort_warp_sort_small_config_static_selectorELNS0_4arch9wavefront6targetE1EEEvSK_
		.amdhsa_group_segment_fixed_size 12288
		.amdhsa_private_segment_fixed_size 0
		.amdhsa_kernarg_size 344
		.amdhsa_user_sgpr_count 6
		.amdhsa_user_sgpr_private_segment_buffer 1
		.amdhsa_user_sgpr_dispatch_ptr 0
		.amdhsa_user_sgpr_queue_ptr 0
		.amdhsa_user_sgpr_kernarg_segment_ptr 1
		.amdhsa_user_sgpr_dispatch_id 0
		.amdhsa_user_sgpr_flat_scratch_init 0
		.amdhsa_user_sgpr_private_segment_size 0
		.amdhsa_uses_dynamic_stack 0
		.amdhsa_system_sgpr_private_segment_wavefront_offset 0
		.amdhsa_system_sgpr_workgroup_id_x 1
		.amdhsa_system_sgpr_workgroup_id_y 1
		.amdhsa_system_sgpr_workgroup_id_z 0
		.amdhsa_system_sgpr_workgroup_info 0
		.amdhsa_system_vgpr_workitem_id 2
		.amdhsa_next_free_vgpr 72
		.amdhsa_next_free_sgpr 98
		.amdhsa_reserve_vcc 1
		.amdhsa_reserve_flat_scratch 0
		.amdhsa_float_round_mode_32 0
		.amdhsa_float_round_mode_16_64 0
		.amdhsa_float_denorm_mode_32 3
		.amdhsa_float_denorm_mode_16_64 3
		.amdhsa_dx10_clamp 1
		.amdhsa_ieee_mode 1
		.amdhsa_fp16_overflow 0
		.amdhsa_exception_fp_ieee_invalid_op 0
		.amdhsa_exception_fp_denorm_src 0
		.amdhsa_exception_fp_ieee_div_zero 0
		.amdhsa_exception_fp_ieee_overflow 0
		.amdhsa_exception_fp_ieee_underflow 0
		.amdhsa_exception_fp_ieee_inexact 0
		.amdhsa_exception_int_div_zero 0
	.end_amdhsa_kernel
	.section	.text._ZN7rocprim17ROCPRIM_400000_NS6detail17trampoline_kernelINS0_14default_configENS1_36segmented_radix_sort_config_selectorIflEEZNS1_25segmented_radix_sort_implIS3_Lb1EPKfPfPKlPlN2at6native12_GLOBAL__N_18offset_tEEE10hipError_tPvRmT1_PNSt15iterator_traitsISK_E10value_typeET2_T3_PNSL_ISQ_E10value_typeET4_jRbjT5_SW_jjP12ihipStream_tbEUlT_E1_NS1_11comp_targetILNS1_3genE2ELNS1_11target_archE906ELNS1_3gpuE6ELNS1_3repE0EEENS1_59segmented_radix_sort_warp_sort_small_config_static_selectorELNS0_4arch9wavefront6targetE1EEEvSK_,"axG",@progbits,_ZN7rocprim17ROCPRIM_400000_NS6detail17trampoline_kernelINS0_14default_configENS1_36segmented_radix_sort_config_selectorIflEEZNS1_25segmented_radix_sort_implIS3_Lb1EPKfPfPKlPlN2at6native12_GLOBAL__N_18offset_tEEE10hipError_tPvRmT1_PNSt15iterator_traitsISK_E10value_typeET2_T3_PNSL_ISQ_E10value_typeET4_jRbjT5_SW_jjP12ihipStream_tbEUlT_E1_NS1_11comp_targetILNS1_3genE2ELNS1_11target_archE906ELNS1_3gpuE6ELNS1_3repE0EEENS1_59segmented_radix_sort_warp_sort_small_config_static_selectorELNS0_4arch9wavefront6targetE1EEEvSK_,comdat
.Lfunc_end1350:
	.size	_ZN7rocprim17ROCPRIM_400000_NS6detail17trampoline_kernelINS0_14default_configENS1_36segmented_radix_sort_config_selectorIflEEZNS1_25segmented_radix_sort_implIS3_Lb1EPKfPfPKlPlN2at6native12_GLOBAL__N_18offset_tEEE10hipError_tPvRmT1_PNSt15iterator_traitsISK_E10value_typeET2_T3_PNSL_ISQ_E10value_typeET4_jRbjT5_SW_jjP12ihipStream_tbEUlT_E1_NS1_11comp_targetILNS1_3genE2ELNS1_11target_archE906ELNS1_3gpuE6ELNS1_3repE0EEENS1_59segmented_radix_sort_warp_sort_small_config_static_selectorELNS0_4arch9wavefront6targetE1EEEvSK_, .Lfunc_end1350-_ZN7rocprim17ROCPRIM_400000_NS6detail17trampoline_kernelINS0_14default_configENS1_36segmented_radix_sort_config_selectorIflEEZNS1_25segmented_radix_sort_implIS3_Lb1EPKfPfPKlPlN2at6native12_GLOBAL__N_18offset_tEEE10hipError_tPvRmT1_PNSt15iterator_traitsISK_E10value_typeET2_T3_PNSL_ISQ_E10value_typeET4_jRbjT5_SW_jjP12ihipStream_tbEUlT_E1_NS1_11comp_targetILNS1_3genE2ELNS1_11target_archE906ELNS1_3gpuE6ELNS1_3repE0EEENS1_59segmented_radix_sort_warp_sort_small_config_static_selectorELNS0_4arch9wavefront6targetE1EEEvSK_
                                        ; -- End function
	.set _ZN7rocprim17ROCPRIM_400000_NS6detail17trampoline_kernelINS0_14default_configENS1_36segmented_radix_sort_config_selectorIflEEZNS1_25segmented_radix_sort_implIS3_Lb1EPKfPfPKlPlN2at6native12_GLOBAL__N_18offset_tEEE10hipError_tPvRmT1_PNSt15iterator_traitsISK_E10value_typeET2_T3_PNSL_ISQ_E10value_typeET4_jRbjT5_SW_jjP12ihipStream_tbEUlT_E1_NS1_11comp_targetILNS1_3genE2ELNS1_11target_archE906ELNS1_3gpuE6ELNS1_3repE0EEENS1_59segmented_radix_sort_warp_sort_small_config_static_selectorELNS0_4arch9wavefront6targetE1EEEvSK_.num_vgpr, max(32, .L_ZN7rocprim17ROCPRIM_400000_NS6detail26segmented_warp_sort_helperINS1_20WarpSortHelperConfigILj8ELj4ELj256EEEflLi256ELb1EvE4sortIPKfPfPKlPlEEvT_S9_T0_T1_SC_T2_bjjjjRNS5_12storage_typeE.num_vgpr)
	.set _ZN7rocprim17ROCPRIM_400000_NS6detail17trampoline_kernelINS0_14default_configENS1_36segmented_radix_sort_config_selectorIflEEZNS1_25segmented_radix_sort_implIS3_Lb1EPKfPfPKlPlN2at6native12_GLOBAL__N_18offset_tEEE10hipError_tPvRmT1_PNSt15iterator_traitsISK_E10value_typeET2_T3_PNSL_ISQ_E10value_typeET4_jRbjT5_SW_jjP12ihipStream_tbEUlT_E1_NS1_11comp_targetILNS1_3genE2ELNS1_11target_archE906ELNS1_3gpuE6ELNS1_3repE0EEENS1_59segmented_radix_sort_warp_sort_small_config_static_selectorELNS0_4arch9wavefront6targetE1EEEvSK_.num_agpr, max(0, .L_ZN7rocprim17ROCPRIM_400000_NS6detail26segmented_warp_sort_helperINS1_20WarpSortHelperConfigILj8ELj4ELj256EEEflLi256ELb1EvE4sortIPKfPfPKlPlEEvT_S9_T0_T1_SC_T2_bjjjjRNS5_12storage_typeE.num_agpr)
	.set _ZN7rocprim17ROCPRIM_400000_NS6detail17trampoline_kernelINS0_14default_configENS1_36segmented_radix_sort_config_selectorIflEEZNS1_25segmented_radix_sort_implIS3_Lb1EPKfPfPKlPlN2at6native12_GLOBAL__N_18offset_tEEE10hipError_tPvRmT1_PNSt15iterator_traitsISK_E10value_typeET2_T3_PNSL_ISQ_E10value_typeET4_jRbjT5_SW_jjP12ihipStream_tbEUlT_E1_NS1_11comp_targetILNS1_3genE2ELNS1_11target_archE906ELNS1_3gpuE6ELNS1_3repE0EEENS1_59segmented_radix_sort_warp_sort_small_config_static_selectorELNS0_4arch9wavefront6targetE1EEEvSK_.numbered_sgpr, max(33, .L_ZN7rocprim17ROCPRIM_400000_NS6detail26segmented_warp_sort_helperINS1_20WarpSortHelperConfigILj8ELj4ELj256EEEflLi256ELb1EvE4sortIPKfPfPKlPlEEvT_S9_T0_T1_SC_T2_bjjjjRNS5_12storage_typeE.numbered_sgpr)
	.set _ZN7rocprim17ROCPRIM_400000_NS6detail17trampoline_kernelINS0_14default_configENS1_36segmented_radix_sort_config_selectorIflEEZNS1_25segmented_radix_sort_implIS3_Lb1EPKfPfPKlPlN2at6native12_GLOBAL__N_18offset_tEEE10hipError_tPvRmT1_PNSt15iterator_traitsISK_E10value_typeET2_T3_PNSL_ISQ_E10value_typeET4_jRbjT5_SW_jjP12ihipStream_tbEUlT_E1_NS1_11comp_targetILNS1_3genE2ELNS1_11target_archE906ELNS1_3gpuE6ELNS1_3repE0EEENS1_59segmented_radix_sort_warp_sort_small_config_static_selectorELNS0_4arch9wavefront6targetE1EEEvSK_.num_named_barrier, max(0, .L_ZN7rocprim17ROCPRIM_400000_NS6detail26segmented_warp_sort_helperINS1_20WarpSortHelperConfigILj8ELj4ELj256EEEflLi256ELb1EvE4sortIPKfPfPKlPlEEvT_S9_T0_T1_SC_T2_bjjjjRNS5_12storage_typeE.num_named_barrier)
	.set _ZN7rocprim17ROCPRIM_400000_NS6detail17trampoline_kernelINS0_14default_configENS1_36segmented_radix_sort_config_selectorIflEEZNS1_25segmented_radix_sort_implIS3_Lb1EPKfPfPKlPlN2at6native12_GLOBAL__N_18offset_tEEE10hipError_tPvRmT1_PNSt15iterator_traitsISK_E10value_typeET2_T3_PNSL_ISQ_E10value_typeET4_jRbjT5_SW_jjP12ihipStream_tbEUlT_E1_NS1_11comp_targetILNS1_3genE2ELNS1_11target_archE906ELNS1_3gpuE6ELNS1_3repE0EEENS1_59segmented_radix_sort_warp_sort_small_config_static_selectorELNS0_4arch9wavefront6targetE1EEEvSK_.private_seg_size, 0+max(.L_ZN7rocprim17ROCPRIM_400000_NS6detail26segmented_warp_sort_helperINS1_20WarpSortHelperConfigILj8ELj4ELj256EEEflLi256ELb1EvE4sortIPKfPfPKlPlEEvT_S9_T0_T1_SC_T2_bjjjjRNS5_12storage_typeE.private_seg_size)
	.set _ZN7rocprim17ROCPRIM_400000_NS6detail17trampoline_kernelINS0_14default_configENS1_36segmented_radix_sort_config_selectorIflEEZNS1_25segmented_radix_sort_implIS3_Lb1EPKfPfPKlPlN2at6native12_GLOBAL__N_18offset_tEEE10hipError_tPvRmT1_PNSt15iterator_traitsISK_E10value_typeET2_T3_PNSL_ISQ_E10value_typeET4_jRbjT5_SW_jjP12ihipStream_tbEUlT_E1_NS1_11comp_targetILNS1_3genE2ELNS1_11target_archE906ELNS1_3gpuE6ELNS1_3repE0EEENS1_59segmented_radix_sort_warp_sort_small_config_static_selectorELNS0_4arch9wavefront6targetE1EEEvSK_.uses_vcc, or(1, .L_ZN7rocprim17ROCPRIM_400000_NS6detail26segmented_warp_sort_helperINS1_20WarpSortHelperConfigILj8ELj4ELj256EEEflLi256ELb1EvE4sortIPKfPfPKlPlEEvT_S9_T0_T1_SC_T2_bjjjjRNS5_12storage_typeE.uses_vcc)
	.set _ZN7rocprim17ROCPRIM_400000_NS6detail17trampoline_kernelINS0_14default_configENS1_36segmented_radix_sort_config_selectorIflEEZNS1_25segmented_radix_sort_implIS3_Lb1EPKfPfPKlPlN2at6native12_GLOBAL__N_18offset_tEEE10hipError_tPvRmT1_PNSt15iterator_traitsISK_E10value_typeET2_T3_PNSL_ISQ_E10value_typeET4_jRbjT5_SW_jjP12ihipStream_tbEUlT_E1_NS1_11comp_targetILNS1_3genE2ELNS1_11target_archE906ELNS1_3gpuE6ELNS1_3repE0EEENS1_59segmented_radix_sort_warp_sort_small_config_static_selectorELNS0_4arch9wavefront6targetE1EEEvSK_.uses_flat_scratch, or(0, .L_ZN7rocprim17ROCPRIM_400000_NS6detail26segmented_warp_sort_helperINS1_20WarpSortHelperConfigILj8ELj4ELj256EEEflLi256ELb1EvE4sortIPKfPfPKlPlEEvT_S9_T0_T1_SC_T2_bjjjjRNS5_12storage_typeE.uses_flat_scratch)
	.set _ZN7rocprim17ROCPRIM_400000_NS6detail17trampoline_kernelINS0_14default_configENS1_36segmented_radix_sort_config_selectorIflEEZNS1_25segmented_radix_sort_implIS3_Lb1EPKfPfPKlPlN2at6native12_GLOBAL__N_18offset_tEEE10hipError_tPvRmT1_PNSt15iterator_traitsISK_E10value_typeET2_T3_PNSL_ISQ_E10value_typeET4_jRbjT5_SW_jjP12ihipStream_tbEUlT_E1_NS1_11comp_targetILNS1_3genE2ELNS1_11target_archE906ELNS1_3gpuE6ELNS1_3repE0EEENS1_59segmented_radix_sort_warp_sort_small_config_static_selectorELNS0_4arch9wavefront6targetE1EEEvSK_.has_dyn_sized_stack, or(0, .L_ZN7rocprim17ROCPRIM_400000_NS6detail26segmented_warp_sort_helperINS1_20WarpSortHelperConfigILj8ELj4ELj256EEEflLi256ELb1EvE4sortIPKfPfPKlPlEEvT_S9_T0_T1_SC_T2_bjjjjRNS5_12storage_typeE.has_dyn_sized_stack)
	.set _ZN7rocprim17ROCPRIM_400000_NS6detail17trampoline_kernelINS0_14default_configENS1_36segmented_radix_sort_config_selectorIflEEZNS1_25segmented_radix_sort_implIS3_Lb1EPKfPfPKlPlN2at6native12_GLOBAL__N_18offset_tEEE10hipError_tPvRmT1_PNSt15iterator_traitsISK_E10value_typeET2_T3_PNSL_ISQ_E10value_typeET4_jRbjT5_SW_jjP12ihipStream_tbEUlT_E1_NS1_11comp_targetILNS1_3genE2ELNS1_11target_archE906ELNS1_3gpuE6ELNS1_3repE0EEENS1_59segmented_radix_sort_warp_sort_small_config_static_selectorELNS0_4arch9wavefront6targetE1EEEvSK_.has_recursion, or(0, .L_ZN7rocprim17ROCPRIM_400000_NS6detail26segmented_warp_sort_helperINS1_20WarpSortHelperConfigILj8ELj4ELj256EEEflLi256ELb1EvE4sortIPKfPfPKlPlEEvT_S9_T0_T1_SC_T2_bjjjjRNS5_12storage_typeE.has_recursion)
	.set _ZN7rocprim17ROCPRIM_400000_NS6detail17trampoline_kernelINS0_14default_configENS1_36segmented_radix_sort_config_selectorIflEEZNS1_25segmented_radix_sort_implIS3_Lb1EPKfPfPKlPlN2at6native12_GLOBAL__N_18offset_tEEE10hipError_tPvRmT1_PNSt15iterator_traitsISK_E10value_typeET2_T3_PNSL_ISQ_E10value_typeET4_jRbjT5_SW_jjP12ihipStream_tbEUlT_E1_NS1_11comp_targetILNS1_3genE2ELNS1_11target_archE906ELNS1_3gpuE6ELNS1_3repE0EEENS1_59segmented_radix_sort_warp_sort_small_config_static_selectorELNS0_4arch9wavefront6targetE1EEEvSK_.has_indirect_call, or(0, .L_ZN7rocprim17ROCPRIM_400000_NS6detail26segmented_warp_sort_helperINS1_20WarpSortHelperConfigILj8ELj4ELj256EEEflLi256ELb1EvE4sortIPKfPfPKlPlEEvT_S9_T0_T1_SC_T2_bjjjjRNS5_12storage_typeE.has_indirect_call)
	.section	.AMDGPU.csdata,"",@progbits
; Kernel info:
; codeLenInByte = 344
; TotalNumSgprs: 46
; NumVgprs: 72
; ScratchSize: 0
; MemoryBound: 0
; FloatMode: 240
; IeeeMode: 1
; LDSByteSize: 12288 bytes/workgroup (compile time only)
; SGPRBlocks: 12
; VGPRBlocks: 17
; NumSGPRsForWavesPerEU: 102
; NumVGPRsForWavesPerEU: 72
; Occupancy: 3
; WaveLimiterHint : 0
; COMPUTE_PGM_RSRC2:SCRATCH_EN: 0
; COMPUTE_PGM_RSRC2:USER_SGPR: 6
; COMPUTE_PGM_RSRC2:TRAP_HANDLER: 0
; COMPUTE_PGM_RSRC2:TGID_X_EN: 1
; COMPUTE_PGM_RSRC2:TGID_Y_EN: 1
; COMPUTE_PGM_RSRC2:TGID_Z_EN: 0
; COMPUTE_PGM_RSRC2:TIDIG_COMP_CNT: 2
	.section	.text._ZN7rocprim17ROCPRIM_400000_NS6detail17trampoline_kernelINS0_14default_configENS1_36segmented_radix_sort_config_selectorIflEEZNS1_25segmented_radix_sort_implIS3_Lb1EPKfPfPKlPlN2at6native12_GLOBAL__N_18offset_tEEE10hipError_tPvRmT1_PNSt15iterator_traitsISK_E10value_typeET2_T3_PNSL_ISQ_E10value_typeET4_jRbjT5_SW_jjP12ihipStream_tbEUlT_E1_NS1_11comp_targetILNS1_3genE10ELNS1_11target_archE1201ELNS1_3gpuE5ELNS1_3repE0EEENS1_59segmented_radix_sort_warp_sort_small_config_static_selectorELNS0_4arch9wavefront6targetE1EEEvSK_,"axG",@progbits,_ZN7rocprim17ROCPRIM_400000_NS6detail17trampoline_kernelINS0_14default_configENS1_36segmented_radix_sort_config_selectorIflEEZNS1_25segmented_radix_sort_implIS3_Lb1EPKfPfPKlPlN2at6native12_GLOBAL__N_18offset_tEEE10hipError_tPvRmT1_PNSt15iterator_traitsISK_E10value_typeET2_T3_PNSL_ISQ_E10value_typeET4_jRbjT5_SW_jjP12ihipStream_tbEUlT_E1_NS1_11comp_targetILNS1_3genE10ELNS1_11target_archE1201ELNS1_3gpuE5ELNS1_3repE0EEENS1_59segmented_radix_sort_warp_sort_small_config_static_selectorELNS0_4arch9wavefront6targetE1EEEvSK_,comdat
	.globl	_ZN7rocprim17ROCPRIM_400000_NS6detail17trampoline_kernelINS0_14default_configENS1_36segmented_radix_sort_config_selectorIflEEZNS1_25segmented_radix_sort_implIS3_Lb1EPKfPfPKlPlN2at6native12_GLOBAL__N_18offset_tEEE10hipError_tPvRmT1_PNSt15iterator_traitsISK_E10value_typeET2_T3_PNSL_ISQ_E10value_typeET4_jRbjT5_SW_jjP12ihipStream_tbEUlT_E1_NS1_11comp_targetILNS1_3genE10ELNS1_11target_archE1201ELNS1_3gpuE5ELNS1_3repE0EEENS1_59segmented_radix_sort_warp_sort_small_config_static_selectorELNS0_4arch9wavefront6targetE1EEEvSK_ ; -- Begin function _ZN7rocprim17ROCPRIM_400000_NS6detail17trampoline_kernelINS0_14default_configENS1_36segmented_radix_sort_config_selectorIflEEZNS1_25segmented_radix_sort_implIS3_Lb1EPKfPfPKlPlN2at6native12_GLOBAL__N_18offset_tEEE10hipError_tPvRmT1_PNSt15iterator_traitsISK_E10value_typeET2_T3_PNSL_ISQ_E10value_typeET4_jRbjT5_SW_jjP12ihipStream_tbEUlT_E1_NS1_11comp_targetILNS1_3genE10ELNS1_11target_archE1201ELNS1_3gpuE5ELNS1_3repE0EEENS1_59segmented_radix_sort_warp_sort_small_config_static_selectorELNS0_4arch9wavefront6targetE1EEEvSK_
	.p2align	8
	.type	_ZN7rocprim17ROCPRIM_400000_NS6detail17trampoline_kernelINS0_14default_configENS1_36segmented_radix_sort_config_selectorIflEEZNS1_25segmented_radix_sort_implIS3_Lb1EPKfPfPKlPlN2at6native12_GLOBAL__N_18offset_tEEE10hipError_tPvRmT1_PNSt15iterator_traitsISK_E10value_typeET2_T3_PNSL_ISQ_E10value_typeET4_jRbjT5_SW_jjP12ihipStream_tbEUlT_E1_NS1_11comp_targetILNS1_3genE10ELNS1_11target_archE1201ELNS1_3gpuE5ELNS1_3repE0EEENS1_59segmented_radix_sort_warp_sort_small_config_static_selectorELNS0_4arch9wavefront6targetE1EEEvSK_,@function
_ZN7rocprim17ROCPRIM_400000_NS6detail17trampoline_kernelINS0_14default_configENS1_36segmented_radix_sort_config_selectorIflEEZNS1_25segmented_radix_sort_implIS3_Lb1EPKfPfPKlPlN2at6native12_GLOBAL__N_18offset_tEEE10hipError_tPvRmT1_PNSt15iterator_traitsISK_E10value_typeET2_T3_PNSL_ISQ_E10value_typeET4_jRbjT5_SW_jjP12ihipStream_tbEUlT_E1_NS1_11comp_targetILNS1_3genE10ELNS1_11target_archE1201ELNS1_3gpuE5ELNS1_3repE0EEENS1_59segmented_radix_sort_warp_sort_small_config_static_selectorELNS0_4arch9wavefront6targetE1EEEvSK_: ; @_ZN7rocprim17ROCPRIM_400000_NS6detail17trampoline_kernelINS0_14default_configENS1_36segmented_radix_sort_config_selectorIflEEZNS1_25segmented_radix_sort_implIS3_Lb1EPKfPfPKlPlN2at6native12_GLOBAL__N_18offset_tEEE10hipError_tPvRmT1_PNSt15iterator_traitsISK_E10value_typeET2_T3_PNSL_ISQ_E10value_typeET4_jRbjT5_SW_jjP12ihipStream_tbEUlT_E1_NS1_11comp_targetILNS1_3genE10ELNS1_11target_archE1201ELNS1_3gpuE5ELNS1_3repE0EEENS1_59segmented_radix_sort_warp_sort_small_config_static_selectorELNS0_4arch9wavefront6targetE1EEEvSK_
; %bb.0:
	.section	.rodata,"a",@progbits
	.p2align	6, 0x0
	.amdhsa_kernel _ZN7rocprim17ROCPRIM_400000_NS6detail17trampoline_kernelINS0_14default_configENS1_36segmented_radix_sort_config_selectorIflEEZNS1_25segmented_radix_sort_implIS3_Lb1EPKfPfPKlPlN2at6native12_GLOBAL__N_18offset_tEEE10hipError_tPvRmT1_PNSt15iterator_traitsISK_E10value_typeET2_T3_PNSL_ISQ_E10value_typeET4_jRbjT5_SW_jjP12ihipStream_tbEUlT_E1_NS1_11comp_targetILNS1_3genE10ELNS1_11target_archE1201ELNS1_3gpuE5ELNS1_3repE0EEENS1_59segmented_radix_sort_warp_sort_small_config_static_selectorELNS0_4arch9wavefront6targetE1EEEvSK_
		.amdhsa_group_segment_fixed_size 0
		.amdhsa_private_segment_fixed_size 0
		.amdhsa_kernarg_size 88
		.amdhsa_user_sgpr_count 6
		.amdhsa_user_sgpr_private_segment_buffer 1
		.amdhsa_user_sgpr_dispatch_ptr 0
		.amdhsa_user_sgpr_queue_ptr 0
		.amdhsa_user_sgpr_kernarg_segment_ptr 1
		.amdhsa_user_sgpr_dispatch_id 0
		.amdhsa_user_sgpr_flat_scratch_init 0
		.amdhsa_user_sgpr_private_segment_size 0
		.amdhsa_uses_dynamic_stack 0
		.amdhsa_system_sgpr_private_segment_wavefront_offset 0
		.amdhsa_system_sgpr_workgroup_id_x 1
		.amdhsa_system_sgpr_workgroup_id_y 0
		.amdhsa_system_sgpr_workgroup_id_z 0
		.amdhsa_system_sgpr_workgroup_info 0
		.amdhsa_system_vgpr_workitem_id 0
		.amdhsa_next_free_vgpr 1
		.amdhsa_next_free_sgpr 0
		.amdhsa_reserve_vcc 0
		.amdhsa_reserve_flat_scratch 0
		.amdhsa_float_round_mode_32 0
		.amdhsa_float_round_mode_16_64 0
		.amdhsa_float_denorm_mode_32 3
		.amdhsa_float_denorm_mode_16_64 3
		.amdhsa_dx10_clamp 1
		.amdhsa_ieee_mode 1
		.amdhsa_fp16_overflow 0
		.amdhsa_exception_fp_ieee_invalid_op 0
		.amdhsa_exception_fp_denorm_src 0
		.amdhsa_exception_fp_ieee_div_zero 0
		.amdhsa_exception_fp_ieee_overflow 0
		.amdhsa_exception_fp_ieee_underflow 0
		.amdhsa_exception_fp_ieee_inexact 0
		.amdhsa_exception_int_div_zero 0
	.end_amdhsa_kernel
	.section	.text._ZN7rocprim17ROCPRIM_400000_NS6detail17trampoline_kernelINS0_14default_configENS1_36segmented_radix_sort_config_selectorIflEEZNS1_25segmented_radix_sort_implIS3_Lb1EPKfPfPKlPlN2at6native12_GLOBAL__N_18offset_tEEE10hipError_tPvRmT1_PNSt15iterator_traitsISK_E10value_typeET2_T3_PNSL_ISQ_E10value_typeET4_jRbjT5_SW_jjP12ihipStream_tbEUlT_E1_NS1_11comp_targetILNS1_3genE10ELNS1_11target_archE1201ELNS1_3gpuE5ELNS1_3repE0EEENS1_59segmented_radix_sort_warp_sort_small_config_static_selectorELNS0_4arch9wavefront6targetE1EEEvSK_,"axG",@progbits,_ZN7rocprim17ROCPRIM_400000_NS6detail17trampoline_kernelINS0_14default_configENS1_36segmented_radix_sort_config_selectorIflEEZNS1_25segmented_radix_sort_implIS3_Lb1EPKfPfPKlPlN2at6native12_GLOBAL__N_18offset_tEEE10hipError_tPvRmT1_PNSt15iterator_traitsISK_E10value_typeET2_T3_PNSL_ISQ_E10value_typeET4_jRbjT5_SW_jjP12ihipStream_tbEUlT_E1_NS1_11comp_targetILNS1_3genE10ELNS1_11target_archE1201ELNS1_3gpuE5ELNS1_3repE0EEENS1_59segmented_radix_sort_warp_sort_small_config_static_selectorELNS0_4arch9wavefront6targetE1EEEvSK_,comdat
.Lfunc_end1351:
	.size	_ZN7rocprim17ROCPRIM_400000_NS6detail17trampoline_kernelINS0_14default_configENS1_36segmented_radix_sort_config_selectorIflEEZNS1_25segmented_radix_sort_implIS3_Lb1EPKfPfPKlPlN2at6native12_GLOBAL__N_18offset_tEEE10hipError_tPvRmT1_PNSt15iterator_traitsISK_E10value_typeET2_T3_PNSL_ISQ_E10value_typeET4_jRbjT5_SW_jjP12ihipStream_tbEUlT_E1_NS1_11comp_targetILNS1_3genE10ELNS1_11target_archE1201ELNS1_3gpuE5ELNS1_3repE0EEENS1_59segmented_radix_sort_warp_sort_small_config_static_selectorELNS0_4arch9wavefront6targetE1EEEvSK_, .Lfunc_end1351-_ZN7rocprim17ROCPRIM_400000_NS6detail17trampoline_kernelINS0_14default_configENS1_36segmented_radix_sort_config_selectorIflEEZNS1_25segmented_radix_sort_implIS3_Lb1EPKfPfPKlPlN2at6native12_GLOBAL__N_18offset_tEEE10hipError_tPvRmT1_PNSt15iterator_traitsISK_E10value_typeET2_T3_PNSL_ISQ_E10value_typeET4_jRbjT5_SW_jjP12ihipStream_tbEUlT_E1_NS1_11comp_targetILNS1_3genE10ELNS1_11target_archE1201ELNS1_3gpuE5ELNS1_3repE0EEENS1_59segmented_radix_sort_warp_sort_small_config_static_selectorELNS0_4arch9wavefront6targetE1EEEvSK_
                                        ; -- End function
	.set _ZN7rocprim17ROCPRIM_400000_NS6detail17trampoline_kernelINS0_14default_configENS1_36segmented_radix_sort_config_selectorIflEEZNS1_25segmented_radix_sort_implIS3_Lb1EPKfPfPKlPlN2at6native12_GLOBAL__N_18offset_tEEE10hipError_tPvRmT1_PNSt15iterator_traitsISK_E10value_typeET2_T3_PNSL_ISQ_E10value_typeET4_jRbjT5_SW_jjP12ihipStream_tbEUlT_E1_NS1_11comp_targetILNS1_3genE10ELNS1_11target_archE1201ELNS1_3gpuE5ELNS1_3repE0EEENS1_59segmented_radix_sort_warp_sort_small_config_static_selectorELNS0_4arch9wavefront6targetE1EEEvSK_.num_vgpr, 0
	.set _ZN7rocprim17ROCPRIM_400000_NS6detail17trampoline_kernelINS0_14default_configENS1_36segmented_radix_sort_config_selectorIflEEZNS1_25segmented_radix_sort_implIS3_Lb1EPKfPfPKlPlN2at6native12_GLOBAL__N_18offset_tEEE10hipError_tPvRmT1_PNSt15iterator_traitsISK_E10value_typeET2_T3_PNSL_ISQ_E10value_typeET4_jRbjT5_SW_jjP12ihipStream_tbEUlT_E1_NS1_11comp_targetILNS1_3genE10ELNS1_11target_archE1201ELNS1_3gpuE5ELNS1_3repE0EEENS1_59segmented_radix_sort_warp_sort_small_config_static_selectorELNS0_4arch9wavefront6targetE1EEEvSK_.num_agpr, 0
	.set _ZN7rocprim17ROCPRIM_400000_NS6detail17trampoline_kernelINS0_14default_configENS1_36segmented_radix_sort_config_selectorIflEEZNS1_25segmented_radix_sort_implIS3_Lb1EPKfPfPKlPlN2at6native12_GLOBAL__N_18offset_tEEE10hipError_tPvRmT1_PNSt15iterator_traitsISK_E10value_typeET2_T3_PNSL_ISQ_E10value_typeET4_jRbjT5_SW_jjP12ihipStream_tbEUlT_E1_NS1_11comp_targetILNS1_3genE10ELNS1_11target_archE1201ELNS1_3gpuE5ELNS1_3repE0EEENS1_59segmented_radix_sort_warp_sort_small_config_static_selectorELNS0_4arch9wavefront6targetE1EEEvSK_.numbered_sgpr, 0
	.set _ZN7rocprim17ROCPRIM_400000_NS6detail17trampoline_kernelINS0_14default_configENS1_36segmented_radix_sort_config_selectorIflEEZNS1_25segmented_radix_sort_implIS3_Lb1EPKfPfPKlPlN2at6native12_GLOBAL__N_18offset_tEEE10hipError_tPvRmT1_PNSt15iterator_traitsISK_E10value_typeET2_T3_PNSL_ISQ_E10value_typeET4_jRbjT5_SW_jjP12ihipStream_tbEUlT_E1_NS1_11comp_targetILNS1_3genE10ELNS1_11target_archE1201ELNS1_3gpuE5ELNS1_3repE0EEENS1_59segmented_radix_sort_warp_sort_small_config_static_selectorELNS0_4arch9wavefront6targetE1EEEvSK_.num_named_barrier, 0
	.set _ZN7rocprim17ROCPRIM_400000_NS6detail17trampoline_kernelINS0_14default_configENS1_36segmented_radix_sort_config_selectorIflEEZNS1_25segmented_radix_sort_implIS3_Lb1EPKfPfPKlPlN2at6native12_GLOBAL__N_18offset_tEEE10hipError_tPvRmT1_PNSt15iterator_traitsISK_E10value_typeET2_T3_PNSL_ISQ_E10value_typeET4_jRbjT5_SW_jjP12ihipStream_tbEUlT_E1_NS1_11comp_targetILNS1_3genE10ELNS1_11target_archE1201ELNS1_3gpuE5ELNS1_3repE0EEENS1_59segmented_radix_sort_warp_sort_small_config_static_selectorELNS0_4arch9wavefront6targetE1EEEvSK_.private_seg_size, 0
	.set _ZN7rocprim17ROCPRIM_400000_NS6detail17trampoline_kernelINS0_14default_configENS1_36segmented_radix_sort_config_selectorIflEEZNS1_25segmented_radix_sort_implIS3_Lb1EPKfPfPKlPlN2at6native12_GLOBAL__N_18offset_tEEE10hipError_tPvRmT1_PNSt15iterator_traitsISK_E10value_typeET2_T3_PNSL_ISQ_E10value_typeET4_jRbjT5_SW_jjP12ihipStream_tbEUlT_E1_NS1_11comp_targetILNS1_3genE10ELNS1_11target_archE1201ELNS1_3gpuE5ELNS1_3repE0EEENS1_59segmented_radix_sort_warp_sort_small_config_static_selectorELNS0_4arch9wavefront6targetE1EEEvSK_.uses_vcc, 0
	.set _ZN7rocprim17ROCPRIM_400000_NS6detail17trampoline_kernelINS0_14default_configENS1_36segmented_radix_sort_config_selectorIflEEZNS1_25segmented_radix_sort_implIS3_Lb1EPKfPfPKlPlN2at6native12_GLOBAL__N_18offset_tEEE10hipError_tPvRmT1_PNSt15iterator_traitsISK_E10value_typeET2_T3_PNSL_ISQ_E10value_typeET4_jRbjT5_SW_jjP12ihipStream_tbEUlT_E1_NS1_11comp_targetILNS1_3genE10ELNS1_11target_archE1201ELNS1_3gpuE5ELNS1_3repE0EEENS1_59segmented_radix_sort_warp_sort_small_config_static_selectorELNS0_4arch9wavefront6targetE1EEEvSK_.uses_flat_scratch, 0
	.set _ZN7rocprim17ROCPRIM_400000_NS6detail17trampoline_kernelINS0_14default_configENS1_36segmented_radix_sort_config_selectorIflEEZNS1_25segmented_radix_sort_implIS3_Lb1EPKfPfPKlPlN2at6native12_GLOBAL__N_18offset_tEEE10hipError_tPvRmT1_PNSt15iterator_traitsISK_E10value_typeET2_T3_PNSL_ISQ_E10value_typeET4_jRbjT5_SW_jjP12ihipStream_tbEUlT_E1_NS1_11comp_targetILNS1_3genE10ELNS1_11target_archE1201ELNS1_3gpuE5ELNS1_3repE0EEENS1_59segmented_radix_sort_warp_sort_small_config_static_selectorELNS0_4arch9wavefront6targetE1EEEvSK_.has_dyn_sized_stack, 0
	.set _ZN7rocprim17ROCPRIM_400000_NS6detail17trampoline_kernelINS0_14default_configENS1_36segmented_radix_sort_config_selectorIflEEZNS1_25segmented_radix_sort_implIS3_Lb1EPKfPfPKlPlN2at6native12_GLOBAL__N_18offset_tEEE10hipError_tPvRmT1_PNSt15iterator_traitsISK_E10value_typeET2_T3_PNSL_ISQ_E10value_typeET4_jRbjT5_SW_jjP12ihipStream_tbEUlT_E1_NS1_11comp_targetILNS1_3genE10ELNS1_11target_archE1201ELNS1_3gpuE5ELNS1_3repE0EEENS1_59segmented_radix_sort_warp_sort_small_config_static_selectorELNS0_4arch9wavefront6targetE1EEEvSK_.has_recursion, 0
	.set _ZN7rocprim17ROCPRIM_400000_NS6detail17trampoline_kernelINS0_14default_configENS1_36segmented_radix_sort_config_selectorIflEEZNS1_25segmented_radix_sort_implIS3_Lb1EPKfPfPKlPlN2at6native12_GLOBAL__N_18offset_tEEE10hipError_tPvRmT1_PNSt15iterator_traitsISK_E10value_typeET2_T3_PNSL_ISQ_E10value_typeET4_jRbjT5_SW_jjP12ihipStream_tbEUlT_E1_NS1_11comp_targetILNS1_3genE10ELNS1_11target_archE1201ELNS1_3gpuE5ELNS1_3repE0EEENS1_59segmented_radix_sort_warp_sort_small_config_static_selectorELNS0_4arch9wavefront6targetE1EEEvSK_.has_indirect_call, 0
	.section	.AMDGPU.csdata,"",@progbits
; Kernel info:
; codeLenInByte = 0
; TotalNumSgprs: 4
; NumVgprs: 0
; ScratchSize: 0
; MemoryBound: 0
; FloatMode: 240
; IeeeMode: 1
; LDSByteSize: 0 bytes/workgroup (compile time only)
; SGPRBlocks: 0
; VGPRBlocks: 0
; NumSGPRsForWavesPerEU: 4
; NumVGPRsForWavesPerEU: 1
; Occupancy: 10
; WaveLimiterHint : 0
; COMPUTE_PGM_RSRC2:SCRATCH_EN: 0
; COMPUTE_PGM_RSRC2:USER_SGPR: 6
; COMPUTE_PGM_RSRC2:TRAP_HANDLER: 0
; COMPUTE_PGM_RSRC2:TGID_X_EN: 1
; COMPUTE_PGM_RSRC2:TGID_Y_EN: 0
; COMPUTE_PGM_RSRC2:TGID_Z_EN: 0
; COMPUTE_PGM_RSRC2:TIDIG_COMP_CNT: 0
	.section	.text._ZN7rocprim17ROCPRIM_400000_NS6detail17trampoline_kernelINS0_14default_configENS1_36segmented_radix_sort_config_selectorIflEEZNS1_25segmented_radix_sort_implIS3_Lb1EPKfPfPKlPlN2at6native12_GLOBAL__N_18offset_tEEE10hipError_tPvRmT1_PNSt15iterator_traitsISK_E10value_typeET2_T3_PNSL_ISQ_E10value_typeET4_jRbjT5_SW_jjP12ihipStream_tbEUlT_E1_NS1_11comp_targetILNS1_3genE10ELNS1_11target_archE1200ELNS1_3gpuE4ELNS1_3repE0EEENS1_59segmented_radix_sort_warp_sort_small_config_static_selectorELNS0_4arch9wavefront6targetE1EEEvSK_,"axG",@progbits,_ZN7rocprim17ROCPRIM_400000_NS6detail17trampoline_kernelINS0_14default_configENS1_36segmented_radix_sort_config_selectorIflEEZNS1_25segmented_radix_sort_implIS3_Lb1EPKfPfPKlPlN2at6native12_GLOBAL__N_18offset_tEEE10hipError_tPvRmT1_PNSt15iterator_traitsISK_E10value_typeET2_T3_PNSL_ISQ_E10value_typeET4_jRbjT5_SW_jjP12ihipStream_tbEUlT_E1_NS1_11comp_targetILNS1_3genE10ELNS1_11target_archE1200ELNS1_3gpuE4ELNS1_3repE0EEENS1_59segmented_radix_sort_warp_sort_small_config_static_selectorELNS0_4arch9wavefront6targetE1EEEvSK_,comdat
	.globl	_ZN7rocprim17ROCPRIM_400000_NS6detail17trampoline_kernelINS0_14default_configENS1_36segmented_radix_sort_config_selectorIflEEZNS1_25segmented_radix_sort_implIS3_Lb1EPKfPfPKlPlN2at6native12_GLOBAL__N_18offset_tEEE10hipError_tPvRmT1_PNSt15iterator_traitsISK_E10value_typeET2_T3_PNSL_ISQ_E10value_typeET4_jRbjT5_SW_jjP12ihipStream_tbEUlT_E1_NS1_11comp_targetILNS1_3genE10ELNS1_11target_archE1200ELNS1_3gpuE4ELNS1_3repE0EEENS1_59segmented_radix_sort_warp_sort_small_config_static_selectorELNS0_4arch9wavefront6targetE1EEEvSK_ ; -- Begin function _ZN7rocprim17ROCPRIM_400000_NS6detail17trampoline_kernelINS0_14default_configENS1_36segmented_radix_sort_config_selectorIflEEZNS1_25segmented_radix_sort_implIS3_Lb1EPKfPfPKlPlN2at6native12_GLOBAL__N_18offset_tEEE10hipError_tPvRmT1_PNSt15iterator_traitsISK_E10value_typeET2_T3_PNSL_ISQ_E10value_typeET4_jRbjT5_SW_jjP12ihipStream_tbEUlT_E1_NS1_11comp_targetILNS1_3genE10ELNS1_11target_archE1200ELNS1_3gpuE4ELNS1_3repE0EEENS1_59segmented_radix_sort_warp_sort_small_config_static_selectorELNS0_4arch9wavefront6targetE1EEEvSK_
	.p2align	8
	.type	_ZN7rocprim17ROCPRIM_400000_NS6detail17trampoline_kernelINS0_14default_configENS1_36segmented_radix_sort_config_selectorIflEEZNS1_25segmented_radix_sort_implIS3_Lb1EPKfPfPKlPlN2at6native12_GLOBAL__N_18offset_tEEE10hipError_tPvRmT1_PNSt15iterator_traitsISK_E10value_typeET2_T3_PNSL_ISQ_E10value_typeET4_jRbjT5_SW_jjP12ihipStream_tbEUlT_E1_NS1_11comp_targetILNS1_3genE10ELNS1_11target_archE1200ELNS1_3gpuE4ELNS1_3repE0EEENS1_59segmented_radix_sort_warp_sort_small_config_static_selectorELNS0_4arch9wavefront6targetE1EEEvSK_,@function
_ZN7rocprim17ROCPRIM_400000_NS6detail17trampoline_kernelINS0_14default_configENS1_36segmented_radix_sort_config_selectorIflEEZNS1_25segmented_radix_sort_implIS3_Lb1EPKfPfPKlPlN2at6native12_GLOBAL__N_18offset_tEEE10hipError_tPvRmT1_PNSt15iterator_traitsISK_E10value_typeET2_T3_PNSL_ISQ_E10value_typeET4_jRbjT5_SW_jjP12ihipStream_tbEUlT_E1_NS1_11comp_targetILNS1_3genE10ELNS1_11target_archE1200ELNS1_3gpuE4ELNS1_3repE0EEENS1_59segmented_radix_sort_warp_sort_small_config_static_selectorELNS0_4arch9wavefront6targetE1EEEvSK_: ; @_ZN7rocprim17ROCPRIM_400000_NS6detail17trampoline_kernelINS0_14default_configENS1_36segmented_radix_sort_config_selectorIflEEZNS1_25segmented_radix_sort_implIS3_Lb1EPKfPfPKlPlN2at6native12_GLOBAL__N_18offset_tEEE10hipError_tPvRmT1_PNSt15iterator_traitsISK_E10value_typeET2_T3_PNSL_ISQ_E10value_typeET4_jRbjT5_SW_jjP12ihipStream_tbEUlT_E1_NS1_11comp_targetILNS1_3genE10ELNS1_11target_archE1200ELNS1_3gpuE4ELNS1_3repE0EEENS1_59segmented_radix_sort_warp_sort_small_config_static_selectorELNS0_4arch9wavefront6targetE1EEEvSK_
; %bb.0:
	.section	.rodata,"a",@progbits
	.p2align	6, 0x0
	.amdhsa_kernel _ZN7rocprim17ROCPRIM_400000_NS6detail17trampoline_kernelINS0_14default_configENS1_36segmented_radix_sort_config_selectorIflEEZNS1_25segmented_radix_sort_implIS3_Lb1EPKfPfPKlPlN2at6native12_GLOBAL__N_18offset_tEEE10hipError_tPvRmT1_PNSt15iterator_traitsISK_E10value_typeET2_T3_PNSL_ISQ_E10value_typeET4_jRbjT5_SW_jjP12ihipStream_tbEUlT_E1_NS1_11comp_targetILNS1_3genE10ELNS1_11target_archE1200ELNS1_3gpuE4ELNS1_3repE0EEENS1_59segmented_radix_sort_warp_sort_small_config_static_selectorELNS0_4arch9wavefront6targetE1EEEvSK_
		.amdhsa_group_segment_fixed_size 0
		.amdhsa_private_segment_fixed_size 0
		.amdhsa_kernarg_size 88
		.amdhsa_user_sgpr_count 6
		.amdhsa_user_sgpr_private_segment_buffer 1
		.amdhsa_user_sgpr_dispatch_ptr 0
		.amdhsa_user_sgpr_queue_ptr 0
		.amdhsa_user_sgpr_kernarg_segment_ptr 1
		.amdhsa_user_sgpr_dispatch_id 0
		.amdhsa_user_sgpr_flat_scratch_init 0
		.amdhsa_user_sgpr_private_segment_size 0
		.amdhsa_uses_dynamic_stack 0
		.amdhsa_system_sgpr_private_segment_wavefront_offset 0
		.amdhsa_system_sgpr_workgroup_id_x 1
		.amdhsa_system_sgpr_workgroup_id_y 0
		.amdhsa_system_sgpr_workgroup_id_z 0
		.amdhsa_system_sgpr_workgroup_info 0
		.amdhsa_system_vgpr_workitem_id 0
		.amdhsa_next_free_vgpr 1
		.amdhsa_next_free_sgpr 0
		.amdhsa_reserve_vcc 0
		.amdhsa_reserve_flat_scratch 0
		.amdhsa_float_round_mode_32 0
		.amdhsa_float_round_mode_16_64 0
		.amdhsa_float_denorm_mode_32 3
		.amdhsa_float_denorm_mode_16_64 3
		.amdhsa_dx10_clamp 1
		.amdhsa_ieee_mode 1
		.amdhsa_fp16_overflow 0
		.amdhsa_exception_fp_ieee_invalid_op 0
		.amdhsa_exception_fp_denorm_src 0
		.amdhsa_exception_fp_ieee_div_zero 0
		.amdhsa_exception_fp_ieee_overflow 0
		.amdhsa_exception_fp_ieee_underflow 0
		.amdhsa_exception_fp_ieee_inexact 0
		.amdhsa_exception_int_div_zero 0
	.end_amdhsa_kernel
	.section	.text._ZN7rocprim17ROCPRIM_400000_NS6detail17trampoline_kernelINS0_14default_configENS1_36segmented_radix_sort_config_selectorIflEEZNS1_25segmented_radix_sort_implIS3_Lb1EPKfPfPKlPlN2at6native12_GLOBAL__N_18offset_tEEE10hipError_tPvRmT1_PNSt15iterator_traitsISK_E10value_typeET2_T3_PNSL_ISQ_E10value_typeET4_jRbjT5_SW_jjP12ihipStream_tbEUlT_E1_NS1_11comp_targetILNS1_3genE10ELNS1_11target_archE1200ELNS1_3gpuE4ELNS1_3repE0EEENS1_59segmented_radix_sort_warp_sort_small_config_static_selectorELNS0_4arch9wavefront6targetE1EEEvSK_,"axG",@progbits,_ZN7rocprim17ROCPRIM_400000_NS6detail17trampoline_kernelINS0_14default_configENS1_36segmented_radix_sort_config_selectorIflEEZNS1_25segmented_radix_sort_implIS3_Lb1EPKfPfPKlPlN2at6native12_GLOBAL__N_18offset_tEEE10hipError_tPvRmT1_PNSt15iterator_traitsISK_E10value_typeET2_T3_PNSL_ISQ_E10value_typeET4_jRbjT5_SW_jjP12ihipStream_tbEUlT_E1_NS1_11comp_targetILNS1_3genE10ELNS1_11target_archE1200ELNS1_3gpuE4ELNS1_3repE0EEENS1_59segmented_radix_sort_warp_sort_small_config_static_selectorELNS0_4arch9wavefront6targetE1EEEvSK_,comdat
.Lfunc_end1352:
	.size	_ZN7rocprim17ROCPRIM_400000_NS6detail17trampoline_kernelINS0_14default_configENS1_36segmented_radix_sort_config_selectorIflEEZNS1_25segmented_radix_sort_implIS3_Lb1EPKfPfPKlPlN2at6native12_GLOBAL__N_18offset_tEEE10hipError_tPvRmT1_PNSt15iterator_traitsISK_E10value_typeET2_T3_PNSL_ISQ_E10value_typeET4_jRbjT5_SW_jjP12ihipStream_tbEUlT_E1_NS1_11comp_targetILNS1_3genE10ELNS1_11target_archE1200ELNS1_3gpuE4ELNS1_3repE0EEENS1_59segmented_radix_sort_warp_sort_small_config_static_selectorELNS0_4arch9wavefront6targetE1EEEvSK_, .Lfunc_end1352-_ZN7rocprim17ROCPRIM_400000_NS6detail17trampoline_kernelINS0_14default_configENS1_36segmented_radix_sort_config_selectorIflEEZNS1_25segmented_radix_sort_implIS3_Lb1EPKfPfPKlPlN2at6native12_GLOBAL__N_18offset_tEEE10hipError_tPvRmT1_PNSt15iterator_traitsISK_E10value_typeET2_T3_PNSL_ISQ_E10value_typeET4_jRbjT5_SW_jjP12ihipStream_tbEUlT_E1_NS1_11comp_targetILNS1_3genE10ELNS1_11target_archE1200ELNS1_3gpuE4ELNS1_3repE0EEENS1_59segmented_radix_sort_warp_sort_small_config_static_selectorELNS0_4arch9wavefront6targetE1EEEvSK_
                                        ; -- End function
	.set _ZN7rocprim17ROCPRIM_400000_NS6detail17trampoline_kernelINS0_14default_configENS1_36segmented_radix_sort_config_selectorIflEEZNS1_25segmented_radix_sort_implIS3_Lb1EPKfPfPKlPlN2at6native12_GLOBAL__N_18offset_tEEE10hipError_tPvRmT1_PNSt15iterator_traitsISK_E10value_typeET2_T3_PNSL_ISQ_E10value_typeET4_jRbjT5_SW_jjP12ihipStream_tbEUlT_E1_NS1_11comp_targetILNS1_3genE10ELNS1_11target_archE1200ELNS1_3gpuE4ELNS1_3repE0EEENS1_59segmented_radix_sort_warp_sort_small_config_static_selectorELNS0_4arch9wavefront6targetE1EEEvSK_.num_vgpr, 0
	.set _ZN7rocprim17ROCPRIM_400000_NS6detail17trampoline_kernelINS0_14default_configENS1_36segmented_radix_sort_config_selectorIflEEZNS1_25segmented_radix_sort_implIS3_Lb1EPKfPfPKlPlN2at6native12_GLOBAL__N_18offset_tEEE10hipError_tPvRmT1_PNSt15iterator_traitsISK_E10value_typeET2_T3_PNSL_ISQ_E10value_typeET4_jRbjT5_SW_jjP12ihipStream_tbEUlT_E1_NS1_11comp_targetILNS1_3genE10ELNS1_11target_archE1200ELNS1_3gpuE4ELNS1_3repE0EEENS1_59segmented_radix_sort_warp_sort_small_config_static_selectorELNS0_4arch9wavefront6targetE1EEEvSK_.num_agpr, 0
	.set _ZN7rocprim17ROCPRIM_400000_NS6detail17trampoline_kernelINS0_14default_configENS1_36segmented_radix_sort_config_selectorIflEEZNS1_25segmented_radix_sort_implIS3_Lb1EPKfPfPKlPlN2at6native12_GLOBAL__N_18offset_tEEE10hipError_tPvRmT1_PNSt15iterator_traitsISK_E10value_typeET2_T3_PNSL_ISQ_E10value_typeET4_jRbjT5_SW_jjP12ihipStream_tbEUlT_E1_NS1_11comp_targetILNS1_3genE10ELNS1_11target_archE1200ELNS1_3gpuE4ELNS1_3repE0EEENS1_59segmented_radix_sort_warp_sort_small_config_static_selectorELNS0_4arch9wavefront6targetE1EEEvSK_.numbered_sgpr, 0
	.set _ZN7rocprim17ROCPRIM_400000_NS6detail17trampoline_kernelINS0_14default_configENS1_36segmented_radix_sort_config_selectorIflEEZNS1_25segmented_radix_sort_implIS3_Lb1EPKfPfPKlPlN2at6native12_GLOBAL__N_18offset_tEEE10hipError_tPvRmT1_PNSt15iterator_traitsISK_E10value_typeET2_T3_PNSL_ISQ_E10value_typeET4_jRbjT5_SW_jjP12ihipStream_tbEUlT_E1_NS1_11comp_targetILNS1_3genE10ELNS1_11target_archE1200ELNS1_3gpuE4ELNS1_3repE0EEENS1_59segmented_radix_sort_warp_sort_small_config_static_selectorELNS0_4arch9wavefront6targetE1EEEvSK_.num_named_barrier, 0
	.set _ZN7rocprim17ROCPRIM_400000_NS6detail17trampoline_kernelINS0_14default_configENS1_36segmented_radix_sort_config_selectorIflEEZNS1_25segmented_radix_sort_implIS3_Lb1EPKfPfPKlPlN2at6native12_GLOBAL__N_18offset_tEEE10hipError_tPvRmT1_PNSt15iterator_traitsISK_E10value_typeET2_T3_PNSL_ISQ_E10value_typeET4_jRbjT5_SW_jjP12ihipStream_tbEUlT_E1_NS1_11comp_targetILNS1_3genE10ELNS1_11target_archE1200ELNS1_3gpuE4ELNS1_3repE0EEENS1_59segmented_radix_sort_warp_sort_small_config_static_selectorELNS0_4arch9wavefront6targetE1EEEvSK_.private_seg_size, 0
	.set _ZN7rocprim17ROCPRIM_400000_NS6detail17trampoline_kernelINS0_14default_configENS1_36segmented_radix_sort_config_selectorIflEEZNS1_25segmented_radix_sort_implIS3_Lb1EPKfPfPKlPlN2at6native12_GLOBAL__N_18offset_tEEE10hipError_tPvRmT1_PNSt15iterator_traitsISK_E10value_typeET2_T3_PNSL_ISQ_E10value_typeET4_jRbjT5_SW_jjP12ihipStream_tbEUlT_E1_NS1_11comp_targetILNS1_3genE10ELNS1_11target_archE1200ELNS1_3gpuE4ELNS1_3repE0EEENS1_59segmented_radix_sort_warp_sort_small_config_static_selectorELNS0_4arch9wavefront6targetE1EEEvSK_.uses_vcc, 0
	.set _ZN7rocprim17ROCPRIM_400000_NS6detail17trampoline_kernelINS0_14default_configENS1_36segmented_radix_sort_config_selectorIflEEZNS1_25segmented_radix_sort_implIS3_Lb1EPKfPfPKlPlN2at6native12_GLOBAL__N_18offset_tEEE10hipError_tPvRmT1_PNSt15iterator_traitsISK_E10value_typeET2_T3_PNSL_ISQ_E10value_typeET4_jRbjT5_SW_jjP12ihipStream_tbEUlT_E1_NS1_11comp_targetILNS1_3genE10ELNS1_11target_archE1200ELNS1_3gpuE4ELNS1_3repE0EEENS1_59segmented_radix_sort_warp_sort_small_config_static_selectorELNS0_4arch9wavefront6targetE1EEEvSK_.uses_flat_scratch, 0
	.set _ZN7rocprim17ROCPRIM_400000_NS6detail17trampoline_kernelINS0_14default_configENS1_36segmented_radix_sort_config_selectorIflEEZNS1_25segmented_radix_sort_implIS3_Lb1EPKfPfPKlPlN2at6native12_GLOBAL__N_18offset_tEEE10hipError_tPvRmT1_PNSt15iterator_traitsISK_E10value_typeET2_T3_PNSL_ISQ_E10value_typeET4_jRbjT5_SW_jjP12ihipStream_tbEUlT_E1_NS1_11comp_targetILNS1_3genE10ELNS1_11target_archE1200ELNS1_3gpuE4ELNS1_3repE0EEENS1_59segmented_radix_sort_warp_sort_small_config_static_selectorELNS0_4arch9wavefront6targetE1EEEvSK_.has_dyn_sized_stack, 0
	.set _ZN7rocprim17ROCPRIM_400000_NS6detail17trampoline_kernelINS0_14default_configENS1_36segmented_radix_sort_config_selectorIflEEZNS1_25segmented_radix_sort_implIS3_Lb1EPKfPfPKlPlN2at6native12_GLOBAL__N_18offset_tEEE10hipError_tPvRmT1_PNSt15iterator_traitsISK_E10value_typeET2_T3_PNSL_ISQ_E10value_typeET4_jRbjT5_SW_jjP12ihipStream_tbEUlT_E1_NS1_11comp_targetILNS1_3genE10ELNS1_11target_archE1200ELNS1_3gpuE4ELNS1_3repE0EEENS1_59segmented_radix_sort_warp_sort_small_config_static_selectorELNS0_4arch9wavefront6targetE1EEEvSK_.has_recursion, 0
	.set _ZN7rocprim17ROCPRIM_400000_NS6detail17trampoline_kernelINS0_14default_configENS1_36segmented_radix_sort_config_selectorIflEEZNS1_25segmented_radix_sort_implIS3_Lb1EPKfPfPKlPlN2at6native12_GLOBAL__N_18offset_tEEE10hipError_tPvRmT1_PNSt15iterator_traitsISK_E10value_typeET2_T3_PNSL_ISQ_E10value_typeET4_jRbjT5_SW_jjP12ihipStream_tbEUlT_E1_NS1_11comp_targetILNS1_3genE10ELNS1_11target_archE1200ELNS1_3gpuE4ELNS1_3repE0EEENS1_59segmented_radix_sort_warp_sort_small_config_static_selectorELNS0_4arch9wavefront6targetE1EEEvSK_.has_indirect_call, 0
	.section	.AMDGPU.csdata,"",@progbits
; Kernel info:
; codeLenInByte = 0
; TotalNumSgprs: 4
; NumVgprs: 0
; ScratchSize: 0
; MemoryBound: 0
; FloatMode: 240
; IeeeMode: 1
; LDSByteSize: 0 bytes/workgroup (compile time only)
; SGPRBlocks: 0
; VGPRBlocks: 0
; NumSGPRsForWavesPerEU: 4
; NumVGPRsForWavesPerEU: 1
; Occupancy: 10
; WaveLimiterHint : 0
; COMPUTE_PGM_RSRC2:SCRATCH_EN: 0
; COMPUTE_PGM_RSRC2:USER_SGPR: 6
; COMPUTE_PGM_RSRC2:TRAP_HANDLER: 0
; COMPUTE_PGM_RSRC2:TGID_X_EN: 1
; COMPUTE_PGM_RSRC2:TGID_Y_EN: 0
; COMPUTE_PGM_RSRC2:TGID_Z_EN: 0
; COMPUTE_PGM_RSRC2:TIDIG_COMP_CNT: 0
	.section	.text._ZN7rocprim17ROCPRIM_400000_NS6detail17trampoline_kernelINS0_14default_configENS1_36segmented_radix_sort_config_selectorIflEEZNS1_25segmented_radix_sort_implIS3_Lb1EPKfPfPKlPlN2at6native12_GLOBAL__N_18offset_tEEE10hipError_tPvRmT1_PNSt15iterator_traitsISK_E10value_typeET2_T3_PNSL_ISQ_E10value_typeET4_jRbjT5_SW_jjP12ihipStream_tbEUlT_E1_NS1_11comp_targetILNS1_3genE9ELNS1_11target_archE1100ELNS1_3gpuE3ELNS1_3repE0EEENS1_59segmented_radix_sort_warp_sort_small_config_static_selectorELNS0_4arch9wavefront6targetE1EEEvSK_,"axG",@progbits,_ZN7rocprim17ROCPRIM_400000_NS6detail17trampoline_kernelINS0_14default_configENS1_36segmented_radix_sort_config_selectorIflEEZNS1_25segmented_radix_sort_implIS3_Lb1EPKfPfPKlPlN2at6native12_GLOBAL__N_18offset_tEEE10hipError_tPvRmT1_PNSt15iterator_traitsISK_E10value_typeET2_T3_PNSL_ISQ_E10value_typeET4_jRbjT5_SW_jjP12ihipStream_tbEUlT_E1_NS1_11comp_targetILNS1_3genE9ELNS1_11target_archE1100ELNS1_3gpuE3ELNS1_3repE0EEENS1_59segmented_radix_sort_warp_sort_small_config_static_selectorELNS0_4arch9wavefront6targetE1EEEvSK_,comdat
	.globl	_ZN7rocprim17ROCPRIM_400000_NS6detail17trampoline_kernelINS0_14default_configENS1_36segmented_radix_sort_config_selectorIflEEZNS1_25segmented_radix_sort_implIS3_Lb1EPKfPfPKlPlN2at6native12_GLOBAL__N_18offset_tEEE10hipError_tPvRmT1_PNSt15iterator_traitsISK_E10value_typeET2_T3_PNSL_ISQ_E10value_typeET4_jRbjT5_SW_jjP12ihipStream_tbEUlT_E1_NS1_11comp_targetILNS1_3genE9ELNS1_11target_archE1100ELNS1_3gpuE3ELNS1_3repE0EEENS1_59segmented_radix_sort_warp_sort_small_config_static_selectorELNS0_4arch9wavefront6targetE1EEEvSK_ ; -- Begin function _ZN7rocprim17ROCPRIM_400000_NS6detail17trampoline_kernelINS0_14default_configENS1_36segmented_radix_sort_config_selectorIflEEZNS1_25segmented_radix_sort_implIS3_Lb1EPKfPfPKlPlN2at6native12_GLOBAL__N_18offset_tEEE10hipError_tPvRmT1_PNSt15iterator_traitsISK_E10value_typeET2_T3_PNSL_ISQ_E10value_typeET4_jRbjT5_SW_jjP12ihipStream_tbEUlT_E1_NS1_11comp_targetILNS1_3genE9ELNS1_11target_archE1100ELNS1_3gpuE3ELNS1_3repE0EEENS1_59segmented_radix_sort_warp_sort_small_config_static_selectorELNS0_4arch9wavefront6targetE1EEEvSK_
	.p2align	8
	.type	_ZN7rocprim17ROCPRIM_400000_NS6detail17trampoline_kernelINS0_14default_configENS1_36segmented_radix_sort_config_selectorIflEEZNS1_25segmented_radix_sort_implIS3_Lb1EPKfPfPKlPlN2at6native12_GLOBAL__N_18offset_tEEE10hipError_tPvRmT1_PNSt15iterator_traitsISK_E10value_typeET2_T3_PNSL_ISQ_E10value_typeET4_jRbjT5_SW_jjP12ihipStream_tbEUlT_E1_NS1_11comp_targetILNS1_3genE9ELNS1_11target_archE1100ELNS1_3gpuE3ELNS1_3repE0EEENS1_59segmented_radix_sort_warp_sort_small_config_static_selectorELNS0_4arch9wavefront6targetE1EEEvSK_,@function
_ZN7rocprim17ROCPRIM_400000_NS6detail17trampoline_kernelINS0_14default_configENS1_36segmented_radix_sort_config_selectorIflEEZNS1_25segmented_radix_sort_implIS3_Lb1EPKfPfPKlPlN2at6native12_GLOBAL__N_18offset_tEEE10hipError_tPvRmT1_PNSt15iterator_traitsISK_E10value_typeET2_T3_PNSL_ISQ_E10value_typeET4_jRbjT5_SW_jjP12ihipStream_tbEUlT_E1_NS1_11comp_targetILNS1_3genE9ELNS1_11target_archE1100ELNS1_3gpuE3ELNS1_3repE0EEENS1_59segmented_radix_sort_warp_sort_small_config_static_selectorELNS0_4arch9wavefront6targetE1EEEvSK_: ; @_ZN7rocprim17ROCPRIM_400000_NS6detail17trampoline_kernelINS0_14default_configENS1_36segmented_radix_sort_config_selectorIflEEZNS1_25segmented_radix_sort_implIS3_Lb1EPKfPfPKlPlN2at6native12_GLOBAL__N_18offset_tEEE10hipError_tPvRmT1_PNSt15iterator_traitsISK_E10value_typeET2_T3_PNSL_ISQ_E10value_typeET4_jRbjT5_SW_jjP12ihipStream_tbEUlT_E1_NS1_11comp_targetILNS1_3genE9ELNS1_11target_archE1100ELNS1_3gpuE3ELNS1_3repE0EEENS1_59segmented_radix_sort_warp_sort_small_config_static_selectorELNS0_4arch9wavefront6targetE1EEEvSK_
; %bb.0:
	.section	.rodata,"a",@progbits
	.p2align	6, 0x0
	.amdhsa_kernel _ZN7rocprim17ROCPRIM_400000_NS6detail17trampoline_kernelINS0_14default_configENS1_36segmented_radix_sort_config_selectorIflEEZNS1_25segmented_radix_sort_implIS3_Lb1EPKfPfPKlPlN2at6native12_GLOBAL__N_18offset_tEEE10hipError_tPvRmT1_PNSt15iterator_traitsISK_E10value_typeET2_T3_PNSL_ISQ_E10value_typeET4_jRbjT5_SW_jjP12ihipStream_tbEUlT_E1_NS1_11comp_targetILNS1_3genE9ELNS1_11target_archE1100ELNS1_3gpuE3ELNS1_3repE0EEENS1_59segmented_radix_sort_warp_sort_small_config_static_selectorELNS0_4arch9wavefront6targetE1EEEvSK_
		.amdhsa_group_segment_fixed_size 0
		.amdhsa_private_segment_fixed_size 0
		.amdhsa_kernarg_size 88
		.amdhsa_user_sgpr_count 6
		.amdhsa_user_sgpr_private_segment_buffer 1
		.amdhsa_user_sgpr_dispatch_ptr 0
		.amdhsa_user_sgpr_queue_ptr 0
		.amdhsa_user_sgpr_kernarg_segment_ptr 1
		.amdhsa_user_sgpr_dispatch_id 0
		.amdhsa_user_sgpr_flat_scratch_init 0
		.amdhsa_user_sgpr_private_segment_size 0
		.amdhsa_uses_dynamic_stack 0
		.amdhsa_system_sgpr_private_segment_wavefront_offset 0
		.amdhsa_system_sgpr_workgroup_id_x 1
		.amdhsa_system_sgpr_workgroup_id_y 0
		.amdhsa_system_sgpr_workgroup_id_z 0
		.amdhsa_system_sgpr_workgroup_info 0
		.amdhsa_system_vgpr_workitem_id 0
		.amdhsa_next_free_vgpr 1
		.amdhsa_next_free_sgpr 0
		.amdhsa_reserve_vcc 0
		.amdhsa_reserve_flat_scratch 0
		.amdhsa_float_round_mode_32 0
		.amdhsa_float_round_mode_16_64 0
		.amdhsa_float_denorm_mode_32 3
		.amdhsa_float_denorm_mode_16_64 3
		.amdhsa_dx10_clamp 1
		.amdhsa_ieee_mode 1
		.amdhsa_fp16_overflow 0
		.amdhsa_exception_fp_ieee_invalid_op 0
		.amdhsa_exception_fp_denorm_src 0
		.amdhsa_exception_fp_ieee_div_zero 0
		.amdhsa_exception_fp_ieee_overflow 0
		.amdhsa_exception_fp_ieee_underflow 0
		.amdhsa_exception_fp_ieee_inexact 0
		.amdhsa_exception_int_div_zero 0
	.end_amdhsa_kernel
	.section	.text._ZN7rocprim17ROCPRIM_400000_NS6detail17trampoline_kernelINS0_14default_configENS1_36segmented_radix_sort_config_selectorIflEEZNS1_25segmented_radix_sort_implIS3_Lb1EPKfPfPKlPlN2at6native12_GLOBAL__N_18offset_tEEE10hipError_tPvRmT1_PNSt15iterator_traitsISK_E10value_typeET2_T3_PNSL_ISQ_E10value_typeET4_jRbjT5_SW_jjP12ihipStream_tbEUlT_E1_NS1_11comp_targetILNS1_3genE9ELNS1_11target_archE1100ELNS1_3gpuE3ELNS1_3repE0EEENS1_59segmented_radix_sort_warp_sort_small_config_static_selectorELNS0_4arch9wavefront6targetE1EEEvSK_,"axG",@progbits,_ZN7rocprim17ROCPRIM_400000_NS6detail17trampoline_kernelINS0_14default_configENS1_36segmented_radix_sort_config_selectorIflEEZNS1_25segmented_radix_sort_implIS3_Lb1EPKfPfPKlPlN2at6native12_GLOBAL__N_18offset_tEEE10hipError_tPvRmT1_PNSt15iterator_traitsISK_E10value_typeET2_T3_PNSL_ISQ_E10value_typeET4_jRbjT5_SW_jjP12ihipStream_tbEUlT_E1_NS1_11comp_targetILNS1_3genE9ELNS1_11target_archE1100ELNS1_3gpuE3ELNS1_3repE0EEENS1_59segmented_radix_sort_warp_sort_small_config_static_selectorELNS0_4arch9wavefront6targetE1EEEvSK_,comdat
.Lfunc_end1353:
	.size	_ZN7rocprim17ROCPRIM_400000_NS6detail17trampoline_kernelINS0_14default_configENS1_36segmented_radix_sort_config_selectorIflEEZNS1_25segmented_radix_sort_implIS3_Lb1EPKfPfPKlPlN2at6native12_GLOBAL__N_18offset_tEEE10hipError_tPvRmT1_PNSt15iterator_traitsISK_E10value_typeET2_T3_PNSL_ISQ_E10value_typeET4_jRbjT5_SW_jjP12ihipStream_tbEUlT_E1_NS1_11comp_targetILNS1_3genE9ELNS1_11target_archE1100ELNS1_3gpuE3ELNS1_3repE0EEENS1_59segmented_radix_sort_warp_sort_small_config_static_selectorELNS0_4arch9wavefront6targetE1EEEvSK_, .Lfunc_end1353-_ZN7rocprim17ROCPRIM_400000_NS6detail17trampoline_kernelINS0_14default_configENS1_36segmented_radix_sort_config_selectorIflEEZNS1_25segmented_radix_sort_implIS3_Lb1EPKfPfPKlPlN2at6native12_GLOBAL__N_18offset_tEEE10hipError_tPvRmT1_PNSt15iterator_traitsISK_E10value_typeET2_T3_PNSL_ISQ_E10value_typeET4_jRbjT5_SW_jjP12ihipStream_tbEUlT_E1_NS1_11comp_targetILNS1_3genE9ELNS1_11target_archE1100ELNS1_3gpuE3ELNS1_3repE0EEENS1_59segmented_radix_sort_warp_sort_small_config_static_selectorELNS0_4arch9wavefront6targetE1EEEvSK_
                                        ; -- End function
	.set _ZN7rocprim17ROCPRIM_400000_NS6detail17trampoline_kernelINS0_14default_configENS1_36segmented_radix_sort_config_selectorIflEEZNS1_25segmented_radix_sort_implIS3_Lb1EPKfPfPKlPlN2at6native12_GLOBAL__N_18offset_tEEE10hipError_tPvRmT1_PNSt15iterator_traitsISK_E10value_typeET2_T3_PNSL_ISQ_E10value_typeET4_jRbjT5_SW_jjP12ihipStream_tbEUlT_E1_NS1_11comp_targetILNS1_3genE9ELNS1_11target_archE1100ELNS1_3gpuE3ELNS1_3repE0EEENS1_59segmented_radix_sort_warp_sort_small_config_static_selectorELNS0_4arch9wavefront6targetE1EEEvSK_.num_vgpr, 0
	.set _ZN7rocprim17ROCPRIM_400000_NS6detail17trampoline_kernelINS0_14default_configENS1_36segmented_radix_sort_config_selectorIflEEZNS1_25segmented_radix_sort_implIS3_Lb1EPKfPfPKlPlN2at6native12_GLOBAL__N_18offset_tEEE10hipError_tPvRmT1_PNSt15iterator_traitsISK_E10value_typeET2_T3_PNSL_ISQ_E10value_typeET4_jRbjT5_SW_jjP12ihipStream_tbEUlT_E1_NS1_11comp_targetILNS1_3genE9ELNS1_11target_archE1100ELNS1_3gpuE3ELNS1_3repE0EEENS1_59segmented_radix_sort_warp_sort_small_config_static_selectorELNS0_4arch9wavefront6targetE1EEEvSK_.num_agpr, 0
	.set _ZN7rocprim17ROCPRIM_400000_NS6detail17trampoline_kernelINS0_14default_configENS1_36segmented_radix_sort_config_selectorIflEEZNS1_25segmented_radix_sort_implIS3_Lb1EPKfPfPKlPlN2at6native12_GLOBAL__N_18offset_tEEE10hipError_tPvRmT1_PNSt15iterator_traitsISK_E10value_typeET2_T3_PNSL_ISQ_E10value_typeET4_jRbjT5_SW_jjP12ihipStream_tbEUlT_E1_NS1_11comp_targetILNS1_3genE9ELNS1_11target_archE1100ELNS1_3gpuE3ELNS1_3repE0EEENS1_59segmented_radix_sort_warp_sort_small_config_static_selectorELNS0_4arch9wavefront6targetE1EEEvSK_.numbered_sgpr, 0
	.set _ZN7rocprim17ROCPRIM_400000_NS6detail17trampoline_kernelINS0_14default_configENS1_36segmented_radix_sort_config_selectorIflEEZNS1_25segmented_radix_sort_implIS3_Lb1EPKfPfPKlPlN2at6native12_GLOBAL__N_18offset_tEEE10hipError_tPvRmT1_PNSt15iterator_traitsISK_E10value_typeET2_T3_PNSL_ISQ_E10value_typeET4_jRbjT5_SW_jjP12ihipStream_tbEUlT_E1_NS1_11comp_targetILNS1_3genE9ELNS1_11target_archE1100ELNS1_3gpuE3ELNS1_3repE0EEENS1_59segmented_radix_sort_warp_sort_small_config_static_selectorELNS0_4arch9wavefront6targetE1EEEvSK_.num_named_barrier, 0
	.set _ZN7rocprim17ROCPRIM_400000_NS6detail17trampoline_kernelINS0_14default_configENS1_36segmented_radix_sort_config_selectorIflEEZNS1_25segmented_radix_sort_implIS3_Lb1EPKfPfPKlPlN2at6native12_GLOBAL__N_18offset_tEEE10hipError_tPvRmT1_PNSt15iterator_traitsISK_E10value_typeET2_T3_PNSL_ISQ_E10value_typeET4_jRbjT5_SW_jjP12ihipStream_tbEUlT_E1_NS1_11comp_targetILNS1_3genE9ELNS1_11target_archE1100ELNS1_3gpuE3ELNS1_3repE0EEENS1_59segmented_radix_sort_warp_sort_small_config_static_selectorELNS0_4arch9wavefront6targetE1EEEvSK_.private_seg_size, 0
	.set _ZN7rocprim17ROCPRIM_400000_NS6detail17trampoline_kernelINS0_14default_configENS1_36segmented_radix_sort_config_selectorIflEEZNS1_25segmented_radix_sort_implIS3_Lb1EPKfPfPKlPlN2at6native12_GLOBAL__N_18offset_tEEE10hipError_tPvRmT1_PNSt15iterator_traitsISK_E10value_typeET2_T3_PNSL_ISQ_E10value_typeET4_jRbjT5_SW_jjP12ihipStream_tbEUlT_E1_NS1_11comp_targetILNS1_3genE9ELNS1_11target_archE1100ELNS1_3gpuE3ELNS1_3repE0EEENS1_59segmented_radix_sort_warp_sort_small_config_static_selectorELNS0_4arch9wavefront6targetE1EEEvSK_.uses_vcc, 0
	.set _ZN7rocprim17ROCPRIM_400000_NS6detail17trampoline_kernelINS0_14default_configENS1_36segmented_radix_sort_config_selectorIflEEZNS1_25segmented_radix_sort_implIS3_Lb1EPKfPfPKlPlN2at6native12_GLOBAL__N_18offset_tEEE10hipError_tPvRmT1_PNSt15iterator_traitsISK_E10value_typeET2_T3_PNSL_ISQ_E10value_typeET4_jRbjT5_SW_jjP12ihipStream_tbEUlT_E1_NS1_11comp_targetILNS1_3genE9ELNS1_11target_archE1100ELNS1_3gpuE3ELNS1_3repE0EEENS1_59segmented_radix_sort_warp_sort_small_config_static_selectorELNS0_4arch9wavefront6targetE1EEEvSK_.uses_flat_scratch, 0
	.set _ZN7rocprim17ROCPRIM_400000_NS6detail17trampoline_kernelINS0_14default_configENS1_36segmented_radix_sort_config_selectorIflEEZNS1_25segmented_radix_sort_implIS3_Lb1EPKfPfPKlPlN2at6native12_GLOBAL__N_18offset_tEEE10hipError_tPvRmT1_PNSt15iterator_traitsISK_E10value_typeET2_T3_PNSL_ISQ_E10value_typeET4_jRbjT5_SW_jjP12ihipStream_tbEUlT_E1_NS1_11comp_targetILNS1_3genE9ELNS1_11target_archE1100ELNS1_3gpuE3ELNS1_3repE0EEENS1_59segmented_radix_sort_warp_sort_small_config_static_selectorELNS0_4arch9wavefront6targetE1EEEvSK_.has_dyn_sized_stack, 0
	.set _ZN7rocprim17ROCPRIM_400000_NS6detail17trampoline_kernelINS0_14default_configENS1_36segmented_radix_sort_config_selectorIflEEZNS1_25segmented_radix_sort_implIS3_Lb1EPKfPfPKlPlN2at6native12_GLOBAL__N_18offset_tEEE10hipError_tPvRmT1_PNSt15iterator_traitsISK_E10value_typeET2_T3_PNSL_ISQ_E10value_typeET4_jRbjT5_SW_jjP12ihipStream_tbEUlT_E1_NS1_11comp_targetILNS1_3genE9ELNS1_11target_archE1100ELNS1_3gpuE3ELNS1_3repE0EEENS1_59segmented_radix_sort_warp_sort_small_config_static_selectorELNS0_4arch9wavefront6targetE1EEEvSK_.has_recursion, 0
	.set _ZN7rocprim17ROCPRIM_400000_NS6detail17trampoline_kernelINS0_14default_configENS1_36segmented_radix_sort_config_selectorIflEEZNS1_25segmented_radix_sort_implIS3_Lb1EPKfPfPKlPlN2at6native12_GLOBAL__N_18offset_tEEE10hipError_tPvRmT1_PNSt15iterator_traitsISK_E10value_typeET2_T3_PNSL_ISQ_E10value_typeET4_jRbjT5_SW_jjP12ihipStream_tbEUlT_E1_NS1_11comp_targetILNS1_3genE9ELNS1_11target_archE1100ELNS1_3gpuE3ELNS1_3repE0EEENS1_59segmented_radix_sort_warp_sort_small_config_static_selectorELNS0_4arch9wavefront6targetE1EEEvSK_.has_indirect_call, 0
	.section	.AMDGPU.csdata,"",@progbits
; Kernel info:
; codeLenInByte = 0
; TotalNumSgprs: 4
; NumVgprs: 0
; ScratchSize: 0
; MemoryBound: 0
; FloatMode: 240
; IeeeMode: 1
; LDSByteSize: 0 bytes/workgroup (compile time only)
; SGPRBlocks: 0
; VGPRBlocks: 0
; NumSGPRsForWavesPerEU: 4
; NumVGPRsForWavesPerEU: 1
; Occupancy: 10
; WaveLimiterHint : 0
; COMPUTE_PGM_RSRC2:SCRATCH_EN: 0
; COMPUTE_PGM_RSRC2:USER_SGPR: 6
; COMPUTE_PGM_RSRC2:TRAP_HANDLER: 0
; COMPUTE_PGM_RSRC2:TGID_X_EN: 1
; COMPUTE_PGM_RSRC2:TGID_Y_EN: 0
; COMPUTE_PGM_RSRC2:TGID_Z_EN: 0
; COMPUTE_PGM_RSRC2:TIDIG_COMP_CNT: 0
	.section	.text._ZN7rocprim17ROCPRIM_400000_NS6detail17trampoline_kernelINS0_14default_configENS1_36segmented_radix_sort_config_selectorIflEEZNS1_25segmented_radix_sort_implIS3_Lb1EPKfPfPKlPlN2at6native12_GLOBAL__N_18offset_tEEE10hipError_tPvRmT1_PNSt15iterator_traitsISK_E10value_typeET2_T3_PNSL_ISQ_E10value_typeET4_jRbjT5_SW_jjP12ihipStream_tbEUlT_E1_NS1_11comp_targetILNS1_3genE8ELNS1_11target_archE1030ELNS1_3gpuE2ELNS1_3repE0EEENS1_59segmented_radix_sort_warp_sort_small_config_static_selectorELNS0_4arch9wavefront6targetE1EEEvSK_,"axG",@progbits,_ZN7rocprim17ROCPRIM_400000_NS6detail17trampoline_kernelINS0_14default_configENS1_36segmented_radix_sort_config_selectorIflEEZNS1_25segmented_radix_sort_implIS3_Lb1EPKfPfPKlPlN2at6native12_GLOBAL__N_18offset_tEEE10hipError_tPvRmT1_PNSt15iterator_traitsISK_E10value_typeET2_T3_PNSL_ISQ_E10value_typeET4_jRbjT5_SW_jjP12ihipStream_tbEUlT_E1_NS1_11comp_targetILNS1_3genE8ELNS1_11target_archE1030ELNS1_3gpuE2ELNS1_3repE0EEENS1_59segmented_radix_sort_warp_sort_small_config_static_selectorELNS0_4arch9wavefront6targetE1EEEvSK_,comdat
	.globl	_ZN7rocprim17ROCPRIM_400000_NS6detail17trampoline_kernelINS0_14default_configENS1_36segmented_radix_sort_config_selectorIflEEZNS1_25segmented_radix_sort_implIS3_Lb1EPKfPfPKlPlN2at6native12_GLOBAL__N_18offset_tEEE10hipError_tPvRmT1_PNSt15iterator_traitsISK_E10value_typeET2_T3_PNSL_ISQ_E10value_typeET4_jRbjT5_SW_jjP12ihipStream_tbEUlT_E1_NS1_11comp_targetILNS1_3genE8ELNS1_11target_archE1030ELNS1_3gpuE2ELNS1_3repE0EEENS1_59segmented_radix_sort_warp_sort_small_config_static_selectorELNS0_4arch9wavefront6targetE1EEEvSK_ ; -- Begin function _ZN7rocprim17ROCPRIM_400000_NS6detail17trampoline_kernelINS0_14default_configENS1_36segmented_radix_sort_config_selectorIflEEZNS1_25segmented_radix_sort_implIS3_Lb1EPKfPfPKlPlN2at6native12_GLOBAL__N_18offset_tEEE10hipError_tPvRmT1_PNSt15iterator_traitsISK_E10value_typeET2_T3_PNSL_ISQ_E10value_typeET4_jRbjT5_SW_jjP12ihipStream_tbEUlT_E1_NS1_11comp_targetILNS1_3genE8ELNS1_11target_archE1030ELNS1_3gpuE2ELNS1_3repE0EEENS1_59segmented_radix_sort_warp_sort_small_config_static_selectorELNS0_4arch9wavefront6targetE1EEEvSK_
	.p2align	8
	.type	_ZN7rocprim17ROCPRIM_400000_NS6detail17trampoline_kernelINS0_14default_configENS1_36segmented_radix_sort_config_selectorIflEEZNS1_25segmented_radix_sort_implIS3_Lb1EPKfPfPKlPlN2at6native12_GLOBAL__N_18offset_tEEE10hipError_tPvRmT1_PNSt15iterator_traitsISK_E10value_typeET2_T3_PNSL_ISQ_E10value_typeET4_jRbjT5_SW_jjP12ihipStream_tbEUlT_E1_NS1_11comp_targetILNS1_3genE8ELNS1_11target_archE1030ELNS1_3gpuE2ELNS1_3repE0EEENS1_59segmented_radix_sort_warp_sort_small_config_static_selectorELNS0_4arch9wavefront6targetE1EEEvSK_,@function
_ZN7rocprim17ROCPRIM_400000_NS6detail17trampoline_kernelINS0_14default_configENS1_36segmented_radix_sort_config_selectorIflEEZNS1_25segmented_radix_sort_implIS3_Lb1EPKfPfPKlPlN2at6native12_GLOBAL__N_18offset_tEEE10hipError_tPvRmT1_PNSt15iterator_traitsISK_E10value_typeET2_T3_PNSL_ISQ_E10value_typeET4_jRbjT5_SW_jjP12ihipStream_tbEUlT_E1_NS1_11comp_targetILNS1_3genE8ELNS1_11target_archE1030ELNS1_3gpuE2ELNS1_3repE0EEENS1_59segmented_radix_sort_warp_sort_small_config_static_selectorELNS0_4arch9wavefront6targetE1EEEvSK_: ; @_ZN7rocprim17ROCPRIM_400000_NS6detail17trampoline_kernelINS0_14default_configENS1_36segmented_radix_sort_config_selectorIflEEZNS1_25segmented_radix_sort_implIS3_Lb1EPKfPfPKlPlN2at6native12_GLOBAL__N_18offset_tEEE10hipError_tPvRmT1_PNSt15iterator_traitsISK_E10value_typeET2_T3_PNSL_ISQ_E10value_typeET4_jRbjT5_SW_jjP12ihipStream_tbEUlT_E1_NS1_11comp_targetILNS1_3genE8ELNS1_11target_archE1030ELNS1_3gpuE2ELNS1_3repE0EEENS1_59segmented_radix_sort_warp_sort_small_config_static_selectorELNS0_4arch9wavefront6targetE1EEEvSK_
; %bb.0:
	.section	.rodata,"a",@progbits
	.p2align	6, 0x0
	.amdhsa_kernel _ZN7rocprim17ROCPRIM_400000_NS6detail17trampoline_kernelINS0_14default_configENS1_36segmented_radix_sort_config_selectorIflEEZNS1_25segmented_radix_sort_implIS3_Lb1EPKfPfPKlPlN2at6native12_GLOBAL__N_18offset_tEEE10hipError_tPvRmT1_PNSt15iterator_traitsISK_E10value_typeET2_T3_PNSL_ISQ_E10value_typeET4_jRbjT5_SW_jjP12ihipStream_tbEUlT_E1_NS1_11comp_targetILNS1_3genE8ELNS1_11target_archE1030ELNS1_3gpuE2ELNS1_3repE0EEENS1_59segmented_radix_sort_warp_sort_small_config_static_selectorELNS0_4arch9wavefront6targetE1EEEvSK_
		.amdhsa_group_segment_fixed_size 0
		.amdhsa_private_segment_fixed_size 0
		.amdhsa_kernarg_size 88
		.amdhsa_user_sgpr_count 6
		.amdhsa_user_sgpr_private_segment_buffer 1
		.amdhsa_user_sgpr_dispatch_ptr 0
		.amdhsa_user_sgpr_queue_ptr 0
		.amdhsa_user_sgpr_kernarg_segment_ptr 1
		.amdhsa_user_sgpr_dispatch_id 0
		.amdhsa_user_sgpr_flat_scratch_init 0
		.amdhsa_user_sgpr_private_segment_size 0
		.amdhsa_uses_dynamic_stack 0
		.amdhsa_system_sgpr_private_segment_wavefront_offset 0
		.amdhsa_system_sgpr_workgroup_id_x 1
		.amdhsa_system_sgpr_workgroup_id_y 0
		.amdhsa_system_sgpr_workgroup_id_z 0
		.amdhsa_system_sgpr_workgroup_info 0
		.amdhsa_system_vgpr_workitem_id 0
		.amdhsa_next_free_vgpr 1
		.amdhsa_next_free_sgpr 0
		.amdhsa_reserve_vcc 0
		.amdhsa_reserve_flat_scratch 0
		.amdhsa_float_round_mode_32 0
		.amdhsa_float_round_mode_16_64 0
		.amdhsa_float_denorm_mode_32 3
		.amdhsa_float_denorm_mode_16_64 3
		.amdhsa_dx10_clamp 1
		.amdhsa_ieee_mode 1
		.amdhsa_fp16_overflow 0
		.amdhsa_exception_fp_ieee_invalid_op 0
		.amdhsa_exception_fp_denorm_src 0
		.amdhsa_exception_fp_ieee_div_zero 0
		.amdhsa_exception_fp_ieee_overflow 0
		.amdhsa_exception_fp_ieee_underflow 0
		.amdhsa_exception_fp_ieee_inexact 0
		.amdhsa_exception_int_div_zero 0
	.end_amdhsa_kernel
	.section	.text._ZN7rocprim17ROCPRIM_400000_NS6detail17trampoline_kernelINS0_14default_configENS1_36segmented_radix_sort_config_selectorIflEEZNS1_25segmented_radix_sort_implIS3_Lb1EPKfPfPKlPlN2at6native12_GLOBAL__N_18offset_tEEE10hipError_tPvRmT1_PNSt15iterator_traitsISK_E10value_typeET2_T3_PNSL_ISQ_E10value_typeET4_jRbjT5_SW_jjP12ihipStream_tbEUlT_E1_NS1_11comp_targetILNS1_3genE8ELNS1_11target_archE1030ELNS1_3gpuE2ELNS1_3repE0EEENS1_59segmented_radix_sort_warp_sort_small_config_static_selectorELNS0_4arch9wavefront6targetE1EEEvSK_,"axG",@progbits,_ZN7rocprim17ROCPRIM_400000_NS6detail17trampoline_kernelINS0_14default_configENS1_36segmented_radix_sort_config_selectorIflEEZNS1_25segmented_radix_sort_implIS3_Lb1EPKfPfPKlPlN2at6native12_GLOBAL__N_18offset_tEEE10hipError_tPvRmT1_PNSt15iterator_traitsISK_E10value_typeET2_T3_PNSL_ISQ_E10value_typeET4_jRbjT5_SW_jjP12ihipStream_tbEUlT_E1_NS1_11comp_targetILNS1_3genE8ELNS1_11target_archE1030ELNS1_3gpuE2ELNS1_3repE0EEENS1_59segmented_radix_sort_warp_sort_small_config_static_selectorELNS0_4arch9wavefront6targetE1EEEvSK_,comdat
.Lfunc_end1354:
	.size	_ZN7rocprim17ROCPRIM_400000_NS6detail17trampoline_kernelINS0_14default_configENS1_36segmented_radix_sort_config_selectorIflEEZNS1_25segmented_radix_sort_implIS3_Lb1EPKfPfPKlPlN2at6native12_GLOBAL__N_18offset_tEEE10hipError_tPvRmT1_PNSt15iterator_traitsISK_E10value_typeET2_T3_PNSL_ISQ_E10value_typeET4_jRbjT5_SW_jjP12ihipStream_tbEUlT_E1_NS1_11comp_targetILNS1_3genE8ELNS1_11target_archE1030ELNS1_3gpuE2ELNS1_3repE0EEENS1_59segmented_radix_sort_warp_sort_small_config_static_selectorELNS0_4arch9wavefront6targetE1EEEvSK_, .Lfunc_end1354-_ZN7rocprim17ROCPRIM_400000_NS6detail17trampoline_kernelINS0_14default_configENS1_36segmented_radix_sort_config_selectorIflEEZNS1_25segmented_radix_sort_implIS3_Lb1EPKfPfPKlPlN2at6native12_GLOBAL__N_18offset_tEEE10hipError_tPvRmT1_PNSt15iterator_traitsISK_E10value_typeET2_T3_PNSL_ISQ_E10value_typeET4_jRbjT5_SW_jjP12ihipStream_tbEUlT_E1_NS1_11comp_targetILNS1_3genE8ELNS1_11target_archE1030ELNS1_3gpuE2ELNS1_3repE0EEENS1_59segmented_radix_sort_warp_sort_small_config_static_selectorELNS0_4arch9wavefront6targetE1EEEvSK_
                                        ; -- End function
	.set _ZN7rocprim17ROCPRIM_400000_NS6detail17trampoline_kernelINS0_14default_configENS1_36segmented_radix_sort_config_selectorIflEEZNS1_25segmented_radix_sort_implIS3_Lb1EPKfPfPKlPlN2at6native12_GLOBAL__N_18offset_tEEE10hipError_tPvRmT1_PNSt15iterator_traitsISK_E10value_typeET2_T3_PNSL_ISQ_E10value_typeET4_jRbjT5_SW_jjP12ihipStream_tbEUlT_E1_NS1_11comp_targetILNS1_3genE8ELNS1_11target_archE1030ELNS1_3gpuE2ELNS1_3repE0EEENS1_59segmented_radix_sort_warp_sort_small_config_static_selectorELNS0_4arch9wavefront6targetE1EEEvSK_.num_vgpr, 0
	.set _ZN7rocprim17ROCPRIM_400000_NS6detail17trampoline_kernelINS0_14default_configENS1_36segmented_radix_sort_config_selectorIflEEZNS1_25segmented_radix_sort_implIS3_Lb1EPKfPfPKlPlN2at6native12_GLOBAL__N_18offset_tEEE10hipError_tPvRmT1_PNSt15iterator_traitsISK_E10value_typeET2_T3_PNSL_ISQ_E10value_typeET4_jRbjT5_SW_jjP12ihipStream_tbEUlT_E1_NS1_11comp_targetILNS1_3genE8ELNS1_11target_archE1030ELNS1_3gpuE2ELNS1_3repE0EEENS1_59segmented_radix_sort_warp_sort_small_config_static_selectorELNS0_4arch9wavefront6targetE1EEEvSK_.num_agpr, 0
	.set _ZN7rocprim17ROCPRIM_400000_NS6detail17trampoline_kernelINS0_14default_configENS1_36segmented_radix_sort_config_selectorIflEEZNS1_25segmented_radix_sort_implIS3_Lb1EPKfPfPKlPlN2at6native12_GLOBAL__N_18offset_tEEE10hipError_tPvRmT1_PNSt15iterator_traitsISK_E10value_typeET2_T3_PNSL_ISQ_E10value_typeET4_jRbjT5_SW_jjP12ihipStream_tbEUlT_E1_NS1_11comp_targetILNS1_3genE8ELNS1_11target_archE1030ELNS1_3gpuE2ELNS1_3repE0EEENS1_59segmented_radix_sort_warp_sort_small_config_static_selectorELNS0_4arch9wavefront6targetE1EEEvSK_.numbered_sgpr, 0
	.set _ZN7rocprim17ROCPRIM_400000_NS6detail17trampoline_kernelINS0_14default_configENS1_36segmented_radix_sort_config_selectorIflEEZNS1_25segmented_radix_sort_implIS3_Lb1EPKfPfPKlPlN2at6native12_GLOBAL__N_18offset_tEEE10hipError_tPvRmT1_PNSt15iterator_traitsISK_E10value_typeET2_T3_PNSL_ISQ_E10value_typeET4_jRbjT5_SW_jjP12ihipStream_tbEUlT_E1_NS1_11comp_targetILNS1_3genE8ELNS1_11target_archE1030ELNS1_3gpuE2ELNS1_3repE0EEENS1_59segmented_radix_sort_warp_sort_small_config_static_selectorELNS0_4arch9wavefront6targetE1EEEvSK_.num_named_barrier, 0
	.set _ZN7rocprim17ROCPRIM_400000_NS6detail17trampoline_kernelINS0_14default_configENS1_36segmented_radix_sort_config_selectorIflEEZNS1_25segmented_radix_sort_implIS3_Lb1EPKfPfPKlPlN2at6native12_GLOBAL__N_18offset_tEEE10hipError_tPvRmT1_PNSt15iterator_traitsISK_E10value_typeET2_T3_PNSL_ISQ_E10value_typeET4_jRbjT5_SW_jjP12ihipStream_tbEUlT_E1_NS1_11comp_targetILNS1_3genE8ELNS1_11target_archE1030ELNS1_3gpuE2ELNS1_3repE0EEENS1_59segmented_radix_sort_warp_sort_small_config_static_selectorELNS0_4arch9wavefront6targetE1EEEvSK_.private_seg_size, 0
	.set _ZN7rocprim17ROCPRIM_400000_NS6detail17trampoline_kernelINS0_14default_configENS1_36segmented_radix_sort_config_selectorIflEEZNS1_25segmented_radix_sort_implIS3_Lb1EPKfPfPKlPlN2at6native12_GLOBAL__N_18offset_tEEE10hipError_tPvRmT1_PNSt15iterator_traitsISK_E10value_typeET2_T3_PNSL_ISQ_E10value_typeET4_jRbjT5_SW_jjP12ihipStream_tbEUlT_E1_NS1_11comp_targetILNS1_3genE8ELNS1_11target_archE1030ELNS1_3gpuE2ELNS1_3repE0EEENS1_59segmented_radix_sort_warp_sort_small_config_static_selectorELNS0_4arch9wavefront6targetE1EEEvSK_.uses_vcc, 0
	.set _ZN7rocprim17ROCPRIM_400000_NS6detail17trampoline_kernelINS0_14default_configENS1_36segmented_radix_sort_config_selectorIflEEZNS1_25segmented_radix_sort_implIS3_Lb1EPKfPfPKlPlN2at6native12_GLOBAL__N_18offset_tEEE10hipError_tPvRmT1_PNSt15iterator_traitsISK_E10value_typeET2_T3_PNSL_ISQ_E10value_typeET4_jRbjT5_SW_jjP12ihipStream_tbEUlT_E1_NS1_11comp_targetILNS1_3genE8ELNS1_11target_archE1030ELNS1_3gpuE2ELNS1_3repE0EEENS1_59segmented_radix_sort_warp_sort_small_config_static_selectorELNS0_4arch9wavefront6targetE1EEEvSK_.uses_flat_scratch, 0
	.set _ZN7rocprim17ROCPRIM_400000_NS6detail17trampoline_kernelINS0_14default_configENS1_36segmented_radix_sort_config_selectorIflEEZNS1_25segmented_radix_sort_implIS3_Lb1EPKfPfPKlPlN2at6native12_GLOBAL__N_18offset_tEEE10hipError_tPvRmT1_PNSt15iterator_traitsISK_E10value_typeET2_T3_PNSL_ISQ_E10value_typeET4_jRbjT5_SW_jjP12ihipStream_tbEUlT_E1_NS1_11comp_targetILNS1_3genE8ELNS1_11target_archE1030ELNS1_3gpuE2ELNS1_3repE0EEENS1_59segmented_radix_sort_warp_sort_small_config_static_selectorELNS0_4arch9wavefront6targetE1EEEvSK_.has_dyn_sized_stack, 0
	.set _ZN7rocprim17ROCPRIM_400000_NS6detail17trampoline_kernelINS0_14default_configENS1_36segmented_radix_sort_config_selectorIflEEZNS1_25segmented_radix_sort_implIS3_Lb1EPKfPfPKlPlN2at6native12_GLOBAL__N_18offset_tEEE10hipError_tPvRmT1_PNSt15iterator_traitsISK_E10value_typeET2_T3_PNSL_ISQ_E10value_typeET4_jRbjT5_SW_jjP12ihipStream_tbEUlT_E1_NS1_11comp_targetILNS1_3genE8ELNS1_11target_archE1030ELNS1_3gpuE2ELNS1_3repE0EEENS1_59segmented_radix_sort_warp_sort_small_config_static_selectorELNS0_4arch9wavefront6targetE1EEEvSK_.has_recursion, 0
	.set _ZN7rocprim17ROCPRIM_400000_NS6detail17trampoline_kernelINS0_14default_configENS1_36segmented_radix_sort_config_selectorIflEEZNS1_25segmented_radix_sort_implIS3_Lb1EPKfPfPKlPlN2at6native12_GLOBAL__N_18offset_tEEE10hipError_tPvRmT1_PNSt15iterator_traitsISK_E10value_typeET2_T3_PNSL_ISQ_E10value_typeET4_jRbjT5_SW_jjP12ihipStream_tbEUlT_E1_NS1_11comp_targetILNS1_3genE8ELNS1_11target_archE1030ELNS1_3gpuE2ELNS1_3repE0EEENS1_59segmented_radix_sort_warp_sort_small_config_static_selectorELNS0_4arch9wavefront6targetE1EEEvSK_.has_indirect_call, 0
	.section	.AMDGPU.csdata,"",@progbits
; Kernel info:
; codeLenInByte = 0
; TotalNumSgprs: 4
; NumVgprs: 0
; ScratchSize: 0
; MemoryBound: 0
; FloatMode: 240
; IeeeMode: 1
; LDSByteSize: 0 bytes/workgroup (compile time only)
; SGPRBlocks: 0
; VGPRBlocks: 0
; NumSGPRsForWavesPerEU: 4
; NumVGPRsForWavesPerEU: 1
; Occupancy: 10
; WaveLimiterHint : 0
; COMPUTE_PGM_RSRC2:SCRATCH_EN: 0
; COMPUTE_PGM_RSRC2:USER_SGPR: 6
; COMPUTE_PGM_RSRC2:TRAP_HANDLER: 0
; COMPUTE_PGM_RSRC2:TGID_X_EN: 1
; COMPUTE_PGM_RSRC2:TGID_Y_EN: 0
; COMPUTE_PGM_RSRC2:TGID_Z_EN: 0
; COMPUTE_PGM_RSRC2:TIDIG_COMP_CNT: 0
	.section	.text._ZN7rocprim17ROCPRIM_400000_NS6detail17trampoline_kernelINS0_14default_configENS1_36segmented_radix_sort_config_selectorIflEEZNS1_25segmented_radix_sort_implIS3_Lb1EPKfPfPKlPlN2at6native12_GLOBAL__N_18offset_tEEE10hipError_tPvRmT1_PNSt15iterator_traitsISK_E10value_typeET2_T3_PNSL_ISQ_E10value_typeET4_jRbjT5_SW_jjP12ihipStream_tbEUlT_E2_NS1_11comp_targetILNS1_3genE0ELNS1_11target_archE4294967295ELNS1_3gpuE0ELNS1_3repE0EEENS1_30default_config_static_selectorELNS0_4arch9wavefront6targetE1EEEvSK_,"axG",@progbits,_ZN7rocprim17ROCPRIM_400000_NS6detail17trampoline_kernelINS0_14default_configENS1_36segmented_radix_sort_config_selectorIflEEZNS1_25segmented_radix_sort_implIS3_Lb1EPKfPfPKlPlN2at6native12_GLOBAL__N_18offset_tEEE10hipError_tPvRmT1_PNSt15iterator_traitsISK_E10value_typeET2_T3_PNSL_ISQ_E10value_typeET4_jRbjT5_SW_jjP12ihipStream_tbEUlT_E2_NS1_11comp_targetILNS1_3genE0ELNS1_11target_archE4294967295ELNS1_3gpuE0ELNS1_3repE0EEENS1_30default_config_static_selectorELNS0_4arch9wavefront6targetE1EEEvSK_,comdat
	.globl	_ZN7rocprim17ROCPRIM_400000_NS6detail17trampoline_kernelINS0_14default_configENS1_36segmented_radix_sort_config_selectorIflEEZNS1_25segmented_radix_sort_implIS3_Lb1EPKfPfPKlPlN2at6native12_GLOBAL__N_18offset_tEEE10hipError_tPvRmT1_PNSt15iterator_traitsISK_E10value_typeET2_T3_PNSL_ISQ_E10value_typeET4_jRbjT5_SW_jjP12ihipStream_tbEUlT_E2_NS1_11comp_targetILNS1_3genE0ELNS1_11target_archE4294967295ELNS1_3gpuE0ELNS1_3repE0EEENS1_30default_config_static_selectorELNS0_4arch9wavefront6targetE1EEEvSK_ ; -- Begin function _ZN7rocprim17ROCPRIM_400000_NS6detail17trampoline_kernelINS0_14default_configENS1_36segmented_radix_sort_config_selectorIflEEZNS1_25segmented_radix_sort_implIS3_Lb1EPKfPfPKlPlN2at6native12_GLOBAL__N_18offset_tEEE10hipError_tPvRmT1_PNSt15iterator_traitsISK_E10value_typeET2_T3_PNSL_ISQ_E10value_typeET4_jRbjT5_SW_jjP12ihipStream_tbEUlT_E2_NS1_11comp_targetILNS1_3genE0ELNS1_11target_archE4294967295ELNS1_3gpuE0ELNS1_3repE0EEENS1_30default_config_static_selectorELNS0_4arch9wavefront6targetE1EEEvSK_
	.p2align	8
	.type	_ZN7rocprim17ROCPRIM_400000_NS6detail17trampoline_kernelINS0_14default_configENS1_36segmented_radix_sort_config_selectorIflEEZNS1_25segmented_radix_sort_implIS3_Lb1EPKfPfPKlPlN2at6native12_GLOBAL__N_18offset_tEEE10hipError_tPvRmT1_PNSt15iterator_traitsISK_E10value_typeET2_T3_PNSL_ISQ_E10value_typeET4_jRbjT5_SW_jjP12ihipStream_tbEUlT_E2_NS1_11comp_targetILNS1_3genE0ELNS1_11target_archE4294967295ELNS1_3gpuE0ELNS1_3repE0EEENS1_30default_config_static_selectorELNS0_4arch9wavefront6targetE1EEEvSK_,@function
_ZN7rocprim17ROCPRIM_400000_NS6detail17trampoline_kernelINS0_14default_configENS1_36segmented_radix_sort_config_selectorIflEEZNS1_25segmented_radix_sort_implIS3_Lb1EPKfPfPKlPlN2at6native12_GLOBAL__N_18offset_tEEE10hipError_tPvRmT1_PNSt15iterator_traitsISK_E10value_typeET2_T3_PNSL_ISQ_E10value_typeET4_jRbjT5_SW_jjP12ihipStream_tbEUlT_E2_NS1_11comp_targetILNS1_3genE0ELNS1_11target_archE4294967295ELNS1_3gpuE0ELNS1_3repE0EEENS1_30default_config_static_selectorELNS0_4arch9wavefront6targetE1EEEvSK_: ; @_ZN7rocprim17ROCPRIM_400000_NS6detail17trampoline_kernelINS0_14default_configENS1_36segmented_radix_sort_config_selectorIflEEZNS1_25segmented_radix_sort_implIS3_Lb1EPKfPfPKlPlN2at6native12_GLOBAL__N_18offset_tEEE10hipError_tPvRmT1_PNSt15iterator_traitsISK_E10value_typeET2_T3_PNSL_ISQ_E10value_typeET4_jRbjT5_SW_jjP12ihipStream_tbEUlT_E2_NS1_11comp_targetILNS1_3genE0ELNS1_11target_archE4294967295ELNS1_3gpuE0ELNS1_3repE0EEENS1_30default_config_static_selectorELNS0_4arch9wavefront6targetE1EEEvSK_
; %bb.0:
	.section	.rodata,"a",@progbits
	.p2align	6, 0x0
	.amdhsa_kernel _ZN7rocprim17ROCPRIM_400000_NS6detail17trampoline_kernelINS0_14default_configENS1_36segmented_radix_sort_config_selectorIflEEZNS1_25segmented_radix_sort_implIS3_Lb1EPKfPfPKlPlN2at6native12_GLOBAL__N_18offset_tEEE10hipError_tPvRmT1_PNSt15iterator_traitsISK_E10value_typeET2_T3_PNSL_ISQ_E10value_typeET4_jRbjT5_SW_jjP12ihipStream_tbEUlT_E2_NS1_11comp_targetILNS1_3genE0ELNS1_11target_archE4294967295ELNS1_3gpuE0ELNS1_3repE0EEENS1_30default_config_static_selectorELNS0_4arch9wavefront6targetE1EEEvSK_
		.amdhsa_group_segment_fixed_size 0
		.amdhsa_private_segment_fixed_size 0
		.amdhsa_kernarg_size 80
		.amdhsa_user_sgpr_count 6
		.amdhsa_user_sgpr_private_segment_buffer 1
		.amdhsa_user_sgpr_dispatch_ptr 0
		.amdhsa_user_sgpr_queue_ptr 0
		.amdhsa_user_sgpr_kernarg_segment_ptr 1
		.amdhsa_user_sgpr_dispatch_id 0
		.amdhsa_user_sgpr_flat_scratch_init 0
		.amdhsa_user_sgpr_private_segment_size 0
		.amdhsa_uses_dynamic_stack 0
		.amdhsa_system_sgpr_private_segment_wavefront_offset 0
		.amdhsa_system_sgpr_workgroup_id_x 1
		.amdhsa_system_sgpr_workgroup_id_y 0
		.amdhsa_system_sgpr_workgroup_id_z 0
		.amdhsa_system_sgpr_workgroup_info 0
		.amdhsa_system_vgpr_workitem_id 0
		.amdhsa_next_free_vgpr 1
		.amdhsa_next_free_sgpr 0
		.amdhsa_reserve_vcc 0
		.amdhsa_reserve_flat_scratch 0
		.amdhsa_float_round_mode_32 0
		.amdhsa_float_round_mode_16_64 0
		.amdhsa_float_denorm_mode_32 3
		.amdhsa_float_denorm_mode_16_64 3
		.amdhsa_dx10_clamp 1
		.amdhsa_ieee_mode 1
		.amdhsa_fp16_overflow 0
		.amdhsa_exception_fp_ieee_invalid_op 0
		.amdhsa_exception_fp_denorm_src 0
		.amdhsa_exception_fp_ieee_div_zero 0
		.amdhsa_exception_fp_ieee_overflow 0
		.amdhsa_exception_fp_ieee_underflow 0
		.amdhsa_exception_fp_ieee_inexact 0
		.amdhsa_exception_int_div_zero 0
	.end_amdhsa_kernel
	.section	.text._ZN7rocprim17ROCPRIM_400000_NS6detail17trampoline_kernelINS0_14default_configENS1_36segmented_radix_sort_config_selectorIflEEZNS1_25segmented_radix_sort_implIS3_Lb1EPKfPfPKlPlN2at6native12_GLOBAL__N_18offset_tEEE10hipError_tPvRmT1_PNSt15iterator_traitsISK_E10value_typeET2_T3_PNSL_ISQ_E10value_typeET4_jRbjT5_SW_jjP12ihipStream_tbEUlT_E2_NS1_11comp_targetILNS1_3genE0ELNS1_11target_archE4294967295ELNS1_3gpuE0ELNS1_3repE0EEENS1_30default_config_static_selectorELNS0_4arch9wavefront6targetE1EEEvSK_,"axG",@progbits,_ZN7rocprim17ROCPRIM_400000_NS6detail17trampoline_kernelINS0_14default_configENS1_36segmented_radix_sort_config_selectorIflEEZNS1_25segmented_radix_sort_implIS3_Lb1EPKfPfPKlPlN2at6native12_GLOBAL__N_18offset_tEEE10hipError_tPvRmT1_PNSt15iterator_traitsISK_E10value_typeET2_T3_PNSL_ISQ_E10value_typeET4_jRbjT5_SW_jjP12ihipStream_tbEUlT_E2_NS1_11comp_targetILNS1_3genE0ELNS1_11target_archE4294967295ELNS1_3gpuE0ELNS1_3repE0EEENS1_30default_config_static_selectorELNS0_4arch9wavefront6targetE1EEEvSK_,comdat
.Lfunc_end1355:
	.size	_ZN7rocprim17ROCPRIM_400000_NS6detail17trampoline_kernelINS0_14default_configENS1_36segmented_radix_sort_config_selectorIflEEZNS1_25segmented_radix_sort_implIS3_Lb1EPKfPfPKlPlN2at6native12_GLOBAL__N_18offset_tEEE10hipError_tPvRmT1_PNSt15iterator_traitsISK_E10value_typeET2_T3_PNSL_ISQ_E10value_typeET4_jRbjT5_SW_jjP12ihipStream_tbEUlT_E2_NS1_11comp_targetILNS1_3genE0ELNS1_11target_archE4294967295ELNS1_3gpuE0ELNS1_3repE0EEENS1_30default_config_static_selectorELNS0_4arch9wavefront6targetE1EEEvSK_, .Lfunc_end1355-_ZN7rocprim17ROCPRIM_400000_NS6detail17trampoline_kernelINS0_14default_configENS1_36segmented_radix_sort_config_selectorIflEEZNS1_25segmented_radix_sort_implIS3_Lb1EPKfPfPKlPlN2at6native12_GLOBAL__N_18offset_tEEE10hipError_tPvRmT1_PNSt15iterator_traitsISK_E10value_typeET2_T3_PNSL_ISQ_E10value_typeET4_jRbjT5_SW_jjP12ihipStream_tbEUlT_E2_NS1_11comp_targetILNS1_3genE0ELNS1_11target_archE4294967295ELNS1_3gpuE0ELNS1_3repE0EEENS1_30default_config_static_selectorELNS0_4arch9wavefront6targetE1EEEvSK_
                                        ; -- End function
	.set _ZN7rocprim17ROCPRIM_400000_NS6detail17trampoline_kernelINS0_14default_configENS1_36segmented_radix_sort_config_selectorIflEEZNS1_25segmented_radix_sort_implIS3_Lb1EPKfPfPKlPlN2at6native12_GLOBAL__N_18offset_tEEE10hipError_tPvRmT1_PNSt15iterator_traitsISK_E10value_typeET2_T3_PNSL_ISQ_E10value_typeET4_jRbjT5_SW_jjP12ihipStream_tbEUlT_E2_NS1_11comp_targetILNS1_3genE0ELNS1_11target_archE4294967295ELNS1_3gpuE0ELNS1_3repE0EEENS1_30default_config_static_selectorELNS0_4arch9wavefront6targetE1EEEvSK_.num_vgpr, 0
	.set _ZN7rocprim17ROCPRIM_400000_NS6detail17trampoline_kernelINS0_14default_configENS1_36segmented_radix_sort_config_selectorIflEEZNS1_25segmented_radix_sort_implIS3_Lb1EPKfPfPKlPlN2at6native12_GLOBAL__N_18offset_tEEE10hipError_tPvRmT1_PNSt15iterator_traitsISK_E10value_typeET2_T3_PNSL_ISQ_E10value_typeET4_jRbjT5_SW_jjP12ihipStream_tbEUlT_E2_NS1_11comp_targetILNS1_3genE0ELNS1_11target_archE4294967295ELNS1_3gpuE0ELNS1_3repE0EEENS1_30default_config_static_selectorELNS0_4arch9wavefront6targetE1EEEvSK_.num_agpr, 0
	.set _ZN7rocprim17ROCPRIM_400000_NS6detail17trampoline_kernelINS0_14default_configENS1_36segmented_radix_sort_config_selectorIflEEZNS1_25segmented_radix_sort_implIS3_Lb1EPKfPfPKlPlN2at6native12_GLOBAL__N_18offset_tEEE10hipError_tPvRmT1_PNSt15iterator_traitsISK_E10value_typeET2_T3_PNSL_ISQ_E10value_typeET4_jRbjT5_SW_jjP12ihipStream_tbEUlT_E2_NS1_11comp_targetILNS1_3genE0ELNS1_11target_archE4294967295ELNS1_3gpuE0ELNS1_3repE0EEENS1_30default_config_static_selectorELNS0_4arch9wavefront6targetE1EEEvSK_.numbered_sgpr, 0
	.set _ZN7rocprim17ROCPRIM_400000_NS6detail17trampoline_kernelINS0_14default_configENS1_36segmented_radix_sort_config_selectorIflEEZNS1_25segmented_radix_sort_implIS3_Lb1EPKfPfPKlPlN2at6native12_GLOBAL__N_18offset_tEEE10hipError_tPvRmT1_PNSt15iterator_traitsISK_E10value_typeET2_T3_PNSL_ISQ_E10value_typeET4_jRbjT5_SW_jjP12ihipStream_tbEUlT_E2_NS1_11comp_targetILNS1_3genE0ELNS1_11target_archE4294967295ELNS1_3gpuE0ELNS1_3repE0EEENS1_30default_config_static_selectorELNS0_4arch9wavefront6targetE1EEEvSK_.num_named_barrier, 0
	.set _ZN7rocprim17ROCPRIM_400000_NS6detail17trampoline_kernelINS0_14default_configENS1_36segmented_radix_sort_config_selectorIflEEZNS1_25segmented_radix_sort_implIS3_Lb1EPKfPfPKlPlN2at6native12_GLOBAL__N_18offset_tEEE10hipError_tPvRmT1_PNSt15iterator_traitsISK_E10value_typeET2_T3_PNSL_ISQ_E10value_typeET4_jRbjT5_SW_jjP12ihipStream_tbEUlT_E2_NS1_11comp_targetILNS1_3genE0ELNS1_11target_archE4294967295ELNS1_3gpuE0ELNS1_3repE0EEENS1_30default_config_static_selectorELNS0_4arch9wavefront6targetE1EEEvSK_.private_seg_size, 0
	.set _ZN7rocprim17ROCPRIM_400000_NS6detail17trampoline_kernelINS0_14default_configENS1_36segmented_radix_sort_config_selectorIflEEZNS1_25segmented_radix_sort_implIS3_Lb1EPKfPfPKlPlN2at6native12_GLOBAL__N_18offset_tEEE10hipError_tPvRmT1_PNSt15iterator_traitsISK_E10value_typeET2_T3_PNSL_ISQ_E10value_typeET4_jRbjT5_SW_jjP12ihipStream_tbEUlT_E2_NS1_11comp_targetILNS1_3genE0ELNS1_11target_archE4294967295ELNS1_3gpuE0ELNS1_3repE0EEENS1_30default_config_static_selectorELNS0_4arch9wavefront6targetE1EEEvSK_.uses_vcc, 0
	.set _ZN7rocprim17ROCPRIM_400000_NS6detail17trampoline_kernelINS0_14default_configENS1_36segmented_radix_sort_config_selectorIflEEZNS1_25segmented_radix_sort_implIS3_Lb1EPKfPfPKlPlN2at6native12_GLOBAL__N_18offset_tEEE10hipError_tPvRmT1_PNSt15iterator_traitsISK_E10value_typeET2_T3_PNSL_ISQ_E10value_typeET4_jRbjT5_SW_jjP12ihipStream_tbEUlT_E2_NS1_11comp_targetILNS1_3genE0ELNS1_11target_archE4294967295ELNS1_3gpuE0ELNS1_3repE0EEENS1_30default_config_static_selectorELNS0_4arch9wavefront6targetE1EEEvSK_.uses_flat_scratch, 0
	.set _ZN7rocprim17ROCPRIM_400000_NS6detail17trampoline_kernelINS0_14default_configENS1_36segmented_radix_sort_config_selectorIflEEZNS1_25segmented_radix_sort_implIS3_Lb1EPKfPfPKlPlN2at6native12_GLOBAL__N_18offset_tEEE10hipError_tPvRmT1_PNSt15iterator_traitsISK_E10value_typeET2_T3_PNSL_ISQ_E10value_typeET4_jRbjT5_SW_jjP12ihipStream_tbEUlT_E2_NS1_11comp_targetILNS1_3genE0ELNS1_11target_archE4294967295ELNS1_3gpuE0ELNS1_3repE0EEENS1_30default_config_static_selectorELNS0_4arch9wavefront6targetE1EEEvSK_.has_dyn_sized_stack, 0
	.set _ZN7rocprim17ROCPRIM_400000_NS6detail17trampoline_kernelINS0_14default_configENS1_36segmented_radix_sort_config_selectorIflEEZNS1_25segmented_radix_sort_implIS3_Lb1EPKfPfPKlPlN2at6native12_GLOBAL__N_18offset_tEEE10hipError_tPvRmT1_PNSt15iterator_traitsISK_E10value_typeET2_T3_PNSL_ISQ_E10value_typeET4_jRbjT5_SW_jjP12ihipStream_tbEUlT_E2_NS1_11comp_targetILNS1_3genE0ELNS1_11target_archE4294967295ELNS1_3gpuE0ELNS1_3repE0EEENS1_30default_config_static_selectorELNS0_4arch9wavefront6targetE1EEEvSK_.has_recursion, 0
	.set _ZN7rocprim17ROCPRIM_400000_NS6detail17trampoline_kernelINS0_14default_configENS1_36segmented_radix_sort_config_selectorIflEEZNS1_25segmented_radix_sort_implIS3_Lb1EPKfPfPKlPlN2at6native12_GLOBAL__N_18offset_tEEE10hipError_tPvRmT1_PNSt15iterator_traitsISK_E10value_typeET2_T3_PNSL_ISQ_E10value_typeET4_jRbjT5_SW_jjP12ihipStream_tbEUlT_E2_NS1_11comp_targetILNS1_3genE0ELNS1_11target_archE4294967295ELNS1_3gpuE0ELNS1_3repE0EEENS1_30default_config_static_selectorELNS0_4arch9wavefront6targetE1EEEvSK_.has_indirect_call, 0
	.section	.AMDGPU.csdata,"",@progbits
; Kernel info:
; codeLenInByte = 0
; TotalNumSgprs: 4
; NumVgprs: 0
; ScratchSize: 0
; MemoryBound: 0
; FloatMode: 240
; IeeeMode: 1
; LDSByteSize: 0 bytes/workgroup (compile time only)
; SGPRBlocks: 0
; VGPRBlocks: 0
; NumSGPRsForWavesPerEU: 4
; NumVGPRsForWavesPerEU: 1
; Occupancy: 10
; WaveLimiterHint : 0
; COMPUTE_PGM_RSRC2:SCRATCH_EN: 0
; COMPUTE_PGM_RSRC2:USER_SGPR: 6
; COMPUTE_PGM_RSRC2:TRAP_HANDLER: 0
; COMPUTE_PGM_RSRC2:TGID_X_EN: 1
; COMPUTE_PGM_RSRC2:TGID_Y_EN: 0
; COMPUTE_PGM_RSRC2:TGID_Z_EN: 0
; COMPUTE_PGM_RSRC2:TIDIG_COMP_CNT: 0
	.section	.text._ZN7rocprim17ROCPRIM_400000_NS6detail17trampoline_kernelINS0_14default_configENS1_36segmented_radix_sort_config_selectorIflEEZNS1_25segmented_radix_sort_implIS3_Lb1EPKfPfPKlPlN2at6native12_GLOBAL__N_18offset_tEEE10hipError_tPvRmT1_PNSt15iterator_traitsISK_E10value_typeET2_T3_PNSL_ISQ_E10value_typeET4_jRbjT5_SW_jjP12ihipStream_tbEUlT_E2_NS1_11comp_targetILNS1_3genE5ELNS1_11target_archE942ELNS1_3gpuE9ELNS1_3repE0EEENS1_30default_config_static_selectorELNS0_4arch9wavefront6targetE1EEEvSK_,"axG",@progbits,_ZN7rocprim17ROCPRIM_400000_NS6detail17trampoline_kernelINS0_14default_configENS1_36segmented_radix_sort_config_selectorIflEEZNS1_25segmented_radix_sort_implIS3_Lb1EPKfPfPKlPlN2at6native12_GLOBAL__N_18offset_tEEE10hipError_tPvRmT1_PNSt15iterator_traitsISK_E10value_typeET2_T3_PNSL_ISQ_E10value_typeET4_jRbjT5_SW_jjP12ihipStream_tbEUlT_E2_NS1_11comp_targetILNS1_3genE5ELNS1_11target_archE942ELNS1_3gpuE9ELNS1_3repE0EEENS1_30default_config_static_selectorELNS0_4arch9wavefront6targetE1EEEvSK_,comdat
	.globl	_ZN7rocprim17ROCPRIM_400000_NS6detail17trampoline_kernelINS0_14default_configENS1_36segmented_radix_sort_config_selectorIflEEZNS1_25segmented_radix_sort_implIS3_Lb1EPKfPfPKlPlN2at6native12_GLOBAL__N_18offset_tEEE10hipError_tPvRmT1_PNSt15iterator_traitsISK_E10value_typeET2_T3_PNSL_ISQ_E10value_typeET4_jRbjT5_SW_jjP12ihipStream_tbEUlT_E2_NS1_11comp_targetILNS1_3genE5ELNS1_11target_archE942ELNS1_3gpuE9ELNS1_3repE0EEENS1_30default_config_static_selectorELNS0_4arch9wavefront6targetE1EEEvSK_ ; -- Begin function _ZN7rocprim17ROCPRIM_400000_NS6detail17trampoline_kernelINS0_14default_configENS1_36segmented_radix_sort_config_selectorIflEEZNS1_25segmented_radix_sort_implIS3_Lb1EPKfPfPKlPlN2at6native12_GLOBAL__N_18offset_tEEE10hipError_tPvRmT1_PNSt15iterator_traitsISK_E10value_typeET2_T3_PNSL_ISQ_E10value_typeET4_jRbjT5_SW_jjP12ihipStream_tbEUlT_E2_NS1_11comp_targetILNS1_3genE5ELNS1_11target_archE942ELNS1_3gpuE9ELNS1_3repE0EEENS1_30default_config_static_selectorELNS0_4arch9wavefront6targetE1EEEvSK_
	.p2align	8
	.type	_ZN7rocprim17ROCPRIM_400000_NS6detail17trampoline_kernelINS0_14default_configENS1_36segmented_radix_sort_config_selectorIflEEZNS1_25segmented_radix_sort_implIS3_Lb1EPKfPfPKlPlN2at6native12_GLOBAL__N_18offset_tEEE10hipError_tPvRmT1_PNSt15iterator_traitsISK_E10value_typeET2_T3_PNSL_ISQ_E10value_typeET4_jRbjT5_SW_jjP12ihipStream_tbEUlT_E2_NS1_11comp_targetILNS1_3genE5ELNS1_11target_archE942ELNS1_3gpuE9ELNS1_3repE0EEENS1_30default_config_static_selectorELNS0_4arch9wavefront6targetE1EEEvSK_,@function
_ZN7rocprim17ROCPRIM_400000_NS6detail17trampoline_kernelINS0_14default_configENS1_36segmented_radix_sort_config_selectorIflEEZNS1_25segmented_radix_sort_implIS3_Lb1EPKfPfPKlPlN2at6native12_GLOBAL__N_18offset_tEEE10hipError_tPvRmT1_PNSt15iterator_traitsISK_E10value_typeET2_T3_PNSL_ISQ_E10value_typeET4_jRbjT5_SW_jjP12ihipStream_tbEUlT_E2_NS1_11comp_targetILNS1_3genE5ELNS1_11target_archE942ELNS1_3gpuE9ELNS1_3repE0EEENS1_30default_config_static_selectorELNS0_4arch9wavefront6targetE1EEEvSK_: ; @_ZN7rocprim17ROCPRIM_400000_NS6detail17trampoline_kernelINS0_14default_configENS1_36segmented_radix_sort_config_selectorIflEEZNS1_25segmented_radix_sort_implIS3_Lb1EPKfPfPKlPlN2at6native12_GLOBAL__N_18offset_tEEE10hipError_tPvRmT1_PNSt15iterator_traitsISK_E10value_typeET2_T3_PNSL_ISQ_E10value_typeET4_jRbjT5_SW_jjP12ihipStream_tbEUlT_E2_NS1_11comp_targetILNS1_3genE5ELNS1_11target_archE942ELNS1_3gpuE9ELNS1_3repE0EEENS1_30default_config_static_selectorELNS0_4arch9wavefront6targetE1EEEvSK_
; %bb.0:
	.section	.rodata,"a",@progbits
	.p2align	6, 0x0
	.amdhsa_kernel _ZN7rocprim17ROCPRIM_400000_NS6detail17trampoline_kernelINS0_14default_configENS1_36segmented_radix_sort_config_selectorIflEEZNS1_25segmented_radix_sort_implIS3_Lb1EPKfPfPKlPlN2at6native12_GLOBAL__N_18offset_tEEE10hipError_tPvRmT1_PNSt15iterator_traitsISK_E10value_typeET2_T3_PNSL_ISQ_E10value_typeET4_jRbjT5_SW_jjP12ihipStream_tbEUlT_E2_NS1_11comp_targetILNS1_3genE5ELNS1_11target_archE942ELNS1_3gpuE9ELNS1_3repE0EEENS1_30default_config_static_selectorELNS0_4arch9wavefront6targetE1EEEvSK_
		.amdhsa_group_segment_fixed_size 0
		.amdhsa_private_segment_fixed_size 0
		.amdhsa_kernarg_size 80
		.amdhsa_user_sgpr_count 6
		.amdhsa_user_sgpr_private_segment_buffer 1
		.amdhsa_user_sgpr_dispatch_ptr 0
		.amdhsa_user_sgpr_queue_ptr 0
		.amdhsa_user_sgpr_kernarg_segment_ptr 1
		.amdhsa_user_sgpr_dispatch_id 0
		.amdhsa_user_sgpr_flat_scratch_init 0
		.amdhsa_user_sgpr_private_segment_size 0
		.amdhsa_uses_dynamic_stack 0
		.amdhsa_system_sgpr_private_segment_wavefront_offset 0
		.amdhsa_system_sgpr_workgroup_id_x 1
		.amdhsa_system_sgpr_workgroup_id_y 0
		.amdhsa_system_sgpr_workgroup_id_z 0
		.amdhsa_system_sgpr_workgroup_info 0
		.amdhsa_system_vgpr_workitem_id 0
		.amdhsa_next_free_vgpr 1
		.amdhsa_next_free_sgpr 0
		.amdhsa_reserve_vcc 0
		.amdhsa_reserve_flat_scratch 0
		.amdhsa_float_round_mode_32 0
		.amdhsa_float_round_mode_16_64 0
		.amdhsa_float_denorm_mode_32 3
		.amdhsa_float_denorm_mode_16_64 3
		.amdhsa_dx10_clamp 1
		.amdhsa_ieee_mode 1
		.amdhsa_fp16_overflow 0
		.amdhsa_exception_fp_ieee_invalid_op 0
		.amdhsa_exception_fp_denorm_src 0
		.amdhsa_exception_fp_ieee_div_zero 0
		.amdhsa_exception_fp_ieee_overflow 0
		.amdhsa_exception_fp_ieee_underflow 0
		.amdhsa_exception_fp_ieee_inexact 0
		.amdhsa_exception_int_div_zero 0
	.end_amdhsa_kernel
	.section	.text._ZN7rocprim17ROCPRIM_400000_NS6detail17trampoline_kernelINS0_14default_configENS1_36segmented_radix_sort_config_selectorIflEEZNS1_25segmented_radix_sort_implIS3_Lb1EPKfPfPKlPlN2at6native12_GLOBAL__N_18offset_tEEE10hipError_tPvRmT1_PNSt15iterator_traitsISK_E10value_typeET2_T3_PNSL_ISQ_E10value_typeET4_jRbjT5_SW_jjP12ihipStream_tbEUlT_E2_NS1_11comp_targetILNS1_3genE5ELNS1_11target_archE942ELNS1_3gpuE9ELNS1_3repE0EEENS1_30default_config_static_selectorELNS0_4arch9wavefront6targetE1EEEvSK_,"axG",@progbits,_ZN7rocprim17ROCPRIM_400000_NS6detail17trampoline_kernelINS0_14default_configENS1_36segmented_radix_sort_config_selectorIflEEZNS1_25segmented_radix_sort_implIS3_Lb1EPKfPfPKlPlN2at6native12_GLOBAL__N_18offset_tEEE10hipError_tPvRmT1_PNSt15iterator_traitsISK_E10value_typeET2_T3_PNSL_ISQ_E10value_typeET4_jRbjT5_SW_jjP12ihipStream_tbEUlT_E2_NS1_11comp_targetILNS1_3genE5ELNS1_11target_archE942ELNS1_3gpuE9ELNS1_3repE0EEENS1_30default_config_static_selectorELNS0_4arch9wavefront6targetE1EEEvSK_,comdat
.Lfunc_end1356:
	.size	_ZN7rocprim17ROCPRIM_400000_NS6detail17trampoline_kernelINS0_14default_configENS1_36segmented_radix_sort_config_selectorIflEEZNS1_25segmented_radix_sort_implIS3_Lb1EPKfPfPKlPlN2at6native12_GLOBAL__N_18offset_tEEE10hipError_tPvRmT1_PNSt15iterator_traitsISK_E10value_typeET2_T3_PNSL_ISQ_E10value_typeET4_jRbjT5_SW_jjP12ihipStream_tbEUlT_E2_NS1_11comp_targetILNS1_3genE5ELNS1_11target_archE942ELNS1_3gpuE9ELNS1_3repE0EEENS1_30default_config_static_selectorELNS0_4arch9wavefront6targetE1EEEvSK_, .Lfunc_end1356-_ZN7rocprim17ROCPRIM_400000_NS6detail17trampoline_kernelINS0_14default_configENS1_36segmented_radix_sort_config_selectorIflEEZNS1_25segmented_radix_sort_implIS3_Lb1EPKfPfPKlPlN2at6native12_GLOBAL__N_18offset_tEEE10hipError_tPvRmT1_PNSt15iterator_traitsISK_E10value_typeET2_T3_PNSL_ISQ_E10value_typeET4_jRbjT5_SW_jjP12ihipStream_tbEUlT_E2_NS1_11comp_targetILNS1_3genE5ELNS1_11target_archE942ELNS1_3gpuE9ELNS1_3repE0EEENS1_30default_config_static_selectorELNS0_4arch9wavefront6targetE1EEEvSK_
                                        ; -- End function
	.set _ZN7rocprim17ROCPRIM_400000_NS6detail17trampoline_kernelINS0_14default_configENS1_36segmented_radix_sort_config_selectorIflEEZNS1_25segmented_radix_sort_implIS3_Lb1EPKfPfPKlPlN2at6native12_GLOBAL__N_18offset_tEEE10hipError_tPvRmT1_PNSt15iterator_traitsISK_E10value_typeET2_T3_PNSL_ISQ_E10value_typeET4_jRbjT5_SW_jjP12ihipStream_tbEUlT_E2_NS1_11comp_targetILNS1_3genE5ELNS1_11target_archE942ELNS1_3gpuE9ELNS1_3repE0EEENS1_30default_config_static_selectorELNS0_4arch9wavefront6targetE1EEEvSK_.num_vgpr, 0
	.set _ZN7rocprim17ROCPRIM_400000_NS6detail17trampoline_kernelINS0_14default_configENS1_36segmented_radix_sort_config_selectorIflEEZNS1_25segmented_radix_sort_implIS3_Lb1EPKfPfPKlPlN2at6native12_GLOBAL__N_18offset_tEEE10hipError_tPvRmT1_PNSt15iterator_traitsISK_E10value_typeET2_T3_PNSL_ISQ_E10value_typeET4_jRbjT5_SW_jjP12ihipStream_tbEUlT_E2_NS1_11comp_targetILNS1_3genE5ELNS1_11target_archE942ELNS1_3gpuE9ELNS1_3repE0EEENS1_30default_config_static_selectorELNS0_4arch9wavefront6targetE1EEEvSK_.num_agpr, 0
	.set _ZN7rocprim17ROCPRIM_400000_NS6detail17trampoline_kernelINS0_14default_configENS1_36segmented_radix_sort_config_selectorIflEEZNS1_25segmented_radix_sort_implIS3_Lb1EPKfPfPKlPlN2at6native12_GLOBAL__N_18offset_tEEE10hipError_tPvRmT1_PNSt15iterator_traitsISK_E10value_typeET2_T3_PNSL_ISQ_E10value_typeET4_jRbjT5_SW_jjP12ihipStream_tbEUlT_E2_NS1_11comp_targetILNS1_3genE5ELNS1_11target_archE942ELNS1_3gpuE9ELNS1_3repE0EEENS1_30default_config_static_selectorELNS0_4arch9wavefront6targetE1EEEvSK_.numbered_sgpr, 0
	.set _ZN7rocprim17ROCPRIM_400000_NS6detail17trampoline_kernelINS0_14default_configENS1_36segmented_radix_sort_config_selectorIflEEZNS1_25segmented_radix_sort_implIS3_Lb1EPKfPfPKlPlN2at6native12_GLOBAL__N_18offset_tEEE10hipError_tPvRmT1_PNSt15iterator_traitsISK_E10value_typeET2_T3_PNSL_ISQ_E10value_typeET4_jRbjT5_SW_jjP12ihipStream_tbEUlT_E2_NS1_11comp_targetILNS1_3genE5ELNS1_11target_archE942ELNS1_3gpuE9ELNS1_3repE0EEENS1_30default_config_static_selectorELNS0_4arch9wavefront6targetE1EEEvSK_.num_named_barrier, 0
	.set _ZN7rocprim17ROCPRIM_400000_NS6detail17trampoline_kernelINS0_14default_configENS1_36segmented_radix_sort_config_selectorIflEEZNS1_25segmented_radix_sort_implIS3_Lb1EPKfPfPKlPlN2at6native12_GLOBAL__N_18offset_tEEE10hipError_tPvRmT1_PNSt15iterator_traitsISK_E10value_typeET2_T3_PNSL_ISQ_E10value_typeET4_jRbjT5_SW_jjP12ihipStream_tbEUlT_E2_NS1_11comp_targetILNS1_3genE5ELNS1_11target_archE942ELNS1_3gpuE9ELNS1_3repE0EEENS1_30default_config_static_selectorELNS0_4arch9wavefront6targetE1EEEvSK_.private_seg_size, 0
	.set _ZN7rocprim17ROCPRIM_400000_NS6detail17trampoline_kernelINS0_14default_configENS1_36segmented_radix_sort_config_selectorIflEEZNS1_25segmented_radix_sort_implIS3_Lb1EPKfPfPKlPlN2at6native12_GLOBAL__N_18offset_tEEE10hipError_tPvRmT1_PNSt15iterator_traitsISK_E10value_typeET2_T3_PNSL_ISQ_E10value_typeET4_jRbjT5_SW_jjP12ihipStream_tbEUlT_E2_NS1_11comp_targetILNS1_3genE5ELNS1_11target_archE942ELNS1_3gpuE9ELNS1_3repE0EEENS1_30default_config_static_selectorELNS0_4arch9wavefront6targetE1EEEvSK_.uses_vcc, 0
	.set _ZN7rocprim17ROCPRIM_400000_NS6detail17trampoline_kernelINS0_14default_configENS1_36segmented_radix_sort_config_selectorIflEEZNS1_25segmented_radix_sort_implIS3_Lb1EPKfPfPKlPlN2at6native12_GLOBAL__N_18offset_tEEE10hipError_tPvRmT1_PNSt15iterator_traitsISK_E10value_typeET2_T3_PNSL_ISQ_E10value_typeET4_jRbjT5_SW_jjP12ihipStream_tbEUlT_E2_NS1_11comp_targetILNS1_3genE5ELNS1_11target_archE942ELNS1_3gpuE9ELNS1_3repE0EEENS1_30default_config_static_selectorELNS0_4arch9wavefront6targetE1EEEvSK_.uses_flat_scratch, 0
	.set _ZN7rocprim17ROCPRIM_400000_NS6detail17trampoline_kernelINS0_14default_configENS1_36segmented_radix_sort_config_selectorIflEEZNS1_25segmented_radix_sort_implIS3_Lb1EPKfPfPKlPlN2at6native12_GLOBAL__N_18offset_tEEE10hipError_tPvRmT1_PNSt15iterator_traitsISK_E10value_typeET2_T3_PNSL_ISQ_E10value_typeET4_jRbjT5_SW_jjP12ihipStream_tbEUlT_E2_NS1_11comp_targetILNS1_3genE5ELNS1_11target_archE942ELNS1_3gpuE9ELNS1_3repE0EEENS1_30default_config_static_selectorELNS0_4arch9wavefront6targetE1EEEvSK_.has_dyn_sized_stack, 0
	.set _ZN7rocprim17ROCPRIM_400000_NS6detail17trampoline_kernelINS0_14default_configENS1_36segmented_radix_sort_config_selectorIflEEZNS1_25segmented_radix_sort_implIS3_Lb1EPKfPfPKlPlN2at6native12_GLOBAL__N_18offset_tEEE10hipError_tPvRmT1_PNSt15iterator_traitsISK_E10value_typeET2_T3_PNSL_ISQ_E10value_typeET4_jRbjT5_SW_jjP12ihipStream_tbEUlT_E2_NS1_11comp_targetILNS1_3genE5ELNS1_11target_archE942ELNS1_3gpuE9ELNS1_3repE0EEENS1_30default_config_static_selectorELNS0_4arch9wavefront6targetE1EEEvSK_.has_recursion, 0
	.set _ZN7rocprim17ROCPRIM_400000_NS6detail17trampoline_kernelINS0_14default_configENS1_36segmented_radix_sort_config_selectorIflEEZNS1_25segmented_radix_sort_implIS3_Lb1EPKfPfPKlPlN2at6native12_GLOBAL__N_18offset_tEEE10hipError_tPvRmT1_PNSt15iterator_traitsISK_E10value_typeET2_T3_PNSL_ISQ_E10value_typeET4_jRbjT5_SW_jjP12ihipStream_tbEUlT_E2_NS1_11comp_targetILNS1_3genE5ELNS1_11target_archE942ELNS1_3gpuE9ELNS1_3repE0EEENS1_30default_config_static_selectorELNS0_4arch9wavefront6targetE1EEEvSK_.has_indirect_call, 0
	.section	.AMDGPU.csdata,"",@progbits
; Kernel info:
; codeLenInByte = 0
; TotalNumSgprs: 4
; NumVgprs: 0
; ScratchSize: 0
; MemoryBound: 0
; FloatMode: 240
; IeeeMode: 1
; LDSByteSize: 0 bytes/workgroup (compile time only)
; SGPRBlocks: 0
; VGPRBlocks: 0
; NumSGPRsForWavesPerEU: 4
; NumVGPRsForWavesPerEU: 1
; Occupancy: 10
; WaveLimiterHint : 0
; COMPUTE_PGM_RSRC2:SCRATCH_EN: 0
; COMPUTE_PGM_RSRC2:USER_SGPR: 6
; COMPUTE_PGM_RSRC2:TRAP_HANDLER: 0
; COMPUTE_PGM_RSRC2:TGID_X_EN: 1
; COMPUTE_PGM_RSRC2:TGID_Y_EN: 0
; COMPUTE_PGM_RSRC2:TGID_Z_EN: 0
; COMPUTE_PGM_RSRC2:TIDIG_COMP_CNT: 0
	.section	.text._ZN7rocprim17ROCPRIM_400000_NS6detail17trampoline_kernelINS0_14default_configENS1_36segmented_radix_sort_config_selectorIflEEZNS1_25segmented_radix_sort_implIS3_Lb1EPKfPfPKlPlN2at6native12_GLOBAL__N_18offset_tEEE10hipError_tPvRmT1_PNSt15iterator_traitsISK_E10value_typeET2_T3_PNSL_ISQ_E10value_typeET4_jRbjT5_SW_jjP12ihipStream_tbEUlT_E2_NS1_11comp_targetILNS1_3genE4ELNS1_11target_archE910ELNS1_3gpuE8ELNS1_3repE0EEENS1_30default_config_static_selectorELNS0_4arch9wavefront6targetE1EEEvSK_,"axG",@progbits,_ZN7rocprim17ROCPRIM_400000_NS6detail17trampoline_kernelINS0_14default_configENS1_36segmented_radix_sort_config_selectorIflEEZNS1_25segmented_radix_sort_implIS3_Lb1EPKfPfPKlPlN2at6native12_GLOBAL__N_18offset_tEEE10hipError_tPvRmT1_PNSt15iterator_traitsISK_E10value_typeET2_T3_PNSL_ISQ_E10value_typeET4_jRbjT5_SW_jjP12ihipStream_tbEUlT_E2_NS1_11comp_targetILNS1_3genE4ELNS1_11target_archE910ELNS1_3gpuE8ELNS1_3repE0EEENS1_30default_config_static_selectorELNS0_4arch9wavefront6targetE1EEEvSK_,comdat
	.globl	_ZN7rocprim17ROCPRIM_400000_NS6detail17trampoline_kernelINS0_14default_configENS1_36segmented_radix_sort_config_selectorIflEEZNS1_25segmented_radix_sort_implIS3_Lb1EPKfPfPKlPlN2at6native12_GLOBAL__N_18offset_tEEE10hipError_tPvRmT1_PNSt15iterator_traitsISK_E10value_typeET2_T3_PNSL_ISQ_E10value_typeET4_jRbjT5_SW_jjP12ihipStream_tbEUlT_E2_NS1_11comp_targetILNS1_3genE4ELNS1_11target_archE910ELNS1_3gpuE8ELNS1_3repE0EEENS1_30default_config_static_selectorELNS0_4arch9wavefront6targetE1EEEvSK_ ; -- Begin function _ZN7rocprim17ROCPRIM_400000_NS6detail17trampoline_kernelINS0_14default_configENS1_36segmented_radix_sort_config_selectorIflEEZNS1_25segmented_radix_sort_implIS3_Lb1EPKfPfPKlPlN2at6native12_GLOBAL__N_18offset_tEEE10hipError_tPvRmT1_PNSt15iterator_traitsISK_E10value_typeET2_T3_PNSL_ISQ_E10value_typeET4_jRbjT5_SW_jjP12ihipStream_tbEUlT_E2_NS1_11comp_targetILNS1_3genE4ELNS1_11target_archE910ELNS1_3gpuE8ELNS1_3repE0EEENS1_30default_config_static_selectorELNS0_4arch9wavefront6targetE1EEEvSK_
	.p2align	8
	.type	_ZN7rocprim17ROCPRIM_400000_NS6detail17trampoline_kernelINS0_14default_configENS1_36segmented_radix_sort_config_selectorIflEEZNS1_25segmented_radix_sort_implIS3_Lb1EPKfPfPKlPlN2at6native12_GLOBAL__N_18offset_tEEE10hipError_tPvRmT1_PNSt15iterator_traitsISK_E10value_typeET2_T3_PNSL_ISQ_E10value_typeET4_jRbjT5_SW_jjP12ihipStream_tbEUlT_E2_NS1_11comp_targetILNS1_3genE4ELNS1_11target_archE910ELNS1_3gpuE8ELNS1_3repE0EEENS1_30default_config_static_selectorELNS0_4arch9wavefront6targetE1EEEvSK_,@function
_ZN7rocprim17ROCPRIM_400000_NS6detail17trampoline_kernelINS0_14default_configENS1_36segmented_radix_sort_config_selectorIflEEZNS1_25segmented_radix_sort_implIS3_Lb1EPKfPfPKlPlN2at6native12_GLOBAL__N_18offset_tEEE10hipError_tPvRmT1_PNSt15iterator_traitsISK_E10value_typeET2_T3_PNSL_ISQ_E10value_typeET4_jRbjT5_SW_jjP12ihipStream_tbEUlT_E2_NS1_11comp_targetILNS1_3genE4ELNS1_11target_archE910ELNS1_3gpuE8ELNS1_3repE0EEENS1_30default_config_static_selectorELNS0_4arch9wavefront6targetE1EEEvSK_: ; @_ZN7rocprim17ROCPRIM_400000_NS6detail17trampoline_kernelINS0_14default_configENS1_36segmented_radix_sort_config_selectorIflEEZNS1_25segmented_radix_sort_implIS3_Lb1EPKfPfPKlPlN2at6native12_GLOBAL__N_18offset_tEEE10hipError_tPvRmT1_PNSt15iterator_traitsISK_E10value_typeET2_T3_PNSL_ISQ_E10value_typeET4_jRbjT5_SW_jjP12ihipStream_tbEUlT_E2_NS1_11comp_targetILNS1_3genE4ELNS1_11target_archE910ELNS1_3gpuE8ELNS1_3repE0EEENS1_30default_config_static_selectorELNS0_4arch9wavefront6targetE1EEEvSK_
; %bb.0:
	.section	.rodata,"a",@progbits
	.p2align	6, 0x0
	.amdhsa_kernel _ZN7rocprim17ROCPRIM_400000_NS6detail17trampoline_kernelINS0_14default_configENS1_36segmented_radix_sort_config_selectorIflEEZNS1_25segmented_radix_sort_implIS3_Lb1EPKfPfPKlPlN2at6native12_GLOBAL__N_18offset_tEEE10hipError_tPvRmT1_PNSt15iterator_traitsISK_E10value_typeET2_T3_PNSL_ISQ_E10value_typeET4_jRbjT5_SW_jjP12ihipStream_tbEUlT_E2_NS1_11comp_targetILNS1_3genE4ELNS1_11target_archE910ELNS1_3gpuE8ELNS1_3repE0EEENS1_30default_config_static_selectorELNS0_4arch9wavefront6targetE1EEEvSK_
		.amdhsa_group_segment_fixed_size 0
		.amdhsa_private_segment_fixed_size 0
		.amdhsa_kernarg_size 80
		.amdhsa_user_sgpr_count 6
		.amdhsa_user_sgpr_private_segment_buffer 1
		.amdhsa_user_sgpr_dispatch_ptr 0
		.amdhsa_user_sgpr_queue_ptr 0
		.amdhsa_user_sgpr_kernarg_segment_ptr 1
		.amdhsa_user_sgpr_dispatch_id 0
		.amdhsa_user_sgpr_flat_scratch_init 0
		.amdhsa_user_sgpr_private_segment_size 0
		.amdhsa_uses_dynamic_stack 0
		.amdhsa_system_sgpr_private_segment_wavefront_offset 0
		.amdhsa_system_sgpr_workgroup_id_x 1
		.amdhsa_system_sgpr_workgroup_id_y 0
		.amdhsa_system_sgpr_workgroup_id_z 0
		.amdhsa_system_sgpr_workgroup_info 0
		.amdhsa_system_vgpr_workitem_id 0
		.amdhsa_next_free_vgpr 1
		.amdhsa_next_free_sgpr 0
		.amdhsa_reserve_vcc 0
		.amdhsa_reserve_flat_scratch 0
		.amdhsa_float_round_mode_32 0
		.amdhsa_float_round_mode_16_64 0
		.amdhsa_float_denorm_mode_32 3
		.amdhsa_float_denorm_mode_16_64 3
		.amdhsa_dx10_clamp 1
		.amdhsa_ieee_mode 1
		.amdhsa_fp16_overflow 0
		.amdhsa_exception_fp_ieee_invalid_op 0
		.amdhsa_exception_fp_denorm_src 0
		.amdhsa_exception_fp_ieee_div_zero 0
		.amdhsa_exception_fp_ieee_overflow 0
		.amdhsa_exception_fp_ieee_underflow 0
		.amdhsa_exception_fp_ieee_inexact 0
		.amdhsa_exception_int_div_zero 0
	.end_amdhsa_kernel
	.section	.text._ZN7rocprim17ROCPRIM_400000_NS6detail17trampoline_kernelINS0_14default_configENS1_36segmented_radix_sort_config_selectorIflEEZNS1_25segmented_radix_sort_implIS3_Lb1EPKfPfPKlPlN2at6native12_GLOBAL__N_18offset_tEEE10hipError_tPvRmT1_PNSt15iterator_traitsISK_E10value_typeET2_T3_PNSL_ISQ_E10value_typeET4_jRbjT5_SW_jjP12ihipStream_tbEUlT_E2_NS1_11comp_targetILNS1_3genE4ELNS1_11target_archE910ELNS1_3gpuE8ELNS1_3repE0EEENS1_30default_config_static_selectorELNS0_4arch9wavefront6targetE1EEEvSK_,"axG",@progbits,_ZN7rocprim17ROCPRIM_400000_NS6detail17trampoline_kernelINS0_14default_configENS1_36segmented_radix_sort_config_selectorIflEEZNS1_25segmented_radix_sort_implIS3_Lb1EPKfPfPKlPlN2at6native12_GLOBAL__N_18offset_tEEE10hipError_tPvRmT1_PNSt15iterator_traitsISK_E10value_typeET2_T3_PNSL_ISQ_E10value_typeET4_jRbjT5_SW_jjP12ihipStream_tbEUlT_E2_NS1_11comp_targetILNS1_3genE4ELNS1_11target_archE910ELNS1_3gpuE8ELNS1_3repE0EEENS1_30default_config_static_selectorELNS0_4arch9wavefront6targetE1EEEvSK_,comdat
.Lfunc_end1357:
	.size	_ZN7rocprim17ROCPRIM_400000_NS6detail17trampoline_kernelINS0_14default_configENS1_36segmented_radix_sort_config_selectorIflEEZNS1_25segmented_radix_sort_implIS3_Lb1EPKfPfPKlPlN2at6native12_GLOBAL__N_18offset_tEEE10hipError_tPvRmT1_PNSt15iterator_traitsISK_E10value_typeET2_T3_PNSL_ISQ_E10value_typeET4_jRbjT5_SW_jjP12ihipStream_tbEUlT_E2_NS1_11comp_targetILNS1_3genE4ELNS1_11target_archE910ELNS1_3gpuE8ELNS1_3repE0EEENS1_30default_config_static_selectorELNS0_4arch9wavefront6targetE1EEEvSK_, .Lfunc_end1357-_ZN7rocprim17ROCPRIM_400000_NS6detail17trampoline_kernelINS0_14default_configENS1_36segmented_radix_sort_config_selectorIflEEZNS1_25segmented_radix_sort_implIS3_Lb1EPKfPfPKlPlN2at6native12_GLOBAL__N_18offset_tEEE10hipError_tPvRmT1_PNSt15iterator_traitsISK_E10value_typeET2_T3_PNSL_ISQ_E10value_typeET4_jRbjT5_SW_jjP12ihipStream_tbEUlT_E2_NS1_11comp_targetILNS1_3genE4ELNS1_11target_archE910ELNS1_3gpuE8ELNS1_3repE0EEENS1_30default_config_static_selectorELNS0_4arch9wavefront6targetE1EEEvSK_
                                        ; -- End function
	.set _ZN7rocprim17ROCPRIM_400000_NS6detail17trampoline_kernelINS0_14default_configENS1_36segmented_radix_sort_config_selectorIflEEZNS1_25segmented_radix_sort_implIS3_Lb1EPKfPfPKlPlN2at6native12_GLOBAL__N_18offset_tEEE10hipError_tPvRmT1_PNSt15iterator_traitsISK_E10value_typeET2_T3_PNSL_ISQ_E10value_typeET4_jRbjT5_SW_jjP12ihipStream_tbEUlT_E2_NS1_11comp_targetILNS1_3genE4ELNS1_11target_archE910ELNS1_3gpuE8ELNS1_3repE0EEENS1_30default_config_static_selectorELNS0_4arch9wavefront6targetE1EEEvSK_.num_vgpr, 0
	.set _ZN7rocprim17ROCPRIM_400000_NS6detail17trampoline_kernelINS0_14default_configENS1_36segmented_radix_sort_config_selectorIflEEZNS1_25segmented_radix_sort_implIS3_Lb1EPKfPfPKlPlN2at6native12_GLOBAL__N_18offset_tEEE10hipError_tPvRmT1_PNSt15iterator_traitsISK_E10value_typeET2_T3_PNSL_ISQ_E10value_typeET4_jRbjT5_SW_jjP12ihipStream_tbEUlT_E2_NS1_11comp_targetILNS1_3genE4ELNS1_11target_archE910ELNS1_3gpuE8ELNS1_3repE0EEENS1_30default_config_static_selectorELNS0_4arch9wavefront6targetE1EEEvSK_.num_agpr, 0
	.set _ZN7rocprim17ROCPRIM_400000_NS6detail17trampoline_kernelINS0_14default_configENS1_36segmented_radix_sort_config_selectorIflEEZNS1_25segmented_radix_sort_implIS3_Lb1EPKfPfPKlPlN2at6native12_GLOBAL__N_18offset_tEEE10hipError_tPvRmT1_PNSt15iterator_traitsISK_E10value_typeET2_T3_PNSL_ISQ_E10value_typeET4_jRbjT5_SW_jjP12ihipStream_tbEUlT_E2_NS1_11comp_targetILNS1_3genE4ELNS1_11target_archE910ELNS1_3gpuE8ELNS1_3repE0EEENS1_30default_config_static_selectorELNS0_4arch9wavefront6targetE1EEEvSK_.numbered_sgpr, 0
	.set _ZN7rocprim17ROCPRIM_400000_NS6detail17trampoline_kernelINS0_14default_configENS1_36segmented_radix_sort_config_selectorIflEEZNS1_25segmented_radix_sort_implIS3_Lb1EPKfPfPKlPlN2at6native12_GLOBAL__N_18offset_tEEE10hipError_tPvRmT1_PNSt15iterator_traitsISK_E10value_typeET2_T3_PNSL_ISQ_E10value_typeET4_jRbjT5_SW_jjP12ihipStream_tbEUlT_E2_NS1_11comp_targetILNS1_3genE4ELNS1_11target_archE910ELNS1_3gpuE8ELNS1_3repE0EEENS1_30default_config_static_selectorELNS0_4arch9wavefront6targetE1EEEvSK_.num_named_barrier, 0
	.set _ZN7rocprim17ROCPRIM_400000_NS6detail17trampoline_kernelINS0_14default_configENS1_36segmented_radix_sort_config_selectorIflEEZNS1_25segmented_radix_sort_implIS3_Lb1EPKfPfPKlPlN2at6native12_GLOBAL__N_18offset_tEEE10hipError_tPvRmT1_PNSt15iterator_traitsISK_E10value_typeET2_T3_PNSL_ISQ_E10value_typeET4_jRbjT5_SW_jjP12ihipStream_tbEUlT_E2_NS1_11comp_targetILNS1_3genE4ELNS1_11target_archE910ELNS1_3gpuE8ELNS1_3repE0EEENS1_30default_config_static_selectorELNS0_4arch9wavefront6targetE1EEEvSK_.private_seg_size, 0
	.set _ZN7rocprim17ROCPRIM_400000_NS6detail17trampoline_kernelINS0_14default_configENS1_36segmented_radix_sort_config_selectorIflEEZNS1_25segmented_radix_sort_implIS3_Lb1EPKfPfPKlPlN2at6native12_GLOBAL__N_18offset_tEEE10hipError_tPvRmT1_PNSt15iterator_traitsISK_E10value_typeET2_T3_PNSL_ISQ_E10value_typeET4_jRbjT5_SW_jjP12ihipStream_tbEUlT_E2_NS1_11comp_targetILNS1_3genE4ELNS1_11target_archE910ELNS1_3gpuE8ELNS1_3repE0EEENS1_30default_config_static_selectorELNS0_4arch9wavefront6targetE1EEEvSK_.uses_vcc, 0
	.set _ZN7rocprim17ROCPRIM_400000_NS6detail17trampoline_kernelINS0_14default_configENS1_36segmented_radix_sort_config_selectorIflEEZNS1_25segmented_radix_sort_implIS3_Lb1EPKfPfPKlPlN2at6native12_GLOBAL__N_18offset_tEEE10hipError_tPvRmT1_PNSt15iterator_traitsISK_E10value_typeET2_T3_PNSL_ISQ_E10value_typeET4_jRbjT5_SW_jjP12ihipStream_tbEUlT_E2_NS1_11comp_targetILNS1_3genE4ELNS1_11target_archE910ELNS1_3gpuE8ELNS1_3repE0EEENS1_30default_config_static_selectorELNS0_4arch9wavefront6targetE1EEEvSK_.uses_flat_scratch, 0
	.set _ZN7rocprim17ROCPRIM_400000_NS6detail17trampoline_kernelINS0_14default_configENS1_36segmented_radix_sort_config_selectorIflEEZNS1_25segmented_radix_sort_implIS3_Lb1EPKfPfPKlPlN2at6native12_GLOBAL__N_18offset_tEEE10hipError_tPvRmT1_PNSt15iterator_traitsISK_E10value_typeET2_T3_PNSL_ISQ_E10value_typeET4_jRbjT5_SW_jjP12ihipStream_tbEUlT_E2_NS1_11comp_targetILNS1_3genE4ELNS1_11target_archE910ELNS1_3gpuE8ELNS1_3repE0EEENS1_30default_config_static_selectorELNS0_4arch9wavefront6targetE1EEEvSK_.has_dyn_sized_stack, 0
	.set _ZN7rocprim17ROCPRIM_400000_NS6detail17trampoline_kernelINS0_14default_configENS1_36segmented_radix_sort_config_selectorIflEEZNS1_25segmented_radix_sort_implIS3_Lb1EPKfPfPKlPlN2at6native12_GLOBAL__N_18offset_tEEE10hipError_tPvRmT1_PNSt15iterator_traitsISK_E10value_typeET2_T3_PNSL_ISQ_E10value_typeET4_jRbjT5_SW_jjP12ihipStream_tbEUlT_E2_NS1_11comp_targetILNS1_3genE4ELNS1_11target_archE910ELNS1_3gpuE8ELNS1_3repE0EEENS1_30default_config_static_selectorELNS0_4arch9wavefront6targetE1EEEvSK_.has_recursion, 0
	.set _ZN7rocprim17ROCPRIM_400000_NS6detail17trampoline_kernelINS0_14default_configENS1_36segmented_radix_sort_config_selectorIflEEZNS1_25segmented_radix_sort_implIS3_Lb1EPKfPfPKlPlN2at6native12_GLOBAL__N_18offset_tEEE10hipError_tPvRmT1_PNSt15iterator_traitsISK_E10value_typeET2_T3_PNSL_ISQ_E10value_typeET4_jRbjT5_SW_jjP12ihipStream_tbEUlT_E2_NS1_11comp_targetILNS1_3genE4ELNS1_11target_archE910ELNS1_3gpuE8ELNS1_3repE0EEENS1_30default_config_static_selectorELNS0_4arch9wavefront6targetE1EEEvSK_.has_indirect_call, 0
	.section	.AMDGPU.csdata,"",@progbits
; Kernel info:
; codeLenInByte = 0
; TotalNumSgprs: 4
; NumVgprs: 0
; ScratchSize: 0
; MemoryBound: 0
; FloatMode: 240
; IeeeMode: 1
; LDSByteSize: 0 bytes/workgroup (compile time only)
; SGPRBlocks: 0
; VGPRBlocks: 0
; NumSGPRsForWavesPerEU: 4
; NumVGPRsForWavesPerEU: 1
; Occupancy: 10
; WaveLimiterHint : 0
; COMPUTE_PGM_RSRC2:SCRATCH_EN: 0
; COMPUTE_PGM_RSRC2:USER_SGPR: 6
; COMPUTE_PGM_RSRC2:TRAP_HANDLER: 0
; COMPUTE_PGM_RSRC2:TGID_X_EN: 1
; COMPUTE_PGM_RSRC2:TGID_Y_EN: 0
; COMPUTE_PGM_RSRC2:TGID_Z_EN: 0
; COMPUTE_PGM_RSRC2:TIDIG_COMP_CNT: 0
	.section	.text._ZN7rocprim17ROCPRIM_400000_NS6detail17trampoline_kernelINS0_14default_configENS1_36segmented_radix_sort_config_selectorIflEEZNS1_25segmented_radix_sort_implIS3_Lb1EPKfPfPKlPlN2at6native12_GLOBAL__N_18offset_tEEE10hipError_tPvRmT1_PNSt15iterator_traitsISK_E10value_typeET2_T3_PNSL_ISQ_E10value_typeET4_jRbjT5_SW_jjP12ihipStream_tbEUlT_E2_NS1_11comp_targetILNS1_3genE3ELNS1_11target_archE908ELNS1_3gpuE7ELNS1_3repE0EEENS1_30default_config_static_selectorELNS0_4arch9wavefront6targetE1EEEvSK_,"axG",@progbits,_ZN7rocprim17ROCPRIM_400000_NS6detail17trampoline_kernelINS0_14default_configENS1_36segmented_radix_sort_config_selectorIflEEZNS1_25segmented_radix_sort_implIS3_Lb1EPKfPfPKlPlN2at6native12_GLOBAL__N_18offset_tEEE10hipError_tPvRmT1_PNSt15iterator_traitsISK_E10value_typeET2_T3_PNSL_ISQ_E10value_typeET4_jRbjT5_SW_jjP12ihipStream_tbEUlT_E2_NS1_11comp_targetILNS1_3genE3ELNS1_11target_archE908ELNS1_3gpuE7ELNS1_3repE0EEENS1_30default_config_static_selectorELNS0_4arch9wavefront6targetE1EEEvSK_,comdat
	.globl	_ZN7rocprim17ROCPRIM_400000_NS6detail17trampoline_kernelINS0_14default_configENS1_36segmented_radix_sort_config_selectorIflEEZNS1_25segmented_radix_sort_implIS3_Lb1EPKfPfPKlPlN2at6native12_GLOBAL__N_18offset_tEEE10hipError_tPvRmT1_PNSt15iterator_traitsISK_E10value_typeET2_T3_PNSL_ISQ_E10value_typeET4_jRbjT5_SW_jjP12ihipStream_tbEUlT_E2_NS1_11comp_targetILNS1_3genE3ELNS1_11target_archE908ELNS1_3gpuE7ELNS1_3repE0EEENS1_30default_config_static_selectorELNS0_4arch9wavefront6targetE1EEEvSK_ ; -- Begin function _ZN7rocprim17ROCPRIM_400000_NS6detail17trampoline_kernelINS0_14default_configENS1_36segmented_radix_sort_config_selectorIflEEZNS1_25segmented_radix_sort_implIS3_Lb1EPKfPfPKlPlN2at6native12_GLOBAL__N_18offset_tEEE10hipError_tPvRmT1_PNSt15iterator_traitsISK_E10value_typeET2_T3_PNSL_ISQ_E10value_typeET4_jRbjT5_SW_jjP12ihipStream_tbEUlT_E2_NS1_11comp_targetILNS1_3genE3ELNS1_11target_archE908ELNS1_3gpuE7ELNS1_3repE0EEENS1_30default_config_static_selectorELNS0_4arch9wavefront6targetE1EEEvSK_
	.p2align	8
	.type	_ZN7rocprim17ROCPRIM_400000_NS6detail17trampoline_kernelINS0_14default_configENS1_36segmented_radix_sort_config_selectorIflEEZNS1_25segmented_radix_sort_implIS3_Lb1EPKfPfPKlPlN2at6native12_GLOBAL__N_18offset_tEEE10hipError_tPvRmT1_PNSt15iterator_traitsISK_E10value_typeET2_T3_PNSL_ISQ_E10value_typeET4_jRbjT5_SW_jjP12ihipStream_tbEUlT_E2_NS1_11comp_targetILNS1_3genE3ELNS1_11target_archE908ELNS1_3gpuE7ELNS1_3repE0EEENS1_30default_config_static_selectorELNS0_4arch9wavefront6targetE1EEEvSK_,@function
_ZN7rocprim17ROCPRIM_400000_NS6detail17trampoline_kernelINS0_14default_configENS1_36segmented_radix_sort_config_selectorIflEEZNS1_25segmented_radix_sort_implIS3_Lb1EPKfPfPKlPlN2at6native12_GLOBAL__N_18offset_tEEE10hipError_tPvRmT1_PNSt15iterator_traitsISK_E10value_typeET2_T3_PNSL_ISQ_E10value_typeET4_jRbjT5_SW_jjP12ihipStream_tbEUlT_E2_NS1_11comp_targetILNS1_3genE3ELNS1_11target_archE908ELNS1_3gpuE7ELNS1_3repE0EEENS1_30default_config_static_selectorELNS0_4arch9wavefront6targetE1EEEvSK_: ; @_ZN7rocprim17ROCPRIM_400000_NS6detail17trampoline_kernelINS0_14default_configENS1_36segmented_radix_sort_config_selectorIflEEZNS1_25segmented_radix_sort_implIS3_Lb1EPKfPfPKlPlN2at6native12_GLOBAL__N_18offset_tEEE10hipError_tPvRmT1_PNSt15iterator_traitsISK_E10value_typeET2_T3_PNSL_ISQ_E10value_typeET4_jRbjT5_SW_jjP12ihipStream_tbEUlT_E2_NS1_11comp_targetILNS1_3genE3ELNS1_11target_archE908ELNS1_3gpuE7ELNS1_3repE0EEENS1_30default_config_static_selectorELNS0_4arch9wavefront6targetE1EEEvSK_
; %bb.0:
	.section	.rodata,"a",@progbits
	.p2align	6, 0x0
	.amdhsa_kernel _ZN7rocprim17ROCPRIM_400000_NS6detail17trampoline_kernelINS0_14default_configENS1_36segmented_radix_sort_config_selectorIflEEZNS1_25segmented_radix_sort_implIS3_Lb1EPKfPfPKlPlN2at6native12_GLOBAL__N_18offset_tEEE10hipError_tPvRmT1_PNSt15iterator_traitsISK_E10value_typeET2_T3_PNSL_ISQ_E10value_typeET4_jRbjT5_SW_jjP12ihipStream_tbEUlT_E2_NS1_11comp_targetILNS1_3genE3ELNS1_11target_archE908ELNS1_3gpuE7ELNS1_3repE0EEENS1_30default_config_static_selectorELNS0_4arch9wavefront6targetE1EEEvSK_
		.amdhsa_group_segment_fixed_size 0
		.amdhsa_private_segment_fixed_size 0
		.amdhsa_kernarg_size 80
		.amdhsa_user_sgpr_count 6
		.amdhsa_user_sgpr_private_segment_buffer 1
		.amdhsa_user_sgpr_dispatch_ptr 0
		.amdhsa_user_sgpr_queue_ptr 0
		.amdhsa_user_sgpr_kernarg_segment_ptr 1
		.amdhsa_user_sgpr_dispatch_id 0
		.amdhsa_user_sgpr_flat_scratch_init 0
		.amdhsa_user_sgpr_private_segment_size 0
		.amdhsa_uses_dynamic_stack 0
		.amdhsa_system_sgpr_private_segment_wavefront_offset 0
		.amdhsa_system_sgpr_workgroup_id_x 1
		.amdhsa_system_sgpr_workgroup_id_y 0
		.amdhsa_system_sgpr_workgroup_id_z 0
		.amdhsa_system_sgpr_workgroup_info 0
		.amdhsa_system_vgpr_workitem_id 0
		.amdhsa_next_free_vgpr 1
		.amdhsa_next_free_sgpr 0
		.amdhsa_reserve_vcc 0
		.amdhsa_reserve_flat_scratch 0
		.amdhsa_float_round_mode_32 0
		.amdhsa_float_round_mode_16_64 0
		.amdhsa_float_denorm_mode_32 3
		.amdhsa_float_denorm_mode_16_64 3
		.amdhsa_dx10_clamp 1
		.amdhsa_ieee_mode 1
		.amdhsa_fp16_overflow 0
		.amdhsa_exception_fp_ieee_invalid_op 0
		.amdhsa_exception_fp_denorm_src 0
		.amdhsa_exception_fp_ieee_div_zero 0
		.amdhsa_exception_fp_ieee_overflow 0
		.amdhsa_exception_fp_ieee_underflow 0
		.amdhsa_exception_fp_ieee_inexact 0
		.amdhsa_exception_int_div_zero 0
	.end_amdhsa_kernel
	.section	.text._ZN7rocprim17ROCPRIM_400000_NS6detail17trampoline_kernelINS0_14default_configENS1_36segmented_radix_sort_config_selectorIflEEZNS1_25segmented_radix_sort_implIS3_Lb1EPKfPfPKlPlN2at6native12_GLOBAL__N_18offset_tEEE10hipError_tPvRmT1_PNSt15iterator_traitsISK_E10value_typeET2_T3_PNSL_ISQ_E10value_typeET4_jRbjT5_SW_jjP12ihipStream_tbEUlT_E2_NS1_11comp_targetILNS1_3genE3ELNS1_11target_archE908ELNS1_3gpuE7ELNS1_3repE0EEENS1_30default_config_static_selectorELNS0_4arch9wavefront6targetE1EEEvSK_,"axG",@progbits,_ZN7rocprim17ROCPRIM_400000_NS6detail17trampoline_kernelINS0_14default_configENS1_36segmented_radix_sort_config_selectorIflEEZNS1_25segmented_radix_sort_implIS3_Lb1EPKfPfPKlPlN2at6native12_GLOBAL__N_18offset_tEEE10hipError_tPvRmT1_PNSt15iterator_traitsISK_E10value_typeET2_T3_PNSL_ISQ_E10value_typeET4_jRbjT5_SW_jjP12ihipStream_tbEUlT_E2_NS1_11comp_targetILNS1_3genE3ELNS1_11target_archE908ELNS1_3gpuE7ELNS1_3repE0EEENS1_30default_config_static_selectorELNS0_4arch9wavefront6targetE1EEEvSK_,comdat
.Lfunc_end1358:
	.size	_ZN7rocprim17ROCPRIM_400000_NS6detail17trampoline_kernelINS0_14default_configENS1_36segmented_radix_sort_config_selectorIflEEZNS1_25segmented_radix_sort_implIS3_Lb1EPKfPfPKlPlN2at6native12_GLOBAL__N_18offset_tEEE10hipError_tPvRmT1_PNSt15iterator_traitsISK_E10value_typeET2_T3_PNSL_ISQ_E10value_typeET4_jRbjT5_SW_jjP12ihipStream_tbEUlT_E2_NS1_11comp_targetILNS1_3genE3ELNS1_11target_archE908ELNS1_3gpuE7ELNS1_3repE0EEENS1_30default_config_static_selectorELNS0_4arch9wavefront6targetE1EEEvSK_, .Lfunc_end1358-_ZN7rocprim17ROCPRIM_400000_NS6detail17trampoline_kernelINS0_14default_configENS1_36segmented_radix_sort_config_selectorIflEEZNS1_25segmented_radix_sort_implIS3_Lb1EPKfPfPKlPlN2at6native12_GLOBAL__N_18offset_tEEE10hipError_tPvRmT1_PNSt15iterator_traitsISK_E10value_typeET2_T3_PNSL_ISQ_E10value_typeET4_jRbjT5_SW_jjP12ihipStream_tbEUlT_E2_NS1_11comp_targetILNS1_3genE3ELNS1_11target_archE908ELNS1_3gpuE7ELNS1_3repE0EEENS1_30default_config_static_selectorELNS0_4arch9wavefront6targetE1EEEvSK_
                                        ; -- End function
	.set _ZN7rocprim17ROCPRIM_400000_NS6detail17trampoline_kernelINS0_14default_configENS1_36segmented_radix_sort_config_selectorIflEEZNS1_25segmented_radix_sort_implIS3_Lb1EPKfPfPKlPlN2at6native12_GLOBAL__N_18offset_tEEE10hipError_tPvRmT1_PNSt15iterator_traitsISK_E10value_typeET2_T3_PNSL_ISQ_E10value_typeET4_jRbjT5_SW_jjP12ihipStream_tbEUlT_E2_NS1_11comp_targetILNS1_3genE3ELNS1_11target_archE908ELNS1_3gpuE7ELNS1_3repE0EEENS1_30default_config_static_selectorELNS0_4arch9wavefront6targetE1EEEvSK_.num_vgpr, 0
	.set _ZN7rocprim17ROCPRIM_400000_NS6detail17trampoline_kernelINS0_14default_configENS1_36segmented_radix_sort_config_selectorIflEEZNS1_25segmented_radix_sort_implIS3_Lb1EPKfPfPKlPlN2at6native12_GLOBAL__N_18offset_tEEE10hipError_tPvRmT1_PNSt15iterator_traitsISK_E10value_typeET2_T3_PNSL_ISQ_E10value_typeET4_jRbjT5_SW_jjP12ihipStream_tbEUlT_E2_NS1_11comp_targetILNS1_3genE3ELNS1_11target_archE908ELNS1_3gpuE7ELNS1_3repE0EEENS1_30default_config_static_selectorELNS0_4arch9wavefront6targetE1EEEvSK_.num_agpr, 0
	.set _ZN7rocprim17ROCPRIM_400000_NS6detail17trampoline_kernelINS0_14default_configENS1_36segmented_radix_sort_config_selectorIflEEZNS1_25segmented_radix_sort_implIS3_Lb1EPKfPfPKlPlN2at6native12_GLOBAL__N_18offset_tEEE10hipError_tPvRmT1_PNSt15iterator_traitsISK_E10value_typeET2_T3_PNSL_ISQ_E10value_typeET4_jRbjT5_SW_jjP12ihipStream_tbEUlT_E2_NS1_11comp_targetILNS1_3genE3ELNS1_11target_archE908ELNS1_3gpuE7ELNS1_3repE0EEENS1_30default_config_static_selectorELNS0_4arch9wavefront6targetE1EEEvSK_.numbered_sgpr, 0
	.set _ZN7rocprim17ROCPRIM_400000_NS6detail17trampoline_kernelINS0_14default_configENS1_36segmented_radix_sort_config_selectorIflEEZNS1_25segmented_radix_sort_implIS3_Lb1EPKfPfPKlPlN2at6native12_GLOBAL__N_18offset_tEEE10hipError_tPvRmT1_PNSt15iterator_traitsISK_E10value_typeET2_T3_PNSL_ISQ_E10value_typeET4_jRbjT5_SW_jjP12ihipStream_tbEUlT_E2_NS1_11comp_targetILNS1_3genE3ELNS1_11target_archE908ELNS1_3gpuE7ELNS1_3repE0EEENS1_30default_config_static_selectorELNS0_4arch9wavefront6targetE1EEEvSK_.num_named_barrier, 0
	.set _ZN7rocprim17ROCPRIM_400000_NS6detail17trampoline_kernelINS0_14default_configENS1_36segmented_radix_sort_config_selectorIflEEZNS1_25segmented_radix_sort_implIS3_Lb1EPKfPfPKlPlN2at6native12_GLOBAL__N_18offset_tEEE10hipError_tPvRmT1_PNSt15iterator_traitsISK_E10value_typeET2_T3_PNSL_ISQ_E10value_typeET4_jRbjT5_SW_jjP12ihipStream_tbEUlT_E2_NS1_11comp_targetILNS1_3genE3ELNS1_11target_archE908ELNS1_3gpuE7ELNS1_3repE0EEENS1_30default_config_static_selectorELNS0_4arch9wavefront6targetE1EEEvSK_.private_seg_size, 0
	.set _ZN7rocprim17ROCPRIM_400000_NS6detail17trampoline_kernelINS0_14default_configENS1_36segmented_radix_sort_config_selectorIflEEZNS1_25segmented_radix_sort_implIS3_Lb1EPKfPfPKlPlN2at6native12_GLOBAL__N_18offset_tEEE10hipError_tPvRmT1_PNSt15iterator_traitsISK_E10value_typeET2_T3_PNSL_ISQ_E10value_typeET4_jRbjT5_SW_jjP12ihipStream_tbEUlT_E2_NS1_11comp_targetILNS1_3genE3ELNS1_11target_archE908ELNS1_3gpuE7ELNS1_3repE0EEENS1_30default_config_static_selectorELNS0_4arch9wavefront6targetE1EEEvSK_.uses_vcc, 0
	.set _ZN7rocprim17ROCPRIM_400000_NS6detail17trampoline_kernelINS0_14default_configENS1_36segmented_radix_sort_config_selectorIflEEZNS1_25segmented_radix_sort_implIS3_Lb1EPKfPfPKlPlN2at6native12_GLOBAL__N_18offset_tEEE10hipError_tPvRmT1_PNSt15iterator_traitsISK_E10value_typeET2_T3_PNSL_ISQ_E10value_typeET4_jRbjT5_SW_jjP12ihipStream_tbEUlT_E2_NS1_11comp_targetILNS1_3genE3ELNS1_11target_archE908ELNS1_3gpuE7ELNS1_3repE0EEENS1_30default_config_static_selectorELNS0_4arch9wavefront6targetE1EEEvSK_.uses_flat_scratch, 0
	.set _ZN7rocprim17ROCPRIM_400000_NS6detail17trampoline_kernelINS0_14default_configENS1_36segmented_radix_sort_config_selectorIflEEZNS1_25segmented_radix_sort_implIS3_Lb1EPKfPfPKlPlN2at6native12_GLOBAL__N_18offset_tEEE10hipError_tPvRmT1_PNSt15iterator_traitsISK_E10value_typeET2_T3_PNSL_ISQ_E10value_typeET4_jRbjT5_SW_jjP12ihipStream_tbEUlT_E2_NS1_11comp_targetILNS1_3genE3ELNS1_11target_archE908ELNS1_3gpuE7ELNS1_3repE0EEENS1_30default_config_static_selectorELNS0_4arch9wavefront6targetE1EEEvSK_.has_dyn_sized_stack, 0
	.set _ZN7rocprim17ROCPRIM_400000_NS6detail17trampoline_kernelINS0_14default_configENS1_36segmented_radix_sort_config_selectorIflEEZNS1_25segmented_radix_sort_implIS3_Lb1EPKfPfPKlPlN2at6native12_GLOBAL__N_18offset_tEEE10hipError_tPvRmT1_PNSt15iterator_traitsISK_E10value_typeET2_T3_PNSL_ISQ_E10value_typeET4_jRbjT5_SW_jjP12ihipStream_tbEUlT_E2_NS1_11comp_targetILNS1_3genE3ELNS1_11target_archE908ELNS1_3gpuE7ELNS1_3repE0EEENS1_30default_config_static_selectorELNS0_4arch9wavefront6targetE1EEEvSK_.has_recursion, 0
	.set _ZN7rocprim17ROCPRIM_400000_NS6detail17trampoline_kernelINS0_14default_configENS1_36segmented_radix_sort_config_selectorIflEEZNS1_25segmented_radix_sort_implIS3_Lb1EPKfPfPKlPlN2at6native12_GLOBAL__N_18offset_tEEE10hipError_tPvRmT1_PNSt15iterator_traitsISK_E10value_typeET2_T3_PNSL_ISQ_E10value_typeET4_jRbjT5_SW_jjP12ihipStream_tbEUlT_E2_NS1_11comp_targetILNS1_3genE3ELNS1_11target_archE908ELNS1_3gpuE7ELNS1_3repE0EEENS1_30default_config_static_selectorELNS0_4arch9wavefront6targetE1EEEvSK_.has_indirect_call, 0
	.section	.AMDGPU.csdata,"",@progbits
; Kernel info:
; codeLenInByte = 0
; TotalNumSgprs: 4
; NumVgprs: 0
; ScratchSize: 0
; MemoryBound: 0
; FloatMode: 240
; IeeeMode: 1
; LDSByteSize: 0 bytes/workgroup (compile time only)
; SGPRBlocks: 0
; VGPRBlocks: 0
; NumSGPRsForWavesPerEU: 4
; NumVGPRsForWavesPerEU: 1
; Occupancy: 10
; WaveLimiterHint : 0
; COMPUTE_PGM_RSRC2:SCRATCH_EN: 0
; COMPUTE_PGM_RSRC2:USER_SGPR: 6
; COMPUTE_PGM_RSRC2:TRAP_HANDLER: 0
; COMPUTE_PGM_RSRC2:TGID_X_EN: 1
; COMPUTE_PGM_RSRC2:TGID_Y_EN: 0
; COMPUTE_PGM_RSRC2:TGID_Z_EN: 0
; COMPUTE_PGM_RSRC2:TIDIG_COMP_CNT: 0
	.section	.text._ZN7rocprim17ROCPRIM_400000_NS6detail17trampoline_kernelINS0_14default_configENS1_36segmented_radix_sort_config_selectorIflEEZNS1_25segmented_radix_sort_implIS3_Lb1EPKfPfPKlPlN2at6native12_GLOBAL__N_18offset_tEEE10hipError_tPvRmT1_PNSt15iterator_traitsISK_E10value_typeET2_T3_PNSL_ISQ_E10value_typeET4_jRbjT5_SW_jjP12ihipStream_tbEUlT_E2_NS1_11comp_targetILNS1_3genE2ELNS1_11target_archE906ELNS1_3gpuE6ELNS1_3repE0EEENS1_30default_config_static_selectorELNS0_4arch9wavefront6targetE1EEEvSK_,"axG",@progbits,_ZN7rocprim17ROCPRIM_400000_NS6detail17trampoline_kernelINS0_14default_configENS1_36segmented_radix_sort_config_selectorIflEEZNS1_25segmented_radix_sort_implIS3_Lb1EPKfPfPKlPlN2at6native12_GLOBAL__N_18offset_tEEE10hipError_tPvRmT1_PNSt15iterator_traitsISK_E10value_typeET2_T3_PNSL_ISQ_E10value_typeET4_jRbjT5_SW_jjP12ihipStream_tbEUlT_E2_NS1_11comp_targetILNS1_3genE2ELNS1_11target_archE906ELNS1_3gpuE6ELNS1_3repE0EEENS1_30default_config_static_selectorELNS0_4arch9wavefront6targetE1EEEvSK_,comdat
	.globl	_ZN7rocprim17ROCPRIM_400000_NS6detail17trampoline_kernelINS0_14default_configENS1_36segmented_radix_sort_config_selectorIflEEZNS1_25segmented_radix_sort_implIS3_Lb1EPKfPfPKlPlN2at6native12_GLOBAL__N_18offset_tEEE10hipError_tPvRmT1_PNSt15iterator_traitsISK_E10value_typeET2_T3_PNSL_ISQ_E10value_typeET4_jRbjT5_SW_jjP12ihipStream_tbEUlT_E2_NS1_11comp_targetILNS1_3genE2ELNS1_11target_archE906ELNS1_3gpuE6ELNS1_3repE0EEENS1_30default_config_static_selectorELNS0_4arch9wavefront6targetE1EEEvSK_ ; -- Begin function _ZN7rocprim17ROCPRIM_400000_NS6detail17trampoline_kernelINS0_14default_configENS1_36segmented_radix_sort_config_selectorIflEEZNS1_25segmented_radix_sort_implIS3_Lb1EPKfPfPKlPlN2at6native12_GLOBAL__N_18offset_tEEE10hipError_tPvRmT1_PNSt15iterator_traitsISK_E10value_typeET2_T3_PNSL_ISQ_E10value_typeET4_jRbjT5_SW_jjP12ihipStream_tbEUlT_E2_NS1_11comp_targetILNS1_3genE2ELNS1_11target_archE906ELNS1_3gpuE6ELNS1_3repE0EEENS1_30default_config_static_selectorELNS0_4arch9wavefront6targetE1EEEvSK_
	.p2align	8
	.type	_ZN7rocprim17ROCPRIM_400000_NS6detail17trampoline_kernelINS0_14default_configENS1_36segmented_radix_sort_config_selectorIflEEZNS1_25segmented_radix_sort_implIS3_Lb1EPKfPfPKlPlN2at6native12_GLOBAL__N_18offset_tEEE10hipError_tPvRmT1_PNSt15iterator_traitsISK_E10value_typeET2_T3_PNSL_ISQ_E10value_typeET4_jRbjT5_SW_jjP12ihipStream_tbEUlT_E2_NS1_11comp_targetILNS1_3genE2ELNS1_11target_archE906ELNS1_3gpuE6ELNS1_3repE0EEENS1_30default_config_static_selectorELNS0_4arch9wavefront6targetE1EEEvSK_,@function
_ZN7rocprim17ROCPRIM_400000_NS6detail17trampoline_kernelINS0_14default_configENS1_36segmented_radix_sort_config_selectorIflEEZNS1_25segmented_radix_sort_implIS3_Lb1EPKfPfPKlPlN2at6native12_GLOBAL__N_18offset_tEEE10hipError_tPvRmT1_PNSt15iterator_traitsISK_E10value_typeET2_T3_PNSL_ISQ_E10value_typeET4_jRbjT5_SW_jjP12ihipStream_tbEUlT_E2_NS1_11comp_targetILNS1_3genE2ELNS1_11target_archE906ELNS1_3gpuE6ELNS1_3repE0EEENS1_30default_config_static_selectorELNS0_4arch9wavefront6targetE1EEEvSK_: ; @_ZN7rocprim17ROCPRIM_400000_NS6detail17trampoline_kernelINS0_14default_configENS1_36segmented_radix_sort_config_selectorIflEEZNS1_25segmented_radix_sort_implIS3_Lb1EPKfPfPKlPlN2at6native12_GLOBAL__N_18offset_tEEE10hipError_tPvRmT1_PNSt15iterator_traitsISK_E10value_typeET2_T3_PNSL_ISQ_E10value_typeET4_jRbjT5_SW_jjP12ihipStream_tbEUlT_E2_NS1_11comp_targetILNS1_3genE2ELNS1_11target_archE906ELNS1_3gpuE6ELNS1_3repE0EEENS1_30default_config_static_selectorELNS0_4arch9wavefront6targetE1EEEvSK_
; %bb.0:
	s_add_u32 s0, s0, s8
	s_load_dwordx4 s[8:11], s[4:5], 0x34
	s_addc_u32 s1, s1, 0
	s_mov_b32 s32, 0
	s_waitcnt lgkmcnt(0)
	s_add_i32 s51, s9, s6
	s_add_i32 s80, s11, s6
	s_mul_i32 s51, s51, s8
	s_mul_i32 s80, s80, s10
	s_cmp_le_u32 s80, s51
	s_cbranch_scc1 .LBB1359_675
; %bb.1:
	s_mov_b32 s50, s6
	s_load_dword s6, s[4:5], 0x30
	s_load_dwordx4 s[72:75], s[4:5], 0x20
	s_load_dwordx4 s[76:79], s[4:5], 0x44
	s_load_dwordx8 s[64:71], s[4:5], 0x0
	s_mov_b32 s33, s7
	s_waitcnt lgkmcnt(0)
	s_bitcmp1_b32 s6, 0
	s_cselect_b64 s[54:55], -1, 0
	s_sub_i32 s79, s80, s51
	s_cmpk_lt_u32 s79, 0x801
	s_mov_b64 s[6:7], -1
	s_cbranch_scc0 .LBB1359_12
; %bb.2:
	s_cmp_lt_u32 s79, 33
	s_cbranch_scc0 .LBB1359_6
; %bb.3:
	s_load_dword s6, s[4:5], 0x5c
	s_waitcnt lgkmcnt(0)
	s_lshr_b32 s7, s6, 16
	s_and_b32 s6, s6, 0xffff
	v_mad_u32_u24 v3, v2, s7, v1
	v_mad_u64_u32 v[3:4], s[6:7], v3, s6, v[0:1]
	v_cmp_gt_u32_e32 vcc, 8, v3
	s_and_saveexec_b64 s[34:35], vcc
	s_cbranch_execz .LBB1359_5
; %bb.4:
	s_bitcmp1_b32 s76, 0
	s_cselect_b64 s[8:9], -1, 0
	s_xor_b64 s[8:9], s[54:55], s[8:9]
	s_xor_b64 s[8:9], s[8:9], -1
	v_cndmask_b32_e64 v12, 0, 1, s[8:9]
	s_add_u32 s8, s4, 0x50
	s_mov_b64 s[6:7], src_shared_base
	s_addc_u32 s9, s5, 0
	v_lshlrev_b32_e32 v3, 20, v2
	v_lshlrev_b32_e32 v4, 10, v1
	s_getpc_b64 s[10:11]
	s_add_u32 s10, s10, _ZN7rocprim17ROCPRIM_400000_NS6detail26segmented_warp_sort_helperINS1_20WarpSortHelperConfigILj8ELj4ELj256EEEflLi256ELb1EvE4sortIPKfPfPKlPlEEvT_S9_T0_T1_SC_T2_bjjjjRNS5_12storage_typeE@rel32@lo+4
	s_addc_u32 s11, s11, _ZN7rocprim17ROCPRIM_400000_NS6detail26segmented_warp_sort_helperINS1_20WarpSortHelperConfigILj8ELj4ELj256EEEflLi256ELb1EvE4sortIPKfPfPKlPlEEvT_S9_T0_T1_SC_T2_bjjjjRNS5_12storage_typeE@rel32@hi+12
	v_or3_b32 v31, v0, v4, v3
	s_mov_b32 s12, s50
	s_mov_b32 s13, s33
	v_mov_b32_e32 v40, v0
	v_mov_b32_e32 v0, s64
	;; [unrolled: 1-line block ×19, first 2 shown]
	s_mov_b64 s[36:37], s[4:5]
	s_swappc_b64 s[30:31], s[10:11]
	v_mov_b32_e32 v1, v41
	v_mov_b32_e32 v2, v42
	;; [unrolled: 1-line block ×3, first 2 shown]
	s_mov_b64 s[4:5], s[36:37]
.LBB1359_5:
	s_or_b64 exec, exec, s[34:35]
	s_mov_b64 s[6:7], 0
.LBB1359_6:
	s_andn2_b64 vcc, exec, s[6:7]
	s_cbranch_vccnz .LBB1359_11
; %bb.7:
	s_and_b32 s6, s76, 1
	v_cndmask_b32_e64 v3, 0, 1, s[54:55]
	v_cmp_ne_u32_e32 vcc, s6, v3
	s_mov_b64 s[6:7], -1
	v_lshlrev_b32_e32 v41, 20, v2
	v_lshlrev_b32_e32 v42, 10, v1
	s_cbranch_vccnz .LBB1359_9
; %bb.8:
	s_add_u32 s8, s4, 0x50
	s_mov_b64 s[6:7], src_shared_base
	s_addc_u32 s9, s5, 0
	s_getpc_b64 s[10:11]
	s_add_u32 s10, s10, _ZN7rocprim17ROCPRIM_400000_NS6detail40segmented_radix_sort_single_block_helperIflLj256ELj8ELb1EE4sortIPKfPfPKlPlEEbT_T0_T1_T2_jjjjRNS3_12storage_typeE@rel32@lo+4
	s_addc_u32 s11, s11, _ZN7rocprim17ROCPRIM_400000_NS6detail40segmented_radix_sort_single_block_helperIflLj256ELj8ELb1EE4sortIPKfPfPKlPlEEbT_T0_T1_T2_jjjjRNS3_12storage_typeE@rel32@hi+12
	v_or3_b32 v31, v0, v42, v41
	s_mov_b32 s12, s50
	s_mov_b32 s13, s33
	v_mov_b32_e32 v40, v0
	v_mov_b32_e32 v0, s64
	;; [unrolled: 1-line block ×17, first 2 shown]
	s_mov_b64 s[34:35], s[4:5]
	s_swappc_b64 s[30:31], s[10:11]
	v_mov_b32_e32 v1, v43
	v_mov_b32_e32 v2, v44
	;; [unrolled: 1-line block ×3, first 2 shown]
	s_mov_b64 s[4:5], s[34:35]
	s_mov_b64 s[6:7], 0
.LBB1359_9:
	s_andn2_b64 vcc, exec, s[6:7]
	s_cbranch_vccnz .LBB1359_11
; %bb.10:
	s_add_u32 s8, s4, 0x50
	s_mov_b64 s[6:7], src_shared_base
	s_addc_u32 s9, s5, 0
	s_getpc_b64 s[10:11]
	s_add_u32 s10, s10, _ZN7rocprim17ROCPRIM_400000_NS6detail40segmented_radix_sort_single_block_helperIflLj256ELj8ELb1EE4sortIPKfPfPKlPlEEbT_T0_T1_T2_jjjjRNS3_12storage_typeE@rel32@lo+4
	s_addc_u32 s11, s11, _ZN7rocprim17ROCPRIM_400000_NS6detail40segmented_radix_sort_single_block_helperIflLj256ELj8ELb1EE4sortIPKfPfPKlPlEEbT_T0_T1_T2_jjjjRNS3_12storage_typeE@rel32@hi+12
	v_or3_b32 v31, v0, v42, v41
	s_mov_b32 s12, s50
	s_mov_b32 s13, s33
	v_mov_b32_e32 v40, v0
	v_mov_b32_e32 v0, s64
	;; [unrolled: 1-line block ×17, first 2 shown]
	s_mov_b64 s[34:35], s[4:5]
	s_swappc_b64 s[30:31], s[10:11]
	v_mov_b32_e32 v1, v41
	v_mov_b32_e32 v2, v42
	v_mov_b32_e32 v0, v40
	s_mov_b64 s[4:5], s[34:35]
.LBB1359_11:
	s_mov_b64 s[6:7], 0
.LBB1359_12:
	s_andn2_b64 vcc, exec, s[6:7]
	s_cbranch_vccnz .LBB1359_675
; %bb.13:
	s_cmp_ge_u32 s77, s78
	s_cbranch_scc1 .LBB1359_675
; %bb.14:
	v_and_b32_e32 v4, 3, v0
	s_movk_i32 s6, 0x100
	v_lshlrev_b32_e32 v42, 2, v4
	v_or_b32_e32 v4, 63, v0
	v_lshlrev_b32_e32 v32, 2, v0
	s_mov_b64 s[12:13], s[4:5]
	v_cmp_gt_u32_e64 s[4:5], s6, v0
	v_cmp_eq_u32_e64 s[6:7], v0, v4
	v_lshrrev_b32_e32 v4, 4, v0
	v_mad_u32_u24 v43, v0, 12, v32
	v_and_b32_e32 v44, 12, v4
	v_lshlrev_b32_e32 v4, 3, v0
	v_mov_b32_e32 v5, s69
	v_add_co_u32_e32 v36, vcc, s68, v32
	v_and_b32_e32 v48, 0x600, v4
	v_add_u32_e32 v49, v43, v32
	v_lshlrev_b32_e32 v4, 4, v0
	v_addc_co_u32_e32 v37, vcc, 0, v5, vcc
	v_sub_u32_e32 v50, v49, v4
	v_lshlrev_b32_e32 v4, 3, v48
	v_mov_b32_e32 v5, s75
	v_add_co_u32_e32 v51, vcc, s74, v4
	v_addc_co_u32_e32 v52, vcc, 0, v5, vcc
	v_lshlrev_b32_e32 v5, 2, v48
	v_mov_b32_e32 v6, s69
	v_add_co_u32_e32 v53, vcc, s68, v5
	v_addc_co_u32_e32 v54, vcc, 0, v6, vcc
	v_mov_b32_e32 v6, s67
	v_add_co_u32_e32 v55, vcc, s66, v32
	v_addc_co_u32_e32 v56, vcc, 0, v6, vcc
	;; [unrolled: 3-line block ×7, first 2 shown]
	v_mbcnt_lo_u32_b32 v4, -1, 0
	v_or_b32_e32 v38, 0x400, v0
	v_or_b32_e32 v39, 0x500, v0
	;; [unrolled: 1-line block ×4, first 2 shown]
	s_add_u32 s56, s12, 0x50
	s_movk_i32 s14, 0xff
	v_mbcnt_hi_u32_b32 v74, -1, v4
	v_mov_b32_e32 v3, 0
	v_or_b32_e32 v33, 0x100, v0
	v_or_b32_e32 v34, 0x200, v0
	;; [unrolled: 1-line block ×4, first 2 shown]
	v_cmp_gt_u32_e64 s[8:9], 4, v0
	v_or_b32_e32 v46, 0x4400, v32
	v_cmp_lt_u32_e64 s[10:11], 63, v0
	v_add_u32_e32 v47, 0x43fc, v44
	s_addc_u32 s57, s13, 0
	s_mov_b32 s59, 0
	v_cmp_eq_u32_e64 s[12:13], 0, v0
	v_cmp_ne_u32_e64 s[14:15], s14, v0
	s_brev_b32 s62, 1
	v_mov_b32_e32 v67, 1
	v_mov_b32_e32 v11, -1
	v_lshlrev_b32_e32 v68, 2, v0
	v_lshlrev_b32_e32 v69, 2, v38
	;; [unrolled: 1-line block ×5, first 2 shown]
	v_bfrev_b32_e32 v73, -2
	v_and_b32_e32 v75, 15, v74
	v_bfe_i32 v76, v74, 4, 1
	v_and_b32_e32 v77, 16, v74
	v_and_b32_e32 v78, 3, v74
	s_mov_b32 s63, s77
	s_branch .LBB1359_17
.LBB1359_15:                            ;   in Loop: Header=BB1359_17 Depth=1
	s_waitcnt lgkmcnt(0)
	s_barrier
.LBB1359_16:                            ;   in Loop: Header=BB1359_17 Depth=1
	s_add_i32 s63, s63, 8
	s_cmp_ge_u32 s63, s78
	s_cbranch_scc1 .LBB1359_675
.LBB1359_17:                            ; =>This Loop Header: Depth=1
                                        ;     Child Loop BB1359_21 Depth 2
                                        ;     Child Loop BB1359_69 Depth 2
	;; [unrolled: 1-line block ×8, first 2 shown]
	s_sub_i32 s16, s78, s63
	s_min_u32 s16, s16, 8
	s_lshl_b32 s16, -1, s16
	s_xor_b64 s[54:55], s[54:55], -1
	s_not_b32 s70, s16
	s_cmp_lg_u32 s63, s77
	s_mov_b64 s[16:17], -1
	ds_write2st64_b32 v32, v3, v3 offset1:4
	ds_write2st64_b32 v32, v3, v3 offset0:8 offset1:12
	s_waitcnt lgkmcnt(0)
	s_cbranch_scc0 .LBB1359_347
; %bb.18:                               ;   in Loop: Header=BB1359_17 Depth=1
	s_and_b64 vcc, exec, s[54:55]
	s_cbranch_vccz .LBB1359_182
; %bb.19:                               ;   in Loop: Header=BB1359_17 Depth=1
	v_mov_b32_e32 v10, v3
	v_mov_b32_e32 v4, v3
	;; [unrolled: 1-line block ×8, first 2 shown]
	s_mov_b32 s20, s79
	s_mov_b32 s58, s51
	v_mov_b32_e32 v18, v9
	v_mov_b32_e32 v17, v8
	;; [unrolled: 1-line block ×7, first 2 shown]
	s_barrier
	s_branch .LBB1359_21
.LBB1359_20:                            ;   in Loop: Header=BB1359_21 Depth=2
	s_or_b64 exec, exec, s[16:17]
	s_addk_i32 s20, 0xf800
	s_cmp_ge_u32 s21, s80
	s_mov_b32 s58, s21
	s_cbranch_scc1 .LBB1359_57
.LBB1359_21:                            ;   Parent Loop BB1359_17 Depth=1
                                        ; =>  This Inner Loop Header: Depth=2
	s_add_i32 s21, s58, 0x800
	s_cmp_gt_u32 s21, s80
	s_mov_b64 s[16:17], -1
                                        ; implicit-def: $vgpr20_vgpr21_vgpr22_vgpr23_vgpr24_vgpr25_vgpr26_vgpr27
	s_cbranch_scc1 .LBB1359_23
; %bb.22:                               ;   in Loop: Header=BB1359_21 Depth=2
	s_lshl_b64 s[16:17], s[58:59], 2
	v_mov_b32_e32 v5, s17
	v_add_co_u32_e32 v4, vcc, s16, v36
	v_addc_co_u32_e32 v5, vcc, v37, v5, vcc
	v_add_co_u32_e32 v6, vcc, 0x1000, v4
	v_addc_co_u32_e32 v7, vcc, 0, v5, vcc
	global_load_dword v20, v[4:5], off
	global_load_dword v21, v[4:5], off offset:1024
	global_load_dword v22, v[4:5], off offset:2048
	;; [unrolled: 1-line block ×3, first 2 shown]
	global_load_dword v24, v[6:7], off
	global_load_dword v25, v[6:7], off offset:1024
	global_load_dword v26, v[6:7], off offset:2048
	;; [unrolled: 1-line block ×3, first 2 shown]
	s_mov_b64 s[16:17], 0
.LBB1359_23:                            ;   in Loop: Header=BB1359_21 Depth=2
	s_andn2_b64 vcc, exec, s[16:17]
	s_movk_i32 s18, 0x800
	s_cbranch_vccnz .LBB1359_34
; %bb.24:                               ;   in Loop: Header=BB1359_21 Depth=2
	s_lshl_b64 s[16:17], s[58:59], 2
	s_add_u32 s16, s68, s16
	s_addc_u32 s17, s69, s17
	v_cmp_gt_u32_e32 vcc, s20, v0
	s_and_saveexec_b64 s[18:19], vcc
	s_cbranch_execnz .LBB1359_50
; %bb.25:                               ;   in Loop: Header=BB1359_21 Depth=2
	s_or_b64 exec, exec, s[18:19]
	v_cmp_gt_u32_e32 vcc, s20, v33
	s_and_saveexec_b64 s[18:19], vcc
	s_cbranch_execnz .LBB1359_51
.LBB1359_26:                            ;   in Loop: Header=BB1359_21 Depth=2
	s_or_b64 exec, exec, s[18:19]
	v_cmp_gt_u32_e32 vcc, s20, v34
	s_and_saveexec_b64 s[18:19], vcc
	s_cbranch_execnz .LBB1359_52
.LBB1359_27:                            ;   in Loop: Header=BB1359_21 Depth=2
	s_or_b64 exec, exec, s[18:19]
	v_cmp_gt_u32_e32 vcc, s20, v35
	s_and_saveexec_b64 s[18:19], vcc
	s_cbranch_execnz .LBB1359_53
.LBB1359_28:                            ;   in Loop: Header=BB1359_21 Depth=2
	s_or_b64 exec, exec, s[18:19]
	v_cmp_gt_u32_e32 vcc, s20, v38
	s_and_saveexec_b64 s[18:19], vcc
	s_cbranch_execnz .LBB1359_54
.LBB1359_29:                            ;   in Loop: Header=BB1359_21 Depth=2
	s_or_b64 exec, exec, s[18:19]
	v_cmp_gt_u32_e32 vcc, s20, v39
	s_and_saveexec_b64 s[18:19], vcc
	s_cbranch_execnz .LBB1359_55
.LBB1359_30:                            ;   in Loop: Header=BB1359_21 Depth=2
	s_or_b64 exec, exec, s[18:19]
	v_cmp_gt_u32_e32 vcc, s20, v40
	s_and_saveexec_b64 s[18:19], vcc
	s_cbranch_execnz .LBB1359_56
.LBB1359_31:                            ;   in Loop: Header=BB1359_21 Depth=2
	s_or_b64 exec, exec, s[18:19]
	v_cmp_gt_u32_e32 vcc, s20, v41
	s_and_saveexec_b64 s[18:19], vcc
	s_cbranch_execz .LBB1359_33
.LBB1359_32:                            ;   in Loop: Header=BB1359_21 Depth=2
	global_load_dword v19, v72, s[16:17]
.LBB1359_33:                            ;   in Loop: Header=BB1359_21 Depth=2
	s_or_b64 exec, exec, s[18:19]
	s_waitcnt vmcnt(0)
	v_mov_b32_e32 v27, v19
	s_mov_b32 s18, s20
	v_mov_b32_e32 v26, v18
	v_mov_b32_e32 v25, v17
	;; [unrolled: 1-line block ×7, first 2 shown]
.LBB1359_34:                            ;   in Loop: Header=BB1359_21 Depth=2
	s_waitcnt vmcnt(0)
	v_mov_b32_e32 v12, v20
	v_mov_b32_e32 v13, v21
	;; [unrolled: 1-line block ×8, first 2 shown]
	v_cmp_gt_u32_e32 vcc, s18, v0
	s_and_saveexec_b64 s[16:17], vcc
	s_cbranch_execnz .LBB1359_42
; %bb.35:                               ;   in Loop: Header=BB1359_21 Depth=2
	s_or_b64 exec, exec, s[16:17]
	v_cmp_gt_u32_e32 vcc, s18, v33
	s_and_saveexec_b64 s[16:17], vcc
	s_cbranch_execnz .LBB1359_43
.LBB1359_36:                            ;   in Loop: Header=BB1359_21 Depth=2
	s_or_b64 exec, exec, s[16:17]
	v_cmp_gt_u32_e32 vcc, s18, v34
	s_and_saveexec_b64 s[16:17], vcc
	s_cbranch_execnz .LBB1359_44
.LBB1359_37:                            ;   in Loop: Header=BB1359_21 Depth=2
	s_or_b64 exec, exec, s[16:17]
	v_cmp_gt_u32_e32 vcc, s18, v35
	s_and_saveexec_b64 s[16:17], vcc
	s_cbranch_execnz .LBB1359_45
.LBB1359_38:                            ;   in Loop: Header=BB1359_21 Depth=2
	s_or_b64 exec, exec, s[16:17]
	v_cmp_gt_u32_e32 vcc, s18, v38
	s_and_saveexec_b64 s[16:17], vcc
	s_cbranch_execnz .LBB1359_46
.LBB1359_39:                            ;   in Loop: Header=BB1359_21 Depth=2
	s_or_b64 exec, exec, s[16:17]
	v_cmp_gt_u32_e32 vcc, s18, v39
	s_and_saveexec_b64 s[16:17], vcc
	s_cbranch_execnz .LBB1359_47
.LBB1359_40:                            ;   in Loop: Header=BB1359_21 Depth=2
	s_or_b64 exec, exec, s[16:17]
	v_cmp_gt_u32_e32 vcc, s18, v40
	s_and_saveexec_b64 s[16:17], vcc
	s_cbranch_execnz .LBB1359_48
.LBB1359_41:                            ;   in Loop: Header=BB1359_21 Depth=2
	s_or_b64 exec, exec, s[16:17]
	v_cmp_gt_u32_e32 vcc, s18, v41
	s_and_saveexec_b64 s[16:17], vcc
	s_cbranch_execz .LBB1359_20
	s_branch .LBB1359_49
.LBB1359_42:                            ;   in Loop: Header=BB1359_21 Depth=2
	v_cmp_gt_i32_e32 vcc, 0, v12
	v_cndmask_b32_e64 v4, v73, 0, vcc
	v_xor_b32_e32 v4, v4, v12
	v_cmp_ne_u32_e32 vcc, s62, v4
	v_cndmask_b32_e32 v4, v73, v4, vcc
	v_lshrrev_b32_e32 v4, s63, v4
	v_and_b32_e32 v4, s70, v4
	v_lshl_or_b32 v4, v4, 4, v42
	ds_add_u32 v4, v67
	s_or_b64 exec, exec, s[16:17]
	v_cmp_gt_u32_e32 vcc, s18, v33
	s_and_saveexec_b64 s[16:17], vcc
	s_cbranch_execz .LBB1359_36
.LBB1359_43:                            ;   in Loop: Header=BB1359_21 Depth=2
	v_cmp_gt_i32_e32 vcc, 0, v13
	v_cndmask_b32_e64 v4, v73, 0, vcc
	v_xor_b32_e32 v4, v4, v13
	v_cmp_ne_u32_e32 vcc, s62, v4
	v_cndmask_b32_e32 v4, v73, v4, vcc
	v_lshrrev_b32_e32 v4, s63, v4
	v_and_b32_e32 v4, s70, v4
	v_lshl_or_b32 v4, v4, 4, v42
	ds_add_u32 v4, v67
	s_or_b64 exec, exec, s[16:17]
	v_cmp_gt_u32_e32 vcc, s18, v34
	s_and_saveexec_b64 s[16:17], vcc
	s_cbranch_execz .LBB1359_37
.LBB1359_44:                            ;   in Loop: Header=BB1359_21 Depth=2
	v_cmp_gt_i32_e32 vcc, 0, v14
	v_cndmask_b32_e64 v4, v73, 0, vcc
	v_xor_b32_e32 v4, v4, v14
	v_cmp_ne_u32_e32 vcc, s62, v4
	v_cndmask_b32_e32 v4, v73, v4, vcc
	v_lshrrev_b32_e32 v4, s63, v4
	v_and_b32_e32 v4, s70, v4
	v_lshl_or_b32 v4, v4, 4, v42
	ds_add_u32 v4, v67
	s_or_b64 exec, exec, s[16:17]
	v_cmp_gt_u32_e32 vcc, s18, v35
	s_and_saveexec_b64 s[16:17], vcc
	s_cbranch_execz .LBB1359_38
.LBB1359_45:                            ;   in Loop: Header=BB1359_21 Depth=2
	v_cmp_gt_i32_e32 vcc, 0, v15
	v_cndmask_b32_e64 v4, v73, 0, vcc
	v_xor_b32_e32 v4, v4, v15
	v_cmp_ne_u32_e32 vcc, s62, v4
	v_cndmask_b32_e32 v4, v73, v4, vcc
	v_lshrrev_b32_e32 v4, s63, v4
	v_and_b32_e32 v4, s70, v4
	v_lshl_or_b32 v4, v4, 4, v42
	ds_add_u32 v4, v67
	s_or_b64 exec, exec, s[16:17]
	v_cmp_gt_u32_e32 vcc, s18, v38
	s_and_saveexec_b64 s[16:17], vcc
	s_cbranch_execz .LBB1359_39
.LBB1359_46:                            ;   in Loop: Header=BB1359_21 Depth=2
	v_cmp_gt_i32_e32 vcc, 0, v16
	v_cndmask_b32_e64 v4, v73, 0, vcc
	v_xor_b32_e32 v4, v4, v16
	v_cmp_ne_u32_e32 vcc, s62, v4
	v_cndmask_b32_e32 v4, v73, v4, vcc
	v_lshrrev_b32_e32 v4, s63, v4
	v_and_b32_e32 v4, s70, v4
	v_lshl_or_b32 v4, v4, 4, v42
	ds_add_u32 v4, v67
	s_or_b64 exec, exec, s[16:17]
	v_cmp_gt_u32_e32 vcc, s18, v39
	s_and_saveexec_b64 s[16:17], vcc
	s_cbranch_execz .LBB1359_40
.LBB1359_47:                            ;   in Loop: Header=BB1359_21 Depth=2
	v_cmp_gt_i32_e32 vcc, 0, v17
	v_cndmask_b32_e64 v4, v73, 0, vcc
	v_xor_b32_e32 v4, v4, v17
	v_cmp_ne_u32_e32 vcc, s62, v4
	v_cndmask_b32_e32 v4, v73, v4, vcc
	v_lshrrev_b32_e32 v4, s63, v4
	v_and_b32_e32 v4, s70, v4
	v_lshl_or_b32 v4, v4, 4, v42
	ds_add_u32 v4, v67
	s_or_b64 exec, exec, s[16:17]
	v_cmp_gt_u32_e32 vcc, s18, v40
	s_and_saveexec_b64 s[16:17], vcc
	s_cbranch_execz .LBB1359_41
.LBB1359_48:                            ;   in Loop: Header=BB1359_21 Depth=2
	v_cmp_gt_i32_e32 vcc, 0, v18
	v_cndmask_b32_e64 v4, v73, 0, vcc
	v_xor_b32_e32 v4, v4, v18
	v_cmp_ne_u32_e32 vcc, s62, v4
	v_cndmask_b32_e32 v4, v73, v4, vcc
	v_lshrrev_b32_e32 v4, s63, v4
	v_and_b32_e32 v4, s70, v4
	v_lshl_or_b32 v4, v4, 4, v42
	ds_add_u32 v4, v67
	s_or_b64 exec, exec, s[16:17]
	v_cmp_gt_u32_e32 vcc, s18, v41
	s_and_saveexec_b64 s[16:17], vcc
	s_cbranch_execz .LBB1359_20
.LBB1359_49:                            ;   in Loop: Header=BB1359_21 Depth=2
	v_cmp_gt_i32_e32 vcc, 0, v19
	v_cndmask_b32_e64 v4, v73, 0, vcc
	v_xor_b32_e32 v4, v4, v19
	v_cmp_ne_u32_e32 vcc, s62, v4
	v_cndmask_b32_e32 v4, v73, v4, vcc
	v_lshrrev_b32_e32 v4, s63, v4
	v_and_b32_e32 v4, s70, v4
	v_lshl_or_b32 v4, v4, 4, v42
	ds_add_u32 v4, v67
	s_branch .LBB1359_20
.LBB1359_50:                            ;   in Loop: Header=BB1359_21 Depth=2
	global_load_dword v12, v68, s[16:17]
	s_or_b64 exec, exec, s[18:19]
	v_cmp_gt_u32_e32 vcc, s20, v33
	s_and_saveexec_b64 s[18:19], vcc
	s_cbranch_execz .LBB1359_26
.LBB1359_51:                            ;   in Loop: Header=BB1359_21 Depth=2
	global_load_dword v13, v68, s[16:17] offset:1024
	s_or_b64 exec, exec, s[18:19]
	v_cmp_gt_u32_e32 vcc, s20, v34
	s_and_saveexec_b64 s[18:19], vcc
	s_cbranch_execz .LBB1359_27
.LBB1359_52:                            ;   in Loop: Header=BB1359_21 Depth=2
	global_load_dword v14, v68, s[16:17] offset:2048
	s_or_b64 exec, exec, s[18:19]
	v_cmp_gt_u32_e32 vcc, s20, v35
	s_and_saveexec_b64 s[18:19], vcc
	s_cbranch_execz .LBB1359_28
.LBB1359_53:                            ;   in Loop: Header=BB1359_21 Depth=2
	global_load_dword v15, v68, s[16:17] offset:3072
	s_or_b64 exec, exec, s[18:19]
	v_cmp_gt_u32_e32 vcc, s20, v38
	s_and_saveexec_b64 s[18:19], vcc
	s_cbranch_execz .LBB1359_29
.LBB1359_54:                            ;   in Loop: Header=BB1359_21 Depth=2
	global_load_dword v16, v69, s[16:17]
	s_or_b64 exec, exec, s[18:19]
	v_cmp_gt_u32_e32 vcc, s20, v39
	s_and_saveexec_b64 s[18:19], vcc
	s_cbranch_execz .LBB1359_30
.LBB1359_55:                            ;   in Loop: Header=BB1359_21 Depth=2
	global_load_dword v17, v70, s[16:17]
	s_or_b64 exec, exec, s[18:19]
	v_cmp_gt_u32_e32 vcc, s20, v40
	s_and_saveexec_b64 s[18:19], vcc
	s_cbranch_execz .LBB1359_31
.LBB1359_56:                            ;   in Loop: Header=BB1359_21 Depth=2
	global_load_dword v18, v71, s[16:17]
	s_or_b64 exec, exec, s[18:19]
	v_cmp_gt_u32_e32 vcc, s20, v41
	s_and_saveexec_b64 s[18:19], vcc
	s_cbranch_execnz .LBB1359_32
	s_branch .LBB1359_33
.LBB1359_57:                            ;   in Loop: Header=BB1359_17 Depth=1
	v_mov_b32_e32 v4, 0
	s_waitcnt lgkmcnt(0)
	s_barrier
	s_and_saveexec_b64 s[16:17], s[4:5]
	s_cbranch_execz .LBB1359_59
; %bb.58:                               ;   in Loop: Header=BB1359_17 Depth=1
	ds_read2_b64 v[4:7], v43 offset1:1
	s_waitcnt lgkmcnt(0)
	v_add_u32_e32 v4, v5, v4
	v_add3_u32 v4, v4, v6, v7
.LBB1359_59:                            ;   in Loop: Header=BB1359_17 Depth=1
	s_or_b64 exec, exec, s[16:17]
	s_nop 0
	v_mov_b32_dpp v5, v4 row_shr:1 row_mask:0xf bank_mask:0xf
	v_cmp_eq_u32_e64 s[16:17], 0, v75
	v_cndmask_b32_e64 v5, v5, 0, s[16:17]
	v_add_u32_e32 v4, v5, v4
	v_cmp_lt_u32_e64 s[18:19], 1, v75
	v_cmp_lt_u32_e64 s[20:21], 3, v75
	v_mov_b32_dpp v5, v4 row_shr:2 row_mask:0xf bank_mask:0xf
	v_cndmask_b32_e64 v5, 0, v5, s[18:19]
	v_add_u32_e32 v4, v4, v5
	v_cmp_lt_u32_e64 s[22:23], 7, v75
	v_cmp_lt_u32_e64 s[26:27], 31, v74
	v_mov_b32_dpp v5, v4 row_shr:4 row_mask:0xf bank_mask:0xf
	v_cndmask_b32_e64 v5, 0, v5, s[20:21]
	v_add_u32_e32 v4, v4, v5
	v_cmp_eq_u32_e64 s[24:25], 0, v77
	s_nop 0
	v_mov_b32_dpp v5, v4 row_shr:8 row_mask:0xf bank_mask:0xf
	v_cndmask_b32_e64 v5, 0, v5, s[22:23]
	v_add_u32_e32 v4, v4, v5
	s_nop 1
	v_mov_b32_dpp v5, v4 row_bcast:15 row_mask:0xf bank_mask:0xf
	v_and_b32_e32 v5, v76, v5
	v_add_u32_e32 v4, v4, v5
	s_nop 1
	v_mov_b32_dpp v5, v4 row_bcast:31 row_mask:0xf bank_mask:0xf
	v_cndmask_b32_e64 v5, 0, v5, s[26:27]
	v_add_u32_e32 v4, v4, v5
	s_and_saveexec_b64 s[28:29], s[6:7]
; %bb.60:                               ;   in Loop: Header=BB1359_17 Depth=1
	ds_write_b32 v45, v4
; %bb.61:                               ;   in Loop: Header=BB1359_17 Depth=1
	s_or_b64 exec, exec, s[28:29]
	s_waitcnt lgkmcnt(0)
	s_barrier
	s_and_saveexec_b64 s[28:29], s[8:9]
	s_cbranch_execz .LBB1359_63
; %bb.62:                               ;   in Loop: Header=BB1359_17 Depth=1
	ds_read_b32 v5, v46
	v_cmp_ne_u32_e32 vcc, 0, v78
	s_waitcnt lgkmcnt(0)
	v_mov_b32_dpp v6, v5 row_shr:1 row_mask:0xf bank_mask:0xf
	v_cndmask_b32_e32 v6, 0, v6, vcc
	v_add_u32_e32 v5, v6, v5
	v_cmp_lt_u32_e32 vcc, 1, v78
	s_nop 0
	v_mov_b32_dpp v6, v5 row_shr:2 row_mask:0xf bank_mask:0xf
	v_cndmask_b32_e32 v6, 0, v6, vcc
	v_add_u32_e32 v5, v5, v6
	ds_write_b32 v46, v5
.LBB1359_63:                            ;   in Loop: Header=BB1359_17 Depth=1
	s_or_b64 exec, exec, s[28:29]
	v_mov_b32_e32 v5, 0
	s_waitcnt lgkmcnt(0)
	s_barrier
	s_and_saveexec_b64 s[28:29], s[10:11]
; %bb.64:                               ;   in Loop: Header=BB1359_17 Depth=1
	ds_read_b32 v5, v47
; %bb.65:                               ;   in Loop: Header=BB1359_17 Depth=1
	s_or_b64 exec, exec, s[28:29]
	v_subrev_co_u32_e64 v6, s[28:29], 1, v74
	v_and_b32_e32 v7, 64, v74
	v_cmp_lt_i32_e32 vcc, v6, v7
	v_cndmask_b32_e32 v6, v6, v74, vcc
	s_waitcnt lgkmcnt(0)
	v_add_u32_e32 v4, v5, v4
	v_lshlrev_b32_e32 v79, 2, v6
	ds_bpermute_b32 v4, v79, v4
	s_waitcnt lgkmcnt(0)
	s_barrier
	s_and_saveexec_b64 s[30:31], s[4:5]
; %bb.66:                               ;   in Loop: Header=BB1359_17 Depth=1
	v_cndmask_b32_e64 v4, v4, v5, s[28:29]
	v_add_u32_e32 v4, s51, v4
	ds_write_b32 v32, v4
; %bb.67:                               ;   in Loop: Header=BB1359_17 Depth=1
	s_or_b64 exec, exec, s[30:31]
	s_load_dword s30, s[56:57], 0x4
	s_load_dword s36, s[56:57], 0xc
	v_and_b32_e32 v12, 63, v74
	v_lshlrev_b32_e32 v13, 3, v12
	v_or_b32_e32 v84, v12, v48
	s_waitcnt lgkmcnt(0)
	s_cmp_lt_u32 s33, s30
	s_cselect_b32 s30, 14, 20
	s_add_u32 s30, s56, s30
	s_addc_u32 s31, s57, 0
	global_load_ushort v4, v3, s[30:31]
	s_and_b32 s36, s36, 0xffff
	v_lshlrev_b32_e32 v14, 2, v12
	v_add_co_u32_e32 v87, vcc, v51, v13
	v_addc_co_u32_e32 v89, vcc, 0, v52, vcc
	v_add_co_u32_e32 v98, vcc, v53, v14
	v_cmp_eq_u32_e64 s[30:31], 0, v78
	v_cmp_lt_u32_e64 s[34:35], 1, v78
	s_mov_b32 s71, s79
	v_or_b32_e32 v91, 64, v84
	v_or_b32_e32 v92, 0x80, v84
	;; [unrolled: 1-line block ×7, first 2 shown]
	v_addc_co_u32_e32 v99, vcc, 0, v54, vcc
	s_mov_b32 s58, s51
                                        ; implicit-def: $vgpr5_vgpr6
                                        ; implicit-def: $vgpr7_vgpr8
                                        ; implicit-def: $vgpr9_vgpr10
                                        ; implicit-def: $vgpr20_vgpr21
                                        ; implicit-def: $vgpr22_vgpr23
                                        ; implicit-def: $vgpr24_vgpr25
                                        ; implicit-def: $vgpr26_vgpr27
                                        ; implicit-def: $vgpr28_vgpr29
                                        ; implicit-def: $vgpr80
                                        ; implicit-def: $vgpr81
                                        ; implicit-def: $vgpr82
                                        ; implicit-def: $vgpr83
                                        ; implicit-def: $vgpr85
                                        ; implicit-def: $vgpr86
                                        ; implicit-def: $vgpr88
                                        ; implicit-def: $vgpr90
	s_waitcnt vmcnt(0)
	v_mad_u32_u24 v4, v2, v4, v1
	v_mad_u64_u32 v[12:13], s[36:37], v4, s36, v[0:1]
	v_lshrrev_b32_e32 v4, 4, v12
	v_and_b32_e32 v100, 0xffffffc, v4
	s_branch .LBB1359_69
.LBB1359_68:                            ;   in Loop: Header=BB1359_69 Depth=2
	s_or_b64 exec, exec, s[36:37]
	s_addk_i32 s71, 0xf800
	s_cmp_lt_u32 s76, s80
	s_mov_b32 s58, s76
	s_cbranch_scc0 .LBB1359_181
.LBB1359_69:                            ;   Parent Loop BB1359_17 Depth=1
                                        ; =>  This Inner Loop Header: Depth=2
	s_add_i32 s76, s58, 0x800
	s_cmp_gt_u32 s76, s80
	s_cbranch_scc1 .LBB1359_71
; %bb.70:                               ;   in Loop: Header=BB1359_69 Depth=2
	s_lshl_b64 s[36:37], s[58:59], 2
	v_mov_b32_e32 v4, s37
	v_add_co_u32_e32 v18, vcc, s36, v98
	v_addc_co_u32_e32 v19, vcc, v99, v4, vcc
	global_load_dword v12, v[18:19], off
	global_load_dword v13, v[18:19], off offset:256
	global_load_dword v14, v[18:19], off offset:512
	;; [unrolled: 1-line block ×5, first 2 shown]
	s_nop 0
	global_load_dword v18, v[18:19], off offset:1536
	s_mov_b64 s[36:37], -1
	s_movk_i32 s40, 0x800
	s_cbranch_execz .LBB1359_72
	s_branch .LBB1359_81
.LBB1359_71:                            ;   in Loop: Header=BB1359_69 Depth=2
	s_mov_b64 s[36:37], 0
                                        ; implicit-def: $vgpr12_vgpr13_vgpr14_vgpr15_vgpr16_vgpr17_vgpr18_vgpr19
	s_movk_i32 s40, 0x800
.LBB1359_72:                            ;   in Loop: Header=BB1359_69 Depth=2
	s_lshl_b64 s[36:37], s[58:59], 2
	v_mov_b32_e32 v4, s37
	v_add_co_u32_e32 v30, vcc, s36, v98
	s_waitcnt vmcnt(6)
	v_mov_b32_e32 v12, v11
	s_waitcnt vmcnt(5)
	v_mov_b32_e32 v13, v11
	;; [unrolled: 2-line block ×7, first 2 shown]
	v_addc_co_u32_e32 v31, vcc, v99, v4, vcc
	v_mov_b32_e32 v19, v18
	v_cmp_gt_u32_e32 vcc, s71, v84
	v_mov_b32_e32 v18, v17
	v_mov_b32_e32 v17, v16
	;; [unrolled: 1-line block ×7, first 2 shown]
	s_and_saveexec_b64 s[36:37], vcc
	s_cbranch_execnz .LBB1359_175
; %bb.73:                               ;   in Loop: Header=BB1359_69 Depth=2
	s_or_b64 exec, exec, s[36:37]
	v_cmp_gt_u32_e32 vcc, s71, v91
	s_and_saveexec_b64 s[36:37], vcc
	s_cbranch_execnz .LBB1359_176
.LBB1359_74:                            ;   in Loop: Header=BB1359_69 Depth=2
	s_or_b64 exec, exec, s[36:37]
	v_cmp_gt_u32_e32 vcc, s71, v92
	s_and_saveexec_b64 s[36:37], vcc
	s_cbranch_execnz .LBB1359_177
.LBB1359_75:                            ;   in Loop: Header=BB1359_69 Depth=2
	s_or_b64 exec, exec, s[36:37]
	v_cmp_gt_u32_e32 vcc, s71, v93
	s_and_saveexec_b64 s[36:37], vcc
	s_cbranch_execnz .LBB1359_178
.LBB1359_76:                            ;   in Loop: Header=BB1359_69 Depth=2
	s_or_b64 exec, exec, s[36:37]
	v_cmp_gt_u32_e32 vcc, s71, v94
	s_and_saveexec_b64 s[36:37], vcc
	s_cbranch_execnz .LBB1359_179
.LBB1359_77:                            ;   in Loop: Header=BB1359_69 Depth=2
	s_or_b64 exec, exec, s[36:37]
	v_cmp_gt_u32_e32 vcc, s71, v95
	s_and_saveexec_b64 s[36:37], vcc
	s_cbranch_execnz .LBB1359_180
.LBB1359_78:                            ;   in Loop: Header=BB1359_69 Depth=2
	s_or_b64 exec, exec, s[36:37]
	v_cmp_gt_u32_e32 vcc, s71, v96
	s_and_saveexec_b64 s[36:37], vcc
	s_cbranch_execz .LBB1359_80
.LBB1359_79:                            ;   in Loop: Header=BB1359_69 Depth=2
	global_load_dword v18, v[30:31], off offset:1536
.LBB1359_80:                            ;   in Loop: Header=BB1359_69 Depth=2
	s_or_b64 exec, exec, s[36:37]
	s_sub_i32 s40, s80, s58
	v_cmp_gt_u32_e64 s[36:37], s71, v97
.LBB1359_81:                            ;   in Loop: Header=BB1359_69 Depth=2
	v_mov_b32_e32 v101, s71
	s_and_saveexec_b64 s[38:39], s[36:37]
	s_cbranch_execz .LBB1359_83
; %bb.82:                               ;   in Loop: Header=BB1359_69 Depth=2
	s_lshl_b64 s[36:37], s[58:59], 2
	v_mov_b32_e32 v4, s37
	v_add_co_u32_e32 v30, vcc, s36, v98
	v_addc_co_u32_e32 v31, vcc, v99, v4, vcc
	global_load_dword v19, v[30:31], off offset:1792
	v_mov_b32_e32 v101, s40
.LBB1359_83:                            ;   in Loop: Header=BB1359_69 Depth=2
	s_or_b64 exec, exec, s[38:39]
	s_waitcnt vmcnt(0)
	v_cmp_gt_i32_e32 vcc, 0, v12
	v_cndmask_b32_e64 v4, v73, 0, vcc
	v_xor_b32_e32 v102, v4, v12
	v_cmp_ne_u32_e32 vcc, s62, v102
	v_cndmask_b32_e32 v4, v73, v102, vcc
	v_lshrrev_b32_e32 v4, s63, v4
	v_and_b32_e32 v12, s70, v4
	v_and_b32_e32 v4, 1, v12
	v_add_co_u32_e32 v30, vcc, -1, v4
	v_addc_co_u32_e64 v31, s[36:37], 0, -1, vcc
	v_cmp_ne_u32_e32 vcc, 0, v4
	v_xor_b32_e32 v4, vcc_hi, v31
	v_and_b32_e32 v31, exec_hi, v4
	v_lshlrev_b32_e32 v4, 30, v12
	v_xor_b32_e32 v30, vcc_lo, v30
	v_cmp_gt_i64_e32 vcc, 0, v[3:4]
	v_not_b32_e32 v4, v4
	v_ashrrev_i32_e32 v4, 31, v4
	v_and_b32_e32 v30, exec_lo, v30
	v_xor_b32_e32 v105, vcc_hi, v4
	v_xor_b32_e32 v4, vcc_lo, v4
	v_and_b32_e32 v30, v30, v4
	v_lshlrev_b32_e32 v4, 29, v12
	v_cmp_gt_i64_e32 vcc, 0, v[3:4]
	v_not_b32_e32 v4, v4
	v_ashrrev_i32_e32 v4, 31, v4
	v_and_b32_e32 v31, v31, v105
	v_xor_b32_e32 v105, vcc_hi, v4
	v_xor_b32_e32 v4, vcc_lo, v4
	v_and_b32_e32 v30, v30, v4
	v_lshlrev_b32_e32 v4, 28, v12
	v_cmp_gt_i64_e32 vcc, 0, v[3:4]
	v_not_b32_e32 v4, v4
	v_ashrrev_i32_e32 v4, 31, v4
	v_and_b32_e32 v31, v31, v105
	;; [unrolled: 8-line block ×5, first 2 shown]
	v_xor_b32_e32 v105, vcc_hi, v4
	v_xor_b32_e32 v4, vcc_lo, v4
	v_and_b32_e32 v30, v30, v4
	v_lshlrev_b32_e32 v4, 24, v12
	v_cmp_gt_i64_e32 vcc, 0, v[3:4]
	v_not_b32_e32 v4, v4
	v_ashrrev_i32_e32 v4, 31, v4
	v_mul_u32_u24_e32 v106, 20, v12
	v_xor_b32_e32 v12, vcc_hi, v4
	v_xor_b32_e32 v4, vcc_lo, v4
	v_and_b32_e32 v31, v31, v105
	v_and_b32_e32 v30, v30, v4
	;; [unrolled: 1-line block ×3, first 2 shown]
	v_mbcnt_lo_u32_b32 v4, v30, 0
	v_mbcnt_hi_u32_b32 v105, v31, v4
	v_cmp_ne_u64_e32 vcc, 0, v[30:31]
	v_cmp_eq_u32_e64 s[36:37], 0, v105
	v_add_u32_e32 v104, 0x410, v49
	v_add_u32_e32 v103, 0x418, v49
	s_and_b64 s[38:39], vcc, s[36:37]
	v_add_u32_e32 v106, v100, v106
	ds_write2_b32 v104, v3, v3 offset1:1
	ds_write2_b32 v103, v3, v3 offset1:1
	ds_write_b32 v49, v3 offset:1056
	s_waitcnt lgkmcnt(0)
	s_barrier
	; wave barrier
	s_and_saveexec_b64 s[36:37], s[38:39]
; %bb.84:                               ;   in Loop: Header=BB1359_69 Depth=2
	v_bcnt_u32_b32 v4, v30, 0
	v_bcnt_u32_b32 v4, v31, v4
	ds_write_b32 v106, v4 offset:1040
; %bb.85:                               ;   in Loop: Header=BB1359_69 Depth=2
	s_or_b64 exec, exec, s[36:37]
	v_cmp_gt_i32_e32 vcc, 0, v13
	v_cndmask_b32_e64 v4, v73, 0, vcc
	v_xor_b32_e32 v30, v4, v13
	v_cmp_ne_u32_e32 vcc, s62, v30
	v_cndmask_b32_e32 v4, v73, v30, vcc
	v_lshrrev_b32_e32 v4, s63, v4
	v_and_b32_e32 v12, s70, v4
	v_mad_u32_u24 v4, v12, 20, v100
	; wave barrier
	ds_read_b32 v31, v4 offset:1040
	v_and_b32_e32 v4, 1, v12
	v_add_co_u32_e32 v13, vcc, -1, v4
	v_addc_co_u32_e64 v107, s[36:37], 0, -1, vcc
	v_cmp_ne_u32_e32 vcc, 0, v4
	v_xor_b32_e32 v4, vcc_hi, v107
	v_and_b32_e32 v107, exec_hi, v4
	v_lshlrev_b32_e32 v4, 30, v12
	v_xor_b32_e32 v13, vcc_lo, v13
	v_cmp_gt_i64_e32 vcc, 0, v[3:4]
	v_not_b32_e32 v4, v4
	v_ashrrev_i32_e32 v4, 31, v4
	v_and_b32_e32 v13, exec_lo, v13
	v_xor_b32_e32 v109, vcc_hi, v4
	v_xor_b32_e32 v4, vcc_lo, v4
	v_and_b32_e32 v13, v13, v4
	v_lshlrev_b32_e32 v4, 29, v12
	v_cmp_gt_i64_e32 vcc, 0, v[3:4]
	v_not_b32_e32 v4, v4
	v_ashrrev_i32_e32 v4, 31, v4
	v_and_b32_e32 v107, v107, v109
	v_xor_b32_e32 v109, vcc_hi, v4
	v_xor_b32_e32 v4, vcc_lo, v4
	v_and_b32_e32 v13, v13, v4
	v_lshlrev_b32_e32 v4, 28, v12
	v_cmp_gt_i64_e32 vcc, 0, v[3:4]
	v_not_b32_e32 v4, v4
	v_ashrrev_i32_e32 v4, 31, v4
	v_and_b32_e32 v107, v107, v109
	;; [unrolled: 8-line block ×5, first 2 shown]
	v_xor_b32_e32 v109, vcc_hi, v4
	v_xor_b32_e32 v4, vcc_lo, v4
	v_and_b32_e32 v107, v107, v109
	v_and_b32_e32 v109, v13, v4
	v_lshlrev_b32_e32 v4, 24, v12
	v_cmp_gt_i64_e32 vcc, 0, v[3:4]
	v_not_b32_e32 v4, v4
	v_ashrrev_i32_e32 v4, 31, v4
	v_mul_u32_u24_e32 v108, 20, v12
	v_xor_b32_e32 v12, vcc_hi, v4
	v_xor_b32_e32 v4, vcc_lo, v4
	v_and_b32_e32 v13, v107, v12
	v_and_b32_e32 v12, v109, v4
	v_mbcnt_lo_u32_b32 v4, v12, 0
	v_mbcnt_hi_u32_b32 v107, v13, v4
	v_cmp_ne_u64_e32 vcc, 0, v[12:13]
	v_cmp_eq_u32_e64 s[36:37], 0, v107
	s_and_b64 s[38:39], vcc, s[36:37]
	v_add_u32_e32 v110, v100, v108
	; wave barrier
	s_and_saveexec_b64 s[36:37], s[38:39]
	s_cbranch_execz .LBB1359_87
; %bb.86:                               ;   in Loop: Header=BB1359_69 Depth=2
	v_bcnt_u32_b32 v4, v12, 0
	v_bcnt_u32_b32 v4, v13, v4
	s_waitcnt lgkmcnt(0)
	v_add_u32_e32 v4, v31, v4
	ds_write_b32 v110, v4 offset:1040
.LBB1359_87:                            ;   in Loop: Header=BB1359_69 Depth=2
	s_or_b64 exec, exec, s[36:37]
	v_cmp_gt_i32_e32 vcc, 0, v14
	v_cndmask_b32_e64 v4, v73, 0, vcc
	v_xor_b32_e32 v108, v4, v14
	v_cmp_ne_u32_e32 vcc, s62, v108
	v_cndmask_b32_e32 v4, v73, v108, vcc
	v_lshrrev_b32_e32 v4, s63, v4
	v_and_b32_e32 v12, s70, v4
	v_mad_u32_u24 v4, v12, 20, v100
	; wave barrier
	ds_read_b32 v109, v4 offset:1040
	v_and_b32_e32 v4, 1, v12
	v_add_co_u32_e32 v13, vcc, -1, v4
	v_addc_co_u32_e64 v111, s[36:37], 0, -1, vcc
	v_cmp_ne_u32_e32 vcc, 0, v4
	v_xor_b32_e32 v4, vcc_hi, v111
	v_and_b32_e32 v111, exec_hi, v4
	v_lshlrev_b32_e32 v4, 30, v12
	v_xor_b32_e32 v13, vcc_lo, v13
	v_cmp_gt_i64_e32 vcc, 0, v[3:4]
	v_not_b32_e32 v4, v4
	v_ashrrev_i32_e32 v4, 31, v4
	v_and_b32_e32 v13, exec_lo, v13
	v_xor_b32_e32 v112, vcc_hi, v4
	v_xor_b32_e32 v4, vcc_lo, v4
	v_and_b32_e32 v13, v13, v4
	v_lshlrev_b32_e32 v4, 29, v12
	v_cmp_gt_i64_e32 vcc, 0, v[3:4]
	v_not_b32_e32 v4, v4
	v_ashrrev_i32_e32 v4, 31, v4
	v_and_b32_e32 v111, v111, v112
	v_xor_b32_e32 v112, vcc_hi, v4
	v_xor_b32_e32 v4, vcc_lo, v4
	v_and_b32_e32 v13, v13, v4
	v_lshlrev_b32_e32 v4, 28, v12
	v_cmp_gt_i64_e32 vcc, 0, v[3:4]
	v_not_b32_e32 v4, v4
	v_ashrrev_i32_e32 v4, 31, v4
	v_and_b32_e32 v111, v111, v112
	;; [unrolled: 8-line block ×5, first 2 shown]
	v_xor_b32_e32 v112, vcc_hi, v4
	v_xor_b32_e32 v4, vcc_lo, v4
	v_and_b32_e32 v111, v111, v112
	v_and_b32_e32 v112, v13, v4
	v_lshlrev_b32_e32 v4, 24, v12
	v_cmp_gt_i64_e32 vcc, 0, v[3:4]
	v_not_b32_e32 v4, v4
	v_ashrrev_i32_e32 v4, 31, v4
	v_mul_u32_u24_e32 v14, 20, v12
	v_xor_b32_e32 v12, vcc_hi, v4
	v_xor_b32_e32 v4, vcc_lo, v4
	v_and_b32_e32 v13, v111, v12
	v_and_b32_e32 v12, v112, v4
	v_mbcnt_lo_u32_b32 v4, v12, 0
	v_mbcnt_hi_u32_b32 v111, v13, v4
	v_cmp_ne_u64_e32 vcc, 0, v[12:13]
	v_cmp_eq_u32_e64 s[36:37], 0, v111
	s_and_b64 s[38:39], vcc, s[36:37]
	v_add_u32_e32 v114, v100, v14
	; wave barrier
	s_and_saveexec_b64 s[36:37], s[38:39]
	s_cbranch_execz .LBB1359_89
; %bb.88:                               ;   in Loop: Header=BB1359_69 Depth=2
	v_bcnt_u32_b32 v4, v12, 0
	v_bcnt_u32_b32 v4, v13, v4
	s_waitcnt lgkmcnt(0)
	v_add_u32_e32 v4, v109, v4
	ds_write_b32 v114, v4 offset:1040
.LBB1359_89:                            ;   in Loop: Header=BB1359_69 Depth=2
	s_or_b64 exec, exec, s[36:37]
	v_cmp_gt_i32_e32 vcc, 0, v15
	v_cndmask_b32_e64 v4, v73, 0, vcc
	v_xor_b32_e32 v112, v4, v15
	v_cmp_ne_u32_e32 vcc, s62, v112
	v_cndmask_b32_e32 v4, v73, v112, vcc
	v_lshrrev_b32_e32 v4, s63, v4
	v_and_b32_e32 v12, s70, v4
	v_mad_u32_u24 v4, v12, 20, v100
	; wave barrier
	ds_read_b32 v113, v4 offset:1040
	v_and_b32_e32 v4, 1, v12
	v_add_co_u32_e32 v13, vcc, -1, v4
	v_addc_co_u32_e64 v15, s[36:37], 0, -1, vcc
	v_cmp_ne_u32_e32 vcc, 0, v4
	v_xor_b32_e32 v4, vcc_hi, v15
	v_and_b32_e32 v15, exec_hi, v4
	v_lshlrev_b32_e32 v4, 30, v12
	v_xor_b32_e32 v13, vcc_lo, v13
	v_cmp_gt_i64_e32 vcc, 0, v[3:4]
	v_not_b32_e32 v4, v4
	v_ashrrev_i32_e32 v4, 31, v4
	v_and_b32_e32 v13, exec_lo, v13
	v_xor_b32_e32 v115, vcc_hi, v4
	v_xor_b32_e32 v4, vcc_lo, v4
	v_and_b32_e32 v13, v13, v4
	v_lshlrev_b32_e32 v4, 29, v12
	v_cmp_gt_i64_e32 vcc, 0, v[3:4]
	v_not_b32_e32 v4, v4
	v_ashrrev_i32_e32 v4, 31, v4
	v_and_b32_e32 v15, v15, v115
	v_xor_b32_e32 v115, vcc_hi, v4
	v_xor_b32_e32 v4, vcc_lo, v4
	v_and_b32_e32 v13, v13, v4
	v_lshlrev_b32_e32 v4, 28, v12
	v_cmp_gt_i64_e32 vcc, 0, v[3:4]
	v_not_b32_e32 v4, v4
	v_ashrrev_i32_e32 v4, 31, v4
	v_and_b32_e32 v15, v15, v115
	;; [unrolled: 8-line block ×5, first 2 shown]
	v_xor_b32_e32 v115, vcc_hi, v4
	v_xor_b32_e32 v4, vcc_lo, v4
	v_and_b32_e32 v15, v15, v115
	v_and_b32_e32 v115, v13, v4
	v_lshlrev_b32_e32 v4, 24, v12
	v_cmp_gt_i64_e32 vcc, 0, v[3:4]
	v_not_b32_e32 v4, v4
	v_ashrrev_i32_e32 v4, 31, v4
	v_mul_u32_u24_e32 v14, 20, v12
	v_xor_b32_e32 v12, vcc_hi, v4
	v_xor_b32_e32 v4, vcc_lo, v4
	v_and_b32_e32 v13, v15, v12
	v_and_b32_e32 v12, v115, v4
	v_mbcnt_lo_u32_b32 v4, v12, 0
	v_mbcnt_hi_u32_b32 v115, v13, v4
	v_cmp_ne_u64_e32 vcc, 0, v[12:13]
	v_cmp_eq_u32_e64 s[36:37], 0, v115
	s_and_b64 s[38:39], vcc, s[36:37]
	v_add_u32_e32 v117, v100, v14
	; wave barrier
	s_and_saveexec_b64 s[36:37], s[38:39]
	s_cbranch_execz .LBB1359_91
; %bb.90:                               ;   in Loop: Header=BB1359_69 Depth=2
	v_bcnt_u32_b32 v4, v12, 0
	v_bcnt_u32_b32 v4, v13, v4
	s_waitcnt lgkmcnt(0)
	v_add_u32_e32 v4, v113, v4
	ds_write_b32 v117, v4 offset:1040
.LBB1359_91:                            ;   in Loop: Header=BB1359_69 Depth=2
	s_or_b64 exec, exec, s[36:37]
	v_cmp_gt_i32_e32 vcc, 0, v16
	v_cndmask_b32_e64 v4, v73, 0, vcc
	v_xor_b32_e32 v116, v4, v16
	v_cmp_ne_u32_e32 vcc, s62, v116
	v_cndmask_b32_e32 v4, v73, v116, vcc
	v_lshrrev_b32_e32 v4, s63, v4
	v_and_b32_e32 v12, s70, v4
	v_mad_u32_u24 v4, v12, 20, v100
	; wave barrier
	ds_read_b32 v16, v4 offset:1040
	v_and_b32_e32 v4, 1, v12
	v_add_co_u32_e32 v13, vcc, -1, v4
	v_addc_co_u32_e64 v15, s[36:37], 0, -1, vcc
	v_cmp_ne_u32_e32 vcc, 0, v4
	v_xor_b32_e32 v4, vcc_hi, v15
	v_and_b32_e32 v15, exec_hi, v4
	v_lshlrev_b32_e32 v4, 30, v12
	v_xor_b32_e32 v13, vcc_lo, v13
	v_cmp_gt_i64_e32 vcc, 0, v[3:4]
	v_not_b32_e32 v4, v4
	v_ashrrev_i32_e32 v4, 31, v4
	v_and_b32_e32 v13, exec_lo, v13
	v_xor_b32_e32 v118, vcc_hi, v4
	v_xor_b32_e32 v4, vcc_lo, v4
	v_and_b32_e32 v13, v13, v4
	v_lshlrev_b32_e32 v4, 29, v12
	v_cmp_gt_i64_e32 vcc, 0, v[3:4]
	v_not_b32_e32 v4, v4
	v_ashrrev_i32_e32 v4, 31, v4
	v_and_b32_e32 v15, v15, v118
	v_xor_b32_e32 v118, vcc_hi, v4
	v_xor_b32_e32 v4, vcc_lo, v4
	v_and_b32_e32 v13, v13, v4
	v_lshlrev_b32_e32 v4, 28, v12
	v_cmp_gt_i64_e32 vcc, 0, v[3:4]
	v_not_b32_e32 v4, v4
	v_ashrrev_i32_e32 v4, 31, v4
	v_and_b32_e32 v15, v15, v118
	;; [unrolled: 8-line block ×5, first 2 shown]
	v_xor_b32_e32 v118, vcc_hi, v4
	v_xor_b32_e32 v4, vcc_lo, v4
	v_and_b32_e32 v15, v15, v118
	v_and_b32_e32 v118, v13, v4
	v_lshlrev_b32_e32 v4, 24, v12
	v_cmp_gt_i64_e32 vcc, 0, v[3:4]
	v_not_b32_e32 v4, v4
	v_ashrrev_i32_e32 v4, 31, v4
	v_mul_u32_u24_e32 v14, 20, v12
	v_xor_b32_e32 v12, vcc_hi, v4
	v_xor_b32_e32 v4, vcc_lo, v4
	v_and_b32_e32 v13, v15, v12
	v_and_b32_e32 v12, v118, v4
	v_mbcnt_lo_u32_b32 v4, v12, 0
	v_mbcnt_hi_u32_b32 v118, v13, v4
	v_cmp_ne_u64_e32 vcc, 0, v[12:13]
	v_cmp_eq_u32_e64 s[36:37], 0, v118
	s_and_b64 s[38:39], vcc, s[36:37]
	v_add_u32_e32 v121, v100, v14
	; wave barrier
	s_and_saveexec_b64 s[36:37], s[38:39]
	s_cbranch_execz .LBB1359_93
; %bb.92:                               ;   in Loop: Header=BB1359_69 Depth=2
	v_bcnt_u32_b32 v4, v12, 0
	v_bcnt_u32_b32 v4, v13, v4
	s_waitcnt lgkmcnt(0)
	v_add_u32_e32 v4, v16, v4
	ds_write_b32 v121, v4 offset:1040
.LBB1359_93:                            ;   in Loop: Header=BB1359_69 Depth=2
	s_or_b64 exec, exec, s[36:37]
	v_cmp_gt_i32_e32 vcc, 0, v17
	v_cndmask_b32_e64 v4, v73, 0, vcc
	v_xor_b32_e32 v119, v4, v17
	v_cmp_ne_u32_e32 vcc, s62, v119
	v_cndmask_b32_e32 v4, v73, v119, vcc
	v_lshrrev_b32_e32 v4, s63, v4
	v_and_b32_e32 v12, s70, v4
	v_mad_u32_u24 v4, v12, 20, v100
	; wave barrier
	ds_read_b32 v120, v4 offset:1040
	v_and_b32_e32 v4, 1, v12
	v_add_co_u32_e32 v13, vcc, -1, v4
	v_addc_co_u32_e64 v15, s[36:37], 0, -1, vcc
	v_cmp_ne_u32_e32 vcc, 0, v4
	v_xor_b32_e32 v4, vcc_hi, v15
	v_and_b32_e32 v15, exec_hi, v4
	v_lshlrev_b32_e32 v4, 30, v12
	v_xor_b32_e32 v13, vcc_lo, v13
	v_cmp_gt_i64_e32 vcc, 0, v[3:4]
	v_not_b32_e32 v4, v4
	v_ashrrev_i32_e32 v4, 31, v4
	v_and_b32_e32 v13, exec_lo, v13
	v_xor_b32_e32 v17, vcc_hi, v4
	v_xor_b32_e32 v4, vcc_lo, v4
	v_and_b32_e32 v13, v13, v4
	v_lshlrev_b32_e32 v4, 29, v12
	v_cmp_gt_i64_e32 vcc, 0, v[3:4]
	v_not_b32_e32 v4, v4
	v_ashrrev_i32_e32 v4, 31, v4
	v_and_b32_e32 v15, v15, v17
	v_xor_b32_e32 v17, vcc_hi, v4
	v_xor_b32_e32 v4, vcc_lo, v4
	v_and_b32_e32 v13, v13, v4
	v_lshlrev_b32_e32 v4, 28, v12
	v_cmp_gt_i64_e32 vcc, 0, v[3:4]
	v_not_b32_e32 v4, v4
	v_ashrrev_i32_e32 v4, 31, v4
	v_and_b32_e32 v15, v15, v17
	;; [unrolled: 8-line block ×5, first 2 shown]
	v_xor_b32_e32 v17, vcc_hi, v4
	v_xor_b32_e32 v4, vcc_lo, v4
	v_and_b32_e32 v15, v15, v17
	v_and_b32_e32 v17, v13, v4
	v_lshlrev_b32_e32 v4, 24, v12
	v_cmp_gt_i64_e32 vcc, 0, v[3:4]
	v_not_b32_e32 v4, v4
	v_ashrrev_i32_e32 v4, 31, v4
	v_mul_u32_u24_e32 v14, 20, v12
	v_xor_b32_e32 v12, vcc_hi, v4
	v_xor_b32_e32 v4, vcc_lo, v4
	v_and_b32_e32 v13, v15, v12
	v_and_b32_e32 v12, v17, v4
	v_mbcnt_lo_u32_b32 v4, v12, 0
	v_mbcnt_hi_u32_b32 v122, v13, v4
	v_cmp_ne_u64_e32 vcc, 0, v[12:13]
	v_cmp_eq_u32_e64 s[36:37], 0, v122
	s_and_b64 s[38:39], vcc, s[36:37]
	v_add_u32_e32 v17, v100, v14
	; wave barrier
	s_and_saveexec_b64 s[36:37], s[38:39]
	s_cbranch_execz .LBB1359_95
; %bb.94:                               ;   in Loop: Header=BB1359_69 Depth=2
	v_bcnt_u32_b32 v4, v12, 0
	v_bcnt_u32_b32 v4, v13, v4
	s_waitcnt lgkmcnt(0)
	v_add_u32_e32 v4, v120, v4
	ds_write_b32 v17, v4 offset:1040
.LBB1359_95:                            ;   in Loop: Header=BB1359_69 Depth=2
	s_or_b64 exec, exec, s[36:37]
	v_cmp_gt_i32_e32 vcc, 0, v18
	v_cndmask_b32_e64 v4, v73, 0, vcc
	v_xor_b32_e32 v123, v4, v18
	v_cmp_ne_u32_e32 vcc, s62, v123
	v_cndmask_b32_e32 v4, v73, v123, vcc
	v_lshrrev_b32_e32 v4, s63, v4
	v_and_b32_e32 v12, s70, v4
	v_mad_u32_u24 v4, v12, 20, v100
	; wave barrier
	ds_read_b32 v124, v4 offset:1040
	v_and_b32_e32 v4, 1, v12
	v_add_co_u32_e32 v13, vcc, -1, v4
	v_addc_co_u32_e64 v15, s[36:37], 0, -1, vcc
	v_cmp_ne_u32_e32 vcc, 0, v4
	v_xor_b32_e32 v4, vcc_hi, v15
	v_and_b32_e32 v15, exec_hi, v4
	v_lshlrev_b32_e32 v4, 30, v12
	v_xor_b32_e32 v13, vcc_lo, v13
	v_cmp_gt_i64_e32 vcc, 0, v[3:4]
	v_not_b32_e32 v4, v4
	v_ashrrev_i32_e32 v4, 31, v4
	v_and_b32_e32 v13, exec_lo, v13
	v_xor_b32_e32 v18, vcc_hi, v4
	v_xor_b32_e32 v4, vcc_lo, v4
	v_and_b32_e32 v13, v13, v4
	v_lshlrev_b32_e32 v4, 29, v12
	v_cmp_gt_i64_e32 vcc, 0, v[3:4]
	v_not_b32_e32 v4, v4
	v_ashrrev_i32_e32 v4, 31, v4
	v_and_b32_e32 v15, v15, v18
	v_xor_b32_e32 v18, vcc_hi, v4
	v_xor_b32_e32 v4, vcc_lo, v4
	v_and_b32_e32 v13, v13, v4
	v_lshlrev_b32_e32 v4, 28, v12
	v_cmp_gt_i64_e32 vcc, 0, v[3:4]
	v_not_b32_e32 v4, v4
	v_ashrrev_i32_e32 v4, 31, v4
	v_and_b32_e32 v15, v15, v18
	;; [unrolled: 8-line block ×5, first 2 shown]
	v_xor_b32_e32 v18, vcc_hi, v4
	v_xor_b32_e32 v4, vcc_lo, v4
	v_and_b32_e32 v15, v15, v18
	v_and_b32_e32 v18, v13, v4
	v_lshlrev_b32_e32 v4, 24, v12
	v_cmp_gt_i64_e32 vcc, 0, v[3:4]
	v_not_b32_e32 v4, v4
	v_ashrrev_i32_e32 v4, 31, v4
	v_mul_u32_u24_e32 v14, 20, v12
	v_xor_b32_e32 v12, vcc_hi, v4
	v_xor_b32_e32 v4, vcc_lo, v4
	v_and_b32_e32 v13, v15, v12
	v_and_b32_e32 v12, v18, v4
	v_mbcnt_lo_u32_b32 v4, v12, 0
	v_mbcnt_hi_u32_b32 v125, v13, v4
	v_cmp_ne_u64_e32 vcc, 0, v[12:13]
	v_cmp_eq_u32_e64 s[36:37], 0, v125
	s_and_b64 s[38:39], vcc, s[36:37]
	v_add_u32_e32 v18, v100, v14
	; wave barrier
	s_and_saveexec_b64 s[36:37], s[38:39]
	s_cbranch_execz .LBB1359_97
; %bb.96:                               ;   in Loop: Header=BB1359_69 Depth=2
	v_bcnt_u32_b32 v4, v12, 0
	v_bcnt_u32_b32 v4, v13, v4
	s_waitcnt lgkmcnt(0)
	v_add_u32_e32 v4, v124, v4
	ds_write_b32 v18, v4 offset:1040
.LBB1359_97:                            ;   in Loop: Header=BB1359_69 Depth=2
	s_or_b64 exec, exec, s[36:37]
	v_cmp_gt_i32_e32 vcc, 0, v19
	v_cndmask_b32_e64 v4, v73, 0, vcc
	v_xor_b32_e32 v126, v4, v19
	v_cmp_ne_u32_e32 vcc, s62, v126
	v_cndmask_b32_e32 v4, v73, v126, vcc
	v_lshrrev_b32_e32 v4, s63, v4
	v_and_b32_e32 v12, s70, v4
	v_mad_u32_u24 v4, v12, 20, v100
	; wave barrier
	ds_read_b32 v127, v4 offset:1040
	v_and_b32_e32 v4, 1, v12
	v_add_co_u32_e32 v13, vcc, -1, v4
	v_addc_co_u32_e64 v15, s[36:37], 0, -1, vcc
	v_cmp_ne_u32_e32 vcc, 0, v4
	v_xor_b32_e32 v4, vcc_hi, v15
	v_and_b32_e32 v15, exec_hi, v4
	v_lshlrev_b32_e32 v4, 30, v12
	v_xor_b32_e32 v13, vcc_lo, v13
	v_cmp_gt_i64_e32 vcc, 0, v[3:4]
	v_not_b32_e32 v4, v4
	v_ashrrev_i32_e32 v4, 31, v4
	v_and_b32_e32 v13, exec_lo, v13
	v_xor_b32_e32 v19, vcc_hi, v4
	v_xor_b32_e32 v4, vcc_lo, v4
	v_and_b32_e32 v13, v13, v4
	v_lshlrev_b32_e32 v4, 29, v12
	v_cmp_gt_i64_e32 vcc, 0, v[3:4]
	v_not_b32_e32 v4, v4
	v_ashrrev_i32_e32 v4, 31, v4
	v_and_b32_e32 v15, v15, v19
	v_xor_b32_e32 v19, vcc_hi, v4
	v_xor_b32_e32 v4, vcc_lo, v4
	v_and_b32_e32 v13, v13, v4
	v_lshlrev_b32_e32 v4, 28, v12
	v_cmp_gt_i64_e32 vcc, 0, v[3:4]
	v_not_b32_e32 v4, v4
	v_ashrrev_i32_e32 v4, 31, v4
	v_and_b32_e32 v15, v15, v19
	;; [unrolled: 8-line block ×5, first 2 shown]
	v_xor_b32_e32 v19, vcc_hi, v4
	v_xor_b32_e32 v4, vcc_lo, v4
	v_and_b32_e32 v15, v15, v19
	v_and_b32_e32 v19, v13, v4
	v_lshlrev_b32_e32 v4, 24, v12
	v_cmp_gt_i64_e32 vcc, 0, v[3:4]
	v_not_b32_e32 v4, v4
	v_ashrrev_i32_e32 v4, 31, v4
	v_mul_u32_u24_e32 v14, 20, v12
	v_xor_b32_e32 v12, vcc_hi, v4
	v_xor_b32_e32 v4, vcc_lo, v4
	v_and_b32_e32 v13, v15, v12
	v_and_b32_e32 v12, v19, v4
	v_mbcnt_lo_u32_b32 v4, v12, 0
	v_mbcnt_hi_u32_b32 v128, v13, v4
	v_cmp_ne_u64_e32 vcc, 0, v[12:13]
	v_cmp_eq_u32_e64 s[36:37], 0, v128
	s_and_b64 s[38:39], vcc, s[36:37]
	v_add_u32_e32 v4, v100, v14
	; wave barrier
	s_and_saveexec_b64 s[36:37], s[38:39]
	s_cbranch_execz .LBB1359_99
; %bb.98:                               ;   in Loop: Header=BB1359_69 Depth=2
	v_bcnt_u32_b32 v12, v12, 0
	v_bcnt_u32_b32 v12, v13, v12
	s_waitcnt lgkmcnt(0)
	v_add_u32_e32 v12, v127, v12
	ds_write_b32 v4, v12 offset:1040
.LBB1359_99:                            ;   in Loop: Header=BB1359_69 Depth=2
	s_or_b64 exec, exec, s[36:37]
	; wave barrier
	s_waitcnt lgkmcnt(0)
	s_barrier
	ds_read2_b32 v[14:15], v104 offset1:1
	ds_read2_b32 v[12:13], v103 offset1:1
	ds_read_b32 v19, v49 offset:1056
	s_waitcnt lgkmcnt(1)
	v_add3_u32 v129, v15, v14, v12
	s_waitcnt lgkmcnt(0)
	v_add3_u32 v19, v129, v13, v19
	s_nop 1
	v_mov_b32_dpp v129, v19 row_shr:1 row_mask:0xf bank_mask:0xf
	v_cndmask_b32_e64 v129, v129, 0, s[16:17]
	v_add_u32_e32 v19, v129, v19
	s_nop 1
	v_mov_b32_dpp v129, v19 row_shr:2 row_mask:0xf bank_mask:0xf
	v_cndmask_b32_e64 v129, 0, v129, s[18:19]
	v_add_u32_e32 v19, v19, v129
	s_nop 1
	v_mov_b32_dpp v129, v19 row_shr:4 row_mask:0xf bank_mask:0xf
	v_cndmask_b32_e64 v129, 0, v129, s[20:21]
	v_add_u32_e32 v19, v19, v129
	s_nop 1
	v_mov_b32_dpp v129, v19 row_shr:8 row_mask:0xf bank_mask:0xf
	v_cndmask_b32_e64 v129, 0, v129, s[22:23]
	v_add_u32_e32 v19, v19, v129
	s_nop 1
	v_mov_b32_dpp v129, v19 row_bcast:15 row_mask:0xf bank_mask:0xf
	v_cndmask_b32_e64 v129, v129, 0, s[24:25]
	v_add_u32_e32 v19, v19, v129
	s_nop 1
	v_mov_b32_dpp v129, v19 row_bcast:31 row_mask:0xf bank_mask:0xf
	v_cndmask_b32_e64 v129, 0, v129, s[26:27]
	v_add_u32_e32 v19, v19, v129
	s_and_saveexec_b64 s[36:37], s[6:7]
; %bb.100:                              ;   in Loop: Header=BB1359_69 Depth=2
	ds_write_b32 v44, v19 offset:1024
; %bb.101:                              ;   in Loop: Header=BB1359_69 Depth=2
	s_or_b64 exec, exec, s[36:37]
	s_waitcnt lgkmcnt(0)
	s_barrier
	s_and_saveexec_b64 s[36:37], s[8:9]
	s_cbranch_execz .LBB1359_103
; %bb.102:                              ;   in Loop: Header=BB1359_69 Depth=2
	ds_read_b32 v129, v50 offset:1024
	s_waitcnt lgkmcnt(0)
	s_nop 0
	v_mov_b32_dpp v130, v129 row_shr:1 row_mask:0xf bank_mask:0xf
	v_cndmask_b32_e64 v130, v130, 0, s[30:31]
	v_add_u32_e32 v129, v130, v129
	s_nop 1
	v_mov_b32_dpp v130, v129 row_shr:2 row_mask:0xf bank_mask:0xf
	v_cndmask_b32_e64 v130, 0, v130, s[34:35]
	v_add_u32_e32 v129, v129, v130
	ds_write_b32 v50, v129 offset:1024
.LBB1359_103:                           ;   in Loop: Header=BB1359_69 Depth=2
	s_or_b64 exec, exec, s[36:37]
	v_mov_b32_e32 v129, 0
	s_waitcnt lgkmcnt(0)
	s_barrier
	s_and_saveexec_b64 s[36:37], s[10:11]
; %bb.104:                              ;   in Loop: Header=BB1359_69 Depth=2
	ds_read_b32 v129, v44 offset:1020
; %bb.105:                              ;   in Loop: Header=BB1359_69 Depth=2
	s_or_b64 exec, exec, s[36:37]
	s_waitcnt lgkmcnt(0)
	v_add_u32_e32 v19, v129, v19
	ds_bpermute_b32 v19, v79, v19
	s_waitcnt lgkmcnt(0)
	v_cndmask_b32_e64 v19, v19, v129, s[28:29]
	v_cndmask_b32_e64 v19, v19, 0, s[12:13]
	v_add_u32_e32 v14, v19, v14
	v_add_u32_e32 v15, v14, v15
	;; [unrolled: 1-line block ×4, first 2 shown]
	ds_write2_b32 v104, v19, v14 offset1:1
	ds_write2_b32 v103, v15, v12 offset1:1
	ds_write_b32 v49, v13 offset:1056
	s_waitcnt lgkmcnt(0)
	s_barrier
	ds_read_b32 v12, v106 offset:1040
	ds_read_b32 v13, v110 offset:1040
	;; [unrolled: 1-line block ×9, first 2 shown]
	v_mov_b32_e32 v4, 0x800
	s_and_saveexec_b64 s[36:37], s[14:15]
; %bb.106:                              ;   in Loop: Header=BB1359_69 Depth=2
	ds_read_b32 v4, v49 offset:1060
; %bb.107:                              ;   in Loop: Header=BB1359_69 Depth=2
	s_or_b64 exec, exec, s[36:37]
	s_waitcnt lgkmcnt(0)
	s_barrier
	s_and_saveexec_b64 s[36:37], s[4:5]
	s_cbranch_execz .LBB1359_109
; %bb.108:                              ;   in Loop: Header=BB1359_69 Depth=2
	ds_read_b32 v18, v32
	s_waitcnt lgkmcnt(0)
	v_sub_u32_e32 v17, v18, v17
	ds_write_b32 v32, v17
.LBB1359_109:                           ;   in Loop: Header=BB1359_69 Depth=2
	s_or_b64 exec, exec, s[36:37]
	v_add_u32_e32 v103, v12, v105
	v_add3_u32 v31, v107, v31, v13
	v_lshlrev_b32_e32 v12, 2, v103
	v_add3_u32 v19, v111, v109, v14
	ds_write_b32 v12, v102 offset:1024
	v_lshlrev_b32_e32 v12, 2, v31
	v_add3_u32 v18, v115, v113, v15
	ds_write_b32 v12, v30 offset:1024
	;; [unrolled: 3-line block ×6, first 2 shown]
	v_lshlrev_b32_e32 v12, 2, v15
	ds_write_b32 v12, v123 offset:1024
	v_lshlrev_b32_e32 v12, 2, v14
	v_cmp_lt_u32_e32 vcc, v0, v101
	ds_write_b32 v12, v126 offset:1024
	s_waitcnt lgkmcnt(0)
	s_barrier
	s_and_saveexec_b64 s[38:39], vcc
	s_cbranch_execnz .LBB1359_146
; %bb.110:                              ;   in Loop: Header=BB1359_69 Depth=2
	s_or_b64 exec, exec, s[38:39]
	v_cmp_lt_u32_e64 s[36:37], v33, v101
	s_and_saveexec_b64 s[40:41], s[36:37]
	s_cbranch_execnz .LBB1359_147
.LBB1359_111:                           ;   in Loop: Header=BB1359_69 Depth=2
	s_or_b64 exec, exec, s[40:41]
	v_cmp_lt_u32_e64 s[38:39], v34, v101
	s_and_saveexec_b64 s[42:43], s[38:39]
	s_cbranch_execnz .LBB1359_148
.LBB1359_112:                           ;   in Loop: Header=BB1359_69 Depth=2
	s_or_b64 exec, exec, s[42:43]
	v_cmp_lt_u32_e64 s[40:41], v35, v101
	s_and_saveexec_b64 s[44:45], s[40:41]
	s_cbranch_execnz .LBB1359_149
.LBB1359_113:                           ;   in Loop: Header=BB1359_69 Depth=2
	s_or_b64 exec, exec, s[44:45]
	v_cmp_lt_u32_e64 s[42:43], v38, v101
	s_and_saveexec_b64 s[46:47], s[42:43]
	s_cbranch_execnz .LBB1359_150
.LBB1359_114:                           ;   in Loop: Header=BB1359_69 Depth=2
	s_or_b64 exec, exec, s[46:47]
	v_cmp_lt_u32_e64 s[44:45], v39, v101
	s_and_saveexec_b64 s[48:49], s[44:45]
	s_cbranch_execnz .LBB1359_151
.LBB1359_115:                           ;   in Loop: Header=BB1359_69 Depth=2
	s_or_b64 exec, exec, s[48:49]
	v_cmp_lt_u32_e64 s[46:47], v40, v101
	s_and_saveexec_b64 s[52:53], s[46:47]
	s_cbranch_execnz .LBB1359_152
.LBB1359_116:                           ;   in Loop: Header=BB1359_69 Depth=2
	s_or_b64 exec, exec, s[52:53]
	v_cmp_lt_u32_e64 s[48:49], v41, v101
	s_and_saveexec_b64 s[60:61], s[48:49]
	s_cbranch_execz .LBB1359_118
.LBB1359_117:                           ;   in Loop: Header=BB1359_69 Depth=2
	ds_read_b32 v12, v50 offset:8192
	v_mov_b32_e32 v13, v3
	v_mov_b32_e32 v102, s67
	s_waitcnt lgkmcnt(0)
	v_cmp_ne_u32_e64 s[52:53], s62, v12
	v_cndmask_b32_e64 v30, v73, v12, s[52:53]
	v_lshrrev_b32_e32 v30, s63, v30
	v_and_b32_e32 v30, s70, v30
	v_lshlrev_b32_e32 v30, 2, v30
	ds_read_b32 v30, v30
	v_cmp_gt_i32_e64 s[52:53], 0, v12
	v_cndmask_b32_e64 v104, v73, 0, s[52:53]
	v_xor_b32_e32 v104, v104, v12
	s_waitcnt lgkmcnt(0)
	v_add_u32_e32 v12, v30, v41
	v_lshlrev_b64 v[12:13], 2, v[12:13]
	v_add_co_u32_e64 v12, s[52:53], s66, v12
	v_addc_co_u32_e64 v13, s[52:53], v102, v13, s[52:53]
	global_store_dword v[12:13], v104, off
.LBB1359_118:                           ;   in Loop: Header=BB1359_69 Depth=2
	s_or_b64 exec, exec, s[60:61]
	s_lshl_b64 s[52:53], s[58:59], 3
	v_mov_b32_e32 v13, s53
	v_add_co_u32_e64 v12, s[52:53], s52, v87
	v_addc_co_u32_e64 v13, s[52:53], v89, v13, s[52:53]
	v_cmp_lt_u32_e64 s[52:53], v84, v101
	s_and_saveexec_b64 s[60:61], s[52:53]
	s_xor_b64 s[52:53], exec, s[60:61]
	s_cbranch_execnz .LBB1359_153
; %bb.119:                              ;   in Loop: Header=BB1359_69 Depth=2
	s_or_b64 exec, exec, s[52:53]
	v_cmp_lt_u32_e64 s[52:53], v91, v101
	s_and_saveexec_b64 s[60:61], s[52:53]
	s_cbranch_execnz .LBB1359_154
.LBB1359_120:                           ;   in Loop: Header=BB1359_69 Depth=2
	s_or_b64 exec, exec, s[60:61]
	v_cmp_lt_u32_e64 s[52:53], v92, v101
	s_and_saveexec_b64 s[60:61], s[52:53]
	s_cbranch_execnz .LBB1359_155
.LBB1359_121:                           ;   in Loop: Header=BB1359_69 Depth=2
	s_or_b64 exec, exec, s[60:61]
	v_cmp_lt_u32_e64 s[52:53], v93, v101
	s_and_saveexec_b64 s[60:61], s[52:53]
	s_cbranch_execnz .LBB1359_156
.LBB1359_122:                           ;   in Loop: Header=BB1359_69 Depth=2
	s_or_b64 exec, exec, s[60:61]
	v_cmp_lt_u32_e64 s[52:53], v94, v101
	s_and_saveexec_b64 s[60:61], s[52:53]
	s_cbranch_execnz .LBB1359_157
.LBB1359_123:                           ;   in Loop: Header=BB1359_69 Depth=2
	s_or_b64 exec, exec, s[60:61]
	v_cmp_lt_u32_e64 s[52:53], v95, v101
	s_and_saveexec_b64 s[60:61], s[52:53]
	s_cbranch_execnz .LBB1359_158
.LBB1359_124:                           ;   in Loop: Header=BB1359_69 Depth=2
	s_or_b64 exec, exec, s[60:61]
	v_cmp_lt_u32_e64 s[52:53], v96, v101
	s_and_saveexec_b64 s[60:61], s[52:53]
	s_cbranch_execnz .LBB1359_159
.LBB1359_125:                           ;   in Loop: Header=BB1359_69 Depth=2
	s_or_b64 exec, exec, s[60:61]
	v_cmp_lt_u32_e64 s[52:53], v97, v101
	s_and_saveexec_b64 s[60:61], s[52:53]
	s_cbranch_execnz .LBB1359_160
.LBB1359_126:                           ;   in Loop: Header=BB1359_69 Depth=2
	s_or_b64 exec, exec, s[60:61]
	s_and_saveexec_b64 s[60:61], vcc
	s_cbranch_execnz .LBB1359_161
.LBB1359_127:                           ;   in Loop: Header=BB1359_69 Depth=2
	s_or_b64 exec, exec, s[60:61]
	s_and_saveexec_b64 s[60:61], s[36:37]
	s_cbranch_execnz .LBB1359_162
.LBB1359_128:                           ;   in Loop: Header=BB1359_69 Depth=2
	s_or_b64 exec, exec, s[60:61]
	s_and_saveexec_b64 s[60:61], s[38:39]
	s_cbranch_execnz .LBB1359_163
.LBB1359_129:                           ;   in Loop: Header=BB1359_69 Depth=2
	s_or_b64 exec, exec, s[60:61]
	s_and_saveexec_b64 s[60:61], s[40:41]
	s_cbranch_execnz .LBB1359_164
.LBB1359_130:                           ;   in Loop: Header=BB1359_69 Depth=2
	s_or_b64 exec, exec, s[60:61]
	s_and_saveexec_b64 s[60:61], s[42:43]
	s_cbranch_execnz .LBB1359_165
.LBB1359_131:                           ;   in Loop: Header=BB1359_69 Depth=2
	s_or_b64 exec, exec, s[60:61]
	s_and_saveexec_b64 s[60:61], s[44:45]
	s_cbranch_execnz .LBB1359_166
.LBB1359_132:                           ;   in Loop: Header=BB1359_69 Depth=2
	s_or_b64 exec, exec, s[60:61]
	s_and_saveexec_b64 s[60:61], s[46:47]
	s_cbranch_execnz .LBB1359_167
.LBB1359_133:                           ;   in Loop: Header=BB1359_69 Depth=2
	s_or_b64 exec, exec, s[60:61]
	s_and_saveexec_b64 s[60:61], s[48:49]
	s_cbranch_execz .LBB1359_135
.LBB1359_134:                           ;   in Loop: Header=BB1359_69 Depth=2
	ds_read_b32 v12, v50 offset:8192
	s_waitcnt lgkmcnt(0)
	v_cmp_ne_u32_e64 s[52:53], s62, v12
	v_cndmask_b32_e64 v12, v73, v12, s[52:53]
	v_lshrrev_b32_e32 v12, s63, v12
	v_and_b32_e32 v80, s70, v12
.LBB1359_135:                           ;   in Loop: Header=BB1359_69 Depth=2
	s_or_b64 exec, exec, s[60:61]
	v_lshlrev_b32_e32 v12, 3, v103
	s_waitcnt vmcnt(0)
	s_barrier
	ds_write_b64 v12, v[28:29] offset:1024
	v_lshlrev_b32_e32 v12, 3, v31
	ds_write_b64 v12, v[26:27] offset:1024
	v_lshlrev_b32_e32 v12, 3, v19
	;; [unrolled: 2-line block ×7, first 2 shown]
	ds_write_b64 v12, v[5:6] offset:1024
	s_waitcnt lgkmcnt(0)
	s_barrier
	s_and_saveexec_b64 s[52:53], vcc
	s_cbranch_execnz .LBB1359_168
; %bb.136:                              ;   in Loop: Header=BB1359_69 Depth=2
	s_or_b64 exec, exec, s[52:53]
	s_and_saveexec_b64 s[52:53], s[36:37]
	s_cbranch_execnz .LBB1359_169
.LBB1359_137:                           ;   in Loop: Header=BB1359_69 Depth=2
	s_or_b64 exec, exec, s[52:53]
	s_and_saveexec_b64 s[36:37], s[38:39]
	s_cbranch_execnz .LBB1359_170
.LBB1359_138:                           ;   in Loop: Header=BB1359_69 Depth=2
	s_or_b64 exec, exec, s[36:37]
	s_and_saveexec_b64 s[36:37], s[40:41]
	s_cbranch_execnz .LBB1359_171
.LBB1359_139:                           ;   in Loop: Header=BB1359_69 Depth=2
	s_or_b64 exec, exec, s[36:37]
	s_and_saveexec_b64 s[36:37], s[42:43]
	s_cbranch_execnz .LBB1359_172
.LBB1359_140:                           ;   in Loop: Header=BB1359_69 Depth=2
	s_or_b64 exec, exec, s[36:37]
	s_and_saveexec_b64 s[36:37], s[44:45]
	s_cbranch_execnz .LBB1359_173
.LBB1359_141:                           ;   in Loop: Header=BB1359_69 Depth=2
	s_or_b64 exec, exec, s[36:37]
	s_and_saveexec_b64 s[36:37], s[46:47]
	s_cbranch_execnz .LBB1359_174
.LBB1359_142:                           ;   in Loop: Header=BB1359_69 Depth=2
	s_or_b64 exec, exec, s[36:37]
	s_and_saveexec_b64 s[36:37], s[48:49]
	s_cbranch_execz .LBB1359_144
.LBB1359_143:                           ;   in Loop: Header=BB1359_69 Depth=2
	v_lshlrev_b32_e32 v12, 2, v80
	ds_read_b32 v14, v12
	v_add_u32_e32 v12, v50, v32
	ds_read_b64 v[12:13], v12 offset:15360
	v_mov_b32_e32 v15, v3
	v_mov_b32_e32 v16, s73
	s_waitcnt lgkmcnt(1)
	v_add_u32_e32 v14, v14, v41
	v_lshlrev_b64 v[14:15], 3, v[14:15]
	v_add_co_u32_e32 v14, vcc, s72, v14
	v_addc_co_u32_e32 v15, vcc, v16, v15, vcc
	s_waitcnt lgkmcnt(0)
	global_store_dwordx2 v[14:15], v[12:13], off
.LBB1359_144:                           ;   in Loop: Header=BB1359_69 Depth=2
	s_or_b64 exec, exec, s[36:37]
	s_waitcnt vmcnt(0)
	s_barrier
	s_and_saveexec_b64 s[36:37], s[4:5]
	s_cbranch_execz .LBB1359_68
; %bb.145:                              ;   in Loop: Header=BB1359_69 Depth=2
	ds_read_b32 v12, v32
	s_waitcnt lgkmcnt(0)
	v_add_u32_e32 v4, v12, v4
	ds_write_b32 v32, v4
	s_branch .LBB1359_68
.LBB1359_146:                           ;   in Loop: Header=BB1359_69 Depth=2
	ds_read_b32 v12, v50 offset:1024
	v_mov_b32_e32 v13, v3
	v_mov_b32_e32 v102, s67
	s_waitcnt lgkmcnt(0)
	v_cmp_ne_u32_e64 s[36:37], s62, v12
	v_cndmask_b32_e64 v30, v73, v12, s[36:37]
	v_lshrrev_b32_e32 v30, s63, v30
	v_and_b32_e32 v30, s70, v30
	v_lshlrev_b32_e32 v30, 2, v30
	ds_read_b32 v30, v30
	v_cmp_gt_i32_e64 s[36:37], 0, v12
	v_cndmask_b32_e64 v104, v73, 0, s[36:37]
	v_xor_b32_e32 v104, v104, v12
	s_waitcnt lgkmcnt(0)
	v_add_u32_e32 v12, v30, v0
	v_lshlrev_b64 v[12:13], 2, v[12:13]
	v_add_co_u32_e64 v12, s[36:37], s66, v12
	v_addc_co_u32_e64 v13, s[36:37], v102, v13, s[36:37]
	global_store_dword v[12:13], v104, off
	s_or_b64 exec, exec, s[38:39]
	v_cmp_lt_u32_e64 s[36:37], v33, v101
	s_and_saveexec_b64 s[40:41], s[36:37]
	s_cbranch_execz .LBB1359_111
.LBB1359_147:                           ;   in Loop: Header=BB1359_69 Depth=2
	ds_read_b32 v12, v50 offset:2048
	v_mov_b32_e32 v13, v3
	v_mov_b32_e32 v102, s67
	s_waitcnt lgkmcnt(0)
	v_cmp_ne_u32_e64 s[38:39], s62, v12
	v_cndmask_b32_e64 v30, v73, v12, s[38:39]
	v_lshrrev_b32_e32 v30, s63, v30
	v_and_b32_e32 v30, s70, v30
	v_lshlrev_b32_e32 v30, 2, v30
	ds_read_b32 v30, v30
	v_cmp_gt_i32_e64 s[38:39], 0, v12
	v_cndmask_b32_e64 v104, v73, 0, s[38:39]
	v_xor_b32_e32 v104, v104, v12
	s_waitcnt lgkmcnt(0)
	v_add_u32_e32 v12, v30, v33
	v_lshlrev_b64 v[12:13], 2, v[12:13]
	v_add_co_u32_e64 v12, s[38:39], s66, v12
	v_addc_co_u32_e64 v13, s[38:39], v102, v13, s[38:39]
	global_store_dword v[12:13], v104, off
	s_or_b64 exec, exec, s[40:41]
	v_cmp_lt_u32_e64 s[38:39], v34, v101
	s_and_saveexec_b64 s[42:43], s[38:39]
	s_cbranch_execz .LBB1359_112
.LBB1359_148:                           ;   in Loop: Header=BB1359_69 Depth=2
	ds_read_b32 v12, v50 offset:3072
	v_mov_b32_e32 v13, v3
	v_mov_b32_e32 v102, s67
	s_waitcnt lgkmcnt(0)
	v_cmp_ne_u32_e64 s[40:41], s62, v12
	v_cndmask_b32_e64 v30, v73, v12, s[40:41]
	v_lshrrev_b32_e32 v30, s63, v30
	v_and_b32_e32 v30, s70, v30
	v_lshlrev_b32_e32 v30, 2, v30
	ds_read_b32 v30, v30
	v_cmp_gt_i32_e64 s[40:41], 0, v12
	v_cndmask_b32_e64 v104, v73, 0, s[40:41]
	v_xor_b32_e32 v104, v104, v12
	s_waitcnt lgkmcnt(0)
	v_add_u32_e32 v12, v30, v34
	v_lshlrev_b64 v[12:13], 2, v[12:13]
	v_add_co_u32_e64 v12, s[40:41], s66, v12
	v_addc_co_u32_e64 v13, s[40:41], v102, v13, s[40:41]
	global_store_dword v[12:13], v104, off
	s_or_b64 exec, exec, s[42:43]
	v_cmp_lt_u32_e64 s[40:41], v35, v101
	s_and_saveexec_b64 s[44:45], s[40:41]
	s_cbranch_execz .LBB1359_113
.LBB1359_149:                           ;   in Loop: Header=BB1359_69 Depth=2
	ds_read_b32 v12, v50 offset:4096
	v_mov_b32_e32 v13, v3
	v_mov_b32_e32 v102, s67
	s_waitcnt lgkmcnt(0)
	v_cmp_ne_u32_e64 s[42:43], s62, v12
	v_cndmask_b32_e64 v30, v73, v12, s[42:43]
	v_lshrrev_b32_e32 v30, s63, v30
	v_and_b32_e32 v30, s70, v30
	v_lshlrev_b32_e32 v30, 2, v30
	ds_read_b32 v30, v30
	v_cmp_gt_i32_e64 s[42:43], 0, v12
	v_cndmask_b32_e64 v104, v73, 0, s[42:43]
	v_xor_b32_e32 v104, v104, v12
	s_waitcnt lgkmcnt(0)
	v_add_u32_e32 v12, v30, v35
	v_lshlrev_b64 v[12:13], 2, v[12:13]
	v_add_co_u32_e64 v12, s[42:43], s66, v12
	v_addc_co_u32_e64 v13, s[42:43], v102, v13, s[42:43]
	global_store_dword v[12:13], v104, off
	s_or_b64 exec, exec, s[44:45]
	v_cmp_lt_u32_e64 s[42:43], v38, v101
	s_and_saveexec_b64 s[46:47], s[42:43]
	s_cbranch_execz .LBB1359_114
.LBB1359_150:                           ;   in Loop: Header=BB1359_69 Depth=2
	ds_read_b32 v12, v50 offset:5120
	v_mov_b32_e32 v13, v3
	v_mov_b32_e32 v102, s67
	s_waitcnt lgkmcnt(0)
	v_cmp_ne_u32_e64 s[44:45], s62, v12
	v_cndmask_b32_e64 v30, v73, v12, s[44:45]
	v_lshrrev_b32_e32 v30, s63, v30
	v_and_b32_e32 v30, s70, v30
	v_lshlrev_b32_e32 v30, 2, v30
	ds_read_b32 v30, v30
	v_cmp_gt_i32_e64 s[44:45], 0, v12
	v_cndmask_b32_e64 v104, v73, 0, s[44:45]
	v_xor_b32_e32 v104, v104, v12
	s_waitcnt lgkmcnt(0)
	v_add_u32_e32 v12, v30, v38
	v_lshlrev_b64 v[12:13], 2, v[12:13]
	v_add_co_u32_e64 v12, s[44:45], s66, v12
	v_addc_co_u32_e64 v13, s[44:45], v102, v13, s[44:45]
	global_store_dword v[12:13], v104, off
	s_or_b64 exec, exec, s[46:47]
	v_cmp_lt_u32_e64 s[44:45], v39, v101
	s_and_saveexec_b64 s[48:49], s[44:45]
	s_cbranch_execz .LBB1359_115
.LBB1359_151:                           ;   in Loop: Header=BB1359_69 Depth=2
	ds_read_b32 v12, v50 offset:6144
	v_mov_b32_e32 v13, v3
	v_mov_b32_e32 v102, s67
	s_waitcnt lgkmcnt(0)
	v_cmp_ne_u32_e64 s[46:47], s62, v12
	v_cndmask_b32_e64 v30, v73, v12, s[46:47]
	v_lshrrev_b32_e32 v30, s63, v30
	v_and_b32_e32 v30, s70, v30
	v_lshlrev_b32_e32 v30, 2, v30
	ds_read_b32 v30, v30
	v_cmp_gt_i32_e64 s[46:47], 0, v12
	v_cndmask_b32_e64 v104, v73, 0, s[46:47]
	v_xor_b32_e32 v104, v104, v12
	s_waitcnt lgkmcnt(0)
	v_add_u32_e32 v12, v30, v39
	v_lshlrev_b64 v[12:13], 2, v[12:13]
	v_add_co_u32_e64 v12, s[46:47], s66, v12
	v_addc_co_u32_e64 v13, s[46:47], v102, v13, s[46:47]
	global_store_dword v[12:13], v104, off
	s_or_b64 exec, exec, s[48:49]
	v_cmp_lt_u32_e64 s[46:47], v40, v101
	s_and_saveexec_b64 s[52:53], s[46:47]
	s_cbranch_execz .LBB1359_116
.LBB1359_152:                           ;   in Loop: Header=BB1359_69 Depth=2
	ds_read_b32 v12, v50 offset:7168
	v_mov_b32_e32 v13, v3
	v_mov_b32_e32 v102, s67
	s_waitcnt lgkmcnt(0)
	v_cmp_ne_u32_e64 s[48:49], s62, v12
	v_cndmask_b32_e64 v30, v73, v12, s[48:49]
	v_lshrrev_b32_e32 v30, s63, v30
	v_and_b32_e32 v30, s70, v30
	v_lshlrev_b32_e32 v30, 2, v30
	ds_read_b32 v30, v30
	v_cmp_gt_i32_e64 s[48:49], 0, v12
	v_cndmask_b32_e64 v104, v73, 0, s[48:49]
	v_xor_b32_e32 v104, v104, v12
	s_waitcnt lgkmcnt(0)
	v_add_u32_e32 v12, v30, v40
	v_lshlrev_b64 v[12:13], 2, v[12:13]
	v_add_co_u32_e64 v12, s[48:49], s66, v12
	v_addc_co_u32_e64 v13, s[48:49], v102, v13, s[48:49]
	global_store_dword v[12:13], v104, off
	s_or_b64 exec, exec, s[52:53]
	v_cmp_lt_u32_e64 s[48:49], v41, v101
	s_and_saveexec_b64 s[60:61], s[48:49]
	s_cbranch_execnz .LBB1359_117
	s_branch .LBB1359_118
.LBB1359_153:                           ;   in Loop: Header=BB1359_69 Depth=2
	global_load_dwordx2 v[28:29], v[12:13], off
	s_or_b64 exec, exec, s[52:53]
	v_cmp_lt_u32_e64 s[52:53], v91, v101
	s_and_saveexec_b64 s[60:61], s[52:53]
	s_cbranch_execz .LBB1359_120
.LBB1359_154:                           ;   in Loop: Header=BB1359_69 Depth=2
	global_load_dwordx2 v[26:27], v[12:13], off offset:512
	s_or_b64 exec, exec, s[60:61]
	v_cmp_lt_u32_e64 s[52:53], v92, v101
	s_and_saveexec_b64 s[60:61], s[52:53]
	s_cbranch_execz .LBB1359_121
.LBB1359_155:                           ;   in Loop: Header=BB1359_69 Depth=2
	global_load_dwordx2 v[24:25], v[12:13], off offset:1024
	s_or_b64 exec, exec, s[60:61]
	v_cmp_lt_u32_e64 s[52:53], v93, v101
	s_and_saveexec_b64 s[60:61], s[52:53]
	s_cbranch_execz .LBB1359_122
.LBB1359_156:                           ;   in Loop: Header=BB1359_69 Depth=2
	global_load_dwordx2 v[22:23], v[12:13], off offset:1536
	s_or_b64 exec, exec, s[60:61]
	v_cmp_lt_u32_e64 s[52:53], v94, v101
	s_and_saveexec_b64 s[60:61], s[52:53]
	s_cbranch_execz .LBB1359_123
.LBB1359_157:                           ;   in Loop: Header=BB1359_69 Depth=2
	global_load_dwordx2 v[20:21], v[12:13], off offset:2048
	s_or_b64 exec, exec, s[60:61]
	v_cmp_lt_u32_e64 s[52:53], v95, v101
	s_and_saveexec_b64 s[60:61], s[52:53]
	s_cbranch_execz .LBB1359_124
.LBB1359_158:                           ;   in Loop: Header=BB1359_69 Depth=2
	global_load_dwordx2 v[9:10], v[12:13], off offset:2560
	s_or_b64 exec, exec, s[60:61]
	v_cmp_lt_u32_e64 s[52:53], v96, v101
	s_and_saveexec_b64 s[60:61], s[52:53]
	s_cbranch_execz .LBB1359_125
.LBB1359_159:                           ;   in Loop: Header=BB1359_69 Depth=2
	global_load_dwordx2 v[7:8], v[12:13], off offset:3072
	s_or_b64 exec, exec, s[60:61]
	v_cmp_lt_u32_e64 s[52:53], v97, v101
	s_and_saveexec_b64 s[60:61], s[52:53]
	s_cbranch_execz .LBB1359_126
.LBB1359_160:                           ;   in Loop: Header=BB1359_69 Depth=2
	global_load_dwordx2 v[5:6], v[12:13], off offset:3584
	s_or_b64 exec, exec, s[60:61]
	s_and_saveexec_b64 s[60:61], vcc
	s_cbranch_execz .LBB1359_127
.LBB1359_161:                           ;   in Loop: Header=BB1359_69 Depth=2
	ds_read_b32 v12, v50 offset:1024
	s_waitcnt lgkmcnt(0)
	v_cmp_ne_u32_e64 s[52:53], s62, v12
	v_cndmask_b32_e64 v12, v73, v12, s[52:53]
	v_lshrrev_b32_e32 v12, s63, v12
	v_and_b32_e32 v90, s70, v12
	s_or_b64 exec, exec, s[60:61]
	s_and_saveexec_b64 s[60:61], s[36:37]
	s_cbranch_execz .LBB1359_128
.LBB1359_162:                           ;   in Loop: Header=BB1359_69 Depth=2
	ds_read_b32 v12, v50 offset:2048
	s_waitcnt lgkmcnt(0)
	v_cmp_ne_u32_e64 s[52:53], s62, v12
	v_cndmask_b32_e64 v12, v73, v12, s[52:53]
	v_lshrrev_b32_e32 v12, s63, v12
	v_and_b32_e32 v88, s70, v12
	s_or_b64 exec, exec, s[60:61]
	s_and_saveexec_b64 s[60:61], s[38:39]
	s_cbranch_execz .LBB1359_129
.LBB1359_163:                           ;   in Loop: Header=BB1359_69 Depth=2
	ds_read_b32 v12, v50 offset:3072
	s_waitcnt lgkmcnt(0)
	v_cmp_ne_u32_e64 s[52:53], s62, v12
	v_cndmask_b32_e64 v12, v73, v12, s[52:53]
	v_lshrrev_b32_e32 v12, s63, v12
	v_and_b32_e32 v86, s70, v12
	s_or_b64 exec, exec, s[60:61]
	s_and_saveexec_b64 s[60:61], s[40:41]
	s_cbranch_execz .LBB1359_130
.LBB1359_164:                           ;   in Loop: Header=BB1359_69 Depth=2
	ds_read_b32 v12, v50 offset:4096
	s_waitcnt lgkmcnt(0)
	v_cmp_ne_u32_e64 s[52:53], s62, v12
	v_cndmask_b32_e64 v12, v73, v12, s[52:53]
	v_lshrrev_b32_e32 v12, s63, v12
	v_and_b32_e32 v85, s70, v12
	s_or_b64 exec, exec, s[60:61]
	s_and_saveexec_b64 s[60:61], s[42:43]
	s_cbranch_execz .LBB1359_131
.LBB1359_165:                           ;   in Loop: Header=BB1359_69 Depth=2
	ds_read_b32 v12, v50 offset:5120
	s_waitcnt lgkmcnt(0)
	v_cmp_ne_u32_e64 s[52:53], s62, v12
	v_cndmask_b32_e64 v12, v73, v12, s[52:53]
	v_lshrrev_b32_e32 v12, s63, v12
	v_and_b32_e32 v83, s70, v12
	s_or_b64 exec, exec, s[60:61]
	s_and_saveexec_b64 s[60:61], s[44:45]
	s_cbranch_execz .LBB1359_132
.LBB1359_166:                           ;   in Loop: Header=BB1359_69 Depth=2
	ds_read_b32 v12, v50 offset:6144
	s_waitcnt lgkmcnt(0)
	v_cmp_ne_u32_e64 s[52:53], s62, v12
	v_cndmask_b32_e64 v12, v73, v12, s[52:53]
	v_lshrrev_b32_e32 v12, s63, v12
	v_and_b32_e32 v82, s70, v12
	s_or_b64 exec, exec, s[60:61]
	s_and_saveexec_b64 s[60:61], s[46:47]
	s_cbranch_execz .LBB1359_133
.LBB1359_167:                           ;   in Loop: Header=BB1359_69 Depth=2
	ds_read_b32 v12, v50 offset:7168
	s_waitcnt lgkmcnt(0)
	v_cmp_ne_u32_e64 s[52:53], s62, v12
	v_cndmask_b32_e64 v12, v73, v12, s[52:53]
	v_lshrrev_b32_e32 v12, s63, v12
	v_and_b32_e32 v81, s70, v12
	s_or_b64 exec, exec, s[60:61]
	s_and_saveexec_b64 s[60:61], s[48:49]
	s_cbranch_execnz .LBB1359_134
	s_branch .LBB1359_135
.LBB1359_168:                           ;   in Loop: Header=BB1359_69 Depth=2
	v_lshlrev_b32_e32 v12, 2, v90
	ds_read_b32 v14, v12
	v_add_u32_e32 v12, v50, v32
	ds_read_b64 v[12:13], v12 offset:1024
	v_mov_b32_e32 v15, v3
	v_mov_b32_e32 v16, s73
	s_waitcnt lgkmcnt(1)
	v_add_u32_e32 v14, v14, v0
	v_lshlrev_b64 v[14:15], 3, v[14:15]
	v_add_co_u32_e32 v14, vcc, s72, v14
	v_addc_co_u32_e32 v15, vcc, v16, v15, vcc
	s_waitcnt lgkmcnt(0)
	global_store_dwordx2 v[14:15], v[12:13], off
	s_or_b64 exec, exec, s[52:53]
	s_and_saveexec_b64 s[52:53], s[36:37]
	s_cbranch_execz .LBB1359_137
.LBB1359_169:                           ;   in Loop: Header=BB1359_69 Depth=2
	v_lshlrev_b32_e32 v12, 2, v88
	ds_read_b32 v14, v12
	v_add_u32_e32 v12, v50, v32
	ds_read_b64 v[12:13], v12 offset:3072
	v_mov_b32_e32 v15, v3
	v_mov_b32_e32 v16, s73
	s_waitcnt lgkmcnt(1)
	v_add_u32_e32 v14, v14, v33
	v_lshlrev_b64 v[14:15], 3, v[14:15]
	v_add_co_u32_e32 v14, vcc, s72, v14
	v_addc_co_u32_e32 v15, vcc, v16, v15, vcc
	s_waitcnt lgkmcnt(0)
	global_store_dwordx2 v[14:15], v[12:13], off
	s_or_b64 exec, exec, s[52:53]
	s_and_saveexec_b64 s[36:37], s[38:39]
	s_cbranch_execz .LBB1359_138
.LBB1359_170:                           ;   in Loop: Header=BB1359_69 Depth=2
	v_lshlrev_b32_e32 v12, 2, v86
	ds_read_b32 v14, v12
	v_add_u32_e32 v12, v50, v32
	ds_read_b64 v[12:13], v12 offset:5120
	v_mov_b32_e32 v15, v3
	v_mov_b32_e32 v16, s73
	s_waitcnt lgkmcnt(1)
	v_add_u32_e32 v14, v14, v34
	v_lshlrev_b64 v[14:15], 3, v[14:15]
	v_add_co_u32_e32 v14, vcc, s72, v14
	v_addc_co_u32_e32 v15, vcc, v16, v15, vcc
	s_waitcnt lgkmcnt(0)
	global_store_dwordx2 v[14:15], v[12:13], off
	s_or_b64 exec, exec, s[36:37]
	s_and_saveexec_b64 s[36:37], s[40:41]
	s_cbranch_execz .LBB1359_139
.LBB1359_171:                           ;   in Loop: Header=BB1359_69 Depth=2
	v_lshlrev_b32_e32 v12, 2, v85
	ds_read_b32 v14, v12
	v_add_u32_e32 v12, v50, v32
	ds_read_b64 v[12:13], v12 offset:7168
	v_mov_b32_e32 v15, v3
	v_mov_b32_e32 v16, s73
	s_waitcnt lgkmcnt(1)
	v_add_u32_e32 v14, v14, v35
	v_lshlrev_b64 v[14:15], 3, v[14:15]
	v_add_co_u32_e32 v14, vcc, s72, v14
	v_addc_co_u32_e32 v15, vcc, v16, v15, vcc
	s_waitcnt lgkmcnt(0)
	global_store_dwordx2 v[14:15], v[12:13], off
	s_or_b64 exec, exec, s[36:37]
	s_and_saveexec_b64 s[36:37], s[42:43]
	s_cbranch_execz .LBB1359_140
.LBB1359_172:                           ;   in Loop: Header=BB1359_69 Depth=2
	v_lshlrev_b32_e32 v12, 2, v83
	ds_read_b32 v14, v12
	v_add_u32_e32 v12, v50, v32
	ds_read_b64 v[12:13], v12 offset:9216
	v_mov_b32_e32 v15, v3
	v_mov_b32_e32 v16, s73
	s_waitcnt lgkmcnt(1)
	v_add_u32_e32 v14, v14, v38
	v_lshlrev_b64 v[14:15], 3, v[14:15]
	v_add_co_u32_e32 v14, vcc, s72, v14
	v_addc_co_u32_e32 v15, vcc, v16, v15, vcc
	s_waitcnt lgkmcnt(0)
	global_store_dwordx2 v[14:15], v[12:13], off
	s_or_b64 exec, exec, s[36:37]
	s_and_saveexec_b64 s[36:37], s[44:45]
	s_cbranch_execz .LBB1359_141
.LBB1359_173:                           ;   in Loop: Header=BB1359_69 Depth=2
	v_lshlrev_b32_e32 v12, 2, v82
	ds_read_b32 v14, v12
	v_add_u32_e32 v12, v50, v32
	ds_read_b64 v[12:13], v12 offset:11264
	v_mov_b32_e32 v15, v3
	v_mov_b32_e32 v16, s73
	s_waitcnt lgkmcnt(1)
	v_add_u32_e32 v14, v14, v39
	v_lshlrev_b64 v[14:15], 3, v[14:15]
	v_add_co_u32_e32 v14, vcc, s72, v14
	v_addc_co_u32_e32 v15, vcc, v16, v15, vcc
	s_waitcnt lgkmcnt(0)
	global_store_dwordx2 v[14:15], v[12:13], off
	s_or_b64 exec, exec, s[36:37]
	s_and_saveexec_b64 s[36:37], s[46:47]
	s_cbranch_execz .LBB1359_142
.LBB1359_174:                           ;   in Loop: Header=BB1359_69 Depth=2
	v_lshlrev_b32_e32 v12, 2, v81
	ds_read_b32 v14, v12
	v_add_u32_e32 v12, v50, v32
	ds_read_b64 v[12:13], v12 offset:13312
	v_mov_b32_e32 v15, v3
	v_mov_b32_e32 v16, s73
	s_waitcnt lgkmcnt(1)
	v_add_u32_e32 v14, v14, v40
	v_lshlrev_b64 v[14:15], 3, v[14:15]
	v_add_co_u32_e32 v14, vcc, s72, v14
	v_addc_co_u32_e32 v15, vcc, v16, v15, vcc
	s_waitcnt lgkmcnt(0)
	global_store_dwordx2 v[14:15], v[12:13], off
	s_or_b64 exec, exec, s[36:37]
	s_and_saveexec_b64 s[36:37], s[48:49]
	s_cbranch_execnz .LBB1359_143
	s_branch .LBB1359_144
.LBB1359_175:                           ;   in Loop: Header=BB1359_69 Depth=2
	global_load_dword v12, v[30:31], off
	v_mov_b32_e32 v13, v11
	v_mov_b32_e32 v14, v11
	;; [unrolled: 1-line block ×7, first 2 shown]
	s_or_b64 exec, exec, s[36:37]
	v_cmp_gt_u32_e32 vcc, s71, v91
	s_and_saveexec_b64 s[36:37], vcc
	s_cbranch_execz .LBB1359_74
.LBB1359_176:                           ;   in Loop: Header=BB1359_69 Depth=2
	global_load_dword v13, v[30:31], off offset:256
	s_or_b64 exec, exec, s[36:37]
	v_cmp_gt_u32_e32 vcc, s71, v92
	s_and_saveexec_b64 s[36:37], vcc
	s_cbranch_execz .LBB1359_75
.LBB1359_177:                           ;   in Loop: Header=BB1359_69 Depth=2
	global_load_dword v14, v[30:31], off offset:512
	s_or_b64 exec, exec, s[36:37]
	v_cmp_gt_u32_e32 vcc, s71, v93
	s_and_saveexec_b64 s[36:37], vcc
	s_cbranch_execz .LBB1359_76
.LBB1359_178:                           ;   in Loop: Header=BB1359_69 Depth=2
	global_load_dword v15, v[30:31], off offset:768
	s_or_b64 exec, exec, s[36:37]
	v_cmp_gt_u32_e32 vcc, s71, v94
	s_and_saveexec_b64 s[36:37], vcc
	s_cbranch_execz .LBB1359_77
.LBB1359_179:                           ;   in Loop: Header=BB1359_69 Depth=2
	global_load_dword v16, v[30:31], off offset:1024
	s_or_b64 exec, exec, s[36:37]
	v_cmp_gt_u32_e32 vcc, s71, v95
	s_and_saveexec_b64 s[36:37], vcc
	s_cbranch_execz .LBB1359_78
.LBB1359_180:                           ;   in Loop: Header=BB1359_69 Depth=2
	global_load_dword v17, v[30:31], off offset:1280
	s_or_b64 exec, exec, s[36:37]
	v_cmp_gt_u32_e32 vcc, s71, v96
	s_and_saveexec_b64 s[36:37], vcc
	s_cbranch_execnz .LBB1359_79
	s_branch .LBB1359_80
.LBB1359_181:                           ;   in Loop: Header=BB1359_17 Depth=1
	s_waitcnt lgkmcnt(0)
	s_barrier
	s_mov_b64 s[16:17], 0
.LBB1359_182:                           ;   in Loop: Header=BB1359_17 Depth=1
	s_and_b64 vcc, exec, s[16:17]
	s_cbranch_vccz .LBB1359_346
; %bb.183:                              ;   in Loop: Header=BB1359_17 Depth=1
	v_mov_b32_e32 v10, v3
	v_mov_b32_e32 v4, v3
	;; [unrolled: 1-line block ×8, first 2 shown]
	s_mov_b32 s20, s79
	s_mov_b32 s58, s51
	v_mov_b32_e32 v18, v9
	v_mov_b32_e32 v17, v8
	;; [unrolled: 1-line block ×7, first 2 shown]
	s_barrier
	s_branch .LBB1359_185
.LBB1359_184:                           ;   in Loop: Header=BB1359_185 Depth=2
	s_or_b64 exec, exec, s[16:17]
	s_addk_i32 s20, 0xf800
	s_cmp_ge_u32 s21, s80
	s_mov_b32 s58, s21
	s_cbranch_scc1 .LBB1359_221
.LBB1359_185:                           ;   Parent Loop BB1359_17 Depth=1
                                        ; =>  This Inner Loop Header: Depth=2
	s_add_i32 s21, s58, 0x800
	s_cmp_gt_u32 s21, s80
	s_mov_b64 s[16:17], -1
                                        ; implicit-def: $vgpr20_vgpr21_vgpr22_vgpr23_vgpr24_vgpr25_vgpr26_vgpr27
	s_cbranch_scc1 .LBB1359_187
; %bb.186:                              ;   in Loop: Header=BB1359_185 Depth=2
	s_lshl_b64 s[16:17], s[58:59], 2
	v_mov_b32_e32 v5, s17
	v_add_co_u32_e32 v4, vcc, s16, v55
	v_addc_co_u32_e32 v5, vcc, v56, v5, vcc
	v_add_co_u32_e32 v6, vcc, 0x1000, v4
	v_addc_co_u32_e32 v7, vcc, 0, v5, vcc
	global_load_dword v20, v[4:5], off
	global_load_dword v21, v[4:5], off offset:1024
	global_load_dword v22, v[4:5], off offset:2048
	;; [unrolled: 1-line block ×3, first 2 shown]
	global_load_dword v24, v[6:7], off
	global_load_dword v25, v[6:7], off offset:1024
	global_load_dword v26, v[6:7], off offset:2048
	;; [unrolled: 1-line block ×3, first 2 shown]
	s_mov_b64 s[16:17], 0
.LBB1359_187:                           ;   in Loop: Header=BB1359_185 Depth=2
	s_andn2_b64 vcc, exec, s[16:17]
	s_movk_i32 s18, 0x800
	s_cbranch_vccnz .LBB1359_198
; %bb.188:                              ;   in Loop: Header=BB1359_185 Depth=2
	s_lshl_b64 s[16:17], s[58:59], 2
	s_add_u32 s16, s66, s16
	s_addc_u32 s17, s67, s17
	v_cmp_gt_u32_e32 vcc, s20, v0
	s_and_saveexec_b64 s[18:19], vcc
	s_cbranch_execnz .LBB1359_214
; %bb.189:                              ;   in Loop: Header=BB1359_185 Depth=2
	s_or_b64 exec, exec, s[18:19]
	v_cmp_gt_u32_e32 vcc, s20, v33
	s_and_saveexec_b64 s[18:19], vcc
	s_cbranch_execnz .LBB1359_215
.LBB1359_190:                           ;   in Loop: Header=BB1359_185 Depth=2
	s_or_b64 exec, exec, s[18:19]
	v_cmp_gt_u32_e32 vcc, s20, v34
	s_and_saveexec_b64 s[18:19], vcc
	s_cbranch_execnz .LBB1359_216
.LBB1359_191:                           ;   in Loop: Header=BB1359_185 Depth=2
	s_or_b64 exec, exec, s[18:19]
	v_cmp_gt_u32_e32 vcc, s20, v35
	s_and_saveexec_b64 s[18:19], vcc
	s_cbranch_execnz .LBB1359_217
.LBB1359_192:                           ;   in Loop: Header=BB1359_185 Depth=2
	s_or_b64 exec, exec, s[18:19]
	v_cmp_gt_u32_e32 vcc, s20, v38
	s_and_saveexec_b64 s[18:19], vcc
	s_cbranch_execnz .LBB1359_218
.LBB1359_193:                           ;   in Loop: Header=BB1359_185 Depth=2
	s_or_b64 exec, exec, s[18:19]
	v_cmp_gt_u32_e32 vcc, s20, v39
	s_and_saveexec_b64 s[18:19], vcc
	s_cbranch_execnz .LBB1359_219
.LBB1359_194:                           ;   in Loop: Header=BB1359_185 Depth=2
	s_or_b64 exec, exec, s[18:19]
	v_cmp_gt_u32_e32 vcc, s20, v40
	s_and_saveexec_b64 s[18:19], vcc
	s_cbranch_execnz .LBB1359_220
.LBB1359_195:                           ;   in Loop: Header=BB1359_185 Depth=2
	s_or_b64 exec, exec, s[18:19]
	v_cmp_gt_u32_e32 vcc, s20, v41
	s_and_saveexec_b64 s[18:19], vcc
	s_cbranch_execz .LBB1359_197
.LBB1359_196:                           ;   in Loop: Header=BB1359_185 Depth=2
	global_load_dword v19, v72, s[16:17]
.LBB1359_197:                           ;   in Loop: Header=BB1359_185 Depth=2
	s_or_b64 exec, exec, s[18:19]
	s_waitcnt vmcnt(0)
	v_mov_b32_e32 v27, v19
	s_mov_b32 s18, s20
	v_mov_b32_e32 v26, v18
	v_mov_b32_e32 v25, v17
	;; [unrolled: 1-line block ×7, first 2 shown]
.LBB1359_198:                           ;   in Loop: Header=BB1359_185 Depth=2
	s_waitcnt vmcnt(0)
	v_mov_b32_e32 v12, v20
	v_mov_b32_e32 v13, v21
	;; [unrolled: 1-line block ×8, first 2 shown]
	v_cmp_gt_u32_e32 vcc, s18, v0
	s_and_saveexec_b64 s[16:17], vcc
	s_cbranch_execnz .LBB1359_206
; %bb.199:                              ;   in Loop: Header=BB1359_185 Depth=2
	s_or_b64 exec, exec, s[16:17]
	v_cmp_gt_u32_e32 vcc, s18, v33
	s_and_saveexec_b64 s[16:17], vcc
	s_cbranch_execnz .LBB1359_207
.LBB1359_200:                           ;   in Loop: Header=BB1359_185 Depth=2
	s_or_b64 exec, exec, s[16:17]
	v_cmp_gt_u32_e32 vcc, s18, v34
	s_and_saveexec_b64 s[16:17], vcc
	s_cbranch_execnz .LBB1359_208
.LBB1359_201:                           ;   in Loop: Header=BB1359_185 Depth=2
	s_or_b64 exec, exec, s[16:17]
	v_cmp_gt_u32_e32 vcc, s18, v35
	s_and_saveexec_b64 s[16:17], vcc
	s_cbranch_execnz .LBB1359_209
.LBB1359_202:                           ;   in Loop: Header=BB1359_185 Depth=2
	s_or_b64 exec, exec, s[16:17]
	v_cmp_gt_u32_e32 vcc, s18, v38
	s_and_saveexec_b64 s[16:17], vcc
	s_cbranch_execnz .LBB1359_210
.LBB1359_203:                           ;   in Loop: Header=BB1359_185 Depth=2
	s_or_b64 exec, exec, s[16:17]
	v_cmp_gt_u32_e32 vcc, s18, v39
	s_and_saveexec_b64 s[16:17], vcc
	s_cbranch_execnz .LBB1359_211
.LBB1359_204:                           ;   in Loop: Header=BB1359_185 Depth=2
	s_or_b64 exec, exec, s[16:17]
	v_cmp_gt_u32_e32 vcc, s18, v40
	s_and_saveexec_b64 s[16:17], vcc
	s_cbranch_execnz .LBB1359_212
.LBB1359_205:                           ;   in Loop: Header=BB1359_185 Depth=2
	s_or_b64 exec, exec, s[16:17]
	v_cmp_gt_u32_e32 vcc, s18, v41
	s_and_saveexec_b64 s[16:17], vcc
	s_cbranch_execz .LBB1359_184
	s_branch .LBB1359_213
.LBB1359_206:                           ;   in Loop: Header=BB1359_185 Depth=2
	v_cmp_gt_i32_e32 vcc, 0, v12
	v_cndmask_b32_e64 v4, v73, 0, vcc
	v_xor_b32_e32 v4, v4, v12
	v_cmp_ne_u32_e32 vcc, s62, v4
	v_cndmask_b32_e32 v4, v73, v4, vcc
	v_lshrrev_b32_e32 v4, s63, v4
	v_and_b32_e32 v4, s70, v4
	v_lshl_or_b32 v4, v4, 4, v42
	ds_add_u32 v4, v67
	s_or_b64 exec, exec, s[16:17]
	v_cmp_gt_u32_e32 vcc, s18, v33
	s_and_saveexec_b64 s[16:17], vcc
	s_cbranch_execz .LBB1359_200
.LBB1359_207:                           ;   in Loop: Header=BB1359_185 Depth=2
	v_cmp_gt_i32_e32 vcc, 0, v13
	v_cndmask_b32_e64 v4, v73, 0, vcc
	v_xor_b32_e32 v4, v4, v13
	v_cmp_ne_u32_e32 vcc, s62, v4
	v_cndmask_b32_e32 v4, v73, v4, vcc
	v_lshrrev_b32_e32 v4, s63, v4
	v_and_b32_e32 v4, s70, v4
	v_lshl_or_b32 v4, v4, 4, v42
	ds_add_u32 v4, v67
	s_or_b64 exec, exec, s[16:17]
	v_cmp_gt_u32_e32 vcc, s18, v34
	s_and_saveexec_b64 s[16:17], vcc
	s_cbranch_execz .LBB1359_201
.LBB1359_208:                           ;   in Loop: Header=BB1359_185 Depth=2
	v_cmp_gt_i32_e32 vcc, 0, v14
	v_cndmask_b32_e64 v4, v73, 0, vcc
	v_xor_b32_e32 v4, v4, v14
	v_cmp_ne_u32_e32 vcc, s62, v4
	v_cndmask_b32_e32 v4, v73, v4, vcc
	v_lshrrev_b32_e32 v4, s63, v4
	v_and_b32_e32 v4, s70, v4
	v_lshl_or_b32 v4, v4, 4, v42
	ds_add_u32 v4, v67
	s_or_b64 exec, exec, s[16:17]
	v_cmp_gt_u32_e32 vcc, s18, v35
	s_and_saveexec_b64 s[16:17], vcc
	s_cbranch_execz .LBB1359_202
.LBB1359_209:                           ;   in Loop: Header=BB1359_185 Depth=2
	v_cmp_gt_i32_e32 vcc, 0, v15
	v_cndmask_b32_e64 v4, v73, 0, vcc
	v_xor_b32_e32 v4, v4, v15
	v_cmp_ne_u32_e32 vcc, s62, v4
	v_cndmask_b32_e32 v4, v73, v4, vcc
	v_lshrrev_b32_e32 v4, s63, v4
	v_and_b32_e32 v4, s70, v4
	v_lshl_or_b32 v4, v4, 4, v42
	ds_add_u32 v4, v67
	s_or_b64 exec, exec, s[16:17]
	v_cmp_gt_u32_e32 vcc, s18, v38
	s_and_saveexec_b64 s[16:17], vcc
	s_cbranch_execz .LBB1359_203
.LBB1359_210:                           ;   in Loop: Header=BB1359_185 Depth=2
	v_cmp_gt_i32_e32 vcc, 0, v16
	v_cndmask_b32_e64 v4, v73, 0, vcc
	v_xor_b32_e32 v4, v4, v16
	v_cmp_ne_u32_e32 vcc, s62, v4
	v_cndmask_b32_e32 v4, v73, v4, vcc
	v_lshrrev_b32_e32 v4, s63, v4
	v_and_b32_e32 v4, s70, v4
	v_lshl_or_b32 v4, v4, 4, v42
	ds_add_u32 v4, v67
	s_or_b64 exec, exec, s[16:17]
	v_cmp_gt_u32_e32 vcc, s18, v39
	s_and_saveexec_b64 s[16:17], vcc
	s_cbranch_execz .LBB1359_204
.LBB1359_211:                           ;   in Loop: Header=BB1359_185 Depth=2
	v_cmp_gt_i32_e32 vcc, 0, v17
	v_cndmask_b32_e64 v4, v73, 0, vcc
	v_xor_b32_e32 v4, v4, v17
	v_cmp_ne_u32_e32 vcc, s62, v4
	v_cndmask_b32_e32 v4, v73, v4, vcc
	v_lshrrev_b32_e32 v4, s63, v4
	v_and_b32_e32 v4, s70, v4
	v_lshl_or_b32 v4, v4, 4, v42
	ds_add_u32 v4, v67
	s_or_b64 exec, exec, s[16:17]
	v_cmp_gt_u32_e32 vcc, s18, v40
	s_and_saveexec_b64 s[16:17], vcc
	s_cbranch_execz .LBB1359_205
.LBB1359_212:                           ;   in Loop: Header=BB1359_185 Depth=2
	v_cmp_gt_i32_e32 vcc, 0, v18
	v_cndmask_b32_e64 v4, v73, 0, vcc
	v_xor_b32_e32 v4, v4, v18
	v_cmp_ne_u32_e32 vcc, s62, v4
	v_cndmask_b32_e32 v4, v73, v4, vcc
	v_lshrrev_b32_e32 v4, s63, v4
	v_and_b32_e32 v4, s70, v4
	v_lshl_or_b32 v4, v4, 4, v42
	ds_add_u32 v4, v67
	s_or_b64 exec, exec, s[16:17]
	v_cmp_gt_u32_e32 vcc, s18, v41
	s_and_saveexec_b64 s[16:17], vcc
	s_cbranch_execz .LBB1359_184
.LBB1359_213:                           ;   in Loop: Header=BB1359_185 Depth=2
	v_cmp_gt_i32_e32 vcc, 0, v19
	v_cndmask_b32_e64 v4, v73, 0, vcc
	v_xor_b32_e32 v4, v4, v19
	v_cmp_ne_u32_e32 vcc, s62, v4
	v_cndmask_b32_e32 v4, v73, v4, vcc
	v_lshrrev_b32_e32 v4, s63, v4
	v_and_b32_e32 v4, s70, v4
	v_lshl_or_b32 v4, v4, 4, v42
	ds_add_u32 v4, v67
	s_branch .LBB1359_184
.LBB1359_214:                           ;   in Loop: Header=BB1359_185 Depth=2
	global_load_dword v12, v68, s[16:17]
	s_or_b64 exec, exec, s[18:19]
	v_cmp_gt_u32_e32 vcc, s20, v33
	s_and_saveexec_b64 s[18:19], vcc
	s_cbranch_execz .LBB1359_190
.LBB1359_215:                           ;   in Loop: Header=BB1359_185 Depth=2
	global_load_dword v13, v68, s[16:17] offset:1024
	s_or_b64 exec, exec, s[18:19]
	v_cmp_gt_u32_e32 vcc, s20, v34
	s_and_saveexec_b64 s[18:19], vcc
	s_cbranch_execz .LBB1359_191
.LBB1359_216:                           ;   in Loop: Header=BB1359_185 Depth=2
	global_load_dword v14, v68, s[16:17] offset:2048
	s_or_b64 exec, exec, s[18:19]
	v_cmp_gt_u32_e32 vcc, s20, v35
	s_and_saveexec_b64 s[18:19], vcc
	s_cbranch_execz .LBB1359_192
.LBB1359_217:                           ;   in Loop: Header=BB1359_185 Depth=2
	global_load_dword v15, v68, s[16:17] offset:3072
	s_or_b64 exec, exec, s[18:19]
	v_cmp_gt_u32_e32 vcc, s20, v38
	s_and_saveexec_b64 s[18:19], vcc
	s_cbranch_execz .LBB1359_193
.LBB1359_218:                           ;   in Loop: Header=BB1359_185 Depth=2
	global_load_dword v16, v69, s[16:17]
	s_or_b64 exec, exec, s[18:19]
	v_cmp_gt_u32_e32 vcc, s20, v39
	s_and_saveexec_b64 s[18:19], vcc
	s_cbranch_execz .LBB1359_194
.LBB1359_219:                           ;   in Loop: Header=BB1359_185 Depth=2
	global_load_dword v17, v70, s[16:17]
	s_or_b64 exec, exec, s[18:19]
	v_cmp_gt_u32_e32 vcc, s20, v40
	s_and_saveexec_b64 s[18:19], vcc
	s_cbranch_execz .LBB1359_195
.LBB1359_220:                           ;   in Loop: Header=BB1359_185 Depth=2
	global_load_dword v18, v71, s[16:17]
	s_or_b64 exec, exec, s[18:19]
	v_cmp_gt_u32_e32 vcc, s20, v41
	s_and_saveexec_b64 s[18:19], vcc
	s_cbranch_execnz .LBB1359_196
	s_branch .LBB1359_197
.LBB1359_221:                           ;   in Loop: Header=BB1359_17 Depth=1
	v_mov_b32_e32 v4, 0
	s_waitcnt lgkmcnt(0)
	s_barrier
	s_and_saveexec_b64 s[16:17], s[4:5]
	s_cbranch_execz .LBB1359_223
; %bb.222:                              ;   in Loop: Header=BB1359_17 Depth=1
	ds_read2_b64 v[4:7], v43 offset1:1
	s_waitcnt lgkmcnt(0)
	v_add_u32_e32 v4, v5, v4
	v_add3_u32 v4, v4, v6, v7
.LBB1359_223:                           ;   in Loop: Header=BB1359_17 Depth=1
	s_or_b64 exec, exec, s[16:17]
	s_nop 0
	v_mov_b32_dpp v5, v4 row_shr:1 row_mask:0xf bank_mask:0xf
	v_cmp_eq_u32_e64 s[16:17], 0, v75
	v_cndmask_b32_e64 v5, v5, 0, s[16:17]
	v_add_u32_e32 v4, v5, v4
	v_cmp_lt_u32_e64 s[18:19], 1, v75
	v_cmp_lt_u32_e64 s[20:21], 3, v75
	v_mov_b32_dpp v5, v4 row_shr:2 row_mask:0xf bank_mask:0xf
	v_cndmask_b32_e64 v5, 0, v5, s[18:19]
	v_add_u32_e32 v4, v4, v5
	v_cmp_lt_u32_e64 s[22:23], 7, v75
	v_cmp_lt_u32_e64 s[26:27], 31, v74
	v_mov_b32_dpp v5, v4 row_shr:4 row_mask:0xf bank_mask:0xf
	v_cndmask_b32_e64 v5, 0, v5, s[20:21]
	v_add_u32_e32 v4, v4, v5
	v_cmp_eq_u32_e64 s[24:25], 0, v77
	s_nop 0
	v_mov_b32_dpp v5, v4 row_shr:8 row_mask:0xf bank_mask:0xf
	v_cndmask_b32_e64 v5, 0, v5, s[22:23]
	v_add_u32_e32 v4, v4, v5
	s_nop 1
	v_mov_b32_dpp v5, v4 row_bcast:15 row_mask:0xf bank_mask:0xf
	v_and_b32_e32 v5, v76, v5
	v_add_u32_e32 v4, v4, v5
	s_nop 1
	v_mov_b32_dpp v5, v4 row_bcast:31 row_mask:0xf bank_mask:0xf
	v_cndmask_b32_e64 v5, 0, v5, s[26:27]
	v_add_u32_e32 v4, v4, v5
	s_and_saveexec_b64 s[28:29], s[6:7]
; %bb.224:                              ;   in Loop: Header=BB1359_17 Depth=1
	ds_write_b32 v45, v4
; %bb.225:                              ;   in Loop: Header=BB1359_17 Depth=1
	s_or_b64 exec, exec, s[28:29]
	s_waitcnt lgkmcnt(0)
	s_barrier
	s_and_saveexec_b64 s[28:29], s[8:9]
	s_cbranch_execz .LBB1359_227
; %bb.226:                              ;   in Loop: Header=BB1359_17 Depth=1
	ds_read_b32 v5, v46
	v_cmp_ne_u32_e32 vcc, 0, v78
	s_waitcnt lgkmcnt(0)
	v_mov_b32_dpp v6, v5 row_shr:1 row_mask:0xf bank_mask:0xf
	v_cndmask_b32_e32 v6, 0, v6, vcc
	v_add_u32_e32 v5, v6, v5
	v_cmp_lt_u32_e32 vcc, 1, v78
	s_nop 0
	v_mov_b32_dpp v6, v5 row_shr:2 row_mask:0xf bank_mask:0xf
	v_cndmask_b32_e32 v6, 0, v6, vcc
	v_add_u32_e32 v5, v5, v6
	ds_write_b32 v46, v5
.LBB1359_227:                           ;   in Loop: Header=BB1359_17 Depth=1
	s_or_b64 exec, exec, s[28:29]
	v_mov_b32_e32 v5, 0
	s_waitcnt lgkmcnt(0)
	s_barrier
	s_and_saveexec_b64 s[28:29], s[10:11]
; %bb.228:                              ;   in Loop: Header=BB1359_17 Depth=1
	ds_read_b32 v5, v47
; %bb.229:                              ;   in Loop: Header=BB1359_17 Depth=1
	s_or_b64 exec, exec, s[28:29]
	v_subrev_co_u32_e64 v6, s[28:29], 1, v74
	v_and_b32_e32 v7, 64, v74
	v_cmp_lt_i32_e32 vcc, v6, v7
	v_cndmask_b32_e32 v6, v6, v74, vcc
	s_waitcnt lgkmcnt(0)
	v_add_u32_e32 v4, v5, v4
	v_lshlrev_b32_e32 v79, 2, v6
	ds_bpermute_b32 v4, v79, v4
	s_waitcnt lgkmcnt(0)
	s_barrier
	s_and_saveexec_b64 s[30:31], s[4:5]
; %bb.230:                              ;   in Loop: Header=BB1359_17 Depth=1
	v_cndmask_b32_e64 v4, v4, v5, s[28:29]
	v_add_u32_e32 v4, s51, v4
	ds_write_b32 v32, v4
; %bb.231:                              ;   in Loop: Header=BB1359_17 Depth=1
	s_or_b64 exec, exec, s[30:31]
	s_load_dwordx2 s[30:31], s[56:57], 0x0
	v_and_b32_e32 v13, 63, v74
	v_lshlrev_b32_e32 v14, 3, v13
	v_or_b32_e32 v84, v13, v48
	v_lshlrev_b32_e32 v15, 2, v13
	s_waitcnt lgkmcnt(0)
	s_cmp_lt_u32 s33, s31
	s_cselect_b32 s31, 14, 20
	s_add_u32 s34, s56, s31
	s_addc_u32 s35, s57, 0
	s_cmp_lt_u32 s50, s30
	s_cselect_b32 s30, 12, 18
	s_add_u32 s30, s56, s30
	global_load_ushort v4, v3, s[34:35]
	s_addc_u32 s31, s57, 0
	global_load_ushort v12, v3, s[30:31]
	v_add_co_u32_e32 v87, vcc, v57, v14
	v_addc_co_u32_e32 v89, vcc, 0, v58, vcc
	v_add_co_u32_e32 v98, vcc, v59, v15
	v_cmp_eq_u32_e64 s[30:31], 0, v78
	v_cmp_lt_u32_e64 s[34:35], 1, v78
	s_mov_b32 s71, s79
	v_or_b32_e32 v91, 64, v84
	v_or_b32_e32 v92, 0x80, v84
	;; [unrolled: 1-line block ×7, first 2 shown]
	v_addc_co_u32_e32 v99, vcc, 0, v60, vcc
	s_mov_b32 s58, s51
                                        ; implicit-def: $vgpr5_vgpr6
                                        ; implicit-def: $vgpr7_vgpr8
                                        ; implicit-def: $vgpr9_vgpr10
                                        ; implicit-def: $vgpr20_vgpr21
                                        ; implicit-def: $vgpr22_vgpr23
                                        ; implicit-def: $vgpr24_vgpr25
                                        ; implicit-def: $vgpr26_vgpr27
                                        ; implicit-def: $vgpr28_vgpr29
                                        ; implicit-def: $vgpr80
                                        ; implicit-def: $vgpr81
                                        ; implicit-def: $vgpr82
                                        ; implicit-def: $vgpr83
                                        ; implicit-def: $vgpr85
                                        ; implicit-def: $vgpr86
                                        ; implicit-def: $vgpr88
                                        ; implicit-def: $vgpr90
	s_waitcnt vmcnt(1)
	v_mad_u32_u24 v4, v2, v4, v1
	s_waitcnt vmcnt(0)
	v_mad_u64_u32 v[12:13], s[36:37], v4, v12, v[0:1]
	v_lshrrev_b32_e32 v4, 4, v12
	v_and_b32_e32 v100, 0xffffffc, v4
	s_branch .LBB1359_233
.LBB1359_232:                           ;   in Loop: Header=BB1359_233 Depth=2
	s_or_b64 exec, exec, s[36:37]
	s_addk_i32 s71, 0xf800
	s_cmp_lt_u32 s76, s80
	s_mov_b32 s58, s76
	s_cbranch_scc0 .LBB1359_345
.LBB1359_233:                           ;   Parent Loop BB1359_17 Depth=1
                                        ; =>  This Inner Loop Header: Depth=2
	s_add_i32 s76, s58, 0x800
	s_cmp_gt_u32 s76, s80
	s_cbranch_scc1 .LBB1359_235
; %bb.234:                              ;   in Loop: Header=BB1359_233 Depth=2
	s_lshl_b64 s[36:37], s[58:59], 2
	v_mov_b32_e32 v4, s37
	v_add_co_u32_e32 v18, vcc, s36, v98
	v_addc_co_u32_e32 v19, vcc, v99, v4, vcc
	global_load_dword v12, v[18:19], off
	global_load_dword v13, v[18:19], off offset:256
	global_load_dword v14, v[18:19], off offset:512
	;; [unrolled: 1-line block ×5, first 2 shown]
	s_nop 0
	global_load_dword v18, v[18:19], off offset:1536
	s_mov_b64 s[36:37], -1
	s_movk_i32 s40, 0x800
	s_cbranch_execz .LBB1359_236
	s_branch .LBB1359_245
.LBB1359_235:                           ;   in Loop: Header=BB1359_233 Depth=2
	s_mov_b64 s[36:37], 0
                                        ; implicit-def: $vgpr12_vgpr13_vgpr14_vgpr15_vgpr16_vgpr17_vgpr18_vgpr19
	s_movk_i32 s40, 0x800
.LBB1359_236:                           ;   in Loop: Header=BB1359_233 Depth=2
	s_lshl_b64 s[36:37], s[58:59], 2
	v_mov_b32_e32 v4, s37
	v_add_co_u32_e32 v30, vcc, s36, v98
	s_waitcnt vmcnt(6)
	v_mov_b32_e32 v12, v11
	s_waitcnt vmcnt(5)
	v_mov_b32_e32 v13, v11
	;; [unrolled: 2-line block ×7, first 2 shown]
	v_addc_co_u32_e32 v31, vcc, v99, v4, vcc
	v_mov_b32_e32 v19, v18
	v_cmp_gt_u32_e32 vcc, s71, v84
	v_mov_b32_e32 v18, v17
	v_mov_b32_e32 v17, v16
	v_mov_b32_e32 v16, v15
	v_mov_b32_e32 v15, v14
	v_mov_b32_e32 v14, v13
	v_mov_b32_e32 v13, v12
	v_mov_b32_e32 v12, v11
	s_and_saveexec_b64 s[36:37], vcc
	s_cbranch_execnz .LBB1359_339
; %bb.237:                              ;   in Loop: Header=BB1359_233 Depth=2
	s_or_b64 exec, exec, s[36:37]
	v_cmp_gt_u32_e32 vcc, s71, v91
	s_and_saveexec_b64 s[36:37], vcc
	s_cbranch_execnz .LBB1359_340
.LBB1359_238:                           ;   in Loop: Header=BB1359_233 Depth=2
	s_or_b64 exec, exec, s[36:37]
	v_cmp_gt_u32_e32 vcc, s71, v92
	s_and_saveexec_b64 s[36:37], vcc
	s_cbranch_execnz .LBB1359_341
.LBB1359_239:                           ;   in Loop: Header=BB1359_233 Depth=2
	s_or_b64 exec, exec, s[36:37]
	v_cmp_gt_u32_e32 vcc, s71, v93
	s_and_saveexec_b64 s[36:37], vcc
	s_cbranch_execnz .LBB1359_342
.LBB1359_240:                           ;   in Loop: Header=BB1359_233 Depth=2
	s_or_b64 exec, exec, s[36:37]
	v_cmp_gt_u32_e32 vcc, s71, v94
	s_and_saveexec_b64 s[36:37], vcc
	s_cbranch_execnz .LBB1359_343
.LBB1359_241:                           ;   in Loop: Header=BB1359_233 Depth=2
	s_or_b64 exec, exec, s[36:37]
	v_cmp_gt_u32_e32 vcc, s71, v95
	s_and_saveexec_b64 s[36:37], vcc
	s_cbranch_execnz .LBB1359_344
.LBB1359_242:                           ;   in Loop: Header=BB1359_233 Depth=2
	s_or_b64 exec, exec, s[36:37]
	v_cmp_gt_u32_e32 vcc, s71, v96
	s_and_saveexec_b64 s[36:37], vcc
	s_cbranch_execz .LBB1359_244
.LBB1359_243:                           ;   in Loop: Header=BB1359_233 Depth=2
	global_load_dword v18, v[30:31], off offset:1536
.LBB1359_244:                           ;   in Loop: Header=BB1359_233 Depth=2
	s_or_b64 exec, exec, s[36:37]
	s_sub_i32 s40, s80, s58
	v_cmp_gt_u32_e64 s[36:37], s71, v97
.LBB1359_245:                           ;   in Loop: Header=BB1359_233 Depth=2
	v_mov_b32_e32 v101, s71
	s_and_saveexec_b64 s[38:39], s[36:37]
	s_cbranch_execz .LBB1359_247
; %bb.246:                              ;   in Loop: Header=BB1359_233 Depth=2
	s_lshl_b64 s[36:37], s[58:59], 2
	v_mov_b32_e32 v4, s37
	v_add_co_u32_e32 v30, vcc, s36, v98
	v_addc_co_u32_e32 v31, vcc, v99, v4, vcc
	global_load_dword v19, v[30:31], off offset:1792
	v_mov_b32_e32 v101, s40
.LBB1359_247:                           ;   in Loop: Header=BB1359_233 Depth=2
	s_or_b64 exec, exec, s[38:39]
	s_waitcnt vmcnt(0)
	v_cmp_gt_i32_e32 vcc, 0, v12
	v_cndmask_b32_e64 v4, v73, 0, vcc
	v_xor_b32_e32 v102, v4, v12
	v_cmp_ne_u32_e32 vcc, s62, v102
	v_cndmask_b32_e32 v4, v73, v102, vcc
	v_lshrrev_b32_e32 v4, s63, v4
	v_and_b32_e32 v12, s70, v4
	v_and_b32_e32 v4, 1, v12
	v_add_co_u32_e32 v30, vcc, -1, v4
	v_addc_co_u32_e64 v31, s[36:37], 0, -1, vcc
	v_cmp_ne_u32_e32 vcc, 0, v4
	v_xor_b32_e32 v4, vcc_hi, v31
	v_and_b32_e32 v31, exec_hi, v4
	v_lshlrev_b32_e32 v4, 30, v12
	v_xor_b32_e32 v30, vcc_lo, v30
	v_cmp_gt_i64_e32 vcc, 0, v[3:4]
	v_not_b32_e32 v4, v4
	v_ashrrev_i32_e32 v4, 31, v4
	v_and_b32_e32 v30, exec_lo, v30
	v_xor_b32_e32 v105, vcc_hi, v4
	v_xor_b32_e32 v4, vcc_lo, v4
	v_and_b32_e32 v30, v30, v4
	v_lshlrev_b32_e32 v4, 29, v12
	v_cmp_gt_i64_e32 vcc, 0, v[3:4]
	v_not_b32_e32 v4, v4
	v_ashrrev_i32_e32 v4, 31, v4
	v_and_b32_e32 v31, v31, v105
	v_xor_b32_e32 v105, vcc_hi, v4
	v_xor_b32_e32 v4, vcc_lo, v4
	v_and_b32_e32 v30, v30, v4
	v_lshlrev_b32_e32 v4, 28, v12
	v_cmp_gt_i64_e32 vcc, 0, v[3:4]
	v_not_b32_e32 v4, v4
	v_ashrrev_i32_e32 v4, 31, v4
	v_and_b32_e32 v31, v31, v105
	;; [unrolled: 8-line block ×5, first 2 shown]
	v_xor_b32_e32 v105, vcc_hi, v4
	v_xor_b32_e32 v4, vcc_lo, v4
	v_and_b32_e32 v30, v30, v4
	v_lshlrev_b32_e32 v4, 24, v12
	v_cmp_gt_i64_e32 vcc, 0, v[3:4]
	v_not_b32_e32 v4, v4
	v_ashrrev_i32_e32 v4, 31, v4
	v_mul_u32_u24_e32 v106, 20, v12
	v_xor_b32_e32 v12, vcc_hi, v4
	v_xor_b32_e32 v4, vcc_lo, v4
	v_and_b32_e32 v31, v31, v105
	v_and_b32_e32 v30, v30, v4
	;; [unrolled: 1-line block ×3, first 2 shown]
	v_mbcnt_lo_u32_b32 v4, v30, 0
	v_mbcnt_hi_u32_b32 v105, v31, v4
	v_cmp_ne_u64_e32 vcc, 0, v[30:31]
	v_cmp_eq_u32_e64 s[36:37], 0, v105
	v_add_u32_e32 v104, 0x410, v49
	v_add_u32_e32 v103, 0x418, v49
	s_and_b64 s[38:39], vcc, s[36:37]
	v_add_u32_e32 v106, v100, v106
	ds_write2_b32 v104, v3, v3 offset1:1
	ds_write2_b32 v103, v3, v3 offset1:1
	ds_write_b32 v49, v3 offset:1056
	s_waitcnt lgkmcnt(0)
	s_barrier
	; wave barrier
	s_and_saveexec_b64 s[36:37], s[38:39]
; %bb.248:                              ;   in Loop: Header=BB1359_233 Depth=2
	v_bcnt_u32_b32 v4, v30, 0
	v_bcnt_u32_b32 v4, v31, v4
	ds_write_b32 v106, v4 offset:1040
; %bb.249:                              ;   in Loop: Header=BB1359_233 Depth=2
	s_or_b64 exec, exec, s[36:37]
	v_cmp_gt_i32_e32 vcc, 0, v13
	v_cndmask_b32_e64 v4, v73, 0, vcc
	v_xor_b32_e32 v30, v4, v13
	v_cmp_ne_u32_e32 vcc, s62, v30
	v_cndmask_b32_e32 v4, v73, v30, vcc
	v_lshrrev_b32_e32 v4, s63, v4
	v_and_b32_e32 v12, s70, v4
	v_mad_u32_u24 v4, v12, 20, v100
	; wave barrier
	ds_read_b32 v31, v4 offset:1040
	v_and_b32_e32 v4, 1, v12
	v_add_co_u32_e32 v13, vcc, -1, v4
	v_addc_co_u32_e64 v107, s[36:37], 0, -1, vcc
	v_cmp_ne_u32_e32 vcc, 0, v4
	v_xor_b32_e32 v4, vcc_hi, v107
	v_and_b32_e32 v107, exec_hi, v4
	v_lshlrev_b32_e32 v4, 30, v12
	v_xor_b32_e32 v13, vcc_lo, v13
	v_cmp_gt_i64_e32 vcc, 0, v[3:4]
	v_not_b32_e32 v4, v4
	v_ashrrev_i32_e32 v4, 31, v4
	v_and_b32_e32 v13, exec_lo, v13
	v_xor_b32_e32 v109, vcc_hi, v4
	v_xor_b32_e32 v4, vcc_lo, v4
	v_and_b32_e32 v13, v13, v4
	v_lshlrev_b32_e32 v4, 29, v12
	v_cmp_gt_i64_e32 vcc, 0, v[3:4]
	v_not_b32_e32 v4, v4
	v_ashrrev_i32_e32 v4, 31, v4
	v_and_b32_e32 v107, v107, v109
	v_xor_b32_e32 v109, vcc_hi, v4
	v_xor_b32_e32 v4, vcc_lo, v4
	v_and_b32_e32 v13, v13, v4
	v_lshlrev_b32_e32 v4, 28, v12
	v_cmp_gt_i64_e32 vcc, 0, v[3:4]
	v_not_b32_e32 v4, v4
	v_ashrrev_i32_e32 v4, 31, v4
	v_and_b32_e32 v107, v107, v109
	;; [unrolled: 8-line block ×5, first 2 shown]
	v_xor_b32_e32 v109, vcc_hi, v4
	v_xor_b32_e32 v4, vcc_lo, v4
	v_and_b32_e32 v107, v107, v109
	v_and_b32_e32 v109, v13, v4
	v_lshlrev_b32_e32 v4, 24, v12
	v_cmp_gt_i64_e32 vcc, 0, v[3:4]
	v_not_b32_e32 v4, v4
	v_ashrrev_i32_e32 v4, 31, v4
	v_mul_u32_u24_e32 v108, 20, v12
	v_xor_b32_e32 v12, vcc_hi, v4
	v_xor_b32_e32 v4, vcc_lo, v4
	v_and_b32_e32 v13, v107, v12
	v_and_b32_e32 v12, v109, v4
	v_mbcnt_lo_u32_b32 v4, v12, 0
	v_mbcnt_hi_u32_b32 v107, v13, v4
	v_cmp_ne_u64_e32 vcc, 0, v[12:13]
	v_cmp_eq_u32_e64 s[36:37], 0, v107
	s_and_b64 s[38:39], vcc, s[36:37]
	v_add_u32_e32 v110, v100, v108
	; wave barrier
	s_and_saveexec_b64 s[36:37], s[38:39]
	s_cbranch_execz .LBB1359_251
; %bb.250:                              ;   in Loop: Header=BB1359_233 Depth=2
	v_bcnt_u32_b32 v4, v12, 0
	v_bcnt_u32_b32 v4, v13, v4
	s_waitcnt lgkmcnt(0)
	v_add_u32_e32 v4, v31, v4
	ds_write_b32 v110, v4 offset:1040
.LBB1359_251:                           ;   in Loop: Header=BB1359_233 Depth=2
	s_or_b64 exec, exec, s[36:37]
	v_cmp_gt_i32_e32 vcc, 0, v14
	v_cndmask_b32_e64 v4, v73, 0, vcc
	v_xor_b32_e32 v108, v4, v14
	v_cmp_ne_u32_e32 vcc, s62, v108
	v_cndmask_b32_e32 v4, v73, v108, vcc
	v_lshrrev_b32_e32 v4, s63, v4
	v_and_b32_e32 v12, s70, v4
	v_mad_u32_u24 v4, v12, 20, v100
	; wave barrier
	ds_read_b32 v109, v4 offset:1040
	v_and_b32_e32 v4, 1, v12
	v_add_co_u32_e32 v13, vcc, -1, v4
	v_addc_co_u32_e64 v111, s[36:37], 0, -1, vcc
	v_cmp_ne_u32_e32 vcc, 0, v4
	v_xor_b32_e32 v4, vcc_hi, v111
	v_and_b32_e32 v111, exec_hi, v4
	v_lshlrev_b32_e32 v4, 30, v12
	v_xor_b32_e32 v13, vcc_lo, v13
	v_cmp_gt_i64_e32 vcc, 0, v[3:4]
	v_not_b32_e32 v4, v4
	v_ashrrev_i32_e32 v4, 31, v4
	v_and_b32_e32 v13, exec_lo, v13
	v_xor_b32_e32 v112, vcc_hi, v4
	v_xor_b32_e32 v4, vcc_lo, v4
	v_and_b32_e32 v13, v13, v4
	v_lshlrev_b32_e32 v4, 29, v12
	v_cmp_gt_i64_e32 vcc, 0, v[3:4]
	v_not_b32_e32 v4, v4
	v_ashrrev_i32_e32 v4, 31, v4
	v_and_b32_e32 v111, v111, v112
	v_xor_b32_e32 v112, vcc_hi, v4
	v_xor_b32_e32 v4, vcc_lo, v4
	v_and_b32_e32 v13, v13, v4
	v_lshlrev_b32_e32 v4, 28, v12
	v_cmp_gt_i64_e32 vcc, 0, v[3:4]
	v_not_b32_e32 v4, v4
	v_ashrrev_i32_e32 v4, 31, v4
	v_and_b32_e32 v111, v111, v112
	;; [unrolled: 8-line block ×5, first 2 shown]
	v_xor_b32_e32 v112, vcc_hi, v4
	v_xor_b32_e32 v4, vcc_lo, v4
	v_and_b32_e32 v111, v111, v112
	v_and_b32_e32 v112, v13, v4
	v_lshlrev_b32_e32 v4, 24, v12
	v_cmp_gt_i64_e32 vcc, 0, v[3:4]
	v_not_b32_e32 v4, v4
	v_ashrrev_i32_e32 v4, 31, v4
	v_mul_u32_u24_e32 v14, 20, v12
	v_xor_b32_e32 v12, vcc_hi, v4
	v_xor_b32_e32 v4, vcc_lo, v4
	v_and_b32_e32 v13, v111, v12
	v_and_b32_e32 v12, v112, v4
	v_mbcnt_lo_u32_b32 v4, v12, 0
	v_mbcnt_hi_u32_b32 v111, v13, v4
	v_cmp_ne_u64_e32 vcc, 0, v[12:13]
	v_cmp_eq_u32_e64 s[36:37], 0, v111
	s_and_b64 s[38:39], vcc, s[36:37]
	v_add_u32_e32 v114, v100, v14
	; wave barrier
	s_and_saveexec_b64 s[36:37], s[38:39]
	s_cbranch_execz .LBB1359_253
; %bb.252:                              ;   in Loop: Header=BB1359_233 Depth=2
	v_bcnt_u32_b32 v4, v12, 0
	v_bcnt_u32_b32 v4, v13, v4
	s_waitcnt lgkmcnt(0)
	v_add_u32_e32 v4, v109, v4
	ds_write_b32 v114, v4 offset:1040
.LBB1359_253:                           ;   in Loop: Header=BB1359_233 Depth=2
	s_or_b64 exec, exec, s[36:37]
	v_cmp_gt_i32_e32 vcc, 0, v15
	v_cndmask_b32_e64 v4, v73, 0, vcc
	v_xor_b32_e32 v112, v4, v15
	v_cmp_ne_u32_e32 vcc, s62, v112
	v_cndmask_b32_e32 v4, v73, v112, vcc
	v_lshrrev_b32_e32 v4, s63, v4
	v_and_b32_e32 v12, s70, v4
	v_mad_u32_u24 v4, v12, 20, v100
	; wave barrier
	ds_read_b32 v113, v4 offset:1040
	v_and_b32_e32 v4, 1, v12
	v_add_co_u32_e32 v13, vcc, -1, v4
	v_addc_co_u32_e64 v15, s[36:37], 0, -1, vcc
	v_cmp_ne_u32_e32 vcc, 0, v4
	v_xor_b32_e32 v4, vcc_hi, v15
	v_and_b32_e32 v15, exec_hi, v4
	v_lshlrev_b32_e32 v4, 30, v12
	v_xor_b32_e32 v13, vcc_lo, v13
	v_cmp_gt_i64_e32 vcc, 0, v[3:4]
	v_not_b32_e32 v4, v4
	v_ashrrev_i32_e32 v4, 31, v4
	v_and_b32_e32 v13, exec_lo, v13
	v_xor_b32_e32 v115, vcc_hi, v4
	v_xor_b32_e32 v4, vcc_lo, v4
	v_and_b32_e32 v13, v13, v4
	v_lshlrev_b32_e32 v4, 29, v12
	v_cmp_gt_i64_e32 vcc, 0, v[3:4]
	v_not_b32_e32 v4, v4
	v_ashrrev_i32_e32 v4, 31, v4
	v_and_b32_e32 v15, v15, v115
	v_xor_b32_e32 v115, vcc_hi, v4
	v_xor_b32_e32 v4, vcc_lo, v4
	v_and_b32_e32 v13, v13, v4
	v_lshlrev_b32_e32 v4, 28, v12
	v_cmp_gt_i64_e32 vcc, 0, v[3:4]
	v_not_b32_e32 v4, v4
	v_ashrrev_i32_e32 v4, 31, v4
	v_and_b32_e32 v15, v15, v115
	;; [unrolled: 8-line block ×5, first 2 shown]
	v_xor_b32_e32 v115, vcc_hi, v4
	v_xor_b32_e32 v4, vcc_lo, v4
	v_and_b32_e32 v15, v15, v115
	v_and_b32_e32 v115, v13, v4
	v_lshlrev_b32_e32 v4, 24, v12
	v_cmp_gt_i64_e32 vcc, 0, v[3:4]
	v_not_b32_e32 v4, v4
	v_ashrrev_i32_e32 v4, 31, v4
	v_mul_u32_u24_e32 v14, 20, v12
	v_xor_b32_e32 v12, vcc_hi, v4
	v_xor_b32_e32 v4, vcc_lo, v4
	v_and_b32_e32 v13, v15, v12
	v_and_b32_e32 v12, v115, v4
	v_mbcnt_lo_u32_b32 v4, v12, 0
	v_mbcnt_hi_u32_b32 v115, v13, v4
	v_cmp_ne_u64_e32 vcc, 0, v[12:13]
	v_cmp_eq_u32_e64 s[36:37], 0, v115
	s_and_b64 s[38:39], vcc, s[36:37]
	v_add_u32_e32 v117, v100, v14
	; wave barrier
	s_and_saveexec_b64 s[36:37], s[38:39]
	s_cbranch_execz .LBB1359_255
; %bb.254:                              ;   in Loop: Header=BB1359_233 Depth=2
	v_bcnt_u32_b32 v4, v12, 0
	v_bcnt_u32_b32 v4, v13, v4
	s_waitcnt lgkmcnt(0)
	v_add_u32_e32 v4, v113, v4
	ds_write_b32 v117, v4 offset:1040
.LBB1359_255:                           ;   in Loop: Header=BB1359_233 Depth=2
	s_or_b64 exec, exec, s[36:37]
	v_cmp_gt_i32_e32 vcc, 0, v16
	v_cndmask_b32_e64 v4, v73, 0, vcc
	v_xor_b32_e32 v116, v4, v16
	v_cmp_ne_u32_e32 vcc, s62, v116
	v_cndmask_b32_e32 v4, v73, v116, vcc
	v_lshrrev_b32_e32 v4, s63, v4
	v_and_b32_e32 v12, s70, v4
	v_mad_u32_u24 v4, v12, 20, v100
	; wave barrier
	ds_read_b32 v16, v4 offset:1040
	v_and_b32_e32 v4, 1, v12
	v_add_co_u32_e32 v13, vcc, -1, v4
	v_addc_co_u32_e64 v15, s[36:37], 0, -1, vcc
	v_cmp_ne_u32_e32 vcc, 0, v4
	v_xor_b32_e32 v4, vcc_hi, v15
	v_and_b32_e32 v15, exec_hi, v4
	v_lshlrev_b32_e32 v4, 30, v12
	v_xor_b32_e32 v13, vcc_lo, v13
	v_cmp_gt_i64_e32 vcc, 0, v[3:4]
	v_not_b32_e32 v4, v4
	v_ashrrev_i32_e32 v4, 31, v4
	v_and_b32_e32 v13, exec_lo, v13
	v_xor_b32_e32 v118, vcc_hi, v4
	v_xor_b32_e32 v4, vcc_lo, v4
	v_and_b32_e32 v13, v13, v4
	v_lshlrev_b32_e32 v4, 29, v12
	v_cmp_gt_i64_e32 vcc, 0, v[3:4]
	v_not_b32_e32 v4, v4
	v_ashrrev_i32_e32 v4, 31, v4
	v_and_b32_e32 v15, v15, v118
	v_xor_b32_e32 v118, vcc_hi, v4
	v_xor_b32_e32 v4, vcc_lo, v4
	v_and_b32_e32 v13, v13, v4
	v_lshlrev_b32_e32 v4, 28, v12
	v_cmp_gt_i64_e32 vcc, 0, v[3:4]
	v_not_b32_e32 v4, v4
	v_ashrrev_i32_e32 v4, 31, v4
	v_and_b32_e32 v15, v15, v118
	;; [unrolled: 8-line block ×5, first 2 shown]
	v_xor_b32_e32 v118, vcc_hi, v4
	v_xor_b32_e32 v4, vcc_lo, v4
	v_and_b32_e32 v15, v15, v118
	v_and_b32_e32 v118, v13, v4
	v_lshlrev_b32_e32 v4, 24, v12
	v_cmp_gt_i64_e32 vcc, 0, v[3:4]
	v_not_b32_e32 v4, v4
	v_ashrrev_i32_e32 v4, 31, v4
	v_mul_u32_u24_e32 v14, 20, v12
	v_xor_b32_e32 v12, vcc_hi, v4
	v_xor_b32_e32 v4, vcc_lo, v4
	v_and_b32_e32 v13, v15, v12
	v_and_b32_e32 v12, v118, v4
	v_mbcnt_lo_u32_b32 v4, v12, 0
	v_mbcnt_hi_u32_b32 v118, v13, v4
	v_cmp_ne_u64_e32 vcc, 0, v[12:13]
	v_cmp_eq_u32_e64 s[36:37], 0, v118
	s_and_b64 s[38:39], vcc, s[36:37]
	v_add_u32_e32 v121, v100, v14
	; wave barrier
	s_and_saveexec_b64 s[36:37], s[38:39]
	s_cbranch_execz .LBB1359_257
; %bb.256:                              ;   in Loop: Header=BB1359_233 Depth=2
	v_bcnt_u32_b32 v4, v12, 0
	v_bcnt_u32_b32 v4, v13, v4
	s_waitcnt lgkmcnt(0)
	v_add_u32_e32 v4, v16, v4
	ds_write_b32 v121, v4 offset:1040
.LBB1359_257:                           ;   in Loop: Header=BB1359_233 Depth=2
	s_or_b64 exec, exec, s[36:37]
	v_cmp_gt_i32_e32 vcc, 0, v17
	v_cndmask_b32_e64 v4, v73, 0, vcc
	v_xor_b32_e32 v119, v4, v17
	v_cmp_ne_u32_e32 vcc, s62, v119
	v_cndmask_b32_e32 v4, v73, v119, vcc
	v_lshrrev_b32_e32 v4, s63, v4
	v_and_b32_e32 v12, s70, v4
	v_mad_u32_u24 v4, v12, 20, v100
	; wave barrier
	ds_read_b32 v120, v4 offset:1040
	v_and_b32_e32 v4, 1, v12
	v_add_co_u32_e32 v13, vcc, -1, v4
	v_addc_co_u32_e64 v15, s[36:37], 0, -1, vcc
	v_cmp_ne_u32_e32 vcc, 0, v4
	v_xor_b32_e32 v4, vcc_hi, v15
	v_and_b32_e32 v15, exec_hi, v4
	v_lshlrev_b32_e32 v4, 30, v12
	v_xor_b32_e32 v13, vcc_lo, v13
	v_cmp_gt_i64_e32 vcc, 0, v[3:4]
	v_not_b32_e32 v4, v4
	v_ashrrev_i32_e32 v4, 31, v4
	v_and_b32_e32 v13, exec_lo, v13
	v_xor_b32_e32 v17, vcc_hi, v4
	v_xor_b32_e32 v4, vcc_lo, v4
	v_and_b32_e32 v13, v13, v4
	v_lshlrev_b32_e32 v4, 29, v12
	v_cmp_gt_i64_e32 vcc, 0, v[3:4]
	v_not_b32_e32 v4, v4
	v_ashrrev_i32_e32 v4, 31, v4
	v_and_b32_e32 v15, v15, v17
	v_xor_b32_e32 v17, vcc_hi, v4
	v_xor_b32_e32 v4, vcc_lo, v4
	v_and_b32_e32 v13, v13, v4
	v_lshlrev_b32_e32 v4, 28, v12
	v_cmp_gt_i64_e32 vcc, 0, v[3:4]
	v_not_b32_e32 v4, v4
	v_ashrrev_i32_e32 v4, 31, v4
	v_and_b32_e32 v15, v15, v17
	;; [unrolled: 8-line block ×5, first 2 shown]
	v_xor_b32_e32 v17, vcc_hi, v4
	v_xor_b32_e32 v4, vcc_lo, v4
	v_and_b32_e32 v15, v15, v17
	v_and_b32_e32 v17, v13, v4
	v_lshlrev_b32_e32 v4, 24, v12
	v_cmp_gt_i64_e32 vcc, 0, v[3:4]
	v_not_b32_e32 v4, v4
	v_ashrrev_i32_e32 v4, 31, v4
	v_mul_u32_u24_e32 v14, 20, v12
	v_xor_b32_e32 v12, vcc_hi, v4
	v_xor_b32_e32 v4, vcc_lo, v4
	v_and_b32_e32 v13, v15, v12
	v_and_b32_e32 v12, v17, v4
	v_mbcnt_lo_u32_b32 v4, v12, 0
	v_mbcnt_hi_u32_b32 v122, v13, v4
	v_cmp_ne_u64_e32 vcc, 0, v[12:13]
	v_cmp_eq_u32_e64 s[36:37], 0, v122
	s_and_b64 s[38:39], vcc, s[36:37]
	v_add_u32_e32 v17, v100, v14
	; wave barrier
	s_and_saveexec_b64 s[36:37], s[38:39]
	s_cbranch_execz .LBB1359_259
; %bb.258:                              ;   in Loop: Header=BB1359_233 Depth=2
	v_bcnt_u32_b32 v4, v12, 0
	v_bcnt_u32_b32 v4, v13, v4
	s_waitcnt lgkmcnt(0)
	v_add_u32_e32 v4, v120, v4
	ds_write_b32 v17, v4 offset:1040
.LBB1359_259:                           ;   in Loop: Header=BB1359_233 Depth=2
	s_or_b64 exec, exec, s[36:37]
	v_cmp_gt_i32_e32 vcc, 0, v18
	v_cndmask_b32_e64 v4, v73, 0, vcc
	v_xor_b32_e32 v123, v4, v18
	v_cmp_ne_u32_e32 vcc, s62, v123
	v_cndmask_b32_e32 v4, v73, v123, vcc
	v_lshrrev_b32_e32 v4, s63, v4
	v_and_b32_e32 v12, s70, v4
	v_mad_u32_u24 v4, v12, 20, v100
	; wave barrier
	ds_read_b32 v124, v4 offset:1040
	v_and_b32_e32 v4, 1, v12
	v_add_co_u32_e32 v13, vcc, -1, v4
	v_addc_co_u32_e64 v15, s[36:37], 0, -1, vcc
	v_cmp_ne_u32_e32 vcc, 0, v4
	v_xor_b32_e32 v4, vcc_hi, v15
	v_and_b32_e32 v15, exec_hi, v4
	v_lshlrev_b32_e32 v4, 30, v12
	v_xor_b32_e32 v13, vcc_lo, v13
	v_cmp_gt_i64_e32 vcc, 0, v[3:4]
	v_not_b32_e32 v4, v4
	v_ashrrev_i32_e32 v4, 31, v4
	v_and_b32_e32 v13, exec_lo, v13
	v_xor_b32_e32 v18, vcc_hi, v4
	v_xor_b32_e32 v4, vcc_lo, v4
	v_and_b32_e32 v13, v13, v4
	v_lshlrev_b32_e32 v4, 29, v12
	v_cmp_gt_i64_e32 vcc, 0, v[3:4]
	v_not_b32_e32 v4, v4
	v_ashrrev_i32_e32 v4, 31, v4
	v_and_b32_e32 v15, v15, v18
	v_xor_b32_e32 v18, vcc_hi, v4
	v_xor_b32_e32 v4, vcc_lo, v4
	v_and_b32_e32 v13, v13, v4
	v_lshlrev_b32_e32 v4, 28, v12
	v_cmp_gt_i64_e32 vcc, 0, v[3:4]
	v_not_b32_e32 v4, v4
	v_ashrrev_i32_e32 v4, 31, v4
	v_and_b32_e32 v15, v15, v18
	;; [unrolled: 8-line block ×5, first 2 shown]
	v_xor_b32_e32 v18, vcc_hi, v4
	v_xor_b32_e32 v4, vcc_lo, v4
	v_and_b32_e32 v15, v15, v18
	v_and_b32_e32 v18, v13, v4
	v_lshlrev_b32_e32 v4, 24, v12
	v_cmp_gt_i64_e32 vcc, 0, v[3:4]
	v_not_b32_e32 v4, v4
	v_ashrrev_i32_e32 v4, 31, v4
	v_mul_u32_u24_e32 v14, 20, v12
	v_xor_b32_e32 v12, vcc_hi, v4
	v_xor_b32_e32 v4, vcc_lo, v4
	v_and_b32_e32 v13, v15, v12
	v_and_b32_e32 v12, v18, v4
	v_mbcnt_lo_u32_b32 v4, v12, 0
	v_mbcnt_hi_u32_b32 v125, v13, v4
	v_cmp_ne_u64_e32 vcc, 0, v[12:13]
	v_cmp_eq_u32_e64 s[36:37], 0, v125
	s_and_b64 s[38:39], vcc, s[36:37]
	v_add_u32_e32 v18, v100, v14
	; wave barrier
	s_and_saveexec_b64 s[36:37], s[38:39]
	s_cbranch_execz .LBB1359_261
; %bb.260:                              ;   in Loop: Header=BB1359_233 Depth=2
	v_bcnt_u32_b32 v4, v12, 0
	v_bcnt_u32_b32 v4, v13, v4
	s_waitcnt lgkmcnt(0)
	v_add_u32_e32 v4, v124, v4
	ds_write_b32 v18, v4 offset:1040
.LBB1359_261:                           ;   in Loop: Header=BB1359_233 Depth=2
	s_or_b64 exec, exec, s[36:37]
	v_cmp_gt_i32_e32 vcc, 0, v19
	v_cndmask_b32_e64 v4, v73, 0, vcc
	v_xor_b32_e32 v126, v4, v19
	v_cmp_ne_u32_e32 vcc, s62, v126
	v_cndmask_b32_e32 v4, v73, v126, vcc
	v_lshrrev_b32_e32 v4, s63, v4
	v_and_b32_e32 v12, s70, v4
	v_mad_u32_u24 v4, v12, 20, v100
	; wave barrier
	ds_read_b32 v127, v4 offset:1040
	v_and_b32_e32 v4, 1, v12
	v_add_co_u32_e32 v13, vcc, -1, v4
	v_addc_co_u32_e64 v15, s[36:37], 0, -1, vcc
	v_cmp_ne_u32_e32 vcc, 0, v4
	v_xor_b32_e32 v4, vcc_hi, v15
	v_and_b32_e32 v15, exec_hi, v4
	v_lshlrev_b32_e32 v4, 30, v12
	v_xor_b32_e32 v13, vcc_lo, v13
	v_cmp_gt_i64_e32 vcc, 0, v[3:4]
	v_not_b32_e32 v4, v4
	v_ashrrev_i32_e32 v4, 31, v4
	v_and_b32_e32 v13, exec_lo, v13
	v_xor_b32_e32 v19, vcc_hi, v4
	v_xor_b32_e32 v4, vcc_lo, v4
	v_and_b32_e32 v13, v13, v4
	v_lshlrev_b32_e32 v4, 29, v12
	v_cmp_gt_i64_e32 vcc, 0, v[3:4]
	v_not_b32_e32 v4, v4
	v_ashrrev_i32_e32 v4, 31, v4
	v_and_b32_e32 v15, v15, v19
	v_xor_b32_e32 v19, vcc_hi, v4
	v_xor_b32_e32 v4, vcc_lo, v4
	v_and_b32_e32 v13, v13, v4
	v_lshlrev_b32_e32 v4, 28, v12
	v_cmp_gt_i64_e32 vcc, 0, v[3:4]
	v_not_b32_e32 v4, v4
	v_ashrrev_i32_e32 v4, 31, v4
	v_and_b32_e32 v15, v15, v19
	v_xor_b32_e32 v19, vcc_hi, v4
	v_xor_b32_e32 v4, vcc_lo, v4
	v_and_b32_e32 v13, v13, v4
	v_lshlrev_b32_e32 v4, 27, v12
	v_cmp_gt_i64_e32 vcc, 0, v[3:4]
	v_not_b32_e32 v4, v4
	v_ashrrev_i32_e32 v4, 31, v4
	v_and_b32_e32 v15, v15, v19
	v_xor_b32_e32 v19, vcc_hi, v4
	v_xor_b32_e32 v4, vcc_lo, v4
	v_and_b32_e32 v13, v13, v4
	v_lshlrev_b32_e32 v4, 26, v12
	v_cmp_gt_i64_e32 vcc, 0, v[3:4]
	v_not_b32_e32 v4, v4
	v_ashrrev_i32_e32 v4, 31, v4
	v_and_b32_e32 v15, v15, v19
	v_xor_b32_e32 v19, vcc_hi, v4
	v_xor_b32_e32 v4, vcc_lo, v4
	v_and_b32_e32 v13, v13, v4
	v_lshlrev_b32_e32 v4, 25, v12
	v_cmp_gt_i64_e32 vcc, 0, v[3:4]
	v_not_b32_e32 v4, v4
	v_ashrrev_i32_e32 v4, 31, v4
	v_and_b32_e32 v15, v15, v19
	v_xor_b32_e32 v19, vcc_hi, v4
	v_xor_b32_e32 v4, vcc_lo, v4
	v_and_b32_e32 v15, v15, v19
	v_and_b32_e32 v19, v13, v4
	v_lshlrev_b32_e32 v4, 24, v12
	v_cmp_gt_i64_e32 vcc, 0, v[3:4]
	v_not_b32_e32 v4, v4
	v_ashrrev_i32_e32 v4, 31, v4
	v_mul_u32_u24_e32 v14, 20, v12
	v_xor_b32_e32 v12, vcc_hi, v4
	v_xor_b32_e32 v4, vcc_lo, v4
	v_and_b32_e32 v13, v15, v12
	v_and_b32_e32 v12, v19, v4
	v_mbcnt_lo_u32_b32 v4, v12, 0
	v_mbcnt_hi_u32_b32 v128, v13, v4
	v_cmp_ne_u64_e32 vcc, 0, v[12:13]
	v_cmp_eq_u32_e64 s[36:37], 0, v128
	s_and_b64 s[38:39], vcc, s[36:37]
	v_add_u32_e32 v4, v100, v14
	; wave barrier
	s_and_saveexec_b64 s[36:37], s[38:39]
	s_cbranch_execz .LBB1359_263
; %bb.262:                              ;   in Loop: Header=BB1359_233 Depth=2
	v_bcnt_u32_b32 v12, v12, 0
	v_bcnt_u32_b32 v12, v13, v12
	s_waitcnt lgkmcnt(0)
	v_add_u32_e32 v12, v127, v12
	ds_write_b32 v4, v12 offset:1040
.LBB1359_263:                           ;   in Loop: Header=BB1359_233 Depth=2
	s_or_b64 exec, exec, s[36:37]
	; wave barrier
	s_waitcnt lgkmcnt(0)
	s_barrier
	ds_read2_b32 v[14:15], v104 offset1:1
	ds_read2_b32 v[12:13], v103 offset1:1
	ds_read_b32 v19, v49 offset:1056
	s_waitcnt lgkmcnt(1)
	v_add3_u32 v129, v15, v14, v12
	s_waitcnt lgkmcnt(0)
	v_add3_u32 v19, v129, v13, v19
	s_nop 1
	v_mov_b32_dpp v129, v19 row_shr:1 row_mask:0xf bank_mask:0xf
	v_cndmask_b32_e64 v129, v129, 0, s[16:17]
	v_add_u32_e32 v19, v129, v19
	s_nop 1
	v_mov_b32_dpp v129, v19 row_shr:2 row_mask:0xf bank_mask:0xf
	v_cndmask_b32_e64 v129, 0, v129, s[18:19]
	v_add_u32_e32 v19, v19, v129
	;; [unrolled: 4-line block ×4, first 2 shown]
	s_nop 1
	v_mov_b32_dpp v129, v19 row_bcast:15 row_mask:0xf bank_mask:0xf
	v_cndmask_b32_e64 v129, v129, 0, s[24:25]
	v_add_u32_e32 v19, v19, v129
	s_nop 1
	v_mov_b32_dpp v129, v19 row_bcast:31 row_mask:0xf bank_mask:0xf
	v_cndmask_b32_e64 v129, 0, v129, s[26:27]
	v_add_u32_e32 v19, v19, v129
	s_and_saveexec_b64 s[36:37], s[6:7]
; %bb.264:                              ;   in Loop: Header=BB1359_233 Depth=2
	ds_write_b32 v44, v19 offset:1024
; %bb.265:                              ;   in Loop: Header=BB1359_233 Depth=2
	s_or_b64 exec, exec, s[36:37]
	s_waitcnt lgkmcnt(0)
	s_barrier
	s_and_saveexec_b64 s[36:37], s[8:9]
	s_cbranch_execz .LBB1359_267
; %bb.266:                              ;   in Loop: Header=BB1359_233 Depth=2
	ds_read_b32 v129, v50 offset:1024
	s_waitcnt lgkmcnt(0)
	s_nop 0
	v_mov_b32_dpp v130, v129 row_shr:1 row_mask:0xf bank_mask:0xf
	v_cndmask_b32_e64 v130, v130, 0, s[30:31]
	v_add_u32_e32 v129, v130, v129
	s_nop 1
	v_mov_b32_dpp v130, v129 row_shr:2 row_mask:0xf bank_mask:0xf
	v_cndmask_b32_e64 v130, 0, v130, s[34:35]
	v_add_u32_e32 v129, v129, v130
	ds_write_b32 v50, v129 offset:1024
.LBB1359_267:                           ;   in Loop: Header=BB1359_233 Depth=2
	s_or_b64 exec, exec, s[36:37]
	v_mov_b32_e32 v129, 0
	s_waitcnt lgkmcnt(0)
	s_barrier
	s_and_saveexec_b64 s[36:37], s[10:11]
; %bb.268:                              ;   in Loop: Header=BB1359_233 Depth=2
	ds_read_b32 v129, v44 offset:1020
; %bb.269:                              ;   in Loop: Header=BB1359_233 Depth=2
	s_or_b64 exec, exec, s[36:37]
	s_waitcnt lgkmcnt(0)
	v_add_u32_e32 v19, v129, v19
	ds_bpermute_b32 v19, v79, v19
	s_waitcnt lgkmcnt(0)
	v_cndmask_b32_e64 v19, v19, v129, s[28:29]
	v_cndmask_b32_e64 v19, v19, 0, s[12:13]
	v_add_u32_e32 v14, v19, v14
	v_add_u32_e32 v15, v14, v15
	;; [unrolled: 1-line block ×4, first 2 shown]
	ds_write2_b32 v104, v19, v14 offset1:1
	ds_write2_b32 v103, v15, v12 offset1:1
	ds_write_b32 v49, v13 offset:1056
	s_waitcnt lgkmcnt(0)
	s_barrier
	ds_read_b32 v12, v106 offset:1040
	ds_read_b32 v13, v110 offset:1040
	;; [unrolled: 1-line block ×9, first 2 shown]
	v_mov_b32_e32 v4, 0x800
	s_and_saveexec_b64 s[36:37], s[14:15]
; %bb.270:                              ;   in Loop: Header=BB1359_233 Depth=2
	ds_read_b32 v4, v49 offset:1060
; %bb.271:                              ;   in Loop: Header=BB1359_233 Depth=2
	s_or_b64 exec, exec, s[36:37]
	s_waitcnt lgkmcnt(0)
	s_barrier
	s_and_saveexec_b64 s[36:37], s[4:5]
	s_cbranch_execz .LBB1359_273
; %bb.272:                              ;   in Loop: Header=BB1359_233 Depth=2
	ds_read_b32 v18, v32
	s_waitcnt lgkmcnt(0)
	v_sub_u32_e32 v17, v18, v17
	ds_write_b32 v32, v17
.LBB1359_273:                           ;   in Loop: Header=BB1359_233 Depth=2
	s_or_b64 exec, exec, s[36:37]
	v_add_u32_e32 v103, v12, v105
	v_add3_u32 v31, v107, v31, v13
	v_lshlrev_b32_e32 v12, 2, v103
	v_add3_u32 v19, v111, v109, v14
	ds_write_b32 v12, v102 offset:1024
	v_lshlrev_b32_e32 v12, 2, v31
	v_add3_u32 v18, v115, v113, v15
	ds_write_b32 v12, v30 offset:1024
	;; [unrolled: 3-line block ×6, first 2 shown]
	v_lshlrev_b32_e32 v12, 2, v15
	ds_write_b32 v12, v123 offset:1024
	v_lshlrev_b32_e32 v12, 2, v14
	v_cmp_lt_u32_e32 vcc, v0, v101
	ds_write_b32 v12, v126 offset:1024
	s_waitcnt lgkmcnt(0)
	s_barrier
	s_and_saveexec_b64 s[38:39], vcc
	s_cbranch_execnz .LBB1359_310
; %bb.274:                              ;   in Loop: Header=BB1359_233 Depth=2
	s_or_b64 exec, exec, s[38:39]
	v_cmp_lt_u32_e64 s[36:37], v33, v101
	s_and_saveexec_b64 s[40:41], s[36:37]
	s_cbranch_execnz .LBB1359_311
.LBB1359_275:                           ;   in Loop: Header=BB1359_233 Depth=2
	s_or_b64 exec, exec, s[40:41]
	v_cmp_lt_u32_e64 s[38:39], v34, v101
	s_and_saveexec_b64 s[42:43], s[38:39]
	s_cbranch_execnz .LBB1359_312
.LBB1359_276:                           ;   in Loop: Header=BB1359_233 Depth=2
	s_or_b64 exec, exec, s[42:43]
	v_cmp_lt_u32_e64 s[40:41], v35, v101
	s_and_saveexec_b64 s[44:45], s[40:41]
	s_cbranch_execnz .LBB1359_313
.LBB1359_277:                           ;   in Loop: Header=BB1359_233 Depth=2
	s_or_b64 exec, exec, s[44:45]
	v_cmp_lt_u32_e64 s[42:43], v38, v101
	s_and_saveexec_b64 s[46:47], s[42:43]
	s_cbranch_execnz .LBB1359_314
.LBB1359_278:                           ;   in Loop: Header=BB1359_233 Depth=2
	s_or_b64 exec, exec, s[46:47]
	v_cmp_lt_u32_e64 s[44:45], v39, v101
	s_and_saveexec_b64 s[48:49], s[44:45]
	s_cbranch_execnz .LBB1359_315
.LBB1359_279:                           ;   in Loop: Header=BB1359_233 Depth=2
	s_or_b64 exec, exec, s[48:49]
	v_cmp_lt_u32_e64 s[46:47], v40, v101
	s_and_saveexec_b64 s[52:53], s[46:47]
	s_cbranch_execnz .LBB1359_316
.LBB1359_280:                           ;   in Loop: Header=BB1359_233 Depth=2
	s_or_b64 exec, exec, s[52:53]
	v_cmp_lt_u32_e64 s[48:49], v41, v101
	s_and_saveexec_b64 s[60:61], s[48:49]
	s_cbranch_execz .LBB1359_282
.LBB1359_281:                           ;   in Loop: Header=BB1359_233 Depth=2
	ds_read_b32 v12, v50 offset:8192
	v_mov_b32_e32 v13, v3
	v_mov_b32_e32 v102, s69
	s_waitcnt lgkmcnt(0)
	v_cmp_ne_u32_e64 s[52:53], s62, v12
	v_cndmask_b32_e64 v30, v73, v12, s[52:53]
	v_lshrrev_b32_e32 v30, s63, v30
	v_and_b32_e32 v30, s70, v30
	v_lshlrev_b32_e32 v30, 2, v30
	ds_read_b32 v30, v30
	v_cmp_gt_i32_e64 s[52:53], 0, v12
	v_cndmask_b32_e64 v104, v73, 0, s[52:53]
	v_xor_b32_e32 v104, v104, v12
	s_waitcnt lgkmcnt(0)
	v_add_u32_e32 v12, v30, v41
	v_lshlrev_b64 v[12:13], 2, v[12:13]
	v_add_co_u32_e64 v12, s[52:53], s68, v12
	v_addc_co_u32_e64 v13, s[52:53], v102, v13, s[52:53]
	global_store_dword v[12:13], v104, off
.LBB1359_282:                           ;   in Loop: Header=BB1359_233 Depth=2
	s_or_b64 exec, exec, s[60:61]
	s_lshl_b64 s[52:53], s[58:59], 3
	v_mov_b32_e32 v13, s53
	v_add_co_u32_e64 v12, s[52:53], s52, v87
	v_addc_co_u32_e64 v13, s[52:53], v89, v13, s[52:53]
	v_cmp_lt_u32_e64 s[52:53], v84, v101
	s_and_saveexec_b64 s[60:61], s[52:53]
	s_xor_b64 s[52:53], exec, s[60:61]
	s_cbranch_execnz .LBB1359_317
; %bb.283:                              ;   in Loop: Header=BB1359_233 Depth=2
	s_or_b64 exec, exec, s[52:53]
	v_cmp_lt_u32_e64 s[52:53], v91, v101
	s_and_saveexec_b64 s[60:61], s[52:53]
	s_cbranch_execnz .LBB1359_318
.LBB1359_284:                           ;   in Loop: Header=BB1359_233 Depth=2
	s_or_b64 exec, exec, s[60:61]
	v_cmp_lt_u32_e64 s[52:53], v92, v101
	s_and_saveexec_b64 s[60:61], s[52:53]
	s_cbranch_execnz .LBB1359_319
.LBB1359_285:                           ;   in Loop: Header=BB1359_233 Depth=2
	s_or_b64 exec, exec, s[60:61]
	v_cmp_lt_u32_e64 s[52:53], v93, v101
	s_and_saveexec_b64 s[60:61], s[52:53]
	s_cbranch_execnz .LBB1359_320
.LBB1359_286:                           ;   in Loop: Header=BB1359_233 Depth=2
	s_or_b64 exec, exec, s[60:61]
	v_cmp_lt_u32_e64 s[52:53], v94, v101
	s_and_saveexec_b64 s[60:61], s[52:53]
	s_cbranch_execnz .LBB1359_321
.LBB1359_287:                           ;   in Loop: Header=BB1359_233 Depth=2
	s_or_b64 exec, exec, s[60:61]
	v_cmp_lt_u32_e64 s[52:53], v95, v101
	s_and_saveexec_b64 s[60:61], s[52:53]
	s_cbranch_execnz .LBB1359_322
.LBB1359_288:                           ;   in Loop: Header=BB1359_233 Depth=2
	s_or_b64 exec, exec, s[60:61]
	v_cmp_lt_u32_e64 s[52:53], v96, v101
	s_and_saveexec_b64 s[60:61], s[52:53]
	s_cbranch_execnz .LBB1359_323
.LBB1359_289:                           ;   in Loop: Header=BB1359_233 Depth=2
	s_or_b64 exec, exec, s[60:61]
	v_cmp_lt_u32_e64 s[52:53], v97, v101
	s_and_saveexec_b64 s[60:61], s[52:53]
	s_cbranch_execnz .LBB1359_324
.LBB1359_290:                           ;   in Loop: Header=BB1359_233 Depth=2
	s_or_b64 exec, exec, s[60:61]
	s_and_saveexec_b64 s[60:61], vcc
	s_cbranch_execnz .LBB1359_325
.LBB1359_291:                           ;   in Loop: Header=BB1359_233 Depth=2
	s_or_b64 exec, exec, s[60:61]
	s_and_saveexec_b64 s[60:61], s[36:37]
	s_cbranch_execnz .LBB1359_326
.LBB1359_292:                           ;   in Loop: Header=BB1359_233 Depth=2
	s_or_b64 exec, exec, s[60:61]
	s_and_saveexec_b64 s[60:61], s[38:39]
	s_cbranch_execnz .LBB1359_327
.LBB1359_293:                           ;   in Loop: Header=BB1359_233 Depth=2
	s_or_b64 exec, exec, s[60:61]
	s_and_saveexec_b64 s[60:61], s[40:41]
	s_cbranch_execnz .LBB1359_328
.LBB1359_294:                           ;   in Loop: Header=BB1359_233 Depth=2
	s_or_b64 exec, exec, s[60:61]
	s_and_saveexec_b64 s[60:61], s[42:43]
	s_cbranch_execnz .LBB1359_329
.LBB1359_295:                           ;   in Loop: Header=BB1359_233 Depth=2
	s_or_b64 exec, exec, s[60:61]
	s_and_saveexec_b64 s[60:61], s[44:45]
	s_cbranch_execnz .LBB1359_330
.LBB1359_296:                           ;   in Loop: Header=BB1359_233 Depth=2
	s_or_b64 exec, exec, s[60:61]
	s_and_saveexec_b64 s[60:61], s[46:47]
	s_cbranch_execnz .LBB1359_331
.LBB1359_297:                           ;   in Loop: Header=BB1359_233 Depth=2
	s_or_b64 exec, exec, s[60:61]
	s_and_saveexec_b64 s[60:61], s[48:49]
	s_cbranch_execz .LBB1359_299
.LBB1359_298:                           ;   in Loop: Header=BB1359_233 Depth=2
	ds_read_b32 v12, v50 offset:8192
	s_waitcnt lgkmcnt(0)
	v_cmp_ne_u32_e64 s[52:53], s62, v12
	v_cndmask_b32_e64 v12, v73, v12, s[52:53]
	v_lshrrev_b32_e32 v12, s63, v12
	v_and_b32_e32 v80, s70, v12
.LBB1359_299:                           ;   in Loop: Header=BB1359_233 Depth=2
	s_or_b64 exec, exec, s[60:61]
	v_lshlrev_b32_e32 v12, 3, v103
	s_waitcnt vmcnt(0)
	s_barrier
	ds_write_b64 v12, v[28:29] offset:1024
	v_lshlrev_b32_e32 v12, 3, v31
	ds_write_b64 v12, v[26:27] offset:1024
	v_lshlrev_b32_e32 v12, 3, v19
	;; [unrolled: 2-line block ×7, first 2 shown]
	ds_write_b64 v12, v[5:6] offset:1024
	s_waitcnt lgkmcnt(0)
	s_barrier
	s_and_saveexec_b64 s[52:53], vcc
	s_cbranch_execnz .LBB1359_332
; %bb.300:                              ;   in Loop: Header=BB1359_233 Depth=2
	s_or_b64 exec, exec, s[52:53]
	s_and_saveexec_b64 s[52:53], s[36:37]
	s_cbranch_execnz .LBB1359_333
.LBB1359_301:                           ;   in Loop: Header=BB1359_233 Depth=2
	s_or_b64 exec, exec, s[52:53]
	s_and_saveexec_b64 s[36:37], s[38:39]
	s_cbranch_execnz .LBB1359_334
.LBB1359_302:                           ;   in Loop: Header=BB1359_233 Depth=2
	s_or_b64 exec, exec, s[36:37]
	s_and_saveexec_b64 s[36:37], s[40:41]
	s_cbranch_execnz .LBB1359_335
.LBB1359_303:                           ;   in Loop: Header=BB1359_233 Depth=2
	s_or_b64 exec, exec, s[36:37]
	s_and_saveexec_b64 s[36:37], s[42:43]
	s_cbranch_execnz .LBB1359_336
.LBB1359_304:                           ;   in Loop: Header=BB1359_233 Depth=2
	s_or_b64 exec, exec, s[36:37]
	s_and_saveexec_b64 s[36:37], s[44:45]
	s_cbranch_execnz .LBB1359_337
.LBB1359_305:                           ;   in Loop: Header=BB1359_233 Depth=2
	s_or_b64 exec, exec, s[36:37]
	s_and_saveexec_b64 s[36:37], s[46:47]
	s_cbranch_execnz .LBB1359_338
.LBB1359_306:                           ;   in Loop: Header=BB1359_233 Depth=2
	s_or_b64 exec, exec, s[36:37]
	s_and_saveexec_b64 s[36:37], s[48:49]
	s_cbranch_execz .LBB1359_308
.LBB1359_307:                           ;   in Loop: Header=BB1359_233 Depth=2
	v_lshlrev_b32_e32 v12, 2, v80
	ds_read_b32 v14, v12
	v_add_u32_e32 v12, v50, v32
	ds_read_b64 v[12:13], v12 offset:15360
	v_mov_b32_e32 v15, v3
	v_mov_b32_e32 v16, s75
	s_waitcnt lgkmcnt(1)
	v_add_u32_e32 v14, v14, v41
	v_lshlrev_b64 v[14:15], 3, v[14:15]
	v_add_co_u32_e32 v14, vcc, s74, v14
	v_addc_co_u32_e32 v15, vcc, v16, v15, vcc
	s_waitcnt lgkmcnt(0)
	global_store_dwordx2 v[14:15], v[12:13], off
.LBB1359_308:                           ;   in Loop: Header=BB1359_233 Depth=2
	s_or_b64 exec, exec, s[36:37]
	s_waitcnt vmcnt(0)
	s_barrier
	s_and_saveexec_b64 s[36:37], s[4:5]
	s_cbranch_execz .LBB1359_232
; %bb.309:                              ;   in Loop: Header=BB1359_233 Depth=2
	ds_read_b32 v12, v32
	s_waitcnt lgkmcnt(0)
	v_add_u32_e32 v4, v12, v4
	ds_write_b32 v32, v4
	s_branch .LBB1359_232
.LBB1359_310:                           ;   in Loop: Header=BB1359_233 Depth=2
	ds_read_b32 v12, v50 offset:1024
	v_mov_b32_e32 v13, v3
	v_mov_b32_e32 v102, s69
	s_waitcnt lgkmcnt(0)
	v_cmp_ne_u32_e64 s[36:37], s62, v12
	v_cndmask_b32_e64 v30, v73, v12, s[36:37]
	v_lshrrev_b32_e32 v30, s63, v30
	v_and_b32_e32 v30, s70, v30
	v_lshlrev_b32_e32 v30, 2, v30
	ds_read_b32 v30, v30
	v_cmp_gt_i32_e64 s[36:37], 0, v12
	v_cndmask_b32_e64 v104, v73, 0, s[36:37]
	v_xor_b32_e32 v104, v104, v12
	s_waitcnt lgkmcnt(0)
	v_add_u32_e32 v12, v30, v0
	v_lshlrev_b64 v[12:13], 2, v[12:13]
	v_add_co_u32_e64 v12, s[36:37], s68, v12
	v_addc_co_u32_e64 v13, s[36:37], v102, v13, s[36:37]
	global_store_dword v[12:13], v104, off
	s_or_b64 exec, exec, s[38:39]
	v_cmp_lt_u32_e64 s[36:37], v33, v101
	s_and_saveexec_b64 s[40:41], s[36:37]
	s_cbranch_execz .LBB1359_275
.LBB1359_311:                           ;   in Loop: Header=BB1359_233 Depth=2
	ds_read_b32 v12, v50 offset:2048
	v_mov_b32_e32 v13, v3
	v_mov_b32_e32 v102, s69
	s_waitcnt lgkmcnt(0)
	v_cmp_ne_u32_e64 s[38:39], s62, v12
	v_cndmask_b32_e64 v30, v73, v12, s[38:39]
	v_lshrrev_b32_e32 v30, s63, v30
	v_and_b32_e32 v30, s70, v30
	v_lshlrev_b32_e32 v30, 2, v30
	ds_read_b32 v30, v30
	v_cmp_gt_i32_e64 s[38:39], 0, v12
	v_cndmask_b32_e64 v104, v73, 0, s[38:39]
	v_xor_b32_e32 v104, v104, v12
	s_waitcnt lgkmcnt(0)
	v_add_u32_e32 v12, v30, v33
	v_lshlrev_b64 v[12:13], 2, v[12:13]
	v_add_co_u32_e64 v12, s[38:39], s68, v12
	v_addc_co_u32_e64 v13, s[38:39], v102, v13, s[38:39]
	global_store_dword v[12:13], v104, off
	s_or_b64 exec, exec, s[40:41]
	v_cmp_lt_u32_e64 s[38:39], v34, v101
	s_and_saveexec_b64 s[42:43], s[38:39]
	s_cbranch_execz .LBB1359_276
.LBB1359_312:                           ;   in Loop: Header=BB1359_233 Depth=2
	ds_read_b32 v12, v50 offset:3072
	v_mov_b32_e32 v13, v3
	v_mov_b32_e32 v102, s69
	s_waitcnt lgkmcnt(0)
	v_cmp_ne_u32_e64 s[40:41], s62, v12
	v_cndmask_b32_e64 v30, v73, v12, s[40:41]
	v_lshrrev_b32_e32 v30, s63, v30
	v_and_b32_e32 v30, s70, v30
	v_lshlrev_b32_e32 v30, 2, v30
	ds_read_b32 v30, v30
	v_cmp_gt_i32_e64 s[40:41], 0, v12
	v_cndmask_b32_e64 v104, v73, 0, s[40:41]
	v_xor_b32_e32 v104, v104, v12
	s_waitcnt lgkmcnt(0)
	v_add_u32_e32 v12, v30, v34
	v_lshlrev_b64 v[12:13], 2, v[12:13]
	v_add_co_u32_e64 v12, s[40:41], s68, v12
	v_addc_co_u32_e64 v13, s[40:41], v102, v13, s[40:41]
	global_store_dword v[12:13], v104, off
	s_or_b64 exec, exec, s[42:43]
	v_cmp_lt_u32_e64 s[40:41], v35, v101
	s_and_saveexec_b64 s[44:45], s[40:41]
	s_cbranch_execz .LBB1359_277
.LBB1359_313:                           ;   in Loop: Header=BB1359_233 Depth=2
	ds_read_b32 v12, v50 offset:4096
	v_mov_b32_e32 v13, v3
	v_mov_b32_e32 v102, s69
	s_waitcnt lgkmcnt(0)
	v_cmp_ne_u32_e64 s[42:43], s62, v12
	v_cndmask_b32_e64 v30, v73, v12, s[42:43]
	v_lshrrev_b32_e32 v30, s63, v30
	v_and_b32_e32 v30, s70, v30
	v_lshlrev_b32_e32 v30, 2, v30
	ds_read_b32 v30, v30
	v_cmp_gt_i32_e64 s[42:43], 0, v12
	v_cndmask_b32_e64 v104, v73, 0, s[42:43]
	v_xor_b32_e32 v104, v104, v12
	s_waitcnt lgkmcnt(0)
	v_add_u32_e32 v12, v30, v35
	v_lshlrev_b64 v[12:13], 2, v[12:13]
	v_add_co_u32_e64 v12, s[42:43], s68, v12
	v_addc_co_u32_e64 v13, s[42:43], v102, v13, s[42:43]
	global_store_dword v[12:13], v104, off
	s_or_b64 exec, exec, s[44:45]
	v_cmp_lt_u32_e64 s[42:43], v38, v101
	s_and_saveexec_b64 s[46:47], s[42:43]
	s_cbranch_execz .LBB1359_278
.LBB1359_314:                           ;   in Loop: Header=BB1359_233 Depth=2
	ds_read_b32 v12, v50 offset:5120
	v_mov_b32_e32 v13, v3
	v_mov_b32_e32 v102, s69
	s_waitcnt lgkmcnt(0)
	v_cmp_ne_u32_e64 s[44:45], s62, v12
	v_cndmask_b32_e64 v30, v73, v12, s[44:45]
	v_lshrrev_b32_e32 v30, s63, v30
	v_and_b32_e32 v30, s70, v30
	v_lshlrev_b32_e32 v30, 2, v30
	ds_read_b32 v30, v30
	v_cmp_gt_i32_e64 s[44:45], 0, v12
	v_cndmask_b32_e64 v104, v73, 0, s[44:45]
	v_xor_b32_e32 v104, v104, v12
	s_waitcnt lgkmcnt(0)
	v_add_u32_e32 v12, v30, v38
	v_lshlrev_b64 v[12:13], 2, v[12:13]
	v_add_co_u32_e64 v12, s[44:45], s68, v12
	v_addc_co_u32_e64 v13, s[44:45], v102, v13, s[44:45]
	global_store_dword v[12:13], v104, off
	s_or_b64 exec, exec, s[46:47]
	v_cmp_lt_u32_e64 s[44:45], v39, v101
	s_and_saveexec_b64 s[48:49], s[44:45]
	s_cbranch_execz .LBB1359_279
.LBB1359_315:                           ;   in Loop: Header=BB1359_233 Depth=2
	ds_read_b32 v12, v50 offset:6144
	v_mov_b32_e32 v13, v3
	v_mov_b32_e32 v102, s69
	s_waitcnt lgkmcnt(0)
	v_cmp_ne_u32_e64 s[46:47], s62, v12
	v_cndmask_b32_e64 v30, v73, v12, s[46:47]
	v_lshrrev_b32_e32 v30, s63, v30
	v_and_b32_e32 v30, s70, v30
	v_lshlrev_b32_e32 v30, 2, v30
	ds_read_b32 v30, v30
	v_cmp_gt_i32_e64 s[46:47], 0, v12
	v_cndmask_b32_e64 v104, v73, 0, s[46:47]
	v_xor_b32_e32 v104, v104, v12
	s_waitcnt lgkmcnt(0)
	v_add_u32_e32 v12, v30, v39
	v_lshlrev_b64 v[12:13], 2, v[12:13]
	v_add_co_u32_e64 v12, s[46:47], s68, v12
	v_addc_co_u32_e64 v13, s[46:47], v102, v13, s[46:47]
	global_store_dword v[12:13], v104, off
	s_or_b64 exec, exec, s[48:49]
	v_cmp_lt_u32_e64 s[46:47], v40, v101
	s_and_saveexec_b64 s[52:53], s[46:47]
	s_cbranch_execz .LBB1359_280
.LBB1359_316:                           ;   in Loop: Header=BB1359_233 Depth=2
	ds_read_b32 v12, v50 offset:7168
	v_mov_b32_e32 v13, v3
	v_mov_b32_e32 v102, s69
	s_waitcnt lgkmcnt(0)
	v_cmp_ne_u32_e64 s[48:49], s62, v12
	v_cndmask_b32_e64 v30, v73, v12, s[48:49]
	v_lshrrev_b32_e32 v30, s63, v30
	v_and_b32_e32 v30, s70, v30
	v_lshlrev_b32_e32 v30, 2, v30
	ds_read_b32 v30, v30
	v_cmp_gt_i32_e64 s[48:49], 0, v12
	v_cndmask_b32_e64 v104, v73, 0, s[48:49]
	v_xor_b32_e32 v104, v104, v12
	s_waitcnt lgkmcnt(0)
	v_add_u32_e32 v12, v30, v40
	v_lshlrev_b64 v[12:13], 2, v[12:13]
	v_add_co_u32_e64 v12, s[48:49], s68, v12
	v_addc_co_u32_e64 v13, s[48:49], v102, v13, s[48:49]
	global_store_dword v[12:13], v104, off
	s_or_b64 exec, exec, s[52:53]
	v_cmp_lt_u32_e64 s[48:49], v41, v101
	s_and_saveexec_b64 s[60:61], s[48:49]
	s_cbranch_execnz .LBB1359_281
	s_branch .LBB1359_282
.LBB1359_317:                           ;   in Loop: Header=BB1359_233 Depth=2
	global_load_dwordx2 v[28:29], v[12:13], off
	s_or_b64 exec, exec, s[52:53]
	v_cmp_lt_u32_e64 s[52:53], v91, v101
	s_and_saveexec_b64 s[60:61], s[52:53]
	s_cbranch_execz .LBB1359_284
.LBB1359_318:                           ;   in Loop: Header=BB1359_233 Depth=2
	global_load_dwordx2 v[26:27], v[12:13], off offset:512
	s_or_b64 exec, exec, s[60:61]
	v_cmp_lt_u32_e64 s[52:53], v92, v101
	s_and_saveexec_b64 s[60:61], s[52:53]
	s_cbranch_execz .LBB1359_285
.LBB1359_319:                           ;   in Loop: Header=BB1359_233 Depth=2
	global_load_dwordx2 v[24:25], v[12:13], off offset:1024
	s_or_b64 exec, exec, s[60:61]
	v_cmp_lt_u32_e64 s[52:53], v93, v101
	s_and_saveexec_b64 s[60:61], s[52:53]
	s_cbranch_execz .LBB1359_286
.LBB1359_320:                           ;   in Loop: Header=BB1359_233 Depth=2
	global_load_dwordx2 v[22:23], v[12:13], off offset:1536
	s_or_b64 exec, exec, s[60:61]
	v_cmp_lt_u32_e64 s[52:53], v94, v101
	s_and_saveexec_b64 s[60:61], s[52:53]
	s_cbranch_execz .LBB1359_287
.LBB1359_321:                           ;   in Loop: Header=BB1359_233 Depth=2
	global_load_dwordx2 v[20:21], v[12:13], off offset:2048
	s_or_b64 exec, exec, s[60:61]
	v_cmp_lt_u32_e64 s[52:53], v95, v101
	s_and_saveexec_b64 s[60:61], s[52:53]
	s_cbranch_execz .LBB1359_288
.LBB1359_322:                           ;   in Loop: Header=BB1359_233 Depth=2
	global_load_dwordx2 v[9:10], v[12:13], off offset:2560
	s_or_b64 exec, exec, s[60:61]
	v_cmp_lt_u32_e64 s[52:53], v96, v101
	s_and_saveexec_b64 s[60:61], s[52:53]
	s_cbranch_execz .LBB1359_289
.LBB1359_323:                           ;   in Loop: Header=BB1359_233 Depth=2
	global_load_dwordx2 v[7:8], v[12:13], off offset:3072
	s_or_b64 exec, exec, s[60:61]
	v_cmp_lt_u32_e64 s[52:53], v97, v101
	s_and_saveexec_b64 s[60:61], s[52:53]
	s_cbranch_execz .LBB1359_290
.LBB1359_324:                           ;   in Loop: Header=BB1359_233 Depth=2
	global_load_dwordx2 v[5:6], v[12:13], off offset:3584
	s_or_b64 exec, exec, s[60:61]
	s_and_saveexec_b64 s[60:61], vcc
	s_cbranch_execz .LBB1359_291
.LBB1359_325:                           ;   in Loop: Header=BB1359_233 Depth=2
	ds_read_b32 v12, v50 offset:1024
	s_waitcnt lgkmcnt(0)
	v_cmp_ne_u32_e64 s[52:53], s62, v12
	v_cndmask_b32_e64 v12, v73, v12, s[52:53]
	v_lshrrev_b32_e32 v12, s63, v12
	v_and_b32_e32 v90, s70, v12
	s_or_b64 exec, exec, s[60:61]
	s_and_saveexec_b64 s[60:61], s[36:37]
	s_cbranch_execz .LBB1359_292
.LBB1359_326:                           ;   in Loop: Header=BB1359_233 Depth=2
	ds_read_b32 v12, v50 offset:2048
	s_waitcnt lgkmcnt(0)
	v_cmp_ne_u32_e64 s[52:53], s62, v12
	v_cndmask_b32_e64 v12, v73, v12, s[52:53]
	v_lshrrev_b32_e32 v12, s63, v12
	v_and_b32_e32 v88, s70, v12
	s_or_b64 exec, exec, s[60:61]
	s_and_saveexec_b64 s[60:61], s[38:39]
	s_cbranch_execz .LBB1359_293
.LBB1359_327:                           ;   in Loop: Header=BB1359_233 Depth=2
	ds_read_b32 v12, v50 offset:3072
	s_waitcnt lgkmcnt(0)
	v_cmp_ne_u32_e64 s[52:53], s62, v12
	v_cndmask_b32_e64 v12, v73, v12, s[52:53]
	v_lshrrev_b32_e32 v12, s63, v12
	v_and_b32_e32 v86, s70, v12
	s_or_b64 exec, exec, s[60:61]
	s_and_saveexec_b64 s[60:61], s[40:41]
	s_cbranch_execz .LBB1359_294
.LBB1359_328:                           ;   in Loop: Header=BB1359_233 Depth=2
	ds_read_b32 v12, v50 offset:4096
	s_waitcnt lgkmcnt(0)
	v_cmp_ne_u32_e64 s[52:53], s62, v12
	v_cndmask_b32_e64 v12, v73, v12, s[52:53]
	v_lshrrev_b32_e32 v12, s63, v12
	v_and_b32_e32 v85, s70, v12
	s_or_b64 exec, exec, s[60:61]
	s_and_saveexec_b64 s[60:61], s[42:43]
	s_cbranch_execz .LBB1359_295
.LBB1359_329:                           ;   in Loop: Header=BB1359_233 Depth=2
	ds_read_b32 v12, v50 offset:5120
	s_waitcnt lgkmcnt(0)
	v_cmp_ne_u32_e64 s[52:53], s62, v12
	v_cndmask_b32_e64 v12, v73, v12, s[52:53]
	v_lshrrev_b32_e32 v12, s63, v12
	v_and_b32_e32 v83, s70, v12
	s_or_b64 exec, exec, s[60:61]
	s_and_saveexec_b64 s[60:61], s[44:45]
	s_cbranch_execz .LBB1359_296
.LBB1359_330:                           ;   in Loop: Header=BB1359_233 Depth=2
	ds_read_b32 v12, v50 offset:6144
	s_waitcnt lgkmcnt(0)
	v_cmp_ne_u32_e64 s[52:53], s62, v12
	v_cndmask_b32_e64 v12, v73, v12, s[52:53]
	v_lshrrev_b32_e32 v12, s63, v12
	v_and_b32_e32 v82, s70, v12
	s_or_b64 exec, exec, s[60:61]
	s_and_saveexec_b64 s[60:61], s[46:47]
	s_cbranch_execz .LBB1359_297
.LBB1359_331:                           ;   in Loop: Header=BB1359_233 Depth=2
	ds_read_b32 v12, v50 offset:7168
	s_waitcnt lgkmcnt(0)
	v_cmp_ne_u32_e64 s[52:53], s62, v12
	v_cndmask_b32_e64 v12, v73, v12, s[52:53]
	v_lshrrev_b32_e32 v12, s63, v12
	v_and_b32_e32 v81, s70, v12
	s_or_b64 exec, exec, s[60:61]
	s_and_saveexec_b64 s[60:61], s[48:49]
	s_cbranch_execnz .LBB1359_298
	s_branch .LBB1359_299
.LBB1359_332:                           ;   in Loop: Header=BB1359_233 Depth=2
	v_lshlrev_b32_e32 v12, 2, v90
	ds_read_b32 v14, v12
	v_add_u32_e32 v12, v50, v32
	ds_read_b64 v[12:13], v12 offset:1024
	v_mov_b32_e32 v15, v3
	v_mov_b32_e32 v16, s75
	s_waitcnt lgkmcnt(1)
	v_add_u32_e32 v14, v14, v0
	v_lshlrev_b64 v[14:15], 3, v[14:15]
	v_add_co_u32_e32 v14, vcc, s74, v14
	v_addc_co_u32_e32 v15, vcc, v16, v15, vcc
	s_waitcnt lgkmcnt(0)
	global_store_dwordx2 v[14:15], v[12:13], off
	s_or_b64 exec, exec, s[52:53]
	s_and_saveexec_b64 s[52:53], s[36:37]
	s_cbranch_execz .LBB1359_301
.LBB1359_333:                           ;   in Loop: Header=BB1359_233 Depth=2
	v_lshlrev_b32_e32 v12, 2, v88
	ds_read_b32 v14, v12
	v_add_u32_e32 v12, v50, v32
	ds_read_b64 v[12:13], v12 offset:3072
	v_mov_b32_e32 v15, v3
	v_mov_b32_e32 v16, s75
	s_waitcnt lgkmcnt(1)
	v_add_u32_e32 v14, v14, v33
	v_lshlrev_b64 v[14:15], 3, v[14:15]
	v_add_co_u32_e32 v14, vcc, s74, v14
	v_addc_co_u32_e32 v15, vcc, v16, v15, vcc
	s_waitcnt lgkmcnt(0)
	global_store_dwordx2 v[14:15], v[12:13], off
	s_or_b64 exec, exec, s[52:53]
	s_and_saveexec_b64 s[36:37], s[38:39]
	s_cbranch_execz .LBB1359_302
.LBB1359_334:                           ;   in Loop: Header=BB1359_233 Depth=2
	v_lshlrev_b32_e32 v12, 2, v86
	ds_read_b32 v14, v12
	v_add_u32_e32 v12, v50, v32
	ds_read_b64 v[12:13], v12 offset:5120
	v_mov_b32_e32 v15, v3
	v_mov_b32_e32 v16, s75
	s_waitcnt lgkmcnt(1)
	v_add_u32_e32 v14, v14, v34
	v_lshlrev_b64 v[14:15], 3, v[14:15]
	v_add_co_u32_e32 v14, vcc, s74, v14
	v_addc_co_u32_e32 v15, vcc, v16, v15, vcc
	s_waitcnt lgkmcnt(0)
	global_store_dwordx2 v[14:15], v[12:13], off
	s_or_b64 exec, exec, s[36:37]
	s_and_saveexec_b64 s[36:37], s[40:41]
	s_cbranch_execz .LBB1359_303
.LBB1359_335:                           ;   in Loop: Header=BB1359_233 Depth=2
	v_lshlrev_b32_e32 v12, 2, v85
	ds_read_b32 v14, v12
	v_add_u32_e32 v12, v50, v32
	ds_read_b64 v[12:13], v12 offset:7168
	v_mov_b32_e32 v15, v3
	v_mov_b32_e32 v16, s75
	s_waitcnt lgkmcnt(1)
	v_add_u32_e32 v14, v14, v35
	v_lshlrev_b64 v[14:15], 3, v[14:15]
	v_add_co_u32_e32 v14, vcc, s74, v14
	v_addc_co_u32_e32 v15, vcc, v16, v15, vcc
	s_waitcnt lgkmcnt(0)
	global_store_dwordx2 v[14:15], v[12:13], off
	s_or_b64 exec, exec, s[36:37]
	s_and_saveexec_b64 s[36:37], s[42:43]
	s_cbranch_execz .LBB1359_304
.LBB1359_336:                           ;   in Loop: Header=BB1359_233 Depth=2
	v_lshlrev_b32_e32 v12, 2, v83
	ds_read_b32 v14, v12
	v_add_u32_e32 v12, v50, v32
	ds_read_b64 v[12:13], v12 offset:9216
	v_mov_b32_e32 v15, v3
	v_mov_b32_e32 v16, s75
	s_waitcnt lgkmcnt(1)
	v_add_u32_e32 v14, v14, v38
	v_lshlrev_b64 v[14:15], 3, v[14:15]
	v_add_co_u32_e32 v14, vcc, s74, v14
	v_addc_co_u32_e32 v15, vcc, v16, v15, vcc
	s_waitcnt lgkmcnt(0)
	global_store_dwordx2 v[14:15], v[12:13], off
	s_or_b64 exec, exec, s[36:37]
	s_and_saveexec_b64 s[36:37], s[44:45]
	s_cbranch_execz .LBB1359_305
.LBB1359_337:                           ;   in Loop: Header=BB1359_233 Depth=2
	v_lshlrev_b32_e32 v12, 2, v82
	ds_read_b32 v14, v12
	v_add_u32_e32 v12, v50, v32
	ds_read_b64 v[12:13], v12 offset:11264
	v_mov_b32_e32 v15, v3
	v_mov_b32_e32 v16, s75
	s_waitcnt lgkmcnt(1)
	v_add_u32_e32 v14, v14, v39
	v_lshlrev_b64 v[14:15], 3, v[14:15]
	v_add_co_u32_e32 v14, vcc, s74, v14
	v_addc_co_u32_e32 v15, vcc, v16, v15, vcc
	s_waitcnt lgkmcnt(0)
	global_store_dwordx2 v[14:15], v[12:13], off
	s_or_b64 exec, exec, s[36:37]
	s_and_saveexec_b64 s[36:37], s[46:47]
	s_cbranch_execz .LBB1359_306
.LBB1359_338:                           ;   in Loop: Header=BB1359_233 Depth=2
	v_lshlrev_b32_e32 v12, 2, v81
	ds_read_b32 v14, v12
	v_add_u32_e32 v12, v50, v32
	ds_read_b64 v[12:13], v12 offset:13312
	v_mov_b32_e32 v15, v3
	v_mov_b32_e32 v16, s75
	s_waitcnt lgkmcnt(1)
	v_add_u32_e32 v14, v14, v40
	v_lshlrev_b64 v[14:15], 3, v[14:15]
	v_add_co_u32_e32 v14, vcc, s74, v14
	v_addc_co_u32_e32 v15, vcc, v16, v15, vcc
	s_waitcnt lgkmcnt(0)
	global_store_dwordx2 v[14:15], v[12:13], off
	s_or_b64 exec, exec, s[36:37]
	s_and_saveexec_b64 s[36:37], s[48:49]
	s_cbranch_execnz .LBB1359_307
	s_branch .LBB1359_308
.LBB1359_339:                           ;   in Loop: Header=BB1359_233 Depth=2
	global_load_dword v12, v[30:31], off
	v_mov_b32_e32 v13, v11
	v_mov_b32_e32 v14, v11
	;; [unrolled: 1-line block ×7, first 2 shown]
	s_or_b64 exec, exec, s[36:37]
	v_cmp_gt_u32_e32 vcc, s71, v91
	s_and_saveexec_b64 s[36:37], vcc
	s_cbranch_execz .LBB1359_238
.LBB1359_340:                           ;   in Loop: Header=BB1359_233 Depth=2
	global_load_dword v13, v[30:31], off offset:256
	s_or_b64 exec, exec, s[36:37]
	v_cmp_gt_u32_e32 vcc, s71, v92
	s_and_saveexec_b64 s[36:37], vcc
	s_cbranch_execz .LBB1359_239
.LBB1359_341:                           ;   in Loop: Header=BB1359_233 Depth=2
	global_load_dword v14, v[30:31], off offset:512
	s_or_b64 exec, exec, s[36:37]
	v_cmp_gt_u32_e32 vcc, s71, v93
	s_and_saveexec_b64 s[36:37], vcc
	s_cbranch_execz .LBB1359_240
.LBB1359_342:                           ;   in Loop: Header=BB1359_233 Depth=2
	global_load_dword v15, v[30:31], off offset:768
	s_or_b64 exec, exec, s[36:37]
	v_cmp_gt_u32_e32 vcc, s71, v94
	s_and_saveexec_b64 s[36:37], vcc
	s_cbranch_execz .LBB1359_241
.LBB1359_343:                           ;   in Loop: Header=BB1359_233 Depth=2
	global_load_dword v16, v[30:31], off offset:1024
	s_or_b64 exec, exec, s[36:37]
	v_cmp_gt_u32_e32 vcc, s71, v95
	s_and_saveexec_b64 s[36:37], vcc
	s_cbranch_execz .LBB1359_242
.LBB1359_344:                           ;   in Loop: Header=BB1359_233 Depth=2
	global_load_dword v17, v[30:31], off offset:1280
	s_or_b64 exec, exec, s[36:37]
	v_cmp_gt_u32_e32 vcc, s71, v96
	s_and_saveexec_b64 s[36:37], vcc
	s_cbranch_execnz .LBB1359_243
	s_branch .LBB1359_244
.LBB1359_345:                           ;   in Loop: Header=BB1359_17 Depth=1
	s_waitcnt lgkmcnt(0)
	s_barrier
.LBB1359_346:                           ;   in Loop: Header=BB1359_17 Depth=1
	s_mov_b64 s[16:17], 0
.LBB1359_347:                           ;   in Loop: Header=BB1359_17 Depth=1
	s_andn2_b64 vcc, exec, s[16:17]
	s_cbranch_vccnz .LBB1359_16
; %bb.348:                              ;   in Loop: Header=BB1359_17 Depth=1
	s_mov_b64 s[16:17], -1
	s_and_b64 vcc, exec, s[54:55]
	s_cbranch_vccz .LBB1359_512
; %bb.349:                              ;   in Loop: Header=BB1359_17 Depth=1
	v_mov_b32_e32 v10, v3
	v_mov_b32_e32 v4, v3
	;; [unrolled: 1-line block ×8, first 2 shown]
	s_mov_b32 s20, s79
	s_mov_b32 s58, s51
	v_mov_b32_e32 v18, v9
	v_mov_b32_e32 v17, v8
	;; [unrolled: 1-line block ×7, first 2 shown]
	s_barrier
	s_branch .LBB1359_351
.LBB1359_350:                           ;   in Loop: Header=BB1359_351 Depth=2
	s_or_b64 exec, exec, s[16:17]
	s_addk_i32 s20, 0xf800
	s_cmp_ge_u32 s21, s80
	s_mov_b32 s58, s21
	s_cbranch_scc1 .LBB1359_387
.LBB1359_351:                           ;   Parent Loop BB1359_17 Depth=1
                                        ; =>  This Inner Loop Header: Depth=2
	s_add_i32 s21, s58, 0x800
	s_cmp_gt_u32 s21, s80
	s_mov_b64 s[16:17], -1
                                        ; implicit-def: $vgpr20_vgpr21_vgpr22_vgpr23_vgpr24_vgpr25_vgpr26_vgpr27
	s_cbranch_scc1 .LBB1359_353
; %bb.352:                              ;   in Loop: Header=BB1359_351 Depth=2
	s_lshl_b64 s[16:17], s[58:59], 2
	v_mov_b32_e32 v5, s17
	v_add_co_u32_e32 v4, vcc, s16, v61
	v_addc_co_u32_e32 v5, vcc, v62, v5, vcc
	v_add_co_u32_e32 v6, vcc, 0x1000, v4
	v_addc_co_u32_e32 v7, vcc, 0, v5, vcc
	global_load_dword v20, v[4:5], off
	global_load_dword v21, v[4:5], off offset:1024
	global_load_dword v22, v[4:5], off offset:2048
	global_load_dword v23, v[4:5], off offset:3072
	global_load_dword v24, v[6:7], off
	global_load_dword v25, v[6:7], off offset:1024
	global_load_dword v26, v[6:7], off offset:2048
	;; [unrolled: 1-line block ×3, first 2 shown]
	s_mov_b64 s[16:17], 0
.LBB1359_353:                           ;   in Loop: Header=BB1359_351 Depth=2
	s_andn2_b64 vcc, exec, s[16:17]
	s_movk_i32 s18, 0x800
	s_cbranch_vccnz .LBB1359_364
; %bb.354:                              ;   in Loop: Header=BB1359_351 Depth=2
	s_lshl_b64 s[16:17], s[58:59], 2
	s_add_u32 s16, s64, s16
	s_addc_u32 s17, s65, s17
	v_cmp_gt_u32_e32 vcc, s20, v0
	s_and_saveexec_b64 s[18:19], vcc
	s_cbranch_execnz .LBB1359_380
; %bb.355:                              ;   in Loop: Header=BB1359_351 Depth=2
	s_or_b64 exec, exec, s[18:19]
	v_cmp_gt_u32_e32 vcc, s20, v33
	s_and_saveexec_b64 s[18:19], vcc
	s_cbranch_execnz .LBB1359_381
.LBB1359_356:                           ;   in Loop: Header=BB1359_351 Depth=2
	s_or_b64 exec, exec, s[18:19]
	v_cmp_gt_u32_e32 vcc, s20, v34
	s_and_saveexec_b64 s[18:19], vcc
	s_cbranch_execnz .LBB1359_382
.LBB1359_357:                           ;   in Loop: Header=BB1359_351 Depth=2
	s_or_b64 exec, exec, s[18:19]
	v_cmp_gt_u32_e32 vcc, s20, v35
	s_and_saveexec_b64 s[18:19], vcc
	s_cbranch_execnz .LBB1359_383
.LBB1359_358:                           ;   in Loop: Header=BB1359_351 Depth=2
	s_or_b64 exec, exec, s[18:19]
	v_cmp_gt_u32_e32 vcc, s20, v38
	s_and_saveexec_b64 s[18:19], vcc
	s_cbranch_execnz .LBB1359_384
.LBB1359_359:                           ;   in Loop: Header=BB1359_351 Depth=2
	s_or_b64 exec, exec, s[18:19]
	v_cmp_gt_u32_e32 vcc, s20, v39
	s_and_saveexec_b64 s[18:19], vcc
	s_cbranch_execnz .LBB1359_385
.LBB1359_360:                           ;   in Loop: Header=BB1359_351 Depth=2
	s_or_b64 exec, exec, s[18:19]
	v_cmp_gt_u32_e32 vcc, s20, v40
	s_and_saveexec_b64 s[18:19], vcc
	s_cbranch_execnz .LBB1359_386
.LBB1359_361:                           ;   in Loop: Header=BB1359_351 Depth=2
	s_or_b64 exec, exec, s[18:19]
	v_cmp_gt_u32_e32 vcc, s20, v41
	s_and_saveexec_b64 s[18:19], vcc
	s_cbranch_execz .LBB1359_363
.LBB1359_362:                           ;   in Loop: Header=BB1359_351 Depth=2
	global_load_dword v19, v72, s[16:17]
.LBB1359_363:                           ;   in Loop: Header=BB1359_351 Depth=2
	s_or_b64 exec, exec, s[18:19]
	s_waitcnt vmcnt(0)
	v_mov_b32_e32 v27, v19
	s_mov_b32 s18, s20
	v_mov_b32_e32 v26, v18
	v_mov_b32_e32 v25, v17
	v_mov_b32_e32 v24, v16
	v_mov_b32_e32 v23, v15
	v_mov_b32_e32 v22, v14
	v_mov_b32_e32 v21, v13
	v_mov_b32_e32 v20, v12
.LBB1359_364:                           ;   in Loop: Header=BB1359_351 Depth=2
	s_waitcnt vmcnt(0)
	v_mov_b32_e32 v12, v20
	v_mov_b32_e32 v13, v21
	;; [unrolled: 1-line block ×8, first 2 shown]
	v_cmp_gt_u32_e32 vcc, s18, v0
	s_and_saveexec_b64 s[16:17], vcc
	s_cbranch_execnz .LBB1359_372
; %bb.365:                              ;   in Loop: Header=BB1359_351 Depth=2
	s_or_b64 exec, exec, s[16:17]
	v_cmp_gt_u32_e32 vcc, s18, v33
	s_and_saveexec_b64 s[16:17], vcc
	s_cbranch_execnz .LBB1359_373
.LBB1359_366:                           ;   in Loop: Header=BB1359_351 Depth=2
	s_or_b64 exec, exec, s[16:17]
	v_cmp_gt_u32_e32 vcc, s18, v34
	s_and_saveexec_b64 s[16:17], vcc
	s_cbranch_execnz .LBB1359_374
.LBB1359_367:                           ;   in Loop: Header=BB1359_351 Depth=2
	s_or_b64 exec, exec, s[16:17]
	v_cmp_gt_u32_e32 vcc, s18, v35
	s_and_saveexec_b64 s[16:17], vcc
	s_cbranch_execnz .LBB1359_375
.LBB1359_368:                           ;   in Loop: Header=BB1359_351 Depth=2
	s_or_b64 exec, exec, s[16:17]
	v_cmp_gt_u32_e32 vcc, s18, v38
	s_and_saveexec_b64 s[16:17], vcc
	s_cbranch_execnz .LBB1359_376
.LBB1359_369:                           ;   in Loop: Header=BB1359_351 Depth=2
	s_or_b64 exec, exec, s[16:17]
	v_cmp_gt_u32_e32 vcc, s18, v39
	s_and_saveexec_b64 s[16:17], vcc
	s_cbranch_execnz .LBB1359_377
.LBB1359_370:                           ;   in Loop: Header=BB1359_351 Depth=2
	s_or_b64 exec, exec, s[16:17]
	v_cmp_gt_u32_e32 vcc, s18, v40
	s_and_saveexec_b64 s[16:17], vcc
	s_cbranch_execnz .LBB1359_378
.LBB1359_371:                           ;   in Loop: Header=BB1359_351 Depth=2
	s_or_b64 exec, exec, s[16:17]
	v_cmp_gt_u32_e32 vcc, s18, v41
	s_and_saveexec_b64 s[16:17], vcc
	s_cbranch_execz .LBB1359_350
	s_branch .LBB1359_379
.LBB1359_372:                           ;   in Loop: Header=BB1359_351 Depth=2
	v_cmp_gt_i32_e32 vcc, 0, v12
	v_cndmask_b32_e64 v4, v73, 0, vcc
	v_xor_b32_e32 v4, v4, v12
	v_cmp_ne_u32_e32 vcc, s62, v4
	v_cndmask_b32_e32 v4, v73, v4, vcc
	v_lshrrev_b32_e32 v4, s77, v4
	v_and_b32_e32 v4, s70, v4
	v_lshl_or_b32 v4, v4, 4, v42
	ds_add_u32 v4, v67
	s_or_b64 exec, exec, s[16:17]
	v_cmp_gt_u32_e32 vcc, s18, v33
	s_and_saveexec_b64 s[16:17], vcc
	s_cbranch_execz .LBB1359_366
.LBB1359_373:                           ;   in Loop: Header=BB1359_351 Depth=2
	v_cmp_gt_i32_e32 vcc, 0, v13
	v_cndmask_b32_e64 v4, v73, 0, vcc
	v_xor_b32_e32 v4, v4, v13
	v_cmp_ne_u32_e32 vcc, s62, v4
	v_cndmask_b32_e32 v4, v73, v4, vcc
	v_lshrrev_b32_e32 v4, s77, v4
	v_and_b32_e32 v4, s70, v4
	v_lshl_or_b32 v4, v4, 4, v42
	ds_add_u32 v4, v67
	s_or_b64 exec, exec, s[16:17]
	v_cmp_gt_u32_e32 vcc, s18, v34
	s_and_saveexec_b64 s[16:17], vcc
	s_cbranch_execz .LBB1359_367
.LBB1359_374:                           ;   in Loop: Header=BB1359_351 Depth=2
	v_cmp_gt_i32_e32 vcc, 0, v14
	v_cndmask_b32_e64 v4, v73, 0, vcc
	v_xor_b32_e32 v4, v4, v14
	v_cmp_ne_u32_e32 vcc, s62, v4
	v_cndmask_b32_e32 v4, v73, v4, vcc
	v_lshrrev_b32_e32 v4, s77, v4
	v_and_b32_e32 v4, s70, v4
	v_lshl_or_b32 v4, v4, 4, v42
	ds_add_u32 v4, v67
	s_or_b64 exec, exec, s[16:17]
	v_cmp_gt_u32_e32 vcc, s18, v35
	s_and_saveexec_b64 s[16:17], vcc
	s_cbranch_execz .LBB1359_368
.LBB1359_375:                           ;   in Loop: Header=BB1359_351 Depth=2
	v_cmp_gt_i32_e32 vcc, 0, v15
	v_cndmask_b32_e64 v4, v73, 0, vcc
	v_xor_b32_e32 v4, v4, v15
	v_cmp_ne_u32_e32 vcc, s62, v4
	v_cndmask_b32_e32 v4, v73, v4, vcc
	v_lshrrev_b32_e32 v4, s77, v4
	v_and_b32_e32 v4, s70, v4
	v_lshl_or_b32 v4, v4, 4, v42
	ds_add_u32 v4, v67
	s_or_b64 exec, exec, s[16:17]
	v_cmp_gt_u32_e32 vcc, s18, v38
	s_and_saveexec_b64 s[16:17], vcc
	s_cbranch_execz .LBB1359_369
.LBB1359_376:                           ;   in Loop: Header=BB1359_351 Depth=2
	v_cmp_gt_i32_e32 vcc, 0, v16
	v_cndmask_b32_e64 v4, v73, 0, vcc
	v_xor_b32_e32 v4, v4, v16
	v_cmp_ne_u32_e32 vcc, s62, v4
	v_cndmask_b32_e32 v4, v73, v4, vcc
	v_lshrrev_b32_e32 v4, s77, v4
	v_and_b32_e32 v4, s70, v4
	v_lshl_or_b32 v4, v4, 4, v42
	ds_add_u32 v4, v67
	s_or_b64 exec, exec, s[16:17]
	v_cmp_gt_u32_e32 vcc, s18, v39
	s_and_saveexec_b64 s[16:17], vcc
	s_cbranch_execz .LBB1359_370
.LBB1359_377:                           ;   in Loop: Header=BB1359_351 Depth=2
	v_cmp_gt_i32_e32 vcc, 0, v17
	v_cndmask_b32_e64 v4, v73, 0, vcc
	v_xor_b32_e32 v4, v4, v17
	v_cmp_ne_u32_e32 vcc, s62, v4
	v_cndmask_b32_e32 v4, v73, v4, vcc
	v_lshrrev_b32_e32 v4, s77, v4
	v_and_b32_e32 v4, s70, v4
	v_lshl_or_b32 v4, v4, 4, v42
	ds_add_u32 v4, v67
	s_or_b64 exec, exec, s[16:17]
	v_cmp_gt_u32_e32 vcc, s18, v40
	s_and_saveexec_b64 s[16:17], vcc
	s_cbranch_execz .LBB1359_371
.LBB1359_378:                           ;   in Loop: Header=BB1359_351 Depth=2
	v_cmp_gt_i32_e32 vcc, 0, v18
	v_cndmask_b32_e64 v4, v73, 0, vcc
	v_xor_b32_e32 v4, v4, v18
	v_cmp_ne_u32_e32 vcc, s62, v4
	v_cndmask_b32_e32 v4, v73, v4, vcc
	v_lshrrev_b32_e32 v4, s77, v4
	v_and_b32_e32 v4, s70, v4
	v_lshl_or_b32 v4, v4, 4, v42
	ds_add_u32 v4, v67
	s_or_b64 exec, exec, s[16:17]
	v_cmp_gt_u32_e32 vcc, s18, v41
	s_and_saveexec_b64 s[16:17], vcc
	s_cbranch_execz .LBB1359_350
.LBB1359_379:                           ;   in Loop: Header=BB1359_351 Depth=2
	v_cmp_gt_i32_e32 vcc, 0, v19
	v_cndmask_b32_e64 v4, v73, 0, vcc
	v_xor_b32_e32 v4, v4, v19
	v_cmp_ne_u32_e32 vcc, s62, v4
	v_cndmask_b32_e32 v4, v73, v4, vcc
	v_lshrrev_b32_e32 v4, s77, v4
	v_and_b32_e32 v4, s70, v4
	v_lshl_or_b32 v4, v4, 4, v42
	ds_add_u32 v4, v67
	s_branch .LBB1359_350
.LBB1359_380:                           ;   in Loop: Header=BB1359_351 Depth=2
	global_load_dword v12, v68, s[16:17]
	s_or_b64 exec, exec, s[18:19]
	v_cmp_gt_u32_e32 vcc, s20, v33
	s_and_saveexec_b64 s[18:19], vcc
	s_cbranch_execz .LBB1359_356
.LBB1359_381:                           ;   in Loop: Header=BB1359_351 Depth=2
	global_load_dword v13, v68, s[16:17] offset:1024
	s_or_b64 exec, exec, s[18:19]
	v_cmp_gt_u32_e32 vcc, s20, v34
	s_and_saveexec_b64 s[18:19], vcc
	s_cbranch_execz .LBB1359_357
.LBB1359_382:                           ;   in Loop: Header=BB1359_351 Depth=2
	global_load_dword v14, v68, s[16:17] offset:2048
	s_or_b64 exec, exec, s[18:19]
	v_cmp_gt_u32_e32 vcc, s20, v35
	s_and_saveexec_b64 s[18:19], vcc
	s_cbranch_execz .LBB1359_358
.LBB1359_383:                           ;   in Loop: Header=BB1359_351 Depth=2
	global_load_dword v15, v68, s[16:17] offset:3072
	s_or_b64 exec, exec, s[18:19]
	v_cmp_gt_u32_e32 vcc, s20, v38
	s_and_saveexec_b64 s[18:19], vcc
	s_cbranch_execz .LBB1359_359
.LBB1359_384:                           ;   in Loop: Header=BB1359_351 Depth=2
	global_load_dword v16, v69, s[16:17]
	s_or_b64 exec, exec, s[18:19]
	v_cmp_gt_u32_e32 vcc, s20, v39
	s_and_saveexec_b64 s[18:19], vcc
	s_cbranch_execz .LBB1359_360
.LBB1359_385:                           ;   in Loop: Header=BB1359_351 Depth=2
	global_load_dword v17, v70, s[16:17]
	s_or_b64 exec, exec, s[18:19]
	v_cmp_gt_u32_e32 vcc, s20, v40
	s_and_saveexec_b64 s[18:19], vcc
	s_cbranch_execz .LBB1359_361
.LBB1359_386:                           ;   in Loop: Header=BB1359_351 Depth=2
	global_load_dword v18, v71, s[16:17]
	s_or_b64 exec, exec, s[18:19]
	v_cmp_gt_u32_e32 vcc, s20, v41
	s_and_saveexec_b64 s[18:19], vcc
	s_cbranch_execnz .LBB1359_362
	s_branch .LBB1359_363
.LBB1359_387:                           ;   in Loop: Header=BB1359_17 Depth=1
	v_mov_b32_e32 v4, 0
	s_waitcnt lgkmcnt(0)
	s_barrier
	s_and_saveexec_b64 s[16:17], s[4:5]
	s_cbranch_execz .LBB1359_389
; %bb.388:                              ;   in Loop: Header=BB1359_17 Depth=1
	ds_read2_b64 v[4:7], v43 offset1:1
	s_waitcnt lgkmcnt(0)
	v_add_u32_e32 v4, v5, v4
	v_add3_u32 v4, v4, v6, v7
.LBB1359_389:                           ;   in Loop: Header=BB1359_17 Depth=1
	s_or_b64 exec, exec, s[16:17]
	s_nop 0
	v_mov_b32_dpp v5, v4 row_shr:1 row_mask:0xf bank_mask:0xf
	v_cmp_eq_u32_e64 s[16:17], 0, v75
	v_cndmask_b32_e64 v5, v5, 0, s[16:17]
	v_add_u32_e32 v4, v5, v4
	v_cmp_lt_u32_e64 s[18:19], 1, v75
	v_cmp_lt_u32_e64 s[20:21], 3, v75
	v_mov_b32_dpp v5, v4 row_shr:2 row_mask:0xf bank_mask:0xf
	v_cndmask_b32_e64 v5, 0, v5, s[18:19]
	v_add_u32_e32 v4, v4, v5
	v_cmp_lt_u32_e64 s[22:23], 7, v75
	v_cmp_lt_u32_e64 s[26:27], 31, v74
	v_mov_b32_dpp v5, v4 row_shr:4 row_mask:0xf bank_mask:0xf
	v_cndmask_b32_e64 v5, 0, v5, s[20:21]
	v_add_u32_e32 v4, v4, v5
	v_cmp_eq_u32_e64 s[24:25], 0, v77
	s_nop 0
	v_mov_b32_dpp v5, v4 row_shr:8 row_mask:0xf bank_mask:0xf
	v_cndmask_b32_e64 v5, 0, v5, s[22:23]
	v_add_u32_e32 v4, v4, v5
	s_nop 1
	v_mov_b32_dpp v5, v4 row_bcast:15 row_mask:0xf bank_mask:0xf
	v_and_b32_e32 v5, v76, v5
	v_add_u32_e32 v4, v4, v5
	s_nop 1
	v_mov_b32_dpp v5, v4 row_bcast:31 row_mask:0xf bank_mask:0xf
	v_cndmask_b32_e64 v5, 0, v5, s[26:27]
	v_add_u32_e32 v4, v4, v5
	s_and_saveexec_b64 s[28:29], s[6:7]
; %bb.390:                              ;   in Loop: Header=BB1359_17 Depth=1
	ds_write_b32 v45, v4
; %bb.391:                              ;   in Loop: Header=BB1359_17 Depth=1
	s_or_b64 exec, exec, s[28:29]
	s_waitcnt lgkmcnt(0)
	s_barrier
	s_and_saveexec_b64 s[28:29], s[8:9]
	s_cbranch_execz .LBB1359_393
; %bb.392:                              ;   in Loop: Header=BB1359_17 Depth=1
	ds_read_b32 v5, v46
	v_cmp_ne_u32_e32 vcc, 0, v78
	s_waitcnt lgkmcnt(0)
	v_mov_b32_dpp v6, v5 row_shr:1 row_mask:0xf bank_mask:0xf
	v_cndmask_b32_e32 v6, 0, v6, vcc
	v_add_u32_e32 v5, v6, v5
	v_cmp_lt_u32_e32 vcc, 1, v78
	s_nop 0
	v_mov_b32_dpp v6, v5 row_shr:2 row_mask:0xf bank_mask:0xf
	v_cndmask_b32_e32 v6, 0, v6, vcc
	v_add_u32_e32 v5, v5, v6
	ds_write_b32 v46, v5
.LBB1359_393:                           ;   in Loop: Header=BB1359_17 Depth=1
	s_or_b64 exec, exec, s[28:29]
	v_mov_b32_e32 v5, 0
	s_waitcnt lgkmcnt(0)
	s_barrier
	s_and_saveexec_b64 s[28:29], s[10:11]
; %bb.394:                              ;   in Loop: Header=BB1359_17 Depth=1
	ds_read_b32 v5, v47
; %bb.395:                              ;   in Loop: Header=BB1359_17 Depth=1
	s_or_b64 exec, exec, s[28:29]
	v_subrev_co_u32_e64 v6, s[28:29], 1, v74
	v_and_b32_e32 v7, 64, v74
	v_cmp_lt_i32_e32 vcc, v6, v7
	v_cndmask_b32_e32 v6, v6, v74, vcc
	s_waitcnt lgkmcnt(0)
	v_add_u32_e32 v4, v5, v4
	v_lshlrev_b32_e32 v79, 2, v6
	ds_bpermute_b32 v4, v79, v4
	s_waitcnt lgkmcnt(0)
	s_barrier
	s_and_saveexec_b64 s[30:31], s[4:5]
; %bb.396:                              ;   in Loop: Header=BB1359_17 Depth=1
	v_cndmask_b32_e64 v4, v4, v5, s[28:29]
	v_add_u32_e32 v4, s51, v4
	ds_write_b32 v32, v4
; %bb.397:                              ;   in Loop: Header=BB1359_17 Depth=1
	s_or_b64 exec, exec, s[30:31]
	s_load_dwordx2 s[30:31], s[56:57], 0x0
	v_and_b32_e32 v13, 63, v74
	v_lshlrev_b32_e32 v14, 3, v13
	v_or_b32_e32 v84, v13, v48
	v_lshlrev_b32_e32 v15, 2, v13
	s_waitcnt lgkmcnt(0)
	s_cmp_lt_u32 s33, s31
	s_cselect_b32 s31, 14, 20
	s_add_u32 s34, s56, s31
	s_addc_u32 s35, s57, 0
	s_cmp_lt_u32 s50, s30
	s_cselect_b32 s30, 12, 18
	s_add_u32 s30, s56, s30
	global_load_ushort v4, v3, s[34:35]
	s_addc_u32 s31, s57, 0
	global_load_ushort v12, v3, s[30:31]
	v_add_co_u32_e32 v87, vcc, v63, v14
	v_addc_co_u32_e32 v89, vcc, 0, v64, vcc
	v_add_co_u32_e32 v98, vcc, v65, v15
	v_cmp_eq_u32_e64 s[30:31], 0, v78
	v_cmp_lt_u32_e64 s[34:35], 1, v78
	s_mov_b32 s71, s79
	v_or_b32_e32 v91, 64, v84
	v_or_b32_e32 v92, 0x80, v84
	v_or_b32_e32 v93, 0xc0, v84
	v_or_b32_e32 v94, 0x100, v84
	v_or_b32_e32 v95, 0x140, v84
	v_or_b32_e32 v96, 0x180, v84
	v_or_b32_e32 v97, 0x1c0, v84
	v_addc_co_u32_e32 v99, vcc, 0, v66, vcc
	s_mov_b32 s58, s51
                                        ; implicit-def: $vgpr5_vgpr6
                                        ; implicit-def: $vgpr7_vgpr8
                                        ; implicit-def: $vgpr9_vgpr10
                                        ; implicit-def: $vgpr20_vgpr21
                                        ; implicit-def: $vgpr22_vgpr23
                                        ; implicit-def: $vgpr24_vgpr25
                                        ; implicit-def: $vgpr26_vgpr27
                                        ; implicit-def: $vgpr28_vgpr29
                                        ; implicit-def: $vgpr80
                                        ; implicit-def: $vgpr81
                                        ; implicit-def: $vgpr82
                                        ; implicit-def: $vgpr83
                                        ; implicit-def: $vgpr85
                                        ; implicit-def: $vgpr86
                                        ; implicit-def: $vgpr88
                                        ; implicit-def: $vgpr90
	s_waitcnt vmcnt(1)
	v_mad_u32_u24 v4, v2, v4, v1
	s_waitcnt vmcnt(0)
	v_mad_u64_u32 v[12:13], s[36:37], v4, v12, v[0:1]
	v_lshrrev_b32_e32 v4, 4, v12
	v_and_b32_e32 v100, 0xffffffc, v4
	s_branch .LBB1359_399
.LBB1359_398:                           ;   in Loop: Header=BB1359_399 Depth=2
	s_or_b64 exec, exec, s[36:37]
	s_addk_i32 s71, 0xf800
	s_cmp_lt_u32 s76, s80
	s_mov_b32 s58, s76
	s_cbranch_scc0 .LBB1359_511
.LBB1359_399:                           ;   Parent Loop BB1359_17 Depth=1
                                        ; =>  This Inner Loop Header: Depth=2
	s_add_i32 s76, s58, 0x800
	s_cmp_gt_u32 s76, s80
	s_cbranch_scc1 .LBB1359_401
; %bb.400:                              ;   in Loop: Header=BB1359_399 Depth=2
	s_lshl_b64 s[36:37], s[58:59], 2
	v_mov_b32_e32 v4, s37
	v_add_co_u32_e32 v18, vcc, s36, v98
	v_addc_co_u32_e32 v19, vcc, v99, v4, vcc
	global_load_dword v12, v[18:19], off
	global_load_dword v13, v[18:19], off offset:256
	global_load_dword v14, v[18:19], off offset:512
	;; [unrolled: 1-line block ×5, first 2 shown]
	s_nop 0
	global_load_dword v18, v[18:19], off offset:1536
	s_mov_b64 s[36:37], -1
	s_movk_i32 s40, 0x800
	s_cbranch_execz .LBB1359_402
	s_branch .LBB1359_411
.LBB1359_401:                           ;   in Loop: Header=BB1359_399 Depth=2
	s_mov_b64 s[36:37], 0
                                        ; implicit-def: $vgpr12_vgpr13_vgpr14_vgpr15_vgpr16_vgpr17_vgpr18_vgpr19
	s_movk_i32 s40, 0x800
.LBB1359_402:                           ;   in Loop: Header=BB1359_399 Depth=2
	s_lshl_b64 s[36:37], s[58:59], 2
	v_mov_b32_e32 v4, s37
	v_add_co_u32_e32 v30, vcc, s36, v98
	s_waitcnt vmcnt(6)
	v_mov_b32_e32 v12, v11
	s_waitcnt vmcnt(5)
	v_mov_b32_e32 v13, v11
	;; [unrolled: 2-line block ×7, first 2 shown]
	v_addc_co_u32_e32 v31, vcc, v99, v4, vcc
	v_mov_b32_e32 v19, v18
	v_cmp_gt_u32_e32 vcc, s71, v84
	v_mov_b32_e32 v18, v17
	v_mov_b32_e32 v17, v16
	;; [unrolled: 1-line block ×7, first 2 shown]
	s_and_saveexec_b64 s[36:37], vcc
	s_cbranch_execnz .LBB1359_505
; %bb.403:                              ;   in Loop: Header=BB1359_399 Depth=2
	s_or_b64 exec, exec, s[36:37]
	v_cmp_gt_u32_e32 vcc, s71, v91
	s_and_saveexec_b64 s[36:37], vcc
	s_cbranch_execnz .LBB1359_506
.LBB1359_404:                           ;   in Loop: Header=BB1359_399 Depth=2
	s_or_b64 exec, exec, s[36:37]
	v_cmp_gt_u32_e32 vcc, s71, v92
	s_and_saveexec_b64 s[36:37], vcc
	s_cbranch_execnz .LBB1359_507
.LBB1359_405:                           ;   in Loop: Header=BB1359_399 Depth=2
	s_or_b64 exec, exec, s[36:37]
	v_cmp_gt_u32_e32 vcc, s71, v93
	s_and_saveexec_b64 s[36:37], vcc
	s_cbranch_execnz .LBB1359_508
.LBB1359_406:                           ;   in Loop: Header=BB1359_399 Depth=2
	s_or_b64 exec, exec, s[36:37]
	v_cmp_gt_u32_e32 vcc, s71, v94
	s_and_saveexec_b64 s[36:37], vcc
	s_cbranch_execnz .LBB1359_509
.LBB1359_407:                           ;   in Loop: Header=BB1359_399 Depth=2
	s_or_b64 exec, exec, s[36:37]
	v_cmp_gt_u32_e32 vcc, s71, v95
	s_and_saveexec_b64 s[36:37], vcc
	s_cbranch_execnz .LBB1359_510
.LBB1359_408:                           ;   in Loop: Header=BB1359_399 Depth=2
	s_or_b64 exec, exec, s[36:37]
	v_cmp_gt_u32_e32 vcc, s71, v96
	s_and_saveexec_b64 s[36:37], vcc
	s_cbranch_execz .LBB1359_410
.LBB1359_409:                           ;   in Loop: Header=BB1359_399 Depth=2
	global_load_dword v18, v[30:31], off offset:1536
.LBB1359_410:                           ;   in Loop: Header=BB1359_399 Depth=2
	s_or_b64 exec, exec, s[36:37]
	s_sub_i32 s40, s80, s58
	v_cmp_gt_u32_e64 s[36:37], s71, v97
.LBB1359_411:                           ;   in Loop: Header=BB1359_399 Depth=2
	v_mov_b32_e32 v101, s71
	s_and_saveexec_b64 s[38:39], s[36:37]
	s_cbranch_execz .LBB1359_413
; %bb.412:                              ;   in Loop: Header=BB1359_399 Depth=2
	s_lshl_b64 s[36:37], s[58:59], 2
	v_mov_b32_e32 v4, s37
	v_add_co_u32_e32 v30, vcc, s36, v98
	v_addc_co_u32_e32 v31, vcc, v99, v4, vcc
	global_load_dword v19, v[30:31], off offset:1792
	v_mov_b32_e32 v101, s40
.LBB1359_413:                           ;   in Loop: Header=BB1359_399 Depth=2
	s_or_b64 exec, exec, s[38:39]
	s_waitcnt vmcnt(0)
	v_cmp_gt_i32_e32 vcc, 0, v12
	v_cndmask_b32_e64 v4, v73, 0, vcc
	v_xor_b32_e32 v102, v4, v12
	v_cmp_ne_u32_e32 vcc, s62, v102
	v_cndmask_b32_e32 v4, v73, v102, vcc
	v_lshrrev_b32_e32 v4, s77, v4
	v_and_b32_e32 v12, s70, v4
	v_and_b32_e32 v4, 1, v12
	v_add_co_u32_e32 v30, vcc, -1, v4
	v_addc_co_u32_e64 v31, s[36:37], 0, -1, vcc
	v_cmp_ne_u32_e32 vcc, 0, v4
	v_xor_b32_e32 v4, vcc_hi, v31
	v_and_b32_e32 v31, exec_hi, v4
	v_lshlrev_b32_e32 v4, 30, v12
	v_xor_b32_e32 v30, vcc_lo, v30
	v_cmp_gt_i64_e32 vcc, 0, v[3:4]
	v_not_b32_e32 v4, v4
	v_ashrrev_i32_e32 v4, 31, v4
	v_and_b32_e32 v30, exec_lo, v30
	v_xor_b32_e32 v105, vcc_hi, v4
	v_xor_b32_e32 v4, vcc_lo, v4
	v_and_b32_e32 v30, v30, v4
	v_lshlrev_b32_e32 v4, 29, v12
	v_cmp_gt_i64_e32 vcc, 0, v[3:4]
	v_not_b32_e32 v4, v4
	v_ashrrev_i32_e32 v4, 31, v4
	v_and_b32_e32 v31, v31, v105
	v_xor_b32_e32 v105, vcc_hi, v4
	v_xor_b32_e32 v4, vcc_lo, v4
	v_and_b32_e32 v30, v30, v4
	v_lshlrev_b32_e32 v4, 28, v12
	v_cmp_gt_i64_e32 vcc, 0, v[3:4]
	v_not_b32_e32 v4, v4
	v_ashrrev_i32_e32 v4, 31, v4
	v_and_b32_e32 v31, v31, v105
	v_xor_b32_e32 v105, vcc_hi, v4
	v_xor_b32_e32 v4, vcc_lo, v4
	v_and_b32_e32 v30, v30, v4
	v_lshlrev_b32_e32 v4, 27, v12
	v_cmp_gt_i64_e32 vcc, 0, v[3:4]
	v_not_b32_e32 v4, v4
	v_ashrrev_i32_e32 v4, 31, v4
	v_and_b32_e32 v31, v31, v105
	v_xor_b32_e32 v105, vcc_hi, v4
	v_xor_b32_e32 v4, vcc_lo, v4
	v_and_b32_e32 v30, v30, v4
	v_lshlrev_b32_e32 v4, 26, v12
	v_cmp_gt_i64_e32 vcc, 0, v[3:4]
	v_not_b32_e32 v4, v4
	v_ashrrev_i32_e32 v4, 31, v4
	v_and_b32_e32 v31, v31, v105
	v_xor_b32_e32 v105, vcc_hi, v4
	v_xor_b32_e32 v4, vcc_lo, v4
	v_and_b32_e32 v30, v30, v4
	v_lshlrev_b32_e32 v4, 25, v12
	v_cmp_gt_i64_e32 vcc, 0, v[3:4]
	v_not_b32_e32 v4, v4
	v_ashrrev_i32_e32 v4, 31, v4
	v_and_b32_e32 v31, v31, v105
	v_xor_b32_e32 v105, vcc_hi, v4
	v_xor_b32_e32 v4, vcc_lo, v4
	v_and_b32_e32 v30, v30, v4
	v_lshlrev_b32_e32 v4, 24, v12
	v_cmp_gt_i64_e32 vcc, 0, v[3:4]
	v_not_b32_e32 v4, v4
	v_ashrrev_i32_e32 v4, 31, v4
	v_mul_u32_u24_e32 v106, 20, v12
	v_xor_b32_e32 v12, vcc_hi, v4
	v_xor_b32_e32 v4, vcc_lo, v4
	v_and_b32_e32 v31, v31, v105
	v_and_b32_e32 v30, v30, v4
	v_and_b32_e32 v31, v31, v12
	v_mbcnt_lo_u32_b32 v4, v30, 0
	v_mbcnt_hi_u32_b32 v105, v31, v4
	v_cmp_ne_u64_e32 vcc, 0, v[30:31]
	v_cmp_eq_u32_e64 s[36:37], 0, v105
	v_add_u32_e32 v104, 0x410, v49
	v_add_u32_e32 v103, 0x418, v49
	s_and_b64 s[38:39], vcc, s[36:37]
	v_add_u32_e32 v106, v100, v106
	ds_write2_b32 v104, v3, v3 offset1:1
	ds_write2_b32 v103, v3, v3 offset1:1
	ds_write_b32 v49, v3 offset:1056
	s_waitcnt lgkmcnt(0)
	s_barrier
	; wave barrier
	s_and_saveexec_b64 s[36:37], s[38:39]
; %bb.414:                              ;   in Loop: Header=BB1359_399 Depth=2
	v_bcnt_u32_b32 v4, v30, 0
	v_bcnt_u32_b32 v4, v31, v4
	ds_write_b32 v106, v4 offset:1040
; %bb.415:                              ;   in Loop: Header=BB1359_399 Depth=2
	s_or_b64 exec, exec, s[36:37]
	v_cmp_gt_i32_e32 vcc, 0, v13
	v_cndmask_b32_e64 v4, v73, 0, vcc
	v_xor_b32_e32 v30, v4, v13
	v_cmp_ne_u32_e32 vcc, s62, v30
	v_cndmask_b32_e32 v4, v73, v30, vcc
	v_lshrrev_b32_e32 v4, s77, v4
	v_and_b32_e32 v12, s70, v4
	v_mad_u32_u24 v4, v12, 20, v100
	; wave barrier
	ds_read_b32 v31, v4 offset:1040
	v_and_b32_e32 v4, 1, v12
	v_add_co_u32_e32 v13, vcc, -1, v4
	v_addc_co_u32_e64 v107, s[36:37], 0, -1, vcc
	v_cmp_ne_u32_e32 vcc, 0, v4
	v_xor_b32_e32 v4, vcc_hi, v107
	v_and_b32_e32 v107, exec_hi, v4
	v_lshlrev_b32_e32 v4, 30, v12
	v_xor_b32_e32 v13, vcc_lo, v13
	v_cmp_gt_i64_e32 vcc, 0, v[3:4]
	v_not_b32_e32 v4, v4
	v_ashrrev_i32_e32 v4, 31, v4
	v_and_b32_e32 v13, exec_lo, v13
	v_xor_b32_e32 v109, vcc_hi, v4
	v_xor_b32_e32 v4, vcc_lo, v4
	v_and_b32_e32 v13, v13, v4
	v_lshlrev_b32_e32 v4, 29, v12
	v_cmp_gt_i64_e32 vcc, 0, v[3:4]
	v_not_b32_e32 v4, v4
	v_ashrrev_i32_e32 v4, 31, v4
	v_and_b32_e32 v107, v107, v109
	v_xor_b32_e32 v109, vcc_hi, v4
	v_xor_b32_e32 v4, vcc_lo, v4
	v_and_b32_e32 v13, v13, v4
	v_lshlrev_b32_e32 v4, 28, v12
	v_cmp_gt_i64_e32 vcc, 0, v[3:4]
	v_not_b32_e32 v4, v4
	v_ashrrev_i32_e32 v4, 31, v4
	v_and_b32_e32 v107, v107, v109
	;; [unrolled: 8-line block ×5, first 2 shown]
	v_xor_b32_e32 v109, vcc_hi, v4
	v_xor_b32_e32 v4, vcc_lo, v4
	v_and_b32_e32 v107, v107, v109
	v_and_b32_e32 v109, v13, v4
	v_lshlrev_b32_e32 v4, 24, v12
	v_cmp_gt_i64_e32 vcc, 0, v[3:4]
	v_not_b32_e32 v4, v4
	v_ashrrev_i32_e32 v4, 31, v4
	v_mul_u32_u24_e32 v108, 20, v12
	v_xor_b32_e32 v12, vcc_hi, v4
	v_xor_b32_e32 v4, vcc_lo, v4
	v_and_b32_e32 v13, v107, v12
	v_and_b32_e32 v12, v109, v4
	v_mbcnt_lo_u32_b32 v4, v12, 0
	v_mbcnt_hi_u32_b32 v107, v13, v4
	v_cmp_ne_u64_e32 vcc, 0, v[12:13]
	v_cmp_eq_u32_e64 s[36:37], 0, v107
	s_and_b64 s[38:39], vcc, s[36:37]
	v_add_u32_e32 v110, v100, v108
	; wave barrier
	s_and_saveexec_b64 s[36:37], s[38:39]
	s_cbranch_execz .LBB1359_417
; %bb.416:                              ;   in Loop: Header=BB1359_399 Depth=2
	v_bcnt_u32_b32 v4, v12, 0
	v_bcnt_u32_b32 v4, v13, v4
	s_waitcnt lgkmcnt(0)
	v_add_u32_e32 v4, v31, v4
	ds_write_b32 v110, v4 offset:1040
.LBB1359_417:                           ;   in Loop: Header=BB1359_399 Depth=2
	s_or_b64 exec, exec, s[36:37]
	v_cmp_gt_i32_e32 vcc, 0, v14
	v_cndmask_b32_e64 v4, v73, 0, vcc
	v_xor_b32_e32 v108, v4, v14
	v_cmp_ne_u32_e32 vcc, s62, v108
	v_cndmask_b32_e32 v4, v73, v108, vcc
	v_lshrrev_b32_e32 v4, s77, v4
	v_and_b32_e32 v12, s70, v4
	v_mad_u32_u24 v4, v12, 20, v100
	; wave barrier
	ds_read_b32 v109, v4 offset:1040
	v_and_b32_e32 v4, 1, v12
	v_add_co_u32_e32 v13, vcc, -1, v4
	v_addc_co_u32_e64 v111, s[36:37], 0, -1, vcc
	v_cmp_ne_u32_e32 vcc, 0, v4
	v_xor_b32_e32 v4, vcc_hi, v111
	v_and_b32_e32 v111, exec_hi, v4
	v_lshlrev_b32_e32 v4, 30, v12
	v_xor_b32_e32 v13, vcc_lo, v13
	v_cmp_gt_i64_e32 vcc, 0, v[3:4]
	v_not_b32_e32 v4, v4
	v_ashrrev_i32_e32 v4, 31, v4
	v_and_b32_e32 v13, exec_lo, v13
	v_xor_b32_e32 v112, vcc_hi, v4
	v_xor_b32_e32 v4, vcc_lo, v4
	v_and_b32_e32 v13, v13, v4
	v_lshlrev_b32_e32 v4, 29, v12
	v_cmp_gt_i64_e32 vcc, 0, v[3:4]
	v_not_b32_e32 v4, v4
	v_ashrrev_i32_e32 v4, 31, v4
	v_and_b32_e32 v111, v111, v112
	v_xor_b32_e32 v112, vcc_hi, v4
	v_xor_b32_e32 v4, vcc_lo, v4
	v_and_b32_e32 v13, v13, v4
	v_lshlrev_b32_e32 v4, 28, v12
	v_cmp_gt_i64_e32 vcc, 0, v[3:4]
	v_not_b32_e32 v4, v4
	v_ashrrev_i32_e32 v4, 31, v4
	v_and_b32_e32 v111, v111, v112
	;; [unrolled: 8-line block ×5, first 2 shown]
	v_xor_b32_e32 v112, vcc_hi, v4
	v_xor_b32_e32 v4, vcc_lo, v4
	v_and_b32_e32 v111, v111, v112
	v_and_b32_e32 v112, v13, v4
	v_lshlrev_b32_e32 v4, 24, v12
	v_cmp_gt_i64_e32 vcc, 0, v[3:4]
	v_not_b32_e32 v4, v4
	v_ashrrev_i32_e32 v4, 31, v4
	v_mul_u32_u24_e32 v14, 20, v12
	v_xor_b32_e32 v12, vcc_hi, v4
	v_xor_b32_e32 v4, vcc_lo, v4
	v_and_b32_e32 v13, v111, v12
	v_and_b32_e32 v12, v112, v4
	v_mbcnt_lo_u32_b32 v4, v12, 0
	v_mbcnt_hi_u32_b32 v111, v13, v4
	v_cmp_ne_u64_e32 vcc, 0, v[12:13]
	v_cmp_eq_u32_e64 s[36:37], 0, v111
	s_and_b64 s[38:39], vcc, s[36:37]
	v_add_u32_e32 v114, v100, v14
	; wave barrier
	s_and_saveexec_b64 s[36:37], s[38:39]
	s_cbranch_execz .LBB1359_419
; %bb.418:                              ;   in Loop: Header=BB1359_399 Depth=2
	v_bcnt_u32_b32 v4, v12, 0
	v_bcnt_u32_b32 v4, v13, v4
	s_waitcnt lgkmcnt(0)
	v_add_u32_e32 v4, v109, v4
	ds_write_b32 v114, v4 offset:1040
.LBB1359_419:                           ;   in Loop: Header=BB1359_399 Depth=2
	s_or_b64 exec, exec, s[36:37]
	v_cmp_gt_i32_e32 vcc, 0, v15
	v_cndmask_b32_e64 v4, v73, 0, vcc
	v_xor_b32_e32 v112, v4, v15
	v_cmp_ne_u32_e32 vcc, s62, v112
	v_cndmask_b32_e32 v4, v73, v112, vcc
	v_lshrrev_b32_e32 v4, s77, v4
	v_and_b32_e32 v12, s70, v4
	v_mad_u32_u24 v4, v12, 20, v100
	; wave barrier
	ds_read_b32 v113, v4 offset:1040
	v_and_b32_e32 v4, 1, v12
	v_add_co_u32_e32 v13, vcc, -1, v4
	v_addc_co_u32_e64 v15, s[36:37], 0, -1, vcc
	v_cmp_ne_u32_e32 vcc, 0, v4
	v_xor_b32_e32 v4, vcc_hi, v15
	v_and_b32_e32 v15, exec_hi, v4
	v_lshlrev_b32_e32 v4, 30, v12
	v_xor_b32_e32 v13, vcc_lo, v13
	v_cmp_gt_i64_e32 vcc, 0, v[3:4]
	v_not_b32_e32 v4, v4
	v_ashrrev_i32_e32 v4, 31, v4
	v_and_b32_e32 v13, exec_lo, v13
	v_xor_b32_e32 v115, vcc_hi, v4
	v_xor_b32_e32 v4, vcc_lo, v4
	v_and_b32_e32 v13, v13, v4
	v_lshlrev_b32_e32 v4, 29, v12
	v_cmp_gt_i64_e32 vcc, 0, v[3:4]
	v_not_b32_e32 v4, v4
	v_ashrrev_i32_e32 v4, 31, v4
	v_and_b32_e32 v15, v15, v115
	v_xor_b32_e32 v115, vcc_hi, v4
	v_xor_b32_e32 v4, vcc_lo, v4
	v_and_b32_e32 v13, v13, v4
	v_lshlrev_b32_e32 v4, 28, v12
	v_cmp_gt_i64_e32 vcc, 0, v[3:4]
	v_not_b32_e32 v4, v4
	v_ashrrev_i32_e32 v4, 31, v4
	v_and_b32_e32 v15, v15, v115
	;; [unrolled: 8-line block ×5, first 2 shown]
	v_xor_b32_e32 v115, vcc_hi, v4
	v_xor_b32_e32 v4, vcc_lo, v4
	v_and_b32_e32 v15, v15, v115
	v_and_b32_e32 v115, v13, v4
	v_lshlrev_b32_e32 v4, 24, v12
	v_cmp_gt_i64_e32 vcc, 0, v[3:4]
	v_not_b32_e32 v4, v4
	v_ashrrev_i32_e32 v4, 31, v4
	v_mul_u32_u24_e32 v14, 20, v12
	v_xor_b32_e32 v12, vcc_hi, v4
	v_xor_b32_e32 v4, vcc_lo, v4
	v_and_b32_e32 v13, v15, v12
	v_and_b32_e32 v12, v115, v4
	v_mbcnt_lo_u32_b32 v4, v12, 0
	v_mbcnt_hi_u32_b32 v115, v13, v4
	v_cmp_ne_u64_e32 vcc, 0, v[12:13]
	v_cmp_eq_u32_e64 s[36:37], 0, v115
	s_and_b64 s[38:39], vcc, s[36:37]
	v_add_u32_e32 v117, v100, v14
	; wave barrier
	s_and_saveexec_b64 s[36:37], s[38:39]
	s_cbranch_execz .LBB1359_421
; %bb.420:                              ;   in Loop: Header=BB1359_399 Depth=2
	v_bcnt_u32_b32 v4, v12, 0
	v_bcnt_u32_b32 v4, v13, v4
	s_waitcnt lgkmcnt(0)
	v_add_u32_e32 v4, v113, v4
	ds_write_b32 v117, v4 offset:1040
.LBB1359_421:                           ;   in Loop: Header=BB1359_399 Depth=2
	s_or_b64 exec, exec, s[36:37]
	v_cmp_gt_i32_e32 vcc, 0, v16
	v_cndmask_b32_e64 v4, v73, 0, vcc
	v_xor_b32_e32 v116, v4, v16
	v_cmp_ne_u32_e32 vcc, s62, v116
	v_cndmask_b32_e32 v4, v73, v116, vcc
	v_lshrrev_b32_e32 v4, s77, v4
	v_and_b32_e32 v12, s70, v4
	v_mad_u32_u24 v4, v12, 20, v100
	; wave barrier
	ds_read_b32 v16, v4 offset:1040
	v_and_b32_e32 v4, 1, v12
	v_add_co_u32_e32 v13, vcc, -1, v4
	v_addc_co_u32_e64 v15, s[36:37], 0, -1, vcc
	v_cmp_ne_u32_e32 vcc, 0, v4
	v_xor_b32_e32 v4, vcc_hi, v15
	v_and_b32_e32 v15, exec_hi, v4
	v_lshlrev_b32_e32 v4, 30, v12
	v_xor_b32_e32 v13, vcc_lo, v13
	v_cmp_gt_i64_e32 vcc, 0, v[3:4]
	v_not_b32_e32 v4, v4
	v_ashrrev_i32_e32 v4, 31, v4
	v_and_b32_e32 v13, exec_lo, v13
	v_xor_b32_e32 v118, vcc_hi, v4
	v_xor_b32_e32 v4, vcc_lo, v4
	v_and_b32_e32 v13, v13, v4
	v_lshlrev_b32_e32 v4, 29, v12
	v_cmp_gt_i64_e32 vcc, 0, v[3:4]
	v_not_b32_e32 v4, v4
	v_ashrrev_i32_e32 v4, 31, v4
	v_and_b32_e32 v15, v15, v118
	v_xor_b32_e32 v118, vcc_hi, v4
	v_xor_b32_e32 v4, vcc_lo, v4
	v_and_b32_e32 v13, v13, v4
	v_lshlrev_b32_e32 v4, 28, v12
	v_cmp_gt_i64_e32 vcc, 0, v[3:4]
	v_not_b32_e32 v4, v4
	v_ashrrev_i32_e32 v4, 31, v4
	v_and_b32_e32 v15, v15, v118
	;; [unrolled: 8-line block ×5, first 2 shown]
	v_xor_b32_e32 v118, vcc_hi, v4
	v_xor_b32_e32 v4, vcc_lo, v4
	v_and_b32_e32 v15, v15, v118
	v_and_b32_e32 v118, v13, v4
	v_lshlrev_b32_e32 v4, 24, v12
	v_cmp_gt_i64_e32 vcc, 0, v[3:4]
	v_not_b32_e32 v4, v4
	v_ashrrev_i32_e32 v4, 31, v4
	v_mul_u32_u24_e32 v14, 20, v12
	v_xor_b32_e32 v12, vcc_hi, v4
	v_xor_b32_e32 v4, vcc_lo, v4
	v_and_b32_e32 v13, v15, v12
	v_and_b32_e32 v12, v118, v4
	v_mbcnt_lo_u32_b32 v4, v12, 0
	v_mbcnt_hi_u32_b32 v118, v13, v4
	v_cmp_ne_u64_e32 vcc, 0, v[12:13]
	v_cmp_eq_u32_e64 s[36:37], 0, v118
	s_and_b64 s[38:39], vcc, s[36:37]
	v_add_u32_e32 v121, v100, v14
	; wave barrier
	s_and_saveexec_b64 s[36:37], s[38:39]
	s_cbranch_execz .LBB1359_423
; %bb.422:                              ;   in Loop: Header=BB1359_399 Depth=2
	v_bcnt_u32_b32 v4, v12, 0
	v_bcnt_u32_b32 v4, v13, v4
	s_waitcnt lgkmcnt(0)
	v_add_u32_e32 v4, v16, v4
	ds_write_b32 v121, v4 offset:1040
.LBB1359_423:                           ;   in Loop: Header=BB1359_399 Depth=2
	s_or_b64 exec, exec, s[36:37]
	v_cmp_gt_i32_e32 vcc, 0, v17
	v_cndmask_b32_e64 v4, v73, 0, vcc
	v_xor_b32_e32 v119, v4, v17
	v_cmp_ne_u32_e32 vcc, s62, v119
	v_cndmask_b32_e32 v4, v73, v119, vcc
	v_lshrrev_b32_e32 v4, s77, v4
	v_and_b32_e32 v12, s70, v4
	v_mad_u32_u24 v4, v12, 20, v100
	; wave barrier
	ds_read_b32 v120, v4 offset:1040
	v_and_b32_e32 v4, 1, v12
	v_add_co_u32_e32 v13, vcc, -1, v4
	v_addc_co_u32_e64 v15, s[36:37], 0, -1, vcc
	v_cmp_ne_u32_e32 vcc, 0, v4
	v_xor_b32_e32 v4, vcc_hi, v15
	v_and_b32_e32 v15, exec_hi, v4
	v_lshlrev_b32_e32 v4, 30, v12
	v_xor_b32_e32 v13, vcc_lo, v13
	v_cmp_gt_i64_e32 vcc, 0, v[3:4]
	v_not_b32_e32 v4, v4
	v_ashrrev_i32_e32 v4, 31, v4
	v_and_b32_e32 v13, exec_lo, v13
	v_xor_b32_e32 v17, vcc_hi, v4
	v_xor_b32_e32 v4, vcc_lo, v4
	v_and_b32_e32 v13, v13, v4
	v_lshlrev_b32_e32 v4, 29, v12
	v_cmp_gt_i64_e32 vcc, 0, v[3:4]
	v_not_b32_e32 v4, v4
	v_ashrrev_i32_e32 v4, 31, v4
	v_and_b32_e32 v15, v15, v17
	v_xor_b32_e32 v17, vcc_hi, v4
	v_xor_b32_e32 v4, vcc_lo, v4
	v_and_b32_e32 v13, v13, v4
	v_lshlrev_b32_e32 v4, 28, v12
	v_cmp_gt_i64_e32 vcc, 0, v[3:4]
	v_not_b32_e32 v4, v4
	v_ashrrev_i32_e32 v4, 31, v4
	v_and_b32_e32 v15, v15, v17
	;; [unrolled: 8-line block ×5, first 2 shown]
	v_xor_b32_e32 v17, vcc_hi, v4
	v_xor_b32_e32 v4, vcc_lo, v4
	v_and_b32_e32 v15, v15, v17
	v_and_b32_e32 v17, v13, v4
	v_lshlrev_b32_e32 v4, 24, v12
	v_cmp_gt_i64_e32 vcc, 0, v[3:4]
	v_not_b32_e32 v4, v4
	v_ashrrev_i32_e32 v4, 31, v4
	v_mul_u32_u24_e32 v14, 20, v12
	v_xor_b32_e32 v12, vcc_hi, v4
	v_xor_b32_e32 v4, vcc_lo, v4
	v_and_b32_e32 v13, v15, v12
	v_and_b32_e32 v12, v17, v4
	v_mbcnt_lo_u32_b32 v4, v12, 0
	v_mbcnt_hi_u32_b32 v122, v13, v4
	v_cmp_ne_u64_e32 vcc, 0, v[12:13]
	v_cmp_eq_u32_e64 s[36:37], 0, v122
	s_and_b64 s[38:39], vcc, s[36:37]
	v_add_u32_e32 v17, v100, v14
	; wave barrier
	s_and_saveexec_b64 s[36:37], s[38:39]
	s_cbranch_execz .LBB1359_425
; %bb.424:                              ;   in Loop: Header=BB1359_399 Depth=2
	v_bcnt_u32_b32 v4, v12, 0
	v_bcnt_u32_b32 v4, v13, v4
	s_waitcnt lgkmcnt(0)
	v_add_u32_e32 v4, v120, v4
	ds_write_b32 v17, v4 offset:1040
.LBB1359_425:                           ;   in Loop: Header=BB1359_399 Depth=2
	s_or_b64 exec, exec, s[36:37]
	v_cmp_gt_i32_e32 vcc, 0, v18
	v_cndmask_b32_e64 v4, v73, 0, vcc
	v_xor_b32_e32 v123, v4, v18
	v_cmp_ne_u32_e32 vcc, s62, v123
	v_cndmask_b32_e32 v4, v73, v123, vcc
	v_lshrrev_b32_e32 v4, s77, v4
	v_and_b32_e32 v12, s70, v4
	v_mad_u32_u24 v4, v12, 20, v100
	; wave barrier
	ds_read_b32 v124, v4 offset:1040
	v_and_b32_e32 v4, 1, v12
	v_add_co_u32_e32 v13, vcc, -1, v4
	v_addc_co_u32_e64 v15, s[36:37], 0, -1, vcc
	v_cmp_ne_u32_e32 vcc, 0, v4
	v_xor_b32_e32 v4, vcc_hi, v15
	v_and_b32_e32 v15, exec_hi, v4
	v_lshlrev_b32_e32 v4, 30, v12
	v_xor_b32_e32 v13, vcc_lo, v13
	v_cmp_gt_i64_e32 vcc, 0, v[3:4]
	v_not_b32_e32 v4, v4
	v_ashrrev_i32_e32 v4, 31, v4
	v_and_b32_e32 v13, exec_lo, v13
	v_xor_b32_e32 v18, vcc_hi, v4
	v_xor_b32_e32 v4, vcc_lo, v4
	v_and_b32_e32 v13, v13, v4
	v_lshlrev_b32_e32 v4, 29, v12
	v_cmp_gt_i64_e32 vcc, 0, v[3:4]
	v_not_b32_e32 v4, v4
	v_ashrrev_i32_e32 v4, 31, v4
	v_and_b32_e32 v15, v15, v18
	v_xor_b32_e32 v18, vcc_hi, v4
	v_xor_b32_e32 v4, vcc_lo, v4
	v_and_b32_e32 v13, v13, v4
	v_lshlrev_b32_e32 v4, 28, v12
	v_cmp_gt_i64_e32 vcc, 0, v[3:4]
	v_not_b32_e32 v4, v4
	v_ashrrev_i32_e32 v4, 31, v4
	v_and_b32_e32 v15, v15, v18
	;; [unrolled: 8-line block ×5, first 2 shown]
	v_xor_b32_e32 v18, vcc_hi, v4
	v_xor_b32_e32 v4, vcc_lo, v4
	v_and_b32_e32 v15, v15, v18
	v_and_b32_e32 v18, v13, v4
	v_lshlrev_b32_e32 v4, 24, v12
	v_cmp_gt_i64_e32 vcc, 0, v[3:4]
	v_not_b32_e32 v4, v4
	v_ashrrev_i32_e32 v4, 31, v4
	v_mul_u32_u24_e32 v14, 20, v12
	v_xor_b32_e32 v12, vcc_hi, v4
	v_xor_b32_e32 v4, vcc_lo, v4
	v_and_b32_e32 v13, v15, v12
	v_and_b32_e32 v12, v18, v4
	v_mbcnt_lo_u32_b32 v4, v12, 0
	v_mbcnt_hi_u32_b32 v125, v13, v4
	v_cmp_ne_u64_e32 vcc, 0, v[12:13]
	v_cmp_eq_u32_e64 s[36:37], 0, v125
	s_and_b64 s[38:39], vcc, s[36:37]
	v_add_u32_e32 v18, v100, v14
	; wave barrier
	s_and_saveexec_b64 s[36:37], s[38:39]
	s_cbranch_execz .LBB1359_427
; %bb.426:                              ;   in Loop: Header=BB1359_399 Depth=2
	v_bcnt_u32_b32 v4, v12, 0
	v_bcnt_u32_b32 v4, v13, v4
	s_waitcnt lgkmcnt(0)
	v_add_u32_e32 v4, v124, v4
	ds_write_b32 v18, v4 offset:1040
.LBB1359_427:                           ;   in Loop: Header=BB1359_399 Depth=2
	s_or_b64 exec, exec, s[36:37]
	v_cmp_gt_i32_e32 vcc, 0, v19
	v_cndmask_b32_e64 v4, v73, 0, vcc
	v_xor_b32_e32 v126, v4, v19
	v_cmp_ne_u32_e32 vcc, s62, v126
	v_cndmask_b32_e32 v4, v73, v126, vcc
	v_lshrrev_b32_e32 v4, s77, v4
	v_and_b32_e32 v12, s70, v4
	v_mad_u32_u24 v4, v12, 20, v100
	; wave barrier
	ds_read_b32 v127, v4 offset:1040
	v_and_b32_e32 v4, 1, v12
	v_add_co_u32_e32 v13, vcc, -1, v4
	v_addc_co_u32_e64 v15, s[36:37], 0, -1, vcc
	v_cmp_ne_u32_e32 vcc, 0, v4
	v_xor_b32_e32 v4, vcc_hi, v15
	v_and_b32_e32 v15, exec_hi, v4
	v_lshlrev_b32_e32 v4, 30, v12
	v_xor_b32_e32 v13, vcc_lo, v13
	v_cmp_gt_i64_e32 vcc, 0, v[3:4]
	v_not_b32_e32 v4, v4
	v_ashrrev_i32_e32 v4, 31, v4
	v_and_b32_e32 v13, exec_lo, v13
	v_xor_b32_e32 v19, vcc_hi, v4
	v_xor_b32_e32 v4, vcc_lo, v4
	v_and_b32_e32 v13, v13, v4
	v_lshlrev_b32_e32 v4, 29, v12
	v_cmp_gt_i64_e32 vcc, 0, v[3:4]
	v_not_b32_e32 v4, v4
	v_ashrrev_i32_e32 v4, 31, v4
	v_and_b32_e32 v15, v15, v19
	v_xor_b32_e32 v19, vcc_hi, v4
	v_xor_b32_e32 v4, vcc_lo, v4
	v_and_b32_e32 v13, v13, v4
	v_lshlrev_b32_e32 v4, 28, v12
	v_cmp_gt_i64_e32 vcc, 0, v[3:4]
	v_not_b32_e32 v4, v4
	v_ashrrev_i32_e32 v4, 31, v4
	v_and_b32_e32 v15, v15, v19
	;; [unrolled: 8-line block ×5, first 2 shown]
	v_xor_b32_e32 v19, vcc_hi, v4
	v_xor_b32_e32 v4, vcc_lo, v4
	v_and_b32_e32 v15, v15, v19
	v_and_b32_e32 v19, v13, v4
	v_lshlrev_b32_e32 v4, 24, v12
	v_cmp_gt_i64_e32 vcc, 0, v[3:4]
	v_not_b32_e32 v4, v4
	v_ashrrev_i32_e32 v4, 31, v4
	v_mul_u32_u24_e32 v14, 20, v12
	v_xor_b32_e32 v12, vcc_hi, v4
	v_xor_b32_e32 v4, vcc_lo, v4
	v_and_b32_e32 v13, v15, v12
	v_and_b32_e32 v12, v19, v4
	v_mbcnt_lo_u32_b32 v4, v12, 0
	v_mbcnt_hi_u32_b32 v128, v13, v4
	v_cmp_ne_u64_e32 vcc, 0, v[12:13]
	v_cmp_eq_u32_e64 s[36:37], 0, v128
	s_and_b64 s[38:39], vcc, s[36:37]
	v_add_u32_e32 v4, v100, v14
	; wave barrier
	s_and_saveexec_b64 s[36:37], s[38:39]
	s_cbranch_execz .LBB1359_429
; %bb.428:                              ;   in Loop: Header=BB1359_399 Depth=2
	v_bcnt_u32_b32 v12, v12, 0
	v_bcnt_u32_b32 v12, v13, v12
	s_waitcnt lgkmcnt(0)
	v_add_u32_e32 v12, v127, v12
	ds_write_b32 v4, v12 offset:1040
.LBB1359_429:                           ;   in Loop: Header=BB1359_399 Depth=2
	s_or_b64 exec, exec, s[36:37]
	; wave barrier
	s_waitcnt lgkmcnt(0)
	s_barrier
	ds_read2_b32 v[14:15], v104 offset1:1
	ds_read2_b32 v[12:13], v103 offset1:1
	ds_read_b32 v19, v49 offset:1056
	s_waitcnt lgkmcnt(1)
	v_add3_u32 v129, v15, v14, v12
	s_waitcnt lgkmcnt(0)
	v_add3_u32 v19, v129, v13, v19
	s_nop 1
	v_mov_b32_dpp v129, v19 row_shr:1 row_mask:0xf bank_mask:0xf
	v_cndmask_b32_e64 v129, v129, 0, s[16:17]
	v_add_u32_e32 v19, v129, v19
	s_nop 1
	v_mov_b32_dpp v129, v19 row_shr:2 row_mask:0xf bank_mask:0xf
	v_cndmask_b32_e64 v129, 0, v129, s[18:19]
	v_add_u32_e32 v19, v19, v129
	s_nop 1
	v_mov_b32_dpp v129, v19 row_shr:4 row_mask:0xf bank_mask:0xf
	v_cndmask_b32_e64 v129, 0, v129, s[20:21]
	v_add_u32_e32 v19, v19, v129
	s_nop 1
	v_mov_b32_dpp v129, v19 row_shr:8 row_mask:0xf bank_mask:0xf
	v_cndmask_b32_e64 v129, 0, v129, s[22:23]
	v_add_u32_e32 v19, v19, v129
	s_nop 1
	v_mov_b32_dpp v129, v19 row_bcast:15 row_mask:0xf bank_mask:0xf
	v_cndmask_b32_e64 v129, v129, 0, s[24:25]
	v_add_u32_e32 v19, v19, v129
	s_nop 1
	v_mov_b32_dpp v129, v19 row_bcast:31 row_mask:0xf bank_mask:0xf
	v_cndmask_b32_e64 v129, 0, v129, s[26:27]
	v_add_u32_e32 v19, v19, v129
	s_and_saveexec_b64 s[36:37], s[6:7]
; %bb.430:                              ;   in Loop: Header=BB1359_399 Depth=2
	ds_write_b32 v44, v19 offset:1024
; %bb.431:                              ;   in Loop: Header=BB1359_399 Depth=2
	s_or_b64 exec, exec, s[36:37]
	s_waitcnt lgkmcnt(0)
	s_barrier
	s_and_saveexec_b64 s[36:37], s[8:9]
	s_cbranch_execz .LBB1359_433
; %bb.432:                              ;   in Loop: Header=BB1359_399 Depth=2
	ds_read_b32 v129, v50 offset:1024
	s_waitcnt lgkmcnt(0)
	s_nop 0
	v_mov_b32_dpp v130, v129 row_shr:1 row_mask:0xf bank_mask:0xf
	v_cndmask_b32_e64 v130, v130, 0, s[30:31]
	v_add_u32_e32 v129, v130, v129
	s_nop 1
	v_mov_b32_dpp v130, v129 row_shr:2 row_mask:0xf bank_mask:0xf
	v_cndmask_b32_e64 v130, 0, v130, s[34:35]
	v_add_u32_e32 v129, v129, v130
	ds_write_b32 v50, v129 offset:1024
.LBB1359_433:                           ;   in Loop: Header=BB1359_399 Depth=2
	s_or_b64 exec, exec, s[36:37]
	v_mov_b32_e32 v129, 0
	s_waitcnt lgkmcnt(0)
	s_barrier
	s_and_saveexec_b64 s[36:37], s[10:11]
; %bb.434:                              ;   in Loop: Header=BB1359_399 Depth=2
	ds_read_b32 v129, v44 offset:1020
; %bb.435:                              ;   in Loop: Header=BB1359_399 Depth=2
	s_or_b64 exec, exec, s[36:37]
	s_waitcnt lgkmcnt(0)
	v_add_u32_e32 v19, v129, v19
	ds_bpermute_b32 v19, v79, v19
	s_waitcnt lgkmcnt(0)
	v_cndmask_b32_e64 v19, v19, v129, s[28:29]
	v_cndmask_b32_e64 v19, v19, 0, s[12:13]
	v_add_u32_e32 v14, v19, v14
	v_add_u32_e32 v15, v14, v15
	;; [unrolled: 1-line block ×4, first 2 shown]
	ds_write2_b32 v104, v19, v14 offset1:1
	ds_write2_b32 v103, v15, v12 offset1:1
	ds_write_b32 v49, v13 offset:1056
	s_waitcnt lgkmcnt(0)
	s_barrier
	ds_read_b32 v12, v106 offset:1040
	ds_read_b32 v13, v110 offset:1040
	ds_read_b32 v14, v114 offset:1040
	ds_read_b32 v15, v117 offset:1040
	ds_read_b32 v104, v121 offset:1040
	ds_read_b32 v106, v17 offset:1040
	ds_read_b32 v110, v18 offset:1040
	ds_read_b32 v114, v4 offset:1040
	ds_read_b32 v17, v49 offset:1040
	v_mov_b32_e32 v4, 0x800
	s_and_saveexec_b64 s[36:37], s[14:15]
; %bb.436:                              ;   in Loop: Header=BB1359_399 Depth=2
	ds_read_b32 v4, v49 offset:1060
; %bb.437:                              ;   in Loop: Header=BB1359_399 Depth=2
	s_or_b64 exec, exec, s[36:37]
	s_waitcnt lgkmcnt(0)
	s_barrier
	s_and_saveexec_b64 s[36:37], s[4:5]
	s_cbranch_execz .LBB1359_439
; %bb.438:                              ;   in Loop: Header=BB1359_399 Depth=2
	ds_read_b32 v18, v32
	s_waitcnt lgkmcnt(0)
	v_sub_u32_e32 v17, v18, v17
	ds_write_b32 v32, v17
.LBB1359_439:                           ;   in Loop: Header=BB1359_399 Depth=2
	s_or_b64 exec, exec, s[36:37]
	v_add_u32_e32 v103, v12, v105
	v_add3_u32 v31, v107, v31, v13
	v_lshlrev_b32_e32 v12, 2, v103
	v_add3_u32 v19, v111, v109, v14
	ds_write_b32 v12, v102 offset:1024
	v_lshlrev_b32_e32 v12, 2, v31
	v_add3_u32 v18, v115, v113, v15
	ds_write_b32 v12, v30 offset:1024
	;; [unrolled: 3-line block ×6, first 2 shown]
	v_lshlrev_b32_e32 v12, 2, v15
	ds_write_b32 v12, v123 offset:1024
	v_lshlrev_b32_e32 v12, 2, v14
	v_cmp_lt_u32_e32 vcc, v0, v101
	ds_write_b32 v12, v126 offset:1024
	s_waitcnt lgkmcnt(0)
	s_barrier
	s_and_saveexec_b64 s[38:39], vcc
	s_cbranch_execnz .LBB1359_476
; %bb.440:                              ;   in Loop: Header=BB1359_399 Depth=2
	s_or_b64 exec, exec, s[38:39]
	v_cmp_lt_u32_e64 s[36:37], v33, v101
	s_and_saveexec_b64 s[40:41], s[36:37]
	s_cbranch_execnz .LBB1359_477
.LBB1359_441:                           ;   in Loop: Header=BB1359_399 Depth=2
	s_or_b64 exec, exec, s[40:41]
	v_cmp_lt_u32_e64 s[38:39], v34, v101
	s_and_saveexec_b64 s[42:43], s[38:39]
	s_cbranch_execnz .LBB1359_478
.LBB1359_442:                           ;   in Loop: Header=BB1359_399 Depth=2
	s_or_b64 exec, exec, s[42:43]
	v_cmp_lt_u32_e64 s[40:41], v35, v101
	s_and_saveexec_b64 s[44:45], s[40:41]
	s_cbranch_execnz .LBB1359_479
.LBB1359_443:                           ;   in Loop: Header=BB1359_399 Depth=2
	s_or_b64 exec, exec, s[44:45]
	v_cmp_lt_u32_e64 s[42:43], v38, v101
	s_and_saveexec_b64 s[46:47], s[42:43]
	s_cbranch_execnz .LBB1359_480
.LBB1359_444:                           ;   in Loop: Header=BB1359_399 Depth=2
	s_or_b64 exec, exec, s[46:47]
	v_cmp_lt_u32_e64 s[44:45], v39, v101
	s_and_saveexec_b64 s[48:49], s[44:45]
	s_cbranch_execnz .LBB1359_481
.LBB1359_445:                           ;   in Loop: Header=BB1359_399 Depth=2
	s_or_b64 exec, exec, s[48:49]
	v_cmp_lt_u32_e64 s[46:47], v40, v101
	s_and_saveexec_b64 s[52:53], s[46:47]
	s_cbranch_execnz .LBB1359_482
.LBB1359_446:                           ;   in Loop: Header=BB1359_399 Depth=2
	s_or_b64 exec, exec, s[52:53]
	v_cmp_lt_u32_e64 s[48:49], v41, v101
	s_and_saveexec_b64 s[60:61], s[48:49]
	s_cbranch_execz .LBB1359_448
.LBB1359_447:                           ;   in Loop: Header=BB1359_399 Depth=2
	ds_read_b32 v12, v50 offset:8192
	v_mov_b32_e32 v13, v3
	v_mov_b32_e32 v102, s67
	s_waitcnt lgkmcnt(0)
	v_cmp_ne_u32_e64 s[52:53], s62, v12
	v_cndmask_b32_e64 v30, v73, v12, s[52:53]
	v_lshrrev_b32_e32 v30, s77, v30
	v_and_b32_e32 v30, s70, v30
	v_lshlrev_b32_e32 v30, 2, v30
	ds_read_b32 v30, v30
	v_cmp_gt_i32_e64 s[52:53], 0, v12
	v_cndmask_b32_e64 v104, v73, 0, s[52:53]
	v_xor_b32_e32 v104, v104, v12
	s_waitcnt lgkmcnt(0)
	v_add_u32_e32 v12, v30, v41
	v_lshlrev_b64 v[12:13], 2, v[12:13]
	v_add_co_u32_e64 v12, s[52:53], s66, v12
	v_addc_co_u32_e64 v13, s[52:53], v102, v13, s[52:53]
	global_store_dword v[12:13], v104, off
.LBB1359_448:                           ;   in Loop: Header=BB1359_399 Depth=2
	s_or_b64 exec, exec, s[60:61]
	s_lshl_b64 s[52:53], s[58:59], 3
	v_mov_b32_e32 v13, s53
	v_add_co_u32_e64 v12, s[52:53], s52, v87
	v_addc_co_u32_e64 v13, s[52:53], v89, v13, s[52:53]
	v_cmp_lt_u32_e64 s[52:53], v84, v101
	s_and_saveexec_b64 s[60:61], s[52:53]
	s_xor_b64 s[52:53], exec, s[60:61]
	s_cbranch_execnz .LBB1359_483
; %bb.449:                              ;   in Loop: Header=BB1359_399 Depth=2
	s_or_b64 exec, exec, s[52:53]
	v_cmp_lt_u32_e64 s[52:53], v91, v101
	s_and_saveexec_b64 s[60:61], s[52:53]
	s_cbranch_execnz .LBB1359_484
.LBB1359_450:                           ;   in Loop: Header=BB1359_399 Depth=2
	s_or_b64 exec, exec, s[60:61]
	v_cmp_lt_u32_e64 s[52:53], v92, v101
	s_and_saveexec_b64 s[60:61], s[52:53]
	s_cbranch_execnz .LBB1359_485
.LBB1359_451:                           ;   in Loop: Header=BB1359_399 Depth=2
	s_or_b64 exec, exec, s[60:61]
	v_cmp_lt_u32_e64 s[52:53], v93, v101
	s_and_saveexec_b64 s[60:61], s[52:53]
	s_cbranch_execnz .LBB1359_486
.LBB1359_452:                           ;   in Loop: Header=BB1359_399 Depth=2
	s_or_b64 exec, exec, s[60:61]
	v_cmp_lt_u32_e64 s[52:53], v94, v101
	s_and_saveexec_b64 s[60:61], s[52:53]
	s_cbranch_execnz .LBB1359_487
.LBB1359_453:                           ;   in Loop: Header=BB1359_399 Depth=2
	s_or_b64 exec, exec, s[60:61]
	v_cmp_lt_u32_e64 s[52:53], v95, v101
	s_and_saveexec_b64 s[60:61], s[52:53]
	s_cbranch_execnz .LBB1359_488
.LBB1359_454:                           ;   in Loop: Header=BB1359_399 Depth=2
	s_or_b64 exec, exec, s[60:61]
	v_cmp_lt_u32_e64 s[52:53], v96, v101
	s_and_saveexec_b64 s[60:61], s[52:53]
	s_cbranch_execnz .LBB1359_489
.LBB1359_455:                           ;   in Loop: Header=BB1359_399 Depth=2
	s_or_b64 exec, exec, s[60:61]
	v_cmp_lt_u32_e64 s[52:53], v97, v101
	s_and_saveexec_b64 s[60:61], s[52:53]
	s_cbranch_execnz .LBB1359_490
.LBB1359_456:                           ;   in Loop: Header=BB1359_399 Depth=2
	s_or_b64 exec, exec, s[60:61]
	s_and_saveexec_b64 s[60:61], vcc
	s_cbranch_execnz .LBB1359_491
.LBB1359_457:                           ;   in Loop: Header=BB1359_399 Depth=2
	s_or_b64 exec, exec, s[60:61]
	s_and_saveexec_b64 s[60:61], s[36:37]
	s_cbranch_execnz .LBB1359_492
.LBB1359_458:                           ;   in Loop: Header=BB1359_399 Depth=2
	s_or_b64 exec, exec, s[60:61]
	s_and_saveexec_b64 s[60:61], s[38:39]
	s_cbranch_execnz .LBB1359_493
.LBB1359_459:                           ;   in Loop: Header=BB1359_399 Depth=2
	s_or_b64 exec, exec, s[60:61]
	s_and_saveexec_b64 s[60:61], s[40:41]
	s_cbranch_execnz .LBB1359_494
.LBB1359_460:                           ;   in Loop: Header=BB1359_399 Depth=2
	s_or_b64 exec, exec, s[60:61]
	s_and_saveexec_b64 s[60:61], s[42:43]
	s_cbranch_execnz .LBB1359_495
.LBB1359_461:                           ;   in Loop: Header=BB1359_399 Depth=2
	s_or_b64 exec, exec, s[60:61]
	s_and_saveexec_b64 s[60:61], s[44:45]
	s_cbranch_execnz .LBB1359_496
.LBB1359_462:                           ;   in Loop: Header=BB1359_399 Depth=2
	s_or_b64 exec, exec, s[60:61]
	s_and_saveexec_b64 s[60:61], s[46:47]
	s_cbranch_execnz .LBB1359_497
.LBB1359_463:                           ;   in Loop: Header=BB1359_399 Depth=2
	s_or_b64 exec, exec, s[60:61]
	s_and_saveexec_b64 s[60:61], s[48:49]
	s_cbranch_execz .LBB1359_465
.LBB1359_464:                           ;   in Loop: Header=BB1359_399 Depth=2
	ds_read_b32 v12, v50 offset:8192
	s_waitcnt lgkmcnt(0)
	v_cmp_ne_u32_e64 s[52:53], s62, v12
	v_cndmask_b32_e64 v12, v73, v12, s[52:53]
	v_lshrrev_b32_e32 v12, s77, v12
	v_and_b32_e32 v80, s70, v12
.LBB1359_465:                           ;   in Loop: Header=BB1359_399 Depth=2
	s_or_b64 exec, exec, s[60:61]
	v_lshlrev_b32_e32 v12, 3, v103
	s_waitcnt vmcnt(0)
	s_barrier
	ds_write_b64 v12, v[28:29] offset:1024
	v_lshlrev_b32_e32 v12, 3, v31
	ds_write_b64 v12, v[26:27] offset:1024
	v_lshlrev_b32_e32 v12, 3, v19
	;; [unrolled: 2-line block ×7, first 2 shown]
	ds_write_b64 v12, v[5:6] offset:1024
	s_waitcnt lgkmcnt(0)
	s_barrier
	s_and_saveexec_b64 s[52:53], vcc
	s_cbranch_execnz .LBB1359_498
; %bb.466:                              ;   in Loop: Header=BB1359_399 Depth=2
	s_or_b64 exec, exec, s[52:53]
	s_and_saveexec_b64 s[52:53], s[36:37]
	s_cbranch_execnz .LBB1359_499
.LBB1359_467:                           ;   in Loop: Header=BB1359_399 Depth=2
	s_or_b64 exec, exec, s[52:53]
	s_and_saveexec_b64 s[36:37], s[38:39]
	s_cbranch_execnz .LBB1359_500
.LBB1359_468:                           ;   in Loop: Header=BB1359_399 Depth=2
	s_or_b64 exec, exec, s[36:37]
	s_and_saveexec_b64 s[36:37], s[40:41]
	s_cbranch_execnz .LBB1359_501
.LBB1359_469:                           ;   in Loop: Header=BB1359_399 Depth=2
	s_or_b64 exec, exec, s[36:37]
	s_and_saveexec_b64 s[36:37], s[42:43]
	s_cbranch_execnz .LBB1359_502
.LBB1359_470:                           ;   in Loop: Header=BB1359_399 Depth=2
	s_or_b64 exec, exec, s[36:37]
	s_and_saveexec_b64 s[36:37], s[44:45]
	s_cbranch_execnz .LBB1359_503
.LBB1359_471:                           ;   in Loop: Header=BB1359_399 Depth=2
	s_or_b64 exec, exec, s[36:37]
	s_and_saveexec_b64 s[36:37], s[46:47]
	s_cbranch_execnz .LBB1359_504
.LBB1359_472:                           ;   in Loop: Header=BB1359_399 Depth=2
	s_or_b64 exec, exec, s[36:37]
	s_and_saveexec_b64 s[36:37], s[48:49]
	s_cbranch_execz .LBB1359_474
.LBB1359_473:                           ;   in Loop: Header=BB1359_399 Depth=2
	v_lshlrev_b32_e32 v12, 2, v80
	ds_read_b32 v14, v12
	v_add_u32_e32 v12, v50, v32
	ds_read_b64 v[12:13], v12 offset:15360
	v_mov_b32_e32 v15, v3
	v_mov_b32_e32 v16, s73
	s_waitcnt lgkmcnt(1)
	v_add_u32_e32 v14, v14, v41
	v_lshlrev_b64 v[14:15], 3, v[14:15]
	v_add_co_u32_e32 v14, vcc, s72, v14
	v_addc_co_u32_e32 v15, vcc, v16, v15, vcc
	s_waitcnt lgkmcnt(0)
	global_store_dwordx2 v[14:15], v[12:13], off
.LBB1359_474:                           ;   in Loop: Header=BB1359_399 Depth=2
	s_or_b64 exec, exec, s[36:37]
	s_waitcnt vmcnt(0)
	s_barrier
	s_and_saveexec_b64 s[36:37], s[4:5]
	s_cbranch_execz .LBB1359_398
; %bb.475:                              ;   in Loop: Header=BB1359_399 Depth=2
	ds_read_b32 v12, v32
	s_waitcnt lgkmcnt(0)
	v_add_u32_e32 v4, v12, v4
	ds_write_b32 v32, v4
	s_branch .LBB1359_398
.LBB1359_476:                           ;   in Loop: Header=BB1359_399 Depth=2
	ds_read_b32 v12, v50 offset:1024
	v_mov_b32_e32 v13, v3
	v_mov_b32_e32 v102, s67
	s_waitcnt lgkmcnt(0)
	v_cmp_ne_u32_e64 s[36:37], s62, v12
	v_cndmask_b32_e64 v30, v73, v12, s[36:37]
	v_lshrrev_b32_e32 v30, s77, v30
	v_and_b32_e32 v30, s70, v30
	v_lshlrev_b32_e32 v30, 2, v30
	ds_read_b32 v30, v30
	v_cmp_gt_i32_e64 s[36:37], 0, v12
	v_cndmask_b32_e64 v104, v73, 0, s[36:37]
	v_xor_b32_e32 v104, v104, v12
	s_waitcnt lgkmcnt(0)
	v_add_u32_e32 v12, v30, v0
	v_lshlrev_b64 v[12:13], 2, v[12:13]
	v_add_co_u32_e64 v12, s[36:37], s66, v12
	v_addc_co_u32_e64 v13, s[36:37], v102, v13, s[36:37]
	global_store_dword v[12:13], v104, off
	s_or_b64 exec, exec, s[38:39]
	v_cmp_lt_u32_e64 s[36:37], v33, v101
	s_and_saveexec_b64 s[40:41], s[36:37]
	s_cbranch_execz .LBB1359_441
.LBB1359_477:                           ;   in Loop: Header=BB1359_399 Depth=2
	ds_read_b32 v12, v50 offset:2048
	v_mov_b32_e32 v13, v3
	v_mov_b32_e32 v102, s67
	s_waitcnt lgkmcnt(0)
	v_cmp_ne_u32_e64 s[38:39], s62, v12
	v_cndmask_b32_e64 v30, v73, v12, s[38:39]
	v_lshrrev_b32_e32 v30, s77, v30
	v_and_b32_e32 v30, s70, v30
	v_lshlrev_b32_e32 v30, 2, v30
	ds_read_b32 v30, v30
	v_cmp_gt_i32_e64 s[38:39], 0, v12
	v_cndmask_b32_e64 v104, v73, 0, s[38:39]
	v_xor_b32_e32 v104, v104, v12
	s_waitcnt lgkmcnt(0)
	v_add_u32_e32 v12, v30, v33
	v_lshlrev_b64 v[12:13], 2, v[12:13]
	v_add_co_u32_e64 v12, s[38:39], s66, v12
	v_addc_co_u32_e64 v13, s[38:39], v102, v13, s[38:39]
	global_store_dword v[12:13], v104, off
	s_or_b64 exec, exec, s[40:41]
	v_cmp_lt_u32_e64 s[38:39], v34, v101
	s_and_saveexec_b64 s[42:43], s[38:39]
	s_cbranch_execz .LBB1359_442
.LBB1359_478:                           ;   in Loop: Header=BB1359_399 Depth=2
	ds_read_b32 v12, v50 offset:3072
	v_mov_b32_e32 v13, v3
	v_mov_b32_e32 v102, s67
	s_waitcnt lgkmcnt(0)
	v_cmp_ne_u32_e64 s[40:41], s62, v12
	v_cndmask_b32_e64 v30, v73, v12, s[40:41]
	v_lshrrev_b32_e32 v30, s77, v30
	v_and_b32_e32 v30, s70, v30
	v_lshlrev_b32_e32 v30, 2, v30
	ds_read_b32 v30, v30
	v_cmp_gt_i32_e64 s[40:41], 0, v12
	v_cndmask_b32_e64 v104, v73, 0, s[40:41]
	v_xor_b32_e32 v104, v104, v12
	s_waitcnt lgkmcnt(0)
	v_add_u32_e32 v12, v30, v34
	v_lshlrev_b64 v[12:13], 2, v[12:13]
	v_add_co_u32_e64 v12, s[40:41], s66, v12
	v_addc_co_u32_e64 v13, s[40:41], v102, v13, s[40:41]
	global_store_dword v[12:13], v104, off
	s_or_b64 exec, exec, s[42:43]
	v_cmp_lt_u32_e64 s[40:41], v35, v101
	s_and_saveexec_b64 s[44:45], s[40:41]
	s_cbranch_execz .LBB1359_443
.LBB1359_479:                           ;   in Loop: Header=BB1359_399 Depth=2
	ds_read_b32 v12, v50 offset:4096
	v_mov_b32_e32 v13, v3
	v_mov_b32_e32 v102, s67
	s_waitcnt lgkmcnt(0)
	v_cmp_ne_u32_e64 s[42:43], s62, v12
	v_cndmask_b32_e64 v30, v73, v12, s[42:43]
	v_lshrrev_b32_e32 v30, s77, v30
	v_and_b32_e32 v30, s70, v30
	v_lshlrev_b32_e32 v30, 2, v30
	ds_read_b32 v30, v30
	v_cmp_gt_i32_e64 s[42:43], 0, v12
	v_cndmask_b32_e64 v104, v73, 0, s[42:43]
	v_xor_b32_e32 v104, v104, v12
	s_waitcnt lgkmcnt(0)
	v_add_u32_e32 v12, v30, v35
	v_lshlrev_b64 v[12:13], 2, v[12:13]
	v_add_co_u32_e64 v12, s[42:43], s66, v12
	v_addc_co_u32_e64 v13, s[42:43], v102, v13, s[42:43]
	global_store_dword v[12:13], v104, off
	s_or_b64 exec, exec, s[44:45]
	v_cmp_lt_u32_e64 s[42:43], v38, v101
	s_and_saveexec_b64 s[46:47], s[42:43]
	s_cbranch_execz .LBB1359_444
.LBB1359_480:                           ;   in Loop: Header=BB1359_399 Depth=2
	ds_read_b32 v12, v50 offset:5120
	v_mov_b32_e32 v13, v3
	v_mov_b32_e32 v102, s67
	s_waitcnt lgkmcnt(0)
	v_cmp_ne_u32_e64 s[44:45], s62, v12
	v_cndmask_b32_e64 v30, v73, v12, s[44:45]
	v_lshrrev_b32_e32 v30, s77, v30
	v_and_b32_e32 v30, s70, v30
	v_lshlrev_b32_e32 v30, 2, v30
	ds_read_b32 v30, v30
	v_cmp_gt_i32_e64 s[44:45], 0, v12
	v_cndmask_b32_e64 v104, v73, 0, s[44:45]
	v_xor_b32_e32 v104, v104, v12
	s_waitcnt lgkmcnt(0)
	v_add_u32_e32 v12, v30, v38
	v_lshlrev_b64 v[12:13], 2, v[12:13]
	v_add_co_u32_e64 v12, s[44:45], s66, v12
	v_addc_co_u32_e64 v13, s[44:45], v102, v13, s[44:45]
	global_store_dword v[12:13], v104, off
	s_or_b64 exec, exec, s[46:47]
	v_cmp_lt_u32_e64 s[44:45], v39, v101
	s_and_saveexec_b64 s[48:49], s[44:45]
	s_cbranch_execz .LBB1359_445
.LBB1359_481:                           ;   in Loop: Header=BB1359_399 Depth=2
	ds_read_b32 v12, v50 offset:6144
	v_mov_b32_e32 v13, v3
	v_mov_b32_e32 v102, s67
	s_waitcnt lgkmcnt(0)
	v_cmp_ne_u32_e64 s[46:47], s62, v12
	v_cndmask_b32_e64 v30, v73, v12, s[46:47]
	v_lshrrev_b32_e32 v30, s77, v30
	v_and_b32_e32 v30, s70, v30
	v_lshlrev_b32_e32 v30, 2, v30
	ds_read_b32 v30, v30
	v_cmp_gt_i32_e64 s[46:47], 0, v12
	v_cndmask_b32_e64 v104, v73, 0, s[46:47]
	v_xor_b32_e32 v104, v104, v12
	s_waitcnt lgkmcnt(0)
	v_add_u32_e32 v12, v30, v39
	v_lshlrev_b64 v[12:13], 2, v[12:13]
	v_add_co_u32_e64 v12, s[46:47], s66, v12
	v_addc_co_u32_e64 v13, s[46:47], v102, v13, s[46:47]
	global_store_dword v[12:13], v104, off
	s_or_b64 exec, exec, s[48:49]
	v_cmp_lt_u32_e64 s[46:47], v40, v101
	s_and_saveexec_b64 s[52:53], s[46:47]
	s_cbranch_execz .LBB1359_446
.LBB1359_482:                           ;   in Loop: Header=BB1359_399 Depth=2
	ds_read_b32 v12, v50 offset:7168
	v_mov_b32_e32 v13, v3
	v_mov_b32_e32 v102, s67
	s_waitcnt lgkmcnt(0)
	v_cmp_ne_u32_e64 s[48:49], s62, v12
	v_cndmask_b32_e64 v30, v73, v12, s[48:49]
	v_lshrrev_b32_e32 v30, s77, v30
	v_and_b32_e32 v30, s70, v30
	v_lshlrev_b32_e32 v30, 2, v30
	ds_read_b32 v30, v30
	v_cmp_gt_i32_e64 s[48:49], 0, v12
	v_cndmask_b32_e64 v104, v73, 0, s[48:49]
	v_xor_b32_e32 v104, v104, v12
	s_waitcnt lgkmcnt(0)
	v_add_u32_e32 v12, v30, v40
	v_lshlrev_b64 v[12:13], 2, v[12:13]
	v_add_co_u32_e64 v12, s[48:49], s66, v12
	v_addc_co_u32_e64 v13, s[48:49], v102, v13, s[48:49]
	global_store_dword v[12:13], v104, off
	s_or_b64 exec, exec, s[52:53]
	v_cmp_lt_u32_e64 s[48:49], v41, v101
	s_and_saveexec_b64 s[60:61], s[48:49]
	s_cbranch_execnz .LBB1359_447
	s_branch .LBB1359_448
.LBB1359_483:                           ;   in Loop: Header=BB1359_399 Depth=2
	global_load_dwordx2 v[28:29], v[12:13], off
	s_or_b64 exec, exec, s[52:53]
	v_cmp_lt_u32_e64 s[52:53], v91, v101
	s_and_saveexec_b64 s[60:61], s[52:53]
	s_cbranch_execz .LBB1359_450
.LBB1359_484:                           ;   in Loop: Header=BB1359_399 Depth=2
	global_load_dwordx2 v[26:27], v[12:13], off offset:512
	s_or_b64 exec, exec, s[60:61]
	v_cmp_lt_u32_e64 s[52:53], v92, v101
	s_and_saveexec_b64 s[60:61], s[52:53]
	s_cbranch_execz .LBB1359_451
.LBB1359_485:                           ;   in Loop: Header=BB1359_399 Depth=2
	global_load_dwordx2 v[24:25], v[12:13], off offset:1024
	s_or_b64 exec, exec, s[60:61]
	v_cmp_lt_u32_e64 s[52:53], v93, v101
	s_and_saveexec_b64 s[60:61], s[52:53]
	s_cbranch_execz .LBB1359_452
.LBB1359_486:                           ;   in Loop: Header=BB1359_399 Depth=2
	global_load_dwordx2 v[22:23], v[12:13], off offset:1536
	s_or_b64 exec, exec, s[60:61]
	v_cmp_lt_u32_e64 s[52:53], v94, v101
	s_and_saveexec_b64 s[60:61], s[52:53]
	s_cbranch_execz .LBB1359_453
.LBB1359_487:                           ;   in Loop: Header=BB1359_399 Depth=2
	global_load_dwordx2 v[20:21], v[12:13], off offset:2048
	s_or_b64 exec, exec, s[60:61]
	v_cmp_lt_u32_e64 s[52:53], v95, v101
	s_and_saveexec_b64 s[60:61], s[52:53]
	s_cbranch_execz .LBB1359_454
.LBB1359_488:                           ;   in Loop: Header=BB1359_399 Depth=2
	global_load_dwordx2 v[9:10], v[12:13], off offset:2560
	s_or_b64 exec, exec, s[60:61]
	v_cmp_lt_u32_e64 s[52:53], v96, v101
	s_and_saveexec_b64 s[60:61], s[52:53]
	s_cbranch_execz .LBB1359_455
.LBB1359_489:                           ;   in Loop: Header=BB1359_399 Depth=2
	global_load_dwordx2 v[7:8], v[12:13], off offset:3072
	s_or_b64 exec, exec, s[60:61]
	v_cmp_lt_u32_e64 s[52:53], v97, v101
	s_and_saveexec_b64 s[60:61], s[52:53]
	s_cbranch_execz .LBB1359_456
.LBB1359_490:                           ;   in Loop: Header=BB1359_399 Depth=2
	global_load_dwordx2 v[5:6], v[12:13], off offset:3584
	s_or_b64 exec, exec, s[60:61]
	s_and_saveexec_b64 s[60:61], vcc
	s_cbranch_execz .LBB1359_457
.LBB1359_491:                           ;   in Loop: Header=BB1359_399 Depth=2
	ds_read_b32 v12, v50 offset:1024
	s_waitcnt lgkmcnt(0)
	v_cmp_ne_u32_e64 s[52:53], s62, v12
	v_cndmask_b32_e64 v12, v73, v12, s[52:53]
	v_lshrrev_b32_e32 v12, s77, v12
	v_and_b32_e32 v90, s70, v12
	s_or_b64 exec, exec, s[60:61]
	s_and_saveexec_b64 s[60:61], s[36:37]
	s_cbranch_execz .LBB1359_458
.LBB1359_492:                           ;   in Loop: Header=BB1359_399 Depth=2
	ds_read_b32 v12, v50 offset:2048
	s_waitcnt lgkmcnt(0)
	v_cmp_ne_u32_e64 s[52:53], s62, v12
	v_cndmask_b32_e64 v12, v73, v12, s[52:53]
	v_lshrrev_b32_e32 v12, s77, v12
	v_and_b32_e32 v88, s70, v12
	s_or_b64 exec, exec, s[60:61]
	s_and_saveexec_b64 s[60:61], s[38:39]
	s_cbranch_execz .LBB1359_459
.LBB1359_493:                           ;   in Loop: Header=BB1359_399 Depth=2
	ds_read_b32 v12, v50 offset:3072
	s_waitcnt lgkmcnt(0)
	v_cmp_ne_u32_e64 s[52:53], s62, v12
	v_cndmask_b32_e64 v12, v73, v12, s[52:53]
	v_lshrrev_b32_e32 v12, s77, v12
	v_and_b32_e32 v86, s70, v12
	s_or_b64 exec, exec, s[60:61]
	s_and_saveexec_b64 s[60:61], s[40:41]
	s_cbranch_execz .LBB1359_460
.LBB1359_494:                           ;   in Loop: Header=BB1359_399 Depth=2
	ds_read_b32 v12, v50 offset:4096
	s_waitcnt lgkmcnt(0)
	v_cmp_ne_u32_e64 s[52:53], s62, v12
	v_cndmask_b32_e64 v12, v73, v12, s[52:53]
	v_lshrrev_b32_e32 v12, s77, v12
	v_and_b32_e32 v85, s70, v12
	s_or_b64 exec, exec, s[60:61]
	s_and_saveexec_b64 s[60:61], s[42:43]
	s_cbranch_execz .LBB1359_461
.LBB1359_495:                           ;   in Loop: Header=BB1359_399 Depth=2
	ds_read_b32 v12, v50 offset:5120
	s_waitcnt lgkmcnt(0)
	v_cmp_ne_u32_e64 s[52:53], s62, v12
	v_cndmask_b32_e64 v12, v73, v12, s[52:53]
	v_lshrrev_b32_e32 v12, s77, v12
	v_and_b32_e32 v83, s70, v12
	s_or_b64 exec, exec, s[60:61]
	s_and_saveexec_b64 s[60:61], s[44:45]
	s_cbranch_execz .LBB1359_462
.LBB1359_496:                           ;   in Loop: Header=BB1359_399 Depth=2
	ds_read_b32 v12, v50 offset:6144
	s_waitcnt lgkmcnt(0)
	v_cmp_ne_u32_e64 s[52:53], s62, v12
	v_cndmask_b32_e64 v12, v73, v12, s[52:53]
	v_lshrrev_b32_e32 v12, s77, v12
	v_and_b32_e32 v82, s70, v12
	s_or_b64 exec, exec, s[60:61]
	s_and_saveexec_b64 s[60:61], s[46:47]
	s_cbranch_execz .LBB1359_463
.LBB1359_497:                           ;   in Loop: Header=BB1359_399 Depth=2
	ds_read_b32 v12, v50 offset:7168
	s_waitcnt lgkmcnt(0)
	v_cmp_ne_u32_e64 s[52:53], s62, v12
	v_cndmask_b32_e64 v12, v73, v12, s[52:53]
	v_lshrrev_b32_e32 v12, s77, v12
	v_and_b32_e32 v81, s70, v12
	s_or_b64 exec, exec, s[60:61]
	s_and_saveexec_b64 s[60:61], s[48:49]
	s_cbranch_execnz .LBB1359_464
	s_branch .LBB1359_465
.LBB1359_498:                           ;   in Loop: Header=BB1359_399 Depth=2
	v_lshlrev_b32_e32 v12, 2, v90
	ds_read_b32 v14, v12
	v_add_u32_e32 v12, v50, v32
	ds_read_b64 v[12:13], v12 offset:1024
	v_mov_b32_e32 v15, v3
	v_mov_b32_e32 v16, s73
	s_waitcnt lgkmcnt(1)
	v_add_u32_e32 v14, v14, v0
	v_lshlrev_b64 v[14:15], 3, v[14:15]
	v_add_co_u32_e32 v14, vcc, s72, v14
	v_addc_co_u32_e32 v15, vcc, v16, v15, vcc
	s_waitcnt lgkmcnt(0)
	global_store_dwordx2 v[14:15], v[12:13], off
	s_or_b64 exec, exec, s[52:53]
	s_and_saveexec_b64 s[52:53], s[36:37]
	s_cbranch_execz .LBB1359_467
.LBB1359_499:                           ;   in Loop: Header=BB1359_399 Depth=2
	v_lshlrev_b32_e32 v12, 2, v88
	ds_read_b32 v14, v12
	v_add_u32_e32 v12, v50, v32
	ds_read_b64 v[12:13], v12 offset:3072
	v_mov_b32_e32 v15, v3
	v_mov_b32_e32 v16, s73
	s_waitcnt lgkmcnt(1)
	v_add_u32_e32 v14, v14, v33
	v_lshlrev_b64 v[14:15], 3, v[14:15]
	v_add_co_u32_e32 v14, vcc, s72, v14
	v_addc_co_u32_e32 v15, vcc, v16, v15, vcc
	s_waitcnt lgkmcnt(0)
	global_store_dwordx2 v[14:15], v[12:13], off
	s_or_b64 exec, exec, s[52:53]
	s_and_saveexec_b64 s[36:37], s[38:39]
	s_cbranch_execz .LBB1359_468
.LBB1359_500:                           ;   in Loop: Header=BB1359_399 Depth=2
	v_lshlrev_b32_e32 v12, 2, v86
	ds_read_b32 v14, v12
	v_add_u32_e32 v12, v50, v32
	ds_read_b64 v[12:13], v12 offset:5120
	v_mov_b32_e32 v15, v3
	v_mov_b32_e32 v16, s73
	s_waitcnt lgkmcnt(1)
	v_add_u32_e32 v14, v14, v34
	v_lshlrev_b64 v[14:15], 3, v[14:15]
	v_add_co_u32_e32 v14, vcc, s72, v14
	v_addc_co_u32_e32 v15, vcc, v16, v15, vcc
	s_waitcnt lgkmcnt(0)
	global_store_dwordx2 v[14:15], v[12:13], off
	s_or_b64 exec, exec, s[36:37]
	s_and_saveexec_b64 s[36:37], s[40:41]
	s_cbranch_execz .LBB1359_469
.LBB1359_501:                           ;   in Loop: Header=BB1359_399 Depth=2
	v_lshlrev_b32_e32 v12, 2, v85
	ds_read_b32 v14, v12
	v_add_u32_e32 v12, v50, v32
	ds_read_b64 v[12:13], v12 offset:7168
	v_mov_b32_e32 v15, v3
	v_mov_b32_e32 v16, s73
	s_waitcnt lgkmcnt(1)
	v_add_u32_e32 v14, v14, v35
	v_lshlrev_b64 v[14:15], 3, v[14:15]
	v_add_co_u32_e32 v14, vcc, s72, v14
	v_addc_co_u32_e32 v15, vcc, v16, v15, vcc
	s_waitcnt lgkmcnt(0)
	global_store_dwordx2 v[14:15], v[12:13], off
	s_or_b64 exec, exec, s[36:37]
	s_and_saveexec_b64 s[36:37], s[42:43]
	s_cbranch_execz .LBB1359_470
.LBB1359_502:                           ;   in Loop: Header=BB1359_399 Depth=2
	v_lshlrev_b32_e32 v12, 2, v83
	ds_read_b32 v14, v12
	v_add_u32_e32 v12, v50, v32
	ds_read_b64 v[12:13], v12 offset:9216
	v_mov_b32_e32 v15, v3
	v_mov_b32_e32 v16, s73
	s_waitcnt lgkmcnt(1)
	v_add_u32_e32 v14, v14, v38
	v_lshlrev_b64 v[14:15], 3, v[14:15]
	v_add_co_u32_e32 v14, vcc, s72, v14
	v_addc_co_u32_e32 v15, vcc, v16, v15, vcc
	s_waitcnt lgkmcnt(0)
	global_store_dwordx2 v[14:15], v[12:13], off
	s_or_b64 exec, exec, s[36:37]
	s_and_saveexec_b64 s[36:37], s[44:45]
	s_cbranch_execz .LBB1359_471
.LBB1359_503:                           ;   in Loop: Header=BB1359_399 Depth=2
	v_lshlrev_b32_e32 v12, 2, v82
	ds_read_b32 v14, v12
	v_add_u32_e32 v12, v50, v32
	ds_read_b64 v[12:13], v12 offset:11264
	v_mov_b32_e32 v15, v3
	v_mov_b32_e32 v16, s73
	s_waitcnt lgkmcnt(1)
	v_add_u32_e32 v14, v14, v39
	v_lshlrev_b64 v[14:15], 3, v[14:15]
	v_add_co_u32_e32 v14, vcc, s72, v14
	v_addc_co_u32_e32 v15, vcc, v16, v15, vcc
	s_waitcnt lgkmcnt(0)
	global_store_dwordx2 v[14:15], v[12:13], off
	s_or_b64 exec, exec, s[36:37]
	s_and_saveexec_b64 s[36:37], s[46:47]
	s_cbranch_execz .LBB1359_472
.LBB1359_504:                           ;   in Loop: Header=BB1359_399 Depth=2
	v_lshlrev_b32_e32 v12, 2, v81
	ds_read_b32 v14, v12
	v_add_u32_e32 v12, v50, v32
	ds_read_b64 v[12:13], v12 offset:13312
	v_mov_b32_e32 v15, v3
	v_mov_b32_e32 v16, s73
	s_waitcnt lgkmcnt(1)
	v_add_u32_e32 v14, v14, v40
	v_lshlrev_b64 v[14:15], 3, v[14:15]
	v_add_co_u32_e32 v14, vcc, s72, v14
	v_addc_co_u32_e32 v15, vcc, v16, v15, vcc
	s_waitcnt lgkmcnt(0)
	global_store_dwordx2 v[14:15], v[12:13], off
	s_or_b64 exec, exec, s[36:37]
	s_and_saveexec_b64 s[36:37], s[48:49]
	s_cbranch_execnz .LBB1359_473
	s_branch .LBB1359_474
.LBB1359_505:                           ;   in Loop: Header=BB1359_399 Depth=2
	global_load_dword v12, v[30:31], off
	v_mov_b32_e32 v13, v11
	v_mov_b32_e32 v14, v11
	v_mov_b32_e32 v15, v11
	v_mov_b32_e32 v16, v11
	v_mov_b32_e32 v17, v11
	v_mov_b32_e32 v18, v11
	v_mov_b32_e32 v19, v11
	s_or_b64 exec, exec, s[36:37]
	v_cmp_gt_u32_e32 vcc, s71, v91
	s_and_saveexec_b64 s[36:37], vcc
	s_cbranch_execz .LBB1359_404
.LBB1359_506:                           ;   in Loop: Header=BB1359_399 Depth=2
	global_load_dword v13, v[30:31], off offset:256
	s_or_b64 exec, exec, s[36:37]
	v_cmp_gt_u32_e32 vcc, s71, v92
	s_and_saveexec_b64 s[36:37], vcc
	s_cbranch_execz .LBB1359_405
.LBB1359_507:                           ;   in Loop: Header=BB1359_399 Depth=2
	global_load_dword v14, v[30:31], off offset:512
	s_or_b64 exec, exec, s[36:37]
	v_cmp_gt_u32_e32 vcc, s71, v93
	s_and_saveexec_b64 s[36:37], vcc
	s_cbranch_execz .LBB1359_406
.LBB1359_508:                           ;   in Loop: Header=BB1359_399 Depth=2
	global_load_dword v15, v[30:31], off offset:768
	s_or_b64 exec, exec, s[36:37]
	v_cmp_gt_u32_e32 vcc, s71, v94
	s_and_saveexec_b64 s[36:37], vcc
	s_cbranch_execz .LBB1359_407
.LBB1359_509:                           ;   in Loop: Header=BB1359_399 Depth=2
	global_load_dword v16, v[30:31], off offset:1024
	s_or_b64 exec, exec, s[36:37]
	v_cmp_gt_u32_e32 vcc, s71, v95
	s_and_saveexec_b64 s[36:37], vcc
	s_cbranch_execz .LBB1359_408
.LBB1359_510:                           ;   in Loop: Header=BB1359_399 Depth=2
	global_load_dword v17, v[30:31], off offset:1280
	s_or_b64 exec, exec, s[36:37]
	v_cmp_gt_u32_e32 vcc, s71, v96
	s_and_saveexec_b64 s[36:37], vcc
	s_cbranch_execnz .LBB1359_409
	s_branch .LBB1359_410
.LBB1359_511:                           ;   in Loop: Header=BB1359_17 Depth=1
	s_waitcnt lgkmcnt(0)
	s_barrier
	s_mov_b64 s[16:17], 0
.LBB1359_512:                           ;   in Loop: Header=BB1359_17 Depth=1
	s_and_b64 vcc, exec, s[16:17]
	s_cbranch_vccz .LBB1359_16
; %bb.513:                              ;   in Loop: Header=BB1359_17 Depth=1
	v_mov_b32_e32 v10, v3
	v_mov_b32_e32 v4, v3
	;; [unrolled: 1-line block ×8, first 2 shown]
	s_mov_b32 s20, s79
	s_mov_b32 s58, s51
	v_mov_b32_e32 v18, v9
	v_mov_b32_e32 v17, v8
	;; [unrolled: 1-line block ×7, first 2 shown]
	s_barrier
	s_branch .LBB1359_515
.LBB1359_514:                           ;   in Loop: Header=BB1359_515 Depth=2
	s_or_b64 exec, exec, s[16:17]
	s_addk_i32 s20, 0xf800
	s_cmp_ge_u32 s21, s80
	s_mov_b32 s58, s21
	s_cbranch_scc1 .LBB1359_551
.LBB1359_515:                           ;   Parent Loop BB1359_17 Depth=1
                                        ; =>  This Inner Loop Header: Depth=2
	s_add_i32 s21, s58, 0x800
	s_cmp_gt_u32 s21, s80
	s_mov_b64 s[16:17], -1
                                        ; implicit-def: $vgpr20_vgpr21_vgpr22_vgpr23_vgpr24_vgpr25_vgpr26_vgpr27
	s_cbranch_scc1 .LBB1359_517
; %bb.516:                              ;   in Loop: Header=BB1359_515 Depth=2
	s_lshl_b64 s[16:17], s[58:59], 2
	v_mov_b32_e32 v5, s17
	v_add_co_u32_e32 v4, vcc, s16, v61
	v_addc_co_u32_e32 v5, vcc, v62, v5, vcc
	v_add_co_u32_e32 v6, vcc, 0x1000, v4
	v_addc_co_u32_e32 v7, vcc, 0, v5, vcc
	global_load_dword v20, v[4:5], off
	global_load_dword v21, v[4:5], off offset:1024
	global_load_dword v22, v[4:5], off offset:2048
	;; [unrolled: 1-line block ×3, first 2 shown]
	global_load_dword v24, v[6:7], off
	global_load_dword v25, v[6:7], off offset:1024
	global_load_dword v26, v[6:7], off offset:2048
	;; [unrolled: 1-line block ×3, first 2 shown]
	s_mov_b64 s[16:17], 0
.LBB1359_517:                           ;   in Loop: Header=BB1359_515 Depth=2
	s_andn2_b64 vcc, exec, s[16:17]
	s_movk_i32 s18, 0x800
	s_cbranch_vccnz .LBB1359_528
; %bb.518:                              ;   in Loop: Header=BB1359_515 Depth=2
	s_lshl_b64 s[16:17], s[58:59], 2
	s_add_u32 s16, s64, s16
	s_addc_u32 s17, s65, s17
	v_cmp_gt_u32_e32 vcc, s20, v0
	s_and_saveexec_b64 s[18:19], vcc
	s_cbranch_execnz .LBB1359_544
; %bb.519:                              ;   in Loop: Header=BB1359_515 Depth=2
	s_or_b64 exec, exec, s[18:19]
	v_cmp_gt_u32_e32 vcc, s20, v33
	s_and_saveexec_b64 s[18:19], vcc
	s_cbranch_execnz .LBB1359_545
.LBB1359_520:                           ;   in Loop: Header=BB1359_515 Depth=2
	s_or_b64 exec, exec, s[18:19]
	v_cmp_gt_u32_e32 vcc, s20, v34
	s_and_saveexec_b64 s[18:19], vcc
	s_cbranch_execnz .LBB1359_546
.LBB1359_521:                           ;   in Loop: Header=BB1359_515 Depth=2
	s_or_b64 exec, exec, s[18:19]
	v_cmp_gt_u32_e32 vcc, s20, v35
	s_and_saveexec_b64 s[18:19], vcc
	s_cbranch_execnz .LBB1359_547
.LBB1359_522:                           ;   in Loop: Header=BB1359_515 Depth=2
	s_or_b64 exec, exec, s[18:19]
	v_cmp_gt_u32_e32 vcc, s20, v38
	s_and_saveexec_b64 s[18:19], vcc
	s_cbranch_execnz .LBB1359_548
.LBB1359_523:                           ;   in Loop: Header=BB1359_515 Depth=2
	s_or_b64 exec, exec, s[18:19]
	v_cmp_gt_u32_e32 vcc, s20, v39
	s_and_saveexec_b64 s[18:19], vcc
	s_cbranch_execnz .LBB1359_549
.LBB1359_524:                           ;   in Loop: Header=BB1359_515 Depth=2
	s_or_b64 exec, exec, s[18:19]
	v_cmp_gt_u32_e32 vcc, s20, v40
	s_and_saveexec_b64 s[18:19], vcc
	s_cbranch_execnz .LBB1359_550
.LBB1359_525:                           ;   in Loop: Header=BB1359_515 Depth=2
	s_or_b64 exec, exec, s[18:19]
	v_cmp_gt_u32_e32 vcc, s20, v41
	s_and_saveexec_b64 s[18:19], vcc
	s_cbranch_execz .LBB1359_527
.LBB1359_526:                           ;   in Loop: Header=BB1359_515 Depth=2
	global_load_dword v19, v72, s[16:17]
.LBB1359_527:                           ;   in Loop: Header=BB1359_515 Depth=2
	s_or_b64 exec, exec, s[18:19]
	s_waitcnt vmcnt(0)
	v_mov_b32_e32 v27, v19
	s_mov_b32 s18, s20
	v_mov_b32_e32 v26, v18
	v_mov_b32_e32 v25, v17
	;; [unrolled: 1-line block ×7, first 2 shown]
.LBB1359_528:                           ;   in Loop: Header=BB1359_515 Depth=2
	s_waitcnt vmcnt(0)
	v_mov_b32_e32 v12, v20
	v_mov_b32_e32 v13, v21
	;; [unrolled: 1-line block ×8, first 2 shown]
	v_cmp_gt_u32_e32 vcc, s18, v0
	s_and_saveexec_b64 s[16:17], vcc
	s_cbranch_execnz .LBB1359_536
; %bb.529:                              ;   in Loop: Header=BB1359_515 Depth=2
	s_or_b64 exec, exec, s[16:17]
	v_cmp_gt_u32_e32 vcc, s18, v33
	s_and_saveexec_b64 s[16:17], vcc
	s_cbranch_execnz .LBB1359_537
.LBB1359_530:                           ;   in Loop: Header=BB1359_515 Depth=2
	s_or_b64 exec, exec, s[16:17]
	v_cmp_gt_u32_e32 vcc, s18, v34
	s_and_saveexec_b64 s[16:17], vcc
	s_cbranch_execnz .LBB1359_538
.LBB1359_531:                           ;   in Loop: Header=BB1359_515 Depth=2
	s_or_b64 exec, exec, s[16:17]
	v_cmp_gt_u32_e32 vcc, s18, v35
	s_and_saveexec_b64 s[16:17], vcc
	s_cbranch_execnz .LBB1359_539
.LBB1359_532:                           ;   in Loop: Header=BB1359_515 Depth=2
	s_or_b64 exec, exec, s[16:17]
	v_cmp_gt_u32_e32 vcc, s18, v38
	s_and_saveexec_b64 s[16:17], vcc
	s_cbranch_execnz .LBB1359_540
.LBB1359_533:                           ;   in Loop: Header=BB1359_515 Depth=2
	s_or_b64 exec, exec, s[16:17]
	v_cmp_gt_u32_e32 vcc, s18, v39
	s_and_saveexec_b64 s[16:17], vcc
	s_cbranch_execnz .LBB1359_541
.LBB1359_534:                           ;   in Loop: Header=BB1359_515 Depth=2
	s_or_b64 exec, exec, s[16:17]
	v_cmp_gt_u32_e32 vcc, s18, v40
	s_and_saveexec_b64 s[16:17], vcc
	s_cbranch_execnz .LBB1359_542
.LBB1359_535:                           ;   in Loop: Header=BB1359_515 Depth=2
	s_or_b64 exec, exec, s[16:17]
	v_cmp_gt_u32_e32 vcc, s18, v41
	s_and_saveexec_b64 s[16:17], vcc
	s_cbranch_execz .LBB1359_514
	s_branch .LBB1359_543
.LBB1359_536:                           ;   in Loop: Header=BB1359_515 Depth=2
	v_cmp_gt_i32_e32 vcc, 0, v12
	v_cndmask_b32_e64 v4, v73, 0, vcc
	v_xor_b32_e32 v4, v4, v12
	v_cmp_ne_u32_e32 vcc, s62, v4
	v_cndmask_b32_e32 v4, v73, v4, vcc
	v_lshrrev_b32_e32 v4, s77, v4
	v_and_b32_e32 v4, s70, v4
	v_lshl_or_b32 v4, v4, 4, v42
	ds_add_u32 v4, v67
	s_or_b64 exec, exec, s[16:17]
	v_cmp_gt_u32_e32 vcc, s18, v33
	s_and_saveexec_b64 s[16:17], vcc
	s_cbranch_execz .LBB1359_530
.LBB1359_537:                           ;   in Loop: Header=BB1359_515 Depth=2
	v_cmp_gt_i32_e32 vcc, 0, v13
	v_cndmask_b32_e64 v4, v73, 0, vcc
	v_xor_b32_e32 v4, v4, v13
	v_cmp_ne_u32_e32 vcc, s62, v4
	v_cndmask_b32_e32 v4, v73, v4, vcc
	v_lshrrev_b32_e32 v4, s77, v4
	v_and_b32_e32 v4, s70, v4
	v_lshl_or_b32 v4, v4, 4, v42
	ds_add_u32 v4, v67
	s_or_b64 exec, exec, s[16:17]
	v_cmp_gt_u32_e32 vcc, s18, v34
	s_and_saveexec_b64 s[16:17], vcc
	s_cbranch_execz .LBB1359_531
.LBB1359_538:                           ;   in Loop: Header=BB1359_515 Depth=2
	v_cmp_gt_i32_e32 vcc, 0, v14
	v_cndmask_b32_e64 v4, v73, 0, vcc
	v_xor_b32_e32 v4, v4, v14
	v_cmp_ne_u32_e32 vcc, s62, v4
	v_cndmask_b32_e32 v4, v73, v4, vcc
	v_lshrrev_b32_e32 v4, s77, v4
	v_and_b32_e32 v4, s70, v4
	v_lshl_or_b32 v4, v4, 4, v42
	ds_add_u32 v4, v67
	s_or_b64 exec, exec, s[16:17]
	v_cmp_gt_u32_e32 vcc, s18, v35
	s_and_saveexec_b64 s[16:17], vcc
	s_cbranch_execz .LBB1359_532
.LBB1359_539:                           ;   in Loop: Header=BB1359_515 Depth=2
	v_cmp_gt_i32_e32 vcc, 0, v15
	v_cndmask_b32_e64 v4, v73, 0, vcc
	v_xor_b32_e32 v4, v4, v15
	v_cmp_ne_u32_e32 vcc, s62, v4
	v_cndmask_b32_e32 v4, v73, v4, vcc
	v_lshrrev_b32_e32 v4, s77, v4
	v_and_b32_e32 v4, s70, v4
	v_lshl_or_b32 v4, v4, 4, v42
	ds_add_u32 v4, v67
	s_or_b64 exec, exec, s[16:17]
	v_cmp_gt_u32_e32 vcc, s18, v38
	s_and_saveexec_b64 s[16:17], vcc
	s_cbranch_execz .LBB1359_533
.LBB1359_540:                           ;   in Loop: Header=BB1359_515 Depth=2
	v_cmp_gt_i32_e32 vcc, 0, v16
	v_cndmask_b32_e64 v4, v73, 0, vcc
	v_xor_b32_e32 v4, v4, v16
	v_cmp_ne_u32_e32 vcc, s62, v4
	v_cndmask_b32_e32 v4, v73, v4, vcc
	v_lshrrev_b32_e32 v4, s77, v4
	v_and_b32_e32 v4, s70, v4
	v_lshl_or_b32 v4, v4, 4, v42
	ds_add_u32 v4, v67
	s_or_b64 exec, exec, s[16:17]
	v_cmp_gt_u32_e32 vcc, s18, v39
	s_and_saveexec_b64 s[16:17], vcc
	s_cbranch_execz .LBB1359_534
.LBB1359_541:                           ;   in Loop: Header=BB1359_515 Depth=2
	v_cmp_gt_i32_e32 vcc, 0, v17
	v_cndmask_b32_e64 v4, v73, 0, vcc
	v_xor_b32_e32 v4, v4, v17
	v_cmp_ne_u32_e32 vcc, s62, v4
	v_cndmask_b32_e32 v4, v73, v4, vcc
	v_lshrrev_b32_e32 v4, s77, v4
	v_and_b32_e32 v4, s70, v4
	v_lshl_or_b32 v4, v4, 4, v42
	ds_add_u32 v4, v67
	s_or_b64 exec, exec, s[16:17]
	v_cmp_gt_u32_e32 vcc, s18, v40
	s_and_saveexec_b64 s[16:17], vcc
	s_cbranch_execz .LBB1359_535
.LBB1359_542:                           ;   in Loop: Header=BB1359_515 Depth=2
	v_cmp_gt_i32_e32 vcc, 0, v18
	v_cndmask_b32_e64 v4, v73, 0, vcc
	v_xor_b32_e32 v4, v4, v18
	v_cmp_ne_u32_e32 vcc, s62, v4
	v_cndmask_b32_e32 v4, v73, v4, vcc
	v_lshrrev_b32_e32 v4, s77, v4
	v_and_b32_e32 v4, s70, v4
	v_lshl_or_b32 v4, v4, 4, v42
	ds_add_u32 v4, v67
	s_or_b64 exec, exec, s[16:17]
	v_cmp_gt_u32_e32 vcc, s18, v41
	s_and_saveexec_b64 s[16:17], vcc
	s_cbranch_execz .LBB1359_514
.LBB1359_543:                           ;   in Loop: Header=BB1359_515 Depth=2
	v_cmp_gt_i32_e32 vcc, 0, v19
	v_cndmask_b32_e64 v4, v73, 0, vcc
	v_xor_b32_e32 v4, v4, v19
	v_cmp_ne_u32_e32 vcc, s62, v4
	v_cndmask_b32_e32 v4, v73, v4, vcc
	v_lshrrev_b32_e32 v4, s77, v4
	v_and_b32_e32 v4, s70, v4
	v_lshl_or_b32 v4, v4, 4, v42
	ds_add_u32 v4, v67
	s_branch .LBB1359_514
.LBB1359_544:                           ;   in Loop: Header=BB1359_515 Depth=2
	global_load_dword v12, v68, s[16:17]
	s_or_b64 exec, exec, s[18:19]
	v_cmp_gt_u32_e32 vcc, s20, v33
	s_and_saveexec_b64 s[18:19], vcc
	s_cbranch_execz .LBB1359_520
.LBB1359_545:                           ;   in Loop: Header=BB1359_515 Depth=2
	global_load_dword v13, v68, s[16:17] offset:1024
	s_or_b64 exec, exec, s[18:19]
	v_cmp_gt_u32_e32 vcc, s20, v34
	s_and_saveexec_b64 s[18:19], vcc
	s_cbranch_execz .LBB1359_521
.LBB1359_546:                           ;   in Loop: Header=BB1359_515 Depth=2
	global_load_dword v14, v68, s[16:17] offset:2048
	s_or_b64 exec, exec, s[18:19]
	v_cmp_gt_u32_e32 vcc, s20, v35
	s_and_saveexec_b64 s[18:19], vcc
	s_cbranch_execz .LBB1359_522
.LBB1359_547:                           ;   in Loop: Header=BB1359_515 Depth=2
	global_load_dword v15, v68, s[16:17] offset:3072
	s_or_b64 exec, exec, s[18:19]
	v_cmp_gt_u32_e32 vcc, s20, v38
	s_and_saveexec_b64 s[18:19], vcc
	s_cbranch_execz .LBB1359_523
.LBB1359_548:                           ;   in Loop: Header=BB1359_515 Depth=2
	global_load_dword v16, v69, s[16:17]
	s_or_b64 exec, exec, s[18:19]
	v_cmp_gt_u32_e32 vcc, s20, v39
	s_and_saveexec_b64 s[18:19], vcc
	s_cbranch_execz .LBB1359_524
.LBB1359_549:                           ;   in Loop: Header=BB1359_515 Depth=2
	global_load_dword v17, v70, s[16:17]
	s_or_b64 exec, exec, s[18:19]
	v_cmp_gt_u32_e32 vcc, s20, v40
	s_and_saveexec_b64 s[18:19], vcc
	s_cbranch_execz .LBB1359_525
.LBB1359_550:                           ;   in Loop: Header=BB1359_515 Depth=2
	global_load_dword v18, v71, s[16:17]
	s_or_b64 exec, exec, s[18:19]
	v_cmp_gt_u32_e32 vcc, s20, v41
	s_and_saveexec_b64 s[18:19], vcc
	s_cbranch_execnz .LBB1359_526
	s_branch .LBB1359_527
.LBB1359_551:                           ;   in Loop: Header=BB1359_17 Depth=1
	v_mov_b32_e32 v4, 0
	s_waitcnt lgkmcnt(0)
	s_barrier
	s_and_saveexec_b64 s[16:17], s[4:5]
	s_cbranch_execz .LBB1359_553
; %bb.552:                              ;   in Loop: Header=BB1359_17 Depth=1
	ds_read2_b64 v[4:7], v43 offset1:1
	s_waitcnt lgkmcnt(0)
	v_add_u32_e32 v4, v5, v4
	v_add3_u32 v4, v4, v6, v7
.LBB1359_553:                           ;   in Loop: Header=BB1359_17 Depth=1
	s_or_b64 exec, exec, s[16:17]
	s_nop 0
	v_mov_b32_dpp v5, v4 row_shr:1 row_mask:0xf bank_mask:0xf
	v_cmp_eq_u32_e64 s[16:17], 0, v75
	v_cndmask_b32_e64 v5, v5, 0, s[16:17]
	v_add_u32_e32 v4, v5, v4
	v_cmp_lt_u32_e64 s[18:19], 1, v75
	v_cmp_lt_u32_e64 s[20:21], 3, v75
	v_mov_b32_dpp v5, v4 row_shr:2 row_mask:0xf bank_mask:0xf
	v_cndmask_b32_e64 v5, 0, v5, s[18:19]
	v_add_u32_e32 v4, v4, v5
	v_cmp_lt_u32_e64 s[22:23], 7, v75
	v_cmp_lt_u32_e64 s[26:27], 31, v74
	v_mov_b32_dpp v5, v4 row_shr:4 row_mask:0xf bank_mask:0xf
	v_cndmask_b32_e64 v5, 0, v5, s[20:21]
	v_add_u32_e32 v4, v4, v5
	v_cmp_eq_u32_e64 s[24:25], 0, v77
	s_nop 0
	v_mov_b32_dpp v5, v4 row_shr:8 row_mask:0xf bank_mask:0xf
	v_cndmask_b32_e64 v5, 0, v5, s[22:23]
	v_add_u32_e32 v4, v4, v5
	s_nop 1
	v_mov_b32_dpp v5, v4 row_bcast:15 row_mask:0xf bank_mask:0xf
	v_and_b32_e32 v5, v76, v5
	v_add_u32_e32 v4, v4, v5
	s_nop 1
	v_mov_b32_dpp v5, v4 row_bcast:31 row_mask:0xf bank_mask:0xf
	v_cndmask_b32_e64 v5, 0, v5, s[26:27]
	v_add_u32_e32 v4, v4, v5
	s_and_saveexec_b64 s[28:29], s[6:7]
; %bb.554:                              ;   in Loop: Header=BB1359_17 Depth=1
	ds_write_b32 v45, v4
; %bb.555:                              ;   in Loop: Header=BB1359_17 Depth=1
	s_or_b64 exec, exec, s[28:29]
	s_waitcnt lgkmcnt(0)
	s_barrier
	s_and_saveexec_b64 s[28:29], s[8:9]
	s_cbranch_execz .LBB1359_557
; %bb.556:                              ;   in Loop: Header=BB1359_17 Depth=1
	ds_read_b32 v5, v46
	v_cmp_ne_u32_e32 vcc, 0, v78
	s_waitcnt lgkmcnt(0)
	v_mov_b32_dpp v6, v5 row_shr:1 row_mask:0xf bank_mask:0xf
	v_cndmask_b32_e32 v6, 0, v6, vcc
	v_add_u32_e32 v5, v6, v5
	v_cmp_lt_u32_e32 vcc, 1, v78
	s_nop 0
	v_mov_b32_dpp v6, v5 row_shr:2 row_mask:0xf bank_mask:0xf
	v_cndmask_b32_e32 v6, 0, v6, vcc
	v_add_u32_e32 v5, v5, v6
	ds_write_b32 v46, v5
.LBB1359_557:                           ;   in Loop: Header=BB1359_17 Depth=1
	s_or_b64 exec, exec, s[28:29]
	v_mov_b32_e32 v5, 0
	s_waitcnt lgkmcnt(0)
	s_barrier
	s_and_saveexec_b64 s[28:29], s[10:11]
; %bb.558:                              ;   in Loop: Header=BB1359_17 Depth=1
	ds_read_b32 v5, v47
; %bb.559:                              ;   in Loop: Header=BB1359_17 Depth=1
	s_or_b64 exec, exec, s[28:29]
	v_subrev_co_u32_e64 v6, s[28:29], 1, v74
	v_and_b32_e32 v7, 64, v74
	v_cmp_lt_i32_e32 vcc, v6, v7
	v_cndmask_b32_e32 v6, v6, v74, vcc
	s_waitcnt lgkmcnt(0)
	v_add_u32_e32 v4, v5, v4
	v_lshlrev_b32_e32 v79, 2, v6
	ds_bpermute_b32 v4, v79, v4
	s_waitcnt lgkmcnt(0)
	s_barrier
	s_and_saveexec_b64 s[30:31], s[4:5]
; %bb.560:                              ;   in Loop: Header=BB1359_17 Depth=1
	v_cndmask_b32_e64 v4, v4, v5, s[28:29]
	v_add_u32_e32 v4, s51, v4
	ds_write_b32 v32, v4
; %bb.561:                              ;   in Loop: Header=BB1359_17 Depth=1
	s_or_b64 exec, exec, s[30:31]
	s_load_dwordx2 s[30:31], s[56:57], 0x0
	v_and_b32_e32 v13, 63, v74
	v_lshlrev_b32_e32 v14, 3, v13
	v_or_b32_e32 v84, v13, v48
	v_lshlrev_b32_e32 v15, 2, v13
	s_waitcnt lgkmcnt(0)
	s_cmp_lt_u32 s33, s31
	s_cselect_b32 s31, 14, 20
	s_add_u32 s34, s56, s31
	s_addc_u32 s35, s57, 0
	s_cmp_lt_u32 s50, s30
	s_cselect_b32 s30, 12, 18
	s_add_u32 s30, s56, s30
	global_load_ushort v4, v3, s[34:35]
	s_addc_u32 s31, s57, 0
	global_load_ushort v12, v3, s[30:31]
	v_add_co_u32_e32 v87, vcc, v63, v14
	v_addc_co_u32_e32 v89, vcc, 0, v64, vcc
	v_add_co_u32_e32 v98, vcc, v65, v15
	v_cmp_eq_u32_e64 s[30:31], 0, v78
	v_cmp_lt_u32_e64 s[34:35], 1, v78
	s_mov_b32 s71, s79
	v_or_b32_e32 v91, 64, v84
	v_or_b32_e32 v92, 0x80, v84
	;; [unrolled: 1-line block ×7, first 2 shown]
	v_addc_co_u32_e32 v99, vcc, 0, v66, vcc
	s_mov_b32 s58, s51
                                        ; implicit-def: $vgpr5_vgpr6
                                        ; implicit-def: $vgpr7_vgpr8
                                        ; implicit-def: $vgpr9_vgpr10
                                        ; implicit-def: $vgpr20_vgpr21
                                        ; implicit-def: $vgpr22_vgpr23
                                        ; implicit-def: $vgpr24_vgpr25
                                        ; implicit-def: $vgpr26_vgpr27
                                        ; implicit-def: $vgpr28_vgpr29
                                        ; implicit-def: $vgpr80
                                        ; implicit-def: $vgpr81
                                        ; implicit-def: $vgpr82
                                        ; implicit-def: $vgpr83
                                        ; implicit-def: $vgpr85
                                        ; implicit-def: $vgpr86
                                        ; implicit-def: $vgpr88
                                        ; implicit-def: $vgpr90
	s_waitcnt vmcnt(1)
	v_mad_u32_u24 v4, v2, v4, v1
	s_waitcnt vmcnt(0)
	v_mad_u64_u32 v[12:13], s[36:37], v4, v12, v[0:1]
	v_lshrrev_b32_e32 v4, 4, v12
	v_and_b32_e32 v100, 0xffffffc, v4
	s_branch .LBB1359_563
.LBB1359_562:                           ;   in Loop: Header=BB1359_563 Depth=2
	s_or_b64 exec, exec, s[36:37]
	s_addk_i32 s71, 0xf800
	s_cmp_lt_u32 s76, s80
	s_mov_b32 s58, s76
	s_cbranch_scc0 .LBB1359_15
.LBB1359_563:                           ;   Parent Loop BB1359_17 Depth=1
                                        ; =>  This Inner Loop Header: Depth=2
	s_add_i32 s76, s58, 0x800
	s_cmp_gt_u32 s76, s80
	s_cbranch_scc1 .LBB1359_565
; %bb.564:                              ;   in Loop: Header=BB1359_563 Depth=2
	s_lshl_b64 s[36:37], s[58:59], 2
	v_mov_b32_e32 v4, s37
	v_add_co_u32_e32 v18, vcc, s36, v98
	v_addc_co_u32_e32 v19, vcc, v99, v4, vcc
	global_load_dword v12, v[18:19], off
	global_load_dword v13, v[18:19], off offset:256
	global_load_dword v14, v[18:19], off offset:512
	;; [unrolled: 1-line block ×5, first 2 shown]
	s_nop 0
	global_load_dword v18, v[18:19], off offset:1536
	s_mov_b64 s[36:37], -1
	s_movk_i32 s40, 0x800
	s_cbranch_execz .LBB1359_566
	s_branch .LBB1359_575
.LBB1359_565:                           ;   in Loop: Header=BB1359_563 Depth=2
	s_mov_b64 s[36:37], 0
                                        ; implicit-def: $vgpr12_vgpr13_vgpr14_vgpr15_vgpr16_vgpr17_vgpr18_vgpr19
	s_movk_i32 s40, 0x800
.LBB1359_566:                           ;   in Loop: Header=BB1359_563 Depth=2
	s_lshl_b64 s[36:37], s[58:59], 2
	v_mov_b32_e32 v4, s37
	v_add_co_u32_e32 v30, vcc, s36, v98
	s_waitcnt vmcnt(6)
	v_mov_b32_e32 v12, v11
	s_waitcnt vmcnt(5)
	v_mov_b32_e32 v13, v11
	;; [unrolled: 2-line block ×7, first 2 shown]
	v_addc_co_u32_e32 v31, vcc, v99, v4, vcc
	v_mov_b32_e32 v19, v18
	v_cmp_gt_u32_e32 vcc, s71, v84
	v_mov_b32_e32 v18, v17
	v_mov_b32_e32 v17, v16
	;; [unrolled: 1-line block ×7, first 2 shown]
	s_and_saveexec_b64 s[36:37], vcc
	s_cbranch_execnz .LBB1359_669
; %bb.567:                              ;   in Loop: Header=BB1359_563 Depth=2
	s_or_b64 exec, exec, s[36:37]
	v_cmp_gt_u32_e32 vcc, s71, v91
	s_and_saveexec_b64 s[36:37], vcc
	s_cbranch_execnz .LBB1359_670
.LBB1359_568:                           ;   in Loop: Header=BB1359_563 Depth=2
	s_or_b64 exec, exec, s[36:37]
	v_cmp_gt_u32_e32 vcc, s71, v92
	s_and_saveexec_b64 s[36:37], vcc
	s_cbranch_execnz .LBB1359_671
.LBB1359_569:                           ;   in Loop: Header=BB1359_563 Depth=2
	s_or_b64 exec, exec, s[36:37]
	v_cmp_gt_u32_e32 vcc, s71, v93
	s_and_saveexec_b64 s[36:37], vcc
	s_cbranch_execnz .LBB1359_672
.LBB1359_570:                           ;   in Loop: Header=BB1359_563 Depth=2
	s_or_b64 exec, exec, s[36:37]
	v_cmp_gt_u32_e32 vcc, s71, v94
	s_and_saveexec_b64 s[36:37], vcc
	s_cbranch_execnz .LBB1359_673
.LBB1359_571:                           ;   in Loop: Header=BB1359_563 Depth=2
	s_or_b64 exec, exec, s[36:37]
	v_cmp_gt_u32_e32 vcc, s71, v95
	s_and_saveexec_b64 s[36:37], vcc
	s_cbranch_execnz .LBB1359_674
.LBB1359_572:                           ;   in Loop: Header=BB1359_563 Depth=2
	s_or_b64 exec, exec, s[36:37]
	v_cmp_gt_u32_e32 vcc, s71, v96
	s_and_saveexec_b64 s[36:37], vcc
	s_cbranch_execz .LBB1359_574
.LBB1359_573:                           ;   in Loop: Header=BB1359_563 Depth=2
	global_load_dword v18, v[30:31], off offset:1536
.LBB1359_574:                           ;   in Loop: Header=BB1359_563 Depth=2
	s_or_b64 exec, exec, s[36:37]
	s_sub_i32 s40, s80, s58
	v_cmp_gt_u32_e64 s[36:37], s71, v97
.LBB1359_575:                           ;   in Loop: Header=BB1359_563 Depth=2
	v_mov_b32_e32 v101, s71
	s_and_saveexec_b64 s[38:39], s[36:37]
	s_cbranch_execz .LBB1359_577
; %bb.576:                              ;   in Loop: Header=BB1359_563 Depth=2
	s_lshl_b64 s[36:37], s[58:59], 2
	v_mov_b32_e32 v4, s37
	v_add_co_u32_e32 v30, vcc, s36, v98
	v_addc_co_u32_e32 v31, vcc, v99, v4, vcc
	global_load_dword v19, v[30:31], off offset:1792
	v_mov_b32_e32 v101, s40
.LBB1359_577:                           ;   in Loop: Header=BB1359_563 Depth=2
	s_or_b64 exec, exec, s[38:39]
	s_waitcnt vmcnt(0)
	v_cmp_gt_i32_e32 vcc, 0, v12
	v_cndmask_b32_e64 v4, v73, 0, vcc
	v_xor_b32_e32 v102, v4, v12
	v_cmp_ne_u32_e32 vcc, s62, v102
	v_cndmask_b32_e32 v4, v73, v102, vcc
	v_lshrrev_b32_e32 v4, s77, v4
	v_and_b32_e32 v12, s70, v4
	v_and_b32_e32 v4, 1, v12
	v_add_co_u32_e32 v30, vcc, -1, v4
	v_addc_co_u32_e64 v31, s[36:37], 0, -1, vcc
	v_cmp_ne_u32_e32 vcc, 0, v4
	v_xor_b32_e32 v4, vcc_hi, v31
	v_and_b32_e32 v31, exec_hi, v4
	v_lshlrev_b32_e32 v4, 30, v12
	v_xor_b32_e32 v30, vcc_lo, v30
	v_cmp_gt_i64_e32 vcc, 0, v[3:4]
	v_not_b32_e32 v4, v4
	v_ashrrev_i32_e32 v4, 31, v4
	v_and_b32_e32 v30, exec_lo, v30
	v_xor_b32_e32 v105, vcc_hi, v4
	v_xor_b32_e32 v4, vcc_lo, v4
	v_and_b32_e32 v30, v30, v4
	v_lshlrev_b32_e32 v4, 29, v12
	v_cmp_gt_i64_e32 vcc, 0, v[3:4]
	v_not_b32_e32 v4, v4
	v_ashrrev_i32_e32 v4, 31, v4
	v_and_b32_e32 v31, v31, v105
	v_xor_b32_e32 v105, vcc_hi, v4
	v_xor_b32_e32 v4, vcc_lo, v4
	v_and_b32_e32 v30, v30, v4
	v_lshlrev_b32_e32 v4, 28, v12
	v_cmp_gt_i64_e32 vcc, 0, v[3:4]
	v_not_b32_e32 v4, v4
	v_ashrrev_i32_e32 v4, 31, v4
	v_and_b32_e32 v31, v31, v105
	;; [unrolled: 8-line block ×5, first 2 shown]
	v_xor_b32_e32 v105, vcc_hi, v4
	v_xor_b32_e32 v4, vcc_lo, v4
	v_and_b32_e32 v30, v30, v4
	v_lshlrev_b32_e32 v4, 24, v12
	v_cmp_gt_i64_e32 vcc, 0, v[3:4]
	v_not_b32_e32 v4, v4
	v_ashrrev_i32_e32 v4, 31, v4
	v_mul_u32_u24_e32 v106, 20, v12
	v_xor_b32_e32 v12, vcc_hi, v4
	v_xor_b32_e32 v4, vcc_lo, v4
	v_and_b32_e32 v31, v31, v105
	v_and_b32_e32 v30, v30, v4
	;; [unrolled: 1-line block ×3, first 2 shown]
	v_mbcnt_lo_u32_b32 v4, v30, 0
	v_mbcnt_hi_u32_b32 v105, v31, v4
	v_cmp_ne_u64_e32 vcc, 0, v[30:31]
	v_cmp_eq_u32_e64 s[36:37], 0, v105
	v_add_u32_e32 v104, 0x410, v49
	v_add_u32_e32 v103, 0x418, v49
	s_and_b64 s[38:39], vcc, s[36:37]
	v_add_u32_e32 v106, v100, v106
	ds_write2_b32 v104, v3, v3 offset1:1
	ds_write2_b32 v103, v3, v3 offset1:1
	ds_write_b32 v49, v3 offset:1056
	s_waitcnt lgkmcnt(0)
	s_barrier
	; wave barrier
	s_and_saveexec_b64 s[36:37], s[38:39]
; %bb.578:                              ;   in Loop: Header=BB1359_563 Depth=2
	v_bcnt_u32_b32 v4, v30, 0
	v_bcnt_u32_b32 v4, v31, v4
	ds_write_b32 v106, v4 offset:1040
; %bb.579:                              ;   in Loop: Header=BB1359_563 Depth=2
	s_or_b64 exec, exec, s[36:37]
	v_cmp_gt_i32_e32 vcc, 0, v13
	v_cndmask_b32_e64 v4, v73, 0, vcc
	v_xor_b32_e32 v30, v4, v13
	v_cmp_ne_u32_e32 vcc, s62, v30
	v_cndmask_b32_e32 v4, v73, v30, vcc
	v_lshrrev_b32_e32 v4, s77, v4
	v_and_b32_e32 v12, s70, v4
	v_mad_u32_u24 v4, v12, 20, v100
	; wave barrier
	ds_read_b32 v31, v4 offset:1040
	v_and_b32_e32 v4, 1, v12
	v_add_co_u32_e32 v13, vcc, -1, v4
	v_addc_co_u32_e64 v107, s[36:37], 0, -1, vcc
	v_cmp_ne_u32_e32 vcc, 0, v4
	v_xor_b32_e32 v4, vcc_hi, v107
	v_and_b32_e32 v107, exec_hi, v4
	v_lshlrev_b32_e32 v4, 30, v12
	v_xor_b32_e32 v13, vcc_lo, v13
	v_cmp_gt_i64_e32 vcc, 0, v[3:4]
	v_not_b32_e32 v4, v4
	v_ashrrev_i32_e32 v4, 31, v4
	v_and_b32_e32 v13, exec_lo, v13
	v_xor_b32_e32 v109, vcc_hi, v4
	v_xor_b32_e32 v4, vcc_lo, v4
	v_and_b32_e32 v13, v13, v4
	v_lshlrev_b32_e32 v4, 29, v12
	v_cmp_gt_i64_e32 vcc, 0, v[3:4]
	v_not_b32_e32 v4, v4
	v_ashrrev_i32_e32 v4, 31, v4
	v_and_b32_e32 v107, v107, v109
	v_xor_b32_e32 v109, vcc_hi, v4
	v_xor_b32_e32 v4, vcc_lo, v4
	v_and_b32_e32 v13, v13, v4
	v_lshlrev_b32_e32 v4, 28, v12
	v_cmp_gt_i64_e32 vcc, 0, v[3:4]
	v_not_b32_e32 v4, v4
	v_ashrrev_i32_e32 v4, 31, v4
	v_and_b32_e32 v107, v107, v109
	;; [unrolled: 8-line block ×5, first 2 shown]
	v_xor_b32_e32 v109, vcc_hi, v4
	v_xor_b32_e32 v4, vcc_lo, v4
	v_and_b32_e32 v107, v107, v109
	v_and_b32_e32 v109, v13, v4
	v_lshlrev_b32_e32 v4, 24, v12
	v_cmp_gt_i64_e32 vcc, 0, v[3:4]
	v_not_b32_e32 v4, v4
	v_ashrrev_i32_e32 v4, 31, v4
	v_mul_u32_u24_e32 v108, 20, v12
	v_xor_b32_e32 v12, vcc_hi, v4
	v_xor_b32_e32 v4, vcc_lo, v4
	v_and_b32_e32 v13, v107, v12
	v_and_b32_e32 v12, v109, v4
	v_mbcnt_lo_u32_b32 v4, v12, 0
	v_mbcnt_hi_u32_b32 v107, v13, v4
	v_cmp_ne_u64_e32 vcc, 0, v[12:13]
	v_cmp_eq_u32_e64 s[36:37], 0, v107
	s_and_b64 s[38:39], vcc, s[36:37]
	v_add_u32_e32 v110, v100, v108
	; wave barrier
	s_and_saveexec_b64 s[36:37], s[38:39]
	s_cbranch_execz .LBB1359_581
; %bb.580:                              ;   in Loop: Header=BB1359_563 Depth=2
	v_bcnt_u32_b32 v4, v12, 0
	v_bcnt_u32_b32 v4, v13, v4
	s_waitcnt lgkmcnt(0)
	v_add_u32_e32 v4, v31, v4
	ds_write_b32 v110, v4 offset:1040
.LBB1359_581:                           ;   in Loop: Header=BB1359_563 Depth=2
	s_or_b64 exec, exec, s[36:37]
	v_cmp_gt_i32_e32 vcc, 0, v14
	v_cndmask_b32_e64 v4, v73, 0, vcc
	v_xor_b32_e32 v108, v4, v14
	v_cmp_ne_u32_e32 vcc, s62, v108
	v_cndmask_b32_e32 v4, v73, v108, vcc
	v_lshrrev_b32_e32 v4, s77, v4
	v_and_b32_e32 v12, s70, v4
	v_mad_u32_u24 v4, v12, 20, v100
	; wave barrier
	ds_read_b32 v109, v4 offset:1040
	v_and_b32_e32 v4, 1, v12
	v_add_co_u32_e32 v13, vcc, -1, v4
	v_addc_co_u32_e64 v111, s[36:37], 0, -1, vcc
	v_cmp_ne_u32_e32 vcc, 0, v4
	v_xor_b32_e32 v4, vcc_hi, v111
	v_and_b32_e32 v111, exec_hi, v4
	v_lshlrev_b32_e32 v4, 30, v12
	v_xor_b32_e32 v13, vcc_lo, v13
	v_cmp_gt_i64_e32 vcc, 0, v[3:4]
	v_not_b32_e32 v4, v4
	v_ashrrev_i32_e32 v4, 31, v4
	v_and_b32_e32 v13, exec_lo, v13
	v_xor_b32_e32 v112, vcc_hi, v4
	v_xor_b32_e32 v4, vcc_lo, v4
	v_and_b32_e32 v13, v13, v4
	v_lshlrev_b32_e32 v4, 29, v12
	v_cmp_gt_i64_e32 vcc, 0, v[3:4]
	v_not_b32_e32 v4, v4
	v_ashrrev_i32_e32 v4, 31, v4
	v_and_b32_e32 v111, v111, v112
	v_xor_b32_e32 v112, vcc_hi, v4
	v_xor_b32_e32 v4, vcc_lo, v4
	v_and_b32_e32 v13, v13, v4
	v_lshlrev_b32_e32 v4, 28, v12
	v_cmp_gt_i64_e32 vcc, 0, v[3:4]
	v_not_b32_e32 v4, v4
	v_ashrrev_i32_e32 v4, 31, v4
	v_and_b32_e32 v111, v111, v112
	;; [unrolled: 8-line block ×5, first 2 shown]
	v_xor_b32_e32 v112, vcc_hi, v4
	v_xor_b32_e32 v4, vcc_lo, v4
	v_and_b32_e32 v111, v111, v112
	v_and_b32_e32 v112, v13, v4
	v_lshlrev_b32_e32 v4, 24, v12
	v_cmp_gt_i64_e32 vcc, 0, v[3:4]
	v_not_b32_e32 v4, v4
	v_ashrrev_i32_e32 v4, 31, v4
	v_mul_u32_u24_e32 v14, 20, v12
	v_xor_b32_e32 v12, vcc_hi, v4
	v_xor_b32_e32 v4, vcc_lo, v4
	v_and_b32_e32 v13, v111, v12
	v_and_b32_e32 v12, v112, v4
	v_mbcnt_lo_u32_b32 v4, v12, 0
	v_mbcnt_hi_u32_b32 v111, v13, v4
	v_cmp_ne_u64_e32 vcc, 0, v[12:13]
	v_cmp_eq_u32_e64 s[36:37], 0, v111
	s_and_b64 s[38:39], vcc, s[36:37]
	v_add_u32_e32 v114, v100, v14
	; wave barrier
	s_and_saveexec_b64 s[36:37], s[38:39]
	s_cbranch_execz .LBB1359_583
; %bb.582:                              ;   in Loop: Header=BB1359_563 Depth=2
	v_bcnt_u32_b32 v4, v12, 0
	v_bcnt_u32_b32 v4, v13, v4
	s_waitcnt lgkmcnt(0)
	v_add_u32_e32 v4, v109, v4
	ds_write_b32 v114, v4 offset:1040
.LBB1359_583:                           ;   in Loop: Header=BB1359_563 Depth=2
	s_or_b64 exec, exec, s[36:37]
	v_cmp_gt_i32_e32 vcc, 0, v15
	v_cndmask_b32_e64 v4, v73, 0, vcc
	v_xor_b32_e32 v112, v4, v15
	v_cmp_ne_u32_e32 vcc, s62, v112
	v_cndmask_b32_e32 v4, v73, v112, vcc
	v_lshrrev_b32_e32 v4, s77, v4
	v_and_b32_e32 v12, s70, v4
	v_mad_u32_u24 v4, v12, 20, v100
	; wave barrier
	ds_read_b32 v113, v4 offset:1040
	v_and_b32_e32 v4, 1, v12
	v_add_co_u32_e32 v13, vcc, -1, v4
	v_addc_co_u32_e64 v15, s[36:37], 0, -1, vcc
	v_cmp_ne_u32_e32 vcc, 0, v4
	v_xor_b32_e32 v4, vcc_hi, v15
	v_and_b32_e32 v15, exec_hi, v4
	v_lshlrev_b32_e32 v4, 30, v12
	v_xor_b32_e32 v13, vcc_lo, v13
	v_cmp_gt_i64_e32 vcc, 0, v[3:4]
	v_not_b32_e32 v4, v4
	v_ashrrev_i32_e32 v4, 31, v4
	v_and_b32_e32 v13, exec_lo, v13
	v_xor_b32_e32 v115, vcc_hi, v4
	v_xor_b32_e32 v4, vcc_lo, v4
	v_and_b32_e32 v13, v13, v4
	v_lshlrev_b32_e32 v4, 29, v12
	v_cmp_gt_i64_e32 vcc, 0, v[3:4]
	v_not_b32_e32 v4, v4
	v_ashrrev_i32_e32 v4, 31, v4
	v_and_b32_e32 v15, v15, v115
	v_xor_b32_e32 v115, vcc_hi, v4
	v_xor_b32_e32 v4, vcc_lo, v4
	v_and_b32_e32 v13, v13, v4
	v_lshlrev_b32_e32 v4, 28, v12
	v_cmp_gt_i64_e32 vcc, 0, v[3:4]
	v_not_b32_e32 v4, v4
	v_ashrrev_i32_e32 v4, 31, v4
	v_and_b32_e32 v15, v15, v115
	;; [unrolled: 8-line block ×5, first 2 shown]
	v_xor_b32_e32 v115, vcc_hi, v4
	v_xor_b32_e32 v4, vcc_lo, v4
	v_and_b32_e32 v15, v15, v115
	v_and_b32_e32 v115, v13, v4
	v_lshlrev_b32_e32 v4, 24, v12
	v_cmp_gt_i64_e32 vcc, 0, v[3:4]
	v_not_b32_e32 v4, v4
	v_ashrrev_i32_e32 v4, 31, v4
	v_mul_u32_u24_e32 v14, 20, v12
	v_xor_b32_e32 v12, vcc_hi, v4
	v_xor_b32_e32 v4, vcc_lo, v4
	v_and_b32_e32 v13, v15, v12
	v_and_b32_e32 v12, v115, v4
	v_mbcnt_lo_u32_b32 v4, v12, 0
	v_mbcnt_hi_u32_b32 v115, v13, v4
	v_cmp_ne_u64_e32 vcc, 0, v[12:13]
	v_cmp_eq_u32_e64 s[36:37], 0, v115
	s_and_b64 s[38:39], vcc, s[36:37]
	v_add_u32_e32 v117, v100, v14
	; wave barrier
	s_and_saveexec_b64 s[36:37], s[38:39]
	s_cbranch_execz .LBB1359_585
; %bb.584:                              ;   in Loop: Header=BB1359_563 Depth=2
	v_bcnt_u32_b32 v4, v12, 0
	v_bcnt_u32_b32 v4, v13, v4
	s_waitcnt lgkmcnt(0)
	v_add_u32_e32 v4, v113, v4
	ds_write_b32 v117, v4 offset:1040
.LBB1359_585:                           ;   in Loop: Header=BB1359_563 Depth=2
	s_or_b64 exec, exec, s[36:37]
	v_cmp_gt_i32_e32 vcc, 0, v16
	v_cndmask_b32_e64 v4, v73, 0, vcc
	v_xor_b32_e32 v116, v4, v16
	v_cmp_ne_u32_e32 vcc, s62, v116
	v_cndmask_b32_e32 v4, v73, v116, vcc
	v_lshrrev_b32_e32 v4, s77, v4
	v_and_b32_e32 v12, s70, v4
	v_mad_u32_u24 v4, v12, 20, v100
	; wave barrier
	ds_read_b32 v16, v4 offset:1040
	v_and_b32_e32 v4, 1, v12
	v_add_co_u32_e32 v13, vcc, -1, v4
	v_addc_co_u32_e64 v15, s[36:37], 0, -1, vcc
	v_cmp_ne_u32_e32 vcc, 0, v4
	v_xor_b32_e32 v4, vcc_hi, v15
	v_and_b32_e32 v15, exec_hi, v4
	v_lshlrev_b32_e32 v4, 30, v12
	v_xor_b32_e32 v13, vcc_lo, v13
	v_cmp_gt_i64_e32 vcc, 0, v[3:4]
	v_not_b32_e32 v4, v4
	v_ashrrev_i32_e32 v4, 31, v4
	v_and_b32_e32 v13, exec_lo, v13
	v_xor_b32_e32 v118, vcc_hi, v4
	v_xor_b32_e32 v4, vcc_lo, v4
	v_and_b32_e32 v13, v13, v4
	v_lshlrev_b32_e32 v4, 29, v12
	v_cmp_gt_i64_e32 vcc, 0, v[3:4]
	v_not_b32_e32 v4, v4
	v_ashrrev_i32_e32 v4, 31, v4
	v_and_b32_e32 v15, v15, v118
	v_xor_b32_e32 v118, vcc_hi, v4
	v_xor_b32_e32 v4, vcc_lo, v4
	v_and_b32_e32 v13, v13, v4
	v_lshlrev_b32_e32 v4, 28, v12
	v_cmp_gt_i64_e32 vcc, 0, v[3:4]
	v_not_b32_e32 v4, v4
	v_ashrrev_i32_e32 v4, 31, v4
	v_and_b32_e32 v15, v15, v118
	v_xor_b32_e32 v118, vcc_hi, v4
	v_xor_b32_e32 v4, vcc_lo, v4
	v_and_b32_e32 v13, v13, v4
	v_lshlrev_b32_e32 v4, 27, v12
	v_cmp_gt_i64_e32 vcc, 0, v[3:4]
	v_not_b32_e32 v4, v4
	v_ashrrev_i32_e32 v4, 31, v4
	v_and_b32_e32 v15, v15, v118
	v_xor_b32_e32 v118, vcc_hi, v4
	v_xor_b32_e32 v4, vcc_lo, v4
	v_and_b32_e32 v13, v13, v4
	v_lshlrev_b32_e32 v4, 26, v12
	v_cmp_gt_i64_e32 vcc, 0, v[3:4]
	v_not_b32_e32 v4, v4
	v_ashrrev_i32_e32 v4, 31, v4
	v_and_b32_e32 v15, v15, v118
	v_xor_b32_e32 v118, vcc_hi, v4
	v_xor_b32_e32 v4, vcc_lo, v4
	v_and_b32_e32 v13, v13, v4
	v_lshlrev_b32_e32 v4, 25, v12
	v_cmp_gt_i64_e32 vcc, 0, v[3:4]
	v_not_b32_e32 v4, v4
	v_ashrrev_i32_e32 v4, 31, v4
	v_and_b32_e32 v15, v15, v118
	v_xor_b32_e32 v118, vcc_hi, v4
	v_xor_b32_e32 v4, vcc_lo, v4
	v_and_b32_e32 v15, v15, v118
	v_and_b32_e32 v118, v13, v4
	v_lshlrev_b32_e32 v4, 24, v12
	v_cmp_gt_i64_e32 vcc, 0, v[3:4]
	v_not_b32_e32 v4, v4
	v_ashrrev_i32_e32 v4, 31, v4
	v_mul_u32_u24_e32 v14, 20, v12
	v_xor_b32_e32 v12, vcc_hi, v4
	v_xor_b32_e32 v4, vcc_lo, v4
	v_and_b32_e32 v13, v15, v12
	v_and_b32_e32 v12, v118, v4
	v_mbcnt_lo_u32_b32 v4, v12, 0
	v_mbcnt_hi_u32_b32 v118, v13, v4
	v_cmp_ne_u64_e32 vcc, 0, v[12:13]
	v_cmp_eq_u32_e64 s[36:37], 0, v118
	s_and_b64 s[38:39], vcc, s[36:37]
	v_add_u32_e32 v121, v100, v14
	; wave barrier
	s_and_saveexec_b64 s[36:37], s[38:39]
	s_cbranch_execz .LBB1359_587
; %bb.586:                              ;   in Loop: Header=BB1359_563 Depth=2
	v_bcnt_u32_b32 v4, v12, 0
	v_bcnt_u32_b32 v4, v13, v4
	s_waitcnt lgkmcnt(0)
	v_add_u32_e32 v4, v16, v4
	ds_write_b32 v121, v4 offset:1040
.LBB1359_587:                           ;   in Loop: Header=BB1359_563 Depth=2
	s_or_b64 exec, exec, s[36:37]
	v_cmp_gt_i32_e32 vcc, 0, v17
	v_cndmask_b32_e64 v4, v73, 0, vcc
	v_xor_b32_e32 v119, v4, v17
	v_cmp_ne_u32_e32 vcc, s62, v119
	v_cndmask_b32_e32 v4, v73, v119, vcc
	v_lshrrev_b32_e32 v4, s77, v4
	v_and_b32_e32 v12, s70, v4
	v_mad_u32_u24 v4, v12, 20, v100
	; wave barrier
	ds_read_b32 v120, v4 offset:1040
	v_and_b32_e32 v4, 1, v12
	v_add_co_u32_e32 v13, vcc, -1, v4
	v_addc_co_u32_e64 v15, s[36:37], 0, -1, vcc
	v_cmp_ne_u32_e32 vcc, 0, v4
	v_xor_b32_e32 v4, vcc_hi, v15
	v_and_b32_e32 v15, exec_hi, v4
	v_lshlrev_b32_e32 v4, 30, v12
	v_xor_b32_e32 v13, vcc_lo, v13
	v_cmp_gt_i64_e32 vcc, 0, v[3:4]
	v_not_b32_e32 v4, v4
	v_ashrrev_i32_e32 v4, 31, v4
	v_and_b32_e32 v13, exec_lo, v13
	v_xor_b32_e32 v17, vcc_hi, v4
	v_xor_b32_e32 v4, vcc_lo, v4
	v_and_b32_e32 v13, v13, v4
	v_lshlrev_b32_e32 v4, 29, v12
	v_cmp_gt_i64_e32 vcc, 0, v[3:4]
	v_not_b32_e32 v4, v4
	v_ashrrev_i32_e32 v4, 31, v4
	v_and_b32_e32 v15, v15, v17
	v_xor_b32_e32 v17, vcc_hi, v4
	v_xor_b32_e32 v4, vcc_lo, v4
	v_and_b32_e32 v13, v13, v4
	v_lshlrev_b32_e32 v4, 28, v12
	v_cmp_gt_i64_e32 vcc, 0, v[3:4]
	v_not_b32_e32 v4, v4
	v_ashrrev_i32_e32 v4, 31, v4
	v_and_b32_e32 v15, v15, v17
	;; [unrolled: 8-line block ×5, first 2 shown]
	v_xor_b32_e32 v17, vcc_hi, v4
	v_xor_b32_e32 v4, vcc_lo, v4
	v_and_b32_e32 v15, v15, v17
	v_and_b32_e32 v17, v13, v4
	v_lshlrev_b32_e32 v4, 24, v12
	v_cmp_gt_i64_e32 vcc, 0, v[3:4]
	v_not_b32_e32 v4, v4
	v_ashrrev_i32_e32 v4, 31, v4
	v_mul_u32_u24_e32 v14, 20, v12
	v_xor_b32_e32 v12, vcc_hi, v4
	v_xor_b32_e32 v4, vcc_lo, v4
	v_and_b32_e32 v13, v15, v12
	v_and_b32_e32 v12, v17, v4
	v_mbcnt_lo_u32_b32 v4, v12, 0
	v_mbcnt_hi_u32_b32 v122, v13, v4
	v_cmp_ne_u64_e32 vcc, 0, v[12:13]
	v_cmp_eq_u32_e64 s[36:37], 0, v122
	s_and_b64 s[38:39], vcc, s[36:37]
	v_add_u32_e32 v17, v100, v14
	; wave barrier
	s_and_saveexec_b64 s[36:37], s[38:39]
	s_cbranch_execz .LBB1359_589
; %bb.588:                              ;   in Loop: Header=BB1359_563 Depth=2
	v_bcnt_u32_b32 v4, v12, 0
	v_bcnt_u32_b32 v4, v13, v4
	s_waitcnt lgkmcnt(0)
	v_add_u32_e32 v4, v120, v4
	ds_write_b32 v17, v4 offset:1040
.LBB1359_589:                           ;   in Loop: Header=BB1359_563 Depth=2
	s_or_b64 exec, exec, s[36:37]
	v_cmp_gt_i32_e32 vcc, 0, v18
	v_cndmask_b32_e64 v4, v73, 0, vcc
	v_xor_b32_e32 v123, v4, v18
	v_cmp_ne_u32_e32 vcc, s62, v123
	v_cndmask_b32_e32 v4, v73, v123, vcc
	v_lshrrev_b32_e32 v4, s77, v4
	v_and_b32_e32 v12, s70, v4
	v_mad_u32_u24 v4, v12, 20, v100
	; wave barrier
	ds_read_b32 v124, v4 offset:1040
	v_and_b32_e32 v4, 1, v12
	v_add_co_u32_e32 v13, vcc, -1, v4
	v_addc_co_u32_e64 v15, s[36:37], 0, -1, vcc
	v_cmp_ne_u32_e32 vcc, 0, v4
	v_xor_b32_e32 v4, vcc_hi, v15
	v_and_b32_e32 v15, exec_hi, v4
	v_lshlrev_b32_e32 v4, 30, v12
	v_xor_b32_e32 v13, vcc_lo, v13
	v_cmp_gt_i64_e32 vcc, 0, v[3:4]
	v_not_b32_e32 v4, v4
	v_ashrrev_i32_e32 v4, 31, v4
	v_and_b32_e32 v13, exec_lo, v13
	v_xor_b32_e32 v18, vcc_hi, v4
	v_xor_b32_e32 v4, vcc_lo, v4
	v_and_b32_e32 v13, v13, v4
	v_lshlrev_b32_e32 v4, 29, v12
	v_cmp_gt_i64_e32 vcc, 0, v[3:4]
	v_not_b32_e32 v4, v4
	v_ashrrev_i32_e32 v4, 31, v4
	v_and_b32_e32 v15, v15, v18
	v_xor_b32_e32 v18, vcc_hi, v4
	v_xor_b32_e32 v4, vcc_lo, v4
	v_and_b32_e32 v13, v13, v4
	v_lshlrev_b32_e32 v4, 28, v12
	v_cmp_gt_i64_e32 vcc, 0, v[3:4]
	v_not_b32_e32 v4, v4
	v_ashrrev_i32_e32 v4, 31, v4
	v_and_b32_e32 v15, v15, v18
	;; [unrolled: 8-line block ×5, first 2 shown]
	v_xor_b32_e32 v18, vcc_hi, v4
	v_xor_b32_e32 v4, vcc_lo, v4
	v_and_b32_e32 v15, v15, v18
	v_and_b32_e32 v18, v13, v4
	v_lshlrev_b32_e32 v4, 24, v12
	v_cmp_gt_i64_e32 vcc, 0, v[3:4]
	v_not_b32_e32 v4, v4
	v_ashrrev_i32_e32 v4, 31, v4
	v_mul_u32_u24_e32 v14, 20, v12
	v_xor_b32_e32 v12, vcc_hi, v4
	v_xor_b32_e32 v4, vcc_lo, v4
	v_and_b32_e32 v13, v15, v12
	v_and_b32_e32 v12, v18, v4
	v_mbcnt_lo_u32_b32 v4, v12, 0
	v_mbcnt_hi_u32_b32 v125, v13, v4
	v_cmp_ne_u64_e32 vcc, 0, v[12:13]
	v_cmp_eq_u32_e64 s[36:37], 0, v125
	s_and_b64 s[38:39], vcc, s[36:37]
	v_add_u32_e32 v18, v100, v14
	; wave barrier
	s_and_saveexec_b64 s[36:37], s[38:39]
	s_cbranch_execz .LBB1359_591
; %bb.590:                              ;   in Loop: Header=BB1359_563 Depth=2
	v_bcnt_u32_b32 v4, v12, 0
	v_bcnt_u32_b32 v4, v13, v4
	s_waitcnt lgkmcnt(0)
	v_add_u32_e32 v4, v124, v4
	ds_write_b32 v18, v4 offset:1040
.LBB1359_591:                           ;   in Loop: Header=BB1359_563 Depth=2
	s_or_b64 exec, exec, s[36:37]
	v_cmp_gt_i32_e32 vcc, 0, v19
	v_cndmask_b32_e64 v4, v73, 0, vcc
	v_xor_b32_e32 v126, v4, v19
	v_cmp_ne_u32_e32 vcc, s62, v126
	v_cndmask_b32_e32 v4, v73, v126, vcc
	v_lshrrev_b32_e32 v4, s77, v4
	v_and_b32_e32 v12, s70, v4
	v_mad_u32_u24 v4, v12, 20, v100
	; wave barrier
	ds_read_b32 v127, v4 offset:1040
	v_and_b32_e32 v4, 1, v12
	v_add_co_u32_e32 v13, vcc, -1, v4
	v_addc_co_u32_e64 v15, s[36:37], 0, -1, vcc
	v_cmp_ne_u32_e32 vcc, 0, v4
	v_xor_b32_e32 v4, vcc_hi, v15
	v_and_b32_e32 v15, exec_hi, v4
	v_lshlrev_b32_e32 v4, 30, v12
	v_xor_b32_e32 v13, vcc_lo, v13
	v_cmp_gt_i64_e32 vcc, 0, v[3:4]
	v_not_b32_e32 v4, v4
	v_ashrrev_i32_e32 v4, 31, v4
	v_and_b32_e32 v13, exec_lo, v13
	v_xor_b32_e32 v19, vcc_hi, v4
	v_xor_b32_e32 v4, vcc_lo, v4
	v_and_b32_e32 v13, v13, v4
	v_lshlrev_b32_e32 v4, 29, v12
	v_cmp_gt_i64_e32 vcc, 0, v[3:4]
	v_not_b32_e32 v4, v4
	v_ashrrev_i32_e32 v4, 31, v4
	v_and_b32_e32 v15, v15, v19
	v_xor_b32_e32 v19, vcc_hi, v4
	v_xor_b32_e32 v4, vcc_lo, v4
	v_and_b32_e32 v13, v13, v4
	v_lshlrev_b32_e32 v4, 28, v12
	v_cmp_gt_i64_e32 vcc, 0, v[3:4]
	v_not_b32_e32 v4, v4
	v_ashrrev_i32_e32 v4, 31, v4
	v_and_b32_e32 v15, v15, v19
	;; [unrolled: 8-line block ×5, first 2 shown]
	v_xor_b32_e32 v19, vcc_hi, v4
	v_xor_b32_e32 v4, vcc_lo, v4
	v_and_b32_e32 v15, v15, v19
	v_and_b32_e32 v19, v13, v4
	v_lshlrev_b32_e32 v4, 24, v12
	v_cmp_gt_i64_e32 vcc, 0, v[3:4]
	v_not_b32_e32 v4, v4
	v_ashrrev_i32_e32 v4, 31, v4
	v_mul_u32_u24_e32 v14, 20, v12
	v_xor_b32_e32 v12, vcc_hi, v4
	v_xor_b32_e32 v4, vcc_lo, v4
	v_and_b32_e32 v13, v15, v12
	v_and_b32_e32 v12, v19, v4
	v_mbcnt_lo_u32_b32 v4, v12, 0
	v_mbcnt_hi_u32_b32 v128, v13, v4
	v_cmp_ne_u64_e32 vcc, 0, v[12:13]
	v_cmp_eq_u32_e64 s[36:37], 0, v128
	s_and_b64 s[38:39], vcc, s[36:37]
	v_add_u32_e32 v4, v100, v14
	; wave barrier
	s_and_saveexec_b64 s[36:37], s[38:39]
	s_cbranch_execz .LBB1359_593
; %bb.592:                              ;   in Loop: Header=BB1359_563 Depth=2
	v_bcnt_u32_b32 v12, v12, 0
	v_bcnt_u32_b32 v12, v13, v12
	s_waitcnt lgkmcnt(0)
	v_add_u32_e32 v12, v127, v12
	ds_write_b32 v4, v12 offset:1040
.LBB1359_593:                           ;   in Loop: Header=BB1359_563 Depth=2
	s_or_b64 exec, exec, s[36:37]
	; wave barrier
	s_waitcnt lgkmcnt(0)
	s_barrier
	ds_read2_b32 v[14:15], v104 offset1:1
	ds_read2_b32 v[12:13], v103 offset1:1
	ds_read_b32 v19, v49 offset:1056
	s_waitcnt lgkmcnt(1)
	v_add3_u32 v129, v15, v14, v12
	s_waitcnt lgkmcnt(0)
	v_add3_u32 v19, v129, v13, v19
	s_nop 1
	v_mov_b32_dpp v129, v19 row_shr:1 row_mask:0xf bank_mask:0xf
	v_cndmask_b32_e64 v129, v129, 0, s[16:17]
	v_add_u32_e32 v19, v129, v19
	s_nop 1
	v_mov_b32_dpp v129, v19 row_shr:2 row_mask:0xf bank_mask:0xf
	v_cndmask_b32_e64 v129, 0, v129, s[18:19]
	v_add_u32_e32 v19, v19, v129
	;; [unrolled: 4-line block ×4, first 2 shown]
	s_nop 1
	v_mov_b32_dpp v129, v19 row_bcast:15 row_mask:0xf bank_mask:0xf
	v_cndmask_b32_e64 v129, v129, 0, s[24:25]
	v_add_u32_e32 v19, v19, v129
	s_nop 1
	v_mov_b32_dpp v129, v19 row_bcast:31 row_mask:0xf bank_mask:0xf
	v_cndmask_b32_e64 v129, 0, v129, s[26:27]
	v_add_u32_e32 v19, v19, v129
	s_and_saveexec_b64 s[36:37], s[6:7]
; %bb.594:                              ;   in Loop: Header=BB1359_563 Depth=2
	ds_write_b32 v44, v19 offset:1024
; %bb.595:                              ;   in Loop: Header=BB1359_563 Depth=2
	s_or_b64 exec, exec, s[36:37]
	s_waitcnt lgkmcnt(0)
	s_barrier
	s_and_saveexec_b64 s[36:37], s[8:9]
	s_cbranch_execz .LBB1359_597
; %bb.596:                              ;   in Loop: Header=BB1359_563 Depth=2
	ds_read_b32 v129, v50 offset:1024
	s_waitcnt lgkmcnt(0)
	s_nop 0
	v_mov_b32_dpp v130, v129 row_shr:1 row_mask:0xf bank_mask:0xf
	v_cndmask_b32_e64 v130, v130, 0, s[30:31]
	v_add_u32_e32 v129, v130, v129
	s_nop 1
	v_mov_b32_dpp v130, v129 row_shr:2 row_mask:0xf bank_mask:0xf
	v_cndmask_b32_e64 v130, 0, v130, s[34:35]
	v_add_u32_e32 v129, v129, v130
	ds_write_b32 v50, v129 offset:1024
.LBB1359_597:                           ;   in Loop: Header=BB1359_563 Depth=2
	s_or_b64 exec, exec, s[36:37]
	v_mov_b32_e32 v129, 0
	s_waitcnt lgkmcnt(0)
	s_barrier
	s_and_saveexec_b64 s[36:37], s[10:11]
; %bb.598:                              ;   in Loop: Header=BB1359_563 Depth=2
	ds_read_b32 v129, v44 offset:1020
; %bb.599:                              ;   in Loop: Header=BB1359_563 Depth=2
	s_or_b64 exec, exec, s[36:37]
	s_waitcnt lgkmcnt(0)
	v_add_u32_e32 v19, v129, v19
	ds_bpermute_b32 v19, v79, v19
	s_waitcnt lgkmcnt(0)
	v_cndmask_b32_e64 v19, v19, v129, s[28:29]
	v_cndmask_b32_e64 v19, v19, 0, s[12:13]
	v_add_u32_e32 v14, v19, v14
	v_add_u32_e32 v15, v14, v15
	;; [unrolled: 1-line block ×4, first 2 shown]
	ds_write2_b32 v104, v19, v14 offset1:1
	ds_write2_b32 v103, v15, v12 offset1:1
	ds_write_b32 v49, v13 offset:1056
	s_waitcnt lgkmcnt(0)
	s_barrier
	ds_read_b32 v12, v106 offset:1040
	ds_read_b32 v13, v110 offset:1040
	;; [unrolled: 1-line block ×9, first 2 shown]
	v_mov_b32_e32 v4, 0x800
	s_and_saveexec_b64 s[36:37], s[14:15]
; %bb.600:                              ;   in Loop: Header=BB1359_563 Depth=2
	ds_read_b32 v4, v49 offset:1060
; %bb.601:                              ;   in Loop: Header=BB1359_563 Depth=2
	s_or_b64 exec, exec, s[36:37]
	s_waitcnt lgkmcnt(0)
	s_barrier
	s_and_saveexec_b64 s[36:37], s[4:5]
	s_cbranch_execz .LBB1359_603
; %bb.602:                              ;   in Loop: Header=BB1359_563 Depth=2
	ds_read_b32 v18, v32
	s_waitcnt lgkmcnt(0)
	v_sub_u32_e32 v17, v18, v17
	ds_write_b32 v32, v17
.LBB1359_603:                           ;   in Loop: Header=BB1359_563 Depth=2
	s_or_b64 exec, exec, s[36:37]
	v_add_u32_e32 v103, v12, v105
	v_add3_u32 v31, v107, v31, v13
	v_lshlrev_b32_e32 v12, 2, v103
	v_add3_u32 v19, v111, v109, v14
	ds_write_b32 v12, v102 offset:1024
	v_lshlrev_b32_e32 v12, 2, v31
	v_add3_u32 v18, v115, v113, v15
	ds_write_b32 v12, v30 offset:1024
	;; [unrolled: 3-line block ×6, first 2 shown]
	v_lshlrev_b32_e32 v12, 2, v15
	ds_write_b32 v12, v123 offset:1024
	v_lshlrev_b32_e32 v12, 2, v14
	v_cmp_lt_u32_e32 vcc, v0, v101
	ds_write_b32 v12, v126 offset:1024
	s_waitcnt lgkmcnt(0)
	s_barrier
	s_and_saveexec_b64 s[38:39], vcc
	s_cbranch_execnz .LBB1359_640
; %bb.604:                              ;   in Loop: Header=BB1359_563 Depth=2
	s_or_b64 exec, exec, s[38:39]
	v_cmp_lt_u32_e64 s[36:37], v33, v101
	s_and_saveexec_b64 s[40:41], s[36:37]
	s_cbranch_execnz .LBB1359_641
.LBB1359_605:                           ;   in Loop: Header=BB1359_563 Depth=2
	s_or_b64 exec, exec, s[40:41]
	v_cmp_lt_u32_e64 s[38:39], v34, v101
	s_and_saveexec_b64 s[42:43], s[38:39]
	s_cbranch_execnz .LBB1359_642
.LBB1359_606:                           ;   in Loop: Header=BB1359_563 Depth=2
	s_or_b64 exec, exec, s[42:43]
	v_cmp_lt_u32_e64 s[40:41], v35, v101
	s_and_saveexec_b64 s[44:45], s[40:41]
	s_cbranch_execnz .LBB1359_643
.LBB1359_607:                           ;   in Loop: Header=BB1359_563 Depth=2
	s_or_b64 exec, exec, s[44:45]
	v_cmp_lt_u32_e64 s[42:43], v38, v101
	s_and_saveexec_b64 s[46:47], s[42:43]
	s_cbranch_execnz .LBB1359_644
.LBB1359_608:                           ;   in Loop: Header=BB1359_563 Depth=2
	s_or_b64 exec, exec, s[46:47]
	v_cmp_lt_u32_e64 s[44:45], v39, v101
	s_and_saveexec_b64 s[48:49], s[44:45]
	s_cbranch_execnz .LBB1359_645
.LBB1359_609:                           ;   in Loop: Header=BB1359_563 Depth=2
	s_or_b64 exec, exec, s[48:49]
	v_cmp_lt_u32_e64 s[46:47], v40, v101
	s_and_saveexec_b64 s[52:53], s[46:47]
	s_cbranch_execnz .LBB1359_646
.LBB1359_610:                           ;   in Loop: Header=BB1359_563 Depth=2
	s_or_b64 exec, exec, s[52:53]
	v_cmp_lt_u32_e64 s[48:49], v41, v101
	s_and_saveexec_b64 s[60:61], s[48:49]
	s_cbranch_execz .LBB1359_612
.LBB1359_611:                           ;   in Loop: Header=BB1359_563 Depth=2
	ds_read_b32 v12, v50 offset:8192
	v_mov_b32_e32 v13, v3
	v_mov_b32_e32 v102, s69
	s_waitcnt lgkmcnt(0)
	v_cmp_ne_u32_e64 s[52:53], s62, v12
	v_cndmask_b32_e64 v30, v73, v12, s[52:53]
	v_lshrrev_b32_e32 v30, s77, v30
	v_and_b32_e32 v30, s70, v30
	v_lshlrev_b32_e32 v30, 2, v30
	ds_read_b32 v30, v30
	v_cmp_gt_i32_e64 s[52:53], 0, v12
	v_cndmask_b32_e64 v104, v73, 0, s[52:53]
	v_xor_b32_e32 v104, v104, v12
	s_waitcnt lgkmcnt(0)
	v_add_u32_e32 v12, v30, v41
	v_lshlrev_b64 v[12:13], 2, v[12:13]
	v_add_co_u32_e64 v12, s[52:53], s68, v12
	v_addc_co_u32_e64 v13, s[52:53], v102, v13, s[52:53]
	global_store_dword v[12:13], v104, off
.LBB1359_612:                           ;   in Loop: Header=BB1359_563 Depth=2
	s_or_b64 exec, exec, s[60:61]
	s_lshl_b64 s[52:53], s[58:59], 3
	v_mov_b32_e32 v13, s53
	v_add_co_u32_e64 v12, s[52:53], s52, v87
	v_addc_co_u32_e64 v13, s[52:53], v89, v13, s[52:53]
	v_cmp_lt_u32_e64 s[52:53], v84, v101
	s_and_saveexec_b64 s[60:61], s[52:53]
	s_xor_b64 s[52:53], exec, s[60:61]
	s_cbranch_execnz .LBB1359_647
; %bb.613:                              ;   in Loop: Header=BB1359_563 Depth=2
	s_or_b64 exec, exec, s[52:53]
	v_cmp_lt_u32_e64 s[52:53], v91, v101
	s_and_saveexec_b64 s[60:61], s[52:53]
	s_cbranch_execnz .LBB1359_648
.LBB1359_614:                           ;   in Loop: Header=BB1359_563 Depth=2
	s_or_b64 exec, exec, s[60:61]
	v_cmp_lt_u32_e64 s[52:53], v92, v101
	s_and_saveexec_b64 s[60:61], s[52:53]
	s_cbranch_execnz .LBB1359_649
.LBB1359_615:                           ;   in Loop: Header=BB1359_563 Depth=2
	s_or_b64 exec, exec, s[60:61]
	v_cmp_lt_u32_e64 s[52:53], v93, v101
	s_and_saveexec_b64 s[60:61], s[52:53]
	s_cbranch_execnz .LBB1359_650
.LBB1359_616:                           ;   in Loop: Header=BB1359_563 Depth=2
	s_or_b64 exec, exec, s[60:61]
	v_cmp_lt_u32_e64 s[52:53], v94, v101
	s_and_saveexec_b64 s[60:61], s[52:53]
	s_cbranch_execnz .LBB1359_651
.LBB1359_617:                           ;   in Loop: Header=BB1359_563 Depth=2
	s_or_b64 exec, exec, s[60:61]
	v_cmp_lt_u32_e64 s[52:53], v95, v101
	s_and_saveexec_b64 s[60:61], s[52:53]
	s_cbranch_execnz .LBB1359_652
.LBB1359_618:                           ;   in Loop: Header=BB1359_563 Depth=2
	s_or_b64 exec, exec, s[60:61]
	v_cmp_lt_u32_e64 s[52:53], v96, v101
	s_and_saveexec_b64 s[60:61], s[52:53]
	s_cbranch_execnz .LBB1359_653
.LBB1359_619:                           ;   in Loop: Header=BB1359_563 Depth=2
	s_or_b64 exec, exec, s[60:61]
	v_cmp_lt_u32_e64 s[52:53], v97, v101
	s_and_saveexec_b64 s[60:61], s[52:53]
	s_cbranch_execnz .LBB1359_654
.LBB1359_620:                           ;   in Loop: Header=BB1359_563 Depth=2
	s_or_b64 exec, exec, s[60:61]
	s_and_saveexec_b64 s[60:61], vcc
	s_cbranch_execnz .LBB1359_655
.LBB1359_621:                           ;   in Loop: Header=BB1359_563 Depth=2
	s_or_b64 exec, exec, s[60:61]
	s_and_saveexec_b64 s[60:61], s[36:37]
	s_cbranch_execnz .LBB1359_656
.LBB1359_622:                           ;   in Loop: Header=BB1359_563 Depth=2
	s_or_b64 exec, exec, s[60:61]
	s_and_saveexec_b64 s[60:61], s[38:39]
	s_cbranch_execnz .LBB1359_657
.LBB1359_623:                           ;   in Loop: Header=BB1359_563 Depth=2
	s_or_b64 exec, exec, s[60:61]
	s_and_saveexec_b64 s[60:61], s[40:41]
	s_cbranch_execnz .LBB1359_658
.LBB1359_624:                           ;   in Loop: Header=BB1359_563 Depth=2
	s_or_b64 exec, exec, s[60:61]
	s_and_saveexec_b64 s[60:61], s[42:43]
	s_cbranch_execnz .LBB1359_659
.LBB1359_625:                           ;   in Loop: Header=BB1359_563 Depth=2
	s_or_b64 exec, exec, s[60:61]
	s_and_saveexec_b64 s[60:61], s[44:45]
	s_cbranch_execnz .LBB1359_660
.LBB1359_626:                           ;   in Loop: Header=BB1359_563 Depth=2
	s_or_b64 exec, exec, s[60:61]
	s_and_saveexec_b64 s[60:61], s[46:47]
	s_cbranch_execnz .LBB1359_661
.LBB1359_627:                           ;   in Loop: Header=BB1359_563 Depth=2
	s_or_b64 exec, exec, s[60:61]
	s_and_saveexec_b64 s[60:61], s[48:49]
	s_cbranch_execz .LBB1359_629
.LBB1359_628:                           ;   in Loop: Header=BB1359_563 Depth=2
	ds_read_b32 v12, v50 offset:8192
	s_waitcnt lgkmcnt(0)
	v_cmp_ne_u32_e64 s[52:53], s62, v12
	v_cndmask_b32_e64 v12, v73, v12, s[52:53]
	v_lshrrev_b32_e32 v12, s77, v12
	v_and_b32_e32 v80, s70, v12
.LBB1359_629:                           ;   in Loop: Header=BB1359_563 Depth=2
	s_or_b64 exec, exec, s[60:61]
	v_lshlrev_b32_e32 v12, 3, v103
	s_waitcnt vmcnt(0)
	s_barrier
	ds_write_b64 v12, v[28:29] offset:1024
	v_lshlrev_b32_e32 v12, 3, v31
	ds_write_b64 v12, v[26:27] offset:1024
	v_lshlrev_b32_e32 v12, 3, v19
	;; [unrolled: 2-line block ×7, first 2 shown]
	ds_write_b64 v12, v[5:6] offset:1024
	v_add_u32_e32 v12, v50, v32
	s_waitcnt lgkmcnt(0)
	s_barrier
	s_and_saveexec_b64 s[52:53], vcc
	s_cbranch_execnz .LBB1359_662
; %bb.630:                              ;   in Loop: Header=BB1359_563 Depth=2
	s_or_b64 exec, exec, s[52:53]
	s_and_saveexec_b64 s[52:53], s[36:37]
	s_cbranch_execnz .LBB1359_663
.LBB1359_631:                           ;   in Loop: Header=BB1359_563 Depth=2
	s_or_b64 exec, exec, s[52:53]
	s_and_saveexec_b64 s[36:37], s[38:39]
	s_cbranch_execnz .LBB1359_664
.LBB1359_632:                           ;   in Loop: Header=BB1359_563 Depth=2
	s_or_b64 exec, exec, s[36:37]
	s_and_saveexec_b64 s[36:37], s[40:41]
	s_cbranch_execnz .LBB1359_665
.LBB1359_633:                           ;   in Loop: Header=BB1359_563 Depth=2
	s_or_b64 exec, exec, s[36:37]
	s_and_saveexec_b64 s[36:37], s[42:43]
	s_cbranch_execnz .LBB1359_666
.LBB1359_634:                           ;   in Loop: Header=BB1359_563 Depth=2
	s_or_b64 exec, exec, s[36:37]
	s_and_saveexec_b64 s[36:37], s[44:45]
	s_cbranch_execnz .LBB1359_667
.LBB1359_635:                           ;   in Loop: Header=BB1359_563 Depth=2
	s_or_b64 exec, exec, s[36:37]
	s_and_saveexec_b64 s[36:37], s[46:47]
	s_cbranch_execnz .LBB1359_668
.LBB1359_636:                           ;   in Loop: Header=BB1359_563 Depth=2
	s_or_b64 exec, exec, s[36:37]
	s_and_saveexec_b64 s[36:37], s[48:49]
	s_cbranch_execz .LBB1359_638
.LBB1359_637:                           ;   in Loop: Header=BB1359_563 Depth=2
	v_lshlrev_b32_e32 v13, 2, v80
	ds_read_b32 v14, v13
	ds_read_b64 v[12:13], v12 offset:15360
	v_mov_b32_e32 v15, v3
	v_mov_b32_e32 v16, s75
	s_waitcnt lgkmcnt(1)
	v_add_u32_e32 v14, v14, v41
	v_lshlrev_b64 v[14:15], 3, v[14:15]
	v_add_co_u32_e32 v14, vcc, s74, v14
	v_addc_co_u32_e32 v15, vcc, v16, v15, vcc
	s_waitcnt lgkmcnt(0)
	global_store_dwordx2 v[14:15], v[12:13], off
.LBB1359_638:                           ;   in Loop: Header=BB1359_563 Depth=2
	s_or_b64 exec, exec, s[36:37]
	s_waitcnt vmcnt(0)
	s_barrier
	s_and_saveexec_b64 s[36:37], s[4:5]
	s_cbranch_execz .LBB1359_562
; %bb.639:                              ;   in Loop: Header=BB1359_563 Depth=2
	ds_read_b32 v12, v32
	s_waitcnt lgkmcnt(0)
	v_add_u32_e32 v4, v12, v4
	ds_write_b32 v32, v4
	s_branch .LBB1359_562
.LBB1359_640:                           ;   in Loop: Header=BB1359_563 Depth=2
	ds_read_b32 v12, v50 offset:1024
	v_mov_b32_e32 v13, v3
	v_mov_b32_e32 v102, s69
	s_waitcnt lgkmcnt(0)
	v_cmp_ne_u32_e64 s[36:37], s62, v12
	v_cndmask_b32_e64 v30, v73, v12, s[36:37]
	v_lshrrev_b32_e32 v30, s77, v30
	v_and_b32_e32 v30, s70, v30
	v_lshlrev_b32_e32 v30, 2, v30
	ds_read_b32 v30, v30
	v_cmp_gt_i32_e64 s[36:37], 0, v12
	v_cndmask_b32_e64 v104, v73, 0, s[36:37]
	v_xor_b32_e32 v104, v104, v12
	s_waitcnt lgkmcnt(0)
	v_add_u32_e32 v12, v30, v0
	v_lshlrev_b64 v[12:13], 2, v[12:13]
	v_add_co_u32_e64 v12, s[36:37], s68, v12
	v_addc_co_u32_e64 v13, s[36:37], v102, v13, s[36:37]
	global_store_dword v[12:13], v104, off
	s_or_b64 exec, exec, s[38:39]
	v_cmp_lt_u32_e64 s[36:37], v33, v101
	s_and_saveexec_b64 s[40:41], s[36:37]
	s_cbranch_execz .LBB1359_605
.LBB1359_641:                           ;   in Loop: Header=BB1359_563 Depth=2
	ds_read_b32 v12, v50 offset:2048
	v_mov_b32_e32 v13, v3
	v_mov_b32_e32 v102, s69
	s_waitcnt lgkmcnt(0)
	v_cmp_ne_u32_e64 s[38:39], s62, v12
	v_cndmask_b32_e64 v30, v73, v12, s[38:39]
	v_lshrrev_b32_e32 v30, s77, v30
	v_and_b32_e32 v30, s70, v30
	v_lshlrev_b32_e32 v30, 2, v30
	ds_read_b32 v30, v30
	v_cmp_gt_i32_e64 s[38:39], 0, v12
	v_cndmask_b32_e64 v104, v73, 0, s[38:39]
	v_xor_b32_e32 v104, v104, v12
	s_waitcnt lgkmcnt(0)
	v_add_u32_e32 v12, v30, v33
	v_lshlrev_b64 v[12:13], 2, v[12:13]
	v_add_co_u32_e64 v12, s[38:39], s68, v12
	v_addc_co_u32_e64 v13, s[38:39], v102, v13, s[38:39]
	global_store_dword v[12:13], v104, off
	s_or_b64 exec, exec, s[40:41]
	v_cmp_lt_u32_e64 s[38:39], v34, v101
	s_and_saveexec_b64 s[42:43], s[38:39]
	s_cbranch_execz .LBB1359_606
.LBB1359_642:                           ;   in Loop: Header=BB1359_563 Depth=2
	ds_read_b32 v12, v50 offset:3072
	v_mov_b32_e32 v13, v3
	v_mov_b32_e32 v102, s69
	s_waitcnt lgkmcnt(0)
	v_cmp_ne_u32_e64 s[40:41], s62, v12
	v_cndmask_b32_e64 v30, v73, v12, s[40:41]
	v_lshrrev_b32_e32 v30, s77, v30
	v_and_b32_e32 v30, s70, v30
	v_lshlrev_b32_e32 v30, 2, v30
	ds_read_b32 v30, v30
	v_cmp_gt_i32_e64 s[40:41], 0, v12
	v_cndmask_b32_e64 v104, v73, 0, s[40:41]
	v_xor_b32_e32 v104, v104, v12
	s_waitcnt lgkmcnt(0)
	v_add_u32_e32 v12, v30, v34
	v_lshlrev_b64 v[12:13], 2, v[12:13]
	v_add_co_u32_e64 v12, s[40:41], s68, v12
	v_addc_co_u32_e64 v13, s[40:41], v102, v13, s[40:41]
	global_store_dword v[12:13], v104, off
	s_or_b64 exec, exec, s[42:43]
	v_cmp_lt_u32_e64 s[40:41], v35, v101
	s_and_saveexec_b64 s[44:45], s[40:41]
	s_cbranch_execz .LBB1359_607
.LBB1359_643:                           ;   in Loop: Header=BB1359_563 Depth=2
	ds_read_b32 v12, v50 offset:4096
	v_mov_b32_e32 v13, v3
	v_mov_b32_e32 v102, s69
	s_waitcnt lgkmcnt(0)
	v_cmp_ne_u32_e64 s[42:43], s62, v12
	v_cndmask_b32_e64 v30, v73, v12, s[42:43]
	v_lshrrev_b32_e32 v30, s77, v30
	v_and_b32_e32 v30, s70, v30
	v_lshlrev_b32_e32 v30, 2, v30
	ds_read_b32 v30, v30
	v_cmp_gt_i32_e64 s[42:43], 0, v12
	v_cndmask_b32_e64 v104, v73, 0, s[42:43]
	v_xor_b32_e32 v104, v104, v12
	s_waitcnt lgkmcnt(0)
	v_add_u32_e32 v12, v30, v35
	v_lshlrev_b64 v[12:13], 2, v[12:13]
	v_add_co_u32_e64 v12, s[42:43], s68, v12
	v_addc_co_u32_e64 v13, s[42:43], v102, v13, s[42:43]
	global_store_dword v[12:13], v104, off
	s_or_b64 exec, exec, s[44:45]
	v_cmp_lt_u32_e64 s[42:43], v38, v101
	s_and_saveexec_b64 s[46:47], s[42:43]
	s_cbranch_execz .LBB1359_608
.LBB1359_644:                           ;   in Loop: Header=BB1359_563 Depth=2
	ds_read_b32 v12, v50 offset:5120
	v_mov_b32_e32 v13, v3
	v_mov_b32_e32 v102, s69
	s_waitcnt lgkmcnt(0)
	v_cmp_ne_u32_e64 s[44:45], s62, v12
	v_cndmask_b32_e64 v30, v73, v12, s[44:45]
	v_lshrrev_b32_e32 v30, s77, v30
	v_and_b32_e32 v30, s70, v30
	v_lshlrev_b32_e32 v30, 2, v30
	ds_read_b32 v30, v30
	v_cmp_gt_i32_e64 s[44:45], 0, v12
	v_cndmask_b32_e64 v104, v73, 0, s[44:45]
	v_xor_b32_e32 v104, v104, v12
	s_waitcnt lgkmcnt(0)
	v_add_u32_e32 v12, v30, v38
	v_lshlrev_b64 v[12:13], 2, v[12:13]
	v_add_co_u32_e64 v12, s[44:45], s68, v12
	v_addc_co_u32_e64 v13, s[44:45], v102, v13, s[44:45]
	global_store_dword v[12:13], v104, off
	s_or_b64 exec, exec, s[46:47]
	v_cmp_lt_u32_e64 s[44:45], v39, v101
	s_and_saveexec_b64 s[48:49], s[44:45]
	s_cbranch_execz .LBB1359_609
.LBB1359_645:                           ;   in Loop: Header=BB1359_563 Depth=2
	ds_read_b32 v12, v50 offset:6144
	v_mov_b32_e32 v13, v3
	v_mov_b32_e32 v102, s69
	s_waitcnt lgkmcnt(0)
	v_cmp_ne_u32_e64 s[46:47], s62, v12
	v_cndmask_b32_e64 v30, v73, v12, s[46:47]
	v_lshrrev_b32_e32 v30, s77, v30
	v_and_b32_e32 v30, s70, v30
	v_lshlrev_b32_e32 v30, 2, v30
	ds_read_b32 v30, v30
	v_cmp_gt_i32_e64 s[46:47], 0, v12
	v_cndmask_b32_e64 v104, v73, 0, s[46:47]
	v_xor_b32_e32 v104, v104, v12
	s_waitcnt lgkmcnt(0)
	v_add_u32_e32 v12, v30, v39
	v_lshlrev_b64 v[12:13], 2, v[12:13]
	v_add_co_u32_e64 v12, s[46:47], s68, v12
	v_addc_co_u32_e64 v13, s[46:47], v102, v13, s[46:47]
	global_store_dword v[12:13], v104, off
	s_or_b64 exec, exec, s[48:49]
	v_cmp_lt_u32_e64 s[46:47], v40, v101
	s_and_saveexec_b64 s[52:53], s[46:47]
	s_cbranch_execz .LBB1359_610
.LBB1359_646:                           ;   in Loop: Header=BB1359_563 Depth=2
	ds_read_b32 v12, v50 offset:7168
	v_mov_b32_e32 v13, v3
	v_mov_b32_e32 v102, s69
	s_waitcnt lgkmcnt(0)
	v_cmp_ne_u32_e64 s[48:49], s62, v12
	v_cndmask_b32_e64 v30, v73, v12, s[48:49]
	v_lshrrev_b32_e32 v30, s77, v30
	v_and_b32_e32 v30, s70, v30
	v_lshlrev_b32_e32 v30, 2, v30
	ds_read_b32 v30, v30
	v_cmp_gt_i32_e64 s[48:49], 0, v12
	v_cndmask_b32_e64 v104, v73, 0, s[48:49]
	v_xor_b32_e32 v104, v104, v12
	s_waitcnt lgkmcnt(0)
	v_add_u32_e32 v12, v30, v40
	v_lshlrev_b64 v[12:13], 2, v[12:13]
	v_add_co_u32_e64 v12, s[48:49], s68, v12
	v_addc_co_u32_e64 v13, s[48:49], v102, v13, s[48:49]
	global_store_dword v[12:13], v104, off
	s_or_b64 exec, exec, s[52:53]
	v_cmp_lt_u32_e64 s[48:49], v41, v101
	s_and_saveexec_b64 s[60:61], s[48:49]
	s_cbranch_execnz .LBB1359_611
	s_branch .LBB1359_612
.LBB1359_647:                           ;   in Loop: Header=BB1359_563 Depth=2
	global_load_dwordx2 v[28:29], v[12:13], off
	s_or_b64 exec, exec, s[52:53]
	v_cmp_lt_u32_e64 s[52:53], v91, v101
	s_and_saveexec_b64 s[60:61], s[52:53]
	s_cbranch_execz .LBB1359_614
.LBB1359_648:                           ;   in Loop: Header=BB1359_563 Depth=2
	global_load_dwordx2 v[26:27], v[12:13], off offset:512
	s_or_b64 exec, exec, s[60:61]
	v_cmp_lt_u32_e64 s[52:53], v92, v101
	s_and_saveexec_b64 s[60:61], s[52:53]
	s_cbranch_execz .LBB1359_615
.LBB1359_649:                           ;   in Loop: Header=BB1359_563 Depth=2
	global_load_dwordx2 v[24:25], v[12:13], off offset:1024
	s_or_b64 exec, exec, s[60:61]
	v_cmp_lt_u32_e64 s[52:53], v93, v101
	s_and_saveexec_b64 s[60:61], s[52:53]
	s_cbranch_execz .LBB1359_616
.LBB1359_650:                           ;   in Loop: Header=BB1359_563 Depth=2
	global_load_dwordx2 v[22:23], v[12:13], off offset:1536
	s_or_b64 exec, exec, s[60:61]
	v_cmp_lt_u32_e64 s[52:53], v94, v101
	s_and_saveexec_b64 s[60:61], s[52:53]
	s_cbranch_execz .LBB1359_617
.LBB1359_651:                           ;   in Loop: Header=BB1359_563 Depth=2
	global_load_dwordx2 v[20:21], v[12:13], off offset:2048
	s_or_b64 exec, exec, s[60:61]
	v_cmp_lt_u32_e64 s[52:53], v95, v101
	s_and_saveexec_b64 s[60:61], s[52:53]
	s_cbranch_execz .LBB1359_618
.LBB1359_652:                           ;   in Loop: Header=BB1359_563 Depth=2
	global_load_dwordx2 v[9:10], v[12:13], off offset:2560
	s_or_b64 exec, exec, s[60:61]
	v_cmp_lt_u32_e64 s[52:53], v96, v101
	s_and_saveexec_b64 s[60:61], s[52:53]
	s_cbranch_execz .LBB1359_619
.LBB1359_653:                           ;   in Loop: Header=BB1359_563 Depth=2
	global_load_dwordx2 v[7:8], v[12:13], off offset:3072
	s_or_b64 exec, exec, s[60:61]
	v_cmp_lt_u32_e64 s[52:53], v97, v101
	s_and_saveexec_b64 s[60:61], s[52:53]
	s_cbranch_execz .LBB1359_620
.LBB1359_654:                           ;   in Loop: Header=BB1359_563 Depth=2
	global_load_dwordx2 v[5:6], v[12:13], off offset:3584
	s_or_b64 exec, exec, s[60:61]
	s_and_saveexec_b64 s[60:61], vcc
	s_cbranch_execz .LBB1359_621
.LBB1359_655:                           ;   in Loop: Header=BB1359_563 Depth=2
	ds_read_b32 v12, v50 offset:1024
	s_waitcnt lgkmcnt(0)
	v_cmp_ne_u32_e64 s[52:53], s62, v12
	v_cndmask_b32_e64 v12, v73, v12, s[52:53]
	v_lshrrev_b32_e32 v12, s77, v12
	v_and_b32_e32 v90, s70, v12
	s_or_b64 exec, exec, s[60:61]
	s_and_saveexec_b64 s[60:61], s[36:37]
	s_cbranch_execz .LBB1359_622
.LBB1359_656:                           ;   in Loop: Header=BB1359_563 Depth=2
	ds_read_b32 v12, v50 offset:2048
	s_waitcnt lgkmcnt(0)
	v_cmp_ne_u32_e64 s[52:53], s62, v12
	v_cndmask_b32_e64 v12, v73, v12, s[52:53]
	v_lshrrev_b32_e32 v12, s77, v12
	v_and_b32_e32 v88, s70, v12
	s_or_b64 exec, exec, s[60:61]
	s_and_saveexec_b64 s[60:61], s[38:39]
	s_cbranch_execz .LBB1359_623
.LBB1359_657:                           ;   in Loop: Header=BB1359_563 Depth=2
	ds_read_b32 v12, v50 offset:3072
	s_waitcnt lgkmcnt(0)
	v_cmp_ne_u32_e64 s[52:53], s62, v12
	v_cndmask_b32_e64 v12, v73, v12, s[52:53]
	v_lshrrev_b32_e32 v12, s77, v12
	v_and_b32_e32 v86, s70, v12
	s_or_b64 exec, exec, s[60:61]
	s_and_saveexec_b64 s[60:61], s[40:41]
	s_cbranch_execz .LBB1359_624
.LBB1359_658:                           ;   in Loop: Header=BB1359_563 Depth=2
	ds_read_b32 v12, v50 offset:4096
	s_waitcnt lgkmcnt(0)
	v_cmp_ne_u32_e64 s[52:53], s62, v12
	v_cndmask_b32_e64 v12, v73, v12, s[52:53]
	v_lshrrev_b32_e32 v12, s77, v12
	v_and_b32_e32 v85, s70, v12
	s_or_b64 exec, exec, s[60:61]
	s_and_saveexec_b64 s[60:61], s[42:43]
	s_cbranch_execz .LBB1359_625
.LBB1359_659:                           ;   in Loop: Header=BB1359_563 Depth=2
	ds_read_b32 v12, v50 offset:5120
	s_waitcnt lgkmcnt(0)
	v_cmp_ne_u32_e64 s[52:53], s62, v12
	v_cndmask_b32_e64 v12, v73, v12, s[52:53]
	v_lshrrev_b32_e32 v12, s77, v12
	v_and_b32_e32 v83, s70, v12
	s_or_b64 exec, exec, s[60:61]
	s_and_saveexec_b64 s[60:61], s[44:45]
	s_cbranch_execz .LBB1359_626
.LBB1359_660:                           ;   in Loop: Header=BB1359_563 Depth=2
	ds_read_b32 v12, v50 offset:6144
	s_waitcnt lgkmcnt(0)
	v_cmp_ne_u32_e64 s[52:53], s62, v12
	v_cndmask_b32_e64 v12, v73, v12, s[52:53]
	v_lshrrev_b32_e32 v12, s77, v12
	v_and_b32_e32 v82, s70, v12
	s_or_b64 exec, exec, s[60:61]
	s_and_saveexec_b64 s[60:61], s[46:47]
	s_cbranch_execz .LBB1359_627
.LBB1359_661:                           ;   in Loop: Header=BB1359_563 Depth=2
	ds_read_b32 v12, v50 offset:7168
	s_waitcnt lgkmcnt(0)
	v_cmp_ne_u32_e64 s[52:53], s62, v12
	v_cndmask_b32_e64 v12, v73, v12, s[52:53]
	v_lshrrev_b32_e32 v12, s77, v12
	v_and_b32_e32 v81, s70, v12
	s_or_b64 exec, exec, s[60:61]
	s_and_saveexec_b64 s[60:61], s[48:49]
	s_cbranch_execnz .LBB1359_628
	s_branch .LBB1359_629
.LBB1359_662:                           ;   in Loop: Header=BB1359_563 Depth=2
	v_lshlrev_b32_e32 v13, 2, v90
	ds_read_b32 v15, v13
	ds_read_b64 v[13:14], v12 offset:1024
	v_mov_b32_e32 v16, v3
	v_mov_b32_e32 v17, s75
	s_waitcnt lgkmcnt(1)
	v_add_u32_e32 v15, v15, v0
	v_lshlrev_b64 v[15:16], 3, v[15:16]
	v_add_co_u32_e32 v15, vcc, s74, v15
	v_addc_co_u32_e32 v16, vcc, v17, v16, vcc
	s_waitcnt lgkmcnt(0)
	global_store_dwordx2 v[15:16], v[13:14], off
	s_or_b64 exec, exec, s[52:53]
	s_and_saveexec_b64 s[52:53], s[36:37]
	s_cbranch_execz .LBB1359_631
.LBB1359_663:                           ;   in Loop: Header=BB1359_563 Depth=2
	v_lshlrev_b32_e32 v13, 2, v88
	ds_read_b32 v15, v13
	ds_read_b64 v[13:14], v12 offset:3072
	v_mov_b32_e32 v16, v3
	v_mov_b32_e32 v17, s75
	s_waitcnt lgkmcnt(1)
	v_add_u32_e32 v15, v15, v33
	v_lshlrev_b64 v[15:16], 3, v[15:16]
	v_add_co_u32_e32 v15, vcc, s74, v15
	v_addc_co_u32_e32 v16, vcc, v17, v16, vcc
	s_waitcnt lgkmcnt(0)
	global_store_dwordx2 v[15:16], v[13:14], off
	s_or_b64 exec, exec, s[52:53]
	s_and_saveexec_b64 s[36:37], s[38:39]
	s_cbranch_execz .LBB1359_632
.LBB1359_664:                           ;   in Loop: Header=BB1359_563 Depth=2
	v_lshlrev_b32_e32 v13, 2, v86
	ds_read_b32 v15, v13
	ds_read_b64 v[13:14], v12 offset:5120
	v_mov_b32_e32 v16, v3
	v_mov_b32_e32 v17, s75
	s_waitcnt lgkmcnt(1)
	v_add_u32_e32 v15, v15, v34
	v_lshlrev_b64 v[15:16], 3, v[15:16]
	v_add_co_u32_e32 v15, vcc, s74, v15
	v_addc_co_u32_e32 v16, vcc, v17, v16, vcc
	s_waitcnt lgkmcnt(0)
	global_store_dwordx2 v[15:16], v[13:14], off
	s_or_b64 exec, exec, s[36:37]
	s_and_saveexec_b64 s[36:37], s[40:41]
	s_cbranch_execz .LBB1359_633
.LBB1359_665:                           ;   in Loop: Header=BB1359_563 Depth=2
	v_lshlrev_b32_e32 v13, 2, v85
	ds_read_b32 v15, v13
	ds_read_b64 v[13:14], v12 offset:7168
	v_mov_b32_e32 v16, v3
	v_mov_b32_e32 v17, s75
	s_waitcnt lgkmcnt(1)
	v_add_u32_e32 v15, v15, v35
	v_lshlrev_b64 v[15:16], 3, v[15:16]
	v_add_co_u32_e32 v15, vcc, s74, v15
	v_addc_co_u32_e32 v16, vcc, v17, v16, vcc
	s_waitcnt lgkmcnt(0)
	global_store_dwordx2 v[15:16], v[13:14], off
	s_or_b64 exec, exec, s[36:37]
	s_and_saveexec_b64 s[36:37], s[42:43]
	s_cbranch_execz .LBB1359_634
.LBB1359_666:                           ;   in Loop: Header=BB1359_563 Depth=2
	v_lshlrev_b32_e32 v13, 2, v83
	ds_read_b32 v15, v13
	ds_read_b64 v[13:14], v12 offset:9216
	v_mov_b32_e32 v16, v3
	v_mov_b32_e32 v17, s75
	s_waitcnt lgkmcnt(1)
	v_add_u32_e32 v15, v15, v38
	v_lshlrev_b64 v[15:16], 3, v[15:16]
	v_add_co_u32_e32 v15, vcc, s74, v15
	v_addc_co_u32_e32 v16, vcc, v17, v16, vcc
	s_waitcnt lgkmcnt(0)
	global_store_dwordx2 v[15:16], v[13:14], off
	s_or_b64 exec, exec, s[36:37]
	s_and_saveexec_b64 s[36:37], s[44:45]
	s_cbranch_execz .LBB1359_635
.LBB1359_667:                           ;   in Loop: Header=BB1359_563 Depth=2
	v_lshlrev_b32_e32 v13, 2, v82
	ds_read_b32 v15, v13
	ds_read_b64 v[13:14], v12 offset:11264
	v_mov_b32_e32 v16, v3
	v_mov_b32_e32 v17, s75
	s_waitcnt lgkmcnt(1)
	v_add_u32_e32 v15, v15, v39
	v_lshlrev_b64 v[15:16], 3, v[15:16]
	v_add_co_u32_e32 v15, vcc, s74, v15
	v_addc_co_u32_e32 v16, vcc, v17, v16, vcc
	s_waitcnt lgkmcnt(0)
	global_store_dwordx2 v[15:16], v[13:14], off
	s_or_b64 exec, exec, s[36:37]
	s_and_saveexec_b64 s[36:37], s[46:47]
	s_cbranch_execz .LBB1359_636
.LBB1359_668:                           ;   in Loop: Header=BB1359_563 Depth=2
	v_lshlrev_b32_e32 v13, 2, v81
	ds_read_b32 v15, v13
	ds_read_b64 v[13:14], v12 offset:13312
	v_mov_b32_e32 v16, v3
	v_mov_b32_e32 v17, s75
	s_waitcnt lgkmcnt(1)
	v_add_u32_e32 v15, v15, v40
	v_lshlrev_b64 v[15:16], 3, v[15:16]
	v_add_co_u32_e32 v15, vcc, s74, v15
	v_addc_co_u32_e32 v16, vcc, v17, v16, vcc
	s_waitcnt lgkmcnt(0)
	global_store_dwordx2 v[15:16], v[13:14], off
	s_or_b64 exec, exec, s[36:37]
	s_and_saveexec_b64 s[36:37], s[48:49]
	s_cbranch_execnz .LBB1359_637
	s_branch .LBB1359_638
.LBB1359_669:                           ;   in Loop: Header=BB1359_563 Depth=2
	global_load_dword v12, v[30:31], off
	v_mov_b32_e32 v13, v11
	v_mov_b32_e32 v14, v11
	;; [unrolled: 1-line block ×7, first 2 shown]
	s_or_b64 exec, exec, s[36:37]
	v_cmp_gt_u32_e32 vcc, s71, v91
	s_and_saveexec_b64 s[36:37], vcc
	s_cbranch_execz .LBB1359_568
.LBB1359_670:                           ;   in Loop: Header=BB1359_563 Depth=2
	global_load_dword v13, v[30:31], off offset:256
	s_or_b64 exec, exec, s[36:37]
	v_cmp_gt_u32_e32 vcc, s71, v92
	s_and_saveexec_b64 s[36:37], vcc
	s_cbranch_execz .LBB1359_569
.LBB1359_671:                           ;   in Loop: Header=BB1359_563 Depth=2
	global_load_dword v14, v[30:31], off offset:512
	s_or_b64 exec, exec, s[36:37]
	v_cmp_gt_u32_e32 vcc, s71, v93
	s_and_saveexec_b64 s[36:37], vcc
	s_cbranch_execz .LBB1359_570
.LBB1359_672:                           ;   in Loop: Header=BB1359_563 Depth=2
	global_load_dword v15, v[30:31], off offset:768
	s_or_b64 exec, exec, s[36:37]
	v_cmp_gt_u32_e32 vcc, s71, v94
	s_and_saveexec_b64 s[36:37], vcc
	s_cbranch_execz .LBB1359_571
.LBB1359_673:                           ;   in Loop: Header=BB1359_563 Depth=2
	global_load_dword v16, v[30:31], off offset:1024
	s_or_b64 exec, exec, s[36:37]
	v_cmp_gt_u32_e32 vcc, s71, v95
	s_and_saveexec_b64 s[36:37], vcc
	s_cbranch_execz .LBB1359_572
.LBB1359_674:                           ;   in Loop: Header=BB1359_563 Depth=2
	global_load_dword v17, v[30:31], off offset:1280
	s_or_b64 exec, exec, s[36:37]
	v_cmp_gt_u32_e32 vcc, s71, v96
	s_and_saveexec_b64 s[36:37], vcc
	s_cbranch_execnz .LBB1359_573
	s_branch .LBB1359_574
.LBB1359_675:
	s_endpgm
	.section	.rodata,"a",@progbits
	.p2align	6, 0x0
	.amdhsa_kernel _ZN7rocprim17ROCPRIM_400000_NS6detail17trampoline_kernelINS0_14default_configENS1_36segmented_radix_sort_config_selectorIflEEZNS1_25segmented_radix_sort_implIS3_Lb1EPKfPfPKlPlN2at6native12_GLOBAL__N_18offset_tEEE10hipError_tPvRmT1_PNSt15iterator_traitsISK_E10value_typeET2_T3_PNSL_ISQ_E10value_typeET4_jRbjT5_SW_jjP12ihipStream_tbEUlT_E2_NS1_11comp_targetILNS1_3genE2ELNS1_11target_archE906ELNS1_3gpuE6ELNS1_3repE0EEENS1_30default_config_static_selectorELNS0_4arch9wavefront6targetE1EEEvSK_
		.amdhsa_group_segment_fixed_size 17424
		.amdhsa_private_segment_fixed_size 0
		.amdhsa_kernarg_size 336
		.amdhsa_user_sgpr_count 6
		.amdhsa_user_sgpr_private_segment_buffer 1
		.amdhsa_user_sgpr_dispatch_ptr 0
		.amdhsa_user_sgpr_queue_ptr 0
		.amdhsa_user_sgpr_kernarg_segment_ptr 1
		.amdhsa_user_sgpr_dispatch_id 0
		.amdhsa_user_sgpr_flat_scratch_init 0
		.amdhsa_user_sgpr_private_segment_size 0
		.amdhsa_uses_dynamic_stack 0
		.amdhsa_system_sgpr_private_segment_wavefront_offset 0
		.amdhsa_system_sgpr_workgroup_id_x 1
		.amdhsa_system_sgpr_workgroup_id_y 1
		.amdhsa_system_sgpr_workgroup_id_z 0
		.amdhsa_system_sgpr_workgroup_info 0
		.amdhsa_system_vgpr_workitem_id 2
		.amdhsa_next_free_vgpr 178
		.amdhsa_next_free_sgpr 98
		.amdhsa_reserve_vcc 1
		.amdhsa_reserve_flat_scratch 0
		.amdhsa_float_round_mode_32 0
		.amdhsa_float_round_mode_16_64 0
		.amdhsa_float_denorm_mode_32 3
		.amdhsa_float_denorm_mode_16_64 3
		.amdhsa_dx10_clamp 1
		.amdhsa_ieee_mode 1
		.amdhsa_fp16_overflow 0
		.amdhsa_exception_fp_ieee_invalid_op 0
		.amdhsa_exception_fp_denorm_src 0
		.amdhsa_exception_fp_ieee_div_zero 0
		.amdhsa_exception_fp_ieee_overflow 0
		.amdhsa_exception_fp_ieee_underflow 0
		.amdhsa_exception_fp_ieee_inexact 0
		.amdhsa_exception_int_div_zero 0
	.end_amdhsa_kernel
	.section	.text._ZN7rocprim17ROCPRIM_400000_NS6detail17trampoline_kernelINS0_14default_configENS1_36segmented_radix_sort_config_selectorIflEEZNS1_25segmented_radix_sort_implIS3_Lb1EPKfPfPKlPlN2at6native12_GLOBAL__N_18offset_tEEE10hipError_tPvRmT1_PNSt15iterator_traitsISK_E10value_typeET2_T3_PNSL_ISQ_E10value_typeET4_jRbjT5_SW_jjP12ihipStream_tbEUlT_E2_NS1_11comp_targetILNS1_3genE2ELNS1_11target_archE906ELNS1_3gpuE6ELNS1_3repE0EEENS1_30default_config_static_selectorELNS0_4arch9wavefront6targetE1EEEvSK_,"axG",@progbits,_ZN7rocprim17ROCPRIM_400000_NS6detail17trampoline_kernelINS0_14default_configENS1_36segmented_radix_sort_config_selectorIflEEZNS1_25segmented_radix_sort_implIS3_Lb1EPKfPfPKlPlN2at6native12_GLOBAL__N_18offset_tEEE10hipError_tPvRmT1_PNSt15iterator_traitsISK_E10value_typeET2_T3_PNSL_ISQ_E10value_typeET4_jRbjT5_SW_jjP12ihipStream_tbEUlT_E2_NS1_11comp_targetILNS1_3genE2ELNS1_11target_archE906ELNS1_3gpuE6ELNS1_3repE0EEENS1_30default_config_static_selectorELNS0_4arch9wavefront6targetE1EEEvSK_,comdat
.Lfunc_end1359:
	.size	_ZN7rocprim17ROCPRIM_400000_NS6detail17trampoline_kernelINS0_14default_configENS1_36segmented_radix_sort_config_selectorIflEEZNS1_25segmented_radix_sort_implIS3_Lb1EPKfPfPKlPlN2at6native12_GLOBAL__N_18offset_tEEE10hipError_tPvRmT1_PNSt15iterator_traitsISK_E10value_typeET2_T3_PNSL_ISQ_E10value_typeET4_jRbjT5_SW_jjP12ihipStream_tbEUlT_E2_NS1_11comp_targetILNS1_3genE2ELNS1_11target_archE906ELNS1_3gpuE6ELNS1_3repE0EEENS1_30default_config_static_selectorELNS0_4arch9wavefront6targetE1EEEvSK_, .Lfunc_end1359-_ZN7rocprim17ROCPRIM_400000_NS6detail17trampoline_kernelINS0_14default_configENS1_36segmented_radix_sort_config_selectorIflEEZNS1_25segmented_radix_sort_implIS3_Lb1EPKfPfPKlPlN2at6native12_GLOBAL__N_18offset_tEEE10hipError_tPvRmT1_PNSt15iterator_traitsISK_E10value_typeET2_T3_PNSL_ISQ_E10value_typeET4_jRbjT5_SW_jjP12ihipStream_tbEUlT_E2_NS1_11comp_targetILNS1_3genE2ELNS1_11target_archE906ELNS1_3gpuE6ELNS1_3repE0EEENS1_30default_config_static_selectorELNS0_4arch9wavefront6targetE1EEEvSK_
                                        ; -- End function
	.set _ZN7rocprim17ROCPRIM_400000_NS6detail17trampoline_kernelINS0_14default_configENS1_36segmented_radix_sort_config_selectorIflEEZNS1_25segmented_radix_sort_implIS3_Lb1EPKfPfPKlPlN2at6native12_GLOBAL__N_18offset_tEEE10hipError_tPvRmT1_PNSt15iterator_traitsISK_E10value_typeET2_T3_PNSL_ISQ_E10value_typeET4_jRbjT5_SW_jjP12ihipStream_tbEUlT_E2_NS1_11comp_targetILNS1_3genE2ELNS1_11target_archE906ELNS1_3gpuE6ELNS1_3repE0EEENS1_30default_config_static_selectorELNS0_4arch9wavefront6targetE1EEEvSK_.num_vgpr, max(131, .L_ZN7rocprim17ROCPRIM_400000_NS6detail26segmented_warp_sort_helperINS1_20WarpSortHelperConfigILj8ELj4ELj256EEEflLi256ELb1EvE4sortIPKfPfPKlPlEEvT_S9_T0_T1_SC_T2_bjjjjRNS5_12storage_typeE.num_vgpr, .L_ZN7rocprim17ROCPRIM_400000_NS6detail40segmented_radix_sort_single_block_helperIflLj256ELj8ELb1EE4sortIPKfPfPKlPlEEbT_T0_T1_T2_jjjjRNS3_12storage_typeE.num_vgpr)
	.set _ZN7rocprim17ROCPRIM_400000_NS6detail17trampoline_kernelINS0_14default_configENS1_36segmented_radix_sort_config_selectorIflEEZNS1_25segmented_radix_sort_implIS3_Lb1EPKfPfPKlPlN2at6native12_GLOBAL__N_18offset_tEEE10hipError_tPvRmT1_PNSt15iterator_traitsISK_E10value_typeET2_T3_PNSL_ISQ_E10value_typeET4_jRbjT5_SW_jjP12ihipStream_tbEUlT_E2_NS1_11comp_targetILNS1_3genE2ELNS1_11target_archE906ELNS1_3gpuE6ELNS1_3repE0EEENS1_30default_config_static_selectorELNS0_4arch9wavefront6targetE1EEEvSK_.num_agpr, max(0, .L_ZN7rocprim17ROCPRIM_400000_NS6detail26segmented_warp_sort_helperINS1_20WarpSortHelperConfigILj8ELj4ELj256EEEflLi256ELb1EvE4sortIPKfPfPKlPlEEvT_S9_T0_T1_SC_T2_bjjjjRNS5_12storage_typeE.num_agpr, .L_ZN7rocprim17ROCPRIM_400000_NS6detail40segmented_radix_sort_single_block_helperIflLj256ELj8ELb1EE4sortIPKfPfPKlPlEEbT_T0_T1_T2_jjjjRNS3_12storage_typeE.num_agpr)
	.set _ZN7rocprim17ROCPRIM_400000_NS6detail17trampoline_kernelINS0_14default_configENS1_36segmented_radix_sort_config_selectorIflEEZNS1_25segmented_radix_sort_implIS3_Lb1EPKfPfPKlPlN2at6native12_GLOBAL__N_18offset_tEEE10hipError_tPvRmT1_PNSt15iterator_traitsISK_E10value_typeET2_T3_PNSL_ISQ_E10value_typeET4_jRbjT5_SW_jjP12ihipStream_tbEUlT_E2_NS1_11comp_targetILNS1_3genE2ELNS1_11target_archE906ELNS1_3gpuE6ELNS1_3repE0EEENS1_30default_config_static_selectorELNS0_4arch9wavefront6targetE1EEEvSK_.numbered_sgpr, max(81, .L_ZN7rocprim17ROCPRIM_400000_NS6detail26segmented_warp_sort_helperINS1_20WarpSortHelperConfigILj8ELj4ELj256EEEflLi256ELb1EvE4sortIPKfPfPKlPlEEvT_S9_T0_T1_SC_T2_bjjjjRNS5_12storage_typeE.numbered_sgpr, .L_ZN7rocprim17ROCPRIM_400000_NS6detail40segmented_radix_sort_single_block_helperIflLj256ELj8ELb1EE4sortIPKfPfPKlPlEEbT_T0_T1_T2_jjjjRNS3_12storage_typeE.numbered_sgpr)
	.set _ZN7rocprim17ROCPRIM_400000_NS6detail17trampoline_kernelINS0_14default_configENS1_36segmented_radix_sort_config_selectorIflEEZNS1_25segmented_radix_sort_implIS3_Lb1EPKfPfPKlPlN2at6native12_GLOBAL__N_18offset_tEEE10hipError_tPvRmT1_PNSt15iterator_traitsISK_E10value_typeET2_T3_PNSL_ISQ_E10value_typeET4_jRbjT5_SW_jjP12ihipStream_tbEUlT_E2_NS1_11comp_targetILNS1_3genE2ELNS1_11target_archE906ELNS1_3gpuE6ELNS1_3repE0EEENS1_30default_config_static_selectorELNS0_4arch9wavefront6targetE1EEEvSK_.num_named_barrier, max(0, .L_ZN7rocprim17ROCPRIM_400000_NS6detail26segmented_warp_sort_helperINS1_20WarpSortHelperConfigILj8ELj4ELj256EEEflLi256ELb1EvE4sortIPKfPfPKlPlEEvT_S9_T0_T1_SC_T2_bjjjjRNS5_12storage_typeE.num_named_barrier, .L_ZN7rocprim17ROCPRIM_400000_NS6detail40segmented_radix_sort_single_block_helperIflLj256ELj8ELb1EE4sortIPKfPfPKlPlEEbT_T0_T1_T2_jjjjRNS3_12storage_typeE.num_named_barrier)
	.set _ZN7rocprim17ROCPRIM_400000_NS6detail17trampoline_kernelINS0_14default_configENS1_36segmented_radix_sort_config_selectorIflEEZNS1_25segmented_radix_sort_implIS3_Lb1EPKfPfPKlPlN2at6native12_GLOBAL__N_18offset_tEEE10hipError_tPvRmT1_PNSt15iterator_traitsISK_E10value_typeET2_T3_PNSL_ISQ_E10value_typeET4_jRbjT5_SW_jjP12ihipStream_tbEUlT_E2_NS1_11comp_targetILNS1_3genE2ELNS1_11target_archE906ELNS1_3gpuE6ELNS1_3repE0EEENS1_30default_config_static_selectorELNS0_4arch9wavefront6targetE1EEEvSK_.private_seg_size, 0+max(.L_ZN7rocprim17ROCPRIM_400000_NS6detail26segmented_warp_sort_helperINS1_20WarpSortHelperConfigILj8ELj4ELj256EEEflLi256ELb1EvE4sortIPKfPfPKlPlEEvT_S9_T0_T1_SC_T2_bjjjjRNS5_12storage_typeE.private_seg_size, .L_ZN7rocprim17ROCPRIM_400000_NS6detail40segmented_radix_sort_single_block_helperIflLj256ELj8ELb1EE4sortIPKfPfPKlPlEEbT_T0_T1_T2_jjjjRNS3_12storage_typeE.private_seg_size)
	.set _ZN7rocprim17ROCPRIM_400000_NS6detail17trampoline_kernelINS0_14default_configENS1_36segmented_radix_sort_config_selectorIflEEZNS1_25segmented_radix_sort_implIS3_Lb1EPKfPfPKlPlN2at6native12_GLOBAL__N_18offset_tEEE10hipError_tPvRmT1_PNSt15iterator_traitsISK_E10value_typeET2_T3_PNSL_ISQ_E10value_typeET4_jRbjT5_SW_jjP12ihipStream_tbEUlT_E2_NS1_11comp_targetILNS1_3genE2ELNS1_11target_archE906ELNS1_3gpuE6ELNS1_3repE0EEENS1_30default_config_static_selectorELNS0_4arch9wavefront6targetE1EEEvSK_.uses_vcc, or(1, .L_ZN7rocprim17ROCPRIM_400000_NS6detail26segmented_warp_sort_helperINS1_20WarpSortHelperConfigILj8ELj4ELj256EEEflLi256ELb1EvE4sortIPKfPfPKlPlEEvT_S9_T0_T1_SC_T2_bjjjjRNS5_12storage_typeE.uses_vcc, .L_ZN7rocprim17ROCPRIM_400000_NS6detail40segmented_radix_sort_single_block_helperIflLj256ELj8ELb1EE4sortIPKfPfPKlPlEEbT_T0_T1_T2_jjjjRNS3_12storage_typeE.uses_vcc)
	.set _ZN7rocprim17ROCPRIM_400000_NS6detail17trampoline_kernelINS0_14default_configENS1_36segmented_radix_sort_config_selectorIflEEZNS1_25segmented_radix_sort_implIS3_Lb1EPKfPfPKlPlN2at6native12_GLOBAL__N_18offset_tEEE10hipError_tPvRmT1_PNSt15iterator_traitsISK_E10value_typeET2_T3_PNSL_ISQ_E10value_typeET4_jRbjT5_SW_jjP12ihipStream_tbEUlT_E2_NS1_11comp_targetILNS1_3genE2ELNS1_11target_archE906ELNS1_3gpuE6ELNS1_3repE0EEENS1_30default_config_static_selectorELNS0_4arch9wavefront6targetE1EEEvSK_.uses_flat_scratch, or(0, .L_ZN7rocprim17ROCPRIM_400000_NS6detail26segmented_warp_sort_helperINS1_20WarpSortHelperConfigILj8ELj4ELj256EEEflLi256ELb1EvE4sortIPKfPfPKlPlEEvT_S9_T0_T1_SC_T2_bjjjjRNS5_12storage_typeE.uses_flat_scratch, .L_ZN7rocprim17ROCPRIM_400000_NS6detail40segmented_radix_sort_single_block_helperIflLj256ELj8ELb1EE4sortIPKfPfPKlPlEEbT_T0_T1_T2_jjjjRNS3_12storage_typeE.uses_flat_scratch)
	.set _ZN7rocprim17ROCPRIM_400000_NS6detail17trampoline_kernelINS0_14default_configENS1_36segmented_radix_sort_config_selectorIflEEZNS1_25segmented_radix_sort_implIS3_Lb1EPKfPfPKlPlN2at6native12_GLOBAL__N_18offset_tEEE10hipError_tPvRmT1_PNSt15iterator_traitsISK_E10value_typeET2_T3_PNSL_ISQ_E10value_typeET4_jRbjT5_SW_jjP12ihipStream_tbEUlT_E2_NS1_11comp_targetILNS1_3genE2ELNS1_11target_archE906ELNS1_3gpuE6ELNS1_3repE0EEENS1_30default_config_static_selectorELNS0_4arch9wavefront6targetE1EEEvSK_.has_dyn_sized_stack, or(0, .L_ZN7rocprim17ROCPRIM_400000_NS6detail26segmented_warp_sort_helperINS1_20WarpSortHelperConfigILj8ELj4ELj256EEEflLi256ELb1EvE4sortIPKfPfPKlPlEEvT_S9_T0_T1_SC_T2_bjjjjRNS5_12storage_typeE.has_dyn_sized_stack, .L_ZN7rocprim17ROCPRIM_400000_NS6detail40segmented_radix_sort_single_block_helperIflLj256ELj8ELb1EE4sortIPKfPfPKlPlEEbT_T0_T1_T2_jjjjRNS3_12storage_typeE.has_dyn_sized_stack)
	.set _ZN7rocprim17ROCPRIM_400000_NS6detail17trampoline_kernelINS0_14default_configENS1_36segmented_radix_sort_config_selectorIflEEZNS1_25segmented_radix_sort_implIS3_Lb1EPKfPfPKlPlN2at6native12_GLOBAL__N_18offset_tEEE10hipError_tPvRmT1_PNSt15iterator_traitsISK_E10value_typeET2_T3_PNSL_ISQ_E10value_typeET4_jRbjT5_SW_jjP12ihipStream_tbEUlT_E2_NS1_11comp_targetILNS1_3genE2ELNS1_11target_archE906ELNS1_3gpuE6ELNS1_3repE0EEENS1_30default_config_static_selectorELNS0_4arch9wavefront6targetE1EEEvSK_.has_recursion, or(0, .L_ZN7rocprim17ROCPRIM_400000_NS6detail26segmented_warp_sort_helperINS1_20WarpSortHelperConfigILj8ELj4ELj256EEEflLi256ELb1EvE4sortIPKfPfPKlPlEEvT_S9_T0_T1_SC_T2_bjjjjRNS5_12storage_typeE.has_recursion, .L_ZN7rocprim17ROCPRIM_400000_NS6detail40segmented_radix_sort_single_block_helperIflLj256ELj8ELb1EE4sortIPKfPfPKlPlEEbT_T0_T1_T2_jjjjRNS3_12storage_typeE.has_recursion)
	.set _ZN7rocprim17ROCPRIM_400000_NS6detail17trampoline_kernelINS0_14default_configENS1_36segmented_radix_sort_config_selectorIflEEZNS1_25segmented_radix_sort_implIS3_Lb1EPKfPfPKlPlN2at6native12_GLOBAL__N_18offset_tEEE10hipError_tPvRmT1_PNSt15iterator_traitsISK_E10value_typeET2_T3_PNSL_ISQ_E10value_typeET4_jRbjT5_SW_jjP12ihipStream_tbEUlT_E2_NS1_11comp_targetILNS1_3genE2ELNS1_11target_archE906ELNS1_3gpuE6ELNS1_3repE0EEENS1_30default_config_static_selectorELNS0_4arch9wavefront6targetE1EEEvSK_.has_indirect_call, or(0, .L_ZN7rocprim17ROCPRIM_400000_NS6detail26segmented_warp_sort_helperINS1_20WarpSortHelperConfigILj8ELj4ELj256EEEflLi256ELb1EvE4sortIPKfPfPKlPlEEvT_S9_T0_T1_SC_T2_bjjjjRNS5_12storage_typeE.has_indirect_call, .L_ZN7rocprim17ROCPRIM_400000_NS6detail40segmented_radix_sort_single_block_helperIflLj256ELj8ELb1EE4sortIPKfPfPKlPlEEbT_T0_T1_T2_jjjjRNS3_12storage_typeE.has_indirect_call)
	.section	.AMDGPU.csdata,"",@progbits
; Kernel info:
; codeLenInByte = 38648
; TotalNumSgprs: 85
; NumVgprs: 178
; ScratchSize: 0
; MemoryBound: 0
; FloatMode: 240
; IeeeMode: 1
; LDSByteSize: 17424 bytes/workgroup (compile time only)
; SGPRBlocks: 12
; VGPRBlocks: 44
; NumSGPRsForWavesPerEU: 102
; NumVGPRsForWavesPerEU: 178
; Occupancy: 1
; WaveLimiterHint : 1
; COMPUTE_PGM_RSRC2:SCRATCH_EN: 0
; COMPUTE_PGM_RSRC2:USER_SGPR: 6
; COMPUTE_PGM_RSRC2:TRAP_HANDLER: 0
; COMPUTE_PGM_RSRC2:TGID_X_EN: 1
; COMPUTE_PGM_RSRC2:TGID_Y_EN: 1
; COMPUTE_PGM_RSRC2:TGID_Z_EN: 0
; COMPUTE_PGM_RSRC2:TIDIG_COMP_CNT: 2
	.section	.text._ZN7rocprim17ROCPRIM_400000_NS6detail17trampoline_kernelINS0_14default_configENS1_36segmented_radix_sort_config_selectorIflEEZNS1_25segmented_radix_sort_implIS3_Lb1EPKfPfPKlPlN2at6native12_GLOBAL__N_18offset_tEEE10hipError_tPvRmT1_PNSt15iterator_traitsISK_E10value_typeET2_T3_PNSL_ISQ_E10value_typeET4_jRbjT5_SW_jjP12ihipStream_tbEUlT_E2_NS1_11comp_targetILNS1_3genE10ELNS1_11target_archE1201ELNS1_3gpuE5ELNS1_3repE0EEENS1_30default_config_static_selectorELNS0_4arch9wavefront6targetE1EEEvSK_,"axG",@progbits,_ZN7rocprim17ROCPRIM_400000_NS6detail17trampoline_kernelINS0_14default_configENS1_36segmented_radix_sort_config_selectorIflEEZNS1_25segmented_radix_sort_implIS3_Lb1EPKfPfPKlPlN2at6native12_GLOBAL__N_18offset_tEEE10hipError_tPvRmT1_PNSt15iterator_traitsISK_E10value_typeET2_T3_PNSL_ISQ_E10value_typeET4_jRbjT5_SW_jjP12ihipStream_tbEUlT_E2_NS1_11comp_targetILNS1_3genE10ELNS1_11target_archE1201ELNS1_3gpuE5ELNS1_3repE0EEENS1_30default_config_static_selectorELNS0_4arch9wavefront6targetE1EEEvSK_,comdat
	.globl	_ZN7rocprim17ROCPRIM_400000_NS6detail17trampoline_kernelINS0_14default_configENS1_36segmented_radix_sort_config_selectorIflEEZNS1_25segmented_radix_sort_implIS3_Lb1EPKfPfPKlPlN2at6native12_GLOBAL__N_18offset_tEEE10hipError_tPvRmT1_PNSt15iterator_traitsISK_E10value_typeET2_T3_PNSL_ISQ_E10value_typeET4_jRbjT5_SW_jjP12ihipStream_tbEUlT_E2_NS1_11comp_targetILNS1_3genE10ELNS1_11target_archE1201ELNS1_3gpuE5ELNS1_3repE0EEENS1_30default_config_static_selectorELNS0_4arch9wavefront6targetE1EEEvSK_ ; -- Begin function _ZN7rocprim17ROCPRIM_400000_NS6detail17trampoline_kernelINS0_14default_configENS1_36segmented_radix_sort_config_selectorIflEEZNS1_25segmented_radix_sort_implIS3_Lb1EPKfPfPKlPlN2at6native12_GLOBAL__N_18offset_tEEE10hipError_tPvRmT1_PNSt15iterator_traitsISK_E10value_typeET2_T3_PNSL_ISQ_E10value_typeET4_jRbjT5_SW_jjP12ihipStream_tbEUlT_E2_NS1_11comp_targetILNS1_3genE10ELNS1_11target_archE1201ELNS1_3gpuE5ELNS1_3repE0EEENS1_30default_config_static_selectorELNS0_4arch9wavefront6targetE1EEEvSK_
	.p2align	8
	.type	_ZN7rocprim17ROCPRIM_400000_NS6detail17trampoline_kernelINS0_14default_configENS1_36segmented_radix_sort_config_selectorIflEEZNS1_25segmented_radix_sort_implIS3_Lb1EPKfPfPKlPlN2at6native12_GLOBAL__N_18offset_tEEE10hipError_tPvRmT1_PNSt15iterator_traitsISK_E10value_typeET2_T3_PNSL_ISQ_E10value_typeET4_jRbjT5_SW_jjP12ihipStream_tbEUlT_E2_NS1_11comp_targetILNS1_3genE10ELNS1_11target_archE1201ELNS1_3gpuE5ELNS1_3repE0EEENS1_30default_config_static_selectorELNS0_4arch9wavefront6targetE1EEEvSK_,@function
_ZN7rocprim17ROCPRIM_400000_NS6detail17trampoline_kernelINS0_14default_configENS1_36segmented_radix_sort_config_selectorIflEEZNS1_25segmented_radix_sort_implIS3_Lb1EPKfPfPKlPlN2at6native12_GLOBAL__N_18offset_tEEE10hipError_tPvRmT1_PNSt15iterator_traitsISK_E10value_typeET2_T3_PNSL_ISQ_E10value_typeET4_jRbjT5_SW_jjP12ihipStream_tbEUlT_E2_NS1_11comp_targetILNS1_3genE10ELNS1_11target_archE1201ELNS1_3gpuE5ELNS1_3repE0EEENS1_30default_config_static_selectorELNS0_4arch9wavefront6targetE1EEEvSK_: ; @_ZN7rocprim17ROCPRIM_400000_NS6detail17trampoline_kernelINS0_14default_configENS1_36segmented_radix_sort_config_selectorIflEEZNS1_25segmented_radix_sort_implIS3_Lb1EPKfPfPKlPlN2at6native12_GLOBAL__N_18offset_tEEE10hipError_tPvRmT1_PNSt15iterator_traitsISK_E10value_typeET2_T3_PNSL_ISQ_E10value_typeET4_jRbjT5_SW_jjP12ihipStream_tbEUlT_E2_NS1_11comp_targetILNS1_3genE10ELNS1_11target_archE1201ELNS1_3gpuE5ELNS1_3repE0EEENS1_30default_config_static_selectorELNS0_4arch9wavefront6targetE1EEEvSK_
; %bb.0:
	.section	.rodata,"a",@progbits
	.p2align	6, 0x0
	.amdhsa_kernel _ZN7rocprim17ROCPRIM_400000_NS6detail17trampoline_kernelINS0_14default_configENS1_36segmented_radix_sort_config_selectorIflEEZNS1_25segmented_radix_sort_implIS3_Lb1EPKfPfPKlPlN2at6native12_GLOBAL__N_18offset_tEEE10hipError_tPvRmT1_PNSt15iterator_traitsISK_E10value_typeET2_T3_PNSL_ISQ_E10value_typeET4_jRbjT5_SW_jjP12ihipStream_tbEUlT_E2_NS1_11comp_targetILNS1_3genE10ELNS1_11target_archE1201ELNS1_3gpuE5ELNS1_3repE0EEENS1_30default_config_static_selectorELNS0_4arch9wavefront6targetE1EEEvSK_
		.amdhsa_group_segment_fixed_size 0
		.amdhsa_private_segment_fixed_size 0
		.amdhsa_kernarg_size 80
		.amdhsa_user_sgpr_count 6
		.amdhsa_user_sgpr_private_segment_buffer 1
		.amdhsa_user_sgpr_dispatch_ptr 0
		.amdhsa_user_sgpr_queue_ptr 0
		.amdhsa_user_sgpr_kernarg_segment_ptr 1
		.amdhsa_user_sgpr_dispatch_id 0
		.amdhsa_user_sgpr_flat_scratch_init 0
		.amdhsa_user_sgpr_private_segment_size 0
		.amdhsa_uses_dynamic_stack 0
		.amdhsa_system_sgpr_private_segment_wavefront_offset 0
		.amdhsa_system_sgpr_workgroup_id_x 1
		.amdhsa_system_sgpr_workgroup_id_y 0
		.amdhsa_system_sgpr_workgroup_id_z 0
		.amdhsa_system_sgpr_workgroup_info 0
		.amdhsa_system_vgpr_workitem_id 0
		.amdhsa_next_free_vgpr 1
		.amdhsa_next_free_sgpr 0
		.amdhsa_reserve_vcc 0
		.amdhsa_reserve_flat_scratch 0
		.amdhsa_float_round_mode_32 0
		.amdhsa_float_round_mode_16_64 0
		.amdhsa_float_denorm_mode_32 3
		.amdhsa_float_denorm_mode_16_64 3
		.amdhsa_dx10_clamp 1
		.amdhsa_ieee_mode 1
		.amdhsa_fp16_overflow 0
		.amdhsa_exception_fp_ieee_invalid_op 0
		.amdhsa_exception_fp_denorm_src 0
		.amdhsa_exception_fp_ieee_div_zero 0
		.amdhsa_exception_fp_ieee_overflow 0
		.amdhsa_exception_fp_ieee_underflow 0
		.amdhsa_exception_fp_ieee_inexact 0
		.amdhsa_exception_int_div_zero 0
	.end_amdhsa_kernel
	.section	.text._ZN7rocprim17ROCPRIM_400000_NS6detail17trampoline_kernelINS0_14default_configENS1_36segmented_radix_sort_config_selectorIflEEZNS1_25segmented_radix_sort_implIS3_Lb1EPKfPfPKlPlN2at6native12_GLOBAL__N_18offset_tEEE10hipError_tPvRmT1_PNSt15iterator_traitsISK_E10value_typeET2_T3_PNSL_ISQ_E10value_typeET4_jRbjT5_SW_jjP12ihipStream_tbEUlT_E2_NS1_11comp_targetILNS1_3genE10ELNS1_11target_archE1201ELNS1_3gpuE5ELNS1_3repE0EEENS1_30default_config_static_selectorELNS0_4arch9wavefront6targetE1EEEvSK_,"axG",@progbits,_ZN7rocprim17ROCPRIM_400000_NS6detail17trampoline_kernelINS0_14default_configENS1_36segmented_radix_sort_config_selectorIflEEZNS1_25segmented_radix_sort_implIS3_Lb1EPKfPfPKlPlN2at6native12_GLOBAL__N_18offset_tEEE10hipError_tPvRmT1_PNSt15iterator_traitsISK_E10value_typeET2_T3_PNSL_ISQ_E10value_typeET4_jRbjT5_SW_jjP12ihipStream_tbEUlT_E2_NS1_11comp_targetILNS1_3genE10ELNS1_11target_archE1201ELNS1_3gpuE5ELNS1_3repE0EEENS1_30default_config_static_selectorELNS0_4arch9wavefront6targetE1EEEvSK_,comdat
.Lfunc_end1360:
	.size	_ZN7rocprim17ROCPRIM_400000_NS6detail17trampoline_kernelINS0_14default_configENS1_36segmented_radix_sort_config_selectorIflEEZNS1_25segmented_radix_sort_implIS3_Lb1EPKfPfPKlPlN2at6native12_GLOBAL__N_18offset_tEEE10hipError_tPvRmT1_PNSt15iterator_traitsISK_E10value_typeET2_T3_PNSL_ISQ_E10value_typeET4_jRbjT5_SW_jjP12ihipStream_tbEUlT_E2_NS1_11comp_targetILNS1_3genE10ELNS1_11target_archE1201ELNS1_3gpuE5ELNS1_3repE0EEENS1_30default_config_static_selectorELNS0_4arch9wavefront6targetE1EEEvSK_, .Lfunc_end1360-_ZN7rocprim17ROCPRIM_400000_NS6detail17trampoline_kernelINS0_14default_configENS1_36segmented_radix_sort_config_selectorIflEEZNS1_25segmented_radix_sort_implIS3_Lb1EPKfPfPKlPlN2at6native12_GLOBAL__N_18offset_tEEE10hipError_tPvRmT1_PNSt15iterator_traitsISK_E10value_typeET2_T3_PNSL_ISQ_E10value_typeET4_jRbjT5_SW_jjP12ihipStream_tbEUlT_E2_NS1_11comp_targetILNS1_3genE10ELNS1_11target_archE1201ELNS1_3gpuE5ELNS1_3repE0EEENS1_30default_config_static_selectorELNS0_4arch9wavefront6targetE1EEEvSK_
                                        ; -- End function
	.set _ZN7rocprim17ROCPRIM_400000_NS6detail17trampoline_kernelINS0_14default_configENS1_36segmented_radix_sort_config_selectorIflEEZNS1_25segmented_radix_sort_implIS3_Lb1EPKfPfPKlPlN2at6native12_GLOBAL__N_18offset_tEEE10hipError_tPvRmT1_PNSt15iterator_traitsISK_E10value_typeET2_T3_PNSL_ISQ_E10value_typeET4_jRbjT5_SW_jjP12ihipStream_tbEUlT_E2_NS1_11comp_targetILNS1_3genE10ELNS1_11target_archE1201ELNS1_3gpuE5ELNS1_3repE0EEENS1_30default_config_static_selectorELNS0_4arch9wavefront6targetE1EEEvSK_.num_vgpr, 0
	.set _ZN7rocprim17ROCPRIM_400000_NS6detail17trampoline_kernelINS0_14default_configENS1_36segmented_radix_sort_config_selectorIflEEZNS1_25segmented_radix_sort_implIS3_Lb1EPKfPfPKlPlN2at6native12_GLOBAL__N_18offset_tEEE10hipError_tPvRmT1_PNSt15iterator_traitsISK_E10value_typeET2_T3_PNSL_ISQ_E10value_typeET4_jRbjT5_SW_jjP12ihipStream_tbEUlT_E2_NS1_11comp_targetILNS1_3genE10ELNS1_11target_archE1201ELNS1_3gpuE5ELNS1_3repE0EEENS1_30default_config_static_selectorELNS0_4arch9wavefront6targetE1EEEvSK_.num_agpr, 0
	.set _ZN7rocprim17ROCPRIM_400000_NS6detail17trampoline_kernelINS0_14default_configENS1_36segmented_radix_sort_config_selectorIflEEZNS1_25segmented_radix_sort_implIS3_Lb1EPKfPfPKlPlN2at6native12_GLOBAL__N_18offset_tEEE10hipError_tPvRmT1_PNSt15iterator_traitsISK_E10value_typeET2_T3_PNSL_ISQ_E10value_typeET4_jRbjT5_SW_jjP12ihipStream_tbEUlT_E2_NS1_11comp_targetILNS1_3genE10ELNS1_11target_archE1201ELNS1_3gpuE5ELNS1_3repE0EEENS1_30default_config_static_selectorELNS0_4arch9wavefront6targetE1EEEvSK_.numbered_sgpr, 0
	.set _ZN7rocprim17ROCPRIM_400000_NS6detail17trampoline_kernelINS0_14default_configENS1_36segmented_radix_sort_config_selectorIflEEZNS1_25segmented_radix_sort_implIS3_Lb1EPKfPfPKlPlN2at6native12_GLOBAL__N_18offset_tEEE10hipError_tPvRmT1_PNSt15iterator_traitsISK_E10value_typeET2_T3_PNSL_ISQ_E10value_typeET4_jRbjT5_SW_jjP12ihipStream_tbEUlT_E2_NS1_11comp_targetILNS1_3genE10ELNS1_11target_archE1201ELNS1_3gpuE5ELNS1_3repE0EEENS1_30default_config_static_selectorELNS0_4arch9wavefront6targetE1EEEvSK_.num_named_barrier, 0
	.set _ZN7rocprim17ROCPRIM_400000_NS6detail17trampoline_kernelINS0_14default_configENS1_36segmented_radix_sort_config_selectorIflEEZNS1_25segmented_radix_sort_implIS3_Lb1EPKfPfPKlPlN2at6native12_GLOBAL__N_18offset_tEEE10hipError_tPvRmT1_PNSt15iterator_traitsISK_E10value_typeET2_T3_PNSL_ISQ_E10value_typeET4_jRbjT5_SW_jjP12ihipStream_tbEUlT_E2_NS1_11comp_targetILNS1_3genE10ELNS1_11target_archE1201ELNS1_3gpuE5ELNS1_3repE0EEENS1_30default_config_static_selectorELNS0_4arch9wavefront6targetE1EEEvSK_.private_seg_size, 0
	.set _ZN7rocprim17ROCPRIM_400000_NS6detail17trampoline_kernelINS0_14default_configENS1_36segmented_radix_sort_config_selectorIflEEZNS1_25segmented_radix_sort_implIS3_Lb1EPKfPfPKlPlN2at6native12_GLOBAL__N_18offset_tEEE10hipError_tPvRmT1_PNSt15iterator_traitsISK_E10value_typeET2_T3_PNSL_ISQ_E10value_typeET4_jRbjT5_SW_jjP12ihipStream_tbEUlT_E2_NS1_11comp_targetILNS1_3genE10ELNS1_11target_archE1201ELNS1_3gpuE5ELNS1_3repE0EEENS1_30default_config_static_selectorELNS0_4arch9wavefront6targetE1EEEvSK_.uses_vcc, 0
	.set _ZN7rocprim17ROCPRIM_400000_NS6detail17trampoline_kernelINS0_14default_configENS1_36segmented_radix_sort_config_selectorIflEEZNS1_25segmented_radix_sort_implIS3_Lb1EPKfPfPKlPlN2at6native12_GLOBAL__N_18offset_tEEE10hipError_tPvRmT1_PNSt15iterator_traitsISK_E10value_typeET2_T3_PNSL_ISQ_E10value_typeET4_jRbjT5_SW_jjP12ihipStream_tbEUlT_E2_NS1_11comp_targetILNS1_3genE10ELNS1_11target_archE1201ELNS1_3gpuE5ELNS1_3repE0EEENS1_30default_config_static_selectorELNS0_4arch9wavefront6targetE1EEEvSK_.uses_flat_scratch, 0
	.set _ZN7rocprim17ROCPRIM_400000_NS6detail17trampoline_kernelINS0_14default_configENS1_36segmented_radix_sort_config_selectorIflEEZNS1_25segmented_radix_sort_implIS3_Lb1EPKfPfPKlPlN2at6native12_GLOBAL__N_18offset_tEEE10hipError_tPvRmT1_PNSt15iterator_traitsISK_E10value_typeET2_T3_PNSL_ISQ_E10value_typeET4_jRbjT5_SW_jjP12ihipStream_tbEUlT_E2_NS1_11comp_targetILNS1_3genE10ELNS1_11target_archE1201ELNS1_3gpuE5ELNS1_3repE0EEENS1_30default_config_static_selectorELNS0_4arch9wavefront6targetE1EEEvSK_.has_dyn_sized_stack, 0
	.set _ZN7rocprim17ROCPRIM_400000_NS6detail17trampoline_kernelINS0_14default_configENS1_36segmented_radix_sort_config_selectorIflEEZNS1_25segmented_radix_sort_implIS3_Lb1EPKfPfPKlPlN2at6native12_GLOBAL__N_18offset_tEEE10hipError_tPvRmT1_PNSt15iterator_traitsISK_E10value_typeET2_T3_PNSL_ISQ_E10value_typeET4_jRbjT5_SW_jjP12ihipStream_tbEUlT_E2_NS1_11comp_targetILNS1_3genE10ELNS1_11target_archE1201ELNS1_3gpuE5ELNS1_3repE0EEENS1_30default_config_static_selectorELNS0_4arch9wavefront6targetE1EEEvSK_.has_recursion, 0
	.set _ZN7rocprim17ROCPRIM_400000_NS6detail17trampoline_kernelINS0_14default_configENS1_36segmented_radix_sort_config_selectorIflEEZNS1_25segmented_radix_sort_implIS3_Lb1EPKfPfPKlPlN2at6native12_GLOBAL__N_18offset_tEEE10hipError_tPvRmT1_PNSt15iterator_traitsISK_E10value_typeET2_T3_PNSL_ISQ_E10value_typeET4_jRbjT5_SW_jjP12ihipStream_tbEUlT_E2_NS1_11comp_targetILNS1_3genE10ELNS1_11target_archE1201ELNS1_3gpuE5ELNS1_3repE0EEENS1_30default_config_static_selectorELNS0_4arch9wavefront6targetE1EEEvSK_.has_indirect_call, 0
	.section	.AMDGPU.csdata,"",@progbits
; Kernel info:
; codeLenInByte = 0
; TotalNumSgprs: 4
; NumVgprs: 0
; ScratchSize: 0
; MemoryBound: 0
; FloatMode: 240
; IeeeMode: 1
; LDSByteSize: 0 bytes/workgroup (compile time only)
; SGPRBlocks: 0
; VGPRBlocks: 0
; NumSGPRsForWavesPerEU: 4
; NumVGPRsForWavesPerEU: 1
; Occupancy: 10
; WaveLimiterHint : 0
; COMPUTE_PGM_RSRC2:SCRATCH_EN: 0
; COMPUTE_PGM_RSRC2:USER_SGPR: 6
; COMPUTE_PGM_RSRC2:TRAP_HANDLER: 0
; COMPUTE_PGM_RSRC2:TGID_X_EN: 1
; COMPUTE_PGM_RSRC2:TGID_Y_EN: 0
; COMPUTE_PGM_RSRC2:TGID_Z_EN: 0
; COMPUTE_PGM_RSRC2:TIDIG_COMP_CNT: 0
	.section	.text._ZN7rocprim17ROCPRIM_400000_NS6detail17trampoline_kernelINS0_14default_configENS1_36segmented_radix_sort_config_selectorIflEEZNS1_25segmented_radix_sort_implIS3_Lb1EPKfPfPKlPlN2at6native12_GLOBAL__N_18offset_tEEE10hipError_tPvRmT1_PNSt15iterator_traitsISK_E10value_typeET2_T3_PNSL_ISQ_E10value_typeET4_jRbjT5_SW_jjP12ihipStream_tbEUlT_E2_NS1_11comp_targetILNS1_3genE10ELNS1_11target_archE1200ELNS1_3gpuE4ELNS1_3repE0EEENS1_30default_config_static_selectorELNS0_4arch9wavefront6targetE1EEEvSK_,"axG",@progbits,_ZN7rocprim17ROCPRIM_400000_NS6detail17trampoline_kernelINS0_14default_configENS1_36segmented_radix_sort_config_selectorIflEEZNS1_25segmented_radix_sort_implIS3_Lb1EPKfPfPKlPlN2at6native12_GLOBAL__N_18offset_tEEE10hipError_tPvRmT1_PNSt15iterator_traitsISK_E10value_typeET2_T3_PNSL_ISQ_E10value_typeET4_jRbjT5_SW_jjP12ihipStream_tbEUlT_E2_NS1_11comp_targetILNS1_3genE10ELNS1_11target_archE1200ELNS1_3gpuE4ELNS1_3repE0EEENS1_30default_config_static_selectorELNS0_4arch9wavefront6targetE1EEEvSK_,comdat
	.globl	_ZN7rocprim17ROCPRIM_400000_NS6detail17trampoline_kernelINS0_14default_configENS1_36segmented_radix_sort_config_selectorIflEEZNS1_25segmented_radix_sort_implIS3_Lb1EPKfPfPKlPlN2at6native12_GLOBAL__N_18offset_tEEE10hipError_tPvRmT1_PNSt15iterator_traitsISK_E10value_typeET2_T3_PNSL_ISQ_E10value_typeET4_jRbjT5_SW_jjP12ihipStream_tbEUlT_E2_NS1_11comp_targetILNS1_3genE10ELNS1_11target_archE1200ELNS1_3gpuE4ELNS1_3repE0EEENS1_30default_config_static_selectorELNS0_4arch9wavefront6targetE1EEEvSK_ ; -- Begin function _ZN7rocprim17ROCPRIM_400000_NS6detail17trampoline_kernelINS0_14default_configENS1_36segmented_radix_sort_config_selectorIflEEZNS1_25segmented_radix_sort_implIS3_Lb1EPKfPfPKlPlN2at6native12_GLOBAL__N_18offset_tEEE10hipError_tPvRmT1_PNSt15iterator_traitsISK_E10value_typeET2_T3_PNSL_ISQ_E10value_typeET4_jRbjT5_SW_jjP12ihipStream_tbEUlT_E2_NS1_11comp_targetILNS1_3genE10ELNS1_11target_archE1200ELNS1_3gpuE4ELNS1_3repE0EEENS1_30default_config_static_selectorELNS0_4arch9wavefront6targetE1EEEvSK_
	.p2align	8
	.type	_ZN7rocprim17ROCPRIM_400000_NS6detail17trampoline_kernelINS0_14default_configENS1_36segmented_radix_sort_config_selectorIflEEZNS1_25segmented_radix_sort_implIS3_Lb1EPKfPfPKlPlN2at6native12_GLOBAL__N_18offset_tEEE10hipError_tPvRmT1_PNSt15iterator_traitsISK_E10value_typeET2_T3_PNSL_ISQ_E10value_typeET4_jRbjT5_SW_jjP12ihipStream_tbEUlT_E2_NS1_11comp_targetILNS1_3genE10ELNS1_11target_archE1200ELNS1_3gpuE4ELNS1_3repE0EEENS1_30default_config_static_selectorELNS0_4arch9wavefront6targetE1EEEvSK_,@function
_ZN7rocprim17ROCPRIM_400000_NS6detail17trampoline_kernelINS0_14default_configENS1_36segmented_radix_sort_config_selectorIflEEZNS1_25segmented_radix_sort_implIS3_Lb1EPKfPfPKlPlN2at6native12_GLOBAL__N_18offset_tEEE10hipError_tPvRmT1_PNSt15iterator_traitsISK_E10value_typeET2_T3_PNSL_ISQ_E10value_typeET4_jRbjT5_SW_jjP12ihipStream_tbEUlT_E2_NS1_11comp_targetILNS1_3genE10ELNS1_11target_archE1200ELNS1_3gpuE4ELNS1_3repE0EEENS1_30default_config_static_selectorELNS0_4arch9wavefront6targetE1EEEvSK_: ; @_ZN7rocprim17ROCPRIM_400000_NS6detail17trampoline_kernelINS0_14default_configENS1_36segmented_radix_sort_config_selectorIflEEZNS1_25segmented_radix_sort_implIS3_Lb1EPKfPfPKlPlN2at6native12_GLOBAL__N_18offset_tEEE10hipError_tPvRmT1_PNSt15iterator_traitsISK_E10value_typeET2_T3_PNSL_ISQ_E10value_typeET4_jRbjT5_SW_jjP12ihipStream_tbEUlT_E2_NS1_11comp_targetILNS1_3genE10ELNS1_11target_archE1200ELNS1_3gpuE4ELNS1_3repE0EEENS1_30default_config_static_selectorELNS0_4arch9wavefront6targetE1EEEvSK_
; %bb.0:
	.section	.rodata,"a",@progbits
	.p2align	6, 0x0
	.amdhsa_kernel _ZN7rocprim17ROCPRIM_400000_NS6detail17trampoline_kernelINS0_14default_configENS1_36segmented_radix_sort_config_selectorIflEEZNS1_25segmented_radix_sort_implIS3_Lb1EPKfPfPKlPlN2at6native12_GLOBAL__N_18offset_tEEE10hipError_tPvRmT1_PNSt15iterator_traitsISK_E10value_typeET2_T3_PNSL_ISQ_E10value_typeET4_jRbjT5_SW_jjP12ihipStream_tbEUlT_E2_NS1_11comp_targetILNS1_3genE10ELNS1_11target_archE1200ELNS1_3gpuE4ELNS1_3repE0EEENS1_30default_config_static_selectorELNS0_4arch9wavefront6targetE1EEEvSK_
		.amdhsa_group_segment_fixed_size 0
		.amdhsa_private_segment_fixed_size 0
		.amdhsa_kernarg_size 80
		.amdhsa_user_sgpr_count 6
		.amdhsa_user_sgpr_private_segment_buffer 1
		.amdhsa_user_sgpr_dispatch_ptr 0
		.amdhsa_user_sgpr_queue_ptr 0
		.amdhsa_user_sgpr_kernarg_segment_ptr 1
		.amdhsa_user_sgpr_dispatch_id 0
		.amdhsa_user_sgpr_flat_scratch_init 0
		.amdhsa_user_sgpr_private_segment_size 0
		.amdhsa_uses_dynamic_stack 0
		.amdhsa_system_sgpr_private_segment_wavefront_offset 0
		.amdhsa_system_sgpr_workgroup_id_x 1
		.amdhsa_system_sgpr_workgroup_id_y 0
		.amdhsa_system_sgpr_workgroup_id_z 0
		.amdhsa_system_sgpr_workgroup_info 0
		.amdhsa_system_vgpr_workitem_id 0
		.amdhsa_next_free_vgpr 1
		.amdhsa_next_free_sgpr 0
		.amdhsa_reserve_vcc 0
		.amdhsa_reserve_flat_scratch 0
		.amdhsa_float_round_mode_32 0
		.amdhsa_float_round_mode_16_64 0
		.amdhsa_float_denorm_mode_32 3
		.amdhsa_float_denorm_mode_16_64 3
		.amdhsa_dx10_clamp 1
		.amdhsa_ieee_mode 1
		.amdhsa_fp16_overflow 0
		.amdhsa_exception_fp_ieee_invalid_op 0
		.amdhsa_exception_fp_denorm_src 0
		.amdhsa_exception_fp_ieee_div_zero 0
		.amdhsa_exception_fp_ieee_overflow 0
		.amdhsa_exception_fp_ieee_underflow 0
		.amdhsa_exception_fp_ieee_inexact 0
		.amdhsa_exception_int_div_zero 0
	.end_amdhsa_kernel
	.section	.text._ZN7rocprim17ROCPRIM_400000_NS6detail17trampoline_kernelINS0_14default_configENS1_36segmented_radix_sort_config_selectorIflEEZNS1_25segmented_radix_sort_implIS3_Lb1EPKfPfPKlPlN2at6native12_GLOBAL__N_18offset_tEEE10hipError_tPvRmT1_PNSt15iterator_traitsISK_E10value_typeET2_T3_PNSL_ISQ_E10value_typeET4_jRbjT5_SW_jjP12ihipStream_tbEUlT_E2_NS1_11comp_targetILNS1_3genE10ELNS1_11target_archE1200ELNS1_3gpuE4ELNS1_3repE0EEENS1_30default_config_static_selectorELNS0_4arch9wavefront6targetE1EEEvSK_,"axG",@progbits,_ZN7rocprim17ROCPRIM_400000_NS6detail17trampoline_kernelINS0_14default_configENS1_36segmented_radix_sort_config_selectorIflEEZNS1_25segmented_radix_sort_implIS3_Lb1EPKfPfPKlPlN2at6native12_GLOBAL__N_18offset_tEEE10hipError_tPvRmT1_PNSt15iterator_traitsISK_E10value_typeET2_T3_PNSL_ISQ_E10value_typeET4_jRbjT5_SW_jjP12ihipStream_tbEUlT_E2_NS1_11comp_targetILNS1_3genE10ELNS1_11target_archE1200ELNS1_3gpuE4ELNS1_3repE0EEENS1_30default_config_static_selectorELNS0_4arch9wavefront6targetE1EEEvSK_,comdat
.Lfunc_end1361:
	.size	_ZN7rocprim17ROCPRIM_400000_NS6detail17trampoline_kernelINS0_14default_configENS1_36segmented_radix_sort_config_selectorIflEEZNS1_25segmented_radix_sort_implIS3_Lb1EPKfPfPKlPlN2at6native12_GLOBAL__N_18offset_tEEE10hipError_tPvRmT1_PNSt15iterator_traitsISK_E10value_typeET2_T3_PNSL_ISQ_E10value_typeET4_jRbjT5_SW_jjP12ihipStream_tbEUlT_E2_NS1_11comp_targetILNS1_3genE10ELNS1_11target_archE1200ELNS1_3gpuE4ELNS1_3repE0EEENS1_30default_config_static_selectorELNS0_4arch9wavefront6targetE1EEEvSK_, .Lfunc_end1361-_ZN7rocprim17ROCPRIM_400000_NS6detail17trampoline_kernelINS0_14default_configENS1_36segmented_radix_sort_config_selectorIflEEZNS1_25segmented_radix_sort_implIS3_Lb1EPKfPfPKlPlN2at6native12_GLOBAL__N_18offset_tEEE10hipError_tPvRmT1_PNSt15iterator_traitsISK_E10value_typeET2_T3_PNSL_ISQ_E10value_typeET4_jRbjT5_SW_jjP12ihipStream_tbEUlT_E2_NS1_11comp_targetILNS1_3genE10ELNS1_11target_archE1200ELNS1_3gpuE4ELNS1_3repE0EEENS1_30default_config_static_selectorELNS0_4arch9wavefront6targetE1EEEvSK_
                                        ; -- End function
	.set _ZN7rocprim17ROCPRIM_400000_NS6detail17trampoline_kernelINS0_14default_configENS1_36segmented_radix_sort_config_selectorIflEEZNS1_25segmented_radix_sort_implIS3_Lb1EPKfPfPKlPlN2at6native12_GLOBAL__N_18offset_tEEE10hipError_tPvRmT1_PNSt15iterator_traitsISK_E10value_typeET2_T3_PNSL_ISQ_E10value_typeET4_jRbjT5_SW_jjP12ihipStream_tbEUlT_E2_NS1_11comp_targetILNS1_3genE10ELNS1_11target_archE1200ELNS1_3gpuE4ELNS1_3repE0EEENS1_30default_config_static_selectorELNS0_4arch9wavefront6targetE1EEEvSK_.num_vgpr, 0
	.set _ZN7rocprim17ROCPRIM_400000_NS6detail17trampoline_kernelINS0_14default_configENS1_36segmented_radix_sort_config_selectorIflEEZNS1_25segmented_radix_sort_implIS3_Lb1EPKfPfPKlPlN2at6native12_GLOBAL__N_18offset_tEEE10hipError_tPvRmT1_PNSt15iterator_traitsISK_E10value_typeET2_T3_PNSL_ISQ_E10value_typeET4_jRbjT5_SW_jjP12ihipStream_tbEUlT_E2_NS1_11comp_targetILNS1_3genE10ELNS1_11target_archE1200ELNS1_3gpuE4ELNS1_3repE0EEENS1_30default_config_static_selectorELNS0_4arch9wavefront6targetE1EEEvSK_.num_agpr, 0
	.set _ZN7rocprim17ROCPRIM_400000_NS6detail17trampoline_kernelINS0_14default_configENS1_36segmented_radix_sort_config_selectorIflEEZNS1_25segmented_radix_sort_implIS3_Lb1EPKfPfPKlPlN2at6native12_GLOBAL__N_18offset_tEEE10hipError_tPvRmT1_PNSt15iterator_traitsISK_E10value_typeET2_T3_PNSL_ISQ_E10value_typeET4_jRbjT5_SW_jjP12ihipStream_tbEUlT_E2_NS1_11comp_targetILNS1_3genE10ELNS1_11target_archE1200ELNS1_3gpuE4ELNS1_3repE0EEENS1_30default_config_static_selectorELNS0_4arch9wavefront6targetE1EEEvSK_.numbered_sgpr, 0
	.set _ZN7rocprim17ROCPRIM_400000_NS6detail17trampoline_kernelINS0_14default_configENS1_36segmented_radix_sort_config_selectorIflEEZNS1_25segmented_radix_sort_implIS3_Lb1EPKfPfPKlPlN2at6native12_GLOBAL__N_18offset_tEEE10hipError_tPvRmT1_PNSt15iterator_traitsISK_E10value_typeET2_T3_PNSL_ISQ_E10value_typeET4_jRbjT5_SW_jjP12ihipStream_tbEUlT_E2_NS1_11comp_targetILNS1_3genE10ELNS1_11target_archE1200ELNS1_3gpuE4ELNS1_3repE0EEENS1_30default_config_static_selectorELNS0_4arch9wavefront6targetE1EEEvSK_.num_named_barrier, 0
	.set _ZN7rocprim17ROCPRIM_400000_NS6detail17trampoline_kernelINS0_14default_configENS1_36segmented_radix_sort_config_selectorIflEEZNS1_25segmented_radix_sort_implIS3_Lb1EPKfPfPKlPlN2at6native12_GLOBAL__N_18offset_tEEE10hipError_tPvRmT1_PNSt15iterator_traitsISK_E10value_typeET2_T3_PNSL_ISQ_E10value_typeET4_jRbjT5_SW_jjP12ihipStream_tbEUlT_E2_NS1_11comp_targetILNS1_3genE10ELNS1_11target_archE1200ELNS1_3gpuE4ELNS1_3repE0EEENS1_30default_config_static_selectorELNS0_4arch9wavefront6targetE1EEEvSK_.private_seg_size, 0
	.set _ZN7rocprim17ROCPRIM_400000_NS6detail17trampoline_kernelINS0_14default_configENS1_36segmented_radix_sort_config_selectorIflEEZNS1_25segmented_radix_sort_implIS3_Lb1EPKfPfPKlPlN2at6native12_GLOBAL__N_18offset_tEEE10hipError_tPvRmT1_PNSt15iterator_traitsISK_E10value_typeET2_T3_PNSL_ISQ_E10value_typeET4_jRbjT5_SW_jjP12ihipStream_tbEUlT_E2_NS1_11comp_targetILNS1_3genE10ELNS1_11target_archE1200ELNS1_3gpuE4ELNS1_3repE0EEENS1_30default_config_static_selectorELNS0_4arch9wavefront6targetE1EEEvSK_.uses_vcc, 0
	.set _ZN7rocprim17ROCPRIM_400000_NS6detail17trampoline_kernelINS0_14default_configENS1_36segmented_radix_sort_config_selectorIflEEZNS1_25segmented_radix_sort_implIS3_Lb1EPKfPfPKlPlN2at6native12_GLOBAL__N_18offset_tEEE10hipError_tPvRmT1_PNSt15iterator_traitsISK_E10value_typeET2_T3_PNSL_ISQ_E10value_typeET4_jRbjT5_SW_jjP12ihipStream_tbEUlT_E2_NS1_11comp_targetILNS1_3genE10ELNS1_11target_archE1200ELNS1_3gpuE4ELNS1_3repE0EEENS1_30default_config_static_selectorELNS0_4arch9wavefront6targetE1EEEvSK_.uses_flat_scratch, 0
	.set _ZN7rocprim17ROCPRIM_400000_NS6detail17trampoline_kernelINS0_14default_configENS1_36segmented_radix_sort_config_selectorIflEEZNS1_25segmented_radix_sort_implIS3_Lb1EPKfPfPKlPlN2at6native12_GLOBAL__N_18offset_tEEE10hipError_tPvRmT1_PNSt15iterator_traitsISK_E10value_typeET2_T3_PNSL_ISQ_E10value_typeET4_jRbjT5_SW_jjP12ihipStream_tbEUlT_E2_NS1_11comp_targetILNS1_3genE10ELNS1_11target_archE1200ELNS1_3gpuE4ELNS1_3repE0EEENS1_30default_config_static_selectorELNS0_4arch9wavefront6targetE1EEEvSK_.has_dyn_sized_stack, 0
	.set _ZN7rocprim17ROCPRIM_400000_NS6detail17trampoline_kernelINS0_14default_configENS1_36segmented_radix_sort_config_selectorIflEEZNS1_25segmented_radix_sort_implIS3_Lb1EPKfPfPKlPlN2at6native12_GLOBAL__N_18offset_tEEE10hipError_tPvRmT1_PNSt15iterator_traitsISK_E10value_typeET2_T3_PNSL_ISQ_E10value_typeET4_jRbjT5_SW_jjP12ihipStream_tbEUlT_E2_NS1_11comp_targetILNS1_3genE10ELNS1_11target_archE1200ELNS1_3gpuE4ELNS1_3repE0EEENS1_30default_config_static_selectorELNS0_4arch9wavefront6targetE1EEEvSK_.has_recursion, 0
	.set _ZN7rocprim17ROCPRIM_400000_NS6detail17trampoline_kernelINS0_14default_configENS1_36segmented_radix_sort_config_selectorIflEEZNS1_25segmented_radix_sort_implIS3_Lb1EPKfPfPKlPlN2at6native12_GLOBAL__N_18offset_tEEE10hipError_tPvRmT1_PNSt15iterator_traitsISK_E10value_typeET2_T3_PNSL_ISQ_E10value_typeET4_jRbjT5_SW_jjP12ihipStream_tbEUlT_E2_NS1_11comp_targetILNS1_3genE10ELNS1_11target_archE1200ELNS1_3gpuE4ELNS1_3repE0EEENS1_30default_config_static_selectorELNS0_4arch9wavefront6targetE1EEEvSK_.has_indirect_call, 0
	.section	.AMDGPU.csdata,"",@progbits
; Kernel info:
; codeLenInByte = 0
; TotalNumSgprs: 4
; NumVgprs: 0
; ScratchSize: 0
; MemoryBound: 0
; FloatMode: 240
; IeeeMode: 1
; LDSByteSize: 0 bytes/workgroup (compile time only)
; SGPRBlocks: 0
; VGPRBlocks: 0
; NumSGPRsForWavesPerEU: 4
; NumVGPRsForWavesPerEU: 1
; Occupancy: 10
; WaveLimiterHint : 0
; COMPUTE_PGM_RSRC2:SCRATCH_EN: 0
; COMPUTE_PGM_RSRC2:USER_SGPR: 6
; COMPUTE_PGM_RSRC2:TRAP_HANDLER: 0
; COMPUTE_PGM_RSRC2:TGID_X_EN: 1
; COMPUTE_PGM_RSRC2:TGID_Y_EN: 0
; COMPUTE_PGM_RSRC2:TGID_Z_EN: 0
; COMPUTE_PGM_RSRC2:TIDIG_COMP_CNT: 0
	.section	.text._ZN7rocprim17ROCPRIM_400000_NS6detail17trampoline_kernelINS0_14default_configENS1_36segmented_radix_sort_config_selectorIflEEZNS1_25segmented_radix_sort_implIS3_Lb1EPKfPfPKlPlN2at6native12_GLOBAL__N_18offset_tEEE10hipError_tPvRmT1_PNSt15iterator_traitsISK_E10value_typeET2_T3_PNSL_ISQ_E10value_typeET4_jRbjT5_SW_jjP12ihipStream_tbEUlT_E2_NS1_11comp_targetILNS1_3genE9ELNS1_11target_archE1100ELNS1_3gpuE3ELNS1_3repE0EEENS1_30default_config_static_selectorELNS0_4arch9wavefront6targetE1EEEvSK_,"axG",@progbits,_ZN7rocprim17ROCPRIM_400000_NS6detail17trampoline_kernelINS0_14default_configENS1_36segmented_radix_sort_config_selectorIflEEZNS1_25segmented_radix_sort_implIS3_Lb1EPKfPfPKlPlN2at6native12_GLOBAL__N_18offset_tEEE10hipError_tPvRmT1_PNSt15iterator_traitsISK_E10value_typeET2_T3_PNSL_ISQ_E10value_typeET4_jRbjT5_SW_jjP12ihipStream_tbEUlT_E2_NS1_11comp_targetILNS1_3genE9ELNS1_11target_archE1100ELNS1_3gpuE3ELNS1_3repE0EEENS1_30default_config_static_selectorELNS0_4arch9wavefront6targetE1EEEvSK_,comdat
	.globl	_ZN7rocprim17ROCPRIM_400000_NS6detail17trampoline_kernelINS0_14default_configENS1_36segmented_radix_sort_config_selectorIflEEZNS1_25segmented_radix_sort_implIS3_Lb1EPKfPfPKlPlN2at6native12_GLOBAL__N_18offset_tEEE10hipError_tPvRmT1_PNSt15iterator_traitsISK_E10value_typeET2_T3_PNSL_ISQ_E10value_typeET4_jRbjT5_SW_jjP12ihipStream_tbEUlT_E2_NS1_11comp_targetILNS1_3genE9ELNS1_11target_archE1100ELNS1_3gpuE3ELNS1_3repE0EEENS1_30default_config_static_selectorELNS0_4arch9wavefront6targetE1EEEvSK_ ; -- Begin function _ZN7rocprim17ROCPRIM_400000_NS6detail17trampoline_kernelINS0_14default_configENS1_36segmented_radix_sort_config_selectorIflEEZNS1_25segmented_radix_sort_implIS3_Lb1EPKfPfPKlPlN2at6native12_GLOBAL__N_18offset_tEEE10hipError_tPvRmT1_PNSt15iterator_traitsISK_E10value_typeET2_T3_PNSL_ISQ_E10value_typeET4_jRbjT5_SW_jjP12ihipStream_tbEUlT_E2_NS1_11comp_targetILNS1_3genE9ELNS1_11target_archE1100ELNS1_3gpuE3ELNS1_3repE0EEENS1_30default_config_static_selectorELNS0_4arch9wavefront6targetE1EEEvSK_
	.p2align	8
	.type	_ZN7rocprim17ROCPRIM_400000_NS6detail17trampoline_kernelINS0_14default_configENS1_36segmented_radix_sort_config_selectorIflEEZNS1_25segmented_radix_sort_implIS3_Lb1EPKfPfPKlPlN2at6native12_GLOBAL__N_18offset_tEEE10hipError_tPvRmT1_PNSt15iterator_traitsISK_E10value_typeET2_T3_PNSL_ISQ_E10value_typeET4_jRbjT5_SW_jjP12ihipStream_tbEUlT_E2_NS1_11comp_targetILNS1_3genE9ELNS1_11target_archE1100ELNS1_3gpuE3ELNS1_3repE0EEENS1_30default_config_static_selectorELNS0_4arch9wavefront6targetE1EEEvSK_,@function
_ZN7rocprim17ROCPRIM_400000_NS6detail17trampoline_kernelINS0_14default_configENS1_36segmented_radix_sort_config_selectorIflEEZNS1_25segmented_radix_sort_implIS3_Lb1EPKfPfPKlPlN2at6native12_GLOBAL__N_18offset_tEEE10hipError_tPvRmT1_PNSt15iterator_traitsISK_E10value_typeET2_T3_PNSL_ISQ_E10value_typeET4_jRbjT5_SW_jjP12ihipStream_tbEUlT_E2_NS1_11comp_targetILNS1_3genE9ELNS1_11target_archE1100ELNS1_3gpuE3ELNS1_3repE0EEENS1_30default_config_static_selectorELNS0_4arch9wavefront6targetE1EEEvSK_: ; @_ZN7rocprim17ROCPRIM_400000_NS6detail17trampoline_kernelINS0_14default_configENS1_36segmented_radix_sort_config_selectorIflEEZNS1_25segmented_radix_sort_implIS3_Lb1EPKfPfPKlPlN2at6native12_GLOBAL__N_18offset_tEEE10hipError_tPvRmT1_PNSt15iterator_traitsISK_E10value_typeET2_T3_PNSL_ISQ_E10value_typeET4_jRbjT5_SW_jjP12ihipStream_tbEUlT_E2_NS1_11comp_targetILNS1_3genE9ELNS1_11target_archE1100ELNS1_3gpuE3ELNS1_3repE0EEENS1_30default_config_static_selectorELNS0_4arch9wavefront6targetE1EEEvSK_
; %bb.0:
	.section	.rodata,"a",@progbits
	.p2align	6, 0x0
	.amdhsa_kernel _ZN7rocprim17ROCPRIM_400000_NS6detail17trampoline_kernelINS0_14default_configENS1_36segmented_radix_sort_config_selectorIflEEZNS1_25segmented_radix_sort_implIS3_Lb1EPKfPfPKlPlN2at6native12_GLOBAL__N_18offset_tEEE10hipError_tPvRmT1_PNSt15iterator_traitsISK_E10value_typeET2_T3_PNSL_ISQ_E10value_typeET4_jRbjT5_SW_jjP12ihipStream_tbEUlT_E2_NS1_11comp_targetILNS1_3genE9ELNS1_11target_archE1100ELNS1_3gpuE3ELNS1_3repE0EEENS1_30default_config_static_selectorELNS0_4arch9wavefront6targetE1EEEvSK_
		.amdhsa_group_segment_fixed_size 0
		.amdhsa_private_segment_fixed_size 0
		.amdhsa_kernarg_size 80
		.amdhsa_user_sgpr_count 6
		.amdhsa_user_sgpr_private_segment_buffer 1
		.amdhsa_user_sgpr_dispatch_ptr 0
		.amdhsa_user_sgpr_queue_ptr 0
		.amdhsa_user_sgpr_kernarg_segment_ptr 1
		.amdhsa_user_sgpr_dispatch_id 0
		.amdhsa_user_sgpr_flat_scratch_init 0
		.amdhsa_user_sgpr_private_segment_size 0
		.amdhsa_uses_dynamic_stack 0
		.amdhsa_system_sgpr_private_segment_wavefront_offset 0
		.amdhsa_system_sgpr_workgroup_id_x 1
		.amdhsa_system_sgpr_workgroup_id_y 0
		.amdhsa_system_sgpr_workgroup_id_z 0
		.amdhsa_system_sgpr_workgroup_info 0
		.amdhsa_system_vgpr_workitem_id 0
		.amdhsa_next_free_vgpr 1
		.amdhsa_next_free_sgpr 0
		.amdhsa_reserve_vcc 0
		.amdhsa_reserve_flat_scratch 0
		.amdhsa_float_round_mode_32 0
		.amdhsa_float_round_mode_16_64 0
		.amdhsa_float_denorm_mode_32 3
		.amdhsa_float_denorm_mode_16_64 3
		.amdhsa_dx10_clamp 1
		.amdhsa_ieee_mode 1
		.amdhsa_fp16_overflow 0
		.amdhsa_exception_fp_ieee_invalid_op 0
		.amdhsa_exception_fp_denorm_src 0
		.amdhsa_exception_fp_ieee_div_zero 0
		.amdhsa_exception_fp_ieee_overflow 0
		.amdhsa_exception_fp_ieee_underflow 0
		.amdhsa_exception_fp_ieee_inexact 0
		.amdhsa_exception_int_div_zero 0
	.end_amdhsa_kernel
	.section	.text._ZN7rocprim17ROCPRIM_400000_NS6detail17trampoline_kernelINS0_14default_configENS1_36segmented_radix_sort_config_selectorIflEEZNS1_25segmented_radix_sort_implIS3_Lb1EPKfPfPKlPlN2at6native12_GLOBAL__N_18offset_tEEE10hipError_tPvRmT1_PNSt15iterator_traitsISK_E10value_typeET2_T3_PNSL_ISQ_E10value_typeET4_jRbjT5_SW_jjP12ihipStream_tbEUlT_E2_NS1_11comp_targetILNS1_3genE9ELNS1_11target_archE1100ELNS1_3gpuE3ELNS1_3repE0EEENS1_30default_config_static_selectorELNS0_4arch9wavefront6targetE1EEEvSK_,"axG",@progbits,_ZN7rocprim17ROCPRIM_400000_NS6detail17trampoline_kernelINS0_14default_configENS1_36segmented_radix_sort_config_selectorIflEEZNS1_25segmented_radix_sort_implIS3_Lb1EPKfPfPKlPlN2at6native12_GLOBAL__N_18offset_tEEE10hipError_tPvRmT1_PNSt15iterator_traitsISK_E10value_typeET2_T3_PNSL_ISQ_E10value_typeET4_jRbjT5_SW_jjP12ihipStream_tbEUlT_E2_NS1_11comp_targetILNS1_3genE9ELNS1_11target_archE1100ELNS1_3gpuE3ELNS1_3repE0EEENS1_30default_config_static_selectorELNS0_4arch9wavefront6targetE1EEEvSK_,comdat
.Lfunc_end1362:
	.size	_ZN7rocprim17ROCPRIM_400000_NS6detail17trampoline_kernelINS0_14default_configENS1_36segmented_radix_sort_config_selectorIflEEZNS1_25segmented_radix_sort_implIS3_Lb1EPKfPfPKlPlN2at6native12_GLOBAL__N_18offset_tEEE10hipError_tPvRmT1_PNSt15iterator_traitsISK_E10value_typeET2_T3_PNSL_ISQ_E10value_typeET4_jRbjT5_SW_jjP12ihipStream_tbEUlT_E2_NS1_11comp_targetILNS1_3genE9ELNS1_11target_archE1100ELNS1_3gpuE3ELNS1_3repE0EEENS1_30default_config_static_selectorELNS0_4arch9wavefront6targetE1EEEvSK_, .Lfunc_end1362-_ZN7rocprim17ROCPRIM_400000_NS6detail17trampoline_kernelINS0_14default_configENS1_36segmented_radix_sort_config_selectorIflEEZNS1_25segmented_radix_sort_implIS3_Lb1EPKfPfPKlPlN2at6native12_GLOBAL__N_18offset_tEEE10hipError_tPvRmT1_PNSt15iterator_traitsISK_E10value_typeET2_T3_PNSL_ISQ_E10value_typeET4_jRbjT5_SW_jjP12ihipStream_tbEUlT_E2_NS1_11comp_targetILNS1_3genE9ELNS1_11target_archE1100ELNS1_3gpuE3ELNS1_3repE0EEENS1_30default_config_static_selectorELNS0_4arch9wavefront6targetE1EEEvSK_
                                        ; -- End function
	.set _ZN7rocprim17ROCPRIM_400000_NS6detail17trampoline_kernelINS0_14default_configENS1_36segmented_radix_sort_config_selectorIflEEZNS1_25segmented_radix_sort_implIS3_Lb1EPKfPfPKlPlN2at6native12_GLOBAL__N_18offset_tEEE10hipError_tPvRmT1_PNSt15iterator_traitsISK_E10value_typeET2_T3_PNSL_ISQ_E10value_typeET4_jRbjT5_SW_jjP12ihipStream_tbEUlT_E2_NS1_11comp_targetILNS1_3genE9ELNS1_11target_archE1100ELNS1_3gpuE3ELNS1_3repE0EEENS1_30default_config_static_selectorELNS0_4arch9wavefront6targetE1EEEvSK_.num_vgpr, 0
	.set _ZN7rocprim17ROCPRIM_400000_NS6detail17trampoline_kernelINS0_14default_configENS1_36segmented_radix_sort_config_selectorIflEEZNS1_25segmented_radix_sort_implIS3_Lb1EPKfPfPKlPlN2at6native12_GLOBAL__N_18offset_tEEE10hipError_tPvRmT1_PNSt15iterator_traitsISK_E10value_typeET2_T3_PNSL_ISQ_E10value_typeET4_jRbjT5_SW_jjP12ihipStream_tbEUlT_E2_NS1_11comp_targetILNS1_3genE9ELNS1_11target_archE1100ELNS1_3gpuE3ELNS1_3repE0EEENS1_30default_config_static_selectorELNS0_4arch9wavefront6targetE1EEEvSK_.num_agpr, 0
	.set _ZN7rocprim17ROCPRIM_400000_NS6detail17trampoline_kernelINS0_14default_configENS1_36segmented_radix_sort_config_selectorIflEEZNS1_25segmented_radix_sort_implIS3_Lb1EPKfPfPKlPlN2at6native12_GLOBAL__N_18offset_tEEE10hipError_tPvRmT1_PNSt15iterator_traitsISK_E10value_typeET2_T3_PNSL_ISQ_E10value_typeET4_jRbjT5_SW_jjP12ihipStream_tbEUlT_E2_NS1_11comp_targetILNS1_3genE9ELNS1_11target_archE1100ELNS1_3gpuE3ELNS1_3repE0EEENS1_30default_config_static_selectorELNS0_4arch9wavefront6targetE1EEEvSK_.numbered_sgpr, 0
	.set _ZN7rocprim17ROCPRIM_400000_NS6detail17trampoline_kernelINS0_14default_configENS1_36segmented_radix_sort_config_selectorIflEEZNS1_25segmented_radix_sort_implIS3_Lb1EPKfPfPKlPlN2at6native12_GLOBAL__N_18offset_tEEE10hipError_tPvRmT1_PNSt15iterator_traitsISK_E10value_typeET2_T3_PNSL_ISQ_E10value_typeET4_jRbjT5_SW_jjP12ihipStream_tbEUlT_E2_NS1_11comp_targetILNS1_3genE9ELNS1_11target_archE1100ELNS1_3gpuE3ELNS1_3repE0EEENS1_30default_config_static_selectorELNS0_4arch9wavefront6targetE1EEEvSK_.num_named_barrier, 0
	.set _ZN7rocprim17ROCPRIM_400000_NS6detail17trampoline_kernelINS0_14default_configENS1_36segmented_radix_sort_config_selectorIflEEZNS1_25segmented_radix_sort_implIS3_Lb1EPKfPfPKlPlN2at6native12_GLOBAL__N_18offset_tEEE10hipError_tPvRmT1_PNSt15iterator_traitsISK_E10value_typeET2_T3_PNSL_ISQ_E10value_typeET4_jRbjT5_SW_jjP12ihipStream_tbEUlT_E2_NS1_11comp_targetILNS1_3genE9ELNS1_11target_archE1100ELNS1_3gpuE3ELNS1_3repE0EEENS1_30default_config_static_selectorELNS0_4arch9wavefront6targetE1EEEvSK_.private_seg_size, 0
	.set _ZN7rocprim17ROCPRIM_400000_NS6detail17trampoline_kernelINS0_14default_configENS1_36segmented_radix_sort_config_selectorIflEEZNS1_25segmented_radix_sort_implIS3_Lb1EPKfPfPKlPlN2at6native12_GLOBAL__N_18offset_tEEE10hipError_tPvRmT1_PNSt15iterator_traitsISK_E10value_typeET2_T3_PNSL_ISQ_E10value_typeET4_jRbjT5_SW_jjP12ihipStream_tbEUlT_E2_NS1_11comp_targetILNS1_3genE9ELNS1_11target_archE1100ELNS1_3gpuE3ELNS1_3repE0EEENS1_30default_config_static_selectorELNS0_4arch9wavefront6targetE1EEEvSK_.uses_vcc, 0
	.set _ZN7rocprim17ROCPRIM_400000_NS6detail17trampoline_kernelINS0_14default_configENS1_36segmented_radix_sort_config_selectorIflEEZNS1_25segmented_radix_sort_implIS3_Lb1EPKfPfPKlPlN2at6native12_GLOBAL__N_18offset_tEEE10hipError_tPvRmT1_PNSt15iterator_traitsISK_E10value_typeET2_T3_PNSL_ISQ_E10value_typeET4_jRbjT5_SW_jjP12ihipStream_tbEUlT_E2_NS1_11comp_targetILNS1_3genE9ELNS1_11target_archE1100ELNS1_3gpuE3ELNS1_3repE0EEENS1_30default_config_static_selectorELNS0_4arch9wavefront6targetE1EEEvSK_.uses_flat_scratch, 0
	.set _ZN7rocprim17ROCPRIM_400000_NS6detail17trampoline_kernelINS0_14default_configENS1_36segmented_radix_sort_config_selectorIflEEZNS1_25segmented_radix_sort_implIS3_Lb1EPKfPfPKlPlN2at6native12_GLOBAL__N_18offset_tEEE10hipError_tPvRmT1_PNSt15iterator_traitsISK_E10value_typeET2_T3_PNSL_ISQ_E10value_typeET4_jRbjT5_SW_jjP12ihipStream_tbEUlT_E2_NS1_11comp_targetILNS1_3genE9ELNS1_11target_archE1100ELNS1_3gpuE3ELNS1_3repE0EEENS1_30default_config_static_selectorELNS0_4arch9wavefront6targetE1EEEvSK_.has_dyn_sized_stack, 0
	.set _ZN7rocprim17ROCPRIM_400000_NS6detail17trampoline_kernelINS0_14default_configENS1_36segmented_radix_sort_config_selectorIflEEZNS1_25segmented_radix_sort_implIS3_Lb1EPKfPfPKlPlN2at6native12_GLOBAL__N_18offset_tEEE10hipError_tPvRmT1_PNSt15iterator_traitsISK_E10value_typeET2_T3_PNSL_ISQ_E10value_typeET4_jRbjT5_SW_jjP12ihipStream_tbEUlT_E2_NS1_11comp_targetILNS1_3genE9ELNS1_11target_archE1100ELNS1_3gpuE3ELNS1_3repE0EEENS1_30default_config_static_selectorELNS0_4arch9wavefront6targetE1EEEvSK_.has_recursion, 0
	.set _ZN7rocprim17ROCPRIM_400000_NS6detail17trampoline_kernelINS0_14default_configENS1_36segmented_radix_sort_config_selectorIflEEZNS1_25segmented_radix_sort_implIS3_Lb1EPKfPfPKlPlN2at6native12_GLOBAL__N_18offset_tEEE10hipError_tPvRmT1_PNSt15iterator_traitsISK_E10value_typeET2_T3_PNSL_ISQ_E10value_typeET4_jRbjT5_SW_jjP12ihipStream_tbEUlT_E2_NS1_11comp_targetILNS1_3genE9ELNS1_11target_archE1100ELNS1_3gpuE3ELNS1_3repE0EEENS1_30default_config_static_selectorELNS0_4arch9wavefront6targetE1EEEvSK_.has_indirect_call, 0
	.section	.AMDGPU.csdata,"",@progbits
; Kernel info:
; codeLenInByte = 0
; TotalNumSgprs: 4
; NumVgprs: 0
; ScratchSize: 0
; MemoryBound: 0
; FloatMode: 240
; IeeeMode: 1
; LDSByteSize: 0 bytes/workgroup (compile time only)
; SGPRBlocks: 0
; VGPRBlocks: 0
; NumSGPRsForWavesPerEU: 4
; NumVGPRsForWavesPerEU: 1
; Occupancy: 10
; WaveLimiterHint : 0
; COMPUTE_PGM_RSRC2:SCRATCH_EN: 0
; COMPUTE_PGM_RSRC2:USER_SGPR: 6
; COMPUTE_PGM_RSRC2:TRAP_HANDLER: 0
; COMPUTE_PGM_RSRC2:TGID_X_EN: 1
; COMPUTE_PGM_RSRC2:TGID_Y_EN: 0
; COMPUTE_PGM_RSRC2:TGID_Z_EN: 0
; COMPUTE_PGM_RSRC2:TIDIG_COMP_CNT: 0
	.section	.text._ZN7rocprim17ROCPRIM_400000_NS6detail17trampoline_kernelINS0_14default_configENS1_36segmented_radix_sort_config_selectorIflEEZNS1_25segmented_radix_sort_implIS3_Lb1EPKfPfPKlPlN2at6native12_GLOBAL__N_18offset_tEEE10hipError_tPvRmT1_PNSt15iterator_traitsISK_E10value_typeET2_T3_PNSL_ISQ_E10value_typeET4_jRbjT5_SW_jjP12ihipStream_tbEUlT_E2_NS1_11comp_targetILNS1_3genE8ELNS1_11target_archE1030ELNS1_3gpuE2ELNS1_3repE0EEENS1_30default_config_static_selectorELNS0_4arch9wavefront6targetE1EEEvSK_,"axG",@progbits,_ZN7rocprim17ROCPRIM_400000_NS6detail17trampoline_kernelINS0_14default_configENS1_36segmented_radix_sort_config_selectorIflEEZNS1_25segmented_radix_sort_implIS3_Lb1EPKfPfPKlPlN2at6native12_GLOBAL__N_18offset_tEEE10hipError_tPvRmT1_PNSt15iterator_traitsISK_E10value_typeET2_T3_PNSL_ISQ_E10value_typeET4_jRbjT5_SW_jjP12ihipStream_tbEUlT_E2_NS1_11comp_targetILNS1_3genE8ELNS1_11target_archE1030ELNS1_3gpuE2ELNS1_3repE0EEENS1_30default_config_static_selectorELNS0_4arch9wavefront6targetE1EEEvSK_,comdat
	.globl	_ZN7rocprim17ROCPRIM_400000_NS6detail17trampoline_kernelINS0_14default_configENS1_36segmented_radix_sort_config_selectorIflEEZNS1_25segmented_radix_sort_implIS3_Lb1EPKfPfPKlPlN2at6native12_GLOBAL__N_18offset_tEEE10hipError_tPvRmT1_PNSt15iterator_traitsISK_E10value_typeET2_T3_PNSL_ISQ_E10value_typeET4_jRbjT5_SW_jjP12ihipStream_tbEUlT_E2_NS1_11comp_targetILNS1_3genE8ELNS1_11target_archE1030ELNS1_3gpuE2ELNS1_3repE0EEENS1_30default_config_static_selectorELNS0_4arch9wavefront6targetE1EEEvSK_ ; -- Begin function _ZN7rocprim17ROCPRIM_400000_NS6detail17trampoline_kernelINS0_14default_configENS1_36segmented_radix_sort_config_selectorIflEEZNS1_25segmented_radix_sort_implIS3_Lb1EPKfPfPKlPlN2at6native12_GLOBAL__N_18offset_tEEE10hipError_tPvRmT1_PNSt15iterator_traitsISK_E10value_typeET2_T3_PNSL_ISQ_E10value_typeET4_jRbjT5_SW_jjP12ihipStream_tbEUlT_E2_NS1_11comp_targetILNS1_3genE8ELNS1_11target_archE1030ELNS1_3gpuE2ELNS1_3repE0EEENS1_30default_config_static_selectorELNS0_4arch9wavefront6targetE1EEEvSK_
	.p2align	8
	.type	_ZN7rocprim17ROCPRIM_400000_NS6detail17trampoline_kernelINS0_14default_configENS1_36segmented_radix_sort_config_selectorIflEEZNS1_25segmented_radix_sort_implIS3_Lb1EPKfPfPKlPlN2at6native12_GLOBAL__N_18offset_tEEE10hipError_tPvRmT1_PNSt15iterator_traitsISK_E10value_typeET2_T3_PNSL_ISQ_E10value_typeET4_jRbjT5_SW_jjP12ihipStream_tbEUlT_E2_NS1_11comp_targetILNS1_3genE8ELNS1_11target_archE1030ELNS1_3gpuE2ELNS1_3repE0EEENS1_30default_config_static_selectorELNS0_4arch9wavefront6targetE1EEEvSK_,@function
_ZN7rocprim17ROCPRIM_400000_NS6detail17trampoline_kernelINS0_14default_configENS1_36segmented_radix_sort_config_selectorIflEEZNS1_25segmented_radix_sort_implIS3_Lb1EPKfPfPKlPlN2at6native12_GLOBAL__N_18offset_tEEE10hipError_tPvRmT1_PNSt15iterator_traitsISK_E10value_typeET2_T3_PNSL_ISQ_E10value_typeET4_jRbjT5_SW_jjP12ihipStream_tbEUlT_E2_NS1_11comp_targetILNS1_3genE8ELNS1_11target_archE1030ELNS1_3gpuE2ELNS1_3repE0EEENS1_30default_config_static_selectorELNS0_4arch9wavefront6targetE1EEEvSK_: ; @_ZN7rocprim17ROCPRIM_400000_NS6detail17trampoline_kernelINS0_14default_configENS1_36segmented_radix_sort_config_selectorIflEEZNS1_25segmented_radix_sort_implIS3_Lb1EPKfPfPKlPlN2at6native12_GLOBAL__N_18offset_tEEE10hipError_tPvRmT1_PNSt15iterator_traitsISK_E10value_typeET2_T3_PNSL_ISQ_E10value_typeET4_jRbjT5_SW_jjP12ihipStream_tbEUlT_E2_NS1_11comp_targetILNS1_3genE8ELNS1_11target_archE1030ELNS1_3gpuE2ELNS1_3repE0EEENS1_30default_config_static_selectorELNS0_4arch9wavefront6targetE1EEEvSK_
; %bb.0:
	.section	.rodata,"a",@progbits
	.p2align	6, 0x0
	.amdhsa_kernel _ZN7rocprim17ROCPRIM_400000_NS6detail17trampoline_kernelINS0_14default_configENS1_36segmented_radix_sort_config_selectorIflEEZNS1_25segmented_radix_sort_implIS3_Lb1EPKfPfPKlPlN2at6native12_GLOBAL__N_18offset_tEEE10hipError_tPvRmT1_PNSt15iterator_traitsISK_E10value_typeET2_T3_PNSL_ISQ_E10value_typeET4_jRbjT5_SW_jjP12ihipStream_tbEUlT_E2_NS1_11comp_targetILNS1_3genE8ELNS1_11target_archE1030ELNS1_3gpuE2ELNS1_3repE0EEENS1_30default_config_static_selectorELNS0_4arch9wavefront6targetE1EEEvSK_
		.amdhsa_group_segment_fixed_size 0
		.amdhsa_private_segment_fixed_size 0
		.amdhsa_kernarg_size 80
		.amdhsa_user_sgpr_count 6
		.amdhsa_user_sgpr_private_segment_buffer 1
		.amdhsa_user_sgpr_dispatch_ptr 0
		.amdhsa_user_sgpr_queue_ptr 0
		.amdhsa_user_sgpr_kernarg_segment_ptr 1
		.amdhsa_user_sgpr_dispatch_id 0
		.amdhsa_user_sgpr_flat_scratch_init 0
		.amdhsa_user_sgpr_private_segment_size 0
		.amdhsa_uses_dynamic_stack 0
		.amdhsa_system_sgpr_private_segment_wavefront_offset 0
		.amdhsa_system_sgpr_workgroup_id_x 1
		.amdhsa_system_sgpr_workgroup_id_y 0
		.amdhsa_system_sgpr_workgroup_id_z 0
		.amdhsa_system_sgpr_workgroup_info 0
		.amdhsa_system_vgpr_workitem_id 0
		.amdhsa_next_free_vgpr 1
		.amdhsa_next_free_sgpr 0
		.amdhsa_reserve_vcc 0
		.amdhsa_reserve_flat_scratch 0
		.amdhsa_float_round_mode_32 0
		.amdhsa_float_round_mode_16_64 0
		.amdhsa_float_denorm_mode_32 3
		.amdhsa_float_denorm_mode_16_64 3
		.amdhsa_dx10_clamp 1
		.amdhsa_ieee_mode 1
		.amdhsa_fp16_overflow 0
		.amdhsa_exception_fp_ieee_invalid_op 0
		.amdhsa_exception_fp_denorm_src 0
		.amdhsa_exception_fp_ieee_div_zero 0
		.amdhsa_exception_fp_ieee_overflow 0
		.amdhsa_exception_fp_ieee_underflow 0
		.amdhsa_exception_fp_ieee_inexact 0
		.amdhsa_exception_int_div_zero 0
	.end_amdhsa_kernel
	.section	.text._ZN7rocprim17ROCPRIM_400000_NS6detail17trampoline_kernelINS0_14default_configENS1_36segmented_radix_sort_config_selectorIflEEZNS1_25segmented_radix_sort_implIS3_Lb1EPKfPfPKlPlN2at6native12_GLOBAL__N_18offset_tEEE10hipError_tPvRmT1_PNSt15iterator_traitsISK_E10value_typeET2_T3_PNSL_ISQ_E10value_typeET4_jRbjT5_SW_jjP12ihipStream_tbEUlT_E2_NS1_11comp_targetILNS1_3genE8ELNS1_11target_archE1030ELNS1_3gpuE2ELNS1_3repE0EEENS1_30default_config_static_selectorELNS0_4arch9wavefront6targetE1EEEvSK_,"axG",@progbits,_ZN7rocprim17ROCPRIM_400000_NS6detail17trampoline_kernelINS0_14default_configENS1_36segmented_radix_sort_config_selectorIflEEZNS1_25segmented_radix_sort_implIS3_Lb1EPKfPfPKlPlN2at6native12_GLOBAL__N_18offset_tEEE10hipError_tPvRmT1_PNSt15iterator_traitsISK_E10value_typeET2_T3_PNSL_ISQ_E10value_typeET4_jRbjT5_SW_jjP12ihipStream_tbEUlT_E2_NS1_11comp_targetILNS1_3genE8ELNS1_11target_archE1030ELNS1_3gpuE2ELNS1_3repE0EEENS1_30default_config_static_selectorELNS0_4arch9wavefront6targetE1EEEvSK_,comdat
.Lfunc_end1363:
	.size	_ZN7rocprim17ROCPRIM_400000_NS6detail17trampoline_kernelINS0_14default_configENS1_36segmented_radix_sort_config_selectorIflEEZNS1_25segmented_radix_sort_implIS3_Lb1EPKfPfPKlPlN2at6native12_GLOBAL__N_18offset_tEEE10hipError_tPvRmT1_PNSt15iterator_traitsISK_E10value_typeET2_T3_PNSL_ISQ_E10value_typeET4_jRbjT5_SW_jjP12ihipStream_tbEUlT_E2_NS1_11comp_targetILNS1_3genE8ELNS1_11target_archE1030ELNS1_3gpuE2ELNS1_3repE0EEENS1_30default_config_static_selectorELNS0_4arch9wavefront6targetE1EEEvSK_, .Lfunc_end1363-_ZN7rocprim17ROCPRIM_400000_NS6detail17trampoline_kernelINS0_14default_configENS1_36segmented_radix_sort_config_selectorIflEEZNS1_25segmented_radix_sort_implIS3_Lb1EPKfPfPKlPlN2at6native12_GLOBAL__N_18offset_tEEE10hipError_tPvRmT1_PNSt15iterator_traitsISK_E10value_typeET2_T3_PNSL_ISQ_E10value_typeET4_jRbjT5_SW_jjP12ihipStream_tbEUlT_E2_NS1_11comp_targetILNS1_3genE8ELNS1_11target_archE1030ELNS1_3gpuE2ELNS1_3repE0EEENS1_30default_config_static_selectorELNS0_4arch9wavefront6targetE1EEEvSK_
                                        ; -- End function
	.set _ZN7rocprim17ROCPRIM_400000_NS6detail17trampoline_kernelINS0_14default_configENS1_36segmented_radix_sort_config_selectorIflEEZNS1_25segmented_radix_sort_implIS3_Lb1EPKfPfPKlPlN2at6native12_GLOBAL__N_18offset_tEEE10hipError_tPvRmT1_PNSt15iterator_traitsISK_E10value_typeET2_T3_PNSL_ISQ_E10value_typeET4_jRbjT5_SW_jjP12ihipStream_tbEUlT_E2_NS1_11comp_targetILNS1_3genE8ELNS1_11target_archE1030ELNS1_3gpuE2ELNS1_3repE0EEENS1_30default_config_static_selectorELNS0_4arch9wavefront6targetE1EEEvSK_.num_vgpr, 0
	.set _ZN7rocprim17ROCPRIM_400000_NS6detail17trampoline_kernelINS0_14default_configENS1_36segmented_radix_sort_config_selectorIflEEZNS1_25segmented_radix_sort_implIS3_Lb1EPKfPfPKlPlN2at6native12_GLOBAL__N_18offset_tEEE10hipError_tPvRmT1_PNSt15iterator_traitsISK_E10value_typeET2_T3_PNSL_ISQ_E10value_typeET4_jRbjT5_SW_jjP12ihipStream_tbEUlT_E2_NS1_11comp_targetILNS1_3genE8ELNS1_11target_archE1030ELNS1_3gpuE2ELNS1_3repE0EEENS1_30default_config_static_selectorELNS0_4arch9wavefront6targetE1EEEvSK_.num_agpr, 0
	.set _ZN7rocprim17ROCPRIM_400000_NS6detail17trampoline_kernelINS0_14default_configENS1_36segmented_radix_sort_config_selectorIflEEZNS1_25segmented_radix_sort_implIS3_Lb1EPKfPfPKlPlN2at6native12_GLOBAL__N_18offset_tEEE10hipError_tPvRmT1_PNSt15iterator_traitsISK_E10value_typeET2_T3_PNSL_ISQ_E10value_typeET4_jRbjT5_SW_jjP12ihipStream_tbEUlT_E2_NS1_11comp_targetILNS1_3genE8ELNS1_11target_archE1030ELNS1_3gpuE2ELNS1_3repE0EEENS1_30default_config_static_selectorELNS0_4arch9wavefront6targetE1EEEvSK_.numbered_sgpr, 0
	.set _ZN7rocprim17ROCPRIM_400000_NS6detail17trampoline_kernelINS0_14default_configENS1_36segmented_radix_sort_config_selectorIflEEZNS1_25segmented_radix_sort_implIS3_Lb1EPKfPfPKlPlN2at6native12_GLOBAL__N_18offset_tEEE10hipError_tPvRmT1_PNSt15iterator_traitsISK_E10value_typeET2_T3_PNSL_ISQ_E10value_typeET4_jRbjT5_SW_jjP12ihipStream_tbEUlT_E2_NS1_11comp_targetILNS1_3genE8ELNS1_11target_archE1030ELNS1_3gpuE2ELNS1_3repE0EEENS1_30default_config_static_selectorELNS0_4arch9wavefront6targetE1EEEvSK_.num_named_barrier, 0
	.set _ZN7rocprim17ROCPRIM_400000_NS6detail17trampoline_kernelINS0_14default_configENS1_36segmented_radix_sort_config_selectorIflEEZNS1_25segmented_radix_sort_implIS3_Lb1EPKfPfPKlPlN2at6native12_GLOBAL__N_18offset_tEEE10hipError_tPvRmT1_PNSt15iterator_traitsISK_E10value_typeET2_T3_PNSL_ISQ_E10value_typeET4_jRbjT5_SW_jjP12ihipStream_tbEUlT_E2_NS1_11comp_targetILNS1_3genE8ELNS1_11target_archE1030ELNS1_3gpuE2ELNS1_3repE0EEENS1_30default_config_static_selectorELNS0_4arch9wavefront6targetE1EEEvSK_.private_seg_size, 0
	.set _ZN7rocprim17ROCPRIM_400000_NS6detail17trampoline_kernelINS0_14default_configENS1_36segmented_radix_sort_config_selectorIflEEZNS1_25segmented_radix_sort_implIS3_Lb1EPKfPfPKlPlN2at6native12_GLOBAL__N_18offset_tEEE10hipError_tPvRmT1_PNSt15iterator_traitsISK_E10value_typeET2_T3_PNSL_ISQ_E10value_typeET4_jRbjT5_SW_jjP12ihipStream_tbEUlT_E2_NS1_11comp_targetILNS1_3genE8ELNS1_11target_archE1030ELNS1_3gpuE2ELNS1_3repE0EEENS1_30default_config_static_selectorELNS0_4arch9wavefront6targetE1EEEvSK_.uses_vcc, 0
	.set _ZN7rocprim17ROCPRIM_400000_NS6detail17trampoline_kernelINS0_14default_configENS1_36segmented_radix_sort_config_selectorIflEEZNS1_25segmented_radix_sort_implIS3_Lb1EPKfPfPKlPlN2at6native12_GLOBAL__N_18offset_tEEE10hipError_tPvRmT1_PNSt15iterator_traitsISK_E10value_typeET2_T3_PNSL_ISQ_E10value_typeET4_jRbjT5_SW_jjP12ihipStream_tbEUlT_E2_NS1_11comp_targetILNS1_3genE8ELNS1_11target_archE1030ELNS1_3gpuE2ELNS1_3repE0EEENS1_30default_config_static_selectorELNS0_4arch9wavefront6targetE1EEEvSK_.uses_flat_scratch, 0
	.set _ZN7rocprim17ROCPRIM_400000_NS6detail17trampoline_kernelINS0_14default_configENS1_36segmented_radix_sort_config_selectorIflEEZNS1_25segmented_radix_sort_implIS3_Lb1EPKfPfPKlPlN2at6native12_GLOBAL__N_18offset_tEEE10hipError_tPvRmT1_PNSt15iterator_traitsISK_E10value_typeET2_T3_PNSL_ISQ_E10value_typeET4_jRbjT5_SW_jjP12ihipStream_tbEUlT_E2_NS1_11comp_targetILNS1_3genE8ELNS1_11target_archE1030ELNS1_3gpuE2ELNS1_3repE0EEENS1_30default_config_static_selectorELNS0_4arch9wavefront6targetE1EEEvSK_.has_dyn_sized_stack, 0
	.set _ZN7rocprim17ROCPRIM_400000_NS6detail17trampoline_kernelINS0_14default_configENS1_36segmented_radix_sort_config_selectorIflEEZNS1_25segmented_radix_sort_implIS3_Lb1EPKfPfPKlPlN2at6native12_GLOBAL__N_18offset_tEEE10hipError_tPvRmT1_PNSt15iterator_traitsISK_E10value_typeET2_T3_PNSL_ISQ_E10value_typeET4_jRbjT5_SW_jjP12ihipStream_tbEUlT_E2_NS1_11comp_targetILNS1_3genE8ELNS1_11target_archE1030ELNS1_3gpuE2ELNS1_3repE0EEENS1_30default_config_static_selectorELNS0_4arch9wavefront6targetE1EEEvSK_.has_recursion, 0
	.set _ZN7rocprim17ROCPRIM_400000_NS6detail17trampoline_kernelINS0_14default_configENS1_36segmented_radix_sort_config_selectorIflEEZNS1_25segmented_radix_sort_implIS3_Lb1EPKfPfPKlPlN2at6native12_GLOBAL__N_18offset_tEEE10hipError_tPvRmT1_PNSt15iterator_traitsISK_E10value_typeET2_T3_PNSL_ISQ_E10value_typeET4_jRbjT5_SW_jjP12ihipStream_tbEUlT_E2_NS1_11comp_targetILNS1_3genE8ELNS1_11target_archE1030ELNS1_3gpuE2ELNS1_3repE0EEENS1_30default_config_static_selectorELNS0_4arch9wavefront6targetE1EEEvSK_.has_indirect_call, 0
	.section	.AMDGPU.csdata,"",@progbits
; Kernel info:
; codeLenInByte = 0
; TotalNumSgprs: 4
; NumVgprs: 0
; ScratchSize: 0
; MemoryBound: 0
; FloatMode: 240
; IeeeMode: 1
; LDSByteSize: 0 bytes/workgroup (compile time only)
; SGPRBlocks: 0
; VGPRBlocks: 0
; NumSGPRsForWavesPerEU: 4
; NumVGPRsForWavesPerEU: 1
; Occupancy: 10
; WaveLimiterHint : 0
; COMPUTE_PGM_RSRC2:SCRATCH_EN: 0
; COMPUTE_PGM_RSRC2:USER_SGPR: 6
; COMPUTE_PGM_RSRC2:TRAP_HANDLER: 0
; COMPUTE_PGM_RSRC2:TGID_X_EN: 1
; COMPUTE_PGM_RSRC2:TGID_Y_EN: 0
; COMPUTE_PGM_RSRC2:TGID_Z_EN: 0
; COMPUTE_PGM_RSRC2:TIDIG_COMP_CNT: 0
	.section	.text._ZN7rocprim17ROCPRIM_400000_NS6detail17trampoline_kernelINS0_13select_configILj256ELj13ELNS0_17block_load_methodE3ELS4_3ELS4_3ELNS0_20block_scan_algorithmE0ELj4294967295EEENS1_25partition_config_selectorILNS1_17partition_subalgoE4EjNS0_10empty_typeEbEEZZNS1_14partition_implILS8_4ELb0ES6_15HIP_vector_typeIjLj2EENS0_17counting_iteratorIjlEEPS9_SG_NS0_5tupleIJPjSI_NS0_16reverse_iteratorISI_EEEEENSH_IJSG_SG_SG_EEES9_SI_JZNS1_25segmented_radix_sort_implINS0_14default_configELb0EPKfPfPKlPlN2at6native12_GLOBAL__N_18offset_tEEE10hipError_tPvRmT1_PNSt15iterator_traitsIS12_E10value_typeET2_T3_PNS13_IS18_E10value_typeET4_jRbjT5_S1E_jjP12ihipStream_tbEUljE_ZNSN_ISO_Lb0ESQ_SR_ST_SU_SY_EESZ_S10_S11_S12_S16_S17_S18_S1B_S1C_jS1D_jS1E_S1E_jjS1G_bEUljE0_EEESZ_S10_S11_S18_S1C_S1E_T6_T7_T9_mT8_S1G_bDpT10_ENKUlT_T0_E_clISt17integral_constantIbLb0EES1U_EEDaS1P_S1Q_EUlS1P_E_NS1_11comp_targetILNS1_3genE0ELNS1_11target_archE4294967295ELNS1_3gpuE0ELNS1_3repE0EEENS1_30default_config_static_selectorELNS0_4arch9wavefront6targetE1EEEvS12_,"axG",@progbits,_ZN7rocprim17ROCPRIM_400000_NS6detail17trampoline_kernelINS0_13select_configILj256ELj13ELNS0_17block_load_methodE3ELS4_3ELS4_3ELNS0_20block_scan_algorithmE0ELj4294967295EEENS1_25partition_config_selectorILNS1_17partition_subalgoE4EjNS0_10empty_typeEbEEZZNS1_14partition_implILS8_4ELb0ES6_15HIP_vector_typeIjLj2EENS0_17counting_iteratorIjlEEPS9_SG_NS0_5tupleIJPjSI_NS0_16reverse_iteratorISI_EEEEENSH_IJSG_SG_SG_EEES9_SI_JZNS1_25segmented_radix_sort_implINS0_14default_configELb0EPKfPfPKlPlN2at6native12_GLOBAL__N_18offset_tEEE10hipError_tPvRmT1_PNSt15iterator_traitsIS12_E10value_typeET2_T3_PNS13_IS18_E10value_typeET4_jRbjT5_S1E_jjP12ihipStream_tbEUljE_ZNSN_ISO_Lb0ESQ_SR_ST_SU_SY_EESZ_S10_S11_S12_S16_S17_S18_S1B_S1C_jS1D_jS1E_S1E_jjS1G_bEUljE0_EEESZ_S10_S11_S18_S1C_S1E_T6_T7_T9_mT8_S1G_bDpT10_ENKUlT_T0_E_clISt17integral_constantIbLb0EES1U_EEDaS1P_S1Q_EUlS1P_E_NS1_11comp_targetILNS1_3genE0ELNS1_11target_archE4294967295ELNS1_3gpuE0ELNS1_3repE0EEENS1_30default_config_static_selectorELNS0_4arch9wavefront6targetE1EEEvS12_,comdat
	.globl	_ZN7rocprim17ROCPRIM_400000_NS6detail17trampoline_kernelINS0_13select_configILj256ELj13ELNS0_17block_load_methodE3ELS4_3ELS4_3ELNS0_20block_scan_algorithmE0ELj4294967295EEENS1_25partition_config_selectorILNS1_17partition_subalgoE4EjNS0_10empty_typeEbEEZZNS1_14partition_implILS8_4ELb0ES6_15HIP_vector_typeIjLj2EENS0_17counting_iteratorIjlEEPS9_SG_NS0_5tupleIJPjSI_NS0_16reverse_iteratorISI_EEEEENSH_IJSG_SG_SG_EEES9_SI_JZNS1_25segmented_radix_sort_implINS0_14default_configELb0EPKfPfPKlPlN2at6native12_GLOBAL__N_18offset_tEEE10hipError_tPvRmT1_PNSt15iterator_traitsIS12_E10value_typeET2_T3_PNS13_IS18_E10value_typeET4_jRbjT5_S1E_jjP12ihipStream_tbEUljE_ZNSN_ISO_Lb0ESQ_SR_ST_SU_SY_EESZ_S10_S11_S12_S16_S17_S18_S1B_S1C_jS1D_jS1E_S1E_jjS1G_bEUljE0_EEESZ_S10_S11_S18_S1C_S1E_T6_T7_T9_mT8_S1G_bDpT10_ENKUlT_T0_E_clISt17integral_constantIbLb0EES1U_EEDaS1P_S1Q_EUlS1P_E_NS1_11comp_targetILNS1_3genE0ELNS1_11target_archE4294967295ELNS1_3gpuE0ELNS1_3repE0EEENS1_30default_config_static_selectorELNS0_4arch9wavefront6targetE1EEEvS12_ ; -- Begin function _ZN7rocprim17ROCPRIM_400000_NS6detail17trampoline_kernelINS0_13select_configILj256ELj13ELNS0_17block_load_methodE3ELS4_3ELS4_3ELNS0_20block_scan_algorithmE0ELj4294967295EEENS1_25partition_config_selectorILNS1_17partition_subalgoE4EjNS0_10empty_typeEbEEZZNS1_14partition_implILS8_4ELb0ES6_15HIP_vector_typeIjLj2EENS0_17counting_iteratorIjlEEPS9_SG_NS0_5tupleIJPjSI_NS0_16reverse_iteratorISI_EEEEENSH_IJSG_SG_SG_EEES9_SI_JZNS1_25segmented_radix_sort_implINS0_14default_configELb0EPKfPfPKlPlN2at6native12_GLOBAL__N_18offset_tEEE10hipError_tPvRmT1_PNSt15iterator_traitsIS12_E10value_typeET2_T3_PNS13_IS18_E10value_typeET4_jRbjT5_S1E_jjP12ihipStream_tbEUljE_ZNSN_ISO_Lb0ESQ_SR_ST_SU_SY_EESZ_S10_S11_S12_S16_S17_S18_S1B_S1C_jS1D_jS1E_S1E_jjS1G_bEUljE0_EEESZ_S10_S11_S18_S1C_S1E_T6_T7_T9_mT8_S1G_bDpT10_ENKUlT_T0_E_clISt17integral_constantIbLb0EES1U_EEDaS1P_S1Q_EUlS1P_E_NS1_11comp_targetILNS1_3genE0ELNS1_11target_archE4294967295ELNS1_3gpuE0ELNS1_3repE0EEENS1_30default_config_static_selectorELNS0_4arch9wavefront6targetE1EEEvS12_
	.p2align	8
	.type	_ZN7rocprim17ROCPRIM_400000_NS6detail17trampoline_kernelINS0_13select_configILj256ELj13ELNS0_17block_load_methodE3ELS4_3ELS4_3ELNS0_20block_scan_algorithmE0ELj4294967295EEENS1_25partition_config_selectorILNS1_17partition_subalgoE4EjNS0_10empty_typeEbEEZZNS1_14partition_implILS8_4ELb0ES6_15HIP_vector_typeIjLj2EENS0_17counting_iteratorIjlEEPS9_SG_NS0_5tupleIJPjSI_NS0_16reverse_iteratorISI_EEEEENSH_IJSG_SG_SG_EEES9_SI_JZNS1_25segmented_radix_sort_implINS0_14default_configELb0EPKfPfPKlPlN2at6native12_GLOBAL__N_18offset_tEEE10hipError_tPvRmT1_PNSt15iterator_traitsIS12_E10value_typeET2_T3_PNS13_IS18_E10value_typeET4_jRbjT5_S1E_jjP12ihipStream_tbEUljE_ZNSN_ISO_Lb0ESQ_SR_ST_SU_SY_EESZ_S10_S11_S12_S16_S17_S18_S1B_S1C_jS1D_jS1E_S1E_jjS1G_bEUljE0_EEESZ_S10_S11_S18_S1C_S1E_T6_T7_T9_mT8_S1G_bDpT10_ENKUlT_T0_E_clISt17integral_constantIbLb0EES1U_EEDaS1P_S1Q_EUlS1P_E_NS1_11comp_targetILNS1_3genE0ELNS1_11target_archE4294967295ELNS1_3gpuE0ELNS1_3repE0EEENS1_30default_config_static_selectorELNS0_4arch9wavefront6targetE1EEEvS12_,@function
_ZN7rocprim17ROCPRIM_400000_NS6detail17trampoline_kernelINS0_13select_configILj256ELj13ELNS0_17block_load_methodE3ELS4_3ELS4_3ELNS0_20block_scan_algorithmE0ELj4294967295EEENS1_25partition_config_selectorILNS1_17partition_subalgoE4EjNS0_10empty_typeEbEEZZNS1_14partition_implILS8_4ELb0ES6_15HIP_vector_typeIjLj2EENS0_17counting_iteratorIjlEEPS9_SG_NS0_5tupleIJPjSI_NS0_16reverse_iteratorISI_EEEEENSH_IJSG_SG_SG_EEES9_SI_JZNS1_25segmented_radix_sort_implINS0_14default_configELb0EPKfPfPKlPlN2at6native12_GLOBAL__N_18offset_tEEE10hipError_tPvRmT1_PNSt15iterator_traitsIS12_E10value_typeET2_T3_PNS13_IS18_E10value_typeET4_jRbjT5_S1E_jjP12ihipStream_tbEUljE_ZNSN_ISO_Lb0ESQ_SR_ST_SU_SY_EESZ_S10_S11_S12_S16_S17_S18_S1B_S1C_jS1D_jS1E_S1E_jjS1G_bEUljE0_EEESZ_S10_S11_S18_S1C_S1E_T6_T7_T9_mT8_S1G_bDpT10_ENKUlT_T0_E_clISt17integral_constantIbLb0EES1U_EEDaS1P_S1Q_EUlS1P_E_NS1_11comp_targetILNS1_3genE0ELNS1_11target_archE4294967295ELNS1_3gpuE0ELNS1_3repE0EEENS1_30default_config_static_selectorELNS0_4arch9wavefront6targetE1EEEvS12_: ; @_ZN7rocprim17ROCPRIM_400000_NS6detail17trampoline_kernelINS0_13select_configILj256ELj13ELNS0_17block_load_methodE3ELS4_3ELS4_3ELNS0_20block_scan_algorithmE0ELj4294967295EEENS1_25partition_config_selectorILNS1_17partition_subalgoE4EjNS0_10empty_typeEbEEZZNS1_14partition_implILS8_4ELb0ES6_15HIP_vector_typeIjLj2EENS0_17counting_iteratorIjlEEPS9_SG_NS0_5tupleIJPjSI_NS0_16reverse_iteratorISI_EEEEENSH_IJSG_SG_SG_EEES9_SI_JZNS1_25segmented_radix_sort_implINS0_14default_configELb0EPKfPfPKlPlN2at6native12_GLOBAL__N_18offset_tEEE10hipError_tPvRmT1_PNSt15iterator_traitsIS12_E10value_typeET2_T3_PNS13_IS18_E10value_typeET4_jRbjT5_S1E_jjP12ihipStream_tbEUljE_ZNSN_ISO_Lb0ESQ_SR_ST_SU_SY_EESZ_S10_S11_S12_S16_S17_S18_S1B_S1C_jS1D_jS1E_S1E_jjS1G_bEUljE0_EEESZ_S10_S11_S18_S1C_S1E_T6_T7_T9_mT8_S1G_bDpT10_ENKUlT_T0_E_clISt17integral_constantIbLb0EES1U_EEDaS1P_S1Q_EUlS1P_E_NS1_11comp_targetILNS1_3genE0ELNS1_11target_archE4294967295ELNS1_3gpuE0ELNS1_3repE0EEENS1_30default_config_static_selectorELNS0_4arch9wavefront6targetE1EEEvS12_
; %bb.0:
	.section	.rodata,"a",@progbits
	.p2align	6, 0x0
	.amdhsa_kernel _ZN7rocprim17ROCPRIM_400000_NS6detail17trampoline_kernelINS0_13select_configILj256ELj13ELNS0_17block_load_methodE3ELS4_3ELS4_3ELNS0_20block_scan_algorithmE0ELj4294967295EEENS1_25partition_config_selectorILNS1_17partition_subalgoE4EjNS0_10empty_typeEbEEZZNS1_14partition_implILS8_4ELb0ES6_15HIP_vector_typeIjLj2EENS0_17counting_iteratorIjlEEPS9_SG_NS0_5tupleIJPjSI_NS0_16reverse_iteratorISI_EEEEENSH_IJSG_SG_SG_EEES9_SI_JZNS1_25segmented_radix_sort_implINS0_14default_configELb0EPKfPfPKlPlN2at6native12_GLOBAL__N_18offset_tEEE10hipError_tPvRmT1_PNSt15iterator_traitsIS12_E10value_typeET2_T3_PNS13_IS18_E10value_typeET4_jRbjT5_S1E_jjP12ihipStream_tbEUljE_ZNSN_ISO_Lb0ESQ_SR_ST_SU_SY_EESZ_S10_S11_S12_S16_S17_S18_S1B_S1C_jS1D_jS1E_S1E_jjS1G_bEUljE0_EEESZ_S10_S11_S18_S1C_S1E_T6_T7_T9_mT8_S1G_bDpT10_ENKUlT_T0_E_clISt17integral_constantIbLb0EES1U_EEDaS1P_S1Q_EUlS1P_E_NS1_11comp_targetILNS1_3genE0ELNS1_11target_archE4294967295ELNS1_3gpuE0ELNS1_3repE0EEENS1_30default_config_static_selectorELNS0_4arch9wavefront6targetE1EEEvS12_
		.amdhsa_group_segment_fixed_size 0
		.amdhsa_private_segment_fixed_size 0
		.amdhsa_kernarg_size 176
		.amdhsa_user_sgpr_count 6
		.amdhsa_user_sgpr_private_segment_buffer 1
		.amdhsa_user_sgpr_dispatch_ptr 0
		.amdhsa_user_sgpr_queue_ptr 0
		.amdhsa_user_sgpr_kernarg_segment_ptr 1
		.amdhsa_user_sgpr_dispatch_id 0
		.amdhsa_user_sgpr_flat_scratch_init 0
		.amdhsa_user_sgpr_private_segment_size 0
		.amdhsa_uses_dynamic_stack 0
		.amdhsa_system_sgpr_private_segment_wavefront_offset 0
		.amdhsa_system_sgpr_workgroup_id_x 1
		.amdhsa_system_sgpr_workgroup_id_y 0
		.amdhsa_system_sgpr_workgroup_id_z 0
		.amdhsa_system_sgpr_workgroup_info 0
		.amdhsa_system_vgpr_workitem_id 0
		.amdhsa_next_free_vgpr 1
		.amdhsa_next_free_sgpr 0
		.amdhsa_reserve_vcc 0
		.amdhsa_reserve_flat_scratch 0
		.amdhsa_float_round_mode_32 0
		.amdhsa_float_round_mode_16_64 0
		.amdhsa_float_denorm_mode_32 3
		.amdhsa_float_denorm_mode_16_64 3
		.amdhsa_dx10_clamp 1
		.amdhsa_ieee_mode 1
		.amdhsa_fp16_overflow 0
		.amdhsa_exception_fp_ieee_invalid_op 0
		.amdhsa_exception_fp_denorm_src 0
		.amdhsa_exception_fp_ieee_div_zero 0
		.amdhsa_exception_fp_ieee_overflow 0
		.amdhsa_exception_fp_ieee_underflow 0
		.amdhsa_exception_fp_ieee_inexact 0
		.amdhsa_exception_int_div_zero 0
	.end_amdhsa_kernel
	.section	.text._ZN7rocprim17ROCPRIM_400000_NS6detail17trampoline_kernelINS0_13select_configILj256ELj13ELNS0_17block_load_methodE3ELS4_3ELS4_3ELNS0_20block_scan_algorithmE0ELj4294967295EEENS1_25partition_config_selectorILNS1_17partition_subalgoE4EjNS0_10empty_typeEbEEZZNS1_14partition_implILS8_4ELb0ES6_15HIP_vector_typeIjLj2EENS0_17counting_iteratorIjlEEPS9_SG_NS0_5tupleIJPjSI_NS0_16reverse_iteratorISI_EEEEENSH_IJSG_SG_SG_EEES9_SI_JZNS1_25segmented_radix_sort_implINS0_14default_configELb0EPKfPfPKlPlN2at6native12_GLOBAL__N_18offset_tEEE10hipError_tPvRmT1_PNSt15iterator_traitsIS12_E10value_typeET2_T3_PNS13_IS18_E10value_typeET4_jRbjT5_S1E_jjP12ihipStream_tbEUljE_ZNSN_ISO_Lb0ESQ_SR_ST_SU_SY_EESZ_S10_S11_S12_S16_S17_S18_S1B_S1C_jS1D_jS1E_S1E_jjS1G_bEUljE0_EEESZ_S10_S11_S18_S1C_S1E_T6_T7_T9_mT8_S1G_bDpT10_ENKUlT_T0_E_clISt17integral_constantIbLb0EES1U_EEDaS1P_S1Q_EUlS1P_E_NS1_11comp_targetILNS1_3genE0ELNS1_11target_archE4294967295ELNS1_3gpuE0ELNS1_3repE0EEENS1_30default_config_static_selectorELNS0_4arch9wavefront6targetE1EEEvS12_,"axG",@progbits,_ZN7rocprim17ROCPRIM_400000_NS6detail17trampoline_kernelINS0_13select_configILj256ELj13ELNS0_17block_load_methodE3ELS4_3ELS4_3ELNS0_20block_scan_algorithmE0ELj4294967295EEENS1_25partition_config_selectorILNS1_17partition_subalgoE4EjNS0_10empty_typeEbEEZZNS1_14partition_implILS8_4ELb0ES6_15HIP_vector_typeIjLj2EENS0_17counting_iteratorIjlEEPS9_SG_NS0_5tupleIJPjSI_NS0_16reverse_iteratorISI_EEEEENSH_IJSG_SG_SG_EEES9_SI_JZNS1_25segmented_radix_sort_implINS0_14default_configELb0EPKfPfPKlPlN2at6native12_GLOBAL__N_18offset_tEEE10hipError_tPvRmT1_PNSt15iterator_traitsIS12_E10value_typeET2_T3_PNS13_IS18_E10value_typeET4_jRbjT5_S1E_jjP12ihipStream_tbEUljE_ZNSN_ISO_Lb0ESQ_SR_ST_SU_SY_EESZ_S10_S11_S12_S16_S17_S18_S1B_S1C_jS1D_jS1E_S1E_jjS1G_bEUljE0_EEESZ_S10_S11_S18_S1C_S1E_T6_T7_T9_mT8_S1G_bDpT10_ENKUlT_T0_E_clISt17integral_constantIbLb0EES1U_EEDaS1P_S1Q_EUlS1P_E_NS1_11comp_targetILNS1_3genE0ELNS1_11target_archE4294967295ELNS1_3gpuE0ELNS1_3repE0EEENS1_30default_config_static_selectorELNS0_4arch9wavefront6targetE1EEEvS12_,comdat
.Lfunc_end1364:
	.size	_ZN7rocprim17ROCPRIM_400000_NS6detail17trampoline_kernelINS0_13select_configILj256ELj13ELNS0_17block_load_methodE3ELS4_3ELS4_3ELNS0_20block_scan_algorithmE0ELj4294967295EEENS1_25partition_config_selectorILNS1_17partition_subalgoE4EjNS0_10empty_typeEbEEZZNS1_14partition_implILS8_4ELb0ES6_15HIP_vector_typeIjLj2EENS0_17counting_iteratorIjlEEPS9_SG_NS0_5tupleIJPjSI_NS0_16reverse_iteratorISI_EEEEENSH_IJSG_SG_SG_EEES9_SI_JZNS1_25segmented_radix_sort_implINS0_14default_configELb0EPKfPfPKlPlN2at6native12_GLOBAL__N_18offset_tEEE10hipError_tPvRmT1_PNSt15iterator_traitsIS12_E10value_typeET2_T3_PNS13_IS18_E10value_typeET4_jRbjT5_S1E_jjP12ihipStream_tbEUljE_ZNSN_ISO_Lb0ESQ_SR_ST_SU_SY_EESZ_S10_S11_S12_S16_S17_S18_S1B_S1C_jS1D_jS1E_S1E_jjS1G_bEUljE0_EEESZ_S10_S11_S18_S1C_S1E_T6_T7_T9_mT8_S1G_bDpT10_ENKUlT_T0_E_clISt17integral_constantIbLb0EES1U_EEDaS1P_S1Q_EUlS1P_E_NS1_11comp_targetILNS1_3genE0ELNS1_11target_archE4294967295ELNS1_3gpuE0ELNS1_3repE0EEENS1_30default_config_static_selectorELNS0_4arch9wavefront6targetE1EEEvS12_, .Lfunc_end1364-_ZN7rocprim17ROCPRIM_400000_NS6detail17trampoline_kernelINS0_13select_configILj256ELj13ELNS0_17block_load_methodE3ELS4_3ELS4_3ELNS0_20block_scan_algorithmE0ELj4294967295EEENS1_25partition_config_selectorILNS1_17partition_subalgoE4EjNS0_10empty_typeEbEEZZNS1_14partition_implILS8_4ELb0ES6_15HIP_vector_typeIjLj2EENS0_17counting_iteratorIjlEEPS9_SG_NS0_5tupleIJPjSI_NS0_16reverse_iteratorISI_EEEEENSH_IJSG_SG_SG_EEES9_SI_JZNS1_25segmented_radix_sort_implINS0_14default_configELb0EPKfPfPKlPlN2at6native12_GLOBAL__N_18offset_tEEE10hipError_tPvRmT1_PNSt15iterator_traitsIS12_E10value_typeET2_T3_PNS13_IS18_E10value_typeET4_jRbjT5_S1E_jjP12ihipStream_tbEUljE_ZNSN_ISO_Lb0ESQ_SR_ST_SU_SY_EESZ_S10_S11_S12_S16_S17_S18_S1B_S1C_jS1D_jS1E_S1E_jjS1G_bEUljE0_EEESZ_S10_S11_S18_S1C_S1E_T6_T7_T9_mT8_S1G_bDpT10_ENKUlT_T0_E_clISt17integral_constantIbLb0EES1U_EEDaS1P_S1Q_EUlS1P_E_NS1_11comp_targetILNS1_3genE0ELNS1_11target_archE4294967295ELNS1_3gpuE0ELNS1_3repE0EEENS1_30default_config_static_selectorELNS0_4arch9wavefront6targetE1EEEvS12_
                                        ; -- End function
	.set _ZN7rocprim17ROCPRIM_400000_NS6detail17trampoline_kernelINS0_13select_configILj256ELj13ELNS0_17block_load_methodE3ELS4_3ELS4_3ELNS0_20block_scan_algorithmE0ELj4294967295EEENS1_25partition_config_selectorILNS1_17partition_subalgoE4EjNS0_10empty_typeEbEEZZNS1_14partition_implILS8_4ELb0ES6_15HIP_vector_typeIjLj2EENS0_17counting_iteratorIjlEEPS9_SG_NS0_5tupleIJPjSI_NS0_16reverse_iteratorISI_EEEEENSH_IJSG_SG_SG_EEES9_SI_JZNS1_25segmented_radix_sort_implINS0_14default_configELb0EPKfPfPKlPlN2at6native12_GLOBAL__N_18offset_tEEE10hipError_tPvRmT1_PNSt15iterator_traitsIS12_E10value_typeET2_T3_PNS13_IS18_E10value_typeET4_jRbjT5_S1E_jjP12ihipStream_tbEUljE_ZNSN_ISO_Lb0ESQ_SR_ST_SU_SY_EESZ_S10_S11_S12_S16_S17_S18_S1B_S1C_jS1D_jS1E_S1E_jjS1G_bEUljE0_EEESZ_S10_S11_S18_S1C_S1E_T6_T7_T9_mT8_S1G_bDpT10_ENKUlT_T0_E_clISt17integral_constantIbLb0EES1U_EEDaS1P_S1Q_EUlS1P_E_NS1_11comp_targetILNS1_3genE0ELNS1_11target_archE4294967295ELNS1_3gpuE0ELNS1_3repE0EEENS1_30default_config_static_selectorELNS0_4arch9wavefront6targetE1EEEvS12_.num_vgpr, 0
	.set _ZN7rocprim17ROCPRIM_400000_NS6detail17trampoline_kernelINS0_13select_configILj256ELj13ELNS0_17block_load_methodE3ELS4_3ELS4_3ELNS0_20block_scan_algorithmE0ELj4294967295EEENS1_25partition_config_selectorILNS1_17partition_subalgoE4EjNS0_10empty_typeEbEEZZNS1_14partition_implILS8_4ELb0ES6_15HIP_vector_typeIjLj2EENS0_17counting_iteratorIjlEEPS9_SG_NS0_5tupleIJPjSI_NS0_16reverse_iteratorISI_EEEEENSH_IJSG_SG_SG_EEES9_SI_JZNS1_25segmented_radix_sort_implINS0_14default_configELb0EPKfPfPKlPlN2at6native12_GLOBAL__N_18offset_tEEE10hipError_tPvRmT1_PNSt15iterator_traitsIS12_E10value_typeET2_T3_PNS13_IS18_E10value_typeET4_jRbjT5_S1E_jjP12ihipStream_tbEUljE_ZNSN_ISO_Lb0ESQ_SR_ST_SU_SY_EESZ_S10_S11_S12_S16_S17_S18_S1B_S1C_jS1D_jS1E_S1E_jjS1G_bEUljE0_EEESZ_S10_S11_S18_S1C_S1E_T6_T7_T9_mT8_S1G_bDpT10_ENKUlT_T0_E_clISt17integral_constantIbLb0EES1U_EEDaS1P_S1Q_EUlS1P_E_NS1_11comp_targetILNS1_3genE0ELNS1_11target_archE4294967295ELNS1_3gpuE0ELNS1_3repE0EEENS1_30default_config_static_selectorELNS0_4arch9wavefront6targetE1EEEvS12_.num_agpr, 0
	.set _ZN7rocprim17ROCPRIM_400000_NS6detail17trampoline_kernelINS0_13select_configILj256ELj13ELNS0_17block_load_methodE3ELS4_3ELS4_3ELNS0_20block_scan_algorithmE0ELj4294967295EEENS1_25partition_config_selectorILNS1_17partition_subalgoE4EjNS0_10empty_typeEbEEZZNS1_14partition_implILS8_4ELb0ES6_15HIP_vector_typeIjLj2EENS0_17counting_iteratorIjlEEPS9_SG_NS0_5tupleIJPjSI_NS0_16reverse_iteratorISI_EEEEENSH_IJSG_SG_SG_EEES9_SI_JZNS1_25segmented_radix_sort_implINS0_14default_configELb0EPKfPfPKlPlN2at6native12_GLOBAL__N_18offset_tEEE10hipError_tPvRmT1_PNSt15iterator_traitsIS12_E10value_typeET2_T3_PNS13_IS18_E10value_typeET4_jRbjT5_S1E_jjP12ihipStream_tbEUljE_ZNSN_ISO_Lb0ESQ_SR_ST_SU_SY_EESZ_S10_S11_S12_S16_S17_S18_S1B_S1C_jS1D_jS1E_S1E_jjS1G_bEUljE0_EEESZ_S10_S11_S18_S1C_S1E_T6_T7_T9_mT8_S1G_bDpT10_ENKUlT_T0_E_clISt17integral_constantIbLb0EES1U_EEDaS1P_S1Q_EUlS1P_E_NS1_11comp_targetILNS1_3genE0ELNS1_11target_archE4294967295ELNS1_3gpuE0ELNS1_3repE0EEENS1_30default_config_static_selectorELNS0_4arch9wavefront6targetE1EEEvS12_.numbered_sgpr, 0
	.set _ZN7rocprim17ROCPRIM_400000_NS6detail17trampoline_kernelINS0_13select_configILj256ELj13ELNS0_17block_load_methodE3ELS4_3ELS4_3ELNS0_20block_scan_algorithmE0ELj4294967295EEENS1_25partition_config_selectorILNS1_17partition_subalgoE4EjNS0_10empty_typeEbEEZZNS1_14partition_implILS8_4ELb0ES6_15HIP_vector_typeIjLj2EENS0_17counting_iteratorIjlEEPS9_SG_NS0_5tupleIJPjSI_NS0_16reverse_iteratorISI_EEEEENSH_IJSG_SG_SG_EEES9_SI_JZNS1_25segmented_radix_sort_implINS0_14default_configELb0EPKfPfPKlPlN2at6native12_GLOBAL__N_18offset_tEEE10hipError_tPvRmT1_PNSt15iterator_traitsIS12_E10value_typeET2_T3_PNS13_IS18_E10value_typeET4_jRbjT5_S1E_jjP12ihipStream_tbEUljE_ZNSN_ISO_Lb0ESQ_SR_ST_SU_SY_EESZ_S10_S11_S12_S16_S17_S18_S1B_S1C_jS1D_jS1E_S1E_jjS1G_bEUljE0_EEESZ_S10_S11_S18_S1C_S1E_T6_T7_T9_mT8_S1G_bDpT10_ENKUlT_T0_E_clISt17integral_constantIbLb0EES1U_EEDaS1P_S1Q_EUlS1P_E_NS1_11comp_targetILNS1_3genE0ELNS1_11target_archE4294967295ELNS1_3gpuE0ELNS1_3repE0EEENS1_30default_config_static_selectorELNS0_4arch9wavefront6targetE1EEEvS12_.num_named_barrier, 0
	.set _ZN7rocprim17ROCPRIM_400000_NS6detail17trampoline_kernelINS0_13select_configILj256ELj13ELNS0_17block_load_methodE3ELS4_3ELS4_3ELNS0_20block_scan_algorithmE0ELj4294967295EEENS1_25partition_config_selectorILNS1_17partition_subalgoE4EjNS0_10empty_typeEbEEZZNS1_14partition_implILS8_4ELb0ES6_15HIP_vector_typeIjLj2EENS0_17counting_iteratorIjlEEPS9_SG_NS0_5tupleIJPjSI_NS0_16reverse_iteratorISI_EEEEENSH_IJSG_SG_SG_EEES9_SI_JZNS1_25segmented_radix_sort_implINS0_14default_configELb0EPKfPfPKlPlN2at6native12_GLOBAL__N_18offset_tEEE10hipError_tPvRmT1_PNSt15iterator_traitsIS12_E10value_typeET2_T3_PNS13_IS18_E10value_typeET4_jRbjT5_S1E_jjP12ihipStream_tbEUljE_ZNSN_ISO_Lb0ESQ_SR_ST_SU_SY_EESZ_S10_S11_S12_S16_S17_S18_S1B_S1C_jS1D_jS1E_S1E_jjS1G_bEUljE0_EEESZ_S10_S11_S18_S1C_S1E_T6_T7_T9_mT8_S1G_bDpT10_ENKUlT_T0_E_clISt17integral_constantIbLb0EES1U_EEDaS1P_S1Q_EUlS1P_E_NS1_11comp_targetILNS1_3genE0ELNS1_11target_archE4294967295ELNS1_3gpuE0ELNS1_3repE0EEENS1_30default_config_static_selectorELNS0_4arch9wavefront6targetE1EEEvS12_.private_seg_size, 0
	.set _ZN7rocprim17ROCPRIM_400000_NS6detail17trampoline_kernelINS0_13select_configILj256ELj13ELNS0_17block_load_methodE3ELS4_3ELS4_3ELNS0_20block_scan_algorithmE0ELj4294967295EEENS1_25partition_config_selectorILNS1_17partition_subalgoE4EjNS0_10empty_typeEbEEZZNS1_14partition_implILS8_4ELb0ES6_15HIP_vector_typeIjLj2EENS0_17counting_iteratorIjlEEPS9_SG_NS0_5tupleIJPjSI_NS0_16reverse_iteratorISI_EEEEENSH_IJSG_SG_SG_EEES9_SI_JZNS1_25segmented_radix_sort_implINS0_14default_configELb0EPKfPfPKlPlN2at6native12_GLOBAL__N_18offset_tEEE10hipError_tPvRmT1_PNSt15iterator_traitsIS12_E10value_typeET2_T3_PNS13_IS18_E10value_typeET4_jRbjT5_S1E_jjP12ihipStream_tbEUljE_ZNSN_ISO_Lb0ESQ_SR_ST_SU_SY_EESZ_S10_S11_S12_S16_S17_S18_S1B_S1C_jS1D_jS1E_S1E_jjS1G_bEUljE0_EEESZ_S10_S11_S18_S1C_S1E_T6_T7_T9_mT8_S1G_bDpT10_ENKUlT_T0_E_clISt17integral_constantIbLb0EES1U_EEDaS1P_S1Q_EUlS1P_E_NS1_11comp_targetILNS1_3genE0ELNS1_11target_archE4294967295ELNS1_3gpuE0ELNS1_3repE0EEENS1_30default_config_static_selectorELNS0_4arch9wavefront6targetE1EEEvS12_.uses_vcc, 0
	.set _ZN7rocprim17ROCPRIM_400000_NS6detail17trampoline_kernelINS0_13select_configILj256ELj13ELNS0_17block_load_methodE3ELS4_3ELS4_3ELNS0_20block_scan_algorithmE0ELj4294967295EEENS1_25partition_config_selectorILNS1_17partition_subalgoE4EjNS0_10empty_typeEbEEZZNS1_14partition_implILS8_4ELb0ES6_15HIP_vector_typeIjLj2EENS0_17counting_iteratorIjlEEPS9_SG_NS0_5tupleIJPjSI_NS0_16reverse_iteratorISI_EEEEENSH_IJSG_SG_SG_EEES9_SI_JZNS1_25segmented_radix_sort_implINS0_14default_configELb0EPKfPfPKlPlN2at6native12_GLOBAL__N_18offset_tEEE10hipError_tPvRmT1_PNSt15iterator_traitsIS12_E10value_typeET2_T3_PNS13_IS18_E10value_typeET4_jRbjT5_S1E_jjP12ihipStream_tbEUljE_ZNSN_ISO_Lb0ESQ_SR_ST_SU_SY_EESZ_S10_S11_S12_S16_S17_S18_S1B_S1C_jS1D_jS1E_S1E_jjS1G_bEUljE0_EEESZ_S10_S11_S18_S1C_S1E_T6_T7_T9_mT8_S1G_bDpT10_ENKUlT_T0_E_clISt17integral_constantIbLb0EES1U_EEDaS1P_S1Q_EUlS1P_E_NS1_11comp_targetILNS1_3genE0ELNS1_11target_archE4294967295ELNS1_3gpuE0ELNS1_3repE0EEENS1_30default_config_static_selectorELNS0_4arch9wavefront6targetE1EEEvS12_.uses_flat_scratch, 0
	.set _ZN7rocprim17ROCPRIM_400000_NS6detail17trampoline_kernelINS0_13select_configILj256ELj13ELNS0_17block_load_methodE3ELS4_3ELS4_3ELNS0_20block_scan_algorithmE0ELj4294967295EEENS1_25partition_config_selectorILNS1_17partition_subalgoE4EjNS0_10empty_typeEbEEZZNS1_14partition_implILS8_4ELb0ES6_15HIP_vector_typeIjLj2EENS0_17counting_iteratorIjlEEPS9_SG_NS0_5tupleIJPjSI_NS0_16reverse_iteratorISI_EEEEENSH_IJSG_SG_SG_EEES9_SI_JZNS1_25segmented_radix_sort_implINS0_14default_configELb0EPKfPfPKlPlN2at6native12_GLOBAL__N_18offset_tEEE10hipError_tPvRmT1_PNSt15iterator_traitsIS12_E10value_typeET2_T3_PNS13_IS18_E10value_typeET4_jRbjT5_S1E_jjP12ihipStream_tbEUljE_ZNSN_ISO_Lb0ESQ_SR_ST_SU_SY_EESZ_S10_S11_S12_S16_S17_S18_S1B_S1C_jS1D_jS1E_S1E_jjS1G_bEUljE0_EEESZ_S10_S11_S18_S1C_S1E_T6_T7_T9_mT8_S1G_bDpT10_ENKUlT_T0_E_clISt17integral_constantIbLb0EES1U_EEDaS1P_S1Q_EUlS1P_E_NS1_11comp_targetILNS1_3genE0ELNS1_11target_archE4294967295ELNS1_3gpuE0ELNS1_3repE0EEENS1_30default_config_static_selectorELNS0_4arch9wavefront6targetE1EEEvS12_.has_dyn_sized_stack, 0
	.set _ZN7rocprim17ROCPRIM_400000_NS6detail17trampoline_kernelINS0_13select_configILj256ELj13ELNS0_17block_load_methodE3ELS4_3ELS4_3ELNS0_20block_scan_algorithmE0ELj4294967295EEENS1_25partition_config_selectorILNS1_17partition_subalgoE4EjNS0_10empty_typeEbEEZZNS1_14partition_implILS8_4ELb0ES6_15HIP_vector_typeIjLj2EENS0_17counting_iteratorIjlEEPS9_SG_NS0_5tupleIJPjSI_NS0_16reverse_iteratorISI_EEEEENSH_IJSG_SG_SG_EEES9_SI_JZNS1_25segmented_radix_sort_implINS0_14default_configELb0EPKfPfPKlPlN2at6native12_GLOBAL__N_18offset_tEEE10hipError_tPvRmT1_PNSt15iterator_traitsIS12_E10value_typeET2_T3_PNS13_IS18_E10value_typeET4_jRbjT5_S1E_jjP12ihipStream_tbEUljE_ZNSN_ISO_Lb0ESQ_SR_ST_SU_SY_EESZ_S10_S11_S12_S16_S17_S18_S1B_S1C_jS1D_jS1E_S1E_jjS1G_bEUljE0_EEESZ_S10_S11_S18_S1C_S1E_T6_T7_T9_mT8_S1G_bDpT10_ENKUlT_T0_E_clISt17integral_constantIbLb0EES1U_EEDaS1P_S1Q_EUlS1P_E_NS1_11comp_targetILNS1_3genE0ELNS1_11target_archE4294967295ELNS1_3gpuE0ELNS1_3repE0EEENS1_30default_config_static_selectorELNS0_4arch9wavefront6targetE1EEEvS12_.has_recursion, 0
	.set _ZN7rocprim17ROCPRIM_400000_NS6detail17trampoline_kernelINS0_13select_configILj256ELj13ELNS0_17block_load_methodE3ELS4_3ELS4_3ELNS0_20block_scan_algorithmE0ELj4294967295EEENS1_25partition_config_selectorILNS1_17partition_subalgoE4EjNS0_10empty_typeEbEEZZNS1_14partition_implILS8_4ELb0ES6_15HIP_vector_typeIjLj2EENS0_17counting_iteratorIjlEEPS9_SG_NS0_5tupleIJPjSI_NS0_16reverse_iteratorISI_EEEEENSH_IJSG_SG_SG_EEES9_SI_JZNS1_25segmented_radix_sort_implINS0_14default_configELb0EPKfPfPKlPlN2at6native12_GLOBAL__N_18offset_tEEE10hipError_tPvRmT1_PNSt15iterator_traitsIS12_E10value_typeET2_T3_PNS13_IS18_E10value_typeET4_jRbjT5_S1E_jjP12ihipStream_tbEUljE_ZNSN_ISO_Lb0ESQ_SR_ST_SU_SY_EESZ_S10_S11_S12_S16_S17_S18_S1B_S1C_jS1D_jS1E_S1E_jjS1G_bEUljE0_EEESZ_S10_S11_S18_S1C_S1E_T6_T7_T9_mT8_S1G_bDpT10_ENKUlT_T0_E_clISt17integral_constantIbLb0EES1U_EEDaS1P_S1Q_EUlS1P_E_NS1_11comp_targetILNS1_3genE0ELNS1_11target_archE4294967295ELNS1_3gpuE0ELNS1_3repE0EEENS1_30default_config_static_selectorELNS0_4arch9wavefront6targetE1EEEvS12_.has_indirect_call, 0
	.section	.AMDGPU.csdata,"",@progbits
; Kernel info:
; codeLenInByte = 0
; TotalNumSgprs: 4
; NumVgprs: 0
; ScratchSize: 0
; MemoryBound: 0
; FloatMode: 240
; IeeeMode: 1
; LDSByteSize: 0 bytes/workgroup (compile time only)
; SGPRBlocks: 0
; VGPRBlocks: 0
; NumSGPRsForWavesPerEU: 4
; NumVGPRsForWavesPerEU: 1
; Occupancy: 10
; WaveLimiterHint : 0
; COMPUTE_PGM_RSRC2:SCRATCH_EN: 0
; COMPUTE_PGM_RSRC2:USER_SGPR: 6
; COMPUTE_PGM_RSRC2:TRAP_HANDLER: 0
; COMPUTE_PGM_RSRC2:TGID_X_EN: 1
; COMPUTE_PGM_RSRC2:TGID_Y_EN: 0
; COMPUTE_PGM_RSRC2:TGID_Z_EN: 0
; COMPUTE_PGM_RSRC2:TIDIG_COMP_CNT: 0
	.section	.text._ZN7rocprim17ROCPRIM_400000_NS6detail17trampoline_kernelINS0_13select_configILj256ELj13ELNS0_17block_load_methodE3ELS4_3ELS4_3ELNS0_20block_scan_algorithmE0ELj4294967295EEENS1_25partition_config_selectorILNS1_17partition_subalgoE4EjNS0_10empty_typeEbEEZZNS1_14partition_implILS8_4ELb0ES6_15HIP_vector_typeIjLj2EENS0_17counting_iteratorIjlEEPS9_SG_NS0_5tupleIJPjSI_NS0_16reverse_iteratorISI_EEEEENSH_IJSG_SG_SG_EEES9_SI_JZNS1_25segmented_radix_sort_implINS0_14default_configELb0EPKfPfPKlPlN2at6native12_GLOBAL__N_18offset_tEEE10hipError_tPvRmT1_PNSt15iterator_traitsIS12_E10value_typeET2_T3_PNS13_IS18_E10value_typeET4_jRbjT5_S1E_jjP12ihipStream_tbEUljE_ZNSN_ISO_Lb0ESQ_SR_ST_SU_SY_EESZ_S10_S11_S12_S16_S17_S18_S1B_S1C_jS1D_jS1E_S1E_jjS1G_bEUljE0_EEESZ_S10_S11_S18_S1C_S1E_T6_T7_T9_mT8_S1G_bDpT10_ENKUlT_T0_E_clISt17integral_constantIbLb0EES1U_EEDaS1P_S1Q_EUlS1P_E_NS1_11comp_targetILNS1_3genE5ELNS1_11target_archE942ELNS1_3gpuE9ELNS1_3repE0EEENS1_30default_config_static_selectorELNS0_4arch9wavefront6targetE1EEEvS12_,"axG",@progbits,_ZN7rocprim17ROCPRIM_400000_NS6detail17trampoline_kernelINS0_13select_configILj256ELj13ELNS0_17block_load_methodE3ELS4_3ELS4_3ELNS0_20block_scan_algorithmE0ELj4294967295EEENS1_25partition_config_selectorILNS1_17partition_subalgoE4EjNS0_10empty_typeEbEEZZNS1_14partition_implILS8_4ELb0ES6_15HIP_vector_typeIjLj2EENS0_17counting_iteratorIjlEEPS9_SG_NS0_5tupleIJPjSI_NS0_16reverse_iteratorISI_EEEEENSH_IJSG_SG_SG_EEES9_SI_JZNS1_25segmented_radix_sort_implINS0_14default_configELb0EPKfPfPKlPlN2at6native12_GLOBAL__N_18offset_tEEE10hipError_tPvRmT1_PNSt15iterator_traitsIS12_E10value_typeET2_T3_PNS13_IS18_E10value_typeET4_jRbjT5_S1E_jjP12ihipStream_tbEUljE_ZNSN_ISO_Lb0ESQ_SR_ST_SU_SY_EESZ_S10_S11_S12_S16_S17_S18_S1B_S1C_jS1D_jS1E_S1E_jjS1G_bEUljE0_EEESZ_S10_S11_S18_S1C_S1E_T6_T7_T9_mT8_S1G_bDpT10_ENKUlT_T0_E_clISt17integral_constantIbLb0EES1U_EEDaS1P_S1Q_EUlS1P_E_NS1_11comp_targetILNS1_3genE5ELNS1_11target_archE942ELNS1_3gpuE9ELNS1_3repE0EEENS1_30default_config_static_selectorELNS0_4arch9wavefront6targetE1EEEvS12_,comdat
	.globl	_ZN7rocprim17ROCPRIM_400000_NS6detail17trampoline_kernelINS0_13select_configILj256ELj13ELNS0_17block_load_methodE3ELS4_3ELS4_3ELNS0_20block_scan_algorithmE0ELj4294967295EEENS1_25partition_config_selectorILNS1_17partition_subalgoE4EjNS0_10empty_typeEbEEZZNS1_14partition_implILS8_4ELb0ES6_15HIP_vector_typeIjLj2EENS0_17counting_iteratorIjlEEPS9_SG_NS0_5tupleIJPjSI_NS0_16reverse_iteratorISI_EEEEENSH_IJSG_SG_SG_EEES9_SI_JZNS1_25segmented_radix_sort_implINS0_14default_configELb0EPKfPfPKlPlN2at6native12_GLOBAL__N_18offset_tEEE10hipError_tPvRmT1_PNSt15iterator_traitsIS12_E10value_typeET2_T3_PNS13_IS18_E10value_typeET4_jRbjT5_S1E_jjP12ihipStream_tbEUljE_ZNSN_ISO_Lb0ESQ_SR_ST_SU_SY_EESZ_S10_S11_S12_S16_S17_S18_S1B_S1C_jS1D_jS1E_S1E_jjS1G_bEUljE0_EEESZ_S10_S11_S18_S1C_S1E_T6_T7_T9_mT8_S1G_bDpT10_ENKUlT_T0_E_clISt17integral_constantIbLb0EES1U_EEDaS1P_S1Q_EUlS1P_E_NS1_11comp_targetILNS1_3genE5ELNS1_11target_archE942ELNS1_3gpuE9ELNS1_3repE0EEENS1_30default_config_static_selectorELNS0_4arch9wavefront6targetE1EEEvS12_ ; -- Begin function _ZN7rocprim17ROCPRIM_400000_NS6detail17trampoline_kernelINS0_13select_configILj256ELj13ELNS0_17block_load_methodE3ELS4_3ELS4_3ELNS0_20block_scan_algorithmE0ELj4294967295EEENS1_25partition_config_selectorILNS1_17partition_subalgoE4EjNS0_10empty_typeEbEEZZNS1_14partition_implILS8_4ELb0ES6_15HIP_vector_typeIjLj2EENS0_17counting_iteratorIjlEEPS9_SG_NS0_5tupleIJPjSI_NS0_16reverse_iteratorISI_EEEEENSH_IJSG_SG_SG_EEES9_SI_JZNS1_25segmented_radix_sort_implINS0_14default_configELb0EPKfPfPKlPlN2at6native12_GLOBAL__N_18offset_tEEE10hipError_tPvRmT1_PNSt15iterator_traitsIS12_E10value_typeET2_T3_PNS13_IS18_E10value_typeET4_jRbjT5_S1E_jjP12ihipStream_tbEUljE_ZNSN_ISO_Lb0ESQ_SR_ST_SU_SY_EESZ_S10_S11_S12_S16_S17_S18_S1B_S1C_jS1D_jS1E_S1E_jjS1G_bEUljE0_EEESZ_S10_S11_S18_S1C_S1E_T6_T7_T9_mT8_S1G_bDpT10_ENKUlT_T0_E_clISt17integral_constantIbLb0EES1U_EEDaS1P_S1Q_EUlS1P_E_NS1_11comp_targetILNS1_3genE5ELNS1_11target_archE942ELNS1_3gpuE9ELNS1_3repE0EEENS1_30default_config_static_selectorELNS0_4arch9wavefront6targetE1EEEvS12_
	.p2align	8
	.type	_ZN7rocprim17ROCPRIM_400000_NS6detail17trampoline_kernelINS0_13select_configILj256ELj13ELNS0_17block_load_methodE3ELS4_3ELS4_3ELNS0_20block_scan_algorithmE0ELj4294967295EEENS1_25partition_config_selectorILNS1_17partition_subalgoE4EjNS0_10empty_typeEbEEZZNS1_14partition_implILS8_4ELb0ES6_15HIP_vector_typeIjLj2EENS0_17counting_iteratorIjlEEPS9_SG_NS0_5tupleIJPjSI_NS0_16reverse_iteratorISI_EEEEENSH_IJSG_SG_SG_EEES9_SI_JZNS1_25segmented_radix_sort_implINS0_14default_configELb0EPKfPfPKlPlN2at6native12_GLOBAL__N_18offset_tEEE10hipError_tPvRmT1_PNSt15iterator_traitsIS12_E10value_typeET2_T3_PNS13_IS18_E10value_typeET4_jRbjT5_S1E_jjP12ihipStream_tbEUljE_ZNSN_ISO_Lb0ESQ_SR_ST_SU_SY_EESZ_S10_S11_S12_S16_S17_S18_S1B_S1C_jS1D_jS1E_S1E_jjS1G_bEUljE0_EEESZ_S10_S11_S18_S1C_S1E_T6_T7_T9_mT8_S1G_bDpT10_ENKUlT_T0_E_clISt17integral_constantIbLb0EES1U_EEDaS1P_S1Q_EUlS1P_E_NS1_11comp_targetILNS1_3genE5ELNS1_11target_archE942ELNS1_3gpuE9ELNS1_3repE0EEENS1_30default_config_static_selectorELNS0_4arch9wavefront6targetE1EEEvS12_,@function
_ZN7rocprim17ROCPRIM_400000_NS6detail17trampoline_kernelINS0_13select_configILj256ELj13ELNS0_17block_load_methodE3ELS4_3ELS4_3ELNS0_20block_scan_algorithmE0ELj4294967295EEENS1_25partition_config_selectorILNS1_17partition_subalgoE4EjNS0_10empty_typeEbEEZZNS1_14partition_implILS8_4ELb0ES6_15HIP_vector_typeIjLj2EENS0_17counting_iteratorIjlEEPS9_SG_NS0_5tupleIJPjSI_NS0_16reverse_iteratorISI_EEEEENSH_IJSG_SG_SG_EEES9_SI_JZNS1_25segmented_radix_sort_implINS0_14default_configELb0EPKfPfPKlPlN2at6native12_GLOBAL__N_18offset_tEEE10hipError_tPvRmT1_PNSt15iterator_traitsIS12_E10value_typeET2_T3_PNS13_IS18_E10value_typeET4_jRbjT5_S1E_jjP12ihipStream_tbEUljE_ZNSN_ISO_Lb0ESQ_SR_ST_SU_SY_EESZ_S10_S11_S12_S16_S17_S18_S1B_S1C_jS1D_jS1E_S1E_jjS1G_bEUljE0_EEESZ_S10_S11_S18_S1C_S1E_T6_T7_T9_mT8_S1G_bDpT10_ENKUlT_T0_E_clISt17integral_constantIbLb0EES1U_EEDaS1P_S1Q_EUlS1P_E_NS1_11comp_targetILNS1_3genE5ELNS1_11target_archE942ELNS1_3gpuE9ELNS1_3repE0EEENS1_30default_config_static_selectorELNS0_4arch9wavefront6targetE1EEEvS12_: ; @_ZN7rocprim17ROCPRIM_400000_NS6detail17trampoline_kernelINS0_13select_configILj256ELj13ELNS0_17block_load_methodE3ELS4_3ELS4_3ELNS0_20block_scan_algorithmE0ELj4294967295EEENS1_25partition_config_selectorILNS1_17partition_subalgoE4EjNS0_10empty_typeEbEEZZNS1_14partition_implILS8_4ELb0ES6_15HIP_vector_typeIjLj2EENS0_17counting_iteratorIjlEEPS9_SG_NS0_5tupleIJPjSI_NS0_16reverse_iteratorISI_EEEEENSH_IJSG_SG_SG_EEES9_SI_JZNS1_25segmented_radix_sort_implINS0_14default_configELb0EPKfPfPKlPlN2at6native12_GLOBAL__N_18offset_tEEE10hipError_tPvRmT1_PNSt15iterator_traitsIS12_E10value_typeET2_T3_PNS13_IS18_E10value_typeET4_jRbjT5_S1E_jjP12ihipStream_tbEUljE_ZNSN_ISO_Lb0ESQ_SR_ST_SU_SY_EESZ_S10_S11_S12_S16_S17_S18_S1B_S1C_jS1D_jS1E_S1E_jjS1G_bEUljE0_EEESZ_S10_S11_S18_S1C_S1E_T6_T7_T9_mT8_S1G_bDpT10_ENKUlT_T0_E_clISt17integral_constantIbLb0EES1U_EEDaS1P_S1Q_EUlS1P_E_NS1_11comp_targetILNS1_3genE5ELNS1_11target_archE942ELNS1_3gpuE9ELNS1_3repE0EEENS1_30default_config_static_selectorELNS0_4arch9wavefront6targetE1EEEvS12_
; %bb.0:
	.section	.rodata,"a",@progbits
	.p2align	6, 0x0
	.amdhsa_kernel _ZN7rocprim17ROCPRIM_400000_NS6detail17trampoline_kernelINS0_13select_configILj256ELj13ELNS0_17block_load_methodE3ELS4_3ELS4_3ELNS0_20block_scan_algorithmE0ELj4294967295EEENS1_25partition_config_selectorILNS1_17partition_subalgoE4EjNS0_10empty_typeEbEEZZNS1_14partition_implILS8_4ELb0ES6_15HIP_vector_typeIjLj2EENS0_17counting_iteratorIjlEEPS9_SG_NS0_5tupleIJPjSI_NS0_16reverse_iteratorISI_EEEEENSH_IJSG_SG_SG_EEES9_SI_JZNS1_25segmented_radix_sort_implINS0_14default_configELb0EPKfPfPKlPlN2at6native12_GLOBAL__N_18offset_tEEE10hipError_tPvRmT1_PNSt15iterator_traitsIS12_E10value_typeET2_T3_PNS13_IS18_E10value_typeET4_jRbjT5_S1E_jjP12ihipStream_tbEUljE_ZNSN_ISO_Lb0ESQ_SR_ST_SU_SY_EESZ_S10_S11_S12_S16_S17_S18_S1B_S1C_jS1D_jS1E_S1E_jjS1G_bEUljE0_EEESZ_S10_S11_S18_S1C_S1E_T6_T7_T9_mT8_S1G_bDpT10_ENKUlT_T0_E_clISt17integral_constantIbLb0EES1U_EEDaS1P_S1Q_EUlS1P_E_NS1_11comp_targetILNS1_3genE5ELNS1_11target_archE942ELNS1_3gpuE9ELNS1_3repE0EEENS1_30default_config_static_selectorELNS0_4arch9wavefront6targetE1EEEvS12_
		.amdhsa_group_segment_fixed_size 0
		.amdhsa_private_segment_fixed_size 0
		.amdhsa_kernarg_size 176
		.amdhsa_user_sgpr_count 6
		.amdhsa_user_sgpr_private_segment_buffer 1
		.amdhsa_user_sgpr_dispatch_ptr 0
		.amdhsa_user_sgpr_queue_ptr 0
		.amdhsa_user_sgpr_kernarg_segment_ptr 1
		.amdhsa_user_sgpr_dispatch_id 0
		.amdhsa_user_sgpr_flat_scratch_init 0
		.amdhsa_user_sgpr_private_segment_size 0
		.amdhsa_uses_dynamic_stack 0
		.amdhsa_system_sgpr_private_segment_wavefront_offset 0
		.amdhsa_system_sgpr_workgroup_id_x 1
		.amdhsa_system_sgpr_workgroup_id_y 0
		.amdhsa_system_sgpr_workgroup_id_z 0
		.amdhsa_system_sgpr_workgroup_info 0
		.amdhsa_system_vgpr_workitem_id 0
		.amdhsa_next_free_vgpr 1
		.amdhsa_next_free_sgpr 0
		.amdhsa_reserve_vcc 0
		.amdhsa_reserve_flat_scratch 0
		.amdhsa_float_round_mode_32 0
		.amdhsa_float_round_mode_16_64 0
		.amdhsa_float_denorm_mode_32 3
		.amdhsa_float_denorm_mode_16_64 3
		.amdhsa_dx10_clamp 1
		.amdhsa_ieee_mode 1
		.amdhsa_fp16_overflow 0
		.amdhsa_exception_fp_ieee_invalid_op 0
		.amdhsa_exception_fp_denorm_src 0
		.amdhsa_exception_fp_ieee_div_zero 0
		.amdhsa_exception_fp_ieee_overflow 0
		.amdhsa_exception_fp_ieee_underflow 0
		.amdhsa_exception_fp_ieee_inexact 0
		.amdhsa_exception_int_div_zero 0
	.end_amdhsa_kernel
	.section	.text._ZN7rocprim17ROCPRIM_400000_NS6detail17trampoline_kernelINS0_13select_configILj256ELj13ELNS0_17block_load_methodE3ELS4_3ELS4_3ELNS0_20block_scan_algorithmE0ELj4294967295EEENS1_25partition_config_selectorILNS1_17partition_subalgoE4EjNS0_10empty_typeEbEEZZNS1_14partition_implILS8_4ELb0ES6_15HIP_vector_typeIjLj2EENS0_17counting_iteratorIjlEEPS9_SG_NS0_5tupleIJPjSI_NS0_16reverse_iteratorISI_EEEEENSH_IJSG_SG_SG_EEES9_SI_JZNS1_25segmented_radix_sort_implINS0_14default_configELb0EPKfPfPKlPlN2at6native12_GLOBAL__N_18offset_tEEE10hipError_tPvRmT1_PNSt15iterator_traitsIS12_E10value_typeET2_T3_PNS13_IS18_E10value_typeET4_jRbjT5_S1E_jjP12ihipStream_tbEUljE_ZNSN_ISO_Lb0ESQ_SR_ST_SU_SY_EESZ_S10_S11_S12_S16_S17_S18_S1B_S1C_jS1D_jS1E_S1E_jjS1G_bEUljE0_EEESZ_S10_S11_S18_S1C_S1E_T6_T7_T9_mT8_S1G_bDpT10_ENKUlT_T0_E_clISt17integral_constantIbLb0EES1U_EEDaS1P_S1Q_EUlS1P_E_NS1_11comp_targetILNS1_3genE5ELNS1_11target_archE942ELNS1_3gpuE9ELNS1_3repE0EEENS1_30default_config_static_selectorELNS0_4arch9wavefront6targetE1EEEvS12_,"axG",@progbits,_ZN7rocprim17ROCPRIM_400000_NS6detail17trampoline_kernelINS0_13select_configILj256ELj13ELNS0_17block_load_methodE3ELS4_3ELS4_3ELNS0_20block_scan_algorithmE0ELj4294967295EEENS1_25partition_config_selectorILNS1_17partition_subalgoE4EjNS0_10empty_typeEbEEZZNS1_14partition_implILS8_4ELb0ES6_15HIP_vector_typeIjLj2EENS0_17counting_iteratorIjlEEPS9_SG_NS0_5tupleIJPjSI_NS0_16reverse_iteratorISI_EEEEENSH_IJSG_SG_SG_EEES9_SI_JZNS1_25segmented_radix_sort_implINS0_14default_configELb0EPKfPfPKlPlN2at6native12_GLOBAL__N_18offset_tEEE10hipError_tPvRmT1_PNSt15iterator_traitsIS12_E10value_typeET2_T3_PNS13_IS18_E10value_typeET4_jRbjT5_S1E_jjP12ihipStream_tbEUljE_ZNSN_ISO_Lb0ESQ_SR_ST_SU_SY_EESZ_S10_S11_S12_S16_S17_S18_S1B_S1C_jS1D_jS1E_S1E_jjS1G_bEUljE0_EEESZ_S10_S11_S18_S1C_S1E_T6_T7_T9_mT8_S1G_bDpT10_ENKUlT_T0_E_clISt17integral_constantIbLb0EES1U_EEDaS1P_S1Q_EUlS1P_E_NS1_11comp_targetILNS1_3genE5ELNS1_11target_archE942ELNS1_3gpuE9ELNS1_3repE0EEENS1_30default_config_static_selectorELNS0_4arch9wavefront6targetE1EEEvS12_,comdat
.Lfunc_end1365:
	.size	_ZN7rocprim17ROCPRIM_400000_NS6detail17trampoline_kernelINS0_13select_configILj256ELj13ELNS0_17block_load_methodE3ELS4_3ELS4_3ELNS0_20block_scan_algorithmE0ELj4294967295EEENS1_25partition_config_selectorILNS1_17partition_subalgoE4EjNS0_10empty_typeEbEEZZNS1_14partition_implILS8_4ELb0ES6_15HIP_vector_typeIjLj2EENS0_17counting_iteratorIjlEEPS9_SG_NS0_5tupleIJPjSI_NS0_16reverse_iteratorISI_EEEEENSH_IJSG_SG_SG_EEES9_SI_JZNS1_25segmented_radix_sort_implINS0_14default_configELb0EPKfPfPKlPlN2at6native12_GLOBAL__N_18offset_tEEE10hipError_tPvRmT1_PNSt15iterator_traitsIS12_E10value_typeET2_T3_PNS13_IS18_E10value_typeET4_jRbjT5_S1E_jjP12ihipStream_tbEUljE_ZNSN_ISO_Lb0ESQ_SR_ST_SU_SY_EESZ_S10_S11_S12_S16_S17_S18_S1B_S1C_jS1D_jS1E_S1E_jjS1G_bEUljE0_EEESZ_S10_S11_S18_S1C_S1E_T6_T7_T9_mT8_S1G_bDpT10_ENKUlT_T0_E_clISt17integral_constantIbLb0EES1U_EEDaS1P_S1Q_EUlS1P_E_NS1_11comp_targetILNS1_3genE5ELNS1_11target_archE942ELNS1_3gpuE9ELNS1_3repE0EEENS1_30default_config_static_selectorELNS0_4arch9wavefront6targetE1EEEvS12_, .Lfunc_end1365-_ZN7rocprim17ROCPRIM_400000_NS6detail17trampoline_kernelINS0_13select_configILj256ELj13ELNS0_17block_load_methodE3ELS4_3ELS4_3ELNS0_20block_scan_algorithmE0ELj4294967295EEENS1_25partition_config_selectorILNS1_17partition_subalgoE4EjNS0_10empty_typeEbEEZZNS1_14partition_implILS8_4ELb0ES6_15HIP_vector_typeIjLj2EENS0_17counting_iteratorIjlEEPS9_SG_NS0_5tupleIJPjSI_NS0_16reverse_iteratorISI_EEEEENSH_IJSG_SG_SG_EEES9_SI_JZNS1_25segmented_radix_sort_implINS0_14default_configELb0EPKfPfPKlPlN2at6native12_GLOBAL__N_18offset_tEEE10hipError_tPvRmT1_PNSt15iterator_traitsIS12_E10value_typeET2_T3_PNS13_IS18_E10value_typeET4_jRbjT5_S1E_jjP12ihipStream_tbEUljE_ZNSN_ISO_Lb0ESQ_SR_ST_SU_SY_EESZ_S10_S11_S12_S16_S17_S18_S1B_S1C_jS1D_jS1E_S1E_jjS1G_bEUljE0_EEESZ_S10_S11_S18_S1C_S1E_T6_T7_T9_mT8_S1G_bDpT10_ENKUlT_T0_E_clISt17integral_constantIbLb0EES1U_EEDaS1P_S1Q_EUlS1P_E_NS1_11comp_targetILNS1_3genE5ELNS1_11target_archE942ELNS1_3gpuE9ELNS1_3repE0EEENS1_30default_config_static_selectorELNS0_4arch9wavefront6targetE1EEEvS12_
                                        ; -- End function
	.set _ZN7rocprim17ROCPRIM_400000_NS6detail17trampoline_kernelINS0_13select_configILj256ELj13ELNS0_17block_load_methodE3ELS4_3ELS4_3ELNS0_20block_scan_algorithmE0ELj4294967295EEENS1_25partition_config_selectorILNS1_17partition_subalgoE4EjNS0_10empty_typeEbEEZZNS1_14partition_implILS8_4ELb0ES6_15HIP_vector_typeIjLj2EENS0_17counting_iteratorIjlEEPS9_SG_NS0_5tupleIJPjSI_NS0_16reverse_iteratorISI_EEEEENSH_IJSG_SG_SG_EEES9_SI_JZNS1_25segmented_radix_sort_implINS0_14default_configELb0EPKfPfPKlPlN2at6native12_GLOBAL__N_18offset_tEEE10hipError_tPvRmT1_PNSt15iterator_traitsIS12_E10value_typeET2_T3_PNS13_IS18_E10value_typeET4_jRbjT5_S1E_jjP12ihipStream_tbEUljE_ZNSN_ISO_Lb0ESQ_SR_ST_SU_SY_EESZ_S10_S11_S12_S16_S17_S18_S1B_S1C_jS1D_jS1E_S1E_jjS1G_bEUljE0_EEESZ_S10_S11_S18_S1C_S1E_T6_T7_T9_mT8_S1G_bDpT10_ENKUlT_T0_E_clISt17integral_constantIbLb0EES1U_EEDaS1P_S1Q_EUlS1P_E_NS1_11comp_targetILNS1_3genE5ELNS1_11target_archE942ELNS1_3gpuE9ELNS1_3repE0EEENS1_30default_config_static_selectorELNS0_4arch9wavefront6targetE1EEEvS12_.num_vgpr, 0
	.set _ZN7rocprim17ROCPRIM_400000_NS6detail17trampoline_kernelINS0_13select_configILj256ELj13ELNS0_17block_load_methodE3ELS4_3ELS4_3ELNS0_20block_scan_algorithmE0ELj4294967295EEENS1_25partition_config_selectorILNS1_17partition_subalgoE4EjNS0_10empty_typeEbEEZZNS1_14partition_implILS8_4ELb0ES6_15HIP_vector_typeIjLj2EENS0_17counting_iteratorIjlEEPS9_SG_NS0_5tupleIJPjSI_NS0_16reverse_iteratorISI_EEEEENSH_IJSG_SG_SG_EEES9_SI_JZNS1_25segmented_radix_sort_implINS0_14default_configELb0EPKfPfPKlPlN2at6native12_GLOBAL__N_18offset_tEEE10hipError_tPvRmT1_PNSt15iterator_traitsIS12_E10value_typeET2_T3_PNS13_IS18_E10value_typeET4_jRbjT5_S1E_jjP12ihipStream_tbEUljE_ZNSN_ISO_Lb0ESQ_SR_ST_SU_SY_EESZ_S10_S11_S12_S16_S17_S18_S1B_S1C_jS1D_jS1E_S1E_jjS1G_bEUljE0_EEESZ_S10_S11_S18_S1C_S1E_T6_T7_T9_mT8_S1G_bDpT10_ENKUlT_T0_E_clISt17integral_constantIbLb0EES1U_EEDaS1P_S1Q_EUlS1P_E_NS1_11comp_targetILNS1_3genE5ELNS1_11target_archE942ELNS1_3gpuE9ELNS1_3repE0EEENS1_30default_config_static_selectorELNS0_4arch9wavefront6targetE1EEEvS12_.num_agpr, 0
	.set _ZN7rocprim17ROCPRIM_400000_NS6detail17trampoline_kernelINS0_13select_configILj256ELj13ELNS0_17block_load_methodE3ELS4_3ELS4_3ELNS0_20block_scan_algorithmE0ELj4294967295EEENS1_25partition_config_selectorILNS1_17partition_subalgoE4EjNS0_10empty_typeEbEEZZNS1_14partition_implILS8_4ELb0ES6_15HIP_vector_typeIjLj2EENS0_17counting_iteratorIjlEEPS9_SG_NS0_5tupleIJPjSI_NS0_16reverse_iteratorISI_EEEEENSH_IJSG_SG_SG_EEES9_SI_JZNS1_25segmented_radix_sort_implINS0_14default_configELb0EPKfPfPKlPlN2at6native12_GLOBAL__N_18offset_tEEE10hipError_tPvRmT1_PNSt15iterator_traitsIS12_E10value_typeET2_T3_PNS13_IS18_E10value_typeET4_jRbjT5_S1E_jjP12ihipStream_tbEUljE_ZNSN_ISO_Lb0ESQ_SR_ST_SU_SY_EESZ_S10_S11_S12_S16_S17_S18_S1B_S1C_jS1D_jS1E_S1E_jjS1G_bEUljE0_EEESZ_S10_S11_S18_S1C_S1E_T6_T7_T9_mT8_S1G_bDpT10_ENKUlT_T0_E_clISt17integral_constantIbLb0EES1U_EEDaS1P_S1Q_EUlS1P_E_NS1_11comp_targetILNS1_3genE5ELNS1_11target_archE942ELNS1_3gpuE9ELNS1_3repE0EEENS1_30default_config_static_selectorELNS0_4arch9wavefront6targetE1EEEvS12_.numbered_sgpr, 0
	.set _ZN7rocprim17ROCPRIM_400000_NS6detail17trampoline_kernelINS0_13select_configILj256ELj13ELNS0_17block_load_methodE3ELS4_3ELS4_3ELNS0_20block_scan_algorithmE0ELj4294967295EEENS1_25partition_config_selectorILNS1_17partition_subalgoE4EjNS0_10empty_typeEbEEZZNS1_14partition_implILS8_4ELb0ES6_15HIP_vector_typeIjLj2EENS0_17counting_iteratorIjlEEPS9_SG_NS0_5tupleIJPjSI_NS0_16reverse_iteratorISI_EEEEENSH_IJSG_SG_SG_EEES9_SI_JZNS1_25segmented_radix_sort_implINS0_14default_configELb0EPKfPfPKlPlN2at6native12_GLOBAL__N_18offset_tEEE10hipError_tPvRmT1_PNSt15iterator_traitsIS12_E10value_typeET2_T3_PNS13_IS18_E10value_typeET4_jRbjT5_S1E_jjP12ihipStream_tbEUljE_ZNSN_ISO_Lb0ESQ_SR_ST_SU_SY_EESZ_S10_S11_S12_S16_S17_S18_S1B_S1C_jS1D_jS1E_S1E_jjS1G_bEUljE0_EEESZ_S10_S11_S18_S1C_S1E_T6_T7_T9_mT8_S1G_bDpT10_ENKUlT_T0_E_clISt17integral_constantIbLb0EES1U_EEDaS1P_S1Q_EUlS1P_E_NS1_11comp_targetILNS1_3genE5ELNS1_11target_archE942ELNS1_3gpuE9ELNS1_3repE0EEENS1_30default_config_static_selectorELNS0_4arch9wavefront6targetE1EEEvS12_.num_named_barrier, 0
	.set _ZN7rocprim17ROCPRIM_400000_NS6detail17trampoline_kernelINS0_13select_configILj256ELj13ELNS0_17block_load_methodE3ELS4_3ELS4_3ELNS0_20block_scan_algorithmE0ELj4294967295EEENS1_25partition_config_selectorILNS1_17partition_subalgoE4EjNS0_10empty_typeEbEEZZNS1_14partition_implILS8_4ELb0ES6_15HIP_vector_typeIjLj2EENS0_17counting_iteratorIjlEEPS9_SG_NS0_5tupleIJPjSI_NS0_16reverse_iteratorISI_EEEEENSH_IJSG_SG_SG_EEES9_SI_JZNS1_25segmented_radix_sort_implINS0_14default_configELb0EPKfPfPKlPlN2at6native12_GLOBAL__N_18offset_tEEE10hipError_tPvRmT1_PNSt15iterator_traitsIS12_E10value_typeET2_T3_PNS13_IS18_E10value_typeET4_jRbjT5_S1E_jjP12ihipStream_tbEUljE_ZNSN_ISO_Lb0ESQ_SR_ST_SU_SY_EESZ_S10_S11_S12_S16_S17_S18_S1B_S1C_jS1D_jS1E_S1E_jjS1G_bEUljE0_EEESZ_S10_S11_S18_S1C_S1E_T6_T7_T9_mT8_S1G_bDpT10_ENKUlT_T0_E_clISt17integral_constantIbLb0EES1U_EEDaS1P_S1Q_EUlS1P_E_NS1_11comp_targetILNS1_3genE5ELNS1_11target_archE942ELNS1_3gpuE9ELNS1_3repE0EEENS1_30default_config_static_selectorELNS0_4arch9wavefront6targetE1EEEvS12_.private_seg_size, 0
	.set _ZN7rocprim17ROCPRIM_400000_NS6detail17trampoline_kernelINS0_13select_configILj256ELj13ELNS0_17block_load_methodE3ELS4_3ELS4_3ELNS0_20block_scan_algorithmE0ELj4294967295EEENS1_25partition_config_selectorILNS1_17partition_subalgoE4EjNS0_10empty_typeEbEEZZNS1_14partition_implILS8_4ELb0ES6_15HIP_vector_typeIjLj2EENS0_17counting_iteratorIjlEEPS9_SG_NS0_5tupleIJPjSI_NS0_16reverse_iteratorISI_EEEEENSH_IJSG_SG_SG_EEES9_SI_JZNS1_25segmented_radix_sort_implINS0_14default_configELb0EPKfPfPKlPlN2at6native12_GLOBAL__N_18offset_tEEE10hipError_tPvRmT1_PNSt15iterator_traitsIS12_E10value_typeET2_T3_PNS13_IS18_E10value_typeET4_jRbjT5_S1E_jjP12ihipStream_tbEUljE_ZNSN_ISO_Lb0ESQ_SR_ST_SU_SY_EESZ_S10_S11_S12_S16_S17_S18_S1B_S1C_jS1D_jS1E_S1E_jjS1G_bEUljE0_EEESZ_S10_S11_S18_S1C_S1E_T6_T7_T9_mT8_S1G_bDpT10_ENKUlT_T0_E_clISt17integral_constantIbLb0EES1U_EEDaS1P_S1Q_EUlS1P_E_NS1_11comp_targetILNS1_3genE5ELNS1_11target_archE942ELNS1_3gpuE9ELNS1_3repE0EEENS1_30default_config_static_selectorELNS0_4arch9wavefront6targetE1EEEvS12_.uses_vcc, 0
	.set _ZN7rocprim17ROCPRIM_400000_NS6detail17trampoline_kernelINS0_13select_configILj256ELj13ELNS0_17block_load_methodE3ELS4_3ELS4_3ELNS0_20block_scan_algorithmE0ELj4294967295EEENS1_25partition_config_selectorILNS1_17partition_subalgoE4EjNS0_10empty_typeEbEEZZNS1_14partition_implILS8_4ELb0ES6_15HIP_vector_typeIjLj2EENS0_17counting_iteratorIjlEEPS9_SG_NS0_5tupleIJPjSI_NS0_16reverse_iteratorISI_EEEEENSH_IJSG_SG_SG_EEES9_SI_JZNS1_25segmented_radix_sort_implINS0_14default_configELb0EPKfPfPKlPlN2at6native12_GLOBAL__N_18offset_tEEE10hipError_tPvRmT1_PNSt15iterator_traitsIS12_E10value_typeET2_T3_PNS13_IS18_E10value_typeET4_jRbjT5_S1E_jjP12ihipStream_tbEUljE_ZNSN_ISO_Lb0ESQ_SR_ST_SU_SY_EESZ_S10_S11_S12_S16_S17_S18_S1B_S1C_jS1D_jS1E_S1E_jjS1G_bEUljE0_EEESZ_S10_S11_S18_S1C_S1E_T6_T7_T9_mT8_S1G_bDpT10_ENKUlT_T0_E_clISt17integral_constantIbLb0EES1U_EEDaS1P_S1Q_EUlS1P_E_NS1_11comp_targetILNS1_3genE5ELNS1_11target_archE942ELNS1_3gpuE9ELNS1_3repE0EEENS1_30default_config_static_selectorELNS0_4arch9wavefront6targetE1EEEvS12_.uses_flat_scratch, 0
	.set _ZN7rocprim17ROCPRIM_400000_NS6detail17trampoline_kernelINS0_13select_configILj256ELj13ELNS0_17block_load_methodE3ELS4_3ELS4_3ELNS0_20block_scan_algorithmE0ELj4294967295EEENS1_25partition_config_selectorILNS1_17partition_subalgoE4EjNS0_10empty_typeEbEEZZNS1_14partition_implILS8_4ELb0ES6_15HIP_vector_typeIjLj2EENS0_17counting_iteratorIjlEEPS9_SG_NS0_5tupleIJPjSI_NS0_16reverse_iteratorISI_EEEEENSH_IJSG_SG_SG_EEES9_SI_JZNS1_25segmented_radix_sort_implINS0_14default_configELb0EPKfPfPKlPlN2at6native12_GLOBAL__N_18offset_tEEE10hipError_tPvRmT1_PNSt15iterator_traitsIS12_E10value_typeET2_T3_PNS13_IS18_E10value_typeET4_jRbjT5_S1E_jjP12ihipStream_tbEUljE_ZNSN_ISO_Lb0ESQ_SR_ST_SU_SY_EESZ_S10_S11_S12_S16_S17_S18_S1B_S1C_jS1D_jS1E_S1E_jjS1G_bEUljE0_EEESZ_S10_S11_S18_S1C_S1E_T6_T7_T9_mT8_S1G_bDpT10_ENKUlT_T0_E_clISt17integral_constantIbLb0EES1U_EEDaS1P_S1Q_EUlS1P_E_NS1_11comp_targetILNS1_3genE5ELNS1_11target_archE942ELNS1_3gpuE9ELNS1_3repE0EEENS1_30default_config_static_selectorELNS0_4arch9wavefront6targetE1EEEvS12_.has_dyn_sized_stack, 0
	.set _ZN7rocprim17ROCPRIM_400000_NS6detail17trampoline_kernelINS0_13select_configILj256ELj13ELNS0_17block_load_methodE3ELS4_3ELS4_3ELNS0_20block_scan_algorithmE0ELj4294967295EEENS1_25partition_config_selectorILNS1_17partition_subalgoE4EjNS0_10empty_typeEbEEZZNS1_14partition_implILS8_4ELb0ES6_15HIP_vector_typeIjLj2EENS0_17counting_iteratorIjlEEPS9_SG_NS0_5tupleIJPjSI_NS0_16reverse_iteratorISI_EEEEENSH_IJSG_SG_SG_EEES9_SI_JZNS1_25segmented_radix_sort_implINS0_14default_configELb0EPKfPfPKlPlN2at6native12_GLOBAL__N_18offset_tEEE10hipError_tPvRmT1_PNSt15iterator_traitsIS12_E10value_typeET2_T3_PNS13_IS18_E10value_typeET4_jRbjT5_S1E_jjP12ihipStream_tbEUljE_ZNSN_ISO_Lb0ESQ_SR_ST_SU_SY_EESZ_S10_S11_S12_S16_S17_S18_S1B_S1C_jS1D_jS1E_S1E_jjS1G_bEUljE0_EEESZ_S10_S11_S18_S1C_S1E_T6_T7_T9_mT8_S1G_bDpT10_ENKUlT_T0_E_clISt17integral_constantIbLb0EES1U_EEDaS1P_S1Q_EUlS1P_E_NS1_11comp_targetILNS1_3genE5ELNS1_11target_archE942ELNS1_3gpuE9ELNS1_3repE0EEENS1_30default_config_static_selectorELNS0_4arch9wavefront6targetE1EEEvS12_.has_recursion, 0
	.set _ZN7rocprim17ROCPRIM_400000_NS6detail17trampoline_kernelINS0_13select_configILj256ELj13ELNS0_17block_load_methodE3ELS4_3ELS4_3ELNS0_20block_scan_algorithmE0ELj4294967295EEENS1_25partition_config_selectorILNS1_17partition_subalgoE4EjNS0_10empty_typeEbEEZZNS1_14partition_implILS8_4ELb0ES6_15HIP_vector_typeIjLj2EENS0_17counting_iteratorIjlEEPS9_SG_NS0_5tupleIJPjSI_NS0_16reverse_iteratorISI_EEEEENSH_IJSG_SG_SG_EEES9_SI_JZNS1_25segmented_radix_sort_implINS0_14default_configELb0EPKfPfPKlPlN2at6native12_GLOBAL__N_18offset_tEEE10hipError_tPvRmT1_PNSt15iterator_traitsIS12_E10value_typeET2_T3_PNS13_IS18_E10value_typeET4_jRbjT5_S1E_jjP12ihipStream_tbEUljE_ZNSN_ISO_Lb0ESQ_SR_ST_SU_SY_EESZ_S10_S11_S12_S16_S17_S18_S1B_S1C_jS1D_jS1E_S1E_jjS1G_bEUljE0_EEESZ_S10_S11_S18_S1C_S1E_T6_T7_T9_mT8_S1G_bDpT10_ENKUlT_T0_E_clISt17integral_constantIbLb0EES1U_EEDaS1P_S1Q_EUlS1P_E_NS1_11comp_targetILNS1_3genE5ELNS1_11target_archE942ELNS1_3gpuE9ELNS1_3repE0EEENS1_30default_config_static_selectorELNS0_4arch9wavefront6targetE1EEEvS12_.has_indirect_call, 0
	.section	.AMDGPU.csdata,"",@progbits
; Kernel info:
; codeLenInByte = 0
; TotalNumSgprs: 4
; NumVgprs: 0
; ScratchSize: 0
; MemoryBound: 0
; FloatMode: 240
; IeeeMode: 1
; LDSByteSize: 0 bytes/workgroup (compile time only)
; SGPRBlocks: 0
; VGPRBlocks: 0
; NumSGPRsForWavesPerEU: 4
; NumVGPRsForWavesPerEU: 1
; Occupancy: 10
; WaveLimiterHint : 0
; COMPUTE_PGM_RSRC2:SCRATCH_EN: 0
; COMPUTE_PGM_RSRC2:USER_SGPR: 6
; COMPUTE_PGM_RSRC2:TRAP_HANDLER: 0
; COMPUTE_PGM_RSRC2:TGID_X_EN: 1
; COMPUTE_PGM_RSRC2:TGID_Y_EN: 0
; COMPUTE_PGM_RSRC2:TGID_Z_EN: 0
; COMPUTE_PGM_RSRC2:TIDIG_COMP_CNT: 0
	.section	.text._ZN7rocprim17ROCPRIM_400000_NS6detail17trampoline_kernelINS0_13select_configILj256ELj13ELNS0_17block_load_methodE3ELS4_3ELS4_3ELNS0_20block_scan_algorithmE0ELj4294967295EEENS1_25partition_config_selectorILNS1_17partition_subalgoE4EjNS0_10empty_typeEbEEZZNS1_14partition_implILS8_4ELb0ES6_15HIP_vector_typeIjLj2EENS0_17counting_iteratorIjlEEPS9_SG_NS0_5tupleIJPjSI_NS0_16reverse_iteratorISI_EEEEENSH_IJSG_SG_SG_EEES9_SI_JZNS1_25segmented_radix_sort_implINS0_14default_configELb0EPKfPfPKlPlN2at6native12_GLOBAL__N_18offset_tEEE10hipError_tPvRmT1_PNSt15iterator_traitsIS12_E10value_typeET2_T3_PNS13_IS18_E10value_typeET4_jRbjT5_S1E_jjP12ihipStream_tbEUljE_ZNSN_ISO_Lb0ESQ_SR_ST_SU_SY_EESZ_S10_S11_S12_S16_S17_S18_S1B_S1C_jS1D_jS1E_S1E_jjS1G_bEUljE0_EEESZ_S10_S11_S18_S1C_S1E_T6_T7_T9_mT8_S1G_bDpT10_ENKUlT_T0_E_clISt17integral_constantIbLb0EES1U_EEDaS1P_S1Q_EUlS1P_E_NS1_11comp_targetILNS1_3genE4ELNS1_11target_archE910ELNS1_3gpuE8ELNS1_3repE0EEENS1_30default_config_static_selectorELNS0_4arch9wavefront6targetE1EEEvS12_,"axG",@progbits,_ZN7rocprim17ROCPRIM_400000_NS6detail17trampoline_kernelINS0_13select_configILj256ELj13ELNS0_17block_load_methodE3ELS4_3ELS4_3ELNS0_20block_scan_algorithmE0ELj4294967295EEENS1_25partition_config_selectorILNS1_17partition_subalgoE4EjNS0_10empty_typeEbEEZZNS1_14partition_implILS8_4ELb0ES6_15HIP_vector_typeIjLj2EENS0_17counting_iteratorIjlEEPS9_SG_NS0_5tupleIJPjSI_NS0_16reverse_iteratorISI_EEEEENSH_IJSG_SG_SG_EEES9_SI_JZNS1_25segmented_radix_sort_implINS0_14default_configELb0EPKfPfPKlPlN2at6native12_GLOBAL__N_18offset_tEEE10hipError_tPvRmT1_PNSt15iterator_traitsIS12_E10value_typeET2_T3_PNS13_IS18_E10value_typeET4_jRbjT5_S1E_jjP12ihipStream_tbEUljE_ZNSN_ISO_Lb0ESQ_SR_ST_SU_SY_EESZ_S10_S11_S12_S16_S17_S18_S1B_S1C_jS1D_jS1E_S1E_jjS1G_bEUljE0_EEESZ_S10_S11_S18_S1C_S1E_T6_T7_T9_mT8_S1G_bDpT10_ENKUlT_T0_E_clISt17integral_constantIbLb0EES1U_EEDaS1P_S1Q_EUlS1P_E_NS1_11comp_targetILNS1_3genE4ELNS1_11target_archE910ELNS1_3gpuE8ELNS1_3repE0EEENS1_30default_config_static_selectorELNS0_4arch9wavefront6targetE1EEEvS12_,comdat
	.globl	_ZN7rocprim17ROCPRIM_400000_NS6detail17trampoline_kernelINS0_13select_configILj256ELj13ELNS0_17block_load_methodE3ELS4_3ELS4_3ELNS0_20block_scan_algorithmE0ELj4294967295EEENS1_25partition_config_selectorILNS1_17partition_subalgoE4EjNS0_10empty_typeEbEEZZNS1_14partition_implILS8_4ELb0ES6_15HIP_vector_typeIjLj2EENS0_17counting_iteratorIjlEEPS9_SG_NS0_5tupleIJPjSI_NS0_16reverse_iteratorISI_EEEEENSH_IJSG_SG_SG_EEES9_SI_JZNS1_25segmented_radix_sort_implINS0_14default_configELb0EPKfPfPKlPlN2at6native12_GLOBAL__N_18offset_tEEE10hipError_tPvRmT1_PNSt15iterator_traitsIS12_E10value_typeET2_T3_PNS13_IS18_E10value_typeET4_jRbjT5_S1E_jjP12ihipStream_tbEUljE_ZNSN_ISO_Lb0ESQ_SR_ST_SU_SY_EESZ_S10_S11_S12_S16_S17_S18_S1B_S1C_jS1D_jS1E_S1E_jjS1G_bEUljE0_EEESZ_S10_S11_S18_S1C_S1E_T6_T7_T9_mT8_S1G_bDpT10_ENKUlT_T0_E_clISt17integral_constantIbLb0EES1U_EEDaS1P_S1Q_EUlS1P_E_NS1_11comp_targetILNS1_3genE4ELNS1_11target_archE910ELNS1_3gpuE8ELNS1_3repE0EEENS1_30default_config_static_selectorELNS0_4arch9wavefront6targetE1EEEvS12_ ; -- Begin function _ZN7rocprim17ROCPRIM_400000_NS6detail17trampoline_kernelINS0_13select_configILj256ELj13ELNS0_17block_load_methodE3ELS4_3ELS4_3ELNS0_20block_scan_algorithmE0ELj4294967295EEENS1_25partition_config_selectorILNS1_17partition_subalgoE4EjNS0_10empty_typeEbEEZZNS1_14partition_implILS8_4ELb0ES6_15HIP_vector_typeIjLj2EENS0_17counting_iteratorIjlEEPS9_SG_NS0_5tupleIJPjSI_NS0_16reverse_iteratorISI_EEEEENSH_IJSG_SG_SG_EEES9_SI_JZNS1_25segmented_radix_sort_implINS0_14default_configELb0EPKfPfPKlPlN2at6native12_GLOBAL__N_18offset_tEEE10hipError_tPvRmT1_PNSt15iterator_traitsIS12_E10value_typeET2_T3_PNS13_IS18_E10value_typeET4_jRbjT5_S1E_jjP12ihipStream_tbEUljE_ZNSN_ISO_Lb0ESQ_SR_ST_SU_SY_EESZ_S10_S11_S12_S16_S17_S18_S1B_S1C_jS1D_jS1E_S1E_jjS1G_bEUljE0_EEESZ_S10_S11_S18_S1C_S1E_T6_T7_T9_mT8_S1G_bDpT10_ENKUlT_T0_E_clISt17integral_constantIbLb0EES1U_EEDaS1P_S1Q_EUlS1P_E_NS1_11comp_targetILNS1_3genE4ELNS1_11target_archE910ELNS1_3gpuE8ELNS1_3repE0EEENS1_30default_config_static_selectorELNS0_4arch9wavefront6targetE1EEEvS12_
	.p2align	8
	.type	_ZN7rocprim17ROCPRIM_400000_NS6detail17trampoline_kernelINS0_13select_configILj256ELj13ELNS0_17block_load_methodE3ELS4_3ELS4_3ELNS0_20block_scan_algorithmE0ELj4294967295EEENS1_25partition_config_selectorILNS1_17partition_subalgoE4EjNS0_10empty_typeEbEEZZNS1_14partition_implILS8_4ELb0ES6_15HIP_vector_typeIjLj2EENS0_17counting_iteratorIjlEEPS9_SG_NS0_5tupleIJPjSI_NS0_16reverse_iteratorISI_EEEEENSH_IJSG_SG_SG_EEES9_SI_JZNS1_25segmented_radix_sort_implINS0_14default_configELb0EPKfPfPKlPlN2at6native12_GLOBAL__N_18offset_tEEE10hipError_tPvRmT1_PNSt15iterator_traitsIS12_E10value_typeET2_T3_PNS13_IS18_E10value_typeET4_jRbjT5_S1E_jjP12ihipStream_tbEUljE_ZNSN_ISO_Lb0ESQ_SR_ST_SU_SY_EESZ_S10_S11_S12_S16_S17_S18_S1B_S1C_jS1D_jS1E_S1E_jjS1G_bEUljE0_EEESZ_S10_S11_S18_S1C_S1E_T6_T7_T9_mT8_S1G_bDpT10_ENKUlT_T0_E_clISt17integral_constantIbLb0EES1U_EEDaS1P_S1Q_EUlS1P_E_NS1_11comp_targetILNS1_3genE4ELNS1_11target_archE910ELNS1_3gpuE8ELNS1_3repE0EEENS1_30default_config_static_selectorELNS0_4arch9wavefront6targetE1EEEvS12_,@function
_ZN7rocprim17ROCPRIM_400000_NS6detail17trampoline_kernelINS0_13select_configILj256ELj13ELNS0_17block_load_methodE3ELS4_3ELS4_3ELNS0_20block_scan_algorithmE0ELj4294967295EEENS1_25partition_config_selectorILNS1_17partition_subalgoE4EjNS0_10empty_typeEbEEZZNS1_14partition_implILS8_4ELb0ES6_15HIP_vector_typeIjLj2EENS0_17counting_iteratorIjlEEPS9_SG_NS0_5tupleIJPjSI_NS0_16reverse_iteratorISI_EEEEENSH_IJSG_SG_SG_EEES9_SI_JZNS1_25segmented_radix_sort_implINS0_14default_configELb0EPKfPfPKlPlN2at6native12_GLOBAL__N_18offset_tEEE10hipError_tPvRmT1_PNSt15iterator_traitsIS12_E10value_typeET2_T3_PNS13_IS18_E10value_typeET4_jRbjT5_S1E_jjP12ihipStream_tbEUljE_ZNSN_ISO_Lb0ESQ_SR_ST_SU_SY_EESZ_S10_S11_S12_S16_S17_S18_S1B_S1C_jS1D_jS1E_S1E_jjS1G_bEUljE0_EEESZ_S10_S11_S18_S1C_S1E_T6_T7_T9_mT8_S1G_bDpT10_ENKUlT_T0_E_clISt17integral_constantIbLb0EES1U_EEDaS1P_S1Q_EUlS1P_E_NS1_11comp_targetILNS1_3genE4ELNS1_11target_archE910ELNS1_3gpuE8ELNS1_3repE0EEENS1_30default_config_static_selectorELNS0_4arch9wavefront6targetE1EEEvS12_: ; @_ZN7rocprim17ROCPRIM_400000_NS6detail17trampoline_kernelINS0_13select_configILj256ELj13ELNS0_17block_load_methodE3ELS4_3ELS4_3ELNS0_20block_scan_algorithmE0ELj4294967295EEENS1_25partition_config_selectorILNS1_17partition_subalgoE4EjNS0_10empty_typeEbEEZZNS1_14partition_implILS8_4ELb0ES6_15HIP_vector_typeIjLj2EENS0_17counting_iteratorIjlEEPS9_SG_NS0_5tupleIJPjSI_NS0_16reverse_iteratorISI_EEEEENSH_IJSG_SG_SG_EEES9_SI_JZNS1_25segmented_radix_sort_implINS0_14default_configELb0EPKfPfPKlPlN2at6native12_GLOBAL__N_18offset_tEEE10hipError_tPvRmT1_PNSt15iterator_traitsIS12_E10value_typeET2_T3_PNS13_IS18_E10value_typeET4_jRbjT5_S1E_jjP12ihipStream_tbEUljE_ZNSN_ISO_Lb0ESQ_SR_ST_SU_SY_EESZ_S10_S11_S12_S16_S17_S18_S1B_S1C_jS1D_jS1E_S1E_jjS1G_bEUljE0_EEESZ_S10_S11_S18_S1C_S1E_T6_T7_T9_mT8_S1G_bDpT10_ENKUlT_T0_E_clISt17integral_constantIbLb0EES1U_EEDaS1P_S1Q_EUlS1P_E_NS1_11comp_targetILNS1_3genE4ELNS1_11target_archE910ELNS1_3gpuE8ELNS1_3repE0EEENS1_30default_config_static_selectorELNS0_4arch9wavefront6targetE1EEEvS12_
; %bb.0:
	.section	.rodata,"a",@progbits
	.p2align	6, 0x0
	.amdhsa_kernel _ZN7rocprim17ROCPRIM_400000_NS6detail17trampoline_kernelINS0_13select_configILj256ELj13ELNS0_17block_load_methodE3ELS4_3ELS4_3ELNS0_20block_scan_algorithmE0ELj4294967295EEENS1_25partition_config_selectorILNS1_17partition_subalgoE4EjNS0_10empty_typeEbEEZZNS1_14partition_implILS8_4ELb0ES6_15HIP_vector_typeIjLj2EENS0_17counting_iteratorIjlEEPS9_SG_NS0_5tupleIJPjSI_NS0_16reverse_iteratorISI_EEEEENSH_IJSG_SG_SG_EEES9_SI_JZNS1_25segmented_radix_sort_implINS0_14default_configELb0EPKfPfPKlPlN2at6native12_GLOBAL__N_18offset_tEEE10hipError_tPvRmT1_PNSt15iterator_traitsIS12_E10value_typeET2_T3_PNS13_IS18_E10value_typeET4_jRbjT5_S1E_jjP12ihipStream_tbEUljE_ZNSN_ISO_Lb0ESQ_SR_ST_SU_SY_EESZ_S10_S11_S12_S16_S17_S18_S1B_S1C_jS1D_jS1E_S1E_jjS1G_bEUljE0_EEESZ_S10_S11_S18_S1C_S1E_T6_T7_T9_mT8_S1G_bDpT10_ENKUlT_T0_E_clISt17integral_constantIbLb0EES1U_EEDaS1P_S1Q_EUlS1P_E_NS1_11comp_targetILNS1_3genE4ELNS1_11target_archE910ELNS1_3gpuE8ELNS1_3repE0EEENS1_30default_config_static_selectorELNS0_4arch9wavefront6targetE1EEEvS12_
		.amdhsa_group_segment_fixed_size 0
		.amdhsa_private_segment_fixed_size 0
		.amdhsa_kernarg_size 176
		.amdhsa_user_sgpr_count 6
		.amdhsa_user_sgpr_private_segment_buffer 1
		.amdhsa_user_sgpr_dispatch_ptr 0
		.amdhsa_user_sgpr_queue_ptr 0
		.amdhsa_user_sgpr_kernarg_segment_ptr 1
		.amdhsa_user_sgpr_dispatch_id 0
		.amdhsa_user_sgpr_flat_scratch_init 0
		.amdhsa_user_sgpr_private_segment_size 0
		.amdhsa_uses_dynamic_stack 0
		.amdhsa_system_sgpr_private_segment_wavefront_offset 0
		.amdhsa_system_sgpr_workgroup_id_x 1
		.amdhsa_system_sgpr_workgroup_id_y 0
		.amdhsa_system_sgpr_workgroup_id_z 0
		.amdhsa_system_sgpr_workgroup_info 0
		.amdhsa_system_vgpr_workitem_id 0
		.amdhsa_next_free_vgpr 1
		.amdhsa_next_free_sgpr 0
		.amdhsa_reserve_vcc 0
		.amdhsa_reserve_flat_scratch 0
		.amdhsa_float_round_mode_32 0
		.amdhsa_float_round_mode_16_64 0
		.amdhsa_float_denorm_mode_32 3
		.amdhsa_float_denorm_mode_16_64 3
		.amdhsa_dx10_clamp 1
		.amdhsa_ieee_mode 1
		.amdhsa_fp16_overflow 0
		.amdhsa_exception_fp_ieee_invalid_op 0
		.amdhsa_exception_fp_denorm_src 0
		.amdhsa_exception_fp_ieee_div_zero 0
		.amdhsa_exception_fp_ieee_overflow 0
		.amdhsa_exception_fp_ieee_underflow 0
		.amdhsa_exception_fp_ieee_inexact 0
		.amdhsa_exception_int_div_zero 0
	.end_amdhsa_kernel
	.section	.text._ZN7rocprim17ROCPRIM_400000_NS6detail17trampoline_kernelINS0_13select_configILj256ELj13ELNS0_17block_load_methodE3ELS4_3ELS4_3ELNS0_20block_scan_algorithmE0ELj4294967295EEENS1_25partition_config_selectorILNS1_17partition_subalgoE4EjNS0_10empty_typeEbEEZZNS1_14partition_implILS8_4ELb0ES6_15HIP_vector_typeIjLj2EENS0_17counting_iteratorIjlEEPS9_SG_NS0_5tupleIJPjSI_NS0_16reverse_iteratorISI_EEEEENSH_IJSG_SG_SG_EEES9_SI_JZNS1_25segmented_radix_sort_implINS0_14default_configELb0EPKfPfPKlPlN2at6native12_GLOBAL__N_18offset_tEEE10hipError_tPvRmT1_PNSt15iterator_traitsIS12_E10value_typeET2_T3_PNS13_IS18_E10value_typeET4_jRbjT5_S1E_jjP12ihipStream_tbEUljE_ZNSN_ISO_Lb0ESQ_SR_ST_SU_SY_EESZ_S10_S11_S12_S16_S17_S18_S1B_S1C_jS1D_jS1E_S1E_jjS1G_bEUljE0_EEESZ_S10_S11_S18_S1C_S1E_T6_T7_T9_mT8_S1G_bDpT10_ENKUlT_T0_E_clISt17integral_constantIbLb0EES1U_EEDaS1P_S1Q_EUlS1P_E_NS1_11comp_targetILNS1_3genE4ELNS1_11target_archE910ELNS1_3gpuE8ELNS1_3repE0EEENS1_30default_config_static_selectorELNS0_4arch9wavefront6targetE1EEEvS12_,"axG",@progbits,_ZN7rocprim17ROCPRIM_400000_NS6detail17trampoline_kernelINS0_13select_configILj256ELj13ELNS0_17block_load_methodE3ELS4_3ELS4_3ELNS0_20block_scan_algorithmE0ELj4294967295EEENS1_25partition_config_selectorILNS1_17partition_subalgoE4EjNS0_10empty_typeEbEEZZNS1_14partition_implILS8_4ELb0ES6_15HIP_vector_typeIjLj2EENS0_17counting_iteratorIjlEEPS9_SG_NS0_5tupleIJPjSI_NS0_16reverse_iteratorISI_EEEEENSH_IJSG_SG_SG_EEES9_SI_JZNS1_25segmented_radix_sort_implINS0_14default_configELb0EPKfPfPKlPlN2at6native12_GLOBAL__N_18offset_tEEE10hipError_tPvRmT1_PNSt15iterator_traitsIS12_E10value_typeET2_T3_PNS13_IS18_E10value_typeET4_jRbjT5_S1E_jjP12ihipStream_tbEUljE_ZNSN_ISO_Lb0ESQ_SR_ST_SU_SY_EESZ_S10_S11_S12_S16_S17_S18_S1B_S1C_jS1D_jS1E_S1E_jjS1G_bEUljE0_EEESZ_S10_S11_S18_S1C_S1E_T6_T7_T9_mT8_S1G_bDpT10_ENKUlT_T0_E_clISt17integral_constantIbLb0EES1U_EEDaS1P_S1Q_EUlS1P_E_NS1_11comp_targetILNS1_3genE4ELNS1_11target_archE910ELNS1_3gpuE8ELNS1_3repE0EEENS1_30default_config_static_selectorELNS0_4arch9wavefront6targetE1EEEvS12_,comdat
.Lfunc_end1366:
	.size	_ZN7rocprim17ROCPRIM_400000_NS6detail17trampoline_kernelINS0_13select_configILj256ELj13ELNS0_17block_load_methodE3ELS4_3ELS4_3ELNS0_20block_scan_algorithmE0ELj4294967295EEENS1_25partition_config_selectorILNS1_17partition_subalgoE4EjNS0_10empty_typeEbEEZZNS1_14partition_implILS8_4ELb0ES6_15HIP_vector_typeIjLj2EENS0_17counting_iteratorIjlEEPS9_SG_NS0_5tupleIJPjSI_NS0_16reverse_iteratorISI_EEEEENSH_IJSG_SG_SG_EEES9_SI_JZNS1_25segmented_radix_sort_implINS0_14default_configELb0EPKfPfPKlPlN2at6native12_GLOBAL__N_18offset_tEEE10hipError_tPvRmT1_PNSt15iterator_traitsIS12_E10value_typeET2_T3_PNS13_IS18_E10value_typeET4_jRbjT5_S1E_jjP12ihipStream_tbEUljE_ZNSN_ISO_Lb0ESQ_SR_ST_SU_SY_EESZ_S10_S11_S12_S16_S17_S18_S1B_S1C_jS1D_jS1E_S1E_jjS1G_bEUljE0_EEESZ_S10_S11_S18_S1C_S1E_T6_T7_T9_mT8_S1G_bDpT10_ENKUlT_T0_E_clISt17integral_constantIbLb0EES1U_EEDaS1P_S1Q_EUlS1P_E_NS1_11comp_targetILNS1_3genE4ELNS1_11target_archE910ELNS1_3gpuE8ELNS1_3repE0EEENS1_30default_config_static_selectorELNS0_4arch9wavefront6targetE1EEEvS12_, .Lfunc_end1366-_ZN7rocprim17ROCPRIM_400000_NS6detail17trampoline_kernelINS0_13select_configILj256ELj13ELNS0_17block_load_methodE3ELS4_3ELS4_3ELNS0_20block_scan_algorithmE0ELj4294967295EEENS1_25partition_config_selectorILNS1_17partition_subalgoE4EjNS0_10empty_typeEbEEZZNS1_14partition_implILS8_4ELb0ES6_15HIP_vector_typeIjLj2EENS0_17counting_iteratorIjlEEPS9_SG_NS0_5tupleIJPjSI_NS0_16reverse_iteratorISI_EEEEENSH_IJSG_SG_SG_EEES9_SI_JZNS1_25segmented_radix_sort_implINS0_14default_configELb0EPKfPfPKlPlN2at6native12_GLOBAL__N_18offset_tEEE10hipError_tPvRmT1_PNSt15iterator_traitsIS12_E10value_typeET2_T3_PNS13_IS18_E10value_typeET4_jRbjT5_S1E_jjP12ihipStream_tbEUljE_ZNSN_ISO_Lb0ESQ_SR_ST_SU_SY_EESZ_S10_S11_S12_S16_S17_S18_S1B_S1C_jS1D_jS1E_S1E_jjS1G_bEUljE0_EEESZ_S10_S11_S18_S1C_S1E_T6_T7_T9_mT8_S1G_bDpT10_ENKUlT_T0_E_clISt17integral_constantIbLb0EES1U_EEDaS1P_S1Q_EUlS1P_E_NS1_11comp_targetILNS1_3genE4ELNS1_11target_archE910ELNS1_3gpuE8ELNS1_3repE0EEENS1_30default_config_static_selectorELNS0_4arch9wavefront6targetE1EEEvS12_
                                        ; -- End function
	.set _ZN7rocprim17ROCPRIM_400000_NS6detail17trampoline_kernelINS0_13select_configILj256ELj13ELNS0_17block_load_methodE3ELS4_3ELS4_3ELNS0_20block_scan_algorithmE0ELj4294967295EEENS1_25partition_config_selectorILNS1_17partition_subalgoE4EjNS0_10empty_typeEbEEZZNS1_14partition_implILS8_4ELb0ES6_15HIP_vector_typeIjLj2EENS0_17counting_iteratorIjlEEPS9_SG_NS0_5tupleIJPjSI_NS0_16reverse_iteratorISI_EEEEENSH_IJSG_SG_SG_EEES9_SI_JZNS1_25segmented_radix_sort_implINS0_14default_configELb0EPKfPfPKlPlN2at6native12_GLOBAL__N_18offset_tEEE10hipError_tPvRmT1_PNSt15iterator_traitsIS12_E10value_typeET2_T3_PNS13_IS18_E10value_typeET4_jRbjT5_S1E_jjP12ihipStream_tbEUljE_ZNSN_ISO_Lb0ESQ_SR_ST_SU_SY_EESZ_S10_S11_S12_S16_S17_S18_S1B_S1C_jS1D_jS1E_S1E_jjS1G_bEUljE0_EEESZ_S10_S11_S18_S1C_S1E_T6_T7_T9_mT8_S1G_bDpT10_ENKUlT_T0_E_clISt17integral_constantIbLb0EES1U_EEDaS1P_S1Q_EUlS1P_E_NS1_11comp_targetILNS1_3genE4ELNS1_11target_archE910ELNS1_3gpuE8ELNS1_3repE0EEENS1_30default_config_static_selectorELNS0_4arch9wavefront6targetE1EEEvS12_.num_vgpr, 0
	.set _ZN7rocprim17ROCPRIM_400000_NS6detail17trampoline_kernelINS0_13select_configILj256ELj13ELNS0_17block_load_methodE3ELS4_3ELS4_3ELNS0_20block_scan_algorithmE0ELj4294967295EEENS1_25partition_config_selectorILNS1_17partition_subalgoE4EjNS0_10empty_typeEbEEZZNS1_14partition_implILS8_4ELb0ES6_15HIP_vector_typeIjLj2EENS0_17counting_iteratorIjlEEPS9_SG_NS0_5tupleIJPjSI_NS0_16reverse_iteratorISI_EEEEENSH_IJSG_SG_SG_EEES9_SI_JZNS1_25segmented_radix_sort_implINS0_14default_configELb0EPKfPfPKlPlN2at6native12_GLOBAL__N_18offset_tEEE10hipError_tPvRmT1_PNSt15iterator_traitsIS12_E10value_typeET2_T3_PNS13_IS18_E10value_typeET4_jRbjT5_S1E_jjP12ihipStream_tbEUljE_ZNSN_ISO_Lb0ESQ_SR_ST_SU_SY_EESZ_S10_S11_S12_S16_S17_S18_S1B_S1C_jS1D_jS1E_S1E_jjS1G_bEUljE0_EEESZ_S10_S11_S18_S1C_S1E_T6_T7_T9_mT8_S1G_bDpT10_ENKUlT_T0_E_clISt17integral_constantIbLb0EES1U_EEDaS1P_S1Q_EUlS1P_E_NS1_11comp_targetILNS1_3genE4ELNS1_11target_archE910ELNS1_3gpuE8ELNS1_3repE0EEENS1_30default_config_static_selectorELNS0_4arch9wavefront6targetE1EEEvS12_.num_agpr, 0
	.set _ZN7rocprim17ROCPRIM_400000_NS6detail17trampoline_kernelINS0_13select_configILj256ELj13ELNS0_17block_load_methodE3ELS4_3ELS4_3ELNS0_20block_scan_algorithmE0ELj4294967295EEENS1_25partition_config_selectorILNS1_17partition_subalgoE4EjNS0_10empty_typeEbEEZZNS1_14partition_implILS8_4ELb0ES6_15HIP_vector_typeIjLj2EENS0_17counting_iteratorIjlEEPS9_SG_NS0_5tupleIJPjSI_NS0_16reverse_iteratorISI_EEEEENSH_IJSG_SG_SG_EEES9_SI_JZNS1_25segmented_radix_sort_implINS0_14default_configELb0EPKfPfPKlPlN2at6native12_GLOBAL__N_18offset_tEEE10hipError_tPvRmT1_PNSt15iterator_traitsIS12_E10value_typeET2_T3_PNS13_IS18_E10value_typeET4_jRbjT5_S1E_jjP12ihipStream_tbEUljE_ZNSN_ISO_Lb0ESQ_SR_ST_SU_SY_EESZ_S10_S11_S12_S16_S17_S18_S1B_S1C_jS1D_jS1E_S1E_jjS1G_bEUljE0_EEESZ_S10_S11_S18_S1C_S1E_T6_T7_T9_mT8_S1G_bDpT10_ENKUlT_T0_E_clISt17integral_constantIbLb0EES1U_EEDaS1P_S1Q_EUlS1P_E_NS1_11comp_targetILNS1_3genE4ELNS1_11target_archE910ELNS1_3gpuE8ELNS1_3repE0EEENS1_30default_config_static_selectorELNS0_4arch9wavefront6targetE1EEEvS12_.numbered_sgpr, 0
	.set _ZN7rocprim17ROCPRIM_400000_NS6detail17trampoline_kernelINS0_13select_configILj256ELj13ELNS0_17block_load_methodE3ELS4_3ELS4_3ELNS0_20block_scan_algorithmE0ELj4294967295EEENS1_25partition_config_selectorILNS1_17partition_subalgoE4EjNS0_10empty_typeEbEEZZNS1_14partition_implILS8_4ELb0ES6_15HIP_vector_typeIjLj2EENS0_17counting_iteratorIjlEEPS9_SG_NS0_5tupleIJPjSI_NS0_16reverse_iteratorISI_EEEEENSH_IJSG_SG_SG_EEES9_SI_JZNS1_25segmented_radix_sort_implINS0_14default_configELb0EPKfPfPKlPlN2at6native12_GLOBAL__N_18offset_tEEE10hipError_tPvRmT1_PNSt15iterator_traitsIS12_E10value_typeET2_T3_PNS13_IS18_E10value_typeET4_jRbjT5_S1E_jjP12ihipStream_tbEUljE_ZNSN_ISO_Lb0ESQ_SR_ST_SU_SY_EESZ_S10_S11_S12_S16_S17_S18_S1B_S1C_jS1D_jS1E_S1E_jjS1G_bEUljE0_EEESZ_S10_S11_S18_S1C_S1E_T6_T7_T9_mT8_S1G_bDpT10_ENKUlT_T0_E_clISt17integral_constantIbLb0EES1U_EEDaS1P_S1Q_EUlS1P_E_NS1_11comp_targetILNS1_3genE4ELNS1_11target_archE910ELNS1_3gpuE8ELNS1_3repE0EEENS1_30default_config_static_selectorELNS0_4arch9wavefront6targetE1EEEvS12_.num_named_barrier, 0
	.set _ZN7rocprim17ROCPRIM_400000_NS6detail17trampoline_kernelINS0_13select_configILj256ELj13ELNS0_17block_load_methodE3ELS4_3ELS4_3ELNS0_20block_scan_algorithmE0ELj4294967295EEENS1_25partition_config_selectorILNS1_17partition_subalgoE4EjNS0_10empty_typeEbEEZZNS1_14partition_implILS8_4ELb0ES6_15HIP_vector_typeIjLj2EENS0_17counting_iteratorIjlEEPS9_SG_NS0_5tupleIJPjSI_NS0_16reverse_iteratorISI_EEEEENSH_IJSG_SG_SG_EEES9_SI_JZNS1_25segmented_radix_sort_implINS0_14default_configELb0EPKfPfPKlPlN2at6native12_GLOBAL__N_18offset_tEEE10hipError_tPvRmT1_PNSt15iterator_traitsIS12_E10value_typeET2_T3_PNS13_IS18_E10value_typeET4_jRbjT5_S1E_jjP12ihipStream_tbEUljE_ZNSN_ISO_Lb0ESQ_SR_ST_SU_SY_EESZ_S10_S11_S12_S16_S17_S18_S1B_S1C_jS1D_jS1E_S1E_jjS1G_bEUljE0_EEESZ_S10_S11_S18_S1C_S1E_T6_T7_T9_mT8_S1G_bDpT10_ENKUlT_T0_E_clISt17integral_constantIbLb0EES1U_EEDaS1P_S1Q_EUlS1P_E_NS1_11comp_targetILNS1_3genE4ELNS1_11target_archE910ELNS1_3gpuE8ELNS1_3repE0EEENS1_30default_config_static_selectorELNS0_4arch9wavefront6targetE1EEEvS12_.private_seg_size, 0
	.set _ZN7rocprim17ROCPRIM_400000_NS6detail17trampoline_kernelINS0_13select_configILj256ELj13ELNS0_17block_load_methodE3ELS4_3ELS4_3ELNS0_20block_scan_algorithmE0ELj4294967295EEENS1_25partition_config_selectorILNS1_17partition_subalgoE4EjNS0_10empty_typeEbEEZZNS1_14partition_implILS8_4ELb0ES6_15HIP_vector_typeIjLj2EENS0_17counting_iteratorIjlEEPS9_SG_NS0_5tupleIJPjSI_NS0_16reverse_iteratorISI_EEEEENSH_IJSG_SG_SG_EEES9_SI_JZNS1_25segmented_radix_sort_implINS0_14default_configELb0EPKfPfPKlPlN2at6native12_GLOBAL__N_18offset_tEEE10hipError_tPvRmT1_PNSt15iterator_traitsIS12_E10value_typeET2_T3_PNS13_IS18_E10value_typeET4_jRbjT5_S1E_jjP12ihipStream_tbEUljE_ZNSN_ISO_Lb0ESQ_SR_ST_SU_SY_EESZ_S10_S11_S12_S16_S17_S18_S1B_S1C_jS1D_jS1E_S1E_jjS1G_bEUljE0_EEESZ_S10_S11_S18_S1C_S1E_T6_T7_T9_mT8_S1G_bDpT10_ENKUlT_T0_E_clISt17integral_constantIbLb0EES1U_EEDaS1P_S1Q_EUlS1P_E_NS1_11comp_targetILNS1_3genE4ELNS1_11target_archE910ELNS1_3gpuE8ELNS1_3repE0EEENS1_30default_config_static_selectorELNS0_4arch9wavefront6targetE1EEEvS12_.uses_vcc, 0
	.set _ZN7rocprim17ROCPRIM_400000_NS6detail17trampoline_kernelINS0_13select_configILj256ELj13ELNS0_17block_load_methodE3ELS4_3ELS4_3ELNS0_20block_scan_algorithmE0ELj4294967295EEENS1_25partition_config_selectorILNS1_17partition_subalgoE4EjNS0_10empty_typeEbEEZZNS1_14partition_implILS8_4ELb0ES6_15HIP_vector_typeIjLj2EENS0_17counting_iteratorIjlEEPS9_SG_NS0_5tupleIJPjSI_NS0_16reverse_iteratorISI_EEEEENSH_IJSG_SG_SG_EEES9_SI_JZNS1_25segmented_radix_sort_implINS0_14default_configELb0EPKfPfPKlPlN2at6native12_GLOBAL__N_18offset_tEEE10hipError_tPvRmT1_PNSt15iterator_traitsIS12_E10value_typeET2_T3_PNS13_IS18_E10value_typeET4_jRbjT5_S1E_jjP12ihipStream_tbEUljE_ZNSN_ISO_Lb0ESQ_SR_ST_SU_SY_EESZ_S10_S11_S12_S16_S17_S18_S1B_S1C_jS1D_jS1E_S1E_jjS1G_bEUljE0_EEESZ_S10_S11_S18_S1C_S1E_T6_T7_T9_mT8_S1G_bDpT10_ENKUlT_T0_E_clISt17integral_constantIbLb0EES1U_EEDaS1P_S1Q_EUlS1P_E_NS1_11comp_targetILNS1_3genE4ELNS1_11target_archE910ELNS1_3gpuE8ELNS1_3repE0EEENS1_30default_config_static_selectorELNS0_4arch9wavefront6targetE1EEEvS12_.uses_flat_scratch, 0
	.set _ZN7rocprim17ROCPRIM_400000_NS6detail17trampoline_kernelINS0_13select_configILj256ELj13ELNS0_17block_load_methodE3ELS4_3ELS4_3ELNS0_20block_scan_algorithmE0ELj4294967295EEENS1_25partition_config_selectorILNS1_17partition_subalgoE4EjNS0_10empty_typeEbEEZZNS1_14partition_implILS8_4ELb0ES6_15HIP_vector_typeIjLj2EENS0_17counting_iteratorIjlEEPS9_SG_NS0_5tupleIJPjSI_NS0_16reverse_iteratorISI_EEEEENSH_IJSG_SG_SG_EEES9_SI_JZNS1_25segmented_radix_sort_implINS0_14default_configELb0EPKfPfPKlPlN2at6native12_GLOBAL__N_18offset_tEEE10hipError_tPvRmT1_PNSt15iterator_traitsIS12_E10value_typeET2_T3_PNS13_IS18_E10value_typeET4_jRbjT5_S1E_jjP12ihipStream_tbEUljE_ZNSN_ISO_Lb0ESQ_SR_ST_SU_SY_EESZ_S10_S11_S12_S16_S17_S18_S1B_S1C_jS1D_jS1E_S1E_jjS1G_bEUljE0_EEESZ_S10_S11_S18_S1C_S1E_T6_T7_T9_mT8_S1G_bDpT10_ENKUlT_T0_E_clISt17integral_constantIbLb0EES1U_EEDaS1P_S1Q_EUlS1P_E_NS1_11comp_targetILNS1_3genE4ELNS1_11target_archE910ELNS1_3gpuE8ELNS1_3repE0EEENS1_30default_config_static_selectorELNS0_4arch9wavefront6targetE1EEEvS12_.has_dyn_sized_stack, 0
	.set _ZN7rocprim17ROCPRIM_400000_NS6detail17trampoline_kernelINS0_13select_configILj256ELj13ELNS0_17block_load_methodE3ELS4_3ELS4_3ELNS0_20block_scan_algorithmE0ELj4294967295EEENS1_25partition_config_selectorILNS1_17partition_subalgoE4EjNS0_10empty_typeEbEEZZNS1_14partition_implILS8_4ELb0ES6_15HIP_vector_typeIjLj2EENS0_17counting_iteratorIjlEEPS9_SG_NS0_5tupleIJPjSI_NS0_16reverse_iteratorISI_EEEEENSH_IJSG_SG_SG_EEES9_SI_JZNS1_25segmented_radix_sort_implINS0_14default_configELb0EPKfPfPKlPlN2at6native12_GLOBAL__N_18offset_tEEE10hipError_tPvRmT1_PNSt15iterator_traitsIS12_E10value_typeET2_T3_PNS13_IS18_E10value_typeET4_jRbjT5_S1E_jjP12ihipStream_tbEUljE_ZNSN_ISO_Lb0ESQ_SR_ST_SU_SY_EESZ_S10_S11_S12_S16_S17_S18_S1B_S1C_jS1D_jS1E_S1E_jjS1G_bEUljE0_EEESZ_S10_S11_S18_S1C_S1E_T6_T7_T9_mT8_S1G_bDpT10_ENKUlT_T0_E_clISt17integral_constantIbLb0EES1U_EEDaS1P_S1Q_EUlS1P_E_NS1_11comp_targetILNS1_3genE4ELNS1_11target_archE910ELNS1_3gpuE8ELNS1_3repE0EEENS1_30default_config_static_selectorELNS0_4arch9wavefront6targetE1EEEvS12_.has_recursion, 0
	.set _ZN7rocprim17ROCPRIM_400000_NS6detail17trampoline_kernelINS0_13select_configILj256ELj13ELNS0_17block_load_methodE3ELS4_3ELS4_3ELNS0_20block_scan_algorithmE0ELj4294967295EEENS1_25partition_config_selectorILNS1_17partition_subalgoE4EjNS0_10empty_typeEbEEZZNS1_14partition_implILS8_4ELb0ES6_15HIP_vector_typeIjLj2EENS0_17counting_iteratorIjlEEPS9_SG_NS0_5tupleIJPjSI_NS0_16reverse_iteratorISI_EEEEENSH_IJSG_SG_SG_EEES9_SI_JZNS1_25segmented_radix_sort_implINS0_14default_configELb0EPKfPfPKlPlN2at6native12_GLOBAL__N_18offset_tEEE10hipError_tPvRmT1_PNSt15iterator_traitsIS12_E10value_typeET2_T3_PNS13_IS18_E10value_typeET4_jRbjT5_S1E_jjP12ihipStream_tbEUljE_ZNSN_ISO_Lb0ESQ_SR_ST_SU_SY_EESZ_S10_S11_S12_S16_S17_S18_S1B_S1C_jS1D_jS1E_S1E_jjS1G_bEUljE0_EEESZ_S10_S11_S18_S1C_S1E_T6_T7_T9_mT8_S1G_bDpT10_ENKUlT_T0_E_clISt17integral_constantIbLb0EES1U_EEDaS1P_S1Q_EUlS1P_E_NS1_11comp_targetILNS1_3genE4ELNS1_11target_archE910ELNS1_3gpuE8ELNS1_3repE0EEENS1_30default_config_static_selectorELNS0_4arch9wavefront6targetE1EEEvS12_.has_indirect_call, 0
	.section	.AMDGPU.csdata,"",@progbits
; Kernel info:
; codeLenInByte = 0
; TotalNumSgprs: 4
; NumVgprs: 0
; ScratchSize: 0
; MemoryBound: 0
; FloatMode: 240
; IeeeMode: 1
; LDSByteSize: 0 bytes/workgroup (compile time only)
; SGPRBlocks: 0
; VGPRBlocks: 0
; NumSGPRsForWavesPerEU: 4
; NumVGPRsForWavesPerEU: 1
; Occupancy: 10
; WaveLimiterHint : 0
; COMPUTE_PGM_RSRC2:SCRATCH_EN: 0
; COMPUTE_PGM_RSRC2:USER_SGPR: 6
; COMPUTE_PGM_RSRC2:TRAP_HANDLER: 0
; COMPUTE_PGM_RSRC2:TGID_X_EN: 1
; COMPUTE_PGM_RSRC2:TGID_Y_EN: 0
; COMPUTE_PGM_RSRC2:TGID_Z_EN: 0
; COMPUTE_PGM_RSRC2:TIDIG_COMP_CNT: 0
	.section	.text._ZN7rocprim17ROCPRIM_400000_NS6detail17trampoline_kernelINS0_13select_configILj256ELj13ELNS0_17block_load_methodE3ELS4_3ELS4_3ELNS0_20block_scan_algorithmE0ELj4294967295EEENS1_25partition_config_selectorILNS1_17partition_subalgoE4EjNS0_10empty_typeEbEEZZNS1_14partition_implILS8_4ELb0ES6_15HIP_vector_typeIjLj2EENS0_17counting_iteratorIjlEEPS9_SG_NS0_5tupleIJPjSI_NS0_16reverse_iteratorISI_EEEEENSH_IJSG_SG_SG_EEES9_SI_JZNS1_25segmented_radix_sort_implINS0_14default_configELb0EPKfPfPKlPlN2at6native12_GLOBAL__N_18offset_tEEE10hipError_tPvRmT1_PNSt15iterator_traitsIS12_E10value_typeET2_T3_PNS13_IS18_E10value_typeET4_jRbjT5_S1E_jjP12ihipStream_tbEUljE_ZNSN_ISO_Lb0ESQ_SR_ST_SU_SY_EESZ_S10_S11_S12_S16_S17_S18_S1B_S1C_jS1D_jS1E_S1E_jjS1G_bEUljE0_EEESZ_S10_S11_S18_S1C_S1E_T6_T7_T9_mT8_S1G_bDpT10_ENKUlT_T0_E_clISt17integral_constantIbLb0EES1U_EEDaS1P_S1Q_EUlS1P_E_NS1_11comp_targetILNS1_3genE3ELNS1_11target_archE908ELNS1_3gpuE7ELNS1_3repE0EEENS1_30default_config_static_selectorELNS0_4arch9wavefront6targetE1EEEvS12_,"axG",@progbits,_ZN7rocprim17ROCPRIM_400000_NS6detail17trampoline_kernelINS0_13select_configILj256ELj13ELNS0_17block_load_methodE3ELS4_3ELS4_3ELNS0_20block_scan_algorithmE0ELj4294967295EEENS1_25partition_config_selectorILNS1_17partition_subalgoE4EjNS0_10empty_typeEbEEZZNS1_14partition_implILS8_4ELb0ES6_15HIP_vector_typeIjLj2EENS0_17counting_iteratorIjlEEPS9_SG_NS0_5tupleIJPjSI_NS0_16reverse_iteratorISI_EEEEENSH_IJSG_SG_SG_EEES9_SI_JZNS1_25segmented_radix_sort_implINS0_14default_configELb0EPKfPfPKlPlN2at6native12_GLOBAL__N_18offset_tEEE10hipError_tPvRmT1_PNSt15iterator_traitsIS12_E10value_typeET2_T3_PNS13_IS18_E10value_typeET4_jRbjT5_S1E_jjP12ihipStream_tbEUljE_ZNSN_ISO_Lb0ESQ_SR_ST_SU_SY_EESZ_S10_S11_S12_S16_S17_S18_S1B_S1C_jS1D_jS1E_S1E_jjS1G_bEUljE0_EEESZ_S10_S11_S18_S1C_S1E_T6_T7_T9_mT8_S1G_bDpT10_ENKUlT_T0_E_clISt17integral_constantIbLb0EES1U_EEDaS1P_S1Q_EUlS1P_E_NS1_11comp_targetILNS1_3genE3ELNS1_11target_archE908ELNS1_3gpuE7ELNS1_3repE0EEENS1_30default_config_static_selectorELNS0_4arch9wavefront6targetE1EEEvS12_,comdat
	.globl	_ZN7rocprim17ROCPRIM_400000_NS6detail17trampoline_kernelINS0_13select_configILj256ELj13ELNS0_17block_load_methodE3ELS4_3ELS4_3ELNS0_20block_scan_algorithmE0ELj4294967295EEENS1_25partition_config_selectorILNS1_17partition_subalgoE4EjNS0_10empty_typeEbEEZZNS1_14partition_implILS8_4ELb0ES6_15HIP_vector_typeIjLj2EENS0_17counting_iteratorIjlEEPS9_SG_NS0_5tupleIJPjSI_NS0_16reverse_iteratorISI_EEEEENSH_IJSG_SG_SG_EEES9_SI_JZNS1_25segmented_radix_sort_implINS0_14default_configELb0EPKfPfPKlPlN2at6native12_GLOBAL__N_18offset_tEEE10hipError_tPvRmT1_PNSt15iterator_traitsIS12_E10value_typeET2_T3_PNS13_IS18_E10value_typeET4_jRbjT5_S1E_jjP12ihipStream_tbEUljE_ZNSN_ISO_Lb0ESQ_SR_ST_SU_SY_EESZ_S10_S11_S12_S16_S17_S18_S1B_S1C_jS1D_jS1E_S1E_jjS1G_bEUljE0_EEESZ_S10_S11_S18_S1C_S1E_T6_T7_T9_mT8_S1G_bDpT10_ENKUlT_T0_E_clISt17integral_constantIbLb0EES1U_EEDaS1P_S1Q_EUlS1P_E_NS1_11comp_targetILNS1_3genE3ELNS1_11target_archE908ELNS1_3gpuE7ELNS1_3repE0EEENS1_30default_config_static_selectorELNS0_4arch9wavefront6targetE1EEEvS12_ ; -- Begin function _ZN7rocprim17ROCPRIM_400000_NS6detail17trampoline_kernelINS0_13select_configILj256ELj13ELNS0_17block_load_methodE3ELS4_3ELS4_3ELNS0_20block_scan_algorithmE0ELj4294967295EEENS1_25partition_config_selectorILNS1_17partition_subalgoE4EjNS0_10empty_typeEbEEZZNS1_14partition_implILS8_4ELb0ES6_15HIP_vector_typeIjLj2EENS0_17counting_iteratorIjlEEPS9_SG_NS0_5tupleIJPjSI_NS0_16reverse_iteratorISI_EEEEENSH_IJSG_SG_SG_EEES9_SI_JZNS1_25segmented_radix_sort_implINS0_14default_configELb0EPKfPfPKlPlN2at6native12_GLOBAL__N_18offset_tEEE10hipError_tPvRmT1_PNSt15iterator_traitsIS12_E10value_typeET2_T3_PNS13_IS18_E10value_typeET4_jRbjT5_S1E_jjP12ihipStream_tbEUljE_ZNSN_ISO_Lb0ESQ_SR_ST_SU_SY_EESZ_S10_S11_S12_S16_S17_S18_S1B_S1C_jS1D_jS1E_S1E_jjS1G_bEUljE0_EEESZ_S10_S11_S18_S1C_S1E_T6_T7_T9_mT8_S1G_bDpT10_ENKUlT_T0_E_clISt17integral_constantIbLb0EES1U_EEDaS1P_S1Q_EUlS1P_E_NS1_11comp_targetILNS1_3genE3ELNS1_11target_archE908ELNS1_3gpuE7ELNS1_3repE0EEENS1_30default_config_static_selectorELNS0_4arch9wavefront6targetE1EEEvS12_
	.p2align	8
	.type	_ZN7rocprim17ROCPRIM_400000_NS6detail17trampoline_kernelINS0_13select_configILj256ELj13ELNS0_17block_load_methodE3ELS4_3ELS4_3ELNS0_20block_scan_algorithmE0ELj4294967295EEENS1_25partition_config_selectorILNS1_17partition_subalgoE4EjNS0_10empty_typeEbEEZZNS1_14partition_implILS8_4ELb0ES6_15HIP_vector_typeIjLj2EENS0_17counting_iteratorIjlEEPS9_SG_NS0_5tupleIJPjSI_NS0_16reverse_iteratorISI_EEEEENSH_IJSG_SG_SG_EEES9_SI_JZNS1_25segmented_radix_sort_implINS0_14default_configELb0EPKfPfPKlPlN2at6native12_GLOBAL__N_18offset_tEEE10hipError_tPvRmT1_PNSt15iterator_traitsIS12_E10value_typeET2_T3_PNS13_IS18_E10value_typeET4_jRbjT5_S1E_jjP12ihipStream_tbEUljE_ZNSN_ISO_Lb0ESQ_SR_ST_SU_SY_EESZ_S10_S11_S12_S16_S17_S18_S1B_S1C_jS1D_jS1E_S1E_jjS1G_bEUljE0_EEESZ_S10_S11_S18_S1C_S1E_T6_T7_T9_mT8_S1G_bDpT10_ENKUlT_T0_E_clISt17integral_constantIbLb0EES1U_EEDaS1P_S1Q_EUlS1P_E_NS1_11comp_targetILNS1_3genE3ELNS1_11target_archE908ELNS1_3gpuE7ELNS1_3repE0EEENS1_30default_config_static_selectorELNS0_4arch9wavefront6targetE1EEEvS12_,@function
_ZN7rocprim17ROCPRIM_400000_NS6detail17trampoline_kernelINS0_13select_configILj256ELj13ELNS0_17block_load_methodE3ELS4_3ELS4_3ELNS0_20block_scan_algorithmE0ELj4294967295EEENS1_25partition_config_selectorILNS1_17partition_subalgoE4EjNS0_10empty_typeEbEEZZNS1_14partition_implILS8_4ELb0ES6_15HIP_vector_typeIjLj2EENS0_17counting_iteratorIjlEEPS9_SG_NS0_5tupleIJPjSI_NS0_16reverse_iteratorISI_EEEEENSH_IJSG_SG_SG_EEES9_SI_JZNS1_25segmented_radix_sort_implINS0_14default_configELb0EPKfPfPKlPlN2at6native12_GLOBAL__N_18offset_tEEE10hipError_tPvRmT1_PNSt15iterator_traitsIS12_E10value_typeET2_T3_PNS13_IS18_E10value_typeET4_jRbjT5_S1E_jjP12ihipStream_tbEUljE_ZNSN_ISO_Lb0ESQ_SR_ST_SU_SY_EESZ_S10_S11_S12_S16_S17_S18_S1B_S1C_jS1D_jS1E_S1E_jjS1G_bEUljE0_EEESZ_S10_S11_S18_S1C_S1E_T6_T7_T9_mT8_S1G_bDpT10_ENKUlT_T0_E_clISt17integral_constantIbLb0EES1U_EEDaS1P_S1Q_EUlS1P_E_NS1_11comp_targetILNS1_3genE3ELNS1_11target_archE908ELNS1_3gpuE7ELNS1_3repE0EEENS1_30default_config_static_selectorELNS0_4arch9wavefront6targetE1EEEvS12_: ; @_ZN7rocprim17ROCPRIM_400000_NS6detail17trampoline_kernelINS0_13select_configILj256ELj13ELNS0_17block_load_methodE3ELS4_3ELS4_3ELNS0_20block_scan_algorithmE0ELj4294967295EEENS1_25partition_config_selectorILNS1_17partition_subalgoE4EjNS0_10empty_typeEbEEZZNS1_14partition_implILS8_4ELb0ES6_15HIP_vector_typeIjLj2EENS0_17counting_iteratorIjlEEPS9_SG_NS0_5tupleIJPjSI_NS0_16reverse_iteratorISI_EEEEENSH_IJSG_SG_SG_EEES9_SI_JZNS1_25segmented_radix_sort_implINS0_14default_configELb0EPKfPfPKlPlN2at6native12_GLOBAL__N_18offset_tEEE10hipError_tPvRmT1_PNSt15iterator_traitsIS12_E10value_typeET2_T3_PNS13_IS18_E10value_typeET4_jRbjT5_S1E_jjP12ihipStream_tbEUljE_ZNSN_ISO_Lb0ESQ_SR_ST_SU_SY_EESZ_S10_S11_S12_S16_S17_S18_S1B_S1C_jS1D_jS1E_S1E_jjS1G_bEUljE0_EEESZ_S10_S11_S18_S1C_S1E_T6_T7_T9_mT8_S1G_bDpT10_ENKUlT_T0_E_clISt17integral_constantIbLb0EES1U_EEDaS1P_S1Q_EUlS1P_E_NS1_11comp_targetILNS1_3genE3ELNS1_11target_archE908ELNS1_3gpuE7ELNS1_3repE0EEENS1_30default_config_static_selectorELNS0_4arch9wavefront6targetE1EEEvS12_
; %bb.0:
	.section	.rodata,"a",@progbits
	.p2align	6, 0x0
	.amdhsa_kernel _ZN7rocprim17ROCPRIM_400000_NS6detail17trampoline_kernelINS0_13select_configILj256ELj13ELNS0_17block_load_methodE3ELS4_3ELS4_3ELNS0_20block_scan_algorithmE0ELj4294967295EEENS1_25partition_config_selectorILNS1_17partition_subalgoE4EjNS0_10empty_typeEbEEZZNS1_14partition_implILS8_4ELb0ES6_15HIP_vector_typeIjLj2EENS0_17counting_iteratorIjlEEPS9_SG_NS0_5tupleIJPjSI_NS0_16reverse_iteratorISI_EEEEENSH_IJSG_SG_SG_EEES9_SI_JZNS1_25segmented_radix_sort_implINS0_14default_configELb0EPKfPfPKlPlN2at6native12_GLOBAL__N_18offset_tEEE10hipError_tPvRmT1_PNSt15iterator_traitsIS12_E10value_typeET2_T3_PNS13_IS18_E10value_typeET4_jRbjT5_S1E_jjP12ihipStream_tbEUljE_ZNSN_ISO_Lb0ESQ_SR_ST_SU_SY_EESZ_S10_S11_S12_S16_S17_S18_S1B_S1C_jS1D_jS1E_S1E_jjS1G_bEUljE0_EEESZ_S10_S11_S18_S1C_S1E_T6_T7_T9_mT8_S1G_bDpT10_ENKUlT_T0_E_clISt17integral_constantIbLb0EES1U_EEDaS1P_S1Q_EUlS1P_E_NS1_11comp_targetILNS1_3genE3ELNS1_11target_archE908ELNS1_3gpuE7ELNS1_3repE0EEENS1_30default_config_static_selectorELNS0_4arch9wavefront6targetE1EEEvS12_
		.amdhsa_group_segment_fixed_size 0
		.amdhsa_private_segment_fixed_size 0
		.amdhsa_kernarg_size 176
		.amdhsa_user_sgpr_count 6
		.amdhsa_user_sgpr_private_segment_buffer 1
		.amdhsa_user_sgpr_dispatch_ptr 0
		.amdhsa_user_sgpr_queue_ptr 0
		.amdhsa_user_sgpr_kernarg_segment_ptr 1
		.amdhsa_user_sgpr_dispatch_id 0
		.amdhsa_user_sgpr_flat_scratch_init 0
		.amdhsa_user_sgpr_private_segment_size 0
		.amdhsa_uses_dynamic_stack 0
		.amdhsa_system_sgpr_private_segment_wavefront_offset 0
		.amdhsa_system_sgpr_workgroup_id_x 1
		.amdhsa_system_sgpr_workgroup_id_y 0
		.amdhsa_system_sgpr_workgroup_id_z 0
		.amdhsa_system_sgpr_workgroup_info 0
		.amdhsa_system_vgpr_workitem_id 0
		.amdhsa_next_free_vgpr 1
		.amdhsa_next_free_sgpr 0
		.amdhsa_reserve_vcc 0
		.amdhsa_reserve_flat_scratch 0
		.amdhsa_float_round_mode_32 0
		.amdhsa_float_round_mode_16_64 0
		.amdhsa_float_denorm_mode_32 3
		.amdhsa_float_denorm_mode_16_64 3
		.amdhsa_dx10_clamp 1
		.amdhsa_ieee_mode 1
		.amdhsa_fp16_overflow 0
		.amdhsa_exception_fp_ieee_invalid_op 0
		.amdhsa_exception_fp_denorm_src 0
		.amdhsa_exception_fp_ieee_div_zero 0
		.amdhsa_exception_fp_ieee_overflow 0
		.amdhsa_exception_fp_ieee_underflow 0
		.amdhsa_exception_fp_ieee_inexact 0
		.amdhsa_exception_int_div_zero 0
	.end_amdhsa_kernel
	.section	.text._ZN7rocprim17ROCPRIM_400000_NS6detail17trampoline_kernelINS0_13select_configILj256ELj13ELNS0_17block_load_methodE3ELS4_3ELS4_3ELNS0_20block_scan_algorithmE0ELj4294967295EEENS1_25partition_config_selectorILNS1_17partition_subalgoE4EjNS0_10empty_typeEbEEZZNS1_14partition_implILS8_4ELb0ES6_15HIP_vector_typeIjLj2EENS0_17counting_iteratorIjlEEPS9_SG_NS0_5tupleIJPjSI_NS0_16reverse_iteratorISI_EEEEENSH_IJSG_SG_SG_EEES9_SI_JZNS1_25segmented_radix_sort_implINS0_14default_configELb0EPKfPfPKlPlN2at6native12_GLOBAL__N_18offset_tEEE10hipError_tPvRmT1_PNSt15iterator_traitsIS12_E10value_typeET2_T3_PNS13_IS18_E10value_typeET4_jRbjT5_S1E_jjP12ihipStream_tbEUljE_ZNSN_ISO_Lb0ESQ_SR_ST_SU_SY_EESZ_S10_S11_S12_S16_S17_S18_S1B_S1C_jS1D_jS1E_S1E_jjS1G_bEUljE0_EEESZ_S10_S11_S18_S1C_S1E_T6_T7_T9_mT8_S1G_bDpT10_ENKUlT_T0_E_clISt17integral_constantIbLb0EES1U_EEDaS1P_S1Q_EUlS1P_E_NS1_11comp_targetILNS1_3genE3ELNS1_11target_archE908ELNS1_3gpuE7ELNS1_3repE0EEENS1_30default_config_static_selectorELNS0_4arch9wavefront6targetE1EEEvS12_,"axG",@progbits,_ZN7rocprim17ROCPRIM_400000_NS6detail17trampoline_kernelINS0_13select_configILj256ELj13ELNS0_17block_load_methodE3ELS4_3ELS4_3ELNS0_20block_scan_algorithmE0ELj4294967295EEENS1_25partition_config_selectorILNS1_17partition_subalgoE4EjNS0_10empty_typeEbEEZZNS1_14partition_implILS8_4ELb0ES6_15HIP_vector_typeIjLj2EENS0_17counting_iteratorIjlEEPS9_SG_NS0_5tupleIJPjSI_NS0_16reverse_iteratorISI_EEEEENSH_IJSG_SG_SG_EEES9_SI_JZNS1_25segmented_radix_sort_implINS0_14default_configELb0EPKfPfPKlPlN2at6native12_GLOBAL__N_18offset_tEEE10hipError_tPvRmT1_PNSt15iterator_traitsIS12_E10value_typeET2_T3_PNS13_IS18_E10value_typeET4_jRbjT5_S1E_jjP12ihipStream_tbEUljE_ZNSN_ISO_Lb0ESQ_SR_ST_SU_SY_EESZ_S10_S11_S12_S16_S17_S18_S1B_S1C_jS1D_jS1E_S1E_jjS1G_bEUljE0_EEESZ_S10_S11_S18_S1C_S1E_T6_T7_T9_mT8_S1G_bDpT10_ENKUlT_T0_E_clISt17integral_constantIbLb0EES1U_EEDaS1P_S1Q_EUlS1P_E_NS1_11comp_targetILNS1_3genE3ELNS1_11target_archE908ELNS1_3gpuE7ELNS1_3repE0EEENS1_30default_config_static_selectorELNS0_4arch9wavefront6targetE1EEEvS12_,comdat
.Lfunc_end1367:
	.size	_ZN7rocprim17ROCPRIM_400000_NS6detail17trampoline_kernelINS0_13select_configILj256ELj13ELNS0_17block_load_methodE3ELS4_3ELS4_3ELNS0_20block_scan_algorithmE0ELj4294967295EEENS1_25partition_config_selectorILNS1_17partition_subalgoE4EjNS0_10empty_typeEbEEZZNS1_14partition_implILS8_4ELb0ES6_15HIP_vector_typeIjLj2EENS0_17counting_iteratorIjlEEPS9_SG_NS0_5tupleIJPjSI_NS0_16reverse_iteratorISI_EEEEENSH_IJSG_SG_SG_EEES9_SI_JZNS1_25segmented_radix_sort_implINS0_14default_configELb0EPKfPfPKlPlN2at6native12_GLOBAL__N_18offset_tEEE10hipError_tPvRmT1_PNSt15iterator_traitsIS12_E10value_typeET2_T3_PNS13_IS18_E10value_typeET4_jRbjT5_S1E_jjP12ihipStream_tbEUljE_ZNSN_ISO_Lb0ESQ_SR_ST_SU_SY_EESZ_S10_S11_S12_S16_S17_S18_S1B_S1C_jS1D_jS1E_S1E_jjS1G_bEUljE0_EEESZ_S10_S11_S18_S1C_S1E_T6_T7_T9_mT8_S1G_bDpT10_ENKUlT_T0_E_clISt17integral_constantIbLb0EES1U_EEDaS1P_S1Q_EUlS1P_E_NS1_11comp_targetILNS1_3genE3ELNS1_11target_archE908ELNS1_3gpuE7ELNS1_3repE0EEENS1_30default_config_static_selectorELNS0_4arch9wavefront6targetE1EEEvS12_, .Lfunc_end1367-_ZN7rocprim17ROCPRIM_400000_NS6detail17trampoline_kernelINS0_13select_configILj256ELj13ELNS0_17block_load_methodE3ELS4_3ELS4_3ELNS0_20block_scan_algorithmE0ELj4294967295EEENS1_25partition_config_selectorILNS1_17partition_subalgoE4EjNS0_10empty_typeEbEEZZNS1_14partition_implILS8_4ELb0ES6_15HIP_vector_typeIjLj2EENS0_17counting_iteratorIjlEEPS9_SG_NS0_5tupleIJPjSI_NS0_16reverse_iteratorISI_EEEEENSH_IJSG_SG_SG_EEES9_SI_JZNS1_25segmented_radix_sort_implINS0_14default_configELb0EPKfPfPKlPlN2at6native12_GLOBAL__N_18offset_tEEE10hipError_tPvRmT1_PNSt15iterator_traitsIS12_E10value_typeET2_T3_PNS13_IS18_E10value_typeET4_jRbjT5_S1E_jjP12ihipStream_tbEUljE_ZNSN_ISO_Lb0ESQ_SR_ST_SU_SY_EESZ_S10_S11_S12_S16_S17_S18_S1B_S1C_jS1D_jS1E_S1E_jjS1G_bEUljE0_EEESZ_S10_S11_S18_S1C_S1E_T6_T7_T9_mT8_S1G_bDpT10_ENKUlT_T0_E_clISt17integral_constantIbLb0EES1U_EEDaS1P_S1Q_EUlS1P_E_NS1_11comp_targetILNS1_3genE3ELNS1_11target_archE908ELNS1_3gpuE7ELNS1_3repE0EEENS1_30default_config_static_selectorELNS0_4arch9wavefront6targetE1EEEvS12_
                                        ; -- End function
	.set _ZN7rocprim17ROCPRIM_400000_NS6detail17trampoline_kernelINS0_13select_configILj256ELj13ELNS0_17block_load_methodE3ELS4_3ELS4_3ELNS0_20block_scan_algorithmE0ELj4294967295EEENS1_25partition_config_selectorILNS1_17partition_subalgoE4EjNS0_10empty_typeEbEEZZNS1_14partition_implILS8_4ELb0ES6_15HIP_vector_typeIjLj2EENS0_17counting_iteratorIjlEEPS9_SG_NS0_5tupleIJPjSI_NS0_16reverse_iteratorISI_EEEEENSH_IJSG_SG_SG_EEES9_SI_JZNS1_25segmented_radix_sort_implINS0_14default_configELb0EPKfPfPKlPlN2at6native12_GLOBAL__N_18offset_tEEE10hipError_tPvRmT1_PNSt15iterator_traitsIS12_E10value_typeET2_T3_PNS13_IS18_E10value_typeET4_jRbjT5_S1E_jjP12ihipStream_tbEUljE_ZNSN_ISO_Lb0ESQ_SR_ST_SU_SY_EESZ_S10_S11_S12_S16_S17_S18_S1B_S1C_jS1D_jS1E_S1E_jjS1G_bEUljE0_EEESZ_S10_S11_S18_S1C_S1E_T6_T7_T9_mT8_S1G_bDpT10_ENKUlT_T0_E_clISt17integral_constantIbLb0EES1U_EEDaS1P_S1Q_EUlS1P_E_NS1_11comp_targetILNS1_3genE3ELNS1_11target_archE908ELNS1_3gpuE7ELNS1_3repE0EEENS1_30default_config_static_selectorELNS0_4arch9wavefront6targetE1EEEvS12_.num_vgpr, 0
	.set _ZN7rocprim17ROCPRIM_400000_NS6detail17trampoline_kernelINS0_13select_configILj256ELj13ELNS0_17block_load_methodE3ELS4_3ELS4_3ELNS0_20block_scan_algorithmE0ELj4294967295EEENS1_25partition_config_selectorILNS1_17partition_subalgoE4EjNS0_10empty_typeEbEEZZNS1_14partition_implILS8_4ELb0ES6_15HIP_vector_typeIjLj2EENS0_17counting_iteratorIjlEEPS9_SG_NS0_5tupleIJPjSI_NS0_16reverse_iteratorISI_EEEEENSH_IJSG_SG_SG_EEES9_SI_JZNS1_25segmented_radix_sort_implINS0_14default_configELb0EPKfPfPKlPlN2at6native12_GLOBAL__N_18offset_tEEE10hipError_tPvRmT1_PNSt15iterator_traitsIS12_E10value_typeET2_T3_PNS13_IS18_E10value_typeET4_jRbjT5_S1E_jjP12ihipStream_tbEUljE_ZNSN_ISO_Lb0ESQ_SR_ST_SU_SY_EESZ_S10_S11_S12_S16_S17_S18_S1B_S1C_jS1D_jS1E_S1E_jjS1G_bEUljE0_EEESZ_S10_S11_S18_S1C_S1E_T6_T7_T9_mT8_S1G_bDpT10_ENKUlT_T0_E_clISt17integral_constantIbLb0EES1U_EEDaS1P_S1Q_EUlS1P_E_NS1_11comp_targetILNS1_3genE3ELNS1_11target_archE908ELNS1_3gpuE7ELNS1_3repE0EEENS1_30default_config_static_selectorELNS0_4arch9wavefront6targetE1EEEvS12_.num_agpr, 0
	.set _ZN7rocprim17ROCPRIM_400000_NS6detail17trampoline_kernelINS0_13select_configILj256ELj13ELNS0_17block_load_methodE3ELS4_3ELS4_3ELNS0_20block_scan_algorithmE0ELj4294967295EEENS1_25partition_config_selectorILNS1_17partition_subalgoE4EjNS0_10empty_typeEbEEZZNS1_14partition_implILS8_4ELb0ES6_15HIP_vector_typeIjLj2EENS0_17counting_iteratorIjlEEPS9_SG_NS0_5tupleIJPjSI_NS0_16reverse_iteratorISI_EEEEENSH_IJSG_SG_SG_EEES9_SI_JZNS1_25segmented_radix_sort_implINS0_14default_configELb0EPKfPfPKlPlN2at6native12_GLOBAL__N_18offset_tEEE10hipError_tPvRmT1_PNSt15iterator_traitsIS12_E10value_typeET2_T3_PNS13_IS18_E10value_typeET4_jRbjT5_S1E_jjP12ihipStream_tbEUljE_ZNSN_ISO_Lb0ESQ_SR_ST_SU_SY_EESZ_S10_S11_S12_S16_S17_S18_S1B_S1C_jS1D_jS1E_S1E_jjS1G_bEUljE0_EEESZ_S10_S11_S18_S1C_S1E_T6_T7_T9_mT8_S1G_bDpT10_ENKUlT_T0_E_clISt17integral_constantIbLb0EES1U_EEDaS1P_S1Q_EUlS1P_E_NS1_11comp_targetILNS1_3genE3ELNS1_11target_archE908ELNS1_3gpuE7ELNS1_3repE0EEENS1_30default_config_static_selectorELNS0_4arch9wavefront6targetE1EEEvS12_.numbered_sgpr, 0
	.set _ZN7rocprim17ROCPRIM_400000_NS6detail17trampoline_kernelINS0_13select_configILj256ELj13ELNS0_17block_load_methodE3ELS4_3ELS4_3ELNS0_20block_scan_algorithmE0ELj4294967295EEENS1_25partition_config_selectorILNS1_17partition_subalgoE4EjNS0_10empty_typeEbEEZZNS1_14partition_implILS8_4ELb0ES6_15HIP_vector_typeIjLj2EENS0_17counting_iteratorIjlEEPS9_SG_NS0_5tupleIJPjSI_NS0_16reverse_iteratorISI_EEEEENSH_IJSG_SG_SG_EEES9_SI_JZNS1_25segmented_radix_sort_implINS0_14default_configELb0EPKfPfPKlPlN2at6native12_GLOBAL__N_18offset_tEEE10hipError_tPvRmT1_PNSt15iterator_traitsIS12_E10value_typeET2_T3_PNS13_IS18_E10value_typeET4_jRbjT5_S1E_jjP12ihipStream_tbEUljE_ZNSN_ISO_Lb0ESQ_SR_ST_SU_SY_EESZ_S10_S11_S12_S16_S17_S18_S1B_S1C_jS1D_jS1E_S1E_jjS1G_bEUljE0_EEESZ_S10_S11_S18_S1C_S1E_T6_T7_T9_mT8_S1G_bDpT10_ENKUlT_T0_E_clISt17integral_constantIbLb0EES1U_EEDaS1P_S1Q_EUlS1P_E_NS1_11comp_targetILNS1_3genE3ELNS1_11target_archE908ELNS1_3gpuE7ELNS1_3repE0EEENS1_30default_config_static_selectorELNS0_4arch9wavefront6targetE1EEEvS12_.num_named_barrier, 0
	.set _ZN7rocprim17ROCPRIM_400000_NS6detail17trampoline_kernelINS0_13select_configILj256ELj13ELNS0_17block_load_methodE3ELS4_3ELS4_3ELNS0_20block_scan_algorithmE0ELj4294967295EEENS1_25partition_config_selectorILNS1_17partition_subalgoE4EjNS0_10empty_typeEbEEZZNS1_14partition_implILS8_4ELb0ES6_15HIP_vector_typeIjLj2EENS0_17counting_iteratorIjlEEPS9_SG_NS0_5tupleIJPjSI_NS0_16reverse_iteratorISI_EEEEENSH_IJSG_SG_SG_EEES9_SI_JZNS1_25segmented_radix_sort_implINS0_14default_configELb0EPKfPfPKlPlN2at6native12_GLOBAL__N_18offset_tEEE10hipError_tPvRmT1_PNSt15iterator_traitsIS12_E10value_typeET2_T3_PNS13_IS18_E10value_typeET4_jRbjT5_S1E_jjP12ihipStream_tbEUljE_ZNSN_ISO_Lb0ESQ_SR_ST_SU_SY_EESZ_S10_S11_S12_S16_S17_S18_S1B_S1C_jS1D_jS1E_S1E_jjS1G_bEUljE0_EEESZ_S10_S11_S18_S1C_S1E_T6_T7_T9_mT8_S1G_bDpT10_ENKUlT_T0_E_clISt17integral_constantIbLb0EES1U_EEDaS1P_S1Q_EUlS1P_E_NS1_11comp_targetILNS1_3genE3ELNS1_11target_archE908ELNS1_3gpuE7ELNS1_3repE0EEENS1_30default_config_static_selectorELNS0_4arch9wavefront6targetE1EEEvS12_.private_seg_size, 0
	.set _ZN7rocprim17ROCPRIM_400000_NS6detail17trampoline_kernelINS0_13select_configILj256ELj13ELNS0_17block_load_methodE3ELS4_3ELS4_3ELNS0_20block_scan_algorithmE0ELj4294967295EEENS1_25partition_config_selectorILNS1_17partition_subalgoE4EjNS0_10empty_typeEbEEZZNS1_14partition_implILS8_4ELb0ES6_15HIP_vector_typeIjLj2EENS0_17counting_iteratorIjlEEPS9_SG_NS0_5tupleIJPjSI_NS0_16reverse_iteratorISI_EEEEENSH_IJSG_SG_SG_EEES9_SI_JZNS1_25segmented_radix_sort_implINS0_14default_configELb0EPKfPfPKlPlN2at6native12_GLOBAL__N_18offset_tEEE10hipError_tPvRmT1_PNSt15iterator_traitsIS12_E10value_typeET2_T3_PNS13_IS18_E10value_typeET4_jRbjT5_S1E_jjP12ihipStream_tbEUljE_ZNSN_ISO_Lb0ESQ_SR_ST_SU_SY_EESZ_S10_S11_S12_S16_S17_S18_S1B_S1C_jS1D_jS1E_S1E_jjS1G_bEUljE0_EEESZ_S10_S11_S18_S1C_S1E_T6_T7_T9_mT8_S1G_bDpT10_ENKUlT_T0_E_clISt17integral_constantIbLb0EES1U_EEDaS1P_S1Q_EUlS1P_E_NS1_11comp_targetILNS1_3genE3ELNS1_11target_archE908ELNS1_3gpuE7ELNS1_3repE0EEENS1_30default_config_static_selectorELNS0_4arch9wavefront6targetE1EEEvS12_.uses_vcc, 0
	.set _ZN7rocprim17ROCPRIM_400000_NS6detail17trampoline_kernelINS0_13select_configILj256ELj13ELNS0_17block_load_methodE3ELS4_3ELS4_3ELNS0_20block_scan_algorithmE0ELj4294967295EEENS1_25partition_config_selectorILNS1_17partition_subalgoE4EjNS0_10empty_typeEbEEZZNS1_14partition_implILS8_4ELb0ES6_15HIP_vector_typeIjLj2EENS0_17counting_iteratorIjlEEPS9_SG_NS0_5tupleIJPjSI_NS0_16reverse_iteratorISI_EEEEENSH_IJSG_SG_SG_EEES9_SI_JZNS1_25segmented_radix_sort_implINS0_14default_configELb0EPKfPfPKlPlN2at6native12_GLOBAL__N_18offset_tEEE10hipError_tPvRmT1_PNSt15iterator_traitsIS12_E10value_typeET2_T3_PNS13_IS18_E10value_typeET4_jRbjT5_S1E_jjP12ihipStream_tbEUljE_ZNSN_ISO_Lb0ESQ_SR_ST_SU_SY_EESZ_S10_S11_S12_S16_S17_S18_S1B_S1C_jS1D_jS1E_S1E_jjS1G_bEUljE0_EEESZ_S10_S11_S18_S1C_S1E_T6_T7_T9_mT8_S1G_bDpT10_ENKUlT_T0_E_clISt17integral_constantIbLb0EES1U_EEDaS1P_S1Q_EUlS1P_E_NS1_11comp_targetILNS1_3genE3ELNS1_11target_archE908ELNS1_3gpuE7ELNS1_3repE0EEENS1_30default_config_static_selectorELNS0_4arch9wavefront6targetE1EEEvS12_.uses_flat_scratch, 0
	.set _ZN7rocprim17ROCPRIM_400000_NS6detail17trampoline_kernelINS0_13select_configILj256ELj13ELNS0_17block_load_methodE3ELS4_3ELS4_3ELNS0_20block_scan_algorithmE0ELj4294967295EEENS1_25partition_config_selectorILNS1_17partition_subalgoE4EjNS0_10empty_typeEbEEZZNS1_14partition_implILS8_4ELb0ES6_15HIP_vector_typeIjLj2EENS0_17counting_iteratorIjlEEPS9_SG_NS0_5tupleIJPjSI_NS0_16reverse_iteratorISI_EEEEENSH_IJSG_SG_SG_EEES9_SI_JZNS1_25segmented_radix_sort_implINS0_14default_configELb0EPKfPfPKlPlN2at6native12_GLOBAL__N_18offset_tEEE10hipError_tPvRmT1_PNSt15iterator_traitsIS12_E10value_typeET2_T3_PNS13_IS18_E10value_typeET4_jRbjT5_S1E_jjP12ihipStream_tbEUljE_ZNSN_ISO_Lb0ESQ_SR_ST_SU_SY_EESZ_S10_S11_S12_S16_S17_S18_S1B_S1C_jS1D_jS1E_S1E_jjS1G_bEUljE0_EEESZ_S10_S11_S18_S1C_S1E_T6_T7_T9_mT8_S1G_bDpT10_ENKUlT_T0_E_clISt17integral_constantIbLb0EES1U_EEDaS1P_S1Q_EUlS1P_E_NS1_11comp_targetILNS1_3genE3ELNS1_11target_archE908ELNS1_3gpuE7ELNS1_3repE0EEENS1_30default_config_static_selectorELNS0_4arch9wavefront6targetE1EEEvS12_.has_dyn_sized_stack, 0
	.set _ZN7rocprim17ROCPRIM_400000_NS6detail17trampoline_kernelINS0_13select_configILj256ELj13ELNS0_17block_load_methodE3ELS4_3ELS4_3ELNS0_20block_scan_algorithmE0ELj4294967295EEENS1_25partition_config_selectorILNS1_17partition_subalgoE4EjNS0_10empty_typeEbEEZZNS1_14partition_implILS8_4ELb0ES6_15HIP_vector_typeIjLj2EENS0_17counting_iteratorIjlEEPS9_SG_NS0_5tupleIJPjSI_NS0_16reverse_iteratorISI_EEEEENSH_IJSG_SG_SG_EEES9_SI_JZNS1_25segmented_radix_sort_implINS0_14default_configELb0EPKfPfPKlPlN2at6native12_GLOBAL__N_18offset_tEEE10hipError_tPvRmT1_PNSt15iterator_traitsIS12_E10value_typeET2_T3_PNS13_IS18_E10value_typeET4_jRbjT5_S1E_jjP12ihipStream_tbEUljE_ZNSN_ISO_Lb0ESQ_SR_ST_SU_SY_EESZ_S10_S11_S12_S16_S17_S18_S1B_S1C_jS1D_jS1E_S1E_jjS1G_bEUljE0_EEESZ_S10_S11_S18_S1C_S1E_T6_T7_T9_mT8_S1G_bDpT10_ENKUlT_T0_E_clISt17integral_constantIbLb0EES1U_EEDaS1P_S1Q_EUlS1P_E_NS1_11comp_targetILNS1_3genE3ELNS1_11target_archE908ELNS1_3gpuE7ELNS1_3repE0EEENS1_30default_config_static_selectorELNS0_4arch9wavefront6targetE1EEEvS12_.has_recursion, 0
	.set _ZN7rocprim17ROCPRIM_400000_NS6detail17trampoline_kernelINS0_13select_configILj256ELj13ELNS0_17block_load_methodE3ELS4_3ELS4_3ELNS0_20block_scan_algorithmE0ELj4294967295EEENS1_25partition_config_selectorILNS1_17partition_subalgoE4EjNS0_10empty_typeEbEEZZNS1_14partition_implILS8_4ELb0ES6_15HIP_vector_typeIjLj2EENS0_17counting_iteratorIjlEEPS9_SG_NS0_5tupleIJPjSI_NS0_16reverse_iteratorISI_EEEEENSH_IJSG_SG_SG_EEES9_SI_JZNS1_25segmented_radix_sort_implINS0_14default_configELb0EPKfPfPKlPlN2at6native12_GLOBAL__N_18offset_tEEE10hipError_tPvRmT1_PNSt15iterator_traitsIS12_E10value_typeET2_T3_PNS13_IS18_E10value_typeET4_jRbjT5_S1E_jjP12ihipStream_tbEUljE_ZNSN_ISO_Lb0ESQ_SR_ST_SU_SY_EESZ_S10_S11_S12_S16_S17_S18_S1B_S1C_jS1D_jS1E_S1E_jjS1G_bEUljE0_EEESZ_S10_S11_S18_S1C_S1E_T6_T7_T9_mT8_S1G_bDpT10_ENKUlT_T0_E_clISt17integral_constantIbLb0EES1U_EEDaS1P_S1Q_EUlS1P_E_NS1_11comp_targetILNS1_3genE3ELNS1_11target_archE908ELNS1_3gpuE7ELNS1_3repE0EEENS1_30default_config_static_selectorELNS0_4arch9wavefront6targetE1EEEvS12_.has_indirect_call, 0
	.section	.AMDGPU.csdata,"",@progbits
; Kernel info:
; codeLenInByte = 0
; TotalNumSgprs: 4
; NumVgprs: 0
; ScratchSize: 0
; MemoryBound: 0
; FloatMode: 240
; IeeeMode: 1
; LDSByteSize: 0 bytes/workgroup (compile time only)
; SGPRBlocks: 0
; VGPRBlocks: 0
; NumSGPRsForWavesPerEU: 4
; NumVGPRsForWavesPerEU: 1
; Occupancy: 10
; WaveLimiterHint : 0
; COMPUTE_PGM_RSRC2:SCRATCH_EN: 0
; COMPUTE_PGM_RSRC2:USER_SGPR: 6
; COMPUTE_PGM_RSRC2:TRAP_HANDLER: 0
; COMPUTE_PGM_RSRC2:TGID_X_EN: 1
; COMPUTE_PGM_RSRC2:TGID_Y_EN: 0
; COMPUTE_PGM_RSRC2:TGID_Z_EN: 0
; COMPUTE_PGM_RSRC2:TIDIG_COMP_CNT: 0
	.section	.text._ZN7rocprim17ROCPRIM_400000_NS6detail17trampoline_kernelINS0_13select_configILj256ELj13ELNS0_17block_load_methodE3ELS4_3ELS4_3ELNS0_20block_scan_algorithmE0ELj4294967295EEENS1_25partition_config_selectorILNS1_17partition_subalgoE4EjNS0_10empty_typeEbEEZZNS1_14partition_implILS8_4ELb0ES6_15HIP_vector_typeIjLj2EENS0_17counting_iteratorIjlEEPS9_SG_NS0_5tupleIJPjSI_NS0_16reverse_iteratorISI_EEEEENSH_IJSG_SG_SG_EEES9_SI_JZNS1_25segmented_radix_sort_implINS0_14default_configELb0EPKfPfPKlPlN2at6native12_GLOBAL__N_18offset_tEEE10hipError_tPvRmT1_PNSt15iterator_traitsIS12_E10value_typeET2_T3_PNS13_IS18_E10value_typeET4_jRbjT5_S1E_jjP12ihipStream_tbEUljE_ZNSN_ISO_Lb0ESQ_SR_ST_SU_SY_EESZ_S10_S11_S12_S16_S17_S18_S1B_S1C_jS1D_jS1E_S1E_jjS1G_bEUljE0_EEESZ_S10_S11_S18_S1C_S1E_T6_T7_T9_mT8_S1G_bDpT10_ENKUlT_T0_E_clISt17integral_constantIbLb0EES1U_EEDaS1P_S1Q_EUlS1P_E_NS1_11comp_targetILNS1_3genE2ELNS1_11target_archE906ELNS1_3gpuE6ELNS1_3repE0EEENS1_30default_config_static_selectorELNS0_4arch9wavefront6targetE1EEEvS12_,"axG",@progbits,_ZN7rocprim17ROCPRIM_400000_NS6detail17trampoline_kernelINS0_13select_configILj256ELj13ELNS0_17block_load_methodE3ELS4_3ELS4_3ELNS0_20block_scan_algorithmE0ELj4294967295EEENS1_25partition_config_selectorILNS1_17partition_subalgoE4EjNS0_10empty_typeEbEEZZNS1_14partition_implILS8_4ELb0ES6_15HIP_vector_typeIjLj2EENS0_17counting_iteratorIjlEEPS9_SG_NS0_5tupleIJPjSI_NS0_16reverse_iteratorISI_EEEEENSH_IJSG_SG_SG_EEES9_SI_JZNS1_25segmented_radix_sort_implINS0_14default_configELb0EPKfPfPKlPlN2at6native12_GLOBAL__N_18offset_tEEE10hipError_tPvRmT1_PNSt15iterator_traitsIS12_E10value_typeET2_T3_PNS13_IS18_E10value_typeET4_jRbjT5_S1E_jjP12ihipStream_tbEUljE_ZNSN_ISO_Lb0ESQ_SR_ST_SU_SY_EESZ_S10_S11_S12_S16_S17_S18_S1B_S1C_jS1D_jS1E_S1E_jjS1G_bEUljE0_EEESZ_S10_S11_S18_S1C_S1E_T6_T7_T9_mT8_S1G_bDpT10_ENKUlT_T0_E_clISt17integral_constantIbLb0EES1U_EEDaS1P_S1Q_EUlS1P_E_NS1_11comp_targetILNS1_3genE2ELNS1_11target_archE906ELNS1_3gpuE6ELNS1_3repE0EEENS1_30default_config_static_selectorELNS0_4arch9wavefront6targetE1EEEvS12_,comdat
	.globl	_ZN7rocprim17ROCPRIM_400000_NS6detail17trampoline_kernelINS0_13select_configILj256ELj13ELNS0_17block_load_methodE3ELS4_3ELS4_3ELNS0_20block_scan_algorithmE0ELj4294967295EEENS1_25partition_config_selectorILNS1_17partition_subalgoE4EjNS0_10empty_typeEbEEZZNS1_14partition_implILS8_4ELb0ES6_15HIP_vector_typeIjLj2EENS0_17counting_iteratorIjlEEPS9_SG_NS0_5tupleIJPjSI_NS0_16reverse_iteratorISI_EEEEENSH_IJSG_SG_SG_EEES9_SI_JZNS1_25segmented_radix_sort_implINS0_14default_configELb0EPKfPfPKlPlN2at6native12_GLOBAL__N_18offset_tEEE10hipError_tPvRmT1_PNSt15iterator_traitsIS12_E10value_typeET2_T3_PNS13_IS18_E10value_typeET4_jRbjT5_S1E_jjP12ihipStream_tbEUljE_ZNSN_ISO_Lb0ESQ_SR_ST_SU_SY_EESZ_S10_S11_S12_S16_S17_S18_S1B_S1C_jS1D_jS1E_S1E_jjS1G_bEUljE0_EEESZ_S10_S11_S18_S1C_S1E_T6_T7_T9_mT8_S1G_bDpT10_ENKUlT_T0_E_clISt17integral_constantIbLb0EES1U_EEDaS1P_S1Q_EUlS1P_E_NS1_11comp_targetILNS1_3genE2ELNS1_11target_archE906ELNS1_3gpuE6ELNS1_3repE0EEENS1_30default_config_static_selectorELNS0_4arch9wavefront6targetE1EEEvS12_ ; -- Begin function _ZN7rocprim17ROCPRIM_400000_NS6detail17trampoline_kernelINS0_13select_configILj256ELj13ELNS0_17block_load_methodE3ELS4_3ELS4_3ELNS0_20block_scan_algorithmE0ELj4294967295EEENS1_25partition_config_selectorILNS1_17partition_subalgoE4EjNS0_10empty_typeEbEEZZNS1_14partition_implILS8_4ELb0ES6_15HIP_vector_typeIjLj2EENS0_17counting_iteratorIjlEEPS9_SG_NS0_5tupleIJPjSI_NS0_16reverse_iteratorISI_EEEEENSH_IJSG_SG_SG_EEES9_SI_JZNS1_25segmented_radix_sort_implINS0_14default_configELb0EPKfPfPKlPlN2at6native12_GLOBAL__N_18offset_tEEE10hipError_tPvRmT1_PNSt15iterator_traitsIS12_E10value_typeET2_T3_PNS13_IS18_E10value_typeET4_jRbjT5_S1E_jjP12ihipStream_tbEUljE_ZNSN_ISO_Lb0ESQ_SR_ST_SU_SY_EESZ_S10_S11_S12_S16_S17_S18_S1B_S1C_jS1D_jS1E_S1E_jjS1G_bEUljE0_EEESZ_S10_S11_S18_S1C_S1E_T6_T7_T9_mT8_S1G_bDpT10_ENKUlT_T0_E_clISt17integral_constantIbLb0EES1U_EEDaS1P_S1Q_EUlS1P_E_NS1_11comp_targetILNS1_3genE2ELNS1_11target_archE906ELNS1_3gpuE6ELNS1_3repE0EEENS1_30default_config_static_selectorELNS0_4arch9wavefront6targetE1EEEvS12_
	.p2align	8
	.type	_ZN7rocprim17ROCPRIM_400000_NS6detail17trampoline_kernelINS0_13select_configILj256ELj13ELNS0_17block_load_methodE3ELS4_3ELS4_3ELNS0_20block_scan_algorithmE0ELj4294967295EEENS1_25partition_config_selectorILNS1_17partition_subalgoE4EjNS0_10empty_typeEbEEZZNS1_14partition_implILS8_4ELb0ES6_15HIP_vector_typeIjLj2EENS0_17counting_iteratorIjlEEPS9_SG_NS0_5tupleIJPjSI_NS0_16reverse_iteratorISI_EEEEENSH_IJSG_SG_SG_EEES9_SI_JZNS1_25segmented_radix_sort_implINS0_14default_configELb0EPKfPfPKlPlN2at6native12_GLOBAL__N_18offset_tEEE10hipError_tPvRmT1_PNSt15iterator_traitsIS12_E10value_typeET2_T3_PNS13_IS18_E10value_typeET4_jRbjT5_S1E_jjP12ihipStream_tbEUljE_ZNSN_ISO_Lb0ESQ_SR_ST_SU_SY_EESZ_S10_S11_S12_S16_S17_S18_S1B_S1C_jS1D_jS1E_S1E_jjS1G_bEUljE0_EEESZ_S10_S11_S18_S1C_S1E_T6_T7_T9_mT8_S1G_bDpT10_ENKUlT_T0_E_clISt17integral_constantIbLb0EES1U_EEDaS1P_S1Q_EUlS1P_E_NS1_11comp_targetILNS1_3genE2ELNS1_11target_archE906ELNS1_3gpuE6ELNS1_3repE0EEENS1_30default_config_static_selectorELNS0_4arch9wavefront6targetE1EEEvS12_,@function
_ZN7rocprim17ROCPRIM_400000_NS6detail17trampoline_kernelINS0_13select_configILj256ELj13ELNS0_17block_load_methodE3ELS4_3ELS4_3ELNS0_20block_scan_algorithmE0ELj4294967295EEENS1_25partition_config_selectorILNS1_17partition_subalgoE4EjNS0_10empty_typeEbEEZZNS1_14partition_implILS8_4ELb0ES6_15HIP_vector_typeIjLj2EENS0_17counting_iteratorIjlEEPS9_SG_NS0_5tupleIJPjSI_NS0_16reverse_iteratorISI_EEEEENSH_IJSG_SG_SG_EEES9_SI_JZNS1_25segmented_radix_sort_implINS0_14default_configELb0EPKfPfPKlPlN2at6native12_GLOBAL__N_18offset_tEEE10hipError_tPvRmT1_PNSt15iterator_traitsIS12_E10value_typeET2_T3_PNS13_IS18_E10value_typeET4_jRbjT5_S1E_jjP12ihipStream_tbEUljE_ZNSN_ISO_Lb0ESQ_SR_ST_SU_SY_EESZ_S10_S11_S12_S16_S17_S18_S1B_S1C_jS1D_jS1E_S1E_jjS1G_bEUljE0_EEESZ_S10_S11_S18_S1C_S1E_T6_T7_T9_mT8_S1G_bDpT10_ENKUlT_T0_E_clISt17integral_constantIbLb0EES1U_EEDaS1P_S1Q_EUlS1P_E_NS1_11comp_targetILNS1_3genE2ELNS1_11target_archE906ELNS1_3gpuE6ELNS1_3repE0EEENS1_30default_config_static_selectorELNS0_4arch9wavefront6targetE1EEEvS12_: ; @_ZN7rocprim17ROCPRIM_400000_NS6detail17trampoline_kernelINS0_13select_configILj256ELj13ELNS0_17block_load_methodE3ELS4_3ELS4_3ELNS0_20block_scan_algorithmE0ELj4294967295EEENS1_25partition_config_selectorILNS1_17partition_subalgoE4EjNS0_10empty_typeEbEEZZNS1_14partition_implILS8_4ELb0ES6_15HIP_vector_typeIjLj2EENS0_17counting_iteratorIjlEEPS9_SG_NS0_5tupleIJPjSI_NS0_16reverse_iteratorISI_EEEEENSH_IJSG_SG_SG_EEES9_SI_JZNS1_25segmented_radix_sort_implINS0_14default_configELb0EPKfPfPKlPlN2at6native12_GLOBAL__N_18offset_tEEE10hipError_tPvRmT1_PNSt15iterator_traitsIS12_E10value_typeET2_T3_PNS13_IS18_E10value_typeET4_jRbjT5_S1E_jjP12ihipStream_tbEUljE_ZNSN_ISO_Lb0ESQ_SR_ST_SU_SY_EESZ_S10_S11_S12_S16_S17_S18_S1B_S1C_jS1D_jS1E_S1E_jjS1G_bEUljE0_EEESZ_S10_S11_S18_S1C_S1E_T6_T7_T9_mT8_S1G_bDpT10_ENKUlT_T0_E_clISt17integral_constantIbLb0EES1U_EEDaS1P_S1Q_EUlS1P_E_NS1_11comp_targetILNS1_3genE2ELNS1_11target_archE906ELNS1_3gpuE6ELNS1_3repE0EEENS1_30default_config_static_selectorELNS0_4arch9wavefront6targetE1EEEvS12_
; %bb.0:
	s_load_dwordx2 s[0:1], s[4:5], 0x68
	s_load_dwordx4 s[44:47], s[4:5], 0x58
	s_load_dword s8, s[4:5], 0x8
	s_load_dwordx2 s[56:57], s[4:5], 0x10
	s_load_dword s7, s[4:5], 0x80
	s_load_dwordx2 s[58:59], s[4:5], 0xa8
	s_load_dwordx8 s[36:43], s[4:5], 0x88
	s_waitcnt lgkmcnt(0)
	s_load_dwordx4 s[48:51], s[46:47], 0x0
	s_mul_i32 s33, s6, 0xd00
	s_add_i32 s9, s7, -1
	s_mulk_i32 s7, 0xd00
	s_add_u32 s2, s56, s7
	s_addc_u32 s3, s57, 0
	v_mov_b32_e32 v1, s2
	v_mov_b32_e32 v2, s3
	s_cmp_eq_u32 s6, s9
	v_cmp_gt_u64_e32 vcc, s[0:1], v[1:2]
	s_cselect_b64 s[34:35], -1, 0
	s_cmp_lg_u32 s6, s9
	s_cselect_b64 s[2:3], -1, 0
	s_add_i32 s1, s8, s33
	s_or_b64 s[2:3], s[2:3], vcc
	s_add_i32 s1, s1, s56
	s_mov_b64 s[8:9], -1
	s_and_b64 vcc, exec, s[2:3]
	v_add_u32_e32 v1, s1, v0
	s_cbranch_vccz .LBB1368_2
; %bb.1:
	v_add_u32_e32 v2, 0x100, v1
	v_lshlrev_b32_e32 v14, 2, v0
	v_add_u32_e32 v3, 0x200, v1
	v_add_u32_e32 v4, 0x300, v1
	;; [unrolled: 1-line block ×11, first 2 shown]
	ds_write2st64_b32 v14, v1, v2 offset1:4
	ds_write2st64_b32 v14, v3, v4 offset0:8 offset1:12
	ds_write2st64_b32 v14, v5, v6 offset0:16 offset1:20
	;; [unrolled: 1-line block ×5, first 2 shown]
	ds_write_b32 v14, v13 offset:12288
	s_waitcnt lgkmcnt(0)
	s_barrier
	s_mov_b64 s[8:9], 0
.LBB1368_2:
	s_andn2_b64 vcc, exec, s[8:9]
	s_add_i32 s7, s7, s56
	s_cbranch_vccnz .LBB1368_4
; %bb.3:
	v_add_u32_e32 v2, 0x100, v1
	v_lshlrev_b32_e32 v14, 2, v0
	v_add_u32_e32 v3, 0x200, v1
	v_add_u32_e32 v4, 0x300, v1
	v_add_u32_e32 v5, 0x400, v1
	v_add_u32_e32 v6, 0x500, v1
	v_add_u32_e32 v7, 0x600, v1
	v_add_u32_e32 v8, 0x700, v1
	v_add_u32_e32 v9, 0x800, v1
	v_add_u32_e32 v10, 0x900, v1
	v_add_u32_e32 v11, 0xa00, v1
	v_add_u32_e32 v12, 0xb00, v1
	v_add_u32_e32 v13, 0xc00, v1
	ds_write2st64_b32 v14, v1, v2 offset1:4
	ds_write2st64_b32 v14, v3, v4 offset0:8 offset1:12
	ds_write2st64_b32 v14, v5, v6 offset0:16 offset1:20
	;; [unrolled: 1-line block ×5, first 2 shown]
	ds_write_b32 v14, v13 offset:12288
	s_waitcnt lgkmcnt(0)
	s_barrier
.LBB1368_4:
	v_mul_u32_u24_e32 v30, 13, v0
	v_lshlrev_b32_e32 v1, 2, v30
	s_load_dwordx4 s[52:55], s[4:5], 0x28
	s_load_dwordx2 s[46:47], s[4:5], 0x38
	s_waitcnt lgkmcnt(0)
	ds_read_b32 v29, v1 offset:48
	ds_read2_b32 v[9:10], v1 offset0:10 offset1:11
	ds_read2_b32 v[11:12], v1 offset0:8 offset1:9
	;; [unrolled: 1-line block ×4, first 2 shown]
	ds_read2_b32 v[19:20], v1 offset1:1
	ds_read2_b32 v[17:18], v1 offset0:2 offset1:3
	v_cndmask_b32_e64 v1, 0, 1, s[2:3]
	s_sub_i32 s7, s0, s7
	v_cmp_ne_u32_e64 s[0:1], 1, v1
	s_andn2_b64 vcc, exec, s[2:3]
	s_waitcnt lgkmcnt(0)
	s_barrier
	s_cbranch_vccnz .LBB1368_32
; %bb.5:
	v_add_u32_e32 v1, s37, v19
	v_add_u32_e32 v2, s39, v19
	v_mul_lo_u32 v1, v1, s36
	v_mul_lo_u32 v2, v2, s38
	s_mov_b64 s[62:63], 0
	s_mov_b64 s[60:61], 0
	v_sub_u32_e32 v1, v1, v2
	v_cmp_lt_u32_e32 vcc, s40, v1
	v_cmp_ge_u32_e64 s[2:3], s40, v1
	s_and_saveexec_b64 s[8:9], s[2:3]
	s_cbranch_execz .LBB1368_7
; %bb.6:
	v_add_u32_e32 v1, s42, v19
	v_add_u32_e32 v2, s58, v19
	v_mul_lo_u32 v1, v1, s41
	v_mul_lo_u32 v2, v2, s43
	v_sub_u32_e32 v1, v1, v2
	v_cmp_lt_u32_e64 s[2:3], s59, v1
	s_and_b64 s[60:61], s[2:3], exec
.LBB1368_7:
	s_or_b64 exec, exec, s[8:9]
	v_add_u32_e32 v1, s37, v20
	v_add_u32_e32 v2, s39, v20
	v_mul_lo_u32 v1, v1, s36
	v_mul_lo_u32 v2, v2, s38
	v_sub_u32_e32 v1, v1, v2
	v_cmp_lt_u32_e64 s[2:3], s40, v1
	v_cmp_ge_u32_e64 s[8:9], s40, v1
	s_and_saveexec_b64 s[10:11], s[8:9]
	s_cbranch_execz .LBB1368_9
; %bb.8:
	v_add_u32_e32 v1, s42, v20
	v_add_u32_e32 v2, s58, v20
	v_mul_lo_u32 v1, v1, s41
	v_mul_lo_u32 v2, v2, s43
	v_sub_u32_e32 v1, v1, v2
	v_cmp_lt_u32_e64 s[8:9], s59, v1
	s_and_b64 s[62:63], s[8:9], exec
.LBB1368_9:
	s_or_b64 exec, exec, s[10:11]
	v_add_u32_e32 v1, s37, v17
	v_add_u32_e32 v2, s39, v17
	v_mul_lo_u32 v1, v1, s36
	v_mul_lo_u32 v2, v2, s38
	s_mov_b64 s[66:67], 0
	s_mov_b64 s[64:65], 0
	v_sub_u32_e32 v1, v1, v2
	v_cmp_lt_u32_e64 s[28:29], s40, v1
	v_cmp_ge_u32_e64 s[8:9], s40, v1
	s_and_saveexec_b64 s[10:11], s[8:9]
	s_cbranch_execz .LBB1368_11
; %bb.10:
	v_add_u32_e32 v1, s42, v17
	v_add_u32_e32 v2, s58, v17
	v_mul_lo_u32 v1, v1, s41
	v_mul_lo_u32 v2, v2, s43
	v_sub_u32_e32 v1, v1, v2
	v_cmp_lt_u32_e64 s[8:9], s59, v1
	s_and_b64 s[64:65], s[8:9], exec
.LBB1368_11:
	s_or_b64 exec, exec, s[10:11]
	v_add_u32_e32 v1, s37, v18
	v_add_u32_e32 v2, s39, v18
	v_mul_lo_u32 v1, v1, s36
	v_mul_lo_u32 v2, v2, s38
	v_sub_u32_e32 v1, v1, v2
	v_cmp_lt_u32_e64 s[8:9], s40, v1
	v_cmp_ge_u32_e64 s[10:11], s40, v1
	s_and_saveexec_b64 s[12:13], s[10:11]
	s_cbranch_execz .LBB1368_13
; %bb.12:
	v_add_u32_e32 v1, s42, v18
	v_add_u32_e32 v2, s58, v18
	v_mul_lo_u32 v1, v1, s41
	v_mul_lo_u32 v2, v2, s43
	v_sub_u32_e32 v1, v1, v2
	v_cmp_lt_u32_e64 s[10:11], s59, v1
	s_and_b64 s[66:67], s[10:11], exec
.LBB1368_13:
	s_or_b64 exec, exec, s[12:13]
	v_add_u32_e32 v1, s37, v15
	v_add_u32_e32 v2, s39, v15
	v_mul_lo_u32 v1, v1, s36
	v_mul_lo_u32 v2, v2, s38
	s_mov_b64 s[70:71], 0
	s_mov_b64 s[68:69], 0
	v_sub_u32_e32 v1, v1, v2
	v_cmp_lt_u32_e64 s[10:11], s40, v1
	;; [unrolled: 40-line block ×6, first 2 shown]
	v_cmp_ge_u32_e64 s[30:31], s40, v1
	s_and_saveexec_b64 s[88:89], s[30:31]
	s_cbranch_execz .LBB1368_31
; %bb.30:
	v_add_u32_e32 v1, s42, v29
	v_add_u32_e32 v2, s58, v29
	v_mul_lo_u32 v1, v1, s41
	v_mul_lo_u32 v2, v2, s43
	v_sub_u32_e32 v1, v1, v2
	v_cmp_lt_u32_e64 s[30:31], s59, v1
	s_and_b64 s[86:87], s[30:31], exec
.LBB1368_31:
	s_or_b64 exec, exec, s[88:89]
	v_cndmask_b32_e64 v2, 0, 1, s[2:3]
	v_cndmask_b32_e64 v1, 0, 1, vcc
	v_cndmask_b32_e64 v4, 0, 1, s[8:9]
	v_lshlrev_b16_e32 v2, 8, v2
	v_cndmask_b32_e64 v3, 0, 1, s[28:29]
	v_or_b32_e32 v1, v1, v2
	v_lshlrev_b16_e32 v2, 8, v4
	v_cndmask_b32_e64 v6, 0, 1, s[12:13]
	v_cndmask_b32_e64 v8, 0, 1, s[16:17]
	v_or_b32_sdwa v2, v3, v2 dst_sel:WORD_1 dst_unused:UNUSED_PAD src0_sel:DWORD src1_sel:DWORD
	v_cndmask_b32_e64 v5, 0, 1, s[10:11]
	v_cndmask_b32_e64 v7, 0, 1, s[14:15]
	v_or_b32_sdwa v31, v1, v2 dst_sel:DWORD dst_unused:UNUSED_PAD src0_sel:WORD_0 src1_sel:DWORD
	v_lshlrev_b16_e32 v1, 8, v6
	v_lshlrev_b16_e32 v2, 8, v8
	v_cndmask_b32_e64 v22, 0, 1, s[20:21]
	v_cndmask_b32_e64 v25, 0, 1, s[24:25]
	v_or_b32_e32 v1, v5, v1
	v_or_b32_sdwa v2, v7, v2 dst_sel:WORD_1 dst_unused:UNUSED_PAD src0_sel:DWORD src1_sel:DWORD
	v_cndmask_b32_e64 v21, 0, 1, s[18:19]
	v_cndmask_b32_e64 v23, 0, 1, s[22:23]
	v_or_b32_sdwa v33, v1, v2 dst_sel:DWORD dst_unused:UNUSED_PAD src0_sel:WORD_0 src1_sel:DWORD
	v_lshlrev_b16_e32 v1, 8, v22
	v_lshlrev_b16_e32 v2, 8, v25
	v_cndmask_b32_e64 v37, 0, 1, s[64:65]
	v_cndmask_b32_e64 v42, 0, 1, s[60:61]
	v_or_b32_e32 v1, v21, v1
	;; [unrolled: 9-line block ×4, first 2 shown]
	v_or_b32_sdwa v2, v34, v2 dst_sel:WORD_1 dst_unused:UNUSED_PAD src0_sel:DWORD src1_sel:DWORD
	v_cndmask_b32_e64 v26, 0, 1, s[78:79]
	v_cndmask_b32_e64 v28, 0, 1, s[74:75]
	v_or_b32_sdwa v32, v1, v2 dst_sel:DWORD dst_unused:UNUSED_PAD src0_sel:WORD_0 src1_sel:DWORD
	v_lshlrev_b16_e32 v1, 8, v27
	v_lshlrev_b16_e32 v2, 8, v24
	v_or_b32_e32 v1, v28, v1
	v_or_b32_sdwa v2, v26, v2 dst_sel:WORD_1 dst_unused:UNUSED_PAD src0_sel:DWORD src1_sel:DWORD
	v_cndmask_b32_e64 v35, 0, 1, s[82:83]
	v_cndmask_b32_e64 v38, 0, 1, s[86:87]
	v_or_b32_sdwa v34, v1, v2 dst_sel:DWORD dst_unused:UNUSED_PAD src0_sel:WORD_0 src1_sel:DWORD
	s_load_dwordx2 s[12:13], s[4:5], 0x78
	s_add_i32 s18, s7, 0xd00
	s_and_b64 vcc, exec, s[80:81]
	s_cbranch_vccnz .LBB1368_33
	s_branch .LBB1368_110
.LBB1368_32:
                                        ; implicit-def: $vgpr38
                                        ; implicit-def: $vgpr35
                                        ; implicit-def: $vgpr34
                                        ; implicit-def: $vgpr32
                                        ; implicit-def: $vgpr37
                                        ; implicit-def: $vgpr36
                                        ; implicit-def: $vgpr33
                                        ; implicit-def: $vgpr31
	s_load_dwordx2 s[12:13], s[4:5], 0x78
	s_add_i32 s18, s7, 0xd00
	s_cbranch_execz .LBB1368_110
.LBB1368_33:
	v_cmp_gt_u32_e32 vcc, s18, v30
	v_mov_b32_e32 v2, 0
	v_mov_b32_e32 v1, 0
	s_and_saveexec_b64 s[4:5], vcc
	s_cbranch_execz .LBB1368_37
; %bb.34:
	v_add_u32_e32 v1, s37, v19
	v_add_u32_e32 v2, s39, v19
	v_mul_lo_u32 v1, v1, s36
	v_mul_lo_u32 v2, v2, s38
	s_mov_b64 s[10:11], 0
	v_sub_u32_e32 v1, v1, v2
	v_cmp_lt_u32_e32 vcc, s40, v1
	v_cmp_ge_u32_e64 s[2:3], s40, v1
	s_and_saveexec_b64 s[8:9], s[2:3]
	s_cbranch_execz .LBB1368_36
; %bb.35:
	v_add_u32_e32 v1, s42, v19
	v_add_u32_e32 v2, s58, v19
	v_mul_lo_u32 v1, v1, s41
	v_mul_lo_u32 v2, v2, s43
	v_sub_u32_e32 v1, v1, v2
	v_cmp_lt_u32_e64 s[2:3], s59, v1
	s_and_b64 s[10:11], s[2:3], exec
.LBB1368_36:
	s_or_b64 exec, exec, s[8:9]
	v_cndmask_b32_e64 v2, 0, 1, s[10:11]
	v_cndmask_b32_e64 v1, 0, 1, vcc
.LBB1368_37:
	s_or_b64 exec, exec, s[4:5]
	v_lshlrev_b16_e32 v7, 8, v2
	v_add_u32_e32 v2, 1, v30
	v_cmp_le_u32_e32 vcc, s18, v2
	v_lshlrev_b16_e64 v4, 8, 0
                                        ; implicit-def: $vgpr3
                                        ; implicit-def: $vgpr5
                                        ; implicit-def: $vgpr6
                                        ; implicit-def: $vgpr2
                                        ; implicit-def: $vgpr8
	s_and_saveexec_b64 s[2:3], vcc
	s_xor_b64 s[2:3], exec, s[2:3]
; %bb.38:
	v_mov_b32_e32 v2, 8
	v_lshrrev_b32_sdwa v3, v2, v7 dst_sel:BYTE_1 dst_unused:UNUSED_PAD src0_sel:DWORD src1_sel:DWORD
	v_and_b32_e32 v8, 0xff, v1
	v_or_b32_sdwa v1, v7, v3 dst_sel:DWORD dst_unused:UNUSED_PAD src0_sel:BYTE_0 src1_sel:DWORD
	v_mov_b32_e32 v5, 0
	v_lshlrev_b16_e64 v4, 8, 0
	v_lshlrev_b16_e64 v2, 8, 0
	v_and_b32_e32 v6, 0xffff, v1
	v_lshlrev_b16_e64 v3, 8, 0
                                        ; implicit-def: $vgpr1
                                        ; implicit-def: $vgpr7
; %bb.39:
	s_andn2_saveexec_b64 s[4:5], s[2:3]
	s_cbranch_execz .LBB1368_43
; %bb.40:
	v_add_u32_e32 v2, s37, v20
	v_add_u32_e32 v3, s39, v20
	v_mul_lo_u32 v2, v2, s36
	v_mul_lo_u32 v3, v3, s38
	s_mov_b64 s[8:9], 0
	v_sub_u32_e32 v2, v2, v3
	v_cmp_lt_u32_e32 vcc, s40, v2
	v_cmp_ge_u32_e64 s[2:3], s40, v2
	s_and_saveexec_b64 s[10:11], s[2:3]
	s_cbranch_execz .LBB1368_42
; %bb.41:
	v_add_u32_e32 v2, s42, v20
	v_add_u32_e32 v3, s58, v20
	v_mul_lo_u32 v2, v2, s41
	v_mul_lo_u32 v3, v3, s43
	v_sub_u32_e32 v2, v2, v3
	v_cmp_lt_u32_e64 s[2:3], s59, v2
	s_and_b64 s[8:9], s[2:3], exec
.LBB1368_42:
	s_or_b64 exec, exec, s[10:11]
	v_cndmask_b32_e64 v3, 0, 1, vcc
	v_lshlrev_b16_e32 v3, 8, v3
	v_or_b32_sdwa v1, v1, v3 dst_sel:DWORD dst_unused:UNUSED_PAD src0_sel:BYTE_0 src1_sel:DWORD
	v_and_b32_e32 v8, 0xffff, v1
	v_mov_b32_e32 v1, 8
	v_lshrrev_b32_sdwa v1, v1, v7 dst_sel:BYTE_1 dst_unused:UNUSED_PAD src0_sel:DWORD src1_sel:DWORD
	v_or_b32_sdwa v1, v7, v1 dst_sel:DWORD dst_unused:UNUSED_PAD src0_sel:BYTE_0 src1_sel:DWORD
	v_and_b32_e32 v1, 0xffff, v1
	v_cndmask_b32_e64 v3, 0, 1, s[8:9]
	v_mov_b32_e32 v2, 0
	v_mov_b32_e32 v5, 0
	v_lshl_or_b32 v6, v3, 16, v1
	v_lshlrev_b16_e64 v3, 8, 0
.LBB1368_43:
	s_or_b64 exec, exec, s[4:5]
	v_add_u32_e32 v1, 2, v30
	v_cmp_le_u32_e32 vcc, s18, v1
	v_lshrrev_b32_e32 v21, 24, v8
                                        ; implicit-def: $vgpr1
                                        ; implicit-def: $vgpr7
	s_and_saveexec_b64 s[2:3], vcc
	s_xor_b64 s[2:3], exec, s[2:3]
	s_cbranch_execz .LBB1368_45
; %bb.44:
	s_mov_b32 s4, 0x40c0100
	v_perm_b32 v7, v21, v8, s4
	v_mov_b32_e32 v8, 8
	v_lshrrev_b32_sdwa v8, v8, v7 dst_sel:BYTE_1 dst_unused:UNUSED_PAD src0_sel:DWORD src1_sel:DWORD
	v_or_b32_sdwa v8, v7, v8 dst_sel:DWORD dst_unused:UNUSED_PAD src0_sel:BYTE_0 src1_sel:DWORD
	v_and_b32_e32 v8, 0xffff, v8
	s_mov_b32 s4, 0xff000000
	v_and_or_b32 v7, v7, s4, v8
	s_mov_b32 s4, 0x3060504
	v_and_b32_e32 v1, 0xff0000, v6
	v_perm_b32 v4, v4, v4, s4
	s_mov_b32 s4, 0x3020504
	v_perm_b32 v1, v6, v1, s4
                                        ; implicit-def: $vgpr8
                                        ; implicit-def: $vgpr21
                                        ; implicit-def: $vgpr6
.LBB1368_45:
	s_andn2_saveexec_b64 s[4:5], s[2:3]
	s_cbranch_execz .LBB1368_49
; %bb.46:
	v_add_u32_e32 v1, s37, v17
	v_add_u32_e32 v7, s39, v17
	v_mul_lo_u32 v1, v1, s36
	v_mul_lo_u32 v7, v7, s38
	s_mov_b64 s[8:9], 0
	v_sub_u32_e32 v1, v1, v7
	v_cmp_lt_u32_e32 vcc, s40, v1
	v_cmp_ge_u32_e64 s[2:3], s40, v1
	s_and_saveexec_b64 s[10:11], s[2:3]
	s_cbranch_execz .LBB1368_48
; %bb.47:
	v_add_u32_e32 v1, s42, v17
	v_add_u32_e32 v7, s58, v17
	v_mul_lo_u32 v1, v1, s41
	v_mul_lo_u32 v7, v7, s43
	v_sub_u32_e32 v1, v1, v7
	v_cmp_lt_u32_e64 s[2:3], s59, v1
	s_and_b64 s[8:9], s[2:3], exec
.LBB1368_48:
	s_or_b64 exec, exec, s[10:11]
	v_mov_b32_e32 v23, 8
	v_lshrrev_b32_sdwa v7, v23, v8 dst_sel:BYTE_1 dst_unused:UNUSED_PAD src0_sel:DWORD src1_sel:DWORD
	v_cndmask_b32_e64 v1, 0, 1, vcc
	v_or_b32_sdwa v7, v8, v7 dst_sel:DWORD dst_unused:UNUSED_PAD src0_sel:BYTE_0 src1_sel:DWORD
	v_lshlrev_b16_e32 v8, 8, v21
	v_or_b32_sdwa v1, v1, v8 dst_sel:WORD_1 dst_unused:UNUSED_PAD src0_sel:DWORD src1_sel:DWORD
	v_cndmask_b32_e64 v22, 0, 1, s[8:9]
	s_movk_i32 s2, 0xff
	v_or_b32_sdwa v7, v7, v1 dst_sel:DWORD dst_unused:UNUSED_PAD src0_sel:WORD_0 src1_sel:DWORD
	v_lshrrev_b32_sdwa v1, v23, v6 dst_sel:BYTE_1 dst_unused:UNUSED_PAD src0_sel:DWORD src1_sel:DWORD
	v_or_b32_sdwa v1, v6, v1 dst_sel:DWORD dst_unused:UNUSED_PAD src0_sel:BYTE_0 src1_sel:DWORD
	v_lshlrev_b16_e32 v8, 8, v22
	v_and_b32_sdwa v6, v6, s2 dst_sel:DWORD dst_unused:UNUSED_PAD src0_sel:WORD_1 src1_sel:DWORD
	v_or_b32_sdwa v6, v6, v8 dst_sel:WORD_1 dst_unused:UNUSED_PAD src0_sel:DWORD src1_sel:DWORD
	v_or_b32_sdwa v1, v1, v6 dst_sel:DWORD dst_unused:UNUSED_PAD src0_sel:WORD_0 src1_sel:DWORD
.LBB1368_49:
	s_or_b64 exec, exec, s[4:5]
	v_add_u32_e32 v6, 3, v30
	v_cmp_le_u32_e32 vcc, s18, v6
	v_lshrrev_b32_e32 v8, 24, v5
                                        ; implicit-def: $vgpr6
                                        ; implicit-def: $vgpr31
	s_and_saveexec_b64 s[2:3], vcc
	s_xor_b64 s[2:3], exec, s[2:3]
	s_cbranch_execz .LBB1368_51
; %bb.50:
	v_and_b32_e32 v6, 0xff0000, v7
	s_mov_b32 s4, 0x3020504
	s_movk_i32 s5, 0xff
	v_perm_b32 v31, v7, v6, s4
	v_lshlrev_b16_e32 v6, 8, v8
	v_and_b32_sdwa v7, v5, s5 dst_sel:DWORD dst_unused:UNUSED_PAD src0_sel:WORD_1 src1_sel:DWORD
	s_mov_b32 s4, 0x3060504
	v_or_b32_sdwa v6, v7, v6 dst_sel:WORD_1 dst_unused:UNUSED_PAD src0_sel:DWORD src1_sel:DWORD
	v_mov_b32_e32 v7, 8
	v_perm_b32 v4, v4, v4, s4
	v_lshrrev_b32_sdwa v6, v7, v5 dst_sel:BYTE_1 dst_unused:UNUSED_PRESERVE src0_sel:DWORD src1_sel:DWORD
	v_perm_b32 v3, v3, v3, s4
                                        ; implicit-def: $vgpr7
                                        ; implicit-def: $vgpr8
                                        ; implicit-def: $vgpr5
.LBB1368_51:
	s_andn2_saveexec_b64 s[4:5], s[2:3]
	s_cbranch_execz .LBB1368_55
; %bb.52:
	v_add_u32_e32 v6, s37, v18
	v_add_u32_e32 v21, s39, v18
	v_mul_lo_u32 v6, v6, s36
	v_mul_lo_u32 v21, v21, s38
	s_mov_b64 s[8:9], 0
	v_sub_u32_e32 v6, v6, v21
	v_cmp_lt_u32_e32 vcc, s40, v6
	v_cmp_ge_u32_e64 s[2:3], s40, v6
	s_and_saveexec_b64 s[10:11], s[2:3]
	s_cbranch_execz .LBB1368_54
; %bb.53:
	v_add_u32_e32 v6, s42, v18
	v_add_u32_e32 v21, s58, v18
	v_mul_lo_u32 v6, v6, s41
	v_mul_lo_u32 v21, v21, s43
	v_sub_u32_e32 v6, v6, v21
	v_cmp_lt_u32_e64 s[2:3], s59, v6
	s_and_b64 s[8:9], s[2:3], exec
.LBB1368_54:
	s_or_b64 exec, exec, s[10:11]
	v_mov_b32_e32 v22, 8
	v_cndmask_b32_e64 v6, 0, 1, vcc
	s_movk_i32 s2, 0xff
	v_lshrrev_b32_sdwa v23, v22, v7 dst_sel:BYTE_1 dst_unused:UNUSED_PAD src0_sel:DWORD src1_sel:DWORD
	v_or_b32_sdwa v23, v7, v23 dst_sel:DWORD dst_unused:UNUSED_PAD src0_sel:BYTE_0 src1_sel:DWORD
	v_lshlrev_b16_e32 v6, 8, v6
	v_and_b32_sdwa v7, v7, s2 dst_sel:DWORD dst_unused:UNUSED_PAD src0_sel:WORD_1 src1_sel:DWORD
	v_or_b32_sdwa v6, v7, v6 dst_sel:WORD_1 dst_unused:UNUSED_PAD src0_sel:DWORD src1_sel:DWORD
	v_cndmask_b32_e64 v21, 0, 1, s[8:9]
	v_or_b32_sdwa v31, v23, v6 dst_sel:DWORD dst_unused:UNUSED_PAD src0_sel:WORD_0 src1_sel:DWORD
	v_lshlrev_b16_e32 v6, 8, v8
	v_and_b32_sdwa v7, v5, s2 dst_sel:DWORD dst_unused:UNUSED_PAD src0_sel:WORD_1 src1_sel:DWORD
	v_lshrrev_b32_sdwa v5, v22, v5 dst_sel:BYTE_1 dst_unused:UNUSED_PAD src0_sel:DWORD src1_sel:DWORD
	v_or_b32_sdwa v6, v7, v6 dst_sel:WORD_1 dst_unused:UNUSED_PAD src0_sel:DWORD src1_sel:DWORD
	v_or_b32_e32 v5, v21, v5
	v_or_b32_sdwa v6, v5, v6 dst_sel:DWORD dst_unused:UNUSED_PAD src0_sel:WORD_0 src1_sel:DWORD
.LBB1368_55:
	s_or_b64 exec, exec, s[4:5]
	v_add_u32_e32 v5, 4, v30
	v_cmp_le_u32_e32 vcc, s18, v5
	v_lshrrev_b32_e32 v21, 24, v4
	v_lshrrev_b32_e32 v8, 24, v6
                                        ; implicit-def: $vgpr7
                                        ; implicit-def: $vgpr5
	s_and_saveexec_b64 s[2:3], vcc
	s_xor_b64 s[2:3], exec, s[2:3]
	s_cbranch_execz .LBB1368_57
; %bb.56:
	s_movk_i32 s4, 0xff
	v_lshlrev_b16_e32 v5, 8, v21
	v_and_b32_sdwa v21, v4, s4 dst_sel:DWORD dst_unused:UNUSED_PAD src0_sel:WORD_1 src1_sel:DWORD
	v_mov_b32_e32 v7, 8
	v_or_b32_sdwa v5, v21, v5 dst_sel:WORD_1 dst_unused:UNUSED_PAD src0_sel:DWORD src1_sel:DWORD
	v_lshrrev_b32_sdwa v5, v7, v4 dst_sel:BYTE_1 dst_unused:UNUSED_PRESERVE src0_sel:DWORD src1_sel:DWORD
	v_lshlrev_b16_e32 v4, 8, v8
	v_and_b32_sdwa v7, v6, s4 dst_sel:DWORD dst_unused:UNUSED_PAD src0_sel:WORD_1 src1_sel:DWORD
	v_or_b32_e32 v4, v7, v4
	s_mov_b32 s4, 0x5040c00
	v_perm_b32 v7, v4, v6, s4
	s_mov_b32 s4, 0x3060504
	v_perm_b32 v3, v3, v3, s4
                                        ; implicit-def: $vgpr21
                                        ; implicit-def: $vgpr4
                                        ; implicit-def: $vgpr6
                                        ; implicit-def: $vgpr8
.LBB1368_57:
	s_andn2_saveexec_b64 s[4:5], s[2:3]
	s_cbranch_execz .LBB1368_61
; %bb.58:
	v_add_u32_e32 v5, s37, v15
	v_add_u32_e32 v7, s39, v15
	v_mul_lo_u32 v5, v5, s36
	v_mul_lo_u32 v7, v7, s38
	s_mov_b64 s[8:9], 0
	v_sub_u32_e32 v5, v5, v7
	v_cmp_lt_u32_e32 vcc, s40, v5
	v_cmp_ge_u32_e64 s[2:3], s40, v5
	s_and_saveexec_b64 s[10:11], s[2:3]
	s_cbranch_execz .LBB1368_60
; %bb.59:
	v_add_u32_e32 v5, s42, v15
	v_add_u32_e32 v7, s58, v15
	v_mul_lo_u32 v5, v5, s41
	v_mul_lo_u32 v7, v7, s43
	v_sub_u32_e32 v5, v5, v7
	v_cmp_lt_u32_e64 s[2:3], s59, v5
	s_and_b64 s[8:9], s[2:3], exec
.LBB1368_60:
	s_or_b64 exec, exec, s[10:11]
	s_movk_i32 s2, 0xff
	v_lshlrev_b16_e32 v21, 8, v21
	v_and_b32_sdwa v22, v4, s2 dst_sel:DWORD dst_unused:UNUSED_PAD src0_sel:WORD_1 src1_sel:DWORD
	v_or_b32_sdwa v21, v22, v21 dst_sel:WORD_1 dst_unused:UNUSED_PAD src0_sel:DWORD src1_sel:DWORD
	v_mov_b32_e32 v22, 8
	v_cndmask_b32_e64 v5, 0, 1, vcc
	v_lshrrev_b32_sdwa v4, v22, v4 dst_sel:BYTE_1 dst_unused:UNUSED_PAD src0_sel:DWORD src1_sel:DWORD
	v_cndmask_b32_e64 v7, 0, 1, s[8:9]
	v_or_b32_e32 v4, v5, v4
	v_or_b32_sdwa v5, v4, v21 dst_sel:DWORD dst_unused:UNUSED_PAD src0_sel:WORD_0 src1_sel:DWORD
	v_lshlrev_b16_e32 v4, 8, v7
	v_or_b32_sdwa v4, v6, v4 dst_sel:DWORD dst_unused:UNUSED_PAD src0_sel:BYTE_0 src1_sel:DWORD
	v_lshlrev_b16_e32 v7, 8, v8
	v_and_b32_sdwa v6, v6, s2 dst_sel:DWORD dst_unused:UNUSED_PAD src0_sel:WORD_1 src1_sel:DWORD
	v_or_b32_sdwa v6, v6, v7 dst_sel:WORD_1 dst_unused:UNUSED_PAD src0_sel:DWORD src1_sel:DWORD
	v_or_b32_sdwa v7, v4, v6 dst_sel:DWORD dst_unused:UNUSED_PAD src0_sel:WORD_0 src1_sel:DWORD
.LBB1368_61:
	s_or_b64 exec, exec, s[4:5]
	v_add_u32_e32 v4, 5, v30
	v_cmp_le_u32_e32 vcc, s18, v4
	v_lshrrev_b32_e32 v8, 24, v7
	v_lshrrev_b32_e32 v21, 24, v5
                                        ; implicit-def: $vgpr4
                                        ; implicit-def: $vgpr6
	s_and_saveexec_b64 s[2:3], vcc
	s_xor_b64 s[2:3], exec, s[2:3]
	s_cbranch_execz .LBB1368_63
; %bb.62:
	s_mov_b32 s4, 0x40c0100
	v_perm_b32 v4, v8, v7, s4
	s_movk_i32 s4, 0xff
	v_lshlrev_b16_e32 v6, 8, v21
	v_and_b32_sdwa v7, v5, s4 dst_sel:DWORD dst_unused:UNUSED_PAD src0_sel:WORD_1 src1_sel:DWORD
	v_or_b32_e32 v6, v7, v6
	s_mov_b32 s4, 0x5040c00
	v_perm_b32 v6, v6, v5, s4
	v_mov_b32_e32 v5, 8
	v_lshrrev_b32_sdwa v5, v5, v4 dst_sel:BYTE_1 dst_unused:UNUSED_PAD src0_sel:DWORD src1_sel:DWORD
	v_or_b32_sdwa v5, v4, v5 dst_sel:DWORD dst_unused:UNUSED_PAD src0_sel:BYTE_0 src1_sel:DWORD
	v_and_b32_e32 v5, 0xffff, v5
	s_mov_b32 s4, 0xff000000
	v_and_or_b32 v4, v4, s4, v5
	s_mov_b32 s4, 0x3060504
	v_perm_b32 v3, v3, v3, s4
                                        ; implicit-def: $vgpr5
                                        ; implicit-def: $vgpr21
                                        ; implicit-def: $vgpr7
                                        ; implicit-def: $vgpr8
.LBB1368_63:
	s_andn2_saveexec_b64 s[4:5], s[2:3]
	s_cbranch_execz .LBB1368_67
; %bb.64:
	v_add_u32_e32 v4, s37, v16
	v_add_u32_e32 v6, s39, v16
	v_mul_lo_u32 v4, v4, s36
	v_mul_lo_u32 v6, v6, s38
	s_mov_b64 s[8:9], 0
	v_sub_u32_e32 v4, v4, v6
	v_cmp_lt_u32_e32 vcc, s40, v4
	v_cmp_ge_u32_e64 s[2:3], s40, v4
	s_and_saveexec_b64 s[10:11], s[2:3]
	s_cbranch_execz .LBB1368_66
; %bb.65:
	v_add_u32_e32 v4, s42, v16
	v_add_u32_e32 v6, s58, v16
	v_mul_lo_u32 v4, v4, s41
	v_mul_lo_u32 v6, v6, s43
	v_sub_u32_e32 v4, v4, v6
	v_cmp_lt_u32_e64 s[2:3], s59, v4
	s_and_b64 s[8:9], s[2:3], exec
.LBB1368_66:
	s_or_b64 exec, exec, s[10:11]
	v_cndmask_b32_e64 v4, 0, 1, vcc
	v_lshlrev_b16_e32 v4, 8, v4
	s_movk_i32 s2, 0xff
	v_or_b32_sdwa v4, v5, v4 dst_sel:DWORD dst_unused:UNUSED_PAD src0_sel:BYTE_0 src1_sel:DWORD
	v_lshlrev_b16_e32 v6, 8, v21
	v_and_b32_sdwa v5, v5, s2 dst_sel:DWORD dst_unused:UNUSED_PAD src0_sel:WORD_1 src1_sel:DWORD
	v_or_b32_sdwa v5, v5, v6 dst_sel:WORD_1 dst_unused:UNUSED_PAD src0_sel:DWORD src1_sel:DWORD
	v_or_b32_sdwa v6, v4, v5 dst_sel:DWORD dst_unused:UNUSED_PAD src0_sel:WORD_0 src1_sel:DWORD
	v_mov_b32_e32 v4, 8
	v_cndmask_b32_e64 v22, 0, 1, s[8:9]
	v_lshrrev_b32_sdwa v4, v4, v7 dst_sel:BYTE_1 dst_unused:UNUSED_PAD src0_sel:DWORD src1_sel:DWORD
	v_lshlrev_b16_e32 v5, 8, v8
	v_or_b32_sdwa v4, v7, v4 dst_sel:DWORD dst_unused:UNUSED_PAD src0_sel:BYTE_0 src1_sel:DWORD
	v_or_b32_sdwa v5, v22, v5 dst_sel:WORD_1 dst_unused:UNUSED_PAD src0_sel:DWORD src1_sel:DWORD
	v_or_b32_sdwa v4, v4, v5 dst_sel:DWORD dst_unused:UNUSED_PAD src0_sel:WORD_0 src1_sel:DWORD
.LBB1368_67:
	s_or_b64 exec, exec, s[4:5]
	v_add_u32_e32 v5, 6, v30
	v_cmp_le_u32_e32 vcc, s18, v5
	v_lshrrev_b32_e32 v7, 24, v6
                                        ; implicit-def: $vgpr32
                                        ; implicit-def: $vgpr5
	s_and_saveexec_b64 s[2:3], vcc
	s_xor_b64 s[2:3], exec, s[2:3]
	s_cbranch_execz .LBB1368_69
; %bb.68:
	s_mov_b32 s4, 0x40c0100
	v_perm_b32 v5, v7, v6, s4
	v_mov_b32_e32 v6, 8
	v_lshrrev_b32_sdwa v6, v6, v5 dst_sel:BYTE_1 dst_unused:UNUSED_PAD src0_sel:DWORD src1_sel:DWORD
	v_or_b32_sdwa v6, v5, v6 dst_sel:DWORD dst_unused:UNUSED_PAD src0_sel:BYTE_0 src1_sel:DWORD
	v_and_b32_e32 v6, 0xffff, v6
	s_mov_b32 s4, 0xff000000
	v_and_b32_e32 v8, 0xff0000, v4
	v_and_or_b32 v5, v5, s4, v6
	s_mov_b32 s4, 0x3020504
	v_perm_b32 v32, v4, v8, s4
	s_mov_b32 s4, 0x3060504
	v_perm_b32 v3, v3, v3, s4
                                        ; implicit-def: $vgpr6
                                        ; implicit-def: $vgpr7
                                        ; implicit-def: $vgpr4
.LBB1368_69:
	s_andn2_saveexec_b64 s[4:5], s[2:3]
	s_cbranch_execz .LBB1368_73
; %bb.70:
	v_add_u32_e32 v5, s37, v13
	v_add_u32_e32 v8, s39, v13
	v_mul_lo_u32 v5, v5, s36
	v_mul_lo_u32 v8, v8, s38
	s_mov_b64 s[8:9], 0
	v_sub_u32_e32 v5, v5, v8
	v_cmp_lt_u32_e32 vcc, s40, v5
	v_cmp_ge_u32_e64 s[2:3], s40, v5
	s_and_saveexec_b64 s[10:11], s[2:3]
	s_cbranch_execz .LBB1368_72
; %bb.71:
	v_add_u32_e32 v5, s42, v13
	v_add_u32_e32 v8, s58, v13
	v_mul_lo_u32 v5, v5, s41
	v_mul_lo_u32 v8, v8, s43
	v_sub_u32_e32 v5, v5, v8
	v_cmp_lt_u32_e64 s[2:3], s59, v5
	s_and_b64 s[8:9], s[2:3], exec
.LBB1368_72:
	s_or_b64 exec, exec, s[10:11]
	v_mov_b32_e32 v21, 8
	v_cndmask_b32_e64 v5, 0, 1, vcc
	v_lshrrev_b32_sdwa v22, v21, v6 dst_sel:BYTE_1 dst_unused:UNUSED_PAD src0_sel:DWORD src1_sel:DWORD
	v_lshlrev_b16_e32 v7, 8, v7
	v_or_b32_sdwa v6, v6, v22 dst_sel:DWORD dst_unused:UNUSED_PAD src0_sel:BYTE_0 src1_sel:DWORD
	v_or_b32_sdwa v5, v5, v7 dst_sel:WORD_1 dst_unused:UNUSED_PAD src0_sel:DWORD src1_sel:DWORD
	v_cndmask_b32_e64 v8, 0, 1, s[8:9]
	s_movk_i32 s2, 0xff
	v_or_b32_sdwa v5, v6, v5 dst_sel:DWORD dst_unused:UNUSED_PAD src0_sel:WORD_0 src1_sel:DWORD
	v_lshrrev_b32_sdwa v6, v21, v4 dst_sel:BYTE_1 dst_unused:UNUSED_PAD src0_sel:DWORD src1_sel:DWORD
	v_or_b32_sdwa v6, v4, v6 dst_sel:DWORD dst_unused:UNUSED_PAD src0_sel:BYTE_0 src1_sel:DWORD
	v_lshlrev_b16_e32 v7, 8, v8
	v_and_b32_sdwa v4, v4, s2 dst_sel:DWORD dst_unused:UNUSED_PAD src0_sel:WORD_1 src1_sel:DWORD
	v_or_b32_sdwa v4, v4, v7 dst_sel:WORD_1 dst_unused:UNUSED_PAD src0_sel:DWORD src1_sel:DWORD
	v_or_b32_sdwa v32, v6, v4 dst_sel:DWORD dst_unused:UNUSED_PAD src0_sel:WORD_0 src1_sel:DWORD
.LBB1368_73:
	s_or_b64 exec, exec, s[4:5]
	v_add_u32_e32 v4, 7, v30
	v_cmp_le_u32_e32 vcc, s18, v4
	v_lshrrev_b32_e32 v6, 24, v3
                                        ; implicit-def: $vgpr4
                                        ; implicit-def: $vgpr33
	s_and_saveexec_b64 s[2:3], vcc
	s_xor_b64 s[2:3], exec, s[2:3]
; %bb.74:
	v_and_b32_e32 v4, 0xff0000, v5
	s_mov_b32 s4, 0x3020504
	v_perm_b32 v33, v5, v4, s4
	s_movk_i32 s4, 0xff
	v_lshlrev_b16_e32 v4, 8, v6
	v_and_b32_sdwa v5, v3, s4 dst_sel:DWORD dst_unused:UNUSED_PAD src0_sel:WORD_1 src1_sel:DWORD
	v_mov_b32_e32 v7, 8
	v_or_b32_sdwa v4, v5, v4 dst_sel:WORD_1 dst_unused:UNUSED_PAD src0_sel:DWORD src1_sel:DWORD
	v_lshrrev_b32_sdwa v4, v7, v3 dst_sel:BYTE_1 dst_unused:UNUSED_PRESERVE src0_sel:DWORD src1_sel:DWORD
                                        ; implicit-def: $vgpr5
                                        ; implicit-def: $vgpr6
                                        ; implicit-def: $vgpr3
; %bb.75:
	s_andn2_saveexec_b64 s[4:5], s[2:3]
	s_cbranch_execz .LBB1368_79
; %bb.76:
	v_add_u32_e32 v4, s37, v14
	v_add_u32_e32 v7, s39, v14
	v_mul_lo_u32 v4, v4, s36
	v_mul_lo_u32 v7, v7, s38
	s_mov_b64 s[8:9], 0
	v_sub_u32_e32 v4, v4, v7
	v_cmp_lt_u32_e32 vcc, s40, v4
	v_cmp_ge_u32_e64 s[2:3], s40, v4
	s_and_saveexec_b64 s[10:11], s[2:3]
	s_cbranch_execz .LBB1368_78
; %bb.77:
	v_add_u32_e32 v4, s42, v14
	v_add_u32_e32 v7, s58, v14
	v_mul_lo_u32 v4, v4, s41
	v_mul_lo_u32 v7, v7, s43
	v_sub_u32_e32 v4, v4, v7
	v_cmp_lt_u32_e64 s[2:3], s59, v4
	s_and_b64 s[8:9], s[2:3], exec
.LBB1368_78:
	s_or_b64 exec, exec, s[10:11]
	v_mov_b32_e32 v8, 8
	v_cndmask_b32_e64 v4, 0, 1, vcc
	s_movk_i32 s2, 0xff
	v_lshrrev_b32_sdwa v21, v8, v5 dst_sel:BYTE_1 dst_unused:UNUSED_PAD src0_sel:DWORD src1_sel:DWORD
	v_or_b32_sdwa v21, v5, v21 dst_sel:DWORD dst_unused:UNUSED_PAD src0_sel:BYTE_0 src1_sel:DWORD
	v_lshlrev_b16_e32 v4, 8, v4
	v_and_b32_sdwa v5, v5, s2 dst_sel:DWORD dst_unused:UNUSED_PAD src0_sel:WORD_1 src1_sel:DWORD
	v_or_b32_sdwa v4, v5, v4 dst_sel:WORD_1 dst_unused:UNUSED_PAD src0_sel:DWORD src1_sel:DWORD
	v_cndmask_b32_e64 v7, 0, 1, s[8:9]
	v_or_b32_sdwa v33, v21, v4 dst_sel:DWORD dst_unused:UNUSED_PAD src0_sel:WORD_0 src1_sel:DWORD
	v_lshlrev_b16_e32 v4, 8, v6
	v_and_b32_sdwa v5, v3, s2 dst_sel:DWORD dst_unused:UNUSED_PAD src0_sel:WORD_1 src1_sel:DWORD
	v_lshrrev_b32_sdwa v3, v8, v3 dst_sel:BYTE_1 dst_unused:UNUSED_PAD src0_sel:DWORD src1_sel:DWORD
	v_or_b32_sdwa v4, v5, v4 dst_sel:WORD_1 dst_unused:UNUSED_PAD src0_sel:DWORD src1_sel:DWORD
	v_or_b32_e32 v3, v7, v3
	v_or_b32_sdwa v4, v3, v4 dst_sel:DWORD dst_unused:UNUSED_PAD src0_sel:WORD_0 src1_sel:DWORD
.LBB1368_79:
	s_or_b64 exec, exec, s[4:5]
	v_add_u32_e32 v3, 8, v30
	v_cmp_le_u32_e32 vcc, s18, v3
	v_lshrrev_b32_e32 v6, 24, v4
	v_lshrrev_b32_e32 v7, 24, v2
                                        ; implicit-def: $vgpr5
                                        ; implicit-def: $vgpr3
	s_and_saveexec_b64 s[2:3], vcc
	s_xor_b64 s[2:3], exec, s[2:3]
	s_cbranch_execz .LBB1368_81
; %bb.80:
	s_movk_i32 s4, 0xff
	v_lshlrev_b16_e32 v3, 8, v7
	v_and_b32_sdwa v5, v2, s4 dst_sel:DWORD dst_unused:UNUSED_PAD src0_sel:WORD_1 src1_sel:DWORD
	v_or_b32_sdwa v3, v5, v3 dst_sel:WORD_1 dst_unused:UNUSED_PAD src0_sel:DWORD src1_sel:DWORD
	v_mov_b32_e32 v5, 8
	v_lshrrev_b32_sdwa v3, v5, v2 dst_sel:BYTE_1 dst_unused:UNUSED_PRESERVE src0_sel:DWORD src1_sel:DWORD
	v_lshlrev_b16_e32 v2, 8, v6
	v_and_b32_sdwa v5, v4, s4 dst_sel:DWORD dst_unused:UNUSED_PAD src0_sel:WORD_1 src1_sel:DWORD
	s_mov_b32 s5, 0x3060504
	v_or_b32_e32 v2, v5, v2
	s_mov_b32 s4, 0x5040c00
	v_perm_b32 v1, v1, v1, s5
	v_perm_b32 v5, v2, v4, s4
                                        ; implicit-def: $vgpr7
                                        ; implicit-def: $vgpr2
                                        ; implicit-def: $vgpr4
                                        ; implicit-def: $vgpr6
.LBB1368_81:
	s_andn2_saveexec_b64 s[4:5], s[2:3]
	s_cbranch_execz .LBB1368_85
; %bb.82:
	v_add_u32_e32 v3, s37, v11
	v_add_u32_e32 v5, s39, v11
	v_mul_lo_u32 v3, v3, s36
	v_mul_lo_u32 v5, v5, s38
	s_mov_b64 s[8:9], 0
	v_sub_u32_e32 v3, v3, v5
	v_cmp_lt_u32_e32 vcc, s40, v3
	v_cmp_ge_u32_e64 s[2:3], s40, v3
	s_and_saveexec_b64 s[10:11], s[2:3]
	s_cbranch_execz .LBB1368_84
; %bb.83:
	v_add_u32_e32 v3, s42, v11
	v_add_u32_e32 v5, s58, v11
	v_mul_lo_u32 v3, v3, s41
	v_mul_lo_u32 v5, v5, s43
	v_sub_u32_e32 v3, v3, v5
	v_cmp_lt_u32_e64 s[2:3], s59, v3
	s_and_b64 s[8:9], s[2:3], exec
.LBB1368_84:
	s_or_b64 exec, exec, s[10:11]
	s_movk_i32 s2, 0xff
	v_lshlrev_b16_e32 v7, 8, v7
	v_and_b32_sdwa v8, v2, s2 dst_sel:DWORD dst_unused:UNUSED_PAD src0_sel:WORD_1 src1_sel:DWORD
	v_or_b32_sdwa v7, v8, v7 dst_sel:WORD_1 dst_unused:UNUSED_PAD src0_sel:DWORD src1_sel:DWORD
	v_mov_b32_e32 v8, 8
	v_cndmask_b32_e64 v3, 0, 1, vcc
	v_lshrrev_b32_sdwa v2, v8, v2 dst_sel:BYTE_1 dst_unused:UNUSED_PAD src0_sel:DWORD src1_sel:DWORD
	v_cndmask_b32_e64 v5, 0, 1, s[8:9]
	v_or_b32_e32 v2, v3, v2
	v_or_b32_sdwa v3, v2, v7 dst_sel:DWORD dst_unused:UNUSED_PAD src0_sel:WORD_0 src1_sel:DWORD
	v_lshlrev_b16_e32 v2, 8, v5
	v_or_b32_sdwa v2, v4, v2 dst_sel:DWORD dst_unused:UNUSED_PAD src0_sel:BYTE_0 src1_sel:DWORD
	v_lshlrev_b16_e32 v5, 8, v6
	v_and_b32_sdwa v4, v4, s2 dst_sel:DWORD dst_unused:UNUSED_PAD src0_sel:WORD_1 src1_sel:DWORD
	v_or_b32_sdwa v4, v4, v5 dst_sel:WORD_1 dst_unused:UNUSED_PAD src0_sel:DWORD src1_sel:DWORD
	v_or_b32_sdwa v5, v2, v4 dst_sel:DWORD dst_unused:UNUSED_PAD src0_sel:WORD_0 src1_sel:DWORD
.LBB1368_85:
	s_or_b64 exec, exec, s[4:5]
	v_add_u32_e32 v2, 9, v30
	v_cmp_le_u32_e32 vcc, s18, v2
	v_lshrrev_b32_e32 v6, 24, v5
	v_lshrrev_b32_e32 v7, 24, v3
                                        ; implicit-def: $vgpr2
                                        ; implicit-def: $vgpr4
	s_and_saveexec_b64 s[2:3], vcc
	s_xor_b64 s[2:3], exec, s[2:3]
	s_cbranch_execz .LBB1368_87
; %bb.86:
	s_mov_b32 s4, 0x40c0100
	v_perm_b32 v2, v6, v5, s4
	v_mov_b32_e32 v4, 8
	s_movk_i32 s4, 0xff
	v_lshrrev_b32_sdwa v5, v4, v2 dst_sel:BYTE_1 dst_unused:UNUSED_PAD src0_sel:DWORD src1_sel:DWORD
	v_lshlrev_b16_e32 v4, 8, v7
	v_and_b32_sdwa v6, v3, s4 dst_sel:DWORD dst_unused:UNUSED_PAD src0_sel:WORD_1 src1_sel:DWORD
	v_or_b32_e32 v4, v6, v4
	s_mov_b32 s4, 0x5040c00
	v_perm_b32 v4, v4, v3, s4
	s_mov_b32 s4, 0x3060504
	v_or_b32_sdwa v3, v2, v5 dst_sel:DWORD dst_unused:UNUSED_PAD src0_sel:BYTE_0 src1_sel:DWORD
	v_perm_b32 v1, v1, v1, s4
	v_and_b32_e32 v3, 0xffff, v3
	s_mov_b32 s4, 0xff000000
	v_and_or_b32 v2, v2, s4, v3
                                        ; implicit-def: $vgpr3
                                        ; implicit-def: $vgpr7
                                        ; implicit-def: $vgpr5
                                        ; implicit-def: $vgpr6
.LBB1368_87:
	s_andn2_saveexec_b64 s[4:5], s[2:3]
	s_cbranch_execz .LBB1368_91
; %bb.88:
	v_add_u32_e32 v2, s37, v12
	v_add_u32_e32 v4, s39, v12
	v_mul_lo_u32 v2, v2, s36
	v_mul_lo_u32 v4, v4, s38
	s_mov_b64 s[8:9], 0
	v_sub_u32_e32 v2, v2, v4
	v_cmp_lt_u32_e32 vcc, s40, v2
	v_cmp_ge_u32_e64 s[2:3], s40, v2
	s_and_saveexec_b64 s[10:11], s[2:3]
	s_cbranch_execz .LBB1368_90
; %bb.89:
	v_add_u32_e32 v2, s42, v12
	v_add_u32_e32 v4, s58, v12
	v_mul_lo_u32 v2, v2, s41
	v_mul_lo_u32 v4, v4, s43
	v_sub_u32_e32 v2, v2, v4
	v_cmp_lt_u32_e64 s[2:3], s59, v2
	s_and_b64 s[8:9], s[2:3], exec
.LBB1368_90:
	s_or_b64 exec, exec, s[10:11]
	v_cndmask_b32_e64 v2, 0, 1, vcc
	v_lshlrev_b16_e32 v2, 8, v2
	s_movk_i32 s2, 0xff
	v_or_b32_sdwa v2, v3, v2 dst_sel:DWORD dst_unused:UNUSED_PAD src0_sel:BYTE_0 src1_sel:DWORD
	v_lshlrev_b16_e32 v4, 8, v7
	v_and_b32_sdwa v3, v3, s2 dst_sel:DWORD dst_unused:UNUSED_PAD src0_sel:WORD_1 src1_sel:DWORD
	v_or_b32_sdwa v3, v3, v4 dst_sel:WORD_1 dst_unused:UNUSED_PAD src0_sel:DWORD src1_sel:DWORD
	v_or_b32_sdwa v4, v2, v3 dst_sel:DWORD dst_unused:UNUSED_PAD src0_sel:WORD_0 src1_sel:DWORD
	v_mov_b32_e32 v2, 8
	v_cndmask_b32_e64 v8, 0, 1, s[8:9]
	v_lshrrev_b32_sdwa v2, v2, v5 dst_sel:BYTE_1 dst_unused:UNUSED_PAD src0_sel:DWORD src1_sel:DWORD
	v_lshlrev_b16_e32 v3, 8, v6
	v_or_b32_sdwa v2, v5, v2 dst_sel:DWORD dst_unused:UNUSED_PAD src0_sel:BYTE_0 src1_sel:DWORD
	v_or_b32_sdwa v3, v8, v3 dst_sel:WORD_1 dst_unused:UNUSED_PAD src0_sel:DWORD src1_sel:DWORD
	v_or_b32_sdwa v2, v2, v3 dst_sel:DWORD dst_unused:UNUSED_PAD src0_sel:WORD_0 src1_sel:DWORD
.LBB1368_91:
	s_or_b64 exec, exec, s[4:5]
	v_add_u32_e32 v3, 10, v30
	v_cmp_le_u32_e32 vcc, s18, v3
	v_lshrrev_b32_e32 v5, 24, v4
                                        ; implicit-def: $vgpr34
                                        ; implicit-def: $vgpr3
	s_and_saveexec_b64 s[2:3], vcc
	s_xor_b64 s[2:3], exec, s[2:3]
	s_cbranch_execz .LBB1368_93
; %bb.92:
	s_mov_b32 s4, 0x40c0100
	v_perm_b32 v3, v5, v4, s4
	v_mov_b32_e32 v4, 8
	v_lshrrev_b32_sdwa v4, v4, v3 dst_sel:BYTE_1 dst_unused:UNUSED_PAD src0_sel:DWORD src1_sel:DWORD
	v_or_b32_sdwa v4, v3, v4 dst_sel:DWORD dst_unused:UNUSED_PAD src0_sel:BYTE_0 src1_sel:DWORD
	v_and_b32_e32 v4, 0xffff, v4
	s_mov_b32 s4, 0xff000000
	v_and_or_b32 v3, v3, s4, v4
	s_mov_b32 s4, 0x3060504
	v_and_b32_e32 v6, 0xff0000, v2
	v_perm_b32 v1, v1, v1, s4
	s_mov_b32 s4, 0x3020504
	v_perm_b32 v34, v2, v6, s4
                                        ; implicit-def: $vgpr4
                                        ; implicit-def: $vgpr5
                                        ; implicit-def: $vgpr2
.LBB1368_93:
	s_andn2_saveexec_b64 s[4:5], s[2:3]
	s_cbranch_execz .LBB1368_97
; %bb.94:
	v_add_u32_e32 v3, s37, v9
	v_add_u32_e32 v6, s39, v9
	v_mul_lo_u32 v3, v3, s36
	v_mul_lo_u32 v6, v6, s38
	s_mov_b64 s[8:9], 0
	v_sub_u32_e32 v3, v3, v6
	v_cmp_lt_u32_e32 vcc, s40, v3
	v_cmp_ge_u32_e64 s[2:3], s40, v3
	s_and_saveexec_b64 s[10:11], s[2:3]
	s_cbranch_execz .LBB1368_96
; %bb.95:
	v_add_u32_e32 v3, s42, v9
	v_add_u32_e32 v6, s58, v9
	v_mul_lo_u32 v3, v3, s41
	v_mul_lo_u32 v6, v6, s43
	v_sub_u32_e32 v3, v3, v6
	v_cmp_lt_u32_e64 s[2:3], s59, v3
	s_and_b64 s[8:9], s[2:3], exec
.LBB1368_96:
	s_or_b64 exec, exec, s[10:11]
	v_mov_b32_e32 v7, 8
	v_cndmask_b32_e64 v3, 0, 1, vcc
	v_lshrrev_b32_sdwa v8, v7, v4 dst_sel:BYTE_1 dst_unused:UNUSED_PAD src0_sel:DWORD src1_sel:DWORD
	v_lshlrev_b16_e32 v5, 8, v5
	v_or_b32_sdwa v4, v4, v8 dst_sel:DWORD dst_unused:UNUSED_PAD src0_sel:BYTE_0 src1_sel:DWORD
	v_or_b32_sdwa v3, v3, v5 dst_sel:WORD_1 dst_unused:UNUSED_PAD src0_sel:DWORD src1_sel:DWORD
	v_cndmask_b32_e64 v6, 0, 1, s[8:9]
	s_movk_i32 s2, 0xff
	v_or_b32_sdwa v3, v4, v3 dst_sel:DWORD dst_unused:UNUSED_PAD src0_sel:WORD_0 src1_sel:DWORD
	v_lshrrev_b32_sdwa v4, v7, v2 dst_sel:BYTE_1 dst_unused:UNUSED_PAD src0_sel:DWORD src1_sel:DWORD
	v_or_b32_sdwa v4, v2, v4 dst_sel:DWORD dst_unused:UNUSED_PAD src0_sel:BYTE_0 src1_sel:DWORD
	v_lshlrev_b16_e32 v5, 8, v6
	v_and_b32_sdwa v2, v2, s2 dst_sel:DWORD dst_unused:UNUSED_PAD src0_sel:WORD_1 src1_sel:DWORD
	v_or_b32_sdwa v2, v2, v5 dst_sel:WORD_1 dst_unused:UNUSED_PAD src0_sel:DWORD src1_sel:DWORD
	v_or_b32_sdwa v34, v4, v2 dst_sel:DWORD dst_unused:UNUSED_PAD src0_sel:WORD_0 src1_sel:DWORD
.LBB1368_97:
	s_or_b64 exec, exec, s[4:5]
	v_add_u32_e32 v2, 11, v30
	v_mov_b32_e32 v35, 0
	v_cmp_le_u32_e32 vcc, s18, v2
                                        ; implicit-def: $vgpr36
	s_and_saveexec_b64 s[2:3], vcc
	s_xor_b64 s[2:3], exec, s[2:3]
; %bb.98:
	v_and_b32_e32 v2, 0xff0000, v3
	s_mov_b32 s4, 0x3020504
	v_perm_b32 v36, v3, v2, s4
	s_mov_b32 s4, 0x3060504
	v_perm_b32 v1, v1, v1, s4
                                        ; implicit-def: $vgpr3
; %bb.99:
	s_andn2_saveexec_b64 s[4:5], s[2:3]
	s_cbranch_execz .LBB1368_103
; %bb.100:
	v_add_u32_e32 v2, s37, v10
	v_add_u32_e32 v4, s39, v10
	v_mul_lo_u32 v2, v2, s36
	v_mul_lo_u32 v4, v4, s38
	s_mov_b64 s[8:9], 0
	v_sub_u32_e32 v2, v2, v4
	v_cmp_lt_u32_e32 vcc, s40, v2
	v_cmp_ge_u32_e64 s[2:3], s40, v2
	s_and_saveexec_b64 s[10:11], s[2:3]
	s_cbranch_execz .LBB1368_102
; %bb.101:
	v_add_u32_e32 v2, s42, v10
	v_add_u32_e32 v4, s58, v10
	v_mul_lo_u32 v2, v2, s41
	v_mul_lo_u32 v4, v4, s43
	v_sub_u32_e32 v2, v2, v4
	v_cmp_lt_u32_e64 s[2:3], s59, v2
	s_and_b64 s[8:9], s[2:3], exec
.LBB1368_102:
	s_or_b64 exec, exec, s[10:11]
	v_mov_b32_e32 v4, 8
	v_cndmask_b32_e64 v2, 0, 1, vcc
	s_movk_i32 s2, 0xff
	v_lshrrev_b32_sdwa v4, v4, v3 dst_sel:BYTE_1 dst_unused:UNUSED_PAD src0_sel:DWORD src1_sel:DWORD
	v_or_b32_sdwa v4, v3, v4 dst_sel:DWORD dst_unused:UNUSED_PAD src0_sel:BYTE_0 src1_sel:DWORD
	v_lshlrev_b16_e32 v2, 8, v2
	v_and_b32_sdwa v3, v3, s2 dst_sel:DWORD dst_unused:UNUSED_PAD src0_sel:WORD_1 src1_sel:DWORD
	v_or_b32_sdwa v2, v3, v2 dst_sel:WORD_1 dst_unused:UNUSED_PAD src0_sel:DWORD src1_sel:DWORD
	v_cndmask_b32_e64 v35, 0, 1, s[8:9]
	v_or_b32_sdwa v36, v4, v2 dst_sel:DWORD dst_unused:UNUSED_PAD src0_sel:WORD_0 src1_sel:DWORD
.LBB1368_103:
	s_or_b64 exec, exec, s[4:5]
	v_add_u32_e32 v2, 12, v30
	v_cmp_le_u32_e32 vcc, s18, v2
	v_lshrrev_b32_e32 v2, 24, v1
                                        ; implicit-def: $vgpr37
	s_and_saveexec_b64 s[2:3], vcc
	s_xor_b64 s[2:3], exec, s[2:3]
; %bb.104:
	s_movk_i32 s4, 0xff
	v_lshlrev_b16_e32 v2, 8, v2
	v_and_b32_sdwa v4, v1, s4 dst_sel:DWORD dst_unused:UNUSED_PAD src0_sel:WORD_1 src1_sel:DWORD
	v_mov_b32_e32 v3, 8
	v_or_b32_sdwa v37, v4, v2 dst_sel:WORD_1 dst_unused:UNUSED_PAD src0_sel:DWORD src1_sel:DWORD
	v_lshrrev_b32_sdwa v37, v3, v1 dst_sel:BYTE_1 dst_unused:UNUSED_PRESERVE src0_sel:DWORD src1_sel:DWORD
                                        ; implicit-def: $vgpr2
                                        ; implicit-def: $vgpr1
; %bb.105:
	s_or_saveexec_b64 s[4:5], s[2:3]
	v_mov_b32_e32 v38, 0
	s_xor_b64 exec, exec, s[4:5]
	s_cbranch_execz .LBB1368_109
; %bb.106:
	v_add_u32_e32 v3, s37, v29
	v_add_u32_e32 v4, s39, v29
	v_mul_lo_u32 v3, v3, s36
	v_mul_lo_u32 v4, v4, s38
	s_mov_b64 s[8:9], 0
	v_sub_u32_e32 v3, v3, v4
	v_cmp_lt_u32_e32 vcc, s40, v3
	v_cmp_ge_u32_e64 s[2:3], s40, v3
	s_and_saveexec_b64 s[10:11], s[2:3]
	s_cbranch_execz .LBB1368_108
; %bb.107:
	v_add_u32_e32 v3, s42, v29
	v_add_u32_e32 v4, s58, v29
	v_mul_lo_u32 v3, v3, s41
	v_mul_lo_u32 v4, v4, s43
	v_sub_u32_e32 v3, v3, v4
	v_cmp_lt_u32_e64 s[2:3], s59, v3
	s_and_b64 s[8:9], s[2:3], exec
.LBB1368_108:
	s_or_b64 exec, exec, s[10:11]
	s_movk_i32 s2, 0xff
	v_lshlrev_b16_e32 v2, 8, v2
	v_and_b32_sdwa v4, v1, s2 dst_sel:DWORD dst_unused:UNUSED_PAD src0_sel:WORD_1 src1_sel:DWORD
	v_or_b32_sdwa v2, v4, v2 dst_sel:WORD_1 dst_unused:UNUSED_PAD src0_sel:DWORD src1_sel:DWORD
	v_mov_b32_e32 v4, 8
	v_cndmask_b32_e64 v3, 0, 1, vcc
	v_lshrrev_b32_sdwa v1, v4, v1 dst_sel:BYTE_1 dst_unused:UNUSED_PAD src0_sel:DWORD src1_sel:DWORD
	v_or_b32_e32 v1, v3, v1
	v_cndmask_b32_e64 v38, 0, 1, s[8:9]
	v_or_b32_sdwa v37, v1, v2 dst_sel:DWORD dst_unused:UNUSED_PAD src0_sel:WORD_0 src1_sel:DWORD
.LBB1368_109:
	s_or_b64 exec, exec, s[4:5]
.LBB1368_110:
	v_and_b32_e32 v48, 0xff, v31
	v_bfe_u32 v45, v31, 8, 8
	v_bfe_u32 v50, v31, 16, 8
	v_lshrrev_b32_e32 v43, 24, v31
	v_and_b32_e32 v51, 0xff, v33
	v_add3_u32 v4, v45, v48, v50
	v_bfe_u32 v46, v33, 8, 8
	v_bfe_u32 v53, v33, 16, 8
	v_add3_u32 v4, v4, v43, v51
	v_bfe_u32 v49, v37, 8, 8
	v_bfe_u32 v57, v37, 16, 8
	v_lshrrev_b32_e32 v44, 24, v37
	v_lshrrev_b32_e32 v41, 24, v33
	v_and_b32_e32 v54, 0xff, v36
	v_add3_u32 v4, v4, v46, v53
	v_and_b32_e32 v58, 0xff, v32
	v_bfe_u32 v52, v32, 8, 8
	v_bfe_u32 v47, v36, 8, 8
	;; [unrolled: 1-line block ×3, first 2 shown]
	v_add3_u32 v3, v57, v49, v44
	v_add3_u32 v4, v4, v41, v54
	v_bfe_u32 v59, v32, 16, 8
	v_lshrrev_b32_e32 v42, 24, v32
	v_lshrrev_b32_e32 v39, 24, v36
	v_and_b32_e32 v1, 0xff, v37
	v_add3_u32 v3, v3, v58, v52
	v_add3_u32 v4, v4, v47, v56
	v_and_b32_e32 v60, 0xff, v34
	v_bfe_u32 v55, v34, 8, 8
	v_add3_u32 v3, v3, v59, v42
	v_add3_u32 v68, v4, v39, v1
	v_mbcnt_lo_u32_b32 v1, -1, 0
	v_bfe_u32 v61, v34, 16, 8
	v_lshrrev_b32_e32 v40, 24, v34
	v_add3_u32 v3, v3, v60, v55
	v_mbcnt_hi_u32_b32 v63, -1, v1
	v_and_b32_e32 v62, 0xff, v35
	v_and_b32_e32 v2, 0xff, v38
	v_add3_u32 v3, v3, v61, v40
	v_and_b32_e32 v67, 15, v63
	s_cmp_lg_u32 s6, 0
	v_add3_u32 v69, v3, v62, v2
	v_cmp_eq_u32_e64 s[4:5], 0, v67
	v_cmp_lt_u32_e64 s[2:3], 1, v67
	v_cmp_lt_u32_e64 s[8:9], 3, v67
	;; [unrolled: 1-line block ×3, first 2 shown]
	v_and_b32_e32 v66, 16, v63
	v_cmp_lt_u32_e32 vcc, 31, v63
	v_lshrrev_b32_e32 v64, 6, v0
	v_or_b32_e32 v65, 63, v0
	s_cbranch_scc0 .LBB1368_132
; %bb.111:
	v_mov_b32_dpp v1, v68 row_shr:1 row_mask:0xf bank_mask:0xf
	v_mov_b32_dpp v2, v69 row_shr:1 row_mask:0xf bank_mask:0xf
	v_add_u32_e32 v1, v1, v68
	v_add_u32_e32 v2, v2, v69
	v_cndmask_b32_e64 v2, v2, v69, s[4:5]
	v_cndmask_b32_e64 v1, v1, v68, s[4:5]
	s_nop 0
	v_mov_b32_dpp v4, v2 row_shr:2 row_mask:0xf bank_mask:0xf
	v_mov_b32_dpp v3, v1 row_shr:2 row_mask:0xf bank_mask:0xf
	v_add_u32_e32 v3, v1, v3
	v_add_u32_e32 v4, v2, v4
	v_cndmask_b32_e64 v2, v2, v4, s[2:3]
	v_cndmask_b32_e64 v1, v1, v3, s[2:3]
	s_nop 0
	v_mov_b32_dpp v4, v2 row_shr:4 row_mask:0xf bank_mask:0xf
	v_mov_b32_dpp v3, v1 row_shr:4 row_mask:0xf bank_mask:0xf
	v_add_u32_e32 v3, v1, v3
	v_add_u32_e32 v4, v2, v4
	v_cndmask_b32_e64 v2, v2, v4, s[8:9]
	v_cndmask_b32_e64 v1, v1, v3, s[8:9]
	v_cmp_eq_u32_e64 s[8:9], 0, v66
	v_mov_b32_dpp v4, v2 row_shr:8 row_mask:0xf bank_mask:0xf
	v_mov_b32_dpp v3, v1 row_shr:8 row_mask:0xf bank_mask:0xf
	v_add_u32_e32 v3, v1, v3
	v_add_u32_e32 v4, v2, v4
	v_cndmask_b32_e64 v2, v2, v4, s[10:11]
	v_cndmask_b32_e64 v3, v1, v3, s[10:11]
	s_nop 0
	v_mov_b32_dpp v4, v2 row_bcast:15 row_mask:0xf bank_mask:0xf
	v_mov_b32_dpp v1, v3 row_bcast:15 row_mask:0xf bank_mask:0xf
	v_add_u32_e32 v5, v3, v1
	v_add_u32_e32 v1, v2, v4
	v_cndmask_b32_e64 v1, v1, v2, s[8:9]
	v_cndmask_b32_e64 v2, v5, v3, s[8:9]
	v_cmp_eq_u32_e64 s[8:9], v0, v65
	v_mov_b32_dpp v3, v1 row_bcast:31 row_mask:0xf bank_mask:0xf
	v_mov_b32_dpp v4, v2 row_bcast:31 row_mask:0xf bank_mask:0xf
	v_add_u32_e32 v3, v1, v3
	v_add_u32_e32 v4, v2, v4
	s_and_saveexec_b64 s[10:11], s[8:9]
; %bb.112:
	v_lshlrev_b32_e32 v7, 3, v64
	v_cndmask_b32_e32 v6, v1, v3, vcc
	v_cndmask_b32_e32 v5, v2, v4, vcc
	ds_write_b64 v7, v[5:6]
; %bb.113:
	s_or_b64 exec, exec, s[10:11]
	v_cmp_gt_u32_e64 s[8:9], 4, v0
	s_waitcnt lgkmcnt(0)
	s_barrier
	s_and_saveexec_b64 s[10:11], s[8:9]
	s_cbranch_execz .LBB1368_115
; %bb.114:
	v_lshlrev_b32_e32 v7, 3, v0
	ds_read_b64 v[5:6], v7
	v_and_b32_e32 v8, 3, v63
	v_cmp_eq_u32_e64 s[8:9], 0, v8
	s_waitcnt lgkmcnt(0)
	v_mov_b32_dpp v21, v5 row_shr:1 row_mask:0xf bank_mask:0xf
	v_mov_b32_dpp v22, v6 row_shr:1 row_mask:0xf bank_mask:0xf
	v_add_u32_e32 v21, v21, v5
	v_add_u32_e32 v22, v22, v6
	v_cndmask_b32_e64 v6, v22, v6, s[8:9]
	v_cndmask_b32_e64 v5, v21, v5, s[8:9]
	v_cmp_lt_u32_e64 s[8:9], 1, v8
	v_mov_b32_dpp v22, v6 row_shr:2 row_mask:0xf bank_mask:0xf
	v_mov_b32_dpp v21, v5 row_shr:2 row_mask:0xf bank_mask:0xf
	v_cndmask_b32_e64 v8, 0, v21, s[8:9]
	v_cndmask_b32_e64 v21, 0, v22, s[8:9]
	v_add_u32_e32 v6, v21, v6
	v_add_u32_e32 v5, v8, v5
	ds_write_b64 v7, v[5:6]
.LBB1368_115:
	s_or_b64 exec, exec, s[10:11]
	v_cndmask_b32_e32 v1, v1, v3, vcc
	v_cndmask_b32_e32 v2, v2, v4, vcc
	v_cmp_gt_u32_e32 vcc, 64, v0
	v_cmp_lt_u32_e64 s[8:9], 63, v0
	s_waitcnt lgkmcnt(0)
	s_barrier
                                        ; implicit-def: $vgpr21
	s_and_saveexec_b64 s[10:11], s[8:9]
	s_cbranch_execz .LBB1368_117
; %bb.116:
	v_lshl_add_u32 v3, v64, 3, -8
	ds_read_b64 v[21:22], v3
	s_waitcnt lgkmcnt(0)
	v_add_u32_e32 v1, v22, v1
	v_add_u32_e32 v2, v21, v2
.LBB1368_117:
	s_or_b64 exec, exec, s[10:11]
	v_subrev_co_u32_e64 v3, s[8:9], 1, v63
	v_and_b32_e32 v4, 64, v63
	v_cmp_lt_i32_e64 s[10:11], v3, v4
	v_cndmask_b32_e64 v3, v3, v63, s[10:11]
	v_lshlrev_b32_e32 v3, 2, v3
	ds_bpermute_b32 v70, v3, v2
	ds_bpermute_b32 v71, v3, v1
	s_and_saveexec_b64 s[10:11], vcc
	s_cbranch_execz .LBB1368_137
; %bb.118:
	v_mov_b32_e32 v4, 0
	ds_read_b64 v[1:2], v4 offset:24
	s_and_saveexec_b64 s[14:15], s[8:9]
	s_cbranch_execz .LBB1368_120
; %bb.119:
	s_add_i32 s16, s6, 64
	s_mov_b32 s17, 0
	s_lshl_b64 s[16:17], s[16:17], 4
	s_add_u32 s16, s12, s16
	s_addc_u32 s17, s13, s17
	v_mov_b32_e32 v5, s16
	v_mov_b32_e32 v3, 1
	v_mov_b32_e32 v6, s17
	s_waitcnt lgkmcnt(0)
	;;#ASMSTART
	global_store_dwordx4 v[5:6], v[1:4] off	
s_waitcnt vmcnt(0)
	;;#ASMEND
.LBB1368_120:
	s_or_b64 exec, exec, s[14:15]
	v_xad_u32 v23, v63, -1, s6
	v_add_u32_e32 v3, 64, v23
	v_lshlrev_b64 v[5:6], 4, v[3:4]
	v_mov_b32_e32 v3, s13
	v_add_co_u32_e32 v24, vcc, s12, v5
	v_addc_co_u32_e32 v25, vcc, v3, v6, vcc
	;;#ASMSTART
	global_load_dwordx4 v[5:8], v[24:25] off glc	
s_waitcnt vmcnt(0)
	;;#ASMEND
	v_cmp_eq_u16_sdwa s[16:17], v7, v4 src0_sel:BYTE_0 src1_sel:DWORD
	s_and_saveexec_b64 s[14:15], s[16:17]
	s_cbranch_execz .LBB1368_124
; %bb.121:
	s_mov_b64 s[16:17], 0
	v_mov_b32_e32 v3, 0
.LBB1368_122:                           ; =>This Inner Loop Header: Depth=1
	;;#ASMSTART
	global_load_dwordx4 v[5:8], v[24:25] off glc	
s_waitcnt vmcnt(0)
	;;#ASMEND
	v_cmp_ne_u16_sdwa s[20:21], v7, v3 src0_sel:BYTE_0 src1_sel:DWORD
	s_or_b64 s[16:17], s[20:21], s[16:17]
	s_andn2_b64 exec, exec, s[16:17]
	s_cbranch_execnz .LBB1368_122
; %bb.123:
	s_or_b64 exec, exec, s[16:17]
.LBB1368_124:
	s_or_b64 exec, exec, s[14:15]
	v_and_b32_e32 v73, 63, v63
	v_cmp_ne_u32_e32 vcc, 63, v73
	v_mov_b32_e32 v72, 2
	v_lshlrev_b64 v[25:26], v63, -1
	v_addc_co_u32_e32 v8, vcc, 0, v63, vcc
	v_cmp_eq_u16_sdwa s[14:15], v7, v72 src0_sel:BYTE_0 src1_sel:DWORD
	v_lshlrev_b32_e32 v74, 2, v8
	v_and_b32_e32 v3, s15, v26
	ds_bpermute_b32 v8, v74, v5
	ds_bpermute_b32 v24, v74, v6
	v_or_b32_e32 v3, 0x80000000, v3
	v_and_b32_e32 v4, s14, v25
	v_ffbl_b32_e32 v3, v3
	v_add_u32_e32 v3, 32, v3
	v_ffbl_b32_e32 v4, v4
	v_min_u32_e32 v3, v4, v3
	s_waitcnt lgkmcnt(1)
	v_add_u32_e32 v4, v8, v5
	s_waitcnt lgkmcnt(0)
	v_add_u32_e32 v8, v24, v6
	v_cmp_lt_u32_e32 vcc, v73, v3
	v_cndmask_b32_e32 v6, v6, v8, vcc
	v_cndmask_b32_e32 v4, v5, v4, vcc
	v_cmp_gt_u32_e32 vcc, 62, v73
	v_cndmask_b32_e64 v5, 0, 2, vcc
	v_add_lshl_u32 v75, v5, v63, 2
	ds_bpermute_b32 v5, v75, v4
	ds_bpermute_b32 v8, v75, v6
	v_add_u32_e32 v76, 2, v73
	v_cmp_gt_u32_e32 vcc, v76, v3
	v_add_u32_e32 v78, 4, v73
	s_waitcnt lgkmcnt(1)
	v_add_u32_e32 v5, v4, v5
	s_waitcnt lgkmcnt(0)
	v_add_u32_e32 v8, v6, v8
	v_cndmask_b32_e32 v6, v8, v6, vcc
	v_cndmask_b32_e32 v4, v5, v4, vcc
	v_cmp_gt_u32_e32 vcc, 60, v73
	v_cndmask_b32_e64 v5, 0, 4, vcc
	v_add_lshl_u32 v77, v5, v63, 2
	ds_bpermute_b32 v5, v77, v4
	ds_bpermute_b32 v8, v77, v6
	v_cmp_gt_u32_e32 vcc, v78, v3
	v_add_u32_e32 v80, 8, v73
	v_add_u32_e32 v82, 16, v73
	s_waitcnt lgkmcnt(1)
	v_add_u32_e32 v5, v4, v5
	s_waitcnt lgkmcnt(0)
	v_add_u32_e32 v8, v6, v8
	v_cndmask_b32_e32 v6, v8, v6, vcc
	v_cndmask_b32_e32 v4, v5, v4, vcc
	v_cmp_gt_u32_e32 vcc, 56, v73
	v_cndmask_b32_e64 v5, 0, 8, vcc
	v_add_lshl_u32 v79, v5, v63, 2
	ds_bpermute_b32 v5, v79, v4
	ds_bpermute_b32 v8, v79, v6
	v_cmp_gt_u32_e32 vcc, v80, v3
	v_add_u32_e32 v84, 32, v73
	v_mov_b32_e32 v24, 0
	s_waitcnt lgkmcnt(1)
	v_add_u32_e32 v5, v4, v5
	s_waitcnt lgkmcnt(0)
	v_add_u32_e32 v8, v6, v8
	v_cndmask_b32_e32 v6, v8, v6, vcc
	v_cndmask_b32_e32 v4, v5, v4, vcc
	v_cmp_gt_u32_e32 vcc, 48, v73
	v_cndmask_b32_e64 v5, 0, 16, vcc
	v_add_lshl_u32 v81, v5, v63, 2
	ds_bpermute_b32 v5, v81, v4
	ds_bpermute_b32 v8, v81, v6
	v_cmp_gt_u32_e32 vcc, v82, v3
	s_waitcnt lgkmcnt(1)
	v_add_u32_e32 v5, v4, v5
	s_waitcnt lgkmcnt(0)
	v_add_u32_e32 v8, v6, v8
	v_cndmask_b32_e32 v4, v5, v4, vcc
	v_mov_b32_e32 v5, 0x80
	v_cndmask_b32_e32 v6, v8, v6, vcc
	v_lshl_or_b32 v83, v63, 2, v5
	ds_bpermute_b32 v5, v83, v4
	ds_bpermute_b32 v8, v83, v6
	v_cmp_le_u32_e32 vcc, v84, v3
	s_waitcnt lgkmcnt(1)
	v_cndmask_b32_e32 v3, 0, v5, vcc
	s_waitcnt lgkmcnt(0)
	v_cndmask_b32_e32 v5, 0, v8, vcc
	v_add_u32_e32 v6, v6, v5
	v_add_u32_e32 v5, v4, v3
	s_branch .LBB1368_128
.LBB1368_125:                           ;   in Loop: Header=BB1368_128 Depth=1
	s_or_b64 exec, exec, s[16:17]
.LBB1368_126:                           ;   in Loop: Header=BB1368_128 Depth=1
	s_or_b64 exec, exec, s[14:15]
	v_cmp_eq_u16_sdwa s[14:15], v7, v72 src0_sel:BYTE_0 src1_sel:DWORD
	v_and_b32_e32 v8, s15, v26
	ds_bpermute_b32 v28, v74, v5
	ds_bpermute_b32 v85, v74, v6
	v_or_b32_e32 v8, 0x80000000, v8
	v_and_b32_e32 v27, s14, v25
	v_ffbl_b32_e32 v8, v8
	v_add_u32_e32 v8, 32, v8
	v_ffbl_b32_e32 v27, v27
	v_min_u32_e32 v8, v27, v8
	s_waitcnt lgkmcnt(1)
	v_add_u32_e32 v27, v28, v5
	s_waitcnt lgkmcnt(0)
	v_add_u32_e32 v28, v85, v6
	v_cmp_lt_u32_e32 vcc, v73, v8
	v_cndmask_b32_e32 v6, v6, v28, vcc
	v_cndmask_b32_e32 v5, v5, v27, vcc
	ds_bpermute_b32 v27, v75, v5
	ds_bpermute_b32 v28, v75, v6
	v_cmp_gt_u32_e32 vcc, v76, v8
	v_subrev_u32_e32 v23, 64, v23
	s_mov_b64 s[14:15], 0
	s_waitcnt lgkmcnt(1)
	v_add_u32_e32 v27, v5, v27
	s_waitcnt lgkmcnt(0)
	v_add_u32_e32 v28, v6, v28
	v_cndmask_b32_e32 v6, v28, v6, vcc
	v_cndmask_b32_e32 v5, v27, v5, vcc
	ds_bpermute_b32 v27, v77, v5
	ds_bpermute_b32 v28, v77, v6
	v_cmp_gt_u32_e32 vcc, v78, v8
	s_waitcnt lgkmcnt(1)
	v_add_u32_e32 v27, v5, v27
	s_waitcnt lgkmcnt(0)
	v_add_u32_e32 v28, v6, v28
	v_cndmask_b32_e32 v6, v28, v6, vcc
	v_cndmask_b32_e32 v5, v27, v5, vcc
	ds_bpermute_b32 v27, v79, v5
	ds_bpermute_b32 v28, v79, v6
	v_cmp_gt_u32_e32 vcc, v80, v8
	;; [unrolled: 9-line block ×3, first 2 shown]
	s_waitcnt lgkmcnt(1)
	v_add_u32_e32 v27, v5, v27
	s_waitcnt lgkmcnt(0)
	v_add_u32_e32 v28, v6, v28
	v_cndmask_b32_e32 v6, v28, v6, vcc
	v_cndmask_b32_e32 v5, v27, v5, vcc
	ds_bpermute_b32 v27, v83, v5
	ds_bpermute_b32 v28, v83, v6
	v_cmp_le_u32_e32 vcc, v84, v8
	s_waitcnt lgkmcnt(1)
	v_cndmask_b32_e32 v8, 0, v27, vcc
	s_waitcnt lgkmcnt(0)
	v_cndmask_b32_e32 v27, 0, v28, vcc
	v_add3_u32 v6, v27, v4, v6
	v_add3_u32 v5, v8, v3, v5
.LBB1368_127:                           ;   in Loop: Header=BB1368_128 Depth=1
	s_and_b64 vcc, exec, s[14:15]
	s_cbranch_vccnz .LBB1368_133
.LBB1368_128:                           ; =>This Loop Header: Depth=1
                                        ;     Child Loop BB1368_131 Depth 2
	v_mov_b32_e32 v3, v5
	v_cmp_ne_u16_sdwa s[14:15], v7, v72 src0_sel:BYTE_0 src1_sel:DWORD
	v_mov_b32_e32 v4, v6
	s_cmp_lg_u64 s[14:15], exec
	s_mov_b64 s[14:15], -1
                                        ; implicit-def: $vgpr7
                                        ; implicit-def: $vgpr5_vgpr6
	s_cbranch_scc1 .LBB1368_127
; %bb.129:                              ;   in Loop: Header=BB1368_128 Depth=1
	v_lshlrev_b64 v[5:6], 4, v[23:24]
	v_mov_b32_e32 v7, s13
	v_add_co_u32_e32 v27, vcc, s12, v5
	v_addc_co_u32_e32 v28, vcc, v7, v6, vcc
	;;#ASMSTART
	global_load_dwordx4 v[5:8], v[27:28] off glc	
s_waitcnt vmcnt(0)
	;;#ASMEND
	v_cmp_eq_u16_sdwa s[16:17], v7, v24 src0_sel:BYTE_0 src1_sel:DWORD
	s_and_saveexec_b64 s[14:15], s[16:17]
	s_cbranch_execz .LBB1368_126
; %bb.130:                              ;   in Loop: Header=BB1368_128 Depth=1
	s_mov_b64 s[16:17], 0
.LBB1368_131:                           ;   Parent Loop BB1368_128 Depth=1
                                        ; =>  This Inner Loop Header: Depth=2
	;;#ASMSTART
	global_load_dwordx4 v[5:8], v[27:28] off glc	
s_waitcnt vmcnt(0)
	;;#ASMEND
	v_cmp_ne_u16_sdwa s[20:21], v7, v24 src0_sel:BYTE_0 src1_sel:DWORD
	s_or_b64 s[16:17], s[20:21], s[16:17]
	s_andn2_b64 exec, exec, s[16:17]
	s_cbranch_execnz .LBB1368_131
	s_branch .LBB1368_125
.LBB1368_132:
                                        ; implicit-def: $vgpr22
                                        ; implicit-def: $vgpr3
                                        ; implicit-def: $vgpr23
	s_cbranch_execnz .LBB1368_138
	s_branch .LBB1368_147
.LBB1368_133:
	s_and_saveexec_b64 s[14:15], s[8:9]
	s_cbranch_execnz .LBB1368_375
; %bb.134:
	s_or_b64 exec, exec, s[14:15]
	s_and_saveexec_b64 s[6:7], s[8:9]
	s_cbranch_execnz .LBB1368_376
.LBB1368_135:
	s_or_b64 exec, exec, s[6:7]
	v_cmp_eq_u32_e32 vcc, 0, v0
	s_and_b64 exec, exec, vcc
.LBB1368_136:
	v_mov_b32_e32 v1, 0
	ds_write_b64 v1, v[3:4] offset:24
.LBB1368_137:
	s_or_b64 exec, exec, s[10:11]
	v_mov_b32_e32 v1, 0
	s_waitcnt lgkmcnt(0)
	s_barrier
	ds_read_b64 v[5:6], v1 offset:24
	v_cndmask_b32_e64 v2, v71, v22, s[8:9]
	v_cndmask_b32_e64 v3, v70, v21, s[8:9]
	s_waitcnt lgkmcnt(0)
	s_barrier
	v_add_u32_e32 v7, v5, v3
	v_add_u32_e32 v8, v6, v2
	ds_read_b128 v[1:4], v1 offset:13312
	v_cmp_eq_u32_e32 vcc, 0, v0
	v_cndmask_b32_e32 v22, v8, v6, vcc
	v_cndmask_b32_e32 v23, v7, v5, vcc
	s_branch .LBB1368_147
.LBB1368_138:
	s_waitcnt lgkmcnt(0)
	v_mov_b32_dpp v1, v68 row_shr:1 row_mask:0xf bank_mask:0xf
	v_mov_b32_dpp v2, v69 row_shr:1 row_mask:0xf bank_mask:0xf
	v_add_u32_e32 v1, v1, v68
	v_add_u32_e32 v2, v2, v69
	v_cndmask_b32_e64 v2, v2, v69, s[4:5]
	v_cndmask_b32_e64 v1, v1, v68, s[4:5]
	v_cmp_lt_u32_e32 vcc, 3, v67
	v_mov_b32_dpp v4, v2 row_shr:2 row_mask:0xf bank_mask:0xf
	v_mov_b32_dpp v3, v1 row_shr:2 row_mask:0xf bank_mask:0xf
	v_add_u32_e32 v3, v1, v3
	v_add_u32_e32 v4, v2, v4
	v_cndmask_b32_e64 v2, v2, v4, s[2:3]
	v_cndmask_b32_e64 v1, v1, v3, s[2:3]
	v_cmp_eq_u32_e64 s[2:3], v0, v65
	v_mov_b32_dpp v4, v2 row_shr:4 row_mask:0xf bank_mask:0xf
	v_mov_b32_dpp v3, v1 row_shr:4 row_mask:0xf bank_mask:0xf
	v_add_u32_e32 v3, v1, v3
	v_add_u32_e32 v4, v2, v4
	v_cndmask_b32_e32 v2, v2, v4, vcc
	v_cndmask_b32_e32 v1, v1, v3, vcc
	v_cmp_lt_u32_e32 vcc, 7, v67
	v_mov_b32_dpp v4, v2 row_shr:8 row_mask:0xf bank_mask:0xf
	v_mov_b32_dpp v3, v1 row_shr:8 row_mask:0xf bank_mask:0xf
	v_add_u32_e32 v3, v1, v3
	v_add_u32_e32 v4, v2, v4
	v_cndmask_b32_e32 v2, v2, v4, vcc
	v_cndmask_b32_e32 v3, v1, v3, vcc
	v_cmp_eq_u32_e32 vcc, 0, v66
	v_mov_b32_dpp v4, v2 row_bcast:15 row_mask:0xf bank_mask:0xf
	v_mov_b32_dpp v1, v3 row_bcast:15 row_mask:0xf bank_mask:0xf
	v_add_u32_e32 v5, v3, v1
	v_add_u32_e32 v1, v2, v4
	v_cndmask_b32_e32 v1, v1, v2, vcc
	v_cndmask_b32_e32 v2, v5, v3, vcc
	v_cmp_lt_u32_e32 vcc, 31, v63
	v_mov_b32_dpp v3, v1 row_bcast:31 row_mask:0xf bank_mask:0xf
	v_mov_b32_dpp v4, v2 row_bcast:31 row_mask:0xf bank_mask:0xf
	v_add_u32_e32 v3, v1, v3
	v_add_u32_e32 v4, v2, v4
	s_and_saveexec_b64 s[4:5], s[2:3]
; %bb.139:
	v_cndmask_b32_e32 v5, v2, v4, vcc
	v_cndmask_b32_e32 v6, v1, v3, vcc
	v_lshlrev_b32_e32 v7, 3, v64
	ds_write_b64 v7, v[5:6]
; %bb.140:
	s_or_b64 exec, exec, s[4:5]
	v_cmp_gt_u32_e64 s[2:3], 4, v0
	s_waitcnt lgkmcnt(0)
	s_barrier
	s_and_saveexec_b64 s[4:5], s[2:3]
	s_cbranch_execz .LBB1368_142
; %bb.141:
	v_lshlrev_b32_e32 v7, 3, v0
	ds_read_b64 v[5:6], v7
	v_and_b32_e32 v8, 3, v63
	v_cmp_eq_u32_e64 s[2:3], 0, v8
	s_waitcnt lgkmcnt(0)
	v_mov_b32_dpp v21, v5 row_shr:1 row_mask:0xf bank_mask:0xf
	v_mov_b32_dpp v22, v6 row_shr:1 row_mask:0xf bank_mask:0xf
	v_add_u32_e32 v21, v21, v5
	v_add_u32_e32 v22, v22, v6
	v_cndmask_b32_e64 v6, v22, v6, s[2:3]
	v_cndmask_b32_e64 v5, v21, v5, s[2:3]
	v_cmp_lt_u32_e64 s[2:3], 1, v8
	v_mov_b32_dpp v22, v6 row_shr:2 row_mask:0xf bank_mask:0xf
	v_mov_b32_dpp v21, v5 row_shr:2 row_mask:0xf bank_mask:0xf
	v_cndmask_b32_e64 v8, 0, v21, s[2:3]
	v_cndmask_b32_e64 v21, 0, v22, s[2:3]
	v_add_u32_e32 v6, v21, v6
	v_add_u32_e32 v5, v8, v5
	ds_write_b64 v7, v[5:6]
.LBB1368_142:
	s_or_b64 exec, exec, s[4:5]
	v_cmp_lt_u32_e64 s[2:3], 63, v0
	v_mov_b32_e32 v7, 0
	v_mov_b32_e32 v5, 0
	;; [unrolled: 1-line block ×3, first 2 shown]
	s_waitcnt lgkmcnt(0)
	s_barrier
	s_and_saveexec_b64 s[4:5], s[2:3]
; %bb.143:
	v_lshl_add_u32 v5, v64, 3, -8
	ds_read_b64 v[5:6], v5
; %bb.144:
	s_or_b64 exec, exec, s[4:5]
	v_cndmask_b32_e32 v2, v2, v4, vcc
	v_cndmask_b32_e32 v1, v1, v3, vcc
	v_subrev_co_u32_e32 v3, vcc, 1, v63
	v_and_b32_e32 v4, 64, v63
	v_cmp_lt_i32_e64 s[2:3], v3, v4
	v_cndmask_b32_e64 v3, v3, v63, s[2:3]
	s_waitcnt lgkmcnt(0)
	v_add_u32_e32 v1, v6, v1
	v_add_u32_e32 v2, v5, v2
	v_lshlrev_b32_e32 v3, 2, v3
	ds_bpermute_b32 v8, v3, v2
	ds_bpermute_b32 v21, v3, v1
	ds_read_b64 v[1:2], v7 offset:24
	v_cmp_eq_u32_e64 s[2:3], 0, v0
	s_and_saveexec_b64 s[4:5], s[2:3]
	s_cbranch_execz .LBB1368_146
; %bb.145:
	s_add_u32 s6, s12, 0x400
	s_addc_u32 s7, s13, 0
	v_mov_b32_e32 v23, s7
	v_mov_b32_e32 v3, 2
	;; [unrolled: 1-line block ×4, first 2 shown]
	s_waitcnt lgkmcnt(0)
	;;#ASMSTART
	global_store_dwordx4 v[22:23], v[1:4] off	
s_waitcnt vmcnt(0)
	;;#ASMEND
.LBB1368_146:
	s_or_b64 exec, exec, s[4:5]
	s_waitcnt lgkmcnt(2)
	v_cndmask_b32_e32 v3, v8, v5, vcc
	s_waitcnt lgkmcnt(1)
	v_cndmask_b32_e32 v4, v21, v6, vcc
	v_cndmask_b32_e64 v22, v4, 0, s[2:3]
	v_cndmask_b32_e64 v23, v3, 0, s[2:3]
	v_mov_b32_e32 v4, 0
	v_mov_b32_e32 v3, 0
	s_waitcnt lgkmcnt(0)
	s_barrier
.LBB1368_147:
	v_mov_b32_e32 v6, s49
	s_waitcnt lgkmcnt(0)
	v_add_co_u32_e32 v5, vcc, s48, v3
	v_addc_co_u32_e32 v6, vcc, 0, v6, vcc
	v_mov_b32_e32 v27, s51
	v_sub_co_u32_e32 v28, vcc, s50, v1
	v_subbrev_co_u32_e32 v69, vcc, 0, v27, vcc
	v_add_co_u32_e32 v27, vcc, v28, v4
	v_add_u32_e32 v49, v22, v49
	v_addc_co_u32_e32 v28, vcc, 0, v69, vcc
	v_lshlrev_b32_e32 v69, 1, v1
	v_sub_u32_e32 v22, v22, v4
	v_lshrrev_b32_e32 v26, 8, v37
	v_add_u32_e32 v48, v23, v48
	v_add_u32_e32 v70, v69, v2
	v_sub_u32_e32 v23, v23, v3
	v_add_u32_e32 v22, v22, v1
	v_add_u32_e32 v30, v70, v30
	v_and_b32_e32 v26, 1, v26
	v_add_u32_e32 v71, v23, v22
	v_and_b32_e32 v70, 1, v31
	v_sub_u32_e32 v71, v30, v71
	v_cmp_eq_u32_e32 vcc, 1, v26
	v_cndmask_b32_e32 v22, v71, v22, vcc
	v_cmp_eq_u32_e32 vcc, 1, v70
	v_cndmask_b32_e32 v22, v22, v23, vcc
	v_lshlrev_b32_e32 v22, 2, v22
	v_sub_u32_e32 v23, v49, v4
	v_lshrrev_b32_e32 v25, 8, v31
	ds_write_b32 v22, v19
	v_sub_u32_e32 v19, v48, v3
	v_add_u32_e32 v23, v23, v1
	v_add_u32_e32 v45, v48, v45
	v_and_b32_e32 v22, 1, v25
	v_mov_b32_e32 v25, 1
	v_add_u32_e32 v48, v23, v19
	v_and_b32_sdwa v26, v25, v37 dst_sel:DWORD dst_unused:UNUSED_PAD src0_sel:DWORD src1_sel:WORD_1
	v_sub_u32_e32 v48, v30, v48
	v_add_u32_e32 v48, 1, v48
	v_cmp_eq_u32_e32 vcc, 1, v26
	v_cndmask_b32_e32 v23, v48, v23, vcc
	v_cmp_eq_u32_e32 vcc, 1, v22
	v_add_u32_e32 v57, v49, v57
	v_cndmask_b32_e32 v19, v23, v19, vcc
	v_lshlrev_b32_e32 v19, 2, v19
	v_sub_u32_e32 v22, v57, v4
	ds_write_b32 v19, v20
	v_sub_u32_e32 v19, v45, v3
	v_add_u32_e32 v22, v22, v1
	v_add_u32_e32 v26, v22, v19
	v_and_b32_e32 v23, 1, v44
	v_sub_u32_e32 v26, v30, v26
	v_and_b32_sdwa v20, v25, v31 dst_sel:DWORD dst_unused:UNUSED_PAD src0_sel:DWORD src1_sel:WORD_1
	v_add_u32_e32 v26, 2, v26
	v_cmp_eq_u32_e32 vcc, 1, v23
	v_cndmask_b32_e32 v22, v26, v22, vcc
	v_cmp_eq_u32_e32 vcc, 1, v20
	v_add_u32_e32 v63, v57, v44
	v_cndmask_b32_e32 v19, v22, v19, vcc
	v_add_u32_e32 v50, v45, v50
	v_lshlrev_b32_e32 v19, 2, v19
	v_sub_u32_e32 v20, v63, v4
	ds_write_b32 v19, v17
	v_sub_u32_e32 v17, v50, v3
	v_add_u32_e32 v20, v20, v1
	v_add_u32_e32 v23, v17, v20
	v_and_b32_e32 v22, 1, v32
	v_sub_u32_e32 v23, v30, v23
	v_and_b32_e32 v19, 1, v43
	v_add_u32_e32 v23, 3, v23
	v_cmp_eq_u32_e32 vcc, 1, v22
	v_cndmask_b32_e32 v20, v23, v20, vcc
	v_cmp_eq_u32_e32 vcc, 1, v19
	v_add_u32_e32 v58, v63, v58
	v_cndmask_b32_e32 v17, v20, v17, vcc
	v_add_u32_e32 v64, v50, v43
	v_lshlrev_b32_e32 v17, 2, v17
	v_sub_u32_e32 v19, v58, v4
	ds_write_b32 v17, v18
	v_sub_u32_e32 v17, v64, v3
	v_add_u32_e32 v19, v19, v1
	v_lshrrev_b32_e32 v24, 8, v32
	v_add_u32_e32 v22, v17, v19
	v_and_b32_e32 v20, 1, v24
	v_sub_u32_e32 v22, v30, v22
	v_and_b32_e32 v18, 1, v33
	v_add_u32_e32 v22, 4, v22
	v_cmp_eq_u32_e32 vcc, 1, v20
	v_cndmask_b32_e32 v19, v22, v19, vcc
	v_cmp_eq_u32_e32 vcc, 1, v18
	v_add_u32_e32 v52, v58, v52
	v_cndmask_b32_e32 v17, v19, v17, vcc
	v_add_u32_e32 v51, v64, v51
	v_lshlrev_b32_e32 v17, 2, v17
	v_sub_u32_e32 v18, v52, v4
	ds_write_b32 v17, v15
	v_sub_u32_e32 v15, v51, v3
	v_add_u32_e32 v18, v18, v1
	v_add_u32_e32 v20, v15, v18
	v_lshrrev_b32_e32 v21, 8, v33
	v_and_b32_sdwa v19, v25, v32 dst_sel:DWORD dst_unused:UNUSED_PAD src0_sel:DWORD src1_sel:WORD_1
	v_sub_u32_e32 v20, v30, v20
	v_and_b32_e32 v17, 1, v21
	v_add_u32_e32 v20, 5, v20
	v_cmp_eq_u32_e32 vcc, 1, v19
	v_cndmask_b32_e32 v18, v20, v18, vcc
	v_cmp_eq_u32_e32 vcc, 1, v17
	v_add_u32_e32 v59, v52, v59
	v_cndmask_b32_e32 v15, v18, v15, vcc
	v_add_u32_e32 v46, v51, v46
	v_lshlrev_b32_e32 v15, 2, v15
	v_sub_u32_e32 v17, v59, v4
	ds_write_b32 v15, v16
	v_sub_u32_e32 v15, v46, v3
	v_add_u32_e32 v17, v17, v1
	v_add_u32_e32 v19, v15, v17
	v_and_b32_e32 v18, 1, v42
	v_sub_u32_e32 v19, v30, v19
	v_and_b32_sdwa v16, v25, v33 dst_sel:DWORD dst_unused:UNUSED_PAD src0_sel:DWORD src1_sel:WORD_1
	v_add_u32_e32 v19, 6, v19
	v_cmp_eq_u32_e32 vcc, 1, v18
	v_cndmask_b32_e32 v17, v19, v17, vcc
	v_cmp_eq_u32_e32 vcc, 1, v16
	v_add_u32_e32 v65, v59, v42
	v_cndmask_b32_e32 v15, v17, v15, vcc
	v_add_u32_e32 v53, v46, v53
	v_lshlrev_b32_e32 v15, 2, v15
	v_sub_u32_e32 v16, v65, v4
	ds_write_b32 v15, v13
	v_sub_u32_e32 v13, v53, v3
	v_add_u32_e32 v16, v16, v1
	v_add_u32_e32 v18, v13, v16
	v_and_b32_e32 v17, 1, v34
	v_sub_u32_e32 v18, v30, v18
	v_and_b32_e32 v15, 1, v41
	v_add_u32_e32 v18, 7, v18
	v_cmp_eq_u32_e32 vcc, 1, v17
	v_cndmask_b32_e32 v16, v18, v16, vcc
	v_cmp_eq_u32_e32 vcc, 1, v15
	v_add_u32_e32 v60, v65, v60
	v_cndmask_b32_e32 v13, v16, v13, vcc
	v_add_u32_e32 v66, v53, v41
	v_lshlrev_b32_e32 v13, 2, v13
	v_sub_u32_e32 v15, v60, v4
	ds_write_b32 v13, v14
	v_sub_u32_e32 v13, v66, v3
	v_add_u32_e32 v15, v15, v1
	v_lshrrev_b32_e32 v8, 8, v34
	v_add_u32_e32 v16, v13, v15
	v_and_b32_e32 v8, 1, v8
	v_sub_u32_e32 v16, v30, v16
	v_and_b32_e32 v14, 1, v36
	v_add_u32_e32 v16, 8, v16
	v_cmp_eq_u32_e32 vcc, 1, v8
	v_cndmask_b32_e32 v8, v16, v15, vcc
	v_cmp_eq_u32_e32 vcc, 1, v14
	v_cndmask_b32_e32 v8, v8, v13, vcc
	v_add_u32_e32 v55, v60, v55
	v_lshlrev_b32_e32 v8, 2, v8
	v_add_u32_e32 v54, v66, v54
	ds_write_b32 v8, v11
	v_sub_u32_e32 v11, v55, v4
	v_sub_u32_e32 v8, v54, v3
	v_add_u32_e32 v11, v11, v1
	v_add_u32_e32 v14, v8, v11
	v_lshrrev_b32_e32 v7, 8, v36
	v_and_b32_sdwa v13, v25, v34 dst_sel:DWORD dst_unused:UNUSED_PAD src0_sel:DWORD src1_sel:WORD_1
	v_sub_u32_e32 v14, v30, v14
	v_and_b32_e32 v7, 1, v7
	v_add_u32_e32 v14, 9, v14
	v_cmp_eq_u32_e32 vcc, 1, v13
	v_cndmask_b32_e32 v11, v14, v11, vcc
	v_cmp_eq_u32_e32 vcc, 1, v7
	v_add_u32_e32 v61, v55, v61
	v_cndmask_b32_e32 v7, v11, v8, vcc
	v_add_u32_e32 v47, v54, v47
	v_lshlrev_b32_e32 v7, 2, v7
	v_sub_u32_e32 v11, v61, v4
	ds_write_b32 v7, v12
	v_sub_u32_e32 v7, v47, v3
	v_add_u32_e32 v11, v11, v1
	v_add_u32_e32 v13, v7, v11
	v_and_b32_e32 v12, 1, v40
	v_sub_u32_e32 v13, v30, v13
	v_and_b32_sdwa v8, v25, v36 dst_sel:DWORD dst_unused:UNUSED_PAD src0_sel:DWORD src1_sel:WORD_1
	v_add_u32_e32 v13, 10, v13
	v_cmp_eq_u32_e32 vcc, 1, v12
	v_cndmask_b32_e32 v11, v13, v11, vcc
	v_cmp_eq_u32_e32 vcc, 1, v8
	v_cndmask_b32_e32 v7, v11, v7, vcc
	v_add_u32_e32 v67, v61, v40
	v_lshlrev_b32_e32 v7, 2, v7
	v_add_u32_e32 v56, v47, v56
	ds_write_b32 v7, v9
	v_sub_u32_e32 v9, v67, v4
	v_sub_u32_e32 v7, v56, v3
	v_add_u32_e32 v9, v9, v1
	v_add_u32_e32 v12, v7, v9
	v_and_b32_e32 v11, 1, v35
	v_sub_u32_e32 v12, v30, v12
	v_and_b32_e32 v8, 1, v39
	v_add_u32_e32 v12, 11, v12
	v_cmp_eq_u32_e32 vcc, 1, v11
	v_add_u32_e32 v62, v67, v62
	v_cndmask_b32_e32 v9, v12, v9, vcc
	v_cmp_eq_u32_e32 vcc, 1, v8
	v_add_u32_e32 v68, v56, v39
	v_cndmask_b32_e32 v7, v9, v7, vcc
	v_sub_u32_e32 v8, v62, v4
	v_lshlrev_b32_e32 v7, 2, v7
	v_sub_u32_e32 v3, v68, v3
	v_add_u32_e32 v8, v8, v1
	ds_write_b32 v7, v10
	v_add_u32_e32 v10, v3, v8
	v_and_b32_e32 v9, 1, v38
	v_sub_u32_e32 v10, v30, v10
	v_and_b32_e32 v7, 1, v37
	v_add_u32_e32 v10, 12, v10
	v_cmp_eq_u32_e32 vcc, 1, v9
	v_cndmask_b32_e32 v8, v10, v8, vcc
	v_cmp_eq_u32_e32 vcc, 1, v7
	v_cndmask_b32_e32 v3, v8, v3, vcc
	v_lshlrev_b32_e32 v3, 2, v3
	ds_write_b32 v3, v29
	v_add_co_u32_e32 v3, vcc, v2, v69
	v_addc_co_u32_e64 v7, s[2:3], 0, 0, vcc
	v_add_co_u32_e32 v3, vcc, v3, v27
	v_addc_co_u32_e32 v7, vcc, v7, v28, vcc
	s_add_u32 s4, s56, s33
	v_add_co_u32_e32 v3, vcc, v3, v5
	s_addc_u32 s5, s57, 0
	v_addc_co_u32_e32 v7, vcc, v7, v6, vcc
	v_mov_b32_e32 v8, s5
	v_sub_co_u32_e32 v3, vcc, s4, v3
	v_subb_co_u32_e32 v11, vcc, v8, v7, vcc
	v_lshlrev_b64 v[7:8], 2, v[27:28]
	v_mov_b32_e32 v9, s55
	v_add_co_u32_e32 v7, vcc, s54, v7
	v_addc_co_u32_e32 v8, vcc, v9, v8, vcc
	v_lshlrev_b64 v[9:10], 2, v[5:6]
	v_mov_b32_e32 v13, s53
	v_add_co_u32_e32 v9, vcc, s52, v9
	v_addc_co_u32_e32 v10, vcc, v13, v10, vcc
	v_add_u32_e32 v12, v1, v2
	s_and_b64 vcc, exec, s[0:1]
	s_mov_b64 s[0:1], -1
	s_waitcnt lgkmcnt(0)
	s_barrier
	s_cbranch_vccz .LBB1368_151
; %bb.148:
	s_and_b64 vcc, exec, s[0:1]
	s_cbranch_vccnz .LBB1368_256
.LBB1368_149:
	v_cmp_eq_u32_e32 vcc, 0, v0
	s_and_b64 s[0:1], vcc, s[34:35]
	s_and_saveexec_b64 s[2:3], s[0:1]
	s_cbranch_execnz .LBB1368_374
.LBB1368_150:
	s_endpgm
.LBB1368_151:
	v_cmp_ge_u32_e32 vcc, v0, v1
	s_and_saveexec_b64 s[0:1], vcc
	s_xor_b64 s[0:1], exec, s[0:1]
	s_cbranch_execz .LBB1368_157
; %bb.152:
	v_cmp_ge_u32_e32 vcc, v0, v12
	s_and_saveexec_b64 s[2:3], vcc
	s_xor_b64 s[2:3], exec, s[2:3]
	s_cbranch_execz .LBB1368_154
; %bb.153:
	v_add_co_u32_e32 v13, vcc, v3, v0
	v_lshlrev_b32_e32 v15, 2, v0
	v_addc_co_u32_e32 v14, vcc, 0, v11, vcc
	ds_read_b32 v15, v15
	v_lshlrev_b64 v[13:14], 2, v[13:14]
	v_mov_b32_e32 v16, s47
	v_sub_co_u32_e32 v13, vcc, s46, v13
	v_subb_co_u32_e32 v14, vcc, v16, v14, vcc
	s_waitcnt lgkmcnt(0)
	global_store_dword v[13:14], v15, off offset:-4
.LBB1368_154:
	s_andn2_saveexec_b64 s[2:3], s[2:3]
	s_cbranch_execz .LBB1368_156
; %bb.155:
	v_lshlrev_b32_e32 v13, 2, v0
	ds_read_b32 v14, v13
	v_readfirstlane_b32 s4, v7
	v_readfirstlane_b32 s5, v8
	s_waitcnt lgkmcnt(0)
	s_nop 3
	global_store_dword v13, v14, s[4:5]
.LBB1368_156:
	s_or_b64 exec, exec, s[2:3]
.LBB1368_157:
	s_andn2_saveexec_b64 s[0:1], s[0:1]
	s_cbranch_execz .LBB1368_159
; %bb.158:
	v_lshlrev_b32_e32 v13, 2, v0
	ds_read_b32 v14, v13
	v_readfirstlane_b32 s2, v9
	v_readfirstlane_b32 s3, v10
	s_waitcnt lgkmcnt(0)
	s_nop 3
	global_store_dword v13, v14, s[2:3]
.LBB1368_159:
	s_or_b64 exec, exec, s[0:1]
	v_or_b32_e32 v13, 0x100, v0
	v_cmp_ge_u32_e32 vcc, v13, v1
	s_and_saveexec_b64 s[0:1], vcc
	s_xor_b64 s[0:1], exec, s[0:1]
	s_cbranch_execz .LBB1368_165
; %bb.160:
	v_cmp_ge_u32_e32 vcc, v13, v12
	s_and_saveexec_b64 s[2:3], vcc
	s_xor_b64 s[2:3], exec, s[2:3]
	s_cbranch_execz .LBB1368_162
; %bb.161:
	v_lshlrev_b32_e32 v13, 2, v0
	ds_read_b32 v15, v13 offset:1024
	v_add_co_u32_e32 v13, vcc, v3, v0
	v_addc_co_u32_e32 v14, vcc, 0, v11, vcc
	v_lshlrev_b64 v[13:14], 2, v[13:14]
	v_mov_b32_e32 v16, s47
	v_sub_co_u32_e32 v13, vcc, s46, v13
	v_subb_co_u32_e32 v14, vcc, v16, v14, vcc
	s_waitcnt lgkmcnt(0)
	global_store_dword v[13:14], v15, off offset:-1028
.LBB1368_162:
	s_andn2_saveexec_b64 s[2:3], s[2:3]
	s_cbranch_execz .LBB1368_164
; %bb.163:
	v_lshlrev_b32_e32 v13, 2, v0
	ds_read_b32 v14, v13 offset:1024
	v_readfirstlane_b32 s4, v7
	v_readfirstlane_b32 s5, v8
	s_waitcnt lgkmcnt(0)
	s_nop 3
	global_store_dword v13, v14, s[4:5] offset:1024
.LBB1368_164:
	s_or_b64 exec, exec, s[2:3]
.LBB1368_165:
	s_andn2_saveexec_b64 s[0:1], s[0:1]
	s_cbranch_execz .LBB1368_167
; %bb.166:
	v_lshlrev_b32_e32 v13, 2, v0
	ds_read_b32 v14, v13 offset:1024
	v_readfirstlane_b32 s2, v9
	v_readfirstlane_b32 s3, v10
	s_waitcnt lgkmcnt(0)
	s_nop 3
	global_store_dword v13, v14, s[2:3] offset:1024
.LBB1368_167:
	s_or_b64 exec, exec, s[0:1]
	v_or_b32_e32 v13, 0x200, v0
	v_cmp_ge_u32_e32 vcc, v13, v1
	s_and_saveexec_b64 s[0:1], vcc
	s_xor_b64 s[0:1], exec, s[0:1]
	s_cbranch_execz .LBB1368_173
; %bb.168:
	v_cmp_ge_u32_e32 vcc, v13, v12
	s_and_saveexec_b64 s[2:3], vcc
	s_xor_b64 s[2:3], exec, s[2:3]
	s_cbranch_execz .LBB1368_170
; %bb.169:
	v_lshlrev_b32_e32 v13, 2, v0
	ds_read_b32 v15, v13 offset:2048
	v_add_co_u32_e32 v13, vcc, v3, v0
	v_addc_co_u32_e32 v14, vcc, 0, v11, vcc
	v_lshlrev_b64 v[13:14], 2, v[13:14]
	v_mov_b32_e32 v16, s47
	v_sub_co_u32_e32 v13, vcc, s46, v13
	v_subb_co_u32_e32 v14, vcc, v16, v14, vcc
	s_waitcnt lgkmcnt(0)
	global_store_dword v[13:14], v15, off offset:-2052
.LBB1368_170:
	s_andn2_saveexec_b64 s[2:3], s[2:3]
	s_cbranch_execz .LBB1368_172
; %bb.171:
	v_lshlrev_b32_e32 v13, 2, v0
	ds_read_b32 v14, v13 offset:2048
	v_readfirstlane_b32 s4, v7
	v_readfirstlane_b32 s5, v8
	s_waitcnt lgkmcnt(0)
	s_nop 3
	global_store_dword v13, v14, s[4:5] offset:2048
.LBB1368_172:
	s_or_b64 exec, exec, s[2:3]
.LBB1368_173:
	s_andn2_saveexec_b64 s[0:1], s[0:1]
	s_cbranch_execz .LBB1368_175
; %bb.174:
	v_lshlrev_b32_e32 v13, 2, v0
	ds_read_b32 v14, v13 offset:2048
	v_readfirstlane_b32 s2, v9
	v_readfirstlane_b32 s3, v10
	s_waitcnt lgkmcnt(0)
	s_nop 3
	global_store_dword v13, v14, s[2:3] offset:2048
.LBB1368_175:
	;; [unrolled: 47-line block ×3, first 2 shown]
	s_or_b64 exec, exec, s[0:1]
	v_or_b32_e32 v13, 0x400, v0
	v_cmp_ge_u32_e32 vcc, v13, v1
	s_and_saveexec_b64 s[0:1], vcc
	s_xor_b64 s[0:1], exec, s[0:1]
	s_cbranch_execz .LBB1368_189
; %bb.184:
	v_cmp_ge_u32_e32 vcc, v13, v12
	s_and_saveexec_b64 s[2:3], vcc
	s_xor_b64 s[2:3], exec, s[2:3]
	s_cbranch_execz .LBB1368_186
; %bb.185:
	v_lshlrev_b32_e32 v13, 2, v0
	ds_read_b32 v15, v13 offset:4096
	v_add_co_u32_e32 v13, vcc, v3, v0
	v_addc_co_u32_e32 v14, vcc, 0, v11, vcc
	v_lshlrev_b64 v[13:14], 2, v[13:14]
	v_mov_b32_e32 v16, s47
	v_sub_co_u32_e32 v13, vcc, s46, v13
	v_subb_co_u32_e32 v14, vcc, v16, v14, vcc
	v_add_co_u32_e32 v13, vcc, 0xfffff000, v13
	v_addc_co_u32_e32 v14, vcc, -1, v14, vcc
	s_waitcnt lgkmcnt(0)
	global_store_dword v[13:14], v15, off offset:-4
                                        ; implicit-def: $vgpr13
.LBB1368_186:
	s_andn2_saveexec_b64 s[2:3], s[2:3]
	s_cbranch_execz .LBB1368_188
; %bb.187:
	v_lshlrev_b32_e32 v14, 2, v0
	ds_read_b32 v14, v14 offset:4096
	v_lshlrev_b32_e32 v13, 2, v13
	v_readfirstlane_b32 s4, v7
	v_readfirstlane_b32 s5, v8
	s_waitcnt lgkmcnt(0)
	s_nop 3
	global_store_dword v13, v14, s[4:5]
.LBB1368_188:
	s_or_b64 exec, exec, s[2:3]
                                        ; implicit-def: $vgpr13
.LBB1368_189:
	s_andn2_saveexec_b64 s[0:1], s[0:1]
	s_cbranch_execz .LBB1368_191
; %bb.190:
	v_lshlrev_b32_e32 v14, 2, v0
	ds_read_b32 v14, v14 offset:4096
	v_lshlrev_b32_e32 v13, 2, v13
	v_readfirstlane_b32 s2, v9
	v_readfirstlane_b32 s3, v10
	s_waitcnt lgkmcnt(0)
	s_nop 3
	global_store_dword v13, v14, s[2:3]
.LBB1368_191:
	s_or_b64 exec, exec, s[0:1]
	v_or_b32_e32 v13, 0x500, v0
	v_cmp_ge_u32_e32 vcc, v13, v1
	s_and_saveexec_b64 s[0:1], vcc
	s_xor_b64 s[0:1], exec, s[0:1]
	s_cbranch_execz .LBB1368_197
; %bb.192:
	v_cmp_ge_u32_e32 vcc, v13, v12
	s_and_saveexec_b64 s[2:3], vcc
	s_xor_b64 s[2:3], exec, s[2:3]
	s_cbranch_execz .LBB1368_194
; %bb.193:
	v_add_co_u32_e32 v13, vcc, v3, v13
	v_lshlrev_b32_e32 v15, 2, v0
	v_addc_co_u32_e32 v14, vcc, 0, v11, vcc
	ds_read_b32 v15, v15 offset:5120
	v_lshlrev_b64 v[13:14], 2, v[13:14]
	v_mov_b32_e32 v16, s47
	v_sub_co_u32_e32 v13, vcc, s46, v13
	v_subb_co_u32_e32 v14, vcc, v16, v14, vcc
	s_waitcnt lgkmcnt(0)
	global_store_dword v[13:14], v15, off offset:-4
                                        ; implicit-def: $vgpr13
.LBB1368_194:
	s_andn2_saveexec_b64 s[2:3], s[2:3]
	s_cbranch_execz .LBB1368_196
; %bb.195:
	v_lshlrev_b32_e32 v14, 2, v0
	ds_read_b32 v14, v14 offset:5120
	v_lshlrev_b32_e32 v13, 2, v13
	v_readfirstlane_b32 s4, v7
	v_readfirstlane_b32 s5, v8
	s_waitcnt lgkmcnt(0)
	s_nop 3
	global_store_dword v13, v14, s[4:5]
.LBB1368_196:
	s_or_b64 exec, exec, s[2:3]
                                        ; implicit-def: $vgpr13
.LBB1368_197:
	s_andn2_saveexec_b64 s[0:1], s[0:1]
	s_cbranch_execz .LBB1368_199
; %bb.198:
	v_lshlrev_b32_e32 v14, 2, v0
	ds_read_b32 v14, v14 offset:5120
	v_lshlrev_b32_e32 v13, 2, v13
	v_readfirstlane_b32 s2, v9
	v_readfirstlane_b32 s3, v10
	s_waitcnt lgkmcnt(0)
	s_nop 3
	global_store_dword v13, v14, s[2:3]
.LBB1368_199:
	s_or_b64 exec, exec, s[0:1]
	v_or_b32_e32 v13, 0x600, v0
	v_cmp_ge_u32_e32 vcc, v13, v1
	s_and_saveexec_b64 s[0:1], vcc
	s_xor_b64 s[0:1], exec, s[0:1]
	s_cbranch_execz .LBB1368_205
; %bb.200:
	v_cmp_ge_u32_e32 vcc, v13, v12
	s_and_saveexec_b64 s[2:3], vcc
	s_xor_b64 s[2:3], exec, s[2:3]
	s_cbranch_execz .LBB1368_202
; %bb.201:
	v_add_co_u32_e32 v13, vcc, v3, v13
	v_lshlrev_b32_e32 v15, 2, v0
	v_addc_co_u32_e32 v14, vcc, 0, v11, vcc
	ds_read_b32 v15, v15 offset:6144
	v_lshlrev_b64 v[13:14], 2, v[13:14]
	v_mov_b32_e32 v16, s47
	v_sub_co_u32_e32 v13, vcc, s46, v13
	v_subb_co_u32_e32 v14, vcc, v16, v14, vcc
	s_waitcnt lgkmcnt(0)
	global_store_dword v[13:14], v15, off offset:-4
                                        ; implicit-def: $vgpr13
.LBB1368_202:
	s_andn2_saveexec_b64 s[2:3], s[2:3]
	s_cbranch_execz .LBB1368_204
; %bb.203:
	v_lshlrev_b32_e32 v14, 2, v0
	ds_read_b32 v14, v14 offset:6144
	v_lshlrev_b32_e32 v13, 2, v13
	v_readfirstlane_b32 s4, v7
	v_readfirstlane_b32 s5, v8
	s_waitcnt lgkmcnt(0)
	s_nop 3
	global_store_dword v13, v14, s[4:5]
.LBB1368_204:
	s_or_b64 exec, exec, s[2:3]
                                        ; implicit-def: $vgpr13
.LBB1368_205:
	;; [unrolled: 51-line block ×8, first 2 shown]
	s_andn2_saveexec_b64 s[0:1], s[0:1]
	s_cbranch_execz .LBB1368_255
; %bb.254:
	v_lshlrev_b32_e32 v14, 2, v0
	ds_read_b32 v14, v14 offset:12288
	v_lshlrev_b32_e32 v13, 2, v13
	v_readfirstlane_b32 s2, v9
	v_readfirstlane_b32 s3, v10
	s_waitcnt lgkmcnt(0)
	s_nop 3
	global_store_dword v13, v14, s[2:3]
.LBB1368_255:
	s_or_b64 exec, exec, s[0:1]
	s_branch .LBB1368_149
.LBB1368_256:
	v_cmp_gt_u32_e32 vcc, s18, v0
	s_and_saveexec_b64 s[0:1], vcc
	s_cbranch_execz .LBB1368_265
; %bb.257:
	v_cmp_ge_u32_e32 vcc, v0, v1
	s_and_saveexec_b64 s[2:3], vcc
	s_xor_b64 s[2:3], exec, s[2:3]
	s_cbranch_execz .LBB1368_263
; %bb.258:
	v_cmp_ge_u32_e32 vcc, v0, v12
	s_and_saveexec_b64 s[4:5], vcc
	s_xor_b64 s[4:5], exec, s[4:5]
	s_cbranch_execz .LBB1368_260
; %bb.259:
	v_add_co_u32_e32 v13, vcc, v3, v0
	v_lshlrev_b32_e32 v15, 2, v0
	v_addc_co_u32_e32 v14, vcc, 0, v11, vcc
	ds_read_b32 v15, v15
	v_lshlrev_b64 v[13:14], 2, v[13:14]
	v_mov_b32_e32 v16, s47
	v_sub_co_u32_e32 v13, vcc, s46, v13
	v_subb_co_u32_e32 v14, vcc, v16, v14, vcc
	s_waitcnt lgkmcnt(0)
	global_store_dword v[13:14], v15, off offset:-4
.LBB1368_260:
	s_andn2_saveexec_b64 s[4:5], s[4:5]
	s_cbranch_execz .LBB1368_262
; %bb.261:
	v_lshlrev_b32_e32 v13, 2, v0
	ds_read_b32 v14, v13
	v_readfirstlane_b32 s6, v7
	v_readfirstlane_b32 s7, v8
	s_waitcnt lgkmcnt(0)
	s_nop 3
	global_store_dword v13, v14, s[6:7]
.LBB1368_262:
	s_or_b64 exec, exec, s[4:5]
.LBB1368_263:
	s_andn2_saveexec_b64 s[2:3], s[2:3]
	s_cbranch_execz .LBB1368_265
; %bb.264:
	v_lshlrev_b32_e32 v13, 2, v0
	ds_read_b32 v14, v13
	v_readfirstlane_b32 s2, v9
	v_readfirstlane_b32 s3, v10
	s_waitcnt lgkmcnt(0)
	s_nop 3
	global_store_dword v13, v14, s[2:3]
.LBB1368_265:
	s_or_b64 exec, exec, s[0:1]
	v_or_b32_e32 v13, 0x100, v0
	v_cmp_gt_u32_e32 vcc, s18, v13
	s_and_saveexec_b64 s[0:1], vcc
	s_cbranch_execz .LBB1368_274
; %bb.266:
	v_cmp_ge_u32_e32 vcc, v13, v1
	s_and_saveexec_b64 s[2:3], vcc
	s_xor_b64 s[2:3], exec, s[2:3]
	s_cbranch_execz .LBB1368_272
; %bb.267:
	v_cmp_ge_u32_e32 vcc, v13, v12
	s_and_saveexec_b64 s[4:5], vcc
	s_xor_b64 s[4:5], exec, s[4:5]
	s_cbranch_execz .LBB1368_269
; %bb.268:
	v_lshlrev_b32_e32 v13, 2, v0
	ds_read_b32 v15, v13 offset:1024
	v_add_co_u32_e32 v13, vcc, v3, v0
	v_addc_co_u32_e32 v14, vcc, 0, v11, vcc
	v_lshlrev_b64 v[13:14], 2, v[13:14]
	v_mov_b32_e32 v16, s47
	v_sub_co_u32_e32 v13, vcc, s46, v13
	v_subb_co_u32_e32 v14, vcc, v16, v14, vcc
	s_waitcnt lgkmcnt(0)
	global_store_dword v[13:14], v15, off offset:-1028
.LBB1368_269:
	s_andn2_saveexec_b64 s[4:5], s[4:5]
	s_cbranch_execz .LBB1368_271
; %bb.270:
	v_lshlrev_b32_e32 v13, 2, v0
	ds_read_b32 v14, v13 offset:1024
	v_readfirstlane_b32 s6, v7
	v_readfirstlane_b32 s7, v8
	s_waitcnt lgkmcnt(0)
	s_nop 3
	global_store_dword v13, v14, s[6:7] offset:1024
.LBB1368_271:
	s_or_b64 exec, exec, s[4:5]
.LBB1368_272:
	s_andn2_saveexec_b64 s[2:3], s[2:3]
	s_cbranch_execz .LBB1368_274
; %bb.273:
	v_lshlrev_b32_e32 v13, 2, v0
	ds_read_b32 v14, v13 offset:1024
	v_readfirstlane_b32 s2, v9
	v_readfirstlane_b32 s3, v10
	s_waitcnt lgkmcnt(0)
	s_nop 3
	global_store_dword v13, v14, s[2:3] offset:1024
.LBB1368_274:
	s_or_b64 exec, exec, s[0:1]
	v_or_b32_e32 v13, 0x200, v0
	v_cmp_gt_u32_e32 vcc, s18, v13
	s_and_saveexec_b64 s[0:1], vcc
	s_cbranch_execz .LBB1368_283
; %bb.275:
	v_cmp_ge_u32_e32 vcc, v13, v1
	s_and_saveexec_b64 s[2:3], vcc
	s_xor_b64 s[2:3], exec, s[2:3]
	s_cbranch_execz .LBB1368_281
; %bb.276:
	v_cmp_ge_u32_e32 vcc, v13, v12
	s_and_saveexec_b64 s[4:5], vcc
	s_xor_b64 s[4:5], exec, s[4:5]
	s_cbranch_execz .LBB1368_278
; %bb.277:
	v_lshlrev_b32_e32 v13, 2, v0
	ds_read_b32 v15, v13 offset:2048
	v_add_co_u32_e32 v13, vcc, v3, v0
	v_addc_co_u32_e32 v14, vcc, 0, v11, vcc
	v_lshlrev_b64 v[13:14], 2, v[13:14]
	v_mov_b32_e32 v16, s47
	v_sub_co_u32_e32 v13, vcc, s46, v13
	v_subb_co_u32_e32 v14, vcc, v16, v14, vcc
	s_waitcnt lgkmcnt(0)
	global_store_dword v[13:14], v15, off offset:-2052
.LBB1368_278:
	s_andn2_saveexec_b64 s[4:5], s[4:5]
	s_cbranch_execz .LBB1368_280
; %bb.279:
	v_lshlrev_b32_e32 v13, 2, v0
	ds_read_b32 v14, v13 offset:2048
	v_readfirstlane_b32 s6, v7
	v_readfirstlane_b32 s7, v8
	s_waitcnt lgkmcnt(0)
	s_nop 3
	global_store_dword v13, v14, s[6:7] offset:2048
.LBB1368_280:
	s_or_b64 exec, exec, s[4:5]
.LBB1368_281:
	s_andn2_saveexec_b64 s[2:3], s[2:3]
	s_cbranch_execz .LBB1368_283
; %bb.282:
	v_lshlrev_b32_e32 v13, 2, v0
	ds_read_b32 v14, v13 offset:2048
	v_readfirstlane_b32 s2, v9
	v_readfirstlane_b32 s3, v10
	s_waitcnt lgkmcnt(0)
	s_nop 3
	global_store_dword v13, v14, s[2:3] offset:2048
.LBB1368_283:
	;; [unrolled: 51-line block ×3, first 2 shown]
	s_or_b64 exec, exec, s[0:1]
	v_or_b32_e32 v13, 0x400, v0
	v_cmp_gt_u32_e32 vcc, s18, v13
	s_and_saveexec_b64 s[0:1], vcc
	s_cbranch_execz .LBB1368_301
; %bb.293:
	v_cmp_ge_u32_e32 vcc, v13, v1
	s_and_saveexec_b64 s[2:3], vcc
	s_xor_b64 s[2:3], exec, s[2:3]
	s_cbranch_execz .LBB1368_299
; %bb.294:
	v_cmp_ge_u32_e32 vcc, v13, v12
	s_and_saveexec_b64 s[4:5], vcc
	s_xor_b64 s[4:5], exec, s[4:5]
	s_cbranch_execz .LBB1368_296
; %bb.295:
	v_lshlrev_b32_e32 v13, 2, v0
	ds_read_b32 v15, v13 offset:4096
	v_add_co_u32_e32 v13, vcc, v3, v0
	v_addc_co_u32_e32 v14, vcc, 0, v11, vcc
	v_lshlrev_b64 v[13:14], 2, v[13:14]
	v_mov_b32_e32 v16, s47
	v_sub_co_u32_e32 v13, vcc, s46, v13
	v_subb_co_u32_e32 v14, vcc, v16, v14, vcc
	v_add_co_u32_e32 v13, vcc, 0xfffff000, v13
	v_addc_co_u32_e32 v14, vcc, -1, v14, vcc
	s_waitcnt lgkmcnt(0)
	global_store_dword v[13:14], v15, off offset:-4
                                        ; implicit-def: $vgpr13
.LBB1368_296:
	s_andn2_saveexec_b64 s[4:5], s[4:5]
	s_cbranch_execz .LBB1368_298
; %bb.297:
	v_lshlrev_b32_e32 v14, 2, v0
	ds_read_b32 v14, v14 offset:4096
	v_lshlrev_b32_e32 v13, 2, v13
	v_readfirstlane_b32 s6, v7
	v_readfirstlane_b32 s7, v8
	s_waitcnt lgkmcnt(0)
	s_nop 3
	global_store_dword v13, v14, s[6:7]
.LBB1368_298:
	s_or_b64 exec, exec, s[4:5]
                                        ; implicit-def: $vgpr13
.LBB1368_299:
	s_andn2_saveexec_b64 s[2:3], s[2:3]
	s_cbranch_execz .LBB1368_301
; %bb.300:
	v_lshlrev_b32_e32 v14, 2, v0
	ds_read_b32 v14, v14 offset:4096
	v_lshlrev_b32_e32 v13, 2, v13
	v_readfirstlane_b32 s2, v9
	v_readfirstlane_b32 s3, v10
	s_waitcnt lgkmcnt(0)
	s_nop 3
	global_store_dword v13, v14, s[2:3]
.LBB1368_301:
	s_or_b64 exec, exec, s[0:1]
	v_or_b32_e32 v13, 0x500, v0
	v_cmp_gt_u32_e32 vcc, s18, v13
	s_and_saveexec_b64 s[0:1], vcc
	s_cbranch_execz .LBB1368_310
; %bb.302:
	v_cmp_ge_u32_e32 vcc, v13, v1
	s_and_saveexec_b64 s[2:3], vcc
	s_xor_b64 s[2:3], exec, s[2:3]
	s_cbranch_execz .LBB1368_308
; %bb.303:
	v_cmp_ge_u32_e32 vcc, v13, v12
	s_and_saveexec_b64 s[4:5], vcc
	s_xor_b64 s[4:5], exec, s[4:5]
	s_cbranch_execz .LBB1368_305
; %bb.304:
	v_add_co_u32_e32 v13, vcc, v3, v13
	v_lshlrev_b32_e32 v15, 2, v0
	v_addc_co_u32_e32 v14, vcc, 0, v11, vcc
	ds_read_b32 v15, v15 offset:5120
	v_lshlrev_b64 v[13:14], 2, v[13:14]
	v_mov_b32_e32 v16, s47
	v_sub_co_u32_e32 v13, vcc, s46, v13
	v_subb_co_u32_e32 v14, vcc, v16, v14, vcc
	s_waitcnt lgkmcnt(0)
	global_store_dword v[13:14], v15, off offset:-4
                                        ; implicit-def: $vgpr13
.LBB1368_305:
	s_andn2_saveexec_b64 s[4:5], s[4:5]
	s_cbranch_execz .LBB1368_307
; %bb.306:
	v_lshlrev_b32_e32 v14, 2, v0
	ds_read_b32 v14, v14 offset:5120
	v_lshlrev_b32_e32 v13, 2, v13
	v_readfirstlane_b32 s6, v7
	v_readfirstlane_b32 s7, v8
	s_waitcnt lgkmcnt(0)
	s_nop 3
	global_store_dword v13, v14, s[6:7]
.LBB1368_307:
	s_or_b64 exec, exec, s[4:5]
                                        ; implicit-def: $vgpr13
.LBB1368_308:
	s_andn2_saveexec_b64 s[2:3], s[2:3]
	s_cbranch_execz .LBB1368_310
; %bb.309:
	v_lshlrev_b32_e32 v14, 2, v0
	ds_read_b32 v14, v14 offset:5120
	v_lshlrev_b32_e32 v13, 2, v13
	v_readfirstlane_b32 s2, v9
	v_readfirstlane_b32 s3, v10
	s_waitcnt lgkmcnt(0)
	s_nop 3
	global_store_dword v13, v14, s[2:3]
.LBB1368_310:
	s_or_b64 exec, exec, s[0:1]
	v_or_b32_e32 v13, 0x600, v0
	v_cmp_gt_u32_e32 vcc, s18, v13
	s_and_saveexec_b64 s[0:1], vcc
	s_cbranch_execz .LBB1368_319
; %bb.311:
	v_cmp_ge_u32_e32 vcc, v13, v1
	s_and_saveexec_b64 s[2:3], vcc
	s_xor_b64 s[2:3], exec, s[2:3]
	s_cbranch_execz .LBB1368_317
; %bb.312:
	v_cmp_ge_u32_e32 vcc, v13, v12
	s_and_saveexec_b64 s[4:5], vcc
	s_xor_b64 s[4:5], exec, s[4:5]
	s_cbranch_execz .LBB1368_314
; %bb.313:
	v_add_co_u32_e32 v13, vcc, v3, v13
	v_lshlrev_b32_e32 v15, 2, v0
	v_addc_co_u32_e32 v14, vcc, 0, v11, vcc
	ds_read_b32 v15, v15 offset:6144
	v_lshlrev_b64 v[13:14], 2, v[13:14]
	v_mov_b32_e32 v16, s47
	v_sub_co_u32_e32 v13, vcc, s46, v13
	v_subb_co_u32_e32 v14, vcc, v16, v14, vcc
	s_waitcnt lgkmcnt(0)
	global_store_dword v[13:14], v15, off offset:-4
                                        ; implicit-def: $vgpr13
.LBB1368_314:
	s_andn2_saveexec_b64 s[4:5], s[4:5]
	s_cbranch_execz .LBB1368_316
; %bb.315:
	v_lshlrev_b32_e32 v14, 2, v0
	ds_read_b32 v14, v14 offset:6144
	v_lshlrev_b32_e32 v13, 2, v13
	v_readfirstlane_b32 s6, v7
	v_readfirstlane_b32 s7, v8
	s_waitcnt lgkmcnt(0)
	s_nop 3
	global_store_dword v13, v14, s[6:7]
.LBB1368_316:
	s_or_b64 exec, exec, s[4:5]
                                        ; implicit-def: $vgpr13
.LBB1368_317:
	s_andn2_saveexec_b64 s[2:3], s[2:3]
	s_cbranch_execz .LBB1368_319
; %bb.318:
	v_lshlrev_b32_e32 v14, 2, v0
	ds_read_b32 v14, v14 offset:6144
	v_lshlrev_b32_e32 v13, 2, v13
	v_readfirstlane_b32 s2, v9
	v_readfirstlane_b32 s3, v10
	s_waitcnt lgkmcnt(0)
	s_nop 3
	global_store_dword v13, v14, s[2:3]
.LBB1368_319:
	;; [unrolled: 55-line block ×7, first 2 shown]
	s_or_b64 exec, exec, s[0:1]
	v_or_b32_e32 v13, 0xc00, v0
	v_cmp_gt_u32_e32 vcc, s18, v13
	s_and_saveexec_b64 s[0:1], vcc
	s_cbranch_execz .LBB1368_373
; %bb.365:
	v_cmp_ge_u32_e32 vcc, v13, v1
	s_and_saveexec_b64 s[2:3], vcc
	s_xor_b64 s[2:3], exec, s[2:3]
	s_cbranch_execz .LBB1368_371
; %bb.366:
	v_cmp_ge_u32_e32 vcc, v13, v12
	s_and_saveexec_b64 s[4:5], vcc
	s_xor_b64 s[4:5], exec, s[4:5]
	s_cbranch_execz .LBB1368_368
; %bb.367:
	v_add_co_u32_e32 v7, vcc, v3, v13
	v_lshlrev_b32_e32 v3, 2, v0
	v_addc_co_u32_e32 v8, vcc, 0, v11, vcc
	ds_read_b32 v3, v3 offset:12288
	v_lshlrev_b64 v[7:8], 2, v[7:8]
	v_mov_b32_e32 v9, s47
	v_sub_co_u32_e32 v7, vcc, s46, v7
	v_subb_co_u32_e32 v8, vcc, v9, v8, vcc
	s_waitcnt lgkmcnt(0)
	global_store_dword v[7:8], v3, off offset:-4
                                        ; implicit-def: $vgpr13
                                        ; implicit-def: $vgpr7_vgpr8
.LBB1368_368:
	s_andn2_saveexec_b64 s[4:5], s[4:5]
	s_cbranch_execz .LBB1368_370
; %bb.369:
	v_lshlrev_b32_e32 v3, 2, v0
	ds_read_b32 v3, v3 offset:12288
	v_lshlrev_b32_e32 v9, 2, v13
	v_readfirstlane_b32 s6, v7
	v_readfirstlane_b32 s7, v8
	s_waitcnt lgkmcnt(0)
	s_nop 3
	global_store_dword v9, v3, s[6:7]
.LBB1368_370:
	s_or_b64 exec, exec, s[4:5]
                                        ; implicit-def: $vgpr13
                                        ; implicit-def: $vgpr9_vgpr10
.LBB1368_371:
	s_andn2_saveexec_b64 s[2:3], s[2:3]
	s_cbranch_execz .LBB1368_373
; %bb.372:
	v_lshlrev_b32_e32 v3, 2, v0
	ds_read_b32 v3, v3 offset:12288
	v_lshlrev_b32_e32 v7, 2, v13
	v_readfirstlane_b32 s2, v9
	v_readfirstlane_b32 s3, v10
	s_waitcnt lgkmcnt(0)
	s_nop 3
	global_store_dword v7, v3, s[2:3]
.LBB1368_373:
	s_or_b64 exec, exec, s[0:1]
	v_cmp_eq_u32_e32 vcc, 0, v0
	s_and_b64 s[0:1], vcc, s[34:35]
	s_and_saveexec_b64 s[2:3], s[0:1]
	s_cbranch_execz .LBB1368_150
.LBB1368_374:
	v_mov_b32_e32 v0, s51
	v_add_co_u32_e32 v2, vcc, s50, v2
	v_addc_co_u32_e32 v0, vcc, 0, v0, vcc
	v_add_co_u32_e32 v2, vcc, v2, v4
	v_addc_co_u32_e32 v3, vcc, 0, v0, vcc
	v_add_co_u32_e32 v0, vcc, v5, v1
	v_mov_b32_e32 v7, 0
	v_addc_co_u32_e32 v1, vcc, 0, v6, vcc
	global_store_dwordx4 v7, v[0:3], s[44:45]
	s_endpgm
.LBB1368_375:
	s_add_i32 s6, s6, 64
	s_mov_b32 s7, 0
	s_lshl_b64 s[6:7], s[6:7], 4
	s_add_u32 s6, s12, s6
	s_addc_u32 s7, s13, s7
	v_mov_b32_e32 v24, s7
	v_add_u32_e32 v6, v4, v2
	v_add_u32_e32 v5, v3, v1
	v_mov_b32_e32 v7, 2
	v_mov_b32_e32 v8, 0
	;; [unrolled: 1-line block ×3, first 2 shown]
	;;#ASMSTART
	global_store_dwordx4 v[23:24], v[5:8] off	
s_waitcnt vmcnt(0)
	;;#ASMEND
	s_or_b64 exec, exec, s[14:15]
	s_and_saveexec_b64 s[6:7], s[8:9]
	s_cbranch_execz .LBB1368_135
.LBB1368_376:
	v_mov_b32_e32 v5, 0
	ds_write_b128 v5, v[1:4] offset:13312
	s_or_b64 exec, exec, s[6:7]
	v_cmp_eq_u32_e32 vcc, 0, v0
	s_and_b64 exec, exec, vcc
	s_cbranch_execnz .LBB1368_136
	s_branch .LBB1368_137
	.section	.rodata,"a",@progbits
	.p2align	6, 0x0
	.amdhsa_kernel _ZN7rocprim17ROCPRIM_400000_NS6detail17trampoline_kernelINS0_13select_configILj256ELj13ELNS0_17block_load_methodE3ELS4_3ELS4_3ELNS0_20block_scan_algorithmE0ELj4294967295EEENS1_25partition_config_selectorILNS1_17partition_subalgoE4EjNS0_10empty_typeEbEEZZNS1_14partition_implILS8_4ELb0ES6_15HIP_vector_typeIjLj2EENS0_17counting_iteratorIjlEEPS9_SG_NS0_5tupleIJPjSI_NS0_16reverse_iteratorISI_EEEEENSH_IJSG_SG_SG_EEES9_SI_JZNS1_25segmented_radix_sort_implINS0_14default_configELb0EPKfPfPKlPlN2at6native12_GLOBAL__N_18offset_tEEE10hipError_tPvRmT1_PNSt15iterator_traitsIS12_E10value_typeET2_T3_PNS13_IS18_E10value_typeET4_jRbjT5_S1E_jjP12ihipStream_tbEUljE_ZNSN_ISO_Lb0ESQ_SR_ST_SU_SY_EESZ_S10_S11_S12_S16_S17_S18_S1B_S1C_jS1D_jS1E_S1E_jjS1G_bEUljE0_EEESZ_S10_S11_S18_S1C_S1E_T6_T7_T9_mT8_S1G_bDpT10_ENKUlT_T0_E_clISt17integral_constantIbLb0EES1U_EEDaS1P_S1Q_EUlS1P_E_NS1_11comp_targetILNS1_3genE2ELNS1_11target_archE906ELNS1_3gpuE6ELNS1_3repE0EEENS1_30default_config_static_selectorELNS0_4arch9wavefront6targetE1EEEvS12_
		.amdhsa_group_segment_fixed_size 13328
		.amdhsa_private_segment_fixed_size 0
		.amdhsa_kernarg_size 176
		.amdhsa_user_sgpr_count 6
		.amdhsa_user_sgpr_private_segment_buffer 1
		.amdhsa_user_sgpr_dispatch_ptr 0
		.amdhsa_user_sgpr_queue_ptr 0
		.amdhsa_user_sgpr_kernarg_segment_ptr 1
		.amdhsa_user_sgpr_dispatch_id 0
		.amdhsa_user_sgpr_flat_scratch_init 0
		.amdhsa_user_sgpr_private_segment_size 0
		.amdhsa_uses_dynamic_stack 0
		.amdhsa_system_sgpr_private_segment_wavefront_offset 0
		.amdhsa_system_sgpr_workgroup_id_x 1
		.amdhsa_system_sgpr_workgroup_id_y 0
		.amdhsa_system_sgpr_workgroup_id_z 0
		.amdhsa_system_sgpr_workgroup_info 0
		.amdhsa_system_vgpr_workitem_id 0
		.amdhsa_next_free_vgpr 86
		.amdhsa_next_free_sgpr 98
		.amdhsa_reserve_vcc 1
		.amdhsa_reserve_flat_scratch 0
		.amdhsa_float_round_mode_32 0
		.amdhsa_float_round_mode_16_64 0
		.amdhsa_float_denorm_mode_32 3
		.amdhsa_float_denorm_mode_16_64 3
		.amdhsa_dx10_clamp 1
		.amdhsa_ieee_mode 1
		.amdhsa_fp16_overflow 0
		.amdhsa_exception_fp_ieee_invalid_op 0
		.amdhsa_exception_fp_denorm_src 0
		.amdhsa_exception_fp_ieee_div_zero 0
		.amdhsa_exception_fp_ieee_overflow 0
		.amdhsa_exception_fp_ieee_underflow 0
		.amdhsa_exception_fp_ieee_inexact 0
		.amdhsa_exception_int_div_zero 0
	.end_amdhsa_kernel
	.section	.text._ZN7rocprim17ROCPRIM_400000_NS6detail17trampoline_kernelINS0_13select_configILj256ELj13ELNS0_17block_load_methodE3ELS4_3ELS4_3ELNS0_20block_scan_algorithmE0ELj4294967295EEENS1_25partition_config_selectorILNS1_17partition_subalgoE4EjNS0_10empty_typeEbEEZZNS1_14partition_implILS8_4ELb0ES6_15HIP_vector_typeIjLj2EENS0_17counting_iteratorIjlEEPS9_SG_NS0_5tupleIJPjSI_NS0_16reverse_iteratorISI_EEEEENSH_IJSG_SG_SG_EEES9_SI_JZNS1_25segmented_radix_sort_implINS0_14default_configELb0EPKfPfPKlPlN2at6native12_GLOBAL__N_18offset_tEEE10hipError_tPvRmT1_PNSt15iterator_traitsIS12_E10value_typeET2_T3_PNS13_IS18_E10value_typeET4_jRbjT5_S1E_jjP12ihipStream_tbEUljE_ZNSN_ISO_Lb0ESQ_SR_ST_SU_SY_EESZ_S10_S11_S12_S16_S17_S18_S1B_S1C_jS1D_jS1E_S1E_jjS1G_bEUljE0_EEESZ_S10_S11_S18_S1C_S1E_T6_T7_T9_mT8_S1G_bDpT10_ENKUlT_T0_E_clISt17integral_constantIbLb0EES1U_EEDaS1P_S1Q_EUlS1P_E_NS1_11comp_targetILNS1_3genE2ELNS1_11target_archE906ELNS1_3gpuE6ELNS1_3repE0EEENS1_30default_config_static_selectorELNS0_4arch9wavefront6targetE1EEEvS12_,"axG",@progbits,_ZN7rocprim17ROCPRIM_400000_NS6detail17trampoline_kernelINS0_13select_configILj256ELj13ELNS0_17block_load_methodE3ELS4_3ELS4_3ELNS0_20block_scan_algorithmE0ELj4294967295EEENS1_25partition_config_selectorILNS1_17partition_subalgoE4EjNS0_10empty_typeEbEEZZNS1_14partition_implILS8_4ELb0ES6_15HIP_vector_typeIjLj2EENS0_17counting_iteratorIjlEEPS9_SG_NS0_5tupleIJPjSI_NS0_16reverse_iteratorISI_EEEEENSH_IJSG_SG_SG_EEES9_SI_JZNS1_25segmented_radix_sort_implINS0_14default_configELb0EPKfPfPKlPlN2at6native12_GLOBAL__N_18offset_tEEE10hipError_tPvRmT1_PNSt15iterator_traitsIS12_E10value_typeET2_T3_PNS13_IS18_E10value_typeET4_jRbjT5_S1E_jjP12ihipStream_tbEUljE_ZNSN_ISO_Lb0ESQ_SR_ST_SU_SY_EESZ_S10_S11_S12_S16_S17_S18_S1B_S1C_jS1D_jS1E_S1E_jjS1G_bEUljE0_EEESZ_S10_S11_S18_S1C_S1E_T6_T7_T9_mT8_S1G_bDpT10_ENKUlT_T0_E_clISt17integral_constantIbLb0EES1U_EEDaS1P_S1Q_EUlS1P_E_NS1_11comp_targetILNS1_3genE2ELNS1_11target_archE906ELNS1_3gpuE6ELNS1_3repE0EEENS1_30default_config_static_selectorELNS0_4arch9wavefront6targetE1EEEvS12_,comdat
.Lfunc_end1368:
	.size	_ZN7rocprim17ROCPRIM_400000_NS6detail17trampoline_kernelINS0_13select_configILj256ELj13ELNS0_17block_load_methodE3ELS4_3ELS4_3ELNS0_20block_scan_algorithmE0ELj4294967295EEENS1_25partition_config_selectorILNS1_17partition_subalgoE4EjNS0_10empty_typeEbEEZZNS1_14partition_implILS8_4ELb0ES6_15HIP_vector_typeIjLj2EENS0_17counting_iteratorIjlEEPS9_SG_NS0_5tupleIJPjSI_NS0_16reverse_iteratorISI_EEEEENSH_IJSG_SG_SG_EEES9_SI_JZNS1_25segmented_radix_sort_implINS0_14default_configELb0EPKfPfPKlPlN2at6native12_GLOBAL__N_18offset_tEEE10hipError_tPvRmT1_PNSt15iterator_traitsIS12_E10value_typeET2_T3_PNS13_IS18_E10value_typeET4_jRbjT5_S1E_jjP12ihipStream_tbEUljE_ZNSN_ISO_Lb0ESQ_SR_ST_SU_SY_EESZ_S10_S11_S12_S16_S17_S18_S1B_S1C_jS1D_jS1E_S1E_jjS1G_bEUljE0_EEESZ_S10_S11_S18_S1C_S1E_T6_T7_T9_mT8_S1G_bDpT10_ENKUlT_T0_E_clISt17integral_constantIbLb0EES1U_EEDaS1P_S1Q_EUlS1P_E_NS1_11comp_targetILNS1_3genE2ELNS1_11target_archE906ELNS1_3gpuE6ELNS1_3repE0EEENS1_30default_config_static_selectorELNS0_4arch9wavefront6targetE1EEEvS12_, .Lfunc_end1368-_ZN7rocprim17ROCPRIM_400000_NS6detail17trampoline_kernelINS0_13select_configILj256ELj13ELNS0_17block_load_methodE3ELS4_3ELS4_3ELNS0_20block_scan_algorithmE0ELj4294967295EEENS1_25partition_config_selectorILNS1_17partition_subalgoE4EjNS0_10empty_typeEbEEZZNS1_14partition_implILS8_4ELb0ES6_15HIP_vector_typeIjLj2EENS0_17counting_iteratorIjlEEPS9_SG_NS0_5tupleIJPjSI_NS0_16reverse_iteratorISI_EEEEENSH_IJSG_SG_SG_EEES9_SI_JZNS1_25segmented_radix_sort_implINS0_14default_configELb0EPKfPfPKlPlN2at6native12_GLOBAL__N_18offset_tEEE10hipError_tPvRmT1_PNSt15iterator_traitsIS12_E10value_typeET2_T3_PNS13_IS18_E10value_typeET4_jRbjT5_S1E_jjP12ihipStream_tbEUljE_ZNSN_ISO_Lb0ESQ_SR_ST_SU_SY_EESZ_S10_S11_S12_S16_S17_S18_S1B_S1C_jS1D_jS1E_S1E_jjS1G_bEUljE0_EEESZ_S10_S11_S18_S1C_S1E_T6_T7_T9_mT8_S1G_bDpT10_ENKUlT_T0_E_clISt17integral_constantIbLb0EES1U_EEDaS1P_S1Q_EUlS1P_E_NS1_11comp_targetILNS1_3genE2ELNS1_11target_archE906ELNS1_3gpuE6ELNS1_3repE0EEENS1_30default_config_static_selectorELNS0_4arch9wavefront6targetE1EEEvS12_
                                        ; -- End function
	.set _ZN7rocprim17ROCPRIM_400000_NS6detail17trampoline_kernelINS0_13select_configILj256ELj13ELNS0_17block_load_methodE3ELS4_3ELS4_3ELNS0_20block_scan_algorithmE0ELj4294967295EEENS1_25partition_config_selectorILNS1_17partition_subalgoE4EjNS0_10empty_typeEbEEZZNS1_14partition_implILS8_4ELb0ES6_15HIP_vector_typeIjLj2EENS0_17counting_iteratorIjlEEPS9_SG_NS0_5tupleIJPjSI_NS0_16reverse_iteratorISI_EEEEENSH_IJSG_SG_SG_EEES9_SI_JZNS1_25segmented_radix_sort_implINS0_14default_configELb0EPKfPfPKlPlN2at6native12_GLOBAL__N_18offset_tEEE10hipError_tPvRmT1_PNSt15iterator_traitsIS12_E10value_typeET2_T3_PNS13_IS18_E10value_typeET4_jRbjT5_S1E_jjP12ihipStream_tbEUljE_ZNSN_ISO_Lb0ESQ_SR_ST_SU_SY_EESZ_S10_S11_S12_S16_S17_S18_S1B_S1C_jS1D_jS1E_S1E_jjS1G_bEUljE0_EEESZ_S10_S11_S18_S1C_S1E_T6_T7_T9_mT8_S1G_bDpT10_ENKUlT_T0_E_clISt17integral_constantIbLb0EES1U_EEDaS1P_S1Q_EUlS1P_E_NS1_11comp_targetILNS1_3genE2ELNS1_11target_archE906ELNS1_3gpuE6ELNS1_3repE0EEENS1_30default_config_static_selectorELNS0_4arch9wavefront6targetE1EEEvS12_.num_vgpr, 86
	.set _ZN7rocprim17ROCPRIM_400000_NS6detail17trampoline_kernelINS0_13select_configILj256ELj13ELNS0_17block_load_methodE3ELS4_3ELS4_3ELNS0_20block_scan_algorithmE0ELj4294967295EEENS1_25partition_config_selectorILNS1_17partition_subalgoE4EjNS0_10empty_typeEbEEZZNS1_14partition_implILS8_4ELb0ES6_15HIP_vector_typeIjLj2EENS0_17counting_iteratorIjlEEPS9_SG_NS0_5tupleIJPjSI_NS0_16reverse_iteratorISI_EEEEENSH_IJSG_SG_SG_EEES9_SI_JZNS1_25segmented_radix_sort_implINS0_14default_configELb0EPKfPfPKlPlN2at6native12_GLOBAL__N_18offset_tEEE10hipError_tPvRmT1_PNSt15iterator_traitsIS12_E10value_typeET2_T3_PNS13_IS18_E10value_typeET4_jRbjT5_S1E_jjP12ihipStream_tbEUljE_ZNSN_ISO_Lb0ESQ_SR_ST_SU_SY_EESZ_S10_S11_S12_S16_S17_S18_S1B_S1C_jS1D_jS1E_S1E_jjS1G_bEUljE0_EEESZ_S10_S11_S18_S1C_S1E_T6_T7_T9_mT8_S1G_bDpT10_ENKUlT_T0_E_clISt17integral_constantIbLb0EES1U_EEDaS1P_S1Q_EUlS1P_E_NS1_11comp_targetILNS1_3genE2ELNS1_11target_archE906ELNS1_3gpuE6ELNS1_3repE0EEENS1_30default_config_static_selectorELNS0_4arch9wavefront6targetE1EEEvS12_.num_agpr, 0
	.set _ZN7rocprim17ROCPRIM_400000_NS6detail17trampoline_kernelINS0_13select_configILj256ELj13ELNS0_17block_load_methodE3ELS4_3ELS4_3ELNS0_20block_scan_algorithmE0ELj4294967295EEENS1_25partition_config_selectorILNS1_17partition_subalgoE4EjNS0_10empty_typeEbEEZZNS1_14partition_implILS8_4ELb0ES6_15HIP_vector_typeIjLj2EENS0_17counting_iteratorIjlEEPS9_SG_NS0_5tupleIJPjSI_NS0_16reverse_iteratorISI_EEEEENSH_IJSG_SG_SG_EEES9_SI_JZNS1_25segmented_radix_sort_implINS0_14default_configELb0EPKfPfPKlPlN2at6native12_GLOBAL__N_18offset_tEEE10hipError_tPvRmT1_PNSt15iterator_traitsIS12_E10value_typeET2_T3_PNS13_IS18_E10value_typeET4_jRbjT5_S1E_jjP12ihipStream_tbEUljE_ZNSN_ISO_Lb0ESQ_SR_ST_SU_SY_EESZ_S10_S11_S12_S16_S17_S18_S1B_S1C_jS1D_jS1E_S1E_jjS1G_bEUljE0_EEESZ_S10_S11_S18_S1C_S1E_T6_T7_T9_mT8_S1G_bDpT10_ENKUlT_T0_E_clISt17integral_constantIbLb0EES1U_EEDaS1P_S1Q_EUlS1P_E_NS1_11comp_targetILNS1_3genE2ELNS1_11target_archE906ELNS1_3gpuE6ELNS1_3repE0EEENS1_30default_config_static_selectorELNS0_4arch9wavefront6targetE1EEEvS12_.numbered_sgpr, 90
	.set _ZN7rocprim17ROCPRIM_400000_NS6detail17trampoline_kernelINS0_13select_configILj256ELj13ELNS0_17block_load_methodE3ELS4_3ELS4_3ELNS0_20block_scan_algorithmE0ELj4294967295EEENS1_25partition_config_selectorILNS1_17partition_subalgoE4EjNS0_10empty_typeEbEEZZNS1_14partition_implILS8_4ELb0ES6_15HIP_vector_typeIjLj2EENS0_17counting_iteratorIjlEEPS9_SG_NS0_5tupleIJPjSI_NS0_16reverse_iteratorISI_EEEEENSH_IJSG_SG_SG_EEES9_SI_JZNS1_25segmented_radix_sort_implINS0_14default_configELb0EPKfPfPKlPlN2at6native12_GLOBAL__N_18offset_tEEE10hipError_tPvRmT1_PNSt15iterator_traitsIS12_E10value_typeET2_T3_PNS13_IS18_E10value_typeET4_jRbjT5_S1E_jjP12ihipStream_tbEUljE_ZNSN_ISO_Lb0ESQ_SR_ST_SU_SY_EESZ_S10_S11_S12_S16_S17_S18_S1B_S1C_jS1D_jS1E_S1E_jjS1G_bEUljE0_EEESZ_S10_S11_S18_S1C_S1E_T6_T7_T9_mT8_S1G_bDpT10_ENKUlT_T0_E_clISt17integral_constantIbLb0EES1U_EEDaS1P_S1Q_EUlS1P_E_NS1_11comp_targetILNS1_3genE2ELNS1_11target_archE906ELNS1_3gpuE6ELNS1_3repE0EEENS1_30default_config_static_selectorELNS0_4arch9wavefront6targetE1EEEvS12_.num_named_barrier, 0
	.set _ZN7rocprim17ROCPRIM_400000_NS6detail17trampoline_kernelINS0_13select_configILj256ELj13ELNS0_17block_load_methodE3ELS4_3ELS4_3ELNS0_20block_scan_algorithmE0ELj4294967295EEENS1_25partition_config_selectorILNS1_17partition_subalgoE4EjNS0_10empty_typeEbEEZZNS1_14partition_implILS8_4ELb0ES6_15HIP_vector_typeIjLj2EENS0_17counting_iteratorIjlEEPS9_SG_NS0_5tupleIJPjSI_NS0_16reverse_iteratorISI_EEEEENSH_IJSG_SG_SG_EEES9_SI_JZNS1_25segmented_radix_sort_implINS0_14default_configELb0EPKfPfPKlPlN2at6native12_GLOBAL__N_18offset_tEEE10hipError_tPvRmT1_PNSt15iterator_traitsIS12_E10value_typeET2_T3_PNS13_IS18_E10value_typeET4_jRbjT5_S1E_jjP12ihipStream_tbEUljE_ZNSN_ISO_Lb0ESQ_SR_ST_SU_SY_EESZ_S10_S11_S12_S16_S17_S18_S1B_S1C_jS1D_jS1E_S1E_jjS1G_bEUljE0_EEESZ_S10_S11_S18_S1C_S1E_T6_T7_T9_mT8_S1G_bDpT10_ENKUlT_T0_E_clISt17integral_constantIbLb0EES1U_EEDaS1P_S1Q_EUlS1P_E_NS1_11comp_targetILNS1_3genE2ELNS1_11target_archE906ELNS1_3gpuE6ELNS1_3repE0EEENS1_30default_config_static_selectorELNS0_4arch9wavefront6targetE1EEEvS12_.private_seg_size, 0
	.set _ZN7rocprim17ROCPRIM_400000_NS6detail17trampoline_kernelINS0_13select_configILj256ELj13ELNS0_17block_load_methodE3ELS4_3ELS4_3ELNS0_20block_scan_algorithmE0ELj4294967295EEENS1_25partition_config_selectorILNS1_17partition_subalgoE4EjNS0_10empty_typeEbEEZZNS1_14partition_implILS8_4ELb0ES6_15HIP_vector_typeIjLj2EENS0_17counting_iteratorIjlEEPS9_SG_NS0_5tupleIJPjSI_NS0_16reverse_iteratorISI_EEEEENSH_IJSG_SG_SG_EEES9_SI_JZNS1_25segmented_radix_sort_implINS0_14default_configELb0EPKfPfPKlPlN2at6native12_GLOBAL__N_18offset_tEEE10hipError_tPvRmT1_PNSt15iterator_traitsIS12_E10value_typeET2_T3_PNS13_IS18_E10value_typeET4_jRbjT5_S1E_jjP12ihipStream_tbEUljE_ZNSN_ISO_Lb0ESQ_SR_ST_SU_SY_EESZ_S10_S11_S12_S16_S17_S18_S1B_S1C_jS1D_jS1E_S1E_jjS1G_bEUljE0_EEESZ_S10_S11_S18_S1C_S1E_T6_T7_T9_mT8_S1G_bDpT10_ENKUlT_T0_E_clISt17integral_constantIbLb0EES1U_EEDaS1P_S1Q_EUlS1P_E_NS1_11comp_targetILNS1_3genE2ELNS1_11target_archE906ELNS1_3gpuE6ELNS1_3repE0EEENS1_30default_config_static_selectorELNS0_4arch9wavefront6targetE1EEEvS12_.uses_vcc, 1
	.set _ZN7rocprim17ROCPRIM_400000_NS6detail17trampoline_kernelINS0_13select_configILj256ELj13ELNS0_17block_load_methodE3ELS4_3ELS4_3ELNS0_20block_scan_algorithmE0ELj4294967295EEENS1_25partition_config_selectorILNS1_17partition_subalgoE4EjNS0_10empty_typeEbEEZZNS1_14partition_implILS8_4ELb0ES6_15HIP_vector_typeIjLj2EENS0_17counting_iteratorIjlEEPS9_SG_NS0_5tupleIJPjSI_NS0_16reverse_iteratorISI_EEEEENSH_IJSG_SG_SG_EEES9_SI_JZNS1_25segmented_radix_sort_implINS0_14default_configELb0EPKfPfPKlPlN2at6native12_GLOBAL__N_18offset_tEEE10hipError_tPvRmT1_PNSt15iterator_traitsIS12_E10value_typeET2_T3_PNS13_IS18_E10value_typeET4_jRbjT5_S1E_jjP12ihipStream_tbEUljE_ZNSN_ISO_Lb0ESQ_SR_ST_SU_SY_EESZ_S10_S11_S12_S16_S17_S18_S1B_S1C_jS1D_jS1E_S1E_jjS1G_bEUljE0_EEESZ_S10_S11_S18_S1C_S1E_T6_T7_T9_mT8_S1G_bDpT10_ENKUlT_T0_E_clISt17integral_constantIbLb0EES1U_EEDaS1P_S1Q_EUlS1P_E_NS1_11comp_targetILNS1_3genE2ELNS1_11target_archE906ELNS1_3gpuE6ELNS1_3repE0EEENS1_30default_config_static_selectorELNS0_4arch9wavefront6targetE1EEEvS12_.uses_flat_scratch, 0
	.set _ZN7rocprim17ROCPRIM_400000_NS6detail17trampoline_kernelINS0_13select_configILj256ELj13ELNS0_17block_load_methodE3ELS4_3ELS4_3ELNS0_20block_scan_algorithmE0ELj4294967295EEENS1_25partition_config_selectorILNS1_17partition_subalgoE4EjNS0_10empty_typeEbEEZZNS1_14partition_implILS8_4ELb0ES6_15HIP_vector_typeIjLj2EENS0_17counting_iteratorIjlEEPS9_SG_NS0_5tupleIJPjSI_NS0_16reverse_iteratorISI_EEEEENSH_IJSG_SG_SG_EEES9_SI_JZNS1_25segmented_radix_sort_implINS0_14default_configELb0EPKfPfPKlPlN2at6native12_GLOBAL__N_18offset_tEEE10hipError_tPvRmT1_PNSt15iterator_traitsIS12_E10value_typeET2_T3_PNS13_IS18_E10value_typeET4_jRbjT5_S1E_jjP12ihipStream_tbEUljE_ZNSN_ISO_Lb0ESQ_SR_ST_SU_SY_EESZ_S10_S11_S12_S16_S17_S18_S1B_S1C_jS1D_jS1E_S1E_jjS1G_bEUljE0_EEESZ_S10_S11_S18_S1C_S1E_T6_T7_T9_mT8_S1G_bDpT10_ENKUlT_T0_E_clISt17integral_constantIbLb0EES1U_EEDaS1P_S1Q_EUlS1P_E_NS1_11comp_targetILNS1_3genE2ELNS1_11target_archE906ELNS1_3gpuE6ELNS1_3repE0EEENS1_30default_config_static_selectorELNS0_4arch9wavefront6targetE1EEEvS12_.has_dyn_sized_stack, 0
	.set _ZN7rocprim17ROCPRIM_400000_NS6detail17trampoline_kernelINS0_13select_configILj256ELj13ELNS0_17block_load_methodE3ELS4_3ELS4_3ELNS0_20block_scan_algorithmE0ELj4294967295EEENS1_25partition_config_selectorILNS1_17partition_subalgoE4EjNS0_10empty_typeEbEEZZNS1_14partition_implILS8_4ELb0ES6_15HIP_vector_typeIjLj2EENS0_17counting_iteratorIjlEEPS9_SG_NS0_5tupleIJPjSI_NS0_16reverse_iteratorISI_EEEEENSH_IJSG_SG_SG_EEES9_SI_JZNS1_25segmented_radix_sort_implINS0_14default_configELb0EPKfPfPKlPlN2at6native12_GLOBAL__N_18offset_tEEE10hipError_tPvRmT1_PNSt15iterator_traitsIS12_E10value_typeET2_T3_PNS13_IS18_E10value_typeET4_jRbjT5_S1E_jjP12ihipStream_tbEUljE_ZNSN_ISO_Lb0ESQ_SR_ST_SU_SY_EESZ_S10_S11_S12_S16_S17_S18_S1B_S1C_jS1D_jS1E_S1E_jjS1G_bEUljE0_EEESZ_S10_S11_S18_S1C_S1E_T6_T7_T9_mT8_S1G_bDpT10_ENKUlT_T0_E_clISt17integral_constantIbLb0EES1U_EEDaS1P_S1Q_EUlS1P_E_NS1_11comp_targetILNS1_3genE2ELNS1_11target_archE906ELNS1_3gpuE6ELNS1_3repE0EEENS1_30default_config_static_selectorELNS0_4arch9wavefront6targetE1EEEvS12_.has_recursion, 0
	.set _ZN7rocprim17ROCPRIM_400000_NS6detail17trampoline_kernelINS0_13select_configILj256ELj13ELNS0_17block_load_methodE3ELS4_3ELS4_3ELNS0_20block_scan_algorithmE0ELj4294967295EEENS1_25partition_config_selectorILNS1_17partition_subalgoE4EjNS0_10empty_typeEbEEZZNS1_14partition_implILS8_4ELb0ES6_15HIP_vector_typeIjLj2EENS0_17counting_iteratorIjlEEPS9_SG_NS0_5tupleIJPjSI_NS0_16reverse_iteratorISI_EEEEENSH_IJSG_SG_SG_EEES9_SI_JZNS1_25segmented_radix_sort_implINS0_14default_configELb0EPKfPfPKlPlN2at6native12_GLOBAL__N_18offset_tEEE10hipError_tPvRmT1_PNSt15iterator_traitsIS12_E10value_typeET2_T3_PNS13_IS18_E10value_typeET4_jRbjT5_S1E_jjP12ihipStream_tbEUljE_ZNSN_ISO_Lb0ESQ_SR_ST_SU_SY_EESZ_S10_S11_S12_S16_S17_S18_S1B_S1C_jS1D_jS1E_S1E_jjS1G_bEUljE0_EEESZ_S10_S11_S18_S1C_S1E_T6_T7_T9_mT8_S1G_bDpT10_ENKUlT_T0_E_clISt17integral_constantIbLb0EES1U_EEDaS1P_S1Q_EUlS1P_E_NS1_11comp_targetILNS1_3genE2ELNS1_11target_archE906ELNS1_3gpuE6ELNS1_3repE0EEENS1_30default_config_static_selectorELNS0_4arch9wavefront6targetE1EEEvS12_.has_indirect_call, 0
	.section	.AMDGPU.csdata,"",@progbits
; Kernel info:
; codeLenInByte = 15480
; TotalNumSgprs: 94
; NumVgprs: 86
; ScratchSize: 0
; MemoryBound: 0
; FloatMode: 240
; IeeeMode: 1
; LDSByteSize: 13328 bytes/workgroup (compile time only)
; SGPRBlocks: 12
; VGPRBlocks: 21
; NumSGPRsForWavesPerEU: 102
; NumVGPRsForWavesPerEU: 86
; Occupancy: 2
; WaveLimiterHint : 1
; COMPUTE_PGM_RSRC2:SCRATCH_EN: 0
; COMPUTE_PGM_RSRC2:USER_SGPR: 6
; COMPUTE_PGM_RSRC2:TRAP_HANDLER: 0
; COMPUTE_PGM_RSRC2:TGID_X_EN: 1
; COMPUTE_PGM_RSRC2:TGID_Y_EN: 0
; COMPUTE_PGM_RSRC2:TGID_Z_EN: 0
; COMPUTE_PGM_RSRC2:TIDIG_COMP_CNT: 0
	.section	.text._ZN7rocprim17ROCPRIM_400000_NS6detail17trampoline_kernelINS0_13select_configILj256ELj13ELNS0_17block_load_methodE3ELS4_3ELS4_3ELNS0_20block_scan_algorithmE0ELj4294967295EEENS1_25partition_config_selectorILNS1_17partition_subalgoE4EjNS0_10empty_typeEbEEZZNS1_14partition_implILS8_4ELb0ES6_15HIP_vector_typeIjLj2EENS0_17counting_iteratorIjlEEPS9_SG_NS0_5tupleIJPjSI_NS0_16reverse_iteratorISI_EEEEENSH_IJSG_SG_SG_EEES9_SI_JZNS1_25segmented_radix_sort_implINS0_14default_configELb0EPKfPfPKlPlN2at6native12_GLOBAL__N_18offset_tEEE10hipError_tPvRmT1_PNSt15iterator_traitsIS12_E10value_typeET2_T3_PNS13_IS18_E10value_typeET4_jRbjT5_S1E_jjP12ihipStream_tbEUljE_ZNSN_ISO_Lb0ESQ_SR_ST_SU_SY_EESZ_S10_S11_S12_S16_S17_S18_S1B_S1C_jS1D_jS1E_S1E_jjS1G_bEUljE0_EEESZ_S10_S11_S18_S1C_S1E_T6_T7_T9_mT8_S1G_bDpT10_ENKUlT_T0_E_clISt17integral_constantIbLb0EES1U_EEDaS1P_S1Q_EUlS1P_E_NS1_11comp_targetILNS1_3genE10ELNS1_11target_archE1200ELNS1_3gpuE4ELNS1_3repE0EEENS1_30default_config_static_selectorELNS0_4arch9wavefront6targetE1EEEvS12_,"axG",@progbits,_ZN7rocprim17ROCPRIM_400000_NS6detail17trampoline_kernelINS0_13select_configILj256ELj13ELNS0_17block_load_methodE3ELS4_3ELS4_3ELNS0_20block_scan_algorithmE0ELj4294967295EEENS1_25partition_config_selectorILNS1_17partition_subalgoE4EjNS0_10empty_typeEbEEZZNS1_14partition_implILS8_4ELb0ES6_15HIP_vector_typeIjLj2EENS0_17counting_iteratorIjlEEPS9_SG_NS0_5tupleIJPjSI_NS0_16reverse_iteratorISI_EEEEENSH_IJSG_SG_SG_EEES9_SI_JZNS1_25segmented_radix_sort_implINS0_14default_configELb0EPKfPfPKlPlN2at6native12_GLOBAL__N_18offset_tEEE10hipError_tPvRmT1_PNSt15iterator_traitsIS12_E10value_typeET2_T3_PNS13_IS18_E10value_typeET4_jRbjT5_S1E_jjP12ihipStream_tbEUljE_ZNSN_ISO_Lb0ESQ_SR_ST_SU_SY_EESZ_S10_S11_S12_S16_S17_S18_S1B_S1C_jS1D_jS1E_S1E_jjS1G_bEUljE0_EEESZ_S10_S11_S18_S1C_S1E_T6_T7_T9_mT8_S1G_bDpT10_ENKUlT_T0_E_clISt17integral_constantIbLb0EES1U_EEDaS1P_S1Q_EUlS1P_E_NS1_11comp_targetILNS1_3genE10ELNS1_11target_archE1200ELNS1_3gpuE4ELNS1_3repE0EEENS1_30default_config_static_selectorELNS0_4arch9wavefront6targetE1EEEvS12_,comdat
	.globl	_ZN7rocprim17ROCPRIM_400000_NS6detail17trampoline_kernelINS0_13select_configILj256ELj13ELNS0_17block_load_methodE3ELS4_3ELS4_3ELNS0_20block_scan_algorithmE0ELj4294967295EEENS1_25partition_config_selectorILNS1_17partition_subalgoE4EjNS0_10empty_typeEbEEZZNS1_14partition_implILS8_4ELb0ES6_15HIP_vector_typeIjLj2EENS0_17counting_iteratorIjlEEPS9_SG_NS0_5tupleIJPjSI_NS0_16reverse_iteratorISI_EEEEENSH_IJSG_SG_SG_EEES9_SI_JZNS1_25segmented_radix_sort_implINS0_14default_configELb0EPKfPfPKlPlN2at6native12_GLOBAL__N_18offset_tEEE10hipError_tPvRmT1_PNSt15iterator_traitsIS12_E10value_typeET2_T3_PNS13_IS18_E10value_typeET4_jRbjT5_S1E_jjP12ihipStream_tbEUljE_ZNSN_ISO_Lb0ESQ_SR_ST_SU_SY_EESZ_S10_S11_S12_S16_S17_S18_S1B_S1C_jS1D_jS1E_S1E_jjS1G_bEUljE0_EEESZ_S10_S11_S18_S1C_S1E_T6_T7_T9_mT8_S1G_bDpT10_ENKUlT_T0_E_clISt17integral_constantIbLb0EES1U_EEDaS1P_S1Q_EUlS1P_E_NS1_11comp_targetILNS1_3genE10ELNS1_11target_archE1200ELNS1_3gpuE4ELNS1_3repE0EEENS1_30default_config_static_selectorELNS0_4arch9wavefront6targetE1EEEvS12_ ; -- Begin function _ZN7rocprim17ROCPRIM_400000_NS6detail17trampoline_kernelINS0_13select_configILj256ELj13ELNS0_17block_load_methodE3ELS4_3ELS4_3ELNS0_20block_scan_algorithmE0ELj4294967295EEENS1_25partition_config_selectorILNS1_17partition_subalgoE4EjNS0_10empty_typeEbEEZZNS1_14partition_implILS8_4ELb0ES6_15HIP_vector_typeIjLj2EENS0_17counting_iteratorIjlEEPS9_SG_NS0_5tupleIJPjSI_NS0_16reverse_iteratorISI_EEEEENSH_IJSG_SG_SG_EEES9_SI_JZNS1_25segmented_radix_sort_implINS0_14default_configELb0EPKfPfPKlPlN2at6native12_GLOBAL__N_18offset_tEEE10hipError_tPvRmT1_PNSt15iterator_traitsIS12_E10value_typeET2_T3_PNS13_IS18_E10value_typeET4_jRbjT5_S1E_jjP12ihipStream_tbEUljE_ZNSN_ISO_Lb0ESQ_SR_ST_SU_SY_EESZ_S10_S11_S12_S16_S17_S18_S1B_S1C_jS1D_jS1E_S1E_jjS1G_bEUljE0_EEESZ_S10_S11_S18_S1C_S1E_T6_T7_T9_mT8_S1G_bDpT10_ENKUlT_T0_E_clISt17integral_constantIbLb0EES1U_EEDaS1P_S1Q_EUlS1P_E_NS1_11comp_targetILNS1_3genE10ELNS1_11target_archE1200ELNS1_3gpuE4ELNS1_3repE0EEENS1_30default_config_static_selectorELNS0_4arch9wavefront6targetE1EEEvS12_
	.p2align	8
	.type	_ZN7rocprim17ROCPRIM_400000_NS6detail17trampoline_kernelINS0_13select_configILj256ELj13ELNS0_17block_load_methodE3ELS4_3ELS4_3ELNS0_20block_scan_algorithmE0ELj4294967295EEENS1_25partition_config_selectorILNS1_17partition_subalgoE4EjNS0_10empty_typeEbEEZZNS1_14partition_implILS8_4ELb0ES6_15HIP_vector_typeIjLj2EENS0_17counting_iteratorIjlEEPS9_SG_NS0_5tupleIJPjSI_NS0_16reverse_iteratorISI_EEEEENSH_IJSG_SG_SG_EEES9_SI_JZNS1_25segmented_radix_sort_implINS0_14default_configELb0EPKfPfPKlPlN2at6native12_GLOBAL__N_18offset_tEEE10hipError_tPvRmT1_PNSt15iterator_traitsIS12_E10value_typeET2_T3_PNS13_IS18_E10value_typeET4_jRbjT5_S1E_jjP12ihipStream_tbEUljE_ZNSN_ISO_Lb0ESQ_SR_ST_SU_SY_EESZ_S10_S11_S12_S16_S17_S18_S1B_S1C_jS1D_jS1E_S1E_jjS1G_bEUljE0_EEESZ_S10_S11_S18_S1C_S1E_T6_T7_T9_mT8_S1G_bDpT10_ENKUlT_T0_E_clISt17integral_constantIbLb0EES1U_EEDaS1P_S1Q_EUlS1P_E_NS1_11comp_targetILNS1_3genE10ELNS1_11target_archE1200ELNS1_3gpuE4ELNS1_3repE0EEENS1_30default_config_static_selectorELNS0_4arch9wavefront6targetE1EEEvS12_,@function
_ZN7rocprim17ROCPRIM_400000_NS6detail17trampoline_kernelINS0_13select_configILj256ELj13ELNS0_17block_load_methodE3ELS4_3ELS4_3ELNS0_20block_scan_algorithmE0ELj4294967295EEENS1_25partition_config_selectorILNS1_17partition_subalgoE4EjNS0_10empty_typeEbEEZZNS1_14partition_implILS8_4ELb0ES6_15HIP_vector_typeIjLj2EENS0_17counting_iteratorIjlEEPS9_SG_NS0_5tupleIJPjSI_NS0_16reverse_iteratorISI_EEEEENSH_IJSG_SG_SG_EEES9_SI_JZNS1_25segmented_radix_sort_implINS0_14default_configELb0EPKfPfPKlPlN2at6native12_GLOBAL__N_18offset_tEEE10hipError_tPvRmT1_PNSt15iterator_traitsIS12_E10value_typeET2_T3_PNS13_IS18_E10value_typeET4_jRbjT5_S1E_jjP12ihipStream_tbEUljE_ZNSN_ISO_Lb0ESQ_SR_ST_SU_SY_EESZ_S10_S11_S12_S16_S17_S18_S1B_S1C_jS1D_jS1E_S1E_jjS1G_bEUljE0_EEESZ_S10_S11_S18_S1C_S1E_T6_T7_T9_mT8_S1G_bDpT10_ENKUlT_T0_E_clISt17integral_constantIbLb0EES1U_EEDaS1P_S1Q_EUlS1P_E_NS1_11comp_targetILNS1_3genE10ELNS1_11target_archE1200ELNS1_3gpuE4ELNS1_3repE0EEENS1_30default_config_static_selectorELNS0_4arch9wavefront6targetE1EEEvS12_: ; @_ZN7rocprim17ROCPRIM_400000_NS6detail17trampoline_kernelINS0_13select_configILj256ELj13ELNS0_17block_load_methodE3ELS4_3ELS4_3ELNS0_20block_scan_algorithmE0ELj4294967295EEENS1_25partition_config_selectorILNS1_17partition_subalgoE4EjNS0_10empty_typeEbEEZZNS1_14partition_implILS8_4ELb0ES6_15HIP_vector_typeIjLj2EENS0_17counting_iteratorIjlEEPS9_SG_NS0_5tupleIJPjSI_NS0_16reverse_iteratorISI_EEEEENSH_IJSG_SG_SG_EEES9_SI_JZNS1_25segmented_radix_sort_implINS0_14default_configELb0EPKfPfPKlPlN2at6native12_GLOBAL__N_18offset_tEEE10hipError_tPvRmT1_PNSt15iterator_traitsIS12_E10value_typeET2_T3_PNS13_IS18_E10value_typeET4_jRbjT5_S1E_jjP12ihipStream_tbEUljE_ZNSN_ISO_Lb0ESQ_SR_ST_SU_SY_EESZ_S10_S11_S12_S16_S17_S18_S1B_S1C_jS1D_jS1E_S1E_jjS1G_bEUljE0_EEESZ_S10_S11_S18_S1C_S1E_T6_T7_T9_mT8_S1G_bDpT10_ENKUlT_T0_E_clISt17integral_constantIbLb0EES1U_EEDaS1P_S1Q_EUlS1P_E_NS1_11comp_targetILNS1_3genE10ELNS1_11target_archE1200ELNS1_3gpuE4ELNS1_3repE0EEENS1_30default_config_static_selectorELNS0_4arch9wavefront6targetE1EEEvS12_
; %bb.0:
	.section	.rodata,"a",@progbits
	.p2align	6, 0x0
	.amdhsa_kernel _ZN7rocprim17ROCPRIM_400000_NS6detail17trampoline_kernelINS0_13select_configILj256ELj13ELNS0_17block_load_methodE3ELS4_3ELS4_3ELNS0_20block_scan_algorithmE0ELj4294967295EEENS1_25partition_config_selectorILNS1_17partition_subalgoE4EjNS0_10empty_typeEbEEZZNS1_14partition_implILS8_4ELb0ES6_15HIP_vector_typeIjLj2EENS0_17counting_iteratorIjlEEPS9_SG_NS0_5tupleIJPjSI_NS0_16reverse_iteratorISI_EEEEENSH_IJSG_SG_SG_EEES9_SI_JZNS1_25segmented_radix_sort_implINS0_14default_configELb0EPKfPfPKlPlN2at6native12_GLOBAL__N_18offset_tEEE10hipError_tPvRmT1_PNSt15iterator_traitsIS12_E10value_typeET2_T3_PNS13_IS18_E10value_typeET4_jRbjT5_S1E_jjP12ihipStream_tbEUljE_ZNSN_ISO_Lb0ESQ_SR_ST_SU_SY_EESZ_S10_S11_S12_S16_S17_S18_S1B_S1C_jS1D_jS1E_S1E_jjS1G_bEUljE0_EEESZ_S10_S11_S18_S1C_S1E_T6_T7_T9_mT8_S1G_bDpT10_ENKUlT_T0_E_clISt17integral_constantIbLb0EES1U_EEDaS1P_S1Q_EUlS1P_E_NS1_11comp_targetILNS1_3genE10ELNS1_11target_archE1200ELNS1_3gpuE4ELNS1_3repE0EEENS1_30default_config_static_selectorELNS0_4arch9wavefront6targetE1EEEvS12_
		.amdhsa_group_segment_fixed_size 0
		.amdhsa_private_segment_fixed_size 0
		.amdhsa_kernarg_size 176
		.amdhsa_user_sgpr_count 6
		.amdhsa_user_sgpr_private_segment_buffer 1
		.amdhsa_user_sgpr_dispatch_ptr 0
		.amdhsa_user_sgpr_queue_ptr 0
		.amdhsa_user_sgpr_kernarg_segment_ptr 1
		.amdhsa_user_sgpr_dispatch_id 0
		.amdhsa_user_sgpr_flat_scratch_init 0
		.amdhsa_user_sgpr_private_segment_size 0
		.amdhsa_uses_dynamic_stack 0
		.amdhsa_system_sgpr_private_segment_wavefront_offset 0
		.amdhsa_system_sgpr_workgroup_id_x 1
		.amdhsa_system_sgpr_workgroup_id_y 0
		.amdhsa_system_sgpr_workgroup_id_z 0
		.amdhsa_system_sgpr_workgroup_info 0
		.amdhsa_system_vgpr_workitem_id 0
		.amdhsa_next_free_vgpr 1
		.amdhsa_next_free_sgpr 0
		.amdhsa_reserve_vcc 0
		.amdhsa_reserve_flat_scratch 0
		.amdhsa_float_round_mode_32 0
		.amdhsa_float_round_mode_16_64 0
		.amdhsa_float_denorm_mode_32 3
		.amdhsa_float_denorm_mode_16_64 3
		.amdhsa_dx10_clamp 1
		.amdhsa_ieee_mode 1
		.amdhsa_fp16_overflow 0
		.amdhsa_exception_fp_ieee_invalid_op 0
		.amdhsa_exception_fp_denorm_src 0
		.amdhsa_exception_fp_ieee_div_zero 0
		.amdhsa_exception_fp_ieee_overflow 0
		.amdhsa_exception_fp_ieee_underflow 0
		.amdhsa_exception_fp_ieee_inexact 0
		.amdhsa_exception_int_div_zero 0
	.end_amdhsa_kernel
	.section	.text._ZN7rocprim17ROCPRIM_400000_NS6detail17trampoline_kernelINS0_13select_configILj256ELj13ELNS0_17block_load_methodE3ELS4_3ELS4_3ELNS0_20block_scan_algorithmE0ELj4294967295EEENS1_25partition_config_selectorILNS1_17partition_subalgoE4EjNS0_10empty_typeEbEEZZNS1_14partition_implILS8_4ELb0ES6_15HIP_vector_typeIjLj2EENS0_17counting_iteratorIjlEEPS9_SG_NS0_5tupleIJPjSI_NS0_16reverse_iteratorISI_EEEEENSH_IJSG_SG_SG_EEES9_SI_JZNS1_25segmented_radix_sort_implINS0_14default_configELb0EPKfPfPKlPlN2at6native12_GLOBAL__N_18offset_tEEE10hipError_tPvRmT1_PNSt15iterator_traitsIS12_E10value_typeET2_T3_PNS13_IS18_E10value_typeET4_jRbjT5_S1E_jjP12ihipStream_tbEUljE_ZNSN_ISO_Lb0ESQ_SR_ST_SU_SY_EESZ_S10_S11_S12_S16_S17_S18_S1B_S1C_jS1D_jS1E_S1E_jjS1G_bEUljE0_EEESZ_S10_S11_S18_S1C_S1E_T6_T7_T9_mT8_S1G_bDpT10_ENKUlT_T0_E_clISt17integral_constantIbLb0EES1U_EEDaS1P_S1Q_EUlS1P_E_NS1_11comp_targetILNS1_3genE10ELNS1_11target_archE1200ELNS1_3gpuE4ELNS1_3repE0EEENS1_30default_config_static_selectorELNS0_4arch9wavefront6targetE1EEEvS12_,"axG",@progbits,_ZN7rocprim17ROCPRIM_400000_NS6detail17trampoline_kernelINS0_13select_configILj256ELj13ELNS0_17block_load_methodE3ELS4_3ELS4_3ELNS0_20block_scan_algorithmE0ELj4294967295EEENS1_25partition_config_selectorILNS1_17partition_subalgoE4EjNS0_10empty_typeEbEEZZNS1_14partition_implILS8_4ELb0ES6_15HIP_vector_typeIjLj2EENS0_17counting_iteratorIjlEEPS9_SG_NS0_5tupleIJPjSI_NS0_16reverse_iteratorISI_EEEEENSH_IJSG_SG_SG_EEES9_SI_JZNS1_25segmented_radix_sort_implINS0_14default_configELb0EPKfPfPKlPlN2at6native12_GLOBAL__N_18offset_tEEE10hipError_tPvRmT1_PNSt15iterator_traitsIS12_E10value_typeET2_T3_PNS13_IS18_E10value_typeET4_jRbjT5_S1E_jjP12ihipStream_tbEUljE_ZNSN_ISO_Lb0ESQ_SR_ST_SU_SY_EESZ_S10_S11_S12_S16_S17_S18_S1B_S1C_jS1D_jS1E_S1E_jjS1G_bEUljE0_EEESZ_S10_S11_S18_S1C_S1E_T6_T7_T9_mT8_S1G_bDpT10_ENKUlT_T0_E_clISt17integral_constantIbLb0EES1U_EEDaS1P_S1Q_EUlS1P_E_NS1_11comp_targetILNS1_3genE10ELNS1_11target_archE1200ELNS1_3gpuE4ELNS1_3repE0EEENS1_30default_config_static_selectorELNS0_4arch9wavefront6targetE1EEEvS12_,comdat
.Lfunc_end1369:
	.size	_ZN7rocprim17ROCPRIM_400000_NS6detail17trampoline_kernelINS0_13select_configILj256ELj13ELNS0_17block_load_methodE3ELS4_3ELS4_3ELNS0_20block_scan_algorithmE0ELj4294967295EEENS1_25partition_config_selectorILNS1_17partition_subalgoE4EjNS0_10empty_typeEbEEZZNS1_14partition_implILS8_4ELb0ES6_15HIP_vector_typeIjLj2EENS0_17counting_iteratorIjlEEPS9_SG_NS0_5tupleIJPjSI_NS0_16reverse_iteratorISI_EEEEENSH_IJSG_SG_SG_EEES9_SI_JZNS1_25segmented_radix_sort_implINS0_14default_configELb0EPKfPfPKlPlN2at6native12_GLOBAL__N_18offset_tEEE10hipError_tPvRmT1_PNSt15iterator_traitsIS12_E10value_typeET2_T3_PNS13_IS18_E10value_typeET4_jRbjT5_S1E_jjP12ihipStream_tbEUljE_ZNSN_ISO_Lb0ESQ_SR_ST_SU_SY_EESZ_S10_S11_S12_S16_S17_S18_S1B_S1C_jS1D_jS1E_S1E_jjS1G_bEUljE0_EEESZ_S10_S11_S18_S1C_S1E_T6_T7_T9_mT8_S1G_bDpT10_ENKUlT_T0_E_clISt17integral_constantIbLb0EES1U_EEDaS1P_S1Q_EUlS1P_E_NS1_11comp_targetILNS1_3genE10ELNS1_11target_archE1200ELNS1_3gpuE4ELNS1_3repE0EEENS1_30default_config_static_selectorELNS0_4arch9wavefront6targetE1EEEvS12_, .Lfunc_end1369-_ZN7rocprim17ROCPRIM_400000_NS6detail17trampoline_kernelINS0_13select_configILj256ELj13ELNS0_17block_load_methodE3ELS4_3ELS4_3ELNS0_20block_scan_algorithmE0ELj4294967295EEENS1_25partition_config_selectorILNS1_17partition_subalgoE4EjNS0_10empty_typeEbEEZZNS1_14partition_implILS8_4ELb0ES6_15HIP_vector_typeIjLj2EENS0_17counting_iteratorIjlEEPS9_SG_NS0_5tupleIJPjSI_NS0_16reverse_iteratorISI_EEEEENSH_IJSG_SG_SG_EEES9_SI_JZNS1_25segmented_radix_sort_implINS0_14default_configELb0EPKfPfPKlPlN2at6native12_GLOBAL__N_18offset_tEEE10hipError_tPvRmT1_PNSt15iterator_traitsIS12_E10value_typeET2_T3_PNS13_IS18_E10value_typeET4_jRbjT5_S1E_jjP12ihipStream_tbEUljE_ZNSN_ISO_Lb0ESQ_SR_ST_SU_SY_EESZ_S10_S11_S12_S16_S17_S18_S1B_S1C_jS1D_jS1E_S1E_jjS1G_bEUljE0_EEESZ_S10_S11_S18_S1C_S1E_T6_T7_T9_mT8_S1G_bDpT10_ENKUlT_T0_E_clISt17integral_constantIbLb0EES1U_EEDaS1P_S1Q_EUlS1P_E_NS1_11comp_targetILNS1_3genE10ELNS1_11target_archE1200ELNS1_3gpuE4ELNS1_3repE0EEENS1_30default_config_static_selectorELNS0_4arch9wavefront6targetE1EEEvS12_
                                        ; -- End function
	.set _ZN7rocprim17ROCPRIM_400000_NS6detail17trampoline_kernelINS0_13select_configILj256ELj13ELNS0_17block_load_methodE3ELS4_3ELS4_3ELNS0_20block_scan_algorithmE0ELj4294967295EEENS1_25partition_config_selectorILNS1_17partition_subalgoE4EjNS0_10empty_typeEbEEZZNS1_14partition_implILS8_4ELb0ES6_15HIP_vector_typeIjLj2EENS0_17counting_iteratorIjlEEPS9_SG_NS0_5tupleIJPjSI_NS0_16reverse_iteratorISI_EEEEENSH_IJSG_SG_SG_EEES9_SI_JZNS1_25segmented_radix_sort_implINS0_14default_configELb0EPKfPfPKlPlN2at6native12_GLOBAL__N_18offset_tEEE10hipError_tPvRmT1_PNSt15iterator_traitsIS12_E10value_typeET2_T3_PNS13_IS18_E10value_typeET4_jRbjT5_S1E_jjP12ihipStream_tbEUljE_ZNSN_ISO_Lb0ESQ_SR_ST_SU_SY_EESZ_S10_S11_S12_S16_S17_S18_S1B_S1C_jS1D_jS1E_S1E_jjS1G_bEUljE0_EEESZ_S10_S11_S18_S1C_S1E_T6_T7_T9_mT8_S1G_bDpT10_ENKUlT_T0_E_clISt17integral_constantIbLb0EES1U_EEDaS1P_S1Q_EUlS1P_E_NS1_11comp_targetILNS1_3genE10ELNS1_11target_archE1200ELNS1_3gpuE4ELNS1_3repE0EEENS1_30default_config_static_selectorELNS0_4arch9wavefront6targetE1EEEvS12_.num_vgpr, 0
	.set _ZN7rocprim17ROCPRIM_400000_NS6detail17trampoline_kernelINS0_13select_configILj256ELj13ELNS0_17block_load_methodE3ELS4_3ELS4_3ELNS0_20block_scan_algorithmE0ELj4294967295EEENS1_25partition_config_selectorILNS1_17partition_subalgoE4EjNS0_10empty_typeEbEEZZNS1_14partition_implILS8_4ELb0ES6_15HIP_vector_typeIjLj2EENS0_17counting_iteratorIjlEEPS9_SG_NS0_5tupleIJPjSI_NS0_16reverse_iteratorISI_EEEEENSH_IJSG_SG_SG_EEES9_SI_JZNS1_25segmented_radix_sort_implINS0_14default_configELb0EPKfPfPKlPlN2at6native12_GLOBAL__N_18offset_tEEE10hipError_tPvRmT1_PNSt15iterator_traitsIS12_E10value_typeET2_T3_PNS13_IS18_E10value_typeET4_jRbjT5_S1E_jjP12ihipStream_tbEUljE_ZNSN_ISO_Lb0ESQ_SR_ST_SU_SY_EESZ_S10_S11_S12_S16_S17_S18_S1B_S1C_jS1D_jS1E_S1E_jjS1G_bEUljE0_EEESZ_S10_S11_S18_S1C_S1E_T6_T7_T9_mT8_S1G_bDpT10_ENKUlT_T0_E_clISt17integral_constantIbLb0EES1U_EEDaS1P_S1Q_EUlS1P_E_NS1_11comp_targetILNS1_3genE10ELNS1_11target_archE1200ELNS1_3gpuE4ELNS1_3repE0EEENS1_30default_config_static_selectorELNS0_4arch9wavefront6targetE1EEEvS12_.num_agpr, 0
	.set _ZN7rocprim17ROCPRIM_400000_NS6detail17trampoline_kernelINS0_13select_configILj256ELj13ELNS0_17block_load_methodE3ELS4_3ELS4_3ELNS0_20block_scan_algorithmE0ELj4294967295EEENS1_25partition_config_selectorILNS1_17partition_subalgoE4EjNS0_10empty_typeEbEEZZNS1_14partition_implILS8_4ELb0ES6_15HIP_vector_typeIjLj2EENS0_17counting_iteratorIjlEEPS9_SG_NS0_5tupleIJPjSI_NS0_16reverse_iteratorISI_EEEEENSH_IJSG_SG_SG_EEES9_SI_JZNS1_25segmented_radix_sort_implINS0_14default_configELb0EPKfPfPKlPlN2at6native12_GLOBAL__N_18offset_tEEE10hipError_tPvRmT1_PNSt15iterator_traitsIS12_E10value_typeET2_T3_PNS13_IS18_E10value_typeET4_jRbjT5_S1E_jjP12ihipStream_tbEUljE_ZNSN_ISO_Lb0ESQ_SR_ST_SU_SY_EESZ_S10_S11_S12_S16_S17_S18_S1B_S1C_jS1D_jS1E_S1E_jjS1G_bEUljE0_EEESZ_S10_S11_S18_S1C_S1E_T6_T7_T9_mT8_S1G_bDpT10_ENKUlT_T0_E_clISt17integral_constantIbLb0EES1U_EEDaS1P_S1Q_EUlS1P_E_NS1_11comp_targetILNS1_3genE10ELNS1_11target_archE1200ELNS1_3gpuE4ELNS1_3repE0EEENS1_30default_config_static_selectorELNS0_4arch9wavefront6targetE1EEEvS12_.numbered_sgpr, 0
	.set _ZN7rocprim17ROCPRIM_400000_NS6detail17trampoline_kernelINS0_13select_configILj256ELj13ELNS0_17block_load_methodE3ELS4_3ELS4_3ELNS0_20block_scan_algorithmE0ELj4294967295EEENS1_25partition_config_selectorILNS1_17partition_subalgoE4EjNS0_10empty_typeEbEEZZNS1_14partition_implILS8_4ELb0ES6_15HIP_vector_typeIjLj2EENS0_17counting_iteratorIjlEEPS9_SG_NS0_5tupleIJPjSI_NS0_16reverse_iteratorISI_EEEEENSH_IJSG_SG_SG_EEES9_SI_JZNS1_25segmented_radix_sort_implINS0_14default_configELb0EPKfPfPKlPlN2at6native12_GLOBAL__N_18offset_tEEE10hipError_tPvRmT1_PNSt15iterator_traitsIS12_E10value_typeET2_T3_PNS13_IS18_E10value_typeET4_jRbjT5_S1E_jjP12ihipStream_tbEUljE_ZNSN_ISO_Lb0ESQ_SR_ST_SU_SY_EESZ_S10_S11_S12_S16_S17_S18_S1B_S1C_jS1D_jS1E_S1E_jjS1G_bEUljE0_EEESZ_S10_S11_S18_S1C_S1E_T6_T7_T9_mT8_S1G_bDpT10_ENKUlT_T0_E_clISt17integral_constantIbLb0EES1U_EEDaS1P_S1Q_EUlS1P_E_NS1_11comp_targetILNS1_3genE10ELNS1_11target_archE1200ELNS1_3gpuE4ELNS1_3repE0EEENS1_30default_config_static_selectorELNS0_4arch9wavefront6targetE1EEEvS12_.num_named_barrier, 0
	.set _ZN7rocprim17ROCPRIM_400000_NS6detail17trampoline_kernelINS0_13select_configILj256ELj13ELNS0_17block_load_methodE3ELS4_3ELS4_3ELNS0_20block_scan_algorithmE0ELj4294967295EEENS1_25partition_config_selectorILNS1_17partition_subalgoE4EjNS0_10empty_typeEbEEZZNS1_14partition_implILS8_4ELb0ES6_15HIP_vector_typeIjLj2EENS0_17counting_iteratorIjlEEPS9_SG_NS0_5tupleIJPjSI_NS0_16reverse_iteratorISI_EEEEENSH_IJSG_SG_SG_EEES9_SI_JZNS1_25segmented_radix_sort_implINS0_14default_configELb0EPKfPfPKlPlN2at6native12_GLOBAL__N_18offset_tEEE10hipError_tPvRmT1_PNSt15iterator_traitsIS12_E10value_typeET2_T3_PNS13_IS18_E10value_typeET4_jRbjT5_S1E_jjP12ihipStream_tbEUljE_ZNSN_ISO_Lb0ESQ_SR_ST_SU_SY_EESZ_S10_S11_S12_S16_S17_S18_S1B_S1C_jS1D_jS1E_S1E_jjS1G_bEUljE0_EEESZ_S10_S11_S18_S1C_S1E_T6_T7_T9_mT8_S1G_bDpT10_ENKUlT_T0_E_clISt17integral_constantIbLb0EES1U_EEDaS1P_S1Q_EUlS1P_E_NS1_11comp_targetILNS1_3genE10ELNS1_11target_archE1200ELNS1_3gpuE4ELNS1_3repE0EEENS1_30default_config_static_selectorELNS0_4arch9wavefront6targetE1EEEvS12_.private_seg_size, 0
	.set _ZN7rocprim17ROCPRIM_400000_NS6detail17trampoline_kernelINS0_13select_configILj256ELj13ELNS0_17block_load_methodE3ELS4_3ELS4_3ELNS0_20block_scan_algorithmE0ELj4294967295EEENS1_25partition_config_selectorILNS1_17partition_subalgoE4EjNS0_10empty_typeEbEEZZNS1_14partition_implILS8_4ELb0ES6_15HIP_vector_typeIjLj2EENS0_17counting_iteratorIjlEEPS9_SG_NS0_5tupleIJPjSI_NS0_16reverse_iteratorISI_EEEEENSH_IJSG_SG_SG_EEES9_SI_JZNS1_25segmented_radix_sort_implINS0_14default_configELb0EPKfPfPKlPlN2at6native12_GLOBAL__N_18offset_tEEE10hipError_tPvRmT1_PNSt15iterator_traitsIS12_E10value_typeET2_T3_PNS13_IS18_E10value_typeET4_jRbjT5_S1E_jjP12ihipStream_tbEUljE_ZNSN_ISO_Lb0ESQ_SR_ST_SU_SY_EESZ_S10_S11_S12_S16_S17_S18_S1B_S1C_jS1D_jS1E_S1E_jjS1G_bEUljE0_EEESZ_S10_S11_S18_S1C_S1E_T6_T7_T9_mT8_S1G_bDpT10_ENKUlT_T0_E_clISt17integral_constantIbLb0EES1U_EEDaS1P_S1Q_EUlS1P_E_NS1_11comp_targetILNS1_3genE10ELNS1_11target_archE1200ELNS1_3gpuE4ELNS1_3repE0EEENS1_30default_config_static_selectorELNS0_4arch9wavefront6targetE1EEEvS12_.uses_vcc, 0
	.set _ZN7rocprim17ROCPRIM_400000_NS6detail17trampoline_kernelINS0_13select_configILj256ELj13ELNS0_17block_load_methodE3ELS4_3ELS4_3ELNS0_20block_scan_algorithmE0ELj4294967295EEENS1_25partition_config_selectorILNS1_17partition_subalgoE4EjNS0_10empty_typeEbEEZZNS1_14partition_implILS8_4ELb0ES6_15HIP_vector_typeIjLj2EENS0_17counting_iteratorIjlEEPS9_SG_NS0_5tupleIJPjSI_NS0_16reverse_iteratorISI_EEEEENSH_IJSG_SG_SG_EEES9_SI_JZNS1_25segmented_radix_sort_implINS0_14default_configELb0EPKfPfPKlPlN2at6native12_GLOBAL__N_18offset_tEEE10hipError_tPvRmT1_PNSt15iterator_traitsIS12_E10value_typeET2_T3_PNS13_IS18_E10value_typeET4_jRbjT5_S1E_jjP12ihipStream_tbEUljE_ZNSN_ISO_Lb0ESQ_SR_ST_SU_SY_EESZ_S10_S11_S12_S16_S17_S18_S1B_S1C_jS1D_jS1E_S1E_jjS1G_bEUljE0_EEESZ_S10_S11_S18_S1C_S1E_T6_T7_T9_mT8_S1G_bDpT10_ENKUlT_T0_E_clISt17integral_constantIbLb0EES1U_EEDaS1P_S1Q_EUlS1P_E_NS1_11comp_targetILNS1_3genE10ELNS1_11target_archE1200ELNS1_3gpuE4ELNS1_3repE0EEENS1_30default_config_static_selectorELNS0_4arch9wavefront6targetE1EEEvS12_.uses_flat_scratch, 0
	.set _ZN7rocprim17ROCPRIM_400000_NS6detail17trampoline_kernelINS0_13select_configILj256ELj13ELNS0_17block_load_methodE3ELS4_3ELS4_3ELNS0_20block_scan_algorithmE0ELj4294967295EEENS1_25partition_config_selectorILNS1_17partition_subalgoE4EjNS0_10empty_typeEbEEZZNS1_14partition_implILS8_4ELb0ES6_15HIP_vector_typeIjLj2EENS0_17counting_iteratorIjlEEPS9_SG_NS0_5tupleIJPjSI_NS0_16reverse_iteratorISI_EEEEENSH_IJSG_SG_SG_EEES9_SI_JZNS1_25segmented_radix_sort_implINS0_14default_configELb0EPKfPfPKlPlN2at6native12_GLOBAL__N_18offset_tEEE10hipError_tPvRmT1_PNSt15iterator_traitsIS12_E10value_typeET2_T3_PNS13_IS18_E10value_typeET4_jRbjT5_S1E_jjP12ihipStream_tbEUljE_ZNSN_ISO_Lb0ESQ_SR_ST_SU_SY_EESZ_S10_S11_S12_S16_S17_S18_S1B_S1C_jS1D_jS1E_S1E_jjS1G_bEUljE0_EEESZ_S10_S11_S18_S1C_S1E_T6_T7_T9_mT8_S1G_bDpT10_ENKUlT_T0_E_clISt17integral_constantIbLb0EES1U_EEDaS1P_S1Q_EUlS1P_E_NS1_11comp_targetILNS1_3genE10ELNS1_11target_archE1200ELNS1_3gpuE4ELNS1_3repE0EEENS1_30default_config_static_selectorELNS0_4arch9wavefront6targetE1EEEvS12_.has_dyn_sized_stack, 0
	.set _ZN7rocprim17ROCPRIM_400000_NS6detail17trampoline_kernelINS0_13select_configILj256ELj13ELNS0_17block_load_methodE3ELS4_3ELS4_3ELNS0_20block_scan_algorithmE0ELj4294967295EEENS1_25partition_config_selectorILNS1_17partition_subalgoE4EjNS0_10empty_typeEbEEZZNS1_14partition_implILS8_4ELb0ES6_15HIP_vector_typeIjLj2EENS0_17counting_iteratorIjlEEPS9_SG_NS0_5tupleIJPjSI_NS0_16reverse_iteratorISI_EEEEENSH_IJSG_SG_SG_EEES9_SI_JZNS1_25segmented_radix_sort_implINS0_14default_configELb0EPKfPfPKlPlN2at6native12_GLOBAL__N_18offset_tEEE10hipError_tPvRmT1_PNSt15iterator_traitsIS12_E10value_typeET2_T3_PNS13_IS18_E10value_typeET4_jRbjT5_S1E_jjP12ihipStream_tbEUljE_ZNSN_ISO_Lb0ESQ_SR_ST_SU_SY_EESZ_S10_S11_S12_S16_S17_S18_S1B_S1C_jS1D_jS1E_S1E_jjS1G_bEUljE0_EEESZ_S10_S11_S18_S1C_S1E_T6_T7_T9_mT8_S1G_bDpT10_ENKUlT_T0_E_clISt17integral_constantIbLb0EES1U_EEDaS1P_S1Q_EUlS1P_E_NS1_11comp_targetILNS1_3genE10ELNS1_11target_archE1200ELNS1_3gpuE4ELNS1_3repE0EEENS1_30default_config_static_selectorELNS0_4arch9wavefront6targetE1EEEvS12_.has_recursion, 0
	.set _ZN7rocprim17ROCPRIM_400000_NS6detail17trampoline_kernelINS0_13select_configILj256ELj13ELNS0_17block_load_methodE3ELS4_3ELS4_3ELNS0_20block_scan_algorithmE0ELj4294967295EEENS1_25partition_config_selectorILNS1_17partition_subalgoE4EjNS0_10empty_typeEbEEZZNS1_14partition_implILS8_4ELb0ES6_15HIP_vector_typeIjLj2EENS0_17counting_iteratorIjlEEPS9_SG_NS0_5tupleIJPjSI_NS0_16reverse_iteratorISI_EEEEENSH_IJSG_SG_SG_EEES9_SI_JZNS1_25segmented_radix_sort_implINS0_14default_configELb0EPKfPfPKlPlN2at6native12_GLOBAL__N_18offset_tEEE10hipError_tPvRmT1_PNSt15iterator_traitsIS12_E10value_typeET2_T3_PNS13_IS18_E10value_typeET4_jRbjT5_S1E_jjP12ihipStream_tbEUljE_ZNSN_ISO_Lb0ESQ_SR_ST_SU_SY_EESZ_S10_S11_S12_S16_S17_S18_S1B_S1C_jS1D_jS1E_S1E_jjS1G_bEUljE0_EEESZ_S10_S11_S18_S1C_S1E_T6_T7_T9_mT8_S1G_bDpT10_ENKUlT_T0_E_clISt17integral_constantIbLb0EES1U_EEDaS1P_S1Q_EUlS1P_E_NS1_11comp_targetILNS1_3genE10ELNS1_11target_archE1200ELNS1_3gpuE4ELNS1_3repE0EEENS1_30default_config_static_selectorELNS0_4arch9wavefront6targetE1EEEvS12_.has_indirect_call, 0
	.section	.AMDGPU.csdata,"",@progbits
; Kernel info:
; codeLenInByte = 0
; TotalNumSgprs: 4
; NumVgprs: 0
; ScratchSize: 0
; MemoryBound: 0
; FloatMode: 240
; IeeeMode: 1
; LDSByteSize: 0 bytes/workgroup (compile time only)
; SGPRBlocks: 0
; VGPRBlocks: 0
; NumSGPRsForWavesPerEU: 4
; NumVGPRsForWavesPerEU: 1
; Occupancy: 10
; WaveLimiterHint : 0
; COMPUTE_PGM_RSRC2:SCRATCH_EN: 0
; COMPUTE_PGM_RSRC2:USER_SGPR: 6
; COMPUTE_PGM_RSRC2:TRAP_HANDLER: 0
; COMPUTE_PGM_RSRC2:TGID_X_EN: 1
; COMPUTE_PGM_RSRC2:TGID_Y_EN: 0
; COMPUTE_PGM_RSRC2:TGID_Z_EN: 0
; COMPUTE_PGM_RSRC2:TIDIG_COMP_CNT: 0
	.section	.text._ZN7rocprim17ROCPRIM_400000_NS6detail17trampoline_kernelINS0_13select_configILj256ELj13ELNS0_17block_load_methodE3ELS4_3ELS4_3ELNS0_20block_scan_algorithmE0ELj4294967295EEENS1_25partition_config_selectorILNS1_17partition_subalgoE4EjNS0_10empty_typeEbEEZZNS1_14partition_implILS8_4ELb0ES6_15HIP_vector_typeIjLj2EENS0_17counting_iteratorIjlEEPS9_SG_NS0_5tupleIJPjSI_NS0_16reverse_iteratorISI_EEEEENSH_IJSG_SG_SG_EEES9_SI_JZNS1_25segmented_radix_sort_implINS0_14default_configELb0EPKfPfPKlPlN2at6native12_GLOBAL__N_18offset_tEEE10hipError_tPvRmT1_PNSt15iterator_traitsIS12_E10value_typeET2_T3_PNS13_IS18_E10value_typeET4_jRbjT5_S1E_jjP12ihipStream_tbEUljE_ZNSN_ISO_Lb0ESQ_SR_ST_SU_SY_EESZ_S10_S11_S12_S16_S17_S18_S1B_S1C_jS1D_jS1E_S1E_jjS1G_bEUljE0_EEESZ_S10_S11_S18_S1C_S1E_T6_T7_T9_mT8_S1G_bDpT10_ENKUlT_T0_E_clISt17integral_constantIbLb0EES1U_EEDaS1P_S1Q_EUlS1P_E_NS1_11comp_targetILNS1_3genE9ELNS1_11target_archE1100ELNS1_3gpuE3ELNS1_3repE0EEENS1_30default_config_static_selectorELNS0_4arch9wavefront6targetE1EEEvS12_,"axG",@progbits,_ZN7rocprim17ROCPRIM_400000_NS6detail17trampoline_kernelINS0_13select_configILj256ELj13ELNS0_17block_load_methodE3ELS4_3ELS4_3ELNS0_20block_scan_algorithmE0ELj4294967295EEENS1_25partition_config_selectorILNS1_17partition_subalgoE4EjNS0_10empty_typeEbEEZZNS1_14partition_implILS8_4ELb0ES6_15HIP_vector_typeIjLj2EENS0_17counting_iteratorIjlEEPS9_SG_NS0_5tupleIJPjSI_NS0_16reverse_iteratorISI_EEEEENSH_IJSG_SG_SG_EEES9_SI_JZNS1_25segmented_radix_sort_implINS0_14default_configELb0EPKfPfPKlPlN2at6native12_GLOBAL__N_18offset_tEEE10hipError_tPvRmT1_PNSt15iterator_traitsIS12_E10value_typeET2_T3_PNS13_IS18_E10value_typeET4_jRbjT5_S1E_jjP12ihipStream_tbEUljE_ZNSN_ISO_Lb0ESQ_SR_ST_SU_SY_EESZ_S10_S11_S12_S16_S17_S18_S1B_S1C_jS1D_jS1E_S1E_jjS1G_bEUljE0_EEESZ_S10_S11_S18_S1C_S1E_T6_T7_T9_mT8_S1G_bDpT10_ENKUlT_T0_E_clISt17integral_constantIbLb0EES1U_EEDaS1P_S1Q_EUlS1P_E_NS1_11comp_targetILNS1_3genE9ELNS1_11target_archE1100ELNS1_3gpuE3ELNS1_3repE0EEENS1_30default_config_static_selectorELNS0_4arch9wavefront6targetE1EEEvS12_,comdat
	.globl	_ZN7rocprim17ROCPRIM_400000_NS6detail17trampoline_kernelINS0_13select_configILj256ELj13ELNS0_17block_load_methodE3ELS4_3ELS4_3ELNS0_20block_scan_algorithmE0ELj4294967295EEENS1_25partition_config_selectorILNS1_17partition_subalgoE4EjNS0_10empty_typeEbEEZZNS1_14partition_implILS8_4ELb0ES6_15HIP_vector_typeIjLj2EENS0_17counting_iteratorIjlEEPS9_SG_NS0_5tupleIJPjSI_NS0_16reverse_iteratorISI_EEEEENSH_IJSG_SG_SG_EEES9_SI_JZNS1_25segmented_radix_sort_implINS0_14default_configELb0EPKfPfPKlPlN2at6native12_GLOBAL__N_18offset_tEEE10hipError_tPvRmT1_PNSt15iterator_traitsIS12_E10value_typeET2_T3_PNS13_IS18_E10value_typeET4_jRbjT5_S1E_jjP12ihipStream_tbEUljE_ZNSN_ISO_Lb0ESQ_SR_ST_SU_SY_EESZ_S10_S11_S12_S16_S17_S18_S1B_S1C_jS1D_jS1E_S1E_jjS1G_bEUljE0_EEESZ_S10_S11_S18_S1C_S1E_T6_T7_T9_mT8_S1G_bDpT10_ENKUlT_T0_E_clISt17integral_constantIbLb0EES1U_EEDaS1P_S1Q_EUlS1P_E_NS1_11comp_targetILNS1_3genE9ELNS1_11target_archE1100ELNS1_3gpuE3ELNS1_3repE0EEENS1_30default_config_static_selectorELNS0_4arch9wavefront6targetE1EEEvS12_ ; -- Begin function _ZN7rocprim17ROCPRIM_400000_NS6detail17trampoline_kernelINS0_13select_configILj256ELj13ELNS0_17block_load_methodE3ELS4_3ELS4_3ELNS0_20block_scan_algorithmE0ELj4294967295EEENS1_25partition_config_selectorILNS1_17partition_subalgoE4EjNS0_10empty_typeEbEEZZNS1_14partition_implILS8_4ELb0ES6_15HIP_vector_typeIjLj2EENS0_17counting_iteratorIjlEEPS9_SG_NS0_5tupleIJPjSI_NS0_16reverse_iteratorISI_EEEEENSH_IJSG_SG_SG_EEES9_SI_JZNS1_25segmented_radix_sort_implINS0_14default_configELb0EPKfPfPKlPlN2at6native12_GLOBAL__N_18offset_tEEE10hipError_tPvRmT1_PNSt15iterator_traitsIS12_E10value_typeET2_T3_PNS13_IS18_E10value_typeET4_jRbjT5_S1E_jjP12ihipStream_tbEUljE_ZNSN_ISO_Lb0ESQ_SR_ST_SU_SY_EESZ_S10_S11_S12_S16_S17_S18_S1B_S1C_jS1D_jS1E_S1E_jjS1G_bEUljE0_EEESZ_S10_S11_S18_S1C_S1E_T6_T7_T9_mT8_S1G_bDpT10_ENKUlT_T0_E_clISt17integral_constantIbLb0EES1U_EEDaS1P_S1Q_EUlS1P_E_NS1_11comp_targetILNS1_3genE9ELNS1_11target_archE1100ELNS1_3gpuE3ELNS1_3repE0EEENS1_30default_config_static_selectorELNS0_4arch9wavefront6targetE1EEEvS12_
	.p2align	8
	.type	_ZN7rocprim17ROCPRIM_400000_NS6detail17trampoline_kernelINS0_13select_configILj256ELj13ELNS0_17block_load_methodE3ELS4_3ELS4_3ELNS0_20block_scan_algorithmE0ELj4294967295EEENS1_25partition_config_selectorILNS1_17partition_subalgoE4EjNS0_10empty_typeEbEEZZNS1_14partition_implILS8_4ELb0ES6_15HIP_vector_typeIjLj2EENS0_17counting_iteratorIjlEEPS9_SG_NS0_5tupleIJPjSI_NS0_16reverse_iteratorISI_EEEEENSH_IJSG_SG_SG_EEES9_SI_JZNS1_25segmented_radix_sort_implINS0_14default_configELb0EPKfPfPKlPlN2at6native12_GLOBAL__N_18offset_tEEE10hipError_tPvRmT1_PNSt15iterator_traitsIS12_E10value_typeET2_T3_PNS13_IS18_E10value_typeET4_jRbjT5_S1E_jjP12ihipStream_tbEUljE_ZNSN_ISO_Lb0ESQ_SR_ST_SU_SY_EESZ_S10_S11_S12_S16_S17_S18_S1B_S1C_jS1D_jS1E_S1E_jjS1G_bEUljE0_EEESZ_S10_S11_S18_S1C_S1E_T6_T7_T9_mT8_S1G_bDpT10_ENKUlT_T0_E_clISt17integral_constantIbLb0EES1U_EEDaS1P_S1Q_EUlS1P_E_NS1_11comp_targetILNS1_3genE9ELNS1_11target_archE1100ELNS1_3gpuE3ELNS1_3repE0EEENS1_30default_config_static_selectorELNS0_4arch9wavefront6targetE1EEEvS12_,@function
_ZN7rocprim17ROCPRIM_400000_NS6detail17trampoline_kernelINS0_13select_configILj256ELj13ELNS0_17block_load_methodE3ELS4_3ELS4_3ELNS0_20block_scan_algorithmE0ELj4294967295EEENS1_25partition_config_selectorILNS1_17partition_subalgoE4EjNS0_10empty_typeEbEEZZNS1_14partition_implILS8_4ELb0ES6_15HIP_vector_typeIjLj2EENS0_17counting_iteratorIjlEEPS9_SG_NS0_5tupleIJPjSI_NS0_16reverse_iteratorISI_EEEEENSH_IJSG_SG_SG_EEES9_SI_JZNS1_25segmented_radix_sort_implINS0_14default_configELb0EPKfPfPKlPlN2at6native12_GLOBAL__N_18offset_tEEE10hipError_tPvRmT1_PNSt15iterator_traitsIS12_E10value_typeET2_T3_PNS13_IS18_E10value_typeET4_jRbjT5_S1E_jjP12ihipStream_tbEUljE_ZNSN_ISO_Lb0ESQ_SR_ST_SU_SY_EESZ_S10_S11_S12_S16_S17_S18_S1B_S1C_jS1D_jS1E_S1E_jjS1G_bEUljE0_EEESZ_S10_S11_S18_S1C_S1E_T6_T7_T9_mT8_S1G_bDpT10_ENKUlT_T0_E_clISt17integral_constantIbLb0EES1U_EEDaS1P_S1Q_EUlS1P_E_NS1_11comp_targetILNS1_3genE9ELNS1_11target_archE1100ELNS1_3gpuE3ELNS1_3repE0EEENS1_30default_config_static_selectorELNS0_4arch9wavefront6targetE1EEEvS12_: ; @_ZN7rocprim17ROCPRIM_400000_NS6detail17trampoline_kernelINS0_13select_configILj256ELj13ELNS0_17block_load_methodE3ELS4_3ELS4_3ELNS0_20block_scan_algorithmE0ELj4294967295EEENS1_25partition_config_selectorILNS1_17partition_subalgoE4EjNS0_10empty_typeEbEEZZNS1_14partition_implILS8_4ELb0ES6_15HIP_vector_typeIjLj2EENS0_17counting_iteratorIjlEEPS9_SG_NS0_5tupleIJPjSI_NS0_16reverse_iteratorISI_EEEEENSH_IJSG_SG_SG_EEES9_SI_JZNS1_25segmented_radix_sort_implINS0_14default_configELb0EPKfPfPKlPlN2at6native12_GLOBAL__N_18offset_tEEE10hipError_tPvRmT1_PNSt15iterator_traitsIS12_E10value_typeET2_T3_PNS13_IS18_E10value_typeET4_jRbjT5_S1E_jjP12ihipStream_tbEUljE_ZNSN_ISO_Lb0ESQ_SR_ST_SU_SY_EESZ_S10_S11_S12_S16_S17_S18_S1B_S1C_jS1D_jS1E_S1E_jjS1G_bEUljE0_EEESZ_S10_S11_S18_S1C_S1E_T6_T7_T9_mT8_S1G_bDpT10_ENKUlT_T0_E_clISt17integral_constantIbLb0EES1U_EEDaS1P_S1Q_EUlS1P_E_NS1_11comp_targetILNS1_3genE9ELNS1_11target_archE1100ELNS1_3gpuE3ELNS1_3repE0EEENS1_30default_config_static_selectorELNS0_4arch9wavefront6targetE1EEEvS12_
; %bb.0:
	.section	.rodata,"a",@progbits
	.p2align	6, 0x0
	.amdhsa_kernel _ZN7rocprim17ROCPRIM_400000_NS6detail17trampoline_kernelINS0_13select_configILj256ELj13ELNS0_17block_load_methodE3ELS4_3ELS4_3ELNS0_20block_scan_algorithmE0ELj4294967295EEENS1_25partition_config_selectorILNS1_17partition_subalgoE4EjNS0_10empty_typeEbEEZZNS1_14partition_implILS8_4ELb0ES6_15HIP_vector_typeIjLj2EENS0_17counting_iteratorIjlEEPS9_SG_NS0_5tupleIJPjSI_NS0_16reverse_iteratorISI_EEEEENSH_IJSG_SG_SG_EEES9_SI_JZNS1_25segmented_radix_sort_implINS0_14default_configELb0EPKfPfPKlPlN2at6native12_GLOBAL__N_18offset_tEEE10hipError_tPvRmT1_PNSt15iterator_traitsIS12_E10value_typeET2_T3_PNS13_IS18_E10value_typeET4_jRbjT5_S1E_jjP12ihipStream_tbEUljE_ZNSN_ISO_Lb0ESQ_SR_ST_SU_SY_EESZ_S10_S11_S12_S16_S17_S18_S1B_S1C_jS1D_jS1E_S1E_jjS1G_bEUljE0_EEESZ_S10_S11_S18_S1C_S1E_T6_T7_T9_mT8_S1G_bDpT10_ENKUlT_T0_E_clISt17integral_constantIbLb0EES1U_EEDaS1P_S1Q_EUlS1P_E_NS1_11comp_targetILNS1_3genE9ELNS1_11target_archE1100ELNS1_3gpuE3ELNS1_3repE0EEENS1_30default_config_static_selectorELNS0_4arch9wavefront6targetE1EEEvS12_
		.amdhsa_group_segment_fixed_size 0
		.amdhsa_private_segment_fixed_size 0
		.amdhsa_kernarg_size 176
		.amdhsa_user_sgpr_count 6
		.amdhsa_user_sgpr_private_segment_buffer 1
		.amdhsa_user_sgpr_dispatch_ptr 0
		.amdhsa_user_sgpr_queue_ptr 0
		.amdhsa_user_sgpr_kernarg_segment_ptr 1
		.amdhsa_user_sgpr_dispatch_id 0
		.amdhsa_user_sgpr_flat_scratch_init 0
		.amdhsa_user_sgpr_private_segment_size 0
		.amdhsa_uses_dynamic_stack 0
		.amdhsa_system_sgpr_private_segment_wavefront_offset 0
		.amdhsa_system_sgpr_workgroup_id_x 1
		.amdhsa_system_sgpr_workgroup_id_y 0
		.amdhsa_system_sgpr_workgroup_id_z 0
		.amdhsa_system_sgpr_workgroup_info 0
		.amdhsa_system_vgpr_workitem_id 0
		.amdhsa_next_free_vgpr 1
		.amdhsa_next_free_sgpr 0
		.amdhsa_reserve_vcc 0
		.amdhsa_reserve_flat_scratch 0
		.amdhsa_float_round_mode_32 0
		.amdhsa_float_round_mode_16_64 0
		.amdhsa_float_denorm_mode_32 3
		.amdhsa_float_denorm_mode_16_64 3
		.amdhsa_dx10_clamp 1
		.amdhsa_ieee_mode 1
		.amdhsa_fp16_overflow 0
		.amdhsa_exception_fp_ieee_invalid_op 0
		.amdhsa_exception_fp_denorm_src 0
		.amdhsa_exception_fp_ieee_div_zero 0
		.amdhsa_exception_fp_ieee_overflow 0
		.amdhsa_exception_fp_ieee_underflow 0
		.amdhsa_exception_fp_ieee_inexact 0
		.amdhsa_exception_int_div_zero 0
	.end_amdhsa_kernel
	.section	.text._ZN7rocprim17ROCPRIM_400000_NS6detail17trampoline_kernelINS0_13select_configILj256ELj13ELNS0_17block_load_methodE3ELS4_3ELS4_3ELNS0_20block_scan_algorithmE0ELj4294967295EEENS1_25partition_config_selectorILNS1_17partition_subalgoE4EjNS0_10empty_typeEbEEZZNS1_14partition_implILS8_4ELb0ES6_15HIP_vector_typeIjLj2EENS0_17counting_iteratorIjlEEPS9_SG_NS0_5tupleIJPjSI_NS0_16reverse_iteratorISI_EEEEENSH_IJSG_SG_SG_EEES9_SI_JZNS1_25segmented_radix_sort_implINS0_14default_configELb0EPKfPfPKlPlN2at6native12_GLOBAL__N_18offset_tEEE10hipError_tPvRmT1_PNSt15iterator_traitsIS12_E10value_typeET2_T3_PNS13_IS18_E10value_typeET4_jRbjT5_S1E_jjP12ihipStream_tbEUljE_ZNSN_ISO_Lb0ESQ_SR_ST_SU_SY_EESZ_S10_S11_S12_S16_S17_S18_S1B_S1C_jS1D_jS1E_S1E_jjS1G_bEUljE0_EEESZ_S10_S11_S18_S1C_S1E_T6_T7_T9_mT8_S1G_bDpT10_ENKUlT_T0_E_clISt17integral_constantIbLb0EES1U_EEDaS1P_S1Q_EUlS1P_E_NS1_11comp_targetILNS1_3genE9ELNS1_11target_archE1100ELNS1_3gpuE3ELNS1_3repE0EEENS1_30default_config_static_selectorELNS0_4arch9wavefront6targetE1EEEvS12_,"axG",@progbits,_ZN7rocprim17ROCPRIM_400000_NS6detail17trampoline_kernelINS0_13select_configILj256ELj13ELNS0_17block_load_methodE3ELS4_3ELS4_3ELNS0_20block_scan_algorithmE0ELj4294967295EEENS1_25partition_config_selectorILNS1_17partition_subalgoE4EjNS0_10empty_typeEbEEZZNS1_14partition_implILS8_4ELb0ES6_15HIP_vector_typeIjLj2EENS0_17counting_iteratorIjlEEPS9_SG_NS0_5tupleIJPjSI_NS0_16reverse_iteratorISI_EEEEENSH_IJSG_SG_SG_EEES9_SI_JZNS1_25segmented_radix_sort_implINS0_14default_configELb0EPKfPfPKlPlN2at6native12_GLOBAL__N_18offset_tEEE10hipError_tPvRmT1_PNSt15iterator_traitsIS12_E10value_typeET2_T3_PNS13_IS18_E10value_typeET4_jRbjT5_S1E_jjP12ihipStream_tbEUljE_ZNSN_ISO_Lb0ESQ_SR_ST_SU_SY_EESZ_S10_S11_S12_S16_S17_S18_S1B_S1C_jS1D_jS1E_S1E_jjS1G_bEUljE0_EEESZ_S10_S11_S18_S1C_S1E_T6_T7_T9_mT8_S1G_bDpT10_ENKUlT_T0_E_clISt17integral_constantIbLb0EES1U_EEDaS1P_S1Q_EUlS1P_E_NS1_11comp_targetILNS1_3genE9ELNS1_11target_archE1100ELNS1_3gpuE3ELNS1_3repE0EEENS1_30default_config_static_selectorELNS0_4arch9wavefront6targetE1EEEvS12_,comdat
.Lfunc_end1370:
	.size	_ZN7rocprim17ROCPRIM_400000_NS6detail17trampoline_kernelINS0_13select_configILj256ELj13ELNS0_17block_load_methodE3ELS4_3ELS4_3ELNS0_20block_scan_algorithmE0ELj4294967295EEENS1_25partition_config_selectorILNS1_17partition_subalgoE4EjNS0_10empty_typeEbEEZZNS1_14partition_implILS8_4ELb0ES6_15HIP_vector_typeIjLj2EENS0_17counting_iteratorIjlEEPS9_SG_NS0_5tupleIJPjSI_NS0_16reverse_iteratorISI_EEEEENSH_IJSG_SG_SG_EEES9_SI_JZNS1_25segmented_radix_sort_implINS0_14default_configELb0EPKfPfPKlPlN2at6native12_GLOBAL__N_18offset_tEEE10hipError_tPvRmT1_PNSt15iterator_traitsIS12_E10value_typeET2_T3_PNS13_IS18_E10value_typeET4_jRbjT5_S1E_jjP12ihipStream_tbEUljE_ZNSN_ISO_Lb0ESQ_SR_ST_SU_SY_EESZ_S10_S11_S12_S16_S17_S18_S1B_S1C_jS1D_jS1E_S1E_jjS1G_bEUljE0_EEESZ_S10_S11_S18_S1C_S1E_T6_T7_T9_mT8_S1G_bDpT10_ENKUlT_T0_E_clISt17integral_constantIbLb0EES1U_EEDaS1P_S1Q_EUlS1P_E_NS1_11comp_targetILNS1_3genE9ELNS1_11target_archE1100ELNS1_3gpuE3ELNS1_3repE0EEENS1_30default_config_static_selectorELNS0_4arch9wavefront6targetE1EEEvS12_, .Lfunc_end1370-_ZN7rocprim17ROCPRIM_400000_NS6detail17trampoline_kernelINS0_13select_configILj256ELj13ELNS0_17block_load_methodE3ELS4_3ELS4_3ELNS0_20block_scan_algorithmE0ELj4294967295EEENS1_25partition_config_selectorILNS1_17partition_subalgoE4EjNS0_10empty_typeEbEEZZNS1_14partition_implILS8_4ELb0ES6_15HIP_vector_typeIjLj2EENS0_17counting_iteratorIjlEEPS9_SG_NS0_5tupleIJPjSI_NS0_16reverse_iteratorISI_EEEEENSH_IJSG_SG_SG_EEES9_SI_JZNS1_25segmented_radix_sort_implINS0_14default_configELb0EPKfPfPKlPlN2at6native12_GLOBAL__N_18offset_tEEE10hipError_tPvRmT1_PNSt15iterator_traitsIS12_E10value_typeET2_T3_PNS13_IS18_E10value_typeET4_jRbjT5_S1E_jjP12ihipStream_tbEUljE_ZNSN_ISO_Lb0ESQ_SR_ST_SU_SY_EESZ_S10_S11_S12_S16_S17_S18_S1B_S1C_jS1D_jS1E_S1E_jjS1G_bEUljE0_EEESZ_S10_S11_S18_S1C_S1E_T6_T7_T9_mT8_S1G_bDpT10_ENKUlT_T0_E_clISt17integral_constantIbLb0EES1U_EEDaS1P_S1Q_EUlS1P_E_NS1_11comp_targetILNS1_3genE9ELNS1_11target_archE1100ELNS1_3gpuE3ELNS1_3repE0EEENS1_30default_config_static_selectorELNS0_4arch9wavefront6targetE1EEEvS12_
                                        ; -- End function
	.set _ZN7rocprim17ROCPRIM_400000_NS6detail17trampoline_kernelINS0_13select_configILj256ELj13ELNS0_17block_load_methodE3ELS4_3ELS4_3ELNS0_20block_scan_algorithmE0ELj4294967295EEENS1_25partition_config_selectorILNS1_17partition_subalgoE4EjNS0_10empty_typeEbEEZZNS1_14partition_implILS8_4ELb0ES6_15HIP_vector_typeIjLj2EENS0_17counting_iteratorIjlEEPS9_SG_NS0_5tupleIJPjSI_NS0_16reverse_iteratorISI_EEEEENSH_IJSG_SG_SG_EEES9_SI_JZNS1_25segmented_radix_sort_implINS0_14default_configELb0EPKfPfPKlPlN2at6native12_GLOBAL__N_18offset_tEEE10hipError_tPvRmT1_PNSt15iterator_traitsIS12_E10value_typeET2_T3_PNS13_IS18_E10value_typeET4_jRbjT5_S1E_jjP12ihipStream_tbEUljE_ZNSN_ISO_Lb0ESQ_SR_ST_SU_SY_EESZ_S10_S11_S12_S16_S17_S18_S1B_S1C_jS1D_jS1E_S1E_jjS1G_bEUljE0_EEESZ_S10_S11_S18_S1C_S1E_T6_T7_T9_mT8_S1G_bDpT10_ENKUlT_T0_E_clISt17integral_constantIbLb0EES1U_EEDaS1P_S1Q_EUlS1P_E_NS1_11comp_targetILNS1_3genE9ELNS1_11target_archE1100ELNS1_3gpuE3ELNS1_3repE0EEENS1_30default_config_static_selectorELNS0_4arch9wavefront6targetE1EEEvS12_.num_vgpr, 0
	.set _ZN7rocprim17ROCPRIM_400000_NS6detail17trampoline_kernelINS0_13select_configILj256ELj13ELNS0_17block_load_methodE3ELS4_3ELS4_3ELNS0_20block_scan_algorithmE0ELj4294967295EEENS1_25partition_config_selectorILNS1_17partition_subalgoE4EjNS0_10empty_typeEbEEZZNS1_14partition_implILS8_4ELb0ES6_15HIP_vector_typeIjLj2EENS0_17counting_iteratorIjlEEPS9_SG_NS0_5tupleIJPjSI_NS0_16reverse_iteratorISI_EEEEENSH_IJSG_SG_SG_EEES9_SI_JZNS1_25segmented_radix_sort_implINS0_14default_configELb0EPKfPfPKlPlN2at6native12_GLOBAL__N_18offset_tEEE10hipError_tPvRmT1_PNSt15iterator_traitsIS12_E10value_typeET2_T3_PNS13_IS18_E10value_typeET4_jRbjT5_S1E_jjP12ihipStream_tbEUljE_ZNSN_ISO_Lb0ESQ_SR_ST_SU_SY_EESZ_S10_S11_S12_S16_S17_S18_S1B_S1C_jS1D_jS1E_S1E_jjS1G_bEUljE0_EEESZ_S10_S11_S18_S1C_S1E_T6_T7_T9_mT8_S1G_bDpT10_ENKUlT_T0_E_clISt17integral_constantIbLb0EES1U_EEDaS1P_S1Q_EUlS1P_E_NS1_11comp_targetILNS1_3genE9ELNS1_11target_archE1100ELNS1_3gpuE3ELNS1_3repE0EEENS1_30default_config_static_selectorELNS0_4arch9wavefront6targetE1EEEvS12_.num_agpr, 0
	.set _ZN7rocprim17ROCPRIM_400000_NS6detail17trampoline_kernelINS0_13select_configILj256ELj13ELNS0_17block_load_methodE3ELS4_3ELS4_3ELNS0_20block_scan_algorithmE0ELj4294967295EEENS1_25partition_config_selectorILNS1_17partition_subalgoE4EjNS0_10empty_typeEbEEZZNS1_14partition_implILS8_4ELb0ES6_15HIP_vector_typeIjLj2EENS0_17counting_iteratorIjlEEPS9_SG_NS0_5tupleIJPjSI_NS0_16reverse_iteratorISI_EEEEENSH_IJSG_SG_SG_EEES9_SI_JZNS1_25segmented_radix_sort_implINS0_14default_configELb0EPKfPfPKlPlN2at6native12_GLOBAL__N_18offset_tEEE10hipError_tPvRmT1_PNSt15iterator_traitsIS12_E10value_typeET2_T3_PNS13_IS18_E10value_typeET4_jRbjT5_S1E_jjP12ihipStream_tbEUljE_ZNSN_ISO_Lb0ESQ_SR_ST_SU_SY_EESZ_S10_S11_S12_S16_S17_S18_S1B_S1C_jS1D_jS1E_S1E_jjS1G_bEUljE0_EEESZ_S10_S11_S18_S1C_S1E_T6_T7_T9_mT8_S1G_bDpT10_ENKUlT_T0_E_clISt17integral_constantIbLb0EES1U_EEDaS1P_S1Q_EUlS1P_E_NS1_11comp_targetILNS1_3genE9ELNS1_11target_archE1100ELNS1_3gpuE3ELNS1_3repE0EEENS1_30default_config_static_selectorELNS0_4arch9wavefront6targetE1EEEvS12_.numbered_sgpr, 0
	.set _ZN7rocprim17ROCPRIM_400000_NS6detail17trampoline_kernelINS0_13select_configILj256ELj13ELNS0_17block_load_methodE3ELS4_3ELS4_3ELNS0_20block_scan_algorithmE0ELj4294967295EEENS1_25partition_config_selectorILNS1_17partition_subalgoE4EjNS0_10empty_typeEbEEZZNS1_14partition_implILS8_4ELb0ES6_15HIP_vector_typeIjLj2EENS0_17counting_iteratorIjlEEPS9_SG_NS0_5tupleIJPjSI_NS0_16reverse_iteratorISI_EEEEENSH_IJSG_SG_SG_EEES9_SI_JZNS1_25segmented_radix_sort_implINS0_14default_configELb0EPKfPfPKlPlN2at6native12_GLOBAL__N_18offset_tEEE10hipError_tPvRmT1_PNSt15iterator_traitsIS12_E10value_typeET2_T3_PNS13_IS18_E10value_typeET4_jRbjT5_S1E_jjP12ihipStream_tbEUljE_ZNSN_ISO_Lb0ESQ_SR_ST_SU_SY_EESZ_S10_S11_S12_S16_S17_S18_S1B_S1C_jS1D_jS1E_S1E_jjS1G_bEUljE0_EEESZ_S10_S11_S18_S1C_S1E_T6_T7_T9_mT8_S1G_bDpT10_ENKUlT_T0_E_clISt17integral_constantIbLb0EES1U_EEDaS1P_S1Q_EUlS1P_E_NS1_11comp_targetILNS1_3genE9ELNS1_11target_archE1100ELNS1_3gpuE3ELNS1_3repE0EEENS1_30default_config_static_selectorELNS0_4arch9wavefront6targetE1EEEvS12_.num_named_barrier, 0
	.set _ZN7rocprim17ROCPRIM_400000_NS6detail17trampoline_kernelINS0_13select_configILj256ELj13ELNS0_17block_load_methodE3ELS4_3ELS4_3ELNS0_20block_scan_algorithmE0ELj4294967295EEENS1_25partition_config_selectorILNS1_17partition_subalgoE4EjNS0_10empty_typeEbEEZZNS1_14partition_implILS8_4ELb0ES6_15HIP_vector_typeIjLj2EENS0_17counting_iteratorIjlEEPS9_SG_NS0_5tupleIJPjSI_NS0_16reverse_iteratorISI_EEEEENSH_IJSG_SG_SG_EEES9_SI_JZNS1_25segmented_radix_sort_implINS0_14default_configELb0EPKfPfPKlPlN2at6native12_GLOBAL__N_18offset_tEEE10hipError_tPvRmT1_PNSt15iterator_traitsIS12_E10value_typeET2_T3_PNS13_IS18_E10value_typeET4_jRbjT5_S1E_jjP12ihipStream_tbEUljE_ZNSN_ISO_Lb0ESQ_SR_ST_SU_SY_EESZ_S10_S11_S12_S16_S17_S18_S1B_S1C_jS1D_jS1E_S1E_jjS1G_bEUljE0_EEESZ_S10_S11_S18_S1C_S1E_T6_T7_T9_mT8_S1G_bDpT10_ENKUlT_T0_E_clISt17integral_constantIbLb0EES1U_EEDaS1P_S1Q_EUlS1P_E_NS1_11comp_targetILNS1_3genE9ELNS1_11target_archE1100ELNS1_3gpuE3ELNS1_3repE0EEENS1_30default_config_static_selectorELNS0_4arch9wavefront6targetE1EEEvS12_.private_seg_size, 0
	.set _ZN7rocprim17ROCPRIM_400000_NS6detail17trampoline_kernelINS0_13select_configILj256ELj13ELNS0_17block_load_methodE3ELS4_3ELS4_3ELNS0_20block_scan_algorithmE0ELj4294967295EEENS1_25partition_config_selectorILNS1_17partition_subalgoE4EjNS0_10empty_typeEbEEZZNS1_14partition_implILS8_4ELb0ES6_15HIP_vector_typeIjLj2EENS0_17counting_iteratorIjlEEPS9_SG_NS0_5tupleIJPjSI_NS0_16reverse_iteratorISI_EEEEENSH_IJSG_SG_SG_EEES9_SI_JZNS1_25segmented_radix_sort_implINS0_14default_configELb0EPKfPfPKlPlN2at6native12_GLOBAL__N_18offset_tEEE10hipError_tPvRmT1_PNSt15iterator_traitsIS12_E10value_typeET2_T3_PNS13_IS18_E10value_typeET4_jRbjT5_S1E_jjP12ihipStream_tbEUljE_ZNSN_ISO_Lb0ESQ_SR_ST_SU_SY_EESZ_S10_S11_S12_S16_S17_S18_S1B_S1C_jS1D_jS1E_S1E_jjS1G_bEUljE0_EEESZ_S10_S11_S18_S1C_S1E_T6_T7_T9_mT8_S1G_bDpT10_ENKUlT_T0_E_clISt17integral_constantIbLb0EES1U_EEDaS1P_S1Q_EUlS1P_E_NS1_11comp_targetILNS1_3genE9ELNS1_11target_archE1100ELNS1_3gpuE3ELNS1_3repE0EEENS1_30default_config_static_selectorELNS0_4arch9wavefront6targetE1EEEvS12_.uses_vcc, 0
	.set _ZN7rocprim17ROCPRIM_400000_NS6detail17trampoline_kernelINS0_13select_configILj256ELj13ELNS0_17block_load_methodE3ELS4_3ELS4_3ELNS0_20block_scan_algorithmE0ELj4294967295EEENS1_25partition_config_selectorILNS1_17partition_subalgoE4EjNS0_10empty_typeEbEEZZNS1_14partition_implILS8_4ELb0ES6_15HIP_vector_typeIjLj2EENS0_17counting_iteratorIjlEEPS9_SG_NS0_5tupleIJPjSI_NS0_16reverse_iteratorISI_EEEEENSH_IJSG_SG_SG_EEES9_SI_JZNS1_25segmented_radix_sort_implINS0_14default_configELb0EPKfPfPKlPlN2at6native12_GLOBAL__N_18offset_tEEE10hipError_tPvRmT1_PNSt15iterator_traitsIS12_E10value_typeET2_T3_PNS13_IS18_E10value_typeET4_jRbjT5_S1E_jjP12ihipStream_tbEUljE_ZNSN_ISO_Lb0ESQ_SR_ST_SU_SY_EESZ_S10_S11_S12_S16_S17_S18_S1B_S1C_jS1D_jS1E_S1E_jjS1G_bEUljE0_EEESZ_S10_S11_S18_S1C_S1E_T6_T7_T9_mT8_S1G_bDpT10_ENKUlT_T0_E_clISt17integral_constantIbLb0EES1U_EEDaS1P_S1Q_EUlS1P_E_NS1_11comp_targetILNS1_3genE9ELNS1_11target_archE1100ELNS1_3gpuE3ELNS1_3repE0EEENS1_30default_config_static_selectorELNS0_4arch9wavefront6targetE1EEEvS12_.uses_flat_scratch, 0
	.set _ZN7rocprim17ROCPRIM_400000_NS6detail17trampoline_kernelINS0_13select_configILj256ELj13ELNS0_17block_load_methodE3ELS4_3ELS4_3ELNS0_20block_scan_algorithmE0ELj4294967295EEENS1_25partition_config_selectorILNS1_17partition_subalgoE4EjNS0_10empty_typeEbEEZZNS1_14partition_implILS8_4ELb0ES6_15HIP_vector_typeIjLj2EENS0_17counting_iteratorIjlEEPS9_SG_NS0_5tupleIJPjSI_NS0_16reverse_iteratorISI_EEEEENSH_IJSG_SG_SG_EEES9_SI_JZNS1_25segmented_radix_sort_implINS0_14default_configELb0EPKfPfPKlPlN2at6native12_GLOBAL__N_18offset_tEEE10hipError_tPvRmT1_PNSt15iterator_traitsIS12_E10value_typeET2_T3_PNS13_IS18_E10value_typeET4_jRbjT5_S1E_jjP12ihipStream_tbEUljE_ZNSN_ISO_Lb0ESQ_SR_ST_SU_SY_EESZ_S10_S11_S12_S16_S17_S18_S1B_S1C_jS1D_jS1E_S1E_jjS1G_bEUljE0_EEESZ_S10_S11_S18_S1C_S1E_T6_T7_T9_mT8_S1G_bDpT10_ENKUlT_T0_E_clISt17integral_constantIbLb0EES1U_EEDaS1P_S1Q_EUlS1P_E_NS1_11comp_targetILNS1_3genE9ELNS1_11target_archE1100ELNS1_3gpuE3ELNS1_3repE0EEENS1_30default_config_static_selectorELNS0_4arch9wavefront6targetE1EEEvS12_.has_dyn_sized_stack, 0
	.set _ZN7rocprim17ROCPRIM_400000_NS6detail17trampoline_kernelINS0_13select_configILj256ELj13ELNS0_17block_load_methodE3ELS4_3ELS4_3ELNS0_20block_scan_algorithmE0ELj4294967295EEENS1_25partition_config_selectorILNS1_17partition_subalgoE4EjNS0_10empty_typeEbEEZZNS1_14partition_implILS8_4ELb0ES6_15HIP_vector_typeIjLj2EENS0_17counting_iteratorIjlEEPS9_SG_NS0_5tupleIJPjSI_NS0_16reverse_iteratorISI_EEEEENSH_IJSG_SG_SG_EEES9_SI_JZNS1_25segmented_radix_sort_implINS0_14default_configELb0EPKfPfPKlPlN2at6native12_GLOBAL__N_18offset_tEEE10hipError_tPvRmT1_PNSt15iterator_traitsIS12_E10value_typeET2_T3_PNS13_IS18_E10value_typeET4_jRbjT5_S1E_jjP12ihipStream_tbEUljE_ZNSN_ISO_Lb0ESQ_SR_ST_SU_SY_EESZ_S10_S11_S12_S16_S17_S18_S1B_S1C_jS1D_jS1E_S1E_jjS1G_bEUljE0_EEESZ_S10_S11_S18_S1C_S1E_T6_T7_T9_mT8_S1G_bDpT10_ENKUlT_T0_E_clISt17integral_constantIbLb0EES1U_EEDaS1P_S1Q_EUlS1P_E_NS1_11comp_targetILNS1_3genE9ELNS1_11target_archE1100ELNS1_3gpuE3ELNS1_3repE0EEENS1_30default_config_static_selectorELNS0_4arch9wavefront6targetE1EEEvS12_.has_recursion, 0
	.set _ZN7rocprim17ROCPRIM_400000_NS6detail17trampoline_kernelINS0_13select_configILj256ELj13ELNS0_17block_load_methodE3ELS4_3ELS4_3ELNS0_20block_scan_algorithmE0ELj4294967295EEENS1_25partition_config_selectorILNS1_17partition_subalgoE4EjNS0_10empty_typeEbEEZZNS1_14partition_implILS8_4ELb0ES6_15HIP_vector_typeIjLj2EENS0_17counting_iteratorIjlEEPS9_SG_NS0_5tupleIJPjSI_NS0_16reverse_iteratorISI_EEEEENSH_IJSG_SG_SG_EEES9_SI_JZNS1_25segmented_radix_sort_implINS0_14default_configELb0EPKfPfPKlPlN2at6native12_GLOBAL__N_18offset_tEEE10hipError_tPvRmT1_PNSt15iterator_traitsIS12_E10value_typeET2_T3_PNS13_IS18_E10value_typeET4_jRbjT5_S1E_jjP12ihipStream_tbEUljE_ZNSN_ISO_Lb0ESQ_SR_ST_SU_SY_EESZ_S10_S11_S12_S16_S17_S18_S1B_S1C_jS1D_jS1E_S1E_jjS1G_bEUljE0_EEESZ_S10_S11_S18_S1C_S1E_T6_T7_T9_mT8_S1G_bDpT10_ENKUlT_T0_E_clISt17integral_constantIbLb0EES1U_EEDaS1P_S1Q_EUlS1P_E_NS1_11comp_targetILNS1_3genE9ELNS1_11target_archE1100ELNS1_3gpuE3ELNS1_3repE0EEENS1_30default_config_static_selectorELNS0_4arch9wavefront6targetE1EEEvS12_.has_indirect_call, 0
	.section	.AMDGPU.csdata,"",@progbits
; Kernel info:
; codeLenInByte = 0
; TotalNumSgprs: 4
; NumVgprs: 0
; ScratchSize: 0
; MemoryBound: 0
; FloatMode: 240
; IeeeMode: 1
; LDSByteSize: 0 bytes/workgroup (compile time only)
; SGPRBlocks: 0
; VGPRBlocks: 0
; NumSGPRsForWavesPerEU: 4
; NumVGPRsForWavesPerEU: 1
; Occupancy: 10
; WaveLimiterHint : 0
; COMPUTE_PGM_RSRC2:SCRATCH_EN: 0
; COMPUTE_PGM_RSRC2:USER_SGPR: 6
; COMPUTE_PGM_RSRC2:TRAP_HANDLER: 0
; COMPUTE_PGM_RSRC2:TGID_X_EN: 1
; COMPUTE_PGM_RSRC2:TGID_Y_EN: 0
; COMPUTE_PGM_RSRC2:TGID_Z_EN: 0
; COMPUTE_PGM_RSRC2:TIDIG_COMP_CNT: 0
	.section	.text._ZN7rocprim17ROCPRIM_400000_NS6detail17trampoline_kernelINS0_13select_configILj256ELj13ELNS0_17block_load_methodE3ELS4_3ELS4_3ELNS0_20block_scan_algorithmE0ELj4294967295EEENS1_25partition_config_selectorILNS1_17partition_subalgoE4EjNS0_10empty_typeEbEEZZNS1_14partition_implILS8_4ELb0ES6_15HIP_vector_typeIjLj2EENS0_17counting_iteratorIjlEEPS9_SG_NS0_5tupleIJPjSI_NS0_16reverse_iteratorISI_EEEEENSH_IJSG_SG_SG_EEES9_SI_JZNS1_25segmented_radix_sort_implINS0_14default_configELb0EPKfPfPKlPlN2at6native12_GLOBAL__N_18offset_tEEE10hipError_tPvRmT1_PNSt15iterator_traitsIS12_E10value_typeET2_T3_PNS13_IS18_E10value_typeET4_jRbjT5_S1E_jjP12ihipStream_tbEUljE_ZNSN_ISO_Lb0ESQ_SR_ST_SU_SY_EESZ_S10_S11_S12_S16_S17_S18_S1B_S1C_jS1D_jS1E_S1E_jjS1G_bEUljE0_EEESZ_S10_S11_S18_S1C_S1E_T6_T7_T9_mT8_S1G_bDpT10_ENKUlT_T0_E_clISt17integral_constantIbLb0EES1U_EEDaS1P_S1Q_EUlS1P_E_NS1_11comp_targetILNS1_3genE8ELNS1_11target_archE1030ELNS1_3gpuE2ELNS1_3repE0EEENS1_30default_config_static_selectorELNS0_4arch9wavefront6targetE1EEEvS12_,"axG",@progbits,_ZN7rocprim17ROCPRIM_400000_NS6detail17trampoline_kernelINS0_13select_configILj256ELj13ELNS0_17block_load_methodE3ELS4_3ELS4_3ELNS0_20block_scan_algorithmE0ELj4294967295EEENS1_25partition_config_selectorILNS1_17partition_subalgoE4EjNS0_10empty_typeEbEEZZNS1_14partition_implILS8_4ELb0ES6_15HIP_vector_typeIjLj2EENS0_17counting_iteratorIjlEEPS9_SG_NS0_5tupleIJPjSI_NS0_16reverse_iteratorISI_EEEEENSH_IJSG_SG_SG_EEES9_SI_JZNS1_25segmented_radix_sort_implINS0_14default_configELb0EPKfPfPKlPlN2at6native12_GLOBAL__N_18offset_tEEE10hipError_tPvRmT1_PNSt15iterator_traitsIS12_E10value_typeET2_T3_PNS13_IS18_E10value_typeET4_jRbjT5_S1E_jjP12ihipStream_tbEUljE_ZNSN_ISO_Lb0ESQ_SR_ST_SU_SY_EESZ_S10_S11_S12_S16_S17_S18_S1B_S1C_jS1D_jS1E_S1E_jjS1G_bEUljE0_EEESZ_S10_S11_S18_S1C_S1E_T6_T7_T9_mT8_S1G_bDpT10_ENKUlT_T0_E_clISt17integral_constantIbLb0EES1U_EEDaS1P_S1Q_EUlS1P_E_NS1_11comp_targetILNS1_3genE8ELNS1_11target_archE1030ELNS1_3gpuE2ELNS1_3repE0EEENS1_30default_config_static_selectorELNS0_4arch9wavefront6targetE1EEEvS12_,comdat
	.globl	_ZN7rocprim17ROCPRIM_400000_NS6detail17trampoline_kernelINS0_13select_configILj256ELj13ELNS0_17block_load_methodE3ELS4_3ELS4_3ELNS0_20block_scan_algorithmE0ELj4294967295EEENS1_25partition_config_selectorILNS1_17partition_subalgoE4EjNS0_10empty_typeEbEEZZNS1_14partition_implILS8_4ELb0ES6_15HIP_vector_typeIjLj2EENS0_17counting_iteratorIjlEEPS9_SG_NS0_5tupleIJPjSI_NS0_16reverse_iteratorISI_EEEEENSH_IJSG_SG_SG_EEES9_SI_JZNS1_25segmented_radix_sort_implINS0_14default_configELb0EPKfPfPKlPlN2at6native12_GLOBAL__N_18offset_tEEE10hipError_tPvRmT1_PNSt15iterator_traitsIS12_E10value_typeET2_T3_PNS13_IS18_E10value_typeET4_jRbjT5_S1E_jjP12ihipStream_tbEUljE_ZNSN_ISO_Lb0ESQ_SR_ST_SU_SY_EESZ_S10_S11_S12_S16_S17_S18_S1B_S1C_jS1D_jS1E_S1E_jjS1G_bEUljE0_EEESZ_S10_S11_S18_S1C_S1E_T6_T7_T9_mT8_S1G_bDpT10_ENKUlT_T0_E_clISt17integral_constantIbLb0EES1U_EEDaS1P_S1Q_EUlS1P_E_NS1_11comp_targetILNS1_3genE8ELNS1_11target_archE1030ELNS1_3gpuE2ELNS1_3repE0EEENS1_30default_config_static_selectorELNS0_4arch9wavefront6targetE1EEEvS12_ ; -- Begin function _ZN7rocprim17ROCPRIM_400000_NS6detail17trampoline_kernelINS0_13select_configILj256ELj13ELNS0_17block_load_methodE3ELS4_3ELS4_3ELNS0_20block_scan_algorithmE0ELj4294967295EEENS1_25partition_config_selectorILNS1_17partition_subalgoE4EjNS0_10empty_typeEbEEZZNS1_14partition_implILS8_4ELb0ES6_15HIP_vector_typeIjLj2EENS0_17counting_iteratorIjlEEPS9_SG_NS0_5tupleIJPjSI_NS0_16reverse_iteratorISI_EEEEENSH_IJSG_SG_SG_EEES9_SI_JZNS1_25segmented_radix_sort_implINS0_14default_configELb0EPKfPfPKlPlN2at6native12_GLOBAL__N_18offset_tEEE10hipError_tPvRmT1_PNSt15iterator_traitsIS12_E10value_typeET2_T3_PNS13_IS18_E10value_typeET4_jRbjT5_S1E_jjP12ihipStream_tbEUljE_ZNSN_ISO_Lb0ESQ_SR_ST_SU_SY_EESZ_S10_S11_S12_S16_S17_S18_S1B_S1C_jS1D_jS1E_S1E_jjS1G_bEUljE0_EEESZ_S10_S11_S18_S1C_S1E_T6_T7_T9_mT8_S1G_bDpT10_ENKUlT_T0_E_clISt17integral_constantIbLb0EES1U_EEDaS1P_S1Q_EUlS1P_E_NS1_11comp_targetILNS1_3genE8ELNS1_11target_archE1030ELNS1_3gpuE2ELNS1_3repE0EEENS1_30default_config_static_selectorELNS0_4arch9wavefront6targetE1EEEvS12_
	.p2align	8
	.type	_ZN7rocprim17ROCPRIM_400000_NS6detail17trampoline_kernelINS0_13select_configILj256ELj13ELNS0_17block_load_methodE3ELS4_3ELS4_3ELNS0_20block_scan_algorithmE0ELj4294967295EEENS1_25partition_config_selectorILNS1_17partition_subalgoE4EjNS0_10empty_typeEbEEZZNS1_14partition_implILS8_4ELb0ES6_15HIP_vector_typeIjLj2EENS0_17counting_iteratorIjlEEPS9_SG_NS0_5tupleIJPjSI_NS0_16reverse_iteratorISI_EEEEENSH_IJSG_SG_SG_EEES9_SI_JZNS1_25segmented_radix_sort_implINS0_14default_configELb0EPKfPfPKlPlN2at6native12_GLOBAL__N_18offset_tEEE10hipError_tPvRmT1_PNSt15iterator_traitsIS12_E10value_typeET2_T3_PNS13_IS18_E10value_typeET4_jRbjT5_S1E_jjP12ihipStream_tbEUljE_ZNSN_ISO_Lb0ESQ_SR_ST_SU_SY_EESZ_S10_S11_S12_S16_S17_S18_S1B_S1C_jS1D_jS1E_S1E_jjS1G_bEUljE0_EEESZ_S10_S11_S18_S1C_S1E_T6_T7_T9_mT8_S1G_bDpT10_ENKUlT_T0_E_clISt17integral_constantIbLb0EES1U_EEDaS1P_S1Q_EUlS1P_E_NS1_11comp_targetILNS1_3genE8ELNS1_11target_archE1030ELNS1_3gpuE2ELNS1_3repE0EEENS1_30default_config_static_selectorELNS0_4arch9wavefront6targetE1EEEvS12_,@function
_ZN7rocprim17ROCPRIM_400000_NS6detail17trampoline_kernelINS0_13select_configILj256ELj13ELNS0_17block_load_methodE3ELS4_3ELS4_3ELNS0_20block_scan_algorithmE0ELj4294967295EEENS1_25partition_config_selectorILNS1_17partition_subalgoE4EjNS0_10empty_typeEbEEZZNS1_14partition_implILS8_4ELb0ES6_15HIP_vector_typeIjLj2EENS0_17counting_iteratorIjlEEPS9_SG_NS0_5tupleIJPjSI_NS0_16reverse_iteratorISI_EEEEENSH_IJSG_SG_SG_EEES9_SI_JZNS1_25segmented_radix_sort_implINS0_14default_configELb0EPKfPfPKlPlN2at6native12_GLOBAL__N_18offset_tEEE10hipError_tPvRmT1_PNSt15iterator_traitsIS12_E10value_typeET2_T3_PNS13_IS18_E10value_typeET4_jRbjT5_S1E_jjP12ihipStream_tbEUljE_ZNSN_ISO_Lb0ESQ_SR_ST_SU_SY_EESZ_S10_S11_S12_S16_S17_S18_S1B_S1C_jS1D_jS1E_S1E_jjS1G_bEUljE0_EEESZ_S10_S11_S18_S1C_S1E_T6_T7_T9_mT8_S1G_bDpT10_ENKUlT_T0_E_clISt17integral_constantIbLb0EES1U_EEDaS1P_S1Q_EUlS1P_E_NS1_11comp_targetILNS1_3genE8ELNS1_11target_archE1030ELNS1_3gpuE2ELNS1_3repE0EEENS1_30default_config_static_selectorELNS0_4arch9wavefront6targetE1EEEvS12_: ; @_ZN7rocprim17ROCPRIM_400000_NS6detail17trampoline_kernelINS0_13select_configILj256ELj13ELNS0_17block_load_methodE3ELS4_3ELS4_3ELNS0_20block_scan_algorithmE0ELj4294967295EEENS1_25partition_config_selectorILNS1_17partition_subalgoE4EjNS0_10empty_typeEbEEZZNS1_14partition_implILS8_4ELb0ES6_15HIP_vector_typeIjLj2EENS0_17counting_iteratorIjlEEPS9_SG_NS0_5tupleIJPjSI_NS0_16reverse_iteratorISI_EEEEENSH_IJSG_SG_SG_EEES9_SI_JZNS1_25segmented_radix_sort_implINS0_14default_configELb0EPKfPfPKlPlN2at6native12_GLOBAL__N_18offset_tEEE10hipError_tPvRmT1_PNSt15iterator_traitsIS12_E10value_typeET2_T3_PNS13_IS18_E10value_typeET4_jRbjT5_S1E_jjP12ihipStream_tbEUljE_ZNSN_ISO_Lb0ESQ_SR_ST_SU_SY_EESZ_S10_S11_S12_S16_S17_S18_S1B_S1C_jS1D_jS1E_S1E_jjS1G_bEUljE0_EEESZ_S10_S11_S18_S1C_S1E_T6_T7_T9_mT8_S1G_bDpT10_ENKUlT_T0_E_clISt17integral_constantIbLb0EES1U_EEDaS1P_S1Q_EUlS1P_E_NS1_11comp_targetILNS1_3genE8ELNS1_11target_archE1030ELNS1_3gpuE2ELNS1_3repE0EEENS1_30default_config_static_selectorELNS0_4arch9wavefront6targetE1EEEvS12_
; %bb.0:
	.section	.rodata,"a",@progbits
	.p2align	6, 0x0
	.amdhsa_kernel _ZN7rocprim17ROCPRIM_400000_NS6detail17trampoline_kernelINS0_13select_configILj256ELj13ELNS0_17block_load_methodE3ELS4_3ELS4_3ELNS0_20block_scan_algorithmE0ELj4294967295EEENS1_25partition_config_selectorILNS1_17partition_subalgoE4EjNS0_10empty_typeEbEEZZNS1_14partition_implILS8_4ELb0ES6_15HIP_vector_typeIjLj2EENS0_17counting_iteratorIjlEEPS9_SG_NS0_5tupleIJPjSI_NS0_16reverse_iteratorISI_EEEEENSH_IJSG_SG_SG_EEES9_SI_JZNS1_25segmented_radix_sort_implINS0_14default_configELb0EPKfPfPKlPlN2at6native12_GLOBAL__N_18offset_tEEE10hipError_tPvRmT1_PNSt15iterator_traitsIS12_E10value_typeET2_T3_PNS13_IS18_E10value_typeET4_jRbjT5_S1E_jjP12ihipStream_tbEUljE_ZNSN_ISO_Lb0ESQ_SR_ST_SU_SY_EESZ_S10_S11_S12_S16_S17_S18_S1B_S1C_jS1D_jS1E_S1E_jjS1G_bEUljE0_EEESZ_S10_S11_S18_S1C_S1E_T6_T7_T9_mT8_S1G_bDpT10_ENKUlT_T0_E_clISt17integral_constantIbLb0EES1U_EEDaS1P_S1Q_EUlS1P_E_NS1_11comp_targetILNS1_3genE8ELNS1_11target_archE1030ELNS1_3gpuE2ELNS1_3repE0EEENS1_30default_config_static_selectorELNS0_4arch9wavefront6targetE1EEEvS12_
		.amdhsa_group_segment_fixed_size 0
		.amdhsa_private_segment_fixed_size 0
		.amdhsa_kernarg_size 176
		.amdhsa_user_sgpr_count 6
		.amdhsa_user_sgpr_private_segment_buffer 1
		.amdhsa_user_sgpr_dispatch_ptr 0
		.amdhsa_user_sgpr_queue_ptr 0
		.amdhsa_user_sgpr_kernarg_segment_ptr 1
		.amdhsa_user_sgpr_dispatch_id 0
		.amdhsa_user_sgpr_flat_scratch_init 0
		.amdhsa_user_sgpr_private_segment_size 0
		.amdhsa_uses_dynamic_stack 0
		.amdhsa_system_sgpr_private_segment_wavefront_offset 0
		.amdhsa_system_sgpr_workgroup_id_x 1
		.amdhsa_system_sgpr_workgroup_id_y 0
		.amdhsa_system_sgpr_workgroup_id_z 0
		.amdhsa_system_sgpr_workgroup_info 0
		.amdhsa_system_vgpr_workitem_id 0
		.amdhsa_next_free_vgpr 1
		.amdhsa_next_free_sgpr 0
		.amdhsa_reserve_vcc 0
		.amdhsa_reserve_flat_scratch 0
		.amdhsa_float_round_mode_32 0
		.amdhsa_float_round_mode_16_64 0
		.amdhsa_float_denorm_mode_32 3
		.amdhsa_float_denorm_mode_16_64 3
		.amdhsa_dx10_clamp 1
		.amdhsa_ieee_mode 1
		.amdhsa_fp16_overflow 0
		.amdhsa_exception_fp_ieee_invalid_op 0
		.amdhsa_exception_fp_denorm_src 0
		.amdhsa_exception_fp_ieee_div_zero 0
		.amdhsa_exception_fp_ieee_overflow 0
		.amdhsa_exception_fp_ieee_underflow 0
		.amdhsa_exception_fp_ieee_inexact 0
		.amdhsa_exception_int_div_zero 0
	.end_amdhsa_kernel
	.section	.text._ZN7rocprim17ROCPRIM_400000_NS6detail17trampoline_kernelINS0_13select_configILj256ELj13ELNS0_17block_load_methodE3ELS4_3ELS4_3ELNS0_20block_scan_algorithmE0ELj4294967295EEENS1_25partition_config_selectorILNS1_17partition_subalgoE4EjNS0_10empty_typeEbEEZZNS1_14partition_implILS8_4ELb0ES6_15HIP_vector_typeIjLj2EENS0_17counting_iteratorIjlEEPS9_SG_NS0_5tupleIJPjSI_NS0_16reverse_iteratorISI_EEEEENSH_IJSG_SG_SG_EEES9_SI_JZNS1_25segmented_radix_sort_implINS0_14default_configELb0EPKfPfPKlPlN2at6native12_GLOBAL__N_18offset_tEEE10hipError_tPvRmT1_PNSt15iterator_traitsIS12_E10value_typeET2_T3_PNS13_IS18_E10value_typeET4_jRbjT5_S1E_jjP12ihipStream_tbEUljE_ZNSN_ISO_Lb0ESQ_SR_ST_SU_SY_EESZ_S10_S11_S12_S16_S17_S18_S1B_S1C_jS1D_jS1E_S1E_jjS1G_bEUljE0_EEESZ_S10_S11_S18_S1C_S1E_T6_T7_T9_mT8_S1G_bDpT10_ENKUlT_T0_E_clISt17integral_constantIbLb0EES1U_EEDaS1P_S1Q_EUlS1P_E_NS1_11comp_targetILNS1_3genE8ELNS1_11target_archE1030ELNS1_3gpuE2ELNS1_3repE0EEENS1_30default_config_static_selectorELNS0_4arch9wavefront6targetE1EEEvS12_,"axG",@progbits,_ZN7rocprim17ROCPRIM_400000_NS6detail17trampoline_kernelINS0_13select_configILj256ELj13ELNS0_17block_load_methodE3ELS4_3ELS4_3ELNS0_20block_scan_algorithmE0ELj4294967295EEENS1_25partition_config_selectorILNS1_17partition_subalgoE4EjNS0_10empty_typeEbEEZZNS1_14partition_implILS8_4ELb0ES6_15HIP_vector_typeIjLj2EENS0_17counting_iteratorIjlEEPS9_SG_NS0_5tupleIJPjSI_NS0_16reverse_iteratorISI_EEEEENSH_IJSG_SG_SG_EEES9_SI_JZNS1_25segmented_radix_sort_implINS0_14default_configELb0EPKfPfPKlPlN2at6native12_GLOBAL__N_18offset_tEEE10hipError_tPvRmT1_PNSt15iterator_traitsIS12_E10value_typeET2_T3_PNS13_IS18_E10value_typeET4_jRbjT5_S1E_jjP12ihipStream_tbEUljE_ZNSN_ISO_Lb0ESQ_SR_ST_SU_SY_EESZ_S10_S11_S12_S16_S17_S18_S1B_S1C_jS1D_jS1E_S1E_jjS1G_bEUljE0_EEESZ_S10_S11_S18_S1C_S1E_T6_T7_T9_mT8_S1G_bDpT10_ENKUlT_T0_E_clISt17integral_constantIbLb0EES1U_EEDaS1P_S1Q_EUlS1P_E_NS1_11comp_targetILNS1_3genE8ELNS1_11target_archE1030ELNS1_3gpuE2ELNS1_3repE0EEENS1_30default_config_static_selectorELNS0_4arch9wavefront6targetE1EEEvS12_,comdat
.Lfunc_end1371:
	.size	_ZN7rocprim17ROCPRIM_400000_NS6detail17trampoline_kernelINS0_13select_configILj256ELj13ELNS0_17block_load_methodE3ELS4_3ELS4_3ELNS0_20block_scan_algorithmE0ELj4294967295EEENS1_25partition_config_selectorILNS1_17partition_subalgoE4EjNS0_10empty_typeEbEEZZNS1_14partition_implILS8_4ELb0ES6_15HIP_vector_typeIjLj2EENS0_17counting_iteratorIjlEEPS9_SG_NS0_5tupleIJPjSI_NS0_16reverse_iteratorISI_EEEEENSH_IJSG_SG_SG_EEES9_SI_JZNS1_25segmented_radix_sort_implINS0_14default_configELb0EPKfPfPKlPlN2at6native12_GLOBAL__N_18offset_tEEE10hipError_tPvRmT1_PNSt15iterator_traitsIS12_E10value_typeET2_T3_PNS13_IS18_E10value_typeET4_jRbjT5_S1E_jjP12ihipStream_tbEUljE_ZNSN_ISO_Lb0ESQ_SR_ST_SU_SY_EESZ_S10_S11_S12_S16_S17_S18_S1B_S1C_jS1D_jS1E_S1E_jjS1G_bEUljE0_EEESZ_S10_S11_S18_S1C_S1E_T6_T7_T9_mT8_S1G_bDpT10_ENKUlT_T0_E_clISt17integral_constantIbLb0EES1U_EEDaS1P_S1Q_EUlS1P_E_NS1_11comp_targetILNS1_3genE8ELNS1_11target_archE1030ELNS1_3gpuE2ELNS1_3repE0EEENS1_30default_config_static_selectorELNS0_4arch9wavefront6targetE1EEEvS12_, .Lfunc_end1371-_ZN7rocprim17ROCPRIM_400000_NS6detail17trampoline_kernelINS0_13select_configILj256ELj13ELNS0_17block_load_methodE3ELS4_3ELS4_3ELNS0_20block_scan_algorithmE0ELj4294967295EEENS1_25partition_config_selectorILNS1_17partition_subalgoE4EjNS0_10empty_typeEbEEZZNS1_14partition_implILS8_4ELb0ES6_15HIP_vector_typeIjLj2EENS0_17counting_iteratorIjlEEPS9_SG_NS0_5tupleIJPjSI_NS0_16reverse_iteratorISI_EEEEENSH_IJSG_SG_SG_EEES9_SI_JZNS1_25segmented_radix_sort_implINS0_14default_configELb0EPKfPfPKlPlN2at6native12_GLOBAL__N_18offset_tEEE10hipError_tPvRmT1_PNSt15iterator_traitsIS12_E10value_typeET2_T3_PNS13_IS18_E10value_typeET4_jRbjT5_S1E_jjP12ihipStream_tbEUljE_ZNSN_ISO_Lb0ESQ_SR_ST_SU_SY_EESZ_S10_S11_S12_S16_S17_S18_S1B_S1C_jS1D_jS1E_S1E_jjS1G_bEUljE0_EEESZ_S10_S11_S18_S1C_S1E_T6_T7_T9_mT8_S1G_bDpT10_ENKUlT_T0_E_clISt17integral_constantIbLb0EES1U_EEDaS1P_S1Q_EUlS1P_E_NS1_11comp_targetILNS1_3genE8ELNS1_11target_archE1030ELNS1_3gpuE2ELNS1_3repE0EEENS1_30default_config_static_selectorELNS0_4arch9wavefront6targetE1EEEvS12_
                                        ; -- End function
	.set _ZN7rocprim17ROCPRIM_400000_NS6detail17trampoline_kernelINS0_13select_configILj256ELj13ELNS0_17block_load_methodE3ELS4_3ELS4_3ELNS0_20block_scan_algorithmE0ELj4294967295EEENS1_25partition_config_selectorILNS1_17partition_subalgoE4EjNS0_10empty_typeEbEEZZNS1_14partition_implILS8_4ELb0ES6_15HIP_vector_typeIjLj2EENS0_17counting_iteratorIjlEEPS9_SG_NS0_5tupleIJPjSI_NS0_16reverse_iteratorISI_EEEEENSH_IJSG_SG_SG_EEES9_SI_JZNS1_25segmented_radix_sort_implINS0_14default_configELb0EPKfPfPKlPlN2at6native12_GLOBAL__N_18offset_tEEE10hipError_tPvRmT1_PNSt15iterator_traitsIS12_E10value_typeET2_T3_PNS13_IS18_E10value_typeET4_jRbjT5_S1E_jjP12ihipStream_tbEUljE_ZNSN_ISO_Lb0ESQ_SR_ST_SU_SY_EESZ_S10_S11_S12_S16_S17_S18_S1B_S1C_jS1D_jS1E_S1E_jjS1G_bEUljE0_EEESZ_S10_S11_S18_S1C_S1E_T6_T7_T9_mT8_S1G_bDpT10_ENKUlT_T0_E_clISt17integral_constantIbLb0EES1U_EEDaS1P_S1Q_EUlS1P_E_NS1_11comp_targetILNS1_3genE8ELNS1_11target_archE1030ELNS1_3gpuE2ELNS1_3repE0EEENS1_30default_config_static_selectorELNS0_4arch9wavefront6targetE1EEEvS12_.num_vgpr, 0
	.set _ZN7rocprim17ROCPRIM_400000_NS6detail17trampoline_kernelINS0_13select_configILj256ELj13ELNS0_17block_load_methodE3ELS4_3ELS4_3ELNS0_20block_scan_algorithmE0ELj4294967295EEENS1_25partition_config_selectorILNS1_17partition_subalgoE4EjNS0_10empty_typeEbEEZZNS1_14partition_implILS8_4ELb0ES6_15HIP_vector_typeIjLj2EENS0_17counting_iteratorIjlEEPS9_SG_NS0_5tupleIJPjSI_NS0_16reverse_iteratorISI_EEEEENSH_IJSG_SG_SG_EEES9_SI_JZNS1_25segmented_radix_sort_implINS0_14default_configELb0EPKfPfPKlPlN2at6native12_GLOBAL__N_18offset_tEEE10hipError_tPvRmT1_PNSt15iterator_traitsIS12_E10value_typeET2_T3_PNS13_IS18_E10value_typeET4_jRbjT5_S1E_jjP12ihipStream_tbEUljE_ZNSN_ISO_Lb0ESQ_SR_ST_SU_SY_EESZ_S10_S11_S12_S16_S17_S18_S1B_S1C_jS1D_jS1E_S1E_jjS1G_bEUljE0_EEESZ_S10_S11_S18_S1C_S1E_T6_T7_T9_mT8_S1G_bDpT10_ENKUlT_T0_E_clISt17integral_constantIbLb0EES1U_EEDaS1P_S1Q_EUlS1P_E_NS1_11comp_targetILNS1_3genE8ELNS1_11target_archE1030ELNS1_3gpuE2ELNS1_3repE0EEENS1_30default_config_static_selectorELNS0_4arch9wavefront6targetE1EEEvS12_.num_agpr, 0
	.set _ZN7rocprim17ROCPRIM_400000_NS6detail17trampoline_kernelINS0_13select_configILj256ELj13ELNS0_17block_load_methodE3ELS4_3ELS4_3ELNS0_20block_scan_algorithmE0ELj4294967295EEENS1_25partition_config_selectorILNS1_17partition_subalgoE4EjNS0_10empty_typeEbEEZZNS1_14partition_implILS8_4ELb0ES6_15HIP_vector_typeIjLj2EENS0_17counting_iteratorIjlEEPS9_SG_NS0_5tupleIJPjSI_NS0_16reverse_iteratorISI_EEEEENSH_IJSG_SG_SG_EEES9_SI_JZNS1_25segmented_radix_sort_implINS0_14default_configELb0EPKfPfPKlPlN2at6native12_GLOBAL__N_18offset_tEEE10hipError_tPvRmT1_PNSt15iterator_traitsIS12_E10value_typeET2_T3_PNS13_IS18_E10value_typeET4_jRbjT5_S1E_jjP12ihipStream_tbEUljE_ZNSN_ISO_Lb0ESQ_SR_ST_SU_SY_EESZ_S10_S11_S12_S16_S17_S18_S1B_S1C_jS1D_jS1E_S1E_jjS1G_bEUljE0_EEESZ_S10_S11_S18_S1C_S1E_T6_T7_T9_mT8_S1G_bDpT10_ENKUlT_T0_E_clISt17integral_constantIbLb0EES1U_EEDaS1P_S1Q_EUlS1P_E_NS1_11comp_targetILNS1_3genE8ELNS1_11target_archE1030ELNS1_3gpuE2ELNS1_3repE0EEENS1_30default_config_static_selectorELNS0_4arch9wavefront6targetE1EEEvS12_.numbered_sgpr, 0
	.set _ZN7rocprim17ROCPRIM_400000_NS6detail17trampoline_kernelINS0_13select_configILj256ELj13ELNS0_17block_load_methodE3ELS4_3ELS4_3ELNS0_20block_scan_algorithmE0ELj4294967295EEENS1_25partition_config_selectorILNS1_17partition_subalgoE4EjNS0_10empty_typeEbEEZZNS1_14partition_implILS8_4ELb0ES6_15HIP_vector_typeIjLj2EENS0_17counting_iteratorIjlEEPS9_SG_NS0_5tupleIJPjSI_NS0_16reverse_iteratorISI_EEEEENSH_IJSG_SG_SG_EEES9_SI_JZNS1_25segmented_radix_sort_implINS0_14default_configELb0EPKfPfPKlPlN2at6native12_GLOBAL__N_18offset_tEEE10hipError_tPvRmT1_PNSt15iterator_traitsIS12_E10value_typeET2_T3_PNS13_IS18_E10value_typeET4_jRbjT5_S1E_jjP12ihipStream_tbEUljE_ZNSN_ISO_Lb0ESQ_SR_ST_SU_SY_EESZ_S10_S11_S12_S16_S17_S18_S1B_S1C_jS1D_jS1E_S1E_jjS1G_bEUljE0_EEESZ_S10_S11_S18_S1C_S1E_T6_T7_T9_mT8_S1G_bDpT10_ENKUlT_T0_E_clISt17integral_constantIbLb0EES1U_EEDaS1P_S1Q_EUlS1P_E_NS1_11comp_targetILNS1_3genE8ELNS1_11target_archE1030ELNS1_3gpuE2ELNS1_3repE0EEENS1_30default_config_static_selectorELNS0_4arch9wavefront6targetE1EEEvS12_.num_named_barrier, 0
	.set _ZN7rocprim17ROCPRIM_400000_NS6detail17trampoline_kernelINS0_13select_configILj256ELj13ELNS0_17block_load_methodE3ELS4_3ELS4_3ELNS0_20block_scan_algorithmE0ELj4294967295EEENS1_25partition_config_selectorILNS1_17partition_subalgoE4EjNS0_10empty_typeEbEEZZNS1_14partition_implILS8_4ELb0ES6_15HIP_vector_typeIjLj2EENS0_17counting_iteratorIjlEEPS9_SG_NS0_5tupleIJPjSI_NS0_16reverse_iteratorISI_EEEEENSH_IJSG_SG_SG_EEES9_SI_JZNS1_25segmented_radix_sort_implINS0_14default_configELb0EPKfPfPKlPlN2at6native12_GLOBAL__N_18offset_tEEE10hipError_tPvRmT1_PNSt15iterator_traitsIS12_E10value_typeET2_T3_PNS13_IS18_E10value_typeET4_jRbjT5_S1E_jjP12ihipStream_tbEUljE_ZNSN_ISO_Lb0ESQ_SR_ST_SU_SY_EESZ_S10_S11_S12_S16_S17_S18_S1B_S1C_jS1D_jS1E_S1E_jjS1G_bEUljE0_EEESZ_S10_S11_S18_S1C_S1E_T6_T7_T9_mT8_S1G_bDpT10_ENKUlT_T0_E_clISt17integral_constantIbLb0EES1U_EEDaS1P_S1Q_EUlS1P_E_NS1_11comp_targetILNS1_3genE8ELNS1_11target_archE1030ELNS1_3gpuE2ELNS1_3repE0EEENS1_30default_config_static_selectorELNS0_4arch9wavefront6targetE1EEEvS12_.private_seg_size, 0
	.set _ZN7rocprim17ROCPRIM_400000_NS6detail17trampoline_kernelINS0_13select_configILj256ELj13ELNS0_17block_load_methodE3ELS4_3ELS4_3ELNS0_20block_scan_algorithmE0ELj4294967295EEENS1_25partition_config_selectorILNS1_17partition_subalgoE4EjNS0_10empty_typeEbEEZZNS1_14partition_implILS8_4ELb0ES6_15HIP_vector_typeIjLj2EENS0_17counting_iteratorIjlEEPS9_SG_NS0_5tupleIJPjSI_NS0_16reverse_iteratorISI_EEEEENSH_IJSG_SG_SG_EEES9_SI_JZNS1_25segmented_radix_sort_implINS0_14default_configELb0EPKfPfPKlPlN2at6native12_GLOBAL__N_18offset_tEEE10hipError_tPvRmT1_PNSt15iterator_traitsIS12_E10value_typeET2_T3_PNS13_IS18_E10value_typeET4_jRbjT5_S1E_jjP12ihipStream_tbEUljE_ZNSN_ISO_Lb0ESQ_SR_ST_SU_SY_EESZ_S10_S11_S12_S16_S17_S18_S1B_S1C_jS1D_jS1E_S1E_jjS1G_bEUljE0_EEESZ_S10_S11_S18_S1C_S1E_T6_T7_T9_mT8_S1G_bDpT10_ENKUlT_T0_E_clISt17integral_constantIbLb0EES1U_EEDaS1P_S1Q_EUlS1P_E_NS1_11comp_targetILNS1_3genE8ELNS1_11target_archE1030ELNS1_3gpuE2ELNS1_3repE0EEENS1_30default_config_static_selectorELNS0_4arch9wavefront6targetE1EEEvS12_.uses_vcc, 0
	.set _ZN7rocprim17ROCPRIM_400000_NS6detail17trampoline_kernelINS0_13select_configILj256ELj13ELNS0_17block_load_methodE3ELS4_3ELS4_3ELNS0_20block_scan_algorithmE0ELj4294967295EEENS1_25partition_config_selectorILNS1_17partition_subalgoE4EjNS0_10empty_typeEbEEZZNS1_14partition_implILS8_4ELb0ES6_15HIP_vector_typeIjLj2EENS0_17counting_iteratorIjlEEPS9_SG_NS0_5tupleIJPjSI_NS0_16reverse_iteratorISI_EEEEENSH_IJSG_SG_SG_EEES9_SI_JZNS1_25segmented_radix_sort_implINS0_14default_configELb0EPKfPfPKlPlN2at6native12_GLOBAL__N_18offset_tEEE10hipError_tPvRmT1_PNSt15iterator_traitsIS12_E10value_typeET2_T3_PNS13_IS18_E10value_typeET4_jRbjT5_S1E_jjP12ihipStream_tbEUljE_ZNSN_ISO_Lb0ESQ_SR_ST_SU_SY_EESZ_S10_S11_S12_S16_S17_S18_S1B_S1C_jS1D_jS1E_S1E_jjS1G_bEUljE0_EEESZ_S10_S11_S18_S1C_S1E_T6_T7_T9_mT8_S1G_bDpT10_ENKUlT_T0_E_clISt17integral_constantIbLb0EES1U_EEDaS1P_S1Q_EUlS1P_E_NS1_11comp_targetILNS1_3genE8ELNS1_11target_archE1030ELNS1_3gpuE2ELNS1_3repE0EEENS1_30default_config_static_selectorELNS0_4arch9wavefront6targetE1EEEvS12_.uses_flat_scratch, 0
	.set _ZN7rocprim17ROCPRIM_400000_NS6detail17trampoline_kernelINS0_13select_configILj256ELj13ELNS0_17block_load_methodE3ELS4_3ELS4_3ELNS0_20block_scan_algorithmE0ELj4294967295EEENS1_25partition_config_selectorILNS1_17partition_subalgoE4EjNS0_10empty_typeEbEEZZNS1_14partition_implILS8_4ELb0ES6_15HIP_vector_typeIjLj2EENS0_17counting_iteratorIjlEEPS9_SG_NS0_5tupleIJPjSI_NS0_16reverse_iteratorISI_EEEEENSH_IJSG_SG_SG_EEES9_SI_JZNS1_25segmented_radix_sort_implINS0_14default_configELb0EPKfPfPKlPlN2at6native12_GLOBAL__N_18offset_tEEE10hipError_tPvRmT1_PNSt15iterator_traitsIS12_E10value_typeET2_T3_PNS13_IS18_E10value_typeET4_jRbjT5_S1E_jjP12ihipStream_tbEUljE_ZNSN_ISO_Lb0ESQ_SR_ST_SU_SY_EESZ_S10_S11_S12_S16_S17_S18_S1B_S1C_jS1D_jS1E_S1E_jjS1G_bEUljE0_EEESZ_S10_S11_S18_S1C_S1E_T6_T7_T9_mT8_S1G_bDpT10_ENKUlT_T0_E_clISt17integral_constantIbLb0EES1U_EEDaS1P_S1Q_EUlS1P_E_NS1_11comp_targetILNS1_3genE8ELNS1_11target_archE1030ELNS1_3gpuE2ELNS1_3repE0EEENS1_30default_config_static_selectorELNS0_4arch9wavefront6targetE1EEEvS12_.has_dyn_sized_stack, 0
	.set _ZN7rocprim17ROCPRIM_400000_NS6detail17trampoline_kernelINS0_13select_configILj256ELj13ELNS0_17block_load_methodE3ELS4_3ELS4_3ELNS0_20block_scan_algorithmE0ELj4294967295EEENS1_25partition_config_selectorILNS1_17partition_subalgoE4EjNS0_10empty_typeEbEEZZNS1_14partition_implILS8_4ELb0ES6_15HIP_vector_typeIjLj2EENS0_17counting_iteratorIjlEEPS9_SG_NS0_5tupleIJPjSI_NS0_16reverse_iteratorISI_EEEEENSH_IJSG_SG_SG_EEES9_SI_JZNS1_25segmented_radix_sort_implINS0_14default_configELb0EPKfPfPKlPlN2at6native12_GLOBAL__N_18offset_tEEE10hipError_tPvRmT1_PNSt15iterator_traitsIS12_E10value_typeET2_T3_PNS13_IS18_E10value_typeET4_jRbjT5_S1E_jjP12ihipStream_tbEUljE_ZNSN_ISO_Lb0ESQ_SR_ST_SU_SY_EESZ_S10_S11_S12_S16_S17_S18_S1B_S1C_jS1D_jS1E_S1E_jjS1G_bEUljE0_EEESZ_S10_S11_S18_S1C_S1E_T6_T7_T9_mT8_S1G_bDpT10_ENKUlT_T0_E_clISt17integral_constantIbLb0EES1U_EEDaS1P_S1Q_EUlS1P_E_NS1_11comp_targetILNS1_3genE8ELNS1_11target_archE1030ELNS1_3gpuE2ELNS1_3repE0EEENS1_30default_config_static_selectorELNS0_4arch9wavefront6targetE1EEEvS12_.has_recursion, 0
	.set _ZN7rocprim17ROCPRIM_400000_NS6detail17trampoline_kernelINS0_13select_configILj256ELj13ELNS0_17block_load_methodE3ELS4_3ELS4_3ELNS0_20block_scan_algorithmE0ELj4294967295EEENS1_25partition_config_selectorILNS1_17partition_subalgoE4EjNS0_10empty_typeEbEEZZNS1_14partition_implILS8_4ELb0ES6_15HIP_vector_typeIjLj2EENS0_17counting_iteratorIjlEEPS9_SG_NS0_5tupleIJPjSI_NS0_16reverse_iteratorISI_EEEEENSH_IJSG_SG_SG_EEES9_SI_JZNS1_25segmented_radix_sort_implINS0_14default_configELb0EPKfPfPKlPlN2at6native12_GLOBAL__N_18offset_tEEE10hipError_tPvRmT1_PNSt15iterator_traitsIS12_E10value_typeET2_T3_PNS13_IS18_E10value_typeET4_jRbjT5_S1E_jjP12ihipStream_tbEUljE_ZNSN_ISO_Lb0ESQ_SR_ST_SU_SY_EESZ_S10_S11_S12_S16_S17_S18_S1B_S1C_jS1D_jS1E_S1E_jjS1G_bEUljE0_EEESZ_S10_S11_S18_S1C_S1E_T6_T7_T9_mT8_S1G_bDpT10_ENKUlT_T0_E_clISt17integral_constantIbLb0EES1U_EEDaS1P_S1Q_EUlS1P_E_NS1_11comp_targetILNS1_3genE8ELNS1_11target_archE1030ELNS1_3gpuE2ELNS1_3repE0EEENS1_30default_config_static_selectorELNS0_4arch9wavefront6targetE1EEEvS12_.has_indirect_call, 0
	.section	.AMDGPU.csdata,"",@progbits
; Kernel info:
; codeLenInByte = 0
; TotalNumSgprs: 4
; NumVgprs: 0
; ScratchSize: 0
; MemoryBound: 0
; FloatMode: 240
; IeeeMode: 1
; LDSByteSize: 0 bytes/workgroup (compile time only)
; SGPRBlocks: 0
; VGPRBlocks: 0
; NumSGPRsForWavesPerEU: 4
; NumVGPRsForWavesPerEU: 1
; Occupancy: 10
; WaveLimiterHint : 0
; COMPUTE_PGM_RSRC2:SCRATCH_EN: 0
; COMPUTE_PGM_RSRC2:USER_SGPR: 6
; COMPUTE_PGM_RSRC2:TRAP_HANDLER: 0
; COMPUTE_PGM_RSRC2:TGID_X_EN: 1
; COMPUTE_PGM_RSRC2:TGID_Y_EN: 0
; COMPUTE_PGM_RSRC2:TGID_Z_EN: 0
; COMPUTE_PGM_RSRC2:TIDIG_COMP_CNT: 0
	.section	.text._ZN7rocprim17ROCPRIM_400000_NS6detail17trampoline_kernelINS0_13select_configILj256ELj13ELNS0_17block_load_methodE3ELS4_3ELS4_3ELNS0_20block_scan_algorithmE0ELj4294967295EEENS1_25partition_config_selectorILNS1_17partition_subalgoE4EjNS0_10empty_typeEbEEZZNS1_14partition_implILS8_4ELb0ES6_15HIP_vector_typeIjLj2EENS0_17counting_iteratorIjlEEPS9_SG_NS0_5tupleIJPjSI_NS0_16reverse_iteratorISI_EEEEENSH_IJSG_SG_SG_EEES9_SI_JZNS1_25segmented_radix_sort_implINS0_14default_configELb0EPKfPfPKlPlN2at6native12_GLOBAL__N_18offset_tEEE10hipError_tPvRmT1_PNSt15iterator_traitsIS12_E10value_typeET2_T3_PNS13_IS18_E10value_typeET4_jRbjT5_S1E_jjP12ihipStream_tbEUljE_ZNSN_ISO_Lb0ESQ_SR_ST_SU_SY_EESZ_S10_S11_S12_S16_S17_S18_S1B_S1C_jS1D_jS1E_S1E_jjS1G_bEUljE0_EEESZ_S10_S11_S18_S1C_S1E_T6_T7_T9_mT8_S1G_bDpT10_ENKUlT_T0_E_clISt17integral_constantIbLb1EES1U_EEDaS1P_S1Q_EUlS1P_E_NS1_11comp_targetILNS1_3genE0ELNS1_11target_archE4294967295ELNS1_3gpuE0ELNS1_3repE0EEENS1_30default_config_static_selectorELNS0_4arch9wavefront6targetE1EEEvS12_,"axG",@progbits,_ZN7rocprim17ROCPRIM_400000_NS6detail17trampoline_kernelINS0_13select_configILj256ELj13ELNS0_17block_load_methodE3ELS4_3ELS4_3ELNS0_20block_scan_algorithmE0ELj4294967295EEENS1_25partition_config_selectorILNS1_17partition_subalgoE4EjNS0_10empty_typeEbEEZZNS1_14partition_implILS8_4ELb0ES6_15HIP_vector_typeIjLj2EENS0_17counting_iteratorIjlEEPS9_SG_NS0_5tupleIJPjSI_NS0_16reverse_iteratorISI_EEEEENSH_IJSG_SG_SG_EEES9_SI_JZNS1_25segmented_radix_sort_implINS0_14default_configELb0EPKfPfPKlPlN2at6native12_GLOBAL__N_18offset_tEEE10hipError_tPvRmT1_PNSt15iterator_traitsIS12_E10value_typeET2_T3_PNS13_IS18_E10value_typeET4_jRbjT5_S1E_jjP12ihipStream_tbEUljE_ZNSN_ISO_Lb0ESQ_SR_ST_SU_SY_EESZ_S10_S11_S12_S16_S17_S18_S1B_S1C_jS1D_jS1E_S1E_jjS1G_bEUljE0_EEESZ_S10_S11_S18_S1C_S1E_T6_T7_T9_mT8_S1G_bDpT10_ENKUlT_T0_E_clISt17integral_constantIbLb1EES1U_EEDaS1P_S1Q_EUlS1P_E_NS1_11comp_targetILNS1_3genE0ELNS1_11target_archE4294967295ELNS1_3gpuE0ELNS1_3repE0EEENS1_30default_config_static_selectorELNS0_4arch9wavefront6targetE1EEEvS12_,comdat
	.globl	_ZN7rocprim17ROCPRIM_400000_NS6detail17trampoline_kernelINS0_13select_configILj256ELj13ELNS0_17block_load_methodE3ELS4_3ELS4_3ELNS0_20block_scan_algorithmE0ELj4294967295EEENS1_25partition_config_selectorILNS1_17partition_subalgoE4EjNS0_10empty_typeEbEEZZNS1_14partition_implILS8_4ELb0ES6_15HIP_vector_typeIjLj2EENS0_17counting_iteratorIjlEEPS9_SG_NS0_5tupleIJPjSI_NS0_16reverse_iteratorISI_EEEEENSH_IJSG_SG_SG_EEES9_SI_JZNS1_25segmented_radix_sort_implINS0_14default_configELb0EPKfPfPKlPlN2at6native12_GLOBAL__N_18offset_tEEE10hipError_tPvRmT1_PNSt15iterator_traitsIS12_E10value_typeET2_T3_PNS13_IS18_E10value_typeET4_jRbjT5_S1E_jjP12ihipStream_tbEUljE_ZNSN_ISO_Lb0ESQ_SR_ST_SU_SY_EESZ_S10_S11_S12_S16_S17_S18_S1B_S1C_jS1D_jS1E_S1E_jjS1G_bEUljE0_EEESZ_S10_S11_S18_S1C_S1E_T6_T7_T9_mT8_S1G_bDpT10_ENKUlT_T0_E_clISt17integral_constantIbLb1EES1U_EEDaS1P_S1Q_EUlS1P_E_NS1_11comp_targetILNS1_3genE0ELNS1_11target_archE4294967295ELNS1_3gpuE0ELNS1_3repE0EEENS1_30default_config_static_selectorELNS0_4arch9wavefront6targetE1EEEvS12_ ; -- Begin function _ZN7rocprim17ROCPRIM_400000_NS6detail17trampoline_kernelINS0_13select_configILj256ELj13ELNS0_17block_load_methodE3ELS4_3ELS4_3ELNS0_20block_scan_algorithmE0ELj4294967295EEENS1_25partition_config_selectorILNS1_17partition_subalgoE4EjNS0_10empty_typeEbEEZZNS1_14partition_implILS8_4ELb0ES6_15HIP_vector_typeIjLj2EENS0_17counting_iteratorIjlEEPS9_SG_NS0_5tupleIJPjSI_NS0_16reverse_iteratorISI_EEEEENSH_IJSG_SG_SG_EEES9_SI_JZNS1_25segmented_radix_sort_implINS0_14default_configELb0EPKfPfPKlPlN2at6native12_GLOBAL__N_18offset_tEEE10hipError_tPvRmT1_PNSt15iterator_traitsIS12_E10value_typeET2_T3_PNS13_IS18_E10value_typeET4_jRbjT5_S1E_jjP12ihipStream_tbEUljE_ZNSN_ISO_Lb0ESQ_SR_ST_SU_SY_EESZ_S10_S11_S12_S16_S17_S18_S1B_S1C_jS1D_jS1E_S1E_jjS1G_bEUljE0_EEESZ_S10_S11_S18_S1C_S1E_T6_T7_T9_mT8_S1G_bDpT10_ENKUlT_T0_E_clISt17integral_constantIbLb1EES1U_EEDaS1P_S1Q_EUlS1P_E_NS1_11comp_targetILNS1_3genE0ELNS1_11target_archE4294967295ELNS1_3gpuE0ELNS1_3repE0EEENS1_30default_config_static_selectorELNS0_4arch9wavefront6targetE1EEEvS12_
	.p2align	8
	.type	_ZN7rocprim17ROCPRIM_400000_NS6detail17trampoline_kernelINS0_13select_configILj256ELj13ELNS0_17block_load_methodE3ELS4_3ELS4_3ELNS0_20block_scan_algorithmE0ELj4294967295EEENS1_25partition_config_selectorILNS1_17partition_subalgoE4EjNS0_10empty_typeEbEEZZNS1_14partition_implILS8_4ELb0ES6_15HIP_vector_typeIjLj2EENS0_17counting_iteratorIjlEEPS9_SG_NS0_5tupleIJPjSI_NS0_16reverse_iteratorISI_EEEEENSH_IJSG_SG_SG_EEES9_SI_JZNS1_25segmented_radix_sort_implINS0_14default_configELb0EPKfPfPKlPlN2at6native12_GLOBAL__N_18offset_tEEE10hipError_tPvRmT1_PNSt15iterator_traitsIS12_E10value_typeET2_T3_PNS13_IS18_E10value_typeET4_jRbjT5_S1E_jjP12ihipStream_tbEUljE_ZNSN_ISO_Lb0ESQ_SR_ST_SU_SY_EESZ_S10_S11_S12_S16_S17_S18_S1B_S1C_jS1D_jS1E_S1E_jjS1G_bEUljE0_EEESZ_S10_S11_S18_S1C_S1E_T6_T7_T9_mT8_S1G_bDpT10_ENKUlT_T0_E_clISt17integral_constantIbLb1EES1U_EEDaS1P_S1Q_EUlS1P_E_NS1_11comp_targetILNS1_3genE0ELNS1_11target_archE4294967295ELNS1_3gpuE0ELNS1_3repE0EEENS1_30default_config_static_selectorELNS0_4arch9wavefront6targetE1EEEvS12_,@function
_ZN7rocprim17ROCPRIM_400000_NS6detail17trampoline_kernelINS0_13select_configILj256ELj13ELNS0_17block_load_methodE3ELS4_3ELS4_3ELNS0_20block_scan_algorithmE0ELj4294967295EEENS1_25partition_config_selectorILNS1_17partition_subalgoE4EjNS0_10empty_typeEbEEZZNS1_14partition_implILS8_4ELb0ES6_15HIP_vector_typeIjLj2EENS0_17counting_iteratorIjlEEPS9_SG_NS0_5tupleIJPjSI_NS0_16reverse_iteratorISI_EEEEENSH_IJSG_SG_SG_EEES9_SI_JZNS1_25segmented_radix_sort_implINS0_14default_configELb0EPKfPfPKlPlN2at6native12_GLOBAL__N_18offset_tEEE10hipError_tPvRmT1_PNSt15iterator_traitsIS12_E10value_typeET2_T3_PNS13_IS18_E10value_typeET4_jRbjT5_S1E_jjP12ihipStream_tbEUljE_ZNSN_ISO_Lb0ESQ_SR_ST_SU_SY_EESZ_S10_S11_S12_S16_S17_S18_S1B_S1C_jS1D_jS1E_S1E_jjS1G_bEUljE0_EEESZ_S10_S11_S18_S1C_S1E_T6_T7_T9_mT8_S1G_bDpT10_ENKUlT_T0_E_clISt17integral_constantIbLb1EES1U_EEDaS1P_S1Q_EUlS1P_E_NS1_11comp_targetILNS1_3genE0ELNS1_11target_archE4294967295ELNS1_3gpuE0ELNS1_3repE0EEENS1_30default_config_static_selectorELNS0_4arch9wavefront6targetE1EEEvS12_: ; @_ZN7rocprim17ROCPRIM_400000_NS6detail17trampoline_kernelINS0_13select_configILj256ELj13ELNS0_17block_load_methodE3ELS4_3ELS4_3ELNS0_20block_scan_algorithmE0ELj4294967295EEENS1_25partition_config_selectorILNS1_17partition_subalgoE4EjNS0_10empty_typeEbEEZZNS1_14partition_implILS8_4ELb0ES6_15HIP_vector_typeIjLj2EENS0_17counting_iteratorIjlEEPS9_SG_NS0_5tupleIJPjSI_NS0_16reverse_iteratorISI_EEEEENSH_IJSG_SG_SG_EEES9_SI_JZNS1_25segmented_radix_sort_implINS0_14default_configELb0EPKfPfPKlPlN2at6native12_GLOBAL__N_18offset_tEEE10hipError_tPvRmT1_PNSt15iterator_traitsIS12_E10value_typeET2_T3_PNS13_IS18_E10value_typeET4_jRbjT5_S1E_jjP12ihipStream_tbEUljE_ZNSN_ISO_Lb0ESQ_SR_ST_SU_SY_EESZ_S10_S11_S12_S16_S17_S18_S1B_S1C_jS1D_jS1E_S1E_jjS1G_bEUljE0_EEESZ_S10_S11_S18_S1C_S1E_T6_T7_T9_mT8_S1G_bDpT10_ENKUlT_T0_E_clISt17integral_constantIbLb1EES1U_EEDaS1P_S1Q_EUlS1P_E_NS1_11comp_targetILNS1_3genE0ELNS1_11target_archE4294967295ELNS1_3gpuE0ELNS1_3repE0EEENS1_30default_config_static_selectorELNS0_4arch9wavefront6targetE1EEEvS12_
; %bb.0:
	.section	.rodata,"a",@progbits
	.p2align	6, 0x0
	.amdhsa_kernel _ZN7rocprim17ROCPRIM_400000_NS6detail17trampoline_kernelINS0_13select_configILj256ELj13ELNS0_17block_load_methodE3ELS4_3ELS4_3ELNS0_20block_scan_algorithmE0ELj4294967295EEENS1_25partition_config_selectorILNS1_17partition_subalgoE4EjNS0_10empty_typeEbEEZZNS1_14partition_implILS8_4ELb0ES6_15HIP_vector_typeIjLj2EENS0_17counting_iteratorIjlEEPS9_SG_NS0_5tupleIJPjSI_NS0_16reverse_iteratorISI_EEEEENSH_IJSG_SG_SG_EEES9_SI_JZNS1_25segmented_radix_sort_implINS0_14default_configELb0EPKfPfPKlPlN2at6native12_GLOBAL__N_18offset_tEEE10hipError_tPvRmT1_PNSt15iterator_traitsIS12_E10value_typeET2_T3_PNS13_IS18_E10value_typeET4_jRbjT5_S1E_jjP12ihipStream_tbEUljE_ZNSN_ISO_Lb0ESQ_SR_ST_SU_SY_EESZ_S10_S11_S12_S16_S17_S18_S1B_S1C_jS1D_jS1E_S1E_jjS1G_bEUljE0_EEESZ_S10_S11_S18_S1C_S1E_T6_T7_T9_mT8_S1G_bDpT10_ENKUlT_T0_E_clISt17integral_constantIbLb1EES1U_EEDaS1P_S1Q_EUlS1P_E_NS1_11comp_targetILNS1_3genE0ELNS1_11target_archE4294967295ELNS1_3gpuE0ELNS1_3repE0EEENS1_30default_config_static_selectorELNS0_4arch9wavefront6targetE1EEEvS12_
		.amdhsa_group_segment_fixed_size 0
		.amdhsa_private_segment_fixed_size 0
		.amdhsa_kernarg_size 184
		.amdhsa_user_sgpr_count 6
		.amdhsa_user_sgpr_private_segment_buffer 1
		.amdhsa_user_sgpr_dispatch_ptr 0
		.amdhsa_user_sgpr_queue_ptr 0
		.amdhsa_user_sgpr_kernarg_segment_ptr 1
		.amdhsa_user_sgpr_dispatch_id 0
		.amdhsa_user_sgpr_flat_scratch_init 0
		.amdhsa_user_sgpr_private_segment_size 0
		.amdhsa_uses_dynamic_stack 0
		.amdhsa_system_sgpr_private_segment_wavefront_offset 0
		.amdhsa_system_sgpr_workgroup_id_x 1
		.amdhsa_system_sgpr_workgroup_id_y 0
		.amdhsa_system_sgpr_workgroup_id_z 0
		.amdhsa_system_sgpr_workgroup_info 0
		.amdhsa_system_vgpr_workitem_id 0
		.amdhsa_next_free_vgpr 1
		.amdhsa_next_free_sgpr 0
		.amdhsa_reserve_vcc 0
		.amdhsa_reserve_flat_scratch 0
		.amdhsa_float_round_mode_32 0
		.amdhsa_float_round_mode_16_64 0
		.amdhsa_float_denorm_mode_32 3
		.amdhsa_float_denorm_mode_16_64 3
		.amdhsa_dx10_clamp 1
		.amdhsa_ieee_mode 1
		.amdhsa_fp16_overflow 0
		.amdhsa_exception_fp_ieee_invalid_op 0
		.amdhsa_exception_fp_denorm_src 0
		.amdhsa_exception_fp_ieee_div_zero 0
		.amdhsa_exception_fp_ieee_overflow 0
		.amdhsa_exception_fp_ieee_underflow 0
		.amdhsa_exception_fp_ieee_inexact 0
		.amdhsa_exception_int_div_zero 0
	.end_amdhsa_kernel
	.section	.text._ZN7rocprim17ROCPRIM_400000_NS6detail17trampoline_kernelINS0_13select_configILj256ELj13ELNS0_17block_load_methodE3ELS4_3ELS4_3ELNS0_20block_scan_algorithmE0ELj4294967295EEENS1_25partition_config_selectorILNS1_17partition_subalgoE4EjNS0_10empty_typeEbEEZZNS1_14partition_implILS8_4ELb0ES6_15HIP_vector_typeIjLj2EENS0_17counting_iteratorIjlEEPS9_SG_NS0_5tupleIJPjSI_NS0_16reverse_iteratorISI_EEEEENSH_IJSG_SG_SG_EEES9_SI_JZNS1_25segmented_radix_sort_implINS0_14default_configELb0EPKfPfPKlPlN2at6native12_GLOBAL__N_18offset_tEEE10hipError_tPvRmT1_PNSt15iterator_traitsIS12_E10value_typeET2_T3_PNS13_IS18_E10value_typeET4_jRbjT5_S1E_jjP12ihipStream_tbEUljE_ZNSN_ISO_Lb0ESQ_SR_ST_SU_SY_EESZ_S10_S11_S12_S16_S17_S18_S1B_S1C_jS1D_jS1E_S1E_jjS1G_bEUljE0_EEESZ_S10_S11_S18_S1C_S1E_T6_T7_T9_mT8_S1G_bDpT10_ENKUlT_T0_E_clISt17integral_constantIbLb1EES1U_EEDaS1P_S1Q_EUlS1P_E_NS1_11comp_targetILNS1_3genE0ELNS1_11target_archE4294967295ELNS1_3gpuE0ELNS1_3repE0EEENS1_30default_config_static_selectorELNS0_4arch9wavefront6targetE1EEEvS12_,"axG",@progbits,_ZN7rocprim17ROCPRIM_400000_NS6detail17trampoline_kernelINS0_13select_configILj256ELj13ELNS0_17block_load_methodE3ELS4_3ELS4_3ELNS0_20block_scan_algorithmE0ELj4294967295EEENS1_25partition_config_selectorILNS1_17partition_subalgoE4EjNS0_10empty_typeEbEEZZNS1_14partition_implILS8_4ELb0ES6_15HIP_vector_typeIjLj2EENS0_17counting_iteratorIjlEEPS9_SG_NS0_5tupleIJPjSI_NS0_16reverse_iteratorISI_EEEEENSH_IJSG_SG_SG_EEES9_SI_JZNS1_25segmented_radix_sort_implINS0_14default_configELb0EPKfPfPKlPlN2at6native12_GLOBAL__N_18offset_tEEE10hipError_tPvRmT1_PNSt15iterator_traitsIS12_E10value_typeET2_T3_PNS13_IS18_E10value_typeET4_jRbjT5_S1E_jjP12ihipStream_tbEUljE_ZNSN_ISO_Lb0ESQ_SR_ST_SU_SY_EESZ_S10_S11_S12_S16_S17_S18_S1B_S1C_jS1D_jS1E_S1E_jjS1G_bEUljE0_EEESZ_S10_S11_S18_S1C_S1E_T6_T7_T9_mT8_S1G_bDpT10_ENKUlT_T0_E_clISt17integral_constantIbLb1EES1U_EEDaS1P_S1Q_EUlS1P_E_NS1_11comp_targetILNS1_3genE0ELNS1_11target_archE4294967295ELNS1_3gpuE0ELNS1_3repE0EEENS1_30default_config_static_selectorELNS0_4arch9wavefront6targetE1EEEvS12_,comdat
.Lfunc_end1372:
	.size	_ZN7rocprim17ROCPRIM_400000_NS6detail17trampoline_kernelINS0_13select_configILj256ELj13ELNS0_17block_load_methodE3ELS4_3ELS4_3ELNS0_20block_scan_algorithmE0ELj4294967295EEENS1_25partition_config_selectorILNS1_17partition_subalgoE4EjNS0_10empty_typeEbEEZZNS1_14partition_implILS8_4ELb0ES6_15HIP_vector_typeIjLj2EENS0_17counting_iteratorIjlEEPS9_SG_NS0_5tupleIJPjSI_NS0_16reverse_iteratorISI_EEEEENSH_IJSG_SG_SG_EEES9_SI_JZNS1_25segmented_radix_sort_implINS0_14default_configELb0EPKfPfPKlPlN2at6native12_GLOBAL__N_18offset_tEEE10hipError_tPvRmT1_PNSt15iterator_traitsIS12_E10value_typeET2_T3_PNS13_IS18_E10value_typeET4_jRbjT5_S1E_jjP12ihipStream_tbEUljE_ZNSN_ISO_Lb0ESQ_SR_ST_SU_SY_EESZ_S10_S11_S12_S16_S17_S18_S1B_S1C_jS1D_jS1E_S1E_jjS1G_bEUljE0_EEESZ_S10_S11_S18_S1C_S1E_T6_T7_T9_mT8_S1G_bDpT10_ENKUlT_T0_E_clISt17integral_constantIbLb1EES1U_EEDaS1P_S1Q_EUlS1P_E_NS1_11comp_targetILNS1_3genE0ELNS1_11target_archE4294967295ELNS1_3gpuE0ELNS1_3repE0EEENS1_30default_config_static_selectorELNS0_4arch9wavefront6targetE1EEEvS12_, .Lfunc_end1372-_ZN7rocprim17ROCPRIM_400000_NS6detail17trampoline_kernelINS0_13select_configILj256ELj13ELNS0_17block_load_methodE3ELS4_3ELS4_3ELNS0_20block_scan_algorithmE0ELj4294967295EEENS1_25partition_config_selectorILNS1_17partition_subalgoE4EjNS0_10empty_typeEbEEZZNS1_14partition_implILS8_4ELb0ES6_15HIP_vector_typeIjLj2EENS0_17counting_iteratorIjlEEPS9_SG_NS0_5tupleIJPjSI_NS0_16reverse_iteratorISI_EEEEENSH_IJSG_SG_SG_EEES9_SI_JZNS1_25segmented_radix_sort_implINS0_14default_configELb0EPKfPfPKlPlN2at6native12_GLOBAL__N_18offset_tEEE10hipError_tPvRmT1_PNSt15iterator_traitsIS12_E10value_typeET2_T3_PNS13_IS18_E10value_typeET4_jRbjT5_S1E_jjP12ihipStream_tbEUljE_ZNSN_ISO_Lb0ESQ_SR_ST_SU_SY_EESZ_S10_S11_S12_S16_S17_S18_S1B_S1C_jS1D_jS1E_S1E_jjS1G_bEUljE0_EEESZ_S10_S11_S18_S1C_S1E_T6_T7_T9_mT8_S1G_bDpT10_ENKUlT_T0_E_clISt17integral_constantIbLb1EES1U_EEDaS1P_S1Q_EUlS1P_E_NS1_11comp_targetILNS1_3genE0ELNS1_11target_archE4294967295ELNS1_3gpuE0ELNS1_3repE0EEENS1_30default_config_static_selectorELNS0_4arch9wavefront6targetE1EEEvS12_
                                        ; -- End function
	.set _ZN7rocprim17ROCPRIM_400000_NS6detail17trampoline_kernelINS0_13select_configILj256ELj13ELNS0_17block_load_methodE3ELS4_3ELS4_3ELNS0_20block_scan_algorithmE0ELj4294967295EEENS1_25partition_config_selectorILNS1_17partition_subalgoE4EjNS0_10empty_typeEbEEZZNS1_14partition_implILS8_4ELb0ES6_15HIP_vector_typeIjLj2EENS0_17counting_iteratorIjlEEPS9_SG_NS0_5tupleIJPjSI_NS0_16reverse_iteratorISI_EEEEENSH_IJSG_SG_SG_EEES9_SI_JZNS1_25segmented_radix_sort_implINS0_14default_configELb0EPKfPfPKlPlN2at6native12_GLOBAL__N_18offset_tEEE10hipError_tPvRmT1_PNSt15iterator_traitsIS12_E10value_typeET2_T3_PNS13_IS18_E10value_typeET4_jRbjT5_S1E_jjP12ihipStream_tbEUljE_ZNSN_ISO_Lb0ESQ_SR_ST_SU_SY_EESZ_S10_S11_S12_S16_S17_S18_S1B_S1C_jS1D_jS1E_S1E_jjS1G_bEUljE0_EEESZ_S10_S11_S18_S1C_S1E_T6_T7_T9_mT8_S1G_bDpT10_ENKUlT_T0_E_clISt17integral_constantIbLb1EES1U_EEDaS1P_S1Q_EUlS1P_E_NS1_11comp_targetILNS1_3genE0ELNS1_11target_archE4294967295ELNS1_3gpuE0ELNS1_3repE0EEENS1_30default_config_static_selectorELNS0_4arch9wavefront6targetE1EEEvS12_.num_vgpr, 0
	.set _ZN7rocprim17ROCPRIM_400000_NS6detail17trampoline_kernelINS0_13select_configILj256ELj13ELNS0_17block_load_methodE3ELS4_3ELS4_3ELNS0_20block_scan_algorithmE0ELj4294967295EEENS1_25partition_config_selectorILNS1_17partition_subalgoE4EjNS0_10empty_typeEbEEZZNS1_14partition_implILS8_4ELb0ES6_15HIP_vector_typeIjLj2EENS0_17counting_iteratorIjlEEPS9_SG_NS0_5tupleIJPjSI_NS0_16reverse_iteratorISI_EEEEENSH_IJSG_SG_SG_EEES9_SI_JZNS1_25segmented_radix_sort_implINS0_14default_configELb0EPKfPfPKlPlN2at6native12_GLOBAL__N_18offset_tEEE10hipError_tPvRmT1_PNSt15iterator_traitsIS12_E10value_typeET2_T3_PNS13_IS18_E10value_typeET4_jRbjT5_S1E_jjP12ihipStream_tbEUljE_ZNSN_ISO_Lb0ESQ_SR_ST_SU_SY_EESZ_S10_S11_S12_S16_S17_S18_S1B_S1C_jS1D_jS1E_S1E_jjS1G_bEUljE0_EEESZ_S10_S11_S18_S1C_S1E_T6_T7_T9_mT8_S1G_bDpT10_ENKUlT_T0_E_clISt17integral_constantIbLb1EES1U_EEDaS1P_S1Q_EUlS1P_E_NS1_11comp_targetILNS1_3genE0ELNS1_11target_archE4294967295ELNS1_3gpuE0ELNS1_3repE0EEENS1_30default_config_static_selectorELNS0_4arch9wavefront6targetE1EEEvS12_.num_agpr, 0
	.set _ZN7rocprim17ROCPRIM_400000_NS6detail17trampoline_kernelINS0_13select_configILj256ELj13ELNS0_17block_load_methodE3ELS4_3ELS4_3ELNS0_20block_scan_algorithmE0ELj4294967295EEENS1_25partition_config_selectorILNS1_17partition_subalgoE4EjNS0_10empty_typeEbEEZZNS1_14partition_implILS8_4ELb0ES6_15HIP_vector_typeIjLj2EENS0_17counting_iteratorIjlEEPS9_SG_NS0_5tupleIJPjSI_NS0_16reverse_iteratorISI_EEEEENSH_IJSG_SG_SG_EEES9_SI_JZNS1_25segmented_radix_sort_implINS0_14default_configELb0EPKfPfPKlPlN2at6native12_GLOBAL__N_18offset_tEEE10hipError_tPvRmT1_PNSt15iterator_traitsIS12_E10value_typeET2_T3_PNS13_IS18_E10value_typeET4_jRbjT5_S1E_jjP12ihipStream_tbEUljE_ZNSN_ISO_Lb0ESQ_SR_ST_SU_SY_EESZ_S10_S11_S12_S16_S17_S18_S1B_S1C_jS1D_jS1E_S1E_jjS1G_bEUljE0_EEESZ_S10_S11_S18_S1C_S1E_T6_T7_T9_mT8_S1G_bDpT10_ENKUlT_T0_E_clISt17integral_constantIbLb1EES1U_EEDaS1P_S1Q_EUlS1P_E_NS1_11comp_targetILNS1_3genE0ELNS1_11target_archE4294967295ELNS1_3gpuE0ELNS1_3repE0EEENS1_30default_config_static_selectorELNS0_4arch9wavefront6targetE1EEEvS12_.numbered_sgpr, 0
	.set _ZN7rocprim17ROCPRIM_400000_NS6detail17trampoline_kernelINS0_13select_configILj256ELj13ELNS0_17block_load_methodE3ELS4_3ELS4_3ELNS0_20block_scan_algorithmE0ELj4294967295EEENS1_25partition_config_selectorILNS1_17partition_subalgoE4EjNS0_10empty_typeEbEEZZNS1_14partition_implILS8_4ELb0ES6_15HIP_vector_typeIjLj2EENS0_17counting_iteratorIjlEEPS9_SG_NS0_5tupleIJPjSI_NS0_16reverse_iteratorISI_EEEEENSH_IJSG_SG_SG_EEES9_SI_JZNS1_25segmented_radix_sort_implINS0_14default_configELb0EPKfPfPKlPlN2at6native12_GLOBAL__N_18offset_tEEE10hipError_tPvRmT1_PNSt15iterator_traitsIS12_E10value_typeET2_T3_PNS13_IS18_E10value_typeET4_jRbjT5_S1E_jjP12ihipStream_tbEUljE_ZNSN_ISO_Lb0ESQ_SR_ST_SU_SY_EESZ_S10_S11_S12_S16_S17_S18_S1B_S1C_jS1D_jS1E_S1E_jjS1G_bEUljE0_EEESZ_S10_S11_S18_S1C_S1E_T6_T7_T9_mT8_S1G_bDpT10_ENKUlT_T0_E_clISt17integral_constantIbLb1EES1U_EEDaS1P_S1Q_EUlS1P_E_NS1_11comp_targetILNS1_3genE0ELNS1_11target_archE4294967295ELNS1_3gpuE0ELNS1_3repE0EEENS1_30default_config_static_selectorELNS0_4arch9wavefront6targetE1EEEvS12_.num_named_barrier, 0
	.set _ZN7rocprim17ROCPRIM_400000_NS6detail17trampoline_kernelINS0_13select_configILj256ELj13ELNS0_17block_load_methodE3ELS4_3ELS4_3ELNS0_20block_scan_algorithmE0ELj4294967295EEENS1_25partition_config_selectorILNS1_17partition_subalgoE4EjNS0_10empty_typeEbEEZZNS1_14partition_implILS8_4ELb0ES6_15HIP_vector_typeIjLj2EENS0_17counting_iteratorIjlEEPS9_SG_NS0_5tupleIJPjSI_NS0_16reverse_iteratorISI_EEEEENSH_IJSG_SG_SG_EEES9_SI_JZNS1_25segmented_radix_sort_implINS0_14default_configELb0EPKfPfPKlPlN2at6native12_GLOBAL__N_18offset_tEEE10hipError_tPvRmT1_PNSt15iterator_traitsIS12_E10value_typeET2_T3_PNS13_IS18_E10value_typeET4_jRbjT5_S1E_jjP12ihipStream_tbEUljE_ZNSN_ISO_Lb0ESQ_SR_ST_SU_SY_EESZ_S10_S11_S12_S16_S17_S18_S1B_S1C_jS1D_jS1E_S1E_jjS1G_bEUljE0_EEESZ_S10_S11_S18_S1C_S1E_T6_T7_T9_mT8_S1G_bDpT10_ENKUlT_T0_E_clISt17integral_constantIbLb1EES1U_EEDaS1P_S1Q_EUlS1P_E_NS1_11comp_targetILNS1_3genE0ELNS1_11target_archE4294967295ELNS1_3gpuE0ELNS1_3repE0EEENS1_30default_config_static_selectorELNS0_4arch9wavefront6targetE1EEEvS12_.private_seg_size, 0
	.set _ZN7rocprim17ROCPRIM_400000_NS6detail17trampoline_kernelINS0_13select_configILj256ELj13ELNS0_17block_load_methodE3ELS4_3ELS4_3ELNS0_20block_scan_algorithmE0ELj4294967295EEENS1_25partition_config_selectorILNS1_17partition_subalgoE4EjNS0_10empty_typeEbEEZZNS1_14partition_implILS8_4ELb0ES6_15HIP_vector_typeIjLj2EENS0_17counting_iteratorIjlEEPS9_SG_NS0_5tupleIJPjSI_NS0_16reverse_iteratorISI_EEEEENSH_IJSG_SG_SG_EEES9_SI_JZNS1_25segmented_radix_sort_implINS0_14default_configELb0EPKfPfPKlPlN2at6native12_GLOBAL__N_18offset_tEEE10hipError_tPvRmT1_PNSt15iterator_traitsIS12_E10value_typeET2_T3_PNS13_IS18_E10value_typeET4_jRbjT5_S1E_jjP12ihipStream_tbEUljE_ZNSN_ISO_Lb0ESQ_SR_ST_SU_SY_EESZ_S10_S11_S12_S16_S17_S18_S1B_S1C_jS1D_jS1E_S1E_jjS1G_bEUljE0_EEESZ_S10_S11_S18_S1C_S1E_T6_T7_T9_mT8_S1G_bDpT10_ENKUlT_T0_E_clISt17integral_constantIbLb1EES1U_EEDaS1P_S1Q_EUlS1P_E_NS1_11comp_targetILNS1_3genE0ELNS1_11target_archE4294967295ELNS1_3gpuE0ELNS1_3repE0EEENS1_30default_config_static_selectorELNS0_4arch9wavefront6targetE1EEEvS12_.uses_vcc, 0
	.set _ZN7rocprim17ROCPRIM_400000_NS6detail17trampoline_kernelINS0_13select_configILj256ELj13ELNS0_17block_load_methodE3ELS4_3ELS4_3ELNS0_20block_scan_algorithmE0ELj4294967295EEENS1_25partition_config_selectorILNS1_17partition_subalgoE4EjNS0_10empty_typeEbEEZZNS1_14partition_implILS8_4ELb0ES6_15HIP_vector_typeIjLj2EENS0_17counting_iteratorIjlEEPS9_SG_NS0_5tupleIJPjSI_NS0_16reverse_iteratorISI_EEEEENSH_IJSG_SG_SG_EEES9_SI_JZNS1_25segmented_radix_sort_implINS0_14default_configELb0EPKfPfPKlPlN2at6native12_GLOBAL__N_18offset_tEEE10hipError_tPvRmT1_PNSt15iterator_traitsIS12_E10value_typeET2_T3_PNS13_IS18_E10value_typeET4_jRbjT5_S1E_jjP12ihipStream_tbEUljE_ZNSN_ISO_Lb0ESQ_SR_ST_SU_SY_EESZ_S10_S11_S12_S16_S17_S18_S1B_S1C_jS1D_jS1E_S1E_jjS1G_bEUljE0_EEESZ_S10_S11_S18_S1C_S1E_T6_T7_T9_mT8_S1G_bDpT10_ENKUlT_T0_E_clISt17integral_constantIbLb1EES1U_EEDaS1P_S1Q_EUlS1P_E_NS1_11comp_targetILNS1_3genE0ELNS1_11target_archE4294967295ELNS1_3gpuE0ELNS1_3repE0EEENS1_30default_config_static_selectorELNS0_4arch9wavefront6targetE1EEEvS12_.uses_flat_scratch, 0
	.set _ZN7rocprim17ROCPRIM_400000_NS6detail17trampoline_kernelINS0_13select_configILj256ELj13ELNS0_17block_load_methodE3ELS4_3ELS4_3ELNS0_20block_scan_algorithmE0ELj4294967295EEENS1_25partition_config_selectorILNS1_17partition_subalgoE4EjNS0_10empty_typeEbEEZZNS1_14partition_implILS8_4ELb0ES6_15HIP_vector_typeIjLj2EENS0_17counting_iteratorIjlEEPS9_SG_NS0_5tupleIJPjSI_NS0_16reverse_iteratorISI_EEEEENSH_IJSG_SG_SG_EEES9_SI_JZNS1_25segmented_radix_sort_implINS0_14default_configELb0EPKfPfPKlPlN2at6native12_GLOBAL__N_18offset_tEEE10hipError_tPvRmT1_PNSt15iterator_traitsIS12_E10value_typeET2_T3_PNS13_IS18_E10value_typeET4_jRbjT5_S1E_jjP12ihipStream_tbEUljE_ZNSN_ISO_Lb0ESQ_SR_ST_SU_SY_EESZ_S10_S11_S12_S16_S17_S18_S1B_S1C_jS1D_jS1E_S1E_jjS1G_bEUljE0_EEESZ_S10_S11_S18_S1C_S1E_T6_T7_T9_mT8_S1G_bDpT10_ENKUlT_T0_E_clISt17integral_constantIbLb1EES1U_EEDaS1P_S1Q_EUlS1P_E_NS1_11comp_targetILNS1_3genE0ELNS1_11target_archE4294967295ELNS1_3gpuE0ELNS1_3repE0EEENS1_30default_config_static_selectorELNS0_4arch9wavefront6targetE1EEEvS12_.has_dyn_sized_stack, 0
	.set _ZN7rocprim17ROCPRIM_400000_NS6detail17trampoline_kernelINS0_13select_configILj256ELj13ELNS0_17block_load_methodE3ELS4_3ELS4_3ELNS0_20block_scan_algorithmE0ELj4294967295EEENS1_25partition_config_selectorILNS1_17partition_subalgoE4EjNS0_10empty_typeEbEEZZNS1_14partition_implILS8_4ELb0ES6_15HIP_vector_typeIjLj2EENS0_17counting_iteratorIjlEEPS9_SG_NS0_5tupleIJPjSI_NS0_16reverse_iteratorISI_EEEEENSH_IJSG_SG_SG_EEES9_SI_JZNS1_25segmented_radix_sort_implINS0_14default_configELb0EPKfPfPKlPlN2at6native12_GLOBAL__N_18offset_tEEE10hipError_tPvRmT1_PNSt15iterator_traitsIS12_E10value_typeET2_T3_PNS13_IS18_E10value_typeET4_jRbjT5_S1E_jjP12ihipStream_tbEUljE_ZNSN_ISO_Lb0ESQ_SR_ST_SU_SY_EESZ_S10_S11_S12_S16_S17_S18_S1B_S1C_jS1D_jS1E_S1E_jjS1G_bEUljE0_EEESZ_S10_S11_S18_S1C_S1E_T6_T7_T9_mT8_S1G_bDpT10_ENKUlT_T0_E_clISt17integral_constantIbLb1EES1U_EEDaS1P_S1Q_EUlS1P_E_NS1_11comp_targetILNS1_3genE0ELNS1_11target_archE4294967295ELNS1_3gpuE0ELNS1_3repE0EEENS1_30default_config_static_selectorELNS0_4arch9wavefront6targetE1EEEvS12_.has_recursion, 0
	.set _ZN7rocprim17ROCPRIM_400000_NS6detail17trampoline_kernelINS0_13select_configILj256ELj13ELNS0_17block_load_methodE3ELS4_3ELS4_3ELNS0_20block_scan_algorithmE0ELj4294967295EEENS1_25partition_config_selectorILNS1_17partition_subalgoE4EjNS0_10empty_typeEbEEZZNS1_14partition_implILS8_4ELb0ES6_15HIP_vector_typeIjLj2EENS0_17counting_iteratorIjlEEPS9_SG_NS0_5tupleIJPjSI_NS0_16reverse_iteratorISI_EEEEENSH_IJSG_SG_SG_EEES9_SI_JZNS1_25segmented_radix_sort_implINS0_14default_configELb0EPKfPfPKlPlN2at6native12_GLOBAL__N_18offset_tEEE10hipError_tPvRmT1_PNSt15iterator_traitsIS12_E10value_typeET2_T3_PNS13_IS18_E10value_typeET4_jRbjT5_S1E_jjP12ihipStream_tbEUljE_ZNSN_ISO_Lb0ESQ_SR_ST_SU_SY_EESZ_S10_S11_S12_S16_S17_S18_S1B_S1C_jS1D_jS1E_S1E_jjS1G_bEUljE0_EEESZ_S10_S11_S18_S1C_S1E_T6_T7_T9_mT8_S1G_bDpT10_ENKUlT_T0_E_clISt17integral_constantIbLb1EES1U_EEDaS1P_S1Q_EUlS1P_E_NS1_11comp_targetILNS1_3genE0ELNS1_11target_archE4294967295ELNS1_3gpuE0ELNS1_3repE0EEENS1_30default_config_static_selectorELNS0_4arch9wavefront6targetE1EEEvS12_.has_indirect_call, 0
	.section	.AMDGPU.csdata,"",@progbits
; Kernel info:
; codeLenInByte = 0
; TotalNumSgprs: 4
; NumVgprs: 0
; ScratchSize: 0
; MemoryBound: 0
; FloatMode: 240
; IeeeMode: 1
; LDSByteSize: 0 bytes/workgroup (compile time only)
; SGPRBlocks: 0
; VGPRBlocks: 0
; NumSGPRsForWavesPerEU: 4
; NumVGPRsForWavesPerEU: 1
; Occupancy: 10
; WaveLimiterHint : 0
; COMPUTE_PGM_RSRC2:SCRATCH_EN: 0
; COMPUTE_PGM_RSRC2:USER_SGPR: 6
; COMPUTE_PGM_RSRC2:TRAP_HANDLER: 0
; COMPUTE_PGM_RSRC2:TGID_X_EN: 1
; COMPUTE_PGM_RSRC2:TGID_Y_EN: 0
; COMPUTE_PGM_RSRC2:TGID_Z_EN: 0
; COMPUTE_PGM_RSRC2:TIDIG_COMP_CNT: 0
	.section	.text._ZN7rocprim17ROCPRIM_400000_NS6detail17trampoline_kernelINS0_13select_configILj256ELj13ELNS0_17block_load_methodE3ELS4_3ELS4_3ELNS0_20block_scan_algorithmE0ELj4294967295EEENS1_25partition_config_selectorILNS1_17partition_subalgoE4EjNS0_10empty_typeEbEEZZNS1_14partition_implILS8_4ELb0ES6_15HIP_vector_typeIjLj2EENS0_17counting_iteratorIjlEEPS9_SG_NS0_5tupleIJPjSI_NS0_16reverse_iteratorISI_EEEEENSH_IJSG_SG_SG_EEES9_SI_JZNS1_25segmented_radix_sort_implINS0_14default_configELb0EPKfPfPKlPlN2at6native12_GLOBAL__N_18offset_tEEE10hipError_tPvRmT1_PNSt15iterator_traitsIS12_E10value_typeET2_T3_PNS13_IS18_E10value_typeET4_jRbjT5_S1E_jjP12ihipStream_tbEUljE_ZNSN_ISO_Lb0ESQ_SR_ST_SU_SY_EESZ_S10_S11_S12_S16_S17_S18_S1B_S1C_jS1D_jS1E_S1E_jjS1G_bEUljE0_EEESZ_S10_S11_S18_S1C_S1E_T6_T7_T9_mT8_S1G_bDpT10_ENKUlT_T0_E_clISt17integral_constantIbLb1EES1U_EEDaS1P_S1Q_EUlS1P_E_NS1_11comp_targetILNS1_3genE5ELNS1_11target_archE942ELNS1_3gpuE9ELNS1_3repE0EEENS1_30default_config_static_selectorELNS0_4arch9wavefront6targetE1EEEvS12_,"axG",@progbits,_ZN7rocprim17ROCPRIM_400000_NS6detail17trampoline_kernelINS0_13select_configILj256ELj13ELNS0_17block_load_methodE3ELS4_3ELS4_3ELNS0_20block_scan_algorithmE0ELj4294967295EEENS1_25partition_config_selectorILNS1_17partition_subalgoE4EjNS0_10empty_typeEbEEZZNS1_14partition_implILS8_4ELb0ES6_15HIP_vector_typeIjLj2EENS0_17counting_iteratorIjlEEPS9_SG_NS0_5tupleIJPjSI_NS0_16reverse_iteratorISI_EEEEENSH_IJSG_SG_SG_EEES9_SI_JZNS1_25segmented_radix_sort_implINS0_14default_configELb0EPKfPfPKlPlN2at6native12_GLOBAL__N_18offset_tEEE10hipError_tPvRmT1_PNSt15iterator_traitsIS12_E10value_typeET2_T3_PNS13_IS18_E10value_typeET4_jRbjT5_S1E_jjP12ihipStream_tbEUljE_ZNSN_ISO_Lb0ESQ_SR_ST_SU_SY_EESZ_S10_S11_S12_S16_S17_S18_S1B_S1C_jS1D_jS1E_S1E_jjS1G_bEUljE0_EEESZ_S10_S11_S18_S1C_S1E_T6_T7_T9_mT8_S1G_bDpT10_ENKUlT_T0_E_clISt17integral_constantIbLb1EES1U_EEDaS1P_S1Q_EUlS1P_E_NS1_11comp_targetILNS1_3genE5ELNS1_11target_archE942ELNS1_3gpuE9ELNS1_3repE0EEENS1_30default_config_static_selectorELNS0_4arch9wavefront6targetE1EEEvS12_,comdat
	.globl	_ZN7rocprim17ROCPRIM_400000_NS6detail17trampoline_kernelINS0_13select_configILj256ELj13ELNS0_17block_load_methodE3ELS4_3ELS4_3ELNS0_20block_scan_algorithmE0ELj4294967295EEENS1_25partition_config_selectorILNS1_17partition_subalgoE4EjNS0_10empty_typeEbEEZZNS1_14partition_implILS8_4ELb0ES6_15HIP_vector_typeIjLj2EENS0_17counting_iteratorIjlEEPS9_SG_NS0_5tupleIJPjSI_NS0_16reverse_iteratorISI_EEEEENSH_IJSG_SG_SG_EEES9_SI_JZNS1_25segmented_radix_sort_implINS0_14default_configELb0EPKfPfPKlPlN2at6native12_GLOBAL__N_18offset_tEEE10hipError_tPvRmT1_PNSt15iterator_traitsIS12_E10value_typeET2_T3_PNS13_IS18_E10value_typeET4_jRbjT5_S1E_jjP12ihipStream_tbEUljE_ZNSN_ISO_Lb0ESQ_SR_ST_SU_SY_EESZ_S10_S11_S12_S16_S17_S18_S1B_S1C_jS1D_jS1E_S1E_jjS1G_bEUljE0_EEESZ_S10_S11_S18_S1C_S1E_T6_T7_T9_mT8_S1G_bDpT10_ENKUlT_T0_E_clISt17integral_constantIbLb1EES1U_EEDaS1P_S1Q_EUlS1P_E_NS1_11comp_targetILNS1_3genE5ELNS1_11target_archE942ELNS1_3gpuE9ELNS1_3repE0EEENS1_30default_config_static_selectorELNS0_4arch9wavefront6targetE1EEEvS12_ ; -- Begin function _ZN7rocprim17ROCPRIM_400000_NS6detail17trampoline_kernelINS0_13select_configILj256ELj13ELNS0_17block_load_methodE3ELS4_3ELS4_3ELNS0_20block_scan_algorithmE0ELj4294967295EEENS1_25partition_config_selectorILNS1_17partition_subalgoE4EjNS0_10empty_typeEbEEZZNS1_14partition_implILS8_4ELb0ES6_15HIP_vector_typeIjLj2EENS0_17counting_iteratorIjlEEPS9_SG_NS0_5tupleIJPjSI_NS0_16reverse_iteratorISI_EEEEENSH_IJSG_SG_SG_EEES9_SI_JZNS1_25segmented_radix_sort_implINS0_14default_configELb0EPKfPfPKlPlN2at6native12_GLOBAL__N_18offset_tEEE10hipError_tPvRmT1_PNSt15iterator_traitsIS12_E10value_typeET2_T3_PNS13_IS18_E10value_typeET4_jRbjT5_S1E_jjP12ihipStream_tbEUljE_ZNSN_ISO_Lb0ESQ_SR_ST_SU_SY_EESZ_S10_S11_S12_S16_S17_S18_S1B_S1C_jS1D_jS1E_S1E_jjS1G_bEUljE0_EEESZ_S10_S11_S18_S1C_S1E_T6_T7_T9_mT8_S1G_bDpT10_ENKUlT_T0_E_clISt17integral_constantIbLb1EES1U_EEDaS1P_S1Q_EUlS1P_E_NS1_11comp_targetILNS1_3genE5ELNS1_11target_archE942ELNS1_3gpuE9ELNS1_3repE0EEENS1_30default_config_static_selectorELNS0_4arch9wavefront6targetE1EEEvS12_
	.p2align	8
	.type	_ZN7rocprim17ROCPRIM_400000_NS6detail17trampoline_kernelINS0_13select_configILj256ELj13ELNS0_17block_load_methodE3ELS4_3ELS4_3ELNS0_20block_scan_algorithmE0ELj4294967295EEENS1_25partition_config_selectorILNS1_17partition_subalgoE4EjNS0_10empty_typeEbEEZZNS1_14partition_implILS8_4ELb0ES6_15HIP_vector_typeIjLj2EENS0_17counting_iteratorIjlEEPS9_SG_NS0_5tupleIJPjSI_NS0_16reverse_iteratorISI_EEEEENSH_IJSG_SG_SG_EEES9_SI_JZNS1_25segmented_radix_sort_implINS0_14default_configELb0EPKfPfPKlPlN2at6native12_GLOBAL__N_18offset_tEEE10hipError_tPvRmT1_PNSt15iterator_traitsIS12_E10value_typeET2_T3_PNS13_IS18_E10value_typeET4_jRbjT5_S1E_jjP12ihipStream_tbEUljE_ZNSN_ISO_Lb0ESQ_SR_ST_SU_SY_EESZ_S10_S11_S12_S16_S17_S18_S1B_S1C_jS1D_jS1E_S1E_jjS1G_bEUljE0_EEESZ_S10_S11_S18_S1C_S1E_T6_T7_T9_mT8_S1G_bDpT10_ENKUlT_T0_E_clISt17integral_constantIbLb1EES1U_EEDaS1P_S1Q_EUlS1P_E_NS1_11comp_targetILNS1_3genE5ELNS1_11target_archE942ELNS1_3gpuE9ELNS1_3repE0EEENS1_30default_config_static_selectorELNS0_4arch9wavefront6targetE1EEEvS12_,@function
_ZN7rocprim17ROCPRIM_400000_NS6detail17trampoline_kernelINS0_13select_configILj256ELj13ELNS0_17block_load_methodE3ELS4_3ELS4_3ELNS0_20block_scan_algorithmE0ELj4294967295EEENS1_25partition_config_selectorILNS1_17partition_subalgoE4EjNS0_10empty_typeEbEEZZNS1_14partition_implILS8_4ELb0ES6_15HIP_vector_typeIjLj2EENS0_17counting_iteratorIjlEEPS9_SG_NS0_5tupleIJPjSI_NS0_16reverse_iteratorISI_EEEEENSH_IJSG_SG_SG_EEES9_SI_JZNS1_25segmented_radix_sort_implINS0_14default_configELb0EPKfPfPKlPlN2at6native12_GLOBAL__N_18offset_tEEE10hipError_tPvRmT1_PNSt15iterator_traitsIS12_E10value_typeET2_T3_PNS13_IS18_E10value_typeET4_jRbjT5_S1E_jjP12ihipStream_tbEUljE_ZNSN_ISO_Lb0ESQ_SR_ST_SU_SY_EESZ_S10_S11_S12_S16_S17_S18_S1B_S1C_jS1D_jS1E_S1E_jjS1G_bEUljE0_EEESZ_S10_S11_S18_S1C_S1E_T6_T7_T9_mT8_S1G_bDpT10_ENKUlT_T0_E_clISt17integral_constantIbLb1EES1U_EEDaS1P_S1Q_EUlS1P_E_NS1_11comp_targetILNS1_3genE5ELNS1_11target_archE942ELNS1_3gpuE9ELNS1_3repE0EEENS1_30default_config_static_selectorELNS0_4arch9wavefront6targetE1EEEvS12_: ; @_ZN7rocprim17ROCPRIM_400000_NS6detail17trampoline_kernelINS0_13select_configILj256ELj13ELNS0_17block_load_methodE3ELS4_3ELS4_3ELNS0_20block_scan_algorithmE0ELj4294967295EEENS1_25partition_config_selectorILNS1_17partition_subalgoE4EjNS0_10empty_typeEbEEZZNS1_14partition_implILS8_4ELb0ES6_15HIP_vector_typeIjLj2EENS0_17counting_iteratorIjlEEPS9_SG_NS0_5tupleIJPjSI_NS0_16reverse_iteratorISI_EEEEENSH_IJSG_SG_SG_EEES9_SI_JZNS1_25segmented_radix_sort_implINS0_14default_configELb0EPKfPfPKlPlN2at6native12_GLOBAL__N_18offset_tEEE10hipError_tPvRmT1_PNSt15iterator_traitsIS12_E10value_typeET2_T3_PNS13_IS18_E10value_typeET4_jRbjT5_S1E_jjP12ihipStream_tbEUljE_ZNSN_ISO_Lb0ESQ_SR_ST_SU_SY_EESZ_S10_S11_S12_S16_S17_S18_S1B_S1C_jS1D_jS1E_S1E_jjS1G_bEUljE0_EEESZ_S10_S11_S18_S1C_S1E_T6_T7_T9_mT8_S1G_bDpT10_ENKUlT_T0_E_clISt17integral_constantIbLb1EES1U_EEDaS1P_S1Q_EUlS1P_E_NS1_11comp_targetILNS1_3genE5ELNS1_11target_archE942ELNS1_3gpuE9ELNS1_3repE0EEENS1_30default_config_static_selectorELNS0_4arch9wavefront6targetE1EEEvS12_
; %bb.0:
	.section	.rodata,"a",@progbits
	.p2align	6, 0x0
	.amdhsa_kernel _ZN7rocprim17ROCPRIM_400000_NS6detail17trampoline_kernelINS0_13select_configILj256ELj13ELNS0_17block_load_methodE3ELS4_3ELS4_3ELNS0_20block_scan_algorithmE0ELj4294967295EEENS1_25partition_config_selectorILNS1_17partition_subalgoE4EjNS0_10empty_typeEbEEZZNS1_14partition_implILS8_4ELb0ES6_15HIP_vector_typeIjLj2EENS0_17counting_iteratorIjlEEPS9_SG_NS0_5tupleIJPjSI_NS0_16reverse_iteratorISI_EEEEENSH_IJSG_SG_SG_EEES9_SI_JZNS1_25segmented_radix_sort_implINS0_14default_configELb0EPKfPfPKlPlN2at6native12_GLOBAL__N_18offset_tEEE10hipError_tPvRmT1_PNSt15iterator_traitsIS12_E10value_typeET2_T3_PNS13_IS18_E10value_typeET4_jRbjT5_S1E_jjP12ihipStream_tbEUljE_ZNSN_ISO_Lb0ESQ_SR_ST_SU_SY_EESZ_S10_S11_S12_S16_S17_S18_S1B_S1C_jS1D_jS1E_S1E_jjS1G_bEUljE0_EEESZ_S10_S11_S18_S1C_S1E_T6_T7_T9_mT8_S1G_bDpT10_ENKUlT_T0_E_clISt17integral_constantIbLb1EES1U_EEDaS1P_S1Q_EUlS1P_E_NS1_11comp_targetILNS1_3genE5ELNS1_11target_archE942ELNS1_3gpuE9ELNS1_3repE0EEENS1_30default_config_static_selectorELNS0_4arch9wavefront6targetE1EEEvS12_
		.amdhsa_group_segment_fixed_size 0
		.amdhsa_private_segment_fixed_size 0
		.amdhsa_kernarg_size 184
		.amdhsa_user_sgpr_count 6
		.amdhsa_user_sgpr_private_segment_buffer 1
		.amdhsa_user_sgpr_dispatch_ptr 0
		.amdhsa_user_sgpr_queue_ptr 0
		.amdhsa_user_sgpr_kernarg_segment_ptr 1
		.amdhsa_user_sgpr_dispatch_id 0
		.amdhsa_user_sgpr_flat_scratch_init 0
		.amdhsa_user_sgpr_private_segment_size 0
		.amdhsa_uses_dynamic_stack 0
		.amdhsa_system_sgpr_private_segment_wavefront_offset 0
		.amdhsa_system_sgpr_workgroup_id_x 1
		.amdhsa_system_sgpr_workgroup_id_y 0
		.amdhsa_system_sgpr_workgroup_id_z 0
		.amdhsa_system_sgpr_workgroup_info 0
		.amdhsa_system_vgpr_workitem_id 0
		.amdhsa_next_free_vgpr 1
		.amdhsa_next_free_sgpr 0
		.amdhsa_reserve_vcc 0
		.amdhsa_reserve_flat_scratch 0
		.amdhsa_float_round_mode_32 0
		.amdhsa_float_round_mode_16_64 0
		.amdhsa_float_denorm_mode_32 3
		.amdhsa_float_denorm_mode_16_64 3
		.amdhsa_dx10_clamp 1
		.amdhsa_ieee_mode 1
		.amdhsa_fp16_overflow 0
		.amdhsa_exception_fp_ieee_invalid_op 0
		.amdhsa_exception_fp_denorm_src 0
		.amdhsa_exception_fp_ieee_div_zero 0
		.amdhsa_exception_fp_ieee_overflow 0
		.amdhsa_exception_fp_ieee_underflow 0
		.amdhsa_exception_fp_ieee_inexact 0
		.amdhsa_exception_int_div_zero 0
	.end_amdhsa_kernel
	.section	.text._ZN7rocprim17ROCPRIM_400000_NS6detail17trampoline_kernelINS0_13select_configILj256ELj13ELNS0_17block_load_methodE3ELS4_3ELS4_3ELNS0_20block_scan_algorithmE0ELj4294967295EEENS1_25partition_config_selectorILNS1_17partition_subalgoE4EjNS0_10empty_typeEbEEZZNS1_14partition_implILS8_4ELb0ES6_15HIP_vector_typeIjLj2EENS0_17counting_iteratorIjlEEPS9_SG_NS0_5tupleIJPjSI_NS0_16reverse_iteratorISI_EEEEENSH_IJSG_SG_SG_EEES9_SI_JZNS1_25segmented_radix_sort_implINS0_14default_configELb0EPKfPfPKlPlN2at6native12_GLOBAL__N_18offset_tEEE10hipError_tPvRmT1_PNSt15iterator_traitsIS12_E10value_typeET2_T3_PNS13_IS18_E10value_typeET4_jRbjT5_S1E_jjP12ihipStream_tbEUljE_ZNSN_ISO_Lb0ESQ_SR_ST_SU_SY_EESZ_S10_S11_S12_S16_S17_S18_S1B_S1C_jS1D_jS1E_S1E_jjS1G_bEUljE0_EEESZ_S10_S11_S18_S1C_S1E_T6_T7_T9_mT8_S1G_bDpT10_ENKUlT_T0_E_clISt17integral_constantIbLb1EES1U_EEDaS1P_S1Q_EUlS1P_E_NS1_11comp_targetILNS1_3genE5ELNS1_11target_archE942ELNS1_3gpuE9ELNS1_3repE0EEENS1_30default_config_static_selectorELNS0_4arch9wavefront6targetE1EEEvS12_,"axG",@progbits,_ZN7rocprim17ROCPRIM_400000_NS6detail17trampoline_kernelINS0_13select_configILj256ELj13ELNS0_17block_load_methodE3ELS4_3ELS4_3ELNS0_20block_scan_algorithmE0ELj4294967295EEENS1_25partition_config_selectorILNS1_17partition_subalgoE4EjNS0_10empty_typeEbEEZZNS1_14partition_implILS8_4ELb0ES6_15HIP_vector_typeIjLj2EENS0_17counting_iteratorIjlEEPS9_SG_NS0_5tupleIJPjSI_NS0_16reverse_iteratorISI_EEEEENSH_IJSG_SG_SG_EEES9_SI_JZNS1_25segmented_radix_sort_implINS0_14default_configELb0EPKfPfPKlPlN2at6native12_GLOBAL__N_18offset_tEEE10hipError_tPvRmT1_PNSt15iterator_traitsIS12_E10value_typeET2_T3_PNS13_IS18_E10value_typeET4_jRbjT5_S1E_jjP12ihipStream_tbEUljE_ZNSN_ISO_Lb0ESQ_SR_ST_SU_SY_EESZ_S10_S11_S12_S16_S17_S18_S1B_S1C_jS1D_jS1E_S1E_jjS1G_bEUljE0_EEESZ_S10_S11_S18_S1C_S1E_T6_T7_T9_mT8_S1G_bDpT10_ENKUlT_T0_E_clISt17integral_constantIbLb1EES1U_EEDaS1P_S1Q_EUlS1P_E_NS1_11comp_targetILNS1_3genE5ELNS1_11target_archE942ELNS1_3gpuE9ELNS1_3repE0EEENS1_30default_config_static_selectorELNS0_4arch9wavefront6targetE1EEEvS12_,comdat
.Lfunc_end1373:
	.size	_ZN7rocprim17ROCPRIM_400000_NS6detail17trampoline_kernelINS0_13select_configILj256ELj13ELNS0_17block_load_methodE3ELS4_3ELS4_3ELNS0_20block_scan_algorithmE0ELj4294967295EEENS1_25partition_config_selectorILNS1_17partition_subalgoE4EjNS0_10empty_typeEbEEZZNS1_14partition_implILS8_4ELb0ES6_15HIP_vector_typeIjLj2EENS0_17counting_iteratorIjlEEPS9_SG_NS0_5tupleIJPjSI_NS0_16reverse_iteratorISI_EEEEENSH_IJSG_SG_SG_EEES9_SI_JZNS1_25segmented_radix_sort_implINS0_14default_configELb0EPKfPfPKlPlN2at6native12_GLOBAL__N_18offset_tEEE10hipError_tPvRmT1_PNSt15iterator_traitsIS12_E10value_typeET2_T3_PNS13_IS18_E10value_typeET4_jRbjT5_S1E_jjP12ihipStream_tbEUljE_ZNSN_ISO_Lb0ESQ_SR_ST_SU_SY_EESZ_S10_S11_S12_S16_S17_S18_S1B_S1C_jS1D_jS1E_S1E_jjS1G_bEUljE0_EEESZ_S10_S11_S18_S1C_S1E_T6_T7_T9_mT8_S1G_bDpT10_ENKUlT_T0_E_clISt17integral_constantIbLb1EES1U_EEDaS1P_S1Q_EUlS1P_E_NS1_11comp_targetILNS1_3genE5ELNS1_11target_archE942ELNS1_3gpuE9ELNS1_3repE0EEENS1_30default_config_static_selectorELNS0_4arch9wavefront6targetE1EEEvS12_, .Lfunc_end1373-_ZN7rocprim17ROCPRIM_400000_NS6detail17trampoline_kernelINS0_13select_configILj256ELj13ELNS0_17block_load_methodE3ELS4_3ELS4_3ELNS0_20block_scan_algorithmE0ELj4294967295EEENS1_25partition_config_selectorILNS1_17partition_subalgoE4EjNS0_10empty_typeEbEEZZNS1_14partition_implILS8_4ELb0ES6_15HIP_vector_typeIjLj2EENS0_17counting_iteratorIjlEEPS9_SG_NS0_5tupleIJPjSI_NS0_16reverse_iteratorISI_EEEEENSH_IJSG_SG_SG_EEES9_SI_JZNS1_25segmented_radix_sort_implINS0_14default_configELb0EPKfPfPKlPlN2at6native12_GLOBAL__N_18offset_tEEE10hipError_tPvRmT1_PNSt15iterator_traitsIS12_E10value_typeET2_T3_PNS13_IS18_E10value_typeET4_jRbjT5_S1E_jjP12ihipStream_tbEUljE_ZNSN_ISO_Lb0ESQ_SR_ST_SU_SY_EESZ_S10_S11_S12_S16_S17_S18_S1B_S1C_jS1D_jS1E_S1E_jjS1G_bEUljE0_EEESZ_S10_S11_S18_S1C_S1E_T6_T7_T9_mT8_S1G_bDpT10_ENKUlT_T0_E_clISt17integral_constantIbLb1EES1U_EEDaS1P_S1Q_EUlS1P_E_NS1_11comp_targetILNS1_3genE5ELNS1_11target_archE942ELNS1_3gpuE9ELNS1_3repE0EEENS1_30default_config_static_selectorELNS0_4arch9wavefront6targetE1EEEvS12_
                                        ; -- End function
	.set _ZN7rocprim17ROCPRIM_400000_NS6detail17trampoline_kernelINS0_13select_configILj256ELj13ELNS0_17block_load_methodE3ELS4_3ELS4_3ELNS0_20block_scan_algorithmE0ELj4294967295EEENS1_25partition_config_selectorILNS1_17partition_subalgoE4EjNS0_10empty_typeEbEEZZNS1_14partition_implILS8_4ELb0ES6_15HIP_vector_typeIjLj2EENS0_17counting_iteratorIjlEEPS9_SG_NS0_5tupleIJPjSI_NS0_16reverse_iteratorISI_EEEEENSH_IJSG_SG_SG_EEES9_SI_JZNS1_25segmented_radix_sort_implINS0_14default_configELb0EPKfPfPKlPlN2at6native12_GLOBAL__N_18offset_tEEE10hipError_tPvRmT1_PNSt15iterator_traitsIS12_E10value_typeET2_T3_PNS13_IS18_E10value_typeET4_jRbjT5_S1E_jjP12ihipStream_tbEUljE_ZNSN_ISO_Lb0ESQ_SR_ST_SU_SY_EESZ_S10_S11_S12_S16_S17_S18_S1B_S1C_jS1D_jS1E_S1E_jjS1G_bEUljE0_EEESZ_S10_S11_S18_S1C_S1E_T6_T7_T9_mT8_S1G_bDpT10_ENKUlT_T0_E_clISt17integral_constantIbLb1EES1U_EEDaS1P_S1Q_EUlS1P_E_NS1_11comp_targetILNS1_3genE5ELNS1_11target_archE942ELNS1_3gpuE9ELNS1_3repE0EEENS1_30default_config_static_selectorELNS0_4arch9wavefront6targetE1EEEvS12_.num_vgpr, 0
	.set _ZN7rocprim17ROCPRIM_400000_NS6detail17trampoline_kernelINS0_13select_configILj256ELj13ELNS0_17block_load_methodE3ELS4_3ELS4_3ELNS0_20block_scan_algorithmE0ELj4294967295EEENS1_25partition_config_selectorILNS1_17partition_subalgoE4EjNS0_10empty_typeEbEEZZNS1_14partition_implILS8_4ELb0ES6_15HIP_vector_typeIjLj2EENS0_17counting_iteratorIjlEEPS9_SG_NS0_5tupleIJPjSI_NS0_16reverse_iteratorISI_EEEEENSH_IJSG_SG_SG_EEES9_SI_JZNS1_25segmented_radix_sort_implINS0_14default_configELb0EPKfPfPKlPlN2at6native12_GLOBAL__N_18offset_tEEE10hipError_tPvRmT1_PNSt15iterator_traitsIS12_E10value_typeET2_T3_PNS13_IS18_E10value_typeET4_jRbjT5_S1E_jjP12ihipStream_tbEUljE_ZNSN_ISO_Lb0ESQ_SR_ST_SU_SY_EESZ_S10_S11_S12_S16_S17_S18_S1B_S1C_jS1D_jS1E_S1E_jjS1G_bEUljE0_EEESZ_S10_S11_S18_S1C_S1E_T6_T7_T9_mT8_S1G_bDpT10_ENKUlT_T0_E_clISt17integral_constantIbLb1EES1U_EEDaS1P_S1Q_EUlS1P_E_NS1_11comp_targetILNS1_3genE5ELNS1_11target_archE942ELNS1_3gpuE9ELNS1_3repE0EEENS1_30default_config_static_selectorELNS0_4arch9wavefront6targetE1EEEvS12_.num_agpr, 0
	.set _ZN7rocprim17ROCPRIM_400000_NS6detail17trampoline_kernelINS0_13select_configILj256ELj13ELNS0_17block_load_methodE3ELS4_3ELS4_3ELNS0_20block_scan_algorithmE0ELj4294967295EEENS1_25partition_config_selectorILNS1_17partition_subalgoE4EjNS0_10empty_typeEbEEZZNS1_14partition_implILS8_4ELb0ES6_15HIP_vector_typeIjLj2EENS0_17counting_iteratorIjlEEPS9_SG_NS0_5tupleIJPjSI_NS0_16reverse_iteratorISI_EEEEENSH_IJSG_SG_SG_EEES9_SI_JZNS1_25segmented_radix_sort_implINS0_14default_configELb0EPKfPfPKlPlN2at6native12_GLOBAL__N_18offset_tEEE10hipError_tPvRmT1_PNSt15iterator_traitsIS12_E10value_typeET2_T3_PNS13_IS18_E10value_typeET4_jRbjT5_S1E_jjP12ihipStream_tbEUljE_ZNSN_ISO_Lb0ESQ_SR_ST_SU_SY_EESZ_S10_S11_S12_S16_S17_S18_S1B_S1C_jS1D_jS1E_S1E_jjS1G_bEUljE0_EEESZ_S10_S11_S18_S1C_S1E_T6_T7_T9_mT8_S1G_bDpT10_ENKUlT_T0_E_clISt17integral_constantIbLb1EES1U_EEDaS1P_S1Q_EUlS1P_E_NS1_11comp_targetILNS1_3genE5ELNS1_11target_archE942ELNS1_3gpuE9ELNS1_3repE0EEENS1_30default_config_static_selectorELNS0_4arch9wavefront6targetE1EEEvS12_.numbered_sgpr, 0
	.set _ZN7rocprim17ROCPRIM_400000_NS6detail17trampoline_kernelINS0_13select_configILj256ELj13ELNS0_17block_load_methodE3ELS4_3ELS4_3ELNS0_20block_scan_algorithmE0ELj4294967295EEENS1_25partition_config_selectorILNS1_17partition_subalgoE4EjNS0_10empty_typeEbEEZZNS1_14partition_implILS8_4ELb0ES6_15HIP_vector_typeIjLj2EENS0_17counting_iteratorIjlEEPS9_SG_NS0_5tupleIJPjSI_NS0_16reverse_iteratorISI_EEEEENSH_IJSG_SG_SG_EEES9_SI_JZNS1_25segmented_radix_sort_implINS0_14default_configELb0EPKfPfPKlPlN2at6native12_GLOBAL__N_18offset_tEEE10hipError_tPvRmT1_PNSt15iterator_traitsIS12_E10value_typeET2_T3_PNS13_IS18_E10value_typeET4_jRbjT5_S1E_jjP12ihipStream_tbEUljE_ZNSN_ISO_Lb0ESQ_SR_ST_SU_SY_EESZ_S10_S11_S12_S16_S17_S18_S1B_S1C_jS1D_jS1E_S1E_jjS1G_bEUljE0_EEESZ_S10_S11_S18_S1C_S1E_T6_T7_T9_mT8_S1G_bDpT10_ENKUlT_T0_E_clISt17integral_constantIbLb1EES1U_EEDaS1P_S1Q_EUlS1P_E_NS1_11comp_targetILNS1_3genE5ELNS1_11target_archE942ELNS1_3gpuE9ELNS1_3repE0EEENS1_30default_config_static_selectorELNS0_4arch9wavefront6targetE1EEEvS12_.num_named_barrier, 0
	.set _ZN7rocprim17ROCPRIM_400000_NS6detail17trampoline_kernelINS0_13select_configILj256ELj13ELNS0_17block_load_methodE3ELS4_3ELS4_3ELNS0_20block_scan_algorithmE0ELj4294967295EEENS1_25partition_config_selectorILNS1_17partition_subalgoE4EjNS0_10empty_typeEbEEZZNS1_14partition_implILS8_4ELb0ES6_15HIP_vector_typeIjLj2EENS0_17counting_iteratorIjlEEPS9_SG_NS0_5tupleIJPjSI_NS0_16reverse_iteratorISI_EEEEENSH_IJSG_SG_SG_EEES9_SI_JZNS1_25segmented_radix_sort_implINS0_14default_configELb0EPKfPfPKlPlN2at6native12_GLOBAL__N_18offset_tEEE10hipError_tPvRmT1_PNSt15iterator_traitsIS12_E10value_typeET2_T3_PNS13_IS18_E10value_typeET4_jRbjT5_S1E_jjP12ihipStream_tbEUljE_ZNSN_ISO_Lb0ESQ_SR_ST_SU_SY_EESZ_S10_S11_S12_S16_S17_S18_S1B_S1C_jS1D_jS1E_S1E_jjS1G_bEUljE0_EEESZ_S10_S11_S18_S1C_S1E_T6_T7_T9_mT8_S1G_bDpT10_ENKUlT_T0_E_clISt17integral_constantIbLb1EES1U_EEDaS1P_S1Q_EUlS1P_E_NS1_11comp_targetILNS1_3genE5ELNS1_11target_archE942ELNS1_3gpuE9ELNS1_3repE0EEENS1_30default_config_static_selectorELNS0_4arch9wavefront6targetE1EEEvS12_.private_seg_size, 0
	.set _ZN7rocprim17ROCPRIM_400000_NS6detail17trampoline_kernelINS0_13select_configILj256ELj13ELNS0_17block_load_methodE3ELS4_3ELS4_3ELNS0_20block_scan_algorithmE0ELj4294967295EEENS1_25partition_config_selectorILNS1_17partition_subalgoE4EjNS0_10empty_typeEbEEZZNS1_14partition_implILS8_4ELb0ES6_15HIP_vector_typeIjLj2EENS0_17counting_iteratorIjlEEPS9_SG_NS0_5tupleIJPjSI_NS0_16reverse_iteratorISI_EEEEENSH_IJSG_SG_SG_EEES9_SI_JZNS1_25segmented_radix_sort_implINS0_14default_configELb0EPKfPfPKlPlN2at6native12_GLOBAL__N_18offset_tEEE10hipError_tPvRmT1_PNSt15iterator_traitsIS12_E10value_typeET2_T3_PNS13_IS18_E10value_typeET4_jRbjT5_S1E_jjP12ihipStream_tbEUljE_ZNSN_ISO_Lb0ESQ_SR_ST_SU_SY_EESZ_S10_S11_S12_S16_S17_S18_S1B_S1C_jS1D_jS1E_S1E_jjS1G_bEUljE0_EEESZ_S10_S11_S18_S1C_S1E_T6_T7_T9_mT8_S1G_bDpT10_ENKUlT_T0_E_clISt17integral_constantIbLb1EES1U_EEDaS1P_S1Q_EUlS1P_E_NS1_11comp_targetILNS1_3genE5ELNS1_11target_archE942ELNS1_3gpuE9ELNS1_3repE0EEENS1_30default_config_static_selectorELNS0_4arch9wavefront6targetE1EEEvS12_.uses_vcc, 0
	.set _ZN7rocprim17ROCPRIM_400000_NS6detail17trampoline_kernelINS0_13select_configILj256ELj13ELNS0_17block_load_methodE3ELS4_3ELS4_3ELNS0_20block_scan_algorithmE0ELj4294967295EEENS1_25partition_config_selectorILNS1_17partition_subalgoE4EjNS0_10empty_typeEbEEZZNS1_14partition_implILS8_4ELb0ES6_15HIP_vector_typeIjLj2EENS0_17counting_iteratorIjlEEPS9_SG_NS0_5tupleIJPjSI_NS0_16reverse_iteratorISI_EEEEENSH_IJSG_SG_SG_EEES9_SI_JZNS1_25segmented_radix_sort_implINS0_14default_configELb0EPKfPfPKlPlN2at6native12_GLOBAL__N_18offset_tEEE10hipError_tPvRmT1_PNSt15iterator_traitsIS12_E10value_typeET2_T3_PNS13_IS18_E10value_typeET4_jRbjT5_S1E_jjP12ihipStream_tbEUljE_ZNSN_ISO_Lb0ESQ_SR_ST_SU_SY_EESZ_S10_S11_S12_S16_S17_S18_S1B_S1C_jS1D_jS1E_S1E_jjS1G_bEUljE0_EEESZ_S10_S11_S18_S1C_S1E_T6_T7_T9_mT8_S1G_bDpT10_ENKUlT_T0_E_clISt17integral_constantIbLb1EES1U_EEDaS1P_S1Q_EUlS1P_E_NS1_11comp_targetILNS1_3genE5ELNS1_11target_archE942ELNS1_3gpuE9ELNS1_3repE0EEENS1_30default_config_static_selectorELNS0_4arch9wavefront6targetE1EEEvS12_.uses_flat_scratch, 0
	.set _ZN7rocprim17ROCPRIM_400000_NS6detail17trampoline_kernelINS0_13select_configILj256ELj13ELNS0_17block_load_methodE3ELS4_3ELS4_3ELNS0_20block_scan_algorithmE0ELj4294967295EEENS1_25partition_config_selectorILNS1_17partition_subalgoE4EjNS0_10empty_typeEbEEZZNS1_14partition_implILS8_4ELb0ES6_15HIP_vector_typeIjLj2EENS0_17counting_iteratorIjlEEPS9_SG_NS0_5tupleIJPjSI_NS0_16reverse_iteratorISI_EEEEENSH_IJSG_SG_SG_EEES9_SI_JZNS1_25segmented_radix_sort_implINS0_14default_configELb0EPKfPfPKlPlN2at6native12_GLOBAL__N_18offset_tEEE10hipError_tPvRmT1_PNSt15iterator_traitsIS12_E10value_typeET2_T3_PNS13_IS18_E10value_typeET4_jRbjT5_S1E_jjP12ihipStream_tbEUljE_ZNSN_ISO_Lb0ESQ_SR_ST_SU_SY_EESZ_S10_S11_S12_S16_S17_S18_S1B_S1C_jS1D_jS1E_S1E_jjS1G_bEUljE0_EEESZ_S10_S11_S18_S1C_S1E_T6_T7_T9_mT8_S1G_bDpT10_ENKUlT_T0_E_clISt17integral_constantIbLb1EES1U_EEDaS1P_S1Q_EUlS1P_E_NS1_11comp_targetILNS1_3genE5ELNS1_11target_archE942ELNS1_3gpuE9ELNS1_3repE0EEENS1_30default_config_static_selectorELNS0_4arch9wavefront6targetE1EEEvS12_.has_dyn_sized_stack, 0
	.set _ZN7rocprim17ROCPRIM_400000_NS6detail17trampoline_kernelINS0_13select_configILj256ELj13ELNS0_17block_load_methodE3ELS4_3ELS4_3ELNS0_20block_scan_algorithmE0ELj4294967295EEENS1_25partition_config_selectorILNS1_17partition_subalgoE4EjNS0_10empty_typeEbEEZZNS1_14partition_implILS8_4ELb0ES6_15HIP_vector_typeIjLj2EENS0_17counting_iteratorIjlEEPS9_SG_NS0_5tupleIJPjSI_NS0_16reverse_iteratorISI_EEEEENSH_IJSG_SG_SG_EEES9_SI_JZNS1_25segmented_radix_sort_implINS0_14default_configELb0EPKfPfPKlPlN2at6native12_GLOBAL__N_18offset_tEEE10hipError_tPvRmT1_PNSt15iterator_traitsIS12_E10value_typeET2_T3_PNS13_IS18_E10value_typeET4_jRbjT5_S1E_jjP12ihipStream_tbEUljE_ZNSN_ISO_Lb0ESQ_SR_ST_SU_SY_EESZ_S10_S11_S12_S16_S17_S18_S1B_S1C_jS1D_jS1E_S1E_jjS1G_bEUljE0_EEESZ_S10_S11_S18_S1C_S1E_T6_T7_T9_mT8_S1G_bDpT10_ENKUlT_T0_E_clISt17integral_constantIbLb1EES1U_EEDaS1P_S1Q_EUlS1P_E_NS1_11comp_targetILNS1_3genE5ELNS1_11target_archE942ELNS1_3gpuE9ELNS1_3repE0EEENS1_30default_config_static_selectorELNS0_4arch9wavefront6targetE1EEEvS12_.has_recursion, 0
	.set _ZN7rocprim17ROCPRIM_400000_NS6detail17trampoline_kernelINS0_13select_configILj256ELj13ELNS0_17block_load_methodE3ELS4_3ELS4_3ELNS0_20block_scan_algorithmE0ELj4294967295EEENS1_25partition_config_selectorILNS1_17partition_subalgoE4EjNS0_10empty_typeEbEEZZNS1_14partition_implILS8_4ELb0ES6_15HIP_vector_typeIjLj2EENS0_17counting_iteratorIjlEEPS9_SG_NS0_5tupleIJPjSI_NS0_16reverse_iteratorISI_EEEEENSH_IJSG_SG_SG_EEES9_SI_JZNS1_25segmented_radix_sort_implINS0_14default_configELb0EPKfPfPKlPlN2at6native12_GLOBAL__N_18offset_tEEE10hipError_tPvRmT1_PNSt15iterator_traitsIS12_E10value_typeET2_T3_PNS13_IS18_E10value_typeET4_jRbjT5_S1E_jjP12ihipStream_tbEUljE_ZNSN_ISO_Lb0ESQ_SR_ST_SU_SY_EESZ_S10_S11_S12_S16_S17_S18_S1B_S1C_jS1D_jS1E_S1E_jjS1G_bEUljE0_EEESZ_S10_S11_S18_S1C_S1E_T6_T7_T9_mT8_S1G_bDpT10_ENKUlT_T0_E_clISt17integral_constantIbLb1EES1U_EEDaS1P_S1Q_EUlS1P_E_NS1_11comp_targetILNS1_3genE5ELNS1_11target_archE942ELNS1_3gpuE9ELNS1_3repE0EEENS1_30default_config_static_selectorELNS0_4arch9wavefront6targetE1EEEvS12_.has_indirect_call, 0
	.section	.AMDGPU.csdata,"",@progbits
; Kernel info:
; codeLenInByte = 0
; TotalNumSgprs: 4
; NumVgprs: 0
; ScratchSize: 0
; MemoryBound: 0
; FloatMode: 240
; IeeeMode: 1
; LDSByteSize: 0 bytes/workgroup (compile time only)
; SGPRBlocks: 0
; VGPRBlocks: 0
; NumSGPRsForWavesPerEU: 4
; NumVGPRsForWavesPerEU: 1
; Occupancy: 10
; WaveLimiterHint : 0
; COMPUTE_PGM_RSRC2:SCRATCH_EN: 0
; COMPUTE_PGM_RSRC2:USER_SGPR: 6
; COMPUTE_PGM_RSRC2:TRAP_HANDLER: 0
; COMPUTE_PGM_RSRC2:TGID_X_EN: 1
; COMPUTE_PGM_RSRC2:TGID_Y_EN: 0
; COMPUTE_PGM_RSRC2:TGID_Z_EN: 0
; COMPUTE_PGM_RSRC2:TIDIG_COMP_CNT: 0
	.section	.text._ZN7rocprim17ROCPRIM_400000_NS6detail17trampoline_kernelINS0_13select_configILj256ELj13ELNS0_17block_load_methodE3ELS4_3ELS4_3ELNS0_20block_scan_algorithmE0ELj4294967295EEENS1_25partition_config_selectorILNS1_17partition_subalgoE4EjNS0_10empty_typeEbEEZZNS1_14partition_implILS8_4ELb0ES6_15HIP_vector_typeIjLj2EENS0_17counting_iteratorIjlEEPS9_SG_NS0_5tupleIJPjSI_NS0_16reverse_iteratorISI_EEEEENSH_IJSG_SG_SG_EEES9_SI_JZNS1_25segmented_radix_sort_implINS0_14default_configELb0EPKfPfPKlPlN2at6native12_GLOBAL__N_18offset_tEEE10hipError_tPvRmT1_PNSt15iterator_traitsIS12_E10value_typeET2_T3_PNS13_IS18_E10value_typeET4_jRbjT5_S1E_jjP12ihipStream_tbEUljE_ZNSN_ISO_Lb0ESQ_SR_ST_SU_SY_EESZ_S10_S11_S12_S16_S17_S18_S1B_S1C_jS1D_jS1E_S1E_jjS1G_bEUljE0_EEESZ_S10_S11_S18_S1C_S1E_T6_T7_T9_mT8_S1G_bDpT10_ENKUlT_T0_E_clISt17integral_constantIbLb1EES1U_EEDaS1P_S1Q_EUlS1P_E_NS1_11comp_targetILNS1_3genE4ELNS1_11target_archE910ELNS1_3gpuE8ELNS1_3repE0EEENS1_30default_config_static_selectorELNS0_4arch9wavefront6targetE1EEEvS12_,"axG",@progbits,_ZN7rocprim17ROCPRIM_400000_NS6detail17trampoline_kernelINS0_13select_configILj256ELj13ELNS0_17block_load_methodE3ELS4_3ELS4_3ELNS0_20block_scan_algorithmE0ELj4294967295EEENS1_25partition_config_selectorILNS1_17partition_subalgoE4EjNS0_10empty_typeEbEEZZNS1_14partition_implILS8_4ELb0ES6_15HIP_vector_typeIjLj2EENS0_17counting_iteratorIjlEEPS9_SG_NS0_5tupleIJPjSI_NS0_16reverse_iteratorISI_EEEEENSH_IJSG_SG_SG_EEES9_SI_JZNS1_25segmented_radix_sort_implINS0_14default_configELb0EPKfPfPKlPlN2at6native12_GLOBAL__N_18offset_tEEE10hipError_tPvRmT1_PNSt15iterator_traitsIS12_E10value_typeET2_T3_PNS13_IS18_E10value_typeET4_jRbjT5_S1E_jjP12ihipStream_tbEUljE_ZNSN_ISO_Lb0ESQ_SR_ST_SU_SY_EESZ_S10_S11_S12_S16_S17_S18_S1B_S1C_jS1D_jS1E_S1E_jjS1G_bEUljE0_EEESZ_S10_S11_S18_S1C_S1E_T6_T7_T9_mT8_S1G_bDpT10_ENKUlT_T0_E_clISt17integral_constantIbLb1EES1U_EEDaS1P_S1Q_EUlS1P_E_NS1_11comp_targetILNS1_3genE4ELNS1_11target_archE910ELNS1_3gpuE8ELNS1_3repE0EEENS1_30default_config_static_selectorELNS0_4arch9wavefront6targetE1EEEvS12_,comdat
	.globl	_ZN7rocprim17ROCPRIM_400000_NS6detail17trampoline_kernelINS0_13select_configILj256ELj13ELNS0_17block_load_methodE3ELS4_3ELS4_3ELNS0_20block_scan_algorithmE0ELj4294967295EEENS1_25partition_config_selectorILNS1_17partition_subalgoE4EjNS0_10empty_typeEbEEZZNS1_14partition_implILS8_4ELb0ES6_15HIP_vector_typeIjLj2EENS0_17counting_iteratorIjlEEPS9_SG_NS0_5tupleIJPjSI_NS0_16reverse_iteratorISI_EEEEENSH_IJSG_SG_SG_EEES9_SI_JZNS1_25segmented_radix_sort_implINS0_14default_configELb0EPKfPfPKlPlN2at6native12_GLOBAL__N_18offset_tEEE10hipError_tPvRmT1_PNSt15iterator_traitsIS12_E10value_typeET2_T3_PNS13_IS18_E10value_typeET4_jRbjT5_S1E_jjP12ihipStream_tbEUljE_ZNSN_ISO_Lb0ESQ_SR_ST_SU_SY_EESZ_S10_S11_S12_S16_S17_S18_S1B_S1C_jS1D_jS1E_S1E_jjS1G_bEUljE0_EEESZ_S10_S11_S18_S1C_S1E_T6_T7_T9_mT8_S1G_bDpT10_ENKUlT_T0_E_clISt17integral_constantIbLb1EES1U_EEDaS1P_S1Q_EUlS1P_E_NS1_11comp_targetILNS1_3genE4ELNS1_11target_archE910ELNS1_3gpuE8ELNS1_3repE0EEENS1_30default_config_static_selectorELNS0_4arch9wavefront6targetE1EEEvS12_ ; -- Begin function _ZN7rocprim17ROCPRIM_400000_NS6detail17trampoline_kernelINS0_13select_configILj256ELj13ELNS0_17block_load_methodE3ELS4_3ELS4_3ELNS0_20block_scan_algorithmE0ELj4294967295EEENS1_25partition_config_selectorILNS1_17partition_subalgoE4EjNS0_10empty_typeEbEEZZNS1_14partition_implILS8_4ELb0ES6_15HIP_vector_typeIjLj2EENS0_17counting_iteratorIjlEEPS9_SG_NS0_5tupleIJPjSI_NS0_16reverse_iteratorISI_EEEEENSH_IJSG_SG_SG_EEES9_SI_JZNS1_25segmented_radix_sort_implINS0_14default_configELb0EPKfPfPKlPlN2at6native12_GLOBAL__N_18offset_tEEE10hipError_tPvRmT1_PNSt15iterator_traitsIS12_E10value_typeET2_T3_PNS13_IS18_E10value_typeET4_jRbjT5_S1E_jjP12ihipStream_tbEUljE_ZNSN_ISO_Lb0ESQ_SR_ST_SU_SY_EESZ_S10_S11_S12_S16_S17_S18_S1B_S1C_jS1D_jS1E_S1E_jjS1G_bEUljE0_EEESZ_S10_S11_S18_S1C_S1E_T6_T7_T9_mT8_S1G_bDpT10_ENKUlT_T0_E_clISt17integral_constantIbLb1EES1U_EEDaS1P_S1Q_EUlS1P_E_NS1_11comp_targetILNS1_3genE4ELNS1_11target_archE910ELNS1_3gpuE8ELNS1_3repE0EEENS1_30default_config_static_selectorELNS0_4arch9wavefront6targetE1EEEvS12_
	.p2align	8
	.type	_ZN7rocprim17ROCPRIM_400000_NS6detail17trampoline_kernelINS0_13select_configILj256ELj13ELNS0_17block_load_methodE3ELS4_3ELS4_3ELNS0_20block_scan_algorithmE0ELj4294967295EEENS1_25partition_config_selectorILNS1_17partition_subalgoE4EjNS0_10empty_typeEbEEZZNS1_14partition_implILS8_4ELb0ES6_15HIP_vector_typeIjLj2EENS0_17counting_iteratorIjlEEPS9_SG_NS0_5tupleIJPjSI_NS0_16reverse_iteratorISI_EEEEENSH_IJSG_SG_SG_EEES9_SI_JZNS1_25segmented_radix_sort_implINS0_14default_configELb0EPKfPfPKlPlN2at6native12_GLOBAL__N_18offset_tEEE10hipError_tPvRmT1_PNSt15iterator_traitsIS12_E10value_typeET2_T3_PNS13_IS18_E10value_typeET4_jRbjT5_S1E_jjP12ihipStream_tbEUljE_ZNSN_ISO_Lb0ESQ_SR_ST_SU_SY_EESZ_S10_S11_S12_S16_S17_S18_S1B_S1C_jS1D_jS1E_S1E_jjS1G_bEUljE0_EEESZ_S10_S11_S18_S1C_S1E_T6_T7_T9_mT8_S1G_bDpT10_ENKUlT_T0_E_clISt17integral_constantIbLb1EES1U_EEDaS1P_S1Q_EUlS1P_E_NS1_11comp_targetILNS1_3genE4ELNS1_11target_archE910ELNS1_3gpuE8ELNS1_3repE0EEENS1_30default_config_static_selectorELNS0_4arch9wavefront6targetE1EEEvS12_,@function
_ZN7rocprim17ROCPRIM_400000_NS6detail17trampoline_kernelINS0_13select_configILj256ELj13ELNS0_17block_load_methodE3ELS4_3ELS4_3ELNS0_20block_scan_algorithmE0ELj4294967295EEENS1_25partition_config_selectorILNS1_17partition_subalgoE4EjNS0_10empty_typeEbEEZZNS1_14partition_implILS8_4ELb0ES6_15HIP_vector_typeIjLj2EENS0_17counting_iteratorIjlEEPS9_SG_NS0_5tupleIJPjSI_NS0_16reverse_iteratorISI_EEEEENSH_IJSG_SG_SG_EEES9_SI_JZNS1_25segmented_radix_sort_implINS0_14default_configELb0EPKfPfPKlPlN2at6native12_GLOBAL__N_18offset_tEEE10hipError_tPvRmT1_PNSt15iterator_traitsIS12_E10value_typeET2_T3_PNS13_IS18_E10value_typeET4_jRbjT5_S1E_jjP12ihipStream_tbEUljE_ZNSN_ISO_Lb0ESQ_SR_ST_SU_SY_EESZ_S10_S11_S12_S16_S17_S18_S1B_S1C_jS1D_jS1E_S1E_jjS1G_bEUljE0_EEESZ_S10_S11_S18_S1C_S1E_T6_T7_T9_mT8_S1G_bDpT10_ENKUlT_T0_E_clISt17integral_constantIbLb1EES1U_EEDaS1P_S1Q_EUlS1P_E_NS1_11comp_targetILNS1_3genE4ELNS1_11target_archE910ELNS1_3gpuE8ELNS1_3repE0EEENS1_30default_config_static_selectorELNS0_4arch9wavefront6targetE1EEEvS12_: ; @_ZN7rocprim17ROCPRIM_400000_NS6detail17trampoline_kernelINS0_13select_configILj256ELj13ELNS0_17block_load_methodE3ELS4_3ELS4_3ELNS0_20block_scan_algorithmE0ELj4294967295EEENS1_25partition_config_selectorILNS1_17partition_subalgoE4EjNS0_10empty_typeEbEEZZNS1_14partition_implILS8_4ELb0ES6_15HIP_vector_typeIjLj2EENS0_17counting_iteratorIjlEEPS9_SG_NS0_5tupleIJPjSI_NS0_16reverse_iteratorISI_EEEEENSH_IJSG_SG_SG_EEES9_SI_JZNS1_25segmented_radix_sort_implINS0_14default_configELb0EPKfPfPKlPlN2at6native12_GLOBAL__N_18offset_tEEE10hipError_tPvRmT1_PNSt15iterator_traitsIS12_E10value_typeET2_T3_PNS13_IS18_E10value_typeET4_jRbjT5_S1E_jjP12ihipStream_tbEUljE_ZNSN_ISO_Lb0ESQ_SR_ST_SU_SY_EESZ_S10_S11_S12_S16_S17_S18_S1B_S1C_jS1D_jS1E_S1E_jjS1G_bEUljE0_EEESZ_S10_S11_S18_S1C_S1E_T6_T7_T9_mT8_S1G_bDpT10_ENKUlT_T0_E_clISt17integral_constantIbLb1EES1U_EEDaS1P_S1Q_EUlS1P_E_NS1_11comp_targetILNS1_3genE4ELNS1_11target_archE910ELNS1_3gpuE8ELNS1_3repE0EEENS1_30default_config_static_selectorELNS0_4arch9wavefront6targetE1EEEvS12_
; %bb.0:
	.section	.rodata,"a",@progbits
	.p2align	6, 0x0
	.amdhsa_kernel _ZN7rocprim17ROCPRIM_400000_NS6detail17trampoline_kernelINS0_13select_configILj256ELj13ELNS0_17block_load_methodE3ELS4_3ELS4_3ELNS0_20block_scan_algorithmE0ELj4294967295EEENS1_25partition_config_selectorILNS1_17partition_subalgoE4EjNS0_10empty_typeEbEEZZNS1_14partition_implILS8_4ELb0ES6_15HIP_vector_typeIjLj2EENS0_17counting_iteratorIjlEEPS9_SG_NS0_5tupleIJPjSI_NS0_16reverse_iteratorISI_EEEEENSH_IJSG_SG_SG_EEES9_SI_JZNS1_25segmented_radix_sort_implINS0_14default_configELb0EPKfPfPKlPlN2at6native12_GLOBAL__N_18offset_tEEE10hipError_tPvRmT1_PNSt15iterator_traitsIS12_E10value_typeET2_T3_PNS13_IS18_E10value_typeET4_jRbjT5_S1E_jjP12ihipStream_tbEUljE_ZNSN_ISO_Lb0ESQ_SR_ST_SU_SY_EESZ_S10_S11_S12_S16_S17_S18_S1B_S1C_jS1D_jS1E_S1E_jjS1G_bEUljE0_EEESZ_S10_S11_S18_S1C_S1E_T6_T7_T9_mT8_S1G_bDpT10_ENKUlT_T0_E_clISt17integral_constantIbLb1EES1U_EEDaS1P_S1Q_EUlS1P_E_NS1_11comp_targetILNS1_3genE4ELNS1_11target_archE910ELNS1_3gpuE8ELNS1_3repE0EEENS1_30default_config_static_selectorELNS0_4arch9wavefront6targetE1EEEvS12_
		.amdhsa_group_segment_fixed_size 0
		.amdhsa_private_segment_fixed_size 0
		.amdhsa_kernarg_size 184
		.amdhsa_user_sgpr_count 6
		.amdhsa_user_sgpr_private_segment_buffer 1
		.amdhsa_user_sgpr_dispatch_ptr 0
		.amdhsa_user_sgpr_queue_ptr 0
		.amdhsa_user_sgpr_kernarg_segment_ptr 1
		.amdhsa_user_sgpr_dispatch_id 0
		.amdhsa_user_sgpr_flat_scratch_init 0
		.amdhsa_user_sgpr_private_segment_size 0
		.amdhsa_uses_dynamic_stack 0
		.amdhsa_system_sgpr_private_segment_wavefront_offset 0
		.amdhsa_system_sgpr_workgroup_id_x 1
		.amdhsa_system_sgpr_workgroup_id_y 0
		.amdhsa_system_sgpr_workgroup_id_z 0
		.amdhsa_system_sgpr_workgroup_info 0
		.amdhsa_system_vgpr_workitem_id 0
		.amdhsa_next_free_vgpr 1
		.amdhsa_next_free_sgpr 0
		.amdhsa_reserve_vcc 0
		.amdhsa_reserve_flat_scratch 0
		.amdhsa_float_round_mode_32 0
		.amdhsa_float_round_mode_16_64 0
		.amdhsa_float_denorm_mode_32 3
		.amdhsa_float_denorm_mode_16_64 3
		.amdhsa_dx10_clamp 1
		.amdhsa_ieee_mode 1
		.amdhsa_fp16_overflow 0
		.amdhsa_exception_fp_ieee_invalid_op 0
		.amdhsa_exception_fp_denorm_src 0
		.amdhsa_exception_fp_ieee_div_zero 0
		.amdhsa_exception_fp_ieee_overflow 0
		.amdhsa_exception_fp_ieee_underflow 0
		.amdhsa_exception_fp_ieee_inexact 0
		.amdhsa_exception_int_div_zero 0
	.end_amdhsa_kernel
	.section	.text._ZN7rocprim17ROCPRIM_400000_NS6detail17trampoline_kernelINS0_13select_configILj256ELj13ELNS0_17block_load_methodE3ELS4_3ELS4_3ELNS0_20block_scan_algorithmE0ELj4294967295EEENS1_25partition_config_selectorILNS1_17partition_subalgoE4EjNS0_10empty_typeEbEEZZNS1_14partition_implILS8_4ELb0ES6_15HIP_vector_typeIjLj2EENS0_17counting_iteratorIjlEEPS9_SG_NS0_5tupleIJPjSI_NS0_16reverse_iteratorISI_EEEEENSH_IJSG_SG_SG_EEES9_SI_JZNS1_25segmented_radix_sort_implINS0_14default_configELb0EPKfPfPKlPlN2at6native12_GLOBAL__N_18offset_tEEE10hipError_tPvRmT1_PNSt15iterator_traitsIS12_E10value_typeET2_T3_PNS13_IS18_E10value_typeET4_jRbjT5_S1E_jjP12ihipStream_tbEUljE_ZNSN_ISO_Lb0ESQ_SR_ST_SU_SY_EESZ_S10_S11_S12_S16_S17_S18_S1B_S1C_jS1D_jS1E_S1E_jjS1G_bEUljE0_EEESZ_S10_S11_S18_S1C_S1E_T6_T7_T9_mT8_S1G_bDpT10_ENKUlT_T0_E_clISt17integral_constantIbLb1EES1U_EEDaS1P_S1Q_EUlS1P_E_NS1_11comp_targetILNS1_3genE4ELNS1_11target_archE910ELNS1_3gpuE8ELNS1_3repE0EEENS1_30default_config_static_selectorELNS0_4arch9wavefront6targetE1EEEvS12_,"axG",@progbits,_ZN7rocprim17ROCPRIM_400000_NS6detail17trampoline_kernelINS0_13select_configILj256ELj13ELNS0_17block_load_methodE3ELS4_3ELS4_3ELNS0_20block_scan_algorithmE0ELj4294967295EEENS1_25partition_config_selectorILNS1_17partition_subalgoE4EjNS0_10empty_typeEbEEZZNS1_14partition_implILS8_4ELb0ES6_15HIP_vector_typeIjLj2EENS0_17counting_iteratorIjlEEPS9_SG_NS0_5tupleIJPjSI_NS0_16reverse_iteratorISI_EEEEENSH_IJSG_SG_SG_EEES9_SI_JZNS1_25segmented_radix_sort_implINS0_14default_configELb0EPKfPfPKlPlN2at6native12_GLOBAL__N_18offset_tEEE10hipError_tPvRmT1_PNSt15iterator_traitsIS12_E10value_typeET2_T3_PNS13_IS18_E10value_typeET4_jRbjT5_S1E_jjP12ihipStream_tbEUljE_ZNSN_ISO_Lb0ESQ_SR_ST_SU_SY_EESZ_S10_S11_S12_S16_S17_S18_S1B_S1C_jS1D_jS1E_S1E_jjS1G_bEUljE0_EEESZ_S10_S11_S18_S1C_S1E_T6_T7_T9_mT8_S1G_bDpT10_ENKUlT_T0_E_clISt17integral_constantIbLb1EES1U_EEDaS1P_S1Q_EUlS1P_E_NS1_11comp_targetILNS1_3genE4ELNS1_11target_archE910ELNS1_3gpuE8ELNS1_3repE0EEENS1_30default_config_static_selectorELNS0_4arch9wavefront6targetE1EEEvS12_,comdat
.Lfunc_end1374:
	.size	_ZN7rocprim17ROCPRIM_400000_NS6detail17trampoline_kernelINS0_13select_configILj256ELj13ELNS0_17block_load_methodE3ELS4_3ELS4_3ELNS0_20block_scan_algorithmE0ELj4294967295EEENS1_25partition_config_selectorILNS1_17partition_subalgoE4EjNS0_10empty_typeEbEEZZNS1_14partition_implILS8_4ELb0ES6_15HIP_vector_typeIjLj2EENS0_17counting_iteratorIjlEEPS9_SG_NS0_5tupleIJPjSI_NS0_16reverse_iteratorISI_EEEEENSH_IJSG_SG_SG_EEES9_SI_JZNS1_25segmented_radix_sort_implINS0_14default_configELb0EPKfPfPKlPlN2at6native12_GLOBAL__N_18offset_tEEE10hipError_tPvRmT1_PNSt15iterator_traitsIS12_E10value_typeET2_T3_PNS13_IS18_E10value_typeET4_jRbjT5_S1E_jjP12ihipStream_tbEUljE_ZNSN_ISO_Lb0ESQ_SR_ST_SU_SY_EESZ_S10_S11_S12_S16_S17_S18_S1B_S1C_jS1D_jS1E_S1E_jjS1G_bEUljE0_EEESZ_S10_S11_S18_S1C_S1E_T6_T7_T9_mT8_S1G_bDpT10_ENKUlT_T0_E_clISt17integral_constantIbLb1EES1U_EEDaS1P_S1Q_EUlS1P_E_NS1_11comp_targetILNS1_3genE4ELNS1_11target_archE910ELNS1_3gpuE8ELNS1_3repE0EEENS1_30default_config_static_selectorELNS0_4arch9wavefront6targetE1EEEvS12_, .Lfunc_end1374-_ZN7rocprim17ROCPRIM_400000_NS6detail17trampoline_kernelINS0_13select_configILj256ELj13ELNS0_17block_load_methodE3ELS4_3ELS4_3ELNS0_20block_scan_algorithmE0ELj4294967295EEENS1_25partition_config_selectorILNS1_17partition_subalgoE4EjNS0_10empty_typeEbEEZZNS1_14partition_implILS8_4ELb0ES6_15HIP_vector_typeIjLj2EENS0_17counting_iteratorIjlEEPS9_SG_NS0_5tupleIJPjSI_NS0_16reverse_iteratorISI_EEEEENSH_IJSG_SG_SG_EEES9_SI_JZNS1_25segmented_radix_sort_implINS0_14default_configELb0EPKfPfPKlPlN2at6native12_GLOBAL__N_18offset_tEEE10hipError_tPvRmT1_PNSt15iterator_traitsIS12_E10value_typeET2_T3_PNS13_IS18_E10value_typeET4_jRbjT5_S1E_jjP12ihipStream_tbEUljE_ZNSN_ISO_Lb0ESQ_SR_ST_SU_SY_EESZ_S10_S11_S12_S16_S17_S18_S1B_S1C_jS1D_jS1E_S1E_jjS1G_bEUljE0_EEESZ_S10_S11_S18_S1C_S1E_T6_T7_T9_mT8_S1G_bDpT10_ENKUlT_T0_E_clISt17integral_constantIbLb1EES1U_EEDaS1P_S1Q_EUlS1P_E_NS1_11comp_targetILNS1_3genE4ELNS1_11target_archE910ELNS1_3gpuE8ELNS1_3repE0EEENS1_30default_config_static_selectorELNS0_4arch9wavefront6targetE1EEEvS12_
                                        ; -- End function
	.set _ZN7rocprim17ROCPRIM_400000_NS6detail17trampoline_kernelINS0_13select_configILj256ELj13ELNS0_17block_load_methodE3ELS4_3ELS4_3ELNS0_20block_scan_algorithmE0ELj4294967295EEENS1_25partition_config_selectorILNS1_17partition_subalgoE4EjNS0_10empty_typeEbEEZZNS1_14partition_implILS8_4ELb0ES6_15HIP_vector_typeIjLj2EENS0_17counting_iteratorIjlEEPS9_SG_NS0_5tupleIJPjSI_NS0_16reverse_iteratorISI_EEEEENSH_IJSG_SG_SG_EEES9_SI_JZNS1_25segmented_radix_sort_implINS0_14default_configELb0EPKfPfPKlPlN2at6native12_GLOBAL__N_18offset_tEEE10hipError_tPvRmT1_PNSt15iterator_traitsIS12_E10value_typeET2_T3_PNS13_IS18_E10value_typeET4_jRbjT5_S1E_jjP12ihipStream_tbEUljE_ZNSN_ISO_Lb0ESQ_SR_ST_SU_SY_EESZ_S10_S11_S12_S16_S17_S18_S1B_S1C_jS1D_jS1E_S1E_jjS1G_bEUljE0_EEESZ_S10_S11_S18_S1C_S1E_T6_T7_T9_mT8_S1G_bDpT10_ENKUlT_T0_E_clISt17integral_constantIbLb1EES1U_EEDaS1P_S1Q_EUlS1P_E_NS1_11comp_targetILNS1_3genE4ELNS1_11target_archE910ELNS1_3gpuE8ELNS1_3repE0EEENS1_30default_config_static_selectorELNS0_4arch9wavefront6targetE1EEEvS12_.num_vgpr, 0
	.set _ZN7rocprim17ROCPRIM_400000_NS6detail17trampoline_kernelINS0_13select_configILj256ELj13ELNS0_17block_load_methodE3ELS4_3ELS4_3ELNS0_20block_scan_algorithmE0ELj4294967295EEENS1_25partition_config_selectorILNS1_17partition_subalgoE4EjNS0_10empty_typeEbEEZZNS1_14partition_implILS8_4ELb0ES6_15HIP_vector_typeIjLj2EENS0_17counting_iteratorIjlEEPS9_SG_NS0_5tupleIJPjSI_NS0_16reverse_iteratorISI_EEEEENSH_IJSG_SG_SG_EEES9_SI_JZNS1_25segmented_radix_sort_implINS0_14default_configELb0EPKfPfPKlPlN2at6native12_GLOBAL__N_18offset_tEEE10hipError_tPvRmT1_PNSt15iterator_traitsIS12_E10value_typeET2_T3_PNS13_IS18_E10value_typeET4_jRbjT5_S1E_jjP12ihipStream_tbEUljE_ZNSN_ISO_Lb0ESQ_SR_ST_SU_SY_EESZ_S10_S11_S12_S16_S17_S18_S1B_S1C_jS1D_jS1E_S1E_jjS1G_bEUljE0_EEESZ_S10_S11_S18_S1C_S1E_T6_T7_T9_mT8_S1G_bDpT10_ENKUlT_T0_E_clISt17integral_constantIbLb1EES1U_EEDaS1P_S1Q_EUlS1P_E_NS1_11comp_targetILNS1_3genE4ELNS1_11target_archE910ELNS1_3gpuE8ELNS1_3repE0EEENS1_30default_config_static_selectorELNS0_4arch9wavefront6targetE1EEEvS12_.num_agpr, 0
	.set _ZN7rocprim17ROCPRIM_400000_NS6detail17trampoline_kernelINS0_13select_configILj256ELj13ELNS0_17block_load_methodE3ELS4_3ELS4_3ELNS0_20block_scan_algorithmE0ELj4294967295EEENS1_25partition_config_selectorILNS1_17partition_subalgoE4EjNS0_10empty_typeEbEEZZNS1_14partition_implILS8_4ELb0ES6_15HIP_vector_typeIjLj2EENS0_17counting_iteratorIjlEEPS9_SG_NS0_5tupleIJPjSI_NS0_16reverse_iteratorISI_EEEEENSH_IJSG_SG_SG_EEES9_SI_JZNS1_25segmented_radix_sort_implINS0_14default_configELb0EPKfPfPKlPlN2at6native12_GLOBAL__N_18offset_tEEE10hipError_tPvRmT1_PNSt15iterator_traitsIS12_E10value_typeET2_T3_PNS13_IS18_E10value_typeET4_jRbjT5_S1E_jjP12ihipStream_tbEUljE_ZNSN_ISO_Lb0ESQ_SR_ST_SU_SY_EESZ_S10_S11_S12_S16_S17_S18_S1B_S1C_jS1D_jS1E_S1E_jjS1G_bEUljE0_EEESZ_S10_S11_S18_S1C_S1E_T6_T7_T9_mT8_S1G_bDpT10_ENKUlT_T0_E_clISt17integral_constantIbLb1EES1U_EEDaS1P_S1Q_EUlS1P_E_NS1_11comp_targetILNS1_3genE4ELNS1_11target_archE910ELNS1_3gpuE8ELNS1_3repE0EEENS1_30default_config_static_selectorELNS0_4arch9wavefront6targetE1EEEvS12_.numbered_sgpr, 0
	.set _ZN7rocprim17ROCPRIM_400000_NS6detail17trampoline_kernelINS0_13select_configILj256ELj13ELNS0_17block_load_methodE3ELS4_3ELS4_3ELNS0_20block_scan_algorithmE0ELj4294967295EEENS1_25partition_config_selectorILNS1_17partition_subalgoE4EjNS0_10empty_typeEbEEZZNS1_14partition_implILS8_4ELb0ES6_15HIP_vector_typeIjLj2EENS0_17counting_iteratorIjlEEPS9_SG_NS0_5tupleIJPjSI_NS0_16reverse_iteratorISI_EEEEENSH_IJSG_SG_SG_EEES9_SI_JZNS1_25segmented_radix_sort_implINS0_14default_configELb0EPKfPfPKlPlN2at6native12_GLOBAL__N_18offset_tEEE10hipError_tPvRmT1_PNSt15iterator_traitsIS12_E10value_typeET2_T3_PNS13_IS18_E10value_typeET4_jRbjT5_S1E_jjP12ihipStream_tbEUljE_ZNSN_ISO_Lb0ESQ_SR_ST_SU_SY_EESZ_S10_S11_S12_S16_S17_S18_S1B_S1C_jS1D_jS1E_S1E_jjS1G_bEUljE0_EEESZ_S10_S11_S18_S1C_S1E_T6_T7_T9_mT8_S1G_bDpT10_ENKUlT_T0_E_clISt17integral_constantIbLb1EES1U_EEDaS1P_S1Q_EUlS1P_E_NS1_11comp_targetILNS1_3genE4ELNS1_11target_archE910ELNS1_3gpuE8ELNS1_3repE0EEENS1_30default_config_static_selectorELNS0_4arch9wavefront6targetE1EEEvS12_.num_named_barrier, 0
	.set _ZN7rocprim17ROCPRIM_400000_NS6detail17trampoline_kernelINS0_13select_configILj256ELj13ELNS0_17block_load_methodE3ELS4_3ELS4_3ELNS0_20block_scan_algorithmE0ELj4294967295EEENS1_25partition_config_selectorILNS1_17partition_subalgoE4EjNS0_10empty_typeEbEEZZNS1_14partition_implILS8_4ELb0ES6_15HIP_vector_typeIjLj2EENS0_17counting_iteratorIjlEEPS9_SG_NS0_5tupleIJPjSI_NS0_16reverse_iteratorISI_EEEEENSH_IJSG_SG_SG_EEES9_SI_JZNS1_25segmented_radix_sort_implINS0_14default_configELb0EPKfPfPKlPlN2at6native12_GLOBAL__N_18offset_tEEE10hipError_tPvRmT1_PNSt15iterator_traitsIS12_E10value_typeET2_T3_PNS13_IS18_E10value_typeET4_jRbjT5_S1E_jjP12ihipStream_tbEUljE_ZNSN_ISO_Lb0ESQ_SR_ST_SU_SY_EESZ_S10_S11_S12_S16_S17_S18_S1B_S1C_jS1D_jS1E_S1E_jjS1G_bEUljE0_EEESZ_S10_S11_S18_S1C_S1E_T6_T7_T9_mT8_S1G_bDpT10_ENKUlT_T0_E_clISt17integral_constantIbLb1EES1U_EEDaS1P_S1Q_EUlS1P_E_NS1_11comp_targetILNS1_3genE4ELNS1_11target_archE910ELNS1_3gpuE8ELNS1_3repE0EEENS1_30default_config_static_selectorELNS0_4arch9wavefront6targetE1EEEvS12_.private_seg_size, 0
	.set _ZN7rocprim17ROCPRIM_400000_NS6detail17trampoline_kernelINS0_13select_configILj256ELj13ELNS0_17block_load_methodE3ELS4_3ELS4_3ELNS0_20block_scan_algorithmE0ELj4294967295EEENS1_25partition_config_selectorILNS1_17partition_subalgoE4EjNS0_10empty_typeEbEEZZNS1_14partition_implILS8_4ELb0ES6_15HIP_vector_typeIjLj2EENS0_17counting_iteratorIjlEEPS9_SG_NS0_5tupleIJPjSI_NS0_16reverse_iteratorISI_EEEEENSH_IJSG_SG_SG_EEES9_SI_JZNS1_25segmented_radix_sort_implINS0_14default_configELb0EPKfPfPKlPlN2at6native12_GLOBAL__N_18offset_tEEE10hipError_tPvRmT1_PNSt15iterator_traitsIS12_E10value_typeET2_T3_PNS13_IS18_E10value_typeET4_jRbjT5_S1E_jjP12ihipStream_tbEUljE_ZNSN_ISO_Lb0ESQ_SR_ST_SU_SY_EESZ_S10_S11_S12_S16_S17_S18_S1B_S1C_jS1D_jS1E_S1E_jjS1G_bEUljE0_EEESZ_S10_S11_S18_S1C_S1E_T6_T7_T9_mT8_S1G_bDpT10_ENKUlT_T0_E_clISt17integral_constantIbLb1EES1U_EEDaS1P_S1Q_EUlS1P_E_NS1_11comp_targetILNS1_3genE4ELNS1_11target_archE910ELNS1_3gpuE8ELNS1_3repE0EEENS1_30default_config_static_selectorELNS0_4arch9wavefront6targetE1EEEvS12_.uses_vcc, 0
	.set _ZN7rocprim17ROCPRIM_400000_NS6detail17trampoline_kernelINS0_13select_configILj256ELj13ELNS0_17block_load_methodE3ELS4_3ELS4_3ELNS0_20block_scan_algorithmE0ELj4294967295EEENS1_25partition_config_selectorILNS1_17partition_subalgoE4EjNS0_10empty_typeEbEEZZNS1_14partition_implILS8_4ELb0ES6_15HIP_vector_typeIjLj2EENS0_17counting_iteratorIjlEEPS9_SG_NS0_5tupleIJPjSI_NS0_16reverse_iteratorISI_EEEEENSH_IJSG_SG_SG_EEES9_SI_JZNS1_25segmented_radix_sort_implINS0_14default_configELb0EPKfPfPKlPlN2at6native12_GLOBAL__N_18offset_tEEE10hipError_tPvRmT1_PNSt15iterator_traitsIS12_E10value_typeET2_T3_PNS13_IS18_E10value_typeET4_jRbjT5_S1E_jjP12ihipStream_tbEUljE_ZNSN_ISO_Lb0ESQ_SR_ST_SU_SY_EESZ_S10_S11_S12_S16_S17_S18_S1B_S1C_jS1D_jS1E_S1E_jjS1G_bEUljE0_EEESZ_S10_S11_S18_S1C_S1E_T6_T7_T9_mT8_S1G_bDpT10_ENKUlT_T0_E_clISt17integral_constantIbLb1EES1U_EEDaS1P_S1Q_EUlS1P_E_NS1_11comp_targetILNS1_3genE4ELNS1_11target_archE910ELNS1_3gpuE8ELNS1_3repE0EEENS1_30default_config_static_selectorELNS0_4arch9wavefront6targetE1EEEvS12_.uses_flat_scratch, 0
	.set _ZN7rocprim17ROCPRIM_400000_NS6detail17trampoline_kernelINS0_13select_configILj256ELj13ELNS0_17block_load_methodE3ELS4_3ELS4_3ELNS0_20block_scan_algorithmE0ELj4294967295EEENS1_25partition_config_selectorILNS1_17partition_subalgoE4EjNS0_10empty_typeEbEEZZNS1_14partition_implILS8_4ELb0ES6_15HIP_vector_typeIjLj2EENS0_17counting_iteratorIjlEEPS9_SG_NS0_5tupleIJPjSI_NS0_16reverse_iteratorISI_EEEEENSH_IJSG_SG_SG_EEES9_SI_JZNS1_25segmented_radix_sort_implINS0_14default_configELb0EPKfPfPKlPlN2at6native12_GLOBAL__N_18offset_tEEE10hipError_tPvRmT1_PNSt15iterator_traitsIS12_E10value_typeET2_T3_PNS13_IS18_E10value_typeET4_jRbjT5_S1E_jjP12ihipStream_tbEUljE_ZNSN_ISO_Lb0ESQ_SR_ST_SU_SY_EESZ_S10_S11_S12_S16_S17_S18_S1B_S1C_jS1D_jS1E_S1E_jjS1G_bEUljE0_EEESZ_S10_S11_S18_S1C_S1E_T6_T7_T9_mT8_S1G_bDpT10_ENKUlT_T0_E_clISt17integral_constantIbLb1EES1U_EEDaS1P_S1Q_EUlS1P_E_NS1_11comp_targetILNS1_3genE4ELNS1_11target_archE910ELNS1_3gpuE8ELNS1_3repE0EEENS1_30default_config_static_selectorELNS0_4arch9wavefront6targetE1EEEvS12_.has_dyn_sized_stack, 0
	.set _ZN7rocprim17ROCPRIM_400000_NS6detail17trampoline_kernelINS0_13select_configILj256ELj13ELNS0_17block_load_methodE3ELS4_3ELS4_3ELNS0_20block_scan_algorithmE0ELj4294967295EEENS1_25partition_config_selectorILNS1_17partition_subalgoE4EjNS0_10empty_typeEbEEZZNS1_14partition_implILS8_4ELb0ES6_15HIP_vector_typeIjLj2EENS0_17counting_iteratorIjlEEPS9_SG_NS0_5tupleIJPjSI_NS0_16reverse_iteratorISI_EEEEENSH_IJSG_SG_SG_EEES9_SI_JZNS1_25segmented_radix_sort_implINS0_14default_configELb0EPKfPfPKlPlN2at6native12_GLOBAL__N_18offset_tEEE10hipError_tPvRmT1_PNSt15iterator_traitsIS12_E10value_typeET2_T3_PNS13_IS18_E10value_typeET4_jRbjT5_S1E_jjP12ihipStream_tbEUljE_ZNSN_ISO_Lb0ESQ_SR_ST_SU_SY_EESZ_S10_S11_S12_S16_S17_S18_S1B_S1C_jS1D_jS1E_S1E_jjS1G_bEUljE0_EEESZ_S10_S11_S18_S1C_S1E_T6_T7_T9_mT8_S1G_bDpT10_ENKUlT_T0_E_clISt17integral_constantIbLb1EES1U_EEDaS1P_S1Q_EUlS1P_E_NS1_11comp_targetILNS1_3genE4ELNS1_11target_archE910ELNS1_3gpuE8ELNS1_3repE0EEENS1_30default_config_static_selectorELNS0_4arch9wavefront6targetE1EEEvS12_.has_recursion, 0
	.set _ZN7rocprim17ROCPRIM_400000_NS6detail17trampoline_kernelINS0_13select_configILj256ELj13ELNS0_17block_load_methodE3ELS4_3ELS4_3ELNS0_20block_scan_algorithmE0ELj4294967295EEENS1_25partition_config_selectorILNS1_17partition_subalgoE4EjNS0_10empty_typeEbEEZZNS1_14partition_implILS8_4ELb0ES6_15HIP_vector_typeIjLj2EENS0_17counting_iteratorIjlEEPS9_SG_NS0_5tupleIJPjSI_NS0_16reverse_iteratorISI_EEEEENSH_IJSG_SG_SG_EEES9_SI_JZNS1_25segmented_radix_sort_implINS0_14default_configELb0EPKfPfPKlPlN2at6native12_GLOBAL__N_18offset_tEEE10hipError_tPvRmT1_PNSt15iterator_traitsIS12_E10value_typeET2_T3_PNS13_IS18_E10value_typeET4_jRbjT5_S1E_jjP12ihipStream_tbEUljE_ZNSN_ISO_Lb0ESQ_SR_ST_SU_SY_EESZ_S10_S11_S12_S16_S17_S18_S1B_S1C_jS1D_jS1E_S1E_jjS1G_bEUljE0_EEESZ_S10_S11_S18_S1C_S1E_T6_T7_T9_mT8_S1G_bDpT10_ENKUlT_T0_E_clISt17integral_constantIbLb1EES1U_EEDaS1P_S1Q_EUlS1P_E_NS1_11comp_targetILNS1_3genE4ELNS1_11target_archE910ELNS1_3gpuE8ELNS1_3repE0EEENS1_30default_config_static_selectorELNS0_4arch9wavefront6targetE1EEEvS12_.has_indirect_call, 0
	.section	.AMDGPU.csdata,"",@progbits
; Kernel info:
; codeLenInByte = 0
; TotalNumSgprs: 4
; NumVgprs: 0
; ScratchSize: 0
; MemoryBound: 0
; FloatMode: 240
; IeeeMode: 1
; LDSByteSize: 0 bytes/workgroup (compile time only)
; SGPRBlocks: 0
; VGPRBlocks: 0
; NumSGPRsForWavesPerEU: 4
; NumVGPRsForWavesPerEU: 1
; Occupancy: 10
; WaveLimiterHint : 0
; COMPUTE_PGM_RSRC2:SCRATCH_EN: 0
; COMPUTE_PGM_RSRC2:USER_SGPR: 6
; COMPUTE_PGM_RSRC2:TRAP_HANDLER: 0
; COMPUTE_PGM_RSRC2:TGID_X_EN: 1
; COMPUTE_PGM_RSRC2:TGID_Y_EN: 0
; COMPUTE_PGM_RSRC2:TGID_Z_EN: 0
; COMPUTE_PGM_RSRC2:TIDIG_COMP_CNT: 0
	.section	.text._ZN7rocprim17ROCPRIM_400000_NS6detail17trampoline_kernelINS0_13select_configILj256ELj13ELNS0_17block_load_methodE3ELS4_3ELS4_3ELNS0_20block_scan_algorithmE0ELj4294967295EEENS1_25partition_config_selectorILNS1_17partition_subalgoE4EjNS0_10empty_typeEbEEZZNS1_14partition_implILS8_4ELb0ES6_15HIP_vector_typeIjLj2EENS0_17counting_iteratorIjlEEPS9_SG_NS0_5tupleIJPjSI_NS0_16reverse_iteratorISI_EEEEENSH_IJSG_SG_SG_EEES9_SI_JZNS1_25segmented_radix_sort_implINS0_14default_configELb0EPKfPfPKlPlN2at6native12_GLOBAL__N_18offset_tEEE10hipError_tPvRmT1_PNSt15iterator_traitsIS12_E10value_typeET2_T3_PNS13_IS18_E10value_typeET4_jRbjT5_S1E_jjP12ihipStream_tbEUljE_ZNSN_ISO_Lb0ESQ_SR_ST_SU_SY_EESZ_S10_S11_S12_S16_S17_S18_S1B_S1C_jS1D_jS1E_S1E_jjS1G_bEUljE0_EEESZ_S10_S11_S18_S1C_S1E_T6_T7_T9_mT8_S1G_bDpT10_ENKUlT_T0_E_clISt17integral_constantIbLb1EES1U_EEDaS1P_S1Q_EUlS1P_E_NS1_11comp_targetILNS1_3genE3ELNS1_11target_archE908ELNS1_3gpuE7ELNS1_3repE0EEENS1_30default_config_static_selectorELNS0_4arch9wavefront6targetE1EEEvS12_,"axG",@progbits,_ZN7rocprim17ROCPRIM_400000_NS6detail17trampoline_kernelINS0_13select_configILj256ELj13ELNS0_17block_load_methodE3ELS4_3ELS4_3ELNS0_20block_scan_algorithmE0ELj4294967295EEENS1_25partition_config_selectorILNS1_17partition_subalgoE4EjNS0_10empty_typeEbEEZZNS1_14partition_implILS8_4ELb0ES6_15HIP_vector_typeIjLj2EENS0_17counting_iteratorIjlEEPS9_SG_NS0_5tupleIJPjSI_NS0_16reverse_iteratorISI_EEEEENSH_IJSG_SG_SG_EEES9_SI_JZNS1_25segmented_radix_sort_implINS0_14default_configELb0EPKfPfPKlPlN2at6native12_GLOBAL__N_18offset_tEEE10hipError_tPvRmT1_PNSt15iterator_traitsIS12_E10value_typeET2_T3_PNS13_IS18_E10value_typeET4_jRbjT5_S1E_jjP12ihipStream_tbEUljE_ZNSN_ISO_Lb0ESQ_SR_ST_SU_SY_EESZ_S10_S11_S12_S16_S17_S18_S1B_S1C_jS1D_jS1E_S1E_jjS1G_bEUljE0_EEESZ_S10_S11_S18_S1C_S1E_T6_T7_T9_mT8_S1G_bDpT10_ENKUlT_T0_E_clISt17integral_constantIbLb1EES1U_EEDaS1P_S1Q_EUlS1P_E_NS1_11comp_targetILNS1_3genE3ELNS1_11target_archE908ELNS1_3gpuE7ELNS1_3repE0EEENS1_30default_config_static_selectorELNS0_4arch9wavefront6targetE1EEEvS12_,comdat
	.globl	_ZN7rocprim17ROCPRIM_400000_NS6detail17trampoline_kernelINS0_13select_configILj256ELj13ELNS0_17block_load_methodE3ELS4_3ELS4_3ELNS0_20block_scan_algorithmE0ELj4294967295EEENS1_25partition_config_selectorILNS1_17partition_subalgoE4EjNS0_10empty_typeEbEEZZNS1_14partition_implILS8_4ELb0ES6_15HIP_vector_typeIjLj2EENS0_17counting_iteratorIjlEEPS9_SG_NS0_5tupleIJPjSI_NS0_16reverse_iteratorISI_EEEEENSH_IJSG_SG_SG_EEES9_SI_JZNS1_25segmented_radix_sort_implINS0_14default_configELb0EPKfPfPKlPlN2at6native12_GLOBAL__N_18offset_tEEE10hipError_tPvRmT1_PNSt15iterator_traitsIS12_E10value_typeET2_T3_PNS13_IS18_E10value_typeET4_jRbjT5_S1E_jjP12ihipStream_tbEUljE_ZNSN_ISO_Lb0ESQ_SR_ST_SU_SY_EESZ_S10_S11_S12_S16_S17_S18_S1B_S1C_jS1D_jS1E_S1E_jjS1G_bEUljE0_EEESZ_S10_S11_S18_S1C_S1E_T6_T7_T9_mT8_S1G_bDpT10_ENKUlT_T0_E_clISt17integral_constantIbLb1EES1U_EEDaS1P_S1Q_EUlS1P_E_NS1_11comp_targetILNS1_3genE3ELNS1_11target_archE908ELNS1_3gpuE7ELNS1_3repE0EEENS1_30default_config_static_selectorELNS0_4arch9wavefront6targetE1EEEvS12_ ; -- Begin function _ZN7rocprim17ROCPRIM_400000_NS6detail17trampoline_kernelINS0_13select_configILj256ELj13ELNS0_17block_load_methodE3ELS4_3ELS4_3ELNS0_20block_scan_algorithmE0ELj4294967295EEENS1_25partition_config_selectorILNS1_17partition_subalgoE4EjNS0_10empty_typeEbEEZZNS1_14partition_implILS8_4ELb0ES6_15HIP_vector_typeIjLj2EENS0_17counting_iteratorIjlEEPS9_SG_NS0_5tupleIJPjSI_NS0_16reverse_iteratorISI_EEEEENSH_IJSG_SG_SG_EEES9_SI_JZNS1_25segmented_radix_sort_implINS0_14default_configELb0EPKfPfPKlPlN2at6native12_GLOBAL__N_18offset_tEEE10hipError_tPvRmT1_PNSt15iterator_traitsIS12_E10value_typeET2_T3_PNS13_IS18_E10value_typeET4_jRbjT5_S1E_jjP12ihipStream_tbEUljE_ZNSN_ISO_Lb0ESQ_SR_ST_SU_SY_EESZ_S10_S11_S12_S16_S17_S18_S1B_S1C_jS1D_jS1E_S1E_jjS1G_bEUljE0_EEESZ_S10_S11_S18_S1C_S1E_T6_T7_T9_mT8_S1G_bDpT10_ENKUlT_T0_E_clISt17integral_constantIbLb1EES1U_EEDaS1P_S1Q_EUlS1P_E_NS1_11comp_targetILNS1_3genE3ELNS1_11target_archE908ELNS1_3gpuE7ELNS1_3repE0EEENS1_30default_config_static_selectorELNS0_4arch9wavefront6targetE1EEEvS12_
	.p2align	8
	.type	_ZN7rocprim17ROCPRIM_400000_NS6detail17trampoline_kernelINS0_13select_configILj256ELj13ELNS0_17block_load_methodE3ELS4_3ELS4_3ELNS0_20block_scan_algorithmE0ELj4294967295EEENS1_25partition_config_selectorILNS1_17partition_subalgoE4EjNS0_10empty_typeEbEEZZNS1_14partition_implILS8_4ELb0ES6_15HIP_vector_typeIjLj2EENS0_17counting_iteratorIjlEEPS9_SG_NS0_5tupleIJPjSI_NS0_16reverse_iteratorISI_EEEEENSH_IJSG_SG_SG_EEES9_SI_JZNS1_25segmented_radix_sort_implINS0_14default_configELb0EPKfPfPKlPlN2at6native12_GLOBAL__N_18offset_tEEE10hipError_tPvRmT1_PNSt15iterator_traitsIS12_E10value_typeET2_T3_PNS13_IS18_E10value_typeET4_jRbjT5_S1E_jjP12ihipStream_tbEUljE_ZNSN_ISO_Lb0ESQ_SR_ST_SU_SY_EESZ_S10_S11_S12_S16_S17_S18_S1B_S1C_jS1D_jS1E_S1E_jjS1G_bEUljE0_EEESZ_S10_S11_S18_S1C_S1E_T6_T7_T9_mT8_S1G_bDpT10_ENKUlT_T0_E_clISt17integral_constantIbLb1EES1U_EEDaS1P_S1Q_EUlS1P_E_NS1_11comp_targetILNS1_3genE3ELNS1_11target_archE908ELNS1_3gpuE7ELNS1_3repE0EEENS1_30default_config_static_selectorELNS0_4arch9wavefront6targetE1EEEvS12_,@function
_ZN7rocprim17ROCPRIM_400000_NS6detail17trampoline_kernelINS0_13select_configILj256ELj13ELNS0_17block_load_methodE3ELS4_3ELS4_3ELNS0_20block_scan_algorithmE0ELj4294967295EEENS1_25partition_config_selectorILNS1_17partition_subalgoE4EjNS0_10empty_typeEbEEZZNS1_14partition_implILS8_4ELb0ES6_15HIP_vector_typeIjLj2EENS0_17counting_iteratorIjlEEPS9_SG_NS0_5tupleIJPjSI_NS0_16reverse_iteratorISI_EEEEENSH_IJSG_SG_SG_EEES9_SI_JZNS1_25segmented_radix_sort_implINS0_14default_configELb0EPKfPfPKlPlN2at6native12_GLOBAL__N_18offset_tEEE10hipError_tPvRmT1_PNSt15iterator_traitsIS12_E10value_typeET2_T3_PNS13_IS18_E10value_typeET4_jRbjT5_S1E_jjP12ihipStream_tbEUljE_ZNSN_ISO_Lb0ESQ_SR_ST_SU_SY_EESZ_S10_S11_S12_S16_S17_S18_S1B_S1C_jS1D_jS1E_S1E_jjS1G_bEUljE0_EEESZ_S10_S11_S18_S1C_S1E_T6_T7_T9_mT8_S1G_bDpT10_ENKUlT_T0_E_clISt17integral_constantIbLb1EES1U_EEDaS1P_S1Q_EUlS1P_E_NS1_11comp_targetILNS1_3genE3ELNS1_11target_archE908ELNS1_3gpuE7ELNS1_3repE0EEENS1_30default_config_static_selectorELNS0_4arch9wavefront6targetE1EEEvS12_: ; @_ZN7rocprim17ROCPRIM_400000_NS6detail17trampoline_kernelINS0_13select_configILj256ELj13ELNS0_17block_load_methodE3ELS4_3ELS4_3ELNS0_20block_scan_algorithmE0ELj4294967295EEENS1_25partition_config_selectorILNS1_17partition_subalgoE4EjNS0_10empty_typeEbEEZZNS1_14partition_implILS8_4ELb0ES6_15HIP_vector_typeIjLj2EENS0_17counting_iteratorIjlEEPS9_SG_NS0_5tupleIJPjSI_NS0_16reverse_iteratorISI_EEEEENSH_IJSG_SG_SG_EEES9_SI_JZNS1_25segmented_radix_sort_implINS0_14default_configELb0EPKfPfPKlPlN2at6native12_GLOBAL__N_18offset_tEEE10hipError_tPvRmT1_PNSt15iterator_traitsIS12_E10value_typeET2_T3_PNS13_IS18_E10value_typeET4_jRbjT5_S1E_jjP12ihipStream_tbEUljE_ZNSN_ISO_Lb0ESQ_SR_ST_SU_SY_EESZ_S10_S11_S12_S16_S17_S18_S1B_S1C_jS1D_jS1E_S1E_jjS1G_bEUljE0_EEESZ_S10_S11_S18_S1C_S1E_T6_T7_T9_mT8_S1G_bDpT10_ENKUlT_T0_E_clISt17integral_constantIbLb1EES1U_EEDaS1P_S1Q_EUlS1P_E_NS1_11comp_targetILNS1_3genE3ELNS1_11target_archE908ELNS1_3gpuE7ELNS1_3repE0EEENS1_30default_config_static_selectorELNS0_4arch9wavefront6targetE1EEEvS12_
; %bb.0:
	.section	.rodata,"a",@progbits
	.p2align	6, 0x0
	.amdhsa_kernel _ZN7rocprim17ROCPRIM_400000_NS6detail17trampoline_kernelINS0_13select_configILj256ELj13ELNS0_17block_load_methodE3ELS4_3ELS4_3ELNS0_20block_scan_algorithmE0ELj4294967295EEENS1_25partition_config_selectorILNS1_17partition_subalgoE4EjNS0_10empty_typeEbEEZZNS1_14partition_implILS8_4ELb0ES6_15HIP_vector_typeIjLj2EENS0_17counting_iteratorIjlEEPS9_SG_NS0_5tupleIJPjSI_NS0_16reverse_iteratorISI_EEEEENSH_IJSG_SG_SG_EEES9_SI_JZNS1_25segmented_radix_sort_implINS0_14default_configELb0EPKfPfPKlPlN2at6native12_GLOBAL__N_18offset_tEEE10hipError_tPvRmT1_PNSt15iterator_traitsIS12_E10value_typeET2_T3_PNS13_IS18_E10value_typeET4_jRbjT5_S1E_jjP12ihipStream_tbEUljE_ZNSN_ISO_Lb0ESQ_SR_ST_SU_SY_EESZ_S10_S11_S12_S16_S17_S18_S1B_S1C_jS1D_jS1E_S1E_jjS1G_bEUljE0_EEESZ_S10_S11_S18_S1C_S1E_T6_T7_T9_mT8_S1G_bDpT10_ENKUlT_T0_E_clISt17integral_constantIbLb1EES1U_EEDaS1P_S1Q_EUlS1P_E_NS1_11comp_targetILNS1_3genE3ELNS1_11target_archE908ELNS1_3gpuE7ELNS1_3repE0EEENS1_30default_config_static_selectorELNS0_4arch9wavefront6targetE1EEEvS12_
		.amdhsa_group_segment_fixed_size 0
		.amdhsa_private_segment_fixed_size 0
		.amdhsa_kernarg_size 184
		.amdhsa_user_sgpr_count 6
		.amdhsa_user_sgpr_private_segment_buffer 1
		.amdhsa_user_sgpr_dispatch_ptr 0
		.amdhsa_user_sgpr_queue_ptr 0
		.amdhsa_user_sgpr_kernarg_segment_ptr 1
		.amdhsa_user_sgpr_dispatch_id 0
		.amdhsa_user_sgpr_flat_scratch_init 0
		.amdhsa_user_sgpr_private_segment_size 0
		.amdhsa_uses_dynamic_stack 0
		.amdhsa_system_sgpr_private_segment_wavefront_offset 0
		.amdhsa_system_sgpr_workgroup_id_x 1
		.amdhsa_system_sgpr_workgroup_id_y 0
		.amdhsa_system_sgpr_workgroup_id_z 0
		.amdhsa_system_sgpr_workgroup_info 0
		.amdhsa_system_vgpr_workitem_id 0
		.amdhsa_next_free_vgpr 1
		.amdhsa_next_free_sgpr 0
		.amdhsa_reserve_vcc 0
		.amdhsa_reserve_flat_scratch 0
		.amdhsa_float_round_mode_32 0
		.amdhsa_float_round_mode_16_64 0
		.amdhsa_float_denorm_mode_32 3
		.amdhsa_float_denorm_mode_16_64 3
		.amdhsa_dx10_clamp 1
		.amdhsa_ieee_mode 1
		.amdhsa_fp16_overflow 0
		.amdhsa_exception_fp_ieee_invalid_op 0
		.amdhsa_exception_fp_denorm_src 0
		.amdhsa_exception_fp_ieee_div_zero 0
		.amdhsa_exception_fp_ieee_overflow 0
		.amdhsa_exception_fp_ieee_underflow 0
		.amdhsa_exception_fp_ieee_inexact 0
		.amdhsa_exception_int_div_zero 0
	.end_amdhsa_kernel
	.section	.text._ZN7rocprim17ROCPRIM_400000_NS6detail17trampoline_kernelINS0_13select_configILj256ELj13ELNS0_17block_load_methodE3ELS4_3ELS4_3ELNS0_20block_scan_algorithmE0ELj4294967295EEENS1_25partition_config_selectorILNS1_17partition_subalgoE4EjNS0_10empty_typeEbEEZZNS1_14partition_implILS8_4ELb0ES6_15HIP_vector_typeIjLj2EENS0_17counting_iteratorIjlEEPS9_SG_NS0_5tupleIJPjSI_NS0_16reverse_iteratorISI_EEEEENSH_IJSG_SG_SG_EEES9_SI_JZNS1_25segmented_radix_sort_implINS0_14default_configELb0EPKfPfPKlPlN2at6native12_GLOBAL__N_18offset_tEEE10hipError_tPvRmT1_PNSt15iterator_traitsIS12_E10value_typeET2_T3_PNS13_IS18_E10value_typeET4_jRbjT5_S1E_jjP12ihipStream_tbEUljE_ZNSN_ISO_Lb0ESQ_SR_ST_SU_SY_EESZ_S10_S11_S12_S16_S17_S18_S1B_S1C_jS1D_jS1E_S1E_jjS1G_bEUljE0_EEESZ_S10_S11_S18_S1C_S1E_T6_T7_T9_mT8_S1G_bDpT10_ENKUlT_T0_E_clISt17integral_constantIbLb1EES1U_EEDaS1P_S1Q_EUlS1P_E_NS1_11comp_targetILNS1_3genE3ELNS1_11target_archE908ELNS1_3gpuE7ELNS1_3repE0EEENS1_30default_config_static_selectorELNS0_4arch9wavefront6targetE1EEEvS12_,"axG",@progbits,_ZN7rocprim17ROCPRIM_400000_NS6detail17trampoline_kernelINS0_13select_configILj256ELj13ELNS0_17block_load_methodE3ELS4_3ELS4_3ELNS0_20block_scan_algorithmE0ELj4294967295EEENS1_25partition_config_selectorILNS1_17partition_subalgoE4EjNS0_10empty_typeEbEEZZNS1_14partition_implILS8_4ELb0ES6_15HIP_vector_typeIjLj2EENS0_17counting_iteratorIjlEEPS9_SG_NS0_5tupleIJPjSI_NS0_16reverse_iteratorISI_EEEEENSH_IJSG_SG_SG_EEES9_SI_JZNS1_25segmented_radix_sort_implINS0_14default_configELb0EPKfPfPKlPlN2at6native12_GLOBAL__N_18offset_tEEE10hipError_tPvRmT1_PNSt15iterator_traitsIS12_E10value_typeET2_T3_PNS13_IS18_E10value_typeET4_jRbjT5_S1E_jjP12ihipStream_tbEUljE_ZNSN_ISO_Lb0ESQ_SR_ST_SU_SY_EESZ_S10_S11_S12_S16_S17_S18_S1B_S1C_jS1D_jS1E_S1E_jjS1G_bEUljE0_EEESZ_S10_S11_S18_S1C_S1E_T6_T7_T9_mT8_S1G_bDpT10_ENKUlT_T0_E_clISt17integral_constantIbLb1EES1U_EEDaS1P_S1Q_EUlS1P_E_NS1_11comp_targetILNS1_3genE3ELNS1_11target_archE908ELNS1_3gpuE7ELNS1_3repE0EEENS1_30default_config_static_selectorELNS0_4arch9wavefront6targetE1EEEvS12_,comdat
.Lfunc_end1375:
	.size	_ZN7rocprim17ROCPRIM_400000_NS6detail17trampoline_kernelINS0_13select_configILj256ELj13ELNS0_17block_load_methodE3ELS4_3ELS4_3ELNS0_20block_scan_algorithmE0ELj4294967295EEENS1_25partition_config_selectorILNS1_17partition_subalgoE4EjNS0_10empty_typeEbEEZZNS1_14partition_implILS8_4ELb0ES6_15HIP_vector_typeIjLj2EENS0_17counting_iteratorIjlEEPS9_SG_NS0_5tupleIJPjSI_NS0_16reverse_iteratorISI_EEEEENSH_IJSG_SG_SG_EEES9_SI_JZNS1_25segmented_radix_sort_implINS0_14default_configELb0EPKfPfPKlPlN2at6native12_GLOBAL__N_18offset_tEEE10hipError_tPvRmT1_PNSt15iterator_traitsIS12_E10value_typeET2_T3_PNS13_IS18_E10value_typeET4_jRbjT5_S1E_jjP12ihipStream_tbEUljE_ZNSN_ISO_Lb0ESQ_SR_ST_SU_SY_EESZ_S10_S11_S12_S16_S17_S18_S1B_S1C_jS1D_jS1E_S1E_jjS1G_bEUljE0_EEESZ_S10_S11_S18_S1C_S1E_T6_T7_T9_mT8_S1G_bDpT10_ENKUlT_T0_E_clISt17integral_constantIbLb1EES1U_EEDaS1P_S1Q_EUlS1P_E_NS1_11comp_targetILNS1_3genE3ELNS1_11target_archE908ELNS1_3gpuE7ELNS1_3repE0EEENS1_30default_config_static_selectorELNS0_4arch9wavefront6targetE1EEEvS12_, .Lfunc_end1375-_ZN7rocprim17ROCPRIM_400000_NS6detail17trampoline_kernelINS0_13select_configILj256ELj13ELNS0_17block_load_methodE3ELS4_3ELS4_3ELNS0_20block_scan_algorithmE0ELj4294967295EEENS1_25partition_config_selectorILNS1_17partition_subalgoE4EjNS0_10empty_typeEbEEZZNS1_14partition_implILS8_4ELb0ES6_15HIP_vector_typeIjLj2EENS0_17counting_iteratorIjlEEPS9_SG_NS0_5tupleIJPjSI_NS0_16reverse_iteratorISI_EEEEENSH_IJSG_SG_SG_EEES9_SI_JZNS1_25segmented_radix_sort_implINS0_14default_configELb0EPKfPfPKlPlN2at6native12_GLOBAL__N_18offset_tEEE10hipError_tPvRmT1_PNSt15iterator_traitsIS12_E10value_typeET2_T3_PNS13_IS18_E10value_typeET4_jRbjT5_S1E_jjP12ihipStream_tbEUljE_ZNSN_ISO_Lb0ESQ_SR_ST_SU_SY_EESZ_S10_S11_S12_S16_S17_S18_S1B_S1C_jS1D_jS1E_S1E_jjS1G_bEUljE0_EEESZ_S10_S11_S18_S1C_S1E_T6_T7_T9_mT8_S1G_bDpT10_ENKUlT_T0_E_clISt17integral_constantIbLb1EES1U_EEDaS1P_S1Q_EUlS1P_E_NS1_11comp_targetILNS1_3genE3ELNS1_11target_archE908ELNS1_3gpuE7ELNS1_3repE0EEENS1_30default_config_static_selectorELNS0_4arch9wavefront6targetE1EEEvS12_
                                        ; -- End function
	.set _ZN7rocprim17ROCPRIM_400000_NS6detail17trampoline_kernelINS0_13select_configILj256ELj13ELNS0_17block_load_methodE3ELS4_3ELS4_3ELNS0_20block_scan_algorithmE0ELj4294967295EEENS1_25partition_config_selectorILNS1_17partition_subalgoE4EjNS0_10empty_typeEbEEZZNS1_14partition_implILS8_4ELb0ES6_15HIP_vector_typeIjLj2EENS0_17counting_iteratorIjlEEPS9_SG_NS0_5tupleIJPjSI_NS0_16reverse_iteratorISI_EEEEENSH_IJSG_SG_SG_EEES9_SI_JZNS1_25segmented_radix_sort_implINS0_14default_configELb0EPKfPfPKlPlN2at6native12_GLOBAL__N_18offset_tEEE10hipError_tPvRmT1_PNSt15iterator_traitsIS12_E10value_typeET2_T3_PNS13_IS18_E10value_typeET4_jRbjT5_S1E_jjP12ihipStream_tbEUljE_ZNSN_ISO_Lb0ESQ_SR_ST_SU_SY_EESZ_S10_S11_S12_S16_S17_S18_S1B_S1C_jS1D_jS1E_S1E_jjS1G_bEUljE0_EEESZ_S10_S11_S18_S1C_S1E_T6_T7_T9_mT8_S1G_bDpT10_ENKUlT_T0_E_clISt17integral_constantIbLb1EES1U_EEDaS1P_S1Q_EUlS1P_E_NS1_11comp_targetILNS1_3genE3ELNS1_11target_archE908ELNS1_3gpuE7ELNS1_3repE0EEENS1_30default_config_static_selectorELNS0_4arch9wavefront6targetE1EEEvS12_.num_vgpr, 0
	.set _ZN7rocprim17ROCPRIM_400000_NS6detail17trampoline_kernelINS0_13select_configILj256ELj13ELNS0_17block_load_methodE3ELS4_3ELS4_3ELNS0_20block_scan_algorithmE0ELj4294967295EEENS1_25partition_config_selectorILNS1_17partition_subalgoE4EjNS0_10empty_typeEbEEZZNS1_14partition_implILS8_4ELb0ES6_15HIP_vector_typeIjLj2EENS0_17counting_iteratorIjlEEPS9_SG_NS0_5tupleIJPjSI_NS0_16reverse_iteratorISI_EEEEENSH_IJSG_SG_SG_EEES9_SI_JZNS1_25segmented_radix_sort_implINS0_14default_configELb0EPKfPfPKlPlN2at6native12_GLOBAL__N_18offset_tEEE10hipError_tPvRmT1_PNSt15iterator_traitsIS12_E10value_typeET2_T3_PNS13_IS18_E10value_typeET4_jRbjT5_S1E_jjP12ihipStream_tbEUljE_ZNSN_ISO_Lb0ESQ_SR_ST_SU_SY_EESZ_S10_S11_S12_S16_S17_S18_S1B_S1C_jS1D_jS1E_S1E_jjS1G_bEUljE0_EEESZ_S10_S11_S18_S1C_S1E_T6_T7_T9_mT8_S1G_bDpT10_ENKUlT_T0_E_clISt17integral_constantIbLb1EES1U_EEDaS1P_S1Q_EUlS1P_E_NS1_11comp_targetILNS1_3genE3ELNS1_11target_archE908ELNS1_3gpuE7ELNS1_3repE0EEENS1_30default_config_static_selectorELNS0_4arch9wavefront6targetE1EEEvS12_.num_agpr, 0
	.set _ZN7rocprim17ROCPRIM_400000_NS6detail17trampoline_kernelINS0_13select_configILj256ELj13ELNS0_17block_load_methodE3ELS4_3ELS4_3ELNS0_20block_scan_algorithmE0ELj4294967295EEENS1_25partition_config_selectorILNS1_17partition_subalgoE4EjNS0_10empty_typeEbEEZZNS1_14partition_implILS8_4ELb0ES6_15HIP_vector_typeIjLj2EENS0_17counting_iteratorIjlEEPS9_SG_NS0_5tupleIJPjSI_NS0_16reverse_iteratorISI_EEEEENSH_IJSG_SG_SG_EEES9_SI_JZNS1_25segmented_radix_sort_implINS0_14default_configELb0EPKfPfPKlPlN2at6native12_GLOBAL__N_18offset_tEEE10hipError_tPvRmT1_PNSt15iterator_traitsIS12_E10value_typeET2_T3_PNS13_IS18_E10value_typeET4_jRbjT5_S1E_jjP12ihipStream_tbEUljE_ZNSN_ISO_Lb0ESQ_SR_ST_SU_SY_EESZ_S10_S11_S12_S16_S17_S18_S1B_S1C_jS1D_jS1E_S1E_jjS1G_bEUljE0_EEESZ_S10_S11_S18_S1C_S1E_T6_T7_T9_mT8_S1G_bDpT10_ENKUlT_T0_E_clISt17integral_constantIbLb1EES1U_EEDaS1P_S1Q_EUlS1P_E_NS1_11comp_targetILNS1_3genE3ELNS1_11target_archE908ELNS1_3gpuE7ELNS1_3repE0EEENS1_30default_config_static_selectorELNS0_4arch9wavefront6targetE1EEEvS12_.numbered_sgpr, 0
	.set _ZN7rocprim17ROCPRIM_400000_NS6detail17trampoline_kernelINS0_13select_configILj256ELj13ELNS0_17block_load_methodE3ELS4_3ELS4_3ELNS0_20block_scan_algorithmE0ELj4294967295EEENS1_25partition_config_selectorILNS1_17partition_subalgoE4EjNS0_10empty_typeEbEEZZNS1_14partition_implILS8_4ELb0ES6_15HIP_vector_typeIjLj2EENS0_17counting_iteratorIjlEEPS9_SG_NS0_5tupleIJPjSI_NS0_16reverse_iteratorISI_EEEEENSH_IJSG_SG_SG_EEES9_SI_JZNS1_25segmented_radix_sort_implINS0_14default_configELb0EPKfPfPKlPlN2at6native12_GLOBAL__N_18offset_tEEE10hipError_tPvRmT1_PNSt15iterator_traitsIS12_E10value_typeET2_T3_PNS13_IS18_E10value_typeET4_jRbjT5_S1E_jjP12ihipStream_tbEUljE_ZNSN_ISO_Lb0ESQ_SR_ST_SU_SY_EESZ_S10_S11_S12_S16_S17_S18_S1B_S1C_jS1D_jS1E_S1E_jjS1G_bEUljE0_EEESZ_S10_S11_S18_S1C_S1E_T6_T7_T9_mT8_S1G_bDpT10_ENKUlT_T0_E_clISt17integral_constantIbLb1EES1U_EEDaS1P_S1Q_EUlS1P_E_NS1_11comp_targetILNS1_3genE3ELNS1_11target_archE908ELNS1_3gpuE7ELNS1_3repE0EEENS1_30default_config_static_selectorELNS0_4arch9wavefront6targetE1EEEvS12_.num_named_barrier, 0
	.set _ZN7rocprim17ROCPRIM_400000_NS6detail17trampoline_kernelINS0_13select_configILj256ELj13ELNS0_17block_load_methodE3ELS4_3ELS4_3ELNS0_20block_scan_algorithmE0ELj4294967295EEENS1_25partition_config_selectorILNS1_17partition_subalgoE4EjNS0_10empty_typeEbEEZZNS1_14partition_implILS8_4ELb0ES6_15HIP_vector_typeIjLj2EENS0_17counting_iteratorIjlEEPS9_SG_NS0_5tupleIJPjSI_NS0_16reverse_iteratorISI_EEEEENSH_IJSG_SG_SG_EEES9_SI_JZNS1_25segmented_radix_sort_implINS0_14default_configELb0EPKfPfPKlPlN2at6native12_GLOBAL__N_18offset_tEEE10hipError_tPvRmT1_PNSt15iterator_traitsIS12_E10value_typeET2_T3_PNS13_IS18_E10value_typeET4_jRbjT5_S1E_jjP12ihipStream_tbEUljE_ZNSN_ISO_Lb0ESQ_SR_ST_SU_SY_EESZ_S10_S11_S12_S16_S17_S18_S1B_S1C_jS1D_jS1E_S1E_jjS1G_bEUljE0_EEESZ_S10_S11_S18_S1C_S1E_T6_T7_T9_mT8_S1G_bDpT10_ENKUlT_T0_E_clISt17integral_constantIbLb1EES1U_EEDaS1P_S1Q_EUlS1P_E_NS1_11comp_targetILNS1_3genE3ELNS1_11target_archE908ELNS1_3gpuE7ELNS1_3repE0EEENS1_30default_config_static_selectorELNS0_4arch9wavefront6targetE1EEEvS12_.private_seg_size, 0
	.set _ZN7rocprim17ROCPRIM_400000_NS6detail17trampoline_kernelINS0_13select_configILj256ELj13ELNS0_17block_load_methodE3ELS4_3ELS4_3ELNS0_20block_scan_algorithmE0ELj4294967295EEENS1_25partition_config_selectorILNS1_17partition_subalgoE4EjNS0_10empty_typeEbEEZZNS1_14partition_implILS8_4ELb0ES6_15HIP_vector_typeIjLj2EENS0_17counting_iteratorIjlEEPS9_SG_NS0_5tupleIJPjSI_NS0_16reverse_iteratorISI_EEEEENSH_IJSG_SG_SG_EEES9_SI_JZNS1_25segmented_radix_sort_implINS0_14default_configELb0EPKfPfPKlPlN2at6native12_GLOBAL__N_18offset_tEEE10hipError_tPvRmT1_PNSt15iterator_traitsIS12_E10value_typeET2_T3_PNS13_IS18_E10value_typeET4_jRbjT5_S1E_jjP12ihipStream_tbEUljE_ZNSN_ISO_Lb0ESQ_SR_ST_SU_SY_EESZ_S10_S11_S12_S16_S17_S18_S1B_S1C_jS1D_jS1E_S1E_jjS1G_bEUljE0_EEESZ_S10_S11_S18_S1C_S1E_T6_T7_T9_mT8_S1G_bDpT10_ENKUlT_T0_E_clISt17integral_constantIbLb1EES1U_EEDaS1P_S1Q_EUlS1P_E_NS1_11comp_targetILNS1_3genE3ELNS1_11target_archE908ELNS1_3gpuE7ELNS1_3repE0EEENS1_30default_config_static_selectorELNS0_4arch9wavefront6targetE1EEEvS12_.uses_vcc, 0
	.set _ZN7rocprim17ROCPRIM_400000_NS6detail17trampoline_kernelINS0_13select_configILj256ELj13ELNS0_17block_load_methodE3ELS4_3ELS4_3ELNS0_20block_scan_algorithmE0ELj4294967295EEENS1_25partition_config_selectorILNS1_17partition_subalgoE4EjNS0_10empty_typeEbEEZZNS1_14partition_implILS8_4ELb0ES6_15HIP_vector_typeIjLj2EENS0_17counting_iteratorIjlEEPS9_SG_NS0_5tupleIJPjSI_NS0_16reverse_iteratorISI_EEEEENSH_IJSG_SG_SG_EEES9_SI_JZNS1_25segmented_radix_sort_implINS0_14default_configELb0EPKfPfPKlPlN2at6native12_GLOBAL__N_18offset_tEEE10hipError_tPvRmT1_PNSt15iterator_traitsIS12_E10value_typeET2_T3_PNS13_IS18_E10value_typeET4_jRbjT5_S1E_jjP12ihipStream_tbEUljE_ZNSN_ISO_Lb0ESQ_SR_ST_SU_SY_EESZ_S10_S11_S12_S16_S17_S18_S1B_S1C_jS1D_jS1E_S1E_jjS1G_bEUljE0_EEESZ_S10_S11_S18_S1C_S1E_T6_T7_T9_mT8_S1G_bDpT10_ENKUlT_T0_E_clISt17integral_constantIbLb1EES1U_EEDaS1P_S1Q_EUlS1P_E_NS1_11comp_targetILNS1_3genE3ELNS1_11target_archE908ELNS1_3gpuE7ELNS1_3repE0EEENS1_30default_config_static_selectorELNS0_4arch9wavefront6targetE1EEEvS12_.uses_flat_scratch, 0
	.set _ZN7rocprim17ROCPRIM_400000_NS6detail17trampoline_kernelINS0_13select_configILj256ELj13ELNS0_17block_load_methodE3ELS4_3ELS4_3ELNS0_20block_scan_algorithmE0ELj4294967295EEENS1_25partition_config_selectorILNS1_17partition_subalgoE4EjNS0_10empty_typeEbEEZZNS1_14partition_implILS8_4ELb0ES6_15HIP_vector_typeIjLj2EENS0_17counting_iteratorIjlEEPS9_SG_NS0_5tupleIJPjSI_NS0_16reverse_iteratorISI_EEEEENSH_IJSG_SG_SG_EEES9_SI_JZNS1_25segmented_radix_sort_implINS0_14default_configELb0EPKfPfPKlPlN2at6native12_GLOBAL__N_18offset_tEEE10hipError_tPvRmT1_PNSt15iterator_traitsIS12_E10value_typeET2_T3_PNS13_IS18_E10value_typeET4_jRbjT5_S1E_jjP12ihipStream_tbEUljE_ZNSN_ISO_Lb0ESQ_SR_ST_SU_SY_EESZ_S10_S11_S12_S16_S17_S18_S1B_S1C_jS1D_jS1E_S1E_jjS1G_bEUljE0_EEESZ_S10_S11_S18_S1C_S1E_T6_T7_T9_mT8_S1G_bDpT10_ENKUlT_T0_E_clISt17integral_constantIbLb1EES1U_EEDaS1P_S1Q_EUlS1P_E_NS1_11comp_targetILNS1_3genE3ELNS1_11target_archE908ELNS1_3gpuE7ELNS1_3repE0EEENS1_30default_config_static_selectorELNS0_4arch9wavefront6targetE1EEEvS12_.has_dyn_sized_stack, 0
	.set _ZN7rocprim17ROCPRIM_400000_NS6detail17trampoline_kernelINS0_13select_configILj256ELj13ELNS0_17block_load_methodE3ELS4_3ELS4_3ELNS0_20block_scan_algorithmE0ELj4294967295EEENS1_25partition_config_selectorILNS1_17partition_subalgoE4EjNS0_10empty_typeEbEEZZNS1_14partition_implILS8_4ELb0ES6_15HIP_vector_typeIjLj2EENS0_17counting_iteratorIjlEEPS9_SG_NS0_5tupleIJPjSI_NS0_16reverse_iteratorISI_EEEEENSH_IJSG_SG_SG_EEES9_SI_JZNS1_25segmented_radix_sort_implINS0_14default_configELb0EPKfPfPKlPlN2at6native12_GLOBAL__N_18offset_tEEE10hipError_tPvRmT1_PNSt15iterator_traitsIS12_E10value_typeET2_T3_PNS13_IS18_E10value_typeET4_jRbjT5_S1E_jjP12ihipStream_tbEUljE_ZNSN_ISO_Lb0ESQ_SR_ST_SU_SY_EESZ_S10_S11_S12_S16_S17_S18_S1B_S1C_jS1D_jS1E_S1E_jjS1G_bEUljE0_EEESZ_S10_S11_S18_S1C_S1E_T6_T7_T9_mT8_S1G_bDpT10_ENKUlT_T0_E_clISt17integral_constantIbLb1EES1U_EEDaS1P_S1Q_EUlS1P_E_NS1_11comp_targetILNS1_3genE3ELNS1_11target_archE908ELNS1_3gpuE7ELNS1_3repE0EEENS1_30default_config_static_selectorELNS0_4arch9wavefront6targetE1EEEvS12_.has_recursion, 0
	.set _ZN7rocprim17ROCPRIM_400000_NS6detail17trampoline_kernelINS0_13select_configILj256ELj13ELNS0_17block_load_methodE3ELS4_3ELS4_3ELNS0_20block_scan_algorithmE0ELj4294967295EEENS1_25partition_config_selectorILNS1_17partition_subalgoE4EjNS0_10empty_typeEbEEZZNS1_14partition_implILS8_4ELb0ES6_15HIP_vector_typeIjLj2EENS0_17counting_iteratorIjlEEPS9_SG_NS0_5tupleIJPjSI_NS0_16reverse_iteratorISI_EEEEENSH_IJSG_SG_SG_EEES9_SI_JZNS1_25segmented_radix_sort_implINS0_14default_configELb0EPKfPfPKlPlN2at6native12_GLOBAL__N_18offset_tEEE10hipError_tPvRmT1_PNSt15iterator_traitsIS12_E10value_typeET2_T3_PNS13_IS18_E10value_typeET4_jRbjT5_S1E_jjP12ihipStream_tbEUljE_ZNSN_ISO_Lb0ESQ_SR_ST_SU_SY_EESZ_S10_S11_S12_S16_S17_S18_S1B_S1C_jS1D_jS1E_S1E_jjS1G_bEUljE0_EEESZ_S10_S11_S18_S1C_S1E_T6_T7_T9_mT8_S1G_bDpT10_ENKUlT_T0_E_clISt17integral_constantIbLb1EES1U_EEDaS1P_S1Q_EUlS1P_E_NS1_11comp_targetILNS1_3genE3ELNS1_11target_archE908ELNS1_3gpuE7ELNS1_3repE0EEENS1_30default_config_static_selectorELNS0_4arch9wavefront6targetE1EEEvS12_.has_indirect_call, 0
	.section	.AMDGPU.csdata,"",@progbits
; Kernel info:
; codeLenInByte = 0
; TotalNumSgprs: 4
; NumVgprs: 0
; ScratchSize: 0
; MemoryBound: 0
; FloatMode: 240
; IeeeMode: 1
; LDSByteSize: 0 bytes/workgroup (compile time only)
; SGPRBlocks: 0
; VGPRBlocks: 0
; NumSGPRsForWavesPerEU: 4
; NumVGPRsForWavesPerEU: 1
; Occupancy: 10
; WaveLimiterHint : 0
; COMPUTE_PGM_RSRC2:SCRATCH_EN: 0
; COMPUTE_PGM_RSRC2:USER_SGPR: 6
; COMPUTE_PGM_RSRC2:TRAP_HANDLER: 0
; COMPUTE_PGM_RSRC2:TGID_X_EN: 1
; COMPUTE_PGM_RSRC2:TGID_Y_EN: 0
; COMPUTE_PGM_RSRC2:TGID_Z_EN: 0
; COMPUTE_PGM_RSRC2:TIDIG_COMP_CNT: 0
	.section	.text._ZN7rocprim17ROCPRIM_400000_NS6detail17trampoline_kernelINS0_13select_configILj256ELj13ELNS0_17block_load_methodE3ELS4_3ELS4_3ELNS0_20block_scan_algorithmE0ELj4294967295EEENS1_25partition_config_selectorILNS1_17partition_subalgoE4EjNS0_10empty_typeEbEEZZNS1_14partition_implILS8_4ELb0ES6_15HIP_vector_typeIjLj2EENS0_17counting_iteratorIjlEEPS9_SG_NS0_5tupleIJPjSI_NS0_16reverse_iteratorISI_EEEEENSH_IJSG_SG_SG_EEES9_SI_JZNS1_25segmented_radix_sort_implINS0_14default_configELb0EPKfPfPKlPlN2at6native12_GLOBAL__N_18offset_tEEE10hipError_tPvRmT1_PNSt15iterator_traitsIS12_E10value_typeET2_T3_PNS13_IS18_E10value_typeET4_jRbjT5_S1E_jjP12ihipStream_tbEUljE_ZNSN_ISO_Lb0ESQ_SR_ST_SU_SY_EESZ_S10_S11_S12_S16_S17_S18_S1B_S1C_jS1D_jS1E_S1E_jjS1G_bEUljE0_EEESZ_S10_S11_S18_S1C_S1E_T6_T7_T9_mT8_S1G_bDpT10_ENKUlT_T0_E_clISt17integral_constantIbLb1EES1U_EEDaS1P_S1Q_EUlS1P_E_NS1_11comp_targetILNS1_3genE2ELNS1_11target_archE906ELNS1_3gpuE6ELNS1_3repE0EEENS1_30default_config_static_selectorELNS0_4arch9wavefront6targetE1EEEvS12_,"axG",@progbits,_ZN7rocprim17ROCPRIM_400000_NS6detail17trampoline_kernelINS0_13select_configILj256ELj13ELNS0_17block_load_methodE3ELS4_3ELS4_3ELNS0_20block_scan_algorithmE0ELj4294967295EEENS1_25partition_config_selectorILNS1_17partition_subalgoE4EjNS0_10empty_typeEbEEZZNS1_14partition_implILS8_4ELb0ES6_15HIP_vector_typeIjLj2EENS0_17counting_iteratorIjlEEPS9_SG_NS0_5tupleIJPjSI_NS0_16reverse_iteratorISI_EEEEENSH_IJSG_SG_SG_EEES9_SI_JZNS1_25segmented_radix_sort_implINS0_14default_configELb0EPKfPfPKlPlN2at6native12_GLOBAL__N_18offset_tEEE10hipError_tPvRmT1_PNSt15iterator_traitsIS12_E10value_typeET2_T3_PNS13_IS18_E10value_typeET4_jRbjT5_S1E_jjP12ihipStream_tbEUljE_ZNSN_ISO_Lb0ESQ_SR_ST_SU_SY_EESZ_S10_S11_S12_S16_S17_S18_S1B_S1C_jS1D_jS1E_S1E_jjS1G_bEUljE0_EEESZ_S10_S11_S18_S1C_S1E_T6_T7_T9_mT8_S1G_bDpT10_ENKUlT_T0_E_clISt17integral_constantIbLb1EES1U_EEDaS1P_S1Q_EUlS1P_E_NS1_11comp_targetILNS1_3genE2ELNS1_11target_archE906ELNS1_3gpuE6ELNS1_3repE0EEENS1_30default_config_static_selectorELNS0_4arch9wavefront6targetE1EEEvS12_,comdat
	.globl	_ZN7rocprim17ROCPRIM_400000_NS6detail17trampoline_kernelINS0_13select_configILj256ELj13ELNS0_17block_load_methodE3ELS4_3ELS4_3ELNS0_20block_scan_algorithmE0ELj4294967295EEENS1_25partition_config_selectorILNS1_17partition_subalgoE4EjNS0_10empty_typeEbEEZZNS1_14partition_implILS8_4ELb0ES6_15HIP_vector_typeIjLj2EENS0_17counting_iteratorIjlEEPS9_SG_NS0_5tupleIJPjSI_NS0_16reverse_iteratorISI_EEEEENSH_IJSG_SG_SG_EEES9_SI_JZNS1_25segmented_radix_sort_implINS0_14default_configELb0EPKfPfPKlPlN2at6native12_GLOBAL__N_18offset_tEEE10hipError_tPvRmT1_PNSt15iterator_traitsIS12_E10value_typeET2_T3_PNS13_IS18_E10value_typeET4_jRbjT5_S1E_jjP12ihipStream_tbEUljE_ZNSN_ISO_Lb0ESQ_SR_ST_SU_SY_EESZ_S10_S11_S12_S16_S17_S18_S1B_S1C_jS1D_jS1E_S1E_jjS1G_bEUljE0_EEESZ_S10_S11_S18_S1C_S1E_T6_T7_T9_mT8_S1G_bDpT10_ENKUlT_T0_E_clISt17integral_constantIbLb1EES1U_EEDaS1P_S1Q_EUlS1P_E_NS1_11comp_targetILNS1_3genE2ELNS1_11target_archE906ELNS1_3gpuE6ELNS1_3repE0EEENS1_30default_config_static_selectorELNS0_4arch9wavefront6targetE1EEEvS12_ ; -- Begin function _ZN7rocprim17ROCPRIM_400000_NS6detail17trampoline_kernelINS0_13select_configILj256ELj13ELNS0_17block_load_methodE3ELS4_3ELS4_3ELNS0_20block_scan_algorithmE0ELj4294967295EEENS1_25partition_config_selectorILNS1_17partition_subalgoE4EjNS0_10empty_typeEbEEZZNS1_14partition_implILS8_4ELb0ES6_15HIP_vector_typeIjLj2EENS0_17counting_iteratorIjlEEPS9_SG_NS0_5tupleIJPjSI_NS0_16reverse_iteratorISI_EEEEENSH_IJSG_SG_SG_EEES9_SI_JZNS1_25segmented_radix_sort_implINS0_14default_configELb0EPKfPfPKlPlN2at6native12_GLOBAL__N_18offset_tEEE10hipError_tPvRmT1_PNSt15iterator_traitsIS12_E10value_typeET2_T3_PNS13_IS18_E10value_typeET4_jRbjT5_S1E_jjP12ihipStream_tbEUljE_ZNSN_ISO_Lb0ESQ_SR_ST_SU_SY_EESZ_S10_S11_S12_S16_S17_S18_S1B_S1C_jS1D_jS1E_S1E_jjS1G_bEUljE0_EEESZ_S10_S11_S18_S1C_S1E_T6_T7_T9_mT8_S1G_bDpT10_ENKUlT_T0_E_clISt17integral_constantIbLb1EES1U_EEDaS1P_S1Q_EUlS1P_E_NS1_11comp_targetILNS1_3genE2ELNS1_11target_archE906ELNS1_3gpuE6ELNS1_3repE0EEENS1_30default_config_static_selectorELNS0_4arch9wavefront6targetE1EEEvS12_
	.p2align	8
	.type	_ZN7rocprim17ROCPRIM_400000_NS6detail17trampoline_kernelINS0_13select_configILj256ELj13ELNS0_17block_load_methodE3ELS4_3ELS4_3ELNS0_20block_scan_algorithmE0ELj4294967295EEENS1_25partition_config_selectorILNS1_17partition_subalgoE4EjNS0_10empty_typeEbEEZZNS1_14partition_implILS8_4ELb0ES6_15HIP_vector_typeIjLj2EENS0_17counting_iteratorIjlEEPS9_SG_NS0_5tupleIJPjSI_NS0_16reverse_iteratorISI_EEEEENSH_IJSG_SG_SG_EEES9_SI_JZNS1_25segmented_radix_sort_implINS0_14default_configELb0EPKfPfPKlPlN2at6native12_GLOBAL__N_18offset_tEEE10hipError_tPvRmT1_PNSt15iterator_traitsIS12_E10value_typeET2_T3_PNS13_IS18_E10value_typeET4_jRbjT5_S1E_jjP12ihipStream_tbEUljE_ZNSN_ISO_Lb0ESQ_SR_ST_SU_SY_EESZ_S10_S11_S12_S16_S17_S18_S1B_S1C_jS1D_jS1E_S1E_jjS1G_bEUljE0_EEESZ_S10_S11_S18_S1C_S1E_T6_T7_T9_mT8_S1G_bDpT10_ENKUlT_T0_E_clISt17integral_constantIbLb1EES1U_EEDaS1P_S1Q_EUlS1P_E_NS1_11comp_targetILNS1_3genE2ELNS1_11target_archE906ELNS1_3gpuE6ELNS1_3repE0EEENS1_30default_config_static_selectorELNS0_4arch9wavefront6targetE1EEEvS12_,@function
_ZN7rocprim17ROCPRIM_400000_NS6detail17trampoline_kernelINS0_13select_configILj256ELj13ELNS0_17block_load_methodE3ELS4_3ELS4_3ELNS0_20block_scan_algorithmE0ELj4294967295EEENS1_25partition_config_selectorILNS1_17partition_subalgoE4EjNS0_10empty_typeEbEEZZNS1_14partition_implILS8_4ELb0ES6_15HIP_vector_typeIjLj2EENS0_17counting_iteratorIjlEEPS9_SG_NS0_5tupleIJPjSI_NS0_16reverse_iteratorISI_EEEEENSH_IJSG_SG_SG_EEES9_SI_JZNS1_25segmented_radix_sort_implINS0_14default_configELb0EPKfPfPKlPlN2at6native12_GLOBAL__N_18offset_tEEE10hipError_tPvRmT1_PNSt15iterator_traitsIS12_E10value_typeET2_T3_PNS13_IS18_E10value_typeET4_jRbjT5_S1E_jjP12ihipStream_tbEUljE_ZNSN_ISO_Lb0ESQ_SR_ST_SU_SY_EESZ_S10_S11_S12_S16_S17_S18_S1B_S1C_jS1D_jS1E_S1E_jjS1G_bEUljE0_EEESZ_S10_S11_S18_S1C_S1E_T6_T7_T9_mT8_S1G_bDpT10_ENKUlT_T0_E_clISt17integral_constantIbLb1EES1U_EEDaS1P_S1Q_EUlS1P_E_NS1_11comp_targetILNS1_3genE2ELNS1_11target_archE906ELNS1_3gpuE6ELNS1_3repE0EEENS1_30default_config_static_selectorELNS0_4arch9wavefront6targetE1EEEvS12_: ; @_ZN7rocprim17ROCPRIM_400000_NS6detail17trampoline_kernelINS0_13select_configILj256ELj13ELNS0_17block_load_methodE3ELS4_3ELS4_3ELNS0_20block_scan_algorithmE0ELj4294967295EEENS1_25partition_config_selectorILNS1_17partition_subalgoE4EjNS0_10empty_typeEbEEZZNS1_14partition_implILS8_4ELb0ES6_15HIP_vector_typeIjLj2EENS0_17counting_iteratorIjlEEPS9_SG_NS0_5tupleIJPjSI_NS0_16reverse_iteratorISI_EEEEENSH_IJSG_SG_SG_EEES9_SI_JZNS1_25segmented_radix_sort_implINS0_14default_configELb0EPKfPfPKlPlN2at6native12_GLOBAL__N_18offset_tEEE10hipError_tPvRmT1_PNSt15iterator_traitsIS12_E10value_typeET2_T3_PNS13_IS18_E10value_typeET4_jRbjT5_S1E_jjP12ihipStream_tbEUljE_ZNSN_ISO_Lb0ESQ_SR_ST_SU_SY_EESZ_S10_S11_S12_S16_S17_S18_S1B_S1C_jS1D_jS1E_S1E_jjS1G_bEUljE0_EEESZ_S10_S11_S18_S1C_S1E_T6_T7_T9_mT8_S1G_bDpT10_ENKUlT_T0_E_clISt17integral_constantIbLb1EES1U_EEDaS1P_S1Q_EUlS1P_E_NS1_11comp_targetILNS1_3genE2ELNS1_11target_archE906ELNS1_3gpuE6ELNS1_3repE0EEENS1_30default_config_static_selectorELNS0_4arch9wavefront6targetE1EEEvS12_
; %bb.0:
	s_endpgm
	.section	.rodata,"a",@progbits
	.p2align	6, 0x0
	.amdhsa_kernel _ZN7rocprim17ROCPRIM_400000_NS6detail17trampoline_kernelINS0_13select_configILj256ELj13ELNS0_17block_load_methodE3ELS4_3ELS4_3ELNS0_20block_scan_algorithmE0ELj4294967295EEENS1_25partition_config_selectorILNS1_17partition_subalgoE4EjNS0_10empty_typeEbEEZZNS1_14partition_implILS8_4ELb0ES6_15HIP_vector_typeIjLj2EENS0_17counting_iteratorIjlEEPS9_SG_NS0_5tupleIJPjSI_NS0_16reverse_iteratorISI_EEEEENSH_IJSG_SG_SG_EEES9_SI_JZNS1_25segmented_radix_sort_implINS0_14default_configELb0EPKfPfPKlPlN2at6native12_GLOBAL__N_18offset_tEEE10hipError_tPvRmT1_PNSt15iterator_traitsIS12_E10value_typeET2_T3_PNS13_IS18_E10value_typeET4_jRbjT5_S1E_jjP12ihipStream_tbEUljE_ZNSN_ISO_Lb0ESQ_SR_ST_SU_SY_EESZ_S10_S11_S12_S16_S17_S18_S1B_S1C_jS1D_jS1E_S1E_jjS1G_bEUljE0_EEESZ_S10_S11_S18_S1C_S1E_T6_T7_T9_mT8_S1G_bDpT10_ENKUlT_T0_E_clISt17integral_constantIbLb1EES1U_EEDaS1P_S1Q_EUlS1P_E_NS1_11comp_targetILNS1_3genE2ELNS1_11target_archE906ELNS1_3gpuE6ELNS1_3repE0EEENS1_30default_config_static_selectorELNS0_4arch9wavefront6targetE1EEEvS12_
		.amdhsa_group_segment_fixed_size 0
		.amdhsa_private_segment_fixed_size 0
		.amdhsa_kernarg_size 184
		.amdhsa_user_sgpr_count 6
		.amdhsa_user_sgpr_private_segment_buffer 1
		.amdhsa_user_sgpr_dispatch_ptr 0
		.amdhsa_user_sgpr_queue_ptr 0
		.amdhsa_user_sgpr_kernarg_segment_ptr 1
		.amdhsa_user_sgpr_dispatch_id 0
		.amdhsa_user_sgpr_flat_scratch_init 0
		.amdhsa_user_sgpr_private_segment_size 0
		.amdhsa_uses_dynamic_stack 0
		.amdhsa_system_sgpr_private_segment_wavefront_offset 0
		.amdhsa_system_sgpr_workgroup_id_x 1
		.amdhsa_system_sgpr_workgroup_id_y 0
		.amdhsa_system_sgpr_workgroup_id_z 0
		.amdhsa_system_sgpr_workgroup_info 0
		.amdhsa_system_vgpr_workitem_id 0
		.amdhsa_next_free_vgpr 1
		.amdhsa_next_free_sgpr 0
		.amdhsa_reserve_vcc 0
		.amdhsa_reserve_flat_scratch 0
		.amdhsa_float_round_mode_32 0
		.amdhsa_float_round_mode_16_64 0
		.amdhsa_float_denorm_mode_32 3
		.amdhsa_float_denorm_mode_16_64 3
		.amdhsa_dx10_clamp 1
		.amdhsa_ieee_mode 1
		.amdhsa_fp16_overflow 0
		.amdhsa_exception_fp_ieee_invalid_op 0
		.amdhsa_exception_fp_denorm_src 0
		.amdhsa_exception_fp_ieee_div_zero 0
		.amdhsa_exception_fp_ieee_overflow 0
		.amdhsa_exception_fp_ieee_underflow 0
		.amdhsa_exception_fp_ieee_inexact 0
		.amdhsa_exception_int_div_zero 0
	.end_amdhsa_kernel
	.section	.text._ZN7rocprim17ROCPRIM_400000_NS6detail17trampoline_kernelINS0_13select_configILj256ELj13ELNS0_17block_load_methodE3ELS4_3ELS4_3ELNS0_20block_scan_algorithmE0ELj4294967295EEENS1_25partition_config_selectorILNS1_17partition_subalgoE4EjNS0_10empty_typeEbEEZZNS1_14partition_implILS8_4ELb0ES6_15HIP_vector_typeIjLj2EENS0_17counting_iteratorIjlEEPS9_SG_NS0_5tupleIJPjSI_NS0_16reverse_iteratorISI_EEEEENSH_IJSG_SG_SG_EEES9_SI_JZNS1_25segmented_radix_sort_implINS0_14default_configELb0EPKfPfPKlPlN2at6native12_GLOBAL__N_18offset_tEEE10hipError_tPvRmT1_PNSt15iterator_traitsIS12_E10value_typeET2_T3_PNS13_IS18_E10value_typeET4_jRbjT5_S1E_jjP12ihipStream_tbEUljE_ZNSN_ISO_Lb0ESQ_SR_ST_SU_SY_EESZ_S10_S11_S12_S16_S17_S18_S1B_S1C_jS1D_jS1E_S1E_jjS1G_bEUljE0_EEESZ_S10_S11_S18_S1C_S1E_T6_T7_T9_mT8_S1G_bDpT10_ENKUlT_T0_E_clISt17integral_constantIbLb1EES1U_EEDaS1P_S1Q_EUlS1P_E_NS1_11comp_targetILNS1_3genE2ELNS1_11target_archE906ELNS1_3gpuE6ELNS1_3repE0EEENS1_30default_config_static_selectorELNS0_4arch9wavefront6targetE1EEEvS12_,"axG",@progbits,_ZN7rocprim17ROCPRIM_400000_NS6detail17trampoline_kernelINS0_13select_configILj256ELj13ELNS0_17block_load_methodE3ELS4_3ELS4_3ELNS0_20block_scan_algorithmE0ELj4294967295EEENS1_25partition_config_selectorILNS1_17partition_subalgoE4EjNS0_10empty_typeEbEEZZNS1_14partition_implILS8_4ELb0ES6_15HIP_vector_typeIjLj2EENS0_17counting_iteratorIjlEEPS9_SG_NS0_5tupleIJPjSI_NS0_16reverse_iteratorISI_EEEEENSH_IJSG_SG_SG_EEES9_SI_JZNS1_25segmented_radix_sort_implINS0_14default_configELb0EPKfPfPKlPlN2at6native12_GLOBAL__N_18offset_tEEE10hipError_tPvRmT1_PNSt15iterator_traitsIS12_E10value_typeET2_T3_PNS13_IS18_E10value_typeET4_jRbjT5_S1E_jjP12ihipStream_tbEUljE_ZNSN_ISO_Lb0ESQ_SR_ST_SU_SY_EESZ_S10_S11_S12_S16_S17_S18_S1B_S1C_jS1D_jS1E_S1E_jjS1G_bEUljE0_EEESZ_S10_S11_S18_S1C_S1E_T6_T7_T9_mT8_S1G_bDpT10_ENKUlT_T0_E_clISt17integral_constantIbLb1EES1U_EEDaS1P_S1Q_EUlS1P_E_NS1_11comp_targetILNS1_3genE2ELNS1_11target_archE906ELNS1_3gpuE6ELNS1_3repE0EEENS1_30default_config_static_selectorELNS0_4arch9wavefront6targetE1EEEvS12_,comdat
.Lfunc_end1376:
	.size	_ZN7rocprim17ROCPRIM_400000_NS6detail17trampoline_kernelINS0_13select_configILj256ELj13ELNS0_17block_load_methodE3ELS4_3ELS4_3ELNS0_20block_scan_algorithmE0ELj4294967295EEENS1_25partition_config_selectorILNS1_17partition_subalgoE4EjNS0_10empty_typeEbEEZZNS1_14partition_implILS8_4ELb0ES6_15HIP_vector_typeIjLj2EENS0_17counting_iteratorIjlEEPS9_SG_NS0_5tupleIJPjSI_NS0_16reverse_iteratorISI_EEEEENSH_IJSG_SG_SG_EEES9_SI_JZNS1_25segmented_radix_sort_implINS0_14default_configELb0EPKfPfPKlPlN2at6native12_GLOBAL__N_18offset_tEEE10hipError_tPvRmT1_PNSt15iterator_traitsIS12_E10value_typeET2_T3_PNS13_IS18_E10value_typeET4_jRbjT5_S1E_jjP12ihipStream_tbEUljE_ZNSN_ISO_Lb0ESQ_SR_ST_SU_SY_EESZ_S10_S11_S12_S16_S17_S18_S1B_S1C_jS1D_jS1E_S1E_jjS1G_bEUljE0_EEESZ_S10_S11_S18_S1C_S1E_T6_T7_T9_mT8_S1G_bDpT10_ENKUlT_T0_E_clISt17integral_constantIbLb1EES1U_EEDaS1P_S1Q_EUlS1P_E_NS1_11comp_targetILNS1_3genE2ELNS1_11target_archE906ELNS1_3gpuE6ELNS1_3repE0EEENS1_30default_config_static_selectorELNS0_4arch9wavefront6targetE1EEEvS12_, .Lfunc_end1376-_ZN7rocprim17ROCPRIM_400000_NS6detail17trampoline_kernelINS0_13select_configILj256ELj13ELNS0_17block_load_methodE3ELS4_3ELS4_3ELNS0_20block_scan_algorithmE0ELj4294967295EEENS1_25partition_config_selectorILNS1_17partition_subalgoE4EjNS0_10empty_typeEbEEZZNS1_14partition_implILS8_4ELb0ES6_15HIP_vector_typeIjLj2EENS0_17counting_iteratorIjlEEPS9_SG_NS0_5tupleIJPjSI_NS0_16reverse_iteratorISI_EEEEENSH_IJSG_SG_SG_EEES9_SI_JZNS1_25segmented_radix_sort_implINS0_14default_configELb0EPKfPfPKlPlN2at6native12_GLOBAL__N_18offset_tEEE10hipError_tPvRmT1_PNSt15iterator_traitsIS12_E10value_typeET2_T3_PNS13_IS18_E10value_typeET4_jRbjT5_S1E_jjP12ihipStream_tbEUljE_ZNSN_ISO_Lb0ESQ_SR_ST_SU_SY_EESZ_S10_S11_S12_S16_S17_S18_S1B_S1C_jS1D_jS1E_S1E_jjS1G_bEUljE0_EEESZ_S10_S11_S18_S1C_S1E_T6_T7_T9_mT8_S1G_bDpT10_ENKUlT_T0_E_clISt17integral_constantIbLb1EES1U_EEDaS1P_S1Q_EUlS1P_E_NS1_11comp_targetILNS1_3genE2ELNS1_11target_archE906ELNS1_3gpuE6ELNS1_3repE0EEENS1_30default_config_static_selectorELNS0_4arch9wavefront6targetE1EEEvS12_
                                        ; -- End function
	.set _ZN7rocprim17ROCPRIM_400000_NS6detail17trampoline_kernelINS0_13select_configILj256ELj13ELNS0_17block_load_methodE3ELS4_3ELS4_3ELNS0_20block_scan_algorithmE0ELj4294967295EEENS1_25partition_config_selectorILNS1_17partition_subalgoE4EjNS0_10empty_typeEbEEZZNS1_14partition_implILS8_4ELb0ES6_15HIP_vector_typeIjLj2EENS0_17counting_iteratorIjlEEPS9_SG_NS0_5tupleIJPjSI_NS0_16reverse_iteratorISI_EEEEENSH_IJSG_SG_SG_EEES9_SI_JZNS1_25segmented_radix_sort_implINS0_14default_configELb0EPKfPfPKlPlN2at6native12_GLOBAL__N_18offset_tEEE10hipError_tPvRmT1_PNSt15iterator_traitsIS12_E10value_typeET2_T3_PNS13_IS18_E10value_typeET4_jRbjT5_S1E_jjP12ihipStream_tbEUljE_ZNSN_ISO_Lb0ESQ_SR_ST_SU_SY_EESZ_S10_S11_S12_S16_S17_S18_S1B_S1C_jS1D_jS1E_S1E_jjS1G_bEUljE0_EEESZ_S10_S11_S18_S1C_S1E_T6_T7_T9_mT8_S1G_bDpT10_ENKUlT_T0_E_clISt17integral_constantIbLb1EES1U_EEDaS1P_S1Q_EUlS1P_E_NS1_11comp_targetILNS1_3genE2ELNS1_11target_archE906ELNS1_3gpuE6ELNS1_3repE0EEENS1_30default_config_static_selectorELNS0_4arch9wavefront6targetE1EEEvS12_.num_vgpr, 0
	.set _ZN7rocprim17ROCPRIM_400000_NS6detail17trampoline_kernelINS0_13select_configILj256ELj13ELNS0_17block_load_methodE3ELS4_3ELS4_3ELNS0_20block_scan_algorithmE0ELj4294967295EEENS1_25partition_config_selectorILNS1_17partition_subalgoE4EjNS0_10empty_typeEbEEZZNS1_14partition_implILS8_4ELb0ES6_15HIP_vector_typeIjLj2EENS0_17counting_iteratorIjlEEPS9_SG_NS0_5tupleIJPjSI_NS0_16reverse_iteratorISI_EEEEENSH_IJSG_SG_SG_EEES9_SI_JZNS1_25segmented_radix_sort_implINS0_14default_configELb0EPKfPfPKlPlN2at6native12_GLOBAL__N_18offset_tEEE10hipError_tPvRmT1_PNSt15iterator_traitsIS12_E10value_typeET2_T3_PNS13_IS18_E10value_typeET4_jRbjT5_S1E_jjP12ihipStream_tbEUljE_ZNSN_ISO_Lb0ESQ_SR_ST_SU_SY_EESZ_S10_S11_S12_S16_S17_S18_S1B_S1C_jS1D_jS1E_S1E_jjS1G_bEUljE0_EEESZ_S10_S11_S18_S1C_S1E_T6_T7_T9_mT8_S1G_bDpT10_ENKUlT_T0_E_clISt17integral_constantIbLb1EES1U_EEDaS1P_S1Q_EUlS1P_E_NS1_11comp_targetILNS1_3genE2ELNS1_11target_archE906ELNS1_3gpuE6ELNS1_3repE0EEENS1_30default_config_static_selectorELNS0_4arch9wavefront6targetE1EEEvS12_.num_agpr, 0
	.set _ZN7rocprim17ROCPRIM_400000_NS6detail17trampoline_kernelINS0_13select_configILj256ELj13ELNS0_17block_load_methodE3ELS4_3ELS4_3ELNS0_20block_scan_algorithmE0ELj4294967295EEENS1_25partition_config_selectorILNS1_17partition_subalgoE4EjNS0_10empty_typeEbEEZZNS1_14partition_implILS8_4ELb0ES6_15HIP_vector_typeIjLj2EENS0_17counting_iteratorIjlEEPS9_SG_NS0_5tupleIJPjSI_NS0_16reverse_iteratorISI_EEEEENSH_IJSG_SG_SG_EEES9_SI_JZNS1_25segmented_radix_sort_implINS0_14default_configELb0EPKfPfPKlPlN2at6native12_GLOBAL__N_18offset_tEEE10hipError_tPvRmT1_PNSt15iterator_traitsIS12_E10value_typeET2_T3_PNS13_IS18_E10value_typeET4_jRbjT5_S1E_jjP12ihipStream_tbEUljE_ZNSN_ISO_Lb0ESQ_SR_ST_SU_SY_EESZ_S10_S11_S12_S16_S17_S18_S1B_S1C_jS1D_jS1E_S1E_jjS1G_bEUljE0_EEESZ_S10_S11_S18_S1C_S1E_T6_T7_T9_mT8_S1G_bDpT10_ENKUlT_T0_E_clISt17integral_constantIbLb1EES1U_EEDaS1P_S1Q_EUlS1P_E_NS1_11comp_targetILNS1_3genE2ELNS1_11target_archE906ELNS1_3gpuE6ELNS1_3repE0EEENS1_30default_config_static_selectorELNS0_4arch9wavefront6targetE1EEEvS12_.numbered_sgpr, 0
	.set _ZN7rocprim17ROCPRIM_400000_NS6detail17trampoline_kernelINS0_13select_configILj256ELj13ELNS0_17block_load_methodE3ELS4_3ELS4_3ELNS0_20block_scan_algorithmE0ELj4294967295EEENS1_25partition_config_selectorILNS1_17partition_subalgoE4EjNS0_10empty_typeEbEEZZNS1_14partition_implILS8_4ELb0ES6_15HIP_vector_typeIjLj2EENS0_17counting_iteratorIjlEEPS9_SG_NS0_5tupleIJPjSI_NS0_16reverse_iteratorISI_EEEEENSH_IJSG_SG_SG_EEES9_SI_JZNS1_25segmented_radix_sort_implINS0_14default_configELb0EPKfPfPKlPlN2at6native12_GLOBAL__N_18offset_tEEE10hipError_tPvRmT1_PNSt15iterator_traitsIS12_E10value_typeET2_T3_PNS13_IS18_E10value_typeET4_jRbjT5_S1E_jjP12ihipStream_tbEUljE_ZNSN_ISO_Lb0ESQ_SR_ST_SU_SY_EESZ_S10_S11_S12_S16_S17_S18_S1B_S1C_jS1D_jS1E_S1E_jjS1G_bEUljE0_EEESZ_S10_S11_S18_S1C_S1E_T6_T7_T9_mT8_S1G_bDpT10_ENKUlT_T0_E_clISt17integral_constantIbLb1EES1U_EEDaS1P_S1Q_EUlS1P_E_NS1_11comp_targetILNS1_3genE2ELNS1_11target_archE906ELNS1_3gpuE6ELNS1_3repE0EEENS1_30default_config_static_selectorELNS0_4arch9wavefront6targetE1EEEvS12_.num_named_barrier, 0
	.set _ZN7rocprim17ROCPRIM_400000_NS6detail17trampoline_kernelINS0_13select_configILj256ELj13ELNS0_17block_load_methodE3ELS4_3ELS4_3ELNS0_20block_scan_algorithmE0ELj4294967295EEENS1_25partition_config_selectorILNS1_17partition_subalgoE4EjNS0_10empty_typeEbEEZZNS1_14partition_implILS8_4ELb0ES6_15HIP_vector_typeIjLj2EENS0_17counting_iteratorIjlEEPS9_SG_NS0_5tupleIJPjSI_NS0_16reverse_iteratorISI_EEEEENSH_IJSG_SG_SG_EEES9_SI_JZNS1_25segmented_radix_sort_implINS0_14default_configELb0EPKfPfPKlPlN2at6native12_GLOBAL__N_18offset_tEEE10hipError_tPvRmT1_PNSt15iterator_traitsIS12_E10value_typeET2_T3_PNS13_IS18_E10value_typeET4_jRbjT5_S1E_jjP12ihipStream_tbEUljE_ZNSN_ISO_Lb0ESQ_SR_ST_SU_SY_EESZ_S10_S11_S12_S16_S17_S18_S1B_S1C_jS1D_jS1E_S1E_jjS1G_bEUljE0_EEESZ_S10_S11_S18_S1C_S1E_T6_T7_T9_mT8_S1G_bDpT10_ENKUlT_T0_E_clISt17integral_constantIbLb1EES1U_EEDaS1P_S1Q_EUlS1P_E_NS1_11comp_targetILNS1_3genE2ELNS1_11target_archE906ELNS1_3gpuE6ELNS1_3repE0EEENS1_30default_config_static_selectorELNS0_4arch9wavefront6targetE1EEEvS12_.private_seg_size, 0
	.set _ZN7rocprim17ROCPRIM_400000_NS6detail17trampoline_kernelINS0_13select_configILj256ELj13ELNS0_17block_load_methodE3ELS4_3ELS4_3ELNS0_20block_scan_algorithmE0ELj4294967295EEENS1_25partition_config_selectorILNS1_17partition_subalgoE4EjNS0_10empty_typeEbEEZZNS1_14partition_implILS8_4ELb0ES6_15HIP_vector_typeIjLj2EENS0_17counting_iteratorIjlEEPS9_SG_NS0_5tupleIJPjSI_NS0_16reverse_iteratorISI_EEEEENSH_IJSG_SG_SG_EEES9_SI_JZNS1_25segmented_radix_sort_implINS0_14default_configELb0EPKfPfPKlPlN2at6native12_GLOBAL__N_18offset_tEEE10hipError_tPvRmT1_PNSt15iterator_traitsIS12_E10value_typeET2_T3_PNS13_IS18_E10value_typeET4_jRbjT5_S1E_jjP12ihipStream_tbEUljE_ZNSN_ISO_Lb0ESQ_SR_ST_SU_SY_EESZ_S10_S11_S12_S16_S17_S18_S1B_S1C_jS1D_jS1E_S1E_jjS1G_bEUljE0_EEESZ_S10_S11_S18_S1C_S1E_T6_T7_T9_mT8_S1G_bDpT10_ENKUlT_T0_E_clISt17integral_constantIbLb1EES1U_EEDaS1P_S1Q_EUlS1P_E_NS1_11comp_targetILNS1_3genE2ELNS1_11target_archE906ELNS1_3gpuE6ELNS1_3repE0EEENS1_30default_config_static_selectorELNS0_4arch9wavefront6targetE1EEEvS12_.uses_vcc, 0
	.set _ZN7rocprim17ROCPRIM_400000_NS6detail17trampoline_kernelINS0_13select_configILj256ELj13ELNS0_17block_load_methodE3ELS4_3ELS4_3ELNS0_20block_scan_algorithmE0ELj4294967295EEENS1_25partition_config_selectorILNS1_17partition_subalgoE4EjNS0_10empty_typeEbEEZZNS1_14partition_implILS8_4ELb0ES6_15HIP_vector_typeIjLj2EENS0_17counting_iteratorIjlEEPS9_SG_NS0_5tupleIJPjSI_NS0_16reverse_iteratorISI_EEEEENSH_IJSG_SG_SG_EEES9_SI_JZNS1_25segmented_radix_sort_implINS0_14default_configELb0EPKfPfPKlPlN2at6native12_GLOBAL__N_18offset_tEEE10hipError_tPvRmT1_PNSt15iterator_traitsIS12_E10value_typeET2_T3_PNS13_IS18_E10value_typeET4_jRbjT5_S1E_jjP12ihipStream_tbEUljE_ZNSN_ISO_Lb0ESQ_SR_ST_SU_SY_EESZ_S10_S11_S12_S16_S17_S18_S1B_S1C_jS1D_jS1E_S1E_jjS1G_bEUljE0_EEESZ_S10_S11_S18_S1C_S1E_T6_T7_T9_mT8_S1G_bDpT10_ENKUlT_T0_E_clISt17integral_constantIbLb1EES1U_EEDaS1P_S1Q_EUlS1P_E_NS1_11comp_targetILNS1_3genE2ELNS1_11target_archE906ELNS1_3gpuE6ELNS1_3repE0EEENS1_30default_config_static_selectorELNS0_4arch9wavefront6targetE1EEEvS12_.uses_flat_scratch, 0
	.set _ZN7rocprim17ROCPRIM_400000_NS6detail17trampoline_kernelINS0_13select_configILj256ELj13ELNS0_17block_load_methodE3ELS4_3ELS4_3ELNS0_20block_scan_algorithmE0ELj4294967295EEENS1_25partition_config_selectorILNS1_17partition_subalgoE4EjNS0_10empty_typeEbEEZZNS1_14partition_implILS8_4ELb0ES6_15HIP_vector_typeIjLj2EENS0_17counting_iteratorIjlEEPS9_SG_NS0_5tupleIJPjSI_NS0_16reverse_iteratorISI_EEEEENSH_IJSG_SG_SG_EEES9_SI_JZNS1_25segmented_radix_sort_implINS0_14default_configELb0EPKfPfPKlPlN2at6native12_GLOBAL__N_18offset_tEEE10hipError_tPvRmT1_PNSt15iterator_traitsIS12_E10value_typeET2_T3_PNS13_IS18_E10value_typeET4_jRbjT5_S1E_jjP12ihipStream_tbEUljE_ZNSN_ISO_Lb0ESQ_SR_ST_SU_SY_EESZ_S10_S11_S12_S16_S17_S18_S1B_S1C_jS1D_jS1E_S1E_jjS1G_bEUljE0_EEESZ_S10_S11_S18_S1C_S1E_T6_T7_T9_mT8_S1G_bDpT10_ENKUlT_T0_E_clISt17integral_constantIbLb1EES1U_EEDaS1P_S1Q_EUlS1P_E_NS1_11comp_targetILNS1_3genE2ELNS1_11target_archE906ELNS1_3gpuE6ELNS1_3repE0EEENS1_30default_config_static_selectorELNS0_4arch9wavefront6targetE1EEEvS12_.has_dyn_sized_stack, 0
	.set _ZN7rocprim17ROCPRIM_400000_NS6detail17trampoline_kernelINS0_13select_configILj256ELj13ELNS0_17block_load_methodE3ELS4_3ELS4_3ELNS0_20block_scan_algorithmE0ELj4294967295EEENS1_25partition_config_selectorILNS1_17partition_subalgoE4EjNS0_10empty_typeEbEEZZNS1_14partition_implILS8_4ELb0ES6_15HIP_vector_typeIjLj2EENS0_17counting_iteratorIjlEEPS9_SG_NS0_5tupleIJPjSI_NS0_16reverse_iteratorISI_EEEEENSH_IJSG_SG_SG_EEES9_SI_JZNS1_25segmented_radix_sort_implINS0_14default_configELb0EPKfPfPKlPlN2at6native12_GLOBAL__N_18offset_tEEE10hipError_tPvRmT1_PNSt15iterator_traitsIS12_E10value_typeET2_T3_PNS13_IS18_E10value_typeET4_jRbjT5_S1E_jjP12ihipStream_tbEUljE_ZNSN_ISO_Lb0ESQ_SR_ST_SU_SY_EESZ_S10_S11_S12_S16_S17_S18_S1B_S1C_jS1D_jS1E_S1E_jjS1G_bEUljE0_EEESZ_S10_S11_S18_S1C_S1E_T6_T7_T9_mT8_S1G_bDpT10_ENKUlT_T0_E_clISt17integral_constantIbLb1EES1U_EEDaS1P_S1Q_EUlS1P_E_NS1_11comp_targetILNS1_3genE2ELNS1_11target_archE906ELNS1_3gpuE6ELNS1_3repE0EEENS1_30default_config_static_selectorELNS0_4arch9wavefront6targetE1EEEvS12_.has_recursion, 0
	.set _ZN7rocprim17ROCPRIM_400000_NS6detail17trampoline_kernelINS0_13select_configILj256ELj13ELNS0_17block_load_methodE3ELS4_3ELS4_3ELNS0_20block_scan_algorithmE0ELj4294967295EEENS1_25partition_config_selectorILNS1_17partition_subalgoE4EjNS0_10empty_typeEbEEZZNS1_14partition_implILS8_4ELb0ES6_15HIP_vector_typeIjLj2EENS0_17counting_iteratorIjlEEPS9_SG_NS0_5tupleIJPjSI_NS0_16reverse_iteratorISI_EEEEENSH_IJSG_SG_SG_EEES9_SI_JZNS1_25segmented_radix_sort_implINS0_14default_configELb0EPKfPfPKlPlN2at6native12_GLOBAL__N_18offset_tEEE10hipError_tPvRmT1_PNSt15iterator_traitsIS12_E10value_typeET2_T3_PNS13_IS18_E10value_typeET4_jRbjT5_S1E_jjP12ihipStream_tbEUljE_ZNSN_ISO_Lb0ESQ_SR_ST_SU_SY_EESZ_S10_S11_S12_S16_S17_S18_S1B_S1C_jS1D_jS1E_S1E_jjS1G_bEUljE0_EEESZ_S10_S11_S18_S1C_S1E_T6_T7_T9_mT8_S1G_bDpT10_ENKUlT_T0_E_clISt17integral_constantIbLb1EES1U_EEDaS1P_S1Q_EUlS1P_E_NS1_11comp_targetILNS1_3genE2ELNS1_11target_archE906ELNS1_3gpuE6ELNS1_3repE0EEENS1_30default_config_static_selectorELNS0_4arch9wavefront6targetE1EEEvS12_.has_indirect_call, 0
	.section	.AMDGPU.csdata,"",@progbits
; Kernel info:
; codeLenInByte = 4
; TotalNumSgprs: 4
; NumVgprs: 0
; ScratchSize: 0
; MemoryBound: 0
; FloatMode: 240
; IeeeMode: 1
; LDSByteSize: 0 bytes/workgroup (compile time only)
; SGPRBlocks: 0
; VGPRBlocks: 0
; NumSGPRsForWavesPerEU: 4
; NumVGPRsForWavesPerEU: 1
; Occupancy: 10
; WaveLimiterHint : 0
; COMPUTE_PGM_RSRC2:SCRATCH_EN: 0
; COMPUTE_PGM_RSRC2:USER_SGPR: 6
; COMPUTE_PGM_RSRC2:TRAP_HANDLER: 0
; COMPUTE_PGM_RSRC2:TGID_X_EN: 1
; COMPUTE_PGM_RSRC2:TGID_Y_EN: 0
; COMPUTE_PGM_RSRC2:TGID_Z_EN: 0
; COMPUTE_PGM_RSRC2:TIDIG_COMP_CNT: 0
	.section	.text._ZN7rocprim17ROCPRIM_400000_NS6detail17trampoline_kernelINS0_13select_configILj256ELj13ELNS0_17block_load_methodE3ELS4_3ELS4_3ELNS0_20block_scan_algorithmE0ELj4294967295EEENS1_25partition_config_selectorILNS1_17partition_subalgoE4EjNS0_10empty_typeEbEEZZNS1_14partition_implILS8_4ELb0ES6_15HIP_vector_typeIjLj2EENS0_17counting_iteratorIjlEEPS9_SG_NS0_5tupleIJPjSI_NS0_16reverse_iteratorISI_EEEEENSH_IJSG_SG_SG_EEES9_SI_JZNS1_25segmented_radix_sort_implINS0_14default_configELb0EPKfPfPKlPlN2at6native12_GLOBAL__N_18offset_tEEE10hipError_tPvRmT1_PNSt15iterator_traitsIS12_E10value_typeET2_T3_PNS13_IS18_E10value_typeET4_jRbjT5_S1E_jjP12ihipStream_tbEUljE_ZNSN_ISO_Lb0ESQ_SR_ST_SU_SY_EESZ_S10_S11_S12_S16_S17_S18_S1B_S1C_jS1D_jS1E_S1E_jjS1G_bEUljE0_EEESZ_S10_S11_S18_S1C_S1E_T6_T7_T9_mT8_S1G_bDpT10_ENKUlT_T0_E_clISt17integral_constantIbLb1EES1U_EEDaS1P_S1Q_EUlS1P_E_NS1_11comp_targetILNS1_3genE10ELNS1_11target_archE1200ELNS1_3gpuE4ELNS1_3repE0EEENS1_30default_config_static_selectorELNS0_4arch9wavefront6targetE1EEEvS12_,"axG",@progbits,_ZN7rocprim17ROCPRIM_400000_NS6detail17trampoline_kernelINS0_13select_configILj256ELj13ELNS0_17block_load_methodE3ELS4_3ELS4_3ELNS0_20block_scan_algorithmE0ELj4294967295EEENS1_25partition_config_selectorILNS1_17partition_subalgoE4EjNS0_10empty_typeEbEEZZNS1_14partition_implILS8_4ELb0ES6_15HIP_vector_typeIjLj2EENS0_17counting_iteratorIjlEEPS9_SG_NS0_5tupleIJPjSI_NS0_16reverse_iteratorISI_EEEEENSH_IJSG_SG_SG_EEES9_SI_JZNS1_25segmented_radix_sort_implINS0_14default_configELb0EPKfPfPKlPlN2at6native12_GLOBAL__N_18offset_tEEE10hipError_tPvRmT1_PNSt15iterator_traitsIS12_E10value_typeET2_T3_PNS13_IS18_E10value_typeET4_jRbjT5_S1E_jjP12ihipStream_tbEUljE_ZNSN_ISO_Lb0ESQ_SR_ST_SU_SY_EESZ_S10_S11_S12_S16_S17_S18_S1B_S1C_jS1D_jS1E_S1E_jjS1G_bEUljE0_EEESZ_S10_S11_S18_S1C_S1E_T6_T7_T9_mT8_S1G_bDpT10_ENKUlT_T0_E_clISt17integral_constantIbLb1EES1U_EEDaS1P_S1Q_EUlS1P_E_NS1_11comp_targetILNS1_3genE10ELNS1_11target_archE1200ELNS1_3gpuE4ELNS1_3repE0EEENS1_30default_config_static_selectorELNS0_4arch9wavefront6targetE1EEEvS12_,comdat
	.globl	_ZN7rocprim17ROCPRIM_400000_NS6detail17trampoline_kernelINS0_13select_configILj256ELj13ELNS0_17block_load_methodE3ELS4_3ELS4_3ELNS0_20block_scan_algorithmE0ELj4294967295EEENS1_25partition_config_selectorILNS1_17partition_subalgoE4EjNS0_10empty_typeEbEEZZNS1_14partition_implILS8_4ELb0ES6_15HIP_vector_typeIjLj2EENS0_17counting_iteratorIjlEEPS9_SG_NS0_5tupleIJPjSI_NS0_16reverse_iteratorISI_EEEEENSH_IJSG_SG_SG_EEES9_SI_JZNS1_25segmented_radix_sort_implINS0_14default_configELb0EPKfPfPKlPlN2at6native12_GLOBAL__N_18offset_tEEE10hipError_tPvRmT1_PNSt15iterator_traitsIS12_E10value_typeET2_T3_PNS13_IS18_E10value_typeET4_jRbjT5_S1E_jjP12ihipStream_tbEUljE_ZNSN_ISO_Lb0ESQ_SR_ST_SU_SY_EESZ_S10_S11_S12_S16_S17_S18_S1B_S1C_jS1D_jS1E_S1E_jjS1G_bEUljE0_EEESZ_S10_S11_S18_S1C_S1E_T6_T7_T9_mT8_S1G_bDpT10_ENKUlT_T0_E_clISt17integral_constantIbLb1EES1U_EEDaS1P_S1Q_EUlS1P_E_NS1_11comp_targetILNS1_3genE10ELNS1_11target_archE1200ELNS1_3gpuE4ELNS1_3repE0EEENS1_30default_config_static_selectorELNS0_4arch9wavefront6targetE1EEEvS12_ ; -- Begin function _ZN7rocprim17ROCPRIM_400000_NS6detail17trampoline_kernelINS0_13select_configILj256ELj13ELNS0_17block_load_methodE3ELS4_3ELS4_3ELNS0_20block_scan_algorithmE0ELj4294967295EEENS1_25partition_config_selectorILNS1_17partition_subalgoE4EjNS0_10empty_typeEbEEZZNS1_14partition_implILS8_4ELb0ES6_15HIP_vector_typeIjLj2EENS0_17counting_iteratorIjlEEPS9_SG_NS0_5tupleIJPjSI_NS0_16reverse_iteratorISI_EEEEENSH_IJSG_SG_SG_EEES9_SI_JZNS1_25segmented_radix_sort_implINS0_14default_configELb0EPKfPfPKlPlN2at6native12_GLOBAL__N_18offset_tEEE10hipError_tPvRmT1_PNSt15iterator_traitsIS12_E10value_typeET2_T3_PNS13_IS18_E10value_typeET4_jRbjT5_S1E_jjP12ihipStream_tbEUljE_ZNSN_ISO_Lb0ESQ_SR_ST_SU_SY_EESZ_S10_S11_S12_S16_S17_S18_S1B_S1C_jS1D_jS1E_S1E_jjS1G_bEUljE0_EEESZ_S10_S11_S18_S1C_S1E_T6_T7_T9_mT8_S1G_bDpT10_ENKUlT_T0_E_clISt17integral_constantIbLb1EES1U_EEDaS1P_S1Q_EUlS1P_E_NS1_11comp_targetILNS1_3genE10ELNS1_11target_archE1200ELNS1_3gpuE4ELNS1_3repE0EEENS1_30default_config_static_selectorELNS0_4arch9wavefront6targetE1EEEvS12_
	.p2align	8
	.type	_ZN7rocprim17ROCPRIM_400000_NS6detail17trampoline_kernelINS0_13select_configILj256ELj13ELNS0_17block_load_methodE3ELS4_3ELS4_3ELNS0_20block_scan_algorithmE0ELj4294967295EEENS1_25partition_config_selectorILNS1_17partition_subalgoE4EjNS0_10empty_typeEbEEZZNS1_14partition_implILS8_4ELb0ES6_15HIP_vector_typeIjLj2EENS0_17counting_iteratorIjlEEPS9_SG_NS0_5tupleIJPjSI_NS0_16reverse_iteratorISI_EEEEENSH_IJSG_SG_SG_EEES9_SI_JZNS1_25segmented_radix_sort_implINS0_14default_configELb0EPKfPfPKlPlN2at6native12_GLOBAL__N_18offset_tEEE10hipError_tPvRmT1_PNSt15iterator_traitsIS12_E10value_typeET2_T3_PNS13_IS18_E10value_typeET4_jRbjT5_S1E_jjP12ihipStream_tbEUljE_ZNSN_ISO_Lb0ESQ_SR_ST_SU_SY_EESZ_S10_S11_S12_S16_S17_S18_S1B_S1C_jS1D_jS1E_S1E_jjS1G_bEUljE0_EEESZ_S10_S11_S18_S1C_S1E_T6_T7_T9_mT8_S1G_bDpT10_ENKUlT_T0_E_clISt17integral_constantIbLb1EES1U_EEDaS1P_S1Q_EUlS1P_E_NS1_11comp_targetILNS1_3genE10ELNS1_11target_archE1200ELNS1_3gpuE4ELNS1_3repE0EEENS1_30default_config_static_selectorELNS0_4arch9wavefront6targetE1EEEvS12_,@function
_ZN7rocprim17ROCPRIM_400000_NS6detail17trampoline_kernelINS0_13select_configILj256ELj13ELNS0_17block_load_methodE3ELS4_3ELS4_3ELNS0_20block_scan_algorithmE0ELj4294967295EEENS1_25partition_config_selectorILNS1_17partition_subalgoE4EjNS0_10empty_typeEbEEZZNS1_14partition_implILS8_4ELb0ES6_15HIP_vector_typeIjLj2EENS0_17counting_iteratorIjlEEPS9_SG_NS0_5tupleIJPjSI_NS0_16reverse_iteratorISI_EEEEENSH_IJSG_SG_SG_EEES9_SI_JZNS1_25segmented_radix_sort_implINS0_14default_configELb0EPKfPfPKlPlN2at6native12_GLOBAL__N_18offset_tEEE10hipError_tPvRmT1_PNSt15iterator_traitsIS12_E10value_typeET2_T3_PNS13_IS18_E10value_typeET4_jRbjT5_S1E_jjP12ihipStream_tbEUljE_ZNSN_ISO_Lb0ESQ_SR_ST_SU_SY_EESZ_S10_S11_S12_S16_S17_S18_S1B_S1C_jS1D_jS1E_S1E_jjS1G_bEUljE0_EEESZ_S10_S11_S18_S1C_S1E_T6_T7_T9_mT8_S1G_bDpT10_ENKUlT_T0_E_clISt17integral_constantIbLb1EES1U_EEDaS1P_S1Q_EUlS1P_E_NS1_11comp_targetILNS1_3genE10ELNS1_11target_archE1200ELNS1_3gpuE4ELNS1_3repE0EEENS1_30default_config_static_selectorELNS0_4arch9wavefront6targetE1EEEvS12_: ; @_ZN7rocprim17ROCPRIM_400000_NS6detail17trampoline_kernelINS0_13select_configILj256ELj13ELNS0_17block_load_methodE3ELS4_3ELS4_3ELNS0_20block_scan_algorithmE0ELj4294967295EEENS1_25partition_config_selectorILNS1_17partition_subalgoE4EjNS0_10empty_typeEbEEZZNS1_14partition_implILS8_4ELb0ES6_15HIP_vector_typeIjLj2EENS0_17counting_iteratorIjlEEPS9_SG_NS0_5tupleIJPjSI_NS0_16reverse_iteratorISI_EEEEENSH_IJSG_SG_SG_EEES9_SI_JZNS1_25segmented_radix_sort_implINS0_14default_configELb0EPKfPfPKlPlN2at6native12_GLOBAL__N_18offset_tEEE10hipError_tPvRmT1_PNSt15iterator_traitsIS12_E10value_typeET2_T3_PNS13_IS18_E10value_typeET4_jRbjT5_S1E_jjP12ihipStream_tbEUljE_ZNSN_ISO_Lb0ESQ_SR_ST_SU_SY_EESZ_S10_S11_S12_S16_S17_S18_S1B_S1C_jS1D_jS1E_S1E_jjS1G_bEUljE0_EEESZ_S10_S11_S18_S1C_S1E_T6_T7_T9_mT8_S1G_bDpT10_ENKUlT_T0_E_clISt17integral_constantIbLb1EES1U_EEDaS1P_S1Q_EUlS1P_E_NS1_11comp_targetILNS1_3genE10ELNS1_11target_archE1200ELNS1_3gpuE4ELNS1_3repE0EEENS1_30default_config_static_selectorELNS0_4arch9wavefront6targetE1EEEvS12_
; %bb.0:
	.section	.rodata,"a",@progbits
	.p2align	6, 0x0
	.amdhsa_kernel _ZN7rocprim17ROCPRIM_400000_NS6detail17trampoline_kernelINS0_13select_configILj256ELj13ELNS0_17block_load_methodE3ELS4_3ELS4_3ELNS0_20block_scan_algorithmE0ELj4294967295EEENS1_25partition_config_selectorILNS1_17partition_subalgoE4EjNS0_10empty_typeEbEEZZNS1_14partition_implILS8_4ELb0ES6_15HIP_vector_typeIjLj2EENS0_17counting_iteratorIjlEEPS9_SG_NS0_5tupleIJPjSI_NS0_16reverse_iteratorISI_EEEEENSH_IJSG_SG_SG_EEES9_SI_JZNS1_25segmented_radix_sort_implINS0_14default_configELb0EPKfPfPKlPlN2at6native12_GLOBAL__N_18offset_tEEE10hipError_tPvRmT1_PNSt15iterator_traitsIS12_E10value_typeET2_T3_PNS13_IS18_E10value_typeET4_jRbjT5_S1E_jjP12ihipStream_tbEUljE_ZNSN_ISO_Lb0ESQ_SR_ST_SU_SY_EESZ_S10_S11_S12_S16_S17_S18_S1B_S1C_jS1D_jS1E_S1E_jjS1G_bEUljE0_EEESZ_S10_S11_S18_S1C_S1E_T6_T7_T9_mT8_S1G_bDpT10_ENKUlT_T0_E_clISt17integral_constantIbLb1EES1U_EEDaS1P_S1Q_EUlS1P_E_NS1_11comp_targetILNS1_3genE10ELNS1_11target_archE1200ELNS1_3gpuE4ELNS1_3repE0EEENS1_30default_config_static_selectorELNS0_4arch9wavefront6targetE1EEEvS12_
		.amdhsa_group_segment_fixed_size 0
		.amdhsa_private_segment_fixed_size 0
		.amdhsa_kernarg_size 184
		.amdhsa_user_sgpr_count 6
		.amdhsa_user_sgpr_private_segment_buffer 1
		.amdhsa_user_sgpr_dispatch_ptr 0
		.amdhsa_user_sgpr_queue_ptr 0
		.amdhsa_user_sgpr_kernarg_segment_ptr 1
		.amdhsa_user_sgpr_dispatch_id 0
		.amdhsa_user_sgpr_flat_scratch_init 0
		.amdhsa_user_sgpr_private_segment_size 0
		.amdhsa_uses_dynamic_stack 0
		.amdhsa_system_sgpr_private_segment_wavefront_offset 0
		.amdhsa_system_sgpr_workgroup_id_x 1
		.amdhsa_system_sgpr_workgroup_id_y 0
		.amdhsa_system_sgpr_workgroup_id_z 0
		.amdhsa_system_sgpr_workgroup_info 0
		.amdhsa_system_vgpr_workitem_id 0
		.amdhsa_next_free_vgpr 1
		.amdhsa_next_free_sgpr 0
		.amdhsa_reserve_vcc 0
		.amdhsa_reserve_flat_scratch 0
		.amdhsa_float_round_mode_32 0
		.amdhsa_float_round_mode_16_64 0
		.amdhsa_float_denorm_mode_32 3
		.amdhsa_float_denorm_mode_16_64 3
		.amdhsa_dx10_clamp 1
		.amdhsa_ieee_mode 1
		.amdhsa_fp16_overflow 0
		.amdhsa_exception_fp_ieee_invalid_op 0
		.amdhsa_exception_fp_denorm_src 0
		.amdhsa_exception_fp_ieee_div_zero 0
		.amdhsa_exception_fp_ieee_overflow 0
		.amdhsa_exception_fp_ieee_underflow 0
		.amdhsa_exception_fp_ieee_inexact 0
		.amdhsa_exception_int_div_zero 0
	.end_amdhsa_kernel
	.section	.text._ZN7rocprim17ROCPRIM_400000_NS6detail17trampoline_kernelINS0_13select_configILj256ELj13ELNS0_17block_load_methodE3ELS4_3ELS4_3ELNS0_20block_scan_algorithmE0ELj4294967295EEENS1_25partition_config_selectorILNS1_17partition_subalgoE4EjNS0_10empty_typeEbEEZZNS1_14partition_implILS8_4ELb0ES6_15HIP_vector_typeIjLj2EENS0_17counting_iteratorIjlEEPS9_SG_NS0_5tupleIJPjSI_NS0_16reverse_iteratorISI_EEEEENSH_IJSG_SG_SG_EEES9_SI_JZNS1_25segmented_radix_sort_implINS0_14default_configELb0EPKfPfPKlPlN2at6native12_GLOBAL__N_18offset_tEEE10hipError_tPvRmT1_PNSt15iterator_traitsIS12_E10value_typeET2_T3_PNS13_IS18_E10value_typeET4_jRbjT5_S1E_jjP12ihipStream_tbEUljE_ZNSN_ISO_Lb0ESQ_SR_ST_SU_SY_EESZ_S10_S11_S12_S16_S17_S18_S1B_S1C_jS1D_jS1E_S1E_jjS1G_bEUljE0_EEESZ_S10_S11_S18_S1C_S1E_T6_T7_T9_mT8_S1G_bDpT10_ENKUlT_T0_E_clISt17integral_constantIbLb1EES1U_EEDaS1P_S1Q_EUlS1P_E_NS1_11comp_targetILNS1_3genE10ELNS1_11target_archE1200ELNS1_3gpuE4ELNS1_3repE0EEENS1_30default_config_static_selectorELNS0_4arch9wavefront6targetE1EEEvS12_,"axG",@progbits,_ZN7rocprim17ROCPRIM_400000_NS6detail17trampoline_kernelINS0_13select_configILj256ELj13ELNS0_17block_load_methodE3ELS4_3ELS4_3ELNS0_20block_scan_algorithmE0ELj4294967295EEENS1_25partition_config_selectorILNS1_17partition_subalgoE4EjNS0_10empty_typeEbEEZZNS1_14partition_implILS8_4ELb0ES6_15HIP_vector_typeIjLj2EENS0_17counting_iteratorIjlEEPS9_SG_NS0_5tupleIJPjSI_NS0_16reverse_iteratorISI_EEEEENSH_IJSG_SG_SG_EEES9_SI_JZNS1_25segmented_radix_sort_implINS0_14default_configELb0EPKfPfPKlPlN2at6native12_GLOBAL__N_18offset_tEEE10hipError_tPvRmT1_PNSt15iterator_traitsIS12_E10value_typeET2_T3_PNS13_IS18_E10value_typeET4_jRbjT5_S1E_jjP12ihipStream_tbEUljE_ZNSN_ISO_Lb0ESQ_SR_ST_SU_SY_EESZ_S10_S11_S12_S16_S17_S18_S1B_S1C_jS1D_jS1E_S1E_jjS1G_bEUljE0_EEESZ_S10_S11_S18_S1C_S1E_T6_T7_T9_mT8_S1G_bDpT10_ENKUlT_T0_E_clISt17integral_constantIbLb1EES1U_EEDaS1P_S1Q_EUlS1P_E_NS1_11comp_targetILNS1_3genE10ELNS1_11target_archE1200ELNS1_3gpuE4ELNS1_3repE0EEENS1_30default_config_static_selectorELNS0_4arch9wavefront6targetE1EEEvS12_,comdat
.Lfunc_end1377:
	.size	_ZN7rocprim17ROCPRIM_400000_NS6detail17trampoline_kernelINS0_13select_configILj256ELj13ELNS0_17block_load_methodE3ELS4_3ELS4_3ELNS0_20block_scan_algorithmE0ELj4294967295EEENS1_25partition_config_selectorILNS1_17partition_subalgoE4EjNS0_10empty_typeEbEEZZNS1_14partition_implILS8_4ELb0ES6_15HIP_vector_typeIjLj2EENS0_17counting_iteratorIjlEEPS9_SG_NS0_5tupleIJPjSI_NS0_16reverse_iteratorISI_EEEEENSH_IJSG_SG_SG_EEES9_SI_JZNS1_25segmented_radix_sort_implINS0_14default_configELb0EPKfPfPKlPlN2at6native12_GLOBAL__N_18offset_tEEE10hipError_tPvRmT1_PNSt15iterator_traitsIS12_E10value_typeET2_T3_PNS13_IS18_E10value_typeET4_jRbjT5_S1E_jjP12ihipStream_tbEUljE_ZNSN_ISO_Lb0ESQ_SR_ST_SU_SY_EESZ_S10_S11_S12_S16_S17_S18_S1B_S1C_jS1D_jS1E_S1E_jjS1G_bEUljE0_EEESZ_S10_S11_S18_S1C_S1E_T6_T7_T9_mT8_S1G_bDpT10_ENKUlT_T0_E_clISt17integral_constantIbLb1EES1U_EEDaS1P_S1Q_EUlS1P_E_NS1_11comp_targetILNS1_3genE10ELNS1_11target_archE1200ELNS1_3gpuE4ELNS1_3repE0EEENS1_30default_config_static_selectorELNS0_4arch9wavefront6targetE1EEEvS12_, .Lfunc_end1377-_ZN7rocprim17ROCPRIM_400000_NS6detail17trampoline_kernelINS0_13select_configILj256ELj13ELNS0_17block_load_methodE3ELS4_3ELS4_3ELNS0_20block_scan_algorithmE0ELj4294967295EEENS1_25partition_config_selectorILNS1_17partition_subalgoE4EjNS0_10empty_typeEbEEZZNS1_14partition_implILS8_4ELb0ES6_15HIP_vector_typeIjLj2EENS0_17counting_iteratorIjlEEPS9_SG_NS0_5tupleIJPjSI_NS0_16reverse_iteratorISI_EEEEENSH_IJSG_SG_SG_EEES9_SI_JZNS1_25segmented_radix_sort_implINS0_14default_configELb0EPKfPfPKlPlN2at6native12_GLOBAL__N_18offset_tEEE10hipError_tPvRmT1_PNSt15iterator_traitsIS12_E10value_typeET2_T3_PNS13_IS18_E10value_typeET4_jRbjT5_S1E_jjP12ihipStream_tbEUljE_ZNSN_ISO_Lb0ESQ_SR_ST_SU_SY_EESZ_S10_S11_S12_S16_S17_S18_S1B_S1C_jS1D_jS1E_S1E_jjS1G_bEUljE0_EEESZ_S10_S11_S18_S1C_S1E_T6_T7_T9_mT8_S1G_bDpT10_ENKUlT_T0_E_clISt17integral_constantIbLb1EES1U_EEDaS1P_S1Q_EUlS1P_E_NS1_11comp_targetILNS1_3genE10ELNS1_11target_archE1200ELNS1_3gpuE4ELNS1_3repE0EEENS1_30default_config_static_selectorELNS0_4arch9wavefront6targetE1EEEvS12_
                                        ; -- End function
	.set _ZN7rocprim17ROCPRIM_400000_NS6detail17trampoline_kernelINS0_13select_configILj256ELj13ELNS0_17block_load_methodE3ELS4_3ELS4_3ELNS0_20block_scan_algorithmE0ELj4294967295EEENS1_25partition_config_selectorILNS1_17partition_subalgoE4EjNS0_10empty_typeEbEEZZNS1_14partition_implILS8_4ELb0ES6_15HIP_vector_typeIjLj2EENS0_17counting_iteratorIjlEEPS9_SG_NS0_5tupleIJPjSI_NS0_16reverse_iteratorISI_EEEEENSH_IJSG_SG_SG_EEES9_SI_JZNS1_25segmented_radix_sort_implINS0_14default_configELb0EPKfPfPKlPlN2at6native12_GLOBAL__N_18offset_tEEE10hipError_tPvRmT1_PNSt15iterator_traitsIS12_E10value_typeET2_T3_PNS13_IS18_E10value_typeET4_jRbjT5_S1E_jjP12ihipStream_tbEUljE_ZNSN_ISO_Lb0ESQ_SR_ST_SU_SY_EESZ_S10_S11_S12_S16_S17_S18_S1B_S1C_jS1D_jS1E_S1E_jjS1G_bEUljE0_EEESZ_S10_S11_S18_S1C_S1E_T6_T7_T9_mT8_S1G_bDpT10_ENKUlT_T0_E_clISt17integral_constantIbLb1EES1U_EEDaS1P_S1Q_EUlS1P_E_NS1_11comp_targetILNS1_3genE10ELNS1_11target_archE1200ELNS1_3gpuE4ELNS1_3repE0EEENS1_30default_config_static_selectorELNS0_4arch9wavefront6targetE1EEEvS12_.num_vgpr, 0
	.set _ZN7rocprim17ROCPRIM_400000_NS6detail17trampoline_kernelINS0_13select_configILj256ELj13ELNS0_17block_load_methodE3ELS4_3ELS4_3ELNS0_20block_scan_algorithmE0ELj4294967295EEENS1_25partition_config_selectorILNS1_17partition_subalgoE4EjNS0_10empty_typeEbEEZZNS1_14partition_implILS8_4ELb0ES6_15HIP_vector_typeIjLj2EENS0_17counting_iteratorIjlEEPS9_SG_NS0_5tupleIJPjSI_NS0_16reverse_iteratorISI_EEEEENSH_IJSG_SG_SG_EEES9_SI_JZNS1_25segmented_radix_sort_implINS0_14default_configELb0EPKfPfPKlPlN2at6native12_GLOBAL__N_18offset_tEEE10hipError_tPvRmT1_PNSt15iterator_traitsIS12_E10value_typeET2_T3_PNS13_IS18_E10value_typeET4_jRbjT5_S1E_jjP12ihipStream_tbEUljE_ZNSN_ISO_Lb0ESQ_SR_ST_SU_SY_EESZ_S10_S11_S12_S16_S17_S18_S1B_S1C_jS1D_jS1E_S1E_jjS1G_bEUljE0_EEESZ_S10_S11_S18_S1C_S1E_T6_T7_T9_mT8_S1G_bDpT10_ENKUlT_T0_E_clISt17integral_constantIbLb1EES1U_EEDaS1P_S1Q_EUlS1P_E_NS1_11comp_targetILNS1_3genE10ELNS1_11target_archE1200ELNS1_3gpuE4ELNS1_3repE0EEENS1_30default_config_static_selectorELNS0_4arch9wavefront6targetE1EEEvS12_.num_agpr, 0
	.set _ZN7rocprim17ROCPRIM_400000_NS6detail17trampoline_kernelINS0_13select_configILj256ELj13ELNS0_17block_load_methodE3ELS4_3ELS4_3ELNS0_20block_scan_algorithmE0ELj4294967295EEENS1_25partition_config_selectorILNS1_17partition_subalgoE4EjNS0_10empty_typeEbEEZZNS1_14partition_implILS8_4ELb0ES6_15HIP_vector_typeIjLj2EENS0_17counting_iteratorIjlEEPS9_SG_NS0_5tupleIJPjSI_NS0_16reverse_iteratorISI_EEEEENSH_IJSG_SG_SG_EEES9_SI_JZNS1_25segmented_radix_sort_implINS0_14default_configELb0EPKfPfPKlPlN2at6native12_GLOBAL__N_18offset_tEEE10hipError_tPvRmT1_PNSt15iterator_traitsIS12_E10value_typeET2_T3_PNS13_IS18_E10value_typeET4_jRbjT5_S1E_jjP12ihipStream_tbEUljE_ZNSN_ISO_Lb0ESQ_SR_ST_SU_SY_EESZ_S10_S11_S12_S16_S17_S18_S1B_S1C_jS1D_jS1E_S1E_jjS1G_bEUljE0_EEESZ_S10_S11_S18_S1C_S1E_T6_T7_T9_mT8_S1G_bDpT10_ENKUlT_T0_E_clISt17integral_constantIbLb1EES1U_EEDaS1P_S1Q_EUlS1P_E_NS1_11comp_targetILNS1_3genE10ELNS1_11target_archE1200ELNS1_3gpuE4ELNS1_3repE0EEENS1_30default_config_static_selectorELNS0_4arch9wavefront6targetE1EEEvS12_.numbered_sgpr, 0
	.set _ZN7rocprim17ROCPRIM_400000_NS6detail17trampoline_kernelINS0_13select_configILj256ELj13ELNS0_17block_load_methodE3ELS4_3ELS4_3ELNS0_20block_scan_algorithmE0ELj4294967295EEENS1_25partition_config_selectorILNS1_17partition_subalgoE4EjNS0_10empty_typeEbEEZZNS1_14partition_implILS8_4ELb0ES6_15HIP_vector_typeIjLj2EENS0_17counting_iteratorIjlEEPS9_SG_NS0_5tupleIJPjSI_NS0_16reverse_iteratorISI_EEEEENSH_IJSG_SG_SG_EEES9_SI_JZNS1_25segmented_radix_sort_implINS0_14default_configELb0EPKfPfPKlPlN2at6native12_GLOBAL__N_18offset_tEEE10hipError_tPvRmT1_PNSt15iterator_traitsIS12_E10value_typeET2_T3_PNS13_IS18_E10value_typeET4_jRbjT5_S1E_jjP12ihipStream_tbEUljE_ZNSN_ISO_Lb0ESQ_SR_ST_SU_SY_EESZ_S10_S11_S12_S16_S17_S18_S1B_S1C_jS1D_jS1E_S1E_jjS1G_bEUljE0_EEESZ_S10_S11_S18_S1C_S1E_T6_T7_T9_mT8_S1G_bDpT10_ENKUlT_T0_E_clISt17integral_constantIbLb1EES1U_EEDaS1P_S1Q_EUlS1P_E_NS1_11comp_targetILNS1_3genE10ELNS1_11target_archE1200ELNS1_3gpuE4ELNS1_3repE0EEENS1_30default_config_static_selectorELNS0_4arch9wavefront6targetE1EEEvS12_.num_named_barrier, 0
	.set _ZN7rocprim17ROCPRIM_400000_NS6detail17trampoline_kernelINS0_13select_configILj256ELj13ELNS0_17block_load_methodE3ELS4_3ELS4_3ELNS0_20block_scan_algorithmE0ELj4294967295EEENS1_25partition_config_selectorILNS1_17partition_subalgoE4EjNS0_10empty_typeEbEEZZNS1_14partition_implILS8_4ELb0ES6_15HIP_vector_typeIjLj2EENS0_17counting_iteratorIjlEEPS9_SG_NS0_5tupleIJPjSI_NS0_16reverse_iteratorISI_EEEEENSH_IJSG_SG_SG_EEES9_SI_JZNS1_25segmented_radix_sort_implINS0_14default_configELb0EPKfPfPKlPlN2at6native12_GLOBAL__N_18offset_tEEE10hipError_tPvRmT1_PNSt15iterator_traitsIS12_E10value_typeET2_T3_PNS13_IS18_E10value_typeET4_jRbjT5_S1E_jjP12ihipStream_tbEUljE_ZNSN_ISO_Lb0ESQ_SR_ST_SU_SY_EESZ_S10_S11_S12_S16_S17_S18_S1B_S1C_jS1D_jS1E_S1E_jjS1G_bEUljE0_EEESZ_S10_S11_S18_S1C_S1E_T6_T7_T9_mT8_S1G_bDpT10_ENKUlT_T0_E_clISt17integral_constantIbLb1EES1U_EEDaS1P_S1Q_EUlS1P_E_NS1_11comp_targetILNS1_3genE10ELNS1_11target_archE1200ELNS1_3gpuE4ELNS1_3repE0EEENS1_30default_config_static_selectorELNS0_4arch9wavefront6targetE1EEEvS12_.private_seg_size, 0
	.set _ZN7rocprim17ROCPRIM_400000_NS6detail17trampoline_kernelINS0_13select_configILj256ELj13ELNS0_17block_load_methodE3ELS4_3ELS4_3ELNS0_20block_scan_algorithmE0ELj4294967295EEENS1_25partition_config_selectorILNS1_17partition_subalgoE4EjNS0_10empty_typeEbEEZZNS1_14partition_implILS8_4ELb0ES6_15HIP_vector_typeIjLj2EENS0_17counting_iteratorIjlEEPS9_SG_NS0_5tupleIJPjSI_NS0_16reverse_iteratorISI_EEEEENSH_IJSG_SG_SG_EEES9_SI_JZNS1_25segmented_radix_sort_implINS0_14default_configELb0EPKfPfPKlPlN2at6native12_GLOBAL__N_18offset_tEEE10hipError_tPvRmT1_PNSt15iterator_traitsIS12_E10value_typeET2_T3_PNS13_IS18_E10value_typeET4_jRbjT5_S1E_jjP12ihipStream_tbEUljE_ZNSN_ISO_Lb0ESQ_SR_ST_SU_SY_EESZ_S10_S11_S12_S16_S17_S18_S1B_S1C_jS1D_jS1E_S1E_jjS1G_bEUljE0_EEESZ_S10_S11_S18_S1C_S1E_T6_T7_T9_mT8_S1G_bDpT10_ENKUlT_T0_E_clISt17integral_constantIbLb1EES1U_EEDaS1P_S1Q_EUlS1P_E_NS1_11comp_targetILNS1_3genE10ELNS1_11target_archE1200ELNS1_3gpuE4ELNS1_3repE0EEENS1_30default_config_static_selectorELNS0_4arch9wavefront6targetE1EEEvS12_.uses_vcc, 0
	.set _ZN7rocprim17ROCPRIM_400000_NS6detail17trampoline_kernelINS0_13select_configILj256ELj13ELNS0_17block_load_methodE3ELS4_3ELS4_3ELNS0_20block_scan_algorithmE0ELj4294967295EEENS1_25partition_config_selectorILNS1_17partition_subalgoE4EjNS0_10empty_typeEbEEZZNS1_14partition_implILS8_4ELb0ES6_15HIP_vector_typeIjLj2EENS0_17counting_iteratorIjlEEPS9_SG_NS0_5tupleIJPjSI_NS0_16reverse_iteratorISI_EEEEENSH_IJSG_SG_SG_EEES9_SI_JZNS1_25segmented_radix_sort_implINS0_14default_configELb0EPKfPfPKlPlN2at6native12_GLOBAL__N_18offset_tEEE10hipError_tPvRmT1_PNSt15iterator_traitsIS12_E10value_typeET2_T3_PNS13_IS18_E10value_typeET4_jRbjT5_S1E_jjP12ihipStream_tbEUljE_ZNSN_ISO_Lb0ESQ_SR_ST_SU_SY_EESZ_S10_S11_S12_S16_S17_S18_S1B_S1C_jS1D_jS1E_S1E_jjS1G_bEUljE0_EEESZ_S10_S11_S18_S1C_S1E_T6_T7_T9_mT8_S1G_bDpT10_ENKUlT_T0_E_clISt17integral_constantIbLb1EES1U_EEDaS1P_S1Q_EUlS1P_E_NS1_11comp_targetILNS1_3genE10ELNS1_11target_archE1200ELNS1_3gpuE4ELNS1_3repE0EEENS1_30default_config_static_selectorELNS0_4arch9wavefront6targetE1EEEvS12_.uses_flat_scratch, 0
	.set _ZN7rocprim17ROCPRIM_400000_NS6detail17trampoline_kernelINS0_13select_configILj256ELj13ELNS0_17block_load_methodE3ELS4_3ELS4_3ELNS0_20block_scan_algorithmE0ELj4294967295EEENS1_25partition_config_selectorILNS1_17partition_subalgoE4EjNS0_10empty_typeEbEEZZNS1_14partition_implILS8_4ELb0ES6_15HIP_vector_typeIjLj2EENS0_17counting_iteratorIjlEEPS9_SG_NS0_5tupleIJPjSI_NS0_16reverse_iteratorISI_EEEEENSH_IJSG_SG_SG_EEES9_SI_JZNS1_25segmented_radix_sort_implINS0_14default_configELb0EPKfPfPKlPlN2at6native12_GLOBAL__N_18offset_tEEE10hipError_tPvRmT1_PNSt15iterator_traitsIS12_E10value_typeET2_T3_PNS13_IS18_E10value_typeET4_jRbjT5_S1E_jjP12ihipStream_tbEUljE_ZNSN_ISO_Lb0ESQ_SR_ST_SU_SY_EESZ_S10_S11_S12_S16_S17_S18_S1B_S1C_jS1D_jS1E_S1E_jjS1G_bEUljE0_EEESZ_S10_S11_S18_S1C_S1E_T6_T7_T9_mT8_S1G_bDpT10_ENKUlT_T0_E_clISt17integral_constantIbLb1EES1U_EEDaS1P_S1Q_EUlS1P_E_NS1_11comp_targetILNS1_3genE10ELNS1_11target_archE1200ELNS1_3gpuE4ELNS1_3repE0EEENS1_30default_config_static_selectorELNS0_4arch9wavefront6targetE1EEEvS12_.has_dyn_sized_stack, 0
	.set _ZN7rocprim17ROCPRIM_400000_NS6detail17trampoline_kernelINS0_13select_configILj256ELj13ELNS0_17block_load_methodE3ELS4_3ELS4_3ELNS0_20block_scan_algorithmE0ELj4294967295EEENS1_25partition_config_selectorILNS1_17partition_subalgoE4EjNS0_10empty_typeEbEEZZNS1_14partition_implILS8_4ELb0ES6_15HIP_vector_typeIjLj2EENS0_17counting_iteratorIjlEEPS9_SG_NS0_5tupleIJPjSI_NS0_16reverse_iteratorISI_EEEEENSH_IJSG_SG_SG_EEES9_SI_JZNS1_25segmented_radix_sort_implINS0_14default_configELb0EPKfPfPKlPlN2at6native12_GLOBAL__N_18offset_tEEE10hipError_tPvRmT1_PNSt15iterator_traitsIS12_E10value_typeET2_T3_PNS13_IS18_E10value_typeET4_jRbjT5_S1E_jjP12ihipStream_tbEUljE_ZNSN_ISO_Lb0ESQ_SR_ST_SU_SY_EESZ_S10_S11_S12_S16_S17_S18_S1B_S1C_jS1D_jS1E_S1E_jjS1G_bEUljE0_EEESZ_S10_S11_S18_S1C_S1E_T6_T7_T9_mT8_S1G_bDpT10_ENKUlT_T0_E_clISt17integral_constantIbLb1EES1U_EEDaS1P_S1Q_EUlS1P_E_NS1_11comp_targetILNS1_3genE10ELNS1_11target_archE1200ELNS1_3gpuE4ELNS1_3repE0EEENS1_30default_config_static_selectorELNS0_4arch9wavefront6targetE1EEEvS12_.has_recursion, 0
	.set _ZN7rocprim17ROCPRIM_400000_NS6detail17trampoline_kernelINS0_13select_configILj256ELj13ELNS0_17block_load_methodE3ELS4_3ELS4_3ELNS0_20block_scan_algorithmE0ELj4294967295EEENS1_25partition_config_selectorILNS1_17partition_subalgoE4EjNS0_10empty_typeEbEEZZNS1_14partition_implILS8_4ELb0ES6_15HIP_vector_typeIjLj2EENS0_17counting_iteratorIjlEEPS9_SG_NS0_5tupleIJPjSI_NS0_16reverse_iteratorISI_EEEEENSH_IJSG_SG_SG_EEES9_SI_JZNS1_25segmented_radix_sort_implINS0_14default_configELb0EPKfPfPKlPlN2at6native12_GLOBAL__N_18offset_tEEE10hipError_tPvRmT1_PNSt15iterator_traitsIS12_E10value_typeET2_T3_PNS13_IS18_E10value_typeET4_jRbjT5_S1E_jjP12ihipStream_tbEUljE_ZNSN_ISO_Lb0ESQ_SR_ST_SU_SY_EESZ_S10_S11_S12_S16_S17_S18_S1B_S1C_jS1D_jS1E_S1E_jjS1G_bEUljE0_EEESZ_S10_S11_S18_S1C_S1E_T6_T7_T9_mT8_S1G_bDpT10_ENKUlT_T0_E_clISt17integral_constantIbLb1EES1U_EEDaS1P_S1Q_EUlS1P_E_NS1_11comp_targetILNS1_3genE10ELNS1_11target_archE1200ELNS1_3gpuE4ELNS1_3repE0EEENS1_30default_config_static_selectorELNS0_4arch9wavefront6targetE1EEEvS12_.has_indirect_call, 0
	.section	.AMDGPU.csdata,"",@progbits
; Kernel info:
; codeLenInByte = 0
; TotalNumSgprs: 4
; NumVgprs: 0
; ScratchSize: 0
; MemoryBound: 0
; FloatMode: 240
; IeeeMode: 1
; LDSByteSize: 0 bytes/workgroup (compile time only)
; SGPRBlocks: 0
; VGPRBlocks: 0
; NumSGPRsForWavesPerEU: 4
; NumVGPRsForWavesPerEU: 1
; Occupancy: 10
; WaveLimiterHint : 0
; COMPUTE_PGM_RSRC2:SCRATCH_EN: 0
; COMPUTE_PGM_RSRC2:USER_SGPR: 6
; COMPUTE_PGM_RSRC2:TRAP_HANDLER: 0
; COMPUTE_PGM_RSRC2:TGID_X_EN: 1
; COMPUTE_PGM_RSRC2:TGID_Y_EN: 0
; COMPUTE_PGM_RSRC2:TGID_Z_EN: 0
; COMPUTE_PGM_RSRC2:TIDIG_COMP_CNT: 0
	.section	.text._ZN7rocprim17ROCPRIM_400000_NS6detail17trampoline_kernelINS0_13select_configILj256ELj13ELNS0_17block_load_methodE3ELS4_3ELS4_3ELNS0_20block_scan_algorithmE0ELj4294967295EEENS1_25partition_config_selectorILNS1_17partition_subalgoE4EjNS0_10empty_typeEbEEZZNS1_14partition_implILS8_4ELb0ES6_15HIP_vector_typeIjLj2EENS0_17counting_iteratorIjlEEPS9_SG_NS0_5tupleIJPjSI_NS0_16reverse_iteratorISI_EEEEENSH_IJSG_SG_SG_EEES9_SI_JZNS1_25segmented_radix_sort_implINS0_14default_configELb0EPKfPfPKlPlN2at6native12_GLOBAL__N_18offset_tEEE10hipError_tPvRmT1_PNSt15iterator_traitsIS12_E10value_typeET2_T3_PNS13_IS18_E10value_typeET4_jRbjT5_S1E_jjP12ihipStream_tbEUljE_ZNSN_ISO_Lb0ESQ_SR_ST_SU_SY_EESZ_S10_S11_S12_S16_S17_S18_S1B_S1C_jS1D_jS1E_S1E_jjS1G_bEUljE0_EEESZ_S10_S11_S18_S1C_S1E_T6_T7_T9_mT8_S1G_bDpT10_ENKUlT_T0_E_clISt17integral_constantIbLb1EES1U_EEDaS1P_S1Q_EUlS1P_E_NS1_11comp_targetILNS1_3genE9ELNS1_11target_archE1100ELNS1_3gpuE3ELNS1_3repE0EEENS1_30default_config_static_selectorELNS0_4arch9wavefront6targetE1EEEvS12_,"axG",@progbits,_ZN7rocprim17ROCPRIM_400000_NS6detail17trampoline_kernelINS0_13select_configILj256ELj13ELNS0_17block_load_methodE3ELS4_3ELS4_3ELNS0_20block_scan_algorithmE0ELj4294967295EEENS1_25partition_config_selectorILNS1_17partition_subalgoE4EjNS0_10empty_typeEbEEZZNS1_14partition_implILS8_4ELb0ES6_15HIP_vector_typeIjLj2EENS0_17counting_iteratorIjlEEPS9_SG_NS0_5tupleIJPjSI_NS0_16reverse_iteratorISI_EEEEENSH_IJSG_SG_SG_EEES9_SI_JZNS1_25segmented_radix_sort_implINS0_14default_configELb0EPKfPfPKlPlN2at6native12_GLOBAL__N_18offset_tEEE10hipError_tPvRmT1_PNSt15iterator_traitsIS12_E10value_typeET2_T3_PNS13_IS18_E10value_typeET4_jRbjT5_S1E_jjP12ihipStream_tbEUljE_ZNSN_ISO_Lb0ESQ_SR_ST_SU_SY_EESZ_S10_S11_S12_S16_S17_S18_S1B_S1C_jS1D_jS1E_S1E_jjS1G_bEUljE0_EEESZ_S10_S11_S18_S1C_S1E_T6_T7_T9_mT8_S1G_bDpT10_ENKUlT_T0_E_clISt17integral_constantIbLb1EES1U_EEDaS1P_S1Q_EUlS1P_E_NS1_11comp_targetILNS1_3genE9ELNS1_11target_archE1100ELNS1_3gpuE3ELNS1_3repE0EEENS1_30default_config_static_selectorELNS0_4arch9wavefront6targetE1EEEvS12_,comdat
	.globl	_ZN7rocprim17ROCPRIM_400000_NS6detail17trampoline_kernelINS0_13select_configILj256ELj13ELNS0_17block_load_methodE3ELS4_3ELS4_3ELNS0_20block_scan_algorithmE0ELj4294967295EEENS1_25partition_config_selectorILNS1_17partition_subalgoE4EjNS0_10empty_typeEbEEZZNS1_14partition_implILS8_4ELb0ES6_15HIP_vector_typeIjLj2EENS0_17counting_iteratorIjlEEPS9_SG_NS0_5tupleIJPjSI_NS0_16reverse_iteratorISI_EEEEENSH_IJSG_SG_SG_EEES9_SI_JZNS1_25segmented_radix_sort_implINS0_14default_configELb0EPKfPfPKlPlN2at6native12_GLOBAL__N_18offset_tEEE10hipError_tPvRmT1_PNSt15iterator_traitsIS12_E10value_typeET2_T3_PNS13_IS18_E10value_typeET4_jRbjT5_S1E_jjP12ihipStream_tbEUljE_ZNSN_ISO_Lb0ESQ_SR_ST_SU_SY_EESZ_S10_S11_S12_S16_S17_S18_S1B_S1C_jS1D_jS1E_S1E_jjS1G_bEUljE0_EEESZ_S10_S11_S18_S1C_S1E_T6_T7_T9_mT8_S1G_bDpT10_ENKUlT_T0_E_clISt17integral_constantIbLb1EES1U_EEDaS1P_S1Q_EUlS1P_E_NS1_11comp_targetILNS1_3genE9ELNS1_11target_archE1100ELNS1_3gpuE3ELNS1_3repE0EEENS1_30default_config_static_selectorELNS0_4arch9wavefront6targetE1EEEvS12_ ; -- Begin function _ZN7rocprim17ROCPRIM_400000_NS6detail17trampoline_kernelINS0_13select_configILj256ELj13ELNS0_17block_load_methodE3ELS4_3ELS4_3ELNS0_20block_scan_algorithmE0ELj4294967295EEENS1_25partition_config_selectorILNS1_17partition_subalgoE4EjNS0_10empty_typeEbEEZZNS1_14partition_implILS8_4ELb0ES6_15HIP_vector_typeIjLj2EENS0_17counting_iteratorIjlEEPS9_SG_NS0_5tupleIJPjSI_NS0_16reverse_iteratorISI_EEEEENSH_IJSG_SG_SG_EEES9_SI_JZNS1_25segmented_radix_sort_implINS0_14default_configELb0EPKfPfPKlPlN2at6native12_GLOBAL__N_18offset_tEEE10hipError_tPvRmT1_PNSt15iterator_traitsIS12_E10value_typeET2_T3_PNS13_IS18_E10value_typeET4_jRbjT5_S1E_jjP12ihipStream_tbEUljE_ZNSN_ISO_Lb0ESQ_SR_ST_SU_SY_EESZ_S10_S11_S12_S16_S17_S18_S1B_S1C_jS1D_jS1E_S1E_jjS1G_bEUljE0_EEESZ_S10_S11_S18_S1C_S1E_T6_T7_T9_mT8_S1G_bDpT10_ENKUlT_T0_E_clISt17integral_constantIbLb1EES1U_EEDaS1P_S1Q_EUlS1P_E_NS1_11comp_targetILNS1_3genE9ELNS1_11target_archE1100ELNS1_3gpuE3ELNS1_3repE0EEENS1_30default_config_static_selectorELNS0_4arch9wavefront6targetE1EEEvS12_
	.p2align	8
	.type	_ZN7rocprim17ROCPRIM_400000_NS6detail17trampoline_kernelINS0_13select_configILj256ELj13ELNS0_17block_load_methodE3ELS4_3ELS4_3ELNS0_20block_scan_algorithmE0ELj4294967295EEENS1_25partition_config_selectorILNS1_17partition_subalgoE4EjNS0_10empty_typeEbEEZZNS1_14partition_implILS8_4ELb0ES6_15HIP_vector_typeIjLj2EENS0_17counting_iteratorIjlEEPS9_SG_NS0_5tupleIJPjSI_NS0_16reverse_iteratorISI_EEEEENSH_IJSG_SG_SG_EEES9_SI_JZNS1_25segmented_radix_sort_implINS0_14default_configELb0EPKfPfPKlPlN2at6native12_GLOBAL__N_18offset_tEEE10hipError_tPvRmT1_PNSt15iterator_traitsIS12_E10value_typeET2_T3_PNS13_IS18_E10value_typeET4_jRbjT5_S1E_jjP12ihipStream_tbEUljE_ZNSN_ISO_Lb0ESQ_SR_ST_SU_SY_EESZ_S10_S11_S12_S16_S17_S18_S1B_S1C_jS1D_jS1E_S1E_jjS1G_bEUljE0_EEESZ_S10_S11_S18_S1C_S1E_T6_T7_T9_mT8_S1G_bDpT10_ENKUlT_T0_E_clISt17integral_constantIbLb1EES1U_EEDaS1P_S1Q_EUlS1P_E_NS1_11comp_targetILNS1_3genE9ELNS1_11target_archE1100ELNS1_3gpuE3ELNS1_3repE0EEENS1_30default_config_static_selectorELNS0_4arch9wavefront6targetE1EEEvS12_,@function
_ZN7rocprim17ROCPRIM_400000_NS6detail17trampoline_kernelINS0_13select_configILj256ELj13ELNS0_17block_load_methodE3ELS4_3ELS4_3ELNS0_20block_scan_algorithmE0ELj4294967295EEENS1_25partition_config_selectorILNS1_17partition_subalgoE4EjNS0_10empty_typeEbEEZZNS1_14partition_implILS8_4ELb0ES6_15HIP_vector_typeIjLj2EENS0_17counting_iteratorIjlEEPS9_SG_NS0_5tupleIJPjSI_NS0_16reverse_iteratorISI_EEEEENSH_IJSG_SG_SG_EEES9_SI_JZNS1_25segmented_radix_sort_implINS0_14default_configELb0EPKfPfPKlPlN2at6native12_GLOBAL__N_18offset_tEEE10hipError_tPvRmT1_PNSt15iterator_traitsIS12_E10value_typeET2_T3_PNS13_IS18_E10value_typeET4_jRbjT5_S1E_jjP12ihipStream_tbEUljE_ZNSN_ISO_Lb0ESQ_SR_ST_SU_SY_EESZ_S10_S11_S12_S16_S17_S18_S1B_S1C_jS1D_jS1E_S1E_jjS1G_bEUljE0_EEESZ_S10_S11_S18_S1C_S1E_T6_T7_T9_mT8_S1G_bDpT10_ENKUlT_T0_E_clISt17integral_constantIbLb1EES1U_EEDaS1P_S1Q_EUlS1P_E_NS1_11comp_targetILNS1_3genE9ELNS1_11target_archE1100ELNS1_3gpuE3ELNS1_3repE0EEENS1_30default_config_static_selectorELNS0_4arch9wavefront6targetE1EEEvS12_: ; @_ZN7rocprim17ROCPRIM_400000_NS6detail17trampoline_kernelINS0_13select_configILj256ELj13ELNS0_17block_load_methodE3ELS4_3ELS4_3ELNS0_20block_scan_algorithmE0ELj4294967295EEENS1_25partition_config_selectorILNS1_17partition_subalgoE4EjNS0_10empty_typeEbEEZZNS1_14partition_implILS8_4ELb0ES6_15HIP_vector_typeIjLj2EENS0_17counting_iteratorIjlEEPS9_SG_NS0_5tupleIJPjSI_NS0_16reverse_iteratorISI_EEEEENSH_IJSG_SG_SG_EEES9_SI_JZNS1_25segmented_radix_sort_implINS0_14default_configELb0EPKfPfPKlPlN2at6native12_GLOBAL__N_18offset_tEEE10hipError_tPvRmT1_PNSt15iterator_traitsIS12_E10value_typeET2_T3_PNS13_IS18_E10value_typeET4_jRbjT5_S1E_jjP12ihipStream_tbEUljE_ZNSN_ISO_Lb0ESQ_SR_ST_SU_SY_EESZ_S10_S11_S12_S16_S17_S18_S1B_S1C_jS1D_jS1E_S1E_jjS1G_bEUljE0_EEESZ_S10_S11_S18_S1C_S1E_T6_T7_T9_mT8_S1G_bDpT10_ENKUlT_T0_E_clISt17integral_constantIbLb1EES1U_EEDaS1P_S1Q_EUlS1P_E_NS1_11comp_targetILNS1_3genE9ELNS1_11target_archE1100ELNS1_3gpuE3ELNS1_3repE0EEENS1_30default_config_static_selectorELNS0_4arch9wavefront6targetE1EEEvS12_
; %bb.0:
	.section	.rodata,"a",@progbits
	.p2align	6, 0x0
	.amdhsa_kernel _ZN7rocprim17ROCPRIM_400000_NS6detail17trampoline_kernelINS0_13select_configILj256ELj13ELNS0_17block_load_methodE3ELS4_3ELS4_3ELNS0_20block_scan_algorithmE0ELj4294967295EEENS1_25partition_config_selectorILNS1_17partition_subalgoE4EjNS0_10empty_typeEbEEZZNS1_14partition_implILS8_4ELb0ES6_15HIP_vector_typeIjLj2EENS0_17counting_iteratorIjlEEPS9_SG_NS0_5tupleIJPjSI_NS0_16reverse_iteratorISI_EEEEENSH_IJSG_SG_SG_EEES9_SI_JZNS1_25segmented_radix_sort_implINS0_14default_configELb0EPKfPfPKlPlN2at6native12_GLOBAL__N_18offset_tEEE10hipError_tPvRmT1_PNSt15iterator_traitsIS12_E10value_typeET2_T3_PNS13_IS18_E10value_typeET4_jRbjT5_S1E_jjP12ihipStream_tbEUljE_ZNSN_ISO_Lb0ESQ_SR_ST_SU_SY_EESZ_S10_S11_S12_S16_S17_S18_S1B_S1C_jS1D_jS1E_S1E_jjS1G_bEUljE0_EEESZ_S10_S11_S18_S1C_S1E_T6_T7_T9_mT8_S1G_bDpT10_ENKUlT_T0_E_clISt17integral_constantIbLb1EES1U_EEDaS1P_S1Q_EUlS1P_E_NS1_11comp_targetILNS1_3genE9ELNS1_11target_archE1100ELNS1_3gpuE3ELNS1_3repE0EEENS1_30default_config_static_selectorELNS0_4arch9wavefront6targetE1EEEvS12_
		.amdhsa_group_segment_fixed_size 0
		.amdhsa_private_segment_fixed_size 0
		.amdhsa_kernarg_size 184
		.amdhsa_user_sgpr_count 6
		.amdhsa_user_sgpr_private_segment_buffer 1
		.amdhsa_user_sgpr_dispatch_ptr 0
		.amdhsa_user_sgpr_queue_ptr 0
		.amdhsa_user_sgpr_kernarg_segment_ptr 1
		.amdhsa_user_sgpr_dispatch_id 0
		.amdhsa_user_sgpr_flat_scratch_init 0
		.amdhsa_user_sgpr_private_segment_size 0
		.amdhsa_uses_dynamic_stack 0
		.amdhsa_system_sgpr_private_segment_wavefront_offset 0
		.amdhsa_system_sgpr_workgroup_id_x 1
		.amdhsa_system_sgpr_workgroup_id_y 0
		.amdhsa_system_sgpr_workgroup_id_z 0
		.amdhsa_system_sgpr_workgroup_info 0
		.amdhsa_system_vgpr_workitem_id 0
		.amdhsa_next_free_vgpr 1
		.amdhsa_next_free_sgpr 0
		.amdhsa_reserve_vcc 0
		.amdhsa_reserve_flat_scratch 0
		.amdhsa_float_round_mode_32 0
		.amdhsa_float_round_mode_16_64 0
		.amdhsa_float_denorm_mode_32 3
		.amdhsa_float_denorm_mode_16_64 3
		.amdhsa_dx10_clamp 1
		.amdhsa_ieee_mode 1
		.amdhsa_fp16_overflow 0
		.amdhsa_exception_fp_ieee_invalid_op 0
		.amdhsa_exception_fp_denorm_src 0
		.amdhsa_exception_fp_ieee_div_zero 0
		.amdhsa_exception_fp_ieee_overflow 0
		.amdhsa_exception_fp_ieee_underflow 0
		.amdhsa_exception_fp_ieee_inexact 0
		.amdhsa_exception_int_div_zero 0
	.end_amdhsa_kernel
	.section	.text._ZN7rocprim17ROCPRIM_400000_NS6detail17trampoline_kernelINS0_13select_configILj256ELj13ELNS0_17block_load_methodE3ELS4_3ELS4_3ELNS0_20block_scan_algorithmE0ELj4294967295EEENS1_25partition_config_selectorILNS1_17partition_subalgoE4EjNS0_10empty_typeEbEEZZNS1_14partition_implILS8_4ELb0ES6_15HIP_vector_typeIjLj2EENS0_17counting_iteratorIjlEEPS9_SG_NS0_5tupleIJPjSI_NS0_16reverse_iteratorISI_EEEEENSH_IJSG_SG_SG_EEES9_SI_JZNS1_25segmented_radix_sort_implINS0_14default_configELb0EPKfPfPKlPlN2at6native12_GLOBAL__N_18offset_tEEE10hipError_tPvRmT1_PNSt15iterator_traitsIS12_E10value_typeET2_T3_PNS13_IS18_E10value_typeET4_jRbjT5_S1E_jjP12ihipStream_tbEUljE_ZNSN_ISO_Lb0ESQ_SR_ST_SU_SY_EESZ_S10_S11_S12_S16_S17_S18_S1B_S1C_jS1D_jS1E_S1E_jjS1G_bEUljE0_EEESZ_S10_S11_S18_S1C_S1E_T6_T7_T9_mT8_S1G_bDpT10_ENKUlT_T0_E_clISt17integral_constantIbLb1EES1U_EEDaS1P_S1Q_EUlS1P_E_NS1_11comp_targetILNS1_3genE9ELNS1_11target_archE1100ELNS1_3gpuE3ELNS1_3repE0EEENS1_30default_config_static_selectorELNS0_4arch9wavefront6targetE1EEEvS12_,"axG",@progbits,_ZN7rocprim17ROCPRIM_400000_NS6detail17trampoline_kernelINS0_13select_configILj256ELj13ELNS0_17block_load_methodE3ELS4_3ELS4_3ELNS0_20block_scan_algorithmE0ELj4294967295EEENS1_25partition_config_selectorILNS1_17partition_subalgoE4EjNS0_10empty_typeEbEEZZNS1_14partition_implILS8_4ELb0ES6_15HIP_vector_typeIjLj2EENS0_17counting_iteratorIjlEEPS9_SG_NS0_5tupleIJPjSI_NS0_16reverse_iteratorISI_EEEEENSH_IJSG_SG_SG_EEES9_SI_JZNS1_25segmented_radix_sort_implINS0_14default_configELb0EPKfPfPKlPlN2at6native12_GLOBAL__N_18offset_tEEE10hipError_tPvRmT1_PNSt15iterator_traitsIS12_E10value_typeET2_T3_PNS13_IS18_E10value_typeET4_jRbjT5_S1E_jjP12ihipStream_tbEUljE_ZNSN_ISO_Lb0ESQ_SR_ST_SU_SY_EESZ_S10_S11_S12_S16_S17_S18_S1B_S1C_jS1D_jS1E_S1E_jjS1G_bEUljE0_EEESZ_S10_S11_S18_S1C_S1E_T6_T7_T9_mT8_S1G_bDpT10_ENKUlT_T0_E_clISt17integral_constantIbLb1EES1U_EEDaS1P_S1Q_EUlS1P_E_NS1_11comp_targetILNS1_3genE9ELNS1_11target_archE1100ELNS1_3gpuE3ELNS1_3repE0EEENS1_30default_config_static_selectorELNS0_4arch9wavefront6targetE1EEEvS12_,comdat
.Lfunc_end1378:
	.size	_ZN7rocprim17ROCPRIM_400000_NS6detail17trampoline_kernelINS0_13select_configILj256ELj13ELNS0_17block_load_methodE3ELS4_3ELS4_3ELNS0_20block_scan_algorithmE0ELj4294967295EEENS1_25partition_config_selectorILNS1_17partition_subalgoE4EjNS0_10empty_typeEbEEZZNS1_14partition_implILS8_4ELb0ES6_15HIP_vector_typeIjLj2EENS0_17counting_iteratorIjlEEPS9_SG_NS0_5tupleIJPjSI_NS0_16reverse_iteratorISI_EEEEENSH_IJSG_SG_SG_EEES9_SI_JZNS1_25segmented_radix_sort_implINS0_14default_configELb0EPKfPfPKlPlN2at6native12_GLOBAL__N_18offset_tEEE10hipError_tPvRmT1_PNSt15iterator_traitsIS12_E10value_typeET2_T3_PNS13_IS18_E10value_typeET4_jRbjT5_S1E_jjP12ihipStream_tbEUljE_ZNSN_ISO_Lb0ESQ_SR_ST_SU_SY_EESZ_S10_S11_S12_S16_S17_S18_S1B_S1C_jS1D_jS1E_S1E_jjS1G_bEUljE0_EEESZ_S10_S11_S18_S1C_S1E_T6_T7_T9_mT8_S1G_bDpT10_ENKUlT_T0_E_clISt17integral_constantIbLb1EES1U_EEDaS1P_S1Q_EUlS1P_E_NS1_11comp_targetILNS1_3genE9ELNS1_11target_archE1100ELNS1_3gpuE3ELNS1_3repE0EEENS1_30default_config_static_selectorELNS0_4arch9wavefront6targetE1EEEvS12_, .Lfunc_end1378-_ZN7rocprim17ROCPRIM_400000_NS6detail17trampoline_kernelINS0_13select_configILj256ELj13ELNS0_17block_load_methodE3ELS4_3ELS4_3ELNS0_20block_scan_algorithmE0ELj4294967295EEENS1_25partition_config_selectorILNS1_17partition_subalgoE4EjNS0_10empty_typeEbEEZZNS1_14partition_implILS8_4ELb0ES6_15HIP_vector_typeIjLj2EENS0_17counting_iteratorIjlEEPS9_SG_NS0_5tupleIJPjSI_NS0_16reverse_iteratorISI_EEEEENSH_IJSG_SG_SG_EEES9_SI_JZNS1_25segmented_radix_sort_implINS0_14default_configELb0EPKfPfPKlPlN2at6native12_GLOBAL__N_18offset_tEEE10hipError_tPvRmT1_PNSt15iterator_traitsIS12_E10value_typeET2_T3_PNS13_IS18_E10value_typeET4_jRbjT5_S1E_jjP12ihipStream_tbEUljE_ZNSN_ISO_Lb0ESQ_SR_ST_SU_SY_EESZ_S10_S11_S12_S16_S17_S18_S1B_S1C_jS1D_jS1E_S1E_jjS1G_bEUljE0_EEESZ_S10_S11_S18_S1C_S1E_T6_T7_T9_mT8_S1G_bDpT10_ENKUlT_T0_E_clISt17integral_constantIbLb1EES1U_EEDaS1P_S1Q_EUlS1P_E_NS1_11comp_targetILNS1_3genE9ELNS1_11target_archE1100ELNS1_3gpuE3ELNS1_3repE0EEENS1_30default_config_static_selectorELNS0_4arch9wavefront6targetE1EEEvS12_
                                        ; -- End function
	.set _ZN7rocprim17ROCPRIM_400000_NS6detail17trampoline_kernelINS0_13select_configILj256ELj13ELNS0_17block_load_methodE3ELS4_3ELS4_3ELNS0_20block_scan_algorithmE0ELj4294967295EEENS1_25partition_config_selectorILNS1_17partition_subalgoE4EjNS0_10empty_typeEbEEZZNS1_14partition_implILS8_4ELb0ES6_15HIP_vector_typeIjLj2EENS0_17counting_iteratorIjlEEPS9_SG_NS0_5tupleIJPjSI_NS0_16reverse_iteratorISI_EEEEENSH_IJSG_SG_SG_EEES9_SI_JZNS1_25segmented_radix_sort_implINS0_14default_configELb0EPKfPfPKlPlN2at6native12_GLOBAL__N_18offset_tEEE10hipError_tPvRmT1_PNSt15iterator_traitsIS12_E10value_typeET2_T3_PNS13_IS18_E10value_typeET4_jRbjT5_S1E_jjP12ihipStream_tbEUljE_ZNSN_ISO_Lb0ESQ_SR_ST_SU_SY_EESZ_S10_S11_S12_S16_S17_S18_S1B_S1C_jS1D_jS1E_S1E_jjS1G_bEUljE0_EEESZ_S10_S11_S18_S1C_S1E_T6_T7_T9_mT8_S1G_bDpT10_ENKUlT_T0_E_clISt17integral_constantIbLb1EES1U_EEDaS1P_S1Q_EUlS1P_E_NS1_11comp_targetILNS1_3genE9ELNS1_11target_archE1100ELNS1_3gpuE3ELNS1_3repE0EEENS1_30default_config_static_selectorELNS0_4arch9wavefront6targetE1EEEvS12_.num_vgpr, 0
	.set _ZN7rocprim17ROCPRIM_400000_NS6detail17trampoline_kernelINS0_13select_configILj256ELj13ELNS0_17block_load_methodE3ELS4_3ELS4_3ELNS0_20block_scan_algorithmE0ELj4294967295EEENS1_25partition_config_selectorILNS1_17partition_subalgoE4EjNS0_10empty_typeEbEEZZNS1_14partition_implILS8_4ELb0ES6_15HIP_vector_typeIjLj2EENS0_17counting_iteratorIjlEEPS9_SG_NS0_5tupleIJPjSI_NS0_16reverse_iteratorISI_EEEEENSH_IJSG_SG_SG_EEES9_SI_JZNS1_25segmented_radix_sort_implINS0_14default_configELb0EPKfPfPKlPlN2at6native12_GLOBAL__N_18offset_tEEE10hipError_tPvRmT1_PNSt15iterator_traitsIS12_E10value_typeET2_T3_PNS13_IS18_E10value_typeET4_jRbjT5_S1E_jjP12ihipStream_tbEUljE_ZNSN_ISO_Lb0ESQ_SR_ST_SU_SY_EESZ_S10_S11_S12_S16_S17_S18_S1B_S1C_jS1D_jS1E_S1E_jjS1G_bEUljE0_EEESZ_S10_S11_S18_S1C_S1E_T6_T7_T9_mT8_S1G_bDpT10_ENKUlT_T0_E_clISt17integral_constantIbLb1EES1U_EEDaS1P_S1Q_EUlS1P_E_NS1_11comp_targetILNS1_3genE9ELNS1_11target_archE1100ELNS1_3gpuE3ELNS1_3repE0EEENS1_30default_config_static_selectorELNS0_4arch9wavefront6targetE1EEEvS12_.num_agpr, 0
	.set _ZN7rocprim17ROCPRIM_400000_NS6detail17trampoline_kernelINS0_13select_configILj256ELj13ELNS0_17block_load_methodE3ELS4_3ELS4_3ELNS0_20block_scan_algorithmE0ELj4294967295EEENS1_25partition_config_selectorILNS1_17partition_subalgoE4EjNS0_10empty_typeEbEEZZNS1_14partition_implILS8_4ELb0ES6_15HIP_vector_typeIjLj2EENS0_17counting_iteratorIjlEEPS9_SG_NS0_5tupleIJPjSI_NS0_16reverse_iteratorISI_EEEEENSH_IJSG_SG_SG_EEES9_SI_JZNS1_25segmented_radix_sort_implINS0_14default_configELb0EPKfPfPKlPlN2at6native12_GLOBAL__N_18offset_tEEE10hipError_tPvRmT1_PNSt15iterator_traitsIS12_E10value_typeET2_T3_PNS13_IS18_E10value_typeET4_jRbjT5_S1E_jjP12ihipStream_tbEUljE_ZNSN_ISO_Lb0ESQ_SR_ST_SU_SY_EESZ_S10_S11_S12_S16_S17_S18_S1B_S1C_jS1D_jS1E_S1E_jjS1G_bEUljE0_EEESZ_S10_S11_S18_S1C_S1E_T6_T7_T9_mT8_S1G_bDpT10_ENKUlT_T0_E_clISt17integral_constantIbLb1EES1U_EEDaS1P_S1Q_EUlS1P_E_NS1_11comp_targetILNS1_3genE9ELNS1_11target_archE1100ELNS1_3gpuE3ELNS1_3repE0EEENS1_30default_config_static_selectorELNS0_4arch9wavefront6targetE1EEEvS12_.numbered_sgpr, 0
	.set _ZN7rocprim17ROCPRIM_400000_NS6detail17trampoline_kernelINS0_13select_configILj256ELj13ELNS0_17block_load_methodE3ELS4_3ELS4_3ELNS0_20block_scan_algorithmE0ELj4294967295EEENS1_25partition_config_selectorILNS1_17partition_subalgoE4EjNS0_10empty_typeEbEEZZNS1_14partition_implILS8_4ELb0ES6_15HIP_vector_typeIjLj2EENS0_17counting_iteratorIjlEEPS9_SG_NS0_5tupleIJPjSI_NS0_16reverse_iteratorISI_EEEEENSH_IJSG_SG_SG_EEES9_SI_JZNS1_25segmented_radix_sort_implINS0_14default_configELb0EPKfPfPKlPlN2at6native12_GLOBAL__N_18offset_tEEE10hipError_tPvRmT1_PNSt15iterator_traitsIS12_E10value_typeET2_T3_PNS13_IS18_E10value_typeET4_jRbjT5_S1E_jjP12ihipStream_tbEUljE_ZNSN_ISO_Lb0ESQ_SR_ST_SU_SY_EESZ_S10_S11_S12_S16_S17_S18_S1B_S1C_jS1D_jS1E_S1E_jjS1G_bEUljE0_EEESZ_S10_S11_S18_S1C_S1E_T6_T7_T9_mT8_S1G_bDpT10_ENKUlT_T0_E_clISt17integral_constantIbLb1EES1U_EEDaS1P_S1Q_EUlS1P_E_NS1_11comp_targetILNS1_3genE9ELNS1_11target_archE1100ELNS1_3gpuE3ELNS1_3repE0EEENS1_30default_config_static_selectorELNS0_4arch9wavefront6targetE1EEEvS12_.num_named_barrier, 0
	.set _ZN7rocprim17ROCPRIM_400000_NS6detail17trampoline_kernelINS0_13select_configILj256ELj13ELNS0_17block_load_methodE3ELS4_3ELS4_3ELNS0_20block_scan_algorithmE0ELj4294967295EEENS1_25partition_config_selectorILNS1_17partition_subalgoE4EjNS0_10empty_typeEbEEZZNS1_14partition_implILS8_4ELb0ES6_15HIP_vector_typeIjLj2EENS0_17counting_iteratorIjlEEPS9_SG_NS0_5tupleIJPjSI_NS0_16reverse_iteratorISI_EEEEENSH_IJSG_SG_SG_EEES9_SI_JZNS1_25segmented_radix_sort_implINS0_14default_configELb0EPKfPfPKlPlN2at6native12_GLOBAL__N_18offset_tEEE10hipError_tPvRmT1_PNSt15iterator_traitsIS12_E10value_typeET2_T3_PNS13_IS18_E10value_typeET4_jRbjT5_S1E_jjP12ihipStream_tbEUljE_ZNSN_ISO_Lb0ESQ_SR_ST_SU_SY_EESZ_S10_S11_S12_S16_S17_S18_S1B_S1C_jS1D_jS1E_S1E_jjS1G_bEUljE0_EEESZ_S10_S11_S18_S1C_S1E_T6_T7_T9_mT8_S1G_bDpT10_ENKUlT_T0_E_clISt17integral_constantIbLb1EES1U_EEDaS1P_S1Q_EUlS1P_E_NS1_11comp_targetILNS1_3genE9ELNS1_11target_archE1100ELNS1_3gpuE3ELNS1_3repE0EEENS1_30default_config_static_selectorELNS0_4arch9wavefront6targetE1EEEvS12_.private_seg_size, 0
	.set _ZN7rocprim17ROCPRIM_400000_NS6detail17trampoline_kernelINS0_13select_configILj256ELj13ELNS0_17block_load_methodE3ELS4_3ELS4_3ELNS0_20block_scan_algorithmE0ELj4294967295EEENS1_25partition_config_selectorILNS1_17partition_subalgoE4EjNS0_10empty_typeEbEEZZNS1_14partition_implILS8_4ELb0ES6_15HIP_vector_typeIjLj2EENS0_17counting_iteratorIjlEEPS9_SG_NS0_5tupleIJPjSI_NS0_16reverse_iteratorISI_EEEEENSH_IJSG_SG_SG_EEES9_SI_JZNS1_25segmented_radix_sort_implINS0_14default_configELb0EPKfPfPKlPlN2at6native12_GLOBAL__N_18offset_tEEE10hipError_tPvRmT1_PNSt15iterator_traitsIS12_E10value_typeET2_T3_PNS13_IS18_E10value_typeET4_jRbjT5_S1E_jjP12ihipStream_tbEUljE_ZNSN_ISO_Lb0ESQ_SR_ST_SU_SY_EESZ_S10_S11_S12_S16_S17_S18_S1B_S1C_jS1D_jS1E_S1E_jjS1G_bEUljE0_EEESZ_S10_S11_S18_S1C_S1E_T6_T7_T9_mT8_S1G_bDpT10_ENKUlT_T0_E_clISt17integral_constantIbLb1EES1U_EEDaS1P_S1Q_EUlS1P_E_NS1_11comp_targetILNS1_3genE9ELNS1_11target_archE1100ELNS1_3gpuE3ELNS1_3repE0EEENS1_30default_config_static_selectorELNS0_4arch9wavefront6targetE1EEEvS12_.uses_vcc, 0
	.set _ZN7rocprim17ROCPRIM_400000_NS6detail17trampoline_kernelINS0_13select_configILj256ELj13ELNS0_17block_load_methodE3ELS4_3ELS4_3ELNS0_20block_scan_algorithmE0ELj4294967295EEENS1_25partition_config_selectorILNS1_17partition_subalgoE4EjNS0_10empty_typeEbEEZZNS1_14partition_implILS8_4ELb0ES6_15HIP_vector_typeIjLj2EENS0_17counting_iteratorIjlEEPS9_SG_NS0_5tupleIJPjSI_NS0_16reverse_iteratorISI_EEEEENSH_IJSG_SG_SG_EEES9_SI_JZNS1_25segmented_radix_sort_implINS0_14default_configELb0EPKfPfPKlPlN2at6native12_GLOBAL__N_18offset_tEEE10hipError_tPvRmT1_PNSt15iterator_traitsIS12_E10value_typeET2_T3_PNS13_IS18_E10value_typeET4_jRbjT5_S1E_jjP12ihipStream_tbEUljE_ZNSN_ISO_Lb0ESQ_SR_ST_SU_SY_EESZ_S10_S11_S12_S16_S17_S18_S1B_S1C_jS1D_jS1E_S1E_jjS1G_bEUljE0_EEESZ_S10_S11_S18_S1C_S1E_T6_T7_T9_mT8_S1G_bDpT10_ENKUlT_T0_E_clISt17integral_constantIbLb1EES1U_EEDaS1P_S1Q_EUlS1P_E_NS1_11comp_targetILNS1_3genE9ELNS1_11target_archE1100ELNS1_3gpuE3ELNS1_3repE0EEENS1_30default_config_static_selectorELNS0_4arch9wavefront6targetE1EEEvS12_.uses_flat_scratch, 0
	.set _ZN7rocprim17ROCPRIM_400000_NS6detail17trampoline_kernelINS0_13select_configILj256ELj13ELNS0_17block_load_methodE3ELS4_3ELS4_3ELNS0_20block_scan_algorithmE0ELj4294967295EEENS1_25partition_config_selectorILNS1_17partition_subalgoE4EjNS0_10empty_typeEbEEZZNS1_14partition_implILS8_4ELb0ES6_15HIP_vector_typeIjLj2EENS0_17counting_iteratorIjlEEPS9_SG_NS0_5tupleIJPjSI_NS0_16reverse_iteratorISI_EEEEENSH_IJSG_SG_SG_EEES9_SI_JZNS1_25segmented_radix_sort_implINS0_14default_configELb0EPKfPfPKlPlN2at6native12_GLOBAL__N_18offset_tEEE10hipError_tPvRmT1_PNSt15iterator_traitsIS12_E10value_typeET2_T3_PNS13_IS18_E10value_typeET4_jRbjT5_S1E_jjP12ihipStream_tbEUljE_ZNSN_ISO_Lb0ESQ_SR_ST_SU_SY_EESZ_S10_S11_S12_S16_S17_S18_S1B_S1C_jS1D_jS1E_S1E_jjS1G_bEUljE0_EEESZ_S10_S11_S18_S1C_S1E_T6_T7_T9_mT8_S1G_bDpT10_ENKUlT_T0_E_clISt17integral_constantIbLb1EES1U_EEDaS1P_S1Q_EUlS1P_E_NS1_11comp_targetILNS1_3genE9ELNS1_11target_archE1100ELNS1_3gpuE3ELNS1_3repE0EEENS1_30default_config_static_selectorELNS0_4arch9wavefront6targetE1EEEvS12_.has_dyn_sized_stack, 0
	.set _ZN7rocprim17ROCPRIM_400000_NS6detail17trampoline_kernelINS0_13select_configILj256ELj13ELNS0_17block_load_methodE3ELS4_3ELS4_3ELNS0_20block_scan_algorithmE0ELj4294967295EEENS1_25partition_config_selectorILNS1_17partition_subalgoE4EjNS0_10empty_typeEbEEZZNS1_14partition_implILS8_4ELb0ES6_15HIP_vector_typeIjLj2EENS0_17counting_iteratorIjlEEPS9_SG_NS0_5tupleIJPjSI_NS0_16reverse_iteratorISI_EEEEENSH_IJSG_SG_SG_EEES9_SI_JZNS1_25segmented_radix_sort_implINS0_14default_configELb0EPKfPfPKlPlN2at6native12_GLOBAL__N_18offset_tEEE10hipError_tPvRmT1_PNSt15iterator_traitsIS12_E10value_typeET2_T3_PNS13_IS18_E10value_typeET4_jRbjT5_S1E_jjP12ihipStream_tbEUljE_ZNSN_ISO_Lb0ESQ_SR_ST_SU_SY_EESZ_S10_S11_S12_S16_S17_S18_S1B_S1C_jS1D_jS1E_S1E_jjS1G_bEUljE0_EEESZ_S10_S11_S18_S1C_S1E_T6_T7_T9_mT8_S1G_bDpT10_ENKUlT_T0_E_clISt17integral_constantIbLb1EES1U_EEDaS1P_S1Q_EUlS1P_E_NS1_11comp_targetILNS1_3genE9ELNS1_11target_archE1100ELNS1_3gpuE3ELNS1_3repE0EEENS1_30default_config_static_selectorELNS0_4arch9wavefront6targetE1EEEvS12_.has_recursion, 0
	.set _ZN7rocprim17ROCPRIM_400000_NS6detail17trampoline_kernelINS0_13select_configILj256ELj13ELNS0_17block_load_methodE3ELS4_3ELS4_3ELNS0_20block_scan_algorithmE0ELj4294967295EEENS1_25partition_config_selectorILNS1_17partition_subalgoE4EjNS0_10empty_typeEbEEZZNS1_14partition_implILS8_4ELb0ES6_15HIP_vector_typeIjLj2EENS0_17counting_iteratorIjlEEPS9_SG_NS0_5tupleIJPjSI_NS0_16reverse_iteratorISI_EEEEENSH_IJSG_SG_SG_EEES9_SI_JZNS1_25segmented_radix_sort_implINS0_14default_configELb0EPKfPfPKlPlN2at6native12_GLOBAL__N_18offset_tEEE10hipError_tPvRmT1_PNSt15iterator_traitsIS12_E10value_typeET2_T3_PNS13_IS18_E10value_typeET4_jRbjT5_S1E_jjP12ihipStream_tbEUljE_ZNSN_ISO_Lb0ESQ_SR_ST_SU_SY_EESZ_S10_S11_S12_S16_S17_S18_S1B_S1C_jS1D_jS1E_S1E_jjS1G_bEUljE0_EEESZ_S10_S11_S18_S1C_S1E_T6_T7_T9_mT8_S1G_bDpT10_ENKUlT_T0_E_clISt17integral_constantIbLb1EES1U_EEDaS1P_S1Q_EUlS1P_E_NS1_11comp_targetILNS1_3genE9ELNS1_11target_archE1100ELNS1_3gpuE3ELNS1_3repE0EEENS1_30default_config_static_selectorELNS0_4arch9wavefront6targetE1EEEvS12_.has_indirect_call, 0
	.section	.AMDGPU.csdata,"",@progbits
; Kernel info:
; codeLenInByte = 0
; TotalNumSgprs: 4
; NumVgprs: 0
; ScratchSize: 0
; MemoryBound: 0
; FloatMode: 240
; IeeeMode: 1
; LDSByteSize: 0 bytes/workgroup (compile time only)
; SGPRBlocks: 0
; VGPRBlocks: 0
; NumSGPRsForWavesPerEU: 4
; NumVGPRsForWavesPerEU: 1
; Occupancy: 10
; WaveLimiterHint : 0
; COMPUTE_PGM_RSRC2:SCRATCH_EN: 0
; COMPUTE_PGM_RSRC2:USER_SGPR: 6
; COMPUTE_PGM_RSRC2:TRAP_HANDLER: 0
; COMPUTE_PGM_RSRC2:TGID_X_EN: 1
; COMPUTE_PGM_RSRC2:TGID_Y_EN: 0
; COMPUTE_PGM_RSRC2:TGID_Z_EN: 0
; COMPUTE_PGM_RSRC2:TIDIG_COMP_CNT: 0
	.section	.text._ZN7rocprim17ROCPRIM_400000_NS6detail17trampoline_kernelINS0_13select_configILj256ELj13ELNS0_17block_load_methodE3ELS4_3ELS4_3ELNS0_20block_scan_algorithmE0ELj4294967295EEENS1_25partition_config_selectorILNS1_17partition_subalgoE4EjNS0_10empty_typeEbEEZZNS1_14partition_implILS8_4ELb0ES6_15HIP_vector_typeIjLj2EENS0_17counting_iteratorIjlEEPS9_SG_NS0_5tupleIJPjSI_NS0_16reverse_iteratorISI_EEEEENSH_IJSG_SG_SG_EEES9_SI_JZNS1_25segmented_radix_sort_implINS0_14default_configELb0EPKfPfPKlPlN2at6native12_GLOBAL__N_18offset_tEEE10hipError_tPvRmT1_PNSt15iterator_traitsIS12_E10value_typeET2_T3_PNS13_IS18_E10value_typeET4_jRbjT5_S1E_jjP12ihipStream_tbEUljE_ZNSN_ISO_Lb0ESQ_SR_ST_SU_SY_EESZ_S10_S11_S12_S16_S17_S18_S1B_S1C_jS1D_jS1E_S1E_jjS1G_bEUljE0_EEESZ_S10_S11_S18_S1C_S1E_T6_T7_T9_mT8_S1G_bDpT10_ENKUlT_T0_E_clISt17integral_constantIbLb1EES1U_EEDaS1P_S1Q_EUlS1P_E_NS1_11comp_targetILNS1_3genE8ELNS1_11target_archE1030ELNS1_3gpuE2ELNS1_3repE0EEENS1_30default_config_static_selectorELNS0_4arch9wavefront6targetE1EEEvS12_,"axG",@progbits,_ZN7rocprim17ROCPRIM_400000_NS6detail17trampoline_kernelINS0_13select_configILj256ELj13ELNS0_17block_load_methodE3ELS4_3ELS4_3ELNS0_20block_scan_algorithmE0ELj4294967295EEENS1_25partition_config_selectorILNS1_17partition_subalgoE4EjNS0_10empty_typeEbEEZZNS1_14partition_implILS8_4ELb0ES6_15HIP_vector_typeIjLj2EENS0_17counting_iteratorIjlEEPS9_SG_NS0_5tupleIJPjSI_NS0_16reverse_iteratorISI_EEEEENSH_IJSG_SG_SG_EEES9_SI_JZNS1_25segmented_radix_sort_implINS0_14default_configELb0EPKfPfPKlPlN2at6native12_GLOBAL__N_18offset_tEEE10hipError_tPvRmT1_PNSt15iterator_traitsIS12_E10value_typeET2_T3_PNS13_IS18_E10value_typeET4_jRbjT5_S1E_jjP12ihipStream_tbEUljE_ZNSN_ISO_Lb0ESQ_SR_ST_SU_SY_EESZ_S10_S11_S12_S16_S17_S18_S1B_S1C_jS1D_jS1E_S1E_jjS1G_bEUljE0_EEESZ_S10_S11_S18_S1C_S1E_T6_T7_T9_mT8_S1G_bDpT10_ENKUlT_T0_E_clISt17integral_constantIbLb1EES1U_EEDaS1P_S1Q_EUlS1P_E_NS1_11comp_targetILNS1_3genE8ELNS1_11target_archE1030ELNS1_3gpuE2ELNS1_3repE0EEENS1_30default_config_static_selectorELNS0_4arch9wavefront6targetE1EEEvS12_,comdat
	.globl	_ZN7rocprim17ROCPRIM_400000_NS6detail17trampoline_kernelINS0_13select_configILj256ELj13ELNS0_17block_load_methodE3ELS4_3ELS4_3ELNS0_20block_scan_algorithmE0ELj4294967295EEENS1_25partition_config_selectorILNS1_17partition_subalgoE4EjNS0_10empty_typeEbEEZZNS1_14partition_implILS8_4ELb0ES6_15HIP_vector_typeIjLj2EENS0_17counting_iteratorIjlEEPS9_SG_NS0_5tupleIJPjSI_NS0_16reverse_iteratorISI_EEEEENSH_IJSG_SG_SG_EEES9_SI_JZNS1_25segmented_radix_sort_implINS0_14default_configELb0EPKfPfPKlPlN2at6native12_GLOBAL__N_18offset_tEEE10hipError_tPvRmT1_PNSt15iterator_traitsIS12_E10value_typeET2_T3_PNS13_IS18_E10value_typeET4_jRbjT5_S1E_jjP12ihipStream_tbEUljE_ZNSN_ISO_Lb0ESQ_SR_ST_SU_SY_EESZ_S10_S11_S12_S16_S17_S18_S1B_S1C_jS1D_jS1E_S1E_jjS1G_bEUljE0_EEESZ_S10_S11_S18_S1C_S1E_T6_T7_T9_mT8_S1G_bDpT10_ENKUlT_T0_E_clISt17integral_constantIbLb1EES1U_EEDaS1P_S1Q_EUlS1P_E_NS1_11comp_targetILNS1_3genE8ELNS1_11target_archE1030ELNS1_3gpuE2ELNS1_3repE0EEENS1_30default_config_static_selectorELNS0_4arch9wavefront6targetE1EEEvS12_ ; -- Begin function _ZN7rocprim17ROCPRIM_400000_NS6detail17trampoline_kernelINS0_13select_configILj256ELj13ELNS0_17block_load_methodE3ELS4_3ELS4_3ELNS0_20block_scan_algorithmE0ELj4294967295EEENS1_25partition_config_selectorILNS1_17partition_subalgoE4EjNS0_10empty_typeEbEEZZNS1_14partition_implILS8_4ELb0ES6_15HIP_vector_typeIjLj2EENS0_17counting_iteratorIjlEEPS9_SG_NS0_5tupleIJPjSI_NS0_16reverse_iteratorISI_EEEEENSH_IJSG_SG_SG_EEES9_SI_JZNS1_25segmented_radix_sort_implINS0_14default_configELb0EPKfPfPKlPlN2at6native12_GLOBAL__N_18offset_tEEE10hipError_tPvRmT1_PNSt15iterator_traitsIS12_E10value_typeET2_T3_PNS13_IS18_E10value_typeET4_jRbjT5_S1E_jjP12ihipStream_tbEUljE_ZNSN_ISO_Lb0ESQ_SR_ST_SU_SY_EESZ_S10_S11_S12_S16_S17_S18_S1B_S1C_jS1D_jS1E_S1E_jjS1G_bEUljE0_EEESZ_S10_S11_S18_S1C_S1E_T6_T7_T9_mT8_S1G_bDpT10_ENKUlT_T0_E_clISt17integral_constantIbLb1EES1U_EEDaS1P_S1Q_EUlS1P_E_NS1_11comp_targetILNS1_3genE8ELNS1_11target_archE1030ELNS1_3gpuE2ELNS1_3repE0EEENS1_30default_config_static_selectorELNS0_4arch9wavefront6targetE1EEEvS12_
	.p2align	8
	.type	_ZN7rocprim17ROCPRIM_400000_NS6detail17trampoline_kernelINS0_13select_configILj256ELj13ELNS0_17block_load_methodE3ELS4_3ELS4_3ELNS0_20block_scan_algorithmE0ELj4294967295EEENS1_25partition_config_selectorILNS1_17partition_subalgoE4EjNS0_10empty_typeEbEEZZNS1_14partition_implILS8_4ELb0ES6_15HIP_vector_typeIjLj2EENS0_17counting_iteratorIjlEEPS9_SG_NS0_5tupleIJPjSI_NS0_16reverse_iteratorISI_EEEEENSH_IJSG_SG_SG_EEES9_SI_JZNS1_25segmented_radix_sort_implINS0_14default_configELb0EPKfPfPKlPlN2at6native12_GLOBAL__N_18offset_tEEE10hipError_tPvRmT1_PNSt15iterator_traitsIS12_E10value_typeET2_T3_PNS13_IS18_E10value_typeET4_jRbjT5_S1E_jjP12ihipStream_tbEUljE_ZNSN_ISO_Lb0ESQ_SR_ST_SU_SY_EESZ_S10_S11_S12_S16_S17_S18_S1B_S1C_jS1D_jS1E_S1E_jjS1G_bEUljE0_EEESZ_S10_S11_S18_S1C_S1E_T6_T7_T9_mT8_S1G_bDpT10_ENKUlT_T0_E_clISt17integral_constantIbLb1EES1U_EEDaS1P_S1Q_EUlS1P_E_NS1_11comp_targetILNS1_3genE8ELNS1_11target_archE1030ELNS1_3gpuE2ELNS1_3repE0EEENS1_30default_config_static_selectorELNS0_4arch9wavefront6targetE1EEEvS12_,@function
_ZN7rocprim17ROCPRIM_400000_NS6detail17trampoline_kernelINS0_13select_configILj256ELj13ELNS0_17block_load_methodE3ELS4_3ELS4_3ELNS0_20block_scan_algorithmE0ELj4294967295EEENS1_25partition_config_selectorILNS1_17partition_subalgoE4EjNS0_10empty_typeEbEEZZNS1_14partition_implILS8_4ELb0ES6_15HIP_vector_typeIjLj2EENS0_17counting_iteratorIjlEEPS9_SG_NS0_5tupleIJPjSI_NS0_16reverse_iteratorISI_EEEEENSH_IJSG_SG_SG_EEES9_SI_JZNS1_25segmented_radix_sort_implINS0_14default_configELb0EPKfPfPKlPlN2at6native12_GLOBAL__N_18offset_tEEE10hipError_tPvRmT1_PNSt15iterator_traitsIS12_E10value_typeET2_T3_PNS13_IS18_E10value_typeET4_jRbjT5_S1E_jjP12ihipStream_tbEUljE_ZNSN_ISO_Lb0ESQ_SR_ST_SU_SY_EESZ_S10_S11_S12_S16_S17_S18_S1B_S1C_jS1D_jS1E_S1E_jjS1G_bEUljE0_EEESZ_S10_S11_S18_S1C_S1E_T6_T7_T9_mT8_S1G_bDpT10_ENKUlT_T0_E_clISt17integral_constantIbLb1EES1U_EEDaS1P_S1Q_EUlS1P_E_NS1_11comp_targetILNS1_3genE8ELNS1_11target_archE1030ELNS1_3gpuE2ELNS1_3repE0EEENS1_30default_config_static_selectorELNS0_4arch9wavefront6targetE1EEEvS12_: ; @_ZN7rocprim17ROCPRIM_400000_NS6detail17trampoline_kernelINS0_13select_configILj256ELj13ELNS0_17block_load_methodE3ELS4_3ELS4_3ELNS0_20block_scan_algorithmE0ELj4294967295EEENS1_25partition_config_selectorILNS1_17partition_subalgoE4EjNS0_10empty_typeEbEEZZNS1_14partition_implILS8_4ELb0ES6_15HIP_vector_typeIjLj2EENS0_17counting_iteratorIjlEEPS9_SG_NS0_5tupleIJPjSI_NS0_16reverse_iteratorISI_EEEEENSH_IJSG_SG_SG_EEES9_SI_JZNS1_25segmented_radix_sort_implINS0_14default_configELb0EPKfPfPKlPlN2at6native12_GLOBAL__N_18offset_tEEE10hipError_tPvRmT1_PNSt15iterator_traitsIS12_E10value_typeET2_T3_PNS13_IS18_E10value_typeET4_jRbjT5_S1E_jjP12ihipStream_tbEUljE_ZNSN_ISO_Lb0ESQ_SR_ST_SU_SY_EESZ_S10_S11_S12_S16_S17_S18_S1B_S1C_jS1D_jS1E_S1E_jjS1G_bEUljE0_EEESZ_S10_S11_S18_S1C_S1E_T6_T7_T9_mT8_S1G_bDpT10_ENKUlT_T0_E_clISt17integral_constantIbLb1EES1U_EEDaS1P_S1Q_EUlS1P_E_NS1_11comp_targetILNS1_3genE8ELNS1_11target_archE1030ELNS1_3gpuE2ELNS1_3repE0EEENS1_30default_config_static_selectorELNS0_4arch9wavefront6targetE1EEEvS12_
; %bb.0:
	.section	.rodata,"a",@progbits
	.p2align	6, 0x0
	.amdhsa_kernel _ZN7rocprim17ROCPRIM_400000_NS6detail17trampoline_kernelINS0_13select_configILj256ELj13ELNS0_17block_load_methodE3ELS4_3ELS4_3ELNS0_20block_scan_algorithmE0ELj4294967295EEENS1_25partition_config_selectorILNS1_17partition_subalgoE4EjNS0_10empty_typeEbEEZZNS1_14partition_implILS8_4ELb0ES6_15HIP_vector_typeIjLj2EENS0_17counting_iteratorIjlEEPS9_SG_NS0_5tupleIJPjSI_NS0_16reverse_iteratorISI_EEEEENSH_IJSG_SG_SG_EEES9_SI_JZNS1_25segmented_radix_sort_implINS0_14default_configELb0EPKfPfPKlPlN2at6native12_GLOBAL__N_18offset_tEEE10hipError_tPvRmT1_PNSt15iterator_traitsIS12_E10value_typeET2_T3_PNS13_IS18_E10value_typeET4_jRbjT5_S1E_jjP12ihipStream_tbEUljE_ZNSN_ISO_Lb0ESQ_SR_ST_SU_SY_EESZ_S10_S11_S12_S16_S17_S18_S1B_S1C_jS1D_jS1E_S1E_jjS1G_bEUljE0_EEESZ_S10_S11_S18_S1C_S1E_T6_T7_T9_mT8_S1G_bDpT10_ENKUlT_T0_E_clISt17integral_constantIbLb1EES1U_EEDaS1P_S1Q_EUlS1P_E_NS1_11comp_targetILNS1_3genE8ELNS1_11target_archE1030ELNS1_3gpuE2ELNS1_3repE0EEENS1_30default_config_static_selectorELNS0_4arch9wavefront6targetE1EEEvS12_
		.amdhsa_group_segment_fixed_size 0
		.amdhsa_private_segment_fixed_size 0
		.amdhsa_kernarg_size 184
		.amdhsa_user_sgpr_count 6
		.amdhsa_user_sgpr_private_segment_buffer 1
		.amdhsa_user_sgpr_dispatch_ptr 0
		.amdhsa_user_sgpr_queue_ptr 0
		.amdhsa_user_sgpr_kernarg_segment_ptr 1
		.amdhsa_user_sgpr_dispatch_id 0
		.amdhsa_user_sgpr_flat_scratch_init 0
		.amdhsa_user_sgpr_private_segment_size 0
		.amdhsa_uses_dynamic_stack 0
		.amdhsa_system_sgpr_private_segment_wavefront_offset 0
		.amdhsa_system_sgpr_workgroup_id_x 1
		.amdhsa_system_sgpr_workgroup_id_y 0
		.amdhsa_system_sgpr_workgroup_id_z 0
		.amdhsa_system_sgpr_workgroup_info 0
		.amdhsa_system_vgpr_workitem_id 0
		.amdhsa_next_free_vgpr 1
		.amdhsa_next_free_sgpr 0
		.amdhsa_reserve_vcc 0
		.amdhsa_reserve_flat_scratch 0
		.amdhsa_float_round_mode_32 0
		.amdhsa_float_round_mode_16_64 0
		.amdhsa_float_denorm_mode_32 3
		.amdhsa_float_denorm_mode_16_64 3
		.amdhsa_dx10_clamp 1
		.amdhsa_ieee_mode 1
		.amdhsa_fp16_overflow 0
		.amdhsa_exception_fp_ieee_invalid_op 0
		.amdhsa_exception_fp_denorm_src 0
		.amdhsa_exception_fp_ieee_div_zero 0
		.amdhsa_exception_fp_ieee_overflow 0
		.amdhsa_exception_fp_ieee_underflow 0
		.amdhsa_exception_fp_ieee_inexact 0
		.amdhsa_exception_int_div_zero 0
	.end_amdhsa_kernel
	.section	.text._ZN7rocprim17ROCPRIM_400000_NS6detail17trampoline_kernelINS0_13select_configILj256ELj13ELNS0_17block_load_methodE3ELS4_3ELS4_3ELNS0_20block_scan_algorithmE0ELj4294967295EEENS1_25partition_config_selectorILNS1_17partition_subalgoE4EjNS0_10empty_typeEbEEZZNS1_14partition_implILS8_4ELb0ES6_15HIP_vector_typeIjLj2EENS0_17counting_iteratorIjlEEPS9_SG_NS0_5tupleIJPjSI_NS0_16reverse_iteratorISI_EEEEENSH_IJSG_SG_SG_EEES9_SI_JZNS1_25segmented_radix_sort_implINS0_14default_configELb0EPKfPfPKlPlN2at6native12_GLOBAL__N_18offset_tEEE10hipError_tPvRmT1_PNSt15iterator_traitsIS12_E10value_typeET2_T3_PNS13_IS18_E10value_typeET4_jRbjT5_S1E_jjP12ihipStream_tbEUljE_ZNSN_ISO_Lb0ESQ_SR_ST_SU_SY_EESZ_S10_S11_S12_S16_S17_S18_S1B_S1C_jS1D_jS1E_S1E_jjS1G_bEUljE0_EEESZ_S10_S11_S18_S1C_S1E_T6_T7_T9_mT8_S1G_bDpT10_ENKUlT_T0_E_clISt17integral_constantIbLb1EES1U_EEDaS1P_S1Q_EUlS1P_E_NS1_11comp_targetILNS1_3genE8ELNS1_11target_archE1030ELNS1_3gpuE2ELNS1_3repE0EEENS1_30default_config_static_selectorELNS0_4arch9wavefront6targetE1EEEvS12_,"axG",@progbits,_ZN7rocprim17ROCPRIM_400000_NS6detail17trampoline_kernelINS0_13select_configILj256ELj13ELNS0_17block_load_methodE3ELS4_3ELS4_3ELNS0_20block_scan_algorithmE0ELj4294967295EEENS1_25partition_config_selectorILNS1_17partition_subalgoE4EjNS0_10empty_typeEbEEZZNS1_14partition_implILS8_4ELb0ES6_15HIP_vector_typeIjLj2EENS0_17counting_iteratorIjlEEPS9_SG_NS0_5tupleIJPjSI_NS0_16reverse_iteratorISI_EEEEENSH_IJSG_SG_SG_EEES9_SI_JZNS1_25segmented_radix_sort_implINS0_14default_configELb0EPKfPfPKlPlN2at6native12_GLOBAL__N_18offset_tEEE10hipError_tPvRmT1_PNSt15iterator_traitsIS12_E10value_typeET2_T3_PNS13_IS18_E10value_typeET4_jRbjT5_S1E_jjP12ihipStream_tbEUljE_ZNSN_ISO_Lb0ESQ_SR_ST_SU_SY_EESZ_S10_S11_S12_S16_S17_S18_S1B_S1C_jS1D_jS1E_S1E_jjS1G_bEUljE0_EEESZ_S10_S11_S18_S1C_S1E_T6_T7_T9_mT8_S1G_bDpT10_ENKUlT_T0_E_clISt17integral_constantIbLb1EES1U_EEDaS1P_S1Q_EUlS1P_E_NS1_11comp_targetILNS1_3genE8ELNS1_11target_archE1030ELNS1_3gpuE2ELNS1_3repE0EEENS1_30default_config_static_selectorELNS0_4arch9wavefront6targetE1EEEvS12_,comdat
.Lfunc_end1379:
	.size	_ZN7rocprim17ROCPRIM_400000_NS6detail17trampoline_kernelINS0_13select_configILj256ELj13ELNS0_17block_load_methodE3ELS4_3ELS4_3ELNS0_20block_scan_algorithmE0ELj4294967295EEENS1_25partition_config_selectorILNS1_17partition_subalgoE4EjNS0_10empty_typeEbEEZZNS1_14partition_implILS8_4ELb0ES6_15HIP_vector_typeIjLj2EENS0_17counting_iteratorIjlEEPS9_SG_NS0_5tupleIJPjSI_NS0_16reverse_iteratorISI_EEEEENSH_IJSG_SG_SG_EEES9_SI_JZNS1_25segmented_radix_sort_implINS0_14default_configELb0EPKfPfPKlPlN2at6native12_GLOBAL__N_18offset_tEEE10hipError_tPvRmT1_PNSt15iterator_traitsIS12_E10value_typeET2_T3_PNS13_IS18_E10value_typeET4_jRbjT5_S1E_jjP12ihipStream_tbEUljE_ZNSN_ISO_Lb0ESQ_SR_ST_SU_SY_EESZ_S10_S11_S12_S16_S17_S18_S1B_S1C_jS1D_jS1E_S1E_jjS1G_bEUljE0_EEESZ_S10_S11_S18_S1C_S1E_T6_T7_T9_mT8_S1G_bDpT10_ENKUlT_T0_E_clISt17integral_constantIbLb1EES1U_EEDaS1P_S1Q_EUlS1P_E_NS1_11comp_targetILNS1_3genE8ELNS1_11target_archE1030ELNS1_3gpuE2ELNS1_3repE0EEENS1_30default_config_static_selectorELNS0_4arch9wavefront6targetE1EEEvS12_, .Lfunc_end1379-_ZN7rocprim17ROCPRIM_400000_NS6detail17trampoline_kernelINS0_13select_configILj256ELj13ELNS0_17block_load_methodE3ELS4_3ELS4_3ELNS0_20block_scan_algorithmE0ELj4294967295EEENS1_25partition_config_selectorILNS1_17partition_subalgoE4EjNS0_10empty_typeEbEEZZNS1_14partition_implILS8_4ELb0ES6_15HIP_vector_typeIjLj2EENS0_17counting_iteratorIjlEEPS9_SG_NS0_5tupleIJPjSI_NS0_16reverse_iteratorISI_EEEEENSH_IJSG_SG_SG_EEES9_SI_JZNS1_25segmented_radix_sort_implINS0_14default_configELb0EPKfPfPKlPlN2at6native12_GLOBAL__N_18offset_tEEE10hipError_tPvRmT1_PNSt15iterator_traitsIS12_E10value_typeET2_T3_PNS13_IS18_E10value_typeET4_jRbjT5_S1E_jjP12ihipStream_tbEUljE_ZNSN_ISO_Lb0ESQ_SR_ST_SU_SY_EESZ_S10_S11_S12_S16_S17_S18_S1B_S1C_jS1D_jS1E_S1E_jjS1G_bEUljE0_EEESZ_S10_S11_S18_S1C_S1E_T6_T7_T9_mT8_S1G_bDpT10_ENKUlT_T0_E_clISt17integral_constantIbLb1EES1U_EEDaS1P_S1Q_EUlS1P_E_NS1_11comp_targetILNS1_3genE8ELNS1_11target_archE1030ELNS1_3gpuE2ELNS1_3repE0EEENS1_30default_config_static_selectorELNS0_4arch9wavefront6targetE1EEEvS12_
                                        ; -- End function
	.set _ZN7rocprim17ROCPRIM_400000_NS6detail17trampoline_kernelINS0_13select_configILj256ELj13ELNS0_17block_load_methodE3ELS4_3ELS4_3ELNS0_20block_scan_algorithmE0ELj4294967295EEENS1_25partition_config_selectorILNS1_17partition_subalgoE4EjNS0_10empty_typeEbEEZZNS1_14partition_implILS8_4ELb0ES6_15HIP_vector_typeIjLj2EENS0_17counting_iteratorIjlEEPS9_SG_NS0_5tupleIJPjSI_NS0_16reverse_iteratorISI_EEEEENSH_IJSG_SG_SG_EEES9_SI_JZNS1_25segmented_radix_sort_implINS0_14default_configELb0EPKfPfPKlPlN2at6native12_GLOBAL__N_18offset_tEEE10hipError_tPvRmT1_PNSt15iterator_traitsIS12_E10value_typeET2_T3_PNS13_IS18_E10value_typeET4_jRbjT5_S1E_jjP12ihipStream_tbEUljE_ZNSN_ISO_Lb0ESQ_SR_ST_SU_SY_EESZ_S10_S11_S12_S16_S17_S18_S1B_S1C_jS1D_jS1E_S1E_jjS1G_bEUljE0_EEESZ_S10_S11_S18_S1C_S1E_T6_T7_T9_mT8_S1G_bDpT10_ENKUlT_T0_E_clISt17integral_constantIbLb1EES1U_EEDaS1P_S1Q_EUlS1P_E_NS1_11comp_targetILNS1_3genE8ELNS1_11target_archE1030ELNS1_3gpuE2ELNS1_3repE0EEENS1_30default_config_static_selectorELNS0_4arch9wavefront6targetE1EEEvS12_.num_vgpr, 0
	.set _ZN7rocprim17ROCPRIM_400000_NS6detail17trampoline_kernelINS0_13select_configILj256ELj13ELNS0_17block_load_methodE3ELS4_3ELS4_3ELNS0_20block_scan_algorithmE0ELj4294967295EEENS1_25partition_config_selectorILNS1_17partition_subalgoE4EjNS0_10empty_typeEbEEZZNS1_14partition_implILS8_4ELb0ES6_15HIP_vector_typeIjLj2EENS0_17counting_iteratorIjlEEPS9_SG_NS0_5tupleIJPjSI_NS0_16reverse_iteratorISI_EEEEENSH_IJSG_SG_SG_EEES9_SI_JZNS1_25segmented_radix_sort_implINS0_14default_configELb0EPKfPfPKlPlN2at6native12_GLOBAL__N_18offset_tEEE10hipError_tPvRmT1_PNSt15iterator_traitsIS12_E10value_typeET2_T3_PNS13_IS18_E10value_typeET4_jRbjT5_S1E_jjP12ihipStream_tbEUljE_ZNSN_ISO_Lb0ESQ_SR_ST_SU_SY_EESZ_S10_S11_S12_S16_S17_S18_S1B_S1C_jS1D_jS1E_S1E_jjS1G_bEUljE0_EEESZ_S10_S11_S18_S1C_S1E_T6_T7_T9_mT8_S1G_bDpT10_ENKUlT_T0_E_clISt17integral_constantIbLb1EES1U_EEDaS1P_S1Q_EUlS1P_E_NS1_11comp_targetILNS1_3genE8ELNS1_11target_archE1030ELNS1_3gpuE2ELNS1_3repE0EEENS1_30default_config_static_selectorELNS0_4arch9wavefront6targetE1EEEvS12_.num_agpr, 0
	.set _ZN7rocprim17ROCPRIM_400000_NS6detail17trampoline_kernelINS0_13select_configILj256ELj13ELNS0_17block_load_methodE3ELS4_3ELS4_3ELNS0_20block_scan_algorithmE0ELj4294967295EEENS1_25partition_config_selectorILNS1_17partition_subalgoE4EjNS0_10empty_typeEbEEZZNS1_14partition_implILS8_4ELb0ES6_15HIP_vector_typeIjLj2EENS0_17counting_iteratorIjlEEPS9_SG_NS0_5tupleIJPjSI_NS0_16reverse_iteratorISI_EEEEENSH_IJSG_SG_SG_EEES9_SI_JZNS1_25segmented_radix_sort_implINS0_14default_configELb0EPKfPfPKlPlN2at6native12_GLOBAL__N_18offset_tEEE10hipError_tPvRmT1_PNSt15iterator_traitsIS12_E10value_typeET2_T3_PNS13_IS18_E10value_typeET4_jRbjT5_S1E_jjP12ihipStream_tbEUljE_ZNSN_ISO_Lb0ESQ_SR_ST_SU_SY_EESZ_S10_S11_S12_S16_S17_S18_S1B_S1C_jS1D_jS1E_S1E_jjS1G_bEUljE0_EEESZ_S10_S11_S18_S1C_S1E_T6_T7_T9_mT8_S1G_bDpT10_ENKUlT_T0_E_clISt17integral_constantIbLb1EES1U_EEDaS1P_S1Q_EUlS1P_E_NS1_11comp_targetILNS1_3genE8ELNS1_11target_archE1030ELNS1_3gpuE2ELNS1_3repE0EEENS1_30default_config_static_selectorELNS0_4arch9wavefront6targetE1EEEvS12_.numbered_sgpr, 0
	.set _ZN7rocprim17ROCPRIM_400000_NS6detail17trampoline_kernelINS0_13select_configILj256ELj13ELNS0_17block_load_methodE3ELS4_3ELS4_3ELNS0_20block_scan_algorithmE0ELj4294967295EEENS1_25partition_config_selectorILNS1_17partition_subalgoE4EjNS0_10empty_typeEbEEZZNS1_14partition_implILS8_4ELb0ES6_15HIP_vector_typeIjLj2EENS0_17counting_iteratorIjlEEPS9_SG_NS0_5tupleIJPjSI_NS0_16reverse_iteratorISI_EEEEENSH_IJSG_SG_SG_EEES9_SI_JZNS1_25segmented_radix_sort_implINS0_14default_configELb0EPKfPfPKlPlN2at6native12_GLOBAL__N_18offset_tEEE10hipError_tPvRmT1_PNSt15iterator_traitsIS12_E10value_typeET2_T3_PNS13_IS18_E10value_typeET4_jRbjT5_S1E_jjP12ihipStream_tbEUljE_ZNSN_ISO_Lb0ESQ_SR_ST_SU_SY_EESZ_S10_S11_S12_S16_S17_S18_S1B_S1C_jS1D_jS1E_S1E_jjS1G_bEUljE0_EEESZ_S10_S11_S18_S1C_S1E_T6_T7_T9_mT8_S1G_bDpT10_ENKUlT_T0_E_clISt17integral_constantIbLb1EES1U_EEDaS1P_S1Q_EUlS1P_E_NS1_11comp_targetILNS1_3genE8ELNS1_11target_archE1030ELNS1_3gpuE2ELNS1_3repE0EEENS1_30default_config_static_selectorELNS0_4arch9wavefront6targetE1EEEvS12_.num_named_barrier, 0
	.set _ZN7rocprim17ROCPRIM_400000_NS6detail17trampoline_kernelINS0_13select_configILj256ELj13ELNS0_17block_load_methodE3ELS4_3ELS4_3ELNS0_20block_scan_algorithmE0ELj4294967295EEENS1_25partition_config_selectorILNS1_17partition_subalgoE4EjNS0_10empty_typeEbEEZZNS1_14partition_implILS8_4ELb0ES6_15HIP_vector_typeIjLj2EENS0_17counting_iteratorIjlEEPS9_SG_NS0_5tupleIJPjSI_NS0_16reverse_iteratorISI_EEEEENSH_IJSG_SG_SG_EEES9_SI_JZNS1_25segmented_radix_sort_implINS0_14default_configELb0EPKfPfPKlPlN2at6native12_GLOBAL__N_18offset_tEEE10hipError_tPvRmT1_PNSt15iterator_traitsIS12_E10value_typeET2_T3_PNS13_IS18_E10value_typeET4_jRbjT5_S1E_jjP12ihipStream_tbEUljE_ZNSN_ISO_Lb0ESQ_SR_ST_SU_SY_EESZ_S10_S11_S12_S16_S17_S18_S1B_S1C_jS1D_jS1E_S1E_jjS1G_bEUljE0_EEESZ_S10_S11_S18_S1C_S1E_T6_T7_T9_mT8_S1G_bDpT10_ENKUlT_T0_E_clISt17integral_constantIbLb1EES1U_EEDaS1P_S1Q_EUlS1P_E_NS1_11comp_targetILNS1_3genE8ELNS1_11target_archE1030ELNS1_3gpuE2ELNS1_3repE0EEENS1_30default_config_static_selectorELNS0_4arch9wavefront6targetE1EEEvS12_.private_seg_size, 0
	.set _ZN7rocprim17ROCPRIM_400000_NS6detail17trampoline_kernelINS0_13select_configILj256ELj13ELNS0_17block_load_methodE3ELS4_3ELS4_3ELNS0_20block_scan_algorithmE0ELj4294967295EEENS1_25partition_config_selectorILNS1_17partition_subalgoE4EjNS0_10empty_typeEbEEZZNS1_14partition_implILS8_4ELb0ES6_15HIP_vector_typeIjLj2EENS0_17counting_iteratorIjlEEPS9_SG_NS0_5tupleIJPjSI_NS0_16reverse_iteratorISI_EEEEENSH_IJSG_SG_SG_EEES9_SI_JZNS1_25segmented_radix_sort_implINS0_14default_configELb0EPKfPfPKlPlN2at6native12_GLOBAL__N_18offset_tEEE10hipError_tPvRmT1_PNSt15iterator_traitsIS12_E10value_typeET2_T3_PNS13_IS18_E10value_typeET4_jRbjT5_S1E_jjP12ihipStream_tbEUljE_ZNSN_ISO_Lb0ESQ_SR_ST_SU_SY_EESZ_S10_S11_S12_S16_S17_S18_S1B_S1C_jS1D_jS1E_S1E_jjS1G_bEUljE0_EEESZ_S10_S11_S18_S1C_S1E_T6_T7_T9_mT8_S1G_bDpT10_ENKUlT_T0_E_clISt17integral_constantIbLb1EES1U_EEDaS1P_S1Q_EUlS1P_E_NS1_11comp_targetILNS1_3genE8ELNS1_11target_archE1030ELNS1_3gpuE2ELNS1_3repE0EEENS1_30default_config_static_selectorELNS0_4arch9wavefront6targetE1EEEvS12_.uses_vcc, 0
	.set _ZN7rocprim17ROCPRIM_400000_NS6detail17trampoline_kernelINS0_13select_configILj256ELj13ELNS0_17block_load_methodE3ELS4_3ELS4_3ELNS0_20block_scan_algorithmE0ELj4294967295EEENS1_25partition_config_selectorILNS1_17partition_subalgoE4EjNS0_10empty_typeEbEEZZNS1_14partition_implILS8_4ELb0ES6_15HIP_vector_typeIjLj2EENS0_17counting_iteratorIjlEEPS9_SG_NS0_5tupleIJPjSI_NS0_16reverse_iteratorISI_EEEEENSH_IJSG_SG_SG_EEES9_SI_JZNS1_25segmented_radix_sort_implINS0_14default_configELb0EPKfPfPKlPlN2at6native12_GLOBAL__N_18offset_tEEE10hipError_tPvRmT1_PNSt15iterator_traitsIS12_E10value_typeET2_T3_PNS13_IS18_E10value_typeET4_jRbjT5_S1E_jjP12ihipStream_tbEUljE_ZNSN_ISO_Lb0ESQ_SR_ST_SU_SY_EESZ_S10_S11_S12_S16_S17_S18_S1B_S1C_jS1D_jS1E_S1E_jjS1G_bEUljE0_EEESZ_S10_S11_S18_S1C_S1E_T6_T7_T9_mT8_S1G_bDpT10_ENKUlT_T0_E_clISt17integral_constantIbLb1EES1U_EEDaS1P_S1Q_EUlS1P_E_NS1_11comp_targetILNS1_3genE8ELNS1_11target_archE1030ELNS1_3gpuE2ELNS1_3repE0EEENS1_30default_config_static_selectorELNS0_4arch9wavefront6targetE1EEEvS12_.uses_flat_scratch, 0
	.set _ZN7rocprim17ROCPRIM_400000_NS6detail17trampoline_kernelINS0_13select_configILj256ELj13ELNS0_17block_load_methodE3ELS4_3ELS4_3ELNS0_20block_scan_algorithmE0ELj4294967295EEENS1_25partition_config_selectorILNS1_17partition_subalgoE4EjNS0_10empty_typeEbEEZZNS1_14partition_implILS8_4ELb0ES6_15HIP_vector_typeIjLj2EENS0_17counting_iteratorIjlEEPS9_SG_NS0_5tupleIJPjSI_NS0_16reverse_iteratorISI_EEEEENSH_IJSG_SG_SG_EEES9_SI_JZNS1_25segmented_radix_sort_implINS0_14default_configELb0EPKfPfPKlPlN2at6native12_GLOBAL__N_18offset_tEEE10hipError_tPvRmT1_PNSt15iterator_traitsIS12_E10value_typeET2_T3_PNS13_IS18_E10value_typeET4_jRbjT5_S1E_jjP12ihipStream_tbEUljE_ZNSN_ISO_Lb0ESQ_SR_ST_SU_SY_EESZ_S10_S11_S12_S16_S17_S18_S1B_S1C_jS1D_jS1E_S1E_jjS1G_bEUljE0_EEESZ_S10_S11_S18_S1C_S1E_T6_T7_T9_mT8_S1G_bDpT10_ENKUlT_T0_E_clISt17integral_constantIbLb1EES1U_EEDaS1P_S1Q_EUlS1P_E_NS1_11comp_targetILNS1_3genE8ELNS1_11target_archE1030ELNS1_3gpuE2ELNS1_3repE0EEENS1_30default_config_static_selectorELNS0_4arch9wavefront6targetE1EEEvS12_.has_dyn_sized_stack, 0
	.set _ZN7rocprim17ROCPRIM_400000_NS6detail17trampoline_kernelINS0_13select_configILj256ELj13ELNS0_17block_load_methodE3ELS4_3ELS4_3ELNS0_20block_scan_algorithmE0ELj4294967295EEENS1_25partition_config_selectorILNS1_17partition_subalgoE4EjNS0_10empty_typeEbEEZZNS1_14partition_implILS8_4ELb0ES6_15HIP_vector_typeIjLj2EENS0_17counting_iteratorIjlEEPS9_SG_NS0_5tupleIJPjSI_NS0_16reverse_iteratorISI_EEEEENSH_IJSG_SG_SG_EEES9_SI_JZNS1_25segmented_radix_sort_implINS0_14default_configELb0EPKfPfPKlPlN2at6native12_GLOBAL__N_18offset_tEEE10hipError_tPvRmT1_PNSt15iterator_traitsIS12_E10value_typeET2_T3_PNS13_IS18_E10value_typeET4_jRbjT5_S1E_jjP12ihipStream_tbEUljE_ZNSN_ISO_Lb0ESQ_SR_ST_SU_SY_EESZ_S10_S11_S12_S16_S17_S18_S1B_S1C_jS1D_jS1E_S1E_jjS1G_bEUljE0_EEESZ_S10_S11_S18_S1C_S1E_T6_T7_T9_mT8_S1G_bDpT10_ENKUlT_T0_E_clISt17integral_constantIbLb1EES1U_EEDaS1P_S1Q_EUlS1P_E_NS1_11comp_targetILNS1_3genE8ELNS1_11target_archE1030ELNS1_3gpuE2ELNS1_3repE0EEENS1_30default_config_static_selectorELNS0_4arch9wavefront6targetE1EEEvS12_.has_recursion, 0
	.set _ZN7rocprim17ROCPRIM_400000_NS6detail17trampoline_kernelINS0_13select_configILj256ELj13ELNS0_17block_load_methodE3ELS4_3ELS4_3ELNS0_20block_scan_algorithmE0ELj4294967295EEENS1_25partition_config_selectorILNS1_17partition_subalgoE4EjNS0_10empty_typeEbEEZZNS1_14partition_implILS8_4ELb0ES6_15HIP_vector_typeIjLj2EENS0_17counting_iteratorIjlEEPS9_SG_NS0_5tupleIJPjSI_NS0_16reverse_iteratorISI_EEEEENSH_IJSG_SG_SG_EEES9_SI_JZNS1_25segmented_radix_sort_implINS0_14default_configELb0EPKfPfPKlPlN2at6native12_GLOBAL__N_18offset_tEEE10hipError_tPvRmT1_PNSt15iterator_traitsIS12_E10value_typeET2_T3_PNS13_IS18_E10value_typeET4_jRbjT5_S1E_jjP12ihipStream_tbEUljE_ZNSN_ISO_Lb0ESQ_SR_ST_SU_SY_EESZ_S10_S11_S12_S16_S17_S18_S1B_S1C_jS1D_jS1E_S1E_jjS1G_bEUljE0_EEESZ_S10_S11_S18_S1C_S1E_T6_T7_T9_mT8_S1G_bDpT10_ENKUlT_T0_E_clISt17integral_constantIbLb1EES1U_EEDaS1P_S1Q_EUlS1P_E_NS1_11comp_targetILNS1_3genE8ELNS1_11target_archE1030ELNS1_3gpuE2ELNS1_3repE0EEENS1_30default_config_static_selectorELNS0_4arch9wavefront6targetE1EEEvS12_.has_indirect_call, 0
	.section	.AMDGPU.csdata,"",@progbits
; Kernel info:
; codeLenInByte = 0
; TotalNumSgprs: 4
; NumVgprs: 0
; ScratchSize: 0
; MemoryBound: 0
; FloatMode: 240
; IeeeMode: 1
; LDSByteSize: 0 bytes/workgroup (compile time only)
; SGPRBlocks: 0
; VGPRBlocks: 0
; NumSGPRsForWavesPerEU: 4
; NumVGPRsForWavesPerEU: 1
; Occupancy: 10
; WaveLimiterHint : 0
; COMPUTE_PGM_RSRC2:SCRATCH_EN: 0
; COMPUTE_PGM_RSRC2:USER_SGPR: 6
; COMPUTE_PGM_RSRC2:TRAP_HANDLER: 0
; COMPUTE_PGM_RSRC2:TGID_X_EN: 1
; COMPUTE_PGM_RSRC2:TGID_Y_EN: 0
; COMPUTE_PGM_RSRC2:TGID_Z_EN: 0
; COMPUTE_PGM_RSRC2:TIDIG_COMP_CNT: 0
	.section	.text._ZN7rocprim17ROCPRIM_400000_NS6detail17trampoline_kernelINS0_13select_configILj256ELj13ELNS0_17block_load_methodE3ELS4_3ELS4_3ELNS0_20block_scan_algorithmE0ELj4294967295EEENS1_25partition_config_selectorILNS1_17partition_subalgoE4EjNS0_10empty_typeEbEEZZNS1_14partition_implILS8_4ELb0ES6_15HIP_vector_typeIjLj2EENS0_17counting_iteratorIjlEEPS9_SG_NS0_5tupleIJPjSI_NS0_16reverse_iteratorISI_EEEEENSH_IJSG_SG_SG_EEES9_SI_JZNS1_25segmented_radix_sort_implINS0_14default_configELb0EPKfPfPKlPlN2at6native12_GLOBAL__N_18offset_tEEE10hipError_tPvRmT1_PNSt15iterator_traitsIS12_E10value_typeET2_T3_PNS13_IS18_E10value_typeET4_jRbjT5_S1E_jjP12ihipStream_tbEUljE_ZNSN_ISO_Lb0ESQ_SR_ST_SU_SY_EESZ_S10_S11_S12_S16_S17_S18_S1B_S1C_jS1D_jS1E_S1E_jjS1G_bEUljE0_EEESZ_S10_S11_S18_S1C_S1E_T6_T7_T9_mT8_S1G_bDpT10_ENKUlT_T0_E_clISt17integral_constantIbLb1EES1T_IbLb0EEEEDaS1P_S1Q_EUlS1P_E_NS1_11comp_targetILNS1_3genE0ELNS1_11target_archE4294967295ELNS1_3gpuE0ELNS1_3repE0EEENS1_30default_config_static_selectorELNS0_4arch9wavefront6targetE1EEEvS12_,"axG",@progbits,_ZN7rocprim17ROCPRIM_400000_NS6detail17trampoline_kernelINS0_13select_configILj256ELj13ELNS0_17block_load_methodE3ELS4_3ELS4_3ELNS0_20block_scan_algorithmE0ELj4294967295EEENS1_25partition_config_selectorILNS1_17partition_subalgoE4EjNS0_10empty_typeEbEEZZNS1_14partition_implILS8_4ELb0ES6_15HIP_vector_typeIjLj2EENS0_17counting_iteratorIjlEEPS9_SG_NS0_5tupleIJPjSI_NS0_16reverse_iteratorISI_EEEEENSH_IJSG_SG_SG_EEES9_SI_JZNS1_25segmented_radix_sort_implINS0_14default_configELb0EPKfPfPKlPlN2at6native12_GLOBAL__N_18offset_tEEE10hipError_tPvRmT1_PNSt15iterator_traitsIS12_E10value_typeET2_T3_PNS13_IS18_E10value_typeET4_jRbjT5_S1E_jjP12ihipStream_tbEUljE_ZNSN_ISO_Lb0ESQ_SR_ST_SU_SY_EESZ_S10_S11_S12_S16_S17_S18_S1B_S1C_jS1D_jS1E_S1E_jjS1G_bEUljE0_EEESZ_S10_S11_S18_S1C_S1E_T6_T7_T9_mT8_S1G_bDpT10_ENKUlT_T0_E_clISt17integral_constantIbLb1EES1T_IbLb0EEEEDaS1P_S1Q_EUlS1P_E_NS1_11comp_targetILNS1_3genE0ELNS1_11target_archE4294967295ELNS1_3gpuE0ELNS1_3repE0EEENS1_30default_config_static_selectorELNS0_4arch9wavefront6targetE1EEEvS12_,comdat
	.globl	_ZN7rocprim17ROCPRIM_400000_NS6detail17trampoline_kernelINS0_13select_configILj256ELj13ELNS0_17block_load_methodE3ELS4_3ELS4_3ELNS0_20block_scan_algorithmE0ELj4294967295EEENS1_25partition_config_selectorILNS1_17partition_subalgoE4EjNS0_10empty_typeEbEEZZNS1_14partition_implILS8_4ELb0ES6_15HIP_vector_typeIjLj2EENS0_17counting_iteratorIjlEEPS9_SG_NS0_5tupleIJPjSI_NS0_16reverse_iteratorISI_EEEEENSH_IJSG_SG_SG_EEES9_SI_JZNS1_25segmented_radix_sort_implINS0_14default_configELb0EPKfPfPKlPlN2at6native12_GLOBAL__N_18offset_tEEE10hipError_tPvRmT1_PNSt15iterator_traitsIS12_E10value_typeET2_T3_PNS13_IS18_E10value_typeET4_jRbjT5_S1E_jjP12ihipStream_tbEUljE_ZNSN_ISO_Lb0ESQ_SR_ST_SU_SY_EESZ_S10_S11_S12_S16_S17_S18_S1B_S1C_jS1D_jS1E_S1E_jjS1G_bEUljE0_EEESZ_S10_S11_S18_S1C_S1E_T6_T7_T9_mT8_S1G_bDpT10_ENKUlT_T0_E_clISt17integral_constantIbLb1EES1T_IbLb0EEEEDaS1P_S1Q_EUlS1P_E_NS1_11comp_targetILNS1_3genE0ELNS1_11target_archE4294967295ELNS1_3gpuE0ELNS1_3repE0EEENS1_30default_config_static_selectorELNS0_4arch9wavefront6targetE1EEEvS12_ ; -- Begin function _ZN7rocprim17ROCPRIM_400000_NS6detail17trampoline_kernelINS0_13select_configILj256ELj13ELNS0_17block_load_methodE3ELS4_3ELS4_3ELNS0_20block_scan_algorithmE0ELj4294967295EEENS1_25partition_config_selectorILNS1_17partition_subalgoE4EjNS0_10empty_typeEbEEZZNS1_14partition_implILS8_4ELb0ES6_15HIP_vector_typeIjLj2EENS0_17counting_iteratorIjlEEPS9_SG_NS0_5tupleIJPjSI_NS0_16reverse_iteratorISI_EEEEENSH_IJSG_SG_SG_EEES9_SI_JZNS1_25segmented_radix_sort_implINS0_14default_configELb0EPKfPfPKlPlN2at6native12_GLOBAL__N_18offset_tEEE10hipError_tPvRmT1_PNSt15iterator_traitsIS12_E10value_typeET2_T3_PNS13_IS18_E10value_typeET4_jRbjT5_S1E_jjP12ihipStream_tbEUljE_ZNSN_ISO_Lb0ESQ_SR_ST_SU_SY_EESZ_S10_S11_S12_S16_S17_S18_S1B_S1C_jS1D_jS1E_S1E_jjS1G_bEUljE0_EEESZ_S10_S11_S18_S1C_S1E_T6_T7_T9_mT8_S1G_bDpT10_ENKUlT_T0_E_clISt17integral_constantIbLb1EES1T_IbLb0EEEEDaS1P_S1Q_EUlS1P_E_NS1_11comp_targetILNS1_3genE0ELNS1_11target_archE4294967295ELNS1_3gpuE0ELNS1_3repE0EEENS1_30default_config_static_selectorELNS0_4arch9wavefront6targetE1EEEvS12_
	.p2align	8
	.type	_ZN7rocprim17ROCPRIM_400000_NS6detail17trampoline_kernelINS0_13select_configILj256ELj13ELNS0_17block_load_methodE3ELS4_3ELS4_3ELNS0_20block_scan_algorithmE0ELj4294967295EEENS1_25partition_config_selectorILNS1_17partition_subalgoE4EjNS0_10empty_typeEbEEZZNS1_14partition_implILS8_4ELb0ES6_15HIP_vector_typeIjLj2EENS0_17counting_iteratorIjlEEPS9_SG_NS0_5tupleIJPjSI_NS0_16reverse_iteratorISI_EEEEENSH_IJSG_SG_SG_EEES9_SI_JZNS1_25segmented_radix_sort_implINS0_14default_configELb0EPKfPfPKlPlN2at6native12_GLOBAL__N_18offset_tEEE10hipError_tPvRmT1_PNSt15iterator_traitsIS12_E10value_typeET2_T3_PNS13_IS18_E10value_typeET4_jRbjT5_S1E_jjP12ihipStream_tbEUljE_ZNSN_ISO_Lb0ESQ_SR_ST_SU_SY_EESZ_S10_S11_S12_S16_S17_S18_S1B_S1C_jS1D_jS1E_S1E_jjS1G_bEUljE0_EEESZ_S10_S11_S18_S1C_S1E_T6_T7_T9_mT8_S1G_bDpT10_ENKUlT_T0_E_clISt17integral_constantIbLb1EES1T_IbLb0EEEEDaS1P_S1Q_EUlS1P_E_NS1_11comp_targetILNS1_3genE0ELNS1_11target_archE4294967295ELNS1_3gpuE0ELNS1_3repE0EEENS1_30default_config_static_selectorELNS0_4arch9wavefront6targetE1EEEvS12_,@function
_ZN7rocprim17ROCPRIM_400000_NS6detail17trampoline_kernelINS0_13select_configILj256ELj13ELNS0_17block_load_methodE3ELS4_3ELS4_3ELNS0_20block_scan_algorithmE0ELj4294967295EEENS1_25partition_config_selectorILNS1_17partition_subalgoE4EjNS0_10empty_typeEbEEZZNS1_14partition_implILS8_4ELb0ES6_15HIP_vector_typeIjLj2EENS0_17counting_iteratorIjlEEPS9_SG_NS0_5tupleIJPjSI_NS0_16reverse_iteratorISI_EEEEENSH_IJSG_SG_SG_EEES9_SI_JZNS1_25segmented_radix_sort_implINS0_14default_configELb0EPKfPfPKlPlN2at6native12_GLOBAL__N_18offset_tEEE10hipError_tPvRmT1_PNSt15iterator_traitsIS12_E10value_typeET2_T3_PNS13_IS18_E10value_typeET4_jRbjT5_S1E_jjP12ihipStream_tbEUljE_ZNSN_ISO_Lb0ESQ_SR_ST_SU_SY_EESZ_S10_S11_S12_S16_S17_S18_S1B_S1C_jS1D_jS1E_S1E_jjS1G_bEUljE0_EEESZ_S10_S11_S18_S1C_S1E_T6_T7_T9_mT8_S1G_bDpT10_ENKUlT_T0_E_clISt17integral_constantIbLb1EES1T_IbLb0EEEEDaS1P_S1Q_EUlS1P_E_NS1_11comp_targetILNS1_3genE0ELNS1_11target_archE4294967295ELNS1_3gpuE0ELNS1_3repE0EEENS1_30default_config_static_selectorELNS0_4arch9wavefront6targetE1EEEvS12_: ; @_ZN7rocprim17ROCPRIM_400000_NS6detail17trampoline_kernelINS0_13select_configILj256ELj13ELNS0_17block_load_methodE3ELS4_3ELS4_3ELNS0_20block_scan_algorithmE0ELj4294967295EEENS1_25partition_config_selectorILNS1_17partition_subalgoE4EjNS0_10empty_typeEbEEZZNS1_14partition_implILS8_4ELb0ES6_15HIP_vector_typeIjLj2EENS0_17counting_iteratorIjlEEPS9_SG_NS0_5tupleIJPjSI_NS0_16reverse_iteratorISI_EEEEENSH_IJSG_SG_SG_EEES9_SI_JZNS1_25segmented_radix_sort_implINS0_14default_configELb0EPKfPfPKlPlN2at6native12_GLOBAL__N_18offset_tEEE10hipError_tPvRmT1_PNSt15iterator_traitsIS12_E10value_typeET2_T3_PNS13_IS18_E10value_typeET4_jRbjT5_S1E_jjP12ihipStream_tbEUljE_ZNSN_ISO_Lb0ESQ_SR_ST_SU_SY_EESZ_S10_S11_S12_S16_S17_S18_S1B_S1C_jS1D_jS1E_S1E_jjS1G_bEUljE0_EEESZ_S10_S11_S18_S1C_S1E_T6_T7_T9_mT8_S1G_bDpT10_ENKUlT_T0_E_clISt17integral_constantIbLb1EES1T_IbLb0EEEEDaS1P_S1Q_EUlS1P_E_NS1_11comp_targetILNS1_3genE0ELNS1_11target_archE4294967295ELNS1_3gpuE0ELNS1_3repE0EEENS1_30default_config_static_selectorELNS0_4arch9wavefront6targetE1EEEvS12_
; %bb.0:
	.section	.rodata,"a",@progbits
	.p2align	6, 0x0
	.amdhsa_kernel _ZN7rocprim17ROCPRIM_400000_NS6detail17trampoline_kernelINS0_13select_configILj256ELj13ELNS0_17block_load_methodE3ELS4_3ELS4_3ELNS0_20block_scan_algorithmE0ELj4294967295EEENS1_25partition_config_selectorILNS1_17partition_subalgoE4EjNS0_10empty_typeEbEEZZNS1_14partition_implILS8_4ELb0ES6_15HIP_vector_typeIjLj2EENS0_17counting_iteratorIjlEEPS9_SG_NS0_5tupleIJPjSI_NS0_16reverse_iteratorISI_EEEEENSH_IJSG_SG_SG_EEES9_SI_JZNS1_25segmented_radix_sort_implINS0_14default_configELb0EPKfPfPKlPlN2at6native12_GLOBAL__N_18offset_tEEE10hipError_tPvRmT1_PNSt15iterator_traitsIS12_E10value_typeET2_T3_PNS13_IS18_E10value_typeET4_jRbjT5_S1E_jjP12ihipStream_tbEUljE_ZNSN_ISO_Lb0ESQ_SR_ST_SU_SY_EESZ_S10_S11_S12_S16_S17_S18_S1B_S1C_jS1D_jS1E_S1E_jjS1G_bEUljE0_EEESZ_S10_S11_S18_S1C_S1E_T6_T7_T9_mT8_S1G_bDpT10_ENKUlT_T0_E_clISt17integral_constantIbLb1EES1T_IbLb0EEEEDaS1P_S1Q_EUlS1P_E_NS1_11comp_targetILNS1_3genE0ELNS1_11target_archE4294967295ELNS1_3gpuE0ELNS1_3repE0EEENS1_30default_config_static_selectorELNS0_4arch9wavefront6targetE1EEEvS12_
		.amdhsa_group_segment_fixed_size 0
		.amdhsa_private_segment_fixed_size 0
		.amdhsa_kernarg_size 176
		.amdhsa_user_sgpr_count 6
		.amdhsa_user_sgpr_private_segment_buffer 1
		.amdhsa_user_sgpr_dispatch_ptr 0
		.amdhsa_user_sgpr_queue_ptr 0
		.amdhsa_user_sgpr_kernarg_segment_ptr 1
		.amdhsa_user_sgpr_dispatch_id 0
		.amdhsa_user_sgpr_flat_scratch_init 0
		.amdhsa_user_sgpr_private_segment_size 0
		.amdhsa_uses_dynamic_stack 0
		.amdhsa_system_sgpr_private_segment_wavefront_offset 0
		.amdhsa_system_sgpr_workgroup_id_x 1
		.amdhsa_system_sgpr_workgroup_id_y 0
		.amdhsa_system_sgpr_workgroup_id_z 0
		.amdhsa_system_sgpr_workgroup_info 0
		.amdhsa_system_vgpr_workitem_id 0
		.amdhsa_next_free_vgpr 1
		.amdhsa_next_free_sgpr 0
		.amdhsa_reserve_vcc 0
		.amdhsa_reserve_flat_scratch 0
		.amdhsa_float_round_mode_32 0
		.amdhsa_float_round_mode_16_64 0
		.amdhsa_float_denorm_mode_32 3
		.amdhsa_float_denorm_mode_16_64 3
		.amdhsa_dx10_clamp 1
		.amdhsa_ieee_mode 1
		.amdhsa_fp16_overflow 0
		.amdhsa_exception_fp_ieee_invalid_op 0
		.amdhsa_exception_fp_denorm_src 0
		.amdhsa_exception_fp_ieee_div_zero 0
		.amdhsa_exception_fp_ieee_overflow 0
		.amdhsa_exception_fp_ieee_underflow 0
		.amdhsa_exception_fp_ieee_inexact 0
		.amdhsa_exception_int_div_zero 0
	.end_amdhsa_kernel
	.section	.text._ZN7rocprim17ROCPRIM_400000_NS6detail17trampoline_kernelINS0_13select_configILj256ELj13ELNS0_17block_load_methodE3ELS4_3ELS4_3ELNS0_20block_scan_algorithmE0ELj4294967295EEENS1_25partition_config_selectorILNS1_17partition_subalgoE4EjNS0_10empty_typeEbEEZZNS1_14partition_implILS8_4ELb0ES6_15HIP_vector_typeIjLj2EENS0_17counting_iteratorIjlEEPS9_SG_NS0_5tupleIJPjSI_NS0_16reverse_iteratorISI_EEEEENSH_IJSG_SG_SG_EEES9_SI_JZNS1_25segmented_radix_sort_implINS0_14default_configELb0EPKfPfPKlPlN2at6native12_GLOBAL__N_18offset_tEEE10hipError_tPvRmT1_PNSt15iterator_traitsIS12_E10value_typeET2_T3_PNS13_IS18_E10value_typeET4_jRbjT5_S1E_jjP12ihipStream_tbEUljE_ZNSN_ISO_Lb0ESQ_SR_ST_SU_SY_EESZ_S10_S11_S12_S16_S17_S18_S1B_S1C_jS1D_jS1E_S1E_jjS1G_bEUljE0_EEESZ_S10_S11_S18_S1C_S1E_T6_T7_T9_mT8_S1G_bDpT10_ENKUlT_T0_E_clISt17integral_constantIbLb1EES1T_IbLb0EEEEDaS1P_S1Q_EUlS1P_E_NS1_11comp_targetILNS1_3genE0ELNS1_11target_archE4294967295ELNS1_3gpuE0ELNS1_3repE0EEENS1_30default_config_static_selectorELNS0_4arch9wavefront6targetE1EEEvS12_,"axG",@progbits,_ZN7rocprim17ROCPRIM_400000_NS6detail17trampoline_kernelINS0_13select_configILj256ELj13ELNS0_17block_load_methodE3ELS4_3ELS4_3ELNS0_20block_scan_algorithmE0ELj4294967295EEENS1_25partition_config_selectorILNS1_17partition_subalgoE4EjNS0_10empty_typeEbEEZZNS1_14partition_implILS8_4ELb0ES6_15HIP_vector_typeIjLj2EENS0_17counting_iteratorIjlEEPS9_SG_NS0_5tupleIJPjSI_NS0_16reverse_iteratorISI_EEEEENSH_IJSG_SG_SG_EEES9_SI_JZNS1_25segmented_radix_sort_implINS0_14default_configELb0EPKfPfPKlPlN2at6native12_GLOBAL__N_18offset_tEEE10hipError_tPvRmT1_PNSt15iterator_traitsIS12_E10value_typeET2_T3_PNS13_IS18_E10value_typeET4_jRbjT5_S1E_jjP12ihipStream_tbEUljE_ZNSN_ISO_Lb0ESQ_SR_ST_SU_SY_EESZ_S10_S11_S12_S16_S17_S18_S1B_S1C_jS1D_jS1E_S1E_jjS1G_bEUljE0_EEESZ_S10_S11_S18_S1C_S1E_T6_T7_T9_mT8_S1G_bDpT10_ENKUlT_T0_E_clISt17integral_constantIbLb1EES1T_IbLb0EEEEDaS1P_S1Q_EUlS1P_E_NS1_11comp_targetILNS1_3genE0ELNS1_11target_archE4294967295ELNS1_3gpuE0ELNS1_3repE0EEENS1_30default_config_static_selectorELNS0_4arch9wavefront6targetE1EEEvS12_,comdat
.Lfunc_end1380:
	.size	_ZN7rocprim17ROCPRIM_400000_NS6detail17trampoline_kernelINS0_13select_configILj256ELj13ELNS0_17block_load_methodE3ELS4_3ELS4_3ELNS0_20block_scan_algorithmE0ELj4294967295EEENS1_25partition_config_selectorILNS1_17partition_subalgoE4EjNS0_10empty_typeEbEEZZNS1_14partition_implILS8_4ELb0ES6_15HIP_vector_typeIjLj2EENS0_17counting_iteratorIjlEEPS9_SG_NS0_5tupleIJPjSI_NS0_16reverse_iteratorISI_EEEEENSH_IJSG_SG_SG_EEES9_SI_JZNS1_25segmented_radix_sort_implINS0_14default_configELb0EPKfPfPKlPlN2at6native12_GLOBAL__N_18offset_tEEE10hipError_tPvRmT1_PNSt15iterator_traitsIS12_E10value_typeET2_T3_PNS13_IS18_E10value_typeET4_jRbjT5_S1E_jjP12ihipStream_tbEUljE_ZNSN_ISO_Lb0ESQ_SR_ST_SU_SY_EESZ_S10_S11_S12_S16_S17_S18_S1B_S1C_jS1D_jS1E_S1E_jjS1G_bEUljE0_EEESZ_S10_S11_S18_S1C_S1E_T6_T7_T9_mT8_S1G_bDpT10_ENKUlT_T0_E_clISt17integral_constantIbLb1EES1T_IbLb0EEEEDaS1P_S1Q_EUlS1P_E_NS1_11comp_targetILNS1_3genE0ELNS1_11target_archE4294967295ELNS1_3gpuE0ELNS1_3repE0EEENS1_30default_config_static_selectorELNS0_4arch9wavefront6targetE1EEEvS12_, .Lfunc_end1380-_ZN7rocprim17ROCPRIM_400000_NS6detail17trampoline_kernelINS0_13select_configILj256ELj13ELNS0_17block_load_methodE3ELS4_3ELS4_3ELNS0_20block_scan_algorithmE0ELj4294967295EEENS1_25partition_config_selectorILNS1_17partition_subalgoE4EjNS0_10empty_typeEbEEZZNS1_14partition_implILS8_4ELb0ES6_15HIP_vector_typeIjLj2EENS0_17counting_iteratorIjlEEPS9_SG_NS0_5tupleIJPjSI_NS0_16reverse_iteratorISI_EEEEENSH_IJSG_SG_SG_EEES9_SI_JZNS1_25segmented_radix_sort_implINS0_14default_configELb0EPKfPfPKlPlN2at6native12_GLOBAL__N_18offset_tEEE10hipError_tPvRmT1_PNSt15iterator_traitsIS12_E10value_typeET2_T3_PNS13_IS18_E10value_typeET4_jRbjT5_S1E_jjP12ihipStream_tbEUljE_ZNSN_ISO_Lb0ESQ_SR_ST_SU_SY_EESZ_S10_S11_S12_S16_S17_S18_S1B_S1C_jS1D_jS1E_S1E_jjS1G_bEUljE0_EEESZ_S10_S11_S18_S1C_S1E_T6_T7_T9_mT8_S1G_bDpT10_ENKUlT_T0_E_clISt17integral_constantIbLb1EES1T_IbLb0EEEEDaS1P_S1Q_EUlS1P_E_NS1_11comp_targetILNS1_3genE0ELNS1_11target_archE4294967295ELNS1_3gpuE0ELNS1_3repE0EEENS1_30default_config_static_selectorELNS0_4arch9wavefront6targetE1EEEvS12_
                                        ; -- End function
	.set _ZN7rocprim17ROCPRIM_400000_NS6detail17trampoline_kernelINS0_13select_configILj256ELj13ELNS0_17block_load_methodE3ELS4_3ELS4_3ELNS0_20block_scan_algorithmE0ELj4294967295EEENS1_25partition_config_selectorILNS1_17partition_subalgoE4EjNS0_10empty_typeEbEEZZNS1_14partition_implILS8_4ELb0ES6_15HIP_vector_typeIjLj2EENS0_17counting_iteratorIjlEEPS9_SG_NS0_5tupleIJPjSI_NS0_16reverse_iteratorISI_EEEEENSH_IJSG_SG_SG_EEES9_SI_JZNS1_25segmented_radix_sort_implINS0_14default_configELb0EPKfPfPKlPlN2at6native12_GLOBAL__N_18offset_tEEE10hipError_tPvRmT1_PNSt15iterator_traitsIS12_E10value_typeET2_T3_PNS13_IS18_E10value_typeET4_jRbjT5_S1E_jjP12ihipStream_tbEUljE_ZNSN_ISO_Lb0ESQ_SR_ST_SU_SY_EESZ_S10_S11_S12_S16_S17_S18_S1B_S1C_jS1D_jS1E_S1E_jjS1G_bEUljE0_EEESZ_S10_S11_S18_S1C_S1E_T6_T7_T9_mT8_S1G_bDpT10_ENKUlT_T0_E_clISt17integral_constantIbLb1EES1T_IbLb0EEEEDaS1P_S1Q_EUlS1P_E_NS1_11comp_targetILNS1_3genE0ELNS1_11target_archE4294967295ELNS1_3gpuE0ELNS1_3repE0EEENS1_30default_config_static_selectorELNS0_4arch9wavefront6targetE1EEEvS12_.num_vgpr, 0
	.set _ZN7rocprim17ROCPRIM_400000_NS6detail17trampoline_kernelINS0_13select_configILj256ELj13ELNS0_17block_load_methodE3ELS4_3ELS4_3ELNS0_20block_scan_algorithmE0ELj4294967295EEENS1_25partition_config_selectorILNS1_17partition_subalgoE4EjNS0_10empty_typeEbEEZZNS1_14partition_implILS8_4ELb0ES6_15HIP_vector_typeIjLj2EENS0_17counting_iteratorIjlEEPS9_SG_NS0_5tupleIJPjSI_NS0_16reverse_iteratorISI_EEEEENSH_IJSG_SG_SG_EEES9_SI_JZNS1_25segmented_radix_sort_implINS0_14default_configELb0EPKfPfPKlPlN2at6native12_GLOBAL__N_18offset_tEEE10hipError_tPvRmT1_PNSt15iterator_traitsIS12_E10value_typeET2_T3_PNS13_IS18_E10value_typeET4_jRbjT5_S1E_jjP12ihipStream_tbEUljE_ZNSN_ISO_Lb0ESQ_SR_ST_SU_SY_EESZ_S10_S11_S12_S16_S17_S18_S1B_S1C_jS1D_jS1E_S1E_jjS1G_bEUljE0_EEESZ_S10_S11_S18_S1C_S1E_T6_T7_T9_mT8_S1G_bDpT10_ENKUlT_T0_E_clISt17integral_constantIbLb1EES1T_IbLb0EEEEDaS1P_S1Q_EUlS1P_E_NS1_11comp_targetILNS1_3genE0ELNS1_11target_archE4294967295ELNS1_3gpuE0ELNS1_3repE0EEENS1_30default_config_static_selectorELNS0_4arch9wavefront6targetE1EEEvS12_.num_agpr, 0
	.set _ZN7rocprim17ROCPRIM_400000_NS6detail17trampoline_kernelINS0_13select_configILj256ELj13ELNS0_17block_load_methodE3ELS4_3ELS4_3ELNS0_20block_scan_algorithmE0ELj4294967295EEENS1_25partition_config_selectorILNS1_17partition_subalgoE4EjNS0_10empty_typeEbEEZZNS1_14partition_implILS8_4ELb0ES6_15HIP_vector_typeIjLj2EENS0_17counting_iteratorIjlEEPS9_SG_NS0_5tupleIJPjSI_NS0_16reverse_iteratorISI_EEEEENSH_IJSG_SG_SG_EEES9_SI_JZNS1_25segmented_radix_sort_implINS0_14default_configELb0EPKfPfPKlPlN2at6native12_GLOBAL__N_18offset_tEEE10hipError_tPvRmT1_PNSt15iterator_traitsIS12_E10value_typeET2_T3_PNS13_IS18_E10value_typeET4_jRbjT5_S1E_jjP12ihipStream_tbEUljE_ZNSN_ISO_Lb0ESQ_SR_ST_SU_SY_EESZ_S10_S11_S12_S16_S17_S18_S1B_S1C_jS1D_jS1E_S1E_jjS1G_bEUljE0_EEESZ_S10_S11_S18_S1C_S1E_T6_T7_T9_mT8_S1G_bDpT10_ENKUlT_T0_E_clISt17integral_constantIbLb1EES1T_IbLb0EEEEDaS1P_S1Q_EUlS1P_E_NS1_11comp_targetILNS1_3genE0ELNS1_11target_archE4294967295ELNS1_3gpuE0ELNS1_3repE0EEENS1_30default_config_static_selectorELNS0_4arch9wavefront6targetE1EEEvS12_.numbered_sgpr, 0
	.set _ZN7rocprim17ROCPRIM_400000_NS6detail17trampoline_kernelINS0_13select_configILj256ELj13ELNS0_17block_load_methodE3ELS4_3ELS4_3ELNS0_20block_scan_algorithmE0ELj4294967295EEENS1_25partition_config_selectorILNS1_17partition_subalgoE4EjNS0_10empty_typeEbEEZZNS1_14partition_implILS8_4ELb0ES6_15HIP_vector_typeIjLj2EENS0_17counting_iteratorIjlEEPS9_SG_NS0_5tupleIJPjSI_NS0_16reverse_iteratorISI_EEEEENSH_IJSG_SG_SG_EEES9_SI_JZNS1_25segmented_radix_sort_implINS0_14default_configELb0EPKfPfPKlPlN2at6native12_GLOBAL__N_18offset_tEEE10hipError_tPvRmT1_PNSt15iterator_traitsIS12_E10value_typeET2_T3_PNS13_IS18_E10value_typeET4_jRbjT5_S1E_jjP12ihipStream_tbEUljE_ZNSN_ISO_Lb0ESQ_SR_ST_SU_SY_EESZ_S10_S11_S12_S16_S17_S18_S1B_S1C_jS1D_jS1E_S1E_jjS1G_bEUljE0_EEESZ_S10_S11_S18_S1C_S1E_T6_T7_T9_mT8_S1G_bDpT10_ENKUlT_T0_E_clISt17integral_constantIbLb1EES1T_IbLb0EEEEDaS1P_S1Q_EUlS1P_E_NS1_11comp_targetILNS1_3genE0ELNS1_11target_archE4294967295ELNS1_3gpuE0ELNS1_3repE0EEENS1_30default_config_static_selectorELNS0_4arch9wavefront6targetE1EEEvS12_.num_named_barrier, 0
	.set _ZN7rocprim17ROCPRIM_400000_NS6detail17trampoline_kernelINS0_13select_configILj256ELj13ELNS0_17block_load_methodE3ELS4_3ELS4_3ELNS0_20block_scan_algorithmE0ELj4294967295EEENS1_25partition_config_selectorILNS1_17partition_subalgoE4EjNS0_10empty_typeEbEEZZNS1_14partition_implILS8_4ELb0ES6_15HIP_vector_typeIjLj2EENS0_17counting_iteratorIjlEEPS9_SG_NS0_5tupleIJPjSI_NS0_16reverse_iteratorISI_EEEEENSH_IJSG_SG_SG_EEES9_SI_JZNS1_25segmented_radix_sort_implINS0_14default_configELb0EPKfPfPKlPlN2at6native12_GLOBAL__N_18offset_tEEE10hipError_tPvRmT1_PNSt15iterator_traitsIS12_E10value_typeET2_T3_PNS13_IS18_E10value_typeET4_jRbjT5_S1E_jjP12ihipStream_tbEUljE_ZNSN_ISO_Lb0ESQ_SR_ST_SU_SY_EESZ_S10_S11_S12_S16_S17_S18_S1B_S1C_jS1D_jS1E_S1E_jjS1G_bEUljE0_EEESZ_S10_S11_S18_S1C_S1E_T6_T7_T9_mT8_S1G_bDpT10_ENKUlT_T0_E_clISt17integral_constantIbLb1EES1T_IbLb0EEEEDaS1P_S1Q_EUlS1P_E_NS1_11comp_targetILNS1_3genE0ELNS1_11target_archE4294967295ELNS1_3gpuE0ELNS1_3repE0EEENS1_30default_config_static_selectorELNS0_4arch9wavefront6targetE1EEEvS12_.private_seg_size, 0
	.set _ZN7rocprim17ROCPRIM_400000_NS6detail17trampoline_kernelINS0_13select_configILj256ELj13ELNS0_17block_load_methodE3ELS4_3ELS4_3ELNS0_20block_scan_algorithmE0ELj4294967295EEENS1_25partition_config_selectorILNS1_17partition_subalgoE4EjNS0_10empty_typeEbEEZZNS1_14partition_implILS8_4ELb0ES6_15HIP_vector_typeIjLj2EENS0_17counting_iteratorIjlEEPS9_SG_NS0_5tupleIJPjSI_NS0_16reverse_iteratorISI_EEEEENSH_IJSG_SG_SG_EEES9_SI_JZNS1_25segmented_radix_sort_implINS0_14default_configELb0EPKfPfPKlPlN2at6native12_GLOBAL__N_18offset_tEEE10hipError_tPvRmT1_PNSt15iterator_traitsIS12_E10value_typeET2_T3_PNS13_IS18_E10value_typeET4_jRbjT5_S1E_jjP12ihipStream_tbEUljE_ZNSN_ISO_Lb0ESQ_SR_ST_SU_SY_EESZ_S10_S11_S12_S16_S17_S18_S1B_S1C_jS1D_jS1E_S1E_jjS1G_bEUljE0_EEESZ_S10_S11_S18_S1C_S1E_T6_T7_T9_mT8_S1G_bDpT10_ENKUlT_T0_E_clISt17integral_constantIbLb1EES1T_IbLb0EEEEDaS1P_S1Q_EUlS1P_E_NS1_11comp_targetILNS1_3genE0ELNS1_11target_archE4294967295ELNS1_3gpuE0ELNS1_3repE0EEENS1_30default_config_static_selectorELNS0_4arch9wavefront6targetE1EEEvS12_.uses_vcc, 0
	.set _ZN7rocprim17ROCPRIM_400000_NS6detail17trampoline_kernelINS0_13select_configILj256ELj13ELNS0_17block_load_methodE3ELS4_3ELS4_3ELNS0_20block_scan_algorithmE0ELj4294967295EEENS1_25partition_config_selectorILNS1_17partition_subalgoE4EjNS0_10empty_typeEbEEZZNS1_14partition_implILS8_4ELb0ES6_15HIP_vector_typeIjLj2EENS0_17counting_iteratorIjlEEPS9_SG_NS0_5tupleIJPjSI_NS0_16reverse_iteratorISI_EEEEENSH_IJSG_SG_SG_EEES9_SI_JZNS1_25segmented_radix_sort_implINS0_14default_configELb0EPKfPfPKlPlN2at6native12_GLOBAL__N_18offset_tEEE10hipError_tPvRmT1_PNSt15iterator_traitsIS12_E10value_typeET2_T3_PNS13_IS18_E10value_typeET4_jRbjT5_S1E_jjP12ihipStream_tbEUljE_ZNSN_ISO_Lb0ESQ_SR_ST_SU_SY_EESZ_S10_S11_S12_S16_S17_S18_S1B_S1C_jS1D_jS1E_S1E_jjS1G_bEUljE0_EEESZ_S10_S11_S18_S1C_S1E_T6_T7_T9_mT8_S1G_bDpT10_ENKUlT_T0_E_clISt17integral_constantIbLb1EES1T_IbLb0EEEEDaS1P_S1Q_EUlS1P_E_NS1_11comp_targetILNS1_3genE0ELNS1_11target_archE4294967295ELNS1_3gpuE0ELNS1_3repE0EEENS1_30default_config_static_selectorELNS0_4arch9wavefront6targetE1EEEvS12_.uses_flat_scratch, 0
	.set _ZN7rocprim17ROCPRIM_400000_NS6detail17trampoline_kernelINS0_13select_configILj256ELj13ELNS0_17block_load_methodE3ELS4_3ELS4_3ELNS0_20block_scan_algorithmE0ELj4294967295EEENS1_25partition_config_selectorILNS1_17partition_subalgoE4EjNS0_10empty_typeEbEEZZNS1_14partition_implILS8_4ELb0ES6_15HIP_vector_typeIjLj2EENS0_17counting_iteratorIjlEEPS9_SG_NS0_5tupleIJPjSI_NS0_16reverse_iteratorISI_EEEEENSH_IJSG_SG_SG_EEES9_SI_JZNS1_25segmented_radix_sort_implINS0_14default_configELb0EPKfPfPKlPlN2at6native12_GLOBAL__N_18offset_tEEE10hipError_tPvRmT1_PNSt15iterator_traitsIS12_E10value_typeET2_T3_PNS13_IS18_E10value_typeET4_jRbjT5_S1E_jjP12ihipStream_tbEUljE_ZNSN_ISO_Lb0ESQ_SR_ST_SU_SY_EESZ_S10_S11_S12_S16_S17_S18_S1B_S1C_jS1D_jS1E_S1E_jjS1G_bEUljE0_EEESZ_S10_S11_S18_S1C_S1E_T6_T7_T9_mT8_S1G_bDpT10_ENKUlT_T0_E_clISt17integral_constantIbLb1EES1T_IbLb0EEEEDaS1P_S1Q_EUlS1P_E_NS1_11comp_targetILNS1_3genE0ELNS1_11target_archE4294967295ELNS1_3gpuE0ELNS1_3repE0EEENS1_30default_config_static_selectorELNS0_4arch9wavefront6targetE1EEEvS12_.has_dyn_sized_stack, 0
	.set _ZN7rocprim17ROCPRIM_400000_NS6detail17trampoline_kernelINS0_13select_configILj256ELj13ELNS0_17block_load_methodE3ELS4_3ELS4_3ELNS0_20block_scan_algorithmE0ELj4294967295EEENS1_25partition_config_selectorILNS1_17partition_subalgoE4EjNS0_10empty_typeEbEEZZNS1_14partition_implILS8_4ELb0ES6_15HIP_vector_typeIjLj2EENS0_17counting_iteratorIjlEEPS9_SG_NS0_5tupleIJPjSI_NS0_16reverse_iteratorISI_EEEEENSH_IJSG_SG_SG_EEES9_SI_JZNS1_25segmented_radix_sort_implINS0_14default_configELb0EPKfPfPKlPlN2at6native12_GLOBAL__N_18offset_tEEE10hipError_tPvRmT1_PNSt15iterator_traitsIS12_E10value_typeET2_T3_PNS13_IS18_E10value_typeET4_jRbjT5_S1E_jjP12ihipStream_tbEUljE_ZNSN_ISO_Lb0ESQ_SR_ST_SU_SY_EESZ_S10_S11_S12_S16_S17_S18_S1B_S1C_jS1D_jS1E_S1E_jjS1G_bEUljE0_EEESZ_S10_S11_S18_S1C_S1E_T6_T7_T9_mT8_S1G_bDpT10_ENKUlT_T0_E_clISt17integral_constantIbLb1EES1T_IbLb0EEEEDaS1P_S1Q_EUlS1P_E_NS1_11comp_targetILNS1_3genE0ELNS1_11target_archE4294967295ELNS1_3gpuE0ELNS1_3repE0EEENS1_30default_config_static_selectorELNS0_4arch9wavefront6targetE1EEEvS12_.has_recursion, 0
	.set _ZN7rocprim17ROCPRIM_400000_NS6detail17trampoline_kernelINS0_13select_configILj256ELj13ELNS0_17block_load_methodE3ELS4_3ELS4_3ELNS0_20block_scan_algorithmE0ELj4294967295EEENS1_25partition_config_selectorILNS1_17partition_subalgoE4EjNS0_10empty_typeEbEEZZNS1_14partition_implILS8_4ELb0ES6_15HIP_vector_typeIjLj2EENS0_17counting_iteratorIjlEEPS9_SG_NS0_5tupleIJPjSI_NS0_16reverse_iteratorISI_EEEEENSH_IJSG_SG_SG_EEES9_SI_JZNS1_25segmented_radix_sort_implINS0_14default_configELb0EPKfPfPKlPlN2at6native12_GLOBAL__N_18offset_tEEE10hipError_tPvRmT1_PNSt15iterator_traitsIS12_E10value_typeET2_T3_PNS13_IS18_E10value_typeET4_jRbjT5_S1E_jjP12ihipStream_tbEUljE_ZNSN_ISO_Lb0ESQ_SR_ST_SU_SY_EESZ_S10_S11_S12_S16_S17_S18_S1B_S1C_jS1D_jS1E_S1E_jjS1G_bEUljE0_EEESZ_S10_S11_S18_S1C_S1E_T6_T7_T9_mT8_S1G_bDpT10_ENKUlT_T0_E_clISt17integral_constantIbLb1EES1T_IbLb0EEEEDaS1P_S1Q_EUlS1P_E_NS1_11comp_targetILNS1_3genE0ELNS1_11target_archE4294967295ELNS1_3gpuE0ELNS1_3repE0EEENS1_30default_config_static_selectorELNS0_4arch9wavefront6targetE1EEEvS12_.has_indirect_call, 0
	.section	.AMDGPU.csdata,"",@progbits
; Kernel info:
; codeLenInByte = 0
; TotalNumSgprs: 4
; NumVgprs: 0
; ScratchSize: 0
; MemoryBound: 0
; FloatMode: 240
; IeeeMode: 1
; LDSByteSize: 0 bytes/workgroup (compile time only)
; SGPRBlocks: 0
; VGPRBlocks: 0
; NumSGPRsForWavesPerEU: 4
; NumVGPRsForWavesPerEU: 1
; Occupancy: 10
; WaveLimiterHint : 0
; COMPUTE_PGM_RSRC2:SCRATCH_EN: 0
; COMPUTE_PGM_RSRC2:USER_SGPR: 6
; COMPUTE_PGM_RSRC2:TRAP_HANDLER: 0
; COMPUTE_PGM_RSRC2:TGID_X_EN: 1
; COMPUTE_PGM_RSRC2:TGID_Y_EN: 0
; COMPUTE_PGM_RSRC2:TGID_Z_EN: 0
; COMPUTE_PGM_RSRC2:TIDIG_COMP_CNT: 0
	.section	.text._ZN7rocprim17ROCPRIM_400000_NS6detail17trampoline_kernelINS0_13select_configILj256ELj13ELNS0_17block_load_methodE3ELS4_3ELS4_3ELNS0_20block_scan_algorithmE0ELj4294967295EEENS1_25partition_config_selectorILNS1_17partition_subalgoE4EjNS0_10empty_typeEbEEZZNS1_14partition_implILS8_4ELb0ES6_15HIP_vector_typeIjLj2EENS0_17counting_iteratorIjlEEPS9_SG_NS0_5tupleIJPjSI_NS0_16reverse_iteratorISI_EEEEENSH_IJSG_SG_SG_EEES9_SI_JZNS1_25segmented_radix_sort_implINS0_14default_configELb0EPKfPfPKlPlN2at6native12_GLOBAL__N_18offset_tEEE10hipError_tPvRmT1_PNSt15iterator_traitsIS12_E10value_typeET2_T3_PNS13_IS18_E10value_typeET4_jRbjT5_S1E_jjP12ihipStream_tbEUljE_ZNSN_ISO_Lb0ESQ_SR_ST_SU_SY_EESZ_S10_S11_S12_S16_S17_S18_S1B_S1C_jS1D_jS1E_S1E_jjS1G_bEUljE0_EEESZ_S10_S11_S18_S1C_S1E_T6_T7_T9_mT8_S1G_bDpT10_ENKUlT_T0_E_clISt17integral_constantIbLb1EES1T_IbLb0EEEEDaS1P_S1Q_EUlS1P_E_NS1_11comp_targetILNS1_3genE5ELNS1_11target_archE942ELNS1_3gpuE9ELNS1_3repE0EEENS1_30default_config_static_selectorELNS0_4arch9wavefront6targetE1EEEvS12_,"axG",@progbits,_ZN7rocprim17ROCPRIM_400000_NS6detail17trampoline_kernelINS0_13select_configILj256ELj13ELNS0_17block_load_methodE3ELS4_3ELS4_3ELNS0_20block_scan_algorithmE0ELj4294967295EEENS1_25partition_config_selectorILNS1_17partition_subalgoE4EjNS0_10empty_typeEbEEZZNS1_14partition_implILS8_4ELb0ES6_15HIP_vector_typeIjLj2EENS0_17counting_iteratorIjlEEPS9_SG_NS0_5tupleIJPjSI_NS0_16reverse_iteratorISI_EEEEENSH_IJSG_SG_SG_EEES9_SI_JZNS1_25segmented_radix_sort_implINS0_14default_configELb0EPKfPfPKlPlN2at6native12_GLOBAL__N_18offset_tEEE10hipError_tPvRmT1_PNSt15iterator_traitsIS12_E10value_typeET2_T3_PNS13_IS18_E10value_typeET4_jRbjT5_S1E_jjP12ihipStream_tbEUljE_ZNSN_ISO_Lb0ESQ_SR_ST_SU_SY_EESZ_S10_S11_S12_S16_S17_S18_S1B_S1C_jS1D_jS1E_S1E_jjS1G_bEUljE0_EEESZ_S10_S11_S18_S1C_S1E_T6_T7_T9_mT8_S1G_bDpT10_ENKUlT_T0_E_clISt17integral_constantIbLb1EES1T_IbLb0EEEEDaS1P_S1Q_EUlS1P_E_NS1_11comp_targetILNS1_3genE5ELNS1_11target_archE942ELNS1_3gpuE9ELNS1_3repE0EEENS1_30default_config_static_selectorELNS0_4arch9wavefront6targetE1EEEvS12_,comdat
	.globl	_ZN7rocprim17ROCPRIM_400000_NS6detail17trampoline_kernelINS0_13select_configILj256ELj13ELNS0_17block_load_methodE3ELS4_3ELS4_3ELNS0_20block_scan_algorithmE0ELj4294967295EEENS1_25partition_config_selectorILNS1_17partition_subalgoE4EjNS0_10empty_typeEbEEZZNS1_14partition_implILS8_4ELb0ES6_15HIP_vector_typeIjLj2EENS0_17counting_iteratorIjlEEPS9_SG_NS0_5tupleIJPjSI_NS0_16reverse_iteratorISI_EEEEENSH_IJSG_SG_SG_EEES9_SI_JZNS1_25segmented_radix_sort_implINS0_14default_configELb0EPKfPfPKlPlN2at6native12_GLOBAL__N_18offset_tEEE10hipError_tPvRmT1_PNSt15iterator_traitsIS12_E10value_typeET2_T3_PNS13_IS18_E10value_typeET4_jRbjT5_S1E_jjP12ihipStream_tbEUljE_ZNSN_ISO_Lb0ESQ_SR_ST_SU_SY_EESZ_S10_S11_S12_S16_S17_S18_S1B_S1C_jS1D_jS1E_S1E_jjS1G_bEUljE0_EEESZ_S10_S11_S18_S1C_S1E_T6_T7_T9_mT8_S1G_bDpT10_ENKUlT_T0_E_clISt17integral_constantIbLb1EES1T_IbLb0EEEEDaS1P_S1Q_EUlS1P_E_NS1_11comp_targetILNS1_3genE5ELNS1_11target_archE942ELNS1_3gpuE9ELNS1_3repE0EEENS1_30default_config_static_selectorELNS0_4arch9wavefront6targetE1EEEvS12_ ; -- Begin function _ZN7rocprim17ROCPRIM_400000_NS6detail17trampoline_kernelINS0_13select_configILj256ELj13ELNS0_17block_load_methodE3ELS4_3ELS4_3ELNS0_20block_scan_algorithmE0ELj4294967295EEENS1_25partition_config_selectorILNS1_17partition_subalgoE4EjNS0_10empty_typeEbEEZZNS1_14partition_implILS8_4ELb0ES6_15HIP_vector_typeIjLj2EENS0_17counting_iteratorIjlEEPS9_SG_NS0_5tupleIJPjSI_NS0_16reverse_iteratorISI_EEEEENSH_IJSG_SG_SG_EEES9_SI_JZNS1_25segmented_radix_sort_implINS0_14default_configELb0EPKfPfPKlPlN2at6native12_GLOBAL__N_18offset_tEEE10hipError_tPvRmT1_PNSt15iterator_traitsIS12_E10value_typeET2_T3_PNS13_IS18_E10value_typeET4_jRbjT5_S1E_jjP12ihipStream_tbEUljE_ZNSN_ISO_Lb0ESQ_SR_ST_SU_SY_EESZ_S10_S11_S12_S16_S17_S18_S1B_S1C_jS1D_jS1E_S1E_jjS1G_bEUljE0_EEESZ_S10_S11_S18_S1C_S1E_T6_T7_T9_mT8_S1G_bDpT10_ENKUlT_T0_E_clISt17integral_constantIbLb1EES1T_IbLb0EEEEDaS1P_S1Q_EUlS1P_E_NS1_11comp_targetILNS1_3genE5ELNS1_11target_archE942ELNS1_3gpuE9ELNS1_3repE0EEENS1_30default_config_static_selectorELNS0_4arch9wavefront6targetE1EEEvS12_
	.p2align	8
	.type	_ZN7rocprim17ROCPRIM_400000_NS6detail17trampoline_kernelINS0_13select_configILj256ELj13ELNS0_17block_load_methodE3ELS4_3ELS4_3ELNS0_20block_scan_algorithmE0ELj4294967295EEENS1_25partition_config_selectorILNS1_17partition_subalgoE4EjNS0_10empty_typeEbEEZZNS1_14partition_implILS8_4ELb0ES6_15HIP_vector_typeIjLj2EENS0_17counting_iteratorIjlEEPS9_SG_NS0_5tupleIJPjSI_NS0_16reverse_iteratorISI_EEEEENSH_IJSG_SG_SG_EEES9_SI_JZNS1_25segmented_radix_sort_implINS0_14default_configELb0EPKfPfPKlPlN2at6native12_GLOBAL__N_18offset_tEEE10hipError_tPvRmT1_PNSt15iterator_traitsIS12_E10value_typeET2_T3_PNS13_IS18_E10value_typeET4_jRbjT5_S1E_jjP12ihipStream_tbEUljE_ZNSN_ISO_Lb0ESQ_SR_ST_SU_SY_EESZ_S10_S11_S12_S16_S17_S18_S1B_S1C_jS1D_jS1E_S1E_jjS1G_bEUljE0_EEESZ_S10_S11_S18_S1C_S1E_T6_T7_T9_mT8_S1G_bDpT10_ENKUlT_T0_E_clISt17integral_constantIbLb1EES1T_IbLb0EEEEDaS1P_S1Q_EUlS1P_E_NS1_11comp_targetILNS1_3genE5ELNS1_11target_archE942ELNS1_3gpuE9ELNS1_3repE0EEENS1_30default_config_static_selectorELNS0_4arch9wavefront6targetE1EEEvS12_,@function
_ZN7rocprim17ROCPRIM_400000_NS6detail17trampoline_kernelINS0_13select_configILj256ELj13ELNS0_17block_load_methodE3ELS4_3ELS4_3ELNS0_20block_scan_algorithmE0ELj4294967295EEENS1_25partition_config_selectorILNS1_17partition_subalgoE4EjNS0_10empty_typeEbEEZZNS1_14partition_implILS8_4ELb0ES6_15HIP_vector_typeIjLj2EENS0_17counting_iteratorIjlEEPS9_SG_NS0_5tupleIJPjSI_NS0_16reverse_iteratorISI_EEEEENSH_IJSG_SG_SG_EEES9_SI_JZNS1_25segmented_radix_sort_implINS0_14default_configELb0EPKfPfPKlPlN2at6native12_GLOBAL__N_18offset_tEEE10hipError_tPvRmT1_PNSt15iterator_traitsIS12_E10value_typeET2_T3_PNS13_IS18_E10value_typeET4_jRbjT5_S1E_jjP12ihipStream_tbEUljE_ZNSN_ISO_Lb0ESQ_SR_ST_SU_SY_EESZ_S10_S11_S12_S16_S17_S18_S1B_S1C_jS1D_jS1E_S1E_jjS1G_bEUljE0_EEESZ_S10_S11_S18_S1C_S1E_T6_T7_T9_mT8_S1G_bDpT10_ENKUlT_T0_E_clISt17integral_constantIbLb1EES1T_IbLb0EEEEDaS1P_S1Q_EUlS1P_E_NS1_11comp_targetILNS1_3genE5ELNS1_11target_archE942ELNS1_3gpuE9ELNS1_3repE0EEENS1_30default_config_static_selectorELNS0_4arch9wavefront6targetE1EEEvS12_: ; @_ZN7rocprim17ROCPRIM_400000_NS6detail17trampoline_kernelINS0_13select_configILj256ELj13ELNS0_17block_load_methodE3ELS4_3ELS4_3ELNS0_20block_scan_algorithmE0ELj4294967295EEENS1_25partition_config_selectorILNS1_17partition_subalgoE4EjNS0_10empty_typeEbEEZZNS1_14partition_implILS8_4ELb0ES6_15HIP_vector_typeIjLj2EENS0_17counting_iteratorIjlEEPS9_SG_NS0_5tupleIJPjSI_NS0_16reverse_iteratorISI_EEEEENSH_IJSG_SG_SG_EEES9_SI_JZNS1_25segmented_radix_sort_implINS0_14default_configELb0EPKfPfPKlPlN2at6native12_GLOBAL__N_18offset_tEEE10hipError_tPvRmT1_PNSt15iterator_traitsIS12_E10value_typeET2_T3_PNS13_IS18_E10value_typeET4_jRbjT5_S1E_jjP12ihipStream_tbEUljE_ZNSN_ISO_Lb0ESQ_SR_ST_SU_SY_EESZ_S10_S11_S12_S16_S17_S18_S1B_S1C_jS1D_jS1E_S1E_jjS1G_bEUljE0_EEESZ_S10_S11_S18_S1C_S1E_T6_T7_T9_mT8_S1G_bDpT10_ENKUlT_T0_E_clISt17integral_constantIbLb1EES1T_IbLb0EEEEDaS1P_S1Q_EUlS1P_E_NS1_11comp_targetILNS1_3genE5ELNS1_11target_archE942ELNS1_3gpuE9ELNS1_3repE0EEENS1_30default_config_static_selectorELNS0_4arch9wavefront6targetE1EEEvS12_
; %bb.0:
	.section	.rodata,"a",@progbits
	.p2align	6, 0x0
	.amdhsa_kernel _ZN7rocprim17ROCPRIM_400000_NS6detail17trampoline_kernelINS0_13select_configILj256ELj13ELNS0_17block_load_methodE3ELS4_3ELS4_3ELNS0_20block_scan_algorithmE0ELj4294967295EEENS1_25partition_config_selectorILNS1_17partition_subalgoE4EjNS0_10empty_typeEbEEZZNS1_14partition_implILS8_4ELb0ES6_15HIP_vector_typeIjLj2EENS0_17counting_iteratorIjlEEPS9_SG_NS0_5tupleIJPjSI_NS0_16reverse_iteratorISI_EEEEENSH_IJSG_SG_SG_EEES9_SI_JZNS1_25segmented_radix_sort_implINS0_14default_configELb0EPKfPfPKlPlN2at6native12_GLOBAL__N_18offset_tEEE10hipError_tPvRmT1_PNSt15iterator_traitsIS12_E10value_typeET2_T3_PNS13_IS18_E10value_typeET4_jRbjT5_S1E_jjP12ihipStream_tbEUljE_ZNSN_ISO_Lb0ESQ_SR_ST_SU_SY_EESZ_S10_S11_S12_S16_S17_S18_S1B_S1C_jS1D_jS1E_S1E_jjS1G_bEUljE0_EEESZ_S10_S11_S18_S1C_S1E_T6_T7_T9_mT8_S1G_bDpT10_ENKUlT_T0_E_clISt17integral_constantIbLb1EES1T_IbLb0EEEEDaS1P_S1Q_EUlS1P_E_NS1_11comp_targetILNS1_3genE5ELNS1_11target_archE942ELNS1_3gpuE9ELNS1_3repE0EEENS1_30default_config_static_selectorELNS0_4arch9wavefront6targetE1EEEvS12_
		.amdhsa_group_segment_fixed_size 0
		.amdhsa_private_segment_fixed_size 0
		.amdhsa_kernarg_size 176
		.amdhsa_user_sgpr_count 6
		.amdhsa_user_sgpr_private_segment_buffer 1
		.amdhsa_user_sgpr_dispatch_ptr 0
		.amdhsa_user_sgpr_queue_ptr 0
		.amdhsa_user_sgpr_kernarg_segment_ptr 1
		.amdhsa_user_sgpr_dispatch_id 0
		.amdhsa_user_sgpr_flat_scratch_init 0
		.amdhsa_user_sgpr_private_segment_size 0
		.amdhsa_uses_dynamic_stack 0
		.amdhsa_system_sgpr_private_segment_wavefront_offset 0
		.amdhsa_system_sgpr_workgroup_id_x 1
		.amdhsa_system_sgpr_workgroup_id_y 0
		.amdhsa_system_sgpr_workgroup_id_z 0
		.amdhsa_system_sgpr_workgroup_info 0
		.amdhsa_system_vgpr_workitem_id 0
		.amdhsa_next_free_vgpr 1
		.amdhsa_next_free_sgpr 0
		.amdhsa_reserve_vcc 0
		.amdhsa_reserve_flat_scratch 0
		.amdhsa_float_round_mode_32 0
		.amdhsa_float_round_mode_16_64 0
		.amdhsa_float_denorm_mode_32 3
		.amdhsa_float_denorm_mode_16_64 3
		.amdhsa_dx10_clamp 1
		.amdhsa_ieee_mode 1
		.amdhsa_fp16_overflow 0
		.amdhsa_exception_fp_ieee_invalid_op 0
		.amdhsa_exception_fp_denorm_src 0
		.amdhsa_exception_fp_ieee_div_zero 0
		.amdhsa_exception_fp_ieee_overflow 0
		.amdhsa_exception_fp_ieee_underflow 0
		.amdhsa_exception_fp_ieee_inexact 0
		.amdhsa_exception_int_div_zero 0
	.end_amdhsa_kernel
	.section	.text._ZN7rocprim17ROCPRIM_400000_NS6detail17trampoline_kernelINS0_13select_configILj256ELj13ELNS0_17block_load_methodE3ELS4_3ELS4_3ELNS0_20block_scan_algorithmE0ELj4294967295EEENS1_25partition_config_selectorILNS1_17partition_subalgoE4EjNS0_10empty_typeEbEEZZNS1_14partition_implILS8_4ELb0ES6_15HIP_vector_typeIjLj2EENS0_17counting_iteratorIjlEEPS9_SG_NS0_5tupleIJPjSI_NS0_16reverse_iteratorISI_EEEEENSH_IJSG_SG_SG_EEES9_SI_JZNS1_25segmented_radix_sort_implINS0_14default_configELb0EPKfPfPKlPlN2at6native12_GLOBAL__N_18offset_tEEE10hipError_tPvRmT1_PNSt15iterator_traitsIS12_E10value_typeET2_T3_PNS13_IS18_E10value_typeET4_jRbjT5_S1E_jjP12ihipStream_tbEUljE_ZNSN_ISO_Lb0ESQ_SR_ST_SU_SY_EESZ_S10_S11_S12_S16_S17_S18_S1B_S1C_jS1D_jS1E_S1E_jjS1G_bEUljE0_EEESZ_S10_S11_S18_S1C_S1E_T6_T7_T9_mT8_S1G_bDpT10_ENKUlT_T0_E_clISt17integral_constantIbLb1EES1T_IbLb0EEEEDaS1P_S1Q_EUlS1P_E_NS1_11comp_targetILNS1_3genE5ELNS1_11target_archE942ELNS1_3gpuE9ELNS1_3repE0EEENS1_30default_config_static_selectorELNS0_4arch9wavefront6targetE1EEEvS12_,"axG",@progbits,_ZN7rocprim17ROCPRIM_400000_NS6detail17trampoline_kernelINS0_13select_configILj256ELj13ELNS0_17block_load_methodE3ELS4_3ELS4_3ELNS0_20block_scan_algorithmE0ELj4294967295EEENS1_25partition_config_selectorILNS1_17partition_subalgoE4EjNS0_10empty_typeEbEEZZNS1_14partition_implILS8_4ELb0ES6_15HIP_vector_typeIjLj2EENS0_17counting_iteratorIjlEEPS9_SG_NS0_5tupleIJPjSI_NS0_16reverse_iteratorISI_EEEEENSH_IJSG_SG_SG_EEES9_SI_JZNS1_25segmented_radix_sort_implINS0_14default_configELb0EPKfPfPKlPlN2at6native12_GLOBAL__N_18offset_tEEE10hipError_tPvRmT1_PNSt15iterator_traitsIS12_E10value_typeET2_T3_PNS13_IS18_E10value_typeET4_jRbjT5_S1E_jjP12ihipStream_tbEUljE_ZNSN_ISO_Lb0ESQ_SR_ST_SU_SY_EESZ_S10_S11_S12_S16_S17_S18_S1B_S1C_jS1D_jS1E_S1E_jjS1G_bEUljE0_EEESZ_S10_S11_S18_S1C_S1E_T6_T7_T9_mT8_S1G_bDpT10_ENKUlT_T0_E_clISt17integral_constantIbLb1EES1T_IbLb0EEEEDaS1P_S1Q_EUlS1P_E_NS1_11comp_targetILNS1_3genE5ELNS1_11target_archE942ELNS1_3gpuE9ELNS1_3repE0EEENS1_30default_config_static_selectorELNS0_4arch9wavefront6targetE1EEEvS12_,comdat
.Lfunc_end1381:
	.size	_ZN7rocprim17ROCPRIM_400000_NS6detail17trampoline_kernelINS0_13select_configILj256ELj13ELNS0_17block_load_methodE3ELS4_3ELS4_3ELNS0_20block_scan_algorithmE0ELj4294967295EEENS1_25partition_config_selectorILNS1_17partition_subalgoE4EjNS0_10empty_typeEbEEZZNS1_14partition_implILS8_4ELb0ES6_15HIP_vector_typeIjLj2EENS0_17counting_iteratorIjlEEPS9_SG_NS0_5tupleIJPjSI_NS0_16reverse_iteratorISI_EEEEENSH_IJSG_SG_SG_EEES9_SI_JZNS1_25segmented_radix_sort_implINS0_14default_configELb0EPKfPfPKlPlN2at6native12_GLOBAL__N_18offset_tEEE10hipError_tPvRmT1_PNSt15iterator_traitsIS12_E10value_typeET2_T3_PNS13_IS18_E10value_typeET4_jRbjT5_S1E_jjP12ihipStream_tbEUljE_ZNSN_ISO_Lb0ESQ_SR_ST_SU_SY_EESZ_S10_S11_S12_S16_S17_S18_S1B_S1C_jS1D_jS1E_S1E_jjS1G_bEUljE0_EEESZ_S10_S11_S18_S1C_S1E_T6_T7_T9_mT8_S1G_bDpT10_ENKUlT_T0_E_clISt17integral_constantIbLb1EES1T_IbLb0EEEEDaS1P_S1Q_EUlS1P_E_NS1_11comp_targetILNS1_3genE5ELNS1_11target_archE942ELNS1_3gpuE9ELNS1_3repE0EEENS1_30default_config_static_selectorELNS0_4arch9wavefront6targetE1EEEvS12_, .Lfunc_end1381-_ZN7rocprim17ROCPRIM_400000_NS6detail17trampoline_kernelINS0_13select_configILj256ELj13ELNS0_17block_load_methodE3ELS4_3ELS4_3ELNS0_20block_scan_algorithmE0ELj4294967295EEENS1_25partition_config_selectorILNS1_17partition_subalgoE4EjNS0_10empty_typeEbEEZZNS1_14partition_implILS8_4ELb0ES6_15HIP_vector_typeIjLj2EENS0_17counting_iteratorIjlEEPS9_SG_NS0_5tupleIJPjSI_NS0_16reverse_iteratorISI_EEEEENSH_IJSG_SG_SG_EEES9_SI_JZNS1_25segmented_radix_sort_implINS0_14default_configELb0EPKfPfPKlPlN2at6native12_GLOBAL__N_18offset_tEEE10hipError_tPvRmT1_PNSt15iterator_traitsIS12_E10value_typeET2_T3_PNS13_IS18_E10value_typeET4_jRbjT5_S1E_jjP12ihipStream_tbEUljE_ZNSN_ISO_Lb0ESQ_SR_ST_SU_SY_EESZ_S10_S11_S12_S16_S17_S18_S1B_S1C_jS1D_jS1E_S1E_jjS1G_bEUljE0_EEESZ_S10_S11_S18_S1C_S1E_T6_T7_T9_mT8_S1G_bDpT10_ENKUlT_T0_E_clISt17integral_constantIbLb1EES1T_IbLb0EEEEDaS1P_S1Q_EUlS1P_E_NS1_11comp_targetILNS1_3genE5ELNS1_11target_archE942ELNS1_3gpuE9ELNS1_3repE0EEENS1_30default_config_static_selectorELNS0_4arch9wavefront6targetE1EEEvS12_
                                        ; -- End function
	.set _ZN7rocprim17ROCPRIM_400000_NS6detail17trampoline_kernelINS0_13select_configILj256ELj13ELNS0_17block_load_methodE3ELS4_3ELS4_3ELNS0_20block_scan_algorithmE0ELj4294967295EEENS1_25partition_config_selectorILNS1_17partition_subalgoE4EjNS0_10empty_typeEbEEZZNS1_14partition_implILS8_4ELb0ES6_15HIP_vector_typeIjLj2EENS0_17counting_iteratorIjlEEPS9_SG_NS0_5tupleIJPjSI_NS0_16reverse_iteratorISI_EEEEENSH_IJSG_SG_SG_EEES9_SI_JZNS1_25segmented_radix_sort_implINS0_14default_configELb0EPKfPfPKlPlN2at6native12_GLOBAL__N_18offset_tEEE10hipError_tPvRmT1_PNSt15iterator_traitsIS12_E10value_typeET2_T3_PNS13_IS18_E10value_typeET4_jRbjT5_S1E_jjP12ihipStream_tbEUljE_ZNSN_ISO_Lb0ESQ_SR_ST_SU_SY_EESZ_S10_S11_S12_S16_S17_S18_S1B_S1C_jS1D_jS1E_S1E_jjS1G_bEUljE0_EEESZ_S10_S11_S18_S1C_S1E_T6_T7_T9_mT8_S1G_bDpT10_ENKUlT_T0_E_clISt17integral_constantIbLb1EES1T_IbLb0EEEEDaS1P_S1Q_EUlS1P_E_NS1_11comp_targetILNS1_3genE5ELNS1_11target_archE942ELNS1_3gpuE9ELNS1_3repE0EEENS1_30default_config_static_selectorELNS0_4arch9wavefront6targetE1EEEvS12_.num_vgpr, 0
	.set _ZN7rocprim17ROCPRIM_400000_NS6detail17trampoline_kernelINS0_13select_configILj256ELj13ELNS0_17block_load_methodE3ELS4_3ELS4_3ELNS0_20block_scan_algorithmE0ELj4294967295EEENS1_25partition_config_selectorILNS1_17partition_subalgoE4EjNS0_10empty_typeEbEEZZNS1_14partition_implILS8_4ELb0ES6_15HIP_vector_typeIjLj2EENS0_17counting_iteratorIjlEEPS9_SG_NS0_5tupleIJPjSI_NS0_16reverse_iteratorISI_EEEEENSH_IJSG_SG_SG_EEES9_SI_JZNS1_25segmented_radix_sort_implINS0_14default_configELb0EPKfPfPKlPlN2at6native12_GLOBAL__N_18offset_tEEE10hipError_tPvRmT1_PNSt15iterator_traitsIS12_E10value_typeET2_T3_PNS13_IS18_E10value_typeET4_jRbjT5_S1E_jjP12ihipStream_tbEUljE_ZNSN_ISO_Lb0ESQ_SR_ST_SU_SY_EESZ_S10_S11_S12_S16_S17_S18_S1B_S1C_jS1D_jS1E_S1E_jjS1G_bEUljE0_EEESZ_S10_S11_S18_S1C_S1E_T6_T7_T9_mT8_S1G_bDpT10_ENKUlT_T0_E_clISt17integral_constantIbLb1EES1T_IbLb0EEEEDaS1P_S1Q_EUlS1P_E_NS1_11comp_targetILNS1_3genE5ELNS1_11target_archE942ELNS1_3gpuE9ELNS1_3repE0EEENS1_30default_config_static_selectorELNS0_4arch9wavefront6targetE1EEEvS12_.num_agpr, 0
	.set _ZN7rocprim17ROCPRIM_400000_NS6detail17trampoline_kernelINS0_13select_configILj256ELj13ELNS0_17block_load_methodE3ELS4_3ELS4_3ELNS0_20block_scan_algorithmE0ELj4294967295EEENS1_25partition_config_selectorILNS1_17partition_subalgoE4EjNS0_10empty_typeEbEEZZNS1_14partition_implILS8_4ELb0ES6_15HIP_vector_typeIjLj2EENS0_17counting_iteratorIjlEEPS9_SG_NS0_5tupleIJPjSI_NS0_16reverse_iteratorISI_EEEEENSH_IJSG_SG_SG_EEES9_SI_JZNS1_25segmented_radix_sort_implINS0_14default_configELb0EPKfPfPKlPlN2at6native12_GLOBAL__N_18offset_tEEE10hipError_tPvRmT1_PNSt15iterator_traitsIS12_E10value_typeET2_T3_PNS13_IS18_E10value_typeET4_jRbjT5_S1E_jjP12ihipStream_tbEUljE_ZNSN_ISO_Lb0ESQ_SR_ST_SU_SY_EESZ_S10_S11_S12_S16_S17_S18_S1B_S1C_jS1D_jS1E_S1E_jjS1G_bEUljE0_EEESZ_S10_S11_S18_S1C_S1E_T6_T7_T9_mT8_S1G_bDpT10_ENKUlT_T0_E_clISt17integral_constantIbLb1EES1T_IbLb0EEEEDaS1P_S1Q_EUlS1P_E_NS1_11comp_targetILNS1_3genE5ELNS1_11target_archE942ELNS1_3gpuE9ELNS1_3repE0EEENS1_30default_config_static_selectorELNS0_4arch9wavefront6targetE1EEEvS12_.numbered_sgpr, 0
	.set _ZN7rocprim17ROCPRIM_400000_NS6detail17trampoline_kernelINS0_13select_configILj256ELj13ELNS0_17block_load_methodE3ELS4_3ELS4_3ELNS0_20block_scan_algorithmE0ELj4294967295EEENS1_25partition_config_selectorILNS1_17partition_subalgoE4EjNS0_10empty_typeEbEEZZNS1_14partition_implILS8_4ELb0ES6_15HIP_vector_typeIjLj2EENS0_17counting_iteratorIjlEEPS9_SG_NS0_5tupleIJPjSI_NS0_16reverse_iteratorISI_EEEEENSH_IJSG_SG_SG_EEES9_SI_JZNS1_25segmented_radix_sort_implINS0_14default_configELb0EPKfPfPKlPlN2at6native12_GLOBAL__N_18offset_tEEE10hipError_tPvRmT1_PNSt15iterator_traitsIS12_E10value_typeET2_T3_PNS13_IS18_E10value_typeET4_jRbjT5_S1E_jjP12ihipStream_tbEUljE_ZNSN_ISO_Lb0ESQ_SR_ST_SU_SY_EESZ_S10_S11_S12_S16_S17_S18_S1B_S1C_jS1D_jS1E_S1E_jjS1G_bEUljE0_EEESZ_S10_S11_S18_S1C_S1E_T6_T7_T9_mT8_S1G_bDpT10_ENKUlT_T0_E_clISt17integral_constantIbLb1EES1T_IbLb0EEEEDaS1P_S1Q_EUlS1P_E_NS1_11comp_targetILNS1_3genE5ELNS1_11target_archE942ELNS1_3gpuE9ELNS1_3repE0EEENS1_30default_config_static_selectorELNS0_4arch9wavefront6targetE1EEEvS12_.num_named_barrier, 0
	.set _ZN7rocprim17ROCPRIM_400000_NS6detail17trampoline_kernelINS0_13select_configILj256ELj13ELNS0_17block_load_methodE3ELS4_3ELS4_3ELNS0_20block_scan_algorithmE0ELj4294967295EEENS1_25partition_config_selectorILNS1_17partition_subalgoE4EjNS0_10empty_typeEbEEZZNS1_14partition_implILS8_4ELb0ES6_15HIP_vector_typeIjLj2EENS0_17counting_iteratorIjlEEPS9_SG_NS0_5tupleIJPjSI_NS0_16reverse_iteratorISI_EEEEENSH_IJSG_SG_SG_EEES9_SI_JZNS1_25segmented_radix_sort_implINS0_14default_configELb0EPKfPfPKlPlN2at6native12_GLOBAL__N_18offset_tEEE10hipError_tPvRmT1_PNSt15iterator_traitsIS12_E10value_typeET2_T3_PNS13_IS18_E10value_typeET4_jRbjT5_S1E_jjP12ihipStream_tbEUljE_ZNSN_ISO_Lb0ESQ_SR_ST_SU_SY_EESZ_S10_S11_S12_S16_S17_S18_S1B_S1C_jS1D_jS1E_S1E_jjS1G_bEUljE0_EEESZ_S10_S11_S18_S1C_S1E_T6_T7_T9_mT8_S1G_bDpT10_ENKUlT_T0_E_clISt17integral_constantIbLb1EES1T_IbLb0EEEEDaS1P_S1Q_EUlS1P_E_NS1_11comp_targetILNS1_3genE5ELNS1_11target_archE942ELNS1_3gpuE9ELNS1_3repE0EEENS1_30default_config_static_selectorELNS0_4arch9wavefront6targetE1EEEvS12_.private_seg_size, 0
	.set _ZN7rocprim17ROCPRIM_400000_NS6detail17trampoline_kernelINS0_13select_configILj256ELj13ELNS0_17block_load_methodE3ELS4_3ELS4_3ELNS0_20block_scan_algorithmE0ELj4294967295EEENS1_25partition_config_selectorILNS1_17partition_subalgoE4EjNS0_10empty_typeEbEEZZNS1_14partition_implILS8_4ELb0ES6_15HIP_vector_typeIjLj2EENS0_17counting_iteratorIjlEEPS9_SG_NS0_5tupleIJPjSI_NS0_16reverse_iteratorISI_EEEEENSH_IJSG_SG_SG_EEES9_SI_JZNS1_25segmented_radix_sort_implINS0_14default_configELb0EPKfPfPKlPlN2at6native12_GLOBAL__N_18offset_tEEE10hipError_tPvRmT1_PNSt15iterator_traitsIS12_E10value_typeET2_T3_PNS13_IS18_E10value_typeET4_jRbjT5_S1E_jjP12ihipStream_tbEUljE_ZNSN_ISO_Lb0ESQ_SR_ST_SU_SY_EESZ_S10_S11_S12_S16_S17_S18_S1B_S1C_jS1D_jS1E_S1E_jjS1G_bEUljE0_EEESZ_S10_S11_S18_S1C_S1E_T6_T7_T9_mT8_S1G_bDpT10_ENKUlT_T0_E_clISt17integral_constantIbLb1EES1T_IbLb0EEEEDaS1P_S1Q_EUlS1P_E_NS1_11comp_targetILNS1_3genE5ELNS1_11target_archE942ELNS1_3gpuE9ELNS1_3repE0EEENS1_30default_config_static_selectorELNS0_4arch9wavefront6targetE1EEEvS12_.uses_vcc, 0
	.set _ZN7rocprim17ROCPRIM_400000_NS6detail17trampoline_kernelINS0_13select_configILj256ELj13ELNS0_17block_load_methodE3ELS4_3ELS4_3ELNS0_20block_scan_algorithmE0ELj4294967295EEENS1_25partition_config_selectorILNS1_17partition_subalgoE4EjNS0_10empty_typeEbEEZZNS1_14partition_implILS8_4ELb0ES6_15HIP_vector_typeIjLj2EENS0_17counting_iteratorIjlEEPS9_SG_NS0_5tupleIJPjSI_NS0_16reverse_iteratorISI_EEEEENSH_IJSG_SG_SG_EEES9_SI_JZNS1_25segmented_radix_sort_implINS0_14default_configELb0EPKfPfPKlPlN2at6native12_GLOBAL__N_18offset_tEEE10hipError_tPvRmT1_PNSt15iterator_traitsIS12_E10value_typeET2_T3_PNS13_IS18_E10value_typeET4_jRbjT5_S1E_jjP12ihipStream_tbEUljE_ZNSN_ISO_Lb0ESQ_SR_ST_SU_SY_EESZ_S10_S11_S12_S16_S17_S18_S1B_S1C_jS1D_jS1E_S1E_jjS1G_bEUljE0_EEESZ_S10_S11_S18_S1C_S1E_T6_T7_T9_mT8_S1G_bDpT10_ENKUlT_T0_E_clISt17integral_constantIbLb1EES1T_IbLb0EEEEDaS1P_S1Q_EUlS1P_E_NS1_11comp_targetILNS1_3genE5ELNS1_11target_archE942ELNS1_3gpuE9ELNS1_3repE0EEENS1_30default_config_static_selectorELNS0_4arch9wavefront6targetE1EEEvS12_.uses_flat_scratch, 0
	.set _ZN7rocprim17ROCPRIM_400000_NS6detail17trampoline_kernelINS0_13select_configILj256ELj13ELNS0_17block_load_methodE3ELS4_3ELS4_3ELNS0_20block_scan_algorithmE0ELj4294967295EEENS1_25partition_config_selectorILNS1_17partition_subalgoE4EjNS0_10empty_typeEbEEZZNS1_14partition_implILS8_4ELb0ES6_15HIP_vector_typeIjLj2EENS0_17counting_iteratorIjlEEPS9_SG_NS0_5tupleIJPjSI_NS0_16reverse_iteratorISI_EEEEENSH_IJSG_SG_SG_EEES9_SI_JZNS1_25segmented_radix_sort_implINS0_14default_configELb0EPKfPfPKlPlN2at6native12_GLOBAL__N_18offset_tEEE10hipError_tPvRmT1_PNSt15iterator_traitsIS12_E10value_typeET2_T3_PNS13_IS18_E10value_typeET4_jRbjT5_S1E_jjP12ihipStream_tbEUljE_ZNSN_ISO_Lb0ESQ_SR_ST_SU_SY_EESZ_S10_S11_S12_S16_S17_S18_S1B_S1C_jS1D_jS1E_S1E_jjS1G_bEUljE0_EEESZ_S10_S11_S18_S1C_S1E_T6_T7_T9_mT8_S1G_bDpT10_ENKUlT_T0_E_clISt17integral_constantIbLb1EES1T_IbLb0EEEEDaS1P_S1Q_EUlS1P_E_NS1_11comp_targetILNS1_3genE5ELNS1_11target_archE942ELNS1_3gpuE9ELNS1_3repE0EEENS1_30default_config_static_selectorELNS0_4arch9wavefront6targetE1EEEvS12_.has_dyn_sized_stack, 0
	.set _ZN7rocprim17ROCPRIM_400000_NS6detail17trampoline_kernelINS0_13select_configILj256ELj13ELNS0_17block_load_methodE3ELS4_3ELS4_3ELNS0_20block_scan_algorithmE0ELj4294967295EEENS1_25partition_config_selectorILNS1_17partition_subalgoE4EjNS0_10empty_typeEbEEZZNS1_14partition_implILS8_4ELb0ES6_15HIP_vector_typeIjLj2EENS0_17counting_iteratorIjlEEPS9_SG_NS0_5tupleIJPjSI_NS0_16reverse_iteratorISI_EEEEENSH_IJSG_SG_SG_EEES9_SI_JZNS1_25segmented_radix_sort_implINS0_14default_configELb0EPKfPfPKlPlN2at6native12_GLOBAL__N_18offset_tEEE10hipError_tPvRmT1_PNSt15iterator_traitsIS12_E10value_typeET2_T3_PNS13_IS18_E10value_typeET4_jRbjT5_S1E_jjP12ihipStream_tbEUljE_ZNSN_ISO_Lb0ESQ_SR_ST_SU_SY_EESZ_S10_S11_S12_S16_S17_S18_S1B_S1C_jS1D_jS1E_S1E_jjS1G_bEUljE0_EEESZ_S10_S11_S18_S1C_S1E_T6_T7_T9_mT8_S1G_bDpT10_ENKUlT_T0_E_clISt17integral_constantIbLb1EES1T_IbLb0EEEEDaS1P_S1Q_EUlS1P_E_NS1_11comp_targetILNS1_3genE5ELNS1_11target_archE942ELNS1_3gpuE9ELNS1_3repE0EEENS1_30default_config_static_selectorELNS0_4arch9wavefront6targetE1EEEvS12_.has_recursion, 0
	.set _ZN7rocprim17ROCPRIM_400000_NS6detail17trampoline_kernelINS0_13select_configILj256ELj13ELNS0_17block_load_methodE3ELS4_3ELS4_3ELNS0_20block_scan_algorithmE0ELj4294967295EEENS1_25partition_config_selectorILNS1_17partition_subalgoE4EjNS0_10empty_typeEbEEZZNS1_14partition_implILS8_4ELb0ES6_15HIP_vector_typeIjLj2EENS0_17counting_iteratorIjlEEPS9_SG_NS0_5tupleIJPjSI_NS0_16reverse_iteratorISI_EEEEENSH_IJSG_SG_SG_EEES9_SI_JZNS1_25segmented_radix_sort_implINS0_14default_configELb0EPKfPfPKlPlN2at6native12_GLOBAL__N_18offset_tEEE10hipError_tPvRmT1_PNSt15iterator_traitsIS12_E10value_typeET2_T3_PNS13_IS18_E10value_typeET4_jRbjT5_S1E_jjP12ihipStream_tbEUljE_ZNSN_ISO_Lb0ESQ_SR_ST_SU_SY_EESZ_S10_S11_S12_S16_S17_S18_S1B_S1C_jS1D_jS1E_S1E_jjS1G_bEUljE0_EEESZ_S10_S11_S18_S1C_S1E_T6_T7_T9_mT8_S1G_bDpT10_ENKUlT_T0_E_clISt17integral_constantIbLb1EES1T_IbLb0EEEEDaS1P_S1Q_EUlS1P_E_NS1_11comp_targetILNS1_3genE5ELNS1_11target_archE942ELNS1_3gpuE9ELNS1_3repE0EEENS1_30default_config_static_selectorELNS0_4arch9wavefront6targetE1EEEvS12_.has_indirect_call, 0
	.section	.AMDGPU.csdata,"",@progbits
; Kernel info:
; codeLenInByte = 0
; TotalNumSgprs: 4
; NumVgprs: 0
; ScratchSize: 0
; MemoryBound: 0
; FloatMode: 240
; IeeeMode: 1
; LDSByteSize: 0 bytes/workgroup (compile time only)
; SGPRBlocks: 0
; VGPRBlocks: 0
; NumSGPRsForWavesPerEU: 4
; NumVGPRsForWavesPerEU: 1
; Occupancy: 10
; WaveLimiterHint : 0
; COMPUTE_PGM_RSRC2:SCRATCH_EN: 0
; COMPUTE_PGM_RSRC2:USER_SGPR: 6
; COMPUTE_PGM_RSRC2:TRAP_HANDLER: 0
; COMPUTE_PGM_RSRC2:TGID_X_EN: 1
; COMPUTE_PGM_RSRC2:TGID_Y_EN: 0
; COMPUTE_PGM_RSRC2:TGID_Z_EN: 0
; COMPUTE_PGM_RSRC2:TIDIG_COMP_CNT: 0
	.section	.text._ZN7rocprim17ROCPRIM_400000_NS6detail17trampoline_kernelINS0_13select_configILj256ELj13ELNS0_17block_load_methodE3ELS4_3ELS4_3ELNS0_20block_scan_algorithmE0ELj4294967295EEENS1_25partition_config_selectorILNS1_17partition_subalgoE4EjNS0_10empty_typeEbEEZZNS1_14partition_implILS8_4ELb0ES6_15HIP_vector_typeIjLj2EENS0_17counting_iteratorIjlEEPS9_SG_NS0_5tupleIJPjSI_NS0_16reverse_iteratorISI_EEEEENSH_IJSG_SG_SG_EEES9_SI_JZNS1_25segmented_radix_sort_implINS0_14default_configELb0EPKfPfPKlPlN2at6native12_GLOBAL__N_18offset_tEEE10hipError_tPvRmT1_PNSt15iterator_traitsIS12_E10value_typeET2_T3_PNS13_IS18_E10value_typeET4_jRbjT5_S1E_jjP12ihipStream_tbEUljE_ZNSN_ISO_Lb0ESQ_SR_ST_SU_SY_EESZ_S10_S11_S12_S16_S17_S18_S1B_S1C_jS1D_jS1E_S1E_jjS1G_bEUljE0_EEESZ_S10_S11_S18_S1C_S1E_T6_T7_T9_mT8_S1G_bDpT10_ENKUlT_T0_E_clISt17integral_constantIbLb1EES1T_IbLb0EEEEDaS1P_S1Q_EUlS1P_E_NS1_11comp_targetILNS1_3genE4ELNS1_11target_archE910ELNS1_3gpuE8ELNS1_3repE0EEENS1_30default_config_static_selectorELNS0_4arch9wavefront6targetE1EEEvS12_,"axG",@progbits,_ZN7rocprim17ROCPRIM_400000_NS6detail17trampoline_kernelINS0_13select_configILj256ELj13ELNS0_17block_load_methodE3ELS4_3ELS4_3ELNS0_20block_scan_algorithmE0ELj4294967295EEENS1_25partition_config_selectorILNS1_17partition_subalgoE4EjNS0_10empty_typeEbEEZZNS1_14partition_implILS8_4ELb0ES6_15HIP_vector_typeIjLj2EENS0_17counting_iteratorIjlEEPS9_SG_NS0_5tupleIJPjSI_NS0_16reverse_iteratorISI_EEEEENSH_IJSG_SG_SG_EEES9_SI_JZNS1_25segmented_radix_sort_implINS0_14default_configELb0EPKfPfPKlPlN2at6native12_GLOBAL__N_18offset_tEEE10hipError_tPvRmT1_PNSt15iterator_traitsIS12_E10value_typeET2_T3_PNS13_IS18_E10value_typeET4_jRbjT5_S1E_jjP12ihipStream_tbEUljE_ZNSN_ISO_Lb0ESQ_SR_ST_SU_SY_EESZ_S10_S11_S12_S16_S17_S18_S1B_S1C_jS1D_jS1E_S1E_jjS1G_bEUljE0_EEESZ_S10_S11_S18_S1C_S1E_T6_T7_T9_mT8_S1G_bDpT10_ENKUlT_T0_E_clISt17integral_constantIbLb1EES1T_IbLb0EEEEDaS1P_S1Q_EUlS1P_E_NS1_11comp_targetILNS1_3genE4ELNS1_11target_archE910ELNS1_3gpuE8ELNS1_3repE0EEENS1_30default_config_static_selectorELNS0_4arch9wavefront6targetE1EEEvS12_,comdat
	.globl	_ZN7rocprim17ROCPRIM_400000_NS6detail17trampoline_kernelINS0_13select_configILj256ELj13ELNS0_17block_load_methodE3ELS4_3ELS4_3ELNS0_20block_scan_algorithmE0ELj4294967295EEENS1_25partition_config_selectorILNS1_17partition_subalgoE4EjNS0_10empty_typeEbEEZZNS1_14partition_implILS8_4ELb0ES6_15HIP_vector_typeIjLj2EENS0_17counting_iteratorIjlEEPS9_SG_NS0_5tupleIJPjSI_NS0_16reverse_iteratorISI_EEEEENSH_IJSG_SG_SG_EEES9_SI_JZNS1_25segmented_radix_sort_implINS0_14default_configELb0EPKfPfPKlPlN2at6native12_GLOBAL__N_18offset_tEEE10hipError_tPvRmT1_PNSt15iterator_traitsIS12_E10value_typeET2_T3_PNS13_IS18_E10value_typeET4_jRbjT5_S1E_jjP12ihipStream_tbEUljE_ZNSN_ISO_Lb0ESQ_SR_ST_SU_SY_EESZ_S10_S11_S12_S16_S17_S18_S1B_S1C_jS1D_jS1E_S1E_jjS1G_bEUljE0_EEESZ_S10_S11_S18_S1C_S1E_T6_T7_T9_mT8_S1G_bDpT10_ENKUlT_T0_E_clISt17integral_constantIbLb1EES1T_IbLb0EEEEDaS1P_S1Q_EUlS1P_E_NS1_11comp_targetILNS1_3genE4ELNS1_11target_archE910ELNS1_3gpuE8ELNS1_3repE0EEENS1_30default_config_static_selectorELNS0_4arch9wavefront6targetE1EEEvS12_ ; -- Begin function _ZN7rocprim17ROCPRIM_400000_NS6detail17trampoline_kernelINS0_13select_configILj256ELj13ELNS0_17block_load_methodE3ELS4_3ELS4_3ELNS0_20block_scan_algorithmE0ELj4294967295EEENS1_25partition_config_selectorILNS1_17partition_subalgoE4EjNS0_10empty_typeEbEEZZNS1_14partition_implILS8_4ELb0ES6_15HIP_vector_typeIjLj2EENS0_17counting_iteratorIjlEEPS9_SG_NS0_5tupleIJPjSI_NS0_16reverse_iteratorISI_EEEEENSH_IJSG_SG_SG_EEES9_SI_JZNS1_25segmented_radix_sort_implINS0_14default_configELb0EPKfPfPKlPlN2at6native12_GLOBAL__N_18offset_tEEE10hipError_tPvRmT1_PNSt15iterator_traitsIS12_E10value_typeET2_T3_PNS13_IS18_E10value_typeET4_jRbjT5_S1E_jjP12ihipStream_tbEUljE_ZNSN_ISO_Lb0ESQ_SR_ST_SU_SY_EESZ_S10_S11_S12_S16_S17_S18_S1B_S1C_jS1D_jS1E_S1E_jjS1G_bEUljE0_EEESZ_S10_S11_S18_S1C_S1E_T6_T7_T9_mT8_S1G_bDpT10_ENKUlT_T0_E_clISt17integral_constantIbLb1EES1T_IbLb0EEEEDaS1P_S1Q_EUlS1P_E_NS1_11comp_targetILNS1_3genE4ELNS1_11target_archE910ELNS1_3gpuE8ELNS1_3repE0EEENS1_30default_config_static_selectorELNS0_4arch9wavefront6targetE1EEEvS12_
	.p2align	8
	.type	_ZN7rocprim17ROCPRIM_400000_NS6detail17trampoline_kernelINS0_13select_configILj256ELj13ELNS0_17block_load_methodE3ELS4_3ELS4_3ELNS0_20block_scan_algorithmE0ELj4294967295EEENS1_25partition_config_selectorILNS1_17partition_subalgoE4EjNS0_10empty_typeEbEEZZNS1_14partition_implILS8_4ELb0ES6_15HIP_vector_typeIjLj2EENS0_17counting_iteratorIjlEEPS9_SG_NS0_5tupleIJPjSI_NS0_16reverse_iteratorISI_EEEEENSH_IJSG_SG_SG_EEES9_SI_JZNS1_25segmented_radix_sort_implINS0_14default_configELb0EPKfPfPKlPlN2at6native12_GLOBAL__N_18offset_tEEE10hipError_tPvRmT1_PNSt15iterator_traitsIS12_E10value_typeET2_T3_PNS13_IS18_E10value_typeET4_jRbjT5_S1E_jjP12ihipStream_tbEUljE_ZNSN_ISO_Lb0ESQ_SR_ST_SU_SY_EESZ_S10_S11_S12_S16_S17_S18_S1B_S1C_jS1D_jS1E_S1E_jjS1G_bEUljE0_EEESZ_S10_S11_S18_S1C_S1E_T6_T7_T9_mT8_S1G_bDpT10_ENKUlT_T0_E_clISt17integral_constantIbLb1EES1T_IbLb0EEEEDaS1P_S1Q_EUlS1P_E_NS1_11comp_targetILNS1_3genE4ELNS1_11target_archE910ELNS1_3gpuE8ELNS1_3repE0EEENS1_30default_config_static_selectorELNS0_4arch9wavefront6targetE1EEEvS12_,@function
_ZN7rocprim17ROCPRIM_400000_NS6detail17trampoline_kernelINS0_13select_configILj256ELj13ELNS0_17block_load_methodE3ELS4_3ELS4_3ELNS0_20block_scan_algorithmE0ELj4294967295EEENS1_25partition_config_selectorILNS1_17partition_subalgoE4EjNS0_10empty_typeEbEEZZNS1_14partition_implILS8_4ELb0ES6_15HIP_vector_typeIjLj2EENS0_17counting_iteratorIjlEEPS9_SG_NS0_5tupleIJPjSI_NS0_16reverse_iteratorISI_EEEEENSH_IJSG_SG_SG_EEES9_SI_JZNS1_25segmented_radix_sort_implINS0_14default_configELb0EPKfPfPKlPlN2at6native12_GLOBAL__N_18offset_tEEE10hipError_tPvRmT1_PNSt15iterator_traitsIS12_E10value_typeET2_T3_PNS13_IS18_E10value_typeET4_jRbjT5_S1E_jjP12ihipStream_tbEUljE_ZNSN_ISO_Lb0ESQ_SR_ST_SU_SY_EESZ_S10_S11_S12_S16_S17_S18_S1B_S1C_jS1D_jS1E_S1E_jjS1G_bEUljE0_EEESZ_S10_S11_S18_S1C_S1E_T6_T7_T9_mT8_S1G_bDpT10_ENKUlT_T0_E_clISt17integral_constantIbLb1EES1T_IbLb0EEEEDaS1P_S1Q_EUlS1P_E_NS1_11comp_targetILNS1_3genE4ELNS1_11target_archE910ELNS1_3gpuE8ELNS1_3repE0EEENS1_30default_config_static_selectorELNS0_4arch9wavefront6targetE1EEEvS12_: ; @_ZN7rocprim17ROCPRIM_400000_NS6detail17trampoline_kernelINS0_13select_configILj256ELj13ELNS0_17block_load_methodE3ELS4_3ELS4_3ELNS0_20block_scan_algorithmE0ELj4294967295EEENS1_25partition_config_selectorILNS1_17partition_subalgoE4EjNS0_10empty_typeEbEEZZNS1_14partition_implILS8_4ELb0ES6_15HIP_vector_typeIjLj2EENS0_17counting_iteratorIjlEEPS9_SG_NS0_5tupleIJPjSI_NS0_16reverse_iteratorISI_EEEEENSH_IJSG_SG_SG_EEES9_SI_JZNS1_25segmented_radix_sort_implINS0_14default_configELb0EPKfPfPKlPlN2at6native12_GLOBAL__N_18offset_tEEE10hipError_tPvRmT1_PNSt15iterator_traitsIS12_E10value_typeET2_T3_PNS13_IS18_E10value_typeET4_jRbjT5_S1E_jjP12ihipStream_tbEUljE_ZNSN_ISO_Lb0ESQ_SR_ST_SU_SY_EESZ_S10_S11_S12_S16_S17_S18_S1B_S1C_jS1D_jS1E_S1E_jjS1G_bEUljE0_EEESZ_S10_S11_S18_S1C_S1E_T6_T7_T9_mT8_S1G_bDpT10_ENKUlT_T0_E_clISt17integral_constantIbLb1EES1T_IbLb0EEEEDaS1P_S1Q_EUlS1P_E_NS1_11comp_targetILNS1_3genE4ELNS1_11target_archE910ELNS1_3gpuE8ELNS1_3repE0EEENS1_30default_config_static_selectorELNS0_4arch9wavefront6targetE1EEEvS12_
; %bb.0:
	.section	.rodata,"a",@progbits
	.p2align	6, 0x0
	.amdhsa_kernel _ZN7rocprim17ROCPRIM_400000_NS6detail17trampoline_kernelINS0_13select_configILj256ELj13ELNS0_17block_load_methodE3ELS4_3ELS4_3ELNS0_20block_scan_algorithmE0ELj4294967295EEENS1_25partition_config_selectorILNS1_17partition_subalgoE4EjNS0_10empty_typeEbEEZZNS1_14partition_implILS8_4ELb0ES6_15HIP_vector_typeIjLj2EENS0_17counting_iteratorIjlEEPS9_SG_NS0_5tupleIJPjSI_NS0_16reverse_iteratorISI_EEEEENSH_IJSG_SG_SG_EEES9_SI_JZNS1_25segmented_radix_sort_implINS0_14default_configELb0EPKfPfPKlPlN2at6native12_GLOBAL__N_18offset_tEEE10hipError_tPvRmT1_PNSt15iterator_traitsIS12_E10value_typeET2_T3_PNS13_IS18_E10value_typeET4_jRbjT5_S1E_jjP12ihipStream_tbEUljE_ZNSN_ISO_Lb0ESQ_SR_ST_SU_SY_EESZ_S10_S11_S12_S16_S17_S18_S1B_S1C_jS1D_jS1E_S1E_jjS1G_bEUljE0_EEESZ_S10_S11_S18_S1C_S1E_T6_T7_T9_mT8_S1G_bDpT10_ENKUlT_T0_E_clISt17integral_constantIbLb1EES1T_IbLb0EEEEDaS1P_S1Q_EUlS1P_E_NS1_11comp_targetILNS1_3genE4ELNS1_11target_archE910ELNS1_3gpuE8ELNS1_3repE0EEENS1_30default_config_static_selectorELNS0_4arch9wavefront6targetE1EEEvS12_
		.amdhsa_group_segment_fixed_size 0
		.amdhsa_private_segment_fixed_size 0
		.amdhsa_kernarg_size 176
		.amdhsa_user_sgpr_count 6
		.amdhsa_user_sgpr_private_segment_buffer 1
		.amdhsa_user_sgpr_dispatch_ptr 0
		.amdhsa_user_sgpr_queue_ptr 0
		.amdhsa_user_sgpr_kernarg_segment_ptr 1
		.amdhsa_user_sgpr_dispatch_id 0
		.amdhsa_user_sgpr_flat_scratch_init 0
		.amdhsa_user_sgpr_private_segment_size 0
		.amdhsa_uses_dynamic_stack 0
		.amdhsa_system_sgpr_private_segment_wavefront_offset 0
		.amdhsa_system_sgpr_workgroup_id_x 1
		.amdhsa_system_sgpr_workgroup_id_y 0
		.amdhsa_system_sgpr_workgroup_id_z 0
		.amdhsa_system_sgpr_workgroup_info 0
		.amdhsa_system_vgpr_workitem_id 0
		.amdhsa_next_free_vgpr 1
		.amdhsa_next_free_sgpr 0
		.amdhsa_reserve_vcc 0
		.amdhsa_reserve_flat_scratch 0
		.amdhsa_float_round_mode_32 0
		.amdhsa_float_round_mode_16_64 0
		.amdhsa_float_denorm_mode_32 3
		.amdhsa_float_denorm_mode_16_64 3
		.amdhsa_dx10_clamp 1
		.amdhsa_ieee_mode 1
		.amdhsa_fp16_overflow 0
		.amdhsa_exception_fp_ieee_invalid_op 0
		.amdhsa_exception_fp_denorm_src 0
		.amdhsa_exception_fp_ieee_div_zero 0
		.amdhsa_exception_fp_ieee_overflow 0
		.amdhsa_exception_fp_ieee_underflow 0
		.amdhsa_exception_fp_ieee_inexact 0
		.amdhsa_exception_int_div_zero 0
	.end_amdhsa_kernel
	.section	.text._ZN7rocprim17ROCPRIM_400000_NS6detail17trampoline_kernelINS0_13select_configILj256ELj13ELNS0_17block_load_methodE3ELS4_3ELS4_3ELNS0_20block_scan_algorithmE0ELj4294967295EEENS1_25partition_config_selectorILNS1_17partition_subalgoE4EjNS0_10empty_typeEbEEZZNS1_14partition_implILS8_4ELb0ES6_15HIP_vector_typeIjLj2EENS0_17counting_iteratorIjlEEPS9_SG_NS0_5tupleIJPjSI_NS0_16reverse_iteratorISI_EEEEENSH_IJSG_SG_SG_EEES9_SI_JZNS1_25segmented_radix_sort_implINS0_14default_configELb0EPKfPfPKlPlN2at6native12_GLOBAL__N_18offset_tEEE10hipError_tPvRmT1_PNSt15iterator_traitsIS12_E10value_typeET2_T3_PNS13_IS18_E10value_typeET4_jRbjT5_S1E_jjP12ihipStream_tbEUljE_ZNSN_ISO_Lb0ESQ_SR_ST_SU_SY_EESZ_S10_S11_S12_S16_S17_S18_S1B_S1C_jS1D_jS1E_S1E_jjS1G_bEUljE0_EEESZ_S10_S11_S18_S1C_S1E_T6_T7_T9_mT8_S1G_bDpT10_ENKUlT_T0_E_clISt17integral_constantIbLb1EES1T_IbLb0EEEEDaS1P_S1Q_EUlS1P_E_NS1_11comp_targetILNS1_3genE4ELNS1_11target_archE910ELNS1_3gpuE8ELNS1_3repE0EEENS1_30default_config_static_selectorELNS0_4arch9wavefront6targetE1EEEvS12_,"axG",@progbits,_ZN7rocprim17ROCPRIM_400000_NS6detail17trampoline_kernelINS0_13select_configILj256ELj13ELNS0_17block_load_methodE3ELS4_3ELS4_3ELNS0_20block_scan_algorithmE0ELj4294967295EEENS1_25partition_config_selectorILNS1_17partition_subalgoE4EjNS0_10empty_typeEbEEZZNS1_14partition_implILS8_4ELb0ES6_15HIP_vector_typeIjLj2EENS0_17counting_iteratorIjlEEPS9_SG_NS0_5tupleIJPjSI_NS0_16reverse_iteratorISI_EEEEENSH_IJSG_SG_SG_EEES9_SI_JZNS1_25segmented_radix_sort_implINS0_14default_configELb0EPKfPfPKlPlN2at6native12_GLOBAL__N_18offset_tEEE10hipError_tPvRmT1_PNSt15iterator_traitsIS12_E10value_typeET2_T3_PNS13_IS18_E10value_typeET4_jRbjT5_S1E_jjP12ihipStream_tbEUljE_ZNSN_ISO_Lb0ESQ_SR_ST_SU_SY_EESZ_S10_S11_S12_S16_S17_S18_S1B_S1C_jS1D_jS1E_S1E_jjS1G_bEUljE0_EEESZ_S10_S11_S18_S1C_S1E_T6_T7_T9_mT8_S1G_bDpT10_ENKUlT_T0_E_clISt17integral_constantIbLb1EES1T_IbLb0EEEEDaS1P_S1Q_EUlS1P_E_NS1_11comp_targetILNS1_3genE4ELNS1_11target_archE910ELNS1_3gpuE8ELNS1_3repE0EEENS1_30default_config_static_selectorELNS0_4arch9wavefront6targetE1EEEvS12_,comdat
.Lfunc_end1382:
	.size	_ZN7rocprim17ROCPRIM_400000_NS6detail17trampoline_kernelINS0_13select_configILj256ELj13ELNS0_17block_load_methodE3ELS4_3ELS4_3ELNS0_20block_scan_algorithmE0ELj4294967295EEENS1_25partition_config_selectorILNS1_17partition_subalgoE4EjNS0_10empty_typeEbEEZZNS1_14partition_implILS8_4ELb0ES6_15HIP_vector_typeIjLj2EENS0_17counting_iteratorIjlEEPS9_SG_NS0_5tupleIJPjSI_NS0_16reverse_iteratorISI_EEEEENSH_IJSG_SG_SG_EEES9_SI_JZNS1_25segmented_radix_sort_implINS0_14default_configELb0EPKfPfPKlPlN2at6native12_GLOBAL__N_18offset_tEEE10hipError_tPvRmT1_PNSt15iterator_traitsIS12_E10value_typeET2_T3_PNS13_IS18_E10value_typeET4_jRbjT5_S1E_jjP12ihipStream_tbEUljE_ZNSN_ISO_Lb0ESQ_SR_ST_SU_SY_EESZ_S10_S11_S12_S16_S17_S18_S1B_S1C_jS1D_jS1E_S1E_jjS1G_bEUljE0_EEESZ_S10_S11_S18_S1C_S1E_T6_T7_T9_mT8_S1G_bDpT10_ENKUlT_T0_E_clISt17integral_constantIbLb1EES1T_IbLb0EEEEDaS1P_S1Q_EUlS1P_E_NS1_11comp_targetILNS1_3genE4ELNS1_11target_archE910ELNS1_3gpuE8ELNS1_3repE0EEENS1_30default_config_static_selectorELNS0_4arch9wavefront6targetE1EEEvS12_, .Lfunc_end1382-_ZN7rocprim17ROCPRIM_400000_NS6detail17trampoline_kernelINS0_13select_configILj256ELj13ELNS0_17block_load_methodE3ELS4_3ELS4_3ELNS0_20block_scan_algorithmE0ELj4294967295EEENS1_25partition_config_selectorILNS1_17partition_subalgoE4EjNS0_10empty_typeEbEEZZNS1_14partition_implILS8_4ELb0ES6_15HIP_vector_typeIjLj2EENS0_17counting_iteratorIjlEEPS9_SG_NS0_5tupleIJPjSI_NS0_16reverse_iteratorISI_EEEEENSH_IJSG_SG_SG_EEES9_SI_JZNS1_25segmented_radix_sort_implINS0_14default_configELb0EPKfPfPKlPlN2at6native12_GLOBAL__N_18offset_tEEE10hipError_tPvRmT1_PNSt15iterator_traitsIS12_E10value_typeET2_T3_PNS13_IS18_E10value_typeET4_jRbjT5_S1E_jjP12ihipStream_tbEUljE_ZNSN_ISO_Lb0ESQ_SR_ST_SU_SY_EESZ_S10_S11_S12_S16_S17_S18_S1B_S1C_jS1D_jS1E_S1E_jjS1G_bEUljE0_EEESZ_S10_S11_S18_S1C_S1E_T6_T7_T9_mT8_S1G_bDpT10_ENKUlT_T0_E_clISt17integral_constantIbLb1EES1T_IbLb0EEEEDaS1P_S1Q_EUlS1P_E_NS1_11comp_targetILNS1_3genE4ELNS1_11target_archE910ELNS1_3gpuE8ELNS1_3repE0EEENS1_30default_config_static_selectorELNS0_4arch9wavefront6targetE1EEEvS12_
                                        ; -- End function
	.set _ZN7rocprim17ROCPRIM_400000_NS6detail17trampoline_kernelINS0_13select_configILj256ELj13ELNS0_17block_load_methodE3ELS4_3ELS4_3ELNS0_20block_scan_algorithmE0ELj4294967295EEENS1_25partition_config_selectorILNS1_17partition_subalgoE4EjNS0_10empty_typeEbEEZZNS1_14partition_implILS8_4ELb0ES6_15HIP_vector_typeIjLj2EENS0_17counting_iteratorIjlEEPS9_SG_NS0_5tupleIJPjSI_NS0_16reverse_iteratorISI_EEEEENSH_IJSG_SG_SG_EEES9_SI_JZNS1_25segmented_radix_sort_implINS0_14default_configELb0EPKfPfPKlPlN2at6native12_GLOBAL__N_18offset_tEEE10hipError_tPvRmT1_PNSt15iterator_traitsIS12_E10value_typeET2_T3_PNS13_IS18_E10value_typeET4_jRbjT5_S1E_jjP12ihipStream_tbEUljE_ZNSN_ISO_Lb0ESQ_SR_ST_SU_SY_EESZ_S10_S11_S12_S16_S17_S18_S1B_S1C_jS1D_jS1E_S1E_jjS1G_bEUljE0_EEESZ_S10_S11_S18_S1C_S1E_T6_T7_T9_mT8_S1G_bDpT10_ENKUlT_T0_E_clISt17integral_constantIbLb1EES1T_IbLb0EEEEDaS1P_S1Q_EUlS1P_E_NS1_11comp_targetILNS1_3genE4ELNS1_11target_archE910ELNS1_3gpuE8ELNS1_3repE0EEENS1_30default_config_static_selectorELNS0_4arch9wavefront6targetE1EEEvS12_.num_vgpr, 0
	.set _ZN7rocprim17ROCPRIM_400000_NS6detail17trampoline_kernelINS0_13select_configILj256ELj13ELNS0_17block_load_methodE3ELS4_3ELS4_3ELNS0_20block_scan_algorithmE0ELj4294967295EEENS1_25partition_config_selectorILNS1_17partition_subalgoE4EjNS0_10empty_typeEbEEZZNS1_14partition_implILS8_4ELb0ES6_15HIP_vector_typeIjLj2EENS0_17counting_iteratorIjlEEPS9_SG_NS0_5tupleIJPjSI_NS0_16reverse_iteratorISI_EEEEENSH_IJSG_SG_SG_EEES9_SI_JZNS1_25segmented_radix_sort_implINS0_14default_configELb0EPKfPfPKlPlN2at6native12_GLOBAL__N_18offset_tEEE10hipError_tPvRmT1_PNSt15iterator_traitsIS12_E10value_typeET2_T3_PNS13_IS18_E10value_typeET4_jRbjT5_S1E_jjP12ihipStream_tbEUljE_ZNSN_ISO_Lb0ESQ_SR_ST_SU_SY_EESZ_S10_S11_S12_S16_S17_S18_S1B_S1C_jS1D_jS1E_S1E_jjS1G_bEUljE0_EEESZ_S10_S11_S18_S1C_S1E_T6_T7_T9_mT8_S1G_bDpT10_ENKUlT_T0_E_clISt17integral_constantIbLb1EES1T_IbLb0EEEEDaS1P_S1Q_EUlS1P_E_NS1_11comp_targetILNS1_3genE4ELNS1_11target_archE910ELNS1_3gpuE8ELNS1_3repE0EEENS1_30default_config_static_selectorELNS0_4arch9wavefront6targetE1EEEvS12_.num_agpr, 0
	.set _ZN7rocprim17ROCPRIM_400000_NS6detail17trampoline_kernelINS0_13select_configILj256ELj13ELNS0_17block_load_methodE3ELS4_3ELS4_3ELNS0_20block_scan_algorithmE0ELj4294967295EEENS1_25partition_config_selectorILNS1_17partition_subalgoE4EjNS0_10empty_typeEbEEZZNS1_14partition_implILS8_4ELb0ES6_15HIP_vector_typeIjLj2EENS0_17counting_iteratorIjlEEPS9_SG_NS0_5tupleIJPjSI_NS0_16reverse_iteratorISI_EEEEENSH_IJSG_SG_SG_EEES9_SI_JZNS1_25segmented_radix_sort_implINS0_14default_configELb0EPKfPfPKlPlN2at6native12_GLOBAL__N_18offset_tEEE10hipError_tPvRmT1_PNSt15iterator_traitsIS12_E10value_typeET2_T3_PNS13_IS18_E10value_typeET4_jRbjT5_S1E_jjP12ihipStream_tbEUljE_ZNSN_ISO_Lb0ESQ_SR_ST_SU_SY_EESZ_S10_S11_S12_S16_S17_S18_S1B_S1C_jS1D_jS1E_S1E_jjS1G_bEUljE0_EEESZ_S10_S11_S18_S1C_S1E_T6_T7_T9_mT8_S1G_bDpT10_ENKUlT_T0_E_clISt17integral_constantIbLb1EES1T_IbLb0EEEEDaS1P_S1Q_EUlS1P_E_NS1_11comp_targetILNS1_3genE4ELNS1_11target_archE910ELNS1_3gpuE8ELNS1_3repE0EEENS1_30default_config_static_selectorELNS0_4arch9wavefront6targetE1EEEvS12_.numbered_sgpr, 0
	.set _ZN7rocprim17ROCPRIM_400000_NS6detail17trampoline_kernelINS0_13select_configILj256ELj13ELNS0_17block_load_methodE3ELS4_3ELS4_3ELNS0_20block_scan_algorithmE0ELj4294967295EEENS1_25partition_config_selectorILNS1_17partition_subalgoE4EjNS0_10empty_typeEbEEZZNS1_14partition_implILS8_4ELb0ES6_15HIP_vector_typeIjLj2EENS0_17counting_iteratorIjlEEPS9_SG_NS0_5tupleIJPjSI_NS0_16reverse_iteratorISI_EEEEENSH_IJSG_SG_SG_EEES9_SI_JZNS1_25segmented_radix_sort_implINS0_14default_configELb0EPKfPfPKlPlN2at6native12_GLOBAL__N_18offset_tEEE10hipError_tPvRmT1_PNSt15iterator_traitsIS12_E10value_typeET2_T3_PNS13_IS18_E10value_typeET4_jRbjT5_S1E_jjP12ihipStream_tbEUljE_ZNSN_ISO_Lb0ESQ_SR_ST_SU_SY_EESZ_S10_S11_S12_S16_S17_S18_S1B_S1C_jS1D_jS1E_S1E_jjS1G_bEUljE0_EEESZ_S10_S11_S18_S1C_S1E_T6_T7_T9_mT8_S1G_bDpT10_ENKUlT_T0_E_clISt17integral_constantIbLb1EES1T_IbLb0EEEEDaS1P_S1Q_EUlS1P_E_NS1_11comp_targetILNS1_3genE4ELNS1_11target_archE910ELNS1_3gpuE8ELNS1_3repE0EEENS1_30default_config_static_selectorELNS0_4arch9wavefront6targetE1EEEvS12_.num_named_barrier, 0
	.set _ZN7rocprim17ROCPRIM_400000_NS6detail17trampoline_kernelINS0_13select_configILj256ELj13ELNS0_17block_load_methodE3ELS4_3ELS4_3ELNS0_20block_scan_algorithmE0ELj4294967295EEENS1_25partition_config_selectorILNS1_17partition_subalgoE4EjNS0_10empty_typeEbEEZZNS1_14partition_implILS8_4ELb0ES6_15HIP_vector_typeIjLj2EENS0_17counting_iteratorIjlEEPS9_SG_NS0_5tupleIJPjSI_NS0_16reverse_iteratorISI_EEEEENSH_IJSG_SG_SG_EEES9_SI_JZNS1_25segmented_radix_sort_implINS0_14default_configELb0EPKfPfPKlPlN2at6native12_GLOBAL__N_18offset_tEEE10hipError_tPvRmT1_PNSt15iterator_traitsIS12_E10value_typeET2_T3_PNS13_IS18_E10value_typeET4_jRbjT5_S1E_jjP12ihipStream_tbEUljE_ZNSN_ISO_Lb0ESQ_SR_ST_SU_SY_EESZ_S10_S11_S12_S16_S17_S18_S1B_S1C_jS1D_jS1E_S1E_jjS1G_bEUljE0_EEESZ_S10_S11_S18_S1C_S1E_T6_T7_T9_mT8_S1G_bDpT10_ENKUlT_T0_E_clISt17integral_constantIbLb1EES1T_IbLb0EEEEDaS1P_S1Q_EUlS1P_E_NS1_11comp_targetILNS1_3genE4ELNS1_11target_archE910ELNS1_3gpuE8ELNS1_3repE0EEENS1_30default_config_static_selectorELNS0_4arch9wavefront6targetE1EEEvS12_.private_seg_size, 0
	.set _ZN7rocprim17ROCPRIM_400000_NS6detail17trampoline_kernelINS0_13select_configILj256ELj13ELNS0_17block_load_methodE3ELS4_3ELS4_3ELNS0_20block_scan_algorithmE0ELj4294967295EEENS1_25partition_config_selectorILNS1_17partition_subalgoE4EjNS0_10empty_typeEbEEZZNS1_14partition_implILS8_4ELb0ES6_15HIP_vector_typeIjLj2EENS0_17counting_iteratorIjlEEPS9_SG_NS0_5tupleIJPjSI_NS0_16reverse_iteratorISI_EEEEENSH_IJSG_SG_SG_EEES9_SI_JZNS1_25segmented_radix_sort_implINS0_14default_configELb0EPKfPfPKlPlN2at6native12_GLOBAL__N_18offset_tEEE10hipError_tPvRmT1_PNSt15iterator_traitsIS12_E10value_typeET2_T3_PNS13_IS18_E10value_typeET4_jRbjT5_S1E_jjP12ihipStream_tbEUljE_ZNSN_ISO_Lb0ESQ_SR_ST_SU_SY_EESZ_S10_S11_S12_S16_S17_S18_S1B_S1C_jS1D_jS1E_S1E_jjS1G_bEUljE0_EEESZ_S10_S11_S18_S1C_S1E_T6_T7_T9_mT8_S1G_bDpT10_ENKUlT_T0_E_clISt17integral_constantIbLb1EES1T_IbLb0EEEEDaS1P_S1Q_EUlS1P_E_NS1_11comp_targetILNS1_3genE4ELNS1_11target_archE910ELNS1_3gpuE8ELNS1_3repE0EEENS1_30default_config_static_selectorELNS0_4arch9wavefront6targetE1EEEvS12_.uses_vcc, 0
	.set _ZN7rocprim17ROCPRIM_400000_NS6detail17trampoline_kernelINS0_13select_configILj256ELj13ELNS0_17block_load_methodE3ELS4_3ELS4_3ELNS0_20block_scan_algorithmE0ELj4294967295EEENS1_25partition_config_selectorILNS1_17partition_subalgoE4EjNS0_10empty_typeEbEEZZNS1_14partition_implILS8_4ELb0ES6_15HIP_vector_typeIjLj2EENS0_17counting_iteratorIjlEEPS9_SG_NS0_5tupleIJPjSI_NS0_16reverse_iteratorISI_EEEEENSH_IJSG_SG_SG_EEES9_SI_JZNS1_25segmented_radix_sort_implINS0_14default_configELb0EPKfPfPKlPlN2at6native12_GLOBAL__N_18offset_tEEE10hipError_tPvRmT1_PNSt15iterator_traitsIS12_E10value_typeET2_T3_PNS13_IS18_E10value_typeET4_jRbjT5_S1E_jjP12ihipStream_tbEUljE_ZNSN_ISO_Lb0ESQ_SR_ST_SU_SY_EESZ_S10_S11_S12_S16_S17_S18_S1B_S1C_jS1D_jS1E_S1E_jjS1G_bEUljE0_EEESZ_S10_S11_S18_S1C_S1E_T6_T7_T9_mT8_S1G_bDpT10_ENKUlT_T0_E_clISt17integral_constantIbLb1EES1T_IbLb0EEEEDaS1P_S1Q_EUlS1P_E_NS1_11comp_targetILNS1_3genE4ELNS1_11target_archE910ELNS1_3gpuE8ELNS1_3repE0EEENS1_30default_config_static_selectorELNS0_4arch9wavefront6targetE1EEEvS12_.uses_flat_scratch, 0
	.set _ZN7rocprim17ROCPRIM_400000_NS6detail17trampoline_kernelINS0_13select_configILj256ELj13ELNS0_17block_load_methodE3ELS4_3ELS4_3ELNS0_20block_scan_algorithmE0ELj4294967295EEENS1_25partition_config_selectorILNS1_17partition_subalgoE4EjNS0_10empty_typeEbEEZZNS1_14partition_implILS8_4ELb0ES6_15HIP_vector_typeIjLj2EENS0_17counting_iteratorIjlEEPS9_SG_NS0_5tupleIJPjSI_NS0_16reverse_iteratorISI_EEEEENSH_IJSG_SG_SG_EEES9_SI_JZNS1_25segmented_radix_sort_implINS0_14default_configELb0EPKfPfPKlPlN2at6native12_GLOBAL__N_18offset_tEEE10hipError_tPvRmT1_PNSt15iterator_traitsIS12_E10value_typeET2_T3_PNS13_IS18_E10value_typeET4_jRbjT5_S1E_jjP12ihipStream_tbEUljE_ZNSN_ISO_Lb0ESQ_SR_ST_SU_SY_EESZ_S10_S11_S12_S16_S17_S18_S1B_S1C_jS1D_jS1E_S1E_jjS1G_bEUljE0_EEESZ_S10_S11_S18_S1C_S1E_T6_T7_T9_mT8_S1G_bDpT10_ENKUlT_T0_E_clISt17integral_constantIbLb1EES1T_IbLb0EEEEDaS1P_S1Q_EUlS1P_E_NS1_11comp_targetILNS1_3genE4ELNS1_11target_archE910ELNS1_3gpuE8ELNS1_3repE0EEENS1_30default_config_static_selectorELNS0_4arch9wavefront6targetE1EEEvS12_.has_dyn_sized_stack, 0
	.set _ZN7rocprim17ROCPRIM_400000_NS6detail17trampoline_kernelINS0_13select_configILj256ELj13ELNS0_17block_load_methodE3ELS4_3ELS4_3ELNS0_20block_scan_algorithmE0ELj4294967295EEENS1_25partition_config_selectorILNS1_17partition_subalgoE4EjNS0_10empty_typeEbEEZZNS1_14partition_implILS8_4ELb0ES6_15HIP_vector_typeIjLj2EENS0_17counting_iteratorIjlEEPS9_SG_NS0_5tupleIJPjSI_NS0_16reverse_iteratorISI_EEEEENSH_IJSG_SG_SG_EEES9_SI_JZNS1_25segmented_radix_sort_implINS0_14default_configELb0EPKfPfPKlPlN2at6native12_GLOBAL__N_18offset_tEEE10hipError_tPvRmT1_PNSt15iterator_traitsIS12_E10value_typeET2_T3_PNS13_IS18_E10value_typeET4_jRbjT5_S1E_jjP12ihipStream_tbEUljE_ZNSN_ISO_Lb0ESQ_SR_ST_SU_SY_EESZ_S10_S11_S12_S16_S17_S18_S1B_S1C_jS1D_jS1E_S1E_jjS1G_bEUljE0_EEESZ_S10_S11_S18_S1C_S1E_T6_T7_T9_mT8_S1G_bDpT10_ENKUlT_T0_E_clISt17integral_constantIbLb1EES1T_IbLb0EEEEDaS1P_S1Q_EUlS1P_E_NS1_11comp_targetILNS1_3genE4ELNS1_11target_archE910ELNS1_3gpuE8ELNS1_3repE0EEENS1_30default_config_static_selectorELNS0_4arch9wavefront6targetE1EEEvS12_.has_recursion, 0
	.set _ZN7rocprim17ROCPRIM_400000_NS6detail17trampoline_kernelINS0_13select_configILj256ELj13ELNS0_17block_load_methodE3ELS4_3ELS4_3ELNS0_20block_scan_algorithmE0ELj4294967295EEENS1_25partition_config_selectorILNS1_17partition_subalgoE4EjNS0_10empty_typeEbEEZZNS1_14partition_implILS8_4ELb0ES6_15HIP_vector_typeIjLj2EENS0_17counting_iteratorIjlEEPS9_SG_NS0_5tupleIJPjSI_NS0_16reverse_iteratorISI_EEEEENSH_IJSG_SG_SG_EEES9_SI_JZNS1_25segmented_radix_sort_implINS0_14default_configELb0EPKfPfPKlPlN2at6native12_GLOBAL__N_18offset_tEEE10hipError_tPvRmT1_PNSt15iterator_traitsIS12_E10value_typeET2_T3_PNS13_IS18_E10value_typeET4_jRbjT5_S1E_jjP12ihipStream_tbEUljE_ZNSN_ISO_Lb0ESQ_SR_ST_SU_SY_EESZ_S10_S11_S12_S16_S17_S18_S1B_S1C_jS1D_jS1E_S1E_jjS1G_bEUljE0_EEESZ_S10_S11_S18_S1C_S1E_T6_T7_T9_mT8_S1G_bDpT10_ENKUlT_T0_E_clISt17integral_constantIbLb1EES1T_IbLb0EEEEDaS1P_S1Q_EUlS1P_E_NS1_11comp_targetILNS1_3genE4ELNS1_11target_archE910ELNS1_3gpuE8ELNS1_3repE0EEENS1_30default_config_static_selectorELNS0_4arch9wavefront6targetE1EEEvS12_.has_indirect_call, 0
	.section	.AMDGPU.csdata,"",@progbits
; Kernel info:
; codeLenInByte = 0
; TotalNumSgprs: 4
; NumVgprs: 0
; ScratchSize: 0
; MemoryBound: 0
; FloatMode: 240
; IeeeMode: 1
; LDSByteSize: 0 bytes/workgroup (compile time only)
; SGPRBlocks: 0
; VGPRBlocks: 0
; NumSGPRsForWavesPerEU: 4
; NumVGPRsForWavesPerEU: 1
; Occupancy: 10
; WaveLimiterHint : 0
; COMPUTE_PGM_RSRC2:SCRATCH_EN: 0
; COMPUTE_PGM_RSRC2:USER_SGPR: 6
; COMPUTE_PGM_RSRC2:TRAP_HANDLER: 0
; COMPUTE_PGM_RSRC2:TGID_X_EN: 1
; COMPUTE_PGM_RSRC2:TGID_Y_EN: 0
; COMPUTE_PGM_RSRC2:TGID_Z_EN: 0
; COMPUTE_PGM_RSRC2:TIDIG_COMP_CNT: 0
	.section	.text._ZN7rocprim17ROCPRIM_400000_NS6detail17trampoline_kernelINS0_13select_configILj256ELj13ELNS0_17block_load_methodE3ELS4_3ELS4_3ELNS0_20block_scan_algorithmE0ELj4294967295EEENS1_25partition_config_selectorILNS1_17partition_subalgoE4EjNS0_10empty_typeEbEEZZNS1_14partition_implILS8_4ELb0ES6_15HIP_vector_typeIjLj2EENS0_17counting_iteratorIjlEEPS9_SG_NS0_5tupleIJPjSI_NS0_16reverse_iteratorISI_EEEEENSH_IJSG_SG_SG_EEES9_SI_JZNS1_25segmented_radix_sort_implINS0_14default_configELb0EPKfPfPKlPlN2at6native12_GLOBAL__N_18offset_tEEE10hipError_tPvRmT1_PNSt15iterator_traitsIS12_E10value_typeET2_T3_PNS13_IS18_E10value_typeET4_jRbjT5_S1E_jjP12ihipStream_tbEUljE_ZNSN_ISO_Lb0ESQ_SR_ST_SU_SY_EESZ_S10_S11_S12_S16_S17_S18_S1B_S1C_jS1D_jS1E_S1E_jjS1G_bEUljE0_EEESZ_S10_S11_S18_S1C_S1E_T6_T7_T9_mT8_S1G_bDpT10_ENKUlT_T0_E_clISt17integral_constantIbLb1EES1T_IbLb0EEEEDaS1P_S1Q_EUlS1P_E_NS1_11comp_targetILNS1_3genE3ELNS1_11target_archE908ELNS1_3gpuE7ELNS1_3repE0EEENS1_30default_config_static_selectorELNS0_4arch9wavefront6targetE1EEEvS12_,"axG",@progbits,_ZN7rocprim17ROCPRIM_400000_NS6detail17trampoline_kernelINS0_13select_configILj256ELj13ELNS0_17block_load_methodE3ELS4_3ELS4_3ELNS0_20block_scan_algorithmE0ELj4294967295EEENS1_25partition_config_selectorILNS1_17partition_subalgoE4EjNS0_10empty_typeEbEEZZNS1_14partition_implILS8_4ELb0ES6_15HIP_vector_typeIjLj2EENS0_17counting_iteratorIjlEEPS9_SG_NS0_5tupleIJPjSI_NS0_16reverse_iteratorISI_EEEEENSH_IJSG_SG_SG_EEES9_SI_JZNS1_25segmented_radix_sort_implINS0_14default_configELb0EPKfPfPKlPlN2at6native12_GLOBAL__N_18offset_tEEE10hipError_tPvRmT1_PNSt15iterator_traitsIS12_E10value_typeET2_T3_PNS13_IS18_E10value_typeET4_jRbjT5_S1E_jjP12ihipStream_tbEUljE_ZNSN_ISO_Lb0ESQ_SR_ST_SU_SY_EESZ_S10_S11_S12_S16_S17_S18_S1B_S1C_jS1D_jS1E_S1E_jjS1G_bEUljE0_EEESZ_S10_S11_S18_S1C_S1E_T6_T7_T9_mT8_S1G_bDpT10_ENKUlT_T0_E_clISt17integral_constantIbLb1EES1T_IbLb0EEEEDaS1P_S1Q_EUlS1P_E_NS1_11comp_targetILNS1_3genE3ELNS1_11target_archE908ELNS1_3gpuE7ELNS1_3repE0EEENS1_30default_config_static_selectorELNS0_4arch9wavefront6targetE1EEEvS12_,comdat
	.globl	_ZN7rocprim17ROCPRIM_400000_NS6detail17trampoline_kernelINS0_13select_configILj256ELj13ELNS0_17block_load_methodE3ELS4_3ELS4_3ELNS0_20block_scan_algorithmE0ELj4294967295EEENS1_25partition_config_selectorILNS1_17partition_subalgoE4EjNS0_10empty_typeEbEEZZNS1_14partition_implILS8_4ELb0ES6_15HIP_vector_typeIjLj2EENS0_17counting_iteratorIjlEEPS9_SG_NS0_5tupleIJPjSI_NS0_16reverse_iteratorISI_EEEEENSH_IJSG_SG_SG_EEES9_SI_JZNS1_25segmented_radix_sort_implINS0_14default_configELb0EPKfPfPKlPlN2at6native12_GLOBAL__N_18offset_tEEE10hipError_tPvRmT1_PNSt15iterator_traitsIS12_E10value_typeET2_T3_PNS13_IS18_E10value_typeET4_jRbjT5_S1E_jjP12ihipStream_tbEUljE_ZNSN_ISO_Lb0ESQ_SR_ST_SU_SY_EESZ_S10_S11_S12_S16_S17_S18_S1B_S1C_jS1D_jS1E_S1E_jjS1G_bEUljE0_EEESZ_S10_S11_S18_S1C_S1E_T6_T7_T9_mT8_S1G_bDpT10_ENKUlT_T0_E_clISt17integral_constantIbLb1EES1T_IbLb0EEEEDaS1P_S1Q_EUlS1P_E_NS1_11comp_targetILNS1_3genE3ELNS1_11target_archE908ELNS1_3gpuE7ELNS1_3repE0EEENS1_30default_config_static_selectorELNS0_4arch9wavefront6targetE1EEEvS12_ ; -- Begin function _ZN7rocprim17ROCPRIM_400000_NS6detail17trampoline_kernelINS0_13select_configILj256ELj13ELNS0_17block_load_methodE3ELS4_3ELS4_3ELNS0_20block_scan_algorithmE0ELj4294967295EEENS1_25partition_config_selectorILNS1_17partition_subalgoE4EjNS0_10empty_typeEbEEZZNS1_14partition_implILS8_4ELb0ES6_15HIP_vector_typeIjLj2EENS0_17counting_iteratorIjlEEPS9_SG_NS0_5tupleIJPjSI_NS0_16reverse_iteratorISI_EEEEENSH_IJSG_SG_SG_EEES9_SI_JZNS1_25segmented_radix_sort_implINS0_14default_configELb0EPKfPfPKlPlN2at6native12_GLOBAL__N_18offset_tEEE10hipError_tPvRmT1_PNSt15iterator_traitsIS12_E10value_typeET2_T3_PNS13_IS18_E10value_typeET4_jRbjT5_S1E_jjP12ihipStream_tbEUljE_ZNSN_ISO_Lb0ESQ_SR_ST_SU_SY_EESZ_S10_S11_S12_S16_S17_S18_S1B_S1C_jS1D_jS1E_S1E_jjS1G_bEUljE0_EEESZ_S10_S11_S18_S1C_S1E_T6_T7_T9_mT8_S1G_bDpT10_ENKUlT_T0_E_clISt17integral_constantIbLb1EES1T_IbLb0EEEEDaS1P_S1Q_EUlS1P_E_NS1_11comp_targetILNS1_3genE3ELNS1_11target_archE908ELNS1_3gpuE7ELNS1_3repE0EEENS1_30default_config_static_selectorELNS0_4arch9wavefront6targetE1EEEvS12_
	.p2align	8
	.type	_ZN7rocprim17ROCPRIM_400000_NS6detail17trampoline_kernelINS0_13select_configILj256ELj13ELNS0_17block_load_methodE3ELS4_3ELS4_3ELNS0_20block_scan_algorithmE0ELj4294967295EEENS1_25partition_config_selectorILNS1_17partition_subalgoE4EjNS0_10empty_typeEbEEZZNS1_14partition_implILS8_4ELb0ES6_15HIP_vector_typeIjLj2EENS0_17counting_iteratorIjlEEPS9_SG_NS0_5tupleIJPjSI_NS0_16reverse_iteratorISI_EEEEENSH_IJSG_SG_SG_EEES9_SI_JZNS1_25segmented_radix_sort_implINS0_14default_configELb0EPKfPfPKlPlN2at6native12_GLOBAL__N_18offset_tEEE10hipError_tPvRmT1_PNSt15iterator_traitsIS12_E10value_typeET2_T3_PNS13_IS18_E10value_typeET4_jRbjT5_S1E_jjP12ihipStream_tbEUljE_ZNSN_ISO_Lb0ESQ_SR_ST_SU_SY_EESZ_S10_S11_S12_S16_S17_S18_S1B_S1C_jS1D_jS1E_S1E_jjS1G_bEUljE0_EEESZ_S10_S11_S18_S1C_S1E_T6_T7_T9_mT8_S1G_bDpT10_ENKUlT_T0_E_clISt17integral_constantIbLb1EES1T_IbLb0EEEEDaS1P_S1Q_EUlS1P_E_NS1_11comp_targetILNS1_3genE3ELNS1_11target_archE908ELNS1_3gpuE7ELNS1_3repE0EEENS1_30default_config_static_selectorELNS0_4arch9wavefront6targetE1EEEvS12_,@function
_ZN7rocprim17ROCPRIM_400000_NS6detail17trampoline_kernelINS0_13select_configILj256ELj13ELNS0_17block_load_methodE3ELS4_3ELS4_3ELNS0_20block_scan_algorithmE0ELj4294967295EEENS1_25partition_config_selectorILNS1_17partition_subalgoE4EjNS0_10empty_typeEbEEZZNS1_14partition_implILS8_4ELb0ES6_15HIP_vector_typeIjLj2EENS0_17counting_iteratorIjlEEPS9_SG_NS0_5tupleIJPjSI_NS0_16reverse_iteratorISI_EEEEENSH_IJSG_SG_SG_EEES9_SI_JZNS1_25segmented_radix_sort_implINS0_14default_configELb0EPKfPfPKlPlN2at6native12_GLOBAL__N_18offset_tEEE10hipError_tPvRmT1_PNSt15iterator_traitsIS12_E10value_typeET2_T3_PNS13_IS18_E10value_typeET4_jRbjT5_S1E_jjP12ihipStream_tbEUljE_ZNSN_ISO_Lb0ESQ_SR_ST_SU_SY_EESZ_S10_S11_S12_S16_S17_S18_S1B_S1C_jS1D_jS1E_S1E_jjS1G_bEUljE0_EEESZ_S10_S11_S18_S1C_S1E_T6_T7_T9_mT8_S1G_bDpT10_ENKUlT_T0_E_clISt17integral_constantIbLb1EES1T_IbLb0EEEEDaS1P_S1Q_EUlS1P_E_NS1_11comp_targetILNS1_3genE3ELNS1_11target_archE908ELNS1_3gpuE7ELNS1_3repE0EEENS1_30default_config_static_selectorELNS0_4arch9wavefront6targetE1EEEvS12_: ; @_ZN7rocprim17ROCPRIM_400000_NS6detail17trampoline_kernelINS0_13select_configILj256ELj13ELNS0_17block_load_methodE3ELS4_3ELS4_3ELNS0_20block_scan_algorithmE0ELj4294967295EEENS1_25partition_config_selectorILNS1_17partition_subalgoE4EjNS0_10empty_typeEbEEZZNS1_14partition_implILS8_4ELb0ES6_15HIP_vector_typeIjLj2EENS0_17counting_iteratorIjlEEPS9_SG_NS0_5tupleIJPjSI_NS0_16reverse_iteratorISI_EEEEENSH_IJSG_SG_SG_EEES9_SI_JZNS1_25segmented_radix_sort_implINS0_14default_configELb0EPKfPfPKlPlN2at6native12_GLOBAL__N_18offset_tEEE10hipError_tPvRmT1_PNSt15iterator_traitsIS12_E10value_typeET2_T3_PNS13_IS18_E10value_typeET4_jRbjT5_S1E_jjP12ihipStream_tbEUljE_ZNSN_ISO_Lb0ESQ_SR_ST_SU_SY_EESZ_S10_S11_S12_S16_S17_S18_S1B_S1C_jS1D_jS1E_S1E_jjS1G_bEUljE0_EEESZ_S10_S11_S18_S1C_S1E_T6_T7_T9_mT8_S1G_bDpT10_ENKUlT_T0_E_clISt17integral_constantIbLb1EES1T_IbLb0EEEEDaS1P_S1Q_EUlS1P_E_NS1_11comp_targetILNS1_3genE3ELNS1_11target_archE908ELNS1_3gpuE7ELNS1_3repE0EEENS1_30default_config_static_selectorELNS0_4arch9wavefront6targetE1EEEvS12_
; %bb.0:
	.section	.rodata,"a",@progbits
	.p2align	6, 0x0
	.amdhsa_kernel _ZN7rocprim17ROCPRIM_400000_NS6detail17trampoline_kernelINS0_13select_configILj256ELj13ELNS0_17block_load_methodE3ELS4_3ELS4_3ELNS0_20block_scan_algorithmE0ELj4294967295EEENS1_25partition_config_selectorILNS1_17partition_subalgoE4EjNS0_10empty_typeEbEEZZNS1_14partition_implILS8_4ELb0ES6_15HIP_vector_typeIjLj2EENS0_17counting_iteratorIjlEEPS9_SG_NS0_5tupleIJPjSI_NS0_16reverse_iteratorISI_EEEEENSH_IJSG_SG_SG_EEES9_SI_JZNS1_25segmented_radix_sort_implINS0_14default_configELb0EPKfPfPKlPlN2at6native12_GLOBAL__N_18offset_tEEE10hipError_tPvRmT1_PNSt15iterator_traitsIS12_E10value_typeET2_T3_PNS13_IS18_E10value_typeET4_jRbjT5_S1E_jjP12ihipStream_tbEUljE_ZNSN_ISO_Lb0ESQ_SR_ST_SU_SY_EESZ_S10_S11_S12_S16_S17_S18_S1B_S1C_jS1D_jS1E_S1E_jjS1G_bEUljE0_EEESZ_S10_S11_S18_S1C_S1E_T6_T7_T9_mT8_S1G_bDpT10_ENKUlT_T0_E_clISt17integral_constantIbLb1EES1T_IbLb0EEEEDaS1P_S1Q_EUlS1P_E_NS1_11comp_targetILNS1_3genE3ELNS1_11target_archE908ELNS1_3gpuE7ELNS1_3repE0EEENS1_30default_config_static_selectorELNS0_4arch9wavefront6targetE1EEEvS12_
		.amdhsa_group_segment_fixed_size 0
		.amdhsa_private_segment_fixed_size 0
		.amdhsa_kernarg_size 176
		.amdhsa_user_sgpr_count 6
		.amdhsa_user_sgpr_private_segment_buffer 1
		.amdhsa_user_sgpr_dispatch_ptr 0
		.amdhsa_user_sgpr_queue_ptr 0
		.amdhsa_user_sgpr_kernarg_segment_ptr 1
		.amdhsa_user_sgpr_dispatch_id 0
		.amdhsa_user_sgpr_flat_scratch_init 0
		.amdhsa_user_sgpr_private_segment_size 0
		.amdhsa_uses_dynamic_stack 0
		.amdhsa_system_sgpr_private_segment_wavefront_offset 0
		.amdhsa_system_sgpr_workgroup_id_x 1
		.amdhsa_system_sgpr_workgroup_id_y 0
		.amdhsa_system_sgpr_workgroup_id_z 0
		.amdhsa_system_sgpr_workgroup_info 0
		.amdhsa_system_vgpr_workitem_id 0
		.amdhsa_next_free_vgpr 1
		.amdhsa_next_free_sgpr 0
		.amdhsa_reserve_vcc 0
		.amdhsa_reserve_flat_scratch 0
		.amdhsa_float_round_mode_32 0
		.amdhsa_float_round_mode_16_64 0
		.amdhsa_float_denorm_mode_32 3
		.amdhsa_float_denorm_mode_16_64 3
		.amdhsa_dx10_clamp 1
		.amdhsa_ieee_mode 1
		.amdhsa_fp16_overflow 0
		.amdhsa_exception_fp_ieee_invalid_op 0
		.amdhsa_exception_fp_denorm_src 0
		.amdhsa_exception_fp_ieee_div_zero 0
		.amdhsa_exception_fp_ieee_overflow 0
		.amdhsa_exception_fp_ieee_underflow 0
		.amdhsa_exception_fp_ieee_inexact 0
		.amdhsa_exception_int_div_zero 0
	.end_amdhsa_kernel
	.section	.text._ZN7rocprim17ROCPRIM_400000_NS6detail17trampoline_kernelINS0_13select_configILj256ELj13ELNS0_17block_load_methodE3ELS4_3ELS4_3ELNS0_20block_scan_algorithmE0ELj4294967295EEENS1_25partition_config_selectorILNS1_17partition_subalgoE4EjNS0_10empty_typeEbEEZZNS1_14partition_implILS8_4ELb0ES6_15HIP_vector_typeIjLj2EENS0_17counting_iteratorIjlEEPS9_SG_NS0_5tupleIJPjSI_NS0_16reverse_iteratorISI_EEEEENSH_IJSG_SG_SG_EEES9_SI_JZNS1_25segmented_radix_sort_implINS0_14default_configELb0EPKfPfPKlPlN2at6native12_GLOBAL__N_18offset_tEEE10hipError_tPvRmT1_PNSt15iterator_traitsIS12_E10value_typeET2_T3_PNS13_IS18_E10value_typeET4_jRbjT5_S1E_jjP12ihipStream_tbEUljE_ZNSN_ISO_Lb0ESQ_SR_ST_SU_SY_EESZ_S10_S11_S12_S16_S17_S18_S1B_S1C_jS1D_jS1E_S1E_jjS1G_bEUljE0_EEESZ_S10_S11_S18_S1C_S1E_T6_T7_T9_mT8_S1G_bDpT10_ENKUlT_T0_E_clISt17integral_constantIbLb1EES1T_IbLb0EEEEDaS1P_S1Q_EUlS1P_E_NS1_11comp_targetILNS1_3genE3ELNS1_11target_archE908ELNS1_3gpuE7ELNS1_3repE0EEENS1_30default_config_static_selectorELNS0_4arch9wavefront6targetE1EEEvS12_,"axG",@progbits,_ZN7rocprim17ROCPRIM_400000_NS6detail17trampoline_kernelINS0_13select_configILj256ELj13ELNS0_17block_load_methodE3ELS4_3ELS4_3ELNS0_20block_scan_algorithmE0ELj4294967295EEENS1_25partition_config_selectorILNS1_17partition_subalgoE4EjNS0_10empty_typeEbEEZZNS1_14partition_implILS8_4ELb0ES6_15HIP_vector_typeIjLj2EENS0_17counting_iteratorIjlEEPS9_SG_NS0_5tupleIJPjSI_NS0_16reverse_iteratorISI_EEEEENSH_IJSG_SG_SG_EEES9_SI_JZNS1_25segmented_radix_sort_implINS0_14default_configELb0EPKfPfPKlPlN2at6native12_GLOBAL__N_18offset_tEEE10hipError_tPvRmT1_PNSt15iterator_traitsIS12_E10value_typeET2_T3_PNS13_IS18_E10value_typeET4_jRbjT5_S1E_jjP12ihipStream_tbEUljE_ZNSN_ISO_Lb0ESQ_SR_ST_SU_SY_EESZ_S10_S11_S12_S16_S17_S18_S1B_S1C_jS1D_jS1E_S1E_jjS1G_bEUljE0_EEESZ_S10_S11_S18_S1C_S1E_T6_T7_T9_mT8_S1G_bDpT10_ENKUlT_T0_E_clISt17integral_constantIbLb1EES1T_IbLb0EEEEDaS1P_S1Q_EUlS1P_E_NS1_11comp_targetILNS1_3genE3ELNS1_11target_archE908ELNS1_3gpuE7ELNS1_3repE0EEENS1_30default_config_static_selectorELNS0_4arch9wavefront6targetE1EEEvS12_,comdat
.Lfunc_end1383:
	.size	_ZN7rocprim17ROCPRIM_400000_NS6detail17trampoline_kernelINS0_13select_configILj256ELj13ELNS0_17block_load_methodE3ELS4_3ELS4_3ELNS0_20block_scan_algorithmE0ELj4294967295EEENS1_25partition_config_selectorILNS1_17partition_subalgoE4EjNS0_10empty_typeEbEEZZNS1_14partition_implILS8_4ELb0ES6_15HIP_vector_typeIjLj2EENS0_17counting_iteratorIjlEEPS9_SG_NS0_5tupleIJPjSI_NS0_16reverse_iteratorISI_EEEEENSH_IJSG_SG_SG_EEES9_SI_JZNS1_25segmented_radix_sort_implINS0_14default_configELb0EPKfPfPKlPlN2at6native12_GLOBAL__N_18offset_tEEE10hipError_tPvRmT1_PNSt15iterator_traitsIS12_E10value_typeET2_T3_PNS13_IS18_E10value_typeET4_jRbjT5_S1E_jjP12ihipStream_tbEUljE_ZNSN_ISO_Lb0ESQ_SR_ST_SU_SY_EESZ_S10_S11_S12_S16_S17_S18_S1B_S1C_jS1D_jS1E_S1E_jjS1G_bEUljE0_EEESZ_S10_S11_S18_S1C_S1E_T6_T7_T9_mT8_S1G_bDpT10_ENKUlT_T0_E_clISt17integral_constantIbLb1EES1T_IbLb0EEEEDaS1P_S1Q_EUlS1P_E_NS1_11comp_targetILNS1_3genE3ELNS1_11target_archE908ELNS1_3gpuE7ELNS1_3repE0EEENS1_30default_config_static_selectorELNS0_4arch9wavefront6targetE1EEEvS12_, .Lfunc_end1383-_ZN7rocprim17ROCPRIM_400000_NS6detail17trampoline_kernelINS0_13select_configILj256ELj13ELNS0_17block_load_methodE3ELS4_3ELS4_3ELNS0_20block_scan_algorithmE0ELj4294967295EEENS1_25partition_config_selectorILNS1_17partition_subalgoE4EjNS0_10empty_typeEbEEZZNS1_14partition_implILS8_4ELb0ES6_15HIP_vector_typeIjLj2EENS0_17counting_iteratorIjlEEPS9_SG_NS0_5tupleIJPjSI_NS0_16reverse_iteratorISI_EEEEENSH_IJSG_SG_SG_EEES9_SI_JZNS1_25segmented_radix_sort_implINS0_14default_configELb0EPKfPfPKlPlN2at6native12_GLOBAL__N_18offset_tEEE10hipError_tPvRmT1_PNSt15iterator_traitsIS12_E10value_typeET2_T3_PNS13_IS18_E10value_typeET4_jRbjT5_S1E_jjP12ihipStream_tbEUljE_ZNSN_ISO_Lb0ESQ_SR_ST_SU_SY_EESZ_S10_S11_S12_S16_S17_S18_S1B_S1C_jS1D_jS1E_S1E_jjS1G_bEUljE0_EEESZ_S10_S11_S18_S1C_S1E_T6_T7_T9_mT8_S1G_bDpT10_ENKUlT_T0_E_clISt17integral_constantIbLb1EES1T_IbLb0EEEEDaS1P_S1Q_EUlS1P_E_NS1_11comp_targetILNS1_3genE3ELNS1_11target_archE908ELNS1_3gpuE7ELNS1_3repE0EEENS1_30default_config_static_selectorELNS0_4arch9wavefront6targetE1EEEvS12_
                                        ; -- End function
	.set _ZN7rocprim17ROCPRIM_400000_NS6detail17trampoline_kernelINS0_13select_configILj256ELj13ELNS0_17block_load_methodE3ELS4_3ELS4_3ELNS0_20block_scan_algorithmE0ELj4294967295EEENS1_25partition_config_selectorILNS1_17partition_subalgoE4EjNS0_10empty_typeEbEEZZNS1_14partition_implILS8_4ELb0ES6_15HIP_vector_typeIjLj2EENS0_17counting_iteratorIjlEEPS9_SG_NS0_5tupleIJPjSI_NS0_16reverse_iteratorISI_EEEEENSH_IJSG_SG_SG_EEES9_SI_JZNS1_25segmented_radix_sort_implINS0_14default_configELb0EPKfPfPKlPlN2at6native12_GLOBAL__N_18offset_tEEE10hipError_tPvRmT1_PNSt15iterator_traitsIS12_E10value_typeET2_T3_PNS13_IS18_E10value_typeET4_jRbjT5_S1E_jjP12ihipStream_tbEUljE_ZNSN_ISO_Lb0ESQ_SR_ST_SU_SY_EESZ_S10_S11_S12_S16_S17_S18_S1B_S1C_jS1D_jS1E_S1E_jjS1G_bEUljE0_EEESZ_S10_S11_S18_S1C_S1E_T6_T7_T9_mT8_S1G_bDpT10_ENKUlT_T0_E_clISt17integral_constantIbLb1EES1T_IbLb0EEEEDaS1P_S1Q_EUlS1P_E_NS1_11comp_targetILNS1_3genE3ELNS1_11target_archE908ELNS1_3gpuE7ELNS1_3repE0EEENS1_30default_config_static_selectorELNS0_4arch9wavefront6targetE1EEEvS12_.num_vgpr, 0
	.set _ZN7rocprim17ROCPRIM_400000_NS6detail17trampoline_kernelINS0_13select_configILj256ELj13ELNS0_17block_load_methodE3ELS4_3ELS4_3ELNS0_20block_scan_algorithmE0ELj4294967295EEENS1_25partition_config_selectorILNS1_17partition_subalgoE4EjNS0_10empty_typeEbEEZZNS1_14partition_implILS8_4ELb0ES6_15HIP_vector_typeIjLj2EENS0_17counting_iteratorIjlEEPS9_SG_NS0_5tupleIJPjSI_NS0_16reverse_iteratorISI_EEEEENSH_IJSG_SG_SG_EEES9_SI_JZNS1_25segmented_radix_sort_implINS0_14default_configELb0EPKfPfPKlPlN2at6native12_GLOBAL__N_18offset_tEEE10hipError_tPvRmT1_PNSt15iterator_traitsIS12_E10value_typeET2_T3_PNS13_IS18_E10value_typeET4_jRbjT5_S1E_jjP12ihipStream_tbEUljE_ZNSN_ISO_Lb0ESQ_SR_ST_SU_SY_EESZ_S10_S11_S12_S16_S17_S18_S1B_S1C_jS1D_jS1E_S1E_jjS1G_bEUljE0_EEESZ_S10_S11_S18_S1C_S1E_T6_T7_T9_mT8_S1G_bDpT10_ENKUlT_T0_E_clISt17integral_constantIbLb1EES1T_IbLb0EEEEDaS1P_S1Q_EUlS1P_E_NS1_11comp_targetILNS1_3genE3ELNS1_11target_archE908ELNS1_3gpuE7ELNS1_3repE0EEENS1_30default_config_static_selectorELNS0_4arch9wavefront6targetE1EEEvS12_.num_agpr, 0
	.set _ZN7rocprim17ROCPRIM_400000_NS6detail17trampoline_kernelINS0_13select_configILj256ELj13ELNS0_17block_load_methodE3ELS4_3ELS4_3ELNS0_20block_scan_algorithmE0ELj4294967295EEENS1_25partition_config_selectorILNS1_17partition_subalgoE4EjNS0_10empty_typeEbEEZZNS1_14partition_implILS8_4ELb0ES6_15HIP_vector_typeIjLj2EENS0_17counting_iteratorIjlEEPS9_SG_NS0_5tupleIJPjSI_NS0_16reverse_iteratorISI_EEEEENSH_IJSG_SG_SG_EEES9_SI_JZNS1_25segmented_radix_sort_implINS0_14default_configELb0EPKfPfPKlPlN2at6native12_GLOBAL__N_18offset_tEEE10hipError_tPvRmT1_PNSt15iterator_traitsIS12_E10value_typeET2_T3_PNS13_IS18_E10value_typeET4_jRbjT5_S1E_jjP12ihipStream_tbEUljE_ZNSN_ISO_Lb0ESQ_SR_ST_SU_SY_EESZ_S10_S11_S12_S16_S17_S18_S1B_S1C_jS1D_jS1E_S1E_jjS1G_bEUljE0_EEESZ_S10_S11_S18_S1C_S1E_T6_T7_T9_mT8_S1G_bDpT10_ENKUlT_T0_E_clISt17integral_constantIbLb1EES1T_IbLb0EEEEDaS1P_S1Q_EUlS1P_E_NS1_11comp_targetILNS1_3genE3ELNS1_11target_archE908ELNS1_3gpuE7ELNS1_3repE0EEENS1_30default_config_static_selectorELNS0_4arch9wavefront6targetE1EEEvS12_.numbered_sgpr, 0
	.set _ZN7rocprim17ROCPRIM_400000_NS6detail17trampoline_kernelINS0_13select_configILj256ELj13ELNS0_17block_load_methodE3ELS4_3ELS4_3ELNS0_20block_scan_algorithmE0ELj4294967295EEENS1_25partition_config_selectorILNS1_17partition_subalgoE4EjNS0_10empty_typeEbEEZZNS1_14partition_implILS8_4ELb0ES6_15HIP_vector_typeIjLj2EENS0_17counting_iteratorIjlEEPS9_SG_NS0_5tupleIJPjSI_NS0_16reverse_iteratorISI_EEEEENSH_IJSG_SG_SG_EEES9_SI_JZNS1_25segmented_radix_sort_implINS0_14default_configELb0EPKfPfPKlPlN2at6native12_GLOBAL__N_18offset_tEEE10hipError_tPvRmT1_PNSt15iterator_traitsIS12_E10value_typeET2_T3_PNS13_IS18_E10value_typeET4_jRbjT5_S1E_jjP12ihipStream_tbEUljE_ZNSN_ISO_Lb0ESQ_SR_ST_SU_SY_EESZ_S10_S11_S12_S16_S17_S18_S1B_S1C_jS1D_jS1E_S1E_jjS1G_bEUljE0_EEESZ_S10_S11_S18_S1C_S1E_T6_T7_T9_mT8_S1G_bDpT10_ENKUlT_T0_E_clISt17integral_constantIbLb1EES1T_IbLb0EEEEDaS1P_S1Q_EUlS1P_E_NS1_11comp_targetILNS1_3genE3ELNS1_11target_archE908ELNS1_3gpuE7ELNS1_3repE0EEENS1_30default_config_static_selectorELNS0_4arch9wavefront6targetE1EEEvS12_.num_named_barrier, 0
	.set _ZN7rocprim17ROCPRIM_400000_NS6detail17trampoline_kernelINS0_13select_configILj256ELj13ELNS0_17block_load_methodE3ELS4_3ELS4_3ELNS0_20block_scan_algorithmE0ELj4294967295EEENS1_25partition_config_selectorILNS1_17partition_subalgoE4EjNS0_10empty_typeEbEEZZNS1_14partition_implILS8_4ELb0ES6_15HIP_vector_typeIjLj2EENS0_17counting_iteratorIjlEEPS9_SG_NS0_5tupleIJPjSI_NS0_16reverse_iteratorISI_EEEEENSH_IJSG_SG_SG_EEES9_SI_JZNS1_25segmented_radix_sort_implINS0_14default_configELb0EPKfPfPKlPlN2at6native12_GLOBAL__N_18offset_tEEE10hipError_tPvRmT1_PNSt15iterator_traitsIS12_E10value_typeET2_T3_PNS13_IS18_E10value_typeET4_jRbjT5_S1E_jjP12ihipStream_tbEUljE_ZNSN_ISO_Lb0ESQ_SR_ST_SU_SY_EESZ_S10_S11_S12_S16_S17_S18_S1B_S1C_jS1D_jS1E_S1E_jjS1G_bEUljE0_EEESZ_S10_S11_S18_S1C_S1E_T6_T7_T9_mT8_S1G_bDpT10_ENKUlT_T0_E_clISt17integral_constantIbLb1EES1T_IbLb0EEEEDaS1P_S1Q_EUlS1P_E_NS1_11comp_targetILNS1_3genE3ELNS1_11target_archE908ELNS1_3gpuE7ELNS1_3repE0EEENS1_30default_config_static_selectorELNS0_4arch9wavefront6targetE1EEEvS12_.private_seg_size, 0
	.set _ZN7rocprim17ROCPRIM_400000_NS6detail17trampoline_kernelINS0_13select_configILj256ELj13ELNS0_17block_load_methodE3ELS4_3ELS4_3ELNS0_20block_scan_algorithmE0ELj4294967295EEENS1_25partition_config_selectorILNS1_17partition_subalgoE4EjNS0_10empty_typeEbEEZZNS1_14partition_implILS8_4ELb0ES6_15HIP_vector_typeIjLj2EENS0_17counting_iteratorIjlEEPS9_SG_NS0_5tupleIJPjSI_NS0_16reverse_iteratorISI_EEEEENSH_IJSG_SG_SG_EEES9_SI_JZNS1_25segmented_radix_sort_implINS0_14default_configELb0EPKfPfPKlPlN2at6native12_GLOBAL__N_18offset_tEEE10hipError_tPvRmT1_PNSt15iterator_traitsIS12_E10value_typeET2_T3_PNS13_IS18_E10value_typeET4_jRbjT5_S1E_jjP12ihipStream_tbEUljE_ZNSN_ISO_Lb0ESQ_SR_ST_SU_SY_EESZ_S10_S11_S12_S16_S17_S18_S1B_S1C_jS1D_jS1E_S1E_jjS1G_bEUljE0_EEESZ_S10_S11_S18_S1C_S1E_T6_T7_T9_mT8_S1G_bDpT10_ENKUlT_T0_E_clISt17integral_constantIbLb1EES1T_IbLb0EEEEDaS1P_S1Q_EUlS1P_E_NS1_11comp_targetILNS1_3genE3ELNS1_11target_archE908ELNS1_3gpuE7ELNS1_3repE0EEENS1_30default_config_static_selectorELNS0_4arch9wavefront6targetE1EEEvS12_.uses_vcc, 0
	.set _ZN7rocprim17ROCPRIM_400000_NS6detail17trampoline_kernelINS0_13select_configILj256ELj13ELNS0_17block_load_methodE3ELS4_3ELS4_3ELNS0_20block_scan_algorithmE0ELj4294967295EEENS1_25partition_config_selectorILNS1_17partition_subalgoE4EjNS0_10empty_typeEbEEZZNS1_14partition_implILS8_4ELb0ES6_15HIP_vector_typeIjLj2EENS0_17counting_iteratorIjlEEPS9_SG_NS0_5tupleIJPjSI_NS0_16reverse_iteratorISI_EEEEENSH_IJSG_SG_SG_EEES9_SI_JZNS1_25segmented_radix_sort_implINS0_14default_configELb0EPKfPfPKlPlN2at6native12_GLOBAL__N_18offset_tEEE10hipError_tPvRmT1_PNSt15iterator_traitsIS12_E10value_typeET2_T3_PNS13_IS18_E10value_typeET4_jRbjT5_S1E_jjP12ihipStream_tbEUljE_ZNSN_ISO_Lb0ESQ_SR_ST_SU_SY_EESZ_S10_S11_S12_S16_S17_S18_S1B_S1C_jS1D_jS1E_S1E_jjS1G_bEUljE0_EEESZ_S10_S11_S18_S1C_S1E_T6_T7_T9_mT8_S1G_bDpT10_ENKUlT_T0_E_clISt17integral_constantIbLb1EES1T_IbLb0EEEEDaS1P_S1Q_EUlS1P_E_NS1_11comp_targetILNS1_3genE3ELNS1_11target_archE908ELNS1_3gpuE7ELNS1_3repE0EEENS1_30default_config_static_selectorELNS0_4arch9wavefront6targetE1EEEvS12_.uses_flat_scratch, 0
	.set _ZN7rocprim17ROCPRIM_400000_NS6detail17trampoline_kernelINS0_13select_configILj256ELj13ELNS0_17block_load_methodE3ELS4_3ELS4_3ELNS0_20block_scan_algorithmE0ELj4294967295EEENS1_25partition_config_selectorILNS1_17partition_subalgoE4EjNS0_10empty_typeEbEEZZNS1_14partition_implILS8_4ELb0ES6_15HIP_vector_typeIjLj2EENS0_17counting_iteratorIjlEEPS9_SG_NS0_5tupleIJPjSI_NS0_16reverse_iteratorISI_EEEEENSH_IJSG_SG_SG_EEES9_SI_JZNS1_25segmented_radix_sort_implINS0_14default_configELb0EPKfPfPKlPlN2at6native12_GLOBAL__N_18offset_tEEE10hipError_tPvRmT1_PNSt15iterator_traitsIS12_E10value_typeET2_T3_PNS13_IS18_E10value_typeET4_jRbjT5_S1E_jjP12ihipStream_tbEUljE_ZNSN_ISO_Lb0ESQ_SR_ST_SU_SY_EESZ_S10_S11_S12_S16_S17_S18_S1B_S1C_jS1D_jS1E_S1E_jjS1G_bEUljE0_EEESZ_S10_S11_S18_S1C_S1E_T6_T7_T9_mT8_S1G_bDpT10_ENKUlT_T0_E_clISt17integral_constantIbLb1EES1T_IbLb0EEEEDaS1P_S1Q_EUlS1P_E_NS1_11comp_targetILNS1_3genE3ELNS1_11target_archE908ELNS1_3gpuE7ELNS1_3repE0EEENS1_30default_config_static_selectorELNS0_4arch9wavefront6targetE1EEEvS12_.has_dyn_sized_stack, 0
	.set _ZN7rocprim17ROCPRIM_400000_NS6detail17trampoline_kernelINS0_13select_configILj256ELj13ELNS0_17block_load_methodE3ELS4_3ELS4_3ELNS0_20block_scan_algorithmE0ELj4294967295EEENS1_25partition_config_selectorILNS1_17partition_subalgoE4EjNS0_10empty_typeEbEEZZNS1_14partition_implILS8_4ELb0ES6_15HIP_vector_typeIjLj2EENS0_17counting_iteratorIjlEEPS9_SG_NS0_5tupleIJPjSI_NS0_16reverse_iteratorISI_EEEEENSH_IJSG_SG_SG_EEES9_SI_JZNS1_25segmented_radix_sort_implINS0_14default_configELb0EPKfPfPKlPlN2at6native12_GLOBAL__N_18offset_tEEE10hipError_tPvRmT1_PNSt15iterator_traitsIS12_E10value_typeET2_T3_PNS13_IS18_E10value_typeET4_jRbjT5_S1E_jjP12ihipStream_tbEUljE_ZNSN_ISO_Lb0ESQ_SR_ST_SU_SY_EESZ_S10_S11_S12_S16_S17_S18_S1B_S1C_jS1D_jS1E_S1E_jjS1G_bEUljE0_EEESZ_S10_S11_S18_S1C_S1E_T6_T7_T9_mT8_S1G_bDpT10_ENKUlT_T0_E_clISt17integral_constantIbLb1EES1T_IbLb0EEEEDaS1P_S1Q_EUlS1P_E_NS1_11comp_targetILNS1_3genE3ELNS1_11target_archE908ELNS1_3gpuE7ELNS1_3repE0EEENS1_30default_config_static_selectorELNS0_4arch9wavefront6targetE1EEEvS12_.has_recursion, 0
	.set _ZN7rocprim17ROCPRIM_400000_NS6detail17trampoline_kernelINS0_13select_configILj256ELj13ELNS0_17block_load_methodE3ELS4_3ELS4_3ELNS0_20block_scan_algorithmE0ELj4294967295EEENS1_25partition_config_selectorILNS1_17partition_subalgoE4EjNS0_10empty_typeEbEEZZNS1_14partition_implILS8_4ELb0ES6_15HIP_vector_typeIjLj2EENS0_17counting_iteratorIjlEEPS9_SG_NS0_5tupleIJPjSI_NS0_16reverse_iteratorISI_EEEEENSH_IJSG_SG_SG_EEES9_SI_JZNS1_25segmented_radix_sort_implINS0_14default_configELb0EPKfPfPKlPlN2at6native12_GLOBAL__N_18offset_tEEE10hipError_tPvRmT1_PNSt15iterator_traitsIS12_E10value_typeET2_T3_PNS13_IS18_E10value_typeET4_jRbjT5_S1E_jjP12ihipStream_tbEUljE_ZNSN_ISO_Lb0ESQ_SR_ST_SU_SY_EESZ_S10_S11_S12_S16_S17_S18_S1B_S1C_jS1D_jS1E_S1E_jjS1G_bEUljE0_EEESZ_S10_S11_S18_S1C_S1E_T6_T7_T9_mT8_S1G_bDpT10_ENKUlT_T0_E_clISt17integral_constantIbLb1EES1T_IbLb0EEEEDaS1P_S1Q_EUlS1P_E_NS1_11comp_targetILNS1_3genE3ELNS1_11target_archE908ELNS1_3gpuE7ELNS1_3repE0EEENS1_30default_config_static_selectorELNS0_4arch9wavefront6targetE1EEEvS12_.has_indirect_call, 0
	.section	.AMDGPU.csdata,"",@progbits
; Kernel info:
; codeLenInByte = 0
; TotalNumSgprs: 4
; NumVgprs: 0
; ScratchSize: 0
; MemoryBound: 0
; FloatMode: 240
; IeeeMode: 1
; LDSByteSize: 0 bytes/workgroup (compile time only)
; SGPRBlocks: 0
; VGPRBlocks: 0
; NumSGPRsForWavesPerEU: 4
; NumVGPRsForWavesPerEU: 1
; Occupancy: 10
; WaveLimiterHint : 0
; COMPUTE_PGM_RSRC2:SCRATCH_EN: 0
; COMPUTE_PGM_RSRC2:USER_SGPR: 6
; COMPUTE_PGM_RSRC2:TRAP_HANDLER: 0
; COMPUTE_PGM_RSRC2:TGID_X_EN: 1
; COMPUTE_PGM_RSRC2:TGID_Y_EN: 0
; COMPUTE_PGM_RSRC2:TGID_Z_EN: 0
; COMPUTE_PGM_RSRC2:TIDIG_COMP_CNT: 0
	.section	.text._ZN7rocprim17ROCPRIM_400000_NS6detail17trampoline_kernelINS0_13select_configILj256ELj13ELNS0_17block_load_methodE3ELS4_3ELS4_3ELNS0_20block_scan_algorithmE0ELj4294967295EEENS1_25partition_config_selectorILNS1_17partition_subalgoE4EjNS0_10empty_typeEbEEZZNS1_14partition_implILS8_4ELb0ES6_15HIP_vector_typeIjLj2EENS0_17counting_iteratorIjlEEPS9_SG_NS0_5tupleIJPjSI_NS0_16reverse_iteratorISI_EEEEENSH_IJSG_SG_SG_EEES9_SI_JZNS1_25segmented_radix_sort_implINS0_14default_configELb0EPKfPfPKlPlN2at6native12_GLOBAL__N_18offset_tEEE10hipError_tPvRmT1_PNSt15iterator_traitsIS12_E10value_typeET2_T3_PNS13_IS18_E10value_typeET4_jRbjT5_S1E_jjP12ihipStream_tbEUljE_ZNSN_ISO_Lb0ESQ_SR_ST_SU_SY_EESZ_S10_S11_S12_S16_S17_S18_S1B_S1C_jS1D_jS1E_S1E_jjS1G_bEUljE0_EEESZ_S10_S11_S18_S1C_S1E_T6_T7_T9_mT8_S1G_bDpT10_ENKUlT_T0_E_clISt17integral_constantIbLb1EES1T_IbLb0EEEEDaS1P_S1Q_EUlS1P_E_NS1_11comp_targetILNS1_3genE2ELNS1_11target_archE906ELNS1_3gpuE6ELNS1_3repE0EEENS1_30default_config_static_selectorELNS0_4arch9wavefront6targetE1EEEvS12_,"axG",@progbits,_ZN7rocprim17ROCPRIM_400000_NS6detail17trampoline_kernelINS0_13select_configILj256ELj13ELNS0_17block_load_methodE3ELS4_3ELS4_3ELNS0_20block_scan_algorithmE0ELj4294967295EEENS1_25partition_config_selectorILNS1_17partition_subalgoE4EjNS0_10empty_typeEbEEZZNS1_14partition_implILS8_4ELb0ES6_15HIP_vector_typeIjLj2EENS0_17counting_iteratorIjlEEPS9_SG_NS0_5tupleIJPjSI_NS0_16reverse_iteratorISI_EEEEENSH_IJSG_SG_SG_EEES9_SI_JZNS1_25segmented_radix_sort_implINS0_14default_configELb0EPKfPfPKlPlN2at6native12_GLOBAL__N_18offset_tEEE10hipError_tPvRmT1_PNSt15iterator_traitsIS12_E10value_typeET2_T3_PNS13_IS18_E10value_typeET4_jRbjT5_S1E_jjP12ihipStream_tbEUljE_ZNSN_ISO_Lb0ESQ_SR_ST_SU_SY_EESZ_S10_S11_S12_S16_S17_S18_S1B_S1C_jS1D_jS1E_S1E_jjS1G_bEUljE0_EEESZ_S10_S11_S18_S1C_S1E_T6_T7_T9_mT8_S1G_bDpT10_ENKUlT_T0_E_clISt17integral_constantIbLb1EES1T_IbLb0EEEEDaS1P_S1Q_EUlS1P_E_NS1_11comp_targetILNS1_3genE2ELNS1_11target_archE906ELNS1_3gpuE6ELNS1_3repE0EEENS1_30default_config_static_selectorELNS0_4arch9wavefront6targetE1EEEvS12_,comdat
	.globl	_ZN7rocprim17ROCPRIM_400000_NS6detail17trampoline_kernelINS0_13select_configILj256ELj13ELNS0_17block_load_methodE3ELS4_3ELS4_3ELNS0_20block_scan_algorithmE0ELj4294967295EEENS1_25partition_config_selectorILNS1_17partition_subalgoE4EjNS0_10empty_typeEbEEZZNS1_14partition_implILS8_4ELb0ES6_15HIP_vector_typeIjLj2EENS0_17counting_iteratorIjlEEPS9_SG_NS0_5tupleIJPjSI_NS0_16reverse_iteratorISI_EEEEENSH_IJSG_SG_SG_EEES9_SI_JZNS1_25segmented_radix_sort_implINS0_14default_configELb0EPKfPfPKlPlN2at6native12_GLOBAL__N_18offset_tEEE10hipError_tPvRmT1_PNSt15iterator_traitsIS12_E10value_typeET2_T3_PNS13_IS18_E10value_typeET4_jRbjT5_S1E_jjP12ihipStream_tbEUljE_ZNSN_ISO_Lb0ESQ_SR_ST_SU_SY_EESZ_S10_S11_S12_S16_S17_S18_S1B_S1C_jS1D_jS1E_S1E_jjS1G_bEUljE0_EEESZ_S10_S11_S18_S1C_S1E_T6_T7_T9_mT8_S1G_bDpT10_ENKUlT_T0_E_clISt17integral_constantIbLb1EES1T_IbLb0EEEEDaS1P_S1Q_EUlS1P_E_NS1_11comp_targetILNS1_3genE2ELNS1_11target_archE906ELNS1_3gpuE6ELNS1_3repE0EEENS1_30default_config_static_selectorELNS0_4arch9wavefront6targetE1EEEvS12_ ; -- Begin function _ZN7rocprim17ROCPRIM_400000_NS6detail17trampoline_kernelINS0_13select_configILj256ELj13ELNS0_17block_load_methodE3ELS4_3ELS4_3ELNS0_20block_scan_algorithmE0ELj4294967295EEENS1_25partition_config_selectorILNS1_17partition_subalgoE4EjNS0_10empty_typeEbEEZZNS1_14partition_implILS8_4ELb0ES6_15HIP_vector_typeIjLj2EENS0_17counting_iteratorIjlEEPS9_SG_NS0_5tupleIJPjSI_NS0_16reverse_iteratorISI_EEEEENSH_IJSG_SG_SG_EEES9_SI_JZNS1_25segmented_radix_sort_implINS0_14default_configELb0EPKfPfPKlPlN2at6native12_GLOBAL__N_18offset_tEEE10hipError_tPvRmT1_PNSt15iterator_traitsIS12_E10value_typeET2_T3_PNS13_IS18_E10value_typeET4_jRbjT5_S1E_jjP12ihipStream_tbEUljE_ZNSN_ISO_Lb0ESQ_SR_ST_SU_SY_EESZ_S10_S11_S12_S16_S17_S18_S1B_S1C_jS1D_jS1E_S1E_jjS1G_bEUljE0_EEESZ_S10_S11_S18_S1C_S1E_T6_T7_T9_mT8_S1G_bDpT10_ENKUlT_T0_E_clISt17integral_constantIbLb1EES1T_IbLb0EEEEDaS1P_S1Q_EUlS1P_E_NS1_11comp_targetILNS1_3genE2ELNS1_11target_archE906ELNS1_3gpuE6ELNS1_3repE0EEENS1_30default_config_static_selectorELNS0_4arch9wavefront6targetE1EEEvS12_
	.p2align	8
	.type	_ZN7rocprim17ROCPRIM_400000_NS6detail17trampoline_kernelINS0_13select_configILj256ELj13ELNS0_17block_load_methodE3ELS4_3ELS4_3ELNS0_20block_scan_algorithmE0ELj4294967295EEENS1_25partition_config_selectorILNS1_17partition_subalgoE4EjNS0_10empty_typeEbEEZZNS1_14partition_implILS8_4ELb0ES6_15HIP_vector_typeIjLj2EENS0_17counting_iteratorIjlEEPS9_SG_NS0_5tupleIJPjSI_NS0_16reverse_iteratorISI_EEEEENSH_IJSG_SG_SG_EEES9_SI_JZNS1_25segmented_radix_sort_implINS0_14default_configELb0EPKfPfPKlPlN2at6native12_GLOBAL__N_18offset_tEEE10hipError_tPvRmT1_PNSt15iterator_traitsIS12_E10value_typeET2_T3_PNS13_IS18_E10value_typeET4_jRbjT5_S1E_jjP12ihipStream_tbEUljE_ZNSN_ISO_Lb0ESQ_SR_ST_SU_SY_EESZ_S10_S11_S12_S16_S17_S18_S1B_S1C_jS1D_jS1E_S1E_jjS1G_bEUljE0_EEESZ_S10_S11_S18_S1C_S1E_T6_T7_T9_mT8_S1G_bDpT10_ENKUlT_T0_E_clISt17integral_constantIbLb1EES1T_IbLb0EEEEDaS1P_S1Q_EUlS1P_E_NS1_11comp_targetILNS1_3genE2ELNS1_11target_archE906ELNS1_3gpuE6ELNS1_3repE0EEENS1_30default_config_static_selectorELNS0_4arch9wavefront6targetE1EEEvS12_,@function
_ZN7rocprim17ROCPRIM_400000_NS6detail17trampoline_kernelINS0_13select_configILj256ELj13ELNS0_17block_load_methodE3ELS4_3ELS4_3ELNS0_20block_scan_algorithmE0ELj4294967295EEENS1_25partition_config_selectorILNS1_17partition_subalgoE4EjNS0_10empty_typeEbEEZZNS1_14partition_implILS8_4ELb0ES6_15HIP_vector_typeIjLj2EENS0_17counting_iteratorIjlEEPS9_SG_NS0_5tupleIJPjSI_NS0_16reverse_iteratorISI_EEEEENSH_IJSG_SG_SG_EEES9_SI_JZNS1_25segmented_radix_sort_implINS0_14default_configELb0EPKfPfPKlPlN2at6native12_GLOBAL__N_18offset_tEEE10hipError_tPvRmT1_PNSt15iterator_traitsIS12_E10value_typeET2_T3_PNS13_IS18_E10value_typeET4_jRbjT5_S1E_jjP12ihipStream_tbEUljE_ZNSN_ISO_Lb0ESQ_SR_ST_SU_SY_EESZ_S10_S11_S12_S16_S17_S18_S1B_S1C_jS1D_jS1E_S1E_jjS1G_bEUljE0_EEESZ_S10_S11_S18_S1C_S1E_T6_T7_T9_mT8_S1G_bDpT10_ENKUlT_T0_E_clISt17integral_constantIbLb1EES1T_IbLb0EEEEDaS1P_S1Q_EUlS1P_E_NS1_11comp_targetILNS1_3genE2ELNS1_11target_archE906ELNS1_3gpuE6ELNS1_3repE0EEENS1_30default_config_static_selectorELNS0_4arch9wavefront6targetE1EEEvS12_: ; @_ZN7rocprim17ROCPRIM_400000_NS6detail17trampoline_kernelINS0_13select_configILj256ELj13ELNS0_17block_load_methodE3ELS4_3ELS4_3ELNS0_20block_scan_algorithmE0ELj4294967295EEENS1_25partition_config_selectorILNS1_17partition_subalgoE4EjNS0_10empty_typeEbEEZZNS1_14partition_implILS8_4ELb0ES6_15HIP_vector_typeIjLj2EENS0_17counting_iteratorIjlEEPS9_SG_NS0_5tupleIJPjSI_NS0_16reverse_iteratorISI_EEEEENSH_IJSG_SG_SG_EEES9_SI_JZNS1_25segmented_radix_sort_implINS0_14default_configELb0EPKfPfPKlPlN2at6native12_GLOBAL__N_18offset_tEEE10hipError_tPvRmT1_PNSt15iterator_traitsIS12_E10value_typeET2_T3_PNS13_IS18_E10value_typeET4_jRbjT5_S1E_jjP12ihipStream_tbEUljE_ZNSN_ISO_Lb0ESQ_SR_ST_SU_SY_EESZ_S10_S11_S12_S16_S17_S18_S1B_S1C_jS1D_jS1E_S1E_jjS1G_bEUljE0_EEESZ_S10_S11_S18_S1C_S1E_T6_T7_T9_mT8_S1G_bDpT10_ENKUlT_T0_E_clISt17integral_constantIbLb1EES1T_IbLb0EEEEDaS1P_S1Q_EUlS1P_E_NS1_11comp_targetILNS1_3genE2ELNS1_11target_archE906ELNS1_3gpuE6ELNS1_3repE0EEENS1_30default_config_static_selectorELNS0_4arch9wavefront6targetE1EEEvS12_
; %bb.0:
	s_endpgm
	.section	.rodata,"a",@progbits
	.p2align	6, 0x0
	.amdhsa_kernel _ZN7rocprim17ROCPRIM_400000_NS6detail17trampoline_kernelINS0_13select_configILj256ELj13ELNS0_17block_load_methodE3ELS4_3ELS4_3ELNS0_20block_scan_algorithmE0ELj4294967295EEENS1_25partition_config_selectorILNS1_17partition_subalgoE4EjNS0_10empty_typeEbEEZZNS1_14partition_implILS8_4ELb0ES6_15HIP_vector_typeIjLj2EENS0_17counting_iteratorIjlEEPS9_SG_NS0_5tupleIJPjSI_NS0_16reverse_iteratorISI_EEEEENSH_IJSG_SG_SG_EEES9_SI_JZNS1_25segmented_radix_sort_implINS0_14default_configELb0EPKfPfPKlPlN2at6native12_GLOBAL__N_18offset_tEEE10hipError_tPvRmT1_PNSt15iterator_traitsIS12_E10value_typeET2_T3_PNS13_IS18_E10value_typeET4_jRbjT5_S1E_jjP12ihipStream_tbEUljE_ZNSN_ISO_Lb0ESQ_SR_ST_SU_SY_EESZ_S10_S11_S12_S16_S17_S18_S1B_S1C_jS1D_jS1E_S1E_jjS1G_bEUljE0_EEESZ_S10_S11_S18_S1C_S1E_T6_T7_T9_mT8_S1G_bDpT10_ENKUlT_T0_E_clISt17integral_constantIbLb1EES1T_IbLb0EEEEDaS1P_S1Q_EUlS1P_E_NS1_11comp_targetILNS1_3genE2ELNS1_11target_archE906ELNS1_3gpuE6ELNS1_3repE0EEENS1_30default_config_static_selectorELNS0_4arch9wavefront6targetE1EEEvS12_
		.amdhsa_group_segment_fixed_size 0
		.amdhsa_private_segment_fixed_size 0
		.amdhsa_kernarg_size 176
		.amdhsa_user_sgpr_count 6
		.amdhsa_user_sgpr_private_segment_buffer 1
		.amdhsa_user_sgpr_dispatch_ptr 0
		.amdhsa_user_sgpr_queue_ptr 0
		.amdhsa_user_sgpr_kernarg_segment_ptr 1
		.amdhsa_user_sgpr_dispatch_id 0
		.amdhsa_user_sgpr_flat_scratch_init 0
		.amdhsa_user_sgpr_private_segment_size 0
		.amdhsa_uses_dynamic_stack 0
		.amdhsa_system_sgpr_private_segment_wavefront_offset 0
		.amdhsa_system_sgpr_workgroup_id_x 1
		.amdhsa_system_sgpr_workgroup_id_y 0
		.amdhsa_system_sgpr_workgroup_id_z 0
		.amdhsa_system_sgpr_workgroup_info 0
		.amdhsa_system_vgpr_workitem_id 0
		.amdhsa_next_free_vgpr 1
		.amdhsa_next_free_sgpr 0
		.amdhsa_reserve_vcc 0
		.amdhsa_reserve_flat_scratch 0
		.amdhsa_float_round_mode_32 0
		.amdhsa_float_round_mode_16_64 0
		.amdhsa_float_denorm_mode_32 3
		.amdhsa_float_denorm_mode_16_64 3
		.amdhsa_dx10_clamp 1
		.amdhsa_ieee_mode 1
		.amdhsa_fp16_overflow 0
		.amdhsa_exception_fp_ieee_invalid_op 0
		.amdhsa_exception_fp_denorm_src 0
		.amdhsa_exception_fp_ieee_div_zero 0
		.amdhsa_exception_fp_ieee_overflow 0
		.amdhsa_exception_fp_ieee_underflow 0
		.amdhsa_exception_fp_ieee_inexact 0
		.amdhsa_exception_int_div_zero 0
	.end_amdhsa_kernel
	.section	.text._ZN7rocprim17ROCPRIM_400000_NS6detail17trampoline_kernelINS0_13select_configILj256ELj13ELNS0_17block_load_methodE3ELS4_3ELS4_3ELNS0_20block_scan_algorithmE0ELj4294967295EEENS1_25partition_config_selectorILNS1_17partition_subalgoE4EjNS0_10empty_typeEbEEZZNS1_14partition_implILS8_4ELb0ES6_15HIP_vector_typeIjLj2EENS0_17counting_iteratorIjlEEPS9_SG_NS0_5tupleIJPjSI_NS0_16reverse_iteratorISI_EEEEENSH_IJSG_SG_SG_EEES9_SI_JZNS1_25segmented_radix_sort_implINS0_14default_configELb0EPKfPfPKlPlN2at6native12_GLOBAL__N_18offset_tEEE10hipError_tPvRmT1_PNSt15iterator_traitsIS12_E10value_typeET2_T3_PNS13_IS18_E10value_typeET4_jRbjT5_S1E_jjP12ihipStream_tbEUljE_ZNSN_ISO_Lb0ESQ_SR_ST_SU_SY_EESZ_S10_S11_S12_S16_S17_S18_S1B_S1C_jS1D_jS1E_S1E_jjS1G_bEUljE0_EEESZ_S10_S11_S18_S1C_S1E_T6_T7_T9_mT8_S1G_bDpT10_ENKUlT_T0_E_clISt17integral_constantIbLb1EES1T_IbLb0EEEEDaS1P_S1Q_EUlS1P_E_NS1_11comp_targetILNS1_3genE2ELNS1_11target_archE906ELNS1_3gpuE6ELNS1_3repE0EEENS1_30default_config_static_selectorELNS0_4arch9wavefront6targetE1EEEvS12_,"axG",@progbits,_ZN7rocprim17ROCPRIM_400000_NS6detail17trampoline_kernelINS0_13select_configILj256ELj13ELNS0_17block_load_methodE3ELS4_3ELS4_3ELNS0_20block_scan_algorithmE0ELj4294967295EEENS1_25partition_config_selectorILNS1_17partition_subalgoE4EjNS0_10empty_typeEbEEZZNS1_14partition_implILS8_4ELb0ES6_15HIP_vector_typeIjLj2EENS0_17counting_iteratorIjlEEPS9_SG_NS0_5tupleIJPjSI_NS0_16reverse_iteratorISI_EEEEENSH_IJSG_SG_SG_EEES9_SI_JZNS1_25segmented_radix_sort_implINS0_14default_configELb0EPKfPfPKlPlN2at6native12_GLOBAL__N_18offset_tEEE10hipError_tPvRmT1_PNSt15iterator_traitsIS12_E10value_typeET2_T3_PNS13_IS18_E10value_typeET4_jRbjT5_S1E_jjP12ihipStream_tbEUljE_ZNSN_ISO_Lb0ESQ_SR_ST_SU_SY_EESZ_S10_S11_S12_S16_S17_S18_S1B_S1C_jS1D_jS1E_S1E_jjS1G_bEUljE0_EEESZ_S10_S11_S18_S1C_S1E_T6_T7_T9_mT8_S1G_bDpT10_ENKUlT_T0_E_clISt17integral_constantIbLb1EES1T_IbLb0EEEEDaS1P_S1Q_EUlS1P_E_NS1_11comp_targetILNS1_3genE2ELNS1_11target_archE906ELNS1_3gpuE6ELNS1_3repE0EEENS1_30default_config_static_selectorELNS0_4arch9wavefront6targetE1EEEvS12_,comdat
.Lfunc_end1384:
	.size	_ZN7rocprim17ROCPRIM_400000_NS6detail17trampoline_kernelINS0_13select_configILj256ELj13ELNS0_17block_load_methodE3ELS4_3ELS4_3ELNS0_20block_scan_algorithmE0ELj4294967295EEENS1_25partition_config_selectorILNS1_17partition_subalgoE4EjNS0_10empty_typeEbEEZZNS1_14partition_implILS8_4ELb0ES6_15HIP_vector_typeIjLj2EENS0_17counting_iteratorIjlEEPS9_SG_NS0_5tupleIJPjSI_NS0_16reverse_iteratorISI_EEEEENSH_IJSG_SG_SG_EEES9_SI_JZNS1_25segmented_radix_sort_implINS0_14default_configELb0EPKfPfPKlPlN2at6native12_GLOBAL__N_18offset_tEEE10hipError_tPvRmT1_PNSt15iterator_traitsIS12_E10value_typeET2_T3_PNS13_IS18_E10value_typeET4_jRbjT5_S1E_jjP12ihipStream_tbEUljE_ZNSN_ISO_Lb0ESQ_SR_ST_SU_SY_EESZ_S10_S11_S12_S16_S17_S18_S1B_S1C_jS1D_jS1E_S1E_jjS1G_bEUljE0_EEESZ_S10_S11_S18_S1C_S1E_T6_T7_T9_mT8_S1G_bDpT10_ENKUlT_T0_E_clISt17integral_constantIbLb1EES1T_IbLb0EEEEDaS1P_S1Q_EUlS1P_E_NS1_11comp_targetILNS1_3genE2ELNS1_11target_archE906ELNS1_3gpuE6ELNS1_3repE0EEENS1_30default_config_static_selectorELNS0_4arch9wavefront6targetE1EEEvS12_, .Lfunc_end1384-_ZN7rocprim17ROCPRIM_400000_NS6detail17trampoline_kernelINS0_13select_configILj256ELj13ELNS0_17block_load_methodE3ELS4_3ELS4_3ELNS0_20block_scan_algorithmE0ELj4294967295EEENS1_25partition_config_selectorILNS1_17partition_subalgoE4EjNS0_10empty_typeEbEEZZNS1_14partition_implILS8_4ELb0ES6_15HIP_vector_typeIjLj2EENS0_17counting_iteratorIjlEEPS9_SG_NS0_5tupleIJPjSI_NS0_16reverse_iteratorISI_EEEEENSH_IJSG_SG_SG_EEES9_SI_JZNS1_25segmented_radix_sort_implINS0_14default_configELb0EPKfPfPKlPlN2at6native12_GLOBAL__N_18offset_tEEE10hipError_tPvRmT1_PNSt15iterator_traitsIS12_E10value_typeET2_T3_PNS13_IS18_E10value_typeET4_jRbjT5_S1E_jjP12ihipStream_tbEUljE_ZNSN_ISO_Lb0ESQ_SR_ST_SU_SY_EESZ_S10_S11_S12_S16_S17_S18_S1B_S1C_jS1D_jS1E_S1E_jjS1G_bEUljE0_EEESZ_S10_S11_S18_S1C_S1E_T6_T7_T9_mT8_S1G_bDpT10_ENKUlT_T0_E_clISt17integral_constantIbLb1EES1T_IbLb0EEEEDaS1P_S1Q_EUlS1P_E_NS1_11comp_targetILNS1_3genE2ELNS1_11target_archE906ELNS1_3gpuE6ELNS1_3repE0EEENS1_30default_config_static_selectorELNS0_4arch9wavefront6targetE1EEEvS12_
                                        ; -- End function
	.set _ZN7rocprim17ROCPRIM_400000_NS6detail17trampoline_kernelINS0_13select_configILj256ELj13ELNS0_17block_load_methodE3ELS4_3ELS4_3ELNS0_20block_scan_algorithmE0ELj4294967295EEENS1_25partition_config_selectorILNS1_17partition_subalgoE4EjNS0_10empty_typeEbEEZZNS1_14partition_implILS8_4ELb0ES6_15HIP_vector_typeIjLj2EENS0_17counting_iteratorIjlEEPS9_SG_NS0_5tupleIJPjSI_NS0_16reverse_iteratorISI_EEEEENSH_IJSG_SG_SG_EEES9_SI_JZNS1_25segmented_radix_sort_implINS0_14default_configELb0EPKfPfPKlPlN2at6native12_GLOBAL__N_18offset_tEEE10hipError_tPvRmT1_PNSt15iterator_traitsIS12_E10value_typeET2_T3_PNS13_IS18_E10value_typeET4_jRbjT5_S1E_jjP12ihipStream_tbEUljE_ZNSN_ISO_Lb0ESQ_SR_ST_SU_SY_EESZ_S10_S11_S12_S16_S17_S18_S1B_S1C_jS1D_jS1E_S1E_jjS1G_bEUljE0_EEESZ_S10_S11_S18_S1C_S1E_T6_T7_T9_mT8_S1G_bDpT10_ENKUlT_T0_E_clISt17integral_constantIbLb1EES1T_IbLb0EEEEDaS1P_S1Q_EUlS1P_E_NS1_11comp_targetILNS1_3genE2ELNS1_11target_archE906ELNS1_3gpuE6ELNS1_3repE0EEENS1_30default_config_static_selectorELNS0_4arch9wavefront6targetE1EEEvS12_.num_vgpr, 0
	.set _ZN7rocprim17ROCPRIM_400000_NS6detail17trampoline_kernelINS0_13select_configILj256ELj13ELNS0_17block_load_methodE3ELS4_3ELS4_3ELNS0_20block_scan_algorithmE0ELj4294967295EEENS1_25partition_config_selectorILNS1_17partition_subalgoE4EjNS0_10empty_typeEbEEZZNS1_14partition_implILS8_4ELb0ES6_15HIP_vector_typeIjLj2EENS0_17counting_iteratorIjlEEPS9_SG_NS0_5tupleIJPjSI_NS0_16reverse_iteratorISI_EEEEENSH_IJSG_SG_SG_EEES9_SI_JZNS1_25segmented_radix_sort_implINS0_14default_configELb0EPKfPfPKlPlN2at6native12_GLOBAL__N_18offset_tEEE10hipError_tPvRmT1_PNSt15iterator_traitsIS12_E10value_typeET2_T3_PNS13_IS18_E10value_typeET4_jRbjT5_S1E_jjP12ihipStream_tbEUljE_ZNSN_ISO_Lb0ESQ_SR_ST_SU_SY_EESZ_S10_S11_S12_S16_S17_S18_S1B_S1C_jS1D_jS1E_S1E_jjS1G_bEUljE0_EEESZ_S10_S11_S18_S1C_S1E_T6_T7_T9_mT8_S1G_bDpT10_ENKUlT_T0_E_clISt17integral_constantIbLb1EES1T_IbLb0EEEEDaS1P_S1Q_EUlS1P_E_NS1_11comp_targetILNS1_3genE2ELNS1_11target_archE906ELNS1_3gpuE6ELNS1_3repE0EEENS1_30default_config_static_selectorELNS0_4arch9wavefront6targetE1EEEvS12_.num_agpr, 0
	.set _ZN7rocprim17ROCPRIM_400000_NS6detail17trampoline_kernelINS0_13select_configILj256ELj13ELNS0_17block_load_methodE3ELS4_3ELS4_3ELNS0_20block_scan_algorithmE0ELj4294967295EEENS1_25partition_config_selectorILNS1_17partition_subalgoE4EjNS0_10empty_typeEbEEZZNS1_14partition_implILS8_4ELb0ES6_15HIP_vector_typeIjLj2EENS0_17counting_iteratorIjlEEPS9_SG_NS0_5tupleIJPjSI_NS0_16reverse_iteratorISI_EEEEENSH_IJSG_SG_SG_EEES9_SI_JZNS1_25segmented_radix_sort_implINS0_14default_configELb0EPKfPfPKlPlN2at6native12_GLOBAL__N_18offset_tEEE10hipError_tPvRmT1_PNSt15iterator_traitsIS12_E10value_typeET2_T3_PNS13_IS18_E10value_typeET4_jRbjT5_S1E_jjP12ihipStream_tbEUljE_ZNSN_ISO_Lb0ESQ_SR_ST_SU_SY_EESZ_S10_S11_S12_S16_S17_S18_S1B_S1C_jS1D_jS1E_S1E_jjS1G_bEUljE0_EEESZ_S10_S11_S18_S1C_S1E_T6_T7_T9_mT8_S1G_bDpT10_ENKUlT_T0_E_clISt17integral_constantIbLb1EES1T_IbLb0EEEEDaS1P_S1Q_EUlS1P_E_NS1_11comp_targetILNS1_3genE2ELNS1_11target_archE906ELNS1_3gpuE6ELNS1_3repE0EEENS1_30default_config_static_selectorELNS0_4arch9wavefront6targetE1EEEvS12_.numbered_sgpr, 0
	.set _ZN7rocprim17ROCPRIM_400000_NS6detail17trampoline_kernelINS0_13select_configILj256ELj13ELNS0_17block_load_methodE3ELS4_3ELS4_3ELNS0_20block_scan_algorithmE0ELj4294967295EEENS1_25partition_config_selectorILNS1_17partition_subalgoE4EjNS0_10empty_typeEbEEZZNS1_14partition_implILS8_4ELb0ES6_15HIP_vector_typeIjLj2EENS0_17counting_iteratorIjlEEPS9_SG_NS0_5tupleIJPjSI_NS0_16reverse_iteratorISI_EEEEENSH_IJSG_SG_SG_EEES9_SI_JZNS1_25segmented_radix_sort_implINS0_14default_configELb0EPKfPfPKlPlN2at6native12_GLOBAL__N_18offset_tEEE10hipError_tPvRmT1_PNSt15iterator_traitsIS12_E10value_typeET2_T3_PNS13_IS18_E10value_typeET4_jRbjT5_S1E_jjP12ihipStream_tbEUljE_ZNSN_ISO_Lb0ESQ_SR_ST_SU_SY_EESZ_S10_S11_S12_S16_S17_S18_S1B_S1C_jS1D_jS1E_S1E_jjS1G_bEUljE0_EEESZ_S10_S11_S18_S1C_S1E_T6_T7_T9_mT8_S1G_bDpT10_ENKUlT_T0_E_clISt17integral_constantIbLb1EES1T_IbLb0EEEEDaS1P_S1Q_EUlS1P_E_NS1_11comp_targetILNS1_3genE2ELNS1_11target_archE906ELNS1_3gpuE6ELNS1_3repE0EEENS1_30default_config_static_selectorELNS0_4arch9wavefront6targetE1EEEvS12_.num_named_barrier, 0
	.set _ZN7rocprim17ROCPRIM_400000_NS6detail17trampoline_kernelINS0_13select_configILj256ELj13ELNS0_17block_load_methodE3ELS4_3ELS4_3ELNS0_20block_scan_algorithmE0ELj4294967295EEENS1_25partition_config_selectorILNS1_17partition_subalgoE4EjNS0_10empty_typeEbEEZZNS1_14partition_implILS8_4ELb0ES6_15HIP_vector_typeIjLj2EENS0_17counting_iteratorIjlEEPS9_SG_NS0_5tupleIJPjSI_NS0_16reverse_iteratorISI_EEEEENSH_IJSG_SG_SG_EEES9_SI_JZNS1_25segmented_radix_sort_implINS0_14default_configELb0EPKfPfPKlPlN2at6native12_GLOBAL__N_18offset_tEEE10hipError_tPvRmT1_PNSt15iterator_traitsIS12_E10value_typeET2_T3_PNS13_IS18_E10value_typeET4_jRbjT5_S1E_jjP12ihipStream_tbEUljE_ZNSN_ISO_Lb0ESQ_SR_ST_SU_SY_EESZ_S10_S11_S12_S16_S17_S18_S1B_S1C_jS1D_jS1E_S1E_jjS1G_bEUljE0_EEESZ_S10_S11_S18_S1C_S1E_T6_T7_T9_mT8_S1G_bDpT10_ENKUlT_T0_E_clISt17integral_constantIbLb1EES1T_IbLb0EEEEDaS1P_S1Q_EUlS1P_E_NS1_11comp_targetILNS1_3genE2ELNS1_11target_archE906ELNS1_3gpuE6ELNS1_3repE0EEENS1_30default_config_static_selectorELNS0_4arch9wavefront6targetE1EEEvS12_.private_seg_size, 0
	.set _ZN7rocprim17ROCPRIM_400000_NS6detail17trampoline_kernelINS0_13select_configILj256ELj13ELNS0_17block_load_methodE3ELS4_3ELS4_3ELNS0_20block_scan_algorithmE0ELj4294967295EEENS1_25partition_config_selectorILNS1_17partition_subalgoE4EjNS0_10empty_typeEbEEZZNS1_14partition_implILS8_4ELb0ES6_15HIP_vector_typeIjLj2EENS0_17counting_iteratorIjlEEPS9_SG_NS0_5tupleIJPjSI_NS0_16reverse_iteratorISI_EEEEENSH_IJSG_SG_SG_EEES9_SI_JZNS1_25segmented_radix_sort_implINS0_14default_configELb0EPKfPfPKlPlN2at6native12_GLOBAL__N_18offset_tEEE10hipError_tPvRmT1_PNSt15iterator_traitsIS12_E10value_typeET2_T3_PNS13_IS18_E10value_typeET4_jRbjT5_S1E_jjP12ihipStream_tbEUljE_ZNSN_ISO_Lb0ESQ_SR_ST_SU_SY_EESZ_S10_S11_S12_S16_S17_S18_S1B_S1C_jS1D_jS1E_S1E_jjS1G_bEUljE0_EEESZ_S10_S11_S18_S1C_S1E_T6_T7_T9_mT8_S1G_bDpT10_ENKUlT_T0_E_clISt17integral_constantIbLb1EES1T_IbLb0EEEEDaS1P_S1Q_EUlS1P_E_NS1_11comp_targetILNS1_3genE2ELNS1_11target_archE906ELNS1_3gpuE6ELNS1_3repE0EEENS1_30default_config_static_selectorELNS0_4arch9wavefront6targetE1EEEvS12_.uses_vcc, 0
	.set _ZN7rocprim17ROCPRIM_400000_NS6detail17trampoline_kernelINS0_13select_configILj256ELj13ELNS0_17block_load_methodE3ELS4_3ELS4_3ELNS0_20block_scan_algorithmE0ELj4294967295EEENS1_25partition_config_selectorILNS1_17partition_subalgoE4EjNS0_10empty_typeEbEEZZNS1_14partition_implILS8_4ELb0ES6_15HIP_vector_typeIjLj2EENS0_17counting_iteratorIjlEEPS9_SG_NS0_5tupleIJPjSI_NS0_16reverse_iteratorISI_EEEEENSH_IJSG_SG_SG_EEES9_SI_JZNS1_25segmented_radix_sort_implINS0_14default_configELb0EPKfPfPKlPlN2at6native12_GLOBAL__N_18offset_tEEE10hipError_tPvRmT1_PNSt15iterator_traitsIS12_E10value_typeET2_T3_PNS13_IS18_E10value_typeET4_jRbjT5_S1E_jjP12ihipStream_tbEUljE_ZNSN_ISO_Lb0ESQ_SR_ST_SU_SY_EESZ_S10_S11_S12_S16_S17_S18_S1B_S1C_jS1D_jS1E_S1E_jjS1G_bEUljE0_EEESZ_S10_S11_S18_S1C_S1E_T6_T7_T9_mT8_S1G_bDpT10_ENKUlT_T0_E_clISt17integral_constantIbLb1EES1T_IbLb0EEEEDaS1P_S1Q_EUlS1P_E_NS1_11comp_targetILNS1_3genE2ELNS1_11target_archE906ELNS1_3gpuE6ELNS1_3repE0EEENS1_30default_config_static_selectorELNS0_4arch9wavefront6targetE1EEEvS12_.uses_flat_scratch, 0
	.set _ZN7rocprim17ROCPRIM_400000_NS6detail17trampoline_kernelINS0_13select_configILj256ELj13ELNS0_17block_load_methodE3ELS4_3ELS4_3ELNS0_20block_scan_algorithmE0ELj4294967295EEENS1_25partition_config_selectorILNS1_17partition_subalgoE4EjNS0_10empty_typeEbEEZZNS1_14partition_implILS8_4ELb0ES6_15HIP_vector_typeIjLj2EENS0_17counting_iteratorIjlEEPS9_SG_NS0_5tupleIJPjSI_NS0_16reverse_iteratorISI_EEEEENSH_IJSG_SG_SG_EEES9_SI_JZNS1_25segmented_radix_sort_implINS0_14default_configELb0EPKfPfPKlPlN2at6native12_GLOBAL__N_18offset_tEEE10hipError_tPvRmT1_PNSt15iterator_traitsIS12_E10value_typeET2_T3_PNS13_IS18_E10value_typeET4_jRbjT5_S1E_jjP12ihipStream_tbEUljE_ZNSN_ISO_Lb0ESQ_SR_ST_SU_SY_EESZ_S10_S11_S12_S16_S17_S18_S1B_S1C_jS1D_jS1E_S1E_jjS1G_bEUljE0_EEESZ_S10_S11_S18_S1C_S1E_T6_T7_T9_mT8_S1G_bDpT10_ENKUlT_T0_E_clISt17integral_constantIbLb1EES1T_IbLb0EEEEDaS1P_S1Q_EUlS1P_E_NS1_11comp_targetILNS1_3genE2ELNS1_11target_archE906ELNS1_3gpuE6ELNS1_3repE0EEENS1_30default_config_static_selectorELNS0_4arch9wavefront6targetE1EEEvS12_.has_dyn_sized_stack, 0
	.set _ZN7rocprim17ROCPRIM_400000_NS6detail17trampoline_kernelINS0_13select_configILj256ELj13ELNS0_17block_load_methodE3ELS4_3ELS4_3ELNS0_20block_scan_algorithmE0ELj4294967295EEENS1_25partition_config_selectorILNS1_17partition_subalgoE4EjNS0_10empty_typeEbEEZZNS1_14partition_implILS8_4ELb0ES6_15HIP_vector_typeIjLj2EENS0_17counting_iteratorIjlEEPS9_SG_NS0_5tupleIJPjSI_NS0_16reverse_iteratorISI_EEEEENSH_IJSG_SG_SG_EEES9_SI_JZNS1_25segmented_radix_sort_implINS0_14default_configELb0EPKfPfPKlPlN2at6native12_GLOBAL__N_18offset_tEEE10hipError_tPvRmT1_PNSt15iterator_traitsIS12_E10value_typeET2_T3_PNS13_IS18_E10value_typeET4_jRbjT5_S1E_jjP12ihipStream_tbEUljE_ZNSN_ISO_Lb0ESQ_SR_ST_SU_SY_EESZ_S10_S11_S12_S16_S17_S18_S1B_S1C_jS1D_jS1E_S1E_jjS1G_bEUljE0_EEESZ_S10_S11_S18_S1C_S1E_T6_T7_T9_mT8_S1G_bDpT10_ENKUlT_T0_E_clISt17integral_constantIbLb1EES1T_IbLb0EEEEDaS1P_S1Q_EUlS1P_E_NS1_11comp_targetILNS1_3genE2ELNS1_11target_archE906ELNS1_3gpuE6ELNS1_3repE0EEENS1_30default_config_static_selectorELNS0_4arch9wavefront6targetE1EEEvS12_.has_recursion, 0
	.set _ZN7rocprim17ROCPRIM_400000_NS6detail17trampoline_kernelINS0_13select_configILj256ELj13ELNS0_17block_load_methodE3ELS4_3ELS4_3ELNS0_20block_scan_algorithmE0ELj4294967295EEENS1_25partition_config_selectorILNS1_17partition_subalgoE4EjNS0_10empty_typeEbEEZZNS1_14partition_implILS8_4ELb0ES6_15HIP_vector_typeIjLj2EENS0_17counting_iteratorIjlEEPS9_SG_NS0_5tupleIJPjSI_NS0_16reverse_iteratorISI_EEEEENSH_IJSG_SG_SG_EEES9_SI_JZNS1_25segmented_radix_sort_implINS0_14default_configELb0EPKfPfPKlPlN2at6native12_GLOBAL__N_18offset_tEEE10hipError_tPvRmT1_PNSt15iterator_traitsIS12_E10value_typeET2_T3_PNS13_IS18_E10value_typeET4_jRbjT5_S1E_jjP12ihipStream_tbEUljE_ZNSN_ISO_Lb0ESQ_SR_ST_SU_SY_EESZ_S10_S11_S12_S16_S17_S18_S1B_S1C_jS1D_jS1E_S1E_jjS1G_bEUljE0_EEESZ_S10_S11_S18_S1C_S1E_T6_T7_T9_mT8_S1G_bDpT10_ENKUlT_T0_E_clISt17integral_constantIbLb1EES1T_IbLb0EEEEDaS1P_S1Q_EUlS1P_E_NS1_11comp_targetILNS1_3genE2ELNS1_11target_archE906ELNS1_3gpuE6ELNS1_3repE0EEENS1_30default_config_static_selectorELNS0_4arch9wavefront6targetE1EEEvS12_.has_indirect_call, 0
	.section	.AMDGPU.csdata,"",@progbits
; Kernel info:
; codeLenInByte = 4
; TotalNumSgprs: 4
; NumVgprs: 0
; ScratchSize: 0
; MemoryBound: 0
; FloatMode: 240
; IeeeMode: 1
; LDSByteSize: 0 bytes/workgroup (compile time only)
; SGPRBlocks: 0
; VGPRBlocks: 0
; NumSGPRsForWavesPerEU: 4
; NumVGPRsForWavesPerEU: 1
; Occupancy: 10
; WaveLimiterHint : 0
; COMPUTE_PGM_RSRC2:SCRATCH_EN: 0
; COMPUTE_PGM_RSRC2:USER_SGPR: 6
; COMPUTE_PGM_RSRC2:TRAP_HANDLER: 0
; COMPUTE_PGM_RSRC2:TGID_X_EN: 1
; COMPUTE_PGM_RSRC2:TGID_Y_EN: 0
; COMPUTE_PGM_RSRC2:TGID_Z_EN: 0
; COMPUTE_PGM_RSRC2:TIDIG_COMP_CNT: 0
	.section	.text._ZN7rocprim17ROCPRIM_400000_NS6detail17trampoline_kernelINS0_13select_configILj256ELj13ELNS0_17block_load_methodE3ELS4_3ELS4_3ELNS0_20block_scan_algorithmE0ELj4294967295EEENS1_25partition_config_selectorILNS1_17partition_subalgoE4EjNS0_10empty_typeEbEEZZNS1_14partition_implILS8_4ELb0ES6_15HIP_vector_typeIjLj2EENS0_17counting_iteratorIjlEEPS9_SG_NS0_5tupleIJPjSI_NS0_16reverse_iteratorISI_EEEEENSH_IJSG_SG_SG_EEES9_SI_JZNS1_25segmented_radix_sort_implINS0_14default_configELb0EPKfPfPKlPlN2at6native12_GLOBAL__N_18offset_tEEE10hipError_tPvRmT1_PNSt15iterator_traitsIS12_E10value_typeET2_T3_PNS13_IS18_E10value_typeET4_jRbjT5_S1E_jjP12ihipStream_tbEUljE_ZNSN_ISO_Lb0ESQ_SR_ST_SU_SY_EESZ_S10_S11_S12_S16_S17_S18_S1B_S1C_jS1D_jS1E_S1E_jjS1G_bEUljE0_EEESZ_S10_S11_S18_S1C_S1E_T6_T7_T9_mT8_S1G_bDpT10_ENKUlT_T0_E_clISt17integral_constantIbLb1EES1T_IbLb0EEEEDaS1P_S1Q_EUlS1P_E_NS1_11comp_targetILNS1_3genE10ELNS1_11target_archE1200ELNS1_3gpuE4ELNS1_3repE0EEENS1_30default_config_static_selectorELNS0_4arch9wavefront6targetE1EEEvS12_,"axG",@progbits,_ZN7rocprim17ROCPRIM_400000_NS6detail17trampoline_kernelINS0_13select_configILj256ELj13ELNS0_17block_load_methodE3ELS4_3ELS4_3ELNS0_20block_scan_algorithmE0ELj4294967295EEENS1_25partition_config_selectorILNS1_17partition_subalgoE4EjNS0_10empty_typeEbEEZZNS1_14partition_implILS8_4ELb0ES6_15HIP_vector_typeIjLj2EENS0_17counting_iteratorIjlEEPS9_SG_NS0_5tupleIJPjSI_NS0_16reverse_iteratorISI_EEEEENSH_IJSG_SG_SG_EEES9_SI_JZNS1_25segmented_radix_sort_implINS0_14default_configELb0EPKfPfPKlPlN2at6native12_GLOBAL__N_18offset_tEEE10hipError_tPvRmT1_PNSt15iterator_traitsIS12_E10value_typeET2_T3_PNS13_IS18_E10value_typeET4_jRbjT5_S1E_jjP12ihipStream_tbEUljE_ZNSN_ISO_Lb0ESQ_SR_ST_SU_SY_EESZ_S10_S11_S12_S16_S17_S18_S1B_S1C_jS1D_jS1E_S1E_jjS1G_bEUljE0_EEESZ_S10_S11_S18_S1C_S1E_T6_T7_T9_mT8_S1G_bDpT10_ENKUlT_T0_E_clISt17integral_constantIbLb1EES1T_IbLb0EEEEDaS1P_S1Q_EUlS1P_E_NS1_11comp_targetILNS1_3genE10ELNS1_11target_archE1200ELNS1_3gpuE4ELNS1_3repE0EEENS1_30default_config_static_selectorELNS0_4arch9wavefront6targetE1EEEvS12_,comdat
	.globl	_ZN7rocprim17ROCPRIM_400000_NS6detail17trampoline_kernelINS0_13select_configILj256ELj13ELNS0_17block_load_methodE3ELS4_3ELS4_3ELNS0_20block_scan_algorithmE0ELj4294967295EEENS1_25partition_config_selectorILNS1_17partition_subalgoE4EjNS0_10empty_typeEbEEZZNS1_14partition_implILS8_4ELb0ES6_15HIP_vector_typeIjLj2EENS0_17counting_iteratorIjlEEPS9_SG_NS0_5tupleIJPjSI_NS0_16reverse_iteratorISI_EEEEENSH_IJSG_SG_SG_EEES9_SI_JZNS1_25segmented_radix_sort_implINS0_14default_configELb0EPKfPfPKlPlN2at6native12_GLOBAL__N_18offset_tEEE10hipError_tPvRmT1_PNSt15iterator_traitsIS12_E10value_typeET2_T3_PNS13_IS18_E10value_typeET4_jRbjT5_S1E_jjP12ihipStream_tbEUljE_ZNSN_ISO_Lb0ESQ_SR_ST_SU_SY_EESZ_S10_S11_S12_S16_S17_S18_S1B_S1C_jS1D_jS1E_S1E_jjS1G_bEUljE0_EEESZ_S10_S11_S18_S1C_S1E_T6_T7_T9_mT8_S1G_bDpT10_ENKUlT_T0_E_clISt17integral_constantIbLb1EES1T_IbLb0EEEEDaS1P_S1Q_EUlS1P_E_NS1_11comp_targetILNS1_3genE10ELNS1_11target_archE1200ELNS1_3gpuE4ELNS1_3repE0EEENS1_30default_config_static_selectorELNS0_4arch9wavefront6targetE1EEEvS12_ ; -- Begin function _ZN7rocprim17ROCPRIM_400000_NS6detail17trampoline_kernelINS0_13select_configILj256ELj13ELNS0_17block_load_methodE3ELS4_3ELS4_3ELNS0_20block_scan_algorithmE0ELj4294967295EEENS1_25partition_config_selectorILNS1_17partition_subalgoE4EjNS0_10empty_typeEbEEZZNS1_14partition_implILS8_4ELb0ES6_15HIP_vector_typeIjLj2EENS0_17counting_iteratorIjlEEPS9_SG_NS0_5tupleIJPjSI_NS0_16reverse_iteratorISI_EEEEENSH_IJSG_SG_SG_EEES9_SI_JZNS1_25segmented_radix_sort_implINS0_14default_configELb0EPKfPfPKlPlN2at6native12_GLOBAL__N_18offset_tEEE10hipError_tPvRmT1_PNSt15iterator_traitsIS12_E10value_typeET2_T3_PNS13_IS18_E10value_typeET4_jRbjT5_S1E_jjP12ihipStream_tbEUljE_ZNSN_ISO_Lb0ESQ_SR_ST_SU_SY_EESZ_S10_S11_S12_S16_S17_S18_S1B_S1C_jS1D_jS1E_S1E_jjS1G_bEUljE0_EEESZ_S10_S11_S18_S1C_S1E_T6_T7_T9_mT8_S1G_bDpT10_ENKUlT_T0_E_clISt17integral_constantIbLb1EES1T_IbLb0EEEEDaS1P_S1Q_EUlS1P_E_NS1_11comp_targetILNS1_3genE10ELNS1_11target_archE1200ELNS1_3gpuE4ELNS1_3repE0EEENS1_30default_config_static_selectorELNS0_4arch9wavefront6targetE1EEEvS12_
	.p2align	8
	.type	_ZN7rocprim17ROCPRIM_400000_NS6detail17trampoline_kernelINS0_13select_configILj256ELj13ELNS0_17block_load_methodE3ELS4_3ELS4_3ELNS0_20block_scan_algorithmE0ELj4294967295EEENS1_25partition_config_selectorILNS1_17partition_subalgoE4EjNS0_10empty_typeEbEEZZNS1_14partition_implILS8_4ELb0ES6_15HIP_vector_typeIjLj2EENS0_17counting_iteratorIjlEEPS9_SG_NS0_5tupleIJPjSI_NS0_16reverse_iteratorISI_EEEEENSH_IJSG_SG_SG_EEES9_SI_JZNS1_25segmented_radix_sort_implINS0_14default_configELb0EPKfPfPKlPlN2at6native12_GLOBAL__N_18offset_tEEE10hipError_tPvRmT1_PNSt15iterator_traitsIS12_E10value_typeET2_T3_PNS13_IS18_E10value_typeET4_jRbjT5_S1E_jjP12ihipStream_tbEUljE_ZNSN_ISO_Lb0ESQ_SR_ST_SU_SY_EESZ_S10_S11_S12_S16_S17_S18_S1B_S1C_jS1D_jS1E_S1E_jjS1G_bEUljE0_EEESZ_S10_S11_S18_S1C_S1E_T6_T7_T9_mT8_S1G_bDpT10_ENKUlT_T0_E_clISt17integral_constantIbLb1EES1T_IbLb0EEEEDaS1P_S1Q_EUlS1P_E_NS1_11comp_targetILNS1_3genE10ELNS1_11target_archE1200ELNS1_3gpuE4ELNS1_3repE0EEENS1_30default_config_static_selectorELNS0_4arch9wavefront6targetE1EEEvS12_,@function
_ZN7rocprim17ROCPRIM_400000_NS6detail17trampoline_kernelINS0_13select_configILj256ELj13ELNS0_17block_load_methodE3ELS4_3ELS4_3ELNS0_20block_scan_algorithmE0ELj4294967295EEENS1_25partition_config_selectorILNS1_17partition_subalgoE4EjNS0_10empty_typeEbEEZZNS1_14partition_implILS8_4ELb0ES6_15HIP_vector_typeIjLj2EENS0_17counting_iteratorIjlEEPS9_SG_NS0_5tupleIJPjSI_NS0_16reverse_iteratorISI_EEEEENSH_IJSG_SG_SG_EEES9_SI_JZNS1_25segmented_radix_sort_implINS0_14default_configELb0EPKfPfPKlPlN2at6native12_GLOBAL__N_18offset_tEEE10hipError_tPvRmT1_PNSt15iterator_traitsIS12_E10value_typeET2_T3_PNS13_IS18_E10value_typeET4_jRbjT5_S1E_jjP12ihipStream_tbEUljE_ZNSN_ISO_Lb0ESQ_SR_ST_SU_SY_EESZ_S10_S11_S12_S16_S17_S18_S1B_S1C_jS1D_jS1E_S1E_jjS1G_bEUljE0_EEESZ_S10_S11_S18_S1C_S1E_T6_T7_T9_mT8_S1G_bDpT10_ENKUlT_T0_E_clISt17integral_constantIbLb1EES1T_IbLb0EEEEDaS1P_S1Q_EUlS1P_E_NS1_11comp_targetILNS1_3genE10ELNS1_11target_archE1200ELNS1_3gpuE4ELNS1_3repE0EEENS1_30default_config_static_selectorELNS0_4arch9wavefront6targetE1EEEvS12_: ; @_ZN7rocprim17ROCPRIM_400000_NS6detail17trampoline_kernelINS0_13select_configILj256ELj13ELNS0_17block_load_methodE3ELS4_3ELS4_3ELNS0_20block_scan_algorithmE0ELj4294967295EEENS1_25partition_config_selectorILNS1_17partition_subalgoE4EjNS0_10empty_typeEbEEZZNS1_14partition_implILS8_4ELb0ES6_15HIP_vector_typeIjLj2EENS0_17counting_iteratorIjlEEPS9_SG_NS0_5tupleIJPjSI_NS0_16reverse_iteratorISI_EEEEENSH_IJSG_SG_SG_EEES9_SI_JZNS1_25segmented_radix_sort_implINS0_14default_configELb0EPKfPfPKlPlN2at6native12_GLOBAL__N_18offset_tEEE10hipError_tPvRmT1_PNSt15iterator_traitsIS12_E10value_typeET2_T3_PNS13_IS18_E10value_typeET4_jRbjT5_S1E_jjP12ihipStream_tbEUljE_ZNSN_ISO_Lb0ESQ_SR_ST_SU_SY_EESZ_S10_S11_S12_S16_S17_S18_S1B_S1C_jS1D_jS1E_S1E_jjS1G_bEUljE0_EEESZ_S10_S11_S18_S1C_S1E_T6_T7_T9_mT8_S1G_bDpT10_ENKUlT_T0_E_clISt17integral_constantIbLb1EES1T_IbLb0EEEEDaS1P_S1Q_EUlS1P_E_NS1_11comp_targetILNS1_3genE10ELNS1_11target_archE1200ELNS1_3gpuE4ELNS1_3repE0EEENS1_30default_config_static_selectorELNS0_4arch9wavefront6targetE1EEEvS12_
; %bb.0:
	.section	.rodata,"a",@progbits
	.p2align	6, 0x0
	.amdhsa_kernel _ZN7rocprim17ROCPRIM_400000_NS6detail17trampoline_kernelINS0_13select_configILj256ELj13ELNS0_17block_load_methodE3ELS4_3ELS4_3ELNS0_20block_scan_algorithmE0ELj4294967295EEENS1_25partition_config_selectorILNS1_17partition_subalgoE4EjNS0_10empty_typeEbEEZZNS1_14partition_implILS8_4ELb0ES6_15HIP_vector_typeIjLj2EENS0_17counting_iteratorIjlEEPS9_SG_NS0_5tupleIJPjSI_NS0_16reverse_iteratorISI_EEEEENSH_IJSG_SG_SG_EEES9_SI_JZNS1_25segmented_radix_sort_implINS0_14default_configELb0EPKfPfPKlPlN2at6native12_GLOBAL__N_18offset_tEEE10hipError_tPvRmT1_PNSt15iterator_traitsIS12_E10value_typeET2_T3_PNS13_IS18_E10value_typeET4_jRbjT5_S1E_jjP12ihipStream_tbEUljE_ZNSN_ISO_Lb0ESQ_SR_ST_SU_SY_EESZ_S10_S11_S12_S16_S17_S18_S1B_S1C_jS1D_jS1E_S1E_jjS1G_bEUljE0_EEESZ_S10_S11_S18_S1C_S1E_T6_T7_T9_mT8_S1G_bDpT10_ENKUlT_T0_E_clISt17integral_constantIbLb1EES1T_IbLb0EEEEDaS1P_S1Q_EUlS1P_E_NS1_11comp_targetILNS1_3genE10ELNS1_11target_archE1200ELNS1_3gpuE4ELNS1_3repE0EEENS1_30default_config_static_selectorELNS0_4arch9wavefront6targetE1EEEvS12_
		.amdhsa_group_segment_fixed_size 0
		.amdhsa_private_segment_fixed_size 0
		.amdhsa_kernarg_size 176
		.amdhsa_user_sgpr_count 6
		.amdhsa_user_sgpr_private_segment_buffer 1
		.amdhsa_user_sgpr_dispatch_ptr 0
		.amdhsa_user_sgpr_queue_ptr 0
		.amdhsa_user_sgpr_kernarg_segment_ptr 1
		.amdhsa_user_sgpr_dispatch_id 0
		.amdhsa_user_sgpr_flat_scratch_init 0
		.amdhsa_user_sgpr_private_segment_size 0
		.amdhsa_uses_dynamic_stack 0
		.amdhsa_system_sgpr_private_segment_wavefront_offset 0
		.amdhsa_system_sgpr_workgroup_id_x 1
		.amdhsa_system_sgpr_workgroup_id_y 0
		.amdhsa_system_sgpr_workgroup_id_z 0
		.amdhsa_system_sgpr_workgroup_info 0
		.amdhsa_system_vgpr_workitem_id 0
		.amdhsa_next_free_vgpr 1
		.amdhsa_next_free_sgpr 0
		.amdhsa_reserve_vcc 0
		.amdhsa_reserve_flat_scratch 0
		.amdhsa_float_round_mode_32 0
		.amdhsa_float_round_mode_16_64 0
		.amdhsa_float_denorm_mode_32 3
		.amdhsa_float_denorm_mode_16_64 3
		.amdhsa_dx10_clamp 1
		.amdhsa_ieee_mode 1
		.amdhsa_fp16_overflow 0
		.amdhsa_exception_fp_ieee_invalid_op 0
		.amdhsa_exception_fp_denorm_src 0
		.amdhsa_exception_fp_ieee_div_zero 0
		.amdhsa_exception_fp_ieee_overflow 0
		.amdhsa_exception_fp_ieee_underflow 0
		.amdhsa_exception_fp_ieee_inexact 0
		.amdhsa_exception_int_div_zero 0
	.end_amdhsa_kernel
	.section	.text._ZN7rocprim17ROCPRIM_400000_NS6detail17trampoline_kernelINS0_13select_configILj256ELj13ELNS0_17block_load_methodE3ELS4_3ELS4_3ELNS0_20block_scan_algorithmE0ELj4294967295EEENS1_25partition_config_selectorILNS1_17partition_subalgoE4EjNS0_10empty_typeEbEEZZNS1_14partition_implILS8_4ELb0ES6_15HIP_vector_typeIjLj2EENS0_17counting_iteratorIjlEEPS9_SG_NS0_5tupleIJPjSI_NS0_16reverse_iteratorISI_EEEEENSH_IJSG_SG_SG_EEES9_SI_JZNS1_25segmented_radix_sort_implINS0_14default_configELb0EPKfPfPKlPlN2at6native12_GLOBAL__N_18offset_tEEE10hipError_tPvRmT1_PNSt15iterator_traitsIS12_E10value_typeET2_T3_PNS13_IS18_E10value_typeET4_jRbjT5_S1E_jjP12ihipStream_tbEUljE_ZNSN_ISO_Lb0ESQ_SR_ST_SU_SY_EESZ_S10_S11_S12_S16_S17_S18_S1B_S1C_jS1D_jS1E_S1E_jjS1G_bEUljE0_EEESZ_S10_S11_S18_S1C_S1E_T6_T7_T9_mT8_S1G_bDpT10_ENKUlT_T0_E_clISt17integral_constantIbLb1EES1T_IbLb0EEEEDaS1P_S1Q_EUlS1P_E_NS1_11comp_targetILNS1_3genE10ELNS1_11target_archE1200ELNS1_3gpuE4ELNS1_3repE0EEENS1_30default_config_static_selectorELNS0_4arch9wavefront6targetE1EEEvS12_,"axG",@progbits,_ZN7rocprim17ROCPRIM_400000_NS6detail17trampoline_kernelINS0_13select_configILj256ELj13ELNS0_17block_load_methodE3ELS4_3ELS4_3ELNS0_20block_scan_algorithmE0ELj4294967295EEENS1_25partition_config_selectorILNS1_17partition_subalgoE4EjNS0_10empty_typeEbEEZZNS1_14partition_implILS8_4ELb0ES6_15HIP_vector_typeIjLj2EENS0_17counting_iteratorIjlEEPS9_SG_NS0_5tupleIJPjSI_NS0_16reverse_iteratorISI_EEEEENSH_IJSG_SG_SG_EEES9_SI_JZNS1_25segmented_radix_sort_implINS0_14default_configELb0EPKfPfPKlPlN2at6native12_GLOBAL__N_18offset_tEEE10hipError_tPvRmT1_PNSt15iterator_traitsIS12_E10value_typeET2_T3_PNS13_IS18_E10value_typeET4_jRbjT5_S1E_jjP12ihipStream_tbEUljE_ZNSN_ISO_Lb0ESQ_SR_ST_SU_SY_EESZ_S10_S11_S12_S16_S17_S18_S1B_S1C_jS1D_jS1E_S1E_jjS1G_bEUljE0_EEESZ_S10_S11_S18_S1C_S1E_T6_T7_T9_mT8_S1G_bDpT10_ENKUlT_T0_E_clISt17integral_constantIbLb1EES1T_IbLb0EEEEDaS1P_S1Q_EUlS1P_E_NS1_11comp_targetILNS1_3genE10ELNS1_11target_archE1200ELNS1_3gpuE4ELNS1_3repE0EEENS1_30default_config_static_selectorELNS0_4arch9wavefront6targetE1EEEvS12_,comdat
.Lfunc_end1385:
	.size	_ZN7rocprim17ROCPRIM_400000_NS6detail17trampoline_kernelINS0_13select_configILj256ELj13ELNS0_17block_load_methodE3ELS4_3ELS4_3ELNS0_20block_scan_algorithmE0ELj4294967295EEENS1_25partition_config_selectorILNS1_17partition_subalgoE4EjNS0_10empty_typeEbEEZZNS1_14partition_implILS8_4ELb0ES6_15HIP_vector_typeIjLj2EENS0_17counting_iteratorIjlEEPS9_SG_NS0_5tupleIJPjSI_NS0_16reverse_iteratorISI_EEEEENSH_IJSG_SG_SG_EEES9_SI_JZNS1_25segmented_radix_sort_implINS0_14default_configELb0EPKfPfPKlPlN2at6native12_GLOBAL__N_18offset_tEEE10hipError_tPvRmT1_PNSt15iterator_traitsIS12_E10value_typeET2_T3_PNS13_IS18_E10value_typeET4_jRbjT5_S1E_jjP12ihipStream_tbEUljE_ZNSN_ISO_Lb0ESQ_SR_ST_SU_SY_EESZ_S10_S11_S12_S16_S17_S18_S1B_S1C_jS1D_jS1E_S1E_jjS1G_bEUljE0_EEESZ_S10_S11_S18_S1C_S1E_T6_T7_T9_mT8_S1G_bDpT10_ENKUlT_T0_E_clISt17integral_constantIbLb1EES1T_IbLb0EEEEDaS1P_S1Q_EUlS1P_E_NS1_11comp_targetILNS1_3genE10ELNS1_11target_archE1200ELNS1_3gpuE4ELNS1_3repE0EEENS1_30default_config_static_selectorELNS0_4arch9wavefront6targetE1EEEvS12_, .Lfunc_end1385-_ZN7rocprim17ROCPRIM_400000_NS6detail17trampoline_kernelINS0_13select_configILj256ELj13ELNS0_17block_load_methodE3ELS4_3ELS4_3ELNS0_20block_scan_algorithmE0ELj4294967295EEENS1_25partition_config_selectorILNS1_17partition_subalgoE4EjNS0_10empty_typeEbEEZZNS1_14partition_implILS8_4ELb0ES6_15HIP_vector_typeIjLj2EENS0_17counting_iteratorIjlEEPS9_SG_NS0_5tupleIJPjSI_NS0_16reverse_iteratorISI_EEEEENSH_IJSG_SG_SG_EEES9_SI_JZNS1_25segmented_radix_sort_implINS0_14default_configELb0EPKfPfPKlPlN2at6native12_GLOBAL__N_18offset_tEEE10hipError_tPvRmT1_PNSt15iterator_traitsIS12_E10value_typeET2_T3_PNS13_IS18_E10value_typeET4_jRbjT5_S1E_jjP12ihipStream_tbEUljE_ZNSN_ISO_Lb0ESQ_SR_ST_SU_SY_EESZ_S10_S11_S12_S16_S17_S18_S1B_S1C_jS1D_jS1E_S1E_jjS1G_bEUljE0_EEESZ_S10_S11_S18_S1C_S1E_T6_T7_T9_mT8_S1G_bDpT10_ENKUlT_T0_E_clISt17integral_constantIbLb1EES1T_IbLb0EEEEDaS1P_S1Q_EUlS1P_E_NS1_11comp_targetILNS1_3genE10ELNS1_11target_archE1200ELNS1_3gpuE4ELNS1_3repE0EEENS1_30default_config_static_selectorELNS0_4arch9wavefront6targetE1EEEvS12_
                                        ; -- End function
	.set _ZN7rocprim17ROCPRIM_400000_NS6detail17trampoline_kernelINS0_13select_configILj256ELj13ELNS0_17block_load_methodE3ELS4_3ELS4_3ELNS0_20block_scan_algorithmE0ELj4294967295EEENS1_25partition_config_selectorILNS1_17partition_subalgoE4EjNS0_10empty_typeEbEEZZNS1_14partition_implILS8_4ELb0ES6_15HIP_vector_typeIjLj2EENS0_17counting_iteratorIjlEEPS9_SG_NS0_5tupleIJPjSI_NS0_16reverse_iteratorISI_EEEEENSH_IJSG_SG_SG_EEES9_SI_JZNS1_25segmented_radix_sort_implINS0_14default_configELb0EPKfPfPKlPlN2at6native12_GLOBAL__N_18offset_tEEE10hipError_tPvRmT1_PNSt15iterator_traitsIS12_E10value_typeET2_T3_PNS13_IS18_E10value_typeET4_jRbjT5_S1E_jjP12ihipStream_tbEUljE_ZNSN_ISO_Lb0ESQ_SR_ST_SU_SY_EESZ_S10_S11_S12_S16_S17_S18_S1B_S1C_jS1D_jS1E_S1E_jjS1G_bEUljE0_EEESZ_S10_S11_S18_S1C_S1E_T6_T7_T9_mT8_S1G_bDpT10_ENKUlT_T0_E_clISt17integral_constantIbLb1EES1T_IbLb0EEEEDaS1P_S1Q_EUlS1P_E_NS1_11comp_targetILNS1_3genE10ELNS1_11target_archE1200ELNS1_3gpuE4ELNS1_3repE0EEENS1_30default_config_static_selectorELNS0_4arch9wavefront6targetE1EEEvS12_.num_vgpr, 0
	.set _ZN7rocprim17ROCPRIM_400000_NS6detail17trampoline_kernelINS0_13select_configILj256ELj13ELNS0_17block_load_methodE3ELS4_3ELS4_3ELNS0_20block_scan_algorithmE0ELj4294967295EEENS1_25partition_config_selectorILNS1_17partition_subalgoE4EjNS0_10empty_typeEbEEZZNS1_14partition_implILS8_4ELb0ES6_15HIP_vector_typeIjLj2EENS0_17counting_iteratorIjlEEPS9_SG_NS0_5tupleIJPjSI_NS0_16reverse_iteratorISI_EEEEENSH_IJSG_SG_SG_EEES9_SI_JZNS1_25segmented_radix_sort_implINS0_14default_configELb0EPKfPfPKlPlN2at6native12_GLOBAL__N_18offset_tEEE10hipError_tPvRmT1_PNSt15iterator_traitsIS12_E10value_typeET2_T3_PNS13_IS18_E10value_typeET4_jRbjT5_S1E_jjP12ihipStream_tbEUljE_ZNSN_ISO_Lb0ESQ_SR_ST_SU_SY_EESZ_S10_S11_S12_S16_S17_S18_S1B_S1C_jS1D_jS1E_S1E_jjS1G_bEUljE0_EEESZ_S10_S11_S18_S1C_S1E_T6_T7_T9_mT8_S1G_bDpT10_ENKUlT_T0_E_clISt17integral_constantIbLb1EES1T_IbLb0EEEEDaS1P_S1Q_EUlS1P_E_NS1_11comp_targetILNS1_3genE10ELNS1_11target_archE1200ELNS1_3gpuE4ELNS1_3repE0EEENS1_30default_config_static_selectorELNS0_4arch9wavefront6targetE1EEEvS12_.num_agpr, 0
	.set _ZN7rocprim17ROCPRIM_400000_NS6detail17trampoline_kernelINS0_13select_configILj256ELj13ELNS0_17block_load_methodE3ELS4_3ELS4_3ELNS0_20block_scan_algorithmE0ELj4294967295EEENS1_25partition_config_selectorILNS1_17partition_subalgoE4EjNS0_10empty_typeEbEEZZNS1_14partition_implILS8_4ELb0ES6_15HIP_vector_typeIjLj2EENS0_17counting_iteratorIjlEEPS9_SG_NS0_5tupleIJPjSI_NS0_16reverse_iteratorISI_EEEEENSH_IJSG_SG_SG_EEES9_SI_JZNS1_25segmented_radix_sort_implINS0_14default_configELb0EPKfPfPKlPlN2at6native12_GLOBAL__N_18offset_tEEE10hipError_tPvRmT1_PNSt15iterator_traitsIS12_E10value_typeET2_T3_PNS13_IS18_E10value_typeET4_jRbjT5_S1E_jjP12ihipStream_tbEUljE_ZNSN_ISO_Lb0ESQ_SR_ST_SU_SY_EESZ_S10_S11_S12_S16_S17_S18_S1B_S1C_jS1D_jS1E_S1E_jjS1G_bEUljE0_EEESZ_S10_S11_S18_S1C_S1E_T6_T7_T9_mT8_S1G_bDpT10_ENKUlT_T0_E_clISt17integral_constantIbLb1EES1T_IbLb0EEEEDaS1P_S1Q_EUlS1P_E_NS1_11comp_targetILNS1_3genE10ELNS1_11target_archE1200ELNS1_3gpuE4ELNS1_3repE0EEENS1_30default_config_static_selectorELNS0_4arch9wavefront6targetE1EEEvS12_.numbered_sgpr, 0
	.set _ZN7rocprim17ROCPRIM_400000_NS6detail17trampoline_kernelINS0_13select_configILj256ELj13ELNS0_17block_load_methodE3ELS4_3ELS4_3ELNS0_20block_scan_algorithmE0ELj4294967295EEENS1_25partition_config_selectorILNS1_17partition_subalgoE4EjNS0_10empty_typeEbEEZZNS1_14partition_implILS8_4ELb0ES6_15HIP_vector_typeIjLj2EENS0_17counting_iteratorIjlEEPS9_SG_NS0_5tupleIJPjSI_NS0_16reverse_iteratorISI_EEEEENSH_IJSG_SG_SG_EEES9_SI_JZNS1_25segmented_radix_sort_implINS0_14default_configELb0EPKfPfPKlPlN2at6native12_GLOBAL__N_18offset_tEEE10hipError_tPvRmT1_PNSt15iterator_traitsIS12_E10value_typeET2_T3_PNS13_IS18_E10value_typeET4_jRbjT5_S1E_jjP12ihipStream_tbEUljE_ZNSN_ISO_Lb0ESQ_SR_ST_SU_SY_EESZ_S10_S11_S12_S16_S17_S18_S1B_S1C_jS1D_jS1E_S1E_jjS1G_bEUljE0_EEESZ_S10_S11_S18_S1C_S1E_T6_T7_T9_mT8_S1G_bDpT10_ENKUlT_T0_E_clISt17integral_constantIbLb1EES1T_IbLb0EEEEDaS1P_S1Q_EUlS1P_E_NS1_11comp_targetILNS1_3genE10ELNS1_11target_archE1200ELNS1_3gpuE4ELNS1_3repE0EEENS1_30default_config_static_selectorELNS0_4arch9wavefront6targetE1EEEvS12_.num_named_barrier, 0
	.set _ZN7rocprim17ROCPRIM_400000_NS6detail17trampoline_kernelINS0_13select_configILj256ELj13ELNS0_17block_load_methodE3ELS4_3ELS4_3ELNS0_20block_scan_algorithmE0ELj4294967295EEENS1_25partition_config_selectorILNS1_17partition_subalgoE4EjNS0_10empty_typeEbEEZZNS1_14partition_implILS8_4ELb0ES6_15HIP_vector_typeIjLj2EENS0_17counting_iteratorIjlEEPS9_SG_NS0_5tupleIJPjSI_NS0_16reverse_iteratorISI_EEEEENSH_IJSG_SG_SG_EEES9_SI_JZNS1_25segmented_radix_sort_implINS0_14default_configELb0EPKfPfPKlPlN2at6native12_GLOBAL__N_18offset_tEEE10hipError_tPvRmT1_PNSt15iterator_traitsIS12_E10value_typeET2_T3_PNS13_IS18_E10value_typeET4_jRbjT5_S1E_jjP12ihipStream_tbEUljE_ZNSN_ISO_Lb0ESQ_SR_ST_SU_SY_EESZ_S10_S11_S12_S16_S17_S18_S1B_S1C_jS1D_jS1E_S1E_jjS1G_bEUljE0_EEESZ_S10_S11_S18_S1C_S1E_T6_T7_T9_mT8_S1G_bDpT10_ENKUlT_T0_E_clISt17integral_constantIbLb1EES1T_IbLb0EEEEDaS1P_S1Q_EUlS1P_E_NS1_11comp_targetILNS1_3genE10ELNS1_11target_archE1200ELNS1_3gpuE4ELNS1_3repE0EEENS1_30default_config_static_selectorELNS0_4arch9wavefront6targetE1EEEvS12_.private_seg_size, 0
	.set _ZN7rocprim17ROCPRIM_400000_NS6detail17trampoline_kernelINS0_13select_configILj256ELj13ELNS0_17block_load_methodE3ELS4_3ELS4_3ELNS0_20block_scan_algorithmE0ELj4294967295EEENS1_25partition_config_selectorILNS1_17partition_subalgoE4EjNS0_10empty_typeEbEEZZNS1_14partition_implILS8_4ELb0ES6_15HIP_vector_typeIjLj2EENS0_17counting_iteratorIjlEEPS9_SG_NS0_5tupleIJPjSI_NS0_16reverse_iteratorISI_EEEEENSH_IJSG_SG_SG_EEES9_SI_JZNS1_25segmented_radix_sort_implINS0_14default_configELb0EPKfPfPKlPlN2at6native12_GLOBAL__N_18offset_tEEE10hipError_tPvRmT1_PNSt15iterator_traitsIS12_E10value_typeET2_T3_PNS13_IS18_E10value_typeET4_jRbjT5_S1E_jjP12ihipStream_tbEUljE_ZNSN_ISO_Lb0ESQ_SR_ST_SU_SY_EESZ_S10_S11_S12_S16_S17_S18_S1B_S1C_jS1D_jS1E_S1E_jjS1G_bEUljE0_EEESZ_S10_S11_S18_S1C_S1E_T6_T7_T9_mT8_S1G_bDpT10_ENKUlT_T0_E_clISt17integral_constantIbLb1EES1T_IbLb0EEEEDaS1P_S1Q_EUlS1P_E_NS1_11comp_targetILNS1_3genE10ELNS1_11target_archE1200ELNS1_3gpuE4ELNS1_3repE0EEENS1_30default_config_static_selectorELNS0_4arch9wavefront6targetE1EEEvS12_.uses_vcc, 0
	.set _ZN7rocprim17ROCPRIM_400000_NS6detail17trampoline_kernelINS0_13select_configILj256ELj13ELNS0_17block_load_methodE3ELS4_3ELS4_3ELNS0_20block_scan_algorithmE0ELj4294967295EEENS1_25partition_config_selectorILNS1_17partition_subalgoE4EjNS0_10empty_typeEbEEZZNS1_14partition_implILS8_4ELb0ES6_15HIP_vector_typeIjLj2EENS0_17counting_iteratorIjlEEPS9_SG_NS0_5tupleIJPjSI_NS0_16reverse_iteratorISI_EEEEENSH_IJSG_SG_SG_EEES9_SI_JZNS1_25segmented_radix_sort_implINS0_14default_configELb0EPKfPfPKlPlN2at6native12_GLOBAL__N_18offset_tEEE10hipError_tPvRmT1_PNSt15iterator_traitsIS12_E10value_typeET2_T3_PNS13_IS18_E10value_typeET4_jRbjT5_S1E_jjP12ihipStream_tbEUljE_ZNSN_ISO_Lb0ESQ_SR_ST_SU_SY_EESZ_S10_S11_S12_S16_S17_S18_S1B_S1C_jS1D_jS1E_S1E_jjS1G_bEUljE0_EEESZ_S10_S11_S18_S1C_S1E_T6_T7_T9_mT8_S1G_bDpT10_ENKUlT_T0_E_clISt17integral_constantIbLb1EES1T_IbLb0EEEEDaS1P_S1Q_EUlS1P_E_NS1_11comp_targetILNS1_3genE10ELNS1_11target_archE1200ELNS1_3gpuE4ELNS1_3repE0EEENS1_30default_config_static_selectorELNS0_4arch9wavefront6targetE1EEEvS12_.uses_flat_scratch, 0
	.set _ZN7rocprim17ROCPRIM_400000_NS6detail17trampoline_kernelINS0_13select_configILj256ELj13ELNS0_17block_load_methodE3ELS4_3ELS4_3ELNS0_20block_scan_algorithmE0ELj4294967295EEENS1_25partition_config_selectorILNS1_17partition_subalgoE4EjNS0_10empty_typeEbEEZZNS1_14partition_implILS8_4ELb0ES6_15HIP_vector_typeIjLj2EENS0_17counting_iteratorIjlEEPS9_SG_NS0_5tupleIJPjSI_NS0_16reverse_iteratorISI_EEEEENSH_IJSG_SG_SG_EEES9_SI_JZNS1_25segmented_radix_sort_implINS0_14default_configELb0EPKfPfPKlPlN2at6native12_GLOBAL__N_18offset_tEEE10hipError_tPvRmT1_PNSt15iterator_traitsIS12_E10value_typeET2_T3_PNS13_IS18_E10value_typeET4_jRbjT5_S1E_jjP12ihipStream_tbEUljE_ZNSN_ISO_Lb0ESQ_SR_ST_SU_SY_EESZ_S10_S11_S12_S16_S17_S18_S1B_S1C_jS1D_jS1E_S1E_jjS1G_bEUljE0_EEESZ_S10_S11_S18_S1C_S1E_T6_T7_T9_mT8_S1G_bDpT10_ENKUlT_T0_E_clISt17integral_constantIbLb1EES1T_IbLb0EEEEDaS1P_S1Q_EUlS1P_E_NS1_11comp_targetILNS1_3genE10ELNS1_11target_archE1200ELNS1_3gpuE4ELNS1_3repE0EEENS1_30default_config_static_selectorELNS0_4arch9wavefront6targetE1EEEvS12_.has_dyn_sized_stack, 0
	.set _ZN7rocprim17ROCPRIM_400000_NS6detail17trampoline_kernelINS0_13select_configILj256ELj13ELNS0_17block_load_methodE3ELS4_3ELS4_3ELNS0_20block_scan_algorithmE0ELj4294967295EEENS1_25partition_config_selectorILNS1_17partition_subalgoE4EjNS0_10empty_typeEbEEZZNS1_14partition_implILS8_4ELb0ES6_15HIP_vector_typeIjLj2EENS0_17counting_iteratorIjlEEPS9_SG_NS0_5tupleIJPjSI_NS0_16reverse_iteratorISI_EEEEENSH_IJSG_SG_SG_EEES9_SI_JZNS1_25segmented_radix_sort_implINS0_14default_configELb0EPKfPfPKlPlN2at6native12_GLOBAL__N_18offset_tEEE10hipError_tPvRmT1_PNSt15iterator_traitsIS12_E10value_typeET2_T3_PNS13_IS18_E10value_typeET4_jRbjT5_S1E_jjP12ihipStream_tbEUljE_ZNSN_ISO_Lb0ESQ_SR_ST_SU_SY_EESZ_S10_S11_S12_S16_S17_S18_S1B_S1C_jS1D_jS1E_S1E_jjS1G_bEUljE0_EEESZ_S10_S11_S18_S1C_S1E_T6_T7_T9_mT8_S1G_bDpT10_ENKUlT_T0_E_clISt17integral_constantIbLb1EES1T_IbLb0EEEEDaS1P_S1Q_EUlS1P_E_NS1_11comp_targetILNS1_3genE10ELNS1_11target_archE1200ELNS1_3gpuE4ELNS1_3repE0EEENS1_30default_config_static_selectorELNS0_4arch9wavefront6targetE1EEEvS12_.has_recursion, 0
	.set _ZN7rocprim17ROCPRIM_400000_NS6detail17trampoline_kernelINS0_13select_configILj256ELj13ELNS0_17block_load_methodE3ELS4_3ELS4_3ELNS0_20block_scan_algorithmE0ELj4294967295EEENS1_25partition_config_selectorILNS1_17partition_subalgoE4EjNS0_10empty_typeEbEEZZNS1_14partition_implILS8_4ELb0ES6_15HIP_vector_typeIjLj2EENS0_17counting_iteratorIjlEEPS9_SG_NS0_5tupleIJPjSI_NS0_16reverse_iteratorISI_EEEEENSH_IJSG_SG_SG_EEES9_SI_JZNS1_25segmented_radix_sort_implINS0_14default_configELb0EPKfPfPKlPlN2at6native12_GLOBAL__N_18offset_tEEE10hipError_tPvRmT1_PNSt15iterator_traitsIS12_E10value_typeET2_T3_PNS13_IS18_E10value_typeET4_jRbjT5_S1E_jjP12ihipStream_tbEUljE_ZNSN_ISO_Lb0ESQ_SR_ST_SU_SY_EESZ_S10_S11_S12_S16_S17_S18_S1B_S1C_jS1D_jS1E_S1E_jjS1G_bEUljE0_EEESZ_S10_S11_S18_S1C_S1E_T6_T7_T9_mT8_S1G_bDpT10_ENKUlT_T0_E_clISt17integral_constantIbLb1EES1T_IbLb0EEEEDaS1P_S1Q_EUlS1P_E_NS1_11comp_targetILNS1_3genE10ELNS1_11target_archE1200ELNS1_3gpuE4ELNS1_3repE0EEENS1_30default_config_static_selectorELNS0_4arch9wavefront6targetE1EEEvS12_.has_indirect_call, 0
	.section	.AMDGPU.csdata,"",@progbits
; Kernel info:
; codeLenInByte = 0
; TotalNumSgprs: 4
; NumVgprs: 0
; ScratchSize: 0
; MemoryBound: 0
; FloatMode: 240
; IeeeMode: 1
; LDSByteSize: 0 bytes/workgroup (compile time only)
; SGPRBlocks: 0
; VGPRBlocks: 0
; NumSGPRsForWavesPerEU: 4
; NumVGPRsForWavesPerEU: 1
; Occupancy: 10
; WaveLimiterHint : 0
; COMPUTE_PGM_RSRC2:SCRATCH_EN: 0
; COMPUTE_PGM_RSRC2:USER_SGPR: 6
; COMPUTE_PGM_RSRC2:TRAP_HANDLER: 0
; COMPUTE_PGM_RSRC2:TGID_X_EN: 1
; COMPUTE_PGM_RSRC2:TGID_Y_EN: 0
; COMPUTE_PGM_RSRC2:TGID_Z_EN: 0
; COMPUTE_PGM_RSRC2:TIDIG_COMP_CNT: 0
	.section	.text._ZN7rocprim17ROCPRIM_400000_NS6detail17trampoline_kernelINS0_13select_configILj256ELj13ELNS0_17block_load_methodE3ELS4_3ELS4_3ELNS0_20block_scan_algorithmE0ELj4294967295EEENS1_25partition_config_selectorILNS1_17partition_subalgoE4EjNS0_10empty_typeEbEEZZNS1_14partition_implILS8_4ELb0ES6_15HIP_vector_typeIjLj2EENS0_17counting_iteratorIjlEEPS9_SG_NS0_5tupleIJPjSI_NS0_16reverse_iteratorISI_EEEEENSH_IJSG_SG_SG_EEES9_SI_JZNS1_25segmented_radix_sort_implINS0_14default_configELb0EPKfPfPKlPlN2at6native12_GLOBAL__N_18offset_tEEE10hipError_tPvRmT1_PNSt15iterator_traitsIS12_E10value_typeET2_T3_PNS13_IS18_E10value_typeET4_jRbjT5_S1E_jjP12ihipStream_tbEUljE_ZNSN_ISO_Lb0ESQ_SR_ST_SU_SY_EESZ_S10_S11_S12_S16_S17_S18_S1B_S1C_jS1D_jS1E_S1E_jjS1G_bEUljE0_EEESZ_S10_S11_S18_S1C_S1E_T6_T7_T9_mT8_S1G_bDpT10_ENKUlT_T0_E_clISt17integral_constantIbLb1EES1T_IbLb0EEEEDaS1P_S1Q_EUlS1P_E_NS1_11comp_targetILNS1_3genE9ELNS1_11target_archE1100ELNS1_3gpuE3ELNS1_3repE0EEENS1_30default_config_static_selectorELNS0_4arch9wavefront6targetE1EEEvS12_,"axG",@progbits,_ZN7rocprim17ROCPRIM_400000_NS6detail17trampoline_kernelINS0_13select_configILj256ELj13ELNS0_17block_load_methodE3ELS4_3ELS4_3ELNS0_20block_scan_algorithmE0ELj4294967295EEENS1_25partition_config_selectorILNS1_17partition_subalgoE4EjNS0_10empty_typeEbEEZZNS1_14partition_implILS8_4ELb0ES6_15HIP_vector_typeIjLj2EENS0_17counting_iteratorIjlEEPS9_SG_NS0_5tupleIJPjSI_NS0_16reverse_iteratorISI_EEEEENSH_IJSG_SG_SG_EEES9_SI_JZNS1_25segmented_radix_sort_implINS0_14default_configELb0EPKfPfPKlPlN2at6native12_GLOBAL__N_18offset_tEEE10hipError_tPvRmT1_PNSt15iterator_traitsIS12_E10value_typeET2_T3_PNS13_IS18_E10value_typeET4_jRbjT5_S1E_jjP12ihipStream_tbEUljE_ZNSN_ISO_Lb0ESQ_SR_ST_SU_SY_EESZ_S10_S11_S12_S16_S17_S18_S1B_S1C_jS1D_jS1E_S1E_jjS1G_bEUljE0_EEESZ_S10_S11_S18_S1C_S1E_T6_T7_T9_mT8_S1G_bDpT10_ENKUlT_T0_E_clISt17integral_constantIbLb1EES1T_IbLb0EEEEDaS1P_S1Q_EUlS1P_E_NS1_11comp_targetILNS1_3genE9ELNS1_11target_archE1100ELNS1_3gpuE3ELNS1_3repE0EEENS1_30default_config_static_selectorELNS0_4arch9wavefront6targetE1EEEvS12_,comdat
	.globl	_ZN7rocprim17ROCPRIM_400000_NS6detail17trampoline_kernelINS0_13select_configILj256ELj13ELNS0_17block_load_methodE3ELS4_3ELS4_3ELNS0_20block_scan_algorithmE0ELj4294967295EEENS1_25partition_config_selectorILNS1_17partition_subalgoE4EjNS0_10empty_typeEbEEZZNS1_14partition_implILS8_4ELb0ES6_15HIP_vector_typeIjLj2EENS0_17counting_iteratorIjlEEPS9_SG_NS0_5tupleIJPjSI_NS0_16reverse_iteratorISI_EEEEENSH_IJSG_SG_SG_EEES9_SI_JZNS1_25segmented_radix_sort_implINS0_14default_configELb0EPKfPfPKlPlN2at6native12_GLOBAL__N_18offset_tEEE10hipError_tPvRmT1_PNSt15iterator_traitsIS12_E10value_typeET2_T3_PNS13_IS18_E10value_typeET4_jRbjT5_S1E_jjP12ihipStream_tbEUljE_ZNSN_ISO_Lb0ESQ_SR_ST_SU_SY_EESZ_S10_S11_S12_S16_S17_S18_S1B_S1C_jS1D_jS1E_S1E_jjS1G_bEUljE0_EEESZ_S10_S11_S18_S1C_S1E_T6_T7_T9_mT8_S1G_bDpT10_ENKUlT_T0_E_clISt17integral_constantIbLb1EES1T_IbLb0EEEEDaS1P_S1Q_EUlS1P_E_NS1_11comp_targetILNS1_3genE9ELNS1_11target_archE1100ELNS1_3gpuE3ELNS1_3repE0EEENS1_30default_config_static_selectorELNS0_4arch9wavefront6targetE1EEEvS12_ ; -- Begin function _ZN7rocprim17ROCPRIM_400000_NS6detail17trampoline_kernelINS0_13select_configILj256ELj13ELNS0_17block_load_methodE3ELS4_3ELS4_3ELNS0_20block_scan_algorithmE0ELj4294967295EEENS1_25partition_config_selectorILNS1_17partition_subalgoE4EjNS0_10empty_typeEbEEZZNS1_14partition_implILS8_4ELb0ES6_15HIP_vector_typeIjLj2EENS0_17counting_iteratorIjlEEPS9_SG_NS0_5tupleIJPjSI_NS0_16reverse_iteratorISI_EEEEENSH_IJSG_SG_SG_EEES9_SI_JZNS1_25segmented_radix_sort_implINS0_14default_configELb0EPKfPfPKlPlN2at6native12_GLOBAL__N_18offset_tEEE10hipError_tPvRmT1_PNSt15iterator_traitsIS12_E10value_typeET2_T3_PNS13_IS18_E10value_typeET4_jRbjT5_S1E_jjP12ihipStream_tbEUljE_ZNSN_ISO_Lb0ESQ_SR_ST_SU_SY_EESZ_S10_S11_S12_S16_S17_S18_S1B_S1C_jS1D_jS1E_S1E_jjS1G_bEUljE0_EEESZ_S10_S11_S18_S1C_S1E_T6_T7_T9_mT8_S1G_bDpT10_ENKUlT_T0_E_clISt17integral_constantIbLb1EES1T_IbLb0EEEEDaS1P_S1Q_EUlS1P_E_NS1_11comp_targetILNS1_3genE9ELNS1_11target_archE1100ELNS1_3gpuE3ELNS1_3repE0EEENS1_30default_config_static_selectorELNS0_4arch9wavefront6targetE1EEEvS12_
	.p2align	8
	.type	_ZN7rocprim17ROCPRIM_400000_NS6detail17trampoline_kernelINS0_13select_configILj256ELj13ELNS0_17block_load_methodE3ELS4_3ELS4_3ELNS0_20block_scan_algorithmE0ELj4294967295EEENS1_25partition_config_selectorILNS1_17partition_subalgoE4EjNS0_10empty_typeEbEEZZNS1_14partition_implILS8_4ELb0ES6_15HIP_vector_typeIjLj2EENS0_17counting_iteratorIjlEEPS9_SG_NS0_5tupleIJPjSI_NS0_16reverse_iteratorISI_EEEEENSH_IJSG_SG_SG_EEES9_SI_JZNS1_25segmented_radix_sort_implINS0_14default_configELb0EPKfPfPKlPlN2at6native12_GLOBAL__N_18offset_tEEE10hipError_tPvRmT1_PNSt15iterator_traitsIS12_E10value_typeET2_T3_PNS13_IS18_E10value_typeET4_jRbjT5_S1E_jjP12ihipStream_tbEUljE_ZNSN_ISO_Lb0ESQ_SR_ST_SU_SY_EESZ_S10_S11_S12_S16_S17_S18_S1B_S1C_jS1D_jS1E_S1E_jjS1G_bEUljE0_EEESZ_S10_S11_S18_S1C_S1E_T6_T7_T9_mT8_S1G_bDpT10_ENKUlT_T0_E_clISt17integral_constantIbLb1EES1T_IbLb0EEEEDaS1P_S1Q_EUlS1P_E_NS1_11comp_targetILNS1_3genE9ELNS1_11target_archE1100ELNS1_3gpuE3ELNS1_3repE0EEENS1_30default_config_static_selectorELNS0_4arch9wavefront6targetE1EEEvS12_,@function
_ZN7rocprim17ROCPRIM_400000_NS6detail17trampoline_kernelINS0_13select_configILj256ELj13ELNS0_17block_load_methodE3ELS4_3ELS4_3ELNS0_20block_scan_algorithmE0ELj4294967295EEENS1_25partition_config_selectorILNS1_17partition_subalgoE4EjNS0_10empty_typeEbEEZZNS1_14partition_implILS8_4ELb0ES6_15HIP_vector_typeIjLj2EENS0_17counting_iteratorIjlEEPS9_SG_NS0_5tupleIJPjSI_NS0_16reverse_iteratorISI_EEEEENSH_IJSG_SG_SG_EEES9_SI_JZNS1_25segmented_radix_sort_implINS0_14default_configELb0EPKfPfPKlPlN2at6native12_GLOBAL__N_18offset_tEEE10hipError_tPvRmT1_PNSt15iterator_traitsIS12_E10value_typeET2_T3_PNS13_IS18_E10value_typeET4_jRbjT5_S1E_jjP12ihipStream_tbEUljE_ZNSN_ISO_Lb0ESQ_SR_ST_SU_SY_EESZ_S10_S11_S12_S16_S17_S18_S1B_S1C_jS1D_jS1E_S1E_jjS1G_bEUljE0_EEESZ_S10_S11_S18_S1C_S1E_T6_T7_T9_mT8_S1G_bDpT10_ENKUlT_T0_E_clISt17integral_constantIbLb1EES1T_IbLb0EEEEDaS1P_S1Q_EUlS1P_E_NS1_11comp_targetILNS1_3genE9ELNS1_11target_archE1100ELNS1_3gpuE3ELNS1_3repE0EEENS1_30default_config_static_selectorELNS0_4arch9wavefront6targetE1EEEvS12_: ; @_ZN7rocprim17ROCPRIM_400000_NS6detail17trampoline_kernelINS0_13select_configILj256ELj13ELNS0_17block_load_methodE3ELS4_3ELS4_3ELNS0_20block_scan_algorithmE0ELj4294967295EEENS1_25partition_config_selectorILNS1_17partition_subalgoE4EjNS0_10empty_typeEbEEZZNS1_14partition_implILS8_4ELb0ES6_15HIP_vector_typeIjLj2EENS0_17counting_iteratorIjlEEPS9_SG_NS0_5tupleIJPjSI_NS0_16reverse_iteratorISI_EEEEENSH_IJSG_SG_SG_EEES9_SI_JZNS1_25segmented_radix_sort_implINS0_14default_configELb0EPKfPfPKlPlN2at6native12_GLOBAL__N_18offset_tEEE10hipError_tPvRmT1_PNSt15iterator_traitsIS12_E10value_typeET2_T3_PNS13_IS18_E10value_typeET4_jRbjT5_S1E_jjP12ihipStream_tbEUljE_ZNSN_ISO_Lb0ESQ_SR_ST_SU_SY_EESZ_S10_S11_S12_S16_S17_S18_S1B_S1C_jS1D_jS1E_S1E_jjS1G_bEUljE0_EEESZ_S10_S11_S18_S1C_S1E_T6_T7_T9_mT8_S1G_bDpT10_ENKUlT_T0_E_clISt17integral_constantIbLb1EES1T_IbLb0EEEEDaS1P_S1Q_EUlS1P_E_NS1_11comp_targetILNS1_3genE9ELNS1_11target_archE1100ELNS1_3gpuE3ELNS1_3repE0EEENS1_30default_config_static_selectorELNS0_4arch9wavefront6targetE1EEEvS12_
; %bb.0:
	.section	.rodata,"a",@progbits
	.p2align	6, 0x0
	.amdhsa_kernel _ZN7rocprim17ROCPRIM_400000_NS6detail17trampoline_kernelINS0_13select_configILj256ELj13ELNS0_17block_load_methodE3ELS4_3ELS4_3ELNS0_20block_scan_algorithmE0ELj4294967295EEENS1_25partition_config_selectorILNS1_17partition_subalgoE4EjNS0_10empty_typeEbEEZZNS1_14partition_implILS8_4ELb0ES6_15HIP_vector_typeIjLj2EENS0_17counting_iteratorIjlEEPS9_SG_NS0_5tupleIJPjSI_NS0_16reverse_iteratorISI_EEEEENSH_IJSG_SG_SG_EEES9_SI_JZNS1_25segmented_radix_sort_implINS0_14default_configELb0EPKfPfPKlPlN2at6native12_GLOBAL__N_18offset_tEEE10hipError_tPvRmT1_PNSt15iterator_traitsIS12_E10value_typeET2_T3_PNS13_IS18_E10value_typeET4_jRbjT5_S1E_jjP12ihipStream_tbEUljE_ZNSN_ISO_Lb0ESQ_SR_ST_SU_SY_EESZ_S10_S11_S12_S16_S17_S18_S1B_S1C_jS1D_jS1E_S1E_jjS1G_bEUljE0_EEESZ_S10_S11_S18_S1C_S1E_T6_T7_T9_mT8_S1G_bDpT10_ENKUlT_T0_E_clISt17integral_constantIbLb1EES1T_IbLb0EEEEDaS1P_S1Q_EUlS1P_E_NS1_11comp_targetILNS1_3genE9ELNS1_11target_archE1100ELNS1_3gpuE3ELNS1_3repE0EEENS1_30default_config_static_selectorELNS0_4arch9wavefront6targetE1EEEvS12_
		.amdhsa_group_segment_fixed_size 0
		.amdhsa_private_segment_fixed_size 0
		.amdhsa_kernarg_size 176
		.amdhsa_user_sgpr_count 6
		.amdhsa_user_sgpr_private_segment_buffer 1
		.amdhsa_user_sgpr_dispatch_ptr 0
		.amdhsa_user_sgpr_queue_ptr 0
		.amdhsa_user_sgpr_kernarg_segment_ptr 1
		.amdhsa_user_sgpr_dispatch_id 0
		.amdhsa_user_sgpr_flat_scratch_init 0
		.amdhsa_user_sgpr_private_segment_size 0
		.amdhsa_uses_dynamic_stack 0
		.amdhsa_system_sgpr_private_segment_wavefront_offset 0
		.amdhsa_system_sgpr_workgroup_id_x 1
		.amdhsa_system_sgpr_workgroup_id_y 0
		.amdhsa_system_sgpr_workgroup_id_z 0
		.amdhsa_system_sgpr_workgroup_info 0
		.amdhsa_system_vgpr_workitem_id 0
		.amdhsa_next_free_vgpr 1
		.amdhsa_next_free_sgpr 0
		.amdhsa_reserve_vcc 0
		.amdhsa_reserve_flat_scratch 0
		.amdhsa_float_round_mode_32 0
		.amdhsa_float_round_mode_16_64 0
		.amdhsa_float_denorm_mode_32 3
		.amdhsa_float_denorm_mode_16_64 3
		.amdhsa_dx10_clamp 1
		.amdhsa_ieee_mode 1
		.amdhsa_fp16_overflow 0
		.amdhsa_exception_fp_ieee_invalid_op 0
		.amdhsa_exception_fp_denorm_src 0
		.amdhsa_exception_fp_ieee_div_zero 0
		.amdhsa_exception_fp_ieee_overflow 0
		.amdhsa_exception_fp_ieee_underflow 0
		.amdhsa_exception_fp_ieee_inexact 0
		.amdhsa_exception_int_div_zero 0
	.end_amdhsa_kernel
	.section	.text._ZN7rocprim17ROCPRIM_400000_NS6detail17trampoline_kernelINS0_13select_configILj256ELj13ELNS0_17block_load_methodE3ELS4_3ELS4_3ELNS0_20block_scan_algorithmE0ELj4294967295EEENS1_25partition_config_selectorILNS1_17partition_subalgoE4EjNS0_10empty_typeEbEEZZNS1_14partition_implILS8_4ELb0ES6_15HIP_vector_typeIjLj2EENS0_17counting_iteratorIjlEEPS9_SG_NS0_5tupleIJPjSI_NS0_16reverse_iteratorISI_EEEEENSH_IJSG_SG_SG_EEES9_SI_JZNS1_25segmented_radix_sort_implINS0_14default_configELb0EPKfPfPKlPlN2at6native12_GLOBAL__N_18offset_tEEE10hipError_tPvRmT1_PNSt15iterator_traitsIS12_E10value_typeET2_T3_PNS13_IS18_E10value_typeET4_jRbjT5_S1E_jjP12ihipStream_tbEUljE_ZNSN_ISO_Lb0ESQ_SR_ST_SU_SY_EESZ_S10_S11_S12_S16_S17_S18_S1B_S1C_jS1D_jS1E_S1E_jjS1G_bEUljE0_EEESZ_S10_S11_S18_S1C_S1E_T6_T7_T9_mT8_S1G_bDpT10_ENKUlT_T0_E_clISt17integral_constantIbLb1EES1T_IbLb0EEEEDaS1P_S1Q_EUlS1P_E_NS1_11comp_targetILNS1_3genE9ELNS1_11target_archE1100ELNS1_3gpuE3ELNS1_3repE0EEENS1_30default_config_static_selectorELNS0_4arch9wavefront6targetE1EEEvS12_,"axG",@progbits,_ZN7rocprim17ROCPRIM_400000_NS6detail17trampoline_kernelINS0_13select_configILj256ELj13ELNS0_17block_load_methodE3ELS4_3ELS4_3ELNS0_20block_scan_algorithmE0ELj4294967295EEENS1_25partition_config_selectorILNS1_17partition_subalgoE4EjNS0_10empty_typeEbEEZZNS1_14partition_implILS8_4ELb0ES6_15HIP_vector_typeIjLj2EENS0_17counting_iteratorIjlEEPS9_SG_NS0_5tupleIJPjSI_NS0_16reverse_iteratorISI_EEEEENSH_IJSG_SG_SG_EEES9_SI_JZNS1_25segmented_radix_sort_implINS0_14default_configELb0EPKfPfPKlPlN2at6native12_GLOBAL__N_18offset_tEEE10hipError_tPvRmT1_PNSt15iterator_traitsIS12_E10value_typeET2_T3_PNS13_IS18_E10value_typeET4_jRbjT5_S1E_jjP12ihipStream_tbEUljE_ZNSN_ISO_Lb0ESQ_SR_ST_SU_SY_EESZ_S10_S11_S12_S16_S17_S18_S1B_S1C_jS1D_jS1E_S1E_jjS1G_bEUljE0_EEESZ_S10_S11_S18_S1C_S1E_T6_T7_T9_mT8_S1G_bDpT10_ENKUlT_T0_E_clISt17integral_constantIbLb1EES1T_IbLb0EEEEDaS1P_S1Q_EUlS1P_E_NS1_11comp_targetILNS1_3genE9ELNS1_11target_archE1100ELNS1_3gpuE3ELNS1_3repE0EEENS1_30default_config_static_selectorELNS0_4arch9wavefront6targetE1EEEvS12_,comdat
.Lfunc_end1386:
	.size	_ZN7rocprim17ROCPRIM_400000_NS6detail17trampoline_kernelINS0_13select_configILj256ELj13ELNS0_17block_load_methodE3ELS4_3ELS4_3ELNS0_20block_scan_algorithmE0ELj4294967295EEENS1_25partition_config_selectorILNS1_17partition_subalgoE4EjNS0_10empty_typeEbEEZZNS1_14partition_implILS8_4ELb0ES6_15HIP_vector_typeIjLj2EENS0_17counting_iteratorIjlEEPS9_SG_NS0_5tupleIJPjSI_NS0_16reverse_iteratorISI_EEEEENSH_IJSG_SG_SG_EEES9_SI_JZNS1_25segmented_radix_sort_implINS0_14default_configELb0EPKfPfPKlPlN2at6native12_GLOBAL__N_18offset_tEEE10hipError_tPvRmT1_PNSt15iterator_traitsIS12_E10value_typeET2_T3_PNS13_IS18_E10value_typeET4_jRbjT5_S1E_jjP12ihipStream_tbEUljE_ZNSN_ISO_Lb0ESQ_SR_ST_SU_SY_EESZ_S10_S11_S12_S16_S17_S18_S1B_S1C_jS1D_jS1E_S1E_jjS1G_bEUljE0_EEESZ_S10_S11_S18_S1C_S1E_T6_T7_T9_mT8_S1G_bDpT10_ENKUlT_T0_E_clISt17integral_constantIbLb1EES1T_IbLb0EEEEDaS1P_S1Q_EUlS1P_E_NS1_11comp_targetILNS1_3genE9ELNS1_11target_archE1100ELNS1_3gpuE3ELNS1_3repE0EEENS1_30default_config_static_selectorELNS0_4arch9wavefront6targetE1EEEvS12_, .Lfunc_end1386-_ZN7rocprim17ROCPRIM_400000_NS6detail17trampoline_kernelINS0_13select_configILj256ELj13ELNS0_17block_load_methodE3ELS4_3ELS4_3ELNS0_20block_scan_algorithmE0ELj4294967295EEENS1_25partition_config_selectorILNS1_17partition_subalgoE4EjNS0_10empty_typeEbEEZZNS1_14partition_implILS8_4ELb0ES6_15HIP_vector_typeIjLj2EENS0_17counting_iteratorIjlEEPS9_SG_NS0_5tupleIJPjSI_NS0_16reverse_iteratorISI_EEEEENSH_IJSG_SG_SG_EEES9_SI_JZNS1_25segmented_radix_sort_implINS0_14default_configELb0EPKfPfPKlPlN2at6native12_GLOBAL__N_18offset_tEEE10hipError_tPvRmT1_PNSt15iterator_traitsIS12_E10value_typeET2_T3_PNS13_IS18_E10value_typeET4_jRbjT5_S1E_jjP12ihipStream_tbEUljE_ZNSN_ISO_Lb0ESQ_SR_ST_SU_SY_EESZ_S10_S11_S12_S16_S17_S18_S1B_S1C_jS1D_jS1E_S1E_jjS1G_bEUljE0_EEESZ_S10_S11_S18_S1C_S1E_T6_T7_T9_mT8_S1G_bDpT10_ENKUlT_T0_E_clISt17integral_constantIbLb1EES1T_IbLb0EEEEDaS1P_S1Q_EUlS1P_E_NS1_11comp_targetILNS1_3genE9ELNS1_11target_archE1100ELNS1_3gpuE3ELNS1_3repE0EEENS1_30default_config_static_selectorELNS0_4arch9wavefront6targetE1EEEvS12_
                                        ; -- End function
	.set _ZN7rocprim17ROCPRIM_400000_NS6detail17trampoline_kernelINS0_13select_configILj256ELj13ELNS0_17block_load_methodE3ELS4_3ELS4_3ELNS0_20block_scan_algorithmE0ELj4294967295EEENS1_25partition_config_selectorILNS1_17partition_subalgoE4EjNS0_10empty_typeEbEEZZNS1_14partition_implILS8_4ELb0ES6_15HIP_vector_typeIjLj2EENS0_17counting_iteratorIjlEEPS9_SG_NS0_5tupleIJPjSI_NS0_16reverse_iteratorISI_EEEEENSH_IJSG_SG_SG_EEES9_SI_JZNS1_25segmented_radix_sort_implINS0_14default_configELb0EPKfPfPKlPlN2at6native12_GLOBAL__N_18offset_tEEE10hipError_tPvRmT1_PNSt15iterator_traitsIS12_E10value_typeET2_T3_PNS13_IS18_E10value_typeET4_jRbjT5_S1E_jjP12ihipStream_tbEUljE_ZNSN_ISO_Lb0ESQ_SR_ST_SU_SY_EESZ_S10_S11_S12_S16_S17_S18_S1B_S1C_jS1D_jS1E_S1E_jjS1G_bEUljE0_EEESZ_S10_S11_S18_S1C_S1E_T6_T7_T9_mT8_S1G_bDpT10_ENKUlT_T0_E_clISt17integral_constantIbLb1EES1T_IbLb0EEEEDaS1P_S1Q_EUlS1P_E_NS1_11comp_targetILNS1_3genE9ELNS1_11target_archE1100ELNS1_3gpuE3ELNS1_3repE0EEENS1_30default_config_static_selectorELNS0_4arch9wavefront6targetE1EEEvS12_.num_vgpr, 0
	.set _ZN7rocprim17ROCPRIM_400000_NS6detail17trampoline_kernelINS0_13select_configILj256ELj13ELNS0_17block_load_methodE3ELS4_3ELS4_3ELNS0_20block_scan_algorithmE0ELj4294967295EEENS1_25partition_config_selectorILNS1_17partition_subalgoE4EjNS0_10empty_typeEbEEZZNS1_14partition_implILS8_4ELb0ES6_15HIP_vector_typeIjLj2EENS0_17counting_iteratorIjlEEPS9_SG_NS0_5tupleIJPjSI_NS0_16reverse_iteratorISI_EEEEENSH_IJSG_SG_SG_EEES9_SI_JZNS1_25segmented_radix_sort_implINS0_14default_configELb0EPKfPfPKlPlN2at6native12_GLOBAL__N_18offset_tEEE10hipError_tPvRmT1_PNSt15iterator_traitsIS12_E10value_typeET2_T3_PNS13_IS18_E10value_typeET4_jRbjT5_S1E_jjP12ihipStream_tbEUljE_ZNSN_ISO_Lb0ESQ_SR_ST_SU_SY_EESZ_S10_S11_S12_S16_S17_S18_S1B_S1C_jS1D_jS1E_S1E_jjS1G_bEUljE0_EEESZ_S10_S11_S18_S1C_S1E_T6_T7_T9_mT8_S1G_bDpT10_ENKUlT_T0_E_clISt17integral_constantIbLb1EES1T_IbLb0EEEEDaS1P_S1Q_EUlS1P_E_NS1_11comp_targetILNS1_3genE9ELNS1_11target_archE1100ELNS1_3gpuE3ELNS1_3repE0EEENS1_30default_config_static_selectorELNS0_4arch9wavefront6targetE1EEEvS12_.num_agpr, 0
	.set _ZN7rocprim17ROCPRIM_400000_NS6detail17trampoline_kernelINS0_13select_configILj256ELj13ELNS0_17block_load_methodE3ELS4_3ELS4_3ELNS0_20block_scan_algorithmE0ELj4294967295EEENS1_25partition_config_selectorILNS1_17partition_subalgoE4EjNS0_10empty_typeEbEEZZNS1_14partition_implILS8_4ELb0ES6_15HIP_vector_typeIjLj2EENS0_17counting_iteratorIjlEEPS9_SG_NS0_5tupleIJPjSI_NS0_16reverse_iteratorISI_EEEEENSH_IJSG_SG_SG_EEES9_SI_JZNS1_25segmented_radix_sort_implINS0_14default_configELb0EPKfPfPKlPlN2at6native12_GLOBAL__N_18offset_tEEE10hipError_tPvRmT1_PNSt15iterator_traitsIS12_E10value_typeET2_T3_PNS13_IS18_E10value_typeET4_jRbjT5_S1E_jjP12ihipStream_tbEUljE_ZNSN_ISO_Lb0ESQ_SR_ST_SU_SY_EESZ_S10_S11_S12_S16_S17_S18_S1B_S1C_jS1D_jS1E_S1E_jjS1G_bEUljE0_EEESZ_S10_S11_S18_S1C_S1E_T6_T7_T9_mT8_S1G_bDpT10_ENKUlT_T0_E_clISt17integral_constantIbLb1EES1T_IbLb0EEEEDaS1P_S1Q_EUlS1P_E_NS1_11comp_targetILNS1_3genE9ELNS1_11target_archE1100ELNS1_3gpuE3ELNS1_3repE0EEENS1_30default_config_static_selectorELNS0_4arch9wavefront6targetE1EEEvS12_.numbered_sgpr, 0
	.set _ZN7rocprim17ROCPRIM_400000_NS6detail17trampoline_kernelINS0_13select_configILj256ELj13ELNS0_17block_load_methodE3ELS4_3ELS4_3ELNS0_20block_scan_algorithmE0ELj4294967295EEENS1_25partition_config_selectorILNS1_17partition_subalgoE4EjNS0_10empty_typeEbEEZZNS1_14partition_implILS8_4ELb0ES6_15HIP_vector_typeIjLj2EENS0_17counting_iteratorIjlEEPS9_SG_NS0_5tupleIJPjSI_NS0_16reverse_iteratorISI_EEEEENSH_IJSG_SG_SG_EEES9_SI_JZNS1_25segmented_radix_sort_implINS0_14default_configELb0EPKfPfPKlPlN2at6native12_GLOBAL__N_18offset_tEEE10hipError_tPvRmT1_PNSt15iterator_traitsIS12_E10value_typeET2_T3_PNS13_IS18_E10value_typeET4_jRbjT5_S1E_jjP12ihipStream_tbEUljE_ZNSN_ISO_Lb0ESQ_SR_ST_SU_SY_EESZ_S10_S11_S12_S16_S17_S18_S1B_S1C_jS1D_jS1E_S1E_jjS1G_bEUljE0_EEESZ_S10_S11_S18_S1C_S1E_T6_T7_T9_mT8_S1G_bDpT10_ENKUlT_T0_E_clISt17integral_constantIbLb1EES1T_IbLb0EEEEDaS1P_S1Q_EUlS1P_E_NS1_11comp_targetILNS1_3genE9ELNS1_11target_archE1100ELNS1_3gpuE3ELNS1_3repE0EEENS1_30default_config_static_selectorELNS0_4arch9wavefront6targetE1EEEvS12_.num_named_barrier, 0
	.set _ZN7rocprim17ROCPRIM_400000_NS6detail17trampoline_kernelINS0_13select_configILj256ELj13ELNS0_17block_load_methodE3ELS4_3ELS4_3ELNS0_20block_scan_algorithmE0ELj4294967295EEENS1_25partition_config_selectorILNS1_17partition_subalgoE4EjNS0_10empty_typeEbEEZZNS1_14partition_implILS8_4ELb0ES6_15HIP_vector_typeIjLj2EENS0_17counting_iteratorIjlEEPS9_SG_NS0_5tupleIJPjSI_NS0_16reverse_iteratorISI_EEEEENSH_IJSG_SG_SG_EEES9_SI_JZNS1_25segmented_radix_sort_implINS0_14default_configELb0EPKfPfPKlPlN2at6native12_GLOBAL__N_18offset_tEEE10hipError_tPvRmT1_PNSt15iterator_traitsIS12_E10value_typeET2_T3_PNS13_IS18_E10value_typeET4_jRbjT5_S1E_jjP12ihipStream_tbEUljE_ZNSN_ISO_Lb0ESQ_SR_ST_SU_SY_EESZ_S10_S11_S12_S16_S17_S18_S1B_S1C_jS1D_jS1E_S1E_jjS1G_bEUljE0_EEESZ_S10_S11_S18_S1C_S1E_T6_T7_T9_mT8_S1G_bDpT10_ENKUlT_T0_E_clISt17integral_constantIbLb1EES1T_IbLb0EEEEDaS1P_S1Q_EUlS1P_E_NS1_11comp_targetILNS1_3genE9ELNS1_11target_archE1100ELNS1_3gpuE3ELNS1_3repE0EEENS1_30default_config_static_selectorELNS0_4arch9wavefront6targetE1EEEvS12_.private_seg_size, 0
	.set _ZN7rocprim17ROCPRIM_400000_NS6detail17trampoline_kernelINS0_13select_configILj256ELj13ELNS0_17block_load_methodE3ELS4_3ELS4_3ELNS0_20block_scan_algorithmE0ELj4294967295EEENS1_25partition_config_selectorILNS1_17partition_subalgoE4EjNS0_10empty_typeEbEEZZNS1_14partition_implILS8_4ELb0ES6_15HIP_vector_typeIjLj2EENS0_17counting_iteratorIjlEEPS9_SG_NS0_5tupleIJPjSI_NS0_16reverse_iteratorISI_EEEEENSH_IJSG_SG_SG_EEES9_SI_JZNS1_25segmented_radix_sort_implINS0_14default_configELb0EPKfPfPKlPlN2at6native12_GLOBAL__N_18offset_tEEE10hipError_tPvRmT1_PNSt15iterator_traitsIS12_E10value_typeET2_T3_PNS13_IS18_E10value_typeET4_jRbjT5_S1E_jjP12ihipStream_tbEUljE_ZNSN_ISO_Lb0ESQ_SR_ST_SU_SY_EESZ_S10_S11_S12_S16_S17_S18_S1B_S1C_jS1D_jS1E_S1E_jjS1G_bEUljE0_EEESZ_S10_S11_S18_S1C_S1E_T6_T7_T9_mT8_S1G_bDpT10_ENKUlT_T0_E_clISt17integral_constantIbLb1EES1T_IbLb0EEEEDaS1P_S1Q_EUlS1P_E_NS1_11comp_targetILNS1_3genE9ELNS1_11target_archE1100ELNS1_3gpuE3ELNS1_3repE0EEENS1_30default_config_static_selectorELNS0_4arch9wavefront6targetE1EEEvS12_.uses_vcc, 0
	.set _ZN7rocprim17ROCPRIM_400000_NS6detail17trampoline_kernelINS0_13select_configILj256ELj13ELNS0_17block_load_methodE3ELS4_3ELS4_3ELNS0_20block_scan_algorithmE0ELj4294967295EEENS1_25partition_config_selectorILNS1_17partition_subalgoE4EjNS0_10empty_typeEbEEZZNS1_14partition_implILS8_4ELb0ES6_15HIP_vector_typeIjLj2EENS0_17counting_iteratorIjlEEPS9_SG_NS0_5tupleIJPjSI_NS0_16reverse_iteratorISI_EEEEENSH_IJSG_SG_SG_EEES9_SI_JZNS1_25segmented_radix_sort_implINS0_14default_configELb0EPKfPfPKlPlN2at6native12_GLOBAL__N_18offset_tEEE10hipError_tPvRmT1_PNSt15iterator_traitsIS12_E10value_typeET2_T3_PNS13_IS18_E10value_typeET4_jRbjT5_S1E_jjP12ihipStream_tbEUljE_ZNSN_ISO_Lb0ESQ_SR_ST_SU_SY_EESZ_S10_S11_S12_S16_S17_S18_S1B_S1C_jS1D_jS1E_S1E_jjS1G_bEUljE0_EEESZ_S10_S11_S18_S1C_S1E_T6_T7_T9_mT8_S1G_bDpT10_ENKUlT_T0_E_clISt17integral_constantIbLb1EES1T_IbLb0EEEEDaS1P_S1Q_EUlS1P_E_NS1_11comp_targetILNS1_3genE9ELNS1_11target_archE1100ELNS1_3gpuE3ELNS1_3repE0EEENS1_30default_config_static_selectorELNS0_4arch9wavefront6targetE1EEEvS12_.uses_flat_scratch, 0
	.set _ZN7rocprim17ROCPRIM_400000_NS6detail17trampoline_kernelINS0_13select_configILj256ELj13ELNS0_17block_load_methodE3ELS4_3ELS4_3ELNS0_20block_scan_algorithmE0ELj4294967295EEENS1_25partition_config_selectorILNS1_17partition_subalgoE4EjNS0_10empty_typeEbEEZZNS1_14partition_implILS8_4ELb0ES6_15HIP_vector_typeIjLj2EENS0_17counting_iteratorIjlEEPS9_SG_NS0_5tupleIJPjSI_NS0_16reverse_iteratorISI_EEEEENSH_IJSG_SG_SG_EEES9_SI_JZNS1_25segmented_radix_sort_implINS0_14default_configELb0EPKfPfPKlPlN2at6native12_GLOBAL__N_18offset_tEEE10hipError_tPvRmT1_PNSt15iterator_traitsIS12_E10value_typeET2_T3_PNS13_IS18_E10value_typeET4_jRbjT5_S1E_jjP12ihipStream_tbEUljE_ZNSN_ISO_Lb0ESQ_SR_ST_SU_SY_EESZ_S10_S11_S12_S16_S17_S18_S1B_S1C_jS1D_jS1E_S1E_jjS1G_bEUljE0_EEESZ_S10_S11_S18_S1C_S1E_T6_T7_T9_mT8_S1G_bDpT10_ENKUlT_T0_E_clISt17integral_constantIbLb1EES1T_IbLb0EEEEDaS1P_S1Q_EUlS1P_E_NS1_11comp_targetILNS1_3genE9ELNS1_11target_archE1100ELNS1_3gpuE3ELNS1_3repE0EEENS1_30default_config_static_selectorELNS0_4arch9wavefront6targetE1EEEvS12_.has_dyn_sized_stack, 0
	.set _ZN7rocprim17ROCPRIM_400000_NS6detail17trampoline_kernelINS0_13select_configILj256ELj13ELNS0_17block_load_methodE3ELS4_3ELS4_3ELNS0_20block_scan_algorithmE0ELj4294967295EEENS1_25partition_config_selectorILNS1_17partition_subalgoE4EjNS0_10empty_typeEbEEZZNS1_14partition_implILS8_4ELb0ES6_15HIP_vector_typeIjLj2EENS0_17counting_iteratorIjlEEPS9_SG_NS0_5tupleIJPjSI_NS0_16reverse_iteratorISI_EEEEENSH_IJSG_SG_SG_EEES9_SI_JZNS1_25segmented_radix_sort_implINS0_14default_configELb0EPKfPfPKlPlN2at6native12_GLOBAL__N_18offset_tEEE10hipError_tPvRmT1_PNSt15iterator_traitsIS12_E10value_typeET2_T3_PNS13_IS18_E10value_typeET4_jRbjT5_S1E_jjP12ihipStream_tbEUljE_ZNSN_ISO_Lb0ESQ_SR_ST_SU_SY_EESZ_S10_S11_S12_S16_S17_S18_S1B_S1C_jS1D_jS1E_S1E_jjS1G_bEUljE0_EEESZ_S10_S11_S18_S1C_S1E_T6_T7_T9_mT8_S1G_bDpT10_ENKUlT_T0_E_clISt17integral_constantIbLb1EES1T_IbLb0EEEEDaS1P_S1Q_EUlS1P_E_NS1_11comp_targetILNS1_3genE9ELNS1_11target_archE1100ELNS1_3gpuE3ELNS1_3repE0EEENS1_30default_config_static_selectorELNS0_4arch9wavefront6targetE1EEEvS12_.has_recursion, 0
	.set _ZN7rocprim17ROCPRIM_400000_NS6detail17trampoline_kernelINS0_13select_configILj256ELj13ELNS0_17block_load_methodE3ELS4_3ELS4_3ELNS0_20block_scan_algorithmE0ELj4294967295EEENS1_25partition_config_selectorILNS1_17partition_subalgoE4EjNS0_10empty_typeEbEEZZNS1_14partition_implILS8_4ELb0ES6_15HIP_vector_typeIjLj2EENS0_17counting_iteratorIjlEEPS9_SG_NS0_5tupleIJPjSI_NS0_16reverse_iteratorISI_EEEEENSH_IJSG_SG_SG_EEES9_SI_JZNS1_25segmented_radix_sort_implINS0_14default_configELb0EPKfPfPKlPlN2at6native12_GLOBAL__N_18offset_tEEE10hipError_tPvRmT1_PNSt15iterator_traitsIS12_E10value_typeET2_T3_PNS13_IS18_E10value_typeET4_jRbjT5_S1E_jjP12ihipStream_tbEUljE_ZNSN_ISO_Lb0ESQ_SR_ST_SU_SY_EESZ_S10_S11_S12_S16_S17_S18_S1B_S1C_jS1D_jS1E_S1E_jjS1G_bEUljE0_EEESZ_S10_S11_S18_S1C_S1E_T6_T7_T9_mT8_S1G_bDpT10_ENKUlT_T0_E_clISt17integral_constantIbLb1EES1T_IbLb0EEEEDaS1P_S1Q_EUlS1P_E_NS1_11comp_targetILNS1_3genE9ELNS1_11target_archE1100ELNS1_3gpuE3ELNS1_3repE0EEENS1_30default_config_static_selectorELNS0_4arch9wavefront6targetE1EEEvS12_.has_indirect_call, 0
	.section	.AMDGPU.csdata,"",@progbits
; Kernel info:
; codeLenInByte = 0
; TotalNumSgprs: 4
; NumVgprs: 0
; ScratchSize: 0
; MemoryBound: 0
; FloatMode: 240
; IeeeMode: 1
; LDSByteSize: 0 bytes/workgroup (compile time only)
; SGPRBlocks: 0
; VGPRBlocks: 0
; NumSGPRsForWavesPerEU: 4
; NumVGPRsForWavesPerEU: 1
; Occupancy: 10
; WaveLimiterHint : 0
; COMPUTE_PGM_RSRC2:SCRATCH_EN: 0
; COMPUTE_PGM_RSRC2:USER_SGPR: 6
; COMPUTE_PGM_RSRC2:TRAP_HANDLER: 0
; COMPUTE_PGM_RSRC2:TGID_X_EN: 1
; COMPUTE_PGM_RSRC2:TGID_Y_EN: 0
; COMPUTE_PGM_RSRC2:TGID_Z_EN: 0
; COMPUTE_PGM_RSRC2:TIDIG_COMP_CNT: 0
	.section	.text._ZN7rocprim17ROCPRIM_400000_NS6detail17trampoline_kernelINS0_13select_configILj256ELj13ELNS0_17block_load_methodE3ELS4_3ELS4_3ELNS0_20block_scan_algorithmE0ELj4294967295EEENS1_25partition_config_selectorILNS1_17partition_subalgoE4EjNS0_10empty_typeEbEEZZNS1_14partition_implILS8_4ELb0ES6_15HIP_vector_typeIjLj2EENS0_17counting_iteratorIjlEEPS9_SG_NS0_5tupleIJPjSI_NS0_16reverse_iteratorISI_EEEEENSH_IJSG_SG_SG_EEES9_SI_JZNS1_25segmented_radix_sort_implINS0_14default_configELb0EPKfPfPKlPlN2at6native12_GLOBAL__N_18offset_tEEE10hipError_tPvRmT1_PNSt15iterator_traitsIS12_E10value_typeET2_T3_PNS13_IS18_E10value_typeET4_jRbjT5_S1E_jjP12ihipStream_tbEUljE_ZNSN_ISO_Lb0ESQ_SR_ST_SU_SY_EESZ_S10_S11_S12_S16_S17_S18_S1B_S1C_jS1D_jS1E_S1E_jjS1G_bEUljE0_EEESZ_S10_S11_S18_S1C_S1E_T6_T7_T9_mT8_S1G_bDpT10_ENKUlT_T0_E_clISt17integral_constantIbLb1EES1T_IbLb0EEEEDaS1P_S1Q_EUlS1P_E_NS1_11comp_targetILNS1_3genE8ELNS1_11target_archE1030ELNS1_3gpuE2ELNS1_3repE0EEENS1_30default_config_static_selectorELNS0_4arch9wavefront6targetE1EEEvS12_,"axG",@progbits,_ZN7rocprim17ROCPRIM_400000_NS6detail17trampoline_kernelINS0_13select_configILj256ELj13ELNS0_17block_load_methodE3ELS4_3ELS4_3ELNS0_20block_scan_algorithmE0ELj4294967295EEENS1_25partition_config_selectorILNS1_17partition_subalgoE4EjNS0_10empty_typeEbEEZZNS1_14partition_implILS8_4ELb0ES6_15HIP_vector_typeIjLj2EENS0_17counting_iteratorIjlEEPS9_SG_NS0_5tupleIJPjSI_NS0_16reverse_iteratorISI_EEEEENSH_IJSG_SG_SG_EEES9_SI_JZNS1_25segmented_radix_sort_implINS0_14default_configELb0EPKfPfPKlPlN2at6native12_GLOBAL__N_18offset_tEEE10hipError_tPvRmT1_PNSt15iterator_traitsIS12_E10value_typeET2_T3_PNS13_IS18_E10value_typeET4_jRbjT5_S1E_jjP12ihipStream_tbEUljE_ZNSN_ISO_Lb0ESQ_SR_ST_SU_SY_EESZ_S10_S11_S12_S16_S17_S18_S1B_S1C_jS1D_jS1E_S1E_jjS1G_bEUljE0_EEESZ_S10_S11_S18_S1C_S1E_T6_T7_T9_mT8_S1G_bDpT10_ENKUlT_T0_E_clISt17integral_constantIbLb1EES1T_IbLb0EEEEDaS1P_S1Q_EUlS1P_E_NS1_11comp_targetILNS1_3genE8ELNS1_11target_archE1030ELNS1_3gpuE2ELNS1_3repE0EEENS1_30default_config_static_selectorELNS0_4arch9wavefront6targetE1EEEvS12_,comdat
	.globl	_ZN7rocprim17ROCPRIM_400000_NS6detail17trampoline_kernelINS0_13select_configILj256ELj13ELNS0_17block_load_methodE3ELS4_3ELS4_3ELNS0_20block_scan_algorithmE0ELj4294967295EEENS1_25partition_config_selectorILNS1_17partition_subalgoE4EjNS0_10empty_typeEbEEZZNS1_14partition_implILS8_4ELb0ES6_15HIP_vector_typeIjLj2EENS0_17counting_iteratorIjlEEPS9_SG_NS0_5tupleIJPjSI_NS0_16reverse_iteratorISI_EEEEENSH_IJSG_SG_SG_EEES9_SI_JZNS1_25segmented_radix_sort_implINS0_14default_configELb0EPKfPfPKlPlN2at6native12_GLOBAL__N_18offset_tEEE10hipError_tPvRmT1_PNSt15iterator_traitsIS12_E10value_typeET2_T3_PNS13_IS18_E10value_typeET4_jRbjT5_S1E_jjP12ihipStream_tbEUljE_ZNSN_ISO_Lb0ESQ_SR_ST_SU_SY_EESZ_S10_S11_S12_S16_S17_S18_S1B_S1C_jS1D_jS1E_S1E_jjS1G_bEUljE0_EEESZ_S10_S11_S18_S1C_S1E_T6_T7_T9_mT8_S1G_bDpT10_ENKUlT_T0_E_clISt17integral_constantIbLb1EES1T_IbLb0EEEEDaS1P_S1Q_EUlS1P_E_NS1_11comp_targetILNS1_3genE8ELNS1_11target_archE1030ELNS1_3gpuE2ELNS1_3repE0EEENS1_30default_config_static_selectorELNS0_4arch9wavefront6targetE1EEEvS12_ ; -- Begin function _ZN7rocprim17ROCPRIM_400000_NS6detail17trampoline_kernelINS0_13select_configILj256ELj13ELNS0_17block_load_methodE3ELS4_3ELS4_3ELNS0_20block_scan_algorithmE0ELj4294967295EEENS1_25partition_config_selectorILNS1_17partition_subalgoE4EjNS0_10empty_typeEbEEZZNS1_14partition_implILS8_4ELb0ES6_15HIP_vector_typeIjLj2EENS0_17counting_iteratorIjlEEPS9_SG_NS0_5tupleIJPjSI_NS0_16reverse_iteratorISI_EEEEENSH_IJSG_SG_SG_EEES9_SI_JZNS1_25segmented_radix_sort_implINS0_14default_configELb0EPKfPfPKlPlN2at6native12_GLOBAL__N_18offset_tEEE10hipError_tPvRmT1_PNSt15iterator_traitsIS12_E10value_typeET2_T3_PNS13_IS18_E10value_typeET4_jRbjT5_S1E_jjP12ihipStream_tbEUljE_ZNSN_ISO_Lb0ESQ_SR_ST_SU_SY_EESZ_S10_S11_S12_S16_S17_S18_S1B_S1C_jS1D_jS1E_S1E_jjS1G_bEUljE0_EEESZ_S10_S11_S18_S1C_S1E_T6_T7_T9_mT8_S1G_bDpT10_ENKUlT_T0_E_clISt17integral_constantIbLb1EES1T_IbLb0EEEEDaS1P_S1Q_EUlS1P_E_NS1_11comp_targetILNS1_3genE8ELNS1_11target_archE1030ELNS1_3gpuE2ELNS1_3repE0EEENS1_30default_config_static_selectorELNS0_4arch9wavefront6targetE1EEEvS12_
	.p2align	8
	.type	_ZN7rocprim17ROCPRIM_400000_NS6detail17trampoline_kernelINS0_13select_configILj256ELj13ELNS0_17block_load_methodE3ELS4_3ELS4_3ELNS0_20block_scan_algorithmE0ELj4294967295EEENS1_25partition_config_selectorILNS1_17partition_subalgoE4EjNS0_10empty_typeEbEEZZNS1_14partition_implILS8_4ELb0ES6_15HIP_vector_typeIjLj2EENS0_17counting_iteratorIjlEEPS9_SG_NS0_5tupleIJPjSI_NS0_16reverse_iteratorISI_EEEEENSH_IJSG_SG_SG_EEES9_SI_JZNS1_25segmented_radix_sort_implINS0_14default_configELb0EPKfPfPKlPlN2at6native12_GLOBAL__N_18offset_tEEE10hipError_tPvRmT1_PNSt15iterator_traitsIS12_E10value_typeET2_T3_PNS13_IS18_E10value_typeET4_jRbjT5_S1E_jjP12ihipStream_tbEUljE_ZNSN_ISO_Lb0ESQ_SR_ST_SU_SY_EESZ_S10_S11_S12_S16_S17_S18_S1B_S1C_jS1D_jS1E_S1E_jjS1G_bEUljE0_EEESZ_S10_S11_S18_S1C_S1E_T6_T7_T9_mT8_S1G_bDpT10_ENKUlT_T0_E_clISt17integral_constantIbLb1EES1T_IbLb0EEEEDaS1P_S1Q_EUlS1P_E_NS1_11comp_targetILNS1_3genE8ELNS1_11target_archE1030ELNS1_3gpuE2ELNS1_3repE0EEENS1_30default_config_static_selectorELNS0_4arch9wavefront6targetE1EEEvS12_,@function
_ZN7rocprim17ROCPRIM_400000_NS6detail17trampoline_kernelINS0_13select_configILj256ELj13ELNS0_17block_load_methodE3ELS4_3ELS4_3ELNS0_20block_scan_algorithmE0ELj4294967295EEENS1_25partition_config_selectorILNS1_17partition_subalgoE4EjNS0_10empty_typeEbEEZZNS1_14partition_implILS8_4ELb0ES6_15HIP_vector_typeIjLj2EENS0_17counting_iteratorIjlEEPS9_SG_NS0_5tupleIJPjSI_NS0_16reverse_iteratorISI_EEEEENSH_IJSG_SG_SG_EEES9_SI_JZNS1_25segmented_radix_sort_implINS0_14default_configELb0EPKfPfPKlPlN2at6native12_GLOBAL__N_18offset_tEEE10hipError_tPvRmT1_PNSt15iterator_traitsIS12_E10value_typeET2_T3_PNS13_IS18_E10value_typeET4_jRbjT5_S1E_jjP12ihipStream_tbEUljE_ZNSN_ISO_Lb0ESQ_SR_ST_SU_SY_EESZ_S10_S11_S12_S16_S17_S18_S1B_S1C_jS1D_jS1E_S1E_jjS1G_bEUljE0_EEESZ_S10_S11_S18_S1C_S1E_T6_T7_T9_mT8_S1G_bDpT10_ENKUlT_T0_E_clISt17integral_constantIbLb1EES1T_IbLb0EEEEDaS1P_S1Q_EUlS1P_E_NS1_11comp_targetILNS1_3genE8ELNS1_11target_archE1030ELNS1_3gpuE2ELNS1_3repE0EEENS1_30default_config_static_selectorELNS0_4arch9wavefront6targetE1EEEvS12_: ; @_ZN7rocprim17ROCPRIM_400000_NS6detail17trampoline_kernelINS0_13select_configILj256ELj13ELNS0_17block_load_methodE3ELS4_3ELS4_3ELNS0_20block_scan_algorithmE0ELj4294967295EEENS1_25partition_config_selectorILNS1_17partition_subalgoE4EjNS0_10empty_typeEbEEZZNS1_14partition_implILS8_4ELb0ES6_15HIP_vector_typeIjLj2EENS0_17counting_iteratorIjlEEPS9_SG_NS0_5tupleIJPjSI_NS0_16reverse_iteratorISI_EEEEENSH_IJSG_SG_SG_EEES9_SI_JZNS1_25segmented_radix_sort_implINS0_14default_configELb0EPKfPfPKlPlN2at6native12_GLOBAL__N_18offset_tEEE10hipError_tPvRmT1_PNSt15iterator_traitsIS12_E10value_typeET2_T3_PNS13_IS18_E10value_typeET4_jRbjT5_S1E_jjP12ihipStream_tbEUljE_ZNSN_ISO_Lb0ESQ_SR_ST_SU_SY_EESZ_S10_S11_S12_S16_S17_S18_S1B_S1C_jS1D_jS1E_S1E_jjS1G_bEUljE0_EEESZ_S10_S11_S18_S1C_S1E_T6_T7_T9_mT8_S1G_bDpT10_ENKUlT_T0_E_clISt17integral_constantIbLb1EES1T_IbLb0EEEEDaS1P_S1Q_EUlS1P_E_NS1_11comp_targetILNS1_3genE8ELNS1_11target_archE1030ELNS1_3gpuE2ELNS1_3repE0EEENS1_30default_config_static_selectorELNS0_4arch9wavefront6targetE1EEEvS12_
; %bb.0:
	.section	.rodata,"a",@progbits
	.p2align	6, 0x0
	.amdhsa_kernel _ZN7rocprim17ROCPRIM_400000_NS6detail17trampoline_kernelINS0_13select_configILj256ELj13ELNS0_17block_load_methodE3ELS4_3ELS4_3ELNS0_20block_scan_algorithmE0ELj4294967295EEENS1_25partition_config_selectorILNS1_17partition_subalgoE4EjNS0_10empty_typeEbEEZZNS1_14partition_implILS8_4ELb0ES6_15HIP_vector_typeIjLj2EENS0_17counting_iteratorIjlEEPS9_SG_NS0_5tupleIJPjSI_NS0_16reverse_iteratorISI_EEEEENSH_IJSG_SG_SG_EEES9_SI_JZNS1_25segmented_radix_sort_implINS0_14default_configELb0EPKfPfPKlPlN2at6native12_GLOBAL__N_18offset_tEEE10hipError_tPvRmT1_PNSt15iterator_traitsIS12_E10value_typeET2_T3_PNS13_IS18_E10value_typeET4_jRbjT5_S1E_jjP12ihipStream_tbEUljE_ZNSN_ISO_Lb0ESQ_SR_ST_SU_SY_EESZ_S10_S11_S12_S16_S17_S18_S1B_S1C_jS1D_jS1E_S1E_jjS1G_bEUljE0_EEESZ_S10_S11_S18_S1C_S1E_T6_T7_T9_mT8_S1G_bDpT10_ENKUlT_T0_E_clISt17integral_constantIbLb1EES1T_IbLb0EEEEDaS1P_S1Q_EUlS1P_E_NS1_11comp_targetILNS1_3genE8ELNS1_11target_archE1030ELNS1_3gpuE2ELNS1_3repE0EEENS1_30default_config_static_selectorELNS0_4arch9wavefront6targetE1EEEvS12_
		.amdhsa_group_segment_fixed_size 0
		.amdhsa_private_segment_fixed_size 0
		.amdhsa_kernarg_size 176
		.amdhsa_user_sgpr_count 6
		.amdhsa_user_sgpr_private_segment_buffer 1
		.amdhsa_user_sgpr_dispatch_ptr 0
		.amdhsa_user_sgpr_queue_ptr 0
		.amdhsa_user_sgpr_kernarg_segment_ptr 1
		.amdhsa_user_sgpr_dispatch_id 0
		.amdhsa_user_sgpr_flat_scratch_init 0
		.amdhsa_user_sgpr_private_segment_size 0
		.amdhsa_uses_dynamic_stack 0
		.amdhsa_system_sgpr_private_segment_wavefront_offset 0
		.amdhsa_system_sgpr_workgroup_id_x 1
		.amdhsa_system_sgpr_workgroup_id_y 0
		.amdhsa_system_sgpr_workgroup_id_z 0
		.amdhsa_system_sgpr_workgroup_info 0
		.amdhsa_system_vgpr_workitem_id 0
		.amdhsa_next_free_vgpr 1
		.amdhsa_next_free_sgpr 0
		.amdhsa_reserve_vcc 0
		.amdhsa_reserve_flat_scratch 0
		.amdhsa_float_round_mode_32 0
		.amdhsa_float_round_mode_16_64 0
		.amdhsa_float_denorm_mode_32 3
		.amdhsa_float_denorm_mode_16_64 3
		.amdhsa_dx10_clamp 1
		.amdhsa_ieee_mode 1
		.amdhsa_fp16_overflow 0
		.amdhsa_exception_fp_ieee_invalid_op 0
		.amdhsa_exception_fp_denorm_src 0
		.amdhsa_exception_fp_ieee_div_zero 0
		.amdhsa_exception_fp_ieee_overflow 0
		.amdhsa_exception_fp_ieee_underflow 0
		.amdhsa_exception_fp_ieee_inexact 0
		.amdhsa_exception_int_div_zero 0
	.end_amdhsa_kernel
	.section	.text._ZN7rocprim17ROCPRIM_400000_NS6detail17trampoline_kernelINS0_13select_configILj256ELj13ELNS0_17block_load_methodE3ELS4_3ELS4_3ELNS0_20block_scan_algorithmE0ELj4294967295EEENS1_25partition_config_selectorILNS1_17partition_subalgoE4EjNS0_10empty_typeEbEEZZNS1_14partition_implILS8_4ELb0ES6_15HIP_vector_typeIjLj2EENS0_17counting_iteratorIjlEEPS9_SG_NS0_5tupleIJPjSI_NS0_16reverse_iteratorISI_EEEEENSH_IJSG_SG_SG_EEES9_SI_JZNS1_25segmented_radix_sort_implINS0_14default_configELb0EPKfPfPKlPlN2at6native12_GLOBAL__N_18offset_tEEE10hipError_tPvRmT1_PNSt15iterator_traitsIS12_E10value_typeET2_T3_PNS13_IS18_E10value_typeET4_jRbjT5_S1E_jjP12ihipStream_tbEUljE_ZNSN_ISO_Lb0ESQ_SR_ST_SU_SY_EESZ_S10_S11_S12_S16_S17_S18_S1B_S1C_jS1D_jS1E_S1E_jjS1G_bEUljE0_EEESZ_S10_S11_S18_S1C_S1E_T6_T7_T9_mT8_S1G_bDpT10_ENKUlT_T0_E_clISt17integral_constantIbLb1EES1T_IbLb0EEEEDaS1P_S1Q_EUlS1P_E_NS1_11comp_targetILNS1_3genE8ELNS1_11target_archE1030ELNS1_3gpuE2ELNS1_3repE0EEENS1_30default_config_static_selectorELNS0_4arch9wavefront6targetE1EEEvS12_,"axG",@progbits,_ZN7rocprim17ROCPRIM_400000_NS6detail17trampoline_kernelINS0_13select_configILj256ELj13ELNS0_17block_load_methodE3ELS4_3ELS4_3ELNS0_20block_scan_algorithmE0ELj4294967295EEENS1_25partition_config_selectorILNS1_17partition_subalgoE4EjNS0_10empty_typeEbEEZZNS1_14partition_implILS8_4ELb0ES6_15HIP_vector_typeIjLj2EENS0_17counting_iteratorIjlEEPS9_SG_NS0_5tupleIJPjSI_NS0_16reverse_iteratorISI_EEEEENSH_IJSG_SG_SG_EEES9_SI_JZNS1_25segmented_radix_sort_implINS0_14default_configELb0EPKfPfPKlPlN2at6native12_GLOBAL__N_18offset_tEEE10hipError_tPvRmT1_PNSt15iterator_traitsIS12_E10value_typeET2_T3_PNS13_IS18_E10value_typeET4_jRbjT5_S1E_jjP12ihipStream_tbEUljE_ZNSN_ISO_Lb0ESQ_SR_ST_SU_SY_EESZ_S10_S11_S12_S16_S17_S18_S1B_S1C_jS1D_jS1E_S1E_jjS1G_bEUljE0_EEESZ_S10_S11_S18_S1C_S1E_T6_T7_T9_mT8_S1G_bDpT10_ENKUlT_T0_E_clISt17integral_constantIbLb1EES1T_IbLb0EEEEDaS1P_S1Q_EUlS1P_E_NS1_11comp_targetILNS1_3genE8ELNS1_11target_archE1030ELNS1_3gpuE2ELNS1_3repE0EEENS1_30default_config_static_selectorELNS0_4arch9wavefront6targetE1EEEvS12_,comdat
.Lfunc_end1387:
	.size	_ZN7rocprim17ROCPRIM_400000_NS6detail17trampoline_kernelINS0_13select_configILj256ELj13ELNS0_17block_load_methodE3ELS4_3ELS4_3ELNS0_20block_scan_algorithmE0ELj4294967295EEENS1_25partition_config_selectorILNS1_17partition_subalgoE4EjNS0_10empty_typeEbEEZZNS1_14partition_implILS8_4ELb0ES6_15HIP_vector_typeIjLj2EENS0_17counting_iteratorIjlEEPS9_SG_NS0_5tupleIJPjSI_NS0_16reverse_iteratorISI_EEEEENSH_IJSG_SG_SG_EEES9_SI_JZNS1_25segmented_radix_sort_implINS0_14default_configELb0EPKfPfPKlPlN2at6native12_GLOBAL__N_18offset_tEEE10hipError_tPvRmT1_PNSt15iterator_traitsIS12_E10value_typeET2_T3_PNS13_IS18_E10value_typeET4_jRbjT5_S1E_jjP12ihipStream_tbEUljE_ZNSN_ISO_Lb0ESQ_SR_ST_SU_SY_EESZ_S10_S11_S12_S16_S17_S18_S1B_S1C_jS1D_jS1E_S1E_jjS1G_bEUljE0_EEESZ_S10_S11_S18_S1C_S1E_T6_T7_T9_mT8_S1G_bDpT10_ENKUlT_T0_E_clISt17integral_constantIbLb1EES1T_IbLb0EEEEDaS1P_S1Q_EUlS1P_E_NS1_11comp_targetILNS1_3genE8ELNS1_11target_archE1030ELNS1_3gpuE2ELNS1_3repE0EEENS1_30default_config_static_selectorELNS0_4arch9wavefront6targetE1EEEvS12_, .Lfunc_end1387-_ZN7rocprim17ROCPRIM_400000_NS6detail17trampoline_kernelINS0_13select_configILj256ELj13ELNS0_17block_load_methodE3ELS4_3ELS4_3ELNS0_20block_scan_algorithmE0ELj4294967295EEENS1_25partition_config_selectorILNS1_17partition_subalgoE4EjNS0_10empty_typeEbEEZZNS1_14partition_implILS8_4ELb0ES6_15HIP_vector_typeIjLj2EENS0_17counting_iteratorIjlEEPS9_SG_NS0_5tupleIJPjSI_NS0_16reverse_iteratorISI_EEEEENSH_IJSG_SG_SG_EEES9_SI_JZNS1_25segmented_radix_sort_implINS0_14default_configELb0EPKfPfPKlPlN2at6native12_GLOBAL__N_18offset_tEEE10hipError_tPvRmT1_PNSt15iterator_traitsIS12_E10value_typeET2_T3_PNS13_IS18_E10value_typeET4_jRbjT5_S1E_jjP12ihipStream_tbEUljE_ZNSN_ISO_Lb0ESQ_SR_ST_SU_SY_EESZ_S10_S11_S12_S16_S17_S18_S1B_S1C_jS1D_jS1E_S1E_jjS1G_bEUljE0_EEESZ_S10_S11_S18_S1C_S1E_T6_T7_T9_mT8_S1G_bDpT10_ENKUlT_T0_E_clISt17integral_constantIbLb1EES1T_IbLb0EEEEDaS1P_S1Q_EUlS1P_E_NS1_11comp_targetILNS1_3genE8ELNS1_11target_archE1030ELNS1_3gpuE2ELNS1_3repE0EEENS1_30default_config_static_selectorELNS0_4arch9wavefront6targetE1EEEvS12_
                                        ; -- End function
	.set _ZN7rocprim17ROCPRIM_400000_NS6detail17trampoline_kernelINS0_13select_configILj256ELj13ELNS0_17block_load_methodE3ELS4_3ELS4_3ELNS0_20block_scan_algorithmE0ELj4294967295EEENS1_25partition_config_selectorILNS1_17partition_subalgoE4EjNS0_10empty_typeEbEEZZNS1_14partition_implILS8_4ELb0ES6_15HIP_vector_typeIjLj2EENS0_17counting_iteratorIjlEEPS9_SG_NS0_5tupleIJPjSI_NS0_16reverse_iteratorISI_EEEEENSH_IJSG_SG_SG_EEES9_SI_JZNS1_25segmented_radix_sort_implINS0_14default_configELb0EPKfPfPKlPlN2at6native12_GLOBAL__N_18offset_tEEE10hipError_tPvRmT1_PNSt15iterator_traitsIS12_E10value_typeET2_T3_PNS13_IS18_E10value_typeET4_jRbjT5_S1E_jjP12ihipStream_tbEUljE_ZNSN_ISO_Lb0ESQ_SR_ST_SU_SY_EESZ_S10_S11_S12_S16_S17_S18_S1B_S1C_jS1D_jS1E_S1E_jjS1G_bEUljE0_EEESZ_S10_S11_S18_S1C_S1E_T6_T7_T9_mT8_S1G_bDpT10_ENKUlT_T0_E_clISt17integral_constantIbLb1EES1T_IbLb0EEEEDaS1P_S1Q_EUlS1P_E_NS1_11comp_targetILNS1_3genE8ELNS1_11target_archE1030ELNS1_3gpuE2ELNS1_3repE0EEENS1_30default_config_static_selectorELNS0_4arch9wavefront6targetE1EEEvS12_.num_vgpr, 0
	.set _ZN7rocprim17ROCPRIM_400000_NS6detail17trampoline_kernelINS0_13select_configILj256ELj13ELNS0_17block_load_methodE3ELS4_3ELS4_3ELNS0_20block_scan_algorithmE0ELj4294967295EEENS1_25partition_config_selectorILNS1_17partition_subalgoE4EjNS0_10empty_typeEbEEZZNS1_14partition_implILS8_4ELb0ES6_15HIP_vector_typeIjLj2EENS0_17counting_iteratorIjlEEPS9_SG_NS0_5tupleIJPjSI_NS0_16reverse_iteratorISI_EEEEENSH_IJSG_SG_SG_EEES9_SI_JZNS1_25segmented_radix_sort_implINS0_14default_configELb0EPKfPfPKlPlN2at6native12_GLOBAL__N_18offset_tEEE10hipError_tPvRmT1_PNSt15iterator_traitsIS12_E10value_typeET2_T3_PNS13_IS18_E10value_typeET4_jRbjT5_S1E_jjP12ihipStream_tbEUljE_ZNSN_ISO_Lb0ESQ_SR_ST_SU_SY_EESZ_S10_S11_S12_S16_S17_S18_S1B_S1C_jS1D_jS1E_S1E_jjS1G_bEUljE0_EEESZ_S10_S11_S18_S1C_S1E_T6_T7_T9_mT8_S1G_bDpT10_ENKUlT_T0_E_clISt17integral_constantIbLb1EES1T_IbLb0EEEEDaS1P_S1Q_EUlS1P_E_NS1_11comp_targetILNS1_3genE8ELNS1_11target_archE1030ELNS1_3gpuE2ELNS1_3repE0EEENS1_30default_config_static_selectorELNS0_4arch9wavefront6targetE1EEEvS12_.num_agpr, 0
	.set _ZN7rocprim17ROCPRIM_400000_NS6detail17trampoline_kernelINS0_13select_configILj256ELj13ELNS0_17block_load_methodE3ELS4_3ELS4_3ELNS0_20block_scan_algorithmE0ELj4294967295EEENS1_25partition_config_selectorILNS1_17partition_subalgoE4EjNS0_10empty_typeEbEEZZNS1_14partition_implILS8_4ELb0ES6_15HIP_vector_typeIjLj2EENS0_17counting_iteratorIjlEEPS9_SG_NS0_5tupleIJPjSI_NS0_16reverse_iteratorISI_EEEEENSH_IJSG_SG_SG_EEES9_SI_JZNS1_25segmented_radix_sort_implINS0_14default_configELb0EPKfPfPKlPlN2at6native12_GLOBAL__N_18offset_tEEE10hipError_tPvRmT1_PNSt15iterator_traitsIS12_E10value_typeET2_T3_PNS13_IS18_E10value_typeET4_jRbjT5_S1E_jjP12ihipStream_tbEUljE_ZNSN_ISO_Lb0ESQ_SR_ST_SU_SY_EESZ_S10_S11_S12_S16_S17_S18_S1B_S1C_jS1D_jS1E_S1E_jjS1G_bEUljE0_EEESZ_S10_S11_S18_S1C_S1E_T6_T7_T9_mT8_S1G_bDpT10_ENKUlT_T0_E_clISt17integral_constantIbLb1EES1T_IbLb0EEEEDaS1P_S1Q_EUlS1P_E_NS1_11comp_targetILNS1_3genE8ELNS1_11target_archE1030ELNS1_3gpuE2ELNS1_3repE0EEENS1_30default_config_static_selectorELNS0_4arch9wavefront6targetE1EEEvS12_.numbered_sgpr, 0
	.set _ZN7rocprim17ROCPRIM_400000_NS6detail17trampoline_kernelINS0_13select_configILj256ELj13ELNS0_17block_load_methodE3ELS4_3ELS4_3ELNS0_20block_scan_algorithmE0ELj4294967295EEENS1_25partition_config_selectorILNS1_17partition_subalgoE4EjNS0_10empty_typeEbEEZZNS1_14partition_implILS8_4ELb0ES6_15HIP_vector_typeIjLj2EENS0_17counting_iteratorIjlEEPS9_SG_NS0_5tupleIJPjSI_NS0_16reverse_iteratorISI_EEEEENSH_IJSG_SG_SG_EEES9_SI_JZNS1_25segmented_radix_sort_implINS0_14default_configELb0EPKfPfPKlPlN2at6native12_GLOBAL__N_18offset_tEEE10hipError_tPvRmT1_PNSt15iterator_traitsIS12_E10value_typeET2_T3_PNS13_IS18_E10value_typeET4_jRbjT5_S1E_jjP12ihipStream_tbEUljE_ZNSN_ISO_Lb0ESQ_SR_ST_SU_SY_EESZ_S10_S11_S12_S16_S17_S18_S1B_S1C_jS1D_jS1E_S1E_jjS1G_bEUljE0_EEESZ_S10_S11_S18_S1C_S1E_T6_T7_T9_mT8_S1G_bDpT10_ENKUlT_T0_E_clISt17integral_constantIbLb1EES1T_IbLb0EEEEDaS1P_S1Q_EUlS1P_E_NS1_11comp_targetILNS1_3genE8ELNS1_11target_archE1030ELNS1_3gpuE2ELNS1_3repE0EEENS1_30default_config_static_selectorELNS0_4arch9wavefront6targetE1EEEvS12_.num_named_barrier, 0
	.set _ZN7rocprim17ROCPRIM_400000_NS6detail17trampoline_kernelINS0_13select_configILj256ELj13ELNS0_17block_load_methodE3ELS4_3ELS4_3ELNS0_20block_scan_algorithmE0ELj4294967295EEENS1_25partition_config_selectorILNS1_17partition_subalgoE4EjNS0_10empty_typeEbEEZZNS1_14partition_implILS8_4ELb0ES6_15HIP_vector_typeIjLj2EENS0_17counting_iteratorIjlEEPS9_SG_NS0_5tupleIJPjSI_NS0_16reverse_iteratorISI_EEEEENSH_IJSG_SG_SG_EEES9_SI_JZNS1_25segmented_radix_sort_implINS0_14default_configELb0EPKfPfPKlPlN2at6native12_GLOBAL__N_18offset_tEEE10hipError_tPvRmT1_PNSt15iterator_traitsIS12_E10value_typeET2_T3_PNS13_IS18_E10value_typeET4_jRbjT5_S1E_jjP12ihipStream_tbEUljE_ZNSN_ISO_Lb0ESQ_SR_ST_SU_SY_EESZ_S10_S11_S12_S16_S17_S18_S1B_S1C_jS1D_jS1E_S1E_jjS1G_bEUljE0_EEESZ_S10_S11_S18_S1C_S1E_T6_T7_T9_mT8_S1G_bDpT10_ENKUlT_T0_E_clISt17integral_constantIbLb1EES1T_IbLb0EEEEDaS1P_S1Q_EUlS1P_E_NS1_11comp_targetILNS1_3genE8ELNS1_11target_archE1030ELNS1_3gpuE2ELNS1_3repE0EEENS1_30default_config_static_selectorELNS0_4arch9wavefront6targetE1EEEvS12_.private_seg_size, 0
	.set _ZN7rocprim17ROCPRIM_400000_NS6detail17trampoline_kernelINS0_13select_configILj256ELj13ELNS0_17block_load_methodE3ELS4_3ELS4_3ELNS0_20block_scan_algorithmE0ELj4294967295EEENS1_25partition_config_selectorILNS1_17partition_subalgoE4EjNS0_10empty_typeEbEEZZNS1_14partition_implILS8_4ELb0ES6_15HIP_vector_typeIjLj2EENS0_17counting_iteratorIjlEEPS9_SG_NS0_5tupleIJPjSI_NS0_16reverse_iteratorISI_EEEEENSH_IJSG_SG_SG_EEES9_SI_JZNS1_25segmented_radix_sort_implINS0_14default_configELb0EPKfPfPKlPlN2at6native12_GLOBAL__N_18offset_tEEE10hipError_tPvRmT1_PNSt15iterator_traitsIS12_E10value_typeET2_T3_PNS13_IS18_E10value_typeET4_jRbjT5_S1E_jjP12ihipStream_tbEUljE_ZNSN_ISO_Lb0ESQ_SR_ST_SU_SY_EESZ_S10_S11_S12_S16_S17_S18_S1B_S1C_jS1D_jS1E_S1E_jjS1G_bEUljE0_EEESZ_S10_S11_S18_S1C_S1E_T6_T7_T9_mT8_S1G_bDpT10_ENKUlT_T0_E_clISt17integral_constantIbLb1EES1T_IbLb0EEEEDaS1P_S1Q_EUlS1P_E_NS1_11comp_targetILNS1_3genE8ELNS1_11target_archE1030ELNS1_3gpuE2ELNS1_3repE0EEENS1_30default_config_static_selectorELNS0_4arch9wavefront6targetE1EEEvS12_.uses_vcc, 0
	.set _ZN7rocprim17ROCPRIM_400000_NS6detail17trampoline_kernelINS0_13select_configILj256ELj13ELNS0_17block_load_methodE3ELS4_3ELS4_3ELNS0_20block_scan_algorithmE0ELj4294967295EEENS1_25partition_config_selectorILNS1_17partition_subalgoE4EjNS0_10empty_typeEbEEZZNS1_14partition_implILS8_4ELb0ES6_15HIP_vector_typeIjLj2EENS0_17counting_iteratorIjlEEPS9_SG_NS0_5tupleIJPjSI_NS0_16reverse_iteratorISI_EEEEENSH_IJSG_SG_SG_EEES9_SI_JZNS1_25segmented_radix_sort_implINS0_14default_configELb0EPKfPfPKlPlN2at6native12_GLOBAL__N_18offset_tEEE10hipError_tPvRmT1_PNSt15iterator_traitsIS12_E10value_typeET2_T3_PNS13_IS18_E10value_typeET4_jRbjT5_S1E_jjP12ihipStream_tbEUljE_ZNSN_ISO_Lb0ESQ_SR_ST_SU_SY_EESZ_S10_S11_S12_S16_S17_S18_S1B_S1C_jS1D_jS1E_S1E_jjS1G_bEUljE0_EEESZ_S10_S11_S18_S1C_S1E_T6_T7_T9_mT8_S1G_bDpT10_ENKUlT_T0_E_clISt17integral_constantIbLb1EES1T_IbLb0EEEEDaS1P_S1Q_EUlS1P_E_NS1_11comp_targetILNS1_3genE8ELNS1_11target_archE1030ELNS1_3gpuE2ELNS1_3repE0EEENS1_30default_config_static_selectorELNS0_4arch9wavefront6targetE1EEEvS12_.uses_flat_scratch, 0
	.set _ZN7rocprim17ROCPRIM_400000_NS6detail17trampoline_kernelINS0_13select_configILj256ELj13ELNS0_17block_load_methodE3ELS4_3ELS4_3ELNS0_20block_scan_algorithmE0ELj4294967295EEENS1_25partition_config_selectorILNS1_17partition_subalgoE4EjNS0_10empty_typeEbEEZZNS1_14partition_implILS8_4ELb0ES6_15HIP_vector_typeIjLj2EENS0_17counting_iteratorIjlEEPS9_SG_NS0_5tupleIJPjSI_NS0_16reverse_iteratorISI_EEEEENSH_IJSG_SG_SG_EEES9_SI_JZNS1_25segmented_radix_sort_implINS0_14default_configELb0EPKfPfPKlPlN2at6native12_GLOBAL__N_18offset_tEEE10hipError_tPvRmT1_PNSt15iterator_traitsIS12_E10value_typeET2_T3_PNS13_IS18_E10value_typeET4_jRbjT5_S1E_jjP12ihipStream_tbEUljE_ZNSN_ISO_Lb0ESQ_SR_ST_SU_SY_EESZ_S10_S11_S12_S16_S17_S18_S1B_S1C_jS1D_jS1E_S1E_jjS1G_bEUljE0_EEESZ_S10_S11_S18_S1C_S1E_T6_T7_T9_mT8_S1G_bDpT10_ENKUlT_T0_E_clISt17integral_constantIbLb1EES1T_IbLb0EEEEDaS1P_S1Q_EUlS1P_E_NS1_11comp_targetILNS1_3genE8ELNS1_11target_archE1030ELNS1_3gpuE2ELNS1_3repE0EEENS1_30default_config_static_selectorELNS0_4arch9wavefront6targetE1EEEvS12_.has_dyn_sized_stack, 0
	.set _ZN7rocprim17ROCPRIM_400000_NS6detail17trampoline_kernelINS0_13select_configILj256ELj13ELNS0_17block_load_methodE3ELS4_3ELS4_3ELNS0_20block_scan_algorithmE0ELj4294967295EEENS1_25partition_config_selectorILNS1_17partition_subalgoE4EjNS0_10empty_typeEbEEZZNS1_14partition_implILS8_4ELb0ES6_15HIP_vector_typeIjLj2EENS0_17counting_iteratorIjlEEPS9_SG_NS0_5tupleIJPjSI_NS0_16reverse_iteratorISI_EEEEENSH_IJSG_SG_SG_EEES9_SI_JZNS1_25segmented_radix_sort_implINS0_14default_configELb0EPKfPfPKlPlN2at6native12_GLOBAL__N_18offset_tEEE10hipError_tPvRmT1_PNSt15iterator_traitsIS12_E10value_typeET2_T3_PNS13_IS18_E10value_typeET4_jRbjT5_S1E_jjP12ihipStream_tbEUljE_ZNSN_ISO_Lb0ESQ_SR_ST_SU_SY_EESZ_S10_S11_S12_S16_S17_S18_S1B_S1C_jS1D_jS1E_S1E_jjS1G_bEUljE0_EEESZ_S10_S11_S18_S1C_S1E_T6_T7_T9_mT8_S1G_bDpT10_ENKUlT_T0_E_clISt17integral_constantIbLb1EES1T_IbLb0EEEEDaS1P_S1Q_EUlS1P_E_NS1_11comp_targetILNS1_3genE8ELNS1_11target_archE1030ELNS1_3gpuE2ELNS1_3repE0EEENS1_30default_config_static_selectorELNS0_4arch9wavefront6targetE1EEEvS12_.has_recursion, 0
	.set _ZN7rocprim17ROCPRIM_400000_NS6detail17trampoline_kernelINS0_13select_configILj256ELj13ELNS0_17block_load_methodE3ELS4_3ELS4_3ELNS0_20block_scan_algorithmE0ELj4294967295EEENS1_25partition_config_selectorILNS1_17partition_subalgoE4EjNS0_10empty_typeEbEEZZNS1_14partition_implILS8_4ELb0ES6_15HIP_vector_typeIjLj2EENS0_17counting_iteratorIjlEEPS9_SG_NS0_5tupleIJPjSI_NS0_16reverse_iteratorISI_EEEEENSH_IJSG_SG_SG_EEES9_SI_JZNS1_25segmented_radix_sort_implINS0_14default_configELb0EPKfPfPKlPlN2at6native12_GLOBAL__N_18offset_tEEE10hipError_tPvRmT1_PNSt15iterator_traitsIS12_E10value_typeET2_T3_PNS13_IS18_E10value_typeET4_jRbjT5_S1E_jjP12ihipStream_tbEUljE_ZNSN_ISO_Lb0ESQ_SR_ST_SU_SY_EESZ_S10_S11_S12_S16_S17_S18_S1B_S1C_jS1D_jS1E_S1E_jjS1G_bEUljE0_EEESZ_S10_S11_S18_S1C_S1E_T6_T7_T9_mT8_S1G_bDpT10_ENKUlT_T0_E_clISt17integral_constantIbLb1EES1T_IbLb0EEEEDaS1P_S1Q_EUlS1P_E_NS1_11comp_targetILNS1_3genE8ELNS1_11target_archE1030ELNS1_3gpuE2ELNS1_3repE0EEENS1_30default_config_static_selectorELNS0_4arch9wavefront6targetE1EEEvS12_.has_indirect_call, 0
	.section	.AMDGPU.csdata,"",@progbits
; Kernel info:
; codeLenInByte = 0
; TotalNumSgprs: 4
; NumVgprs: 0
; ScratchSize: 0
; MemoryBound: 0
; FloatMode: 240
; IeeeMode: 1
; LDSByteSize: 0 bytes/workgroup (compile time only)
; SGPRBlocks: 0
; VGPRBlocks: 0
; NumSGPRsForWavesPerEU: 4
; NumVGPRsForWavesPerEU: 1
; Occupancy: 10
; WaveLimiterHint : 0
; COMPUTE_PGM_RSRC2:SCRATCH_EN: 0
; COMPUTE_PGM_RSRC2:USER_SGPR: 6
; COMPUTE_PGM_RSRC2:TRAP_HANDLER: 0
; COMPUTE_PGM_RSRC2:TGID_X_EN: 1
; COMPUTE_PGM_RSRC2:TGID_Y_EN: 0
; COMPUTE_PGM_RSRC2:TGID_Z_EN: 0
; COMPUTE_PGM_RSRC2:TIDIG_COMP_CNT: 0
	.section	.text._ZN7rocprim17ROCPRIM_400000_NS6detail17trampoline_kernelINS0_13select_configILj256ELj13ELNS0_17block_load_methodE3ELS4_3ELS4_3ELNS0_20block_scan_algorithmE0ELj4294967295EEENS1_25partition_config_selectorILNS1_17partition_subalgoE4EjNS0_10empty_typeEbEEZZNS1_14partition_implILS8_4ELb0ES6_15HIP_vector_typeIjLj2EENS0_17counting_iteratorIjlEEPS9_SG_NS0_5tupleIJPjSI_NS0_16reverse_iteratorISI_EEEEENSH_IJSG_SG_SG_EEES9_SI_JZNS1_25segmented_radix_sort_implINS0_14default_configELb0EPKfPfPKlPlN2at6native12_GLOBAL__N_18offset_tEEE10hipError_tPvRmT1_PNSt15iterator_traitsIS12_E10value_typeET2_T3_PNS13_IS18_E10value_typeET4_jRbjT5_S1E_jjP12ihipStream_tbEUljE_ZNSN_ISO_Lb0ESQ_SR_ST_SU_SY_EESZ_S10_S11_S12_S16_S17_S18_S1B_S1C_jS1D_jS1E_S1E_jjS1G_bEUljE0_EEESZ_S10_S11_S18_S1C_S1E_T6_T7_T9_mT8_S1G_bDpT10_ENKUlT_T0_E_clISt17integral_constantIbLb0EES1T_IbLb1EEEEDaS1P_S1Q_EUlS1P_E_NS1_11comp_targetILNS1_3genE0ELNS1_11target_archE4294967295ELNS1_3gpuE0ELNS1_3repE0EEENS1_30default_config_static_selectorELNS0_4arch9wavefront6targetE1EEEvS12_,"axG",@progbits,_ZN7rocprim17ROCPRIM_400000_NS6detail17trampoline_kernelINS0_13select_configILj256ELj13ELNS0_17block_load_methodE3ELS4_3ELS4_3ELNS0_20block_scan_algorithmE0ELj4294967295EEENS1_25partition_config_selectorILNS1_17partition_subalgoE4EjNS0_10empty_typeEbEEZZNS1_14partition_implILS8_4ELb0ES6_15HIP_vector_typeIjLj2EENS0_17counting_iteratorIjlEEPS9_SG_NS0_5tupleIJPjSI_NS0_16reverse_iteratorISI_EEEEENSH_IJSG_SG_SG_EEES9_SI_JZNS1_25segmented_radix_sort_implINS0_14default_configELb0EPKfPfPKlPlN2at6native12_GLOBAL__N_18offset_tEEE10hipError_tPvRmT1_PNSt15iterator_traitsIS12_E10value_typeET2_T3_PNS13_IS18_E10value_typeET4_jRbjT5_S1E_jjP12ihipStream_tbEUljE_ZNSN_ISO_Lb0ESQ_SR_ST_SU_SY_EESZ_S10_S11_S12_S16_S17_S18_S1B_S1C_jS1D_jS1E_S1E_jjS1G_bEUljE0_EEESZ_S10_S11_S18_S1C_S1E_T6_T7_T9_mT8_S1G_bDpT10_ENKUlT_T0_E_clISt17integral_constantIbLb0EES1T_IbLb1EEEEDaS1P_S1Q_EUlS1P_E_NS1_11comp_targetILNS1_3genE0ELNS1_11target_archE4294967295ELNS1_3gpuE0ELNS1_3repE0EEENS1_30default_config_static_selectorELNS0_4arch9wavefront6targetE1EEEvS12_,comdat
	.globl	_ZN7rocprim17ROCPRIM_400000_NS6detail17trampoline_kernelINS0_13select_configILj256ELj13ELNS0_17block_load_methodE3ELS4_3ELS4_3ELNS0_20block_scan_algorithmE0ELj4294967295EEENS1_25partition_config_selectorILNS1_17partition_subalgoE4EjNS0_10empty_typeEbEEZZNS1_14partition_implILS8_4ELb0ES6_15HIP_vector_typeIjLj2EENS0_17counting_iteratorIjlEEPS9_SG_NS0_5tupleIJPjSI_NS0_16reverse_iteratorISI_EEEEENSH_IJSG_SG_SG_EEES9_SI_JZNS1_25segmented_radix_sort_implINS0_14default_configELb0EPKfPfPKlPlN2at6native12_GLOBAL__N_18offset_tEEE10hipError_tPvRmT1_PNSt15iterator_traitsIS12_E10value_typeET2_T3_PNS13_IS18_E10value_typeET4_jRbjT5_S1E_jjP12ihipStream_tbEUljE_ZNSN_ISO_Lb0ESQ_SR_ST_SU_SY_EESZ_S10_S11_S12_S16_S17_S18_S1B_S1C_jS1D_jS1E_S1E_jjS1G_bEUljE0_EEESZ_S10_S11_S18_S1C_S1E_T6_T7_T9_mT8_S1G_bDpT10_ENKUlT_T0_E_clISt17integral_constantIbLb0EES1T_IbLb1EEEEDaS1P_S1Q_EUlS1P_E_NS1_11comp_targetILNS1_3genE0ELNS1_11target_archE4294967295ELNS1_3gpuE0ELNS1_3repE0EEENS1_30default_config_static_selectorELNS0_4arch9wavefront6targetE1EEEvS12_ ; -- Begin function _ZN7rocprim17ROCPRIM_400000_NS6detail17trampoline_kernelINS0_13select_configILj256ELj13ELNS0_17block_load_methodE3ELS4_3ELS4_3ELNS0_20block_scan_algorithmE0ELj4294967295EEENS1_25partition_config_selectorILNS1_17partition_subalgoE4EjNS0_10empty_typeEbEEZZNS1_14partition_implILS8_4ELb0ES6_15HIP_vector_typeIjLj2EENS0_17counting_iteratorIjlEEPS9_SG_NS0_5tupleIJPjSI_NS0_16reverse_iteratorISI_EEEEENSH_IJSG_SG_SG_EEES9_SI_JZNS1_25segmented_radix_sort_implINS0_14default_configELb0EPKfPfPKlPlN2at6native12_GLOBAL__N_18offset_tEEE10hipError_tPvRmT1_PNSt15iterator_traitsIS12_E10value_typeET2_T3_PNS13_IS18_E10value_typeET4_jRbjT5_S1E_jjP12ihipStream_tbEUljE_ZNSN_ISO_Lb0ESQ_SR_ST_SU_SY_EESZ_S10_S11_S12_S16_S17_S18_S1B_S1C_jS1D_jS1E_S1E_jjS1G_bEUljE0_EEESZ_S10_S11_S18_S1C_S1E_T6_T7_T9_mT8_S1G_bDpT10_ENKUlT_T0_E_clISt17integral_constantIbLb0EES1T_IbLb1EEEEDaS1P_S1Q_EUlS1P_E_NS1_11comp_targetILNS1_3genE0ELNS1_11target_archE4294967295ELNS1_3gpuE0ELNS1_3repE0EEENS1_30default_config_static_selectorELNS0_4arch9wavefront6targetE1EEEvS12_
	.p2align	8
	.type	_ZN7rocprim17ROCPRIM_400000_NS6detail17trampoline_kernelINS0_13select_configILj256ELj13ELNS0_17block_load_methodE3ELS4_3ELS4_3ELNS0_20block_scan_algorithmE0ELj4294967295EEENS1_25partition_config_selectorILNS1_17partition_subalgoE4EjNS0_10empty_typeEbEEZZNS1_14partition_implILS8_4ELb0ES6_15HIP_vector_typeIjLj2EENS0_17counting_iteratorIjlEEPS9_SG_NS0_5tupleIJPjSI_NS0_16reverse_iteratorISI_EEEEENSH_IJSG_SG_SG_EEES9_SI_JZNS1_25segmented_radix_sort_implINS0_14default_configELb0EPKfPfPKlPlN2at6native12_GLOBAL__N_18offset_tEEE10hipError_tPvRmT1_PNSt15iterator_traitsIS12_E10value_typeET2_T3_PNS13_IS18_E10value_typeET4_jRbjT5_S1E_jjP12ihipStream_tbEUljE_ZNSN_ISO_Lb0ESQ_SR_ST_SU_SY_EESZ_S10_S11_S12_S16_S17_S18_S1B_S1C_jS1D_jS1E_S1E_jjS1G_bEUljE0_EEESZ_S10_S11_S18_S1C_S1E_T6_T7_T9_mT8_S1G_bDpT10_ENKUlT_T0_E_clISt17integral_constantIbLb0EES1T_IbLb1EEEEDaS1P_S1Q_EUlS1P_E_NS1_11comp_targetILNS1_3genE0ELNS1_11target_archE4294967295ELNS1_3gpuE0ELNS1_3repE0EEENS1_30default_config_static_selectorELNS0_4arch9wavefront6targetE1EEEvS12_,@function
_ZN7rocprim17ROCPRIM_400000_NS6detail17trampoline_kernelINS0_13select_configILj256ELj13ELNS0_17block_load_methodE3ELS4_3ELS4_3ELNS0_20block_scan_algorithmE0ELj4294967295EEENS1_25partition_config_selectorILNS1_17partition_subalgoE4EjNS0_10empty_typeEbEEZZNS1_14partition_implILS8_4ELb0ES6_15HIP_vector_typeIjLj2EENS0_17counting_iteratorIjlEEPS9_SG_NS0_5tupleIJPjSI_NS0_16reverse_iteratorISI_EEEEENSH_IJSG_SG_SG_EEES9_SI_JZNS1_25segmented_radix_sort_implINS0_14default_configELb0EPKfPfPKlPlN2at6native12_GLOBAL__N_18offset_tEEE10hipError_tPvRmT1_PNSt15iterator_traitsIS12_E10value_typeET2_T3_PNS13_IS18_E10value_typeET4_jRbjT5_S1E_jjP12ihipStream_tbEUljE_ZNSN_ISO_Lb0ESQ_SR_ST_SU_SY_EESZ_S10_S11_S12_S16_S17_S18_S1B_S1C_jS1D_jS1E_S1E_jjS1G_bEUljE0_EEESZ_S10_S11_S18_S1C_S1E_T6_T7_T9_mT8_S1G_bDpT10_ENKUlT_T0_E_clISt17integral_constantIbLb0EES1T_IbLb1EEEEDaS1P_S1Q_EUlS1P_E_NS1_11comp_targetILNS1_3genE0ELNS1_11target_archE4294967295ELNS1_3gpuE0ELNS1_3repE0EEENS1_30default_config_static_selectorELNS0_4arch9wavefront6targetE1EEEvS12_: ; @_ZN7rocprim17ROCPRIM_400000_NS6detail17trampoline_kernelINS0_13select_configILj256ELj13ELNS0_17block_load_methodE3ELS4_3ELS4_3ELNS0_20block_scan_algorithmE0ELj4294967295EEENS1_25partition_config_selectorILNS1_17partition_subalgoE4EjNS0_10empty_typeEbEEZZNS1_14partition_implILS8_4ELb0ES6_15HIP_vector_typeIjLj2EENS0_17counting_iteratorIjlEEPS9_SG_NS0_5tupleIJPjSI_NS0_16reverse_iteratorISI_EEEEENSH_IJSG_SG_SG_EEES9_SI_JZNS1_25segmented_radix_sort_implINS0_14default_configELb0EPKfPfPKlPlN2at6native12_GLOBAL__N_18offset_tEEE10hipError_tPvRmT1_PNSt15iterator_traitsIS12_E10value_typeET2_T3_PNS13_IS18_E10value_typeET4_jRbjT5_S1E_jjP12ihipStream_tbEUljE_ZNSN_ISO_Lb0ESQ_SR_ST_SU_SY_EESZ_S10_S11_S12_S16_S17_S18_S1B_S1C_jS1D_jS1E_S1E_jjS1G_bEUljE0_EEESZ_S10_S11_S18_S1C_S1E_T6_T7_T9_mT8_S1G_bDpT10_ENKUlT_T0_E_clISt17integral_constantIbLb0EES1T_IbLb1EEEEDaS1P_S1Q_EUlS1P_E_NS1_11comp_targetILNS1_3genE0ELNS1_11target_archE4294967295ELNS1_3gpuE0ELNS1_3repE0EEENS1_30default_config_static_selectorELNS0_4arch9wavefront6targetE1EEEvS12_
; %bb.0:
	.section	.rodata,"a",@progbits
	.p2align	6, 0x0
	.amdhsa_kernel _ZN7rocprim17ROCPRIM_400000_NS6detail17trampoline_kernelINS0_13select_configILj256ELj13ELNS0_17block_load_methodE3ELS4_3ELS4_3ELNS0_20block_scan_algorithmE0ELj4294967295EEENS1_25partition_config_selectorILNS1_17partition_subalgoE4EjNS0_10empty_typeEbEEZZNS1_14partition_implILS8_4ELb0ES6_15HIP_vector_typeIjLj2EENS0_17counting_iteratorIjlEEPS9_SG_NS0_5tupleIJPjSI_NS0_16reverse_iteratorISI_EEEEENSH_IJSG_SG_SG_EEES9_SI_JZNS1_25segmented_radix_sort_implINS0_14default_configELb0EPKfPfPKlPlN2at6native12_GLOBAL__N_18offset_tEEE10hipError_tPvRmT1_PNSt15iterator_traitsIS12_E10value_typeET2_T3_PNS13_IS18_E10value_typeET4_jRbjT5_S1E_jjP12ihipStream_tbEUljE_ZNSN_ISO_Lb0ESQ_SR_ST_SU_SY_EESZ_S10_S11_S12_S16_S17_S18_S1B_S1C_jS1D_jS1E_S1E_jjS1G_bEUljE0_EEESZ_S10_S11_S18_S1C_S1E_T6_T7_T9_mT8_S1G_bDpT10_ENKUlT_T0_E_clISt17integral_constantIbLb0EES1T_IbLb1EEEEDaS1P_S1Q_EUlS1P_E_NS1_11comp_targetILNS1_3genE0ELNS1_11target_archE4294967295ELNS1_3gpuE0ELNS1_3repE0EEENS1_30default_config_static_selectorELNS0_4arch9wavefront6targetE1EEEvS12_
		.amdhsa_group_segment_fixed_size 0
		.amdhsa_private_segment_fixed_size 0
		.amdhsa_kernarg_size 184
		.amdhsa_user_sgpr_count 6
		.amdhsa_user_sgpr_private_segment_buffer 1
		.amdhsa_user_sgpr_dispatch_ptr 0
		.amdhsa_user_sgpr_queue_ptr 0
		.amdhsa_user_sgpr_kernarg_segment_ptr 1
		.amdhsa_user_sgpr_dispatch_id 0
		.amdhsa_user_sgpr_flat_scratch_init 0
		.amdhsa_user_sgpr_private_segment_size 0
		.amdhsa_uses_dynamic_stack 0
		.amdhsa_system_sgpr_private_segment_wavefront_offset 0
		.amdhsa_system_sgpr_workgroup_id_x 1
		.amdhsa_system_sgpr_workgroup_id_y 0
		.amdhsa_system_sgpr_workgroup_id_z 0
		.amdhsa_system_sgpr_workgroup_info 0
		.amdhsa_system_vgpr_workitem_id 0
		.amdhsa_next_free_vgpr 1
		.amdhsa_next_free_sgpr 0
		.amdhsa_reserve_vcc 0
		.amdhsa_reserve_flat_scratch 0
		.amdhsa_float_round_mode_32 0
		.amdhsa_float_round_mode_16_64 0
		.amdhsa_float_denorm_mode_32 3
		.amdhsa_float_denorm_mode_16_64 3
		.amdhsa_dx10_clamp 1
		.amdhsa_ieee_mode 1
		.amdhsa_fp16_overflow 0
		.amdhsa_exception_fp_ieee_invalid_op 0
		.amdhsa_exception_fp_denorm_src 0
		.amdhsa_exception_fp_ieee_div_zero 0
		.amdhsa_exception_fp_ieee_overflow 0
		.amdhsa_exception_fp_ieee_underflow 0
		.amdhsa_exception_fp_ieee_inexact 0
		.amdhsa_exception_int_div_zero 0
	.end_amdhsa_kernel
	.section	.text._ZN7rocprim17ROCPRIM_400000_NS6detail17trampoline_kernelINS0_13select_configILj256ELj13ELNS0_17block_load_methodE3ELS4_3ELS4_3ELNS0_20block_scan_algorithmE0ELj4294967295EEENS1_25partition_config_selectorILNS1_17partition_subalgoE4EjNS0_10empty_typeEbEEZZNS1_14partition_implILS8_4ELb0ES6_15HIP_vector_typeIjLj2EENS0_17counting_iteratorIjlEEPS9_SG_NS0_5tupleIJPjSI_NS0_16reverse_iteratorISI_EEEEENSH_IJSG_SG_SG_EEES9_SI_JZNS1_25segmented_radix_sort_implINS0_14default_configELb0EPKfPfPKlPlN2at6native12_GLOBAL__N_18offset_tEEE10hipError_tPvRmT1_PNSt15iterator_traitsIS12_E10value_typeET2_T3_PNS13_IS18_E10value_typeET4_jRbjT5_S1E_jjP12ihipStream_tbEUljE_ZNSN_ISO_Lb0ESQ_SR_ST_SU_SY_EESZ_S10_S11_S12_S16_S17_S18_S1B_S1C_jS1D_jS1E_S1E_jjS1G_bEUljE0_EEESZ_S10_S11_S18_S1C_S1E_T6_T7_T9_mT8_S1G_bDpT10_ENKUlT_T0_E_clISt17integral_constantIbLb0EES1T_IbLb1EEEEDaS1P_S1Q_EUlS1P_E_NS1_11comp_targetILNS1_3genE0ELNS1_11target_archE4294967295ELNS1_3gpuE0ELNS1_3repE0EEENS1_30default_config_static_selectorELNS0_4arch9wavefront6targetE1EEEvS12_,"axG",@progbits,_ZN7rocprim17ROCPRIM_400000_NS6detail17trampoline_kernelINS0_13select_configILj256ELj13ELNS0_17block_load_methodE3ELS4_3ELS4_3ELNS0_20block_scan_algorithmE0ELj4294967295EEENS1_25partition_config_selectorILNS1_17partition_subalgoE4EjNS0_10empty_typeEbEEZZNS1_14partition_implILS8_4ELb0ES6_15HIP_vector_typeIjLj2EENS0_17counting_iteratorIjlEEPS9_SG_NS0_5tupleIJPjSI_NS0_16reverse_iteratorISI_EEEEENSH_IJSG_SG_SG_EEES9_SI_JZNS1_25segmented_radix_sort_implINS0_14default_configELb0EPKfPfPKlPlN2at6native12_GLOBAL__N_18offset_tEEE10hipError_tPvRmT1_PNSt15iterator_traitsIS12_E10value_typeET2_T3_PNS13_IS18_E10value_typeET4_jRbjT5_S1E_jjP12ihipStream_tbEUljE_ZNSN_ISO_Lb0ESQ_SR_ST_SU_SY_EESZ_S10_S11_S12_S16_S17_S18_S1B_S1C_jS1D_jS1E_S1E_jjS1G_bEUljE0_EEESZ_S10_S11_S18_S1C_S1E_T6_T7_T9_mT8_S1G_bDpT10_ENKUlT_T0_E_clISt17integral_constantIbLb0EES1T_IbLb1EEEEDaS1P_S1Q_EUlS1P_E_NS1_11comp_targetILNS1_3genE0ELNS1_11target_archE4294967295ELNS1_3gpuE0ELNS1_3repE0EEENS1_30default_config_static_selectorELNS0_4arch9wavefront6targetE1EEEvS12_,comdat
.Lfunc_end1388:
	.size	_ZN7rocprim17ROCPRIM_400000_NS6detail17trampoline_kernelINS0_13select_configILj256ELj13ELNS0_17block_load_methodE3ELS4_3ELS4_3ELNS0_20block_scan_algorithmE0ELj4294967295EEENS1_25partition_config_selectorILNS1_17partition_subalgoE4EjNS0_10empty_typeEbEEZZNS1_14partition_implILS8_4ELb0ES6_15HIP_vector_typeIjLj2EENS0_17counting_iteratorIjlEEPS9_SG_NS0_5tupleIJPjSI_NS0_16reverse_iteratorISI_EEEEENSH_IJSG_SG_SG_EEES9_SI_JZNS1_25segmented_radix_sort_implINS0_14default_configELb0EPKfPfPKlPlN2at6native12_GLOBAL__N_18offset_tEEE10hipError_tPvRmT1_PNSt15iterator_traitsIS12_E10value_typeET2_T3_PNS13_IS18_E10value_typeET4_jRbjT5_S1E_jjP12ihipStream_tbEUljE_ZNSN_ISO_Lb0ESQ_SR_ST_SU_SY_EESZ_S10_S11_S12_S16_S17_S18_S1B_S1C_jS1D_jS1E_S1E_jjS1G_bEUljE0_EEESZ_S10_S11_S18_S1C_S1E_T6_T7_T9_mT8_S1G_bDpT10_ENKUlT_T0_E_clISt17integral_constantIbLb0EES1T_IbLb1EEEEDaS1P_S1Q_EUlS1P_E_NS1_11comp_targetILNS1_3genE0ELNS1_11target_archE4294967295ELNS1_3gpuE0ELNS1_3repE0EEENS1_30default_config_static_selectorELNS0_4arch9wavefront6targetE1EEEvS12_, .Lfunc_end1388-_ZN7rocprim17ROCPRIM_400000_NS6detail17trampoline_kernelINS0_13select_configILj256ELj13ELNS0_17block_load_methodE3ELS4_3ELS4_3ELNS0_20block_scan_algorithmE0ELj4294967295EEENS1_25partition_config_selectorILNS1_17partition_subalgoE4EjNS0_10empty_typeEbEEZZNS1_14partition_implILS8_4ELb0ES6_15HIP_vector_typeIjLj2EENS0_17counting_iteratorIjlEEPS9_SG_NS0_5tupleIJPjSI_NS0_16reverse_iteratorISI_EEEEENSH_IJSG_SG_SG_EEES9_SI_JZNS1_25segmented_radix_sort_implINS0_14default_configELb0EPKfPfPKlPlN2at6native12_GLOBAL__N_18offset_tEEE10hipError_tPvRmT1_PNSt15iterator_traitsIS12_E10value_typeET2_T3_PNS13_IS18_E10value_typeET4_jRbjT5_S1E_jjP12ihipStream_tbEUljE_ZNSN_ISO_Lb0ESQ_SR_ST_SU_SY_EESZ_S10_S11_S12_S16_S17_S18_S1B_S1C_jS1D_jS1E_S1E_jjS1G_bEUljE0_EEESZ_S10_S11_S18_S1C_S1E_T6_T7_T9_mT8_S1G_bDpT10_ENKUlT_T0_E_clISt17integral_constantIbLb0EES1T_IbLb1EEEEDaS1P_S1Q_EUlS1P_E_NS1_11comp_targetILNS1_3genE0ELNS1_11target_archE4294967295ELNS1_3gpuE0ELNS1_3repE0EEENS1_30default_config_static_selectorELNS0_4arch9wavefront6targetE1EEEvS12_
                                        ; -- End function
	.set _ZN7rocprim17ROCPRIM_400000_NS6detail17trampoline_kernelINS0_13select_configILj256ELj13ELNS0_17block_load_methodE3ELS4_3ELS4_3ELNS0_20block_scan_algorithmE0ELj4294967295EEENS1_25partition_config_selectorILNS1_17partition_subalgoE4EjNS0_10empty_typeEbEEZZNS1_14partition_implILS8_4ELb0ES6_15HIP_vector_typeIjLj2EENS0_17counting_iteratorIjlEEPS9_SG_NS0_5tupleIJPjSI_NS0_16reverse_iteratorISI_EEEEENSH_IJSG_SG_SG_EEES9_SI_JZNS1_25segmented_radix_sort_implINS0_14default_configELb0EPKfPfPKlPlN2at6native12_GLOBAL__N_18offset_tEEE10hipError_tPvRmT1_PNSt15iterator_traitsIS12_E10value_typeET2_T3_PNS13_IS18_E10value_typeET4_jRbjT5_S1E_jjP12ihipStream_tbEUljE_ZNSN_ISO_Lb0ESQ_SR_ST_SU_SY_EESZ_S10_S11_S12_S16_S17_S18_S1B_S1C_jS1D_jS1E_S1E_jjS1G_bEUljE0_EEESZ_S10_S11_S18_S1C_S1E_T6_T7_T9_mT8_S1G_bDpT10_ENKUlT_T0_E_clISt17integral_constantIbLb0EES1T_IbLb1EEEEDaS1P_S1Q_EUlS1P_E_NS1_11comp_targetILNS1_3genE0ELNS1_11target_archE4294967295ELNS1_3gpuE0ELNS1_3repE0EEENS1_30default_config_static_selectorELNS0_4arch9wavefront6targetE1EEEvS12_.num_vgpr, 0
	.set _ZN7rocprim17ROCPRIM_400000_NS6detail17trampoline_kernelINS0_13select_configILj256ELj13ELNS0_17block_load_methodE3ELS4_3ELS4_3ELNS0_20block_scan_algorithmE0ELj4294967295EEENS1_25partition_config_selectorILNS1_17partition_subalgoE4EjNS0_10empty_typeEbEEZZNS1_14partition_implILS8_4ELb0ES6_15HIP_vector_typeIjLj2EENS0_17counting_iteratorIjlEEPS9_SG_NS0_5tupleIJPjSI_NS0_16reverse_iteratorISI_EEEEENSH_IJSG_SG_SG_EEES9_SI_JZNS1_25segmented_radix_sort_implINS0_14default_configELb0EPKfPfPKlPlN2at6native12_GLOBAL__N_18offset_tEEE10hipError_tPvRmT1_PNSt15iterator_traitsIS12_E10value_typeET2_T3_PNS13_IS18_E10value_typeET4_jRbjT5_S1E_jjP12ihipStream_tbEUljE_ZNSN_ISO_Lb0ESQ_SR_ST_SU_SY_EESZ_S10_S11_S12_S16_S17_S18_S1B_S1C_jS1D_jS1E_S1E_jjS1G_bEUljE0_EEESZ_S10_S11_S18_S1C_S1E_T6_T7_T9_mT8_S1G_bDpT10_ENKUlT_T0_E_clISt17integral_constantIbLb0EES1T_IbLb1EEEEDaS1P_S1Q_EUlS1P_E_NS1_11comp_targetILNS1_3genE0ELNS1_11target_archE4294967295ELNS1_3gpuE0ELNS1_3repE0EEENS1_30default_config_static_selectorELNS0_4arch9wavefront6targetE1EEEvS12_.num_agpr, 0
	.set _ZN7rocprim17ROCPRIM_400000_NS6detail17trampoline_kernelINS0_13select_configILj256ELj13ELNS0_17block_load_methodE3ELS4_3ELS4_3ELNS0_20block_scan_algorithmE0ELj4294967295EEENS1_25partition_config_selectorILNS1_17partition_subalgoE4EjNS0_10empty_typeEbEEZZNS1_14partition_implILS8_4ELb0ES6_15HIP_vector_typeIjLj2EENS0_17counting_iteratorIjlEEPS9_SG_NS0_5tupleIJPjSI_NS0_16reverse_iteratorISI_EEEEENSH_IJSG_SG_SG_EEES9_SI_JZNS1_25segmented_radix_sort_implINS0_14default_configELb0EPKfPfPKlPlN2at6native12_GLOBAL__N_18offset_tEEE10hipError_tPvRmT1_PNSt15iterator_traitsIS12_E10value_typeET2_T3_PNS13_IS18_E10value_typeET4_jRbjT5_S1E_jjP12ihipStream_tbEUljE_ZNSN_ISO_Lb0ESQ_SR_ST_SU_SY_EESZ_S10_S11_S12_S16_S17_S18_S1B_S1C_jS1D_jS1E_S1E_jjS1G_bEUljE0_EEESZ_S10_S11_S18_S1C_S1E_T6_T7_T9_mT8_S1G_bDpT10_ENKUlT_T0_E_clISt17integral_constantIbLb0EES1T_IbLb1EEEEDaS1P_S1Q_EUlS1P_E_NS1_11comp_targetILNS1_3genE0ELNS1_11target_archE4294967295ELNS1_3gpuE0ELNS1_3repE0EEENS1_30default_config_static_selectorELNS0_4arch9wavefront6targetE1EEEvS12_.numbered_sgpr, 0
	.set _ZN7rocprim17ROCPRIM_400000_NS6detail17trampoline_kernelINS0_13select_configILj256ELj13ELNS0_17block_load_methodE3ELS4_3ELS4_3ELNS0_20block_scan_algorithmE0ELj4294967295EEENS1_25partition_config_selectorILNS1_17partition_subalgoE4EjNS0_10empty_typeEbEEZZNS1_14partition_implILS8_4ELb0ES6_15HIP_vector_typeIjLj2EENS0_17counting_iteratorIjlEEPS9_SG_NS0_5tupleIJPjSI_NS0_16reverse_iteratorISI_EEEEENSH_IJSG_SG_SG_EEES9_SI_JZNS1_25segmented_radix_sort_implINS0_14default_configELb0EPKfPfPKlPlN2at6native12_GLOBAL__N_18offset_tEEE10hipError_tPvRmT1_PNSt15iterator_traitsIS12_E10value_typeET2_T3_PNS13_IS18_E10value_typeET4_jRbjT5_S1E_jjP12ihipStream_tbEUljE_ZNSN_ISO_Lb0ESQ_SR_ST_SU_SY_EESZ_S10_S11_S12_S16_S17_S18_S1B_S1C_jS1D_jS1E_S1E_jjS1G_bEUljE0_EEESZ_S10_S11_S18_S1C_S1E_T6_T7_T9_mT8_S1G_bDpT10_ENKUlT_T0_E_clISt17integral_constantIbLb0EES1T_IbLb1EEEEDaS1P_S1Q_EUlS1P_E_NS1_11comp_targetILNS1_3genE0ELNS1_11target_archE4294967295ELNS1_3gpuE0ELNS1_3repE0EEENS1_30default_config_static_selectorELNS0_4arch9wavefront6targetE1EEEvS12_.num_named_barrier, 0
	.set _ZN7rocprim17ROCPRIM_400000_NS6detail17trampoline_kernelINS0_13select_configILj256ELj13ELNS0_17block_load_methodE3ELS4_3ELS4_3ELNS0_20block_scan_algorithmE0ELj4294967295EEENS1_25partition_config_selectorILNS1_17partition_subalgoE4EjNS0_10empty_typeEbEEZZNS1_14partition_implILS8_4ELb0ES6_15HIP_vector_typeIjLj2EENS0_17counting_iteratorIjlEEPS9_SG_NS0_5tupleIJPjSI_NS0_16reverse_iteratorISI_EEEEENSH_IJSG_SG_SG_EEES9_SI_JZNS1_25segmented_radix_sort_implINS0_14default_configELb0EPKfPfPKlPlN2at6native12_GLOBAL__N_18offset_tEEE10hipError_tPvRmT1_PNSt15iterator_traitsIS12_E10value_typeET2_T3_PNS13_IS18_E10value_typeET4_jRbjT5_S1E_jjP12ihipStream_tbEUljE_ZNSN_ISO_Lb0ESQ_SR_ST_SU_SY_EESZ_S10_S11_S12_S16_S17_S18_S1B_S1C_jS1D_jS1E_S1E_jjS1G_bEUljE0_EEESZ_S10_S11_S18_S1C_S1E_T6_T7_T9_mT8_S1G_bDpT10_ENKUlT_T0_E_clISt17integral_constantIbLb0EES1T_IbLb1EEEEDaS1P_S1Q_EUlS1P_E_NS1_11comp_targetILNS1_3genE0ELNS1_11target_archE4294967295ELNS1_3gpuE0ELNS1_3repE0EEENS1_30default_config_static_selectorELNS0_4arch9wavefront6targetE1EEEvS12_.private_seg_size, 0
	.set _ZN7rocprim17ROCPRIM_400000_NS6detail17trampoline_kernelINS0_13select_configILj256ELj13ELNS0_17block_load_methodE3ELS4_3ELS4_3ELNS0_20block_scan_algorithmE0ELj4294967295EEENS1_25partition_config_selectorILNS1_17partition_subalgoE4EjNS0_10empty_typeEbEEZZNS1_14partition_implILS8_4ELb0ES6_15HIP_vector_typeIjLj2EENS0_17counting_iteratorIjlEEPS9_SG_NS0_5tupleIJPjSI_NS0_16reverse_iteratorISI_EEEEENSH_IJSG_SG_SG_EEES9_SI_JZNS1_25segmented_radix_sort_implINS0_14default_configELb0EPKfPfPKlPlN2at6native12_GLOBAL__N_18offset_tEEE10hipError_tPvRmT1_PNSt15iterator_traitsIS12_E10value_typeET2_T3_PNS13_IS18_E10value_typeET4_jRbjT5_S1E_jjP12ihipStream_tbEUljE_ZNSN_ISO_Lb0ESQ_SR_ST_SU_SY_EESZ_S10_S11_S12_S16_S17_S18_S1B_S1C_jS1D_jS1E_S1E_jjS1G_bEUljE0_EEESZ_S10_S11_S18_S1C_S1E_T6_T7_T9_mT8_S1G_bDpT10_ENKUlT_T0_E_clISt17integral_constantIbLb0EES1T_IbLb1EEEEDaS1P_S1Q_EUlS1P_E_NS1_11comp_targetILNS1_3genE0ELNS1_11target_archE4294967295ELNS1_3gpuE0ELNS1_3repE0EEENS1_30default_config_static_selectorELNS0_4arch9wavefront6targetE1EEEvS12_.uses_vcc, 0
	.set _ZN7rocprim17ROCPRIM_400000_NS6detail17trampoline_kernelINS0_13select_configILj256ELj13ELNS0_17block_load_methodE3ELS4_3ELS4_3ELNS0_20block_scan_algorithmE0ELj4294967295EEENS1_25partition_config_selectorILNS1_17partition_subalgoE4EjNS0_10empty_typeEbEEZZNS1_14partition_implILS8_4ELb0ES6_15HIP_vector_typeIjLj2EENS0_17counting_iteratorIjlEEPS9_SG_NS0_5tupleIJPjSI_NS0_16reverse_iteratorISI_EEEEENSH_IJSG_SG_SG_EEES9_SI_JZNS1_25segmented_radix_sort_implINS0_14default_configELb0EPKfPfPKlPlN2at6native12_GLOBAL__N_18offset_tEEE10hipError_tPvRmT1_PNSt15iterator_traitsIS12_E10value_typeET2_T3_PNS13_IS18_E10value_typeET4_jRbjT5_S1E_jjP12ihipStream_tbEUljE_ZNSN_ISO_Lb0ESQ_SR_ST_SU_SY_EESZ_S10_S11_S12_S16_S17_S18_S1B_S1C_jS1D_jS1E_S1E_jjS1G_bEUljE0_EEESZ_S10_S11_S18_S1C_S1E_T6_T7_T9_mT8_S1G_bDpT10_ENKUlT_T0_E_clISt17integral_constantIbLb0EES1T_IbLb1EEEEDaS1P_S1Q_EUlS1P_E_NS1_11comp_targetILNS1_3genE0ELNS1_11target_archE4294967295ELNS1_3gpuE0ELNS1_3repE0EEENS1_30default_config_static_selectorELNS0_4arch9wavefront6targetE1EEEvS12_.uses_flat_scratch, 0
	.set _ZN7rocprim17ROCPRIM_400000_NS6detail17trampoline_kernelINS0_13select_configILj256ELj13ELNS0_17block_load_methodE3ELS4_3ELS4_3ELNS0_20block_scan_algorithmE0ELj4294967295EEENS1_25partition_config_selectorILNS1_17partition_subalgoE4EjNS0_10empty_typeEbEEZZNS1_14partition_implILS8_4ELb0ES6_15HIP_vector_typeIjLj2EENS0_17counting_iteratorIjlEEPS9_SG_NS0_5tupleIJPjSI_NS0_16reverse_iteratorISI_EEEEENSH_IJSG_SG_SG_EEES9_SI_JZNS1_25segmented_radix_sort_implINS0_14default_configELb0EPKfPfPKlPlN2at6native12_GLOBAL__N_18offset_tEEE10hipError_tPvRmT1_PNSt15iterator_traitsIS12_E10value_typeET2_T3_PNS13_IS18_E10value_typeET4_jRbjT5_S1E_jjP12ihipStream_tbEUljE_ZNSN_ISO_Lb0ESQ_SR_ST_SU_SY_EESZ_S10_S11_S12_S16_S17_S18_S1B_S1C_jS1D_jS1E_S1E_jjS1G_bEUljE0_EEESZ_S10_S11_S18_S1C_S1E_T6_T7_T9_mT8_S1G_bDpT10_ENKUlT_T0_E_clISt17integral_constantIbLb0EES1T_IbLb1EEEEDaS1P_S1Q_EUlS1P_E_NS1_11comp_targetILNS1_3genE0ELNS1_11target_archE4294967295ELNS1_3gpuE0ELNS1_3repE0EEENS1_30default_config_static_selectorELNS0_4arch9wavefront6targetE1EEEvS12_.has_dyn_sized_stack, 0
	.set _ZN7rocprim17ROCPRIM_400000_NS6detail17trampoline_kernelINS0_13select_configILj256ELj13ELNS0_17block_load_methodE3ELS4_3ELS4_3ELNS0_20block_scan_algorithmE0ELj4294967295EEENS1_25partition_config_selectorILNS1_17partition_subalgoE4EjNS0_10empty_typeEbEEZZNS1_14partition_implILS8_4ELb0ES6_15HIP_vector_typeIjLj2EENS0_17counting_iteratorIjlEEPS9_SG_NS0_5tupleIJPjSI_NS0_16reverse_iteratorISI_EEEEENSH_IJSG_SG_SG_EEES9_SI_JZNS1_25segmented_radix_sort_implINS0_14default_configELb0EPKfPfPKlPlN2at6native12_GLOBAL__N_18offset_tEEE10hipError_tPvRmT1_PNSt15iterator_traitsIS12_E10value_typeET2_T3_PNS13_IS18_E10value_typeET4_jRbjT5_S1E_jjP12ihipStream_tbEUljE_ZNSN_ISO_Lb0ESQ_SR_ST_SU_SY_EESZ_S10_S11_S12_S16_S17_S18_S1B_S1C_jS1D_jS1E_S1E_jjS1G_bEUljE0_EEESZ_S10_S11_S18_S1C_S1E_T6_T7_T9_mT8_S1G_bDpT10_ENKUlT_T0_E_clISt17integral_constantIbLb0EES1T_IbLb1EEEEDaS1P_S1Q_EUlS1P_E_NS1_11comp_targetILNS1_3genE0ELNS1_11target_archE4294967295ELNS1_3gpuE0ELNS1_3repE0EEENS1_30default_config_static_selectorELNS0_4arch9wavefront6targetE1EEEvS12_.has_recursion, 0
	.set _ZN7rocprim17ROCPRIM_400000_NS6detail17trampoline_kernelINS0_13select_configILj256ELj13ELNS0_17block_load_methodE3ELS4_3ELS4_3ELNS0_20block_scan_algorithmE0ELj4294967295EEENS1_25partition_config_selectorILNS1_17partition_subalgoE4EjNS0_10empty_typeEbEEZZNS1_14partition_implILS8_4ELb0ES6_15HIP_vector_typeIjLj2EENS0_17counting_iteratorIjlEEPS9_SG_NS0_5tupleIJPjSI_NS0_16reverse_iteratorISI_EEEEENSH_IJSG_SG_SG_EEES9_SI_JZNS1_25segmented_radix_sort_implINS0_14default_configELb0EPKfPfPKlPlN2at6native12_GLOBAL__N_18offset_tEEE10hipError_tPvRmT1_PNSt15iterator_traitsIS12_E10value_typeET2_T3_PNS13_IS18_E10value_typeET4_jRbjT5_S1E_jjP12ihipStream_tbEUljE_ZNSN_ISO_Lb0ESQ_SR_ST_SU_SY_EESZ_S10_S11_S12_S16_S17_S18_S1B_S1C_jS1D_jS1E_S1E_jjS1G_bEUljE0_EEESZ_S10_S11_S18_S1C_S1E_T6_T7_T9_mT8_S1G_bDpT10_ENKUlT_T0_E_clISt17integral_constantIbLb0EES1T_IbLb1EEEEDaS1P_S1Q_EUlS1P_E_NS1_11comp_targetILNS1_3genE0ELNS1_11target_archE4294967295ELNS1_3gpuE0ELNS1_3repE0EEENS1_30default_config_static_selectorELNS0_4arch9wavefront6targetE1EEEvS12_.has_indirect_call, 0
	.section	.AMDGPU.csdata,"",@progbits
; Kernel info:
; codeLenInByte = 0
; TotalNumSgprs: 4
; NumVgprs: 0
; ScratchSize: 0
; MemoryBound: 0
; FloatMode: 240
; IeeeMode: 1
; LDSByteSize: 0 bytes/workgroup (compile time only)
; SGPRBlocks: 0
; VGPRBlocks: 0
; NumSGPRsForWavesPerEU: 4
; NumVGPRsForWavesPerEU: 1
; Occupancy: 10
; WaveLimiterHint : 0
; COMPUTE_PGM_RSRC2:SCRATCH_EN: 0
; COMPUTE_PGM_RSRC2:USER_SGPR: 6
; COMPUTE_PGM_RSRC2:TRAP_HANDLER: 0
; COMPUTE_PGM_RSRC2:TGID_X_EN: 1
; COMPUTE_PGM_RSRC2:TGID_Y_EN: 0
; COMPUTE_PGM_RSRC2:TGID_Z_EN: 0
; COMPUTE_PGM_RSRC2:TIDIG_COMP_CNT: 0
	.section	.text._ZN7rocprim17ROCPRIM_400000_NS6detail17trampoline_kernelINS0_13select_configILj256ELj13ELNS0_17block_load_methodE3ELS4_3ELS4_3ELNS0_20block_scan_algorithmE0ELj4294967295EEENS1_25partition_config_selectorILNS1_17partition_subalgoE4EjNS0_10empty_typeEbEEZZNS1_14partition_implILS8_4ELb0ES6_15HIP_vector_typeIjLj2EENS0_17counting_iteratorIjlEEPS9_SG_NS0_5tupleIJPjSI_NS0_16reverse_iteratorISI_EEEEENSH_IJSG_SG_SG_EEES9_SI_JZNS1_25segmented_radix_sort_implINS0_14default_configELb0EPKfPfPKlPlN2at6native12_GLOBAL__N_18offset_tEEE10hipError_tPvRmT1_PNSt15iterator_traitsIS12_E10value_typeET2_T3_PNS13_IS18_E10value_typeET4_jRbjT5_S1E_jjP12ihipStream_tbEUljE_ZNSN_ISO_Lb0ESQ_SR_ST_SU_SY_EESZ_S10_S11_S12_S16_S17_S18_S1B_S1C_jS1D_jS1E_S1E_jjS1G_bEUljE0_EEESZ_S10_S11_S18_S1C_S1E_T6_T7_T9_mT8_S1G_bDpT10_ENKUlT_T0_E_clISt17integral_constantIbLb0EES1T_IbLb1EEEEDaS1P_S1Q_EUlS1P_E_NS1_11comp_targetILNS1_3genE5ELNS1_11target_archE942ELNS1_3gpuE9ELNS1_3repE0EEENS1_30default_config_static_selectorELNS0_4arch9wavefront6targetE1EEEvS12_,"axG",@progbits,_ZN7rocprim17ROCPRIM_400000_NS6detail17trampoline_kernelINS0_13select_configILj256ELj13ELNS0_17block_load_methodE3ELS4_3ELS4_3ELNS0_20block_scan_algorithmE0ELj4294967295EEENS1_25partition_config_selectorILNS1_17partition_subalgoE4EjNS0_10empty_typeEbEEZZNS1_14partition_implILS8_4ELb0ES6_15HIP_vector_typeIjLj2EENS0_17counting_iteratorIjlEEPS9_SG_NS0_5tupleIJPjSI_NS0_16reverse_iteratorISI_EEEEENSH_IJSG_SG_SG_EEES9_SI_JZNS1_25segmented_radix_sort_implINS0_14default_configELb0EPKfPfPKlPlN2at6native12_GLOBAL__N_18offset_tEEE10hipError_tPvRmT1_PNSt15iterator_traitsIS12_E10value_typeET2_T3_PNS13_IS18_E10value_typeET4_jRbjT5_S1E_jjP12ihipStream_tbEUljE_ZNSN_ISO_Lb0ESQ_SR_ST_SU_SY_EESZ_S10_S11_S12_S16_S17_S18_S1B_S1C_jS1D_jS1E_S1E_jjS1G_bEUljE0_EEESZ_S10_S11_S18_S1C_S1E_T6_T7_T9_mT8_S1G_bDpT10_ENKUlT_T0_E_clISt17integral_constantIbLb0EES1T_IbLb1EEEEDaS1P_S1Q_EUlS1P_E_NS1_11comp_targetILNS1_3genE5ELNS1_11target_archE942ELNS1_3gpuE9ELNS1_3repE0EEENS1_30default_config_static_selectorELNS0_4arch9wavefront6targetE1EEEvS12_,comdat
	.globl	_ZN7rocprim17ROCPRIM_400000_NS6detail17trampoline_kernelINS0_13select_configILj256ELj13ELNS0_17block_load_methodE3ELS4_3ELS4_3ELNS0_20block_scan_algorithmE0ELj4294967295EEENS1_25partition_config_selectorILNS1_17partition_subalgoE4EjNS0_10empty_typeEbEEZZNS1_14partition_implILS8_4ELb0ES6_15HIP_vector_typeIjLj2EENS0_17counting_iteratorIjlEEPS9_SG_NS0_5tupleIJPjSI_NS0_16reverse_iteratorISI_EEEEENSH_IJSG_SG_SG_EEES9_SI_JZNS1_25segmented_radix_sort_implINS0_14default_configELb0EPKfPfPKlPlN2at6native12_GLOBAL__N_18offset_tEEE10hipError_tPvRmT1_PNSt15iterator_traitsIS12_E10value_typeET2_T3_PNS13_IS18_E10value_typeET4_jRbjT5_S1E_jjP12ihipStream_tbEUljE_ZNSN_ISO_Lb0ESQ_SR_ST_SU_SY_EESZ_S10_S11_S12_S16_S17_S18_S1B_S1C_jS1D_jS1E_S1E_jjS1G_bEUljE0_EEESZ_S10_S11_S18_S1C_S1E_T6_T7_T9_mT8_S1G_bDpT10_ENKUlT_T0_E_clISt17integral_constantIbLb0EES1T_IbLb1EEEEDaS1P_S1Q_EUlS1P_E_NS1_11comp_targetILNS1_3genE5ELNS1_11target_archE942ELNS1_3gpuE9ELNS1_3repE0EEENS1_30default_config_static_selectorELNS0_4arch9wavefront6targetE1EEEvS12_ ; -- Begin function _ZN7rocprim17ROCPRIM_400000_NS6detail17trampoline_kernelINS0_13select_configILj256ELj13ELNS0_17block_load_methodE3ELS4_3ELS4_3ELNS0_20block_scan_algorithmE0ELj4294967295EEENS1_25partition_config_selectorILNS1_17partition_subalgoE4EjNS0_10empty_typeEbEEZZNS1_14partition_implILS8_4ELb0ES6_15HIP_vector_typeIjLj2EENS0_17counting_iteratorIjlEEPS9_SG_NS0_5tupleIJPjSI_NS0_16reverse_iteratorISI_EEEEENSH_IJSG_SG_SG_EEES9_SI_JZNS1_25segmented_radix_sort_implINS0_14default_configELb0EPKfPfPKlPlN2at6native12_GLOBAL__N_18offset_tEEE10hipError_tPvRmT1_PNSt15iterator_traitsIS12_E10value_typeET2_T3_PNS13_IS18_E10value_typeET4_jRbjT5_S1E_jjP12ihipStream_tbEUljE_ZNSN_ISO_Lb0ESQ_SR_ST_SU_SY_EESZ_S10_S11_S12_S16_S17_S18_S1B_S1C_jS1D_jS1E_S1E_jjS1G_bEUljE0_EEESZ_S10_S11_S18_S1C_S1E_T6_T7_T9_mT8_S1G_bDpT10_ENKUlT_T0_E_clISt17integral_constantIbLb0EES1T_IbLb1EEEEDaS1P_S1Q_EUlS1P_E_NS1_11comp_targetILNS1_3genE5ELNS1_11target_archE942ELNS1_3gpuE9ELNS1_3repE0EEENS1_30default_config_static_selectorELNS0_4arch9wavefront6targetE1EEEvS12_
	.p2align	8
	.type	_ZN7rocprim17ROCPRIM_400000_NS6detail17trampoline_kernelINS0_13select_configILj256ELj13ELNS0_17block_load_methodE3ELS4_3ELS4_3ELNS0_20block_scan_algorithmE0ELj4294967295EEENS1_25partition_config_selectorILNS1_17partition_subalgoE4EjNS0_10empty_typeEbEEZZNS1_14partition_implILS8_4ELb0ES6_15HIP_vector_typeIjLj2EENS0_17counting_iteratorIjlEEPS9_SG_NS0_5tupleIJPjSI_NS0_16reverse_iteratorISI_EEEEENSH_IJSG_SG_SG_EEES9_SI_JZNS1_25segmented_radix_sort_implINS0_14default_configELb0EPKfPfPKlPlN2at6native12_GLOBAL__N_18offset_tEEE10hipError_tPvRmT1_PNSt15iterator_traitsIS12_E10value_typeET2_T3_PNS13_IS18_E10value_typeET4_jRbjT5_S1E_jjP12ihipStream_tbEUljE_ZNSN_ISO_Lb0ESQ_SR_ST_SU_SY_EESZ_S10_S11_S12_S16_S17_S18_S1B_S1C_jS1D_jS1E_S1E_jjS1G_bEUljE0_EEESZ_S10_S11_S18_S1C_S1E_T6_T7_T9_mT8_S1G_bDpT10_ENKUlT_T0_E_clISt17integral_constantIbLb0EES1T_IbLb1EEEEDaS1P_S1Q_EUlS1P_E_NS1_11comp_targetILNS1_3genE5ELNS1_11target_archE942ELNS1_3gpuE9ELNS1_3repE0EEENS1_30default_config_static_selectorELNS0_4arch9wavefront6targetE1EEEvS12_,@function
_ZN7rocprim17ROCPRIM_400000_NS6detail17trampoline_kernelINS0_13select_configILj256ELj13ELNS0_17block_load_methodE3ELS4_3ELS4_3ELNS0_20block_scan_algorithmE0ELj4294967295EEENS1_25partition_config_selectorILNS1_17partition_subalgoE4EjNS0_10empty_typeEbEEZZNS1_14partition_implILS8_4ELb0ES6_15HIP_vector_typeIjLj2EENS0_17counting_iteratorIjlEEPS9_SG_NS0_5tupleIJPjSI_NS0_16reverse_iteratorISI_EEEEENSH_IJSG_SG_SG_EEES9_SI_JZNS1_25segmented_radix_sort_implINS0_14default_configELb0EPKfPfPKlPlN2at6native12_GLOBAL__N_18offset_tEEE10hipError_tPvRmT1_PNSt15iterator_traitsIS12_E10value_typeET2_T3_PNS13_IS18_E10value_typeET4_jRbjT5_S1E_jjP12ihipStream_tbEUljE_ZNSN_ISO_Lb0ESQ_SR_ST_SU_SY_EESZ_S10_S11_S12_S16_S17_S18_S1B_S1C_jS1D_jS1E_S1E_jjS1G_bEUljE0_EEESZ_S10_S11_S18_S1C_S1E_T6_T7_T9_mT8_S1G_bDpT10_ENKUlT_T0_E_clISt17integral_constantIbLb0EES1T_IbLb1EEEEDaS1P_S1Q_EUlS1P_E_NS1_11comp_targetILNS1_3genE5ELNS1_11target_archE942ELNS1_3gpuE9ELNS1_3repE0EEENS1_30default_config_static_selectorELNS0_4arch9wavefront6targetE1EEEvS12_: ; @_ZN7rocprim17ROCPRIM_400000_NS6detail17trampoline_kernelINS0_13select_configILj256ELj13ELNS0_17block_load_methodE3ELS4_3ELS4_3ELNS0_20block_scan_algorithmE0ELj4294967295EEENS1_25partition_config_selectorILNS1_17partition_subalgoE4EjNS0_10empty_typeEbEEZZNS1_14partition_implILS8_4ELb0ES6_15HIP_vector_typeIjLj2EENS0_17counting_iteratorIjlEEPS9_SG_NS0_5tupleIJPjSI_NS0_16reverse_iteratorISI_EEEEENSH_IJSG_SG_SG_EEES9_SI_JZNS1_25segmented_radix_sort_implINS0_14default_configELb0EPKfPfPKlPlN2at6native12_GLOBAL__N_18offset_tEEE10hipError_tPvRmT1_PNSt15iterator_traitsIS12_E10value_typeET2_T3_PNS13_IS18_E10value_typeET4_jRbjT5_S1E_jjP12ihipStream_tbEUljE_ZNSN_ISO_Lb0ESQ_SR_ST_SU_SY_EESZ_S10_S11_S12_S16_S17_S18_S1B_S1C_jS1D_jS1E_S1E_jjS1G_bEUljE0_EEESZ_S10_S11_S18_S1C_S1E_T6_T7_T9_mT8_S1G_bDpT10_ENKUlT_T0_E_clISt17integral_constantIbLb0EES1T_IbLb1EEEEDaS1P_S1Q_EUlS1P_E_NS1_11comp_targetILNS1_3genE5ELNS1_11target_archE942ELNS1_3gpuE9ELNS1_3repE0EEENS1_30default_config_static_selectorELNS0_4arch9wavefront6targetE1EEEvS12_
; %bb.0:
	.section	.rodata,"a",@progbits
	.p2align	6, 0x0
	.amdhsa_kernel _ZN7rocprim17ROCPRIM_400000_NS6detail17trampoline_kernelINS0_13select_configILj256ELj13ELNS0_17block_load_methodE3ELS4_3ELS4_3ELNS0_20block_scan_algorithmE0ELj4294967295EEENS1_25partition_config_selectorILNS1_17partition_subalgoE4EjNS0_10empty_typeEbEEZZNS1_14partition_implILS8_4ELb0ES6_15HIP_vector_typeIjLj2EENS0_17counting_iteratorIjlEEPS9_SG_NS0_5tupleIJPjSI_NS0_16reverse_iteratorISI_EEEEENSH_IJSG_SG_SG_EEES9_SI_JZNS1_25segmented_radix_sort_implINS0_14default_configELb0EPKfPfPKlPlN2at6native12_GLOBAL__N_18offset_tEEE10hipError_tPvRmT1_PNSt15iterator_traitsIS12_E10value_typeET2_T3_PNS13_IS18_E10value_typeET4_jRbjT5_S1E_jjP12ihipStream_tbEUljE_ZNSN_ISO_Lb0ESQ_SR_ST_SU_SY_EESZ_S10_S11_S12_S16_S17_S18_S1B_S1C_jS1D_jS1E_S1E_jjS1G_bEUljE0_EEESZ_S10_S11_S18_S1C_S1E_T6_T7_T9_mT8_S1G_bDpT10_ENKUlT_T0_E_clISt17integral_constantIbLb0EES1T_IbLb1EEEEDaS1P_S1Q_EUlS1P_E_NS1_11comp_targetILNS1_3genE5ELNS1_11target_archE942ELNS1_3gpuE9ELNS1_3repE0EEENS1_30default_config_static_selectorELNS0_4arch9wavefront6targetE1EEEvS12_
		.amdhsa_group_segment_fixed_size 0
		.amdhsa_private_segment_fixed_size 0
		.amdhsa_kernarg_size 184
		.amdhsa_user_sgpr_count 6
		.amdhsa_user_sgpr_private_segment_buffer 1
		.amdhsa_user_sgpr_dispatch_ptr 0
		.amdhsa_user_sgpr_queue_ptr 0
		.amdhsa_user_sgpr_kernarg_segment_ptr 1
		.amdhsa_user_sgpr_dispatch_id 0
		.amdhsa_user_sgpr_flat_scratch_init 0
		.amdhsa_user_sgpr_private_segment_size 0
		.amdhsa_uses_dynamic_stack 0
		.amdhsa_system_sgpr_private_segment_wavefront_offset 0
		.amdhsa_system_sgpr_workgroup_id_x 1
		.amdhsa_system_sgpr_workgroup_id_y 0
		.amdhsa_system_sgpr_workgroup_id_z 0
		.amdhsa_system_sgpr_workgroup_info 0
		.amdhsa_system_vgpr_workitem_id 0
		.amdhsa_next_free_vgpr 1
		.amdhsa_next_free_sgpr 0
		.amdhsa_reserve_vcc 0
		.amdhsa_reserve_flat_scratch 0
		.amdhsa_float_round_mode_32 0
		.amdhsa_float_round_mode_16_64 0
		.amdhsa_float_denorm_mode_32 3
		.amdhsa_float_denorm_mode_16_64 3
		.amdhsa_dx10_clamp 1
		.amdhsa_ieee_mode 1
		.amdhsa_fp16_overflow 0
		.amdhsa_exception_fp_ieee_invalid_op 0
		.amdhsa_exception_fp_denorm_src 0
		.amdhsa_exception_fp_ieee_div_zero 0
		.amdhsa_exception_fp_ieee_overflow 0
		.amdhsa_exception_fp_ieee_underflow 0
		.amdhsa_exception_fp_ieee_inexact 0
		.amdhsa_exception_int_div_zero 0
	.end_amdhsa_kernel
	.section	.text._ZN7rocprim17ROCPRIM_400000_NS6detail17trampoline_kernelINS0_13select_configILj256ELj13ELNS0_17block_load_methodE3ELS4_3ELS4_3ELNS0_20block_scan_algorithmE0ELj4294967295EEENS1_25partition_config_selectorILNS1_17partition_subalgoE4EjNS0_10empty_typeEbEEZZNS1_14partition_implILS8_4ELb0ES6_15HIP_vector_typeIjLj2EENS0_17counting_iteratorIjlEEPS9_SG_NS0_5tupleIJPjSI_NS0_16reverse_iteratorISI_EEEEENSH_IJSG_SG_SG_EEES9_SI_JZNS1_25segmented_radix_sort_implINS0_14default_configELb0EPKfPfPKlPlN2at6native12_GLOBAL__N_18offset_tEEE10hipError_tPvRmT1_PNSt15iterator_traitsIS12_E10value_typeET2_T3_PNS13_IS18_E10value_typeET4_jRbjT5_S1E_jjP12ihipStream_tbEUljE_ZNSN_ISO_Lb0ESQ_SR_ST_SU_SY_EESZ_S10_S11_S12_S16_S17_S18_S1B_S1C_jS1D_jS1E_S1E_jjS1G_bEUljE0_EEESZ_S10_S11_S18_S1C_S1E_T6_T7_T9_mT8_S1G_bDpT10_ENKUlT_T0_E_clISt17integral_constantIbLb0EES1T_IbLb1EEEEDaS1P_S1Q_EUlS1P_E_NS1_11comp_targetILNS1_3genE5ELNS1_11target_archE942ELNS1_3gpuE9ELNS1_3repE0EEENS1_30default_config_static_selectorELNS0_4arch9wavefront6targetE1EEEvS12_,"axG",@progbits,_ZN7rocprim17ROCPRIM_400000_NS6detail17trampoline_kernelINS0_13select_configILj256ELj13ELNS0_17block_load_methodE3ELS4_3ELS4_3ELNS0_20block_scan_algorithmE0ELj4294967295EEENS1_25partition_config_selectorILNS1_17partition_subalgoE4EjNS0_10empty_typeEbEEZZNS1_14partition_implILS8_4ELb0ES6_15HIP_vector_typeIjLj2EENS0_17counting_iteratorIjlEEPS9_SG_NS0_5tupleIJPjSI_NS0_16reverse_iteratorISI_EEEEENSH_IJSG_SG_SG_EEES9_SI_JZNS1_25segmented_radix_sort_implINS0_14default_configELb0EPKfPfPKlPlN2at6native12_GLOBAL__N_18offset_tEEE10hipError_tPvRmT1_PNSt15iterator_traitsIS12_E10value_typeET2_T3_PNS13_IS18_E10value_typeET4_jRbjT5_S1E_jjP12ihipStream_tbEUljE_ZNSN_ISO_Lb0ESQ_SR_ST_SU_SY_EESZ_S10_S11_S12_S16_S17_S18_S1B_S1C_jS1D_jS1E_S1E_jjS1G_bEUljE0_EEESZ_S10_S11_S18_S1C_S1E_T6_T7_T9_mT8_S1G_bDpT10_ENKUlT_T0_E_clISt17integral_constantIbLb0EES1T_IbLb1EEEEDaS1P_S1Q_EUlS1P_E_NS1_11comp_targetILNS1_3genE5ELNS1_11target_archE942ELNS1_3gpuE9ELNS1_3repE0EEENS1_30default_config_static_selectorELNS0_4arch9wavefront6targetE1EEEvS12_,comdat
.Lfunc_end1389:
	.size	_ZN7rocprim17ROCPRIM_400000_NS6detail17trampoline_kernelINS0_13select_configILj256ELj13ELNS0_17block_load_methodE3ELS4_3ELS4_3ELNS0_20block_scan_algorithmE0ELj4294967295EEENS1_25partition_config_selectorILNS1_17partition_subalgoE4EjNS0_10empty_typeEbEEZZNS1_14partition_implILS8_4ELb0ES6_15HIP_vector_typeIjLj2EENS0_17counting_iteratorIjlEEPS9_SG_NS0_5tupleIJPjSI_NS0_16reverse_iteratorISI_EEEEENSH_IJSG_SG_SG_EEES9_SI_JZNS1_25segmented_radix_sort_implINS0_14default_configELb0EPKfPfPKlPlN2at6native12_GLOBAL__N_18offset_tEEE10hipError_tPvRmT1_PNSt15iterator_traitsIS12_E10value_typeET2_T3_PNS13_IS18_E10value_typeET4_jRbjT5_S1E_jjP12ihipStream_tbEUljE_ZNSN_ISO_Lb0ESQ_SR_ST_SU_SY_EESZ_S10_S11_S12_S16_S17_S18_S1B_S1C_jS1D_jS1E_S1E_jjS1G_bEUljE0_EEESZ_S10_S11_S18_S1C_S1E_T6_T7_T9_mT8_S1G_bDpT10_ENKUlT_T0_E_clISt17integral_constantIbLb0EES1T_IbLb1EEEEDaS1P_S1Q_EUlS1P_E_NS1_11comp_targetILNS1_3genE5ELNS1_11target_archE942ELNS1_3gpuE9ELNS1_3repE0EEENS1_30default_config_static_selectorELNS0_4arch9wavefront6targetE1EEEvS12_, .Lfunc_end1389-_ZN7rocprim17ROCPRIM_400000_NS6detail17trampoline_kernelINS0_13select_configILj256ELj13ELNS0_17block_load_methodE3ELS4_3ELS4_3ELNS0_20block_scan_algorithmE0ELj4294967295EEENS1_25partition_config_selectorILNS1_17partition_subalgoE4EjNS0_10empty_typeEbEEZZNS1_14partition_implILS8_4ELb0ES6_15HIP_vector_typeIjLj2EENS0_17counting_iteratorIjlEEPS9_SG_NS0_5tupleIJPjSI_NS0_16reverse_iteratorISI_EEEEENSH_IJSG_SG_SG_EEES9_SI_JZNS1_25segmented_radix_sort_implINS0_14default_configELb0EPKfPfPKlPlN2at6native12_GLOBAL__N_18offset_tEEE10hipError_tPvRmT1_PNSt15iterator_traitsIS12_E10value_typeET2_T3_PNS13_IS18_E10value_typeET4_jRbjT5_S1E_jjP12ihipStream_tbEUljE_ZNSN_ISO_Lb0ESQ_SR_ST_SU_SY_EESZ_S10_S11_S12_S16_S17_S18_S1B_S1C_jS1D_jS1E_S1E_jjS1G_bEUljE0_EEESZ_S10_S11_S18_S1C_S1E_T6_T7_T9_mT8_S1G_bDpT10_ENKUlT_T0_E_clISt17integral_constantIbLb0EES1T_IbLb1EEEEDaS1P_S1Q_EUlS1P_E_NS1_11comp_targetILNS1_3genE5ELNS1_11target_archE942ELNS1_3gpuE9ELNS1_3repE0EEENS1_30default_config_static_selectorELNS0_4arch9wavefront6targetE1EEEvS12_
                                        ; -- End function
	.set _ZN7rocprim17ROCPRIM_400000_NS6detail17trampoline_kernelINS0_13select_configILj256ELj13ELNS0_17block_load_methodE3ELS4_3ELS4_3ELNS0_20block_scan_algorithmE0ELj4294967295EEENS1_25partition_config_selectorILNS1_17partition_subalgoE4EjNS0_10empty_typeEbEEZZNS1_14partition_implILS8_4ELb0ES6_15HIP_vector_typeIjLj2EENS0_17counting_iteratorIjlEEPS9_SG_NS0_5tupleIJPjSI_NS0_16reverse_iteratorISI_EEEEENSH_IJSG_SG_SG_EEES9_SI_JZNS1_25segmented_radix_sort_implINS0_14default_configELb0EPKfPfPKlPlN2at6native12_GLOBAL__N_18offset_tEEE10hipError_tPvRmT1_PNSt15iterator_traitsIS12_E10value_typeET2_T3_PNS13_IS18_E10value_typeET4_jRbjT5_S1E_jjP12ihipStream_tbEUljE_ZNSN_ISO_Lb0ESQ_SR_ST_SU_SY_EESZ_S10_S11_S12_S16_S17_S18_S1B_S1C_jS1D_jS1E_S1E_jjS1G_bEUljE0_EEESZ_S10_S11_S18_S1C_S1E_T6_T7_T9_mT8_S1G_bDpT10_ENKUlT_T0_E_clISt17integral_constantIbLb0EES1T_IbLb1EEEEDaS1P_S1Q_EUlS1P_E_NS1_11comp_targetILNS1_3genE5ELNS1_11target_archE942ELNS1_3gpuE9ELNS1_3repE0EEENS1_30default_config_static_selectorELNS0_4arch9wavefront6targetE1EEEvS12_.num_vgpr, 0
	.set _ZN7rocprim17ROCPRIM_400000_NS6detail17trampoline_kernelINS0_13select_configILj256ELj13ELNS0_17block_load_methodE3ELS4_3ELS4_3ELNS0_20block_scan_algorithmE0ELj4294967295EEENS1_25partition_config_selectorILNS1_17partition_subalgoE4EjNS0_10empty_typeEbEEZZNS1_14partition_implILS8_4ELb0ES6_15HIP_vector_typeIjLj2EENS0_17counting_iteratorIjlEEPS9_SG_NS0_5tupleIJPjSI_NS0_16reverse_iteratorISI_EEEEENSH_IJSG_SG_SG_EEES9_SI_JZNS1_25segmented_radix_sort_implINS0_14default_configELb0EPKfPfPKlPlN2at6native12_GLOBAL__N_18offset_tEEE10hipError_tPvRmT1_PNSt15iterator_traitsIS12_E10value_typeET2_T3_PNS13_IS18_E10value_typeET4_jRbjT5_S1E_jjP12ihipStream_tbEUljE_ZNSN_ISO_Lb0ESQ_SR_ST_SU_SY_EESZ_S10_S11_S12_S16_S17_S18_S1B_S1C_jS1D_jS1E_S1E_jjS1G_bEUljE0_EEESZ_S10_S11_S18_S1C_S1E_T6_T7_T9_mT8_S1G_bDpT10_ENKUlT_T0_E_clISt17integral_constantIbLb0EES1T_IbLb1EEEEDaS1P_S1Q_EUlS1P_E_NS1_11comp_targetILNS1_3genE5ELNS1_11target_archE942ELNS1_3gpuE9ELNS1_3repE0EEENS1_30default_config_static_selectorELNS0_4arch9wavefront6targetE1EEEvS12_.num_agpr, 0
	.set _ZN7rocprim17ROCPRIM_400000_NS6detail17trampoline_kernelINS0_13select_configILj256ELj13ELNS0_17block_load_methodE3ELS4_3ELS4_3ELNS0_20block_scan_algorithmE0ELj4294967295EEENS1_25partition_config_selectorILNS1_17partition_subalgoE4EjNS0_10empty_typeEbEEZZNS1_14partition_implILS8_4ELb0ES6_15HIP_vector_typeIjLj2EENS0_17counting_iteratorIjlEEPS9_SG_NS0_5tupleIJPjSI_NS0_16reverse_iteratorISI_EEEEENSH_IJSG_SG_SG_EEES9_SI_JZNS1_25segmented_radix_sort_implINS0_14default_configELb0EPKfPfPKlPlN2at6native12_GLOBAL__N_18offset_tEEE10hipError_tPvRmT1_PNSt15iterator_traitsIS12_E10value_typeET2_T3_PNS13_IS18_E10value_typeET4_jRbjT5_S1E_jjP12ihipStream_tbEUljE_ZNSN_ISO_Lb0ESQ_SR_ST_SU_SY_EESZ_S10_S11_S12_S16_S17_S18_S1B_S1C_jS1D_jS1E_S1E_jjS1G_bEUljE0_EEESZ_S10_S11_S18_S1C_S1E_T6_T7_T9_mT8_S1G_bDpT10_ENKUlT_T0_E_clISt17integral_constantIbLb0EES1T_IbLb1EEEEDaS1P_S1Q_EUlS1P_E_NS1_11comp_targetILNS1_3genE5ELNS1_11target_archE942ELNS1_3gpuE9ELNS1_3repE0EEENS1_30default_config_static_selectorELNS0_4arch9wavefront6targetE1EEEvS12_.numbered_sgpr, 0
	.set _ZN7rocprim17ROCPRIM_400000_NS6detail17trampoline_kernelINS0_13select_configILj256ELj13ELNS0_17block_load_methodE3ELS4_3ELS4_3ELNS0_20block_scan_algorithmE0ELj4294967295EEENS1_25partition_config_selectorILNS1_17partition_subalgoE4EjNS0_10empty_typeEbEEZZNS1_14partition_implILS8_4ELb0ES6_15HIP_vector_typeIjLj2EENS0_17counting_iteratorIjlEEPS9_SG_NS0_5tupleIJPjSI_NS0_16reverse_iteratorISI_EEEEENSH_IJSG_SG_SG_EEES9_SI_JZNS1_25segmented_radix_sort_implINS0_14default_configELb0EPKfPfPKlPlN2at6native12_GLOBAL__N_18offset_tEEE10hipError_tPvRmT1_PNSt15iterator_traitsIS12_E10value_typeET2_T3_PNS13_IS18_E10value_typeET4_jRbjT5_S1E_jjP12ihipStream_tbEUljE_ZNSN_ISO_Lb0ESQ_SR_ST_SU_SY_EESZ_S10_S11_S12_S16_S17_S18_S1B_S1C_jS1D_jS1E_S1E_jjS1G_bEUljE0_EEESZ_S10_S11_S18_S1C_S1E_T6_T7_T9_mT8_S1G_bDpT10_ENKUlT_T0_E_clISt17integral_constantIbLb0EES1T_IbLb1EEEEDaS1P_S1Q_EUlS1P_E_NS1_11comp_targetILNS1_3genE5ELNS1_11target_archE942ELNS1_3gpuE9ELNS1_3repE0EEENS1_30default_config_static_selectorELNS0_4arch9wavefront6targetE1EEEvS12_.num_named_barrier, 0
	.set _ZN7rocprim17ROCPRIM_400000_NS6detail17trampoline_kernelINS0_13select_configILj256ELj13ELNS0_17block_load_methodE3ELS4_3ELS4_3ELNS0_20block_scan_algorithmE0ELj4294967295EEENS1_25partition_config_selectorILNS1_17partition_subalgoE4EjNS0_10empty_typeEbEEZZNS1_14partition_implILS8_4ELb0ES6_15HIP_vector_typeIjLj2EENS0_17counting_iteratorIjlEEPS9_SG_NS0_5tupleIJPjSI_NS0_16reverse_iteratorISI_EEEEENSH_IJSG_SG_SG_EEES9_SI_JZNS1_25segmented_radix_sort_implINS0_14default_configELb0EPKfPfPKlPlN2at6native12_GLOBAL__N_18offset_tEEE10hipError_tPvRmT1_PNSt15iterator_traitsIS12_E10value_typeET2_T3_PNS13_IS18_E10value_typeET4_jRbjT5_S1E_jjP12ihipStream_tbEUljE_ZNSN_ISO_Lb0ESQ_SR_ST_SU_SY_EESZ_S10_S11_S12_S16_S17_S18_S1B_S1C_jS1D_jS1E_S1E_jjS1G_bEUljE0_EEESZ_S10_S11_S18_S1C_S1E_T6_T7_T9_mT8_S1G_bDpT10_ENKUlT_T0_E_clISt17integral_constantIbLb0EES1T_IbLb1EEEEDaS1P_S1Q_EUlS1P_E_NS1_11comp_targetILNS1_3genE5ELNS1_11target_archE942ELNS1_3gpuE9ELNS1_3repE0EEENS1_30default_config_static_selectorELNS0_4arch9wavefront6targetE1EEEvS12_.private_seg_size, 0
	.set _ZN7rocprim17ROCPRIM_400000_NS6detail17trampoline_kernelINS0_13select_configILj256ELj13ELNS0_17block_load_methodE3ELS4_3ELS4_3ELNS0_20block_scan_algorithmE0ELj4294967295EEENS1_25partition_config_selectorILNS1_17partition_subalgoE4EjNS0_10empty_typeEbEEZZNS1_14partition_implILS8_4ELb0ES6_15HIP_vector_typeIjLj2EENS0_17counting_iteratorIjlEEPS9_SG_NS0_5tupleIJPjSI_NS0_16reverse_iteratorISI_EEEEENSH_IJSG_SG_SG_EEES9_SI_JZNS1_25segmented_radix_sort_implINS0_14default_configELb0EPKfPfPKlPlN2at6native12_GLOBAL__N_18offset_tEEE10hipError_tPvRmT1_PNSt15iterator_traitsIS12_E10value_typeET2_T3_PNS13_IS18_E10value_typeET4_jRbjT5_S1E_jjP12ihipStream_tbEUljE_ZNSN_ISO_Lb0ESQ_SR_ST_SU_SY_EESZ_S10_S11_S12_S16_S17_S18_S1B_S1C_jS1D_jS1E_S1E_jjS1G_bEUljE0_EEESZ_S10_S11_S18_S1C_S1E_T6_T7_T9_mT8_S1G_bDpT10_ENKUlT_T0_E_clISt17integral_constantIbLb0EES1T_IbLb1EEEEDaS1P_S1Q_EUlS1P_E_NS1_11comp_targetILNS1_3genE5ELNS1_11target_archE942ELNS1_3gpuE9ELNS1_3repE0EEENS1_30default_config_static_selectorELNS0_4arch9wavefront6targetE1EEEvS12_.uses_vcc, 0
	.set _ZN7rocprim17ROCPRIM_400000_NS6detail17trampoline_kernelINS0_13select_configILj256ELj13ELNS0_17block_load_methodE3ELS4_3ELS4_3ELNS0_20block_scan_algorithmE0ELj4294967295EEENS1_25partition_config_selectorILNS1_17partition_subalgoE4EjNS0_10empty_typeEbEEZZNS1_14partition_implILS8_4ELb0ES6_15HIP_vector_typeIjLj2EENS0_17counting_iteratorIjlEEPS9_SG_NS0_5tupleIJPjSI_NS0_16reverse_iteratorISI_EEEEENSH_IJSG_SG_SG_EEES9_SI_JZNS1_25segmented_radix_sort_implINS0_14default_configELb0EPKfPfPKlPlN2at6native12_GLOBAL__N_18offset_tEEE10hipError_tPvRmT1_PNSt15iterator_traitsIS12_E10value_typeET2_T3_PNS13_IS18_E10value_typeET4_jRbjT5_S1E_jjP12ihipStream_tbEUljE_ZNSN_ISO_Lb0ESQ_SR_ST_SU_SY_EESZ_S10_S11_S12_S16_S17_S18_S1B_S1C_jS1D_jS1E_S1E_jjS1G_bEUljE0_EEESZ_S10_S11_S18_S1C_S1E_T6_T7_T9_mT8_S1G_bDpT10_ENKUlT_T0_E_clISt17integral_constantIbLb0EES1T_IbLb1EEEEDaS1P_S1Q_EUlS1P_E_NS1_11comp_targetILNS1_3genE5ELNS1_11target_archE942ELNS1_3gpuE9ELNS1_3repE0EEENS1_30default_config_static_selectorELNS0_4arch9wavefront6targetE1EEEvS12_.uses_flat_scratch, 0
	.set _ZN7rocprim17ROCPRIM_400000_NS6detail17trampoline_kernelINS0_13select_configILj256ELj13ELNS0_17block_load_methodE3ELS4_3ELS4_3ELNS0_20block_scan_algorithmE0ELj4294967295EEENS1_25partition_config_selectorILNS1_17partition_subalgoE4EjNS0_10empty_typeEbEEZZNS1_14partition_implILS8_4ELb0ES6_15HIP_vector_typeIjLj2EENS0_17counting_iteratorIjlEEPS9_SG_NS0_5tupleIJPjSI_NS0_16reverse_iteratorISI_EEEEENSH_IJSG_SG_SG_EEES9_SI_JZNS1_25segmented_radix_sort_implINS0_14default_configELb0EPKfPfPKlPlN2at6native12_GLOBAL__N_18offset_tEEE10hipError_tPvRmT1_PNSt15iterator_traitsIS12_E10value_typeET2_T3_PNS13_IS18_E10value_typeET4_jRbjT5_S1E_jjP12ihipStream_tbEUljE_ZNSN_ISO_Lb0ESQ_SR_ST_SU_SY_EESZ_S10_S11_S12_S16_S17_S18_S1B_S1C_jS1D_jS1E_S1E_jjS1G_bEUljE0_EEESZ_S10_S11_S18_S1C_S1E_T6_T7_T9_mT8_S1G_bDpT10_ENKUlT_T0_E_clISt17integral_constantIbLb0EES1T_IbLb1EEEEDaS1P_S1Q_EUlS1P_E_NS1_11comp_targetILNS1_3genE5ELNS1_11target_archE942ELNS1_3gpuE9ELNS1_3repE0EEENS1_30default_config_static_selectorELNS0_4arch9wavefront6targetE1EEEvS12_.has_dyn_sized_stack, 0
	.set _ZN7rocprim17ROCPRIM_400000_NS6detail17trampoline_kernelINS0_13select_configILj256ELj13ELNS0_17block_load_methodE3ELS4_3ELS4_3ELNS0_20block_scan_algorithmE0ELj4294967295EEENS1_25partition_config_selectorILNS1_17partition_subalgoE4EjNS0_10empty_typeEbEEZZNS1_14partition_implILS8_4ELb0ES6_15HIP_vector_typeIjLj2EENS0_17counting_iteratorIjlEEPS9_SG_NS0_5tupleIJPjSI_NS0_16reverse_iteratorISI_EEEEENSH_IJSG_SG_SG_EEES9_SI_JZNS1_25segmented_radix_sort_implINS0_14default_configELb0EPKfPfPKlPlN2at6native12_GLOBAL__N_18offset_tEEE10hipError_tPvRmT1_PNSt15iterator_traitsIS12_E10value_typeET2_T3_PNS13_IS18_E10value_typeET4_jRbjT5_S1E_jjP12ihipStream_tbEUljE_ZNSN_ISO_Lb0ESQ_SR_ST_SU_SY_EESZ_S10_S11_S12_S16_S17_S18_S1B_S1C_jS1D_jS1E_S1E_jjS1G_bEUljE0_EEESZ_S10_S11_S18_S1C_S1E_T6_T7_T9_mT8_S1G_bDpT10_ENKUlT_T0_E_clISt17integral_constantIbLb0EES1T_IbLb1EEEEDaS1P_S1Q_EUlS1P_E_NS1_11comp_targetILNS1_3genE5ELNS1_11target_archE942ELNS1_3gpuE9ELNS1_3repE0EEENS1_30default_config_static_selectorELNS0_4arch9wavefront6targetE1EEEvS12_.has_recursion, 0
	.set _ZN7rocprim17ROCPRIM_400000_NS6detail17trampoline_kernelINS0_13select_configILj256ELj13ELNS0_17block_load_methodE3ELS4_3ELS4_3ELNS0_20block_scan_algorithmE0ELj4294967295EEENS1_25partition_config_selectorILNS1_17partition_subalgoE4EjNS0_10empty_typeEbEEZZNS1_14partition_implILS8_4ELb0ES6_15HIP_vector_typeIjLj2EENS0_17counting_iteratorIjlEEPS9_SG_NS0_5tupleIJPjSI_NS0_16reverse_iteratorISI_EEEEENSH_IJSG_SG_SG_EEES9_SI_JZNS1_25segmented_radix_sort_implINS0_14default_configELb0EPKfPfPKlPlN2at6native12_GLOBAL__N_18offset_tEEE10hipError_tPvRmT1_PNSt15iterator_traitsIS12_E10value_typeET2_T3_PNS13_IS18_E10value_typeET4_jRbjT5_S1E_jjP12ihipStream_tbEUljE_ZNSN_ISO_Lb0ESQ_SR_ST_SU_SY_EESZ_S10_S11_S12_S16_S17_S18_S1B_S1C_jS1D_jS1E_S1E_jjS1G_bEUljE0_EEESZ_S10_S11_S18_S1C_S1E_T6_T7_T9_mT8_S1G_bDpT10_ENKUlT_T0_E_clISt17integral_constantIbLb0EES1T_IbLb1EEEEDaS1P_S1Q_EUlS1P_E_NS1_11comp_targetILNS1_3genE5ELNS1_11target_archE942ELNS1_3gpuE9ELNS1_3repE0EEENS1_30default_config_static_selectorELNS0_4arch9wavefront6targetE1EEEvS12_.has_indirect_call, 0
	.section	.AMDGPU.csdata,"",@progbits
; Kernel info:
; codeLenInByte = 0
; TotalNumSgprs: 4
; NumVgprs: 0
; ScratchSize: 0
; MemoryBound: 0
; FloatMode: 240
; IeeeMode: 1
; LDSByteSize: 0 bytes/workgroup (compile time only)
; SGPRBlocks: 0
; VGPRBlocks: 0
; NumSGPRsForWavesPerEU: 4
; NumVGPRsForWavesPerEU: 1
; Occupancy: 10
; WaveLimiterHint : 0
; COMPUTE_PGM_RSRC2:SCRATCH_EN: 0
; COMPUTE_PGM_RSRC2:USER_SGPR: 6
; COMPUTE_PGM_RSRC2:TRAP_HANDLER: 0
; COMPUTE_PGM_RSRC2:TGID_X_EN: 1
; COMPUTE_PGM_RSRC2:TGID_Y_EN: 0
; COMPUTE_PGM_RSRC2:TGID_Z_EN: 0
; COMPUTE_PGM_RSRC2:TIDIG_COMP_CNT: 0
	.section	.text._ZN7rocprim17ROCPRIM_400000_NS6detail17trampoline_kernelINS0_13select_configILj256ELj13ELNS0_17block_load_methodE3ELS4_3ELS4_3ELNS0_20block_scan_algorithmE0ELj4294967295EEENS1_25partition_config_selectorILNS1_17partition_subalgoE4EjNS0_10empty_typeEbEEZZNS1_14partition_implILS8_4ELb0ES6_15HIP_vector_typeIjLj2EENS0_17counting_iteratorIjlEEPS9_SG_NS0_5tupleIJPjSI_NS0_16reverse_iteratorISI_EEEEENSH_IJSG_SG_SG_EEES9_SI_JZNS1_25segmented_radix_sort_implINS0_14default_configELb0EPKfPfPKlPlN2at6native12_GLOBAL__N_18offset_tEEE10hipError_tPvRmT1_PNSt15iterator_traitsIS12_E10value_typeET2_T3_PNS13_IS18_E10value_typeET4_jRbjT5_S1E_jjP12ihipStream_tbEUljE_ZNSN_ISO_Lb0ESQ_SR_ST_SU_SY_EESZ_S10_S11_S12_S16_S17_S18_S1B_S1C_jS1D_jS1E_S1E_jjS1G_bEUljE0_EEESZ_S10_S11_S18_S1C_S1E_T6_T7_T9_mT8_S1G_bDpT10_ENKUlT_T0_E_clISt17integral_constantIbLb0EES1T_IbLb1EEEEDaS1P_S1Q_EUlS1P_E_NS1_11comp_targetILNS1_3genE4ELNS1_11target_archE910ELNS1_3gpuE8ELNS1_3repE0EEENS1_30default_config_static_selectorELNS0_4arch9wavefront6targetE1EEEvS12_,"axG",@progbits,_ZN7rocprim17ROCPRIM_400000_NS6detail17trampoline_kernelINS0_13select_configILj256ELj13ELNS0_17block_load_methodE3ELS4_3ELS4_3ELNS0_20block_scan_algorithmE0ELj4294967295EEENS1_25partition_config_selectorILNS1_17partition_subalgoE4EjNS0_10empty_typeEbEEZZNS1_14partition_implILS8_4ELb0ES6_15HIP_vector_typeIjLj2EENS0_17counting_iteratorIjlEEPS9_SG_NS0_5tupleIJPjSI_NS0_16reverse_iteratorISI_EEEEENSH_IJSG_SG_SG_EEES9_SI_JZNS1_25segmented_radix_sort_implINS0_14default_configELb0EPKfPfPKlPlN2at6native12_GLOBAL__N_18offset_tEEE10hipError_tPvRmT1_PNSt15iterator_traitsIS12_E10value_typeET2_T3_PNS13_IS18_E10value_typeET4_jRbjT5_S1E_jjP12ihipStream_tbEUljE_ZNSN_ISO_Lb0ESQ_SR_ST_SU_SY_EESZ_S10_S11_S12_S16_S17_S18_S1B_S1C_jS1D_jS1E_S1E_jjS1G_bEUljE0_EEESZ_S10_S11_S18_S1C_S1E_T6_T7_T9_mT8_S1G_bDpT10_ENKUlT_T0_E_clISt17integral_constantIbLb0EES1T_IbLb1EEEEDaS1P_S1Q_EUlS1P_E_NS1_11comp_targetILNS1_3genE4ELNS1_11target_archE910ELNS1_3gpuE8ELNS1_3repE0EEENS1_30default_config_static_selectorELNS0_4arch9wavefront6targetE1EEEvS12_,comdat
	.globl	_ZN7rocprim17ROCPRIM_400000_NS6detail17trampoline_kernelINS0_13select_configILj256ELj13ELNS0_17block_load_methodE3ELS4_3ELS4_3ELNS0_20block_scan_algorithmE0ELj4294967295EEENS1_25partition_config_selectorILNS1_17partition_subalgoE4EjNS0_10empty_typeEbEEZZNS1_14partition_implILS8_4ELb0ES6_15HIP_vector_typeIjLj2EENS0_17counting_iteratorIjlEEPS9_SG_NS0_5tupleIJPjSI_NS0_16reverse_iteratorISI_EEEEENSH_IJSG_SG_SG_EEES9_SI_JZNS1_25segmented_radix_sort_implINS0_14default_configELb0EPKfPfPKlPlN2at6native12_GLOBAL__N_18offset_tEEE10hipError_tPvRmT1_PNSt15iterator_traitsIS12_E10value_typeET2_T3_PNS13_IS18_E10value_typeET4_jRbjT5_S1E_jjP12ihipStream_tbEUljE_ZNSN_ISO_Lb0ESQ_SR_ST_SU_SY_EESZ_S10_S11_S12_S16_S17_S18_S1B_S1C_jS1D_jS1E_S1E_jjS1G_bEUljE0_EEESZ_S10_S11_S18_S1C_S1E_T6_T7_T9_mT8_S1G_bDpT10_ENKUlT_T0_E_clISt17integral_constantIbLb0EES1T_IbLb1EEEEDaS1P_S1Q_EUlS1P_E_NS1_11comp_targetILNS1_3genE4ELNS1_11target_archE910ELNS1_3gpuE8ELNS1_3repE0EEENS1_30default_config_static_selectorELNS0_4arch9wavefront6targetE1EEEvS12_ ; -- Begin function _ZN7rocprim17ROCPRIM_400000_NS6detail17trampoline_kernelINS0_13select_configILj256ELj13ELNS0_17block_load_methodE3ELS4_3ELS4_3ELNS0_20block_scan_algorithmE0ELj4294967295EEENS1_25partition_config_selectorILNS1_17partition_subalgoE4EjNS0_10empty_typeEbEEZZNS1_14partition_implILS8_4ELb0ES6_15HIP_vector_typeIjLj2EENS0_17counting_iteratorIjlEEPS9_SG_NS0_5tupleIJPjSI_NS0_16reverse_iteratorISI_EEEEENSH_IJSG_SG_SG_EEES9_SI_JZNS1_25segmented_radix_sort_implINS0_14default_configELb0EPKfPfPKlPlN2at6native12_GLOBAL__N_18offset_tEEE10hipError_tPvRmT1_PNSt15iterator_traitsIS12_E10value_typeET2_T3_PNS13_IS18_E10value_typeET4_jRbjT5_S1E_jjP12ihipStream_tbEUljE_ZNSN_ISO_Lb0ESQ_SR_ST_SU_SY_EESZ_S10_S11_S12_S16_S17_S18_S1B_S1C_jS1D_jS1E_S1E_jjS1G_bEUljE0_EEESZ_S10_S11_S18_S1C_S1E_T6_T7_T9_mT8_S1G_bDpT10_ENKUlT_T0_E_clISt17integral_constantIbLb0EES1T_IbLb1EEEEDaS1P_S1Q_EUlS1P_E_NS1_11comp_targetILNS1_3genE4ELNS1_11target_archE910ELNS1_3gpuE8ELNS1_3repE0EEENS1_30default_config_static_selectorELNS0_4arch9wavefront6targetE1EEEvS12_
	.p2align	8
	.type	_ZN7rocprim17ROCPRIM_400000_NS6detail17trampoline_kernelINS0_13select_configILj256ELj13ELNS0_17block_load_methodE3ELS4_3ELS4_3ELNS0_20block_scan_algorithmE0ELj4294967295EEENS1_25partition_config_selectorILNS1_17partition_subalgoE4EjNS0_10empty_typeEbEEZZNS1_14partition_implILS8_4ELb0ES6_15HIP_vector_typeIjLj2EENS0_17counting_iteratorIjlEEPS9_SG_NS0_5tupleIJPjSI_NS0_16reverse_iteratorISI_EEEEENSH_IJSG_SG_SG_EEES9_SI_JZNS1_25segmented_radix_sort_implINS0_14default_configELb0EPKfPfPKlPlN2at6native12_GLOBAL__N_18offset_tEEE10hipError_tPvRmT1_PNSt15iterator_traitsIS12_E10value_typeET2_T3_PNS13_IS18_E10value_typeET4_jRbjT5_S1E_jjP12ihipStream_tbEUljE_ZNSN_ISO_Lb0ESQ_SR_ST_SU_SY_EESZ_S10_S11_S12_S16_S17_S18_S1B_S1C_jS1D_jS1E_S1E_jjS1G_bEUljE0_EEESZ_S10_S11_S18_S1C_S1E_T6_T7_T9_mT8_S1G_bDpT10_ENKUlT_T0_E_clISt17integral_constantIbLb0EES1T_IbLb1EEEEDaS1P_S1Q_EUlS1P_E_NS1_11comp_targetILNS1_3genE4ELNS1_11target_archE910ELNS1_3gpuE8ELNS1_3repE0EEENS1_30default_config_static_selectorELNS0_4arch9wavefront6targetE1EEEvS12_,@function
_ZN7rocprim17ROCPRIM_400000_NS6detail17trampoline_kernelINS0_13select_configILj256ELj13ELNS0_17block_load_methodE3ELS4_3ELS4_3ELNS0_20block_scan_algorithmE0ELj4294967295EEENS1_25partition_config_selectorILNS1_17partition_subalgoE4EjNS0_10empty_typeEbEEZZNS1_14partition_implILS8_4ELb0ES6_15HIP_vector_typeIjLj2EENS0_17counting_iteratorIjlEEPS9_SG_NS0_5tupleIJPjSI_NS0_16reverse_iteratorISI_EEEEENSH_IJSG_SG_SG_EEES9_SI_JZNS1_25segmented_radix_sort_implINS0_14default_configELb0EPKfPfPKlPlN2at6native12_GLOBAL__N_18offset_tEEE10hipError_tPvRmT1_PNSt15iterator_traitsIS12_E10value_typeET2_T3_PNS13_IS18_E10value_typeET4_jRbjT5_S1E_jjP12ihipStream_tbEUljE_ZNSN_ISO_Lb0ESQ_SR_ST_SU_SY_EESZ_S10_S11_S12_S16_S17_S18_S1B_S1C_jS1D_jS1E_S1E_jjS1G_bEUljE0_EEESZ_S10_S11_S18_S1C_S1E_T6_T7_T9_mT8_S1G_bDpT10_ENKUlT_T0_E_clISt17integral_constantIbLb0EES1T_IbLb1EEEEDaS1P_S1Q_EUlS1P_E_NS1_11comp_targetILNS1_3genE4ELNS1_11target_archE910ELNS1_3gpuE8ELNS1_3repE0EEENS1_30default_config_static_selectorELNS0_4arch9wavefront6targetE1EEEvS12_: ; @_ZN7rocprim17ROCPRIM_400000_NS6detail17trampoline_kernelINS0_13select_configILj256ELj13ELNS0_17block_load_methodE3ELS4_3ELS4_3ELNS0_20block_scan_algorithmE0ELj4294967295EEENS1_25partition_config_selectorILNS1_17partition_subalgoE4EjNS0_10empty_typeEbEEZZNS1_14partition_implILS8_4ELb0ES6_15HIP_vector_typeIjLj2EENS0_17counting_iteratorIjlEEPS9_SG_NS0_5tupleIJPjSI_NS0_16reverse_iteratorISI_EEEEENSH_IJSG_SG_SG_EEES9_SI_JZNS1_25segmented_radix_sort_implINS0_14default_configELb0EPKfPfPKlPlN2at6native12_GLOBAL__N_18offset_tEEE10hipError_tPvRmT1_PNSt15iterator_traitsIS12_E10value_typeET2_T3_PNS13_IS18_E10value_typeET4_jRbjT5_S1E_jjP12ihipStream_tbEUljE_ZNSN_ISO_Lb0ESQ_SR_ST_SU_SY_EESZ_S10_S11_S12_S16_S17_S18_S1B_S1C_jS1D_jS1E_S1E_jjS1G_bEUljE0_EEESZ_S10_S11_S18_S1C_S1E_T6_T7_T9_mT8_S1G_bDpT10_ENKUlT_T0_E_clISt17integral_constantIbLb0EES1T_IbLb1EEEEDaS1P_S1Q_EUlS1P_E_NS1_11comp_targetILNS1_3genE4ELNS1_11target_archE910ELNS1_3gpuE8ELNS1_3repE0EEENS1_30default_config_static_selectorELNS0_4arch9wavefront6targetE1EEEvS12_
; %bb.0:
	.section	.rodata,"a",@progbits
	.p2align	6, 0x0
	.amdhsa_kernel _ZN7rocprim17ROCPRIM_400000_NS6detail17trampoline_kernelINS0_13select_configILj256ELj13ELNS0_17block_load_methodE3ELS4_3ELS4_3ELNS0_20block_scan_algorithmE0ELj4294967295EEENS1_25partition_config_selectorILNS1_17partition_subalgoE4EjNS0_10empty_typeEbEEZZNS1_14partition_implILS8_4ELb0ES6_15HIP_vector_typeIjLj2EENS0_17counting_iteratorIjlEEPS9_SG_NS0_5tupleIJPjSI_NS0_16reverse_iteratorISI_EEEEENSH_IJSG_SG_SG_EEES9_SI_JZNS1_25segmented_radix_sort_implINS0_14default_configELb0EPKfPfPKlPlN2at6native12_GLOBAL__N_18offset_tEEE10hipError_tPvRmT1_PNSt15iterator_traitsIS12_E10value_typeET2_T3_PNS13_IS18_E10value_typeET4_jRbjT5_S1E_jjP12ihipStream_tbEUljE_ZNSN_ISO_Lb0ESQ_SR_ST_SU_SY_EESZ_S10_S11_S12_S16_S17_S18_S1B_S1C_jS1D_jS1E_S1E_jjS1G_bEUljE0_EEESZ_S10_S11_S18_S1C_S1E_T6_T7_T9_mT8_S1G_bDpT10_ENKUlT_T0_E_clISt17integral_constantIbLb0EES1T_IbLb1EEEEDaS1P_S1Q_EUlS1P_E_NS1_11comp_targetILNS1_3genE4ELNS1_11target_archE910ELNS1_3gpuE8ELNS1_3repE0EEENS1_30default_config_static_selectorELNS0_4arch9wavefront6targetE1EEEvS12_
		.amdhsa_group_segment_fixed_size 0
		.amdhsa_private_segment_fixed_size 0
		.amdhsa_kernarg_size 184
		.amdhsa_user_sgpr_count 6
		.amdhsa_user_sgpr_private_segment_buffer 1
		.amdhsa_user_sgpr_dispatch_ptr 0
		.amdhsa_user_sgpr_queue_ptr 0
		.amdhsa_user_sgpr_kernarg_segment_ptr 1
		.amdhsa_user_sgpr_dispatch_id 0
		.amdhsa_user_sgpr_flat_scratch_init 0
		.amdhsa_user_sgpr_private_segment_size 0
		.amdhsa_uses_dynamic_stack 0
		.amdhsa_system_sgpr_private_segment_wavefront_offset 0
		.amdhsa_system_sgpr_workgroup_id_x 1
		.amdhsa_system_sgpr_workgroup_id_y 0
		.amdhsa_system_sgpr_workgroup_id_z 0
		.amdhsa_system_sgpr_workgroup_info 0
		.amdhsa_system_vgpr_workitem_id 0
		.amdhsa_next_free_vgpr 1
		.amdhsa_next_free_sgpr 0
		.amdhsa_reserve_vcc 0
		.amdhsa_reserve_flat_scratch 0
		.amdhsa_float_round_mode_32 0
		.amdhsa_float_round_mode_16_64 0
		.amdhsa_float_denorm_mode_32 3
		.amdhsa_float_denorm_mode_16_64 3
		.amdhsa_dx10_clamp 1
		.amdhsa_ieee_mode 1
		.amdhsa_fp16_overflow 0
		.amdhsa_exception_fp_ieee_invalid_op 0
		.amdhsa_exception_fp_denorm_src 0
		.amdhsa_exception_fp_ieee_div_zero 0
		.amdhsa_exception_fp_ieee_overflow 0
		.amdhsa_exception_fp_ieee_underflow 0
		.amdhsa_exception_fp_ieee_inexact 0
		.amdhsa_exception_int_div_zero 0
	.end_amdhsa_kernel
	.section	.text._ZN7rocprim17ROCPRIM_400000_NS6detail17trampoline_kernelINS0_13select_configILj256ELj13ELNS0_17block_load_methodE3ELS4_3ELS4_3ELNS0_20block_scan_algorithmE0ELj4294967295EEENS1_25partition_config_selectorILNS1_17partition_subalgoE4EjNS0_10empty_typeEbEEZZNS1_14partition_implILS8_4ELb0ES6_15HIP_vector_typeIjLj2EENS0_17counting_iteratorIjlEEPS9_SG_NS0_5tupleIJPjSI_NS0_16reverse_iteratorISI_EEEEENSH_IJSG_SG_SG_EEES9_SI_JZNS1_25segmented_radix_sort_implINS0_14default_configELb0EPKfPfPKlPlN2at6native12_GLOBAL__N_18offset_tEEE10hipError_tPvRmT1_PNSt15iterator_traitsIS12_E10value_typeET2_T3_PNS13_IS18_E10value_typeET4_jRbjT5_S1E_jjP12ihipStream_tbEUljE_ZNSN_ISO_Lb0ESQ_SR_ST_SU_SY_EESZ_S10_S11_S12_S16_S17_S18_S1B_S1C_jS1D_jS1E_S1E_jjS1G_bEUljE0_EEESZ_S10_S11_S18_S1C_S1E_T6_T7_T9_mT8_S1G_bDpT10_ENKUlT_T0_E_clISt17integral_constantIbLb0EES1T_IbLb1EEEEDaS1P_S1Q_EUlS1P_E_NS1_11comp_targetILNS1_3genE4ELNS1_11target_archE910ELNS1_3gpuE8ELNS1_3repE0EEENS1_30default_config_static_selectorELNS0_4arch9wavefront6targetE1EEEvS12_,"axG",@progbits,_ZN7rocprim17ROCPRIM_400000_NS6detail17trampoline_kernelINS0_13select_configILj256ELj13ELNS0_17block_load_methodE3ELS4_3ELS4_3ELNS0_20block_scan_algorithmE0ELj4294967295EEENS1_25partition_config_selectorILNS1_17partition_subalgoE4EjNS0_10empty_typeEbEEZZNS1_14partition_implILS8_4ELb0ES6_15HIP_vector_typeIjLj2EENS0_17counting_iteratorIjlEEPS9_SG_NS0_5tupleIJPjSI_NS0_16reverse_iteratorISI_EEEEENSH_IJSG_SG_SG_EEES9_SI_JZNS1_25segmented_radix_sort_implINS0_14default_configELb0EPKfPfPKlPlN2at6native12_GLOBAL__N_18offset_tEEE10hipError_tPvRmT1_PNSt15iterator_traitsIS12_E10value_typeET2_T3_PNS13_IS18_E10value_typeET4_jRbjT5_S1E_jjP12ihipStream_tbEUljE_ZNSN_ISO_Lb0ESQ_SR_ST_SU_SY_EESZ_S10_S11_S12_S16_S17_S18_S1B_S1C_jS1D_jS1E_S1E_jjS1G_bEUljE0_EEESZ_S10_S11_S18_S1C_S1E_T6_T7_T9_mT8_S1G_bDpT10_ENKUlT_T0_E_clISt17integral_constantIbLb0EES1T_IbLb1EEEEDaS1P_S1Q_EUlS1P_E_NS1_11comp_targetILNS1_3genE4ELNS1_11target_archE910ELNS1_3gpuE8ELNS1_3repE0EEENS1_30default_config_static_selectorELNS0_4arch9wavefront6targetE1EEEvS12_,comdat
.Lfunc_end1390:
	.size	_ZN7rocprim17ROCPRIM_400000_NS6detail17trampoline_kernelINS0_13select_configILj256ELj13ELNS0_17block_load_methodE3ELS4_3ELS4_3ELNS0_20block_scan_algorithmE0ELj4294967295EEENS1_25partition_config_selectorILNS1_17partition_subalgoE4EjNS0_10empty_typeEbEEZZNS1_14partition_implILS8_4ELb0ES6_15HIP_vector_typeIjLj2EENS0_17counting_iteratorIjlEEPS9_SG_NS0_5tupleIJPjSI_NS0_16reverse_iteratorISI_EEEEENSH_IJSG_SG_SG_EEES9_SI_JZNS1_25segmented_radix_sort_implINS0_14default_configELb0EPKfPfPKlPlN2at6native12_GLOBAL__N_18offset_tEEE10hipError_tPvRmT1_PNSt15iterator_traitsIS12_E10value_typeET2_T3_PNS13_IS18_E10value_typeET4_jRbjT5_S1E_jjP12ihipStream_tbEUljE_ZNSN_ISO_Lb0ESQ_SR_ST_SU_SY_EESZ_S10_S11_S12_S16_S17_S18_S1B_S1C_jS1D_jS1E_S1E_jjS1G_bEUljE0_EEESZ_S10_S11_S18_S1C_S1E_T6_T7_T9_mT8_S1G_bDpT10_ENKUlT_T0_E_clISt17integral_constantIbLb0EES1T_IbLb1EEEEDaS1P_S1Q_EUlS1P_E_NS1_11comp_targetILNS1_3genE4ELNS1_11target_archE910ELNS1_3gpuE8ELNS1_3repE0EEENS1_30default_config_static_selectorELNS0_4arch9wavefront6targetE1EEEvS12_, .Lfunc_end1390-_ZN7rocprim17ROCPRIM_400000_NS6detail17trampoline_kernelINS0_13select_configILj256ELj13ELNS0_17block_load_methodE3ELS4_3ELS4_3ELNS0_20block_scan_algorithmE0ELj4294967295EEENS1_25partition_config_selectorILNS1_17partition_subalgoE4EjNS0_10empty_typeEbEEZZNS1_14partition_implILS8_4ELb0ES6_15HIP_vector_typeIjLj2EENS0_17counting_iteratorIjlEEPS9_SG_NS0_5tupleIJPjSI_NS0_16reverse_iteratorISI_EEEEENSH_IJSG_SG_SG_EEES9_SI_JZNS1_25segmented_radix_sort_implINS0_14default_configELb0EPKfPfPKlPlN2at6native12_GLOBAL__N_18offset_tEEE10hipError_tPvRmT1_PNSt15iterator_traitsIS12_E10value_typeET2_T3_PNS13_IS18_E10value_typeET4_jRbjT5_S1E_jjP12ihipStream_tbEUljE_ZNSN_ISO_Lb0ESQ_SR_ST_SU_SY_EESZ_S10_S11_S12_S16_S17_S18_S1B_S1C_jS1D_jS1E_S1E_jjS1G_bEUljE0_EEESZ_S10_S11_S18_S1C_S1E_T6_T7_T9_mT8_S1G_bDpT10_ENKUlT_T0_E_clISt17integral_constantIbLb0EES1T_IbLb1EEEEDaS1P_S1Q_EUlS1P_E_NS1_11comp_targetILNS1_3genE4ELNS1_11target_archE910ELNS1_3gpuE8ELNS1_3repE0EEENS1_30default_config_static_selectorELNS0_4arch9wavefront6targetE1EEEvS12_
                                        ; -- End function
	.set _ZN7rocprim17ROCPRIM_400000_NS6detail17trampoline_kernelINS0_13select_configILj256ELj13ELNS0_17block_load_methodE3ELS4_3ELS4_3ELNS0_20block_scan_algorithmE0ELj4294967295EEENS1_25partition_config_selectorILNS1_17partition_subalgoE4EjNS0_10empty_typeEbEEZZNS1_14partition_implILS8_4ELb0ES6_15HIP_vector_typeIjLj2EENS0_17counting_iteratorIjlEEPS9_SG_NS0_5tupleIJPjSI_NS0_16reverse_iteratorISI_EEEEENSH_IJSG_SG_SG_EEES9_SI_JZNS1_25segmented_radix_sort_implINS0_14default_configELb0EPKfPfPKlPlN2at6native12_GLOBAL__N_18offset_tEEE10hipError_tPvRmT1_PNSt15iterator_traitsIS12_E10value_typeET2_T3_PNS13_IS18_E10value_typeET4_jRbjT5_S1E_jjP12ihipStream_tbEUljE_ZNSN_ISO_Lb0ESQ_SR_ST_SU_SY_EESZ_S10_S11_S12_S16_S17_S18_S1B_S1C_jS1D_jS1E_S1E_jjS1G_bEUljE0_EEESZ_S10_S11_S18_S1C_S1E_T6_T7_T9_mT8_S1G_bDpT10_ENKUlT_T0_E_clISt17integral_constantIbLb0EES1T_IbLb1EEEEDaS1P_S1Q_EUlS1P_E_NS1_11comp_targetILNS1_3genE4ELNS1_11target_archE910ELNS1_3gpuE8ELNS1_3repE0EEENS1_30default_config_static_selectorELNS0_4arch9wavefront6targetE1EEEvS12_.num_vgpr, 0
	.set _ZN7rocprim17ROCPRIM_400000_NS6detail17trampoline_kernelINS0_13select_configILj256ELj13ELNS0_17block_load_methodE3ELS4_3ELS4_3ELNS0_20block_scan_algorithmE0ELj4294967295EEENS1_25partition_config_selectorILNS1_17partition_subalgoE4EjNS0_10empty_typeEbEEZZNS1_14partition_implILS8_4ELb0ES6_15HIP_vector_typeIjLj2EENS0_17counting_iteratorIjlEEPS9_SG_NS0_5tupleIJPjSI_NS0_16reverse_iteratorISI_EEEEENSH_IJSG_SG_SG_EEES9_SI_JZNS1_25segmented_radix_sort_implINS0_14default_configELb0EPKfPfPKlPlN2at6native12_GLOBAL__N_18offset_tEEE10hipError_tPvRmT1_PNSt15iterator_traitsIS12_E10value_typeET2_T3_PNS13_IS18_E10value_typeET4_jRbjT5_S1E_jjP12ihipStream_tbEUljE_ZNSN_ISO_Lb0ESQ_SR_ST_SU_SY_EESZ_S10_S11_S12_S16_S17_S18_S1B_S1C_jS1D_jS1E_S1E_jjS1G_bEUljE0_EEESZ_S10_S11_S18_S1C_S1E_T6_T7_T9_mT8_S1G_bDpT10_ENKUlT_T0_E_clISt17integral_constantIbLb0EES1T_IbLb1EEEEDaS1P_S1Q_EUlS1P_E_NS1_11comp_targetILNS1_3genE4ELNS1_11target_archE910ELNS1_3gpuE8ELNS1_3repE0EEENS1_30default_config_static_selectorELNS0_4arch9wavefront6targetE1EEEvS12_.num_agpr, 0
	.set _ZN7rocprim17ROCPRIM_400000_NS6detail17trampoline_kernelINS0_13select_configILj256ELj13ELNS0_17block_load_methodE3ELS4_3ELS4_3ELNS0_20block_scan_algorithmE0ELj4294967295EEENS1_25partition_config_selectorILNS1_17partition_subalgoE4EjNS0_10empty_typeEbEEZZNS1_14partition_implILS8_4ELb0ES6_15HIP_vector_typeIjLj2EENS0_17counting_iteratorIjlEEPS9_SG_NS0_5tupleIJPjSI_NS0_16reverse_iteratorISI_EEEEENSH_IJSG_SG_SG_EEES9_SI_JZNS1_25segmented_radix_sort_implINS0_14default_configELb0EPKfPfPKlPlN2at6native12_GLOBAL__N_18offset_tEEE10hipError_tPvRmT1_PNSt15iterator_traitsIS12_E10value_typeET2_T3_PNS13_IS18_E10value_typeET4_jRbjT5_S1E_jjP12ihipStream_tbEUljE_ZNSN_ISO_Lb0ESQ_SR_ST_SU_SY_EESZ_S10_S11_S12_S16_S17_S18_S1B_S1C_jS1D_jS1E_S1E_jjS1G_bEUljE0_EEESZ_S10_S11_S18_S1C_S1E_T6_T7_T9_mT8_S1G_bDpT10_ENKUlT_T0_E_clISt17integral_constantIbLb0EES1T_IbLb1EEEEDaS1P_S1Q_EUlS1P_E_NS1_11comp_targetILNS1_3genE4ELNS1_11target_archE910ELNS1_3gpuE8ELNS1_3repE0EEENS1_30default_config_static_selectorELNS0_4arch9wavefront6targetE1EEEvS12_.numbered_sgpr, 0
	.set _ZN7rocprim17ROCPRIM_400000_NS6detail17trampoline_kernelINS0_13select_configILj256ELj13ELNS0_17block_load_methodE3ELS4_3ELS4_3ELNS0_20block_scan_algorithmE0ELj4294967295EEENS1_25partition_config_selectorILNS1_17partition_subalgoE4EjNS0_10empty_typeEbEEZZNS1_14partition_implILS8_4ELb0ES6_15HIP_vector_typeIjLj2EENS0_17counting_iteratorIjlEEPS9_SG_NS0_5tupleIJPjSI_NS0_16reverse_iteratorISI_EEEEENSH_IJSG_SG_SG_EEES9_SI_JZNS1_25segmented_radix_sort_implINS0_14default_configELb0EPKfPfPKlPlN2at6native12_GLOBAL__N_18offset_tEEE10hipError_tPvRmT1_PNSt15iterator_traitsIS12_E10value_typeET2_T3_PNS13_IS18_E10value_typeET4_jRbjT5_S1E_jjP12ihipStream_tbEUljE_ZNSN_ISO_Lb0ESQ_SR_ST_SU_SY_EESZ_S10_S11_S12_S16_S17_S18_S1B_S1C_jS1D_jS1E_S1E_jjS1G_bEUljE0_EEESZ_S10_S11_S18_S1C_S1E_T6_T7_T9_mT8_S1G_bDpT10_ENKUlT_T0_E_clISt17integral_constantIbLb0EES1T_IbLb1EEEEDaS1P_S1Q_EUlS1P_E_NS1_11comp_targetILNS1_3genE4ELNS1_11target_archE910ELNS1_3gpuE8ELNS1_3repE0EEENS1_30default_config_static_selectorELNS0_4arch9wavefront6targetE1EEEvS12_.num_named_barrier, 0
	.set _ZN7rocprim17ROCPRIM_400000_NS6detail17trampoline_kernelINS0_13select_configILj256ELj13ELNS0_17block_load_methodE3ELS4_3ELS4_3ELNS0_20block_scan_algorithmE0ELj4294967295EEENS1_25partition_config_selectorILNS1_17partition_subalgoE4EjNS0_10empty_typeEbEEZZNS1_14partition_implILS8_4ELb0ES6_15HIP_vector_typeIjLj2EENS0_17counting_iteratorIjlEEPS9_SG_NS0_5tupleIJPjSI_NS0_16reverse_iteratorISI_EEEEENSH_IJSG_SG_SG_EEES9_SI_JZNS1_25segmented_radix_sort_implINS0_14default_configELb0EPKfPfPKlPlN2at6native12_GLOBAL__N_18offset_tEEE10hipError_tPvRmT1_PNSt15iterator_traitsIS12_E10value_typeET2_T3_PNS13_IS18_E10value_typeET4_jRbjT5_S1E_jjP12ihipStream_tbEUljE_ZNSN_ISO_Lb0ESQ_SR_ST_SU_SY_EESZ_S10_S11_S12_S16_S17_S18_S1B_S1C_jS1D_jS1E_S1E_jjS1G_bEUljE0_EEESZ_S10_S11_S18_S1C_S1E_T6_T7_T9_mT8_S1G_bDpT10_ENKUlT_T0_E_clISt17integral_constantIbLb0EES1T_IbLb1EEEEDaS1P_S1Q_EUlS1P_E_NS1_11comp_targetILNS1_3genE4ELNS1_11target_archE910ELNS1_3gpuE8ELNS1_3repE0EEENS1_30default_config_static_selectorELNS0_4arch9wavefront6targetE1EEEvS12_.private_seg_size, 0
	.set _ZN7rocprim17ROCPRIM_400000_NS6detail17trampoline_kernelINS0_13select_configILj256ELj13ELNS0_17block_load_methodE3ELS4_3ELS4_3ELNS0_20block_scan_algorithmE0ELj4294967295EEENS1_25partition_config_selectorILNS1_17partition_subalgoE4EjNS0_10empty_typeEbEEZZNS1_14partition_implILS8_4ELb0ES6_15HIP_vector_typeIjLj2EENS0_17counting_iteratorIjlEEPS9_SG_NS0_5tupleIJPjSI_NS0_16reverse_iteratorISI_EEEEENSH_IJSG_SG_SG_EEES9_SI_JZNS1_25segmented_radix_sort_implINS0_14default_configELb0EPKfPfPKlPlN2at6native12_GLOBAL__N_18offset_tEEE10hipError_tPvRmT1_PNSt15iterator_traitsIS12_E10value_typeET2_T3_PNS13_IS18_E10value_typeET4_jRbjT5_S1E_jjP12ihipStream_tbEUljE_ZNSN_ISO_Lb0ESQ_SR_ST_SU_SY_EESZ_S10_S11_S12_S16_S17_S18_S1B_S1C_jS1D_jS1E_S1E_jjS1G_bEUljE0_EEESZ_S10_S11_S18_S1C_S1E_T6_T7_T9_mT8_S1G_bDpT10_ENKUlT_T0_E_clISt17integral_constantIbLb0EES1T_IbLb1EEEEDaS1P_S1Q_EUlS1P_E_NS1_11comp_targetILNS1_3genE4ELNS1_11target_archE910ELNS1_3gpuE8ELNS1_3repE0EEENS1_30default_config_static_selectorELNS0_4arch9wavefront6targetE1EEEvS12_.uses_vcc, 0
	.set _ZN7rocprim17ROCPRIM_400000_NS6detail17trampoline_kernelINS0_13select_configILj256ELj13ELNS0_17block_load_methodE3ELS4_3ELS4_3ELNS0_20block_scan_algorithmE0ELj4294967295EEENS1_25partition_config_selectorILNS1_17partition_subalgoE4EjNS0_10empty_typeEbEEZZNS1_14partition_implILS8_4ELb0ES6_15HIP_vector_typeIjLj2EENS0_17counting_iteratorIjlEEPS9_SG_NS0_5tupleIJPjSI_NS0_16reverse_iteratorISI_EEEEENSH_IJSG_SG_SG_EEES9_SI_JZNS1_25segmented_radix_sort_implINS0_14default_configELb0EPKfPfPKlPlN2at6native12_GLOBAL__N_18offset_tEEE10hipError_tPvRmT1_PNSt15iterator_traitsIS12_E10value_typeET2_T3_PNS13_IS18_E10value_typeET4_jRbjT5_S1E_jjP12ihipStream_tbEUljE_ZNSN_ISO_Lb0ESQ_SR_ST_SU_SY_EESZ_S10_S11_S12_S16_S17_S18_S1B_S1C_jS1D_jS1E_S1E_jjS1G_bEUljE0_EEESZ_S10_S11_S18_S1C_S1E_T6_T7_T9_mT8_S1G_bDpT10_ENKUlT_T0_E_clISt17integral_constantIbLb0EES1T_IbLb1EEEEDaS1P_S1Q_EUlS1P_E_NS1_11comp_targetILNS1_3genE4ELNS1_11target_archE910ELNS1_3gpuE8ELNS1_3repE0EEENS1_30default_config_static_selectorELNS0_4arch9wavefront6targetE1EEEvS12_.uses_flat_scratch, 0
	.set _ZN7rocprim17ROCPRIM_400000_NS6detail17trampoline_kernelINS0_13select_configILj256ELj13ELNS0_17block_load_methodE3ELS4_3ELS4_3ELNS0_20block_scan_algorithmE0ELj4294967295EEENS1_25partition_config_selectorILNS1_17partition_subalgoE4EjNS0_10empty_typeEbEEZZNS1_14partition_implILS8_4ELb0ES6_15HIP_vector_typeIjLj2EENS0_17counting_iteratorIjlEEPS9_SG_NS0_5tupleIJPjSI_NS0_16reverse_iteratorISI_EEEEENSH_IJSG_SG_SG_EEES9_SI_JZNS1_25segmented_radix_sort_implINS0_14default_configELb0EPKfPfPKlPlN2at6native12_GLOBAL__N_18offset_tEEE10hipError_tPvRmT1_PNSt15iterator_traitsIS12_E10value_typeET2_T3_PNS13_IS18_E10value_typeET4_jRbjT5_S1E_jjP12ihipStream_tbEUljE_ZNSN_ISO_Lb0ESQ_SR_ST_SU_SY_EESZ_S10_S11_S12_S16_S17_S18_S1B_S1C_jS1D_jS1E_S1E_jjS1G_bEUljE0_EEESZ_S10_S11_S18_S1C_S1E_T6_T7_T9_mT8_S1G_bDpT10_ENKUlT_T0_E_clISt17integral_constantIbLb0EES1T_IbLb1EEEEDaS1P_S1Q_EUlS1P_E_NS1_11comp_targetILNS1_3genE4ELNS1_11target_archE910ELNS1_3gpuE8ELNS1_3repE0EEENS1_30default_config_static_selectorELNS0_4arch9wavefront6targetE1EEEvS12_.has_dyn_sized_stack, 0
	.set _ZN7rocprim17ROCPRIM_400000_NS6detail17trampoline_kernelINS0_13select_configILj256ELj13ELNS0_17block_load_methodE3ELS4_3ELS4_3ELNS0_20block_scan_algorithmE0ELj4294967295EEENS1_25partition_config_selectorILNS1_17partition_subalgoE4EjNS0_10empty_typeEbEEZZNS1_14partition_implILS8_4ELb0ES6_15HIP_vector_typeIjLj2EENS0_17counting_iteratorIjlEEPS9_SG_NS0_5tupleIJPjSI_NS0_16reverse_iteratorISI_EEEEENSH_IJSG_SG_SG_EEES9_SI_JZNS1_25segmented_radix_sort_implINS0_14default_configELb0EPKfPfPKlPlN2at6native12_GLOBAL__N_18offset_tEEE10hipError_tPvRmT1_PNSt15iterator_traitsIS12_E10value_typeET2_T3_PNS13_IS18_E10value_typeET4_jRbjT5_S1E_jjP12ihipStream_tbEUljE_ZNSN_ISO_Lb0ESQ_SR_ST_SU_SY_EESZ_S10_S11_S12_S16_S17_S18_S1B_S1C_jS1D_jS1E_S1E_jjS1G_bEUljE0_EEESZ_S10_S11_S18_S1C_S1E_T6_T7_T9_mT8_S1G_bDpT10_ENKUlT_T0_E_clISt17integral_constantIbLb0EES1T_IbLb1EEEEDaS1P_S1Q_EUlS1P_E_NS1_11comp_targetILNS1_3genE4ELNS1_11target_archE910ELNS1_3gpuE8ELNS1_3repE0EEENS1_30default_config_static_selectorELNS0_4arch9wavefront6targetE1EEEvS12_.has_recursion, 0
	.set _ZN7rocprim17ROCPRIM_400000_NS6detail17trampoline_kernelINS0_13select_configILj256ELj13ELNS0_17block_load_methodE3ELS4_3ELS4_3ELNS0_20block_scan_algorithmE0ELj4294967295EEENS1_25partition_config_selectorILNS1_17partition_subalgoE4EjNS0_10empty_typeEbEEZZNS1_14partition_implILS8_4ELb0ES6_15HIP_vector_typeIjLj2EENS0_17counting_iteratorIjlEEPS9_SG_NS0_5tupleIJPjSI_NS0_16reverse_iteratorISI_EEEEENSH_IJSG_SG_SG_EEES9_SI_JZNS1_25segmented_radix_sort_implINS0_14default_configELb0EPKfPfPKlPlN2at6native12_GLOBAL__N_18offset_tEEE10hipError_tPvRmT1_PNSt15iterator_traitsIS12_E10value_typeET2_T3_PNS13_IS18_E10value_typeET4_jRbjT5_S1E_jjP12ihipStream_tbEUljE_ZNSN_ISO_Lb0ESQ_SR_ST_SU_SY_EESZ_S10_S11_S12_S16_S17_S18_S1B_S1C_jS1D_jS1E_S1E_jjS1G_bEUljE0_EEESZ_S10_S11_S18_S1C_S1E_T6_T7_T9_mT8_S1G_bDpT10_ENKUlT_T0_E_clISt17integral_constantIbLb0EES1T_IbLb1EEEEDaS1P_S1Q_EUlS1P_E_NS1_11comp_targetILNS1_3genE4ELNS1_11target_archE910ELNS1_3gpuE8ELNS1_3repE0EEENS1_30default_config_static_selectorELNS0_4arch9wavefront6targetE1EEEvS12_.has_indirect_call, 0
	.section	.AMDGPU.csdata,"",@progbits
; Kernel info:
; codeLenInByte = 0
; TotalNumSgprs: 4
; NumVgprs: 0
; ScratchSize: 0
; MemoryBound: 0
; FloatMode: 240
; IeeeMode: 1
; LDSByteSize: 0 bytes/workgroup (compile time only)
; SGPRBlocks: 0
; VGPRBlocks: 0
; NumSGPRsForWavesPerEU: 4
; NumVGPRsForWavesPerEU: 1
; Occupancy: 10
; WaveLimiterHint : 0
; COMPUTE_PGM_RSRC2:SCRATCH_EN: 0
; COMPUTE_PGM_RSRC2:USER_SGPR: 6
; COMPUTE_PGM_RSRC2:TRAP_HANDLER: 0
; COMPUTE_PGM_RSRC2:TGID_X_EN: 1
; COMPUTE_PGM_RSRC2:TGID_Y_EN: 0
; COMPUTE_PGM_RSRC2:TGID_Z_EN: 0
; COMPUTE_PGM_RSRC2:TIDIG_COMP_CNT: 0
	.section	.text._ZN7rocprim17ROCPRIM_400000_NS6detail17trampoline_kernelINS0_13select_configILj256ELj13ELNS0_17block_load_methodE3ELS4_3ELS4_3ELNS0_20block_scan_algorithmE0ELj4294967295EEENS1_25partition_config_selectorILNS1_17partition_subalgoE4EjNS0_10empty_typeEbEEZZNS1_14partition_implILS8_4ELb0ES6_15HIP_vector_typeIjLj2EENS0_17counting_iteratorIjlEEPS9_SG_NS0_5tupleIJPjSI_NS0_16reverse_iteratorISI_EEEEENSH_IJSG_SG_SG_EEES9_SI_JZNS1_25segmented_radix_sort_implINS0_14default_configELb0EPKfPfPKlPlN2at6native12_GLOBAL__N_18offset_tEEE10hipError_tPvRmT1_PNSt15iterator_traitsIS12_E10value_typeET2_T3_PNS13_IS18_E10value_typeET4_jRbjT5_S1E_jjP12ihipStream_tbEUljE_ZNSN_ISO_Lb0ESQ_SR_ST_SU_SY_EESZ_S10_S11_S12_S16_S17_S18_S1B_S1C_jS1D_jS1E_S1E_jjS1G_bEUljE0_EEESZ_S10_S11_S18_S1C_S1E_T6_T7_T9_mT8_S1G_bDpT10_ENKUlT_T0_E_clISt17integral_constantIbLb0EES1T_IbLb1EEEEDaS1P_S1Q_EUlS1P_E_NS1_11comp_targetILNS1_3genE3ELNS1_11target_archE908ELNS1_3gpuE7ELNS1_3repE0EEENS1_30default_config_static_selectorELNS0_4arch9wavefront6targetE1EEEvS12_,"axG",@progbits,_ZN7rocprim17ROCPRIM_400000_NS6detail17trampoline_kernelINS0_13select_configILj256ELj13ELNS0_17block_load_methodE3ELS4_3ELS4_3ELNS0_20block_scan_algorithmE0ELj4294967295EEENS1_25partition_config_selectorILNS1_17partition_subalgoE4EjNS0_10empty_typeEbEEZZNS1_14partition_implILS8_4ELb0ES6_15HIP_vector_typeIjLj2EENS0_17counting_iteratorIjlEEPS9_SG_NS0_5tupleIJPjSI_NS0_16reverse_iteratorISI_EEEEENSH_IJSG_SG_SG_EEES9_SI_JZNS1_25segmented_radix_sort_implINS0_14default_configELb0EPKfPfPKlPlN2at6native12_GLOBAL__N_18offset_tEEE10hipError_tPvRmT1_PNSt15iterator_traitsIS12_E10value_typeET2_T3_PNS13_IS18_E10value_typeET4_jRbjT5_S1E_jjP12ihipStream_tbEUljE_ZNSN_ISO_Lb0ESQ_SR_ST_SU_SY_EESZ_S10_S11_S12_S16_S17_S18_S1B_S1C_jS1D_jS1E_S1E_jjS1G_bEUljE0_EEESZ_S10_S11_S18_S1C_S1E_T6_T7_T9_mT8_S1G_bDpT10_ENKUlT_T0_E_clISt17integral_constantIbLb0EES1T_IbLb1EEEEDaS1P_S1Q_EUlS1P_E_NS1_11comp_targetILNS1_3genE3ELNS1_11target_archE908ELNS1_3gpuE7ELNS1_3repE0EEENS1_30default_config_static_selectorELNS0_4arch9wavefront6targetE1EEEvS12_,comdat
	.globl	_ZN7rocprim17ROCPRIM_400000_NS6detail17trampoline_kernelINS0_13select_configILj256ELj13ELNS0_17block_load_methodE3ELS4_3ELS4_3ELNS0_20block_scan_algorithmE0ELj4294967295EEENS1_25partition_config_selectorILNS1_17partition_subalgoE4EjNS0_10empty_typeEbEEZZNS1_14partition_implILS8_4ELb0ES6_15HIP_vector_typeIjLj2EENS0_17counting_iteratorIjlEEPS9_SG_NS0_5tupleIJPjSI_NS0_16reverse_iteratorISI_EEEEENSH_IJSG_SG_SG_EEES9_SI_JZNS1_25segmented_radix_sort_implINS0_14default_configELb0EPKfPfPKlPlN2at6native12_GLOBAL__N_18offset_tEEE10hipError_tPvRmT1_PNSt15iterator_traitsIS12_E10value_typeET2_T3_PNS13_IS18_E10value_typeET4_jRbjT5_S1E_jjP12ihipStream_tbEUljE_ZNSN_ISO_Lb0ESQ_SR_ST_SU_SY_EESZ_S10_S11_S12_S16_S17_S18_S1B_S1C_jS1D_jS1E_S1E_jjS1G_bEUljE0_EEESZ_S10_S11_S18_S1C_S1E_T6_T7_T9_mT8_S1G_bDpT10_ENKUlT_T0_E_clISt17integral_constantIbLb0EES1T_IbLb1EEEEDaS1P_S1Q_EUlS1P_E_NS1_11comp_targetILNS1_3genE3ELNS1_11target_archE908ELNS1_3gpuE7ELNS1_3repE0EEENS1_30default_config_static_selectorELNS0_4arch9wavefront6targetE1EEEvS12_ ; -- Begin function _ZN7rocprim17ROCPRIM_400000_NS6detail17trampoline_kernelINS0_13select_configILj256ELj13ELNS0_17block_load_methodE3ELS4_3ELS4_3ELNS0_20block_scan_algorithmE0ELj4294967295EEENS1_25partition_config_selectorILNS1_17partition_subalgoE4EjNS0_10empty_typeEbEEZZNS1_14partition_implILS8_4ELb0ES6_15HIP_vector_typeIjLj2EENS0_17counting_iteratorIjlEEPS9_SG_NS0_5tupleIJPjSI_NS0_16reverse_iteratorISI_EEEEENSH_IJSG_SG_SG_EEES9_SI_JZNS1_25segmented_radix_sort_implINS0_14default_configELb0EPKfPfPKlPlN2at6native12_GLOBAL__N_18offset_tEEE10hipError_tPvRmT1_PNSt15iterator_traitsIS12_E10value_typeET2_T3_PNS13_IS18_E10value_typeET4_jRbjT5_S1E_jjP12ihipStream_tbEUljE_ZNSN_ISO_Lb0ESQ_SR_ST_SU_SY_EESZ_S10_S11_S12_S16_S17_S18_S1B_S1C_jS1D_jS1E_S1E_jjS1G_bEUljE0_EEESZ_S10_S11_S18_S1C_S1E_T6_T7_T9_mT8_S1G_bDpT10_ENKUlT_T0_E_clISt17integral_constantIbLb0EES1T_IbLb1EEEEDaS1P_S1Q_EUlS1P_E_NS1_11comp_targetILNS1_3genE3ELNS1_11target_archE908ELNS1_3gpuE7ELNS1_3repE0EEENS1_30default_config_static_selectorELNS0_4arch9wavefront6targetE1EEEvS12_
	.p2align	8
	.type	_ZN7rocprim17ROCPRIM_400000_NS6detail17trampoline_kernelINS0_13select_configILj256ELj13ELNS0_17block_load_methodE3ELS4_3ELS4_3ELNS0_20block_scan_algorithmE0ELj4294967295EEENS1_25partition_config_selectorILNS1_17partition_subalgoE4EjNS0_10empty_typeEbEEZZNS1_14partition_implILS8_4ELb0ES6_15HIP_vector_typeIjLj2EENS0_17counting_iteratorIjlEEPS9_SG_NS0_5tupleIJPjSI_NS0_16reverse_iteratorISI_EEEEENSH_IJSG_SG_SG_EEES9_SI_JZNS1_25segmented_radix_sort_implINS0_14default_configELb0EPKfPfPKlPlN2at6native12_GLOBAL__N_18offset_tEEE10hipError_tPvRmT1_PNSt15iterator_traitsIS12_E10value_typeET2_T3_PNS13_IS18_E10value_typeET4_jRbjT5_S1E_jjP12ihipStream_tbEUljE_ZNSN_ISO_Lb0ESQ_SR_ST_SU_SY_EESZ_S10_S11_S12_S16_S17_S18_S1B_S1C_jS1D_jS1E_S1E_jjS1G_bEUljE0_EEESZ_S10_S11_S18_S1C_S1E_T6_T7_T9_mT8_S1G_bDpT10_ENKUlT_T0_E_clISt17integral_constantIbLb0EES1T_IbLb1EEEEDaS1P_S1Q_EUlS1P_E_NS1_11comp_targetILNS1_3genE3ELNS1_11target_archE908ELNS1_3gpuE7ELNS1_3repE0EEENS1_30default_config_static_selectorELNS0_4arch9wavefront6targetE1EEEvS12_,@function
_ZN7rocprim17ROCPRIM_400000_NS6detail17trampoline_kernelINS0_13select_configILj256ELj13ELNS0_17block_load_methodE3ELS4_3ELS4_3ELNS0_20block_scan_algorithmE0ELj4294967295EEENS1_25partition_config_selectorILNS1_17partition_subalgoE4EjNS0_10empty_typeEbEEZZNS1_14partition_implILS8_4ELb0ES6_15HIP_vector_typeIjLj2EENS0_17counting_iteratorIjlEEPS9_SG_NS0_5tupleIJPjSI_NS0_16reverse_iteratorISI_EEEEENSH_IJSG_SG_SG_EEES9_SI_JZNS1_25segmented_radix_sort_implINS0_14default_configELb0EPKfPfPKlPlN2at6native12_GLOBAL__N_18offset_tEEE10hipError_tPvRmT1_PNSt15iterator_traitsIS12_E10value_typeET2_T3_PNS13_IS18_E10value_typeET4_jRbjT5_S1E_jjP12ihipStream_tbEUljE_ZNSN_ISO_Lb0ESQ_SR_ST_SU_SY_EESZ_S10_S11_S12_S16_S17_S18_S1B_S1C_jS1D_jS1E_S1E_jjS1G_bEUljE0_EEESZ_S10_S11_S18_S1C_S1E_T6_T7_T9_mT8_S1G_bDpT10_ENKUlT_T0_E_clISt17integral_constantIbLb0EES1T_IbLb1EEEEDaS1P_S1Q_EUlS1P_E_NS1_11comp_targetILNS1_3genE3ELNS1_11target_archE908ELNS1_3gpuE7ELNS1_3repE0EEENS1_30default_config_static_selectorELNS0_4arch9wavefront6targetE1EEEvS12_: ; @_ZN7rocprim17ROCPRIM_400000_NS6detail17trampoline_kernelINS0_13select_configILj256ELj13ELNS0_17block_load_methodE3ELS4_3ELS4_3ELNS0_20block_scan_algorithmE0ELj4294967295EEENS1_25partition_config_selectorILNS1_17partition_subalgoE4EjNS0_10empty_typeEbEEZZNS1_14partition_implILS8_4ELb0ES6_15HIP_vector_typeIjLj2EENS0_17counting_iteratorIjlEEPS9_SG_NS0_5tupleIJPjSI_NS0_16reverse_iteratorISI_EEEEENSH_IJSG_SG_SG_EEES9_SI_JZNS1_25segmented_radix_sort_implINS0_14default_configELb0EPKfPfPKlPlN2at6native12_GLOBAL__N_18offset_tEEE10hipError_tPvRmT1_PNSt15iterator_traitsIS12_E10value_typeET2_T3_PNS13_IS18_E10value_typeET4_jRbjT5_S1E_jjP12ihipStream_tbEUljE_ZNSN_ISO_Lb0ESQ_SR_ST_SU_SY_EESZ_S10_S11_S12_S16_S17_S18_S1B_S1C_jS1D_jS1E_S1E_jjS1G_bEUljE0_EEESZ_S10_S11_S18_S1C_S1E_T6_T7_T9_mT8_S1G_bDpT10_ENKUlT_T0_E_clISt17integral_constantIbLb0EES1T_IbLb1EEEEDaS1P_S1Q_EUlS1P_E_NS1_11comp_targetILNS1_3genE3ELNS1_11target_archE908ELNS1_3gpuE7ELNS1_3repE0EEENS1_30default_config_static_selectorELNS0_4arch9wavefront6targetE1EEEvS12_
; %bb.0:
	.section	.rodata,"a",@progbits
	.p2align	6, 0x0
	.amdhsa_kernel _ZN7rocprim17ROCPRIM_400000_NS6detail17trampoline_kernelINS0_13select_configILj256ELj13ELNS0_17block_load_methodE3ELS4_3ELS4_3ELNS0_20block_scan_algorithmE0ELj4294967295EEENS1_25partition_config_selectorILNS1_17partition_subalgoE4EjNS0_10empty_typeEbEEZZNS1_14partition_implILS8_4ELb0ES6_15HIP_vector_typeIjLj2EENS0_17counting_iteratorIjlEEPS9_SG_NS0_5tupleIJPjSI_NS0_16reverse_iteratorISI_EEEEENSH_IJSG_SG_SG_EEES9_SI_JZNS1_25segmented_radix_sort_implINS0_14default_configELb0EPKfPfPKlPlN2at6native12_GLOBAL__N_18offset_tEEE10hipError_tPvRmT1_PNSt15iterator_traitsIS12_E10value_typeET2_T3_PNS13_IS18_E10value_typeET4_jRbjT5_S1E_jjP12ihipStream_tbEUljE_ZNSN_ISO_Lb0ESQ_SR_ST_SU_SY_EESZ_S10_S11_S12_S16_S17_S18_S1B_S1C_jS1D_jS1E_S1E_jjS1G_bEUljE0_EEESZ_S10_S11_S18_S1C_S1E_T6_T7_T9_mT8_S1G_bDpT10_ENKUlT_T0_E_clISt17integral_constantIbLb0EES1T_IbLb1EEEEDaS1P_S1Q_EUlS1P_E_NS1_11comp_targetILNS1_3genE3ELNS1_11target_archE908ELNS1_3gpuE7ELNS1_3repE0EEENS1_30default_config_static_selectorELNS0_4arch9wavefront6targetE1EEEvS12_
		.amdhsa_group_segment_fixed_size 0
		.amdhsa_private_segment_fixed_size 0
		.amdhsa_kernarg_size 184
		.amdhsa_user_sgpr_count 6
		.amdhsa_user_sgpr_private_segment_buffer 1
		.amdhsa_user_sgpr_dispatch_ptr 0
		.amdhsa_user_sgpr_queue_ptr 0
		.amdhsa_user_sgpr_kernarg_segment_ptr 1
		.amdhsa_user_sgpr_dispatch_id 0
		.amdhsa_user_sgpr_flat_scratch_init 0
		.amdhsa_user_sgpr_private_segment_size 0
		.amdhsa_uses_dynamic_stack 0
		.amdhsa_system_sgpr_private_segment_wavefront_offset 0
		.amdhsa_system_sgpr_workgroup_id_x 1
		.amdhsa_system_sgpr_workgroup_id_y 0
		.amdhsa_system_sgpr_workgroup_id_z 0
		.amdhsa_system_sgpr_workgroup_info 0
		.amdhsa_system_vgpr_workitem_id 0
		.amdhsa_next_free_vgpr 1
		.amdhsa_next_free_sgpr 0
		.amdhsa_reserve_vcc 0
		.amdhsa_reserve_flat_scratch 0
		.amdhsa_float_round_mode_32 0
		.amdhsa_float_round_mode_16_64 0
		.amdhsa_float_denorm_mode_32 3
		.amdhsa_float_denorm_mode_16_64 3
		.amdhsa_dx10_clamp 1
		.amdhsa_ieee_mode 1
		.amdhsa_fp16_overflow 0
		.amdhsa_exception_fp_ieee_invalid_op 0
		.amdhsa_exception_fp_denorm_src 0
		.amdhsa_exception_fp_ieee_div_zero 0
		.amdhsa_exception_fp_ieee_overflow 0
		.amdhsa_exception_fp_ieee_underflow 0
		.amdhsa_exception_fp_ieee_inexact 0
		.amdhsa_exception_int_div_zero 0
	.end_amdhsa_kernel
	.section	.text._ZN7rocprim17ROCPRIM_400000_NS6detail17trampoline_kernelINS0_13select_configILj256ELj13ELNS0_17block_load_methodE3ELS4_3ELS4_3ELNS0_20block_scan_algorithmE0ELj4294967295EEENS1_25partition_config_selectorILNS1_17partition_subalgoE4EjNS0_10empty_typeEbEEZZNS1_14partition_implILS8_4ELb0ES6_15HIP_vector_typeIjLj2EENS0_17counting_iteratorIjlEEPS9_SG_NS0_5tupleIJPjSI_NS0_16reverse_iteratorISI_EEEEENSH_IJSG_SG_SG_EEES9_SI_JZNS1_25segmented_radix_sort_implINS0_14default_configELb0EPKfPfPKlPlN2at6native12_GLOBAL__N_18offset_tEEE10hipError_tPvRmT1_PNSt15iterator_traitsIS12_E10value_typeET2_T3_PNS13_IS18_E10value_typeET4_jRbjT5_S1E_jjP12ihipStream_tbEUljE_ZNSN_ISO_Lb0ESQ_SR_ST_SU_SY_EESZ_S10_S11_S12_S16_S17_S18_S1B_S1C_jS1D_jS1E_S1E_jjS1G_bEUljE0_EEESZ_S10_S11_S18_S1C_S1E_T6_T7_T9_mT8_S1G_bDpT10_ENKUlT_T0_E_clISt17integral_constantIbLb0EES1T_IbLb1EEEEDaS1P_S1Q_EUlS1P_E_NS1_11comp_targetILNS1_3genE3ELNS1_11target_archE908ELNS1_3gpuE7ELNS1_3repE0EEENS1_30default_config_static_selectorELNS0_4arch9wavefront6targetE1EEEvS12_,"axG",@progbits,_ZN7rocprim17ROCPRIM_400000_NS6detail17trampoline_kernelINS0_13select_configILj256ELj13ELNS0_17block_load_methodE3ELS4_3ELS4_3ELNS0_20block_scan_algorithmE0ELj4294967295EEENS1_25partition_config_selectorILNS1_17partition_subalgoE4EjNS0_10empty_typeEbEEZZNS1_14partition_implILS8_4ELb0ES6_15HIP_vector_typeIjLj2EENS0_17counting_iteratorIjlEEPS9_SG_NS0_5tupleIJPjSI_NS0_16reverse_iteratorISI_EEEEENSH_IJSG_SG_SG_EEES9_SI_JZNS1_25segmented_radix_sort_implINS0_14default_configELb0EPKfPfPKlPlN2at6native12_GLOBAL__N_18offset_tEEE10hipError_tPvRmT1_PNSt15iterator_traitsIS12_E10value_typeET2_T3_PNS13_IS18_E10value_typeET4_jRbjT5_S1E_jjP12ihipStream_tbEUljE_ZNSN_ISO_Lb0ESQ_SR_ST_SU_SY_EESZ_S10_S11_S12_S16_S17_S18_S1B_S1C_jS1D_jS1E_S1E_jjS1G_bEUljE0_EEESZ_S10_S11_S18_S1C_S1E_T6_T7_T9_mT8_S1G_bDpT10_ENKUlT_T0_E_clISt17integral_constantIbLb0EES1T_IbLb1EEEEDaS1P_S1Q_EUlS1P_E_NS1_11comp_targetILNS1_3genE3ELNS1_11target_archE908ELNS1_3gpuE7ELNS1_3repE0EEENS1_30default_config_static_selectorELNS0_4arch9wavefront6targetE1EEEvS12_,comdat
.Lfunc_end1391:
	.size	_ZN7rocprim17ROCPRIM_400000_NS6detail17trampoline_kernelINS0_13select_configILj256ELj13ELNS0_17block_load_methodE3ELS4_3ELS4_3ELNS0_20block_scan_algorithmE0ELj4294967295EEENS1_25partition_config_selectorILNS1_17partition_subalgoE4EjNS0_10empty_typeEbEEZZNS1_14partition_implILS8_4ELb0ES6_15HIP_vector_typeIjLj2EENS0_17counting_iteratorIjlEEPS9_SG_NS0_5tupleIJPjSI_NS0_16reverse_iteratorISI_EEEEENSH_IJSG_SG_SG_EEES9_SI_JZNS1_25segmented_radix_sort_implINS0_14default_configELb0EPKfPfPKlPlN2at6native12_GLOBAL__N_18offset_tEEE10hipError_tPvRmT1_PNSt15iterator_traitsIS12_E10value_typeET2_T3_PNS13_IS18_E10value_typeET4_jRbjT5_S1E_jjP12ihipStream_tbEUljE_ZNSN_ISO_Lb0ESQ_SR_ST_SU_SY_EESZ_S10_S11_S12_S16_S17_S18_S1B_S1C_jS1D_jS1E_S1E_jjS1G_bEUljE0_EEESZ_S10_S11_S18_S1C_S1E_T6_T7_T9_mT8_S1G_bDpT10_ENKUlT_T0_E_clISt17integral_constantIbLb0EES1T_IbLb1EEEEDaS1P_S1Q_EUlS1P_E_NS1_11comp_targetILNS1_3genE3ELNS1_11target_archE908ELNS1_3gpuE7ELNS1_3repE0EEENS1_30default_config_static_selectorELNS0_4arch9wavefront6targetE1EEEvS12_, .Lfunc_end1391-_ZN7rocprim17ROCPRIM_400000_NS6detail17trampoline_kernelINS0_13select_configILj256ELj13ELNS0_17block_load_methodE3ELS4_3ELS4_3ELNS0_20block_scan_algorithmE0ELj4294967295EEENS1_25partition_config_selectorILNS1_17partition_subalgoE4EjNS0_10empty_typeEbEEZZNS1_14partition_implILS8_4ELb0ES6_15HIP_vector_typeIjLj2EENS0_17counting_iteratorIjlEEPS9_SG_NS0_5tupleIJPjSI_NS0_16reverse_iteratorISI_EEEEENSH_IJSG_SG_SG_EEES9_SI_JZNS1_25segmented_radix_sort_implINS0_14default_configELb0EPKfPfPKlPlN2at6native12_GLOBAL__N_18offset_tEEE10hipError_tPvRmT1_PNSt15iterator_traitsIS12_E10value_typeET2_T3_PNS13_IS18_E10value_typeET4_jRbjT5_S1E_jjP12ihipStream_tbEUljE_ZNSN_ISO_Lb0ESQ_SR_ST_SU_SY_EESZ_S10_S11_S12_S16_S17_S18_S1B_S1C_jS1D_jS1E_S1E_jjS1G_bEUljE0_EEESZ_S10_S11_S18_S1C_S1E_T6_T7_T9_mT8_S1G_bDpT10_ENKUlT_T0_E_clISt17integral_constantIbLb0EES1T_IbLb1EEEEDaS1P_S1Q_EUlS1P_E_NS1_11comp_targetILNS1_3genE3ELNS1_11target_archE908ELNS1_3gpuE7ELNS1_3repE0EEENS1_30default_config_static_selectorELNS0_4arch9wavefront6targetE1EEEvS12_
                                        ; -- End function
	.set _ZN7rocprim17ROCPRIM_400000_NS6detail17trampoline_kernelINS0_13select_configILj256ELj13ELNS0_17block_load_methodE3ELS4_3ELS4_3ELNS0_20block_scan_algorithmE0ELj4294967295EEENS1_25partition_config_selectorILNS1_17partition_subalgoE4EjNS0_10empty_typeEbEEZZNS1_14partition_implILS8_4ELb0ES6_15HIP_vector_typeIjLj2EENS0_17counting_iteratorIjlEEPS9_SG_NS0_5tupleIJPjSI_NS0_16reverse_iteratorISI_EEEEENSH_IJSG_SG_SG_EEES9_SI_JZNS1_25segmented_radix_sort_implINS0_14default_configELb0EPKfPfPKlPlN2at6native12_GLOBAL__N_18offset_tEEE10hipError_tPvRmT1_PNSt15iterator_traitsIS12_E10value_typeET2_T3_PNS13_IS18_E10value_typeET4_jRbjT5_S1E_jjP12ihipStream_tbEUljE_ZNSN_ISO_Lb0ESQ_SR_ST_SU_SY_EESZ_S10_S11_S12_S16_S17_S18_S1B_S1C_jS1D_jS1E_S1E_jjS1G_bEUljE0_EEESZ_S10_S11_S18_S1C_S1E_T6_T7_T9_mT8_S1G_bDpT10_ENKUlT_T0_E_clISt17integral_constantIbLb0EES1T_IbLb1EEEEDaS1P_S1Q_EUlS1P_E_NS1_11comp_targetILNS1_3genE3ELNS1_11target_archE908ELNS1_3gpuE7ELNS1_3repE0EEENS1_30default_config_static_selectorELNS0_4arch9wavefront6targetE1EEEvS12_.num_vgpr, 0
	.set _ZN7rocprim17ROCPRIM_400000_NS6detail17trampoline_kernelINS0_13select_configILj256ELj13ELNS0_17block_load_methodE3ELS4_3ELS4_3ELNS0_20block_scan_algorithmE0ELj4294967295EEENS1_25partition_config_selectorILNS1_17partition_subalgoE4EjNS0_10empty_typeEbEEZZNS1_14partition_implILS8_4ELb0ES6_15HIP_vector_typeIjLj2EENS0_17counting_iteratorIjlEEPS9_SG_NS0_5tupleIJPjSI_NS0_16reverse_iteratorISI_EEEEENSH_IJSG_SG_SG_EEES9_SI_JZNS1_25segmented_radix_sort_implINS0_14default_configELb0EPKfPfPKlPlN2at6native12_GLOBAL__N_18offset_tEEE10hipError_tPvRmT1_PNSt15iterator_traitsIS12_E10value_typeET2_T3_PNS13_IS18_E10value_typeET4_jRbjT5_S1E_jjP12ihipStream_tbEUljE_ZNSN_ISO_Lb0ESQ_SR_ST_SU_SY_EESZ_S10_S11_S12_S16_S17_S18_S1B_S1C_jS1D_jS1E_S1E_jjS1G_bEUljE0_EEESZ_S10_S11_S18_S1C_S1E_T6_T7_T9_mT8_S1G_bDpT10_ENKUlT_T0_E_clISt17integral_constantIbLb0EES1T_IbLb1EEEEDaS1P_S1Q_EUlS1P_E_NS1_11comp_targetILNS1_3genE3ELNS1_11target_archE908ELNS1_3gpuE7ELNS1_3repE0EEENS1_30default_config_static_selectorELNS0_4arch9wavefront6targetE1EEEvS12_.num_agpr, 0
	.set _ZN7rocprim17ROCPRIM_400000_NS6detail17trampoline_kernelINS0_13select_configILj256ELj13ELNS0_17block_load_methodE3ELS4_3ELS4_3ELNS0_20block_scan_algorithmE0ELj4294967295EEENS1_25partition_config_selectorILNS1_17partition_subalgoE4EjNS0_10empty_typeEbEEZZNS1_14partition_implILS8_4ELb0ES6_15HIP_vector_typeIjLj2EENS0_17counting_iteratorIjlEEPS9_SG_NS0_5tupleIJPjSI_NS0_16reverse_iteratorISI_EEEEENSH_IJSG_SG_SG_EEES9_SI_JZNS1_25segmented_radix_sort_implINS0_14default_configELb0EPKfPfPKlPlN2at6native12_GLOBAL__N_18offset_tEEE10hipError_tPvRmT1_PNSt15iterator_traitsIS12_E10value_typeET2_T3_PNS13_IS18_E10value_typeET4_jRbjT5_S1E_jjP12ihipStream_tbEUljE_ZNSN_ISO_Lb0ESQ_SR_ST_SU_SY_EESZ_S10_S11_S12_S16_S17_S18_S1B_S1C_jS1D_jS1E_S1E_jjS1G_bEUljE0_EEESZ_S10_S11_S18_S1C_S1E_T6_T7_T9_mT8_S1G_bDpT10_ENKUlT_T0_E_clISt17integral_constantIbLb0EES1T_IbLb1EEEEDaS1P_S1Q_EUlS1P_E_NS1_11comp_targetILNS1_3genE3ELNS1_11target_archE908ELNS1_3gpuE7ELNS1_3repE0EEENS1_30default_config_static_selectorELNS0_4arch9wavefront6targetE1EEEvS12_.numbered_sgpr, 0
	.set _ZN7rocprim17ROCPRIM_400000_NS6detail17trampoline_kernelINS0_13select_configILj256ELj13ELNS0_17block_load_methodE3ELS4_3ELS4_3ELNS0_20block_scan_algorithmE0ELj4294967295EEENS1_25partition_config_selectorILNS1_17partition_subalgoE4EjNS0_10empty_typeEbEEZZNS1_14partition_implILS8_4ELb0ES6_15HIP_vector_typeIjLj2EENS0_17counting_iteratorIjlEEPS9_SG_NS0_5tupleIJPjSI_NS0_16reverse_iteratorISI_EEEEENSH_IJSG_SG_SG_EEES9_SI_JZNS1_25segmented_radix_sort_implINS0_14default_configELb0EPKfPfPKlPlN2at6native12_GLOBAL__N_18offset_tEEE10hipError_tPvRmT1_PNSt15iterator_traitsIS12_E10value_typeET2_T3_PNS13_IS18_E10value_typeET4_jRbjT5_S1E_jjP12ihipStream_tbEUljE_ZNSN_ISO_Lb0ESQ_SR_ST_SU_SY_EESZ_S10_S11_S12_S16_S17_S18_S1B_S1C_jS1D_jS1E_S1E_jjS1G_bEUljE0_EEESZ_S10_S11_S18_S1C_S1E_T6_T7_T9_mT8_S1G_bDpT10_ENKUlT_T0_E_clISt17integral_constantIbLb0EES1T_IbLb1EEEEDaS1P_S1Q_EUlS1P_E_NS1_11comp_targetILNS1_3genE3ELNS1_11target_archE908ELNS1_3gpuE7ELNS1_3repE0EEENS1_30default_config_static_selectorELNS0_4arch9wavefront6targetE1EEEvS12_.num_named_barrier, 0
	.set _ZN7rocprim17ROCPRIM_400000_NS6detail17trampoline_kernelINS0_13select_configILj256ELj13ELNS0_17block_load_methodE3ELS4_3ELS4_3ELNS0_20block_scan_algorithmE0ELj4294967295EEENS1_25partition_config_selectorILNS1_17partition_subalgoE4EjNS0_10empty_typeEbEEZZNS1_14partition_implILS8_4ELb0ES6_15HIP_vector_typeIjLj2EENS0_17counting_iteratorIjlEEPS9_SG_NS0_5tupleIJPjSI_NS0_16reverse_iteratorISI_EEEEENSH_IJSG_SG_SG_EEES9_SI_JZNS1_25segmented_radix_sort_implINS0_14default_configELb0EPKfPfPKlPlN2at6native12_GLOBAL__N_18offset_tEEE10hipError_tPvRmT1_PNSt15iterator_traitsIS12_E10value_typeET2_T3_PNS13_IS18_E10value_typeET4_jRbjT5_S1E_jjP12ihipStream_tbEUljE_ZNSN_ISO_Lb0ESQ_SR_ST_SU_SY_EESZ_S10_S11_S12_S16_S17_S18_S1B_S1C_jS1D_jS1E_S1E_jjS1G_bEUljE0_EEESZ_S10_S11_S18_S1C_S1E_T6_T7_T9_mT8_S1G_bDpT10_ENKUlT_T0_E_clISt17integral_constantIbLb0EES1T_IbLb1EEEEDaS1P_S1Q_EUlS1P_E_NS1_11comp_targetILNS1_3genE3ELNS1_11target_archE908ELNS1_3gpuE7ELNS1_3repE0EEENS1_30default_config_static_selectorELNS0_4arch9wavefront6targetE1EEEvS12_.private_seg_size, 0
	.set _ZN7rocprim17ROCPRIM_400000_NS6detail17trampoline_kernelINS0_13select_configILj256ELj13ELNS0_17block_load_methodE3ELS4_3ELS4_3ELNS0_20block_scan_algorithmE0ELj4294967295EEENS1_25partition_config_selectorILNS1_17partition_subalgoE4EjNS0_10empty_typeEbEEZZNS1_14partition_implILS8_4ELb0ES6_15HIP_vector_typeIjLj2EENS0_17counting_iteratorIjlEEPS9_SG_NS0_5tupleIJPjSI_NS0_16reverse_iteratorISI_EEEEENSH_IJSG_SG_SG_EEES9_SI_JZNS1_25segmented_radix_sort_implINS0_14default_configELb0EPKfPfPKlPlN2at6native12_GLOBAL__N_18offset_tEEE10hipError_tPvRmT1_PNSt15iterator_traitsIS12_E10value_typeET2_T3_PNS13_IS18_E10value_typeET4_jRbjT5_S1E_jjP12ihipStream_tbEUljE_ZNSN_ISO_Lb0ESQ_SR_ST_SU_SY_EESZ_S10_S11_S12_S16_S17_S18_S1B_S1C_jS1D_jS1E_S1E_jjS1G_bEUljE0_EEESZ_S10_S11_S18_S1C_S1E_T6_T7_T9_mT8_S1G_bDpT10_ENKUlT_T0_E_clISt17integral_constantIbLb0EES1T_IbLb1EEEEDaS1P_S1Q_EUlS1P_E_NS1_11comp_targetILNS1_3genE3ELNS1_11target_archE908ELNS1_3gpuE7ELNS1_3repE0EEENS1_30default_config_static_selectorELNS0_4arch9wavefront6targetE1EEEvS12_.uses_vcc, 0
	.set _ZN7rocprim17ROCPRIM_400000_NS6detail17trampoline_kernelINS0_13select_configILj256ELj13ELNS0_17block_load_methodE3ELS4_3ELS4_3ELNS0_20block_scan_algorithmE0ELj4294967295EEENS1_25partition_config_selectorILNS1_17partition_subalgoE4EjNS0_10empty_typeEbEEZZNS1_14partition_implILS8_4ELb0ES6_15HIP_vector_typeIjLj2EENS0_17counting_iteratorIjlEEPS9_SG_NS0_5tupleIJPjSI_NS0_16reverse_iteratorISI_EEEEENSH_IJSG_SG_SG_EEES9_SI_JZNS1_25segmented_radix_sort_implINS0_14default_configELb0EPKfPfPKlPlN2at6native12_GLOBAL__N_18offset_tEEE10hipError_tPvRmT1_PNSt15iterator_traitsIS12_E10value_typeET2_T3_PNS13_IS18_E10value_typeET4_jRbjT5_S1E_jjP12ihipStream_tbEUljE_ZNSN_ISO_Lb0ESQ_SR_ST_SU_SY_EESZ_S10_S11_S12_S16_S17_S18_S1B_S1C_jS1D_jS1E_S1E_jjS1G_bEUljE0_EEESZ_S10_S11_S18_S1C_S1E_T6_T7_T9_mT8_S1G_bDpT10_ENKUlT_T0_E_clISt17integral_constantIbLb0EES1T_IbLb1EEEEDaS1P_S1Q_EUlS1P_E_NS1_11comp_targetILNS1_3genE3ELNS1_11target_archE908ELNS1_3gpuE7ELNS1_3repE0EEENS1_30default_config_static_selectorELNS0_4arch9wavefront6targetE1EEEvS12_.uses_flat_scratch, 0
	.set _ZN7rocprim17ROCPRIM_400000_NS6detail17trampoline_kernelINS0_13select_configILj256ELj13ELNS0_17block_load_methodE3ELS4_3ELS4_3ELNS0_20block_scan_algorithmE0ELj4294967295EEENS1_25partition_config_selectorILNS1_17partition_subalgoE4EjNS0_10empty_typeEbEEZZNS1_14partition_implILS8_4ELb0ES6_15HIP_vector_typeIjLj2EENS0_17counting_iteratorIjlEEPS9_SG_NS0_5tupleIJPjSI_NS0_16reverse_iteratorISI_EEEEENSH_IJSG_SG_SG_EEES9_SI_JZNS1_25segmented_radix_sort_implINS0_14default_configELb0EPKfPfPKlPlN2at6native12_GLOBAL__N_18offset_tEEE10hipError_tPvRmT1_PNSt15iterator_traitsIS12_E10value_typeET2_T3_PNS13_IS18_E10value_typeET4_jRbjT5_S1E_jjP12ihipStream_tbEUljE_ZNSN_ISO_Lb0ESQ_SR_ST_SU_SY_EESZ_S10_S11_S12_S16_S17_S18_S1B_S1C_jS1D_jS1E_S1E_jjS1G_bEUljE0_EEESZ_S10_S11_S18_S1C_S1E_T6_T7_T9_mT8_S1G_bDpT10_ENKUlT_T0_E_clISt17integral_constantIbLb0EES1T_IbLb1EEEEDaS1P_S1Q_EUlS1P_E_NS1_11comp_targetILNS1_3genE3ELNS1_11target_archE908ELNS1_3gpuE7ELNS1_3repE0EEENS1_30default_config_static_selectorELNS0_4arch9wavefront6targetE1EEEvS12_.has_dyn_sized_stack, 0
	.set _ZN7rocprim17ROCPRIM_400000_NS6detail17trampoline_kernelINS0_13select_configILj256ELj13ELNS0_17block_load_methodE3ELS4_3ELS4_3ELNS0_20block_scan_algorithmE0ELj4294967295EEENS1_25partition_config_selectorILNS1_17partition_subalgoE4EjNS0_10empty_typeEbEEZZNS1_14partition_implILS8_4ELb0ES6_15HIP_vector_typeIjLj2EENS0_17counting_iteratorIjlEEPS9_SG_NS0_5tupleIJPjSI_NS0_16reverse_iteratorISI_EEEEENSH_IJSG_SG_SG_EEES9_SI_JZNS1_25segmented_radix_sort_implINS0_14default_configELb0EPKfPfPKlPlN2at6native12_GLOBAL__N_18offset_tEEE10hipError_tPvRmT1_PNSt15iterator_traitsIS12_E10value_typeET2_T3_PNS13_IS18_E10value_typeET4_jRbjT5_S1E_jjP12ihipStream_tbEUljE_ZNSN_ISO_Lb0ESQ_SR_ST_SU_SY_EESZ_S10_S11_S12_S16_S17_S18_S1B_S1C_jS1D_jS1E_S1E_jjS1G_bEUljE0_EEESZ_S10_S11_S18_S1C_S1E_T6_T7_T9_mT8_S1G_bDpT10_ENKUlT_T0_E_clISt17integral_constantIbLb0EES1T_IbLb1EEEEDaS1P_S1Q_EUlS1P_E_NS1_11comp_targetILNS1_3genE3ELNS1_11target_archE908ELNS1_3gpuE7ELNS1_3repE0EEENS1_30default_config_static_selectorELNS0_4arch9wavefront6targetE1EEEvS12_.has_recursion, 0
	.set _ZN7rocprim17ROCPRIM_400000_NS6detail17trampoline_kernelINS0_13select_configILj256ELj13ELNS0_17block_load_methodE3ELS4_3ELS4_3ELNS0_20block_scan_algorithmE0ELj4294967295EEENS1_25partition_config_selectorILNS1_17partition_subalgoE4EjNS0_10empty_typeEbEEZZNS1_14partition_implILS8_4ELb0ES6_15HIP_vector_typeIjLj2EENS0_17counting_iteratorIjlEEPS9_SG_NS0_5tupleIJPjSI_NS0_16reverse_iteratorISI_EEEEENSH_IJSG_SG_SG_EEES9_SI_JZNS1_25segmented_radix_sort_implINS0_14default_configELb0EPKfPfPKlPlN2at6native12_GLOBAL__N_18offset_tEEE10hipError_tPvRmT1_PNSt15iterator_traitsIS12_E10value_typeET2_T3_PNS13_IS18_E10value_typeET4_jRbjT5_S1E_jjP12ihipStream_tbEUljE_ZNSN_ISO_Lb0ESQ_SR_ST_SU_SY_EESZ_S10_S11_S12_S16_S17_S18_S1B_S1C_jS1D_jS1E_S1E_jjS1G_bEUljE0_EEESZ_S10_S11_S18_S1C_S1E_T6_T7_T9_mT8_S1G_bDpT10_ENKUlT_T0_E_clISt17integral_constantIbLb0EES1T_IbLb1EEEEDaS1P_S1Q_EUlS1P_E_NS1_11comp_targetILNS1_3genE3ELNS1_11target_archE908ELNS1_3gpuE7ELNS1_3repE0EEENS1_30default_config_static_selectorELNS0_4arch9wavefront6targetE1EEEvS12_.has_indirect_call, 0
	.section	.AMDGPU.csdata,"",@progbits
; Kernel info:
; codeLenInByte = 0
; TotalNumSgprs: 4
; NumVgprs: 0
; ScratchSize: 0
; MemoryBound: 0
; FloatMode: 240
; IeeeMode: 1
; LDSByteSize: 0 bytes/workgroup (compile time only)
; SGPRBlocks: 0
; VGPRBlocks: 0
; NumSGPRsForWavesPerEU: 4
; NumVGPRsForWavesPerEU: 1
; Occupancy: 10
; WaveLimiterHint : 0
; COMPUTE_PGM_RSRC2:SCRATCH_EN: 0
; COMPUTE_PGM_RSRC2:USER_SGPR: 6
; COMPUTE_PGM_RSRC2:TRAP_HANDLER: 0
; COMPUTE_PGM_RSRC2:TGID_X_EN: 1
; COMPUTE_PGM_RSRC2:TGID_Y_EN: 0
; COMPUTE_PGM_RSRC2:TGID_Z_EN: 0
; COMPUTE_PGM_RSRC2:TIDIG_COMP_CNT: 0
	.section	.text._ZN7rocprim17ROCPRIM_400000_NS6detail17trampoline_kernelINS0_13select_configILj256ELj13ELNS0_17block_load_methodE3ELS4_3ELS4_3ELNS0_20block_scan_algorithmE0ELj4294967295EEENS1_25partition_config_selectorILNS1_17partition_subalgoE4EjNS0_10empty_typeEbEEZZNS1_14partition_implILS8_4ELb0ES6_15HIP_vector_typeIjLj2EENS0_17counting_iteratorIjlEEPS9_SG_NS0_5tupleIJPjSI_NS0_16reverse_iteratorISI_EEEEENSH_IJSG_SG_SG_EEES9_SI_JZNS1_25segmented_radix_sort_implINS0_14default_configELb0EPKfPfPKlPlN2at6native12_GLOBAL__N_18offset_tEEE10hipError_tPvRmT1_PNSt15iterator_traitsIS12_E10value_typeET2_T3_PNS13_IS18_E10value_typeET4_jRbjT5_S1E_jjP12ihipStream_tbEUljE_ZNSN_ISO_Lb0ESQ_SR_ST_SU_SY_EESZ_S10_S11_S12_S16_S17_S18_S1B_S1C_jS1D_jS1E_S1E_jjS1G_bEUljE0_EEESZ_S10_S11_S18_S1C_S1E_T6_T7_T9_mT8_S1G_bDpT10_ENKUlT_T0_E_clISt17integral_constantIbLb0EES1T_IbLb1EEEEDaS1P_S1Q_EUlS1P_E_NS1_11comp_targetILNS1_3genE2ELNS1_11target_archE906ELNS1_3gpuE6ELNS1_3repE0EEENS1_30default_config_static_selectorELNS0_4arch9wavefront6targetE1EEEvS12_,"axG",@progbits,_ZN7rocprim17ROCPRIM_400000_NS6detail17trampoline_kernelINS0_13select_configILj256ELj13ELNS0_17block_load_methodE3ELS4_3ELS4_3ELNS0_20block_scan_algorithmE0ELj4294967295EEENS1_25partition_config_selectorILNS1_17partition_subalgoE4EjNS0_10empty_typeEbEEZZNS1_14partition_implILS8_4ELb0ES6_15HIP_vector_typeIjLj2EENS0_17counting_iteratorIjlEEPS9_SG_NS0_5tupleIJPjSI_NS0_16reverse_iteratorISI_EEEEENSH_IJSG_SG_SG_EEES9_SI_JZNS1_25segmented_radix_sort_implINS0_14default_configELb0EPKfPfPKlPlN2at6native12_GLOBAL__N_18offset_tEEE10hipError_tPvRmT1_PNSt15iterator_traitsIS12_E10value_typeET2_T3_PNS13_IS18_E10value_typeET4_jRbjT5_S1E_jjP12ihipStream_tbEUljE_ZNSN_ISO_Lb0ESQ_SR_ST_SU_SY_EESZ_S10_S11_S12_S16_S17_S18_S1B_S1C_jS1D_jS1E_S1E_jjS1G_bEUljE0_EEESZ_S10_S11_S18_S1C_S1E_T6_T7_T9_mT8_S1G_bDpT10_ENKUlT_T0_E_clISt17integral_constantIbLb0EES1T_IbLb1EEEEDaS1P_S1Q_EUlS1P_E_NS1_11comp_targetILNS1_3genE2ELNS1_11target_archE906ELNS1_3gpuE6ELNS1_3repE0EEENS1_30default_config_static_selectorELNS0_4arch9wavefront6targetE1EEEvS12_,comdat
	.globl	_ZN7rocprim17ROCPRIM_400000_NS6detail17trampoline_kernelINS0_13select_configILj256ELj13ELNS0_17block_load_methodE3ELS4_3ELS4_3ELNS0_20block_scan_algorithmE0ELj4294967295EEENS1_25partition_config_selectorILNS1_17partition_subalgoE4EjNS0_10empty_typeEbEEZZNS1_14partition_implILS8_4ELb0ES6_15HIP_vector_typeIjLj2EENS0_17counting_iteratorIjlEEPS9_SG_NS0_5tupleIJPjSI_NS0_16reverse_iteratorISI_EEEEENSH_IJSG_SG_SG_EEES9_SI_JZNS1_25segmented_radix_sort_implINS0_14default_configELb0EPKfPfPKlPlN2at6native12_GLOBAL__N_18offset_tEEE10hipError_tPvRmT1_PNSt15iterator_traitsIS12_E10value_typeET2_T3_PNS13_IS18_E10value_typeET4_jRbjT5_S1E_jjP12ihipStream_tbEUljE_ZNSN_ISO_Lb0ESQ_SR_ST_SU_SY_EESZ_S10_S11_S12_S16_S17_S18_S1B_S1C_jS1D_jS1E_S1E_jjS1G_bEUljE0_EEESZ_S10_S11_S18_S1C_S1E_T6_T7_T9_mT8_S1G_bDpT10_ENKUlT_T0_E_clISt17integral_constantIbLb0EES1T_IbLb1EEEEDaS1P_S1Q_EUlS1P_E_NS1_11comp_targetILNS1_3genE2ELNS1_11target_archE906ELNS1_3gpuE6ELNS1_3repE0EEENS1_30default_config_static_selectorELNS0_4arch9wavefront6targetE1EEEvS12_ ; -- Begin function _ZN7rocprim17ROCPRIM_400000_NS6detail17trampoline_kernelINS0_13select_configILj256ELj13ELNS0_17block_load_methodE3ELS4_3ELS4_3ELNS0_20block_scan_algorithmE0ELj4294967295EEENS1_25partition_config_selectorILNS1_17partition_subalgoE4EjNS0_10empty_typeEbEEZZNS1_14partition_implILS8_4ELb0ES6_15HIP_vector_typeIjLj2EENS0_17counting_iteratorIjlEEPS9_SG_NS0_5tupleIJPjSI_NS0_16reverse_iteratorISI_EEEEENSH_IJSG_SG_SG_EEES9_SI_JZNS1_25segmented_radix_sort_implINS0_14default_configELb0EPKfPfPKlPlN2at6native12_GLOBAL__N_18offset_tEEE10hipError_tPvRmT1_PNSt15iterator_traitsIS12_E10value_typeET2_T3_PNS13_IS18_E10value_typeET4_jRbjT5_S1E_jjP12ihipStream_tbEUljE_ZNSN_ISO_Lb0ESQ_SR_ST_SU_SY_EESZ_S10_S11_S12_S16_S17_S18_S1B_S1C_jS1D_jS1E_S1E_jjS1G_bEUljE0_EEESZ_S10_S11_S18_S1C_S1E_T6_T7_T9_mT8_S1G_bDpT10_ENKUlT_T0_E_clISt17integral_constantIbLb0EES1T_IbLb1EEEEDaS1P_S1Q_EUlS1P_E_NS1_11comp_targetILNS1_3genE2ELNS1_11target_archE906ELNS1_3gpuE6ELNS1_3repE0EEENS1_30default_config_static_selectorELNS0_4arch9wavefront6targetE1EEEvS12_
	.p2align	8
	.type	_ZN7rocprim17ROCPRIM_400000_NS6detail17trampoline_kernelINS0_13select_configILj256ELj13ELNS0_17block_load_methodE3ELS4_3ELS4_3ELNS0_20block_scan_algorithmE0ELj4294967295EEENS1_25partition_config_selectorILNS1_17partition_subalgoE4EjNS0_10empty_typeEbEEZZNS1_14partition_implILS8_4ELb0ES6_15HIP_vector_typeIjLj2EENS0_17counting_iteratorIjlEEPS9_SG_NS0_5tupleIJPjSI_NS0_16reverse_iteratorISI_EEEEENSH_IJSG_SG_SG_EEES9_SI_JZNS1_25segmented_radix_sort_implINS0_14default_configELb0EPKfPfPKlPlN2at6native12_GLOBAL__N_18offset_tEEE10hipError_tPvRmT1_PNSt15iterator_traitsIS12_E10value_typeET2_T3_PNS13_IS18_E10value_typeET4_jRbjT5_S1E_jjP12ihipStream_tbEUljE_ZNSN_ISO_Lb0ESQ_SR_ST_SU_SY_EESZ_S10_S11_S12_S16_S17_S18_S1B_S1C_jS1D_jS1E_S1E_jjS1G_bEUljE0_EEESZ_S10_S11_S18_S1C_S1E_T6_T7_T9_mT8_S1G_bDpT10_ENKUlT_T0_E_clISt17integral_constantIbLb0EES1T_IbLb1EEEEDaS1P_S1Q_EUlS1P_E_NS1_11comp_targetILNS1_3genE2ELNS1_11target_archE906ELNS1_3gpuE6ELNS1_3repE0EEENS1_30default_config_static_selectorELNS0_4arch9wavefront6targetE1EEEvS12_,@function
_ZN7rocprim17ROCPRIM_400000_NS6detail17trampoline_kernelINS0_13select_configILj256ELj13ELNS0_17block_load_methodE3ELS4_3ELS4_3ELNS0_20block_scan_algorithmE0ELj4294967295EEENS1_25partition_config_selectorILNS1_17partition_subalgoE4EjNS0_10empty_typeEbEEZZNS1_14partition_implILS8_4ELb0ES6_15HIP_vector_typeIjLj2EENS0_17counting_iteratorIjlEEPS9_SG_NS0_5tupleIJPjSI_NS0_16reverse_iteratorISI_EEEEENSH_IJSG_SG_SG_EEES9_SI_JZNS1_25segmented_radix_sort_implINS0_14default_configELb0EPKfPfPKlPlN2at6native12_GLOBAL__N_18offset_tEEE10hipError_tPvRmT1_PNSt15iterator_traitsIS12_E10value_typeET2_T3_PNS13_IS18_E10value_typeET4_jRbjT5_S1E_jjP12ihipStream_tbEUljE_ZNSN_ISO_Lb0ESQ_SR_ST_SU_SY_EESZ_S10_S11_S12_S16_S17_S18_S1B_S1C_jS1D_jS1E_S1E_jjS1G_bEUljE0_EEESZ_S10_S11_S18_S1C_S1E_T6_T7_T9_mT8_S1G_bDpT10_ENKUlT_T0_E_clISt17integral_constantIbLb0EES1T_IbLb1EEEEDaS1P_S1Q_EUlS1P_E_NS1_11comp_targetILNS1_3genE2ELNS1_11target_archE906ELNS1_3gpuE6ELNS1_3repE0EEENS1_30default_config_static_selectorELNS0_4arch9wavefront6targetE1EEEvS12_: ; @_ZN7rocprim17ROCPRIM_400000_NS6detail17trampoline_kernelINS0_13select_configILj256ELj13ELNS0_17block_load_methodE3ELS4_3ELS4_3ELNS0_20block_scan_algorithmE0ELj4294967295EEENS1_25partition_config_selectorILNS1_17partition_subalgoE4EjNS0_10empty_typeEbEEZZNS1_14partition_implILS8_4ELb0ES6_15HIP_vector_typeIjLj2EENS0_17counting_iteratorIjlEEPS9_SG_NS0_5tupleIJPjSI_NS0_16reverse_iteratorISI_EEEEENSH_IJSG_SG_SG_EEES9_SI_JZNS1_25segmented_radix_sort_implINS0_14default_configELb0EPKfPfPKlPlN2at6native12_GLOBAL__N_18offset_tEEE10hipError_tPvRmT1_PNSt15iterator_traitsIS12_E10value_typeET2_T3_PNS13_IS18_E10value_typeET4_jRbjT5_S1E_jjP12ihipStream_tbEUljE_ZNSN_ISO_Lb0ESQ_SR_ST_SU_SY_EESZ_S10_S11_S12_S16_S17_S18_S1B_S1C_jS1D_jS1E_S1E_jjS1G_bEUljE0_EEESZ_S10_S11_S18_S1C_S1E_T6_T7_T9_mT8_S1G_bDpT10_ENKUlT_T0_E_clISt17integral_constantIbLb0EES1T_IbLb1EEEEDaS1P_S1Q_EUlS1P_E_NS1_11comp_targetILNS1_3genE2ELNS1_11target_archE906ELNS1_3gpuE6ELNS1_3repE0EEENS1_30default_config_static_selectorELNS0_4arch9wavefront6targetE1EEEvS12_
; %bb.0:
	s_load_dwordx2 s[52:53], s[4:5], 0x10
	s_load_dwordx4 s[48:51], s[4:5], 0x28
	s_load_dwordx2 s[30:31], s[4:5], 0x38
	s_load_dwordx4 s[44:47], s[4:5], 0x58
	s_load_dwordx2 s[6:7], s[4:5], 0x68
	s_load_dwordx2 s[54:55], s[4:5], 0x78
	;; [unrolled: 1-line block ×3, first 2 shown]
	s_load_dwordx8 s[36:43], s[4:5], 0x90
	v_cmp_eq_u32_e64 s[0:1], 0, v0
	s_and_saveexec_b64 s[2:3], s[0:1]
	s_cbranch_execz .LBB1392_4
; %bb.1:
	s_mov_b64 s[10:11], exec
	v_mbcnt_lo_u32_b32 v1, s10, 0
	v_mbcnt_hi_u32_b32 v1, s11, v1
	v_cmp_eq_u32_e32 vcc, 0, v1
                                        ; implicit-def: $vgpr2
	s_and_saveexec_b64 s[8:9], vcc
	s_cbranch_execz .LBB1392_3
; %bb.2:
	s_load_dwordx2 s[12:13], s[4:5], 0x88
	s_bcnt1_i32_b64 s10, s[10:11]
	v_mov_b32_e32 v2, 0
	v_mov_b32_e32 v3, s10
	s_waitcnt lgkmcnt(0)
	global_atomic_add v2, v2, v3, s[12:13] glc
.LBB1392_3:
	s_or_b64 exec, exec, s[8:9]
	s_waitcnt vmcnt(0)
	v_readfirstlane_b32 s8, v2
	v_add_u32_e32 v1, s8, v1
	v_mov_b32_e32 v2, 0
	ds_write_b32 v2, v1
.LBB1392_4:
	s_or_b64 exec, exec, s[2:3]
	v_mov_b32_e32 v1, 0
	s_load_dword s2, s[4:5], 0x8
	s_load_dword s8, s[4:5], 0x80
	s_waitcnt lgkmcnt(0)
	s_barrier
	ds_read_b32 v7, v1
	s_waitcnt lgkmcnt(0)
	s_barrier
	global_load_dwordx4 v[1:4], v1, s[46:47]
	s_add_i32 s9, s2, s52
	s_movk_i32 s2, 0xd00
	s_add_i32 s4, s8, -1
	s_mulk_i32 s8, 0xd00
	v_mul_lo_u32 v33, v7, s2
	s_add_u32 s2, s52, s8
	s_addc_u32 s3, s53, 0
	v_mov_b32_e32 v6, s3
	v_mov_b32_e32 v5, s2
	v_readfirstlane_b32 s33, v7
	v_cmp_gt_u64_e32 vcc, s[6:7], v[5:6]
	s_cmp_eq_u32 s33, s4
	v_cmp_ne_u32_e64 s[2:3], s4, v7
	s_cselect_b64 s[34:35], -1, 0
	s_or_b64 s[4:5], vcc, s[2:3]
	v_add_u32_e32 v5, s9, v33
	s_mov_b64 s[2:3], -1
	s_and_b64 vcc, exec, s[4:5]
	v_add_u32_e32 v5, v5, v0
	s_cbranch_vccz .LBB1392_6
; %bb.5:
	v_add_u32_e32 v6, 0x100, v5
	v_lshlrev_b32_e32 v18, 2, v0
	v_add_u32_e32 v7, 0x200, v5
	v_add_u32_e32 v8, 0x300, v5
	;; [unrolled: 1-line block ×11, first 2 shown]
	ds_write2st64_b32 v18, v5, v6 offset1:4
	ds_write2st64_b32 v18, v7, v8 offset0:8 offset1:12
	ds_write2st64_b32 v18, v9, v10 offset0:16 offset1:20
	ds_write2st64_b32 v18, v11, v12 offset0:24 offset1:28
	ds_write2st64_b32 v18, v13, v14 offset0:32 offset1:36
	ds_write2st64_b32 v18, v15, v16 offset0:40 offset1:44
	ds_write_b32 v18, v17 offset:12288
	s_waitcnt vmcnt(0) lgkmcnt(0)
	s_barrier
	s_mov_b64 s[2:3], 0
.LBB1392_6:
	s_andn2_b64 vcc, exec, s[2:3]
	s_add_i32 s8, s8, s52
	s_cbranch_vccnz .LBB1392_8
; %bb.7:
	v_add_u32_e32 v6, 0x100, v5
	v_lshlrev_b32_e32 v18, 2, v0
	v_add_u32_e32 v7, 0x200, v5
	v_add_u32_e32 v8, 0x300, v5
	;; [unrolled: 1-line block ×11, first 2 shown]
	ds_write2st64_b32 v18, v5, v6 offset1:4
	ds_write2st64_b32 v18, v7, v8 offset0:8 offset1:12
	ds_write2st64_b32 v18, v9, v10 offset0:16 offset1:20
	ds_write2st64_b32 v18, v11, v12 offset0:24 offset1:28
	ds_write2st64_b32 v18, v13, v14 offset0:32 offset1:36
	ds_write2st64_b32 v18, v15, v16 offset0:40 offset1:44
	ds_write_b32 v18, v17 offset:12288
	s_waitcnt vmcnt(0) lgkmcnt(0)
	s_barrier
.LBB1392_8:
	v_mul_u32_u24_e32 v35, 13, v0
	v_lshlrev_b32_e32 v5, 2, v35
	ds_read_b32 v34, v5 offset:48
	ds_read2_b32 v[13:14], v5 offset0:10 offset1:11
	ds_read2_b32 v[15:16], v5 offset0:8 offset1:9
	;; [unrolled: 1-line block ×4, first 2 shown]
	ds_read2_b32 v[23:24], v5 offset1:1
	ds_read2_b32 v[21:22], v5 offset0:2 offset1:3
	v_cndmask_b32_e64 v5, 0, 1, s[4:5]
	s_sub_i32 s86, s6, s8
	v_cmp_ne_u32_e64 s[2:3], 1, v5
	s_andn2_b64 vcc, exec, s[4:5]
	s_waitcnt vmcnt(0) lgkmcnt(0)
	s_barrier
	s_cbranch_vccnz .LBB1392_36
; %bb.9:
	v_add_u32_e32 v5, s37, v23
	v_add_u32_e32 v6, s39, v23
	v_mul_lo_u32 v5, v5, s36
	v_mul_lo_u32 v6, v6, s38
	s_mov_b64 s[58:59], 0
	s_mov_b64 s[46:47], 0
	v_sub_u32_e32 v5, v5, v6
	v_cmp_lt_u32_e32 vcc, s40, v5
	v_cmp_ge_u32_e64 s[4:5], s40, v5
	s_and_saveexec_b64 s[6:7], s[4:5]
	s_cbranch_execz .LBB1392_11
; %bb.10:
	v_add_u32_e32 v5, s42, v23
	v_add_u32_e32 v6, s56, v23
	v_mul_lo_u32 v5, v5, s41
	v_mul_lo_u32 v6, v6, s43
	v_sub_u32_e32 v5, v5, v6
	v_cmp_lt_u32_e64 s[4:5], s57, v5
	s_and_b64 s[46:47], s[4:5], exec
.LBB1392_11:
	s_or_b64 exec, exec, s[6:7]
	v_add_u32_e32 v5, s37, v24
	v_add_u32_e32 v6, s39, v24
	v_mul_lo_u32 v5, v5, s36
	v_mul_lo_u32 v6, v6, s38
	v_sub_u32_e32 v5, v5, v6
	v_cmp_lt_u32_e64 s[4:5], s40, v5
	v_cmp_ge_u32_e64 s[6:7], s40, v5
	s_and_saveexec_b64 s[8:9], s[6:7]
	s_cbranch_execz .LBB1392_13
; %bb.12:
	v_add_u32_e32 v5, s42, v24
	v_add_u32_e32 v6, s56, v24
	v_mul_lo_u32 v5, v5, s41
	v_mul_lo_u32 v6, v6, s43
	v_sub_u32_e32 v5, v5, v6
	v_cmp_lt_u32_e64 s[6:7], s57, v5
	s_and_b64 s[58:59], s[6:7], exec
.LBB1392_13:
	s_or_b64 exec, exec, s[8:9]
	v_add_u32_e32 v5, s37, v21
	v_add_u32_e32 v6, s39, v21
	v_mul_lo_u32 v5, v5, s36
	v_mul_lo_u32 v6, v6, s38
	s_mov_b64 s[62:63], 0
	s_mov_b64 s[60:61], 0
	v_sub_u32_e32 v5, v5, v6
	v_cmp_lt_u32_e64 s[6:7], s40, v5
	v_cmp_ge_u32_e64 s[8:9], s40, v5
	s_and_saveexec_b64 s[10:11], s[8:9]
	s_cbranch_execz .LBB1392_15
; %bb.14:
	v_add_u32_e32 v5, s42, v21
	v_add_u32_e32 v6, s56, v21
	v_mul_lo_u32 v5, v5, s41
	v_mul_lo_u32 v6, v6, s43
	v_sub_u32_e32 v5, v5, v6
	v_cmp_lt_u32_e64 s[8:9], s57, v5
	s_and_b64 s[60:61], s[8:9], exec
.LBB1392_15:
	s_or_b64 exec, exec, s[10:11]
	v_add_u32_e32 v5, s37, v22
	v_add_u32_e32 v6, s39, v22
	v_mul_lo_u32 v5, v5, s36
	v_mul_lo_u32 v6, v6, s38
	v_sub_u32_e32 v5, v5, v6
	v_cmp_lt_u32_e64 s[8:9], s40, v5
	v_cmp_ge_u32_e64 s[10:11], s40, v5
	s_and_saveexec_b64 s[12:13], s[10:11]
	s_cbranch_execz .LBB1392_17
; %bb.16:
	v_add_u32_e32 v5, s42, v22
	v_add_u32_e32 v6, s56, v22
	v_mul_lo_u32 v5, v5, s41
	v_mul_lo_u32 v6, v6, s43
	v_sub_u32_e32 v5, v5, v6
	v_cmp_lt_u32_e64 s[10:11], s57, v5
	s_and_b64 s[62:63], s[10:11], exec
.LBB1392_17:
	s_or_b64 exec, exec, s[12:13]
	v_add_u32_e32 v5, s37, v19
	v_add_u32_e32 v6, s39, v19
	v_mul_lo_u32 v5, v5, s36
	v_mul_lo_u32 v6, v6, s38
	s_mov_b64 s[66:67], 0
	s_mov_b64 s[64:65], 0
	v_sub_u32_e32 v5, v5, v6
	v_cmp_lt_u32_e64 s[10:11], s40, v5
	;; [unrolled: 40-line block ×6, first 2 shown]
	v_cmp_ge_u32_e64 s[28:29], s40, v5
	s_and_saveexec_b64 s[84:85], s[28:29]
	s_cbranch_execz .LBB1392_35
; %bb.34:
	v_add_u32_e32 v5, s42, v34
	v_add_u32_e32 v6, s56, v34
	v_mul_lo_u32 v5, v5, s41
	v_mul_lo_u32 v6, v6, s43
	v_sub_u32_e32 v5, v5, v6
	v_cmp_lt_u32_e64 s[28:29], s57, v5
	s_and_b64 s[82:83], s[28:29], exec
.LBB1392_35:
	s_or_b64 exec, exec, s[84:85]
	v_cndmask_b32_e64 v6, 0, 1, s[4:5]
	v_cndmask_b32_e64 v5, 0, 1, vcc
	v_cndmask_b32_e64 v8, 0, 1, s[8:9]
	v_lshlrev_b16_e32 v6, 8, v6
	v_cndmask_b32_e64 v7, 0, 1, s[6:7]
	v_or_b32_e32 v5, v5, v6
	v_lshlrev_b16_e32 v6, 8, v8
	v_cndmask_b32_e64 v10, 0, 1, s[12:13]
	v_cndmask_b32_e64 v12, 0, 1, s[16:17]
	v_or_b32_sdwa v6, v7, v6 dst_sel:WORD_1 dst_unused:UNUSED_PAD src0_sel:DWORD src1_sel:DWORD
	v_cndmask_b32_e64 v9, 0, 1, s[10:11]
	v_cndmask_b32_e64 v11, 0, 1, s[14:15]
	v_or_b32_sdwa v36, v5, v6 dst_sel:DWORD dst_unused:UNUSED_PAD src0_sel:WORD_0 src1_sel:DWORD
	v_lshlrev_b16_e32 v5, 8, v10
	v_lshlrev_b16_e32 v6, 8, v12
	v_cndmask_b32_e64 v26, 0, 1, s[20:21]
	v_cndmask_b32_e64 v29, 0, 1, s[24:25]
	v_or_b32_e32 v5, v9, v5
	v_or_b32_sdwa v6, v11, v6 dst_sel:WORD_1 dst_unused:UNUSED_PAD src0_sel:DWORD src1_sel:DWORD
	v_cndmask_b32_e64 v25, 0, 1, s[18:19]
	v_cndmask_b32_e64 v27, 0, 1, s[22:23]
	v_or_b32_sdwa v38, v5, v6 dst_sel:DWORD dst_unused:UNUSED_PAD src0_sel:WORD_0 src1_sel:DWORD
	v_lshlrev_b16_e32 v5, 8, v26
	v_lshlrev_b16_e32 v6, 8, v29
	v_cndmask_b32_e64 v42, 0, 1, s[60:61]
	v_cndmask_b32_e64 v47, 0, 1, s[46:47]
	v_or_b32_e32 v5, v25, v5
	;; [unrolled: 9-line block ×4, first 2 shown]
	v_or_b32_sdwa v6, v39, v6 dst_sel:WORD_1 dst_unused:UNUSED_PAD src0_sel:DWORD src1_sel:DWORD
	v_cndmask_b32_e64 v30, 0, 1, s[74:75]
	v_cndmask_b32_e64 v32, 0, 1, s[70:71]
	v_or_b32_sdwa v37, v5, v6 dst_sel:DWORD dst_unused:UNUSED_PAD src0_sel:WORD_0 src1_sel:DWORD
	v_lshlrev_b16_e32 v5, 8, v31
	v_lshlrev_b16_e32 v6, 8, v28
	v_or_b32_e32 v5, v32, v5
	v_or_b32_sdwa v6, v30, v6 dst_sel:WORD_1 dst_unused:UNUSED_PAD src0_sel:DWORD src1_sel:DWORD
	v_cndmask_b32_e64 v40, 0, 1, s[78:79]
	v_cndmask_b32_e64 v43, 0, 1, s[82:83]
	v_or_b32_sdwa v39, v5, v6 dst_sel:DWORD dst_unused:UNUSED_PAD src0_sel:WORD_0 src1_sel:DWORD
	s_add_i32 s16, s86, 0xd00
	s_and_b64 vcc, exec, s[76:77]
	s_cbranch_vccnz .LBB1392_37
	s_branch .LBB1392_114
.LBB1392_36:
                                        ; implicit-def: $vgpr43
                                        ; implicit-def: $vgpr40
                                        ; implicit-def: $vgpr39
                                        ; implicit-def: $vgpr37
                                        ; implicit-def: $vgpr42
                                        ; implicit-def: $vgpr41
                                        ; implicit-def: $vgpr38
                                        ; implicit-def: $vgpr36
	s_add_i32 s16, s86, 0xd00
	s_cbranch_execz .LBB1392_114
.LBB1392_37:
	v_cmp_gt_u32_e32 vcc, s16, v35
	v_mov_b32_e32 v6, 0
	v_mov_b32_e32 v5, 0
	s_and_saveexec_b64 s[6:7], vcc
	s_cbranch_execz .LBB1392_41
; %bb.38:
	v_add_u32_e32 v5, s37, v23
	v_add_u32_e32 v6, s39, v23
	v_mul_lo_u32 v5, v5, s36
	v_mul_lo_u32 v6, v6, s38
	s_mov_b64 s[10:11], 0
	v_sub_u32_e32 v5, v5, v6
	v_cmp_lt_u32_e32 vcc, s40, v5
	v_cmp_ge_u32_e64 s[4:5], s40, v5
	s_and_saveexec_b64 s[8:9], s[4:5]
	s_cbranch_execz .LBB1392_40
; %bb.39:
	v_add_u32_e32 v5, s42, v23
	v_add_u32_e32 v6, s56, v23
	v_mul_lo_u32 v5, v5, s41
	v_mul_lo_u32 v6, v6, s43
	v_sub_u32_e32 v5, v5, v6
	v_cmp_lt_u32_e64 s[4:5], s57, v5
	s_and_b64 s[10:11], s[4:5], exec
.LBB1392_40:
	s_or_b64 exec, exec, s[8:9]
	v_cndmask_b32_e64 v6, 0, 1, s[10:11]
	v_cndmask_b32_e64 v5, 0, 1, vcc
.LBB1392_41:
	s_or_b64 exec, exec, s[6:7]
	v_lshlrev_b16_e32 v11, 8, v6
	v_add_u32_e32 v6, 1, v35
	v_cmp_le_u32_e32 vcc, s16, v6
	v_lshlrev_b16_e64 v8, 8, 0
                                        ; implicit-def: $vgpr7
                                        ; implicit-def: $vgpr9
                                        ; implicit-def: $vgpr10
                                        ; implicit-def: $vgpr6
                                        ; implicit-def: $vgpr12
	s_and_saveexec_b64 s[4:5], vcc
	s_xor_b64 s[4:5], exec, s[4:5]
; %bb.42:
	v_mov_b32_e32 v6, 8
	v_lshrrev_b32_sdwa v7, v6, v11 dst_sel:BYTE_1 dst_unused:UNUSED_PAD src0_sel:DWORD src1_sel:DWORD
	v_and_b32_e32 v12, 0xff, v5
	v_or_b32_sdwa v5, v11, v7 dst_sel:DWORD dst_unused:UNUSED_PAD src0_sel:BYTE_0 src1_sel:DWORD
	v_mov_b32_e32 v9, 0
	v_lshlrev_b16_e64 v8, 8, 0
	v_lshlrev_b16_e64 v6, 8, 0
	v_and_b32_e32 v10, 0xffff, v5
	v_lshlrev_b16_e64 v7, 8, 0
                                        ; implicit-def: $vgpr5
                                        ; implicit-def: $vgpr11
; %bb.43:
	s_andn2_saveexec_b64 s[6:7], s[4:5]
	s_cbranch_execz .LBB1392_47
; %bb.44:
	v_add_u32_e32 v6, s37, v24
	v_add_u32_e32 v7, s39, v24
	v_mul_lo_u32 v6, v6, s36
	v_mul_lo_u32 v7, v7, s38
	s_mov_b64 s[8:9], 0
	v_sub_u32_e32 v6, v6, v7
	v_cmp_lt_u32_e32 vcc, s40, v6
	v_cmp_ge_u32_e64 s[4:5], s40, v6
	s_and_saveexec_b64 s[10:11], s[4:5]
	s_cbranch_execz .LBB1392_46
; %bb.45:
	v_add_u32_e32 v6, s42, v24
	v_add_u32_e32 v7, s56, v24
	v_mul_lo_u32 v6, v6, s41
	v_mul_lo_u32 v7, v7, s43
	v_sub_u32_e32 v6, v6, v7
	v_cmp_lt_u32_e64 s[4:5], s57, v6
	s_and_b64 s[8:9], s[4:5], exec
.LBB1392_46:
	s_or_b64 exec, exec, s[10:11]
	v_cndmask_b32_e64 v7, 0, 1, vcc
	v_lshlrev_b16_e32 v7, 8, v7
	v_or_b32_sdwa v5, v5, v7 dst_sel:DWORD dst_unused:UNUSED_PAD src0_sel:BYTE_0 src1_sel:DWORD
	v_and_b32_e32 v12, 0xffff, v5
	v_mov_b32_e32 v5, 8
	v_lshrrev_b32_sdwa v5, v5, v11 dst_sel:BYTE_1 dst_unused:UNUSED_PAD src0_sel:DWORD src1_sel:DWORD
	v_or_b32_sdwa v5, v11, v5 dst_sel:DWORD dst_unused:UNUSED_PAD src0_sel:BYTE_0 src1_sel:DWORD
	v_and_b32_e32 v5, 0xffff, v5
	v_cndmask_b32_e64 v7, 0, 1, s[8:9]
	v_mov_b32_e32 v6, 0
	v_mov_b32_e32 v9, 0
	v_lshl_or_b32 v10, v7, 16, v5
	v_lshlrev_b16_e64 v7, 8, 0
.LBB1392_47:
	s_or_b64 exec, exec, s[6:7]
	v_add_u32_e32 v5, 2, v35
	v_cmp_le_u32_e32 vcc, s16, v5
	v_lshrrev_b32_e32 v25, 24, v12
                                        ; implicit-def: $vgpr5
                                        ; implicit-def: $vgpr11
	s_and_saveexec_b64 s[4:5], vcc
	s_xor_b64 s[4:5], exec, s[4:5]
	s_cbranch_execz .LBB1392_49
; %bb.48:
	s_mov_b32 s6, 0x40c0100
	v_perm_b32 v11, v25, v12, s6
	v_mov_b32_e32 v12, 8
	v_lshrrev_b32_sdwa v12, v12, v11 dst_sel:BYTE_1 dst_unused:UNUSED_PAD src0_sel:DWORD src1_sel:DWORD
	v_or_b32_sdwa v12, v11, v12 dst_sel:DWORD dst_unused:UNUSED_PAD src0_sel:BYTE_0 src1_sel:DWORD
	v_and_b32_e32 v12, 0xffff, v12
	s_mov_b32 s6, 0xff000000
	v_and_or_b32 v11, v11, s6, v12
	s_mov_b32 s6, 0x3060504
	v_and_b32_e32 v5, 0xff0000, v10
	v_perm_b32 v8, v8, v8, s6
	s_mov_b32 s6, 0x3020504
	v_perm_b32 v5, v10, v5, s6
                                        ; implicit-def: $vgpr12
                                        ; implicit-def: $vgpr25
                                        ; implicit-def: $vgpr10
.LBB1392_49:
	s_andn2_saveexec_b64 s[6:7], s[4:5]
	s_cbranch_execz .LBB1392_53
; %bb.50:
	v_add_u32_e32 v5, s37, v21
	v_add_u32_e32 v11, s39, v21
	v_mul_lo_u32 v5, v5, s36
	v_mul_lo_u32 v11, v11, s38
	s_mov_b64 s[8:9], 0
	v_sub_u32_e32 v5, v5, v11
	v_cmp_lt_u32_e32 vcc, s40, v5
	v_cmp_ge_u32_e64 s[4:5], s40, v5
	s_and_saveexec_b64 s[10:11], s[4:5]
	s_cbranch_execz .LBB1392_52
; %bb.51:
	v_add_u32_e32 v5, s42, v21
	v_add_u32_e32 v11, s56, v21
	v_mul_lo_u32 v5, v5, s41
	v_mul_lo_u32 v11, v11, s43
	v_sub_u32_e32 v5, v5, v11
	v_cmp_lt_u32_e64 s[4:5], s57, v5
	s_and_b64 s[8:9], s[4:5], exec
.LBB1392_52:
	s_or_b64 exec, exec, s[10:11]
	v_mov_b32_e32 v27, 8
	v_lshrrev_b32_sdwa v11, v27, v12 dst_sel:BYTE_1 dst_unused:UNUSED_PAD src0_sel:DWORD src1_sel:DWORD
	v_cndmask_b32_e64 v5, 0, 1, vcc
	v_or_b32_sdwa v11, v12, v11 dst_sel:DWORD dst_unused:UNUSED_PAD src0_sel:BYTE_0 src1_sel:DWORD
	v_lshlrev_b16_e32 v12, 8, v25
	v_or_b32_sdwa v5, v5, v12 dst_sel:WORD_1 dst_unused:UNUSED_PAD src0_sel:DWORD src1_sel:DWORD
	v_cndmask_b32_e64 v26, 0, 1, s[8:9]
	s_movk_i32 s4, 0xff
	v_or_b32_sdwa v11, v11, v5 dst_sel:DWORD dst_unused:UNUSED_PAD src0_sel:WORD_0 src1_sel:DWORD
	v_lshrrev_b32_sdwa v5, v27, v10 dst_sel:BYTE_1 dst_unused:UNUSED_PAD src0_sel:DWORD src1_sel:DWORD
	v_or_b32_sdwa v5, v10, v5 dst_sel:DWORD dst_unused:UNUSED_PAD src0_sel:BYTE_0 src1_sel:DWORD
	v_lshlrev_b16_e32 v12, 8, v26
	v_and_b32_sdwa v10, v10, s4 dst_sel:DWORD dst_unused:UNUSED_PAD src0_sel:WORD_1 src1_sel:DWORD
	v_or_b32_sdwa v10, v10, v12 dst_sel:WORD_1 dst_unused:UNUSED_PAD src0_sel:DWORD src1_sel:DWORD
	v_or_b32_sdwa v5, v5, v10 dst_sel:DWORD dst_unused:UNUSED_PAD src0_sel:WORD_0 src1_sel:DWORD
.LBB1392_53:
	s_or_b64 exec, exec, s[6:7]
	v_add_u32_e32 v10, 3, v35
	v_cmp_le_u32_e32 vcc, s16, v10
	v_lshrrev_b32_e32 v12, 24, v9
                                        ; implicit-def: $vgpr10
                                        ; implicit-def: $vgpr36
	s_and_saveexec_b64 s[4:5], vcc
	s_xor_b64 s[4:5], exec, s[4:5]
	s_cbranch_execz .LBB1392_55
; %bb.54:
	v_and_b32_e32 v10, 0xff0000, v11
	s_mov_b32 s6, 0x3020504
	s_movk_i32 s7, 0xff
	v_perm_b32 v36, v11, v10, s6
	v_lshlrev_b16_e32 v10, 8, v12
	v_and_b32_sdwa v11, v9, s7 dst_sel:DWORD dst_unused:UNUSED_PAD src0_sel:WORD_1 src1_sel:DWORD
	s_mov_b32 s6, 0x3060504
	v_or_b32_sdwa v10, v11, v10 dst_sel:WORD_1 dst_unused:UNUSED_PAD src0_sel:DWORD src1_sel:DWORD
	v_mov_b32_e32 v11, 8
	v_perm_b32 v8, v8, v8, s6
	v_lshrrev_b32_sdwa v10, v11, v9 dst_sel:BYTE_1 dst_unused:UNUSED_PRESERVE src0_sel:DWORD src1_sel:DWORD
	v_perm_b32 v7, v7, v7, s6
                                        ; implicit-def: $vgpr11
                                        ; implicit-def: $vgpr12
                                        ; implicit-def: $vgpr9
.LBB1392_55:
	s_andn2_saveexec_b64 s[6:7], s[4:5]
	s_cbranch_execz .LBB1392_59
; %bb.56:
	v_add_u32_e32 v10, s37, v22
	v_add_u32_e32 v25, s39, v22
	v_mul_lo_u32 v10, v10, s36
	v_mul_lo_u32 v25, v25, s38
	s_mov_b64 s[8:9], 0
	v_sub_u32_e32 v10, v10, v25
	v_cmp_lt_u32_e32 vcc, s40, v10
	v_cmp_ge_u32_e64 s[4:5], s40, v10
	s_and_saveexec_b64 s[10:11], s[4:5]
	s_cbranch_execz .LBB1392_58
; %bb.57:
	v_add_u32_e32 v10, s42, v22
	v_add_u32_e32 v25, s56, v22
	v_mul_lo_u32 v10, v10, s41
	v_mul_lo_u32 v25, v25, s43
	v_sub_u32_e32 v10, v10, v25
	v_cmp_lt_u32_e64 s[4:5], s57, v10
	s_and_b64 s[8:9], s[4:5], exec
.LBB1392_58:
	s_or_b64 exec, exec, s[10:11]
	v_mov_b32_e32 v26, 8
	v_cndmask_b32_e64 v10, 0, 1, vcc
	s_movk_i32 s4, 0xff
	v_lshrrev_b32_sdwa v27, v26, v11 dst_sel:BYTE_1 dst_unused:UNUSED_PAD src0_sel:DWORD src1_sel:DWORD
	v_or_b32_sdwa v27, v11, v27 dst_sel:DWORD dst_unused:UNUSED_PAD src0_sel:BYTE_0 src1_sel:DWORD
	v_lshlrev_b16_e32 v10, 8, v10
	v_and_b32_sdwa v11, v11, s4 dst_sel:DWORD dst_unused:UNUSED_PAD src0_sel:WORD_1 src1_sel:DWORD
	v_or_b32_sdwa v10, v11, v10 dst_sel:WORD_1 dst_unused:UNUSED_PAD src0_sel:DWORD src1_sel:DWORD
	v_cndmask_b32_e64 v25, 0, 1, s[8:9]
	v_or_b32_sdwa v36, v27, v10 dst_sel:DWORD dst_unused:UNUSED_PAD src0_sel:WORD_0 src1_sel:DWORD
	v_lshlrev_b16_e32 v10, 8, v12
	v_and_b32_sdwa v11, v9, s4 dst_sel:DWORD dst_unused:UNUSED_PAD src0_sel:WORD_1 src1_sel:DWORD
	v_lshrrev_b32_sdwa v9, v26, v9 dst_sel:BYTE_1 dst_unused:UNUSED_PAD src0_sel:DWORD src1_sel:DWORD
	v_or_b32_sdwa v10, v11, v10 dst_sel:WORD_1 dst_unused:UNUSED_PAD src0_sel:DWORD src1_sel:DWORD
	v_or_b32_e32 v9, v25, v9
	v_or_b32_sdwa v10, v9, v10 dst_sel:DWORD dst_unused:UNUSED_PAD src0_sel:WORD_0 src1_sel:DWORD
.LBB1392_59:
	s_or_b64 exec, exec, s[6:7]
	v_add_u32_e32 v9, 4, v35
	v_cmp_le_u32_e32 vcc, s16, v9
	v_lshrrev_b32_e32 v25, 24, v8
	v_lshrrev_b32_e32 v12, 24, v10
                                        ; implicit-def: $vgpr11
                                        ; implicit-def: $vgpr9
	s_and_saveexec_b64 s[4:5], vcc
	s_xor_b64 s[4:5], exec, s[4:5]
	s_cbranch_execz .LBB1392_61
; %bb.60:
	s_movk_i32 s6, 0xff
	v_lshlrev_b16_e32 v9, 8, v25
	v_and_b32_sdwa v25, v8, s6 dst_sel:DWORD dst_unused:UNUSED_PAD src0_sel:WORD_1 src1_sel:DWORD
	v_mov_b32_e32 v11, 8
	v_or_b32_sdwa v9, v25, v9 dst_sel:WORD_1 dst_unused:UNUSED_PAD src0_sel:DWORD src1_sel:DWORD
	v_lshrrev_b32_sdwa v9, v11, v8 dst_sel:BYTE_1 dst_unused:UNUSED_PRESERVE src0_sel:DWORD src1_sel:DWORD
	v_lshlrev_b16_e32 v8, 8, v12
	v_and_b32_sdwa v11, v10, s6 dst_sel:DWORD dst_unused:UNUSED_PAD src0_sel:WORD_1 src1_sel:DWORD
	v_or_b32_e32 v8, v11, v8
	s_mov_b32 s6, 0x5040c00
	v_perm_b32 v11, v8, v10, s6
	s_mov_b32 s6, 0x3060504
	v_perm_b32 v7, v7, v7, s6
                                        ; implicit-def: $vgpr25
                                        ; implicit-def: $vgpr8
                                        ; implicit-def: $vgpr10
                                        ; implicit-def: $vgpr12
.LBB1392_61:
	s_andn2_saveexec_b64 s[6:7], s[4:5]
	s_cbranch_execz .LBB1392_65
; %bb.62:
	v_add_u32_e32 v9, s37, v19
	v_add_u32_e32 v11, s39, v19
	v_mul_lo_u32 v9, v9, s36
	v_mul_lo_u32 v11, v11, s38
	s_mov_b64 s[8:9], 0
	v_sub_u32_e32 v9, v9, v11
	v_cmp_lt_u32_e32 vcc, s40, v9
	v_cmp_ge_u32_e64 s[4:5], s40, v9
	s_and_saveexec_b64 s[10:11], s[4:5]
	s_cbranch_execz .LBB1392_64
; %bb.63:
	v_add_u32_e32 v9, s42, v19
	v_add_u32_e32 v11, s56, v19
	v_mul_lo_u32 v9, v9, s41
	v_mul_lo_u32 v11, v11, s43
	v_sub_u32_e32 v9, v9, v11
	v_cmp_lt_u32_e64 s[4:5], s57, v9
	s_and_b64 s[8:9], s[4:5], exec
.LBB1392_64:
	s_or_b64 exec, exec, s[10:11]
	s_movk_i32 s4, 0xff
	v_lshlrev_b16_e32 v25, 8, v25
	v_and_b32_sdwa v26, v8, s4 dst_sel:DWORD dst_unused:UNUSED_PAD src0_sel:WORD_1 src1_sel:DWORD
	v_or_b32_sdwa v25, v26, v25 dst_sel:WORD_1 dst_unused:UNUSED_PAD src0_sel:DWORD src1_sel:DWORD
	v_mov_b32_e32 v26, 8
	v_cndmask_b32_e64 v9, 0, 1, vcc
	v_lshrrev_b32_sdwa v8, v26, v8 dst_sel:BYTE_1 dst_unused:UNUSED_PAD src0_sel:DWORD src1_sel:DWORD
	v_cndmask_b32_e64 v11, 0, 1, s[8:9]
	v_or_b32_e32 v8, v9, v8
	v_or_b32_sdwa v9, v8, v25 dst_sel:DWORD dst_unused:UNUSED_PAD src0_sel:WORD_0 src1_sel:DWORD
	v_lshlrev_b16_e32 v8, 8, v11
	v_or_b32_sdwa v8, v10, v8 dst_sel:DWORD dst_unused:UNUSED_PAD src0_sel:BYTE_0 src1_sel:DWORD
	v_lshlrev_b16_e32 v11, 8, v12
	v_and_b32_sdwa v10, v10, s4 dst_sel:DWORD dst_unused:UNUSED_PAD src0_sel:WORD_1 src1_sel:DWORD
	v_or_b32_sdwa v10, v10, v11 dst_sel:WORD_1 dst_unused:UNUSED_PAD src0_sel:DWORD src1_sel:DWORD
	v_or_b32_sdwa v11, v8, v10 dst_sel:DWORD dst_unused:UNUSED_PAD src0_sel:WORD_0 src1_sel:DWORD
.LBB1392_65:
	s_or_b64 exec, exec, s[6:7]
	v_add_u32_e32 v8, 5, v35
	v_cmp_le_u32_e32 vcc, s16, v8
	v_lshrrev_b32_e32 v12, 24, v11
	v_lshrrev_b32_e32 v25, 24, v9
                                        ; implicit-def: $vgpr8
                                        ; implicit-def: $vgpr10
	s_and_saveexec_b64 s[4:5], vcc
	s_xor_b64 s[4:5], exec, s[4:5]
	s_cbranch_execz .LBB1392_67
; %bb.66:
	s_mov_b32 s6, 0x40c0100
	v_perm_b32 v8, v12, v11, s6
	s_movk_i32 s6, 0xff
	v_lshlrev_b16_e32 v10, 8, v25
	v_and_b32_sdwa v11, v9, s6 dst_sel:DWORD dst_unused:UNUSED_PAD src0_sel:WORD_1 src1_sel:DWORD
	v_or_b32_e32 v10, v11, v10
	s_mov_b32 s6, 0x5040c00
	v_perm_b32 v10, v10, v9, s6
	v_mov_b32_e32 v9, 8
	v_lshrrev_b32_sdwa v9, v9, v8 dst_sel:BYTE_1 dst_unused:UNUSED_PAD src0_sel:DWORD src1_sel:DWORD
	v_or_b32_sdwa v9, v8, v9 dst_sel:DWORD dst_unused:UNUSED_PAD src0_sel:BYTE_0 src1_sel:DWORD
	v_and_b32_e32 v9, 0xffff, v9
	s_mov_b32 s6, 0xff000000
	v_and_or_b32 v8, v8, s6, v9
	s_mov_b32 s6, 0x3060504
	v_perm_b32 v7, v7, v7, s6
                                        ; implicit-def: $vgpr9
                                        ; implicit-def: $vgpr25
                                        ; implicit-def: $vgpr11
                                        ; implicit-def: $vgpr12
.LBB1392_67:
	s_andn2_saveexec_b64 s[6:7], s[4:5]
	s_cbranch_execz .LBB1392_71
; %bb.68:
	v_add_u32_e32 v8, s37, v20
	v_add_u32_e32 v10, s39, v20
	v_mul_lo_u32 v8, v8, s36
	v_mul_lo_u32 v10, v10, s38
	s_mov_b64 s[8:9], 0
	v_sub_u32_e32 v8, v8, v10
	v_cmp_lt_u32_e32 vcc, s40, v8
	v_cmp_ge_u32_e64 s[4:5], s40, v8
	s_and_saveexec_b64 s[10:11], s[4:5]
	s_cbranch_execz .LBB1392_70
; %bb.69:
	v_add_u32_e32 v8, s42, v20
	v_add_u32_e32 v10, s56, v20
	v_mul_lo_u32 v8, v8, s41
	v_mul_lo_u32 v10, v10, s43
	v_sub_u32_e32 v8, v8, v10
	v_cmp_lt_u32_e64 s[4:5], s57, v8
	s_and_b64 s[8:9], s[4:5], exec
.LBB1392_70:
	s_or_b64 exec, exec, s[10:11]
	v_cndmask_b32_e64 v8, 0, 1, vcc
	v_lshlrev_b16_e32 v8, 8, v8
	s_movk_i32 s4, 0xff
	v_or_b32_sdwa v8, v9, v8 dst_sel:DWORD dst_unused:UNUSED_PAD src0_sel:BYTE_0 src1_sel:DWORD
	v_lshlrev_b16_e32 v10, 8, v25
	v_and_b32_sdwa v9, v9, s4 dst_sel:DWORD dst_unused:UNUSED_PAD src0_sel:WORD_1 src1_sel:DWORD
	v_or_b32_sdwa v9, v9, v10 dst_sel:WORD_1 dst_unused:UNUSED_PAD src0_sel:DWORD src1_sel:DWORD
	v_or_b32_sdwa v10, v8, v9 dst_sel:DWORD dst_unused:UNUSED_PAD src0_sel:WORD_0 src1_sel:DWORD
	v_mov_b32_e32 v8, 8
	v_cndmask_b32_e64 v26, 0, 1, s[8:9]
	v_lshrrev_b32_sdwa v8, v8, v11 dst_sel:BYTE_1 dst_unused:UNUSED_PAD src0_sel:DWORD src1_sel:DWORD
	v_lshlrev_b16_e32 v9, 8, v12
	v_or_b32_sdwa v8, v11, v8 dst_sel:DWORD dst_unused:UNUSED_PAD src0_sel:BYTE_0 src1_sel:DWORD
	v_or_b32_sdwa v9, v26, v9 dst_sel:WORD_1 dst_unused:UNUSED_PAD src0_sel:DWORD src1_sel:DWORD
	v_or_b32_sdwa v8, v8, v9 dst_sel:DWORD dst_unused:UNUSED_PAD src0_sel:WORD_0 src1_sel:DWORD
.LBB1392_71:
	s_or_b64 exec, exec, s[6:7]
	v_add_u32_e32 v9, 6, v35
	v_cmp_le_u32_e32 vcc, s16, v9
	v_lshrrev_b32_e32 v11, 24, v10
                                        ; implicit-def: $vgpr37
                                        ; implicit-def: $vgpr9
	s_and_saveexec_b64 s[4:5], vcc
	s_xor_b64 s[4:5], exec, s[4:5]
	s_cbranch_execz .LBB1392_73
; %bb.72:
	s_mov_b32 s6, 0x40c0100
	v_perm_b32 v9, v11, v10, s6
	v_mov_b32_e32 v10, 8
	v_lshrrev_b32_sdwa v10, v10, v9 dst_sel:BYTE_1 dst_unused:UNUSED_PAD src0_sel:DWORD src1_sel:DWORD
	v_or_b32_sdwa v10, v9, v10 dst_sel:DWORD dst_unused:UNUSED_PAD src0_sel:BYTE_0 src1_sel:DWORD
	v_and_b32_e32 v10, 0xffff, v10
	s_mov_b32 s6, 0xff000000
	v_and_b32_e32 v12, 0xff0000, v8
	v_and_or_b32 v9, v9, s6, v10
	s_mov_b32 s6, 0x3020504
	v_perm_b32 v37, v8, v12, s6
	s_mov_b32 s6, 0x3060504
	v_perm_b32 v7, v7, v7, s6
                                        ; implicit-def: $vgpr10
                                        ; implicit-def: $vgpr11
                                        ; implicit-def: $vgpr8
.LBB1392_73:
	s_andn2_saveexec_b64 s[6:7], s[4:5]
	s_cbranch_execz .LBB1392_77
; %bb.74:
	v_add_u32_e32 v9, s37, v17
	v_add_u32_e32 v12, s39, v17
	v_mul_lo_u32 v9, v9, s36
	v_mul_lo_u32 v12, v12, s38
	s_mov_b64 s[8:9], 0
	v_sub_u32_e32 v9, v9, v12
	v_cmp_lt_u32_e32 vcc, s40, v9
	v_cmp_ge_u32_e64 s[4:5], s40, v9
	s_and_saveexec_b64 s[10:11], s[4:5]
	s_cbranch_execz .LBB1392_76
; %bb.75:
	v_add_u32_e32 v9, s42, v17
	v_add_u32_e32 v12, s56, v17
	v_mul_lo_u32 v9, v9, s41
	v_mul_lo_u32 v12, v12, s43
	v_sub_u32_e32 v9, v9, v12
	v_cmp_lt_u32_e64 s[4:5], s57, v9
	s_and_b64 s[8:9], s[4:5], exec
.LBB1392_76:
	s_or_b64 exec, exec, s[10:11]
	v_mov_b32_e32 v25, 8
	v_cndmask_b32_e64 v9, 0, 1, vcc
	v_lshrrev_b32_sdwa v26, v25, v10 dst_sel:BYTE_1 dst_unused:UNUSED_PAD src0_sel:DWORD src1_sel:DWORD
	v_lshlrev_b16_e32 v11, 8, v11
	v_or_b32_sdwa v10, v10, v26 dst_sel:DWORD dst_unused:UNUSED_PAD src0_sel:BYTE_0 src1_sel:DWORD
	v_or_b32_sdwa v9, v9, v11 dst_sel:WORD_1 dst_unused:UNUSED_PAD src0_sel:DWORD src1_sel:DWORD
	v_cndmask_b32_e64 v12, 0, 1, s[8:9]
	s_movk_i32 s4, 0xff
	v_or_b32_sdwa v9, v10, v9 dst_sel:DWORD dst_unused:UNUSED_PAD src0_sel:WORD_0 src1_sel:DWORD
	v_lshrrev_b32_sdwa v10, v25, v8 dst_sel:BYTE_1 dst_unused:UNUSED_PAD src0_sel:DWORD src1_sel:DWORD
	v_or_b32_sdwa v10, v8, v10 dst_sel:DWORD dst_unused:UNUSED_PAD src0_sel:BYTE_0 src1_sel:DWORD
	v_lshlrev_b16_e32 v11, 8, v12
	v_and_b32_sdwa v8, v8, s4 dst_sel:DWORD dst_unused:UNUSED_PAD src0_sel:WORD_1 src1_sel:DWORD
	v_or_b32_sdwa v8, v8, v11 dst_sel:WORD_1 dst_unused:UNUSED_PAD src0_sel:DWORD src1_sel:DWORD
	v_or_b32_sdwa v37, v10, v8 dst_sel:DWORD dst_unused:UNUSED_PAD src0_sel:WORD_0 src1_sel:DWORD
.LBB1392_77:
	s_or_b64 exec, exec, s[6:7]
	v_add_u32_e32 v8, 7, v35
	v_cmp_le_u32_e32 vcc, s16, v8
	v_lshrrev_b32_e32 v10, 24, v7
                                        ; implicit-def: $vgpr8
                                        ; implicit-def: $vgpr38
	s_and_saveexec_b64 s[4:5], vcc
	s_xor_b64 s[4:5], exec, s[4:5]
; %bb.78:
	v_and_b32_e32 v8, 0xff0000, v9
	s_mov_b32 s6, 0x3020504
	v_perm_b32 v38, v9, v8, s6
	s_movk_i32 s6, 0xff
	v_lshlrev_b16_e32 v8, 8, v10
	v_and_b32_sdwa v9, v7, s6 dst_sel:DWORD dst_unused:UNUSED_PAD src0_sel:WORD_1 src1_sel:DWORD
	v_mov_b32_e32 v11, 8
	v_or_b32_sdwa v8, v9, v8 dst_sel:WORD_1 dst_unused:UNUSED_PAD src0_sel:DWORD src1_sel:DWORD
	v_lshrrev_b32_sdwa v8, v11, v7 dst_sel:BYTE_1 dst_unused:UNUSED_PRESERVE src0_sel:DWORD src1_sel:DWORD
                                        ; implicit-def: $vgpr9
                                        ; implicit-def: $vgpr10
                                        ; implicit-def: $vgpr7
; %bb.79:
	s_andn2_saveexec_b64 s[6:7], s[4:5]
	s_cbranch_execz .LBB1392_83
; %bb.80:
	v_add_u32_e32 v8, s37, v18
	v_add_u32_e32 v11, s39, v18
	v_mul_lo_u32 v8, v8, s36
	v_mul_lo_u32 v11, v11, s38
	s_mov_b64 s[8:9], 0
	v_sub_u32_e32 v8, v8, v11
	v_cmp_lt_u32_e32 vcc, s40, v8
	v_cmp_ge_u32_e64 s[4:5], s40, v8
	s_and_saveexec_b64 s[10:11], s[4:5]
	s_cbranch_execz .LBB1392_82
; %bb.81:
	v_add_u32_e32 v8, s42, v18
	v_add_u32_e32 v11, s56, v18
	v_mul_lo_u32 v8, v8, s41
	v_mul_lo_u32 v11, v11, s43
	v_sub_u32_e32 v8, v8, v11
	v_cmp_lt_u32_e64 s[4:5], s57, v8
	s_and_b64 s[8:9], s[4:5], exec
.LBB1392_82:
	s_or_b64 exec, exec, s[10:11]
	v_mov_b32_e32 v12, 8
	v_cndmask_b32_e64 v8, 0, 1, vcc
	s_movk_i32 s4, 0xff
	v_lshrrev_b32_sdwa v25, v12, v9 dst_sel:BYTE_1 dst_unused:UNUSED_PAD src0_sel:DWORD src1_sel:DWORD
	v_or_b32_sdwa v25, v9, v25 dst_sel:DWORD dst_unused:UNUSED_PAD src0_sel:BYTE_0 src1_sel:DWORD
	v_lshlrev_b16_e32 v8, 8, v8
	v_and_b32_sdwa v9, v9, s4 dst_sel:DWORD dst_unused:UNUSED_PAD src0_sel:WORD_1 src1_sel:DWORD
	v_or_b32_sdwa v8, v9, v8 dst_sel:WORD_1 dst_unused:UNUSED_PAD src0_sel:DWORD src1_sel:DWORD
	v_cndmask_b32_e64 v11, 0, 1, s[8:9]
	v_or_b32_sdwa v38, v25, v8 dst_sel:DWORD dst_unused:UNUSED_PAD src0_sel:WORD_0 src1_sel:DWORD
	v_lshlrev_b16_e32 v8, 8, v10
	v_and_b32_sdwa v9, v7, s4 dst_sel:DWORD dst_unused:UNUSED_PAD src0_sel:WORD_1 src1_sel:DWORD
	v_lshrrev_b32_sdwa v7, v12, v7 dst_sel:BYTE_1 dst_unused:UNUSED_PAD src0_sel:DWORD src1_sel:DWORD
	v_or_b32_sdwa v8, v9, v8 dst_sel:WORD_1 dst_unused:UNUSED_PAD src0_sel:DWORD src1_sel:DWORD
	v_or_b32_e32 v7, v11, v7
	v_or_b32_sdwa v8, v7, v8 dst_sel:DWORD dst_unused:UNUSED_PAD src0_sel:WORD_0 src1_sel:DWORD
.LBB1392_83:
	s_or_b64 exec, exec, s[6:7]
	v_add_u32_e32 v7, 8, v35
	v_cmp_le_u32_e32 vcc, s16, v7
	v_lshrrev_b32_e32 v10, 24, v8
	v_lshrrev_b32_e32 v11, 24, v6
                                        ; implicit-def: $vgpr9
                                        ; implicit-def: $vgpr7
	s_and_saveexec_b64 s[4:5], vcc
	s_xor_b64 s[4:5], exec, s[4:5]
	s_cbranch_execz .LBB1392_85
; %bb.84:
	s_movk_i32 s6, 0xff
	v_lshlrev_b16_e32 v7, 8, v11
	v_and_b32_sdwa v9, v6, s6 dst_sel:DWORD dst_unused:UNUSED_PAD src0_sel:WORD_1 src1_sel:DWORD
	v_or_b32_sdwa v7, v9, v7 dst_sel:WORD_1 dst_unused:UNUSED_PAD src0_sel:DWORD src1_sel:DWORD
	v_mov_b32_e32 v9, 8
	v_lshrrev_b32_sdwa v7, v9, v6 dst_sel:BYTE_1 dst_unused:UNUSED_PRESERVE src0_sel:DWORD src1_sel:DWORD
	v_lshlrev_b16_e32 v6, 8, v10
	v_and_b32_sdwa v9, v8, s6 dst_sel:DWORD dst_unused:UNUSED_PAD src0_sel:WORD_1 src1_sel:DWORD
	s_mov_b32 s7, 0x3060504
	v_or_b32_e32 v6, v9, v6
	s_mov_b32 s6, 0x5040c00
	v_perm_b32 v5, v5, v5, s7
	v_perm_b32 v9, v6, v8, s6
                                        ; implicit-def: $vgpr11
                                        ; implicit-def: $vgpr6
                                        ; implicit-def: $vgpr8
                                        ; implicit-def: $vgpr10
.LBB1392_85:
	s_andn2_saveexec_b64 s[6:7], s[4:5]
	s_cbranch_execz .LBB1392_89
; %bb.86:
	v_add_u32_e32 v7, s37, v15
	v_add_u32_e32 v9, s39, v15
	v_mul_lo_u32 v7, v7, s36
	v_mul_lo_u32 v9, v9, s38
	s_mov_b64 s[8:9], 0
	v_sub_u32_e32 v7, v7, v9
	v_cmp_lt_u32_e32 vcc, s40, v7
	v_cmp_ge_u32_e64 s[4:5], s40, v7
	s_and_saveexec_b64 s[10:11], s[4:5]
	s_cbranch_execz .LBB1392_88
; %bb.87:
	v_add_u32_e32 v7, s42, v15
	v_add_u32_e32 v9, s56, v15
	v_mul_lo_u32 v7, v7, s41
	v_mul_lo_u32 v9, v9, s43
	v_sub_u32_e32 v7, v7, v9
	v_cmp_lt_u32_e64 s[4:5], s57, v7
	s_and_b64 s[8:9], s[4:5], exec
.LBB1392_88:
	s_or_b64 exec, exec, s[10:11]
	s_movk_i32 s4, 0xff
	v_lshlrev_b16_e32 v11, 8, v11
	v_and_b32_sdwa v12, v6, s4 dst_sel:DWORD dst_unused:UNUSED_PAD src0_sel:WORD_1 src1_sel:DWORD
	v_or_b32_sdwa v11, v12, v11 dst_sel:WORD_1 dst_unused:UNUSED_PAD src0_sel:DWORD src1_sel:DWORD
	v_mov_b32_e32 v12, 8
	v_cndmask_b32_e64 v7, 0, 1, vcc
	v_lshrrev_b32_sdwa v6, v12, v6 dst_sel:BYTE_1 dst_unused:UNUSED_PAD src0_sel:DWORD src1_sel:DWORD
	v_cndmask_b32_e64 v9, 0, 1, s[8:9]
	v_or_b32_e32 v6, v7, v6
	v_or_b32_sdwa v7, v6, v11 dst_sel:DWORD dst_unused:UNUSED_PAD src0_sel:WORD_0 src1_sel:DWORD
	v_lshlrev_b16_e32 v6, 8, v9
	v_or_b32_sdwa v6, v8, v6 dst_sel:DWORD dst_unused:UNUSED_PAD src0_sel:BYTE_0 src1_sel:DWORD
	v_lshlrev_b16_e32 v9, 8, v10
	v_and_b32_sdwa v8, v8, s4 dst_sel:DWORD dst_unused:UNUSED_PAD src0_sel:WORD_1 src1_sel:DWORD
	v_or_b32_sdwa v8, v8, v9 dst_sel:WORD_1 dst_unused:UNUSED_PAD src0_sel:DWORD src1_sel:DWORD
	v_or_b32_sdwa v9, v6, v8 dst_sel:DWORD dst_unused:UNUSED_PAD src0_sel:WORD_0 src1_sel:DWORD
.LBB1392_89:
	s_or_b64 exec, exec, s[6:7]
	v_add_u32_e32 v6, 9, v35
	v_cmp_le_u32_e32 vcc, s16, v6
	v_lshrrev_b32_e32 v10, 24, v9
	v_lshrrev_b32_e32 v11, 24, v7
                                        ; implicit-def: $vgpr6
                                        ; implicit-def: $vgpr8
	s_and_saveexec_b64 s[4:5], vcc
	s_xor_b64 s[4:5], exec, s[4:5]
	s_cbranch_execz .LBB1392_91
; %bb.90:
	s_mov_b32 s6, 0x40c0100
	v_perm_b32 v6, v10, v9, s6
	v_mov_b32_e32 v8, 8
	s_movk_i32 s6, 0xff
	v_lshrrev_b32_sdwa v9, v8, v6 dst_sel:BYTE_1 dst_unused:UNUSED_PAD src0_sel:DWORD src1_sel:DWORD
	v_lshlrev_b16_e32 v8, 8, v11
	v_and_b32_sdwa v10, v7, s6 dst_sel:DWORD dst_unused:UNUSED_PAD src0_sel:WORD_1 src1_sel:DWORD
	v_or_b32_e32 v8, v10, v8
	s_mov_b32 s6, 0x5040c00
	v_perm_b32 v8, v8, v7, s6
	s_mov_b32 s6, 0x3060504
	v_or_b32_sdwa v7, v6, v9 dst_sel:DWORD dst_unused:UNUSED_PAD src0_sel:BYTE_0 src1_sel:DWORD
	v_perm_b32 v5, v5, v5, s6
	v_and_b32_e32 v7, 0xffff, v7
	s_mov_b32 s6, 0xff000000
	v_and_or_b32 v6, v6, s6, v7
                                        ; implicit-def: $vgpr7
                                        ; implicit-def: $vgpr11
                                        ; implicit-def: $vgpr9
                                        ; implicit-def: $vgpr10
.LBB1392_91:
	s_andn2_saveexec_b64 s[6:7], s[4:5]
	s_cbranch_execz .LBB1392_95
; %bb.92:
	v_add_u32_e32 v6, s37, v16
	v_add_u32_e32 v8, s39, v16
	v_mul_lo_u32 v6, v6, s36
	v_mul_lo_u32 v8, v8, s38
	s_mov_b64 s[8:9], 0
	v_sub_u32_e32 v6, v6, v8
	v_cmp_lt_u32_e32 vcc, s40, v6
	v_cmp_ge_u32_e64 s[4:5], s40, v6
	s_and_saveexec_b64 s[10:11], s[4:5]
	s_cbranch_execz .LBB1392_94
; %bb.93:
	v_add_u32_e32 v6, s42, v16
	v_add_u32_e32 v8, s56, v16
	v_mul_lo_u32 v6, v6, s41
	v_mul_lo_u32 v8, v8, s43
	v_sub_u32_e32 v6, v6, v8
	v_cmp_lt_u32_e64 s[4:5], s57, v6
	s_and_b64 s[8:9], s[4:5], exec
.LBB1392_94:
	s_or_b64 exec, exec, s[10:11]
	v_cndmask_b32_e64 v6, 0, 1, vcc
	v_lshlrev_b16_e32 v6, 8, v6
	s_movk_i32 s4, 0xff
	v_or_b32_sdwa v6, v7, v6 dst_sel:DWORD dst_unused:UNUSED_PAD src0_sel:BYTE_0 src1_sel:DWORD
	v_lshlrev_b16_e32 v8, 8, v11
	v_and_b32_sdwa v7, v7, s4 dst_sel:DWORD dst_unused:UNUSED_PAD src0_sel:WORD_1 src1_sel:DWORD
	v_or_b32_sdwa v7, v7, v8 dst_sel:WORD_1 dst_unused:UNUSED_PAD src0_sel:DWORD src1_sel:DWORD
	v_or_b32_sdwa v8, v6, v7 dst_sel:DWORD dst_unused:UNUSED_PAD src0_sel:WORD_0 src1_sel:DWORD
	v_mov_b32_e32 v6, 8
	v_cndmask_b32_e64 v12, 0, 1, s[8:9]
	v_lshrrev_b32_sdwa v6, v6, v9 dst_sel:BYTE_1 dst_unused:UNUSED_PAD src0_sel:DWORD src1_sel:DWORD
	v_lshlrev_b16_e32 v7, 8, v10
	v_or_b32_sdwa v6, v9, v6 dst_sel:DWORD dst_unused:UNUSED_PAD src0_sel:BYTE_0 src1_sel:DWORD
	v_or_b32_sdwa v7, v12, v7 dst_sel:WORD_1 dst_unused:UNUSED_PAD src0_sel:DWORD src1_sel:DWORD
	v_or_b32_sdwa v6, v6, v7 dst_sel:DWORD dst_unused:UNUSED_PAD src0_sel:WORD_0 src1_sel:DWORD
.LBB1392_95:
	s_or_b64 exec, exec, s[6:7]
	v_add_u32_e32 v7, 10, v35
	v_cmp_le_u32_e32 vcc, s16, v7
	v_lshrrev_b32_e32 v9, 24, v8
                                        ; implicit-def: $vgpr39
                                        ; implicit-def: $vgpr7
	s_and_saveexec_b64 s[4:5], vcc
	s_xor_b64 s[4:5], exec, s[4:5]
	s_cbranch_execz .LBB1392_97
; %bb.96:
	s_mov_b32 s6, 0x40c0100
	v_perm_b32 v7, v9, v8, s6
	v_mov_b32_e32 v8, 8
	v_lshrrev_b32_sdwa v8, v8, v7 dst_sel:BYTE_1 dst_unused:UNUSED_PAD src0_sel:DWORD src1_sel:DWORD
	v_or_b32_sdwa v8, v7, v8 dst_sel:DWORD dst_unused:UNUSED_PAD src0_sel:BYTE_0 src1_sel:DWORD
	v_and_b32_e32 v8, 0xffff, v8
	s_mov_b32 s6, 0xff000000
	v_and_or_b32 v7, v7, s6, v8
	s_mov_b32 s6, 0x3060504
	v_and_b32_e32 v10, 0xff0000, v6
	v_perm_b32 v5, v5, v5, s6
	s_mov_b32 s6, 0x3020504
	v_perm_b32 v39, v6, v10, s6
                                        ; implicit-def: $vgpr8
                                        ; implicit-def: $vgpr9
                                        ; implicit-def: $vgpr6
.LBB1392_97:
	s_andn2_saveexec_b64 s[6:7], s[4:5]
	s_cbranch_execz .LBB1392_101
; %bb.98:
	v_add_u32_e32 v7, s37, v13
	v_add_u32_e32 v10, s39, v13
	v_mul_lo_u32 v7, v7, s36
	v_mul_lo_u32 v10, v10, s38
	s_mov_b64 s[8:9], 0
	v_sub_u32_e32 v7, v7, v10
	v_cmp_lt_u32_e32 vcc, s40, v7
	v_cmp_ge_u32_e64 s[4:5], s40, v7
	s_and_saveexec_b64 s[10:11], s[4:5]
	s_cbranch_execz .LBB1392_100
; %bb.99:
	v_add_u32_e32 v7, s42, v13
	v_add_u32_e32 v10, s56, v13
	v_mul_lo_u32 v7, v7, s41
	v_mul_lo_u32 v10, v10, s43
	v_sub_u32_e32 v7, v7, v10
	v_cmp_lt_u32_e64 s[4:5], s57, v7
	s_and_b64 s[8:9], s[4:5], exec
.LBB1392_100:
	s_or_b64 exec, exec, s[10:11]
	v_mov_b32_e32 v11, 8
	v_cndmask_b32_e64 v7, 0, 1, vcc
	v_lshrrev_b32_sdwa v12, v11, v8 dst_sel:BYTE_1 dst_unused:UNUSED_PAD src0_sel:DWORD src1_sel:DWORD
	v_lshlrev_b16_e32 v9, 8, v9
	v_or_b32_sdwa v8, v8, v12 dst_sel:DWORD dst_unused:UNUSED_PAD src0_sel:BYTE_0 src1_sel:DWORD
	v_or_b32_sdwa v7, v7, v9 dst_sel:WORD_1 dst_unused:UNUSED_PAD src0_sel:DWORD src1_sel:DWORD
	v_cndmask_b32_e64 v10, 0, 1, s[8:9]
	s_movk_i32 s4, 0xff
	v_or_b32_sdwa v7, v8, v7 dst_sel:DWORD dst_unused:UNUSED_PAD src0_sel:WORD_0 src1_sel:DWORD
	v_lshrrev_b32_sdwa v8, v11, v6 dst_sel:BYTE_1 dst_unused:UNUSED_PAD src0_sel:DWORD src1_sel:DWORD
	v_or_b32_sdwa v8, v6, v8 dst_sel:DWORD dst_unused:UNUSED_PAD src0_sel:BYTE_0 src1_sel:DWORD
	v_lshlrev_b16_e32 v9, 8, v10
	v_and_b32_sdwa v6, v6, s4 dst_sel:DWORD dst_unused:UNUSED_PAD src0_sel:WORD_1 src1_sel:DWORD
	v_or_b32_sdwa v6, v6, v9 dst_sel:WORD_1 dst_unused:UNUSED_PAD src0_sel:DWORD src1_sel:DWORD
	v_or_b32_sdwa v39, v8, v6 dst_sel:DWORD dst_unused:UNUSED_PAD src0_sel:WORD_0 src1_sel:DWORD
.LBB1392_101:
	s_or_b64 exec, exec, s[6:7]
	v_add_u32_e32 v6, 11, v35
	v_mov_b32_e32 v40, 0
	v_cmp_le_u32_e32 vcc, s16, v6
                                        ; implicit-def: $vgpr41
	s_and_saveexec_b64 s[4:5], vcc
	s_xor_b64 s[4:5], exec, s[4:5]
; %bb.102:
	v_and_b32_e32 v6, 0xff0000, v7
	s_mov_b32 s6, 0x3020504
	v_perm_b32 v41, v7, v6, s6
	s_mov_b32 s6, 0x3060504
	v_perm_b32 v5, v5, v5, s6
                                        ; implicit-def: $vgpr7
; %bb.103:
	s_andn2_saveexec_b64 s[6:7], s[4:5]
	s_cbranch_execz .LBB1392_107
; %bb.104:
	v_add_u32_e32 v6, s37, v14
	v_add_u32_e32 v8, s39, v14
	v_mul_lo_u32 v6, v6, s36
	v_mul_lo_u32 v8, v8, s38
	s_mov_b64 s[8:9], 0
	v_sub_u32_e32 v6, v6, v8
	v_cmp_lt_u32_e32 vcc, s40, v6
	v_cmp_ge_u32_e64 s[4:5], s40, v6
	s_and_saveexec_b64 s[10:11], s[4:5]
	s_cbranch_execz .LBB1392_106
; %bb.105:
	v_add_u32_e32 v6, s42, v14
	v_add_u32_e32 v8, s56, v14
	v_mul_lo_u32 v6, v6, s41
	v_mul_lo_u32 v8, v8, s43
	v_sub_u32_e32 v6, v6, v8
	v_cmp_lt_u32_e64 s[4:5], s57, v6
	s_and_b64 s[8:9], s[4:5], exec
.LBB1392_106:
	s_or_b64 exec, exec, s[10:11]
	v_mov_b32_e32 v8, 8
	v_cndmask_b32_e64 v6, 0, 1, vcc
	s_movk_i32 s4, 0xff
	v_lshrrev_b32_sdwa v8, v8, v7 dst_sel:BYTE_1 dst_unused:UNUSED_PAD src0_sel:DWORD src1_sel:DWORD
	v_or_b32_sdwa v8, v7, v8 dst_sel:DWORD dst_unused:UNUSED_PAD src0_sel:BYTE_0 src1_sel:DWORD
	v_lshlrev_b16_e32 v6, 8, v6
	v_and_b32_sdwa v7, v7, s4 dst_sel:DWORD dst_unused:UNUSED_PAD src0_sel:WORD_1 src1_sel:DWORD
	v_or_b32_sdwa v6, v7, v6 dst_sel:WORD_1 dst_unused:UNUSED_PAD src0_sel:DWORD src1_sel:DWORD
	v_cndmask_b32_e64 v40, 0, 1, s[8:9]
	v_or_b32_sdwa v41, v8, v6 dst_sel:DWORD dst_unused:UNUSED_PAD src0_sel:WORD_0 src1_sel:DWORD
.LBB1392_107:
	s_or_b64 exec, exec, s[6:7]
	v_add_u32_e32 v6, 12, v35
	v_cmp_le_u32_e32 vcc, s16, v6
	v_lshrrev_b32_e32 v6, 24, v5
                                        ; implicit-def: $vgpr42
	s_and_saveexec_b64 s[4:5], vcc
	s_xor_b64 s[4:5], exec, s[4:5]
; %bb.108:
	s_movk_i32 s6, 0xff
	v_lshlrev_b16_e32 v6, 8, v6
	v_and_b32_sdwa v8, v5, s6 dst_sel:DWORD dst_unused:UNUSED_PAD src0_sel:WORD_1 src1_sel:DWORD
	v_mov_b32_e32 v7, 8
	v_or_b32_sdwa v42, v8, v6 dst_sel:WORD_1 dst_unused:UNUSED_PAD src0_sel:DWORD src1_sel:DWORD
	v_lshrrev_b32_sdwa v42, v7, v5 dst_sel:BYTE_1 dst_unused:UNUSED_PRESERVE src0_sel:DWORD src1_sel:DWORD
                                        ; implicit-def: $vgpr6
                                        ; implicit-def: $vgpr5
; %bb.109:
	s_or_saveexec_b64 s[6:7], s[4:5]
	v_mov_b32_e32 v43, 0
	s_xor_b64 exec, exec, s[6:7]
	s_cbranch_execz .LBB1392_113
; %bb.110:
	v_add_u32_e32 v7, s37, v34
	v_add_u32_e32 v8, s39, v34
	v_mul_lo_u32 v7, v7, s36
	v_mul_lo_u32 v8, v8, s38
	s_mov_b64 s[8:9], 0
	v_sub_u32_e32 v7, v7, v8
	v_cmp_lt_u32_e32 vcc, s40, v7
	v_cmp_ge_u32_e64 s[4:5], s40, v7
	s_and_saveexec_b64 s[10:11], s[4:5]
	s_cbranch_execz .LBB1392_112
; %bb.111:
	v_add_u32_e32 v7, s42, v34
	v_add_u32_e32 v8, s56, v34
	v_mul_lo_u32 v7, v7, s41
	v_mul_lo_u32 v8, v8, s43
	v_sub_u32_e32 v7, v7, v8
	v_cmp_lt_u32_e64 s[4:5], s57, v7
	s_and_b64 s[8:9], s[4:5], exec
.LBB1392_112:
	s_or_b64 exec, exec, s[10:11]
	s_movk_i32 s4, 0xff
	v_lshlrev_b16_e32 v6, 8, v6
	v_and_b32_sdwa v8, v5, s4 dst_sel:DWORD dst_unused:UNUSED_PAD src0_sel:WORD_1 src1_sel:DWORD
	v_or_b32_sdwa v6, v8, v6 dst_sel:WORD_1 dst_unused:UNUSED_PAD src0_sel:DWORD src1_sel:DWORD
	v_mov_b32_e32 v8, 8
	v_cndmask_b32_e64 v7, 0, 1, vcc
	v_lshrrev_b32_sdwa v5, v8, v5 dst_sel:BYTE_1 dst_unused:UNUSED_PAD src0_sel:DWORD src1_sel:DWORD
	v_or_b32_e32 v5, v7, v5
	v_cndmask_b32_e64 v43, 0, 1, s[8:9]
	v_or_b32_sdwa v42, v5, v6 dst_sel:DWORD dst_unused:UNUSED_PAD src0_sel:WORD_0 src1_sel:DWORD
.LBB1392_113:
	s_or_b64 exec, exec, s[6:7]
.LBB1392_114:
	v_and_b32_e32 v53, 0xff, v36
	v_bfe_u32 v50, v36, 8, 8
	v_bfe_u32 v55, v36, 16, 8
	v_lshrrev_b32_e32 v48, 24, v36
	v_and_b32_e32 v56, 0xff, v38
	v_add3_u32 v8, v50, v53, v55
	v_bfe_u32 v51, v38, 8, 8
	v_bfe_u32 v58, v38, 16, 8
	v_add3_u32 v8, v8, v48, v56
	v_bfe_u32 v54, v42, 8, 8
	v_bfe_u32 v62, v42, 16, 8
	v_lshrrev_b32_e32 v49, 24, v42
	v_lshrrev_b32_e32 v46, 24, v38
	v_and_b32_e32 v59, 0xff, v41
	v_add3_u32 v8, v8, v51, v58
	v_and_b32_e32 v63, 0xff, v37
	v_bfe_u32 v57, v37, 8, 8
	v_bfe_u32 v52, v41, 8, 8
	;; [unrolled: 1-line block ×3, first 2 shown]
	v_add3_u32 v7, v62, v54, v49
	v_add3_u32 v8, v8, v46, v59
	v_bfe_u32 v64, v37, 16, 8
	v_lshrrev_b32_e32 v47, 24, v37
	v_lshrrev_b32_e32 v44, 24, v41
	v_and_b32_e32 v5, 0xff, v42
	v_add3_u32 v7, v7, v63, v57
	v_add3_u32 v8, v8, v52, v61
	v_and_b32_e32 v65, 0xff, v39
	v_bfe_u32 v60, v39, 8, 8
	v_add3_u32 v7, v7, v64, v47
	v_add3_u32 v73, v8, v44, v5
	v_mbcnt_lo_u32_b32 v5, -1, 0
	v_bfe_u32 v66, v39, 16, 8
	v_lshrrev_b32_e32 v45, 24, v39
	v_add3_u32 v7, v7, v65, v60
	v_mbcnt_hi_u32_b32 v68, -1, v5
	v_and_b32_e32 v67, 0xff, v40
	v_and_b32_e32 v6, 0xff, v43
	v_add3_u32 v7, v7, v66, v45
	v_and_b32_e32 v72, 15, v68
	s_cmp_lg_u32 s33, 0
	v_add3_u32 v74, v7, v67, v6
	v_cmp_eq_u32_e64 s[6:7], 0, v72
	v_cmp_lt_u32_e64 s[4:5], 1, v72
	v_cmp_lt_u32_e64 s[10:11], 3, v72
	;; [unrolled: 1-line block ×3, first 2 shown]
	v_and_b32_e32 v71, 16, v68
	v_cmp_lt_u32_e32 vcc, 31, v68
	v_lshrrev_b32_e32 v69, 6, v0
	v_or_b32_e32 v70, 63, v0
	s_cbranch_scc0 .LBB1392_136
; %bb.115:
	v_mov_b32_dpp v5, v73 row_shr:1 row_mask:0xf bank_mask:0xf
	v_mov_b32_dpp v6, v74 row_shr:1 row_mask:0xf bank_mask:0xf
	v_add_u32_e32 v5, v5, v73
	v_add_u32_e32 v6, v6, v74
	v_cndmask_b32_e64 v6, v6, v74, s[6:7]
	v_cndmask_b32_e64 v5, v5, v73, s[6:7]
	s_nop 0
	v_mov_b32_dpp v8, v6 row_shr:2 row_mask:0xf bank_mask:0xf
	v_mov_b32_dpp v7, v5 row_shr:2 row_mask:0xf bank_mask:0xf
	v_add_u32_e32 v7, v5, v7
	v_add_u32_e32 v8, v6, v8
	v_cndmask_b32_e64 v6, v6, v8, s[4:5]
	v_cndmask_b32_e64 v5, v5, v7, s[4:5]
	s_nop 0
	;; [unrolled: 7-line block ×3, first 2 shown]
	v_mov_b32_dpp v8, v6 row_shr:8 row_mask:0xf bank_mask:0xf
	v_mov_b32_dpp v7, v5 row_shr:8 row_mask:0xf bank_mask:0xf
	v_add_u32_e32 v7, v5, v7
	v_add_u32_e32 v8, v6, v8
	v_cndmask_b32_e64 v6, v6, v8, s[8:9]
	v_cndmask_b32_e64 v7, v5, v7, s[8:9]
	v_cmp_eq_u32_e64 s[8:9], 0, v71
	v_mov_b32_dpp v8, v6 row_bcast:15 row_mask:0xf bank_mask:0xf
	v_mov_b32_dpp v5, v7 row_bcast:15 row_mask:0xf bank_mask:0xf
	v_add_u32_e32 v9, v7, v5
	v_add_u32_e32 v5, v6, v8
	v_cndmask_b32_e64 v5, v5, v6, s[8:9]
	v_cndmask_b32_e64 v6, v9, v7, s[8:9]
	v_cmp_eq_u32_e64 s[8:9], v0, v70
	v_mov_b32_dpp v7, v5 row_bcast:31 row_mask:0xf bank_mask:0xf
	v_mov_b32_dpp v8, v6 row_bcast:31 row_mask:0xf bank_mask:0xf
	v_add_u32_e32 v7, v5, v7
	v_add_u32_e32 v8, v6, v8
	s_and_saveexec_b64 s[10:11], s[8:9]
; %bb.116:
	v_lshlrev_b32_e32 v11, 3, v69
	v_cndmask_b32_e32 v10, v5, v7, vcc
	v_cndmask_b32_e32 v9, v6, v8, vcc
	ds_write_b64 v11, v[9:10]
; %bb.117:
	s_or_b64 exec, exec, s[10:11]
	v_cmp_gt_u32_e64 s[8:9], 4, v0
	s_waitcnt lgkmcnt(0)
	s_barrier
	s_and_saveexec_b64 s[10:11], s[8:9]
	s_cbranch_execz .LBB1392_119
; %bb.118:
	v_lshlrev_b32_e32 v11, 3, v0
	ds_read_b64 v[9:10], v11
	v_and_b32_e32 v12, 3, v68
	v_cmp_eq_u32_e64 s[8:9], 0, v12
	s_waitcnt lgkmcnt(0)
	v_mov_b32_dpp v25, v9 row_shr:1 row_mask:0xf bank_mask:0xf
	v_mov_b32_dpp v26, v10 row_shr:1 row_mask:0xf bank_mask:0xf
	v_add_u32_e32 v25, v25, v9
	v_add_u32_e32 v26, v26, v10
	v_cndmask_b32_e64 v10, v26, v10, s[8:9]
	v_cndmask_b32_e64 v9, v25, v9, s[8:9]
	v_cmp_lt_u32_e64 s[8:9], 1, v12
	v_mov_b32_dpp v26, v10 row_shr:2 row_mask:0xf bank_mask:0xf
	v_mov_b32_dpp v25, v9 row_shr:2 row_mask:0xf bank_mask:0xf
	v_cndmask_b32_e64 v12, 0, v25, s[8:9]
	v_cndmask_b32_e64 v25, 0, v26, s[8:9]
	v_add_u32_e32 v10, v25, v10
	v_add_u32_e32 v9, v12, v9
	ds_write_b64 v11, v[9:10]
.LBB1392_119:
	s_or_b64 exec, exec, s[10:11]
	v_cndmask_b32_e32 v5, v5, v7, vcc
	v_cndmask_b32_e32 v6, v6, v8, vcc
	v_cmp_gt_u32_e32 vcc, 64, v0
	v_cmp_lt_u32_e64 s[8:9], 63, v0
	s_waitcnt lgkmcnt(0)
	s_barrier
                                        ; implicit-def: $vgpr25
	s_and_saveexec_b64 s[10:11], s[8:9]
	s_cbranch_execz .LBB1392_121
; %bb.120:
	v_lshl_add_u32 v7, v69, 3, -8
	ds_read_b64 v[25:26], v7
	s_waitcnt lgkmcnt(0)
	v_add_u32_e32 v5, v26, v5
	v_add_u32_e32 v6, v25, v6
.LBB1392_121:
	s_or_b64 exec, exec, s[10:11]
	v_subrev_co_u32_e64 v7, s[8:9], 1, v68
	v_and_b32_e32 v8, 64, v68
	v_cmp_lt_i32_e64 s[10:11], v7, v8
	v_cndmask_b32_e64 v7, v7, v68, s[10:11]
	v_lshlrev_b32_e32 v7, 2, v7
	ds_bpermute_b32 v75, v7, v6
	ds_bpermute_b32 v76, v7, v5
	s_and_saveexec_b64 s[10:11], vcc
	s_cbranch_execz .LBB1392_141
; %bb.122:
	v_mov_b32_e32 v8, 0
	ds_read_b64 v[5:6], v8 offset:24
	s_and_saveexec_b64 s[12:13], s[8:9]
	s_cbranch_execz .LBB1392_124
; %bb.123:
	s_add_i32 s14, s33, 64
	s_mov_b32 s15, 0
	s_lshl_b64 s[14:15], s[14:15], 4
	s_add_u32 s14, s54, s14
	s_addc_u32 s15, s55, s15
	v_mov_b32_e32 v9, s14
	v_mov_b32_e32 v7, 1
	;; [unrolled: 1-line block ×3, first 2 shown]
	s_waitcnt lgkmcnt(0)
	;;#ASMSTART
	global_store_dwordx4 v[9:10], v[5:8] off	
s_waitcnt vmcnt(0)
	;;#ASMEND
.LBB1392_124:
	s_or_b64 exec, exec, s[12:13]
	v_xad_u32 v27, v68, -1, s33
	v_add_u32_e32 v7, 64, v27
	v_lshlrev_b64 v[9:10], 4, v[7:8]
	v_mov_b32_e32 v7, s55
	v_add_co_u32_e32 v28, vcc, s54, v9
	v_addc_co_u32_e32 v29, vcc, v7, v10, vcc
	;;#ASMSTART
	global_load_dwordx4 v[9:12], v[28:29] off glc	
s_waitcnt vmcnt(0)
	;;#ASMEND
	v_cmp_eq_u16_sdwa s[14:15], v11, v8 src0_sel:BYTE_0 src1_sel:DWORD
	s_and_saveexec_b64 s[12:13], s[14:15]
	s_cbranch_execz .LBB1392_128
; %bb.125:
	s_mov_b64 s[14:15], 0
	v_mov_b32_e32 v7, 0
.LBB1392_126:                           ; =>This Inner Loop Header: Depth=1
	;;#ASMSTART
	global_load_dwordx4 v[9:12], v[28:29] off glc	
s_waitcnt vmcnt(0)
	;;#ASMEND
	v_cmp_ne_u16_sdwa s[18:19], v11, v7 src0_sel:BYTE_0 src1_sel:DWORD
	s_or_b64 s[14:15], s[18:19], s[14:15]
	s_andn2_b64 exec, exec, s[14:15]
	s_cbranch_execnz .LBB1392_126
; %bb.127:
	s_or_b64 exec, exec, s[14:15]
.LBB1392_128:
	s_or_b64 exec, exec, s[12:13]
	v_and_b32_e32 v78, 63, v68
	v_cmp_ne_u32_e32 vcc, 63, v78
	v_mov_b32_e32 v77, 2
	v_lshlrev_b64 v[29:30], v68, -1
	v_addc_co_u32_e32 v12, vcc, 0, v68, vcc
	v_cmp_eq_u16_sdwa s[12:13], v11, v77 src0_sel:BYTE_0 src1_sel:DWORD
	v_lshlrev_b32_e32 v79, 2, v12
	v_and_b32_e32 v7, s13, v30
	ds_bpermute_b32 v12, v79, v9
	ds_bpermute_b32 v28, v79, v10
	v_or_b32_e32 v7, 0x80000000, v7
	v_and_b32_e32 v8, s12, v29
	v_ffbl_b32_e32 v7, v7
	v_add_u32_e32 v7, 32, v7
	v_ffbl_b32_e32 v8, v8
	v_min_u32_e32 v7, v8, v7
	s_waitcnt lgkmcnt(1)
	v_add_u32_e32 v8, v12, v9
	s_waitcnt lgkmcnt(0)
	v_add_u32_e32 v12, v28, v10
	v_cmp_lt_u32_e32 vcc, v78, v7
	v_cndmask_b32_e32 v10, v10, v12, vcc
	v_cndmask_b32_e32 v8, v9, v8, vcc
	v_cmp_gt_u32_e32 vcc, 62, v78
	v_cndmask_b32_e64 v9, 0, 2, vcc
	v_add_lshl_u32 v80, v9, v68, 2
	ds_bpermute_b32 v9, v80, v8
	ds_bpermute_b32 v12, v80, v10
	v_add_u32_e32 v81, 2, v78
	v_cmp_gt_u32_e32 vcc, v81, v7
	v_add_u32_e32 v83, 4, v78
	s_waitcnt lgkmcnt(1)
	v_add_u32_e32 v9, v8, v9
	s_waitcnt lgkmcnt(0)
	v_add_u32_e32 v12, v10, v12
	v_cndmask_b32_e32 v10, v12, v10, vcc
	v_cndmask_b32_e32 v8, v9, v8, vcc
	v_cmp_gt_u32_e32 vcc, 60, v78
	v_cndmask_b32_e64 v9, 0, 4, vcc
	v_add_lshl_u32 v82, v9, v68, 2
	ds_bpermute_b32 v9, v82, v8
	ds_bpermute_b32 v12, v82, v10
	v_cmp_gt_u32_e32 vcc, v83, v7
	v_add_u32_e32 v85, 8, v78
	v_add_u32_e32 v87, 16, v78
	s_waitcnt lgkmcnt(1)
	v_add_u32_e32 v9, v8, v9
	s_waitcnt lgkmcnt(0)
	v_add_u32_e32 v12, v10, v12
	v_cndmask_b32_e32 v10, v12, v10, vcc
	v_cndmask_b32_e32 v8, v9, v8, vcc
	v_cmp_gt_u32_e32 vcc, 56, v78
	v_cndmask_b32_e64 v9, 0, 8, vcc
	v_add_lshl_u32 v84, v9, v68, 2
	ds_bpermute_b32 v9, v84, v8
	ds_bpermute_b32 v12, v84, v10
	v_cmp_gt_u32_e32 vcc, v85, v7
	v_add_u32_e32 v89, 32, v78
	v_mov_b32_e32 v28, 0
	s_waitcnt lgkmcnt(1)
	v_add_u32_e32 v9, v8, v9
	s_waitcnt lgkmcnt(0)
	v_add_u32_e32 v12, v10, v12
	v_cndmask_b32_e32 v10, v12, v10, vcc
	v_cndmask_b32_e32 v8, v9, v8, vcc
	v_cmp_gt_u32_e32 vcc, 48, v78
	v_cndmask_b32_e64 v9, 0, 16, vcc
	v_add_lshl_u32 v86, v9, v68, 2
	ds_bpermute_b32 v9, v86, v8
	ds_bpermute_b32 v12, v86, v10
	v_cmp_gt_u32_e32 vcc, v87, v7
	s_waitcnt lgkmcnt(1)
	v_add_u32_e32 v9, v8, v9
	s_waitcnt lgkmcnt(0)
	v_add_u32_e32 v12, v10, v12
	v_cndmask_b32_e32 v8, v9, v8, vcc
	v_mov_b32_e32 v9, 0x80
	v_cndmask_b32_e32 v10, v12, v10, vcc
	v_lshl_or_b32 v88, v68, 2, v9
	ds_bpermute_b32 v9, v88, v8
	ds_bpermute_b32 v12, v88, v10
	v_cmp_le_u32_e32 vcc, v89, v7
	s_waitcnt lgkmcnt(1)
	v_cndmask_b32_e32 v7, 0, v9, vcc
	s_waitcnt lgkmcnt(0)
	v_cndmask_b32_e32 v9, 0, v12, vcc
	v_add_u32_e32 v10, v10, v9
	v_add_u32_e32 v9, v8, v7
	s_branch .LBB1392_132
.LBB1392_129:                           ;   in Loop: Header=BB1392_132 Depth=1
	s_or_b64 exec, exec, s[14:15]
.LBB1392_130:                           ;   in Loop: Header=BB1392_132 Depth=1
	s_or_b64 exec, exec, s[12:13]
	v_cmp_eq_u16_sdwa s[12:13], v11, v77 src0_sel:BYTE_0 src1_sel:DWORD
	v_and_b32_e32 v12, s13, v30
	ds_bpermute_b32 v32, v79, v9
	ds_bpermute_b32 v90, v79, v10
	v_or_b32_e32 v12, 0x80000000, v12
	v_and_b32_e32 v31, s12, v29
	v_ffbl_b32_e32 v12, v12
	v_add_u32_e32 v12, 32, v12
	v_ffbl_b32_e32 v31, v31
	v_min_u32_e32 v12, v31, v12
	s_waitcnt lgkmcnt(1)
	v_add_u32_e32 v31, v32, v9
	s_waitcnt lgkmcnt(0)
	v_add_u32_e32 v32, v90, v10
	v_cmp_lt_u32_e32 vcc, v78, v12
	v_cndmask_b32_e32 v10, v10, v32, vcc
	v_cndmask_b32_e32 v9, v9, v31, vcc
	ds_bpermute_b32 v31, v80, v9
	ds_bpermute_b32 v32, v80, v10
	v_cmp_gt_u32_e32 vcc, v81, v12
	v_subrev_u32_e32 v27, 64, v27
	s_mov_b64 s[12:13], 0
	s_waitcnt lgkmcnt(1)
	v_add_u32_e32 v31, v9, v31
	s_waitcnt lgkmcnt(0)
	v_add_u32_e32 v32, v10, v32
	v_cndmask_b32_e32 v10, v32, v10, vcc
	v_cndmask_b32_e32 v9, v31, v9, vcc
	ds_bpermute_b32 v31, v82, v9
	ds_bpermute_b32 v32, v82, v10
	v_cmp_gt_u32_e32 vcc, v83, v12
	s_waitcnt lgkmcnt(1)
	v_add_u32_e32 v31, v9, v31
	s_waitcnt lgkmcnt(0)
	v_add_u32_e32 v32, v10, v32
	v_cndmask_b32_e32 v10, v32, v10, vcc
	v_cndmask_b32_e32 v9, v31, v9, vcc
	ds_bpermute_b32 v31, v84, v9
	ds_bpermute_b32 v32, v84, v10
	v_cmp_gt_u32_e32 vcc, v85, v12
	s_waitcnt lgkmcnt(1)
	v_add_u32_e32 v31, v9, v31
	s_waitcnt lgkmcnt(0)
	v_add_u32_e32 v32, v10, v32
	v_cndmask_b32_e32 v10, v32, v10, vcc
	v_cndmask_b32_e32 v9, v31, v9, vcc
	ds_bpermute_b32 v31, v86, v9
	ds_bpermute_b32 v32, v86, v10
	v_cmp_gt_u32_e32 vcc, v87, v12
	s_waitcnt lgkmcnt(1)
	v_add_u32_e32 v31, v9, v31
	s_waitcnt lgkmcnt(0)
	v_add_u32_e32 v32, v10, v32
	v_cndmask_b32_e32 v10, v32, v10, vcc
	v_cndmask_b32_e32 v9, v31, v9, vcc
	ds_bpermute_b32 v31, v88, v9
	ds_bpermute_b32 v32, v88, v10
	v_cmp_le_u32_e32 vcc, v89, v12
	s_waitcnt lgkmcnt(1)
	v_cndmask_b32_e32 v12, 0, v31, vcc
	s_waitcnt lgkmcnt(0)
	v_cndmask_b32_e32 v31, 0, v32, vcc
	v_add3_u32 v10, v31, v8, v10
	v_add3_u32 v9, v12, v7, v9
.LBB1392_131:                           ;   in Loop: Header=BB1392_132 Depth=1
	s_and_b64 vcc, exec, s[12:13]
	s_cbranch_vccnz .LBB1392_137
.LBB1392_132:                           ; =>This Loop Header: Depth=1
                                        ;     Child Loop BB1392_135 Depth 2
	v_mov_b32_e32 v7, v9
	v_cmp_ne_u16_sdwa s[12:13], v11, v77 src0_sel:BYTE_0 src1_sel:DWORD
	v_mov_b32_e32 v8, v10
	s_cmp_lg_u64 s[12:13], exec
	s_mov_b64 s[12:13], -1
                                        ; implicit-def: $vgpr11
                                        ; implicit-def: $vgpr9_vgpr10
	s_cbranch_scc1 .LBB1392_131
; %bb.133:                              ;   in Loop: Header=BB1392_132 Depth=1
	v_lshlrev_b64 v[9:10], 4, v[27:28]
	v_mov_b32_e32 v11, s55
	v_add_co_u32_e32 v31, vcc, s54, v9
	v_addc_co_u32_e32 v32, vcc, v11, v10, vcc
	;;#ASMSTART
	global_load_dwordx4 v[9:12], v[31:32] off glc	
s_waitcnt vmcnt(0)
	;;#ASMEND
	v_cmp_eq_u16_sdwa s[14:15], v11, v28 src0_sel:BYTE_0 src1_sel:DWORD
	s_and_saveexec_b64 s[12:13], s[14:15]
	s_cbranch_execz .LBB1392_130
; %bb.134:                              ;   in Loop: Header=BB1392_132 Depth=1
	s_mov_b64 s[14:15], 0
.LBB1392_135:                           ;   Parent Loop BB1392_132 Depth=1
                                        ; =>  This Inner Loop Header: Depth=2
	;;#ASMSTART
	global_load_dwordx4 v[9:12], v[31:32] off glc	
s_waitcnt vmcnt(0)
	;;#ASMEND
	v_cmp_ne_u16_sdwa s[18:19], v11, v28 src0_sel:BYTE_0 src1_sel:DWORD
	s_or_b64 s[14:15], s[18:19], s[14:15]
	s_andn2_b64 exec, exec, s[14:15]
	s_cbranch_execnz .LBB1392_135
	s_branch .LBB1392_129
.LBB1392_136:
                                        ; implicit-def: $vgpr12
                                        ; implicit-def: $vgpr7
                                        ; implicit-def: $vgpr25
	s_cbranch_execnz .LBB1392_142
	s_branch .LBB1392_151
.LBB1392_137:
	s_and_saveexec_b64 s[12:13], s[8:9]
	s_cbranch_execnz .LBB1392_379
; %bb.138:
	s_or_b64 exec, exec, s[12:13]
	s_and_saveexec_b64 s[12:13], s[8:9]
	s_cbranch_execnz .LBB1392_380
.LBB1392_139:
	s_or_b64 exec, exec, s[12:13]
	s_and_b64 exec, exec, s[0:1]
.LBB1392_140:
	v_mov_b32_e32 v5, 0
	ds_write_b64 v5, v[7:8] offset:24
.LBB1392_141:
	s_or_b64 exec, exec, s[10:11]
	v_mov_b32_e32 v5, 0
	s_waitcnt lgkmcnt(0)
	s_barrier
	ds_read_b64 v[9:10], v5 offset:24
	v_cndmask_b32_e64 v6, v75, v25, s[8:9]
	s_waitcnt lgkmcnt(0)
	s_barrier
	v_add_u32_e32 v25, v9, v6
	ds_read_b128 v[5:8], v5 offset:13312
	v_cndmask_b32_e64 v11, v76, v26, s[8:9]
	v_add_u32_e32 v11, v10, v11
	v_cndmask_b32_e64 v12, v11, v10, s[0:1]
	v_cndmask_b32_e64 v25, v25, v9, s[0:1]
	s_branch .LBB1392_151
.LBB1392_142:
	s_waitcnt lgkmcnt(0)
	v_mov_b32_dpp v5, v73 row_shr:1 row_mask:0xf bank_mask:0xf
	v_mov_b32_dpp v6, v74 row_shr:1 row_mask:0xf bank_mask:0xf
	v_add_u32_e32 v5, v5, v73
	v_add_u32_e32 v6, v6, v74
	v_cndmask_b32_e64 v6, v6, v74, s[6:7]
	v_cndmask_b32_e64 v5, v5, v73, s[6:7]
	v_cmp_lt_u32_e32 vcc, 3, v72
	v_mov_b32_dpp v8, v6 row_shr:2 row_mask:0xf bank_mask:0xf
	v_mov_b32_dpp v7, v5 row_shr:2 row_mask:0xf bank_mask:0xf
	v_add_u32_e32 v7, v5, v7
	v_add_u32_e32 v8, v6, v8
	v_cndmask_b32_e64 v6, v6, v8, s[4:5]
	v_cndmask_b32_e64 v5, v5, v7, s[4:5]
	v_cmp_eq_u32_e64 s[4:5], v0, v70
	v_mov_b32_dpp v8, v6 row_shr:4 row_mask:0xf bank_mask:0xf
	v_mov_b32_dpp v7, v5 row_shr:4 row_mask:0xf bank_mask:0xf
	v_add_u32_e32 v7, v5, v7
	v_add_u32_e32 v8, v6, v8
	v_cndmask_b32_e32 v6, v6, v8, vcc
	v_cndmask_b32_e32 v5, v5, v7, vcc
	v_cmp_lt_u32_e32 vcc, 7, v72
	v_mov_b32_dpp v8, v6 row_shr:8 row_mask:0xf bank_mask:0xf
	v_mov_b32_dpp v7, v5 row_shr:8 row_mask:0xf bank_mask:0xf
	v_add_u32_e32 v7, v5, v7
	v_add_u32_e32 v8, v6, v8
	v_cndmask_b32_e32 v6, v6, v8, vcc
	v_cndmask_b32_e32 v7, v5, v7, vcc
	v_cmp_eq_u32_e32 vcc, 0, v71
	v_mov_b32_dpp v8, v6 row_bcast:15 row_mask:0xf bank_mask:0xf
	v_mov_b32_dpp v5, v7 row_bcast:15 row_mask:0xf bank_mask:0xf
	v_add_u32_e32 v9, v7, v5
	v_add_u32_e32 v5, v6, v8
	v_cndmask_b32_e32 v5, v5, v6, vcc
	v_cndmask_b32_e32 v6, v9, v7, vcc
	v_cmp_lt_u32_e32 vcc, 31, v68
	v_mov_b32_dpp v7, v5 row_bcast:31 row_mask:0xf bank_mask:0xf
	v_mov_b32_dpp v8, v6 row_bcast:31 row_mask:0xf bank_mask:0xf
	v_add_u32_e32 v7, v5, v7
	v_add_u32_e32 v8, v6, v8
	s_and_saveexec_b64 s[6:7], s[4:5]
; %bb.143:
	v_cndmask_b32_e32 v9, v6, v8, vcc
	v_cndmask_b32_e32 v10, v5, v7, vcc
	v_lshlrev_b32_e32 v11, 3, v69
	ds_write_b64 v11, v[9:10]
; %bb.144:
	s_or_b64 exec, exec, s[6:7]
	v_cmp_gt_u32_e64 s[4:5], 4, v0
	s_waitcnt lgkmcnt(0)
	s_barrier
	s_and_saveexec_b64 s[6:7], s[4:5]
	s_cbranch_execz .LBB1392_146
; %bb.145:
	v_lshlrev_b32_e32 v11, 3, v0
	ds_read_b64 v[9:10], v11
	v_and_b32_e32 v12, 3, v68
	v_cmp_eq_u32_e64 s[4:5], 0, v12
	s_waitcnt lgkmcnt(0)
	v_mov_b32_dpp v25, v9 row_shr:1 row_mask:0xf bank_mask:0xf
	v_mov_b32_dpp v26, v10 row_shr:1 row_mask:0xf bank_mask:0xf
	v_add_u32_e32 v25, v25, v9
	v_add_u32_e32 v26, v26, v10
	v_cndmask_b32_e64 v10, v26, v10, s[4:5]
	v_cndmask_b32_e64 v9, v25, v9, s[4:5]
	v_cmp_lt_u32_e64 s[4:5], 1, v12
	v_mov_b32_dpp v26, v10 row_shr:2 row_mask:0xf bank_mask:0xf
	v_mov_b32_dpp v25, v9 row_shr:2 row_mask:0xf bank_mask:0xf
	v_cndmask_b32_e64 v12, 0, v25, s[4:5]
	v_cndmask_b32_e64 v25, 0, v26, s[4:5]
	v_add_u32_e32 v10, v25, v10
	v_add_u32_e32 v9, v12, v9
	ds_write_b64 v11, v[9:10]
.LBB1392_146:
	s_or_b64 exec, exec, s[6:7]
	v_cmp_lt_u32_e64 s[4:5], 63, v0
	v_mov_b32_e32 v11, 0
	v_mov_b32_e32 v9, 0
	;; [unrolled: 1-line block ×3, first 2 shown]
	s_waitcnt lgkmcnt(0)
	s_barrier
	s_and_saveexec_b64 s[6:7], s[4:5]
; %bb.147:
	v_lshl_add_u32 v9, v69, 3, -8
	ds_read_b64 v[9:10], v9
; %bb.148:
	s_or_b64 exec, exec, s[6:7]
	v_cndmask_b32_e32 v6, v6, v8, vcc
	v_cndmask_b32_e32 v5, v5, v7, vcc
	v_subrev_co_u32_e32 v7, vcc, 1, v68
	v_and_b32_e32 v8, 64, v68
	v_cmp_lt_i32_e64 s[4:5], v7, v8
	v_cndmask_b32_e64 v7, v7, v68, s[4:5]
	s_waitcnt lgkmcnt(0)
	v_add_u32_e32 v5, v10, v5
	v_add_u32_e32 v6, v9, v6
	v_lshlrev_b32_e32 v7, 2, v7
	ds_bpermute_b32 v12, v7, v6
	ds_bpermute_b32 v25, v7, v5
	ds_read_b64 v[5:6], v11 offset:24
	s_and_saveexec_b64 s[4:5], s[0:1]
	s_cbranch_execz .LBB1392_150
; %bb.149:
	s_add_u32 s6, s54, 0x400
	s_addc_u32 s7, s55, 0
	v_mov_b32_e32 v27, s7
	v_mov_b32_e32 v7, 2
	v_mov_b32_e32 v8, 0
	v_mov_b32_e32 v26, s6
	s_waitcnt lgkmcnt(0)
	;;#ASMSTART
	global_store_dwordx4 v[26:27], v[5:8] off	
s_waitcnt vmcnt(0)
	;;#ASMEND
.LBB1392_150:
	s_or_b64 exec, exec, s[4:5]
	s_waitcnt lgkmcnt(2)
	v_cndmask_b32_e32 v7, v12, v9, vcc
	s_waitcnt lgkmcnt(1)
	v_cndmask_b32_e32 v8, v25, v10, vcc
	v_cndmask_b32_e64 v12, v8, 0, s[0:1]
	v_cndmask_b32_e64 v25, v7, 0, s[0:1]
	v_mov_b32_e32 v8, 0
	v_mov_b32_e32 v7, 0
	s_waitcnt lgkmcnt(0)
	s_barrier
.LBB1392_151:
	s_waitcnt lgkmcnt(0)
	v_add_co_u32_e32 v1, vcc, v1, v7
	v_addc_co_u32_e32 v2, vcc, 0, v2, vcc
	v_sub_co_u32_e32 v29, vcc, v3, v5
	v_add_u32_e32 v32, v12, v54
	v_subbrev_co_u32_e32 v30, vcc, 0, v4, vcc
	v_lshlrev_b32_e32 v72, 1, v5
	v_sub_u32_e32 v12, v12, v8
	v_lshrrev_b32_e32 v28, 8, v42
	v_add_u32_e32 v31, v25, v53
	v_add_co_u32_e32 v29, vcc, v29, v8
	v_add_u32_e32 v73, v72, v6
	v_sub_u32_e32 v25, v25, v7
	v_add_u32_e32 v12, v12, v5
	v_addc_co_u32_e32 v30, vcc, 0, v30, vcc
	v_add_u32_e32 v35, v73, v35
	v_and_b32_e32 v28, 1, v28
	v_add_u32_e32 v74, v25, v12
	v_and_b32_e32 v73, 1, v36
	v_sub_u32_e32 v74, v35, v74
	v_cmp_eq_u32_e32 vcc, 1, v28
	v_cndmask_b32_e32 v12, v74, v12, vcc
	v_cmp_eq_u32_e32 vcc, 1, v73
	v_cndmask_b32_e32 v12, v12, v25, vcc
	v_lshlrev_b32_e32 v12, 2, v12
	v_sub_u32_e32 v25, v32, v8
	v_lshrrev_b32_e32 v27, 8, v36
	ds_write_b32 v12, v23
	v_sub_u32_e32 v12, v31, v7
	v_add_u32_e32 v25, v25, v5
	v_add_u32_e32 v50, v31, v50
	v_and_b32_e32 v23, 1, v27
	v_mov_b32_e32 v27, 1
	v_add_u32_e32 v31, v25, v12
	v_and_b32_sdwa v28, v27, v42 dst_sel:DWORD dst_unused:UNUSED_PAD src0_sel:DWORD src1_sel:WORD_1
	v_sub_u32_e32 v31, v35, v31
	v_add_u32_e32 v31, 1, v31
	v_cmp_eq_u32_e32 vcc, 1, v28
	v_cndmask_b32_e32 v25, v31, v25, vcc
	v_cmp_eq_u32_e32 vcc, 1, v23
	v_cndmask_b32_e32 v12, v25, v12, vcc
	v_add_u32_e32 v53, v32, v62
	v_lshlrev_b32_e32 v12, 2, v12
	ds_write_b32 v12, v24
	v_sub_u32_e32 v24, v53, v8
	v_sub_u32_e32 v12, v50, v7
	v_add_u32_e32 v24, v24, v5
	v_add_u32_e32 v28, v24, v12
	v_and_b32_e32 v25, 1, v49
	v_sub_u32_e32 v28, v35, v28
	v_and_b32_sdwa v23, v27, v36 dst_sel:DWORD dst_unused:UNUSED_PAD src0_sel:DWORD src1_sel:WORD_1
	v_add_u32_e32 v28, 2, v28
	v_cmp_eq_u32_e32 vcc, 1, v25
	v_cndmask_b32_e32 v24, v28, v24, vcc
	v_cmp_eq_u32_e32 vcc, 1, v23
	v_add_u32_e32 v54, v50, v55
	v_add_u32_e32 v55, v53, v49
	v_cndmask_b32_e32 v12, v24, v12, vcc
	v_lshlrev_b32_e32 v12, 2, v12
	v_sub_u32_e32 v23, v55, v8
	ds_write_b32 v12, v21
	v_sub_u32_e32 v12, v54, v7
	v_add_u32_e32 v23, v23, v5
	v_add_u32_e32 v25, v12, v23
	v_and_b32_e32 v24, 1, v37
	v_sub_u32_e32 v25, v35, v25
	v_and_b32_e32 v21, 1, v48
	v_add_u32_e32 v25, 3, v25
	v_cmp_eq_u32_e32 vcc, 1, v24
	v_cndmask_b32_e32 v23, v25, v23, vcc
	v_cmp_eq_u32_e32 vcc, 1, v21
	v_cndmask_b32_e32 v12, v23, v12, vcc
	v_add_u32_e32 v62, v55, v63
	v_lshlrev_b32_e32 v12, 2, v12
	v_add_u32_e32 v63, v54, v48
	ds_write_b32 v12, v22
	v_sub_u32_e32 v22, v62, v8
	v_sub_u32_e32 v12, v63, v7
	v_add_u32_e32 v22, v22, v5
	v_lshrrev_b32_e32 v26, 8, v37
	v_add_u32_e32 v24, v12, v22
	v_and_b32_e32 v23, 1, v26
	v_sub_u32_e32 v24, v35, v24
	v_and_b32_e32 v21, 1, v38
	v_add_u32_e32 v24, 4, v24
	v_cmp_eq_u32_e32 vcc, 1, v23
	v_cndmask_b32_e32 v22, v24, v22, vcc
	v_cmp_eq_u32_e32 vcc, 1, v21
	v_cndmask_b32_e32 v12, v22, v12, vcc
	v_add_u32_e32 v57, v62, v57
	v_lshlrev_b32_e32 v12, 2, v12
	v_add_u32_e32 v56, v63, v56
	ds_write_b32 v12, v19
	v_sub_u32_e32 v19, v57, v8
	v_sub_u32_e32 v12, v56, v7
	v_add_u32_e32 v19, v19, v5
	v_add_u32_e32 v22, v12, v19
	v_lshrrev_b32_e32 v11, 8, v38
	v_and_b32_sdwa v21, v27, v37 dst_sel:DWORD dst_unused:UNUSED_PAD src0_sel:DWORD src1_sel:WORD_1
	v_sub_u32_e32 v22, v35, v22
	v_and_b32_e32 v11, 1, v11
	v_add_u32_e32 v22, 5, v22
	v_cmp_eq_u32_e32 vcc, 1, v21
	v_cndmask_b32_e32 v19, v22, v19, vcc
	v_cmp_eq_u32_e32 vcc, 1, v11
	v_add_u32_e32 v64, v57, v64
	v_cndmask_b32_e32 v11, v19, v12, vcc
	v_add_u32_e32 v51, v56, v51
	v_lshlrev_b32_e32 v11, 2, v11
	v_sub_u32_e32 v19, v64, v8
	ds_write_b32 v11, v20
	v_sub_u32_e32 v11, v51, v7
	v_add_u32_e32 v19, v19, v5
	v_add_u32_e32 v21, v11, v19
	v_and_b32_e32 v20, 1, v47
	v_sub_u32_e32 v21, v35, v21
	v_and_b32_sdwa v12, v27, v38 dst_sel:DWORD dst_unused:UNUSED_PAD src0_sel:DWORD src1_sel:WORD_1
	v_add_u32_e32 v21, 6, v21
	v_cmp_eq_u32_e32 vcc, 1, v20
	v_cndmask_b32_e32 v19, v21, v19, vcc
	v_cmp_eq_u32_e32 vcc, 1, v12
	v_cndmask_b32_e32 v11, v19, v11, vcc
	v_add_u32_e32 v68, v64, v47
	v_lshlrev_b32_e32 v11, 2, v11
	v_add_u32_e32 v58, v51, v58
	ds_write_b32 v11, v17
	v_sub_u32_e32 v17, v68, v8
	v_sub_u32_e32 v11, v58, v7
	v_add_u32_e32 v17, v17, v5
	v_add_u32_e32 v20, v11, v17
	v_and_b32_e32 v19, 1, v39
	v_sub_u32_e32 v20, v35, v20
	v_and_b32_e32 v12, 1, v46
	v_add_u32_e32 v20, 7, v20
	v_cmp_eq_u32_e32 vcc, 1, v19
	v_cndmask_b32_e32 v17, v20, v17, vcc
	v_cmp_eq_u32_e32 vcc, 1, v12
	v_add_u32_e32 v65, v68, v65
	v_cndmask_b32_e32 v11, v17, v11, vcc
	v_add_u32_e32 v69, v58, v46
	v_lshlrev_b32_e32 v11, 2, v11
	v_sub_u32_e32 v17, v65, v8
	ds_write_b32 v11, v18
	v_sub_u32_e32 v11, v69, v7
	v_add_u32_e32 v17, v17, v5
	v_lshrrev_b32_e32 v10, 8, v39
	v_add_u32_e32 v18, v11, v17
	v_and_b32_e32 v10, 1, v10
	v_sub_u32_e32 v18, v35, v18
	v_and_b32_e32 v12, 1, v41
	v_add_u32_e32 v18, 8, v18
	v_cmp_eq_u32_e32 vcc, 1, v10
	v_cndmask_b32_e32 v10, v18, v17, vcc
	v_cmp_eq_u32_e32 vcc, 1, v12
	v_add_u32_e32 v60, v65, v60
	v_cndmask_b32_e32 v10, v10, v11, vcc
	v_add_u32_e32 v59, v69, v59
	v_lshlrev_b32_e32 v10, 2, v10
	v_sub_u32_e32 v11, v60, v8
	ds_write_b32 v10, v15
	v_sub_u32_e32 v10, v59, v7
	v_add_u32_e32 v11, v11, v5
	v_add_u32_e32 v15, v10, v11
	v_lshrrev_b32_e32 v9, 8, v41
	v_and_b32_sdwa v12, v27, v39 dst_sel:DWORD dst_unused:UNUSED_PAD src0_sel:DWORD src1_sel:WORD_1
	v_sub_u32_e32 v15, v35, v15
	v_and_b32_e32 v9, 1, v9
	v_add_u32_e32 v15, 9, v15
	v_cmp_eq_u32_e32 vcc, 1, v12
	v_cndmask_b32_e32 v11, v15, v11, vcc
	v_cmp_eq_u32_e32 vcc, 1, v9
	v_add_u32_e32 v66, v60, v66
	v_cndmask_b32_e32 v9, v11, v10, vcc
	v_add_u32_e32 v52, v59, v52
	v_lshlrev_b32_e32 v9, 2, v9
	v_sub_u32_e32 v11, v66, v8
	ds_write_b32 v9, v16
	v_sub_u32_e32 v9, v52, v7
	v_add_u32_e32 v11, v11, v5
	v_add_u32_e32 v15, v9, v11
	v_and_b32_e32 v12, 1, v45
	v_sub_u32_e32 v15, v35, v15
	v_and_b32_sdwa v10, v27, v41 dst_sel:DWORD dst_unused:UNUSED_PAD src0_sel:DWORD src1_sel:WORD_1
	v_add_u32_e32 v15, 10, v15
	v_cmp_eq_u32_e32 vcc, 1, v12
	v_cndmask_b32_e32 v11, v15, v11, vcc
	v_cmp_eq_u32_e32 vcc, 1, v10
	v_add_u32_e32 v70, v66, v45
	v_cndmask_b32_e32 v9, v11, v9, vcc
	v_add_u32_e32 v61, v52, v61
	v_lshlrev_b32_e32 v9, 2, v9
	v_sub_u32_e32 v11, v70, v8
	ds_write_b32 v9, v13
	v_sub_u32_e32 v9, v61, v7
	v_add_u32_e32 v11, v11, v5
	v_add_u32_e32 v13, v9, v11
	v_and_b32_e32 v12, 1, v40
	v_sub_u32_e32 v13, v35, v13
	v_add_u32_e32 v67, v70, v67
	v_and_b32_e32 v10, 1, v44
	v_add_u32_e32 v13, 11, v13
	v_cmp_eq_u32_e32 vcc, 1, v12
	v_add_u32_e32 v71, v61, v44
	v_cndmask_b32_e32 v11, v13, v11, vcc
	v_cmp_eq_u32_e32 vcc, 1, v10
	v_sub_u32_e32 v10, v67, v8
	v_sub_u32_e32 v7, v71, v7
	v_add_u32_e32 v10, v10, v5
	v_cndmask_b32_e32 v9, v11, v9, vcc
	v_add_u32_e32 v12, v7, v10
	v_lshlrev_b32_e32 v9, 2, v9
	v_and_b32_e32 v11, 1, v43
	v_sub_u32_e32 v12, v35, v12
	ds_write_b32 v9, v14
	v_and_b32_e32 v9, 1, v42
	v_add_u32_e32 v12, 12, v12
	v_cmp_eq_u32_e32 vcc, 1, v11
	v_cndmask_b32_e32 v10, v12, v10, vcc
	v_cmp_eq_u32_e32 vcc, 1, v9
	v_cndmask_b32_e32 v7, v10, v7, vcc
	v_lshlrev_b32_e32 v7, 2, v7
	ds_write_b32 v7, v34
	v_mov_b32_e32 v7, s53
	v_add_co_u32_e32 v9, vcc, s52, v33
	v_addc_co_u32_e32 v10, vcc, 0, v7, vcc
	v_add_co_u32_e32 v7, vcc, v6, v72
	v_addc_co_u32_e64 v11, s[4:5], 0, 0, vcc
	v_add_co_u32_e32 v7, vcc, v7, v29
	v_addc_co_u32_e32 v11, vcc, v11, v30, vcc
	v_add_co_u32_e32 v7, vcc, v7, v1
	v_addc_co_u32_e32 v11, vcc, v11, v2, vcc
	v_sub_co_u32_e32 v7, vcc, v9, v7
	v_subb_co_u32_e32 v13, vcc, v10, v11, vcc
	v_lshlrev_b64 v[9:10], 2, v[29:30]
	v_mov_b32_e32 v11, s51
	v_add_co_u32_e32 v9, vcc, s50, v9
	v_addc_co_u32_e32 v10, vcc, v11, v10, vcc
	v_lshlrev_b64 v[11:12], 2, v[1:2]
	v_mov_b32_e32 v15, s49
	v_add_co_u32_e32 v11, vcc, s48, v11
	v_addc_co_u32_e32 v12, vcc, v15, v12, vcc
	v_add_u32_e32 v14, v5, v6
	s_and_b64 vcc, exec, s[2:3]
	s_mov_b64 s[2:3], -1
	s_waitcnt lgkmcnt(0)
	s_barrier
	s_cbranch_vccz .LBB1392_155
; %bb.152:
	s_and_b64 vcc, exec, s[2:3]
	s_cbranch_vccnz .LBB1392_260
.LBB1392_153:
	s_and_b64 s[0:1], s[0:1], s[34:35]
	s_and_saveexec_b64 s[2:3], s[0:1]
	s_cbranch_execnz .LBB1392_378
.LBB1392_154:
	s_endpgm
.LBB1392_155:
	v_cmp_ge_u32_e32 vcc, v0, v5
	s_and_saveexec_b64 s[2:3], vcc
	s_xor_b64 s[2:3], exec, s[2:3]
	s_cbranch_execz .LBB1392_161
; %bb.156:
	v_cmp_ge_u32_e32 vcc, v0, v14
	s_and_saveexec_b64 s[4:5], vcc
	s_xor_b64 s[4:5], exec, s[4:5]
	s_cbranch_execz .LBB1392_158
; %bb.157:
	v_add_co_u32_e32 v15, vcc, v7, v0
	v_lshlrev_b32_e32 v17, 2, v0
	v_addc_co_u32_e32 v16, vcc, 0, v13, vcc
	ds_read_b32 v17, v17
	v_lshlrev_b64 v[15:16], 2, v[15:16]
	v_mov_b32_e32 v18, s31
	v_sub_co_u32_e32 v15, vcc, s30, v15
	v_subb_co_u32_e32 v16, vcc, v18, v16, vcc
	s_waitcnt lgkmcnt(0)
	global_store_dword v[15:16], v17, off offset:-4
.LBB1392_158:
	s_andn2_saveexec_b64 s[4:5], s[4:5]
	s_cbranch_execz .LBB1392_160
; %bb.159:
	v_lshlrev_b32_e32 v15, 2, v0
	ds_read_b32 v16, v15
	v_readfirstlane_b32 s6, v9
	v_readfirstlane_b32 s7, v10
	s_waitcnt lgkmcnt(0)
	s_nop 3
	global_store_dword v15, v16, s[6:7]
.LBB1392_160:
	s_or_b64 exec, exec, s[4:5]
.LBB1392_161:
	s_andn2_saveexec_b64 s[2:3], s[2:3]
	s_cbranch_execz .LBB1392_163
; %bb.162:
	v_lshlrev_b32_e32 v15, 2, v0
	ds_read_b32 v16, v15
	v_readfirstlane_b32 s4, v11
	v_readfirstlane_b32 s5, v12
	s_waitcnt lgkmcnt(0)
	s_nop 3
	global_store_dword v15, v16, s[4:5]
.LBB1392_163:
	s_or_b64 exec, exec, s[2:3]
	v_or_b32_e32 v15, 0x100, v0
	v_cmp_ge_u32_e32 vcc, v15, v5
	s_and_saveexec_b64 s[2:3], vcc
	s_xor_b64 s[2:3], exec, s[2:3]
	s_cbranch_execz .LBB1392_169
; %bb.164:
	v_cmp_ge_u32_e32 vcc, v15, v14
	s_and_saveexec_b64 s[4:5], vcc
	s_xor_b64 s[4:5], exec, s[4:5]
	s_cbranch_execz .LBB1392_166
; %bb.165:
	v_lshlrev_b32_e32 v15, 2, v0
	ds_read_b32 v17, v15 offset:1024
	v_add_co_u32_e32 v15, vcc, v7, v0
	v_addc_co_u32_e32 v16, vcc, 0, v13, vcc
	v_lshlrev_b64 v[15:16], 2, v[15:16]
	v_mov_b32_e32 v18, s31
	v_sub_co_u32_e32 v15, vcc, s30, v15
	v_subb_co_u32_e32 v16, vcc, v18, v16, vcc
	s_waitcnt lgkmcnt(0)
	global_store_dword v[15:16], v17, off offset:-1028
.LBB1392_166:
	s_andn2_saveexec_b64 s[4:5], s[4:5]
	s_cbranch_execz .LBB1392_168
; %bb.167:
	v_lshlrev_b32_e32 v15, 2, v0
	ds_read_b32 v16, v15 offset:1024
	v_readfirstlane_b32 s6, v9
	v_readfirstlane_b32 s7, v10
	s_waitcnt lgkmcnt(0)
	s_nop 3
	global_store_dword v15, v16, s[6:7] offset:1024
.LBB1392_168:
	s_or_b64 exec, exec, s[4:5]
.LBB1392_169:
	s_andn2_saveexec_b64 s[2:3], s[2:3]
	s_cbranch_execz .LBB1392_171
; %bb.170:
	v_lshlrev_b32_e32 v15, 2, v0
	ds_read_b32 v16, v15 offset:1024
	v_readfirstlane_b32 s4, v11
	v_readfirstlane_b32 s5, v12
	s_waitcnt lgkmcnt(0)
	s_nop 3
	global_store_dword v15, v16, s[4:5] offset:1024
.LBB1392_171:
	s_or_b64 exec, exec, s[2:3]
	v_or_b32_e32 v15, 0x200, v0
	v_cmp_ge_u32_e32 vcc, v15, v5
	s_and_saveexec_b64 s[2:3], vcc
	s_xor_b64 s[2:3], exec, s[2:3]
	s_cbranch_execz .LBB1392_177
; %bb.172:
	v_cmp_ge_u32_e32 vcc, v15, v14
	s_and_saveexec_b64 s[4:5], vcc
	s_xor_b64 s[4:5], exec, s[4:5]
	s_cbranch_execz .LBB1392_174
; %bb.173:
	v_lshlrev_b32_e32 v15, 2, v0
	ds_read_b32 v17, v15 offset:2048
	v_add_co_u32_e32 v15, vcc, v7, v0
	v_addc_co_u32_e32 v16, vcc, 0, v13, vcc
	v_lshlrev_b64 v[15:16], 2, v[15:16]
	v_mov_b32_e32 v18, s31
	v_sub_co_u32_e32 v15, vcc, s30, v15
	v_subb_co_u32_e32 v16, vcc, v18, v16, vcc
	s_waitcnt lgkmcnt(0)
	global_store_dword v[15:16], v17, off offset:-2052
.LBB1392_174:
	s_andn2_saveexec_b64 s[4:5], s[4:5]
	s_cbranch_execz .LBB1392_176
; %bb.175:
	v_lshlrev_b32_e32 v15, 2, v0
	ds_read_b32 v16, v15 offset:2048
	v_readfirstlane_b32 s6, v9
	v_readfirstlane_b32 s7, v10
	s_waitcnt lgkmcnt(0)
	s_nop 3
	global_store_dword v15, v16, s[6:7] offset:2048
.LBB1392_176:
	s_or_b64 exec, exec, s[4:5]
.LBB1392_177:
	s_andn2_saveexec_b64 s[2:3], s[2:3]
	s_cbranch_execz .LBB1392_179
; %bb.178:
	v_lshlrev_b32_e32 v15, 2, v0
	ds_read_b32 v16, v15 offset:2048
	v_readfirstlane_b32 s4, v11
	v_readfirstlane_b32 s5, v12
	s_waitcnt lgkmcnt(0)
	s_nop 3
	global_store_dword v15, v16, s[4:5] offset:2048
.LBB1392_179:
	;; [unrolled: 47-line block ×3, first 2 shown]
	s_or_b64 exec, exec, s[2:3]
	v_or_b32_e32 v15, 0x400, v0
	v_cmp_ge_u32_e32 vcc, v15, v5
	s_and_saveexec_b64 s[2:3], vcc
	s_xor_b64 s[2:3], exec, s[2:3]
	s_cbranch_execz .LBB1392_193
; %bb.188:
	v_cmp_ge_u32_e32 vcc, v15, v14
	s_and_saveexec_b64 s[4:5], vcc
	s_xor_b64 s[4:5], exec, s[4:5]
	s_cbranch_execz .LBB1392_190
; %bb.189:
	v_lshlrev_b32_e32 v15, 2, v0
	ds_read_b32 v17, v15 offset:4096
	v_add_co_u32_e32 v15, vcc, v7, v0
	v_addc_co_u32_e32 v16, vcc, 0, v13, vcc
	v_lshlrev_b64 v[15:16], 2, v[15:16]
	v_mov_b32_e32 v18, s31
	v_sub_co_u32_e32 v15, vcc, s30, v15
	v_subb_co_u32_e32 v16, vcc, v18, v16, vcc
	v_add_co_u32_e32 v15, vcc, 0xfffff000, v15
	v_addc_co_u32_e32 v16, vcc, -1, v16, vcc
	s_waitcnt lgkmcnt(0)
	global_store_dword v[15:16], v17, off offset:-4
                                        ; implicit-def: $vgpr15
.LBB1392_190:
	s_andn2_saveexec_b64 s[4:5], s[4:5]
	s_cbranch_execz .LBB1392_192
; %bb.191:
	v_lshlrev_b32_e32 v16, 2, v0
	ds_read_b32 v16, v16 offset:4096
	v_lshlrev_b32_e32 v15, 2, v15
	v_readfirstlane_b32 s6, v9
	v_readfirstlane_b32 s7, v10
	s_waitcnt lgkmcnt(0)
	s_nop 3
	global_store_dword v15, v16, s[6:7]
.LBB1392_192:
	s_or_b64 exec, exec, s[4:5]
                                        ; implicit-def: $vgpr15
.LBB1392_193:
	s_andn2_saveexec_b64 s[2:3], s[2:3]
	s_cbranch_execz .LBB1392_195
; %bb.194:
	v_lshlrev_b32_e32 v16, 2, v0
	ds_read_b32 v16, v16 offset:4096
	v_lshlrev_b32_e32 v15, 2, v15
	v_readfirstlane_b32 s4, v11
	v_readfirstlane_b32 s5, v12
	s_waitcnt lgkmcnt(0)
	s_nop 3
	global_store_dword v15, v16, s[4:5]
.LBB1392_195:
	s_or_b64 exec, exec, s[2:3]
	v_or_b32_e32 v15, 0x500, v0
	v_cmp_ge_u32_e32 vcc, v15, v5
	s_and_saveexec_b64 s[2:3], vcc
	s_xor_b64 s[2:3], exec, s[2:3]
	s_cbranch_execz .LBB1392_201
; %bb.196:
	v_cmp_ge_u32_e32 vcc, v15, v14
	s_and_saveexec_b64 s[4:5], vcc
	s_xor_b64 s[4:5], exec, s[4:5]
	s_cbranch_execz .LBB1392_198
; %bb.197:
	v_add_co_u32_e32 v15, vcc, v7, v15
	v_lshlrev_b32_e32 v17, 2, v0
	v_addc_co_u32_e32 v16, vcc, 0, v13, vcc
	ds_read_b32 v17, v17 offset:5120
	v_lshlrev_b64 v[15:16], 2, v[15:16]
	v_mov_b32_e32 v18, s31
	v_sub_co_u32_e32 v15, vcc, s30, v15
	v_subb_co_u32_e32 v16, vcc, v18, v16, vcc
	s_waitcnt lgkmcnt(0)
	global_store_dword v[15:16], v17, off offset:-4
                                        ; implicit-def: $vgpr15
.LBB1392_198:
	s_andn2_saveexec_b64 s[4:5], s[4:5]
	s_cbranch_execz .LBB1392_200
; %bb.199:
	v_lshlrev_b32_e32 v16, 2, v0
	ds_read_b32 v16, v16 offset:5120
	v_lshlrev_b32_e32 v15, 2, v15
	v_readfirstlane_b32 s6, v9
	v_readfirstlane_b32 s7, v10
	s_waitcnt lgkmcnt(0)
	s_nop 3
	global_store_dword v15, v16, s[6:7]
.LBB1392_200:
	s_or_b64 exec, exec, s[4:5]
                                        ; implicit-def: $vgpr15
.LBB1392_201:
	s_andn2_saveexec_b64 s[2:3], s[2:3]
	s_cbranch_execz .LBB1392_203
; %bb.202:
	v_lshlrev_b32_e32 v16, 2, v0
	ds_read_b32 v16, v16 offset:5120
	v_lshlrev_b32_e32 v15, 2, v15
	v_readfirstlane_b32 s4, v11
	v_readfirstlane_b32 s5, v12
	s_waitcnt lgkmcnt(0)
	s_nop 3
	global_store_dword v15, v16, s[4:5]
.LBB1392_203:
	s_or_b64 exec, exec, s[2:3]
	v_or_b32_e32 v15, 0x600, v0
	v_cmp_ge_u32_e32 vcc, v15, v5
	s_and_saveexec_b64 s[2:3], vcc
	s_xor_b64 s[2:3], exec, s[2:3]
	s_cbranch_execz .LBB1392_209
; %bb.204:
	v_cmp_ge_u32_e32 vcc, v15, v14
	s_and_saveexec_b64 s[4:5], vcc
	s_xor_b64 s[4:5], exec, s[4:5]
	s_cbranch_execz .LBB1392_206
; %bb.205:
	v_add_co_u32_e32 v15, vcc, v7, v15
	v_lshlrev_b32_e32 v17, 2, v0
	v_addc_co_u32_e32 v16, vcc, 0, v13, vcc
	ds_read_b32 v17, v17 offset:6144
	v_lshlrev_b64 v[15:16], 2, v[15:16]
	v_mov_b32_e32 v18, s31
	v_sub_co_u32_e32 v15, vcc, s30, v15
	v_subb_co_u32_e32 v16, vcc, v18, v16, vcc
	s_waitcnt lgkmcnt(0)
	global_store_dword v[15:16], v17, off offset:-4
                                        ; implicit-def: $vgpr15
.LBB1392_206:
	s_andn2_saveexec_b64 s[4:5], s[4:5]
	s_cbranch_execz .LBB1392_208
; %bb.207:
	v_lshlrev_b32_e32 v16, 2, v0
	ds_read_b32 v16, v16 offset:6144
	v_lshlrev_b32_e32 v15, 2, v15
	v_readfirstlane_b32 s6, v9
	v_readfirstlane_b32 s7, v10
	s_waitcnt lgkmcnt(0)
	s_nop 3
	global_store_dword v15, v16, s[6:7]
.LBB1392_208:
	s_or_b64 exec, exec, s[4:5]
                                        ; implicit-def: $vgpr15
.LBB1392_209:
	;; [unrolled: 51-line block ×8, first 2 shown]
	s_andn2_saveexec_b64 s[2:3], s[2:3]
	s_cbranch_execz .LBB1392_259
; %bb.258:
	v_lshlrev_b32_e32 v16, 2, v0
	ds_read_b32 v16, v16 offset:12288
	v_lshlrev_b32_e32 v15, 2, v15
	v_readfirstlane_b32 s4, v11
	v_readfirstlane_b32 s5, v12
	s_waitcnt lgkmcnt(0)
	s_nop 3
	global_store_dword v15, v16, s[4:5]
.LBB1392_259:
	s_or_b64 exec, exec, s[2:3]
	s_branch .LBB1392_153
.LBB1392_260:
	v_cmp_gt_u32_e32 vcc, s16, v0
	s_and_saveexec_b64 s[2:3], vcc
	s_cbranch_execz .LBB1392_269
; %bb.261:
	v_cmp_ge_u32_e32 vcc, v0, v5
	s_and_saveexec_b64 s[4:5], vcc
	s_xor_b64 s[4:5], exec, s[4:5]
	s_cbranch_execz .LBB1392_267
; %bb.262:
	v_cmp_ge_u32_e32 vcc, v0, v14
	s_and_saveexec_b64 s[6:7], vcc
	s_xor_b64 s[6:7], exec, s[6:7]
	s_cbranch_execz .LBB1392_264
; %bb.263:
	v_add_co_u32_e32 v15, vcc, v7, v0
	v_lshlrev_b32_e32 v17, 2, v0
	v_addc_co_u32_e32 v16, vcc, 0, v13, vcc
	ds_read_b32 v17, v17
	v_lshlrev_b64 v[15:16], 2, v[15:16]
	v_mov_b32_e32 v18, s31
	v_sub_co_u32_e32 v15, vcc, s30, v15
	v_subb_co_u32_e32 v16, vcc, v18, v16, vcc
	s_waitcnt lgkmcnt(0)
	global_store_dword v[15:16], v17, off offset:-4
.LBB1392_264:
	s_andn2_saveexec_b64 s[6:7], s[6:7]
	s_cbranch_execz .LBB1392_266
; %bb.265:
	v_lshlrev_b32_e32 v15, 2, v0
	ds_read_b32 v16, v15
	v_readfirstlane_b32 s8, v9
	v_readfirstlane_b32 s9, v10
	s_waitcnt lgkmcnt(0)
	s_nop 3
	global_store_dword v15, v16, s[8:9]
.LBB1392_266:
	s_or_b64 exec, exec, s[6:7]
.LBB1392_267:
	s_andn2_saveexec_b64 s[4:5], s[4:5]
	s_cbranch_execz .LBB1392_269
; %bb.268:
	v_lshlrev_b32_e32 v15, 2, v0
	ds_read_b32 v16, v15
	v_readfirstlane_b32 s4, v11
	v_readfirstlane_b32 s5, v12
	s_waitcnt lgkmcnt(0)
	s_nop 3
	global_store_dword v15, v16, s[4:5]
.LBB1392_269:
	s_or_b64 exec, exec, s[2:3]
	v_or_b32_e32 v15, 0x100, v0
	v_cmp_gt_u32_e32 vcc, s16, v15
	s_and_saveexec_b64 s[2:3], vcc
	s_cbranch_execz .LBB1392_278
; %bb.270:
	v_cmp_ge_u32_e32 vcc, v15, v5
	s_and_saveexec_b64 s[4:5], vcc
	s_xor_b64 s[4:5], exec, s[4:5]
	s_cbranch_execz .LBB1392_276
; %bb.271:
	v_cmp_ge_u32_e32 vcc, v15, v14
	s_and_saveexec_b64 s[6:7], vcc
	s_xor_b64 s[6:7], exec, s[6:7]
	s_cbranch_execz .LBB1392_273
; %bb.272:
	v_lshlrev_b32_e32 v15, 2, v0
	ds_read_b32 v17, v15 offset:1024
	v_add_co_u32_e32 v15, vcc, v7, v0
	v_addc_co_u32_e32 v16, vcc, 0, v13, vcc
	v_lshlrev_b64 v[15:16], 2, v[15:16]
	v_mov_b32_e32 v18, s31
	v_sub_co_u32_e32 v15, vcc, s30, v15
	v_subb_co_u32_e32 v16, vcc, v18, v16, vcc
	s_waitcnt lgkmcnt(0)
	global_store_dword v[15:16], v17, off offset:-1028
.LBB1392_273:
	s_andn2_saveexec_b64 s[6:7], s[6:7]
	s_cbranch_execz .LBB1392_275
; %bb.274:
	v_lshlrev_b32_e32 v15, 2, v0
	ds_read_b32 v16, v15 offset:1024
	v_readfirstlane_b32 s8, v9
	v_readfirstlane_b32 s9, v10
	s_waitcnt lgkmcnt(0)
	s_nop 3
	global_store_dword v15, v16, s[8:9] offset:1024
.LBB1392_275:
	s_or_b64 exec, exec, s[6:7]
.LBB1392_276:
	s_andn2_saveexec_b64 s[4:5], s[4:5]
	s_cbranch_execz .LBB1392_278
; %bb.277:
	v_lshlrev_b32_e32 v15, 2, v0
	ds_read_b32 v16, v15 offset:1024
	v_readfirstlane_b32 s4, v11
	v_readfirstlane_b32 s5, v12
	s_waitcnt lgkmcnt(0)
	s_nop 3
	global_store_dword v15, v16, s[4:5] offset:1024
.LBB1392_278:
	s_or_b64 exec, exec, s[2:3]
	v_or_b32_e32 v15, 0x200, v0
	v_cmp_gt_u32_e32 vcc, s16, v15
	s_and_saveexec_b64 s[2:3], vcc
	s_cbranch_execz .LBB1392_287
; %bb.279:
	v_cmp_ge_u32_e32 vcc, v15, v5
	s_and_saveexec_b64 s[4:5], vcc
	s_xor_b64 s[4:5], exec, s[4:5]
	s_cbranch_execz .LBB1392_285
; %bb.280:
	v_cmp_ge_u32_e32 vcc, v15, v14
	s_and_saveexec_b64 s[6:7], vcc
	s_xor_b64 s[6:7], exec, s[6:7]
	s_cbranch_execz .LBB1392_282
; %bb.281:
	v_lshlrev_b32_e32 v15, 2, v0
	ds_read_b32 v17, v15 offset:2048
	v_add_co_u32_e32 v15, vcc, v7, v0
	v_addc_co_u32_e32 v16, vcc, 0, v13, vcc
	v_lshlrev_b64 v[15:16], 2, v[15:16]
	v_mov_b32_e32 v18, s31
	v_sub_co_u32_e32 v15, vcc, s30, v15
	v_subb_co_u32_e32 v16, vcc, v18, v16, vcc
	s_waitcnt lgkmcnt(0)
	global_store_dword v[15:16], v17, off offset:-2052
.LBB1392_282:
	s_andn2_saveexec_b64 s[6:7], s[6:7]
	s_cbranch_execz .LBB1392_284
; %bb.283:
	v_lshlrev_b32_e32 v15, 2, v0
	ds_read_b32 v16, v15 offset:2048
	v_readfirstlane_b32 s8, v9
	v_readfirstlane_b32 s9, v10
	s_waitcnt lgkmcnt(0)
	s_nop 3
	global_store_dword v15, v16, s[8:9] offset:2048
.LBB1392_284:
	s_or_b64 exec, exec, s[6:7]
.LBB1392_285:
	s_andn2_saveexec_b64 s[4:5], s[4:5]
	s_cbranch_execz .LBB1392_287
; %bb.286:
	v_lshlrev_b32_e32 v15, 2, v0
	ds_read_b32 v16, v15 offset:2048
	v_readfirstlane_b32 s4, v11
	v_readfirstlane_b32 s5, v12
	s_waitcnt lgkmcnt(0)
	s_nop 3
	global_store_dword v15, v16, s[4:5] offset:2048
.LBB1392_287:
	s_or_b64 exec, exec, s[2:3]
	v_or_b32_e32 v15, 0x300, v0
	v_cmp_gt_u32_e32 vcc, s16, v15
	s_and_saveexec_b64 s[2:3], vcc
	s_cbranch_execz .LBB1392_296
; %bb.288:
	v_cmp_ge_u32_e32 vcc, v15, v5
	s_and_saveexec_b64 s[4:5], vcc
	s_xor_b64 s[4:5], exec, s[4:5]
	s_cbranch_execz .LBB1392_294
; %bb.289:
	v_cmp_ge_u32_e32 vcc, v15, v14
	s_and_saveexec_b64 s[6:7], vcc
	s_xor_b64 s[6:7], exec, s[6:7]
	s_cbranch_execz .LBB1392_291
; %bb.290:
	v_lshlrev_b32_e32 v15, 2, v0
	ds_read_b32 v17, v15 offset:3072
	v_add_co_u32_e32 v15, vcc, v7, v0
	v_addc_co_u32_e32 v16, vcc, 0, v13, vcc
	v_lshlrev_b64 v[15:16], 2, v[15:16]
	v_mov_b32_e32 v18, s31
	v_sub_co_u32_e32 v15, vcc, s30, v15
	v_subb_co_u32_e32 v16, vcc, v18, v16, vcc
	s_waitcnt lgkmcnt(0)
	global_store_dword v[15:16], v17, off offset:-3076
.LBB1392_291:
	s_andn2_saveexec_b64 s[6:7], s[6:7]
	s_cbranch_execz .LBB1392_293
; %bb.292:
	v_lshlrev_b32_e32 v15, 2, v0
	ds_read_b32 v16, v15 offset:3072
	v_readfirstlane_b32 s8, v9
	v_readfirstlane_b32 s9, v10
	s_waitcnt lgkmcnt(0)
	s_nop 3
	global_store_dword v15, v16, s[8:9] offset:3072
.LBB1392_293:
	s_or_b64 exec, exec, s[6:7]
.LBB1392_294:
	s_andn2_saveexec_b64 s[4:5], s[4:5]
	s_cbranch_execz .LBB1392_296
; %bb.295:
	v_lshlrev_b32_e32 v15, 2, v0
	ds_read_b32 v16, v15 offset:3072
	v_readfirstlane_b32 s4, v11
	v_readfirstlane_b32 s5, v12
	s_waitcnt lgkmcnt(0)
	s_nop 3
	global_store_dword v15, v16, s[4:5] offset:3072
.LBB1392_296:
	s_or_b64 exec, exec, s[2:3]
	v_or_b32_e32 v15, 0x400, v0
	v_cmp_gt_u32_e32 vcc, s16, v15
	s_and_saveexec_b64 s[2:3], vcc
	s_cbranch_execz .LBB1392_305
; %bb.297:
	v_cmp_ge_u32_e32 vcc, v15, v5
	s_and_saveexec_b64 s[4:5], vcc
	s_xor_b64 s[4:5], exec, s[4:5]
	s_cbranch_execz .LBB1392_303
; %bb.298:
	v_cmp_ge_u32_e32 vcc, v15, v14
	s_and_saveexec_b64 s[6:7], vcc
	s_xor_b64 s[6:7], exec, s[6:7]
	s_cbranch_execz .LBB1392_300
; %bb.299:
	v_lshlrev_b32_e32 v15, 2, v0
	ds_read_b32 v17, v15 offset:4096
	v_add_co_u32_e32 v15, vcc, v7, v0
	v_addc_co_u32_e32 v16, vcc, 0, v13, vcc
	v_lshlrev_b64 v[15:16], 2, v[15:16]
	v_mov_b32_e32 v18, s31
	v_sub_co_u32_e32 v15, vcc, s30, v15
	v_subb_co_u32_e32 v16, vcc, v18, v16, vcc
	v_add_co_u32_e32 v15, vcc, 0xfffff000, v15
	v_addc_co_u32_e32 v16, vcc, -1, v16, vcc
	s_waitcnt lgkmcnt(0)
	global_store_dword v[15:16], v17, off offset:-4
                                        ; implicit-def: $vgpr15
.LBB1392_300:
	s_andn2_saveexec_b64 s[6:7], s[6:7]
	s_cbranch_execz .LBB1392_302
; %bb.301:
	v_lshlrev_b32_e32 v16, 2, v0
	ds_read_b32 v16, v16 offset:4096
	v_lshlrev_b32_e32 v15, 2, v15
	v_readfirstlane_b32 s8, v9
	v_readfirstlane_b32 s9, v10
	s_waitcnt lgkmcnt(0)
	s_nop 3
	global_store_dword v15, v16, s[8:9]
.LBB1392_302:
	s_or_b64 exec, exec, s[6:7]
                                        ; implicit-def: $vgpr15
.LBB1392_303:
	s_andn2_saveexec_b64 s[4:5], s[4:5]
	s_cbranch_execz .LBB1392_305
; %bb.304:
	v_lshlrev_b32_e32 v16, 2, v0
	ds_read_b32 v16, v16 offset:4096
	v_lshlrev_b32_e32 v15, 2, v15
	v_readfirstlane_b32 s4, v11
	v_readfirstlane_b32 s5, v12
	s_waitcnt lgkmcnt(0)
	s_nop 3
	global_store_dword v15, v16, s[4:5]
.LBB1392_305:
	s_or_b64 exec, exec, s[2:3]
	v_or_b32_e32 v15, 0x500, v0
	v_cmp_gt_u32_e32 vcc, s16, v15
	s_and_saveexec_b64 s[2:3], vcc
	s_cbranch_execz .LBB1392_314
; %bb.306:
	v_cmp_ge_u32_e32 vcc, v15, v5
	s_and_saveexec_b64 s[4:5], vcc
	s_xor_b64 s[4:5], exec, s[4:5]
	s_cbranch_execz .LBB1392_312
; %bb.307:
	v_cmp_ge_u32_e32 vcc, v15, v14
	s_and_saveexec_b64 s[6:7], vcc
	s_xor_b64 s[6:7], exec, s[6:7]
	s_cbranch_execz .LBB1392_309
; %bb.308:
	v_add_co_u32_e32 v15, vcc, v7, v15
	v_lshlrev_b32_e32 v17, 2, v0
	v_addc_co_u32_e32 v16, vcc, 0, v13, vcc
	ds_read_b32 v17, v17 offset:5120
	v_lshlrev_b64 v[15:16], 2, v[15:16]
	v_mov_b32_e32 v18, s31
	v_sub_co_u32_e32 v15, vcc, s30, v15
	v_subb_co_u32_e32 v16, vcc, v18, v16, vcc
	s_waitcnt lgkmcnt(0)
	global_store_dword v[15:16], v17, off offset:-4
                                        ; implicit-def: $vgpr15
.LBB1392_309:
	s_andn2_saveexec_b64 s[6:7], s[6:7]
	s_cbranch_execz .LBB1392_311
; %bb.310:
	v_lshlrev_b32_e32 v16, 2, v0
	ds_read_b32 v16, v16 offset:5120
	v_lshlrev_b32_e32 v15, 2, v15
	v_readfirstlane_b32 s8, v9
	v_readfirstlane_b32 s9, v10
	s_waitcnt lgkmcnt(0)
	s_nop 3
	global_store_dword v15, v16, s[8:9]
.LBB1392_311:
	s_or_b64 exec, exec, s[6:7]
                                        ; implicit-def: $vgpr15
.LBB1392_312:
	s_andn2_saveexec_b64 s[4:5], s[4:5]
	s_cbranch_execz .LBB1392_314
; %bb.313:
	v_lshlrev_b32_e32 v16, 2, v0
	ds_read_b32 v16, v16 offset:5120
	v_lshlrev_b32_e32 v15, 2, v15
	v_readfirstlane_b32 s4, v11
	v_readfirstlane_b32 s5, v12
	s_waitcnt lgkmcnt(0)
	s_nop 3
	global_store_dword v15, v16, s[4:5]
.LBB1392_314:
	s_or_b64 exec, exec, s[2:3]
	v_or_b32_e32 v15, 0x600, v0
	v_cmp_gt_u32_e32 vcc, s16, v15
	s_and_saveexec_b64 s[2:3], vcc
	s_cbranch_execz .LBB1392_323
; %bb.315:
	v_cmp_ge_u32_e32 vcc, v15, v5
	s_and_saveexec_b64 s[4:5], vcc
	s_xor_b64 s[4:5], exec, s[4:5]
	s_cbranch_execz .LBB1392_321
; %bb.316:
	v_cmp_ge_u32_e32 vcc, v15, v14
	s_and_saveexec_b64 s[6:7], vcc
	s_xor_b64 s[6:7], exec, s[6:7]
	s_cbranch_execz .LBB1392_318
; %bb.317:
	v_add_co_u32_e32 v15, vcc, v7, v15
	v_lshlrev_b32_e32 v17, 2, v0
	v_addc_co_u32_e32 v16, vcc, 0, v13, vcc
	ds_read_b32 v17, v17 offset:6144
	v_lshlrev_b64 v[15:16], 2, v[15:16]
	v_mov_b32_e32 v18, s31
	v_sub_co_u32_e32 v15, vcc, s30, v15
	v_subb_co_u32_e32 v16, vcc, v18, v16, vcc
	s_waitcnt lgkmcnt(0)
	global_store_dword v[15:16], v17, off offset:-4
                                        ; implicit-def: $vgpr15
.LBB1392_318:
	s_andn2_saveexec_b64 s[6:7], s[6:7]
	s_cbranch_execz .LBB1392_320
; %bb.319:
	v_lshlrev_b32_e32 v16, 2, v0
	ds_read_b32 v16, v16 offset:6144
	v_lshlrev_b32_e32 v15, 2, v15
	v_readfirstlane_b32 s8, v9
	v_readfirstlane_b32 s9, v10
	s_waitcnt lgkmcnt(0)
	s_nop 3
	global_store_dword v15, v16, s[8:9]
.LBB1392_320:
	s_or_b64 exec, exec, s[6:7]
                                        ; implicit-def: $vgpr15
.LBB1392_321:
	s_andn2_saveexec_b64 s[4:5], s[4:5]
	s_cbranch_execz .LBB1392_323
; %bb.322:
	v_lshlrev_b32_e32 v16, 2, v0
	ds_read_b32 v16, v16 offset:6144
	v_lshlrev_b32_e32 v15, 2, v15
	v_readfirstlane_b32 s4, v11
	v_readfirstlane_b32 s5, v12
	s_waitcnt lgkmcnt(0)
	s_nop 3
	global_store_dword v15, v16, s[4:5]
.LBB1392_323:
	;; [unrolled: 55-line block ×7, first 2 shown]
	s_or_b64 exec, exec, s[2:3]
	v_or_b32_e32 v15, 0xc00, v0
	v_cmp_gt_u32_e32 vcc, s16, v15
	s_and_saveexec_b64 s[2:3], vcc
	s_cbranch_execz .LBB1392_377
; %bb.369:
	v_cmp_ge_u32_e32 vcc, v15, v5
	s_and_saveexec_b64 s[4:5], vcc
	s_xor_b64 s[4:5], exec, s[4:5]
	s_cbranch_execz .LBB1392_375
; %bb.370:
	v_cmp_ge_u32_e32 vcc, v15, v14
	s_and_saveexec_b64 s[6:7], vcc
	s_xor_b64 s[6:7], exec, s[6:7]
	s_cbranch_execz .LBB1392_372
; %bb.371:
	v_add_co_u32_e32 v9, vcc, v7, v15
	v_lshlrev_b32_e32 v0, 2, v0
	v_addc_co_u32_e32 v10, vcc, 0, v13, vcc
	ds_read_b32 v0, v0 offset:12288
	v_lshlrev_b64 v[9:10], 2, v[9:10]
	v_mov_b32_e32 v7, s31
	v_sub_co_u32_e32 v9, vcc, s30, v9
	v_subb_co_u32_e32 v10, vcc, v7, v10, vcc
	s_waitcnt lgkmcnt(0)
	global_store_dword v[9:10], v0, off offset:-4
                                        ; implicit-def: $vgpr0
                                        ; implicit-def: $vgpr15
                                        ; implicit-def: $vgpr9_vgpr10
.LBB1392_372:
	s_andn2_saveexec_b64 s[6:7], s[6:7]
	s_cbranch_execz .LBB1392_374
; %bb.373:
	v_lshlrev_b32_e32 v0, 2, v0
	ds_read_b32 v0, v0 offset:12288
	v_lshlrev_b32_e32 v7, 2, v15
	v_readfirstlane_b32 s8, v9
	v_readfirstlane_b32 s9, v10
	s_waitcnt lgkmcnt(0)
	s_nop 3
	global_store_dword v7, v0, s[8:9]
.LBB1392_374:
	s_or_b64 exec, exec, s[6:7]
                                        ; implicit-def: $vgpr0
                                        ; implicit-def: $vgpr15
                                        ; implicit-def: $vgpr11_vgpr12
.LBB1392_375:
	s_andn2_saveexec_b64 s[4:5], s[4:5]
	s_cbranch_execz .LBB1392_377
; %bb.376:
	v_lshlrev_b32_e32 v0, 2, v0
	ds_read_b32 v0, v0 offset:12288
	v_lshlrev_b32_e32 v7, 2, v15
	v_readfirstlane_b32 s4, v11
	v_readfirstlane_b32 s5, v12
	s_waitcnt lgkmcnt(0)
	s_nop 3
	global_store_dword v7, v0, s[4:5]
.LBB1392_377:
	s_or_b64 exec, exec, s[2:3]
	s_and_b64 s[0:1], s[0:1], s[34:35]
	s_and_saveexec_b64 s[2:3], s[0:1]
	s_cbranch_execz .LBB1392_154
.LBB1392_378:
	v_add_co_u32_e32 v3, vcc, v3, v6
	v_addc_co_u32_e32 v4, vcc, 0, v4, vcc
	v_add_co_u32_e32 v3, vcc, v3, v8
	v_addc_co_u32_e32 v4, vcc, 0, v4, vcc
	v_add_co_u32_e32 v1, vcc, v1, v5
	v_mov_b32_e32 v0, 0
	v_addc_co_u32_e32 v2, vcc, 0, v2, vcc
	global_store_dwordx4 v0, v[1:4], s[44:45]
	s_endpgm
.LBB1392_379:
	s_add_i32 s14, s33, 64
	s_mov_b32 s15, 0
	s_lshl_b64 s[14:15], s[14:15], 4
	s_add_u32 s14, s54, s14
	s_addc_u32 s15, s55, s15
	v_mov_b32_e32 v28, s15
	v_add_u32_e32 v10, v8, v6
	v_add_u32_e32 v9, v7, v5
	v_mov_b32_e32 v11, 2
	v_mov_b32_e32 v12, 0
	;; [unrolled: 1-line block ×3, first 2 shown]
	;;#ASMSTART
	global_store_dwordx4 v[27:28], v[9:12] off	
s_waitcnt vmcnt(0)
	;;#ASMEND
	s_or_b64 exec, exec, s[12:13]
	s_and_saveexec_b64 s[12:13], s[8:9]
	s_cbranch_execz .LBB1392_139
.LBB1392_380:
	v_mov_b32_e32 v9, 0
	ds_write_b128 v9, v[5:8] offset:13312
	s_or_b64 exec, exec, s[12:13]
	s_and_b64 exec, exec, s[0:1]
	s_cbranch_execnz .LBB1392_140
	s_branch .LBB1392_141
	.section	.rodata,"a",@progbits
	.p2align	6, 0x0
	.amdhsa_kernel _ZN7rocprim17ROCPRIM_400000_NS6detail17trampoline_kernelINS0_13select_configILj256ELj13ELNS0_17block_load_methodE3ELS4_3ELS4_3ELNS0_20block_scan_algorithmE0ELj4294967295EEENS1_25partition_config_selectorILNS1_17partition_subalgoE4EjNS0_10empty_typeEbEEZZNS1_14partition_implILS8_4ELb0ES6_15HIP_vector_typeIjLj2EENS0_17counting_iteratorIjlEEPS9_SG_NS0_5tupleIJPjSI_NS0_16reverse_iteratorISI_EEEEENSH_IJSG_SG_SG_EEES9_SI_JZNS1_25segmented_radix_sort_implINS0_14default_configELb0EPKfPfPKlPlN2at6native12_GLOBAL__N_18offset_tEEE10hipError_tPvRmT1_PNSt15iterator_traitsIS12_E10value_typeET2_T3_PNS13_IS18_E10value_typeET4_jRbjT5_S1E_jjP12ihipStream_tbEUljE_ZNSN_ISO_Lb0ESQ_SR_ST_SU_SY_EESZ_S10_S11_S12_S16_S17_S18_S1B_S1C_jS1D_jS1E_S1E_jjS1G_bEUljE0_EEESZ_S10_S11_S18_S1C_S1E_T6_T7_T9_mT8_S1G_bDpT10_ENKUlT_T0_E_clISt17integral_constantIbLb0EES1T_IbLb1EEEEDaS1P_S1Q_EUlS1P_E_NS1_11comp_targetILNS1_3genE2ELNS1_11target_archE906ELNS1_3gpuE6ELNS1_3repE0EEENS1_30default_config_static_selectorELNS0_4arch9wavefront6targetE1EEEvS12_
		.amdhsa_group_segment_fixed_size 13328
		.amdhsa_private_segment_fixed_size 0
		.amdhsa_kernarg_size 184
		.amdhsa_user_sgpr_count 6
		.amdhsa_user_sgpr_private_segment_buffer 1
		.amdhsa_user_sgpr_dispatch_ptr 0
		.amdhsa_user_sgpr_queue_ptr 0
		.amdhsa_user_sgpr_kernarg_segment_ptr 1
		.amdhsa_user_sgpr_dispatch_id 0
		.amdhsa_user_sgpr_flat_scratch_init 0
		.amdhsa_user_sgpr_private_segment_size 0
		.amdhsa_uses_dynamic_stack 0
		.amdhsa_system_sgpr_private_segment_wavefront_offset 0
		.amdhsa_system_sgpr_workgroup_id_x 1
		.amdhsa_system_sgpr_workgroup_id_y 0
		.amdhsa_system_sgpr_workgroup_id_z 0
		.amdhsa_system_sgpr_workgroup_info 0
		.amdhsa_system_vgpr_workitem_id 0
		.amdhsa_next_free_vgpr 91
		.amdhsa_next_free_sgpr 98
		.amdhsa_reserve_vcc 1
		.amdhsa_reserve_flat_scratch 0
		.amdhsa_float_round_mode_32 0
		.amdhsa_float_round_mode_16_64 0
		.amdhsa_float_denorm_mode_32 3
		.amdhsa_float_denorm_mode_16_64 3
		.amdhsa_dx10_clamp 1
		.amdhsa_ieee_mode 1
		.amdhsa_fp16_overflow 0
		.amdhsa_exception_fp_ieee_invalid_op 0
		.amdhsa_exception_fp_denorm_src 0
		.amdhsa_exception_fp_ieee_div_zero 0
		.amdhsa_exception_fp_ieee_overflow 0
		.amdhsa_exception_fp_ieee_underflow 0
		.amdhsa_exception_fp_ieee_inexact 0
		.amdhsa_exception_int_div_zero 0
	.end_amdhsa_kernel
	.section	.text._ZN7rocprim17ROCPRIM_400000_NS6detail17trampoline_kernelINS0_13select_configILj256ELj13ELNS0_17block_load_methodE3ELS4_3ELS4_3ELNS0_20block_scan_algorithmE0ELj4294967295EEENS1_25partition_config_selectorILNS1_17partition_subalgoE4EjNS0_10empty_typeEbEEZZNS1_14partition_implILS8_4ELb0ES6_15HIP_vector_typeIjLj2EENS0_17counting_iteratorIjlEEPS9_SG_NS0_5tupleIJPjSI_NS0_16reverse_iteratorISI_EEEEENSH_IJSG_SG_SG_EEES9_SI_JZNS1_25segmented_radix_sort_implINS0_14default_configELb0EPKfPfPKlPlN2at6native12_GLOBAL__N_18offset_tEEE10hipError_tPvRmT1_PNSt15iterator_traitsIS12_E10value_typeET2_T3_PNS13_IS18_E10value_typeET4_jRbjT5_S1E_jjP12ihipStream_tbEUljE_ZNSN_ISO_Lb0ESQ_SR_ST_SU_SY_EESZ_S10_S11_S12_S16_S17_S18_S1B_S1C_jS1D_jS1E_S1E_jjS1G_bEUljE0_EEESZ_S10_S11_S18_S1C_S1E_T6_T7_T9_mT8_S1G_bDpT10_ENKUlT_T0_E_clISt17integral_constantIbLb0EES1T_IbLb1EEEEDaS1P_S1Q_EUlS1P_E_NS1_11comp_targetILNS1_3genE2ELNS1_11target_archE906ELNS1_3gpuE6ELNS1_3repE0EEENS1_30default_config_static_selectorELNS0_4arch9wavefront6targetE1EEEvS12_,"axG",@progbits,_ZN7rocprim17ROCPRIM_400000_NS6detail17trampoline_kernelINS0_13select_configILj256ELj13ELNS0_17block_load_methodE3ELS4_3ELS4_3ELNS0_20block_scan_algorithmE0ELj4294967295EEENS1_25partition_config_selectorILNS1_17partition_subalgoE4EjNS0_10empty_typeEbEEZZNS1_14partition_implILS8_4ELb0ES6_15HIP_vector_typeIjLj2EENS0_17counting_iteratorIjlEEPS9_SG_NS0_5tupleIJPjSI_NS0_16reverse_iteratorISI_EEEEENSH_IJSG_SG_SG_EEES9_SI_JZNS1_25segmented_radix_sort_implINS0_14default_configELb0EPKfPfPKlPlN2at6native12_GLOBAL__N_18offset_tEEE10hipError_tPvRmT1_PNSt15iterator_traitsIS12_E10value_typeET2_T3_PNS13_IS18_E10value_typeET4_jRbjT5_S1E_jjP12ihipStream_tbEUljE_ZNSN_ISO_Lb0ESQ_SR_ST_SU_SY_EESZ_S10_S11_S12_S16_S17_S18_S1B_S1C_jS1D_jS1E_S1E_jjS1G_bEUljE0_EEESZ_S10_S11_S18_S1C_S1E_T6_T7_T9_mT8_S1G_bDpT10_ENKUlT_T0_E_clISt17integral_constantIbLb0EES1T_IbLb1EEEEDaS1P_S1Q_EUlS1P_E_NS1_11comp_targetILNS1_3genE2ELNS1_11target_archE906ELNS1_3gpuE6ELNS1_3repE0EEENS1_30default_config_static_selectorELNS0_4arch9wavefront6targetE1EEEvS12_,comdat
.Lfunc_end1392:
	.size	_ZN7rocprim17ROCPRIM_400000_NS6detail17trampoline_kernelINS0_13select_configILj256ELj13ELNS0_17block_load_methodE3ELS4_3ELS4_3ELNS0_20block_scan_algorithmE0ELj4294967295EEENS1_25partition_config_selectorILNS1_17partition_subalgoE4EjNS0_10empty_typeEbEEZZNS1_14partition_implILS8_4ELb0ES6_15HIP_vector_typeIjLj2EENS0_17counting_iteratorIjlEEPS9_SG_NS0_5tupleIJPjSI_NS0_16reverse_iteratorISI_EEEEENSH_IJSG_SG_SG_EEES9_SI_JZNS1_25segmented_radix_sort_implINS0_14default_configELb0EPKfPfPKlPlN2at6native12_GLOBAL__N_18offset_tEEE10hipError_tPvRmT1_PNSt15iterator_traitsIS12_E10value_typeET2_T3_PNS13_IS18_E10value_typeET4_jRbjT5_S1E_jjP12ihipStream_tbEUljE_ZNSN_ISO_Lb0ESQ_SR_ST_SU_SY_EESZ_S10_S11_S12_S16_S17_S18_S1B_S1C_jS1D_jS1E_S1E_jjS1G_bEUljE0_EEESZ_S10_S11_S18_S1C_S1E_T6_T7_T9_mT8_S1G_bDpT10_ENKUlT_T0_E_clISt17integral_constantIbLb0EES1T_IbLb1EEEEDaS1P_S1Q_EUlS1P_E_NS1_11comp_targetILNS1_3genE2ELNS1_11target_archE906ELNS1_3gpuE6ELNS1_3repE0EEENS1_30default_config_static_selectorELNS0_4arch9wavefront6targetE1EEEvS12_, .Lfunc_end1392-_ZN7rocprim17ROCPRIM_400000_NS6detail17trampoline_kernelINS0_13select_configILj256ELj13ELNS0_17block_load_methodE3ELS4_3ELS4_3ELNS0_20block_scan_algorithmE0ELj4294967295EEENS1_25partition_config_selectorILNS1_17partition_subalgoE4EjNS0_10empty_typeEbEEZZNS1_14partition_implILS8_4ELb0ES6_15HIP_vector_typeIjLj2EENS0_17counting_iteratorIjlEEPS9_SG_NS0_5tupleIJPjSI_NS0_16reverse_iteratorISI_EEEEENSH_IJSG_SG_SG_EEES9_SI_JZNS1_25segmented_radix_sort_implINS0_14default_configELb0EPKfPfPKlPlN2at6native12_GLOBAL__N_18offset_tEEE10hipError_tPvRmT1_PNSt15iterator_traitsIS12_E10value_typeET2_T3_PNS13_IS18_E10value_typeET4_jRbjT5_S1E_jjP12ihipStream_tbEUljE_ZNSN_ISO_Lb0ESQ_SR_ST_SU_SY_EESZ_S10_S11_S12_S16_S17_S18_S1B_S1C_jS1D_jS1E_S1E_jjS1G_bEUljE0_EEESZ_S10_S11_S18_S1C_S1E_T6_T7_T9_mT8_S1G_bDpT10_ENKUlT_T0_E_clISt17integral_constantIbLb0EES1T_IbLb1EEEEDaS1P_S1Q_EUlS1P_E_NS1_11comp_targetILNS1_3genE2ELNS1_11target_archE906ELNS1_3gpuE6ELNS1_3repE0EEENS1_30default_config_static_selectorELNS0_4arch9wavefront6targetE1EEEvS12_
                                        ; -- End function
	.set _ZN7rocprim17ROCPRIM_400000_NS6detail17trampoline_kernelINS0_13select_configILj256ELj13ELNS0_17block_load_methodE3ELS4_3ELS4_3ELNS0_20block_scan_algorithmE0ELj4294967295EEENS1_25partition_config_selectorILNS1_17partition_subalgoE4EjNS0_10empty_typeEbEEZZNS1_14partition_implILS8_4ELb0ES6_15HIP_vector_typeIjLj2EENS0_17counting_iteratorIjlEEPS9_SG_NS0_5tupleIJPjSI_NS0_16reverse_iteratorISI_EEEEENSH_IJSG_SG_SG_EEES9_SI_JZNS1_25segmented_radix_sort_implINS0_14default_configELb0EPKfPfPKlPlN2at6native12_GLOBAL__N_18offset_tEEE10hipError_tPvRmT1_PNSt15iterator_traitsIS12_E10value_typeET2_T3_PNS13_IS18_E10value_typeET4_jRbjT5_S1E_jjP12ihipStream_tbEUljE_ZNSN_ISO_Lb0ESQ_SR_ST_SU_SY_EESZ_S10_S11_S12_S16_S17_S18_S1B_S1C_jS1D_jS1E_S1E_jjS1G_bEUljE0_EEESZ_S10_S11_S18_S1C_S1E_T6_T7_T9_mT8_S1G_bDpT10_ENKUlT_T0_E_clISt17integral_constantIbLb0EES1T_IbLb1EEEEDaS1P_S1Q_EUlS1P_E_NS1_11comp_targetILNS1_3genE2ELNS1_11target_archE906ELNS1_3gpuE6ELNS1_3repE0EEENS1_30default_config_static_selectorELNS0_4arch9wavefront6targetE1EEEvS12_.num_vgpr, 91
	.set _ZN7rocprim17ROCPRIM_400000_NS6detail17trampoline_kernelINS0_13select_configILj256ELj13ELNS0_17block_load_methodE3ELS4_3ELS4_3ELNS0_20block_scan_algorithmE0ELj4294967295EEENS1_25partition_config_selectorILNS1_17partition_subalgoE4EjNS0_10empty_typeEbEEZZNS1_14partition_implILS8_4ELb0ES6_15HIP_vector_typeIjLj2EENS0_17counting_iteratorIjlEEPS9_SG_NS0_5tupleIJPjSI_NS0_16reverse_iteratorISI_EEEEENSH_IJSG_SG_SG_EEES9_SI_JZNS1_25segmented_radix_sort_implINS0_14default_configELb0EPKfPfPKlPlN2at6native12_GLOBAL__N_18offset_tEEE10hipError_tPvRmT1_PNSt15iterator_traitsIS12_E10value_typeET2_T3_PNS13_IS18_E10value_typeET4_jRbjT5_S1E_jjP12ihipStream_tbEUljE_ZNSN_ISO_Lb0ESQ_SR_ST_SU_SY_EESZ_S10_S11_S12_S16_S17_S18_S1B_S1C_jS1D_jS1E_S1E_jjS1G_bEUljE0_EEESZ_S10_S11_S18_S1C_S1E_T6_T7_T9_mT8_S1G_bDpT10_ENKUlT_T0_E_clISt17integral_constantIbLb0EES1T_IbLb1EEEEDaS1P_S1Q_EUlS1P_E_NS1_11comp_targetILNS1_3genE2ELNS1_11target_archE906ELNS1_3gpuE6ELNS1_3repE0EEENS1_30default_config_static_selectorELNS0_4arch9wavefront6targetE1EEEvS12_.num_agpr, 0
	.set _ZN7rocprim17ROCPRIM_400000_NS6detail17trampoline_kernelINS0_13select_configILj256ELj13ELNS0_17block_load_methodE3ELS4_3ELS4_3ELNS0_20block_scan_algorithmE0ELj4294967295EEENS1_25partition_config_selectorILNS1_17partition_subalgoE4EjNS0_10empty_typeEbEEZZNS1_14partition_implILS8_4ELb0ES6_15HIP_vector_typeIjLj2EENS0_17counting_iteratorIjlEEPS9_SG_NS0_5tupleIJPjSI_NS0_16reverse_iteratorISI_EEEEENSH_IJSG_SG_SG_EEES9_SI_JZNS1_25segmented_radix_sort_implINS0_14default_configELb0EPKfPfPKlPlN2at6native12_GLOBAL__N_18offset_tEEE10hipError_tPvRmT1_PNSt15iterator_traitsIS12_E10value_typeET2_T3_PNS13_IS18_E10value_typeET4_jRbjT5_S1E_jjP12ihipStream_tbEUljE_ZNSN_ISO_Lb0ESQ_SR_ST_SU_SY_EESZ_S10_S11_S12_S16_S17_S18_S1B_S1C_jS1D_jS1E_S1E_jjS1G_bEUljE0_EEESZ_S10_S11_S18_S1C_S1E_T6_T7_T9_mT8_S1G_bDpT10_ENKUlT_T0_E_clISt17integral_constantIbLb0EES1T_IbLb1EEEEDaS1P_S1Q_EUlS1P_E_NS1_11comp_targetILNS1_3genE2ELNS1_11target_archE906ELNS1_3gpuE6ELNS1_3repE0EEENS1_30default_config_static_selectorELNS0_4arch9wavefront6targetE1EEEvS12_.numbered_sgpr, 87
	.set _ZN7rocprim17ROCPRIM_400000_NS6detail17trampoline_kernelINS0_13select_configILj256ELj13ELNS0_17block_load_methodE3ELS4_3ELS4_3ELNS0_20block_scan_algorithmE0ELj4294967295EEENS1_25partition_config_selectorILNS1_17partition_subalgoE4EjNS0_10empty_typeEbEEZZNS1_14partition_implILS8_4ELb0ES6_15HIP_vector_typeIjLj2EENS0_17counting_iteratorIjlEEPS9_SG_NS0_5tupleIJPjSI_NS0_16reverse_iteratorISI_EEEEENSH_IJSG_SG_SG_EEES9_SI_JZNS1_25segmented_radix_sort_implINS0_14default_configELb0EPKfPfPKlPlN2at6native12_GLOBAL__N_18offset_tEEE10hipError_tPvRmT1_PNSt15iterator_traitsIS12_E10value_typeET2_T3_PNS13_IS18_E10value_typeET4_jRbjT5_S1E_jjP12ihipStream_tbEUljE_ZNSN_ISO_Lb0ESQ_SR_ST_SU_SY_EESZ_S10_S11_S12_S16_S17_S18_S1B_S1C_jS1D_jS1E_S1E_jjS1G_bEUljE0_EEESZ_S10_S11_S18_S1C_S1E_T6_T7_T9_mT8_S1G_bDpT10_ENKUlT_T0_E_clISt17integral_constantIbLb0EES1T_IbLb1EEEEDaS1P_S1Q_EUlS1P_E_NS1_11comp_targetILNS1_3genE2ELNS1_11target_archE906ELNS1_3gpuE6ELNS1_3repE0EEENS1_30default_config_static_selectorELNS0_4arch9wavefront6targetE1EEEvS12_.num_named_barrier, 0
	.set _ZN7rocprim17ROCPRIM_400000_NS6detail17trampoline_kernelINS0_13select_configILj256ELj13ELNS0_17block_load_methodE3ELS4_3ELS4_3ELNS0_20block_scan_algorithmE0ELj4294967295EEENS1_25partition_config_selectorILNS1_17partition_subalgoE4EjNS0_10empty_typeEbEEZZNS1_14partition_implILS8_4ELb0ES6_15HIP_vector_typeIjLj2EENS0_17counting_iteratorIjlEEPS9_SG_NS0_5tupleIJPjSI_NS0_16reverse_iteratorISI_EEEEENSH_IJSG_SG_SG_EEES9_SI_JZNS1_25segmented_radix_sort_implINS0_14default_configELb0EPKfPfPKlPlN2at6native12_GLOBAL__N_18offset_tEEE10hipError_tPvRmT1_PNSt15iterator_traitsIS12_E10value_typeET2_T3_PNS13_IS18_E10value_typeET4_jRbjT5_S1E_jjP12ihipStream_tbEUljE_ZNSN_ISO_Lb0ESQ_SR_ST_SU_SY_EESZ_S10_S11_S12_S16_S17_S18_S1B_S1C_jS1D_jS1E_S1E_jjS1G_bEUljE0_EEESZ_S10_S11_S18_S1C_S1E_T6_T7_T9_mT8_S1G_bDpT10_ENKUlT_T0_E_clISt17integral_constantIbLb0EES1T_IbLb1EEEEDaS1P_S1Q_EUlS1P_E_NS1_11comp_targetILNS1_3genE2ELNS1_11target_archE906ELNS1_3gpuE6ELNS1_3repE0EEENS1_30default_config_static_selectorELNS0_4arch9wavefront6targetE1EEEvS12_.private_seg_size, 0
	.set _ZN7rocprim17ROCPRIM_400000_NS6detail17trampoline_kernelINS0_13select_configILj256ELj13ELNS0_17block_load_methodE3ELS4_3ELS4_3ELNS0_20block_scan_algorithmE0ELj4294967295EEENS1_25partition_config_selectorILNS1_17partition_subalgoE4EjNS0_10empty_typeEbEEZZNS1_14partition_implILS8_4ELb0ES6_15HIP_vector_typeIjLj2EENS0_17counting_iteratorIjlEEPS9_SG_NS0_5tupleIJPjSI_NS0_16reverse_iteratorISI_EEEEENSH_IJSG_SG_SG_EEES9_SI_JZNS1_25segmented_radix_sort_implINS0_14default_configELb0EPKfPfPKlPlN2at6native12_GLOBAL__N_18offset_tEEE10hipError_tPvRmT1_PNSt15iterator_traitsIS12_E10value_typeET2_T3_PNS13_IS18_E10value_typeET4_jRbjT5_S1E_jjP12ihipStream_tbEUljE_ZNSN_ISO_Lb0ESQ_SR_ST_SU_SY_EESZ_S10_S11_S12_S16_S17_S18_S1B_S1C_jS1D_jS1E_S1E_jjS1G_bEUljE0_EEESZ_S10_S11_S18_S1C_S1E_T6_T7_T9_mT8_S1G_bDpT10_ENKUlT_T0_E_clISt17integral_constantIbLb0EES1T_IbLb1EEEEDaS1P_S1Q_EUlS1P_E_NS1_11comp_targetILNS1_3genE2ELNS1_11target_archE906ELNS1_3gpuE6ELNS1_3repE0EEENS1_30default_config_static_selectorELNS0_4arch9wavefront6targetE1EEEvS12_.uses_vcc, 1
	.set _ZN7rocprim17ROCPRIM_400000_NS6detail17trampoline_kernelINS0_13select_configILj256ELj13ELNS0_17block_load_methodE3ELS4_3ELS4_3ELNS0_20block_scan_algorithmE0ELj4294967295EEENS1_25partition_config_selectorILNS1_17partition_subalgoE4EjNS0_10empty_typeEbEEZZNS1_14partition_implILS8_4ELb0ES6_15HIP_vector_typeIjLj2EENS0_17counting_iteratorIjlEEPS9_SG_NS0_5tupleIJPjSI_NS0_16reverse_iteratorISI_EEEEENSH_IJSG_SG_SG_EEES9_SI_JZNS1_25segmented_radix_sort_implINS0_14default_configELb0EPKfPfPKlPlN2at6native12_GLOBAL__N_18offset_tEEE10hipError_tPvRmT1_PNSt15iterator_traitsIS12_E10value_typeET2_T3_PNS13_IS18_E10value_typeET4_jRbjT5_S1E_jjP12ihipStream_tbEUljE_ZNSN_ISO_Lb0ESQ_SR_ST_SU_SY_EESZ_S10_S11_S12_S16_S17_S18_S1B_S1C_jS1D_jS1E_S1E_jjS1G_bEUljE0_EEESZ_S10_S11_S18_S1C_S1E_T6_T7_T9_mT8_S1G_bDpT10_ENKUlT_T0_E_clISt17integral_constantIbLb0EES1T_IbLb1EEEEDaS1P_S1Q_EUlS1P_E_NS1_11comp_targetILNS1_3genE2ELNS1_11target_archE906ELNS1_3gpuE6ELNS1_3repE0EEENS1_30default_config_static_selectorELNS0_4arch9wavefront6targetE1EEEvS12_.uses_flat_scratch, 0
	.set _ZN7rocprim17ROCPRIM_400000_NS6detail17trampoline_kernelINS0_13select_configILj256ELj13ELNS0_17block_load_methodE3ELS4_3ELS4_3ELNS0_20block_scan_algorithmE0ELj4294967295EEENS1_25partition_config_selectorILNS1_17partition_subalgoE4EjNS0_10empty_typeEbEEZZNS1_14partition_implILS8_4ELb0ES6_15HIP_vector_typeIjLj2EENS0_17counting_iteratorIjlEEPS9_SG_NS0_5tupleIJPjSI_NS0_16reverse_iteratorISI_EEEEENSH_IJSG_SG_SG_EEES9_SI_JZNS1_25segmented_radix_sort_implINS0_14default_configELb0EPKfPfPKlPlN2at6native12_GLOBAL__N_18offset_tEEE10hipError_tPvRmT1_PNSt15iterator_traitsIS12_E10value_typeET2_T3_PNS13_IS18_E10value_typeET4_jRbjT5_S1E_jjP12ihipStream_tbEUljE_ZNSN_ISO_Lb0ESQ_SR_ST_SU_SY_EESZ_S10_S11_S12_S16_S17_S18_S1B_S1C_jS1D_jS1E_S1E_jjS1G_bEUljE0_EEESZ_S10_S11_S18_S1C_S1E_T6_T7_T9_mT8_S1G_bDpT10_ENKUlT_T0_E_clISt17integral_constantIbLb0EES1T_IbLb1EEEEDaS1P_S1Q_EUlS1P_E_NS1_11comp_targetILNS1_3genE2ELNS1_11target_archE906ELNS1_3gpuE6ELNS1_3repE0EEENS1_30default_config_static_selectorELNS0_4arch9wavefront6targetE1EEEvS12_.has_dyn_sized_stack, 0
	.set _ZN7rocprim17ROCPRIM_400000_NS6detail17trampoline_kernelINS0_13select_configILj256ELj13ELNS0_17block_load_methodE3ELS4_3ELS4_3ELNS0_20block_scan_algorithmE0ELj4294967295EEENS1_25partition_config_selectorILNS1_17partition_subalgoE4EjNS0_10empty_typeEbEEZZNS1_14partition_implILS8_4ELb0ES6_15HIP_vector_typeIjLj2EENS0_17counting_iteratorIjlEEPS9_SG_NS0_5tupleIJPjSI_NS0_16reverse_iteratorISI_EEEEENSH_IJSG_SG_SG_EEES9_SI_JZNS1_25segmented_radix_sort_implINS0_14default_configELb0EPKfPfPKlPlN2at6native12_GLOBAL__N_18offset_tEEE10hipError_tPvRmT1_PNSt15iterator_traitsIS12_E10value_typeET2_T3_PNS13_IS18_E10value_typeET4_jRbjT5_S1E_jjP12ihipStream_tbEUljE_ZNSN_ISO_Lb0ESQ_SR_ST_SU_SY_EESZ_S10_S11_S12_S16_S17_S18_S1B_S1C_jS1D_jS1E_S1E_jjS1G_bEUljE0_EEESZ_S10_S11_S18_S1C_S1E_T6_T7_T9_mT8_S1G_bDpT10_ENKUlT_T0_E_clISt17integral_constantIbLb0EES1T_IbLb1EEEEDaS1P_S1Q_EUlS1P_E_NS1_11comp_targetILNS1_3genE2ELNS1_11target_archE906ELNS1_3gpuE6ELNS1_3repE0EEENS1_30default_config_static_selectorELNS0_4arch9wavefront6targetE1EEEvS12_.has_recursion, 0
	.set _ZN7rocprim17ROCPRIM_400000_NS6detail17trampoline_kernelINS0_13select_configILj256ELj13ELNS0_17block_load_methodE3ELS4_3ELS4_3ELNS0_20block_scan_algorithmE0ELj4294967295EEENS1_25partition_config_selectorILNS1_17partition_subalgoE4EjNS0_10empty_typeEbEEZZNS1_14partition_implILS8_4ELb0ES6_15HIP_vector_typeIjLj2EENS0_17counting_iteratorIjlEEPS9_SG_NS0_5tupleIJPjSI_NS0_16reverse_iteratorISI_EEEEENSH_IJSG_SG_SG_EEES9_SI_JZNS1_25segmented_radix_sort_implINS0_14default_configELb0EPKfPfPKlPlN2at6native12_GLOBAL__N_18offset_tEEE10hipError_tPvRmT1_PNSt15iterator_traitsIS12_E10value_typeET2_T3_PNS13_IS18_E10value_typeET4_jRbjT5_S1E_jjP12ihipStream_tbEUljE_ZNSN_ISO_Lb0ESQ_SR_ST_SU_SY_EESZ_S10_S11_S12_S16_S17_S18_S1B_S1C_jS1D_jS1E_S1E_jjS1G_bEUljE0_EEESZ_S10_S11_S18_S1C_S1E_T6_T7_T9_mT8_S1G_bDpT10_ENKUlT_T0_E_clISt17integral_constantIbLb0EES1T_IbLb1EEEEDaS1P_S1Q_EUlS1P_E_NS1_11comp_targetILNS1_3genE2ELNS1_11target_archE906ELNS1_3gpuE6ELNS1_3repE0EEENS1_30default_config_static_selectorELNS0_4arch9wavefront6targetE1EEEvS12_.has_indirect_call, 0
	.section	.AMDGPU.csdata,"",@progbits
; Kernel info:
; codeLenInByte = 15580
; TotalNumSgprs: 91
; NumVgprs: 91
; ScratchSize: 0
; MemoryBound: 0
; FloatMode: 240
; IeeeMode: 1
; LDSByteSize: 13328 bytes/workgroup (compile time only)
; SGPRBlocks: 12
; VGPRBlocks: 22
; NumSGPRsForWavesPerEU: 102
; NumVGPRsForWavesPerEU: 91
; Occupancy: 2
; WaveLimiterHint : 1
; COMPUTE_PGM_RSRC2:SCRATCH_EN: 0
; COMPUTE_PGM_RSRC2:USER_SGPR: 6
; COMPUTE_PGM_RSRC2:TRAP_HANDLER: 0
; COMPUTE_PGM_RSRC2:TGID_X_EN: 1
; COMPUTE_PGM_RSRC2:TGID_Y_EN: 0
; COMPUTE_PGM_RSRC2:TGID_Z_EN: 0
; COMPUTE_PGM_RSRC2:TIDIG_COMP_CNT: 0
	.section	.text._ZN7rocprim17ROCPRIM_400000_NS6detail17trampoline_kernelINS0_13select_configILj256ELj13ELNS0_17block_load_methodE3ELS4_3ELS4_3ELNS0_20block_scan_algorithmE0ELj4294967295EEENS1_25partition_config_selectorILNS1_17partition_subalgoE4EjNS0_10empty_typeEbEEZZNS1_14partition_implILS8_4ELb0ES6_15HIP_vector_typeIjLj2EENS0_17counting_iteratorIjlEEPS9_SG_NS0_5tupleIJPjSI_NS0_16reverse_iteratorISI_EEEEENSH_IJSG_SG_SG_EEES9_SI_JZNS1_25segmented_radix_sort_implINS0_14default_configELb0EPKfPfPKlPlN2at6native12_GLOBAL__N_18offset_tEEE10hipError_tPvRmT1_PNSt15iterator_traitsIS12_E10value_typeET2_T3_PNS13_IS18_E10value_typeET4_jRbjT5_S1E_jjP12ihipStream_tbEUljE_ZNSN_ISO_Lb0ESQ_SR_ST_SU_SY_EESZ_S10_S11_S12_S16_S17_S18_S1B_S1C_jS1D_jS1E_S1E_jjS1G_bEUljE0_EEESZ_S10_S11_S18_S1C_S1E_T6_T7_T9_mT8_S1G_bDpT10_ENKUlT_T0_E_clISt17integral_constantIbLb0EES1T_IbLb1EEEEDaS1P_S1Q_EUlS1P_E_NS1_11comp_targetILNS1_3genE10ELNS1_11target_archE1200ELNS1_3gpuE4ELNS1_3repE0EEENS1_30default_config_static_selectorELNS0_4arch9wavefront6targetE1EEEvS12_,"axG",@progbits,_ZN7rocprim17ROCPRIM_400000_NS6detail17trampoline_kernelINS0_13select_configILj256ELj13ELNS0_17block_load_methodE3ELS4_3ELS4_3ELNS0_20block_scan_algorithmE0ELj4294967295EEENS1_25partition_config_selectorILNS1_17partition_subalgoE4EjNS0_10empty_typeEbEEZZNS1_14partition_implILS8_4ELb0ES6_15HIP_vector_typeIjLj2EENS0_17counting_iteratorIjlEEPS9_SG_NS0_5tupleIJPjSI_NS0_16reverse_iteratorISI_EEEEENSH_IJSG_SG_SG_EEES9_SI_JZNS1_25segmented_radix_sort_implINS0_14default_configELb0EPKfPfPKlPlN2at6native12_GLOBAL__N_18offset_tEEE10hipError_tPvRmT1_PNSt15iterator_traitsIS12_E10value_typeET2_T3_PNS13_IS18_E10value_typeET4_jRbjT5_S1E_jjP12ihipStream_tbEUljE_ZNSN_ISO_Lb0ESQ_SR_ST_SU_SY_EESZ_S10_S11_S12_S16_S17_S18_S1B_S1C_jS1D_jS1E_S1E_jjS1G_bEUljE0_EEESZ_S10_S11_S18_S1C_S1E_T6_T7_T9_mT8_S1G_bDpT10_ENKUlT_T0_E_clISt17integral_constantIbLb0EES1T_IbLb1EEEEDaS1P_S1Q_EUlS1P_E_NS1_11comp_targetILNS1_3genE10ELNS1_11target_archE1200ELNS1_3gpuE4ELNS1_3repE0EEENS1_30default_config_static_selectorELNS0_4arch9wavefront6targetE1EEEvS12_,comdat
	.globl	_ZN7rocprim17ROCPRIM_400000_NS6detail17trampoline_kernelINS0_13select_configILj256ELj13ELNS0_17block_load_methodE3ELS4_3ELS4_3ELNS0_20block_scan_algorithmE0ELj4294967295EEENS1_25partition_config_selectorILNS1_17partition_subalgoE4EjNS0_10empty_typeEbEEZZNS1_14partition_implILS8_4ELb0ES6_15HIP_vector_typeIjLj2EENS0_17counting_iteratorIjlEEPS9_SG_NS0_5tupleIJPjSI_NS0_16reverse_iteratorISI_EEEEENSH_IJSG_SG_SG_EEES9_SI_JZNS1_25segmented_radix_sort_implINS0_14default_configELb0EPKfPfPKlPlN2at6native12_GLOBAL__N_18offset_tEEE10hipError_tPvRmT1_PNSt15iterator_traitsIS12_E10value_typeET2_T3_PNS13_IS18_E10value_typeET4_jRbjT5_S1E_jjP12ihipStream_tbEUljE_ZNSN_ISO_Lb0ESQ_SR_ST_SU_SY_EESZ_S10_S11_S12_S16_S17_S18_S1B_S1C_jS1D_jS1E_S1E_jjS1G_bEUljE0_EEESZ_S10_S11_S18_S1C_S1E_T6_T7_T9_mT8_S1G_bDpT10_ENKUlT_T0_E_clISt17integral_constantIbLb0EES1T_IbLb1EEEEDaS1P_S1Q_EUlS1P_E_NS1_11comp_targetILNS1_3genE10ELNS1_11target_archE1200ELNS1_3gpuE4ELNS1_3repE0EEENS1_30default_config_static_selectorELNS0_4arch9wavefront6targetE1EEEvS12_ ; -- Begin function _ZN7rocprim17ROCPRIM_400000_NS6detail17trampoline_kernelINS0_13select_configILj256ELj13ELNS0_17block_load_methodE3ELS4_3ELS4_3ELNS0_20block_scan_algorithmE0ELj4294967295EEENS1_25partition_config_selectorILNS1_17partition_subalgoE4EjNS0_10empty_typeEbEEZZNS1_14partition_implILS8_4ELb0ES6_15HIP_vector_typeIjLj2EENS0_17counting_iteratorIjlEEPS9_SG_NS0_5tupleIJPjSI_NS0_16reverse_iteratorISI_EEEEENSH_IJSG_SG_SG_EEES9_SI_JZNS1_25segmented_radix_sort_implINS0_14default_configELb0EPKfPfPKlPlN2at6native12_GLOBAL__N_18offset_tEEE10hipError_tPvRmT1_PNSt15iterator_traitsIS12_E10value_typeET2_T3_PNS13_IS18_E10value_typeET4_jRbjT5_S1E_jjP12ihipStream_tbEUljE_ZNSN_ISO_Lb0ESQ_SR_ST_SU_SY_EESZ_S10_S11_S12_S16_S17_S18_S1B_S1C_jS1D_jS1E_S1E_jjS1G_bEUljE0_EEESZ_S10_S11_S18_S1C_S1E_T6_T7_T9_mT8_S1G_bDpT10_ENKUlT_T0_E_clISt17integral_constantIbLb0EES1T_IbLb1EEEEDaS1P_S1Q_EUlS1P_E_NS1_11comp_targetILNS1_3genE10ELNS1_11target_archE1200ELNS1_3gpuE4ELNS1_3repE0EEENS1_30default_config_static_selectorELNS0_4arch9wavefront6targetE1EEEvS12_
	.p2align	8
	.type	_ZN7rocprim17ROCPRIM_400000_NS6detail17trampoline_kernelINS0_13select_configILj256ELj13ELNS0_17block_load_methodE3ELS4_3ELS4_3ELNS0_20block_scan_algorithmE0ELj4294967295EEENS1_25partition_config_selectorILNS1_17partition_subalgoE4EjNS0_10empty_typeEbEEZZNS1_14partition_implILS8_4ELb0ES6_15HIP_vector_typeIjLj2EENS0_17counting_iteratorIjlEEPS9_SG_NS0_5tupleIJPjSI_NS0_16reverse_iteratorISI_EEEEENSH_IJSG_SG_SG_EEES9_SI_JZNS1_25segmented_radix_sort_implINS0_14default_configELb0EPKfPfPKlPlN2at6native12_GLOBAL__N_18offset_tEEE10hipError_tPvRmT1_PNSt15iterator_traitsIS12_E10value_typeET2_T3_PNS13_IS18_E10value_typeET4_jRbjT5_S1E_jjP12ihipStream_tbEUljE_ZNSN_ISO_Lb0ESQ_SR_ST_SU_SY_EESZ_S10_S11_S12_S16_S17_S18_S1B_S1C_jS1D_jS1E_S1E_jjS1G_bEUljE0_EEESZ_S10_S11_S18_S1C_S1E_T6_T7_T9_mT8_S1G_bDpT10_ENKUlT_T0_E_clISt17integral_constantIbLb0EES1T_IbLb1EEEEDaS1P_S1Q_EUlS1P_E_NS1_11comp_targetILNS1_3genE10ELNS1_11target_archE1200ELNS1_3gpuE4ELNS1_3repE0EEENS1_30default_config_static_selectorELNS0_4arch9wavefront6targetE1EEEvS12_,@function
_ZN7rocprim17ROCPRIM_400000_NS6detail17trampoline_kernelINS0_13select_configILj256ELj13ELNS0_17block_load_methodE3ELS4_3ELS4_3ELNS0_20block_scan_algorithmE0ELj4294967295EEENS1_25partition_config_selectorILNS1_17partition_subalgoE4EjNS0_10empty_typeEbEEZZNS1_14partition_implILS8_4ELb0ES6_15HIP_vector_typeIjLj2EENS0_17counting_iteratorIjlEEPS9_SG_NS0_5tupleIJPjSI_NS0_16reverse_iteratorISI_EEEEENSH_IJSG_SG_SG_EEES9_SI_JZNS1_25segmented_radix_sort_implINS0_14default_configELb0EPKfPfPKlPlN2at6native12_GLOBAL__N_18offset_tEEE10hipError_tPvRmT1_PNSt15iterator_traitsIS12_E10value_typeET2_T3_PNS13_IS18_E10value_typeET4_jRbjT5_S1E_jjP12ihipStream_tbEUljE_ZNSN_ISO_Lb0ESQ_SR_ST_SU_SY_EESZ_S10_S11_S12_S16_S17_S18_S1B_S1C_jS1D_jS1E_S1E_jjS1G_bEUljE0_EEESZ_S10_S11_S18_S1C_S1E_T6_T7_T9_mT8_S1G_bDpT10_ENKUlT_T0_E_clISt17integral_constantIbLb0EES1T_IbLb1EEEEDaS1P_S1Q_EUlS1P_E_NS1_11comp_targetILNS1_3genE10ELNS1_11target_archE1200ELNS1_3gpuE4ELNS1_3repE0EEENS1_30default_config_static_selectorELNS0_4arch9wavefront6targetE1EEEvS12_: ; @_ZN7rocprim17ROCPRIM_400000_NS6detail17trampoline_kernelINS0_13select_configILj256ELj13ELNS0_17block_load_methodE3ELS4_3ELS4_3ELNS0_20block_scan_algorithmE0ELj4294967295EEENS1_25partition_config_selectorILNS1_17partition_subalgoE4EjNS0_10empty_typeEbEEZZNS1_14partition_implILS8_4ELb0ES6_15HIP_vector_typeIjLj2EENS0_17counting_iteratorIjlEEPS9_SG_NS0_5tupleIJPjSI_NS0_16reverse_iteratorISI_EEEEENSH_IJSG_SG_SG_EEES9_SI_JZNS1_25segmented_radix_sort_implINS0_14default_configELb0EPKfPfPKlPlN2at6native12_GLOBAL__N_18offset_tEEE10hipError_tPvRmT1_PNSt15iterator_traitsIS12_E10value_typeET2_T3_PNS13_IS18_E10value_typeET4_jRbjT5_S1E_jjP12ihipStream_tbEUljE_ZNSN_ISO_Lb0ESQ_SR_ST_SU_SY_EESZ_S10_S11_S12_S16_S17_S18_S1B_S1C_jS1D_jS1E_S1E_jjS1G_bEUljE0_EEESZ_S10_S11_S18_S1C_S1E_T6_T7_T9_mT8_S1G_bDpT10_ENKUlT_T0_E_clISt17integral_constantIbLb0EES1T_IbLb1EEEEDaS1P_S1Q_EUlS1P_E_NS1_11comp_targetILNS1_3genE10ELNS1_11target_archE1200ELNS1_3gpuE4ELNS1_3repE0EEENS1_30default_config_static_selectorELNS0_4arch9wavefront6targetE1EEEvS12_
; %bb.0:
	.section	.rodata,"a",@progbits
	.p2align	6, 0x0
	.amdhsa_kernel _ZN7rocprim17ROCPRIM_400000_NS6detail17trampoline_kernelINS0_13select_configILj256ELj13ELNS0_17block_load_methodE3ELS4_3ELS4_3ELNS0_20block_scan_algorithmE0ELj4294967295EEENS1_25partition_config_selectorILNS1_17partition_subalgoE4EjNS0_10empty_typeEbEEZZNS1_14partition_implILS8_4ELb0ES6_15HIP_vector_typeIjLj2EENS0_17counting_iteratorIjlEEPS9_SG_NS0_5tupleIJPjSI_NS0_16reverse_iteratorISI_EEEEENSH_IJSG_SG_SG_EEES9_SI_JZNS1_25segmented_radix_sort_implINS0_14default_configELb0EPKfPfPKlPlN2at6native12_GLOBAL__N_18offset_tEEE10hipError_tPvRmT1_PNSt15iterator_traitsIS12_E10value_typeET2_T3_PNS13_IS18_E10value_typeET4_jRbjT5_S1E_jjP12ihipStream_tbEUljE_ZNSN_ISO_Lb0ESQ_SR_ST_SU_SY_EESZ_S10_S11_S12_S16_S17_S18_S1B_S1C_jS1D_jS1E_S1E_jjS1G_bEUljE0_EEESZ_S10_S11_S18_S1C_S1E_T6_T7_T9_mT8_S1G_bDpT10_ENKUlT_T0_E_clISt17integral_constantIbLb0EES1T_IbLb1EEEEDaS1P_S1Q_EUlS1P_E_NS1_11comp_targetILNS1_3genE10ELNS1_11target_archE1200ELNS1_3gpuE4ELNS1_3repE0EEENS1_30default_config_static_selectorELNS0_4arch9wavefront6targetE1EEEvS12_
		.amdhsa_group_segment_fixed_size 0
		.amdhsa_private_segment_fixed_size 0
		.amdhsa_kernarg_size 184
		.amdhsa_user_sgpr_count 6
		.amdhsa_user_sgpr_private_segment_buffer 1
		.amdhsa_user_sgpr_dispatch_ptr 0
		.amdhsa_user_sgpr_queue_ptr 0
		.amdhsa_user_sgpr_kernarg_segment_ptr 1
		.amdhsa_user_sgpr_dispatch_id 0
		.amdhsa_user_sgpr_flat_scratch_init 0
		.amdhsa_user_sgpr_private_segment_size 0
		.amdhsa_uses_dynamic_stack 0
		.amdhsa_system_sgpr_private_segment_wavefront_offset 0
		.amdhsa_system_sgpr_workgroup_id_x 1
		.amdhsa_system_sgpr_workgroup_id_y 0
		.amdhsa_system_sgpr_workgroup_id_z 0
		.amdhsa_system_sgpr_workgroup_info 0
		.amdhsa_system_vgpr_workitem_id 0
		.amdhsa_next_free_vgpr 1
		.amdhsa_next_free_sgpr 0
		.amdhsa_reserve_vcc 0
		.amdhsa_reserve_flat_scratch 0
		.amdhsa_float_round_mode_32 0
		.amdhsa_float_round_mode_16_64 0
		.amdhsa_float_denorm_mode_32 3
		.amdhsa_float_denorm_mode_16_64 3
		.amdhsa_dx10_clamp 1
		.amdhsa_ieee_mode 1
		.amdhsa_fp16_overflow 0
		.amdhsa_exception_fp_ieee_invalid_op 0
		.amdhsa_exception_fp_denorm_src 0
		.amdhsa_exception_fp_ieee_div_zero 0
		.amdhsa_exception_fp_ieee_overflow 0
		.amdhsa_exception_fp_ieee_underflow 0
		.amdhsa_exception_fp_ieee_inexact 0
		.amdhsa_exception_int_div_zero 0
	.end_amdhsa_kernel
	.section	.text._ZN7rocprim17ROCPRIM_400000_NS6detail17trampoline_kernelINS0_13select_configILj256ELj13ELNS0_17block_load_methodE3ELS4_3ELS4_3ELNS0_20block_scan_algorithmE0ELj4294967295EEENS1_25partition_config_selectorILNS1_17partition_subalgoE4EjNS0_10empty_typeEbEEZZNS1_14partition_implILS8_4ELb0ES6_15HIP_vector_typeIjLj2EENS0_17counting_iteratorIjlEEPS9_SG_NS0_5tupleIJPjSI_NS0_16reverse_iteratorISI_EEEEENSH_IJSG_SG_SG_EEES9_SI_JZNS1_25segmented_radix_sort_implINS0_14default_configELb0EPKfPfPKlPlN2at6native12_GLOBAL__N_18offset_tEEE10hipError_tPvRmT1_PNSt15iterator_traitsIS12_E10value_typeET2_T3_PNS13_IS18_E10value_typeET4_jRbjT5_S1E_jjP12ihipStream_tbEUljE_ZNSN_ISO_Lb0ESQ_SR_ST_SU_SY_EESZ_S10_S11_S12_S16_S17_S18_S1B_S1C_jS1D_jS1E_S1E_jjS1G_bEUljE0_EEESZ_S10_S11_S18_S1C_S1E_T6_T7_T9_mT8_S1G_bDpT10_ENKUlT_T0_E_clISt17integral_constantIbLb0EES1T_IbLb1EEEEDaS1P_S1Q_EUlS1P_E_NS1_11comp_targetILNS1_3genE10ELNS1_11target_archE1200ELNS1_3gpuE4ELNS1_3repE0EEENS1_30default_config_static_selectorELNS0_4arch9wavefront6targetE1EEEvS12_,"axG",@progbits,_ZN7rocprim17ROCPRIM_400000_NS6detail17trampoline_kernelINS0_13select_configILj256ELj13ELNS0_17block_load_methodE3ELS4_3ELS4_3ELNS0_20block_scan_algorithmE0ELj4294967295EEENS1_25partition_config_selectorILNS1_17partition_subalgoE4EjNS0_10empty_typeEbEEZZNS1_14partition_implILS8_4ELb0ES6_15HIP_vector_typeIjLj2EENS0_17counting_iteratorIjlEEPS9_SG_NS0_5tupleIJPjSI_NS0_16reverse_iteratorISI_EEEEENSH_IJSG_SG_SG_EEES9_SI_JZNS1_25segmented_radix_sort_implINS0_14default_configELb0EPKfPfPKlPlN2at6native12_GLOBAL__N_18offset_tEEE10hipError_tPvRmT1_PNSt15iterator_traitsIS12_E10value_typeET2_T3_PNS13_IS18_E10value_typeET4_jRbjT5_S1E_jjP12ihipStream_tbEUljE_ZNSN_ISO_Lb0ESQ_SR_ST_SU_SY_EESZ_S10_S11_S12_S16_S17_S18_S1B_S1C_jS1D_jS1E_S1E_jjS1G_bEUljE0_EEESZ_S10_S11_S18_S1C_S1E_T6_T7_T9_mT8_S1G_bDpT10_ENKUlT_T0_E_clISt17integral_constantIbLb0EES1T_IbLb1EEEEDaS1P_S1Q_EUlS1P_E_NS1_11comp_targetILNS1_3genE10ELNS1_11target_archE1200ELNS1_3gpuE4ELNS1_3repE0EEENS1_30default_config_static_selectorELNS0_4arch9wavefront6targetE1EEEvS12_,comdat
.Lfunc_end1393:
	.size	_ZN7rocprim17ROCPRIM_400000_NS6detail17trampoline_kernelINS0_13select_configILj256ELj13ELNS0_17block_load_methodE3ELS4_3ELS4_3ELNS0_20block_scan_algorithmE0ELj4294967295EEENS1_25partition_config_selectorILNS1_17partition_subalgoE4EjNS0_10empty_typeEbEEZZNS1_14partition_implILS8_4ELb0ES6_15HIP_vector_typeIjLj2EENS0_17counting_iteratorIjlEEPS9_SG_NS0_5tupleIJPjSI_NS0_16reverse_iteratorISI_EEEEENSH_IJSG_SG_SG_EEES9_SI_JZNS1_25segmented_radix_sort_implINS0_14default_configELb0EPKfPfPKlPlN2at6native12_GLOBAL__N_18offset_tEEE10hipError_tPvRmT1_PNSt15iterator_traitsIS12_E10value_typeET2_T3_PNS13_IS18_E10value_typeET4_jRbjT5_S1E_jjP12ihipStream_tbEUljE_ZNSN_ISO_Lb0ESQ_SR_ST_SU_SY_EESZ_S10_S11_S12_S16_S17_S18_S1B_S1C_jS1D_jS1E_S1E_jjS1G_bEUljE0_EEESZ_S10_S11_S18_S1C_S1E_T6_T7_T9_mT8_S1G_bDpT10_ENKUlT_T0_E_clISt17integral_constantIbLb0EES1T_IbLb1EEEEDaS1P_S1Q_EUlS1P_E_NS1_11comp_targetILNS1_3genE10ELNS1_11target_archE1200ELNS1_3gpuE4ELNS1_3repE0EEENS1_30default_config_static_selectorELNS0_4arch9wavefront6targetE1EEEvS12_, .Lfunc_end1393-_ZN7rocprim17ROCPRIM_400000_NS6detail17trampoline_kernelINS0_13select_configILj256ELj13ELNS0_17block_load_methodE3ELS4_3ELS4_3ELNS0_20block_scan_algorithmE0ELj4294967295EEENS1_25partition_config_selectorILNS1_17partition_subalgoE4EjNS0_10empty_typeEbEEZZNS1_14partition_implILS8_4ELb0ES6_15HIP_vector_typeIjLj2EENS0_17counting_iteratorIjlEEPS9_SG_NS0_5tupleIJPjSI_NS0_16reverse_iteratorISI_EEEEENSH_IJSG_SG_SG_EEES9_SI_JZNS1_25segmented_radix_sort_implINS0_14default_configELb0EPKfPfPKlPlN2at6native12_GLOBAL__N_18offset_tEEE10hipError_tPvRmT1_PNSt15iterator_traitsIS12_E10value_typeET2_T3_PNS13_IS18_E10value_typeET4_jRbjT5_S1E_jjP12ihipStream_tbEUljE_ZNSN_ISO_Lb0ESQ_SR_ST_SU_SY_EESZ_S10_S11_S12_S16_S17_S18_S1B_S1C_jS1D_jS1E_S1E_jjS1G_bEUljE0_EEESZ_S10_S11_S18_S1C_S1E_T6_T7_T9_mT8_S1G_bDpT10_ENKUlT_T0_E_clISt17integral_constantIbLb0EES1T_IbLb1EEEEDaS1P_S1Q_EUlS1P_E_NS1_11comp_targetILNS1_3genE10ELNS1_11target_archE1200ELNS1_3gpuE4ELNS1_3repE0EEENS1_30default_config_static_selectorELNS0_4arch9wavefront6targetE1EEEvS12_
                                        ; -- End function
	.set _ZN7rocprim17ROCPRIM_400000_NS6detail17trampoline_kernelINS0_13select_configILj256ELj13ELNS0_17block_load_methodE3ELS4_3ELS4_3ELNS0_20block_scan_algorithmE0ELj4294967295EEENS1_25partition_config_selectorILNS1_17partition_subalgoE4EjNS0_10empty_typeEbEEZZNS1_14partition_implILS8_4ELb0ES6_15HIP_vector_typeIjLj2EENS0_17counting_iteratorIjlEEPS9_SG_NS0_5tupleIJPjSI_NS0_16reverse_iteratorISI_EEEEENSH_IJSG_SG_SG_EEES9_SI_JZNS1_25segmented_radix_sort_implINS0_14default_configELb0EPKfPfPKlPlN2at6native12_GLOBAL__N_18offset_tEEE10hipError_tPvRmT1_PNSt15iterator_traitsIS12_E10value_typeET2_T3_PNS13_IS18_E10value_typeET4_jRbjT5_S1E_jjP12ihipStream_tbEUljE_ZNSN_ISO_Lb0ESQ_SR_ST_SU_SY_EESZ_S10_S11_S12_S16_S17_S18_S1B_S1C_jS1D_jS1E_S1E_jjS1G_bEUljE0_EEESZ_S10_S11_S18_S1C_S1E_T6_T7_T9_mT8_S1G_bDpT10_ENKUlT_T0_E_clISt17integral_constantIbLb0EES1T_IbLb1EEEEDaS1P_S1Q_EUlS1P_E_NS1_11comp_targetILNS1_3genE10ELNS1_11target_archE1200ELNS1_3gpuE4ELNS1_3repE0EEENS1_30default_config_static_selectorELNS0_4arch9wavefront6targetE1EEEvS12_.num_vgpr, 0
	.set _ZN7rocprim17ROCPRIM_400000_NS6detail17trampoline_kernelINS0_13select_configILj256ELj13ELNS0_17block_load_methodE3ELS4_3ELS4_3ELNS0_20block_scan_algorithmE0ELj4294967295EEENS1_25partition_config_selectorILNS1_17partition_subalgoE4EjNS0_10empty_typeEbEEZZNS1_14partition_implILS8_4ELb0ES6_15HIP_vector_typeIjLj2EENS0_17counting_iteratorIjlEEPS9_SG_NS0_5tupleIJPjSI_NS0_16reverse_iteratorISI_EEEEENSH_IJSG_SG_SG_EEES9_SI_JZNS1_25segmented_radix_sort_implINS0_14default_configELb0EPKfPfPKlPlN2at6native12_GLOBAL__N_18offset_tEEE10hipError_tPvRmT1_PNSt15iterator_traitsIS12_E10value_typeET2_T3_PNS13_IS18_E10value_typeET4_jRbjT5_S1E_jjP12ihipStream_tbEUljE_ZNSN_ISO_Lb0ESQ_SR_ST_SU_SY_EESZ_S10_S11_S12_S16_S17_S18_S1B_S1C_jS1D_jS1E_S1E_jjS1G_bEUljE0_EEESZ_S10_S11_S18_S1C_S1E_T6_T7_T9_mT8_S1G_bDpT10_ENKUlT_T0_E_clISt17integral_constantIbLb0EES1T_IbLb1EEEEDaS1P_S1Q_EUlS1P_E_NS1_11comp_targetILNS1_3genE10ELNS1_11target_archE1200ELNS1_3gpuE4ELNS1_3repE0EEENS1_30default_config_static_selectorELNS0_4arch9wavefront6targetE1EEEvS12_.num_agpr, 0
	.set _ZN7rocprim17ROCPRIM_400000_NS6detail17trampoline_kernelINS0_13select_configILj256ELj13ELNS0_17block_load_methodE3ELS4_3ELS4_3ELNS0_20block_scan_algorithmE0ELj4294967295EEENS1_25partition_config_selectorILNS1_17partition_subalgoE4EjNS0_10empty_typeEbEEZZNS1_14partition_implILS8_4ELb0ES6_15HIP_vector_typeIjLj2EENS0_17counting_iteratorIjlEEPS9_SG_NS0_5tupleIJPjSI_NS0_16reverse_iteratorISI_EEEEENSH_IJSG_SG_SG_EEES9_SI_JZNS1_25segmented_radix_sort_implINS0_14default_configELb0EPKfPfPKlPlN2at6native12_GLOBAL__N_18offset_tEEE10hipError_tPvRmT1_PNSt15iterator_traitsIS12_E10value_typeET2_T3_PNS13_IS18_E10value_typeET4_jRbjT5_S1E_jjP12ihipStream_tbEUljE_ZNSN_ISO_Lb0ESQ_SR_ST_SU_SY_EESZ_S10_S11_S12_S16_S17_S18_S1B_S1C_jS1D_jS1E_S1E_jjS1G_bEUljE0_EEESZ_S10_S11_S18_S1C_S1E_T6_T7_T9_mT8_S1G_bDpT10_ENKUlT_T0_E_clISt17integral_constantIbLb0EES1T_IbLb1EEEEDaS1P_S1Q_EUlS1P_E_NS1_11comp_targetILNS1_3genE10ELNS1_11target_archE1200ELNS1_3gpuE4ELNS1_3repE0EEENS1_30default_config_static_selectorELNS0_4arch9wavefront6targetE1EEEvS12_.numbered_sgpr, 0
	.set _ZN7rocprim17ROCPRIM_400000_NS6detail17trampoline_kernelINS0_13select_configILj256ELj13ELNS0_17block_load_methodE3ELS4_3ELS4_3ELNS0_20block_scan_algorithmE0ELj4294967295EEENS1_25partition_config_selectorILNS1_17partition_subalgoE4EjNS0_10empty_typeEbEEZZNS1_14partition_implILS8_4ELb0ES6_15HIP_vector_typeIjLj2EENS0_17counting_iteratorIjlEEPS9_SG_NS0_5tupleIJPjSI_NS0_16reverse_iteratorISI_EEEEENSH_IJSG_SG_SG_EEES9_SI_JZNS1_25segmented_radix_sort_implINS0_14default_configELb0EPKfPfPKlPlN2at6native12_GLOBAL__N_18offset_tEEE10hipError_tPvRmT1_PNSt15iterator_traitsIS12_E10value_typeET2_T3_PNS13_IS18_E10value_typeET4_jRbjT5_S1E_jjP12ihipStream_tbEUljE_ZNSN_ISO_Lb0ESQ_SR_ST_SU_SY_EESZ_S10_S11_S12_S16_S17_S18_S1B_S1C_jS1D_jS1E_S1E_jjS1G_bEUljE0_EEESZ_S10_S11_S18_S1C_S1E_T6_T7_T9_mT8_S1G_bDpT10_ENKUlT_T0_E_clISt17integral_constantIbLb0EES1T_IbLb1EEEEDaS1P_S1Q_EUlS1P_E_NS1_11comp_targetILNS1_3genE10ELNS1_11target_archE1200ELNS1_3gpuE4ELNS1_3repE0EEENS1_30default_config_static_selectorELNS0_4arch9wavefront6targetE1EEEvS12_.num_named_barrier, 0
	.set _ZN7rocprim17ROCPRIM_400000_NS6detail17trampoline_kernelINS0_13select_configILj256ELj13ELNS0_17block_load_methodE3ELS4_3ELS4_3ELNS0_20block_scan_algorithmE0ELj4294967295EEENS1_25partition_config_selectorILNS1_17partition_subalgoE4EjNS0_10empty_typeEbEEZZNS1_14partition_implILS8_4ELb0ES6_15HIP_vector_typeIjLj2EENS0_17counting_iteratorIjlEEPS9_SG_NS0_5tupleIJPjSI_NS0_16reverse_iteratorISI_EEEEENSH_IJSG_SG_SG_EEES9_SI_JZNS1_25segmented_radix_sort_implINS0_14default_configELb0EPKfPfPKlPlN2at6native12_GLOBAL__N_18offset_tEEE10hipError_tPvRmT1_PNSt15iterator_traitsIS12_E10value_typeET2_T3_PNS13_IS18_E10value_typeET4_jRbjT5_S1E_jjP12ihipStream_tbEUljE_ZNSN_ISO_Lb0ESQ_SR_ST_SU_SY_EESZ_S10_S11_S12_S16_S17_S18_S1B_S1C_jS1D_jS1E_S1E_jjS1G_bEUljE0_EEESZ_S10_S11_S18_S1C_S1E_T6_T7_T9_mT8_S1G_bDpT10_ENKUlT_T0_E_clISt17integral_constantIbLb0EES1T_IbLb1EEEEDaS1P_S1Q_EUlS1P_E_NS1_11comp_targetILNS1_3genE10ELNS1_11target_archE1200ELNS1_3gpuE4ELNS1_3repE0EEENS1_30default_config_static_selectorELNS0_4arch9wavefront6targetE1EEEvS12_.private_seg_size, 0
	.set _ZN7rocprim17ROCPRIM_400000_NS6detail17trampoline_kernelINS0_13select_configILj256ELj13ELNS0_17block_load_methodE3ELS4_3ELS4_3ELNS0_20block_scan_algorithmE0ELj4294967295EEENS1_25partition_config_selectorILNS1_17partition_subalgoE4EjNS0_10empty_typeEbEEZZNS1_14partition_implILS8_4ELb0ES6_15HIP_vector_typeIjLj2EENS0_17counting_iteratorIjlEEPS9_SG_NS0_5tupleIJPjSI_NS0_16reverse_iteratorISI_EEEEENSH_IJSG_SG_SG_EEES9_SI_JZNS1_25segmented_radix_sort_implINS0_14default_configELb0EPKfPfPKlPlN2at6native12_GLOBAL__N_18offset_tEEE10hipError_tPvRmT1_PNSt15iterator_traitsIS12_E10value_typeET2_T3_PNS13_IS18_E10value_typeET4_jRbjT5_S1E_jjP12ihipStream_tbEUljE_ZNSN_ISO_Lb0ESQ_SR_ST_SU_SY_EESZ_S10_S11_S12_S16_S17_S18_S1B_S1C_jS1D_jS1E_S1E_jjS1G_bEUljE0_EEESZ_S10_S11_S18_S1C_S1E_T6_T7_T9_mT8_S1G_bDpT10_ENKUlT_T0_E_clISt17integral_constantIbLb0EES1T_IbLb1EEEEDaS1P_S1Q_EUlS1P_E_NS1_11comp_targetILNS1_3genE10ELNS1_11target_archE1200ELNS1_3gpuE4ELNS1_3repE0EEENS1_30default_config_static_selectorELNS0_4arch9wavefront6targetE1EEEvS12_.uses_vcc, 0
	.set _ZN7rocprim17ROCPRIM_400000_NS6detail17trampoline_kernelINS0_13select_configILj256ELj13ELNS0_17block_load_methodE3ELS4_3ELS4_3ELNS0_20block_scan_algorithmE0ELj4294967295EEENS1_25partition_config_selectorILNS1_17partition_subalgoE4EjNS0_10empty_typeEbEEZZNS1_14partition_implILS8_4ELb0ES6_15HIP_vector_typeIjLj2EENS0_17counting_iteratorIjlEEPS9_SG_NS0_5tupleIJPjSI_NS0_16reverse_iteratorISI_EEEEENSH_IJSG_SG_SG_EEES9_SI_JZNS1_25segmented_radix_sort_implINS0_14default_configELb0EPKfPfPKlPlN2at6native12_GLOBAL__N_18offset_tEEE10hipError_tPvRmT1_PNSt15iterator_traitsIS12_E10value_typeET2_T3_PNS13_IS18_E10value_typeET4_jRbjT5_S1E_jjP12ihipStream_tbEUljE_ZNSN_ISO_Lb0ESQ_SR_ST_SU_SY_EESZ_S10_S11_S12_S16_S17_S18_S1B_S1C_jS1D_jS1E_S1E_jjS1G_bEUljE0_EEESZ_S10_S11_S18_S1C_S1E_T6_T7_T9_mT8_S1G_bDpT10_ENKUlT_T0_E_clISt17integral_constantIbLb0EES1T_IbLb1EEEEDaS1P_S1Q_EUlS1P_E_NS1_11comp_targetILNS1_3genE10ELNS1_11target_archE1200ELNS1_3gpuE4ELNS1_3repE0EEENS1_30default_config_static_selectorELNS0_4arch9wavefront6targetE1EEEvS12_.uses_flat_scratch, 0
	.set _ZN7rocprim17ROCPRIM_400000_NS6detail17trampoline_kernelINS0_13select_configILj256ELj13ELNS0_17block_load_methodE3ELS4_3ELS4_3ELNS0_20block_scan_algorithmE0ELj4294967295EEENS1_25partition_config_selectorILNS1_17partition_subalgoE4EjNS0_10empty_typeEbEEZZNS1_14partition_implILS8_4ELb0ES6_15HIP_vector_typeIjLj2EENS0_17counting_iteratorIjlEEPS9_SG_NS0_5tupleIJPjSI_NS0_16reverse_iteratorISI_EEEEENSH_IJSG_SG_SG_EEES9_SI_JZNS1_25segmented_radix_sort_implINS0_14default_configELb0EPKfPfPKlPlN2at6native12_GLOBAL__N_18offset_tEEE10hipError_tPvRmT1_PNSt15iterator_traitsIS12_E10value_typeET2_T3_PNS13_IS18_E10value_typeET4_jRbjT5_S1E_jjP12ihipStream_tbEUljE_ZNSN_ISO_Lb0ESQ_SR_ST_SU_SY_EESZ_S10_S11_S12_S16_S17_S18_S1B_S1C_jS1D_jS1E_S1E_jjS1G_bEUljE0_EEESZ_S10_S11_S18_S1C_S1E_T6_T7_T9_mT8_S1G_bDpT10_ENKUlT_T0_E_clISt17integral_constantIbLb0EES1T_IbLb1EEEEDaS1P_S1Q_EUlS1P_E_NS1_11comp_targetILNS1_3genE10ELNS1_11target_archE1200ELNS1_3gpuE4ELNS1_3repE0EEENS1_30default_config_static_selectorELNS0_4arch9wavefront6targetE1EEEvS12_.has_dyn_sized_stack, 0
	.set _ZN7rocprim17ROCPRIM_400000_NS6detail17trampoline_kernelINS0_13select_configILj256ELj13ELNS0_17block_load_methodE3ELS4_3ELS4_3ELNS0_20block_scan_algorithmE0ELj4294967295EEENS1_25partition_config_selectorILNS1_17partition_subalgoE4EjNS0_10empty_typeEbEEZZNS1_14partition_implILS8_4ELb0ES6_15HIP_vector_typeIjLj2EENS0_17counting_iteratorIjlEEPS9_SG_NS0_5tupleIJPjSI_NS0_16reverse_iteratorISI_EEEEENSH_IJSG_SG_SG_EEES9_SI_JZNS1_25segmented_radix_sort_implINS0_14default_configELb0EPKfPfPKlPlN2at6native12_GLOBAL__N_18offset_tEEE10hipError_tPvRmT1_PNSt15iterator_traitsIS12_E10value_typeET2_T3_PNS13_IS18_E10value_typeET4_jRbjT5_S1E_jjP12ihipStream_tbEUljE_ZNSN_ISO_Lb0ESQ_SR_ST_SU_SY_EESZ_S10_S11_S12_S16_S17_S18_S1B_S1C_jS1D_jS1E_S1E_jjS1G_bEUljE0_EEESZ_S10_S11_S18_S1C_S1E_T6_T7_T9_mT8_S1G_bDpT10_ENKUlT_T0_E_clISt17integral_constantIbLb0EES1T_IbLb1EEEEDaS1P_S1Q_EUlS1P_E_NS1_11comp_targetILNS1_3genE10ELNS1_11target_archE1200ELNS1_3gpuE4ELNS1_3repE0EEENS1_30default_config_static_selectorELNS0_4arch9wavefront6targetE1EEEvS12_.has_recursion, 0
	.set _ZN7rocprim17ROCPRIM_400000_NS6detail17trampoline_kernelINS0_13select_configILj256ELj13ELNS0_17block_load_methodE3ELS4_3ELS4_3ELNS0_20block_scan_algorithmE0ELj4294967295EEENS1_25partition_config_selectorILNS1_17partition_subalgoE4EjNS0_10empty_typeEbEEZZNS1_14partition_implILS8_4ELb0ES6_15HIP_vector_typeIjLj2EENS0_17counting_iteratorIjlEEPS9_SG_NS0_5tupleIJPjSI_NS0_16reverse_iteratorISI_EEEEENSH_IJSG_SG_SG_EEES9_SI_JZNS1_25segmented_radix_sort_implINS0_14default_configELb0EPKfPfPKlPlN2at6native12_GLOBAL__N_18offset_tEEE10hipError_tPvRmT1_PNSt15iterator_traitsIS12_E10value_typeET2_T3_PNS13_IS18_E10value_typeET4_jRbjT5_S1E_jjP12ihipStream_tbEUljE_ZNSN_ISO_Lb0ESQ_SR_ST_SU_SY_EESZ_S10_S11_S12_S16_S17_S18_S1B_S1C_jS1D_jS1E_S1E_jjS1G_bEUljE0_EEESZ_S10_S11_S18_S1C_S1E_T6_T7_T9_mT8_S1G_bDpT10_ENKUlT_T0_E_clISt17integral_constantIbLb0EES1T_IbLb1EEEEDaS1P_S1Q_EUlS1P_E_NS1_11comp_targetILNS1_3genE10ELNS1_11target_archE1200ELNS1_3gpuE4ELNS1_3repE0EEENS1_30default_config_static_selectorELNS0_4arch9wavefront6targetE1EEEvS12_.has_indirect_call, 0
	.section	.AMDGPU.csdata,"",@progbits
; Kernel info:
; codeLenInByte = 0
; TotalNumSgprs: 4
; NumVgprs: 0
; ScratchSize: 0
; MemoryBound: 0
; FloatMode: 240
; IeeeMode: 1
; LDSByteSize: 0 bytes/workgroup (compile time only)
; SGPRBlocks: 0
; VGPRBlocks: 0
; NumSGPRsForWavesPerEU: 4
; NumVGPRsForWavesPerEU: 1
; Occupancy: 10
; WaveLimiterHint : 0
; COMPUTE_PGM_RSRC2:SCRATCH_EN: 0
; COMPUTE_PGM_RSRC2:USER_SGPR: 6
; COMPUTE_PGM_RSRC2:TRAP_HANDLER: 0
; COMPUTE_PGM_RSRC2:TGID_X_EN: 1
; COMPUTE_PGM_RSRC2:TGID_Y_EN: 0
; COMPUTE_PGM_RSRC2:TGID_Z_EN: 0
; COMPUTE_PGM_RSRC2:TIDIG_COMP_CNT: 0
	.section	.text._ZN7rocprim17ROCPRIM_400000_NS6detail17trampoline_kernelINS0_13select_configILj256ELj13ELNS0_17block_load_methodE3ELS4_3ELS4_3ELNS0_20block_scan_algorithmE0ELj4294967295EEENS1_25partition_config_selectorILNS1_17partition_subalgoE4EjNS0_10empty_typeEbEEZZNS1_14partition_implILS8_4ELb0ES6_15HIP_vector_typeIjLj2EENS0_17counting_iteratorIjlEEPS9_SG_NS0_5tupleIJPjSI_NS0_16reverse_iteratorISI_EEEEENSH_IJSG_SG_SG_EEES9_SI_JZNS1_25segmented_radix_sort_implINS0_14default_configELb0EPKfPfPKlPlN2at6native12_GLOBAL__N_18offset_tEEE10hipError_tPvRmT1_PNSt15iterator_traitsIS12_E10value_typeET2_T3_PNS13_IS18_E10value_typeET4_jRbjT5_S1E_jjP12ihipStream_tbEUljE_ZNSN_ISO_Lb0ESQ_SR_ST_SU_SY_EESZ_S10_S11_S12_S16_S17_S18_S1B_S1C_jS1D_jS1E_S1E_jjS1G_bEUljE0_EEESZ_S10_S11_S18_S1C_S1E_T6_T7_T9_mT8_S1G_bDpT10_ENKUlT_T0_E_clISt17integral_constantIbLb0EES1T_IbLb1EEEEDaS1P_S1Q_EUlS1P_E_NS1_11comp_targetILNS1_3genE9ELNS1_11target_archE1100ELNS1_3gpuE3ELNS1_3repE0EEENS1_30default_config_static_selectorELNS0_4arch9wavefront6targetE1EEEvS12_,"axG",@progbits,_ZN7rocprim17ROCPRIM_400000_NS6detail17trampoline_kernelINS0_13select_configILj256ELj13ELNS0_17block_load_methodE3ELS4_3ELS4_3ELNS0_20block_scan_algorithmE0ELj4294967295EEENS1_25partition_config_selectorILNS1_17partition_subalgoE4EjNS0_10empty_typeEbEEZZNS1_14partition_implILS8_4ELb0ES6_15HIP_vector_typeIjLj2EENS0_17counting_iteratorIjlEEPS9_SG_NS0_5tupleIJPjSI_NS0_16reverse_iteratorISI_EEEEENSH_IJSG_SG_SG_EEES9_SI_JZNS1_25segmented_radix_sort_implINS0_14default_configELb0EPKfPfPKlPlN2at6native12_GLOBAL__N_18offset_tEEE10hipError_tPvRmT1_PNSt15iterator_traitsIS12_E10value_typeET2_T3_PNS13_IS18_E10value_typeET4_jRbjT5_S1E_jjP12ihipStream_tbEUljE_ZNSN_ISO_Lb0ESQ_SR_ST_SU_SY_EESZ_S10_S11_S12_S16_S17_S18_S1B_S1C_jS1D_jS1E_S1E_jjS1G_bEUljE0_EEESZ_S10_S11_S18_S1C_S1E_T6_T7_T9_mT8_S1G_bDpT10_ENKUlT_T0_E_clISt17integral_constantIbLb0EES1T_IbLb1EEEEDaS1P_S1Q_EUlS1P_E_NS1_11comp_targetILNS1_3genE9ELNS1_11target_archE1100ELNS1_3gpuE3ELNS1_3repE0EEENS1_30default_config_static_selectorELNS0_4arch9wavefront6targetE1EEEvS12_,comdat
	.globl	_ZN7rocprim17ROCPRIM_400000_NS6detail17trampoline_kernelINS0_13select_configILj256ELj13ELNS0_17block_load_methodE3ELS4_3ELS4_3ELNS0_20block_scan_algorithmE0ELj4294967295EEENS1_25partition_config_selectorILNS1_17partition_subalgoE4EjNS0_10empty_typeEbEEZZNS1_14partition_implILS8_4ELb0ES6_15HIP_vector_typeIjLj2EENS0_17counting_iteratorIjlEEPS9_SG_NS0_5tupleIJPjSI_NS0_16reverse_iteratorISI_EEEEENSH_IJSG_SG_SG_EEES9_SI_JZNS1_25segmented_radix_sort_implINS0_14default_configELb0EPKfPfPKlPlN2at6native12_GLOBAL__N_18offset_tEEE10hipError_tPvRmT1_PNSt15iterator_traitsIS12_E10value_typeET2_T3_PNS13_IS18_E10value_typeET4_jRbjT5_S1E_jjP12ihipStream_tbEUljE_ZNSN_ISO_Lb0ESQ_SR_ST_SU_SY_EESZ_S10_S11_S12_S16_S17_S18_S1B_S1C_jS1D_jS1E_S1E_jjS1G_bEUljE0_EEESZ_S10_S11_S18_S1C_S1E_T6_T7_T9_mT8_S1G_bDpT10_ENKUlT_T0_E_clISt17integral_constantIbLb0EES1T_IbLb1EEEEDaS1P_S1Q_EUlS1P_E_NS1_11comp_targetILNS1_3genE9ELNS1_11target_archE1100ELNS1_3gpuE3ELNS1_3repE0EEENS1_30default_config_static_selectorELNS0_4arch9wavefront6targetE1EEEvS12_ ; -- Begin function _ZN7rocprim17ROCPRIM_400000_NS6detail17trampoline_kernelINS0_13select_configILj256ELj13ELNS0_17block_load_methodE3ELS4_3ELS4_3ELNS0_20block_scan_algorithmE0ELj4294967295EEENS1_25partition_config_selectorILNS1_17partition_subalgoE4EjNS0_10empty_typeEbEEZZNS1_14partition_implILS8_4ELb0ES6_15HIP_vector_typeIjLj2EENS0_17counting_iteratorIjlEEPS9_SG_NS0_5tupleIJPjSI_NS0_16reverse_iteratorISI_EEEEENSH_IJSG_SG_SG_EEES9_SI_JZNS1_25segmented_radix_sort_implINS0_14default_configELb0EPKfPfPKlPlN2at6native12_GLOBAL__N_18offset_tEEE10hipError_tPvRmT1_PNSt15iterator_traitsIS12_E10value_typeET2_T3_PNS13_IS18_E10value_typeET4_jRbjT5_S1E_jjP12ihipStream_tbEUljE_ZNSN_ISO_Lb0ESQ_SR_ST_SU_SY_EESZ_S10_S11_S12_S16_S17_S18_S1B_S1C_jS1D_jS1E_S1E_jjS1G_bEUljE0_EEESZ_S10_S11_S18_S1C_S1E_T6_T7_T9_mT8_S1G_bDpT10_ENKUlT_T0_E_clISt17integral_constantIbLb0EES1T_IbLb1EEEEDaS1P_S1Q_EUlS1P_E_NS1_11comp_targetILNS1_3genE9ELNS1_11target_archE1100ELNS1_3gpuE3ELNS1_3repE0EEENS1_30default_config_static_selectorELNS0_4arch9wavefront6targetE1EEEvS12_
	.p2align	8
	.type	_ZN7rocprim17ROCPRIM_400000_NS6detail17trampoline_kernelINS0_13select_configILj256ELj13ELNS0_17block_load_methodE3ELS4_3ELS4_3ELNS0_20block_scan_algorithmE0ELj4294967295EEENS1_25partition_config_selectorILNS1_17partition_subalgoE4EjNS0_10empty_typeEbEEZZNS1_14partition_implILS8_4ELb0ES6_15HIP_vector_typeIjLj2EENS0_17counting_iteratorIjlEEPS9_SG_NS0_5tupleIJPjSI_NS0_16reverse_iteratorISI_EEEEENSH_IJSG_SG_SG_EEES9_SI_JZNS1_25segmented_radix_sort_implINS0_14default_configELb0EPKfPfPKlPlN2at6native12_GLOBAL__N_18offset_tEEE10hipError_tPvRmT1_PNSt15iterator_traitsIS12_E10value_typeET2_T3_PNS13_IS18_E10value_typeET4_jRbjT5_S1E_jjP12ihipStream_tbEUljE_ZNSN_ISO_Lb0ESQ_SR_ST_SU_SY_EESZ_S10_S11_S12_S16_S17_S18_S1B_S1C_jS1D_jS1E_S1E_jjS1G_bEUljE0_EEESZ_S10_S11_S18_S1C_S1E_T6_T7_T9_mT8_S1G_bDpT10_ENKUlT_T0_E_clISt17integral_constantIbLb0EES1T_IbLb1EEEEDaS1P_S1Q_EUlS1P_E_NS1_11comp_targetILNS1_3genE9ELNS1_11target_archE1100ELNS1_3gpuE3ELNS1_3repE0EEENS1_30default_config_static_selectorELNS0_4arch9wavefront6targetE1EEEvS12_,@function
_ZN7rocprim17ROCPRIM_400000_NS6detail17trampoline_kernelINS0_13select_configILj256ELj13ELNS0_17block_load_methodE3ELS4_3ELS4_3ELNS0_20block_scan_algorithmE0ELj4294967295EEENS1_25partition_config_selectorILNS1_17partition_subalgoE4EjNS0_10empty_typeEbEEZZNS1_14partition_implILS8_4ELb0ES6_15HIP_vector_typeIjLj2EENS0_17counting_iteratorIjlEEPS9_SG_NS0_5tupleIJPjSI_NS0_16reverse_iteratorISI_EEEEENSH_IJSG_SG_SG_EEES9_SI_JZNS1_25segmented_radix_sort_implINS0_14default_configELb0EPKfPfPKlPlN2at6native12_GLOBAL__N_18offset_tEEE10hipError_tPvRmT1_PNSt15iterator_traitsIS12_E10value_typeET2_T3_PNS13_IS18_E10value_typeET4_jRbjT5_S1E_jjP12ihipStream_tbEUljE_ZNSN_ISO_Lb0ESQ_SR_ST_SU_SY_EESZ_S10_S11_S12_S16_S17_S18_S1B_S1C_jS1D_jS1E_S1E_jjS1G_bEUljE0_EEESZ_S10_S11_S18_S1C_S1E_T6_T7_T9_mT8_S1G_bDpT10_ENKUlT_T0_E_clISt17integral_constantIbLb0EES1T_IbLb1EEEEDaS1P_S1Q_EUlS1P_E_NS1_11comp_targetILNS1_3genE9ELNS1_11target_archE1100ELNS1_3gpuE3ELNS1_3repE0EEENS1_30default_config_static_selectorELNS0_4arch9wavefront6targetE1EEEvS12_: ; @_ZN7rocprim17ROCPRIM_400000_NS6detail17trampoline_kernelINS0_13select_configILj256ELj13ELNS0_17block_load_methodE3ELS4_3ELS4_3ELNS0_20block_scan_algorithmE0ELj4294967295EEENS1_25partition_config_selectorILNS1_17partition_subalgoE4EjNS0_10empty_typeEbEEZZNS1_14partition_implILS8_4ELb0ES6_15HIP_vector_typeIjLj2EENS0_17counting_iteratorIjlEEPS9_SG_NS0_5tupleIJPjSI_NS0_16reverse_iteratorISI_EEEEENSH_IJSG_SG_SG_EEES9_SI_JZNS1_25segmented_radix_sort_implINS0_14default_configELb0EPKfPfPKlPlN2at6native12_GLOBAL__N_18offset_tEEE10hipError_tPvRmT1_PNSt15iterator_traitsIS12_E10value_typeET2_T3_PNS13_IS18_E10value_typeET4_jRbjT5_S1E_jjP12ihipStream_tbEUljE_ZNSN_ISO_Lb0ESQ_SR_ST_SU_SY_EESZ_S10_S11_S12_S16_S17_S18_S1B_S1C_jS1D_jS1E_S1E_jjS1G_bEUljE0_EEESZ_S10_S11_S18_S1C_S1E_T6_T7_T9_mT8_S1G_bDpT10_ENKUlT_T0_E_clISt17integral_constantIbLb0EES1T_IbLb1EEEEDaS1P_S1Q_EUlS1P_E_NS1_11comp_targetILNS1_3genE9ELNS1_11target_archE1100ELNS1_3gpuE3ELNS1_3repE0EEENS1_30default_config_static_selectorELNS0_4arch9wavefront6targetE1EEEvS12_
; %bb.0:
	.section	.rodata,"a",@progbits
	.p2align	6, 0x0
	.amdhsa_kernel _ZN7rocprim17ROCPRIM_400000_NS6detail17trampoline_kernelINS0_13select_configILj256ELj13ELNS0_17block_load_methodE3ELS4_3ELS4_3ELNS0_20block_scan_algorithmE0ELj4294967295EEENS1_25partition_config_selectorILNS1_17partition_subalgoE4EjNS0_10empty_typeEbEEZZNS1_14partition_implILS8_4ELb0ES6_15HIP_vector_typeIjLj2EENS0_17counting_iteratorIjlEEPS9_SG_NS0_5tupleIJPjSI_NS0_16reverse_iteratorISI_EEEEENSH_IJSG_SG_SG_EEES9_SI_JZNS1_25segmented_radix_sort_implINS0_14default_configELb0EPKfPfPKlPlN2at6native12_GLOBAL__N_18offset_tEEE10hipError_tPvRmT1_PNSt15iterator_traitsIS12_E10value_typeET2_T3_PNS13_IS18_E10value_typeET4_jRbjT5_S1E_jjP12ihipStream_tbEUljE_ZNSN_ISO_Lb0ESQ_SR_ST_SU_SY_EESZ_S10_S11_S12_S16_S17_S18_S1B_S1C_jS1D_jS1E_S1E_jjS1G_bEUljE0_EEESZ_S10_S11_S18_S1C_S1E_T6_T7_T9_mT8_S1G_bDpT10_ENKUlT_T0_E_clISt17integral_constantIbLb0EES1T_IbLb1EEEEDaS1P_S1Q_EUlS1P_E_NS1_11comp_targetILNS1_3genE9ELNS1_11target_archE1100ELNS1_3gpuE3ELNS1_3repE0EEENS1_30default_config_static_selectorELNS0_4arch9wavefront6targetE1EEEvS12_
		.amdhsa_group_segment_fixed_size 0
		.amdhsa_private_segment_fixed_size 0
		.amdhsa_kernarg_size 184
		.amdhsa_user_sgpr_count 6
		.amdhsa_user_sgpr_private_segment_buffer 1
		.amdhsa_user_sgpr_dispatch_ptr 0
		.amdhsa_user_sgpr_queue_ptr 0
		.amdhsa_user_sgpr_kernarg_segment_ptr 1
		.amdhsa_user_sgpr_dispatch_id 0
		.amdhsa_user_sgpr_flat_scratch_init 0
		.amdhsa_user_sgpr_private_segment_size 0
		.amdhsa_uses_dynamic_stack 0
		.amdhsa_system_sgpr_private_segment_wavefront_offset 0
		.amdhsa_system_sgpr_workgroup_id_x 1
		.amdhsa_system_sgpr_workgroup_id_y 0
		.amdhsa_system_sgpr_workgroup_id_z 0
		.amdhsa_system_sgpr_workgroup_info 0
		.amdhsa_system_vgpr_workitem_id 0
		.amdhsa_next_free_vgpr 1
		.amdhsa_next_free_sgpr 0
		.amdhsa_reserve_vcc 0
		.amdhsa_reserve_flat_scratch 0
		.amdhsa_float_round_mode_32 0
		.amdhsa_float_round_mode_16_64 0
		.amdhsa_float_denorm_mode_32 3
		.amdhsa_float_denorm_mode_16_64 3
		.amdhsa_dx10_clamp 1
		.amdhsa_ieee_mode 1
		.amdhsa_fp16_overflow 0
		.amdhsa_exception_fp_ieee_invalid_op 0
		.amdhsa_exception_fp_denorm_src 0
		.amdhsa_exception_fp_ieee_div_zero 0
		.amdhsa_exception_fp_ieee_overflow 0
		.amdhsa_exception_fp_ieee_underflow 0
		.amdhsa_exception_fp_ieee_inexact 0
		.amdhsa_exception_int_div_zero 0
	.end_amdhsa_kernel
	.section	.text._ZN7rocprim17ROCPRIM_400000_NS6detail17trampoline_kernelINS0_13select_configILj256ELj13ELNS0_17block_load_methodE3ELS4_3ELS4_3ELNS0_20block_scan_algorithmE0ELj4294967295EEENS1_25partition_config_selectorILNS1_17partition_subalgoE4EjNS0_10empty_typeEbEEZZNS1_14partition_implILS8_4ELb0ES6_15HIP_vector_typeIjLj2EENS0_17counting_iteratorIjlEEPS9_SG_NS0_5tupleIJPjSI_NS0_16reverse_iteratorISI_EEEEENSH_IJSG_SG_SG_EEES9_SI_JZNS1_25segmented_radix_sort_implINS0_14default_configELb0EPKfPfPKlPlN2at6native12_GLOBAL__N_18offset_tEEE10hipError_tPvRmT1_PNSt15iterator_traitsIS12_E10value_typeET2_T3_PNS13_IS18_E10value_typeET4_jRbjT5_S1E_jjP12ihipStream_tbEUljE_ZNSN_ISO_Lb0ESQ_SR_ST_SU_SY_EESZ_S10_S11_S12_S16_S17_S18_S1B_S1C_jS1D_jS1E_S1E_jjS1G_bEUljE0_EEESZ_S10_S11_S18_S1C_S1E_T6_T7_T9_mT8_S1G_bDpT10_ENKUlT_T0_E_clISt17integral_constantIbLb0EES1T_IbLb1EEEEDaS1P_S1Q_EUlS1P_E_NS1_11comp_targetILNS1_3genE9ELNS1_11target_archE1100ELNS1_3gpuE3ELNS1_3repE0EEENS1_30default_config_static_selectorELNS0_4arch9wavefront6targetE1EEEvS12_,"axG",@progbits,_ZN7rocprim17ROCPRIM_400000_NS6detail17trampoline_kernelINS0_13select_configILj256ELj13ELNS0_17block_load_methodE3ELS4_3ELS4_3ELNS0_20block_scan_algorithmE0ELj4294967295EEENS1_25partition_config_selectorILNS1_17partition_subalgoE4EjNS0_10empty_typeEbEEZZNS1_14partition_implILS8_4ELb0ES6_15HIP_vector_typeIjLj2EENS0_17counting_iteratorIjlEEPS9_SG_NS0_5tupleIJPjSI_NS0_16reverse_iteratorISI_EEEEENSH_IJSG_SG_SG_EEES9_SI_JZNS1_25segmented_radix_sort_implINS0_14default_configELb0EPKfPfPKlPlN2at6native12_GLOBAL__N_18offset_tEEE10hipError_tPvRmT1_PNSt15iterator_traitsIS12_E10value_typeET2_T3_PNS13_IS18_E10value_typeET4_jRbjT5_S1E_jjP12ihipStream_tbEUljE_ZNSN_ISO_Lb0ESQ_SR_ST_SU_SY_EESZ_S10_S11_S12_S16_S17_S18_S1B_S1C_jS1D_jS1E_S1E_jjS1G_bEUljE0_EEESZ_S10_S11_S18_S1C_S1E_T6_T7_T9_mT8_S1G_bDpT10_ENKUlT_T0_E_clISt17integral_constantIbLb0EES1T_IbLb1EEEEDaS1P_S1Q_EUlS1P_E_NS1_11comp_targetILNS1_3genE9ELNS1_11target_archE1100ELNS1_3gpuE3ELNS1_3repE0EEENS1_30default_config_static_selectorELNS0_4arch9wavefront6targetE1EEEvS12_,comdat
.Lfunc_end1394:
	.size	_ZN7rocprim17ROCPRIM_400000_NS6detail17trampoline_kernelINS0_13select_configILj256ELj13ELNS0_17block_load_methodE3ELS4_3ELS4_3ELNS0_20block_scan_algorithmE0ELj4294967295EEENS1_25partition_config_selectorILNS1_17partition_subalgoE4EjNS0_10empty_typeEbEEZZNS1_14partition_implILS8_4ELb0ES6_15HIP_vector_typeIjLj2EENS0_17counting_iteratorIjlEEPS9_SG_NS0_5tupleIJPjSI_NS0_16reverse_iteratorISI_EEEEENSH_IJSG_SG_SG_EEES9_SI_JZNS1_25segmented_radix_sort_implINS0_14default_configELb0EPKfPfPKlPlN2at6native12_GLOBAL__N_18offset_tEEE10hipError_tPvRmT1_PNSt15iterator_traitsIS12_E10value_typeET2_T3_PNS13_IS18_E10value_typeET4_jRbjT5_S1E_jjP12ihipStream_tbEUljE_ZNSN_ISO_Lb0ESQ_SR_ST_SU_SY_EESZ_S10_S11_S12_S16_S17_S18_S1B_S1C_jS1D_jS1E_S1E_jjS1G_bEUljE0_EEESZ_S10_S11_S18_S1C_S1E_T6_T7_T9_mT8_S1G_bDpT10_ENKUlT_T0_E_clISt17integral_constantIbLb0EES1T_IbLb1EEEEDaS1P_S1Q_EUlS1P_E_NS1_11comp_targetILNS1_3genE9ELNS1_11target_archE1100ELNS1_3gpuE3ELNS1_3repE0EEENS1_30default_config_static_selectorELNS0_4arch9wavefront6targetE1EEEvS12_, .Lfunc_end1394-_ZN7rocprim17ROCPRIM_400000_NS6detail17trampoline_kernelINS0_13select_configILj256ELj13ELNS0_17block_load_methodE3ELS4_3ELS4_3ELNS0_20block_scan_algorithmE0ELj4294967295EEENS1_25partition_config_selectorILNS1_17partition_subalgoE4EjNS0_10empty_typeEbEEZZNS1_14partition_implILS8_4ELb0ES6_15HIP_vector_typeIjLj2EENS0_17counting_iteratorIjlEEPS9_SG_NS0_5tupleIJPjSI_NS0_16reverse_iteratorISI_EEEEENSH_IJSG_SG_SG_EEES9_SI_JZNS1_25segmented_radix_sort_implINS0_14default_configELb0EPKfPfPKlPlN2at6native12_GLOBAL__N_18offset_tEEE10hipError_tPvRmT1_PNSt15iterator_traitsIS12_E10value_typeET2_T3_PNS13_IS18_E10value_typeET4_jRbjT5_S1E_jjP12ihipStream_tbEUljE_ZNSN_ISO_Lb0ESQ_SR_ST_SU_SY_EESZ_S10_S11_S12_S16_S17_S18_S1B_S1C_jS1D_jS1E_S1E_jjS1G_bEUljE0_EEESZ_S10_S11_S18_S1C_S1E_T6_T7_T9_mT8_S1G_bDpT10_ENKUlT_T0_E_clISt17integral_constantIbLb0EES1T_IbLb1EEEEDaS1P_S1Q_EUlS1P_E_NS1_11comp_targetILNS1_3genE9ELNS1_11target_archE1100ELNS1_3gpuE3ELNS1_3repE0EEENS1_30default_config_static_selectorELNS0_4arch9wavefront6targetE1EEEvS12_
                                        ; -- End function
	.set _ZN7rocprim17ROCPRIM_400000_NS6detail17trampoline_kernelINS0_13select_configILj256ELj13ELNS0_17block_load_methodE3ELS4_3ELS4_3ELNS0_20block_scan_algorithmE0ELj4294967295EEENS1_25partition_config_selectorILNS1_17partition_subalgoE4EjNS0_10empty_typeEbEEZZNS1_14partition_implILS8_4ELb0ES6_15HIP_vector_typeIjLj2EENS0_17counting_iteratorIjlEEPS9_SG_NS0_5tupleIJPjSI_NS0_16reverse_iteratorISI_EEEEENSH_IJSG_SG_SG_EEES9_SI_JZNS1_25segmented_radix_sort_implINS0_14default_configELb0EPKfPfPKlPlN2at6native12_GLOBAL__N_18offset_tEEE10hipError_tPvRmT1_PNSt15iterator_traitsIS12_E10value_typeET2_T3_PNS13_IS18_E10value_typeET4_jRbjT5_S1E_jjP12ihipStream_tbEUljE_ZNSN_ISO_Lb0ESQ_SR_ST_SU_SY_EESZ_S10_S11_S12_S16_S17_S18_S1B_S1C_jS1D_jS1E_S1E_jjS1G_bEUljE0_EEESZ_S10_S11_S18_S1C_S1E_T6_T7_T9_mT8_S1G_bDpT10_ENKUlT_T0_E_clISt17integral_constantIbLb0EES1T_IbLb1EEEEDaS1P_S1Q_EUlS1P_E_NS1_11comp_targetILNS1_3genE9ELNS1_11target_archE1100ELNS1_3gpuE3ELNS1_3repE0EEENS1_30default_config_static_selectorELNS0_4arch9wavefront6targetE1EEEvS12_.num_vgpr, 0
	.set _ZN7rocprim17ROCPRIM_400000_NS6detail17trampoline_kernelINS0_13select_configILj256ELj13ELNS0_17block_load_methodE3ELS4_3ELS4_3ELNS0_20block_scan_algorithmE0ELj4294967295EEENS1_25partition_config_selectorILNS1_17partition_subalgoE4EjNS0_10empty_typeEbEEZZNS1_14partition_implILS8_4ELb0ES6_15HIP_vector_typeIjLj2EENS0_17counting_iteratorIjlEEPS9_SG_NS0_5tupleIJPjSI_NS0_16reverse_iteratorISI_EEEEENSH_IJSG_SG_SG_EEES9_SI_JZNS1_25segmented_radix_sort_implINS0_14default_configELb0EPKfPfPKlPlN2at6native12_GLOBAL__N_18offset_tEEE10hipError_tPvRmT1_PNSt15iterator_traitsIS12_E10value_typeET2_T3_PNS13_IS18_E10value_typeET4_jRbjT5_S1E_jjP12ihipStream_tbEUljE_ZNSN_ISO_Lb0ESQ_SR_ST_SU_SY_EESZ_S10_S11_S12_S16_S17_S18_S1B_S1C_jS1D_jS1E_S1E_jjS1G_bEUljE0_EEESZ_S10_S11_S18_S1C_S1E_T6_T7_T9_mT8_S1G_bDpT10_ENKUlT_T0_E_clISt17integral_constantIbLb0EES1T_IbLb1EEEEDaS1P_S1Q_EUlS1P_E_NS1_11comp_targetILNS1_3genE9ELNS1_11target_archE1100ELNS1_3gpuE3ELNS1_3repE0EEENS1_30default_config_static_selectorELNS0_4arch9wavefront6targetE1EEEvS12_.num_agpr, 0
	.set _ZN7rocprim17ROCPRIM_400000_NS6detail17trampoline_kernelINS0_13select_configILj256ELj13ELNS0_17block_load_methodE3ELS4_3ELS4_3ELNS0_20block_scan_algorithmE0ELj4294967295EEENS1_25partition_config_selectorILNS1_17partition_subalgoE4EjNS0_10empty_typeEbEEZZNS1_14partition_implILS8_4ELb0ES6_15HIP_vector_typeIjLj2EENS0_17counting_iteratorIjlEEPS9_SG_NS0_5tupleIJPjSI_NS0_16reverse_iteratorISI_EEEEENSH_IJSG_SG_SG_EEES9_SI_JZNS1_25segmented_radix_sort_implINS0_14default_configELb0EPKfPfPKlPlN2at6native12_GLOBAL__N_18offset_tEEE10hipError_tPvRmT1_PNSt15iterator_traitsIS12_E10value_typeET2_T3_PNS13_IS18_E10value_typeET4_jRbjT5_S1E_jjP12ihipStream_tbEUljE_ZNSN_ISO_Lb0ESQ_SR_ST_SU_SY_EESZ_S10_S11_S12_S16_S17_S18_S1B_S1C_jS1D_jS1E_S1E_jjS1G_bEUljE0_EEESZ_S10_S11_S18_S1C_S1E_T6_T7_T9_mT8_S1G_bDpT10_ENKUlT_T0_E_clISt17integral_constantIbLb0EES1T_IbLb1EEEEDaS1P_S1Q_EUlS1P_E_NS1_11comp_targetILNS1_3genE9ELNS1_11target_archE1100ELNS1_3gpuE3ELNS1_3repE0EEENS1_30default_config_static_selectorELNS0_4arch9wavefront6targetE1EEEvS12_.numbered_sgpr, 0
	.set _ZN7rocprim17ROCPRIM_400000_NS6detail17trampoline_kernelINS0_13select_configILj256ELj13ELNS0_17block_load_methodE3ELS4_3ELS4_3ELNS0_20block_scan_algorithmE0ELj4294967295EEENS1_25partition_config_selectorILNS1_17partition_subalgoE4EjNS0_10empty_typeEbEEZZNS1_14partition_implILS8_4ELb0ES6_15HIP_vector_typeIjLj2EENS0_17counting_iteratorIjlEEPS9_SG_NS0_5tupleIJPjSI_NS0_16reverse_iteratorISI_EEEEENSH_IJSG_SG_SG_EEES9_SI_JZNS1_25segmented_radix_sort_implINS0_14default_configELb0EPKfPfPKlPlN2at6native12_GLOBAL__N_18offset_tEEE10hipError_tPvRmT1_PNSt15iterator_traitsIS12_E10value_typeET2_T3_PNS13_IS18_E10value_typeET4_jRbjT5_S1E_jjP12ihipStream_tbEUljE_ZNSN_ISO_Lb0ESQ_SR_ST_SU_SY_EESZ_S10_S11_S12_S16_S17_S18_S1B_S1C_jS1D_jS1E_S1E_jjS1G_bEUljE0_EEESZ_S10_S11_S18_S1C_S1E_T6_T7_T9_mT8_S1G_bDpT10_ENKUlT_T0_E_clISt17integral_constantIbLb0EES1T_IbLb1EEEEDaS1P_S1Q_EUlS1P_E_NS1_11comp_targetILNS1_3genE9ELNS1_11target_archE1100ELNS1_3gpuE3ELNS1_3repE0EEENS1_30default_config_static_selectorELNS0_4arch9wavefront6targetE1EEEvS12_.num_named_barrier, 0
	.set _ZN7rocprim17ROCPRIM_400000_NS6detail17trampoline_kernelINS0_13select_configILj256ELj13ELNS0_17block_load_methodE3ELS4_3ELS4_3ELNS0_20block_scan_algorithmE0ELj4294967295EEENS1_25partition_config_selectorILNS1_17partition_subalgoE4EjNS0_10empty_typeEbEEZZNS1_14partition_implILS8_4ELb0ES6_15HIP_vector_typeIjLj2EENS0_17counting_iteratorIjlEEPS9_SG_NS0_5tupleIJPjSI_NS0_16reverse_iteratorISI_EEEEENSH_IJSG_SG_SG_EEES9_SI_JZNS1_25segmented_radix_sort_implINS0_14default_configELb0EPKfPfPKlPlN2at6native12_GLOBAL__N_18offset_tEEE10hipError_tPvRmT1_PNSt15iterator_traitsIS12_E10value_typeET2_T3_PNS13_IS18_E10value_typeET4_jRbjT5_S1E_jjP12ihipStream_tbEUljE_ZNSN_ISO_Lb0ESQ_SR_ST_SU_SY_EESZ_S10_S11_S12_S16_S17_S18_S1B_S1C_jS1D_jS1E_S1E_jjS1G_bEUljE0_EEESZ_S10_S11_S18_S1C_S1E_T6_T7_T9_mT8_S1G_bDpT10_ENKUlT_T0_E_clISt17integral_constantIbLb0EES1T_IbLb1EEEEDaS1P_S1Q_EUlS1P_E_NS1_11comp_targetILNS1_3genE9ELNS1_11target_archE1100ELNS1_3gpuE3ELNS1_3repE0EEENS1_30default_config_static_selectorELNS0_4arch9wavefront6targetE1EEEvS12_.private_seg_size, 0
	.set _ZN7rocprim17ROCPRIM_400000_NS6detail17trampoline_kernelINS0_13select_configILj256ELj13ELNS0_17block_load_methodE3ELS4_3ELS4_3ELNS0_20block_scan_algorithmE0ELj4294967295EEENS1_25partition_config_selectorILNS1_17partition_subalgoE4EjNS0_10empty_typeEbEEZZNS1_14partition_implILS8_4ELb0ES6_15HIP_vector_typeIjLj2EENS0_17counting_iteratorIjlEEPS9_SG_NS0_5tupleIJPjSI_NS0_16reverse_iteratorISI_EEEEENSH_IJSG_SG_SG_EEES9_SI_JZNS1_25segmented_radix_sort_implINS0_14default_configELb0EPKfPfPKlPlN2at6native12_GLOBAL__N_18offset_tEEE10hipError_tPvRmT1_PNSt15iterator_traitsIS12_E10value_typeET2_T3_PNS13_IS18_E10value_typeET4_jRbjT5_S1E_jjP12ihipStream_tbEUljE_ZNSN_ISO_Lb0ESQ_SR_ST_SU_SY_EESZ_S10_S11_S12_S16_S17_S18_S1B_S1C_jS1D_jS1E_S1E_jjS1G_bEUljE0_EEESZ_S10_S11_S18_S1C_S1E_T6_T7_T9_mT8_S1G_bDpT10_ENKUlT_T0_E_clISt17integral_constantIbLb0EES1T_IbLb1EEEEDaS1P_S1Q_EUlS1P_E_NS1_11comp_targetILNS1_3genE9ELNS1_11target_archE1100ELNS1_3gpuE3ELNS1_3repE0EEENS1_30default_config_static_selectorELNS0_4arch9wavefront6targetE1EEEvS12_.uses_vcc, 0
	.set _ZN7rocprim17ROCPRIM_400000_NS6detail17trampoline_kernelINS0_13select_configILj256ELj13ELNS0_17block_load_methodE3ELS4_3ELS4_3ELNS0_20block_scan_algorithmE0ELj4294967295EEENS1_25partition_config_selectorILNS1_17partition_subalgoE4EjNS0_10empty_typeEbEEZZNS1_14partition_implILS8_4ELb0ES6_15HIP_vector_typeIjLj2EENS0_17counting_iteratorIjlEEPS9_SG_NS0_5tupleIJPjSI_NS0_16reverse_iteratorISI_EEEEENSH_IJSG_SG_SG_EEES9_SI_JZNS1_25segmented_radix_sort_implINS0_14default_configELb0EPKfPfPKlPlN2at6native12_GLOBAL__N_18offset_tEEE10hipError_tPvRmT1_PNSt15iterator_traitsIS12_E10value_typeET2_T3_PNS13_IS18_E10value_typeET4_jRbjT5_S1E_jjP12ihipStream_tbEUljE_ZNSN_ISO_Lb0ESQ_SR_ST_SU_SY_EESZ_S10_S11_S12_S16_S17_S18_S1B_S1C_jS1D_jS1E_S1E_jjS1G_bEUljE0_EEESZ_S10_S11_S18_S1C_S1E_T6_T7_T9_mT8_S1G_bDpT10_ENKUlT_T0_E_clISt17integral_constantIbLb0EES1T_IbLb1EEEEDaS1P_S1Q_EUlS1P_E_NS1_11comp_targetILNS1_3genE9ELNS1_11target_archE1100ELNS1_3gpuE3ELNS1_3repE0EEENS1_30default_config_static_selectorELNS0_4arch9wavefront6targetE1EEEvS12_.uses_flat_scratch, 0
	.set _ZN7rocprim17ROCPRIM_400000_NS6detail17trampoline_kernelINS0_13select_configILj256ELj13ELNS0_17block_load_methodE3ELS4_3ELS4_3ELNS0_20block_scan_algorithmE0ELj4294967295EEENS1_25partition_config_selectorILNS1_17partition_subalgoE4EjNS0_10empty_typeEbEEZZNS1_14partition_implILS8_4ELb0ES6_15HIP_vector_typeIjLj2EENS0_17counting_iteratorIjlEEPS9_SG_NS0_5tupleIJPjSI_NS0_16reverse_iteratorISI_EEEEENSH_IJSG_SG_SG_EEES9_SI_JZNS1_25segmented_radix_sort_implINS0_14default_configELb0EPKfPfPKlPlN2at6native12_GLOBAL__N_18offset_tEEE10hipError_tPvRmT1_PNSt15iterator_traitsIS12_E10value_typeET2_T3_PNS13_IS18_E10value_typeET4_jRbjT5_S1E_jjP12ihipStream_tbEUljE_ZNSN_ISO_Lb0ESQ_SR_ST_SU_SY_EESZ_S10_S11_S12_S16_S17_S18_S1B_S1C_jS1D_jS1E_S1E_jjS1G_bEUljE0_EEESZ_S10_S11_S18_S1C_S1E_T6_T7_T9_mT8_S1G_bDpT10_ENKUlT_T0_E_clISt17integral_constantIbLb0EES1T_IbLb1EEEEDaS1P_S1Q_EUlS1P_E_NS1_11comp_targetILNS1_3genE9ELNS1_11target_archE1100ELNS1_3gpuE3ELNS1_3repE0EEENS1_30default_config_static_selectorELNS0_4arch9wavefront6targetE1EEEvS12_.has_dyn_sized_stack, 0
	.set _ZN7rocprim17ROCPRIM_400000_NS6detail17trampoline_kernelINS0_13select_configILj256ELj13ELNS0_17block_load_methodE3ELS4_3ELS4_3ELNS0_20block_scan_algorithmE0ELj4294967295EEENS1_25partition_config_selectorILNS1_17partition_subalgoE4EjNS0_10empty_typeEbEEZZNS1_14partition_implILS8_4ELb0ES6_15HIP_vector_typeIjLj2EENS0_17counting_iteratorIjlEEPS9_SG_NS0_5tupleIJPjSI_NS0_16reverse_iteratorISI_EEEEENSH_IJSG_SG_SG_EEES9_SI_JZNS1_25segmented_radix_sort_implINS0_14default_configELb0EPKfPfPKlPlN2at6native12_GLOBAL__N_18offset_tEEE10hipError_tPvRmT1_PNSt15iterator_traitsIS12_E10value_typeET2_T3_PNS13_IS18_E10value_typeET4_jRbjT5_S1E_jjP12ihipStream_tbEUljE_ZNSN_ISO_Lb0ESQ_SR_ST_SU_SY_EESZ_S10_S11_S12_S16_S17_S18_S1B_S1C_jS1D_jS1E_S1E_jjS1G_bEUljE0_EEESZ_S10_S11_S18_S1C_S1E_T6_T7_T9_mT8_S1G_bDpT10_ENKUlT_T0_E_clISt17integral_constantIbLb0EES1T_IbLb1EEEEDaS1P_S1Q_EUlS1P_E_NS1_11comp_targetILNS1_3genE9ELNS1_11target_archE1100ELNS1_3gpuE3ELNS1_3repE0EEENS1_30default_config_static_selectorELNS0_4arch9wavefront6targetE1EEEvS12_.has_recursion, 0
	.set _ZN7rocprim17ROCPRIM_400000_NS6detail17trampoline_kernelINS0_13select_configILj256ELj13ELNS0_17block_load_methodE3ELS4_3ELS4_3ELNS0_20block_scan_algorithmE0ELj4294967295EEENS1_25partition_config_selectorILNS1_17partition_subalgoE4EjNS0_10empty_typeEbEEZZNS1_14partition_implILS8_4ELb0ES6_15HIP_vector_typeIjLj2EENS0_17counting_iteratorIjlEEPS9_SG_NS0_5tupleIJPjSI_NS0_16reverse_iteratorISI_EEEEENSH_IJSG_SG_SG_EEES9_SI_JZNS1_25segmented_radix_sort_implINS0_14default_configELb0EPKfPfPKlPlN2at6native12_GLOBAL__N_18offset_tEEE10hipError_tPvRmT1_PNSt15iterator_traitsIS12_E10value_typeET2_T3_PNS13_IS18_E10value_typeET4_jRbjT5_S1E_jjP12ihipStream_tbEUljE_ZNSN_ISO_Lb0ESQ_SR_ST_SU_SY_EESZ_S10_S11_S12_S16_S17_S18_S1B_S1C_jS1D_jS1E_S1E_jjS1G_bEUljE0_EEESZ_S10_S11_S18_S1C_S1E_T6_T7_T9_mT8_S1G_bDpT10_ENKUlT_T0_E_clISt17integral_constantIbLb0EES1T_IbLb1EEEEDaS1P_S1Q_EUlS1P_E_NS1_11comp_targetILNS1_3genE9ELNS1_11target_archE1100ELNS1_3gpuE3ELNS1_3repE0EEENS1_30default_config_static_selectorELNS0_4arch9wavefront6targetE1EEEvS12_.has_indirect_call, 0
	.section	.AMDGPU.csdata,"",@progbits
; Kernel info:
; codeLenInByte = 0
; TotalNumSgprs: 4
; NumVgprs: 0
; ScratchSize: 0
; MemoryBound: 0
; FloatMode: 240
; IeeeMode: 1
; LDSByteSize: 0 bytes/workgroup (compile time only)
; SGPRBlocks: 0
; VGPRBlocks: 0
; NumSGPRsForWavesPerEU: 4
; NumVGPRsForWavesPerEU: 1
; Occupancy: 10
; WaveLimiterHint : 0
; COMPUTE_PGM_RSRC2:SCRATCH_EN: 0
; COMPUTE_PGM_RSRC2:USER_SGPR: 6
; COMPUTE_PGM_RSRC2:TRAP_HANDLER: 0
; COMPUTE_PGM_RSRC2:TGID_X_EN: 1
; COMPUTE_PGM_RSRC2:TGID_Y_EN: 0
; COMPUTE_PGM_RSRC2:TGID_Z_EN: 0
; COMPUTE_PGM_RSRC2:TIDIG_COMP_CNT: 0
	.section	.text._ZN7rocprim17ROCPRIM_400000_NS6detail17trampoline_kernelINS0_13select_configILj256ELj13ELNS0_17block_load_methodE3ELS4_3ELS4_3ELNS0_20block_scan_algorithmE0ELj4294967295EEENS1_25partition_config_selectorILNS1_17partition_subalgoE4EjNS0_10empty_typeEbEEZZNS1_14partition_implILS8_4ELb0ES6_15HIP_vector_typeIjLj2EENS0_17counting_iteratorIjlEEPS9_SG_NS0_5tupleIJPjSI_NS0_16reverse_iteratorISI_EEEEENSH_IJSG_SG_SG_EEES9_SI_JZNS1_25segmented_radix_sort_implINS0_14default_configELb0EPKfPfPKlPlN2at6native12_GLOBAL__N_18offset_tEEE10hipError_tPvRmT1_PNSt15iterator_traitsIS12_E10value_typeET2_T3_PNS13_IS18_E10value_typeET4_jRbjT5_S1E_jjP12ihipStream_tbEUljE_ZNSN_ISO_Lb0ESQ_SR_ST_SU_SY_EESZ_S10_S11_S12_S16_S17_S18_S1B_S1C_jS1D_jS1E_S1E_jjS1G_bEUljE0_EEESZ_S10_S11_S18_S1C_S1E_T6_T7_T9_mT8_S1G_bDpT10_ENKUlT_T0_E_clISt17integral_constantIbLb0EES1T_IbLb1EEEEDaS1P_S1Q_EUlS1P_E_NS1_11comp_targetILNS1_3genE8ELNS1_11target_archE1030ELNS1_3gpuE2ELNS1_3repE0EEENS1_30default_config_static_selectorELNS0_4arch9wavefront6targetE1EEEvS12_,"axG",@progbits,_ZN7rocprim17ROCPRIM_400000_NS6detail17trampoline_kernelINS0_13select_configILj256ELj13ELNS0_17block_load_methodE3ELS4_3ELS4_3ELNS0_20block_scan_algorithmE0ELj4294967295EEENS1_25partition_config_selectorILNS1_17partition_subalgoE4EjNS0_10empty_typeEbEEZZNS1_14partition_implILS8_4ELb0ES6_15HIP_vector_typeIjLj2EENS0_17counting_iteratorIjlEEPS9_SG_NS0_5tupleIJPjSI_NS0_16reverse_iteratorISI_EEEEENSH_IJSG_SG_SG_EEES9_SI_JZNS1_25segmented_radix_sort_implINS0_14default_configELb0EPKfPfPKlPlN2at6native12_GLOBAL__N_18offset_tEEE10hipError_tPvRmT1_PNSt15iterator_traitsIS12_E10value_typeET2_T3_PNS13_IS18_E10value_typeET4_jRbjT5_S1E_jjP12ihipStream_tbEUljE_ZNSN_ISO_Lb0ESQ_SR_ST_SU_SY_EESZ_S10_S11_S12_S16_S17_S18_S1B_S1C_jS1D_jS1E_S1E_jjS1G_bEUljE0_EEESZ_S10_S11_S18_S1C_S1E_T6_T7_T9_mT8_S1G_bDpT10_ENKUlT_T0_E_clISt17integral_constantIbLb0EES1T_IbLb1EEEEDaS1P_S1Q_EUlS1P_E_NS1_11comp_targetILNS1_3genE8ELNS1_11target_archE1030ELNS1_3gpuE2ELNS1_3repE0EEENS1_30default_config_static_selectorELNS0_4arch9wavefront6targetE1EEEvS12_,comdat
	.globl	_ZN7rocprim17ROCPRIM_400000_NS6detail17trampoline_kernelINS0_13select_configILj256ELj13ELNS0_17block_load_methodE3ELS4_3ELS4_3ELNS0_20block_scan_algorithmE0ELj4294967295EEENS1_25partition_config_selectorILNS1_17partition_subalgoE4EjNS0_10empty_typeEbEEZZNS1_14partition_implILS8_4ELb0ES6_15HIP_vector_typeIjLj2EENS0_17counting_iteratorIjlEEPS9_SG_NS0_5tupleIJPjSI_NS0_16reverse_iteratorISI_EEEEENSH_IJSG_SG_SG_EEES9_SI_JZNS1_25segmented_radix_sort_implINS0_14default_configELb0EPKfPfPKlPlN2at6native12_GLOBAL__N_18offset_tEEE10hipError_tPvRmT1_PNSt15iterator_traitsIS12_E10value_typeET2_T3_PNS13_IS18_E10value_typeET4_jRbjT5_S1E_jjP12ihipStream_tbEUljE_ZNSN_ISO_Lb0ESQ_SR_ST_SU_SY_EESZ_S10_S11_S12_S16_S17_S18_S1B_S1C_jS1D_jS1E_S1E_jjS1G_bEUljE0_EEESZ_S10_S11_S18_S1C_S1E_T6_T7_T9_mT8_S1G_bDpT10_ENKUlT_T0_E_clISt17integral_constantIbLb0EES1T_IbLb1EEEEDaS1P_S1Q_EUlS1P_E_NS1_11comp_targetILNS1_3genE8ELNS1_11target_archE1030ELNS1_3gpuE2ELNS1_3repE0EEENS1_30default_config_static_selectorELNS0_4arch9wavefront6targetE1EEEvS12_ ; -- Begin function _ZN7rocprim17ROCPRIM_400000_NS6detail17trampoline_kernelINS0_13select_configILj256ELj13ELNS0_17block_load_methodE3ELS4_3ELS4_3ELNS0_20block_scan_algorithmE0ELj4294967295EEENS1_25partition_config_selectorILNS1_17partition_subalgoE4EjNS0_10empty_typeEbEEZZNS1_14partition_implILS8_4ELb0ES6_15HIP_vector_typeIjLj2EENS0_17counting_iteratorIjlEEPS9_SG_NS0_5tupleIJPjSI_NS0_16reverse_iteratorISI_EEEEENSH_IJSG_SG_SG_EEES9_SI_JZNS1_25segmented_radix_sort_implINS0_14default_configELb0EPKfPfPKlPlN2at6native12_GLOBAL__N_18offset_tEEE10hipError_tPvRmT1_PNSt15iterator_traitsIS12_E10value_typeET2_T3_PNS13_IS18_E10value_typeET4_jRbjT5_S1E_jjP12ihipStream_tbEUljE_ZNSN_ISO_Lb0ESQ_SR_ST_SU_SY_EESZ_S10_S11_S12_S16_S17_S18_S1B_S1C_jS1D_jS1E_S1E_jjS1G_bEUljE0_EEESZ_S10_S11_S18_S1C_S1E_T6_T7_T9_mT8_S1G_bDpT10_ENKUlT_T0_E_clISt17integral_constantIbLb0EES1T_IbLb1EEEEDaS1P_S1Q_EUlS1P_E_NS1_11comp_targetILNS1_3genE8ELNS1_11target_archE1030ELNS1_3gpuE2ELNS1_3repE0EEENS1_30default_config_static_selectorELNS0_4arch9wavefront6targetE1EEEvS12_
	.p2align	8
	.type	_ZN7rocprim17ROCPRIM_400000_NS6detail17trampoline_kernelINS0_13select_configILj256ELj13ELNS0_17block_load_methodE3ELS4_3ELS4_3ELNS0_20block_scan_algorithmE0ELj4294967295EEENS1_25partition_config_selectorILNS1_17partition_subalgoE4EjNS0_10empty_typeEbEEZZNS1_14partition_implILS8_4ELb0ES6_15HIP_vector_typeIjLj2EENS0_17counting_iteratorIjlEEPS9_SG_NS0_5tupleIJPjSI_NS0_16reverse_iteratorISI_EEEEENSH_IJSG_SG_SG_EEES9_SI_JZNS1_25segmented_radix_sort_implINS0_14default_configELb0EPKfPfPKlPlN2at6native12_GLOBAL__N_18offset_tEEE10hipError_tPvRmT1_PNSt15iterator_traitsIS12_E10value_typeET2_T3_PNS13_IS18_E10value_typeET4_jRbjT5_S1E_jjP12ihipStream_tbEUljE_ZNSN_ISO_Lb0ESQ_SR_ST_SU_SY_EESZ_S10_S11_S12_S16_S17_S18_S1B_S1C_jS1D_jS1E_S1E_jjS1G_bEUljE0_EEESZ_S10_S11_S18_S1C_S1E_T6_T7_T9_mT8_S1G_bDpT10_ENKUlT_T0_E_clISt17integral_constantIbLb0EES1T_IbLb1EEEEDaS1P_S1Q_EUlS1P_E_NS1_11comp_targetILNS1_3genE8ELNS1_11target_archE1030ELNS1_3gpuE2ELNS1_3repE0EEENS1_30default_config_static_selectorELNS0_4arch9wavefront6targetE1EEEvS12_,@function
_ZN7rocprim17ROCPRIM_400000_NS6detail17trampoline_kernelINS0_13select_configILj256ELj13ELNS0_17block_load_methodE3ELS4_3ELS4_3ELNS0_20block_scan_algorithmE0ELj4294967295EEENS1_25partition_config_selectorILNS1_17partition_subalgoE4EjNS0_10empty_typeEbEEZZNS1_14partition_implILS8_4ELb0ES6_15HIP_vector_typeIjLj2EENS0_17counting_iteratorIjlEEPS9_SG_NS0_5tupleIJPjSI_NS0_16reverse_iteratorISI_EEEEENSH_IJSG_SG_SG_EEES9_SI_JZNS1_25segmented_radix_sort_implINS0_14default_configELb0EPKfPfPKlPlN2at6native12_GLOBAL__N_18offset_tEEE10hipError_tPvRmT1_PNSt15iterator_traitsIS12_E10value_typeET2_T3_PNS13_IS18_E10value_typeET4_jRbjT5_S1E_jjP12ihipStream_tbEUljE_ZNSN_ISO_Lb0ESQ_SR_ST_SU_SY_EESZ_S10_S11_S12_S16_S17_S18_S1B_S1C_jS1D_jS1E_S1E_jjS1G_bEUljE0_EEESZ_S10_S11_S18_S1C_S1E_T6_T7_T9_mT8_S1G_bDpT10_ENKUlT_T0_E_clISt17integral_constantIbLb0EES1T_IbLb1EEEEDaS1P_S1Q_EUlS1P_E_NS1_11comp_targetILNS1_3genE8ELNS1_11target_archE1030ELNS1_3gpuE2ELNS1_3repE0EEENS1_30default_config_static_selectorELNS0_4arch9wavefront6targetE1EEEvS12_: ; @_ZN7rocprim17ROCPRIM_400000_NS6detail17trampoline_kernelINS0_13select_configILj256ELj13ELNS0_17block_load_methodE3ELS4_3ELS4_3ELNS0_20block_scan_algorithmE0ELj4294967295EEENS1_25partition_config_selectorILNS1_17partition_subalgoE4EjNS0_10empty_typeEbEEZZNS1_14partition_implILS8_4ELb0ES6_15HIP_vector_typeIjLj2EENS0_17counting_iteratorIjlEEPS9_SG_NS0_5tupleIJPjSI_NS0_16reverse_iteratorISI_EEEEENSH_IJSG_SG_SG_EEES9_SI_JZNS1_25segmented_radix_sort_implINS0_14default_configELb0EPKfPfPKlPlN2at6native12_GLOBAL__N_18offset_tEEE10hipError_tPvRmT1_PNSt15iterator_traitsIS12_E10value_typeET2_T3_PNS13_IS18_E10value_typeET4_jRbjT5_S1E_jjP12ihipStream_tbEUljE_ZNSN_ISO_Lb0ESQ_SR_ST_SU_SY_EESZ_S10_S11_S12_S16_S17_S18_S1B_S1C_jS1D_jS1E_S1E_jjS1G_bEUljE0_EEESZ_S10_S11_S18_S1C_S1E_T6_T7_T9_mT8_S1G_bDpT10_ENKUlT_T0_E_clISt17integral_constantIbLb0EES1T_IbLb1EEEEDaS1P_S1Q_EUlS1P_E_NS1_11comp_targetILNS1_3genE8ELNS1_11target_archE1030ELNS1_3gpuE2ELNS1_3repE0EEENS1_30default_config_static_selectorELNS0_4arch9wavefront6targetE1EEEvS12_
; %bb.0:
	.section	.rodata,"a",@progbits
	.p2align	6, 0x0
	.amdhsa_kernel _ZN7rocprim17ROCPRIM_400000_NS6detail17trampoline_kernelINS0_13select_configILj256ELj13ELNS0_17block_load_methodE3ELS4_3ELS4_3ELNS0_20block_scan_algorithmE0ELj4294967295EEENS1_25partition_config_selectorILNS1_17partition_subalgoE4EjNS0_10empty_typeEbEEZZNS1_14partition_implILS8_4ELb0ES6_15HIP_vector_typeIjLj2EENS0_17counting_iteratorIjlEEPS9_SG_NS0_5tupleIJPjSI_NS0_16reverse_iteratorISI_EEEEENSH_IJSG_SG_SG_EEES9_SI_JZNS1_25segmented_radix_sort_implINS0_14default_configELb0EPKfPfPKlPlN2at6native12_GLOBAL__N_18offset_tEEE10hipError_tPvRmT1_PNSt15iterator_traitsIS12_E10value_typeET2_T3_PNS13_IS18_E10value_typeET4_jRbjT5_S1E_jjP12ihipStream_tbEUljE_ZNSN_ISO_Lb0ESQ_SR_ST_SU_SY_EESZ_S10_S11_S12_S16_S17_S18_S1B_S1C_jS1D_jS1E_S1E_jjS1G_bEUljE0_EEESZ_S10_S11_S18_S1C_S1E_T6_T7_T9_mT8_S1G_bDpT10_ENKUlT_T0_E_clISt17integral_constantIbLb0EES1T_IbLb1EEEEDaS1P_S1Q_EUlS1P_E_NS1_11comp_targetILNS1_3genE8ELNS1_11target_archE1030ELNS1_3gpuE2ELNS1_3repE0EEENS1_30default_config_static_selectorELNS0_4arch9wavefront6targetE1EEEvS12_
		.amdhsa_group_segment_fixed_size 0
		.amdhsa_private_segment_fixed_size 0
		.amdhsa_kernarg_size 184
		.amdhsa_user_sgpr_count 6
		.amdhsa_user_sgpr_private_segment_buffer 1
		.amdhsa_user_sgpr_dispatch_ptr 0
		.amdhsa_user_sgpr_queue_ptr 0
		.amdhsa_user_sgpr_kernarg_segment_ptr 1
		.amdhsa_user_sgpr_dispatch_id 0
		.amdhsa_user_sgpr_flat_scratch_init 0
		.amdhsa_user_sgpr_private_segment_size 0
		.amdhsa_uses_dynamic_stack 0
		.amdhsa_system_sgpr_private_segment_wavefront_offset 0
		.amdhsa_system_sgpr_workgroup_id_x 1
		.amdhsa_system_sgpr_workgroup_id_y 0
		.amdhsa_system_sgpr_workgroup_id_z 0
		.amdhsa_system_sgpr_workgroup_info 0
		.amdhsa_system_vgpr_workitem_id 0
		.amdhsa_next_free_vgpr 1
		.amdhsa_next_free_sgpr 0
		.amdhsa_reserve_vcc 0
		.amdhsa_reserve_flat_scratch 0
		.amdhsa_float_round_mode_32 0
		.amdhsa_float_round_mode_16_64 0
		.amdhsa_float_denorm_mode_32 3
		.amdhsa_float_denorm_mode_16_64 3
		.amdhsa_dx10_clamp 1
		.amdhsa_ieee_mode 1
		.amdhsa_fp16_overflow 0
		.amdhsa_exception_fp_ieee_invalid_op 0
		.amdhsa_exception_fp_denorm_src 0
		.amdhsa_exception_fp_ieee_div_zero 0
		.amdhsa_exception_fp_ieee_overflow 0
		.amdhsa_exception_fp_ieee_underflow 0
		.amdhsa_exception_fp_ieee_inexact 0
		.amdhsa_exception_int_div_zero 0
	.end_amdhsa_kernel
	.section	.text._ZN7rocprim17ROCPRIM_400000_NS6detail17trampoline_kernelINS0_13select_configILj256ELj13ELNS0_17block_load_methodE3ELS4_3ELS4_3ELNS0_20block_scan_algorithmE0ELj4294967295EEENS1_25partition_config_selectorILNS1_17partition_subalgoE4EjNS0_10empty_typeEbEEZZNS1_14partition_implILS8_4ELb0ES6_15HIP_vector_typeIjLj2EENS0_17counting_iteratorIjlEEPS9_SG_NS0_5tupleIJPjSI_NS0_16reverse_iteratorISI_EEEEENSH_IJSG_SG_SG_EEES9_SI_JZNS1_25segmented_radix_sort_implINS0_14default_configELb0EPKfPfPKlPlN2at6native12_GLOBAL__N_18offset_tEEE10hipError_tPvRmT1_PNSt15iterator_traitsIS12_E10value_typeET2_T3_PNS13_IS18_E10value_typeET4_jRbjT5_S1E_jjP12ihipStream_tbEUljE_ZNSN_ISO_Lb0ESQ_SR_ST_SU_SY_EESZ_S10_S11_S12_S16_S17_S18_S1B_S1C_jS1D_jS1E_S1E_jjS1G_bEUljE0_EEESZ_S10_S11_S18_S1C_S1E_T6_T7_T9_mT8_S1G_bDpT10_ENKUlT_T0_E_clISt17integral_constantIbLb0EES1T_IbLb1EEEEDaS1P_S1Q_EUlS1P_E_NS1_11comp_targetILNS1_3genE8ELNS1_11target_archE1030ELNS1_3gpuE2ELNS1_3repE0EEENS1_30default_config_static_selectorELNS0_4arch9wavefront6targetE1EEEvS12_,"axG",@progbits,_ZN7rocprim17ROCPRIM_400000_NS6detail17trampoline_kernelINS0_13select_configILj256ELj13ELNS0_17block_load_methodE3ELS4_3ELS4_3ELNS0_20block_scan_algorithmE0ELj4294967295EEENS1_25partition_config_selectorILNS1_17partition_subalgoE4EjNS0_10empty_typeEbEEZZNS1_14partition_implILS8_4ELb0ES6_15HIP_vector_typeIjLj2EENS0_17counting_iteratorIjlEEPS9_SG_NS0_5tupleIJPjSI_NS0_16reverse_iteratorISI_EEEEENSH_IJSG_SG_SG_EEES9_SI_JZNS1_25segmented_radix_sort_implINS0_14default_configELb0EPKfPfPKlPlN2at6native12_GLOBAL__N_18offset_tEEE10hipError_tPvRmT1_PNSt15iterator_traitsIS12_E10value_typeET2_T3_PNS13_IS18_E10value_typeET4_jRbjT5_S1E_jjP12ihipStream_tbEUljE_ZNSN_ISO_Lb0ESQ_SR_ST_SU_SY_EESZ_S10_S11_S12_S16_S17_S18_S1B_S1C_jS1D_jS1E_S1E_jjS1G_bEUljE0_EEESZ_S10_S11_S18_S1C_S1E_T6_T7_T9_mT8_S1G_bDpT10_ENKUlT_T0_E_clISt17integral_constantIbLb0EES1T_IbLb1EEEEDaS1P_S1Q_EUlS1P_E_NS1_11comp_targetILNS1_3genE8ELNS1_11target_archE1030ELNS1_3gpuE2ELNS1_3repE0EEENS1_30default_config_static_selectorELNS0_4arch9wavefront6targetE1EEEvS12_,comdat
.Lfunc_end1395:
	.size	_ZN7rocprim17ROCPRIM_400000_NS6detail17trampoline_kernelINS0_13select_configILj256ELj13ELNS0_17block_load_methodE3ELS4_3ELS4_3ELNS0_20block_scan_algorithmE0ELj4294967295EEENS1_25partition_config_selectorILNS1_17partition_subalgoE4EjNS0_10empty_typeEbEEZZNS1_14partition_implILS8_4ELb0ES6_15HIP_vector_typeIjLj2EENS0_17counting_iteratorIjlEEPS9_SG_NS0_5tupleIJPjSI_NS0_16reverse_iteratorISI_EEEEENSH_IJSG_SG_SG_EEES9_SI_JZNS1_25segmented_radix_sort_implINS0_14default_configELb0EPKfPfPKlPlN2at6native12_GLOBAL__N_18offset_tEEE10hipError_tPvRmT1_PNSt15iterator_traitsIS12_E10value_typeET2_T3_PNS13_IS18_E10value_typeET4_jRbjT5_S1E_jjP12ihipStream_tbEUljE_ZNSN_ISO_Lb0ESQ_SR_ST_SU_SY_EESZ_S10_S11_S12_S16_S17_S18_S1B_S1C_jS1D_jS1E_S1E_jjS1G_bEUljE0_EEESZ_S10_S11_S18_S1C_S1E_T6_T7_T9_mT8_S1G_bDpT10_ENKUlT_T0_E_clISt17integral_constantIbLb0EES1T_IbLb1EEEEDaS1P_S1Q_EUlS1P_E_NS1_11comp_targetILNS1_3genE8ELNS1_11target_archE1030ELNS1_3gpuE2ELNS1_3repE0EEENS1_30default_config_static_selectorELNS0_4arch9wavefront6targetE1EEEvS12_, .Lfunc_end1395-_ZN7rocprim17ROCPRIM_400000_NS6detail17trampoline_kernelINS0_13select_configILj256ELj13ELNS0_17block_load_methodE3ELS4_3ELS4_3ELNS0_20block_scan_algorithmE0ELj4294967295EEENS1_25partition_config_selectorILNS1_17partition_subalgoE4EjNS0_10empty_typeEbEEZZNS1_14partition_implILS8_4ELb0ES6_15HIP_vector_typeIjLj2EENS0_17counting_iteratorIjlEEPS9_SG_NS0_5tupleIJPjSI_NS0_16reverse_iteratorISI_EEEEENSH_IJSG_SG_SG_EEES9_SI_JZNS1_25segmented_radix_sort_implINS0_14default_configELb0EPKfPfPKlPlN2at6native12_GLOBAL__N_18offset_tEEE10hipError_tPvRmT1_PNSt15iterator_traitsIS12_E10value_typeET2_T3_PNS13_IS18_E10value_typeET4_jRbjT5_S1E_jjP12ihipStream_tbEUljE_ZNSN_ISO_Lb0ESQ_SR_ST_SU_SY_EESZ_S10_S11_S12_S16_S17_S18_S1B_S1C_jS1D_jS1E_S1E_jjS1G_bEUljE0_EEESZ_S10_S11_S18_S1C_S1E_T6_T7_T9_mT8_S1G_bDpT10_ENKUlT_T0_E_clISt17integral_constantIbLb0EES1T_IbLb1EEEEDaS1P_S1Q_EUlS1P_E_NS1_11comp_targetILNS1_3genE8ELNS1_11target_archE1030ELNS1_3gpuE2ELNS1_3repE0EEENS1_30default_config_static_selectorELNS0_4arch9wavefront6targetE1EEEvS12_
                                        ; -- End function
	.set _ZN7rocprim17ROCPRIM_400000_NS6detail17trampoline_kernelINS0_13select_configILj256ELj13ELNS0_17block_load_methodE3ELS4_3ELS4_3ELNS0_20block_scan_algorithmE0ELj4294967295EEENS1_25partition_config_selectorILNS1_17partition_subalgoE4EjNS0_10empty_typeEbEEZZNS1_14partition_implILS8_4ELb0ES6_15HIP_vector_typeIjLj2EENS0_17counting_iteratorIjlEEPS9_SG_NS0_5tupleIJPjSI_NS0_16reverse_iteratorISI_EEEEENSH_IJSG_SG_SG_EEES9_SI_JZNS1_25segmented_radix_sort_implINS0_14default_configELb0EPKfPfPKlPlN2at6native12_GLOBAL__N_18offset_tEEE10hipError_tPvRmT1_PNSt15iterator_traitsIS12_E10value_typeET2_T3_PNS13_IS18_E10value_typeET4_jRbjT5_S1E_jjP12ihipStream_tbEUljE_ZNSN_ISO_Lb0ESQ_SR_ST_SU_SY_EESZ_S10_S11_S12_S16_S17_S18_S1B_S1C_jS1D_jS1E_S1E_jjS1G_bEUljE0_EEESZ_S10_S11_S18_S1C_S1E_T6_T7_T9_mT8_S1G_bDpT10_ENKUlT_T0_E_clISt17integral_constantIbLb0EES1T_IbLb1EEEEDaS1P_S1Q_EUlS1P_E_NS1_11comp_targetILNS1_3genE8ELNS1_11target_archE1030ELNS1_3gpuE2ELNS1_3repE0EEENS1_30default_config_static_selectorELNS0_4arch9wavefront6targetE1EEEvS12_.num_vgpr, 0
	.set _ZN7rocprim17ROCPRIM_400000_NS6detail17trampoline_kernelINS0_13select_configILj256ELj13ELNS0_17block_load_methodE3ELS4_3ELS4_3ELNS0_20block_scan_algorithmE0ELj4294967295EEENS1_25partition_config_selectorILNS1_17partition_subalgoE4EjNS0_10empty_typeEbEEZZNS1_14partition_implILS8_4ELb0ES6_15HIP_vector_typeIjLj2EENS0_17counting_iteratorIjlEEPS9_SG_NS0_5tupleIJPjSI_NS0_16reverse_iteratorISI_EEEEENSH_IJSG_SG_SG_EEES9_SI_JZNS1_25segmented_radix_sort_implINS0_14default_configELb0EPKfPfPKlPlN2at6native12_GLOBAL__N_18offset_tEEE10hipError_tPvRmT1_PNSt15iterator_traitsIS12_E10value_typeET2_T3_PNS13_IS18_E10value_typeET4_jRbjT5_S1E_jjP12ihipStream_tbEUljE_ZNSN_ISO_Lb0ESQ_SR_ST_SU_SY_EESZ_S10_S11_S12_S16_S17_S18_S1B_S1C_jS1D_jS1E_S1E_jjS1G_bEUljE0_EEESZ_S10_S11_S18_S1C_S1E_T6_T7_T9_mT8_S1G_bDpT10_ENKUlT_T0_E_clISt17integral_constantIbLb0EES1T_IbLb1EEEEDaS1P_S1Q_EUlS1P_E_NS1_11comp_targetILNS1_3genE8ELNS1_11target_archE1030ELNS1_3gpuE2ELNS1_3repE0EEENS1_30default_config_static_selectorELNS0_4arch9wavefront6targetE1EEEvS12_.num_agpr, 0
	.set _ZN7rocprim17ROCPRIM_400000_NS6detail17trampoline_kernelINS0_13select_configILj256ELj13ELNS0_17block_load_methodE3ELS4_3ELS4_3ELNS0_20block_scan_algorithmE0ELj4294967295EEENS1_25partition_config_selectorILNS1_17partition_subalgoE4EjNS0_10empty_typeEbEEZZNS1_14partition_implILS8_4ELb0ES6_15HIP_vector_typeIjLj2EENS0_17counting_iteratorIjlEEPS9_SG_NS0_5tupleIJPjSI_NS0_16reverse_iteratorISI_EEEEENSH_IJSG_SG_SG_EEES9_SI_JZNS1_25segmented_radix_sort_implINS0_14default_configELb0EPKfPfPKlPlN2at6native12_GLOBAL__N_18offset_tEEE10hipError_tPvRmT1_PNSt15iterator_traitsIS12_E10value_typeET2_T3_PNS13_IS18_E10value_typeET4_jRbjT5_S1E_jjP12ihipStream_tbEUljE_ZNSN_ISO_Lb0ESQ_SR_ST_SU_SY_EESZ_S10_S11_S12_S16_S17_S18_S1B_S1C_jS1D_jS1E_S1E_jjS1G_bEUljE0_EEESZ_S10_S11_S18_S1C_S1E_T6_T7_T9_mT8_S1G_bDpT10_ENKUlT_T0_E_clISt17integral_constantIbLb0EES1T_IbLb1EEEEDaS1P_S1Q_EUlS1P_E_NS1_11comp_targetILNS1_3genE8ELNS1_11target_archE1030ELNS1_3gpuE2ELNS1_3repE0EEENS1_30default_config_static_selectorELNS0_4arch9wavefront6targetE1EEEvS12_.numbered_sgpr, 0
	.set _ZN7rocprim17ROCPRIM_400000_NS6detail17trampoline_kernelINS0_13select_configILj256ELj13ELNS0_17block_load_methodE3ELS4_3ELS4_3ELNS0_20block_scan_algorithmE0ELj4294967295EEENS1_25partition_config_selectorILNS1_17partition_subalgoE4EjNS0_10empty_typeEbEEZZNS1_14partition_implILS8_4ELb0ES6_15HIP_vector_typeIjLj2EENS0_17counting_iteratorIjlEEPS9_SG_NS0_5tupleIJPjSI_NS0_16reverse_iteratorISI_EEEEENSH_IJSG_SG_SG_EEES9_SI_JZNS1_25segmented_radix_sort_implINS0_14default_configELb0EPKfPfPKlPlN2at6native12_GLOBAL__N_18offset_tEEE10hipError_tPvRmT1_PNSt15iterator_traitsIS12_E10value_typeET2_T3_PNS13_IS18_E10value_typeET4_jRbjT5_S1E_jjP12ihipStream_tbEUljE_ZNSN_ISO_Lb0ESQ_SR_ST_SU_SY_EESZ_S10_S11_S12_S16_S17_S18_S1B_S1C_jS1D_jS1E_S1E_jjS1G_bEUljE0_EEESZ_S10_S11_S18_S1C_S1E_T6_T7_T9_mT8_S1G_bDpT10_ENKUlT_T0_E_clISt17integral_constantIbLb0EES1T_IbLb1EEEEDaS1P_S1Q_EUlS1P_E_NS1_11comp_targetILNS1_3genE8ELNS1_11target_archE1030ELNS1_3gpuE2ELNS1_3repE0EEENS1_30default_config_static_selectorELNS0_4arch9wavefront6targetE1EEEvS12_.num_named_barrier, 0
	.set _ZN7rocprim17ROCPRIM_400000_NS6detail17trampoline_kernelINS0_13select_configILj256ELj13ELNS0_17block_load_methodE3ELS4_3ELS4_3ELNS0_20block_scan_algorithmE0ELj4294967295EEENS1_25partition_config_selectorILNS1_17partition_subalgoE4EjNS0_10empty_typeEbEEZZNS1_14partition_implILS8_4ELb0ES6_15HIP_vector_typeIjLj2EENS0_17counting_iteratorIjlEEPS9_SG_NS0_5tupleIJPjSI_NS0_16reverse_iteratorISI_EEEEENSH_IJSG_SG_SG_EEES9_SI_JZNS1_25segmented_radix_sort_implINS0_14default_configELb0EPKfPfPKlPlN2at6native12_GLOBAL__N_18offset_tEEE10hipError_tPvRmT1_PNSt15iterator_traitsIS12_E10value_typeET2_T3_PNS13_IS18_E10value_typeET4_jRbjT5_S1E_jjP12ihipStream_tbEUljE_ZNSN_ISO_Lb0ESQ_SR_ST_SU_SY_EESZ_S10_S11_S12_S16_S17_S18_S1B_S1C_jS1D_jS1E_S1E_jjS1G_bEUljE0_EEESZ_S10_S11_S18_S1C_S1E_T6_T7_T9_mT8_S1G_bDpT10_ENKUlT_T0_E_clISt17integral_constantIbLb0EES1T_IbLb1EEEEDaS1P_S1Q_EUlS1P_E_NS1_11comp_targetILNS1_3genE8ELNS1_11target_archE1030ELNS1_3gpuE2ELNS1_3repE0EEENS1_30default_config_static_selectorELNS0_4arch9wavefront6targetE1EEEvS12_.private_seg_size, 0
	.set _ZN7rocprim17ROCPRIM_400000_NS6detail17trampoline_kernelINS0_13select_configILj256ELj13ELNS0_17block_load_methodE3ELS4_3ELS4_3ELNS0_20block_scan_algorithmE0ELj4294967295EEENS1_25partition_config_selectorILNS1_17partition_subalgoE4EjNS0_10empty_typeEbEEZZNS1_14partition_implILS8_4ELb0ES6_15HIP_vector_typeIjLj2EENS0_17counting_iteratorIjlEEPS9_SG_NS0_5tupleIJPjSI_NS0_16reverse_iteratorISI_EEEEENSH_IJSG_SG_SG_EEES9_SI_JZNS1_25segmented_radix_sort_implINS0_14default_configELb0EPKfPfPKlPlN2at6native12_GLOBAL__N_18offset_tEEE10hipError_tPvRmT1_PNSt15iterator_traitsIS12_E10value_typeET2_T3_PNS13_IS18_E10value_typeET4_jRbjT5_S1E_jjP12ihipStream_tbEUljE_ZNSN_ISO_Lb0ESQ_SR_ST_SU_SY_EESZ_S10_S11_S12_S16_S17_S18_S1B_S1C_jS1D_jS1E_S1E_jjS1G_bEUljE0_EEESZ_S10_S11_S18_S1C_S1E_T6_T7_T9_mT8_S1G_bDpT10_ENKUlT_T0_E_clISt17integral_constantIbLb0EES1T_IbLb1EEEEDaS1P_S1Q_EUlS1P_E_NS1_11comp_targetILNS1_3genE8ELNS1_11target_archE1030ELNS1_3gpuE2ELNS1_3repE0EEENS1_30default_config_static_selectorELNS0_4arch9wavefront6targetE1EEEvS12_.uses_vcc, 0
	.set _ZN7rocprim17ROCPRIM_400000_NS6detail17trampoline_kernelINS0_13select_configILj256ELj13ELNS0_17block_load_methodE3ELS4_3ELS4_3ELNS0_20block_scan_algorithmE0ELj4294967295EEENS1_25partition_config_selectorILNS1_17partition_subalgoE4EjNS0_10empty_typeEbEEZZNS1_14partition_implILS8_4ELb0ES6_15HIP_vector_typeIjLj2EENS0_17counting_iteratorIjlEEPS9_SG_NS0_5tupleIJPjSI_NS0_16reverse_iteratorISI_EEEEENSH_IJSG_SG_SG_EEES9_SI_JZNS1_25segmented_radix_sort_implINS0_14default_configELb0EPKfPfPKlPlN2at6native12_GLOBAL__N_18offset_tEEE10hipError_tPvRmT1_PNSt15iterator_traitsIS12_E10value_typeET2_T3_PNS13_IS18_E10value_typeET4_jRbjT5_S1E_jjP12ihipStream_tbEUljE_ZNSN_ISO_Lb0ESQ_SR_ST_SU_SY_EESZ_S10_S11_S12_S16_S17_S18_S1B_S1C_jS1D_jS1E_S1E_jjS1G_bEUljE0_EEESZ_S10_S11_S18_S1C_S1E_T6_T7_T9_mT8_S1G_bDpT10_ENKUlT_T0_E_clISt17integral_constantIbLb0EES1T_IbLb1EEEEDaS1P_S1Q_EUlS1P_E_NS1_11comp_targetILNS1_3genE8ELNS1_11target_archE1030ELNS1_3gpuE2ELNS1_3repE0EEENS1_30default_config_static_selectorELNS0_4arch9wavefront6targetE1EEEvS12_.uses_flat_scratch, 0
	.set _ZN7rocprim17ROCPRIM_400000_NS6detail17trampoline_kernelINS0_13select_configILj256ELj13ELNS0_17block_load_methodE3ELS4_3ELS4_3ELNS0_20block_scan_algorithmE0ELj4294967295EEENS1_25partition_config_selectorILNS1_17partition_subalgoE4EjNS0_10empty_typeEbEEZZNS1_14partition_implILS8_4ELb0ES6_15HIP_vector_typeIjLj2EENS0_17counting_iteratorIjlEEPS9_SG_NS0_5tupleIJPjSI_NS0_16reverse_iteratorISI_EEEEENSH_IJSG_SG_SG_EEES9_SI_JZNS1_25segmented_radix_sort_implINS0_14default_configELb0EPKfPfPKlPlN2at6native12_GLOBAL__N_18offset_tEEE10hipError_tPvRmT1_PNSt15iterator_traitsIS12_E10value_typeET2_T3_PNS13_IS18_E10value_typeET4_jRbjT5_S1E_jjP12ihipStream_tbEUljE_ZNSN_ISO_Lb0ESQ_SR_ST_SU_SY_EESZ_S10_S11_S12_S16_S17_S18_S1B_S1C_jS1D_jS1E_S1E_jjS1G_bEUljE0_EEESZ_S10_S11_S18_S1C_S1E_T6_T7_T9_mT8_S1G_bDpT10_ENKUlT_T0_E_clISt17integral_constantIbLb0EES1T_IbLb1EEEEDaS1P_S1Q_EUlS1P_E_NS1_11comp_targetILNS1_3genE8ELNS1_11target_archE1030ELNS1_3gpuE2ELNS1_3repE0EEENS1_30default_config_static_selectorELNS0_4arch9wavefront6targetE1EEEvS12_.has_dyn_sized_stack, 0
	.set _ZN7rocprim17ROCPRIM_400000_NS6detail17trampoline_kernelINS0_13select_configILj256ELj13ELNS0_17block_load_methodE3ELS4_3ELS4_3ELNS0_20block_scan_algorithmE0ELj4294967295EEENS1_25partition_config_selectorILNS1_17partition_subalgoE4EjNS0_10empty_typeEbEEZZNS1_14partition_implILS8_4ELb0ES6_15HIP_vector_typeIjLj2EENS0_17counting_iteratorIjlEEPS9_SG_NS0_5tupleIJPjSI_NS0_16reverse_iteratorISI_EEEEENSH_IJSG_SG_SG_EEES9_SI_JZNS1_25segmented_radix_sort_implINS0_14default_configELb0EPKfPfPKlPlN2at6native12_GLOBAL__N_18offset_tEEE10hipError_tPvRmT1_PNSt15iterator_traitsIS12_E10value_typeET2_T3_PNS13_IS18_E10value_typeET4_jRbjT5_S1E_jjP12ihipStream_tbEUljE_ZNSN_ISO_Lb0ESQ_SR_ST_SU_SY_EESZ_S10_S11_S12_S16_S17_S18_S1B_S1C_jS1D_jS1E_S1E_jjS1G_bEUljE0_EEESZ_S10_S11_S18_S1C_S1E_T6_T7_T9_mT8_S1G_bDpT10_ENKUlT_T0_E_clISt17integral_constantIbLb0EES1T_IbLb1EEEEDaS1P_S1Q_EUlS1P_E_NS1_11comp_targetILNS1_3genE8ELNS1_11target_archE1030ELNS1_3gpuE2ELNS1_3repE0EEENS1_30default_config_static_selectorELNS0_4arch9wavefront6targetE1EEEvS12_.has_recursion, 0
	.set _ZN7rocprim17ROCPRIM_400000_NS6detail17trampoline_kernelINS0_13select_configILj256ELj13ELNS0_17block_load_methodE3ELS4_3ELS4_3ELNS0_20block_scan_algorithmE0ELj4294967295EEENS1_25partition_config_selectorILNS1_17partition_subalgoE4EjNS0_10empty_typeEbEEZZNS1_14partition_implILS8_4ELb0ES6_15HIP_vector_typeIjLj2EENS0_17counting_iteratorIjlEEPS9_SG_NS0_5tupleIJPjSI_NS0_16reverse_iteratorISI_EEEEENSH_IJSG_SG_SG_EEES9_SI_JZNS1_25segmented_radix_sort_implINS0_14default_configELb0EPKfPfPKlPlN2at6native12_GLOBAL__N_18offset_tEEE10hipError_tPvRmT1_PNSt15iterator_traitsIS12_E10value_typeET2_T3_PNS13_IS18_E10value_typeET4_jRbjT5_S1E_jjP12ihipStream_tbEUljE_ZNSN_ISO_Lb0ESQ_SR_ST_SU_SY_EESZ_S10_S11_S12_S16_S17_S18_S1B_S1C_jS1D_jS1E_S1E_jjS1G_bEUljE0_EEESZ_S10_S11_S18_S1C_S1E_T6_T7_T9_mT8_S1G_bDpT10_ENKUlT_T0_E_clISt17integral_constantIbLb0EES1T_IbLb1EEEEDaS1P_S1Q_EUlS1P_E_NS1_11comp_targetILNS1_3genE8ELNS1_11target_archE1030ELNS1_3gpuE2ELNS1_3repE0EEENS1_30default_config_static_selectorELNS0_4arch9wavefront6targetE1EEEvS12_.has_indirect_call, 0
	.section	.AMDGPU.csdata,"",@progbits
; Kernel info:
; codeLenInByte = 0
; TotalNumSgprs: 4
; NumVgprs: 0
; ScratchSize: 0
; MemoryBound: 0
; FloatMode: 240
; IeeeMode: 1
; LDSByteSize: 0 bytes/workgroup (compile time only)
; SGPRBlocks: 0
; VGPRBlocks: 0
; NumSGPRsForWavesPerEU: 4
; NumVGPRsForWavesPerEU: 1
; Occupancy: 10
; WaveLimiterHint : 0
; COMPUTE_PGM_RSRC2:SCRATCH_EN: 0
; COMPUTE_PGM_RSRC2:USER_SGPR: 6
; COMPUTE_PGM_RSRC2:TRAP_HANDLER: 0
; COMPUTE_PGM_RSRC2:TGID_X_EN: 1
; COMPUTE_PGM_RSRC2:TGID_Y_EN: 0
; COMPUTE_PGM_RSRC2:TGID_Z_EN: 0
; COMPUTE_PGM_RSRC2:TIDIG_COMP_CNT: 0
	.section	.text._ZN7rocprim17ROCPRIM_400000_NS6detail17trampoline_kernelINS0_13select_configILj256ELj13ELNS0_17block_load_methodE3ELS4_3ELS4_3ELNS0_20block_scan_algorithmE0ELj4294967295EEENS1_25partition_config_selectorILNS1_17partition_subalgoE3EjNS0_10empty_typeEbEEZZNS1_14partition_implILS8_3ELb0ES6_jNS0_17counting_iteratorIjlEEPS9_SE_NS0_5tupleIJPjSE_EEENSF_IJSE_SE_EEES9_SG_JZNS1_25segmented_radix_sort_implINS0_14default_configELb0EPKfPfPKlPlN2at6native12_GLOBAL__N_18offset_tEEE10hipError_tPvRmT1_PNSt15iterator_traitsISY_E10value_typeET2_T3_PNSZ_IS14_E10value_typeET4_jRbjT5_S1A_jjP12ihipStream_tbEUljE_EEESV_SW_SX_S14_S18_S1A_T6_T7_T9_mT8_S1C_bDpT10_ENKUlT_T0_E_clISt17integral_constantIbLb0EES1P_EEDaS1K_S1L_EUlS1K_E_NS1_11comp_targetILNS1_3genE0ELNS1_11target_archE4294967295ELNS1_3gpuE0ELNS1_3repE0EEENS1_30default_config_static_selectorELNS0_4arch9wavefront6targetE1EEEvSY_,"axG",@progbits,_ZN7rocprim17ROCPRIM_400000_NS6detail17trampoline_kernelINS0_13select_configILj256ELj13ELNS0_17block_load_methodE3ELS4_3ELS4_3ELNS0_20block_scan_algorithmE0ELj4294967295EEENS1_25partition_config_selectorILNS1_17partition_subalgoE3EjNS0_10empty_typeEbEEZZNS1_14partition_implILS8_3ELb0ES6_jNS0_17counting_iteratorIjlEEPS9_SE_NS0_5tupleIJPjSE_EEENSF_IJSE_SE_EEES9_SG_JZNS1_25segmented_radix_sort_implINS0_14default_configELb0EPKfPfPKlPlN2at6native12_GLOBAL__N_18offset_tEEE10hipError_tPvRmT1_PNSt15iterator_traitsISY_E10value_typeET2_T3_PNSZ_IS14_E10value_typeET4_jRbjT5_S1A_jjP12ihipStream_tbEUljE_EEESV_SW_SX_S14_S18_S1A_T6_T7_T9_mT8_S1C_bDpT10_ENKUlT_T0_E_clISt17integral_constantIbLb0EES1P_EEDaS1K_S1L_EUlS1K_E_NS1_11comp_targetILNS1_3genE0ELNS1_11target_archE4294967295ELNS1_3gpuE0ELNS1_3repE0EEENS1_30default_config_static_selectorELNS0_4arch9wavefront6targetE1EEEvSY_,comdat
	.globl	_ZN7rocprim17ROCPRIM_400000_NS6detail17trampoline_kernelINS0_13select_configILj256ELj13ELNS0_17block_load_methodE3ELS4_3ELS4_3ELNS0_20block_scan_algorithmE0ELj4294967295EEENS1_25partition_config_selectorILNS1_17partition_subalgoE3EjNS0_10empty_typeEbEEZZNS1_14partition_implILS8_3ELb0ES6_jNS0_17counting_iteratorIjlEEPS9_SE_NS0_5tupleIJPjSE_EEENSF_IJSE_SE_EEES9_SG_JZNS1_25segmented_radix_sort_implINS0_14default_configELb0EPKfPfPKlPlN2at6native12_GLOBAL__N_18offset_tEEE10hipError_tPvRmT1_PNSt15iterator_traitsISY_E10value_typeET2_T3_PNSZ_IS14_E10value_typeET4_jRbjT5_S1A_jjP12ihipStream_tbEUljE_EEESV_SW_SX_S14_S18_S1A_T6_T7_T9_mT8_S1C_bDpT10_ENKUlT_T0_E_clISt17integral_constantIbLb0EES1P_EEDaS1K_S1L_EUlS1K_E_NS1_11comp_targetILNS1_3genE0ELNS1_11target_archE4294967295ELNS1_3gpuE0ELNS1_3repE0EEENS1_30default_config_static_selectorELNS0_4arch9wavefront6targetE1EEEvSY_ ; -- Begin function _ZN7rocprim17ROCPRIM_400000_NS6detail17trampoline_kernelINS0_13select_configILj256ELj13ELNS0_17block_load_methodE3ELS4_3ELS4_3ELNS0_20block_scan_algorithmE0ELj4294967295EEENS1_25partition_config_selectorILNS1_17partition_subalgoE3EjNS0_10empty_typeEbEEZZNS1_14partition_implILS8_3ELb0ES6_jNS0_17counting_iteratorIjlEEPS9_SE_NS0_5tupleIJPjSE_EEENSF_IJSE_SE_EEES9_SG_JZNS1_25segmented_radix_sort_implINS0_14default_configELb0EPKfPfPKlPlN2at6native12_GLOBAL__N_18offset_tEEE10hipError_tPvRmT1_PNSt15iterator_traitsISY_E10value_typeET2_T3_PNSZ_IS14_E10value_typeET4_jRbjT5_S1A_jjP12ihipStream_tbEUljE_EEESV_SW_SX_S14_S18_S1A_T6_T7_T9_mT8_S1C_bDpT10_ENKUlT_T0_E_clISt17integral_constantIbLb0EES1P_EEDaS1K_S1L_EUlS1K_E_NS1_11comp_targetILNS1_3genE0ELNS1_11target_archE4294967295ELNS1_3gpuE0ELNS1_3repE0EEENS1_30default_config_static_selectorELNS0_4arch9wavefront6targetE1EEEvSY_
	.p2align	8
	.type	_ZN7rocprim17ROCPRIM_400000_NS6detail17trampoline_kernelINS0_13select_configILj256ELj13ELNS0_17block_load_methodE3ELS4_3ELS4_3ELNS0_20block_scan_algorithmE0ELj4294967295EEENS1_25partition_config_selectorILNS1_17partition_subalgoE3EjNS0_10empty_typeEbEEZZNS1_14partition_implILS8_3ELb0ES6_jNS0_17counting_iteratorIjlEEPS9_SE_NS0_5tupleIJPjSE_EEENSF_IJSE_SE_EEES9_SG_JZNS1_25segmented_radix_sort_implINS0_14default_configELb0EPKfPfPKlPlN2at6native12_GLOBAL__N_18offset_tEEE10hipError_tPvRmT1_PNSt15iterator_traitsISY_E10value_typeET2_T3_PNSZ_IS14_E10value_typeET4_jRbjT5_S1A_jjP12ihipStream_tbEUljE_EEESV_SW_SX_S14_S18_S1A_T6_T7_T9_mT8_S1C_bDpT10_ENKUlT_T0_E_clISt17integral_constantIbLb0EES1P_EEDaS1K_S1L_EUlS1K_E_NS1_11comp_targetILNS1_3genE0ELNS1_11target_archE4294967295ELNS1_3gpuE0ELNS1_3repE0EEENS1_30default_config_static_selectorELNS0_4arch9wavefront6targetE1EEEvSY_,@function
_ZN7rocprim17ROCPRIM_400000_NS6detail17trampoline_kernelINS0_13select_configILj256ELj13ELNS0_17block_load_methodE3ELS4_3ELS4_3ELNS0_20block_scan_algorithmE0ELj4294967295EEENS1_25partition_config_selectorILNS1_17partition_subalgoE3EjNS0_10empty_typeEbEEZZNS1_14partition_implILS8_3ELb0ES6_jNS0_17counting_iteratorIjlEEPS9_SE_NS0_5tupleIJPjSE_EEENSF_IJSE_SE_EEES9_SG_JZNS1_25segmented_radix_sort_implINS0_14default_configELb0EPKfPfPKlPlN2at6native12_GLOBAL__N_18offset_tEEE10hipError_tPvRmT1_PNSt15iterator_traitsISY_E10value_typeET2_T3_PNSZ_IS14_E10value_typeET4_jRbjT5_S1A_jjP12ihipStream_tbEUljE_EEESV_SW_SX_S14_S18_S1A_T6_T7_T9_mT8_S1C_bDpT10_ENKUlT_T0_E_clISt17integral_constantIbLb0EES1P_EEDaS1K_S1L_EUlS1K_E_NS1_11comp_targetILNS1_3genE0ELNS1_11target_archE4294967295ELNS1_3gpuE0ELNS1_3repE0EEENS1_30default_config_static_selectorELNS0_4arch9wavefront6targetE1EEEvSY_: ; @_ZN7rocprim17ROCPRIM_400000_NS6detail17trampoline_kernelINS0_13select_configILj256ELj13ELNS0_17block_load_methodE3ELS4_3ELS4_3ELNS0_20block_scan_algorithmE0ELj4294967295EEENS1_25partition_config_selectorILNS1_17partition_subalgoE3EjNS0_10empty_typeEbEEZZNS1_14partition_implILS8_3ELb0ES6_jNS0_17counting_iteratorIjlEEPS9_SE_NS0_5tupleIJPjSE_EEENSF_IJSE_SE_EEES9_SG_JZNS1_25segmented_radix_sort_implINS0_14default_configELb0EPKfPfPKlPlN2at6native12_GLOBAL__N_18offset_tEEE10hipError_tPvRmT1_PNSt15iterator_traitsISY_E10value_typeET2_T3_PNSZ_IS14_E10value_typeET4_jRbjT5_S1A_jjP12ihipStream_tbEUljE_EEESV_SW_SX_S14_S18_S1A_T6_T7_T9_mT8_S1C_bDpT10_ENKUlT_T0_E_clISt17integral_constantIbLb0EES1P_EEDaS1K_S1L_EUlS1K_E_NS1_11comp_targetILNS1_3genE0ELNS1_11target_archE4294967295ELNS1_3gpuE0ELNS1_3repE0EEENS1_30default_config_static_selectorELNS0_4arch9wavefront6targetE1EEEvSY_
; %bb.0:
	.section	.rodata,"a",@progbits
	.p2align	6, 0x0
	.amdhsa_kernel _ZN7rocprim17ROCPRIM_400000_NS6detail17trampoline_kernelINS0_13select_configILj256ELj13ELNS0_17block_load_methodE3ELS4_3ELS4_3ELNS0_20block_scan_algorithmE0ELj4294967295EEENS1_25partition_config_selectorILNS1_17partition_subalgoE3EjNS0_10empty_typeEbEEZZNS1_14partition_implILS8_3ELb0ES6_jNS0_17counting_iteratorIjlEEPS9_SE_NS0_5tupleIJPjSE_EEENSF_IJSE_SE_EEES9_SG_JZNS1_25segmented_radix_sort_implINS0_14default_configELb0EPKfPfPKlPlN2at6native12_GLOBAL__N_18offset_tEEE10hipError_tPvRmT1_PNSt15iterator_traitsISY_E10value_typeET2_T3_PNSZ_IS14_E10value_typeET4_jRbjT5_S1A_jjP12ihipStream_tbEUljE_EEESV_SW_SX_S14_S18_S1A_T6_T7_T9_mT8_S1C_bDpT10_ENKUlT_T0_E_clISt17integral_constantIbLb0EES1P_EEDaS1K_S1L_EUlS1K_E_NS1_11comp_targetILNS1_3genE0ELNS1_11target_archE4294967295ELNS1_3gpuE0ELNS1_3repE0EEENS1_30default_config_static_selectorELNS0_4arch9wavefront6targetE1EEEvSY_
		.amdhsa_group_segment_fixed_size 0
		.amdhsa_private_segment_fixed_size 0
		.amdhsa_kernarg_size 144
		.amdhsa_user_sgpr_count 6
		.amdhsa_user_sgpr_private_segment_buffer 1
		.amdhsa_user_sgpr_dispatch_ptr 0
		.amdhsa_user_sgpr_queue_ptr 0
		.amdhsa_user_sgpr_kernarg_segment_ptr 1
		.amdhsa_user_sgpr_dispatch_id 0
		.amdhsa_user_sgpr_flat_scratch_init 0
		.amdhsa_user_sgpr_private_segment_size 0
		.amdhsa_uses_dynamic_stack 0
		.amdhsa_system_sgpr_private_segment_wavefront_offset 0
		.amdhsa_system_sgpr_workgroup_id_x 1
		.amdhsa_system_sgpr_workgroup_id_y 0
		.amdhsa_system_sgpr_workgroup_id_z 0
		.amdhsa_system_sgpr_workgroup_info 0
		.amdhsa_system_vgpr_workitem_id 0
		.amdhsa_next_free_vgpr 1
		.amdhsa_next_free_sgpr 0
		.amdhsa_reserve_vcc 0
		.amdhsa_reserve_flat_scratch 0
		.amdhsa_float_round_mode_32 0
		.amdhsa_float_round_mode_16_64 0
		.amdhsa_float_denorm_mode_32 3
		.amdhsa_float_denorm_mode_16_64 3
		.amdhsa_dx10_clamp 1
		.amdhsa_ieee_mode 1
		.amdhsa_fp16_overflow 0
		.amdhsa_exception_fp_ieee_invalid_op 0
		.amdhsa_exception_fp_denorm_src 0
		.amdhsa_exception_fp_ieee_div_zero 0
		.amdhsa_exception_fp_ieee_overflow 0
		.amdhsa_exception_fp_ieee_underflow 0
		.amdhsa_exception_fp_ieee_inexact 0
		.amdhsa_exception_int_div_zero 0
	.end_amdhsa_kernel
	.section	.text._ZN7rocprim17ROCPRIM_400000_NS6detail17trampoline_kernelINS0_13select_configILj256ELj13ELNS0_17block_load_methodE3ELS4_3ELS4_3ELNS0_20block_scan_algorithmE0ELj4294967295EEENS1_25partition_config_selectorILNS1_17partition_subalgoE3EjNS0_10empty_typeEbEEZZNS1_14partition_implILS8_3ELb0ES6_jNS0_17counting_iteratorIjlEEPS9_SE_NS0_5tupleIJPjSE_EEENSF_IJSE_SE_EEES9_SG_JZNS1_25segmented_radix_sort_implINS0_14default_configELb0EPKfPfPKlPlN2at6native12_GLOBAL__N_18offset_tEEE10hipError_tPvRmT1_PNSt15iterator_traitsISY_E10value_typeET2_T3_PNSZ_IS14_E10value_typeET4_jRbjT5_S1A_jjP12ihipStream_tbEUljE_EEESV_SW_SX_S14_S18_S1A_T6_T7_T9_mT8_S1C_bDpT10_ENKUlT_T0_E_clISt17integral_constantIbLb0EES1P_EEDaS1K_S1L_EUlS1K_E_NS1_11comp_targetILNS1_3genE0ELNS1_11target_archE4294967295ELNS1_3gpuE0ELNS1_3repE0EEENS1_30default_config_static_selectorELNS0_4arch9wavefront6targetE1EEEvSY_,"axG",@progbits,_ZN7rocprim17ROCPRIM_400000_NS6detail17trampoline_kernelINS0_13select_configILj256ELj13ELNS0_17block_load_methodE3ELS4_3ELS4_3ELNS0_20block_scan_algorithmE0ELj4294967295EEENS1_25partition_config_selectorILNS1_17partition_subalgoE3EjNS0_10empty_typeEbEEZZNS1_14partition_implILS8_3ELb0ES6_jNS0_17counting_iteratorIjlEEPS9_SE_NS0_5tupleIJPjSE_EEENSF_IJSE_SE_EEES9_SG_JZNS1_25segmented_radix_sort_implINS0_14default_configELb0EPKfPfPKlPlN2at6native12_GLOBAL__N_18offset_tEEE10hipError_tPvRmT1_PNSt15iterator_traitsISY_E10value_typeET2_T3_PNSZ_IS14_E10value_typeET4_jRbjT5_S1A_jjP12ihipStream_tbEUljE_EEESV_SW_SX_S14_S18_S1A_T6_T7_T9_mT8_S1C_bDpT10_ENKUlT_T0_E_clISt17integral_constantIbLb0EES1P_EEDaS1K_S1L_EUlS1K_E_NS1_11comp_targetILNS1_3genE0ELNS1_11target_archE4294967295ELNS1_3gpuE0ELNS1_3repE0EEENS1_30default_config_static_selectorELNS0_4arch9wavefront6targetE1EEEvSY_,comdat
.Lfunc_end1396:
	.size	_ZN7rocprim17ROCPRIM_400000_NS6detail17trampoline_kernelINS0_13select_configILj256ELj13ELNS0_17block_load_methodE3ELS4_3ELS4_3ELNS0_20block_scan_algorithmE0ELj4294967295EEENS1_25partition_config_selectorILNS1_17partition_subalgoE3EjNS0_10empty_typeEbEEZZNS1_14partition_implILS8_3ELb0ES6_jNS0_17counting_iteratorIjlEEPS9_SE_NS0_5tupleIJPjSE_EEENSF_IJSE_SE_EEES9_SG_JZNS1_25segmented_radix_sort_implINS0_14default_configELb0EPKfPfPKlPlN2at6native12_GLOBAL__N_18offset_tEEE10hipError_tPvRmT1_PNSt15iterator_traitsISY_E10value_typeET2_T3_PNSZ_IS14_E10value_typeET4_jRbjT5_S1A_jjP12ihipStream_tbEUljE_EEESV_SW_SX_S14_S18_S1A_T6_T7_T9_mT8_S1C_bDpT10_ENKUlT_T0_E_clISt17integral_constantIbLb0EES1P_EEDaS1K_S1L_EUlS1K_E_NS1_11comp_targetILNS1_3genE0ELNS1_11target_archE4294967295ELNS1_3gpuE0ELNS1_3repE0EEENS1_30default_config_static_selectorELNS0_4arch9wavefront6targetE1EEEvSY_, .Lfunc_end1396-_ZN7rocprim17ROCPRIM_400000_NS6detail17trampoline_kernelINS0_13select_configILj256ELj13ELNS0_17block_load_methodE3ELS4_3ELS4_3ELNS0_20block_scan_algorithmE0ELj4294967295EEENS1_25partition_config_selectorILNS1_17partition_subalgoE3EjNS0_10empty_typeEbEEZZNS1_14partition_implILS8_3ELb0ES6_jNS0_17counting_iteratorIjlEEPS9_SE_NS0_5tupleIJPjSE_EEENSF_IJSE_SE_EEES9_SG_JZNS1_25segmented_radix_sort_implINS0_14default_configELb0EPKfPfPKlPlN2at6native12_GLOBAL__N_18offset_tEEE10hipError_tPvRmT1_PNSt15iterator_traitsISY_E10value_typeET2_T3_PNSZ_IS14_E10value_typeET4_jRbjT5_S1A_jjP12ihipStream_tbEUljE_EEESV_SW_SX_S14_S18_S1A_T6_T7_T9_mT8_S1C_bDpT10_ENKUlT_T0_E_clISt17integral_constantIbLb0EES1P_EEDaS1K_S1L_EUlS1K_E_NS1_11comp_targetILNS1_3genE0ELNS1_11target_archE4294967295ELNS1_3gpuE0ELNS1_3repE0EEENS1_30default_config_static_selectorELNS0_4arch9wavefront6targetE1EEEvSY_
                                        ; -- End function
	.set _ZN7rocprim17ROCPRIM_400000_NS6detail17trampoline_kernelINS0_13select_configILj256ELj13ELNS0_17block_load_methodE3ELS4_3ELS4_3ELNS0_20block_scan_algorithmE0ELj4294967295EEENS1_25partition_config_selectorILNS1_17partition_subalgoE3EjNS0_10empty_typeEbEEZZNS1_14partition_implILS8_3ELb0ES6_jNS0_17counting_iteratorIjlEEPS9_SE_NS0_5tupleIJPjSE_EEENSF_IJSE_SE_EEES9_SG_JZNS1_25segmented_radix_sort_implINS0_14default_configELb0EPKfPfPKlPlN2at6native12_GLOBAL__N_18offset_tEEE10hipError_tPvRmT1_PNSt15iterator_traitsISY_E10value_typeET2_T3_PNSZ_IS14_E10value_typeET4_jRbjT5_S1A_jjP12ihipStream_tbEUljE_EEESV_SW_SX_S14_S18_S1A_T6_T7_T9_mT8_S1C_bDpT10_ENKUlT_T0_E_clISt17integral_constantIbLb0EES1P_EEDaS1K_S1L_EUlS1K_E_NS1_11comp_targetILNS1_3genE0ELNS1_11target_archE4294967295ELNS1_3gpuE0ELNS1_3repE0EEENS1_30default_config_static_selectorELNS0_4arch9wavefront6targetE1EEEvSY_.num_vgpr, 0
	.set _ZN7rocprim17ROCPRIM_400000_NS6detail17trampoline_kernelINS0_13select_configILj256ELj13ELNS0_17block_load_methodE3ELS4_3ELS4_3ELNS0_20block_scan_algorithmE0ELj4294967295EEENS1_25partition_config_selectorILNS1_17partition_subalgoE3EjNS0_10empty_typeEbEEZZNS1_14partition_implILS8_3ELb0ES6_jNS0_17counting_iteratorIjlEEPS9_SE_NS0_5tupleIJPjSE_EEENSF_IJSE_SE_EEES9_SG_JZNS1_25segmented_radix_sort_implINS0_14default_configELb0EPKfPfPKlPlN2at6native12_GLOBAL__N_18offset_tEEE10hipError_tPvRmT1_PNSt15iterator_traitsISY_E10value_typeET2_T3_PNSZ_IS14_E10value_typeET4_jRbjT5_S1A_jjP12ihipStream_tbEUljE_EEESV_SW_SX_S14_S18_S1A_T6_T7_T9_mT8_S1C_bDpT10_ENKUlT_T0_E_clISt17integral_constantIbLb0EES1P_EEDaS1K_S1L_EUlS1K_E_NS1_11comp_targetILNS1_3genE0ELNS1_11target_archE4294967295ELNS1_3gpuE0ELNS1_3repE0EEENS1_30default_config_static_selectorELNS0_4arch9wavefront6targetE1EEEvSY_.num_agpr, 0
	.set _ZN7rocprim17ROCPRIM_400000_NS6detail17trampoline_kernelINS0_13select_configILj256ELj13ELNS0_17block_load_methodE3ELS4_3ELS4_3ELNS0_20block_scan_algorithmE0ELj4294967295EEENS1_25partition_config_selectorILNS1_17partition_subalgoE3EjNS0_10empty_typeEbEEZZNS1_14partition_implILS8_3ELb0ES6_jNS0_17counting_iteratorIjlEEPS9_SE_NS0_5tupleIJPjSE_EEENSF_IJSE_SE_EEES9_SG_JZNS1_25segmented_radix_sort_implINS0_14default_configELb0EPKfPfPKlPlN2at6native12_GLOBAL__N_18offset_tEEE10hipError_tPvRmT1_PNSt15iterator_traitsISY_E10value_typeET2_T3_PNSZ_IS14_E10value_typeET4_jRbjT5_S1A_jjP12ihipStream_tbEUljE_EEESV_SW_SX_S14_S18_S1A_T6_T7_T9_mT8_S1C_bDpT10_ENKUlT_T0_E_clISt17integral_constantIbLb0EES1P_EEDaS1K_S1L_EUlS1K_E_NS1_11comp_targetILNS1_3genE0ELNS1_11target_archE4294967295ELNS1_3gpuE0ELNS1_3repE0EEENS1_30default_config_static_selectorELNS0_4arch9wavefront6targetE1EEEvSY_.numbered_sgpr, 0
	.set _ZN7rocprim17ROCPRIM_400000_NS6detail17trampoline_kernelINS0_13select_configILj256ELj13ELNS0_17block_load_methodE3ELS4_3ELS4_3ELNS0_20block_scan_algorithmE0ELj4294967295EEENS1_25partition_config_selectorILNS1_17partition_subalgoE3EjNS0_10empty_typeEbEEZZNS1_14partition_implILS8_3ELb0ES6_jNS0_17counting_iteratorIjlEEPS9_SE_NS0_5tupleIJPjSE_EEENSF_IJSE_SE_EEES9_SG_JZNS1_25segmented_radix_sort_implINS0_14default_configELb0EPKfPfPKlPlN2at6native12_GLOBAL__N_18offset_tEEE10hipError_tPvRmT1_PNSt15iterator_traitsISY_E10value_typeET2_T3_PNSZ_IS14_E10value_typeET4_jRbjT5_S1A_jjP12ihipStream_tbEUljE_EEESV_SW_SX_S14_S18_S1A_T6_T7_T9_mT8_S1C_bDpT10_ENKUlT_T0_E_clISt17integral_constantIbLb0EES1P_EEDaS1K_S1L_EUlS1K_E_NS1_11comp_targetILNS1_3genE0ELNS1_11target_archE4294967295ELNS1_3gpuE0ELNS1_3repE0EEENS1_30default_config_static_selectorELNS0_4arch9wavefront6targetE1EEEvSY_.num_named_barrier, 0
	.set _ZN7rocprim17ROCPRIM_400000_NS6detail17trampoline_kernelINS0_13select_configILj256ELj13ELNS0_17block_load_methodE3ELS4_3ELS4_3ELNS0_20block_scan_algorithmE0ELj4294967295EEENS1_25partition_config_selectorILNS1_17partition_subalgoE3EjNS0_10empty_typeEbEEZZNS1_14partition_implILS8_3ELb0ES6_jNS0_17counting_iteratorIjlEEPS9_SE_NS0_5tupleIJPjSE_EEENSF_IJSE_SE_EEES9_SG_JZNS1_25segmented_radix_sort_implINS0_14default_configELb0EPKfPfPKlPlN2at6native12_GLOBAL__N_18offset_tEEE10hipError_tPvRmT1_PNSt15iterator_traitsISY_E10value_typeET2_T3_PNSZ_IS14_E10value_typeET4_jRbjT5_S1A_jjP12ihipStream_tbEUljE_EEESV_SW_SX_S14_S18_S1A_T6_T7_T9_mT8_S1C_bDpT10_ENKUlT_T0_E_clISt17integral_constantIbLb0EES1P_EEDaS1K_S1L_EUlS1K_E_NS1_11comp_targetILNS1_3genE0ELNS1_11target_archE4294967295ELNS1_3gpuE0ELNS1_3repE0EEENS1_30default_config_static_selectorELNS0_4arch9wavefront6targetE1EEEvSY_.private_seg_size, 0
	.set _ZN7rocprim17ROCPRIM_400000_NS6detail17trampoline_kernelINS0_13select_configILj256ELj13ELNS0_17block_load_methodE3ELS4_3ELS4_3ELNS0_20block_scan_algorithmE0ELj4294967295EEENS1_25partition_config_selectorILNS1_17partition_subalgoE3EjNS0_10empty_typeEbEEZZNS1_14partition_implILS8_3ELb0ES6_jNS0_17counting_iteratorIjlEEPS9_SE_NS0_5tupleIJPjSE_EEENSF_IJSE_SE_EEES9_SG_JZNS1_25segmented_radix_sort_implINS0_14default_configELb0EPKfPfPKlPlN2at6native12_GLOBAL__N_18offset_tEEE10hipError_tPvRmT1_PNSt15iterator_traitsISY_E10value_typeET2_T3_PNSZ_IS14_E10value_typeET4_jRbjT5_S1A_jjP12ihipStream_tbEUljE_EEESV_SW_SX_S14_S18_S1A_T6_T7_T9_mT8_S1C_bDpT10_ENKUlT_T0_E_clISt17integral_constantIbLb0EES1P_EEDaS1K_S1L_EUlS1K_E_NS1_11comp_targetILNS1_3genE0ELNS1_11target_archE4294967295ELNS1_3gpuE0ELNS1_3repE0EEENS1_30default_config_static_selectorELNS0_4arch9wavefront6targetE1EEEvSY_.uses_vcc, 0
	.set _ZN7rocprim17ROCPRIM_400000_NS6detail17trampoline_kernelINS0_13select_configILj256ELj13ELNS0_17block_load_methodE3ELS4_3ELS4_3ELNS0_20block_scan_algorithmE0ELj4294967295EEENS1_25partition_config_selectorILNS1_17partition_subalgoE3EjNS0_10empty_typeEbEEZZNS1_14partition_implILS8_3ELb0ES6_jNS0_17counting_iteratorIjlEEPS9_SE_NS0_5tupleIJPjSE_EEENSF_IJSE_SE_EEES9_SG_JZNS1_25segmented_radix_sort_implINS0_14default_configELb0EPKfPfPKlPlN2at6native12_GLOBAL__N_18offset_tEEE10hipError_tPvRmT1_PNSt15iterator_traitsISY_E10value_typeET2_T3_PNSZ_IS14_E10value_typeET4_jRbjT5_S1A_jjP12ihipStream_tbEUljE_EEESV_SW_SX_S14_S18_S1A_T6_T7_T9_mT8_S1C_bDpT10_ENKUlT_T0_E_clISt17integral_constantIbLb0EES1P_EEDaS1K_S1L_EUlS1K_E_NS1_11comp_targetILNS1_3genE0ELNS1_11target_archE4294967295ELNS1_3gpuE0ELNS1_3repE0EEENS1_30default_config_static_selectorELNS0_4arch9wavefront6targetE1EEEvSY_.uses_flat_scratch, 0
	.set _ZN7rocprim17ROCPRIM_400000_NS6detail17trampoline_kernelINS0_13select_configILj256ELj13ELNS0_17block_load_methodE3ELS4_3ELS4_3ELNS0_20block_scan_algorithmE0ELj4294967295EEENS1_25partition_config_selectorILNS1_17partition_subalgoE3EjNS0_10empty_typeEbEEZZNS1_14partition_implILS8_3ELb0ES6_jNS0_17counting_iteratorIjlEEPS9_SE_NS0_5tupleIJPjSE_EEENSF_IJSE_SE_EEES9_SG_JZNS1_25segmented_radix_sort_implINS0_14default_configELb0EPKfPfPKlPlN2at6native12_GLOBAL__N_18offset_tEEE10hipError_tPvRmT1_PNSt15iterator_traitsISY_E10value_typeET2_T3_PNSZ_IS14_E10value_typeET4_jRbjT5_S1A_jjP12ihipStream_tbEUljE_EEESV_SW_SX_S14_S18_S1A_T6_T7_T9_mT8_S1C_bDpT10_ENKUlT_T0_E_clISt17integral_constantIbLb0EES1P_EEDaS1K_S1L_EUlS1K_E_NS1_11comp_targetILNS1_3genE0ELNS1_11target_archE4294967295ELNS1_3gpuE0ELNS1_3repE0EEENS1_30default_config_static_selectorELNS0_4arch9wavefront6targetE1EEEvSY_.has_dyn_sized_stack, 0
	.set _ZN7rocprim17ROCPRIM_400000_NS6detail17trampoline_kernelINS0_13select_configILj256ELj13ELNS0_17block_load_methodE3ELS4_3ELS4_3ELNS0_20block_scan_algorithmE0ELj4294967295EEENS1_25partition_config_selectorILNS1_17partition_subalgoE3EjNS0_10empty_typeEbEEZZNS1_14partition_implILS8_3ELb0ES6_jNS0_17counting_iteratorIjlEEPS9_SE_NS0_5tupleIJPjSE_EEENSF_IJSE_SE_EEES9_SG_JZNS1_25segmented_radix_sort_implINS0_14default_configELb0EPKfPfPKlPlN2at6native12_GLOBAL__N_18offset_tEEE10hipError_tPvRmT1_PNSt15iterator_traitsISY_E10value_typeET2_T3_PNSZ_IS14_E10value_typeET4_jRbjT5_S1A_jjP12ihipStream_tbEUljE_EEESV_SW_SX_S14_S18_S1A_T6_T7_T9_mT8_S1C_bDpT10_ENKUlT_T0_E_clISt17integral_constantIbLb0EES1P_EEDaS1K_S1L_EUlS1K_E_NS1_11comp_targetILNS1_3genE0ELNS1_11target_archE4294967295ELNS1_3gpuE0ELNS1_3repE0EEENS1_30default_config_static_selectorELNS0_4arch9wavefront6targetE1EEEvSY_.has_recursion, 0
	.set _ZN7rocprim17ROCPRIM_400000_NS6detail17trampoline_kernelINS0_13select_configILj256ELj13ELNS0_17block_load_methodE3ELS4_3ELS4_3ELNS0_20block_scan_algorithmE0ELj4294967295EEENS1_25partition_config_selectorILNS1_17partition_subalgoE3EjNS0_10empty_typeEbEEZZNS1_14partition_implILS8_3ELb0ES6_jNS0_17counting_iteratorIjlEEPS9_SE_NS0_5tupleIJPjSE_EEENSF_IJSE_SE_EEES9_SG_JZNS1_25segmented_radix_sort_implINS0_14default_configELb0EPKfPfPKlPlN2at6native12_GLOBAL__N_18offset_tEEE10hipError_tPvRmT1_PNSt15iterator_traitsISY_E10value_typeET2_T3_PNSZ_IS14_E10value_typeET4_jRbjT5_S1A_jjP12ihipStream_tbEUljE_EEESV_SW_SX_S14_S18_S1A_T6_T7_T9_mT8_S1C_bDpT10_ENKUlT_T0_E_clISt17integral_constantIbLb0EES1P_EEDaS1K_S1L_EUlS1K_E_NS1_11comp_targetILNS1_3genE0ELNS1_11target_archE4294967295ELNS1_3gpuE0ELNS1_3repE0EEENS1_30default_config_static_selectorELNS0_4arch9wavefront6targetE1EEEvSY_.has_indirect_call, 0
	.section	.AMDGPU.csdata,"",@progbits
; Kernel info:
; codeLenInByte = 0
; TotalNumSgprs: 4
; NumVgprs: 0
; ScratchSize: 0
; MemoryBound: 0
; FloatMode: 240
; IeeeMode: 1
; LDSByteSize: 0 bytes/workgroup (compile time only)
; SGPRBlocks: 0
; VGPRBlocks: 0
; NumSGPRsForWavesPerEU: 4
; NumVGPRsForWavesPerEU: 1
; Occupancy: 10
; WaveLimiterHint : 0
; COMPUTE_PGM_RSRC2:SCRATCH_EN: 0
; COMPUTE_PGM_RSRC2:USER_SGPR: 6
; COMPUTE_PGM_RSRC2:TRAP_HANDLER: 0
; COMPUTE_PGM_RSRC2:TGID_X_EN: 1
; COMPUTE_PGM_RSRC2:TGID_Y_EN: 0
; COMPUTE_PGM_RSRC2:TGID_Z_EN: 0
; COMPUTE_PGM_RSRC2:TIDIG_COMP_CNT: 0
	.section	.text._ZN7rocprim17ROCPRIM_400000_NS6detail17trampoline_kernelINS0_13select_configILj256ELj13ELNS0_17block_load_methodE3ELS4_3ELS4_3ELNS0_20block_scan_algorithmE0ELj4294967295EEENS1_25partition_config_selectorILNS1_17partition_subalgoE3EjNS0_10empty_typeEbEEZZNS1_14partition_implILS8_3ELb0ES6_jNS0_17counting_iteratorIjlEEPS9_SE_NS0_5tupleIJPjSE_EEENSF_IJSE_SE_EEES9_SG_JZNS1_25segmented_radix_sort_implINS0_14default_configELb0EPKfPfPKlPlN2at6native12_GLOBAL__N_18offset_tEEE10hipError_tPvRmT1_PNSt15iterator_traitsISY_E10value_typeET2_T3_PNSZ_IS14_E10value_typeET4_jRbjT5_S1A_jjP12ihipStream_tbEUljE_EEESV_SW_SX_S14_S18_S1A_T6_T7_T9_mT8_S1C_bDpT10_ENKUlT_T0_E_clISt17integral_constantIbLb0EES1P_EEDaS1K_S1L_EUlS1K_E_NS1_11comp_targetILNS1_3genE5ELNS1_11target_archE942ELNS1_3gpuE9ELNS1_3repE0EEENS1_30default_config_static_selectorELNS0_4arch9wavefront6targetE1EEEvSY_,"axG",@progbits,_ZN7rocprim17ROCPRIM_400000_NS6detail17trampoline_kernelINS0_13select_configILj256ELj13ELNS0_17block_load_methodE3ELS4_3ELS4_3ELNS0_20block_scan_algorithmE0ELj4294967295EEENS1_25partition_config_selectorILNS1_17partition_subalgoE3EjNS0_10empty_typeEbEEZZNS1_14partition_implILS8_3ELb0ES6_jNS0_17counting_iteratorIjlEEPS9_SE_NS0_5tupleIJPjSE_EEENSF_IJSE_SE_EEES9_SG_JZNS1_25segmented_radix_sort_implINS0_14default_configELb0EPKfPfPKlPlN2at6native12_GLOBAL__N_18offset_tEEE10hipError_tPvRmT1_PNSt15iterator_traitsISY_E10value_typeET2_T3_PNSZ_IS14_E10value_typeET4_jRbjT5_S1A_jjP12ihipStream_tbEUljE_EEESV_SW_SX_S14_S18_S1A_T6_T7_T9_mT8_S1C_bDpT10_ENKUlT_T0_E_clISt17integral_constantIbLb0EES1P_EEDaS1K_S1L_EUlS1K_E_NS1_11comp_targetILNS1_3genE5ELNS1_11target_archE942ELNS1_3gpuE9ELNS1_3repE0EEENS1_30default_config_static_selectorELNS0_4arch9wavefront6targetE1EEEvSY_,comdat
	.globl	_ZN7rocprim17ROCPRIM_400000_NS6detail17trampoline_kernelINS0_13select_configILj256ELj13ELNS0_17block_load_methodE3ELS4_3ELS4_3ELNS0_20block_scan_algorithmE0ELj4294967295EEENS1_25partition_config_selectorILNS1_17partition_subalgoE3EjNS0_10empty_typeEbEEZZNS1_14partition_implILS8_3ELb0ES6_jNS0_17counting_iteratorIjlEEPS9_SE_NS0_5tupleIJPjSE_EEENSF_IJSE_SE_EEES9_SG_JZNS1_25segmented_radix_sort_implINS0_14default_configELb0EPKfPfPKlPlN2at6native12_GLOBAL__N_18offset_tEEE10hipError_tPvRmT1_PNSt15iterator_traitsISY_E10value_typeET2_T3_PNSZ_IS14_E10value_typeET4_jRbjT5_S1A_jjP12ihipStream_tbEUljE_EEESV_SW_SX_S14_S18_S1A_T6_T7_T9_mT8_S1C_bDpT10_ENKUlT_T0_E_clISt17integral_constantIbLb0EES1P_EEDaS1K_S1L_EUlS1K_E_NS1_11comp_targetILNS1_3genE5ELNS1_11target_archE942ELNS1_3gpuE9ELNS1_3repE0EEENS1_30default_config_static_selectorELNS0_4arch9wavefront6targetE1EEEvSY_ ; -- Begin function _ZN7rocprim17ROCPRIM_400000_NS6detail17trampoline_kernelINS0_13select_configILj256ELj13ELNS0_17block_load_methodE3ELS4_3ELS4_3ELNS0_20block_scan_algorithmE0ELj4294967295EEENS1_25partition_config_selectorILNS1_17partition_subalgoE3EjNS0_10empty_typeEbEEZZNS1_14partition_implILS8_3ELb0ES6_jNS0_17counting_iteratorIjlEEPS9_SE_NS0_5tupleIJPjSE_EEENSF_IJSE_SE_EEES9_SG_JZNS1_25segmented_radix_sort_implINS0_14default_configELb0EPKfPfPKlPlN2at6native12_GLOBAL__N_18offset_tEEE10hipError_tPvRmT1_PNSt15iterator_traitsISY_E10value_typeET2_T3_PNSZ_IS14_E10value_typeET4_jRbjT5_S1A_jjP12ihipStream_tbEUljE_EEESV_SW_SX_S14_S18_S1A_T6_T7_T9_mT8_S1C_bDpT10_ENKUlT_T0_E_clISt17integral_constantIbLb0EES1P_EEDaS1K_S1L_EUlS1K_E_NS1_11comp_targetILNS1_3genE5ELNS1_11target_archE942ELNS1_3gpuE9ELNS1_3repE0EEENS1_30default_config_static_selectorELNS0_4arch9wavefront6targetE1EEEvSY_
	.p2align	8
	.type	_ZN7rocprim17ROCPRIM_400000_NS6detail17trampoline_kernelINS0_13select_configILj256ELj13ELNS0_17block_load_methodE3ELS4_3ELS4_3ELNS0_20block_scan_algorithmE0ELj4294967295EEENS1_25partition_config_selectorILNS1_17partition_subalgoE3EjNS0_10empty_typeEbEEZZNS1_14partition_implILS8_3ELb0ES6_jNS0_17counting_iteratorIjlEEPS9_SE_NS0_5tupleIJPjSE_EEENSF_IJSE_SE_EEES9_SG_JZNS1_25segmented_radix_sort_implINS0_14default_configELb0EPKfPfPKlPlN2at6native12_GLOBAL__N_18offset_tEEE10hipError_tPvRmT1_PNSt15iterator_traitsISY_E10value_typeET2_T3_PNSZ_IS14_E10value_typeET4_jRbjT5_S1A_jjP12ihipStream_tbEUljE_EEESV_SW_SX_S14_S18_S1A_T6_T7_T9_mT8_S1C_bDpT10_ENKUlT_T0_E_clISt17integral_constantIbLb0EES1P_EEDaS1K_S1L_EUlS1K_E_NS1_11comp_targetILNS1_3genE5ELNS1_11target_archE942ELNS1_3gpuE9ELNS1_3repE0EEENS1_30default_config_static_selectorELNS0_4arch9wavefront6targetE1EEEvSY_,@function
_ZN7rocprim17ROCPRIM_400000_NS6detail17trampoline_kernelINS0_13select_configILj256ELj13ELNS0_17block_load_methodE3ELS4_3ELS4_3ELNS0_20block_scan_algorithmE0ELj4294967295EEENS1_25partition_config_selectorILNS1_17partition_subalgoE3EjNS0_10empty_typeEbEEZZNS1_14partition_implILS8_3ELb0ES6_jNS0_17counting_iteratorIjlEEPS9_SE_NS0_5tupleIJPjSE_EEENSF_IJSE_SE_EEES9_SG_JZNS1_25segmented_radix_sort_implINS0_14default_configELb0EPKfPfPKlPlN2at6native12_GLOBAL__N_18offset_tEEE10hipError_tPvRmT1_PNSt15iterator_traitsISY_E10value_typeET2_T3_PNSZ_IS14_E10value_typeET4_jRbjT5_S1A_jjP12ihipStream_tbEUljE_EEESV_SW_SX_S14_S18_S1A_T6_T7_T9_mT8_S1C_bDpT10_ENKUlT_T0_E_clISt17integral_constantIbLb0EES1P_EEDaS1K_S1L_EUlS1K_E_NS1_11comp_targetILNS1_3genE5ELNS1_11target_archE942ELNS1_3gpuE9ELNS1_3repE0EEENS1_30default_config_static_selectorELNS0_4arch9wavefront6targetE1EEEvSY_: ; @_ZN7rocprim17ROCPRIM_400000_NS6detail17trampoline_kernelINS0_13select_configILj256ELj13ELNS0_17block_load_methodE3ELS4_3ELS4_3ELNS0_20block_scan_algorithmE0ELj4294967295EEENS1_25partition_config_selectorILNS1_17partition_subalgoE3EjNS0_10empty_typeEbEEZZNS1_14partition_implILS8_3ELb0ES6_jNS0_17counting_iteratorIjlEEPS9_SE_NS0_5tupleIJPjSE_EEENSF_IJSE_SE_EEES9_SG_JZNS1_25segmented_radix_sort_implINS0_14default_configELb0EPKfPfPKlPlN2at6native12_GLOBAL__N_18offset_tEEE10hipError_tPvRmT1_PNSt15iterator_traitsISY_E10value_typeET2_T3_PNSZ_IS14_E10value_typeET4_jRbjT5_S1A_jjP12ihipStream_tbEUljE_EEESV_SW_SX_S14_S18_S1A_T6_T7_T9_mT8_S1C_bDpT10_ENKUlT_T0_E_clISt17integral_constantIbLb0EES1P_EEDaS1K_S1L_EUlS1K_E_NS1_11comp_targetILNS1_3genE5ELNS1_11target_archE942ELNS1_3gpuE9ELNS1_3repE0EEENS1_30default_config_static_selectorELNS0_4arch9wavefront6targetE1EEEvSY_
; %bb.0:
	.section	.rodata,"a",@progbits
	.p2align	6, 0x0
	.amdhsa_kernel _ZN7rocprim17ROCPRIM_400000_NS6detail17trampoline_kernelINS0_13select_configILj256ELj13ELNS0_17block_load_methodE3ELS4_3ELS4_3ELNS0_20block_scan_algorithmE0ELj4294967295EEENS1_25partition_config_selectorILNS1_17partition_subalgoE3EjNS0_10empty_typeEbEEZZNS1_14partition_implILS8_3ELb0ES6_jNS0_17counting_iteratorIjlEEPS9_SE_NS0_5tupleIJPjSE_EEENSF_IJSE_SE_EEES9_SG_JZNS1_25segmented_radix_sort_implINS0_14default_configELb0EPKfPfPKlPlN2at6native12_GLOBAL__N_18offset_tEEE10hipError_tPvRmT1_PNSt15iterator_traitsISY_E10value_typeET2_T3_PNSZ_IS14_E10value_typeET4_jRbjT5_S1A_jjP12ihipStream_tbEUljE_EEESV_SW_SX_S14_S18_S1A_T6_T7_T9_mT8_S1C_bDpT10_ENKUlT_T0_E_clISt17integral_constantIbLb0EES1P_EEDaS1K_S1L_EUlS1K_E_NS1_11comp_targetILNS1_3genE5ELNS1_11target_archE942ELNS1_3gpuE9ELNS1_3repE0EEENS1_30default_config_static_selectorELNS0_4arch9wavefront6targetE1EEEvSY_
		.amdhsa_group_segment_fixed_size 0
		.amdhsa_private_segment_fixed_size 0
		.amdhsa_kernarg_size 144
		.amdhsa_user_sgpr_count 6
		.amdhsa_user_sgpr_private_segment_buffer 1
		.amdhsa_user_sgpr_dispatch_ptr 0
		.amdhsa_user_sgpr_queue_ptr 0
		.amdhsa_user_sgpr_kernarg_segment_ptr 1
		.amdhsa_user_sgpr_dispatch_id 0
		.amdhsa_user_sgpr_flat_scratch_init 0
		.amdhsa_user_sgpr_private_segment_size 0
		.amdhsa_uses_dynamic_stack 0
		.amdhsa_system_sgpr_private_segment_wavefront_offset 0
		.amdhsa_system_sgpr_workgroup_id_x 1
		.amdhsa_system_sgpr_workgroup_id_y 0
		.amdhsa_system_sgpr_workgroup_id_z 0
		.amdhsa_system_sgpr_workgroup_info 0
		.amdhsa_system_vgpr_workitem_id 0
		.amdhsa_next_free_vgpr 1
		.amdhsa_next_free_sgpr 0
		.amdhsa_reserve_vcc 0
		.amdhsa_reserve_flat_scratch 0
		.amdhsa_float_round_mode_32 0
		.amdhsa_float_round_mode_16_64 0
		.amdhsa_float_denorm_mode_32 3
		.amdhsa_float_denorm_mode_16_64 3
		.amdhsa_dx10_clamp 1
		.amdhsa_ieee_mode 1
		.amdhsa_fp16_overflow 0
		.amdhsa_exception_fp_ieee_invalid_op 0
		.amdhsa_exception_fp_denorm_src 0
		.amdhsa_exception_fp_ieee_div_zero 0
		.amdhsa_exception_fp_ieee_overflow 0
		.amdhsa_exception_fp_ieee_underflow 0
		.amdhsa_exception_fp_ieee_inexact 0
		.amdhsa_exception_int_div_zero 0
	.end_amdhsa_kernel
	.section	.text._ZN7rocprim17ROCPRIM_400000_NS6detail17trampoline_kernelINS0_13select_configILj256ELj13ELNS0_17block_load_methodE3ELS4_3ELS4_3ELNS0_20block_scan_algorithmE0ELj4294967295EEENS1_25partition_config_selectorILNS1_17partition_subalgoE3EjNS0_10empty_typeEbEEZZNS1_14partition_implILS8_3ELb0ES6_jNS0_17counting_iteratorIjlEEPS9_SE_NS0_5tupleIJPjSE_EEENSF_IJSE_SE_EEES9_SG_JZNS1_25segmented_radix_sort_implINS0_14default_configELb0EPKfPfPKlPlN2at6native12_GLOBAL__N_18offset_tEEE10hipError_tPvRmT1_PNSt15iterator_traitsISY_E10value_typeET2_T3_PNSZ_IS14_E10value_typeET4_jRbjT5_S1A_jjP12ihipStream_tbEUljE_EEESV_SW_SX_S14_S18_S1A_T6_T7_T9_mT8_S1C_bDpT10_ENKUlT_T0_E_clISt17integral_constantIbLb0EES1P_EEDaS1K_S1L_EUlS1K_E_NS1_11comp_targetILNS1_3genE5ELNS1_11target_archE942ELNS1_3gpuE9ELNS1_3repE0EEENS1_30default_config_static_selectorELNS0_4arch9wavefront6targetE1EEEvSY_,"axG",@progbits,_ZN7rocprim17ROCPRIM_400000_NS6detail17trampoline_kernelINS0_13select_configILj256ELj13ELNS0_17block_load_methodE3ELS4_3ELS4_3ELNS0_20block_scan_algorithmE0ELj4294967295EEENS1_25partition_config_selectorILNS1_17partition_subalgoE3EjNS0_10empty_typeEbEEZZNS1_14partition_implILS8_3ELb0ES6_jNS0_17counting_iteratorIjlEEPS9_SE_NS0_5tupleIJPjSE_EEENSF_IJSE_SE_EEES9_SG_JZNS1_25segmented_radix_sort_implINS0_14default_configELb0EPKfPfPKlPlN2at6native12_GLOBAL__N_18offset_tEEE10hipError_tPvRmT1_PNSt15iterator_traitsISY_E10value_typeET2_T3_PNSZ_IS14_E10value_typeET4_jRbjT5_S1A_jjP12ihipStream_tbEUljE_EEESV_SW_SX_S14_S18_S1A_T6_T7_T9_mT8_S1C_bDpT10_ENKUlT_T0_E_clISt17integral_constantIbLb0EES1P_EEDaS1K_S1L_EUlS1K_E_NS1_11comp_targetILNS1_3genE5ELNS1_11target_archE942ELNS1_3gpuE9ELNS1_3repE0EEENS1_30default_config_static_selectorELNS0_4arch9wavefront6targetE1EEEvSY_,comdat
.Lfunc_end1397:
	.size	_ZN7rocprim17ROCPRIM_400000_NS6detail17trampoline_kernelINS0_13select_configILj256ELj13ELNS0_17block_load_methodE3ELS4_3ELS4_3ELNS0_20block_scan_algorithmE0ELj4294967295EEENS1_25partition_config_selectorILNS1_17partition_subalgoE3EjNS0_10empty_typeEbEEZZNS1_14partition_implILS8_3ELb0ES6_jNS0_17counting_iteratorIjlEEPS9_SE_NS0_5tupleIJPjSE_EEENSF_IJSE_SE_EEES9_SG_JZNS1_25segmented_radix_sort_implINS0_14default_configELb0EPKfPfPKlPlN2at6native12_GLOBAL__N_18offset_tEEE10hipError_tPvRmT1_PNSt15iterator_traitsISY_E10value_typeET2_T3_PNSZ_IS14_E10value_typeET4_jRbjT5_S1A_jjP12ihipStream_tbEUljE_EEESV_SW_SX_S14_S18_S1A_T6_T7_T9_mT8_S1C_bDpT10_ENKUlT_T0_E_clISt17integral_constantIbLb0EES1P_EEDaS1K_S1L_EUlS1K_E_NS1_11comp_targetILNS1_3genE5ELNS1_11target_archE942ELNS1_3gpuE9ELNS1_3repE0EEENS1_30default_config_static_selectorELNS0_4arch9wavefront6targetE1EEEvSY_, .Lfunc_end1397-_ZN7rocprim17ROCPRIM_400000_NS6detail17trampoline_kernelINS0_13select_configILj256ELj13ELNS0_17block_load_methodE3ELS4_3ELS4_3ELNS0_20block_scan_algorithmE0ELj4294967295EEENS1_25partition_config_selectorILNS1_17partition_subalgoE3EjNS0_10empty_typeEbEEZZNS1_14partition_implILS8_3ELb0ES6_jNS0_17counting_iteratorIjlEEPS9_SE_NS0_5tupleIJPjSE_EEENSF_IJSE_SE_EEES9_SG_JZNS1_25segmented_radix_sort_implINS0_14default_configELb0EPKfPfPKlPlN2at6native12_GLOBAL__N_18offset_tEEE10hipError_tPvRmT1_PNSt15iterator_traitsISY_E10value_typeET2_T3_PNSZ_IS14_E10value_typeET4_jRbjT5_S1A_jjP12ihipStream_tbEUljE_EEESV_SW_SX_S14_S18_S1A_T6_T7_T9_mT8_S1C_bDpT10_ENKUlT_T0_E_clISt17integral_constantIbLb0EES1P_EEDaS1K_S1L_EUlS1K_E_NS1_11comp_targetILNS1_3genE5ELNS1_11target_archE942ELNS1_3gpuE9ELNS1_3repE0EEENS1_30default_config_static_selectorELNS0_4arch9wavefront6targetE1EEEvSY_
                                        ; -- End function
	.set _ZN7rocprim17ROCPRIM_400000_NS6detail17trampoline_kernelINS0_13select_configILj256ELj13ELNS0_17block_load_methodE3ELS4_3ELS4_3ELNS0_20block_scan_algorithmE0ELj4294967295EEENS1_25partition_config_selectorILNS1_17partition_subalgoE3EjNS0_10empty_typeEbEEZZNS1_14partition_implILS8_3ELb0ES6_jNS0_17counting_iteratorIjlEEPS9_SE_NS0_5tupleIJPjSE_EEENSF_IJSE_SE_EEES9_SG_JZNS1_25segmented_radix_sort_implINS0_14default_configELb0EPKfPfPKlPlN2at6native12_GLOBAL__N_18offset_tEEE10hipError_tPvRmT1_PNSt15iterator_traitsISY_E10value_typeET2_T3_PNSZ_IS14_E10value_typeET4_jRbjT5_S1A_jjP12ihipStream_tbEUljE_EEESV_SW_SX_S14_S18_S1A_T6_T7_T9_mT8_S1C_bDpT10_ENKUlT_T0_E_clISt17integral_constantIbLb0EES1P_EEDaS1K_S1L_EUlS1K_E_NS1_11comp_targetILNS1_3genE5ELNS1_11target_archE942ELNS1_3gpuE9ELNS1_3repE0EEENS1_30default_config_static_selectorELNS0_4arch9wavefront6targetE1EEEvSY_.num_vgpr, 0
	.set _ZN7rocprim17ROCPRIM_400000_NS6detail17trampoline_kernelINS0_13select_configILj256ELj13ELNS0_17block_load_methodE3ELS4_3ELS4_3ELNS0_20block_scan_algorithmE0ELj4294967295EEENS1_25partition_config_selectorILNS1_17partition_subalgoE3EjNS0_10empty_typeEbEEZZNS1_14partition_implILS8_3ELb0ES6_jNS0_17counting_iteratorIjlEEPS9_SE_NS0_5tupleIJPjSE_EEENSF_IJSE_SE_EEES9_SG_JZNS1_25segmented_radix_sort_implINS0_14default_configELb0EPKfPfPKlPlN2at6native12_GLOBAL__N_18offset_tEEE10hipError_tPvRmT1_PNSt15iterator_traitsISY_E10value_typeET2_T3_PNSZ_IS14_E10value_typeET4_jRbjT5_S1A_jjP12ihipStream_tbEUljE_EEESV_SW_SX_S14_S18_S1A_T6_T7_T9_mT8_S1C_bDpT10_ENKUlT_T0_E_clISt17integral_constantIbLb0EES1P_EEDaS1K_S1L_EUlS1K_E_NS1_11comp_targetILNS1_3genE5ELNS1_11target_archE942ELNS1_3gpuE9ELNS1_3repE0EEENS1_30default_config_static_selectorELNS0_4arch9wavefront6targetE1EEEvSY_.num_agpr, 0
	.set _ZN7rocprim17ROCPRIM_400000_NS6detail17trampoline_kernelINS0_13select_configILj256ELj13ELNS0_17block_load_methodE3ELS4_3ELS4_3ELNS0_20block_scan_algorithmE0ELj4294967295EEENS1_25partition_config_selectorILNS1_17partition_subalgoE3EjNS0_10empty_typeEbEEZZNS1_14partition_implILS8_3ELb0ES6_jNS0_17counting_iteratorIjlEEPS9_SE_NS0_5tupleIJPjSE_EEENSF_IJSE_SE_EEES9_SG_JZNS1_25segmented_radix_sort_implINS0_14default_configELb0EPKfPfPKlPlN2at6native12_GLOBAL__N_18offset_tEEE10hipError_tPvRmT1_PNSt15iterator_traitsISY_E10value_typeET2_T3_PNSZ_IS14_E10value_typeET4_jRbjT5_S1A_jjP12ihipStream_tbEUljE_EEESV_SW_SX_S14_S18_S1A_T6_T7_T9_mT8_S1C_bDpT10_ENKUlT_T0_E_clISt17integral_constantIbLb0EES1P_EEDaS1K_S1L_EUlS1K_E_NS1_11comp_targetILNS1_3genE5ELNS1_11target_archE942ELNS1_3gpuE9ELNS1_3repE0EEENS1_30default_config_static_selectorELNS0_4arch9wavefront6targetE1EEEvSY_.numbered_sgpr, 0
	.set _ZN7rocprim17ROCPRIM_400000_NS6detail17trampoline_kernelINS0_13select_configILj256ELj13ELNS0_17block_load_methodE3ELS4_3ELS4_3ELNS0_20block_scan_algorithmE0ELj4294967295EEENS1_25partition_config_selectorILNS1_17partition_subalgoE3EjNS0_10empty_typeEbEEZZNS1_14partition_implILS8_3ELb0ES6_jNS0_17counting_iteratorIjlEEPS9_SE_NS0_5tupleIJPjSE_EEENSF_IJSE_SE_EEES9_SG_JZNS1_25segmented_radix_sort_implINS0_14default_configELb0EPKfPfPKlPlN2at6native12_GLOBAL__N_18offset_tEEE10hipError_tPvRmT1_PNSt15iterator_traitsISY_E10value_typeET2_T3_PNSZ_IS14_E10value_typeET4_jRbjT5_S1A_jjP12ihipStream_tbEUljE_EEESV_SW_SX_S14_S18_S1A_T6_T7_T9_mT8_S1C_bDpT10_ENKUlT_T0_E_clISt17integral_constantIbLb0EES1P_EEDaS1K_S1L_EUlS1K_E_NS1_11comp_targetILNS1_3genE5ELNS1_11target_archE942ELNS1_3gpuE9ELNS1_3repE0EEENS1_30default_config_static_selectorELNS0_4arch9wavefront6targetE1EEEvSY_.num_named_barrier, 0
	.set _ZN7rocprim17ROCPRIM_400000_NS6detail17trampoline_kernelINS0_13select_configILj256ELj13ELNS0_17block_load_methodE3ELS4_3ELS4_3ELNS0_20block_scan_algorithmE0ELj4294967295EEENS1_25partition_config_selectorILNS1_17partition_subalgoE3EjNS0_10empty_typeEbEEZZNS1_14partition_implILS8_3ELb0ES6_jNS0_17counting_iteratorIjlEEPS9_SE_NS0_5tupleIJPjSE_EEENSF_IJSE_SE_EEES9_SG_JZNS1_25segmented_radix_sort_implINS0_14default_configELb0EPKfPfPKlPlN2at6native12_GLOBAL__N_18offset_tEEE10hipError_tPvRmT1_PNSt15iterator_traitsISY_E10value_typeET2_T3_PNSZ_IS14_E10value_typeET4_jRbjT5_S1A_jjP12ihipStream_tbEUljE_EEESV_SW_SX_S14_S18_S1A_T6_T7_T9_mT8_S1C_bDpT10_ENKUlT_T0_E_clISt17integral_constantIbLb0EES1P_EEDaS1K_S1L_EUlS1K_E_NS1_11comp_targetILNS1_3genE5ELNS1_11target_archE942ELNS1_3gpuE9ELNS1_3repE0EEENS1_30default_config_static_selectorELNS0_4arch9wavefront6targetE1EEEvSY_.private_seg_size, 0
	.set _ZN7rocprim17ROCPRIM_400000_NS6detail17trampoline_kernelINS0_13select_configILj256ELj13ELNS0_17block_load_methodE3ELS4_3ELS4_3ELNS0_20block_scan_algorithmE0ELj4294967295EEENS1_25partition_config_selectorILNS1_17partition_subalgoE3EjNS0_10empty_typeEbEEZZNS1_14partition_implILS8_3ELb0ES6_jNS0_17counting_iteratorIjlEEPS9_SE_NS0_5tupleIJPjSE_EEENSF_IJSE_SE_EEES9_SG_JZNS1_25segmented_radix_sort_implINS0_14default_configELb0EPKfPfPKlPlN2at6native12_GLOBAL__N_18offset_tEEE10hipError_tPvRmT1_PNSt15iterator_traitsISY_E10value_typeET2_T3_PNSZ_IS14_E10value_typeET4_jRbjT5_S1A_jjP12ihipStream_tbEUljE_EEESV_SW_SX_S14_S18_S1A_T6_T7_T9_mT8_S1C_bDpT10_ENKUlT_T0_E_clISt17integral_constantIbLb0EES1P_EEDaS1K_S1L_EUlS1K_E_NS1_11comp_targetILNS1_3genE5ELNS1_11target_archE942ELNS1_3gpuE9ELNS1_3repE0EEENS1_30default_config_static_selectorELNS0_4arch9wavefront6targetE1EEEvSY_.uses_vcc, 0
	.set _ZN7rocprim17ROCPRIM_400000_NS6detail17trampoline_kernelINS0_13select_configILj256ELj13ELNS0_17block_load_methodE3ELS4_3ELS4_3ELNS0_20block_scan_algorithmE0ELj4294967295EEENS1_25partition_config_selectorILNS1_17partition_subalgoE3EjNS0_10empty_typeEbEEZZNS1_14partition_implILS8_3ELb0ES6_jNS0_17counting_iteratorIjlEEPS9_SE_NS0_5tupleIJPjSE_EEENSF_IJSE_SE_EEES9_SG_JZNS1_25segmented_radix_sort_implINS0_14default_configELb0EPKfPfPKlPlN2at6native12_GLOBAL__N_18offset_tEEE10hipError_tPvRmT1_PNSt15iterator_traitsISY_E10value_typeET2_T3_PNSZ_IS14_E10value_typeET4_jRbjT5_S1A_jjP12ihipStream_tbEUljE_EEESV_SW_SX_S14_S18_S1A_T6_T7_T9_mT8_S1C_bDpT10_ENKUlT_T0_E_clISt17integral_constantIbLb0EES1P_EEDaS1K_S1L_EUlS1K_E_NS1_11comp_targetILNS1_3genE5ELNS1_11target_archE942ELNS1_3gpuE9ELNS1_3repE0EEENS1_30default_config_static_selectorELNS0_4arch9wavefront6targetE1EEEvSY_.uses_flat_scratch, 0
	.set _ZN7rocprim17ROCPRIM_400000_NS6detail17trampoline_kernelINS0_13select_configILj256ELj13ELNS0_17block_load_methodE3ELS4_3ELS4_3ELNS0_20block_scan_algorithmE0ELj4294967295EEENS1_25partition_config_selectorILNS1_17partition_subalgoE3EjNS0_10empty_typeEbEEZZNS1_14partition_implILS8_3ELb0ES6_jNS0_17counting_iteratorIjlEEPS9_SE_NS0_5tupleIJPjSE_EEENSF_IJSE_SE_EEES9_SG_JZNS1_25segmented_radix_sort_implINS0_14default_configELb0EPKfPfPKlPlN2at6native12_GLOBAL__N_18offset_tEEE10hipError_tPvRmT1_PNSt15iterator_traitsISY_E10value_typeET2_T3_PNSZ_IS14_E10value_typeET4_jRbjT5_S1A_jjP12ihipStream_tbEUljE_EEESV_SW_SX_S14_S18_S1A_T6_T7_T9_mT8_S1C_bDpT10_ENKUlT_T0_E_clISt17integral_constantIbLb0EES1P_EEDaS1K_S1L_EUlS1K_E_NS1_11comp_targetILNS1_3genE5ELNS1_11target_archE942ELNS1_3gpuE9ELNS1_3repE0EEENS1_30default_config_static_selectorELNS0_4arch9wavefront6targetE1EEEvSY_.has_dyn_sized_stack, 0
	.set _ZN7rocprim17ROCPRIM_400000_NS6detail17trampoline_kernelINS0_13select_configILj256ELj13ELNS0_17block_load_methodE3ELS4_3ELS4_3ELNS0_20block_scan_algorithmE0ELj4294967295EEENS1_25partition_config_selectorILNS1_17partition_subalgoE3EjNS0_10empty_typeEbEEZZNS1_14partition_implILS8_3ELb0ES6_jNS0_17counting_iteratorIjlEEPS9_SE_NS0_5tupleIJPjSE_EEENSF_IJSE_SE_EEES9_SG_JZNS1_25segmented_radix_sort_implINS0_14default_configELb0EPKfPfPKlPlN2at6native12_GLOBAL__N_18offset_tEEE10hipError_tPvRmT1_PNSt15iterator_traitsISY_E10value_typeET2_T3_PNSZ_IS14_E10value_typeET4_jRbjT5_S1A_jjP12ihipStream_tbEUljE_EEESV_SW_SX_S14_S18_S1A_T6_T7_T9_mT8_S1C_bDpT10_ENKUlT_T0_E_clISt17integral_constantIbLb0EES1P_EEDaS1K_S1L_EUlS1K_E_NS1_11comp_targetILNS1_3genE5ELNS1_11target_archE942ELNS1_3gpuE9ELNS1_3repE0EEENS1_30default_config_static_selectorELNS0_4arch9wavefront6targetE1EEEvSY_.has_recursion, 0
	.set _ZN7rocprim17ROCPRIM_400000_NS6detail17trampoline_kernelINS0_13select_configILj256ELj13ELNS0_17block_load_methodE3ELS4_3ELS4_3ELNS0_20block_scan_algorithmE0ELj4294967295EEENS1_25partition_config_selectorILNS1_17partition_subalgoE3EjNS0_10empty_typeEbEEZZNS1_14partition_implILS8_3ELb0ES6_jNS0_17counting_iteratorIjlEEPS9_SE_NS0_5tupleIJPjSE_EEENSF_IJSE_SE_EEES9_SG_JZNS1_25segmented_radix_sort_implINS0_14default_configELb0EPKfPfPKlPlN2at6native12_GLOBAL__N_18offset_tEEE10hipError_tPvRmT1_PNSt15iterator_traitsISY_E10value_typeET2_T3_PNSZ_IS14_E10value_typeET4_jRbjT5_S1A_jjP12ihipStream_tbEUljE_EEESV_SW_SX_S14_S18_S1A_T6_T7_T9_mT8_S1C_bDpT10_ENKUlT_T0_E_clISt17integral_constantIbLb0EES1P_EEDaS1K_S1L_EUlS1K_E_NS1_11comp_targetILNS1_3genE5ELNS1_11target_archE942ELNS1_3gpuE9ELNS1_3repE0EEENS1_30default_config_static_selectorELNS0_4arch9wavefront6targetE1EEEvSY_.has_indirect_call, 0
	.section	.AMDGPU.csdata,"",@progbits
; Kernel info:
; codeLenInByte = 0
; TotalNumSgprs: 4
; NumVgprs: 0
; ScratchSize: 0
; MemoryBound: 0
; FloatMode: 240
; IeeeMode: 1
; LDSByteSize: 0 bytes/workgroup (compile time only)
; SGPRBlocks: 0
; VGPRBlocks: 0
; NumSGPRsForWavesPerEU: 4
; NumVGPRsForWavesPerEU: 1
; Occupancy: 10
; WaveLimiterHint : 0
; COMPUTE_PGM_RSRC2:SCRATCH_EN: 0
; COMPUTE_PGM_RSRC2:USER_SGPR: 6
; COMPUTE_PGM_RSRC2:TRAP_HANDLER: 0
; COMPUTE_PGM_RSRC2:TGID_X_EN: 1
; COMPUTE_PGM_RSRC2:TGID_Y_EN: 0
; COMPUTE_PGM_RSRC2:TGID_Z_EN: 0
; COMPUTE_PGM_RSRC2:TIDIG_COMP_CNT: 0
	.section	.text._ZN7rocprim17ROCPRIM_400000_NS6detail17trampoline_kernelINS0_13select_configILj256ELj13ELNS0_17block_load_methodE3ELS4_3ELS4_3ELNS0_20block_scan_algorithmE0ELj4294967295EEENS1_25partition_config_selectorILNS1_17partition_subalgoE3EjNS0_10empty_typeEbEEZZNS1_14partition_implILS8_3ELb0ES6_jNS0_17counting_iteratorIjlEEPS9_SE_NS0_5tupleIJPjSE_EEENSF_IJSE_SE_EEES9_SG_JZNS1_25segmented_radix_sort_implINS0_14default_configELb0EPKfPfPKlPlN2at6native12_GLOBAL__N_18offset_tEEE10hipError_tPvRmT1_PNSt15iterator_traitsISY_E10value_typeET2_T3_PNSZ_IS14_E10value_typeET4_jRbjT5_S1A_jjP12ihipStream_tbEUljE_EEESV_SW_SX_S14_S18_S1A_T6_T7_T9_mT8_S1C_bDpT10_ENKUlT_T0_E_clISt17integral_constantIbLb0EES1P_EEDaS1K_S1L_EUlS1K_E_NS1_11comp_targetILNS1_3genE4ELNS1_11target_archE910ELNS1_3gpuE8ELNS1_3repE0EEENS1_30default_config_static_selectorELNS0_4arch9wavefront6targetE1EEEvSY_,"axG",@progbits,_ZN7rocprim17ROCPRIM_400000_NS6detail17trampoline_kernelINS0_13select_configILj256ELj13ELNS0_17block_load_methodE3ELS4_3ELS4_3ELNS0_20block_scan_algorithmE0ELj4294967295EEENS1_25partition_config_selectorILNS1_17partition_subalgoE3EjNS0_10empty_typeEbEEZZNS1_14partition_implILS8_3ELb0ES6_jNS0_17counting_iteratorIjlEEPS9_SE_NS0_5tupleIJPjSE_EEENSF_IJSE_SE_EEES9_SG_JZNS1_25segmented_radix_sort_implINS0_14default_configELb0EPKfPfPKlPlN2at6native12_GLOBAL__N_18offset_tEEE10hipError_tPvRmT1_PNSt15iterator_traitsISY_E10value_typeET2_T3_PNSZ_IS14_E10value_typeET4_jRbjT5_S1A_jjP12ihipStream_tbEUljE_EEESV_SW_SX_S14_S18_S1A_T6_T7_T9_mT8_S1C_bDpT10_ENKUlT_T0_E_clISt17integral_constantIbLb0EES1P_EEDaS1K_S1L_EUlS1K_E_NS1_11comp_targetILNS1_3genE4ELNS1_11target_archE910ELNS1_3gpuE8ELNS1_3repE0EEENS1_30default_config_static_selectorELNS0_4arch9wavefront6targetE1EEEvSY_,comdat
	.globl	_ZN7rocprim17ROCPRIM_400000_NS6detail17trampoline_kernelINS0_13select_configILj256ELj13ELNS0_17block_load_methodE3ELS4_3ELS4_3ELNS0_20block_scan_algorithmE0ELj4294967295EEENS1_25partition_config_selectorILNS1_17partition_subalgoE3EjNS0_10empty_typeEbEEZZNS1_14partition_implILS8_3ELb0ES6_jNS0_17counting_iteratorIjlEEPS9_SE_NS0_5tupleIJPjSE_EEENSF_IJSE_SE_EEES9_SG_JZNS1_25segmented_radix_sort_implINS0_14default_configELb0EPKfPfPKlPlN2at6native12_GLOBAL__N_18offset_tEEE10hipError_tPvRmT1_PNSt15iterator_traitsISY_E10value_typeET2_T3_PNSZ_IS14_E10value_typeET4_jRbjT5_S1A_jjP12ihipStream_tbEUljE_EEESV_SW_SX_S14_S18_S1A_T6_T7_T9_mT8_S1C_bDpT10_ENKUlT_T0_E_clISt17integral_constantIbLb0EES1P_EEDaS1K_S1L_EUlS1K_E_NS1_11comp_targetILNS1_3genE4ELNS1_11target_archE910ELNS1_3gpuE8ELNS1_3repE0EEENS1_30default_config_static_selectorELNS0_4arch9wavefront6targetE1EEEvSY_ ; -- Begin function _ZN7rocprim17ROCPRIM_400000_NS6detail17trampoline_kernelINS0_13select_configILj256ELj13ELNS0_17block_load_methodE3ELS4_3ELS4_3ELNS0_20block_scan_algorithmE0ELj4294967295EEENS1_25partition_config_selectorILNS1_17partition_subalgoE3EjNS0_10empty_typeEbEEZZNS1_14partition_implILS8_3ELb0ES6_jNS0_17counting_iteratorIjlEEPS9_SE_NS0_5tupleIJPjSE_EEENSF_IJSE_SE_EEES9_SG_JZNS1_25segmented_radix_sort_implINS0_14default_configELb0EPKfPfPKlPlN2at6native12_GLOBAL__N_18offset_tEEE10hipError_tPvRmT1_PNSt15iterator_traitsISY_E10value_typeET2_T3_PNSZ_IS14_E10value_typeET4_jRbjT5_S1A_jjP12ihipStream_tbEUljE_EEESV_SW_SX_S14_S18_S1A_T6_T7_T9_mT8_S1C_bDpT10_ENKUlT_T0_E_clISt17integral_constantIbLb0EES1P_EEDaS1K_S1L_EUlS1K_E_NS1_11comp_targetILNS1_3genE4ELNS1_11target_archE910ELNS1_3gpuE8ELNS1_3repE0EEENS1_30default_config_static_selectorELNS0_4arch9wavefront6targetE1EEEvSY_
	.p2align	8
	.type	_ZN7rocprim17ROCPRIM_400000_NS6detail17trampoline_kernelINS0_13select_configILj256ELj13ELNS0_17block_load_methodE3ELS4_3ELS4_3ELNS0_20block_scan_algorithmE0ELj4294967295EEENS1_25partition_config_selectorILNS1_17partition_subalgoE3EjNS0_10empty_typeEbEEZZNS1_14partition_implILS8_3ELb0ES6_jNS0_17counting_iteratorIjlEEPS9_SE_NS0_5tupleIJPjSE_EEENSF_IJSE_SE_EEES9_SG_JZNS1_25segmented_radix_sort_implINS0_14default_configELb0EPKfPfPKlPlN2at6native12_GLOBAL__N_18offset_tEEE10hipError_tPvRmT1_PNSt15iterator_traitsISY_E10value_typeET2_T3_PNSZ_IS14_E10value_typeET4_jRbjT5_S1A_jjP12ihipStream_tbEUljE_EEESV_SW_SX_S14_S18_S1A_T6_T7_T9_mT8_S1C_bDpT10_ENKUlT_T0_E_clISt17integral_constantIbLb0EES1P_EEDaS1K_S1L_EUlS1K_E_NS1_11comp_targetILNS1_3genE4ELNS1_11target_archE910ELNS1_3gpuE8ELNS1_3repE0EEENS1_30default_config_static_selectorELNS0_4arch9wavefront6targetE1EEEvSY_,@function
_ZN7rocprim17ROCPRIM_400000_NS6detail17trampoline_kernelINS0_13select_configILj256ELj13ELNS0_17block_load_methodE3ELS4_3ELS4_3ELNS0_20block_scan_algorithmE0ELj4294967295EEENS1_25partition_config_selectorILNS1_17partition_subalgoE3EjNS0_10empty_typeEbEEZZNS1_14partition_implILS8_3ELb0ES6_jNS0_17counting_iteratorIjlEEPS9_SE_NS0_5tupleIJPjSE_EEENSF_IJSE_SE_EEES9_SG_JZNS1_25segmented_radix_sort_implINS0_14default_configELb0EPKfPfPKlPlN2at6native12_GLOBAL__N_18offset_tEEE10hipError_tPvRmT1_PNSt15iterator_traitsISY_E10value_typeET2_T3_PNSZ_IS14_E10value_typeET4_jRbjT5_S1A_jjP12ihipStream_tbEUljE_EEESV_SW_SX_S14_S18_S1A_T6_T7_T9_mT8_S1C_bDpT10_ENKUlT_T0_E_clISt17integral_constantIbLb0EES1P_EEDaS1K_S1L_EUlS1K_E_NS1_11comp_targetILNS1_3genE4ELNS1_11target_archE910ELNS1_3gpuE8ELNS1_3repE0EEENS1_30default_config_static_selectorELNS0_4arch9wavefront6targetE1EEEvSY_: ; @_ZN7rocprim17ROCPRIM_400000_NS6detail17trampoline_kernelINS0_13select_configILj256ELj13ELNS0_17block_load_methodE3ELS4_3ELS4_3ELNS0_20block_scan_algorithmE0ELj4294967295EEENS1_25partition_config_selectorILNS1_17partition_subalgoE3EjNS0_10empty_typeEbEEZZNS1_14partition_implILS8_3ELb0ES6_jNS0_17counting_iteratorIjlEEPS9_SE_NS0_5tupleIJPjSE_EEENSF_IJSE_SE_EEES9_SG_JZNS1_25segmented_radix_sort_implINS0_14default_configELb0EPKfPfPKlPlN2at6native12_GLOBAL__N_18offset_tEEE10hipError_tPvRmT1_PNSt15iterator_traitsISY_E10value_typeET2_T3_PNSZ_IS14_E10value_typeET4_jRbjT5_S1A_jjP12ihipStream_tbEUljE_EEESV_SW_SX_S14_S18_S1A_T6_T7_T9_mT8_S1C_bDpT10_ENKUlT_T0_E_clISt17integral_constantIbLb0EES1P_EEDaS1K_S1L_EUlS1K_E_NS1_11comp_targetILNS1_3genE4ELNS1_11target_archE910ELNS1_3gpuE8ELNS1_3repE0EEENS1_30default_config_static_selectorELNS0_4arch9wavefront6targetE1EEEvSY_
; %bb.0:
	.section	.rodata,"a",@progbits
	.p2align	6, 0x0
	.amdhsa_kernel _ZN7rocprim17ROCPRIM_400000_NS6detail17trampoline_kernelINS0_13select_configILj256ELj13ELNS0_17block_load_methodE3ELS4_3ELS4_3ELNS0_20block_scan_algorithmE0ELj4294967295EEENS1_25partition_config_selectorILNS1_17partition_subalgoE3EjNS0_10empty_typeEbEEZZNS1_14partition_implILS8_3ELb0ES6_jNS0_17counting_iteratorIjlEEPS9_SE_NS0_5tupleIJPjSE_EEENSF_IJSE_SE_EEES9_SG_JZNS1_25segmented_radix_sort_implINS0_14default_configELb0EPKfPfPKlPlN2at6native12_GLOBAL__N_18offset_tEEE10hipError_tPvRmT1_PNSt15iterator_traitsISY_E10value_typeET2_T3_PNSZ_IS14_E10value_typeET4_jRbjT5_S1A_jjP12ihipStream_tbEUljE_EEESV_SW_SX_S14_S18_S1A_T6_T7_T9_mT8_S1C_bDpT10_ENKUlT_T0_E_clISt17integral_constantIbLb0EES1P_EEDaS1K_S1L_EUlS1K_E_NS1_11comp_targetILNS1_3genE4ELNS1_11target_archE910ELNS1_3gpuE8ELNS1_3repE0EEENS1_30default_config_static_selectorELNS0_4arch9wavefront6targetE1EEEvSY_
		.amdhsa_group_segment_fixed_size 0
		.amdhsa_private_segment_fixed_size 0
		.amdhsa_kernarg_size 144
		.amdhsa_user_sgpr_count 6
		.amdhsa_user_sgpr_private_segment_buffer 1
		.amdhsa_user_sgpr_dispatch_ptr 0
		.amdhsa_user_sgpr_queue_ptr 0
		.amdhsa_user_sgpr_kernarg_segment_ptr 1
		.amdhsa_user_sgpr_dispatch_id 0
		.amdhsa_user_sgpr_flat_scratch_init 0
		.amdhsa_user_sgpr_private_segment_size 0
		.amdhsa_uses_dynamic_stack 0
		.amdhsa_system_sgpr_private_segment_wavefront_offset 0
		.amdhsa_system_sgpr_workgroup_id_x 1
		.amdhsa_system_sgpr_workgroup_id_y 0
		.amdhsa_system_sgpr_workgroup_id_z 0
		.amdhsa_system_sgpr_workgroup_info 0
		.amdhsa_system_vgpr_workitem_id 0
		.amdhsa_next_free_vgpr 1
		.amdhsa_next_free_sgpr 0
		.amdhsa_reserve_vcc 0
		.amdhsa_reserve_flat_scratch 0
		.amdhsa_float_round_mode_32 0
		.amdhsa_float_round_mode_16_64 0
		.amdhsa_float_denorm_mode_32 3
		.amdhsa_float_denorm_mode_16_64 3
		.amdhsa_dx10_clamp 1
		.amdhsa_ieee_mode 1
		.amdhsa_fp16_overflow 0
		.amdhsa_exception_fp_ieee_invalid_op 0
		.amdhsa_exception_fp_denorm_src 0
		.amdhsa_exception_fp_ieee_div_zero 0
		.amdhsa_exception_fp_ieee_overflow 0
		.amdhsa_exception_fp_ieee_underflow 0
		.amdhsa_exception_fp_ieee_inexact 0
		.amdhsa_exception_int_div_zero 0
	.end_amdhsa_kernel
	.section	.text._ZN7rocprim17ROCPRIM_400000_NS6detail17trampoline_kernelINS0_13select_configILj256ELj13ELNS0_17block_load_methodE3ELS4_3ELS4_3ELNS0_20block_scan_algorithmE0ELj4294967295EEENS1_25partition_config_selectorILNS1_17partition_subalgoE3EjNS0_10empty_typeEbEEZZNS1_14partition_implILS8_3ELb0ES6_jNS0_17counting_iteratorIjlEEPS9_SE_NS0_5tupleIJPjSE_EEENSF_IJSE_SE_EEES9_SG_JZNS1_25segmented_radix_sort_implINS0_14default_configELb0EPKfPfPKlPlN2at6native12_GLOBAL__N_18offset_tEEE10hipError_tPvRmT1_PNSt15iterator_traitsISY_E10value_typeET2_T3_PNSZ_IS14_E10value_typeET4_jRbjT5_S1A_jjP12ihipStream_tbEUljE_EEESV_SW_SX_S14_S18_S1A_T6_T7_T9_mT8_S1C_bDpT10_ENKUlT_T0_E_clISt17integral_constantIbLb0EES1P_EEDaS1K_S1L_EUlS1K_E_NS1_11comp_targetILNS1_3genE4ELNS1_11target_archE910ELNS1_3gpuE8ELNS1_3repE0EEENS1_30default_config_static_selectorELNS0_4arch9wavefront6targetE1EEEvSY_,"axG",@progbits,_ZN7rocprim17ROCPRIM_400000_NS6detail17trampoline_kernelINS0_13select_configILj256ELj13ELNS0_17block_load_methodE3ELS4_3ELS4_3ELNS0_20block_scan_algorithmE0ELj4294967295EEENS1_25partition_config_selectorILNS1_17partition_subalgoE3EjNS0_10empty_typeEbEEZZNS1_14partition_implILS8_3ELb0ES6_jNS0_17counting_iteratorIjlEEPS9_SE_NS0_5tupleIJPjSE_EEENSF_IJSE_SE_EEES9_SG_JZNS1_25segmented_radix_sort_implINS0_14default_configELb0EPKfPfPKlPlN2at6native12_GLOBAL__N_18offset_tEEE10hipError_tPvRmT1_PNSt15iterator_traitsISY_E10value_typeET2_T3_PNSZ_IS14_E10value_typeET4_jRbjT5_S1A_jjP12ihipStream_tbEUljE_EEESV_SW_SX_S14_S18_S1A_T6_T7_T9_mT8_S1C_bDpT10_ENKUlT_T0_E_clISt17integral_constantIbLb0EES1P_EEDaS1K_S1L_EUlS1K_E_NS1_11comp_targetILNS1_3genE4ELNS1_11target_archE910ELNS1_3gpuE8ELNS1_3repE0EEENS1_30default_config_static_selectorELNS0_4arch9wavefront6targetE1EEEvSY_,comdat
.Lfunc_end1398:
	.size	_ZN7rocprim17ROCPRIM_400000_NS6detail17trampoline_kernelINS0_13select_configILj256ELj13ELNS0_17block_load_methodE3ELS4_3ELS4_3ELNS0_20block_scan_algorithmE0ELj4294967295EEENS1_25partition_config_selectorILNS1_17partition_subalgoE3EjNS0_10empty_typeEbEEZZNS1_14partition_implILS8_3ELb0ES6_jNS0_17counting_iteratorIjlEEPS9_SE_NS0_5tupleIJPjSE_EEENSF_IJSE_SE_EEES9_SG_JZNS1_25segmented_radix_sort_implINS0_14default_configELb0EPKfPfPKlPlN2at6native12_GLOBAL__N_18offset_tEEE10hipError_tPvRmT1_PNSt15iterator_traitsISY_E10value_typeET2_T3_PNSZ_IS14_E10value_typeET4_jRbjT5_S1A_jjP12ihipStream_tbEUljE_EEESV_SW_SX_S14_S18_S1A_T6_T7_T9_mT8_S1C_bDpT10_ENKUlT_T0_E_clISt17integral_constantIbLb0EES1P_EEDaS1K_S1L_EUlS1K_E_NS1_11comp_targetILNS1_3genE4ELNS1_11target_archE910ELNS1_3gpuE8ELNS1_3repE0EEENS1_30default_config_static_selectorELNS0_4arch9wavefront6targetE1EEEvSY_, .Lfunc_end1398-_ZN7rocprim17ROCPRIM_400000_NS6detail17trampoline_kernelINS0_13select_configILj256ELj13ELNS0_17block_load_methodE3ELS4_3ELS4_3ELNS0_20block_scan_algorithmE0ELj4294967295EEENS1_25partition_config_selectorILNS1_17partition_subalgoE3EjNS0_10empty_typeEbEEZZNS1_14partition_implILS8_3ELb0ES6_jNS0_17counting_iteratorIjlEEPS9_SE_NS0_5tupleIJPjSE_EEENSF_IJSE_SE_EEES9_SG_JZNS1_25segmented_radix_sort_implINS0_14default_configELb0EPKfPfPKlPlN2at6native12_GLOBAL__N_18offset_tEEE10hipError_tPvRmT1_PNSt15iterator_traitsISY_E10value_typeET2_T3_PNSZ_IS14_E10value_typeET4_jRbjT5_S1A_jjP12ihipStream_tbEUljE_EEESV_SW_SX_S14_S18_S1A_T6_T7_T9_mT8_S1C_bDpT10_ENKUlT_T0_E_clISt17integral_constantIbLb0EES1P_EEDaS1K_S1L_EUlS1K_E_NS1_11comp_targetILNS1_3genE4ELNS1_11target_archE910ELNS1_3gpuE8ELNS1_3repE0EEENS1_30default_config_static_selectorELNS0_4arch9wavefront6targetE1EEEvSY_
                                        ; -- End function
	.set _ZN7rocprim17ROCPRIM_400000_NS6detail17trampoline_kernelINS0_13select_configILj256ELj13ELNS0_17block_load_methodE3ELS4_3ELS4_3ELNS0_20block_scan_algorithmE0ELj4294967295EEENS1_25partition_config_selectorILNS1_17partition_subalgoE3EjNS0_10empty_typeEbEEZZNS1_14partition_implILS8_3ELb0ES6_jNS0_17counting_iteratorIjlEEPS9_SE_NS0_5tupleIJPjSE_EEENSF_IJSE_SE_EEES9_SG_JZNS1_25segmented_radix_sort_implINS0_14default_configELb0EPKfPfPKlPlN2at6native12_GLOBAL__N_18offset_tEEE10hipError_tPvRmT1_PNSt15iterator_traitsISY_E10value_typeET2_T3_PNSZ_IS14_E10value_typeET4_jRbjT5_S1A_jjP12ihipStream_tbEUljE_EEESV_SW_SX_S14_S18_S1A_T6_T7_T9_mT8_S1C_bDpT10_ENKUlT_T0_E_clISt17integral_constantIbLb0EES1P_EEDaS1K_S1L_EUlS1K_E_NS1_11comp_targetILNS1_3genE4ELNS1_11target_archE910ELNS1_3gpuE8ELNS1_3repE0EEENS1_30default_config_static_selectorELNS0_4arch9wavefront6targetE1EEEvSY_.num_vgpr, 0
	.set _ZN7rocprim17ROCPRIM_400000_NS6detail17trampoline_kernelINS0_13select_configILj256ELj13ELNS0_17block_load_methodE3ELS4_3ELS4_3ELNS0_20block_scan_algorithmE0ELj4294967295EEENS1_25partition_config_selectorILNS1_17partition_subalgoE3EjNS0_10empty_typeEbEEZZNS1_14partition_implILS8_3ELb0ES6_jNS0_17counting_iteratorIjlEEPS9_SE_NS0_5tupleIJPjSE_EEENSF_IJSE_SE_EEES9_SG_JZNS1_25segmented_radix_sort_implINS0_14default_configELb0EPKfPfPKlPlN2at6native12_GLOBAL__N_18offset_tEEE10hipError_tPvRmT1_PNSt15iterator_traitsISY_E10value_typeET2_T3_PNSZ_IS14_E10value_typeET4_jRbjT5_S1A_jjP12ihipStream_tbEUljE_EEESV_SW_SX_S14_S18_S1A_T6_T7_T9_mT8_S1C_bDpT10_ENKUlT_T0_E_clISt17integral_constantIbLb0EES1P_EEDaS1K_S1L_EUlS1K_E_NS1_11comp_targetILNS1_3genE4ELNS1_11target_archE910ELNS1_3gpuE8ELNS1_3repE0EEENS1_30default_config_static_selectorELNS0_4arch9wavefront6targetE1EEEvSY_.num_agpr, 0
	.set _ZN7rocprim17ROCPRIM_400000_NS6detail17trampoline_kernelINS0_13select_configILj256ELj13ELNS0_17block_load_methodE3ELS4_3ELS4_3ELNS0_20block_scan_algorithmE0ELj4294967295EEENS1_25partition_config_selectorILNS1_17partition_subalgoE3EjNS0_10empty_typeEbEEZZNS1_14partition_implILS8_3ELb0ES6_jNS0_17counting_iteratorIjlEEPS9_SE_NS0_5tupleIJPjSE_EEENSF_IJSE_SE_EEES9_SG_JZNS1_25segmented_radix_sort_implINS0_14default_configELb0EPKfPfPKlPlN2at6native12_GLOBAL__N_18offset_tEEE10hipError_tPvRmT1_PNSt15iterator_traitsISY_E10value_typeET2_T3_PNSZ_IS14_E10value_typeET4_jRbjT5_S1A_jjP12ihipStream_tbEUljE_EEESV_SW_SX_S14_S18_S1A_T6_T7_T9_mT8_S1C_bDpT10_ENKUlT_T0_E_clISt17integral_constantIbLb0EES1P_EEDaS1K_S1L_EUlS1K_E_NS1_11comp_targetILNS1_3genE4ELNS1_11target_archE910ELNS1_3gpuE8ELNS1_3repE0EEENS1_30default_config_static_selectorELNS0_4arch9wavefront6targetE1EEEvSY_.numbered_sgpr, 0
	.set _ZN7rocprim17ROCPRIM_400000_NS6detail17trampoline_kernelINS0_13select_configILj256ELj13ELNS0_17block_load_methodE3ELS4_3ELS4_3ELNS0_20block_scan_algorithmE0ELj4294967295EEENS1_25partition_config_selectorILNS1_17partition_subalgoE3EjNS0_10empty_typeEbEEZZNS1_14partition_implILS8_3ELb0ES6_jNS0_17counting_iteratorIjlEEPS9_SE_NS0_5tupleIJPjSE_EEENSF_IJSE_SE_EEES9_SG_JZNS1_25segmented_radix_sort_implINS0_14default_configELb0EPKfPfPKlPlN2at6native12_GLOBAL__N_18offset_tEEE10hipError_tPvRmT1_PNSt15iterator_traitsISY_E10value_typeET2_T3_PNSZ_IS14_E10value_typeET4_jRbjT5_S1A_jjP12ihipStream_tbEUljE_EEESV_SW_SX_S14_S18_S1A_T6_T7_T9_mT8_S1C_bDpT10_ENKUlT_T0_E_clISt17integral_constantIbLb0EES1P_EEDaS1K_S1L_EUlS1K_E_NS1_11comp_targetILNS1_3genE4ELNS1_11target_archE910ELNS1_3gpuE8ELNS1_3repE0EEENS1_30default_config_static_selectorELNS0_4arch9wavefront6targetE1EEEvSY_.num_named_barrier, 0
	.set _ZN7rocprim17ROCPRIM_400000_NS6detail17trampoline_kernelINS0_13select_configILj256ELj13ELNS0_17block_load_methodE3ELS4_3ELS4_3ELNS0_20block_scan_algorithmE0ELj4294967295EEENS1_25partition_config_selectorILNS1_17partition_subalgoE3EjNS0_10empty_typeEbEEZZNS1_14partition_implILS8_3ELb0ES6_jNS0_17counting_iteratorIjlEEPS9_SE_NS0_5tupleIJPjSE_EEENSF_IJSE_SE_EEES9_SG_JZNS1_25segmented_radix_sort_implINS0_14default_configELb0EPKfPfPKlPlN2at6native12_GLOBAL__N_18offset_tEEE10hipError_tPvRmT1_PNSt15iterator_traitsISY_E10value_typeET2_T3_PNSZ_IS14_E10value_typeET4_jRbjT5_S1A_jjP12ihipStream_tbEUljE_EEESV_SW_SX_S14_S18_S1A_T6_T7_T9_mT8_S1C_bDpT10_ENKUlT_T0_E_clISt17integral_constantIbLb0EES1P_EEDaS1K_S1L_EUlS1K_E_NS1_11comp_targetILNS1_3genE4ELNS1_11target_archE910ELNS1_3gpuE8ELNS1_3repE0EEENS1_30default_config_static_selectorELNS0_4arch9wavefront6targetE1EEEvSY_.private_seg_size, 0
	.set _ZN7rocprim17ROCPRIM_400000_NS6detail17trampoline_kernelINS0_13select_configILj256ELj13ELNS0_17block_load_methodE3ELS4_3ELS4_3ELNS0_20block_scan_algorithmE0ELj4294967295EEENS1_25partition_config_selectorILNS1_17partition_subalgoE3EjNS0_10empty_typeEbEEZZNS1_14partition_implILS8_3ELb0ES6_jNS0_17counting_iteratorIjlEEPS9_SE_NS0_5tupleIJPjSE_EEENSF_IJSE_SE_EEES9_SG_JZNS1_25segmented_radix_sort_implINS0_14default_configELb0EPKfPfPKlPlN2at6native12_GLOBAL__N_18offset_tEEE10hipError_tPvRmT1_PNSt15iterator_traitsISY_E10value_typeET2_T3_PNSZ_IS14_E10value_typeET4_jRbjT5_S1A_jjP12ihipStream_tbEUljE_EEESV_SW_SX_S14_S18_S1A_T6_T7_T9_mT8_S1C_bDpT10_ENKUlT_T0_E_clISt17integral_constantIbLb0EES1P_EEDaS1K_S1L_EUlS1K_E_NS1_11comp_targetILNS1_3genE4ELNS1_11target_archE910ELNS1_3gpuE8ELNS1_3repE0EEENS1_30default_config_static_selectorELNS0_4arch9wavefront6targetE1EEEvSY_.uses_vcc, 0
	.set _ZN7rocprim17ROCPRIM_400000_NS6detail17trampoline_kernelINS0_13select_configILj256ELj13ELNS0_17block_load_methodE3ELS4_3ELS4_3ELNS0_20block_scan_algorithmE0ELj4294967295EEENS1_25partition_config_selectorILNS1_17partition_subalgoE3EjNS0_10empty_typeEbEEZZNS1_14partition_implILS8_3ELb0ES6_jNS0_17counting_iteratorIjlEEPS9_SE_NS0_5tupleIJPjSE_EEENSF_IJSE_SE_EEES9_SG_JZNS1_25segmented_radix_sort_implINS0_14default_configELb0EPKfPfPKlPlN2at6native12_GLOBAL__N_18offset_tEEE10hipError_tPvRmT1_PNSt15iterator_traitsISY_E10value_typeET2_T3_PNSZ_IS14_E10value_typeET4_jRbjT5_S1A_jjP12ihipStream_tbEUljE_EEESV_SW_SX_S14_S18_S1A_T6_T7_T9_mT8_S1C_bDpT10_ENKUlT_T0_E_clISt17integral_constantIbLb0EES1P_EEDaS1K_S1L_EUlS1K_E_NS1_11comp_targetILNS1_3genE4ELNS1_11target_archE910ELNS1_3gpuE8ELNS1_3repE0EEENS1_30default_config_static_selectorELNS0_4arch9wavefront6targetE1EEEvSY_.uses_flat_scratch, 0
	.set _ZN7rocprim17ROCPRIM_400000_NS6detail17trampoline_kernelINS0_13select_configILj256ELj13ELNS0_17block_load_methodE3ELS4_3ELS4_3ELNS0_20block_scan_algorithmE0ELj4294967295EEENS1_25partition_config_selectorILNS1_17partition_subalgoE3EjNS0_10empty_typeEbEEZZNS1_14partition_implILS8_3ELb0ES6_jNS0_17counting_iteratorIjlEEPS9_SE_NS0_5tupleIJPjSE_EEENSF_IJSE_SE_EEES9_SG_JZNS1_25segmented_radix_sort_implINS0_14default_configELb0EPKfPfPKlPlN2at6native12_GLOBAL__N_18offset_tEEE10hipError_tPvRmT1_PNSt15iterator_traitsISY_E10value_typeET2_T3_PNSZ_IS14_E10value_typeET4_jRbjT5_S1A_jjP12ihipStream_tbEUljE_EEESV_SW_SX_S14_S18_S1A_T6_T7_T9_mT8_S1C_bDpT10_ENKUlT_T0_E_clISt17integral_constantIbLb0EES1P_EEDaS1K_S1L_EUlS1K_E_NS1_11comp_targetILNS1_3genE4ELNS1_11target_archE910ELNS1_3gpuE8ELNS1_3repE0EEENS1_30default_config_static_selectorELNS0_4arch9wavefront6targetE1EEEvSY_.has_dyn_sized_stack, 0
	.set _ZN7rocprim17ROCPRIM_400000_NS6detail17trampoline_kernelINS0_13select_configILj256ELj13ELNS0_17block_load_methodE3ELS4_3ELS4_3ELNS0_20block_scan_algorithmE0ELj4294967295EEENS1_25partition_config_selectorILNS1_17partition_subalgoE3EjNS0_10empty_typeEbEEZZNS1_14partition_implILS8_3ELb0ES6_jNS0_17counting_iteratorIjlEEPS9_SE_NS0_5tupleIJPjSE_EEENSF_IJSE_SE_EEES9_SG_JZNS1_25segmented_radix_sort_implINS0_14default_configELb0EPKfPfPKlPlN2at6native12_GLOBAL__N_18offset_tEEE10hipError_tPvRmT1_PNSt15iterator_traitsISY_E10value_typeET2_T3_PNSZ_IS14_E10value_typeET4_jRbjT5_S1A_jjP12ihipStream_tbEUljE_EEESV_SW_SX_S14_S18_S1A_T6_T7_T9_mT8_S1C_bDpT10_ENKUlT_T0_E_clISt17integral_constantIbLb0EES1P_EEDaS1K_S1L_EUlS1K_E_NS1_11comp_targetILNS1_3genE4ELNS1_11target_archE910ELNS1_3gpuE8ELNS1_3repE0EEENS1_30default_config_static_selectorELNS0_4arch9wavefront6targetE1EEEvSY_.has_recursion, 0
	.set _ZN7rocprim17ROCPRIM_400000_NS6detail17trampoline_kernelINS0_13select_configILj256ELj13ELNS0_17block_load_methodE3ELS4_3ELS4_3ELNS0_20block_scan_algorithmE0ELj4294967295EEENS1_25partition_config_selectorILNS1_17partition_subalgoE3EjNS0_10empty_typeEbEEZZNS1_14partition_implILS8_3ELb0ES6_jNS0_17counting_iteratorIjlEEPS9_SE_NS0_5tupleIJPjSE_EEENSF_IJSE_SE_EEES9_SG_JZNS1_25segmented_radix_sort_implINS0_14default_configELb0EPKfPfPKlPlN2at6native12_GLOBAL__N_18offset_tEEE10hipError_tPvRmT1_PNSt15iterator_traitsISY_E10value_typeET2_T3_PNSZ_IS14_E10value_typeET4_jRbjT5_S1A_jjP12ihipStream_tbEUljE_EEESV_SW_SX_S14_S18_S1A_T6_T7_T9_mT8_S1C_bDpT10_ENKUlT_T0_E_clISt17integral_constantIbLb0EES1P_EEDaS1K_S1L_EUlS1K_E_NS1_11comp_targetILNS1_3genE4ELNS1_11target_archE910ELNS1_3gpuE8ELNS1_3repE0EEENS1_30default_config_static_selectorELNS0_4arch9wavefront6targetE1EEEvSY_.has_indirect_call, 0
	.section	.AMDGPU.csdata,"",@progbits
; Kernel info:
; codeLenInByte = 0
; TotalNumSgprs: 4
; NumVgprs: 0
; ScratchSize: 0
; MemoryBound: 0
; FloatMode: 240
; IeeeMode: 1
; LDSByteSize: 0 bytes/workgroup (compile time only)
; SGPRBlocks: 0
; VGPRBlocks: 0
; NumSGPRsForWavesPerEU: 4
; NumVGPRsForWavesPerEU: 1
; Occupancy: 10
; WaveLimiterHint : 0
; COMPUTE_PGM_RSRC2:SCRATCH_EN: 0
; COMPUTE_PGM_RSRC2:USER_SGPR: 6
; COMPUTE_PGM_RSRC2:TRAP_HANDLER: 0
; COMPUTE_PGM_RSRC2:TGID_X_EN: 1
; COMPUTE_PGM_RSRC2:TGID_Y_EN: 0
; COMPUTE_PGM_RSRC2:TGID_Z_EN: 0
; COMPUTE_PGM_RSRC2:TIDIG_COMP_CNT: 0
	.section	.text._ZN7rocprim17ROCPRIM_400000_NS6detail17trampoline_kernelINS0_13select_configILj256ELj13ELNS0_17block_load_methodE3ELS4_3ELS4_3ELNS0_20block_scan_algorithmE0ELj4294967295EEENS1_25partition_config_selectorILNS1_17partition_subalgoE3EjNS0_10empty_typeEbEEZZNS1_14partition_implILS8_3ELb0ES6_jNS0_17counting_iteratorIjlEEPS9_SE_NS0_5tupleIJPjSE_EEENSF_IJSE_SE_EEES9_SG_JZNS1_25segmented_radix_sort_implINS0_14default_configELb0EPKfPfPKlPlN2at6native12_GLOBAL__N_18offset_tEEE10hipError_tPvRmT1_PNSt15iterator_traitsISY_E10value_typeET2_T3_PNSZ_IS14_E10value_typeET4_jRbjT5_S1A_jjP12ihipStream_tbEUljE_EEESV_SW_SX_S14_S18_S1A_T6_T7_T9_mT8_S1C_bDpT10_ENKUlT_T0_E_clISt17integral_constantIbLb0EES1P_EEDaS1K_S1L_EUlS1K_E_NS1_11comp_targetILNS1_3genE3ELNS1_11target_archE908ELNS1_3gpuE7ELNS1_3repE0EEENS1_30default_config_static_selectorELNS0_4arch9wavefront6targetE1EEEvSY_,"axG",@progbits,_ZN7rocprim17ROCPRIM_400000_NS6detail17trampoline_kernelINS0_13select_configILj256ELj13ELNS0_17block_load_methodE3ELS4_3ELS4_3ELNS0_20block_scan_algorithmE0ELj4294967295EEENS1_25partition_config_selectorILNS1_17partition_subalgoE3EjNS0_10empty_typeEbEEZZNS1_14partition_implILS8_3ELb0ES6_jNS0_17counting_iteratorIjlEEPS9_SE_NS0_5tupleIJPjSE_EEENSF_IJSE_SE_EEES9_SG_JZNS1_25segmented_radix_sort_implINS0_14default_configELb0EPKfPfPKlPlN2at6native12_GLOBAL__N_18offset_tEEE10hipError_tPvRmT1_PNSt15iterator_traitsISY_E10value_typeET2_T3_PNSZ_IS14_E10value_typeET4_jRbjT5_S1A_jjP12ihipStream_tbEUljE_EEESV_SW_SX_S14_S18_S1A_T6_T7_T9_mT8_S1C_bDpT10_ENKUlT_T0_E_clISt17integral_constantIbLb0EES1P_EEDaS1K_S1L_EUlS1K_E_NS1_11comp_targetILNS1_3genE3ELNS1_11target_archE908ELNS1_3gpuE7ELNS1_3repE0EEENS1_30default_config_static_selectorELNS0_4arch9wavefront6targetE1EEEvSY_,comdat
	.globl	_ZN7rocprim17ROCPRIM_400000_NS6detail17trampoline_kernelINS0_13select_configILj256ELj13ELNS0_17block_load_methodE3ELS4_3ELS4_3ELNS0_20block_scan_algorithmE0ELj4294967295EEENS1_25partition_config_selectorILNS1_17partition_subalgoE3EjNS0_10empty_typeEbEEZZNS1_14partition_implILS8_3ELb0ES6_jNS0_17counting_iteratorIjlEEPS9_SE_NS0_5tupleIJPjSE_EEENSF_IJSE_SE_EEES9_SG_JZNS1_25segmented_radix_sort_implINS0_14default_configELb0EPKfPfPKlPlN2at6native12_GLOBAL__N_18offset_tEEE10hipError_tPvRmT1_PNSt15iterator_traitsISY_E10value_typeET2_T3_PNSZ_IS14_E10value_typeET4_jRbjT5_S1A_jjP12ihipStream_tbEUljE_EEESV_SW_SX_S14_S18_S1A_T6_T7_T9_mT8_S1C_bDpT10_ENKUlT_T0_E_clISt17integral_constantIbLb0EES1P_EEDaS1K_S1L_EUlS1K_E_NS1_11comp_targetILNS1_3genE3ELNS1_11target_archE908ELNS1_3gpuE7ELNS1_3repE0EEENS1_30default_config_static_selectorELNS0_4arch9wavefront6targetE1EEEvSY_ ; -- Begin function _ZN7rocprim17ROCPRIM_400000_NS6detail17trampoline_kernelINS0_13select_configILj256ELj13ELNS0_17block_load_methodE3ELS4_3ELS4_3ELNS0_20block_scan_algorithmE0ELj4294967295EEENS1_25partition_config_selectorILNS1_17partition_subalgoE3EjNS0_10empty_typeEbEEZZNS1_14partition_implILS8_3ELb0ES6_jNS0_17counting_iteratorIjlEEPS9_SE_NS0_5tupleIJPjSE_EEENSF_IJSE_SE_EEES9_SG_JZNS1_25segmented_radix_sort_implINS0_14default_configELb0EPKfPfPKlPlN2at6native12_GLOBAL__N_18offset_tEEE10hipError_tPvRmT1_PNSt15iterator_traitsISY_E10value_typeET2_T3_PNSZ_IS14_E10value_typeET4_jRbjT5_S1A_jjP12ihipStream_tbEUljE_EEESV_SW_SX_S14_S18_S1A_T6_T7_T9_mT8_S1C_bDpT10_ENKUlT_T0_E_clISt17integral_constantIbLb0EES1P_EEDaS1K_S1L_EUlS1K_E_NS1_11comp_targetILNS1_3genE3ELNS1_11target_archE908ELNS1_3gpuE7ELNS1_3repE0EEENS1_30default_config_static_selectorELNS0_4arch9wavefront6targetE1EEEvSY_
	.p2align	8
	.type	_ZN7rocprim17ROCPRIM_400000_NS6detail17trampoline_kernelINS0_13select_configILj256ELj13ELNS0_17block_load_methodE3ELS4_3ELS4_3ELNS0_20block_scan_algorithmE0ELj4294967295EEENS1_25partition_config_selectorILNS1_17partition_subalgoE3EjNS0_10empty_typeEbEEZZNS1_14partition_implILS8_3ELb0ES6_jNS0_17counting_iteratorIjlEEPS9_SE_NS0_5tupleIJPjSE_EEENSF_IJSE_SE_EEES9_SG_JZNS1_25segmented_radix_sort_implINS0_14default_configELb0EPKfPfPKlPlN2at6native12_GLOBAL__N_18offset_tEEE10hipError_tPvRmT1_PNSt15iterator_traitsISY_E10value_typeET2_T3_PNSZ_IS14_E10value_typeET4_jRbjT5_S1A_jjP12ihipStream_tbEUljE_EEESV_SW_SX_S14_S18_S1A_T6_T7_T9_mT8_S1C_bDpT10_ENKUlT_T0_E_clISt17integral_constantIbLb0EES1P_EEDaS1K_S1L_EUlS1K_E_NS1_11comp_targetILNS1_3genE3ELNS1_11target_archE908ELNS1_3gpuE7ELNS1_3repE0EEENS1_30default_config_static_selectorELNS0_4arch9wavefront6targetE1EEEvSY_,@function
_ZN7rocprim17ROCPRIM_400000_NS6detail17trampoline_kernelINS0_13select_configILj256ELj13ELNS0_17block_load_methodE3ELS4_3ELS4_3ELNS0_20block_scan_algorithmE0ELj4294967295EEENS1_25partition_config_selectorILNS1_17partition_subalgoE3EjNS0_10empty_typeEbEEZZNS1_14partition_implILS8_3ELb0ES6_jNS0_17counting_iteratorIjlEEPS9_SE_NS0_5tupleIJPjSE_EEENSF_IJSE_SE_EEES9_SG_JZNS1_25segmented_radix_sort_implINS0_14default_configELb0EPKfPfPKlPlN2at6native12_GLOBAL__N_18offset_tEEE10hipError_tPvRmT1_PNSt15iterator_traitsISY_E10value_typeET2_T3_PNSZ_IS14_E10value_typeET4_jRbjT5_S1A_jjP12ihipStream_tbEUljE_EEESV_SW_SX_S14_S18_S1A_T6_T7_T9_mT8_S1C_bDpT10_ENKUlT_T0_E_clISt17integral_constantIbLb0EES1P_EEDaS1K_S1L_EUlS1K_E_NS1_11comp_targetILNS1_3genE3ELNS1_11target_archE908ELNS1_3gpuE7ELNS1_3repE0EEENS1_30default_config_static_selectorELNS0_4arch9wavefront6targetE1EEEvSY_: ; @_ZN7rocprim17ROCPRIM_400000_NS6detail17trampoline_kernelINS0_13select_configILj256ELj13ELNS0_17block_load_methodE3ELS4_3ELS4_3ELNS0_20block_scan_algorithmE0ELj4294967295EEENS1_25partition_config_selectorILNS1_17partition_subalgoE3EjNS0_10empty_typeEbEEZZNS1_14partition_implILS8_3ELb0ES6_jNS0_17counting_iteratorIjlEEPS9_SE_NS0_5tupleIJPjSE_EEENSF_IJSE_SE_EEES9_SG_JZNS1_25segmented_radix_sort_implINS0_14default_configELb0EPKfPfPKlPlN2at6native12_GLOBAL__N_18offset_tEEE10hipError_tPvRmT1_PNSt15iterator_traitsISY_E10value_typeET2_T3_PNSZ_IS14_E10value_typeET4_jRbjT5_S1A_jjP12ihipStream_tbEUljE_EEESV_SW_SX_S14_S18_S1A_T6_T7_T9_mT8_S1C_bDpT10_ENKUlT_T0_E_clISt17integral_constantIbLb0EES1P_EEDaS1K_S1L_EUlS1K_E_NS1_11comp_targetILNS1_3genE3ELNS1_11target_archE908ELNS1_3gpuE7ELNS1_3repE0EEENS1_30default_config_static_selectorELNS0_4arch9wavefront6targetE1EEEvSY_
; %bb.0:
	.section	.rodata,"a",@progbits
	.p2align	6, 0x0
	.amdhsa_kernel _ZN7rocprim17ROCPRIM_400000_NS6detail17trampoline_kernelINS0_13select_configILj256ELj13ELNS0_17block_load_methodE3ELS4_3ELS4_3ELNS0_20block_scan_algorithmE0ELj4294967295EEENS1_25partition_config_selectorILNS1_17partition_subalgoE3EjNS0_10empty_typeEbEEZZNS1_14partition_implILS8_3ELb0ES6_jNS0_17counting_iteratorIjlEEPS9_SE_NS0_5tupleIJPjSE_EEENSF_IJSE_SE_EEES9_SG_JZNS1_25segmented_radix_sort_implINS0_14default_configELb0EPKfPfPKlPlN2at6native12_GLOBAL__N_18offset_tEEE10hipError_tPvRmT1_PNSt15iterator_traitsISY_E10value_typeET2_T3_PNSZ_IS14_E10value_typeET4_jRbjT5_S1A_jjP12ihipStream_tbEUljE_EEESV_SW_SX_S14_S18_S1A_T6_T7_T9_mT8_S1C_bDpT10_ENKUlT_T0_E_clISt17integral_constantIbLb0EES1P_EEDaS1K_S1L_EUlS1K_E_NS1_11comp_targetILNS1_3genE3ELNS1_11target_archE908ELNS1_3gpuE7ELNS1_3repE0EEENS1_30default_config_static_selectorELNS0_4arch9wavefront6targetE1EEEvSY_
		.amdhsa_group_segment_fixed_size 0
		.amdhsa_private_segment_fixed_size 0
		.amdhsa_kernarg_size 144
		.amdhsa_user_sgpr_count 6
		.amdhsa_user_sgpr_private_segment_buffer 1
		.amdhsa_user_sgpr_dispatch_ptr 0
		.amdhsa_user_sgpr_queue_ptr 0
		.amdhsa_user_sgpr_kernarg_segment_ptr 1
		.amdhsa_user_sgpr_dispatch_id 0
		.amdhsa_user_sgpr_flat_scratch_init 0
		.amdhsa_user_sgpr_private_segment_size 0
		.amdhsa_uses_dynamic_stack 0
		.amdhsa_system_sgpr_private_segment_wavefront_offset 0
		.amdhsa_system_sgpr_workgroup_id_x 1
		.amdhsa_system_sgpr_workgroup_id_y 0
		.amdhsa_system_sgpr_workgroup_id_z 0
		.amdhsa_system_sgpr_workgroup_info 0
		.amdhsa_system_vgpr_workitem_id 0
		.amdhsa_next_free_vgpr 1
		.amdhsa_next_free_sgpr 0
		.amdhsa_reserve_vcc 0
		.amdhsa_reserve_flat_scratch 0
		.amdhsa_float_round_mode_32 0
		.amdhsa_float_round_mode_16_64 0
		.amdhsa_float_denorm_mode_32 3
		.amdhsa_float_denorm_mode_16_64 3
		.amdhsa_dx10_clamp 1
		.amdhsa_ieee_mode 1
		.amdhsa_fp16_overflow 0
		.amdhsa_exception_fp_ieee_invalid_op 0
		.amdhsa_exception_fp_denorm_src 0
		.amdhsa_exception_fp_ieee_div_zero 0
		.amdhsa_exception_fp_ieee_overflow 0
		.amdhsa_exception_fp_ieee_underflow 0
		.amdhsa_exception_fp_ieee_inexact 0
		.amdhsa_exception_int_div_zero 0
	.end_amdhsa_kernel
	.section	.text._ZN7rocprim17ROCPRIM_400000_NS6detail17trampoline_kernelINS0_13select_configILj256ELj13ELNS0_17block_load_methodE3ELS4_3ELS4_3ELNS0_20block_scan_algorithmE0ELj4294967295EEENS1_25partition_config_selectorILNS1_17partition_subalgoE3EjNS0_10empty_typeEbEEZZNS1_14partition_implILS8_3ELb0ES6_jNS0_17counting_iteratorIjlEEPS9_SE_NS0_5tupleIJPjSE_EEENSF_IJSE_SE_EEES9_SG_JZNS1_25segmented_radix_sort_implINS0_14default_configELb0EPKfPfPKlPlN2at6native12_GLOBAL__N_18offset_tEEE10hipError_tPvRmT1_PNSt15iterator_traitsISY_E10value_typeET2_T3_PNSZ_IS14_E10value_typeET4_jRbjT5_S1A_jjP12ihipStream_tbEUljE_EEESV_SW_SX_S14_S18_S1A_T6_T7_T9_mT8_S1C_bDpT10_ENKUlT_T0_E_clISt17integral_constantIbLb0EES1P_EEDaS1K_S1L_EUlS1K_E_NS1_11comp_targetILNS1_3genE3ELNS1_11target_archE908ELNS1_3gpuE7ELNS1_3repE0EEENS1_30default_config_static_selectorELNS0_4arch9wavefront6targetE1EEEvSY_,"axG",@progbits,_ZN7rocprim17ROCPRIM_400000_NS6detail17trampoline_kernelINS0_13select_configILj256ELj13ELNS0_17block_load_methodE3ELS4_3ELS4_3ELNS0_20block_scan_algorithmE0ELj4294967295EEENS1_25partition_config_selectorILNS1_17partition_subalgoE3EjNS0_10empty_typeEbEEZZNS1_14partition_implILS8_3ELb0ES6_jNS0_17counting_iteratorIjlEEPS9_SE_NS0_5tupleIJPjSE_EEENSF_IJSE_SE_EEES9_SG_JZNS1_25segmented_radix_sort_implINS0_14default_configELb0EPKfPfPKlPlN2at6native12_GLOBAL__N_18offset_tEEE10hipError_tPvRmT1_PNSt15iterator_traitsISY_E10value_typeET2_T3_PNSZ_IS14_E10value_typeET4_jRbjT5_S1A_jjP12ihipStream_tbEUljE_EEESV_SW_SX_S14_S18_S1A_T6_T7_T9_mT8_S1C_bDpT10_ENKUlT_T0_E_clISt17integral_constantIbLb0EES1P_EEDaS1K_S1L_EUlS1K_E_NS1_11comp_targetILNS1_3genE3ELNS1_11target_archE908ELNS1_3gpuE7ELNS1_3repE0EEENS1_30default_config_static_selectorELNS0_4arch9wavefront6targetE1EEEvSY_,comdat
.Lfunc_end1399:
	.size	_ZN7rocprim17ROCPRIM_400000_NS6detail17trampoline_kernelINS0_13select_configILj256ELj13ELNS0_17block_load_methodE3ELS4_3ELS4_3ELNS0_20block_scan_algorithmE0ELj4294967295EEENS1_25partition_config_selectorILNS1_17partition_subalgoE3EjNS0_10empty_typeEbEEZZNS1_14partition_implILS8_3ELb0ES6_jNS0_17counting_iteratorIjlEEPS9_SE_NS0_5tupleIJPjSE_EEENSF_IJSE_SE_EEES9_SG_JZNS1_25segmented_radix_sort_implINS0_14default_configELb0EPKfPfPKlPlN2at6native12_GLOBAL__N_18offset_tEEE10hipError_tPvRmT1_PNSt15iterator_traitsISY_E10value_typeET2_T3_PNSZ_IS14_E10value_typeET4_jRbjT5_S1A_jjP12ihipStream_tbEUljE_EEESV_SW_SX_S14_S18_S1A_T6_T7_T9_mT8_S1C_bDpT10_ENKUlT_T0_E_clISt17integral_constantIbLb0EES1P_EEDaS1K_S1L_EUlS1K_E_NS1_11comp_targetILNS1_3genE3ELNS1_11target_archE908ELNS1_3gpuE7ELNS1_3repE0EEENS1_30default_config_static_selectorELNS0_4arch9wavefront6targetE1EEEvSY_, .Lfunc_end1399-_ZN7rocprim17ROCPRIM_400000_NS6detail17trampoline_kernelINS0_13select_configILj256ELj13ELNS0_17block_load_methodE3ELS4_3ELS4_3ELNS0_20block_scan_algorithmE0ELj4294967295EEENS1_25partition_config_selectorILNS1_17partition_subalgoE3EjNS0_10empty_typeEbEEZZNS1_14partition_implILS8_3ELb0ES6_jNS0_17counting_iteratorIjlEEPS9_SE_NS0_5tupleIJPjSE_EEENSF_IJSE_SE_EEES9_SG_JZNS1_25segmented_radix_sort_implINS0_14default_configELb0EPKfPfPKlPlN2at6native12_GLOBAL__N_18offset_tEEE10hipError_tPvRmT1_PNSt15iterator_traitsISY_E10value_typeET2_T3_PNSZ_IS14_E10value_typeET4_jRbjT5_S1A_jjP12ihipStream_tbEUljE_EEESV_SW_SX_S14_S18_S1A_T6_T7_T9_mT8_S1C_bDpT10_ENKUlT_T0_E_clISt17integral_constantIbLb0EES1P_EEDaS1K_S1L_EUlS1K_E_NS1_11comp_targetILNS1_3genE3ELNS1_11target_archE908ELNS1_3gpuE7ELNS1_3repE0EEENS1_30default_config_static_selectorELNS0_4arch9wavefront6targetE1EEEvSY_
                                        ; -- End function
	.set _ZN7rocprim17ROCPRIM_400000_NS6detail17trampoline_kernelINS0_13select_configILj256ELj13ELNS0_17block_load_methodE3ELS4_3ELS4_3ELNS0_20block_scan_algorithmE0ELj4294967295EEENS1_25partition_config_selectorILNS1_17partition_subalgoE3EjNS0_10empty_typeEbEEZZNS1_14partition_implILS8_3ELb0ES6_jNS0_17counting_iteratorIjlEEPS9_SE_NS0_5tupleIJPjSE_EEENSF_IJSE_SE_EEES9_SG_JZNS1_25segmented_radix_sort_implINS0_14default_configELb0EPKfPfPKlPlN2at6native12_GLOBAL__N_18offset_tEEE10hipError_tPvRmT1_PNSt15iterator_traitsISY_E10value_typeET2_T3_PNSZ_IS14_E10value_typeET4_jRbjT5_S1A_jjP12ihipStream_tbEUljE_EEESV_SW_SX_S14_S18_S1A_T6_T7_T9_mT8_S1C_bDpT10_ENKUlT_T0_E_clISt17integral_constantIbLb0EES1P_EEDaS1K_S1L_EUlS1K_E_NS1_11comp_targetILNS1_3genE3ELNS1_11target_archE908ELNS1_3gpuE7ELNS1_3repE0EEENS1_30default_config_static_selectorELNS0_4arch9wavefront6targetE1EEEvSY_.num_vgpr, 0
	.set _ZN7rocprim17ROCPRIM_400000_NS6detail17trampoline_kernelINS0_13select_configILj256ELj13ELNS0_17block_load_methodE3ELS4_3ELS4_3ELNS0_20block_scan_algorithmE0ELj4294967295EEENS1_25partition_config_selectorILNS1_17partition_subalgoE3EjNS0_10empty_typeEbEEZZNS1_14partition_implILS8_3ELb0ES6_jNS0_17counting_iteratorIjlEEPS9_SE_NS0_5tupleIJPjSE_EEENSF_IJSE_SE_EEES9_SG_JZNS1_25segmented_radix_sort_implINS0_14default_configELb0EPKfPfPKlPlN2at6native12_GLOBAL__N_18offset_tEEE10hipError_tPvRmT1_PNSt15iterator_traitsISY_E10value_typeET2_T3_PNSZ_IS14_E10value_typeET4_jRbjT5_S1A_jjP12ihipStream_tbEUljE_EEESV_SW_SX_S14_S18_S1A_T6_T7_T9_mT8_S1C_bDpT10_ENKUlT_T0_E_clISt17integral_constantIbLb0EES1P_EEDaS1K_S1L_EUlS1K_E_NS1_11comp_targetILNS1_3genE3ELNS1_11target_archE908ELNS1_3gpuE7ELNS1_3repE0EEENS1_30default_config_static_selectorELNS0_4arch9wavefront6targetE1EEEvSY_.num_agpr, 0
	.set _ZN7rocprim17ROCPRIM_400000_NS6detail17trampoline_kernelINS0_13select_configILj256ELj13ELNS0_17block_load_methodE3ELS4_3ELS4_3ELNS0_20block_scan_algorithmE0ELj4294967295EEENS1_25partition_config_selectorILNS1_17partition_subalgoE3EjNS0_10empty_typeEbEEZZNS1_14partition_implILS8_3ELb0ES6_jNS0_17counting_iteratorIjlEEPS9_SE_NS0_5tupleIJPjSE_EEENSF_IJSE_SE_EEES9_SG_JZNS1_25segmented_radix_sort_implINS0_14default_configELb0EPKfPfPKlPlN2at6native12_GLOBAL__N_18offset_tEEE10hipError_tPvRmT1_PNSt15iterator_traitsISY_E10value_typeET2_T3_PNSZ_IS14_E10value_typeET4_jRbjT5_S1A_jjP12ihipStream_tbEUljE_EEESV_SW_SX_S14_S18_S1A_T6_T7_T9_mT8_S1C_bDpT10_ENKUlT_T0_E_clISt17integral_constantIbLb0EES1P_EEDaS1K_S1L_EUlS1K_E_NS1_11comp_targetILNS1_3genE3ELNS1_11target_archE908ELNS1_3gpuE7ELNS1_3repE0EEENS1_30default_config_static_selectorELNS0_4arch9wavefront6targetE1EEEvSY_.numbered_sgpr, 0
	.set _ZN7rocprim17ROCPRIM_400000_NS6detail17trampoline_kernelINS0_13select_configILj256ELj13ELNS0_17block_load_methodE3ELS4_3ELS4_3ELNS0_20block_scan_algorithmE0ELj4294967295EEENS1_25partition_config_selectorILNS1_17partition_subalgoE3EjNS0_10empty_typeEbEEZZNS1_14partition_implILS8_3ELb0ES6_jNS0_17counting_iteratorIjlEEPS9_SE_NS0_5tupleIJPjSE_EEENSF_IJSE_SE_EEES9_SG_JZNS1_25segmented_radix_sort_implINS0_14default_configELb0EPKfPfPKlPlN2at6native12_GLOBAL__N_18offset_tEEE10hipError_tPvRmT1_PNSt15iterator_traitsISY_E10value_typeET2_T3_PNSZ_IS14_E10value_typeET4_jRbjT5_S1A_jjP12ihipStream_tbEUljE_EEESV_SW_SX_S14_S18_S1A_T6_T7_T9_mT8_S1C_bDpT10_ENKUlT_T0_E_clISt17integral_constantIbLb0EES1P_EEDaS1K_S1L_EUlS1K_E_NS1_11comp_targetILNS1_3genE3ELNS1_11target_archE908ELNS1_3gpuE7ELNS1_3repE0EEENS1_30default_config_static_selectorELNS0_4arch9wavefront6targetE1EEEvSY_.num_named_barrier, 0
	.set _ZN7rocprim17ROCPRIM_400000_NS6detail17trampoline_kernelINS0_13select_configILj256ELj13ELNS0_17block_load_methodE3ELS4_3ELS4_3ELNS0_20block_scan_algorithmE0ELj4294967295EEENS1_25partition_config_selectorILNS1_17partition_subalgoE3EjNS0_10empty_typeEbEEZZNS1_14partition_implILS8_3ELb0ES6_jNS0_17counting_iteratorIjlEEPS9_SE_NS0_5tupleIJPjSE_EEENSF_IJSE_SE_EEES9_SG_JZNS1_25segmented_radix_sort_implINS0_14default_configELb0EPKfPfPKlPlN2at6native12_GLOBAL__N_18offset_tEEE10hipError_tPvRmT1_PNSt15iterator_traitsISY_E10value_typeET2_T3_PNSZ_IS14_E10value_typeET4_jRbjT5_S1A_jjP12ihipStream_tbEUljE_EEESV_SW_SX_S14_S18_S1A_T6_T7_T9_mT8_S1C_bDpT10_ENKUlT_T0_E_clISt17integral_constantIbLb0EES1P_EEDaS1K_S1L_EUlS1K_E_NS1_11comp_targetILNS1_3genE3ELNS1_11target_archE908ELNS1_3gpuE7ELNS1_3repE0EEENS1_30default_config_static_selectorELNS0_4arch9wavefront6targetE1EEEvSY_.private_seg_size, 0
	.set _ZN7rocprim17ROCPRIM_400000_NS6detail17trampoline_kernelINS0_13select_configILj256ELj13ELNS0_17block_load_methodE3ELS4_3ELS4_3ELNS0_20block_scan_algorithmE0ELj4294967295EEENS1_25partition_config_selectorILNS1_17partition_subalgoE3EjNS0_10empty_typeEbEEZZNS1_14partition_implILS8_3ELb0ES6_jNS0_17counting_iteratorIjlEEPS9_SE_NS0_5tupleIJPjSE_EEENSF_IJSE_SE_EEES9_SG_JZNS1_25segmented_radix_sort_implINS0_14default_configELb0EPKfPfPKlPlN2at6native12_GLOBAL__N_18offset_tEEE10hipError_tPvRmT1_PNSt15iterator_traitsISY_E10value_typeET2_T3_PNSZ_IS14_E10value_typeET4_jRbjT5_S1A_jjP12ihipStream_tbEUljE_EEESV_SW_SX_S14_S18_S1A_T6_T7_T9_mT8_S1C_bDpT10_ENKUlT_T0_E_clISt17integral_constantIbLb0EES1P_EEDaS1K_S1L_EUlS1K_E_NS1_11comp_targetILNS1_3genE3ELNS1_11target_archE908ELNS1_3gpuE7ELNS1_3repE0EEENS1_30default_config_static_selectorELNS0_4arch9wavefront6targetE1EEEvSY_.uses_vcc, 0
	.set _ZN7rocprim17ROCPRIM_400000_NS6detail17trampoline_kernelINS0_13select_configILj256ELj13ELNS0_17block_load_methodE3ELS4_3ELS4_3ELNS0_20block_scan_algorithmE0ELj4294967295EEENS1_25partition_config_selectorILNS1_17partition_subalgoE3EjNS0_10empty_typeEbEEZZNS1_14partition_implILS8_3ELb0ES6_jNS0_17counting_iteratorIjlEEPS9_SE_NS0_5tupleIJPjSE_EEENSF_IJSE_SE_EEES9_SG_JZNS1_25segmented_radix_sort_implINS0_14default_configELb0EPKfPfPKlPlN2at6native12_GLOBAL__N_18offset_tEEE10hipError_tPvRmT1_PNSt15iterator_traitsISY_E10value_typeET2_T3_PNSZ_IS14_E10value_typeET4_jRbjT5_S1A_jjP12ihipStream_tbEUljE_EEESV_SW_SX_S14_S18_S1A_T6_T7_T9_mT8_S1C_bDpT10_ENKUlT_T0_E_clISt17integral_constantIbLb0EES1P_EEDaS1K_S1L_EUlS1K_E_NS1_11comp_targetILNS1_3genE3ELNS1_11target_archE908ELNS1_3gpuE7ELNS1_3repE0EEENS1_30default_config_static_selectorELNS0_4arch9wavefront6targetE1EEEvSY_.uses_flat_scratch, 0
	.set _ZN7rocprim17ROCPRIM_400000_NS6detail17trampoline_kernelINS0_13select_configILj256ELj13ELNS0_17block_load_methodE3ELS4_3ELS4_3ELNS0_20block_scan_algorithmE0ELj4294967295EEENS1_25partition_config_selectorILNS1_17partition_subalgoE3EjNS0_10empty_typeEbEEZZNS1_14partition_implILS8_3ELb0ES6_jNS0_17counting_iteratorIjlEEPS9_SE_NS0_5tupleIJPjSE_EEENSF_IJSE_SE_EEES9_SG_JZNS1_25segmented_radix_sort_implINS0_14default_configELb0EPKfPfPKlPlN2at6native12_GLOBAL__N_18offset_tEEE10hipError_tPvRmT1_PNSt15iterator_traitsISY_E10value_typeET2_T3_PNSZ_IS14_E10value_typeET4_jRbjT5_S1A_jjP12ihipStream_tbEUljE_EEESV_SW_SX_S14_S18_S1A_T6_T7_T9_mT8_S1C_bDpT10_ENKUlT_T0_E_clISt17integral_constantIbLb0EES1P_EEDaS1K_S1L_EUlS1K_E_NS1_11comp_targetILNS1_3genE3ELNS1_11target_archE908ELNS1_3gpuE7ELNS1_3repE0EEENS1_30default_config_static_selectorELNS0_4arch9wavefront6targetE1EEEvSY_.has_dyn_sized_stack, 0
	.set _ZN7rocprim17ROCPRIM_400000_NS6detail17trampoline_kernelINS0_13select_configILj256ELj13ELNS0_17block_load_methodE3ELS4_3ELS4_3ELNS0_20block_scan_algorithmE0ELj4294967295EEENS1_25partition_config_selectorILNS1_17partition_subalgoE3EjNS0_10empty_typeEbEEZZNS1_14partition_implILS8_3ELb0ES6_jNS0_17counting_iteratorIjlEEPS9_SE_NS0_5tupleIJPjSE_EEENSF_IJSE_SE_EEES9_SG_JZNS1_25segmented_radix_sort_implINS0_14default_configELb0EPKfPfPKlPlN2at6native12_GLOBAL__N_18offset_tEEE10hipError_tPvRmT1_PNSt15iterator_traitsISY_E10value_typeET2_T3_PNSZ_IS14_E10value_typeET4_jRbjT5_S1A_jjP12ihipStream_tbEUljE_EEESV_SW_SX_S14_S18_S1A_T6_T7_T9_mT8_S1C_bDpT10_ENKUlT_T0_E_clISt17integral_constantIbLb0EES1P_EEDaS1K_S1L_EUlS1K_E_NS1_11comp_targetILNS1_3genE3ELNS1_11target_archE908ELNS1_3gpuE7ELNS1_3repE0EEENS1_30default_config_static_selectorELNS0_4arch9wavefront6targetE1EEEvSY_.has_recursion, 0
	.set _ZN7rocprim17ROCPRIM_400000_NS6detail17trampoline_kernelINS0_13select_configILj256ELj13ELNS0_17block_load_methodE3ELS4_3ELS4_3ELNS0_20block_scan_algorithmE0ELj4294967295EEENS1_25partition_config_selectorILNS1_17partition_subalgoE3EjNS0_10empty_typeEbEEZZNS1_14partition_implILS8_3ELb0ES6_jNS0_17counting_iteratorIjlEEPS9_SE_NS0_5tupleIJPjSE_EEENSF_IJSE_SE_EEES9_SG_JZNS1_25segmented_radix_sort_implINS0_14default_configELb0EPKfPfPKlPlN2at6native12_GLOBAL__N_18offset_tEEE10hipError_tPvRmT1_PNSt15iterator_traitsISY_E10value_typeET2_T3_PNSZ_IS14_E10value_typeET4_jRbjT5_S1A_jjP12ihipStream_tbEUljE_EEESV_SW_SX_S14_S18_S1A_T6_T7_T9_mT8_S1C_bDpT10_ENKUlT_T0_E_clISt17integral_constantIbLb0EES1P_EEDaS1K_S1L_EUlS1K_E_NS1_11comp_targetILNS1_3genE3ELNS1_11target_archE908ELNS1_3gpuE7ELNS1_3repE0EEENS1_30default_config_static_selectorELNS0_4arch9wavefront6targetE1EEEvSY_.has_indirect_call, 0
	.section	.AMDGPU.csdata,"",@progbits
; Kernel info:
; codeLenInByte = 0
; TotalNumSgprs: 4
; NumVgprs: 0
; ScratchSize: 0
; MemoryBound: 0
; FloatMode: 240
; IeeeMode: 1
; LDSByteSize: 0 bytes/workgroup (compile time only)
; SGPRBlocks: 0
; VGPRBlocks: 0
; NumSGPRsForWavesPerEU: 4
; NumVGPRsForWavesPerEU: 1
; Occupancy: 10
; WaveLimiterHint : 0
; COMPUTE_PGM_RSRC2:SCRATCH_EN: 0
; COMPUTE_PGM_RSRC2:USER_SGPR: 6
; COMPUTE_PGM_RSRC2:TRAP_HANDLER: 0
; COMPUTE_PGM_RSRC2:TGID_X_EN: 1
; COMPUTE_PGM_RSRC2:TGID_Y_EN: 0
; COMPUTE_PGM_RSRC2:TGID_Z_EN: 0
; COMPUTE_PGM_RSRC2:TIDIG_COMP_CNT: 0
	.section	.text._ZN7rocprim17ROCPRIM_400000_NS6detail17trampoline_kernelINS0_13select_configILj256ELj13ELNS0_17block_load_methodE3ELS4_3ELS4_3ELNS0_20block_scan_algorithmE0ELj4294967295EEENS1_25partition_config_selectorILNS1_17partition_subalgoE3EjNS0_10empty_typeEbEEZZNS1_14partition_implILS8_3ELb0ES6_jNS0_17counting_iteratorIjlEEPS9_SE_NS0_5tupleIJPjSE_EEENSF_IJSE_SE_EEES9_SG_JZNS1_25segmented_radix_sort_implINS0_14default_configELb0EPKfPfPKlPlN2at6native12_GLOBAL__N_18offset_tEEE10hipError_tPvRmT1_PNSt15iterator_traitsISY_E10value_typeET2_T3_PNSZ_IS14_E10value_typeET4_jRbjT5_S1A_jjP12ihipStream_tbEUljE_EEESV_SW_SX_S14_S18_S1A_T6_T7_T9_mT8_S1C_bDpT10_ENKUlT_T0_E_clISt17integral_constantIbLb0EES1P_EEDaS1K_S1L_EUlS1K_E_NS1_11comp_targetILNS1_3genE2ELNS1_11target_archE906ELNS1_3gpuE6ELNS1_3repE0EEENS1_30default_config_static_selectorELNS0_4arch9wavefront6targetE1EEEvSY_,"axG",@progbits,_ZN7rocprim17ROCPRIM_400000_NS6detail17trampoline_kernelINS0_13select_configILj256ELj13ELNS0_17block_load_methodE3ELS4_3ELS4_3ELNS0_20block_scan_algorithmE0ELj4294967295EEENS1_25partition_config_selectorILNS1_17partition_subalgoE3EjNS0_10empty_typeEbEEZZNS1_14partition_implILS8_3ELb0ES6_jNS0_17counting_iteratorIjlEEPS9_SE_NS0_5tupleIJPjSE_EEENSF_IJSE_SE_EEES9_SG_JZNS1_25segmented_radix_sort_implINS0_14default_configELb0EPKfPfPKlPlN2at6native12_GLOBAL__N_18offset_tEEE10hipError_tPvRmT1_PNSt15iterator_traitsISY_E10value_typeET2_T3_PNSZ_IS14_E10value_typeET4_jRbjT5_S1A_jjP12ihipStream_tbEUljE_EEESV_SW_SX_S14_S18_S1A_T6_T7_T9_mT8_S1C_bDpT10_ENKUlT_T0_E_clISt17integral_constantIbLb0EES1P_EEDaS1K_S1L_EUlS1K_E_NS1_11comp_targetILNS1_3genE2ELNS1_11target_archE906ELNS1_3gpuE6ELNS1_3repE0EEENS1_30default_config_static_selectorELNS0_4arch9wavefront6targetE1EEEvSY_,comdat
	.globl	_ZN7rocprim17ROCPRIM_400000_NS6detail17trampoline_kernelINS0_13select_configILj256ELj13ELNS0_17block_load_methodE3ELS4_3ELS4_3ELNS0_20block_scan_algorithmE0ELj4294967295EEENS1_25partition_config_selectorILNS1_17partition_subalgoE3EjNS0_10empty_typeEbEEZZNS1_14partition_implILS8_3ELb0ES6_jNS0_17counting_iteratorIjlEEPS9_SE_NS0_5tupleIJPjSE_EEENSF_IJSE_SE_EEES9_SG_JZNS1_25segmented_radix_sort_implINS0_14default_configELb0EPKfPfPKlPlN2at6native12_GLOBAL__N_18offset_tEEE10hipError_tPvRmT1_PNSt15iterator_traitsISY_E10value_typeET2_T3_PNSZ_IS14_E10value_typeET4_jRbjT5_S1A_jjP12ihipStream_tbEUljE_EEESV_SW_SX_S14_S18_S1A_T6_T7_T9_mT8_S1C_bDpT10_ENKUlT_T0_E_clISt17integral_constantIbLb0EES1P_EEDaS1K_S1L_EUlS1K_E_NS1_11comp_targetILNS1_3genE2ELNS1_11target_archE906ELNS1_3gpuE6ELNS1_3repE0EEENS1_30default_config_static_selectorELNS0_4arch9wavefront6targetE1EEEvSY_ ; -- Begin function _ZN7rocprim17ROCPRIM_400000_NS6detail17trampoline_kernelINS0_13select_configILj256ELj13ELNS0_17block_load_methodE3ELS4_3ELS4_3ELNS0_20block_scan_algorithmE0ELj4294967295EEENS1_25partition_config_selectorILNS1_17partition_subalgoE3EjNS0_10empty_typeEbEEZZNS1_14partition_implILS8_3ELb0ES6_jNS0_17counting_iteratorIjlEEPS9_SE_NS0_5tupleIJPjSE_EEENSF_IJSE_SE_EEES9_SG_JZNS1_25segmented_radix_sort_implINS0_14default_configELb0EPKfPfPKlPlN2at6native12_GLOBAL__N_18offset_tEEE10hipError_tPvRmT1_PNSt15iterator_traitsISY_E10value_typeET2_T3_PNSZ_IS14_E10value_typeET4_jRbjT5_S1A_jjP12ihipStream_tbEUljE_EEESV_SW_SX_S14_S18_S1A_T6_T7_T9_mT8_S1C_bDpT10_ENKUlT_T0_E_clISt17integral_constantIbLb0EES1P_EEDaS1K_S1L_EUlS1K_E_NS1_11comp_targetILNS1_3genE2ELNS1_11target_archE906ELNS1_3gpuE6ELNS1_3repE0EEENS1_30default_config_static_selectorELNS0_4arch9wavefront6targetE1EEEvSY_
	.p2align	8
	.type	_ZN7rocprim17ROCPRIM_400000_NS6detail17trampoline_kernelINS0_13select_configILj256ELj13ELNS0_17block_load_methodE3ELS4_3ELS4_3ELNS0_20block_scan_algorithmE0ELj4294967295EEENS1_25partition_config_selectorILNS1_17partition_subalgoE3EjNS0_10empty_typeEbEEZZNS1_14partition_implILS8_3ELb0ES6_jNS0_17counting_iteratorIjlEEPS9_SE_NS0_5tupleIJPjSE_EEENSF_IJSE_SE_EEES9_SG_JZNS1_25segmented_radix_sort_implINS0_14default_configELb0EPKfPfPKlPlN2at6native12_GLOBAL__N_18offset_tEEE10hipError_tPvRmT1_PNSt15iterator_traitsISY_E10value_typeET2_T3_PNSZ_IS14_E10value_typeET4_jRbjT5_S1A_jjP12ihipStream_tbEUljE_EEESV_SW_SX_S14_S18_S1A_T6_T7_T9_mT8_S1C_bDpT10_ENKUlT_T0_E_clISt17integral_constantIbLb0EES1P_EEDaS1K_S1L_EUlS1K_E_NS1_11comp_targetILNS1_3genE2ELNS1_11target_archE906ELNS1_3gpuE6ELNS1_3repE0EEENS1_30default_config_static_selectorELNS0_4arch9wavefront6targetE1EEEvSY_,@function
_ZN7rocprim17ROCPRIM_400000_NS6detail17trampoline_kernelINS0_13select_configILj256ELj13ELNS0_17block_load_methodE3ELS4_3ELS4_3ELNS0_20block_scan_algorithmE0ELj4294967295EEENS1_25partition_config_selectorILNS1_17partition_subalgoE3EjNS0_10empty_typeEbEEZZNS1_14partition_implILS8_3ELb0ES6_jNS0_17counting_iteratorIjlEEPS9_SE_NS0_5tupleIJPjSE_EEENSF_IJSE_SE_EEES9_SG_JZNS1_25segmented_radix_sort_implINS0_14default_configELb0EPKfPfPKlPlN2at6native12_GLOBAL__N_18offset_tEEE10hipError_tPvRmT1_PNSt15iterator_traitsISY_E10value_typeET2_T3_PNSZ_IS14_E10value_typeET4_jRbjT5_S1A_jjP12ihipStream_tbEUljE_EEESV_SW_SX_S14_S18_S1A_T6_T7_T9_mT8_S1C_bDpT10_ENKUlT_T0_E_clISt17integral_constantIbLb0EES1P_EEDaS1K_S1L_EUlS1K_E_NS1_11comp_targetILNS1_3genE2ELNS1_11target_archE906ELNS1_3gpuE6ELNS1_3repE0EEENS1_30default_config_static_selectorELNS0_4arch9wavefront6targetE1EEEvSY_: ; @_ZN7rocprim17ROCPRIM_400000_NS6detail17trampoline_kernelINS0_13select_configILj256ELj13ELNS0_17block_load_methodE3ELS4_3ELS4_3ELNS0_20block_scan_algorithmE0ELj4294967295EEENS1_25partition_config_selectorILNS1_17partition_subalgoE3EjNS0_10empty_typeEbEEZZNS1_14partition_implILS8_3ELb0ES6_jNS0_17counting_iteratorIjlEEPS9_SE_NS0_5tupleIJPjSE_EEENSF_IJSE_SE_EEES9_SG_JZNS1_25segmented_radix_sort_implINS0_14default_configELb0EPKfPfPKlPlN2at6native12_GLOBAL__N_18offset_tEEE10hipError_tPvRmT1_PNSt15iterator_traitsISY_E10value_typeET2_T3_PNSZ_IS14_E10value_typeET4_jRbjT5_S1A_jjP12ihipStream_tbEUljE_EEESV_SW_SX_S14_S18_S1A_T6_T7_T9_mT8_S1C_bDpT10_ENKUlT_T0_E_clISt17integral_constantIbLb0EES1P_EEDaS1K_S1L_EUlS1K_E_NS1_11comp_targetILNS1_3genE2ELNS1_11target_archE906ELNS1_3gpuE6ELNS1_3repE0EEENS1_30default_config_static_selectorELNS0_4arch9wavefront6targetE1EEEvSY_
; %bb.0:
	s_load_dwordx2 s[28:29], s[4:5], 0x58
	s_load_dwordx4 s[24:27], s[4:5], 0x48
	s_load_dword s12, s[4:5], 0x8
	s_load_dwordx2 s[30:31], s[4:5], 0x10
	s_load_dword s0, s[4:5], 0x70
	s_load_dword s7, s[4:5], 0x88
	s_load_dwordx4 s[8:11], s[4:5], 0x78
	s_waitcnt lgkmcnt(0)
	s_load_dwordx2 s[34:35], s[26:27], 0x0
	s_mul_i32 s44, s6, 0xd00
	s_add_i32 s2, s0, -1
	s_mulk_i32 s0, 0xd00
	s_add_i32 s1, s0, s30
	s_sub_i32 s33, s28, s1
	s_addk_i32 s33, 0xd00
	s_add_u32 s0, s30, s0
	s_addc_u32 s1, s31, 0
	v_mov_b32_e32 v2, s1
	v_mov_b32_e32 v1, s0
	s_cmp_eq_u32 s6, s2
	v_cmp_gt_u64_e32 vcc, s[28:29], v[1:2]
	s_cselect_b64 s[22:23], -1, 0
	s_cmp_lg_u32 s6, s2
	s_cselect_b64 s[0:1], -1, 0
	s_add_i32 s12, s12, s44
	s_or_b64 s[2:3], s[0:1], vcc
	s_add_i32 s12, s12, s30
	s_mov_b64 s[0:1], -1
	s_and_b64 vcc, exec, s[2:3]
	v_add_u32_e32 v1, s12, v0
	v_lshlrev_b32_e32 v23, 2, v0
	s_cbranch_vccz .LBB1400_2
; %bb.1:
	v_add_u32_e32 v2, 0x100, v1
	v_add_u32_e32 v3, 0x200, v1
	;; [unrolled: 1-line block ×12, first 2 shown]
	ds_write2st64_b32 v23, v1, v2 offset1:4
	ds_write2st64_b32 v23, v3, v4 offset0:8 offset1:12
	ds_write2st64_b32 v23, v5, v6 offset0:16 offset1:20
	;; [unrolled: 1-line block ×5, first 2 shown]
	ds_write_b32 v23, v13 offset:12288
	s_waitcnt lgkmcnt(0)
	s_barrier
	s_mov_b64 s[0:1], 0
.LBB1400_2:
	s_andn2_b64 vcc, exec, s[0:1]
	v_cmp_gt_u32_e64 s[0:1], s33, v0
	s_cbranch_vccnz .LBB1400_4
; %bb.3:
	v_or_b32_e32 v2, 0x100, v0
	v_add_u32_e32 v3, s12, v2
	v_cmp_gt_u32_e32 vcc, s33, v2
	v_cndmask_b32_e32 v2, 0, v3, vcc
	v_or_b32_e32 v3, 0x200, v0
	v_add_u32_e32 v4, s12, v3
	v_cmp_gt_u32_e32 vcc, s33, v3
	v_cndmask_b32_e32 v3, 0, v4, vcc
	;; [unrolled: 4-line block ×11, first 2 shown]
	v_or_b32_e32 v13, 0xc00, v0
	v_cndmask_b32_e64 v1, 0, v1, s[0:1]
	v_add_u32_e32 v14, s12, v13
	v_cmp_gt_u32_e32 vcc, s33, v13
	v_cndmask_b32_e32 v13, 0, v14, vcc
	ds_write2st64_b32 v23, v1, v2 offset1:4
	ds_write2st64_b32 v23, v3, v4 offset0:8 offset1:12
	ds_write2st64_b32 v23, v5, v6 offset0:16 offset1:20
	ds_write2st64_b32 v23, v7, v8 offset0:24 offset1:28
	ds_write2st64_b32 v23, v9, v10 offset0:32 offset1:36
	ds_write2st64_b32 v23, v11, v12 offset0:40 offset1:44
	ds_write_b32 v23, v13 offset:12288
	s_waitcnt lgkmcnt(0)
	s_barrier
.LBB1400_4:
	v_mul_u32_u24_e32 v25, 13, v0
	v_lshlrev_b32_e32 v1, 2, v25
	s_waitcnt lgkmcnt(0)
	ds_read2_b32 v[13:14], v1 offset1:1
	ds_read2_b32 v[11:12], v1 offset0:2 offset1:3
	ds_read2_b32 v[9:10], v1 offset0:4 offset1:5
	;; [unrolled: 1-line block ×5, first 2 shown]
	ds_read_b32 v24, v1 offset:48
	v_cndmask_b32_e64 v1, 0, 1, s[2:3]
	v_cmp_ne_u32_e64 s[0:1], 1, v1
	s_andn2_b64 vcc, exec, s[2:3]
	s_waitcnt lgkmcnt(0)
	s_barrier
	s_cbranch_vccnz .LBB1400_6
; %bb.5:
	v_add_u32_e32 v1, s9, v13
	v_add_u32_e32 v2, s11, v13
	v_mul_lo_u32 v1, v1, s8
	v_mul_lo_u32 v2, v2, s10
	v_add_u32_e32 v15, s9, v11
	v_add_u32_e32 v16, s11, v11
	v_mul_lo_u32 v15, v15, s8
	v_sub_u32_e32 v1, v1, v2
	v_cmp_lt_u32_e32 vcc, s7, v1
	v_add_u32_e32 v1, s9, v14
	v_add_u32_e32 v2, s11, v14
	v_mul_lo_u32 v1, v1, s8
	v_mul_lo_u32 v2, v2, s10
	;; [unrolled: 1-line block ×3, first 2 shown]
	v_cndmask_b32_e64 v26, 0, 1, vcc
	v_sub_u32_e32 v1, v1, v2
	v_cmp_lt_u32_e32 vcc, s7, v1
	v_sub_u32_e32 v1, v15, v16
	v_cndmask_b32_e64 v27, 0, 1, vcc
	v_cmp_lt_u32_e32 vcc, s7, v1
	v_add_u32_e32 v1, s9, v12
	v_add_u32_e32 v2, s11, v12
	v_mul_lo_u32 v1, v1, s8
	v_mul_lo_u32 v2, v2, s10
	v_add_u32_e32 v15, s9, v9
	v_add_u32_e32 v16, s11, v9
	v_mul_lo_u32 v15, v15, s8
	v_mul_lo_u32 v16, v16, s10
	v_sub_u32_e32 v1, v1, v2
	v_cndmask_b32_e64 v28, 0, 1, vcc
	v_cmp_lt_u32_e32 vcc, s7, v1
	v_sub_u32_e32 v1, v15, v16
	v_cndmask_b32_e64 v29, 0, 1, vcc
	v_cmp_lt_u32_e32 vcc, s7, v1
	v_add_u32_e32 v1, s9, v10
	v_add_u32_e32 v2, s11, v10
	v_mul_lo_u32 v1, v1, s8
	v_mul_lo_u32 v2, v2, s10
	v_add_u32_e32 v15, s9, v7
	v_add_u32_e32 v16, s11, v7
	v_mul_lo_u32 v15, v15, s8
	v_mul_lo_u32 v16, v16, s10
	v_sub_u32_e32 v1, v1, v2
	v_cndmask_b32_e64 v30, 0, 1, vcc
	;; [unrolled: 14-line block ×5, first 2 shown]
	v_cmp_lt_u32_e32 vcc, s7, v1
	v_sub_u32_e32 v1, v15, v16
	v_cndmask_b32_e64 v37, 0, 1, vcc
	v_cmp_lt_u32_e64 s[38:39], s7, v1
	s_load_dwordx2 s[26:27], s[4:5], 0x28
	s_load_dwordx2 s[36:37], s[4:5], 0x68
	s_cbranch_execz .LBB1400_7
	s_branch .LBB1400_34
.LBB1400_6:
                                        ; implicit-def: $sgpr38_sgpr39
                                        ; implicit-def: $vgpr37
                                        ; implicit-def: $vgpr36
                                        ; implicit-def: $vgpr35
                                        ; implicit-def: $vgpr34
                                        ; implicit-def: $vgpr33
                                        ; implicit-def: $vgpr32
                                        ; implicit-def: $vgpr31
                                        ; implicit-def: $vgpr30
                                        ; implicit-def: $vgpr26
                                        ; implicit-def: $vgpr27
                                        ; implicit-def: $vgpr28
                                        ; implicit-def: $vgpr29
	s_load_dwordx2 s[26:27], s[4:5], 0x28
	s_load_dwordx2 s[36:37], s[4:5], 0x68
.LBB1400_7:
	v_cmp_gt_u32_e32 vcc, s33, v25
	v_mov_b32_e32 v27, 0
	v_mov_b32_e32 v26, 0
	s_and_saveexec_b64 s[2:3], vcc
	s_cbranch_execz .LBB1400_9
; %bb.8:
	v_add_u32_e32 v1, s9, v13
	v_add_u32_e32 v2, s11, v13
	v_mul_lo_u32 v1, v1, s8
	v_mul_lo_u32 v2, v2, s10
	v_sub_u32_e32 v1, v1, v2
	v_cmp_lt_u32_e32 vcc, s7, v1
	v_cndmask_b32_e64 v26, 0, 1, vcc
.LBB1400_9:
	s_or_b64 exec, exec, s[2:3]
	v_add_u32_e32 v1, 1, v25
	v_cmp_gt_u32_e32 vcc, s33, v1
	s_and_saveexec_b64 s[2:3], vcc
	s_cbranch_execz .LBB1400_11
; %bb.10:
	v_add_u32_e32 v1, s9, v14
	v_add_u32_e32 v2, s11, v14
	v_mul_lo_u32 v1, v1, s8
	v_mul_lo_u32 v2, v2, s10
	v_sub_u32_e32 v1, v1, v2
	v_cmp_lt_u32_e32 vcc, s7, v1
	v_cndmask_b32_e64 v27, 0, 1, vcc
.LBB1400_11:
	s_or_b64 exec, exec, s[2:3]
	v_add_u32_e32 v1, 2, v25
	v_cmp_gt_u32_e32 vcc, s33, v1
	v_mov_b32_e32 v29, 0
	v_mov_b32_e32 v28, 0
	s_and_saveexec_b64 s[2:3], vcc
	s_cbranch_execz .LBB1400_13
; %bb.12:
	v_add_u32_e32 v1, s9, v11
	v_add_u32_e32 v2, s11, v11
	v_mul_lo_u32 v1, v1, s8
	v_mul_lo_u32 v2, v2, s10
	v_sub_u32_e32 v1, v1, v2
	v_cmp_lt_u32_e32 vcc, s7, v1
	v_cndmask_b32_e64 v28, 0, 1, vcc
.LBB1400_13:
	s_or_b64 exec, exec, s[2:3]
	v_add_u32_e32 v1, 3, v25
	v_cmp_gt_u32_e32 vcc, s33, v1
	s_and_saveexec_b64 s[2:3], vcc
	s_cbranch_execz .LBB1400_15
; %bb.14:
	v_add_u32_e32 v1, s9, v12
	v_add_u32_e32 v2, s11, v12
	v_mul_lo_u32 v1, v1, s8
	v_mul_lo_u32 v2, v2, s10
	v_sub_u32_e32 v1, v1, v2
	v_cmp_lt_u32_e32 vcc, s7, v1
	v_cndmask_b32_e64 v29, 0, 1, vcc
.LBB1400_15:
	s_or_b64 exec, exec, s[2:3]
	v_add_u32_e32 v1, 4, v25
	;; [unrolled: 30-line block ×6, first 2 shown]
	v_cmp_gt_u32_e32 vcc, s33, v1
	s_mov_b64 s[38:39], 0
	s_and_saveexec_b64 s[2:3], vcc
	s_cbranch_execz .LBB1400_33
; %bb.32:
	v_add_u32_e32 v1, s9, v24
	v_add_u32_e32 v2, s11, v24
	v_mul_lo_u32 v1, v1, s8
	v_mul_lo_u32 v2, v2, s10
	v_sub_u32_e32 v1, v1, v2
	v_cmp_lt_u32_e32 vcc, s7, v1
	s_and_b64 s[38:39], vcc, exec
.LBB1400_33:
	s_or_b64 exec, exec, s[2:3]
.LBB1400_34:
	v_and_b32_e32 v40, 0xff, v27
	v_and_b32_e32 v41, 0xff, v28
	;; [unrolled: 1-line block ×5, first 2 shown]
	v_add3_u32 v2, v41, v42, v40
	v_and_b32_e32 v44, 0xff, v31
	v_and_b32_e32 v45, 0xff, v32
	v_add3_u32 v2, v2, v39, v43
	v_and_b32_e32 v46, 0xff, v33
	v_and_b32_e32 v47, 0xff, v34
	;; [unrolled: 3-line block ×3, first 2 shown]
	v_add3_u32 v2, v2, v46, v47
	v_and_b32_e32 v38, 0xff, v37
	v_cndmask_b32_e64 v1, 0, 1, s[38:39]
	v_add3_u32 v2, v2, v48, v49
	v_add3_u32 v52, v2, v38, v1
	v_mbcnt_lo_u32_b32 v1, -1, 0
	v_mbcnt_hi_u32_b32 v50, -1, v1
	v_and_b32_e32 v1, 15, v50
	v_cmp_eq_u32_e64 s[14:15], 0, v1
	v_cmp_lt_u32_e64 s[12:13], 1, v1
	v_cmp_lt_u32_e64 s[10:11], 3, v1
	;; [unrolled: 1-line block ×3, first 2 shown]
	v_and_b32_e32 v1, 16, v50
	v_cmp_eq_u32_e64 s[18:19], 0, v1
	v_or_b32_e32 v1, 63, v0
	s_cmp_lg_u32 s6, 0
	v_cmp_lt_u32_e64 s[2:3], 31, v50
	v_lshrrev_b32_e32 v51, 6, v0
	v_cmp_eq_u32_e64 s[4:5], v0, v1
	s_cbranch_scc0 .LBB1400_56
; %bb.35:
	v_mov_b32_dpp v1, v52 row_shr:1 row_mask:0xf bank_mask:0xf
	v_cndmask_b32_e64 v1, v1, 0, s[14:15]
	v_add_u32_e32 v1, v1, v52
	s_nop 1
	v_mov_b32_dpp v2, v1 row_shr:2 row_mask:0xf bank_mask:0xf
	v_cndmask_b32_e64 v2, 0, v2, s[12:13]
	v_add_u32_e32 v1, v1, v2
	s_nop 1
	;; [unrolled: 4-line block ×4, first 2 shown]
	v_mov_b32_dpp v2, v1 row_bcast:15 row_mask:0xf bank_mask:0xf
	v_cndmask_b32_e64 v2, v2, 0, s[18:19]
	v_add_u32_e32 v1, v1, v2
	s_nop 1
	v_mov_b32_dpp v2, v1 row_bcast:31 row_mask:0xf bank_mask:0xf
	v_cndmask_b32_e64 v2, 0, v2, s[2:3]
	v_add_u32_e32 v1, v1, v2
	s_and_saveexec_b64 s[16:17], s[4:5]
; %bb.36:
	v_lshlrev_b32_e32 v2, 2, v51
	ds_write_b32 v2, v1
; %bb.37:
	s_or_b64 exec, exec, s[16:17]
	v_cmp_gt_u32_e32 vcc, 4, v0
	s_waitcnt lgkmcnt(0)
	s_barrier
	s_and_saveexec_b64 s[16:17], vcc
	s_cbranch_execz .LBB1400_39
; %bb.38:
	ds_read_b32 v2, v23
	v_and_b32_e32 v15, 3, v50
	v_cmp_ne_u32_e32 vcc, 0, v15
	s_waitcnt lgkmcnt(0)
	v_mov_b32_dpp v16, v2 row_shr:1 row_mask:0xf bank_mask:0xf
	v_cndmask_b32_e32 v16, 0, v16, vcc
	v_add_u32_e32 v2, v16, v2
	v_cmp_lt_u32_e32 vcc, 1, v15
	s_nop 0
	v_mov_b32_dpp v16, v2 row_shr:2 row_mask:0xf bank_mask:0xf
	v_cndmask_b32_e32 v15, 0, v16, vcc
	v_add_u32_e32 v2, v2, v15
	ds_write_b32 v23, v2
.LBB1400_39:
	s_or_b64 exec, exec, s[16:17]
	v_cmp_gt_u32_e32 vcc, 64, v0
	v_cmp_lt_u32_e64 s[16:17], 63, v0
	s_waitcnt lgkmcnt(0)
	s_barrier
                                        ; implicit-def: $vgpr53
	s_and_saveexec_b64 s[20:21], s[16:17]
	s_cbranch_execz .LBB1400_41
; %bb.40:
	v_lshl_add_u32 v2, v51, 2, -4
	ds_read_b32 v53, v2
	s_waitcnt lgkmcnt(0)
	v_add_u32_e32 v1, v53, v1
.LBB1400_41:
	s_or_b64 exec, exec, s[20:21]
	v_subrev_co_u32_e64 v2, s[16:17], 1, v50
	v_and_b32_e32 v15, 64, v50
	v_cmp_lt_i32_e64 s[20:21], v2, v15
	v_cndmask_b32_e64 v2, v2, v50, s[20:21]
	v_lshlrev_b32_e32 v2, 2, v2
	ds_bpermute_b32 v54, v2, v1
	s_and_saveexec_b64 s[20:21], vcc
	s_cbranch_execz .LBB1400_61
; %bb.42:
	v_mov_b32_e32 v19, 0
	ds_read_b32 v1, v19 offset:12
	s_and_saveexec_b64 s[40:41], s[16:17]
	s_cbranch_execz .LBB1400_44
; %bb.43:
	s_add_i32 s42, s6, 64
	s_mov_b32 s43, 0
	s_lshl_b64 s[42:43], s[42:43], 3
	s_add_u32 s42, s36, s42
	v_mov_b32_e32 v2, 1
	s_addc_u32 s43, s37, s43
	s_waitcnt lgkmcnt(0)
	global_store_dwordx2 v19, v[1:2], s[42:43]
.LBB1400_44:
	s_or_b64 exec, exec, s[40:41]
	v_xad_u32 v15, v50, -1, s6
	v_add_u32_e32 v18, 64, v15
	v_lshlrev_b64 v[16:17], 3, v[18:19]
	v_mov_b32_e32 v2, s37
	v_add_co_u32_e32 v20, vcc, s36, v16
	v_addc_co_u32_e32 v21, vcc, v2, v17, vcc
	global_load_dwordx2 v[17:18], v[20:21], off glc
	s_waitcnt vmcnt(0)
	v_cmp_eq_u16_sdwa s[42:43], v18, v19 src0_sel:BYTE_0 src1_sel:DWORD
	s_and_saveexec_b64 s[40:41], s[42:43]
	s_cbranch_execz .LBB1400_48
; %bb.45:
	s_mov_b64 s[42:43], 0
	v_mov_b32_e32 v2, 0
.LBB1400_46:                            ; =>This Inner Loop Header: Depth=1
	global_load_dwordx2 v[17:18], v[20:21], off glc
	s_waitcnt vmcnt(0)
	v_cmp_ne_u16_sdwa s[46:47], v18, v2 src0_sel:BYTE_0 src1_sel:DWORD
	s_or_b64 s[42:43], s[46:47], s[42:43]
	s_andn2_b64 exec, exec, s[42:43]
	s_cbranch_execnz .LBB1400_46
; %bb.47:
	s_or_b64 exec, exec, s[42:43]
.LBB1400_48:
	s_or_b64 exec, exec, s[40:41]
	v_and_b32_e32 v56, 63, v50
	v_mov_b32_e32 v55, 2
	v_lshlrev_b64 v[19:20], v50, -1
	v_cmp_ne_u32_e32 vcc, 63, v56
	v_cmp_eq_u16_sdwa s[40:41], v18, v55 src0_sel:BYTE_0 src1_sel:DWORD
	v_addc_co_u32_e32 v21, vcc, 0, v50, vcc
	v_and_b32_e32 v2, s41, v20
	v_lshlrev_b32_e32 v57, 2, v21
	v_or_b32_e32 v2, 0x80000000, v2
	ds_bpermute_b32 v21, v57, v17
	v_and_b32_e32 v16, s40, v19
	v_ffbl_b32_e32 v2, v2
	v_add_u32_e32 v2, 32, v2
	v_ffbl_b32_e32 v16, v16
	v_min_u32_e32 v2, v16, v2
	v_cmp_lt_u32_e32 vcc, v56, v2
	s_waitcnt lgkmcnt(0)
	v_cndmask_b32_e32 v16, 0, v21, vcc
	v_cmp_gt_u32_e32 vcc, 62, v56
	v_add_u32_e32 v16, v16, v17
	v_cndmask_b32_e64 v17, 0, 2, vcc
	v_add_lshl_u32 v58, v17, v50, 2
	ds_bpermute_b32 v17, v58, v16
	v_add_u32_e32 v59, 2, v56
	v_cmp_le_u32_e32 vcc, v59, v2
	v_add_u32_e32 v61, 4, v56
	v_add_u32_e32 v63, 8, v56
	s_waitcnt lgkmcnt(0)
	v_cndmask_b32_e32 v17, 0, v17, vcc
	v_cmp_gt_u32_e32 vcc, 60, v56
	v_add_u32_e32 v16, v16, v17
	v_cndmask_b32_e64 v17, 0, 4, vcc
	v_add_lshl_u32 v60, v17, v50, 2
	ds_bpermute_b32 v17, v60, v16
	v_cmp_le_u32_e32 vcc, v61, v2
	v_add_u32_e32 v65, 16, v56
	v_add_u32_e32 v67, 32, v56
	s_waitcnt lgkmcnt(0)
	v_cndmask_b32_e32 v17, 0, v17, vcc
	v_cmp_gt_u32_e32 vcc, 56, v56
	v_add_u32_e32 v16, v16, v17
	v_cndmask_b32_e64 v17, 0, 8, vcc
	v_add_lshl_u32 v62, v17, v50, 2
	ds_bpermute_b32 v17, v62, v16
	v_cmp_le_u32_e32 vcc, v63, v2
	s_waitcnt lgkmcnt(0)
	v_cndmask_b32_e32 v17, 0, v17, vcc
	v_cmp_gt_u32_e32 vcc, 48, v56
	v_add_u32_e32 v16, v16, v17
	v_cndmask_b32_e64 v17, 0, 16, vcc
	v_add_lshl_u32 v64, v17, v50, 2
	ds_bpermute_b32 v17, v64, v16
	v_cmp_le_u32_e32 vcc, v65, v2
	s_waitcnt lgkmcnt(0)
	v_cndmask_b32_e32 v17, 0, v17, vcc
	v_add_u32_e32 v16, v16, v17
	v_mov_b32_e32 v17, 0x80
	v_lshl_or_b32 v66, v50, 2, v17
	ds_bpermute_b32 v17, v66, v16
	v_cmp_le_u32_e32 vcc, v67, v2
	s_waitcnt lgkmcnt(0)
	v_cndmask_b32_e32 v2, 0, v17, vcc
	v_add_u32_e32 v17, v16, v2
	v_mov_b32_e32 v16, 0
	s_branch .LBB1400_52
.LBB1400_49:                            ;   in Loop: Header=BB1400_52 Depth=1
	s_or_b64 exec, exec, s[42:43]
.LBB1400_50:                            ;   in Loop: Header=BB1400_52 Depth=1
	s_or_b64 exec, exec, s[40:41]
	v_cmp_eq_u16_sdwa s[40:41], v18, v55 src0_sel:BYTE_0 src1_sel:DWORD
	v_and_b32_e32 v21, s41, v20
	v_or_b32_e32 v21, 0x80000000, v21
	ds_bpermute_b32 v68, v57, v17
	v_and_b32_e32 v22, s40, v19
	v_ffbl_b32_e32 v21, v21
	v_add_u32_e32 v21, 32, v21
	v_ffbl_b32_e32 v22, v22
	v_min_u32_e32 v21, v22, v21
	v_cmp_lt_u32_e32 vcc, v56, v21
	s_waitcnt lgkmcnt(0)
	v_cndmask_b32_e32 v22, 0, v68, vcc
	v_add_u32_e32 v17, v22, v17
	ds_bpermute_b32 v22, v58, v17
	v_cmp_le_u32_e32 vcc, v59, v21
	v_subrev_u32_e32 v15, 64, v15
	s_mov_b64 s[40:41], 0
	s_waitcnt lgkmcnt(0)
	v_cndmask_b32_e32 v22, 0, v22, vcc
	v_add_u32_e32 v17, v17, v22
	ds_bpermute_b32 v22, v60, v17
	v_cmp_le_u32_e32 vcc, v61, v21
	s_waitcnt lgkmcnt(0)
	v_cndmask_b32_e32 v22, 0, v22, vcc
	v_add_u32_e32 v17, v17, v22
	ds_bpermute_b32 v22, v62, v17
	v_cmp_le_u32_e32 vcc, v63, v21
	;; [unrolled: 5-line block ×4, first 2 shown]
	s_waitcnt lgkmcnt(0)
	v_cndmask_b32_e32 v21, 0, v22, vcc
	v_add3_u32 v17, v21, v2, v17
.LBB1400_51:                            ;   in Loop: Header=BB1400_52 Depth=1
	s_and_b64 vcc, exec, s[40:41]
	s_cbranch_vccnz .LBB1400_57
.LBB1400_52:                            ; =>This Loop Header: Depth=1
                                        ;     Child Loop BB1400_55 Depth 2
	v_cmp_ne_u16_sdwa s[40:41], v18, v55 src0_sel:BYTE_0 src1_sel:DWORD
	v_mov_b32_e32 v2, v17
	s_cmp_lg_u64 s[40:41], exec
	s_mov_b64 s[40:41], -1
                                        ; implicit-def: $vgpr17
                                        ; implicit-def: $vgpr18
	s_cbranch_scc1 .LBB1400_51
; %bb.53:                               ;   in Loop: Header=BB1400_52 Depth=1
	v_lshlrev_b64 v[17:18], 3, v[15:16]
	v_mov_b32_e32 v22, s37
	v_add_co_u32_e32 v21, vcc, s36, v17
	v_addc_co_u32_e32 v22, vcc, v22, v18, vcc
	global_load_dwordx2 v[17:18], v[21:22], off glc
	s_waitcnt vmcnt(0)
	v_cmp_eq_u16_sdwa s[42:43], v18, v16 src0_sel:BYTE_0 src1_sel:DWORD
	s_and_saveexec_b64 s[40:41], s[42:43]
	s_cbranch_execz .LBB1400_50
; %bb.54:                               ;   in Loop: Header=BB1400_52 Depth=1
	s_mov_b64 s[42:43], 0
.LBB1400_55:                            ;   Parent Loop BB1400_52 Depth=1
                                        ; =>  This Inner Loop Header: Depth=2
	global_load_dwordx2 v[17:18], v[21:22], off glc
	s_waitcnt vmcnt(0)
	v_cmp_ne_u16_sdwa s[46:47], v18, v16 src0_sel:BYTE_0 src1_sel:DWORD
	s_or_b64 s[42:43], s[46:47], s[42:43]
	s_andn2_b64 exec, exec, s[42:43]
	s_cbranch_execnz .LBB1400_55
	s_branch .LBB1400_49
.LBB1400_56:
                                        ; implicit-def: $vgpr2
                                        ; implicit-def: $vgpr15
	s_cbranch_execnz .LBB1400_62
	s_branch .LBB1400_71
.LBB1400_57:
	s_and_saveexec_b64 s[40:41], s[16:17]
	s_cbranch_execz .LBB1400_59
; %bb.58:
	s_add_i32 s6, s6, 64
	s_mov_b32 s7, 0
	s_lshl_b64 s[6:7], s[6:7], 3
	s_add_u32 s6, s36, s6
	v_add_u32_e32 v15, v2, v1
	v_mov_b32_e32 v16, 2
	s_addc_u32 s7, s37, s7
	v_mov_b32_e32 v17, 0
	global_store_dwordx2 v17, v[15:16], s[6:7]
	ds_write_b64 v17, v[1:2] offset:13312
.LBB1400_59:
	s_or_b64 exec, exec, s[40:41]
	v_cmp_eq_u32_e32 vcc, 0, v0
	s_and_b64 exec, exec, vcc
; %bb.60:
	v_mov_b32_e32 v1, 0
	ds_write_b32 v1, v2 offset:12
.LBB1400_61:
	s_or_b64 exec, exec, s[20:21]
	v_mov_b32_e32 v1, 0
	s_waitcnt vmcnt(0) lgkmcnt(0)
	s_barrier
	ds_read_b32 v16, v1 offset:12
	s_waitcnt lgkmcnt(0)
	s_barrier
	ds_read_b64 v[1:2], v1 offset:13312
	v_cndmask_b32_e64 v15, v54, v53, s[16:17]
	v_cmp_ne_u32_e32 vcc, 0, v0
	v_cndmask_b32_e32 v15, 0, v15, vcc
	v_add_u32_e32 v15, v16, v15
	s_branch .LBB1400_71
.LBB1400_62:
	s_waitcnt lgkmcnt(0)
	v_mov_b32_dpp v1, v52 row_shr:1 row_mask:0xf bank_mask:0xf
	v_cndmask_b32_e64 v1, v1, 0, s[14:15]
	v_add_u32_e32 v1, v1, v52
	s_nop 1
	v_mov_b32_dpp v2, v1 row_shr:2 row_mask:0xf bank_mask:0xf
	v_cndmask_b32_e64 v2, 0, v2, s[12:13]
	v_add_u32_e32 v1, v1, v2
	s_nop 1
	;; [unrolled: 4-line block ×4, first 2 shown]
	v_mov_b32_dpp v2, v1 row_bcast:15 row_mask:0xf bank_mask:0xf
	v_cndmask_b32_e64 v2, v2, 0, s[18:19]
	v_add_u32_e32 v1, v1, v2
	s_nop 1
	v_mov_b32_dpp v2, v1 row_bcast:31 row_mask:0xf bank_mask:0xf
	v_cndmask_b32_e64 v2, 0, v2, s[2:3]
	v_add_u32_e32 v1, v1, v2
	s_and_saveexec_b64 s[2:3], s[4:5]
; %bb.63:
	v_lshlrev_b32_e32 v2, 2, v51
	ds_write_b32 v2, v1
; %bb.64:
	s_or_b64 exec, exec, s[2:3]
	v_cmp_gt_u32_e32 vcc, 4, v0
	s_waitcnt lgkmcnt(0)
	s_barrier
	s_and_saveexec_b64 s[2:3], vcc
	s_cbranch_execz .LBB1400_66
; %bb.65:
	ds_read_b32 v2, v23
	v_and_b32_e32 v15, 3, v50
	v_cmp_ne_u32_e32 vcc, 0, v15
	s_waitcnt lgkmcnt(0)
	v_mov_b32_dpp v16, v2 row_shr:1 row_mask:0xf bank_mask:0xf
	v_cndmask_b32_e32 v16, 0, v16, vcc
	v_add_u32_e32 v2, v16, v2
	v_cmp_lt_u32_e32 vcc, 1, v15
	s_nop 0
	v_mov_b32_dpp v16, v2 row_shr:2 row_mask:0xf bank_mask:0xf
	v_cndmask_b32_e32 v15, 0, v16, vcc
	v_add_u32_e32 v2, v2, v15
	ds_write_b32 v23, v2
.LBB1400_66:
	s_or_b64 exec, exec, s[2:3]
	v_cmp_lt_u32_e32 vcc, 63, v0
	v_mov_b32_e32 v2, 0
	v_mov_b32_e32 v15, 0
	s_waitcnt lgkmcnt(0)
	s_barrier
	s_and_saveexec_b64 s[2:3], vcc
; %bb.67:
	v_lshl_add_u32 v15, v51, 2, -4
	ds_read_b32 v15, v15
; %bb.68:
	s_or_b64 exec, exec, s[2:3]
	v_subrev_co_u32_e32 v16, vcc, 1, v50
	v_and_b32_e32 v17, 64, v50
	v_cmp_lt_i32_e64 s[2:3], v16, v17
	v_cndmask_b32_e64 v16, v16, v50, s[2:3]
	s_waitcnt lgkmcnt(0)
	v_add_u32_e32 v1, v15, v1
	v_lshlrev_b32_e32 v16, 2, v16
	ds_bpermute_b32 v16, v16, v1
	ds_read_b32 v1, v2 offset:12
	v_cmp_eq_u32_e64 s[2:3], 0, v0
	s_and_saveexec_b64 s[4:5], s[2:3]
	s_cbranch_execz .LBB1400_70
; %bb.69:
	v_mov_b32_e32 v17, 0
	v_mov_b32_e32 v2, 2
	s_waitcnt lgkmcnt(0)
	global_store_dwordx2 v17, v[1:2], s[36:37] offset:512
.LBB1400_70:
	s_or_b64 exec, exec, s[4:5]
	s_waitcnt lgkmcnt(1)
	v_cndmask_b32_e32 v2, v16, v15, vcc
	v_cndmask_b32_e64 v15, v2, 0, s[2:3]
	s_waitcnt vmcnt(0) lgkmcnt(0)
	s_barrier
	v_mov_b32_e32 v2, 0
.LBB1400_71:
	v_add_u32_e32 v16, v15, v39
	v_add_u32_e32 v17, v16, v40
	;; [unrolled: 1-line block ×4, first 2 shown]
	s_waitcnt lgkmcnt(0)
	v_add_u32_e32 v25, v1, v25
	v_sub_u32_e32 v15, v15, v2
	v_and_b32_e32 v26, 1, v26
	v_add_u32_e32 v20, v19, v43
	v_sub_u32_e32 v43, v25, v15
	v_cmp_eq_u32_e32 vcc, 1, v26
	v_cndmask_b32_e32 v15, v43, v15, vcc
	v_lshlrev_b32_e32 v15, 2, v15
	ds_write_b32 v15, v13
	v_sub_u32_e32 v13, v16, v2
	v_sub_u32_e32 v15, v25, v13
	v_and_b32_e32 v16, 1, v27
	v_add_u32_e32 v15, 1, v15
	v_cmp_eq_u32_e32 vcc, 1, v16
	v_cndmask_b32_e32 v13, v15, v13, vcc
	v_lshlrev_b32_e32 v13, 2, v13
	ds_write_b32 v13, v14
	v_sub_u32_e32 v13, v17, v2
	v_sub_u32_e32 v14, v25, v13
	v_and_b32_e32 v15, 1, v28
	v_add_u32_e32 v14, 2, v14
	;; [unrolled: 8-line block ×5, first 2 shown]
	v_cmp_eq_u32_e32 vcc, 1, v12
	v_cndmask_b32_e32 v9, v11, v9, vcc
	v_add_u32_e32 v21, v20, v44
	v_lshlrev_b32_e32 v9, 2, v9
	ds_write_b32 v9, v10
	v_sub_u32_e32 v9, v21, v2
	v_sub_u32_e32 v10, v25, v9
	v_and_b32_e32 v11, 1, v32
	v_add_u32_e32 v10, 6, v10
	v_cmp_eq_u32_e32 vcc, 1, v11
	v_cndmask_b32_e32 v9, v10, v9, vcc
	v_add_u32_e32 v22, v21, v45
	v_lshlrev_b32_e32 v9, 2, v9
	ds_write_b32 v9, v7
	v_sub_u32_e32 v7, v22, v2
	v_sub_u32_e32 v9, v25, v7
	v_and_b32_e32 v10, 1, v33
	v_add_u32_e32 v9, 7, v9
	;; [unrolled: 9-line block ×6, first 2 shown]
	v_cmp_eq_u32_e32 vcc, 1, v6
	v_cndmask_b32_e32 v3, v5, v3, vcc
	v_lshlrev_b32_e32 v3, 2, v3
	ds_write_b32 v3, v4
	v_sub_u32_e32 v3, v38, v2
	v_add_u32_e32 v3, v42, v3
	v_sub_u32_e32 v4, v25, v3
	v_add_u32_e32 v4, 12, v4
	v_cndmask_b32_e64 v3, v4, v3, s[38:39]
	v_lshlrev_b32_e32 v3, 2, v3
	ds_write_b32 v3, v24
	s_waitcnt lgkmcnt(0)
	s_barrier
	ds_read2st64_b32 v[13:14], v23 offset1:4
	ds_read2st64_b32 v[11:12], v23 offset0:8 offset1:12
	ds_read2st64_b32 v[9:10], v23 offset0:16 offset1:20
	;; [unrolled: 1-line block ×5, first 2 shown]
	ds_read_b32 v19, v23 offset:12288
	v_mov_b32_e32 v15, s35
	s_and_b64 vcc, exec, s[0:1]
	v_add_co_u32_e64 v17, s[0:1], s34, v2
	v_or_b32_e32 v33, 0x100, v0
	v_or_b32_e32 v31, 0x200, v0
	v_or_b32_e32 v30, 0x300, v0
	v_or_b32_e32 v29, 0x400, v0
	v_or_b32_e32 v28, 0x500, v0
	v_or_b32_e32 v27, 0x600, v0
	v_or_b32_e32 v26, 0x700, v0
	v_or_b32_e32 v25, 0x800, v0
	v_or_b32_e32 v24, 0x900, v0
	v_or_b32_e32 v22, 0xa00, v0
	v_or_b32_e32 v21, 0xb00, v0
	v_or_b32_e32 v20, 0xc00, v0
	v_addc_co_u32_e64 v18, s[0:1], 0, v15, s[0:1]
	s_cbranch_vccnz .LBB1400_125
; %bb.72:
	v_mov_b32_e32 v2, s31
	v_subrev_co_u32_e32 v15, vcc, s30, v17
	s_sub_u32 s0, s28, s44
	v_subb_co_u32_e32 v16, vcc, v18, v2, vcc
	s_subb_u32 s1, s29, 0
	v_mov_b32_e32 v2, s1
	v_add_co_u32_e32 v23, vcc, s0, v1
	v_addc_co_u32_e32 v32, vcc, 0, v2, vcc
	v_add_co_u32_e32 v2, vcc, v23, v15
	v_addc_co_u32_e32 v23, vcc, v32, v16, vcc
	v_cmp_ge_u32_e32 vcc, v0, v1
                                        ; implicit-def: $vgpr15_vgpr16
	s_and_saveexec_b64 s[0:1], vcc
	s_xor_b64 s[0:1], exec, s[0:1]
; %bb.73:
	v_not_b32_e32 v15, v0
	v_ashrrev_i32_e32 v16, 31, v15
	v_add_co_u32_e32 v15, vcc, v2, v15
	v_addc_co_u32_e32 v16, vcc, v23, v16, vcc
; %bb.74:
	s_andn2_saveexec_b64 s[0:1], s[0:1]
; %bb.75:
	v_add_co_u32_e32 v15, vcc, v17, v0
	v_addc_co_u32_e32 v16, vcc, 0, v18, vcc
; %bb.76:
	s_or_b64 exec, exec, s[0:1]
	v_lshlrev_b64 v[15:16], 2, v[15:16]
	v_mov_b32_e32 v32, s27
	v_add_co_u32_e32 v15, vcc, s26, v15
	v_addc_co_u32_e32 v16, vcc, v32, v16, vcc
	v_cmp_ge_u32_e32 vcc, v33, v1
	s_waitcnt lgkmcnt(6)
	global_store_dword v[15:16], v13, off
                                        ; implicit-def: $vgpr15_vgpr16
	s_and_saveexec_b64 s[0:1], vcc
	s_xor_b64 s[0:1], exec, s[0:1]
; %bb.77:
	v_xor_b32_e32 v15, 0xfffffeff, v0
	v_ashrrev_i32_e32 v16, 31, v15
	v_add_co_u32_e32 v15, vcc, v2, v15
	v_addc_co_u32_e32 v16, vcc, v23, v16, vcc
; %bb.78:
	s_andn2_saveexec_b64 s[0:1], s[0:1]
; %bb.79:
	v_add_co_u32_e32 v15, vcc, v17, v33
	v_addc_co_u32_e32 v16, vcc, 0, v18, vcc
; %bb.80:
	s_or_b64 exec, exec, s[0:1]
	v_lshlrev_b64 v[15:16], 2, v[15:16]
	v_mov_b32_e32 v32, s27
	v_add_co_u32_e32 v15, vcc, s26, v15
	v_addc_co_u32_e32 v16, vcc, v32, v16, vcc
	v_cmp_ge_u32_e32 vcc, v31, v1
	global_store_dword v[15:16], v14, off
                                        ; implicit-def: $vgpr15_vgpr16
	s_and_saveexec_b64 s[0:1], vcc
	s_xor_b64 s[0:1], exec, s[0:1]
; %bb.81:
	v_xor_b32_e32 v15, 0xfffffdff, v0
	v_ashrrev_i32_e32 v16, 31, v15
	v_add_co_u32_e32 v15, vcc, v2, v15
	v_addc_co_u32_e32 v16, vcc, v23, v16, vcc
; %bb.82:
	s_andn2_saveexec_b64 s[0:1], s[0:1]
; %bb.83:
	v_add_co_u32_e32 v15, vcc, v17, v31
	v_addc_co_u32_e32 v16, vcc, 0, v18, vcc
; %bb.84:
	s_or_b64 exec, exec, s[0:1]
	v_lshlrev_b64 v[15:16], 2, v[15:16]
	v_mov_b32_e32 v32, s27
	v_add_co_u32_e32 v15, vcc, s26, v15
	v_addc_co_u32_e32 v16, vcc, v32, v16, vcc
	v_cmp_ge_u32_e32 vcc, v30, v1
	s_waitcnt lgkmcnt(5)
	global_store_dword v[15:16], v11, off
                                        ; implicit-def: $vgpr15_vgpr16
	s_and_saveexec_b64 s[0:1], vcc
	s_xor_b64 s[0:1], exec, s[0:1]
; %bb.85:
	v_xor_b32_e32 v15, 0xfffffcff, v0
	v_ashrrev_i32_e32 v16, 31, v15
	v_add_co_u32_e32 v15, vcc, v2, v15
	v_addc_co_u32_e32 v16, vcc, v23, v16, vcc
; %bb.86:
	s_andn2_saveexec_b64 s[0:1], s[0:1]
; %bb.87:
	v_add_co_u32_e32 v15, vcc, v17, v30
	v_addc_co_u32_e32 v16, vcc, 0, v18, vcc
; %bb.88:
	s_or_b64 exec, exec, s[0:1]
	v_lshlrev_b64 v[15:16], 2, v[15:16]
	v_mov_b32_e32 v32, s27
	v_add_co_u32_e32 v15, vcc, s26, v15
	v_addc_co_u32_e32 v16, vcc, v32, v16, vcc
	v_cmp_ge_u32_e32 vcc, v29, v1
	global_store_dword v[15:16], v12, off
                                        ; implicit-def: $vgpr15_vgpr16
	s_and_saveexec_b64 s[0:1], vcc
	s_xor_b64 s[0:1], exec, s[0:1]
; %bb.89:
	v_xor_b32_e32 v15, 0xfffffbff, v0
	;; [unrolled: 43-line block ×6, first 2 shown]
	v_ashrrev_i32_e32 v16, 31, v15
	v_add_co_u32_e32 v15, vcc, v2, v15
	v_addc_co_u32_e32 v16, vcc, v23, v16, vcc
; %bb.122:
	s_andn2_saveexec_b64 s[0:1], s[0:1]
; %bb.123:
	v_add_co_u32_e32 v15, vcc, v17, v20
	v_addc_co_u32_e32 v16, vcc, 0, v18, vcc
; %bb.124:
	s_or_b64 exec, exec, s[0:1]
	s_mov_b64 s[0:1], -1
	s_branch .LBB1400_205
.LBB1400_125:
	s_mov_b64 s[0:1], 0
                                        ; implicit-def: $vgpr15_vgpr16
	s_cbranch_execz .LBB1400_205
; %bb.126:
	s_add_u32 s2, s30, s44
	s_addc_u32 s3, s31, 0
	s_sub_u32 s2, s28, s2
	s_subb_u32 s3, s29, s3
	v_mov_b32_e32 v2, s3
	v_add_co_u32_e32 v15, vcc, s2, v1
	v_addc_co_u32_e32 v2, vcc, 0, v2, vcc
	v_add_co_u32_e32 v23, vcc, v15, v17
	v_addc_co_u32_e32 v32, vcc, v2, v18, vcc
	v_cmp_gt_u32_e32 vcc, s33, v0
	s_and_saveexec_b64 s[2:3], vcc
	s_cbranch_execz .LBB1400_162
; %bb.127:
	v_cmp_ge_u32_e32 vcc, v0, v1
                                        ; implicit-def: $vgpr15_vgpr16
	s_and_saveexec_b64 s[4:5], vcc
	s_xor_b64 s[4:5], exec, s[4:5]
; %bb.128:
	v_not_b32_e32 v2, v0
	v_ashrrev_i32_e32 v16, 31, v2
	v_add_co_u32_e32 v15, vcc, v23, v2
	v_addc_co_u32_e32 v16, vcc, v32, v16, vcc
; %bb.129:
	s_andn2_saveexec_b64 s[4:5], s[4:5]
; %bb.130:
	v_add_co_u32_e32 v15, vcc, v17, v0
	v_addc_co_u32_e32 v16, vcc, 0, v18, vcc
; %bb.131:
	s_or_b64 exec, exec, s[4:5]
	v_lshlrev_b64 v[15:16], 2, v[15:16]
	v_mov_b32_e32 v2, s27
	v_add_co_u32_e32 v15, vcc, s26, v15
	v_addc_co_u32_e32 v16, vcc, v2, v16, vcc
	s_waitcnt lgkmcnt(6)
	global_store_dword v[15:16], v13, off
	s_or_b64 exec, exec, s[2:3]
	v_cmp_gt_u32_e32 vcc, s33, v33
	s_and_saveexec_b64 s[2:3], vcc
	s_cbranch_execnz .LBB1400_163
.LBB1400_132:
	s_or_b64 exec, exec, s[2:3]
	v_cmp_gt_u32_e32 vcc, s33, v31
	s_and_saveexec_b64 s[2:3], vcc
	s_cbranch_execz .LBB1400_168
.LBB1400_133:
	v_cmp_ge_u32_e32 vcc, v31, v1
                                        ; implicit-def: $vgpr13_vgpr14
	s_and_saveexec_b64 s[4:5], vcc
	s_xor_b64 s[4:5], exec, s[4:5]
	s_cbranch_execz .LBB1400_135
; %bb.134:
	v_xor_b32_e32 v2, 0xfffffdff, v0
	s_waitcnt lgkmcnt(6)
	v_ashrrev_i32_e32 v14, 31, v2
	v_add_co_u32_e32 v13, vcc, v23, v2
	v_addc_co_u32_e32 v14, vcc, v32, v14, vcc
                                        ; implicit-def: $vgpr31
.LBB1400_135:
	s_andn2_saveexec_b64 s[4:5], s[4:5]
	s_cbranch_execz .LBB1400_137
; %bb.136:
	s_waitcnt lgkmcnt(6)
	v_add_co_u32_e32 v13, vcc, v17, v31
	v_addc_co_u32_e32 v14, vcc, 0, v18, vcc
.LBB1400_137:
	s_or_b64 exec, exec, s[4:5]
	s_waitcnt lgkmcnt(6)
	v_lshlrev_b64 v[13:14], 2, v[13:14]
	v_mov_b32_e32 v2, s27
	v_add_co_u32_e32 v13, vcc, s26, v13
	v_addc_co_u32_e32 v14, vcc, v2, v14, vcc
	s_waitcnt lgkmcnt(5)
	global_store_dword v[13:14], v11, off
	s_or_b64 exec, exec, s[2:3]
	v_cmp_gt_u32_e32 vcc, s33, v30
	s_and_saveexec_b64 s[2:3], vcc
	s_cbranch_execnz .LBB1400_169
.LBB1400_138:
	s_or_b64 exec, exec, s[2:3]
	v_cmp_gt_u32_e32 vcc, s33, v29
	s_and_saveexec_b64 s[2:3], vcc
	s_cbranch_execz .LBB1400_174
.LBB1400_139:
	v_cmp_ge_u32_e32 vcc, v29, v1
                                        ; implicit-def: $vgpr11_vgpr12
	s_and_saveexec_b64 s[4:5], vcc
	s_xor_b64 s[4:5], exec, s[4:5]
	s_cbranch_execz .LBB1400_141
; %bb.140:
	v_xor_b32_e32 v2, 0xfffffbff, v0
	s_waitcnt lgkmcnt(5)
	v_ashrrev_i32_e32 v12, 31, v2
	v_add_co_u32_e32 v11, vcc, v23, v2
	v_addc_co_u32_e32 v12, vcc, v32, v12, vcc
                                        ; implicit-def: $vgpr29
.LBB1400_141:
	s_andn2_saveexec_b64 s[4:5], s[4:5]
	s_cbranch_execz .LBB1400_143
; %bb.142:
	s_waitcnt lgkmcnt(5)
	v_add_co_u32_e32 v11, vcc, v17, v29
	v_addc_co_u32_e32 v12, vcc, 0, v18, vcc
.LBB1400_143:
	s_or_b64 exec, exec, s[4:5]
	s_waitcnt lgkmcnt(5)
	v_lshlrev_b64 v[11:12], 2, v[11:12]
	v_mov_b32_e32 v2, s27
	v_add_co_u32_e32 v11, vcc, s26, v11
	v_addc_co_u32_e32 v12, vcc, v2, v12, vcc
	s_waitcnt lgkmcnt(4)
	global_store_dword v[11:12], v9, off
	s_or_b64 exec, exec, s[2:3]
	v_cmp_gt_u32_e32 vcc, s33, v28
	s_and_saveexec_b64 s[2:3], vcc
	s_cbranch_execnz .LBB1400_175
.LBB1400_144:
	s_or_b64 exec, exec, s[2:3]
	v_cmp_gt_u32_e32 vcc, s33, v27
	s_and_saveexec_b64 s[2:3], vcc
	s_cbranch_execz .LBB1400_180
.LBB1400_145:
	v_cmp_ge_u32_e32 vcc, v27, v1
                                        ; implicit-def: $vgpr9_vgpr10
	s_and_saveexec_b64 s[4:5], vcc
	s_xor_b64 s[4:5], exec, s[4:5]
	s_cbranch_execz .LBB1400_147
; %bb.146:
	v_xor_b32_e32 v2, 0xfffff9ff, v0
	s_waitcnt lgkmcnt(4)
	v_ashrrev_i32_e32 v10, 31, v2
	v_add_co_u32_e32 v9, vcc, v23, v2
	v_addc_co_u32_e32 v10, vcc, v32, v10, vcc
                                        ; implicit-def: $vgpr27
.LBB1400_147:
	s_andn2_saveexec_b64 s[4:5], s[4:5]
	s_cbranch_execz .LBB1400_149
; %bb.148:
	s_waitcnt lgkmcnt(4)
	v_add_co_u32_e32 v9, vcc, v17, v27
	v_addc_co_u32_e32 v10, vcc, 0, v18, vcc
.LBB1400_149:
	s_or_b64 exec, exec, s[4:5]
	s_waitcnt lgkmcnt(4)
	v_lshlrev_b64 v[9:10], 2, v[9:10]
	v_mov_b32_e32 v2, s27
	v_add_co_u32_e32 v9, vcc, s26, v9
	v_addc_co_u32_e32 v10, vcc, v2, v10, vcc
	s_waitcnt lgkmcnt(3)
	global_store_dword v[9:10], v7, off
	s_or_b64 exec, exec, s[2:3]
	v_cmp_gt_u32_e32 vcc, s33, v26
	s_and_saveexec_b64 s[2:3], vcc
	s_cbranch_execnz .LBB1400_181
.LBB1400_150:
	s_or_b64 exec, exec, s[2:3]
	v_cmp_gt_u32_e32 vcc, s33, v25
	s_and_saveexec_b64 s[2:3], vcc
	s_cbranch_execz .LBB1400_186
.LBB1400_151:
	v_cmp_ge_u32_e32 vcc, v25, v1
                                        ; implicit-def: $vgpr7_vgpr8
	s_and_saveexec_b64 s[4:5], vcc
	s_xor_b64 s[4:5], exec, s[4:5]
	s_cbranch_execz .LBB1400_153
; %bb.152:
	v_xor_b32_e32 v2, 0xfffff7ff, v0
	s_waitcnt lgkmcnt(3)
	v_ashrrev_i32_e32 v8, 31, v2
	v_add_co_u32_e32 v7, vcc, v23, v2
	v_addc_co_u32_e32 v8, vcc, v32, v8, vcc
                                        ; implicit-def: $vgpr25
.LBB1400_153:
	s_andn2_saveexec_b64 s[4:5], s[4:5]
	s_cbranch_execz .LBB1400_155
; %bb.154:
	s_waitcnt lgkmcnt(3)
	v_add_co_u32_e32 v7, vcc, v17, v25
	v_addc_co_u32_e32 v8, vcc, 0, v18, vcc
.LBB1400_155:
	s_or_b64 exec, exec, s[4:5]
	s_waitcnt lgkmcnt(3)
	v_lshlrev_b64 v[7:8], 2, v[7:8]
	v_mov_b32_e32 v2, s27
	v_add_co_u32_e32 v7, vcc, s26, v7
	v_addc_co_u32_e32 v8, vcc, v2, v8, vcc
	s_waitcnt lgkmcnt(2)
	global_store_dword v[7:8], v5, off
	s_or_b64 exec, exec, s[2:3]
	v_cmp_gt_u32_e32 vcc, s33, v24
	s_and_saveexec_b64 s[2:3], vcc
	s_cbranch_execnz .LBB1400_187
.LBB1400_156:
	s_or_b64 exec, exec, s[2:3]
	v_cmp_gt_u32_e32 vcc, s33, v22
	s_and_saveexec_b64 s[2:3], vcc
	s_cbranch_execz .LBB1400_192
.LBB1400_157:
	v_cmp_ge_u32_e32 vcc, v22, v1
                                        ; implicit-def: $vgpr5_vgpr6
	s_and_saveexec_b64 s[4:5], vcc
	s_xor_b64 s[4:5], exec, s[4:5]
	s_cbranch_execz .LBB1400_159
; %bb.158:
	v_xor_b32_e32 v2, 0xfffff5ff, v0
	s_waitcnt lgkmcnt(2)
	v_ashrrev_i32_e32 v6, 31, v2
	v_add_co_u32_e32 v5, vcc, v23, v2
	v_addc_co_u32_e32 v6, vcc, v32, v6, vcc
                                        ; implicit-def: $vgpr22
.LBB1400_159:
	s_andn2_saveexec_b64 s[4:5], s[4:5]
	s_cbranch_execz .LBB1400_161
; %bb.160:
	s_waitcnt lgkmcnt(2)
	v_add_co_u32_e32 v5, vcc, v17, v22
	v_addc_co_u32_e32 v6, vcc, 0, v18, vcc
.LBB1400_161:
	s_or_b64 exec, exec, s[4:5]
	s_waitcnt lgkmcnt(2)
	v_lshlrev_b64 v[5:6], 2, v[5:6]
	v_mov_b32_e32 v2, s27
	v_add_co_u32_e32 v5, vcc, s26, v5
	v_addc_co_u32_e32 v6, vcc, v2, v6, vcc
	s_waitcnt lgkmcnt(1)
	global_store_dword v[5:6], v3, off
	s_or_b64 exec, exec, s[2:3]
	v_cmp_gt_u32_e32 vcc, s33, v21
	s_and_saveexec_b64 s[2:3], vcc
	s_cbranch_execz .LBB1400_198
	s_branch .LBB1400_193
.LBB1400_162:
	s_or_b64 exec, exec, s[2:3]
	v_cmp_gt_u32_e32 vcc, s33, v33
	s_and_saveexec_b64 s[2:3], vcc
	s_cbranch_execz .LBB1400_132
.LBB1400_163:
	v_cmp_ge_u32_e32 vcc, v33, v1
                                        ; implicit-def: $vgpr15_vgpr16
	s_and_saveexec_b64 s[4:5], vcc
	s_xor_b64 s[4:5], exec, s[4:5]
	s_cbranch_execz .LBB1400_165
; %bb.164:
	v_xor_b32_e32 v2, 0xfffffeff, v0
	s_waitcnt lgkmcnt(6)
	v_ashrrev_i32_e32 v13, 31, v2
	v_add_co_u32_e32 v15, vcc, v23, v2
	v_addc_co_u32_e32 v16, vcc, v32, v13, vcc
                                        ; implicit-def: $vgpr33
.LBB1400_165:
	s_andn2_saveexec_b64 s[4:5], s[4:5]
; %bb.166:
	v_add_co_u32_e32 v15, vcc, v17, v33
	v_addc_co_u32_e32 v16, vcc, 0, v18, vcc
; %bb.167:
	s_or_b64 exec, exec, s[4:5]
	v_lshlrev_b64 v[15:16], 2, v[15:16]
	v_mov_b32_e32 v2, s27
	v_add_co_u32_e32 v15, vcc, s26, v15
	v_addc_co_u32_e32 v16, vcc, v2, v16, vcc
	s_waitcnt lgkmcnt(6)
	global_store_dword v[15:16], v14, off
	s_or_b64 exec, exec, s[2:3]
	v_cmp_gt_u32_e32 vcc, s33, v31
	s_and_saveexec_b64 s[2:3], vcc
	s_cbranch_execnz .LBB1400_133
.LBB1400_168:
	s_or_b64 exec, exec, s[2:3]
	v_cmp_gt_u32_e32 vcc, s33, v30
	s_and_saveexec_b64 s[2:3], vcc
	s_cbranch_execz .LBB1400_138
.LBB1400_169:
	v_cmp_ge_u32_e32 vcc, v30, v1
                                        ; implicit-def: $vgpr13_vgpr14
	s_and_saveexec_b64 s[4:5], vcc
	s_xor_b64 s[4:5], exec, s[4:5]
	s_cbranch_execz .LBB1400_171
; %bb.170:
	v_xor_b32_e32 v2, 0xfffffcff, v0
	s_waitcnt lgkmcnt(5)
	v_ashrrev_i32_e32 v11, 31, v2
	v_add_co_u32_e32 v13, vcc, v23, v2
	v_addc_co_u32_e32 v14, vcc, v32, v11, vcc
                                        ; implicit-def: $vgpr30
.LBB1400_171:
	s_andn2_saveexec_b64 s[4:5], s[4:5]
	s_cbranch_execz .LBB1400_173
; %bb.172:
	s_waitcnt lgkmcnt(6)
	v_add_co_u32_e32 v13, vcc, v17, v30
	v_addc_co_u32_e32 v14, vcc, 0, v18, vcc
.LBB1400_173:
	s_or_b64 exec, exec, s[4:5]
	s_waitcnt lgkmcnt(6)
	v_lshlrev_b64 v[13:14], 2, v[13:14]
	v_mov_b32_e32 v2, s27
	v_add_co_u32_e32 v13, vcc, s26, v13
	v_addc_co_u32_e32 v14, vcc, v2, v14, vcc
	s_waitcnt lgkmcnt(5)
	global_store_dword v[13:14], v12, off
	s_or_b64 exec, exec, s[2:3]
	v_cmp_gt_u32_e32 vcc, s33, v29
	s_and_saveexec_b64 s[2:3], vcc
	s_cbranch_execnz .LBB1400_139
.LBB1400_174:
	s_or_b64 exec, exec, s[2:3]
	v_cmp_gt_u32_e32 vcc, s33, v28
	s_and_saveexec_b64 s[2:3], vcc
	s_cbranch_execz .LBB1400_144
.LBB1400_175:
	v_cmp_ge_u32_e32 vcc, v28, v1
                                        ; implicit-def: $vgpr11_vgpr12
	s_and_saveexec_b64 s[4:5], vcc
	s_xor_b64 s[4:5], exec, s[4:5]
	s_cbranch_execz .LBB1400_177
; %bb.176:
	v_xor_b32_e32 v2, 0xfffffaff, v0
	s_waitcnt lgkmcnt(4)
	v_ashrrev_i32_e32 v9, 31, v2
	v_add_co_u32_e32 v11, vcc, v23, v2
	v_addc_co_u32_e32 v12, vcc, v32, v9, vcc
                                        ; implicit-def: $vgpr28
.LBB1400_177:
	s_andn2_saveexec_b64 s[4:5], s[4:5]
	s_cbranch_execz .LBB1400_179
; %bb.178:
	s_waitcnt lgkmcnt(5)
	v_add_co_u32_e32 v11, vcc, v17, v28
	v_addc_co_u32_e32 v12, vcc, 0, v18, vcc
.LBB1400_179:
	s_or_b64 exec, exec, s[4:5]
	s_waitcnt lgkmcnt(5)
	v_lshlrev_b64 v[11:12], 2, v[11:12]
	v_mov_b32_e32 v2, s27
	v_add_co_u32_e32 v11, vcc, s26, v11
	v_addc_co_u32_e32 v12, vcc, v2, v12, vcc
	s_waitcnt lgkmcnt(4)
	global_store_dword v[11:12], v10, off
	s_or_b64 exec, exec, s[2:3]
	v_cmp_gt_u32_e32 vcc, s33, v27
	s_and_saveexec_b64 s[2:3], vcc
	s_cbranch_execnz .LBB1400_145
.LBB1400_180:
	s_or_b64 exec, exec, s[2:3]
	v_cmp_gt_u32_e32 vcc, s33, v26
	s_and_saveexec_b64 s[2:3], vcc
	s_cbranch_execz .LBB1400_150
.LBB1400_181:
	v_cmp_ge_u32_e32 vcc, v26, v1
                                        ; implicit-def: $vgpr9_vgpr10
	s_and_saveexec_b64 s[4:5], vcc
	s_xor_b64 s[4:5], exec, s[4:5]
	s_cbranch_execz .LBB1400_183
; %bb.182:
	v_xor_b32_e32 v2, 0xfffff8ff, v0
	s_waitcnt lgkmcnt(3)
	v_ashrrev_i32_e32 v7, 31, v2
	v_add_co_u32_e32 v9, vcc, v23, v2
	v_addc_co_u32_e32 v10, vcc, v32, v7, vcc
                                        ; implicit-def: $vgpr26
.LBB1400_183:
	s_andn2_saveexec_b64 s[4:5], s[4:5]
	s_cbranch_execz .LBB1400_185
; %bb.184:
	s_waitcnt lgkmcnt(4)
	v_add_co_u32_e32 v9, vcc, v17, v26
	v_addc_co_u32_e32 v10, vcc, 0, v18, vcc
.LBB1400_185:
	s_or_b64 exec, exec, s[4:5]
	s_waitcnt lgkmcnt(4)
	v_lshlrev_b64 v[9:10], 2, v[9:10]
	v_mov_b32_e32 v2, s27
	v_add_co_u32_e32 v9, vcc, s26, v9
	v_addc_co_u32_e32 v10, vcc, v2, v10, vcc
	s_waitcnt lgkmcnt(3)
	global_store_dword v[9:10], v8, off
	s_or_b64 exec, exec, s[2:3]
	v_cmp_gt_u32_e32 vcc, s33, v25
	s_and_saveexec_b64 s[2:3], vcc
	s_cbranch_execnz .LBB1400_151
.LBB1400_186:
	s_or_b64 exec, exec, s[2:3]
	v_cmp_gt_u32_e32 vcc, s33, v24
	s_and_saveexec_b64 s[2:3], vcc
	s_cbranch_execz .LBB1400_156
.LBB1400_187:
	v_cmp_ge_u32_e32 vcc, v24, v1
                                        ; implicit-def: $vgpr7_vgpr8
	s_and_saveexec_b64 s[4:5], vcc
	s_xor_b64 s[4:5], exec, s[4:5]
	s_cbranch_execz .LBB1400_189
; %bb.188:
	v_xor_b32_e32 v2, 0xfffff6ff, v0
	s_waitcnt lgkmcnt(2)
	v_ashrrev_i32_e32 v5, 31, v2
	v_add_co_u32_e32 v7, vcc, v23, v2
	v_addc_co_u32_e32 v8, vcc, v32, v5, vcc
                                        ; implicit-def: $vgpr24
.LBB1400_189:
	s_andn2_saveexec_b64 s[4:5], s[4:5]
	s_cbranch_execz .LBB1400_191
; %bb.190:
	s_waitcnt lgkmcnt(3)
	v_add_co_u32_e32 v7, vcc, v17, v24
	v_addc_co_u32_e32 v8, vcc, 0, v18, vcc
.LBB1400_191:
	s_or_b64 exec, exec, s[4:5]
	s_waitcnt lgkmcnt(3)
	v_lshlrev_b64 v[7:8], 2, v[7:8]
	v_mov_b32_e32 v2, s27
	v_add_co_u32_e32 v7, vcc, s26, v7
	v_addc_co_u32_e32 v8, vcc, v2, v8, vcc
	s_waitcnt lgkmcnt(2)
	global_store_dword v[7:8], v6, off
	s_or_b64 exec, exec, s[2:3]
	v_cmp_gt_u32_e32 vcc, s33, v22
	s_and_saveexec_b64 s[2:3], vcc
	s_cbranch_execnz .LBB1400_157
.LBB1400_192:
	s_or_b64 exec, exec, s[2:3]
	v_cmp_gt_u32_e32 vcc, s33, v21
	s_and_saveexec_b64 s[2:3], vcc
	s_cbranch_execz .LBB1400_198
.LBB1400_193:
	v_cmp_ge_u32_e32 vcc, v21, v1
                                        ; implicit-def: $vgpr2_vgpr3
	s_and_saveexec_b64 s[4:5], vcc
	s_xor_b64 s[4:5], exec, s[4:5]
	s_cbranch_execz .LBB1400_195
; %bb.194:
	v_xor_b32_e32 v2, 0xfffff4ff, v0
	s_waitcnt lgkmcnt(1)
	v_ashrrev_i32_e32 v3, 31, v2
	v_add_co_u32_e32 v2, vcc, v23, v2
	v_addc_co_u32_e32 v3, vcc, v32, v3, vcc
                                        ; implicit-def: $vgpr21
.LBB1400_195:
	s_andn2_saveexec_b64 s[4:5], s[4:5]
	s_cbranch_execz .LBB1400_197
; %bb.196:
	v_add_co_u32_e32 v2, vcc, v17, v21
	s_waitcnt lgkmcnt(1)
	v_addc_co_u32_e32 v3, vcc, 0, v18, vcc
.LBB1400_197:
	s_or_b64 exec, exec, s[4:5]
	s_waitcnt lgkmcnt(1)
	v_lshlrev_b64 v[2:3], 2, v[2:3]
	v_mov_b32_e32 v5, s27
	v_add_co_u32_e32 v2, vcc, s26, v2
	v_addc_co_u32_e32 v3, vcc, v5, v3, vcc
	global_store_dword v[2:3], v4, off
.LBB1400_198:
	s_or_b64 exec, exec, s[2:3]
	v_cmp_gt_u32_e32 vcc, s33, v20
                                        ; implicit-def: $vgpr15_vgpr16
	s_and_saveexec_b64 s[2:3], vcc
	s_cbranch_execz .LBB1400_204
; %bb.199:
	v_cmp_ge_u32_e32 vcc, v20, v1
                                        ; implicit-def: $vgpr15_vgpr16
	s_and_saveexec_b64 s[4:5], vcc
	s_xor_b64 s[4:5], exec, s[4:5]
	s_cbranch_execz .LBB1400_201
; %bb.200:
	v_xor_b32_e32 v2, 0xfffff3ff, v0
	s_waitcnt lgkmcnt(1)
	v_ashrrev_i32_e32 v3, 31, v2
	v_add_co_u32_e32 v15, vcc, v23, v2
	v_addc_co_u32_e32 v16, vcc, v32, v3, vcc
                                        ; implicit-def: $vgpr20
.LBB1400_201:
	s_andn2_saveexec_b64 s[4:5], s[4:5]
; %bb.202:
	v_add_co_u32_e32 v15, vcc, v17, v20
	v_addc_co_u32_e32 v16, vcc, 0, v18, vcc
; %bb.203:
	s_or_b64 exec, exec, s[4:5]
	s_or_b64 s[0:1], s[0:1], exec
.LBB1400_204:
	s_or_b64 exec, exec, s[2:3]
.LBB1400_205:
	s_and_saveexec_b64 s[2:3], s[0:1]
	s_cbranch_execz .LBB1400_207
; %bb.206:
	s_waitcnt lgkmcnt(1)
	v_lshlrev_b64 v[2:3], 2, v[15:16]
	v_mov_b32_e32 v4, s27
	v_add_co_u32_e32 v2, vcc, s26, v2
	v_addc_co_u32_e32 v3, vcc, v4, v3, vcc
	s_waitcnt lgkmcnt(0)
	global_store_dword v[2:3], v19, off
.LBB1400_207:
	s_or_b64 exec, exec, s[2:3]
	v_cmp_eq_u32_e32 vcc, 0, v0
	s_and_b64 s[0:1], vcc, s[22:23]
	s_and_saveexec_b64 s[2:3], s[0:1]
	s_cbranch_execz .LBB1400_209
; %bb.208:
	v_add_co_u32_e32 v0, vcc, v17, v1
	v_mov_b32_e32 v2, 0
	v_addc_co_u32_e32 v1, vcc, 0, v18, vcc
	global_store_dwordx2 v2, v[0:1], s[24:25]
.LBB1400_209:
	s_endpgm
	.section	.rodata,"a",@progbits
	.p2align	6, 0x0
	.amdhsa_kernel _ZN7rocprim17ROCPRIM_400000_NS6detail17trampoline_kernelINS0_13select_configILj256ELj13ELNS0_17block_load_methodE3ELS4_3ELS4_3ELNS0_20block_scan_algorithmE0ELj4294967295EEENS1_25partition_config_selectorILNS1_17partition_subalgoE3EjNS0_10empty_typeEbEEZZNS1_14partition_implILS8_3ELb0ES6_jNS0_17counting_iteratorIjlEEPS9_SE_NS0_5tupleIJPjSE_EEENSF_IJSE_SE_EEES9_SG_JZNS1_25segmented_radix_sort_implINS0_14default_configELb0EPKfPfPKlPlN2at6native12_GLOBAL__N_18offset_tEEE10hipError_tPvRmT1_PNSt15iterator_traitsISY_E10value_typeET2_T3_PNSZ_IS14_E10value_typeET4_jRbjT5_S1A_jjP12ihipStream_tbEUljE_EEESV_SW_SX_S14_S18_S1A_T6_T7_T9_mT8_S1C_bDpT10_ENKUlT_T0_E_clISt17integral_constantIbLb0EES1P_EEDaS1K_S1L_EUlS1K_E_NS1_11comp_targetILNS1_3genE2ELNS1_11target_archE906ELNS1_3gpuE6ELNS1_3repE0EEENS1_30default_config_static_selectorELNS0_4arch9wavefront6targetE1EEEvSY_
		.amdhsa_group_segment_fixed_size 13320
		.amdhsa_private_segment_fixed_size 0
		.amdhsa_kernarg_size 144
		.amdhsa_user_sgpr_count 6
		.amdhsa_user_sgpr_private_segment_buffer 1
		.amdhsa_user_sgpr_dispatch_ptr 0
		.amdhsa_user_sgpr_queue_ptr 0
		.amdhsa_user_sgpr_kernarg_segment_ptr 1
		.amdhsa_user_sgpr_dispatch_id 0
		.amdhsa_user_sgpr_flat_scratch_init 0
		.amdhsa_user_sgpr_private_segment_size 0
		.amdhsa_uses_dynamic_stack 0
		.amdhsa_system_sgpr_private_segment_wavefront_offset 0
		.amdhsa_system_sgpr_workgroup_id_x 1
		.amdhsa_system_sgpr_workgroup_id_y 0
		.amdhsa_system_sgpr_workgroup_id_z 0
		.amdhsa_system_sgpr_workgroup_info 0
		.amdhsa_system_vgpr_workitem_id 0
		.amdhsa_next_free_vgpr 69
		.amdhsa_next_free_sgpr 98
		.amdhsa_reserve_vcc 1
		.amdhsa_reserve_flat_scratch 0
		.amdhsa_float_round_mode_32 0
		.amdhsa_float_round_mode_16_64 0
		.amdhsa_float_denorm_mode_32 3
		.amdhsa_float_denorm_mode_16_64 3
		.amdhsa_dx10_clamp 1
		.amdhsa_ieee_mode 1
		.amdhsa_fp16_overflow 0
		.amdhsa_exception_fp_ieee_invalid_op 0
		.amdhsa_exception_fp_denorm_src 0
		.amdhsa_exception_fp_ieee_div_zero 0
		.amdhsa_exception_fp_ieee_overflow 0
		.amdhsa_exception_fp_ieee_underflow 0
		.amdhsa_exception_fp_ieee_inexact 0
		.amdhsa_exception_int_div_zero 0
	.end_amdhsa_kernel
	.section	.text._ZN7rocprim17ROCPRIM_400000_NS6detail17trampoline_kernelINS0_13select_configILj256ELj13ELNS0_17block_load_methodE3ELS4_3ELS4_3ELNS0_20block_scan_algorithmE0ELj4294967295EEENS1_25partition_config_selectorILNS1_17partition_subalgoE3EjNS0_10empty_typeEbEEZZNS1_14partition_implILS8_3ELb0ES6_jNS0_17counting_iteratorIjlEEPS9_SE_NS0_5tupleIJPjSE_EEENSF_IJSE_SE_EEES9_SG_JZNS1_25segmented_radix_sort_implINS0_14default_configELb0EPKfPfPKlPlN2at6native12_GLOBAL__N_18offset_tEEE10hipError_tPvRmT1_PNSt15iterator_traitsISY_E10value_typeET2_T3_PNSZ_IS14_E10value_typeET4_jRbjT5_S1A_jjP12ihipStream_tbEUljE_EEESV_SW_SX_S14_S18_S1A_T6_T7_T9_mT8_S1C_bDpT10_ENKUlT_T0_E_clISt17integral_constantIbLb0EES1P_EEDaS1K_S1L_EUlS1K_E_NS1_11comp_targetILNS1_3genE2ELNS1_11target_archE906ELNS1_3gpuE6ELNS1_3repE0EEENS1_30default_config_static_selectorELNS0_4arch9wavefront6targetE1EEEvSY_,"axG",@progbits,_ZN7rocprim17ROCPRIM_400000_NS6detail17trampoline_kernelINS0_13select_configILj256ELj13ELNS0_17block_load_methodE3ELS4_3ELS4_3ELNS0_20block_scan_algorithmE0ELj4294967295EEENS1_25partition_config_selectorILNS1_17partition_subalgoE3EjNS0_10empty_typeEbEEZZNS1_14partition_implILS8_3ELb0ES6_jNS0_17counting_iteratorIjlEEPS9_SE_NS0_5tupleIJPjSE_EEENSF_IJSE_SE_EEES9_SG_JZNS1_25segmented_radix_sort_implINS0_14default_configELb0EPKfPfPKlPlN2at6native12_GLOBAL__N_18offset_tEEE10hipError_tPvRmT1_PNSt15iterator_traitsISY_E10value_typeET2_T3_PNSZ_IS14_E10value_typeET4_jRbjT5_S1A_jjP12ihipStream_tbEUljE_EEESV_SW_SX_S14_S18_S1A_T6_T7_T9_mT8_S1C_bDpT10_ENKUlT_T0_E_clISt17integral_constantIbLb0EES1P_EEDaS1K_S1L_EUlS1K_E_NS1_11comp_targetILNS1_3genE2ELNS1_11target_archE906ELNS1_3gpuE6ELNS1_3repE0EEENS1_30default_config_static_selectorELNS0_4arch9wavefront6targetE1EEEvSY_,comdat
.Lfunc_end1400:
	.size	_ZN7rocprim17ROCPRIM_400000_NS6detail17trampoline_kernelINS0_13select_configILj256ELj13ELNS0_17block_load_methodE3ELS4_3ELS4_3ELNS0_20block_scan_algorithmE0ELj4294967295EEENS1_25partition_config_selectorILNS1_17partition_subalgoE3EjNS0_10empty_typeEbEEZZNS1_14partition_implILS8_3ELb0ES6_jNS0_17counting_iteratorIjlEEPS9_SE_NS0_5tupleIJPjSE_EEENSF_IJSE_SE_EEES9_SG_JZNS1_25segmented_radix_sort_implINS0_14default_configELb0EPKfPfPKlPlN2at6native12_GLOBAL__N_18offset_tEEE10hipError_tPvRmT1_PNSt15iterator_traitsISY_E10value_typeET2_T3_PNSZ_IS14_E10value_typeET4_jRbjT5_S1A_jjP12ihipStream_tbEUljE_EEESV_SW_SX_S14_S18_S1A_T6_T7_T9_mT8_S1C_bDpT10_ENKUlT_T0_E_clISt17integral_constantIbLb0EES1P_EEDaS1K_S1L_EUlS1K_E_NS1_11comp_targetILNS1_3genE2ELNS1_11target_archE906ELNS1_3gpuE6ELNS1_3repE0EEENS1_30default_config_static_selectorELNS0_4arch9wavefront6targetE1EEEvSY_, .Lfunc_end1400-_ZN7rocprim17ROCPRIM_400000_NS6detail17trampoline_kernelINS0_13select_configILj256ELj13ELNS0_17block_load_methodE3ELS4_3ELS4_3ELNS0_20block_scan_algorithmE0ELj4294967295EEENS1_25partition_config_selectorILNS1_17partition_subalgoE3EjNS0_10empty_typeEbEEZZNS1_14partition_implILS8_3ELb0ES6_jNS0_17counting_iteratorIjlEEPS9_SE_NS0_5tupleIJPjSE_EEENSF_IJSE_SE_EEES9_SG_JZNS1_25segmented_radix_sort_implINS0_14default_configELb0EPKfPfPKlPlN2at6native12_GLOBAL__N_18offset_tEEE10hipError_tPvRmT1_PNSt15iterator_traitsISY_E10value_typeET2_T3_PNSZ_IS14_E10value_typeET4_jRbjT5_S1A_jjP12ihipStream_tbEUljE_EEESV_SW_SX_S14_S18_S1A_T6_T7_T9_mT8_S1C_bDpT10_ENKUlT_T0_E_clISt17integral_constantIbLb0EES1P_EEDaS1K_S1L_EUlS1K_E_NS1_11comp_targetILNS1_3genE2ELNS1_11target_archE906ELNS1_3gpuE6ELNS1_3repE0EEENS1_30default_config_static_selectorELNS0_4arch9wavefront6targetE1EEEvSY_
                                        ; -- End function
	.set _ZN7rocprim17ROCPRIM_400000_NS6detail17trampoline_kernelINS0_13select_configILj256ELj13ELNS0_17block_load_methodE3ELS4_3ELS4_3ELNS0_20block_scan_algorithmE0ELj4294967295EEENS1_25partition_config_selectorILNS1_17partition_subalgoE3EjNS0_10empty_typeEbEEZZNS1_14partition_implILS8_3ELb0ES6_jNS0_17counting_iteratorIjlEEPS9_SE_NS0_5tupleIJPjSE_EEENSF_IJSE_SE_EEES9_SG_JZNS1_25segmented_radix_sort_implINS0_14default_configELb0EPKfPfPKlPlN2at6native12_GLOBAL__N_18offset_tEEE10hipError_tPvRmT1_PNSt15iterator_traitsISY_E10value_typeET2_T3_PNSZ_IS14_E10value_typeET4_jRbjT5_S1A_jjP12ihipStream_tbEUljE_EEESV_SW_SX_S14_S18_S1A_T6_T7_T9_mT8_S1C_bDpT10_ENKUlT_T0_E_clISt17integral_constantIbLb0EES1P_EEDaS1K_S1L_EUlS1K_E_NS1_11comp_targetILNS1_3genE2ELNS1_11target_archE906ELNS1_3gpuE6ELNS1_3repE0EEENS1_30default_config_static_selectorELNS0_4arch9wavefront6targetE1EEEvSY_.num_vgpr, 69
	.set _ZN7rocprim17ROCPRIM_400000_NS6detail17trampoline_kernelINS0_13select_configILj256ELj13ELNS0_17block_load_methodE3ELS4_3ELS4_3ELNS0_20block_scan_algorithmE0ELj4294967295EEENS1_25partition_config_selectorILNS1_17partition_subalgoE3EjNS0_10empty_typeEbEEZZNS1_14partition_implILS8_3ELb0ES6_jNS0_17counting_iteratorIjlEEPS9_SE_NS0_5tupleIJPjSE_EEENSF_IJSE_SE_EEES9_SG_JZNS1_25segmented_radix_sort_implINS0_14default_configELb0EPKfPfPKlPlN2at6native12_GLOBAL__N_18offset_tEEE10hipError_tPvRmT1_PNSt15iterator_traitsISY_E10value_typeET2_T3_PNSZ_IS14_E10value_typeET4_jRbjT5_S1A_jjP12ihipStream_tbEUljE_EEESV_SW_SX_S14_S18_S1A_T6_T7_T9_mT8_S1C_bDpT10_ENKUlT_T0_E_clISt17integral_constantIbLb0EES1P_EEDaS1K_S1L_EUlS1K_E_NS1_11comp_targetILNS1_3genE2ELNS1_11target_archE906ELNS1_3gpuE6ELNS1_3repE0EEENS1_30default_config_static_selectorELNS0_4arch9wavefront6targetE1EEEvSY_.num_agpr, 0
	.set _ZN7rocprim17ROCPRIM_400000_NS6detail17trampoline_kernelINS0_13select_configILj256ELj13ELNS0_17block_load_methodE3ELS4_3ELS4_3ELNS0_20block_scan_algorithmE0ELj4294967295EEENS1_25partition_config_selectorILNS1_17partition_subalgoE3EjNS0_10empty_typeEbEEZZNS1_14partition_implILS8_3ELb0ES6_jNS0_17counting_iteratorIjlEEPS9_SE_NS0_5tupleIJPjSE_EEENSF_IJSE_SE_EEES9_SG_JZNS1_25segmented_radix_sort_implINS0_14default_configELb0EPKfPfPKlPlN2at6native12_GLOBAL__N_18offset_tEEE10hipError_tPvRmT1_PNSt15iterator_traitsISY_E10value_typeET2_T3_PNSZ_IS14_E10value_typeET4_jRbjT5_S1A_jjP12ihipStream_tbEUljE_EEESV_SW_SX_S14_S18_S1A_T6_T7_T9_mT8_S1C_bDpT10_ENKUlT_T0_E_clISt17integral_constantIbLb0EES1P_EEDaS1K_S1L_EUlS1K_E_NS1_11comp_targetILNS1_3genE2ELNS1_11target_archE906ELNS1_3gpuE6ELNS1_3repE0EEENS1_30default_config_static_selectorELNS0_4arch9wavefront6targetE1EEEvSY_.numbered_sgpr, 48
	.set _ZN7rocprim17ROCPRIM_400000_NS6detail17trampoline_kernelINS0_13select_configILj256ELj13ELNS0_17block_load_methodE3ELS4_3ELS4_3ELNS0_20block_scan_algorithmE0ELj4294967295EEENS1_25partition_config_selectorILNS1_17partition_subalgoE3EjNS0_10empty_typeEbEEZZNS1_14partition_implILS8_3ELb0ES6_jNS0_17counting_iteratorIjlEEPS9_SE_NS0_5tupleIJPjSE_EEENSF_IJSE_SE_EEES9_SG_JZNS1_25segmented_radix_sort_implINS0_14default_configELb0EPKfPfPKlPlN2at6native12_GLOBAL__N_18offset_tEEE10hipError_tPvRmT1_PNSt15iterator_traitsISY_E10value_typeET2_T3_PNSZ_IS14_E10value_typeET4_jRbjT5_S1A_jjP12ihipStream_tbEUljE_EEESV_SW_SX_S14_S18_S1A_T6_T7_T9_mT8_S1C_bDpT10_ENKUlT_T0_E_clISt17integral_constantIbLb0EES1P_EEDaS1K_S1L_EUlS1K_E_NS1_11comp_targetILNS1_3genE2ELNS1_11target_archE906ELNS1_3gpuE6ELNS1_3repE0EEENS1_30default_config_static_selectorELNS0_4arch9wavefront6targetE1EEEvSY_.num_named_barrier, 0
	.set _ZN7rocprim17ROCPRIM_400000_NS6detail17trampoline_kernelINS0_13select_configILj256ELj13ELNS0_17block_load_methodE3ELS4_3ELS4_3ELNS0_20block_scan_algorithmE0ELj4294967295EEENS1_25partition_config_selectorILNS1_17partition_subalgoE3EjNS0_10empty_typeEbEEZZNS1_14partition_implILS8_3ELb0ES6_jNS0_17counting_iteratorIjlEEPS9_SE_NS0_5tupleIJPjSE_EEENSF_IJSE_SE_EEES9_SG_JZNS1_25segmented_radix_sort_implINS0_14default_configELb0EPKfPfPKlPlN2at6native12_GLOBAL__N_18offset_tEEE10hipError_tPvRmT1_PNSt15iterator_traitsISY_E10value_typeET2_T3_PNSZ_IS14_E10value_typeET4_jRbjT5_S1A_jjP12ihipStream_tbEUljE_EEESV_SW_SX_S14_S18_S1A_T6_T7_T9_mT8_S1C_bDpT10_ENKUlT_T0_E_clISt17integral_constantIbLb0EES1P_EEDaS1K_S1L_EUlS1K_E_NS1_11comp_targetILNS1_3genE2ELNS1_11target_archE906ELNS1_3gpuE6ELNS1_3repE0EEENS1_30default_config_static_selectorELNS0_4arch9wavefront6targetE1EEEvSY_.private_seg_size, 0
	.set _ZN7rocprim17ROCPRIM_400000_NS6detail17trampoline_kernelINS0_13select_configILj256ELj13ELNS0_17block_load_methodE3ELS4_3ELS4_3ELNS0_20block_scan_algorithmE0ELj4294967295EEENS1_25partition_config_selectorILNS1_17partition_subalgoE3EjNS0_10empty_typeEbEEZZNS1_14partition_implILS8_3ELb0ES6_jNS0_17counting_iteratorIjlEEPS9_SE_NS0_5tupleIJPjSE_EEENSF_IJSE_SE_EEES9_SG_JZNS1_25segmented_radix_sort_implINS0_14default_configELb0EPKfPfPKlPlN2at6native12_GLOBAL__N_18offset_tEEE10hipError_tPvRmT1_PNSt15iterator_traitsISY_E10value_typeET2_T3_PNSZ_IS14_E10value_typeET4_jRbjT5_S1A_jjP12ihipStream_tbEUljE_EEESV_SW_SX_S14_S18_S1A_T6_T7_T9_mT8_S1C_bDpT10_ENKUlT_T0_E_clISt17integral_constantIbLb0EES1P_EEDaS1K_S1L_EUlS1K_E_NS1_11comp_targetILNS1_3genE2ELNS1_11target_archE906ELNS1_3gpuE6ELNS1_3repE0EEENS1_30default_config_static_selectorELNS0_4arch9wavefront6targetE1EEEvSY_.uses_vcc, 1
	.set _ZN7rocprim17ROCPRIM_400000_NS6detail17trampoline_kernelINS0_13select_configILj256ELj13ELNS0_17block_load_methodE3ELS4_3ELS4_3ELNS0_20block_scan_algorithmE0ELj4294967295EEENS1_25partition_config_selectorILNS1_17partition_subalgoE3EjNS0_10empty_typeEbEEZZNS1_14partition_implILS8_3ELb0ES6_jNS0_17counting_iteratorIjlEEPS9_SE_NS0_5tupleIJPjSE_EEENSF_IJSE_SE_EEES9_SG_JZNS1_25segmented_radix_sort_implINS0_14default_configELb0EPKfPfPKlPlN2at6native12_GLOBAL__N_18offset_tEEE10hipError_tPvRmT1_PNSt15iterator_traitsISY_E10value_typeET2_T3_PNSZ_IS14_E10value_typeET4_jRbjT5_S1A_jjP12ihipStream_tbEUljE_EEESV_SW_SX_S14_S18_S1A_T6_T7_T9_mT8_S1C_bDpT10_ENKUlT_T0_E_clISt17integral_constantIbLb0EES1P_EEDaS1K_S1L_EUlS1K_E_NS1_11comp_targetILNS1_3genE2ELNS1_11target_archE906ELNS1_3gpuE6ELNS1_3repE0EEENS1_30default_config_static_selectorELNS0_4arch9wavefront6targetE1EEEvSY_.uses_flat_scratch, 0
	.set _ZN7rocprim17ROCPRIM_400000_NS6detail17trampoline_kernelINS0_13select_configILj256ELj13ELNS0_17block_load_methodE3ELS4_3ELS4_3ELNS0_20block_scan_algorithmE0ELj4294967295EEENS1_25partition_config_selectorILNS1_17partition_subalgoE3EjNS0_10empty_typeEbEEZZNS1_14partition_implILS8_3ELb0ES6_jNS0_17counting_iteratorIjlEEPS9_SE_NS0_5tupleIJPjSE_EEENSF_IJSE_SE_EEES9_SG_JZNS1_25segmented_radix_sort_implINS0_14default_configELb0EPKfPfPKlPlN2at6native12_GLOBAL__N_18offset_tEEE10hipError_tPvRmT1_PNSt15iterator_traitsISY_E10value_typeET2_T3_PNSZ_IS14_E10value_typeET4_jRbjT5_S1A_jjP12ihipStream_tbEUljE_EEESV_SW_SX_S14_S18_S1A_T6_T7_T9_mT8_S1C_bDpT10_ENKUlT_T0_E_clISt17integral_constantIbLb0EES1P_EEDaS1K_S1L_EUlS1K_E_NS1_11comp_targetILNS1_3genE2ELNS1_11target_archE906ELNS1_3gpuE6ELNS1_3repE0EEENS1_30default_config_static_selectorELNS0_4arch9wavefront6targetE1EEEvSY_.has_dyn_sized_stack, 0
	.set _ZN7rocprim17ROCPRIM_400000_NS6detail17trampoline_kernelINS0_13select_configILj256ELj13ELNS0_17block_load_methodE3ELS4_3ELS4_3ELNS0_20block_scan_algorithmE0ELj4294967295EEENS1_25partition_config_selectorILNS1_17partition_subalgoE3EjNS0_10empty_typeEbEEZZNS1_14partition_implILS8_3ELb0ES6_jNS0_17counting_iteratorIjlEEPS9_SE_NS0_5tupleIJPjSE_EEENSF_IJSE_SE_EEES9_SG_JZNS1_25segmented_radix_sort_implINS0_14default_configELb0EPKfPfPKlPlN2at6native12_GLOBAL__N_18offset_tEEE10hipError_tPvRmT1_PNSt15iterator_traitsISY_E10value_typeET2_T3_PNSZ_IS14_E10value_typeET4_jRbjT5_S1A_jjP12ihipStream_tbEUljE_EEESV_SW_SX_S14_S18_S1A_T6_T7_T9_mT8_S1C_bDpT10_ENKUlT_T0_E_clISt17integral_constantIbLb0EES1P_EEDaS1K_S1L_EUlS1K_E_NS1_11comp_targetILNS1_3genE2ELNS1_11target_archE906ELNS1_3gpuE6ELNS1_3repE0EEENS1_30default_config_static_selectorELNS0_4arch9wavefront6targetE1EEEvSY_.has_recursion, 0
	.set _ZN7rocprim17ROCPRIM_400000_NS6detail17trampoline_kernelINS0_13select_configILj256ELj13ELNS0_17block_load_methodE3ELS4_3ELS4_3ELNS0_20block_scan_algorithmE0ELj4294967295EEENS1_25partition_config_selectorILNS1_17partition_subalgoE3EjNS0_10empty_typeEbEEZZNS1_14partition_implILS8_3ELb0ES6_jNS0_17counting_iteratorIjlEEPS9_SE_NS0_5tupleIJPjSE_EEENSF_IJSE_SE_EEES9_SG_JZNS1_25segmented_radix_sort_implINS0_14default_configELb0EPKfPfPKlPlN2at6native12_GLOBAL__N_18offset_tEEE10hipError_tPvRmT1_PNSt15iterator_traitsISY_E10value_typeET2_T3_PNSZ_IS14_E10value_typeET4_jRbjT5_S1A_jjP12ihipStream_tbEUljE_EEESV_SW_SX_S14_S18_S1A_T6_T7_T9_mT8_S1C_bDpT10_ENKUlT_T0_E_clISt17integral_constantIbLb0EES1P_EEDaS1K_S1L_EUlS1K_E_NS1_11comp_targetILNS1_3genE2ELNS1_11target_archE906ELNS1_3gpuE6ELNS1_3repE0EEENS1_30default_config_static_selectorELNS0_4arch9wavefront6targetE1EEEvSY_.has_indirect_call, 0
	.section	.AMDGPU.csdata,"",@progbits
; Kernel info:
; codeLenInByte = 7612
; TotalNumSgprs: 52
; NumVgprs: 69
; ScratchSize: 0
; MemoryBound: 0
; FloatMode: 240
; IeeeMode: 1
; LDSByteSize: 13320 bytes/workgroup (compile time only)
; SGPRBlocks: 12
; VGPRBlocks: 17
; NumSGPRsForWavesPerEU: 102
; NumVGPRsForWavesPerEU: 69
; Occupancy: 3
; WaveLimiterHint : 0
; COMPUTE_PGM_RSRC2:SCRATCH_EN: 0
; COMPUTE_PGM_RSRC2:USER_SGPR: 6
; COMPUTE_PGM_RSRC2:TRAP_HANDLER: 0
; COMPUTE_PGM_RSRC2:TGID_X_EN: 1
; COMPUTE_PGM_RSRC2:TGID_Y_EN: 0
; COMPUTE_PGM_RSRC2:TGID_Z_EN: 0
; COMPUTE_PGM_RSRC2:TIDIG_COMP_CNT: 0
	.section	.text._ZN7rocprim17ROCPRIM_400000_NS6detail17trampoline_kernelINS0_13select_configILj256ELj13ELNS0_17block_load_methodE3ELS4_3ELS4_3ELNS0_20block_scan_algorithmE0ELj4294967295EEENS1_25partition_config_selectorILNS1_17partition_subalgoE3EjNS0_10empty_typeEbEEZZNS1_14partition_implILS8_3ELb0ES6_jNS0_17counting_iteratorIjlEEPS9_SE_NS0_5tupleIJPjSE_EEENSF_IJSE_SE_EEES9_SG_JZNS1_25segmented_radix_sort_implINS0_14default_configELb0EPKfPfPKlPlN2at6native12_GLOBAL__N_18offset_tEEE10hipError_tPvRmT1_PNSt15iterator_traitsISY_E10value_typeET2_T3_PNSZ_IS14_E10value_typeET4_jRbjT5_S1A_jjP12ihipStream_tbEUljE_EEESV_SW_SX_S14_S18_S1A_T6_T7_T9_mT8_S1C_bDpT10_ENKUlT_T0_E_clISt17integral_constantIbLb0EES1P_EEDaS1K_S1L_EUlS1K_E_NS1_11comp_targetILNS1_3genE10ELNS1_11target_archE1200ELNS1_3gpuE4ELNS1_3repE0EEENS1_30default_config_static_selectorELNS0_4arch9wavefront6targetE1EEEvSY_,"axG",@progbits,_ZN7rocprim17ROCPRIM_400000_NS6detail17trampoline_kernelINS0_13select_configILj256ELj13ELNS0_17block_load_methodE3ELS4_3ELS4_3ELNS0_20block_scan_algorithmE0ELj4294967295EEENS1_25partition_config_selectorILNS1_17partition_subalgoE3EjNS0_10empty_typeEbEEZZNS1_14partition_implILS8_3ELb0ES6_jNS0_17counting_iteratorIjlEEPS9_SE_NS0_5tupleIJPjSE_EEENSF_IJSE_SE_EEES9_SG_JZNS1_25segmented_radix_sort_implINS0_14default_configELb0EPKfPfPKlPlN2at6native12_GLOBAL__N_18offset_tEEE10hipError_tPvRmT1_PNSt15iterator_traitsISY_E10value_typeET2_T3_PNSZ_IS14_E10value_typeET4_jRbjT5_S1A_jjP12ihipStream_tbEUljE_EEESV_SW_SX_S14_S18_S1A_T6_T7_T9_mT8_S1C_bDpT10_ENKUlT_T0_E_clISt17integral_constantIbLb0EES1P_EEDaS1K_S1L_EUlS1K_E_NS1_11comp_targetILNS1_3genE10ELNS1_11target_archE1200ELNS1_3gpuE4ELNS1_3repE0EEENS1_30default_config_static_selectorELNS0_4arch9wavefront6targetE1EEEvSY_,comdat
	.globl	_ZN7rocprim17ROCPRIM_400000_NS6detail17trampoline_kernelINS0_13select_configILj256ELj13ELNS0_17block_load_methodE3ELS4_3ELS4_3ELNS0_20block_scan_algorithmE0ELj4294967295EEENS1_25partition_config_selectorILNS1_17partition_subalgoE3EjNS0_10empty_typeEbEEZZNS1_14partition_implILS8_3ELb0ES6_jNS0_17counting_iteratorIjlEEPS9_SE_NS0_5tupleIJPjSE_EEENSF_IJSE_SE_EEES9_SG_JZNS1_25segmented_radix_sort_implINS0_14default_configELb0EPKfPfPKlPlN2at6native12_GLOBAL__N_18offset_tEEE10hipError_tPvRmT1_PNSt15iterator_traitsISY_E10value_typeET2_T3_PNSZ_IS14_E10value_typeET4_jRbjT5_S1A_jjP12ihipStream_tbEUljE_EEESV_SW_SX_S14_S18_S1A_T6_T7_T9_mT8_S1C_bDpT10_ENKUlT_T0_E_clISt17integral_constantIbLb0EES1P_EEDaS1K_S1L_EUlS1K_E_NS1_11comp_targetILNS1_3genE10ELNS1_11target_archE1200ELNS1_3gpuE4ELNS1_3repE0EEENS1_30default_config_static_selectorELNS0_4arch9wavefront6targetE1EEEvSY_ ; -- Begin function _ZN7rocprim17ROCPRIM_400000_NS6detail17trampoline_kernelINS0_13select_configILj256ELj13ELNS0_17block_load_methodE3ELS4_3ELS4_3ELNS0_20block_scan_algorithmE0ELj4294967295EEENS1_25partition_config_selectorILNS1_17partition_subalgoE3EjNS0_10empty_typeEbEEZZNS1_14partition_implILS8_3ELb0ES6_jNS0_17counting_iteratorIjlEEPS9_SE_NS0_5tupleIJPjSE_EEENSF_IJSE_SE_EEES9_SG_JZNS1_25segmented_radix_sort_implINS0_14default_configELb0EPKfPfPKlPlN2at6native12_GLOBAL__N_18offset_tEEE10hipError_tPvRmT1_PNSt15iterator_traitsISY_E10value_typeET2_T3_PNSZ_IS14_E10value_typeET4_jRbjT5_S1A_jjP12ihipStream_tbEUljE_EEESV_SW_SX_S14_S18_S1A_T6_T7_T9_mT8_S1C_bDpT10_ENKUlT_T0_E_clISt17integral_constantIbLb0EES1P_EEDaS1K_S1L_EUlS1K_E_NS1_11comp_targetILNS1_3genE10ELNS1_11target_archE1200ELNS1_3gpuE4ELNS1_3repE0EEENS1_30default_config_static_selectorELNS0_4arch9wavefront6targetE1EEEvSY_
	.p2align	8
	.type	_ZN7rocprim17ROCPRIM_400000_NS6detail17trampoline_kernelINS0_13select_configILj256ELj13ELNS0_17block_load_methodE3ELS4_3ELS4_3ELNS0_20block_scan_algorithmE0ELj4294967295EEENS1_25partition_config_selectorILNS1_17partition_subalgoE3EjNS0_10empty_typeEbEEZZNS1_14partition_implILS8_3ELb0ES6_jNS0_17counting_iteratorIjlEEPS9_SE_NS0_5tupleIJPjSE_EEENSF_IJSE_SE_EEES9_SG_JZNS1_25segmented_radix_sort_implINS0_14default_configELb0EPKfPfPKlPlN2at6native12_GLOBAL__N_18offset_tEEE10hipError_tPvRmT1_PNSt15iterator_traitsISY_E10value_typeET2_T3_PNSZ_IS14_E10value_typeET4_jRbjT5_S1A_jjP12ihipStream_tbEUljE_EEESV_SW_SX_S14_S18_S1A_T6_T7_T9_mT8_S1C_bDpT10_ENKUlT_T0_E_clISt17integral_constantIbLb0EES1P_EEDaS1K_S1L_EUlS1K_E_NS1_11comp_targetILNS1_3genE10ELNS1_11target_archE1200ELNS1_3gpuE4ELNS1_3repE0EEENS1_30default_config_static_selectorELNS0_4arch9wavefront6targetE1EEEvSY_,@function
_ZN7rocprim17ROCPRIM_400000_NS6detail17trampoline_kernelINS0_13select_configILj256ELj13ELNS0_17block_load_methodE3ELS4_3ELS4_3ELNS0_20block_scan_algorithmE0ELj4294967295EEENS1_25partition_config_selectorILNS1_17partition_subalgoE3EjNS0_10empty_typeEbEEZZNS1_14partition_implILS8_3ELb0ES6_jNS0_17counting_iteratorIjlEEPS9_SE_NS0_5tupleIJPjSE_EEENSF_IJSE_SE_EEES9_SG_JZNS1_25segmented_radix_sort_implINS0_14default_configELb0EPKfPfPKlPlN2at6native12_GLOBAL__N_18offset_tEEE10hipError_tPvRmT1_PNSt15iterator_traitsISY_E10value_typeET2_T3_PNSZ_IS14_E10value_typeET4_jRbjT5_S1A_jjP12ihipStream_tbEUljE_EEESV_SW_SX_S14_S18_S1A_T6_T7_T9_mT8_S1C_bDpT10_ENKUlT_T0_E_clISt17integral_constantIbLb0EES1P_EEDaS1K_S1L_EUlS1K_E_NS1_11comp_targetILNS1_3genE10ELNS1_11target_archE1200ELNS1_3gpuE4ELNS1_3repE0EEENS1_30default_config_static_selectorELNS0_4arch9wavefront6targetE1EEEvSY_: ; @_ZN7rocprim17ROCPRIM_400000_NS6detail17trampoline_kernelINS0_13select_configILj256ELj13ELNS0_17block_load_methodE3ELS4_3ELS4_3ELNS0_20block_scan_algorithmE0ELj4294967295EEENS1_25partition_config_selectorILNS1_17partition_subalgoE3EjNS0_10empty_typeEbEEZZNS1_14partition_implILS8_3ELb0ES6_jNS0_17counting_iteratorIjlEEPS9_SE_NS0_5tupleIJPjSE_EEENSF_IJSE_SE_EEES9_SG_JZNS1_25segmented_radix_sort_implINS0_14default_configELb0EPKfPfPKlPlN2at6native12_GLOBAL__N_18offset_tEEE10hipError_tPvRmT1_PNSt15iterator_traitsISY_E10value_typeET2_T3_PNSZ_IS14_E10value_typeET4_jRbjT5_S1A_jjP12ihipStream_tbEUljE_EEESV_SW_SX_S14_S18_S1A_T6_T7_T9_mT8_S1C_bDpT10_ENKUlT_T0_E_clISt17integral_constantIbLb0EES1P_EEDaS1K_S1L_EUlS1K_E_NS1_11comp_targetILNS1_3genE10ELNS1_11target_archE1200ELNS1_3gpuE4ELNS1_3repE0EEENS1_30default_config_static_selectorELNS0_4arch9wavefront6targetE1EEEvSY_
; %bb.0:
	.section	.rodata,"a",@progbits
	.p2align	6, 0x0
	.amdhsa_kernel _ZN7rocprim17ROCPRIM_400000_NS6detail17trampoline_kernelINS0_13select_configILj256ELj13ELNS0_17block_load_methodE3ELS4_3ELS4_3ELNS0_20block_scan_algorithmE0ELj4294967295EEENS1_25partition_config_selectorILNS1_17partition_subalgoE3EjNS0_10empty_typeEbEEZZNS1_14partition_implILS8_3ELb0ES6_jNS0_17counting_iteratorIjlEEPS9_SE_NS0_5tupleIJPjSE_EEENSF_IJSE_SE_EEES9_SG_JZNS1_25segmented_radix_sort_implINS0_14default_configELb0EPKfPfPKlPlN2at6native12_GLOBAL__N_18offset_tEEE10hipError_tPvRmT1_PNSt15iterator_traitsISY_E10value_typeET2_T3_PNSZ_IS14_E10value_typeET4_jRbjT5_S1A_jjP12ihipStream_tbEUljE_EEESV_SW_SX_S14_S18_S1A_T6_T7_T9_mT8_S1C_bDpT10_ENKUlT_T0_E_clISt17integral_constantIbLb0EES1P_EEDaS1K_S1L_EUlS1K_E_NS1_11comp_targetILNS1_3genE10ELNS1_11target_archE1200ELNS1_3gpuE4ELNS1_3repE0EEENS1_30default_config_static_selectorELNS0_4arch9wavefront6targetE1EEEvSY_
		.amdhsa_group_segment_fixed_size 0
		.amdhsa_private_segment_fixed_size 0
		.amdhsa_kernarg_size 144
		.amdhsa_user_sgpr_count 6
		.amdhsa_user_sgpr_private_segment_buffer 1
		.amdhsa_user_sgpr_dispatch_ptr 0
		.amdhsa_user_sgpr_queue_ptr 0
		.amdhsa_user_sgpr_kernarg_segment_ptr 1
		.amdhsa_user_sgpr_dispatch_id 0
		.amdhsa_user_sgpr_flat_scratch_init 0
		.amdhsa_user_sgpr_private_segment_size 0
		.amdhsa_uses_dynamic_stack 0
		.amdhsa_system_sgpr_private_segment_wavefront_offset 0
		.amdhsa_system_sgpr_workgroup_id_x 1
		.amdhsa_system_sgpr_workgroup_id_y 0
		.amdhsa_system_sgpr_workgroup_id_z 0
		.amdhsa_system_sgpr_workgroup_info 0
		.amdhsa_system_vgpr_workitem_id 0
		.amdhsa_next_free_vgpr 1
		.amdhsa_next_free_sgpr 0
		.amdhsa_reserve_vcc 0
		.amdhsa_reserve_flat_scratch 0
		.amdhsa_float_round_mode_32 0
		.amdhsa_float_round_mode_16_64 0
		.amdhsa_float_denorm_mode_32 3
		.amdhsa_float_denorm_mode_16_64 3
		.amdhsa_dx10_clamp 1
		.amdhsa_ieee_mode 1
		.amdhsa_fp16_overflow 0
		.amdhsa_exception_fp_ieee_invalid_op 0
		.amdhsa_exception_fp_denorm_src 0
		.amdhsa_exception_fp_ieee_div_zero 0
		.amdhsa_exception_fp_ieee_overflow 0
		.amdhsa_exception_fp_ieee_underflow 0
		.amdhsa_exception_fp_ieee_inexact 0
		.amdhsa_exception_int_div_zero 0
	.end_amdhsa_kernel
	.section	.text._ZN7rocprim17ROCPRIM_400000_NS6detail17trampoline_kernelINS0_13select_configILj256ELj13ELNS0_17block_load_methodE3ELS4_3ELS4_3ELNS0_20block_scan_algorithmE0ELj4294967295EEENS1_25partition_config_selectorILNS1_17partition_subalgoE3EjNS0_10empty_typeEbEEZZNS1_14partition_implILS8_3ELb0ES6_jNS0_17counting_iteratorIjlEEPS9_SE_NS0_5tupleIJPjSE_EEENSF_IJSE_SE_EEES9_SG_JZNS1_25segmented_radix_sort_implINS0_14default_configELb0EPKfPfPKlPlN2at6native12_GLOBAL__N_18offset_tEEE10hipError_tPvRmT1_PNSt15iterator_traitsISY_E10value_typeET2_T3_PNSZ_IS14_E10value_typeET4_jRbjT5_S1A_jjP12ihipStream_tbEUljE_EEESV_SW_SX_S14_S18_S1A_T6_T7_T9_mT8_S1C_bDpT10_ENKUlT_T0_E_clISt17integral_constantIbLb0EES1P_EEDaS1K_S1L_EUlS1K_E_NS1_11comp_targetILNS1_3genE10ELNS1_11target_archE1200ELNS1_3gpuE4ELNS1_3repE0EEENS1_30default_config_static_selectorELNS0_4arch9wavefront6targetE1EEEvSY_,"axG",@progbits,_ZN7rocprim17ROCPRIM_400000_NS6detail17trampoline_kernelINS0_13select_configILj256ELj13ELNS0_17block_load_methodE3ELS4_3ELS4_3ELNS0_20block_scan_algorithmE0ELj4294967295EEENS1_25partition_config_selectorILNS1_17partition_subalgoE3EjNS0_10empty_typeEbEEZZNS1_14partition_implILS8_3ELb0ES6_jNS0_17counting_iteratorIjlEEPS9_SE_NS0_5tupleIJPjSE_EEENSF_IJSE_SE_EEES9_SG_JZNS1_25segmented_radix_sort_implINS0_14default_configELb0EPKfPfPKlPlN2at6native12_GLOBAL__N_18offset_tEEE10hipError_tPvRmT1_PNSt15iterator_traitsISY_E10value_typeET2_T3_PNSZ_IS14_E10value_typeET4_jRbjT5_S1A_jjP12ihipStream_tbEUljE_EEESV_SW_SX_S14_S18_S1A_T6_T7_T9_mT8_S1C_bDpT10_ENKUlT_T0_E_clISt17integral_constantIbLb0EES1P_EEDaS1K_S1L_EUlS1K_E_NS1_11comp_targetILNS1_3genE10ELNS1_11target_archE1200ELNS1_3gpuE4ELNS1_3repE0EEENS1_30default_config_static_selectorELNS0_4arch9wavefront6targetE1EEEvSY_,comdat
.Lfunc_end1401:
	.size	_ZN7rocprim17ROCPRIM_400000_NS6detail17trampoline_kernelINS0_13select_configILj256ELj13ELNS0_17block_load_methodE3ELS4_3ELS4_3ELNS0_20block_scan_algorithmE0ELj4294967295EEENS1_25partition_config_selectorILNS1_17partition_subalgoE3EjNS0_10empty_typeEbEEZZNS1_14partition_implILS8_3ELb0ES6_jNS0_17counting_iteratorIjlEEPS9_SE_NS0_5tupleIJPjSE_EEENSF_IJSE_SE_EEES9_SG_JZNS1_25segmented_radix_sort_implINS0_14default_configELb0EPKfPfPKlPlN2at6native12_GLOBAL__N_18offset_tEEE10hipError_tPvRmT1_PNSt15iterator_traitsISY_E10value_typeET2_T3_PNSZ_IS14_E10value_typeET4_jRbjT5_S1A_jjP12ihipStream_tbEUljE_EEESV_SW_SX_S14_S18_S1A_T6_T7_T9_mT8_S1C_bDpT10_ENKUlT_T0_E_clISt17integral_constantIbLb0EES1P_EEDaS1K_S1L_EUlS1K_E_NS1_11comp_targetILNS1_3genE10ELNS1_11target_archE1200ELNS1_3gpuE4ELNS1_3repE0EEENS1_30default_config_static_selectorELNS0_4arch9wavefront6targetE1EEEvSY_, .Lfunc_end1401-_ZN7rocprim17ROCPRIM_400000_NS6detail17trampoline_kernelINS0_13select_configILj256ELj13ELNS0_17block_load_methodE3ELS4_3ELS4_3ELNS0_20block_scan_algorithmE0ELj4294967295EEENS1_25partition_config_selectorILNS1_17partition_subalgoE3EjNS0_10empty_typeEbEEZZNS1_14partition_implILS8_3ELb0ES6_jNS0_17counting_iteratorIjlEEPS9_SE_NS0_5tupleIJPjSE_EEENSF_IJSE_SE_EEES9_SG_JZNS1_25segmented_radix_sort_implINS0_14default_configELb0EPKfPfPKlPlN2at6native12_GLOBAL__N_18offset_tEEE10hipError_tPvRmT1_PNSt15iterator_traitsISY_E10value_typeET2_T3_PNSZ_IS14_E10value_typeET4_jRbjT5_S1A_jjP12ihipStream_tbEUljE_EEESV_SW_SX_S14_S18_S1A_T6_T7_T9_mT8_S1C_bDpT10_ENKUlT_T0_E_clISt17integral_constantIbLb0EES1P_EEDaS1K_S1L_EUlS1K_E_NS1_11comp_targetILNS1_3genE10ELNS1_11target_archE1200ELNS1_3gpuE4ELNS1_3repE0EEENS1_30default_config_static_selectorELNS0_4arch9wavefront6targetE1EEEvSY_
                                        ; -- End function
	.set _ZN7rocprim17ROCPRIM_400000_NS6detail17trampoline_kernelINS0_13select_configILj256ELj13ELNS0_17block_load_methodE3ELS4_3ELS4_3ELNS0_20block_scan_algorithmE0ELj4294967295EEENS1_25partition_config_selectorILNS1_17partition_subalgoE3EjNS0_10empty_typeEbEEZZNS1_14partition_implILS8_3ELb0ES6_jNS0_17counting_iteratorIjlEEPS9_SE_NS0_5tupleIJPjSE_EEENSF_IJSE_SE_EEES9_SG_JZNS1_25segmented_radix_sort_implINS0_14default_configELb0EPKfPfPKlPlN2at6native12_GLOBAL__N_18offset_tEEE10hipError_tPvRmT1_PNSt15iterator_traitsISY_E10value_typeET2_T3_PNSZ_IS14_E10value_typeET4_jRbjT5_S1A_jjP12ihipStream_tbEUljE_EEESV_SW_SX_S14_S18_S1A_T6_T7_T9_mT8_S1C_bDpT10_ENKUlT_T0_E_clISt17integral_constantIbLb0EES1P_EEDaS1K_S1L_EUlS1K_E_NS1_11comp_targetILNS1_3genE10ELNS1_11target_archE1200ELNS1_3gpuE4ELNS1_3repE0EEENS1_30default_config_static_selectorELNS0_4arch9wavefront6targetE1EEEvSY_.num_vgpr, 0
	.set _ZN7rocprim17ROCPRIM_400000_NS6detail17trampoline_kernelINS0_13select_configILj256ELj13ELNS0_17block_load_methodE3ELS4_3ELS4_3ELNS0_20block_scan_algorithmE0ELj4294967295EEENS1_25partition_config_selectorILNS1_17partition_subalgoE3EjNS0_10empty_typeEbEEZZNS1_14partition_implILS8_3ELb0ES6_jNS0_17counting_iteratorIjlEEPS9_SE_NS0_5tupleIJPjSE_EEENSF_IJSE_SE_EEES9_SG_JZNS1_25segmented_radix_sort_implINS0_14default_configELb0EPKfPfPKlPlN2at6native12_GLOBAL__N_18offset_tEEE10hipError_tPvRmT1_PNSt15iterator_traitsISY_E10value_typeET2_T3_PNSZ_IS14_E10value_typeET4_jRbjT5_S1A_jjP12ihipStream_tbEUljE_EEESV_SW_SX_S14_S18_S1A_T6_T7_T9_mT8_S1C_bDpT10_ENKUlT_T0_E_clISt17integral_constantIbLb0EES1P_EEDaS1K_S1L_EUlS1K_E_NS1_11comp_targetILNS1_3genE10ELNS1_11target_archE1200ELNS1_3gpuE4ELNS1_3repE0EEENS1_30default_config_static_selectorELNS0_4arch9wavefront6targetE1EEEvSY_.num_agpr, 0
	.set _ZN7rocprim17ROCPRIM_400000_NS6detail17trampoline_kernelINS0_13select_configILj256ELj13ELNS0_17block_load_methodE3ELS4_3ELS4_3ELNS0_20block_scan_algorithmE0ELj4294967295EEENS1_25partition_config_selectorILNS1_17partition_subalgoE3EjNS0_10empty_typeEbEEZZNS1_14partition_implILS8_3ELb0ES6_jNS0_17counting_iteratorIjlEEPS9_SE_NS0_5tupleIJPjSE_EEENSF_IJSE_SE_EEES9_SG_JZNS1_25segmented_radix_sort_implINS0_14default_configELb0EPKfPfPKlPlN2at6native12_GLOBAL__N_18offset_tEEE10hipError_tPvRmT1_PNSt15iterator_traitsISY_E10value_typeET2_T3_PNSZ_IS14_E10value_typeET4_jRbjT5_S1A_jjP12ihipStream_tbEUljE_EEESV_SW_SX_S14_S18_S1A_T6_T7_T9_mT8_S1C_bDpT10_ENKUlT_T0_E_clISt17integral_constantIbLb0EES1P_EEDaS1K_S1L_EUlS1K_E_NS1_11comp_targetILNS1_3genE10ELNS1_11target_archE1200ELNS1_3gpuE4ELNS1_3repE0EEENS1_30default_config_static_selectorELNS0_4arch9wavefront6targetE1EEEvSY_.numbered_sgpr, 0
	.set _ZN7rocprim17ROCPRIM_400000_NS6detail17trampoline_kernelINS0_13select_configILj256ELj13ELNS0_17block_load_methodE3ELS4_3ELS4_3ELNS0_20block_scan_algorithmE0ELj4294967295EEENS1_25partition_config_selectorILNS1_17partition_subalgoE3EjNS0_10empty_typeEbEEZZNS1_14partition_implILS8_3ELb0ES6_jNS0_17counting_iteratorIjlEEPS9_SE_NS0_5tupleIJPjSE_EEENSF_IJSE_SE_EEES9_SG_JZNS1_25segmented_radix_sort_implINS0_14default_configELb0EPKfPfPKlPlN2at6native12_GLOBAL__N_18offset_tEEE10hipError_tPvRmT1_PNSt15iterator_traitsISY_E10value_typeET2_T3_PNSZ_IS14_E10value_typeET4_jRbjT5_S1A_jjP12ihipStream_tbEUljE_EEESV_SW_SX_S14_S18_S1A_T6_T7_T9_mT8_S1C_bDpT10_ENKUlT_T0_E_clISt17integral_constantIbLb0EES1P_EEDaS1K_S1L_EUlS1K_E_NS1_11comp_targetILNS1_3genE10ELNS1_11target_archE1200ELNS1_3gpuE4ELNS1_3repE0EEENS1_30default_config_static_selectorELNS0_4arch9wavefront6targetE1EEEvSY_.num_named_barrier, 0
	.set _ZN7rocprim17ROCPRIM_400000_NS6detail17trampoline_kernelINS0_13select_configILj256ELj13ELNS0_17block_load_methodE3ELS4_3ELS4_3ELNS0_20block_scan_algorithmE0ELj4294967295EEENS1_25partition_config_selectorILNS1_17partition_subalgoE3EjNS0_10empty_typeEbEEZZNS1_14partition_implILS8_3ELb0ES6_jNS0_17counting_iteratorIjlEEPS9_SE_NS0_5tupleIJPjSE_EEENSF_IJSE_SE_EEES9_SG_JZNS1_25segmented_radix_sort_implINS0_14default_configELb0EPKfPfPKlPlN2at6native12_GLOBAL__N_18offset_tEEE10hipError_tPvRmT1_PNSt15iterator_traitsISY_E10value_typeET2_T3_PNSZ_IS14_E10value_typeET4_jRbjT5_S1A_jjP12ihipStream_tbEUljE_EEESV_SW_SX_S14_S18_S1A_T6_T7_T9_mT8_S1C_bDpT10_ENKUlT_T0_E_clISt17integral_constantIbLb0EES1P_EEDaS1K_S1L_EUlS1K_E_NS1_11comp_targetILNS1_3genE10ELNS1_11target_archE1200ELNS1_3gpuE4ELNS1_3repE0EEENS1_30default_config_static_selectorELNS0_4arch9wavefront6targetE1EEEvSY_.private_seg_size, 0
	.set _ZN7rocprim17ROCPRIM_400000_NS6detail17trampoline_kernelINS0_13select_configILj256ELj13ELNS0_17block_load_methodE3ELS4_3ELS4_3ELNS0_20block_scan_algorithmE0ELj4294967295EEENS1_25partition_config_selectorILNS1_17partition_subalgoE3EjNS0_10empty_typeEbEEZZNS1_14partition_implILS8_3ELb0ES6_jNS0_17counting_iteratorIjlEEPS9_SE_NS0_5tupleIJPjSE_EEENSF_IJSE_SE_EEES9_SG_JZNS1_25segmented_radix_sort_implINS0_14default_configELb0EPKfPfPKlPlN2at6native12_GLOBAL__N_18offset_tEEE10hipError_tPvRmT1_PNSt15iterator_traitsISY_E10value_typeET2_T3_PNSZ_IS14_E10value_typeET4_jRbjT5_S1A_jjP12ihipStream_tbEUljE_EEESV_SW_SX_S14_S18_S1A_T6_T7_T9_mT8_S1C_bDpT10_ENKUlT_T0_E_clISt17integral_constantIbLb0EES1P_EEDaS1K_S1L_EUlS1K_E_NS1_11comp_targetILNS1_3genE10ELNS1_11target_archE1200ELNS1_3gpuE4ELNS1_3repE0EEENS1_30default_config_static_selectorELNS0_4arch9wavefront6targetE1EEEvSY_.uses_vcc, 0
	.set _ZN7rocprim17ROCPRIM_400000_NS6detail17trampoline_kernelINS0_13select_configILj256ELj13ELNS0_17block_load_methodE3ELS4_3ELS4_3ELNS0_20block_scan_algorithmE0ELj4294967295EEENS1_25partition_config_selectorILNS1_17partition_subalgoE3EjNS0_10empty_typeEbEEZZNS1_14partition_implILS8_3ELb0ES6_jNS0_17counting_iteratorIjlEEPS9_SE_NS0_5tupleIJPjSE_EEENSF_IJSE_SE_EEES9_SG_JZNS1_25segmented_radix_sort_implINS0_14default_configELb0EPKfPfPKlPlN2at6native12_GLOBAL__N_18offset_tEEE10hipError_tPvRmT1_PNSt15iterator_traitsISY_E10value_typeET2_T3_PNSZ_IS14_E10value_typeET4_jRbjT5_S1A_jjP12ihipStream_tbEUljE_EEESV_SW_SX_S14_S18_S1A_T6_T7_T9_mT8_S1C_bDpT10_ENKUlT_T0_E_clISt17integral_constantIbLb0EES1P_EEDaS1K_S1L_EUlS1K_E_NS1_11comp_targetILNS1_3genE10ELNS1_11target_archE1200ELNS1_3gpuE4ELNS1_3repE0EEENS1_30default_config_static_selectorELNS0_4arch9wavefront6targetE1EEEvSY_.uses_flat_scratch, 0
	.set _ZN7rocprim17ROCPRIM_400000_NS6detail17trampoline_kernelINS0_13select_configILj256ELj13ELNS0_17block_load_methodE3ELS4_3ELS4_3ELNS0_20block_scan_algorithmE0ELj4294967295EEENS1_25partition_config_selectorILNS1_17partition_subalgoE3EjNS0_10empty_typeEbEEZZNS1_14partition_implILS8_3ELb0ES6_jNS0_17counting_iteratorIjlEEPS9_SE_NS0_5tupleIJPjSE_EEENSF_IJSE_SE_EEES9_SG_JZNS1_25segmented_radix_sort_implINS0_14default_configELb0EPKfPfPKlPlN2at6native12_GLOBAL__N_18offset_tEEE10hipError_tPvRmT1_PNSt15iterator_traitsISY_E10value_typeET2_T3_PNSZ_IS14_E10value_typeET4_jRbjT5_S1A_jjP12ihipStream_tbEUljE_EEESV_SW_SX_S14_S18_S1A_T6_T7_T9_mT8_S1C_bDpT10_ENKUlT_T0_E_clISt17integral_constantIbLb0EES1P_EEDaS1K_S1L_EUlS1K_E_NS1_11comp_targetILNS1_3genE10ELNS1_11target_archE1200ELNS1_3gpuE4ELNS1_3repE0EEENS1_30default_config_static_selectorELNS0_4arch9wavefront6targetE1EEEvSY_.has_dyn_sized_stack, 0
	.set _ZN7rocprim17ROCPRIM_400000_NS6detail17trampoline_kernelINS0_13select_configILj256ELj13ELNS0_17block_load_methodE3ELS4_3ELS4_3ELNS0_20block_scan_algorithmE0ELj4294967295EEENS1_25partition_config_selectorILNS1_17partition_subalgoE3EjNS0_10empty_typeEbEEZZNS1_14partition_implILS8_3ELb0ES6_jNS0_17counting_iteratorIjlEEPS9_SE_NS0_5tupleIJPjSE_EEENSF_IJSE_SE_EEES9_SG_JZNS1_25segmented_radix_sort_implINS0_14default_configELb0EPKfPfPKlPlN2at6native12_GLOBAL__N_18offset_tEEE10hipError_tPvRmT1_PNSt15iterator_traitsISY_E10value_typeET2_T3_PNSZ_IS14_E10value_typeET4_jRbjT5_S1A_jjP12ihipStream_tbEUljE_EEESV_SW_SX_S14_S18_S1A_T6_T7_T9_mT8_S1C_bDpT10_ENKUlT_T0_E_clISt17integral_constantIbLb0EES1P_EEDaS1K_S1L_EUlS1K_E_NS1_11comp_targetILNS1_3genE10ELNS1_11target_archE1200ELNS1_3gpuE4ELNS1_3repE0EEENS1_30default_config_static_selectorELNS0_4arch9wavefront6targetE1EEEvSY_.has_recursion, 0
	.set _ZN7rocprim17ROCPRIM_400000_NS6detail17trampoline_kernelINS0_13select_configILj256ELj13ELNS0_17block_load_methodE3ELS4_3ELS4_3ELNS0_20block_scan_algorithmE0ELj4294967295EEENS1_25partition_config_selectorILNS1_17partition_subalgoE3EjNS0_10empty_typeEbEEZZNS1_14partition_implILS8_3ELb0ES6_jNS0_17counting_iteratorIjlEEPS9_SE_NS0_5tupleIJPjSE_EEENSF_IJSE_SE_EEES9_SG_JZNS1_25segmented_radix_sort_implINS0_14default_configELb0EPKfPfPKlPlN2at6native12_GLOBAL__N_18offset_tEEE10hipError_tPvRmT1_PNSt15iterator_traitsISY_E10value_typeET2_T3_PNSZ_IS14_E10value_typeET4_jRbjT5_S1A_jjP12ihipStream_tbEUljE_EEESV_SW_SX_S14_S18_S1A_T6_T7_T9_mT8_S1C_bDpT10_ENKUlT_T0_E_clISt17integral_constantIbLb0EES1P_EEDaS1K_S1L_EUlS1K_E_NS1_11comp_targetILNS1_3genE10ELNS1_11target_archE1200ELNS1_3gpuE4ELNS1_3repE0EEENS1_30default_config_static_selectorELNS0_4arch9wavefront6targetE1EEEvSY_.has_indirect_call, 0
	.section	.AMDGPU.csdata,"",@progbits
; Kernel info:
; codeLenInByte = 0
; TotalNumSgprs: 4
; NumVgprs: 0
; ScratchSize: 0
; MemoryBound: 0
; FloatMode: 240
; IeeeMode: 1
; LDSByteSize: 0 bytes/workgroup (compile time only)
; SGPRBlocks: 0
; VGPRBlocks: 0
; NumSGPRsForWavesPerEU: 4
; NumVGPRsForWavesPerEU: 1
; Occupancy: 10
; WaveLimiterHint : 0
; COMPUTE_PGM_RSRC2:SCRATCH_EN: 0
; COMPUTE_PGM_RSRC2:USER_SGPR: 6
; COMPUTE_PGM_RSRC2:TRAP_HANDLER: 0
; COMPUTE_PGM_RSRC2:TGID_X_EN: 1
; COMPUTE_PGM_RSRC2:TGID_Y_EN: 0
; COMPUTE_PGM_RSRC2:TGID_Z_EN: 0
; COMPUTE_PGM_RSRC2:TIDIG_COMP_CNT: 0
	.section	.text._ZN7rocprim17ROCPRIM_400000_NS6detail17trampoline_kernelINS0_13select_configILj256ELj13ELNS0_17block_load_methodE3ELS4_3ELS4_3ELNS0_20block_scan_algorithmE0ELj4294967295EEENS1_25partition_config_selectorILNS1_17partition_subalgoE3EjNS0_10empty_typeEbEEZZNS1_14partition_implILS8_3ELb0ES6_jNS0_17counting_iteratorIjlEEPS9_SE_NS0_5tupleIJPjSE_EEENSF_IJSE_SE_EEES9_SG_JZNS1_25segmented_radix_sort_implINS0_14default_configELb0EPKfPfPKlPlN2at6native12_GLOBAL__N_18offset_tEEE10hipError_tPvRmT1_PNSt15iterator_traitsISY_E10value_typeET2_T3_PNSZ_IS14_E10value_typeET4_jRbjT5_S1A_jjP12ihipStream_tbEUljE_EEESV_SW_SX_S14_S18_S1A_T6_T7_T9_mT8_S1C_bDpT10_ENKUlT_T0_E_clISt17integral_constantIbLb0EES1P_EEDaS1K_S1L_EUlS1K_E_NS1_11comp_targetILNS1_3genE9ELNS1_11target_archE1100ELNS1_3gpuE3ELNS1_3repE0EEENS1_30default_config_static_selectorELNS0_4arch9wavefront6targetE1EEEvSY_,"axG",@progbits,_ZN7rocprim17ROCPRIM_400000_NS6detail17trampoline_kernelINS0_13select_configILj256ELj13ELNS0_17block_load_methodE3ELS4_3ELS4_3ELNS0_20block_scan_algorithmE0ELj4294967295EEENS1_25partition_config_selectorILNS1_17partition_subalgoE3EjNS0_10empty_typeEbEEZZNS1_14partition_implILS8_3ELb0ES6_jNS0_17counting_iteratorIjlEEPS9_SE_NS0_5tupleIJPjSE_EEENSF_IJSE_SE_EEES9_SG_JZNS1_25segmented_radix_sort_implINS0_14default_configELb0EPKfPfPKlPlN2at6native12_GLOBAL__N_18offset_tEEE10hipError_tPvRmT1_PNSt15iterator_traitsISY_E10value_typeET2_T3_PNSZ_IS14_E10value_typeET4_jRbjT5_S1A_jjP12ihipStream_tbEUljE_EEESV_SW_SX_S14_S18_S1A_T6_T7_T9_mT8_S1C_bDpT10_ENKUlT_T0_E_clISt17integral_constantIbLb0EES1P_EEDaS1K_S1L_EUlS1K_E_NS1_11comp_targetILNS1_3genE9ELNS1_11target_archE1100ELNS1_3gpuE3ELNS1_3repE0EEENS1_30default_config_static_selectorELNS0_4arch9wavefront6targetE1EEEvSY_,comdat
	.globl	_ZN7rocprim17ROCPRIM_400000_NS6detail17trampoline_kernelINS0_13select_configILj256ELj13ELNS0_17block_load_methodE3ELS4_3ELS4_3ELNS0_20block_scan_algorithmE0ELj4294967295EEENS1_25partition_config_selectorILNS1_17partition_subalgoE3EjNS0_10empty_typeEbEEZZNS1_14partition_implILS8_3ELb0ES6_jNS0_17counting_iteratorIjlEEPS9_SE_NS0_5tupleIJPjSE_EEENSF_IJSE_SE_EEES9_SG_JZNS1_25segmented_radix_sort_implINS0_14default_configELb0EPKfPfPKlPlN2at6native12_GLOBAL__N_18offset_tEEE10hipError_tPvRmT1_PNSt15iterator_traitsISY_E10value_typeET2_T3_PNSZ_IS14_E10value_typeET4_jRbjT5_S1A_jjP12ihipStream_tbEUljE_EEESV_SW_SX_S14_S18_S1A_T6_T7_T9_mT8_S1C_bDpT10_ENKUlT_T0_E_clISt17integral_constantIbLb0EES1P_EEDaS1K_S1L_EUlS1K_E_NS1_11comp_targetILNS1_3genE9ELNS1_11target_archE1100ELNS1_3gpuE3ELNS1_3repE0EEENS1_30default_config_static_selectorELNS0_4arch9wavefront6targetE1EEEvSY_ ; -- Begin function _ZN7rocprim17ROCPRIM_400000_NS6detail17trampoline_kernelINS0_13select_configILj256ELj13ELNS0_17block_load_methodE3ELS4_3ELS4_3ELNS0_20block_scan_algorithmE0ELj4294967295EEENS1_25partition_config_selectorILNS1_17partition_subalgoE3EjNS0_10empty_typeEbEEZZNS1_14partition_implILS8_3ELb0ES6_jNS0_17counting_iteratorIjlEEPS9_SE_NS0_5tupleIJPjSE_EEENSF_IJSE_SE_EEES9_SG_JZNS1_25segmented_radix_sort_implINS0_14default_configELb0EPKfPfPKlPlN2at6native12_GLOBAL__N_18offset_tEEE10hipError_tPvRmT1_PNSt15iterator_traitsISY_E10value_typeET2_T3_PNSZ_IS14_E10value_typeET4_jRbjT5_S1A_jjP12ihipStream_tbEUljE_EEESV_SW_SX_S14_S18_S1A_T6_T7_T9_mT8_S1C_bDpT10_ENKUlT_T0_E_clISt17integral_constantIbLb0EES1P_EEDaS1K_S1L_EUlS1K_E_NS1_11comp_targetILNS1_3genE9ELNS1_11target_archE1100ELNS1_3gpuE3ELNS1_3repE0EEENS1_30default_config_static_selectorELNS0_4arch9wavefront6targetE1EEEvSY_
	.p2align	8
	.type	_ZN7rocprim17ROCPRIM_400000_NS6detail17trampoline_kernelINS0_13select_configILj256ELj13ELNS0_17block_load_methodE3ELS4_3ELS4_3ELNS0_20block_scan_algorithmE0ELj4294967295EEENS1_25partition_config_selectorILNS1_17partition_subalgoE3EjNS0_10empty_typeEbEEZZNS1_14partition_implILS8_3ELb0ES6_jNS0_17counting_iteratorIjlEEPS9_SE_NS0_5tupleIJPjSE_EEENSF_IJSE_SE_EEES9_SG_JZNS1_25segmented_radix_sort_implINS0_14default_configELb0EPKfPfPKlPlN2at6native12_GLOBAL__N_18offset_tEEE10hipError_tPvRmT1_PNSt15iterator_traitsISY_E10value_typeET2_T3_PNSZ_IS14_E10value_typeET4_jRbjT5_S1A_jjP12ihipStream_tbEUljE_EEESV_SW_SX_S14_S18_S1A_T6_T7_T9_mT8_S1C_bDpT10_ENKUlT_T0_E_clISt17integral_constantIbLb0EES1P_EEDaS1K_S1L_EUlS1K_E_NS1_11comp_targetILNS1_3genE9ELNS1_11target_archE1100ELNS1_3gpuE3ELNS1_3repE0EEENS1_30default_config_static_selectorELNS0_4arch9wavefront6targetE1EEEvSY_,@function
_ZN7rocprim17ROCPRIM_400000_NS6detail17trampoline_kernelINS0_13select_configILj256ELj13ELNS0_17block_load_methodE3ELS4_3ELS4_3ELNS0_20block_scan_algorithmE0ELj4294967295EEENS1_25partition_config_selectorILNS1_17partition_subalgoE3EjNS0_10empty_typeEbEEZZNS1_14partition_implILS8_3ELb0ES6_jNS0_17counting_iteratorIjlEEPS9_SE_NS0_5tupleIJPjSE_EEENSF_IJSE_SE_EEES9_SG_JZNS1_25segmented_radix_sort_implINS0_14default_configELb0EPKfPfPKlPlN2at6native12_GLOBAL__N_18offset_tEEE10hipError_tPvRmT1_PNSt15iterator_traitsISY_E10value_typeET2_T3_PNSZ_IS14_E10value_typeET4_jRbjT5_S1A_jjP12ihipStream_tbEUljE_EEESV_SW_SX_S14_S18_S1A_T6_T7_T9_mT8_S1C_bDpT10_ENKUlT_T0_E_clISt17integral_constantIbLb0EES1P_EEDaS1K_S1L_EUlS1K_E_NS1_11comp_targetILNS1_3genE9ELNS1_11target_archE1100ELNS1_3gpuE3ELNS1_3repE0EEENS1_30default_config_static_selectorELNS0_4arch9wavefront6targetE1EEEvSY_: ; @_ZN7rocprim17ROCPRIM_400000_NS6detail17trampoline_kernelINS0_13select_configILj256ELj13ELNS0_17block_load_methodE3ELS4_3ELS4_3ELNS0_20block_scan_algorithmE0ELj4294967295EEENS1_25partition_config_selectorILNS1_17partition_subalgoE3EjNS0_10empty_typeEbEEZZNS1_14partition_implILS8_3ELb0ES6_jNS0_17counting_iteratorIjlEEPS9_SE_NS0_5tupleIJPjSE_EEENSF_IJSE_SE_EEES9_SG_JZNS1_25segmented_radix_sort_implINS0_14default_configELb0EPKfPfPKlPlN2at6native12_GLOBAL__N_18offset_tEEE10hipError_tPvRmT1_PNSt15iterator_traitsISY_E10value_typeET2_T3_PNSZ_IS14_E10value_typeET4_jRbjT5_S1A_jjP12ihipStream_tbEUljE_EEESV_SW_SX_S14_S18_S1A_T6_T7_T9_mT8_S1C_bDpT10_ENKUlT_T0_E_clISt17integral_constantIbLb0EES1P_EEDaS1K_S1L_EUlS1K_E_NS1_11comp_targetILNS1_3genE9ELNS1_11target_archE1100ELNS1_3gpuE3ELNS1_3repE0EEENS1_30default_config_static_selectorELNS0_4arch9wavefront6targetE1EEEvSY_
; %bb.0:
	.section	.rodata,"a",@progbits
	.p2align	6, 0x0
	.amdhsa_kernel _ZN7rocprim17ROCPRIM_400000_NS6detail17trampoline_kernelINS0_13select_configILj256ELj13ELNS0_17block_load_methodE3ELS4_3ELS4_3ELNS0_20block_scan_algorithmE0ELj4294967295EEENS1_25partition_config_selectorILNS1_17partition_subalgoE3EjNS0_10empty_typeEbEEZZNS1_14partition_implILS8_3ELb0ES6_jNS0_17counting_iteratorIjlEEPS9_SE_NS0_5tupleIJPjSE_EEENSF_IJSE_SE_EEES9_SG_JZNS1_25segmented_radix_sort_implINS0_14default_configELb0EPKfPfPKlPlN2at6native12_GLOBAL__N_18offset_tEEE10hipError_tPvRmT1_PNSt15iterator_traitsISY_E10value_typeET2_T3_PNSZ_IS14_E10value_typeET4_jRbjT5_S1A_jjP12ihipStream_tbEUljE_EEESV_SW_SX_S14_S18_S1A_T6_T7_T9_mT8_S1C_bDpT10_ENKUlT_T0_E_clISt17integral_constantIbLb0EES1P_EEDaS1K_S1L_EUlS1K_E_NS1_11comp_targetILNS1_3genE9ELNS1_11target_archE1100ELNS1_3gpuE3ELNS1_3repE0EEENS1_30default_config_static_selectorELNS0_4arch9wavefront6targetE1EEEvSY_
		.amdhsa_group_segment_fixed_size 0
		.amdhsa_private_segment_fixed_size 0
		.amdhsa_kernarg_size 144
		.amdhsa_user_sgpr_count 6
		.amdhsa_user_sgpr_private_segment_buffer 1
		.amdhsa_user_sgpr_dispatch_ptr 0
		.amdhsa_user_sgpr_queue_ptr 0
		.amdhsa_user_sgpr_kernarg_segment_ptr 1
		.amdhsa_user_sgpr_dispatch_id 0
		.amdhsa_user_sgpr_flat_scratch_init 0
		.amdhsa_user_sgpr_private_segment_size 0
		.amdhsa_uses_dynamic_stack 0
		.amdhsa_system_sgpr_private_segment_wavefront_offset 0
		.amdhsa_system_sgpr_workgroup_id_x 1
		.amdhsa_system_sgpr_workgroup_id_y 0
		.amdhsa_system_sgpr_workgroup_id_z 0
		.amdhsa_system_sgpr_workgroup_info 0
		.amdhsa_system_vgpr_workitem_id 0
		.amdhsa_next_free_vgpr 1
		.amdhsa_next_free_sgpr 0
		.amdhsa_reserve_vcc 0
		.amdhsa_reserve_flat_scratch 0
		.amdhsa_float_round_mode_32 0
		.amdhsa_float_round_mode_16_64 0
		.amdhsa_float_denorm_mode_32 3
		.amdhsa_float_denorm_mode_16_64 3
		.amdhsa_dx10_clamp 1
		.amdhsa_ieee_mode 1
		.amdhsa_fp16_overflow 0
		.amdhsa_exception_fp_ieee_invalid_op 0
		.amdhsa_exception_fp_denorm_src 0
		.amdhsa_exception_fp_ieee_div_zero 0
		.amdhsa_exception_fp_ieee_overflow 0
		.amdhsa_exception_fp_ieee_underflow 0
		.amdhsa_exception_fp_ieee_inexact 0
		.amdhsa_exception_int_div_zero 0
	.end_amdhsa_kernel
	.section	.text._ZN7rocprim17ROCPRIM_400000_NS6detail17trampoline_kernelINS0_13select_configILj256ELj13ELNS0_17block_load_methodE3ELS4_3ELS4_3ELNS0_20block_scan_algorithmE0ELj4294967295EEENS1_25partition_config_selectorILNS1_17partition_subalgoE3EjNS0_10empty_typeEbEEZZNS1_14partition_implILS8_3ELb0ES6_jNS0_17counting_iteratorIjlEEPS9_SE_NS0_5tupleIJPjSE_EEENSF_IJSE_SE_EEES9_SG_JZNS1_25segmented_radix_sort_implINS0_14default_configELb0EPKfPfPKlPlN2at6native12_GLOBAL__N_18offset_tEEE10hipError_tPvRmT1_PNSt15iterator_traitsISY_E10value_typeET2_T3_PNSZ_IS14_E10value_typeET4_jRbjT5_S1A_jjP12ihipStream_tbEUljE_EEESV_SW_SX_S14_S18_S1A_T6_T7_T9_mT8_S1C_bDpT10_ENKUlT_T0_E_clISt17integral_constantIbLb0EES1P_EEDaS1K_S1L_EUlS1K_E_NS1_11comp_targetILNS1_3genE9ELNS1_11target_archE1100ELNS1_3gpuE3ELNS1_3repE0EEENS1_30default_config_static_selectorELNS0_4arch9wavefront6targetE1EEEvSY_,"axG",@progbits,_ZN7rocprim17ROCPRIM_400000_NS6detail17trampoline_kernelINS0_13select_configILj256ELj13ELNS0_17block_load_methodE3ELS4_3ELS4_3ELNS0_20block_scan_algorithmE0ELj4294967295EEENS1_25partition_config_selectorILNS1_17partition_subalgoE3EjNS0_10empty_typeEbEEZZNS1_14partition_implILS8_3ELb0ES6_jNS0_17counting_iteratorIjlEEPS9_SE_NS0_5tupleIJPjSE_EEENSF_IJSE_SE_EEES9_SG_JZNS1_25segmented_radix_sort_implINS0_14default_configELb0EPKfPfPKlPlN2at6native12_GLOBAL__N_18offset_tEEE10hipError_tPvRmT1_PNSt15iterator_traitsISY_E10value_typeET2_T3_PNSZ_IS14_E10value_typeET4_jRbjT5_S1A_jjP12ihipStream_tbEUljE_EEESV_SW_SX_S14_S18_S1A_T6_T7_T9_mT8_S1C_bDpT10_ENKUlT_T0_E_clISt17integral_constantIbLb0EES1P_EEDaS1K_S1L_EUlS1K_E_NS1_11comp_targetILNS1_3genE9ELNS1_11target_archE1100ELNS1_3gpuE3ELNS1_3repE0EEENS1_30default_config_static_selectorELNS0_4arch9wavefront6targetE1EEEvSY_,comdat
.Lfunc_end1402:
	.size	_ZN7rocprim17ROCPRIM_400000_NS6detail17trampoline_kernelINS0_13select_configILj256ELj13ELNS0_17block_load_methodE3ELS4_3ELS4_3ELNS0_20block_scan_algorithmE0ELj4294967295EEENS1_25partition_config_selectorILNS1_17partition_subalgoE3EjNS0_10empty_typeEbEEZZNS1_14partition_implILS8_3ELb0ES6_jNS0_17counting_iteratorIjlEEPS9_SE_NS0_5tupleIJPjSE_EEENSF_IJSE_SE_EEES9_SG_JZNS1_25segmented_radix_sort_implINS0_14default_configELb0EPKfPfPKlPlN2at6native12_GLOBAL__N_18offset_tEEE10hipError_tPvRmT1_PNSt15iterator_traitsISY_E10value_typeET2_T3_PNSZ_IS14_E10value_typeET4_jRbjT5_S1A_jjP12ihipStream_tbEUljE_EEESV_SW_SX_S14_S18_S1A_T6_T7_T9_mT8_S1C_bDpT10_ENKUlT_T0_E_clISt17integral_constantIbLb0EES1P_EEDaS1K_S1L_EUlS1K_E_NS1_11comp_targetILNS1_3genE9ELNS1_11target_archE1100ELNS1_3gpuE3ELNS1_3repE0EEENS1_30default_config_static_selectorELNS0_4arch9wavefront6targetE1EEEvSY_, .Lfunc_end1402-_ZN7rocprim17ROCPRIM_400000_NS6detail17trampoline_kernelINS0_13select_configILj256ELj13ELNS0_17block_load_methodE3ELS4_3ELS4_3ELNS0_20block_scan_algorithmE0ELj4294967295EEENS1_25partition_config_selectorILNS1_17partition_subalgoE3EjNS0_10empty_typeEbEEZZNS1_14partition_implILS8_3ELb0ES6_jNS0_17counting_iteratorIjlEEPS9_SE_NS0_5tupleIJPjSE_EEENSF_IJSE_SE_EEES9_SG_JZNS1_25segmented_radix_sort_implINS0_14default_configELb0EPKfPfPKlPlN2at6native12_GLOBAL__N_18offset_tEEE10hipError_tPvRmT1_PNSt15iterator_traitsISY_E10value_typeET2_T3_PNSZ_IS14_E10value_typeET4_jRbjT5_S1A_jjP12ihipStream_tbEUljE_EEESV_SW_SX_S14_S18_S1A_T6_T7_T9_mT8_S1C_bDpT10_ENKUlT_T0_E_clISt17integral_constantIbLb0EES1P_EEDaS1K_S1L_EUlS1K_E_NS1_11comp_targetILNS1_3genE9ELNS1_11target_archE1100ELNS1_3gpuE3ELNS1_3repE0EEENS1_30default_config_static_selectorELNS0_4arch9wavefront6targetE1EEEvSY_
                                        ; -- End function
	.set _ZN7rocprim17ROCPRIM_400000_NS6detail17trampoline_kernelINS0_13select_configILj256ELj13ELNS0_17block_load_methodE3ELS4_3ELS4_3ELNS0_20block_scan_algorithmE0ELj4294967295EEENS1_25partition_config_selectorILNS1_17partition_subalgoE3EjNS0_10empty_typeEbEEZZNS1_14partition_implILS8_3ELb0ES6_jNS0_17counting_iteratorIjlEEPS9_SE_NS0_5tupleIJPjSE_EEENSF_IJSE_SE_EEES9_SG_JZNS1_25segmented_radix_sort_implINS0_14default_configELb0EPKfPfPKlPlN2at6native12_GLOBAL__N_18offset_tEEE10hipError_tPvRmT1_PNSt15iterator_traitsISY_E10value_typeET2_T3_PNSZ_IS14_E10value_typeET4_jRbjT5_S1A_jjP12ihipStream_tbEUljE_EEESV_SW_SX_S14_S18_S1A_T6_T7_T9_mT8_S1C_bDpT10_ENKUlT_T0_E_clISt17integral_constantIbLb0EES1P_EEDaS1K_S1L_EUlS1K_E_NS1_11comp_targetILNS1_3genE9ELNS1_11target_archE1100ELNS1_3gpuE3ELNS1_3repE0EEENS1_30default_config_static_selectorELNS0_4arch9wavefront6targetE1EEEvSY_.num_vgpr, 0
	.set _ZN7rocprim17ROCPRIM_400000_NS6detail17trampoline_kernelINS0_13select_configILj256ELj13ELNS0_17block_load_methodE3ELS4_3ELS4_3ELNS0_20block_scan_algorithmE0ELj4294967295EEENS1_25partition_config_selectorILNS1_17partition_subalgoE3EjNS0_10empty_typeEbEEZZNS1_14partition_implILS8_3ELb0ES6_jNS0_17counting_iteratorIjlEEPS9_SE_NS0_5tupleIJPjSE_EEENSF_IJSE_SE_EEES9_SG_JZNS1_25segmented_radix_sort_implINS0_14default_configELb0EPKfPfPKlPlN2at6native12_GLOBAL__N_18offset_tEEE10hipError_tPvRmT1_PNSt15iterator_traitsISY_E10value_typeET2_T3_PNSZ_IS14_E10value_typeET4_jRbjT5_S1A_jjP12ihipStream_tbEUljE_EEESV_SW_SX_S14_S18_S1A_T6_T7_T9_mT8_S1C_bDpT10_ENKUlT_T0_E_clISt17integral_constantIbLb0EES1P_EEDaS1K_S1L_EUlS1K_E_NS1_11comp_targetILNS1_3genE9ELNS1_11target_archE1100ELNS1_3gpuE3ELNS1_3repE0EEENS1_30default_config_static_selectorELNS0_4arch9wavefront6targetE1EEEvSY_.num_agpr, 0
	.set _ZN7rocprim17ROCPRIM_400000_NS6detail17trampoline_kernelINS0_13select_configILj256ELj13ELNS0_17block_load_methodE3ELS4_3ELS4_3ELNS0_20block_scan_algorithmE0ELj4294967295EEENS1_25partition_config_selectorILNS1_17partition_subalgoE3EjNS0_10empty_typeEbEEZZNS1_14partition_implILS8_3ELb0ES6_jNS0_17counting_iteratorIjlEEPS9_SE_NS0_5tupleIJPjSE_EEENSF_IJSE_SE_EEES9_SG_JZNS1_25segmented_radix_sort_implINS0_14default_configELb0EPKfPfPKlPlN2at6native12_GLOBAL__N_18offset_tEEE10hipError_tPvRmT1_PNSt15iterator_traitsISY_E10value_typeET2_T3_PNSZ_IS14_E10value_typeET4_jRbjT5_S1A_jjP12ihipStream_tbEUljE_EEESV_SW_SX_S14_S18_S1A_T6_T7_T9_mT8_S1C_bDpT10_ENKUlT_T0_E_clISt17integral_constantIbLb0EES1P_EEDaS1K_S1L_EUlS1K_E_NS1_11comp_targetILNS1_3genE9ELNS1_11target_archE1100ELNS1_3gpuE3ELNS1_3repE0EEENS1_30default_config_static_selectorELNS0_4arch9wavefront6targetE1EEEvSY_.numbered_sgpr, 0
	.set _ZN7rocprim17ROCPRIM_400000_NS6detail17trampoline_kernelINS0_13select_configILj256ELj13ELNS0_17block_load_methodE3ELS4_3ELS4_3ELNS0_20block_scan_algorithmE0ELj4294967295EEENS1_25partition_config_selectorILNS1_17partition_subalgoE3EjNS0_10empty_typeEbEEZZNS1_14partition_implILS8_3ELb0ES6_jNS0_17counting_iteratorIjlEEPS9_SE_NS0_5tupleIJPjSE_EEENSF_IJSE_SE_EEES9_SG_JZNS1_25segmented_radix_sort_implINS0_14default_configELb0EPKfPfPKlPlN2at6native12_GLOBAL__N_18offset_tEEE10hipError_tPvRmT1_PNSt15iterator_traitsISY_E10value_typeET2_T3_PNSZ_IS14_E10value_typeET4_jRbjT5_S1A_jjP12ihipStream_tbEUljE_EEESV_SW_SX_S14_S18_S1A_T6_T7_T9_mT8_S1C_bDpT10_ENKUlT_T0_E_clISt17integral_constantIbLb0EES1P_EEDaS1K_S1L_EUlS1K_E_NS1_11comp_targetILNS1_3genE9ELNS1_11target_archE1100ELNS1_3gpuE3ELNS1_3repE0EEENS1_30default_config_static_selectorELNS0_4arch9wavefront6targetE1EEEvSY_.num_named_barrier, 0
	.set _ZN7rocprim17ROCPRIM_400000_NS6detail17trampoline_kernelINS0_13select_configILj256ELj13ELNS0_17block_load_methodE3ELS4_3ELS4_3ELNS0_20block_scan_algorithmE0ELj4294967295EEENS1_25partition_config_selectorILNS1_17partition_subalgoE3EjNS0_10empty_typeEbEEZZNS1_14partition_implILS8_3ELb0ES6_jNS0_17counting_iteratorIjlEEPS9_SE_NS0_5tupleIJPjSE_EEENSF_IJSE_SE_EEES9_SG_JZNS1_25segmented_radix_sort_implINS0_14default_configELb0EPKfPfPKlPlN2at6native12_GLOBAL__N_18offset_tEEE10hipError_tPvRmT1_PNSt15iterator_traitsISY_E10value_typeET2_T3_PNSZ_IS14_E10value_typeET4_jRbjT5_S1A_jjP12ihipStream_tbEUljE_EEESV_SW_SX_S14_S18_S1A_T6_T7_T9_mT8_S1C_bDpT10_ENKUlT_T0_E_clISt17integral_constantIbLb0EES1P_EEDaS1K_S1L_EUlS1K_E_NS1_11comp_targetILNS1_3genE9ELNS1_11target_archE1100ELNS1_3gpuE3ELNS1_3repE0EEENS1_30default_config_static_selectorELNS0_4arch9wavefront6targetE1EEEvSY_.private_seg_size, 0
	.set _ZN7rocprim17ROCPRIM_400000_NS6detail17trampoline_kernelINS0_13select_configILj256ELj13ELNS0_17block_load_methodE3ELS4_3ELS4_3ELNS0_20block_scan_algorithmE0ELj4294967295EEENS1_25partition_config_selectorILNS1_17partition_subalgoE3EjNS0_10empty_typeEbEEZZNS1_14partition_implILS8_3ELb0ES6_jNS0_17counting_iteratorIjlEEPS9_SE_NS0_5tupleIJPjSE_EEENSF_IJSE_SE_EEES9_SG_JZNS1_25segmented_radix_sort_implINS0_14default_configELb0EPKfPfPKlPlN2at6native12_GLOBAL__N_18offset_tEEE10hipError_tPvRmT1_PNSt15iterator_traitsISY_E10value_typeET2_T3_PNSZ_IS14_E10value_typeET4_jRbjT5_S1A_jjP12ihipStream_tbEUljE_EEESV_SW_SX_S14_S18_S1A_T6_T7_T9_mT8_S1C_bDpT10_ENKUlT_T0_E_clISt17integral_constantIbLb0EES1P_EEDaS1K_S1L_EUlS1K_E_NS1_11comp_targetILNS1_3genE9ELNS1_11target_archE1100ELNS1_3gpuE3ELNS1_3repE0EEENS1_30default_config_static_selectorELNS0_4arch9wavefront6targetE1EEEvSY_.uses_vcc, 0
	.set _ZN7rocprim17ROCPRIM_400000_NS6detail17trampoline_kernelINS0_13select_configILj256ELj13ELNS0_17block_load_methodE3ELS4_3ELS4_3ELNS0_20block_scan_algorithmE0ELj4294967295EEENS1_25partition_config_selectorILNS1_17partition_subalgoE3EjNS0_10empty_typeEbEEZZNS1_14partition_implILS8_3ELb0ES6_jNS0_17counting_iteratorIjlEEPS9_SE_NS0_5tupleIJPjSE_EEENSF_IJSE_SE_EEES9_SG_JZNS1_25segmented_radix_sort_implINS0_14default_configELb0EPKfPfPKlPlN2at6native12_GLOBAL__N_18offset_tEEE10hipError_tPvRmT1_PNSt15iterator_traitsISY_E10value_typeET2_T3_PNSZ_IS14_E10value_typeET4_jRbjT5_S1A_jjP12ihipStream_tbEUljE_EEESV_SW_SX_S14_S18_S1A_T6_T7_T9_mT8_S1C_bDpT10_ENKUlT_T0_E_clISt17integral_constantIbLb0EES1P_EEDaS1K_S1L_EUlS1K_E_NS1_11comp_targetILNS1_3genE9ELNS1_11target_archE1100ELNS1_3gpuE3ELNS1_3repE0EEENS1_30default_config_static_selectorELNS0_4arch9wavefront6targetE1EEEvSY_.uses_flat_scratch, 0
	.set _ZN7rocprim17ROCPRIM_400000_NS6detail17trampoline_kernelINS0_13select_configILj256ELj13ELNS0_17block_load_methodE3ELS4_3ELS4_3ELNS0_20block_scan_algorithmE0ELj4294967295EEENS1_25partition_config_selectorILNS1_17partition_subalgoE3EjNS0_10empty_typeEbEEZZNS1_14partition_implILS8_3ELb0ES6_jNS0_17counting_iteratorIjlEEPS9_SE_NS0_5tupleIJPjSE_EEENSF_IJSE_SE_EEES9_SG_JZNS1_25segmented_radix_sort_implINS0_14default_configELb0EPKfPfPKlPlN2at6native12_GLOBAL__N_18offset_tEEE10hipError_tPvRmT1_PNSt15iterator_traitsISY_E10value_typeET2_T3_PNSZ_IS14_E10value_typeET4_jRbjT5_S1A_jjP12ihipStream_tbEUljE_EEESV_SW_SX_S14_S18_S1A_T6_T7_T9_mT8_S1C_bDpT10_ENKUlT_T0_E_clISt17integral_constantIbLb0EES1P_EEDaS1K_S1L_EUlS1K_E_NS1_11comp_targetILNS1_3genE9ELNS1_11target_archE1100ELNS1_3gpuE3ELNS1_3repE0EEENS1_30default_config_static_selectorELNS0_4arch9wavefront6targetE1EEEvSY_.has_dyn_sized_stack, 0
	.set _ZN7rocprim17ROCPRIM_400000_NS6detail17trampoline_kernelINS0_13select_configILj256ELj13ELNS0_17block_load_methodE3ELS4_3ELS4_3ELNS0_20block_scan_algorithmE0ELj4294967295EEENS1_25partition_config_selectorILNS1_17partition_subalgoE3EjNS0_10empty_typeEbEEZZNS1_14partition_implILS8_3ELb0ES6_jNS0_17counting_iteratorIjlEEPS9_SE_NS0_5tupleIJPjSE_EEENSF_IJSE_SE_EEES9_SG_JZNS1_25segmented_radix_sort_implINS0_14default_configELb0EPKfPfPKlPlN2at6native12_GLOBAL__N_18offset_tEEE10hipError_tPvRmT1_PNSt15iterator_traitsISY_E10value_typeET2_T3_PNSZ_IS14_E10value_typeET4_jRbjT5_S1A_jjP12ihipStream_tbEUljE_EEESV_SW_SX_S14_S18_S1A_T6_T7_T9_mT8_S1C_bDpT10_ENKUlT_T0_E_clISt17integral_constantIbLb0EES1P_EEDaS1K_S1L_EUlS1K_E_NS1_11comp_targetILNS1_3genE9ELNS1_11target_archE1100ELNS1_3gpuE3ELNS1_3repE0EEENS1_30default_config_static_selectorELNS0_4arch9wavefront6targetE1EEEvSY_.has_recursion, 0
	.set _ZN7rocprim17ROCPRIM_400000_NS6detail17trampoline_kernelINS0_13select_configILj256ELj13ELNS0_17block_load_methodE3ELS4_3ELS4_3ELNS0_20block_scan_algorithmE0ELj4294967295EEENS1_25partition_config_selectorILNS1_17partition_subalgoE3EjNS0_10empty_typeEbEEZZNS1_14partition_implILS8_3ELb0ES6_jNS0_17counting_iteratorIjlEEPS9_SE_NS0_5tupleIJPjSE_EEENSF_IJSE_SE_EEES9_SG_JZNS1_25segmented_radix_sort_implINS0_14default_configELb0EPKfPfPKlPlN2at6native12_GLOBAL__N_18offset_tEEE10hipError_tPvRmT1_PNSt15iterator_traitsISY_E10value_typeET2_T3_PNSZ_IS14_E10value_typeET4_jRbjT5_S1A_jjP12ihipStream_tbEUljE_EEESV_SW_SX_S14_S18_S1A_T6_T7_T9_mT8_S1C_bDpT10_ENKUlT_T0_E_clISt17integral_constantIbLb0EES1P_EEDaS1K_S1L_EUlS1K_E_NS1_11comp_targetILNS1_3genE9ELNS1_11target_archE1100ELNS1_3gpuE3ELNS1_3repE0EEENS1_30default_config_static_selectorELNS0_4arch9wavefront6targetE1EEEvSY_.has_indirect_call, 0
	.section	.AMDGPU.csdata,"",@progbits
; Kernel info:
; codeLenInByte = 0
; TotalNumSgprs: 4
; NumVgprs: 0
; ScratchSize: 0
; MemoryBound: 0
; FloatMode: 240
; IeeeMode: 1
; LDSByteSize: 0 bytes/workgroup (compile time only)
; SGPRBlocks: 0
; VGPRBlocks: 0
; NumSGPRsForWavesPerEU: 4
; NumVGPRsForWavesPerEU: 1
; Occupancy: 10
; WaveLimiterHint : 0
; COMPUTE_PGM_RSRC2:SCRATCH_EN: 0
; COMPUTE_PGM_RSRC2:USER_SGPR: 6
; COMPUTE_PGM_RSRC2:TRAP_HANDLER: 0
; COMPUTE_PGM_RSRC2:TGID_X_EN: 1
; COMPUTE_PGM_RSRC2:TGID_Y_EN: 0
; COMPUTE_PGM_RSRC2:TGID_Z_EN: 0
; COMPUTE_PGM_RSRC2:TIDIG_COMP_CNT: 0
	.section	.text._ZN7rocprim17ROCPRIM_400000_NS6detail17trampoline_kernelINS0_13select_configILj256ELj13ELNS0_17block_load_methodE3ELS4_3ELS4_3ELNS0_20block_scan_algorithmE0ELj4294967295EEENS1_25partition_config_selectorILNS1_17partition_subalgoE3EjNS0_10empty_typeEbEEZZNS1_14partition_implILS8_3ELb0ES6_jNS0_17counting_iteratorIjlEEPS9_SE_NS0_5tupleIJPjSE_EEENSF_IJSE_SE_EEES9_SG_JZNS1_25segmented_radix_sort_implINS0_14default_configELb0EPKfPfPKlPlN2at6native12_GLOBAL__N_18offset_tEEE10hipError_tPvRmT1_PNSt15iterator_traitsISY_E10value_typeET2_T3_PNSZ_IS14_E10value_typeET4_jRbjT5_S1A_jjP12ihipStream_tbEUljE_EEESV_SW_SX_S14_S18_S1A_T6_T7_T9_mT8_S1C_bDpT10_ENKUlT_T0_E_clISt17integral_constantIbLb0EES1P_EEDaS1K_S1L_EUlS1K_E_NS1_11comp_targetILNS1_3genE8ELNS1_11target_archE1030ELNS1_3gpuE2ELNS1_3repE0EEENS1_30default_config_static_selectorELNS0_4arch9wavefront6targetE1EEEvSY_,"axG",@progbits,_ZN7rocprim17ROCPRIM_400000_NS6detail17trampoline_kernelINS0_13select_configILj256ELj13ELNS0_17block_load_methodE3ELS4_3ELS4_3ELNS0_20block_scan_algorithmE0ELj4294967295EEENS1_25partition_config_selectorILNS1_17partition_subalgoE3EjNS0_10empty_typeEbEEZZNS1_14partition_implILS8_3ELb0ES6_jNS0_17counting_iteratorIjlEEPS9_SE_NS0_5tupleIJPjSE_EEENSF_IJSE_SE_EEES9_SG_JZNS1_25segmented_radix_sort_implINS0_14default_configELb0EPKfPfPKlPlN2at6native12_GLOBAL__N_18offset_tEEE10hipError_tPvRmT1_PNSt15iterator_traitsISY_E10value_typeET2_T3_PNSZ_IS14_E10value_typeET4_jRbjT5_S1A_jjP12ihipStream_tbEUljE_EEESV_SW_SX_S14_S18_S1A_T6_T7_T9_mT8_S1C_bDpT10_ENKUlT_T0_E_clISt17integral_constantIbLb0EES1P_EEDaS1K_S1L_EUlS1K_E_NS1_11comp_targetILNS1_3genE8ELNS1_11target_archE1030ELNS1_3gpuE2ELNS1_3repE0EEENS1_30default_config_static_selectorELNS0_4arch9wavefront6targetE1EEEvSY_,comdat
	.globl	_ZN7rocprim17ROCPRIM_400000_NS6detail17trampoline_kernelINS0_13select_configILj256ELj13ELNS0_17block_load_methodE3ELS4_3ELS4_3ELNS0_20block_scan_algorithmE0ELj4294967295EEENS1_25partition_config_selectorILNS1_17partition_subalgoE3EjNS0_10empty_typeEbEEZZNS1_14partition_implILS8_3ELb0ES6_jNS0_17counting_iteratorIjlEEPS9_SE_NS0_5tupleIJPjSE_EEENSF_IJSE_SE_EEES9_SG_JZNS1_25segmented_radix_sort_implINS0_14default_configELb0EPKfPfPKlPlN2at6native12_GLOBAL__N_18offset_tEEE10hipError_tPvRmT1_PNSt15iterator_traitsISY_E10value_typeET2_T3_PNSZ_IS14_E10value_typeET4_jRbjT5_S1A_jjP12ihipStream_tbEUljE_EEESV_SW_SX_S14_S18_S1A_T6_T7_T9_mT8_S1C_bDpT10_ENKUlT_T0_E_clISt17integral_constantIbLb0EES1P_EEDaS1K_S1L_EUlS1K_E_NS1_11comp_targetILNS1_3genE8ELNS1_11target_archE1030ELNS1_3gpuE2ELNS1_3repE0EEENS1_30default_config_static_selectorELNS0_4arch9wavefront6targetE1EEEvSY_ ; -- Begin function _ZN7rocprim17ROCPRIM_400000_NS6detail17trampoline_kernelINS0_13select_configILj256ELj13ELNS0_17block_load_methodE3ELS4_3ELS4_3ELNS0_20block_scan_algorithmE0ELj4294967295EEENS1_25partition_config_selectorILNS1_17partition_subalgoE3EjNS0_10empty_typeEbEEZZNS1_14partition_implILS8_3ELb0ES6_jNS0_17counting_iteratorIjlEEPS9_SE_NS0_5tupleIJPjSE_EEENSF_IJSE_SE_EEES9_SG_JZNS1_25segmented_radix_sort_implINS0_14default_configELb0EPKfPfPKlPlN2at6native12_GLOBAL__N_18offset_tEEE10hipError_tPvRmT1_PNSt15iterator_traitsISY_E10value_typeET2_T3_PNSZ_IS14_E10value_typeET4_jRbjT5_S1A_jjP12ihipStream_tbEUljE_EEESV_SW_SX_S14_S18_S1A_T6_T7_T9_mT8_S1C_bDpT10_ENKUlT_T0_E_clISt17integral_constantIbLb0EES1P_EEDaS1K_S1L_EUlS1K_E_NS1_11comp_targetILNS1_3genE8ELNS1_11target_archE1030ELNS1_3gpuE2ELNS1_3repE0EEENS1_30default_config_static_selectorELNS0_4arch9wavefront6targetE1EEEvSY_
	.p2align	8
	.type	_ZN7rocprim17ROCPRIM_400000_NS6detail17trampoline_kernelINS0_13select_configILj256ELj13ELNS0_17block_load_methodE3ELS4_3ELS4_3ELNS0_20block_scan_algorithmE0ELj4294967295EEENS1_25partition_config_selectorILNS1_17partition_subalgoE3EjNS0_10empty_typeEbEEZZNS1_14partition_implILS8_3ELb0ES6_jNS0_17counting_iteratorIjlEEPS9_SE_NS0_5tupleIJPjSE_EEENSF_IJSE_SE_EEES9_SG_JZNS1_25segmented_radix_sort_implINS0_14default_configELb0EPKfPfPKlPlN2at6native12_GLOBAL__N_18offset_tEEE10hipError_tPvRmT1_PNSt15iterator_traitsISY_E10value_typeET2_T3_PNSZ_IS14_E10value_typeET4_jRbjT5_S1A_jjP12ihipStream_tbEUljE_EEESV_SW_SX_S14_S18_S1A_T6_T7_T9_mT8_S1C_bDpT10_ENKUlT_T0_E_clISt17integral_constantIbLb0EES1P_EEDaS1K_S1L_EUlS1K_E_NS1_11comp_targetILNS1_3genE8ELNS1_11target_archE1030ELNS1_3gpuE2ELNS1_3repE0EEENS1_30default_config_static_selectorELNS0_4arch9wavefront6targetE1EEEvSY_,@function
_ZN7rocprim17ROCPRIM_400000_NS6detail17trampoline_kernelINS0_13select_configILj256ELj13ELNS0_17block_load_methodE3ELS4_3ELS4_3ELNS0_20block_scan_algorithmE0ELj4294967295EEENS1_25partition_config_selectorILNS1_17partition_subalgoE3EjNS0_10empty_typeEbEEZZNS1_14partition_implILS8_3ELb0ES6_jNS0_17counting_iteratorIjlEEPS9_SE_NS0_5tupleIJPjSE_EEENSF_IJSE_SE_EEES9_SG_JZNS1_25segmented_radix_sort_implINS0_14default_configELb0EPKfPfPKlPlN2at6native12_GLOBAL__N_18offset_tEEE10hipError_tPvRmT1_PNSt15iterator_traitsISY_E10value_typeET2_T3_PNSZ_IS14_E10value_typeET4_jRbjT5_S1A_jjP12ihipStream_tbEUljE_EEESV_SW_SX_S14_S18_S1A_T6_T7_T9_mT8_S1C_bDpT10_ENKUlT_T0_E_clISt17integral_constantIbLb0EES1P_EEDaS1K_S1L_EUlS1K_E_NS1_11comp_targetILNS1_3genE8ELNS1_11target_archE1030ELNS1_3gpuE2ELNS1_3repE0EEENS1_30default_config_static_selectorELNS0_4arch9wavefront6targetE1EEEvSY_: ; @_ZN7rocprim17ROCPRIM_400000_NS6detail17trampoline_kernelINS0_13select_configILj256ELj13ELNS0_17block_load_methodE3ELS4_3ELS4_3ELNS0_20block_scan_algorithmE0ELj4294967295EEENS1_25partition_config_selectorILNS1_17partition_subalgoE3EjNS0_10empty_typeEbEEZZNS1_14partition_implILS8_3ELb0ES6_jNS0_17counting_iteratorIjlEEPS9_SE_NS0_5tupleIJPjSE_EEENSF_IJSE_SE_EEES9_SG_JZNS1_25segmented_radix_sort_implINS0_14default_configELb0EPKfPfPKlPlN2at6native12_GLOBAL__N_18offset_tEEE10hipError_tPvRmT1_PNSt15iterator_traitsISY_E10value_typeET2_T3_PNSZ_IS14_E10value_typeET4_jRbjT5_S1A_jjP12ihipStream_tbEUljE_EEESV_SW_SX_S14_S18_S1A_T6_T7_T9_mT8_S1C_bDpT10_ENKUlT_T0_E_clISt17integral_constantIbLb0EES1P_EEDaS1K_S1L_EUlS1K_E_NS1_11comp_targetILNS1_3genE8ELNS1_11target_archE1030ELNS1_3gpuE2ELNS1_3repE0EEENS1_30default_config_static_selectorELNS0_4arch9wavefront6targetE1EEEvSY_
; %bb.0:
	.section	.rodata,"a",@progbits
	.p2align	6, 0x0
	.amdhsa_kernel _ZN7rocprim17ROCPRIM_400000_NS6detail17trampoline_kernelINS0_13select_configILj256ELj13ELNS0_17block_load_methodE3ELS4_3ELS4_3ELNS0_20block_scan_algorithmE0ELj4294967295EEENS1_25partition_config_selectorILNS1_17partition_subalgoE3EjNS0_10empty_typeEbEEZZNS1_14partition_implILS8_3ELb0ES6_jNS0_17counting_iteratorIjlEEPS9_SE_NS0_5tupleIJPjSE_EEENSF_IJSE_SE_EEES9_SG_JZNS1_25segmented_radix_sort_implINS0_14default_configELb0EPKfPfPKlPlN2at6native12_GLOBAL__N_18offset_tEEE10hipError_tPvRmT1_PNSt15iterator_traitsISY_E10value_typeET2_T3_PNSZ_IS14_E10value_typeET4_jRbjT5_S1A_jjP12ihipStream_tbEUljE_EEESV_SW_SX_S14_S18_S1A_T6_T7_T9_mT8_S1C_bDpT10_ENKUlT_T0_E_clISt17integral_constantIbLb0EES1P_EEDaS1K_S1L_EUlS1K_E_NS1_11comp_targetILNS1_3genE8ELNS1_11target_archE1030ELNS1_3gpuE2ELNS1_3repE0EEENS1_30default_config_static_selectorELNS0_4arch9wavefront6targetE1EEEvSY_
		.amdhsa_group_segment_fixed_size 0
		.amdhsa_private_segment_fixed_size 0
		.amdhsa_kernarg_size 144
		.amdhsa_user_sgpr_count 6
		.amdhsa_user_sgpr_private_segment_buffer 1
		.amdhsa_user_sgpr_dispatch_ptr 0
		.amdhsa_user_sgpr_queue_ptr 0
		.amdhsa_user_sgpr_kernarg_segment_ptr 1
		.amdhsa_user_sgpr_dispatch_id 0
		.amdhsa_user_sgpr_flat_scratch_init 0
		.amdhsa_user_sgpr_private_segment_size 0
		.amdhsa_uses_dynamic_stack 0
		.amdhsa_system_sgpr_private_segment_wavefront_offset 0
		.amdhsa_system_sgpr_workgroup_id_x 1
		.amdhsa_system_sgpr_workgroup_id_y 0
		.amdhsa_system_sgpr_workgroup_id_z 0
		.amdhsa_system_sgpr_workgroup_info 0
		.amdhsa_system_vgpr_workitem_id 0
		.amdhsa_next_free_vgpr 1
		.amdhsa_next_free_sgpr 0
		.amdhsa_reserve_vcc 0
		.amdhsa_reserve_flat_scratch 0
		.amdhsa_float_round_mode_32 0
		.amdhsa_float_round_mode_16_64 0
		.amdhsa_float_denorm_mode_32 3
		.amdhsa_float_denorm_mode_16_64 3
		.amdhsa_dx10_clamp 1
		.amdhsa_ieee_mode 1
		.amdhsa_fp16_overflow 0
		.amdhsa_exception_fp_ieee_invalid_op 0
		.amdhsa_exception_fp_denorm_src 0
		.amdhsa_exception_fp_ieee_div_zero 0
		.amdhsa_exception_fp_ieee_overflow 0
		.amdhsa_exception_fp_ieee_underflow 0
		.amdhsa_exception_fp_ieee_inexact 0
		.amdhsa_exception_int_div_zero 0
	.end_amdhsa_kernel
	.section	.text._ZN7rocprim17ROCPRIM_400000_NS6detail17trampoline_kernelINS0_13select_configILj256ELj13ELNS0_17block_load_methodE3ELS4_3ELS4_3ELNS0_20block_scan_algorithmE0ELj4294967295EEENS1_25partition_config_selectorILNS1_17partition_subalgoE3EjNS0_10empty_typeEbEEZZNS1_14partition_implILS8_3ELb0ES6_jNS0_17counting_iteratorIjlEEPS9_SE_NS0_5tupleIJPjSE_EEENSF_IJSE_SE_EEES9_SG_JZNS1_25segmented_radix_sort_implINS0_14default_configELb0EPKfPfPKlPlN2at6native12_GLOBAL__N_18offset_tEEE10hipError_tPvRmT1_PNSt15iterator_traitsISY_E10value_typeET2_T3_PNSZ_IS14_E10value_typeET4_jRbjT5_S1A_jjP12ihipStream_tbEUljE_EEESV_SW_SX_S14_S18_S1A_T6_T7_T9_mT8_S1C_bDpT10_ENKUlT_T0_E_clISt17integral_constantIbLb0EES1P_EEDaS1K_S1L_EUlS1K_E_NS1_11comp_targetILNS1_3genE8ELNS1_11target_archE1030ELNS1_3gpuE2ELNS1_3repE0EEENS1_30default_config_static_selectorELNS0_4arch9wavefront6targetE1EEEvSY_,"axG",@progbits,_ZN7rocprim17ROCPRIM_400000_NS6detail17trampoline_kernelINS0_13select_configILj256ELj13ELNS0_17block_load_methodE3ELS4_3ELS4_3ELNS0_20block_scan_algorithmE0ELj4294967295EEENS1_25partition_config_selectorILNS1_17partition_subalgoE3EjNS0_10empty_typeEbEEZZNS1_14partition_implILS8_3ELb0ES6_jNS0_17counting_iteratorIjlEEPS9_SE_NS0_5tupleIJPjSE_EEENSF_IJSE_SE_EEES9_SG_JZNS1_25segmented_radix_sort_implINS0_14default_configELb0EPKfPfPKlPlN2at6native12_GLOBAL__N_18offset_tEEE10hipError_tPvRmT1_PNSt15iterator_traitsISY_E10value_typeET2_T3_PNSZ_IS14_E10value_typeET4_jRbjT5_S1A_jjP12ihipStream_tbEUljE_EEESV_SW_SX_S14_S18_S1A_T6_T7_T9_mT8_S1C_bDpT10_ENKUlT_T0_E_clISt17integral_constantIbLb0EES1P_EEDaS1K_S1L_EUlS1K_E_NS1_11comp_targetILNS1_3genE8ELNS1_11target_archE1030ELNS1_3gpuE2ELNS1_3repE0EEENS1_30default_config_static_selectorELNS0_4arch9wavefront6targetE1EEEvSY_,comdat
.Lfunc_end1403:
	.size	_ZN7rocprim17ROCPRIM_400000_NS6detail17trampoline_kernelINS0_13select_configILj256ELj13ELNS0_17block_load_methodE3ELS4_3ELS4_3ELNS0_20block_scan_algorithmE0ELj4294967295EEENS1_25partition_config_selectorILNS1_17partition_subalgoE3EjNS0_10empty_typeEbEEZZNS1_14partition_implILS8_3ELb0ES6_jNS0_17counting_iteratorIjlEEPS9_SE_NS0_5tupleIJPjSE_EEENSF_IJSE_SE_EEES9_SG_JZNS1_25segmented_radix_sort_implINS0_14default_configELb0EPKfPfPKlPlN2at6native12_GLOBAL__N_18offset_tEEE10hipError_tPvRmT1_PNSt15iterator_traitsISY_E10value_typeET2_T3_PNSZ_IS14_E10value_typeET4_jRbjT5_S1A_jjP12ihipStream_tbEUljE_EEESV_SW_SX_S14_S18_S1A_T6_T7_T9_mT8_S1C_bDpT10_ENKUlT_T0_E_clISt17integral_constantIbLb0EES1P_EEDaS1K_S1L_EUlS1K_E_NS1_11comp_targetILNS1_3genE8ELNS1_11target_archE1030ELNS1_3gpuE2ELNS1_3repE0EEENS1_30default_config_static_selectorELNS0_4arch9wavefront6targetE1EEEvSY_, .Lfunc_end1403-_ZN7rocprim17ROCPRIM_400000_NS6detail17trampoline_kernelINS0_13select_configILj256ELj13ELNS0_17block_load_methodE3ELS4_3ELS4_3ELNS0_20block_scan_algorithmE0ELj4294967295EEENS1_25partition_config_selectorILNS1_17partition_subalgoE3EjNS0_10empty_typeEbEEZZNS1_14partition_implILS8_3ELb0ES6_jNS0_17counting_iteratorIjlEEPS9_SE_NS0_5tupleIJPjSE_EEENSF_IJSE_SE_EEES9_SG_JZNS1_25segmented_radix_sort_implINS0_14default_configELb0EPKfPfPKlPlN2at6native12_GLOBAL__N_18offset_tEEE10hipError_tPvRmT1_PNSt15iterator_traitsISY_E10value_typeET2_T3_PNSZ_IS14_E10value_typeET4_jRbjT5_S1A_jjP12ihipStream_tbEUljE_EEESV_SW_SX_S14_S18_S1A_T6_T7_T9_mT8_S1C_bDpT10_ENKUlT_T0_E_clISt17integral_constantIbLb0EES1P_EEDaS1K_S1L_EUlS1K_E_NS1_11comp_targetILNS1_3genE8ELNS1_11target_archE1030ELNS1_3gpuE2ELNS1_3repE0EEENS1_30default_config_static_selectorELNS0_4arch9wavefront6targetE1EEEvSY_
                                        ; -- End function
	.set _ZN7rocprim17ROCPRIM_400000_NS6detail17trampoline_kernelINS0_13select_configILj256ELj13ELNS0_17block_load_methodE3ELS4_3ELS4_3ELNS0_20block_scan_algorithmE0ELj4294967295EEENS1_25partition_config_selectorILNS1_17partition_subalgoE3EjNS0_10empty_typeEbEEZZNS1_14partition_implILS8_3ELb0ES6_jNS0_17counting_iteratorIjlEEPS9_SE_NS0_5tupleIJPjSE_EEENSF_IJSE_SE_EEES9_SG_JZNS1_25segmented_radix_sort_implINS0_14default_configELb0EPKfPfPKlPlN2at6native12_GLOBAL__N_18offset_tEEE10hipError_tPvRmT1_PNSt15iterator_traitsISY_E10value_typeET2_T3_PNSZ_IS14_E10value_typeET4_jRbjT5_S1A_jjP12ihipStream_tbEUljE_EEESV_SW_SX_S14_S18_S1A_T6_T7_T9_mT8_S1C_bDpT10_ENKUlT_T0_E_clISt17integral_constantIbLb0EES1P_EEDaS1K_S1L_EUlS1K_E_NS1_11comp_targetILNS1_3genE8ELNS1_11target_archE1030ELNS1_3gpuE2ELNS1_3repE0EEENS1_30default_config_static_selectorELNS0_4arch9wavefront6targetE1EEEvSY_.num_vgpr, 0
	.set _ZN7rocprim17ROCPRIM_400000_NS6detail17trampoline_kernelINS0_13select_configILj256ELj13ELNS0_17block_load_methodE3ELS4_3ELS4_3ELNS0_20block_scan_algorithmE0ELj4294967295EEENS1_25partition_config_selectorILNS1_17partition_subalgoE3EjNS0_10empty_typeEbEEZZNS1_14partition_implILS8_3ELb0ES6_jNS0_17counting_iteratorIjlEEPS9_SE_NS0_5tupleIJPjSE_EEENSF_IJSE_SE_EEES9_SG_JZNS1_25segmented_radix_sort_implINS0_14default_configELb0EPKfPfPKlPlN2at6native12_GLOBAL__N_18offset_tEEE10hipError_tPvRmT1_PNSt15iterator_traitsISY_E10value_typeET2_T3_PNSZ_IS14_E10value_typeET4_jRbjT5_S1A_jjP12ihipStream_tbEUljE_EEESV_SW_SX_S14_S18_S1A_T6_T7_T9_mT8_S1C_bDpT10_ENKUlT_T0_E_clISt17integral_constantIbLb0EES1P_EEDaS1K_S1L_EUlS1K_E_NS1_11comp_targetILNS1_3genE8ELNS1_11target_archE1030ELNS1_3gpuE2ELNS1_3repE0EEENS1_30default_config_static_selectorELNS0_4arch9wavefront6targetE1EEEvSY_.num_agpr, 0
	.set _ZN7rocprim17ROCPRIM_400000_NS6detail17trampoline_kernelINS0_13select_configILj256ELj13ELNS0_17block_load_methodE3ELS4_3ELS4_3ELNS0_20block_scan_algorithmE0ELj4294967295EEENS1_25partition_config_selectorILNS1_17partition_subalgoE3EjNS0_10empty_typeEbEEZZNS1_14partition_implILS8_3ELb0ES6_jNS0_17counting_iteratorIjlEEPS9_SE_NS0_5tupleIJPjSE_EEENSF_IJSE_SE_EEES9_SG_JZNS1_25segmented_radix_sort_implINS0_14default_configELb0EPKfPfPKlPlN2at6native12_GLOBAL__N_18offset_tEEE10hipError_tPvRmT1_PNSt15iterator_traitsISY_E10value_typeET2_T3_PNSZ_IS14_E10value_typeET4_jRbjT5_S1A_jjP12ihipStream_tbEUljE_EEESV_SW_SX_S14_S18_S1A_T6_T7_T9_mT8_S1C_bDpT10_ENKUlT_T0_E_clISt17integral_constantIbLb0EES1P_EEDaS1K_S1L_EUlS1K_E_NS1_11comp_targetILNS1_3genE8ELNS1_11target_archE1030ELNS1_3gpuE2ELNS1_3repE0EEENS1_30default_config_static_selectorELNS0_4arch9wavefront6targetE1EEEvSY_.numbered_sgpr, 0
	.set _ZN7rocprim17ROCPRIM_400000_NS6detail17trampoline_kernelINS0_13select_configILj256ELj13ELNS0_17block_load_methodE3ELS4_3ELS4_3ELNS0_20block_scan_algorithmE0ELj4294967295EEENS1_25partition_config_selectorILNS1_17partition_subalgoE3EjNS0_10empty_typeEbEEZZNS1_14partition_implILS8_3ELb0ES6_jNS0_17counting_iteratorIjlEEPS9_SE_NS0_5tupleIJPjSE_EEENSF_IJSE_SE_EEES9_SG_JZNS1_25segmented_radix_sort_implINS0_14default_configELb0EPKfPfPKlPlN2at6native12_GLOBAL__N_18offset_tEEE10hipError_tPvRmT1_PNSt15iterator_traitsISY_E10value_typeET2_T3_PNSZ_IS14_E10value_typeET4_jRbjT5_S1A_jjP12ihipStream_tbEUljE_EEESV_SW_SX_S14_S18_S1A_T6_T7_T9_mT8_S1C_bDpT10_ENKUlT_T0_E_clISt17integral_constantIbLb0EES1P_EEDaS1K_S1L_EUlS1K_E_NS1_11comp_targetILNS1_3genE8ELNS1_11target_archE1030ELNS1_3gpuE2ELNS1_3repE0EEENS1_30default_config_static_selectorELNS0_4arch9wavefront6targetE1EEEvSY_.num_named_barrier, 0
	.set _ZN7rocprim17ROCPRIM_400000_NS6detail17trampoline_kernelINS0_13select_configILj256ELj13ELNS0_17block_load_methodE3ELS4_3ELS4_3ELNS0_20block_scan_algorithmE0ELj4294967295EEENS1_25partition_config_selectorILNS1_17partition_subalgoE3EjNS0_10empty_typeEbEEZZNS1_14partition_implILS8_3ELb0ES6_jNS0_17counting_iteratorIjlEEPS9_SE_NS0_5tupleIJPjSE_EEENSF_IJSE_SE_EEES9_SG_JZNS1_25segmented_radix_sort_implINS0_14default_configELb0EPKfPfPKlPlN2at6native12_GLOBAL__N_18offset_tEEE10hipError_tPvRmT1_PNSt15iterator_traitsISY_E10value_typeET2_T3_PNSZ_IS14_E10value_typeET4_jRbjT5_S1A_jjP12ihipStream_tbEUljE_EEESV_SW_SX_S14_S18_S1A_T6_T7_T9_mT8_S1C_bDpT10_ENKUlT_T0_E_clISt17integral_constantIbLb0EES1P_EEDaS1K_S1L_EUlS1K_E_NS1_11comp_targetILNS1_3genE8ELNS1_11target_archE1030ELNS1_3gpuE2ELNS1_3repE0EEENS1_30default_config_static_selectorELNS0_4arch9wavefront6targetE1EEEvSY_.private_seg_size, 0
	.set _ZN7rocprim17ROCPRIM_400000_NS6detail17trampoline_kernelINS0_13select_configILj256ELj13ELNS0_17block_load_methodE3ELS4_3ELS4_3ELNS0_20block_scan_algorithmE0ELj4294967295EEENS1_25partition_config_selectorILNS1_17partition_subalgoE3EjNS0_10empty_typeEbEEZZNS1_14partition_implILS8_3ELb0ES6_jNS0_17counting_iteratorIjlEEPS9_SE_NS0_5tupleIJPjSE_EEENSF_IJSE_SE_EEES9_SG_JZNS1_25segmented_radix_sort_implINS0_14default_configELb0EPKfPfPKlPlN2at6native12_GLOBAL__N_18offset_tEEE10hipError_tPvRmT1_PNSt15iterator_traitsISY_E10value_typeET2_T3_PNSZ_IS14_E10value_typeET4_jRbjT5_S1A_jjP12ihipStream_tbEUljE_EEESV_SW_SX_S14_S18_S1A_T6_T7_T9_mT8_S1C_bDpT10_ENKUlT_T0_E_clISt17integral_constantIbLb0EES1P_EEDaS1K_S1L_EUlS1K_E_NS1_11comp_targetILNS1_3genE8ELNS1_11target_archE1030ELNS1_3gpuE2ELNS1_3repE0EEENS1_30default_config_static_selectorELNS0_4arch9wavefront6targetE1EEEvSY_.uses_vcc, 0
	.set _ZN7rocprim17ROCPRIM_400000_NS6detail17trampoline_kernelINS0_13select_configILj256ELj13ELNS0_17block_load_methodE3ELS4_3ELS4_3ELNS0_20block_scan_algorithmE0ELj4294967295EEENS1_25partition_config_selectorILNS1_17partition_subalgoE3EjNS0_10empty_typeEbEEZZNS1_14partition_implILS8_3ELb0ES6_jNS0_17counting_iteratorIjlEEPS9_SE_NS0_5tupleIJPjSE_EEENSF_IJSE_SE_EEES9_SG_JZNS1_25segmented_radix_sort_implINS0_14default_configELb0EPKfPfPKlPlN2at6native12_GLOBAL__N_18offset_tEEE10hipError_tPvRmT1_PNSt15iterator_traitsISY_E10value_typeET2_T3_PNSZ_IS14_E10value_typeET4_jRbjT5_S1A_jjP12ihipStream_tbEUljE_EEESV_SW_SX_S14_S18_S1A_T6_T7_T9_mT8_S1C_bDpT10_ENKUlT_T0_E_clISt17integral_constantIbLb0EES1P_EEDaS1K_S1L_EUlS1K_E_NS1_11comp_targetILNS1_3genE8ELNS1_11target_archE1030ELNS1_3gpuE2ELNS1_3repE0EEENS1_30default_config_static_selectorELNS0_4arch9wavefront6targetE1EEEvSY_.uses_flat_scratch, 0
	.set _ZN7rocprim17ROCPRIM_400000_NS6detail17trampoline_kernelINS0_13select_configILj256ELj13ELNS0_17block_load_methodE3ELS4_3ELS4_3ELNS0_20block_scan_algorithmE0ELj4294967295EEENS1_25partition_config_selectorILNS1_17partition_subalgoE3EjNS0_10empty_typeEbEEZZNS1_14partition_implILS8_3ELb0ES6_jNS0_17counting_iteratorIjlEEPS9_SE_NS0_5tupleIJPjSE_EEENSF_IJSE_SE_EEES9_SG_JZNS1_25segmented_radix_sort_implINS0_14default_configELb0EPKfPfPKlPlN2at6native12_GLOBAL__N_18offset_tEEE10hipError_tPvRmT1_PNSt15iterator_traitsISY_E10value_typeET2_T3_PNSZ_IS14_E10value_typeET4_jRbjT5_S1A_jjP12ihipStream_tbEUljE_EEESV_SW_SX_S14_S18_S1A_T6_T7_T9_mT8_S1C_bDpT10_ENKUlT_T0_E_clISt17integral_constantIbLb0EES1P_EEDaS1K_S1L_EUlS1K_E_NS1_11comp_targetILNS1_3genE8ELNS1_11target_archE1030ELNS1_3gpuE2ELNS1_3repE0EEENS1_30default_config_static_selectorELNS0_4arch9wavefront6targetE1EEEvSY_.has_dyn_sized_stack, 0
	.set _ZN7rocprim17ROCPRIM_400000_NS6detail17trampoline_kernelINS0_13select_configILj256ELj13ELNS0_17block_load_methodE3ELS4_3ELS4_3ELNS0_20block_scan_algorithmE0ELj4294967295EEENS1_25partition_config_selectorILNS1_17partition_subalgoE3EjNS0_10empty_typeEbEEZZNS1_14partition_implILS8_3ELb0ES6_jNS0_17counting_iteratorIjlEEPS9_SE_NS0_5tupleIJPjSE_EEENSF_IJSE_SE_EEES9_SG_JZNS1_25segmented_radix_sort_implINS0_14default_configELb0EPKfPfPKlPlN2at6native12_GLOBAL__N_18offset_tEEE10hipError_tPvRmT1_PNSt15iterator_traitsISY_E10value_typeET2_T3_PNSZ_IS14_E10value_typeET4_jRbjT5_S1A_jjP12ihipStream_tbEUljE_EEESV_SW_SX_S14_S18_S1A_T6_T7_T9_mT8_S1C_bDpT10_ENKUlT_T0_E_clISt17integral_constantIbLb0EES1P_EEDaS1K_S1L_EUlS1K_E_NS1_11comp_targetILNS1_3genE8ELNS1_11target_archE1030ELNS1_3gpuE2ELNS1_3repE0EEENS1_30default_config_static_selectorELNS0_4arch9wavefront6targetE1EEEvSY_.has_recursion, 0
	.set _ZN7rocprim17ROCPRIM_400000_NS6detail17trampoline_kernelINS0_13select_configILj256ELj13ELNS0_17block_load_methodE3ELS4_3ELS4_3ELNS0_20block_scan_algorithmE0ELj4294967295EEENS1_25partition_config_selectorILNS1_17partition_subalgoE3EjNS0_10empty_typeEbEEZZNS1_14partition_implILS8_3ELb0ES6_jNS0_17counting_iteratorIjlEEPS9_SE_NS0_5tupleIJPjSE_EEENSF_IJSE_SE_EEES9_SG_JZNS1_25segmented_radix_sort_implINS0_14default_configELb0EPKfPfPKlPlN2at6native12_GLOBAL__N_18offset_tEEE10hipError_tPvRmT1_PNSt15iterator_traitsISY_E10value_typeET2_T3_PNSZ_IS14_E10value_typeET4_jRbjT5_S1A_jjP12ihipStream_tbEUljE_EEESV_SW_SX_S14_S18_S1A_T6_T7_T9_mT8_S1C_bDpT10_ENKUlT_T0_E_clISt17integral_constantIbLb0EES1P_EEDaS1K_S1L_EUlS1K_E_NS1_11comp_targetILNS1_3genE8ELNS1_11target_archE1030ELNS1_3gpuE2ELNS1_3repE0EEENS1_30default_config_static_selectorELNS0_4arch9wavefront6targetE1EEEvSY_.has_indirect_call, 0
	.section	.AMDGPU.csdata,"",@progbits
; Kernel info:
; codeLenInByte = 0
; TotalNumSgprs: 4
; NumVgprs: 0
; ScratchSize: 0
; MemoryBound: 0
; FloatMode: 240
; IeeeMode: 1
; LDSByteSize: 0 bytes/workgroup (compile time only)
; SGPRBlocks: 0
; VGPRBlocks: 0
; NumSGPRsForWavesPerEU: 4
; NumVGPRsForWavesPerEU: 1
; Occupancy: 10
; WaveLimiterHint : 0
; COMPUTE_PGM_RSRC2:SCRATCH_EN: 0
; COMPUTE_PGM_RSRC2:USER_SGPR: 6
; COMPUTE_PGM_RSRC2:TRAP_HANDLER: 0
; COMPUTE_PGM_RSRC2:TGID_X_EN: 1
; COMPUTE_PGM_RSRC2:TGID_Y_EN: 0
; COMPUTE_PGM_RSRC2:TGID_Z_EN: 0
; COMPUTE_PGM_RSRC2:TIDIG_COMP_CNT: 0
	.section	.text._ZN7rocprim17ROCPRIM_400000_NS6detail17trampoline_kernelINS0_13select_configILj256ELj13ELNS0_17block_load_methodE3ELS4_3ELS4_3ELNS0_20block_scan_algorithmE0ELj4294967295EEENS1_25partition_config_selectorILNS1_17partition_subalgoE3EjNS0_10empty_typeEbEEZZNS1_14partition_implILS8_3ELb0ES6_jNS0_17counting_iteratorIjlEEPS9_SE_NS0_5tupleIJPjSE_EEENSF_IJSE_SE_EEES9_SG_JZNS1_25segmented_radix_sort_implINS0_14default_configELb0EPKfPfPKlPlN2at6native12_GLOBAL__N_18offset_tEEE10hipError_tPvRmT1_PNSt15iterator_traitsISY_E10value_typeET2_T3_PNSZ_IS14_E10value_typeET4_jRbjT5_S1A_jjP12ihipStream_tbEUljE_EEESV_SW_SX_S14_S18_S1A_T6_T7_T9_mT8_S1C_bDpT10_ENKUlT_T0_E_clISt17integral_constantIbLb1EES1P_EEDaS1K_S1L_EUlS1K_E_NS1_11comp_targetILNS1_3genE0ELNS1_11target_archE4294967295ELNS1_3gpuE0ELNS1_3repE0EEENS1_30default_config_static_selectorELNS0_4arch9wavefront6targetE1EEEvSY_,"axG",@progbits,_ZN7rocprim17ROCPRIM_400000_NS6detail17trampoline_kernelINS0_13select_configILj256ELj13ELNS0_17block_load_methodE3ELS4_3ELS4_3ELNS0_20block_scan_algorithmE0ELj4294967295EEENS1_25partition_config_selectorILNS1_17partition_subalgoE3EjNS0_10empty_typeEbEEZZNS1_14partition_implILS8_3ELb0ES6_jNS0_17counting_iteratorIjlEEPS9_SE_NS0_5tupleIJPjSE_EEENSF_IJSE_SE_EEES9_SG_JZNS1_25segmented_radix_sort_implINS0_14default_configELb0EPKfPfPKlPlN2at6native12_GLOBAL__N_18offset_tEEE10hipError_tPvRmT1_PNSt15iterator_traitsISY_E10value_typeET2_T3_PNSZ_IS14_E10value_typeET4_jRbjT5_S1A_jjP12ihipStream_tbEUljE_EEESV_SW_SX_S14_S18_S1A_T6_T7_T9_mT8_S1C_bDpT10_ENKUlT_T0_E_clISt17integral_constantIbLb1EES1P_EEDaS1K_S1L_EUlS1K_E_NS1_11comp_targetILNS1_3genE0ELNS1_11target_archE4294967295ELNS1_3gpuE0ELNS1_3repE0EEENS1_30default_config_static_selectorELNS0_4arch9wavefront6targetE1EEEvSY_,comdat
	.globl	_ZN7rocprim17ROCPRIM_400000_NS6detail17trampoline_kernelINS0_13select_configILj256ELj13ELNS0_17block_load_methodE3ELS4_3ELS4_3ELNS0_20block_scan_algorithmE0ELj4294967295EEENS1_25partition_config_selectorILNS1_17partition_subalgoE3EjNS0_10empty_typeEbEEZZNS1_14partition_implILS8_3ELb0ES6_jNS0_17counting_iteratorIjlEEPS9_SE_NS0_5tupleIJPjSE_EEENSF_IJSE_SE_EEES9_SG_JZNS1_25segmented_radix_sort_implINS0_14default_configELb0EPKfPfPKlPlN2at6native12_GLOBAL__N_18offset_tEEE10hipError_tPvRmT1_PNSt15iterator_traitsISY_E10value_typeET2_T3_PNSZ_IS14_E10value_typeET4_jRbjT5_S1A_jjP12ihipStream_tbEUljE_EEESV_SW_SX_S14_S18_S1A_T6_T7_T9_mT8_S1C_bDpT10_ENKUlT_T0_E_clISt17integral_constantIbLb1EES1P_EEDaS1K_S1L_EUlS1K_E_NS1_11comp_targetILNS1_3genE0ELNS1_11target_archE4294967295ELNS1_3gpuE0ELNS1_3repE0EEENS1_30default_config_static_selectorELNS0_4arch9wavefront6targetE1EEEvSY_ ; -- Begin function _ZN7rocprim17ROCPRIM_400000_NS6detail17trampoline_kernelINS0_13select_configILj256ELj13ELNS0_17block_load_methodE3ELS4_3ELS4_3ELNS0_20block_scan_algorithmE0ELj4294967295EEENS1_25partition_config_selectorILNS1_17partition_subalgoE3EjNS0_10empty_typeEbEEZZNS1_14partition_implILS8_3ELb0ES6_jNS0_17counting_iteratorIjlEEPS9_SE_NS0_5tupleIJPjSE_EEENSF_IJSE_SE_EEES9_SG_JZNS1_25segmented_radix_sort_implINS0_14default_configELb0EPKfPfPKlPlN2at6native12_GLOBAL__N_18offset_tEEE10hipError_tPvRmT1_PNSt15iterator_traitsISY_E10value_typeET2_T3_PNSZ_IS14_E10value_typeET4_jRbjT5_S1A_jjP12ihipStream_tbEUljE_EEESV_SW_SX_S14_S18_S1A_T6_T7_T9_mT8_S1C_bDpT10_ENKUlT_T0_E_clISt17integral_constantIbLb1EES1P_EEDaS1K_S1L_EUlS1K_E_NS1_11comp_targetILNS1_3genE0ELNS1_11target_archE4294967295ELNS1_3gpuE0ELNS1_3repE0EEENS1_30default_config_static_selectorELNS0_4arch9wavefront6targetE1EEEvSY_
	.p2align	8
	.type	_ZN7rocprim17ROCPRIM_400000_NS6detail17trampoline_kernelINS0_13select_configILj256ELj13ELNS0_17block_load_methodE3ELS4_3ELS4_3ELNS0_20block_scan_algorithmE0ELj4294967295EEENS1_25partition_config_selectorILNS1_17partition_subalgoE3EjNS0_10empty_typeEbEEZZNS1_14partition_implILS8_3ELb0ES6_jNS0_17counting_iteratorIjlEEPS9_SE_NS0_5tupleIJPjSE_EEENSF_IJSE_SE_EEES9_SG_JZNS1_25segmented_radix_sort_implINS0_14default_configELb0EPKfPfPKlPlN2at6native12_GLOBAL__N_18offset_tEEE10hipError_tPvRmT1_PNSt15iterator_traitsISY_E10value_typeET2_T3_PNSZ_IS14_E10value_typeET4_jRbjT5_S1A_jjP12ihipStream_tbEUljE_EEESV_SW_SX_S14_S18_S1A_T6_T7_T9_mT8_S1C_bDpT10_ENKUlT_T0_E_clISt17integral_constantIbLb1EES1P_EEDaS1K_S1L_EUlS1K_E_NS1_11comp_targetILNS1_3genE0ELNS1_11target_archE4294967295ELNS1_3gpuE0ELNS1_3repE0EEENS1_30default_config_static_selectorELNS0_4arch9wavefront6targetE1EEEvSY_,@function
_ZN7rocprim17ROCPRIM_400000_NS6detail17trampoline_kernelINS0_13select_configILj256ELj13ELNS0_17block_load_methodE3ELS4_3ELS4_3ELNS0_20block_scan_algorithmE0ELj4294967295EEENS1_25partition_config_selectorILNS1_17partition_subalgoE3EjNS0_10empty_typeEbEEZZNS1_14partition_implILS8_3ELb0ES6_jNS0_17counting_iteratorIjlEEPS9_SE_NS0_5tupleIJPjSE_EEENSF_IJSE_SE_EEES9_SG_JZNS1_25segmented_radix_sort_implINS0_14default_configELb0EPKfPfPKlPlN2at6native12_GLOBAL__N_18offset_tEEE10hipError_tPvRmT1_PNSt15iterator_traitsISY_E10value_typeET2_T3_PNSZ_IS14_E10value_typeET4_jRbjT5_S1A_jjP12ihipStream_tbEUljE_EEESV_SW_SX_S14_S18_S1A_T6_T7_T9_mT8_S1C_bDpT10_ENKUlT_T0_E_clISt17integral_constantIbLb1EES1P_EEDaS1K_S1L_EUlS1K_E_NS1_11comp_targetILNS1_3genE0ELNS1_11target_archE4294967295ELNS1_3gpuE0ELNS1_3repE0EEENS1_30default_config_static_selectorELNS0_4arch9wavefront6targetE1EEEvSY_: ; @_ZN7rocprim17ROCPRIM_400000_NS6detail17trampoline_kernelINS0_13select_configILj256ELj13ELNS0_17block_load_methodE3ELS4_3ELS4_3ELNS0_20block_scan_algorithmE0ELj4294967295EEENS1_25partition_config_selectorILNS1_17partition_subalgoE3EjNS0_10empty_typeEbEEZZNS1_14partition_implILS8_3ELb0ES6_jNS0_17counting_iteratorIjlEEPS9_SE_NS0_5tupleIJPjSE_EEENSF_IJSE_SE_EEES9_SG_JZNS1_25segmented_radix_sort_implINS0_14default_configELb0EPKfPfPKlPlN2at6native12_GLOBAL__N_18offset_tEEE10hipError_tPvRmT1_PNSt15iterator_traitsISY_E10value_typeET2_T3_PNSZ_IS14_E10value_typeET4_jRbjT5_S1A_jjP12ihipStream_tbEUljE_EEESV_SW_SX_S14_S18_S1A_T6_T7_T9_mT8_S1C_bDpT10_ENKUlT_T0_E_clISt17integral_constantIbLb1EES1P_EEDaS1K_S1L_EUlS1K_E_NS1_11comp_targetILNS1_3genE0ELNS1_11target_archE4294967295ELNS1_3gpuE0ELNS1_3repE0EEENS1_30default_config_static_selectorELNS0_4arch9wavefront6targetE1EEEvSY_
; %bb.0:
	.section	.rodata,"a",@progbits
	.p2align	6, 0x0
	.amdhsa_kernel _ZN7rocprim17ROCPRIM_400000_NS6detail17trampoline_kernelINS0_13select_configILj256ELj13ELNS0_17block_load_methodE3ELS4_3ELS4_3ELNS0_20block_scan_algorithmE0ELj4294967295EEENS1_25partition_config_selectorILNS1_17partition_subalgoE3EjNS0_10empty_typeEbEEZZNS1_14partition_implILS8_3ELb0ES6_jNS0_17counting_iteratorIjlEEPS9_SE_NS0_5tupleIJPjSE_EEENSF_IJSE_SE_EEES9_SG_JZNS1_25segmented_radix_sort_implINS0_14default_configELb0EPKfPfPKlPlN2at6native12_GLOBAL__N_18offset_tEEE10hipError_tPvRmT1_PNSt15iterator_traitsISY_E10value_typeET2_T3_PNSZ_IS14_E10value_typeET4_jRbjT5_S1A_jjP12ihipStream_tbEUljE_EEESV_SW_SX_S14_S18_S1A_T6_T7_T9_mT8_S1C_bDpT10_ENKUlT_T0_E_clISt17integral_constantIbLb1EES1P_EEDaS1K_S1L_EUlS1K_E_NS1_11comp_targetILNS1_3genE0ELNS1_11target_archE4294967295ELNS1_3gpuE0ELNS1_3repE0EEENS1_30default_config_static_selectorELNS0_4arch9wavefront6targetE1EEEvSY_
		.amdhsa_group_segment_fixed_size 0
		.amdhsa_private_segment_fixed_size 0
		.amdhsa_kernarg_size 152
		.amdhsa_user_sgpr_count 6
		.amdhsa_user_sgpr_private_segment_buffer 1
		.amdhsa_user_sgpr_dispatch_ptr 0
		.amdhsa_user_sgpr_queue_ptr 0
		.amdhsa_user_sgpr_kernarg_segment_ptr 1
		.amdhsa_user_sgpr_dispatch_id 0
		.amdhsa_user_sgpr_flat_scratch_init 0
		.amdhsa_user_sgpr_private_segment_size 0
		.amdhsa_uses_dynamic_stack 0
		.amdhsa_system_sgpr_private_segment_wavefront_offset 0
		.amdhsa_system_sgpr_workgroup_id_x 1
		.amdhsa_system_sgpr_workgroup_id_y 0
		.amdhsa_system_sgpr_workgroup_id_z 0
		.amdhsa_system_sgpr_workgroup_info 0
		.amdhsa_system_vgpr_workitem_id 0
		.amdhsa_next_free_vgpr 1
		.amdhsa_next_free_sgpr 0
		.amdhsa_reserve_vcc 0
		.amdhsa_reserve_flat_scratch 0
		.amdhsa_float_round_mode_32 0
		.amdhsa_float_round_mode_16_64 0
		.amdhsa_float_denorm_mode_32 3
		.amdhsa_float_denorm_mode_16_64 3
		.amdhsa_dx10_clamp 1
		.amdhsa_ieee_mode 1
		.amdhsa_fp16_overflow 0
		.amdhsa_exception_fp_ieee_invalid_op 0
		.amdhsa_exception_fp_denorm_src 0
		.amdhsa_exception_fp_ieee_div_zero 0
		.amdhsa_exception_fp_ieee_overflow 0
		.amdhsa_exception_fp_ieee_underflow 0
		.amdhsa_exception_fp_ieee_inexact 0
		.amdhsa_exception_int_div_zero 0
	.end_amdhsa_kernel
	.section	.text._ZN7rocprim17ROCPRIM_400000_NS6detail17trampoline_kernelINS0_13select_configILj256ELj13ELNS0_17block_load_methodE3ELS4_3ELS4_3ELNS0_20block_scan_algorithmE0ELj4294967295EEENS1_25partition_config_selectorILNS1_17partition_subalgoE3EjNS0_10empty_typeEbEEZZNS1_14partition_implILS8_3ELb0ES6_jNS0_17counting_iteratorIjlEEPS9_SE_NS0_5tupleIJPjSE_EEENSF_IJSE_SE_EEES9_SG_JZNS1_25segmented_radix_sort_implINS0_14default_configELb0EPKfPfPKlPlN2at6native12_GLOBAL__N_18offset_tEEE10hipError_tPvRmT1_PNSt15iterator_traitsISY_E10value_typeET2_T3_PNSZ_IS14_E10value_typeET4_jRbjT5_S1A_jjP12ihipStream_tbEUljE_EEESV_SW_SX_S14_S18_S1A_T6_T7_T9_mT8_S1C_bDpT10_ENKUlT_T0_E_clISt17integral_constantIbLb1EES1P_EEDaS1K_S1L_EUlS1K_E_NS1_11comp_targetILNS1_3genE0ELNS1_11target_archE4294967295ELNS1_3gpuE0ELNS1_3repE0EEENS1_30default_config_static_selectorELNS0_4arch9wavefront6targetE1EEEvSY_,"axG",@progbits,_ZN7rocprim17ROCPRIM_400000_NS6detail17trampoline_kernelINS0_13select_configILj256ELj13ELNS0_17block_load_methodE3ELS4_3ELS4_3ELNS0_20block_scan_algorithmE0ELj4294967295EEENS1_25partition_config_selectorILNS1_17partition_subalgoE3EjNS0_10empty_typeEbEEZZNS1_14partition_implILS8_3ELb0ES6_jNS0_17counting_iteratorIjlEEPS9_SE_NS0_5tupleIJPjSE_EEENSF_IJSE_SE_EEES9_SG_JZNS1_25segmented_radix_sort_implINS0_14default_configELb0EPKfPfPKlPlN2at6native12_GLOBAL__N_18offset_tEEE10hipError_tPvRmT1_PNSt15iterator_traitsISY_E10value_typeET2_T3_PNSZ_IS14_E10value_typeET4_jRbjT5_S1A_jjP12ihipStream_tbEUljE_EEESV_SW_SX_S14_S18_S1A_T6_T7_T9_mT8_S1C_bDpT10_ENKUlT_T0_E_clISt17integral_constantIbLb1EES1P_EEDaS1K_S1L_EUlS1K_E_NS1_11comp_targetILNS1_3genE0ELNS1_11target_archE4294967295ELNS1_3gpuE0ELNS1_3repE0EEENS1_30default_config_static_selectorELNS0_4arch9wavefront6targetE1EEEvSY_,comdat
.Lfunc_end1404:
	.size	_ZN7rocprim17ROCPRIM_400000_NS6detail17trampoline_kernelINS0_13select_configILj256ELj13ELNS0_17block_load_methodE3ELS4_3ELS4_3ELNS0_20block_scan_algorithmE0ELj4294967295EEENS1_25partition_config_selectorILNS1_17partition_subalgoE3EjNS0_10empty_typeEbEEZZNS1_14partition_implILS8_3ELb0ES6_jNS0_17counting_iteratorIjlEEPS9_SE_NS0_5tupleIJPjSE_EEENSF_IJSE_SE_EEES9_SG_JZNS1_25segmented_radix_sort_implINS0_14default_configELb0EPKfPfPKlPlN2at6native12_GLOBAL__N_18offset_tEEE10hipError_tPvRmT1_PNSt15iterator_traitsISY_E10value_typeET2_T3_PNSZ_IS14_E10value_typeET4_jRbjT5_S1A_jjP12ihipStream_tbEUljE_EEESV_SW_SX_S14_S18_S1A_T6_T7_T9_mT8_S1C_bDpT10_ENKUlT_T0_E_clISt17integral_constantIbLb1EES1P_EEDaS1K_S1L_EUlS1K_E_NS1_11comp_targetILNS1_3genE0ELNS1_11target_archE4294967295ELNS1_3gpuE0ELNS1_3repE0EEENS1_30default_config_static_selectorELNS0_4arch9wavefront6targetE1EEEvSY_, .Lfunc_end1404-_ZN7rocprim17ROCPRIM_400000_NS6detail17trampoline_kernelINS0_13select_configILj256ELj13ELNS0_17block_load_methodE3ELS4_3ELS4_3ELNS0_20block_scan_algorithmE0ELj4294967295EEENS1_25partition_config_selectorILNS1_17partition_subalgoE3EjNS0_10empty_typeEbEEZZNS1_14partition_implILS8_3ELb0ES6_jNS0_17counting_iteratorIjlEEPS9_SE_NS0_5tupleIJPjSE_EEENSF_IJSE_SE_EEES9_SG_JZNS1_25segmented_radix_sort_implINS0_14default_configELb0EPKfPfPKlPlN2at6native12_GLOBAL__N_18offset_tEEE10hipError_tPvRmT1_PNSt15iterator_traitsISY_E10value_typeET2_T3_PNSZ_IS14_E10value_typeET4_jRbjT5_S1A_jjP12ihipStream_tbEUljE_EEESV_SW_SX_S14_S18_S1A_T6_T7_T9_mT8_S1C_bDpT10_ENKUlT_T0_E_clISt17integral_constantIbLb1EES1P_EEDaS1K_S1L_EUlS1K_E_NS1_11comp_targetILNS1_3genE0ELNS1_11target_archE4294967295ELNS1_3gpuE0ELNS1_3repE0EEENS1_30default_config_static_selectorELNS0_4arch9wavefront6targetE1EEEvSY_
                                        ; -- End function
	.set _ZN7rocprim17ROCPRIM_400000_NS6detail17trampoline_kernelINS0_13select_configILj256ELj13ELNS0_17block_load_methodE3ELS4_3ELS4_3ELNS0_20block_scan_algorithmE0ELj4294967295EEENS1_25partition_config_selectorILNS1_17partition_subalgoE3EjNS0_10empty_typeEbEEZZNS1_14partition_implILS8_3ELb0ES6_jNS0_17counting_iteratorIjlEEPS9_SE_NS0_5tupleIJPjSE_EEENSF_IJSE_SE_EEES9_SG_JZNS1_25segmented_radix_sort_implINS0_14default_configELb0EPKfPfPKlPlN2at6native12_GLOBAL__N_18offset_tEEE10hipError_tPvRmT1_PNSt15iterator_traitsISY_E10value_typeET2_T3_PNSZ_IS14_E10value_typeET4_jRbjT5_S1A_jjP12ihipStream_tbEUljE_EEESV_SW_SX_S14_S18_S1A_T6_T7_T9_mT8_S1C_bDpT10_ENKUlT_T0_E_clISt17integral_constantIbLb1EES1P_EEDaS1K_S1L_EUlS1K_E_NS1_11comp_targetILNS1_3genE0ELNS1_11target_archE4294967295ELNS1_3gpuE0ELNS1_3repE0EEENS1_30default_config_static_selectorELNS0_4arch9wavefront6targetE1EEEvSY_.num_vgpr, 0
	.set _ZN7rocprim17ROCPRIM_400000_NS6detail17trampoline_kernelINS0_13select_configILj256ELj13ELNS0_17block_load_methodE3ELS4_3ELS4_3ELNS0_20block_scan_algorithmE0ELj4294967295EEENS1_25partition_config_selectorILNS1_17partition_subalgoE3EjNS0_10empty_typeEbEEZZNS1_14partition_implILS8_3ELb0ES6_jNS0_17counting_iteratorIjlEEPS9_SE_NS0_5tupleIJPjSE_EEENSF_IJSE_SE_EEES9_SG_JZNS1_25segmented_radix_sort_implINS0_14default_configELb0EPKfPfPKlPlN2at6native12_GLOBAL__N_18offset_tEEE10hipError_tPvRmT1_PNSt15iterator_traitsISY_E10value_typeET2_T3_PNSZ_IS14_E10value_typeET4_jRbjT5_S1A_jjP12ihipStream_tbEUljE_EEESV_SW_SX_S14_S18_S1A_T6_T7_T9_mT8_S1C_bDpT10_ENKUlT_T0_E_clISt17integral_constantIbLb1EES1P_EEDaS1K_S1L_EUlS1K_E_NS1_11comp_targetILNS1_3genE0ELNS1_11target_archE4294967295ELNS1_3gpuE0ELNS1_3repE0EEENS1_30default_config_static_selectorELNS0_4arch9wavefront6targetE1EEEvSY_.num_agpr, 0
	.set _ZN7rocprim17ROCPRIM_400000_NS6detail17trampoline_kernelINS0_13select_configILj256ELj13ELNS0_17block_load_methodE3ELS4_3ELS4_3ELNS0_20block_scan_algorithmE0ELj4294967295EEENS1_25partition_config_selectorILNS1_17partition_subalgoE3EjNS0_10empty_typeEbEEZZNS1_14partition_implILS8_3ELb0ES6_jNS0_17counting_iteratorIjlEEPS9_SE_NS0_5tupleIJPjSE_EEENSF_IJSE_SE_EEES9_SG_JZNS1_25segmented_radix_sort_implINS0_14default_configELb0EPKfPfPKlPlN2at6native12_GLOBAL__N_18offset_tEEE10hipError_tPvRmT1_PNSt15iterator_traitsISY_E10value_typeET2_T3_PNSZ_IS14_E10value_typeET4_jRbjT5_S1A_jjP12ihipStream_tbEUljE_EEESV_SW_SX_S14_S18_S1A_T6_T7_T9_mT8_S1C_bDpT10_ENKUlT_T0_E_clISt17integral_constantIbLb1EES1P_EEDaS1K_S1L_EUlS1K_E_NS1_11comp_targetILNS1_3genE0ELNS1_11target_archE4294967295ELNS1_3gpuE0ELNS1_3repE0EEENS1_30default_config_static_selectorELNS0_4arch9wavefront6targetE1EEEvSY_.numbered_sgpr, 0
	.set _ZN7rocprim17ROCPRIM_400000_NS6detail17trampoline_kernelINS0_13select_configILj256ELj13ELNS0_17block_load_methodE3ELS4_3ELS4_3ELNS0_20block_scan_algorithmE0ELj4294967295EEENS1_25partition_config_selectorILNS1_17partition_subalgoE3EjNS0_10empty_typeEbEEZZNS1_14partition_implILS8_3ELb0ES6_jNS0_17counting_iteratorIjlEEPS9_SE_NS0_5tupleIJPjSE_EEENSF_IJSE_SE_EEES9_SG_JZNS1_25segmented_radix_sort_implINS0_14default_configELb0EPKfPfPKlPlN2at6native12_GLOBAL__N_18offset_tEEE10hipError_tPvRmT1_PNSt15iterator_traitsISY_E10value_typeET2_T3_PNSZ_IS14_E10value_typeET4_jRbjT5_S1A_jjP12ihipStream_tbEUljE_EEESV_SW_SX_S14_S18_S1A_T6_T7_T9_mT8_S1C_bDpT10_ENKUlT_T0_E_clISt17integral_constantIbLb1EES1P_EEDaS1K_S1L_EUlS1K_E_NS1_11comp_targetILNS1_3genE0ELNS1_11target_archE4294967295ELNS1_3gpuE0ELNS1_3repE0EEENS1_30default_config_static_selectorELNS0_4arch9wavefront6targetE1EEEvSY_.num_named_barrier, 0
	.set _ZN7rocprim17ROCPRIM_400000_NS6detail17trampoline_kernelINS0_13select_configILj256ELj13ELNS0_17block_load_methodE3ELS4_3ELS4_3ELNS0_20block_scan_algorithmE0ELj4294967295EEENS1_25partition_config_selectorILNS1_17partition_subalgoE3EjNS0_10empty_typeEbEEZZNS1_14partition_implILS8_3ELb0ES6_jNS0_17counting_iteratorIjlEEPS9_SE_NS0_5tupleIJPjSE_EEENSF_IJSE_SE_EEES9_SG_JZNS1_25segmented_radix_sort_implINS0_14default_configELb0EPKfPfPKlPlN2at6native12_GLOBAL__N_18offset_tEEE10hipError_tPvRmT1_PNSt15iterator_traitsISY_E10value_typeET2_T3_PNSZ_IS14_E10value_typeET4_jRbjT5_S1A_jjP12ihipStream_tbEUljE_EEESV_SW_SX_S14_S18_S1A_T6_T7_T9_mT8_S1C_bDpT10_ENKUlT_T0_E_clISt17integral_constantIbLb1EES1P_EEDaS1K_S1L_EUlS1K_E_NS1_11comp_targetILNS1_3genE0ELNS1_11target_archE4294967295ELNS1_3gpuE0ELNS1_3repE0EEENS1_30default_config_static_selectorELNS0_4arch9wavefront6targetE1EEEvSY_.private_seg_size, 0
	.set _ZN7rocprim17ROCPRIM_400000_NS6detail17trampoline_kernelINS0_13select_configILj256ELj13ELNS0_17block_load_methodE3ELS4_3ELS4_3ELNS0_20block_scan_algorithmE0ELj4294967295EEENS1_25partition_config_selectorILNS1_17partition_subalgoE3EjNS0_10empty_typeEbEEZZNS1_14partition_implILS8_3ELb0ES6_jNS0_17counting_iteratorIjlEEPS9_SE_NS0_5tupleIJPjSE_EEENSF_IJSE_SE_EEES9_SG_JZNS1_25segmented_radix_sort_implINS0_14default_configELb0EPKfPfPKlPlN2at6native12_GLOBAL__N_18offset_tEEE10hipError_tPvRmT1_PNSt15iterator_traitsISY_E10value_typeET2_T3_PNSZ_IS14_E10value_typeET4_jRbjT5_S1A_jjP12ihipStream_tbEUljE_EEESV_SW_SX_S14_S18_S1A_T6_T7_T9_mT8_S1C_bDpT10_ENKUlT_T0_E_clISt17integral_constantIbLb1EES1P_EEDaS1K_S1L_EUlS1K_E_NS1_11comp_targetILNS1_3genE0ELNS1_11target_archE4294967295ELNS1_3gpuE0ELNS1_3repE0EEENS1_30default_config_static_selectorELNS0_4arch9wavefront6targetE1EEEvSY_.uses_vcc, 0
	.set _ZN7rocprim17ROCPRIM_400000_NS6detail17trampoline_kernelINS0_13select_configILj256ELj13ELNS0_17block_load_methodE3ELS4_3ELS4_3ELNS0_20block_scan_algorithmE0ELj4294967295EEENS1_25partition_config_selectorILNS1_17partition_subalgoE3EjNS0_10empty_typeEbEEZZNS1_14partition_implILS8_3ELb0ES6_jNS0_17counting_iteratorIjlEEPS9_SE_NS0_5tupleIJPjSE_EEENSF_IJSE_SE_EEES9_SG_JZNS1_25segmented_radix_sort_implINS0_14default_configELb0EPKfPfPKlPlN2at6native12_GLOBAL__N_18offset_tEEE10hipError_tPvRmT1_PNSt15iterator_traitsISY_E10value_typeET2_T3_PNSZ_IS14_E10value_typeET4_jRbjT5_S1A_jjP12ihipStream_tbEUljE_EEESV_SW_SX_S14_S18_S1A_T6_T7_T9_mT8_S1C_bDpT10_ENKUlT_T0_E_clISt17integral_constantIbLb1EES1P_EEDaS1K_S1L_EUlS1K_E_NS1_11comp_targetILNS1_3genE0ELNS1_11target_archE4294967295ELNS1_3gpuE0ELNS1_3repE0EEENS1_30default_config_static_selectorELNS0_4arch9wavefront6targetE1EEEvSY_.uses_flat_scratch, 0
	.set _ZN7rocprim17ROCPRIM_400000_NS6detail17trampoline_kernelINS0_13select_configILj256ELj13ELNS0_17block_load_methodE3ELS4_3ELS4_3ELNS0_20block_scan_algorithmE0ELj4294967295EEENS1_25partition_config_selectorILNS1_17partition_subalgoE3EjNS0_10empty_typeEbEEZZNS1_14partition_implILS8_3ELb0ES6_jNS0_17counting_iteratorIjlEEPS9_SE_NS0_5tupleIJPjSE_EEENSF_IJSE_SE_EEES9_SG_JZNS1_25segmented_radix_sort_implINS0_14default_configELb0EPKfPfPKlPlN2at6native12_GLOBAL__N_18offset_tEEE10hipError_tPvRmT1_PNSt15iterator_traitsISY_E10value_typeET2_T3_PNSZ_IS14_E10value_typeET4_jRbjT5_S1A_jjP12ihipStream_tbEUljE_EEESV_SW_SX_S14_S18_S1A_T6_T7_T9_mT8_S1C_bDpT10_ENKUlT_T0_E_clISt17integral_constantIbLb1EES1P_EEDaS1K_S1L_EUlS1K_E_NS1_11comp_targetILNS1_3genE0ELNS1_11target_archE4294967295ELNS1_3gpuE0ELNS1_3repE0EEENS1_30default_config_static_selectorELNS0_4arch9wavefront6targetE1EEEvSY_.has_dyn_sized_stack, 0
	.set _ZN7rocprim17ROCPRIM_400000_NS6detail17trampoline_kernelINS0_13select_configILj256ELj13ELNS0_17block_load_methodE3ELS4_3ELS4_3ELNS0_20block_scan_algorithmE0ELj4294967295EEENS1_25partition_config_selectorILNS1_17partition_subalgoE3EjNS0_10empty_typeEbEEZZNS1_14partition_implILS8_3ELb0ES6_jNS0_17counting_iteratorIjlEEPS9_SE_NS0_5tupleIJPjSE_EEENSF_IJSE_SE_EEES9_SG_JZNS1_25segmented_radix_sort_implINS0_14default_configELb0EPKfPfPKlPlN2at6native12_GLOBAL__N_18offset_tEEE10hipError_tPvRmT1_PNSt15iterator_traitsISY_E10value_typeET2_T3_PNSZ_IS14_E10value_typeET4_jRbjT5_S1A_jjP12ihipStream_tbEUljE_EEESV_SW_SX_S14_S18_S1A_T6_T7_T9_mT8_S1C_bDpT10_ENKUlT_T0_E_clISt17integral_constantIbLb1EES1P_EEDaS1K_S1L_EUlS1K_E_NS1_11comp_targetILNS1_3genE0ELNS1_11target_archE4294967295ELNS1_3gpuE0ELNS1_3repE0EEENS1_30default_config_static_selectorELNS0_4arch9wavefront6targetE1EEEvSY_.has_recursion, 0
	.set _ZN7rocprim17ROCPRIM_400000_NS6detail17trampoline_kernelINS0_13select_configILj256ELj13ELNS0_17block_load_methodE3ELS4_3ELS4_3ELNS0_20block_scan_algorithmE0ELj4294967295EEENS1_25partition_config_selectorILNS1_17partition_subalgoE3EjNS0_10empty_typeEbEEZZNS1_14partition_implILS8_3ELb0ES6_jNS0_17counting_iteratorIjlEEPS9_SE_NS0_5tupleIJPjSE_EEENSF_IJSE_SE_EEES9_SG_JZNS1_25segmented_radix_sort_implINS0_14default_configELb0EPKfPfPKlPlN2at6native12_GLOBAL__N_18offset_tEEE10hipError_tPvRmT1_PNSt15iterator_traitsISY_E10value_typeET2_T3_PNSZ_IS14_E10value_typeET4_jRbjT5_S1A_jjP12ihipStream_tbEUljE_EEESV_SW_SX_S14_S18_S1A_T6_T7_T9_mT8_S1C_bDpT10_ENKUlT_T0_E_clISt17integral_constantIbLb1EES1P_EEDaS1K_S1L_EUlS1K_E_NS1_11comp_targetILNS1_3genE0ELNS1_11target_archE4294967295ELNS1_3gpuE0ELNS1_3repE0EEENS1_30default_config_static_selectorELNS0_4arch9wavefront6targetE1EEEvSY_.has_indirect_call, 0
	.section	.AMDGPU.csdata,"",@progbits
; Kernel info:
; codeLenInByte = 0
; TotalNumSgprs: 4
; NumVgprs: 0
; ScratchSize: 0
; MemoryBound: 0
; FloatMode: 240
; IeeeMode: 1
; LDSByteSize: 0 bytes/workgroup (compile time only)
; SGPRBlocks: 0
; VGPRBlocks: 0
; NumSGPRsForWavesPerEU: 4
; NumVGPRsForWavesPerEU: 1
; Occupancy: 10
; WaveLimiterHint : 0
; COMPUTE_PGM_RSRC2:SCRATCH_EN: 0
; COMPUTE_PGM_RSRC2:USER_SGPR: 6
; COMPUTE_PGM_RSRC2:TRAP_HANDLER: 0
; COMPUTE_PGM_RSRC2:TGID_X_EN: 1
; COMPUTE_PGM_RSRC2:TGID_Y_EN: 0
; COMPUTE_PGM_RSRC2:TGID_Z_EN: 0
; COMPUTE_PGM_RSRC2:TIDIG_COMP_CNT: 0
	.section	.text._ZN7rocprim17ROCPRIM_400000_NS6detail17trampoline_kernelINS0_13select_configILj256ELj13ELNS0_17block_load_methodE3ELS4_3ELS4_3ELNS0_20block_scan_algorithmE0ELj4294967295EEENS1_25partition_config_selectorILNS1_17partition_subalgoE3EjNS0_10empty_typeEbEEZZNS1_14partition_implILS8_3ELb0ES6_jNS0_17counting_iteratorIjlEEPS9_SE_NS0_5tupleIJPjSE_EEENSF_IJSE_SE_EEES9_SG_JZNS1_25segmented_radix_sort_implINS0_14default_configELb0EPKfPfPKlPlN2at6native12_GLOBAL__N_18offset_tEEE10hipError_tPvRmT1_PNSt15iterator_traitsISY_E10value_typeET2_T3_PNSZ_IS14_E10value_typeET4_jRbjT5_S1A_jjP12ihipStream_tbEUljE_EEESV_SW_SX_S14_S18_S1A_T6_T7_T9_mT8_S1C_bDpT10_ENKUlT_T0_E_clISt17integral_constantIbLb1EES1P_EEDaS1K_S1L_EUlS1K_E_NS1_11comp_targetILNS1_3genE5ELNS1_11target_archE942ELNS1_3gpuE9ELNS1_3repE0EEENS1_30default_config_static_selectorELNS0_4arch9wavefront6targetE1EEEvSY_,"axG",@progbits,_ZN7rocprim17ROCPRIM_400000_NS6detail17trampoline_kernelINS0_13select_configILj256ELj13ELNS0_17block_load_methodE3ELS4_3ELS4_3ELNS0_20block_scan_algorithmE0ELj4294967295EEENS1_25partition_config_selectorILNS1_17partition_subalgoE3EjNS0_10empty_typeEbEEZZNS1_14partition_implILS8_3ELb0ES6_jNS0_17counting_iteratorIjlEEPS9_SE_NS0_5tupleIJPjSE_EEENSF_IJSE_SE_EEES9_SG_JZNS1_25segmented_radix_sort_implINS0_14default_configELb0EPKfPfPKlPlN2at6native12_GLOBAL__N_18offset_tEEE10hipError_tPvRmT1_PNSt15iterator_traitsISY_E10value_typeET2_T3_PNSZ_IS14_E10value_typeET4_jRbjT5_S1A_jjP12ihipStream_tbEUljE_EEESV_SW_SX_S14_S18_S1A_T6_T7_T9_mT8_S1C_bDpT10_ENKUlT_T0_E_clISt17integral_constantIbLb1EES1P_EEDaS1K_S1L_EUlS1K_E_NS1_11comp_targetILNS1_3genE5ELNS1_11target_archE942ELNS1_3gpuE9ELNS1_3repE0EEENS1_30default_config_static_selectorELNS0_4arch9wavefront6targetE1EEEvSY_,comdat
	.globl	_ZN7rocprim17ROCPRIM_400000_NS6detail17trampoline_kernelINS0_13select_configILj256ELj13ELNS0_17block_load_methodE3ELS4_3ELS4_3ELNS0_20block_scan_algorithmE0ELj4294967295EEENS1_25partition_config_selectorILNS1_17partition_subalgoE3EjNS0_10empty_typeEbEEZZNS1_14partition_implILS8_3ELb0ES6_jNS0_17counting_iteratorIjlEEPS9_SE_NS0_5tupleIJPjSE_EEENSF_IJSE_SE_EEES9_SG_JZNS1_25segmented_radix_sort_implINS0_14default_configELb0EPKfPfPKlPlN2at6native12_GLOBAL__N_18offset_tEEE10hipError_tPvRmT1_PNSt15iterator_traitsISY_E10value_typeET2_T3_PNSZ_IS14_E10value_typeET4_jRbjT5_S1A_jjP12ihipStream_tbEUljE_EEESV_SW_SX_S14_S18_S1A_T6_T7_T9_mT8_S1C_bDpT10_ENKUlT_T0_E_clISt17integral_constantIbLb1EES1P_EEDaS1K_S1L_EUlS1K_E_NS1_11comp_targetILNS1_3genE5ELNS1_11target_archE942ELNS1_3gpuE9ELNS1_3repE0EEENS1_30default_config_static_selectorELNS0_4arch9wavefront6targetE1EEEvSY_ ; -- Begin function _ZN7rocprim17ROCPRIM_400000_NS6detail17trampoline_kernelINS0_13select_configILj256ELj13ELNS0_17block_load_methodE3ELS4_3ELS4_3ELNS0_20block_scan_algorithmE0ELj4294967295EEENS1_25partition_config_selectorILNS1_17partition_subalgoE3EjNS0_10empty_typeEbEEZZNS1_14partition_implILS8_3ELb0ES6_jNS0_17counting_iteratorIjlEEPS9_SE_NS0_5tupleIJPjSE_EEENSF_IJSE_SE_EEES9_SG_JZNS1_25segmented_radix_sort_implINS0_14default_configELb0EPKfPfPKlPlN2at6native12_GLOBAL__N_18offset_tEEE10hipError_tPvRmT1_PNSt15iterator_traitsISY_E10value_typeET2_T3_PNSZ_IS14_E10value_typeET4_jRbjT5_S1A_jjP12ihipStream_tbEUljE_EEESV_SW_SX_S14_S18_S1A_T6_T7_T9_mT8_S1C_bDpT10_ENKUlT_T0_E_clISt17integral_constantIbLb1EES1P_EEDaS1K_S1L_EUlS1K_E_NS1_11comp_targetILNS1_3genE5ELNS1_11target_archE942ELNS1_3gpuE9ELNS1_3repE0EEENS1_30default_config_static_selectorELNS0_4arch9wavefront6targetE1EEEvSY_
	.p2align	8
	.type	_ZN7rocprim17ROCPRIM_400000_NS6detail17trampoline_kernelINS0_13select_configILj256ELj13ELNS0_17block_load_methodE3ELS4_3ELS4_3ELNS0_20block_scan_algorithmE0ELj4294967295EEENS1_25partition_config_selectorILNS1_17partition_subalgoE3EjNS0_10empty_typeEbEEZZNS1_14partition_implILS8_3ELb0ES6_jNS0_17counting_iteratorIjlEEPS9_SE_NS0_5tupleIJPjSE_EEENSF_IJSE_SE_EEES9_SG_JZNS1_25segmented_radix_sort_implINS0_14default_configELb0EPKfPfPKlPlN2at6native12_GLOBAL__N_18offset_tEEE10hipError_tPvRmT1_PNSt15iterator_traitsISY_E10value_typeET2_T3_PNSZ_IS14_E10value_typeET4_jRbjT5_S1A_jjP12ihipStream_tbEUljE_EEESV_SW_SX_S14_S18_S1A_T6_T7_T9_mT8_S1C_bDpT10_ENKUlT_T0_E_clISt17integral_constantIbLb1EES1P_EEDaS1K_S1L_EUlS1K_E_NS1_11comp_targetILNS1_3genE5ELNS1_11target_archE942ELNS1_3gpuE9ELNS1_3repE0EEENS1_30default_config_static_selectorELNS0_4arch9wavefront6targetE1EEEvSY_,@function
_ZN7rocprim17ROCPRIM_400000_NS6detail17trampoline_kernelINS0_13select_configILj256ELj13ELNS0_17block_load_methodE3ELS4_3ELS4_3ELNS0_20block_scan_algorithmE0ELj4294967295EEENS1_25partition_config_selectorILNS1_17partition_subalgoE3EjNS0_10empty_typeEbEEZZNS1_14partition_implILS8_3ELb0ES6_jNS0_17counting_iteratorIjlEEPS9_SE_NS0_5tupleIJPjSE_EEENSF_IJSE_SE_EEES9_SG_JZNS1_25segmented_radix_sort_implINS0_14default_configELb0EPKfPfPKlPlN2at6native12_GLOBAL__N_18offset_tEEE10hipError_tPvRmT1_PNSt15iterator_traitsISY_E10value_typeET2_T3_PNSZ_IS14_E10value_typeET4_jRbjT5_S1A_jjP12ihipStream_tbEUljE_EEESV_SW_SX_S14_S18_S1A_T6_T7_T9_mT8_S1C_bDpT10_ENKUlT_T0_E_clISt17integral_constantIbLb1EES1P_EEDaS1K_S1L_EUlS1K_E_NS1_11comp_targetILNS1_3genE5ELNS1_11target_archE942ELNS1_3gpuE9ELNS1_3repE0EEENS1_30default_config_static_selectorELNS0_4arch9wavefront6targetE1EEEvSY_: ; @_ZN7rocprim17ROCPRIM_400000_NS6detail17trampoline_kernelINS0_13select_configILj256ELj13ELNS0_17block_load_methodE3ELS4_3ELS4_3ELNS0_20block_scan_algorithmE0ELj4294967295EEENS1_25partition_config_selectorILNS1_17partition_subalgoE3EjNS0_10empty_typeEbEEZZNS1_14partition_implILS8_3ELb0ES6_jNS0_17counting_iteratorIjlEEPS9_SE_NS0_5tupleIJPjSE_EEENSF_IJSE_SE_EEES9_SG_JZNS1_25segmented_radix_sort_implINS0_14default_configELb0EPKfPfPKlPlN2at6native12_GLOBAL__N_18offset_tEEE10hipError_tPvRmT1_PNSt15iterator_traitsISY_E10value_typeET2_T3_PNSZ_IS14_E10value_typeET4_jRbjT5_S1A_jjP12ihipStream_tbEUljE_EEESV_SW_SX_S14_S18_S1A_T6_T7_T9_mT8_S1C_bDpT10_ENKUlT_T0_E_clISt17integral_constantIbLb1EES1P_EEDaS1K_S1L_EUlS1K_E_NS1_11comp_targetILNS1_3genE5ELNS1_11target_archE942ELNS1_3gpuE9ELNS1_3repE0EEENS1_30default_config_static_selectorELNS0_4arch9wavefront6targetE1EEEvSY_
; %bb.0:
	.section	.rodata,"a",@progbits
	.p2align	6, 0x0
	.amdhsa_kernel _ZN7rocprim17ROCPRIM_400000_NS6detail17trampoline_kernelINS0_13select_configILj256ELj13ELNS0_17block_load_methodE3ELS4_3ELS4_3ELNS0_20block_scan_algorithmE0ELj4294967295EEENS1_25partition_config_selectorILNS1_17partition_subalgoE3EjNS0_10empty_typeEbEEZZNS1_14partition_implILS8_3ELb0ES6_jNS0_17counting_iteratorIjlEEPS9_SE_NS0_5tupleIJPjSE_EEENSF_IJSE_SE_EEES9_SG_JZNS1_25segmented_radix_sort_implINS0_14default_configELb0EPKfPfPKlPlN2at6native12_GLOBAL__N_18offset_tEEE10hipError_tPvRmT1_PNSt15iterator_traitsISY_E10value_typeET2_T3_PNSZ_IS14_E10value_typeET4_jRbjT5_S1A_jjP12ihipStream_tbEUljE_EEESV_SW_SX_S14_S18_S1A_T6_T7_T9_mT8_S1C_bDpT10_ENKUlT_T0_E_clISt17integral_constantIbLb1EES1P_EEDaS1K_S1L_EUlS1K_E_NS1_11comp_targetILNS1_3genE5ELNS1_11target_archE942ELNS1_3gpuE9ELNS1_3repE0EEENS1_30default_config_static_selectorELNS0_4arch9wavefront6targetE1EEEvSY_
		.amdhsa_group_segment_fixed_size 0
		.amdhsa_private_segment_fixed_size 0
		.amdhsa_kernarg_size 152
		.amdhsa_user_sgpr_count 6
		.amdhsa_user_sgpr_private_segment_buffer 1
		.amdhsa_user_sgpr_dispatch_ptr 0
		.amdhsa_user_sgpr_queue_ptr 0
		.amdhsa_user_sgpr_kernarg_segment_ptr 1
		.amdhsa_user_sgpr_dispatch_id 0
		.amdhsa_user_sgpr_flat_scratch_init 0
		.amdhsa_user_sgpr_private_segment_size 0
		.amdhsa_uses_dynamic_stack 0
		.amdhsa_system_sgpr_private_segment_wavefront_offset 0
		.amdhsa_system_sgpr_workgroup_id_x 1
		.amdhsa_system_sgpr_workgroup_id_y 0
		.amdhsa_system_sgpr_workgroup_id_z 0
		.amdhsa_system_sgpr_workgroup_info 0
		.amdhsa_system_vgpr_workitem_id 0
		.amdhsa_next_free_vgpr 1
		.amdhsa_next_free_sgpr 0
		.amdhsa_reserve_vcc 0
		.amdhsa_reserve_flat_scratch 0
		.amdhsa_float_round_mode_32 0
		.amdhsa_float_round_mode_16_64 0
		.amdhsa_float_denorm_mode_32 3
		.amdhsa_float_denorm_mode_16_64 3
		.amdhsa_dx10_clamp 1
		.amdhsa_ieee_mode 1
		.amdhsa_fp16_overflow 0
		.amdhsa_exception_fp_ieee_invalid_op 0
		.amdhsa_exception_fp_denorm_src 0
		.amdhsa_exception_fp_ieee_div_zero 0
		.amdhsa_exception_fp_ieee_overflow 0
		.amdhsa_exception_fp_ieee_underflow 0
		.amdhsa_exception_fp_ieee_inexact 0
		.amdhsa_exception_int_div_zero 0
	.end_amdhsa_kernel
	.section	.text._ZN7rocprim17ROCPRIM_400000_NS6detail17trampoline_kernelINS0_13select_configILj256ELj13ELNS0_17block_load_methodE3ELS4_3ELS4_3ELNS0_20block_scan_algorithmE0ELj4294967295EEENS1_25partition_config_selectorILNS1_17partition_subalgoE3EjNS0_10empty_typeEbEEZZNS1_14partition_implILS8_3ELb0ES6_jNS0_17counting_iteratorIjlEEPS9_SE_NS0_5tupleIJPjSE_EEENSF_IJSE_SE_EEES9_SG_JZNS1_25segmented_radix_sort_implINS0_14default_configELb0EPKfPfPKlPlN2at6native12_GLOBAL__N_18offset_tEEE10hipError_tPvRmT1_PNSt15iterator_traitsISY_E10value_typeET2_T3_PNSZ_IS14_E10value_typeET4_jRbjT5_S1A_jjP12ihipStream_tbEUljE_EEESV_SW_SX_S14_S18_S1A_T6_T7_T9_mT8_S1C_bDpT10_ENKUlT_T0_E_clISt17integral_constantIbLb1EES1P_EEDaS1K_S1L_EUlS1K_E_NS1_11comp_targetILNS1_3genE5ELNS1_11target_archE942ELNS1_3gpuE9ELNS1_3repE0EEENS1_30default_config_static_selectorELNS0_4arch9wavefront6targetE1EEEvSY_,"axG",@progbits,_ZN7rocprim17ROCPRIM_400000_NS6detail17trampoline_kernelINS0_13select_configILj256ELj13ELNS0_17block_load_methodE3ELS4_3ELS4_3ELNS0_20block_scan_algorithmE0ELj4294967295EEENS1_25partition_config_selectorILNS1_17partition_subalgoE3EjNS0_10empty_typeEbEEZZNS1_14partition_implILS8_3ELb0ES6_jNS0_17counting_iteratorIjlEEPS9_SE_NS0_5tupleIJPjSE_EEENSF_IJSE_SE_EEES9_SG_JZNS1_25segmented_radix_sort_implINS0_14default_configELb0EPKfPfPKlPlN2at6native12_GLOBAL__N_18offset_tEEE10hipError_tPvRmT1_PNSt15iterator_traitsISY_E10value_typeET2_T3_PNSZ_IS14_E10value_typeET4_jRbjT5_S1A_jjP12ihipStream_tbEUljE_EEESV_SW_SX_S14_S18_S1A_T6_T7_T9_mT8_S1C_bDpT10_ENKUlT_T0_E_clISt17integral_constantIbLb1EES1P_EEDaS1K_S1L_EUlS1K_E_NS1_11comp_targetILNS1_3genE5ELNS1_11target_archE942ELNS1_3gpuE9ELNS1_3repE0EEENS1_30default_config_static_selectorELNS0_4arch9wavefront6targetE1EEEvSY_,comdat
.Lfunc_end1405:
	.size	_ZN7rocprim17ROCPRIM_400000_NS6detail17trampoline_kernelINS0_13select_configILj256ELj13ELNS0_17block_load_methodE3ELS4_3ELS4_3ELNS0_20block_scan_algorithmE0ELj4294967295EEENS1_25partition_config_selectorILNS1_17partition_subalgoE3EjNS0_10empty_typeEbEEZZNS1_14partition_implILS8_3ELb0ES6_jNS0_17counting_iteratorIjlEEPS9_SE_NS0_5tupleIJPjSE_EEENSF_IJSE_SE_EEES9_SG_JZNS1_25segmented_radix_sort_implINS0_14default_configELb0EPKfPfPKlPlN2at6native12_GLOBAL__N_18offset_tEEE10hipError_tPvRmT1_PNSt15iterator_traitsISY_E10value_typeET2_T3_PNSZ_IS14_E10value_typeET4_jRbjT5_S1A_jjP12ihipStream_tbEUljE_EEESV_SW_SX_S14_S18_S1A_T6_T7_T9_mT8_S1C_bDpT10_ENKUlT_T0_E_clISt17integral_constantIbLb1EES1P_EEDaS1K_S1L_EUlS1K_E_NS1_11comp_targetILNS1_3genE5ELNS1_11target_archE942ELNS1_3gpuE9ELNS1_3repE0EEENS1_30default_config_static_selectorELNS0_4arch9wavefront6targetE1EEEvSY_, .Lfunc_end1405-_ZN7rocprim17ROCPRIM_400000_NS6detail17trampoline_kernelINS0_13select_configILj256ELj13ELNS0_17block_load_methodE3ELS4_3ELS4_3ELNS0_20block_scan_algorithmE0ELj4294967295EEENS1_25partition_config_selectorILNS1_17partition_subalgoE3EjNS0_10empty_typeEbEEZZNS1_14partition_implILS8_3ELb0ES6_jNS0_17counting_iteratorIjlEEPS9_SE_NS0_5tupleIJPjSE_EEENSF_IJSE_SE_EEES9_SG_JZNS1_25segmented_radix_sort_implINS0_14default_configELb0EPKfPfPKlPlN2at6native12_GLOBAL__N_18offset_tEEE10hipError_tPvRmT1_PNSt15iterator_traitsISY_E10value_typeET2_T3_PNSZ_IS14_E10value_typeET4_jRbjT5_S1A_jjP12ihipStream_tbEUljE_EEESV_SW_SX_S14_S18_S1A_T6_T7_T9_mT8_S1C_bDpT10_ENKUlT_T0_E_clISt17integral_constantIbLb1EES1P_EEDaS1K_S1L_EUlS1K_E_NS1_11comp_targetILNS1_3genE5ELNS1_11target_archE942ELNS1_3gpuE9ELNS1_3repE0EEENS1_30default_config_static_selectorELNS0_4arch9wavefront6targetE1EEEvSY_
                                        ; -- End function
	.set _ZN7rocprim17ROCPRIM_400000_NS6detail17trampoline_kernelINS0_13select_configILj256ELj13ELNS0_17block_load_methodE3ELS4_3ELS4_3ELNS0_20block_scan_algorithmE0ELj4294967295EEENS1_25partition_config_selectorILNS1_17partition_subalgoE3EjNS0_10empty_typeEbEEZZNS1_14partition_implILS8_3ELb0ES6_jNS0_17counting_iteratorIjlEEPS9_SE_NS0_5tupleIJPjSE_EEENSF_IJSE_SE_EEES9_SG_JZNS1_25segmented_radix_sort_implINS0_14default_configELb0EPKfPfPKlPlN2at6native12_GLOBAL__N_18offset_tEEE10hipError_tPvRmT1_PNSt15iterator_traitsISY_E10value_typeET2_T3_PNSZ_IS14_E10value_typeET4_jRbjT5_S1A_jjP12ihipStream_tbEUljE_EEESV_SW_SX_S14_S18_S1A_T6_T7_T9_mT8_S1C_bDpT10_ENKUlT_T0_E_clISt17integral_constantIbLb1EES1P_EEDaS1K_S1L_EUlS1K_E_NS1_11comp_targetILNS1_3genE5ELNS1_11target_archE942ELNS1_3gpuE9ELNS1_3repE0EEENS1_30default_config_static_selectorELNS0_4arch9wavefront6targetE1EEEvSY_.num_vgpr, 0
	.set _ZN7rocprim17ROCPRIM_400000_NS6detail17trampoline_kernelINS0_13select_configILj256ELj13ELNS0_17block_load_methodE3ELS4_3ELS4_3ELNS0_20block_scan_algorithmE0ELj4294967295EEENS1_25partition_config_selectorILNS1_17partition_subalgoE3EjNS0_10empty_typeEbEEZZNS1_14partition_implILS8_3ELb0ES6_jNS0_17counting_iteratorIjlEEPS9_SE_NS0_5tupleIJPjSE_EEENSF_IJSE_SE_EEES9_SG_JZNS1_25segmented_radix_sort_implINS0_14default_configELb0EPKfPfPKlPlN2at6native12_GLOBAL__N_18offset_tEEE10hipError_tPvRmT1_PNSt15iterator_traitsISY_E10value_typeET2_T3_PNSZ_IS14_E10value_typeET4_jRbjT5_S1A_jjP12ihipStream_tbEUljE_EEESV_SW_SX_S14_S18_S1A_T6_T7_T9_mT8_S1C_bDpT10_ENKUlT_T0_E_clISt17integral_constantIbLb1EES1P_EEDaS1K_S1L_EUlS1K_E_NS1_11comp_targetILNS1_3genE5ELNS1_11target_archE942ELNS1_3gpuE9ELNS1_3repE0EEENS1_30default_config_static_selectorELNS0_4arch9wavefront6targetE1EEEvSY_.num_agpr, 0
	.set _ZN7rocprim17ROCPRIM_400000_NS6detail17trampoline_kernelINS0_13select_configILj256ELj13ELNS0_17block_load_methodE3ELS4_3ELS4_3ELNS0_20block_scan_algorithmE0ELj4294967295EEENS1_25partition_config_selectorILNS1_17partition_subalgoE3EjNS0_10empty_typeEbEEZZNS1_14partition_implILS8_3ELb0ES6_jNS0_17counting_iteratorIjlEEPS9_SE_NS0_5tupleIJPjSE_EEENSF_IJSE_SE_EEES9_SG_JZNS1_25segmented_radix_sort_implINS0_14default_configELb0EPKfPfPKlPlN2at6native12_GLOBAL__N_18offset_tEEE10hipError_tPvRmT1_PNSt15iterator_traitsISY_E10value_typeET2_T3_PNSZ_IS14_E10value_typeET4_jRbjT5_S1A_jjP12ihipStream_tbEUljE_EEESV_SW_SX_S14_S18_S1A_T6_T7_T9_mT8_S1C_bDpT10_ENKUlT_T0_E_clISt17integral_constantIbLb1EES1P_EEDaS1K_S1L_EUlS1K_E_NS1_11comp_targetILNS1_3genE5ELNS1_11target_archE942ELNS1_3gpuE9ELNS1_3repE0EEENS1_30default_config_static_selectorELNS0_4arch9wavefront6targetE1EEEvSY_.numbered_sgpr, 0
	.set _ZN7rocprim17ROCPRIM_400000_NS6detail17trampoline_kernelINS0_13select_configILj256ELj13ELNS0_17block_load_methodE3ELS4_3ELS4_3ELNS0_20block_scan_algorithmE0ELj4294967295EEENS1_25partition_config_selectorILNS1_17partition_subalgoE3EjNS0_10empty_typeEbEEZZNS1_14partition_implILS8_3ELb0ES6_jNS0_17counting_iteratorIjlEEPS9_SE_NS0_5tupleIJPjSE_EEENSF_IJSE_SE_EEES9_SG_JZNS1_25segmented_radix_sort_implINS0_14default_configELb0EPKfPfPKlPlN2at6native12_GLOBAL__N_18offset_tEEE10hipError_tPvRmT1_PNSt15iterator_traitsISY_E10value_typeET2_T3_PNSZ_IS14_E10value_typeET4_jRbjT5_S1A_jjP12ihipStream_tbEUljE_EEESV_SW_SX_S14_S18_S1A_T6_T7_T9_mT8_S1C_bDpT10_ENKUlT_T0_E_clISt17integral_constantIbLb1EES1P_EEDaS1K_S1L_EUlS1K_E_NS1_11comp_targetILNS1_3genE5ELNS1_11target_archE942ELNS1_3gpuE9ELNS1_3repE0EEENS1_30default_config_static_selectorELNS0_4arch9wavefront6targetE1EEEvSY_.num_named_barrier, 0
	.set _ZN7rocprim17ROCPRIM_400000_NS6detail17trampoline_kernelINS0_13select_configILj256ELj13ELNS0_17block_load_methodE3ELS4_3ELS4_3ELNS0_20block_scan_algorithmE0ELj4294967295EEENS1_25partition_config_selectorILNS1_17partition_subalgoE3EjNS0_10empty_typeEbEEZZNS1_14partition_implILS8_3ELb0ES6_jNS0_17counting_iteratorIjlEEPS9_SE_NS0_5tupleIJPjSE_EEENSF_IJSE_SE_EEES9_SG_JZNS1_25segmented_radix_sort_implINS0_14default_configELb0EPKfPfPKlPlN2at6native12_GLOBAL__N_18offset_tEEE10hipError_tPvRmT1_PNSt15iterator_traitsISY_E10value_typeET2_T3_PNSZ_IS14_E10value_typeET4_jRbjT5_S1A_jjP12ihipStream_tbEUljE_EEESV_SW_SX_S14_S18_S1A_T6_T7_T9_mT8_S1C_bDpT10_ENKUlT_T0_E_clISt17integral_constantIbLb1EES1P_EEDaS1K_S1L_EUlS1K_E_NS1_11comp_targetILNS1_3genE5ELNS1_11target_archE942ELNS1_3gpuE9ELNS1_3repE0EEENS1_30default_config_static_selectorELNS0_4arch9wavefront6targetE1EEEvSY_.private_seg_size, 0
	.set _ZN7rocprim17ROCPRIM_400000_NS6detail17trampoline_kernelINS0_13select_configILj256ELj13ELNS0_17block_load_methodE3ELS4_3ELS4_3ELNS0_20block_scan_algorithmE0ELj4294967295EEENS1_25partition_config_selectorILNS1_17partition_subalgoE3EjNS0_10empty_typeEbEEZZNS1_14partition_implILS8_3ELb0ES6_jNS0_17counting_iteratorIjlEEPS9_SE_NS0_5tupleIJPjSE_EEENSF_IJSE_SE_EEES9_SG_JZNS1_25segmented_radix_sort_implINS0_14default_configELb0EPKfPfPKlPlN2at6native12_GLOBAL__N_18offset_tEEE10hipError_tPvRmT1_PNSt15iterator_traitsISY_E10value_typeET2_T3_PNSZ_IS14_E10value_typeET4_jRbjT5_S1A_jjP12ihipStream_tbEUljE_EEESV_SW_SX_S14_S18_S1A_T6_T7_T9_mT8_S1C_bDpT10_ENKUlT_T0_E_clISt17integral_constantIbLb1EES1P_EEDaS1K_S1L_EUlS1K_E_NS1_11comp_targetILNS1_3genE5ELNS1_11target_archE942ELNS1_3gpuE9ELNS1_3repE0EEENS1_30default_config_static_selectorELNS0_4arch9wavefront6targetE1EEEvSY_.uses_vcc, 0
	.set _ZN7rocprim17ROCPRIM_400000_NS6detail17trampoline_kernelINS0_13select_configILj256ELj13ELNS0_17block_load_methodE3ELS4_3ELS4_3ELNS0_20block_scan_algorithmE0ELj4294967295EEENS1_25partition_config_selectorILNS1_17partition_subalgoE3EjNS0_10empty_typeEbEEZZNS1_14partition_implILS8_3ELb0ES6_jNS0_17counting_iteratorIjlEEPS9_SE_NS0_5tupleIJPjSE_EEENSF_IJSE_SE_EEES9_SG_JZNS1_25segmented_radix_sort_implINS0_14default_configELb0EPKfPfPKlPlN2at6native12_GLOBAL__N_18offset_tEEE10hipError_tPvRmT1_PNSt15iterator_traitsISY_E10value_typeET2_T3_PNSZ_IS14_E10value_typeET4_jRbjT5_S1A_jjP12ihipStream_tbEUljE_EEESV_SW_SX_S14_S18_S1A_T6_T7_T9_mT8_S1C_bDpT10_ENKUlT_T0_E_clISt17integral_constantIbLb1EES1P_EEDaS1K_S1L_EUlS1K_E_NS1_11comp_targetILNS1_3genE5ELNS1_11target_archE942ELNS1_3gpuE9ELNS1_3repE0EEENS1_30default_config_static_selectorELNS0_4arch9wavefront6targetE1EEEvSY_.uses_flat_scratch, 0
	.set _ZN7rocprim17ROCPRIM_400000_NS6detail17trampoline_kernelINS0_13select_configILj256ELj13ELNS0_17block_load_methodE3ELS4_3ELS4_3ELNS0_20block_scan_algorithmE0ELj4294967295EEENS1_25partition_config_selectorILNS1_17partition_subalgoE3EjNS0_10empty_typeEbEEZZNS1_14partition_implILS8_3ELb0ES6_jNS0_17counting_iteratorIjlEEPS9_SE_NS0_5tupleIJPjSE_EEENSF_IJSE_SE_EEES9_SG_JZNS1_25segmented_radix_sort_implINS0_14default_configELb0EPKfPfPKlPlN2at6native12_GLOBAL__N_18offset_tEEE10hipError_tPvRmT1_PNSt15iterator_traitsISY_E10value_typeET2_T3_PNSZ_IS14_E10value_typeET4_jRbjT5_S1A_jjP12ihipStream_tbEUljE_EEESV_SW_SX_S14_S18_S1A_T6_T7_T9_mT8_S1C_bDpT10_ENKUlT_T0_E_clISt17integral_constantIbLb1EES1P_EEDaS1K_S1L_EUlS1K_E_NS1_11comp_targetILNS1_3genE5ELNS1_11target_archE942ELNS1_3gpuE9ELNS1_3repE0EEENS1_30default_config_static_selectorELNS0_4arch9wavefront6targetE1EEEvSY_.has_dyn_sized_stack, 0
	.set _ZN7rocprim17ROCPRIM_400000_NS6detail17trampoline_kernelINS0_13select_configILj256ELj13ELNS0_17block_load_methodE3ELS4_3ELS4_3ELNS0_20block_scan_algorithmE0ELj4294967295EEENS1_25partition_config_selectorILNS1_17partition_subalgoE3EjNS0_10empty_typeEbEEZZNS1_14partition_implILS8_3ELb0ES6_jNS0_17counting_iteratorIjlEEPS9_SE_NS0_5tupleIJPjSE_EEENSF_IJSE_SE_EEES9_SG_JZNS1_25segmented_radix_sort_implINS0_14default_configELb0EPKfPfPKlPlN2at6native12_GLOBAL__N_18offset_tEEE10hipError_tPvRmT1_PNSt15iterator_traitsISY_E10value_typeET2_T3_PNSZ_IS14_E10value_typeET4_jRbjT5_S1A_jjP12ihipStream_tbEUljE_EEESV_SW_SX_S14_S18_S1A_T6_T7_T9_mT8_S1C_bDpT10_ENKUlT_T0_E_clISt17integral_constantIbLb1EES1P_EEDaS1K_S1L_EUlS1K_E_NS1_11comp_targetILNS1_3genE5ELNS1_11target_archE942ELNS1_3gpuE9ELNS1_3repE0EEENS1_30default_config_static_selectorELNS0_4arch9wavefront6targetE1EEEvSY_.has_recursion, 0
	.set _ZN7rocprim17ROCPRIM_400000_NS6detail17trampoline_kernelINS0_13select_configILj256ELj13ELNS0_17block_load_methodE3ELS4_3ELS4_3ELNS0_20block_scan_algorithmE0ELj4294967295EEENS1_25partition_config_selectorILNS1_17partition_subalgoE3EjNS0_10empty_typeEbEEZZNS1_14partition_implILS8_3ELb0ES6_jNS0_17counting_iteratorIjlEEPS9_SE_NS0_5tupleIJPjSE_EEENSF_IJSE_SE_EEES9_SG_JZNS1_25segmented_radix_sort_implINS0_14default_configELb0EPKfPfPKlPlN2at6native12_GLOBAL__N_18offset_tEEE10hipError_tPvRmT1_PNSt15iterator_traitsISY_E10value_typeET2_T3_PNSZ_IS14_E10value_typeET4_jRbjT5_S1A_jjP12ihipStream_tbEUljE_EEESV_SW_SX_S14_S18_S1A_T6_T7_T9_mT8_S1C_bDpT10_ENKUlT_T0_E_clISt17integral_constantIbLb1EES1P_EEDaS1K_S1L_EUlS1K_E_NS1_11comp_targetILNS1_3genE5ELNS1_11target_archE942ELNS1_3gpuE9ELNS1_3repE0EEENS1_30default_config_static_selectorELNS0_4arch9wavefront6targetE1EEEvSY_.has_indirect_call, 0
	.section	.AMDGPU.csdata,"",@progbits
; Kernel info:
; codeLenInByte = 0
; TotalNumSgprs: 4
; NumVgprs: 0
; ScratchSize: 0
; MemoryBound: 0
; FloatMode: 240
; IeeeMode: 1
; LDSByteSize: 0 bytes/workgroup (compile time only)
; SGPRBlocks: 0
; VGPRBlocks: 0
; NumSGPRsForWavesPerEU: 4
; NumVGPRsForWavesPerEU: 1
; Occupancy: 10
; WaveLimiterHint : 0
; COMPUTE_PGM_RSRC2:SCRATCH_EN: 0
; COMPUTE_PGM_RSRC2:USER_SGPR: 6
; COMPUTE_PGM_RSRC2:TRAP_HANDLER: 0
; COMPUTE_PGM_RSRC2:TGID_X_EN: 1
; COMPUTE_PGM_RSRC2:TGID_Y_EN: 0
; COMPUTE_PGM_RSRC2:TGID_Z_EN: 0
; COMPUTE_PGM_RSRC2:TIDIG_COMP_CNT: 0
	.section	.text._ZN7rocprim17ROCPRIM_400000_NS6detail17trampoline_kernelINS0_13select_configILj256ELj13ELNS0_17block_load_methodE3ELS4_3ELS4_3ELNS0_20block_scan_algorithmE0ELj4294967295EEENS1_25partition_config_selectorILNS1_17partition_subalgoE3EjNS0_10empty_typeEbEEZZNS1_14partition_implILS8_3ELb0ES6_jNS0_17counting_iteratorIjlEEPS9_SE_NS0_5tupleIJPjSE_EEENSF_IJSE_SE_EEES9_SG_JZNS1_25segmented_radix_sort_implINS0_14default_configELb0EPKfPfPKlPlN2at6native12_GLOBAL__N_18offset_tEEE10hipError_tPvRmT1_PNSt15iterator_traitsISY_E10value_typeET2_T3_PNSZ_IS14_E10value_typeET4_jRbjT5_S1A_jjP12ihipStream_tbEUljE_EEESV_SW_SX_S14_S18_S1A_T6_T7_T9_mT8_S1C_bDpT10_ENKUlT_T0_E_clISt17integral_constantIbLb1EES1P_EEDaS1K_S1L_EUlS1K_E_NS1_11comp_targetILNS1_3genE4ELNS1_11target_archE910ELNS1_3gpuE8ELNS1_3repE0EEENS1_30default_config_static_selectorELNS0_4arch9wavefront6targetE1EEEvSY_,"axG",@progbits,_ZN7rocprim17ROCPRIM_400000_NS6detail17trampoline_kernelINS0_13select_configILj256ELj13ELNS0_17block_load_methodE3ELS4_3ELS4_3ELNS0_20block_scan_algorithmE0ELj4294967295EEENS1_25partition_config_selectorILNS1_17partition_subalgoE3EjNS0_10empty_typeEbEEZZNS1_14partition_implILS8_3ELb0ES6_jNS0_17counting_iteratorIjlEEPS9_SE_NS0_5tupleIJPjSE_EEENSF_IJSE_SE_EEES9_SG_JZNS1_25segmented_radix_sort_implINS0_14default_configELb0EPKfPfPKlPlN2at6native12_GLOBAL__N_18offset_tEEE10hipError_tPvRmT1_PNSt15iterator_traitsISY_E10value_typeET2_T3_PNSZ_IS14_E10value_typeET4_jRbjT5_S1A_jjP12ihipStream_tbEUljE_EEESV_SW_SX_S14_S18_S1A_T6_T7_T9_mT8_S1C_bDpT10_ENKUlT_T0_E_clISt17integral_constantIbLb1EES1P_EEDaS1K_S1L_EUlS1K_E_NS1_11comp_targetILNS1_3genE4ELNS1_11target_archE910ELNS1_3gpuE8ELNS1_3repE0EEENS1_30default_config_static_selectorELNS0_4arch9wavefront6targetE1EEEvSY_,comdat
	.globl	_ZN7rocprim17ROCPRIM_400000_NS6detail17trampoline_kernelINS0_13select_configILj256ELj13ELNS0_17block_load_methodE3ELS4_3ELS4_3ELNS0_20block_scan_algorithmE0ELj4294967295EEENS1_25partition_config_selectorILNS1_17partition_subalgoE3EjNS0_10empty_typeEbEEZZNS1_14partition_implILS8_3ELb0ES6_jNS0_17counting_iteratorIjlEEPS9_SE_NS0_5tupleIJPjSE_EEENSF_IJSE_SE_EEES9_SG_JZNS1_25segmented_radix_sort_implINS0_14default_configELb0EPKfPfPKlPlN2at6native12_GLOBAL__N_18offset_tEEE10hipError_tPvRmT1_PNSt15iterator_traitsISY_E10value_typeET2_T3_PNSZ_IS14_E10value_typeET4_jRbjT5_S1A_jjP12ihipStream_tbEUljE_EEESV_SW_SX_S14_S18_S1A_T6_T7_T9_mT8_S1C_bDpT10_ENKUlT_T0_E_clISt17integral_constantIbLb1EES1P_EEDaS1K_S1L_EUlS1K_E_NS1_11comp_targetILNS1_3genE4ELNS1_11target_archE910ELNS1_3gpuE8ELNS1_3repE0EEENS1_30default_config_static_selectorELNS0_4arch9wavefront6targetE1EEEvSY_ ; -- Begin function _ZN7rocprim17ROCPRIM_400000_NS6detail17trampoline_kernelINS0_13select_configILj256ELj13ELNS0_17block_load_methodE3ELS4_3ELS4_3ELNS0_20block_scan_algorithmE0ELj4294967295EEENS1_25partition_config_selectorILNS1_17partition_subalgoE3EjNS0_10empty_typeEbEEZZNS1_14partition_implILS8_3ELb0ES6_jNS0_17counting_iteratorIjlEEPS9_SE_NS0_5tupleIJPjSE_EEENSF_IJSE_SE_EEES9_SG_JZNS1_25segmented_radix_sort_implINS0_14default_configELb0EPKfPfPKlPlN2at6native12_GLOBAL__N_18offset_tEEE10hipError_tPvRmT1_PNSt15iterator_traitsISY_E10value_typeET2_T3_PNSZ_IS14_E10value_typeET4_jRbjT5_S1A_jjP12ihipStream_tbEUljE_EEESV_SW_SX_S14_S18_S1A_T6_T7_T9_mT8_S1C_bDpT10_ENKUlT_T0_E_clISt17integral_constantIbLb1EES1P_EEDaS1K_S1L_EUlS1K_E_NS1_11comp_targetILNS1_3genE4ELNS1_11target_archE910ELNS1_3gpuE8ELNS1_3repE0EEENS1_30default_config_static_selectorELNS0_4arch9wavefront6targetE1EEEvSY_
	.p2align	8
	.type	_ZN7rocprim17ROCPRIM_400000_NS6detail17trampoline_kernelINS0_13select_configILj256ELj13ELNS0_17block_load_methodE3ELS4_3ELS4_3ELNS0_20block_scan_algorithmE0ELj4294967295EEENS1_25partition_config_selectorILNS1_17partition_subalgoE3EjNS0_10empty_typeEbEEZZNS1_14partition_implILS8_3ELb0ES6_jNS0_17counting_iteratorIjlEEPS9_SE_NS0_5tupleIJPjSE_EEENSF_IJSE_SE_EEES9_SG_JZNS1_25segmented_radix_sort_implINS0_14default_configELb0EPKfPfPKlPlN2at6native12_GLOBAL__N_18offset_tEEE10hipError_tPvRmT1_PNSt15iterator_traitsISY_E10value_typeET2_T3_PNSZ_IS14_E10value_typeET4_jRbjT5_S1A_jjP12ihipStream_tbEUljE_EEESV_SW_SX_S14_S18_S1A_T6_T7_T9_mT8_S1C_bDpT10_ENKUlT_T0_E_clISt17integral_constantIbLb1EES1P_EEDaS1K_S1L_EUlS1K_E_NS1_11comp_targetILNS1_3genE4ELNS1_11target_archE910ELNS1_3gpuE8ELNS1_3repE0EEENS1_30default_config_static_selectorELNS0_4arch9wavefront6targetE1EEEvSY_,@function
_ZN7rocprim17ROCPRIM_400000_NS6detail17trampoline_kernelINS0_13select_configILj256ELj13ELNS0_17block_load_methodE3ELS4_3ELS4_3ELNS0_20block_scan_algorithmE0ELj4294967295EEENS1_25partition_config_selectorILNS1_17partition_subalgoE3EjNS0_10empty_typeEbEEZZNS1_14partition_implILS8_3ELb0ES6_jNS0_17counting_iteratorIjlEEPS9_SE_NS0_5tupleIJPjSE_EEENSF_IJSE_SE_EEES9_SG_JZNS1_25segmented_radix_sort_implINS0_14default_configELb0EPKfPfPKlPlN2at6native12_GLOBAL__N_18offset_tEEE10hipError_tPvRmT1_PNSt15iterator_traitsISY_E10value_typeET2_T3_PNSZ_IS14_E10value_typeET4_jRbjT5_S1A_jjP12ihipStream_tbEUljE_EEESV_SW_SX_S14_S18_S1A_T6_T7_T9_mT8_S1C_bDpT10_ENKUlT_T0_E_clISt17integral_constantIbLb1EES1P_EEDaS1K_S1L_EUlS1K_E_NS1_11comp_targetILNS1_3genE4ELNS1_11target_archE910ELNS1_3gpuE8ELNS1_3repE0EEENS1_30default_config_static_selectorELNS0_4arch9wavefront6targetE1EEEvSY_: ; @_ZN7rocprim17ROCPRIM_400000_NS6detail17trampoline_kernelINS0_13select_configILj256ELj13ELNS0_17block_load_methodE3ELS4_3ELS4_3ELNS0_20block_scan_algorithmE0ELj4294967295EEENS1_25partition_config_selectorILNS1_17partition_subalgoE3EjNS0_10empty_typeEbEEZZNS1_14partition_implILS8_3ELb0ES6_jNS0_17counting_iteratorIjlEEPS9_SE_NS0_5tupleIJPjSE_EEENSF_IJSE_SE_EEES9_SG_JZNS1_25segmented_radix_sort_implINS0_14default_configELb0EPKfPfPKlPlN2at6native12_GLOBAL__N_18offset_tEEE10hipError_tPvRmT1_PNSt15iterator_traitsISY_E10value_typeET2_T3_PNSZ_IS14_E10value_typeET4_jRbjT5_S1A_jjP12ihipStream_tbEUljE_EEESV_SW_SX_S14_S18_S1A_T6_T7_T9_mT8_S1C_bDpT10_ENKUlT_T0_E_clISt17integral_constantIbLb1EES1P_EEDaS1K_S1L_EUlS1K_E_NS1_11comp_targetILNS1_3genE4ELNS1_11target_archE910ELNS1_3gpuE8ELNS1_3repE0EEENS1_30default_config_static_selectorELNS0_4arch9wavefront6targetE1EEEvSY_
; %bb.0:
	.section	.rodata,"a",@progbits
	.p2align	6, 0x0
	.amdhsa_kernel _ZN7rocprim17ROCPRIM_400000_NS6detail17trampoline_kernelINS0_13select_configILj256ELj13ELNS0_17block_load_methodE3ELS4_3ELS4_3ELNS0_20block_scan_algorithmE0ELj4294967295EEENS1_25partition_config_selectorILNS1_17partition_subalgoE3EjNS0_10empty_typeEbEEZZNS1_14partition_implILS8_3ELb0ES6_jNS0_17counting_iteratorIjlEEPS9_SE_NS0_5tupleIJPjSE_EEENSF_IJSE_SE_EEES9_SG_JZNS1_25segmented_radix_sort_implINS0_14default_configELb0EPKfPfPKlPlN2at6native12_GLOBAL__N_18offset_tEEE10hipError_tPvRmT1_PNSt15iterator_traitsISY_E10value_typeET2_T3_PNSZ_IS14_E10value_typeET4_jRbjT5_S1A_jjP12ihipStream_tbEUljE_EEESV_SW_SX_S14_S18_S1A_T6_T7_T9_mT8_S1C_bDpT10_ENKUlT_T0_E_clISt17integral_constantIbLb1EES1P_EEDaS1K_S1L_EUlS1K_E_NS1_11comp_targetILNS1_3genE4ELNS1_11target_archE910ELNS1_3gpuE8ELNS1_3repE0EEENS1_30default_config_static_selectorELNS0_4arch9wavefront6targetE1EEEvSY_
		.amdhsa_group_segment_fixed_size 0
		.amdhsa_private_segment_fixed_size 0
		.amdhsa_kernarg_size 152
		.amdhsa_user_sgpr_count 6
		.amdhsa_user_sgpr_private_segment_buffer 1
		.amdhsa_user_sgpr_dispatch_ptr 0
		.amdhsa_user_sgpr_queue_ptr 0
		.amdhsa_user_sgpr_kernarg_segment_ptr 1
		.amdhsa_user_sgpr_dispatch_id 0
		.amdhsa_user_sgpr_flat_scratch_init 0
		.amdhsa_user_sgpr_private_segment_size 0
		.amdhsa_uses_dynamic_stack 0
		.amdhsa_system_sgpr_private_segment_wavefront_offset 0
		.amdhsa_system_sgpr_workgroup_id_x 1
		.amdhsa_system_sgpr_workgroup_id_y 0
		.amdhsa_system_sgpr_workgroup_id_z 0
		.amdhsa_system_sgpr_workgroup_info 0
		.amdhsa_system_vgpr_workitem_id 0
		.amdhsa_next_free_vgpr 1
		.amdhsa_next_free_sgpr 0
		.amdhsa_reserve_vcc 0
		.amdhsa_reserve_flat_scratch 0
		.amdhsa_float_round_mode_32 0
		.amdhsa_float_round_mode_16_64 0
		.amdhsa_float_denorm_mode_32 3
		.amdhsa_float_denorm_mode_16_64 3
		.amdhsa_dx10_clamp 1
		.amdhsa_ieee_mode 1
		.amdhsa_fp16_overflow 0
		.amdhsa_exception_fp_ieee_invalid_op 0
		.amdhsa_exception_fp_denorm_src 0
		.amdhsa_exception_fp_ieee_div_zero 0
		.amdhsa_exception_fp_ieee_overflow 0
		.amdhsa_exception_fp_ieee_underflow 0
		.amdhsa_exception_fp_ieee_inexact 0
		.amdhsa_exception_int_div_zero 0
	.end_amdhsa_kernel
	.section	.text._ZN7rocprim17ROCPRIM_400000_NS6detail17trampoline_kernelINS0_13select_configILj256ELj13ELNS0_17block_load_methodE3ELS4_3ELS4_3ELNS0_20block_scan_algorithmE0ELj4294967295EEENS1_25partition_config_selectorILNS1_17partition_subalgoE3EjNS0_10empty_typeEbEEZZNS1_14partition_implILS8_3ELb0ES6_jNS0_17counting_iteratorIjlEEPS9_SE_NS0_5tupleIJPjSE_EEENSF_IJSE_SE_EEES9_SG_JZNS1_25segmented_radix_sort_implINS0_14default_configELb0EPKfPfPKlPlN2at6native12_GLOBAL__N_18offset_tEEE10hipError_tPvRmT1_PNSt15iterator_traitsISY_E10value_typeET2_T3_PNSZ_IS14_E10value_typeET4_jRbjT5_S1A_jjP12ihipStream_tbEUljE_EEESV_SW_SX_S14_S18_S1A_T6_T7_T9_mT8_S1C_bDpT10_ENKUlT_T0_E_clISt17integral_constantIbLb1EES1P_EEDaS1K_S1L_EUlS1K_E_NS1_11comp_targetILNS1_3genE4ELNS1_11target_archE910ELNS1_3gpuE8ELNS1_3repE0EEENS1_30default_config_static_selectorELNS0_4arch9wavefront6targetE1EEEvSY_,"axG",@progbits,_ZN7rocprim17ROCPRIM_400000_NS6detail17trampoline_kernelINS0_13select_configILj256ELj13ELNS0_17block_load_methodE3ELS4_3ELS4_3ELNS0_20block_scan_algorithmE0ELj4294967295EEENS1_25partition_config_selectorILNS1_17partition_subalgoE3EjNS0_10empty_typeEbEEZZNS1_14partition_implILS8_3ELb0ES6_jNS0_17counting_iteratorIjlEEPS9_SE_NS0_5tupleIJPjSE_EEENSF_IJSE_SE_EEES9_SG_JZNS1_25segmented_radix_sort_implINS0_14default_configELb0EPKfPfPKlPlN2at6native12_GLOBAL__N_18offset_tEEE10hipError_tPvRmT1_PNSt15iterator_traitsISY_E10value_typeET2_T3_PNSZ_IS14_E10value_typeET4_jRbjT5_S1A_jjP12ihipStream_tbEUljE_EEESV_SW_SX_S14_S18_S1A_T6_T7_T9_mT8_S1C_bDpT10_ENKUlT_T0_E_clISt17integral_constantIbLb1EES1P_EEDaS1K_S1L_EUlS1K_E_NS1_11comp_targetILNS1_3genE4ELNS1_11target_archE910ELNS1_3gpuE8ELNS1_3repE0EEENS1_30default_config_static_selectorELNS0_4arch9wavefront6targetE1EEEvSY_,comdat
.Lfunc_end1406:
	.size	_ZN7rocprim17ROCPRIM_400000_NS6detail17trampoline_kernelINS0_13select_configILj256ELj13ELNS0_17block_load_methodE3ELS4_3ELS4_3ELNS0_20block_scan_algorithmE0ELj4294967295EEENS1_25partition_config_selectorILNS1_17partition_subalgoE3EjNS0_10empty_typeEbEEZZNS1_14partition_implILS8_3ELb0ES6_jNS0_17counting_iteratorIjlEEPS9_SE_NS0_5tupleIJPjSE_EEENSF_IJSE_SE_EEES9_SG_JZNS1_25segmented_radix_sort_implINS0_14default_configELb0EPKfPfPKlPlN2at6native12_GLOBAL__N_18offset_tEEE10hipError_tPvRmT1_PNSt15iterator_traitsISY_E10value_typeET2_T3_PNSZ_IS14_E10value_typeET4_jRbjT5_S1A_jjP12ihipStream_tbEUljE_EEESV_SW_SX_S14_S18_S1A_T6_T7_T9_mT8_S1C_bDpT10_ENKUlT_T0_E_clISt17integral_constantIbLb1EES1P_EEDaS1K_S1L_EUlS1K_E_NS1_11comp_targetILNS1_3genE4ELNS1_11target_archE910ELNS1_3gpuE8ELNS1_3repE0EEENS1_30default_config_static_selectorELNS0_4arch9wavefront6targetE1EEEvSY_, .Lfunc_end1406-_ZN7rocprim17ROCPRIM_400000_NS6detail17trampoline_kernelINS0_13select_configILj256ELj13ELNS0_17block_load_methodE3ELS4_3ELS4_3ELNS0_20block_scan_algorithmE0ELj4294967295EEENS1_25partition_config_selectorILNS1_17partition_subalgoE3EjNS0_10empty_typeEbEEZZNS1_14partition_implILS8_3ELb0ES6_jNS0_17counting_iteratorIjlEEPS9_SE_NS0_5tupleIJPjSE_EEENSF_IJSE_SE_EEES9_SG_JZNS1_25segmented_radix_sort_implINS0_14default_configELb0EPKfPfPKlPlN2at6native12_GLOBAL__N_18offset_tEEE10hipError_tPvRmT1_PNSt15iterator_traitsISY_E10value_typeET2_T3_PNSZ_IS14_E10value_typeET4_jRbjT5_S1A_jjP12ihipStream_tbEUljE_EEESV_SW_SX_S14_S18_S1A_T6_T7_T9_mT8_S1C_bDpT10_ENKUlT_T0_E_clISt17integral_constantIbLb1EES1P_EEDaS1K_S1L_EUlS1K_E_NS1_11comp_targetILNS1_3genE4ELNS1_11target_archE910ELNS1_3gpuE8ELNS1_3repE0EEENS1_30default_config_static_selectorELNS0_4arch9wavefront6targetE1EEEvSY_
                                        ; -- End function
	.set _ZN7rocprim17ROCPRIM_400000_NS6detail17trampoline_kernelINS0_13select_configILj256ELj13ELNS0_17block_load_methodE3ELS4_3ELS4_3ELNS0_20block_scan_algorithmE0ELj4294967295EEENS1_25partition_config_selectorILNS1_17partition_subalgoE3EjNS0_10empty_typeEbEEZZNS1_14partition_implILS8_3ELb0ES6_jNS0_17counting_iteratorIjlEEPS9_SE_NS0_5tupleIJPjSE_EEENSF_IJSE_SE_EEES9_SG_JZNS1_25segmented_radix_sort_implINS0_14default_configELb0EPKfPfPKlPlN2at6native12_GLOBAL__N_18offset_tEEE10hipError_tPvRmT1_PNSt15iterator_traitsISY_E10value_typeET2_T3_PNSZ_IS14_E10value_typeET4_jRbjT5_S1A_jjP12ihipStream_tbEUljE_EEESV_SW_SX_S14_S18_S1A_T6_T7_T9_mT8_S1C_bDpT10_ENKUlT_T0_E_clISt17integral_constantIbLb1EES1P_EEDaS1K_S1L_EUlS1K_E_NS1_11comp_targetILNS1_3genE4ELNS1_11target_archE910ELNS1_3gpuE8ELNS1_3repE0EEENS1_30default_config_static_selectorELNS0_4arch9wavefront6targetE1EEEvSY_.num_vgpr, 0
	.set _ZN7rocprim17ROCPRIM_400000_NS6detail17trampoline_kernelINS0_13select_configILj256ELj13ELNS0_17block_load_methodE3ELS4_3ELS4_3ELNS0_20block_scan_algorithmE0ELj4294967295EEENS1_25partition_config_selectorILNS1_17partition_subalgoE3EjNS0_10empty_typeEbEEZZNS1_14partition_implILS8_3ELb0ES6_jNS0_17counting_iteratorIjlEEPS9_SE_NS0_5tupleIJPjSE_EEENSF_IJSE_SE_EEES9_SG_JZNS1_25segmented_radix_sort_implINS0_14default_configELb0EPKfPfPKlPlN2at6native12_GLOBAL__N_18offset_tEEE10hipError_tPvRmT1_PNSt15iterator_traitsISY_E10value_typeET2_T3_PNSZ_IS14_E10value_typeET4_jRbjT5_S1A_jjP12ihipStream_tbEUljE_EEESV_SW_SX_S14_S18_S1A_T6_T7_T9_mT8_S1C_bDpT10_ENKUlT_T0_E_clISt17integral_constantIbLb1EES1P_EEDaS1K_S1L_EUlS1K_E_NS1_11comp_targetILNS1_3genE4ELNS1_11target_archE910ELNS1_3gpuE8ELNS1_3repE0EEENS1_30default_config_static_selectorELNS0_4arch9wavefront6targetE1EEEvSY_.num_agpr, 0
	.set _ZN7rocprim17ROCPRIM_400000_NS6detail17trampoline_kernelINS0_13select_configILj256ELj13ELNS0_17block_load_methodE3ELS4_3ELS4_3ELNS0_20block_scan_algorithmE0ELj4294967295EEENS1_25partition_config_selectorILNS1_17partition_subalgoE3EjNS0_10empty_typeEbEEZZNS1_14partition_implILS8_3ELb0ES6_jNS0_17counting_iteratorIjlEEPS9_SE_NS0_5tupleIJPjSE_EEENSF_IJSE_SE_EEES9_SG_JZNS1_25segmented_radix_sort_implINS0_14default_configELb0EPKfPfPKlPlN2at6native12_GLOBAL__N_18offset_tEEE10hipError_tPvRmT1_PNSt15iterator_traitsISY_E10value_typeET2_T3_PNSZ_IS14_E10value_typeET4_jRbjT5_S1A_jjP12ihipStream_tbEUljE_EEESV_SW_SX_S14_S18_S1A_T6_T7_T9_mT8_S1C_bDpT10_ENKUlT_T0_E_clISt17integral_constantIbLb1EES1P_EEDaS1K_S1L_EUlS1K_E_NS1_11comp_targetILNS1_3genE4ELNS1_11target_archE910ELNS1_3gpuE8ELNS1_3repE0EEENS1_30default_config_static_selectorELNS0_4arch9wavefront6targetE1EEEvSY_.numbered_sgpr, 0
	.set _ZN7rocprim17ROCPRIM_400000_NS6detail17trampoline_kernelINS0_13select_configILj256ELj13ELNS0_17block_load_methodE3ELS4_3ELS4_3ELNS0_20block_scan_algorithmE0ELj4294967295EEENS1_25partition_config_selectorILNS1_17partition_subalgoE3EjNS0_10empty_typeEbEEZZNS1_14partition_implILS8_3ELb0ES6_jNS0_17counting_iteratorIjlEEPS9_SE_NS0_5tupleIJPjSE_EEENSF_IJSE_SE_EEES9_SG_JZNS1_25segmented_radix_sort_implINS0_14default_configELb0EPKfPfPKlPlN2at6native12_GLOBAL__N_18offset_tEEE10hipError_tPvRmT1_PNSt15iterator_traitsISY_E10value_typeET2_T3_PNSZ_IS14_E10value_typeET4_jRbjT5_S1A_jjP12ihipStream_tbEUljE_EEESV_SW_SX_S14_S18_S1A_T6_T7_T9_mT8_S1C_bDpT10_ENKUlT_T0_E_clISt17integral_constantIbLb1EES1P_EEDaS1K_S1L_EUlS1K_E_NS1_11comp_targetILNS1_3genE4ELNS1_11target_archE910ELNS1_3gpuE8ELNS1_3repE0EEENS1_30default_config_static_selectorELNS0_4arch9wavefront6targetE1EEEvSY_.num_named_barrier, 0
	.set _ZN7rocprim17ROCPRIM_400000_NS6detail17trampoline_kernelINS0_13select_configILj256ELj13ELNS0_17block_load_methodE3ELS4_3ELS4_3ELNS0_20block_scan_algorithmE0ELj4294967295EEENS1_25partition_config_selectorILNS1_17partition_subalgoE3EjNS0_10empty_typeEbEEZZNS1_14partition_implILS8_3ELb0ES6_jNS0_17counting_iteratorIjlEEPS9_SE_NS0_5tupleIJPjSE_EEENSF_IJSE_SE_EEES9_SG_JZNS1_25segmented_radix_sort_implINS0_14default_configELb0EPKfPfPKlPlN2at6native12_GLOBAL__N_18offset_tEEE10hipError_tPvRmT1_PNSt15iterator_traitsISY_E10value_typeET2_T3_PNSZ_IS14_E10value_typeET4_jRbjT5_S1A_jjP12ihipStream_tbEUljE_EEESV_SW_SX_S14_S18_S1A_T6_T7_T9_mT8_S1C_bDpT10_ENKUlT_T0_E_clISt17integral_constantIbLb1EES1P_EEDaS1K_S1L_EUlS1K_E_NS1_11comp_targetILNS1_3genE4ELNS1_11target_archE910ELNS1_3gpuE8ELNS1_3repE0EEENS1_30default_config_static_selectorELNS0_4arch9wavefront6targetE1EEEvSY_.private_seg_size, 0
	.set _ZN7rocprim17ROCPRIM_400000_NS6detail17trampoline_kernelINS0_13select_configILj256ELj13ELNS0_17block_load_methodE3ELS4_3ELS4_3ELNS0_20block_scan_algorithmE0ELj4294967295EEENS1_25partition_config_selectorILNS1_17partition_subalgoE3EjNS0_10empty_typeEbEEZZNS1_14partition_implILS8_3ELb0ES6_jNS0_17counting_iteratorIjlEEPS9_SE_NS0_5tupleIJPjSE_EEENSF_IJSE_SE_EEES9_SG_JZNS1_25segmented_radix_sort_implINS0_14default_configELb0EPKfPfPKlPlN2at6native12_GLOBAL__N_18offset_tEEE10hipError_tPvRmT1_PNSt15iterator_traitsISY_E10value_typeET2_T3_PNSZ_IS14_E10value_typeET4_jRbjT5_S1A_jjP12ihipStream_tbEUljE_EEESV_SW_SX_S14_S18_S1A_T6_T7_T9_mT8_S1C_bDpT10_ENKUlT_T0_E_clISt17integral_constantIbLb1EES1P_EEDaS1K_S1L_EUlS1K_E_NS1_11comp_targetILNS1_3genE4ELNS1_11target_archE910ELNS1_3gpuE8ELNS1_3repE0EEENS1_30default_config_static_selectorELNS0_4arch9wavefront6targetE1EEEvSY_.uses_vcc, 0
	.set _ZN7rocprim17ROCPRIM_400000_NS6detail17trampoline_kernelINS0_13select_configILj256ELj13ELNS0_17block_load_methodE3ELS4_3ELS4_3ELNS0_20block_scan_algorithmE0ELj4294967295EEENS1_25partition_config_selectorILNS1_17partition_subalgoE3EjNS0_10empty_typeEbEEZZNS1_14partition_implILS8_3ELb0ES6_jNS0_17counting_iteratorIjlEEPS9_SE_NS0_5tupleIJPjSE_EEENSF_IJSE_SE_EEES9_SG_JZNS1_25segmented_radix_sort_implINS0_14default_configELb0EPKfPfPKlPlN2at6native12_GLOBAL__N_18offset_tEEE10hipError_tPvRmT1_PNSt15iterator_traitsISY_E10value_typeET2_T3_PNSZ_IS14_E10value_typeET4_jRbjT5_S1A_jjP12ihipStream_tbEUljE_EEESV_SW_SX_S14_S18_S1A_T6_T7_T9_mT8_S1C_bDpT10_ENKUlT_T0_E_clISt17integral_constantIbLb1EES1P_EEDaS1K_S1L_EUlS1K_E_NS1_11comp_targetILNS1_3genE4ELNS1_11target_archE910ELNS1_3gpuE8ELNS1_3repE0EEENS1_30default_config_static_selectorELNS0_4arch9wavefront6targetE1EEEvSY_.uses_flat_scratch, 0
	.set _ZN7rocprim17ROCPRIM_400000_NS6detail17trampoline_kernelINS0_13select_configILj256ELj13ELNS0_17block_load_methodE3ELS4_3ELS4_3ELNS0_20block_scan_algorithmE0ELj4294967295EEENS1_25partition_config_selectorILNS1_17partition_subalgoE3EjNS0_10empty_typeEbEEZZNS1_14partition_implILS8_3ELb0ES6_jNS0_17counting_iteratorIjlEEPS9_SE_NS0_5tupleIJPjSE_EEENSF_IJSE_SE_EEES9_SG_JZNS1_25segmented_radix_sort_implINS0_14default_configELb0EPKfPfPKlPlN2at6native12_GLOBAL__N_18offset_tEEE10hipError_tPvRmT1_PNSt15iterator_traitsISY_E10value_typeET2_T3_PNSZ_IS14_E10value_typeET4_jRbjT5_S1A_jjP12ihipStream_tbEUljE_EEESV_SW_SX_S14_S18_S1A_T6_T7_T9_mT8_S1C_bDpT10_ENKUlT_T0_E_clISt17integral_constantIbLb1EES1P_EEDaS1K_S1L_EUlS1K_E_NS1_11comp_targetILNS1_3genE4ELNS1_11target_archE910ELNS1_3gpuE8ELNS1_3repE0EEENS1_30default_config_static_selectorELNS0_4arch9wavefront6targetE1EEEvSY_.has_dyn_sized_stack, 0
	.set _ZN7rocprim17ROCPRIM_400000_NS6detail17trampoline_kernelINS0_13select_configILj256ELj13ELNS0_17block_load_methodE3ELS4_3ELS4_3ELNS0_20block_scan_algorithmE0ELj4294967295EEENS1_25partition_config_selectorILNS1_17partition_subalgoE3EjNS0_10empty_typeEbEEZZNS1_14partition_implILS8_3ELb0ES6_jNS0_17counting_iteratorIjlEEPS9_SE_NS0_5tupleIJPjSE_EEENSF_IJSE_SE_EEES9_SG_JZNS1_25segmented_radix_sort_implINS0_14default_configELb0EPKfPfPKlPlN2at6native12_GLOBAL__N_18offset_tEEE10hipError_tPvRmT1_PNSt15iterator_traitsISY_E10value_typeET2_T3_PNSZ_IS14_E10value_typeET4_jRbjT5_S1A_jjP12ihipStream_tbEUljE_EEESV_SW_SX_S14_S18_S1A_T6_T7_T9_mT8_S1C_bDpT10_ENKUlT_T0_E_clISt17integral_constantIbLb1EES1P_EEDaS1K_S1L_EUlS1K_E_NS1_11comp_targetILNS1_3genE4ELNS1_11target_archE910ELNS1_3gpuE8ELNS1_3repE0EEENS1_30default_config_static_selectorELNS0_4arch9wavefront6targetE1EEEvSY_.has_recursion, 0
	.set _ZN7rocprim17ROCPRIM_400000_NS6detail17trampoline_kernelINS0_13select_configILj256ELj13ELNS0_17block_load_methodE3ELS4_3ELS4_3ELNS0_20block_scan_algorithmE0ELj4294967295EEENS1_25partition_config_selectorILNS1_17partition_subalgoE3EjNS0_10empty_typeEbEEZZNS1_14partition_implILS8_3ELb0ES6_jNS0_17counting_iteratorIjlEEPS9_SE_NS0_5tupleIJPjSE_EEENSF_IJSE_SE_EEES9_SG_JZNS1_25segmented_radix_sort_implINS0_14default_configELb0EPKfPfPKlPlN2at6native12_GLOBAL__N_18offset_tEEE10hipError_tPvRmT1_PNSt15iterator_traitsISY_E10value_typeET2_T3_PNSZ_IS14_E10value_typeET4_jRbjT5_S1A_jjP12ihipStream_tbEUljE_EEESV_SW_SX_S14_S18_S1A_T6_T7_T9_mT8_S1C_bDpT10_ENKUlT_T0_E_clISt17integral_constantIbLb1EES1P_EEDaS1K_S1L_EUlS1K_E_NS1_11comp_targetILNS1_3genE4ELNS1_11target_archE910ELNS1_3gpuE8ELNS1_3repE0EEENS1_30default_config_static_selectorELNS0_4arch9wavefront6targetE1EEEvSY_.has_indirect_call, 0
	.section	.AMDGPU.csdata,"",@progbits
; Kernel info:
; codeLenInByte = 0
; TotalNumSgprs: 4
; NumVgprs: 0
; ScratchSize: 0
; MemoryBound: 0
; FloatMode: 240
; IeeeMode: 1
; LDSByteSize: 0 bytes/workgroup (compile time only)
; SGPRBlocks: 0
; VGPRBlocks: 0
; NumSGPRsForWavesPerEU: 4
; NumVGPRsForWavesPerEU: 1
; Occupancy: 10
; WaveLimiterHint : 0
; COMPUTE_PGM_RSRC2:SCRATCH_EN: 0
; COMPUTE_PGM_RSRC2:USER_SGPR: 6
; COMPUTE_PGM_RSRC2:TRAP_HANDLER: 0
; COMPUTE_PGM_RSRC2:TGID_X_EN: 1
; COMPUTE_PGM_RSRC2:TGID_Y_EN: 0
; COMPUTE_PGM_RSRC2:TGID_Z_EN: 0
; COMPUTE_PGM_RSRC2:TIDIG_COMP_CNT: 0
	.section	.text._ZN7rocprim17ROCPRIM_400000_NS6detail17trampoline_kernelINS0_13select_configILj256ELj13ELNS0_17block_load_methodE3ELS4_3ELS4_3ELNS0_20block_scan_algorithmE0ELj4294967295EEENS1_25partition_config_selectorILNS1_17partition_subalgoE3EjNS0_10empty_typeEbEEZZNS1_14partition_implILS8_3ELb0ES6_jNS0_17counting_iteratorIjlEEPS9_SE_NS0_5tupleIJPjSE_EEENSF_IJSE_SE_EEES9_SG_JZNS1_25segmented_radix_sort_implINS0_14default_configELb0EPKfPfPKlPlN2at6native12_GLOBAL__N_18offset_tEEE10hipError_tPvRmT1_PNSt15iterator_traitsISY_E10value_typeET2_T3_PNSZ_IS14_E10value_typeET4_jRbjT5_S1A_jjP12ihipStream_tbEUljE_EEESV_SW_SX_S14_S18_S1A_T6_T7_T9_mT8_S1C_bDpT10_ENKUlT_T0_E_clISt17integral_constantIbLb1EES1P_EEDaS1K_S1L_EUlS1K_E_NS1_11comp_targetILNS1_3genE3ELNS1_11target_archE908ELNS1_3gpuE7ELNS1_3repE0EEENS1_30default_config_static_selectorELNS0_4arch9wavefront6targetE1EEEvSY_,"axG",@progbits,_ZN7rocprim17ROCPRIM_400000_NS6detail17trampoline_kernelINS0_13select_configILj256ELj13ELNS0_17block_load_methodE3ELS4_3ELS4_3ELNS0_20block_scan_algorithmE0ELj4294967295EEENS1_25partition_config_selectorILNS1_17partition_subalgoE3EjNS0_10empty_typeEbEEZZNS1_14partition_implILS8_3ELb0ES6_jNS0_17counting_iteratorIjlEEPS9_SE_NS0_5tupleIJPjSE_EEENSF_IJSE_SE_EEES9_SG_JZNS1_25segmented_radix_sort_implINS0_14default_configELb0EPKfPfPKlPlN2at6native12_GLOBAL__N_18offset_tEEE10hipError_tPvRmT1_PNSt15iterator_traitsISY_E10value_typeET2_T3_PNSZ_IS14_E10value_typeET4_jRbjT5_S1A_jjP12ihipStream_tbEUljE_EEESV_SW_SX_S14_S18_S1A_T6_T7_T9_mT8_S1C_bDpT10_ENKUlT_T0_E_clISt17integral_constantIbLb1EES1P_EEDaS1K_S1L_EUlS1K_E_NS1_11comp_targetILNS1_3genE3ELNS1_11target_archE908ELNS1_3gpuE7ELNS1_3repE0EEENS1_30default_config_static_selectorELNS0_4arch9wavefront6targetE1EEEvSY_,comdat
	.globl	_ZN7rocprim17ROCPRIM_400000_NS6detail17trampoline_kernelINS0_13select_configILj256ELj13ELNS0_17block_load_methodE3ELS4_3ELS4_3ELNS0_20block_scan_algorithmE0ELj4294967295EEENS1_25partition_config_selectorILNS1_17partition_subalgoE3EjNS0_10empty_typeEbEEZZNS1_14partition_implILS8_3ELb0ES6_jNS0_17counting_iteratorIjlEEPS9_SE_NS0_5tupleIJPjSE_EEENSF_IJSE_SE_EEES9_SG_JZNS1_25segmented_radix_sort_implINS0_14default_configELb0EPKfPfPKlPlN2at6native12_GLOBAL__N_18offset_tEEE10hipError_tPvRmT1_PNSt15iterator_traitsISY_E10value_typeET2_T3_PNSZ_IS14_E10value_typeET4_jRbjT5_S1A_jjP12ihipStream_tbEUljE_EEESV_SW_SX_S14_S18_S1A_T6_T7_T9_mT8_S1C_bDpT10_ENKUlT_T0_E_clISt17integral_constantIbLb1EES1P_EEDaS1K_S1L_EUlS1K_E_NS1_11comp_targetILNS1_3genE3ELNS1_11target_archE908ELNS1_3gpuE7ELNS1_3repE0EEENS1_30default_config_static_selectorELNS0_4arch9wavefront6targetE1EEEvSY_ ; -- Begin function _ZN7rocprim17ROCPRIM_400000_NS6detail17trampoline_kernelINS0_13select_configILj256ELj13ELNS0_17block_load_methodE3ELS4_3ELS4_3ELNS0_20block_scan_algorithmE0ELj4294967295EEENS1_25partition_config_selectorILNS1_17partition_subalgoE3EjNS0_10empty_typeEbEEZZNS1_14partition_implILS8_3ELb0ES6_jNS0_17counting_iteratorIjlEEPS9_SE_NS0_5tupleIJPjSE_EEENSF_IJSE_SE_EEES9_SG_JZNS1_25segmented_radix_sort_implINS0_14default_configELb0EPKfPfPKlPlN2at6native12_GLOBAL__N_18offset_tEEE10hipError_tPvRmT1_PNSt15iterator_traitsISY_E10value_typeET2_T3_PNSZ_IS14_E10value_typeET4_jRbjT5_S1A_jjP12ihipStream_tbEUljE_EEESV_SW_SX_S14_S18_S1A_T6_T7_T9_mT8_S1C_bDpT10_ENKUlT_T0_E_clISt17integral_constantIbLb1EES1P_EEDaS1K_S1L_EUlS1K_E_NS1_11comp_targetILNS1_3genE3ELNS1_11target_archE908ELNS1_3gpuE7ELNS1_3repE0EEENS1_30default_config_static_selectorELNS0_4arch9wavefront6targetE1EEEvSY_
	.p2align	8
	.type	_ZN7rocprim17ROCPRIM_400000_NS6detail17trampoline_kernelINS0_13select_configILj256ELj13ELNS0_17block_load_methodE3ELS4_3ELS4_3ELNS0_20block_scan_algorithmE0ELj4294967295EEENS1_25partition_config_selectorILNS1_17partition_subalgoE3EjNS0_10empty_typeEbEEZZNS1_14partition_implILS8_3ELb0ES6_jNS0_17counting_iteratorIjlEEPS9_SE_NS0_5tupleIJPjSE_EEENSF_IJSE_SE_EEES9_SG_JZNS1_25segmented_radix_sort_implINS0_14default_configELb0EPKfPfPKlPlN2at6native12_GLOBAL__N_18offset_tEEE10hipError_tPvRmT1_PNSt15iterator_traitsISY_E10value_typeET2_T3_PNSZ_IS14_E10value_typeET4_jRbjT5_S1A_jjP12ihipStream_tbEUljE_EEESV_SW_SX_S14_S18_S1A_T6_T7_T9_mT8_S1C_bDpT10_ENKUlT_T0_E_clISt17integral_constantIbLb1EES1P_EEDaS1K_S1L_EUlS1K_E_NS1_11comp_targetILNS1_3genE3ELNS1_11target_archE908ELNS1_3gpuE7ELNS1_3repE0EEENS1_30default_config_static_selectorELNS0_4arch9wavefront6targetE1EEEvSY_,@function
_ZN7rocprim17ROCPRIM_400000_NS6detail17trampoline_kernelINS0_13select_configILj256ELj13ELNS0_17block_load_methodE3ELS4_3ELS4_3ELNS0_20block_scan_algorithmE0ELj4294967295EEENS1_25partition_config_selectorILNS1_17partition_subalgoE3EjNS0_10empty_typeEbEEZZNS1_14partition_implILS8_3ELb0ES6_jNS0_17counting_iteratorIjlEEPS9_SE_NS0_5tupleIJPjSE_EEENSF_IJSE_SE_EEES9_SG_JZNS1_25segmented_radix_sort_implINS0_14default_configELb0EPKfPfPKlPlN2at6native12_GLOBAL__N_18offset_tEEE10hipError_tPvRmT1_PNSt15iterator_traitsISY_E10value_typeET2_T3_PNSZ_IS14_E10value_typeET4_jRbjT5_S1A_jjP12ihipStream_tbEUljE_EEESV_SW_SX_S14_S18_S1A_T6_T7_T9_mT8_S1C_bDpT10_ENKUlT_T0_E_clISt17integral_constantIbLb1EES1P_EEDaS1K_S1L_EUlS1K_E_NS1_11comp_targetILNS1_3genE3ELNS1_11target_archE908ELNS1_3gpuE7ELNS1_3repE0EEENS1_30default_config_static_selectorELNS0_4arch9wavefront6targetE1EEEvSY_: ; @_ZN7rocprim17ROCPRIM_400000_NS6detail17trampoline_kernelINS0_13select_configILj256ELj13ELNS0_17block_load_methodE3ELS4_3ELS4_3ELNS0_20block_scan_algorithmE0ELj4294967295EEENS1_25partition_config_selectorILNS1_17partition_subalgoE3EjNS0_10empty_typeEbEEZZNS1_14partition_implILS8_3ELb0ES6_jNS0_17counting_iteratorIjlEEPS9_SE_NS0_5tupleIJPjSE_EEENSF_IJSE_SE_EEES9_SG_JZNS1_25segmented_radix_sort_implINS0_14default_configELb0EPKfPfPKlPlN2at6native12_GLOBAL__N_18offset_tEEE10hipError_tPvRmT1_PNSt15iterator_traitsISY_E10value_typeET2_T3_PNSZ_IS14_E10value_typeET4_jRbjT5_S1A_jjP12ihipStream_tbEUljE_EEESV_SW_SX_S14_S18_S1A_T6_T7_T9_mT8_S1C_bDpT10_ENKUlT_T0_E_clISt17integral_constantIbLb1EES1P_EEDaS1K_S1L_EUlS1K_E_NS1_11comp_targetILNS1_3genE3ELNS1_11target_archE908ELNS1_3gpuE7ELNS1_3repE0EEENS1_30default_config_static_selectorELNS0_4arch9wavefront6targetE1EEEvSY_
; %bb.0:
	.section	.rodata,"a",@progbits
	.p2align	6, 0x0
	.amdhsa_kernel _ZN7rocprim17ROCPRIM_400000_NS6detail17trampoline_kernelINS0_13select_configILj256ELj13ELNS0_17block_load_methodE3ELS4_3ELS4_3ELNS0_20block_scan_algorithmE0ELj4294967295EEENS1_25partition_config_selectorILNS1_17partition_subalgoE3EjNS0_10empty_typeEbEEZZNS1_14partition_implILS8_3ELb0ES6_jNS0_17counting_iteratorIjlEEPS9_SE_NS0_5tupleIJPjSE_EEENSF_IJSE_SE_EEES9_SG_JZNS1_25segmented_radix_sort_implINS0_14default_configELb0EPKfPfPKlPlN2at6native12_GLOBAL__N_18offset_tEEE10hipError_tPvRmT1_PNSt15iterator_traitsISY_E10value_typeET2_T3_PNSZ_IS14_E10value_typeET4_jRbjT5_S1A_jjP12ihipStream_tbEUljE_EEESV_SW_SX_S14_S18_S1A_T6_T7_T9_mT8_S1C_bDpT10_ENKUlT_T0_E_clISt17integral_constantIbLb1EES1P_EEDaS1K_S1L_EUlS1K_E_NS1_11comp_targetILNS1_3genE3ELNS1_11target_archE908ELNS1_3gpuE7ELNS1_3repE0EEENS1_30default_config_static_selectorELNS0_4arch9wavefront6targetE1EEEvSY_
		.amdhsa_group_segment_fixed_size 0
		.amdhsa_private_segment_fixed_size 0
		.amdhsa_kernarg_size 152
		.amdhsa_user_sgpr_count 6
		.amdhsa_user_sgpr_private_segment_buffer 1
		.amdhsa_user_sgpr_dispatch_ptr 0
		.amdhsa_user_sgpr_queue_ptr 0
		.amdhsa_user_sgpr_kernarg_segment_ptr 1
		.amdhsa_user_sgpr_dispatch_id 0
		.amdhsa_user_sgpr_flat_scratch_init 0
		.amdhsa_user_sgpr_private_segment_size 0
		.amdhsa_uses_dynamic_stack 0
		.amdhsa_system_sgpr_private_segment_wavefront_offset 0
		.amdhsa_system_sgpr_workgroup_id_x 1
		.amdhsa_system_sgpr_workgroup_id_y 0
		.amdhsa_system_sgpr_workgroup_id_z 0
		.amdhsa_system_sgpr_workgroup_info 0
		.amdhsa_system_vgpr_workitem_id 0
		.amdhsa_next_free_vgpr 1
		.amdhsa_next_free_sgpr 0
		.amdhsa_reserve_vcc 0
		.amdhsa_reserve_flat_scratch 0
		.amdhsa_float_round_mode_32 0
		.amdhsa_float_round_mode_16_64 0
		.amdhsa_float_denorm_mode_32 3
		.amdhsa_float_denorm_mode_16_64 3
		.amdhsa_dx10_clamp 1
		.amdhsa_ieee_mode 1
		.amdhsa_fp16_overflow 0
		.amdhsa_exception_fp_ieee_invalid_op 0
		.amdhsa_exception_fp_denorm_src 0
		.amdhsa_exception_fp_ieee_div_zero 0
		.amdhsa_exception_fp_ieee_overflow 0
		.amdhsa_exception_fp_ieee_underflow 0
		.amdhsa_exception_fp_ieee_inexact 0
		.amdhsa_exception_int_div_zero 0
	.end_amdhsa_kernel
	.section	.text._ZN7rocprim17ROCPRIM_400000_NS6detail17trampoline_kernelINS0_13select_configILj256ELj13ELNS0_17block_load_methodE3ELS4_3ELS4_3ELNS0_20block_scan_algorithmE0ELj4294967295EEENS1_25partition_config_selectorILNS1_17partition_subalgoE3EjNS0_10empty_typeEbEEZZNS1_14partition_implILS8_3ELb0ES6_jNS0_17counting_iteratorIjlEEPS9_SE_NS0_5tupleIJPjSE_EEENSF_IJSE_SE_EEES9_SG_JZNS1_25segmented_radix_sort_implINS0_14default_configELb0EPKfPfPKlPlN2at6native12_GLOBAL__N_18offset_tEEE10hipError_tPvRmT1_PNSt15iterator_traitsISY_E10value_typeET2_T3_PNSZ_IS14_E10value_typeET4_jRbjT5_S1A_jjP12ihipStream_tbEUljE_EEESV_SW_SX_S14_S18_S1A_T6_T7_T9_mT8_S1C_bDpT10_ENKUlT_T0_E_clISt17integral_constantIbLb1EES1P_EEDaS1K_S1L_EUlS1K_E_NS1_11comp_targetILNS1_3genE3ELNS1_11target_archE908ELNS1_3gpuE7ELNS1_3repE0EEENS1_30default_config_static_selectorELNS0_4arch9wavefront6targetE1EEEvSY_,"axG",@progbits,_ZN7rocprim17ROCPRIM_400000_NS6detail17trampoline_kernelINS0_13select_configILj256ELj13ELNS0_17block_load_methodE3ELS4_3ELS4_3ELNS0_20block_scan_algorithmE0ELj4294967295EEENS1_25partition_config_selectorILNS1_17partition_subalgoE3EjNS0_10empty_typeEbEEZZNS1_14partition_implILS8_3ELb0ES6_jNS0_17counting_iteratorIjlEEPS9_SE_NS0_5tupleIJPjSE_EEENSF_IJSE_SE_EEES9_SG_JZNS1_25segmented_radix_sort_implINS0_14default_configELb0EPKfPfPKlPlN2at6native12_GLOBAL__N_18offset_tEEE10hipError_tPvRmT1_PNSt15iterator_traitsISY_E10value_typeET2_T3_PNSZ_IS14_E10value_typeET4_jRbjT5_S1A_jjP12ihipStream_tbEUljE_EEESV_SW_SX_S14_S18_S1A_T6_T7_T9_mT8_S1C_bDpT10_ENKUlT_T0_E_clISt17integral_constantIbLb1EES1P_EEDaS1K_S1L_EUlS1K_E_NS1_11comp_targetILNS1_3genE3ELNS1_11target_archE908ELNS1_3gpuE7ELNS1_3repE0EEENS1_30default_config_static_selectorELNS0_4arch9wavefront6targetE1EEEvSY_,comdat
.Lfunc_end1407:
	.size	_ZN7rocprim17ROCPRIM_400000_NS6detail17trampoline_kernelINS0_13select_configILj256ELj13ELNS0_17block_load_methodE3ELS4_3ELS4_3ELNS0_20block_scan_algorithmE0ELj4294967295EEENS1_25partition_config_selectorILNS1_17partition_subalgoE3EjNS0_10empty_typeEbEEZZNS1_14partition_implILS8_3ELb0ES6_jNS0_17counting_iteratorIjlEEPS9_SE_NS0_5tupleIJPjSE_EEENSF_IJSE_SE_EEES9_SG_JZNS1_25segmented_radix_sort_implINS0_14default_configELb0EPKfPfPKlPlN2at6native12_GLOBAL__N_18offset_tEEE10hipError_tPvRmT1_PNSt15iterator_traitsISY_E10value_typeET2_T3_PNSZ_IS14_E10value_typeET4_jRbjT5_S1A_jjP12ihipStream_tbEUljE_EEESV_SW_SX_S14_S18_S1A_T6_T7_T9_mT8_S1C_bDpT10_ENKUlT_T0_E_clISt17integral_constantIbLb1EES1P_EEDaS1K_S1L_EUlS1K_E_NS1_11comp_targetILNS1_3genE3ELNS1_11target_archE908ELNS1_3gpuE7ELNS1_3repE0EEENS1_30default_config_static_selectorELNS0_4arch9wavefront6targetE1EEEvSY_, .Lfunc_end1407-_ZN7rocprim17ROCPRIM_400000_NS6detail17trampoline_kernelINS0_13select_configILj256ELj13ELNS0_17block_load_methodE3ELS4_3ELS4_3ELNS0_20block_scan_algorithmE0ELj4294967295EEENS1_25partition_config_selectorILNS1_17partition_subalgoE3EjNS0_10empty_typeEbEEZZNS1_14partition_implILS8_3ELb0ES6_jNS0_17counting_iteratorIjlEEPS9_SE_NS0_5tupleIJPjSE_EEENSF_IJSE_SE_EEES9_SG_JZNS1_25segmented_radix_sort_implINS0_14default_configELb0EPKfPfPKlPlN2at6native12_GLOBAL__N_18offset_tEEE10hipError_tPvRmT1_PNSt15iterator_traitsISY_E10value_typeET2_T3_PNSZ_IS14_E10value_typeET4_jRbjT5_S1A_jjP12ihipStream_tbEUljE_EEESV_SW_SX_S14_S18_S1A_T6_T7_T9_mT8_S1C_bDpT10_ENKUlT_T0_E_clISt17integral_constantIbLb1EES1P_EEDaS1K_S1L_EUlS1K_E_NS1_11comp_targetILNS1_3genE3ELNS1_11target_archE908ELNS1_3gpuE7ELNS1_3repE0EEENS1_30default_config_static_selectorELNS0_4arch9wavefront6targetE1EEEvSY_
                                        ; -- End function
	.set _ZN7rocprim17ROCPRIM_400000_NS6detail17trampoline_kernelINS0_13select_configILj256ELj13ELNS0_17block_load_methodE3ELS4_3ELS4_3ELNS0_20block_scan_algorithmE0ELj4294967295EEENS1_25partition_config_selectorILNS1_17partition_subalgoE3EjNS0_10empty_typeEbEEZZNS1_14partition_implILS8_3ELb0ES6_jNS0_17counting_iteratorIjlEEPS9_SE_NS0_5tupleIJPjSE_EEENSF_IJSE_SE_EEES9_SG_JZNS1_25segmented_radix_sort_implINS0_14default_configELb0EPKfPfPKlPlN2at6native12_GLOBAL__N_18offset_tEEE10hipError_tPvRmT1_PNSt15iterator_traitsISY_E10value_typeET2_T3_PNSZ_IS14_E10value_typeET4_jRbjT5_S1A_jjP12ihipStream_tbEUljE_EEESV_SW_SX_S14_S18_S1A_T6_T7_T9_mT8_S1C_bDpT10_ENKUlT_T0_E_clISt17integral_constantIbLb1EES1P_EEDaS1K_S1L_EUlS1K_E_NS1_11comp_targetILNS1_3genE3ELNS1_11target_archE908ELNS1_3gpuE7ELNS1_3repE0EEENS1_30default_config_static_selectorELNS0_4arch9wavefront6targetE1EEEvSY_.num_vgpr, 0
	.set _ZN7rocprim17ROCPRIM_400000_NS6detail17trampoline_kernelINS0_13select_configILj256ELj13ELNS0_17block_load_methodE3ELS4_3ELS4_3ELNS0_20block_scan_algorithmE0ELj4294967295EEENS1_25partition_config_selectorILNS1_17partition_subalgoE3EjNS0_10empty_typeEbEEZZNS1_14partition_implILS8_3ELb0ES6_jNS0_17counting_iteratorIjlEEPS9_SE_NS0_5tupleIJPjSE_EEENSF_IJSE_SE_EEES9_SG_JZNS1_25segmented_radix_sort_implINS0_14default_configELb0EPKfPfPKlPlN2at6native12_GLOBAL__N_18offset_tEEE10hipError_tPvRmT1_PNSt15iterator_traitsISY_E10value_typeET2_T3_PNSZ_IS14_E10value_typeET4_jRbjT5_S1A_jjP12ihipStream_tbEUljE_EEESV_SW_SX_S14_S18_S1A_T6_T7_T9_mT8_S1C_bDpT10_ENKUlT_T0_E_clISt17integral_constantIbLb1EES1P_EEDaS1K_S1L_EUlS1K_E_NS1_11comp_targetILNS1_3genE3ELNS1_11target_archE908ELNS1_3gpuE7ELNS1_3repE0EEENS1_30default_config_static_selectorELNS0_4arch9wavefront6targetE1EEEvSY_.num_agpr, 0
	.set _ZN7rocprim17ROCPRIM_400000_NS6detail17trampoline_kernelINS0_13select_configILj256ELj13ELNS0_17block_load_methodE3ELS4_3ELS4_3ELNS0_20block_scan_algorithmE0ELj4294967295EEENS1_25partition_config_selectorILNS1_17partition_subalgoE3EjNS0_10empty_typeEbEEZZNS1_14partition_implILS8_3ELb0ES6_jNS0_17counting_iteratorIjlEEPS9_SE_NS0_5tupleIJPjSE_EEENSF_IJSE_SE_EEES9_SG_JZNS1_25segmented_radix_sort_implINS0_14default_configELb0EPKfPfPKlPlN2at6native12_GLOBAL__N_18offset_tEEE10hipError_tPvRmT1_PNSt15iterator_traitsISY_E10value_typeET2_T3_PNSZ_IS14_E10value_typeET4_jRbjT5_S1A_jjP12ihipStream_tbEUljE_EEESV_SW_SX_S14_S18_S1A_T6_T7_T9_mT8_S1C_bDpT10_ENKUlT_T0_E_clISt17integral_constantIbLb1EES1P_EEDaS1K_S1L_EUlS1K_E_NS1_11comp_targetILNS1_3genE3ELNS1_11target_archE908ELNS1_3gpuE7ELNS1_3repE0EEENS1_30default_config_static_selectorELNS0_4arch9wavefront6targetE1EEEvSY_.numbered_sgpr, 0
	.set _ZN7rocprim17ROCPRIM_400000_NS6detail17trampoline_kernelINS0_13select_configILj256ELj13ELNS0_17block_load_methodE3ELS4_3ELS4_3ELNS0_20block_scan_algorithmE0ELj4294967295EEENS1_25partition_config_selectorILNS1_17partition_subalgoE3EjNS0_10empty_typeEbEEZZNS1_14partition_implILS8_3ELb0ES6_jNS0_17counting_iteratorIjlEEPS9_SE_NS0_5tupleIJPjSE_EEENSF_IJSE_SE_EEES9_SG_JZNS1_25segmented_radix_sort_implINS0_14default_configELb0EPKfPfPKlPlN2at6native12_GLOBAL__N_18offset_tEEE10hipError_tPvRmT1_PNSt15iterator_traitsISY_E10value_typeET2_T3_PNSZ_IS14_E10value_typeET4_jRbjT5_S1A_jjP12ihipStream_tbEUljE_EEESV_SW_SX_S14_S18_S1A_T6_T7_T9_mT8_S1C_bDpT10_ENKUlT_T0_E_clISt17integral_constantIbLb1EES1P_EEDaS1K_S1L_EUlS1K_E_NS1_11comp_targetILNS1_3genE3ELNS1_11target_archE908ELNS1_3gpuE7ELNS1_3repE0EEENS1_30default_config_static_selectorELNS0_4arch9wavefront6targetE1EEEvSY_.num_named_barrier, 0
	.set _ZN7rocprim17ROCPRIM_400000_NS6detail17trampoline_kernelINS0_13select_configILj256ELj13ELNS0_17block_load_methodE3ELS4_3ELS4_3ELNS0_20block_scan_algorithmE0ELj4294967295EEENS1_25partition_config_selectorILNS1_17partition_subalgoE3EjNS0_10empty_typeEbEEZZNS1_14partition_implILS8_3ELb0ES6_jNS0_17counting_iteratorIjlEEPS9_SE_NS0_5tupleIJPjSE_EEENSF_IJSE_SE_EEES9_SG_JZNS1_25segmented_radix_sort_implINS0_14default_configELb0EPKfPfPKlPlN2at6native12_GLOBAL__N_18offset_tEEE10hipError_tPvRmT1_PNSt15iterator_traitsISY_E10value_typeET2_T3_PNSZ_IS14_E10value_typeET4_jRbjT5_S1A_jjP12ihipStream_tbEUljE_EEESV_SW_SX_S14_S18_S1A_T6_T7_T9_mT8_S1C_bDpT10_ENKUlT_T0_E_clISt17integral_constantIbLb1EES1P_EEDaS1K_S1L_EUlS1K_E_NS1_11comp_targetILNS1_3genE3ELNS1_11target_archE908ELNS1_3gpuE7ELNS1_3repE0EEENS1_30default_config_static_selectorELNS0_4arch9wavefront6targetE1EEEvSY_.private_seg_size, 0
	.set _ZN7rocprim17ROCPRIM_400000_NS6detail17trampoline_kernelINS0_13select_configILj256ELj13ELNS0_17block_load_methodE3ELS4_3ELS4_3ELNS0_20block_scan_algorithmE0ELj4294967295EEENS1_25partition_config_selectorILNS1_17partition_subalgoE3EjNS0_10empty_typeEbEEZZNS1_14partition_implILS8_3ELb0ES6_jNS0_17counting_iteratorIjlEEPS9_SE_NS0_5tupleIJPjSE_EEENSF_IJSE_SE_EEES9_SG_JZNS1_25segmented_radix_sort_implINS0_14default_configELb0EPKfPfPKlPlN2at6native12_GLOBAL__N_18offset_tEEE10hipError_tPvRmT1_PNSt15iterator_traitsISY_E10value_typeET2_T3_PNSZ_IS14_E10value_typeET4_jRbjT5_S1A_jjP12ihipStream_tbEUljE_EEESV_SW_SX_S14_S18_S1A_T6_T7_T9_mT8_S1C_bDpT10_ENKUlT_T0_E_clISt17integral_constantIbLb1EES1P_EEDaS1K_S1L_EUlS1K_E_NS1_11comp_targetILNS1_3genE3ELNS1_11target_archE908ELNS1_3gpuE7ELNS1_3repE0EEENS1_30default_config_static_selectorELNS0_4arch9wavefront6targetE1EEEvSY_.uses_vcc, 0
	.set _ZN7rocprim17ROCPRIM_400000_NS6detail17trampoline_kernelINS0_13select_configILj256ELj13ELNS0_17block_load_methodE3ELS4_3ELS4_3ELNS0_20block_scan_algorithmE0ELj4294967295EEENS1_25partition_config_selectorILNS1_17partition_subalgoE3EjNS0_10empty_typeEbEEZZNS1_14partition_implILS8_3ELb0ES6_jNS0_17counting_iteratorIjlEEPS9_SE_NS0_5tupleIJPjSE_EEENSF_IJSE_SE_EEES9_SG_JZNS1_25segmented_radix_sort_implINS0_14default_configELb0EPKfPfPKlPlN2at6native12_GLOBAL__N_18offset_tEEE10hipError_tPvRmT1_PNSt15iterator_traitsISY_E10value_typeET2_T3_PNSZ_IS14_E10value_typeET4_jRbjT5_S1A_jjP12ihipStream_tbEUljE_EEESV_SW_SX_S14_S18_S1A_T6_T7_T9_mT8_S1C_bDpT10_ENKUlT_T0_E_clISt17integral_constantIbLb1EES1P_EEDaS1K_S1L_EUlS1K_E_NS1_11comp_targetILNS1_3genE3ELNS1_11target_archE908ELNS1_3gpuE7ELNS1_3repE0EEENS1_30default_config_static_selectorELNS0_4arch9wavefront6targetE1EEEvSY_.uses_flat_scratch, 0
	.set _ZN7rocprim17ROCPRIM_400000_NS6detail17trampoline_kernelINS0_13select_configILj256ELj13ELNS0_17block_load_methodE3ELS4_3ELS4_3ELNS0_20block_scan_algorithmE0ELj4294967295EEENS1_25partition_config_selectorILNS1_17partition_subalgoE3EjNS0_10empty_typeEbEEZZNS1_14partition_implILS8_3ELb0ES6_jNS0_17counting_iteratorIjlEEPS9_SE_NS0_5tupleIJPjSE_EEENSF_IJSE_SE_EEES9_SG_JZNS1_25segmented_radix_sort_implINS0_14default_configELb0EPKfPfPKlPlN2at6native12_GLOBAL__N_18offset_tEEE10hipError_tPvRmT1_PNSt15iterator_traitsISY_E10value_typeET2_T3_PNSZ_IS14_E10value_typeET4_jRbjT5_S1A_jjP12ihipStream_tbEUljE_EEESV_SW_SX_S14_S18_S1A_T6_T7_T9_mT8_S1C_bDpT10_ENKUlT_T0_E_clISt17integral_constantIbLb1EES1P_EEDaS1K_S1L_EUlS1K_E_NS1_11comp_targetILNS1_3genE3ELNS1_11target_archE908ELNS1_3gpuE7ELNS1_3repE0EEENS1_30default_config_static_selectorELNS0_4arch9wavefront6targetE1EEEvSY_.has_dyn_sized_stack, 0
	.set _ZN7rocprim17ROCPRIM_400000_NS6detail17trampoline_kernelINS0_13select_configILj256ELj13ELNS0_17block_load_methodE3ELS4_3ELS4_3ELNS0_20block_scan_algorithmE0ELj4294967295EEENS1_25partition_config_selectorILNS1_17partition_subalgoE3EjNS0_10empty_typeEbEEZZNS1_14partition_implILS8_3ELb0ES6_jNS0_17counting_iteratorIjlEEPS9_SE_NS0_5tupleIJPjSE_EEENSF_IJSE_SE_EEES9_SG_JZNS1_25segmented_radix_sort_implINS0_14default_configELb0EPKfPfPKlPlN2at6native12_GLOBAL__N_18offset_tEEE10hipError_tPvRmT1_PNSt15iterator_traitsISY_E10value_typeET2_T3_PNSZ_IS14_E10value_typeET4_jRbjT5_S1A_jjP12ihipStream_tbEUljE_EEESV_SW_SX_S14_S18_S1A_T6_T7_T9_mT8_S1C_bDpT10_ENKUlT_T0_E_clISt17integral_constantIbLb1EES1P_EEDaS1K_S1L_EUlS1K_E_NS1_11comp_targetILNS1_3genE3ELNS1_11target_archE908ELNS1_3gpuE7ELNS1_3repE0EEENS1_30default_config_static_selectorELNS0_4arch9wavefront6targetE1EEEvSY_.has_recursion, 0
	.set _ZN7rocprim17ROCPRIM_400000_NS6detail17trampoline_kernelINS0_13select_configILj256ELj13ELNS0_17block_load_methodE3ELS4_3ELS4_3ELNS0_20block_scan_algorithmE0ELj4294967295EEENS1_25partition_config_selectorILNS1_17partition_subalgoE3EjNS0_10empty_typeEbEEZZNS1_14partition_implILS8_3ELb0ES6_jNS0_17counting_iteratorIjlEEPS9_SE_NS0_5tupleIJPjSE_EEENSF_IJSE_SE_EEES9_SG_JZNS1_25segmented_radix_sort_implINS0_14default_configELb0EPKfPfPKlPlN2at6native12_GLOBAL__N_18offset_tEEE10hipError_tPvRmT1_PNSt15iterator_traitsISY_E10value_typeET2_T3_PNSZ_IS14_E10value_typeET4_jRbjT5_S1A_jjP12ihipStream_tbEUljE_EEESV_SW_SX_S14_S18_S1A_T6_T7_T9_mT8_S1C_bDpT10_ENKUlT_T0_E_clISt17integral_constantIbLb1EES1P_EEDaS1K_S1L_EUlS1K_E_NS1_11comp_targetILNS1_3genE3ELNS1_11target_archE908ELNS1_3gpuE7ELNS1_3repE0EEENS1_30default_config_static_selectorELNS0_4arch9wavefront6targetE1EEEvSY_.has_indirect_call, 0
	.section	.AMDGPU.csdata,"",@progbits
; Kernel info:
; codeLenInByte = 0
; TotalNumSgprs: 4
; NumVgprs: 0
; ScratchSize: 0
; MemoryBound: 0
; FloatMode: 240
; IeeeMode: 1
; LDSByteSize: 0 bytes/workgroup (compile time only)
; SGPRBlocks: 0
; VGPRBlocks: 0
; NumSGPRsForWavesPerEU: 4
; NumVGPRsForWavesPerEU: 1
; Occupancy: 10
; WaveLimiterHint : 0
; COMPUTE_PGM_RSRC2:SCRATCH_EN: 0
; COMPUTE_PGM_RSRC2:USER_SGPR: 6
; COMPUTE_PGM_RSRC2:TRAP_HANDLER: 0
; COMPUTE_PGM_RSRC2:TGID_X_EN: 1
; COMPUTE_PGM_RSRC2:TGID_Y_EN: 0
; COMPUTE_PGM_RSRC2:TGID_Z_EN: 0
; COMPUTE_PGM_RSRC2:TIDIG_COMP_CNT: 0
	.section	.text._ZN7rocprim17ROCPRIM_400000_NS6detail17trampoline_kernelINS0_13select_configILj256ELj13ELNS0_17block_load_methodE3ELS4_3ELS4_3ELNS0_20block_scan_algorithmE0ELj4294967295EEENS1_25partition_config_selectorILNS1_17partition_subalgoE3EjNS0_10empty_typeEbEEZZNS1_14partition_implILS8_3ELb0ES6_jNS0_17counting_iteratorIjlEEPS9_SE_NS0_5tupleIJPjSE_EEENSF_IJSE_SE_EEES9_SG_JZNS1_25segmented_radix_sort_implINS0_14default_configELb0EPKfPfPKlPlN2at6native12_GLOBAL__N_18offset_tEEE10hipError_tPvRmT1_PNSt15iterator_traitsISY_E10value_typeET2_T3_PNSZ_IS14_E10value_typeET4_jRbjT5_S1A_jjP12ihipStream_tbEUljE_EEESV_SW_SX_S14_S18_S1A_T6_T7_T9_mT8_S1C_bDpT10_ENKUlT_T0_E_clISt17integral_constantIbLb1EES1P_EEDaS1K_S1L_EUlS1K_E_NS1_11comp_targetILNS1_3genE2ELNS1_11target_archE906ELNS1_3gpuE6ELNS1_3repE0EEENS1_30default_config_static_selectorELNS0_4arch9wavefront6targetE1EEEvSY_,"axG",@progbits,_ZN7rocprim17ROCPRIM_400000_NS6detail17trampoline_kernelINS0_13select_configILj256ELj13ELNS0_17block_load_methodE3ELS4_3ELS4_3ELNS0_20block_scan_algorithmE0ELj4294967295EEENS1_25partition_config_selectorILNS1_17partition_subalgoE3EjNS0_10empty_typeEbEEZZNS1_14partition_implILS8_3ELb0ES6_jNS0_17counting_iteratorIjlEEPS9_SE_NS0_5tupleIJPjSE_EEENSF_IJSE_SE_EEES9_SG_JZNS1_25segmented_radix_sort_implINS0_14default_configELb0EPKfPfPKlPlN2at6native12_GLOBAL__N_18offset_tEEE10hipError_tPvRmT1_PNSt15iterator_traitsISY_E10value_typeET2_T3_PNSZ_IS14_E10value_typeET4_jRbjT5_S1A_jjP12ihipStream_tbEUljE_EEESV_SW_SX_S14_S18_S1A_T6_T7_T9_mT8_S1C_bDpT10_ENKUlT_T0_E_clISt17integral_constantIbLb1EES1P_EEDaS1K_S1L_EUlS1K_E_NS1_11comp_targetILNS1_3genE2ELNS1_11target_archE906ELNS1_3gpuE6ELNS1_3repE0EEENS1_30default_config_static_selectorELNS0_4arch9wavefront6targetE1EEEvSY_,comdat
	.globl	_ZN7rocprim17ROCPRIM_400000_NS6detail17trampoline_kernelINS0_13select_configILj256ELj13ELNS0_17block_load_methodE3ELS4_3ELS4_3ELNS0_20block_scan_algorithmE0ELj4294967295EEENS1_25partition_config_selectorILNS1_17partition_subalgoE3EjNS0_10empty_typeEbEEZZNS1_14partition_implILS8_3ELb0ES6_jNS0_17counting_iteratorIjlEEPS9_SE_NS0_5tupleIJPjSE_EEENSF_IJSE_SE_EEES9_SG_JZNS1_25segmented_radix_sort_implINS0_14default_configELb0EPKfPfPKlPlN2at6native12_GLOBAL__N_18offset_tEEE10hipError_tPvRmT1_PNSt15iterator_traitsISY_E10value_typeET2_T3_PNSZ_IS14_E10value_typeET4_jRbjT5_S1A_jjP12ihipStream_tbEUljE_EEESV_SW_SX_S14_S18_S1A_T6_T7_T9_mT8_S1C_bDpT10_ENKUlT_T0_E_clISt17integral_constantIbLb1EES1P_EEDaS1K_S1L_EUlS1K_E_NS1_11comp_targetILNS1_3genE2ELNS1_11target_archE906ELNS1_3gpuE6ELNS1_3repE0EEENS1_30default_config_static_selectorELNS0_4arch9wavefront6targetE1EEEvSY_ ; -- Begin function _ZN7rocprim17ROCPRIM_400000_NS6detail17trampoline_kernelINS0_13select_configILj256ELj13ELNS0_17block_load_methodE3ELS4_3ELS4_3ELNS0_20block_scan_algorithmE0ELj4294967295EEENS1_25partition_config_selectorILNS1_17partition_subalgoE3EjNS0_10empty_typeEbEEZZNS1_14partition_implILS8_3ELb0ES6_jNS0_17counting_iteratorIjlEEPS9_SE_NS0_5tupleIJPjSE_EEENSF_IJSE_SE_EEES9_SG_JZNS1_25segmented_radix_sort_implINS0_14default_configELb0EPKfPfPKlPlN2at6native12_GLOBAL__N_18offset_tEEE10hipError_tPvRmT1_PNSt15iterator_traitsISY_E10value_typeET2_T3_PNSZ_IS14_E10value_typeET4_jRbjT5_S1A_jjP12ihipStream_tbEUljE_EEESV_SW_SX_S14_S18_S1A_T6_T7_T9_mT8_S1C_bDpT10_ENKUlT_T0_E_clISt17integral_constantIbLb1EES1P_EEDaS1K_S1L_EUlS1K_E_NS1_11comp_targetILNS1_3genE2ELNS1_11target_archE906ELNS1_3gpuE6ELNS1_3repE0EEENS1_30default_config_static_selectorELNS0_4arch9wavefront6targetE1EEEvSY_
	.p2align	8
	.type	_ZN7rocprim17ROCPRIM_400000_NS6detail17trampoline_kernelINS0_13select_configILj256ELj13ELNS0_17block_load_methodE3ELS4_3ELS4_3ELNS0_20block_scan_algorithmE0ELj4294967295EEENS1_25partition_config_selectorILNS1_17partition_subalgoE3EjNS0_10empty_typeEbEEZZNS1_14partition_implILS8_3ELb0ES6_jNS0_17counting_iteratorIjlEEPS9_SE_NS0_5tupleIJPjSE_EEENSF_IJSE_SE_EEES9_SG_JZNS1_25segmented_radix_sort_implINS0_14default_configELb0EPKfPfPKlPlN2at6native12_GLOBAL__N_18offset_tEEE10hipError_tPvRmT1_PNSt15iterator_traitsISY_E10value_typeET2_T3_PNSZ_IS14_E10value_typeET4_jRbjT5_S1A_jjP12ihipStream_tbEUljE_EEESV_SW_SX_S14_S18_S1A_T6_T7_T9_mT8_S1C_bDpT10_ENKUlT_T0_E_clISt17integral_constantIbLb1EES1P_EEDaS1K_S1L_EUlS1K_E_NS1_11comp_targetILNS1_3genE2ELNS1_11target_archE906ELNS1_3gpuE6ELNS1_3repE0EEENS1_30default_config_static_selectorELNS0_4arch9wavefront6targetE1EEEvSY_,@function
_ZN7rocprim17ROCPRIM_400000_NS6detail17trampoline_kernelINS0_13select_configILj256ELj13ELNS0_17block_load_methodE3ELS4_3ELS4_3ELNS0_20block_scan_algorithmE0ELj4294967295EEENS1_25partition_config_selectorILNS1_17partition_subalgoE3EjNS0_10empty_typeEbEEZZNS1_14partition_implILS8_3ELb0ES6_jNS0_17counting_iteratorIjlEEPS9_SE_NS0_5tupleIJPjSE_EEENSF_IJSE_SE_EEES9_SG_JZNS1_25segmented_radix_sort_implINS0_14default_configELb0EPKfPfPKlPlN2at6native12_GLOBAL__N_18offset_tEEE10hipError_tPvRmT1_PNSt15iterator_traitsISY_E10value_typeET2_T3_PNSZ_IS14_E10value_typeET4_jRbjT5_S1A_jjP12ihipStream_tbEUljE_EEESV_SW_SX_S14_S18_S1A_T6_T7_T9_mT8_S1C_bDpT10_ENKUlT_T0_E_clISt17integral_constantIbLb1EES1P_EEDaS1K_S1L_EUlS1K_E_NS1_11comp_targetILNS1_3genE2ELNS1_11target_archE906ELNS1_3gpuE6ELNS1_3repE0EEENS1_30default_config_static_selectorELNS0_4arch9wavefront6targetE1EEEvSY_: ; @_ZN7rocprim17ROCPRIM_400000_NS6detail17trampoline_kernelINS0_13select_configILj256ELj13ELNS0_17block_load_methodE3ELS4_3ELS4_3ELNS0_20block_scan_algorithmE0ELj4294967295EEENS1_25partition_config_selectorILNS1_17partition_subalgoE3EjNS0_10empty_typeEbEEZZNS1_14partition_implILS8_3ELb0ES6_jNS0_17counting_iteratorIjlEEPS9_SE_NS0_5tupleIJPjSE_EEENSF_IJSE_SE_EEES9_SG_JZNS1_25segmented_radix_sort_implINS0_14default_configELb0EPKfPfPKlPlN2at6native12_GLOBAL__N_18offset_tEEE10hipError_tPvRmT1_PNSt15iterator_traitsISY_E10value_typeET2_T3_PNSZ_IS14_E10value_typeET4_jRbjT5_S1A_jjP12ihipStream_tbEUljE_EEESV_SW_SX_S14_S18_S1A_T6_T7_T9_mT8_S1C_bDpT10_ENKUlT_T0_E_clISt17integral_constantIbLb1EES1P_EEDaS1K_S1L_EUlS1K_E_NS1_11comp_targetILNS1_3genE2ELNS1_11target_archE906ELNS1_3gpuE6ELNS1_3repE0EEENS1_30default_config_static_selectorELNS0_4arch9wavefront6targetE1EEEvSY_
; %bb.0:
	s_endpgm
	.section	.rodata,"a",@progbits
	.p2align	6, 0x0
	.amdhsa_kernel _ZN7rocprim17ROCPRIM_400000_NS6detail17trampoline_kernelINS0_13select_configILj256ELj13ELNS0_17block_load_methodE3ELS4_3ELS4_3ELNS0_20block_scan_algorithmE0ELj4294967295EEENS1_25partition_config_selectorILNS1_17partition_subalgoE3EjNS0_10empty_typeEbEEZZNS1_14partition_implILS8_3ELb0ES6_jNS0_17counting_iteratorIjlEEPS9_SE_NS0_5tupleIJPjSE_EEENSF_IJSE_SE_EEES9_SG_JZNS1_25segmented_radix_sort_implINS0_14default_configELb0EPKfPfPKlPlN2at6native12_GLOBAL__N_18offset_tEEE10hipError_tPvRmT1_PNSt15iterator_traitsISY_E10value_typeET2_T3_PNSZ_IS14_E10value_typeET4_jRbjT5_S1A_jjP12ihipStream_tbEUljE_EEESV_SW_SX_S14_S18_S1A_T6_T7_T9_mT8_S1C_bDpT10_ENKUlT_T0_E_clISt17integral_constantIbLb1EES1P_EEDaS1K_S1L_EUlS1K_E_NS1_11comp_targetILNS1_3genE2ELNS1_11target_archE906ELNS1_3gpuE6ELNS1_3repE0EEENS1_30default_config_static_selectorELNS0_4arch9wavefront6targetE1EEEvSY_
		.amdhsa_group_segment_fixed_size 0
		.amdhsa_private_segment_fixed_size 0
		.amdhsa_kernarg_size 152
		.amdhsa_user_sgpr_count 6
		.amdhsa_user_sgpr_private_segment_buffer 1
		.amdhsa_user_sgpr_dispatch_ptr 0
		.amdhsa_user_sgpr_queue_ptr 0
		.amdhsa_user_sgpr_kernarg_segment_ptr 1
		.amdhsa_user_sgpr_dispatch_id 0
		.amdhsa_user_sgpr_flat_scratch_init 0
		.amdhsa_user_sgpr_private_segment_size 0
		.amdhsa_uses_dynamic_stack 0
		.amdhsa_system_sgpr_private_segment_wavefront_offset 0
		.amdhsa_system_sgpr_workgroup_id_x 1
		.amdhsa_system_sgpr_workgroup_id_y 0
		.amdhsa_system_sgpr_workgroup_id_z 0
		.amdhsa_system_sgpr_workgroup_info 0
		.amdhsa_system_vgpr_workitem_id 0
		.amdhsa_next_free_vgpr 1
		.amdhsa_next_free_sgpr 0
		.amdhsa_reserve_vcc 0
		.amdhsa_reserve_flat_scratch 0
		.amdhsa_float_round_mode_32 0
		.amdhsa_float_round_mode_16_64 0
		.amdhsa_float_denorm_mode_32 3
		.amdhsa_float_denorm_mode_16_64 3
		.amdhsa_dx10_clamp 1
		.amdhsa_ieee_mode 1
		.amdhsa_fp16_overflow 0
		.amdhsa_exception_fp_ieee_invalid_op 0
		.amdhsa_exception_fp_denorm_src 0
		.amdhsa_exception_fp_ieee_div_zero 0
		.amdhsa_exception_fp_ieee_overflow 0
		.amdhsa_exception_fp_ieee_underflow 0
		.amdhsa_exception_fp_ieee_inexact 0
		.amdhsa_exception_int_div_zero 0
	.end_amdhsa_kernel
	.section	.text._ZN7rocprim17ROCPRIM_400000_NS6detail17trampoline_kernelINS0_13select_configILj256ELj13ELNS0_17block_load_methodE3ELS4_3ELS4_3ELNS0_20block_scan_algorithmE0ELj4294967295EEENS1_25partition_config_selectorILNS1_17partition_subalgoE3EjNS0_10empty_typeEbEEZZNS1_14partition_implILS8_3ELb0ES6_jNS0_17counting_iteratorIjlEEPS9_SE_NS0_5tupleIJPjSE_EEENSF_IJSE_SE_EEES9_SG_JZNS1_25segmented_radix_sort_implINS0_14default_configELb0EPKfPfPKlPlN2at6native12_GLOBAL__N_18offset_tEEE10hipError_tPvRmT1_PNSt15iterator_traitsISY_E10value_typeET2_T3_PNSZ_IS14_E10value_typeET4_jRbjT5_S1A_jjP12ihipStream_tbEUljE_EEESV_SW_SX_S14_S18_S1A_T6_T7_T9_mT8_S1C_bDpT10_ENKUlT_T0_E_clISt17integral_constantIbLb1EES1P_EEDaS1K_S1L_EUlS1K_E_NS1_11comp_targetILNS1_3genE2ELNS1_11target_archE906ELNS1_3gpuE6ELNS1_3repE0EEENS1_30default_config_static_selectorELNS0_4arch9wavefront6targetE1EEEvSY_,"axG",@progbits,_ZN7rocprim17ROCPRIM_400000_NS6detail17trampoline_kernelINS0_13select_configILj256ELj13ELNS0_17block_load_methodE3ELS4_3ELS4_3ELNS0_20block_scan_algorithmE0ELj4294967295EEENS1_25partition_config_selectorILNS1_17partition_subalgoE3EjNS0_10empty_typeEbEEZZNS1_14partition_implILS8_3ELb0ES6_jNS0_17counting_iteratorIjlEEPS9_SE_NS0_5tupleIJPjSE_EEENSF_IJSE_SE_EEES9_SG_JZNS1_25segmented_radix_sort_implINS0_14default_configELb0EPKfPfPKlPlN2at6native12_GLOBAL__N_18offset_tEEE10hipError_tPvRmT1_PNSt15iterator_traitsISY_E10value_typeET2_T3_PNSZ_IS14_E10value_typeET4_jRbjT5_S1A_jjP12ihipStream_tbEUljE_EEESV_SW_SX_S14_S18_S1A_T6_T7_T9_mT8_S1C_bDpT10_ENKUlT_T0_E_clISt17integral_constantIbLb1EES1P_EEDaS1K_S1L_EUlS1K_E_NS1_11comp_targetILNS1_3genE2ELNS1_11target_archE906ELNS1_3gpuE6ELNS1_3repE0EEENS1_30default_config_static_selectorELNS0_4arch9wavefront6targetE1EEEvSY_,comdat
.Lfunc_end1408:
	.size	_ZN7rocprim17ROCPRIM_400000_NS6detail17trampoline_kernelINS0_13select_configILj256ELj13ELNS0_17block_load_methodE3ELS4_3ELS4_3ELNS0_20block_scan_algorithmE0ELj4294967295EEENS1_25partition_config_selectorILNS1_17partition_subalgoE3EjNS0_10empty_typeEbEEZZNS1_14partition_implILS8_3ELb0ES6_jNS0_17counting_iteratorIjlEEPS9_SE_NS0_5tupleIJPjSE_EEENSF_IJSE_SE_EEES9_SG_JZNS1_25segmented_radix_sort_implINS0_14default_configELb0EPKfPfPKlPlN2at6native12_GLOBAL__N_18offset_tEEE10hipError_tPvRmT1_PNSt15iterator_traitsISY_E10value_typeET2_T3_PNSZ_IS14_E10value_typeET4_jRbjT5_S1A_jjP12ihipStream_tbEUljE_EEESV_SW_SX_S14_S18_S1A_T6_T7_T9_mT8_S1C_bDpT10_ENKUlT_T0_E_clISt17integral_constantIbLb1EES1P_EEDaS1K_S1L_EUlS1K_E_NS1_11comp_targetILNS1_3genE2ELNS1_11target_archE906ELNS1_3gpuE6ELNS1_3repE0EEENS1_30default_config_static_selectorELNS0_4arch9wavefront6targetE1EEEvSY_, .Lfunc_end1408-_ZN7rocprim17ROCPRIM_400000_NS6detail17trampoline_kernelINS0_13select_configILj256ELj13ELNS0_17block_load_methodE3ELS4_3ELS4_3ELNS0_20block_scan_algorithmE0ELj4294967295EEENS1_25partition_config_selectorILNS1_17partition_subalgoE3EjNS0_10empty_typeEbEEZZNS1_14partition_implILS8_3ELb0ES6_jNS0_17counting_iteratorIjlEEPS9_SE_NS0_5tupleIJPjSE_EEENSF_IJSE_SE_EEES9_SG_JZNS1_25segmented_radix_sort_implINS0_14default_configELb0EPKfPfPKlPlN2at6native12_GLOBAL__N_18offset_tEEE10hipError_tPvRmT1_PNSt15iterator_traitsISY_E10value_typeET2_T3_PNSZ_IS14_E10value_typeET4_jRbjT5_S1A_jjP12ihipStream_tbEUljE_EEESV_SW_SX_S14_S18_S1A_T6_T7_T9_mT8_S1C_bDpT10_ENKUlT_T0_E_clISt17integral_constantIbLb1EES1P_EEDaS1K_S1L_EUlS1K_E_NS1_11comp_targetILNS1_3genE2ELNS1_11target_archE906ELNS1_3gpuE6ELNS1_3repE0EEENS1_30default_config_static_selectorELNS0_4arch9wavefront6targetE1EEEvSY_
                                        ; -- End function
	.set _ZN7rocprim17ROCPRIM_400000_NS6detail17trampoline_kernelINS0_13select_configILj256ELj13ELNS0_17block_load_methodE3ELS4_3ELS4_3ELNS0_20block_scan_algorithmE0ELj4294967295EEENS1_25partition_config_selectorILNS1_17partition_subalgoE3EjNS0_10empty_typeEbEEZZNS1_14partition_implILS8_3ELb0ES6_jNS0_17counting_iteratorIjlEEPS9_SE_NS0_5tupleIJPjSE_EEENSF_IJSE_SE_EEES9_SG_JZNS1_25segmented_radix_sort_implINS0_14default_configELb0EPKfPfPKlPlN2at6native12_GLOBAL__N_18offset_tEEE10hipError_tPvRmT1_PNSt15iterator_traitsISY_E10value_typeET2_T3_PNSZ_IS14_E10value_typeET4_jRbjT5_S1A_jjP12ihipStream_tbEUljE_EEESV_SW_SX_S14_S18_S1A_T6_T7_T9_mT8_S1C_bDpT10_ENKUlT_T0_E_clISt17integral_constantIbLb1EES1P_EEDaS1K_S1L_EUlS1K_E_NS1_11comp_targetILNS1_3genE2ELNS1_11target_archE906ELNS1_3gpuE6ELNS1_3repE0EEENS1_30default_config_static_selectorELNS0_4arch9wavefront6targetE1EEEvSY_.num_vgpr, 0
	.set _ZN7rocprim17ROCPRIM_400000_NS6detail17trampoline_kernelINS0_13select_configILj256ELj13ELNS0_17block_load_methodE3ELS4_3ELS4_3ELNS0_20block_scan_algorithmE0ELj4294967295EEENS1_25partition_config_selectorILNS1_17partition_subalgoE3EjNS0_10empty_typeEbEEZZNS1_14partition_implILS8_3ELb0ES6_jNS0_17counting_iteratorIjlEEPS9_SE_NS0_5tupleIJPjSE_EEENSF_IJSE_SE_EEES9_SG_JZNS1_25segmented_radix_sort_implINS0_14default_configELb0EPKfPfPKlPlN2at6native12_GLOBAL__N_18offset_tEEE10hipError_tPvRmT1_PNSt15iterator_traitsISY_E10value_typeET2_T3_PNSZ_IS14_E10value_typeET4_jRbjT5_S1A_jjP12ihipStream_tbEUljE_EEESV_SW_SX_S14_S18_S1A_T6_T7_T9_mT8_S1C_bDpT10_ENKUlT_T0_E_clISt17integral_constantIbLb1EES1P_EEDaS1K_S1L_EUlS1K_E_NS1_11comp_targetILNS1_3genE2ELNS1_11target_archE906ELNS1_3gpuE6ELNS1_3repE0EEENS1_30default_config_static_selectorELNS0_4arch9wavefront6targetE1EEEvSY_.num_agpr, 0
	.set _ZN7rocprim17ROCPRIM_400000_NS6detail17trampoline_kernelINS0_13select_configILj256ELj13ELNS0_17block_load_methodE3ELS4_3ELS4_3ELNS0_20block_scan_algorithmE0ELj4294967295EEENS1_25partition_config_selectorILNS1_17partition_subalgoE3EjNS0_10empty_typeEbEEZZNS1_14partition_implILS8_3ELb0ES6_jNS0_17counting_iteratorIjlEEPS9_SE_NS0_5tupleIJPjSE_EEENSF_IJSE_SE_EEES9_SG_JZNS1_25segmented_radix_sort_implINS0_14default_configELb0EPKfPfPKlPlN2at6native12_GLOBAL__N_18offset_tEEE10hipError_tPvRmT1_PNSt15iterator_traitsISY_E10value_typeET2_T3_PNSZ_IS14_E10value_typeET4_jRbjT5_S1A_jjP12ihipStream_tbEUljE_EEESV_SW_SX_S14_S18_S1A_T6_T7_T9_mT8_S1C_bDpT10_ENKUlT_T0_E_clISt17integral_constantIbLb1EES1P_EEDaS1K_S1L_EUlS1K_E_NS1_11comp_targetILNS1_3genE2ELNS1_11target_archE906ELNS1_3gpuE6ELNS1_3repE0EEENS1_30default_config_static_selectorELNS0_4arch9wavefront6targetE1EEEvSY_.numbered_sgpr, 0
	.set _ZN7rocprim17ROCPRIM_400000_NS6detail17trampoline_kernelINS0_13select_configILj256ELj13ELNS0_17block_load_methodE3ELS4_3ELS4_3ELNS0_20block_scan_algorithmE0ELj4294967295EEENS1_25partition_config_selectorILNS1_17partition_subalgoE3EjNS0_10empty_typeEbEEZZNS1_14partition_implILS8_3ELb0ES6_jNS0_17counting_iteratorIjlEEPS9_SE_NS0_5tupleIJPjSE_EEENSF_IJSE_SE_EEES9_SG_JZNS1_25segmented_radix_sort_implINS0_14default_configELb0EPKfPfPKlPlN2at6native12_GLOBAL__N_18offset_tEEE10hipError_tPvRmT1_PNSt15iterator_traitsISY_E10value_typeET2_T3_PNSZ_IS14_E10value_typeET4_jRbjT5_S1A_jjP12ihipStream_tbEUljE_EEESV_SW_SX_S14_S18_S1A_T6_T7_T9_mT8_S1C_bDpT10_ENKUlT_T0_E_clISt17integral_constantIbLb1EES1P_EEDaS1K_S1L_EUlS1K_E_NS1_11comp_targetILNS1_3genE2ELNS1_11target_archE906ELNS1_3gpuE6ELNS1_3repE0EEENS1_30default_config_static_selectorELNS0_4arch9wavefront6targetE1EEEvSY_.num_named_barrier, 0
	.set _ZN7rocprim17ROCPRIM_400000_NS6detail17trampoline_kernelINS0_13select_configILj256ELj13ELNS0_17block_load_methodE3ELS4_3ELS4_3ELNS0_20block_scan_algorithmE0ELj4294967295EEENS1_25partition_config_selectorILNS1_17partition_subalgoE3EjNS0_10empty_typeEbEEZZNS1_14partition_implILS8_3ELb0ES6_jNS0_17counting_iteratorIjlEEPS9_SE_NS0_5tupleIJPjSE_EEENSF_IJSE_SE_EEES9_SG_JZNS1_25segmented_radix_sort_implINS0_14default_configELb0EPKfPfPKlPlN2at6native12_GLOBAL__N_18offset_tEEE10hipError_tPvRmT1_PNSt15iterator_traitsISY_E10value_typeET2_T3_PNSZ_IS14_E10value_typeET4_jRbjT5_S1A_jjP12ihipStream_tbEUljE_EEESV_SW_SX_S14_S18_S1A_T6_T7_T9_mT8_S1C_bDpT10_ENKUlT_T0_E_clISt17integral_constantIbLb1EES1P_EEDaS1K_S1L_EUlS1K_E_NS1_11comp_targetILNS1_3genE2ELNS1_11target_archE906ELNS1_3gpuE6ELNS1_3repE0EEENS1_30default_config_static_selectorELNS0_4arch9wavefront6targetE1EEEvSY_.private_seg_size, 0
	.set _ZN7rocprim17ROCPRIM_400000_NS6detail17trampoline_kernelINS0_13select_configILj256ELj13ELNS0_17block_load_methodE3ELS4_3ELS4_3ELNS0_20block_scan_algorithmE0ELj4294967295EEENS1_25partition_config_selectorILNS1_17partition_subalgoE3EjNS0_10empty_typeEbEEZZNS1_14partition_implILS8_3ELb0ES6_jNS0_17counting_iteratorIjlEEPS9_SE_NS0_5tupleIJPjSE_EEENSF_IJSE_SE_EEES9_SG_JZNS1_25segmented_radix_sort_implINS0_14default_configELb0EPKfPfPKlPlN2at6native12_GLOBAL__N_18offset_tEEE10hipError_tPvRmT1_PNSt15iterator_traitsISY_E10value_typeET2_T3_PNSZ_IS14_E10value_typeET4_jRbjT5_S1A_jjP12ihipStream_tbEUljE_EEESV_SW_SX_S14_S18_S1A_T6_T7_T9_mT8_S1C_bDpT10_ENKUlT_T0_E_clISt17integral_constantIbLb1EES1P_EEDaS1K_S1L_EUlS1K_E_NS1_11comp_targetILNS1_3genE2ELNS1_11target_archE906ELNS1_3gpuE6ELNS1_3repE0EEENS1_30default_config_static_selectorELNS0_4arch9wavefront6targetE1EEEvSY_.uses_vcc, 0
	.set _ZN7rocprim17ROCPRIM_400000_NS6detail17trampoline_kernelINS0_13select_configILj256ELj13ELNS0_17block_load_methodE3ELS4_3ELS4_3ELNS0_20block_scan_algorithmE0ELj4294967295EEENS1_25partition_config_selectorILNS1_17partition_subalgoE3EjNS0_10empty_typeEbEEZZNS1_14partition_implILS8_3ELb0ES6_jNS0_17counting_iteratorIjlEEPS9_SE_NS0_5tupleIJPjSE_EEENSF_IJSE_SE_EEES9_SG_JZNS1_25segmented_radix_sort_implINS0_14default_configELb0EPKfPfPKlPlN2at6native12_GLOBAL__N_18offset_tEEE10hipError_tPvRmT1_PNSt15iterator_traitsISY_E10value_typeET2_T3_PNSZ_IS14_E10value_typeET4_jRbjT5_S1A_jjP12ihipStream_tbEUljE_EEESV_SW_SX_S14_S18_S1A_T6_T7_T9_mT8_S1C_bDpT10_ENKUlT_T0_E_clISt17integral_constantIbLb1EES1P_EEDaS1K_S1L_EUlS1K_E_NS1_11comp_targetILNS1_3genE2ELNS1_11target_archE906ELNS1_3gpuE6ELNS1_3repE0EEENS1_30default_config_static_selectorELNS0_4arch9wavefront6targetE1EEEvSY_.uses_flat_scratch, 0
	.set _ZN7rocprim17ROCPRIM_400000_NS6detail17trampoline_kernelINS0_13select_configILj256ELj13ELNS0_17block_load_methodE3ELS4_3ELS4_3ELNS0_20block_scan_algorithmE0ELj4294967295EEENS1_25partition_config_selectorILNS1_17partition_subalgoE3EjNS0_10empty_typeEbEEZZNS1_14partition_implILS8_3ELb0ES6_jNS0_17counting_iteratorIjlEEPS9_SE_NS0_5tupleIJPjSE_EEENSF_IJSE_SE_EEES9_SG_JZNS1_25segmented_radix_sort_implINS0_14default_configELb0EPKfPfPKlPlN2at6native12_GLOBAL__N_18offset_tEEE10hipError_tPvRmT1_PNSt15iterator_traitsISY_E10value_typeET2_T3_PNSZ_IS14_E10value_typeET4_jRbjT5_S1A_jjP12ihipStream_tbEUljE_EEESV_SW_SX_S14_S18_S1A_T6_T7_T9_mT8_S1C_bDpT10_ENKUlT_T0_E_clISt17integral_constantIbLb1EES1P_EEDaS1K_S1L_EUlS1K_E_NS1_11comp_targetILNS1_3genE2ELNS1_11target_archE906ELNS1_3gpuE6ELNS1_3repE0EEENS1_30default_config_static_selectorELNS0_4arch9wavefront6targetE1EEEvSY_.has_dyn_sized_stack, 0
	.set _ZN7rocprim17ROCPRIM_400000_NS6detail17trampoline_kernelINS0_13select_configILj256ELj13ELNS0_17block_load_methodE3ELS4_3ELS4_3ELNS0_20block_scan_algorithmE0ELj4294967295EEENS1_25partition_config_selectorILNS1_17partition_subalgoE3EjNS0_10empty_typeEbEEZZNS1_14partition_implILS8_3ELb0ES6_jNS0_17counting_iteratorIjlEEPS9_SE_NS0_5tupleIJPjSE_EEENSF_IJSE_SE_EEES9_SG_JZNS1_25segmented_radix_sort_implINS0_14default_configELb0EPKfPfPKlPlN2at6native12_GLOBAL__N_18offset_tEEE10hipError_tPvRmT1_PNSt15iterator_traitsISY_E10value_typeET2_T3_PNSZ_IS14_E10value_typeET4_jRbjT5_S1A_jjP12ihipStream_tbEUljE_EEESV_SW_SX_S14_S18_S1A_T6_T7_T9_mT8_S1C_bDpT10_ENKUlT_T0_E_clISt17integral_constantIbLb1EES1P_EEDaS1K_S1L_EUlS1K_E_NS1_11comp_targetILNS1_3genE2ELNS1_11target_archE906ELNS1_3gpuE6ELNS1_3repE0EEENS1_30default_config_static_selectorELNS0_4arch9wavefront6targetE1EEEvSY_.has_recursion, 0
	.set _ZN7rocprim17ROCPRIM_400000_NS6detail17trampoline_kernelINS0_13select_configILj256ELj13ELNS0_17block_load_methodE3ELS4_3ELS4_3ELNS0_20block_scan_algorithmE0ELj4294967295EEENS1_25partition_config_selectorILNS1_17partition_subalgoE3EjNS0_10empty_typeEbEEZZNS1_14partition_implILS8_3ELb0ES6_jNS0_17counting_iteratorIjlEEPS9_SE_NS0_5tupleIJPjSE_EEENSF_IJSE_SE_EEES9_SG_JZNS1_25segmented_radix_sort_implINS0_14default_configELb0EPKfPfPKlPlN2at6native12_GLOBAL__N_18offset_tEEE10hipError_tPvRmT1_PNSt15iterator_traitsISY_E10value_typeET2_T3_PNSZ_IS14_E10value_typeET4_jRbjT5_S1A_jjP12ihipStream_tbEUljE_EEESV_SW_SX_S14_S18_S1A_T6_T7_T9_mT8_S1C_bDpT10_ENKUlT_T0_E_clISt17integral_constantIbLb1EES1P_EEDaS1K_S1L_EUlS1K_E_NS1_11comp_targetILNS1_3genE2ELNS1_11target_archE906ELNS1_3gpuE6ELNS1_3repE0EEENS1_30default_config_static_selectorELNS0_4arch9wavefront6targetE1EEEvSY_.has_indirect_call, 0
	.section	.AMDGPU.csdata,"",@progbits
; Kernel info:
; codeLenInByte = 4
; TotalNumSgprs: 4
; NumVgprs: 0
; ScratchSize: 0
; MemoryBound: 0
; FloatMode: 240
; IeeeMode: 1
; LDSByteSize: 0 bytes/workgroup (compile time only)
; SGPRBlocks: 0
; VGPRBlocks: 0
; NumSGPRsForWavesPerEU: 4
; NumVGPRsForWavesPerEU: 1
; Occupancy: 10
; WaveLimiterHint : 0
; COMPUTE_PGM_RSRC2:SCRATCH_EN: 0
; COMPUTE_PGM_RSRC2:USER_SGPR: 6
; COMPUTE_PGM_RSRC2:TRAP_HANDLER: 0
; COMPUTE_PGM_RSRC2:TGID_X_EN: 1
; COMPUTE_PGM_RSRC2:TGID_Y_EN: 0
; COMPUTE_PGM_RSRC2:TGID_Z_EN: 0
; COMPUTE_PGM_RSRC2:TIDIG_COMP_CNT: 0
	.section	.text._ZN7rocprim17ROCPRIM_400000_NS6detail17trampoline_kernelINS0_13select_configILj256ELj13ELNS0_17block_load_methodE3ELS4_3ELS4_3ELNS0_20block_scan_algorithmE0ELj4294967295EEENS1_25partition_config_selectorILNS1_17partition_subalgoE3EjNS0_10empty_typeEbEEZZNS1_14partition_implILS8_3ELb0ES6_jNS0_17counting_iteratorIjlEEPS9_SE_NS0_5tupleIJPjSE_EEENSF_IJSE_SE_EEES9_SG_JZNS1_25segmented_radix_sort_implINS0_14default_configELb0EPKfPfPKlPlN2at6native12_GLOBAL__N_18offset_tEEE10hipError_tPvRmT1_PNSt15iterator_traitsISY_E10value_typeET2_T3_PNSZ_IS14_E10value_typeET4_jRbjT5_S1A_jjP12ihipStream_tbEUljE_EEESV_SW_SX_S14_S18_S1A_T6_T7_T9_mT8_S1C_bDpT10_ENKUlT_T0_E_clISt17integral_constantIbLb1EES1P_EEDaS1K_S1L_EUlS1K_E_NS1_11comp_targetILNS1_3genE10ELNS1_11target_archE1200ELNS1_3gpuE4ELNS1_3repE0EEENS1_30default_config_static_selectorELNS0_4arch9wavefront6targetE1EEEvSY_,"axG",@progbits,_ZN7rocprim17ROCPRIM_400000_NS6detail17trampoline_kernelINS0_13select_configILj256ELj13ELNS0_17block_load_methodE3ELS4_3ELS4_3ELNS0_20block_scan_algorithmE0ELj4294967295EEENS1_25partition_config_selectorILNS1_17partition_subalgoE3EjNS0_10empty_typeEbEEZZNS1_14partition_implILS8_3ELb0ES6_jNS0_17counting_iteratorIjlEEPS9_SE_NS0_5tupleIJPjSE_EEENSF_IJSE_SE_EEES9_SG_JZNS1_25segmented_radix_sort_implINS0_14default_configELb0EPKfPfPKlPlN2at6native12_GLOBAL__N_18offset_tEEE10hipError_tPvRmT1_PNSt15iterator_traitsISY_E10value_typeET2_T3_PNSZ_IS14_E10value_typeET4_jRbjT5_S1A_jjP12ihipStream_tbEUljE_EEESV_SW_SX_S14_S18_S1A_T6_T7_T9_mT8_S1C_bDpT10_ENKUlT_T0_E_clISt17integral_constantIbLb1EES1P_EEDaS1K_S1L_EUlS1K_E_NS1_11comp_targetILNS1_3genE10ELNS1_11target_archE1200ELNS1_3gpuE4ELNS1_3repE0EEENS1_30default_config_static_selectorELNS0_4arch9wavefront6targetE1EEEvSY_,comdat
	.globl	_ZN7rocprim17ROCPRIM_400000_NS6detail17trampoline_kernelINS0_13select_configILj256ELj13ELNS0_17block_load_methodE3ELS4_3ELS4_3ELNS0_20block_scan_algorithmE0ELj4294967295EEENS1_25partition_config_selectorILNS1_17partition_subalgoE3EjNS0_10empty_typeEbEEZZNS1_14partition_implILS8_3ELb0ES6_jNS0_17counting_iteratorIjlEEPS9_SE_NS0_5tupleIJPjSE_EEENSF_IJSE_SE_EEES9_SG_JZNS1_25segmented_radix_sort_implINS0_14default_configELb0EPKfPfPKlPlN2at6native12_GLOBAL__N_18offset_tEEE10hipError_tPvRmT1_PNSt15iterator_traitsISY_E10value_typeET2_T3_PNSZ_IS14_E10value_typeET4_jRbjT5_S1A_jjP12ihipStream_tbEUljE_EEESV_SW_SX_S14_S18_S1A_T6_T7_T9_mT8_S1C_bDpT10_ENKUlT_T0_E_clISt17integral_constantIbLb1EES1P_EEDaS1K_S1L_EUlS1K_E_NS1_11comp_targetILNS1_3genE10ELNS1_11target_archE1200ELNS1_3gpuE4ELNS1_3repE0EEENS1_30default_config_static_selectorELNS0_4arch9wavefront6targetE1EEEvSY_ ; -- Begin function _ZN7rocprim17ROCPRIM_400000_NS6detail17trampoline_kernelINS0_13select_configILj256ELj13ELNS0_17block_load_methodE3ELS4_3ELS4_3ELNS0_20block_scan_algorithmE0ELj4294967295EEENS1_25partition_config_selectorILNS1_17partition_subalgoE3EjNS0_10empty_typeEbEEZZNS1_14partition_implILS8_3ELb0ES6_jNS0_17counting_iteratorIjlEEPS9_SE_NS0_5tupleIJPjSE_EEENSF_IJSE_SE_EEES9_SG_JZNS1_25segmented_radix_sort_implINS0_14default_configELb0EPKfPfPKlPlN2at6native12_GLOBAL__N_18offset_tEEE10hipError_tPvRmT1_PNSt15iterator_traitsISY_E10value_typeET2_T3_PNSZ_IS14_E10value_typeET4_jRbjT5_S1A_jjP12ihipStream_tbEUljE_EEESV_SW_SX_S14_S18_S1A_T6_T7_T9_mT8_S1C_bDpT10_ENKUlT_T0_E_clISt17integral_constantIbLb1EES1P_EEDaS1K_S1L_EUlS1K_E_NS1_11comp_targetILNS1_3genE10ELNS1_11target_archE1200ELNS1_3gpuE4ELNS1_3repE0EEENS1_30default_config_static_selectorELNS0_4arch9wavefront6targetE1EEEvSY_
	.p2align	8
	.type	_ZN7rocprim17ROCPRIM_400000_NS6detail17trampoline_kernelINS0_13select_configILj256ELj13ELNS0_17block_load_methodE3ELS4_3ELS4_3ELNS0_20block_scan_algorithmE0ELj4294967295EEENS1_25partition_config_selectorILNS1_17partition_subalgoE3EjNS0_10empty_typeEbEEZZNS1_14partition_implILS8_3ELb0ES6_jNS0_17counting_iteratorIjlEEPS9_SE_NS0_5tupleIJPjSE_EEENSF_IJSE_SE_EEES9_SG_JZNS1_25segmented_radix_sort_implINS0_14default_configELb0EPKfPfPKlPlN2at6native12_GLOBAL__N_18offset_tEEE10hipError_tPvRmT1_PNSt15iterator_traitsISY_E10value_typeET2_T3_PNSZ_IS14_E10value_typeET4_jRbjT5_S1A_jjP12ihipStream_tbEUljE_EEESV_SW_SX_S14_S18_S1A_T6_T7_T9_mT8_S1C_bDpT10_ENKUlT_T0_E_clISt17integral_constantIbLb1EES1P_EEDaS1K_S1L_EUlS1K_E_NS1_11comp_targetILNS1_3genE10ELNS1_11target_archE1200ELNS1_3gpuE4ELNS1_3repE0EEENS1_30default_config_static_selectorELNS0_4arch9wavefront6targetE1EEEvSY_,@function
_ZN7rocprim17ROCPRIM_400000_NS6detail17trampoline_kernelINS0_13select_configILj256ELj13ELNS0_17block_load_methodE3ELS4_3ELS4_3ELNS0_20block_scan_algorithmE0ELj4294967295EEENS1_25partition_config_selectorILNS1_17partition_subalgoE3EjNS0_10empty_typeEbEEZZNS1_14partition_implILS8_3ELb0ES6_jNS0_17counting_iteratorIjlEEPS9_SE_NS0_5tupleIJPjSE_EEENSF_IJSE_SE_EEES9_SG_JZNS1_25segmented_radix_sort_implINS0_14default_configELb0EPKfPfPKlPlN2at6native12_GLOBAL__N_18offset_tEEE10hipError_tPvRmT1_PNSt15iterator_traitsISY_E10value_typeET2_T3_PNSZ_IS14_E10value_typeET4_jRbjT5_S1A_jjP12ihipStream_tbEUljE_EEESV_SW_SX_S14_S18_S1A_T6_T7_T9_mT8_S1C_bDpT10_ENKUlT_T0_E_clISt17integral_constantIbLb1EES1P_EEDaS1K_S1L_EUlS1K_E_NS1_11comp_targetILNS1_3genE10ELNS1_11target_archE1200ELNS1_3gpuE4ELNS1_3repE0EEENS1_30default_config_static_selectorELNS0_4arch9wavefront6targetE1EEEvSY_: ; @_ZN7rocprim17ROCPRIM_400000_NS6detail17trampoline_kernelINS0_13select_configILj256ELj13ELNS0_17block_load_methodE3ELS4_3ELS4_3ELNS0_20block_scan_algorithmE0ELj4294967295EEENS1_25partition_config_selectorILNS1_17partition_subalgoE3EjNS0_10empty_typeEbEEZZNS1_14partition_implILS8_3ELb0ES6_jNS0_17counting_iteratorIjlEEPS9_SE_NS0_5tupleIJPjSE_EEENSF_IJSE_SE_EEES9_SG_JZNS1_25segmented_radix_sort_implINS0_14default_configELb0EPKfPfPKlPlN2at6native12_GLOBAL__N_18offset_tEEE10hipError_tPvRmT1_PNSt15iterator_traitsISY_E10value_typeET2_T3_PNSZ_IS14_E10value_typeET4_jRbjT5_S1A_jjP12ihipStream_tbEUljE_EEESV_SW_SX_S14_S18_S1A_T6_T7_T9_mT8_S1C_bDpT10_ENKUlT_T0_E_clISt17integral_constantIbLb1EES1P_EEDaS1K_S1L_EUlS1K_E_NS1_11comp_targetILNS1_3genE10ELNS1_11target_archE1200ELNS1_3gpuE4ELNS1_3repE0EEENS1_30default_config_static_selectorELNS0_4arch9wavefront6targetE1EEEvSY_
; %bb.0:
	.section	.rodata,"a",@progbits
	.p2align	6, 0x0
	.amdhsa_kernel _ZN7rocprim17ROCPRIM_400000_NS6detail17trampoline_kernelINS0_13select_configILj256ELj13ELNS0_17block_load_methodE3ELS4_3ELS4_3ELNS0_20block_scan_algorithmE0ELj4294967295EEENS1_25partition_config_selectorILNS1_17partition_subalgoE3EjNS0_10empty_typeEbEEZZNS1_14partition_implILS8_3ELb0ES6_jNS0_17counting_iteratorIjlEEPS9_SE_NS0_5tupleIJPjSE_EEENSF_IJSE_SE_EEES9_SG_JZNS1_25segmented_radix_sort_implINS0_14default_configELb0EPKfPfPKlPlN2at6native12_GLOBAL__N_18offset_tEEE10hipError_tPvRmT1_PNSt15iterator_traitsISY_E10value_typeET2_T3_PNSZ_IS14_E10value_typeET4_jRbjT5_S1A_jjP12ihipStream_tbEUljE_EEESV_SW_SX_S14_S18_S1A_T6_T7_T9_mT8_S1C_bDpT10_ENKUlT_T0_E_clISt17integral_constantIbLb1EES1P_EEDaS1K_S1L_EUlS1K_E_NS1_11comp_targetILNS1_3genE10ELNS1_11target_archE1200ELNS1_3gpuE4ELNS1_3repE0EEENS1_30default_config_static_selectorELNS0_4arch9wavefront6targetE1EEEvSY_
		.amdhsa_group_segment_fixed_size 0
		.amdhsa_private_segment_fixed_size 0
		.amdhsa_kernarg_size 152
		.amdhsa_user_sgpr_count 6
		.amdhsa_user_sgpr_private_segment_buffer 1
		.amdhsa_user_sgpr_dispatch_ptr 0
		.amdhsa_user_sgpr_queue_ptr 0
		.amdhsa_user_sgpr_kernarg_segment_ptr 1
		.amdhsa_user_sgpr_dispatch_id 0
		.amdhsa_user_sgpr_flat_scratch_init 0
		.amdhsa_user_sgpr_private_segment_size 0
		.amdhsa_uses_dynamic_stack 0
		.amdhsa_system_sgpr_private_segment_wavefront_offset 0
		.amdhsa_system_sgpr_workgroup_id_x 1
		.amdhsa_system_sgpr_workgroup_id_y 0
		.amdhsa_system_sgpr_workgroup_id_z 0
		.amdhsa_system_sgpr_workgroup_info 0
		.amdhsa_system_vgpr_workitem_id 0
		.amdhsa_next_free_vgpr 1
		.amdhsa_next_free_sgpr 0
		.amdhsa_reserve_vcc 0
		.amdhsa_reserve_flat_scratch 0
		.amdhsa_float_round_mode_32 0
		.amdhsa_float_round_mode_16_64 0
		.amdhsa_float_denorm_mode_32 3
		.amdhsa_float_denorm_mode_16_64 3
		.amdhsa_dx10_clamp 1
		.amdhsa_ieee_mode 1
		.amdhsa_fp16_overflow 0
		.amdhsa_exception_fp_ieee_invalid_op 0
		.amdhsa_exception_fp_denorm_src 0
		.amdhsa_exception_fp_ieee_div_zero 0
		.amdhsa_exception_fp_ieee_overflow 0
		.amdhsa_exception_fp_ieee_underflow 0
		.amdhsa_exception_fp_ieee_inexact 0
		.amdhsa_exception_int_div_zero 0
	.end_amdhsa_kernel
	.section	.text._ZN7rocprim17ROCPRIM_400000_NS6detail17trampoline_kernelINS0_13select_configILj256ELj13ELNS0_17block_load_methodE3ELS4_3ELS4_3ELNS0_20block_scan_algorithmE0ELj4294967295EEENS1_25partition_config_selectorILNS1_17partition_subalgoE3EjNS0_10empty_typeEbEEZZNS1_14partition_implILS8_3ELb0ES6_jNS0_17counting_iteratorIjlEEPS9_SE_NS0_5tupleIJPjSE_EEENSF_IJSE_SE_EEES9_SG_JZNS1_25segmented_radix_sort_implINS0_14default_configELb0EPKfPfPKlPlN2at6native12_GLOBAL__N_18offset_tEEE10hipError_tPvRmT1_PNSt15iterator_traitsISY_E10value_typeET2_T3_PNSZ_IS14_E10value_typeET4_jRbjT5_S1A_jjP12ihipStream_tbEUljE_EEESV_SW_SX_S14_S18_S1A_T6_T7_T9_mT8_S1C_bDpT10_ENKUlT_T0_E_clISt17integral_constantIbLb1EES1P_EEDaS1K_S1L_EUlS1K_E_NS1_11comp_targetILNS1_3genE10ELNS1_11target_archE1200ELNS1_3gpuE4ELNS1_3repE0EEENS1_30default_config_static_selectorELNS0_4arch9wavefront6targetE1EEEvSY_,"axG",@progbits,_ZN7rocprim17ROCPRIM_400000_NS6detail17trampoline_kernelINS0_13select_configILj256ELj13ELNS0_17block_load_methodE3ELS4_3ELS4_3ELNS0_20block_scan_algorithmE0ELj4294967295EEENS1_25partition_config_selectorILNS1_17partition_subalgoE3EjNS0_10empty_typeEbEEZZNS1_14partition_implILS8_3ELb0ES6_jNS0_17counting_iteratorIjlEEPS9_SE_NS0_5tupleIJPjSE_EEENSF_IJSE_SE_EEES9_SG_JZNS1_25segmented_radix_sort_implINS0_14default_configELb0EPKfPfPKlPlN2at6native12_GLOBAL__N_18offset_tEEE10hipError_tPvRmT1_PNSt15iterator_traitsISY_E10value_typeET2_T3_PNSZ_IS14_E10value_typeET4_jRbjT5_S1A_jjP12ihipStream_tbEUljE_EEESV_SW_SX_S14_S18_S1A_T6_T7_T9_mT8_S1C_bDpT10_ENKUlT_T0_E_clISt17integral_constantIbLb1EES1P_EEDaS1K_S1L_EUlS1K_E_NS1_11comp_targetILNS1_3genE10ELNS1_11target_archE1200ELNS1_3gpuE4ELNS1_3repE0EEENS1_30default_config_static_selectorELNS0_4arch9wavefront6targetE1EEEvSY_,comdat
.Lfunc_end1409:
	.size	_ZN7rocprim17ROCPRIM_400000_NS6detail17trampoline_kernelINS0_13select_configILj256ELj13ELNS0_17block_load_methodE3ELS4_3ELS4_3ELNS0_20block_scan_algorithmE0ELj4294967295EEENS1_25partition_config_selectorILNS1_17partition_subalgoE3EjNS0_10empty_typeEbEEZZNS1_14partition_implILS8_3ELb0ES6_jNS0_17counting_iteratorIjlEEPS9_SE_NS0_5tupleIJPjSE_EEENSF_IJSE_SE_EEES9_SG_JZNS1_25segmented_radix_sort_implINS0_14default_configELb0EPKfPfPKlPlN2at6native12_GLOBAL__N_18offset_tEEE10hipError_tPvRmT1_PNSt15iterator_traitsISY_E10value_typeET2_T3_PNSZ_IS14_E10value_typeET4_jRbjT5_S1A_jjP12ihipStream_tbEUljE_EEESV_SW_SX_S14_S18_S1A_T6_T7_T9_mT8_S1C_bDpT10_ENKUlT_T0_E_clISt17integral_constantIbLb1EES1P_EEDaS1K_S1L_EUlS1K_E_NS1_11comp_targetILNS1_3genE10ELNS1_11target_archE1200ELNS1_3gpuE4ELNS1_3repE0EEENS1_30default_config_static_selectorELNS0_4arch9wavefront6targetE1EEEvSY_, .Lfunc_end1409-_ZN7rocprim17ROCPRIM_400000_NS6detail17trampoline_kernelINS0_13select_configILj256ELj13ELNS0_17block_load_methodE3ELS4_3ELS4_3ELNS0_20block_scan_algorithmE0ELj4294967295EEENS1_25partition_config_selectorILNS1_17partition_subalgoE3EjNS0_10empty_typeEbEEZZNS1_14partition_implILS8_3ELb0ES6_jNS0_17counting_iteratorIjlEEPS9_SE_NS0_5tupleIJPjSE_EEENSF_IJSE_SE_EEES9_SG_JZNS1_25segmented_radix_sort_implINS0_14default_configELb0EPKfPfPKlPlN2at6native12_GLOBAL__N_18offset_tEEE10hipError_tPvRmT1_PNSt15iterator_traitsISY_E10value_typeET2_T3_PNSZ_IS14_E10value_typeET4_jRbjT5_S1A_jjP12ihipStream_tbEUljE_EEESV_SW_SX_S14_S18_S1A_T6_T7_T9_mT8_S1C_bDpT10_ENKUlT_T0_E_clISt17integral_constantIbLb1EES1P_EEDaS1K_S1L_EUlS1K_E_NS1_11comp_targetILNS1_3genE10ELNS1_11target_archE1200ELNS1_3gpuE4ELNS1_3repE0EEENS1_30default_config_static_selectorELNS0_4arch9wavefront6targetE1EEEvSY_
                                        ; -- End function
	.set _ZN7rocprim17ROCPRIM_400000_NS6detail17trampoline_kernelINS0_13select_configILj256ELj13ELNS0_17block_load_methodE3ELS4_3ELS4_3ELNS0_20block_scan_algorithmE0ELj4294967295EEENS1_25partition_config_selectorILNS1_17partition_subalgoE3EjNS0_10empty_typeEbEEZZNS1_14partition_implILS8_3ELb0ES6_jNS0_17counting_iteratorIjlEEPS9_SE_NS0_5tupleIJPjSE_EEENSF_IJSE_SE_EEES9_SG_JZNS1_25segmented_radix_sort_implINS0_14default_configELb0EPKfPfPKlPlN2at6native12_GLOBAL__N_18offset_tEEE10hipError_tPvRmT1_PNSt15iterator_traitsISY_E10value_typeET2_T3_PNSZ_IS14_E10value_typeET4_jRbjT5_S1A_jjP12ihipStream_tbEUljE_EEESV_SW_SX_S14_S18_S1A_T6_T7_T9_mT8_S1C_bDpT10_ENKUlT_T0_E_clISt17integral_constantIbLb1EES1P_EEDaS1K_S1L_EUlS1K_E_NS1_11comp_targetILNS1_3genE10ELNS1_11target_archE1200ELNS1_3gpuE4ELNS1_3repE0EEENS1_30default_config_static_selectorELNS0_4arch9wavefront6targetE1EEEvSY_.num_vgpr, 0
	.set _ZN7rocprim17ROCPRIM_400000_NS6detail17trampoline_kernelINS0_13select_configILj256ELj13ELNS0_17block_load_methodE3ELS4_3ELS4_3ELNS0_20block_scan_algorithmE0ELj4294967295EEENS1_25partition_config_selectorILNS1_17partition_subalgoE3EjNS0_10empty_typeEbEEZZNS1_14partition_implILS8_3ELb0ES6_jNS0_17counting_iteratorIjlEEPS9_SE_NS0_5tupleIJPjSE_EEENSF_IJSE_SE_EEES9_SG_JZNS1_25segmented_radix_sort_implINS0_14default_configELb0EPKfPfPKlPlN2at6native12_GLOBAL__N_18offset_tEEE10hipError_tPvRmT1_PNSt15iterator_traitsISY_E10value_typeET2_T3_PNSZ_IS14_E10value_typeET4_jRbjT5_S1A_jjP12ihipStream_tbEUljE_EEESV_SW_SX_S14_S18_S1A_T6_T7_T9_mT8_S1C_bDpT10_ENKUlT_T0_E_clISt17integral_constantIbLb1EES1P_EEDaS1K_S1L_EUlS1K_E_NS1_11comp_targetILNS1_3genE10ELNS1_11target_archE1200ELNS1_3gpuE4ELNS1_3repE0EEENS1_30default_config_static_selectorELNS0_4arch9wavefront6targetE1EEEvSY_.num_agpr, 0
	.set _ZN7rocprim17ROCPRIM_400000_NS6detail17trampoline_kernelINS0_13select_configILj256ELj13ELNS0_17block_load_methodE3ELS4_3ELS4_3ELNS0_20block_scan_algorithmE0ELj4294967295EEENS1_25partition_config_selectorILNS1_17partition_subalgoE3EjNS0_10empty_typeEbEEZZNS1_14partition_implILS8_3ELb0ES6_jNS0_17counting_iteratorIjlEEPS9_SE_NS0_5tupleIJPjSE_EEENSF_IJSE_SE_EEES9_SG_JZNS1_25segmented_radix_sort_implINS0_14default_configELb0EPKfPfPKlPlN2at6native12_GLOBAL__N_18offset_tEEE10hipError_tPvRmT1_PNSt15iterator_traitsISY_E10value_typeET2_T3_PNSZ_IS14_E10value_typeET4_jRbjT5_S1A_jjP12ihipStream_tbEUljE_EEESV_SW_SX_S14_S18_S1A_T6_T7_T9_mT8_S1C_bDpT10_ENKUlT_T0_E_clISt17integral_constantIbLb1EES1P_EEDaS1K_S1L_EUlS1K_E_NS1_11comp_targetILNS1_3genE10ELNS1_11target_archE1200ELNS1_3gpuE4ELNS1_3repE0EEENS1_30default_config_static_selectorELNS0_4arch9wavefront6targetE1EEEvSY_.numbered_sgpr, 0
	.set _ZN7rocprim17ROCPRIM_400000_NS6detail17trampoline_kernelINS0_13select_configILj256ELj13ELNS0_17block_load_methodE3ELS4_3ELS4_3ELNS0_20block_scan_algorithmE0ELj4294967295EEENS1_25partition_config_selectorILNS1_17partition_subalgoE3EjNS0_10empty_typeEbEEZZNS1_14partition_implILS8_3ELb0ES6_jNS0_17counting_iteratorIjlEEPS9_SE_NS0_5tupleIJPjSE_EEENSF_IJSE_SE_EEES9_SG_JZNS1_25segmented_radix_sort_implINS0_14default_configELb0EPKfPfPKlPlN2at6native12_GLOBAL__N_18offset_tEEE10hipError_tPvRmT1_PNSt15iterator_traitsISY_E10value_typeET2_T3_PNSZ_IS14_E10value_typeET4_jRbjT5_S1A_jjP12ihipStream_tbEUljE_EEESV_SW_SX_S14_S18_S1A_T6_T7_T9_mT8_S1C_bDpT10_ENKUlT_T0_E_clISt17integral_constantIbLb1EES1P_EEDaS1K_S1L_EUlS1K_E_NS1_11comp_targetILNS1_3genE10ELNS1_11target_archE1200ELNS1_3gpuE4ELNS1_3repE0EEENS1_30default_config_static_selectorELNS0_4arch9wavefront6targetE1EEEvSY_.num_named_barrier, 0
	.set _ZN7rocprim17ROCPRIM_400000_NS6detail17trampoline_kernelINS0_13select_configILj256ELj13ELNS0_17block_load_methodE3ELS4_3ELS4_3ELNS0_20block_scan_algorithmE0ELj4294967295EEENS1_25partition_config_selectorILNS1_17partition_subalgoE3EjNS0_10empty_typeEbEEZZNS1_14partition_implILS8_3ELb0ES6_jNS0_17counting_iteratorIjlEEPS9_SE_NS0_5tupleIJPjSE_EEENSF_IJSE_SE_EEES9_SG_JZNS1_25segmented_radix_sort_implINS0_14default_configELb0EPKfPfPKlPlN2at6native12_GLOBAL__N_18offset_tEEE10hipError_tPvRmT1_PNSt15iterator_traitsISY_E10value_typeET2_T3_PNSZ_IS14_E10value_typeET4_jRbjT5_S1A_jjP12ihipStream_tbEUljE_EEESV_SW_SX_S14_S18_S1A_T6_T7_T9_mT8_S1C_bDpT10_ENKUlT_T0_E_clISt17integral_constantIbLb1EES1P_EEDaS1K_S1L_EUlS1K_E_NS1_11comp_targetILNS1_3genE10ELNS1_11target_archE1200ELNS1_3gpuE4ELNS1_3repE0EEENS1_30default_config_static_selectorELNS0_4arch9wavefront6targetE1EEEvSY_.private_seg_size, 0
	.set _ZN7rocprim17ROCPRIM_400000_NS6detail17trampoline_kernelINS0_13select_configILj256ELj13ELNS0_17block_load_methodE3ELS4_3ELS4_3ELNS0_20block_scan_algorithmE0ELj4294967295EEENS1_25partition_config_selectorILNS1_17partition_subalgoE3EjNS0_10empty_typeEbEEZZNS1_14partition_implILS8_3ELb0ES6_jNS0_17counting_iteratorIjlEEPS9_SE_NS0_5tupleIJPjSE_EEENSF_IJSE_SE_EEES9_SG_JZNS1_25segmented_radix_sort_implINS0_14default_configELb0EPKfPfPKlPlN2at6native12_GLOBAL__N_18offset_tEEE10hipError_tPvRmT1_PNSt15iterator_traitsISY_E10value_typeET2_T3_PNSZ_IS14_E10value_typeET4_jRbjT5_S1A_jjP12ihipStream_tbEUljE_EEESV_SW_SX_S14_S18_S1A_T6_T7_T9_mT8_S1C_bDpT10_ENKUlT_T0_E_clISt17integral_constantIbLb1EES1P_EEDaS1K_S1L_EUlS1K_E_NS1_11comp_targetILNS1_3genE10ELNS1_11target_archE1200ELNS1_3gpuE4ELNS1_3repE0EEENS1_30default_config_static_selectorELNS0_4arch9wavefront6targetE1EEEvSY_.uses_vcc, 0
	.set _ZN7rocprim17ROCPRIM_400000_NS6detail17trampoline_kernelINS0_13select_configILj256ELj13ELNS0_17block_load_methodE3ELS4_3ELS4_3ELNS0_20block_scan_algorithmE0ELj4294967295EEENS1_25partition_config_selectorILNS1_17partition_subalgoE3EjNS0_10empty_typeEbEEZZNS1_14partition_implILS8_3ELb0ES6_jNS0_17counting_iteratorIjlEEPS9_SE_NS0_5tupleIJPjSE_EEENSF_IJSE_SE_EEES9_SG_JZNS1_25segmented_radix_sort_implINS0_14default_configELb0EPKfPfPKlPlN2at6native12_GLOBAL__N_18offset_tEEE10hipError_tPvRmT1_PNSt15iterator_traitsISY_E10value_typeET2_T3_PNSZ_IS14_E10value_typeET4_jRbjT5_S1A_jjP12ihipStream_tbEUljE_EEESV_SW_SX_S14_S18_S1A_T6_T7_T9_mT8_S1C_bDpT10_ENKUlT_T0_E_clISt17integral_constantIbLb1EES1P_EEDaS1K_S1L_EUlS1K_E_NS1_11comp_targetILNS1_3genE10ELNS1_11target_archE1200ELNS1_3gpuE4ELNS1_3repE0EEENS1_30default_config_static_selectorELNS0_4arch9wavefront6targetE1EEEvSY_.uses_flat_scratch, 0
	.set _ZN7rocprim17ROCPRIM_400000_NS6detail17trampoline_kernelINS0_13select_configILj256ELj13ELNS0_17block_load_methodE3ELS4_3ELS4_3ELNS0_20block_scan_algorithmE0ELj4294967295EEENS1_25partition_config_selectorILNS1_17partition_subalgoE3EjNS0_10empty_typeEbEEZZNS1_14partition_implILS8_3ELb0ES6_jNS0_17counting_iteratorIjlEEPS9_SE_NS0_5tupleIJPjSE_EEENSF_IJSE_SE_EEES9_SG_JZNS1_25segmented_radix_sort_implINS0_14default_configELb0EPKfPfPKlPlN2at6native12_GLOBAL__N_18offset_tEEE10hipError_tPvRmT1_PNSt15iterator_traitsISY_E10value_typeET2_T3_PNSZ_IS14_E10value_typeET4_jRbjT5_S1A_jjP12ihipStream_tbEUljE_EEESV_SW_SX_S14_S18_S1A_T6_T7_T9_mT8_S1C_bDpT10_ENKUlT_T0_E_clISt17integral_constantIbLb1EES1P_EEDaS1K_S1L_EUlS1K_E_NS1_11comp_targetILNS1_3genE10ELNS1_11target_archE1200ELNS1_3gpuE4ELNS1_3repE0EEENS1_30default_config_static_selectorELNS0_4arch9wavefront6targetE1EEEvSY_.has_dyn_sized_stack, 0
	.set _ZN7rocprim17ROCPRIM_400000_NS6detail17trampoline_kernelINS0_13select_configILj256ELj13ELNS0_17block_load_methodE3ELS4_3ELS4_3ELNS0_20block_scan_algorithmE0ELj4294967295EEENS1_25partition_config_selectorILNS1_17partition_subalgoE3EjNS0_10empty_typeEbEEZZNS1_14partition_implILS8_3ELb0ES6_jNS0_17counting_iteratorIjlEEPS9_SE_NS0_5tupleIJPjSE_EEENSF_IJSE_SE_EEES9_SG_JZNS1_25segmented_radix_sort_implINS0_14default_configELb0EPKfPfPKlPlN2at6native12_GLOBAL__N_18offset_tEEE10hipError_tPvRmT1_PNSt15iterator_traitsISY_E10value_typeET2_T3_PNSZ_IS14_E10value_typeET4_jRbjT5_S1A_jjP12ihipStream_tbEUljE_EEESV_SW_SX_S14_S18_S1A_T6_T7_T9_mT8_S1C_bDpT10_ENKUlT_T0_E_clISt17integral_constantIbLb1EES1P_EEDaS1K_S1L_EUlS1K_E_NS1_11comp_targetILNS1_3genE10ELNS1_11target_archE1200ELNS1_3gpuE4ELNS1_3repE0EEENS1_30default_config_static_selectorELNS0_4arch9wavefront6targetE1EEEvSY_.has_recursion, 0
	.set _ZN7rocprim17ROCPRIM_400000_NS6detail17trampoline_kernelINS0_13select_configILj256ELj13ELNS0_17block_load_methodE3ELS4_3ELS4_3ELNS0_20block_scan_algorithmE0ELj4294967295EEENS1_25partition_config_selectorILNS1_17partition_subalgoE3EjNS0_10empty_typeEbEEZZNS1_14partition_implILS8_3ELb0ES6_jNS0_17counting_iteratorIjlEEPS9_SE_NS0_5tupleIJPjSE_EEENSF_IJSE_SE_EEES9_SG_JZNS1_25segmented_radix_sort_implINS0_14default_configELb0EPKfPfPKlPlN2at6native12_GLOBAL__N_18offset_tEEE10hipError_tPvRmT1_PNSt15iterator_traitsISY_E10value_typeET2_T3_PNSZ_IS14_E10value_typeET4_jRbjT5_S1A_jjP12ihipStream_tbEUljE_EEESV_SW_SX_S14_S18_S1A_T6_T7_T9_mT8_S1C_bDpT10_ENKUlT_T0_E_clISt17integral_constantIbLb1EES1P_EEDaS1K_S1L_EUlS1K_E_NS1_11comp_targetILNS1_3genE10ELNS1_11target_archE1200ELNS1_3gpuE4ELNS1_3repE0EEENS1_30default_config_static_selectorELNS0_4arch9wavefront6targetE1EEEvSY_.has_indirect_call, 0
	.section	.AMDGPU.csdata,"",@progbits
; Kernel info:
; codeLenInByte = 0
; TotalNumSgprs: 4
; NumVgprs: 0
; ScratchSize: 0
; MemoryBound: 0
; FloatMode: 240
; IeeeMode: 1
; LDSByteSize: 0 bytes/workgroup (compile time only)
; SGPRBlocks: 0
; VGPRBlocks: 0
; NumSGPRsForWavesPerEU: 4
; NumVGPRsForWavesPerEU: 1
; Occupancy: 10
; WaveLimiterHint : 0
; COMPUTE_PGM_RSRC2:SCRATCH_EN: 0
; COMPUTE_PGM_RSRC2:USER_SGPR: 6
; COMPUTE_PGM_RSRC2:TRAP_HANDLER: 0
; COMPUTE_PGM_RSRC2:TGID_X_EN: 1
; COMPUTE_PGM_RSRC2:TGID_Y_EN: 0
; COMPUTE_PGM_RSRC2:TGID_Z_EN: 0
; COMPUTE_PGM_RSRC2:TIDIG_COMP_CNT: 0
	.section	.text._ZN7rocprim17ROCPRIM_400000_NS6detail17trampoline_kernelINS0_13select_configILj256ELj13ELNS0_17block_load_methodE3ELS4_3ELS4_3ELNS0_20block_scan_algorithmE0ELj4294967295EEENS1_25partition_config_selectorILNS1_17partition_subalgoE3EjNS0_10empty_typeEbEEZZNS1_14partition_implILS8_3ELb0ES6_jNS0_17counting_iteratorIjlEEPS9_SE_NS0_5tupleIJPjSE_EEENSF_IJSE_SE_EEES9_SG_JZNS1_25segmented_radix_sort_implINS0_14default_configELb0EPKfPfPKlPlN2at6native12_GLOBAL__N_18offset_tEEE10hipError_tPvRmT1_PNSt15iterator_traitsISY_E10value_typeET2_T3_PNSZ_IS14_E10value_typeET4_jRbjT5_S1A_jjP12ihipStream_tbEUljE_EEESV_SW_SX_S14_S18_S1A_T6_T7_T9_mT8_S1C_bDpT10_ENKUlT_T0_E_clISt17integral_constantIbLb1EES1P_EEDaS1K_S1L_EUlS1K_E_NS1_11comp_targetILNS1_3genE9ELNS1_11target_archE1100ELNS1_3gpuE3ELNS1_3repE0EEENS1_30default_config_static_selectorELNS0_4arch9wavefront6targetE1EEEvSY_,"axG",@progbits,_ZN7rocprim17ROCPRIM_400000_NS6detail17trampoline_kernelINS0_13select_configILj256ELj13ELNS0_17block_load_methodE3ELS4_3ELS4_3ELNS0_20block_scan_algorithmE0ELj4294967295EEENS1_25partition_config_selectorILNS1_17partition_subalgoE3EjNS0_10empty_typeEbEEZZNS1_14partition_implILS8_3ELb0ES6_jNS0_17counting_iteratorIjlEEPS9_SE_NS0_5tupleIJPjSE_EEENSF_IJSE_SE_EEES9_SG_JZNS1_25segmented_radix_sort_implINS0_14default_configELb0EPKfPfPKlPlN2at6native12_GLOBAL__N_18offset_tEEE10hipError_tPvRmT1_PNSt15iterator_traitsISY_E10value_typeET2_T3_PNSZ_IS14_E10value_typeET4_jRbjT5_S1A_jjP12ihipStream_tbEUljE_EEESV_SW_SX_S14_S18_S1A_T6_T7_T9_mT8_S1C_bDpT10_ENKUlT_T0_E_clISt17integral_constantIbLb1EES1P_EEDaS1K_S1L_EUlS1K_E_NS1_11comp_targetILNS1_3genE9ELNS1_11target_archE1100ELNS1_3gpuE3ELNS1_3repE0EEENS1_30default_config_static_selectorELNS0_4arch9wavefront6targetE1EEEvSY_,comdat
	.globl	_ZN7rocprim17ROCPRIM_400000_NS6detail17trampoline_kernelINS0_13select_configILj256ELj13ELNS0_17block_load_methodE3ELS4_3ELS4_3ELNS0_20block_scan_algorithmE0ELj4294967295EEENS1_25partition_config_selectorILNS1_17partition_subalgoE3EjNS0_10empty_typeEbEEZZNS1_14partition_implILS8_3ELb0ES6_jNS0_17counting_iteratorIjlEEPS9_SE_NS0_5tupleIJPjSE_EEENSF_IJSE_SE_EEES9_SG_JZNS1_25segmented_radix_sort_implINS0_14default_configELb0EPKfPfPKlPlN2at6native12_GLOBAL__N_18offset_tEEE10hipError_tPvRmT1_PNSt15iterator_traitsISY_E10value_typeET2_T3_PNSZ_IS14_E10value_typeET4_jRbjT5_S1A_jjP12ihipStream_tbEUljE_EEESV_SW_SX_S14_S18_S1A_T6_T7_T9_mT8_S1C_bDpT10_ENKUlT_T0_E_clISt17integral_constantIbLb1EES1P_EEDaS1K_S1L_EUlS1K_E_NS1_11comp_targetILNS1_3genE9ELNS1_11target_archE1100ELNS1_3gpuE3ELNS1_3repE0EEENS1_30default_config_static_selectorELNS0_4arch9wavefront6targetE1EEEvSY_ ; -- Begin function _ZN7rocprim17ROCPRIM_400000_NS6detail17trampoline_kernelINS0_13select_configILj256ELj13ELNS0_17block_load_methodE3ELS4_3ELS4_3ELNS0_20block_scan_algorithmE0ELj4294967295EEENS1_25partition_config_selectorILNS1_17partition_subalgoE3EjNS0_10empty_typeEbEEZZNS1_14partition_implILS8_3ELb0ES6_jNS0_17counting_iteratorIjlEEPS9_SE_NS0_5tupleIJPjSE_EEENSF_IJSE_SE_EEES9_SG_JZNS1_25segmented_radix_sort_implINS0_14default_configELb0EPKfPfPKlPlN2at6native12_GLOBAL__N_18offset_tEEE10hipError_tPvRmT1_PNSt15iterator_traitsISY_E10value_typeET2_T3_PNSZ_IS14_E10value_typeET4_jRbjT5_S1A_jjP12ihipStream_tbEUljE_EEESV_SW_SX_S14_S18_S1A_T6_T7_T9_mT8_S1C_bDpT10_ENKUlT_T0_E_clISt17integral_constantIbLb1EES1P_EEDaS1K_S1L_EUlS1K_E_NS1_11comp_targetILNS1_3genE9ELNS1_11target_archE1100ELNS1_3gpuE3ELNS1_3repE0EEENS1_30default_config_static_selectorELNS0_4arch9wavefront6targetE1EEEvSY_
	.p2align	8
	.type	_ZN7rocprim17ROCPRIM_400000_NS6detail17trampoline_kernelINS0_13select_configILj256ELj13ELNS0_17block_load_methodE3ELS4_3ELS4_3ELNS0_20block_scan_algorithmE0ELj4294967295EEENS1_25partition_config_selectorILNS1_17partition_subalgoE3EjNS0_10empty_typeEbEEZZNS1_14partition_implILS8_3ELb0ES6_jNS0_17counting_iteratorIjlEEPS9_SE_NS0_5tupleIJPjSE_EEENSF_IJSE_SE_EEES9_SG_JZNS1_25segmented_radix_sort_implINS0_14default_configELb0EPKfPfPKlPlN2at6native12_GLOBAL__N_18offset_tEEE10hipError_tPvRmT1_PNSt15iterator_traitsISY_E10value_typeET2_T3_PNSZ_IS14_E10value_typeET4_jRbjT5_S1A_jjP12ihipStream_tbEUljE_EEESV_SW_SX_S14_S18_S1A_T6_T7_T9_mT8_S1C_bDpT10_ENKUlT_T0_E_clISt17integral_constantIbLb1EES1P_EEDaS1K_S1L_EUlS1K_E_NS1_11comp_targetILNS1_3genE9ELNS1_11target_archE1100ELNS1_3gpuE3ELNS1_3repE0EEENS1_30default_config_static_selectorELNS0_4arch9wavefront6targetE1EEEvSY_,@function
_ZN7rocprim17ROCPRIM_400000_NS6detail17trampoline_kernelINS0_13select_configILj256ELj13ELNS0_17block_load_methodE3ELS4_3ELS4_3ELNS0_20block_scan_algorithmE0ELj4294967295EEENS1_25partition_config_selectorILNS1_17partition_subalgoE3EjNS0_10empty_typeEbEEZZNS1_14partition_implILS8_3ELb0ES6_jNS0_17counting_iteratorIjlEEPS9_SE_NS0_5tupleIJPjSE_EEENSF_IJSE_SE_EEES9_SG_JZNS1_25segmented_radix_sort_implINS0_14default_configELb0EPKfPfPKlPlN2at6native12_GLOBAL__N_18offset_tEEE10hipError_tPvRmT1_PNSt15iterator_traitsISY_E10value_typeET2_T3_PNSZ_IS14_E10value_typeET4_jRbjT5_S1A_jjP12ihipStream_tbEUljE_EEESV_SW_SX_S14_S18_S1A_T6_T7_T9_mT8_S1C_bDpT10_ENKUlT_T0_E_clISt17integral_constantIbLb1EES1P_EEDaS1K_S1L_EUlS1K_E_NS1_11comp_targetILNS1_3genE9ELNS1_11target_archE1100ELNS1_3gpuE3ELNS1_3repE0EEENS1_30default_config_static_selectorELNS0_4arch9wavefront6targetE1EEEvSY_: ; @_ZN7rocprim17ROCPRIM_400000_NS6detail17trampoline_kernelINS0_13select_configILj256ELj13ELNS0_17block_load_methodE3ELS4_3ELS4_3ELNS0_20block_scan_algorithmE0ELj4294967295EEENS1_25partition_config_selectorILNS1_17partition_subalgoE3EjNS0_10empty_typeEbEEZZNS1_14partition_implILS8_3ELb0ES6_jNS0_17counting_iteratorIjlEEPS9_SE_NS0_5tupleIJPjSE_EEENSF_IJSE_SE_EEES9_SG_JZNS1_25segmented_radix_sort_implINS0_14default_configELb0EPKfPfPKlPlN2at6native12_GLOBAL__N_18offset_tEEE10hipError_tPvRmT1_PNSt15iterator_traitsISY_E10value_typeET2_T3_PNSZ_IS14_E10value_typeET4_jRbjT5_S1A_jjP12ihipStream_tbEUljE_EEESV_SW_SX_S14_S18_S1A_T6_T7_T9_mT8_S1C_bDpT10_ENKUlT_T0_E_clISt17integral_constantIbLb1EES1P_EEDaS1K_S1L_EUlS1K_E_NS1_11comp_targetILNS1_3genE9ELNS1_11target_archE1100ELNS1_3gpuE3ELNS1_3repE0EEENS1_30default_config_static_selectorELNS0_4arch9wavefront6targetE1EEEvSY_
; %bb.0:
	.section	.rodata,"a",@progbits
	.p2align	6, 0x0
	.amdhsa_kernel _ZN7rocprim17ROCPRIM_400000_NS6detail17trampoline_kernelINS0_13select_configILj256ELj13ELNS0_17block_load_methodE3ELS4_3ELS4_3ELNS0_20block_scan_algorithmE0ELj4294967295EEENS1_25partition_config_selectorILNS1_17partition_subalgoE3EjNS0_10empty_typeEbEEZZNS1_14partition_implILS8_3ELb0ES6_jNS0_17counting_iteratorIjlEEPS9_SE_NS0_5tupleIJPjSE_EEENSF_IJSE_SE_EEES9_SG_JZNS1_25segmented_radix_sort_implINS0_14default_configELb0EPKfPfPKlPlN2at6native12_GLOBAL__N_18offset_tEEE10hipError_tPvRmT1_PNSt15iterator_traitsISY_E10value_typeET2_T3_PNSZ_IS14_E10value_typeET4_jRbjT5_S1A_jjP12ihipStream_tbEUljE_EEESV_SW_SX_S14_S18_S1A_T6_T7_T9_mT8_S1C_bDpT10_ENKUlT_T0_E_clISt17integral_constantIbLb1EES1P_EEDaS1K_S1L_EUlS1K_E_NS1_11comp_targetILNS1_3genE9ELNS1_11target_archE1100ELNS1_3gpuE3ELNS1_3repE0EEENS1_30default_config_static_selectorELNS0_4arch9wavefront6targetE1EEEvSY_
		.amdhsa_group_segment_fixed_size 0
		.amdhsa_private_segment_fixed_size 0
		.amdhsa_kernarg_size 152
		.amdhsa_user_sgpr_count 6
		.amdhsa_user_sgpr_private_segment_buffer 1
		.amdhsa_user_sgpr_dispatch_ptr 0
		.amdhsa_user_sgpr_queue_ptr 0
		.amdhsa_user_sgpr_kernarg_segment_ptr 1
		.amdhsa_user_sgpr_dispatch_id 0
		.amdhsa_user_sgpr_flat_scratch_init 0
		.amdhsa_user_sgpr_private_segment_size 0
		.amdhsa_uses_dynamic_stack 0
		.amdhsa_system_sgpr_private_segment_wavefront_offset 0
		.amdhsa_system_sgpr_workgroup_id_x 1
		.amdhsa_system_sgpr_workgroup_id_y 0
		.amdhsa_system_sgpr_workgroup_id_z 0
		.amdhsa_system_sgpr_workgroup_info 0
		.amdhsa_system_vgpr_workitem_id 0
		.amdhsa_next_free_vgpr 1
		.amdhsa_next_free_sgpr 0
		.amdhsa_reserve_vcc 0
		.amdhsa_reserve_flat_scratch 0
		.amdhsa_float_round_mode_32 0
		.amdhsa_float_round_mode_16_64 0
		.amdhsa_float_denorm_mode_32 3
		.amdhsa_float_denorm_mode_16_64 3
		.amdhsa_dx10_clamp 1
		.amdhsa_ieee_mode 1
		.amdhsa_fp16_overflow 0
		.amdhsa_exception_fp_ieee_invalid_op 0
		.amdhsa_exception_fp_denorm_src 0
		.amdhsa_exception_fp_ieee_div_zero 0
		.amdhsa_exception_fp_ieee_overflow 0
		.amdhsa_exception_fp_ieee_underflow 0
		.amdhsa_exception_fp_ieee_inexact 0
		.amdhsa_exception_int_div_zero 0
	.end_amdhsa_kernel
	.section	.text._ZN7rocprim17ROCPRIM_400000_NS6detail17trampoline_kernelINS0_13select_configILj256ELj13ELNS0_17block_load_methodE3ELS4_3ELS4_3ELNS0_20block_scan_algorithmE0ELj4294967295EEENS1_25partition_config_selectorILNS1_17partition_subalgoE3EjNS0_10empty_typeEbEEZZNS1_14partition_implILS8_3ELb0ES6_jNS0_17counting_iteratorIjlEEPS9_SE_NS0_5tupleIJPjSE_EEENSF_IJSE_SE_EEES9_SG_JZNS1_25segmented_radix_sort_implINS0_14default_configELb0EPKfPfPKlPlN2at6native12_GLOBAL__N_18offset_tEEE10hipError_tPvRmT1_PNSt15iterator_traitsISY_E10value_typeET2_T3_PNSZ_IS14_E10value_typeET4_jRbjT5_S1A_jjP12ihipStream_tbEUljE_EEESV_SW_SX_S14_S18_S1A_T6_T7_T9_mT8_S1C_bDpT10_ENKUlT_T0_E_clISt17integral_constantIbLb1EES1P_EEDaS1K_S1L_EUlS1K_E_NS1_11comp_targetILNS1_3genE9ELNS1_11target_archE1100ELNS1_3gpuE3ELNS1_3repE0EEENS1_30default_config_static_selectorELNS0_4arch9wavefront6targetE1EEEvSY_,"axG",@progbits,_ZN7rocprim17ROCPRIM_400000_NS6detail17trampoline_kernelINS0_13select_configILj256ELj13ELNS0_17block_load_methodE3ELS4_3ELS4_3ELNS0_20block_scan_algorithmE0ELj4294967295EEENS1_25partition_config_selectorILNS1_17partition_subalgoE3EjNS0_10empty_typeEbEEZZNS1_14partition_implILS8_3ELb0ES6_jNS0_17counting_iteratorIjlEEPS9_SE_NS0_5tupleIJPjSE_EEENSF_IJSE_SE_EEES9_SG_JZNS1_25segmented_radix_sort_implINS0_14default_configELb0EPKfPfPKlPlN2at6native12_GLOBAL__N_18offset_tEEE10hipError_tPvRmT1_PNSt15iterator_traitsISY_E10value_typeET2_T3_PNSZ_IS14_E10value_typeET4_jRbjT5_S1A_jjP12ihipStream_tbEUljE_EEESV_SW_SX_S14_S18_S1A_T6_T7_T9_mT8_S1C_bDpT10_ENKUlT_T0_E_clISt17integral_constantIbLb1EES1P_EEDaS1K_S1L_EUlS1K_E_NS1_11comp_targetILNS1_3genE9ELNS1_11target_archE1100ELNS1_3gpuE3ELNS1_3repE0EEENS1_30default_config_static_selectorELNS0_4arch9wavefront6targetE1EEEvSY_,comdat
.Lfunc_end1410:
	.size	_ZN7rocprim17ROCPRIM_400000_NS6detail17trampoline_kernelINS0_13select_configILj256ELj13ELNS0_17block_load_methodE3ELS4_3ELS4_3ELNS0_20block_scan_algorithmE0ELj4294967295EEENS1_25partition_config_selectorILNS1_17partition_subalgoE3EjNS0_10empty_typeEbEEZZNS1_14partition_implILS8_3ELb0ES6_jNS0_17counting_iteratorIjlEEPS9_SE_NS0_5tupleIJPjSE_EEENSF_IJSE_SE_EEES9_SG_JZNS1_25segmented_radix_sort_implINS0_14default_configELb0EPKfPfPKlPlN2at6native12_GLOBAL__N_18offset_tEEE10hipError_tPvRmT1_PNSt15iterator_traitsISY_E10value_typeET2_T3_PNSZ_IS14_E10value_typeET4_jRbjT5_S1A_jjP12ihipStream_tbEUljE_EEESV_SW_SX_S14_S18_S1A_T6_T7_T9_mT8_S1C_bDpT10_ENKUlT_T0_E_clISt17integral_constantIbLb1EES1P_EEDaS1K_S1L_EUlS1K_E_NS1_11comp_targetILNS1_3genE9ELNS1_11target_archE1100ELNS1_3gpuE3ELNS1_3repE0EEENS1_30default_config_static_selectorELNS0_4arch9wavefront6targetE1EEEvSY_, .Lfunc_end1410-_ZN7rocprim17ROCPRIM_400000_NS6detail17trampoline_kernelINS0_13select_configILj256ELj13ELNS0_17block_load_methodE3ELS4_3ELS4_3ELNS0_20block_scan_algorithmE0ELj4294967295EEENS1_25partition_config_selectorILNS1_17partition_subalgoE3EjNS0_10empty_typeEbEEZZNS1_14partition_implILS8_3ELb0ES6_jNS0_17counting_iteratorIjlEEPS9_SE_NS0_5tupleIJPjSE_EEENSF_IJSE_SE_EEES9_SG_JZNS1_25segmented_radix_sort_implINS0_14default_configELb0EPKfPfPKlPlN2at6native12_GLOBAL__N_18offset_tEEE10hipError_tPvRmT1_PNSt15iterator_traitsISY_E10value_typeET2_T3_PNSZ_IS14_E10value_typeET4_jRbjT5_S1A_jjP12ihipStream_tbEUljE_EEESV_SW_SX_S14_S18_S1A_T6_T7_T9_mT8_S1C_bDpT10_ENKUlT_T0_E_clISt17integral_constantIbLb1EES1P_EEDaS1K_S1L_EUlS1K_E_NS1_11comp_targetILNS1_3genE9ELNS1_11target_archE1100ELNS1_3gpuE3ELNS1_3repE0EEENS1_30default_config_static_selectorELNS0_4arch9wavefront6targetE1EEEvSY_
                                        ; -- End function
	.set _ZN7rocprim17ROCPRIM_400000_NS6detail17trampoline_kernelINS0_13select_configILj256ELj13ELNS0_17block_load_methodE3ELS4_3ELS4_3ELNS0_20block_scan_algorithmE0ELj4294967295EEENS1_25partition_config_selectorILNS1_17partition_subalgoE3EjNS0_10empty_typeEbEEZZNS1_14partition_implILS8_3ELb0ES6_jNS0_17counting_iteratorIjlEEPS9_SE_NS0_5tupleIJPjSE_EEENSF_IJSE_SE_EEES9_SG_JZNS1_25segmented_radix_sort_implINS0_14default_configELb0EPKfPfPKlPlN2at6native12_GLOBAL__N_18offset_tEEE10hipError_tPvRmT1_PNSt15iterator_traitsISY_E10value_typeET2_T3_PNSZ_IS14_E10value_typeET4_jRbjT5_S1A_jjP12ihipStream_tbEUljE_EEESV_SW_SX_S14_S18_S1A_T6_T7_T9_mT8_S1C_bDpT10_ENKUlT_T0_E_clISt17integral_constantIbLb1EES1P_EEDaS1K_S1L_EUlS1K_E_NS1_11comp_targetILNS1_3genE9ELNS1_11target_archE1100ELNS1_3gpuE3ELNS1_3repE0EEENS1_30default_config_static_selectorELNS0_4arch9wavefront6targetE1EEEvSY_.num_vgpr, 0
	.set _ZN7rocprim17ROCPRIM_400000_NS6detail17trampoline_kernelINS0_13select_configILj256ELj13ELNS0_17block_load_methodE3ELS4_3ELS4_3ELNS0_20block_scan_algorithmE0ELj4294967295EEENS1_25partition_config_selectorILNS1_17partition_subalgoE3EjNS0_10empty_typeEbEEZZNS1_14partition_implILS8_3ELb0ES6_jNS0_17counting_iteratorIjlEEPS9_SE_NS0_5tupleIJPjSE_EEENSF_IJSE_SE_EEES9_SG_JZNS1_25segmented_radix_sort_implINS0_14default_configELb0EPKfPfPKlPlN2at6native12_GLOBAL__N_18offset_tEEE10hipError_tPvRmT1_PNSt15iterator_traitsISY_E10value_typeET2_T3_PNSZ_IS14_E10value_typeET4_jRbjT5_S1A_jjP12ihipStream_tbEUljE_EEESV_SW_SX_S14_S18_S1A_T6_T7_T9_mT8_S1C_bDpT10_ENKUlT_T0_E_clISt17integral_constantIbLb1EES1P_EEDaS1K_S1L_EUlS1K_E_NS1_11comp_targetILNS1_3genE9ELNS1_11target_archE1100ELNS1_3gpuE3ELNS1_3repE0EEENS1_30default_config_static_selectorELNS0_4arch9wavefront6targetE1EEEvSY_.num_agpr, 0
	.set _ZN7rocprim17ROCPRIM_400000_NS6detail17trampoline_kernelINS0_13select_configILj256ELj13ELNS0_17block_load_methodE3ELS4_3ELS4_3ELNS0_20block_scan_algorithmE0ELj4294967295EEENS1_25partition_config_selectorILNS1_17partition_subalgoE3EjNS0_10empty_typeEbEEZZNS1_14partition_implILS8_3ELb0ES6_jNS0_17counting_iteratorIjlEEPS9_SE_NS0_5tupleIJPjSE_EEENSF_IJSE_SE_EEES9_SG_JZNS1_25segmented_radix_sort_implINS0_14default_configELb0EPKfPfPKlPlN2at6native12_GLOBAL__N_18offset_tEEE10hipError_tPvRmT1_PNSt15iterator_traitsISY_E10value_typeET2_T3_PNSZ_IS14_E10value_typeET4_jRbjT5_S1A_jjP12ihipStream_tbEUljE_EEESV_SW_SX_S14_S18_S1A_T6_T7_T9_mT8_S1C_bDpT10_ENKUlT_T0_E_clISt17integral_constantIbLb1EES1P_EEDaS1K_S1L_EUlS1K_E_NS1_11comp_targetILNS1_3genE9ELNS1_11target_archE1100ELNS1_3gpuE3ELNS1_3repE0EEENS1_30default_config_static_selectorELNS0_4arch9wavefront6targetE1EEEvSY_.numbered_sgpr, 0
	.set _ZN7rocprim17ROCPRIM_400000_NS6detail17trampoline_kernelINS0_13select_configILj256ELj13ELNS0_17block_load_methodE3ELS4_3ELS4_3ELNS0_20block_scan_algorithmE0ELj4294967295EEENS1_25partition_config_selectorILNS1_17partition_subalgoE3EjNS0_10empty_typeEbEEZZNS1_14partition_implILS8_3ELb0ES6_jNS0_17counting_iteratorIjlEEPS9_SE_NS0_5tupleIJPjSE_EEENSF_IJSE_SE_EEES9_SG_JZNS1_25segmented_radix_sort_implINS0_14default_configELb0EPKfPfPKlPlN2at6native12_GLOBAL__N_18offset_tEEE10hipError_tPvRmT1_PNSt15iterator_traitsISY_E10value_typeET2_T3_PNSZ_IS14_E10value_typeET4_jRbjT5_S1A_jjP12ihipStream_tbEUljE_EEESV_SW_SX_S14_S18_S1A_T6_T7_T9_mT8_S1C_bDpT10_ENKUlT_T0_E_clISt17integral_constantIbLb1EES1P_EEDaS1K_S1L_EUlS1K_E_NS1_11comp_targetILNS1_3genE9ELNS1_11target_archE1100ELNS1_3gpuE3ELNS1_3repE0EEENS1_30default_config_static_selectorELNS0_4arch9wavefront6targetE1EEEvSY_.num_named_barrier, 0
	.set _ZN7rocprim17ROCPRIM_400000_NS6detail17trampoline_kernelINS0_13select_configILj256ELj13ELNS0_17block_load_methodE3ELS4_3ELS4_3ELNS0_20block_scan_algorithmE0ELj4294967295EEENS1_25partition_config_selectorILNS1_17partition_subalgoE3EjNS0_10empty_typeEbEEZZNS1_14partition_implILS8_3ELb0ES6_jNS0_17counting_iteratorIjlEEPS9_SE_NS0_5tupleIJPjSE_EEENSF_IJSE_SE_EEES9_SG_JZNS1_25segmented_radix_sort_implINS0_14default_configELb0EPKfPfPKlPlN2at6native12_GLOBAL__N_18offset_tEEE10hipError_tPvRmT1_PNSt15iterator_traitsISY_E10value_typeET2_T3_PNSZ_IS14_E10value_typeET4_jRbjT5_S1A_jjP12ihipStream_tbEUljE_EEESV_SW_SX_S14_S18_S1A_T6_T7_T9_mT8_S1C_bDpT10_ENKUlT_T0_E_clISt17integral_constantIbLb1EES1P_EEDaS1K_S1L_EUlS1K_E_NS1_11comp_targetILNS1_3genE9ELNS1_11target_archE1100ELNS1_3gpuE3ELNS1_3repE0EEENS1_30default_config_static_selectorELNS0_4arch9wavefront6targetE1EEEvSY_.private_seg_size, 0
	.set _ZN7rocprim17ROCPRIM_400000_NS6detail17trampoline_kernelINS0_13select_configILj256ELj13ELNS0_17block_load_methodE3ELS4_3ELS4_3ELNS0_20block_scan_algorithmE0ELj4294967295EEENS1_25partition_config_selectorILNS1_17partition_subalgoE3EjNS0_10empty_typeEbEEZZNS1_14partition_implILS8_3ELb0ES6_jNS0_17counting_iteratorIjlEEPS9_SE_NS0_5tupleIJPjSE_EEENSF_IJSE_SE_EEES9_SG_JZNS1_25segmented_radix_sort_implINS0_14default_configELb0EPKfPfPKlPlN2at6native12_GLOBAL__N_18offset_tEEE10hipError_tPvRmT1_PNSt15iterator_traitsISY_E10value_typeET2_T3_PNSZ_IS14_E10value_typeET4_jRbjT5_S1A_jjP12ihipStream_tbEUljE_EEESV_SW_SX_S14_S18_S1A_T6_T7_T9_mT8_S1C_bDpT10_ENKUlT_T0_E_clISt17integral_constantIbLb1EES1P_EEDaS1K_S1L_EUlS1K_E_NS1_11comp_targetILNS1_3genE9ELNS1_11target_archE1100ELNS1_3gpuE3ELNS1_3repE0EEENS1_30default_config_static_selectorELNS0_4arch9wavefront6targetE1EEEvSY_.uses_vcc, 0
	.set _ZN7rocprim17ROCPRIM_400000_NS6detail17trampoline_kernelINS0_13select_configILj256ELj13ELNS0_17block_load_methodE3ELS4_3ELS4_3ELNS0_20block_scan_algorithmE0ELj4294967295EEENS1_25partition_config_selectorILNS1_17partition_subalgoE3EjNS0_10empty_typeEbEEZZNS1_14partition_implILS8_3ELb0ES6_jNS0_17counting_iteratorIjlEEPS9_SE_NS0_5tupleIJPjSE_EEENSF_IJSE_SE_EEES9_SG_JZNS1_25segmented_radix_sort_implINS0_14default_configELb0EPKfPfPKlPlN2at6native12_GLOBAL__N_18offset_tEEE10hipError_tPvRmT1_PNSt15iterator_traitsISY_E10value_typeET2_T3_PNSZ_IS14_E10value_typeET4_jRbjT5_S1A_jjP12ihipStream_tbEUljE_EEESV_SW_SX_S14_S18_S1A_T6_T7_T9_mT8_S1C_bDpT10_ENKUlT_T0_E_clISt17integral_constantIbLb1EES1P_EEDaS1K_S1L_EUlS1K_E_NS1_11comp_targetILNS1_3genE9ELNS1_11target_archE1100ELNS1_3gpuE3ELNS1_3repE0EEENS1_30default_config_static_selectorELNS0_4arch9wavefront6targetE1EEEvSY_.uses_flat_scratch, 0
	.set _ZN7rocprim17ROCPRIM_400000_NS6detail17trampoline_kernelINS0_13select_configILj256ELj13ELNS0_17block_load_methodE3ELS4_3ELS4_3ELNS0_20block_scan_algorithmE0ELj4294967295EEENS1_25partition_config_selectorILNS1_17partition_subalgoE3EjNS0_10empty_typeEbEEZZNS1_14partition_implILS8_3ELb0ES6_jNS0_17counting_iteratorIjlEEPS9_SE_NS0_5tupleIJPjSE_EEENSF_IJSE_SE_EEES9_SG_JZNS1_25segmented_radix_sort_implINS0_14default_configELb0EPKfPfPKlPlN2at6native12_GLOBAL__N_18offset_tEEE10hipError_tPvRmT1_PNSt15iterator_traitsISY_E10value_typeET2_T3_PNSZ_IS14_E10value_typeET4_jRbjT5_S1A_jjP12ihipStream_tbEUljE_EEESV_SW_SX_S14_S18_S1A_T6_T7_T9_mT8_S1C_bDpT10_ENKUlT_T0_E_clISt17integral_constantIbLb1EES1P_EEDaS1K_S1L_EUlS1K_E_NS1_11comp_targetILNS1_3genE9ELNS1_11target_archE1100ELNS1_3gpuE3ELNS1_3repE0EEENS1_30default_config_static_selectorELNS0_4arch9wavefront6targetE1EEEvSY_.has_dyn_sized_stack, 0
	.set _ZN7rocprim17ROCPRIM_400000_NS6detail17trampoline_kernelINS0_13select_configILj256ELj13ELNS0_17block_load_methodE3ELS4_3ELS4_3ELNS0_20block_scan_algorithmE0ELj4294967295EEENS1_25partition_config_selectorILNS1_17partition_subalgoE3EjNS0_10empty_typeEbEEZZNS1_14partition_implILS8_3ELb0ES6_jNS0_17counting_iteratorIjlEEPS9_SE_NS0_5tupleIJPjSE_EEENSF_IJSE_SE_EEES9_SG_JZNS1_25segmented_radix_sort_implINS0_14default_configELb0EPKfPfPKlPlN2at6native12_GLOBAL__N_18offset_tEEE10hipError_tPvRmT1_PNSt15iterator_traitsISY_E10value_typeET2_T3_PNSZ_IS14_E10value_typeET4_jRbjT5_S1A_jjP12ihipStream_tbEUljE_EEESV_SW_SX_S14_S18_S1A_T6_T7_T9_mT8_S1C_bDpT10_ENKUlT_T0_E_clISt17integral_constantIbLb1EES1P_EEDaS1K_S1L_EUlS1K_E_NS1_11comp_targetILNS1_3genE9ELNS1_11target_archE1100ELNS1_3gpuE3ELNS1_3repE0EEENS1_30default_config_static_selectorELNS0_4arch9wavefront6targetE1EEEvSY_.has_recursion, 0
	.set _ZN7rocprim17ROCPRIM_400000_NS6detail17trampoline_kernelINS0_13select_configILj256ELj13ELNS0_17block_load_methodE3ELS4_3ELS4_3ELNS0_20block_scan_algorithmE0ELj4294967295EEENS1_25partition_config_selectorILNS1_17partition_subalgoE3EjNS0_10empty_typeEbEEZZNS1_14partition_implILS8_3ELb0ES6_jNS0_17counting_iteratorIjlEEPS9_SE_NS0_5tupleIJPjSE_EEENSF_IJSE_SE_EEES9_SG_JZNS1_25segmented_radix_sort_implINS0_14default_configELb0EPKfPfPKlPlN2at6native12_GLOBAL__N_18offset_tEEE10hipError_tPvRmT1_PNSt15iterator_traitsISY_E10value_typeET2_T3_PNSZ_IS14_E10value_typeET4_jRbjT5_S1A_jjP12ihipStream_tbEUljE_EEESV_SW_SX_S14_S18_S1A_T6_T7_T9_mT8_S1C_bDpT10_ENKUlT_T0_E_clISt17integral_constantIbLb1EES1P_EEDaS1K_S1L_EUlS1K_E_NS1_11comp_targetILNS1_3genE9ELNS1_11target_archE1100ELNS1_3gpuE3ELNS1_3repE0EEENS1_30default_config_static_selectorELNS0_4arch9wavefront6targetE1EEEvSY_.has_indirect_call, 0
	.section	.AMDGPU.csdata,"",@progbits
; Kernel info:
; codeLenInByte = 0
; TotalNumSgprs: 4
; NumVgprs: 0
; ScratchSize: 0
; MemoryBound: 0
; FloatMode: 240
; IeeeMode: 1
; LDSByteSize: 0 bytes/workgroup (compile time only)
; SGPRBlocks: 0
; VGPRBlocks: 0
; NumSGPRsForWavesPerEU: 4
; NumVGPRsForWavesPerEU: 1
; Occupancy: 10
; WaveLimiterHint : 0
; COMPUTE_PGM_RSRC2:SCRATCH_EN: 0
; COMPUTE_PGM_RSRC2:USER_SGPR: 6
; COMPUTE_PGM_RSRC2:TRAP_HANDLER: 0
; COMPUTE_PGM_RSRC2:TGID_X_EN: 1
; COMPUTE_PGM_RSRC2:TGID_Y_EN: 0
; COMPUTE_PGM_RSRC2:TGID_Z_EN: 0
; COMPUTE_PGM_RSRC2:TIDIG_COMP_CNT: 0
	.section	.text._ZN7rocprim17ROCPRIM_400000_NS6detail17trampoline_kernelINS0_13select_configILj256ELj13ELNS0_17block_load_methodE3ELS4_3ELS4_3ELNS0_20block_scan_algorithmE0ELj4294967295EEENS1_25partition_config_selectorILNS1_17partition_subalgoE3EjNS0_10empty_typeEbEEZZNS1_14partition_implILS8_3ELb0ES6_jNS0_17counting_iteratorIjlEEPS9_SE_NS0_5tupleIJPjSE_EEENSF_IJSE_SE_EEES9_SG_JZNS1_25segmented_radix_sort_implINS0_14default_configELb0EPKfPfPKlPlN2at6native12_GLOBAL__N_18offset_tEEE10hipError_tPvRmT1_PNSt15iterator_traitsISY_E10value_typeET2_T3_PNSZ_IS14_E10value_typeET4_jRbjT5_S1A_jjP12ihipStream_tbEUljE_EEESV_SW_SX_S14_S18_S1A_T6_T7_T9_mT8_S1C_bDpT10_ENKUlT_T0_E_clISt17integral_constantIbLb1EES1P_EEDaS1K_S1L_EUlS1K_E_NS1_11comp_targetILNS1_3genE8ELNS1_11target_archE1030ELNS1_3gpuE2ELNS1_3repE0EEENS1_30default_config_static_selectorELNS0_4arch9wavefront6targetE1EEEvSY_,"axG",@progbits,_ZN7rocprim17ROCPRIM_400000_NS6detail17trampoline_kernelINS0_13select_configILj256ELj13ELNS0_17block_load_methodE3ELS4_3ELS4_3ELNS0_20block_scan_algorithmE0ELj4294967295EEENS1_25partition_config_selectorILNS1_17partition_subalgoE3EjNS0_10empty_typeEbEEZZNS1_14partition_implILS8_3ELb0ES6_jNS0_17counting_iteratorIjlEEPS9_SE_NS0_5tupleIJPjSE_EEENSF_IJSE_SE_EEES9_SG_JZNS1_25segmented_radix_sort_implINS0_14default_configELb0EPKfPfPKlPlN2at6native12_GLOBAL__N_18offset_tEEE10hipError_tPvRmT1_PNSt15iterator_traitsISY_E10value_typeET2_T3_PNSZ_IS14_E10value_typeET4_jRbjT5_S1A_jjP12ihipStream_tbEUljE_EEESV_SW_SX_S14_S18_S1A_T6_T7_T9_mT8_S1C_bDpT10_ENKUlT_T0_E_clISt17integral_constantIbLb1EES1P_EEDaS1K_S1L_EUlS1K_E_NS1_11comp_targetILNS1_3genE8ELNS1_11target_archE1030ELNS1_3gpuE2ELNS1_3repE0EEENS1_30default_config_static_selectorELNS0_4arch9wavefront6targetE1EEEvSY_,comdat
	.globl	_ZN7rocprim17ROCPRIM_400000_NS6detail17trampoline_kernelINS0_13select_configILj256ELj13ELNS0_17block_load_methodE3ELS4_3ELS4_3ELNS0_20block_scan_algorithmE0ELj4294967295EEENS1_25partition_config_selectorILNS1_17partition_subalgoE3EjNS0_10empty_typeEbEEZZNS1_14partition_implILS8_3ELb0ES6_jNS0_17counting_iteratorIjlEEPS9_SE_NS0_5tupleIJPjSE_EEENSF_IJSE_SE_EEES9_SG_JZNS1_25segmented_radix_sort_implINS0_14default_configELb0EPKfPfPKlPlN2at6native12_GLOBAL__N_18offset_tEEE10hipError_tPvRmT1_PNSt15iterator_traitsISY_E10value_typeET2_T3_PNSZ_IS14_E10value_typeET4_jRbjT5_S1A_jjP12ihipStream_tbEUljE_EEESV_SW_SX_S14_S18_S1A_T6_T7_T9_mT8_S1C_bDpT10_ENKUlT_T0_E_clISt17integral_constantIbLb1EES1P_EEDaS1K_S1L_EUlS1K_E_NS1_11comp_targetILNS1_3genE8ELNS1_11target_archE1030ELNS1_3gpuE2ELNS1_3repE0EEENS1_30default_config_static_selectorELNS0_4arch9wavefront6targetE1EEEvSY_ ; -- Begin function _ZN7rocprim17ROCPRIM_400000_NS6detail17trampoline_kernelINS0_13select_configILj256ELj13ELNS0_17block_load_methodE3ELS4_3ELS4_3ELNS0_20block_scan_algorithmE0ELj4294967295EEENS1_25partition_config_selectorILNS1_17partition_subalgoE3EjNS0_10empty_typeEbEEZZNS1_14partition_implILS8_3ELb0ES6_jNS0_17counting_iteratorIjlEEPS9_SE_NS0_5tupleIJPjSE_EEENSF_IJSE_SE_EEES9_SG_JZNS1_25segmented_radix_sort_implINS0_14default_configELb0EPKfPfPKlPlN2at6native12_GLOBAL__N_18offset_tEEE10hipError_tPvRmT1_PNSt15iterator_traitsISY_E10value_typeET2_T3_PNSZ_IS14_E10value_typeET4_jRbjT5_S1A_jjP12ihipStream_tbEUljE_EEESV_SW_SX_S14_S18_S1A_T6_T7_T9_mT8_S1C_bDpT10_ENKUlT_T0_E_clISt17integral_constantIbLb1EES1P_EEDaS1K_S1L_EUlS1K_E_NS1_11comp_targetILNS1_3genE8ELNS1_11target_archE1030ELNS1_3gpuE2ELNS1_3repE0EEENS1_30default_config_static_selectorELNS0_4arch9wavefront6targetE1EEEvSY_
	.p2align	8
	.type	_ZN7rocprim17ROCPRIM_400000_NS6detail17trampoline_kernelINS0_13select_configILj256ELj13ELNS0_17block_load_methodE3ELS4_3ELS4_3ELNS0_20block_scan_algorithmE0ELj4294967295EEENS1_25partition_config_selectorILNS1_17partition_subalgoE3EjNS0_10empty_typeEbEEZZNS1_14partition_implILS8_3ELb0ES6_jNS0_17counting_iteratorIjlEEPS9_SE_NS0_5tupleIJPjSE_EEENSF_IJSE_SE_EEES9_SG_JZNS1_25segmented_radix_sort_implINS0_14default_configELb0EPKfPfPKlPlN2at6native12_GLOBAL__N_18offset_tEEE10hipError_tPvRmT1_PNSt15iterator_traitsISY_E10value_typeET2_T3_PNSZ_IS14_E10value_typeET4_jRbjT5_S1A_jjP12ihipStream_tbEUljE_EEESV_SW_SX_S14_S18_S1A_T6_T7_T9_mT8_S1C_bDpT10_ENKUlT_T0_E_clISt17integral_constantIbLb1EES1P_EEDaS1K_S1L_EUlS1K_E_NS1_11comp_targetILNS1_3genE8ELNS1_11target_archE1030ELNS1_3gpuE2ELNS1_3repE0EEENS1_30default_config_static_selectorELNS0_4arch9wavefront6targetE1EEEvSY_,@function
_ZN7rocprim17ROCPRIM_400000_NS6detail17trampoline_kernelINS0_13select_configILj256ELj13ELNS0_17block_load_methodE3ELS4_3ELS4_3ELNS0_20block_scan_algorithmE0ELj4294967295EEENS1_25partition_config_selectorILNS1_17partition_subalgoE3EjNS0_10empty_typeEbEEZZNS1_14partition_implILS8_3ELb0ES6_jNS0_17counting_iteratorIjlEEPS9_SE_NS0_5tupleIJPjSE_EEENSF_IJSE_SE_EEES9_SG_JZNS1_25segmented_radix_sort_implINS0_14default_configELb0EPKfPfPKlPlN2at6native12_GLOBAL__N_18offset_tEEE10hipError_tPvRmT1_PNSt15iterator_traitsISY_E10value_typeET2_T3_PNSZ_IS14_E10value_typeET4_jRbjT5_S1A_jjP12ihipStream_tbEUljE_EEESV_SW_SX_S14_S18_S1A_T6_T7_T9_mT8_S1C_bDpT10_ENKUlT_T0_E_clISt17integral_constantIbLb1EES1P_EEDaS1K_S1L_EUlS1K_E_NS1_11comp_targetILNS1_3genE8ELNS1_11target_archE1030ELNS1_3gpuE2ELNS1_3repE0EEENS1_30default_config_static_selectorELNS0_4arch9wavefront6targetE1EEEvSY_: ; @_ZN7rocprim17ROCPRIM_400000_NS6detail17trampoline_kernelINS0_13select_configILj256ELj13ELNS0_17block_load_methodE3ELS4_3ELS4_3ELNS0_20block_scan_algorithmE0ELj4294967295EEENS1_25partition_config_selectorILNS1_17partition_subalgoE3EjNS0_10empty_typeEbEEZZNS1_14partition_implILS8_3ELb0ES6_jNS0_17counting_iteratorIjlEEPS9_SE_NS0_5tupleIJPjSE_EEENSF_IJSE_SE_EEES9_SG_JZNS1_25segmented_radix_sort_implINS0_14default_configELb0EPKfPfPKlPlN2at6native12_GLOBAL__N_18offset_tEEE10hipError_tPvRmT1_PNSt15iterator_traitsISY_E10value_typeET2_T3_PNSZ_IS14_E10value_typeET4_jRbjT5_S1A_jjP12ihipStream_tbEUljE_EEESV_SW_SX_S14_S18_S1A_T6_T7_T9_mT8_S1C_bDpT10_ENKUlT_T0_E_clISt17integral_constantIbLb1EES1P_EEDaS1K_S1L_EUlS1K_E_NS1_11comp_targetILNS1_3genE8ELNS1_11target_archE1030ELNS1_3gpuE2ELNS1_3repE0EEENS1_30default_config_static_selectorELNS0_4arch9wavefront6targetE1EEEvSY_
; %bb.0:
	.section	.rodata,"a",@progbits
	.p2align	6, 0x0
	.amdhsa_kernel _ZN7rocprim17ROCPRIM_400000_NS6detail17trampoline_kernelINS0_13select_configILj256ELj13ELNS0_17block_load_methodE3ELS4_3ELS4_3ELNS0_20block_scan_algorithmE0ELj4294967295EEENS1_25partition_config_selectorILNS1_17partition_subalgoE3EjNS0_10empty_typeEbEEZZNS1_14partition_implILS8_3ELb0ES6_jNS0_17counting_iteratorIjlEEPS9_SE_NS0_5tupleIJPjSE_EEENSF_IJSE_SE_EEES9_SG_JZNS1_25segmented_radix_sort_implINS0_14default_configELb0EPKfPfPKlPlN2at6native12_GLOBAL__N_18offset_tEEE10hipError_tPvRmT1_PNSt15iterator_traitsISY_E10value_typeET2_T3_PNSZ_IS14_E10value_typeET4_jRbjT5_S1A_jjP12ihipStream_tbEUljE_EEESV_SW_SX_S14_S18_S1A_T6_T7_T9_mT8_S1C_bDpT10_ENKUlT_T0_E_clISt17integral_constantIbLb1EES1P_EEDaS1K_S1L_EUlS1K_E_NS1_11comp_targetILNS1_3genE8ELNS1_11target_archE1030ELNS1_3gpuE2ELNS1_3repE0EEENS1_30default_config_static_selectorELNS0_4arch9wavefront6targetE1EEEvSY_
		.amdhsa_group_segment_fixed_size 0
		.amdhsa_private_segment_fixed_size 0
		.amdhsa_kernarg_size 152
		.amdhsa_user_sgpr_count 6
		.amdhsa_user_sgpr_private_segment_buffer 1
		.amdhsa_user_sgpr_dispatch_ptr 0
		.amdhsa_user_sgpr_queue_ptr 0
		.amdhsa_user_sgpr_kernarg_segment_ptr 1
		.amdhsa_user_sgpr_dispatch_id 0
		.amdhsa_user_sgpr_flat_scratch_init 0
		.amdhsa_user_sgpr_private_segment_size 0
		.amdhsa_uses_dynamic_stack 0
		.amdhsa_system_sgpr_private_segment_wavefront_offset 0
		.amdhsa_system_sgpr_workgroup_id_x 1
		.amdhsa_system_sgpr_workgroup_id_y 0
		.amdhsa_system_sgpr_workgroup_id_z 0
		.amdhsa_system_sgpr_workgroup_info 0
		.amdhsa_system_vgpr_workitem_id 0
		.amdhsa_next_free_vgpr 1
		.amdhsa_next_free_sgpr 0
		.amdhsa_reserve_vcc 0
		.amdhsa_reserve_flat_scratch 0
		.amdhsa_float_round_mode_32 0
		.amdhsa_float_round_mode_16_64 0
		.amdhsa_float_denorm_mode_32 3
		.amdhsa_float_denorm_mode_16_64 3
		.amdhsa_dx10_clamp 1
		.amdhsa_ieee_mode 1
		.amdhsa_fp16_overflow 0
		.amdhsa_exception_fp_ieee_invalid_op 0
		.amdhsa_exception_fp_denorm_src 0
		.amdhsa_exception_fp_ieee_div_zero 0
		.amdhsa_exception_fp_ieee_overflow 0
		.amdhsa_exception_fp_ieee_underflow 0
		.amdhsa_exception_fp_ieee_inexact 0
		.amdhsa_exception_int_div_zero 0
	.end_amdhsa_kernel
	.section	.text._ZN7rocprim17ROCPRIM_400000_NS6detail17trampoline_kernelINS0_13select_configILj256ELj13ELNS0_17block_load_methodE3ELS4_3ELS4_3ELNS0_20block_scan_algorithmE0ELj4294967295EEENS1_25partition_config_selectorILNS1_17partition_subalgoE3EjNS0_10empty_typeEbEEZZNS1_14partition_implILS8_3ELb0ES6_jNS0_17counting_iteratorIjlEEPS9_SE_NS0_5tupleIJPjSE_EEENSF_IJSE_SE_EEES9_SG_JZNS1_25segmented_radix_sort_implINS0_14default_configELb0EPKfPfPKlPlN2at6native12_GLOBAL__N_18offset_tEEE10hipError_tPvRmT1_PNSt15iterator_traitsISY_E10value_typeET2_T3_PNSZ_IS14_E10value_typeET4_jRbjT5_S1A_jjP12ihipStream_tbEUljE_EEESV_SW_SX_S14_S18_S1A_T6_T7_T9_mT8_S1C_bDpT10_ENKUlT_T0_E_clISt17integral_constantIbLb1EES1P_EEDaS1K_S1L_EUlS1K_E_NS1_11comp_targetILNS1_3genE8ELNS1_11target_archE1030ELNS1_3gpuE2ELNS1_3repE0EEENS1_30default_config_static_selectorELNS0_4arch9wavefront6targetE1EEEvSY_,"axG",@progbits,_ZN7rocprim17ROCPRIM_400000_NS6detail17trampoline_kernelINS0_13select_configILj256ELj13ELNS0_17block_load_methodE3ELS4_3ELS4_3ELNS0_20block_scan_algorithmE0ELj4294967295EEENS1_25partition_config_selectorILNS1_17partition_subalgoE3EjNS0_10empty_typeEbEEZZNS1_14partition_implILS8_3ELb0ES6_jNS0_17counting_iteratorIjlEEPS9_SE_NS0_5tupleIJPjSE_EEENSF_IJSE_SE_EEES9_SG_JZNS1_25segmented_radix_sort_implINS0_14default_configELb0EPKfPfPKlPlN2at6native12_GLOBAL__N_18offset_tEEE10hipError_tPvRmT1_PNSt15iterator_traitsISY_E10value_typeET2_T3_PNSZ_IS14_E10value_typeET4_jRbjT5_S1A_jjP12ihipStream_tbEUljE_EEESV_SW_SX_S14_S18_S1A_T6_T7_T9_mT8_S1C_bDpT10_ENKUlT_T0_E_clISt17integral_constantIbLb1EES1P_EEDaS1K_S1L_EUlS1K_E_NS1_11comp_targetILNS1_3genE8ELNS1_11target_archE1030ELNS1_3gpuE2ELNS1_3repE0EEENS1_30default_config_static_selectorELNS0_4arch9wavefront6targetE1EEEvSY_,comdat
.Lfunc_end1411:
	.size	_ZN7rocprim17ROCPRIM_400000_NS6detail17trampoline_kernelINS0_13select_configILj256ELj13ELNS0_17block_load_methodE3ELS4_3ELS4_3ELNS0_20block_scan_algorithmE0ELj4294967295EEENS1_25partition_config_selectorILNS1_17partition_subalgoE3EjNS0_10empty_typeEbEEZZNS1_14partition_implILS8_3ELb0ES6_jNS0_17counting_iteratorIjlEEPS9_SE_NS0_5tupleIJPjSE_EEENSF_IJSE_SE_EEES9_SG_JZNS1_25segmented_radix_sort_implINS0_14default_configELb0EPKfPfPKlPlN2at6native12_GLOBAL__N_18offset_tEEE10hipError_tPvRmT1_PNSt15iterator_traitsISY_E10value_typeET2_T3_PNSZ_IS14_E10value_typeET4_jRbjT5_S1A_jjP12ihipStream_tbEUljE_EEESV_SW_SX_S14_S18_S1A_T6_T7_T9_mT8_S1C_bDpT10_ENKUlT_T0_E_clISt17integral_constantIbLb1EES1P_EEDaS1K_S1L_EUlS1K_E_NS1_11comp_targetILNS1_3genE8ELNS1_11target_archE1030ELNS1_3gpuE2ELNS1_3repE0EEENS1_30default_config_static_selectorELNS0_4arch9wavefront6targetE1EEEvSY_, .Lfunc_end1411-_ZN7rocprim17ROCPRIM_400000_NS6detail17trampoline_kernelINS0_13select_configILj256ELj13ELNS0_17block_load_methodE3ELS4_3ELS4_3ELNS0_20block_scan_algorithmE0ELj4294967295EEENS1_25partition_config_selectorILNS1_17partition_subalgoE3EjNS0_10empty_typeEbEEZZNS1_14partition_implILS8_3ELb0ES6_jNS0_17counting_iteratorIjlEEPS9_SE_NS0_5tupleIJPjSE_EEENSF_IJSE_SE_EEES9_SG_JZNS1_25segmented_radix_sort_implINS0_14default_configELb0EPKfPfPKlPlN2at6native12_GLOBAL__N_18offset_tEEE10hipError_tPvRmT1_PNSt15iterator_traitsISY_E10value_typeET2_T3_PNSZ_IS14_E10value_typeET4_jRbjT5_S1A_jjP12ihipStream_tbEUljE_EEESV_SW_SX_S14_S18_S1A_T6_T7_T9_mT8_S1C_bDpT10_ENKUlT_T0_E_clISt17integral_constantIbLb1EES1P_EEDaS1K_S1L_EUlS1K_E_NS1_11comp_targetILNS1_3genE8ELNS1_11target_archE1030ELNS1_3gpuE2ELNS1_3repE0EEENS1_30default_config_static_selectorELNS0_4arch9wavefront6targetE1EEEvSY_
                                        ; -- End function
	.set _ZN7rocprim17ROCPRIM_400000_NS6detail17trampoline_kernelINS0_13select_configILj256ELj13ELNS0_17block_load_methodE3ELS4_3ELS4_3ELNS0_20block_scan_algorithmE0ELj4294967295EEENS1_25partition_config_selectorILNS1_17partition_subalgoE3EjNS0_10empty_typeEbEEZZNS1_14partition_implILS8_3ELb0ES6_jNS0_17counting_iteratorIjlEEPS9_SE_NS0_5tupleIJPjSE_EEENSF_IJSE_SE_EEES9_SG_JZNS1_25segmented_radix_sort_implINS0_14default_configELb0EPKfPfPKlPlN2at6native12_GLOBAL__N_18offset_tEEE10hipError_tPvRmT1_PNSt15iterator_traitsISY_E10value_typeET2_T3_PNSZ_IS14_E10value_typeET4_jRbjT5_S1A_jjP12ihipStream_tbEUljE_EEESV_SW_SX_S14_S18_S1A_T6_T7_T9_mT8_S1C_bDpT10_ENKUlT_T0_E_clISt17integral_constantIbLb1EES1P_EEDaS1K_S1L_EUlS1K_E_NS1_11comp_targetILNS1_3genE8ELNS1_11target_archE1030ELNS1_3gpuE2ELNS1_3repE0EEENS1_30default_config_static_selectorELNS0_4arch9wavefront6targetE1EEEvSY_.num_vgpr, 0
	.set _ZN7rocprim17ROCPRIM_400000_NS6detail17trampoline_kernelINS0_13select_configILj256ELj13ELNS0_17block_load_methodE3ELS4_3ELS4_3ELNS0_20block_scan_algorithmE0ELj4294967295EEENS1_25partition_config_selectorILNS1_17partition_subalgoE3EjNS0_10empty_typeEbEEZZNS1_14partition_implILS8_3ELb0ES6_jNS0_17counting_iteratorIjlEEPS9_SE_NS0_5tupleIJPjSE_EEENSF_IJSE_SE_EEES9_SG_JZNS1_25segmented_radix_sort_implINS0_14default_configELb0EPKfPfPKlPlN2at6native12_GLOBAL__N_18offset_tEEE10hipError_tPvRmT1_PNSt15iterator_traitsISY_E10value_typeET2_T3_PNSZ_IS14_E10value_typeET4_jRbjT5_S1A_jjP12ihipStream_tbEUljE_EEESV_SW_SX_S14_S18_S1A_T6_T7_T9_mT8_S1C_bDpT10_ENKUlT_T0_E_clISt17integral_constantIbLb1EES1P_EEDaS1K_S1L_EUlS1K_E_NS1_11comp_targetILNS1_3genE8ELNS1_11target_archE1030ELNS1_3gpuE2ELNS1_3repE0EEENS1_30default_config_static_selectorELNS0_4arch9wavefront6targetE1EEEvSY_.num_agpr, 0
	.set _ZN7rocprim17ROCPRIM_400000_NS6detail17trampoline_kernelINS0_13select_configILj256ELj13ELNS0_17block_load_methodE3ELS4_3ELS4_3ELNS0_20block_scan_algorithmE0ELj4294967295EEENS1_25partition_config_selectorILNS1_17partition_subalgoE3EjNS0_10empty_typeEbEEZZNS1_14partition_implILS8_3ELb0ES6_jNS0_17counting_iteratorIjlEEPS9_SE_NS0_5tupleIJPjSE_EEENSF_IJSE_SE_EEES9_SG_JZNS1_25segmented_radix_sort_implINS0_14default_configELb0EPKfPfPKlPlN2at6native12_GLOBAL__N_18offset_tEEE10hipError_tPvRmT1_PNSt15iterator_traitsISY_E10value_typeET2_T3_PNSZ_IS14_E10value_typeET4_jRbjT5_S1A_jjP12ihipStream_tbEUljE_EEESV_SW_SX_S14_S18_S1A_T6_T7_T9_mT8_S1C_bDpT10_ENKUlT_T0_E_clISt17integral_constantIbLb1EES1P_EEDaS1K_S1L_EUlS1K_E_NS1_11comp_targetILNS1_3genE8ELNS1_11target_archE1030ELNS1_3gpuE2ELNS1_3repE0EEENS1_30default_config_static_selectorELNS0_4arch9wavefront6targetE1EEEvSY_.numbered_sgpr, 0
	.set _ZN7rocprim17ROCPRIM_400000_NS6detail17trampoline_kernelINS0_13select_configILj256ELj13ELNS0_17block_load_methodE3ELS4_3ELS4_3ELNS0_20block_scan_algorithmE0ELj4294967295EEENS1_25partition_config_selectorILNS1_17partition_subalgoE3EjNS0_10empty_typeEbEEZZNS1_14partition_implILS8_3ELb0ES6_jNS0_17counting_iteratorIjlEEPS9_SE_NS0_5tupleIJPjSE_EEENSF_IJSE_SE_EEES9_SG_JZNS1_25segmented_radix_sort_implINS0_14default_configELb0EPKfPfPKlPlN2at6native12_GLOBAL__N_18offset_tEEE10hipError_tPvRmT1_PNSt15iterator_traitsISY_E10value_typeET2_T3_PNSZ_IS14_E10value_typeET4_jRbjT5_S1A_jjP12ihipStream_tbEUljE_EEESV_SW_SX_S14_S18_S1A_T6_T7_T9_mT8_S1C_bDpT10_ENKUlT_T0_E_clISt17integral_constantIbLb1EES1P_EEDaS1K_S1L_EUlS1K_E_NS1_11comp_targetILNS1_3genE8ELNS1_11target_archE1030ELNS1_3gpuE2ELNS1_3repE0EEENS1_30default_config_static_selectorELNS0_4arch9wavefront6targetE1EEEvSY_.num_named_barrier, 0
	.set _ZN7rocprim17ROCPRIM_400000_NS6detail17trampoline_kernelINS0_13select_configILj256ELj13ELNS0_17block_load_methodE3ELS4_3ELS4_3ELNS0_20block_scan_algorithmE0ELj4294967295EEENS1_25partition_config_selectorILNS1_17partition_subalgoE3EjNS0_10empty_typeEbEEZZNS1_14partition_implILS8_3ELb0ES6_jNS0_17counting_iteratorIjlEEPS9_SE_NS0_5tupleIJPjSE_EEENSF_IJSE_SE_EEES9_SG_JZNS1_25segmented_radix_sort_implINS0_14default_configELb0EPKfPfPKlPlN2at6native12_GLOBAL__N_18offset_tEEE10hipError_tPvRmT1_PNSt15iterator_traitsISY_E10value_typeET2_T3_PNSZ_IS14_E10value_typeET4_jRbjT5_S1A_jjP12ihipStream_tbEUljE_EEESV_SW_SX_S14_S18_S1A_T6_T7_T9_mT8_S1C_bDpT10_ENKUlT_T0_E_clISt17integral_constantIbLb1EES1P_EEDaS1K_S1L_EUlS1K_E_NS1_11comp_targetILNS1_3genE8ELNS1_11target_archE1030ELNS1_3gpuE2ELNS1_3repE0EEENS1_30default_config_static_selectorELNS0_4arch9wavefront6targetE1EEEvSY_.private_seg_size, 0
	.set _ZN7rocprim17ROCPRIM_400000_NS6detail17trampoline_kernelINS0_13select_configILj256ELj13ELNS0_17block_load_methodE3ELS4_3ELS4_3ELNS0_20block_scan_algorithmE0ELj4294967295EEENS1_25partition_config_selectorILNS1_17partition_subalgoE3EjNS0_10empty_typeEbEEZZNS1_14partition_implILS8_3ELb0ES6_jNS0_17counting_iteratorIjlEEPS9_SE_NS0_5tupleIJPjSE_EEENSF_IJSE_SE_EEES9_SG_JZNS1_25segmented_radix_sort_implINS0_14default_configELb0EPKfPfPKlPlN2at6native12_GLOBAL__N_18offset_tEEE10hipError_tPvRmT1_PNSt15iterator_traitsISY_E10value_typeET2_T3_PNSZ_IS14_E10value_typeET4_jRbjT5_S1A_jjP12ihipStream_tbEUljE_EEESV_SW_SX_S14_S18_S1A_T6_T7_T9_mT8_S1C_bDpT10_ENKUlT_T0_E_clISt17integral_constantIbLb1EES1P_EEDaS1K_S1L_EUlS1K_E_NS1_11comp_targetILNS1_3genE8ELNS1_11target_archE1030ELNS1_3gpuE2ELNS1_3repE0EEENS1_30default_config_static_selectorELNS0_4arch9wavefront6targetE1EEEvSY_.uses_vcc, 0
	.set _ZN7rocprim17ROCPRIM_400000_NS6detail17trampoline_kernelINS0_13select_configILj256ELj13ELNS0_17block_load_methodE3ELS4_3ELS4_3ELNS0_20block_scan_algorithmE0ELj4294967295EEENS1_25partition_config_selectorILNS1_17partition_subalgoE3EjNS0_10empty_typeEbEEZZNS1_14partition_implILS8_3ELb0ES6_jNS0_17counting_iteratorIjlEEPS9_SE_NS0_5tupleIJPjSE_EEENSF_IJSE_SE_EEES9_SG_JZNS1_25segmented_radix_sort_implINS0_14default_configELb0EPKfPfPKlPlN2at6native12_GLOBAL__N_18offset_tEEE10hipError_tPvRmT1_PNSt15iterator_traitsISY_E10value_typeET2_T3_PNSZ_IS14_E10value_typeET4_jRbjT5_S1A_jjP12ihipStream_tbEUljE_EEESV_SW_SX_S14_S18_S1A_T6_T7_T9_mT8_S1C_bDpT10_ENKUlT_T0_E_clISt17integral_constantIbLb1EES1P_EEDaS1K_S1L_EUlS1K_E_NS1_11comp_targetILNS1_3genE8ELNS1_11target_archE1030ELNS1_3gpuE2ELNS1_3repE0EEENS1_30default_config_static_selectorELNS0_4arch9wavefront6targetE1EEEvSY_.uses_flat_scratch, 0
	.set _ZN7rocprim17ROCPRIM_400000_NS6detail17trampoline_kernelINS0_13select_configILj256ELj13ELNS0_17block_load_methodE3ELS4_3ELS4_3ELNS0_20block_scan_algorithmE0ELj4294967295EEENS1_25partition_config_selectorILNS1_17partition_subalgoE3EjNS0_10empty_typeEbEEZZNS1_14partition_implILS8_3ELb0ES6_jNS0_17counting_iteratorIjlEEPS9_SE_NS0_5tupleIJPjSE_EEENSF_IJSE_SE_EEES9_SG_JZNS1_25segmented_radix_sort_implINS0_14default_configELb0EPKfPfPKlPlN2at6native12_GLOBAL__N_18offset_tEEE10hipError_tPvRmT1_PNSt15iterator_traitsISY_E10value_typeET2_T3_PNSZ_IS14_E10value_typeET4_jRbjT5_S1A_jjP12ihipStream_tbEUljE_EEESV_SW_SX_S14_S18_S1A_T6_T7_T9_mT8_S1C_bDpT10_ENKUlT_T0_E_clISt17integral_constantIbLb1EES1P_EEDaS1K_S1L_EUlS1K_E_NS1_11comp_targetILNS1_3genE8ELNS1_11target_archE1030ELNS1_3gpuE2ELNS1_3repE0EEENS1_30default_config_static_selectorELNS0_4arch9wavefront6targetE1EEEvSY_.has_dyn_sized_stack, 0
	.set _ZN7rocprim17ROCPRIM_400000_NS6detail17trampoline_kernelINS0_13select_configILj256ELj13ELNS0_17block_load_methodE3ELS4_3ELS4_3ELNS0_20block_scan_algorithmE0ELj4294967295EEENS1_25partition_config_selectorILNS1_17partition_subalgoE3EjNS0_10empty_typeEbEEZZNS1_14partition_implILS8_3ELb0ES6_jNS0_17counting_iteratorIjlEEPS9_SE_NS0_5tupleIJPjSE_EEENSF_IJSE_SE_EEES9_SG_JZNS1_25segmented_radix_sort_implINS0_14default_configELb0EPKfPfPKlPlN2at6native12_GLOBAL__N_18offset_tEEE10hipError_tPvRmT1_PNSt15iterator_traitsISY_E10value_typeET2_T3_PNSZ_IS14_E10value_typeET4_jRbjT5_S1A_jjP12ihipStream_tbEUljE_EEESV_SW_SX_S14_S18_S1A_T6_T7_T9_mT8_S1C_bDpT10_ENKUlT_T0_E_clISt17integral_constantIbLb1EES1P_EEDaS1K_S1L_EUlS1K_E_NS1_11comp_targetILNS1_3genE8ELNS1_11target_archE1030ELNS1_3gpuE2ELNS1_3repE0EEENS1_30default_config_static_selectorELNS0_4arch9wavefront6targetE1EEEvSY_.has_recursion, 0
	.set _ZN7rocprim17ROCPRIM_400000_NS6detail17trampoline_kernelINS0_13select_configILj256ELj13ELNS0_17block_load_methodE3ELS4_3ELS4_3ELNS0_20block_scan_algorithmE0ELj4294967295EEENS1_25partition_config_selectorILNS1_17partition_subalgoE3EjNS0_10empty_typeEbEEZZNS1_14partition_implILS8_3ELb0ES6_jNS0_17counting_iteratorIjlEEPS9_SE_NS0_5tupleIJPjSE_EEENSF_IJSE_SE_EEES9_SG_JZNS1_25segmented_radix_sort_implINS0_14default_configELb0EPKfPfPKlPlN2at6native12_GLOBAL__N_18offset_tEEE10hipError_tPvRmT1_PNSt15iterator_traitsISY_E10value_typeET2_T3_PNSZ_IS14_E10value_typeET4_jRbjT5_S1A_jjP12ihipStream_tbEUljE_EEESV_SW_SX_S14_S18_S1A_T6_T7_T9_mT8_S1C_bDpT10_ENKUlT_T0_E_clISt17integral_constantIbLb1EES1P_EEDaS1K_S1L_EUlS1K_E_NS1_11comp_targetILNS1_3genE8ELNS1_11target_archE1030ELNS1_3gpuE2ELNS1_3repE0EEENS1_30default_config_static_selectorELNS0_4arch9wavefront6targetE1EEEvSY_.has_indirect_call, 0
	.section	.AMDGPU.csdata,"",@progbits
; Kernel info:
; codeLenInByte = 0
; TotalNumSgprs: 4
; NumVgprs: 0
; ScratchSize: 0
; MemoryBound: 0
; FloatMode: 240
; IeeeMode: 1
; LDSByteSize: 0 bytes/workgroup (compile time only)
; SGPRBlocks: 0
; VGPRBlocks: 0
; NumSGPRsForWavesPerEU: 4
; NumVGPRsForWavesPerEU: 1
; Occupancy: 10
; WaveLimiterHint : 0
; COMPUTE_PGM_RSRC2:SCRATCH_EN: 0
; COMPUTE_PGM_RSRC2:USER_SGPR: 6
; COMPUTE_PGM_RSRC2:TRAP_HANDLER: 0
; COMPUTE_PGM_RSRC2:TGID_X_EN: 1
; COMPUTE_PGM_RSRC2:TGID_Y_EN: 0
; COMPUTE_PGM_RSRC2:TGID_Z_EN: 0
; COMPUTE_PGM_RSRC2:TIDIG_COMP_CNT: 0
	.section	.text._ZN7rocprim17ROCPRIM_400000_NS6detail17trampoline_kernelINS0_13select_configILj256ELj13ELNS0_17block_load_methodE3ELS4_3ELS4_3ELNS0_20block_scan_algorithmE0ELj4294967295EEENS1_25partition_config_selectorILNS1_17partition_subalgoE3EjNS0_10empty_typeEbEEZZNS1_14partition_implILS8_3ELb0ES6_jNS0_17counting_iteratorIjlEEPS9_SE_NS0_5tupleIJPjSE_EEENSF_IJSE_SE_EEES9_SG_JZNS1_25segmented_radix_sort_implINS0_14default_configELb0EPKfPfPKlPlN2at6native12_GLOBAL__N_18offset_tEEE10hipError_tPvRmT1_PNSt15iterator_traitsISY_E10value_typeET2_T3_PNSZ_IS14_E10value_typeET4_jRbjT5_S1A_jjP12ihipStream_tbEUljE_EEESV_SW_SX_S14_S18_S1A_T6_T7_T9_mT8_S1C_bDpT10_ENKUlT_T0_E_clISt17integral_constantIbLb1EES1O_IbLb0EEEEDaS1K_S1L_EUlS1K_E_NS1_11comp_targetILNS1_3genE0ELNS1_11target_archE4294967295ELNS1_3gpuE0ELNS1_3repE0EEENS1_30default_config_static_selectorELNS0_4arch9wavefront6targetE1EEEvSY_,"axG",@progbits,_ZN7rocprim17ROCPRIM_400000_NS6detail17trampoline_kernelINS0_13select_configILj256ELj13ELNS0_17block_load_methodE3ELS4_3ELS4_3ELNS0_20block_scan_algorithmE0ELj4294967295EEENS1_25partition_config_selectorILNS1_17partition_subalgoE3EjNS0_10empty_typeEbEEZZNS1_14partition_implILS8_3ELb0ES6_jNS0_17counting_iteratorIjlEEPS9_SE_NS0_5tupleIJPjSE_EEENSF_IJSE_SE_EEES9_SG_JZNS1_25segmented_radix_sort_implINS0_14default_configELb0EPKfPfPKlPlN2at6native12_GLOBAL__N_18offset_tEEE10hipError_tPvRmT1_PNSt15iterator_traitsISY_E10value_typeET2_T3_PNSZ_IS14_E10value_typeET4_jRbjT5_S1A_jjP12ihipStream_tbEUljE_EEESV_SW_SX_S14_S18_S1A_T6_T7_T9_mT8_S1C_bDpT10_ENKUlT_T0_E_clISt17integral_constantIbLb1EES1O_IbLb0EEEEDaS1K_S1L_EUlS1K_E_NS1_11comp_targetILNS1_3genE0ELNS1_11target_archE4294967295ELNS1_3gpuE0ELNS1_3repE0EEENS1_30default_config_static_selectorELNS0_4arch9wavefront6targetE1EEEvSY_,comdat
	.globl	_ZN7rocprim17ROCPRIM_400000_NS6detail17trampoline_kernelINS0_13select_configILj256ELj13ELNS0_17block_load_methodE3ELS4_3ELS4_3ELNS0_20block_scan_algorithmE0ELj4294967295EEENS1_25partition_config_selectorILNS1_17partition_subalgoE3EjNS0_10empty_typeEbEEZZNS1_14partition_implILS8_3ELb0ES6_jNS0_17counting_iteratorIjlEEPS9_SE_NS0_5tupleIJPjSE_EEENSF_IJSE_SE_EEES9_SG_JZNS1_25segmented_radix_sort_implINS0_14default_configELb0EPKfPfPKlPlN2at6native12_GLOBAL__N_18offset_tEEE10hipError_tPvRmT1_PNSt15iterator_traitsISY_E10value_typeET2_T3_PNSZ_IS14_E10value_typeET4_jRbjT5_S1A_jjP12ihipStream_tbEUljE_EEESV_SW_SX_S14_S18_S1A_T6_T7_T9_mT8_S1C_bDpT10_ENKUlT_T0_E_clISt17integral_constantIbLb1EES1O_IbLb0EEEEDaS1K_S1L_EUlS1K_E_NS1_11comp_targetILNS1_3genE0ELNS1_11target_archE4294967295ELNS1_3gpuE0ELNS1_3repE0EEENS1_30default_config_static_selectorELNS0_4arch9wavefront6targetE1EEEvSY_ ; -- Begin function _ZN7rocprim17ROCPRIM_400000_NS6detail17trampoline_kernelINS0_13select_configILj256ELj13ELNS0_17block_load_methodE3ELS4_3ELS4_3ELNS0_20block_scan_algorithmE0ELj4294967295EEENS1_25partition_config_selectorILNS1_17partition_subalgoE3EjNS0_10empty_typeEbEEZZNS1_14partition_implILS8_3ELb0ES6_jNS0_17counting_iteratorIjlEEPS9_SE_NS0_5tupleIJPjSE_EEENSF_IJSE_SE_EEES9_SG_JZNS1_25segmented_radix_sort_implINS0_14default_configELb0EPKfPfPKlPlN2at6native12_GLOBAL__N_18offset_tEEE10hipError_tPvRmT1_PNSt15iterator_traitsISY_E10value_typeET2_T3_PNSZ_IS14_E10value_typeET4_jRbjT5_S1A_jjP12ihipStream_tbEUljE_EEESV_SW_SX_S14_S18_S1A_T6_T7_T9_mT8_S1C_bDpT10_ENKUlT_T0_E_clISt17integral_constantIbLb1EES1O_IbLb0EEEEDaS1K_S1L_EUlS1K_E_NS1_11comp_targetILNS1_3genE0ELNS1_11target_archE4294967295ELNS1_3gpuE0ELNS1_3repE0EEENS1_30default_config_static_selectorELNS0_4arch9wavefront6targetE1EEEvSY_
	.p2align	8
	.type	_ZN7rocprim17ROCPRIM_400000_NS6detail17trampoline_kernelINS0_13select_configILj256ELj13ELNS0_17block_load_methodE3ELS4_3ELS4_3ELNS0_20block_scan_algorithmE0ELj4294967295EEENS1_25partition_config_selectorILNS1_17partition_subalgoE3EjNS0_10empty_typeEbEEZZNS1_14partition_implILS8_3ELb0ES6_jNS0_17counting_iteratorIjlEEPS9_SE_NS0_5tupleIJPjSE_EEENSF_IJSE_SE_EEES9_SG_JZNS1_25segmented_radix_sort_implINS0_14default_configELb0EPKfPfPKlPlN2at6native12_GLOBAL__N_18offset_tEEE10hipError_tPvRmT1_PNSt15iterator_traitsISY_E10value_typeET2_T3_PNSZ_IS14_E10value_typeET4_jRbjT5_S1A_jjP12ihipStream_tbEUljE_EEESV_SW_SX_S14_S18_S1A_T6_T7_T9_mT8_S1C_bDpT10_ENKUlT_T0_E_clISt17integral_constantIbLb1EES1O_IbLb0EEEEDaS1K_S1L_EUlS1K_E_NS1_11comp_targetILNS1_3genE0ELNS1_11target_archE4294967295ELNS1_3gpuE0ELNS1_3repE0EEENS1_30default_config_static_selectorELNS0_4arch9wavefront6targetE1EEEvSY_,@function
_ZN7rocprim17ROCPRIM_400000_NS6detail17trampoline_kernelINS0_13select_configILj256ELj13ELNS0_17block_load_methodE3ELS4_3ELS4_3ELNS0_20block_scan_algorithmE0ELj4294967295EEENS1_25partition_config_selectorILNS1_17partition_subalgoE3EjNS0_10empty_typeEbEEZZNS1_14partition_implILS8_3ELb0ES6_jNS0_17counting_iteratorIjlEEPS9_SE_NS0_5tupleIJPjSE_EEENSF_IJSE_SE_EEES9_SG_JZNS1_25segmented_radix_sort_implINS0_14default_configELb0EPKfPfPKlPlN2at6native12_GLOBAL__N_18offset_tEEE10hipError_tPvRmT1_PNSt15iterator_traitsISY_E10value_typeET2_T3_PNSZ_IS14_E10value_typeET4_jRbjT5_S1A_jjP12ihipStream_tbEUljE_EEESV_SW_SX_S14_S18_S1A_T6_T7_T9_mT8_S1C_bDpT10_ENKUlT_T0_E_clISt17integral_constantIbLb1EES1O_IbLb0EEEEDaS1K_S1L_EUlS1K_E_NS1_11comp_targetILNS1_3genE0ELNS1_11target_archE4294967295ELNS1_3gpuE0ELNS1_3repE0EEENS1_30default_config_static_selectorELNS0_4arch9wavefront6targetE1EEEvSY_: ; @_ZN7rocprim17ROCPRIM_400000_NS6detail17trampoline_kernelINS0_13select_configILj256ELj13ELNS0_17block_load_methodE3ELS4_3ELS4_3ELNS0_20block_scan_algorithmE0ELj4294967295EEENS1_25partition_config_selectorILNS1_17partition_subalgoE3EjNS0_10empty_typeEbEEZZNS1_14partition_implILS8_3ELb0ES6_jNS0_17counting_iteratorIjlEEPS9_SE_NS0_5tupleIJPjSE_EEENSF_IJSE_SE_EEES9_SG_JZNS1_25segmented_radix_sort_implINS0_14default_configELb0EPKfPfPKlPlN2at6native12_GLOBAL__N_18offset_tEEE10hipError_tPvRmT1_PNSt15iterator_traitsISY_E10value_typeET2_T3_PNSZ_IS14_E10value_typeET4_jRbjT5_S1A_jjP12ihipStream_tbEUljE_EEESV_SW_SX_S14_S18_S1A_T6_T7_T9_mT8_S1C_bDpT10_ENKUlT_T0_E_clISt17integral_constantIbLb1EES1O_IbLb0EEEEDaS1K_S1L_EUlS1K_E_NS1_11comp_targetILNS1_3genE0ELNS1_11target_archE4294967295ELNS1_3gpuE0ELNS1_3repE0EEENS1_30default_config_static_selectorELNS0_4arch9wavefront6targetE1EEEvSY_
; %bb.0:
	.section	.rodata,"a",@progbits
	.p2align	6, 0x0
	.amdhsa_kernel _ZN7rocprim17ROCPRIM_400000_NS6detail17trampoline_kernelINS0_13select_configILj256ELj13ELNS0_17block_load_methodE3ELS4_3ELS4_3ELNS0_20block_scan_algorithmE0ELj4294967295EEENS1_25partition_config_selectorILNS1_17partition_subalgoE3EjNS0_10empty_typeEbEEZZNS1_14partition_implILS8_3ELb0ES6_jNS0_17counting_iteratorIjlEEPS9_SE_NS0_5tupleIJPjSE_EEENSF_IJSE_SE_EEES9_SG_JZNS1_25segmented_radix_sort_implINS0_14default_configELb0EPKfPfPKlPlN2at6native12_GLOBAL__N_18offset_tEEE10hipError_tPvRmT1_PNSt15iterator_traitsISY_E10value_typeET2_T3_PNSZ_IS14_E10value_typeET4_jRbjT5_S1A_jjP12ihipStream_tbEUljE_EEESV_SW_SX_S14_S18_S1A_T6_T7_T9_mT8_S1C_bDpT10_ENKUlT_T0_E_clISt17integral_constantIbLb1EES1O_IbLb0EEEEDaS1K_S1L_EUlS1K_E_NS1_11comp_targetILNS1_3genE0ELNS1_11target_archE4294967295ELNS1_3gpuE0ELNS1_3repE0EEENS1_30default_config_static_selectorELNS0_4arch9wavefront6targetE1EEEvSY_
		.amdhsa_group_segment_fixed_size 0
		.amdhsa_private_segment_fixed_size 0
		.amdhsa_kernarg_size 144
		.amdhsa_user_sgpr_count 6
		.amdhsa_user_sgpr_private_segment_buffer 1
		.amdhsa_user_sgpr_dispatch_ptr 0
		.amdhsa_user_sgpr_queue_ptr 0
		.amdhsa_user_sgpr_kernarg_segment_ptr 1
		.amdhsa_user_sgpr_dispatch_id 0
		.amdhsa_user_sgpr_flat_scratch_init 0
		.amdhsa_user_sgpr_private_segment_size 0
		.amdhsa_uses_dynamic_stack 0
		.amdhsa_system_sgpr_private_segment_wavefront_offset 0
		.amdhsa_system_sgpr_workgroup_id_x 1
		.amdhsa_system_sgpr_workgroup_id_y 0
		.amdhsa_system_sgpr_workgroup_id_z 0
		.amdhsa_system_sgpr_workgroup_info 0
		.amdhsa_system_vgpr_workitem_id 0
		.amdhsa_next_free_vgpr 1
		.amdhsa_next_free_sgpr 0
		.amdhsa_reserve_vcc 0
		.amdhsa_reserve_flat_scratch 0
		.amdhsa_float_round_mode_32 0
		.amdhsa_float_round_mode_16_64 0
		.amdhsa_float_denorm_mode_32 3
		.amdhsa_float_denorm_mode_16_64 3
		.amdhsa_dx10_clamp 1
		.amdhsa_ieee_mode 1
		.amdhsa_fp16_overflow 0
		.amdhsa_exception_fp_ieee_invalid_op 0
		.amdhsa_exception_fp_denorm_src 0
		.amdhsa_exception_fp_ieee_div_zero 0
		.amdhsa_exception_fp_ieee_overflow 0
		.amdhsa_exception_fp_ieee_underflow 0
		.amdhsa_exception_fp_ieee_inexact 0
		.amdhsa_exception_int_div_zero 0
	.end_amdhsa_kernel
	.section	.text._ZN7rocprim17ROCPRIM_400000_NS6detail17trampoline_kernelINS0_13select_configILj256ELj13ELNS0_17block_load_methodE3ELS4_3ELS4_3ELNS0_20block_scan_algorithmE0ELj4294967295EEENS1_25partition_config_selectorILNS1_17partition_subalgoE3EjNS0_10empty_typeEbEEZZNS1_14partition_implILS8_3ELb0ES6_jNS0_17counting_iteratorIjlEEPS9_SE_NS0_5tupleIJPjSE_EEENSF_IJSE_SE_EEES9_SG_JZNS1_25segmented_radix_sort_implINS0_14default_configELb0EPKfPfPKlPlN2at6native12_GLOBAL__N_18offset_tEEE10hipError_tPvRmT1_PNSt15iterator_traitsISY_E10value_typeET2_T3_PNSZ_IS14_E10value_typeET4_jRbjT5_S1A_jjP12ihipStream_tbEUljE_EEESV_SW_SX_S14_S18_S1A_T6_T7_T9_mT8_S1C_bDpT10_ENKUlT_T0_E_clISt17integral_constantIbLb1EES1O_IbLb0EEEEDaS1K_S1L_EUlS1K_E_NS1_11comp_targetILNS1_3genE0ELNS1_11target_archE4294967295ELNS1_3gpuE0ELNS1_3repE0EEENS1_30default_config_static_selectorELNS0_4arch9wavefront6targetE1EEEvSY_,"axG",@progbits,_ZN7rocprim17ROCPRIM_400000_NS6detail17trampoline_kernelINS0_13select_configILj256ELj13ELNS0_17block_load_methodE3ELS4_3ELS4_3ELNS0_20block_scan_algorithmE0ELj4294967295EEENS1_25partition_config_selectorILNS1_17partition_subalgoE3EjNS0_10empty_typeEbEEZZNS1_14partition_implILS8_3ELb0ES6_jNS0_17counting_iteratorIjlEEPS9_SE_NS0_5tupleIJPjSE_EEENSF_IJSE_SE_EEES9_SG_JZNS1_25segmented_radix_sort_implINS0_14default_configELb0EPKfPfPKlPlN2at6native12_GLOBAL__N_18offset_tEEE10hipError_tPvRmT1_PNSt15iterator_traitsISY_E10value_typeET2_T3_PNSZ_IS14_E10value_typeET4_jRbjT5_S1A_jjP12ihipStream_tbEUljE_EEESV_SW_SX_S14_S18_S1A_T6_T7_T9_mT8_S1C_bDpT10_ENKUlT_T0_E_clISt17integral_constantIbLb1EES1O_IbLb0EEEEDaS1K_S1L_EUlS1K_E_NS1_11comp_targetILNS1_3genE0ELNS1_11target_archE4294967295ELNS1_3gpuE0ELNS1_3repE0EEENS1_30default_config_static_selectorELNS0_4arch9wavefront6targetE1EEEvSY_,comdat
.Lfunc_end1412:
	.size	_ZN7rocprim17ROCPRIM_400000_NS6detail17trampoline_kernelINS0_13select_configILj256ELj13ELNS0_17block_load_methodE3ELS4_3ELS4_3ELNS0_20block_scan_algorithmE0ELj4294967295EEENS1_25partition_config_selectorILNS1_17partition_subalgoE3EjNS0_10empty_typeEbEEZZNS1_14partition_implILS8_3ELb0ES6_jNS0_17counting_iteratorIjlEEPS9_SE_NS0_5tupleIJPjSE_EEENSF_IJSE_SE_EEES9_SG_JZNS1_25segmented_radix_sort_implINS0_14default_configELb0EPKfPfPKlPlN2at6native12_GLOBAL__N_18offset_tEEE10hipError_tPvRmT1_PNSt15iterator_traitsISY_E10value_typeET2_T3_PNSZ_IS14_E10value_typeET4_jRbjT5_S1A_jjP12ihipStream_tbEUljE_EEESV_SW_SX_S14_S18_S1A_T6_T7_T9_mT8_S1C_bDpT10_ENKUlT_T0_E_clISt17integral_constantIbLb1EES1O_IbLb0EEEEDaS1K_S1L_EUlS1K_E_NS1_11comp_targetILNS1_3genE0ELNS1_11target_archE4294967295ELNS1_3gpuE0ELNS1_3repE0EEENS1_30default_config_static_selectorELNS0_4arch9wavefront6targetE1EEEvSY_, .Lfunc_end1412-_ZN7rocprim17ROCPRIM_400000_NS6detail17trampoline_kernelINS0_13select_configILj256ELj13ELNS0_17block_load_methodE3ELS4_3ELS4_3ELNS0_20block_scan_algorithmE0ELj4294967295EEENS1_25partition_config_selectorILNS1_17partition_subalgoE3EjNS0_10empty_typeEbEEZZNS1_14partition_implILS8_3ELb0ES6_jNS0_17counting_iteratorIjlEEPS9_SE_NS0_5tupleIJPjSE_EEENSF_IJSE_SE_EEES9_SG_JZNS1_25segmented_radix_sort_implINS0_14default_configELb0EPKfPfPKlPlN2at6native12_GLOBAL__N_18offset_tEEE10hipError_tPvRmT1_PNSt15iterator_traitsISY_E10value_typeET2_T3_PNSZ_IS14_E10value_typeET4_jRbjT5_S1A_jjP12ihipStream_tbEUljE_EEESV_SW_SX_S14_S18_S1A_T6_T7_T9_mT8_S1C_bDpT10_ENKUlT_T0_E_clISt17integral_constantIbLb1EES1O_IbLb0EEEEDaS1K_S1L_EUlS1K_E_NS1_11comp_targetILNS1_3genE0ELNS1_11target_archE4294967295ELNS1_3gpuE0ELNS1_3repE0EEENS1_30default_config_static_selectorELNS0_4arch9wavefront6targetE1EEEvSY_
                                        ; -- End function
	.set _ZN7rocprim17ROCPRIM_400000_NS6detail17trampoline_kernelINS0_13select_configILj256ELj13ELNS0_17block_load_methodE3ELS4_3ELS4_3ELNS0_20block_scan_algorithmE0ELj4294967295EEENS1_25partition_config_selectorILNS1_17partition_subalgoE3EjNS0_10empty_typeEbEEZZNS1_14partition_implILS8_3ELb0ES6_jNS0_17counting_iteratorIjlEEPS9_SE_NS0_5tupleIJPjSE_EEENSF_IJSE_SE_EEES9_SG_JZNS1_25segmented_radix_sort_implINS0_14default_configELb0EPKfPfPKlPlN2at6native12_GLOBAL__N_18offset_tEEE10hipError_tPvRmT1_PNSt15iterator_traitsISY_E10value_typeET2_T3_PNSZ_IS14_E10value_typeET4_jRbjT5_S1A_jjP12ihipStream_tbEUljE_EEESV_SW_SX_S14_S18_S1A_T6_T7_T9_mT8_S1C_bDpT10_ENKUlT_T0_E_clISt17integral_constantIbLb1EES1O_IbLb0EEEEDaS1K_S1L_EUlS1K_E_NS1_11comp_targetILNS1_3genE0ELNS1_11target_archE4294967295ELNS1_3gpuE0ELNS1_3repE0EEENS1_30default_config_static_selectorELNS0_4arch9wavefront6targetE1EEEvSY_.num_vgpr, 0
	.set _ZN7rocprim17ROCPRIM_400000_NS6detail17trampoline_kernelINS0_13select_configILj256ELj13ELNS0_17block_load_methodE3ELS4_3ELS4_3ELNS0_20block_scan_algorithmE0ELj4294967295EEENS1_25partition_config_selectorILNS1_17partition_subalgoE3EjNS0_10empty_typeEbEEZZNS1_14partition_implILS8_3ELb0ES6_jNS0_17counting_iteratorIjlEEPS9_SE_NS0_5tupleIJPjSE_EEENSF_IJSE_SE_EEES9_SG_JZNS1_25segmented_radix_sort_implINS0_14default_configELb0EPKfPfPKlPlN2at6native12_GLOBAL__N_18offset_tEEE10hipError_tPvRmT1_PNSt15iterator_traitsISY_E10value_typeET2_T3_PNSZ_IS14_E10value_typeET4_jRbjT5_S1A_jjP12ihipStream_tbEUljE_EEESV_SW_SX_S14_S18_S1A_T6_T7_T9_mT8_S1C_bDpT10_ENKUlT_T0_E_clISt17integral_constantIbLb1EES1O_IbLb0EEEEDaS1K_S1L_EUlS1K_E_NS1_11comp_targetILNS1_3genE0ELNS1_11target_archE4294967295ELNS1_3gpuE0ELNS1_3repE0EEENS1_30default_config_static_selectorELNS0_4arch9wavefront6targetE1EEEvSY_.num_agpr, 0
	.set _ZN7rocprim17ROCPRIM_400000_NS6detail17trampoline_kernelINS0_13select_configILj256ELj13ELNS0_17block_load_methodE3ELS4_3ELS4_3ELNS0_20block_scan_algorithmE0ELj4294967295EEENS1_25partition_config_selectorILNS1_17partition_subalgoE3EjNS0_10empty_typeEbEEZZNS1_14partition_implILS8_3ELb0ES6_jNS0_17counting_iteratorIjlEEPS9_SE_NS0_5tupleIJPjSE_EEENSF_IJSE_SE_EEES9_SG_JZNS1_25segmented_radix_sort_implINS0_14default_configELb0EPKfPfPKlPlN2at6native12_GLOBAL__N_18offset_tEEE10hipError_tPvRmT1_PNSt15iterator_traitsISY_E10value_typeET2_T3_PNSZ_IS14_E10value_typeET4_jRbjT5_S1A_jjP12ihipStream_tbEUljE_EEESV_SW_SX_S14_S18_S1A_T6_T7_T9_mT8_S1C_bDpT10_ENKUlT_T0_E_clISt17integral_constantIbLb1EES1O_IbLb0EEEEDaS1K_S1L_EUlS1K_E_NS1_11comp_targetILNS1_3genE0ELNS1_11target_archE4294967295ELNS1_3gpuE0ELNS1_3repE0EEENS1_30default_config_static_selectorELNS0_4arch9wavefront6targetE1EEEvSY_.numbered_sgpr, 0
	.set _ZN7rocprim17ROCPRIM_400000_NS6detail17trampoline_kernelINS0_13select_configILj256ELj13ELNS0_17block_load_methodE3ELS4_3ELS4_3ELNS0_20block_scan_algorithmE0ELj4294967295EEENS1_25partition_config_selectorILNS1_17partition_subalgoE3EjNS0_10empty_typeEbEEZZNS1_14partition_implILS8_3ELb0ES6_jNS0_17counting_iteratorIjlEEPS9_SE_NS0_5tupleIJPjSE_EEENSF_IJSE_SE_EEES9_SG_JZNS1_25segmented_radix_sort_implINS0_14default_configELb0EPKfPfPKlPlN2at6native12_GLOBAL__N_18offset_tEEE10hipError_tPvRmT1_PNSt15iterator_traitsISY_E10value_typeET2_T3_PNSZ_IS14_E10value_typeET4_jRbjT5_S1A_jjP12ihipStream_tbEUljE_EEESV_SW_SX_S14_S18_S1A_T6_T7_T9_mT8_S1C_bDpT10_ENKUlT_T0_E_clISt17integral_constantIbLb1EES1O_IbLb0EEEEDaS1K_S1L_EUlS1K_E_NS1_11comp_targetILNS1_3genE0ELNS1_11target_archE4294967295ELNS1_3gpuE0ELNS1_3repE0EEENS1_30default_config_static_selectorELNS0_4arch9wavefront6targetE1EEEvSY_.num_named_barrier, 0
	.set _ZN7rocprim17ROCPRIM_400000_NS6detail17trampoline_kernelINS0_13select_configILj256ELj13ELNS0_17block_load_methodE3ELS4_3ELS4_3ELNS0_20block_scan_algorithmE0ELj4294967295EEENS1_25partition_config_selectorILNS1_17partition_subalgoE3EjNS0_10empty_typeEbEEZZNS1_14partition_implILS8_3ELb0ES6_jNS0_17counting_iteratorIjlEEPS9_SE_NS0_5tupleIJPjSE_EEENSF_IJSE_SE_EEES9_SG_JZNS1_25segmented_radix_sort_implINS0_14default_configELb0EPKfPfPKlPlN2at6native12_GLOBAL__N_18offset_tEEE10hipError_tPvRmT1_PNSt15iterator_traitsISY_E10value_typeET2_T3_PNSZ_IS14_E10value_typeET4_jRbjT5_S1A_jjP12ihipStream_tbEUljE_EEESV_SW_SX_S14_S18_S1A_T6_T7_T9_mT8_S1C_bDpT10_ENKUlT_T0_E_clISt17integral_constantIbLb1EES1O_IbLb0EEEEDaS1K_S1L_EUlS1K_E_NS1_11comp_targetILNS1_3genE0ELNS1_11target_archE4294967295ELNS1_3gpuE0ELNS1_3repE0EEENS1_30default_config_static_selectorELNS0_4arch9wavefront6targetE1EEEvSY_.private_seg_size, 0
	.set _ZN7rocprim17ROCPRIM_400000_NS6detail17trampoline_kernelINS0_13select_configILj256ELj13ELNS0_17block_load_methodE3ELS4_3ELS4_3ELNS0_20block_scan_algorithmE0ELj4294967295EEENS1_25partition_config_selectorILNS1_17partition_subalgoE3EjNS0_10empty_typeEbEEZZNS1_14partition_implILS8_3ELb0ES6_jNS0_17counting_iteratorIjlEEPS9_SE_NS0_5tupleIJPjSE_EEENSF_IJSE_SE_EEES9_SG_JZNS1_25segmented_radix_sort_implINS0_14default_configELb0EPKfPfPKlPlN2at6native12_GLOBAL__N_18offset_tEEE10hipError_tPvRmT1_PNSt15iterator_traitsISY_E10value_typeET2_T3_PNSZ_IS14_E10value_typeET4_jRbjT5_S1A_jjP12ihipStream_tbEUljE_EEESV_SW_SX_S14_S18_S1A_T6_T7_T9_mT8_S1C_bDpT10_ENKUlT_T0_E_clISt17integral_constantIbLb1EES1O_IbLb0EEEEDaS1K_S1L_EUlS1K_E_NS1_11comp_targetILNS1_3genE0ELNS1_11target_archE4294967295ELNS1_3gpuE0ELNS1_3repE0EEENS1_30default_config_static_selectorELNS0_4arch9wavefront6targetE1EEEvSY_.uses_vcc, 0
	.set _ZN7rocprim17ROCPRIM_400000_NS6detail17trampoline_kernelINS0_13select_configILj256ELj13ELNS0_17block_load_methodE3ELS4_3ELS4_3ELNS0_20block_scan_algorithmE0ELj4294967295EEENS1_25partition_config_selectorILNS1_17partition_subalgoE3EjNS0_10empty_typeEbEEZZNS1_14partition_implILS8_3ELb0ES6_jNS0_17counting_iteratorIjlEEPS9_SE_NS0_5tupleIJPjSE_EEENSF_IJSE_SE_EEES9_SG_JZNS1_25segmented_radix_sort_implINS0_14default_configELb0EPKfPfPKlPlN2at6native12_GLOBAL__N_18offset_tEEE10hipError_tPvRmT1_PNSt15iterator_traitsISY_E10value_typeET2_T3_PNSZ_IS14_E10value_typeET4_jRbjT5_S1A_jjP12ihipStream_tbEUljE_EEESV_SW_SX_S14_S18_S1A_T6_T7_T9_mT8_S1C_bDpT10_ENKUlT_T0_E_clISt17integral_constantIbLb1EES1O_IbLb0EEEEDaS1K_S1L_EUlS1K_E_NS1_11comp_targetILNS1_3genE0ELNS1_11target_archE4294967295ELNS1_3gpuE0ELNS1_3repE0EEENS1_30default_config_static_selectorELNS0_4arch9wavefront6targetE1EEEvSY_.uses_flat_scratch, 0
	.set _ZN7rocprim17ROCPRIM_400000_NS6detail17trampoline_kernelINS0_13select_configILj256ELj13ELNS0_17block_load_methodE3ELS4_3ELS4_3ELNS0_20block_scan_algorithmE0ELj4294967295EEENS1_25partition_config_selectorILNS1_17partition_subalgoE3EjNS0_10empty_typeEbEEZZNS1_14partition_implILS8_3ELb0ES6_jNS0_17counting_iteratorIjlEEPS9_SE_NS0_5tupleIJPjSE_EEENSF_IJSE_SE_EEES9_SG_JZNS1_25segmented_radix_sort_implINS0_14default_configELb0EPKfPfPKlPlN2at6native12_GLOBAL__N_18offset_tEEE10hipError_tPvRmT1_PNSt15iterator_traitsISY_E10value_typeET2_T3_PNSZ_IS14_E10value_typeET4_jRbjT5_S1A_jjP12ihipStream_tbEUljE_EEESV_SW_SX_S14_S18_S1A_T6_T7_T9_mT8_S1C_bDpT10_ENKUlT_T0_E_clISt17integral_constantIbLb1EES1O_IbLb0EEEEDaS1K_S1L_EUlS1K_E_NS1_11comp_targetILNS1_3genE0ELNS1_11target_archE4294967295ELNS1_3gpuE0ELNS1_3repE0EEENS1_30default_config_static_selectorELNS0_4arch9wavefront6targetE1EEEvSY_.has_dyn_sized_stack, 0
	.set _ZN7rocprim17ROCPRIM_400000_NS6detail17trampoline_kernelINS0_13select_configILj256ELj13ELNS0_17block_load_methodE3ELS4_3ELS4_3ELNS0_20block_scan_algorithmE0ELj4294967295EEENS1_25partition_config_selectorILNS1_17partition_subalgoE3EjNS0_10empty_typeEbEEZZNS1_14partition_implILS8_3ELb0ES6_jNS0_17counting_iteratorIjlEEPS9_SE_NS0_5tupleIJPjSE_EEENSF_IJSE_SE_EEES9_SG_JZNS1_25segmented_radix_sort_implINS0_14default_configELb0EPKfPfPKlPlN2at6native12_GLOBAL__N_18offset_tEEE10hipError_tPvRmT1_PNSt15iterator_traitsISY_E10value_typeET2_T3_PNSZ_IS14_E10value_typeET4_jRbjT5_S1A_jjP12ihipStream_tbEUljE_EEESV_SW_SX_S14_S18_S1A_T6_T7_T9_mT8_S1C_bDpT10_ENKUlT_T0_E_clISt17integral_constantIbLb1EES1O_IbLb0EEEEDaS1K_S1L_EUlS1K_E_NS1_11comp_targetILNS1_3genE0ELNS1_11target_archE4294967295ELNS1_3gpuE0ELNS1_3repE0EEENS1_30default_config_static_selectorELNS0_4arch9wavefront6targetE1EEEvSY_.has_recursion, 0
	.set _ZN7rocprim17ROCPRIM_400000_NS6detail17trampoline_kernelINS0_13select_configILj256ELj13ELNS0_17block_load_methodE3ELS4_3ELS4_3ELNS0_20block_scan_algorithmE0ELj4294967295EEENS1_25partition_config_selectorILNS1_17partition_subalgoE3EjNS0_10empty_typeEbEEZZNS1_14partition_implILS8_3ELb0ES6_jNS0_17counting_iteratorIjlEEPS9_SE_NS0_5tupleIJPjSE_EEENSF_IJSE_SE_EEES9_SG_JZNS1_25segmented_radix_sort_implINS0_14default_configELb0EPKfPfPKlPlN2at6native12_GLOBAL__N_18offset_tEEE10hipError_tPvRmT1_PNSt15iterator_traitsISY_E10value_typeET2_T3_PNSZ_IS14_E10value_typeET4_jRbjT5_S1A_jjP12ihipStream_tbEUljE_EEESV_SW_SX_S14_S18_S1A_T6_T7_T9_mT8_S1C_bDpT10_ENKUlT_T0_E_clISt17integral_constantIbLb1EES1O_IbLb0EEEEDaS1K_S1L_EUlS1K_E_NS1_11comp_targetILNS1_3genE0ELNS1_11target_archE4294967295ELNS1_3gpuE0ELNS1_3repE0EEENS1_30default_config_static_selectorELNS0_4arch9wavefront6targetE1EEEvSY_.has_indirect_call, 0
	.section	.AMDGPU.csdata,"",@progbits
; Kernel info:
; codeLenInByte = 0
; TotalNumSgprs: 4
; NumVgprs: 0
; ScratchSize: 0
; MemoryBound: 0
; FloatMode: 240
; IeeeMode: 1
; LDSByteSize: 0 bytes/workgroup (compile time only)
; SGPRBlocks: 0
; VGPRBlocks: 0
; NumSGPRsForWavesPerEU: 4
; NumVGPRsForWavesPerEU: 1
; Occupancy: 10
; WaveLimiterHint : 0
; COMPUTE_PGM_RSRC2:SCRATCH_EN: 0
; COMPUTE_PGM_RSRC2:USER_SGPR: 6
; COMPUTE_PGM_RSRC2:TRAP_HANDLER: 0
; COMPUTE_PGM_RSRC2:TGID_X_EN: 1
; COMPUTE_PGM_RSRC2:TGID_Y_EN: 0
; COMPUTE_PGM_RSRC2:TGID_Z_EN: 0
; COMPUTE_PGM_RSRC2:TIDIG_COMP_CNT: 0
	.section	.text._ZN7rocprim17ROCPRIM_400000_NS6detail17trampoline_kernelINS0_13select_configILj256ELj13ELNS0_17block_load_methodE3ELS4_3ELS4_3ELNS0_20block_scan_algorithmE0ELj4294967295EEENS1_25partition_config_selectorILNS1_17partition_subalgoE3EjNS0_10empty_typeEbEEZZNS1_14partition_implILS8_3ELb0ES6_jNS0_17counting_iteratorIjlEEPS9_SE_NS0_5tupleIJPjSE_EEENSF_IJSE_SE_EEES9_SG_JZNS1_25segmented_radix_sort_implINS0_14default_configELb0EPKfPfPKlPlN2at6native12_GLOBAL__N_18offset_tEEE10hipError_tPvRmT1_PNSt15iterator_traitsISY_E10value_typeET2_T3_PNSZ_IS14_E10value_typeET4_jRbjT5_S1A_jjP12ihipStream_tbEUljE_EEESV_SW_SX_S14_S18_S1A_T6_T7_T9_mT8_S1C_bDpT10_ENKUlT_T0_E_clISt17integral_constantIbLb1EES1O_IbLb0EEEEDaS1K_S1L_EUlS1K_E_NS1_11comp_targetILNS1_3genE5ELNS1_11target_archE942ELNS1_3gpuE9ELNS1_3repE0EEENS1_30default_config_static_selectorELNS0_4arch9wavefront6targetE1EEEvSY_,"axG",@progbits,_ZN7rocprim17ROCPRIM_400000_NS6detail17trampoline_kernelINS0_13select_configILj256ELj13ELNS0_17block_load_methodE3ELS4_3ELS4_3ELNS0_20block_scan_algorithmE0ELj4294967295EEENS1_25partition_config_selectorILNS1_17partition_subalgoE3EjNS0_10empty_typeEbEEZZNS1_14partition_implILS8_3ELb0ES6_jNS0_17counting_iteratorIjlEEPS9_SE_NS0_5tupleIJPjSE_EEENSF_IJSE_SE_EEES9_SG_JZNS1_25segmented_radix_sort_implINS0_14default_configELb0EPKfPfPKlPlN2at6native12_GLOBAL__N_18offset_tEEE10hipError_tPvRmT1_PNSt15iterator_traitsISY_E10value_typeET2_T3_PNSZ_IS14_E10value_typeET4_jRbjT5_S1A_jjP12ihipStream_tbEUljE_EEESV_SW_SX_S14_S18_S1A_T6_T7_T9_mT8_S1C_bDpT10_ENKUlT_T0_E_clISt17integral_constantIbLb1EES1O_IbLb0EEEEDaS1K_S1L_EUlS1K_E_NS1_11comp_targetILNS1_3genE5ELNS1_11target_archE942ELNS1_3gpuE9ELNS1_3repE0EEENS1_30default_config_static_selectorELNS0_4arch9wavefront6targetE1EEEvSY_,comdat
	.globl	_ZN7rocprim17ROCPRIM_400000_NS6detail17trampoline_kernelINS0_13select_configILj256ELj13ELNS0_17block_load_methodE3ELS4_3ELS4_3ELNS0_20block_scan_algorithmE0ELj4294967295EEENS1_25partition_config_selectorILNS1_17partition_subalgoE3EjNS0_10empty_typeEbEEZZNS1_14partition_implILS8_3ELb0ES6_jNS0_17counting_iteratorIjlEEPS9_SE_NS0_5tupleIJPjSE_EEENSF_IJSE_SE_EEES9_SG_JZNS1_25segmented_radix_sort_implINS0_14default_configELb0EPKfPfPKlPlN2at6native12_GLOBAL__N_18offset_tEEE10hipError_tPvRmT1_PNSt15iterator_traitsISY_E10value_typeET2_T3_PNSZ_IS14_E10value_typeET4_jRbjT5_S1A_jjP12ihipStream_tbEUljE_EEESV_SW_SX_S14_S18_S1A_T6_T7_T9_mT8_S1C_bDpT10_ENKUlT_T0_E_clISt17integral_constantIbLb1EES1O_IbLb0EEEEDaS1K_S1L_EUlS1K_E_NS1_11comp_targetILNS1_3genE5ELNS1_11target_archE942ELNS1_3gpuE9ELNS1_3repE0EEENS1_30default_config_static_selectorELNS0_4arch9wavefront6targetE1EEEvSY_ ; -- Begin function _ZN7rocprim17ROCPRIM_400000_NS6detail17trampoline_kernelINS0_13select_configILj256ELj13ELNS0_17block_load_methodE3ELS4_3ELS4_3ELNS0_20block_scan_algorithmE0ELj4294967295EEENS1_25partition_config_selectorILNS1_17partition_subalgoE3EjNS0_10empty_typeEbEEZZNS1_14partition_implILS8_3ELb0ES6_jNS0_17counting_iteratorIjlEEPS9_SE_NS0_5tupleIJPjSE_EEENSF_IJSE_SE_EEES9_SG_JZNS1_25segmented_radix_sort_implINS0_14default_configELb0EPKfPfPKlPlN2at6native12_GLOBAL__N_18offset_tEEE10hipError_tPvRmT1_PNSt15iterator_traitsISY_E10value_typeET2_T3_PNSZ_IS14_E10value_typeET4_jRbjT5_S1A_jjP12ihipStream_tbEUljE_EEESV_SW_SX_S14_S18_S1A_T6_T7_T9_mT8_S1C_bDpT10_ENKUlT_T0_E_clISt17integral_constantIbLb1EES1O_IbLb0EEEEDaS1K_S1L_EUlS1K_E_NS1_11comp_targetILNS1_3genE5ELNS1_11target_archE942ELNS1_3gpuE9ELNS1_3repE0EEENS1_30default_config_static_selectorELNS0_4arch9wavefront6targetE1EEEvSY_
	.p2align	8
	.type	_ZN7rocprim17ROCPRIM_400000_NS6detail17trampoline_kernelINS0_13select_configILj256ELj13ELNS0_17block_load_methodE3ELS4_3ELS4_3ELNS0_20block_scan_algorithmE0ELj4294967295EEENS1_25partition_config_selectorILNS1_17partition_subalgoE3EjNS0_10empty_typeEbEEZZNS1_14partition_implILS8_3ELb0ES6_jNS0_17counting_iteratorIjlEEPS9_SE_NS0_5tupleIJPjSE_EEENSF_IJSE_SE_EEES9_SG_JZNS1_25segmented_radix_sort_implINS0_14default_configELb0EPKfPfPKlPlN2at6native12_GLOBAL__N_18offset_tEEE10hipError_tPvRmT1_PNSt15iterator_traitsISY_E10value_typeET2_T3_PNSZ_IS14_E10value_typeET4_jRbjT5_S1A_jjP12ihipStream_tbEUljE_EEESV_SW_SX_S14_S18_S1A_T6_T7_T9_mT8_S1C_bDpT10_ENKUlT_T0_E_clISt17integral_constantIbLb1EES1O_IbLb0EEEEDaS1K_S1L_EUlS1K_E_NS1_11comp_targetILNS1_3genE5ELNS1_11target_archE942ELNS1_3gpuE9ELNS1_3repE0EEENS1_30default_config_static_selectorELNS0_4arch9wavefront6targetE1EEEvSY_,@function
_ZN7rocprim17ROCPRIM_400000_NS6detail17trampoline_kernelINS0_13select_configILj256ELj13ELNS0_17block_load_methodE3ELS4_3ELS4_3ELNS0_20block_scan_algorithmE0ELj4294967295EEENS1_25partition_config_selectorILNS1_17partition_subalgoE3EjNS0_10empty_typeEbEEZZNS1_14partition_implILS8_3ELb0ES6_jNS0_17counting_iteratorIjlEEPS9_SE_NS0_5tupleIJPjSE_EEENSF_IJSE_SE_EEES9_SG_JZNS1_25segmented_radix_sort_implINS0_14default_configELb0EPKfPfPKlPlN2at6native12_GLOBAL__N_18offset_tEEE10hipError_tPvRmT1_PNSt15iterator_traitsISY_E10value_typeET2_T3_PNSZ_IS14_E10value_typeET4_jRbjT5_S1A_jjP12ihipStream_tbEUljE_EEESV_SW_SX_S14_S18_S1A_T6_T7_T9_mT8_S1C_bDpT10_ENKUlT_T0_E_clISt17integral_constantIbLb1EES1O_IbLb0EEEEDaS1K_S1L_EUlS1K_E_NS1_11comp_targetILNS1_3genE5ELNS1_11target_archE942ELNS1_3gpuE9ELNS1_3repE0EEENS1_30default_config_static_selectorELNS0_4arch9wavefront6targetE1EEEvSY_: ; @_ZN7rocprim17ROCPRIM_400000_NS6detail17trampoline_kernelINS0_13select_configILj256ELj13ELNS0_17block_load_methodE3ELS4_3ELS4_3ELNS0_20block_scan_algorithmE0ELj4294967295EEENS1_25partition_config_selectorILNS1_17partition_subalgoE3EjNS0_10empty_typeEbEEZZNS1_14partition_implILS8_3ELb0ES6_jNS0_17counting_iteratorIjlEEPS9_SE_NS0_5tupleIJPjSE_EEENSF_IJSE_SE_EEES9_SG_JZNS1_25segmented_radix_sort_implINS0_14default_configELb0EPKfPfPKlPlN2at6native12_GLOBAL__N_18offset_tEEE10hipError_tPvRmT1_PNSt15iterator_traitsISY_E10value_typeET2_T3_PNSZ_IS14_E10value_typeET4_jRbjT5_S1A_jjP12ihipStream_tbEUljE_EEESV_SW_SX_S14_S18_S1A_T6_T7_T9_mT8_S1C_bDpT10_ENKUlT_T0_E_clISt17integral_constantIbLb1EES1O_IbLb0EEEEDaS1K_S1L_EUlS1K_E_NS1_11comp_targetILNS1_3genE5ELNS1_11target_archE942ELNS1_3gpuE9ELNS1_3repE0EEENS1_30default_config_static_selectorELNS0_4arch9wavefront6targetE1EEEvSY_
; %bb.0:
	.section	.rodata,"a",@progbits
	.p2align	6, 0x0
	.amdhsa_kernel _ZN7rocprim17ROCPRIM_400000_NS6detail17trampoline_kernelINS0_13select_configILj256ELj13ELNS0_17block_load_methodE3ELS4_3ELS4_3ELNS0_20block_scan_algorithmE0ELj4294967295EEENS1_25partition_config_selectorILNS1_17partition_subalgoE3EjNS0_10empty_typeEbEEZZNS1_14partition_implILS8_3ELb0ES6_jNS0_17counting_iteratorIjlEEPS9_SE_NS0_5tupleIJPjSE_EEENSF_IJSE_SE_EEES9_SG_JZNS1_25segmented_radix_sort_implINS0_14default_configELb0EPKfPfPKlPlN2at6native12_GLOBAL__N_18offset_tEEE10hipError_tPvRmT1_PNSt15iterator_traitsISY_E10value_typeET2_T3_PNSZ_IS14_E10value_typeET4_jRbjT5_S1A_jjP12ihipStream_tbEUljE_EEESV_SW_SX_S14_S18_S1A_T6_T7_T9_mT8_S1C_bDpT10_ENKUlT_T0_E_clISt17integral_constantIbLb1EES1O_IbLb0EEEEDaS1K_S1L_EUlS1K_E_NS1_11comp_targetILNS1_3genE5ELNS1_11target_archE942ELNS1_3gpuE9ELNS1_3repE0EEENS1_30default_config_static_selectorELNS0_4arch9wavefront6targetE1EEEvSY_
		.amdhsa_group_segment_fixed_size 0
		.amdhsa_private_segment_fixed_size 0
		.amdhsa_kernarg_size 144
		.amdhsa_user_sgpr_count 6
		.amdhsa_user_sgpr_private_segment_buffer 1
		.amdhsa_user_sgpr_dispatch_ptr 0
		.amdhsa_user_sgpr_queue_ptr 0
		.amdhsa_user_sgpr_kernarg_segment_ptr 1
		.amdhsa_user_sgpr_dispatch_id 0
		.amdhsa_user_sgpr_flat_scratch_init 0
		.amdhsa_user_sgpr_private_segment_size 0
		.amdhsa_uses_dynamic_stack 0
		.amdhsa_system_sgpr_private_segment_wavefront_offset 0
		.amdhsa_system_sgpr_workgroup_id_x 1
		.amdhsa_system_sgpr_workgroup_id_y 0
		.amdhsa_system_sgpr_workgroup_id_z 0
		.amdhsa_system_sgpr_workgroup_info 0
		.amdhsa_system_vgpr_workitem_id 0
		.amdhsa_next_free_vgpr 1
		.amdhsa_next_free_sgpr 0
		.amdhsa_reserve_vcc 0
		.amdhsa_reserve_flat_scratch 0
		.amdhsa_float_round_mode_32 0
		.amdhsa_float_round_mode_16_64 0
		.amdhsa_float_denorm_mode_32 3
		.amdhsa_float_denorm_mode_16_64 3
		.amdhsa_dx10_clamp 1
		.amdhsa_ieee_mode 1
		.amdhsa_fp16_overflow 0
		.amdhsa_exception_fp_ieee_invalid_op 0
		.amdhsa_exception_fp_denorm_src 0
		.amdhsa_exception_fp_ieee_div_zero 0
		.amdhsa_exception_fp_ieee_overflow 0
		.amdhsa_exception_fp_ieee_underflow 0
		.amdhsa_exception_fp_ieee_inexact 0
		.amdhsa_exception_int_div_zero 0
	.end_amdhsa_kernel
	.section	.text._ZN7rocprim17ROCPRIM_400000_NS6detail17trampoline_kernelINS0_13select_configILj256ELj13ELNS0_17block_load_methodE3ELS4_3ELS4_3ELNS0_20block_scan_algorithmE0ELj4294967295EEENS1_25partition_config_selectorILNS1_17partition_subalgoE3EjNS0_10empty_typeEbEEZZNS1_14partition_implILS8_3ELb0ES6_jNS0_17counting_iteratorIjlEEPS9_SE_NS0_5tupleIJPjSE_EEENSF_IJSE_SE_EEES9_SG_JZNS1_25segmented_radix_sort_implINS0_14default_configELb0EPKfPfPKlPlN2at6native12_GLOBAL__N_18offset_tEEE10hipError_tPvRmT1_PNSt15iterator_traitsISY_E10value_typeET2_T3_PNSZ_IS14_E10value_typeET4_jRbjT5_S1A_jjP12ihipStream_tbEUljE_EEESV_SW_SX_S14_S18_S1A_T6_T7_T9_mT8_S1C_bDpT10_ENKUlT_T0_E_clISt17integral_constantIbLb1EES1O_IbLb0EEEEDaS1K_S1L_EUlS1K_E_NS1_11comp_targetILNS1_3genE5ELNS1_11target_archE942ELNS1_3gpuE9ELNS1_3repE0EEENS1_30default_config_static_selectorELNS0_4arch9wavefront6targetE1EEEvSY_,"axG",@progbits,_ZN7rocprim17ROCPRIM_400000_NS6detail17trampoline_kernelINS0_13select_configILj256ELj13ELNS0_17block_load_methodE3ELS4_3ELS4_3ELNS0_20block_scan_algorithmE0ELj4294967295EEENS1_25partition_config_selectorILNS1_17partition_subalgoE3EjNS0_10empty_typeEbEEZZNS1_14partition_implILS8_3ELb0ES6_jNS0_17counting_iteratorIjlEEPS9_SE_NS0_5tupleIJPjSE_EEENSF_IJSE_SE_EEES9_SG_JZNS1_25segmented_radix_sort_implINS0_14default_configELb0EPKfPfPKlPlN2at6native12_GLOBAL__N_18offset_tEEE10hipError_tPvRmT1_PNSt15iterator_traitsISY_E10value_typeET2_T3_PNSZ_IS14_E10value_typeET4_jRbjT5_S1A_jjP12ihipStream_tbEUljE_EEESV_SW_SX_S14_S18_S1A_T6_T7_T9_mT8_S1C_bDpT10_ENKUlT_T0_E_clISt17integral_constantIbLb1EES1O_IbLb0EEEEDaS1K_S1L_EUlS1K_E_NS1_11comp_targetILNS1_3genE5ELNS1_11target_archE942ELNS1_3gpuE9ELNS1_3repE0EEENS1_30default_config_static_selectorELNS0_4arch9wavefront6targetE1EEEvSY_,comdat
.Lfunc_end1413:
	.size	_ZN7rocprim17ROCPRIM_400000_NS6detail17trampoline_kernelINS0_13select_configILj256ELj13ELNS0_17block_load_methodE3ELS4_3ELS4_3ELNS0_20block_scan_algorithmE0ELj4294967295EEENS1_25partition_config_selectorILNS1_17partition_subalgoE3EjNS0_10empty_typeEbEEZZNS1_14partition_implILS8_3ELb0ES6_jNS0_17counting_iteratorIjlEEPS9_SE_NS0_5tupleIJPjSE_EEENSF_IJSE_SE_EEES9_SG_JZNS1_25segmented_radix_sort_implINS0_14default_configELb0EPKfPfPKlPlN2at6native12_GLOBAL__N_18offset_tEEE10hipError_tPvRmT1_PNSt15iterator_traitsISY_E10value_typeET2_T3_PNSZ_IS14_E10value_typeET4_jRbjT5_S1A_jjP12ihipStream_tbEUljE_EEESV_SW_SX_S14_S18_S1A_T6_T7_T9_mT8_S1C_bDpT10_ENKUlT_T0_E_clISt17integral_constantIbLb1EES1O_IbLb0EEEEDaS1K_S1L_EUlS1K_E_NS1_11comp_targetILNS1_3genE5ELNS1_11target_archE942ELNS1_3gpuE9ELNS1_3repE0EEENS1_30default_config_static_selectorELNS0_4arch9wavefront6targetE1EEEvSY_, .Lfunc_end1413-_ZN7rocprim17ROCPRIM_400000_NS6detail17trampoline_kernelINS0_13select_configILj256ELj13ELNS0_17block_load_methodE3ELS4_3ELS4_3ELNS0_20block_scan_algorithmE0ELj4294967295EEENS1_25partition_config_selectorILNS1_17partition_subalgoE3EjNS0_10empty_typeEbEEZZNS1_14partition_implILS8_3ELb0ES6_jNS0_17counting_iteratorIjlEEPS9_SE_NS0_5tupleIJPjSE_EEENSF_IJSE_SE_EEES9_SG_JZNS1_25segmented_radix_sort_implINS0_14default_configELb0EPKfPfPKlPlN2at6native12_GLOBAL__N_18offset_tEEE10hipError_tPvRmT1_PNSt15iterator_traitsISY_E10value_typeET2_T3_PNSZ_IS14_E10value_typeET4_jRbjT5_S1A_jjP12ihipStream_tbEUljE_EEESV_SW_SX_S14_S18_S1A_T6_T7_T9_mT8_S1C_bDpT10_ENKUlT_T0_E_clISt17integral_constantIbLb1EES1O_IbLb0EEEEDaS1K_S1L_EUlS1K_E_NS1_11comp_targetILNS1_3genE5ELNS1_11target_archE942ELNS1_3gpuE9ELNS1_3repE0EEENS1_30default_config_static_selectorELNS0_4arch9wavefront6targetE1EEEvSY_
                                        ; -- End function
	.set _ZN7rocprim17ROCPRIM_400000_NS6detail17trampoline_kernelINS0_13select_configILj256ELj13ELNS0_17block_load_methodE3ELS4_3ELS4_3ELNS0_20block_scan_algorithmE0ELj4294967295EEENS1_25partition_config_selectorILNS1_17partition_subalgoE3EjNS0_10empty_typeEbEEZZNS1_14partition_implILS8_3ELb0ES6_jNS0_17counting_iteratorIjlEEPS9_SE_NS0_5tupleIJPjSE_EEENSF_IJSE_SE_EEES9_SG_JZNS1_25segmented_radix_sort_implINS0_14default_configELb0EPKfPfPKlPlN2at6native12_GLOBAL__N_18offset_tEEE10hipError_tPvRmT1_PNSt15iterator_traitsISY_E10value_typeET2_T3_PNSZ_IS14_E10value_typeET4_jRbjT5_S1A_jjP12ihipStream_tbEUljE_EEESV_SW_SX_S14_S18_S1A_T6_T7_T9_mT8_S1C_bDpT10_ENKUlT_T0_E_clISt17integral_constantIbLb1EES1O_IbLb0EEEEDaS1K_S1L_EUlS1K_E_NS1_11comp_targetILNS1_3genE5ELNS1_11target_archE942ELNS1_3gpuE9ELNS1_3repE0EEENS1_30default_config_static_selectorELNS0_4arch9wavefront6targetE1EEEvSY_.num_vgpr, 0
	.set _ZN7rocprim17ROCPRIM_400000_NS6detail17trampoline_kernelINS0_13select_configILj256ELj13ELNS0_17block_load_methodE3ELS4_3ELS4_3ELNS0_20block_scan_algorithmE0ELj4294967295EEENS1_25partition_config_selectorILNS1_17partition_subalgoE3EjNS0_10empty_typeEbEEZZNS1_14partition_implILS8_3ELb0ES6_jNS0_17counting_iteratorIjlEEPS9_SE_NS0_5tupleIJPjSE_EEENSF_IJSE_SE_EEES9_SG_JZNS1_25segmented_radix_sort_implINS0_14default_configELb0EPKfPfPKlPlN2at6native12_GLOBAL__N_18offset_tEEE10hipError_tPvRmT1_PNSt15iterator_traitsISY_E10value_typeET2_T3_PNSZ_IS14_E10value_typeET4_jRbjT5_S1A_jjP12ihipStream_tbEUljE_EEESV_SW_SX_S14_S18_S1A_T6_T7_T9_mT8_S1C_bDpT10_ENKUlT_T0_E_clISt17integral_constantIbLb1EES1O_IbLb0EEEEDaS1K_S1L_EUlS1K_E_NS1_11comp_targetILNS1_3genE5ELNS1_11target_archE942ELNS1_3gpuE9ELNS1_3repE0EEENS1_30default_config_static_selectorELNS0_4arch9wavefront6targetE1EEEvSY_.num_agpr, 0
	.set _ZN7rocprim17ROCPRIM_400000_NS6detail17trampoline_kernelINS0_13select_configILj256ELj13ELNS0_17block_load_methodE3ELS4_3ELS4_3ELNS0_20block_scan_algorithmE0ELj4294967295EEENS1_25partition_config_selectorILNS1_17partition_subalgoE3EjNS0_10empty_typeEbEEZZNS1_14partition_implILS8_3ELb0ES6_jNS0_17counting_iteratorIjlEEPS9_SE_NS0_5tupleIJPjSE_EEENSF_IJSE_SE_EEES9_SG_JZNS1_25segmented_radix_sort_implINS0_14default_configELb0EPKfPfPKlPlN2at6native12_GLOBAL__N_18offset_tEEE10hipError_tPvRmT1_PNSt15iterator_traitsISY_E10value_typeET2_T3_PNSZ_IS14_E10value_typeET4_jRbjT5_S1A_jjP12ihipStream_tbEUljE_EEESV_SW_SX_S14_S18_S1A_T6_T7_T9_mT8_S1C_bDpT10_ENKUlT_T0_E_clISt17integral_constantIbLb1EES1O_IbLb0EEEEDaS1K_S1L_EUlS1K_E_NS1_11comp_targetILNS1_3genE5ELNS1_11target_archE942ELNS1_3gpuE9ELNS1_3repE0EEENS1_30default_config_static_selectorELNS0_4arch9wavefront6targetE1EEEvSY_.numbered_sgpr, 0
	.set _ZN7rocprim17ROCPRIM_400000_NS6detail17trampoline_kernelINS0_13select_configILj256ELj13ELNS0_17block_load_methodE3ELS4_3ELS4_3ELNS0_20block_scan_algorithmE0ELj4294967295EEENS1_25partition_config_selectorILNS1_17partition_subalgoE3EjNS0_10empty_typeEbEEZZNS1_14partition_implILS8_3ELb0ES6_jNS0_17counting_iteratorIjlEEPS9_SE_NS0_5tupleIJPjSE_EEENSF_IJSE_SE_EEES9_SG_JZNS1_25segmented_radix_sort_implINS0_14default_configELb0EPKfPfPKlPlN2at6native12_GLOBAL__N_18offset_tEEE10hipError_tPvRmT1_PNSt15iterator_traitsISY_E10value_typeET2_T3_PNSZ_IS14_E10value_typeET4_jRbjT5_S1A_jjP12ihipStream_tbEUljE_EEESV_SW_SX_S14_S18_S1A_T6_T7_T9_mT8_S1C_bDpT10_ENKUlT_T0_E_clISt17integral_constantIbLb1EES1O_IbLb0EEEEDaS1K_S1L_EUlS1K_E_NS1_11comp_targetILNS1_3genE5ELNS1_11target_archE942ELNS1_3gpuE9ELNS1_3repE0EEENS1_30default_config_static_selectorELNS0_4arch9wavefront6targetE1EEEvSY_.num_named_barrier, 0
	.set _ZN7rocprim17ROCPRIM_400000_NS6detail17trampoline_kernelINS0_13select_configILj256ELj13ELNS0_17block_load_methodE3ELS4_3ELS4_3ELNS0_20block_scan_algorithmE0ELj4294967295EEENS1_25partition_config_selectorILNS1_17partition_subalgoE3EjNS0_10empty_typeEbEEZZNS1_14partition_implILS8_3ELb0ES6_jNS0_17counting_iteratorIjlEEPS9_SE_NS0_5tupleIJPjSE_EEENSF_IJSE_SE_EEES9_SG_JZNS1_25segmented_radix_sort_implINS0_14default_configELb0EPKfPfPKlPlN2at6native12_GLOBAL__N_18offset_tEEE10hipError_tPvRmT1_PNSt15iterator_traitsISY_E10value_typeET2_T3_PNSZ_IS14_E10value_typeET4_jRbjT5_S1A_jjP12ihipStream_tbEUljE_EEESV_SW_SX_S14_S18_S1A_T6_T7_T9_mT8_S1C_bDpT10_ENKUlT_T0_E_clISt17integral_constantIbLb1EES1O_IbLb0EEEEDaS1K_S1L_EUlS1K_E_NS1_11comp_targetILNS1_3genE5ELNS1_11target_archE942ELNS1_3gpuE9ELNS1_3repE0EEENS1_30default_config_static_selectorELNS0_4arch9wavefront6targetE1EEEvSY_.private_seg_size, 0
	.set _ZN7rocprim17ROCPRIM_400000_NS6detail17trampoline_kernelINS0_13select_configILj256ELj13ELNS0_17block_load_methodE3ELS4_3ELS4_3ELNS0_20block_scan_algorithmE0ELj4294967295EEENS1_25partition_config_selectorILNS1_17partition_subalgoE3EjNS0_10empty_typeEbEEZZNS1_14partition_implILS8_3ELb0ES6_jNS0_17counting_iteratorIjlEEPS9_SE_NS0_5tupleIJPjSE_EEENSF_IJSE_SE_EEES9_SG_JZNS1_25segmented_radix_sort_implINS0_14default_configELb0EPKfPfPKlPlN2at6native12_GLOBAL__N_18offset_tEEE10hipError_tPvRmT1_PNSt15iterator_traitsISY_E10value_typeET2_T3_PNSZ_IS14_E10value_typeET4_jRbjT5_S1A_jjP12ihipStream_tbEUljE_EEESV_SW_SX_S14_S18_S1A_T6_T7_T9_mT8_S1C_bDpT10_ENKUlT_T0_E_clISt17integral_constantIbLb1EES1O_IbLb0EEEEDaS1K_S1L_EUlS1K_E_NS1_11comp_targetILNS1_3genE5ELNS1_11target_archE942ELNS1_3gpuE9ELNS1_3repE0EEENS1_30default_config_static_selectorELNS0_4arch9wavefront6targetE1EEEvSY_.uses_vcc, 0
	.set _ZN7rocprim17ROCPRIM_400000_NS6detail17trampoline_kernelINS0_13select_configILj256ELj13ELNS0_17block_load_methodE3ELS4_3ELS4_3ELNS0_20block_scan_algorithmE0ELj4294967295EEENS1_25partition_config_selectorILNS1_17partition_subalgoE3EjNS0_10empty_typeEbEEZZNS1_14partition_implILS8_3ELb0ES6_jNS0_17counting_iteratorIjlEEPS9_SE_NS0_5tupleIJPjSE_EEENSF_IJSE_SE_EEES9_SG_JZNS1_25segmented_radix_sort_implINS0_14default_configELb0EPKfPfPKlPlN2at6native12_GLOBAL__N_18offset_tEEE10hipError_tPvRmT1_PNSt15iterator_traitsISY_E10value_typeET2_T3_PNSZ_IS14_E10value_typeET4_jRbjT5_S1A_jjP12ihipStream_tbEUljE_EEESV_SW_SX_S14_S18_S1A_T6_T7_T9_mT8_S1C_bDpT10_ENKUlT_T0_E_clISt17integral_constantIbLb1EES1O_IbLb0EEEEDaS1K_S1L_EUlS1K_E_NS1_11comp_targetILNS1_3genE5ELNS1_11target_archE942ELNS1_3gpuE9ELNS1_3repE0EEENS1_30default_config_static_selectorELNS0_4arch9wavefront6targetE1EEEvSY_.uses_flat_scratch, 0
	.set _ZN7rocprim17ROCPRIM_400000_NS6detail17trampoline_kernelINS0_13select_configILj256ELj13ELNS0_17block_load_methodE3ELS4_3ELS4_3ELNS0_20block_scan_algorithmE0ELj4294967295EEENS1_25partition_config_selectorILNS1_17partition_subalgoE3EjNS0_10empty_typeEbEEZZNS1_14partition_implILS8_3ELb0ES6_jNS0_17counting_iteratorIjlEEPS9_SE_NS0_5tupleIJPjSE_EEENSF_IJSE_SE_EEES9_SG_JZNS1_25segmented_radix_sort_implINS0_14default_configELb0EPKfPfPKlPlN2at6native12_GLOBAL__N_18offset_tEEE10hipError_tPvRmT1_PNSt15iterator_traitsISY_E10value_typeET2_T3_PNSZ_IS14_E10value_typeET4_jRbjT5_S1A_jjP12ihipStream_tbEUljE_EEESV_SW_SX_S14_S18_S1A_T6_T7_T9_mT8_S1C_bDpT10_ENKUlT_T0_E_clISt17integral_constantIbLb1EES1O_IbLb0EEEEDaS1K_S1L_EUlS1K_E_NS1_11comp_targetILNS1_3genE5ELNS1_11target_archE942ELNS1_3gpuE9ELNS1_3repE0EEENS1_30default_config_static_selectorELNS0_4arch9wavefront6targetE1EEEvSY_.has_dyn_sized_stack, 0
	.set _ZN7rocprim17ROCPRIM_400000_NS6detail17trampoline_kernelINS0_13select_configILj256ELj13ELNS0_17block_load_methodE3ELS4_3ELS4_3ELNS0_20block_scan_algorithmE0ELj4294967295EEENS1_25partition_config_selectorILNS1_17partition_subalgoE3EjNS0_10empty_typeEbEEZZNS1_14partition_implILS8_3ELb0ES6_jNS0_17counting_iteratorIjlEEPS9_SE_NS0_5tupleIJPjSE_EEENSF_IJSE_SE_EEES9_SG_JZNS1_25segmented_radix_sort_implINS0_14default_configELb0EPKfPfPKlPlN2at6native12_GLOBAL__N_18offset_tEEE10hipError_tPvRmT1_PNSt15iterator_traitsISY_E10value_typeET2_T3_PNSZ_IS14_E10value_typeET4_jRbjT5_S1A_jjP12ihipStream_tbEUljE_EEESV_SW_SX_S14_S18_S1A_T6_T7_T9_mT8_S1C_bDpT10_ENKUlT_T0_E_clISt17integral_constantIbLb1EES1O_IbLb0EEEEDaS1K_S1L_EUlS1K_E_NS1_11comp_targetILNS1_3genE5ELNS1_11target_archE942ELNS1_3gpuE9ELNS1_3repE0EEENS1_30default_config_static_selectorELNS0_4arch9wavefront6targetE1EEEvSY_.has_recursion, 0
	.set _ZN7rocprim17ROCPRIM_400000_NS6detail17trampoline_kernelINS0_13select_configILj256ELj13ELNS0_17block_load_methodE3ELS4_3ELS4_3ELNS0_20block_scan_algorithmE0ELj4294967295EEENS1_25partition_config_selectorILNS1_17partition_subalgoE3EjNS0_10empty_typeEbEEZZNS1_14partition_implILS8_3ELb0ES6_jNS0_17counting_iteratorIjlEEPS9_SE_NS0_5tupleIJPjSE_EEENSF_IJSE_SE_EEES9_SG_JZNS1_25segmented_radix_sort_implINS0_14default_configELb0EPKfPfPKlPlN2at6native12_GLOBAL__N_18offset_tEEE10hipError_tPvRmT1_PNSt15iterator_traitsISY_E10value_typeET2_T3_PNSZ_IS14_E10value_typeET4_jRbjT5_S1A_jjP12ihipStream_tbEUljE_EEESV_SW_SX_S14_S18_S1A_T6_T7_T9_mT8_S1C_bDpT10_ENKUlT_T0_E_clISt17integral_constantIbLb1EES1O_IbLb0EEEEDaS1K_S1L_EUlS1K_E_NS1_11comp_targetILNS1_3genE5ELNS1_11target_archE942ELNS1_3gpuE9ELNS1_3repE0EEENS1_30default_config_static_selectorELNS0_4arch9wavefront6targetE1EEEvSY_.has_indirect_call, 0
	.section	.AMDGPU.csdata,"",@progbits
; Kernel info:
; codeLenInByte = 0
; TotalNumSgprs: 4
; NumVgprs: 0
; ScratchSize: 0
; MemoryBound: 0
; FloatMode: 240
; IeeeMode: 1
; LDSByteSize: 0 bytes/workgroup (compile time only)
; SGPRBlocks: 0
; VGPRBlocks: 0
; NumSGPRsForWavesPerEU: 4
; NumVGPRsForWavesPerEU: 1
; Occupancy: 10
; WaveLimiterHint : 0
; COMPUTE_PGM_RSRC2:SCRATCH_EN: 0
; COMPUTE_PGM_RSRC2:USER_SGPR: 6
; COMPUTE_PGM_RSRC2:TRAP_HANDLER: 0
; COMPUTE_PGM_RSRC2:TGID_X_EN: 1
; COMPUTE_PGM_RSRC2:TGID_Y_EN: 0
; COMPUTE_PGM_RSRC2:TGID_Z_EN: 0
; COMPUTE_PGM_RSRC2:TIDIG_COMP_CNT: 0
	.section	.text._ZN7rocprim17ROCPRIM_400000_NS6detail17trampoline_kernelINS0_13select_configILj256ELj13ELNS0_17block_load_methodE3ELS4_3ELS4_3ELNS0_20block_scan_algorithmE0ELj4294967295EEENS1_25partition_config_selectorILNS1_17partition_subalgoE3EjNS0_10empty_typeEbEEZZNS1_14partition_implILS8_3ELb0ES6_jNS0_17counting_iteratorIjlEEPS9_SE_NS0_5tupleIJPjSE_EEENSF_IJSE_SE_EEES9_SG_JZNS1_25segmented_radix_sort_implINS0_14default_configELb0EPKfPfPKlPlN2at6native12_GLOBAL__N_18offset_tEEE10hipError_tPvRmT1_PNSt15iterator_traitsISY_E10value_typeET2_T3_PNSZ_IS14_E10value_typeET4_jRbjT5_S1A_jjP12ihipStream_tbEUljE_EEESV_SW_SX_S14_S18_S1A_T6_T7_T9_mT8_S1C_bDpT10_ENKUlT_T0_E_clISt17integral_constantIbLb1EES1O_IbLb0EEEEDaS1K_S1L_EUlS1K_E_NS1_11comp_targetILNS1_3genE4ELNS1_11target_archE910ELNS1_3gpuE8ELNS1_3repE0EEENS1_30default_config_static_selectorELNS0_4arch9wavefront6targetE1EEEvSY_,"axG",@progbits,_ZN7rocprim17ROCPRIM_400000_NS6detail17trampoline_kernelINS0_13select_configILj256ELj13ELNS0_17block_load_methodE3ELS4_3ELS4_3ELNS0_20block_scan_algorithmE0ELj4294967295EEENS1_25partition_config_selectorILNS1_17partition_subalgoE3EjNS0_10empty_typeEbEEZZNS1_14partition_implILS8_3ELb0ES6_jNS0_17counting_iteratorIjlEEPS9_SE_NS0_5tupleIJPjSE_EEENSF_IJSE_SE_EEES9_SG_JZNS1_25segmented_radix_sort_implINS0_14default_configELb0EPKfPfPKlPlN2at6native12_GLOBAL__N_18offset_tEEE10hipError_tPvRmT1_PNSt15iterator_traitsISY_E10value_typeET2_T3_PNSZ_IS14_E10value_typeET4_jRbjT5_S1A_jjP12ihipStream_tbEUljE_EEESV_SW_SX_S14_S18_S1A_T6_T7_T9_mT8_S1C_bDpT10_ENKUlT_T0_E_clISt17integral_constantIbLb1EES1O_IbLb0EEEEDaS1K_S1L_EUlS1K_E_NS1_11comp_targetILNS1_3genE4ELNS1_11target_archE910ELNS1_3gpuE8ELNS1_3repE0EEENS1_30default_config_static_selectorELNS0_4arch9wavefront6targetE1EEEvSY_,comdat
	.globl	_ZN7rocprim17ROCPRIM_400000_NS6detail17trampoline_kernelINS0_13select_configILj256ELj13ELNS0_17block_load_methodE3ELS4_3ELS4_3ELNS0_20block_scan_algorithmE0ELj4294967295EEENS1_25partition_config_selectorILNS1_17partition_subalgoE3EjNS0_10empty_typeEbEEZZNS1_14partition_implILS8_3ELb0ES6_jNS0_17counting_iteratorIjlEEPS9_SE_NS0_5tupleIJPjSE_EEENSF_IJSE_SE_EEES9_SG_JZNS1_25segmented_radix_sort_implINS0_14default_configELb0EPKfPfPKlPlN2at6native12_GLOBAL__N_18offset_tEEE10hipError_tPvRmT1_PNSt15iterator_traitsISY_E10value_typeET2_T3_PNSZ_IS14_E10value_typeET4_jRbjT5_S1A_jjP12ihipStream_tbEUljE_EEESV_SW_SX_S14_S18_S1A_T6_T7_T9_mT8_S1C_bDpT10_ENKUlT_T0_E_clISt17integral_constantIbLb1EES1O_IbLb0EEEEDaS1K_S1L_EUlS1K_E_NS1_11comp_targetILNS1_3genE4ELNS1_11target_archE910ELNS1_3gpuE8ELNS1_3repE0EEENS1_30default_config_static_selectorELNS0_4arch9wavefront6targetE1EEEvSY_ ; -- Begin function _ZN7rocprim17ROCPRIM_400000_NS6detail17trampoline_kernelINS0_13select_configILj256ELj13ELNS0_17block_load_methodE3ELS4_3ELS4_3ELNS0_20block_scan_algorithmE0ELj4294967295EEENS1_25partition_config_selectorILNS1_17partition_subalgoE3EjNS0_10empty_typeEbEEZZNS1_14partition_implILS8_3ELb0ES6_jNS0_17counting_iteratorIjlEEPS9_SE_NS0_5tupleIJPjSE_EEENSF_IJSE_SE_EEES9_SG_JZNS1_25segmented_radix_sort_implINS0_14default_configELb0EPKfPfPKlPlN2at6native12_GLOBAL__N_18offset_tEEE10hipError_tPvRmT1_PNSt15iterator_traitsISY_E10value_typeET2_T3_PNSZ_IS14_E10value_typeET4_jRbjT5_S1A_jjP12ihipStream_tbEUljE_EEESV_SW_SX_S14_S18_S1A_T6_T7_T9_mT8_S1C_bDpT10_ENKUlT_T0_E_clISt17integral_constantIbLb1EES1O_IbLb0EEEEDaS1K_S1L_EUlS1K_E_NS1_11comp_targetILNS1_3genE4ELNS1_11target_archE910ELNS1_3gpuE8ELNS1_3repE0EEENS1_30default_config_static_selectorELNS0_4arch9wavefront6targetE1EEEvSY_
	.p2align	8
	.type	_ZN7rocprim17ROCPRIM_400000_NS6detail17trampoline_kernelINS0_13select_configILj256ELj13ELNS0_17block_load_methodE3ELS4_3ELS4_3ELNS0_20block_scan_algorithmE0ELj4294967295EEENS1_25partition_config_selectorILNS1_17partition_subalgoE3EjNS0_10empty_typeEbEEZZNS1_14partition_implILS8_3ELb0ES6_jNS0_17counting_iteratorIjlEEPS9_SE_NS0_5tupleIJPjSE_EEENSF_IJSE_SE_EEES9_SG_JZNS1_25segmented_radix_sort_implINS0_14default_configELb0EPKfPfPKlPlN2at6native12_GLOBAL__N_18offset_tEEE10hipError_tPvRmT1_PNSt15iterator_traitsISY_E10value_typeET2_T3_PNSZ_IS14_E10value_typeET4_jRbjT5_S1A_jjP12ihipStream_tbEUljE_EEESV_SW_SX_S14_S18_S1A_T6_T7_T9_mT8_S1C_bDpT10_ENKUlT_T0_E_clISt17integral_constantIbLb1EES1O_IbLb0EEEEDaS1K_S1L_EUlS1K_E_NS1_11comp_targetILNS1_3genE4ELNS1_11target_archE910ELNS1_3gpuE8ELNS1_3repE0EEENS1_30default_config_static_selectorELNS0_4arch9wavefront6targetE1EEEvSY_,@function
_ZN7rocprim17ROCPRIM_400000_NS6detail17trampoline_kernelINS0_13select_configILj256ELj13ELNS0_17block_load_methodE3ELS4_3ELS4_3ELNS0_20block_scan_algorithmE0ELj4294967295EEENS1_25partition_config_selectorILNS1_17partition_subalgoE3EjNS0_10empty_typeEbEEZZNS1_14partition_implILS8_3ELb0ES6_jNS0_17counting_iteratorIjlEEPS9_SE_NS0_5tupleIJPjSE_EEENSF_IJSE_SE_EEES9_SG_JZNS1_25segmented_radix_sort_implINS0_14default_configELb0EPKfPfPKlPlN2at6native12_GLOBAL__N_18offset_tEEE10hipError_tPvRmT1_PNSt15iterator_traitsISY_E10value_typeET2_T3_PNSZ_IS14_E10value_typeET4_jRbjT5_S1A_jjP12ihipStream_tbEUljE_EEESV_SW_SX_S14_S18_S1A_T6_T7_T9_mT8_S1C_bDpT10_ENKUlT_T0_E_clISt17integral_constantIbLb1EES1O_IbLb0EEEEDaS1K_S1L_EUlS1K_E_NS1_11comp_targetILNS1_3genE4ELNS1_11target_archE910ELNS1_3gpuE8ELNS1_3repE0EEENS1_30default_config_static_selectorELNS0_4arch9wavefront6targetE1EEEvSY_: ; @_ZN7rocprim17ROCPRIM_400000_NS6detail17trampoline_kernelINS0_13select_configILj256ELj13ELNS0_17block_load_methodE3ELS4_3ELS4_3ELNS0_20block_scan_algorithmE0ELj4294967295EEENS1_25partition_config_selectorILNS1_17partition_subalgoE3EjNS0_10empty_typeEbEEZZNS1_14partition_implILS8_3ELb0ES6_jNS0_17counting_iteratorIjlEEPS9_SE_NS0_5tupleIJPjSE_EEENSF_IJSE_SE_EEES9_SG_JZNS1_25segmented_radix_sort_implINS0_14default_configELb0EPKfPfPKlPlN2at6native12_GLOBAL__N_18offset_tEEE10hipError_tPvRmT1_PNSt15iterator_traitsISY_E10value_typeET2_T3_PNSZ_IS14_E10value_typeET4_jRbjT5_S1A_jjP12ihipStream_tbEUljE_EEESV_SW_SX_S14_S18_S1A_T6_T7_T9_mT8_S1C_bDpT10_ENKUlT_T0_E_clISt17integral_constantIbLb1EES1O_IbLb0EEEEDaS1K_S1L_EUlS1K_E_NS1_11comp_targetILNS1_3genE4ELNS1_11target_archE910ELNS1_3gpuE8ELNS1_3repE0EEENS1_30default_config_static_selectorELNS0_4arch9wavefront6targetE1EEEvSY_
; %bb.0:
	.section	.rodata,"a",@progbits
	.p2align	6, 0x0
	.amdhsa_kernel _ZN7rocprim17ROCPRIM_400000_NS6detail17trampoline_kernelINS0_13select_configILj256ELj13ELNS0_17block_load_methodE3ELS4_3ELS4_3ELNS0_20block_scan_algorithmE0ELj4294967295EEENS1_25partition_config_selectorILNS1_17partition_subalgoE3EjNS0_10empty_typeEbEEZZNS1_14partition_implILS8_3ELb0ES6_jNS0_17counting_iteratorIjlEEPS9_SE_NS0_5tupleIJPjSE_EEENSF_IJSE_SE_EEES9_SG_JZNS1_25segmented_radix_sort_implINS0_14default_configELb0EPKfPfPKlPlN2at6native12_GLOBAL__N_18offset_tEEE10hipError_tPvRmT1_PNSt15iterator_traitsISY_E10value_typeET2_T3_PNSZ_IS14_E10value_typeET4_jRbjT5_S1A_jjP12ihipStream_tbEUljE_EEESV_SW_SX_S14_S18_S1A_T6_T7_T9_mT8_S1C_bDpT10_ENKUlT_T0_E_clISt17integral_constantIbLb1EES1O_IbLb0EEEEDaS1K_S1L_EUlS1K_E_NS1_11comp_targetILNS1_3genE4ELNS1_11target_archE910ELNS1_3gpuE8ELNS1_3repE0EEENS1_30default_config_static_selectorELNS0_4arch9wavefront6targetE1EEEvSY_
		.amdhsa_group_segment_fixed_size 0
		.amdhsa_private_segment_fixed_size 0
		.amdhsa_kernarg_size 144
		.amdhsa_user_sgpr_count 6
		.amdhsa_user_sgpr_private_segment_buffer 1
		.amdhsa_user_sgpr_dispatch_ptr 0
		.amdhsa_user_sgpr_queue_ptr 0
		.amdhsa_user_sgpr_kernarg_segment_ptr 1
		.amdhsa_user_sgpr_dispatch_id 0
		.amdhsa_user_sgpr_flat_scratch_init 0
		.amdhsa_user_sgpr_private_segment_size 0
		.amdhsa_uses_dynamic_stack 0
		.amdhsa_system_sgpr_private_segment_wavefront_offset 0
		.amdhsa_system_sgpr_workgroup_id_x 1
		.amdhsa_system_sgpr_workgroup_id_y 0
		.amdhsa_system_sgpr_workgroup_id_z 0
		.amdhsa_system_sgpr_workgroup_info 0
		.amdhsa_system_vgpr_workitem_id 0
		.amdhsa_next_free_vgpr 1
		.amdhsa_next_free_sgpr 0
		.amdhsa_reserve_vcc 0
		.amdhsa_reserve_flat_scratch 0
		.amdhsa_float_round_mode_32 0
		.amdhsa_float_round_mode_16_64 0
		.amdhsa_float_denorm_mode_32 3
		.amdhsa_float_denorm_mode_16_64 3
		.amdhsa_dx10_clamp 1
		.amdhsa_ieee_mode 1
		.amdhsa_fp16_overflow 0
		.amdhsa_exception_fp_ieee_invalid_op 0
		.amdhsa_exception_fp_denorm_src 0
		.amdhsa_exception_fp_ieee_div_zero 0
		.amdhsa_exception_fp_ieee_overflow 0
		.amdhsa_exception_fp_ieee_underflow 0
		.amdhsa_exception_fp_ieee_inexact 0
		.amdhsa_exception_int_div_zero 0
	.end_amdhsa_kernel
	.section	.text._ZN7rocprim17ROCPRIM_400000_NS6detail17trampoline_kernelINS0_13select_configILj256ELj13ELNS0_17block_load_methodE3ELS4_3ELS4_3ELNS0_20block_scan_algorithmE0ELj4294967295EEENS1_25partition_config_selectorILNS1_17partition_subalgoE3EjNS0_10empty_typeEbEEZZNS1_14partition_implILS8_3ELb0ES6_jNS0_17counting_iteratorIjlEEPS9_SE_NS0_5tupleIJPjSE_EEENSF_IJSE_SE_EEES9_SG_JZNS1_25segmented_radix_sort_implINS0_14default_configELb0EPKfPfPKlPlN2at6native12_GLOBAL__N_18offset_tEEE10hipError_tPvRmT1_PNSt15iterator_traitsISY_E10value_typeET2_T3_PNSZ_IS14_E10value_typeET4_jRbjT5_S1A_jjP12ihipStream_tbEUljE_EEESV_SW_SX_S14_S18_S1A_T6_T7_T9_mT8_S1C_bDpT10_ENKUlT_T0_E_clISt17integral_constantIbLb1EES1O_IbLb0EEEEDaS1K_S1L_EUlS1K_E_NS1_11comp_targetILNS1_3genE4ELNS1_11target_archE910ELNS1_3gpuE8ELNS1_3repE0EEENS1_30default_config_static_selectorELNS0_4arch9wavefront6targetE1EEEvSY_,"axG",@progbits,_ZN7rocprim17ROCPRIM_400000_NS6detail17trampoline_kernelINS0_13select_configILj256ELj13ELNS0_17block_load_methodE3ELS4_3ELS4_3ELNS0_20block_scan_algorithmE0ELj4294967295EEENS1_25partition_config_selectorILNS1_17partition_subalgoE3EjNS0_10empty_typeEbEEZZNS1_14partition_implILS8_3ELb0ES6_jNS0_17counting_iteratorIjlEEPS9_SE_NS0_5tupleIJPjSE_EEENSF_IJSE_SE_EEES9_SG_JZNS1_25segmented_radix_sort_implINS0_14default_configELb0EPKfPfPKlPlN2at6native12_GLOBAL__N_18offset_tEEE10hipError_tPvRmT1_PNSt15iterator_traitsISY_E10value_typeET2_T3_PNSZ_IS14_E10value_typeET4_jRbjT5_S1A_jjP12ihipStream_tbEUljE_EEESV_SW_SX_S14_S18_S1A_T6_T7_T9_mT8_S1C_bDpT10_ENKUlT_T0_E_clISt17integral_constantIbLb1EES1O_IbLb0EEEEDaS1K_S1L_EUlS1K_E_NS1_11comp_targetILNS1_3genE4ELNS1_11target_archE910ELNS1_3gpuE8ELNS1_3repE0EEENS1_30default_config_static_selectorELNS0_4arch9wavefront6targetE1EEEvSY_,comdat
.Lfunc_end1414:
	.size	_ZN7rocprim17ROCPRIM_400000_NS6detail17trampoline_kernelINS0_13select_configILj256ELj13ELNS0_17block_load_methodE3ELS4_3ELS4_3ELNS0_20block_scan_algorithmE0ELj4294967295EEENS1_25partition_config_selectorILNS1_17partition_subalgoE3EjNS0_10empty_typeEbEEZZNS1_14partition_implILS8_3ELb0ES6_jNS0_17counting_iteratorIjlEEPS9_SE_NS0_5tupleIJPjSE_EEENSF_IJSE_SE_EEES9_SG_JZNS1_25segmented_radix_sort_implINS0_14default_configELb0EPKfPfPKlPlN2at6native12_GLOBAL__N_18offset_tEEE10hipError_tPvRmT1_PNSt15iterator_traitsISY_E10value_typeET2_T3_PNSZ_IS14_E10value_typeET4_jRbjT5_S1A_jjP12ihipStream_tbEUljE_EEESV_SW_SX_S14_S18_S1A_T6_T7_T9_mT8_S1C_bDpT10_ENKUlT_T0_E_clISt17integral_constantIbLb1EES1O_IbLb0EEEEDaS1K_S1L_EUlS1K_E_NS1_11comp_targetILNS1_3genE4ELNS1_11target_archE910ELNS1_3gpuE8ELNS1_3repE0EEENS1_30default_config_static_selectorELNS0_4arch9wavefront6targetE1EEEvSY_, .Lfunc_end1414-_ZN7rocprim17ROCPRIM_400000_NS6detail17trampoline_kernelINS0_13select_configILj256ELj13ELNS0_17block_load_methodE3ELS4_3ELS4_3ELNS0_20block_scan_algorithmE0ELj4294967295EEENS1_25partition_config_selectorILNS1_17partition_subalgoE3EjNS0_10empty_typeEbEEZZNS1_14partition_implILS8_3ELb0ES6_jNS0_17counting_iteratorIjlEEPS9_SE_NS0_5tupleIJPjSE_EEENSF_IJSE_SE_EEES9_SG_JZNS1_25segmented_radix_sort_implINS0_14default_configELb0EPKfPfPKlPlN2at6native12_GLOBAL__N_18offset_tEEE10hipError_tPvRmT1_PNSt15iterator_traitsISY_E10value_typeET2_T3_PNSZ_IS14_E10value_typeET4_jRbjT5_S1A_jjP12ihipStream_tbEUljE_EEESV_SW_SX_S14_S18_S1A_T6_T7_T9_mT8_S1C_bDpT10_ENKUlT_T0_E_clISt17integral_constantIbLb1EES1O_IbLb0EEEEDaS1K_S1L_EUlS1K_E_NS1_11comp_targetILNS1_3genE4ELNS1_11target_archE910ELNS1_3gpuE8ELNS1_3repE0EEENS1_30default_config_static_selectorELNS0_4arch9wavefront6targetE1EEEvSY_
                                        ; -- End function
	.set _ZN7rocprim17ROCPRIM_400000_NS6detail17trampoline_kernelINS0_13select_configILj256ELj13ELNS0_17block_load_methodE3ELS4_3ELS4_3ELNS0_20block_scan_algorithmE0ELj4294967295EEENS1_25partition_config_selectorILNS1_17partition_subalgoE3EjNS0_10empty_typeEbEEZZNS1_14partition_implILS8_3ELb0ES6_jNS0_17counting_iteratorIjlEEPS9_SE_NS0_5tupleIJPjSE_EEENSF_IJSE_SE_EEES9_SG_JZNS1_25segmented_radix_sort_implINS0_14default_configELb0EPKfPfPKlPlN2at6native12_GLOBAL__N_18offset_tEEE10hipError_tPvRmT1_PNSt15iterator_traitsISY_E10value_typeET2_T3_PNSZ_IS14_E10value_typeET4_jRbjT5_S1A_jjP12ihipStream_tbEUljE_EEESV_SW_SX_S14_S18_S1A_T6_T7_T9_mT8_S1C_bDpT10_ENKUlT_T0_E_clISt17integral_constantIbLb1EES1O_IbLb0EEEEDaS1K_S1L_EUlS1K_E_NS1_11comp_targetILNS1_3genE4ELNS1_11target_archE910ELNS1_3gpuE8ELNS1_3repE0EEENS1_30default_config_static_selectorELNS0_4arch9wavefront6targetE1EEEvSY_.num_vgpr, 0
	.set _ZN7rocprim17ROCPRIM_400000_NS6detail17trampoline_kernelINS0_13select_configILj256ELj13ELNS0_17block_load_methodE3ELS4_3ELS4_3ELNS0_20block_scan_algorithmE0ELj4294967295EEENS1_25partition_config_selectorILNS1_17partition_subalgoE3EjNS0_10empty_typeEbEEZZNS1_14partition_implILS8_3ELb0ES6_jNS0_17counting_iteratorIjlEEPS9_SE_NS0_5tupleIJPjSE_EEENSF_IJSE_SE_EEES9_SG_JZNS1_25segmented_radix_sort_implINS0_14default_configELb0EPKfPfPKlPlN2at6native12_GLOBAL__N_18offset_tEEE10hipError_tPvRmT1_PNSt15iterator_traitsISY_E10value_typeET2_T3_PNSZ_IS14_E10value_typeET4_jRbjT5_S1A_jjP12ihipStream_tbEUljE_EEESV_SW_SX_S14_S18_S1A_T6_T7_T9_mT8_S1C_bDpT10_ENKUlT_T0_E_clISt17integral_constantIbLb1EES1O_IbLb0EEEEDaS1K_S1L_EUlS1K_E_NS1_11comp_targetILNS1_3genE4ELNS1_11target_archE910ELNS1_3gpuE8ELNS1_3repE0EEENS1_30default_config_static_selectorELNS0_4arch9wavefront6targetE1EEEvSY_.num_agpr, 0
	.set _ZN7rocprim17ROCPRIM_400000_NS6detail17trampoline_kernelINS0_13select_configILj256ELj13ELNS0_17block_load_methodE3ELS4_3ELS4_3ELNS0_20block_scan_algorithmE0ELj4294967295EEENS1_25partition_config_selectorILNS1_17partition_subalgoE3EjNS0_10empty_typeEbEEZZNS1_14partition_implILS8_3ELb0ES6_jNS0_17counting_iteratorIjlEEPS9_SE_NS0_5tupleIJPjSE_EEENSF_IJSE_SE_EEES9_SG_JZNS1_25segmented_radix_sort_implINS0_14default_configELb0EPKfPfPKlPlN2at6native12_GLOBAL__N_18offset_tEEE10hipError_tPvRmT1_PNSt15iterator_traitsISY_E10value_typeET2_T3_PNSZ_IS14_E10value_typeET4_jRbjT5_S1A_jjP12ihipStream_tbEUljE_EEESV_SW_SX_S14_S18_S1A_T6_T7_T9_mT8_S1C_bDpT10_ENKUlT_T0_E_clISt17integral_constantIbLb1EES1O_IbLb0EEEEDaS1K_S1L_EUlS1K_E_NS1_11comp_targetILNS1_3genE4ELNS1_11target_archE910ELNS1_3gpuE8ELNS1_3repE0EEENS1_30default_config_static_selectorELNS0_4arch9wavefront6targetE1EEEvSY_.numbered_sgpr, 0
	.set _ZN7rocprim17ROCPRIM_400000_NS6detail17trampoline_kernelINS0_13select_configILj256ELj13ELNS0_17block_load_methodE3ELS4_3ELS4_3ELNS0_20block_scan_algorithmE0ELj4294967295EEENS1_25partition_config_selectorILNS1_17partition_subalgoE3EjNS0_10empty_typeEbEEZZNS1_14partition_implILS8_3ELb0ES6_jNS0_17counting_iteratorIjlEEPS9_SE_NS0_5tupleIJPjSE_EEENSF_IJSE_SE_EEES9_SG_JZNS1_25segmented_radix_sort_implINS0_14default_configELb0EPKfPfPKlPlN2at6native12_GLOBAL__N_18offset_tEEE10hipError_tPvRmT1_PNSt15iterator_traitsISY_E10value_typeET2_T3_PNSZ_IS14_E10value_typeET4_jRbjT5_S1A_jjP12ihipStream_tbEUljE_EEESV_SW_SX_S14_S18_S1A_T6_T7_T9_mT8_S1C_bDpT10_ENKUlT_T0_E_clISt17integral_constantIbLb1EES1O_IbLb0EEEEDaS1K_S1L_EUlS1K_E_NS1_11comp_targetILNS1_3genE4ELNS1_11target_archE910ELNS1_3gpuE8ELNS1_3repE0EEENS1_30default_config_static_selectorELNS0_4arch9wavefront6targetE1EEEvSY_.num_named_barrier, 0
	.set _ZN7rocprim17ROCPRIM_400000_NS6detail17trampoline_kernelINS0_13select_configILj256ELj13ELNS0_17block_load_methodE3ELS4_3ELS4_3ELNS0_20block_scan_algorithmE0ELj4294967295EEENS1_25partition_config_selectorILNS1_17partition_subalgoE3EjNS0_10empty_typeEbEEZZNS1_14partition_implILS8_3ELb0ES6_jNS0_17counting_iteratorIjlEEPS9_SE_NS0_5tupleIJPjSE_EEENSF_IJSE_SE_EEES9_SG_JZNS1_25segmented_radix_sort_implINS0_14default_configELb0EPKfPfPKlPlN2at6native12_GLOBAL__N_18offset_tEEE10hipError_tPvRmT1_PNSt15iterator_traitsISY_E10value_typeET2_T3_PNSZ_IS14_E10value_typeET4_jRbjT5_S1A_jjP12ihipStream_tbEUljE_EEESV_SW_SX_S14_S18_S1A_T6_T7_T9_mT8_S1C_bDpT10_ENKUlT_T0_E_clISt17integral_constantIbLb1EES1O_IbLb0EEEEDaS1K_S1L_EUlS1K_E_NS1_11comp_targetILNS1_3genE4ELNS1_11target_archE910ELNS1_3gpuE8ELNS1_3repE0EEENS1_30default_config_static_selectorELNS0_4arch9wavefront6targetE1EEEvSY_.private_seg_size, 0
	.set _ZN7rocprim17ROCPRIM_400000_NS6detail17trampoline_kernelINS0_13select_configILj256ELj13ELNS0_17block_load_methodE3ELS4_3ELS4_3ELNS0_20block_scan_algorithmE0ELj4294967295EEENS1_25partition_config_selectorILNS1_17partition_subalgoE3EjNS0_10empty_typeEbEEZZNS1_14partition_implILS8_3ELb0ES6_jNS0_17counting_iteratorIjlEEPS9_SE_NS0_5tupleIJPjSE_EEENSF_IJSE_SE_EEES9_SG_JZNS1_25segmented_radix_sort_implINS0_14default_configELb0EPKfPfPKlPlN2at6native12_GLOBAL__N_18offset_tEEE10hipError_tPvRmT1_PNSt15iterator_traitsISY_E10value_typeET2_T3_PNSZ_IS14_E10value_typeET4_jRbjT5_S1A_jjP12ihipStream_tbEUljE_EEESV_SW_SX_S14_S18_S1A_T6_T7_T9_mT8_S1C_bDpT10_ENKUlT_T0_E_clISt17integral_constantIbLb1EES1O_IbLb0EEEEDaS1K_S1L_EUlS1K_E_NS1_11comp_targetILNS1_3genE4ELNS1_11target_archE910ELNS1_3gpuE8ELNS1_3repE0EEENS1_30default_config_static_selectorELNS0_4arch9wavefront6targetE1EEEvSY_.uses_vcc, 0
	.set _ZN7rocprim17ROCPRIM_400000_NS6detail17trampoline_kernelINS0_13select_configILj256ELj13ELNS0_17block_load_methodE3ELS4_3ELS4_3ELNS0_20block_scan_algorithmE0ELj4294967295EEENS1_25partition_config_selectorILNS1_17partition_subalgoE3EjNS0_10empty_typeEbEEZZNS1_14partition_implILS8_3ELb0ES6_jNS0_17counting_iteratorIjlEEPS9_SE_NS0_5tupleIJPjSE_EEENSF_IJSE_SE_EEES9_SG_JZNS1_25segmented_radix_sort_implINS0_14default_configELb0EPKfPfPKlPlN2at6native12_GLOBAL__N_18offset_tEEE10hipError_tPvRmT1_PNSt15iterator_traitsISY_E10value_typeET2_T3_PNSZ_IS14_E10value_typeET4_jRbjT5_S1A_jjP12ihipStream_tbEUljE_EEESV_SW_SX_S14_S18_S1A_T6_T7_T9_mT8_S1C_bDpT10_ENKUlT_T0_E_clISt17integral_constantIbLb1EES1O_IbLb0EEEEDaS1K_S1L_EUlS1K_E_NS1_11comp_targetILNS1_3genE4ELNS1_11target_archE910ELNS1_3gpuE8ELNS1_3repE0EEENS1_30default_config_static_selectorELNS0_4arch9wavefront6targetE1EEEvSY_.uses_flat_scratch, 0
	.set _ZN7rocprim17ROCPRIM_400000_NS6detail17trampoline_kernelINS0_13select_configILj256ELj13ELNS0_17block_load_methodE3ELS4_3ELS4_3ELNS0_20block_scan_algorithmE0ELj4294967295EEENS1_25partition_config_selectorILNS1_17partition_subalgoE3EjNS0_10empty_typeEbEEZZNS1_14partition_implILS8_3ELb0ES6_jNS0_17counting_iteratorIjlEEPS9_SE_NS0_5tupleIJPjSE_EEENSF_IJSE_SE_EEES9_SG_JZNS1_25segmented_radix_sort_implINS0_14default_configELb0EPKfPfPKlPlN2at6native12_GLOBAL__N_18offset_tEEE10hipError_tPvRmT1_PNSt15iterator_traitsISY_E10value_typeET2_T3_PNSZ_IS14_E10value_typeET4_jRbjT5_S1A_jjP12ihipStream_tbEUljE_EEESV_SW_SX_S14_S18_S1A_T6_T7_T9_mT8_S1C_bDpT10_ENKUlT_T0_E_clISt17integral_constantIbLb1EES1O_IbLb0EEEEDaS1K_S1L_EUlS1K_E_NS1_11comp_targetILNS1_3genE4ELNS1_11target_archE910ELNS1_3gpuE8ELNS1_3repE0EEENS1_30default_config_static_selectorELNS0_4arch9wavefront6targetE1EEEvSY_.has_dyn_sized_stack, 0
	.set _ZN7rocprim17ROCPRIM_400000_NS6detail17trampoline_kernelINS0_13select_configILj256ELj13ELNS0_17block_load_methodE3ELS4_3ELS4_3ELNS0_20block_scan_algorithmE0ELj4294967295EEENS1_25partition_config_selectorILNS1_17partition_subalgoE3EjNS0_10empty_typeEbEEZZNS1_14partition_implILS8_3ELb0ES6_jNS0_17counting_iteratorIjlEEPS9_SE_NS0_5tupleIJPjSE_EEENSF_IJSE_SE_EEES9_SG_JZNS1_25segmented_radix_sort_implINS0_14default_configELb0EPKfPfPKlPlN2at6native12_GLOBAL__N_18offset_tEEE10hipError_tPvRmT1_PNSt15iterator_traitsISY_E10value_typeET2_T3_PNSZ_IS14_E10value_typeET4_jRbjT5_S1A_jjP12ihipStream_tbEUljE_EEESV_SW_SX_S14_S18_S1A_T6_T7_T9_mT8_S1C_bDpT10_ENKUlT_T0_E_clISt17integral_constantIbLb1EES1O_IbLb0EEEEDaS1K_S1L_EUlS1K_E_NS1_11comp_targetILNS1_3genE4ELNS1_11target_archE910ELNS1_3gpuE8ELNS1_3repE0EEENS1_30default_config_static_selectorELNS0_4arch9wavefront6targetE1EEEvSY_.has_recursion, 0
	.set _ZN7rocprim17ROCPRIM_400000_NS6detail17trampoline_kernelINS0_13select_configILj256ELj13ELNS0_17block_load_methodE3ELS4_3ELS4_3ELNS0_20block_scan_algorithmE0ELj4294967295EEENS1_25partition_config_selectorILNS1_17partition_subalgoE3EjNS0_10empty_typeEbEEZZNS1_14partition_implILS8_3ELb0ES6_jNS0_17counting_iteratorIjlEEPS9_SE_NS0_5tupleIJPjSE_EEENSF_IJSE_SE_EEES9_SG_JZNS1_25segmented_radix_sort_implINS0_14default_configELb0EPKfPfPKlPlN2at6native12_GLOBAL__N_18offset_tEEE10hipError_tPvRmT1_PNSt15iterator_traitsISY_E10value_typeET2_T3_PNSZ_IS14_E10value_typeET4_jRbjT5_S1A_jjP12ihipStream_tbEUljE_EEESV_SW_SX_S14_S18_S1A_T6_T7_T9_mT8_S1C_bDpT10_ENKUlT_T0_E_clISt17integral_constantIbLb1EES1O_IbLb0EEEEDaS1K_S1L_EUlS1K_E_NS1_11comp_targetILNS1_3genE4ELNS1_11target_archE910ELNS1_3gpuE8ELNS1_3repE0EEENS1_30default_config_static_selectorELNS0_4arch9wavefront6targetE1EEEvSY_.has_indirect_call, 0
	.section	.AMDGPU.csdata,"",@progbits
; Kernel info:
; codeLenInByte = 0
; TotalNumSgprs: 4
; NumVgprs: 0
; ScratchSize: 0
; MemoryBound: 0
; FloatMode: 240
; IeeeMode: 1
; LDSByteSize: 0 bytes/workgroup (compile time only)
; SGPRBlocks: 0
; VGPRBlocks: 0
; NumSGPRsForWavesPerEU: 4
; NumVGPRsForWavesPerEU: 1
; Occupancy: 10
; WaveLimiterHint : 0
; COMPUTE_PGM_RSRC2:SCRATCH_EN: 0
; COMPUTE_PGM_RSRC2:USER_SGPR: 6
; COMPUTE_PGM_RSRC2:TRAP_HANDLER: 0
; COMPUTE_PGM_RSRC2:TGID_X_EN: 1
; COMPUTE_PGM_RSRC2:TGID_Y_EN: 0
; COMPUTE_PGM_RSRC2:TGID_Z_EN: 0
; COMPUTE_PGM_RSRC2:TIDIG_COMP_CNT: 0
	.section	.text._ZN7rocprim17ROCPRIM_400000_NS6detail17trampoline_kernelINS0_13select_configILj256ELj13ELNS0_17block_load_methodE3ELS4_3ELS4_3ELNS0_20block_scan_algorithmE0ELj4294967295EEENS1_25partition_config_selectorILNS1_17partition_subalgoE3EjNS0_10empty_typeEbEEZZNS1_14partition_implILS8_3ELb0ES6_jNS0_17counting_iteratorIjlEEPS9_SE_NS0_5tupleIJPjSE_EEENSF_IJSE_SE_EEES9_SG_JZNS1_25segmented_radix_sort_implINS0_14default_configELb0EPKfPfPKlPlN2at6native12_GLOBAL__N_18offset_tEEE10hipError_tPvRmT1_PNSt15iterator_traitsISY_E10value_typeET2_T3_PNSZ_IS14_E10value_typeET4_jRbjT5_S1A_jjP12ihipStream_tbEUljE_EEESV_SW_SX_S14_S18_S1A_T6_T7_T9_mT8_S1C_bDpT10_ENKUlT_T0_E_clISt17integral_constantIbLb1EES1O_IbLb0EEEEDaS1K_S1L_EUlS1K_E_NS1_11comp_targetILNS1_3genE3ELNS1_11target_archE908ELNS1_3gpuE7ELNS1_3repE0EEENS1_30default_config_static_selectorELNS0_4arch9wavefront6targetE1EEEvSY_,"axG",@progbits,_ZN7rocprim17ROCPRIM_400000_NS6detail17trampoline_kernelINS0_13select_configILj256ELj13ELNS0_17block_load_methodE3ELS4_3ELS4_3ELNS0_20block_scan_algorithmE0ELj4294967295EEENS1_25partition_config_selectorILNS1_17partition_subalgoE3EjNS0_10empty_typeEbEEZZNS1_14partition_implILS8_3ELb0ES6_jNS0_17counting_iteratorIjlEEPS9_SE_NS0_5tupleIJPjSE_EEENSF_IJSE_SE_EEES9_SG_JZNS1_25segmented_radix_sort_implINS0_14default_configELb0EPKfPfPKlPlN2at6native12_GLOBAL__N_18offset_tEEE10hipError_tPvRmT1_PNSt15iterator_traitsISY_E10value_typeET2_T3_PNSZ_IS14_E10value_typeET4_jRbjT5_S1A_jjP12ihipStream_tbEUljE_EEESV_SW_SX_S14_S18_S1A_T6_T7_T9_mT8_S1C_bDpT10_ENKUlT_T0_E_clISt17integral_constantIbLb1EES1O_IbLb0EEEEDaS1K_S1L_EUlS1K_E_NS1_11comp_targetILNS1_3genE3ELNS1_11target_archE908ELNS1_3gpuE7ELNS1_3repE0EEENS1_30default_config_static_selectorELNS0_4arch9wavefront6targetE1EEEvSY_,comdat
	.globl	_ZN7rocprim17ROCPRIM_400000_NS6detail17trampoline_kernelINS0_13select_configILj256ELj13ELNS0_17block_load_methodE3ELS4_3ELS4_3ELNS0_20block_scan_algorithmE0ELj4294967295EEENS1_25partition_config_selectorILNS1_17partition_subalgoE3EjNS0_10empty_typeEbEEZZNS1_14partition_implILS8_3ELb0ES6_jNS0_17counting_iteratorIjlEEPS9_SE_NS0_5tupleIJPjSE_EEENSF_IJSE_SE_EEES9_SG_JZNS1_25segmented_radix_sort_implINS0_14default_configELb0EPKfPfPKlPlN2at6native12_GLOBAL__N_18offset_tEEE10hipError_tPvRmT1_PNSt15iterator_traitsISY_E10value_typeET2_T3_PNSZ_IS14_E10value_typeET4_jRbjT5_S1A_jjP12ihipStream_tbEUljE_EEESV_SW_SX_S14_S18_S1A_T6_T7_T9_mT8_S1C_bDpT10_ENKUlT_T0_E_clISt17integral_constantIbLb1EES1O_IbLb0EEEEDaS1K_S1L_EUlS1K_E_NS1_11comp_targetILNS1_3genE3ELNS1_11target_archE908ELNS1_3gpuE7ELNS1_3repE0EEENS1_30default_config_static_selectorELNS0_4arch9wavefront6targetE1EEEvSY_ ; -- Begin function _ZN7rocprim17ROCPRIM_400000_NS6detail17trampoline_kernelINS0_13select_configILj256ELj13ELNS0_17block_load_methodE3ELS4_3ELS4_3ELNS0_20block_scan_algorithmE0ELj4294967295EEENS1_25partition_config_selectorILNS1_17partition_subalgoE3EjNS0_10empty_typeEbEEZZNS1_14partition_implILS8_3ELb0ES6_jNS0_17counting_iteratorIjlEEPS9_SE_NS0_5tupleIJPjSE_EEENSF_IJSE_SE_EEES9_SG_JZNS1_25segmented_radix_sort_implINS0_14default_configELb0EPKfPfPKlPlN2at6native12_GLOBAL__N_18offset_tEEE10hipError_tPvRmT1_PNSt15iterator_traitsISY_E10value_typeET2_T3_PNSZ_IS14_E10value_typeET4_jRbjT5_S1A_jjP12ihipStream_tbEUljE_EEESV_SW_SX_S14_S18_S1A_T6_T7_T9_mT8_S1C_bDpT10_ENKUlT_T0_E_clISt17integral_constantIbLb1EES1O_IbLb0EEEEDaS1K_S1L_EUlS1K_E_NS1_11comp_targetILNS1_3genE3ELNS1_11target_archE908ELNS1_3gpuE7ELNS1_3repE0EEENS1_30default_config_static_selectorELNS0_4arch9wavefront6targetE1EEEvSY_
	.p2align	8
	.type	_ZN7rocprim17ROCPRIM_400000_NS6detail17trampoline_kernelINS0_13select_configILj256ELj13ELNS0_17block_load_methodE3ELS4_3ELS4_3ELNS0_20block_scan_algorithmE0ELj4294967295EEENS1_25partition_config_selectorILNS1_17partition_subalgoE3EjNS0_10empty_typeEbEEZZNS1_14partition_implILS8_3ELb0ES6_jNS0_17counting_iteratorIjlEEPS9_SE_NS0_5tupleIJPjSE_EEENSF_IJSE_SE_EEES9_SG_JZNS1_25segmented_radix_sort_implINS0_14default_configELb0EPKfPfPKlPlN2at6native12_GLOBAL__N_18offset_tEEE10hipError_tPvRmT1_PNSt15iterator_traitsISY_E10value_typeET2_T3_PNSZ_IS14_E10value_typeET4_jRbjT5_S1A_jjP12ihipStream_tbEUljE_EEESV_SW_SX_S14_S18_S1A_T6_T7_T9_mT8_S1C_bDpT10_ENKUlT_T0_E_clISt17integral_constantIbLb1EES1O_IbLb0EEEEDaS1K_S1L_EUlS1K_E_NS1_11comp_targetILNS1_3genE3ELNS1_11target_archE908ELNS1_3gpuE7ELNS1_3repE0EEENS1_30default_config_static_selectorELNS0_4arch9wavefront6targetE1EEEvSY_,@function
_ZN7rocprim17ROCPRIM_400000_NS6detail17trampoline_kernelINS0_13select_configILj256ELj13ELNS0_17block_load_methodE3ELS4_3ELS4_3ELNS0_20block_scan_algorithmE0ELj4294967295EEENS1_25partition_config_selectorILNS1_17partition_subalgoE3EjNS0_10empty_typeEbEEZZNS1_14partition_implILS8_3ELb0ES6_jNS0_17counting_iteratorIjlEEPS9_SE_NS0_5tupleIJPjSE_EEENSF_IJSE_SE_EEES9_SG_JZNS1_25segmented_radix_sort_implINS0_14default_configELb0EPKfPfPKlPlN2at6native12_GLOBAL__N_18offset_tEEE10hipError_tPvRmT1_PNSt15iterator_traitsISY_E10value_typeET2_T3_PNSZ_IS14_E10value_typeET4_jRbjT5_S1A_jjP12ihipStream_tbEUljE_EEESV_SW_SX_S14_S18_S1A_T6_T7_T9_mT8_S1C_bDpT10_ENKUlT_T0_E_clISt17integral_constantIbLb1EES1O_IbLb0EEEEDaS1K_S1L_EUlS1K_E_NS1_11comp_targetILNS1_3genE3ELNS1_11target_archE908ELNS1_3gpuE7ELNS1_3repE0EEENS1_30default_config_static_selectorELNS0_4arch9wavefront6targetE1EEEvSY_: ; @_ZN7rocprim17ROCPRIM_400000_NS6detail17trampoline_kernelINS0_13select_configILj256ELj13ELNS0_17block_load_methodE3ELS4_3ELS4_3ELNS0_20block_scan_algorithmE0ELj4294967295EEENS1_25partition_config_selectorILNS1_17partition_subalgoE3EjNS0_10empty_typeEbEEZZNS1_14partition_implILS8_3ELb0ES6_jNS0_17counting_iteratorIjlEEPS9_SE_NS0_5tupleIJPjSE_EEENSF_IJSE_SE_EEES9_SG_JZNS1_25segmented_radix_sort_implINS0_14default_configELb0EPKfPfPKlPlN2at6native12_GLOBAL__N_18offset_tEEE10hipError_tPvRmT1_PNSt15iterator_traitsISY_E10value_typeET2_T3_PNSZ_IS14_E10value_typeET4_jRbjT5_S1A_jjP12ihipStream_tbEUljE_EEESV_SW_SX_S14_S18_S1A_T6_T7_T9_mT8_S1C_bDpT10_ENKUlT_T0_E_clISt17integral_constantIbLb1EES1O_IbLb0EEEEDaS1K_S1L_EUlS1K_E_NS1_11comp_targetILNS1_3genE3ELNS1_11target_archE908ELNS1_3gpuE7ELNS1_3repE0EEENS1_30default_config_static_selectorELNS0_4arch9wavefront6targetE1EEEvSY_
; %bb.0:
	.section	.rodata,"a",@progbits
	.p2align	6, 0x0
	.amdhsa_kernel _ZN7rocprim17ROCPRIM_400000_NS6detail17trampoline_kernelINS0_13select_configILj256ELj13ELNS0_17block_load_methodE3ELS4_3ELS4_3ELNS0_20block_scan_algorithmE0ELj4294967295EEENS1_25partition_config_selectorILNS1_17partition_subalgoE3EjNS0_10empty_typeEbEEZZNS1_14partition_implILS8_3ELb0ES6_jNS0_17counting_iteratorIjlEEPS9_SE_NS0_5tupleIJPjSE_EEENSF_IJSE_SE_EEES9_SG_JZNS1_25segmented_radix_sort_implINS0_14default_configELb0EPKfPfPKlPlN2at6native12_GLOBAL__N_18offset_tEEE10hipError_tPvRmT1_PNSt15iterator_traitsISY_E10value_typeET2_T3_PNSZ_IS14_E10value_typeET4_jRbjT5_S1A_jjP12ihipStream_tbEUljE_EEESV_SW_SX_S14_S18_S1A_T6_T7_T9_mT8_S1C_bDpT10_ENKUlT_T0_E_clISt17integral_constantIbLb1EES1O_IbLb0EEEEDaS1K_S1L_EUlS1K_E_NS1_11comp_targetILNS1_3genE3ELNS1_11target_archE908ELNS1_3gpuE7ELNS1_3repE0EEENS1_30default_config_static_selectorELNS0_4arch9wavefront6targetE1EEEvSY_
		.amdhsa_group_segment_fixed_size 0
		.amdhsa_private_segment_fixed_size 0
		.amdhsa_kernarg_size 144
		.amdhsa_user_sgpr_count 6
		.amdhsa_user_sgpr_private_segment_buffer 1
		.amdhsa_user_sgpr_dispatch_ptr 0
		.amdhsa_user_sgpr_queue_ptr 0
		.amdhsa_user_sgpr_kernarg_segment_ptr 1
		.amdhsa_user_sgpr_dispatch_id 0
		.amdhsa_user_sgpr_flat_scratch_init 0
		.amdhsa_user_sgpr_private_segment_size 0
		.amdhsa_uses_dynamic_stack 0
		.amdhsa_system_sgpr_private_segment_wavefront_offset 0
		.amdhsa_system_sgpr_workgroup_id_x 1
		.amdhsa_system_sgpr_workgroup_id_y 0
		.amdhsa_system_sgpr_workgroup_id_z 0
		.amdhsa_system_sgpr_workgroup_info 0
		.amdhsa_system_vgpr_workitem_id 0
		.amdhsa_next_free_vgpr 1
		.amdhsa_next_free_sgpr 0
		.amdhsa_reserve_vcc 0
		.amdhsa_reserve_flat_scratch 0
		.amdhsa_float_round_mode_32 0
		.amdhsa_float_round_mode_16_64 0
		.amdhsa_float_denorm_mode_32 3
		.amdhsa_float_denorm_mode_16_64 3
		.amdhsa_dx10_clamp 1
		.amdhsa_ieee_mode 1
		.amdhsa_fp16_overflow 0
		.amdhsa_exception_fp_ieee_invalid_op 0
		.amdhsa_exception_fp_denorm_src 0
		.amdhsa_exception_fp_ieee_div_zero 0
		.amdhsa_exception_fp_ieee_overflow 0
		.amdhsa_exception_fp_ieee_underflow 0
		.amdhsa_exception_fp_ieee_inexact 0
		.amdhsa_exception_int_div_zero 0
	.end_amdhsa_kernel
	.section	.text._ZN7rocprim17ROCPRIM_400000_NS6detail17trampoline_kernelINS0_13select_configILj256ELj13ELNS0_17block_load_methodE3ELS4_3ELS4_3ELNS0_20block_scan_algorithmE0ELj4294967295EEENS1_25partition_config_selectorILNS1_17partition_subalgoE3EjNS0_10empty_typeEbEEZZNS1_14partition_implILS8_3ELb0ES6_jNS0_17counting_iteratorIjlEEPS9_SE_NS0_5tupleIJPjSE_EEENSF_IJSE_SE_EEES9_SG_JZNS1_25segmented_radix_sort_implINS0_14default_configELb0EPKfPfPKlPlN2at6native12_GLOBAL__N_18offset_tEEE10hipError_tPvRmT1_PNSt15iterator_traitsISY_E10value_typeET2_T3_PNSZ_IS14_E10value_typeET4_jRbjT5_S1A_jjP12ihipStream_tbEUljE_EEESV_SW_SX_S14_S18_S1A_T6_T7_T9_mT8_S1C_bDpT10_ENKUlT_T0_E_clISt17integral_constantIbLb1EES1O_IbLb0EEEEDaS1K_S1L_EUlS1K_E_NS1_11comp_targetILNS1_3genE3ELNS1_11target_archE908ELNS1_3gpuE7ELNS1_3repE0EEENS1_30default_config_static_selectorELNS0_4arch9wavefront6targetE1EEEvSY_,"axG",@progbits,_ZN7rocprim17ROCPRIM_400000_NS6detail17trampoline_kernelINS0_13select_configILj256ELj13ELNS0_17block_load_methodE3ELS4_3ELS4_3ELNS0_20block_scan_algorithmE0ELj4294967295EEENS1_25partition_config_selectorILNS1_17partition_subalgoE3EjNS0_10empty_typeEbEEZZNS1_14partition_implILS8_3ELb0ES6_jNS0_17counting_iteratorIjlEEPS9_SE_NS0_5tupleIJPjSE_EEENSF_IJSE_SE_EEES9_SG_JZNS1_25segmented_radix_sort_implINS0_14default_configELb0EPKfPfPKlPlN2at6native12_GLOBAL__N_18offset_tEEE10hipError_tPvRmT1_PNSt15iterator_traitsISY_E10value_typeET2_T3_PNSZ_IS14_E10value_typeET4_jRbjT5_S1A_jjP12ihipStream_tbEUljE_EEESV_SW_SX_S14_S18_S1A_T6_T7_T9_mT8_S1C_bDpT10_ENKUlT_T0_E_clISt17integral_constantIbLb1EES1O_IbLb0EEEEDaS1K_S1L_EUlS1K_E_NS1_11comp_targetILNS1_3genE3ELNS1_11target_archE908ELNS1_3gpuE7ELNS1_3repE0EEENS1_30default_config_static_selectorELNS0_4arch9wavefront6targetE1EEEvSY_,comdat
.Lfunc_end1415:
	.size	_ZN7rocprim17ROCPRIM_400000_NS6detail17trampoline_kernelINS0_13select_configILj256ELj13ELNS0_17block_load_methodE3ELS4_3ELS4_3ELNS0_20block_scan_algorithmE0ELj4294967295EEENS1_25partition_config_selectorILNS1_17partition_subalgoE3EjNS0_10empty_typeEbEEZZNS1_14partition_implILS8_3ELb0ES6_jNS0_17counting_iteratorIjlEEPS9_SE_NS0_5tupleIJPjSE_EEENSF_IJSE_SE_EEES9_SG_JZNS1_25segmented_radix_sort_implINS0_14default_configELb0EPKfPfPKlPlN2at6native12_GLOBAL__N_18offset_tEEE10hipError_tPvRmT1_PNSt15iterator_traitsISY_E10value_typeET2_T3_PNSZ_IS14_E10value_typeET4_jRbjT5_S1A_jjP12ihipStream_tbEUljE_EEESV_SW_SX_S14_S18_S1A_T6_T7_T9_mT8_S1C_bDpT10_ENKUlT_T0_E_clISt17integral_constantIbLb1EES1O_IbLb0EEEEDaS1K_S1L_EUlS1K_E_NS1_11comp_targetILNS1_3genE3ELNS1_11target_archE908ELNS1_3gpuE7ELNS1_3repE0EEENS1_30default_config_static_selectorELNS0_4arch9wavefront6targetE1EEEvSY_, .Lfunc_end1415-_ZN7rocprim17ROCPRIM_400000_NS6detail17trampoline_kernelINS0_13select_configILj256ELj13ELNS0_17block_load_methodE3ELS4_3ELS4_3ELNS0_20block_scan_algorithmE0ELj4294967295EEENS1_25partition_config_selectorILNS1_17partition_subalgoE3EjNS0_10empty_typeEbEEZZNS1_14partition_implILS8_3ELb0ES6_jNS0_17counting_iteratorIjlEEPS9_SE_NS0_5tupleIJPjSE_EEENSF_IJSE_SE_EEES9_SG_JZNS1_25segmented_radix_sort_implINS0_14default_configELb0EPKfPfPKlPlN2at6native12_GLOBAL__N_18offset_tEEE10hipError_tPvRmT1_PNSt15iterator_traitsISY_E10value_typeET2_T3_PNSZ_IS14_E10value_typeET4_jRbjT5_S1A_jjP12ihipStream_tbEUljE_EEESV_SW_SX_S14_S18_S1A_T6_T7_T9_mT8_S1C_bDpT10_ENKUlT_T0_E_clISt17integral_constantIbLb1EES1O_IbLb0EEEEDaS1K_S1L_EUlS1K_E_NS1_11comp_targetILNS1_3genE3ELNS1_11target_archE908ELNS1_3gpuE7ELNS1_3repE0EEENS1_30default_config_static_selectorELNS0_4arch9wavefront6targetE1EEEvSY_
                                        ; -- End function
	.set _ZN7rocprim17ROCPRIM_400000_NS6detail17trampoline_kernelINS0_13select_configILj256ELj13ELNS0_17block_load_methodE3ELS4_3ELS4_3ELNS0_20block_scan_algorithmE0ELj4294967295EEENS1_25partition_config_selectorILNS1_17partition_subalgoE3EjNS0_10empty_typeEbEEZZNS1_14partition_implILS8_3ELb0ES6_jNS0_17counting_iteratorIjlEEPS9_SE_NS0_5tupleIJPjSE_EEENSF_IJSE_SE_EEES9_SG_JZNS1_25segmented_radix_sort_implINS0_14default_configELb0EPKfPfPKlPlN2at6native12_GLOBAL__N_18offset_tEEE10hipError_tPvRmT1_PNSt15iterator_traitsISY_E10value_typeET2_T3_PNSZ_IS14_E10value_typeET4_jRbjT5_S1A_jjP12ihipStream_tbEUljE_EEESV_SW_SX_S14_S18_S1A_T6_T7_T9_mT8_S1C_bDpT10_ENKUlT_T0_E_clISt17integral_constantIbLb1EES1O_IbLb0EEEEDaS1K_S1L_EUlS1K_E_NS1_11comp_targetILNS1_3genE3ELNS1_11target_archE908ELNS1_3gpuE7ELNS1_3repE0EEENS1_30default_config_static_selectorELNS0_4arch9wavefront6targetE1EEEvSY_.num_vgpr, 0
	.set _ZN7rocprim17ROCPRIM_400000_NS6detail17trampoline_kernelINS0_13select_configILj256ELj13ELNS0_17block_load_methodE3ELS4_3ELS4_3ELNS0_20block_scan_algorithmE0ELj4294967295EEENS1_25partition_config_selectorILNS1_17partition_subalgoE3EjNS0_10empty_typeEbEEZZNS1_14partition_implILS8_3ELb0ES6_jNS0_17counting_iteratorIjlEEPS9_SE_NS0_5tupleIJPjSE_EEENSF_IJSE_SE_EEES9_SG_JZNS1_25segmented_radix_sort_implINS0_14default_configELb0EPKfPfPKlPlN2at6native12_GLOBAL__N_18offset_tEEE10hipError_tPvRmT1_PNSt15iterator_traitsISY_E10value_typeET2_T3_PNSZ_IS14_E10value_typeET4_jRbjT5_S1A_jjP12ihipStream_tbEUljE_EEESV_SW_SX_S14_S18_S1A_T6_T7_T9_mT8_S1C_bDpT10_ENKUlT_T0_E_clISt17integral_constantIbLb1EES1O_IbLb0EEEEDaS1K_S1L_EUlS1K_E_NS1_11comp_targetILNS1_3genE3ELNS1_11target_archE908ELNS1_3gpuE7ELNS1_3repE0EEENS1_30default_config_static_selectorELNS0_4arch9wavefront6targetE1EEEvSY_.num_agpr, 0
	.set _ZN7rocprim17ROCPRIM_400000_NS6detail17trampoline_kernelINS0_13select_configILj256ELj13ELNS0_17block_load_methodE3ELS4_3ELS4_3ELNS0_20block_scan_algorithmE0ELj4294967295EEENS1_25partition_config_selectorILNS1_17partition_subalgoE3EjNS0_10empty_typeEbEEZZNS1_14partition_implILS8_3ELb0ES6_jNS0_17counting_iteratorIjlEEPS9_SE_NS0_5tupleIJPjSE_EEENSF_IJSE_SE_EEES9_SG_JZNS1_25segmented_radix_sort_implINS0_14default_configELb0EPKfPfPKlPlN2at6native12_GLOBAL__N_18offset_tEEE10hipError_tPvRmT1_PNSt15iterator_traitsISY_E10value_typeET2_T3_PNSZ_IS14_E10value_typeET4_jRbjT5_S1A_jjP12ihipStream_tbEUljE_EEESV_SW_SX_S14_S18_S1A_T6_T7_T9_mT8_S1C_bDpT10_ENKUlT_T0_E_clISt17integral_constantIbLb1EES1O_IbLb0EEEEDaS1K_S1L_EUlS1K_E_NS1_11comp_targetILNS1_3genE3ELNS1_11target_archE908ELNS1_3gpuE7ELNS1_3repE0EEENS1_30default_config_static_selectorELNS0_4arch9wavefront6targetE1EEEvSY_.numbered_sgpr, 0
	.set _ZN7rocprim17ROCPRIM_400000_NS6detail17trampoline_kernelINS0_13select_configILj256ELj13ELNS0_17block_load_methodE3ELS4_3ELS4_3ELNS0_20block_scan_algorithmE0ELj4294967295EEENS1_25partition_config_selectorILNS1_17partition_subalgoE3EjNS0_10empty_typeEbEEZZNS1_14partition_implILS8_3ELb0ES6_jNS0_17counting_iteratorIjlEEPS9_SE_NS0_5tupleIJPjSE_EEENSF_IJSE_SE_EEES9_SG_JZNS1_25segmented_radix_sort_implINS0_14default_configELb0EPKfPfPKlPlN2at6native12_GLOBAL__N_18offset_tEEE10hipError_tPvRmT1_PNSt15iterator_traitsISY_E10value_typeET2_T3_PNSZ_IS14_E10value_typeET4_jRbjT5_S1A_jjP12ihipStream_tbEUljE_EEESV_SW_SX_S14_S18_S1A_T6_T7_T9_mT8_S1C_bDpT10_ENKUlT_T0_E_clISt17integral_constantIbLb1EES1O_IbLb0EEEEDaS1K_S1L_EUlS1K_E_NS1_11comp_targetILNS1_3genE3ELNS1_11target_archE908ELNS1_3gpuE7ELNS1_3repE0EEENS1_30default_config_static_selectorELNS0_4arch9wavefront6targetE1EEEvSY_.num_named_barrier, 0
	.set _ZN7rocprim17ROCPRIM_400000_NS6detail17trampoline_kernelINS0_13select_configILj256ELj13ELNS0_17block_load_methodE3ELS4_3ELS4_3ELNS0_20block_scan_algorithmE0ELj4294967295EEENS1_25partition_config_selectorILNS1_17partition_subalgoE3EjNS0_10empty_typeEbEEZZNS1_14partition_implILS8_3ELb0ES6_jNS0_17counting_iteratorIjlEEPS9_SE_NS0_5tupleIJPjSE_EEENSF_IJSE_SE_EEES9_SG_JZNS1_25segmented_radix_sort_implINS0_14default_configELb0EPKfPfPKlPlN2at6native12_GLOBAL__N_18offset_tEEE10hipError_tPvRmT1_PNSt15iterator_traitsISY_E10value_typeET2_T3_PNSZ_IS14_E10value_typeET4_jRbjT5_S1A_jjP12ihipStream_tbEUljE_EEESV_SW_SX_S14_S18_S1A_T6_T7_T9_mT8_S1C_bDpT10_ENKUlT_T0_E_clISt17integral_constantIbLb1EES1O_IbLb0EEEEDaS1K_S1L_EUlS1K_E_NS1_11comp_targetILNS1_3genE3ELNS1_11target_archE908ELNS1_3gpuE7ELNS1_3repE0EEENS1_30default_config_static_selectorELNS0_4arch9wavefront6targetE1EEEvSY_.private_seg_size, 0
	.set _ZN7rocprim17ROCPRIM_400000_NS6detail17trampoline_kernelINS0_13select_configILj256ELj13ELNS0_17block_load_methodE3ELS4_3ELS4_3ELNS0_20block_scan_algorithmE0ELj4294967295EEENS1_25partition_config_selectorILNS1_17partition_subalgoE3EjNS0_10empty_typeEbEEZZNS1_14partition_implILS8_3ELb0ES6_jNS0_17counting_iteratorIjlEEPS9_SE_NS0_5tupleIJPjSE_EEENSF_IJSE_SE_EEES9_SG_JZNS1_25segmented_radix_sort_implINS0_14default_configELb0EPKfPfPKlPlN2at6native12_GLOBAL__N_18offset_tEEE10hipError_tPvRmT1_PNSt15iterator_traitsISY_E10value_typeET2_T3_PNSZ_IS14_E10value_typeET4_jRbjT5_S1A_jjP12ihipStream_tbEUljE_EEESV_SW_SX_S14_S18_S1A_T6_T7_T9_mT8_S1C_bDpT10_ENKUlT_T0_E_clISt17integral_constantIbLb1EES1O_IbLb0EEEEDaS1K_S1L_EUlS1K_E_NS1_11comp_targetILNS1_3genE3ELNS1_11target_archE908ELNS1_3gpuE7ELNS1_3repE0EEENS1_30default_config_static_selectorELNS0_4arch9wavefront6targetE1EEEvSY_.uses_vcc, 0
	.set _ZN7rocprim17ROCPRIM_400000_NS6detail17trampoline_kernelINS0_13select_configILj256ELj13ELNS0_17block_load_methodE3ELS4_3ELS4_3ELNS0_20block_scan_algorithmE0ELj4294967295EEENS1_25partition_config_selectorILNS1_17partition_subalgoE3EjNS0_10empty_typeEbEEZZNS1_14partition_implILS8_3ELb0ES6_jNS0_17counting_iteratorIjlEEPS9_SE_NS0_5tupleIJPjSE_EEENSF_IJSE_SE_EEES9_SG_JZNS1_25segmented_radix_sort_implINS0_14default_configELb0EPKfPfPKlPlN2at6native12_GLOBAL__N_18offset_tEEE10hipError_tPvRmT1_PNSt15iterator_traitsISY_E10value_typeET2_T3_PNSZ_IS14_E10value_typeET4_jRbjT5_S1A_jjP12ihipStream_tbEUljE_EEESV_SW_SX_S14_S18_S1A_T6_T7_T9_mT8_S1C_bDpT10_ENKUlT_T0_E_clISt17integral_constantIbLb1EES1O_IbLb0EEEEDaS1K_S1L_EUlS1K_E_NS1_11comp_targetILNS1_3genE3ELNS1_11target_archE908ELNS1_3gpuE7ELNS1_3repE0EEENS1_30default_config_static_selectorELNS0_4arch9wavefront6targetE1EEEvSY_.uses_flat_scratch, 0
	.set _ZN7rocprim17ROCPRIM_400000_NS6detail17trampoline_kernelINS0_13select_configILj256ELj13ELNS0_17block_load_methodE3ELS4_3ELS4_3ELNS0_20block_scan_algorithmE0ELj4294967295EEENS1_25partition_config_selectorILNS1_17partition_subalgoE3EjNS0_10empty_typeEbEEZZNS1_14partition_implILS8_3ELb0ES6_jNS0_17counting_iteratorIjlEEPS9_SE_NS0_5tupleIJPjSE_EEENSF_IJSE_SE_EEES9_SG_JZNS1_25segmented_radix_sort_implINS0_14default_configELb0EPKfPfPKlPlN2at6native12_GLOBAL__N_18offset_tEEE10hipError_tPvRmT1_PNSt15iterator_traitsISY_E10value_typeET2_T3_PNSZ_IS14_E10value_typeET4_jRbjT5_S1A_jjP12ihipStream_tbEUljE_EEESV_SW_SX_S14_S18_S1A_T6_T7_T9_mT8_S1C_bDpT10_ENKUlT_T0_E_clISt17integral_constantIbLb1EES1O_IbLb0EEEEDaS1K_S1L_EUlS1K_E_NS1_11comp_targetILNS1_3genE3ELNS1_11target_archE908ELNS1_3gpuE7ELNS1_3repE0EEENS1_30default_config_static_selectorELNS0_4arch9wavefront6targetE1EEEvSY_.has_dyn_sized_stack, 0
	.set _ZN7rocprim17ROCPRIM_400000_NS6detail17trampoline_kernelINS0_13select_configILj256ELj13ELNS0_17block_load_methodE3ELS4_3ELS4_3ELNS0_20block_scan_algorithmE0ELj4294967295EEENS1_25partition_config_selectorILNS1_17partition_subalgoE3EjNS0_10empty_typeEbEEZZNS1_14partition_implILS8_3ELb0ES6_jNS0_17counting_iteratorIjlEEPS9_SE_NS0_5tupleIJPjSE_EEENSF_IJSE_SE_EEES9_SG_JZNS1_25segmented_radix_sort_implINS0_14default_configELb0EPKfPfPKlPlN2at6native12_GLOBAL__N_18offset_tEEE10hipError_tPvRmT1_PNSt15iterator_traitsISY_E10value_typeET2_T3_PNSZ_IS14_E10value_typeET4_jRbjT5_S1A_jjP12ihipStream_tbEUljE_EEESV_SW_SX_S14_S18_S1A_T6_T7_T9_mT8_S1C_bDpT10_ENKUlT_T0_E_clISt17integral_constantIbLb1EES1O_IbLb0EEEEDaS1K_S1L_EUlS1K_E_NS1_11comp_targetILNS1_3genE3ELNS1_11target_archE908ELNS1_3gpuE7ELNS1_3repE0EEENS1_30default_config_static_selectorELNS0_4arch9wavefront6targetE1EEEvSY_.has_recursion, 0
	.set _ZN7rocprim17ROCPRIM_400000_NS6detail17trampoline_kernelINS0_13select_configILj256ELj13ELNS0_17block_load_methodE3ELS4_3ELS4_3ELNS0_20block_scan_algorithmE0ELj4294967295EEENS1_25partition_config_selectorILNS1_17partition_subalgoE3EjNS0_10empty_typeEbEEZZNS1_14partition_implILS8_3ELb0ES6_jNS0_17counting_iteratorIjlEEPS9_SE_NS0_5tupleIJPjSE_EEENSF_IJSE_SE_EEES9_SG_JZNS1_25segmented_radix_sort_implINS0_14default_configELb0EPKfPfPKlPlN2at6native12_GLOBAL__N_18offset_tEEE10hipError_tPvRmT1_PNSt15iterator_traitsISY_E10value_typeET2_T3_PNSZ_IS14_E10value_typeET4_jRbjT5_S1A_jjP12ihipStream_tbEUljE_EEESV_SW_SX_S14_S18_S1A_T6_T7_T9_mT8_S1C_bDpT10_ENKUlT_T0_E_clISt17integral_constantIbLb1EES1O_IbLb0EEEEDaS1K_S1L_EUlS1K_E_NS1_11comp_targetILNS1_3genE3ELNS1_11target_archE908ELNS1_3gpuE7ELNS1_3repE0EEENS1_30default_config_static_selectorELNS0_4arch9wavefront6targetE1EEEvSY_.has_indirect_call, 0
	.section	.AMDGPU.csdata,"",@progbits
; Kernel info:
; codeLenInByte = 0
; TotalNumSgprs: 4
; NumVgprs: 0
; ScratchSize: 0
; MemoryBound: 0
; FloatMode: 240
; IeeeMode: 1
; LDSByteSize: 0 bytes/workgroup (compile time only)
; SGPRBlocks: 0
; VGPRBlocks: 0
; NumSGPRsForWavesPerEU: 4
; NumVGPRsForWavesPerEU: 1
; Occupancy: 10
; WaveLimiterHint : 0
; COMPUTE_PGM_RSRC2:SCRATCH_EN: 0
; COMPUTE_PGM_RSRC2:USER_SGPR: 6
; COMPUTE_PGM_RSRC2:TRAP_HANDLER: 0
; COMPUTE_PGM_RSRC2:TGID_X_EN: 1
; COMPUTE_PGM_RSRC2:TGID_Y_EN: 0
; COMPUTE_PGM_RSRC2:TGID_Z_EN: 0
; COMPUTE_PGM_RSRC2:TIDIG_COMP_CNT: 0
	.section	.text._ZN7rocprim17ROCPRIM_400000_NS6detail17trampoline_kernelINS0_13select_configILj256ELj13ELNS0_17block_load_methodE3ELS4_3ELS4_3ELNS0_20block_scan_algorithmE0ELj4294967295EEENS1_25partition_config_selectorILNS1_17partition_subalgoE3EjNS0_10empty_typeEbEEZZNS1_14partition_implILS8_3ELb0ES6_jNS0_17counting_iteratorIjlEEPS9_SE_NS0_5tupleIJPjSE_EEENSF_IJSE_SE_EEES9_SG_JZNS1_25segmented_radix_sort_implINS0_14default_configELb0EPKfPfPKlPlN2at6native12_GLOBAL__N_18offset_tEEE10hipError_tPvRmT1_PNSt15iterator_traitsISY_E10value_typeET2_T3_PNSZ_IS14_E10value_typeET4_jRbjT5_S1A_jjP12ihipStream_tbEUljE_EEESV_SW_SX_S14_S18_S1A_T6_T7_T9_mT8_S1C_bDpT10_ENKUlT_T0_E_clISt17integral_constantIbLb1EES1O_IbLb0EEEEDaS1K_S1L_EUlS1K_E_NS1_11comp_targetILNS1_3genE2ELNS1_11target_archE906ELNS1_3gpuE6ELNS1_3repE0EEENS1_30default_config_static_selectorELNS0_4arch9wavefront6targetE1EEEvSY_,"axG",@progbits,_ZN7rocprim17ROCPRIM_400000_NS6detail17trampoline_kernelINS0_13select_configILj256ELj13ELNS0_17block_load_methodE3ELS4_3ELS4_3ELNS0_20block_scan_algorithmE0ELj4294967295EEENS1_25partition_config_selectorILNS1_17partition_subalgoE3EjNS0_10empty_typeEbEEZZNS1_14partition_implILS8_3ELb0ES6_jNS0_17counting_iteratorIjlEEPS9_SE_NS0_5tupleIJPjSE_EEENSF_IJSE_SE_EEES9_SG_JZNS1_25segmented_radix_sort_implINS0_14default_configELb0EPKfPfPKlPlN2at6native12_GLOBAL__N_18offset_tEEE10hipError_tPvRmT1_PNSt15iterator_traitsISY_E10value_typeET2_T3_PNSZ_IS14_E10value_typeET4_jRbjT5_S1A_jjP12ihipStream_tbEUljE_EEESV_SW_SX_S14_S18_S1A_T6_T7_T9_mT8_S1C_bDpT10_ENKUlT_T0_E_clISt17integral_constantIbLb1EES1O_IbLb0EEEEDaS1K_S1L_EUlS1K_E_NS1_11comp_targetILNS1_3genE2ELNS1_11target_archE906ELNS1_3gpuE6ELNS1_3repE0EEENS1_30default_config_static_selectorELNS0_4arch9wavefront6targetE1EEEvSY_,comdat
	.globl	_ZN7rocprim17ROCPRIM_400000_NS6detail17trampoline_kernelINS0_13select_configILj256ELj13ELNS0_17block_load_methodE3ELS4_3ELS4_3ELNS0_20block_scan_algorithmE0ELj4294967295EEENS1_25partition_config_selectorILNS1_17partition_subalgoE3EjNS0_10empty_typeEbEEZZNS1_14partition_implILS8_3ELb0ES6_jNS0_17counting_iteratorIjlEEPS9_SE_NS0_5tupleIJPjSE_EEENSF_IJSE_SE_EEES9_SG_JZNS1_25segmented_radix_sort_implINS0_14default_configELb0EPKfPfPKlPlN2at6native12_GLOBAL__N_18offset_tEEE10hipError_tPvRmT1_PNSt15iterator_traitsISY_E10value_typeET2_T3_PNSZ_IS14_E10value_typeET4_jRbjT5_S1A_jjP12ihipStream_tbEUljE_EEESV_SW_SX_S14_S18_S1A_T6_T7_T9_mT8_S1C_bDpT10_ENKUlT_T0_E_clISt17integral_constantIbLb1EES1O_IbLb0EEEEDaS1K_S1L_EUlS1K_E_NS1_11comp_targetILNS1_3genE2ELNS1_11target_archE906ELNS1_3gpuE6ELNS1_3repE0EEENS1_30default_config_static_selectorELNS0_4arch9wavefront6targetE1EEEvSY_ ; -- Begin function _ZN7rocprim17ROCPRIM_400000_NS6detail17trampoline_kernelINS0_13select_configILj256ELj13ELNS0_17block_load_methodE3ELS4_3ELS4_3ELNS0_20block_scan_algorithmE0ELj4294967295EEENS1_25partition_config_selectorILNS1_17partition_subalgoE3EjNS0_10empty_typeEbEEZZNS1_14partition_implILS8_3ELb0ES6_jNS0_17counting_iteratorIjlEEPS9_SE_NS0_5tupleIJPjSE_EEENSF_IJSE_SE_EEES9_SG_JZNS1_25segmented_radix_sort_implINS0_14default_configELb0EPKfPfPKlPlN2at6native12_GLOBAL__N_18offset_tEEE10hipError_tPvRmT1_PNSt15iterator_traitsISY_E10value_typeET2_T3_PNSZ_IS14_E10value_typeET4_jRbjT5_S1A_jjP12ihipStream_tbEUljE_EEESV_SW_SX_S14_S18_S1A_T6_T7_T9_mT8_S1C_bDpT10_ENKUlT_T0_E_clISt17integral_constantIbLb1EES1O_IbLb0EEEEDaS1K_S1L_EUlS1K_E_NS1_11comp_targetILNS1_3genE2ELNS1_11target_archE906ELNS1_3gpuE6ELNS1_3repE0EEENS1_30default_config_static_selectorELNS0_4arch9wavefront6targetE1EEEvSY_
	.p2align	8
	.type	_ZN7rocprim17ROCPRIM_400000_NS6detail17trampoline_kernelINS0_13select_configILj256ELj13ELNS0_17block_load_methodE3ELS4_3ELS4_3ELNS0_20block_scan_algorithmE0ELj4294967295EEENS1_25partition_config_selectorILNS1_17partition_subalgoE3EjNS0_10empty_typeEbEEZZNS1_14partition_implILS8_3ELb0ES6_jNS0_17counting_iteratorIjlEEPS9_SE_NS0_5tupleIJPjSE_EEENSF_IJSE_SE_EEES9_SG_JZNS1_25segmented_radix_sort_implINS0_14default_configELb0EPKfPfPKlPlN2at6native12_GLOBAL__N_18offset_tEEE10hipError_tPvRmT1_PNSt15iterator_traitsISY_E10value_typeET2_T3_PNSZ_IS14_E10value_typeET4_jRbjT5_S1A_jjP12ihipStream_tbEUljE_EEESV_SW_SX_S14_S18_S1A_T6_T7_T9_mT8_S1C_bDpT10_ENKUlT_T0_E_clISt17integral_constantIbLb1EES1O_IbLb0EEEEDaS1K_S1L_EUlS1K_E_NS1_11comp_targetILNS1_3genE2ELNS1_11target_archE906ELNS1_3gpuE6ELNS1_3repE0EEENS1_30default_config_static_selectorELNS0_4arch9wavefront6targetE1EEEvSY_,@function
_ZN7rocprim17ROCPRIM_400000_NS6detail17trampoline_kernelINS0_13select_configILj256ELj13ELNS0_17block_load_methodE3ELS4_3ELS4_3ELNS0_20block_scan_algorithmE0ELj4294967295EEENS1_25partition_config_selectorILNS1_17partition_subalgoE3EjNS0_10empty_typeEbEEZZNS1_14partition_implILS8_3ELb0ES6_jNS0_17counting_iteratorIjlEEPS9_SE_NS0_5tupleIJPjSE_EEENSF_IJSE_SE_EEES9_SG_JZNS1_25segmented_radix_sort_implINS0_14default_configELb0EPKfPfPKlPlN2at6native12_GLOBAL__N_18offset_tEEE10hipError_tPvRmT1_PNSt15iterator_traitsISY_E10value_typeET2_T3_PNSZ_IS14_E10value_typeET4_jRbjT5_S1A_jjP12ihipStream_tbEUljE_EEESV_SW_SX_S14_S18_S1A_T6_T7_T9_mT8_S1C_bDpT10_ENKUlT_T0_E_clISt17integral_constantIbLb1EES1O_IbLb0EEEEDaS1K_S1L_EUlS1K_E_NS1_11comp_targetILNS1_3genE2ELNS1_11target_archE906ELNS1_3gpuE6ELNS1_3repE0EEENS1_30default_config_static_selectorELNS0_4arch9wavefront6targetE1EEEvSY_: ; @_ZN7rocprim17ROCPRIM_400000_NS6detail17trampoline_kernelINS0_13select_configILj256ELj13ELNS0_17block_load_methodE3ELS4_3ELS4_3ELNS0_20block_scan_algorithmE0ELj4294967295EEENS1_25partition_config_selectorILNS1_17partition_subalgoE3EjNS0_10empty_typeEbEEZZNS1_14partition_implILS8_3ELb0ES6_jNS0_17counting_iteratorIjlEEPS9_SE_NS0_5tupleIJPjSE_EEENSF_IJSE_SE_EEES9_SG_JZNS1_25segmented_radix_sort_implINS0_14default_configELb0EPKfPfPKlPlN2at6native12_GLOBAL__N_18offset_tEEE10hipError_tPvRmT1_PNSt15iterator_traitsISY_E10value_typeET2_T3_PNSZ_IS14_E10value_typeET4_jRbjT5_S1A_jjP12ihipStream_tbEUljE_EEESV_SW_SX_S14_S18_S1A_T6_T7_T9_mT8_S1C_bDpT10_ENKUlT_T0_E_clISt17integral_constantIbLb1EES1O_IbLb0EEEEDaS1K_S1L_EUlS1K_E_NS1_11comp_targetILNS1_3genE2ELNS1_11target_archE906ELNS1_3gpuE6ELNS1_3repE0EEENS1_30default_config_static_selectorELNS0_4arch9wavefront6targetE1EEEvSY_
; %bb.0:
	s_endpgm
	.section	.rodata,"a",@progbits
	.p2align	6, 0x0
	.amdhsa_kernel _ZN7rocprim17ROCPRIM_400000_NS6detail17trampoline_kernelINS0_13select_configILj256ELj13ELNS0_17block_load_methodE3ELS4_3ELS4_3ELNS0_20block_scan_algorithmE0ELj4294967295EEENS1_25partition_config_selectorILNS1_17partition_subalgoE3EjNS0_10empty_typeEbEEZZNS1_14partition_implILS8_3ELb0ES6_jNS0_17counting_iteratorIjlEEPS9_SE_NS0_5tupleIJPjSE_EEENSF_IJSE_SE_EEES9_SG_JZNS1_25segmented_radix_sort_implINS0_14default_configELb0EPKfPfPKlPlN2at6native12_GLOBAL__N_18offset_tEEE10hipError_tPvRmT1_PNSt15iterator_traitsISY_E10value_typeET2_T3_PNSZ_IS14_E10value_typeET4_jRbjT5_S1A_jjP12ihipStream_tbEUljE_EEESV_SW_SX_S14_S18_S1A_T6_T7_T9_mT8_S1C_bDpT10_ENKUlT_T0_E_clISt17integral_constantIbLb1EES1O_IbLb0EEEEDaS1K_S1L_EUlS1K_E_NS1_11comp_targetILNS1_3genE2ELNS1_11target_archE906ELNS1_3gpuE6ELNS1_3repE0EEENS1_30default_config_static_selectorELNS0_4arch9wavefront6targetE1EEEvSY_
		.amdhsa_group_segment_fixed_size 0
		.amdhsa_private_segment_fixed_size 0
		.amdhsa_kernarg_size 144
		.amdhsa_user_sgpr_count 6
		.amdhsa_user_sgpr_private_segment_buffer 1
		.amdhsa_user_sgpr_dispatch_ptr 0
		.amdhsa_user_sgpr_queue_ptr 0
		.amdhsa_user_sgpr_kernarg_segment_ptr 1
		.amdhsa_user_sgpr_dispatch_id 0
		.amdhsa_user_sgpr_flat_scratch_init 0
		.amdhsa_user_sgpr_private_segment_size 0
		.amdhsa_uses_dynamic_stack 0
		.amdhsa_system_sgpr_private_segment_wavefront_offset 0
		.amdhsa_system_sgpr_workgroup_id_x 1
		.amdhsa_system_sgpr_workgroup_id_y 0
		.amdhsa_system_sgpr_workgroup_id_z 0
		.amdhsa_system_sgpr_workgroup_info 0
		.amdhsa_system_vgpr_workitem_id 0
		.amdhsa_next_free_vgpr 1
		.amdhsa_next_free_sgpr 0
		.amdhsa_reserve_vcc 0
		.amdhsa_reserve_flat_scratch 0
		.amdhsa_float_round_mode_32 0
		.amdhsa_float_round_mode_16_64 0
		.amdhsa_float_denorm_mode_32 3
		.amdhsa_float_denorm_mode_16_64 3
		.amdhsa_dx10_clamp 1
		.amdhsa_ieee_mode 1
		.amdhsa_fp16_overflow 0
		.amdhsa_exception_fp_ieee_invalid_op 0
		.amdhsa_exception_fp_denorm_src 0
		.amdhsa_exception_fp_ieee_div_zero 0
		.amdhsa_exception_fp_ieee_overflow 0
		.amdhsa_exception_fp_ieee_underflow 0
		.amdhsa_exception_fp_ieee_inexact 0
		.amdhsa_exception_int_div_zero 0
	.end_amdhsa_kernel
	.section	.text._ZN7rocprim17ROCPRIM_400000_NS6detail17trampoline_kernelINS0_13select_configILj256ELj13ELNS0_17block_load_methodE3ELS4_3ELS4_3ELNS0_20block_scan_algorithmE0ELj4294967295EEENS1_25partition_config_selectorILNS1_17partition_subalgoE3EjNS0_10empty_typeEbEEZZNS1_14partition_implILS8_3ELb0ES6_jNS0_17counting_iteratorIjlEEPS9_SE_NS0_5tupleIJPjSE_EEENSF_IJSE_SE_EEES9_SG_JZNS1_25segmented_radix_sort_implINS0_14default_configELb0EPKfPfPKlPlN2at6native12_GLOBAL__N_18offset_tEEE10hipError_tPvRmT1_PNSt15iterator_traitsISY_E10value_typeET2_T3_PNSZ_IS14_E10value_typeET4_jRbjT5_S1A_jjP12ihipStream_tbEUljE_EEESV_SW_SX_S14_S18_S1A_T6_T7_T9_mT8_S1C_bDpT10_ENKUlT_T0_E_clISt17integral_constantIbLb1EES1O_IbLb0EEEEDaS1K_S1L_EUlS1K_E_NS1_11comp_targetILNS1_3genE2ELNS1_11target_archE906ELNS1_3gpuE6ELNS1_3repE0EEENS1_30default_config_static_selectorELNS0_4arch9wavefront6targetE1EEEvSY_,"axG",@progbits,_ZN7rocprim17ROCPRIM_400000_NS6detail17trampoline_kernelINS0_13select_configILj256ELj13ELNS0_17block_load_methodE3ELS4_3ELS4_3ELNS0_20block_scan_algorithmE0ELj4294967295EEENS1_25partition_config_selectorILNS1_17partition_subalgoE3EjNS0_10empty_typeEbEEZZNS1_14partition_implILS8_3ELb0ES6_jNS0_17counting_iteratorIjlEEPS9_SE_NS0_5tupleIJPjSE_EEENSF_IJSE_SE_EEES9_SG_JZNS1_25segmented_radix_sort_implINS0_14default_configELb0EPKfPfPKlPlN2at6native12_GLOBAL__N_18offset_tEEE10hipError_tPvRmT1_PNSt15iterator_traitsISY_E10value_typeET2_T3_PNSZ_IS14_E10value_typeET4_jRbjT5_S1A_jjP12ihipStream_tbEUljE_EEESV_SW_SX_S14_S18_S1A_T6_T7_T9_mT8_S1C_bDpT10_ENKUlT_T0_E_clISt17integral_constantIbLb1EES1O_IbLb0EEEEDaS1K_S1L_EUlS1K_E_NS1_11comp_targetILNS1_3genE2ELNS1_11target_archE906ELNS1_3gpuE6ELNS1_3repE0EEENS1_30default_config_static_selectorELNS0_4arch9wavefront6targetE1EEEvSY_,comdat
.Lfunc_end1416:
	.size	_ZN7rocprim17ROCPRIM_400000_NS6detail17trampoline_kernelINS0_13select_configILj256ELj13ELNS0_17block_load_methodE3ELS4_3ELS4_3ELNS0_20block_scan_algorithmE0ELj4294967295EEENS1_25partition_config_selectorILNS1_17partition_subalgoE3EjNS0_10empty_typeEbEEZZNS1_14partition_implILS8_3ELb0ES6_jNS0_17counting_iteratorIjlEEPS9_SE_NS0_5tupleIJPjSE_EEENSF_IJSE_SE_EEES9_SG_JZNS1_25segmented_radix_sort_implINS0_14default_configELb0EPKfPfPKlPlN2at6native12_GLOBAL__N_18offset_tEEE10hipError_tPvRmT1_PNSt15iterator_traitsISY_E10value_typeET2_T3_PNSZ_IS14_E10value_typeET4_jRbjT5_S1A_jjP12ihipStream_tbEUljE_EEESV_SW_SX_S14_S18_S1A_T6_T7_T9_mT8_S1C_bDpT10_ENKUlT_T0_E_clISt17integral_constantIbLb1EES1O_IbLb0EEEEDaS1K_S1L_EUlS1K_E_NS1_11comp_targetILNS1_3genE2ELNS1_11target_archE906ELNS1_3gpuE6ELNS1_3repE0EEENS1_30default_config_static_selectorELNS0_4arch9wavefront6targetE1EEEvSY_, .Lfunc_end1416-_ZN7rocprim17ROCPRIM_400000_NS6detail17trampoline_kernelINS0_13select_configILj256ELj13ELNS0_17block_load_methodE3ELS4_3ELS4_3ELNS0_20block_scan_algorithmE0ELj4294967295EEENS1_25partition_config_selectorILNS1_17partition_subalgoE3EjNS0_10empty_typeEbEEZZNS1_14partition_implILS8_3ELb0ES6_jNS0_17counting_iteratorIjlEEPS9_SE_NS0_5tupleIJPjSE_EEENSF_IJSE_SE_EEES9_SG_JZNS1_25segmented_radix_sort_implINS0_14default_configELb0EPKfPfPKlPlN2at6native12_GLOBAL__N_18offset_tEEE10hipError_tPvRmT1_PNSt15iterator_traitsISY_E10value_typeET2_T3_PNSZ_IS14_E10value_typeET4_jRbjT5_S1A_jjP12ihipStream_tbEUljE_EEESV_SW_SX_S14_S18_S1A_T6_T7_T9_mT8_S1C_bDpT10_ENKUlT_T0_E_clISt17integral_constantIbLb1EES1O_IbLb0EEEEDaS1K_S1L_EUlS1K_E_NS1_11comp_targetILNS1_3genE2ELNS1_11target_archE906ELNS1_3gpuE6ELNS1_3repE0EEENS1_30default_config_static_selectorELNS0_4arch9wavefront6targetE1EEEvSY_
                                        ; -- End function
	.set _ZN7rocprim17ROCPRIM_400000_NS6detail17trampoline_kernelINS0_13select_configILj256ELj13ELNS0_17block_load_methodE3ELS4_3ELS4_3ELNS0_20block_scan_algorithmE0ELj4294967295EEENS1_25partition_config_selectorILNS1_17partition_subalgoE3EjNS0_10empty_typeEbEEZZNS1_14partition_implILS8_3ELb0ES6_jNS0_17counting_iteratorIjlEEPS9_SE_NS0_5tupleIJPjSE_EEENSF_IJSE_SE_EEES9_SG_JZNS1_25segmented_radix_sort_implINS0_14default_configELb0EPKfPfPKlPlN2at6native12_GLOBAL__N_18offset_tEEE10hipError_tPvRmT1_PNSt15iterator_traitsISY_E10value_typeET2_T3_PNSZ_IS14_E10value_typeET4_jRbjT5_S1A_jjP12ihipStream_tbEUljE_EEESV_SW_SX_S14_S18_S1A_T6_T7_T9_mT8_S1C_bDpT10_ENKUlT_T0_E_clISt17integral_constantIbLb1EES1O_IbLb0EEEEDaS1K_S1L_EUlS1K_E_NS1_11comp_targetILNS1_3genE2ELNS1_11target_archE906ELNS1_3gpuE6ELNS1_3repE0EEENS1_30default_config_static_selectorELNS0_4arch9wavefront6targetE1EEEvSY_.num_vgpr, 0
	.set _ZN7rocprim17ROCPRIM_400000_NS6detail17trampoline_kernelINS0_13select_configILj256ELj13ELNS0_17block_load_methodE3ELS4_3ELS4_3ELNS0_20block_scan_algorithmE0ELj4294967295EEENS1_25partition_config_selectorILNS1_17partition_subalgoE3EjNS0_10empty_typeEbEEZZNS1_14partition_implILS8_3ELb0ES6_jNS0_17counting_iteratorIjlEEPS9_SE_NS0_5tupleIJPjSE_EEENSF_IJSE_SE_EEES9_SG_JZNS1_25segmented_radix_sort_implINS0_14default_configELb0EPKfPfPKlPlN2at6native12_GLOBAL__N_18offset_tEEE10hipError_tPvRmT1_PNSt15iterator_traitsISY_E10value_typeET2_T3_PNSZ_IS14_E10value_typeET4_jRbjT5_S1A_jjP12ihipStream_tbEUljE_EEESV_SW_SX_S14_S18_S1A_T6_T7_T9_mT8_S1C_bDpT10_ENKUlT_T0_E_clISt17integral_constantIbLb1EES1O_IbLb0EEEEDaS1K_S1L_EUlS1K_E_NS1_11comp_targetILNS1_3genE2ELNS1_11target_archE906ELNS1_3gpuE6ELNS1_3repE0EEENS1_30default_config_static_selectorELNS0_4arch9wavefront6targetE1EEEvSY_.num_agpr, 0
	.set _ZN7rocprim17ROCPRIM_400000_NS6detail17trampoline_kernelINS0_13select_configILj256ELj13ELNS0_17block_load_methodE3ELS4_3ELS4_3ELNS0_20block_scan_algorithmE0ELj4294967295EEENS1_25partition_config_selectorILNS1_17partition_subalgoE3EjNS0_10empty_typeEbEEZZNS1_14partition_implILS8_3ELb0ES6_jNS0_17counting_iteratorIjlEEPS9_SE_NS0_5tupleIJPjSE_EEENSF_IJSE_SE_EEES9_SG_JZNS1_25segmented_radix_sort_implINS0_14default_configELb0EPKfPfPKlPlN2at6native12_GLOBAL__N_18offset_tEEE10hipError_tPvRmT1_PNSt15iterator_traitsISY_E10value_typeET2_T3_PNSZ_IS14_E10value_typeET4_jRbjT5_S1A_jjP12ihipStream_tbEUljE_EEESV_SW_SX_S14_S18_S1A_T6_T7_T9_mT8_S1C_bDpT10_ENKUlT_T0_E_clISt17integral_constantIbLb1EES1O_IbLb0EEEEDaS1K_S1L_EUlS1K_E_NS1_11comp_targetILNS1_3genE2ELNS1_11target_archE906ELNS1_3gpuE6ELNS1_3repE0EEENS1_30default_config_static_selectorELNS0_4arch9wavefront6targetE1EEEvSY_.numbered_sgpr, 0
	.set _ZN7rocprim17ROCPRIM_400000_NS6detail17trampoline_kernelINS0_13select_configILj256ELj13ELNS0_17block_load_methodE3ELS4_3ELS4_3ELNS0_20block_scan_algorithmE0ELj4294967295EEENS1_25partition_config_selectorILNS1_17partition_subalgoE3EjNS0_10empty_typeEbEEZZNS1_14partition_implILS8_3ELb0ES6_jNS0_17counting_iteratorIjlEEPS9_SE_NS0_5tupleIJPjSE_EEENSF_IJSE_SE_EEES9_SG_JZNS1_25segmented_radix_sort_implINS0_14default_configELb0EPKfPfPKlPlN2at6native12_GLOBAL__N_18offset_tEEE10hipError_tPvRmT1_PNSt15iterator_traitsISY_E10value_typeET2_T3_PNSZ_IS14_E10value_typeET4_jRbjT5_S1A_jjP12ihipStream_tbEUljE_EEESV_SW_SX_S14_S18_S1A_T6_T7_T9_mT8_S1C_bDpT10_ENKUlT_T0_E_clISt17integral_constantIbLb1EES1O_IbLb0EEEEDaS1K_S1L_EUlS1K_E_NS1_11comp_targetILNS1_3genE2ELNS1_11target_archE906ELNS1_3gpuE6ELNS1_3repE0EEENS1_30default_config_static_selectorELNS0_4arch9wavefront6targetE1EEEvSY_.num_named_barrier, 0
	.set _ZN7rocprim17ROCPRIM_400000_NS6detail17trampoline_kernelINS0_13select_configILj256ELj13ELNS0_17block_load_methodE3ELS4_3ELS4_3ELNS0_20block_scan_algorithmE0ELj4294967295EEENS1_25partition_config_selectorILNS1_17partition_subalgoE3EjNS0_10empty_typeEbEEZZNS1_14partition_implILS8_3ELb0ES6_jNS0_17counting_iteratorIjlEEPS9_SE_NS0_5tupleIJPjSE_EEENSF_IJSE_SE_EEES9_SG_JZNS1_25segmented_radix_sort_implINS0_14default_configELb0EPKfPfPKlPlN2at6native12_GLOBAL__N_18offset_tEEE10hipError_tPvRmT1_PNSt15iterator_traitsISY_E10value_typeET2_T3_PNSZ_IS14_E10value_typeET4_jRbjT5_S1A_jjP12ihipStream_tbEUljE_EEESV_SW_SX_S14_S18_S1A_T6_T7_T9_mT8_S1C_bDpT10_ENKUlT_T0_E_clISt17integral_constantIbLb1EES1O_IbLb0EEEEDaS1K_S1L_EUlS1K_E_NS1_11comp_targetILNS1_3genE2ELNS1_11target_archE906ELNS1_3gpuE6ELNS1_3repE0EEENS1_30default_config_static_selectorELNS0_4arch9wavefront6targetE1EEEvSY_.private_seg_size, 0
	.set _ZN7rocprim17ROCPRIM_400000_NS6detail17trampoline_kernelINS0_13select_configILj256ELj13ELNS0_17block_load_methodE3ELS4_3ELS4_3ELNS0_20block_scan_algorithmE0ELj4294967295EEENS1_25partition_config_selectorILNS1_17partition_subalgoE3EjNS0_10empty_typeEbEEZZNS1_14partition_implILS8_3ELb0ES6_jNS0_17counting_iteratorIjlEEPS9_SE_NS0_5tupleIJPjSE_EEENSF_IJSE_SE_EEES9_SG_JZNS1_25segmented_radix_sort_implINS0_14default_configELb0EPKfPfPKlPlN2at6native12_GLOBAL__N_18offset_tEEE10hipError_tPvRmT1_PNSt15iterator_traitsISY_E10value_typeET2_T3_PNSZ_IS14_E10value_typeET4_jRbjT5_S1A_jjP12ihipStream_tbEUljE_EEESV_SW_SX_S14_S18_S1A_T6_T7_T9_mT8_S1C_bDpT10_ENKUlT_T0_E_clISt17integral_constantIbLb1EES1O_IbLb0EEEEDaS1K_S1L_EUlS1K_E_NS1_11comp_targetILNS1_3genE2ELNS1_11target_archE906ELNS1_3gpuE6ELNS1_3repE0EEENS1_30default_config_static_selectorELNS0_4arch9wavefront6targetE1EEEvSY_.uses_vcc, 0
	.set _ZN7rocprim17ROCPRIM_400000_NS6detail17trampoline_kernelINS0_13select_configILj256ELj13ELNS0_17block_load_methodE3ELS4_3ELS4_3ELNS0_20block_scan_algorithmE0ELj4294967295EEENS1_25partition_config_selectorILNS1_17partition_subalgoE3EjNS0_10empty_typeEbEEZZNS1_14partition_implILS8_3ELb0ES6_jNS0_17counting_iteratorIjlEEPS9_SE_NS0_5tupleIJPjSE_EEENSF_IJSE_SE_EEES9_SG_JZNS1_25segmented_radix_sort_implINS0_14default_configELb0EPKfPfPKlPlN2at6native12_GLOBAL__N_18offset_tEEE10hipError_tPvRmT1_PNSt15iterator_traitsISY_E10value_typeET2_T3_PNSZ_IS14_E10value_typeET4_jRbjT5_S1A_jjP12ihipStream_tbEUljE_EEESV_SW_SX_S14_S18_S1A_T6_T7_T9_mT8_S1C_bDpT10_ENKUlT_T0_E_clISt17integral_constantIbLb1EES1O_IbLb0EEEEDaS1K_S1L_EUlS1K_E_NS1_11comp_targetILNS1_3genE2ELNS1_11target_archE906ELNS1_3gpuE6ELNS1_3repE0EEENS1_30default_config_static_selectorELNS0_4arch9wavefront6targetE1EEEvSY_.uses_flat_scratch, 0
	.set _ZN7rocprim17ROCPRIM_400000_NS6detail17trampoline_kernelINS0_13select_configILj256ELj13ELNS0_17block_load_methodE3ELS4_3ELS4_3ELNS0_20block_scan_algorithmE0ELj4294967295EEENS1_25partition_config_selectorILNS1_17partition_subalgoE3EjNS0_10empty_typeEbEEZZNS1_14partition_implILS8_3ELb0ES6_jNS0_17counting_iteratorIjlEEPS9_SE_NS0_5tupleIJPjSE_EEENSF_IJSE_SE_EEES9_SG_JZNS1_25segmented_radix_sort_implINS0_14default_configELb0EPKfPfPKlPlN2at6native12_GLOBAL__N_18offset_tEEE10hipError_tPvRmT1_PNSt15iterator_traitsISY_E10value_typeET2_T3_PNSZ_IS14_E10value_typeET4_jRbjT5_S1A_jjP12ihipStream_tbEUljE_EEESV_SW_SX_S14_S18_S1A_T6_T7_T9_mT8_S1C_bDpT10_ENKUlT_T0_E_clISt17integral_constantIbLb1EES1O_IbLb0EEEEDaS1K_S1L_EUlS1K_E_NS1_11comp_targetILNS1_3genE2ELNS1_11target_archE906ELNS1_3gpuE6ELNS1_3repE0EEENS1_30default_config_static_selectorELNS0_4arch9wavefront6targetE1EEEvSY_.has_dyn_sized_stack, 0
	.set _ZN7rocprim17ROCPRIM_400000_NS6detail17trampoline_kernelINS0_13select_configILj256ELj13ELNS0_17block_load_methodE3ELS4_3ELS4_3ELNS0_20block_scan_algorithmE0ELj4294967295EEENS1_25partition_config_selectorILNS1_17partition_subalgoE3EjNS0_10empty_typeEbEEZZNS1_14partition_implILS8_3ELb0ES6_jNS0_17counting_iteratorIjlEEPS9_SE_NS0_5tupleIJPjSE_EEENSF_IJSE_SE_EEES9_SG_JZNS1_25segmented_radix_sort_implINS0_14default_configELb0EPKfPfPKlPlN2at6native12_GLOBAL__N_18offset_tEEE10hipError_tPvRmT1_PNSt15iterator_traitsISY_E10value_typeET2_T3_PNSZ_IS14_E10value_typeET4_jRbjT5_S1A_jjP12ihipStream_tbEUljE_EEESV_SW_SX_S14_S18_S1A_T6_T7_T9_mT8_S1C_bDpT10_ENKUlT_T0_E_clISt17integral_constantIbLb1EES1O_IbLb0EEEEDaS1K_S1L_EUlS1K_E_NS1_11comp_targetILNS1_3genE2ELNS1_11target_archE906ELNS1_3gpuE6ELNS1_3repE0EEENS1_30default_config_static_selectorELNS0_4arch9wavefront6targetE1EEEvSY_.has_recursion, 0
	.set _ZN7rocprim17ROCPRIM_400000_NS6detail17trampoline_kernelINS0_13select_configILj256ELj13ELNS0_17block_load_methodE3ELS4_3ELS4_3ELNS0_20block_scan_algorithmE0ELj4294967295EEENS1_25partition_config_selectorILNS1_17partition_subalgoE3EjNS0_10empty_typeEbEEZZNS1_14partition_implILS8_3ELb0ES6_jNS0_17counting_iteratorIjlEEPS9_SE_NS0_5tupleIJPjSE_EEENSF_IJSE_SE_EEES9_SG_JZNS1_25segmented_radix_sort_implINS0_14default_configELb0EPKfPfPKlPlN2at6native12_GLOBAL__N_18offset_tEEE10hipError_tPvRmT1_PNSt15iterator_traitsISY_E10value_typeET2_T3_PNSZ_IS14_E10value_typeET4_jRbjT5_S1A_jjP12ihipStream_tbEUljE_EEESV_SW_SX_S14_S18_S1A_T6_T7_T9_mT8_S1C_bDpT10_ENKUlT_T0_E_clISt17integral_constantIbLb1EES1O_IbLb0EEEEDaS1K_S1L_EUlS1K_E_NS1_11comp_targetILNS1_3genE2ELNS1_11target_archE906ELNS1_3gpuE6ELNS1_3repE0EEENS1_30default_config_static_selectorELNS0_4arch9wavefront6targetE1EEEvSY_.has_indirect_call, 0
	.section	.AMDGPU.csdata,"",@progbits
; Kernel info:
; codeLenInByte = 4
; TotalNumSgprs: 4
; NumVgprs: 0
; ScratchSize: 0
; MemoryBound: 0
; FloatMode: 240
; IeeeMode: 1
; LDSByteSize: 0 bytes/workgroup (compile time only)
; SGPRBlocks: 0
; VGPRBlocks: 0
; NumSGPRsForWavesPerEU: 4
; NumVGPRsForWavesPerEU: 1
; Occupancy: 10
; WaveLimiterHint : 0
; COMPUTE_PGM_RSRC2:SCRATCH_EN: 0
; COMPUTE_PGM_RSRC2:USER_SGPR: 6
; COMPUTE_PGM_RSRC2:TRAP_HANDLER: 0
; COMPUTE_PGM_RSRC2:TGID_X_EN: 1
; COMPUTE_PGM_RSRC2:TGID_Y_EN: 0
; COMPUTE_PGM_RSRC2:TGID_Z_EN: 0
; COMPUTE_PGM_RSRC2:TIDIG_COMP_CNT: 0
	.section	.text._ZN7rocprim17ROCPRIM_400000_NS6detail17trampoline_kernelINS0_13select_configILj256ELj13ELNS0_17block_load_methodE3ELS4_3ELS4_3ELNS0_20block_scan_algorithmE0ELj4294967295EEENS1_25partition_config_selectorILNS1_17partition_subalgoE3EjNS0_10empty_typeEbEEZZNS1_14partition_implILS8_3ELb0ES6_jNS0_17counting_iteratorIjlEEPS9_SE_NS0_5tupleIJPjSE_EEENSF_IJSE_SE_EEES9_SG_JZNS1_25segmented_radix_sort_implINS0_14default_configELb0EPKfPfPKlPlN2at6native12_GLOBAL__N_18offset_tEEE10hipError_tPvRmT1_PNSt15iterator_traitsISY_E10value_typeET2_T3_PNSZ_IS14_E10value_typeET4_jRbjT5_S1A_jjP12ihipStream_tbEUljE_EEESV_SW_SX_S14_S18_S1A_T6_T7_T9_mT8_S1C_bDpT10_ENKUlT_T0_E_clISt17integral_constantIbLb1EES1O_IbLb0EEEEDaS1K_S1L_EUlS1K_E_NS1_11comp_targetILNS1_3genE10ELNS1_11target_archE1200ELNS1_3gpuE4ELNS1_3repE0EEENS1_30default_config_static_selectorELNS0_4arch9wavefront6targetE1EEEvSY_,"axG",@progbits,_ZN7rocprim17ROCPRIM_400000_NS6detail17trampoline_kernelINS0_13select_configILj256ELj13ELNS0_17block_load_methodE3ELS4_3ELS4_3ELNS0_20block_scan_algorithmE0ELj4294967295EEENS1_25partition_config_selectorILNS1_17partition_subalgoE3EjNS0_10empty_typeEbEEZZNS1_14partition_implILS8_3ELb0ES6_jNS0_17counting_iteratorIjlEEPS9_SE_NS0_5tupleIJPjSE_EEENSF_IJSE_SE_EEES9_SG_JZNS1_25segmented_radix_sort_implINS0_14default_configELb0EPKfPfPKlPlN2at6native12_GLOBAL__N_18offset_tEEE10hipError_tPvRmT1_PNSt15iterator_traitsISY_E10value_typeET2_T3_PNSZ_IS14_E10value_typeET4_jRbjT5_S1A_jjP12ihipStream_tbEUljE_EEESV_SW_SX_S14_S18_S1A_T6_T7_T9_mT8_S1C_bDpT10_ENKUlT_T0_E_clISt17integral_constantIbLb1EES1O_IbLb0EEEEDaS1K_S1L_EUlS1K_E_NS1_11comp_targetILNS1_3genE10ELNS1_11target_archE1200ELNS1_3gpuE4ELNS1_3repE0EEENS1_30default_config_static_selectorELNS0_4arch9wavefront6targetE1EEEvSY_,comdat
	.globl	_ZN7rocprim17ROCPRIM_400000_NS6detail17trampoline_kernelINS0_13select_configILj256ELj13ELNS0_17block_load_methodE3ELS4_3ELS4_3ELNS0_20block_scan_algorithmE0ELj4294967295EEENS1_25partition_config_selectorILNS1_17partition_subalgoE3EjNS0_10empty_typeEbEEZZNS1_14partition_implILS8_3ELb0ES6_jNS0_17counting_iteratorIjlEEPS9_SE_NS0_5tupleIJPjSE_EEENSF_IJSE_SE_EEES9_SG_JZNS1_25segmented_radix_sort_implINS0_14default_configELb0EPKfPfPKlPlN2at6native12_GLOBAL__N_18offset_tEEE10hipError_tPvRmT1_PNSt15iterator_traitsISY_E10value_typeET2_T3_PNSZ_IS14_E10value_typeET4_jRbjT5_S1A_jjP12ihipStream_tbEUljE_EEESV_SW_SX_S14_S18_S1A_T6_T7_T9_mT8_S1C_bDpT10_ENKUlT_T0_E_clISt17integral_constantIbLb1EES1O_IbLb0EEEEDaS1K_S1L_EUlS1K_E_NS1_11comp_targetILNS1_3genE10ELNS1_11target_archE1200ELNS1_3gpuE4ELNS1_3repE0EEENS1_30default_config_static_selectorELNS0_4arch9wavefront6targetE1EEEvSY_ ; -- Begin function _ZN7rocprim17ROCPRIM_400000_NS6detail17trampoline_kernelINS0_13select_configILj256ELj13ELNS0_17block_load_methodE3ELS4_3ELS4_3ELNS0_20block_scan_algorithmE0ELj4294967295EEENS1_25partition_config_selectorILNS1_17partition_subalgoE3EjNS0_10empty_typeEbEEZZNS1_14partition_implILS8_3ELb0ES6_jNS0_17counting_iteratorIjlEEPS9_SE_NS0_5tupleIJPjSE_EEENSF_IJSE_SE_EEES9_SG_JZNS1_25segmented_radix_sort_implINS0_14default_configELb0EPKfPfPKlPlN2at6native12_GLOBAL__N_18offset_tEEE10hipError_tPvRmT1_PNSt15iterator_traitsISY_E10value_typeET2_T3_PNSZ_IS14_E10value_typeET4_jRbjT5_S1A_jjP12ihipStream_tbEUljE_EEESV_SW_SX_S14_S18_S1A_T6_T7_T9_mT8_S1C_bDpT10_ENKUlT_T0_E_clISt17integral_constantIbLb1EES1O_IbLb0EEEEDaS1K_S1L_EUlS1K_E_NS1_11comp_targetILNS1_3genE10ELNS1_11target_archE1200ELNS1_3gpuE4ELNS1_3repE0EEENS1_30default_config_static_selectorELNS0_4arch9wavefront6targetE1EEEvSY_
	.p2align	8
	.type	_ZN7rocprim17ROCPRIM_400000_NS6detail17trampoline_kernelINS0_13select_configILj256ELj13ELNS0_17block_load_methodE3ELS4_3ELS4_3ELNS0_20block_scan_algorithmE0ELj4294967295EEENS1_25partition_config_selectorILNS1_17partition_subalgoE3EjNS0_10empty_typeEbEEZZNS1_14partition_implILS8_3ELb0ES6_jNS0_17counting_iteratorIjlEEPS9_SE_NS0_5tupleIJPjSE_EEENSF_IJSE_SE_EEES9_SG_JZNS1_25segmented_radix_sort_implINS0_14default_configELb0EPKfPfPKlPlN2at6native12_GLOBAL__N_18offset_tEEE10hipError_tPvRmT1_PNSt15iterator_traitsISY_E10value_typeET2_T3_PNSZ_IS14_E10value_typeET4_jRbjT5_S1A_jjP12ihipStream_tbEUljE_EEESV_SW_SX_S14_S18_S1A_T6_T7_T9_mT8_S1C_bDpT10_ENKUlT_T0_E_clISt17integral_constantIbLb1EES1O_IbLb0EEEEDaS1K_S1L_EUlS1K_E_NS1_11comp_targetILNS1_3genE10ELNS1_11target_archE1200ELNS1_3gpuE4ELNS1_3repE0EEENS1_30default_config_static_selectorELNS0_4arch9wavefront6targetE1EEEvSY_,@function
_ZN7rocprim17ROCPRIM_400000_NS6detail17trampoline_kernelINS0_13select_configILj256ELj13ELNS0_17block_load_methodE3ELS4_3ELS4_3ELNS0_20block_scan_algorithmE0ELj4294967295EEENS1_25partition_config_selectorILNS1_17partition_subalgoE3EjNS0_10empty_typeEbEEZZNS1_14partition_implILS8_3ELb0ES6_jNS0_17counting_iteratorIjlEEPS9_SE_NS0_5tupleIJPjSE_EEENSF_IJSE_SE_EEES9_SG_JZNS1_25segmented_radix_sort_implINS0_14default_configELb0EPKfPfPKlPlN2at6native12_GLOBAL__N_18offset_tEEE10hipError_tPvRmT1_PNSt15iterator_traitsISY_E10value_typeET2_T3_PNSZ_IS14_E10value_typeET4_jRbjT5_S1A_jjP12ihipStream_tbEUljE_EEESV_SW_SX_S14_S18_S1A_T6_T7_T9_mT8_S1C_bDpT10_ENKUlT_T0_E_clISt17integral_constantIbLb1EES1O_IbLb0EEEEDaS1K_S1L_EUlS1K_E_NS1_11comp_targetILNS1_3genE10ELNS1_11target_archE1200ELNS1_3gpuE4ELNS1_3repE0EEENS1_30default_config_static_selectorELNS0_4arch9wavefront6targetE1EEEvSY_: ; @_ZN7rocprim17ROCPRIM_400000_NS6detail17trampoline_kernelINS0_13select_configILj256ELj13ELNS0_17block_load_methodE3ELS4_3ELS4_3ELNS0_20block_scan_algorithmE0ELj4294967295EEENS1_25partition_config_selectorILNS1_17partition_subalgoE3EjNS0_10empty_typeEbEEZZNS1_14partition_implILS8_3ELb0ES6_jNS0_17counting_iteratorIjlEEPS9_SE_NS0_5tupleIJPjSE_EEENSF_IJSE_SE_EEES9_SG_JZNS1_25segmented_radix_sort_implINS0_14default_configELb0EPKfPfPKlPlN2at6native12_GLOBAL__N_18offset_tEEE10hipError_tPvRmT1_PNSt15iterator_traitsISY_E10value_typeET2_T3_PNSZ_IS14_E10value_typeET4_jRbjT5_S1A_jjP12ihipStream_tbEUljE_EEESV_SW_SX_S14_S18_S1A_T6_T7_T9_mT8_S1C_bDpT10_ENKUlT_T0_E_clISt17integral_constantIbLb1EES1O_IbLb0EEEEDaS1K_S1L_EUlS1K_E_NS1_11comp_targetILNS1_3genE10ELNS1_11target_archE1200ELNS1_3gpuE4ELNS1_3repE0EEENS1_30default_config_static_selectorELNS0_4arch9wavefront6targetE1EEEvSY_
; %bb.0:
	.section	.rodata,"a",@progbits
	.p2align	6, 0x0
	.amdhsa_kernel _ZN7rocprim17ROCPRIM_400000_NS6detail17trampoline_kernelINS0_13select_configILj256ELj13ELNS0_17block_load_methodE3ELS4_3ELS4_3ELNS0_20block_scan_algorithmE0ELj4294967295EEENS1_25partition_config_selectorILNS1_17partition_subalgoE3EjNS0_10empty_typeEbEEZZNS1_14partition_implILS8_3ELb0ES6_jNS0_17counting_iteratorIjlEEPS9_SE_NS0_5tupleIJPjSE_EEENSF_IJSE_SE_EEES9_SG_JZNS1_25segmented_radix_sort_implINS0_14default_configELb0EPKfPfPKlPlN2at6native12_GLOBAL__N_18offset_tEEE10hipError_tPvRmT1_PNSt15iterator_traitsISY_E10value_typeET2_T3_PNSZ_IS14_E10value_typeET4_jRbjT5_S1A_jjP12ihipStream_tbEUljE_EEESV_SW_SX_S14_S18_S1A_T6_T7_T9_mT8_S1C_bDpT10_ENKUlT_T0_E_clISt17integral_constantIbLb1EES1O_IbLb0EEEEDaS1K_S1L_EUlS1K_E_NS1_11comp_targetILNS1_3genE10ELNS1_11target_archE1200ELNS1_3gpuE4ELNS1_3repE0EEENS1_30default_config_static_selectorELNS0_4arch9wavefront6targetE1EEEvSY_
		.amdhsa_group_segment_fixed_size 0
		.amdhsa_private_segment_fixed_size 0
		.amdhsa_kernarg_size 144
		.amdhsa_user_sgpr_count 6
		.amdhsa_user_sgpr_private_segment_buffer 1
		.amdhsa_user_sgpr_dispatch_ptr 0
		.amdhsa_user_sgpr_queue_ptr 0
		.amdhsa_user_sgpr_kernarg_segment_ptr 1
		.amdhsa_user_sgpr_dispatch_id 0
		.amdhsa_user_sgpr_flat_scratch_init 0
		.amdhsa_user_sgpr_private_segment_size 0
		.amdhsa_uses_dynamic_stack 0
		.amdhsa_system_sgpr_private_segment_wavefront_offset 0
		.amdhsa_system_sgpr_workgroup_id_x 1
		.amdhsa_system_sgpr_workgroup_id_y 0
		.amdhsa_system_sgpr_workgroup_id_z 0
		.amdhsa_system_sgpr_workgroup_info 0
		.amdhsa_system_vgpr_workitem_id 0
		.amdhsa_next_free_vgpr 1
		.amdhsa_next_free_sgpr 0
		.amdhsa_reserve_vcc 0
		.amdhsa_reserve_flat_scratch 0
		.amdhsa_float_round_mode_32 0
		.amdhsa_float_round_mode_16_64 0
		.amdhsa_float_denorm_mode_32 3
		.amdhsa_float_denorm_mode_16_64 3
		.amdhsa_dx10_clamp 1
		.amdhsa_ieee_mode 1
		.amdhsa_fp16_overflow 0
		.amdhsa_exception_fp_ieee_invalid_op 0
		.amdhsa_exception_fp_denorm_src 0
		.amdhsa_exception_fp_ieee_div_zero 0
		.amdhsa_exception_fp_ieee_overflow 0
		.amdhsa_exception_fp_ieee_underflow 0
		.amdhsa_exception_fp_ieee_inexact 0
		.amdhsa_exception_int_div_zero 0
	.end_amdhsa_kernel
	.section	.text._ZN7rocprim17ROCPRIM_400000_NS6detail17trampoline_kernelINS0_13select_configILj256ELj13ELNS0_17block_load_methodE3ELS4_3ELS4_3ELNS0_20block_scan_algorithmE0ELj4294967295EEENS1_25partition_config_selectorILNS1_17partition_subalgoE3EjNS0_10empty_typeEbEEZZNS1_14partition_implILS8_3ELb0ES6_jNS0_17counting_iteratorIjlEEPS9_SE_NS0_5tupleIJPjSE_EEENSF_IJSE_SE_EEES9_SG_JZNS1_25segmented_radix_sort_implINS0_14default_configELb0EPKfPfPKlPlN2at6native12_GLOBAL__N_18offset_tEEE10hipError_tPvRmT1_PNSt15iterator_traitsISY_E10value_typeET2_T3_PNSZ_IS14_E10value_typeET4_jRbjT5_S1A_jjP12ihipStream_tbEUljE_EEESV_SW_SX_S14_S18_S1A_T6_T7_T9_mT8_S1C_bDpT10_ENKUlT_T0_E_clISt17integral_constantIbLb1EES1O_IbLb0EEEEDaS1K_S1L_EUlS1K_E_NS1_11comp_targetILNS1_3genE10ELNS1_11target_archE1200ELNS1_3gpuE4ELNS1_3repE0EEENS1_30default_config_static_selectorELNS0_4arch9wavefront6targetE1EEEvSY_,"axG",@progbits,_ZN7rocprim17ROCPRIM_400000_NS6detail17trampoline_kernelINS0_13select_configILj256ELj13ELNS0_17block_load_methodE3ELS4_3ELS4_3ELNS0_20block_scan_algorithmE0ELj4294967295EEENS1_25partition_config_selectorILNS1_17partition_subalgoE3EjNS0_10empty_typeEbEEZZNS1_14partition_implILS8_3ELb0ES6_jNS0_17counting_iteratorIjlEEPS9_SE_NS0_5tupleIJPjSE_EEENSF_IJSE_SE_EEES9_SG_JZNS1_25segmented_radix_sort_implINS0_14default_configELb0EPKfPfPKlPlN2at6native12_GLOBAL__N_18offset_tEEE10hipError_tPvRmT1_PNSt15iterator_traitsISY_E10value_typeET2_T3_PNSZ_IS14_E10value_typeET4_jRbjT5_S1A_jjP12ihipStream_tbEUljE_EEESV_SW_SX_S14_S18_S1A_T6_T7_T9_mT8_S1C_bDpT10_ENKUlT_T0_E_clISt17integral_constantIbLb1EES1O_IbLb0EEEEDaS1K_S1L_EUlS1K_E_NS1_11comp_targetILNS1_3genE10ELNS1_11target_archE1200ELNS1_3gpuE4ELNS1_3repE0EEENS1_30default_config_static_selectorELNS0_4arch9wavefront6targetE1EEEvSY_,comdat
.Lfunc_end1417:
	.size	_ZN7rocprim17ROCPRIM_400000_NS6detail17trampoline_kernelINS0_13select_configILj256ELj13ELNS0_17block_load_methodE3ELS4_3ELS4_3ELNS0_20block_scan_algorithmE0ELj4294967295EEENS1_25partition_config_selectorILNS1_17partition_subalgoE3EjNS0_10empty_typeEbEEZZNS1_14partition_implILS8_3ELb0ES6_jNS0_17counting_iteratorIjlEEPS9_SE_NS0_5tupleIJPjSE_EEENSF_IJSE_SE_EEES9_SG_JZNS1_25segmented_radix_sort_implINS0_14default_configELb0EPKfPfPKlPlN2at6native12_GLOBAL__N_18offset_tEEE10hipError_tPvRmT1_PNSt15iterator_traitsISY_E10value_typeET2_T3_PNSZ_IS14_E10value_typeET4_jRbjT5_S1A_jjP12ihipStream_tbEUljE_EEESV_SW_SX_S14_S18_S1A_T6_T7_T9_mT8_S1C_bDpT10_ENKUlT_T0_E_clISt17integral_constantIbLb1EES1O_IbLb0EEEEDaS1K_S1L_EUlS1K_E_NS1_11comp_targetILNS1_3genE10ELNS1_11target_archE1200ELNS1_3gpuE4ELNS1_3repE0EEENS1_30default_config_static_selectorELNS0_4arch9wavefront6targetE1EEEvSY_, .Lfunc_end1417-_ZN7rocprim17ROCPRIM_400000_NS6detail17trampoline_kernelINS0_13select_configILj256ELj13ELNS0_17block_load_methodE3ELS4_3ELS4_3ELNS0_20block_scan_algorithmE0ELj4294967295EEENS1_25partition_config_selectorILNS1_17partition_subalgoE3EjNS0_10empty_typeEbEEZZNS1_14partition_implILS8_3ELb0ES6_jNS0_17counting_iteratorIjlEEPS9_SE_NS0_5tupleIJPjSE_EEENSF_IJSE_SE_EEES9_SG_JZNS1_25segmented_radix_sort_implINS0_14default_configELb0EPKfPfPKlPlN2at6native12_GLOBAL__N_18offset_tEEE10hipError_tPvRmT1_PNSt15iterator_traitsISY_E10value_typeET2_T3_PNSZ_IS14_E10value_typeET4_jRbjT5_S1A_jjP12ihipStream_tbEUljE_EEESV_SW_SX_S14_S18_S1A_T6_T7_T9_mT8_S1C_bDpT10_ENKUlT_T0_E_clISt17integral_constantIbLb1EES1O_IbLb0EEEEDaS1K_S1L_EUlS1K_E_NS1_11comp_targetILNS1_3genE10ELNS1_11target_archE1200ELNS1_3gpuE4ELNS1_3repE0EEENS1_30default_config_static_selectorELNS0_4arch9wavefront6targetE1EEEvSY_
                                        ; -- End function
	.set _ZN7rocprim17ROCPRIM_400000_NS6detail17trampoline_kernelINS0_13select_configILj256ELj13ELNS0_17block_load_methodE3ELS4_3ELS4_3ELNS0_20block_scan_algorithmE0ELj4294967295EEENS1_25partition_config_selectorILNS1_17partition_subalgoE3EjNS0_10empty_typeEbEEZZNS1_14partition_implILS8_3ELb0ES6_jNS0_17counting_iteratorIjlEEPS9_SE_NS0_5tupleIJPjSE_EEENSF_IJSE_SE_EEES9_SG_JZNS1_25segmented_radix_sort_implINS0_14default_configELb0EPKfPfPKlPlN2at6native12_GLOBAL__N_18offset_tEEE10hipError_tPvRmT1_PNSt15iterator_traitsISY_E10value_typeET2_T3_PNSZ_IS14_E10value_typeET4_jRbjT5_S1A_jjP12ihipStream_tbEUljE_EEESV_SW_SX_S14_S18_S1A_T6_T7_T9_mT8_S1C_bDpT10_ENKUlT_T0_E_clISt17integral_constantIbLb1EES1O_IbLb0EEEEDaS1K_S1L_EUlS1K_E_NS1_11comp_targetILNS1_3genE10ELNS1_11target_archE1200ELNS1_3gpuE4ELNS1_3repE0EEENS1_30default_config_static_selectorELNS0_4arch9wavefront6targetE1EEEvSY_.num_vgpr, 0
	.set _ZN7rocprim17ROCPRIM_400000_NS6detail17trampoline_kernelINS0_13select_configILj256ELj13ELNS0_17block_load_methodE3ELS4_3ELS4_3ELNS0_20block_scan_algorithmE0ELj4294967295EEENS1_25partition_config_selectorILNS1_17partition_subalgoE3EjNS0_10empty_typeEbEEZZNS1_14partition_implILS8_3ELb0ES6_jNS0_17counting_iteratorIjlEEPS9_SE_NS0_5tupleIJPjSE_EEENSF_IJSE_SE_EEES9_SG_JZNS1_25segmented_radix_sort_implINS0_14default_configELb0EPKfPfPKlPlN2at6native12_GLOBAL__N_18offset_tEEE10hipError_tPvRmT1_PNSt15iterator_traitsISY_E10value_typeET2_T3_PNSZ_IS14_E10value_typeET4_jRbjT5_S1A_jjP12ihipStream_tbEUljE_EEESV_SW_SX_S14_S18_S1A_T6_T7_T9_mT8_S1C_bDpT10_ENKUlT_T0_E_clISt17integral_constantIbLb1EES1O_IbLb0EEEEDaS1K_S1L_EUlS1K_E_NS1_11comp_targetILNS1_3genE10ELNS1_11target_archE1200ELNS1_3gpuE4ELNS1_3repE0EEENS1_30default_config_static_selectorELNS0_4arch9wavefront6targetE1EEEvSY_.num_agpr, 0
	.set _ZN7rocprim17ROCPRIM_400000_NS6detail17trampoline_kernelINS0_13select_configILj256ELj13ELNS0_17block_load_methodE3ELS4_3ELS4_3ELNS0_20block_scan_algorithmE0ELj4294967295EEENS1_25partition_config_selectorILNS1_17partition_subalgoE3EjNS0_10empty_typeEbEEZZNS1_14partition_implILS8_3ELb0ES6_jNS0_17counting_iteratorIjlEEPS9_SE_NS0_5tupleIJPjSE_EEENSF_IJSE_SE_EEES9_SG_JZNS1_25segmented_radix_sort_implINS0_14default_configELb0EPKfPfPKlPlN2at6native12_GLOBAL__N_18offset_tEEE10hipError_tPvRmT1_PNSt15iterator_traitsISY_E10value_typeET2_T3_PNSZ_IS14_E10value_typeET4_jRbjT5_S1A_jjP12ihipStream_tbEUljE_EEESV_SW_SX_S14_S18_S1A_T6_T7_T9_mT8_S1C_bDpT10_ENKUlT_T0_E_clISt17integral_constantIbLb1EES1O_IbLb0EEEEDaS1K_S1L_EUlS1K_E_NS1_11comp_targetILNS1_3genE10ELNS1_11target_archE1200ELNS1_3gpuE4ELNS1_3repE0EEENS1_30default_config_static_selectorELNS0_4arch9wavefront6targetE1EEEvSY_.numbered_sgpr, 0
	.set _ZN7rocprim17ROCPRIM_400000_NS6detail17trampoline_kernelINS0_13select_configILj256ELj13ELNS0_17block_load_methodE3ELS4_3ELS4_3ELNS0_20block_scan_algorithmE0ELj4294967295EEENS1_25partition_config_selectorILNS1_17partition_subalgoE3EjNS0_10empty_typeEbEEZZNS1_14partition_implILS8_3ELb0ES6_jNS0_17counting_iteratorIjlEEPS9_SE_NS0_5tupleIJPjSE_EEENSF_IJSE_SE_EEES9_SG_JZNS1_25segmented_radix_sort_implINS0_14default_configELb0EPKfPfPKlPlN2at6native12_GLOBAL__N_18offset_tEEE10hipError_tPvRmT1_PNSt15iterator_traitsISY_E10value_typeET2_T3_PNSZ_IS14_E10value_typeET4_jRbjT5_S1A_jjP12ihipStream_tbEUljE_EEESV_SW_SX_S14_S18_S1A_T6_T7_T9_mT8_S1C_bDpT10_ENKUlT_T0_E_clISt17integral_constantIbLb1EES1O_IbLb0EEEEDaS1K_S1L_EUlS1K_E_NS1_11comp_targetILNS1_3genE10ELNS1_11target_archE1200ELNS1_3gpuE4ELNS1_3repE0EEENS1_30default_config_static_selectorELNS0_4arch9wavefront6targetE1EEEvSY_.num_named_barrier, 0
	.set _ZN7rocprim17ROCPRIM_400000_NS6detail17trampoline_kernelINS0_13select_configILj256ELj13ELNS0_17block_load_methodE3ELS4_3ELS4_3ELNS0_20block_scan_algorithmE0ELj4294967295EEENS1_25partition_config_selectorILNS1_17partition_subalgoE3EjNS0_10empty_typeEbEEZZNS1_14partition_implILS8_3ELb0ES6_jNS0_17counting_iteratorIjlEEPS9_SE_NS0_5tupleIJPjSE_EEENSF_IJSE_SE_EEES9_SG_JZNS1_25segmented_radix_sort_implINS0_14default_configELb0EPKfPfPKlPlN2at6native12_GLOBAL__N_18offset_tEEE10hipError_tPvRmT1_PNSt15iterator_traitsISY_E10value_typeET2_T3_PNSZ_IS14_E10value_typeET4_jRbjT5_S1A_jjP12ihipStream_tbEUljE_EEESV_SW_SX_S14_S18_S1A_T6_T7_T9_mT8_S1C_bDpT10_ENKUlT_T0_E_clISt17integral_constantIbLb1EES1O_IbLb0EEEEDaS1K_S1L_EUlS1K_E_NS1_11comp_targetILNS1_3genE10ELNS1_11target_archE1200ELNS1_3gpuE4ELNS1_3repE0EEENS1_30default_config_static_selectorELNS0_4arch9wavefront6targetE1EEEvSY_.private_seg_size, 0
	.set _ZN7rocprim17ROCPRIM_400000_NS6detail17trampoline_kernelINS0_13select_configILj256ELj13ELNS0_17block_load_methodE3ELS4_3ELS4_3ELNS0_20block_scan_algorithmE0ELj4294967295EEENS1_25partition_config_selectorILNS1_17partition_subalgoE3EjNS0_10empty_typeEbEEZZNS1_14partition_implILS8_3ELb0ES6_jNS0_17counting_iteratorIjlEEPS9_SE_NS0_5tupleIJPjSE_EEENSF_IJSE_SE_EEES9_SG_JZNS1_25segmented_radix_sort_implINS0_14default_configELb0EPKfPfPKlPlN2at6native12_GLOBAL__N_18offset_tEEE10hipError_tPvRmT1_PNSt15iterator_traitsISY_E10value_typeET2_T3_PNSZ_IS14_E10value_typeET4_jRbjT5_S1A_jjP12ihipStream_tbEUljE_EEESV_SW_SX_S14_S18_S1A_T6_T7_T9_mT8_S1C_bDpT10_ENKUlT_T0_E_clISt17integral_constantIbLb1EES1O_IbLb0EEEEDaS1K_S1L_EUlS1K_E_NS1_11comp_targetILNS1_3genE10ELNS1_11target_archE1200ELNS1_3gpuE4ELNS1_3repE0EEENS1_30default_config_static_selectorELNS0_4arch9wavefront6targetE1EEEvSY_.uses_vcc, 0
	.set _ZN7rocprim17ROCPRIM_400000_NS6detail17trampoline_kernelINS0_13select_configILj256ELj13ELNS0_17block_load_methodE3ELS4_3ELS4_3ELNS0_20block_scan_algorithmE0ELj4294967295EEENS1_25partition_config_selectorILNS1_17partition_subalgoE3EjNS0_10empty_typeEbEEZZNS1_14partition_implILS8_3ELb0ES6_jNS0_17counting_iteratorIjlEEPS9_SE_NS0_5tupleIJPjSE_EEENSF_IJSE_SE_EEES9_SG_JZNS1_25segmented_radix_sort_implINS0_14default_configELb0EPKfPfPKlPlN2at6native12_GLOBAL__N_18offset_tEEE10hipError_tPvRmT1_PNSt15iterator_traitsISY_E10value_typeET2_T3_PNSZ_IS14_E10value_typeET4_jRbjT5_S1A_jjP12ihipStream_tbEUljE_EEESV_SW_SX_S14_S18_S1A_T6_T7_T9_mT8_S1C_bDpT10_ENKUlT_T0_E_clISt17integral_constantIbLb1EES1O_IbLb0EEEEDaS1K_S1L_EUlS1K_E_NS1_11comp_targetILNS1_3genE10ELNS1_11target_archE1200ELNS1_3gpuE4ELNS1_3repE0EEENS1_30default_config_static_selectorELNS0_4arch9wavefront6targetE1EEEvSY_.uses_flat_scratch, 0
	.set _ZN7rocprim17ROCPRIM_400000_NS6detail17trampoline_kernelINS0_13select_configILj256ELj13ELNS0_17block_load_methodE3ELS4_3ELS4_3ELNS0_20block_scan_algorithmE0ELj4294967295EEENS1_25partition_config_selectorILNS1_17partition_subalgoE3EjNS0_10empty_typeEbEEZZNS1_14partition_implILS8_3ELb0ES6_jNS0_17counting_iteratorIjlEEPS9_SE_NS0_5tupleIJPjSE_EEENSF_IJSE_SE_EEES9_SG_JZNS1_25segmented_radix_sort_implINS0_14default_configELb0EPKfPfPKlPlN2at6native12_GLOBAL__N_18offset_tEEE10hipError_tPvRmT1_PNSt15iterator_traitsISY_E10value_typeET2_T3_PNSZ_IS14_E10value_typeET4_jRbjT5_S1A_jjP12ihipStream_tbEUljE_EEESV_SW_SX_S14_S18_S1A_T6_T7_T9_mT8_S1C_bDpT10_ENKUlT_T0_E_clISt17integral_constantIbLb1EES1O_IbLb0EEEEDaS1K_S1L_EUlS1K_E_NS1_11comp_targetILNS1_3genE10ELNS1_11target_archE1200ELNS1_3gpuE4ELNS1_3repE0EEENS1_30default_config_static_selectorELNS0_4arch9wavefront6targetE1EEEvSY_.has_dyn_sized_stack, 0
	.set _ZN7rocprim17ROCPRIM_400000_NS6detail17trampoline_kernelINS0_13select_configILj256ELj13ELNS0_17block_load_methodE3ELS4_3ELS4_3ELNS0_20block_scan_algorithmE0ELj4294967295EEENS1_25partition_config_selectorILNS1_17partition_subalgoE3EjNS0_10empty_typeEbEEZZNS1_14partition_implILS8_3ELb0ES6_jNS0_17counting_iteratorIjlEEPS9_SE_NS0_5tupleIJPjSE_EEENSF_IJSE_SE_EEES9_SG_JZNS1_25segmented_radix_sort_implINS0_14default_configELb0EPKfPfPKlPlN2at6native12_GLOBAL__N_18offset_tEEE10hipError_tPvRmT1_PNSt15iterator_traitsISY_E10value_typeET2_T3_PNSZ_IS14_E10value_typeET4_jRbjT5_S1A_jjP12ihipStream_tbEUljE_EEESV_SW_SX_S14_S18_S1A_T6_T7_T9_mT8_S1C_bDpT10_ENKUlT_T0_E_clISt17integral_constantIbLb1EES1O_IbLb0EEEEDaS1K_S1L_EUlS1K_E_NS1_11comp_targetILNS1_3genE10ELNS1_11target_archE1200ELNS1_3gpuE4ELNS1_3repE0EEENS1_30default_config_static_selectorELNS0_4arch9wavefront6targetE1EEEvSY_.has_recursion, 0
	.set _ZN7rocprim17ROCPRIM_400000_NS6detail17trampoline_kernelINS0_13select_configILj256ELj13ELNS0_17block_load_methodE3ELS4_3ELS4_3ELNS0_20block_scan_algorithmE0ELj4294967295EEENS1_25partition_config_selectorILNS1_17partition_subalgoE3EjNS0_10empty_typeEbEEZZNS1_14partition_implILS8_3ELb0ES6_jNS0_17counting_iteratorIjlEEPS9_SE_NS0_5tupleIJPjSE_EEENSF_IJSE_SE_EEES9_SG_JZNS1_25segmented_radix_sort_implINS0_14default_configELb0EPKfPfPKlPlN2at6native12_GLOBAL__N_18offset_tEEE10hipError_tPvRmT1_PNSt15iterator_traitsISY_E10value_typeET2_T3_PNSZ_IS14_E10value_typeET4_jRbjT5_S1A_jjP12ihipStream_tbEUljE_EEESV_SW_SX_S14_S18_S1A_T6_T7_T9_mT8_S1C_bDpT10_ENKUlT_T0_E_clISt17integral_constantIbLb1EES1O_IbLb0EEEEDaS1K_S1L_EUlS1K_E_NS1_11comp_targetILNS1_3genE10ELNS1_11target_archE1200ELNS1_3gpuE4ELNS1_3repE0EEENS1_30default_config_static_selectorELNS0_4arch9wavefront6targetE1EEEvSY_.has_indirect_call, 0
	.section	.AMDGPU.csdata,"",@progbits
; Kernel info:
; codeLenInByte = 0
; TotalNumSgprs: 4
; NumVgprs: 0
; ScratchSize: 0
; MemoryBound: 0
; FloatMode: 240
; IeeeMode: 1
; LDSByteSize: 0 bytes/workgroup (compile time only)
; SGPRBlocks: 0
; VGPRBlocks: 0
; NumSGPRsForWavesPerEU: 4
; NumVGPRsForWavesPerEU: 1
; Occupancy: 10
; WaveLimiterHint : 0
; COMPUTE_PGM_RSRC2:SCRATCH_EN: 0
; COMPUTE_PGM_RSRC2:USER_SGPR: 6
; COMPUTE_PGM_RSRC2:TRAP_HANDLER: 0
; COMPUTE_PGM_RSRC2:TGID_X_EN: 1
; COMPUTE_PGM_RSRC2:TGID_Y_EN: 0
; COMPUTE_PGM_RSRC2:TGID_Z_EN: 0
; COMPUTE_PGM_RSRC2:TIDIG_COMP_CNT: 0
	.section	.text._ZN7rocprim17ROCPRIM_400000_NS6detail17trampoline_kernelINS0_13select_configILj256ELj13ELNS0_17block_load_methodE3ELS4_3ELS4_3ELNS0_20block_scan_algorithmE0ELj4294967295EEENS1_25partition_config_selectorILNS1_17partition_subalgoE3EjNS0_10empty_typeEbEEZZNS1_14partition_implILS8_3ELb0ES6_jNS0_17counting_iteratorIjlEEPS9_SE_NS0_5tupleIJPjSE_EEENSF_IJSE_SE_EEES9_SG_JZNS1_25segmented_radix_sort_implINS0_14default_configELb0EPKfPfPKlPlN2at6native12_GLOBAL__N_18offset_tEEE10hipError_tPvRmT1_PNSt15iterator_traitsISY_E10value_typeET2_T3_PNSZ_IS14_E10value_typeET4_jRbjT5_S1A_jjP12ihipStream_tbEUljE_EEESV_SW_SX_S14_S18_S1A_T6_T7_T9_mT8_S1C_bDpT10_ENKUlT_T0_E_clISt17integral_constantIbLb1EES1O_IbLb0EEEEDaS1K_S1L_EUlS1K_E_NS1_11comp_targetILNS1_3genE9ELNS1_11target_archE1100ELNS1_3gpuE3ELNS1_3repE0EEENS1_30default_config_static_selectorELNS0_4arch9wavefront6targetE1EEEvSY_,"axG",@progbits,_ZN7rocprim17ROCPRIM_400000_NS6detail17trampoline_kernelINS0_13select_configILj256ELj13ELNS0_17block_load_methodE3ELS4_3ELS4_3ELNS0_20block_scan_algorithmE0ELj4294967295EEENS1_25partition_config_selectorILNS1_17partition_subalgoE3EjNS0_10empty_typeEbEEZZNS1_14partition_implILS8_3ELb0ES6_jNS0_17counting_iteratorIjlEEPS9_SE_NS0_5tupleIJPjSE_EEENSF_IJSE_SE_EEES9_SG_JZNS1_25segmented_radix_sort_implINS0_14default_configELb0EPKfPfPKlPlN2at6native12_GLOBAL__N_18offset_tEEE10hipError_tPvRmT1_PNSt15iterator_traitsISY_E10value_typeET2_T3_PNSZ_IS14_E10value_typeET4_jRbjT5_S1A_jjP12ihipStream_tbEUljE_EEESV_SW_SX_S14_S18_S1A_T6_T7_T9_mT8_S1C_bDpT10_ENKUlT_T0_E_clISt17integral_constantIbLb1EES1O_IbLb0EEEEDaS1K_S1L_EUlS1K_E_NS1_11comp_targetILNS1_3genE9ELNS1_11target_archE1100ELNS1_3gpuE3ELNS1_3repE0EEENS1_30default_config_static_selectorELNS0_4arch9wavefront6targetE1EEEvSY_,comdat
	.globl	_ZN7rocprim17ROCPRIM_400000_NS6detail17trampoline_kernelINS0_13select_configILj256ELj13ELNS0_17block_load_methodE3ELS4_3ELS4_3ELNS0_20block_scan_algorithmE0ELj4294967295EEENS1_25partition_config_selectorILNS1_17partition_subalgoE3EjNS0_10empty_typeEbEEZZNS1_14partition_implILS8_3ELb0ES6_jNS0_17counting_iteratorIjlEEPS9_SE_NS0_5tupleIJPjSE_EEENSF_IJSE_SE_EEES9_SG_JZNS1_25segmented_radix_sort_implINS0_14default_configELb0EPKfPfPKlPlN2at6native12_GLOBAL__N_18offset_tEEE10hipError_tPvRmT1_PNSt15iterator_traitsISY_E10value_typeET2_T3_PNSZ_IS14_E10value_typeET4_jRbjT5_S1A_jjP12ihipStream_tbEUljE_EEESV_SW_SX_S14_S18_S1A_T6_T7_T9_mT8_S1C_bDpT10_ENKUlT_T0_E_clISt17integral_constantIbLb1EES1O_IbLb0EEEEDaS1K_S1L_EUlS1K_E_NS1_11comp_targetILNS1_3genE9ELNS1_11target_archE1100ELNS1_3gpuE3ELNS1_3repE0EEENS1_30default_config_static_selectorELNS0_4arch9wavefront6targetE1EEEvSY_ ; -- Begin function _ZN7rocprim17ROCPRIM_400000_NS6detail17trampoline_kernelINS0_13select_configILj256ELj13ELNS0_17block_load_methodE3ELS4_3ELS4_3ELNS0_20block_scan_algorithmE0ELj4294967295EEENS1_25partition_config_selectorILNS1_17partition_subalgoE3EjNS0_10empty_typeEbEEZZNS1_14partition_implILS8_3ELb0ES6_jNS0_17counting_iteratorIjlEEPS9_SE_NS0_5tupleIJPjSE_EEENSF_IJSE_SE_EEES9_SG_JZNS1_25segmented_radix_sort_implINS0_14default_configELb0EPKfPfPKlPlN2at6native12_GLOBAL__N_18offset_tEEE10hipError_tPvRmT1_PNSt15iterator_traitsISY_E10value_typeET2_T3_PNSZ_IS14_E10value_typeET4_jRbjT5_S1A_jjP12ihipStream_tbEUljE_EEESV_SW_SX_S14_S18_S1A_T6_T7_T9_mT8_S1C_bDpT10_ENKUlT_T0_E_clISt17integral_constantIbLb1EES1O_IbLb0EEEEDaS1K_S1L_EUlS1K_E_NS1_11comp_targetILNS1_3genE9ELNS1_11target_archE1100ELNS1_3gpuE3ELNS1_3repE0EEENS1_30default_config_static_selectorELNS0_4arch9wavefront6targetE1EEEvSY_
	.p2align	8
	.type	_ZN7rocprim17ROCPRIM_400000_NS6detail17trampoline_kernelINS0_13select_configILj256ELj13ELNS0_17block_load_methodE3ELS4_3ELS4_3ELNS0_20block_scan_algorithmE0ELj4294967295EEENS1_25partition_config_selectorILNS1_17partition_subalgoE3EjNS0_10empty_typeEbEEZZNS1_14partition_implILS8_3ELb0ES6_jNS0_17counting_iteratorIjlEEPS9_SE_NS0_5tupleIJPjSE_EEENSF_IJSE_SE_EEES9_SG_JZNS1_25segmented_radix_sort_implINS0_14default_configELb0EPKfPfPKlPlN2at6native12_GLOBAL__N_18offset_tEEE10hipError_tPvRmT1_PNSt15iterator_traitsISY_E10value_typeET2_T3_PNSZ_IS14_E10value_typeET4_jRbjT5_S1A_jjP12ihipStream_tbEUljE_EEESV_SW_SX_S14_S18_S1A_T6_T7_T9_mT8_S1C_bDpT10_ENKUlT_T0_E_clISt17integral_constantIbLb1EES1O_IbLb0EEEEDaS1K_S1L_EUlS1K_E_NS1_11comp_targetILNS1_3genE9ELNS1_11target_archE1100ELNS1_3gpuE3ELNS1_3repE0EEENS1_30default_config_static_selectorELNS0_4arch9wavefront6targetE1EEEvSY_,@function
_ZN7rocprim17ROCPRIM_400000_NS6detail17trampoline_kernelINS0_13select_configILj256ELj13ELNS0_17block_load_methodE3ELS4_3ELS4_3ELNS0_20block_scan_algorithmE0ELj4294967295EEENS1_25partition_config_selectorILNS1_17partition_subalgoE3EjNS0_10empty_typeEbEEZZNS1_14partition_implILS8_3ELb0ES6_jNS0_17counting_iteratorIjlEEPS9_SE_NS0_5tupleIJPjSE_EEENSF_IJSE_SE_EEES9_SG_JZNS1_25segmented_radix_sort_implINS0_14default_configELb0EPKfPfPKlPlN2at6native12_GLOBAL__N_18offset_tEEE10hipError_tPvRmT1_PNSt15iterator_traitsISY_E10value_typeET2_T3_PNSZ_IS14_E10value_typeET4_jRbjT5_S1A_jjP12ihipStream_tbEUljE_EEESV_SW_SX_S14_S18_S1A_T6_T7_T9_mT8_S1C_bDpT10_ENKUlT_T0_E_clISt17integral_constantIbLb1EES1O_IbLb0EEEEDaS1K_S1L_EUlS1K_E_NS1_11comp_targetILNS1_3genE9ELNS1_11target_archE1100ELNS1_3gpuE3ELNS1_3repE0EEENS1_30default_config_static_selectorELNS0_4arch9wavefront6targetE1EEEvSY_: ; @_ZN7rocprim17ROCPRIM_400000_NS6detail17trampoline_kernelINS0_13select_configILj256ELj13ELNS0_17block_load_methodE3ELS4_3ELS4_3ELNS0_20block_scan_algorithmE0ELj4294967295EEENS1_25partition_config_selectorILNS1_17partition_subalgoE3EjNS0_10empty_typeEbEEZZNS1_14partition_implILS8_3ELb0ES6_jNS0_17counting_iteratorIjlEEPS9_SE_NS0_5tupleIJPjSE_EEENSF_IJSE_SE_EEES9_SG_JZNS1_25segmented_radix_sort_implINS0_14default_configELb0EPKfPfPKlPlN2at6native12_GLOBAL__N_18offset_tEEE10hipError_tPvRmT1_PNSt15iterator_traitsISY_E10value_typeET2_T3_PNSZ_IS14_E10value_typeET4_jRbjT5_S1A_jjP12ihipStream_tbEUljE_EEESV_SW_SX_S14_S18_S1A_T6_T7_T9_mT8_S1C_bDpT10_ENKUlT_T0_E_clISt17integral_constantIbLb1EES1O_IbLb0EEEEDaS1K_S1L_EUlS1K_E_NS1_11comp_targetILNS1_3genE9ELNS1_11target_archE1100ELNS1_3gpuE3ELNS1_3repE0EEENS1_30default_config_static_selectorELNS0_4arch9wavefront6targetE1EEEvSY_
; %bb.0:
	.section	.rodata,"a",@progbits
	.p2align	6, 0x0
	.amdhsa_kernel _ZN7rocprim17ROCPRIM_400000_NS6detail17trampoline_kernelINS0_13select_configILj256ELj13ELNS0_17block_load_methodE3ELS4_3ELS4_3ELNS0_20block_scan_algorithmE0ELj4294967295EEENS1_25partition_config_selectorILNS1_17partition_subalgoE3EjNS0_10empty_typeEbEEZZNS1_14partition_implILS8_3ELb0ES6_jNS0_17counting_iteratorIjlEEPS9_SE_NS0_5tupleIJPjSE_EEENSF_IJSE_SE_EEES9_SG_JZNS1_25segmented_radix_sort_implINS0_14default_configELb0EPKfPfPKlPlN2at6native12_GLOBAL__N_18offset_tEEE10hipError_tPvRmT1_PNSt15iterator_traitsISY_E10value_typeET2_T3_PNSZ_IS14_E10value_typeET4_jRbjT5_S1A_jjP12ihipStream_tbEUljE_EEESV_SW_SX_S14_S18_S1A_T6_T7_T9_mT8_S1C_bDpT10_ENKUlT_T0_E_clISt17integral_constantIbLb1EES1O_IbLb0EEEEDaS1K_S1L_EUlS1K_E_NS1_11comp_targetILNS1_3genE9ELNS1_11target_archE1100ELNS1_3gpuE3ELNS1_3repE0EEENS1_30default_config_static_selectorELNS0_4arch9wavefront6targetE1EEEvSY_
		.amdhsa_group_segment_fixed_size 0
		.amdhsa_private_segment_fixed_size 0
		.amdhsa_kernarg_size 144
		.amdhsa_user_sgpr_count 6
		.amdhsa_user_sgpr_private_segment_buffer 1
		.amdhsa_user_sgpr_dispatch_ptr 0
		.amdhsa_user_sgpr_queue_ptr 0
		.amdhsa_user_sgpr_kernarg_segment_ptr 1
		.amdhsa_user_sgpr_dispatch_id 0
		.amdhsa_user_sgpr_flat_scratch_init 0
		.amdhsa_user_sgpr_private_segment_size 0
		.amdhsa_uses_dynamic_stack 0
		.amdhsa_system_sgpr_private_segment_wavefront_offset 0
		.amdhsa_system_sgpr_workgroup_id_x 1
		.amdhsa_system_sgpr_workgroup_id_y 0
		.amdhsa_system_sgpr_workgroup_id_z 0
		.amdhsa_system_sgpr_workgroup_info 0
		.amdhsa_system_vgpr_workitem_id 0
		.amdhsa_next_free_vgpr 1
		.amdhsa_next_free_sgpr 0
		.amdhsa_reserve_vcc 0
		.amdhsa_reserve_flat_scratch 0
		.amdhsa_float_round_mode_32 0
		.amdhsa_float_round_mode_16_64 0
		.amdhsa_float_denorm_mode_32 3
		.amdhsa_float_denorm_mode_16_64 3
		.amdhsa_dx10_clamp 1
		.amdhsa_ieee_mode 1
		.amdhsa_fp16_overflow 0
		.amdhsa_exception_fp_ieee_invalid_op 0
		.amdhsa_exception_fp_denorm_src 0
		.amdhsa_exception_fp_ieee_div_zero 0
		.amdhsa_exception_fp_ieee_overflow 0
		.amdhsa_exception_fp_ieee_underflow 0
		.amdhsa_exception_fp_ieee_inexact 0
		.amdhsa_exception_int_div_zero 0
	.end_amdhsa_kernel
	.section	.text._ZN7rocprim17ROCPRIM_400000_NS6detail17trampoline_kernelINS0_13select_configILj256ELj13ELNS0_17block_load_methodE3ELS4_3ELS4_3ELNS0_20block_scan_algorithmE0ELj4294967295EEENS1_25partition_config_selectorILNS1_17partition_subalgoE3EjNS0_10empty_typeEbEEZZNS1_14partition_implILS8_3ELb0ES6_jNS0_17counting_iteratorIjlEEPS9_SE_NS0_5tupleIJPjSE_EEENSF_IJSE_SE_EEES9_SG_JZNS1_25segmented_radix_sort_implINS0_14default_configELb0EPKfPfPKlPlN2at6native12_GLOBAL__N_18offset_tEEE10hipError_tPvRmT1_PNSt15iterator_traitsISY_E10value_typeET2_T3_PNSZ_IS14_E10value_typeET4_jRbjT5_S1A_jjP12ihipStream_tbEUljE_EEESV_SW_SX_S14_S18_S1A_T6_T7_T9_mT8_S1C_bDpT10_ENKUlT_T0_E_clISt17integral_constantIbLb1EES1O_IbLb0EEEEDaS1K_S1L_EUlS1K_E_NS1_11comp_targetILNS1_3genE9ELNS1_11target_archE1100ELNS1_3gpuE3ELNS1_3repE0EEENS1_30default_config_static_selectorELNS0_4arch9wavefront6targetE1EEEvSY_,"axG",@progbits,_ZN7rocprim17ROCPRIM_400000_NS6detail17trampoline_kernelINS0_13select_configILj256ELj13ELNS0_17block_load_methodE3ELS4_3ELS4_3ELNS0_20block_scan_algorithmE0ELj4294967295EEENS1_25partition_config_selectorILNS1_17partition_subalgoE3EjNS0_10empty_typeEbEEZZNS1_14partition_implILS8_3ELb0ES6_jNS0_17counting_iteratorIjlEEPS9_SE_NS0_5tupleIJPjSE_EEENSF_IJSE_SE_EEES9_SG_JZNS1_25segmented_radix_sort_implINS0_14default_configELb0EPKfPfPKlPlN2at6native12_GLOBAL__N_18offset_tEEE10hipError_tPvRmT1_PNSt15iterator_traitsISY_E10value_typeET2_T3_PNSZ_IS14_E10value_typeET4_jRbjT5_S1A_jjP12ihipStream_tbEUljE_EEESV_SW_SX_S14_S18_S1A_T6_T7_T9_mT8_S1C_bDpT10_ENKUlT_T0_E_clISt17integral_constantIbLb1EES1O_IbLb0EEEEDaS1K_S1L_EUlS1K_E_NS1_11comp_targetILNS1_3genE9ELNS1_11target_archE1100ELNS1_3gpuE3ELNS1_3repE0EEENS1_30default_config_static_selectorELNS0_4arch9wavefront6targetE1EEEvSY_,comdat
.Lfunc_end1418:
	.size	_ZN7rocprim17ROCPRIM_400000_NS6detail17trampoline_kernelINS0_13select_configILj256ELj13ELNS0_17block_load_methodE3ELS4_3ELS4_3ELNS0_20block_scan_algorithmE0ELj4294967295EEENS1_25partition_config_selectorILNS1_17partition_subalgoE3EjNS0_10empty_typeEbEEZZNS1_14partition_implILS8_3ELb0ES6_jNS0_17counting_iteratorIjlEEPS9_SE_NS0_5tupleIJPjSE_EEENSF_IJSE_SE_EEES9_SG_JZNS1_25segmented_radix_sort_implINS0_14default_configELb0EPKfPfPKlPlN2at6native12_GLOBAL__N_18offset_tEEE10hipError_tPvRmT1_PNSt15iterator_traitsISY_E10value_typeET2_T3_PNSZ_IS14_E10value_typeET4_jRbjT5_S1A_jjP12ihipStream_tbEUljE_EEESV_SW_SX_S14_S18_S1A_T6_T7_T9_mT8_S1C_bDpT10_ENKUlT_T0_E_clISt17integral_constantIbLb1EES1O_IbLb0EEEEDaS1K_S1L_EUlS1K_E_NS1_11comp_targetILNS1_3genE9ELNS1_11target_archE1100ELNS1_3gpuE3ELNS1_3repE0EEENS1_30default_config_static_selectorELNS0_4arch9wavefront6targetE1EEEvSY_, .Lfunc_end1418-_ZN7rocprim17ROCPRIM_400000_NS6detail17trampoline_kernelINS0_13select_configILj256ELj13ELNS0_17block_load_methodE3ELS4_3ELS4_3ELNS0_20block_scan_algorithmE0ELj4294967295EEENS1_25partition_config_selectorILNS1_17partition_subalgoE3EjNS0_10empty_typeEbEEZZNS1_14partition_implILS8_3ELb0ES6_jNS0_17counting_iteratorIjlEEPS9_SE_NS0_5tupleIJPjSE_EEENSF_IJSE_SE_EEES9_SG_JZNS1_25segmented_radix_sort_implINS0_14default_configELb0EPKfPfPKlPlN2at6native12_GLOBAL__N_18offset_tEEE10hipError_tPvRmT1_PNSt15iterator_traitsISY_E10value_typeET2_T3_PNSZ_IS14_E10value_typeET4_jRbjT5_S1A_jjP12ihipStream_tbEUljE_EEESV_SW_SX_S14_S18_S1A_T6_T7_T9_mT8_S1C_bDpT10_ENKUlT_T0_E_clISt17integral_constantIbLb1EES1O_IbLb0EEEEDaS1K_S1L_EUlS1K_E_NS1_11comp_targetILNS1_3genE9ELNS1_11target_archE1100ELNS1_3gpuE3ELNS1_3repE0EEENS1_30default_config_static_selectorELNS0_4arch9wavefront6targetE1EEEvSY_
                                        ; -- End function
	.set _ZN7rocprim17ROCPRIM_400000_NS6detail17trampoline_kernelINS0_13select_configILj256ELj13ELNS0_17block_load_methodE3ELS4_3ELS4_3ELNS0_20block_scan_algorithmE0ELj4294967295EEENS1_25partition_config_selectorILNS1_17partition_subalgoE3EjNS0_10empty_typeEbEEZZNS1_14partition_implILS8_3ELb0ES6_jNS0_17counting_iteratorIjlEEPS9_SE_NS0_5tupleIJPjSE_EEENSF_IJSE_SE_EEES9_SG_JZNS1_25segmented_radix_sort_implINS0_14default_configELb0EPKfPfPKlPlN2at6native12_GLOBAL__N_18offset_tEEE10hipError_tPvRmT1_PNSt15iterator_traitsISY_E10value_typeET2_T3_PNSZ_IS14_E10value_typeET4_jRbjT5_S1A_jjP12ihipStream_tbEUljE_EEESV_SW_SX_S14_S18_S1A_T6_T7_T9_mT8_S1C_bDpT10_ENKUlT_T0_E_clISt17integral_constantIbLb1EES1O_IbLb0EEEEDaS1K_S1L_EUlS1K_E_NS1_11comp_targetILNS1_3genE9ELNS1_11target_archE1100ELNS1_3gpuE3ELNS1_3repE0EEENS1_30default_config_static_selectorELNS0_4arch9wavefront6targetE1EEEvSY_.num_vgpr, 0
	.set _ZN7rocprim17ROCPRIM_400000_NS6detail17trampoline_kernelINS0_13select_configILj256ELj13ELNS0_17block_load_methodE3ELS4_3ELS4_3ELNS0_20block_scan_algorithmE0ELj4294967295EEENS1_25partition_config_selectorILNS1_17partition_subalgoE3EjNS0_10empty_typeEbEEZZNS1_14partition_implILS8_3ELb0ES6_jNS0_17counting_iteratorIjlEEPS9_SE_NS0_5tupleIJPjSE_EEENSF_IJSE_SE_EEES9_SG_JZNS1_25segmented_radix_sort_implINS0_14default_configELb0EPKfPfPKlPlN2at6native12_GLOBAL__N_18offset_tEEE10hipError_tPvRmT1_PNSt15iterator_traitsISY_E10value_typeET2_T3_PNSZ_IS14_E10value_typeET4_jRbjT5_S1A_jjP12ihipStream_tbEUljE_EEESV_SW_SX_S14_S18_S1A_T6_T7_T9_mT8_S1C_bDpT10_ENKUlT_T0_E_clISt17integral_constantIbLb1EES1O_IbLb0EEEEDaS1K_S1L_EUlS1K_E_NS1_11comp_targetILNS1_3genE9ELNS1_11target_archE1100ELNS1_3gpuE3ELNS1_3repE0EEENS1_30default_config_static_selectorELNS0_4arch9wavefront6targetE1EEEvSY_.num_agpr, 0
	.set _ZN7rocprim17ROCPRIM_400000_NS6detail17trampoline_kernelINS0_13select_configILj256ELj13ELNS0_17block_load_methodE3ELS4_3ELS4_3ELNS0_20block_scan_algorithmE0ELj4294967295EEENS1_25partition_config_selectorILNS1_17partition_subalgoE3EjNS0_10empty_typeEbEEZZNS1_14partition_implILS8_3ELb0ES6_jNS0_17counting_iteratorIjlEEPS9_SE_NS0_5tupleIJPjSE_EEENSF_IJSE_SE_EEES9_SG_JZNS1_25segmented_radix_sort_implINS0_14default_configELb0EPKfPfPKlPlN2at6native12_GLOBAL__N_18offset_tEEE10hipError_tPvRmT1_PNSt15iterator_traitsISY_E10value_typeET2_T3_PNSZ_IS14_E10value_typeET4_jRbjT5_S1A_jjP12ihipStream_tbEUljE_EEESV_SW_SX_S14_S18_S1A_T6_T7_T9_mT8_S1C_bDpT10_ENKUlT_T0_E_clISt17integral_constantIbLb1EES1O_IbLb0EEEEDaS1K_S1L_EUlS1K_E_NS1_11comp_targetILNS1_3genE9ELNS1_11target_archE1100ELNS1_3gpuE3ELNS1_3repE0EEENS1_30default_config_static_selectorELNS0_4arch9wavefront6targetE1EEEvSY_.numbered_sgpr, 0
	.set _ZN7rocprim17ROCPRIM_400000_NS6detail17trampoline_kernelINS0_13select_configILj256ELj13ELNS0_17block_load_methodE3ELS4_3ELS4_3ELNS0_20block_scan_algorithmE0ELj4294967295EEENS1_25partition_config_selectorILNS1_17partition_subalgoE3EjNS0_10empty_typeEbEEZZNS1_14partition_implILS8_3ELb0ES6_jNS0_17counting_iteratorIjlEEPS9_SE_NS0_5tupleIJPjSE_EEENSF_IJSE_SE_EEES9_SG_JZNS1_25segmented_radix_sort_implINS0_14default_configELb0EPKfPfPKlPlN2at6native12_GLOBAL__N_18offset_tEEE10hipError_tPvRmT1_PNSt15iterator_traitsISY_E10value_typeET2_T3_PNSZ_IS14_E10value_typeET4_jRbjT5_S1A_jjP12ihipStream_tbEUljE_EEESV_SW_SX_S14_S18_S1A_T6_T7_T9_mT8_S1C_bDpT10_ENKUlT_T0_E_clISt17integral_constantIbLb1EES1O_IbLb0EEEEDaS1K_S1L_EUlS1K_E_NS1_11comp_targetILNS1_3genE9ELNS1_11target_archE1100ELNS1_3gpuE3ELNS1_3repE0EEENS1_30default_config_static_selectorELNS0_4arch9wavefront6targetE1EEEvSY_.num_named_barrier, 0
	.set _ZN7rocprim17ROCPRIM_400000_NS6detail17trampoline_kernelINS0_13select_configILj256ELj13ELNS0_17block_load_methodE3ELS4_3ELS4_3ELNS0_20block_scan_algorithmE0ELj4294967295EEENS1_25partition_config_selectorILNS1_17partition_subalgoE3EjNS0_10empty_typeEbEEZZNS1_14partition_implILS8_3ELb0ES6_jNS0_17counting_iteratorIjlEEPS9_SE_NS0_5tupleIJPjSE_EEENSF_IJSE_SE_EEES9_SG_JZNS1_25segmented_radix_sort_implINS0_14default_configELb0EPKfPfPKlPlN2at6native12_GLOBAL__N_18offset_tEEE10hipError_tPvRmT1_PNSt15iterator_traitsISY_E10value_typeET2_T3_PNSZ_IS14_E10value_typeET4_jRbjT5_S1A_jjP12ihipStream_tbEUljE_EEESV_SW_SX_S14_S18_S1A_T6_T7_T9_mT8_S1C_bDpT10_ENKUlT_T0_E_clISt17integral_constantIbLb1EES1O_IbLb0EEEEDaS1K_S1L_EUlS1K_E_NS1_11comp_targetILNS1_3genE9ELNS1_11target_archE1100ELNS1_3gpuE3ELNS1_3repE0EEENS1_30default_config_static_selectorELNS0_4arch9wavefront6targetE1EEEvSY_.private_seg_size, 0
	.set _ZN7rocprim17ROCPRIM_400000_NS6detail17trampoline_kernelINS0_13select_configILj256ELj13ELNS0_17block_load_methodE3ELS4_3ELS4_3ELNS0_20block_scan_algorithmE0ELj4294967295EEENS1_25partition_config_selectorILNS1_17partition_subalgoE3EjNS0_10empty_typeEbEEZZNS1_14partition_implILS8_3ELb0ES6_jNS0_17counting_iteratorIjlEEPS9_SE_NS0_5tupleIJPjSE_EEENSF_IJSE_SE_EEES9_SG_JZNS1_25segmented_radix_sort_implINS0_14default_configELb0EPKfPfPKlPlN2at6native12_GLOBAL__N_18offset_tEEE10hipError_tPvRmT1_PNSt15iterator_traitsISY_E10value_typeET2_T3_PNSZ_IS14_E10value_typeET4_jRbjT5_S1A_jjP12ihipStream_tbEUljE_EEESV_SW_SX_S14_S18_S1A_T6_T7_T9_mT8_S1C_bDpT10_ENKUlT_T0_E_clISt17integral_constantIbLb1EES1O_IbLb0EEEEDaS1K_S1L_EUlS1K_E_NS1_11comp_targetILNS1_3genE9ELNS1_11target_archE1100ELNS1_3gpuE3ELNS1_3repE0EEENS1_30default_config_static_selectorELNS0_4arch9wavefront6targetE1EEEvSY_.uses_vcc, 0
	.set _ZN7rocprim17ROCPRIM_400000_NS6detail17trampoline_kernelINS0_13select_configILj256ELj13ELNS0_17block_load_methodE3ELS4_3ELS4_3ELNS0_20block_scan_algorithmE0ELj4294967295EEENS1_25partition_config_selectorILNS1_17partition_subalgoE3EjNS0_10empty_typeEbEEZZNS1_14partition_implILS8_3ELb0ES6_jNS0_17counting_iteratorIjlEEPS9_SE_NS0_5tupleIJPjSE_EEENSF_IJSE_SE_EEES9_SG_JZNS1_25segmented_radix_sort_implINS0_14default_configELb0EPKfPfPKlPlN2at6native12_GLOBAL__N_18offset_tEEE10hipError_tPvRmT1_PNSt15iterator_traitsISY_E10value_typeET2_T3_PNSZ_IS14_E10value_typeET4_jRbjT5_S1A_jjP12ihipStream_tbEUljE_EEESV_SW_SX_S14_S18_S1A_T6_T7_T9_mT8_S1C_bDpT10_ENKUlT_T0_E_clISt17integral_constantIbLb1EES1O_IbLb0EEEEDaS1K_S1L_EUlS1K_E_NS1_11comp_targetILNS1_3genE9ELNS1_11target_archE1100ELNS1_3gpuE3ELNS1_3repE0EEENS1_30default_config_static_selectorELNS0_4arch9wavefront6targetE1EEEvSY_.uses_flat_scratch, 0
	.set _ZN7rocprim17ROCPRIM_400000_NS6detail17trampoline_kernelINS0_13select_configILj256ELj13ELNS0_17block_load_methodE3ELS4_3ELS4_3ELNS0_20block_scan_algorithmE0ELj4294967295EEENS1_25partition_config_selectorILNS1_17partition_subalgoE3EjNS0_10empty_typeEbEEZZNS1_14partition_implILS8_3ELb0ES6_jNS0_17counting_iteratorIjlEEPS9_SE_NS0_5tupleIJPjSE_EEENSF_IJSE_SE_EEES9_SG_JZNS1_25segmented_radix_sort_implINS0_14default_configELb0EPKfPfPKlPlN2at6native12_GLOBAL__N_18offset_tEEE10hipError_tPvRmT1_PNSt15iterator_traitsISY_E10value_typeET2_T3_PNSZ_IS14_E10value_typeET4_jRbjT5_S1A_jjP12ihipStream_tbEUljE_EEESV_SW_SX_S14_S18_S1A_T6_T7_T9_mT8_S1C_bDpT10_ENKUlT_T0_E_clISt17integral_constantIbLb1EES1O_IbLb0EEEEDaS1K_S1L_EUlS1K_E_NS1_11comp_targetILNS1_3genE9ELNS1_11target_archE1100ELNS1_3gpuE3ELNS1_3repE0EEENS1_30default_config_static_selectorELNS0_4arch9wavefront6targetE1EEEvSY_.has_dyn_sized_stack, 0
	.set _ZN7rocprim17ROCPRIM_400000_NS6detail17trampoline_kernelINS0_13select_configILj256ELj13ELNS0_17block_load_methodE3ELS4_3ELS4_3ELNS0_20block_scan_algorithmE0ELj4294967295EEENS1_25partition_config_selectorILNS1_17partition_subalgoE3EjNS0_10empty_typeEbEEZZNS1_14partition_implILS8_3ELb0ES6_jNS0_17counting_iteratorIjlEEPS9_SE_NS0_5tupleIJPjSE_EEENSF_IJSE_SE_EEES9_SG_JZNS1_25segmented_radix_sort_implINS0_14default_configELb0EPKfPfPKlPlN2at6native12_GLOBAL__N_18offset_tEEE10hipError_tPvRmT1_PNSt15iterator_traitsISY_E10value_typeET2_T3_PNSZ_IS14_E10value_typeET4_jRbjT5_S1A_jjP12ihipStream_tbEUljE_EEESV_SW_SX_S14_S18_S1A_T6_T7_T9_mT8_S1C_bDpT10_ENKUlT_T0_E_clISt17integral_constantIbLb1EES1O_IbLb0EEEEDaS1K_S1L_EUlS1K_E_NS1_11comp_targetILNS1_3genE9ELNS1_11target_archE1100ELNS1_3gpuE3ELNS1_3repE0EEENS1_30default_config_static_selectorELNS0_4arch9wavefront6targetE1EEEvSY_.has_recursion, 0
	.set _ZN7rocprim17ROCPRIM_400000_NS6detail17trampoline_kernelINS0_13select_configILj256ELj13ELNS0_17block_load_methodE3ELS4_3ELS4_3ELNS0_20block_scan_algorithmE0ELj4294967295EEENS1_25partition_config_selectorILNS1_17partition_subalgoE3EjNS0_10empty_typeEbEEZZNS1_14partition_implILS8_3ELb0ES6_jNS0_17counting_iteratorIjlEEPS9_SE_NS0_5tupleIJPjSE_EEENSF_IJSE_SE_EEES9_SG_JZNS1_25segmented_radix_sort_implINS0_14default_configELb0EPKfPfPKlPlN2at6native12_GLOBAL__N_18offset_tEEE10hipError_tPvRmT1_PNSt15iterator_traitsISY_E10value_typeET2_T3_PNSZ_IS14_E10value_typeET4_jRbjT5_S1A_jjP12ihipStream_tbEUljE_EEESV_SW_SX_S14_S18_S1A_T6_T7_T9_mT8_S1C_bDpT10_ENKUlT_T0_E_clISt17integral_constantIbLb1EES1O_IbLb0EEEEDaS1K_S1L_EUlS1K_E_NS1_11comp_targetILNS1_3genE9ELNS1_11target_archE1100ELNS1_3gpuE3ELNS1_3repE0EEENS1_30default_config_static_selectorELNS0_4arch9wavefront6targetE1EEEvSY_.has_indirect_call, 0
	.section	.AMDGPU.csdata,"",@progbits
; Kernel info:
; codeLenInByte = 0
; TotalNumSgprs: 4
; NumVgprs: 0
; ScratchSize: 0
; MemoryBound: 0
; FloatMode: 240
; IeeeMode: 1
; LDSByteSize: 0 bytes/workgroup (compile time only)
; SGPRBlocks: 0
; VGPRBlocks: 0
; NumSGPRsForWavesPerEU: 4
; NumVGPRsForWavesPerEU: 1
; Occupancy: 10
; WaveLimiterHint : 0
; COMPUTE_PGM_RSRC2:SCRATCH_EN: 0
; COMPUTE_PGM_RSRC2:USER_SGPR: 6
; COMPUTE_PGM_RSRC2:TRAP_HANDLER: 0
; COMPUTE_PGM_RSRC2:TGID_X_EN: 1
; COMPUTE_PGM_RSRC2:TGID_Y_EN: 0
; COMPUTE_PGM_RSRC2:TGID_Z_EN: 0
; COMPUTE_PGM_RSRC2:TIDIG_COMP_CNT: 0
	.section	.text._ZN7rocprim17ROCPRIM_400000_NS6detail17trampoline_kernelINS0_13select_configILj256ELj13ELNS0_17block_load_methodE3ELS4_3ELS4_3ELNS0_20block_scan_algorithmE0ELj4294967295EEENS1_25partition_config_selectorILNS1_17partition_subalgoE3EjNS0_10empty_typeEbEEZZNS1_14partition_implILS8_3ELb0ES6_jNS0_17counting_iteratorIjlEEPS9_SE_NS0_5tupleIJPjSE_EEENSF_IJSE_SE_EEES9_SG_JZNS1_25segmented_radix_sort_implINS0_14default_configELb0EPKfPfPKlPlN2at6native12_GLOBAL__N_18offset_tEEE10hipError_tPvRmT1_PNSt15iterator_traitsISY_E10value_typeET2_T3_PNSZ_IS14_E10value_typeET4_jRbjT5_S1A_jjP12ihipStream_tbEUljE_EEESV_SW_SX_S14_S18_S1A_T6_T7_T9_mT8_S1C_bDpT10_ENKUlT_T0_E_clISt17integral_constantIbLb1EES1O_IbLb0EEEEDaS1K_S1L_EUlS1K_E_NS1_11comp_targetILNS1_3genE8ELNS1_11target_archE1030ELNS1_3gpuE2ELNS1_3repE0EEENS1_30default_config_static_selectorELNS0_4arch9wavefront6targetE1EEEvSY_,"axG",@progbits,_ZN7rocprim17ROCPRIM_400000_NS6detail17trampoline_kernelINS0_13select_configILj256ELj13ELNS0_17block_load_methodE3ELS4_3ELS4_3ELNS0_20block_scan_algorithmE0ELj4294967295EEENS1_25partition_config_selectorILNS1_17partition_subalgoE3EjNS0_10empty_typeEbEEZZNS1_14partition_implILS8_3ELb0ES6_jNS0_17counting_iteratorIjlEEPS9_SE_NS0_5tupleIJPjSE_EEENSF_IJSE_SE_EEES9_SG_JZNS1_25segmented_radix_sort_implINS0_14default_configELb0EPKfPfPKlPlN2at6native12_GLOBAL__N_18offset_tEEE10hipError_tPvRmT1_PNSt15iterator_traitsISY_E10value_typeET2_T3_PNSZ_IS14_E10value_typeET4_jRbjT5_S1A_jjP12ihipStream_tbEUljE_EEESV_SW_SX_S14_S18_S1A_T6_T7_T9_mT8_S1C_bDpT10_ENKUlT_T0_E_clISt17integral_constantIbLb1EES1O_IbLb0EEEEDaS1K_S1L_EUlS1K_E_NS1_11comp_targetILNS1_3genE8ELNS1_11target_archE1030ELNS1_3gpuE2ELNS1_3repE0EEENS1_30default_config_static_selectorELNS0_4arch9wavefront6targetE1EEEvSY_,comdat
	.globl	_ZN7rocprim17ROCPRIM_400000_NS6detail17trampoline_kernelINS0_13select_configILj256ELj13ELNS0_17block_load_methodE3ELS4_3ELS4_3ELNS0_20block_scan_algorithmE0ELj4294967295EEENS1_25partition_config_selectorILNS1_17partition_subalgoE3EjNS0_10empty_typeEbEEZZNS1_14partition_implILS8_3ELb0ES6_jNS0_17counting_iteratorIjlEEPS9_SE_NS0_5tupleIJPjSE_EEENSF_IJSE_SE_EEES9_SG_JZNS1_25segmented_radix_sort_implINS0_14default_configELb0EPKfPfPKlPlN2at6native12_GLOBAL__N_18offset_tEEE10hipError_tPvRmT1_PNSt15iterator_traitsISY_E10value_typeET2_T3_PNSZ_IS14_E10value_typeET4_jRbjT5_S1A_jjP12ihipStream_tbEUljE_EEESV_SW_SX_S14_S18_S1A_T6_T7_T9_mT8_S1C_bDpT10_ENKUlT_T0_E_clISt17integral_constantIbLb1EES1O_IbLb0EEEEDaS1K_S1L_EUlS1K_E_NS1_11comp_targetILNS1_3genE8ELNS1_11target_archE1030ELNS1_3gpuE2ELNS1_3repE0EEENS1_30default_config_static_selectorELNS0_4arch9wavefront6targetE1EEEvSY_ ; -- Begin function _ZN7rocprim17ROCPRIM_400000_NS6detail17trampoline_kernelINS0_13select_configILj256ELj13ELNS0_17block_load_methodE3ELS4_3ELS4_3ELNS0_20block_scan_algorithmE0ELj4294967295EEENS1_25partition_config_selectorILNS1_17partition_subalgoE3EjNS0_10empty_typeEbEEZZNS1_14partition_implILS8_3ELb0ES6_jNS0_17counting_iteratorIjlEEPS9_SE_NS0_5tupleIJPjSE_EEENSF_IJSE_SE_EEES9_SG_JZNS1_25segmented_radix_sort_implINS0_14default_configELb0EPKfPfPKlPlN2at6native12_GLOBAL__N_18offset_tEEE10hipError_tPvRmT1_PNSt15iterator_traitsISY_E10value_typeET2_T3_PNSZ_IS14_E10value_typeET4_jRbjT5_S1A_jjP12ihipStream_tbEUljE_EEESV_SW_SX_S14_S18_S1A_T6_T7_T9_mT8_S1C_bDpT10_ENKUlT_T0_E_clISt17integral_constantIbLb1EES1O_IbLb0EEEEDaS1K_S1L_EUlS1K_E_NS1_11comp_targetILNS1_3genE8ELNS1_11target_archE1030ELNS1_3gpuE2ELNS1_3repE0EEENS1_30default_config_static_selectorELNS0_4arch9wavefront6targetE1EEEvSY_
	.p2align	8
	.type	_ZN7rocprim17ROCPRIM_400000_NS6detail17trampoline_kernelINS0_13select_configILj256ELj13ELNS0_17block_load_methodE3ELS4_3ELS4_3ELNS0_20block_scan_algorithmE0ELj4294967295EEENS1_25partition_config_selectorILNS1_17partition_subalgoE3EjNS0_10empty_typeEbEEZZNS1_14partition_implILS8_3ELb0ES6_jNS0_17counting_iteratorIjlEEPS9_SE_NS0_5tupleIJPjSE_EEENSF_IJSE_SE_EEES9_SG_JZNS1_25segmented_radix_sort_implINS0_14default_configELb0EPKfPfPKlPlN2at6native12_GLOBAL__N_18offset_tEEE10hipError_tPvRmT1_PNSt15iterator_traitsISY_E10value_typeET2_T3_PNSZ_IS14_E10value_typeET4_jRbjT5_S1A_jjP12ihipStream_tbEUljE_EEESV_SW_SX_S14_S18_S1A_T6_T7_T9_mT8_S1C_bDpT10_ENKUlT_T0_E_clISt17integral_constantIbLb1EES1O_IbLb0EEEEDaS1K_S1L_EUlS1K_E_NS1_11comp_targetILNS1_3genE8ELNS1_11target_archE1030ELNS1_3gpuE2ELNS1_3repE0EEENS1_30default_config_static_selectorELNS0_4arch9wavefront6targetE1EEEvSY_,@function
_ZN7rocprim17ROCPRIM_400000_NS6detail17trampoline_kernelINS0_13select_configILj256ELj13ELNS0_17block_load_methodE3ELS4_3ELS4_3ELNS0_20block_scan_algorithmE0ELj4294967295EEENS1_25partition_config_selectorILNS1_17partition_subalgoE3EjNS0_10empty_typeEbEEZZNS1_14partition_implILS8_3ELb0ES6_jNS0_17counting_iteratorIjlEEPS9_SE_NS0_5tupleIJPjSE_EEENSF_IJSE_SE_EEES9_SG_JZNS1_25segmented_radix_sort_implINS0_14default_configELb0EPKfPfPKlPlN2at6native12_GLOBAL__N_18offset_tEEE10hipError_tPvRmT1_PNSt15iterator_traitsISY_E10value_typeET2_T3_PNSZ_IS14_E10value_typeET4_jRbjT5_S1A_jjP12ihipStream_tbEUljE_EEESV_SW_SX_S14_S18_S1A_T6_T7_T9_mT8_S1C_bDpT10_ENKUlT_T0_E_clISt17integral_constantIbLb1EES1O_IbLb0EEEEDaS1K_S1L_EUlS1K_E_NS1_11comp_targetILNS1_3genE8ELNS1_11target_archE1030ELNS1_3gpuE2ELNS1_3repE0EEENS1_30default_config_static_selectorELNS0_4arch9wavefront6targetE1EEEvSY_: ; @_ZN7rocprim17ROCPRIM_400000_NS6detail17trampoline_kernelINS0_13select_configILj256ELj13ELNS0_17block_load_methodE3ELS4_3ELS4_3ELNS0_20block_scan_algorithmE0ELj4294967295EEENS1_25partition_config_selectorILNS1_17partition_subalgoE3EjNS0_10empty_typeEbEEZZNS1_14partition_implILS8_3ELb0ES6_jNS0_17counting_iteratorIjlEEPS9_SE_NS0_5tupleIJPjSE_EEENSF_IJSE_SE_EEES9_SG_JZNS1_25segmented_radix_sort_implINS0_14default_configELb0EPKfPfPKlPlN2at6native12_GLOBAL__N_18offset_tEEE10hipError_tPvRmT1_PNSt15iterator_traitsISY_E10value_typeET2_T3_PNSZ_IS14_E10value_typeET4_jRbjT5_S1A_jjP12ihipStream_tbEUljE_EEESV_SW_SX_S14_S18_S1A_T6_T7_T9_mT8_S1C_bDpT10_ENKUlT_T0_E_clISt17integral_constantIbLb1EES1O_IbLb0EEEEDaS1K_S1L_EUlS1K_E_NS1_11comp_targetILNS1_3genE8ELNS1_11target_archE1030ELNS1_3gpuE2ELNS1_3repE0EEENS1_30default_config_static_selectorELNS0_4arch9wavefront6targetE1EEEvSY_
; %bb.0:
	.section	.rodata,"a",@progbits
	.p2align	6, 0x0
	.amdhsa_kernel _ZN7rocprim17ROCPRIM_400000_NS6detail17trampoline_kernelINS0_13select_configILj256ELj13ELNS0_17block_load_methodE3ELS4_3ELS4_3ELNS0_20block_scan_algorithmE0ELj4294967295EEENS1_25partition_config_selectorILNS1_17partition_subalgoE3EjNS0_10empty_typeEbEEZZNS1_14partition_implILS8_3ELb0ES6_jNS0_17counting_iteratorIjlEEPS9_SE_NS0_5tupleIJPjSE_EEENSF_IJSE_SE_EEES9_SG_JZNS1_25segmented_radix_sort_implINS0_14default_configELb0EPKfPfPKlPlN2at6native12_GLOBAL__N_18offset_tEEE10hipError_tPvRmT1_PNSt15iterator_traitsISY_E10value_typeET2_T3_PNSZ_IS14_E10value_typeET4_jRbjT5_S1A_jjP12ihipStream_tbEUljE_EEESV_SW_SX_S14_S18_S1A_T6_T7_T9_mT8_S1C_bDpT10_ENKUlT_T0_E_clISt17integral_constantIbLb1EES1O_IbLb0EEEEDaS1K_S1L_EUlS1K_E_NS1_11comp_targetILNS1_3genE8ELNS1_11target_archE1030ELNS1_3gpuE2ELNS1_3repE0EEENS1_30default_config_static_selectorELNS0_4arch9wavefront6targetE1EEEvSY_
		.amdhsa_group_segment_fixed_size 0
		.amdhsa_private_segment_fixed_size 0
		.amdhsa_kernarg_size 144
		.amdhsa_user_sgpr_count 6
		.amdhsa_user_sgpr_private_segment_buffer 1
		.amdhsa_user_sgpr_dispatch_ptr 0
		.amdhsa_user_sgpr_queue_ptr 0
		.amdhsa_user_sgpr_kernarg_segment_ptr 1
		.amdhsa_user_sgpr_dispatch_id 0
		.amdhsa_user_sgpr_flat_scratch_init 0
		.amdhsa_user_sgpr_private_segment_size 0
		.amdhsa_uses_dynamic_stack 0
		.amdhsa_system_sgpr_private_segment_wavefront_offset 0
		.amdhsa_system_sgpr_workgroup_id_x 1
		.amdhsa_system_sgpr_workgroup_id_y 0
		.amdhsa_system_sgpr_workgroup_id_z 0
		.amdhsa_system_sgpr_workgroup_info 0
		.amdhsa_system_vgpr_workitem_id 0
		.amdhsa_next_free_vgpr 1
		.amdhsa_next_free_sgpr 0
		.amdhsa_reserve_vcc 0
		.amdhsa_reserve_flat_scratch 0
		.amdhsa_float_round_mode_32 0
		.amdhsa_float_round_mode_16_64 0
		.amdhsa_float_denorm_mode_32 3
		.amdhsa_float_denorm_mode_16_64 3
		.amdhsa_dx10_clamp 1
		.amdhsa_ieee_mode 1
		.amdhsa_fp16_overflow 0
		.amdhsa_exception_fp_ieee_invalid_op 0
		.amdhsa_exception_fp_denorm_src 0
		.amdhsa_exception_fp_ieee_div_zero 0
		.amdhsa_exception_fp_ieee_overflow 0
		.amdhsa_exception_fp_ieee_underflow 0
		.amdhsa_exception_fp_ieee_inexact 0
		.amdhsa_exception_int_div_zero 0
	.end_amdhsa_kernel
	.section	.text._ZN7rocprim17ROCPRIM_400000_NS6detail17trampoline_kernelINS0_13select_configILj256ELj13ELNS0_17block_load_methodE3ELS4_3ELS4_3ELNS0_20block_scan_algorithmE0ELj4294967295EEENS1_25partition_config_selectorILNS1_17partition_subalgoE3EjNS0_10empty_typeEbEEZZNS1_14partition_implILS8_3ELb0ES6_jNS0_17counting_iteratorIjlEEPS9_SE_NS0_5tupleIJPjSE_EEENSF_IJSE_SE_EEES9_SG_JZNS1_25segmented_radix_sort_implINS0_14default_configELb0EPKfPfPKlPlN2at6native12_GLOBAL__N_18offset_tEEE10hipError_tPvRmT1_PNSt15iterator_traitsISY_E10value_typeET2_T3_PNSZ_IS14_E10value_typeET4_jRbjT5_S1A_jjP12ihipStream_tbEUljE_EEESV_SW_SX_S14_S18_S1A_T6_T7_T9_mT8_S1C_bDpT10_ENKUlT_T0_E_clISt17integral_constantIbLb1EES1O_IbLb0EEEEDaS1K_S1L_EUlS1K_E_NS1_11comp_targetILNS1_3genE8ELNS1_11target_archE1030ELNS1_3gpuE2ELNS1_3repE0EEENS1_30default_config_static_selectorELNS0_4arch9wavefront6targetE1EEEvSY_,"axG",@progbits,_ZN7rocprim17ROCPRIM_400000_NS6detail17trampoline_kernelINS0_13select_configILj256ELj13ELNS0_17block_load_methodE3ELS4_3ELS4_3ELNS0_20block_scan_algorithmE0ELj4294967295EEENS1_25partition_config_selectorILNS1_17partition_subalgoE3EjNS0_10empty_typeEbEEZZNS1_14partition_implILS8_3ELb0ES6_jNS0_17counting_iteratorIjlEEPS9_SE_NS0_5tupleIJPjSE_EEENSF_IJSE_SE_EEES9_SG_JZNS1_25segmented_radix_sort_implINS0_14default_configELb0EPKfPfPKlPlN2at6native12_GLOBAL__N_18offset_tEEE10hipError_tPvRmT1_PNSt15iterator_traitsISY_E10value_typeET2_T3_PNSZ_IS14_E10value_typeET4_jRbjT5_S1A_jjP12ihipStream_tbEUljE_EEESV_SW_SX_S14_S18_S1A_T6_T7_T9_mT8_S1C_bDpT10_ENKUlT_T0_E_clISt17integral_constantIbLb1EES1O_IbLb0EEEEDaS1K_S1L_EUlS1K_E_NS1_11comp_targetILNS1_3genE8ELNS1_11target_archE1030ELNS1_3gpuE2ELNS1_3repE0EEENS1_30default_config_static_selectorELNS0_4arch9wavefront6targetE1EEEvSY_,comdat
.Lfunc_end1419:
	.size	_ZN7rocprim17ROCPRIM_400000_NS6detail17trampoline_kernelINS0_13select_configILj256ELj13ELNS0_17block_load_methodE3ELS4_3ELS4_3ELNS0_20block_scan_algorithmE0ELj4294967295EEENS1_25partition_config_selectorILNS1_17partition_subalgoE3EjNS0_10empty_typeEbEEZZNS1_14partition_implILS8_3ELb0ES6_jNS0_17counting_iteratorIjlEEPS9_SE_NS0_5tupleIJPjSE_EEENSF_IJSE_SE_EEES9_SG_JZNS1_25segmented_radix_sort_implINS0_14default_configELb0EPKfPfPKlPlN2at6native12_GLOBAL__N_18offset_tEEE10hipError_tPvRmT1_PNSt15iterator_traitsISY_E10value_typeET2_T3_PNSZ_IS14_E10value_typeET4_jRbjT5_S1A_jjP12ihipStream_tbEUljE_EEESV_SW_SX_S14_S18_S1A_T6_T7_T9_mT8_S1C_bDpT10_ENKUlT_T0_E_clISt17integral_constantIbLb1EES1O_IbLb0EEEEDaS1K_S1L_EUlS1K_E_NS1_11comp_targetILNS1_3genE8ELNS1_11target_archE1030ELNS1_3gpuE2ELNS1_3repE0EEENS1_30default_config_static_selectorELNS0_4arch9wavefront6targetE1EEEvSY_, .Lfunc_end1419-_ZN7rocprim17ROCPRIM_400000_NS6detail17trampoline_kernelINS0_13select_configILj256ELj13ELNS0_17block_load_methodE3ELS4_3ELS4_3ELNS0_20block_scan_algorithmE0ELj4294967295EEENS1_25partition_config_selectorILNS1_17partition_subalgoE3EjNS0_10empty_typeEbEEZZNS1_14partition_implILS8_3ELb0ES6_jNS0_17counting_iteratorIjlEEPS9_SE_NS0_5tupleIJPjSE_EEENSF_IJSE_SE_EEES9_SG_JZNS1_25segmented_radix_sort_implINS0_14default_configELb0EPKfPfPKlPlN2at6native12_GLOBAL__N_18offset_tEEE10hipError_tPvRmT1_PNSt15iterator_traitsISY_E10value_typeET2_T3_PNSZ_IS14_E10value_typeET4_jRbjT5_S1A_jjP12ihipStream_tbEUljE_EEESV_SW_SX_S14_S18_S1A_T6_T7_T9_mT8_S1C_bDpT10_ENKUlT_T0_E_clISt17integral_constantIbLb1EES1O_IbLb0EEEEDaS1K_S1L_EUlS1K_E_NS1_11comp_targetILNS1_3genE8ELNS1_11target_archE1030ELNS1_3gpuE2ELNS1_3repE0EEENS1_30default_config_static_selectorELNS0_4arch9wavefront6targetE1EEEvSY_
                                        ; -- End function
	.set _ZN7rocprim17ROCPRIM_400000_NS6detail17trampoline_kernelINS0_13select_configILj256ELj13ELNS0_17block_load_methodE3ELS4_3ELS4_3ELNS0_20block_scan_algorithmE0ELj4294967295EEENS1_25partition_config_selectorILNS1_17partition_subalgoE3EjNS0_10empty_typeEbEEZZNS1_14partition_implILS8_3ELb0ES6_jNS0_17counting_iteratorIjlEEPS9_SE_NS0_5tupleIJPjSE_EEENSF_IJSE_SE_EEES9_SG_JZNS1_25segmented_radix_sort_implINS0_14default_configELb0EPKfPfPKlPlN2at6native12_GLOBAL__N_18offset_tEEE10hipError_tPvRmT1_PNSt15iterator_traitsISY_E10value_typeET2_T3_PNSZ_IS14_E10value_typeET4_jRbjT5_S1A_jjP12ihipStream_tbEUljE_EEESV_SW_SX_S14_S18_S1A_T6_T7_T9_mT8_S1C_bDpT10_ENKUlT_T0_E_clISt17integral_constantIbLb1EES1O_IbLb0EEEEDaS1K_S1L_EUlS1K_E_NS1_11comp_targetILNS1_3genE8ELNS1_11target_archE1030ELNS1_3gpuE2ELNS1_3repE0EEENS1_30default_config_static_selectorELNS0_4arch9wavefront6targetE1EEEvSY_.num_vgpr, 0
	.set _ZN7rocprim17ROCPRIM_400000_NS6detail17trampoline_kernelINS0_13select_configILj256ELj13ELNS0_17block_load_methodE3ELS4_3ELS4_3ELNS0_20block_scan_algorithmE0ELj4294967295EEENS1_25partition_config_selectorILNS1_17partition_subalgoE3EjNS0_10empty_typeEbEEZZNS1_14partition_implILS8_3ELb0ES6_jNS0_17counting_iteratorIjlEEPS9_SE_NS0_5tupleIJPjSE_EEENSF_IJSE_SE_EEES9_SG_JZNS1_25segmented_radix_sort_implINS0_14default_configELb0EPKfPfPKlPlN2at6native12_GLOBAL__N_18offset_tEEE10hipError_tPvRmT1_PNSt15iterator_traitsISY_E10value_typeET2_T3_PNSZ_IS14_E10value_typeET4_jRbjT5_S1A_jjP12ihipStream_tbEUljE_EEESV_SW_SX_S14_S18_S1A_T6_T7_T9_mT8_S1C_bDpT10_ENKUlT_T0_E_clISt17integral_constantIbLb1EES1O_IbLb0EEEEDaS1K_S1L_EUlS1K_E_NS1_11comp_targetILNS1_3genE8ELNS1_11target_archE1030ELNS1_3gpuE2ELNS1_3repE0EEENS1_30default_config_static_selectorELNS0_4arch9wavefront6targetE1EEEvSY_.num_agpr, 0
	.set _ZN7rocprim17ROCPRIM_400000_NS6detail17trampoline_kernelINS0_13select_configILj256ELj13ELNS0_17block_load_methodE3ELS4_3ELS4_3ELNS0_20block_scan_algorithmE0ELj4294967295EEENS1_25partition_config_selectorILNS1_17partition_subalgoE3EjNS0_10empty_typeEbEEZZNS1_14partition_implILS8_3ELb0ES6_jNS0_17counting_iteratorIjlEEPS9_SE_NS0_5tupleIJPjSE_EEENSF_IJSE_SE_EEES9_SG_JZNS1_25segmented_radix_sort_implINS0_14default_configELb0EPKfPfPKlPlN2at6native12_GLOBAL__N_18offset_tEEE10hipError_tPvRmT1_PNSt15iterator_traitsISY_E10value_typeET2_T3_PNSZ_IS14_E10value_typeET4_jRbjT5_S1A_jjP12ihipStream_tbEUljE_EEESV_SW_SX_S14_S18_S1A_T6_T7_T9_mT8_S1C_bDpT10_ENKUlT_T0_E_clISt17integral_constantIbLb1EES1O_IbLb0EEEEDaS1K_S1L_EUlS1K_E_NS1_11comp_targetILNS1_3genE8ELNS1_11target_archE1030ELNS1_3gpuE2ELNS1_3repE0EEENS1_30default_config_static_selectorELNS0_4arch9wavefront6targetE1EEEvSY_.numbered_sgpr, 0
	.set _ZN7rocprim17ROCPRIM_400000_NS6detail17trampoline_kernelINS0_13select_configILj256ELj13ELNS0_17block_load_methodE3ELS4_3ELS4_3ELNS0_20block_scan_algorithmE0ELj4294967295EEENS1_25partition_config_selectorILNS1_17partition_subalgoE3EjNS0_10empty_typeEbEEZZNS1_14partition_implILS8_3ELb0ES6_jNS0_17counting_iteratorIjlEEPS9_SE_NS0_5tupleIJPjSE_EEENSF_IJSE_SE_EEES9_SG_JZNS1_25segmented_radix_sort_implINS0_14default_configELb0EPKfPfPKlPlN2at6native12_GLOBAL__N_18offset_tEEE10hipError_tPvRmT1_PNSt15iterator_traitsISY_E10value_typeET2_T3_PNSZ_IS14_E10value_typeET4_jRbjT5_S1A_jjP12ihipStream_tbEUljE_EEESV_SW_SX_S14_S18_S1A_T6_T7_T9_mT8_S1C_bDpT10_ENKUlT_T0_E_clISt17integral_constantIbLb1EES1O_IbLb0EEEEDaS1K_S1L_EUlS1K_E_NS1_11comp_targetILNS1_3genE8ELNS1_11target_archE1030ELNS1_3gpuE2ELNS1_3repE0EEENS1_30default_config_static_selectorELNS0_4arch9wavefront6targetE1EEEvSY_.num_named_barrier, 0
	.set _ZN7rocprim17ROCPRIM_400000_NS6detail17trampoline_kernelINS0_13select_configILj256ELj13ELNS0_17block_load_methodE3ELS4_3ELS4_3ELNS0_20block_scan_algorithmE0ELj4294967295EEENS1_25partition_config_selectorILNS1_17partition_subalgoE3EjNS0_10empty_typeEbEEZZNS1_14partition_implILS8_3ELb0ES6_jNS0_17counting_iteratorIjlEEPS9_SE_NS0_5tupleIJPjSE_EEENSF_IJSE_SE_EEES9_SG_JZNS1_25segmented_radix_sort_implINS0_14default_configELb0EPKfPfPKlPlN2at6native12_GLOBAL__N_18offset_tEEE10hipError_tPvRmT1_PNSt15iterator_traitsISY_E10value_typeET2_T3_PNSZ_IS14_E10value_typeET4_jRbjT5_S1A_jjP12ihipStream_tbEUljE_EEESV_SW_SX_S14_S18_S1A_T6_T7_T9_mT8_S1C_bDpT10_ENKUlT_T0_E_clISt17integral_constantIbLb1EES1O_IbLb0EEEEDaS1K_S1L_EUlS1K_E_NS1_11comp_targetILNS1_3genE8ELNS1_11target_archE1030ELNS1_3gpuE2ELNS1_3repE0EEENS1_30default_config_static_selectorELNS0_4arch9wavefront6targetE1EEEvSY_.private_seg_size, 0
	.set _ZN7rocprim17ROCPRIM_400000_NS6detail17trampoline_kernelINS0_13select_configILj256ELj13ELNS0_17block_load_methodE3ELS4_3ELS4_3ELNS0_20block_scan_algorithmE0ELj4294967295EEENS1_25partition_config_selectorILNS1_17partition_subalgoE3EjNS0_10empty_typeEbEEZZNS1_14partition_implILS8_3ELb0ES6_jNS0_17counting_iteratorIjlEEPS9_SE_NS0_5tupleIJPjSE_EEENSF_IJSE_SE_EEES9_SG_JZNS1_25segmented_radix_sort_implINS0_14default_configELb0EPKfPfPKlPlN2at6native12_GLOBAL__N_18offset_tEEE10hipError_tPvRmT1_PNSt15iterator_traitsISY_E10value_typeET2_T3_PNSZ_IS14_E10value_typeET4_jRbjT5_S1A_jjP12ihipStream_tbEUljE_EEESV_SW_SX_S14_S18_S1A_T6_T7_T9_mT8_S1C_bDpT10_ENKUlT_T0_E_clISt17integral_constantIbLb1EES1O_IbLb0EEEEDaS1K_S1L_EUlS1K_E_NS1_11comp_targetILNS1_3genE8ELNS1_11target_archE1030ELNS1_3gpuE2ELNS1_3repE0EEENS1_30default_config_static_selectorELNS0_4arch9wavefront6targetE1EEEvSY_.uses_vcc, 0
	.set _ZN7rocprim17ROCPRIM_400000_NS6detail17trampoline_kernelINS0_13select_configILj256ELj13ELNS0_17block_load_methodE3ELS4_3ELS4_3ELNS0_20block_scan_algorithmE0ELj4294967295EEENS1_25partition_config_selectorILNS1_17partition_subalgoE3EjNS0_10empty_typeEbEEZZNS1_14partition_implILS8_3ELb0ES6_jNS0_17counting_iteratorIjlEEPS9_SE_NS0_5tupleIJPjSE_EEENSF_IJSE_SE_EEES9_SG_JZNS1_25segmented_radix_sort_implINS0_14default_configELb0EPKfPfPKlPlN2at6native12_GLOBAL__N_18offset_tEEE10hipError_tPvRmT1_PNSt15iterator_traitsISY_E10value_typeET2_T3_PNSZ_IS14_E10value_typeET4_jRbjT5_S1A_jjP12ihipStream_tbEUljE_EEESV_SW_SX_S14_S18_S1A_T6_T7_T9_mT8_S1C_bDpT10_ENKUlT_T0_E_clISt17integral_constantIbLb1EES1O_IbLb0EEEEDaS1K_S1L_EUlS1K_E_NS1_11comp_targetILNS1_3genE8ELNS1_11target_archE1030ELNS1_3gpuE2ELNS1_3repE0EEENS1_30default_config_static_selectorELNS0_4arch9wavefront6targetE1EEEvSY_.uses_flat_scratch, 0
	.set _ZN7rocprim17ROCPRIM_400000_NS6detail17trampoline_kernelINS0_13select_configILj256ELj13ELNS0_17block_load_methodE3ELS4_3ELS4_3ELNS0_20block_scan_algorithmE0ELj4294967295EEENS1_25partition_config_selectorILNS1_17partition_subalgoE3EjNS0_10empty_typeEbEEZZNS1_14partition_implILS8_3ELb0ES6_jNS0_17counting_iteratorIjlEEPS9_SE_NS0_5tupleIJPjSE_EEENSF_IJSE_SE_EEES9_SG_JZNS1_25segmented_radix_sort_implINS0_14default_configELb0EPKfPfPKlPlN2at6native12_GLOBAL__N_18offset_tEEE10hipError_tPvRmT1_PNSt15iterator_traitsISY_E10value_typeET2_T3_PNSZ_IS14_E10value_typeET4_jRbjT5_S1A_jjP12ihipStream_tbEUljE_EEESV_SW_SX_S14_S18_S1A_T6_T7_T9_mT8_S1C_bDpT10_ENKUlT_T0_E_clISt17integral_constantIbLb1EES1O_IbLb0EEEEDaS1K_S1L_EUlS1K_E_NS1_11comp_targetILNS1_3genE8ELNS1_11target_archE1030ELNS1_3gpuE2ELNS1_3repE0EEENS1_30default_config_static_selectorELNS0_4arch9wavefront6targetE1EEEvSY_.has_dyn_sized_stack, 0
	.set _ZN7rocprim17ROCPRIM_400000_NS6detail17trampoline_kernelINS0_13select_configILj256ELj13ELNS0_17block_load_methodE3ELS4_3ELS4_3ELNS0_20block_scan_algorithmE0ELj4294967295EEENS1_25partition_config_selectorILNS1_17partition_subalgoE3EjNS0_10empty_typeEbEEZZNS1_14partition_implILS8_3ELb0ES6_jNS0_17counting_iteratorIjlEEPS9_SE_NS0_5tupleIJPjSE_EEENSF_IJSE_SE_EEES9_SG_JZNS1_25segmented_radix_sort_implINS0_14default_configELb0EPKfPfPKlPlN2at6native12_GLOBAL__N_18offset_tEEE10hipError_tPvRmT1_PNSt15iterator_traitsISY_E10value_typeET2_T3_PNSZ_IS14_E10value_typeET4_jRbjT5_S1A_jjP12ihipStream_tbEUljE_EEESV_SW_SX_S14_S18_S1A_T6_T7_T9_mT8_S1C_bDpT10_ENKUlT_T0_E_clISt17integral_constantIbLb1EES1O_IbLb0EEEEDaS1K_S1L_EUlS1K_E_NS1_11comp_targetILNS1_3genE8ELNS1_11target_archE1030ELNS1_3gpuE2ELNS1_3repE0EEENS1_30default_config_static_selectorELNS0_4arch9wavefront6targetE1EEEvSY_.has_recursion, 0
	.set _ZN7rocprim17ROCPRIM_400000_NS6detail17trampoline_kernelINS0_13select_configILj256ELj13ELNS0_17block_load_methodE3ELS4_3ELS4_3ELNS0_20block_scan_algorithmE0ELj4294967295EEENS1_25partition_config_selectorILNS1_17partition_subalgoE3EjNS0_10empty_typeEbEEZZNS1_14partition_implILS8_3ELb0ES6_jNS0_17counting_iteratorIjlEEPS9_SE_NS0_5tupleIJPjSE_EEENSF_IJSE_SE_EEES9_SG_JZNS1_25segmented_radix_sort_implINS0_14default_configELb0EPKfPfPKlPlN2at6native12_GLOBAL__N_18offset_tEEE10hipError_tPvRmT1_PNSt15iterator_traitsISY_E10value_typeET2_T3_PNSZ_IS14_E10value_typeET4_jRbjT5_S1A_jjP12ihipStream_tbEUljE_EEESV_SW_SX_S14_S18_S1A_T6_T7_T9_mT8_S1C_bDpT10_ENKUlT_T0_E_clISt17integral_constantIbLb1EES1O_IbLb0EEEEDaS1K_S1L_EUlS1K_E_NS1_11comp_targetILNS1_3genE8ELNS1_11target_archE1030ELNS1_3gpuE2ELNS1_3repE0EEENS1_30default_config_static_selectorELNS0_4arch9wavefront6targetE1EEEvSY_.has_indirect_call, 0
	.section	.AMDGPU.csdata,"",@progbits
; Kernel info:
; codeLenInByte = 0
; TotalNumSgprs: 4
; NumVgprs: 0
; ScratchSize: 0
; MemoryBound: 0
; FloatMode: 240
; IeeeMode: 1
; LDSByteSize: 0 bytes/workgroup (compile time only)
; SGPRBlocks: 0
; VGPRBlocks: 0
; NumSGPRsForWavesPerEU: 4
; NumVGPRsForWavesPerEU: 1
; Occupancy: 10
; WaveLimiterHint : 0
; COMPUTE_PGM_RSRC2:SCRATCH_EN: 0
; COMPUTE_PGM_RSRC2:USER_SGPR: 6
; COMPUTE_PGM_RSRC2:TRAP_HANDLER: 0
; COMPUTE_PGM_RSRC2:TGID_X_EN: 1
; COMPUTE_PGM_RSRC2:TGID_Y_EN: 0
; COMPUTE_PGM_RSRC2:TGID_Z_EN: 0
; COMPUTE_PGM_RSRC2:TIDIG_COMP_CNT: 0
	.section	.text._ZN7rocprim17ROCPRIM_400000_NS6detail17trampoline_kernelINS0_13select_configILj256ELj13ELNS0_17block_load_methodE3ELS4_3ELS4_3ELNS0_20block_scan_algorithmE0ELj4294967295EEENS1_25partition_config_selectorILNS1_17partition_subalgoE3EjNS0_10empty_typeEbEEZZNS1_14partition_implILS8_3ELb0ES6_jNS0_17counting_iteratorIjlEEPS9_SE_NS0_5tupleIJPjSE_EEENSF_IJSE_SE_EEES9_SG_JZNS1_25segmented_radix_sort_implINS0_14default_configELb0EPKfPfPKlPlN2at6native12_GLOBAL__N_18offset_tEEE10hipError_tPvRmT1_PNSt15iterator_traitsISY_E10value_typeET2_T3_PNSZ_IS14_E10value_typeET4_jRbjT5_S1A_jjP12ihipStream_tbEUljE_EEESV_SW_SX_S14_S18_S1A_T6_T7_T9_mT8_S1C_bDpT10_ENKUlT_T0_E_clISt17integral_constantIbLb0EES1O_IbLb1EEEEDaS1K_S1L_EUlS1K_E_NS1_11comp_targetILNS1_3genE0ELNS1_11target_archE4294967295ELNS1_3gpuE0ELNS1_3repE0EEENS1_30default_config_static_selectorELNS0_4arch9wavefront6targetE1EEEvSY_,"axG",@progbits,_ZN7rocprim17ROCPRIM_400000_NS6detail17trampoline_kernelINS0_13select_configILj256ELj13ELNS0_17block_load_methodE3ELS4_3ELS4_3ELNS0_20block_scan_algorithmE0ELj4294967295EEENS1_25partition_config_selectorILNS1_17partition_subalgoE3EjNS0_10empty_typeEbEEZZNS1_14partition_implILS8_3ELb0ES6_jNS0_17counting_iteratorIjlEEPS9_SE_NS0_5tupleIJPjSE_EEENSF_IJSE_SE_EEES9_SG_JZNS1_25segmented_radix_sort_implINS0_14default_configELb0EPKfPfPKlPlN2at6native12_GLOBAL__N_18offset_tEEE10hipError_tPvRmT1_PNSt15iterator_traitsISY_E10value_typeET2_T3_PNSZ_IS14_E10value_typeET4_jRbjT5_S1A_jjP12ihipStream_tbEUljE_EEESV_SW_SX_S14_S18_S1A_T6_T7_T9_mT8_S1C_bDpT10_ENKUlT_T0_E_clISt17integral_constantIbLb0EES1O_IbLb1EEEEDaS1K_S1L_EUlS1K_E_NS1_11comp_targetILNS1_3genE0ELNS1_11target_archE4294967295ELNS1_3gpuE0ELNS1_3repE0EEENS1_30default_config_static_selectorELNS0_4arch9wavefront6targetE1EEEvSY_,comdat
	.globl	_ZN7rocprim17ROCPRIM_400000_NS6detail17trampoline_kernelINS0_13select_configILj256ELj13ELNS0_17block_load_methodE3ELS4_3ELS4_3ELNS0_20block_scan_algorithmE0ELj4294967295EEENS1_25partition_config_selectorILNS1_17partition_subalgoE3EjNS0_10empty_typeEbEEZZNS1_14partition_implILS8_3ELb0ES6_jNS0_17counting_iteratorIjlEEPS9_SE_NS0_5tupleIJPjSE_EEENSF_IJSE_SE_EEES9_SG_JZNS1_25segmented_radix_sort_implINS0_14default_configELb0EPKfPfPKlPlN2at6native12_GLOBAL__N_18offset_tEEE10hipError_tPvRmT1_PNSt15iterator_traitsISY_E10value_typeET2_T3_PNSZ_IS14_E10value_typeET4_jRbjT5_S1A_jjP12ihipStream_tbEUljE_EEESV_SW_SX_S14_S18_S1A_T6_T7_T9_mT8_S1C_bDpT10_ENKUlT_T0_E_clISt17integral_constantIbLb0EES1O_IbLb1EEEEDaS1K_S1L_EUlS1K_E_NS1_11comp_targetILNS1_3genE0ELNS1_11target_archE4294967295ELNS1_3gpuE0ELNS1_3repE0EEENS1_30default_config_static_selectorELNS0_4arch9wavefront6targetE1EEEvSY_ ; -- Begin function _ZN7rocprim17ROCPRIM_400000_NS6detail17trampoline_kernelINS0_13select_configILj256ELj13ELNS0_17block_load_methodE3ELS4_3ELS4_3ELNS0_20block_scan_algorithmE0ELj4294967295EEENS1_25partition_config_selectorILNS1_17partition_subalgoE3EjNS0_10empty_typeEbEEZZNS1_14partition_implILS8_3ELb0ES6_jNS0_17counting_iteratorIjlEEPS9_SE_NS0_5tupleIJPjSE_EEENSF_IJSE_SE_EEES9_SG_JZNS1_25segmented_radix_sort_implINS0_14default_configELb0EPKfPfPKlPlN2at6native12_GLOBAL__N_18offset_tEEE10hipError_tPvRmT1_PNSt15iterator_traitsISY_E10value_typeET2_T3_PNSZ_IS14_E10value_typeET4_jRbjT5_S1A_jjP12ihipStream_tbEUljE_EEESV_SW_SX_S14_S18_S1A_T6_T7_T9_mT8_S1C_bDpT10_ENKUlT_T0_E_clISt17integral_constantIbLb0EES1O_IbLb1EEEEDaS1K_S1L_EUlS1K_E_NS1_11comp_targetILNS1_3genE0ELNS1_11target_archE4294967295ELNS1_3gpuE0ELNS1_3repE0EEENS1_30default_config_static_selectorELNS0_4arch9wavefront6targetE1EEEvSY_
	.p2align	8
	.type	_ZN7rocprim17ROCPRIM_400000_NS6detail17trampoline_kernelINS0_13select_configILj256ELj13ELNS0_17block_load_methodE3ELS4_3ELS4_3ELNS0_20block_scan_algorithmE0ELj4294967295EEENS1_25partition_config_selectorILNS1_17partition_subalgoE3EjNS0_10empty_typeEbEEZZNS1_14partition_implILS8_3ELb0ES6_jNS0_17counting_iteratorIjlEEPS9_SE_NS0_5tupleIJPjSE_EEENSF_IJSE_SE_EEES9_SG_JZNS1_25segmented_radix_sort_implINS0_14default_configELb0EPKfPfPKlPlN2at6native12_GLOBAL__N_18offset_tEEE10hipError_tPvRmT1_PNSt15iterator_traitsISY_E10value_typeET2_T3_PNSZ_IS14_E10value_typeET4_jRbjT5_S1A_jjP12ihipStream_tbEUljE_EEESV_SW_SX_S14_S18_S1A_T6_T7_T9_mT8_S1C_bDpT10_ENKUlT_T0_E_clISt17integral_constantIbLb0EES1O_IbLb1EEEEDaS1K_S1L_EUlS1K_E_NS1_11comp_targetILNS1_3genE0ELNS1_11target_archE4294967295ELNS1_3gpuE0ELNS1_3repE0EEENS1_30default_config_static_selectorELNS0_4arch9wavefront6targetE1EEEvSY_,@function
_ZN7rocprim17ROCPRIM_400000_NS6detail17trampoline_kernelINS0_13select_configILj256ELj13ELNS0_17block_load_methodE3ELS4_3ELS4_3ELNS0_20block_scan_algorithmE0ELj4294967295EEENS1_25partition_config_selectorILNS1_17partition_subalgoE3EjNS0_10empty_typeEbEEZZNS1_14partition_implILS8_3ELb0ES6_jNS0_17counting_iteratorIjlEEPS9_SE_NS0_5tupleIJPjSE_EEENSF_IJSE_SE_EEES9_SG_JZNS1_25segmented_radix_sort_implINS0_14default_configELb0EPKfPfPKlPlN2at6native12_GLOBAL__N_18offset_tEEE10hipError_tPvRmT1_PNSt15iterator_traitsISY_E10value_typeET2_T3_PNSZ_IS14_E10value_typeET4_jRbjT5_S1A_jjP12ihipStream_tbEUljE_EEESV_SW_SX_S14_S18_S1A_T6_T7_T9_mT8_S1C_bDpT10_ENKUlT_T0_E_clISt17integral_constantIbLb0EES1O_IbLb1EEEEDaS1K_S1L_EUlS1K_E_NS1_11comp_targetILNS1_3genE0ELNS1_11target_archE4294967295ELNS1_3gpuE0ELNS1_3repE0EEENS1_30default_config_static_selectorELNS0_4arch9wavefront6targetE1EEEvSY_: ; @_ZN7rocprim17ROCPRIM_400000_NS6detail17trampoline_kernelINS0_13select_configILj256ELj13ELNS0_17block_load_methodE3ELS4_3ELS4_3ELNS0_20block_scan_algorithmE0ELj4294967295EEENS1_25partition_config_selectorILNS1_17partition_subalgoE3EjNS0_10empty_typeEbEEZZNS1_14partition_implILS8_3ELb0ES6_jNS0_17counting_iteratorIjlEEPS9_SE_NS0_5tupleIJPjSE_EEENSF_IJSE_SE_EEES9_SG_JZNS1_25segmented_radix_sort_implINS0_14default_configELb0EPKfPfPKlPlN2at6native12_GLOBAL__N_18offset_tEEE10hipError_tPvRmT1_PNSt15iterator_traitsISY_E10value_typeET2_T3_PNSZ_IS14_E10value_typeET4_jRbjT5_S1A_jjP12ihipStream_tbEUljE_EEESV_SW_SX_S14_S18_S1A_T6_T7_T9_mT8_S1C_bDpT10_ENKUlT_T0_E_clISt17integral_constantIbLb0EES1O_IbLb1EEEEDaS1K_S1L_EUlS1K_E_NS1_11comp_targetILNS1_3genE0ELNS1_11target_archE4294967295ELNS1_3gpuE0ELNS1_3repE0EEENS1_30default_config_static_selectorELNS0_4arch9wavefront6targetE1EEEvSY_
; %bb.0:
	.section	.rodata,"a",@progbits
	.p2align	6, 0x0
	.amdhsa_kernel _ZN7rocprim17ROCPRIM_400000_NS6detail17trampoline_kernelINS0_13select_configILj256ELj13ELNS0_17block_load_methodE3ELS4_3ELS4_3ELNS0_20block_scan_algorithmE0ELj4294967295EEENS1_25partition_config_selectorILNS1_17partition_subalgoE3EjNS0_10empty_typeEbEEZZNS1_14partition_implILS8_3ELb0ES6_jNS0_17counting_iteratorIjlEEPS9_SE_NS0_5tupleIJPjSE_EEENSF_IJSE_SE_EEES9_SG_JZNS1_25segmented_radix_sort_implINS0_14default_configELb0EPKfPfPKlPlN2at6native12_GLOBAL__N_18offset_tEEE10hipError_tPvRmT1_PNSt15iterator_traitsISY_E10value_typeET2_T3_PNSZ_IS14_E10value_typeET4_jRbjT5_S1A_jjP12ihipStream_tbEUljE_EEESV_SW_SX_S14_S18_S1A_T6_T7_T9_mT8_S1C_bDpT10_ENKUlT_T0_E_clISt17integral_constantIbLb0EES1O_IbLb1EEEEDaS1K_S1L_EUlS1K_E_NS1_11comp_targetILNS1_3genE0ELNS1_11target_archE4294967295ELNS1_3gpuE0ELNS1_3repE0EEENS1_30default_config_static_selectorELNS0_4arch9wavefront6targetE1EEEvSY_
		.amdhsa_group_segment_fixed_size 0
		.amdhsa_private_segment_fixed_size 0
		.amdhsa_kernarg_size 152
		.amdhsa_user_sgpr_count 6
		.amdhsa_user_sgpr_private_segment_buffer 1
		.amdhsa_user_sgpr_dispatch_ptr 0
		.amdhsa_user_sgpr_queue_ptr 0
		.amdhsa_user_sgpr_kernarg_segment_ptr 1
		.amdhsa_user_sgpr_dispatch_id 0
		.amdhsa_user_sgpr_flat_scratch_init 0
		.amdhsa_user_sgpr_private_segment_size 0
		.amdhsa_uses_dynamic_stack 0
		.amdhsa_system_sgpr_private_segment_wavefront_offset 0
		.amdhsa_system_sgpr_workgroup_id_x 1
		.amdhsa_system_sgpr_workgroup_id_y 0
		.amdhsa_system_sgpr_workgroup_id_z 0
		.amdhsa_system_sgpr_workgroup_info 0
		.amdhsa_system_vgpr_workitem_id 0
		.amdhsa_next_free_vgpr 1
		.amdhsa_next_free_sgpr 0
		.amdhsa_reserve_vcc 0
		.amdhsa_reserve_flat_scratch 0
		.amdhsa_float_round_mode_32 0
		.amdhsa_float_round_mode_16_64 0
		.amdhsa_float_denorm_mode_32 3
		.amdhsa_float_denorm_mode_16_64 3
		.amdhsa_dx10_clamp 1
		.amdhsa_ieee_mode 1
		.amdhsa_fp16_overflow 0
		.amdhsa_exception_fp_ieee_invalid_op 0
		.amdhsa_exception_fp_denorm_src 0
		.amdhsa_exception_fp_ieee_div_zero 0
		.amdhsa_exception_fp_ieee_overflow 0
		.amdhsa_exception_fp_ieee_underflow 0
		.amdhsa_exception_fp_ieee_inexact 0
		.amdhsa_exception_int_div_zero 0
	.end_amdhsa_kernel
	.section	.text._ZN7rocprim17ROCPRIM_400000_NS6detail17trampoline_kernelINS0_13select_configILj256ELj13ELNS0_17block_load_methodE3ELS4_3ELS4_3ELNS0_20block_scan_algorithmE0ELj4294967295EEENS1_25partition_config_selectorILNS1_17partition_subalgoE3EjNS0_10empty_typeEbEEZZNS1_14partition_implILS8_3ELb0ES6_jNS0_17counting_iteratorIjlEEPS9_SE_NS0_5tupleIJPjSE_EEENSF_IJSE_SE_EEES9_SG_JZNS1_25segmented_radix_sort_implINS0_14default_configELb0EPKfPfPKlPlN2at6native12_GLOBAL__N_18offset_tEEE10hipError_tPvRmT1_PNSt15iterator_traitsISY_E10value_typeET2_T3_PNSZ_IS14_E10value_typeET4_jRbjT5_S1A_jjP12ihipStream_tbEUljE_EEESV_SW_SX_S14_S18_S1A_T6_T7_T9_mT8_S1C_bDpT10_ENKUlT_T0_E_clISt17integral_constantIbLb0EES1O_IbLb1EEEEDaS1K_S1L_EUlS1K_E_NS1_11comp_targetILNS1_3genE0ELNS1_11target_archE4294967295ELNS1_3gpuE0ELNS1_3repE0EEENS1_30default_config_static_selectorELNS0_4arch9wavefront6targetE1EEEvSY_,"axG",@progbits,_ZN7rocprim17ROCPRIM_400000_NS6detail17trampoline_kernelINS0_13select_configILj256ELj13ELNS0_17block_load_methodE3ELS4_3ELS4_3ELNS0_20block_scan_algorithmE0ELj4294967295EEENS1_25partition_config_selectorILNS1_17partition_subalgoE3EjNS0_10empty_typeEbEEZZNS1_14partition_implILS8_3ELb0ES6_jNS0_17counting_iteratorIjlEEPS9_SE_NS0_5tupleIJPjSE_EEENSF_IJSE_SE_EEES9_SG_JZNS1_25segmented_radix_sort_implINS0_14default_configELb0EPKfPfPKlPlN2at6native12_GLOBAL__N_18offset_tEEE10hipError_tPvRmT1_PNSt15iterator_traitsISY_E10value_typeET2_T3_PNSZ_IS14_E10value_typeET4_jRbjT5_S1A_jjP12ihipStream_tbEUljE_EEESV_SW_SX_S14_S18_S1A_T6_T7_T9_mT8_S1C_bDpT10_ENKUlT_T0_E_clISt17integral_constantIbLb0EES1O_IbLb1EEEEDaS1K_S1L_EUlS1K_E_NS1_11comp_targetILNS1_3genE0ELNS1_11target_archE4294967295ELNS1_3gpuE0ELNS1_3repE0EEENS1_30default_config_static_selectorELNS0_4arch9wavefront6targetE1EEEvSY_,comdat
.Lfunc_end1420:
	.size	_ZN7rocprim17ROCPRIM_400000_NS6detail17trampoline_kernelINS0_13select_configILj256ELj13ELNS0_17block_load_methodE3ELS4_3ELS4_3ELNS0_20block_scan_algorithmE0ELj4294967295EEENS1_25partition_config_selectorILNS1_17partition_subalgoE3EjNS0_10empty_typeEbEEZZNS1_14partition_implILS8_3ELb0ES6_jNS0_17counting_iteratorIjlEEPS9_SE_NS0_5tupleIJPjSE_EEENSF_IJSE_SE_EEES9_SG_JZNS1_25segmented_radix_sort_implINS0_14default_configELb0EPKfPfPKlPlN2at6native12_GLOBAL__N_18offset_tEEE10hipError_tPvRmT1_PNSt15iterator_traitsISY_E10value_typeET2_T3_PNSZ_IS14_E10value_typeET4_jRbjT5_S1A_jjP12ihipStream_tbEUljE_EEESV_SW_SX_S14_S18_S1A_T6_T7_T9_mT8_S1C_bDpT10_ENKUlT_T0_E_clISt17integral_constantIbLb0EES1O_IbLb1EEEEDaS1K_S1L_EUlS1K_E_NS1_11comp_targetILNS1_3genE0ELNS1_11target_archE4294967295ELNS1_3gpuE0ELNS1_3repE0EEENS1_30default_config_static_selectorELNS0_4arch9wavefront6targetE1EEEvSY_, .Lfunc_end1420-_ZN7rocprim17ROCPRIM_400000_NS6detail17trampoline_kernelINS0_13select_configILj256ELj13ELNS0_17block_load_methodE3ELS4_3ELS4_3ELNS0_20block_scan_algorithmE0ELj4294967295EEENS1_25partition_config_selectorILNS1_17partition_subalgoE3EjNS0_10empty_typeEbEEZZNS1_14partition_implILS8_3ELb0ES6_jNS0_17counting_iteratorIjlEEPS9_SE_NS0_5tupleIJPjSE_EEENSF_IJSE_SE_EEES9_SG_JZNS1_25segmented_radix_sort_implINS0_14default_configELb0EPKfPfPKlPlN2at6native12_GLOBAL__N_18offset_tEEE10hipError_tPvRmT1_PNSt15iterator_traitsISY_E10value_typeET2_T3_PNSZ_IS14_E10value_typeET4_jRbjT5_S1A_jjP12ihipStream_tbEUljE_EEESV_SW_SX_S14_S18_S1A_T6_T7_T9_mT8_S1C_bDpT10_ENKUlT_T0_E_clISt17integral_constantIbLb0EES1O_IbLb1EEEEDaS1K_S1L_EUlS1K_E_NS1_11comp_targetILNS1_3genE0ELNS1_11target_archE4294967295ELNS1_3gpuE0ELNS1_3repE0EEENS1_30default_config_static_selectorELNS0_4arch9wavefront6targetE1EEEvSY_
                                        ; -- End function
	.set _ZN7rocprim17ROCPRIM_400000_NS6detail17trampoline_kernelINS0_13select_configILj256ELj13ELNS0_17block_load_methodE3ELS4_3ELS4_3ELNS0_20block_scan_algorithmE0ELj4294967295EEENS1_25partition_config_selectorILNS1_17partition_subalgoE3EjNS0_10empty_typeEbEEZZNS1_14partition_implILS8_3ELb0ES6_jNS0_17counting_iteratorIjlEEPS9_SE_NS0_5tupleIJPjSE_EEENSF_IJSE_SE_EEES9_SG_JZNS1_25segmented_radix_sort_implINS0_14default_configELb0EPKfPfPKlPlN2at6native12_GLOBAL__N_18offset_tEEE10hipError_tPvRmT1_PNSt15iterator_traitsISY_E10value_typeET2_T3_PNSZ_IS14_E10value_typeET4_jRbjT5_S1A_jjP12ihipStream_tbEUljE_EEESV_SW_SX_S14_S18_S1A_T6_T7_T9_mT8_S1C_bDpT10_ENKUlT_T0_E_clISt17integral_constantIbLb0EES1O_IbLb1EEEEDaS1K_S1L_EUlS1K_E_NS1_11comp_targetILNS1_3genE0ELNS1_11target_archE4294967295ELNS1_3gpuE0ELNS1_3repE0EEENS1_30default_config_static_selectorELNS0_4arch9wavefront6targetE1EEEvSY_.num_vgpr, 0
	.set _ZN7rocprim17ROCPRIM_400000_NS6detail17trampoline_kernelINS0_13select_configILj256ELj13ELNS0_17block_load_methodE3ELS4_3ELS4_3ELNS0_20block_scan_algorithmE0ELj4294967295EEENS1_25partition_config_selectorILNS1_17partition_subalgoE3EjNS0_10empty_typeEbEEZZNS1_14partition_implILS8_3ELb0ES6_jNS0_17counting_iteratorIjlEEPS9_SE_NS0_5tupleIJPjSE_EEENSF_IJSE_SE_EEES9_SG_JZNS1_25segmented_radix_sort_implINS0_14default_configELb0EPKfPfPKlPlN2at6native12_GLOBAL__N_18offset_tEEE10hipError_tPvRmT1_PNSt15iterator_traitsISY_E10value_typeET2_T3_PNSZ_IS14_E10value_typeET4_jRbjT5_S1A_jjP12ihipStream_tbEUljE_EEESV_SW_SX_S14_S18_S1A_T6_T7_T9_mT8_S1C_bDpT10_ENKUlT_T0_E_clISt17integral_constantIbLb0EES1O_IbLb1EEEEDaS1K_S1L_EUlS1K_E_NS1_11comp_targetILNS1_3genE0ELNS1_11target_archE4294967295ELNS1_3gpuE0ELNS1_3repE0EEENS1_30default_config_static_selectorELNS0_4arch9wavefront6targetE1EEEvSY_.num_agpr, 0
	.set _ZN7rocprim17ROCPRIM_400000_NS6detail17trampoline_kernelINS0_13select_configILj256ELj13ELNS0_17block_load_methodE3ELS4_3ELS4_3ELNS0_20block_scan_algorithmE0ELj4294967295EEENS1_25partition_config_selectorILNS1_17partition_subalgoE3EjNS0_10empty_typeEbEEZZNS1_14partition_implILS8_3ELb0ES6_jNS0_17counting_iteratorIjlEEPS9_SE_NS0_5tupleIJPjSE_EEENSF_IJSE_SE_EEES9_SG_JZNS1_25segmented_radix_sort_implINS0_14default_configELb0EPKfPfPKlPlN2at6native12_GLOBAL__N_18offset_tEEE10hipError_tPvRmT1_PNSt15iterator_traitsISY_E10value_typeET2_T3_PNSZ_IS14_E10value_typeET4_jRbjT5_S1A_jjP12ihipStream_tbEUljE_EEESV_SW_SX_S14_S18_S1A_T6_T7_T9_mT8_S1C_bDpT10_ENKUlT_T0_E_clISt17integral_constantIbLb0EES1O_IbLb1EEEEDaS1K_S1L_EUlS1K_E_NS1_11comp_targetILNS1_3genE0ELNS1_11target_archE4294967295ELNS1_3gpuE0ELNS1_3repE0EEENS1_30default_config_static_selectorELNS0_4arch9wavefront6targetE1EEEvSY_.numbered_sgpr, 0
	.set _ZN7rocprim17ROCPRIM_400000_NS6detail17trampoline_kernelINS0_13select_configILj256ELj13ELNS0_17block_load_methodE3ELS4_3ELS4_3ELNS0_20block_scan_algorithmE0ELj4294967295EEENS1_25partition_config_selectorILNS1_17partition_subalgoE3EjNS0_10empty_typeEbEEZZNS1_14partition_implILS8_3ELb0ES6_jNS0_17counting_iteratorIjlEEPS9_SE_NS0_5tupleIJPjSE_EEENSF_IJSE_SE_EEES9_SG_JZNS1_25segmented_radix_sort_implINS0_14default_configELb0EPKfPfPKlPlN2at6native12_GLOBAL__N_18offset_tEEE10hipError_tPvRmT1_PNSt15iterator_traitsISY_E10value_typeET2_T3_PNSZ_IS14_E10value_typeET4_jRbjT5_S1A_jjP12ihipStream_tbEUljE_EEESV_SW_SX_S14_S18_S1A_T6_T7_T9_mT8_S1C_bDpT10_ENKUlT_T0_E_clISt17integral_constantIbLb0EES1O_IbLb1EEEEDaS1K_S1L_EUlS1K_E_NS1_11comp_targetILNS1_3genE0ELNS1_11target_archE4294967295ELNS1_3gpuE0ELNS1_3repE0EEENS1_30default_config_static_selectorELNS0_4arch9wavefront6targetE1EEEvSY_.num_named_barrier, 0
	.set _ZN7rocprim17ROCPRIM_400000_NS6detail17trampoline_kernelINS0_13select_configILj256ELj13ELNS0_17block_load_methodE3ELS4_3ELS4_3ELNS0_20block_scan_algorithmE0ELj4294967295EEENS1_25partition_config_selectorILNS1_17partition_subalgoE3EjNS0_10empty_typeEbEEZZNS1_14partition_implILS8_3ELb0ES6_jNS0_17counting_iteratorIjlEEPS9_SE_NS0_5tupleIJPjSE_EEENSF_IJSE_SE_EEES9_SG_JZNS1_25segmented_radix_sort_implINS0_14default_configELb0EPKfPfPKlPlN2at6native12_GLOBAL__N_18offset_tEEE10hipError_tPvRmT1_PNSt15iterator_traitsISY_E10value_typeET2_T3_PNSZ_IS14_E10value_typeET4_jRbjT5_S1A_jjP12ihipStream_tbEUljE_EEESV_SW_SX_S14_S18_S1A_T6_T7_T9_mT8_S1C_bDpT10_ENKUlT_T0_E_clISt17integral_constantIbLb0EES1O_IbLb1EEEEDaS1K_S1L_EUlS1K_E_NS1_11comp_targetILNS1_3genE0ELNS1_11target_archE4294967295ELNS1_3gpuE0ELNS1_3repE0EEENS1_30default_config_static_selectorELNS0_4arch9wavefront6targetE1EEEvSY_.private_seg_size, 0
	.set _ZN7rocprim17ROCPRIM_400000_NS6detail17trampoline_kernelINS0_13select_configILj256ELj13ELNS0_17block_load_methodE3ELS4_3ELS4_3ELNS0_20block_scan_algorithmE0ELj4294967295EEENS1_25partition_config_selectorILNS1_17partition_subalgoE3EjNS0_10empty_typeEbEEZZNS1_14partition_implILS8_3ELb0ES6_jNS0_17counting_iteratorIjlEEPS9_SE_NS0_5tupleIJPjSE_EEENSF_IJSE_SE_EEES9_SG_JZNS1_25segmented_radix_sort_implINS0_14default_configELb0EPKfPfPKlPlN2at6native12_GLOBAL__N_18offset_tEEE10hipError_tPvRmT1_PNSt15iterator_traitsISY_E10value_typeET2_T3_PNSZ_IS14_E10value_typeET4_jRbjT5_S1A_jjP12ihipStream_tbEUljE_EEESV_SW_SX_S14_S18_S1A_T6_T7_T9_mT8_S1C_bDpT10_ENKUlT_T0_E_clISt17integral_constantIbLb0EES1O_IbLb1EEEEDaS1K_S1L_EUlS1K_E_NS1_11comp_targetILNS1_3genE0ELNS1_11target_archE4294967295ELNS1_3gpuE0ELNS1_3repE0EEENS1_30default_config_static_selectorELNS0_4arch9wavefront6targetE1EEEvSY_.uses_vcc, 0
	.set _ZN7rocprim17ROCPRIM_400000_NS6detail17trampoline_kernelINS0_13select_configILj256ELj13ELNS0_17block_load_methodE3ELS4_3ELS4_3ELNS0_20block_scan_algorithmE0ELj4294967295EEENS1_25partition_config_selectorILNS1_17partition_subalgoE3EjNS0_10empty_typeEbEEZZNS1_14partition_implILS8_3ELb0ES6_jNS0_17counting_iteratorIjlEEPS9_SE_NS0_5tupleIJPjSE_EEENSF_IJSE_SE_EEES9_SG_JZNS1_25segmented_radix_sort_implINS0_14default_configELb0EPKfPfPKlPlN2at6native12_GLOBAL__N_18offset_tEEE10hipError_tPvRmT1_PNSt15iterator_traitsISY_E10value_typeET2_T3_PNSZ_IS14_E10value_typeET4_jRbjT5_S1A_jjP12ihipStream_tbEUljE_EEESV_SW_SX_S14_S18_S1A_T6_T7_T9_mT8_S1C_bDpT10_ENKUlT_T0_E_clISt17integral_constantIbLb0EES1O_IbLb1EEEEDaS1K_S1L_EUlS1K_E_NS1_11comp_targetILNS1_3genE0ELNS1_11target_archE4294967295ELNS1_3gpuE0ELNS1_3repE0EEENS1_30default_config_static_selectorELNS0_4arch9wavefront6targetE1EEEvSY_.uses_flat_scratch, 0
	.set _ZN7rocprim17ROCPRIM_400000_NS6detail17trampoline_kernelINS0_13select_configILj256ELj13ELNS0_17block_load_methodE3ELS4_3ELS4_3ELNS0_20block_scan_algorithmE0ELj4294967295EEENS1_25partition_config_selectorILNS1_17partition_subalgoE3EjNS0_10empty_typeEbEEZZNS1_14partition_implILS8_3ELb0ES6_jNS0_17counting_iteratorIjlEEPS9_SE_NS0_5tupleIJPjSE_EEENSF_IJSE_SE_EEES9_SG_JZNS1_25segmented_radix_sort_implINS0_14default_configELb0EPKfPfPKlPlN2at6native12_GLOBAL__N_18offset_tEEE10hipError_tPvRmT1_PNSt15iterator_traitsISY_E10value_typeET2_T3_PNSZ_IS14_E10value_typeET4_jRbjT5_S1A_jjP12ihipStream_tbEUljE_EEESV_SW_SX_S14_S18_S1A_T6_T7_T9_mT8_S1C_bDpT10_ENKUlT_T0_E_clISt17integral_constantIbLb0EES1O_IbLb1EEEEDaS1K_S1L_EUlS1K_E_NS1_11comp_targetILNS1_3genE0ELNS1_11target_archE4294967295ELNS1_3gpuE0ELNS1_3repE0EEENS1_30default_config_static_selectorELNS0_4arch9wavefront6targetE1EEEvSY_.has_dyn_sized_stack, 0
	.set _ZN7rocprim17ROCPRIM_400000_NS6detail17trampoline_kernelINS0_13select_configILj256ELj13ELNS0_17block_load_methodE3ELS4_3ELS4_3ELNS0_20block_scan_algorithmE0ELj4294967295EEENS1_25partition_config_selectorILNS1_17partition_subalgoE3EjNS0_10empty_typeEbEEZZNS1_14partition_implILS8_3ELb0ES6_jNS0_17counting_iteratorIjlEEPS9_SE_NS0_5tupleIJPjSE_EEENSF_IJSE_SE_EEES9_SG_JZNS1_25segmented_radix_sort_implINS0_14default_configELb0EPKfPfPKlPlN2at6native12_GLOBAL__N_18offset_tEEE10hipError_tPvRmT1_PNSt15iterator_traitsISY_E10value_typeET2_T3_PNSZ_IS14_E10value_typeET4_jRbjT5_S1A_jjP12ihipStream_tbEUljE_EEESV_SW_SX_S14_S18_S1A_T6_T7_T9_mT8_S1C_bDpT10_ENKUlT_T0_E_clISt17integral_constantIbLb0EES1O_IbLb1EEEEDaS1K_S1L_EUlS1K_E_NS1_11comp_targetILNS1_3genE0ELNS1_11target_archE4294967295ELNS1_3gpuE0ELNS1_3repE0EEENS1_30default_config_static_selectorELNS0_4arch9wavefront6targetE1EEEvSY_.has_recursion, 0
	.set _ZN7rocprim17ROCPRIM_400000_NS6detail17trampoline_kernelINS0_13select_configILj256ELj13ELNS0_17block_load_methodE3ELS4_3ELS4_3ELNS0_20block_scan_algorithmE0ELj4294967295EEENS1_25partition_config_selectorILNS1_17partition_subalgoE3EjNS0_10empty_typeEbEEZZNS1_14partition_implILS8_3ELb0ES6_jNS0_17counting_iteratorIjlEEPS9_SE_NS0_5tupleIJPjSE_EEENSF_IJSE_SE_EEES9_SG_JZNS1_25segmented_radix_sort_implINS0_14default_configELb0EPKfPfPKlPlN2at6native12_GLOBAL__N_18offset_tEEE10hipError_tPvRmT1_PNSt15iterator_traitsISY_E10value_typeET2_T3_PNSZ_IS14_E10value_typeET4_jRbjT5_S1A_jjP12ihipStream_tbEUljE_EEESV_SW_SX_S14_S18_S1A_T6_T7_T9_mT8_S1C_bDpT10_ENKUlT_T0_E_clISt17integral_constantIbLb0EES1O_IbLb1EEEEDaS1K_S1L_EUlS1K_E_NS1_11comp_targetILNS1_3genE0ELNS1_11target_archE4294967295ELNS1_3gpuE0ELNS1_3repE0EEENS1_30default_config_static_selectorELNS0_4arch9wavefront6targetE1EEEvSY_.has_indirect_call, 0
	.section	.AMDGPU.csdata,"",@progbits
; Kernel info:
; codeLenInByte = 0
; TotalNumSgprs: 4
; NumVgprs: 0
; ScratchSize: 0
; MemoryBound: 0
; FloatMode: 240
; IeeeMode: 1
; LDSByteSize: 0 bytes/workgroup (compile time only)
; SGPRBlocks: 0
; VGPRBlocks: 0
; NumSGPRsForWavesPerEU: 4
; NumVGPRsForWavesPerEU: 1
; Occupancy: 10
; WaveLimiterHint : 0
; COMPUTE_PGM_RSRC2:SCRATCH_EN: 0
; COMPUTE_PGM_RSRC2:USER_SGPR: 6
; COMPUTE_PGM_RSRC2:TRAP_HANDLER: 0
; COMPUTE_PGM_RSRC2:TGID_X_EN: 1
; COMPUTE_PGM_RSRC2:TGID_Y_EN: 0
; COMPUTE_PGM_RSRC2:TGID_Z_EN: 0
; COMPUTE_PGM_RSRC2:TIDIG_COMP_CNT: 0
	.section	.text._ZN7rocprim17ROCPRIM_400000_NS6detail17trampoline_kernelINS0_13select_configILj256ELj13ELNS0_17block_load_methodE3ELS4_3ELS4_3ELNS0_20block_scan_algorithmE0ELj4294967295EEENS1_25partition_config_selectorILNS1_17partition_subalgoE3EjNS0_10empty_typeEbEEZZNS1_14partition_implILS8_3ELb0ES6_jNS0_17counting_iteratorIjlEEPS9_SE_NS0_5tupleIJPjSE_EEENSF_IJSE_SE_EEES9_SG_JZNS1_25segmented_radix_sort_implINS0_14default_configELb0EPKfPfPKlPlN2at6native12_GLOBAL__N_18offset_tEEE10hipError_tPvRmT1_PNSt15iterator_traitsISY_E10value_typeET2_T3_PNSZ_IS14_E10value_typeET4_jRbjT5_S1A_jjP12ihipStream_tbEUljE_EEESV_SW_SX_S14_S18_S1A_T6_T7_T9_mT8_S1C_bDpT10_ENKUlT_T0_E_clISt17integral_constantIbLb0EES1O_IbLb1EEEEDaS1K_S1L_EUlS1K_E_NS1_11comp_targetILNS1_3genE5ELNS1_11target_archE942ELNS1_3gpuE9ELNS1_3repE0EEENS1_30default_config_static_selectorELNS0_4arch9wavefront6targetE1EEEvSY_,"axG",@progbits,_ZN7rocprim17ROCPRIM_400000_NS6detail17trampoline_kernelINS0_13select_configILj256ELj13ELNS0_17block_load_methodE3ELS4_3ELS4_3ELNS0_20block_scan_algorithmE0ELj4294967295EEENS1_25partition_config_selectorILNS1_17partition_subalgoE3EjNS0_10empty_typeEbEEZZNS1_14partition_implILS8_3ELb0ES6_jNS0_17counting_iteratorIjlEEPS9_SE_NS0_5tupleIJPjSE_EEENSF_IJSE_SE_EEES9_SG_JZNS1_25segmented_radix_sort_implINS0_14default_configELb0EPKfPfPKlPlN2at6native12_GLOBAL__N_18offset_tEEE10hipError_tPvRmT1_PNSt15iterator_traitsISY_E10value_typeET2_T3_PNSZ_IS14_E10value_typeET4_jRbjT5_S1A_jjP12ihipStream_tbEUljE_EEESV_SW_SX_S14_S18_S1A_T6_T7_T9_mT8_S1C_bDpT10_ENKUlT_T0_E_clISt17integral_constantIbLb0EES1O_IbLb1EEEEDaS1K_S1L_EUlS1K_E_NS1_11comp_targetILNS1_3genE5ELNS1_11target_archE942ELNS1_3gpuE9ELNS1_3repE0EEENS1_30default_config_static_selectorELNS0_4arch9wavefront6targetE1EEEvSY_,comdat
	.globl	_ZN7rocprim17ROCPRIM_400000_NS6detail17trampoline_kernelINS0_13select_configILj256ELj13ELNS0_17block_load_methodE3ELS4_3ELS4_3ELNS0_20block_scan_algorithmE0ELj4294967295EEENS1_25partition_config_selectorILNS1_17partition_subalgoE3EjNS0_10empty_typeEbEEZZNS1_14partition_implILS8_3ELb0ES6_jNS0_17counting_iteratorIjlEEPS9_SE_NS0_5tupleIJPjSE_EEENSF_IJSE_SE_EEES9_SG_JZNS1_25segmented_radix_sort_implINS0_14default_configELb0EPKfPfPKlPlN2at6native12_GLOBAL__N_18offset_tEEE10hipError_tPvRmT1_PNSt15iterator_traitsISY_E10value_typeET2_T3_PNSZ_IS14_E10value_typeET4_jRbjT5_S1A_jjP12ihipStream_tbEUljE_EEESV_SW_SX_S14_S18_S1A_T6_T7_T9_mT8_S1C_bDpT10_ENKUlT_T0_E_clISt17integral_constantIbLb0EES1O_IbLb1EEEEDaS1K_S1L_EUlS1K_E_NS1_11comp_targetILNS1_3genE5ELNS1_11target_archE942ELNS1_3gpuE9ELNS1_3repE0EEENS1_30default_config_static_selectorELNS0_4arch9wavefront6targetE1EEEvSY_ ; -- Begin function _ZN7rocprim17ROCPRIM_400000_NS6detail17trampoline_kernelINS0_13select_configILj256ELj13ELNS0_17block_load_methodE3ELS4_3ELS4_3ELNS0_20block_scan_algorithmE0ELj4294967295EEENS1_25partition_config_selectorILNS1_17partition_subalgoE3EjNS0_10empty_typeEbEEZZNS1_14partition_implILS8_3ELb0ES6_jNS0_17counting_iteratorIjlEEPS9_SE_NS0_5tupleIJPjSE_EEENSF_IJSE_SE_EEES9_SG_JZNS1_25segmented_radix_sort_implINS0_14default_configELb0EPKfPfPKlPlN2at6native12_GLOBAL__N_18offset_tEEE10hipError_tPvRmT1_PNSt15iterator_traitsISY_E10value_typeET2_T3_PNSZ_IS14_E10value_typeET4_jRbjT5_S1A_jjP12ihipStream_tbEUljE_EEESV_SW_SX_S14_S18_S1A_T6_T7_T9_mT8_S1C_bDpT10_ENKUlT_T0_E_clISt17integral_constantIbLb0EES1O_IbLb1EEEEDaS1K_S1L_EUlS1K_E_NS1_11comp_targetILNS1_3genE5ELNS1_11target_archE942ELNS1_3gpuE9ELNS1_3repE0EEENS1_30default_config_static_selectorELNS0_4arch9wavefront6targetE1EEEvSY_
	.p2align	8
	.type	_ZN7rocprim17ROCPRIM_400000_NS6detail17trampoline_kernelINS0_13select_configILj256ELj13ELNS0_17block_load_methodE3ELS4_3ELS4_3ELNS0_20block_scan_algorithmE0ELj4294967295EEENS1_25partition_config_selectorILNS1_17partition_subalgoE3EjNS0_10empty_typeEbEEZZNS1_14partition_implILS8_3ELb0ES6_jNS0_17counting_iteratorIjlEEPS9_SE_NS0_5tupleIJPjSE_EEENSF_IJSE_SE_EEES9_SG_JZNS1_25segmented_radix_sort_implINS0_14default_configELb0EPKfPfPKlPlN2at6native12_GLOBAL__N_18offset_tEEE10hipError_tPvRmT1_PNSt15iterator_traitsISY_E10value_typeET2_T3_PNSZ_IS14_E10value_typeET4_jRbjT5_S1A_jjP12ihipStream_tbEUljE_EEESV_SW_SX_S14_S18_S1A_T6_T7_T9_mT8_S1C_bDpT10_ENKUlT_T0_E_clISt17integral_constantIbLb0EES1O_IbLb1EEEEDaS1K_S1L_EUlS1K_E_NS1_11comp_targetILNS1_3genE5ELNS1_11target_archE942ELNS1_3gpuE9ELNS1_3repE0EEENS1_30default_config_static_selectorELNS0_4arch9wavefront6targetE1EEEvSY_,@function
_ZN7rocprim17ROCPRIM_400000_NS6detail17trampoline_kernelINS0_13select_configILj256ELj13ELNS0_17block_load_methodE3ELS4_3ELS4_3ELNS0_20block_scan_algorithmE0ELj4294967295EEENS1_25partition_config_selectorILNS1_17partition_subalgoE3EjNS0_10empty_typeEbEEZZNS1_14partition_implILS8_3ELb0ES6_jNS0_17counting_iteratorIjlEEPS9_SE_NS0_5tupleIJPjSE_EEENSF_IJSE_SE_EEES9_SG_JZNS1_25segmented_radix_sort_implINS0_14default_configELb0EPKfPfPKlPlN2at6native12_GLOBAL__N_18offset_tEEE10hipError_tPvRmT1_PNSt15iterator_traitsISY_E10value_typeET2_T3_PNSZ_IS14_E10value_typeET4_jRbjT5_S1A_jjP12ihipStream_tbEUljE_EEESV_SW_SX_S14_S18_S1A_T6_T7_T9_mT8_S1C_bDpT10_ENKUlT_T0_E_clISt17integral_constantIbLb0EES1O_IbLb1EEEEDaS1K_S1L_EUlS1K_E_NS1_11comp_targetILNS1_3genE5ELNS1_11target_archE942ELNS1_3gpuE9ELNS1_3repE0EEENS1_30default_config_static_selectorELNS0_4arch9wavefront6targetE1EEEvSY_: ; @_ZN7rocprim17ROCPRIM_400000_NS6detail17trampoline_kernelINS0_13select_configILj256ELj13ELNS0_17block_load_methodE3ELS4_3ELS4_3ELNS0_20block_scan_algorithmE0ELj4294967295EEENS1_25partition_config_selectorILNS1_17partition_subalgoE3EjNS0_10empty_typeEbEEZZNS1_14partition_implILS8_3ELb0ES6_jNS0_17counting_iteratorIjlEEPS9_SE_NS0_5tupleIJPjSE_EEENSF_IJSE_SE_EEES9_SG_JZNS1_25segmented_radix_sort_implINS0_14default_configELb0EPKfPfPKlPlN2at6native12_GLOBAL__N_18offset_tEEE10hipError_tPvRmT1_PNSt15iterator_traitsISY_E10value_typeET2_T3_PNSZ_IS14_E10value_typeET4_jRbjT5_S1A_jjP12ihipStream_tbEUljE_EEESV_SW_SX_S14_S18_S1A_T6_T7_T9_mT8_S1C_bDpT10_ENKUlT_T0_E_clISt17integral_constantIbLb0EES1O_IbLb1EEEEDaS1K_S1L_EUlS1K_E_NS1_11comp_targetILNS1_3genE5ELNS1_11target_archE942ELNS1_3gpuE9ELNS1_3repE0EEENS1_30default_config_static_selectorELNS0_4arch9wavefront6targetE1EEEvSY_
; %bb.0:
	.section	.rodata,"a",@progbits
	.p2align	6, 0x0
	.amdhsa_kernel _ZN7rocprim17ROCPRIM_400000_NS6detail17trampoline_kernelINS0_13select_configILj256ELj13ELNS0_17block_load_methodE3ELS4_3ELS4_3ELNS0_20block_scan_algorithmE0ELj4294967295EEENS1_25partition_config_selectorILNS1_17partition_subalgoE3EjNS0_10empty_typeEbEEZZNS1_14partition_implILS8_3ELb0ES6_jNS0_17counting_iteratorIjlEEPS9_SE_NS0_5tupleIJPjSE_EEENSF_IJSE_SE_EEES9_SG_JZNS1_25segmented_radix_sort_implINS0_14default_configELb0EPKfPfPKlPlN2at6native12_GLOBAL__N_18offset_tEEE10hipError_tPvRmT1_PNSt15iterator_traitsISY_E10value_typeET2_T3_PNSZ_IS14_E10value_typeET4_jRbjT5_S1A_jjP12ihipStream_tbEUljE_EEESV_SW_SX_S14_S18_S1A_T6_T7_T9_mT8_S1C_bDpT10_ENKUlT_T0_E_clISt17integral_constantIbLb0EES1O_IbLb1EEEEDaS1K_S1L_EUlS1K_E_NS1_11comp_targetILNS1_3genE5ELNS1_11target_archE942ELNS1_3gpuE9ELNS1_3repE0EEENS1_30default_config_static_selectorELNS0_4arch9wavefront6targetE1EEEvSY_
		.amdhsa_group_segment_fixed_size 0
		.amdhsa_private_segment_fixed_size 0
		.amdhsa_kernarg_size 152
		.amdhsa_user_sgpr_count 6
		.amdhsa_user_sgpr_private_segment_buffer 1
		.amdhsa_user_sgpr_dispatch_ptr 0
		.amdhsa_user_sgpr_queue_ptr 0
		.amdhsa_user_sgpr_kernarg_segment_ptr 1
		.amdhsa_user_sgpr_dispatch_id 0
		.amdhsa_user_sgpr_flat_scratch_init 0
		.amdhsa_user_sgpr_private_segment_size 0
		.amdhsa_uses_dynamic_stack 0
		.amdhsa_system_sgpr_private_segment_wavefront_offset 0
		.amdhsa_system_sgpr_workgroup_id_x 1
		.amdhsa_system_sgpr_workgroup_id_y 0
		.amdhsa_system_sgpr_workgroup_id_z 0
		.amdhsa_system_sgpr_workgroup_info 0
		.amdhsa_system_vgpr_workitem_id 0
		.amdhsa_next_free_vgpr 1
		.amdhsa_next_free_sgpr 0
		.amdhsa_reserve_vcc 0
		.amdhsa_reserve_flat_scratch 0
		.amdhsa_float_round_mode_32 0
		.amdhsa_float_round_mode_16_64 0
		.amdhsa_float_denorm_mode_32 3
		.amdhsa_float_denorm_mode_16_64 3
		.amdhsa_dx10_clamp 1
		.amdhsa_ieee_mode 1
		.amdhsa_fp16_overflow 0
		.amdhsa_exception_fp_ieee_invalid_op 0
		.amdhsa_exception_fp_denorm_src 0
		.amdhsa_exception_fp_ieee_div_zero 0
		.amdhsa_exception_fp_ieee_overflow 0
		.amdhsa_exception_fp_ieee_underflow 0
		.amdhsa_exception_fp_ieee_inexact 0
		.amdhsa_exception_int_div_zero 0
	.end_amdhsa_kernel
	.section	.text._ZN7rocprim17ROCPRIM_400000_NS6detail17trampoline_kernelINS0_13select_configILj256ELj13ELNS0_17block_load_methodE3ELS4_3ELS4_3ELNS0_20block_scan_algorithmE0ELj4294967295EEENS1_25partition_config_selectorILNS1_17partition_subalgoE3EjNS0_10empty_typeEbEEZZNS1_14partition_implILS8_3ELb0ES6_jNS0_17counting_iteratorIjlEEPS9_SE_NS0_5tupleIJPjSE_EEENSF_IJSE_SE_EEES9_SG_JZNS1_25segmented_radix_sort_implINS0_14default_configELb0EPKfPfPKlPlN2at6native12_GLOBAL__N_18offset_tEEE10hipError_tPvRmT1_PNSt15iterator_traitsISY_E10value_typeET2_T3_PNSZ_IS14_E10value_typeET4_jRbjT5_S1A_jjP12ihipStream_tbEUljE_EEESV_SW_SX_S14_S18_S1A_T6_T7_T9_mT8_S1C_bDpT10_ENKUlT_T0_E_clISt17integral_constantIbLb0EES1O_IbLb1EEEEDaS1K_S1L_EUlS1K_E_NS1_11comp_targetILNS1_3genE5ELNS1_11target_archE942ELNS1_3gpuE9ELNS1_3repE0EEENS1_30default_config_static_selectorELNS0_4arch9wavefront6targetE1EEEvSY_,"axG",@progbits,_ZN7rocprim17ROCPRIM_400000_NS6detail17trampoline_kernelINS0_13select_configILj256ELj13ELNS0_17block_load_methodE3ELS4_3ELS4_3ELNS0_20block_scan_algorithmE0ELj4294967295EEENS1_25partition_config_selectorILNS1_17partition_subalgoE3EjNS0_10empty_typeEbEEZZNS1_14partition_implILS8_3ELb0ES6_jNS0_17counting_iteratorIjlEEPS9_SE_NS0_5tupleIJPjSE_EEENSF_IJSE_SE_EEES9_SG_JZNS1_25segmented_radix_sort_implINS0_14default_configELb0EPKfPfPKlPlN2at6native12_GLOBAL__N_18offset_tEEE10hipError_tPvRmT1_PNSt15iterator_traitsISY_E10value_typeET2_T3_PNSZ_IS14_E10value_typeET4_jRbjT5_S1A_jjP12ihipStream_tbEUljE_EEESV_SW_SX_S14_S18_S1A_T6_T7_T9_mT8_S1C_bDpT10_ENKUlT_T0_E_clISt17integral_constantIbLb0EES1O_IbLb1EEEEDaS1K_S1L_EUlS1K_E_NS1_11comp_targetILNS1_3genE5ELNS1_11target_archE942ELNS1_3gpuE9ELNS1_3repE0EEENS1_30default_config_static_selectorELNS0_4arch9wavefront6targetE1EEEvSY_,comdat
.Lfunc_end1421:
	.size	_ZN7rocprim17ROCPRIM_400000_NS6detail17trampoline_kernelINS0_13select_configILj256ELj13ELNS0_17block_load_methodE3ELS4_3ELS4_3ELNS0_20block_scan_algorithmE0ELj4294967295EEENS1_25partition_config_selectorILNS1_17partition_subalgoE3EjNS0_10empty_typeEbEEZZNS1_14partition_implILS8_3ELb0ES6_jNS0_17counting_iteratorIjlEEPS9_SE_NS0_5tupleIJPjSE_EEENSF_IJSE_SE_EEES9_SG_JZNS1_25segmented_radix_sort_implINS0_14default_configELb0EPKfPfPKlPlN2at6native12_GLOBAL__N_18offset_tEEE10hipError_tPvRmT1_PNSt15iterator_traitsISY_E10value_typeET2_T3_PNSZ_IS14_E10value_typeET4_jRbjT5_S1A_jjP12ihipStream_tbEUljE_EEESV_SW_SX_S14_S18_S1A_T6_T7_T9_mT8_S1C_bDpT10_ENKUlT_T0_E_clISt17integral_constantIbLb0EES1O_IbLb1EEEEDaS1K_S1L_EUlS1K_E_NS1_11comp_targetILNS1_3genE5ELNS1_11target_archE942ELNS1_3gpuE9ELNS1_3repE0EEENS1_30default_config_static_selectorELNS0_4arch9wavefront6targetE1EEEvSY_, .Lfunc_end1421-_ZN7rocprim17ROCPRIM_400000_NS6detail17trampoline_kernelINS0_13select_configILj256ELj13ELNS0_17block_load_methodE3ELS4_3ELS4_3ELNS0_20block_scan_algorithmE0ELj4294967295EEENS1_25partition_config_selectorILNS1_17partition_subalgoE3EjNS0_10empty_typeEbEEZZNS1_14partition_implILS8_3ELb0ES6_jNS0_17counting_iteratorIjlEEPS9_SE_NS0_5tupleIJPjSE_EEENSF_IJSE_SE_EEES9_SG_JZNS1_25segmented_radix_sort_implINS0_14default_configELb0EPKfPfPKlPlN2at6native12_GLOBAL__N_18offset_tEEE10hipError_tPvRmT1_PNSt15iterator_traitsISY_E10value_typeET2_T3_PNSZ_IS14_E10value_typeET4_jRbjT5_S1A_jjP12ihipStream_tbEUljE_EEESV_SW_SX_S14_S18_S1A_T6_T7_T9_mT8_S1C_bDpT10_ENKUlT_T0_E_clISt17integral_constantIbLb0EES1O_IbLb1EEEEDaS1K_S1L_EUlS1K_E_NS1_11comp_targetILNS1_3genE5ELNS1_11target_archE942ELNS1_3gpuE9ELNS1_3repE0EEENS1_30default_config_static_selectorELNS0_4arch9wavefront6targetE1EEEvSY_
                                        ; -- End function
	.set _ZN7rocprim17ROCPRIM_400000_NS6detail17trampoline_kernelINS0_13select_configILj256ELj13ELNS0_17block_load_methodE3ELS4_3ELS4_3ELNS0_20block_scan_algorithmE0ELj4294967295EEENS1_25partition_config_selectorILNS1_17partition_subalgoE3EjNS0_10empty_typeEbEEZZNS1_14partition_implILS8_3ELb0ES6_jNS0_17counting_iteratorIjlEEPS9_SE_NS0_5tupleIJPjSE_EEENSF_IJSE_SE_EEES9_SG_JZNS1_25segmented_radix_sort_implINS0_14default_configELb0EPKfPfPKlPlN2at6native12_GLOBAL__N_18offset_tEEE10hipError_tPvRmT1_PNSt15iterator_traitsISY_E10value_typeET2_T3_PNSZ_IS14_E10value_typeET4_jRbjT5_S1A_jjP12ihipStream_tbEUljE_EEESV_SW_SX_S14_S18_S1A_T6_T7_T9_mT8_S1C_bDpT10_ENKUlT_T0_E_clISt17integral_constantIbLb0EES1O_IbLb1EEEEDaS1K_S1L_EUlS1K_E_NS1_11comp_targetILNS1_3genE5ELNS1_11target_archE942ELNS1_3gpuE9ELNS1_3repE0EEENS1_30default_config_static_selectorELNS0_4arch9wavefront6targetE1EEEvSY_.num_vgpr, 0
	.set _ZN7rocprim17ROCPRIM_400000_NS6detail17trampoline_kernelINS0_13select_configILj256ELj13ELNS0_17block_load_methodE3ELS4_3ELS4_3ELNS0_20block_scan_algorithmE0ELj4294967295EEENS1_25partition_config_selectorILNS1_17partition_subalgoE3EjNS0_10empty_typeEbEEZZNS1_14partition_implILS8_3ELb0ES6_jNS0_17counting_iteratorIjlEEPS9_SE_NS0_5tupleIJPjSE_EEENSF_IJSE_SE_EEES9_SG_JZNS1_25segmented_radix_sort_implINS0_14default_configELb0EPKfPfPKlPlN2at6native12_GLOBAL__N_18offset_tEEE10hipError_tPvRmT1_PNSt15iterator_traitsISY_E10value_typeET2_T3_PNSZ_IS14_E10value_typeET4_jRbjT5_S1A_jjP12ihipStream_tbEUljE_EEESV_SW_SX_S14_S18_S1A_T6_T7_T9_mT8_S1C_bDpT10_ENKUlT_T0_E_clISt17integral_constantIbLb0EES1O_IbLb1EEEEDaS1K_S1L_EUlS1K_E_NS1_11comp_targetILNS1_3genE5ELNS1_11target_archE942ELNS1_3gpuE9ELNS1_3repE0EEENS1_30default_config_static_selectorELNS0_4arch9wavefront6targetE1EEEvSY_.num_agpr, 0
	.set _ZN7rocprim17ROCPRIM_400000_NS6detail17trampoline_kernelINS0_13select_configILj256ELj13ELNS0_17block_load_methodE3ELS4_3ELS4_3ELNS0_20block_scan_algorithmE0ELj4294967295EEENS1_25partition_config_selectorILNS1_17partition_subalgoE3EjNS0_10empty_typeEbEEZZNS1_14partition_implILS8_3ELb0ES6_jNS0_17counting_iteratorIjlEEPS9_SE_NS0_5tupleIJPjSE_EEENSF_IJSE_SE_EEES9_SG_JZNS1_25segmented_radix_sort_implINS0_14default_configELb0EPKfPfPKlPlN2at6native12_GLOBAL__N_18offset_tEEE10hipError_tPvRmT1_PNSt15iterator_traitsISY_E10value_typeET2_T3_PNSZ_IS14_E10value_typeET4_jRbjT5_S1A_jjP12ihipStream_tbEUljE_EEESV_SW_SX_S14_S18_S1A_T6_T7_T9_mT8_S1C_bDpT10_ENKUlT_T0_E_clISt17integral_constantIbLb0EES1O_IbLb1EEEEDaS1K_S1L_EUlS1K_E_NS1_11comp_targetILNS1_3genE5ELNS1_11target_archE942ELNS1_3gpuE9ELNS1_3repE0EEENS1_30default_config_static_selectorELNS0_4arch9wavefront6targetE1EEEvSY_.numbered_sgpr, 0
	.set _ZN7rocprim17ROCPRIM_400000_NS6detail17trampoline_kernelINS0_13select_configILj256ELj13ELNS0_17block_load_methodE3ELS4_3ELS4_3ELNS0_20block_scan_algorithmE0ELj4294967295EEENS1_25partition_config_selectorILNS1_17partition_subalgoE3EjNS0_10empty_typeEbEEZZNS1_14partition_implILS8_3ELb0ES6_jNS0_17counting_iteratorIjlEEPS9_SE_NS0_5tupleIJPjSE_EEENSF_IJSE_SE_EEES9_SG_JZNS1_25segmented_radix_sort_implINS0_14default_configELb0EPKfPfPKlPlN2at6native12_GLOBAL__N_18offset_tEEE10hipError_tPvRmT1_PNSt15iterator_traitsISY_E10value_typeET2_T3_PNSZ_IS14_E10value_typeET4_jRbjT5_S1A_jjP12ihipStream_tbEUljE_EEESV_SW_SX_S14_S18_S1A_T6_T7_T9_mT8_S1C_bDpT10_ENKUlT_T0_E_clISt17integral_constantIbLb0EES1O_IbLb1EEEEDaS1K_S1L_EUlS1K_E_NS1_11comp_targetILNS1_3genE5ELNS1_11target_archE942ELNS1_3gpuE9ELNS1_3repE0EEENS1_30default_config_static_selectorELNS0_4arch9wavefront6targetE1EEEvSY_.num_named_barrier, 0
	.set _ZN7rocprim17ROCPRIM_400000_NS6detail17trampoline_kernelINS0_13select_configILj256ELj13ELNS0_17block_load_methodE3ELS4_3ELS4_3ELNS0_20block_scan_algorithmE0ELj4294967295EEENS1_25partition_config_selectorILNS1_17partition_subalgoE3EjNS0_10empty_typeEbEEZZNS1_14partition_implILS8_3ELb0ES6_jNS0_17counting_iteratorIjlEEPS9_SE_NS0_5tupleIJPjSE_EEENSF_IJSE_SE_EEES9_SG_JZNS1_25segmented_radix_sort_implINS0_14default_configELb0EPKfPfPKlPlN2at6native12_GLOBAL__N_18offset_tEEE10hipError_tPvRmT1_PNSt15iterator_traitsISY_E10value_typeET2_T3_PNSZ_IS14_E10value_typeET4_jRbjT5_S1A_jjP12ihipStream_tbEUljE_EEESV_SW_SX_S14_S18_S1A_T6_T7_T9_mT8_S1C_bDpT10_ENKUlT_T0_E_clISt17integral_constantIbLb0EES1O_IbLb1EEEEDaS1K_S1L_EUlS1K_E_NS1_11comp_targetILNS1_3genE5ELNS1_11target_archE942ELNS1_3gpuE9ELNS1_3repE0EEENS1_30default_config_static_selectorELNS0_4arch9wavefront6targetE1EEEvSY_.private_seg_size, 0
	.set _ZN7rocprim17ROCPRIM_400000_NS6detail17trampoline_kernelINS0_13select_configILj256ELj13ELNS0_17block_load_methodE3ELS4_3ELS4_3ELNS0_20block_scan_algorithmE0ELj4294967295EEENS1_25partition_config_selectorILNS1_17partition_subalgoE3EjNS0_10empty_typeEbEEZZNS1_14partition_implILS8_3ELb0ES6_jNS0_17counting_iteratorIjlEEPS9_SE_NS0_5tupleIJPjSE_EEENSF_IJSE_SE_EEES9_SG_JZNS1_25segmented_radix_sort_implINS0_14default_configELb0EPKfPfPKlPlN2at6native12_GLOBAL__N_18offset_tEEE10hipError_tPvRmT1_PNSt15iterator_traitsISY_E10value_typeET2_T3_PNSZ_IS14_E10value_typeET4_jRbjT5_S1A_jjP12ihipStream_tbEUljE_EEESV_SW_SX_S14_S18_S1A_T6_T7_T9_mT8_S1C_bDpT10_ENKUlT_T0_E_clISt17integral_constantIbLb0EES1O_IbLb1EEEEDaS1K_S1L_EUlS1K_E_NS1_11comp_targetILNS1_3genE5ELNS1_11target_archE942ELNS1_3gpuE9ELNS1_3repE0EEENS1_30default_config_static_selectorELNS0_4arch9wavefront6targetE1EEEvSY_.uses_vcc, 0
	.set _ZN7rocprim17ROCPRIM_400000_NS6detail17trampoline_kernelINS0_13select_configILj256ELj13ELNS0_17block_load_methodE3ELS4_3ELS4_3ELNS0_20block_scan_algorithmE0ELj4294967295EEENS1_25partition_config_selectorILNS1_17partition_subalgoE3EjNS0_10empty_typeEbEEZZNS1_14partition_implILS8_3ELb0ES6_jNS0_17counting_iteratorIjlEEPS9_SE_NS0_5tupleIJPjSE_EEENSF_IJSE_SE_EEES9_SG_JZNS1_25segmented_radix_sort_implINS0_14default_configELb0EPKfPfPKlPlN2at6native12_GLOBAL__N_18offset_tEEE10hipError_tPvRmT1_PNSt15iterator_traitsISY_E10value_typeET2_T3_PNSZ_IS14_E10value_typeET4_jRbjT5_S1A_jjP12ihipStream_tbEUljE_EEESV_SW_SX_S14_S18_S1A_T6_T7_T9_mT8_S1C_bDpT10_ENKUlT_T0_E_clISt17integral_constantIbLb0EES1O_IbLb1EEEEDaS1K_S1L_EUlS1K_E_NS1_11comp_targetILNS1_3genE5ELNS1_11target_archE942ELNS1_3gpuE9ELNS1_3repE0EEENS1_30default_config_static_selectorELNS0_4arch9wavefront6targetE1EEEvSY_.uses_flat_scratch, 0
	.set _ZN7rocprim17ROCPRIM_400000_NS6detail17trampoline_kernelINS0_13select_configILj256ELj13ELNS0_17block_load_methodE3ELS4_3ELS4_3ELNS0_20block_scan_algorithmE0ELj4294967295EEENS1_25partition_config_selectorILNS1_17partition_subalgoE3EjNS0_10empty_typeEbEEZZNS1_14partition_implILS8_3ELb0ES6_jNS0_17counting_iteratorIjlEEPS9_SE_NS0_5tupleIJPjSE_EEENSF_IJSE_SE_EEES9_SG_JZNS1_25segmented_radix_sort_implINS0_14default_configELb0EPKfPfPKlPlN2at6native12_GLOBAL__N_18offset_tEEE10hipError_tPvRmT1_PNSt15iterator_traitsISY_E10value_typeET2_T3_PNSZ_IS14_E10value_typeET4_jRbjT5_S1A_jjP12ihipStream_tbEUljE_EEESV_SW_SX_S14_S18_S1A_T6_T7_T9_mT8_S1C_bDpT10_ENKUlT_T0_E_clISt17integral_constantIbLb0EES1O_IbLb1EEEEDaS1K_S1L_EUlS1K_E_NS1_11comp_targetILNS1_3genE5ELNS1_11target_archE942ELNS1_3gpuE9ELNS1_3repE0EEENS1_30default_config_static_selectorELNS0_4arch9wavefront6targetE1EEEvSY_.has_dyn_sized_stack, 0
	.set _ZN7rocprim17ROCPRIM_400000_NS6detail17trampoline_kernelINS0_13select_configILj256ELj13ELNS0_17block_load_methodE3ELS4_3ELS4_3ELNS0_20block_scan_algorithmE0ELj4294967295EEENS1_25partition_config_selectorILNS1_17partition_subalgoE3EjNS0_10empty_typeEbEEZZNS1_14partition_implILS8_3ELb0ES6_jNS0_17counting_iteratorIjlEEPS9_SE_NS0_5tupleIJPjSE_EEENSF_IJSE_SE_EEES9_SG_JZNS1_25segmented_radix_sort_implINS0_14default_configELb0EPKfPfPKlPlN2at6native12_GLOBAL__N_18offset_tEEE10hipError_tPvRmT1_PNSt15iterator_traitsISY_E10value_typeET2_T3_PNSZ_IS14_E10value_typeET4_jRbjT5_S1A_jjP12ihipStream_tbEUljE_EEESV_SW_SX_S14_S18_S1A_T6_T7_T9_mT8_S1C_bDpT10_ENKUlT_T0_E_clISt17integral_constantIbLb0EES1O_IbLb1EEEEDaS1K_S1L_EUlS1K_E_NS1_11comp_targetILNS1_3genE5ELNS1_11target_archE942ELNS1_3gpuE9ELNS1_3repE0EEENS1_30default_config_static_selectorELNS0_4arch9wavefront6targetE1EEEvSY_.has_recursion, 0
	.set _ZN7rocprim17ROCPRIM_400000_NS6detail17trampoline_kernelINS0_13select_configILj256ELj13ELNS0_17block_load_methodE3ELS4_3ELS4_3ELNS0_20block_scan_algorithmE0ELj4294967295EEENS1_25partition_config_selectorILNS1_17partition_subalgoE3EjNS0_10empty_typeEbEEZZNS1_14partition_implILS8_3ELb0ES6_jNS0_17counting_iteratorIjlEEPS9_SE_NS0_5tupleIJPjSE_EEENSF_IJSE_SE_EEES9_SG_JZNS1_25segmented_radix_sort_implINS0_14default_configELb0EPKfPfPKlPlN2at6native12_GLOBAL__N_18offset_tEEE10hipError_tPvRmT1_PNSt15iterator_traitsISY_E10value_typeET2_T3_PNSZ_IS14_E10value_typeET4_jRbjT5_S1A_jjP12ihipStream_tbEUljE_EEESV_SW_SX_S14_S18_S1A_T6_T7_T9_mT8_S1C_bDpT10_ENKUlT_T0_E_clISt17integral_constantIbLb0EES1O_IbLb1EEEEDaS1K_S1L_EUlS1K_E_NS1_11comp_targetILNS1_3genE5ELNS1_11target_archE942ELNS1_3gpuE9ELNS1_3repE0EEENS1_30default_config_static_selectorELNS0_4arch9wavefront6targetE1EEEvSY_.has_indirect_call, 0
	.section	.AMDGPU.csdata,"",@progbits
; Kernel info:
; codeLenInByte = 0
; TotalNumSgprs: 4
; NumVgprs: 0
; ScratchSize: 0
; MemoryBound: 0
; FloatMode: 240
; IeeeMode: 1
; LDSByteSize: 0 bytes/workgroup (compile time only)
; SGPRBlocks: 0
; VGPRBlocks: 0
; NumSGPRsForWavesPerEU: 4
; NumVGPRsForWavesPerEU: 1
; Occupancy: 10
; WaveLimiterHint : 0
; COMPUTE_PGM_RSRC2:SCRATCH_EN: 0
; COMPUTE_PGM_RSRC2:USER_SGPR: 6
; COMPUTE_PGM_RSRC2:TRAP_HANDLER: 0
; COMPUTE_PGM_RSRC2:TGID_X_EN: 1
; COMPUTE_PGM_RSRC2:TGID_Y_EN: 0
; COMPUTE_PGM_RSRC2:TGID_Z_EN: 0
; COMPUTE_PGM_RSRC2:TIDIG_COMP_CNT: 0
	.section	.text._ZN7rocprim17ROCPRIM_400000_NS6detail17trampoline_kernelINS0_13select_configILj256ELj13ELNS0_17block_load_methodE3ELS4_3ELS4_3ELNS0_20block_scan_algorithmE0ELj4294967295EEENS1_25partition_config_selectorILNS1_17partition_subalgoE3EjNS0_10empty_typeEbEEZZNS1_14partition_implILS8_3ELb0ES6_jNS0_17counting_iteratorIjlEEPS9_SE_NS0_5tupleIJPjSE_EEENSF_IJSE_SE_EEES9_SG_JZNS1_25segmented_radix_sort_implINS0_14default_configELb0EPKfPfPKlPlN2at6native12_GLOBAL__N_18offset_tEEE10hipError_tPvRmT1_PNSt15iterator_traitsISY_E10value_typeET2_T3_PNSZ_IS14_E10value_typeET4_jRbjT5_S1A_jjP12ihipStream_tbEUljE_EEESV_SW_SX_S14_S18_S1A_T6_T7_T9_mT8_S1C_bDpT10_ENKUlT_T0_E_clISt17integral_constantIbLb0EES1O_IbLb1EEEEDaS1K_S1L_EUlS1K_E_NS1_11comp_targetILNS1_3genE4ELNS1_11target_archE910ELNS1_3gpuE8ELNS1_3repE0EEENS1_30default_config_static_selectorELNS0_4arch9wavefront6targetE1EEEvSY_,"axG",@progbits,_ZN7rocprim17ROCPRIM_400000_NS6detail17trampoline_kernelINS0_13select_configILj256ELj13ELNS0_17block_load_methodE3ELS4_3ELS4_3ELNS0_20block_scan_algorithmE0ELj4294967295EEENS1_25partition_config_selectorILNS1_17partition_subalgoE3EjNS0_10empty_typeEbEEZZNS1_14partition_implILS8_3ELb0ES6_jNS0_17counting_iteratorIjlEEPS9_SE_NS0_5tupleIJPjSE_EEENSF_IJSE_SE_EEES9_SG_JZNS1_25segmented_radix_sort_implINS0_14default_configELb0EPKfPfPKlPlN2at6native12_GLOBAL__N_18offset_tEEE10hipError_tPvRmT1_PNSt15iterator_traitsISY_E10value_typeET2_T3_PNSZ_IS14_E10value_typeET4_jRbjT5_S1A_jjP12ihipStream_tbEUljE_EEESV_SW_SX_S14_S18_S1A_T6_T7_T9_mT8_S1C_bDpT10_ENKUlT_T0_E_clISt17integral_constantIbLb0EES1O_IbLb1EEEEDaS1K_S1L_EUlS1K_E_NS1_11comp_targetILNS1_3genE4ELNS1_11target_archE910ELNS1_3gpuE8ELNS1_3repE0EEENS1_30default_config_static_selectorELNS0_4arch9wavefront6targetE1EEEvSY_,comdat
	.globl	_ZN7rocprim17ROCPRIM_400000_NS6detail17trampoline_kernelINS0_13select_configILj256ELj13ELNS0_17block_load_methodE3ELS4_3ELS4_3ELNS0_20block_scan_algorithmE0ELj4294967295EEENS1_25partition_config_selectorILNS1_17partition_subalgoE3EjNS0_10empty_typeEbEEZZNS1_14partition_implILS8_3ELb0ES6_jNS0_17counting_iteratorIjlEEPS9_SE_NS0_5tupleIJPjSE_EEENSF_IJSE_SE_EEES9_SG_JZNS1_25segmented_radix_sort_implINS0_14default_configELb0EPKfPfPKlPlN2at6native12_GLOBAL__N_18offset_tEEE10hipError_tPvRmT1_PNSt15iterator_traitsISY_E10value_typeET2_T3_PNSZ_IS14_E10value_typeET4_jRbjT5_S1A_jjP12ihipStream_tbEUljE_EEESV_SW_SX_S14_S18_S1A_T6_T7_T9_mT8_S1C_bDpT10_ENKUlT_T0_E_clISt17integral_constantIbLb0EES1O_IbLb1EEEEDaS1K_S1L_EUlS1K_E_NS1_11comp_targetILNS1_3genE4ELNS1_11target_archE910ELNS1_3gpuE8ELNS1_3repE0EEENS1_30default_config_static_selectorELNS0_4arch9wavefront6targetE1EEEvSY_ ; -- Begin function _ZN7rocprim17ROCPRIM_400000_NS6detail17trampoline_kernelINS0_13select_configILj256ELj13ELNS0_17block_load_methodE3ELS4_3ELS4_3ELNS0_20block_scan_algorithmE0ELj4294967295EEENS1_25partition_config_selectorILNS1_17partition_subalgoE3EjNS0_10empty_typeEbEEZZNS1_14partition_implILS8_3ELb0ES6_jNS0_17counting_iteratorIjlEEPS9_SE_NS0_5tupleIJPjSE_EEENSF_IJSE_SE_EEES9_SG_JZNS1_25segmented_radix_sort_implINS0_14default_configELb0EPKfPfPKlPlN2at6native12_GLOBAL__N_18offset_tEEE10hipError_tPvRmT1_PNSt15iterator_traitsISY_E10value_typeET2_T3_PNSZ_IS14_E10value_typeET4_jRbjT5_S1A_jjP12ihipStream_tbEUljE_EEESV_SW_SX_S14_S18_S1A_T6_T7_T9_mT8_S1C_bDpT10_ENKUlT_T0_E_clISt17integral_constantIbLb0EES1O_IbLb1EEEEDaS1K_S1L_EUlS1K_E_NS1_11comp_targetILNS1_3genE4ELNS1_11target_archE910ELNS1_3gpuE8ELNS1_3repE0EEENS1_30default_config_static_selectorELNS0_4arch9wavefront6targetE1EEEvSY_
	.p2align	8
	.type	_ZN7rocprim17ROCPRIM_400000_NS6detail17trampoline_kernelINS0_13select_configILj256ELj13ELNS0_17block_load_methodE3ELS4_3ELS4_3ELNS0_20block_scan_algorithmE0ELj4294967295EEENS1_25partition_config_selectorILNS1_17partition_subalgoE3EjNS0_10empty_typeEbEEZZNS1_14partition_implILS8_3ELb0ES6_jNS0_17counting_iteratorIjlEEPS9_SE_NS0_5tupleIJPjSE_EEENSF_IJSE_SE_EEES9_SG_JZNS1_25segmented_radix_sort_implINS0_14default_configELb0EPKfPfPKlPlN2at6native12_GLOBAL__N_18offset_tEEE10hipError_tPvRmT1_PNSt15iterator_traitsISY_E10value_typeET2_T3_PNSZ_IS14_E10value_typeET4_jRbjT5_S1A_jjP12ihipStream_tbEUljE_EEESV_SW_SX_S14_S18_S1A_T6_T7_T9_mT8_S1C_bDpT10_ENKUlT_T0_E_clISt17integral_constantIbLb0EES1O_IbLb1EEEEDaS1K_S1L_EUlS1K_E_NS1_11comp_targetILNS1_3genE4ELNS1_11target_archE910ELNS1_3gpuE8ELNS1_3repE0EEENS1_30default_config_static_selectorELNS0_4arch9wavefront6targetE1EEEvSY_,@function
_ZN7rocprim17ROCPRIM_400000_NS6detail17trampoline_kernelINS0_13select_configILj256ELj13ELNS0_17block_load_methodE3ELS4_3ELS4_3ELNS0_20block_scan_algorithmE0ELj4294967295EEENS1_25partition_config_selectorILNS1_17partition_subalgoE3EjNS0_10empty_typeEbEEZZNS1_14partition_implILS8_3ELb0ES6_jNS0_17counting_iteratorIjlEEPS9_SE_NS0_5tupleIJPjSE_EEENSF_IJSE_SE_EEES9_SG_JZNS1_25segmented_radix_sort_implINS0_14default_configELb0EPKfPfPKlPlN2at6native12_GLOBAL__N_18offset_tEEE10hipError_tPvRmT1_PNSt15iterator_traitsISY_E10value_typeET2_T3_PNSZ_IS14_E10value_typeET4_jRbjT5_S1A_jjP12ihipStream_tbEUljE_EEESV_SW_SX_S14_S18_S1A_T6_T7_T9_mT8_S1C_bDpT10_ENKUlT_T0_E_clISt17integral_constantIbLb0EES1O_IbLb1EEEEDaS1K_S1L_EUlS1K_E_NS1_11comp_targetILNS1_3genE4ELNS1_11target_archE910ELNS1_3gpuE8ELNS1_3repE0EEENS1_30default_config_static_selectorELNS0_4arch9wavefront6targetE1EEEvSY_: ; @_ZN7rocprim17ROCPRIM_400000_NS6detail17trampoline_kernelINS0_13select_configILj256ELj13ELNS0_17block_load_methodE3ELS4_3ELS4_3ELNS0_20block_scan_algorithmE0ELj4294967295EEENS1_25partition_config_selectorILNS1_17partition_subalgoE3EjNS0_10empty_typeEbEEZZNS1_14partition_implILS8_3ELb0ES6_jNS0_17counting_iteratorIjlEEPS9_SE_NS0_5tupleIJPjSE_EEENSF_IJSE_SE_EEES9_SG_JZNS1_25segmented_radix_sort_implINS0_14default_configELb0EPKfPfPKlPlN2at6native12_GLOBAL__N_18offset_tEEE10hipError_tPvRmT1_PNSt15iterator_traitsISY_E10value_typeET2_T3_PNSZ_IS14_E10value_typeET4_jRbjT5_S1A_jjP12ihipStream_tbEUljE_EEESV_SW_SX_S14_S18_S1A_T6_T7_T9_mT8_S1C_bDpT10_ENKUlT_T0_E_clISt17integral_constantIbLb0EES1O_IbLb1EEEEDaS1K_S1L_EUlS1K_E_NS1_11comp_targetILNS1_3genE4ELNS1_11target_archE910ELNS1_3gpuE8ELNS1_3repE0EEENS1_30default_config_static_selectorELNS0_4arch9wavefront6targetE1EEEvSY_
; %bb.0:
	.section	.rodata,"a",@progbits
	.p2align	6, 0x0
	.amdhsa_kernel _ZN7rocprim17ROCPRIM_400000_NS6detail17trampoline_kernelINS0_13select_configILj256ELj13ELNS0_17block_load_methodE3ELS4_3ELS4_3ELNS0_20block_scan_algorithmE0ELj4294967295EEENS1_25partition_config_selectorILNS1_17partition_subalgoE3EjNS0_10empty_typeEbEEZZNS1_14partition_implILS8_3ELb0ES6_jNS0_17counting_iteratorIjlEEPS9_SE_NS0_5tupleIJPjSE_EEENSF_IJSE_SE_EEES9_SG_JZNS1_25segmented_radix_sort_implINS0_14default_configELb0EPKfPfPKlPlN2at6native12_GLOBAL__N_18offset_tEEE10hipError_tPvRmT1_PNSt15iterator_traitsISY_E10value_typeET2_T3_PNSZ_IS14_E10value_typeET4_jRbjT5_S1A_jjP12ihipStream_tbEUljE_EEESV_SW_SX_S14_S18_S1A_T6_T7_T9_mT8_S1C_bDpT10_ENKUlT_T0_E_clISt17integral_constantIbLb0EES1O_IbLb1EEEEDaS1K_S1L_EUlS1K_E_NS1_11comp_targetILNS1_3genE4ELNS1_11target_archE910ELNS1_3gpuE8ELNS1_3repE0EEENS1_30default_config_static_selectorELNS0_4arch9wavefront6targetE1EEEvSY_
		.amdhsa_group_segment_fixed_size 0
		.amdhsa_private_segment_fixed_size 0
		.amdhsa_kernarg_size 152
		.amdhsa_user_sgpr_count 6
		.amdhsa_user_sgpr_private_segment_buffer 1
		.amdhsa_user_sgpr_dispatch_ptr 0
		.amdhsa_user_sgpr_queue_ptr 0
		.amdhsa_user_sgpr_kernarg_segment_ptr 1
		.amdhsa_user_sgpr_dispatch_id 0
		.amdhsa_user_sgpr_flat_scratch_init 0
		.amdhsa_user_sgpr_private_segment_size 0
		.amdhsa_uses_dynamic_stack 0
		.amdhsa_system_sgpr_private_segment_wavefront_offset 0
		.amdhsa_system_sgpr_workgroup_id_x 1
		.amdhsa_system_sgpr_workgroup_id_y 0
		.amdhsa_system_sgpr_workgroup_id_z 0
		.amdhsa_system_sgpr_workgroup_info 0
		.amdhsa_system_vgpr_workitem_id 0
		.amdhsa_next_free_vgpr 1
		.amdhsa_next_free_sgpr 0
		.amdhsa_reserve_vcc 0
		.amdhsa_reserve_flat_scratch 0
		.amdhsa_float_round_mode_32 0
		.amdhsa_float_round_mode_16_64 0
		.amdhsa_float_denorm_mode_32 3
		.amdhsa_float_denorm_mode_16_64 3
		.amdhsa_dx10_clamp 1
		.amdhsa_ieee_mode 1
		.amdhsa_fp16_overflow 0
		.amdhsa_exception_fp_ieee_invalid_op 0
		.amdhsa_exception_fp_denorm_src 0
		.amdhsa_exception_fp_ieee_div_zero 0
		.amdhsa_exception_fp_ieee_overflow 0
		.amdhsa_exception_fp_ieee_underflow 0
		.amdhsa_exception_fp_ieee_inexact 0
		.amdhsa_exception_int_div_zero 0
	.end_amdhsa_kernel
	.section	.text._ZN7rocprim17ROCPRIM_400000_NS6detail17trampoline_kernelINS0_13select_configILj256ELj13ELNS0_17block_load_methodE3ELS4_3ELS4_3ELNS0_20block_scan_algorithmE0ELj4294967295EEENS1_25partition_config_selectorILNS1_17partition_subalgoE3EjNS0_10empty_typeEbEEZZNS1_14partition_implILS8_3ELb0ES6_jNS0_17counting_iteratorIjlEEPS9_SE_NS0_5tupleIJPjSE_EEENSF_IJSE_SE_EEES9_SG_JZNS1_25segmented_radix_sort_implINS0_14default_configELb0EPKfPfPKlPlN2at6native12_GLOBAL__N_18offset_tEEE10hipError_tPvRmT1_PNSt15iterator_traitsISY_E10value_typeET2_T3_PNSZ_IS14_E10value_typeET4_jRbjT5_S1A_jjP12ihipStream_tbEUljE_EEESV_SW_SX_S14_S18_S1A_T6_T7_T9_mT8_S1C_bDpT10_ENKUlT_T0_E_clISt17integral_constantIbLb0EES1O_IbLb1EEEEDaS1K_S1L_EUlS1K_E_NS1_11comp_targetILNS1_3genE4ELNS1_11target_archE910ELNS1_3gpuE8ELNS1_3repE0EEENS1_30default_config_static_selectorELNS0_4arch9wavefront6targetE1EEEvSY_,"axG",@progbits,_ZN7rocprim17ROCPRIM_400000_NS6detail17trampoline_kernelINS0_13select_configILj256ELj13ELNS0_17block_load_methodE3ELS4_3ELS4_3ELNS0_20block_scan_algorithmE0ELj4294967295EEENS1_25partition_config_selectorILNS1_17partition_subalgoE3EjNS0_10empty_typeEbEEZZNS1_14partition_implILS8_3ELb0ES6_jNS0_17counting_iteratorIjlEEPS9_SE_NS0_5tupleIJPjSE_EEENSF_IJSE_SE_EEES9_SG_JZNS1_25segmented_radix_sort_implINS0_14default_configELb0EPKfPfPKlPlN2at6native12_GLOBAL__N_18offset_tEEE10hipError_tPvRmT1_PNSt15iterator_traitsISY_E10value_typeET2_T3_PNSZ_IS14_E10value_typeET4_jRbjT5_S1A_jjP12ihipStream_tbEUljE_EEESV_SW_SX_S14_S18_S1A_T6_T7_T9_mT8_S1C_bDpT10_ENKUlT_T0_E_clISt17integral_constantIbLb0EES1O_IbLb1EEEEDaS1K_S1L_EUlS1K_E_NS1_11comp_targetILNS1_3genE4ELNS1_11target_archE910ELNS1_3gpuE8ELNS1_3repE0EEENS1_30default_config_static_selectorELNS0_4arch9wavefront6targetE1EEEvSY_,comdat
.Lfunc_end1422:
	.size	_ZN7rocprim17ROCPRIM_400000_NS6detail17trampoline_kernelINS0_13select_configILj256ELj13ELNS0_17block_load_methodE3ELS4_3ELS4_3ELNS0_20block_scan_algorithmE0ELj4294967295EEENS1_25partition_config_selectorILNS1_17partition_subalgoE3EjNS0_10empty_typeEbEEZZNS1_14partition_implILS8_3ELb0ES6_jNS0_17counting_iteratorIjlEEPS9_SE_NS0_5tupleIJPjSE_EEENSF_IJSE_SE_EEES9_SG_JZNS1_25segmented_radix_sort_implINS0_14default_configELb0EPKfPfPKlPlN2at6native12_GLOBAL__N_18offset_tEEE10hipError_tPvRmT1_PNSt15iterator_traitsISY_E10value_typeET2_T3_PNSZ_IS14_E10value_typeET4_jRbjT5_S1A_jjP12ihipStream_tbEUljE_EEESV_SW_SX_S14_S18_S1A_T6_T7_T9_mT8_S1C_bDpT10_ENKUlT_T0_E_clISt17integral_constantIbLb0EES1O_IbLb1EEEEDaS1K_S1L_EUlS1K_E_NS1_11comp_targetILNS1_3genE4ELNS1_11target_archE910ELNS1_3gpuE8ELNS1_3repE0EEENS1_30default_config_static_selectorELNS0_4arch9wavefront6targetE1EEEvSY_, .Lfunc_end1422-_ZN7rocprim17ROCPRIM_400000_NS6detail17trampoline_kernelINS0_13select_configILj256ELj13ELNS0_17block_load_methodE3ELS4_3ELS4_3ELNS0_20block_scan_algorithmE0ELj4294967295EEENS1_25partition_config_selectorILNS1_17partition_subalgoE3EjNS0_10empty_typeEbEEZZNS1_14partition_implILS8_3ELb0ES6_jNS0_17counting_iteratorIjlEEPS9_SE_NS0_5tupleIJPjSE_EEENSF_IJSE_SE_EEES9_SG_JZNS1_25segmented_radix_sort_implINS0_14default_configELb0EPKfPfPKlPlN2at6native12_GLOBAL__N_18offset_tEEE10hipError_tPvRmT1_PNSt15iterator_traitsISY_E10value_typeET2_T3_PNSZ_IS14_E10value_typeET4_jRbjT5_S1A_jjP12ihipStream_tbEUljE_EEESV_SW_SX_S14_S18_S1A_T6_T7_T9_mT8_S1C_bDpT10_ENKUlT_T0_E_clISt17integral_constantIbLb0EES1O_IbLb1EEEEDaS1K_S1L_EUlS1K_E_NS1_11comp_targetILNS1_3genE4ELNS1_11target_archE910ELNS1_3gpuE8ELNS1_3repE0EEENS1_30default_config_static_selectorELNS0_4arch9wavefront6targetE1EEEvSY_
                                        ; -- End function
	.set _ZN7rocprim17ROCPRIM_400000_NS6detail17trampoline_kernelINS0_13select_configILj256ELj13ELNS0_17block_load_methodE3ELS4_3ELS4_3ELNS0_20block_scan_algorithmE0ELj4294967295EEENS1_25partition_config_selectorILNS1_17partition_subalgoE3EjNS0_10empty_typeEbEEZZNS1_14partition_implILS8_3ELb0ES6_jNS0_17counting_iteratorIjlEEPS9_SE_NS0_5tupleIJPjSE_EEENSF_IJSE_SE_EEES9_SG_JZNS1_25segmented_radix_sort_implINS0_14default_configELb0EPKfPfPKlPlN2at6native12_GLOBAL__N_18offset_tEEE10hipError_tPvRmT1_PNSt15iterator_traitsISY_E10value_typeET2_T3_PNSZ_IS14_E10value_typeET4_jRbjT5_S1A_jjP12ihipStream_tbEUljE_EEESV_SW_SX_S14_S18_S1A_T6_T7_T9_mT8_S1C_bDpT10_ENKUlT_T0_E_clISt17integral_constantIbLb0EES1O_IbLb1EEEEDaS1K_S1L_EUlS1K_E_NS1_11comp_targetILNS1_3genE4ELNS1_11target_archE910ELNS1_3gpuE8ELNS1_3repE0EEENS1_30default_config_static_selectorELNS0_4arch9wavefront6targetE1EEEvSY_.num_vgpr, 0
	.set _ZN7rocprim17ROCPRIM_400000_NS6detail17trampoline_kernelINS0_13select_configILj256ELj13ELNS0_17block_load_methodE3ELS4_3ELS4_3ELNS0_20block_scan_algorithmE0ELj4294967295EEENS1_25partition_config_selectorILNS1_17partition_subalgoE3EjNS0_10empty_typeEbEEZZNS1_14partition_implILS8_3ELb0ES6_jNS0_17counting_iteratorIjlEEPS9_SE_NS0_5tupleIJPjSE_EEENSF_IJSE_SE_EEES9_SG_JZNS1_25segmented_radix_sort_implINS0_14default_configELb0EPKfPfPKlPlN2at6native12_GLOBAL__N_18offset_tEEE10hipError_tPvRmT1_PNSt15iterator_traitsISY_E10value_typeET2_T3_PNSZ_IS14_E10value_typeET4_jRbjT5_S1A_jjP12ihipStream_tbEUljE_EEESV_SW_SX_S14_S18_S1A_T6_T7_T9_mT8_S1C_bDpT10_ENKUlT_T0_E_clISt17integral_constantIbLb0EES1O_IbLb1EEEEDaS1K_S1L_EUlS1K_E_NS1_11comp_targetILNS1_3genE4ELNS1_11target_archE910ELNS1_3gpuE8ELNS1_3repE0EEENS1_30default_config_static_selectorELNS0_4arch9wavefront6targetE1EEEvSY_.num_agpr, 0
	.set _ZN7rocprim17ROCPRIM_400000_NS6detail17trampoline_kernelINS0_13select_configILj256ELj13ELNS0_17block_load_methodE3ELS4_3ELS4_3ELNS0_20block_scan_algorithmE0ELj4294967295EEENS1_25partition_config_selectorILNS1_17partition_subalgoE3EjNS0_10empty_typeEbEEZZNS1_14partition_implILS8_3ELb0ES6_jNS0_17counting_iteratorIjlEEPS9_SE_NS0_5tupleIJPjSE_EEENSF_IJSE_SE_EEES9_SG_JZNS1_25segmented_radix_sort_implINS0_14default_configELb0EPKfPfPKlPlN2at6native12_GLOBAL__N_18offset_tEEE10hipError_tPvRmT1_PNSt15iterator_traitsISY_E10value_typeET2_T3_PNSZ_IS14_E10value_typeET4_jRbjT5_S1A_jjP12ihipStream_tbEUljE_EEESV_SW_SX_S14_S18_S1A_T6_T7_T9_mT8_S1C_bDpT10_ENKUlT_T0_E_clISt17integral_constantIbLb0EES1O_IbLb1EEEEDaS1K_S1L_EUlS1K_E_NS1_11comp_targetILNS1_3genE4ELNS1_11target_archE910ELNS1_3gpuE8ELNS1_3repE0EEENS1_30default_config_static_selectorELNS0_4arch9wavefront6targetE1EEEvSY_.numbered_sgpr, 0
	.set _ZN7rocprim17ROCPRIM_400000_NS6detail17trampoline_kernelINS0_13select_configILj256ELj13ELNS0_17block_load_methodE3ELS4_3ELS4_3ELNS0_20block_scan_algorithmE0ELj4294967295EEENS1_25partition_config_selectorILNS1_17partition_subalgoE3EjNS0_10empty_typeEbEEZZNS1_14partition_implILS8_3ELb0ES6_jNS0_17counting_iteratorIjlEEPS9_SE_NS0_5tupleIJPjSE_EEENSF_IJSE_SE_EEES9_SG_JZNS1_25segmented_radix_sort_implINS0_14default_configELb0EPKfPfPKlPlN2at6native12_GLOBAL__N_18offset_tEEE10hipError_tPvRmT1_PNSt15iterator_traitsISY_E10value_typeET2_T3_PNSZ_IS14_E10value_typeET4_jRbjT5_S1A_jjP12ihipStream_tbEUljE_EEESV_SW_SX_S14_S18_S1A_T6_T7_T9_mT8_S1C_bDpT10_ENKUlT_T0_E_clISt17integral_constantIbLb0EES1O_IbLb1EEEEDaS1K_S1L_EUlS1K_E_NS1_11comp_targetILNS1_3genE4ELNS1_11target_archE910ELNS1_3gpuE8ELNS1_3repE0EEENS1_30default_config_static_selectorELNS0_4arch9wavefront6targetE1EEEvSY_.num_named_barrier, 0
	.set _ZN7rocprim17ROCPRIM_400000_NS6detail17trampoline_kernelINS0_13select_configILj256ELj13ELNS0_17block_load_methodE3ELS4_3ELS4_3ELNS0_20block_scan_algorithmE0ELj4294967295EEENS1_25partition_config_selectorILNS1_17partition_subalgoE3EjNS0_10empty_typeEbEEZZNS1_14partition_implILS8_3ELb0ES6_jNS0_17counting_iteratorIjlEEPS9_SE_NS0_5tupleIJPjSE_EEENSF_IJSE_SE_EEES9_SG_JZNS1_25segmented_radix_sort_implINS0_14default_configELb0EPKfPfPKlPlN2at6native12_GLOBAL__N_18offset_tEEE10hipError_tPvRmT1_PNSt15iterator_traitsISY_E10value_typeET2_T3_PNSZ_IS14_E10value_typeET4_jRbjT5_S1A_jjP12ihipStream_tbEUljE_EEESV_SW_SX_S14_S18_S1A_T6_T7_T9_mT8_S1C_bDpT10_ENKUlT_T0_E_clISt17integral_constantIbLb0EES1O_IbLb1EEEEDaS1K_S1L_EUlS1K_E_NS1_11comp_targetILNS1_3genE4ELNS1_11target_archE910ELNS1_3gpuE8ELNS1_3repE0EEENS1_30default_config_static_selectorELNS0_4arch9wavefront6targetE1EEEvSY_.private_seg_size, 0
	.set _ZN7rocprim17ROCPRIM_400000_NS6detail17trampoline_kernelINS0_13select_configILj256ELj13ELNS0_17block_load_methodE3ELS4_3ELS4_3ELNS0_20block_scan_algorithmE0ELj4294967295EEENS1_25partition_config_selectorILNS1_17partition_subalgoE3EjNS0_10empty_typeEbEEZZNS1_14partition_implILS8_3ELb0ES6_jNS0_17counting_iteratorIjlEEPS9_SE_NS0_5tupleIJPjSE_EEENSF_IJSE_SE_EEES9_SG_JZNS1_25segmented_radix_sort_implINS0_14default_configELb0EPKfPfPKlPlN2at6native12_GLOBAL__N_18offset_tEEE10hipError_tPvRmT1_PNSt15iterator_traitsISY_E10value_typeET2_T3_PNSZ_IS14_E10value_typeET4_jRbjT5_S1A_jjP12ihipStream_tbEUljE_EEESV_SW_SX_S14_S18_S1A_T6_T7_T9_mT8_S1C_bDpT10_ENKUlT_T0_E_clISt17integral_constantIbLb0EES1O_IbLb1EEEEDaS1K_S1L_EUlS1K_E_NS1_11comp_targetILNS1_3genE4ELNS1_11target_archE910ELNS1_3gpuE8ELNS1_3repE0EEENS1_30default_config_static_selectorELNS0_4arch9wavefront6targetE1EEEvSY_.uses_vcc, 0
	.set _ZN7rocprim17ROCPRIM_400000_NS6detail17trampoline_kernelINS0_13select_configILj256ELj13ELNS0_17block_load_methodE3ELS4_3ELS4_3ELNS0_20block_scan_algorithmE0ELj4294967295EEENS1_25partition_config_selectorILNS1_17partition_subalgoE3EjNS0_10empty_typeEbEEZZNS1_14partition_implILS8_3ELb0ES6_jNS0_17counting_iteratorIjlEEPS9_SE_NS0_5tupleIJPjSE_EEENSF_IJSE_SE_EEES9_SG_JZNS1_25segmented_radix_sort_implINS0_14default_configELb0EPKfPfPKlPlN2at6native12_GLOBAL__N_18offset_tEEE10hipError_tPvRmT1_PNSt15iterator_traitsISY_E10value_typeET2_T3_PNSZ_IS14_E10value_typeET4_jRbjT5_S1A_jjP12ihipStream_tbEUljE_EEESV_SW_SX_S14_S18_S1A_T6_T7_T9_mT8_S1C_bDpT10_ENKUlT_T0_E_clISt17integral_constantIbLb0EES1O_IbLb1EEEEDaS1K_S1L_EUlS1K_E_NS1_11comp_targetILNS1_3genE4ELNS1_11target_archE910ELNS1_3gpuE8ELNS1_3repE0EEENS1_30default_config_static_selectorELNS0_4arch9wavefront6targetE1EEEvSY_.uses_flat_scratch, 0
	.set _ZN7rocprim17ROCPRIM_400000_NS6detail17trampoline_kernelINS0_13select_configILj256ELj13ELNS0_17block_load_methodE3ELS4_3ELS4_3ELNS0_20block_scan_algorithmE0ELj4294967295EEENS1_25partition_config_selectorILNS1_17partition_subalgoE3EjNS0_10empty_typeEbEEZZNS1_14partition_implILS8_3ELb0ES6_jNS0_17counting_iteratorIjlEEPS9_SE_NS0_5tupleIJPjSE_EEENSF_IJSE_SE_EEES9_SG_JZNS1_25segmented_radix_sort_implINS0_14default_configELb0EPKfPfPKlPlN2at6native12_GLOBAL__N_18offset_tEEE10hipError_tPvRmT1_PNSt15iterator_traitsISY_E10value_typeET2_T3_PNSZ_IS14_E10value_typeET4_jRbjT5_S1A_jjP12ihipStream_tbEUljE_EEESV_SW_SX_S14_S18_S1A_T6_T7_T9_mT8_S1C_bDpT10_ENKUlT_T0_E_clISt17integral_constantIbLb0EES1O_IbLb1EEEEDaS1K_S1L_EUlS1K_E_NS1_11comp_targetILNS1_3genE4ELNS1_11target_archE910ELNS1_3gpuE8ELNS1_3repE0EEENS1_30default_config_static_selectorELNS0_4arch9wavefront6targetE1EEEvSY_.has_dyn_sized_stack, 0
	.set _ZN7rocprim17ROCPRIM_400000_NS6detail17trampoline_kernelINS0_13select_configILj256ELj13ELNS0_17block_load_methodE3ELS4_3ELS4_3ELNS0_20block_scan_algorithmE0ELj4294967295EEENS1_25partition_config_selectorILNS1_17partition_subalgoE3EjNS0_10empty_typeEbEEZZNS1_14partition_implILS8_3ELb0ES6_jNS0_17counting_iteratorIjlEEPS9_SE_NS0_5tupleIJPjSE_EEENSF_IJSE_SE_EEES9_SG_JZNS1_25segmented_radix_sort_implINS0_14default_configELb0EPKfPfPKlPlN2at6native12_GLOBAL__N_18offset_tEEE10hipError_tPvRmT1_PNSt15iterator_traitsISY_E10value_typeET2_T3_PNSZ_IS14_E10value_typeET4_jRbjT5_S1A_jjP12ihipStream_tbEUljE_EEESV_SW_SX_S14_S18_S1A_T6_T7_T9_mT8_S1C_bDpT10_ENKUlT_T0_E_clISt17integral_constantIbLb0EES1O_IbLb1EEEEDaS1K_S1L_EUlS1K_E_NS1_11comp_targetILNS1_3genE4ELNS1_11target_archE910ELNS1_3gpuE8ELNS1_3repE0EEENS1_30default_config_static_selectorELNS0_4arch9wavefront6targetE1EEEvSY_.has_recursion, 0
	.set _ZN7rocprim17ROCPRIM_400000_NS6detail17trampoline_kernelINS0_13select_configILj256ELj13ELNS0_17block_load_methodE3ELS4_3ELS4_3ELNS0_20block_scan_algorithmE0ELj4294967295EEENS1_25partition_config_selectorILNS1_17partition_subalgoE3EjNS0_10empty_typeEbEEZZNS1_14partition_implILS8_3ELb0ES6_jNS0_17counting_iteratorIjlEEPS9_SE_NS0_5tupleIJPjSE_EEENSF_IJSE_SE_EEES9_SG_JZNS1_25segmented_radix_sort_implINS0_14default_configELb0EPKfPfPKlPlN2at6native12_GLOBAL__N_18offset_tEEE10hipError_tPvRmT1_PNSt15iterator_traitsISY_E10value_typeET2_T3_PNSZ_IS14_E10value_typeET4_jRbjT5_S1A_jjP12ihipStream_tbEUljE_EEESV_SW_SX_S14_S18_S1A_T6_T7_T9_mT8_S1C_bDpT10_ENKUlT_T0_E_clISt17integral_constantIbLb0EES1O_IbLb1EEEEDaS1K_S1L_EUlS1K_E_NS1_11comp_targetILNS1_3genE4ELNS1_11target_archE910ELNS1_3gpuE8ELNS1_3repE0EEENS1_30default_config_static_selectorELNS0_4arch9wavefront6targetE1EEEvSY_.has_indirect_call, 0
	.section	.AMDGPU.csdata,"",@progbits
; Kernel info:
; codeLenInByte = 0
; TotalNumSgprs: 4
; NumVgprs: 0
; ScratchSize: 0
; MemoryBound: 0
; FloatMode: 240
; IeeeMode: 1
; LDSByteSize: 0 bytes/workgroup (compile time only)
; SGPRBlocks: 0
; VGPRBlocks: 0
; NumSGPRsForWavesPerEU: 4
; NumVGPRsForWavesPerEU: 1
; Occupancy: 10
; WaveLimiterHint : 0
; COMPUTE_PGM_RSRC2:SCRATCH_EN: 0
; COMPUTE_PGM_RSRC2:USER_SGPR: 6
; COMPUTE_PGM_RSRC2:TRAP_HANDLER: 0
; COMPUTE_PGM_RSRC2:TGID_X_EN: 1
; COMPUTE_PGM_RSRC2:TGID_Y_EN: 0
; COMPUTE_PGM_RSRC2:TGID_Z_EN: 0
; COMPUTE_PGM_RSRC2:TIDIG_COMP_CNT: 0
	.section	.text._ZN7rocprim17ROCPRIM_400000_NS6detail17trampoline_kernelINS0_13select_configILj256ELj13ELNS0_17block_load_methodE3ELS4_3ELS4_3ELNS0_20block_scan_algorithmE0ELj4294967295EEENS1_25partition_config_selectorILNS1_17partition_subalgoE3EjNS0_10empty_typeEbEEZZNS1_14partition_implILS8_3ELb0ES6_jNS0_17counting_iteratorIjlEEPS9_SE_NS0_5tupleIJPjSE_EEENSF_IJSE_SE_EEES9_SG_JZNS1_25segmented_radix_sort_implINS0_14default_configELb0EPKfPfPKlPlN2at6native12_GLOBAL__N_18offset_tEEE10hipError_tPvRmT1_PNSt15iterator_traitsISY_E10value_typeET2_T3_PNSZ_IS14_E10value_typeET4_jRbjT5_S1A_jjP12ihipStream_tbEUljE_EEESV_SW_SX_S14_S18_S1A_T6_T7_T9_mT8_S1C_bDpT10_ENKUlT_T0_E_clISt17integral_constantIbLb0EES1O_IbLb1EEEEDaS1K_S1L_EUlS1K_E_NS1_11comp_targetILNS1_3genE3ELNS1_11target_archE908ELNS1_3gpuE7ELNS1_3repE0EEENS1_30default_config_static_selectorELNS0_4arch9wavefront6targetE1EEEvSY_,"axG",@progbits,_ZN7rocprim17ROCPRIM_400000_NS6detail17trampoline_kernelINS0_13select_configILj256ELj13ELNS0_17block_load_methodE3ELS4_3ELS4_3ELNS0_20block_scan_algorithmE0ELj4294967295EEENS1_25partition_config_selectorILNS1_17partition_subalgoE3EjNS0_10empty_typeEbEEZZNS1_14partition_implILS8_3ELb0ES6_jNS0_17counting_iteratorIjlEEPS9_SE_NS0_5tupleIJPjSE_EEENSF_IJSE_SE_EEES9_SG_JZNS1_25segmented_radix_sort_implINS0_14default_configELb0EPKfPfPKlPlN2at6native12_GLOBAL__N_18offset_tEEE10hipError_tPvRmT1_PNSt15iterator_traitsISY_E10value_typeET2_T3_PNSZ_IS14_E10value_typeET4_jRbjT5_S1A_jjP12ihipStream_tbEUljE_EEESV_SW_SX_S14_S18_S1A_T6_T7_T9_mT8_S1C_bDpT10_ENKUlT_T0_E_clISt17integral_constantIbLb0EES1O_IbLb1EEEEDaS1K_S1L_EUlS1K_E_NS1_11comp_targetILNS1_3genE3ELNS1_11target_archE908ELNS1_3gpuE7ELNS1_3repE0EEENS1_30default_config_static_selectorELNS0_4arch9wavefront6targetE1EEEvSY_,comdat
	.globl	_ZN7rocprim17ROCPRIM_400000_NS6detail17trampoline_kernelINS0_13select_configILj256ELj13ELNS0_17block_load_methodE3ELS4_3ELS4_3ELNS0_20block_scan_algorithmE0ELj4294967295EEENS1_25partition_config_selectorILNS1_17partition_subalgoE3EjNS0_10empty_typeEbEEZZNS1_14partition_implILS8_3ELb0ES6_jNS0_17counting_iteratorIjlEEPS9_SE_NS0_5tupleIJPjSE_EEENSF_IJSE_SE_EEES9_SG_JZNS1_25segmented_radix_sort_implINS0_14default_configELb0EPKfPfPKlPlN2at6native12_GLOBAL__N_18offset_tEEE10hipError_tPvRmT1_PNSt15iterator_traitsISY_E10value_typeET2_T3_PNSZ_IS14_E10value_typeET4_jRbjT5_S1A_jjP12ihipStream_tbEUljE_EEESV_SW_SX_S14_S18_S1A_T6_T7_T9_mT8_S1C_bDpT10_ENKUlT_T0_E_clISt17integral_constantIbLb0EES1O_IbLb1EEEEDaS1K_S1L_EUlS1K_E_NS1_11comp_targetILNS1_3genE3ELNS1_11target_archE908ELNS1_3gpuE7ELNS1_3repE0EEENS1_30default_config_static_selectorELNS0_4arch9wavefront6targetE1EEEvSY_ ; -- Begin function _ZN7rocprim17ROCPRIM_400000_NS6detail17trampoline_kernelINS0_13select_configILj256ELj13ELNS0_17block_load_methodE3ELS4_3ELS4_3ELNS0_20block_scan_algorithmE0ELj4294967295EEENS1_25partition_config_selectorILNS1_17partition_subalgoE3EjNS0_10empty_typeEbEEZZNS1_14partition_implILS8_3ELb0ES6_jNS0_17counting_iteratorIjlEEPS9_SE_NS0_5tupleIJPjSE_EEENSF_IJSE_SE_EEES9_SG_JZNS1_25segmented_radix_sort_implINS0_14default_configELb0EPKfPfPKlPlN2at6native12_GLOBAL__N_18offset_tEEE10hipError_tPvRmT1_PNSt15iterator_traitsISY_E10value_typeET2_T3_PNSZ_IS14_E10value_typeET4_jRbjT5_S1A_jjP12ihipStream_tbEUljE_EEESV_SW_SX_S14_S18_S1A_T6_T7_T9_mT8_S1C_bDpT10_ENKUlT_T0_E_clISt17integral_constantIbLb0EES1O_IbLb1EEEEDaS1K_S1L_EUlS1K_E_NS1_11comp_targetILNS1_3genE3ELNS1_11target_archE908ELNS1_3gpuE7ELNS1_3repE0EEENS1_30default_config_static_selectorELNS0_4arch9wavefront6targetE1EEEvSY_
	.p2align	8
	.type	_ZN7rocprim17ROCPRIM_400000_NS6detail17trampoline_kernelINS0_13select_configILj256ELj13ELNS0_17block_load_methodE3ELS4_3ELS4_3ELNS0_20block_scan_algorithmE0ELj4294967295EEENS1_25partition_config_selectorILNS1_17partition_subalgoE3EjNS0_10empty_typeEbEEZZNS1_14partition_implILS8_3ELb0ES6_jNS0_17counting_iteratorIjlEEPS9_SE_NS0_5tupleIJPjSE_EEENSF_IJSE_SE_EEES9_SG_JZNS1_25segmented_radix_sort_implINS0_14default_configELb0EPKfPfPKlPlN2at6native12_GLOBAL__N_18offset_tEEE10hipError_tPvRmT1_PNSt15iterator_traitsISY_E10value_typeET2_T3_PNSZ_IS14_E10value_typeET4_jRbjT5_S1A_jjP12ihipStream_tbEUljE_EEESV_SW_SX_S14_S18_S1A_T6_T7_T9_mT8_S1C_bDpT10_ENKUlT_T0_E_clISt17integral_constantIbLb0EES1O_IbLb1EEEEDaS1K_S1L_EUlS1K_E_NS1_11comp_targetILNS1_3genE3ELNS1_11target_archE908ELNS1_3gpuE7ELNS1_3repE0EEENS1_30default_config_static_selectorELNS0_4arch9wavefront6targetE1EEEvSY_,@function
_ZN7rocprim17ROCPRIM_400000_NS6detail17trampoline_kernelINS0_13select_configILj256ELj13ELNS0_17block_load_methodE3ELS4_3ELS4_3ELNS0_20block_scan_algorithmE0ELj4294967295EEENS1_25partition_config_selectorILNS1_17partition_subalgoE3EjNS0_10empty_typeEbEEZZNS1_14partition_implILS8_3ELb0ES6_jNS0_17counting_iteratorIjlEEPS9_SE_NS0_5tupleIJPjSE_EEENSF_IJSE_SE_EEES9_SG_JZNS1_25segmented_radix_sort_implINS0_14default_configELb0EPKfPfPKlPlN2at6native12_GLOBAL__N_18offset_tEEE10hipError_tPvRmT1_PNSt15iterator_traitsISY_E10value_typeET2_T3_PNSZ_IS14_E10value_typeET4_jRbjT5_S1A_jjP12ihipStream_tbEUljE_EEESV_SW_SX_S14_S18_S1A_T6_T7_T9_mT8_S1C_bDpT10_ENKUlT_T0_E_clISt17integral_constantIbLb0EES1O_IbLb1EEEEDaS1K_S1L_EUlS1K_E_NS1_11comp_targetILNS1_3genE3ELNS1_11target_archE908ELNS1_3gpuE7ELNS1_3repE0EEENS1_30default_config_static_selectorELNS0_4arch9wavefront6targetE1EEEvSY_: ; @_ZN7rocprim17ROCPRIM_400000_NS6detail17trampoline_kernelINS0_13select_configILj256ELj13ELNS0_17block_load_methodE3ELS4_3ELS4_3ELNS0_20block_scan_algorithmE0ELj4294967295EEENS1_25partition_config_selectorILNS1_17partition_subalgoE3EjNS0_10empty_typeEbEEZZNS1_14partition_implILS8_3ELb0ES6_jNS0_17counting_iteratorIjlEEPS9_SE_NS0_5tupleIJPjSE_EEENSF_IJSE_SE_EEES9_SG_JZNS1_25segmented_radix_sort_implINS0_14default_configELb0EPKfPfPKlPlN2at6native12_GLOBAL__N_18offset_tEEE10hipError_tPvRmT1_PNSt15iterator_traitsISY_E10value_typeET2_T3_PNSZ_IS14_E10value_typeET4_jRbjT5_S1A_jjP12ihipStream_tbEUljE_EEESV_SW_SX_S14_S18_S1A_T6_T7_T9_mT8_S1C_bDpT10_ENKUlT_T0_E_clISt17integral_constantIbLb0EES1O_IbLb1EEEEDaS1K_S1L_EUlS1K_E_NS1_11comp_targetILNS1_3genE3ELNS1_11target_archE908ELNS1_3gpuE7ELNS1_3repE0EEENS1_30default_config_static_selectorELNS0_4arch9wavefront6targetE1EEEvSY_
; %bb.0:
	.section	.rodata,"a",@progbits
	.p2align	6, 0x0
	.amdhsa_kernel _ZN7rocprim17ROCPRIM_400000_NS6detail17trampoline_kernelINS0_13select_configILj256ELj13ELNS0_17block_load_methodE3ELS4_3ELS4_3ELNS0_20block_scan_algorithmE0ELj4294967295EEENS1_25partition_config_selectorILNS1_17partition_subalgoE3EjNS0_10empty_typeEbEEZZNS1_14partition_implILS8_3ELb0ES6_jNS0_17counting_iteratorIjlEEPS9_SE_NS0_5tupleIJPjSE_EEENSF_IJSE_SE_EEES9_SG_JZNS1_25segmented_radix_sort_implINS0_14default_configELb0EPKfPfPKlPlN2at6native12_GLOBAL__N_18offset_tEEE10hipError_tPvRmT1_PNSt15iterator_traitsISY_E10value_typeET2_T3_PNSZ_IS14_E10value_typeET4_jRbjT5_S1A_jjP12ihipStream_tbEUljE_EEESV_SW_SX_S14_S18_S1A_T6_T7_T9_mT8_S1C_bDpT10_ENKUlT_T0_E_clISt17integral_constantIbLb0EES1O_IbLb1EEEEDaS1K_S1L_EUlS1K_E_NS1_11comp_targetILNS1_3genE3ELNS1_11target_archE908ELNS1_3gpuE7ELNS1_3repE0EEENS1_30default_config_static_selectorELNS0_4arch9wavefront6targetE1EEEvSY_
		.amdhsa_group_segment_fixed_size 0
		.amdhsa_private_segment_fixed_size 0
		.amdhsa_kernarg_size 152
		.amdhsa_user_sgpr_count 6
		.amdhsa_user_sgpr_private_segment_buffer 1
		.amdhsa_user_sgpr_dispatch_ptr 0
		.amdhsa_user_sgpr_queue_ptr 0
		.amdhsa_user_sgpr_kernarg_segment_ptr 1
		.amdhsa_user_sgpr_dispatch_id 0
		.amdhsa_user_sgpr_flat_scratch_init 0
		.amdhsa_user_sgpr_private_segment_size 0
		.amdhsa_uses_dynamic_stack 0
		.amdhsa_system_sgpr_private_segment_wavefront_offset 0
		.amdhsa_system_sgpr_workgroup_id_x 1
		.amdhsa_system_sgpr_workgroup_id_y 0
		.amdhsa_system_sgpr_workgroup_id_z 0
		.amdhsa_system_sgpr_workgroup_info 0
		.amdhsa_system_vgpr_workitem_id 0
		.amdhsa_next_free_vgpr 1
		.amdhsa_next_free_sgpr 0
		.amdhsa_reserve_vcc 0
		.amdhsa_reserve_flat_scratch 0
		.amdhsa_float_round_mode_32 0
		.amdhsa_float_round_mode_16_64 0
		.amdhsa_float_denorm_mode_32 3
		.amdhsa_float_denorm_mode_16_64 3
		.amdhsa_dx10_clamp 1
		.amdhsa_ieee_mode 1
		.amdhsa_fp16_overflow 0
		.amdhsa_exception_fp_ieee_invalid_op 0
		.amdhsa_exception_fp_denorm_src 0
		.amdhsa_exception_fp_ieee_div_zero 0
		.amdhsa_exception_fp_ieee_overflow 0
		.amdhsa_exception_fp_ieee_underflow 0
		.amdhsa_exception_fp_ieee_inexact 0
		.amdhsa_exception_int_div_zero 0
	.end_amdhsa_kernel
	.section	.text._ZN7rocprim17ROCPRIM_400000_NS6detail17trampoline_kernelINS0_13select_configILj256ELj13ELNS0_17block_load_methodE3ELS4_3ELS4_3ELNS0_20block_scan_algorithmE0ELj4294967295EEENS1_25partition_config_selectorILNS1_17partition_subalgoE3EjNS0_10empty_typeEbEEZZNS1_14partition_implILS8_3ELb0ES6_jNS0_17counting_iteratorIjlEEPS9_SE_NS0_5tupleIJPjSE_EEENSF_IJSE_SE_EEES9_SG_JZNS1_25segmented_radix_sort_implINS0_14default_configELb0EPKfPfPKlPlN2at6native12_GLOBAL__N_18offset_tEEE10hipError_tPvRmT1_PNSt15iterator_traitsISY_E10value_typeET2_T3_PNSZ_IS14_E10value_typeET4_jRbjT5_S1A_jjP12ihipStream_tbEUljE_EEESV_SW_SX_S14_S18_S1A_T6_T7_T9_mT8_S1C_bDpT10_ENKUlT_T0_E_clISt17integral_constantIbLb0EES1O_IbLb1EEEEDaS1K_S1L_EUlS1K_E_NS1_11comp_targetILNS1_3genE3ELNS1_11target_archE908ELNS1_3gpuE7ELNS1_3repE0EEENS1_30default_config_static_selectorELNS0_4arch9wavefront6targetE1EEEvSY_,"axG",@progbits,_ZN7rocprim17ROCPRIM_400000_NS6detail17trampoline_kernelINS0_13select_configILj256ELj13ELNS0_17block_load_methodE3ELS4_3ELS4_3ELNS0_20block_scan_algorithmE0ELj4294967295EEENS1_25partition_config_selectorILNS1_17partition_subalgoE3EjNS0_10empty_typeEbEEZZNS1_14partition_implILS8_3ELb0ES6_jNS0_17counting_iteratorIjlEEPS9_SE_NS0_5tupleIJPjSE_EEENSF_IJSE_SE_EEES9_SG_JZNS1_25segmented_radix_sort_implINS0_14default_configELb0EPKfPfPKlPlN2at6native12_GLOBAL__N_18offset_tEEE10hipError_tPvRmT1_PNSt15iterator_traitsISY_E10value_typeET2_T3_PNSZ_IS14_E10value_typeET4_jRbjT5_S1A_jjP12ihipStream_tbEUljE_EEESV_SW_SX_S14_S18_S1A_T6_T7_T9_mT8_S1C_bDpT10_ENKUlT_T0_E_clISt17integral_constantIbLb0EES1O_IbLb1EEEEDaS1K_S1L_EUlS1K_E_NS1_11comp_targetILNS1_3genE3ELNS1_11target_archE908ELNS1_3gpuE7ELNS1_3repE0EEENS1_30default_config_static_selectorELNS0_4arch9wavefront6targetE1EEEvSY_,comdat
.Lfunc_end1423:
	.size	_ZN7rocprim17ROCPRIM_400000_NS6detail17trampoline_kernelINS0_13select_configILj256ELj13ELNS0_17block_load_methodE3ELS4_3ELS4_3ELNS0_20block_scan_algorithmE0ELj4294967295EEENS1_25partition_config_selectorILNS1_17partition_subalgoE3EjNS0_10empty_typeEbEEZZNS1_14partition_implILS8_3ELb0ES6_jNS0_17counting_iteratorIjlEEPS9_SE_NS0_5tupleIJPjSE_EEENSF_IJSE_SE_EEES9_SG_JZNS1_25segmented_radix_sort_implINS0_14default_configELb0EPKfPfPKlPlN2at6native12_GLOBAL__N_18offset_tEEE10hipError_tPvRmT1_PNSt15iterator_traitsISY_E10value_typeET2_T3_PNSZ_IS14_E10value_typeET4_jRbjT5_S1A_jjP12ihipStream_tbEUljE_EEESV_SW_SX_S14_S18_S1A_T6_T7_T9_mT8_S1C_bDpT10_ENKUlT_T0_E_clISt17integral_constantIbLb0EES1O_IbLb1EEEEDaS1K_S1L_EUlS1K_E_NS1_11comp_targetILNS1_3genE3ELNS1_11target_archE908ELNS1_3gpuE7ELNS1_3repE0EEENS1_30default_config_static_selectorELNS0_4arch9wavefront6targetE1EEEvSY_, .Lfunc_end1423-_ZN7rocprim17ROCPRIM_400000_NS6detail17trampoline_kernelINS0_13select_configILj256ELj13ELNS0_17block_load_methodE3ELS4_3ELS4_3ELNS0_20block_scan_algorithmE0ELj4294967295EEENS1_25partition_config_selectorILNS1_17partition_subalgoE3EjNS0_10empty_typeEbEEZZNS1_14partition_implILS8_3ELb0ES6_jNS0_17counting_iteratorIjlEEPS9_SE_NS0_5tupleIJPjSE_EEENSF_IJSE_SE_EEES9_SG_JZNS1_25segmented_radix_sort_implINS0_14default_configELb0EPKfPfPKlPlN2at6native12_GLOBAL__N_18offset_tEEE10hipError_tPvRmT1_PNSt15iterator_traitsISY_E10value_typeET2_T3_PNSZ_IS14_E10value_typeET4_jRbjT5_S1A_jjP12ihipStream_tbEUljE_EEESV_SW_SX_S14_S18_S1A_T6_T7_T9_mT8_S1C_bDpT10_ENKUlT_T0_E_clISt17integral_constantIbLb0EES1O_IbLb1EEEEDaS1K_S1L_EUlS1K_E_NS1_11comp_targetILNS1_3genE3ELNS1_11target_archE908ELNS1_3gpuE7ELNS1_3repE0EEENS1_30default_config_static_selectorELNS0_4arch9wavefront6targetE1EEEvSY_
                                        ; -- End function
	.set _ZN7rocprim17ROCPRIM_400000_NS6detail17trampoline_kernelINS0_13select_configILj256ELj13ELNS0_17block_load_methodE3ELS4_3ELS4_3ELNS0_20block_scan_algorithmE0ELj4294967295EEENS1_25partition_config_selectorILNS1_17partition_subalgoE3EjNS0_10empty_typeEbEEZZNS1_14partition_implILS8_3ELb0ES6_jNS0_17counting_iteratorIjlEEPS9_SE_NS0_5tupleIJPjSE_EEENSF_IJSE_SE_EEES9_SG_JZNS1_25segmented_radix_sort_implINS0_14default_configELb0EPKfPfPKlPlN2at6native12_GLOBAL__N_18offset_tEEE10hipError_tPvRmT1_PNSt15iterator_traitsISY_E10value_typeET2_T3_PNSZ_IS14_E10value_typeET4_jRbjT5_S1A_jjP12ihipStream_tbEUljE_EEESV_SW_SX_S14_S18_S1A_T6_T7_T9_mT8_S1C_bDpT10_ENKUlT_T0_E_clISt17integral_constantIbLb0EES1O_IbLb1EEEEDaS1K_S1L_EUlS1K_E_NS1_11comp_targetILNS1_3genE3ELNS1_11target_archE908ELNS1_3gpuE7ELNS1_3repE0EEENS1_30default_config_static_selectorELNS0_4arch9wavefront6targetE1EEEvSY_.num_vgpr, 0
	.set _ZN7rocprim17ROCPRIM_400000_NS6detail17trampoline_kernelINS0_13select_configILj256ELj13ELNS0_17block_load_methodE3ELS4_3ELS4_3ELNS0_20block_scan_algorithmE0ELj4294967295EEENS1_25partition_config_selectorILNS1_17partition_subalgoE3EjNS0_10empty_typeEbEEZZNS1_14partition_implILS8_3ELb0ES6_jNS0_17counting_iteratorIjlEEPS9_SE_NS0_5tupleIJPjSE_EEENSF_IJSE_SE_EEES9_SG_JZNS1_25segmented_radix_sort_implINS0_14default_configELb0EPKfPfPKlPlN2at6native12_GLOBAL__N_18offset_tEEE10hipError_tPvRmT1_PNSt15iterator_traitsISY_E10value_typeET2_T3_PNSZ_IS14_E10value_typeET4_jRbjT5_S1A_jjP12ihipStream_tbEUljE_EEESV_SW_SX_S14_S18_S1A_T6_T7_T9_mT8_S1C_bDpT10_ENKUlT_T0_E_clISt17integral_constantIbLb0EES1O_IbLb1EEEEDaS1K_S1L_EUlS1K_E_NS1_11comp_targetILNS1_3genE3ELNS1_11target_archE908ELNS1_3gpuE7ELNS1_3repE0EEENS1_30default_config_static_selectorELNS0_4arch9wavefront6targetE1EEEvSY_.num_agpr, 0
	.set _ZN7rocprim17ROCPRIM_400000_NS6detail17trampoline_kernelINS0_13select_configILj256ELj13ELNS0_17block_load_methodE3ELS4_3ELS4_3ELNS0_20block_scan_algorithmE0ELj4294967295EEENS1_25partition_config_selectorILNS1_17partition_subalgoE3EjNS0_10empty_typeEbEEZZNS1_14partition_implILS8_3ELb0ES6_jNS0_17counting_iteratorIjlEEPS9_SE_NS0_5tupleIJPjSE_EEENSF_IJSE_SE_EEES9_SG_JZNS1_25segmented_radix_sort_implINS0_14default_configELb0EPKfPfPKlPlN2at6native12_GLOBAL__N_18offset_tEEE10hipError_tPvRmT1_PNSt15iterator_traitsISY_E10value_typeET2_T3_PNSZ_IS14_E10value_typeET4_jRbjT5_S1A_jjP12ihipStream_tbEUljE_EEESV_SW_SX_S14_S18_S1A_T6_T7_T9_mT8_S1C_bDpT10_ENKUlT_T0_E_clISt17integral_constantIbLb0EES1O_IbLb1EEEEDaS1K_S1L_EUlS1K_E_NS1_11comp_targetILNS1_3genE3ELNS1_11target_archE908ELNS1_3gpuE7ELNS1_3repE0EEENS1_30default_config_static_selectorELNS0_4arch9wavefront6targetE1EEEvSY_.numbered_sgpr, 0
	.set _ZN7rocprim17ROCPRIM_400000_NS6detail17trampoline_kernelINS0_13select_configILj256ELj13ELNS0_17block_load_methodE3ELS4_3ELS4_3ELNS0_20block_scan_algorithmE0ELj4294967295EEENS1_25partition_config_selectorILNS1_17partition_subalgoE3EjNS0_10empty_typeEbEEZZNS1_14partition_implILS8_3ELb0ES6_jNS0_17counting_iteratorIjlEEPS9_SE_NS0_5tupleIJPjSE_EEENSF_IJSE_SE_EEES9_SG_JZNS1_25segmented_radix_sort_implINS0_14default_configELb0EPKfPfPKlPlN2at6native12_GLOBAL__N_18offset_tEEE10hipError_tPvRmT1_PNSt15iterator_traitsISY_E10value_typeET2_T3_PNSZ_IS14_E10value_typeET4_jRbjT5_S1A_jjP12ihipStream_tbEUljE_EEESV_SW_SX_S14_S18_S1A_T6_T7_T9_mT8_S1C_bDpT10_ENKUlT_T0_E_clISt17integral_constantIbLb0EES1O_IbLb1EEEEDaS1K_S1L_EUlS1K_E_NS1_11comp_targetILNS1_3genE3ELNS1_11target_archE908ELNS1_3gpuE7ELNS1_3repE0EEENS1_30default_config_static_selectorELNS0_4arch9wavefront6targetE1EEEvSY_.num_named_barrier, 0
	.set _ZN7rocprim17ROCPRIM_400000_NS6detail17trampoline_kernelINS0_13select_configILj256ELj13ELNS0_17block_load_methodE3ELS4_3ELS4_3ELNS0_20block_scan_algorithmE0ELj4294967295EEENS1_25partition_config_selectorILNS1_17partition_subalgoE3EjNS0_10empty_typeEbEEZZNS1_14partition_implILS8_3ELb0ES6_jNS0_17counting_iteratorIjlEEPS9_SE_NS0_5tupleIJPjSE_EEENSF_IJSE_SE_EEES9_SG_JZNS1_25segmented_radix_sort_implINS0_14default_configELb0EPKfPfPKlPlN2at6native12_GLOBAL__N_18offset_tEEE10hipError_tPvRmT1_PNSt15iterator_traitsISY_E10value_typeET2_T3_PNSZ_IS14_E10value_typeET4_jRbjT5_S1A_jjP12ihipStream_tbEUljE_EEESV_SW_SX_S14_S18_S1A_T6_T7_T9_mT8_S1C_bDpT10_ENKUlT_T0_E_clISt17integral_constantIbLb0EES1O_IbLb1EEEEDaS1K_S1L_EUlS1K_E_NS1_11comp_targetILNS1_3genE3ELNS1_11target_archE908ELNS1_3gpuE7ELNS1_3repE0EEENS1_30default_config_static_selectorELNS0_4arch9wavefront6targetE1EEEvSY_.private_seg_size, 0
	.set _ZN7rocprim17ROCPRIM_400000_NS6detail17trampoline_kernelINS0_13select_configILj256ELj13ELNS0_17block_load_methodE3ELS4_3ELS4_3ELNS0_20block_scan_algorithmE0ELj4294967295EEENS1_25partition_config_selectorILNS1_17partition_subalgoE3EjNS0_10empty_typeEbEEZZNS1_14partition_implILS8_3ELb0ES6_jNS0_17counting_iteratorIjlEEPS9_SE_NS0_5tupleIJPjSE_EEENSF_IJSE_SE_EEES9_SG_JZNS1_25segmented_radix_sort_implINS0_14default_configELb0EPKfPfPKlPlN2at6native12_GLOBAL__N_18offset_tEEE10hipError_tPvRmT1_PNSt15iterator_traitsISY_E10value_typeET2_T3_PNSZ_IS14_E10value_typeET4_jRbjT5_S1A_jjP12ihipStream_tbEUljE_EEESV_SW_SX_S14_S18_S1A_T6_T7_T9_mT8_S1C_bDpT10_ENKUlT_T0_E_clISt17integral_constantIbLb0EES1O_IbLb1EEEEDaS1K_S1L_EUlS1K_E_NS1_11comp_targetILNS1_3genE3ELNS1_11target_archE908ELNS1_3gpuE7ELNS1_3repE0EEENS1_30default_config_static_selectorELNS0_4arch9wavefront6targetE1EEEvSY_.uses_vcc, 0
	.set _ZN7rocprim17ROCPRIM_400000_NS6detail17trampoline_kernelINS0_13select_configILj256ELj13ELNS0_17block_load_methodE3ELS4_3ELS4_3ELNS0_20block_scan_algorithmE0ELj4294967295EEENS1_25partition_config_selectorILNS1_17partition_subalgoE3EjNS0_10empty_typeEbEEZZNS1_14partition_implILS8_3ELb0ES6_jNS0_17counting_iteratorIjlEEPS9_SE_NS0_5tupleIJPjSE_EEENSF_IJSE_SE_EEES9_SG_JZNS1_25segmented_radix_sort_implINS0_14default_configELb0EPKfPfPKlPlN2at6native12_GLOBAL__N_18offset_tEEE10hipError_tPvRmT1_PNSt15iterator_traitsISY_E10value_typeET2_T3_PNSZ_IS14_E10value_typeET4_jRbjT5_S1A_jjP12ihipStream_tbEUljE_EEESV_SW_SX_S14_S18_S1A_T6_T7_T9_mT8_S1C_bDpT10_ENKUlT_T0_E_clISt17integral_constantIbLb0EES1O_IbLb1EEEEDaS1K_S1L_EUlS1K_E_NS1_11comp_targetILNS1_3genE3ELNS1_11target_archE908ELNS1_3gpuE7ELNS1_3repE0EEENS1_30default_config_static_selectorELNS0_4arch9wavefront6targetE1EEEvSY_.uses_flat_scratch, 0
	.set _ZN7rocprim17ROCPRIM_400000_NS6detail17trampoline_kernelINS0_13select_configILj256ELj13ELNS0_17block_load_methodE3ELS4_3ELS4_3ELNS0_20block_scan_algorithmE0ELj4294967295EEENS1_25partition_config_selectorILNS1_17partition_subalgoE3EjNS0_10empty_typeEbEEZZNS1_14partition_implILS8_3ELb0ES6_jNS0_17counting_iteratorIjlEEPS9_SE_NS0_5tupleIJPjSE_EEENSF_IJSE_SE_EEES9_SG_JZNS1_25segmented_radix_sort_implINS0_14default_configELb0EPKfPfPKlPlN2at6native12_GLOBAL__N_18offset_tEEE10hipError_tPvRmT1_PNSt15iterator_traitsISY_E10value_typeET2_T3_PNSZ_IS14_E10value_typeET4_jRbjT5_S1A_jjP12ihipStream_tbEUljE_EEESV_SW_SX_S14_S18_S1A_T6_T7_T9_mT8_S1C_bDpT10_ENKUlT_T0_E_clISt17integral_constantIbLb0EES1O_IbLb1EEEEDaS1K_S1L_EUlS1K_E_NS1_11comp_targetILNS1_3genE3ELNS1_11target_archE908ELNS1_3gpuE7ELNS1_3repE0EEENS1_30default_config_static_selectorELNS0_4arch9wavefront6targetE1EEEvSY_.has_dyn_sized_stack, 0
	.set _ZN7rocprim17ROCPRIM_400000_NS6detail17trampoline_kernelINS0_13select_configILj256ELj13ELNS0_17block_load_methodE3ELS4_3ELS4_3ELNS0_20block_scan_algorithmE0ELj4294967295EEENS1_25partition_config_selectorILNS1_17partition_subalgoE3EjNS0_10empty_typeEbEEZZNS1_14partition_implILS8_3ELb0ES6_jNS0_17counting_iteratorIjlEEPS9_SE_NS0_5tupleIJPjSE_EEENSF_IJSE_SE_EEES9_SG_JZNS1_25segmented_radix_sort_implINS0_14default_configELb0EPKfPfPKlPlN2at6native12_GLOBAL__N_18offset_tEEE10hipError_tPvRmT1_PNSt15iterator_traitsISY_E10value_typeET2_T3_PNSZ_IS14_E10value_typeET4_jRbjT5_S1A_jjP12ihipStream_tbEUljE_EEESV_SW_SX_S14_S18_S1A_T6_T7_T9_mT8_S1C_bDpT10_ENKUlT_T0_E_clISt17integral_constantIbLb0EES1O_IbLb1EEEEDaS1K_S1L_EUlS1K_E_NS1_11comp_targetILNS1_3genE3ELNS1_11target_archE908ELNS1_3gpuE7ELNS1_3repE0EEENS1_30default_config_static_selectorELNS0_4arch9wavefront6targetE1EEEvSY_.has_recursion, 0
	.set _ZN7rocprim17ROCPRIM_400000_NS6detail17trampoline_kernelINS0_13select_configILj256ELj13ELNS0_17block_load_methodE3ELS4_3ELS4_3ELNS0_20block_scan_algorithmE0ELj4294967295EEENS1_25partition_config_selectorILNS1_17partition_subalgoE3EjNS0_10empty_typeEbEEZZNS1_14partition_implILS8_3ELb0ES6_jNS0_17counting_iteratorIjlEEPS9_SE_NS0_5tupleIJPjSE_EEENSF_IJSE_SE_EEES9_SG_JZNS1_25segmented_radix_sort_implINS0_14default_configELb0EPKfPfPKlPlN2at6native12_GLOBAL__N_18offset_tEEE10hipError_tPvRmT1_PNSt15iterator_traitsISY_E10value_typeET2_T3_PNSZ_IS14_E10value_typeET4_jRbjT5_S1A_jjP12ihipStream_tbEUljE_EEESV_SW_SX_S14_S18_S1A_T6_T7_T9_mT8_S1C_bDpT10_ENKUlT_T0_E_clISt17integral_constantIbLb0EES1O_IbLb1EEEEDaS1K_S1L_EUlS1K_E_NS1_11comp_targetILNS1_3genE3ELNS1_11target_archE908ELNS1_3gpuE7ELNS1_3repE0EEENS1_30default_config_static_selectorELNS0_4arch9wavefront6targetE1EEEvSY_.has_indirect_call, 0
	.section	.AMDGPU.csdata,"",@progbits
; Kernel info:
; codeLenInByte = 0
; TotalNumSgprs: 4
; NumVgprs: 0
; ScratchSize: 0
; MemoryBound: 0
; FloatMode: 240
; IeeeMode: 1
; LDSByteSize: 0 bytes/workgroup (compile time only)
; SGPRBlocks: 0
; VGPRBlocks: 0
; NumSGPRsForWavesPerEU: 4
; NumVGPRsForWavesPerEU: 1
; Occupancy: 10
; WaveLimiterHint : 0
; COMPUTE_PGM_RSRC2:SCRATCH_EN: 0
; COMPUTE_PGM_RSRC2:USER_SGPR: 6
; COMPUTE_PGM_RSRC2:TRAP_HANDLER: 0
; COMPUTE_PGM_RSRC2:TGID_X_EN: 1
; COMPUTE_PGM_RSRC2:TGID_Y_EN: 0
; COMPUTE_PGM_RSRC2:TGID_Z_EN: 0
; COMPUTE_PGM_RSRC2:TIDIG_COMP_CNT: 0
	.section	.text._ZN7rocprim17ROCPRIM_400000_NS6detail17trampoline_kernelINS0_13select_configILj256ELj13ELNS0_17block_load_methodE3ELS4_3ELS4_3ELNS0_20block_scan_algorithmE0ELj4294967295EEENS1_25partition_config_selectorILNS1_17partition_subalgoE3EjNS0_10empty_typeEbEEZZNS1_14partition_implILS8_3ELb0ES6_jNS0_17counting_iteratorIjlEEPS9_SE_NS0_5tupleIJPjSE_EEENSF_IJSE_SE_EEES9_SG_JZNS1_25segmented_radix_sort_implINS0_14default_configELb0EPKfPfPKlPlN2at6native12_GLOBAL__N_18offset_tEEE10hipError_tPvRmT1_PNSt15iterator_traitsISY_E10value_typeET2_T3_PNSZ_IS14_E10value_typeET4_jRbjT5_S1A_jjP12ihipStream_tbEUljE_EEESV_SW_SX_S14_S18_S1A_T6_T7_T9_mT8_S1C_bDpT10_ENKUlT_T0_E_clISt17integral_constantIbLb0EES1O_IbLb1EEEEDaS1K_S1L_EUlS1K_E_NS1_11comp_targetILNS1_3genE2ELNS1_11target_archE906ELNS1_3gpuE6ELNS1_3repE0EEENS1_30default_config_static_selectorELNS0_4arch9wavefront6targetE1EEEvSY_,"axG",@progbits,_ZN7rocprim17ROCPRIM_400000_NS6detail17trampoline_kernelINS0_13select_configILj256ELj13ELNS0_17block_load_methodE3ELS4_3ELS4_3ELNS0_20block_scan_algorithmE0ELj4294967295EEENS1_25partition_config_selectorILNS1_17partition_subalgoE3EjNS0_10empty_typeEbEEZZNS1_14partition_implILS8_3ELb0ES6_jNS0_17counting_iteratorIjlEEPS9_SE_NS0_5tupleIJPjSE_EEENSF_IJSE_SE_EEES9_SG_JZNS1_25segmented_radix_sort_implINS0_14default_configELb0EPKfPfPKlPlN2at6native12_GLOBAL__N_18offset_tEEE10hipError_tPvRmT1_PNSt15iterator_traitsISY_E10value_typeET2_T3_PNSZ_IS14_E10value_typeET4_jRbjT5_S1A_jjP12ihipStream_tbEUljE_EEESV_SW_SX_S14_S18_S1A_T6_T7_T9_mT8_S1C_bDpT10_ENKUlT_T0_E_clISt17integral_constantIbLb0EES1O_IbLb1EEEEDaS1K_S1L_EUlS1K_E_NS1_11comp_targetILNS1_3genE2ELNS1_11target_archE906ELNS1_3gpuE6ELNS1_3repE0EEENS1_30default_config_static_selectorELNS0_4arch9wavefront6targetE1EEEvSY_,comdat
	.globl	_ZN7rocprim17ROCPRIM_400000_NS6detail17trampoline_kernelINS0_13select_configILj256ELj13ELNS0_17block_load_methodE3ELS4_3ELS4_3ELNS0_20block_scan_algorithmE0ELj4294967295EEENS1_25partition_config_selectorILNS1_17partition_subalgoE3EjNS0_10empty_typeEbEEZZNS1_14partition_implILS8_3ELb0ES6_jNS0_17counting_iteratorIjlEEPS9_SE_NS0_5tupleIJPjSE_EEENSF_IJSE_SE_EEES9_SG_JZNS1_25segmented_radix_sort_implINS0_14default_configELb0EPKfPfPKlPlN2at6native12_GLOBAL__N_18offset_tEEE10hipError_tPvRmT1_PNSt15iterator_traitsISY_E10value_typeET2_T3_PNSZ_IS14_E10value_typeET4_jRbjT5_S1A_jjP12ihipStream_tbEUljE_EEESV_SW_SX_S14_S18_S1A_T6_T7_T9_mT8_S1C_bDpT10_ENKUlT_T0_E_clISt17integral_constantIbLb0EES1O_IbLb1EEEEDaS1K_S1L_EUlS1K_E_NS1_11comp_targetILNS1_3genE2ELNS1_11target_archE906ELNS1_3gpuE6ELNS1_3repE0EEENS1_30default_config_static_selectorELNS0_4arch9wavefront6targetE1EEEvSY_ ; -- Begin function _ZN7rocprim17ROCPRIM_400000_NS6detail17trampoline_kernelINS0_13select_configILj256ELj13ELNS0_17block_load_methodE3ELS4_3ELS4_3ELNS0_20block_scan_algorithmE0ELj4294967295EEENS1_25partition_config_selectorILNS1_17partition_subalgoE3EjNS0_10empty_typeEbEEZZNS1_14partition_implILS8_3ELb0ES6_jNS0_17counting_iteratorIjlEEPS9_SE_NS0_5tupleIJPjSE_EEENSF_IJSE_SE_EEES9_SG_JZNS1_25segmented_radix_sort_implINS0_14default_configELb0EPKfPfPKlPlN2at6native12_GLOBAL__N_18offset_tEEE10hipError_tPvRmT1_PNSt15iterator_traitsISY_E10value_typeET2_T3_PNSZ_IS14_E10value_typeET4_jRbjT5_S1A_jjP12ihipStream_tbEUljE_EEESV_SW_SX_S14_S18_S1A_T6_T7_T9_mT8_S1C_bDpT10_ENKUlT_T0_E_clISt17integral_constantIbLb0EES1O_IbLb1EEEEDaS1K_S1L_EUlS1K_E_NS1_11comp_targetILNS1_3genE2ELNS1_11target_archE906ELNS1_3gpuE6ELNS1_3repE0EEENS1_30default_config_static_selectorELNS0_4arch9wavefront6targetE1EEEvSY_
	.p2align	8
	.type	_ZN7rocprim17ROCPRIM_400000_NS6detail17trampoline_kernelINS0_13select_configILj256ELj13ELNS0_17block_load_methodE3ELS4_3ELS4_3ELNS0_20block_scan_algorithmE0ELj4294967295EEENS1_25partition_config_selectorILNS1_17partition_subalgoE3EjNS0_10empty_typeEbEEZZNS1_14partition_implILS8_3ELb0ES6_jNS0_17counting_iteratorIjlEEPS9_SE_NS0_5tupleIJPjSE_EEENSF_IJSE_SE_EEES9_SG_JZNS1_25segmented_radix_sort_implINS0_14default_configELb0EPKfPfPKlPlN2at6native12_GLOBAL__N_18offset_tEEE10hipError_tPvRmT1_PNSt15iterator_traitsISY_E10value_typeET2_T3_PNSZ_IS14_E10value_typeET4_jRbjT5_S1A_jjP12ihipStream_tbEUljE_EEESV_SW_SX_S14_S18_S1A_T6_T7_T9_mT8_S1C_bDpT10_ENKUlT_T0_E_clISt17integral_constantIbLb0EES1O_IbLb1EEEEDaS1K_S1L_EUlS1K_E_NS1_11comp_targetILNS1_3genE2ELNS1_11target_archE906ELNS1_3gpuE6ELNS1_3repE0EEENS1_30default_config_static_selectorELNS0_4arch9wavefront6targetE1EEEvSY_,@function
_ZN7rocprim17ROCPRIM_400000_NS6detail17trampoline_kernelINS0_13select_configILj256ELj13ELNS0_17block_load_methodE3ELS4_3ELS4_3ELNS0_20block_scan_algorithmE0ELj4294967295EEENS1_25partition_config_selectorILNS1_17partition_subalgoE3EjNS0_10empty_typeEbEEZZNS1_14partition_implILS8_3ELb0ES6_jNS0_17counting_iteratorIjlEEPS9_SE_NS0_5tupleIJPjSE_EEENSF_IJSE_SE_EEES9_SG_JZNS1_25segmented_radix_sort_implINS0_14default_configELb0EPKfPfPKlPlN2at6native12_GLOBAL__N_18offset_tEEE10hipError_tPvRmT1_PNSt15iterator_traitsISY_E10value_typeET2_T3_PNSZ_IS14_E10value_typeET4_jRbjT5_S1A_jjP12ihipStream_tbEUljE_EEESV_SW_SX_S14_S18_S1A_T6_T7_T9_mT8_S1C_bDpT10_ENKUlT_T0_E_clISt17integral_constantIbLb0EES1O_IbLb1EEEEDaS1K_S1L_EUlS1K_E_NS1_11comp_targetILNS1_3genE2ELNS1_11target_archE906ELNS1_3gpuE6ELNS1_3repE0EEENS1_30default_config_static_selectorELNS0_4arch9wavefront6targetE1EEEvSY_: ; @_ZN7rocprim17ROCPRIM_400000_NS6detail17trampoline_kernelINS0_13select_configILj256ELj13ELNS0_17block_load_methodE3ELS4_3ELS4_3ELNS0_20block_scan_algorithmE0ELj4294967295EEENS1_25partition_config_selectorILNS1_17partition_subalgoE3EjNS0_10empty_typeEbEEZZNS1_14partition_implILS8_3ELb0ES6_jNS0_17counting_iteratorIjlEEPS9_SE_NS0_5tupleIJPjSE_EEENSF_IJSE_SE_EEES9_SG_JZNS1_25segmented_radix_sort_implINS0_14default_configELb0EPKfPfPKlPlN2at6native12_GLOBAL__N_18offset_tEEE10hipError_tPvRmT1_PNSt15iterator_traitsISY_E10value_typeET2_T3_PNSZ_IS14_E10value_typeET4_jRbjT5_S1A_jjP12ihipStream_tbEUljE_EEESV_SW_SX_S14_S18_S1A_T6_T7_T9_mT8_S1C_bDpT10_ENKUlT_T0_E_clISt17integral_constantIbLb0EES1O_IbLb1EEEEDaS1K_S1L_EUlS1K_E_NS1_11comp_targetILNS1_3genE2ELNS1_11target_archE906ELNS1_3gpuE6ELNS1_3repE0EEENS1_30default_config_static_selectorELNS0_4arch9wavefront6targetE1EEEvSY_
; %bb.0:
	s_load_dwordx2 s[28:29], s[4:5], 0x10
	s_load_dwordx2 s[22:23], s[4:5], 0x28
	;; [unrolled: 1-line block ×3, first 2 shown]
	s_load_dwordx4 s[24:27], s[4:5], 0x48
	s_load_dword s14, s[4:5], 0x90
	s_load_dwordx2 s[34:35], s[4:5], 0x68
	s_load_dwordx4 s[8:11], s[4:5], 0x80
	v_cmp_eq_u32_e64 s[0:1], 0, v0
	s_and_saveexec_b64 s[2:3], s[0:1]
	s_cbranch_execz .LBB1424_4
; %bb.1:
	s_mov_b64 s[12:13], exec
	v_mbcnt_lo_u32_b32 v1, s12, 0
	v_mbcnt_hi_u32_b32 v1, s13, v1
	v_cmp_eq_u32_e32 vcc, 0, v1
                                        ; implicit-def: $vgpr2
	s_and_saveexec_b64 s[6:7], vcc
	s_cbranch_execz .LBB1424_3
; %bb.2:
	s_load_dwordx2 s[16:17], s[4:5], 0x78
	s_bcnt1_i32_b64 s12, s[12:13]
	v_mov_b32_e32 v2, 0
	v_mov_b32_e32 v3, s12
	s_waitcnt lgkmcnt(0)
	global_atomic_add v2, v2, v3, s[16:17] glc
.LBB1424_3:
	s_or_b64 exec, exec, s[6:7]
	s_waitcnt vmcnt(0)
	v_readfirstlane_b32 s6, v2
	v_add_u32_e32 v1, s6, v1
	v_mov_b32_e32 v2, 0
	ds_write_b32 v2, v1
.LBB1424_4:
	s_or_b64 exec, exec, s[2:3]
	v_mov_b32_e32 v1, 0
	s_load_dword s6, s[4:5], 0x8
	s_load_dword s2, s[4:5], 0x70
	s_waitcnt lgkmcnt(0)
	s_barrier
	ds_read_b32 v5, v1
	s_waitcnt lgkmcnt(0)
	s_barrier
	global_load_dwordx2 v[3:4], v1, s[26:27]
	s_add_i32 s4, s2, -1
	s_mulk_i32 s2, 0xd00
	s_add_i32 s3, s2, s28
	s_sub_i32 s33, s30, s3
	s_add_i32 s6, s6, s28
	s_addk_i32 s33, 0xd00
	s_add_u32 s2, s28, s2
	s_addc_u32 s3, s29, 0
	v_mov_b32_e32 v1, s2
	v_mov_b32_e32 v2, s3
	v_readfirstlane_b32 s43, v5
	v_cmp_gt_u64_e32 vcc, s[30:31], v[1:2]
	s_cmp_eq_u32 s43, s4
	v_cmp_ne_u32_e64 s[2:3], s4, v5
	s_cselect_b64 s[26:27], -1, 0
	s_or_b64 s[4:5], vcc, s[2:3]
	s_mul_i32 s42, s43, 0xd00
	s_mov_b64 s[2:3], -1
	s_and_b64 vcc, exec, s[4:5]
	v_lshlrev_b32_e32 v25, 2, v0
	s_cbranch_vccz .LBB1424_6
; %bb.5:
	s_add_i32 s2, s42, s6
	v_add_u32_e32 v1, s2, v0
	v_add_u32_e32 v2, 0x100, v1
	;; [unrolled: 1-line block ×13, first 2 shown]
	ds_write2st64_b32 v25, v1, v2 offset1:4
	ds_write2st64_b32 v25, v5, v6 offset0:8 offset1:12
	ds_write2st64_b32 v25, v7, v8 offset0:16 offset1:20
	;; [unrolled: 1-line block ×5, first 2 shown]
	ds_write_b32 v25, v15 offset:12288
	s_waitcnt vmcnt(0) lgkmcnt(0)
	s_barrier
	s_mov_b64 s[2:3], 0
.LBB1424_6:
	s_andn2_b64 vcc, exec, s[2:3]
	v_cmp_gt_u32_e64 s[2:3], s33, v0
	s_cbranch_vccnz .LBB1424_8
; %bb.7:
	s_add_i32 s6, s42, s6
	v_or_b32_e32 v2, 0x100, v0
	v_add_u32_e32 v5, s6, v2
	v_cmp_gt_u32_e32 vcc, s33, v2
	v_cndmask_b32_e32 v2, 0, v5, vcc
	v_or_b32_e32 v5, 0x200, v0
	v_add_u32_e32 v6, s6, v5
	v_cmp_gt_u32_e32 vcc, s33, v5
	v_cndmask_b32_e32 v5, 0, v6, vcc
	;; [unrolled: 4-line block ×10, first 2 shown]
	v_or_b32_e32 v14, 0xb00, v0
	v_add_u32_e32 v15, s6, v14
	v_cmp_gt_u32_e32 vcc, s33, v14
	v_add_u32_e32 v1, s6, v0
	v_cndmask_b32_e32 v14, 0, v15, vcc
	v_or_b32_e32 v15, 0xc00, v0
	v_cndmask_b32_e64 v1, 0, v1, s[2:3]
	v_add_u32_e32 v16, s6, v15
	v_cmp_gt_u32_e32 vcc, s33, v15
	v_cndmask_b32_e32 v15, 0, v16, vcc
	ds_write2st64_b32 v25, v1, v2 offset1:4
	ds_write2st64_b32 v25, v5, v6 offset0:8 offset1:12
	ds_write2st64_b32 v25, v7, v8 offset0:16 offset1:20
	;; [unrolled: 1-line block ×5, first 2 shown]
	ds_write_b32 v25, v15 offset:12288
	s_waitcnt vmcnt(0) lgkmcnt(0)
	s_barrier
.LBB1424_8:
	v_mul_u32_u24_e32 v27, 13, v0
	v_lshlrev_b32_e32 v1, 2, v27
	ds_read2_b32 v[15:16], v1 offset1:1
	ds_read2_b32 v[13:14], v1 offset0:2 offset1:3
	ds_read2_b32 v[11:12], v1 offset0:4 offset1:5
	;; [unrolled: 1-line block ×5, first 2 shown]
	ds_read_b32 v26, v1 offset:48
	v_cndmask_b32_e64 v1, 0, 1, s[4:5]
	v_cmp_ne_u32_e64 s[2:3], 1, v1
	s_andn2_b64 vcc, exec, s[4:5]
	s_waitcnt vmcnt(0) lgkmcnt(0)
	s_barrier
	s_cbranch_vccnz .LBB1424_10
; %bb.9:
	v_add_u32_e32 v1, s9, v15
	v_add_u32_e32 v2, s11, v15
	v_mul_lo_u32 v1, v1, s8
	v_mul_lo_u32 v2, v2, s10
	v_add_u32_e32 v17, s9, v13
	v_add_u32_e32 v18, s11, v13
	v_mul_lo_u32 v17, v17, s8
	v_sub_u32_e32 v1, v1, v2
	v_cmp_lt_u32_e32 vcc, s14, v1
	v_add_u32_e32 v1, s9, v16
	v_add_u32_e32 v2, s11, v16
	v_mul_lo_u32 v1, v1, s8
	v_mul_lo_u32 v2, v2, s10
	;; [unrolled: 1-line block ×3, first 2 shown]
	v_cndmask_b32_e64 v28, 0, 1, vcc
	v_sub_u32_e32 v1, v1, v2
	v_cmp_lt_u32_e32 vcc, s14, v1
	v_sub_u32_e32 v1, v17, v18
	v_cndmask_b32_e64 v29, 0, 1, vcc
	v_cmp_lt_u32_e32 vcc, s14, v1
	v_add_u32_e32 v1, s9, v14
	v_add_u32_e32 v2, s11, v14
	v_mul_lo_u32 v1, v1, s8
	v_mul_lo_u32 v2, v2, s10
	v_add_u32_e32 v17, s9, v11
	v_add_u32_e32 v18, s11, v11
	v_mul_lo_u32 v17, v17, s8
	v_mul_lo_u32 v18, v18, s10
	v_sub_u32_e32 v1, v1, v2
	v_cndmask_b32_e64 v30, 0, 1, vcc
	v_cmp_lt_u32_e32 vcc, s14, v1
	v_sub_u32_e32 v1, v17, v18
	v_cndmask_b32_e64 v31, 0, 1, vcc
	v_cmp_lt_u32_e32 vcc, s14, v1
	v_add_u32_e32 v1, s9, v12
	v_add_u32_e32 v2, s11, v12
	v_mul_lo_u32 v1, v1, s8
	v_mul_lo_u32 v2, v2, s10
	v_add_u32_e32 v17, s9, v9
	v_add_u32_e32 v18, s11, v9
	v_mul_lo_u32 v17, v17, s8
	v_mul_lo_u32 v18, v18, s10
	v_sub_u32_e32 v1, v1, v2
	v_cndmask_b32_e64 v32, 0, 1, vcc
	;; [unrolled: 14-line block ×5, first 2 shown]
	v_cmp_lt_u32_e32 vcc, s14, v1
	v_sub_u32_e32 v1, v17, v18
	v_cndmask_b32_e64 v39, 0, 1, vcc
	v_cmp_lt_u32_e64 s[36:37], s14, v1
	s_cbranch_execz .LBB1424_11
	s_branch .LBB1424_38
.LBB1424_10:
                                        ; implicit-def: $sgpr36_sgpr37
                                        ; implicit-def: $vgpr39
                                        ; implicit-def: $vgpr38
                                        ; implicit-def: $vgpr37
                                        ; implicit-def: $vgpr36
                                        ; implicit-def: $vgpr35
                                        ; implicit-def: $vgpr34
                                        ; implicit-def: $vgpr33
                                        ; implicit-def: $vgpr32
                                        ; implicit-def: $vgpr28
                                        ; implicit-def: $vgpr29
                                        ; implicit-def: $vgpr30
                                        ; implicit-def: $vgpr31
.LBB1424_11:
	v_cmp_gt_u32_e32 vcc, s33, v27
	v_mov_b32_e32 v29, 0
	v_mov_b32_e32 v28, 0
	s_and_saveexec_b64 s[4:5], vcc
	s_cbranch_execz .LBB1424_13
; %bb.12:
	v_add_u32_e32 v1, s9, v15
	v_add_u32_e32 v2, s11, v15
	v_mul_lo_u32 v1, v1, s8
	v_mul_lo_u32 v2, v2, s10
	v_sub_u32_e32 v1, v1, v2
	v_cmp_lt_u32_e32 vcc, s14, v1
	v_cndmask_b32_e64 v28, 0, 1, vcc
.LBB1424_13:
	s_or_b64 exec, exec, s[4:5]
	v_add_u32_e32 v1, 1, v27
	v_cmp_gt_u32_e32 vcc, s33, v1
	s_and_saveexec_b64 s[4:5], vcc
	s_cbranch_execz .LBB1424_15
; %bb.14:
	v_add_u32_e32 v1, s9, v16
	v_add_u32_e32 v2, s11, v16
	v_mul_lo_u32 v1, v1, s8
	v_mul_lo_u32 v2, v2, s10
	v_sub_u32_e32 v1, v1, v2
	v_cmp_lt_u32_e32 vcc, s14, v1
	v_cndmask_b32_e64 v29, 0, 1, vcc
.LBB1424_15:
	s_or_b64 exec, exec, s[4:5]
	v_add_u32_e32 v1, 2, v27
	v_cmp_gt_u32_e32 vcc, s33, v1
	v_mov_b32_e32 v31, 0
	v_mov_b32_e32 v30, 0
	s_and_saveexec_b64 s[4:5], vcc
	s_cbranch_execz .LBB1424_17
; %bb.16:
	v_add_u32_e32 v1, s9, v13
	v_add_u32_e32 v2, s11, v13
	v_mul_lo_u32 v1, v1, s8
	v_mul_lo_u32 v2, v2, s10
	v_sub_u32_e32 v1, v1, v2
	v_cmp_lt_u32_e32 vcc, s14, v1
	v_cndmask_b32_e64 v30, 0, 1, vcc
.LBB1424_17:
	s_or_b64 exec, exec, s[4:5]
	v_add_u32_e32 v1, 3, v27
	v_cmp_gt_u32_e32 vcc, s33, v1
	s_and_saveexec_b64 s[4:5], vcc
	s_cbranch_execz .LBB1424_19
; %bb.18:
	v_add_u32_e32 v1, s9, v14
	v_add_u32_e32 v2, s11, v14
	v_mul_lo_u32 v1, v1, s8
	v_mul_lo_u32 v2, v2, s10
	v_sub_u32_e32 v1, v1, v2
	v_cmp_lt_u32_e32 vcc, s14, v1
	v_cndmask_b32_e64 v31, 0, 1, vcc
.LBB1424_19:
	s_or_b64 exec, exec, s[4:5]
	v_add_u32_e32 v1, 4, v27
	;; [unrolled: 30-line block ×6, first 2 shown]
	v_cmp_gt_u32_e32 vcc, s33, v1
	s_mov_b64 s[36:37], 0
	s_and_saveexec_b64 s[4:5], vcc
	s_cbranch_execz .LBB1424_37
; %bb.36:
	v_add_u32_e32 v1, s9, v26
	v_add_u32_e32 v2, s11, v26
	v_mul_lo_u32 v1, v1, s8
	v_mul_lo_u32 v2, v2, s10
	v_sub_u32_e32 v1, v1, v2
	v_cmp_lt_u32_e32 vcc, s14, v1
	s_and_b64 s[36:37], vcc, exec
.LBB1424_37:
	s_or_b64 exec, exec, s[4:5]
.LBB1424_38:
	v_and_b32_e32 v42, 0xff, v29
	v_and_b32_e32 v43, 0xff, v30
	;; [unrolled: 1-line block ×5, first 2 shown]
	v_add3_u32 v2, v43, v44, v42
	v_and_b32_e32 v46, 0xff, v33
	v_and_b32_e32 v47, 0xff, v34
	v_add3_u32 v2, v2, v41, v45
	v_and_b32_e32 v48, 0xff, v35
	v_and_b32_e32 v49, 0xff, v36
	;; [unrolled: 3-line block ×3, first 2 shown]
	v_add3_u32 v2, v2, v48, v49
	v_and_b32_e32 v40, 0xff, v39
	v_cndmask_b32_e64 v1, 0, 1, s[36:37]
	v_add3_u32 v2, v2, v50, v51
	v_add3_u32 v54, v2, v40, v1
	v_mbcnt_lo_u32_b32 v1, -1, 0
	v_mbcnt_hi_u32_b32 v52, -1, v1
	v_and_b32_e32 v1, 15, v52
	v_cmp_eq_u32_e64 s[16:17], 0, v1
	v_cmp_lt_u32_e64 s[14:15], 1, v1
	v_cmp_lt_u32_e64 s[12:13], 3, v1
	;; [unrolled: 1-line block ×3, first 2 shown]
	v_and_b32_e32 v1, 16, v52
	v_cmp_eq_u32_e64 s[8:9], 0, v1
	v_or_b32_e32 v1, 63, v0
	s_cmp_lg_u32 s43, 0
	v_cmp_lt_u32_e64 s[4:5], 31, v52
	v_lshrrev_b32_e32 v53, 6, v0
	v_cmp_eq_u32_e64 s[6:7], v0, v1
	s_cbranch_scc0 .LBB1424_60
; %bb.39:
	v_mov_b32_dpp v1, v54 row_shr:1 row_mask:0xf bank_mask:0xf
	v_cndmask_b32_e64 v1, v1, 0, s[16:17]
	v_add_u32_e32 v1, v1, v54
	s_nop 1
	v_mov_b32_dpp v2, v1 row_shr:2 row_mask:0xf bank_mask:0xf
	v_cndmask_b32_e64 v2, 0, v2, s[14:15]
	v_add_u32_e32 v1, v1, v2
	s_nop 1
	v_mov_b32_dpp v2, v1 row_shr:4 row_mask:0xf bank_mask:0xf
	v_cndmask_b32_e64 v2, 0, v2, s[12:13]
	v_add_u32_e32 v1, v1, v2
	s_nop 1
	v_mov_b32_dpp v2, v1 row_shr:8 row_mask:0xf bank_mask:0xf
	v_cndmask_b32_e64 v2, 0, v2, s[10:11]
	v_add_u32_e32 v1, v1, v2
	s_nop 1
	v_mov_b32_dpp v2, v1 row_bcast:15 row_mask:0xf bank_mask:0xf
	v_cndmask_b32_e64 v2, v2, 0, s[8:9]
	v_add_u32_e32 v1, v1, v2
	s_nop 1
	v_mov_b32_dpp v2, v1 row_bcast:31 row_mask:0xf bank_mask:0xf
	v_cndmask_b32_e64 v2, 0, v2, s[4:5]
	v_add_u32_e32 v1, v1, v2
	s_and_saveexec_b64 s[18:19], s[6:7]
; %bb.40:
	v_lshlrev_b32_e32 v2, 2, v53
	ds_write_b32 v2, v1
; %bb.41:
	s_or_b64 exec, exec, s[18:19]
	v_cmp_gt_u32_e32 vcc, 4, v0
	s_waitcnt lgkmcnt(0)
	s_barrier
	s_and_saveexec_b64 s[18:19], vcc
	s_cbranch_execz .LBB1424_43
; %bb.42:
	ds_read_b32 v2, v25
	v_and_b32_e32 v17, 3, v52
	v_cmp_ne_u32_e32 vcc, 0, v17
	s_waitcnt lgkmcnt(0)
	v_mov_b32_dpp v18, v2 row_shr:1 row_mask:0xf bank_mask:0xf
	v_cndmask_b32_e32 v18, 0, v18, vcc
	v_add_u32_e32 v2, v18, v2
	v_cmp_lt_u32_e32 vcc, 1, v17
	s_nop 0
	v_mov_b32_dpp v18, v2 row_shr:2 row_mask:0xf bank_mask:0xf
	v_cndmask_b32_e32 v17, 0, v18, vcc
	v_add_u32_e32 v2, v2, v17
	ds_write_b32 v25, v2
.LBB1424_43:
	s_or_b64 exec, exec, s[18:19]
	v_cmp_gt_u32_e32 vcc, 64, v0
	v_cmp_lt_u32_e64 s[18:19], 63, v0
	s_waitcnt lgkmcnt(0)
	s_barrier
                                        ; implicit-def: $vgpr55
	s_and_saveexec_b64 s[20:21], s[18:19]
	s_cbranch_execz .LBB1424_45
; %bb.44:
	v_lshl_add_u32 v2, v53, 2, -4
	ds_read_b32 v55, v2
	s_waitcnt lgkmcnt(0)
	v_add_u32_e32 v1, v55, v1
.LBB1424_45:
	s_or_b64 exec, exec, s[20:21]
	v_subrev_co_u32_e64 v2, s[18:19], 1, v52
	v_and_b32_e32 v17, 64, v52
	v_cmp_lt_i32_e64 s[20:21], v2, v17
	v_cndmask_b32_e64 v2, v2, v52, s[20:21]
	v_lshlrev_b32_e32 v2, 2, v2
	ds_bpermute_b32 v56, v2, v1
	s_and_saveexec_b64 s[20:21], vcc
	s_cbranch_execz .LBB1424_65
; %bb.46:
	v_mov_b32_e32 v21, 0
	ds_read_b32 v1, v21 offset:12
	s_and_saveexec_b64 s[38:39], s[18:19]
	s_cbranch_execz .LBB1424_48
; %bb.47:
	s_add_i32 s40, s43, 64
	s_mov_b32 s41, 0
	s_lshl_b64 s[40:41], s[40:41], 3
	s_add_u32 s40, s34, s40
	v_mov_b32_e32 v2, 1
	s_addc_u32 s41, s35, s41
	s_waitcnt lgkmcnt(0)
	global_store_dwordx2 v21, v[1:2], s[40:41]
.LBB1424_48:
	s_or_b64 exec, exec, s[38:39]
	v_xad_u32 v17, v52, -1, s43
	v_add_u32_e32 v20, 64, v17
	v_lshlrev_b64 v[18:19], 3, v[20:21]
	v_mov_b32_e32 v2, s35
	v_add_co_u32_e32 v22, vcc, s34, v18
	v_addc_co_u32_e32 v23, vcc, v2, v19, vcc
	global_load_dwordx2 v[19:20], v[22:23], off glc
	s_waitcnt vmcnt(0)
	v_cmp_eq_u16_sdwa s[40:41], v20, v21 src0_sel:BYTE_0 src1_sel:DWORD
	s_and_saveexec_b64 s[38:39], s[40:41]
	s_cbranch_execz .LBB1424_52
; %bb.49:
	s_mov_b64 s[40:41], 0
	v_mov_b32_e32 v2, 0
.LBB1424_50:                            ; =>This Inner Loop Header: Depth=1
	global_load_dwordx2 v[19:20], v[22:23], off glc
	s_waitcnt vmcnt(0)
	v_cmp_ne_u16_sdwa s[44:45], v20, v2 src0_sel:BYTE_0 src1_sel:DWORD
	s_or_b64 s[40:41], s[44:45], s[40:41]
	s_andn2_b64 exec, exec, s[40:41]
	s_cbranch_execnz .LBB1424_50
; %bb.51:
	s_or_b64 exec, exec, s[40:41]
.LBB1424_52:
	s_or_b64 exec, exec, s[38:39]
	v_and_b32_e32 v58, 63, v52
	v_mov_b32_e32 v57, 2
	v_lshlrev_b64 v[21:22], v52, -1
	v_cmp_ne_u32_e32 vcc, 63, v58
	v_cmp_eq_u16_sdwa s[38:39], v20, v57 src0_sel:BYTE_0 src1_sel:DWORD
	v_addc_co_u32_e32 v23, vcc, 0, v52, vcc
	v_and_b32_e32 v2, s39, v22
	v_lshlrev_b32_e32 v59, 2, v23
	v_or_b32_e32 v2, 0x80000000, v2
	ds_bpermute_b32 v23, v59, v19
	v_and_b32_e32 v18, s38, v21
	v_ffbl_b32_e32 v2, v2
	v_add_u32_e32 v2, 32, v2
	v_ffbl_b32_e32 v18, v18
	v_min_u32_e32 v2, v18, v2
	v_cmp_lt_u32_e32 vcc, v58, v2
	s_waitcnt lgkmcnt(0)
	v_cndmask_b32_e32 v18, 0, v23, vcc
	v_cmp_gt_u32_e32 vcc, 62, v58
	v_add_u32_e32 v18, v18, v19
	v_cndmask_b32_e64 v19, 0, 2, vcc
	v_add_lshl_u32 v60, v19, v52, 2
	ds_bpermute_b32 v19, v60, v18
	v_add_u32_e32 v61, 2, v58
	v_cmp_le_u32_e32 vcc, v61, v2
	v_add_u32_e32 v63, 4, v58
	v_add_u32_e32 v65, 8, v58
	s_waitcnt lgkmcnt(0)
	v_cndmask_b32_e32 v19, 0, v19, vcc
	v_cmp_gt_u32_e32 vcc, 60, v58
	v_add_u32_e32 v18, v18, v19
	v_cndmask_b32_e64 v19, 0, 4, vcc
	v_add_lshl_u32 v62, v19, v52, 2
	ds_bpermute_b32 v19, v62, v18
	v_cmp_le_u32_e32 vcc, v63, v2
	v_add_u32_e32 v67, 16, v58
	v_add_u32_e32 v69, 32, v58
	s_waitcnt lgkmcnt(0)
	v_cndmask_b32_e32 v19, 0, v19, vcc
	v_cmp_gt_u32_e32 vcc, 56, v58
	v_add_u32_e32 v18, v18, v19
	v_cndmask_b32_e64 v19, 0, 8, vcc
	v_add_lshl_u32 v64, v19, v52, 2
	ds_bpermute_b32 v19, v64, v18
	v_cmp_le_u32_e32 vcc, v65, v2
	s_waitcnt lgkmcnt(0)
	v_cndmask_b32_e32 v19, 0, v19, vcc
	v_cmp_gt_u32_e32 vcc, 48, v58
	v_add_u32_e32 v18, v18, v19
	v_cndmask_b32_e64 v19, 0, 16, vcc
	v_add_lshl_u32 v66, v19, v52, 2
	ds_bpermute_b32 v19, v66, v18
	v_cmp_le_u32_e32 vcc, v67, v2
	s_waitcnt lgkmcnt(0)
	v_cndmask_b32_e32 v19, 0, v19, vcc
	v_add_u32_e32 v18, v18, v19
	v_mov_b32_e32 v19, 0x80
	v_lshl_or_b32 v68, v52, 2, v19
	ds_bpermute_b32 v19, v68, v18
	v_cmp_le_u32_e32 vcc, v69, v2
	s_waitcnt lgkmcnt(0)
	v_cndmask_b32_e32 v2, 0, v19, vcc
	v_add_u32_e32 v19, v18, v2
	v_mov_b32_e32 v18, 0
	s_branch .LBB1424_56
.LBB1424_53:                            ;   in Loop: Header=BB1424_56 Depth=1
	s_or_b64 exec, exec, s[40:41]
.LBB1424_54:                            ;   in Loop: Header=BB1424_56 Depth=1
	s_or_b64 exec, exec, s[38:39]
	v_cmp_eq_u16_sdwa s[38:39], v20, v57 src0_sel:BYTE_0 src1_sel:DWORD
	v_and_b32_e32 v23, s39, v22
	v_or_b32_e32 v23, 0x80000000, v23
	ds_bpermute_b32 v70, v59, v19
	v_and_b32_e32 v24, s38, v21
	v_ffbl_b32_e32 v23, v23
	v_add_u32_e32 v23, 32, v23
	v_ffbl_b32_e32 v24, v24
	v_min_u32_e32 v23, v24, v23
	v_cmp_lt_u32_e32 vcc, v58, v23
	s_waitcnt lgkmcnt(0)
	v_cndmask_b32_e32 v24, 0, v70, vcc
	v_add_u32_e32 v19, v24, v19
	ds_bpermute_b32 v24, v60, v19
	v_cmp_le_u32_e32 vcc, v61, v23
	v_subrev_u32_e32 v17, 64, v17
	s_mov_b64 s[38:39], 0
	s_waitcnt lgkmcnt(0)
	v_cndmask_b32_e32 v24, 0, v24, vcc
	v_add_u32_e32 v19, v19, v24
	ds_bpermute_b32 v24, v62, v19
	v_cmp_le_u32_e32 vcc, v63, v23
	s_waitcnt lgkmcnt(0)
	v_cndmask_b32_e32 v24, 0, v24, vcc
	v_add_u32_e32 v19, v19, v24
	ds_bpermute_b32 v24, v64, v19
	v_cmp_le_u32_e32 vcc, v65, v23
	;; [unrolled: 5-line block ×4, first 2 shown]
	s_waitcnt lgkmcnt(0)
	v_cndmask_b32_e32 v23, 0, v24, vcc
	v_add3_u32 v19, v23, v2, v19
.LBB1424_55:                            ;   in Loop: Header=BB1424_56 Depth=1
	s_and_b64 vcc, exec, s[38:39]
	s_cbranch_vccnz .LBB1424_61
.LBB1424_56:                            ; =>This Loop Header: Depth=1
                                        ;     Child Loop BB1424_59 Depth 2
	v_cmp_ne_u16_sdwa s[38:39], v20, v57 src0_sel:BYTE_0 src1_sel:DWORD
	v_mov_b32_e32 v2, v19
	s_cmp_lg_u64 s[38:39], exec
	s_mov_b64 s[38:39], -1
                                        ; implicit-def: $vgpr19
                                        ; implicit-def: $vgpr20
	s_cbranch_scc1 .LBB1424_55
; %bb.57:                               ;   in Loop: Header=BB1424_56 Depth=1
	v_lshlrev_b64 v[19:20], 3, v[17:18]
	v_mov_b32_e32 v24, s35
	v_add_co_u32_e32 v23, vcc, s34, v19
	v_addc_co_u32_e32 v24, vcc, v24, v20, vcc
	global_load_dwordx2 v[19:20], v[23:24], off glc
	s_waitcnt vmcnt(0)
	v_cmp_eq_u16_sdwa s[40:41], v20, v18 src0_sel:BYTE_0 src1_sel:DWORD
	s_and_saveexec_b64 s[38:39], s[40:41]
	s_cbranch_execz .LBB1424_54
; %bb.58:                               ;   in Loop: Header=BB1424_56 Depth=1
	s_mov_b64 s[40:41], 0
.LBB1424_59:                            ;   Parent Loop BB1424_56 Depth=1
                                        ; =>  This Inner Loop Header: Depth=2
	global_load_dwordx2 v[19:20], v[23:24], off glc
	s_waitcnt vmcnt(0)
	v_cmp_ne_u16_sdwa s[44:45], v20, v18 src0_sel:BYTE_0 src1_sel:DWORD
	s_or_b64 s[40:41], s[44:45], s[40:41]
	s_andn2_b64 exec, exec, s[40:41]
	s_cbranch_execnz .LBB1424_59
	s_branch .LBB1424_53
.LBB1424_60:
                                        ; implicit-def: $vgpr2
                                        ; implicit-def: $vgpr17
	s_cbranch_execnz .LBB1424_66
	s_branch .LBB1424_75
.LBB1424_61:
	s_and_saveexec_b64 s[38:39], s[18:19]
	s_cbranch_execz .LBB1424_63
; %bb.62:
	s_add_i32 s40, s43, 64
	s_mov_b32 s41, 0
	s_lshl_b64 s[40:41], s[40:41], 3
	s_add_u32 s40, s34, s40
	v_add_u32_e32 v17, v2, v1
	v_mov_b32_e32 v18, 2
	s_addc_u32 s41, s35, s41
	v_mov_b32_e32 v19, 0
	global_store_dwordx2 v19, v[17:18], s[40:41]
	ds_write_b64 v19, v[1:2] offset:13312
.LBB1424_63:
	s_or_b64 exec, exec, s[38:39]
	s_and_b64 exec, exec, s[0:1]
; %bb.64:
	v_mov_b32_e32 v1, 0
	ds_write_b32 v1, v2 offset:12
.LBB1424_65:
	s_or_b64 exec, exec, s[20:21]
	v_mov_b32_e32 v1, 0
	s_waitcnt vmcnt(0) lgkmcnt(0)
	s_barrier
	ds_read_b32 v17, v1 offset:12
	s_waitcnt lgkmcnt(0)
	s_barrier
	ds_read_b64 v[1:2], v1 offset:13312
	v_cndmask_b32_e64 v18, v56, v55, s[18:19]
	v_cndmask_b32_e64 v18, v18, 0, s[0:1]
	v_add_u32_e32 v17, v17, v18
	s_branch .LBB1424_75
.LBB1424_66:
	s_waitcnt lgkmcnt(0)
	v_mov_b32_dpp v1, v54 row_shr:1 row_mask:0xf bank_mask:0xf
	v_cndmask_b32_e64 v1, v1, 0, s[16:17]
	v_add_u32_e32 v1, v1, v54
	s_nop 1
	v_mov_b32_dpp v2, v1 row_shr:2 row_mask:0xf bank_mask:0xf
	v_cndmask_b32_e64 v2, 0, v2, s[14:15]
	v_add_u32_e32 v1, v1, v2
	s_nop 1
	;; [unrolled: 4-line block ×4, first 2 shown]
	v_mov_b32_dpp v2, v1 row_bcast:15 row_mask:0xf bank_mask:0xf
	v_cndmask_b32_e64 v2, v2, 0, s[8:9]
	v_add_u32_e32 v1, v1, v2
	s_nop 1
	v_mov_b32_dpp v2, v1 row_bcast:31 row_mask:0xf bank_mask:0xf
	v_cndmask_b32_e64 v2, 0, v2, s[4:5]
	v_add_u32_e32 v1, v1, v2
	s_and_saveexec_b64 s[4:5], s[6:7]
; %bb.67:
	v_lshlrev_b32_e32 v2, 2, v53
	ds_write_b32 v2, v1
; %bb.68:
	s_or_b64 exec, exec, s[4:5]
	v_cmp_gt_u32_e32 vcc, 4, v0
	s_waitcnt lgkmcnt(0)
	s_barrier
	s_and_saveexec_b64 s[4:5], vcc
	s_cbranch_execz .LBB1424_70
; %bb.69:
	ds_read_b32 v2, v25
	v_and_b32_e32 v17, 3, v52
	v_cmp_ne_u32_e32 vcc, 0, v17
	s_waitcnt lgkmcnt(0)
	v_mov_b32_dpp v18, v2 row_shr:1 row_mask:0xf bank_mask:0xf
	v_cndmask_b32_e32 v18, 0, v18, vcc
	v_add_u32_e32 v2, v18, v2
	v_cmp_lt_u32_e32 vcc, 1, v17
	s_nop 0
	v_mov_b32_dpp v18, v2 row_shr:2 row_mask:0xf bank_mask:0xf
	v_cndmask_b32_e32 v17, 0, v18, vcc
	v_add_u32_e32 v2, v2, v17
	ds_write_b32 v25, v2
.LBB1424_70:
	s_or_b64 exec, exec, s[4:5]
	v_cmp_lt_u32_e32 vcc, 63, v0
	v_mov_b32_e32 v2, 0
	v_mov_b32_e32 v17, 0
	s_waitcnt lgkmcnt(0)
	s_barrier
	s_and_saveexec_b64 s[4:5], vcc
; %bb.71:
	v_lshl_add_u32 v17, v53, 2, -4
	ds_read_b32 v17, v17
; %bb.72:
	s_or_b64 exec, exec, s[4:5]
	v_subrev_co_u32_e32 v18, vcc, 1, v52
	v_and_b32_e32 v19, 64, v52
	v_cmp_lt_i32_e64 s[4:5], v18, v19
	v_cndmask_b32_e64 v18, v18, v52, s[4:5]
	s_waitcnt lgkmcnt(0)
	v_add_u32_e32 v1, v17, v1
	v_lshlrev_b32_e32 v18, 2, v18
	ds_bpermute_b32 v18, v18, v1
	ds_read_b32 v1, v2 offset:12
	s_and_saveexec_b64 s[4:5], s[0:1]
	s_cbranch_execz .LBB1424_74
; %bb.73:
	v_mov_b32_e32 v19, 0
	v_mov_b32_e32 v2, 2
	s_waitcnt lgkmcnt(0)
	global_store_dwordx2 v19, v[1:2], s[34:35] offset:512
.LBB1424_74:
	s_or_b64 exec, exec, s[4:5]
	s_waitcnt lgkmcnt(1)
	v_cndmask_b32_e32 v2, v18, v17, vcc
	v_cndmask_b32_e64 v17, v2, 0, s[0:1]
	s_waitcnt vmcnt(0) lgkmcnt(0)
	s_barrier
	v_mov_b32_e32 v2, 0
.LBB1424_75:
	v_add_u32_e32 v18, v17, v41
	v_add_u32_e32 v19, v18, v42
	;; [unrolled: 1-line block ×4, first 2 shown]
	s_waitcnt lgkmcnt(0)
	v_add_u32_e32 v27, v1, v27
	v_sub_u32_e32 v17, v17, v2
	v_and_b32_e32 v28, 1, v28
	v_add_u32_e32 v22, v21, v45
	v_sub_u32_e32 v45, v27, v17
	v_cmp_eq_u32_e32 vcc, 1, v28
	v_cndmask_b32_e32 v17, v45, v17, vcc
	v_lshlrev_b32_e32 v17, 2, v17
	ds_write_b32 v17, v15
	v_sub_u32_e32 v15, v18, v2
	v_sub_u32_e32 v17, v27, v15
	v_and_b32_e32 v18, 1, v29
	v_add_u32_e32 v17, 1, v17
	v_cmp_eq_u32_e32 vcc, 1, v18
	v_cndmask_b32_e32 v15, v17, v15, vcc
	v_lshlrev_b32_e32 v15, 2, v15
	ds_write_b32 v15, v16
	v_sub_u32_e32 v15, v19, v2
	v_sub_u32_e32 v16, v27, v15
	v_and_b32_e32 v17, 1, v30
	v_add_u32_e32 v16, 2, v16
	;; [unrolled: 8-line block ×5, first 2 shown]
	v_cmp_eq_u32_e32 vcc, 1, v14
	v_cndmask_b32_e32 v11, v13, v11, vcc
	v_add_u32_e32 v23, v22, v46
	v_lshlrev_b32_e32 v11, 2, v11
	ds_write_b32 v11, v12
	v_sub_u32_e32 v11, v23, v2
	v_sub_u32_e32 v12, v27, v11
	v_and_b32_e32 v13, 1, v34
	v_add_u32_e32 v12, 6, v12
	v_cmp_eq_u32_e32 vcc, 1, v13
	v_cndmask_b32_e32 v11, v12, v11, vcc
	v_add_u32_e32 v24, v23, v47
	v_lshlrev_b32_e32 v11, 2, v11
	ds_write_b32 v11, v9
	v_sub_u32_e32 v9, v24, v2
	v_sub_u32_e32 v11, v27, v9
	v_and_b32_e32 v12, 1, v35
	v_add_u32_e32 v11, 7, v11
	;; [unrolled: 9-line block ×6, first 2 shown]
	v_cmp_eq_u32_e32 vcc, 1, v8
	v_cndmask_b32_e32 v5, v7, v5, vcc
	v_lshlrev_b32_e32 v5, 2, v5
	ds_write_b32 v5, v6
	v_sub_u32_e32 v5, v40, v2
	v_add_u32_e32 v5, v44, v5
	v_sub_u32_e32 v6, v27, v5
	v_add_u32_e32 v6, 12, v6
	v_cndmask_b32_e64 v5, v6, v5, s[36:37]
	v_lshlrev_b32_e32 v5, 2, v5
	ds_write_b32 v5, v26
	s_waitcnt lgkmcnt(0)
	s_barrier
	ds_read2st64_b32 v[15:16], v25 offset1:4
	ds_read2st64_b32 v[13:14], v25 offset0:8 offset1:12
	ds_read2st64_b32 v[11:12], v25 offset0:16 offset1:20
	;; [unrolled: 1-line block ×5, first 2 shown]
	ds_read_b32 v18, v25 offset:12288
	s_and_b64 vcc, exec, s[2:3]
	v_add_co_u32_e64 v17, s[2:3], v3, v2
	v_or_b32_e32 v32, 0x100, v0
	v_or_b32_e32 v30, 0x200, v0
	;; [unrolled: 1-line block ×12, first 2 shown]
	v_addc_co_u32_e64 v4, s[2:3], 0, v4, s[2:3]
	s_cbranch_vccnz .LBB1424_132
; %bb.76:
	v_mov_b32_e32 v2, s29
	v_subrev_co_u32_e32 v3, vcc, s28, v17
	s_sub_u32 s2, s30, s42
	v_subb_co_u32_e32 v2, vcc, v4, v2, vcc
	s_subb_u32 s3, s31, 0
	v_mov_b32_e32 v25, s3
	v_add_co_u32_e32 v31, vcc, s2, v1
	v_addc_co_u32_e32 v33, vcc, 0, v25, vcc
	v_add_co_u32_e32 v25, vcc, v31, v3
	v_addc_co_u32_e32 v31, vcc, v33, v2, vcc
	v_cmp_ge_u32_e32 vcc, v0, v1
                                        ; implicit-def: $vgpr2_vgpr3
	s_and_saveexec_b64 s[2:3], vcc
	s_xor_b64 s[2:3], exec, s[2:3]
; %bb.77:
	v_not_b32_e32 v2, v0
	v_ashrrev_i32_e32 v3, 31, v2
	v_add_co_u32_e32 v2, vcc, v25, v2
	v_addc_co_u32_e32 v3, vcc, v31, v3, vcc
; %bb.78:
	s_andn2_saveexec_b64 s[2:3], s[2:3]
; %bb.79:
	v_add_co_u32_e32 v2, vcc, v17, v0
	v_addc_co_u32_e32 v3, vcc, 0, v4, vcc
; %bb.80:
	s_or_b64 exec, exec, s[2:3]
	v_lshlrev_b64 v[2:3], 2, v[2:3]
	v_mov_b32_e32 v33, s23
	v_add_co_u32_e32 v2, vcc, s22, v2
	v_addc_co_u32_e32 v3, vcc, v33, v3, vcc
	v_cmp_ge_u32_e32 vcc, v32, v1
	s_waitcnt lgkmcnt(6)
	global_store_dword v[2:3], v15, off
                                        ; implicit-def: $vgpr2_vgpr3
	s_and_saveexec_b64 s[2:3], vcc
	s_xor_b64 s[2:3], exec, s[2:3]
; %bb.81:
	v_xor_b32_e32 v2, 0xfffffeff, v0
	v_ashrrev_i32_e32 v3, 31, v2
	v_add_co_u32_e32 v2, vcc, v25, v2
	v_addc_co_u32_e32 v3, vcc, v31, v3, vcc
; %bb.82:
	s_andn2_saveexec_b64 s[2:3], s[2:3]
; %bb.83:
	v_add_co_u32_e32 v2, vcc, v17, v32
	v_addc_co_u32_e32 v3, vcc, 0, v4, vcc
; %bb.84:
	s_or_b64 exec, exec, s[2:3]
	v_lshlrev_b64 v[2:3], 2, v[2:3]
	v_mov_b32_e32 v33, s23
	v_add_co_u32_e32 v2, vcc, s22, v2
	v_addc_co_u32_e32 v3, vcc, v33, v3, vcc
	v_cmp_ge_u32_e32 vcc, v30, v1
	global_store_dword v[2:3], v16, off
                                        ; implicit-def: $vgpr2_vgpr3
	s_and_saveexec_b64 s[2:3], vcc
	s_xor_b64 s[2:3], exec, s[2:3]
; %bb.85:
	v_xor_b32_e32 v2, 0xfffffdff, v0
	v_ashrrev_i32_e32 v3, 31, v2
	v_add_co_u32_e32 v2, vcc, v25, v2
	v_addc_co_u32_e32 v3, vcc, v31, v3, vcc
; %bb.86:
	s_andn2_saveexec_b64 s[2:3], s[2:3]
; %bb.87:
	v_add_co_u32_e32 v2, vcc, v17, v30
	v_addc_co_u32_e32 v3, vcc, 0, v4, vcc
; %bb.88:
	s_or_b64 exec, exec, s[2:3]
	v_lshlrev_b64 v[2:3], 2, v[2:3]
	v_mov_b32_e32 v33, s23
	v_add_co_u32_e32 v2, vcc, s22, v2
	v_addc_co_u32_e32 v3, vcc, v33, v3, vcc
	v_cmp_ge_u32_e32 vcc, v29, v1
	s_waitcnt lgkmcnt(5)
	global_store_dword v[2:3], v13, off
                                        ; implicit-def: $vgpr2_vgpr3
	s_and_saveexec_b64 s[2:3], vcc
	s_xor_b64 s[2:3], exec, s[2:3]
; %bb.89:
	v_xor_b32_e32 v2, 0xfffffcff, v0
	v_ashrrev_i32_e32 v3, 31, v2
	v_add_co_u32_e32 v2, vcc, v25, v2
	v_addc_co_u32_e32 v3, vcc, v31, v3, vcc
; %bb.90:
	s_andn2_saveexec_b64 s[2:3], s[2:3]
; %bb.91:
	v_add_co_u32_e32 v2, vcc, v17, v29
	v_addc_co_u32_e32 v3, vcc, 0, v4, vcc
; %bb.92:
	s_or_b64 exec, exec, s[2:3]
	v_lshlrev_b64 v[2:3], 2, v[2:3]
	v_mov_b32_e32 v33, s23
	v_add_co_u32_e32 v2, vcc, s22, v2
	v_addc_co_u32_e32 v3, vcc, v33, v3, vcc
	v_cmp_ge_u32_e32 vcc, v28, v1
	global_store_dword v[2:3], v14, off
                                        ; implicit-def: $vgpr2_vgpr3
	s_and_saveexec_b64 s[2:3], vcc
	s_xor_b64 s[2:3], exec, s[2:3]
; %bb.93:
	v_xor_b32_e32 v2, 0xfffffbff, v0
	;; [unrolled: 43-line block ×6, first 2 shown]
	v_ashrrev_i32_e32 v3, 31, v2
	v_add_co_u32_e32 v2, vcc, v25, v2
	v_addc_co_u32_e32 v3, vcc, v31, v3, vcc
; %bb.126:
	s_andn2_saveexec_b64 s[2:3], s[2:3]
; %bb.127:
	v_add_co_u32_e32 v2, vcc, v17, v19
	v_addc_co_u32_e32 v3, vcc, 0, v4, vcc
; %bb.128:
	s_or_b64 exec, exec, s[2:3]
	s_mov_b64 s[2:3], -1
.LBB1424_129:
	s_and_saveexec_b64 s[4:5], s[2:3]
	s_cbranch_execz .LBB1424_212
.LBB1424_130:
	v_lshlrev_b64 v[2:3], 2, v[2:3]
	v_mov_b32_e32 v0, s23
	v_add_co_u32_e32 v2, vcc, s22, v2
	v_addc_co_u32_e32 v3, vcc, v0, v3, vcc
	s_waitcnt lgkmcnt(0)
	global_store_dword v[2:3], v18, off
	s_or_b64 exec, exec, s[4:5]
	s_and_b64 s[0:1], s[0:1], s[26:27]
	s_and_saveexec_b64 s[2:3], s[0:1]
	s_cbranch_execnz .LBB1424_213
.LBB1424_131:
	s_endpgm
.LBB1424_132:
	s_mov_b64 s[2:3], 0
                                        ; implicit-def: $vgpr2_vgpr3
	s_cbranch_execz .LBB1424_129
; %bb.133:
	s_add_u32 s4, s28, s42
	s_addc_u32 s5, s29, 0
	s_sub_u32 s4, s30, s4
	s_subb_u32 s5, s31, s5
	v_mov_b32_e32 v2, s5
	v_add_co_u32_e32 v3, vcc, s4, v1
	v_addc_co_u32_e32 v2, vcc, 0, v2, vcc
	v_add_co_u32_e32 v25, vcc, v3, v17
	v_addc_co_u32_e32 v31, vcc, v2, v4, vcc
	v_cmp_gt_u32_e32 vcc, s33, v0
	s_and_saveexec_b64 s[4:5], vcc
	s_cbranch_execz .LBB1424_169
; %bb.134:
	v_cmp_ge_u32_e32 vcc, v0, v1
                                        ; implicit-def: $vgpr2_vgpr3
	s_and_saveexec_b64 s[6:7], vcc
	s_xor_b64 s[6:7], exec, s[6:7]
; %bb.135:
	v_not_b32_e32 v2, v0
	v_ashrrev_i32_e32 v3, 31, v2
	v_add_co_u32_e32 v2, vcc, v25, v2
	v_addc_co_u32_e32 v3, vcc, v31, v3, vcc
; %bb.136:
	s_andn2_saveexec_b64 s[6:7], s[6:7]
; %bb.137:
	v_add_co_u32_e32 v2, vcc, v17, v0
	v_addc_co_u32_e32 v3, vcc, 0, v4, vcc
; %bb.138:
	s_or_b64 exec, exec, s[6:7]
	v_lshlrev_b64 v[2:3], 2, v[2:3]
	v_mov_b32_e32 v33, s23
	v_add_co_u32_e32 v2, vcc, s22, v2
	v_addc_co_u32_e32 v3, vcc, v33, v3, vcc
	s_waitcnt lgkmcnt(6)
	global_store_dword v[2:3], v15, off
	s_or_b64 exec, exec, s[4:5]
	v_cmp_gt_u32_e32 vcc, s33, v32
	s_and_saveexec_b64 s[4:5], vcc
	s_cbranch_execnz .LBB1424_170
.LBB1424_139:
	s_or_b64 exec, exec, s[4:5]
	v_cmp_gt_u32_e32 vcc, s33, v30
	s_and_saveexec_b64 s[4:5], vcc
	s_cbranch_execz .LBB1424_175
.LBB1424_140:
	v_cmp_ge_u32_e32 vcc, v30, v1
                                        ; implicit-def: $vgpr2_vgpr3
	s_and_saveexec_b64 s[6:7], vcc
	s_xor_b64 s[6:7], exec, s[6:7]
; %bb.141:
	v_xor_b32_e32 v2, 0xfffffdff, v0
	v_ashrrev_i32_e32 v3, 31, v2
	v_add_co_u32_e32 v2, vcc, v25, v2
	v_addc_co_u32_e32 v3, vcc, v31, v3, vcc
                                        ; implicit-def: $vgpr30
; %bb.142:
	s_andn2_saveexec_b64 s[6:7], s[6:7]
; %bb.143:
	v_add_co_u32_e32 v2, vcc, v17, v30
	v_addc_co_u32_e32 v3, vcc, 0, v4, vcc
; %bb.144:
	s_or_b64 exec, exec, s[6:7]
	v_lshlrev_b64 v[2:3], 2, v[2:3]
	s_waitcnt lgkmcnt(6)
	v_mov_b32_e32 v15, s23
	v_add_co_u32_e32 v2, vcc, s22, v2
	v_addc_co_u32_e32 v3, vcc, v15, v3, vcc
	s_waitcnt lgkmcnt(5)
	global_store_dword v[2:3], v13, off
	s_or_b64 exec, exec, s[4:5]
	v_cmp_gt_u32_e32 vcc, s33, v29
	s_and_saveexec_b64 s[4:5], vcc
	s_cbranch_execnz .LBB1424_176
.LBB1424_145:
	s_or_b64 exec, exec, s[4:5]
	v_cmp_gt_u32_e32 vcc, s33, v28
	s_and_saveexec_b64 s[4:5], vcc
	s_cbranch_execz .LBB1424_181
.LBB1424_146:
	v_cmp_ge_u32_e32 vcc, v28, v1
                                        ; implicit-def: $vgpr2_vgpr3
	s_and_saveexec_b64 s[6:7], vcc
	s_xor_b64 s[6:7], exec, s[6:7]
; %bb.147:
	v_xor_b32_e32 v2, 0xfffffbff, v0
	v_ashrrev_i32_e32 v3, 31, v2
	v_add_co_u32_e32 v2, vcc, v25, v2
	v_addc_co_u32_e32 v3, vcc, v31, v3, vcc
                                        ; implicit-def: $vgpr28
; %bb.148:
	s_andn2_saveexec_b64 s[6:7], s[6:7]
; %bb.149:
	v_add_co_u32_e32 v2, vcc, v17, v28
	v_addc_co_u32_e32 v3, vcc, 0, v4, vcc
; %bb.150:
	s_or_b64 exec, exec, s[6:7]
	v_lshlrev_b64 v[2:3], 2, v[2:3]
	s_waitcnt lgkmcnt(5)
	v_mov_b32_e32 v13, s23
	v_add_co_u32_e32 v2, vcc, s22, v2
	v_addc_co_u32_e32 v3, vcc, v13, v3, vcc
	s_waitcnt lgkmcnt(4)
	global_store_dword v[2:3], v11, off
	s_or_b64 exec, exec, s[4:5]
	v_cmp_gt_u32_e32 vcc, s33, v27
	s_and_saveexec_b64 s[4:5], vcc
	s_cbranch_execnz .LBB1424_182
.LBB1424_151:
	s_or_b64 exec, exec, s[4:5]
	v_cmp_gt_u32_e32 vcc, s33, v26
	s_and_saveexec_b64 s[4:5], vcc
	s_cbranch_execz .LBB1424_187
.LBB1424_152:
	v_cmp_ge_u32_e32 vcc, v26, v1
                                        ; implicit-def: $vgpr2_vgpr3
	s_and_saveexec_b64 s[6:7], vcc
	s_xor_b64 s[6:7], exec, s[6:7]
; %bb.153:
	v_xor_b32_e32 v2, 0xfffff9ff, v0
	v_ashrrev_i32_e32 v3, 31, v2
	v_add_co_u32_e32 v2, vcc, v25, v2
	v_addc_co_u32_e32 v3, vcc, v31, v3, vcc
                                        ; implicit-def: $vgpr26
; %bb.154:
	s_andn2_saveexec_b64 s[6:7], s[6:7]
; %bb.155:
	v_add_co_u32_e32 v2, vcc, v17, v26
	v_addc_co_u32_e32 v3, vcc, 0, v4, vcc
; %bb.156:
	s_or_b64 exec, exec, s[6:7]
	v_lshlrev_b64 v[2:3], 2, v[2:3]
	s_waitcnt lgkmcnt(4)
	v_mov_b32_e32 v11, s23
	v_add_co_u32_e32 v2, vcc, s22, v2
	v_addc_co_u32_e32 v3, vcc, v11, v3, vcc
	s_waitcnt lgkmcnt(3)
	global_store_dword v[2:3], v9, off
	s_or_b64 exec, exec, s[4:5]
	v_cmp_gt_u32_e32 vcc, s33, v24
	s_and_saveexec_b64 s[4:5], vcc
	s_cbranch_execnz .LBB1424_188
.LBB1424_157:
	s_or_b64 exec, exec, s[4:5]
	v_cmp_gt_u32_e32 vcc, s33, v23
	s_and_saveexec_b64 s[4:5], vcc
	s_cbranch_execz .LBB1424_193
.LBB1424_158:
	v_cmp_ge_u32_e32 vcc, v23, v1
                                        ; implicit-def: $vgpr2_vgpr3
	s_and_saveexec_b64 s[6:7], vcc
	s_xor_b64 s[6:7], exec, s[6:7]
; %bb.159:
	v_xor_b32_e32 v2, 0xfffff7ff, v0
	v_ashrrev_i32_e32 v3, 31, v2
	v_add_co_u32_e32 v2, vcc, v25, v2
	v_addc_co_u32_e32 v3, vcc, v31, v3, vcc
                                        ; implicit-def: $vgpr23
; %bb.160:
	s_andn2_saveexec_b64 s[6:7], s[6:7]
; %bb.161:
	v_add_co_u32_e32 v2, vcc, v17, v23
	v_addc_co_u32_e32 v3, vcc, 0, v4, vcc
; %bb.162:
	s_or_b64 exec, exec, s[6:7]
	v_lshlrev_b64 v[2:3], 2, v[2:3]
	s_waitcnt lgkmcnt(3)
	v_mov_b32_e32 v9, s23
	v_add_co_u32_e32 v2, vcc, s22, v2
	v_addc_co_u32_e32 v3, vcc, v9, v3, vcc
	s_waitcnt lgkmcnt(2)
	global_store_dword v[2:3], v7, off
	s_or_b64 exec, exec, s[4:5]
	v_cmp_gt_u32_e32 vcc, s33, v22
	s_and_saveexec_b64 s[4:5], vcc
	s_cbranch_execnz .LBB1424_194
.LBB1424_163:
	s_or_b64 exec, exec, s[4:5]
	v_cmp_gt_u32_e32 vcc, s33, v21
	s_and_saveexec_b64 s[4:5], vcc
	s_cbranch_execz .LBB1424_199
.LBB1424_164:
	v_cmp_ge_u32_e32 vcc, v21, v1
                                        ; implicit-def: $vgpr2_vgpr3
	s_and_saveexec_b64 s[6:7], vcc
	s_xor_b64 s[6:7], exec, s[6:7]
; %bb.165:
	v_xor_b32_e32 v2, 0xfffff5ff, v0
	v_ashrrev_i32_e32 v3, 31, v2
	v_add_co_u32_e32 v2, vcc, v25, v2
	v_addc_co_u32_e32 v3, vcc, v31, v3, vcc
                                        ; implicit-def: $vgpr21
; %bb.166:
	s_andn2_saveexec_b64 s[6:7], s[6:7]
; %bb.167:
	v_add_co_u32_e32 v2, vcc, v17, v21
	v_addc_co_u32_e32 v3, vcc, 0, v4, vcc
; %bb.168:
	s_or_b64 exec, exec, s[6:7]
	v_lshlrev_b64 v[2:3], 2, v[2:3]
	s_waitcnt lgkmcnt(2)
	v_mov_b32_e32 v7, s23
	v_add_co_u32_e32 v2, vcc, s22, v2
	v_addc_co_u32_e32 v3, vcc, v7, v3, vcc
	s_waitcnt lgkmcnt(1)
	global_store_dword v[2:3], v5, off
	s_or_b64 exec, exec, s[4:5]
	v_cmp_gt_u32_e32 vcc, s33, v20
	s_and_saveexec_b64 s[4:5], vcc
	s_cbranch_execz .LBB1424_205
	s_branch .LBB1424_200
.LBB1424_169:
	s_or_b64 exec, exec, s[4:5]
	v_cmp_gt_u32_e32 vcc, s33, v32
	s_and_saveexec_b64 s[4:5], vcc
	s_cbranch_execz .LBB1424_139
.LBB1424_170:
	v_cmp_ge_u32_e32 vcc, v32, v1
                                        ; implicit-def: $vgpr2_vgpr3
	s_and_saveexec_b64 s[6:7], vcc
	s_xor_b64 s[6:7], exec, s[6:7]
; %bb.171:
	v_xor_b32_e32 v2, 0xfffffeff, v0
	v_ashrrev_i32_e32 v3, 31, v2
	v_add_co_u32_e32 v2, vcc, v25, v2
	v_addc_co_u32_e32 v3, vcc, v31, v3, vcc
                                        ; implicit-def: $vgpr32
; %bb.172:
	s_andn2_saveexec_b64 s[6:7], s[6:7]
; %bb.173:
	v_add_co_u32_e32 v2, vcc, v17, v32
	v_addc_co_u32_e32 v3, vcc, 0, v4, vcc
; %bb.174:
	s_or_b64 exec, exec, s[6:7]
	v_lshlrev_b64 v[2:3], 2, v[2:3]
	s_waitcnt lgkmcnt(6)
	v_mov_b32_e32 v15, s23
	v_add_co_u32_e32 v2, vcc, s22, v2
	v_addc_co_u32_e32 v3, vcc, v15, v3, vcc
	global_store_dword v[2:3], v16, off
	s_or_b64 exec, exec, s[4:5]
	v_cmp_gt_u32_e32 vcc, s33, v30
	s_and_saveexec_b64 s[4:5], vcc
	s_cbranch_execnz .LBB1424_140
.LBB1424_175:
	s_or_b64 exec, exec, s[4:5]
	v_cmp_gt_u32_e32 vcc, s33, v29
	s_and_saveexec_b64 s[4:5], vcc
	s_cbranch_execz .LBB1424_145
.LBB1424_176:
	v_cmp_ge_u32_e32 vcc, v29, v1
                                        ; implicit-def: $vgpr2_vgpr3
	s_and_saveexec_b64 s[6:7], vcc
	s_xor_b64 s[6:7], exec, s[6:7]
; %bb.177:
	v_xor_b32_e32 v2, 0xfffffcff, v0
	v_ashrrev_i32_e32 v3, 31, v2
	v_add_co_u32_e32 v2, vcc, v25, v2
	v_addc_co_u32_e32 v3, vcc, v31, v3, vcc
                                        ; implicit-def: $vgpr29
; %bb.178:
	s_andn2_saveexec_b64 s[6:7], s[6:7]
; %bb.179:
	v_add_co_u32_e32 v2, vcc, v17, v29
	v_addc_co_u32_e32 v3, vcc, 0, v4, vcc
; %bb.180:
	s_or_b64 exec, exec, s[6:7]
	v_lshlrev_b64 v[2:3], 2, v[2:3]
	s_waitcnt lgkmcnt(5)
	v_mov_b32_e32 v13, s23
	v_add_co_u32_e32 v2, vcc, s22, v2
	v_addc_co_u32_e32 v3, vcc, v13, v3, vcc
	global_store_dword v[2:3], v14, off
	s_or_b64 exec, exec, s[4:5]
	v_cmp_gt_u32_e32 vcc, s33, v28
	s_and_saveexec_b64 s[4:5], vcc
	s_cbranch_execnz .LBB1424_146
.LBB1424_181:
	s_or_b64 exec, exec, s[4:5]
	v_cmp_gt_u32_e32 vcc, s33, v27
	s_and_saveexec_b64 s[4:5], vcc
	s_cbranch_execz .LBB1424_151
.LBB1424_182:
	v_cmp_ge_u32_e32 vcc, v27, v1
                                        ; implicit-def: $vgpr2_vgpr3
	s_and_saveexec_b64 s[6:7], vcc
	s_xor_b64 s[6:7], exec, s[6:7]
; %bb.183:
	v_xor_b32_e32 v2, 0xfffffaff, v0
	v_ashrrev_i32_e32 v3, 31, v2
	v_add_co_u32_e32 v2, vcc, v25, v2
	v_addc_co_u32_e32 v3, vcc, v31, v3, vcc
                                        ; implicit-def: $vgpr27
; %bb.184:
	s_andn2_saveexec_b64 s[6:7], s[6:7]
; %bb.185:
	v_add_co_u32_e32 v2, vcc, v17, v27
	v_addc_co_u32_e32 v3, vcc, 0, v4, vcc
; %bb.186:
	s_or_b64 exec, exec, s[6:7]
	v_lshlrev_b64 v[2:3], 2, v[2:3]
	s_waitcnt lgkmcnt(4)
	v_mov_b32_e32 v11, s23
	v_add_co_u32_e32 v2, vcc, s22, v2
	v_addc_co_u32_e32 v3, vcc, v11, v3, vcc
	global_store_dword v[2:3], v12, off
	s_or_b64 exec, exec, s[4:5]
	v_cmp_gt_u32_e32 vcc, s33, v26
	s_and_saveexec_b64 s[4:5], vcc
	s_cbranch_execnz .LBB1424_152
.LBB1424_187:
	s_or_b64 exec, exec, s[4:5]
	v_cmp_gt_u32_e32 vcc, s33, v24
	s_and_saveexec_b64 s[4:5], vcc
	s_cbranch_execz .LBB1424_157
.LBB1424_188:
	v_cmp_ge_u32_e32 vcc, v24, v1
                                        ; implicit-def: $vgpr2_vgpr3
	s_and_saveexec_b64 s[6:7], vcc
	s_xor_b64 s[6:7], exec, s[6:7]
; %bb.189:
	v_xor_b32_e32 v2, 0xfffff8ff, v0
	v_ashrrev_i32_e32 v3, 31, v2
	v_add_co_u32_e32 v2, vcc, v25, v2
	v_addc_co_u32_e32 v3, vcc, v31, v3, vcc
                                        ; implicit-def: $vgpr24
; %bb.190:
	s_andn2_saveexec_b64 s[6:7], s[6:7]
; %bb.191:
	v_add_co_u32_e32 v2, vcc, v17, v24
	v_addc_co_u32_e32 v3, vcc, 0, v4, vcc
; %bb.192:
	s_or_b64 exec, exec, s[6:7]
	v_lshlrev_b64 v[2:3], 2, v[2:3]
	s_waitcnt lgkmcnt(3)
	v_mov_b32_e32 v9, s23
	v_add_co_u32_e32 v2, vcc, s22, v2
	v_addc_co_u32_e32 v3, vcc, v9, v3, vcc
	global_store_dword v[2:3], v10, off
	s_or_b64 exec, exec, s[4:5]
	v_cmp_gt_u32_e32 vcc, s33, v23
	s_and_saveexec_b64 s[4:5], vcc
	s_cbranch_execnz .LBB1424_158
.LBB1424_193:
	s_or_b64 exec, exec, s[4:5]
	v_cmp_gt_u32_e32 vcc, s33, v22
	s_and_saveexec_b64 s[4:5], vcc
	s_cbranch_execz .LBB1424_163
.LBB1424_194:
	v_cmp_ge_u32_e32 vcc, v22, v1
                                        ; implicit-def: $vgpr2_vgpr3
	s_and_saveexec_b64 s[6:7], vcc
	s_xor_b64 s[6:7], exec, s[6:7]
; %bb.195:
	v_xor_b32_e32 v2, 0xfffff6ff, v0
	v_ashrrev_i32_e32 v3, 31, v2
	v_add_co_u32_e32 v2, vcc, v25, v2
	v_addc_co_u32_e32 v3, vcc, v31, v3, vcc
                                        ; implicit-def: $vgpr22
; %bb.196:
	s_andn2_saveexec_b64 s[6:7], s[6:7]
; %bb.197:
	v_add_co_u32_e32 v2, vcc, v17, v22
	v_addc_co_u32_e32 v3, vcc, 0, v4, vcc
; %bb.198:
	s_or_b64 exec, exec, s[6:7]
	v_lshlrev_b64 v[2:3], 2, v[2:3]
	s_waitcnt lgkmcnt(2)
	v_mov_b32_e32 v7, s23
	v_add_co_u32_e32 v2, vcc, s22, v2
	v_addc_co_u32_e32 v3, vcc, v7, v3, vcc
	global_store_dword v[2:3], v8, off
	s_or_b64 exec, exec, s[4:5]
	v_cmp_gt_u32_e32 vcc, s33, v21
	s_and_saveexec_b64 s[4:5], vcc
	s_cbranch_execnz .LBB1424_164
.LBB1424_199:
	s_or_b64 exec, exec, s[4:5]
	v_cmp_gt_u32_e32 vcc, s33, v20
	s_and_saveexec_b64 s[4:5], vcc
	s_cbranch_execz .LBB1424_205
.LBB1424_200:
	v_cmp_ge_u32_e32 vcc, v20, v1
                                        ; implicit-def: $vgpr2_vgpr3
	s_and_saveexec_b64 s[6:7], vcc
	s_xor_b64 s[6:7], exec, s[6:7]
; %bb.201:
	v_xor_b32_e32 v2, 0xfffff4ff, v0
	v_ashrrev_i32_e32 v3, 31, v2
	v_add_co_u32_e32 v2, vcc, v25, v2
	v_addc_co_u32_e32 v3, vcc, v31, v3, vcc
                                        ; implicit-def: $vgpr20
; %bb.202:
	s_andn2_saveexec_b64 s[6:7], s[6:7]
; %bb.203:
	v_add_co_u32_e32 v2, vcc, v17, v20
	v_addc_co_u32_e32 v3, vcc, 0, v4, vcc
; %bb.204:
	s_or_b64 exec, exec, s[6:7]
	v_lshlrev_b64 v[2:3], 2, v[2:3]
	s_waitcnt lgkmcnt(1)
	v_mov_b32_e32 v5, s23
	v_add_co_u32_e32 v2, vcc, s22, v2
	v_addc_co_u32_e32 v3, vcc, v5, v3, vcc
	global_store_dword v[2:3], v6, off
.LBB1424_205:
	s_or_b64 exec, exec, s[4:5]
	v_cmp_gt_u32_e32 vcc, s33, v19
                                        ; implicit-def: $vgpr2_vgpr3
	s_and_saveexec_b64 s[4:5], vcc
	s_cbranch_execz .LBB1424_211
; %bb.206:
	v_cmp_ge_u32_e32 vcc, v19, v1
                                        ; implicit-def: $vgpr2_vgpr3
	s_and_saveexec_b64 s[6:7], vcc
	s_xor_b64 s[6:7], exec, s[6:7]
; %bb.207:
	v_xor_b32_e32 v0, 0xfffff3ff, v0
	v_ashrrev_i32_e32 v3, 31, v0
	v_add_co_u32_e32 v2, vcc, v25, v0
	v_addc_co_u32_e32 v3, vcc, v31, v3, vcc
                                        ; implicit-def: $vgpr19
; %bb.208:
	s_andn2_saveexec_b64 s[6:7], s[6:7]
; %bb.209:
	v_add_co_u32_e32 v2, vcc, v17, v19
	v_addc_co_u32_e32 v3, vcc, 0, v4, vcc
; %bb.210:
	s_or_b64 exec, exec, s[6:7]
	s_or_b64 s[2:3], s[2:3], exec
.LBB1424_211:
	s_or_b64 exec, exec, s[4:5]
	s_and_saveexec_b64 s[4:5], s[2:3]
	s_cbranch_execnz .LBB1424_130
.LBB1424_212:
	s_or_b64 exec, exec, s[4:5]
	s_and_b64 s[0:1], s[0:1], s[26:27]
	s_and_saveexec_b64 s[2:3], s[0:1]
	s_cbranch_execz .LBB1424_131
.LBB1424_213:
	v_add_co_u32_e32 v0, vcc, v17, v1
	v_mov_b32_e32 v2, 0
	v_addc_co_u32_e32 v1, vcc, 0, v4, vcc
	global_store_dwordx2 v2, v[0:1], s[24:25]
	s_endpgm
	.section	.rodata,"a",@progbits
	.p2align	6, 0x0
	.amdhsa_kernel _ZN7rocprim17ROCPRIM_400000_NS6detail17trampoline_kernelINS0_13select_configILj256ELj13ELNS0_17block_load_methodE3ELS4_3ELS4_3ELNS0_20block_scan_algorithmE0ELj4294967295EEENS1_25partition_config_selectorILNS1_17partition_subalgoE3EjNS0_10empty_typeEbEEZZNS1_14partition_implILS8_3ELb0ES6_jNS0_17counting_iteratorIjlEEPS9_SE_NS0_5tupleIJPjSE_EEENSF_IJSE_SE_EEES9_SG_JZNS1_25segmented_radix_sort_implINS0_14default_configELb0EPKfPfPKlPlN2at6native12_GLOBAL__N_18offset_tEEE10hipError_tPvRmT1_PNSt15iterator_traitsISY_E10value_typeET2_T3_PNSZ_IS14_E10value_typeET4_jRbjT5_S1A_jjP12ihipStream_tbEUljE_EEESV_SW_SX_S14_S18_S1A_T6_T7_T9_mT8_S1C_bDpT10_ENKUlT_T0_E_clISt17integral_constantIbLb0EES1O_IbLb1EEEEDaS1K_S1L_EUlS1K_E_NS1_11comp_targetILNS1_3genE2ELNS1_11target_archE906ELNS1_3gpuE6ELNS1_3repE0EEENS1_30default_config_static_selectorELNS0_4arch9wavefront6targetE1EEEvSY_
		.amdhsa_group_segment_fixed_size 13320
		.amdhsa_private_segment_fixed_size 0
		.amdhsa_kernarg_size 152
		.amdhsa_user_sgpr_count 6
		.amdhsa_user_sgpr_private_segment_buffer 1
		.amdhsa_user_sgpr_dispatch_ptr 0
		.amdhsa_user_sgpr_queue_ptr 0
		.amdhsa_user_sgpr_kernarg_segment_ptr 1
		.amdhsa_user_sgpr_dispatch_id 0
		.amdhsa_user_sgpr_flat_scratch_init 0
		.amdhsa_user_sgpr_private_segment_size 0
		.amdhsa_uses_dynamic_stack 0
		.amdhsa_system_sgpr_private_segment_wavefront_offset 0
		.amdhsa_system_sgpr_workgroup_id_x 1
		.amdhsa_system_sgpr_workgroup_id_y 0
		.amdhsa_system_sgpr_workgroup_id_z 0
		.amdhsa_system_sgpr_workgroup_info 0
		.amdhsa_system_vgpr_workitem_id 0
		.amdhsa_next_free_vgpr 71
		.amdhsa_next_free_sgpr 98
		.amdhsa_reserve_vcc 1
		.amdhsa_reserve_flat_scratch 0
		.amdhsa_float_round_mode_32 0
		.amdhsa_float_round_mode_16_64 0
		.amdhsa_float_denorm_mode_32 3
		.amdhsa_float_denorm_mode_16_64 3
		.amdhsa_dx10_clamp 1
		.amdhsa_ieee_mode 1
		.amdhsa_fp16_overflow 0
		.amdhsa_exception_fp_ieee_invalid_op 0
		.amdhsa_exception_fp_denorm_src 0
		.amdhsa_exception_fp_ieee_div_zero 0
		.amdhsa_exception_fp_ieee_overflow 0
		.amdhsa_exception_fp_ieee_underflow 0
		.amdhsa_exception_fp_ieee_inexact 0
		.amdhsa_exception_int_div_zero 0
	.end_amdhsa_kernel
	.section	.text._ZN7rocprim17ROCPRIM_400000_NS6detail17trampoline_kernelINS0_13select_configILj256ELj13ELNS0_17block_load_methodE3ELS4_3ELS4_3ELNS0_20block_scan_algorithmE0ELj4294967295EEENS1_25partition_config_selectorILNS1_17partition_subalgoE3EjNS0_10empty_typeEbEEZZNS1_14partition_implILS8_3ELb0ES6_jNS0_17counting_iteratorIjlEEPS9_SE_NS0_5tupleIJPjSE_EEENSF_IJSE_SE_EEES9_SG_JZNS1_25segmented_radix_sort_implINS0_14default_configELb0EPKfPfPKlPlN2at6native12_GLOBAL__N_18offset_tEEE10hipError_tPvRmT1_PNSt15iterator_traitsISY_E10value_typeET2_T3_PNSZ_IS14_E10value_typeET4_jRbjT5_S1A_jjP12ihipStream_tbEUljE_EEESV_SW_SX_S14_S18_S1A_T6_T7_T9_mT8_S1C_bDpT10_ENKUlT_T0_E_clISt17integral_constantIbLb0EES1O_IbLb1EEEEDaS1K_S1L_EUlS1K_E_NS1_11comp_targetILNS1_3genE2ELNS1_11target_archE906ELNS1_3gpuE6ELNS1_3repE0EEENS1_30default_config_static_selectorELNS0_4arch9wavefront6targetE1EEEvSY_,"axG",@progbits,_ZN7rocprim17ROCPRIM_400000_NS6detail17trampoline_kernelINS0_13select_configILj256ELj13ELNS0_17block_load_methodE3ELS4_3ELS4_3ELNS0_20block_scan_algorithmE0ELj4294967295EEENS1_25partition_config_selectorILNS1_17partition_subalgoE3EjNS0_10empty_typeEbEEZZNS1_14partition_implILS8_3ELb0ES6_jNS0_17counting_iteratorIjlEEPS9_SE_NS0_5tupleIJPjSE_EEENSF_IJSE_SE_EEES9_SG_JZNS1_25segmented_radix_sort_implINS0_14default_configELb0EPKfPfPKlPlN2at6native12_GLOBAL__N_18offset_tEEE10hipError_tPvRmT1_PNSt15iterator_traitsISY_E10value_typeET2_T3_PNSZ_IS14_E10value_typeET4_jRbjT5_S1A_jjP12ihipStream_tbEUljE_EEESV_SW_SX_S14_S18_S1A_T6_T7_T9_mT8_S1C_bDpT10_ENKUlT_T0_E_clISt17integral_constantIbLb0EES1O_IbLb1EEEEDaS1K_S1L_EUlS1K_E_NS1_11comp_targetILNS1_3genE2ELNS1_11target_archE906ELNS1_3gpuE6ELNS1_3repE0EEENS1_30default_config_static_selectorELNS0_4arch9wavefront6targetE1EEEvSY_,comdat
.Lfunc_end1424:
	.size	_ZN7rocprim17ROCPRIM_400000_NS6detail17trampoline_kernelINS0_13select_configILj256ELj13ELNS0_17block_load_methodE3ELS4_3ELS4_3ELNS0_20block_scan_algorithmE0ELj4294967295EEENS1_25partition_config_selectorILNS1_17partition_subalgoE3EjNS0_10empty_typeEbEEZZNS1_14partition_implILS8_3ELb0ES6_jNS0_17counting_iteratorIjlEEPS9_SE_NS0_5tupleIJPjSE_EEENSF_IJSE_SE_EEES9_SG_JZNS1_25segmented_radix_sort_implINS0_14default_configELb0EPKfPfPKlPlN2at6native12_GLOBAL__N_18offset_tEEE10hipError_tPvRmT1_PNSt15iterator_traitsISY_E10value_typeET2_T3_PNSZ_IS14_E10value_typeET4_jRbjT5_S1A_jjP12ihipStream_tbEUljE_EEESV_SW_SX_S14_S18_S1A_T6_T7_T9_mT8_S1C_bDpT10_ENKUlT_T0_E_clISt17integral_constantIbLb0EES1O_IbLb1EEEEDaS1K_S1L_EUlS1K_E_NS1_11comp_targetILNS1_3genE2ELNS1_11target_archE906ELNS1_3gpuE6ELNS1_3repE0EEENS1_30default_config_static_selectorELNS0_4arch9wavefront6targetE1EEEvSY_, .Lfunc_end1424-_ZN7rocprim17ROCPRIM_400000_NS6detail17trampoline_kernelINS0_13select_configILj256ELj13ELNS0_17block_load_methodE3ELS4_3ELS4_3ELNS0_20block_scan_algorithmE0ELj4294967295EEENS1_25partition_config_selectorILNS1_17partition_subalgoE3EjNS0_10empty_typeEbEEZZNS1_14partition_implILS8_3ELb0ES6_jNS0_17counting_iteratorIjlEEPS9_SE_NS0_5tupleIJPjSE_EEENSF_IJSE_SE_EEES9_SG_JZNS1_25segmented_radix_sort_implINS0_14default_configELb0EPKfPfPKlPlN2at6native12_GLOBAL__N_18offset_tEEE10hipError_tPvRmT1_PNSt15iterator_traitsISY_E10value_typeET2_T3_PNSZ_IS14_E10value_typeET4_jRbjT5_S1A_jjP12ihipStream_tbEUljE_EEESV_SW_SX_S14_S18_S1A_T6_T7_T9_mT8_S1C_bDpT10_ENKUlT_T0_E_clISt17integral_constantIbLb0EES1O_IbLb1EEEEDaS1K_S1L_EUlS1K_E_NS1_11comp_targetILNS1_3genE2ELNS1_11target_archE906ELNS1_3gpuE6ELNS1_3repE0EEENS1_30default_config_static_selectorELNS0_4arch9wavefront6targetE1EEEvSY_
                                        ; -- End function
	.set _ZN7rocprim17ROCPRIM_400000_NS6detail17trampoline_kernelINS0_13select_configILj256ELj13ELNS0_17block_load_methodE3ELS4_3ELS4_3ELNS0_20block_scan_algorithmE0ELj4294967295EEENS1_25partition_config_selectorILNS1_17partition_subalgoE3EjNS0_10empty_typeEbEEZZNS1_14partition_implILS8_3ELb0ES6_jNS0_17counting_iteratorIjlEEPS9_SE_NS0_5tupleIJPjSE_EEENSF_IJSE_SE_EEES9_SG_JZNS1_25segmented_radix_sort_implINS0_14default_configELb0EPKfPfPKlPlN2at6native12_GLOBAL__N_18offset_tEEE10hipError_tPvRmT1_PNSt15iterator_traitsISY_E10value_typeET2_T3_PNSZ_IS14_E10value_typeET4_jRbjT5_S1A_jjP12ihipStream_tbEUljE_EEESV_SW_SX_S14_S18_S1A_T6_T7_T9_mT8_S1C_bDpT10_ENKUlT_T0_E_clISt17integral_constantIbLb0EES1O_IbLb1EEEEDaS1K_S1L_EUlS1K_E_NS1_11comp_targetILNS1_3genE2ELNS1_11target_archE906ELNS1_3gpuE6ELNS1_3repE0EEENS1_30default_config_static_selectorELNS0_4arch9wavefront6targetE1EEEvSY_.num_vgpr, 71
	.set _ZN7rocprim17ROCPRIM_400000_NS6detail17trampoline_kernelINS0_13select_configILj256ELj13ELNS0_17block_load_methodE3ELS4_3ELS4_3ELNS0_20block_scan_algorithmE0ELj4294967295EEENS1_25partition_config_selectorILNS1_17partition_subalgoE3EjNS0_10empty_typeEbEEZZNS1_14partition_implILS8_3ELb0ES6_jNS0_17counting_iteratorIjlEEPS9_SE_NS0_5tupleIJPjSE_EEENSF_IJSE_SE_EEES9_SG_JZNS1_25segmented_radix_sort_implINS0_14default_configELb0EPKfPfPKlPlN2at6native12_GLOBAL__N_18offset_tEEE10hipError_tPvRmT1_PNSt15iterator_traitsISY_E10value_typeET2_T3_PNSZ_IS14_E10value_typeET4_jRbjT5_S1A_jjP12ihipStream_tbEUljE_EEESV_SW_SX_S14_S18_S1A_T6_T7_T9_mT8_S1C_bDpT10_ENKUlT_T0_E_clISt17integral_constantIbLb0EES1O_IbLb1EEEEDaS1K_S1L_EUlS1K_E_NS1_11comp_targetILNS1_3genE2ELNS1_11target_archE906ELNS1_3gpuE6ELNS1_3repE0EEENS1_30default_config_static_selectorELNS0_4arch9wavefront6targetE1EEEvSY_.num_agpr, 0
	.set _ZN7rocprim17ROCPRIM_400000_NS6detail17trampoline_kernelINS0_13select_configILj256ELj13ELNS0_17block_load_methodE3ELS4_3ELS4_3ELNS0_20block_scan_algorithmE0ELj4294967295EEENS1_25partition_config_selectorILNS1_17partition_subalgoE3EjNS0_10empty_typeEbEEZZNS1_14partition_implILS8_3ELb0ES6_jNS0_17counting_iteratorIjlEEPS9_SE_NS0_5tupleIJPjSE_EEENSF_IJSE_SE_EEES9_SG_JZNS1_25segmented_radix_sort_implINS0_14default_configELb0EPKfPfPKlPlN2at6native12_GLOBAL__N_18offset_tEEE10hipError_tPvRmT1_PNSt15iterator_traitsISY_E10value_typeET2_T3_PNSZ_IS14_E10value_typeET4_jRbjT5_S1A_jjP12ihipStream_tbEUljE_EEESV_SW_SX_S14_S18_S1A_T6_T7_T9_mT8_S1C_bDpT10_ENKUlT_T0_E_clISt17integral_constantIbLb0EES1O_IbLb1EEEEDaS1K_S1L_EUlS1K_E_NS1_11comp_targetILNS1_3genE2ELNS1_11target_archE906ELNS1_3gpuE6ELNS1_3repE0EEENS1_30default_config_static_selectorELNS0_4arch9wavefront6targetE1EEEvSY_.numbered_sgpr, 46
	.set _ZN7rocprim17ROCPRIM_400000_NS6detail17trampoline_kernelINS0_13select_configILj256ELj13ELNS0_17block_load_methodE3ELS4_3ELS4_3ELNS0_20block_scan_algorithmE0ELj4294967295EEENS1_25partition_config_selectorILNS1_17partition_subalgoE3EjNS0_10empty_typeEbEEZZNS1_14partition_implILS8_3ELb0ES6_jNS0_17counting_iteratorIjlEEPS9_SE_NS0_5tupleIJPjSE_EEENSF_IJSE_SE_EEES9_SG_JZNS1_25segmented_radix_sort_implINS0_14default_configELb0EPKfPfPKlPlN2at6native12_GLOBAL__N_18offset_tEEE10hipError_tPvRmT1_PNSt15iterator_traitsISY_E10value_typeET2_T3_PNSZ_IS14_E10value_typeET4_jRbjT5_S1A_jjP12ihipStream_tbEUljE_EEESV_SW_SX_S14_S18_S1A_T6_T7_T9_mT8_S1C_bDpT10_ENKUlT_T0_E_clISt17integral_constantIbLb0EES1O_IbLb1EEEEDaS1K_S1L_EUlS1K_E_NS1_11comp_targetILNS1_3genE2ELNS1_11target_archE906ELNS1_3gpuE6ELNS1_3repE0EEENS1_30default_config_static_selectorELNS0_4arch9wavefront6targetE1EEEvSY_.num_named_barrier, 0
	.set _ZN7rocprim17ROCPRIM_400000_NS6detail17trampoline_kernelINS0_13select_configILj256ELj13ELNS0_17block_load_methodE3ELS4_3ELS4_3ELNS0_20block_scan_algorithmE0ELj4294967295EEENS1_25partition_config_selectorILNS1_17partition_subalgoE3EjNS0_10empty_typeEbEEZZNS1_14partition_implILS8_3ELb0ES6_jNS0_17counting_iteratorIjlEEPS9_SE_NS0_5tupleIJPjSE_EEENSF_IJSE_SE_EEES9_SG_JZNS1_25segmented_radix_sort_implINS0_14default_configELb0EPKfPfPKlPlN2at6native12_GLOBAL__N_18offset_tEEE10hipError_tPvRmT1_PNSt15iterator_traitsISY_E10value_typeET2_T3_PNSZ_IS14_E10value_typeET4_jRbjT5_S1A_jjP12ihipStream_tbEUljE_EEESV_SW_SX_S14_S18_S1A_T6_T7_T9_mT8_S1C_bDpT10_ENKUlT_T0_E_clISt17integral_constantIbLb0EES1O_IbLb1EEEEDaS1K_S1L_EUlS1K_E_NS1_11comp_targetILNS1_3genE2ELNS1_11target_archE906ELNS1_3gpuE6ELNS1_3repE0EEENS1_30default_config_static_selectorELNS0_4arch9wavefront6targetE1EEEvSY_.private_seg_size, 0
	.set _ZN7rocprim17ROCPRIM_400000_NS6detail17trampoline_kernelINS0_13select_configILj256ELj13ELNS0_17block_load_methodE3ELS4_3ELS4_3ELNS0_20block_scan_algorithmE0ELj4294967295EEENS1_25partition_config_selectorILNS1_17partition_subalgoE3EjNS0_10empty_typeEbEEZZNS1_14partition_implILS8_3ELb0ES6_jNS0_17counting_iteratorIjlEEPS9_SE_NS0_5tupleIJPjSE_EEENSF_IJSE_SE_EEES9_SG_JZNS1_25segmented_radix_sort_implINS0_14default_configELb0EPKfPfPKlPlN2at6native12_GLOBAL__N_18offset_tEEE10hipError_tPvRmT1_PNSt15iterator_traitsISY_E10value_typeET2_T3_PNSZ_IS14_E10value_typeET4_jRbjT5_S1A_jjP12ihipStream_tbEUljE_EEESV_SW_SX_S14_S18_S1A_T6_T7_T9_mT8_S1C_bDpT10_ENKUlT_T0_E_clISt17integral_constantIbLb0EES1O_IbLb1EEEEDaS1K_S1L_EUlS1K_E_NS1_11comp_targetILNS1_3genE2ELNS1_11target_archE906ELNS1_3gpuE6ELNS1_3repE0EEENS1_30default_config_static_selectorELNS0_4arch9wavefront6targetE1EEEvSY_.uses_vcc, 1
	.set _ZN7rocprim17ROCPRIM_400000_NS6detail17trampoline_kernelINS0_13select_configILj256ELj13ELNS0_17block_load_methodE3ELS4_3ELS4_3ELNS0_20block_scan_algorithmE0ELj4294967295EEENS1_25partition_config_selectorILNS1_17partition_subalgoE3EjNS0_10empty_typeEbEEZZNS1_14partition_implILS8_3ELb0ES6_jNS0_17counting_iteratorIjlEEPS9_SE_NS0_5tupleIJPjSE_EEENSF_IJSE_SE_EEES9_SG_JZNS1_25segmented_radix_sort_implINS0_14default_configELb0EPKfPfPKlPlN2at6native12_GLOBAL__N_18offset_tEEE10hipError_tPvRmT1_PNSt15iterator_traitsISY_E10value_typeET2_T3_PNSZ_IS14_E10value_typeET4_jRbjT5_S1A_jjP12ihipStream_tbEUljE_EEESV_SW_SX_S14_S18_S1A_T6_T7_T9_mT8_S1C_bDpT10_ENKUlT_T0_E_clISt17integral_constantIbLb0EES1O_IbLb1EEEEDaS1K_S1L_EUlS1K_E_NS1_11comp_targetILNS1_3genE2ELNS1_11target_archE906ELNS1_3gpuE6ELNS1_3repE0EEENS1_30default_config_static_selectorELNS0_4arch9wavefront6targetE1EEEvSY_.uses_flat_scratch, 0
	.set _ZN7rocprim17ROCPRIM_400000_NS6detail17trampoline_kernelINS0_13select_configILj256ELj13ELNS0_17block_load_methodE3ELS4_3ELS4_3ELNS0_20block_scan_algorithmE0ELj4294967295EEENS1_25partition_config_selectorILNS1_17partition_subalgoE3EjNS0_10empty_typeEbEEZZNS1_14partition_implILS8_3ELb0ES6_jNS0_17counting_iteratorIjlEEPS9_SE_NS0_5tupleIJPjSE_EEENSF_IJSE_SE_EEES9_SG_JZNS1_25segmented_radix_sort_implINS0_14default_configELb0EPKfPfPKlPlN2at6native12_GLOBAL__N_18offset_tEEE10hipError_tPvRmT1_PNSt15iterator_traitsISY_E10value_typeET2_T3_PNSZ_IS14_E10value_typeET4_jRbjT5_S1A_jjP12ihipStream_tbEUljE_EEESV_SW_SX_S14_S18_S1A_T6_T7_T9_mT8_S1C_bDpT10_ENKUlT_T0_E_clISt17integral_constantIbLb0EES1O_IbLb1EEEEDaS1K_S1L_EUlS1K_E_NS1_11comp_targetILNS1_3genE2ELNS1_11target_archE906ELNS1_3gpuE6ELNS1_3repE0EEENS1_30default_config_static_selectorELNS0_4arch9wavefront6targetE1EEEvSY_.has_dyn_sized_stack, 0
	.set _ZN7rocprim17ROCPRIM_400000_NS6detail17trampoline_kernelINS0_13select_configILj256ELj13ELNS0_17block_load_methodE3ELS4_3ELS4_3ELNS0_20block_scan_algorithmE0ELj4294967295EEENS1_25partition_config_selectorILNS1_17partition_subalgoE3EjNS0_10empty_typeEbEEZZNS1_14partition_implILS8_3ELb0ES6_jNS0_17counting_iteratorIjlEEPS9_SE_NS0_5tupleIJPjSE_EEENSF_IJSE_SE_EEES9_SG_JZNS1_25segmented_radix_sort_implINS0_14default_configELb0EPKfPfPKlPlN2at6native12_GLOBAL__N_18offset_tEEE10hipError_tPvRmT1_PNSt15iterator_traitsISY_E10value_typeET2_T3_PNSZ_IS14_E10value_typeET4_jRbjT5_S1A_jjP12ihipStream_tbEUljE_EEESV_SW_SX_S14_S18_S1A_T6_T7_T9_mT8_S1C_bDpT10_ENKUlT_T0_E_clISt17integral_constantIbLb0EES1O_IbLb1EEEEDaS1K_S1L_EUlS1K_E_NS1_11comp_targetILNS1_3genE2ELNS1_11target_archE906ELNS1_3gpuE6ELNS1_3repE0EEENS1_30default_config_static_selectorELNS0_4arch9wavefront6targetE1EEEvSY_.has_recursion, 0
	.set _ZN7rocprim17ROCPRIM_400000_NS6detail17trampoline_kernelINS0_13select_configILj256ELj13ELNS0_17block_load_methodE3ELS4_3ELS4_3ELNS0_20block_scan_algorithmE0ELj4294967295EEENS1_25partition_config_selectorILNS1_17partition_subalgoE3EjNS0_10empty_typeEbEEZZNS1_14partition_implILS8_3ELb0ES6_jNS0_17counting_iteratorIjlEEPS9_SE_NS0_5tupleIJPjSE_EEENSF_IJSE_SE_EEES9_SG_JZNS1_25segmented_radix_sort_implINS0_14default_configELb0EPKfPfPKlPlN2at6native12_GLOBAL__N_18offset_tEEE10hipError_tPvRmT1_PNSt15iterator_traitsISY_E10value_typeET2_T3_PNSZ_IS14_E10value_typeET4_jRbjT5_S1A_jjP12ihipStream_tbEUljE_EEESV_SW_SX_S14_S18_S1A_T6_T7_T9_mT8_S1C_bDpT10_ENKUlT_T0_E_clISt17integral_constantIbLb0EES1O_IbLb1EEEEDaS1K_S1L_EUlS1K_E_NS1_11comp_targetILNS1_3genE2ELNS1_11target_archE906ELNS1_3gpuE6ELNS1_3repE0EEENS1_30default_config_static_selectorELNS0_4arch9wavefront6targetE1EEEvSY_.has_indirect_call, 0
	.section	.AMDGPU.csdata,"",@progbits
; Kernel info:
; codeLenInByte = 7548
; TotalNumSgprs: 50
; NumVgprs: 71
; ScratchSize: 0
; MemoryBound: 0
; FloatMode: 240
; IeeeMode: 1
; LDSByteSize: 13320 bytes/workgroup (compile time only)
; SGPRBlocks: 12
; VGPRBlocks: 17
; NumSGPRsForWavesPerEU: 102
; NumVGPRsForWavesPerEU: 71
; Occupancy: 3
; WaveLimiterHint : 0
; COMPUTE_PGM_RSRC2:SCRATCH_EN: 0
; COMPUTE_PGM_RSRC2:USER_SGPR: 6
; COMPUTE_PGM_RSRC2:TRAP_HANDLER: 0
; COMPUTE_PGM_RSRC2:TGID_X_EN: 1
; COMPUTE_PGM_RSRC2:TGID_Y_EN: 0
; COMPUTE_PGM_RSRC2:TGID_Z_EN: 0
; COMPUTE_PGM_RSRC2:TIDIG_COMP_CNT: 0
	.section	.text._ZN7rocprim17ROCPRIM_400000_NS6detail17trampoline_kernelINS0_13select_configILj256ELj13ELNS0_17block_load_methodE3ELS4_3ELS4_3ELNS0_20block_scan_algorithmE0ELj4294967295EEENS1_25partition_config_selectorILNS1_17partition_subalgoE3EjNS0_10empty_typeEbEEZZNS1_14partition_implILS8_3ELb0ES6_jNS0_17counting_iteratorIjlEEPS9_SE_NS0_5tupleIJPjSE_EEENSF_IJSE_SE_EEES9_SG_JZNS1_25segmented_radix_sort_implINS0_14default_configELb0EPKfPfPKlPlN2at6native12_GLOBAL__N_18offset_tEEE10hipError_tPvRmT1_PNSt15iterator_traitsISY_E10value_typeET2_T3_PNSZ_IS14_E10value_typeET4_jRbjT5_S1A_jjP12ihipStream_tbEUljE_EEESV_SW_SX_S14_S18_S1A_T6_T7_T9_mT8_S1C_bDpT10_ENKUlT_T0_E_clISt17integral_constantIbLb0EES1O_IbLb1EEEEDaS1K_S1L_EUlS1K_E_NS1_11comp_targetILNS1_3genE10ELNS1_11target_archE1200ELNS1_3gpuE4ELNS1_3repE0EEENS1_30default_config_static_selectorELNS0_4arch9wavefront6targetE1EEEvSY_,"axG",@progbits,_ZN7rocprim17ROCPRIM_400000_NS6detail17trampoline_kernelINS0_13select_configILj256ELj13ELNS0_17block_load_methodE3ELS4_3ELS4_3ELNS0_20block_scan_algorithmE0ELj4294967295EEENS1_25partition_config_selectorILNS1_17partition_subalgoE3EjNS0_10empty_typeEbEEZZNS1_14partition_implILS8_3ELb0ES6_jNS0_17counting_iteratorIjlEEPS9_SE_NS0_5tupleIJPjSE_EEENSF_IJSE_SE_EEES9_SG_JZNS1_25segmented_radix_sort_implINS0_14default_configELb0EPKfPfPKlPlN2at6native12_GLOBAL__N_18offset_tEEE10hipError_tPvRmT1_PNSt15iterator_traitsISY_E10value_typeET2_T3_PNSZ_IS14_E10value_typeET4_jRbjT5_S1A_jjP12ihipStream_tbEUljE_EEESV_SW_SX_S14_S18_S1A_T6_T7_T9_mT8_S1C_bDpT10_ENKUlT_T0_E_clISt17integral_constantIbLb0EES1O_IbLb1EEEEDaS1K_S1L_EUlS1K_E_NS1_11comp_targetILNS1_3genE10ELNS1_11target_archE1200ELNS1_3gpuE4ELNS1_3repE0EEENS1_30default_config_static_selectorELNS0_4arch9wavefront6targetE1EEEvSY_,comdat
	.globl	_ZN7rocprim17ROCPRIM_400000_NS6detail17trampoline_kernelINS0_13select_configILj256ELj13ELNS0_17block_load_methodE3ELS4_3ELS4_3ELNS0_20block_scan_algorithmE0ELj4294967295EEENS1_25partition_config_selectorILNS1_17partition_subalgoE3EjNS0_10empty_typeEbEEZZNS1_14partition_implILS8_3ELb0ES6_jNS0_17counting_iteratorIjlEEPS9_SE_NS0_5tupleIJPjSE_EEENSF_IJSE_SE_EEES9_SG_JZNS1_25segmented_radix_sort_implINS0_14default_configELb0EPKfPfPKlPlN2at6native12_GLOBAL__N_18offset_tEEE10hipError_tPvRmT1_PNSt15iterator_traitsISY_E10value_typeET2_T3_PNSZ_IS14_E10value_typeET4_jRbjT5_S1A_jjP12ihipStream_tbEUljE_EEESV_SW_SX_S14_S18_S1A_T6_T7_T9_mT8_S1C_bDpT10_ENKUlT_T0_E_clISt17integral_constantIbLb0EES1O_IbLb1EEEEDaS1K_S1L_EUlS1K_E_NS1_11comp_targetILNS1_3genE10ELNS1_11target_archE1200ELNS1_3gpuE4ELNS1_3repE0EEENS1_30default_config_static_selectorELNS0_4arch9wavefront6targetE1EEEvSY_ ; -- Begin function _ZN7rocprim17ROCPRIM_400000_NS6detail17trampoline_kernelINS0_13select_configILj256ELj13ELNS0_17block_load_methodE3ELS4_3ELS4_3ELNS0_20block_scan_algorithmE0ELj4294967295EEENS1_25partition_config_selectorILNS1_17partition_subalgoE3EjNS0_10empty_typeEbEEZZNS1_14partition_implILS8_3ELb0ES6_jNS0_17counting_iteratorIjlEEPS9_SE_NS0_5tupleIJPjSE_EEENSF_IJSE_SE_EEES9_SG_JZNS1_25segmented_radix_sort_implINS0_14default_configELb0EPKfPfPKlPlN2at6native12_GLOBAL__N_18offset_tEEE10hipError_tPvRmT1_PNSt15iterator_traitsISY_E10value_typeET2_T3_PNSZ_IS14_E10value_typeET4_jRbjT5_S1A_jjP12ihipStream_tbEUljE_EEESV_SW_SX_S14_S18_S1A_T6_T7_T9_mT8_S1C_bDpT10_ENKUlT_T0_E_clISt17integral_constantIbLb0EES1O_IbLb1EEEEDaS1K_S1L_EUlS1K_E_NS1_11comp_targetILNS1_3genE10ELNS1_11target_archE1200ELNS1_3gpuE4ELNS1_3repE0EEENS1_30default_config_static_selectorELNS0_4arch9wavefront6targetE1EEEvSY_
	.p2align	8
	.type	_ZN7rocprim17ROCPRIM_400000_NS6detail17trampoline_kernelINS0_13select_configILj256ELj13ELNS0_17block_load_methodE3ELS4_3ELS4_3ELNS0_20block_scan_algorithmE0ELj4294967295EEENS1_25partition_config_selectorILNS1_17partition_subalgoE3EjNS0_10empty_typeEbEEZZNS1_14partition_implILS8_3ELb0ES6_jNS0_17counting_iteratorIjlEEPS9_SE_NS0_5tupleIJPjSE_EEENSF_IJSE_SE_EEES9_SG_JZNS1_25segmented_radix_sort_implINS0_14default_configELb0EPKfPfPKlPlN2at6native12_GLOBAL__N_18offset_tEEE10hipError_tPvRmT1_PNSt15iterator_traitsISY_E10value_typeET2_T3_PNSZ_IS14_E10value_typeET4_jRbjT5_S1A_jjP12ihipStream_tbEUljE_EEESV_SW_SX_S14_S18_S1A_T6_T7_T9_mT8_S1C_bDpT10_ENKUlT_T0_E_clISt17integral_constantIbLb0EES1O_IbLb1EEEEDaS1K_S1L_EUlS1K_E_NS1_11comp_targetILNS1_3genE10ELNS1_11target_archE1200ELNS1_3gpuE4ELNS1_3repE0EEENS1_30default_config_static_selectorELNS0_4arch9wavefront6targetE1EEEvSY_,@function
_ZN7rocprim17ROCPRIM_400000_NS6detail17trampoline_kernelINS0_13select_configILj256ELj13ELNS0_17block_load_methodE3ELS4_3ELS4_3ELNS0_20block_scan_algorithmE0ELj4294967295EEENS1_25partition_config_selectorILNS1_17partition_subalgoE3EjNS0_10empty_typeEbEEZZNS1_14partition_implILS8_3ELb0ES6_jNS0_17counting_iteratorIjlEEPS9_SE_NS0_5tupleIJPjSE_EEENSF_IJSE_SE_EEES9_SG_JZNS1_25segmented_radix_sort_implINS0_14default_configELb0EPKfPfPKlPlN2at6native12_GLOBAL__N_18offset_tEEE10hipError_tPvRmT1_PNSt15iterator_traitsISY_E10value_typeET2_T3_PNSZ_IS14_E10value_typeET4_jRbjT5_S1A_jjP12ihipStream_tbEUljE_EEESV_SW_SX_S14_S18_S1A_T6_T7_T9_mT8_S1C_bDpT10_ENKUlT_T0_E_clISt17integral_constantIbLb0EES1O_IbLb1EEEEDaS1K_S1L_EUlS1K_E_NS1_11comp_targetILNS1_3genE10ELNS1_11target_archE1200ELNS1_3gpuE4ELNS1_3repE0EEENS1_30default_config_static_selectorELNS0_4arch9wavefront6targetE1EEEvSY_: ; @_ZN7rocprim17ROCPRIM_400000_NS6detail17trampoline_kernelINS0_13select_configILj256ELj13ELNS0_17block_load_methodE3ELS4_3ELS4_3ELNS0_20block_scan_algorithmE0ELj4294967295EEENS1_25partition_config_selectorILNS1_17partition_subalgoE3EjNS0_10empty_typeEbEEZZNS1_14partition_implILS8_3ELb0ES6_jNS0_17counting_iteratorIjlEEPS9_SE_NS0_5tupleIJPjSE_EEENSF_IJSE_SE_EEES9_SG_JZNS1_25segmented_radix_sort_implINS0_14default_configELb0EPKfPfPKlPlN2at6native12_GLOBAL__N_18offset_tEEE10hipError_tPvRmT1_PNSt15iterator_traitsISY_E10value_typeET2_T3_PNSZ_IS14_E10value_typeET4_jRbjT5_S1A_jjP12ihipStream_tbEUljE_EEESV_SW_SX_S14_S18_S1A_T6_T7_T9_mT8_S1C_bDpT10_ENKUlT_T0_E_clISt17integral_constantIbLb0EES1O_IbLb1EEEEDaS1K_S1L_EUlS1K_E_NS1_11comp_targetILNS1_3genE10ELNS1_11target_archE1200ELNS1_3gpuE4ELNS1_3repE0EEENS1_30default_config_static_selectorELNS0_4arch9wavefront6targetE1EEEvSY_
; %bb.0:
	.section	.rodata,"a",@progbits
	.p2align	6, 0x0
	.amdhsa_kernel _ZN7rocprim17ROCPRIM_400000_NS6detail17trampoline_kernelINS0_13select_configILj256ELj13ELNS0_17block_load_methodE3ELS4_3ELS4_3ELNS0_20block_scan_algorithmE0ELj4294967295EEENS1_25partition_config_selectorILNS1_17partition_subalgoE3EjNS0_10empty_typeEbEEZZNS1_14partition_implILS8_3ELb0ES6_jNS0_17counting_iteratorIjlEEPS9_SE_NS0_5tupleIJPjSE_EEENSF_IJSE_SE_EEES9_SG_JZNS1_25segmented_radix_sort_implINS0_14default_configELb0EPKfPfPKlPlN2at6native12_GLOBAL__N_18offset_tEEE10hipError_tPvRmT1_PNSt15iterator_traitsISY_E10value_typeET2_T3_PNSZ_IS14_E10value_typeET4_jRbjT5_S1A_jjP12ihipStream_tbEUljE_EEESV_SW_SX_S14_S18_S1A_T6_T7_T9_mT8_S1C_bDpT10_ENKUlT_T0_E_clISt17integral_constantIbLb0EES1O_IbLb1EEEEDaS1K_S1L_EUlS1K_E_NS1_11comp_targetILNS1_3genE10ELNS1_11target_archE1200ELNS1_3gpuE4ELNS1_3repE0EEENS1_30default_config_static_selectorELNS0_4arch9wavefront6targetE1EEEvSY_
		.amdhsa_group_segment_fixed_size 0
		.amdhsa_private_segment_fixed_size 0
		.amdhsa_kernarg_size 152
		.amdhsa_user_sgpr_count 6
		.amdhsa_user_sgpr_private_segment_buffer 1
		.amdhsa_user_sgpr_dispatch_ptr 0
		.amdhsa_user_sgpr_queue_ptr 0
		.amdhsa_user_sgpr_kernarg_segment_ptr 1
		.amdhsa_user_sgpr_dispatch_id 0
		.amdhsa_user_sgpr_flat_scratch_init 0
		.amdhsa_user_sgpr_private_segment_size 0
		.amdhsa_uses_dynamic_stack 0
		.amdhsa_system_sgpr_private_segment_wavefront_offset 0
		.amdhsa_system_sgpr_workgroup_id_x 1
		.amdhsa_system_sgpr_workgroup_id_y 0
		.amdhsa_system_sgpr_workgroup_id_z 0
		.amdhsa_system_sgpr_workgroup_info 0
		.amdhsa_system_vgpr_workitem_id 0
		.amdhsa_next_free_vgpr 1
		.amdhsa_next_free_sgpr 0
		.amdhsa_reserve_vcc 0
		.amdhsa_reserve_flat_scratch 0
		.amdhsa_float_round_mode_32 0
		.amdhsa_float_round_mode_16_64 0
		.amdhsa_float_denorm_mode_32 3
		.amdhsa_float_denorm_mode_16_64 3
		.amdhsa_dx10_clamp 1
		.amdhsa_ieee_mode 1
		.amdhsa_fp16_overflow 0
		.amdhsa_exception_fp_ieee_invalid_op 0
		.amdhsa_exception_fp_denorm_src 0
		.amdhsa_exception_fp_ieee_div_zero 0
		.amdhsa_exception_fp_ieee_overflow 0
		.amdhsa_exception_fp_ieee_underflow 0
		.amdhsa_exception_fp_ieee_inexact 0
		.amdhsa_exception_int_div_zero 0
	.end_amdhsa_kernel
	.section	.text._ZN7rocprim17ROCPRIM_400000_NS6detail17trampoline_kernelINS0_13select_configILj256ELj13ELNS0_17block_load_methodE3ELS4_3ELS4_3ELNS0_20block_scan_algorithmE0ELj4294967295EEENS1_25partition_config_selectorILNS1_17partition_subalgoE3EjNS0_10empty_typeEbEEZZNS1_14partition_implILS8_3ELb0ES6_jNS0_17counting_iteratorIjlEEPS9_SE_NS0_5tupleIJPjSE_EEENSF_IJSE_SE_EEES9_SG_JZNS1_25segmented_radix_sort_implINS0_14default_configELb0EPKfPfPKlPlN2at6native12_GLOBAL__N_18offset_tEEE10hipError_tPvRmT1_PNSt15iterator_traitsISY_E10value_typeET2_T3_PNSZ_IS14_E10value_typeET4_jRbjT5_S1A_jjP12ihipStream_tbEUljE_EEESV_SW_SX_S14_S18_S1A_T6_T7_T9_mT8_S1C_bDpT10_ENKUlT_T0_E_clISt17integral_constantIbLb0EES1O_IbLb1EEEEDaS1K_S1L_EUlS1K_E_NS1_11comp_targetILNS1_3genE10ELNS1_11target_archE1200ELNS1_3gpuE4ELNS1_3repE0EEENS1_30default_config_static_selectorELNS0_4arch9wavefront6targetE1EEEvSY_,"axG",@progbits,_ZN7rocprim17ROCPRIM_400000_NS6detail17trampoline_kernelINS0_13select_configILj256ELj13ELNS0_17block_load_methodE3ELS4_3ELS4_3ELNS0_20block_scan_algorithmE0ELj4294967295EEENS1_25partition_config_selectorILNS1_17partition_subalgoE3EjNS0_10empty_typeEbEEZZNS1_14partition_implILS8_3ELb0ES6_jNS0_17counting_iteratorIjlEEPS9_SE_NS0_5tupleIJPjSE_EEENSF_IJSE_SE_EEES9_SG_JZNS1_25segmented_radix_sort_implINS0_14default_configELb0EPKfPfPKlPlN2at6native12_GLOBAL__N_18offset_tEEE10hipError_tPvRmT1_PNSt15iterator_traitsISY_E10value_typeET2_T3_PNSZ_IS14_E10value_typeET4_jRbjT5_S1A_jjP12ihipStream_tbEUljE_EEESV_SW_SX_S14_S18_S1A_T6_T7_T9_mT8_S1C_bDpT10_ENKUlT_T0_E_clISt17integral_constantIbLb0EES1O_IbLb1EEEEDaS1K_S1L_EUlS1K_E_NS1_11comp_targetILNS1_3genE10ELNS1_11target_archE1200ELNS1_3gpuE4ELNS1_3repE0EEENS1_30default_config_static_selectorELNS0_4arch9wavefront6targetE1EEEvSY_,comdat
.Lfunc_end1425:
	.size	_ZN7rocprim17ROCPRIM_400000_NS6detail17trampoline_kernelINS0_13select_configILj256ELj13ELNS0_17block_load_methodE3ELS4_3ELS4_3ELNS0_20block_scan_algorithmE0ELj4294967295EEENS1_25partition_config_selectorILNS1_17partition_subalgoE3EjNS0_10empty_typeEbEEZZNS1_14partition_implILS8_3ELb0ES6_jNS0_17counting_iteratorIjlEEPS9_SE_NS0_5tupleIJPjSE_EEENSF_IJSE_SE_EEES9_SG_JZNS1_25segmented_radix_sort_implINS0_14default_configELb0EPKfPfPKlPlN2at6native12_GLOBAL__N_18offset_tEEE10hipError_tPvRmT1_PNSt15iterator_traitsISY_E10value_typeET2_T3_PNSZ_IS14_E10value_typeET4_jRbjT5_S1A_jjP12ihipStream_tbEUljE_EEESV_SW_SX_S14_S18_S1A_T6_T7_T9_mT8_S1C_bDpT10_ENKUlT_T0_E_clISt17integral_constantIbLb0EES1O_IbLb1EEEEDaS1K_S1L_EUlS1K_E_NS1_11comp_targetILNS1_3genE10ELNS1_11target_archE1200ELNS1_3gpuE4ELNS1_3repE0EEENS1_30default_config_static_selectorELNS0_4arch9wavefront6targetE1EEEvSY_, .Lfunc_end1425-_ZN7rocprim17ROCPRIM_400000_NS6detail17trampoline_kernelINS0_13select_configILj256ELj13ELNS0_17block_load_methodE3ELS4_3ELS4_3ELNS0_20block_scan_algorithmE0ELj4294967295EEENS1_25partition_config_selectorILNS1_17partition_subalgoE3EjNS0_10empty_typeEbEEZZNS1_14partition_implILS8_3ELb0ES6_jNS0_17counting_iteratorIjlEEPS9_SE_NS0_5tupleIJPjSE_EEENSF_IJSE_SE_EEES9_SG_JZNS1_25segmented_radix_sort_implINS0_14default_configELb0EPKfPfPKlPlN2at6native12_GLOBAL__N_18offset_tEEE10hipError_tPvRmT1_PNSt15iterator_traitsISY_E10value_typeET2_T3_PNSZ_IS14_E10value_typeET4_jRbjT5_S1A_jjP12ihipStream_tbEUljE_EEESV_SW_SX_S14_S18_S1A_T6_T7_T9_mT8_S1C_bDpT10_ENKUlT_T0_E_clISt17integral_constantIbLb0EES1O_IbLb1EEEEDaS1K_S1L_EUlS1K_E_NS1_11comp_targetILNS1_3genE10ELNS1_11target_archE1200ELNS1_3gpuE4ELNS1_3repE0EEENS1_30default_config_static_selectorELNS0_4arch9wavefront6targetE1EEEvSY_
                                        ; -- End function
	.set _ZN7rocprim17ROCPRIM_400000_NS6detail17trampoline_kernelINS0_13select_configILj256ELj13ELNS0_17block_load_methodE3ELS4_3ELS4_3ELNS0_20block_scan_algorithmE0ELj4294967295EEENS1_25partition_config_selectorILNS1_17partition_subalgoE3EjNS0_10empty_typeEbEEZZNS1_14partition_implILS8_3ELb0ES6_jNS0_17counting_iteratorIjlEEPS9_SE_NS0_5tupleIJPjSE_EEENSF_IJSE_SE_EEES9_SG_JZNS1_25segmented_radix_sort_implINS0_14default_configELb0EPKfPfPKlPlN2at6native12_GLOBAL__N_18offset_tEEE10hipError_tPvRmT1_PNSt15iterator_traitsISY_E10value_typeET2_T3_PNSZ_IS14_E10value_typeET4_jRbjT5_S1A_jjP12ihipStream_tbEUljE_EEESV_SW_SX_S14_S18_S1A_T6_T7_T9_mT8_S1C_bDpT10_ENKUlT_T0_E_clISt17integral_constantIbLb0EES1O_IbLb1EEEEDaS1K_S1L_EUlS1K_E_NS1_11comp_targetILNS1_3genE10ELNS1_11target_archE1200ELNS1_3gpuE4ELNS1_3repE0EEENS1_30default_config_static_selectorELNS0_4arch9wavefront6targetE1EEEvSY_.num_vgpr, 0
	.set _ZN7rocprim17ROCPRIM_400000_NS6detail17trampoline_kernelINS0_13select_configILj256ELj13ELNS0_17block_load_methodE3ELS4_3ELS4_3ELNS0_20block_scan_algorithmE0ELj4294967295EEENS1_25partition_config_selectorILNS1_17partition_subalgoE3EjNS0_10empty_typeEbEEZZNS1_14partition_implILS8_3ELb0ES6_jNS0_17counting_iteratorIjlEEPS9_SE_NS0_5tupleIJPjSE_EEENSF_IJSE_SE_EEES9_SG_JZNS1_25segmented_radix_sort_implINS0_14default_configELb0EPKfPfPKlPlN2at6native12_GLOBAL__N_18offset_tEEE10hipError_tPvRmT1_PNSt15iterator_traitsISY_E10value_typeET2_T3_PNSZ_IS14_E10value_typeET4_jRbjT5_S1A_jjP12ihipStream_tbEUljE_EEESV_SW_SX_S14_S18_S1A_T6_T7_T9_mT8_S1C_bDpT10_ENKUlT_T0_E_clISt17integral_constantIbLb0EES1O_IbLb1EEEEDaS1K_S1L_EUlS1K_E_NS1_11comp_targetILNS1_3genE10ELNS1_11target_archE1200ELNS1_3gpuE4ELNS1_3repE0EEENS1_30default_config_static_selectorELNS0_4arch9wavefront6targetE1EEEvSY_.num_agpr, 0
	.set _ZN7rocprim17ROCPRIM_400000_NS6detail17trampoline_kernelINS0_13select_configILj256ELj13ELNS0_17block_load_methodE3ELS4_3ELS4_3ELNS0_20block_scan_algorithmE0ELj4294967295EEENS1_25partition_config_selectorILNS1_17partition_subalgoE3EjNS0_10empty_typeEbEEZZNS1_14partition_implILS8_3ELb0ES6_jNS0_17counting_iteratorIjlEEPS9_SE_NS0_5tupleIJPjSE_EEENSF_IJSE_SE_EEES9_SG_JZNS1_25segmented_radix_sort_implINS0_14default_configELb0EPKfPfPKlPlN2at6native12_GLOBAL__N_18offset_tEEE10hipError_tPvRmT1_PNSt15iterator_traitsISY_E10value_typeET2_T3_PNSZ_IS14_E10value_typeET4_jRbjT5_S1A_jjP12ihipStream_tbEUljE_EEESV_SW_SX_S14_S18_S1A_T6_T7_T9_mT8_S1C_bDpT10_ENKUlT_T0_E_clISt17integral_constantIbLb0EES1O_IbLb1EEEEDaS1K_S1L_EUlS1K_E_NS1_11comp_targetILNS1_3genE10ELNS1_11target_archE1200ELNS1_3gpuE4ELNS1_3repE0EEENS1_30default_config_static_selectorELNS0_4arch9wavefront6targetE1EEEvSY_.numbered_sgpr, 0
	.set _ZN7rocprim17ROCPRIM_400000_NS6detail17trampoline_kernelINS0_13select_configILj256ELj13ELNS0_17block_load_methodE3ELS4_3ELS4_3ELNS0_20block_scan_algorithmE0ELj4294967295EEENS1_25partition_config_selectorILNS1_17partition_subalgoE3EjNS0_10empty_typeEbEEZZNS1_14partition_implILS8_3ELb0ES6_jNS0_17counting_iteratorIjlEEPS9_SE_NS0_5tupleIJPjSE_EEENSF_IJSE_SE_EEES9_SG_JZNS1_25segmented_radix_sort_implINS0_14default_configELb0EPKfPfPKlPlN2at6native12_GLOBAL__N_18offset_tEEE10hipError_tPvRmT1_PNSt15iterator_traitsISY_E10value_typeET2_T3_PNSZ_IS14_E10value_typeET4_jRbjT5_S1A_jjP12ihipStream_tbEUljE_EEESV_SW_SX_S14_S18_S1A_T6_T7_T9_mT8_S1C_bDpT10_ENKUlT_T0_E_clISt17integral_constantIbLb0EES1O_IbLb1EEEEDaS1K_S1L_EUlS1K_E_NS1_11comp_targetILNS1_3genE10ELNS1_11target_archE1200ELNS1_3gpuE4ELNS1_3repE0EEENS1_30default_config_static_selectorELNS0_4arch9wavefront6targetE1EEEvSY_.num_named_barrier, 0
	.set _ZN7rocprim17ROCPRIM_400000_NS6detail17trampoline_kernelINS0_13select_configILj256ELj13ELNS0_17block_load_methodE3ELS4_3ELS4_3ELNS0_20block_scan_algorithmE0ELj4294967295EEENS1_25partition_config_selectorILNS1_17partition_subalgoE3EjNS0_10empty_typeEbEEZZNS1_14partition_implILS8_3ELb0ES6_jNS0_17counting_iteratorIjlEEPS9_SE_NS0_5tupleIJPjSE_EEENSF_IJSE_SE_EEES9_SG_JZNS1_25segmented_radix_sort_implINS0_14default_configELb0EPKfPfPKlPlN2at6native12_GLOBAL__N_18offset_tEEE10hipError_tPvRmT1_PNSt15iterator_traitsISY_E10value_typeET2_T3_PNSZ_IS14_E10value_typeET4_jRbjT5_S1A_jjP12ihipStream_tbEUljE_EEESV_SW_SX_S14_S18_S1A_T6_T7_T9_mT8_S1C_bDpT10_ENKUlT_T0_E_clISt17integral_constantIbLb0EES1O_IbLb1EEEEDaS1K_S1L_EUlS1K_E_NS1_11comp_targetILNS1_3genE10ELNS1_11target_archE1200ELNS1_3gpuE4ELNS1_3repE0EEENS1_30default_config_static_selectorELNS0_4arch9wavefront6targetE1EEEvSY_.private_seg_size, 0
	.set _ZN7rocprim17ROCPRIM_400000_NS6detail17trampoline_kernelINS0_13select_configILj256ELj13ELNS0_17block_load_methodE3ELS4_3ELS4_3ELNS0_20block_scan_algorithmE0ELj4294967295EEENS1_25partition_config_selectorILNS1_17partition_subalgoE3EjNS0_10empty_typeEbEEZZNS1_14partition_implILS8_3ELb0ES6_jNS0_17counting_iteratorIjlEEPS9_SE_NS0_5tupleIJPjSE_EEENSF_IJSE_SE_EEES9_SG_JZNS1_25segmented_radix_sort_implINS0_14default_configELb0EPKfPfPKlPlN2at6native12_GLOBAL__N_18offset_tEEE10hipError_tPvRmT1_PNSt15iterator_traitsISY_E10value_typeET2_T3_PNSZ_IS14_E10value_typeET4_jRbjT5_S1A_jjP12ihipStream_tbEUljE_EEESV_SW_SX_S14_S18_S1A_T6_T7_T9_mT8_S1C_bDpT10_ENKUlT_T0_E_clISt17integral_constantIbLb0EES1O_IbLb1EEEEDaS1K_S1L_EUlS1K_E_NS1_11comp_targetILNS1_3genE10ELNS1_11target_archE1200ELNS1_3gpuE4ELNS1_3repE0EEENS1_30default_config_static_selectorELNS0_4arch9wavefront6targetE1EEEvSY_.uses_vcc, 0
	.set _ZN7rocprim17ROCPRIM_400000_NS6detail17trampoline_kernelINS0_13select_configILj256ELj13ELNS0_17block_load_methodE3ELS4_3ELS4_3ELNS0_20block_scan_algorithmE0ELj4294967295EEENS1_25partition_config_selectorILNS1_17partition_subalgoE3EjNS0_10empty_typeEbEEZZNS1_14partition_implILS8_3ELb0ES6_jNS0_17counting_iteratorIjlEEPS9_SE_NS0_5tupleIJPjSE_EEENSF_IJSE_SE_EEES9_SG_JZNS1_25segmented_radix_sort_implINS0_14default_configELb0EPKfPfPKlPlN2at6native12_GLOBAL__N_18offset_tEEE10hipError_tPvRmT1_PNSt15iterator_traitsISY_E10value_typeET2_T3_PNSZ_IS14_E10value_typeET4_jRbjT5_S1A_jjP12ihipStream_tbEUljE_EEESV_SW_SX_S14_S18_S1A_T6_T7_T9_mT8_S1C_bDpT10_ENKUlT_T0_E_clISt17integral_constantIbLb0EES1O_IbLb1EEEEDaS1K_S1L_EUlS1K_E_NS1_11comp_targetILNS1_3genE10ELNS1_11target_archE1200ELNS1_3gpuE4ELNS1_3repE0EEENS1_30default_config_static_selectorELNS0_4arch9wavefront6targetE1EEEvSY_.uses_flat_scratch, 0
	.set _ZN7rocprim17ROCPRIM_400000_NS6detail17trampoline_kernelINS0_13select_configILj256ELj13ELNS0_17block_load_methodE3ELS4_3ELS4_3ELNS0_20block_scan_algorithmE0ELj4294967295EEENS1_25partition_config_selectorILNS1_17partition_subalgoE3EjNS0_10empty_typeEbEEZZNS1_14partition_implILS8_3ELb0ES6_jNS0_17counting_iteratorIjlEEPS9_SE_NS0_5tupleIJPjSE_EEENSF_IJSE_SE_EEES9_SG_JZNS1_25segmented_radix_sort_implINS0_14default_configELb0EPKfPfPKlPlN2at6native12_GLOBAL__N_18offset_tEEE10hipError_tPvRmT1_PNSt15iterator_traitsISY_E10value_typeET2_T3_PNSZ_IS14_E10value_typeET4_jRbjT5_S1A_jjP12ihipStream_tbEUljE_EEESV_SW_SX_S14_S18_S1A_T6_T7_T9_mT8_S1C_bDpT10_ENKUlT_T0_E_clISt17integral_constantIbLb0EES1O_IbLb1EEEEDaS1K_S1L_EUlS1K_E_NS1_11comp_targetILNS1_3genE10ELNS1_11target_archE1200ELNS1_3gpuE4ELNS1_3repE0EEENS1_30default_config_static_selectorELNS0_4arch9wavefront6targetE1EEEvSY_.has_dyn_sized_stack, 0
	.set _ZN7rocprim17ROCPRIM_400000_NS6detail17trampoline_kernelINS0_13select_configILj256ELj13ELNS0_17block_load_methodE3ELS4_3ELS4_3ELNS0_20block_scan_algorithmE0ELj4294967295EEENS1_25partition_config_selectorILNS1_17partition_subalgoE3EjNS0_10empty_typeEbEEZZNS1_14partition_implILS8_3ELb0ES6_jNS0_17counting_iteratorIjlEEPS9_SE_NS0_5tupleIJPjSE_EEENSF_IJSE_SE_EEES9_SG_JZNS1_25segmented_radix_sort_implINS0_14default_configELb0EPKfPfPKlPlN2at6native12_GLOBAL__N_18offset_tEEE10hipError_tPvRmT1_PNSt15iterator_traitsISY_E10value_typeET2_T3_PNSZ_IS14_E10value_typeET4_jRbjT5_S1A_jjP12ihipStream_tbEUljE_EEESV_SW_SX_S14_S18_S1A_T6_T7_T9_mT8_S1C_bDpT10_ENKUlT_T0_E_clISt17integral_constantIbLb0EES1O_IbLb1EEEEDaS1K_S1L_EUlS1K_E_NS1_11comp_targetILNS1_3genE10ELNS1_11target_archE1200ELNS1_3gpuE4ELNS1_3repE0EEENS1_30default_config_static_selectorELNS0_4arch9wavefront6targetE1EEEvSY_.has_recursion, 0
	.set _ZN7rocprim17ROCPRIM_400000_NS6detail17trampoline_kernelINS0_13select_configILj256ELj13ELNS0_17block_load_methodE3ELS4_3ELS4_3ELNS0_20block_scan_algorithmE0ELj4294967295EEENS1_25partition_config_selectorILNS1_17partition_subalgoE3EjNS0_10empty_typeEbEEZZNS1_14partition_implILS8_3ELb0ES6_jNS0_17counting_iteratorIjlEEPS9_SE_NS0_5tupleIJPjSE_EEENSF_IJSE_SE_EEES9_SG_JZNS1_25segmented_radix_sort_implINS0_14default_configELb0EPKfPfPKlPlN2at6native12_GLOBAL__N_18offset_tEEE10hipError_tPvRmT1_PNSt15iterator_traitsISY_E10value_typeET2_T3_PNSZ_IS14_E10value_typeET4_jRbjT5_S1A_jjP12ihipStream_tbEUljE_EEESV_SW_SX_S14_S18_S1A_T6_T7_T9_mT8_S1C_bDpT10_ENKUlT_T0_E_clISt17integral_constantIbLb0EES1O_IbLb1EEEEDaS1K_S1L_EUlS1K_E_NS1_11comp_targetILNS1_3genE10ELNS1_11target_archE1200ELNS1_3gpuE4ELNS1_3repE0EEENS1_30default_config_static_selectorELNS0_4arch9wavefront6targetE1EEEvSY_.has_indirect_call, 0
	.section	.AMDGPU.csdata,"",@progbits
; Kernel info:
; codeLenInByte = 0
; TotalNumSgprs: 4
; NumVgprs: 0
; ScratchSize: 0
; MemoryBound: 0
; FloatMode: 240
; IeeeMode: 1
; LDSByteSize: 0 bytes/workgroup (compile time only)
; SGPRBlocks: 0
; VGPRBlocks: 0
; NumSGPRsForWavesPerEU: 4
; NumVGPRsForWavesPerEU: 1
; Occupancy: 10
; WaveLimiterHint : 0
; COMPUTE_PGM_RSRC2:SCRATCH_EN: 0
; COMPUTE_PGM_RSRC2:USER_SGPR: 6
; COMPUTE_PGM_RSRC2:TRAP_HANDLER: 0
; COMPUTE_PGM_RSRC2:TGID_X_EN: 1
; COMPUTE_PGM_RSRC2:TGID_Y_EN: 0
; COMPUTE_PGM_RSRC2:TGID_Z_EN: 0
; COMPUTE_PGM_RSRC2:TIDIG_COMP_CNT: 0
	.section	.text._ZN7rocprim17ROCPRIM_400000_NS6detail17trampoline_kernelINS0_13select_configILj256ELj13ELNS0_17block_load_methodE3ELS4_3ELS4_3ELNS0_20block_scan_algorithmE0ELj4294967295EEENS1_25partition_config_selectorILNS1_17partition_subalgoE3EjNS0_10empty_typeEbEEZZNS1_14partition_implILS8_3ELb0ES6_jNS0_17counting_iteratorIjlEEPS9_SE_NS0_5tupleIJPjSE_EEENSF_IJSE_SE_EEES9_SG_JZNS1_25segmented_radix_sort_implINS0_14default_configELb0EPKfPfPKlPlN2at6native12_GLOBAL__N_18offset_tEEE10hipError_tPvRmT1_PNSt15iterator_traitsISY_E10value_typeET2_T3_PNSZ_IS14_E10value_typeET4_jRbjT5_S1A_jjP12ihipStream_tbEUljE_EEESV_SW_SX_S14_S18_S1A_T6_T7_T9_mT8_S1C_bDpT10_ENKUlT_T0_E_clISt17integral_constantIbLb0EES1O_IbLb1EEEEDaS1K_S1L_EUlS1K_E_NS1_11comp_targetILNS1_3genE9ELNS1_11target_archE1100ELNS1_3gpuE3ELNS1_3repE0EEENS1_30default_config_static_selectorELNS0_4arch9wavefront6targetE1EEEvSY_,"axG",@progbits,_ZN7rocprim17ROCPRIM_400000_NS6detail17trampoline_kernelINS0_13select_configILj256ELj13ELNS0_17block_load_methodE3ELS4_3ELS4_3ELNS0_20block_scan_algorithmE0ELj4294967295EEENS1_25partition_config_selectorILNS1_17partition_subalgoE3EjNS0_10empty_typeEbEEZZNS1_14partition_implILS8_3ELb0ES6_jNS0_17counting_iteratorIjlEEPS9_SE_NS0_5tupleIJPjSE_EEENSF_IJSE_SE_EEES9_SG_JZNS1_25segmented_radix_sort_implINS0_14default_configELb0EPKfPfPKlPlN2at6native12_GLOBAL__N_18offset_tEEE10hipError_tPvRmT1_PNSt15iterator_traitsISY_E10value_typeET2_T3_PNSZ_IS14_E10value_typeET4_jRbjT5_S1A_jjP12ihipStream_tbEUljE_EEESV_SW_SX_S14_S18_S1A_T6_T7_T9_mT8_S1C_bDpT10_ENKUlT_T0_E_clISt17integral_constantIbLb0EES1O_IbLb1EEEEDaS1K_S1L_EUlS1K_E_NS1_11comp_targetILNS1_3genE9ELNS1_11target_archE1100ELNS1_3gpuE3ELNS1_3repE0EEENS1_30default_config_static_selectorELNS0_4arch9wavefront6targetE1EEEvSY_,comdat
	.globl	_ZN7rocprim17ROCPRIM_400000_NS6detail17trampoline_kernelINS0_13select_configILj256ELj13ELNS0_17block_load_methodE3ELS4_3ELS4_3ELNS0_20block_scan_algorithmE0ELj4294967295EEENS1_25partition_config_selectorILNS1_17partition_subalgoE3EjNS0_10empty_typeEbEEZZNS1_14partition_implILS8_3ELb0ES6_jNS0_17counting_iteratorIjlEEPS9_SE_NS0_5tupleIJPjSE_EEENSF_IJSE_SE_EEES9_SG_JZNS1_25segmented_radix_sort_implINS0_14default_configELb0EPKfPfPKlPlN2at6native12_GLOBAL__N_18offset_tEEE10hipError_tPvRmT1_PNSt15iterator_traitsISY_E10value_typeET2_T3_PNSZ_IS14_E10value_typeET4_jRbjT5_S1A_jjP12ihipStream_tbEUljE_EEESV_SW_SX_S14_S18_S1A_T6_T7_T9_mT8_S1C_bDpT10_ENKUlT_T0_E_clISt17integral_constantIbLb0EES1O_IbLb1EEEEDaS1K_S1L_EUlS1K_E_NS1_11comp_targetILNS1_3genE9ELNS1_11target_archE1100ELNS1_3gpuE3ELNS1_3repE0EEENS1_30default_config_static_selectorELNS0_4arch9wavefront6targetE1EEEvSY_ ; -- Begin function _ZN7rocprim17ROCPRIM_400000_NS6detail17trampoline_kernelINS0_13select_configILj256ELj13ELNS0_17block_load_methodE3ELS4_3ELS4_3ELNS0_20block_scan_algorithmE0ELj4294967295EEENS1_25partition_config_selectorILNS1_17partition_subalgoE3EjNS0_10empty_typeEbEEZZNS1_14partition_implILS8_3ELb0ES6_jNS0_17counting_iteratorIjlEEPS9_SE_NS0_5tupleIJPjSE_EEENSF_IJSE_SE_EEES9_SG_JZNS1_25segmented_radix_sort_implINS0_14default_configELb0EPKfPfPKlPlN2at6native12_GLOBAL__N_18offset_tEEE10hipError_tPvRmT1_PNSt15iterator_traitsISY_E10value_typeET2_T3_PNSZ_IS14_E10value_typeET4_jRbjT5_S1A_jjP12ihipStream_tbEUljE_EEESV_SW_SX_S14_S18_S1A_T6_T7_T9_mT8_S1C_bDpT10_ENKUlT_T0_E_clISt17integral_constantIbLb0EES1O_IbLb1EEEEDaS1K_S1L_EUlS1K_E_NS1_11comp_targetILNS1_3genE9ELNS1_11target_archE1100ELNS1_3gpuE3ELNS1_3repE0EEENS1_30default_config_static_selectorELNS0_4arch9wavefront6targetE1EEEvSY_
	.p2align	8
	.type	_ZN7rocprim17ROCPRIM_400000_NS6detail17trampoline_kernelINS0_13select_configILj256ELj13ELNS0_17block_load_methodE3ELS4_3ELS4_3ELNS0_20block_scan_algorithmE0ELj4294967295EEENS1_25partition_config_selectorILNS1_17partition_subalgoE3EjNS0_10empty_typeEbEEZZNS1_14partition_implILS8_3ELb0ES6_jNS0_17counting_iteratorIjlEEPS9_SE_NS0_5tupleIJPjSE_EEENSF_IJSE_SE_EEES9_SG_JZNS1_25segmented_radix_sort_implINS0_14default_configELb0EPKfPfPKlPlN2at6native12_GLOBAL__N_18offset_tEEE10hipError_tPvRmT1_PNSt15iterator_traitsISY_E10value_typeET2_T3_PNSZ_IS14_E10value_typeET4_jRbjT5_S1A_jjP12ihipStream_tbEUljE_EEESV_SW_SX_S14_S18_S1A_T6_T7_T9_mT8_S1C_bDpT10_ENKUlT_T0_E_clISt17integral_constantIbLb0EES1O_IbLb1EEEEDaS1K_S1L_EUlS1K_E_NS1_11comp_targetILNS1_3genE9ELNS1_11target_archE1100ELNS1_3gpuE3ELNS1_3repE0EEENS1_30default_config_static_selectorELNS0_4arch9wavefront6targetE1EEEvSY_,@function
_ZN7rocprim17ROCPRIM_400000_NS6detail17trampoline_kernelINS0_13select_configILj256ELj13ELNS0_17block_load_methodE3ELS4_3ELS4_3ELNS0_20block_scan_algorithmE0ELj4294967295EEENS1_25partition_config_selectorILNS1_17partition_subalgoE3EjNS0_10empty_typeEbEEZZNS1_14partition_implILS8_3ELb0ES6_jNS0_17counting_iteratorIjlEEPS9_SE_NS0_5tupleIJPjSE_EEENSF_IJSE_SE_EEES9_SG_JZNS1_25segmented_radix_sort_implINS0_14default_configELb0EPKfPfPKlPlN2at6native12_GLOBAL__N_18offset_tEEE10hipError_tPvRmT1_PNSt15iterator_traitsISY_E10value_typeET2_T3_PNSZ_IS14_E10value_typeET4_jRbjT5_S1A_jjP12ihipStream_tbEUljE_EEESV_SW_SX_S14_S18_S1A_T6_T7_T9_mT8_S1C_bDpT10_ENKUlT_T0_E_clISt17integral_constantIbLb0EES1O_IbLb1EEEEDaS1K_S1L_EUlS1K_E_NS1_11comp_targetILNS1_3genE9ELNS1_11target_archE1100ELNS1_3gpuE3ELNS1_3repE0EEENS1_30default_config_static_selectorELNS0_4arch9wavefront6targetE1EEEvSY_: ; @_ZN7rocprim17ROCPRIM_400000_NS6detail17trampoline_kernelINS0_13select_configILj256ELj13ELNS0_17block_load_methodE3ELS4_3ELS4_3ELNS0_20block_scan_algorithmE0ELj4294967295EEENS1_25partition_config_selectorILNS1_17partition_subalgoE3EjNS0_10empty_typeEbEEZZNS1_14partition_implILS8_3ELb0ES6_jNS0_17counting_iteratorIjlEEPS9_SE_NS0_5tupleIJPjSE_EEENSF_IJSE_SE_EEES9_SG_JZNS1_25segmented_radix_sort_implINS0_14default_configELb0EPKfPfPKlPlN2at6native12_GLOBAL__N_18offset_tEEE10hipError_tPvRmT1_PNSt15iterator_traitsISY_E10value_typeET2_T3_PNSZ_IS14_E10value_typeET4_jRbjT5_S1A_jjP12ihipStream_tbEUljE_EEESV_SW_SX_S14_S18_S1A_T6_T7_T9_mT8_S1C_bDpT10_ENKUlT_T0_E_clISt17integral_constantIbLb0EES1O_IbLb1EEEEDaS1K_S1L_EUlS1K_E_NS1_11comp_targetILNS1_3genE9ELNS1_11target_archE1100ELNS1_3gpuE3ELNS1_3repE0EEENS1_30default_config_static_selectorELNS0_4arch9wavefront6targetE1EEEvSY_
; %bb.0:
	.section	.rodata,"a",@progbits
	.p2align	6, 0x0
	.amdhsa_kernel _ZN7rocprim17ROCPRIM_400000_NS6detail17trampoline_kernelINS0_13select_configILj256ELj13ELNS0_17block_load_methodE3ELS4_3ELS4_3ELNS0_20block_scan_algorithmE0ELj4294967295EEENS1_25partition_config_selectorILNS1_17partition_subalgoE3EjNS0_10empty_typeEbEEZZNS1_14partition_implILS8_3ELb0ES6_jNS0_17counting_iteratorIjlEEPS9_SE_NS0_5tupleIJPjSE_EEENSF_IJSE_SE_EEES9_SG_JZNS1_25segmented_radix_sort_implINS0_14default_configELb0EPKfPfPKlPlN2at6native12_GLOBAL__N_18offset_tEEE10hipError_tPvRmT1_PNSt15iterator_traitsISY_E10value_typeET2_T3_PNSZ_IS14_E10value_typeET4_jRbjT5_S1A_jjP12ihipStream_tbEUljE_EEESV_SW_SX_S14_S18_S1A_T6_T7_T9_mT8_S1C_bDpT10_ENKUlT_T0_E_clISt17integral_constantIbLb0EES1O_IbLb1EEEEDaS1K_S1L_EUlS1K_E_NS1_11comp_targetILNS1_3genE9ELNS1_11target_archE1100ELNS1_3gpuE3ELNS1_3repE0EEENS1_30default_config_static_selectorELNS0_4arch9wavefront6targetE1EEEvSY_
		.amdhsa_group_segment_fixed_size 0
		.amdhsa_private_segment_fixed_size 0
		.amdhsa_kernarg_size 152
		.amdhsa_user_sgpr_count 6
		.amdhsa_user_sgpr_private_segment_buffer 1
		.amdhsa_user_sgpr_dispatch_ptr 0
		.amdhsa_user_sgpr_queue_ptr 0
		.amdhsa_user_sgpr_kernarg_segment_ptr 1
		.amdhsa_user_sgpr_dispatch_id 0
		.amdhsa_user_sgpr_flat_scratch_init 0
		.amdhsa_user_sgpr_private_segment_size 0
		.amdhsa_uses_dynamic_stack 0
		.amdhsa_system_sgpr_private_segment_wavefront_offset 0
		.amdhsa_system_sgpr_workgroup_id_x 1
		.amdhsa_system_sgpr_workgroup_id_y 0
		.amdhsa_system_sgpr_workgroup_id_z 0
		.amdhsa_system_sgpr_workgroup_info 0
		.amdhsa_system_vgpr_workitem_id 0
		.amdhsa_next_free_vgpr 1
		.amdhsa_next_free_sgpr 0
		.amdhsa_reserve_vcc 0
		.amdhsa_reserve_flat_scratch 0
		.amdhsa_float_round_mode_32 0
		.amdhsa_float_round_mode_16_64 0
		.amdhsa_float_denorm_mode_32 3
		.amdhsa_float_denorm_mode_16_64 3
		.amdhsa_dx10_clamp 1
		.amdhsa_ieee_mode 1
		.amdhsa_fp16_overflow 0
		.amdhsa_exception_fp_ieee_invalid_op 0
		.amdhsa_exception_fp_denorm_src 0
		.amdhsa_exception_fp_ieee_div_zero 0
		.amdhsa_exception_fp_ieee_overflow 0
		.amdhsa_exception_fp_ieee_underflow 0
		.amdhsa_exception_fp_ieee_inexact 0
		.amdhsa_exception_int_div_zero 0
	.end_amdhsa_kernel
	.section	.text._ZN7rocprim17ROCPRIM_400000_NS6detail17trampoline_kernelINS0_13select_configILj256ELj13ELNS0_17block_load_methodE3ELS4_3ELS4_3ELNS0_20block_scan_algorithmE0ELj4294967295EEENS1_25partition_config_selectorILNS1_17partition_subalgoE3EjNS0_10empty_typeEbEEZZNS1_14partition_implILS8_3ELb0ES6_jNS0_17counting_iteratorIjlEEPS9_SE_NS0_5tupleIJPjSE_EEENSF_IJSE_SE_EEES9_SG_JZNS1_25segmented_radix_sort_implINS0_14default_configELb0EPKfPfPKlPlN2at6native12_GLOBAL__N_18offset_tEEE10hipError_tPvRmT1_PNSt15iterator_traitsISY_E10value_typeET2_T3_PNSZ_IS14_E10value_typeET4_jRbjT5_S1A_jjP12ihipStream_tbEUljE_EEESV_SW_SX_S14_S18_S1A_T6_T7_T9_mT8_S1C_bDpT10_ENKUlT_T0_E_clISt17integral_constantIbLb0EES1O_IbLb1EEEEDaS1K_S1L_EUlS1K_E_NS1_11comp_targetILNS1_3genE9ELNS1_11target_archE1100ELNS1_3gpuE3ELNS1_3repE0EEENS1_30default_config_static_selectorELNS0_4arch9wavefront6targetE1EEEvSY_,"axG",@progbits,_ZN7rocprim17ROCPRIM_400000_NS6detail17trampoline_kernelINS0_13select_configILj256ELj13ELNS0_17block_load_methodE3ELS4_3ELS4_3ELNS0_20block_scan_algorithmE0ELj4294967295EEENS1_25partition_config_selectorILNS1_17partition_subalgoE3EjNS0_10empty_typeEbEEZZNS1_14partition_implILS8_3ELb0ES6_jNS0_17counting_iteratorIjlEEPS9_SE_NS0_5tupleIJPjSE_EEENSF_IJSE_SE_EEES9_SG_JZNS1_25segmented_radix_sort_implINS0_14default_configELb0EPKfPfPKlPlN2at6native12_GLOBAL__N_18offset_tEEE10hipError_tPvRmT1_PNSt15iterator_traitsISY_E10value_typeET2_T3_PNSZ_IS14_E10value_typeET4_jRbjT5_S1A_jjP12ihipStream_tbEUljE_EEESV_SW_SX_S14_S18_S1A_T6_T7_T9_mT8_S1C_bDpT10_ENKUlT_T0_E_clISt17integral_constantIbLb0EES1O_IbLb1EEEEDaS1K_S1L_EUlS1K_E_NS1_11comp_targetILNS1_3genE9ELNS1_11target_archE1100ELNS1_3gpuE3ELNS1_3repE0EEENS1_30default_config_static_selectorELNS0_4arch9wavefront6targetE1EEEvSY_,comdat
.Lfunc_end1426:
	.size	_ZN7rocprim17ROCPRIM_400000_NS6detail17trampoline_kernelINS0_13select_configILj256ELj13ELNS0_17block_load_methodE3ELS4_3ELS4_3ELNS0_20block_scan_algorithmE0ELj4294967295EEENS1_25partition_config_selectorILNS1_17partition_subalgoE3EjNS0_10empty_typeEbEEZZNS1_14partition_implILS8_3ELb0ES6_jNS0_17counting_iteratorIjlEEPS9_SE_NS0_5tupleIJPjSE_EEENSF_IJSE_SE_EEES9_SG_JZNS1_25segmented_radix_sort_implINS0_14default_configELb0EPKfPfPKlPlN2at6native12_GLOBAL__N_18offset_tEEE10hipError_tPvRmT1_PNSt15iterator_traitsISY_E10value_typeET2_T3_PNSZ_IS14_E10value_typeET4_jRbjT5_S1A_jjP12ihipStream_tbEUljE_EEESV_SW_SX_S14_S18_S1A_T6_T7_T9_mT8_S1C_bDpT10_ENKUlT_T0_E_clISt17integral_constantIbLb0EES1O_IbLb1EEEEDaS1K_S1L_EUlS1K_E_NS1_11comp_targetILNS1_3genE9ELNS1_11target_archE1100ELNS1_3gpuE3ELNS1_3repE0EEENS1_30default_config_static_selectorELNS0_4arch9wavefront6targetE1EEEvSY_, .Lfunc_end1426-_ZN7rocprim17ROCPRIM_400000_NS6detail17trampoline_kernelINS0_13select_configILj256ELj13ELNS0_17block_load_methodE3ELS4_3ELS4_3ELNS0_20block_scan_algorithmE0ELj4294967295EEENS1_25partition_config_selectorILNS1_17partition_subalgoE3EjNS0_10empty_typeEbEEZZNS1_14partition_implILS8_3ELb0ES6_jNS0_17counting_iteratorIjlEEPS9_SE_NS0_5tupleIJPjSE_EEENSF_IJSE_SE_EEES9_SG_JZNS1_25segmented_radix_sort_implINS0_14default_configELb0EPKfPfPKlPlN2at6native12_GLOBAL__N_18offset_tEEE10hipError_tPvRmT1_PNSt15iterator_traitsISY_E10value_typeET2_T3_PNSZ_IS14_E10value_typeET4_jRbjT5_S1A_jjP12ihipStream_tbEUljE_EEESV_SW_SX_S14_S18_S1A_T6_T7_T9_mT8_S1C_bDpT10_ENKUlT_T0_E_clISt17integral_constantIbLb0EES1O_IbLb1EEEEDaS1K_S1L_EUlS1K_E_NS1_11comp_targetILNS1_3genE9ELNS1_11target_archE1100ELNS1_3gpuE3ELNS1_3repE0EEENS1_30default_config_static_selectorELNS0_4arch9wavefront6targetE1EEEvSY_
                                        ; -- End function
	.set _ZN7rocprim17ROCPRIM_400000_NS6detail17trampoline_kernelINS0_13select_configILj256ELj13ELNS0_17block_load_methodE3ELS4_3ELS4_3ELNS0_20block_scan_algorithmE0ELj4294967295EEENS1_25partition_config_selectorILNS1_17partition_subalgoE3EjNS0_10empty_typeEbEEZZNS1_14partition_implILS8_3ELb0ES6_jNS0_17counting_iteratorIjlEEPS9_SE_NS0_5tupleIJPjSE_EEENSF_IJSE_SE_EEES9_SG_JZNS1_25segmented_radix_sort_implINS0_14default_configELb0EPKfPfPKlPlN2at6native12_GLOBAL__N_18offset_tEEE10hipError_tPvRmT1_PNSt15iterator_traitsISY_E10value_typeET2_T3_PNSZ_IS14_E10value_typeET4_jRbjT5_S1A_jjP12ihipStream_tbEUljE_EEESV_SW_SX_S14_S18_S1A_T6_T7_T9_mT8_S1C_bDpT10_ENKUlT_T0_E_clISt17integral_constantIbLb0EES1O_IbLb1EEEEDaS1K_S1L_EUlS1K_E_NS1_11comp_targetILNS1_3genE9ELNS1_11target_archE1100ELNS1_3gpuE3ELNS1_3repE0EEENS1_30default_config_static_selectorELNS0_4arch9wavefront6targetE1EEEvSY_.num_vgpr, 0
	.set _ZN7rocprim17ROCPRIM_400000_NS6detail17trampoline_kernelINS0_13select_configILj256ELj13ELNS0_17block_load_methodE3ELS4_3ELS4_3ELNS0_20block_scan_algorithmE0ELj4294967295EEENS1_25partition_config_selectorILNS1_17partition_subalgoE3EjNS0_10empty_typeEbEEZZNS1_14partition_implILS8_3ELb0ES6_jNS0_17counting_iteratorIjlEEPS9_SE_NS0_5tupleIJPjSE_EEENSF_IJSE_SE_EEES9_SG_JZNS1_25segmented_radix_sort_implINS0_14default_configELb0EPKfPfPKlPlN2at6native12_GLOBAL__N_18offset_tEEE10hipError_tPvRmT1_PNSt15iterator_traitsISY_E10value_typeET2_T3_PNSZ_IS14_E10value_typeET4_jRbjT5_S1A_jjP12ihipStream_tbEUljE_EEESV_SW_SX_S14_S18_S1A_T6_T7_T9_mT8_S1C_bDpT10_ENKUlT_T0_E_clISt17integral_constantIbLb0EES1O_IbLb1EEEEDaS1K_S1L_EUlS1K_E_NS1_11comp_targetILNS1_3genE9ELNS1_11target_archE1100ELNS1_3gpuE3ELNS1_3repE0EEENS1_30default_config_static_selectorELNS0_4arch9wavefront6targetE1EEEvSY_.num_agpr, 0
	.set _ZN7rocprim17ROCPRIM_400000_NS6detail17trampoline_kernelINS0_13select_configILj256ELj13ELNS0_17block_load_methodE3ELS4_3ELS4_3ELNS0_20block_scan_algorithmE0ELj4294967295EEENS1_25partition_config_selectorILNS1_17partition_subalgoE3EjNS0_10empty_typeEbEEZZNS1_14partition_implILS8_3ELb0ES6_jNS0_17counting_iteratorIjlEEPS9_SE_NS0_5tupleIJPjSE_EEENSF_IJSE_SE_EEES9_SG_JZNS1_25segmented_radix_sort_implINS0_14default_configELb0EPKfPfPKlPlN2at6native12_GLOBAL__N_18offset_tEEE10hipError_tPvRmT1_PNSt15iterator_traitsISY_E10value_typeET2_T3_PNSZ_IS14_E10value_typeET4_jRbjT5_S1A_jjP12ihipStream_tbEUljE_EEESV_SW_SX_S14_S18_S1A_T6_T7_T9_mT8_S1C_bDpT10_ENKUlT_T0_E_clISt17integral_constantIbLb0EES1O_IbLb1EEEEDaS1K_S1L_EUlS1K_E_NS1_11comp_targetILNS1_3genE9ELNS1_11target_archE1100ELNS1_3gpuE3ELNS1_3repE0EEENS1_30default_config_static_selectorELNS0_4arch9wavefront6targetE1EEEvSY_.numbered_sgpr, 0
	.set _ZN7rocprim17ROCPRIM_400000_NS6detail17trampoline_kernelINS0_13select_configILj256ELj13ELNS0_17block_load_methodE3ELS4_3ELS4_3ELNS0_20block_scan_algorithmE0ELj4294967295EEENS1_25partition_config_selectorILNS1_17partition_subalgoE3EjNS0_10empty_typeEbEEZZNS1_14partition_implILS8_3ELb0ES6_jNS0_17counting_iteratorIjlEEPS9_SE_NS0_5tupleIJPjSE_EEENSF_IJSE_SE_EEES9_SG_JZNS1_25segmented_radix_sort_implINS0_14default_configELb0EPKfPfPKlPlN2at6native12_GLOBAL__N_18offset_tEEE10hipError_tPvRmT1_PNSt15iterator_traitsISY_E10value_typeET2_T3_PNSZ_IS14_E10value_typeET4_jRbjT5_S1A_jjP12ihipStream_tbEUljE_EEESV_SW_SX_S14_S18_S1A_T6_T7_T9_mT8_S1C_bDpT10_ENKUlT_T0_E_clISt17integral_constantIbLb0EES1O_IbLb1EEEEDaS1K_S1L_EUlS1K_E_NS1_11comp_targetILNS1_3genE9ELNS1_11target_archE1100ELNS1_3gpuE3ELNS1_3repE0EEENS1_30default_config_static_selectorELNS0_4arch9wavefront6targetE1EEEvSY_.num_named_barrier, 0
	.set _ZN7rocprim17ROCPRIM_400000_NS6detail17trampoline_kernelINS0_13select_configILj256ELj13ELNS0_17block_load_methodE3ELS4_3ELS4_3ELNS0_20block_scan_algorithmE0ELj4294967295EEENS1_25partition_config_selectorILNS1_17partition_subalgoE3EjNS0_10empty_typeEbEEZZNS1_14partition_implILS8_3ELb0ES6_jNS0_17counting_iteratorIjlEEPS9_SE_NS0_5tupleIJPjSE_EEENSF_IJSE_SE_EEES9_SG_JZNS1_25segmented_radix_sort_implINS0_14default_configELb0EPKfPfPKlPlN2at6native12_GLOBAL__N_18offset_tEEE10hipError_tPvRmT1_PNSt15iterator_traitsISY_E10value_typeET2_T3_PNSZ_IS14_E10value_typeET4_jRbjT5_S1A_jjP12ihipStream_tbEUljE_EEESV_SW_SX_S14_S18_S1A_T6_T7_T9_mT8_S1C_bDpT10_ENKUlT_T0_E_clISt17integral_constantIbLb0EES1O_IbLb1EEEEDaS1K_S1L_EUlS1K_E_NS1_11comp_targetILNS1_3genE9ELNS1_11target_archE1100ELNS1_3gpuE3ELNS1_3repE0EEENS1_30default_config_static_selectorELNS0_4arch9wavefront6targetE1EEEvSY_.private_seg_size, 0
	.set _ZN7rocprim17ROCPRIM_400000_NS6detail17trampoline_kernelINS0_13select_configILj256ELj13ELNS0_17block_load_methodE3ELS4_3ELS4_3ELNS0_20block_scan_algorithmE0ELj4294967295EEENS1_25partition_config_selectorILNS1_17partition_subalgoE3EjNS0_10empty_typeEbEEZZNS1_14partition_implILS8_3ELb0ES6_jNS0_17counting_iteratorIjlEEPS9_SE_NS0_5tupleIJPjSE_EEENSF_IJSE_SE_EEES9_SG_JZNS1_25segmented_radix_sort_implINS0_14default_configELb0EPKfPfPKlPlN2at6native12_GLOBAL__N_18offset_tEEE10hipError_tPvRmT1_PNSt15iterator_traitsISY_E10value_typeET2_T3_PNSZ_IS14_E10value_typeET4_jRbjT5_S1A_jjP12ihipStream_tbEUljE_EEESV_SW_SX_S14_S18_S1A_T6_T7_T9_mT8_S1C_bDpT10_ENKUlT_T0_E_clISt17integral_constantIbLb0EES1O_IbLb1EEEEDaS1K_S1L_EUlS1K_E_NS1_11comp_targetILNS1_3genE9ELNS1_11target_archE1100ELNS1_3gpuE3ELNS1_3repE0EEENS1_30default_config_static_selectorELNS0_4arch9wavefront6targetE1EEEvSY_.uses_vcc, 0
	.set _ZN7rocprim17ROCPRIM_400000_NS6detail17trampoline_kernelINS0_13select_configILj256ELj13ELNS0_17block_load_methodE3ELS4_3ELS4_3ELNS0_20block_scan_algorithmE0ELj4294967295EEENS1_25partition_config_selectorILNS1_17partition_subalgoE3EjNS0_10empty_typeEbEEZZNS1_14partition_implILS8_3ELb0ES6_jNS0_17counting_iteratorIjlEEPS9_SE_NS0_5tupleIJPjSE_EEENSF_IJSE_SE_EEES9_SG_JZNS1_25segmented_radix_sort_implINS0_14default_configELb0EPKfPfPKlPlN2at6native12_GLOBAL__N_18offset_tEEE10hipError_tPvRmT1_PNSt15iterator_traitsISY_E10value_typeET2_T3_PNSZ_IS14_E10value_typeET4_jRbjT5_S1A_jjP12ihipStream_tbEUljE_EEESV_SW_SX_S14_S18_S1A_T6_T7_T9_mT8_S1C_bDpT10_ENKUlT_T0_E_clISt17integral_constantIbLb0EES1O_IbLb1EEEEDaS1K_S1L_EUlS1K_E_NS1_11comp_targetILNS1_3genE9ELNS1_11target_archE1100ELNS1_3gpuE3ELNS1_3repE0EEENS1_30default_config_static_selectorELNS0_4arch9wavefront6targetE1EEEvSY_.uses_flat_scratch, 0
	.set _ZN7rocprim17ROCPRIM_400000_NS6detail17trampoline_kernelINS0_13select_configILj256ELj13ELNS0_17block_load_methodE3ELS4_3ELS4_3ELNS0_20block_scan_algorithmE0ELj4294967295EEENS1_25partition_config_selectorILNS1_17partition_subalgoE3EjNS0_10empty_typeEbEEZZNS1_14partition_implILS8_3ELb0ES6_jNS0_17counting_iteratorIjlEEPS9_SE_NS0_5tupleIJPjSE_EEENSF_IJSE_SE_EEES9_SG_JZNS1_25segmented_radix_sort_implINS0_14default_configELb0EPKfPfPKlPlN2at6native12_GLOBAL__N_18offset_tEEE10hipError_tPvRmT1_PNSt15iterator_traitsISY_E10value_typeET2_T3_PNSZ_IS14_E10value_typeET4_jRbjT5_S1A_jjP12ihipStream_tbEUljE_EEESV_SW_SX_S14_S18_S1A_T6_T7_T9_mT8_S1C_bDpT10_ENKUlT_T0_E_clISt17integral_constantIbLb0EES1O_IbLb1EEEEDaS1K_S1L_EUlS1K_E_NS1_11comp_targetILNS1_3genE9ELNS1_11target_archE1100ELNS1_3gpuE3ELNS1_3repE0EEENS1_30default_config_static_selectorELNS0_4arch9wavefront6targetE1EEEvSY_.has_dyn_sized_stack, 0
	.set _ZN7rocprim17ROCPRIM_400000_NS6detail17trampoline_kernelINS0_13select_configILj256ELj13ELNS0_17block_load_methodE3ELS4_3ELS4_3ELNS0_20block_scan_algorithmE0ELj4294967295EEENS1_25partition_config_selectorILNS1_17partition_subalgoE3EjNS0_10empty_typeEbEEZZNS1_14partition_implILS8_3ELb0ES6_jNS0_17counting_iteratorIjlEEPS9_SE_NS0_5tupleIJPjSE_EEENSF_IJSE_SE_EEES9_SG_JZNS1_25segmented_radix_sort_implINS0_14default_configELb0EPKfPfPKlPlN2at6native12_GLOBAL__N_18offset_tEEE10hipError_tPvRmT1_PNSt15iterator_traitsISY_E10value_typeET2_T3_PNSZ_IS14_E10value_typeET4_jRbjT5_S1A_jjP12ihipStream_tbEUljE_EEESV_SW_SX_S14_S18_S1A_T6_T7_T9_mT8_S1C_bDpT10_ENKUlT_T0_E_clISt17integral_constantIbLb0EES1O_IbLb1EEEEDaS1K_S1L_EUlS1K_E_NS1_11comp_targetILNS1_3genE9ELNS1_11target_archE1100ELNS1_3gpuE3ELNS1_3repE0EEENS1_30default_config_static_selectorELNS0_4arch9wavefront6targetE1EEEvSY_.has_recursion, 0
	.set _ZN7rocprim17ROCPRIM_400000_NS6detail17trampoline_kernelINS0_13select_configILj256ELj13ELNS0_17block_load_methodE3ELS4_3ELS4_3ELNS0_20block_scan_algorithmE0ELj4294967295EEENS1_25partition_config_selectorILNS1_17partition_subalgoE3EjNS0_10empty_typeEbEEZZNS1_14partition_implILS8_3ELb0ES6_jNS0_17counting_iteratorIjlEEPS9_SE_NS0_5tupleIJPjSE_EEENSF_IJSE_SE_EEES9_SG_JZNS1_25segmented_radix_sort_implINS0_14default_configELb0EPKfPfPKlPlN2at6native12_GLOBAL__N_18offset_tEEE10hipError_tPvRmT1_PNSt15iterator_traitsISY_E10value_typeET2_T3_PNSZ_IS14_E10value_typeET4_jRbjT5_S1A_jjP12ihipStream_tbEUljE_EEESV_SW_SX_S14_S18_S1A_T6_T7_T9_mT8_S1C_bDpT10_ENKUlT_T0_E_clISt17integral_constantIbLb0EES1O_IbLb1EEEEDaS1K_S1L_EUlS1K_E_NS1_11comp_targetILNS1_3genE9ELNS1_11target_archE1100ELNS1_3gpuE3ELNS1_3repE0EEENS1_30default_config_static_selectorELNS0_4arch9wavefront6targetE1EEEvSY_.has_indirect_call, 0
	.section	.AMDGPU.csdata,"",@progbits
; Kernel info:
; codeLenInByte = 0
; TotalNumSgprs: 4
; NumVgprs: 0
; ScratchSize: 0
; MemoryBound: 0
; FloatMode: 240
; IeeeMode: 1
; LDSByteSize: 0 bytes/workgroup (compile time only)
; SGPRBlocks: 0
; VGPRBlocks: 0
; NumSGPRsForWavesPerEU: 4
; NumVGPRsForWavesPerEU: 1
; Occupancy: 10
; WaveLimiterHint : 0
; COMPUTE_PGM_RSRC2:SCRATCH_EN: 0
; COMPUTE_PGM_RSRC2:USER_SGPR: 6
; COMPUTE_PGM_RSRC2:TRAP_HANDLER: 0
; COMPUTE_PGM_RSRC2:TGID_X_EN: 1
; COMPUTE_PGM_RSRC2:TGID_Y_EN: 0
; COMPUTE_PGM_RSRC2:TGID_Z_EN: 0
; COMPUTE_PGM_RSRC2:TIDIG_COMP_CNT: 0
	.section	.text._ZN7rocprim17ROCPRIM_400000_NS6detail17trampoline_kernelINS0_13select_configILj256ELj13ELNS0_17block_load_methodE3ELS4_3ELS4_3ELNS0_20block_scan_algorithmE0ELj4294967295EEENS1_25partition_config_selectorILNS1_17partition_subalgoE3EjNS0_10empty_typeEbEEZZNS1_14partition_implILS8_3ELb0ES6_jNS0_17counting_iteratorIjlEEPS9_SE_NS0_5tupleIJPjSE_EEENSF_IJSE_SE_EEES9_SG_JZNS1_25segmented_radix_sort_implINS0_14default_configELb0EPKfPfPKlPlN2at6native12_GLOBAL__N_18offset_tEEE10hipError_tPvRmT1_PNSt15iterator_traitsISY_E10value_typeET2_T3_PNSZ_IS14_E10value_typeET4_jRbjT5_S1A_jjP12ihipStream_tbEUljE_EEESV_SW_SX_S14_S18_S1A_T6_T7_T9_mT8_S1C_bDpT10_ENKUlT_T0_E_clISt17integral_constantIbLb0EES1O_IbLb1EEEEDaS1K_S1L_EUlS1K_E_NS1_11comp_targetILNS1_3genE8ELNS1_11target_archE1030ELNS1_3gpuE2ELNS1_3repE0EEENS1_30default_config_static_selectorELNS0_4arch9wavefront6targetE1EEEvSY_,"axG",@progbits,_ZN7rocprim17ROCPRIM_400000_NS6detail17trampoline_kernelINS0_13select_configILj256ELj13ELNS0_17block_load_methodE3ELS4_3ELS4_3ELNS0_20block_scan_algorithmE0ELj4294967295EEENS1_25partition_config_selectorILNS1_17partition_subalgoE3EjNS0_10empty_typeEbEEZZNS1_14partition_implILS8_3ELb0ES6_jNS0_17counting_iteratorIjlEEPS9_SE_NS0_5tupleIJPjSE_EEENSF_IJSE_SE_EEES9_SG_JZNS1_25segmented_radix_sort_implINS0_14default_configELb0EPKfPfPKlPlN2at6native12_GLOBAL__N_18offset_tEEE10hipError_tPvRmT1_PNSt15iterator_traitsISY_E10value_typeET2_T3_PNSZ_IS14_E10value_typeET4_jRbjT5_S1A_jjP12ihipStream_tbEUljE_EEESV_SW_SX_S14_S18_S1A_T6_T7_T9_mT8_S1C_bDpT10_ENKUlT_T0_E_clISt17integral_constantIbLb0EES1O_IbLb1EEEEDaS1K_S1L_EUlS1K_E_NS1_11comp_targetILNS1_3genE8ELNS1_11target_archE1030ELNS1_3gpuE2ELNS1_3repE0EEENS1_30default_config_static_selectorELNS0_4arch9wavefront6targetE1EEEvSY_,comdat
	.globl	_ZN7rocprim17ROCPRIM_400000_NS6detail17trampoline_kernelINS0_13select_configILj256ELj13ELNS0_17block_load_methodE3ELS4_3ELS4_3ELNS0_20block_scan_algorithmE0ELj4294967295EEENS1_25partition_config_selectorILNS1_17partition_subalgoE3EjNS0_10empty_typeEbEEZZNS1_14partition_implILS8_3ELb0ES6_jNS0_17counting_iteratorIjlEEPS9_SE_NS0_5tupleIJPjSE_EEENSF_IJSE_SE_EEES9_SG_JZNS1_25segmented_radix_sort_implINS0_14default_configELb0EPKfPfPKlPlN2at6native12_GLOBAL__N_18offset_tEEE10hipError_tPvRmT1_PNSt15iterator_traitsISY_E10value_typeET2_T3_PNSZ_IS14_E10value_typeET4_jRbjT5_S1A_jjP12ihipStream_tbEUljE_EEESV_SW_SX_S14_S18_S1A_T6_T7_T9_mT8_S1C_bDpT10_ENKUlT_T0_E_clISt17integral_constantIbLb0EES1O_IbLb1EEEEDaS1K_S1L_EUlS1K_E_NS1_11comp_targetILNS1_3genE8ELNS1_11target_archE1030ELNS1_3gpuE2ELNS1_3repE0EEENS1_30default_config_static_selectorELNS0_4arch9wavefront6targetE1EEEvSY_ ; -- Begin function _ZN7rocprim17ROCPRIM_400000_NS6detail17trampoline_kernelINS0_13select_configILj256ELj13ELNS0_17block_load_methodE3ELS4_3ELS4_3ELNS0_20block_scan_algorithmE0ELj4294967295EEENS1_25partition_config_selectorILNS1_17partition_subalgoE3EjNS0_10empty_typeEbEEZZNS1_14partition_implILS8_3ELb0ES6_jNS0_17counting_iteratorIjlEEPS9_SE_NS0_5tupleIJPjSE_EEENSF_IJSE_SE_EEES9_SG_JZNS1_25segmented_radix_sort_implINS0_14default_configELb0EPKfPfPKlPlN2at6native12_GLOBAL__N_18offset_tEEE10hipError_tPvRmT1_PNSt15iterator_traitsISY_E10value_typeET2_T3_PNSZ_IS14_E10value_typeET4_jRbjT5_S1A_jjP12ihipStream_tbEUljE_EEESV_SW_SX_S14_S18_S1A_T6_T7_T9_mT8_S1C_bDpT10_ENKUlT_T0_E_clISt17integral_constantIbLb0EES1O_IbLb1EEEEDaS1K_S1L_EUlS1K_E_NS1_11comp_targetILNS1_3genE8ELNS1_11target_archE1030ELNS1_3gpuE2ELNS1_3repE0EEENS1_30default_config_static_selectorELNS0_4arch9wavefront6targetE1EEEvSY_
	.p2align	8
	.type	_ZN7rocprim17ROCPRIM_400000_NS6detail17trampoline_kernelINS0_13select_configILj256ELj13ELNS0_17block_load_methodE3ELS4_3ELS4_3ELNS0_20block_scan_algorithmE0ELj4294967295EEENS1_25partition_config_selectorILNS1_17partition_subalgoE3EjNS0_10empty_typeEbEEZZNS1_14partition_implILS8_3ELb0ES6_jNS0_17counting_iteratorIjlEEPS9_SE_NS0_5tupleIJPjSE_EEENSF_IJSE_SE_EEES9_SG_JZNS1_25segmented_radix_sort_implINS0_14default_configELb0EPKfPfPKlPlN2at6native12_GLOBAL__N_18offset_tEEE10hipError_tPvRmT1_PNSt15iterator_traitsISY_E10value_typeET2_T3_PNSZ_IS14_E10value_typeET4_jRbjT5_S1A_jjP12ihipStream_tbEUljE_EEESV_SW_SX_S14_S18_S1A_T6_T7_T9_mT8_S1C_bDpT10_ENKUlT_T0_E_clISt17integral_constantIbLb0EES1O_IbLb1EEEEDaS1K_S1L_EUlS1K_E_NS1_11comp_targetILNS1_3genE8ELNS1_11target_archE1030ELNS1_3gpuE2ELNS1_3repE0EEENS1_30default_config_static_selectorELNS0_4arch9wavefront6targetE1EEEvSY_,@function
_ZN7rocprim17ROCPRIM_400000_NS6detail17trampoline_kernelINS0_13select_configILj256ELj13ELNS0_17block_load_methodE3ELS4_3ELS4_3ELNS0_20block_scan_algorithmE0ELj4294967295EEENS1_25partition_config_selectorILNS1_17partition_subalgoE3EjNS0_10empty_typeEbEEZZNS1_14partition_implILS8_3ELb0ES6_jNS0_17counting_iteratorIjlEEPS9_SE_NS0_5tupleIJPjSE_EEENSF_IJSE_SE_EEES9_SG_JZNS1_25segmented_radix_sort_implINS0_14default_configELb0EPKfPfPKlPlN2at6native12_GLOBAL__N_18offset_tEEE10hipError_tPvRmT1_PNSt15iterator_traitsISY_E10value_typeET2_T3_PNSZ_IS14_E10value_typeET4_jRbjT5_S1A_jjP12ihipStream_tbEUljE_EEESV_SW_SX_S14_S18_S1A_T6_T7_T9_mT8_S1C_bDpT10_ENKUlT_T0_E_clISt17integral_constantIbLb0EES1O_IbLb1EEEEDaS1K_S1L_EUlS1K_E_NS1_11comp_targetILNS1_3genE8ELNS1_11target_archE1030ELNS1_3gpuE2ELNS1_3repE0EEENS1_30default_config_static_selectorELNS0_4arch9wavefront6targetE1EEEvSY_: ; @_ZN7rocprim17ROCPRIM_400000_NS6detail17trampoline_kernelINS0_13select_configILj256ELj13ELNS0_17block_load_methodE3ELS4_3ELS4_3ELNS0_20block_scan_algorithmE0ELj4294967295EEENS1_25partition_config_selectorILNS1_17partition_subalgoE3EjNS0_10empty_typeEbEEZZNS1_14partition_implILS8_3ELb0ES6_jNS0_17counting_iteratorIjlEEPS9_SE_NS0_5tupleIJPjSE_EEENSF_IJSE_SE_EEES9_SG_JZNS1_25segmented_radix_sort_implINS0_14default_configELb0EPKfPfPKlPlN2at6native12_GLOBAL__N_18offset_tEEE10hipError_tPvRmT1_PNSt15iterator_traitsISY_E10value_typeET2_T3_PNSZ_IS14_E10value_typeET4_jRbjT5_S1A_jjP12ihipStream_tbEUljE_EEESV_SW_SX_S14_S18_S1A_T6_T7_T9_mT8_S1C_bDpT10_ENKUlT_T0_E_clISt17integral_constantIbLb0EES1O_IbLb1EEEEDaS1K_S1L_EUlS1K_E_NS1_11comp_targetILNS1_3genE8ELNS1_11target_archE1030ELNS1_3gpuE2ELNS1_3repE0EEENS1_30default_config_static_selectorELNS0_4arch9wavefront6targetE1EEEvSY_
; %bb.0:
	.section	.rodata,"a",@progbits
	.p2align	6, 0x0
	.amdhsa_kernel _ZN7rocprim17ROCPRIM_400000_NS6detail17trampoline_kernelINS0_13select_configILj256ELj13ELNS0_17block_load_methodE3ELS4_3ELS4_3ELNS0_20block_scan_algorithmE0ELj4294967295EEENS1_25partition_config_selectorILNS1_17partition_subalgoE3EjNS0_10empty_typeEbEEZZNS1_14partition_implILS8_3ELb0ES6_jNS0_17counting_iteratorIjlEEPS9_SE_NS0_5tupleIJPjSE_EEENSF_IJSE_SE_EEES9_SG_JZNS1_25segmented_radix_sort_implINS0_14default_configELb0EPKfPfPKlPlN2at6native12_GLOBAL__N_18offset_tEEE10hipError_tPvRmT1_PNSt15iterator_traitsISY_E10value_typeET2_T3_PNSZ_IS14_E10value_typeET4_jRbjT5_S1A_jjP12ihipStream_tbEUljE_EEESV_SW_SX_S14_S18_S1A_T6_T7_T9_mT8_S1C_bDpT10_ENKUlT_T0_E_clISt17integral_constantIbLb0EES1O_IbLb1EEEEDaS1K_S1L_EUlS1K_E_NS1_11comp_targetILNS1_3genE8ELNS1_11target_archE1030ELNS1_3gpuE2ELNS1_3repE0EEENS1_30default_config_static_selectorELNS0_4arch9wavefront6targetE1EEEvSY_
		.amdhsa_group_segment_fixed_size 0
		.amdhsa_private_segment_fixed_size 0
		.amdhsa_kernarg_size 152
		.amdhsa_user_sgpr_count 6
		.amdhsa_user_sgpr_private_segment_buffer 1
		.amdhsa_user_sgpr_dispatch_ptr 0
		.amdhsa_user_sgpr_queue_ptr 0
		.amdhsa_user_sgpr_kernarg_segment_ptr 1
		.amdhsa_user_sgpr_dispatch_id 0
		.amdhsa_user_sgpr_flat_scratch_init 0
		.amdhsa_user_sgpr_private_segment_size 0
		.amdhsa_uses_dynamic_stack 0
		.amdhsa_system_sgpr_private_segment_wavefront_offset 0
		.amdhsa_system_sgpr_workgroup_id_x 1
		.amdhsa_system_sgpr_workgroup_id_y 0
		.amdhsa_system_sgpr_workgroup_id_z 0
		.amdhsa_system_sgpr_workgroup_info 0
		.amdhsa_system_vgpr_workitem_id 0
		.amdhsa_next_free_vgpr 1
		.amdhsa_next_free_sgpr 0
		.amdhsa_reserve_vcc 0
		.amdhsa_reserve_flat_scratch 0
		.amdhsa_float_round_mode_32 0
		.amdhsa_float_round_mode_16_64 0
		.amdhsa_float_denorm_mode_32 3
		.amdhsa_float_denorm_mode_16_64 3
		.amdhsa_dx10_clamp 1
		.amdhsa_ieee_mode 1
		.amdhsa_fp16_overflow 0
		.amdhsa_exception_fp_ieee_invalid_op 0
		.amdhsa_exception_fp_denorm_src 0
		.amdhsa_exception_fp_ieee_div_zero 0
		.amdhsa_exception_fp_ieee_overflow 0
		.amdhsa_exception_fp_ieee_underflow 0
		.amdhsa_exception_fp_ieee_inexact 0
		.amdhsa_exception_int_div_zero 0
	.end_amdhsa_kernel
	.section	.text._ZN7rocprim17ROCPRIM_400000_NS6detail17trampoline_kernelINS0_13select_configILj256ELj13ELNS0_17block_load_methodE3ELS4_3ELS4_3ELNS0_20block_scan_algorithmE0ELj4294967295EEENS1_25partition_config_selectorILNS1_17partition_subalgoE3EjNS0_10empty_typeEbEEZZNS1_14partition_implILS8_3ELb0ES6_jNS0_17counting_iteratorIjlEEPS9_SE_NS0_5tupleIJPjSE_EEENSF_IJSE_SE_EEES9_SG_JZNS1_25segmented_radix_sort_implINS0_14default_configELb0EPKfPfPKlPlN2at6native12_GLOBAL__N_18offset_tEEE10hipError_tPvRmT1_PNSt15iterator_traitsISY_E10value_typeET2_T3_PNSZ_IS14_E10value_typeET4_jRbjT5_S1A_jjP12ihipStream_tbEUljE_EEESV_SW_SX_S14_S18_S1A_T6_T7_T9_mT8_S1C_bDpT10_ENKUlT_T0_E_clISt17integral_constantIbLb0EES1O_IbLb1EEEEDaS1K_S1L_EUlS1K_E_NS1_11comp_targetILNS1_3genE8ELNS1_11target_archE1030ELNS1_3gpuE2ELNS1_3repE0EEENS1_30default_config_static_selectorELNS0_4arch9wavefront6targetE1EEEvSY_,"axG",@progbits,_ZN7rocprim17ROCPRIM_400000_NS6detail17trampoline_kernelINS0_13select_configILj256ELj13ELNS0_17block_load_methodE3ELS4_3ELS4_3ELNS0_20block_scan_algorithmE0ELj4294967295EEENS1_25partition_config_selectorILNS1_17partition_subalgoE3EjNS0_10empty_typeEbEEZZNS1_14partition_implILS8_3ELb0ES6_jNS0_17counting_iteratorIjlEEPS9_SE_NS0_5tupleIJPjSE_EEENSF_IJSE_SE_EEES9_SG_JZNS1_25segmented_radix_sort_implINS0_14default_configELb0EPKfPfPKlPlN2at6native12_GLOBAL__N_18offset_tEEE10hipError_tPvRmT1_PNSt15iterator_traitsISY_E10value_typeET2_T3_PNSZ_IS14_E10value_typeET4_jRbjT5_S1A_jjP12ihipStream_tbEUljE_EEESV_SW_SX_S14_S18_S1A_T6_T7_T9_mT8_S1C_bDpT10_ENKUlT_T0_E_clISt17integral_constantIbLb0EES1O_IbLb1EEEEDaS1K_S1L_EUlS1K_E_NS1_11comp_targetILNS1_3genE8ELNS1_11target_archE1030ELNS1_3gpuE2ELNS1_3repE0EEENS1_30default_config_static_selectorELNS0_4arch9wavefront6targetE1EEEvSY_,comdat
.Lfunc_end1427:
	.size	_ZN7rocprim17ROCPRIM_400000_NS6detail17trampoline_kernelINS0_13select_configILj256ELj13ELNS0_17block_load_methodE3ELS4_3ELS4_3ELNS0_20block_scan_algorithmE0ELj4294967295EEENS1_25partition_config_selectorILNS1_17partition_subalgoE3EjNS0_10empty_typeEbEEZZNS1_14partition_implILS8_3ELb0ES6_jNS0_17counting_iteratorIjlEEPS9_SE_NS0_5tupleIJPjSE_EEENSF_IJSE_SE_EEES9_SG_JZNS1_25segmented_radix_sort_implINS0_14default_configELb0EPKfPfPKlPlN2at6native12_GLOBAL__N_18offset_tEEE10hipError_tPvRmT1_PNSt15iterator_traitsISY_E10value_typeET2_T3_PNSZ_IS14_E10value_typeET4_jRbjT5_S1A_jjP12ihipStream_tbEUljE_EEESV_SW_SX_S14_S18_S1A_T6_T7_T9_mT8_S1C_bDpT10_ENKUlT_T0_E_clISt17integral_constantIbLb0EES1O_IbLb1EEEEDaS1K_S1L_EUlS1K_E_NS1_11comp_targetILNS1_3genE8ELNS1_11target_archE1030ELNS1_3gpuE2ELNS1_3repE0EEENS1_30default_config_static_selectorELNS0_4arch9wavefront6targetE1EEEvSY_, .Lfunc_end1427-_ZN7rocprim17ROCPRIM_400000_NS6detail17trampoline_kernelINS0_13select_configILj256ELj13ELNS0_17block_load_methodE3ELS4_3ELS4_3ELNS0_20block_scan_algorithmE0ELj4294967295EEENS1_25partition_config_selectorILNS1_17partition_subalgoE3EjNS0_10empty_typeEbEEZZNS1_14partition_implILS8_3ELb0ES6_jNS0_17counting_iteratorIjlEEPS9_SE_NS0_5tupleIJPjSE_EEENSF_IJSE_SE_EEES9_SG_JZNS1_25segmented_radix_sort_implINS0_14default_configELb0EPKfPfPKlPlN2at6native12_GLOBAL__N_18offset_tEEE10hipError_tPvRmT1_PNSt15iterator_traitsISY_E10value_typeET2_T3_PNSZ_IS14_E10value_typeET4_jRbjT5_S1A_jjP12ihipStream_tbEUljE_EEESV_SW_SX_S14_S18_S1A_T6_T7_T9_mT8_S1C_bDpT10_ENKUlT_T0_E_clISt17integral_constantIbLb0EES1O_IbLb1EEEEDaS1K_S1L_EUlS1K_E_NS1_11comp_targetILNS1_3genE8ELNS1_11target_archE1030ELNS1_3gpuE2ELNS1_3repE0EEENS1_30default_config_static_selectorELNS0_4arch9wavefront6targetE1EEEvSY_
                                        ; -- End function
	.set _ZN7rocprim17ROCPRIM_400000_NS6detail17trampoline_kernelINS0_13select_configILj256ELj13ELNS0_17block_load_methodE3ELS4_3ELS4_3ELNS0_20block_scan_algorithmE0ELj4294967295EEENS1_25partition_config_selectorILNS1_17partition_subalgoE3EjNS0_10empty_typeEbEEZZNS1_14partition_implILS8_3ELb0ES6_jNS0_17counting_iteratorIjlEEPS9_SE_NS0_5tupleIJPjSE_EEENSF_IJSE_SE_EEES9_SG_JZNS1_25segmented_radix_sort_implINS0_14default_configELb0EPKfPfPKlPlN2at6native12_GLOBAL__N_18offset_tEEE10hipError_tPvRmT1_PNSt15iterator_traitsISY_E10value_typeET2_T3_PNSZ_IS14_E10value_typeET4_jRbjT5_S1A_jjP12ihipStream_tbEUljE_EEESV_SW_SX_S14_S18_S1A_T6_T7_T9_mT8_S1C_bDpT10_ENKUlT_T0_E_clISt17integral_constantIbLb0EES1O_IbLb1EEEEDaS1K_S1L_EUlS1K_E_NS1_11comp_targetILNS1_3genE8ELNS1_11target_archE1030ELNS1_3gpuE2ELNS1_3repE0EEENS1_30default_config_static_selectorELNS0_4arch9wavefront6targetE1EEEvSY_.num_vgpr, 0
	.set _ZN7rocprim17ROCPRIM_400000_NS6detail17trampoline_kernelINS0_13select_configILj256ELj13ELNS0_17block_load_methodE3ELS4_3ELS4_3ELNS0_20block_scan_algorithmE0ELj4294967295EEENS1_25partition_config_selectorILNS1_17partition_subalgoE3EjNS0_10empty_typeEbEEZZNS1_14partition_implILS8_3ELb0ES6_jNS0_17counting_iteratorIjlEEPS9_SE_NS0_5tupleIJPjSE_EEENSF_IJSE_SE_EEES9_SG_JZNS1_25segmented_radix_sort_implINS0_14default_configELb0EPKfPfPKlPlN2at6native12_GLOBAL__N_18offset_tEEE10hipError_tPvRmT1_PNSt15iterator_traitsISY_E10value_typeET2_T3_PNSZ_IS14_E10value_typeET4_jRbjT5_S1A_jjP12ihipStream_tbEUljE_EEESV_SW_SX_S14_S18_S1A_T6_T7_T9_mT8_S1C_bDpT10_ENKUlT_T0_E_clISt17integral_constantIbLb0EES1O_IbLb1EEEEDaS1K_S1L_EUlS1K_E_NS1_11comp_targetILNS1_3genE8ELNS1_11target_archE1030ELNS1_3gpuE2ELNS1_3repE0EEENS1_30default_config_static_selectorELNS0_4arch9wavefront6targetE1EEEvSY_.num_agpr, 0
	.set _ZN7rocprim17ROCPRIM_400000_NS6detail17trampoline_kernelINS0_13select_configILj256ELj13ELNS0_17block_load_methodE3ELS4_3ELS4_3ELNS0_20block_scan_algorithmE0ELj4294967295EEENS1_25partition_config_selectorILNS1_17partition_subalgoE3EjNS0_10empty_typeEbEEZZNS1_14partition_implILS8_3ELb0ES6_jNS0_17counting_iteratorIjlEEPS9_SE_NS0_5tupleIJPjSE_EEENSF_IJSE_SE_EEES9_SG_JZNS1_25segmented_radix_sort_implINS0_14default_configELb0EPKfPfPKlPlN2at6native12_GLOBAL__N_18offset_tEEE10hipError_tPvRmT1_PNSt15iterator_traitsISY_E10value_typeET2_T3_PNSZ_IS14_E10value_typeET4_jRbjT5_S1A_jjP12ihipStream_tbEUljE_EEESV_SW_SX_S14_S18_S1A_T6_T7_T9_mT8_S1C_bDpT10_ENKUlT_T0_E_clISt17integral_constantIbLb0EES1O_IbLb1EEEEDaS1K_S1L_EUlS1K_E_NS1_11comp_targetILNS1_3genE8ELNS1_11target_archE1030ELNS1_3gpuE2ELNS1_3repE0EEENS1_30default_config_static_selectorELNS0_4arch9wavefront6targetE1EEEvSY_.numbered_sgpr, 0
	.set _ZN7rocprim17ROCPRIM_400000_NS6detail17trampoline_kernelINS0_13select_configILj256ELj13ELNS0_17block_load_methodE3ELS4_3ELS4_3ELNS0_20block_scan_algorithmE0ELj4294967295EEENS1_25partition_config_selectorILNS1_17partition_subalgoE3EjNS0_10empty_typeEbEEZZNS1_14partition_implILS8_3ELb0ES6_jNS0_17counting_iteratorIjlEEPS9_SE_NS0_5tupleIJPjSE_EEENSF_IJSE_SE_EEES9_SG_JZNS1_25segmented_radix_sort_implINS0_14default_configELb0EPKfPfPKlPlN2at6native12_GLOBAL__N_18offset_tEEE10hipError_tPvRmT1_PNSt15iterator_traitsISY_E10value_typeET2_T3_PNSZ_IS14_E10value_typeET4_jRbjT5_S1A_jjP12ihipStream_tbEUljE_EEESV_SW_SX_S14_S18_S1A_T6_T7_T9_mT8_S1C_bDpT10_ENKUlT_T0_E_clISt17integral_constantIbLb0EES1O_IbLb1EEEEDaS1K_S1L_EUlS1K_E_NS1_11comp_targetILNS1_3genE8ELNS1_11target_archE1030ELNS1_3gpuE2ELNS1_3repE0EEENS1_30default_config_static_selectorELNS0_4arch9wavefront6targetE1EEEvSY_.num_named_barrier, 0
	.set _ZN7rocprim17ROCPRIM_400000_NS6detail17trampoline_kernelINS0_13select_configILj256ELj13ELNS0_17block_load_methodE3ELS4_3ELS4_3ELNS0_20block_scan_algorithmE0ELj4294967295EEENS1_25partition_config_selectorILNS1_17partition_subalgoE3EjNS0_10empty_typeEbEEZZNS1_14partition_implILS8_3ELb0ES6_jNS0_17counting_iteratorIjlEEPS9_SE_NS0_5tupleIJPjSE_EEENSF_IJSE_SE_EEES9_SG_JZNS1_25segmented_radix_sort_implINS0_14default_configELb0EPKfPfPKlPlN2at6native12_GLOBAL__N_18offset_tEEE10hipError_tPvRmT1_PNSt15iterator_traitsISY_E10value_typeET2_T3_PNSZ_IS14_E10value_typeET4_jRbjT5_S1A_jjP12ihipStream_tbEUljE_EEESV_SW_SX_S14_S18_S1A_T6_T7_T9_mT8_S1C_bDpT10_ENKUlT_T0_E_clISt17integral_constantIbLb0EES1O_IbLb1EEEEDaS1K_S1L_EUlS1K_E_NS1_11comp_targetILNS1_3genE8ELNS1_11target_archE1030ELNS1_3gpuE2ELNS1_3repE0EEENS1_30default_config_static_selectorELNS0_4arch9wavefront6targetE1EEEvSY_.private_seg_size, 0
	.set _ZN7rocprim17ROCPRIM_400000_NS6detail17trampoline_kernelINS0_13select_configILj256ELj13ELNS0_17block_load_methodE3ELS4_3ELS4_3ELNS0_20block_scan_algorithmE0ELj4294967295EEENS1_25partition_config_selectorILNS1_17partition_subalgoE3EjNS0_10empty_typeEbEEZZNS1_14partition_implILS8_3ELb0ES6_jNS0_17counting_iteratorIjlEEPS9_SE_NS0_5tupleIJPjSE_EEENSF_IJSE_SE_EEES9_SG_JZNS1_25segmented_radix_sort_implINS0_14default_configELb0EPKfPfPKlPlN2at6native12_GLOBAL__N_18offset_tEEE10hipError_tPvRmT1_PNSt15iterator_traitsISY_E10value_typeET2_T3_PNSZ_IS14_E10value_typeET4_jRbjT5_S1A_jjP12ihipStream_tbEUljE_EEESV_SW_SX_S14_S18_S1A_T6_T7_T9_mT8_S1C_bDpT10_ENKUlT_T0_E_clISt17integral_constantIbLb0EES1O_IbLb1EEEEDaS1K_S1L_EUlS1K_E_NS1_11comp_targetILNS1_3genE8ELNS1_11target_archE1030ELNS1_3gpuE2ELNS1_3repE0EEENS1_30default_config_static_selectorELNS0_4arch9wavefront6targetE1EEEvSY_.uses_vcc, 0
	.set _ZN7rocprim17ROCPRIM_400000_NS6detail17trampoline_kernelINS0_13select_configILj256ELj13ELNS0_17block_load_methodE3ELS4_3ELS4_3ELNS0_20block_scan_algorithmE0ELj4294967295EEENS1_25partition_config_selectorILNS1_17partition_subalgoE3EjNS0_10empty_typeEbEEZZNS1_14partition_implILS8_3ELb0ES6_jNS0_17counting_iteratorIjlEEPS9_SE_NS0_5tupleIJPjSE_EEENSF_IJSE_SE_EEES9_SG_JZNS1_25segmented_radix_sort_implINS0_14default_configELb0EPKfPfPKlPlN2at6native12_GLOBAL__N_18offset_tEEE10hipError_tPvRmT1_PNSt15iterator_traitsISY_E10value_typeET2_T3_PNSZ_IS14_E10value_typeET4_jRbjT5_S1A_jjP12ihipStream_tbEUljE_EEESV_SW_SX_S14_S18_S1A_T6_T7_T9_mT8_S1C_bDpT10_ENKUlT_T0_E_clISt17integral_constantIbLb0EES1O_IbLb1EEEEDaS1K_S1L_EUlS1K_E_NS1_11comp_targetILNS1_3genE8ELNS1_11target_archE1030ELNS1_3gpuE2ELNS1_3repE0EEENS1_30default_config_static_selectorELNS0_4arch9wavefront6targetE1EEEvSY_.uses_flat_scratch, 0
	.set _ZN7rocprim17ROCPRIM_400000_NS6detail17trampoline_kernelINS0_13select_configILj256ELj13ELNS0_17block_load_methodE3ELS4_3ELS4_3ELNS0_20block_scan_algorithmE0ELj4294967295EEENS1_25partition_config_selectorILNS1_17partition_subalgoE3EjNS0_10empty_typeEbEEZZNS1_14partition_implILS8_3ELb0ES6_jNS0_17counting_iteratorIjlEEPS9_SE_NS0_5tupleIJPjSE_EEENSF_IJSE_SE_EEES9_SG_JZNS1_25segmented_radix_sort_implINS0_14default_configELb0EPKfPfPKlPlN2at6native12_GLOBAL__N_18offset_tEEE10hipError_tPvRmT1_PNSt15iterator_traitsISY_E10value_typeET2_T3_PNSZ_IS14_E10value_typeET4_jRbjT5_S1A_jjP12ihipStream_tbEUljE_EEESV_SW_SX_S14_S18_S1A_T6_T7_T9_mT8_S1C_bDpT10_ENKUlT_T0_E_clISt17integral_constantIbLb0EES1O_IbLb1EEEEDaS1K_S1L_EUlS1K_E_NS1_11comp_targetILNS1_3genE8ELNS1_11target_archE1030ELNS1_3gpuE2ELNS1_3repE0EEENS1_30default_config_static_selectorELNS0_4arch9wavefront6targetE1EEEvSY_.has_dyn_sized_stack, 0
	.set _ZN7rocprim17ROCPRIM_400000_NS6detail17trampoline_kernelINS0_13select_configILj256ELj13ELNS0_17block_load_methodE3ELS4_3ELS4_3ELNS0_20block_scan_algorithmE0ELj4294967295EEENS1_25partition_config_selectorILNS1_17partition_subalgoE3EjNS0_10empty_typeEbEEZZNS1_14partition_implILS8_3ELb0ES6_jNS0_17counting_iteratorIjlEEPS9_SE_NS0_5tupleIJPjSE_EEENSF_IJSE_SE_EEES9_SG_JZNS1_25segmented_radix_sort_implINS0_14default_configELb0EPKfPfPKlPlN2at6native12_GLOBAL__N_18offset_tEEE10hipError_tPvRmT1_PNSt15iterator_traitsISY_E10value_typeET2_T3_PNSZ_IS14_E10value_typeET4_jRbjT5_S1A_jjP12ihipStream_tbEUljE_EEESV_SW_SX_S14_S18_S1A_T6_T7_T9_mT8_S1C_bDpT10_ENKUlT_T0_E_clISt17integral_constantIbLb0EES1O_IbLb1EEEEDaS1K_S1L_EUlS1K_E_NS1_11comp_targetILNS1_3genE8ELNS1_11target_archE1030ELNS1_3gpuE2ELNS1_3repE0EEENS1_30default_config_static_selectorELNS0_4arch9wavefront6targetE1EEEvSY_.has_recursion, 0
	.set _ZN7rocprim17ROCPRIM_400000_NS6detail17trampoline_kernelINS0_13select_configILj256ELj13ELNS0_17block_load_methodE3ELS4_3ELS4_3ELNS0_20block_scan_algorithmE0ELj4294967295EEENS1_25partition_config_selectorILNS1_17partition_subalgoE3EjNS0_10empty_typeEbEEZZNS1_14partition_implILS8_3ELb0ES6_jNS0_17counting_iteratorIjlEEPS9_SE_NS0_5tupleIJPjSE_EEENSF_IJSE_SE_EEES9_SG_JZNS1_25segmented_radix_sort_implINS0_14default_configELb0EPKfPfPKlPlN2at6native12_GLOBAL__N_18offset_tEEE10hipError_tPvRmT1_PNSt15iterator_traitsISY_E10value_typeET2_T3_PNSZ_IS14_E10value_typeET4_jRbjT5_S1A_jjP12ihipStream_tbEUljE_EEESV_SW_SX_S14_S18_S1A_T6_T7_T9_mT8_S1C_bDpT10_ENKUlT_T0_E_clISt17integral_constantIbLb0EES1O_IbLb1EEEEDaS1K_S1L_EUlS1K_E_NS1_11comp_targetILNS1_3genE8ELNS1_11target_archE1030ELNS1_3gpuE2ELNS1_3repE0EEENS1_30default_config_static_selectorELNS0_4arch9wavefront6targetE1EEEvSY_.has_indirect_call, 0
	.section	.AMDGPU.csdata,"",@progbits
; Kernel info:
; codeLenInByte = 0
; TotalNumSgprs: 4
; NumVgprs: 0
; ScratchSize: 0
; MemoryBound: 0
; FloatMode: 240
; IeeeMode: 1
; LDSByteSize: 0 bytes/workgroup (compile time only)
; SGPRBlocks: 0
; VGPRBlocks: 0
; NumSGPRsForWavesPerEU: 4
; NumVGPRsForWavesPerEU: 1
; Occupancy: 10
; WaveLimiterHint : 0
; COMPUTE_PGM_RSRC2:SCRATCH_EN: 0
; COMPUTE_PGM_RSRC2:USER_SGPR: 6
; COMPUTE_PGM_RSRC2:TRAP_HANDLER: 0
; COMPUTE_PGM_RSRC2:TGID_X_EN: 1
; COMPUTE_PGM_RSRC2:TGID_Y_EN: 0
; COMPUTE_PGM_RSRC2:TGID_Z_EN: 0
; COMPUTE_PGM_RSRC2:TIDIG_COMP_CNT: 0
	.section	.text._ZN7rocprim17ROCPRIM_400000_NS6detail17trampoline_kernelINS0_14default_configENS1_36segmented_radix_sort_config_selectorIflEEZNS1_25segmented_radix_sort_implIS3_Lb0EPKfPfPKlPlN2at6native12_GLOBAL__N_18offset_tEEE10hipError_tPvRmT1_PNSt15iterator_traitsISK_E10value_typeET2_T3_PNSL_ISQ_E10value_typeET4_jRbjT5_SW_jjP12ihipStream_tbEUlT_E_NS1_11comp_targetILNS1_3genE0ELNS1_11target_archE4294967295ELNS1_3gpuE0ELNS1_3repE0EEENS1_30default_config_static_selectorELNS0_4arch9wavefront6targetE1EEEvSK_,"axG",@progbits,_ZN7rocprim17ROCPRIM_400000_NS6detail17trampoline_kernelINS0_14default_configENS1_36segmented_radix_sort_config_selectorIflEEZNS1_25segmented_radix_sort_implIS3_Lb0EPKfPfPKlPlN2at6native12_GLOBAL__N_18offset_tEEE10hipError_tPvRmT1_PNSt15iterator_traitsISK_E10value_typeET2_T3_PNSL_ISQ_E10value_typeET4_jRbjT5_SW_jjP12ihipStream_tbEUlT_E_NS1_11comp_targetILNS1_3genE0ELNS1_11target_archE4294967295ELNS1_3gpuE0ELNS1_3repE0EEENS1_30default_config_static_selectorELNS0_4arch9wavefront6targetE1EEEvSK_,comdat
	.globl	_ZN7rocprim17ROCPRIM_400000_NS6detail17trampoline_kernelINS0_14default_configENS1_36segmented_radix_sort_config_selectorIflEEZNS1_25segmented_radix_sort_implIS3_Lb0EPKfPfPKlPlN2at6native12_GLOBAL__N_18offset_tEEE10hipError_tPvRmT1_PNSt15iterator_traitsISK_E10value_typeET2_T3_PNSL_ISQ_E10value_typeET4_jRbjT5_SW_jjP12ihipStream_tbEUlT_E_NS1_11comp_targetILNS1_3genE0ELNS1_11target_archE4294967295ELNS1_3gpuE0ELNS1_3repE0EEENS1_30default_config_static_selectorELNS0_4arch9wavefront6targetE1EEEvSK_ ; -- Begin function _ZN7rocprim17ROCPRIM_400000_NS6detail17trampoline_kernelINS0_14default_configENS1_36segmented_radix_sort_config_selectorIflEEZNS1_25segmented_radix_sort_implIS3_Lb0EPKfPfPKlPlN2at6native12_GLOBAL__N_18offset_tEEE10hipError_tPvRmT1_PNSt15iterator_traitsISK_E10value_typeET2_T3_PNSL_ISQ_E10value_typeET4_jRbjT5_SW_jjP12ihipStream_tbEUlT_E_NS1_11comp_targetILNS1_3genE0ELNS1_11target_archE4294967295ELNS1_3gpuE0ELNS1_3repE0EEENS1_30default_config_static_selectorELNS0_4arch9wavefront6targetE1EEEvSK_
	.p2align	8
	.type	_ZN7rocprim17ROCPRIM_400000_NS6detail17trampoline_kernelINS0_14default_configENS1_36segmented_radix_sort_config_selectorIflEEZNS1_25segmented_radix_sort_implIS3_Lb0EPKfPfPKlPlN2at6native12_GLOBAL__N_18offset_tEEE10hipError_tPvRmT1_PNSt15iterator_traitsISK_E10value_typeET2_T3_PNSL_ISQ_E10value_typeET4_jRbjT5_SW_jjP12ihipStream_tbEUlT_E_NS1_11comp_targetILNS1_3genE0ELNS1_11target_archE4294967295ELNS1_3gpuE0ELNS1_3repE0EEENS1_30default_config_static_selectorELNS0_4arch9wavefront6targetE1EEEvSK_,@function
_ZN7rocprim17ROCPRIM_400000_NS6detail17trampoline_kernelINS0_14default_configENS1_36segmented_radix_sort_config_selectorIflEEZNS1_25segmented_radix_sort_implIS3_Lb0EPKfPfPKlPlN2at6native12_GLOBAL__N_18offset_tEEE10hipError_tPvRmT1_PNSt15iterator_traitsISK_E10value_typeET2_T3_PNSL_ISQ_E10value_typeET4_jRbjT5_SW_jjP12ihipStream_tbEUlT_E_NS1_11comp_targetILNS1_3genE0ELNS1_11target_archE4294967295ELNS1_3gpuE0ELNS1_3repE0EEENS1_30default_config_static_selectorELNS0_4arch9wavefront6targetE1EEEvSK_: ; @_ZN7rocprim17ROCPRIM_400000_NS6detail17trampoline_kernelINS0_14default_configENS1_36segmented_radix_sort_config_selectorIflEEZNS1_25segmented_radix_sort_implIS3_Lb0EPKfPfPKlPlN2at6native12_GLOBAL__N_18offset_tEEE10hipError_tPvRmT1_PNSt15iterator_traitsISK_E10value_typeET2_T3_PNSL_ISQ_E10value_typeET4_jRbjT5_SW_jjP12ihipStream_tbEUlT_E_NS1_11comp_targetILNS1_3genE0ELNS1_11target_archE4294967295ELNS1_3gpuE0ELNS1_3repE0EEENS1_30default_config_static_selectorELNS0_4arch9wavefront6targetE1EEEvSK_
; %bb.0:
	.section	.rodata,"a",@progbits
	.p2align	6, 0x0
	.amdhsa_kernel _ZN7rocprim17ROCPRIM_400000_NS6detail17trampoline_kernelINS0_14default_configENS1_36segmented_radix_sort_config_selectorIflEEZNS1_25segmented_radix_sort_implIS3_Lb0EPKfPfPKlPlN2at6native12_GLOBAL__N_18offset_tEEE10hipError_tPvRmT1_PNSt15iterator_traitsISK_E10value_typeET2_T3_PNSL_ISQ_E10value_typeET4_jRbjT5_SW_jjP12ihipStream_tbEUlT_E_NS1_11comp_targetILNS1_3genE0ELNS1_11target_archE4294967295ELNS1_3gpuE0ELNS1_3repE0EEENS1_30default_config_static_selectorELNS0_4arch9wavefront6targetE1EEEvSK_
		.amdhsa_group_segment_fixed_size 0
		.amdhsa_private_segment_fixed_size 0
		.amdhsa_kernarg_size 96
		.amdhsa_user_sgpr_count 6
		.amdhsa_user_sgpr_private_segment_buffer 1
		.amdhsa_user_sgpr_dispatch_ptr 0
		.amdhsa_user_sgpr_queue_ptr 0
		.amdhsa_user_sgpr_kernarg_segment_ptr 1
		.amdhsa_user_sgpr_dispatch_id 0
		.amdhsa_user_sgpr_flat_scratch_init 0
		.amdhsa_user_sgpr_private_segment_size 0
		.amdhsa_uses_dynamic_stack 0
		.amdhsa_system_sgpr_private_segment_wavefront_offset 0
		.amdhsa_system_sgpr_workgroup_id_x 1
		.amdhsa_system_sgpr_workgroup_id_y 0
		.amdhsa_system_sgpr_workgroup_id_z 0
		.amdhsa_system_sgpr_workgroup_info 0
		.amdhsa_system_vgpr_workitem_id 0
		.amdhsa_next_free_vgpr 1
		.amdhsa_next_free_sgpr 0
		.amdhsa_reserve_vcc 0
		.amdhsa_reserve_flat_scratch 0
		.amdhsa_float_round_mode_32 0
		.amdhsa_float_round_mode_16_64 0
		.amdhsa_float_denorm_mode_32 3
		.amdhsa_float_denorm_mode_16_64 3
		.amdhsa_dx10_clamp 1
		.amdhsa_ieee_mode 1
		.amdhsa_fp16_overflow 0
		.amdhsa_exception_fp_ieee_invalid_op 0
		.amdhsa_exception_fp_denorm_src 0
		.amdhsa_exception_fp_ieee_div_zero 0
		.amdhsa_exception_fp_ieee_overflow 0
		.amdhsa_exception_fp_ieee_underflow 0
		.amdhsa_exception_fp_ieee_inexact 0
		.amdhsa_exception_int_div_zero 0
	.end_amdhsa_kernel
	.section	.text._ZN7rocprim17ROCPRIM_400000_NS6detail17trampoline_kernelINS0_14default_configENS1_36segmented_radix_sort_config_selectorIflEEZNS1_25segmented_radix_sort_implIS3_Lb0EPKfPfPKlPlN2at6native12_GLOBAL__N_18offset_tEEE10hipError_tPvRmT1_PNSt15iterator_traitsISK_E10value_typeET2_T3_PNSL_ISQ_E10value_typeET4_jRbjT5_SW_jjP12ihipStream_tbEUlT_E_NS1_11comp_targetILNS1_3genE0ELNS1_11target_archE4294967295ELNS1_3gpuE0ELNS1_3repE0EEENS1_30default_config_static_selectorELNS0_4arch9wavefront6targetE1EEEvSK_,"axG",@progbits,_ZN7rocprim17ROCPRIM_400000_NS6detail17trampoline_kernelINS0_14default_configENS1_36segmented_radix_sort_config_selectorIflEEZNS1_25segmented_radix_sort_implIS3_Lb0EPKfPfPKlPlN2at6native12_GLOBAL__N_18offset_tEEE10hipError_tPvRmT1_PNSt15iterator_traitsISK_E10value_typeET2_T3_PNSL_ISQ_E10value_typeET4_jRbjT5_SW_jjP12ihipStream_tbEUlT_E_NS1_11comp_targetILNS1_3genE0ELNS1_11target_archE4294967295ELNS1_3gpuE0ELNS1_3repE0EEENS1_30default_config_static_selectorELNS0_4arch9wavefront6targetE1EEEvSK_,comdat
.Lfunc_end1428:
	.size	_ZN7rocprim17ROCPRIM_400000_NS6detail17trampoline_kernelINS0_14default_configENS1_36segmented_radix_sort_config_selectorIflEEZNS1_25segmented_radix_sort_implIS3_Lb0EPKfPfPKlPlN2at6native12_GLOBAL__N_18offset_tEEE10hipError_tPvRmT1_PNSt15iterator_traitsISK_E10value_typeET2_T3_PNSL_ISQ_E10value_typeET4_jRbjT5_SW_jjP12ihipStream_tbEUlT_E_NS1_11comp_targetILNS1_3genE0ELNS1_11target_archE4294967295ELNS1_3gpuE0ELNS1_3repE0EEENS1_30default_config_static_selectorELNS0_4arch9wavefront6targetE1EEEvSK_, .Lfunc_end1428-_ZN7rocprim17ROCPRIM_400000_NS6detail17trampoline_kernelINS0_14default_configENS1_36segmented_radix_sort_config_selectorIflEEZNS1_25segmented_radix_sort_implIS3_Lb0EPKfPfPKlPlN2at6native12_GLOBAL__N_18offset_tEEE10hipError_tPvRmT1_PNSt15iterator_traitsISK_E10value_typeET2_T3_PNSL_ISQ_E10value_typeET4_jRbjT5_SW_jjP12ihipStream_tbEUlT_E_NS1_11comp_targetILNS1_3genE0ELNS1_11target_archE4294967295ELNS1_3gpuE0ELNS1_3repE0EEENS1_30default_config_static_selectorELNS0_4arch9wavefront6targetE1EEEvSK_
                                        ; -- End function
	.set _ZN7rocprim17ROCPRIM_400000_NS6detail17trampoline_kernelINS0_14default_configENS1_36segmented_radix_sort_config_selectorIflEEZNS1_25segmented_radix_sort_implIS3_Lb0EPKfPfPKlPlN2at6native12_GLOBAL__N_18offset_tEEE10hipError_tPvRmT1_PNSt15iterator_traitsISK_E10value_typeET2_T3_PNSL_ISQ_E10value_typeET4_jRbjT5_SW_jjP12ihipStream_tbEUlT_E_NS1_11comp_targetILNS1_3genE0ELNS1_11target_archE4294967295ELNS1_3gpuE0ELNS1_3repE0EEENS1_30default_config_static_selectorELNS0_4arch9wavefront6targetE1EEEvSK_.num_vgpr, 0
	.set _ZN7rocprim17ROCPRIM_400000_NS6detail17trampoline_kernelINS0_14default_configENS1_36segmented_radix_sort_config_selectorIflEEZNS1_25segmented_radix_sort_implIS3_Lb0EPKfPfPKlPlN2at6native12_GLOBAL__N_18offset_tEEE10hipError_tPvRmT1_PNSt15iterator_traitsISK_E10value_typeET2_T3_PNSL_ISQ_E10value_typeET4_jRbjT5_SW_jjP12ihipStream_tbEUlT_E_NS1_11comp_targetILNS1_3genE0ELNS1_11target_archE4294967295ELNS1_3gpuE0ELNS1_3repE0EEENS1_30default_config_static_selectorELNS0_4arch9wavefront6targetE1EEEvSK_.num_agpr, 0
	.set _ZN7rocprim17ROCPRIM_400000_NS6detail17trampoline_kernelINS0_14default_configENS1_36segmented_radix_sort_config_selectorIflEEZNS1_25segmented_radix_sort_implIS3_Lb0EPKfPfPKlPlN2at6native12_GLOBAL__N_18offset_tEEE10hipError_tPvRmT1_PNSt15iterator_traitsISK_E10value_typeET2_T3_PNSL_ISQ_E10value_typeET4_jRbjT5_SW_jjP12ihipStream_tbEUlT_E_NS1_11comp_targetILNS1_3genE0ELNS1_11target_archE4294967295ELNS1_3gpuE0ELNS1_3repE0EEENS1_30default_config_static_selectorELNS0_4arch9wavefront6targetE1EEEvSK_.numbered_sgpr, 0
	.set _ZN7rocprim17ROCPRIM_400000_NS6detail17trampoline_kernelINS0_14default_configENS1_36segmented_radix_sort_config_selectorIflEEZNS1_25segmented_radix_sort_implIS3_Lb0EPKfPfPKlPlN2at6native12_GLOBAL__N_18offset_tEEE10hipError_tPvRmT1_PNSt15iterator_traitsISK_E10value_typeET2_T3_PNSL_ISQ_E10value_typeET4_jRbjT5_SW_jjP12ihipStream_tbEUlT_E_NS1_11comp_targetILNS1_3genE0ELNS1_11target_archE4294967295ELNS1_3gpuE0ELNS1_3repE0EEENS1_30default_config_static_selectorELNS0_4arch9wavefront6targetE1EEEvSK_.num_named_barrier, 0
	.set _ZN7rocprim17ROCPRIM_400000_NS6detail17trampoline_kernelINS0_14default_configENS1_36segmented_radix_sort_config_selectorIflEEZNS1_25segmented_radix_sort_implIS3_Lb0EPKfPfPKlPlN2at6native12_GLOBAL__N_18offset_tEEE10hipError_tPvRmT1_PNSt15iterator_traitsISK_E10value_typeET2_T3_PNSL_ISQ_E10value_typeET4_jRbjT5_SW_jjP12ihipStream_tbEUlT_E_NS1_11comp_targetILNS1_3genE0ELNS1_11target_archE4294967295ELNS1_3gpuE0ELNS1_3repE0EEENS1_30default_config_static_selectorELNS0_4arch9wavefront6targetE1EEEvSK_.private_seg_size, 0
	.set _ZN7rocprim17ROCPRIM_400000_NS6detail17trampoline_kernelINS0_14default_configENS1_36segmented_radix_sort_config_selectorIflEEZNS1_25segmented_radix_sort_implIS3_Lb0EPKfPfPKlPlN2at6native12_GLOBAL__N_18offset_tEEE10hipError_tPvRmT1_PNSt15iterator_traitsISK_E10value_typeET2_T3_PNSL_ISQ_E10value_typeET4_jRbjT5_SW_jjP12ihipStream_tbEUlT_E_NS1_11comp_targetILNS1_3genE0ELNS1_11target_archE4294967295ELNS1_3gpuE0ELNS1_3repE0EEENS1_30default_config_static_selectorELNS0_4arch9wavefront6targetE1EEEvSK_.uses_vcc, 0
	.set _ZN7rocprim17ROCPRIM_400000_NS6detail17trampoline_kernelINS0_14default_configENS1_36segmented_radix_sort_config_selectorIflEEZNS1_25segmented_radix_sort_implIS3_Lb0EPKfPfPKlPlN2at6native12_GLOBAL__N_18offset_tEEE10hipError_tPvRmT1_PNSt15iterator_traitsISK_E10value_typeET2_T3_PNSL_ISQ_E10value_typeET4_jRbjT5_SW_jjP12ihipStream_tbEUlT_E_NS1_11comp_targetILNS1_3genE0ELNS1_11target_archE4294967295ELNS1_3gpuE0ELNS1_3repE0EEENS1_30default_config_static_selectorELNS0_4arch9wavefront6targetE1EEEvSK_.uses_flat_scratch, 0
	.set _ZN7rocprim17ROCPRIM_400000_NS6detail17trampoline_kernelINS0_14default_configENS1_36segmented_radix_sort_config_selectorIflEEZNS1_25segmented_radix_sort_implIS3_Lb0EPKfPfPKlPlN2at6native12_GLOBAL__N_18offset_tEEE10hipError_tPvRmT1_PNSt15iterator_traitsISK_E10value_typeET2_T3_PNSL_ISQ_E10value_typeET4_jRbjT5_SW_jjP12ihipStream_tbEUlT_E_NS1_11comp_targetILNS1_3genE0ELNS1_11target_archE4294967295ELNS1_3gpuE0ELNS1_3repE0EEENS1_30default_config_static_selectorELNS0_4arch9wavefront6targetE1EEEvSK_.has_dyn_sized_stack, 0
	.set _ZN7rocprim17ROCPRIM_400000_NS6detail17trampoline_kernelINS0_14default_configENS1_36segmented_radix_sort_config_selectorIflEEZNS1_25segmented_radix_sort_implIS3_Lb0EPKfPfPKlPlN2at6native12_GLOBAL__N_18offset_tEEE10hipError_tPvRmT1_PNSt15iterator_traitsISK_E10value_typeET2_T3_PNSL_ISQ_E10value_typeET4_jRbjT5_SW_jjP12ihipStream_tbEUlT_E_NS1_11comp_targetILNS1_3genE0ELNS1_11target_archE4294967295ELNS1_3gpuE0ELNS1_3repE0EEENS1_30default_config_static_selectorELNS0_4arch9wavefront6targetE1EEEvSK_.has_recursion, 0
	.set _ZN7rocprim17ROCPRIM_400000_NS6detail17trampoline_kernelINS0_14default_configENS1_36segmented_radix_sort_config_selectorIflEEZNS1_25segmented_radix_sort_implIS3_Lb0EPKfPfPKlPlN2at6native12_GLOBAL__N_18offset_tEEE10hipError_tPvRmT1_PNSt15iterator_traitsISK_E10value_typeET2_T3_PNSL_ISQ_E10value_typeET4_jRbjT5_SW_jjP12ihipStream_tbEUlT_E_NS1_11comp_targetILNS1_3genE0ELNS1_11target_archE4294967295ELNS1_3gpuE0ELNS1_3repE0EEENS1_30default_config_static_selectorELNS0_4arch9wavefront6targetE1EEEvSK_.has_indirect_call, 0
	.section	.AMDGPU.csdata,"",@progbits
; Kernel info:
; codeLenInByte = 0
; TotalNumSgprs: 4
; NumVgprs: 0
; ScratchSize: 0
; MemoryBound: 0
; FloatMode: 240
; IeeeMode: 1
; LDSByteSize: 0 bytes/workgroup (compile time only)
; SGPRBlocks: 0
; VGPRBlocks: 0
; NumSGPRsForWavesPerEU: 4
; NumVGPRsForWavesPerEU: 1
; Occupancy: 10
; WaveLimiterHint : 0
; COMPUTE_PGM_RSRC2:SCRATCH_EN: 0
; COMPUTE_PGM_RSRC2:USER_SGPR: 6
; COMPUTE_PGM_RSRC2:TRAP_HANDLER: 0
; COMPUTE_PGM_RSRC2:TGID_X_EN: 1
; COMPUTE_PGM_RSRC2:TGID_Y_EN: 0
; COMPUTE_PGM_RSRC2:TGID_Z_EN: 0
; COMPUTE_PGM_RSRC2:TIDIG_COMP_CNT: 0
	.section	.text._ZN7rocprim17ROCPRIM_400000_NS6detail17trampoline_kernelINS0_14default_configENS1_36segmented_radix_sort_config_selectorIflEEZNS1_25segmented_radix_sort_implIS3_Lb0EPKfPfPKlPlN2at6native12_GLOBAL__N_18offset_tEEE10hipError_tPvRmT1_PNSt15iterator_traitsISK_E10value_typeET2_T3_PNSL_ISQ_E10value_typeET4_jRbjT5_SW_jjP12ihipStream_tbEUlT_E_NS1_11comp_targetILNS1_3genE5ELNS1_11target_archE942ELNS1_3gpuE9ELNS1_3repE0EEENS1_30default_config_static_selectorELNS0_4arch9wavefront6targetE1EEEvSK_,"axG",@progbits,_ZN7rocprim17ROCPRIM_400000_NS6detail17trampoline_kernelINS0_14default_configENS1_36segmented_radix_sort_config_selectorIflEEZNS1_25segmented_radix_sort_implIS3_Lb0EPKfPfPKlPlN2at6native12_GLOBAL__N_18offset_tEEE10hipError_tPvRmT1_PNSt15iterator_traitsISK_E10value_typeET2_T3_PNSL_ISQ_E10value_typeET4_jRbjT5_SW_jjP12ihipStream_tbEUlT_E_NS1_11comp_targetILNS1_3genE5ELNS1_11target_archE942ELNS1_3gpuE9ELNS1_3repE0EEENS1_30default_config_static_selectorELNS0_4arch9wavefront6targetE1EEEvSK_,comdat
	.globl	_ZN7rocprim17ROCPRIM_400000_NS6detail17trampoline_kernelINS0_14default_configENS1_36segmented_radix_sort_config_selectorIflEEZNS1_25segmented_radix_sort_implIS3_Lb0EPKfPfPKlPlN2at6native12_GLOBAL__N_18offset_tEEE10hipError_tPvRmT1_PNSt15iterator_traitsISK_E10value_typeET2_T3_PNSL_ISQ_E10value_typeET4_jRbjT5_SW_jjP12ihipStream_tbEUlT_E_NS1_11comp_targetILNS1_3genE5ELNS1_11target_archE942ELNS1_3gpuE9ELNS1_3repE0EEENS1_30default_config_static_selectorELNS0_4arch9wavefront6targetE1EEEvSK_ ; -- Begin function _ZN7rocprim17ROCPRIM_400000_NS6detail17trampoline_kernelINS0_14default_configENS1_36segmented_radix_sort_config_selectorIflEEZNS1_25segmented_radix_sort_implIS3_Lb0EPKfPfPKlPlN2at6native12_GLOBAL__N_18offset_tEEE10hipError_tPvRmT1_PNSt15iterator_traitsISK_E10value_typeET2_T3_PNSL_ISQ_E10value_typeET4_jRbjT5_SW_jjP12ihipStream_tbEUlT_E_NS1_11comp_targetILNS1_3genE5ELNS1_11target_archE942ELNS1_3gpuE9ELNS1_3repE0EEENS1_30default_config_static_selectorELNS0_4arch9wavefront6targetE1EEEvSK_
	.p2align	8
	.type	_ZN7rocprim17ROCPRIM_400000_NS6detail17trampoline_kernelINS0_14default_configENS1_36segmented_radix_sort_config_selectorIflEEZNS1_25segmented_radix_sort_implIS3_Lb0EPKfPfPKlPlN2at6native12_GLOBAL__N_18offset_tEEE10hipError_tPvRmT1_PNSt15iterator_traitsISK_E10value_typeET2_T3_PNSL_ISQ_E10value_typeET4_jRbjT5_SW_jjP12ihipStream_tbEUlT_E_NS1_11comp_targetILNS1_3genE5ELNS1_11target_archE942ELNS1_3gpuE9ELNS1_3repE0EEENS1_30default_config_static_selectorELNS0_4arch9wavefront6targetE1EEEvSK_,@function
_ZN7rocprim17ROCPRIM_400000_NS6detail17trampoline_kernelINS0_14default_configENS1_36segmented_radix_sort_config_selectorIflEEZNS1_25segmented_radix_sort_implIS3_Lb0EPKfPfPKlPlN2at6native12_GLOBAL__N_18offset_tEEE10hipError_tPvRmT1_PNSt15iterator_traitsISK_E10value_typeET2_T3_PNSL_ISQ_E10value_typeET4_jRbjT5_SW_jjP12ihipStream_tbEUlT_E_NS1_11comp_targetILNS1_3genE5ELNS1_11target_archE942ELNS1_3gpuE9ELNS1_3repE0EEENS1_30default_config_static_selectorELNS0_4arch9wavefront6targetE1EEEvSK_: ; @_ZN7rocprim17ROCPRIM_400000_NS6detail17trampoline_kernelINS0_14default_configENS1_36segmented_radix_sort_config_selectorIflEEZNS1_25segmented_radix_sort_implIS3_Lb0EPKfPfPKlPlN2at6native12_GLOBAL__N_18offset_tEEE10hipError_tPvRmT1_PNSt15iterator_traitsISK_E10value_typeET2_T3_PNSL_ISQ_E10value_typeET4_jRbjT5_SW_jjP12ihipStream_tbEUlT_E_NS1_11comp_targetILNS1_3genE5ELNS1_11target_archE942ELNS1_3gpuE9ELNS1_3repE0EEENS1_30default_config_static_selectorELNS0_4arch9wavefront6targetE1EEEvSK_
; %bb.0:
	.section	.rodata,"a",@progbits
	.p2align	6, 0x0
	.amdhsa_kernel _ZN7rocprim17ROCPRIM_400000_NS6detail17trampoline_kernelINS0_14default_configENS1_36segmented_radix_sort_config_selectorIflEEZNS1_25segmented_radix_sort_implIS3_Lb0EPKfPfPKlPlN2at6native12_GLOBAL__N_18offset_tEEE10hipError_tPvRmT1_PNSt15iterator_traitsISK_E10value_typeET2_T3_PNSL_ISQ_E10value_typeET4_jRbjT5_SW_jjP12ihipStream_tbEUlT_E_NS1_11comp_targetILNS1_3genE5ELNS1_11target_archE942ELNS1_3gpuE9ELNS1_3repE0EEENS1_30default_config_static_selectorELNS0_4arch9wavefront6targetE1EEEvSK_
		.amdhsa_group_segment_fixed_size 0
		.amdhsa_private_segment_fixed_size 0
		.amdhsa_kernarg_size 96
		.amdhsa_user_sgpr_count 6
		.amdhsa_user_sgpr_private_segment_buffer 1
		.amdhsa_user_sgpr_dispatch_ptr 0
		.amdhsa_user_sgpr_queue_ptr 0
		.amdhsa_user_sgpr_kernarg_segment_ptr 1
		.amdhsa_user_sgpr_dispatch_id 0
		.amdhsa_user_sgpr_flat_scratch_init 0
		.amdhsa_user_sgpr_private_segment_size 0
		.amdhsa_uses_dynamic_stack 0
		.amdhsa_system_sgpr_private_segment_wavefront_offset 0
		.amdhsa_system_sgpr_workgroup_id_x 1
		.amdhsa_system_sgpr_workgroup_id_y 0
		.amdhsa_system_sgpr_workgroup_id_z 0
		.amdhsa_system_sgpr_workgroup_info 0
		.amdhsa_system_vgpr_workitem_id 0
		.amdhsa_next_free_vgpr 1
		.amdhsa_next_free_sgpr 0
		.amdhsa_reserve_vcc 0
		.amdhsa_reserve_flat_scratch 0
		.amdhsa_float_round_mode_32 0
		.amdhsa_float_round_mode_16_64 0
		.amdhsa_float_denorm_mode_32 3
		.amdhsa_float_denorm_mode_16_64 3
		.amdhsa_dx10_clamp 1
		.amdhsa_ieee_mode 1
		.amdhsa_fp16_overflow 0
		.amdhsa_exception_fp_ieee_invalid_op 0
		.amdhsa_exception_fp_denorm_src 0
		.amdhsa_exception_fp_ieee_div_zero 0
		.amdhsa_exception_fp_ieee_overflow 0
		.amdhsa_exception_fp_ieee_underflow 0
		.amdhsa_exception_fp_ieee_inexact 0
		.amdhsa_exception_int_div_zero 0
	.end_amdhsa_kernel
	.section	.text._ZN7rocprim17ROCPRIM_400000_NS6detail17trampoline_kernelINS0_14default_configENS1_36segmented_radix_sort_config_selectorIflEEZNS1_25segmented_radix_sort_implIS3_Lb0EPKfPfPKlPlN2at6native12_GLOBAL__N_18offset_tEEE10hipError_tPvRmT1_PNSt15iterator_traitsISK_E10value_typeET2_T3_PNSL_ISQ_E10value_typeET4_jRbjT5_SW_jjP12ihipStream_tbEUlT_E_NS1_11comp_targetILNS1_3genE5ELNS1_11target_archE942ELNS1_3gpuE9ELNS1_3repE0EEENS1_30default_config_static_selectorELNS0_4arch9wavefront6targetE1EEEvSK_,"axG",@progbits,_ZN7rocprim17ROCPRIM_400000_NS6detail17trampoline_kernelINS0_14default_configENS1_36segmented_radix_sort_config_selectorIflEEZNS1_25segmented_radix_sort_implIS3_Lb0EPKfPfPKlPlN2at6native12_GLOBAL__N_18offset_tEEE10hipError_tPvRmT1_PNSt15iterator_traitsISK_E10value_typeET2_T3_PNSL_ISQ_E10value_typeET4_jRbjT5_SW_jjP12ihipStream_tbEUlT_E_NS1_11comp_targetILNS1_3genE5ELNS1_11target_archE942ELNS1_3gpuE9ELNS1_3repE0EEENS1_30default_config_static_selectorELNS0_4arch9wavefront6targetE1EEEvSK_,comdat
.Lfunc_end1429:
	.size	_ZN7rocprim17ROCPRIM_400000_NS6detail17trampoline_kernelINS0_14default_configENS1_36segmented_radix_sort_config_selectorIflEEZNS1_25segmented_radix_sort_implIS3_Lb0EPKfPfPKlPlN2at6native12_GLOBAL__N_18offset_tEEE10hipError_tPvRmT1_PNSt15iterator_traitsISK_E10value_typeET2_T3_PNSL_ISQ_E10value_typeET4_jRbjT5_SW_jjP12ihipStream_tbEUlT_E_NS1_11comp_targetILNS1_3genE5ELNS1_11target_archE942ELNS1_3gpuE9ELNS1_3repE0EEENS1_30default_config_static_selectorELNS0_4arch9wavefront6targetE1EEEvSK_, .Lfunc_end1429-_ZN7rocprim17ROCPRIM_400000_NS6detail17trampoline_kernelINS0_14default_configENS1_36segmented_radix_sort_config_selectorIflEEZNS1_25segmented_radix_sort_implIS3_Lb0EPKfPfPKlPlN2at6native12_GLOBAL__N_18offset_tEEE10hipError_tPvRmT1_PNSt15iterator_traitsISK_E10value_typeET2_T3_PNSL_ISQ_E10value_typeET4_jRbjT5_SW_jjP12ihipStream_tbEUlT_E_NS1_11comp_targetILNS1_3genE5ELNS1_11target_archE942ELNS1_3gpuE9ELNS1_3repE0EEENS1_30default_config_static_selectorELNS0_4arch9wavefront6targetE1EEEvSK_
                                        ; -- End function
	.set _ZN7rocprim17ROCPRIM_400000_NS6detail17trampoline_kernelINS0_14default_configENS1_36segmented_radix_sort_config_selectorIflEEZNS1_25segmented_radix_sort_implIS3_Lb0EPKfPfPKlPlN2at6native12_GLOBAL__N_18offset_tEEE10hipError_tPvRmT1_PNSt15iterator_traitsISK_E10value_typeET2_T3_PNSL_ISQ_E10value_typeET4_jRbjT5_SW_jjP12ihipStream_tbEUlT_E_NS1_11comp_targetILNS1_3genE5ELNS1_11target_archE942ELNS1_3gpuE9ELNS1_3repE0EEENS1_30default_config_static_selectorELNS0_4arch9wavefront6targetE1EEEvSK_.num_vgpr, 0
	.set _ZN7rocprim17ROCPRIM_400000_NS6detail17trampoline_kernelINS0_14default_configENS1_36segmented_radix_sort_config_selectorIflEEZNS1_25segmented_radix_sort_implIS3_Lb0EPKfPfPKlPlN2at6native12_GLOBAL__N_18offset_tEEE10hipError_tPvRmT1_PNSt15iterator_traitsISK_E10value_typeET2_T3_PNSL_ISQ_E10value_typeET4_jRbjT5_SW_jjP12ihipStream_tbEUlT_E_NS1_11comp_targetILNS1_3genE5ELNS1_11target_archE942ELNS1_3gpuE9ELNS1_3repE0EEENS1_30default_config_static_selectorELNS0_4arch9wavefront6targetE1EEEvSK_.num_agpr, 0
	.set _ZN7rocprim17ROCPRIM_400000_NS6detail17trampoline_kernelINS0_14default_configENS1_36segmented_radix_sort_config_selectorIflEEZNS1_25segmented_radix_sort_implIS3_Lb0EPKfPfPKlPlN2at6native12_GLOBAL__N_18offset_tEEE10hipError_tPvRmT1_PNSt15iterator_traitsISK_E10value_typeET2_T3_PNSL_ISQ_E10value_typeET4_jRbjT5_SW_jjP12ihipStream_tbEUlT_E_NS1_11comp_targetILNS1_3genE5ELNS1_11target_archE942ELNS1_3gpuE9ELNS1_3repE0EEENS1_30default_config_static_selectorELNS0_4arch9wavefront6targetE1EEEvSK_.numbered_sgpr, 0
	.set _ZN7rocprim17ROCPRIM_400000_NS6detail17trampoline_kernelINS0_14default_configENS1_36segmented_radix_sort_config_selectorIflEEZNS1_25segmented_radix_sort_implIS3_Lb0EPKfPfPKlPlN2at6native12_GLOBAL__N_18offset_tEEE10hipError_tPvRmT1_PNSt15iterator_traitsISK_E10value_typeET2_T3_PNSL_ISQ_E10value_typeET4_jRbjT5_SW_jjP12ihipStream_tbEUlT_E_NS1_11comp_targetILNS1_3genE5ELNS1_11target_archE942ELNS1_3gpuE9ELNS1_3repE0EEENS1_30default_config_static_selectorELNS0_4arch9wavefront6targetE1EEEvSK_.num_named_barrier, 0
	.set _ZN7rocprim17ROCPRIM_400000_NS6detail17trampoline_kernelINS0_14default_configENS1_36segmented_radix_sort_config_selectorIflEEZNS1_25segmented_radix_sort_implIS3_Lb0EPKfPfPKlPlN2at6native12_GLOBAL__N_18offset_tEEE10hipError_tPvRmT1_PNSt15iterator_traitsISK_E10value_typeET2_T3_PNSL_ISQ_E10value_typeET4_jRbjT5_SW_jjP12ihipStream_tbEUlT_E_NS1_11comp_targetILNS1_3genE5ELNS1_11target_archE942ELNS1_3gpuE9ELNS1_3repE0EEENS1_30default_config_static_selectorELNS0_4arch9wavefront6targetE1EEEvSK_.private_seg_size, 0
	.set _ZN7rocprim17ROCPRIM_400000_NS6detail17trampoline_kernelINS0_14default_configENS1_36segmented_radix_sort_config_selectorIflEEZNS1_25segmented_radix_sort_implIS3_Lb0EPKfPfPKlPlN2at6native12_GLOBAL__N_18offset_tEEE10hipError_tPvRmT1_PNSt15iterator_traitsISK_E10value_typeET2_T3_PNSL_ISQ_E10value_typeET4_jRbjT5_SW_jjP12ihipStream_tbEUlT_E_NS1_11comp_targetILNS1_3genE5ELNS1_11target_archE942ELNS1_3gpuE9ELNS1_3repE0EEENS1_30default_config_static_selectorELNS0_4arch9wavefront6targetE1EEEvSK_.uses_vcc, 0
	.set _ZN7rocprim17ROCPRIM_400000_NS6detail17trampoline_kernelINS0_14default_configENS1_36segmented_radix_sort_config_selectorIflEEZNS1_25segmented_radix_sort_implIS3_Lb0EPKfPfPKlPlN2at6native12_GLOBAL__N_18offset_tEEE10hipError_tPvRmT1_PNSt15iterator_traitsISK_E10value_typeET2_T3_PNSL_ISQ_E10value_typeET4_jRbjT5_SW_jjP12ihipStream_tbEUlT_E_NS1_11comp_targetILNS1_3genE5ELNS1_11target_archE942ELNS1_3gpuE9ELNS1_3repE0EEENS1_30default_config_static_selectorELNS0_4arch9wavefront6targetE1EEEvSK_.uses_flat_scratch, 0
	.set _ZN7rocprim17ROCPRIM_400000_NS6detail17trampoline_kernelINS0_14default_configENS1_36segmented_radix_sort_config_selectorIflEEZNS1_25segmented_radix_sort_implIS3_Lb0EPKfPfPKlPlN2at6native12_GLOBAL__N_18offset_tEEE10hipError_tPvRmT1_PNSt15iterator_traitsISK_E10value_typeET2_T3_PNSL_ISQ_E10value_typeET4_jRbjT5_SW_jjP12ihipStream_tbEUlT_E_NS1_11comp_targetILNS1_3genE5ELNS1_11target_archE942ELNS1_3gpuE9ELNS1_3repE0EEENS1_30default_config_static_selectorELNS0_4arch9wavefront6targetE1EEEvSK_.has_dyn_sized_stack, 0
	.set _ZN7rocprim17ROCPRIM_400000_NS6detail17trampoline_kernelINS0_14default_configENS1_36segmented_radix_sort_config_selectorIflEEZNS1_25segmented_radix_sort_implIS3_Lb0EPKfPfPKlPlN2at6native12_GLOBAL__N_18offset_tEEE10hipError_tPvRmT1_PNSt15iterator_traitsISK_E10value_typeET2_T3_PNSL_ISQ_E10value_typeET4_jRbjT5_SW_jjP12ihipStream_tbEUlT_E_NS1_11comp_targetILNS1_3genE5ELNS1_11target_archE942ELNS1_3gpuE9ELNS1_3repE0EEENS1_30default_config_static_selectorELNS0_4arch9wavefront6targetE1EEEvSK_.has_recursion, 0
	.set _ZN7rocprim17ROCPRIM_400000_NS6detail17trampoline_kernelINS0_14default_configENS1_36segmented_radix_sort_config_selectorIflEEZNS1_25segmented_radix_sort_implIS3_Lb0EPKfPfPKlPlN2at6native12_GLOBAL__N_18offset_tEEE10hipError_tPvRmT1_PNSt15iterator_traitsISK_E10value_typeET2_T3_PNSL_ISQ_E10value_typeET4_jRbjT5_SW_jjP12ihipStream_tbEUlT_E_NS1_11comp_targetILNS1_3genE5ELNS1_11target_archE942ELNS1_3gpuE9ELNS1_3repE0EEENS1_30default_config_static_selectorELNS0_4arch9wavefront6targetE1EEEvSK_.has_indirect_call, 0
	.section	.AMDGPU.csdata,"",@progbits
; Kernel info:
; codeLenInByte = 0
; TotalNumSgprs: 4
; NumVgprs: 0
; ScratchSize: 0
; MemoryBound: 0
; FloatMode: 240
; IeeeMode: 1
; LDSByteSize: 0 bytes/workgroup (compile time only)
; SGPRBlocks: 0
; VGPRBlocks: 0
; NumSGPRsForWavesPerEU: 4
; NumVGPRsForWavesPerEU: 1
; Occupancy: 10
; WaveLimiterHint : 0
; COMPUTE_PGM_RSRC2:SCRATCH_EN: 0
; COMPUTE_PGM_RSRC2:USER_SGPR: 6
; COMPUTE_PGM_RSRC2:TRAP_HANDLER: 0
; COMPUTE_PGM_RSRC2:TGID_X_EN: 1
; COMPUTE_PGM_RSRC2:TGID_Y_EN: 0
; COMPUTE_PGM_RSRC2:TGID_Z_EN: 0
; COMPUTE_PGM_RSRC2:TIDIG_COMP_CNT: 0
	.section	.text._ZN7rocprim17ROCPRIM_400000_NS6detail17trampoline_kernelINS0_14default_configENS1_36segmented_radix_sort_config_selectorIflEEZNS1_25segmented_radix_sort_implIS3_Lb0EPKfPfPKlPlN2at6native12_GLOBAL__N_18offset_tEEE10hipError_tPvRmT1_PNSt15iterator_traitsISK_E10value_typeET2_T3_PNSL_ISQ_E10value_typeET4_jRbjT5_SW_jjP12ihipStream_tbEUlT_E_NS1_11comp_targetILNS1_3genE4ELNS1_11target_archE910ELNS1_3gpuE8ELNS1_3repE0EEENS1_30default_config_static_selectorELNS0_4arch9wavefront6targetE1EEEvSK_,"axG",@progbits,_ZN7rocprim17ROCPRIM_400000_NS6detail17trampoline_kernelINS0_14default_configENS1_36segmented_radix_sort_config_selectorIflEEZNS1_25segmented_radix_sort_implIS3_Lb0EPKfPfPKlPlN2at6native12_GLOBAL__N_18offset_tEEE10hipError_tPvRmT1_PNSt15iterator_traitsISK_E10value_typeET2_T3_PNSL_ISQ_E10value_typeET4_jRbjT5_SW_jjP12ihipStream_tbEUlT_E_NS1_11comp_targetILNS1_3genE4ELNS1_11target_archE910ELNS1_3gpuE8ELNS1_3repE0EEENS1_30default_config_static_selectorELNS0_4arch9wavefront6targetE1EEEvSK_,comdat
	.globl	_ZN7rocprim17ROCPRIM_400000_NS6detail17trampoline_kernelINS0_14default_configENS1_36segmented_radix_sort_config_selectorIflEEZNS1_25segmented_radix_sort_implIS3_Lb0EPKfPfPKlPlN2at6native12_GLOBAL__N_18offset_tEEE10hipError_tPvRmT1_PNSt15iterator_traitsISK_E10value_typeET2_T3_PNSL_ISQ_E10value_typeET4_jRbjT5_SW_jjP12ihipStream_tbEUlT_E_NS1_11comp_targetILNS1_3genE4ELNS1_11target_archE910ELNS1_3gpuE8ELNS1_3repE0EEENS1_30default_config_static_selectorELNS0_4arch9wavefront6targetE1EEEvSK_ ; -- Begin function _ZN7rocprim17ROCPRIM_400000_NS6detail17trampoline_kernelINS0_14default_configENS1_36segmented_radix_sort_config_selectorIflEEZNS1_25segmented_radix_sort_implIS3_Lb0EPKfPfPKlPlN2at6native12_GLOBAL__N_18offset_tEEE10hipError_tPvRmT1_PNSt15iterator_traitsISK_E10value_typeET2_T3_PNSL_ISQ_E10value_typeET4_jRbjT5_SW_jjP12ihipStream_tbEUlT_E_NS1_11comp_targetILNS1_3genE4ELNS1_11target_archE910ELNS1_3gpuE8ELNS1_3repE0EEENS1_30default_config_static_selectorELNS0_4arch9wavefront6targetE1EEEvSK_
	.p2align	8
	.type	_ZN7rocprim17ROCPRIM_400000_NS6detail17trampoline_kernelINS0_14default_configENS1_36segmented_radix_sort_config_selectorIflEEZNS1_25segmented_radix_sort_implIS3_Lb0EPKfPfPKlPlN2at6native12_GLOBAL__N_18offset_tEEE10hipError_tPvRmT1_PNSt15iterator_traitsISK_E10value_typeET2_T3_PNSL_ISQ_E10value_typeET4_jRbjT5_SW_jjP12ihipStream_tbEUlT_E_NS1_11comp_targetILNS1_3genE4ELNS1_11target_archE910ELNS1_3gpuE8ELNS1_3repE0EEENS1_30default_config_static_selectorELNS0_4arch9wavefront6targetE1EEEvSK_,@function
_ZN7rocprim17ROCPRIM_400000_NS6detail17trampoline_kernelINS0_14default_configENS1_36segmented_radix_sort_config_selectorIflEEZNS1_25segmented_radix_sort_implIS3_Lb0EPKfPfPKlPlN2at6native12_GLOBAL__N_18offset_tEEE10hipError_tPvRmT1_PNSt15iterator_traitsISK_E10value_typeET2_T3_PNSL_ISQ_E10value_typeET4_jRbjT5_SW_jjP12ihipStream_tbEUlT_E_NS1_11comp_targetILNS1_3genE4ELNS1_11target_archE910ELNS1_3gpuE8ELNS1_3repE0EEENS1_30default_config_static_selectorELNS0_4arch9wavefront6targetE1EEEvSK_: ; @_ZN7rocprim17ROCPRIM_400000_NS6detail17trampoline_kernelINS0_14default_configENS1_36segmented_radix_sort_config_selectorIflEEZNS1_25segmented_radix_sort_implIS3_Lb0EPKfPfPKlPlN2at6native12_GLOBAL__N_18offset_tEEE10hipError_tPvRmT1_PNSt15iterator_traitsISK_E10value_typeET2_T3_PNSL_ISQ_E10value_typeET4_jRbjT5_SW_jjP12ihipStream_tbEUlT_E_NS1_11comp_targetILNS1_3genE4ELNS1_11target_archE910ELNS1_3gpuE8ELNS1_3repE0EEENS1_30default_config_static_selectorELNS0_4arch9wavefront6targetE1EEEvSK_
; %bb.0:
	.section	.rodata,"a",@progbits
	.p2align	6, 0x0
	.amdhsa_kernel _ZN7rocprim17ROCPRIM_400000_NS6detail17trampoline_kernelINS0_14default_configENS1_36segmented_radix_sort_config_selectorIflEEZNS1_25segmented_radix_sort_implIS3_Lb0EPKfPfPKlPlN2at6native12_GLOBAL__N_18offset_tEEE10hipError_tPvRmT1_PNSt15iterator_traitsISK_E10value_typeET2_T3_PNSL_ISQ_E10value_typeET4_jRbjT5_SW_jjP12ihipStream_tbEUlT_E_NS1_11comp_targetILNS1_3genE4ELNS1_11target_archE910ELNS1_3gpuE8ELNS1_3repE0EEENS1_30default_config_static_selectorELNS0_4arch9wavefront6targetE1EEEvSK_
		.amdhsa_group_segment_fixed_size 0
		.amdhsa_private_segment_fixed_size 0
		.amdhsa_kernarg_size 96
		.amdhsa_user_sgpr_count 6
		.amdhsa_user_sgpr_private_segment_buffer 1
		.amdhsa_user_sgpr_dispatch_ptr 0
		.amdhsa_user_sgpr_queue_ptr 0
		.amdhsa_user_sgpr_kernarg_segment_ptr 1
		.amdhsa_user_sgpr_dispatch_id 0
		.amdhsa_user_sgpr_flat_scratch_init 0
		.amdhsa_user_sgpr_private_segment_size 0
		.amdhsa_uses_dynamic_stack 0
		.amdhsa_system_sgpr_private_segment_wavefront_offset 0
		.amdhsa_system_sgpr_workgroup_id_x 1
		.amdhsa_system_sgpr_workgroup_id_y 0
		.amdhsa_system_sgpr_workgroup_id_z 0
		.amdhsa_system_sgpr_workgroup_info 0
		.amdhsa_system_vgpr_workitem_id 0
		.amdhsa_next_free_vgpr 1
		.amdhsa_next_free_sgpr 0
		.amdhsa_reserve_vcc 0
		.amdhsa_reserve_flat_scratch 0
		.amdhsa_float_round_mode_32 0
		.amdhsa_float_round_mode_16_64 0
		.amdhsa_float_denorm_mode_32 3
		.amdhsa_float_denorm_mode_16_64 3
		.amdhsa_dx10_clamp 1
		.amdhsa_ieee_mode 1
		.amdhsa_fp16_overflow 0
		.amdhsa_exception_fp_ieee_invalid_op 0
		.amdhsa_exception_fp_denorm_src 0
		.amdhsa_exception_fp_ieee_div_zero 0
		.amdhsa_exception_fp_ieee_overflow 0
		.amdhsa_exception_fp_ieee_underflow 0
		.amdhsa_exception_fp_ieee_inexact 0
		.amdhsa_exception_int_div_zero 0
	.end_amdhsa_kernel
	.section	.text._ZN7rocprim17ROCPRIM_400000_NS6detail17trampoline_kernelINS0_14default_configENS1_36segmented_radix_sort_config_selectorIflEEZNS1_25segmented_radix_sort_implIS3_Lb0EPKfPfPKlPlN2at6native12_GLOBAL__N_18offset_tEEE10hipError_tPvRmT1_PNSt15iterator_traitsISK_E10value_typeET2_T3_PNSL_ISQ_E10value_typeET4_jRbjT5_SW_jjP12ihipStream_tbEUlT_E_NS1_11comp_targetILNS1_3genE4ELNS1_11target_archE910ELNS1_3gpuE8ELNS1_3repE0EEENS1_30default_config_static_selectorELNS0_4arch9wavefront6targetE1EEEvSK_,"axG",@progbits,_ZN7rocprim17ROCPRIM_400000_NS6detail17trampoline_kernelINS0_14default_configENS1_36segmented_radix_sort_config_selectorIflEEZNS1_25segmented_radix_sort_implIS3_Lb0EPKfPfPKlPlN2at6native12_GLOBAL__N_18offset_tEEE10hipError_tPvRmT1_PNSt15iterator_traitsISK_E10value_typeET2_T3_PNSL_ISQ_E10value_typeET4_jRbjT5_SW_jjP12ihipStream_tbEUlT_E_NS1_11comp_targetILNS1_3genE4ELNS1_11target_archE910ELNS1_3gpuE8ELNS1_3repE0EEENS1_30default_config_static_selectorELNS0_4arch9wavefront6targetE1EEEvSK_,comdat
.Lfunc_end1430:
	.size	_ZN7rocprim17ROCPRIM_400000_NS6detail17trampoline_kernelINS0_14default_configENS1_36segmented_radix_sort_config_selectorIflEEZNS1_25segmented_radix_sort_implIS3_Lb0EPKfPfPKlPlN2at6native12_GLOBAL__N_18offset_tEEE10hipError_tPvRmT1_PNSt15iterator_traitsISK_E10value_typeET2_T3_PNSL_ISQ_E10value_typeET4_jRbjT5_SW_jjP12ihipStream_tbEUlT_E_NS1_11comp_targetILNS1_3genE4ELNS1_11target_archE910ELNS1_3gpuE8ELNS1_3repE0EEENS1_30default_config_static_selectorELNS0_4arch9wavefront6targetE1EEEvSK_, .Lfunc_end1430-_ZN7rocprim17ROCPRIM_400000_NS6detail17trampoline_kernelINS0_14default_configENS1_36segmented_radix_sort_config_selectorIflEEZNS1_25segmented_radix_sort_implIS3_Lb0EPKfPfPKlPlN2at6native12_GLOBAL__N_18offset_tEEE10hipError_tPvRmT1_PNSt15iterator_traitsISK_E10value_typeET2_T3_PNSL_ISQ_E10value_typeET4_jRbjT5_SW_jjP12ihipStream_tbEUlT_E_NS1_11comp_targetILNS1_3genE4ELNS1_11target_archE910ELNS1_3gpuE8ELNS1_3repE0EEENS1_30default_config_static_selectorELNS0_4arch9wavefront6targetE1EEEvSK_
                                        ; -- End function
	.set _ZN7rocprim17ROCPRIM_400000_NS6detail17trampoline_kernelINS0_14default_configENS1_36segmented_radix_sort_config_selectorIflEEZNS1_25segmented_radix_sort_implIS3_Lb0EPKfPfPKlPlN2at6native12_GLOBAL__N_18offset_tEEE10hipError_tPvRmT1_PNSt15iterator_traitsISK_E10value_typeET2_T3_PNSL_ISQ_E10value_typeET4_jRbjT5_SW_jjP12ihipStream_tbEUlT_E_NS1_11comp_targetILNS1_3genE4ELNS1_11target_archE910ELNS1_3gpuE8ELNS1_3repE0EEENS1_30default_config_static_selectorELNS0_4arch9wavefront6targetE1EEEvSK_.num_vgpr, 0
	.set _ZN7rocprim17ROCPRIM_400000_NS6detail17trampoline_kernelINS0_14default_configENS1_36segmented_radix_sort_config_selectorIflEEZNS1_25segmented_radix_sort_implIS3_Lb0EPKfPfPKlPlN2at6native12_GLOBAL__N_18offset_tEEE10hipError_tPvRmT1_PNSt15iterator_traitsISK_E10value_typeET2_T3_PNSL_ISQ_E10value_typeET4_jRbjT5_SW_jjP12ihipStream_tbEUlT_E_NS1_11comp_targetILNS1_3genE4ELNS1_11target_archE910ELNS1_3gpuE8ELNS1_3repE0EEENS1_30default_config_static_selectorELNS0_4arch9wavefront6targetE1EEEvSK_.num_agpr, 0
	.set _ZN7rocprim17ROCPRIM_400000_NS6detail17trampoline_kernelINS0_14default_configENS1_36segmented_radix_sort_config_selectorIflEEZNS1_25segmented_radix_sort_implIS3_Lb0EPKfPfPKlPlN2at6native12_GLOBAL__N_18offset_tEEE10hipError_tPvRmT1_PNSt15iterator_traitsISK_E10value_typeET2_T3_PNSL_ISQ_E10value_typeET4_jRbjT5_SW_jjP12ihipStream_tbEUlT_E_NS1_11comp_targetILNS1_3genE4ELNS1_11target_archE910ELNS1_3gpuE8ELNS1_3repE0EEENS1_30default_config_static_selectorELNS0_4arch9wavefront6targetE1EEEvSK_.numbered_sgpr, 0
	.set _ZN7rocprim17ROCPRIM_400000_NS6detail17trampoline_kernelINS0_14default_configENS1_36segmented_radix_sort_config_selectorIflEEZNS1_25segmented_radix_sort_implIS3_Lb0EPKfPfPKlPlN2at6native12_GLOBAL__N_18offset_tEEE10hipError_tPvRmT1_PNSt15iterator_traitsISK_E10value_typeET2_T3_PNSL_ISQ_E10value_typeET4_jRbjT5_SW_jjP12ihipStream_tbEUlT_E_NS1_11comp_targetILNS1_3genE4ELNS1_11target_archE910ELNS1_3gpuE8ELNS1_3repE0EEENS1_30default_config_static_selectorELNS0_4arch9wavefront6targetE1EEEvSK_.num_named_barrier, 0
	.set _ZN7rocprim17ROCPRIM_400000_NS6detail17trampoline_kernelINS0_14default_configENS1_36segmented_radix_sort_config_selectorIflEEZNS1_25segmented_radix_sort_implIS3_Lb0EPKfPfPKlPlN2at6native12_GLOBAL__N_18offset_tEEE10hipError_tPvRmT1_PNSt15iterator_traitsISK_E10value_typeET2_T3_PNSL_ISQ_E10value_typeET4_jRbjT5_SW_jjP12ihipStream_tbEUlT_E_NS1_11comp_targetILNS1_3genE4ELNS1_11target_archE910ELNS1_3gpuE8ELNS1_3repE0EEENS1_30default_config_static_selectorELNS0_4arch9wavefront6targetE1EEEvSK_.private_seg_size, 0
	.set _ZN7rocprim17ROCPRIM_400000_NS6detail17trampoline_kernelINS0_14default_configENS1_36segmented_radix_sort_config_selectorIflEEZNS1_25segmented_radix_sort_implIS3_Lb0EPKfPfPKlPlN2at6native12_GLOBAL__N_18offset_tEEE10hipError_tPvRmT1_PNSt15iterator_traitsISK_E10value_typeET2_T3_PNSL_ISQ_E10value_typeET4_jRbjT5_SW_jjP12ihipStream_tbEUlT_E_NS1_11comp_targetILNS1_3genE4ELNS1_11target_archE910ELNS1_3gpuE8ELNS1_3repE0EEENS1_30default_config_static_selectorELNS0_4arch9wavefront6targetE1EEEvSK_.uses_vcc, 0
	.set _ZN7rocprim17ROCPRIM_400000_NS6detail17trampoline_kernelINS0_14default_configENS1_36segmented_radix_sort_config_selectorIflEEZNS1_25segmented_radix_sort_implIS3_Lb0EPKfPfPKlPlN2at6native12_GLOBAL__N_18offset_tEEE10hipError_tPvRmT1_PNSt15iterator_traitsISK_E10value_typeET2_T3_PNSL_ISQ_E10value_typeET4_jRbjT5_SW_jjP12ihipStream_tbEUlT_E_NS1_11comp_targetILNS1_3genE4ELNS1_11target_archE910ELNS1_3gpuE8ELNS1_3repE0EEENS1_30default_config_static_selectorELNS0_4arch9wavefront6targetE1EEEvSK_.uses_flat_scratch, 0
	.set _ZN7rocprim17ROCPRIM_400000_NS6detail17trampoline_kernelINS0_14default_configENS1_36segmented_radix_sort_config_selectorIflEEZNS1_25segmented_radix_sort_implIS3_Lb0EPKfPfPKlPlN2at6native12_GLOBAL__N_18offset_tEEE10hipError_tPvRmT1_PNSt15iterator_traitsISK_E10value_typeET2_T3_PNSL_ISQ_E10value_typeET4_jRbjT5_SW_jjP12ihipStream_tbEUlT_E_NS1_11comp_targetILNS1_3genE4ELNS1_11target_archE910ELNS1_3gpuE8ELNS1_3repE0EEENS1_30default_config_static_selectorELNS0_4arch9wavefront6targetE1EEEvSK_.has_dyn_sized_stack, 0
	.set _ZN7rocprim17ROCPRIM_400000_NS6detail17trampoline_kernelINS0_14default_configENS1_36segmented_radix_sort_config_selectorIflEEZNS1_25segmented_radix_sort_implIS3_Lb0EPKfPfPKlPlN2at6native12_GLOBAL__N_18offset_tEEE10hipError_tPvRmT1_PNSt15iterator_traitsISK_E10value_typeET2_T3_PNSL_ISQ_E10value_typeET4_jRbjT5_SW_jjP12ihipStream_tbEUlT_E_NS1_11comp_targetILNS1_3genE4ELNS1_11target_archE910ELNS1_3gpuE8ELNS1_3repE0EEENS1_30default_config_static_selectorELNS0_4arch9wavefront6targetE1EEEvSK_.has_recursion, 0
	.set _ZN7rocprim17ROCPRIM_400000_NS6detail17trampoline_kernelINS0_14default_configENS1_36segmented_radix_sort_config_selectorIflEEZNS1_25segmented_radix_sort_implIS3_Lb0EPKfPfPKlPlN2at6native12_GLOBAL__N_18offset_tEEE10hipError_tPvRmT1_PNSt15iterator_traitsISK_E10value_typeET2_T3_PNSL_ISQ_E10value_typeET4_jRbjT5_SW_jjP12ihipStream_tbEUlT_E_NS1_11comp_targetILNS1_3genE4ELNS1_11target_archE910ELNS1_3gpuE8ELNS1_3repE0EEENS1_30default_config_static_selectorELNS0_4arch9wavefront6targetE1EEEvSK_.has_indirect_call, 0
	.section	.AMDGPU.csdata,"",@progbits
; Kernel info:
; codeLenInByte = 0
; TotalNumSgprs: 4
; NumVgprs: 0
; ScratchSize: 0
; MemoryBound: 0
; FloatMode: 240
; IeeeMode: 1
; LDSByteSize: 0 bytes/workgroup (compile time only)
; SGPRBlocks: 0
; VGPRBlocks: 0
; NumSGPRsForWavesPerEU: 4
; NumVGPRsForWavesPerEU: 1
; Occupancy: 10
; WaveLimiterHint : 0
; COMPUTE_PGM_RSRC2:SCRATCH_EN: 0
; COMPUTE_PGM_RSRC2:USER_SGPR: 6
; COMPUTE_PGM_RSRC2:TRAP_HANDLER: 0
; COMPUTE_PGM_RSRC2:TGID_X_EN: 1
; COMPUTE_PGM_RSRC2:TGID_Y_EN: 0
; COMPUTE_PGM_RSRC2:TGID_Z_EN: 0
; COMPUTE_PGM_RSRC2:TIDIG_COMP_CNT: 0
	.section	.text._ZN7rocprim17ROCPRIM_400000_NS6detail17trampoline_kernelINS0_14default_configENS1_36segmented_radix_sort_config_selectorIflEEZNS1_25segmented_radix_sort_implIS3_Lb0EPKfPfPKlPlN2at6native12_GLOBAL__N_18offset_tEEE10hipError_tPvRmT1_PNSt15iterator_traitsISK_E10value_typeET2_T3_PNSL_ISQ_E10value_typeET4_jRbjT5_SW_jjP12ihipStream_tbEUlT_E_NS1_11comp_targetILNS1_3genE3ELNS1_11target_archE908ELNS1_3gpuE7ELNS1_3repE0EEENS1_30default_config_static_selectorELNS0_4arch9wavefront6targetE1EEEvSK_,"axG",@progbits,_ZN7rocprim17ROCPRIM_400000_NS6detail17trampoline_kernelINS0_14default_configENS1_36segmented_radix_sort_config_selectorIflEEZNS1_25segmented_radix_sort_implIS3_Lb0EPKfPfPKlPlN2at6native12_GLOBAL__N_18offset_tEEE10hipError_tPvRmT1_PNSt15iterator_traitsISK_E10value_typeET2_T3_PNSL_ISQ_E10value_typeET4_jRbjT5_SW_jjP12ihipStream_tbEUlT_E_NS1_11comp_targetILNS1_3genE3ELNS1_11target_archE908ELNS1_3gpuE7ELNS1_3repE0EEENS1_30default_config_static_selectorELNS0_4arch9wavefront6targetE1EEEvSK_,comdat
	.globl	_ZN7rocprim17ROCPRIM_400000_NS6detail17trampoline_kernelINS0_14default_configENS1_36segmented_radix_sort_config_selectorIflEEZNS1_25segmented_radix_sort_implIS3_Lb0EPKfPfPKlPlN2at6native12_GLOBAL__N_18offset_tEEE10hipError_tPvRmT1_PNSt15iterator_traitsISK_E10value_typeET2_T3_PNSL_ISQ_E10value_typeET4_jRbjT5_SW_jjP12ihipStream_tbEUlT_E_NS1_11comp_targetILNS1_3genE3ELNS1_11target_archE908ELNS1_3gpuE7ELNS1_3repE0EEENS1_30default_config_static_selectorELNS0_4arch9wavefront6targetE1EEEvSK_ ; -- Begin function _ZN7rocprim17ROCPRIM_400000_NS6detail17trampoline_kernelINS0_14default_configENS1_36segmented_radix_sort_config_selectorIflEEZNS1_25segmented_radix_sort_implIS3_Lb0EPKfPfPKlPlN2at6native12_GLOBAL__N_18offset_tEEE10hipError_tPvRmT1_PNSt15iterator_traitsISK_E10value_typeET2_T3_PNSL_ISQ_E10value_typeET4_jRbjT5_SW_jjP12ihipStream_tbEUlT_E_NS1_11comp_targetILNS1_3genE3ELNS1_11target_archE908ELNS1_3gpuE7ELNS1_3repE0EEENS1_30default_config_static_selectorELNS0_4arch9wavefront6targetE1EEEvSK_
	.p2align	8
	.type	_ZN7rocprim17ROCPRIM_400000_NS6detail17trampoline_kernelINS0_14default_configENS1_36segmented_radix_sort_config_selectorIflEEZNS1_25segmented_radix_sort_implIS3_Lb0EPKfPfPKlPlN2at6native12_GLOBAL__N_18offset_tEEE10hipError_tPvRmT1_PNSt15iterator_traitsISK_E10value_typeET2_T3_PNSL_ISQ_E10value_typeET4_jRbjT5_SW_jjP12ihipStream_tbEUlT_E_NS1_11comp_targetILNS1_3genE3ELNS1_11target_archE908ELNS1_3gpuE7ELNS1_3repE0EEENS1_30default_config_static_selectorELNS0_4arch9wavefront6targetE1EEEvSK_,@function
_ZN7rocprim17ROCPRIM_400000_NS6detail17trampoline_kernelINS0_14default_configENS1_36segmented_radix_sort_config_selectorIflEEZNS1_25segmented_radix_sort_implIS3_Lb0EPKfPfPKlPlN2at6native12_GLOBAL__N_18offset_tEEE10hipError_tPvRmT1_PNSt15iterator_traitsISK_E10value_typeET2_T3_PNSL_ISQ_E10value_typeET4_jRbjT5_SW_jjP12ihipStream_tbEUlT_E_NS1_11comp_targetILNS1_3genE3ELNS1_11target_archE908ELNS1_3gpuE7ELNS1_3repE0EEENS1_30default_config_static_selectorELNS0_4arch9wavefront6targetE1EEEvSK_: ; @_ZN7rocprim17ROCPRIM_400000_NS6detail17trampoline_kernelINS0_14default_configENS1_36segmented_radix_sort_config_selectorIflEEZNS1_25segmented_radix_sort_implIS3_Lb0EPKfPfPKlPlN2at6native12_GLOBAL__N_18offset_tEEE10hipError_tPvRmT1_PNSt15iterator_traitsISK_E10value_typeET2_T3_PNSL_ISQ_E10value_typeET4_jRbjT5_SW_jjP12ihipStream_tbEUlT_E_NS1_11comp_targetILNS1_3genE3ELNS1_11target_archE908ELNS1_3gpuE7ELNS1_3repE0EEENS1_30default_config_static_selectorELNS0_4arch9wavefront6targetE1EEEvSK_
; %bb.0:
	.section	.rodata,"a",@progbits
	.p2align	6, 0x0
	.amdhsa_kernel _ZN7rocprim17ROCPRIM_400000_NS6detail17trampoline_kernelINS0_14default_configENS1_36segmented_radix_sort_config_selectorIflEEZNS1_25segmented_radix_sort_implIS3_Lb0EPKfPfPKlPlN2at6native12_GLOBAL__N_18offset_tEEE10hipError_tPvRmT1_PNSt15iterator_traitsISK_E10value_typeET2_T3_PNSL_ISQ_E10value_typeET4_jRbjT5_SW_jjP12ihipStream_tbEUlT_E_NS1_11comp_targetILNS1_3genE3ELNS1_11target_archE908ELNS1_3gpuE7ELNS1_3repE0EEENS1_30default_config_static_selectorELNS0_4arch9wavefront6targetE1EEEvSK_
		.amdhsa_group_segment_fixed_size 0
		.amdhsa_private_segment_fixed_size 0
		.amdhsa_kernarg_size 96
		.amdhsa_user_sgpr_count 6
		.amdhsa_user_sgpr_private_segment_buffer 1
		.amdhsa_user_sgpr_dispatch_ptr 0
		.amdhsa_user_sgpr_queue_ptr 0
		.amdhsa_user_sgpr_kernarg_segment_ptr 1
		.amdhsa_user_sgpr_dispatch_id 0
		.amdhsa_user_sgpr_flat_scratch_init 0
		.amdhsa_user_sgpr_private_segment_size 0
		.amdhsa_uses_dynamic_stack 0
		.amdhsa_system_sgpr_private_segment_wavefront_offset 0
		.amdhsa_system_sgpr_workgroup_id_x 1
		.amdhsa_system_sgpr_workgroup_id_y 0
		.amdhsa_system_sgpr_workgroup_id_z 0
		.amdhsa_system_sgpr_workgroup_info 0
		.amdhsa_system_vgpr_workitem_id 0
		.amdhsa_next_free_vgpr 1
		.amdhsa_next_free_sgpr 0
		.amdhsa_reserve_vcc 0
		.amdhsa_reserve_flat_scratch 0
		.amdhsa_float_round_mode_32 0
		.amdhsa_float_round_mode_16_64 0
		.amdhsa_float_denorm_mode_32 3
		.amdhsa_float_denorm_mode_16_64 3
		.amdhsa_dx10_clamp 1
		.amdhsa_ieee_mode 1
		.amdhsa_fp16_overflow 0
		.amdhsa_exception_fp_ieee_invalid_op 0
		.amdhsa_exception_fp_denorm_src 0
		.amdhsa_exception_fp_ieee_div_zero 0
		.amdhsa_exception_fp_ieee_overflow 0
		.amdhsa_exception_fp_ieee_underflow 0
		.amdhsa_exception_fp_ieee_inexact 0
		.amdhsa_exception_int_div_zero 0
	.end_amdhsa_kernel
	.section	.text._ZN7rocprim17ROCPRIM_400000_NS6detail17trampoline_kernelINS0_14default_configENS1_36segmented_radix_sort_config_selectorIflEEZNS1_25segmented_radix_sort_implIS3_Lb0EPKfPfPKlPlN2at6native12_GLOBAL__N_18offset_tEEE10hipError_tPvRmT1_PNSt15iterator_traitsISK_E10value_typeET2_T3_PNSL_ISQ_E10value_typeET4_jRbjT5_SW_jjP12ihipStream_tbEUlT_E_NS1_11comp_targetILNS1_3genE3ELNS1_11target_archE908ELNS1_3gpuE7ELNS1_3repE0EEENS1_30default_config_static_selectorELNS0_4arch9wavefront6targetE1EEEvSK_,"axG",@progbits,_ZN7rocprim17ROCPRIM_400000_NS6detail17trampoline_kernelINS0_14default_configENS1_36segmented_radix_sort_config_selectorIflEEZNS1_25segmented_radix_sort_implIS3_Lb0EPKfPfPKlPlN2at6native12_GLOBAL__N_18offset_tEEE10hipError_tPvRmT1_PNSt15iterator_traitsISK_E10value_typeET2_T3_PNSL_ISQ_E10value_typeET4_jRbjT5_SW_jjP12ihipStream_tbEUlT_E_NS1_11comp_targetILNS1_3genE3ELNS1_11target_archE908ELNS1_3gpuE7ELNS1_3repE0EEENS1_30default_config_static_selectorELNS0_4arch9wavefront6targetE1EEEvSK_,comdat
.Lfunc_end1431:
	.size	_ZN7rocprim17ROCPRIM_400000_NS6detail17trampoline_kernelINS0_14default_configENS1_36segmented_radix_sort_config_selectorIflEEZNS1_25segmented_radix_sort_implIS3_Lb0EPKfPfPKlPlN2at6native12_GLOBAL__N_18offset_tEEE10hipError_tPvRmT1_PNSt15iterator_traitsISK_E10value_typeET2_T3_PNSL_ISQ_E10value_typeET4_jRbjT5_SW_jjP12ihipStream_tbEUlT_E_NS1_11comp_targetILNS1_3genE3ELNS1_11target_archE908ELNS1_3gpuE7ELNS1_3repE0EEENS1_30default_config_static_selectorELNS0_4arch9wavefront6targetE1EEEvSK_, .Lfunc_end1431-_ZN7rocprim17ROCPRIM_400000_NS6detail17trampoline_kernelINS0_14default_configENS1_36segmented_radix_sort_config_selectorIflEEZNS1_25segmented_radix_sort_implIS3_Lb0EPKfPfPKlPlN2at6native12_GLOBAL__N_18offset_tEEE10hipError_tPvRmT1_PNSt15iterator_traitsISK_E10value_typeET2_T3_PNSL_ISQ_E10value_typeET4_jRbjT5_SW_jjP12ihipStream_tbEUlT_E_NS1_11comp_targetILNS1_3genE3ELNS1_11target_archE908ELNS1_3gpuE7ELNS1_3repE0EEENS1_30default_config_static_selectorELNS0_4arch9wavefront6targetE1EEEvSK_
                                        ; -- End function
	.set _ZN7rocprim17ROCPRIM_400000_NS6detail17trampoline_kernelINS0_14default_configENS1_36segmented_radix_sort_config_selectorIflEEZNS1_25segmented_radix_sort_implIS3_Lb0EPKfPfPKlPlN2at6native12_GLOBAL__N_18offset_tEEE10hipError_tPvRmT1_PNSt15iterator_traitsISK_E10value_typeET2_T3_PNSL_ISQ_E10value_typeET4_jRbjT5_SW_jjP12ihipStream_tbEUlT_E_NS1_11comp_targetILNS1_3genE3ELNS1_11target_archE908ELNS1_3gpuE7ELNS1_3repE0EEENS1_30default_config_static_selectorELNS0_4arch9wavefront6targetE1EEEvSK_.num_vgpr, 0
	.set _ZN7rocprim17ROCPRIM_400000_NS6detail17trampoline_kernelINS0_14default_configENS1_36segmented_radix_sort_config_selectorIflEEZNS1_25segmented_radix_sort_implIS3_Lb0EPKfPfPKlPlN2at6native12_GLOBAL__N_18offset_tEEE10hipError_tPvRmT1_PNSt15iterator_traitsISK_E10value_typeET2_T3_PNSL_ISQ_E10value_typeET4_jRbjT5_SW_jjP12ihipStream_tbEUlT_E_NS1_11comp_targetILNS1_3genE3ELNS1_11target_archE908ELNS1_3gpuE7ELNS1_3repE0EEENS1_30default_config_static_selectorELNS0_4arch9wavefront6targetE1EEEvSK_.num_agpr, 0
	.set _ZN7rocprim17ROCPRIM_400000_NS6detail17trampoline_kernelINS0_14default_configENS1_36segmented_radix_sort_config_selectorIflEEZNS1_25segmented_radix_sort_implIS3_Lb0EPKfPfPKlPlN2at6native12_GLOBAL__N_18offset_tEEE10hipError_tPvRmT1_PNSt15iterator_traitsISK_E10value_typeET2_T3_PNSL_ISQ_E10value_typeET4_jRbjT5_SW_jjP12ihipStream_tbEUlT_E_NS1_11comp_targetILNS1_3genE3ELNS1_11target_archE908ELNS1_3gpuE7ELNS1_3repE0EEENS1_30default_config_static_selectorELNS0_4arch9wavefront6targetE1EEEvSK_.numbered_sgpr, 0
	.set _ZN7rocprim17ROCPRIM_400000_NS6detail17trampoline_kernelINS0_14default_configENS1_36segmented_radix_sort_config_selectorIflEEZNS1_25segmented_radix_sort_implIS3_Lb0EPKfPfPKlPlN2at6native12_GLOBAL__N_18offset_tEEE10hipError_tPvRmT1_PNSt15iterator_traitsISK_E10value_typeET2_T3_PNSL_ISQ_E10value_typeET4_jRbjT5_SW_jjP12ihipStream_tbEUlT_E_NS1_11comp_targetILNS1_3genE3ELNS1_11target_archE908ELNS1_3gpuE7ELNS1_3repE0EEENS1_30default_config_static_selectorELNS0_4arch9wavefront6targetE1EEEvSK_.num_named_barrier, 0
	.set _ZN7rocprim17ROCPRIM_400000_NS6detail17trampoline_kernelINS0_14default_configENS1_36segmented_radix_sort_config_selectorIflEEZNS1_25segmented_radix_sort_implIS3_Lb0EPKfPfPKlPlN2at6native12_GLOBAL__N_18offset_tEEE10hipError_tPvRmT1_PNSt15iterator_traitsISK_E10value_typeET2_T3_PNSL_ISQ_E10value_typeET4_jRbjT5_SW_jjP12ihipStream_tbEUlT_E_NS1_11comp_targetILNS1_3genE3ELNS1_11target_archE908ELNS1_3gpuE7ELNS1_3repE0EEENS1_30default_config_static_selectorELNS0_4arch9wavefront6targetE1EEEvSK_.private_seg_size, 0
	.set _ZN7rocprim17ROCPRIM_400000_NS6detail17trampoline_kernelINS0_14default_configENS1_36segmented_radix_sort_config_selectorIflEEZNS1_25segmented_radix_sort_implIS3_Lb0EPKfPfPKlPlN2at6native12_GLOBAL__N_18offset_tEEE10hipError_tPvRmT1_PNSt15iterator_traitsISK_E10value_typeET2_T3_PNSL_ISQ_E10value_typeET4_jRbjT5_SW_jjP12ihipStream_tbEUlT_E_NS1_11comp_targetILNS1_3genE3ELNS1_11target_archE908ELNS1_3gpuE7ELNS1_3repE0EEENS1_30default_config_static_selectorELNS0_4arch9wavefront6targetE1EEEvSK_.uses_vcc, 0
	.set _ZN7rocprim17ROCPRIM_400000_NS6detail17trampoline_kernelINS0_14default_configENS1_36segmented_radix_sort_config_selectorIflEEZNS1_25segmented_radix_sort_implIS3_Lb0EPKfPfPKlPlN2at6native12_GLOBAL__N_18offset_tEEE10hipError_tPvRmT1_PNSt15iterator_traitsISK_E10value_typeET2_T3_PNSL_ISQ_E10value_typeET4_jRbjT5_SW_jjP12ihipStream_tbEUlT_E_NS1_11comp_targetILNS1_3genE3ELNS1_11target_archE908ELNS1_3gpuE7ELNS1_3repE0EEENS1_30default_config_static_selectorELNS0_4arch9wavefront6targetE1EEEvSK_.uses_flat_scratch, 0
	.set _ZN7rocprim17ROCPRIM_400000_NS6detail17trampoline_kernelINS0_14default_configENS1_36segmented_radix_sort_config_selectorIflEEZNS1_25segmented_radix_sort_implIS3_Lb0EPKfPfPKlPlN2at6native12_GLOBAL__N_18offset_tEEE10hipError_tPvRmT1_PNSt15iterator_traitsISK_E10value_typeET2_T3_PNSL_ISQ_E10value_typeET4_jRbjT5_SW_jjP12ihipStream_tbEUlT_E_NS1_11comp_targetILNS1_3genE3ELNS1_11target_archE908ELNS1_3gpuE7ELNS1_3repE0EEENS1_30default_config_static_selectorELNS0_4arch9wavefront6targetE1EEEvSK_.has_dyn_sized_stack, 0
	.set _ZN7rocprim17ROCPRIM_400000_NS6detail17trampoline_kernelINS0_14default_configENS1_36segmented_radix_sort_config_selectorIflEEZNS1_25segmented_radix_sort_implIS3_Lb0EPKfPfPKlPlN2at6native12_GLOBAL__N_18offset_tEEE10hipError_tPvRmT1_PNSt15iterator_traitsISK_E10value_typeET2_T3_PNSL_ISQ_E10value_typeET4_jRbjT5_SW_jjP12ihipStream_tbEUlT_E_NS1_11comp_targetILNS1_3genE3ELNS1_11target_archE908ELNS1_3gpuE7ELNS1_3repE0EEENS1_30default_config_static_selectorELNS0_4arch9wavefront6targetE1EEEvSK_.has_recursion, 0
	.set _ZN7rocprim17ROCPRIM_400000_NS6detail17trampoline_kernelINS0_14default_configENS1_36segmented_radix_sort_config_selectorIflEEZNS1_25segmented_radix_sort_implIS3_Lb0EPKfPfPKlPlN2at6native12_GLOBAL__N_18offset_tEEE10hipError_tPvRmT1_PNSt15iterator_traitsISK_E10value_typeET2_T3_PNSL_ISQ_E10value_typeET4_jRbjT5_SW_jjP12ihipStream_tbEUlT_E_NS1_11comp_targetILNS1_3genE3ELNS1_11target_archE908ELNS1_3gpuE7ELNS1_3repE0EEENS1_30default_config_static_selectorELNS0_4arch9wavefront6targetE1EEEvSK_.has_indirect_call, 0
	.section	.AMDGPU.csdata,"",@progbits
; Kernel info:
; codeLenInByte = 0
; TotalNumSgprs: 4
; NumVgprs: 0
; ScratchSize: 0
; MemoryBound: 0
; FloatMode: 240
; IeeeMode: 1
; LDSByteSize: 0 bytes/workgroup (compile time only)
; SGPRBlocks: 0
; VGPRBlocks: 0
; NumSGPRsForWavesPerEU: 4
; NumVGPRsForWavesPerEU: 1
; Occupancy: 10
; WaveLimiterHint : 0
; COMPUTE_PGM_RSRC2:SCRATCH_EN: 0
; COMPUTE_PGM_RSRC2:USER_SGPR: 6
; COMPUTE_PGM_RSRC2:TRAP_HANDLER: 0
; COMPUTE_PGM_RSRC2:TGID_X_EN: 1
; COMPUTE_PGM_RSRC2:TGID_Y_EN: 0
; COMPUTE_PGM_RSRC2:TGID_Z_EN: 0
; COMPUTE_PGM_RSRC2:TIDIG_COMP_CNT: 0
	.text
	.p2align	2                               ; -- Begin function _ZN7rocprim17ROCPRIM_400000_NS6detail40segmented_radix_sort_single_block_helperIflLj256ELj8ELb0EE4sortIPKfPfPKlPlEEbT_T0_T1_T2_jjjjRNS3_12storage_typeE
	.type	_ZN7rocprim17ROCPRIM_400000_NS6detail40segmented_radix_sort_single_block_helperIflLj256ELj8ELb0EE4sortIPKfPfPKlPlEEbT_T0_T1_T2_jjjjRNS3_12storage_typeE,@function
_ZN7rocprim17ROCPRIM_400000_NS6detail40segmented_radix_sort_single_block_helperIflLj256ELj8ELb0EE4sortIPKfPfPKlPlEEbT_T0_T1_T2_jjjjRNS3_12storage_typeE: ; @_ZN7rocprim17ROCPRIM_400000_NS6detail40segmented_radix_sort_single_block_helperIflLj256ELj8ELb0EE4sortIPKfPfPKlPlEEbT_T0_T1_T2_jjjjRNS3_12storage_typeE
; %bb.0:
	s_waitcnt vmcnt(0) expcnt(0) lgkmcnt(0)
	v_sub_u32_e32 v86, v9, v8
	s_movk_i32 s4, 0x801
	v_cmp_gt_u32_e32 vcc, s4, v86
	s_and_saveexec_b64 s[46:47], vcc
	s_cbranch_execz .LBB1432_199
; %bb.1:
	s_movk_i32 s4, 0x400
	v_cmp_lt_u32_e32 vcc, s4, v86
	v_bfe_u32 v20, v31, 10, 10
	v_bfe_u32 v22, v31, 20, 10
	v_mbcnt_lo_u32_b32 v18, -1, 0
	s_and_saveexec_b64 s[4:5], vcc
	s_xor_b64 s[56:57], exec, s[4:5]
	s_cbranch_execz .LBB1432_79
; %bb.2:
	s_load_dwordx2 s[4:5], s[8:9], 0x0
	v_mov_b32_e32 v9, 0
	v_lshlrev_b64 v[26:27], 2, v[8:9]
	v_and_b32_e32 v21, 0x3ff, v31
	v_add_co_u32_e32 v31, vcc, v0, v26
	s_waitcnt lgkmcnt(0)
	s_cmp_lt_u32 s13, s5
	s_cselect_b32 s5, 14, 20
	s_add_u32 s6, s8, s5
	s_addc_u32 s7, s9, 0
	s_cmp_lt_u32 s12, s4
	s_cselect_b32 s4, 12, 18
	s_add_u32 s4, s8, s4
	global_load_ushort v24, v9, s[6:7]
	s_addc_u32 s5, s9, 0
	global_load_ushort v25, v9, s[4:5]
	v_addc_co_u32_e32 v32, vcc, v1, v27, vcc
	v_mbcnt_hi_u32_b32 v28, -1, v18
	v_and_b32_e32 v29, 63, v28
	v_mov_b32_e32 v23, v9
	v_lshlrev_b32_e32 v30, 2, v29
	v_bfrev_b32_e32 v13, -2
	v_mov_b32_e32 v14, v13
	v_mov_b32_e32 v15, v13
	;; [unrolled: 1-line block ×6, first 2 shown]
	s_waitcnt vmcnt(1)
	v_mad_u32_u24 v0, v22, v24, v20
	v_add_co_u32_e32 v20, vcc, v31, v30
	s_waitcnt vmcnt(0)
	v_mad_u64_u32 v[0:1], s[4:5], v0, v25, v[21:22]
	v_addc_co_u32_e32 v30, vcc, 0, v32, vcc
	v_lshlrev_b32_e32 v1, 3, v0
	v_and_b32_e32 v22, 0xfffffe00, v1
	v_lshlrev_b64 v[24:25], 2, v[22:23]
	v_or_b32_e32 v1, v22, v29
	v_add_co_u32_e64 v24, s[4:5], v20, v24
	v_cmp_lt_u32_e32 vcc, v1, v86
	v_addc_co_u32_e64 v25, s[4:5], v30, v25, s[4:5]
	v_mov_b32_e32 v20, v13
	s_and_saveexec_b64 s[4:5], vcc
	s_cbranch_execz .LBB1432_4
; %bb.3:
	flat_load_dword v30, v[24:25]
	v_mov_b32_e32 v31, v13
	v_mov_b32_e32 v32, v13
	;; [unrolled: 1-line block ×7, first 2 shown]
	s_waitcnt vmcnt(0) lgkmcnt(0)
	v_mov_b32_e32 v13, v30
	v_mov_b32_e32 v14, v31
	;; [unrolled: 1-line block ×8, first 2 shown]
.LBB1432_4:
	s_or_b64 exec, exec, s[4:5]
	v_or_b32_e32 v30, 64, v1
	v_cmp_lt_u32_e64 s[4:5], v30, v86
	s_and_saveexec_b64 s[6:7], s[4:5]
	s_cbranch_execz .LBB1432_6
; %bb.5:
	flat_load_dword v14, v[24:25] offset:256
.LBB1432_6:
	s_or_b64 exec, exec, s[6:7]
	v_or_b32_e32 v30, 0x80, v1
	v_cmp_lt_u32_e64 s[6:7], v30, v86
	s_and_saveexec_b64 s[10:11], s[6:7]
	s_cbranch_execz .LBB1432_8
; %bb.7:
	flat_load_dword v15, v[24:25] offset:512
.LBB1432_8:
	;; [unrolled: 8-line block ×7, first 2 shown]
	s_or_b64 exec, exec, s[22:23]
	v_lshlrev_b64 v[24:25], 3, v[8:9]
                                        ; implicit-def: $vgpr32_vgpr33
	v_add_co_u32_e64 v1, s[22:23], v4, v24
	v_addc_co_u32_e64 v4, s[22:23], v5, v25, s[22:23]
	v_lshlrev_b32_e32 v5, 3, v29
	v_add_co_u32_e64 v1, s[22:23], v1, v5
	v_addc_co_u32_e64 v8, s[22:23], 0, v4, s[22:23]
	v_lshlrev_b64 v[4:5], 3, v[22:23]
	v_add_co_u32_e64 v4, s[22:23], v1, v4
	v_addc_co_u32_e64 v5, s[22:23], v8, v5, s[22:23]
	s_and_saveexec_b64 s[22:23], vcc
	s_cbranch_execnz .LBB1432_112
; %bb.19:
	s_or_b64 exec, exec, s[22:23]
                                        ; implicit-def: $vgpr34_vgpr35
	s_and_saveexec_b64 s[22:23], s[4:5]
	s_cbranch_execnz .LBB1432_113
.LBB1432_20:
	s_or_b64 exec, exec, s[22:23]
                                        ; implicit-def: $vgpr36_vgpr37
	s_and_saveexec_b64 s[4:5], s[6:7]
	s_cbranch_execnz .LBB1432_114
.LBB1432_21:
	s_or_b64 exec, exec, s[4:5]
                                        ; implicit-def: $vgpr38_vgpr39
	s_and_saveexec_b64 s[4:5], s[10:11]
	s_cbranch_execnz .LBB1432_115
.LBB1432_22:
	s_or_b64 exec, exec, s[4:5]
                                        ; implicit-def: $vgpr48_vgpr49
	s_and_saveexec_b64 s[4:5], s[20:21]
	s_cbranch_execnz .LBB1432_116
.LBB1432_23:
	s_or_b64 exec, exec, s[4:5]
                                        ; implicit-def: $vgpr50_vgpr51
	s_and_saveexec_b64 s[4:5], s[14:15]
	s_cbranch_execnz .LBB1432_117
.LBB1432_24:
	s_or_b64 exec, exec, s[4:5]
                                        ; implicit-def: $vgpr52_vgpr53
	s_and_saveexec_b64 s[4:5], s[16:17]
	s_cbranch_execnz .LBB1432_118
.LBB1432_25:
	s_or_b64 exec, exec, s[4:5]
                                        ; implicit-def: $vgpr80_vgpr81
	s_and_saveexec_b64 s[4:5], s[18:19]
	s_cbranch_execz .LBB1432_27
.LBB1432_26:
	flat_load_dwordx2 v[80:81], v[4:5] offset:3584
.LBB1432_27:
	s_or_b64 exec, exec, s[4:5]
	v_bfrev_b32_e32 v1, 1
	v_cmp_lt_i32_e32 vcc, -1, v13
	v_cndmask_b32_e32 v4, -1, v1, vcc
	s_waitcnt vmcnt(0) lgkmcnt(0)
	v_cmp_lt_i32_e32 vcc, -1, v14
	v_xor_b32_e32 v55, v4, v13
	v_cndmask_b32_e32 v4, -1, v1, vcc
	v_cmp_lt_i32_e32 vcc, -1, v15
	v_xor_b32_e32 v65, v4, v14
	v_cndmask_b32_e32 v4, -1, v1, vcc
	;; [unrolled: 3-line block ×5, first 2 shown]
	v_cmp_lt_i32_e32 vcc, -1, v19
	v_lshl_add_u32 v8, v21, 4, v12
	v_xor_b32_e32 v83, v4, v18
	v_cndmask_b32_e32 v4, -1, v1, vcc
	v_cmp_lt_i32_e32 vcc, -1, v20
	s_getpc_b64 s[4:5]
	s_add_u32 s4, s4, _ZN7rocprim17ROCPRIM_400000_NS16block_radix_sortIfLj256ELj8ElLj1ELj1ELj8ELNS0_26block_radix_rank_algorithmE2ELNS0_18block_padding_hintE2ELNS0_4arch9wavefront6targetE1EE19radix_bits_per_passE@rel32@lo+4
	s_addc_u32 s5, s5, _ZN7rocprim17ROCPRIM_400000_NS16block_radix_sortIfLj256ELj8ElLj1ELj1ELj8ELNS0_26block_radix_rank_algorithmE2ELNS0_18block_padding_hintE2ELNS0_4arch9wavefront6targetE1EE19radix_bits_per_passE@rel32@hi+12
	v_add_u32_e32 v87, 16, v8
	v_add_u32_e32 v96, 20, v8
	;; [unrolled: 1-line block ×4, first 2 shown]
	v_and_b32_e32 v8, 15, v28
	v_xor_b32_e32 v85, v4, v19
	v_cndmask_b32_e32 v4, -1, v1, vcc
	s_load_dword s62, s[4:5], 0x0
	v_cmp_eq_u32_e32 vcc, 0, v8
	v_cmp_lt_u32_e64 s[4:5], 1, v8
	v_cmp_lt_u32_e64 s[6:7], 3, v8
	;; [unrolled: 1-line block ×3, first 2 shown]
	v_and_b32_e32 v8, 16, v28
	v_cmp_eq_u32_e64 s[40:41], 0, v8
	v_and_b32_e32 v8, 0x3c0, v21
	v_min_u32_e32 v8, 0xc0, v8
	v_xor_b32_e32 v161, v4, v20
	v_lshlrev_b32_e32 v4, 2, v21
	v_or_b32_e32 v8, 63, v8
	v_cmp_eq_u32_e64 s[16:17], v21, v8
	v_subrev_co_u32_e64 v8, s[22:23], 1, v28
	v_and_b32_e32 v9, 64, v28
	v_add_co_u32_e64 v100, s[26:27], v12, v4
	v_and_b32_e32 v4, 3, v28
	v_cmp_lt_i32_e64 s[24:25], v8, v9
	v_cmp_eq_u32_e64 s[26:27], 0, v4
	v_cmp_lt_u32_e64 s[28:29], 1, v4
	v_lshlrev_b32_e32 v4, 3, v21
	s_movk_i32 s42, 0x1e00
	v_cndmask_b32_e64 v8, v8, v28, s[24:25]
	v_and_or_b32 v4, v4, s42, v29
	v_lshlrev_b32_e32 v101, 2, v8
	v_lshrrev_b32_e32 v8, 4, v21
	v_lshlrev_b32_e32 v4, 2, v4
	v_and_b32_e32 v8, 60, v8
	v_add_u32_e32 v112, v12, v4
	v_add_u32_e32 v102, v12, v8
	v_add_u32_e32 v128, v112, v4
	v_mov_b32_e32 v5, 0
	v_lshrrev_b32_e32 v99, 6, v0
	v_cmp_lt_u32_e64 s[14:15], 31, v28
	v_cmp_gt_u32_e64 s[18:19], 4, v21
	v_cmp_lt_u32_e64 s[20:21], 63, v21
	v_cmp_eq_u32_e64 s[24:25], 0, v21
	v_add_u32_e32 v103, -4, v102
	v_add_u32_e32 v113, 0x100, v112
	v_add_u32_e32 v114, 0x200, v112
	;; [unrolled: 1-line block ×14, first 2 shown]
	v_sub_u32_e32 v144, v11, v10
	s_mov_b64 s[58:59], 0
	s_brev_b32 s63, -2
	s_waitcnt lgkmcnt(0)
	s_barrier
	s_branch .LBB1432_29
.LBB1432_28:                            ;   in Loop: Header=BB1432_29 Depth=1
	s_or_b64 exec, exec, s[44:45]
	s_and_b64 s[42:43], exec, s[60:61]
	s_or_b64 s[58:59], s[42:43], s[58:59]
	s_andn2_b64 exec, exec, s[58:59]
	s_cbranch_execz .LBB1432_53
.LBB1432_29:                            ; =>This Inner Loop Header: Depth=1
	v_mov_b32_e32 v160, v55
	v_min_u32_e32 v4, s62, v144
	v_mov_b32_e32 v22, v36
	v_lshlrev_b32_e64 v4, v4, -1
	v_cmp_ne_u32_e64 s[42:43], s63, v160
	v_mov_b32_e32 v23, v37
	v_not_b32_e32 v37, v4
	v_cndmask_b32_e64 v4, v1, v160, s[42:43]
	v_mov_b32_e32 v28, v34
	v_lshrrev_b32_e32 v4, v10, v4
	v_mov_b32_e32 v29, v35
	v_and_b32_e32 v34, v4, v37
	v_mov_b32_e32 v30, v32
	v_lshl_add_u32 v4, v34, 2, v99
	v_mov_b32_e32 v31, v33
	v_lshlrev_b64 v[32:33], 2, v[4:5]
	v_mov_b32_e32 v19, v38
	v_add_co_u32_e64 v4, s[42:43], v12, v32
	v_add_co_u32_e64 v4, s[42:43], 16, v4
	v_and_b32_e32 v32, 1, v34
	v_add_co_u32_e64 v33, s[42:43], -1, v32
	v_addc_co_u32_e64 v35, s[42:43], 0, -1, s[42:43]
	v_cmp_ne_u32_e64 s[42:43], 0, v32
	v_xor_b32_e32 v32, s43, v35
	v_xor_b32_e32 v33, s42, v33
	v_and_b32_e32 v35, exec_hi, v32
	v_and_b32_e32 v36, exec_lo, v33
	v_lshlrev_b32_e32 v33, 30, v34
	v_mov_b32_e32 v32, v5
	v_cmp_gt_i64_e64 s[42:43], 0, v[32:33]
	v_not_b32_e32 v32, v33
	v_ashrrev_i32_e32 v32, 31, v32
	v_xor_b32_e32 v33, s43, v32
	v_xor_b32_e32 v32, s42, v32
	v_and_b32_e32 v35, v35, v33
	v_and_b32_e32 v36, v36, v32
	v_lshlrev_b32_e32 v33, 29, v34
	v_mov_b32_e32 v32, v5
	v_cmp_gt_i64_e64 s[42:43], 0, v[32:33]
	v_not_b32_e32 v32, v33
	v_ashrrev_i32_e32 v32, 31, v32
	v_xor_b32_e32 v33, s43, v32
	v_xor_b32_e32 v32, s42, v32
	v_and_b32_e32 v35, v35, v33
	v_and_b32_e32 v36, v36, v32
	v_lshlrev_b32_e32 v33, 28, v34
	v_mov_b32_e32 v32, v5
	v_cmp_gt_i64_e64 s[42:43], 0, v[32:33]
	v_not_b32_e32 v32, v33
	v_ashrrev_i32_e32 v32, 31, v32
	v_xor_b32_e32 v33, s43, v32
	v_xor_b32_e32 v32, s42, v32
	v_and_b32_e32 v35, v35, v33
	v_and_b32_e32 v36, v36, v32
	v_lshlrev_b32_e32 v33, 27, v34
	v_mov_b32_e32 v32, v5
	v_cmp_gt_i64_e64 s[42:43], 0, v[32:33]
	v_not_b32_e32 v32, v33
	v_ashrrev_i32_e32 v32, 31, v32
	v_xor_b32_e32 v33, s43, v32
	v_xor_b32_e32 v32, s42, v32
	v_and_b32_e32 v35, v35, v33
	v_and_b32_e32 v36, v36, v32
	v_lshlrev_b32_e32 v33, 26, v34
	v_mov_b32_e32 v32, v5
	v_cmp_gt_i64_e64 s[42:43], 0, v[32:33]
	v_not_b32_e32 v32, v33
	v_ashrrev_i32_e32 v32, 31, v32
	v_xor_b32_e32 v33, s43, v32
	v_xor_b32_e32 v32, s42, v32
	v_and_b32_e32 v35, v35, v33
	v_and_b32_e32 v36, v36, v32
	v_lshlrev_b32_e32 v33, 25, v34
	v_mov_b32_e32 v32, v5
	v_cmp_gt_i64_e64 s[42:43], 0, v[32:33]
	v_not_b32_e32 v32, v33
	v_ashrrev_i32_e32 v32, 31, v32
	v_xor_b32_e32 v33, s43, v32
	v_xor_b32_e32 v32, s42, v32
	v_and_b32_e32 v35, v35, v33
	v_and_b32_e32 v36, v36, v32
	v_lshlrev_b32_e32 v33, 24, v34
	v_mov_b32_e32 v32, v5
	v_cmp_gt_i64_e64 s[42:43], 0, v[32:33]
	v_not_b32_e32 v32, v33
	v_ashrrev_i32_e32 v32, 31, v32
	v_xor_b32_e32 v33, s43, v32
	v_xor_b32_e32 v32, s42, v32
	v_and_b32_e32 v32, v36, v32
	v_and_b32_e32 v33, v35, v33
	v_mbcnt_lo_u32_b32 v34, v32, 0
	v_mbcnt_hi_u32_b32 v34, v33, v34
	v_cmp_ne_u64_e64 s[42:43], 0, v[32:33]
	v_mov_b32_e32 v17, v48
	v_mov_b32_e32 v15, v50
	v_mov_b32_e32 v13, v52
	v_mov_b32_e32 v8, v80
	v_cmp_eq_u32_e64 s[44:45], 0, v34
	v_mov_b32_e32 v145, v161
	v_mov_b32_e32 v146, v85
	;; [unrolled: 1-line block ×12, first 2 shown]
	s_and_b64 s[44:45], s[42:43], s[44:45]
	ds_write_b32 v87, v5
	ds_write_b32 v96, v5
	ds_write_b32 v97, v5
	ds_write_b32 v98, v5
	s_waitcnt lgkmcnt(0)
	s_barrier
	; wave barrier
	s_and_saveexec_b64 s[42:43], s[44:45]
; %bb.30:                               ;   in Loop: Header=BB1432_29 Depth=1
	v_bcnt_u32_b32 v32, v32, 0
	v_bcnt_u32_b32 v32, v33, v32
	ds_write_b32 v4, v32
; %bb.31:                               ;   in Loop: Header=BB1432_29 Depth=1
	s_or_b64 exec, exec, s[42:43]
	v_cmp_ne_u32_e64 s[42:43], s63, v151
	v_cndmask_b32_e64 v32, v1, v151, s[42:43]
	v_lshrrev_b32_e32 v32, v10, v32
	v_and_b32_e32 v38, v32, v37
	v_lshl_add_u32 v32, v38, 2, v99
	v_lshl_add_u32 v32, v32, 2, v12
	; wave barrier
	v_add_u32_e32 v36, 16, v32
	ds_read_b32 v35, v32 offset:16
	v_and_b32_e32 v32, 1, v38
	v_add_co_u32_e64 v33, s[42:43], -1, v32
	v_addc_co_u32_e64 v39, s[42:43], 0, -1, s[42:43]
	v_cmp_ne_u32_e64 s[42:43], 0, v32
	v_xor_b32_e32 v32, s43, v39
	v_xor_b32_e32 v33, s42, v33
	v_and_b32_e32 v39, exec_hi, v32
	v_and_b32_e32 v48, exec_lo, v33
	v_lshlrev_b32_e32 v33, 30, v38
	v_mov_b32_e32 v32, v5
	v_cmp_gt_i64_e64 s[42:43], 0, v[32:33]
	v_not_b32_e32 v32, v33
	v_ashrrev_i32_e32 v32, 31, v32
	v_xor_b32_e32 v33, s43, v32
	v_xor_b32_e32 v32, s42, v32
	v_and_b32_e32 v39, v39, v33
	v_and_b32_e32 v48, v48, v32
	v_lshlrev_b32_e32 v33, 29, v38
	v_mov_b32_e32 v32, v5
	v_cmp_gt_i64_e64 s[42:43], 0, v[32:33]
	v_not_b32_e32 v32, v33
	v_ashrrev_i32_e32 v32, 31, v32
	v_xor_b32_e32 v33, s43, v32
	v_xor_b32_e32 v32, s42, v32
	v_and_b32_e32 v39, v39, v33
	v_and_b32_e32 v48, v48, v32
	;; [unrolled: 9-line block ×7, first 2 shown]
	v_mbcnt_lo_u32_b32 v38, v32, 0
	v_mbcnt_hi_u32_b32 v38, v33, v38
	v_cmp_ne_u64_e64 s[42:43], 0, v[32:33]
	v_cmp_eq_u32_e64 s[44:45], 0, v38
	s_and_b64 s[44:45], s[42:43], s[44:45]
	; wave barrier
	s_and_saveexec_b64 s[42:43], s[44:45]
	s_cbranch_execz .LBB1432_33
; %bb.32:                               ;   in Loop: Header=BB1432_29 Depth=1
	v_bcnt_u32_b32 v32, v32, 0
	v_bcnt_u32_b32 v32, v33, v32
	s_waitcnt lgkmcnt(0)
	v_add_u32_e32 v32, v35, v32
	ds_write_b32 v36, v32
.LBB1432_33:                            ;   in Loop: Header=BB1432_29 Depth=1
	s_or_b64 exec, exec, s[42:43]
	v_cmp_ne_u32_e64 s[42:43], s63, v150
	v_cndmask_b32_e64 v32, v1, v150, s[42:43]
	v_lshrrev_b32_e32 v32, v10, v32
	v_and_b32_e32 v49, v32, v37
	v_lshl_add_u32 v32, v49, 2, v99
	v_lshl_add_u32 v32, v32, 2, v12
	; wave barrier
	v_add_u32_e32 v48, 16, v32
	ds_read_b32 v39, v32 offset:16
	v_and_b32_e32 v32, 1, v49
	v_add_co_u32_e64 v33, s[42:43], -1, v32
	v_addc_co_u32_e64 v50, s[42:43], 0, -1, s[42:43]
	v_cmp_ne_u32_e64 s[42:43], 0, v32
	v_xor_b32_e32 v32, s43, v50
	v_xor_b32_e32 v33, s42, v33
	v_and_b32_e32 v50, exec_hi, v32
	v_and_b32_e32 v51, exec_lo, v33
	v_lshlrev_b32_e32 v33, 30, v49
	v_mov_b32_e32 v32, v5
	v_cmp_gt_i64_e64 s[42:43], 0, v[32:33]
	v_not_b32_e32 v32, v33
	v_ashrrev_i32_e32 v32, 31, v32
	v_xor_b32_e32 v33, s43, v32
	v_xor_b32_e32 v32, s42, v32
	v_and_b32_e32 v50, v50, v33
	v_and_b32_e32 v51, v51, v32
	v_lshlrev_b32_e32 v33, 29, v49
	v_mov_b32_e32 v32, v5
	v_cmp_gt_i64_e64 s[42:43], 0, v[32:33]
	v_not_b32_e32 v32, v33
	v_ashrrev_i32_e32 v32, 31, v32
	v_xor_b32_e32 v33, s43, v32
	v_xor_b32_e32 v32, s42, v32
	v_and_b32_e32 v50, v50, v33
	v_and_b32_e32 v51, v51, v32
	;; [unrolled: 9-line block ×7, first 2 shown]
	v_mbcnt_lo_u32_b32 v49, v32, 0
	v_mbcnt_hi_u32_b32 v49, v33, v49
	v_cmp_ne_u64_e64 s[42:43], 0, v[32:33]
	v_cmp_eq_u32_e64 s[44:45], 0, v49
	s_and_b64 s[44:45], s[42:43], s[44:45]
	; wave barrier
	s_and_saveexec_b64 s[42:43], s[44:45]
	s_cbranch_execz .LBB1432_35
; %bb.34:                               ;   in Loop: Header=BB1432_29 Depth=1
	v_bcnt_u32_b32 v32, v32, 0
	v_bcnt_u32_b32 v32, v33, v32
	s_waitcnt lgkmcnt(0)
	v_add_u32_e32 v32, v39, v32
	ds_write_b32 v48, v32
.LBB1432_35:                            ;   in Loop: Header=BB1432_29 Depth=1
	s_or_b64 exec, exec, s[42:43]
	v_cmp_ne_u32_e64 s[42:43], s63, v149
	v_cndmask_b32_e64 v32, v1, v149, s[42:43]
	v_lshrrev_b32_e32 v32, v10, v32
	v_and_b32_e32 v52, v32, v37
	v_lshl_add_u32 v32, v52, 2, v99
	v_lshl_add_u32 v32, v32, 2, v12
	; wave barrier
	v_add_u32_e32 v51, 16, v32
	ds_read_b32 v50, v32 offset:16
	v_and_b32_e32 v32, 1, v52
	v_add_co_u32_e64 v33, s[42:43], -1, v32
	v_addc_co_u32_e64 v53, s[42:43], 0, -1, s[42:43]
	v_cmp_ne_u32_e64 s[42:43], 0, v32
	v_xor_b32_e32 v32, s43, v53
	v_xor_b32_e32 v33, s42, v33
	v_and_b32_e32 v53, exec_hi, v32
	v_and_b32_e32 v54, exec_lo, v33
	v_lshlrev_b32_e32 v33, 30, v52
	v_mov_b32_e32 v32, v5
	v_cmp_gt_i64_e64 s[42:43], 0, v[32:33]
	v_not_b32_e32 v32, v33
	v_ashrrev_i32_e32 v32, 31, v32
	v_xor_b32_e32 v33, s43, v32
	v_xor_b32_e32 v32, s42, v32
	v_and_b32_e32 v53, v53, v33
	v_and_b32_e32 v54, v54, v32
	v_lshlrev_b32_e32 v33, 29, v52
	v_mov_b32_e32 v32, v5
	v_cmp_gt_i64_e64 s[42:43], 0, v[32:33]
	v_not_b32_e32 v32, v33
	v_ashrrev_i32_e32 v32, 31, v32
	v_xor_b32_e32 v33, s43, v32
	v_xor_b32_e32 v32, s42, v32
	v_and_b32_e32 v53, v53, v33
	v_and_b32_e32 v54, v54, v32
	;; [unrolled: 9-line block ×7, first 2 shown]
	v_mbcnt_lo_u32_b32 v52, v32, 0
	v_mbcnt_hi_u32_b32 v52, v33, v52
	v_cmp_ne_u64_e64 s[42:43], 0, v[32:33]
	v_cmp_eq_u32_e64 s[44:45], 0, v52
	s_and_b64 s[44:45], s[42:43], s[44:45]
	; wave barrier
	s_and_saveexec_b64 s[42:43], s[44:45]
	s_cbranch_execz .LBB1432_37
; %bb.36:                               ;   in Loop: Header=BB1432_29 Depth=1
	v_bcnt_u32_b32 v32, v32, 0
	v_bcnt_u32_b32 v32, v33, v32
	s_waitcnt lgkmcnt(0)
	v_add_u32_e32 v32, v50, v32
	ds_write_b32 v51, v32
.LBB1432_37:                            ;   in Loop: Header=BB1432_29 Depth=1
	s_or_b64 exec, exec, s[42:43]
	v_cmp_ne_u32_e64 s[42:43], s63, v148
	v_cndmask_b32_e64 v32, v1, v148, s[42:43]
	v_lshrrev_b32_e32 v32, v10, v32
	v_and_b32_e32 v54, v32, v37
	v_lshl_add_u32 v32, v54, 2, v99
	v_lshl_add_u32 v32, v32, 2, v12
	; wave barrier
	v_add_u32_e32 v55, 16, v32
	ds_read_b32 v53, v32 offset:16
	v_and_b32_e32 v32, 1, v54
	v_add_co_u32_e64 v33, s[42:43], -1, v32
	v_addc_co_u32_e64 v64, s[42:43], 0, -1, s[42:43]
	v_cmp_ne_u32_e64 s[42:43], 0, v32
	v_xor_b32_e32 v32, s43, v64
	v_xor_b32_e32 v33, s42, v33
	v_and_b32_e32 v64, exec_hi, v32
	v_and_b32_e32 v65, exec_lo, v33
	v_lshlrev_b32_e32 v33, 30, v54
	v_mov_b32_e32 v32, v5
	v_cmp_gt_i64_e64 s[42:43], 0, v[32:33]
	v_not_b32_e32 v32, v33
	v_ashrrev_i32_e32 v32, 31, v32
	v_xor_b32_e32 v33, s43, v32
	v_xor_b32_e32 v32, s42, v32
	v_and_b32_e32 v64, v64, v33
	v_and_b32_e32 v65, v65, v32
	v_lshlrev_b32_e32 v33, 29, v54
	v_mov_b32_e32 v32, v5
	v_cmp_gt_i64_e64 s[42:43], 0, v[32:33]
	v_not_b32_e32 v32, v33
	v_ashrrev_i32_e32 v32, 31, v32
	v_xor_b32_e32 v33, s43, v32
	v_xor_b32_e32 v32, s42, v32
	v_and_b32_e32 v64, v64, v33
	v_and_b32_e32 v65, v65, v32
	;; [unrolled: 9-line block ×7, first 2 shown]
	v_mbcnt_lo_u32_b32 v54, v32, 0
	v_mbcnt_hi_u32_b32 v65, v33, v54
	v_cmp_ne_u64_e64 s[42:43], 0, v[32:33]
	v_cmp_eq_u32_e64 s[44:45], 0, v65
	s_and_b64 s[44:45], s[42:43], s[44:45]
	; wave barrier
	s_and_saveexec_b64 s[42:43], s[44:45]
	s_cbranch_execz .LBB1432_39
; %bb.38:                               ;   in Loop: Header=BB1432_29 Depth=1
	v_bcnt_u32_b32 v32, v32, 0
	v_bcnt_u32_b32 v32, v33, v32
	s_waitcnt lgkmcnt(0)
	v_add_u32_e32 v32, v53, v32
	ds_write_b32 v55, v32
.LBB1432_39:                            ;   in Loop: Header=BB1432_29 Depth=1
	s_or_b64 exec, exec, s[42:43]
	v_cmp_ne_u32_e64 s[42:43], s63, v147
	v_cndmask_b32_e64 v32, v1, v147, s[42:43]
	v_lshrrev_b32_e32 v32, v10, v32
	v_and_b32_e32 v54, v32, v37
	v_lshl_add_u32 v32, v54, 2, v99
	v_lshl_add_u32 v32, v32, 2, v12
	; wave barrier
	v_add_u32_e32 v67, 16, v32
	ds_read_b32 v66, v32 offset:16
	v_and_b32_e32 v32, 1, v54
	v_add_co_u32_e64 v33, s[42:43], -1, v32
	v_addc_co_u32_e64 v64, s[42:43], 0, -1, s[42:43]
	v_cmp_ne_u32_e64 s[42:43], 0, v32
	v_xor_b32_e32 v32, s43, v64
	v_xor_b32_e32 v33, s42, v33
	v_and_b32_e32 v64, exec_hi, v32
	v_and_b32_e32 v68, exec_lo, v33
	v_lshlrev_b32_e32 v33, 30, v54
	v_mov_b32_e32 v32, v5
	v_cmp_gt_i64_e64 s[42:43], 0, v[32:33]
	v_not_b32_e32 v32, v33
	v_ashrrev_i32_e32 v32, 31, v32
	v_xor_b32_e32 v33, s43, v32
	v_xor_b32_e32 v32, s42, v32
	v_and_b32_e32 v64, v64, v33
	v_and_b32_e32 v68, v68, v32
	v_lshlrev_b32_e32 v33, 29, v54
	v_mov_b32_e32 v32, v5
	v_cmp_gt_i64_e64 s[42:43], 0, v[32:33]
	v_not_b32_e32 v32, v33
	v_ashrrev_i32_e32 v32, 31, v32
	v_xor_b32_e32 v33, s43, v32
	v_xor_b32_e32 v32, s42, v32
	v_and_b32_e32 v64, v64, v33
	v_and_b32_e32 v68, v68, v32
	;; [unrolled: 9-line block ×7, first 2 shown]
	v_mbcnt_lo_u32_b32 v54, v32, 0
	v_mbcnt_hi_u32_b32 v68, v33, v54
	v_cmp_ne_u64_e64 s[42:43], 0, v[32:33]
	v_cmp_eq_u32_e64 s[44:45], 0, v68
	s_and_b64 s[44:45], s[42:43], s[44:45]
	; wave barrier
	s_and_saveexec_b64 s[42:43], s[44:45]
	s_cbranch_execz .LBB1432_41
; %bb.40:                               ;   in Loop: Header=BB1432_29 Depth=1
	v_bcnt_u32_b32 v32, v32, 0
	v_bcnt_u32_b32 v32, v33, v32
	s_waitcnt lgkmcnt(0)
	v_add_u32_e32 v32, v66, v32
	ds_write_b32 v67, v32
.LBB1432_41:                            ;   in Loop: Header=BB1432_29 Depth=1
	s_or_b64 exec, exec, s[42:43]
	v_cmp_ne_u32_e64 s[42:43], s63, v146
	v_cndmask_b32_e64 v32, v1, v146, s[42:43]
	v_lshrrev_b32_e32 v32, v10, v32
	v_and_b32_e32 v54, v32, v37
	v_lshl_add_u32 v32, v54, 2, v99
	v_lshl_add_u32 v32, v32, 2, v12
	; wave barrier
	v_add_u32_e32 v70, 16, v32
	ds_read_b32 v69, v32 offset:16
	v_and_b32_e32 v32, 1, v54
	v_add_co_u32_e64 v33, s[42:43], -1, v32
	v_addc_co_u32_e64 v64, s[42:43], 0, -1, s[42:43]
	v_cmp_ne_u32_e64 s[42:43], 0, v32
	v_xor_b32_e32 v32, s43, v64
	v_xor_b32_e32 v33, s42, v33
	v_and_b32_e32 v64, exec_hi, v32
	v_and_b32_e32 v71, exec_lo, v33
	v_lshlrev_b32_e32 v33, 30, v54
	v_mov_b32_e32 v32, v5
	v_cmp_gt_i64_e64 s[42:43], 0, v[32:33]
	v_not_b32_e32 v32, v33
	v_ashrrev_i32_e32 v32, 31, v32
	v_xor_b32_e32 v33, s43, v32
	v_xor_b32_e32 v32, s42, v32
	v_and_b32_e32 v64, v64, v33
	v_and_b32_e32 v71, v71, v32
	v_lshlrev_b32_e32 v33, 29, v54
	v_mov_b32_e32 v32, v5
	v_cmp_gt_i64_e64 s[42:43], 0, v[32:33]
	v_not_b32_e32 v32, v33
	v_ashrrev_i32_e32 v32, 31, v32
	v_xor_b32_e32 v33, s43, v32
	v_xor_b32_e32 v32, s42, v32
	v_and_b32_e32 v64, v64, v33
	v_and_b32_e32 v71, v71, v32
	;; [unrolled: 9-line block ×7, first 2 shown]
	v_mbcnt_lo_u32_b32 v54, v32, 0
	v_mbcnt_hi_u32_b32 v71, v33, v54
	v_cmp_ne_u64_e64 s[42:43], 0, v[32:33]
	v_cmp_eq_u32_e64 s[44:45], 0, v71
	s_and_b64 s[44:45], s[42:43], s[44:45]
	; wave barrier
	s_and_saveexec_b64 s[42:43], s[44:45]
	s_cbranch_execz .LBB1432_43
; %bb.42:                               ;   in Loop: Header=BB1432_29 Depth=1
	v_bcnt_u32_b32 v32, v32, 0
	v_bcnt_u32_b32 v32, v33, v32
	s_waitcnt lgkmcnt(0)
	v_add_u32_e32 v32, v69, v32
	ds_write_b32 v70, v32
.LBB1432_43:                            ;   in Loop: Header=BB1432_29 Depth=1
	s_or_b64 exec, exec, s[42:43]
	v_cmp_ne_u32_e64 s[42:43], s63, v145
	v_cndmask_b32_e64 v32, v1, v145, s[42:43]
	v_lshrrev_b32_e32 v32, v10, v32
	v_and_b32_e32 v54, v32, v37
	v_lshl_add_u32 v32, v54, 2, v99
	v_lshl_add_u32 v32, v32, 2, v12
	; wave barrier
	v_add_u32_e32 v80, 16, v32
	ds_read_b32 v37, v32 offset:16
	v_and_b32_e32 v32, 1, v54
	v_add_co_u32_e64 v33, s[42:43], -1, v32
	v_addc_co_u32_e64 v64, s[42:43], 0, -1, s[42:43]
	v_cmp_ne_u32_e64 s[42:43], 0, v32
	v_xor_b32_e32 v32, s43, v64
	v_xor_b32_e32 v33, s42, v33
	v_and_b32_e32 v64, exec_hi, v32
	v_and_b32_e32 v81, exec_lo, v33
	v_lshlrev_b32_e32 v33, 30, v54
	v_mov_b32_e32 v32, v5
	v_cmp_gt_i64_e64 s[42:43], 0, v[32:33]
	v_not_b32_e32 v32, v33
	v_ashrrev_i32_e32 v32, 31, v32
	v_xor_b32_e32 v33, s43, v32
	v_xor_b32_e32 v32, s42, v32
	v_and_b32_e32 v64, v64, v33
	v_and_b32_e32 v81, v81, v32
	v_lshlrev_b32_e32 v33, 29, v54
	v_mov_b32_e32 v32, v5
	v_cmp_gt_i64_e64 s[42:43], 0, v[32:33]
	v_not_b32_e32 v32, v33
	v_ashrrev_i32_e32 v32, 31, v32
	v_xor_b32_e32 v33, s43, v32
	v_xor_b32_e32 v32, s42, v32
	v_and_b32_e32 v64, v64, v33
	v_and_b32_e32 v81, v81, v32
	;; [unrolled: 9-line block ×7, first 2 shown]
	v_mbcnt_lo_u32_b32 v54, v32, 0
	v_mbcnt_hi_u32_b32 v81, v33, v54
	v_cmp_ne_u64_e64 s[42:43], 0, v[32:33]
	v_cmp_eq_u32_e64 s[44:45], 0, v81
	s_and_b64 s[44:45], s[42:43], s[44:45]
	; wave barrier
	s_and_saveexec_b64 s[42:43], s[44:45]
	s_cbranch_execz .LBB1432_45
; %bb.44:                               ;   in Loop: Header=BB1432_29 Depth=1
	v_bcnt_u32_b32 v32, v32, 0
	v_bcnt_u32_b32 v32, v33, v32
	s_waitcnt lgkmcnt(0)
	v_add_u32_e32 v32, v37, v32
	ds_write_b32 v80, v32
.LBB1432_45:                            ;   in Loop: Header=BB1432_29 Depth=1
	s_or_b64 exec, exec, s[42:43]
	; wave barrier
	s_waitcnt lgkmcnt(0)
	s_barrier
	ds_read_b32 v54, v87
	ds_read_b32 v33, v96
	;; [unrolled: 1-line block ×4, first 2 shown]
	s_waitcnt lgkmcnt(2)
	v_add_u32_e32 v82, v33, v54
	s_waitcnt lgkmcnt(0)
	v_add3_u32 v64, v82, v32, v64
	s_nop 1
	v_mov_b32_dpp v82, v64 row_shr:1 row_mask:0xf bank_mask:0xf
	v_cndmask_b32_e64 v82, v82, 0, vcc
	v_add_u32_e32 v64, v82, v64
	s_nop 1
	v_mov_b32_dpp v82, v64 row_shr:2 row_mask:0xf bank_mask:0xf
	v_cndmask_b32_e64 v82, 0, v82, s[4:5]
	v_add_u32_e32 v64, v64, v82
	s_nop 1
	v_mov_b32_dpp v82, v64 row_shr:4 row_mask:0xf bank_mask:0xf
	v_cndmask_b32_e64 v82, 0, v82, s[6:7]
	;; [unrolled: 4-line block ×3, first 2 shown]
	v_add_u32_e32 v64, v64, v82
	s_nop 1
	v_mov_b32_dpp v82, v64 row_bcast:15 row_mask:0xf bank_mask:0xf
	v_cndmask_b32_e64 v82, v82, 0, s[40:41]
	v_add_u32_e32 v64, v64, v82
	s_nop 1
	v_mov_b32_dpp v82, v64 row_bcast:31 row_mask:0xf bank_mask:0xf
	v_cndmask_b32_e64 v82, 0, v82, s[14:15]
	v_add_u32_e32 v64, v64, v82
	s_and_saveexec_b64 s[42:43], s[16:17]
; %bb.46:                               ;   in Loop: Header=BB1432_29 Depth=1
	ds_write_b32 v102, v64
; %bb.47:                               ;   in Loop: Header=BB1432_29 Depth=1
	s_or_b64 exec, exec, s[42:43]
	s_waitcnt lgkmcnt(0)
	s_barrier
	s_and_saveexec_b64 s[42:43], s[18:19]
	s_cbranch_execz .LBB1432_49
; %bb.48:                               ;   in Loop: Header=BB1432_29 Depth=1
	ds_read_b32 v82, v100
	s_waitcnt lgkmcnt(0)
	s_nop 0
	v_mov_b32_dpp v83, v82 row_shr:1 row_mask:0xf bank_mask:0xf
	v_cndmask_b32_e64 v83, v83, 0, s[26:27]
	v_add_u32_e32 v82, v83, v82
	s_nop 1
	v_mov_b32_dpp v83, v82 row_shr:2 row_mask:0xf bank_mask:0xf
	v_cndmask_b32_e64 v83, 0, v83, s[28:29]
	v_add_u32_e32 v82, v82, v83
	ds_write_b32 v100, v82
.LBB1432_49:                            ;   in Loop: Header=BB1432_29 Depth=1
	s_or_b64 exec, exec, s[42:43]
	v_mov_b32_e32 v82, 0
	s_waitcnt lgkmcnt(0)
	s_barrier
	s_and_saveexec_b64 s[42:43], s[20:21]
; %bb.50:                               ;   in Loop: Header=BB1432_29 Depth=1
	ds_read_b32 v82, v103
; %bb.51:                               ;   in Loop: Header=BB1432_29 Depth=1
	s_or_b64 exec, exec, s[42:43]
	s_waitcnt lgkmcnt(0)
	v_add_u32_e32 v64, v82, v64
	ds_bpermute_b32 v64, v101, v64
	v_mov_b32_e32 v85, v5
	v_mov_b32_e32 v83, v5
	v_add_u32_e32 v10, 8, v10
	v_cmp_lt_u32_e64 s[42:43], v10, v11
	s_waitcnt lgkmcnt(0)
	v_cndmask_b32_e64 v64, v64, v82, s[22:23]
	v_cndmask_b32_e64 v64, v64, 0, s[24:25]
	v_add_u32_e32 v54, v64, v54
	v_add_u32_e32 v33, v54, v33
	;; [unrolled: 1-line block ×3, first 2 shown]
	ds_write_b32 v87, v64
	ds_write_b32 v96, v54
	;; [unrolled: 1-line block ×4, first 2 shown]
	s_waitcnt lgkmcnt(0)
	s_barrier
	ds_read_b32 v4, v4
	ds_read_b32 v32, v36
	;; [unrolled: 1-line block ×3, first 2 shown]
	s_mov_b64 s[60:61], -1
                                        ; implicit-def: $vgpr161
	s_waitcnt lgkmcnt(2)
	v_add_u32_e32 v4, v4, v34
	s_waitcnt lgkmcnt(1)
	v_add3_u32 v64, v38, v35, v32
	s_waitcnt lgkmcnt(0)
	v_add3_u32 v54, v49, v39, v33
	ds_read_b32 v32, v51
	ds_read_b32 v33, v55
	;; [unrolled: 1-line block ×5, first 2 shown]
	s_waitcnt lgkmcnt(4)
	v_add3_u32 v84, v52, v50, v32
	s_waitcnt lgkmcnt(3)
	v_add3_u32 v82, v65, v53, v33
	v_lshlrev_b64 v[32:33], 2, v[4:5]
	v_mov_b32_e32 v65, v5
	v_add_co_u32_e64 v162, s[44:45], v12, v32
	v_lshlrev_b64 v[32:33], 2, v[64:65]
	v_mov_b32_e32 v55, v5
	v_add_co_u32_e64 v163, s[44:45], v12, v32
	v_lshlrev_b64 v[32:33], 2, v[54:55]
	s_waitcnt lgkmcnt(2)
	v_add3_u32 v70, v68, v66, v34
	v_add_co_u32_e64 v164, s[44:45], v12, v32
	v_lshlrev_b64 v[32:33], 2, v[84:85]
	s_waitcnt lgkmcnt(1)
	v_add3_u32 v68, v71, v69, v35
	v_add_co_u32_e64 v165, s[44:45], v12, v32
	v_lshlrev_b64 v[32:33], 2, v[82:83]
	v_mov_b32_e32 v71, v5
	v_add_co_u32_e64 v166, s[44:45], v12, v32
	v_lshlrev_b64 v[32:33], 2, v[70:71]
	v_mov_b32_e32 v69, v5
	v_add_co_u32_e64 v167, s[44:45], v12, v32
	v_lshlrev_b64 v[32:33], 2, v[68:69]
	s_waitcnt lgkmcnt(0)
	v_add3_u32 v66, v81, v37, v36
	v_mov_b32_e32 v67, v5
	v_add_co_u32_e64 v176, s[44:45], v12, v32
	v_lshlrev_b64 v[32:33], 2, v[66:67]
	v_add_co_u32_e64 v177, s[44:45], v12, v32
                                        ; implicit-def: $vgpr85
                                        ; implicit-def: $vgpr83
                                        ; implicit-def: $vgpr71
                                        ; implicit-def: $vgpr69
                                        ; implicit-def: $vgpr67
                                        ; implicit-def: $vgpr65
                                        ; implicit-def: $vgpr55
                                        ; implicit-def: $vgpr32_vgpr33
                                        ; implicit-def: $vgpr34_vgpr35
                                        ; implicit-def: $vgpr36_vgpr37
                                        ; implicit-def: $vgpr38_vgpr39
                                        ; implicit-def: $vgpr48_vgpr49
                                        ; implicit-def: $vgpr50_vgpr51
                                        ; implicit-def: $vgpr52_vgpr53
                                        ; implicit-def: $vgpr80_vgpr81
	s_and_saveexec_b64 s[44:45], s[42:43]
	s_cbranch_execz .LBB1432_28
; %bb.52:                               ;   in Loop: Header=BB1432_29 Depth=1
	v_lshl_add_u32 v32, v4, 2, v162
	s_barrier
	ds_write_b32 v162, v160
	ds_write_b32 v163, v151
	;; [unrolled: 1-line block ×8, first 2 shown]
	s_waitcnt lgkmcnt(0)
	s_barrier
	ds_read_b32 v55, v112
	ds_read_b32 v65, v113
	ds_read_b32 v67, v114
	ds_read_b32 v69, v115
	ds_read_b32 v71, v116
	ds_read_b32 v83, v117
	ds_read_b32 v85, v118
	ds_read_b32 v161, v119
	s_waitcnt lgkmcnt(0)
	s_barrier
	ds_write_b64 v32, v[30:31]
	v_lshl_add_u32 v32, v64, 2, v163
	ds_write_b64 v32, v[28:29]
	v_lshl_add_u32 v32, v54, 2, v164
	;; [unrolled: 2-line block ×7, first 2 shown]
	ds_write_b64 v32, v[8:9]
	s_waitcnt lgkmcnt(0)
	s_barrier
	ds_read_b64 v[32:33], v128
	ds_read_b64 v[34:35], v129
	;; [unrolled: 1-line block ×8, first 2 shown]
	v_add_u32_e32 v144, -8, v144
	s_xor_b64 s[60:61], exec, -1
	s_waitcnt lgkmcnt(0)
	s_barrier
	s_branch .LBB1432_28
.LBB1432_53:
	s_or_b64 exec, exec, s[58:59]
	v_lshl_add_u32 v1, v4, 2, v162
	s_barrier
	ds_write_b32 v162, v160
	ds_write_b32 v163, v151
	;; [unrolled: 1-line block ×8, first 2 shown]
	s_waitcnt lgkmcnt(0)
	s_barrier
	ds_read2st64_b32 v[38:39], v100 offset1:4
	ds_read2st64_b32 v[36:37], v100 offset0:8 offset1:12
	ds_read2st64_b32 v[34:35], v100 offset0:16 offset1:20
	ds_read2st64_b32 v[32:33], v100 offset0:24 offset1:28
	s_waitcnt lgkmcnt(0)
	s_barrier
	ds_write_b64 v1, v[30:31]
	v_lshl_add_u32 v1, v64, 2, v163
	ds_write_b64 v1, v[28:29]
	v_lshl_add_u32 v1, v54, 2, v164
	;; [unrolled: 2-line block ×8, first 2 shown]
	s_waitcnt lgkmcnt(0)
	s_barrier
	ds_read2st64_b64 v[20:23], v1 offset1:4
	ds_read2st64_b64 v[16:19], v1 offset0:8 offset1:12
	ds_read2st64_b64 v[12:15], v1 offset0:16 offset1:20
	;; [unrolled: 1-line block ×3, first 2 shown]
	v_add_co_u32_e32 v4, vcc, v2, v26
	v_mov_b32_e32 v1, 0
	v_addc_co_u32_e32 v5, vcc, v3, v27, vcc
	v_lshlrev_b64 v[2:3], 2, v[0:1]
	v_cmp_lt_u32_e64 s[4:5], v0, v86
	v_add_co_u32_e32 v2, vcc, v4, v2
	v_addc_co_u32_e32 v3, vcc, v5, v3, vcc
	s_waitcnt lgkmcnt(0)
	s_barrier
	s_and_saveexec_b64 s[6:7], s[4:5]
	s_cbranch_execz .LBB1432_55
; %bb.54:
	v_bfrev_b32_e32 v4, 1
	v_cmp_lt_i32_e32 vcc, -1, v38
	v_cndmask_b32_e64 v4, v4, -1, vcc
	v_xor_b32_e32 v4, v4, v38
	flat_store_dword v[2:3], v4
.LBB1432_55:
	s_or_b64 exec, exec, s[6:7]
	v_add_u32_e32 v4, 0x100, v0
	v_cmp_lt_u32_e64 s[6:7], v4, v86
	s_and_saveexec_b64 s[10:11], s[6:7]
	s_cbranch_execz .LBB1432_57
; %bb.56:
	v_bfrev_b32_e32 v4, 1
	v_cmp_lt_i32_e32 vcc, -1, v39
	v_cndmask_b32_e64 v4, v4, -1, vcc
	v_xor_b32_e32 v4, v4, v39
	flat_store_dword v[2:3], v4 offset:1024
.LBB1432_57:
	s_or_b64 exec, exec, s[10:11]
	v_add_u32_e32 v4, 0x200, v0
	v_cmp_lt_u32_e64 s[10:11], v4, v86
	s_and_saveexec_b64 s[14:15], s[10:11]
	s_cbranch_execz .LBB1432_59
; %bb.58:
	v_bfrev_b32_e32 v4, 1
	v_cmp_lt_i32_e32 vcc, -1, v36
	v_cndmask_b32_e64 v4, v4, -1, vcc
	v_xor_b32_e32 v4, v4, v36
	flat_store_dword v[2:3], v4 offset:2048
.LBB1432_59:
	;; [unrolled: 12-line block ×3, first 2 shown]
	s_or_b64 exec, exec, s[14:15]
	v_add_u32_e32 v4, 0x400, v0
	v_cmp_lt_u32_e64 s[14:15], v4, v86
	s_and_saveexec_b64 s[16:17], s[14:15]
	s_cbranch_execz .LBB1432_63
; %bb.62:
	v_bfrev_b32_e32 v4, 1
	v_cmp_lt_i32_e32 vcc, -1, v34
	v_cndmask_b32_e64 v4, v4, -1, vcc
	v_xor_b32_e32 v26, v4, v34
	v_add_co_u32_e32 v4, vcc, 0x1000, v2
	v_addc_co_u32_e32 v5, vcc, 0, v3, vcc
	flat_store_dword v[4:5], v26
.LBB1432_63:
	s_or_b64 exec, exec, s[16:17]
	v_add_u32_e32 v4, 0x500, v0
	v_cmp_lt_u32_e64 s[16:17], v4, v86
	s_and_saveexec_b64 s[18:19], s[16:17]
	s_cbranch_execz .LBB1432_65
; %bb.64:
	v_bfrev_b32_e32 v4, 1
	v_cmp_lt_i32_e32 vcc, -1, v35
	v_cndmask_b32_e64 v4, v4, -1, vcc
	v_xor_b32_e32 v26, v4, v35
	v_add_co_u32_e32 v4, vcc, 0x1000, v2
	v_addc_co_u32_e32 v5, vcc, 0, v3, vcc
	flat_store_dword v[4:5], v26 offset:1024
.LBB1432_65:
	s_or_b64 exec, exec, s[18:19]
	v_add_u32_e32 v4, 0x600, v0
	v_cmp_lt_u32_e64 s[18:19], v4, v86
	s_and_saveexec_b64 s[20:21], s[18:19]
	s_cbranch_execz .LBB1432_67
; %bb.66:
	v_bfrev_b32_e32 v4, 1
	v_cmp_lt_i32_e32 vcc, -1, v32
	v_cndmask_b32_e64 v4, v4, -1, vcc
	v_xor_b32_e32 v26, v4, v32
	v_add_co_u32_e32 v4, vcc, 0x1000, v2
	v_addc_co_u32_e32 v5, vcc, 0, v3, vcc
	flat_store_dword v[4:5], v26 offset:2048
.LBB1432_67:
	s_or_b64 exec, exec, s[20:21]
	v_add_u32_e32 v4, 0x700, v0
	v_cmp_lt_u32_e64 s[20:21], v4, v86
	s_and_saveexec_b64 s[24:25], s[20:21]
	s_cbranch_execz .LBB1432_69
; %bb.68:
	v_bfrev_b32_e32 v4, 1
	v_cmp_lt_i32_e32 vcc, -1, v33
	v_cndmask_b32_e64 v4, v4, -1, vcc
	v_add_co_u32_e32 v2, vcc, 0x1000, v2
	v_xor_b32_e32 v4, v4, v33
	v_addc_co_u32_e32 v3, vcc, 0, v3, vcc
	flat_store_dword v[2:3], v4 offset:3072
.LBB1432_69:
	s_or_b64 exec, exec, s[24:25]
	v_add_co_u32_e32 v2, vcc, v6, v24
	v_lshlrev_b64 v[0:1], 3, v[0:1]
	v_addc_co_u32_e32 v3, vcc, v7, v25, vcc
	v_add_co_u32_e32 v0, vcc, v2, v0
	v_addc_co_u32_e32 v1, vcc, v3, v1, vcc
	s_and_saveexec_b64 s[24:25], s[4:5]
	s_cbranch_execnz .LBB1432_119
; %bb.70:
	s_or_b64 exec, exec, s[24:25]
	s_and_saveexec_b64 s[4:5], s[6:7]
	s_cbranch_execnz .LBB1432_120
.LBB1432_71:
	s_or_b64 exec, exec, s[4:5]
	s_and_saveexec_b64 s[4:5], s[10:11]
	s_cbranch_execnz .LBB1432_121
.LBB1432_72:
	s_or_b64 exec, exec, s[4:5]
	s_and_saveexec_b64 s[4:5], s[22:23]
	s_cbranch_execnz .LBB1432_122
.LBB1432_73:
	s_or_b64 exec, exec, s[4:5]
	s_and_saveexec_b64 s[4:5], s[14:15]
	s_cbranch_execnz .LBB1432_123
.LBB1432_74:
	s_or_b64 exec, exec, s[4:5]
	s_and_saveexec_b64 s[4:5], s[16:17]
	s_cbranch_execnz .LBB1432_124
.LBB1432_75:
	s_or_b64 exec, exec, s[4:5]
	s_and_saveexec_b64 s[4:5], s[18:19]
	s_cbranch_execnz .LBB1432_125
.LBB1432_76:
	s_or_b64 exec, exec, s[4:5]
	s_and_saveexec_b64 s[4:5], s[20:21]
	s_cbranch_execz .LBB1432_78
.LBB1432_77:
	v_add_co_u32_e32 v0, vcc, 0x3000, v0
	v_addc_co_u32_e32 v1, vcc, 0, v1, vcc
	flat_store_dwordx2 v[0:1], v[10:11] offset:2048
.LBB1432_78:
	s_or_b64 exec, exec, s[4:5]
                                        ; implicit-def: $vgpr86
                                        ; implicit-def: $vgpr0
                                        ; implicit-def: $vgpr1
                                        ; implicit-def: $vgpr2
                                        ; implicit-def: $vgpr3
                                        ; implicit-def: $vgpr4
                                        ; implicit-def: $vgpr5
                                        ; implicit-def: $vgpr6
                                        ; implicit-def: $vgpr7
                                        ; implicit-def: $vgpr8
                                        ; implicit-def: $vgpr10
                                        ; implicit-def: $vgpr11
                                        ; implicit-def: $vgpr12
                                        ; implicit-def: $vgpr31
                                        ; implicit-def: $vgpr20
                                        ; implicit-def: $vgpr22
                                        ; implicit-def: $vgpr18
.LBB1432_79:
	s_andn2_saveexec_b64 s[4:5], s[56:57]
	s_cbranch_execz .LBB1432_199
; %bb.80:
	s_movk_i32 s4, 0x200
	v_cmp_lt_u32_e32 vcc, s4, v86
	s_and_saveexec_b64 s[4:5], vcc
	s_xor_b64 s[56:57], exec, s[4:5]
	s_cbranch_execz .LBB1432_140
; %bb.81:
	s_load_dwordx2 s[4:5], s[8:9], 0x0
	v_mov_b32_e32 v9, 0
	v_mbcnt_hi_u32_b32 v32, -1, v18
	v_lshlrev_b64 v[18:19], 2, v[8:9]
	v_and_b32_e32 v17, 0x3ff, v31
	s_waitcnt lgkmcnt(0)
	s_cmp_lt_u32 s13, s5
	s_cselect_b32 s5, 14, 20
	s_add_u32 s6, s8, s5
	s_addc_u32 s7, s9, 0
	s_cmp_lt_u32 s12, s4
	s_cselect_b32 s4, 12, 18
	s_add_u32 s4, s8, s4
	global_load_ushort v16, v9, s[6:7]
	s_addc_u32 s5, s9, 0
	global_load_ushort v21, v9, s[4:5]
	v_add_co_u32_e32 v25, vcc, v0, v18
	v_addc_co_u32_e32 v26, vcc, v1, v19, vcc
	v_and_b32_e32 v33, 63, v32
	v_mov_b32_e32 v23, v9
	v_lshlrev_b32_e32 v24, 2, v33
	v_bfrev_b32_e32 v13, -2
	v_mov_b32_e32 v14, v13
	v_mov_b32_e32 v15, v13
	s_waitcnt vmcnt(0)
	v_mad_u32_u24 v0, v22, v16, v20
	v_add_co_u32_e32 v16, vcc, v25, v24
	v_mad_u64_u32 v[0:1], s[4:5], v0, v21, v[17:18]
	v_addc_co_u32_e32 v24, vcc, 0, v26, vcc
	v_lshlrev_b32_e32 v1, 2, v0
	v_and_b32_e32 v22, 0xffffff00, v1
	v_lshlrev_b64 v[20:21], 2, v[22:23]
	v_or_b32_e32 v1, v22, v33
	v_add_co_u32_e64 v20, s[4:5], v16, v20
	v_cmp_lt_u32_e32 vcc, v1, v86
	v_addc_co_u32_e64 v21, s[4:5], v24, v21, s[4:5]
	v_mov_b32_e32 v16, v13
	s_and_saveexec_b64 s[4:5], vcc
	s_cbranch_execz .LBB1432_83
; %bb.82:
	flat_load_dword v24, v[20:21]
	v_mov_b32_e32 v25, v13
	v_mov_b32_e32 v26, v13
	;; [unrolled: 1-line block ×3, first 2 shown]
	s_waitcnt vmcnt(0) lgkmcnt(0)
	v_mov_b32_e32 v13, v24
	v_mov_b32_e32 v14, v25
	;; [unrolled: 1-line block ×4, first 2 shown]
.LBB1432_83:
	s_or_b64 exec, exec, s[4:5]
	v_or_b32_e32 v24, 64, v1
	v_cmp_lt_u32_e64 s[4:5], v24, v86
	s_and_saveexec_b64 s[6:7], s[4:5]
	s_cbranch_execz .LBB1432_85
; %bb.84:
	flat_load_dword v14, v[20:21] offset:256
.LBB1432_85:
	s_or_b64 exec, exec, s[6:7]
	v_or_b32_e32 v24, 0x80, v1
	v_cmp_lt_u32_e64 s[6:7], v24, v86
	s_and_saveexec_b64 s[10:11], s[6:7]
	s_cbranch_execz .LBB1432_87
; %bb.86:
	flat_load_dword v15, v[20:21] offset:512
.LBB1432_87:
	;; [unrolled: 8-line block ×3, first 2 shown]
	s_or_b64 exec, exec, s[14:15]
	v_lshlrev_b64 v[20:21], 3, v[8:9]
                                        ; implicit-def: $vgpr24_vgpr25
	v_add_co_u32_e64 v1, s[14:15], v4, v20
	v_addc_co_u32_e64 v4, s[14:15], v5, v21, s[14:15]
	v_lshlrev_b32_e32 v5, 3, v33
	v_add_co_u32_e64 v1, s[14:15], v1, v5
	v_addc_co_u32_e64 v8, s[14:15], 0, v4, s[14:15]
	v_lshlrev_b64 v[4:5], 3, v[22:23]
	v_add_co_u32_e64 v4, s[14:15], v1, v4
	v_addc_co_u32_e64 v5, s[14:15], v8, v5, s[14:15]
	s_and_saveexec_b64 s[14:15], vcc
	s_cbranch_execnz .LBB1432_164
; %bb.90:
	s_or_b64 exec, exec, s[14:15]
                                        ; implicit-def: $vgpr26_vgpr27
	s_and_saveexec_b64 s[14:15], s[4:5]
	s_cbranch_execnz .LBB1432_165
.LBB1432_91:
	s_or_b64 exec, exec, s[14:15]
                                        ; implicit-def: $vgpr28_vgpr29
	s_and_saveexec_b64 s[4:5], s[6:7]
	s_cbranch_execnz .LBB1432_166
.LBB1432_92:
	s_or_b64 exec, exec, s[4:5]
                                        ; implicit-def: $vgpr30_vgpr31
	s_and_saveexec_b64 s[4:5], s[10:11]
	s_cbranch_execz .LBB1432_94
.LBB1432_93:
	flat_load_dwordx2 v[30:31], v[4:5] offset:1536
.LBB1432_94:
	s_or_b64 exec, exec, s[4:5]
	v_bfrev_b32_e32 v1, 1
	v_cmp_lt_i32_e32 vcc, -1, v13
	v_cndmask_b32_e32 v4, -1, v1, vcc
	s_waitcnt vmcnt(0) lgkmcnt(0)
	v_cmp_lt_i32_e32 vcc, -1, v14
	v_xor_b32_e32 v35, v4, v13
	v_cndmask_b32_e32 v4, -1, v1, vcc
	v_cmp_lt_i32_e32 vcc, -1, v15
	v_lshl_add_u32 v8, v17, 4, v12
	v_xor_b32_e32 v37, v4, v14
	v_cndmask_b32_e32 v4, -1, v1, vcc
	v_cmp_lt_i32_e32 vcc, -1, v16
	s_getpc_b64 s[4:5]
	s_add_u32 s4, s4, _ZN7rocprim17ROCPRIM_400000_NS16block_radix_sortIfLj256ELj4ElLj1ELj1ELj8ELNS0_26block_radix_rank_algorithmE2ELNS0_18block_padding_hintE2ELNS0_4arch9wavefront6targetE1EE19radix_bits_per_passE@rel32@lo+4
	s_addc_u32 s5, s5, _ZN7rocprim17ROCPRIM_400000_NS16block_radix_sortIfLj256ELj4ElLj1ELj1ELj8ELNS0_26block_radix_rank_algorithmE2ELNS0_18block_padding_hintE2ELNS0_4arch9wavefront6targetE1EE19radix_bits_per_passE@rel32@hi+12
	v_add_u32_e32 v38, 16, v8
	v_add_u32_e32 v39, 20, v8
	;; [unrolled: 1-line block ×4, first 2 shown]
	v_and_b32_e32 v8, 15, v32
	v_xor_b32_e32 v84, v4, v15
	v_cndmask_b32_e32 v4, -1, v1, vcc
	s_load_dword s62, s[4:5], 0x0
	v_cmp_eq_u32_e32 vcc, 0, v8
	v_cmp_lt_u32_e64 s[4:5], 1, v8
	v_cmp_lt_u32_e64 s[6:7], 3, v8
	;; [unrolled: 1-line block ×3, first 2 shown]
	v_and_b32_e32 v8, 16, v32
	v_cmp_eq_u32_e64 s[40:41], 0, v8
	v_and_b32_e32 v8, 0x3c0, v17
	v_min_u32_e32 v8, 0xc0, v8
	v_or_b32_e32 v8, 63, v8
	v_cmp_eq_u32_e64 s[16:17], v17, v8
	v_subrev_co_u32_e64 v8, s[22:23], 1, v32
	v_and_b32_e32 v9, 64, v32
	v_xor_b32_e32 v85, v4, v16
	v_lshlrev_b32_e32 v4, 2, v17
	v_cmp_lt_i32_e64 s[24:25], v8, v9
	s_movk_i32 s42, 0xf00
	v_cndmask_b32_e64 v8, v8, v32, s[24:25]
	v_add_co_u32_e64 v51, s[26:27], v12, v4
	v_and_or_b32 v4, v4, s42, v33
	v_lshlrev_b32_e32 v52, 2, v8
	v_lshrrev_b32_e32 v8, 4, v17
	v_lshlrev_b32_e32 v4, 2, v4
	v_and_b32_e32 v8, 60, v8
	v_add_u32_e32 v55, v12, v4
	v_add_u32_e32 v53, v12, v8
	v_and_b32_e32 v8, 3, v32
	v_add_u32_e32 v67, v55, v4
	v_mov_b32_e32 v5, 0
	v_lshrrev_b32_e32 v50, 6, v0
	v_cmp_lt_u32_e64 s[14:15], 31, v32
	v_cmp_gt_u32_e64 s[18:19], 4, v17
	v_cmp_lt_u32_e64 s[20:21], 63, v17
	v_cmp_eq_u32_e64 s[24:25], 0, v17
	v_cmp_eq_u32_e64 s[26:27], 0, v8
	v_cmp_lt_u32_e64 s[28:29], 1, v8
	v_add_u32_e32 v54, -4, v53
	v_add_u32_e32 v64, 0x100, v55
	v_add_u32_e32 v65, 0x200, v55
	;; [unrolled: 1-line block ×6, first 2 shown]
	v_sub_u32_e32 v71, v11, v10
	s_mov_b64 s[58:59], 0
	s_brev_b32 s63, -2
	s_waitcnt lgkmcnt(0)
	s_barrier
	s_branch .LBB1432_96
.LBB1432_95:                            ;   in Loop: Header=BB1432_96 Depth=1
	s_or_b64 exec, exec, s[44:45]
	s_and_b64 s[42:43], exec, s[60:61]
	s_or_b64 s[58:59], s[42:43], s[58:59]
	s_andn2_b64 exec, exec, s[58:59]
	s_cbranch_execz .LBB1432_126
.LBB1432_96:                            ; =>This Inner Loop Header: Depth=1
	v_mov_b32_e32 v83, v35
	v_min_u32_e32 v4, s62, v71
	v_mov_b32_e32 v13, v28
	v_lshlrev_b32_e64 v4, v4, -1
	v_cmp_ne_u32_e64 s[42:43], s63, v83
	v_mov_b32_e32 v14, v29
	v_not_b32_e32 v29, v4
	v_cndmask_b32_e64 v4, v1, v83, s[42:43]
	v_mov_b32_e32 v15, v26
	v_lshrrev_b32_e32 v4, v10, v4
	v_mov_b32_e32 v16, v27
	v_and_b32_e32 v26, v4, v29
	v_mov_b32_e32 v22, v24
	v_lshl_add_u32 v4, v26, 2, v50
	v_mov_b32_e32 v23, v25
	v_lshlrev_b64 v[24:25], 2, v[4:5]
	v_mov_b32_e32 v8, v30
	v_add_co_u32_e64 v4, s[42:43], v12, v24
	v_add_co_u32_e64 v4, s[42:43], 16, v4
	v_and_b32_e32 v24, 1, v26
	v_add_co_u32_e64 v25, s[42:43], -1, v24
	v_addc_co_u32_e64 v27, s[42:43], 0, -1, s[42:43]
	v_cmp_ne_u32_e64 s[42:43], 0, v24
	v_xor_b32_e32 v24, s43, v27
	v_xor_b32_e32 v25, s42, v25
	v_and_b32_e32 v27, exec_hi, v24
	v_and_b32_e32 v28, exec_lo, v25
	v_lshlrev_b32_e32 v25, 30, v26
	v_mov_b32_e32 v24, v5
	v_cmp_gt_i64_e64 s[42:43], 0, v[24:25]
	v_not_b32_e32 v24, v25
	v_ashrrev_i32_e32 v24, 31, v24
	v_xor_b32_e32 v25, s43, v24
	v_xor_b32_e32 v24, s42, v24
	v_and_b32_e32 v27, v27, v25
	v_and_b32_e32 v28, v28, v24
	v_lshlrev_b32_e32 v25, 29, v26
	v_mov_b32_e32 v24, v5
	v_cmp_gt_i64_e64 s[42:43], 0, v[24:25]
	v_not_b32_e32 v24, v25
	v_ashrrev_i32_e32 v24, 31, v24
	v_xor_b32_e32 v25, s43, v24
	v_xor_b32_e32 v24, s42, v24
	v_and_b32_e32 v27, v27, v25
	v_and_b32_e32 v28, v28, v24
	;; [unrolled: 9-line block ×7, first 2 shown]
	v_mbcnt_lo_u32_b32 v26, v24, 0
	v_mbcnt_hi_u32_b32 v26, v25, v26
	v_cmp_ne_u64_e64 s[42:43], 0, v[24:25]
	v_cmp_eq_u32_e64 s[44:45], 0, v26
	v_mov_b32_e32 v80, v85
	v_mov_b32_e32 v81, v84
	;; [unrolled: 1-line block ×4, first 2 shown]
	s_and_b64 s[44:45], s[42:43], s[44:45]
	ds_write_b32 v38, v5
	ds_write_b32 v39, v5
	;; [unrolled: 1-line block ×4, first 2 shown]
	s_waitcnt lgkmcnt(0)
	s_barrier
	; wave barrier
	s_and_saveexec_b64 s[42:43], s[44:45]
; %bb.97:                               ;   in Loop: Header=BB1432_96 Depth=1
	v_bcnt_u32_b32 v24, v24, 0
	v_bcnt_u32_b32 v24, v25, v24
	ds_write_b32 v4, v24
; %bb.98:                               ;   in Loop: Header=BB1432_96 Depth=1
	s_or_b64 exec, exec, s[42:43]
	v_cmp_ne_u32_e64 s[42:43], s63, v82
	v_cndmask_b32_e64 v24, v1, v82, s[42:43]
	v_lshrrev_b32_e32 v24, v10, v24
	v_and_b32_e32 v30, v24, v29
	v_lshl_add_u32 v24, v30, 2, v50
	v_lshl_add_u32 v24, v24, 2, v12
	; wave barrier
	v_add_u32_e32 v28, 16, v24
	ds_read_b32 v27, v24 offset:16
	v_and_b32_e32 v24, 1, v30
	v_add_co_u32_e64 v25, s[42:43], -1, v24
	v_addc_co_u32_e64 v31, s[42:43], 0, -1, s[42:43]
	v_cmp_ne_u32_e64 s[42:43], 0, v24
	v_xor_b32_e32 v24, s43, v31
	v_xor_b32_e32 v25, s42, v25
	v_and_b32_e32 v31, exec_hi, v24
	v_and_b32_e32 v32, exec_lo, v25
	v_lshlrev_b32_e32 v25, 30, v30
	v_mov_b32_e32 v24, v5
	v_cmp_gt_i64_e64 s[42:43], 0, v[24:25]
	v_not_b32_e32 v24, v25
	v_ashrrev_i32_e32 v24, 31, v24
	v_xor_b32_e32 v25, s43, v24
	v_xor_b32_e32 v24, s42, v24
	v_and_b32_e32 v31, v31, v25
	v_and_b32_e32 v32, v32, v24
	v_lshlrev_b32_e32 v25, 29, v30
	v_mov_b32_e32 v24, v5
	v_cmp_gt_i64_e64 s[42:43], 0, v[24:25]
	v_not_b32_e32 v24, v25
	v_ashrrev_i32_e32 v24, 31, v24
	v_xor_b32_e32 v25, s43, v24
	v_xor_b32_e32 v24, s42, v24
	v_and_b32_e32 v31, v31, v25
	v_and_b32_e32 v32, v32, v24
	;; [unrolled: 9-line block ×7, first 2 shown]
	v_mbcnt_lo_u32_b32 v30, v24, 0
	v_mbcnt_hi_u32_b32 v30, v25, v30
	v_cmp_ne_u64_e64 s[42:43], 0, v[24:25]
	v_cmp_eq_u32_e64 s[44:45], 0, v30
	s_and_b64 s[44:45], s[42:43], s[44:45]
	; wave barrier
	s_and_saveexec_b64 s[42:43], s[44:45]
	s_cbranch_execz .LBB1432_100
; %bb.99:                               ;   in Loop: Header=BB1432_96 Depth=1
	v_bcnt_u32_b32 v24, v24, 0
	v_bcnt_u32_b32 v24, v25, v24
	s_waitcnt lgkmcnt(0)
	v_add_u32_e32 v24, v27, v24
	ds_write_b32 v28, v24
.LBB1432_100:                           ;   in Loop: Header=BB1432_96 Depth=1
	s_or_b64 exec, exec, s[42:43]
	v_cmp_ne_u32_e64 s[42:43], s63, v81
	v_cndmask_b32_e64 v24, v1, v81, s[42:43]
	v_lshrrev_b32_e32 v24, v10, v24
	v_and_b32_e32 v33, v24, v29
	v_lshl_add_u32 v24, v33, 2, v50
	v_lshl_add_u32 v24, v24, 2, v12
	; wave barrier
	v_add_u32_e32 v32, 16, v24
	ds_read_b32 v31, v24 offset:16
	v_and_b32_e32 v24, 1, v33
	v_add_co_u32_e64 v25, s[42:43], -1, v24
	v_addc_co_u32_e64 v34, s[42:43], 0, -1, s[42:43]
	v_cmp_ne_u32_e64 s[42:43], 0, v24
	v_xor_b32_e32 v24, s43, v34
	v_xor_b32_e32 v25, s42, v25
	v_and_b32_e32 v34, exec_hi, v24
	v_and_b32_e32 v35, exec_lo, v25
	v_lshlrev_b32_e32 v25, 30, v33
	v_mov_b32_e32 v24, v5
	v_cmp_gt_i64_e64 s[42:43], 0, v[24:25]
	v_not_b32_e32 v24, v25
	v_ashrrev_i32_e32 v24, 31, v24
	v_xor_b32_e32 v25, s43, v24
	v_xor_b32_e32 v24, s42, v24
	v_and_b32_e32 v34, v34, v25
	v_and_b32_e32 v35, v35, v24
	v_lshlrev_b32_e32 v25, 29, v33
	v_mov_b32_e32 v24, v5
	v_cmp_gt_i64_e64 s[42:43], 0, v[24:25]
	v_not_b32_e32 v24, v25
	v_ashrrev_i32_e32 v24, 31, v24
	v_xor_b32_e32 v25, s43, v24
	v_xor_b32_e32 v24, s42, v24
	v_and_b32_e32 v34, v34, v25
	v_and_b32_e32 v35, v35, v24
	;; [unrolled: 9-line block ×7, first 2 shown]
	v_mbcnt_lo_u32_b32 v33, v24, 0
	v_mbcnt_hi_u32_b32 v33, v25, v33
	v_cmp_ne_u64_e64 s[42:43], 0, v[24:25]
	v_cmp_eq_u32_e64 s[44:45], 0, v33
	s_and_b64 s[44:45], s[42:43], s[44:45]
	; wave barrier
	s_and_saveexec_b64 s[42:43], s[44:45]
	s_cbranch_execz .LBB1432_102
; %bb.101:                              ;   in Loop: Header=BB1432_96 Depth=1
	v_bcnt_u32_b32 v24, v24, 0
	v_bcnt_u32_b32 v24, v25, v24
	s_waitcnt lgkmcnt(0)
	v_add_u32_e32 v24, v31, v24
	ds_write_b32 v32, v24
.LBB1432_102:                           ;   in Loop: Header=BB1432_96 Depth=1
	s_or_b64 exec, exec, s[42:43]
	v_cmp_ne_u32_e64 s[42:43], s63, v80
	v_cndmask_b32_e64 v24, v1, v80, s[42:43]
	v_lshrrev_b32_e32 v24, v10, v24
	v_and_b32_e32 v35, v24, v29
	v_lshl_add_u32 v24, v35, 2, v50
	v_lshl_add_u32 v24, v24, 2, v12
	; wave barrier
	v_add_u32_e32 v34, 16, v24
	ds_read_b32 v29, v24 offset:16
	v_and_b32_e32 v24, 1, v35
	v_add_co_u32_e64 v25, s[42:43], -1, v24
	v_addc_co_u32_e64 v36, s[42:43], 0, -1, s[42:43]
	v_cmp_ne_u32_e64 s[42:43], 0, v24
	v_xor_b32_e32 v24, s43, v36
	v_xor_b32_e32 v25, s42, v25
	v_and_b32_e32 v36, exec_hi, v24
	v_and_b32_e32 v37, exec_lo, v25
	v_lshlrev_b32_e32 v25, 30, v35
	v_mov_b32_e32 v24, v5
	v_cmp_gt_i64_e64 s[42:43], 0, v[24:25]
	v_not_b32_e32 v24, v25
	v_ashrrev_i32_e32 v24, 31, v24
	v_xor_b32_e32 v25, s43, v24
	v_xor_b32_e32 v24, s42, v24
	v_and_b32_e32 v36, v36, v25
	v_and_b32_e32 v37, v37, v24
	v_lshlrev_b32_e32 v25, 29, v35
	v_mov_b32_e32 v24, v5
	v_cmp_gt_i64_e64 s[42:43], 0, v[24:25]
	v_not_b32_e32 v24, v25
	v_ashrrev_i32_e32 v24, 31, v24
	v_xor_b32_e32 v25, s43, v24
	v_xor_b32_e32 v24, s42, v24
	v_and_b32_e32 v36, v36, v25
	v_and_b32_e32 v37, v37, v24
	;; [unrolled: 9-line block ×7, first 2 shown]
	v_mbcnt_lo_u32_b32 v35, v24, 0
	v_mbcnt_hi_u32_b32 v35, v25, v35
	v_cmp_ne_u64_e64 s[42:43], 0, v[24:25]
	v_cmp_eq_u32_e64 s[44:45], 0, v35
	s_and_b64 s[44:45], s[42:43], s[44:45]
	; wave barrier
	s_and_saveexec_b64 s[42:43], s[44:45]
	s_cbranch_execz .LBB1432_104
; %bb.103:                              ;   in Loop: Header=BB1432_96 Depth=1
	v_bcnt_u32_b32 v24, v24, 0
	v_bcnt_u32_b32 v24, v25, v24
	s_waitcnt lgkmcnt(0)
	v_add_u32_e32 v24, v29, v24
	ds_write_b32 v34, v24
.LBB1432_104:                           ;   in Loop: Header=BB1432_96 Depth=1
	s_or_b64 exec, exec, s[42:43]
	; wave barrier
	s_waitcnt lgkmcnt(0)
	s_barrier
	ds_read_b32 v36, v38
	ds_read_b32 v25, v39
	;; [unrolled: 1-line block ×4, first 2 shown]
	s_waitcnt lgkmcnt(2)
	v_add_u32_e32 v84, v25, v36
	s_waitcnt lgkmcnt(0)
	v_add3_u32 v37, v84, v24, v37
	s_nop 1
	v_mov_b32_dpp v84, v37 row_shr:1 row_mask:0xf bank_mask:0xf
	v_cndmask_b32_e64 v84, v84, 0, vcc
	v_add_u32_e32 v37, v84, v37
	s_nop 1
	v_mov_b32_dpp v84, v37 row_shr:2 row_mask:0xf bank_mask:0xf
	v_cndmask_b32_e64 v84, 0, v84, s[4:5]
	v_add_u32_e32 v37, v37, v84
	s_nop 1
	v_mov_b32_dpp v84, v37 row_shr:4 row_mask:0xf bank_mask:0xf
	v_cndmask_b32_e64 v84, 0, v84, s[6:7]
	;; [unrolled: 4-line block ×3, first 2 shown]
	v_add_u32_e32 v37, v37, v84
	s_nop 1
	v_mov_b32_dpp v84, v37 row_bcast:15 row_mask:0xf bank_mask:0xf
	v_cndmask_b32_e64 v84, v84, 0, s[40:41]
	v_add_u32_e32 v37, v37, v84
	s_nop 1
	v_mov_b32_dpp v84, v37 row_bcast:31 row_mask:0xf bank_mask:0xf
	v_cndmask_b32_e64 v84, 0, v84, s[14:15]
	v_add_u32_e32 v37, v37, v84
	s_and_saveexec_b64 s[42:43], s[16:17]
; %bb.105:                              ;   in Loop: Header=BB1432_96 Depth=1
	ds_write_b32 v53, v37
; %bb.106:                              ;   in Loop: Header=BB1432_96 Depth=1
	s_or_b64 exec, exec, s[42:43]
	s_waitcnt lgkmcnt(0)
	s_barrier
	s_and_saveexec_b64 s[42:43], s[18:19]
	s_cbranch_execz .LBB1432_108
; %bb.107:                              ;   in Loop: Header=BB1432_96 Depth=1
	ds_read_b32 v84, v51
	s_waitcnt lgkmcnt(0)
	s_nop 0
	v_mov_b32_dpp v85, v84 row_shr:1 row_mask:0xf bank_mask:0xf
	v_cndmask_b32_e64 v85, v85, 0, s[26:27]
	v_add_u32_e32 v84, v85, v84
	s_nop 1
	v_mov_b32_dpp v85, v84 row_shr:2 row_mask:0xf bank_mask:0xf
	v_cndmask_b32_e64 v85, 0, v85, s[28:29]
	v_add_u32_e32 v84, v84, v85
	ds_write_b32 v51, v84
.LBB1432_108:                           ;   in Loop: Header=BB1432_96 Depth=1
	s_or_b64 exec, exec, s[42:43]
	v_mov_b32_e32 v84, 0
	s_waitcnt lgkmcnt(0)
	s_barrier
	s_and_saveexec_b64 s[42:43], s[20:21]
; %bb.109:                              ;   in Loop: Header=BB1432_96 Depth=1
	ds_read_b32 v84, v54
; %bb.110:                              ;   in Loop: Header=BB1432_96 Depth=1
	s_or_b64 exec, exec, s[42:43]
	s_waitcnt lgkmcnt(0)
	v_add_u32_e32 v37, v84, v37
	ds_bpermute_b32 v37, v52, v37
	v_add_u32_e32 v10, 8, v10
	v_cmp_lt_u32_e64 s[42:43], v10, v11
	s_mov_b64 s[60:61], -1
                                        ; implicit-def: $vgpr85
	s_waitcnt lgkmcnt(0)
	v_cndmask_b32_e64 v37, v37, v84, s[22:23]
	v_cndmask_b32_e64 v37, v37, 0, s[24:25]
	v_add_u32_e32 v36, v37, v36
	v_add_u32_e32 v25, v36, v25
	;; [unrolled: 1-line block ×3, first 2 shown]
	ds_write_b32 v38, v37
	ds_write_b32 v39, v36
	;; [unrolled: 1-line block ×4, first 2 shown]
	s_waitcnt lgkmcnt(0)
	s_barrier
	ds_read_b32 v4, v4
	ds_read_b32 v24, v28
	;; [unrolled: 1-line block ×4, first 2 shown]
	v_mov_b32_e32 v37, v5
	s_waitcnt lgkmcnt(3)
	v_add_u32_e32 v4, v4, v26
	s_waitcnt lgkmcnt(2)
	v_add3_u32 v36, v30, v27, v24
	s_waitcnt lgkmcnt(1)
	v_add3_u32 v34, v33, v31, v25
	v_lshlrev_b64 v[24:25], 2, v[4:5]
	s_waitcnt lgkmcnt(0)
	v_add3_u32 v32, v35, v29, v28
	v_add_co_u32_e64 v87, s[44:45], v12, v24
	v_lshlrev_b64 v[24:25], 2, v[36:37]
	v_mov_b32_e32 v35, v5
	v_add_co_u32_e64 v96, s[44:45], v12, v24
	v_lshlrev_b64 v[24:25], 2, v[34:35]
	v_mov_b32_e32 v33, v5
	v_add_co_u32_e64 v97, s[44:45], v12, v24
	v_lshlrev_b64 v[24:25], 2, v[32:33]
	v_add_co_u32_e64 v33, s[44:45], v12, v24
                                        ; implicit-def: $vgpr84
                                        ; implicit-def: $vgpr37
                                        ; implicit-def: $vgpr35
                                        ; implicit-def: $vgpr24_vgpr25
                                        ; implicit-def: $vgpr26_vgpr27
                                        ; implicit-def: $vgpr28_vgpr29
                                        ; implicit-def: $vgpr30_vgpr31
	s_and_saveexec_b64 s[44:45], s[42:43]
	s_cbranch_execz .LBB1432_95
; %bb.111:                              ;   in Loop: Header=BB1432_96 Depth=1
	v_lshl_add_u32 v24, v4, 2, v87
	s_barrier
	ds_write_b32 v87, v83
	ds_write_b32 v96, v82
	;; [unrolled: 1-line block ×4, first 2 shown]
	s_waitcnt lgkmcnt(0)
	s_barrier
	ds_read_b32 v35, v55
	ds_read_b32 v37, v64
	;; [unrolled: 1-line block ×4, first 2 shown]
	s_waitcnt lgkmcnt(0)
	s_barrier
	ds_write_b64 v24, v[22:23]
	v_lshl_add_u32 v24, v36, 2, v96
	ds_write_b64 v24, v[15:16]
	v_lshl_add_u32 v24, v34, 2, v97
	;; [unrolled: 2-line block ×3, first 2 shown]
	ds_write_b64 v24, v[8:9]
	s_waitcnt lgkmcnt(0)
	s_barrier
	ds_read_b64 v[24:25], v67
	ds_read_b64 v[26:27], v68
	;; [unrolled: 1-line block ×4, first 2 shown]
	v_add_u32_e32 v71, -8, v71
	s_xor_b64 s[60:61], exec, -1
	s_waitcnt lgkmcnt(0)
	s_barrier
	s_branch .LBB1432_95
.LBB1432_112:
	flat_load_dwordx2 v[32:33], v[4:5]
	s_or_b64 exec, exec, s[22:23]
                                        ; implicit-def: $vgpr34_vgpr35
	s_and_saveexec_b64 s[22:23], s[4:5]
	s_cbranch_execz .LBB1432_20
.LBB1432_113:
	flat_load_dwordx2 v[34:35], v[4:5] offset:512
	s_or_b64 exec, exec, s[22:23]
                                        ; implicit-def: $vgpr36_vgpr37
	s_and_saveexec_b64 s[4:5], s[6:7]
	s_cbranch_execz .LBB1432_21
.LBB1432_114:
	flat_load_dwordx2 v[36:37], v[4:5] offset:1024
	s_or_b64 exec, exec, s[4:5]
                                        ; implicit-def: $vgpr38_vgpr39
	s_and_saveexec_b64 s[4:5], s[10:11]
	s_cbranch_execz .LBB1432_22
.LBB1432_115:
	flat_load_dwordx2 v[38:39], v[4:5] offset:1536
	s_or_b64 exec, exec, s[4:5]
                                        ; implicit-def: $vgpr48_vgpr49
	s_and_saveexec_b64 s[4:5], s[20:21]
	s_cbranch_execz .LBB1432_23
.LBB1432_116:
	flat_load_dwordx2 v[48:49], v[4:5] offset:2048
	s_or_b64 exec, exec, s[4:5]
                                        ; implicit-def: $vgpr50_vgpr51
	s_and_saveexec_b64 s[4:5], s[14:15]
	s_cbranch_execz .LBB1432_24
.LBB1432_117:
	flat_load_dwordx2 v[50:51], v[4:5] offset:2560
	s_or_b64 exec, exec, s[4:5]
                                        ; implicit-def: $vgpr52_vgpr53
	s_and_saveexec_b64 s[4:5], s[16:17]
	s_cbranch_execz .LBB1432_25
.LBB1432_118:
	flat_load_dwordx2 v[52:53], v[4:5] offset:3072
	s_or_b64 exec, exec, s[4:5]
                                        ; implicit-def: $vgpr80_vgpr81
	s_and_saveexec_b64 s[4:5], s[18:19]
	s_cbranch_execnz .LBB1432_26
	s_branch .LBB1432_27
.LBB1432_119:
	flat_store_dwordx2 v[0:1], v[20:21]
	s_or_b64 exec, exec, s[24:25]
	s_and_saveexec_b64 s[4:5], s[6:7]
	s_cbranch_execz .LBB1432_71
.LBB1432_120:
	flat_store_dwordx2 v[0:1], v[22:23] offset:2048
	s_or_b64 exec, exec, s[4:5]
	s_and_saveexec_b64 s[4:5], s[10:11]
	s_cbranch_execz .LBB1432_72
.LBB1432_121:
	v_add_co_u32_e32 v2, vcc, 0x1000, v0
	v_addc_co_u32_e32 v3, vcc, 0, v1, vcc
	flat_store_dwordx2 v[2:3], v[16:17]
	s_or_b64 exec, exec, s[4:5]
	s_and_saveexec_b64 s[4:5], s[22:23]
	s_cbranch_execz .LBB1432_73
.LBB1432_122:
	v_add_co_u32_e32 v2, vcc, 0x1000, v0
	v_addc_co_u32_e32 v3, vcc, 0, v1, vcc
	flat_store_dwordx2 v[2:3], v[18:19] offset:2048
	s_or_b64 exec, exec, s[4:5]
	s_and_saveexec_b64 s[4:5], s[14:15]
	s_cbranch_execz .LBB1432_74
.LBB1432_123:
	v_add_co_u32_e32 v2, vcc, 0x2000, v0
	v_addc_co_u32_e32 v3, vcc, 0, v1, vcc
	flat_store_dwordx2 v[2:3], v[12:13]
	s_or_b64 exec, exec, s[4:5]
	s_and_saveexec_b64 s[4:5], s[16:17]
	s_cbranch_execz .LBB1432_75
.LBB1432_124:
	v_add_co_u32_e32 v2, vcc, 0x2000, v0
	v_addc_co_u32_e32 v3, vcc, 0, v1, vcc
	flat_store_dwordx2 v[2:3], v[14:15] offset:2048
	s_or_b64 exec, exec, s[4:5]
	s_and_saveexec_b64 s[4:5], s[18:19]
	s_cbranch_execz .LBB1432_76
.LBB1432_125:
	v_add_co_u32_e32 v2, vcc, 0x3000, v0
	v_addc_co_u32_e32 v3, vcc, 0, v1, vcc
	flat_store_dwordx2 v[2:3], v[8:9]
	s_or_b64 exec, exec, s[4:5]
	s_and_saveexec_b64 s[4:5], s[20:21]
	s_cbranch_execnz .LBB1432_77
	s_branch .LBB1432_78
.LBB1432_126:
	s_or_b64 exec, exec, s[58:59]
	v_lshl_add_u32 v1, v4, 2, v87
	s_barrier
	ds_write_b32 v87, v83
	ds_write_b32 v96, v82
	;; [unrolled: 1-line block ×4, first 2 shown]
	s_waitcnt lgkmcnt(0)
	s_barrier
	ds_read2st64_b32 v[26:27], v51 offset1:4
	ds_read2st64_b32 v[24:25], v51 offset0:8 offset1:12
	s_waitcnt lgkmcnt(0)
	s_barrier
	ds_write_b64 v1, v[22:23]
	v_lshl_add_u32 v1, v36, 2, v96
	ds_write_b64 v1, v[15:16]
	v_lshl_add_u32 v1, v34, 2, v97
	;; [unrolled: 2-line block ×4, first 2 shown]
	s_waitcnt lgkmcnt(0)
	s_barrier
	ds_read2st64_b64 v[12:15], v1 offset1:4
	ds_read2st64_b64 v[8:11], v1 offset0:8 offset1:12
	v_add_co_u32_e32 v4, vcc, v2, v18
	v_mov_b32_e32 v1, 0
	v_addc_co_u32_e32 v5, vcc, v3, v19, vcc
	v_lshlrev_b64 v[2:3], 2, v[0:1]
	s_waitcnt lgkmcnt(0)
	v_add_co_u32_e32 v2, vcc, v4, v2
	v_addc_co_u32_e32 v3, vcc, v5, v3, vcc
	v_cmp_lt_u32_e32 vcc, v0, v86
	s_barrier
	s_and_saveexec_b64 s[6:7], vcc
	s_cbranch_execz .LBB1432_128
; %bb.127:
	v_bfrev_b32_e32 v4, 1
	v_cmp_lt_i32_e64 s[4:5], -1, v26
	v_cndmask_b32_e64 v4, v4, -1, s[4:5]
	v_xor_b32_e32 v4, v4, v26
	flat_store_dword v[2:3], v4
.LBB1432_128:
	s_or_b64 exec, exec, s[6:7]
	v_add_u32_e32 v4, 0x100, v0
	v_cmp_lt_u32_e64 s[4:5], v4, v86
	s_and_saveexec_b64 s[10:11], s[4:5]
	s_cbranch_execz .LBB1432_130
; %bb.129:
	v_bfrev_b32_e32 v4, 1
	v_cmp_lt_i32_e64 s[6:7], -1, v27
	v_cndmask_b32_e64 v4, v4, -1, s[6:7]
	v_xor_b32_e32 v4, v4, v27
	flat_store_dword v[2:3], v4 offset:1024
.LBB1432_130:
	s_or_b64 exec, exec, s[10:11]
	v_add_u32_e32 v4, 0x200, v0
	v_cmp_lt_u32_e64 s[6:7], v4, v86
	s_and_saveexec_b64 s[14:15], s[6:7]
	s_cbranch_execz .LBB1432_132
; %bb.131:
	v_bfrev_b32_e32 v4, 1
	v_cmp_lt_i32_e64 s[10:11], -1, v24
	v_cndmask_b32_e64 v4, v4, -1, s[10:11]
	v_xor_b32_e32 v4, v4, v24
	flat_store_dword v[2:3], v4 offset:2048
.LBB1432_132:
	;; [unrolled: 12-line block ×3, first 2 shown]
	s_or_b64 exec, exec, s[16:17]
	v_add_co_u32_e64 v2, s[14:15], v6, v20
	v_lshlrev_b64 v[0:1], 3, v[0:1]
	v_addc_co_u32_e64 v3, s[14:15], v7, v21, s[14:15]
	v_add_co_u32_e64 v0, s[14:15], v2, v0
	v_addc_co_u32_e64 v1, s[14:15], v3, v1, s[14:15]
	s_and_saveexec_b64 s[14:15], vcc
	s_cbranch_execnz .LBB1432_167
; %bb.135:
	s_or_b64 exec, exec, s[14:15]
	s_and_saveexec_b64 s[14:15], s[4:5]
	s_cbranch_execnz .LBB1432_168
.LBB1432_136:
	s_or_b64 exec, exec, s[14:15]
	s_and_saveexec_b64 s[4:5], s[6:7]
	s_cbranch_execnz .LBB1432_169
.LBB1432_137:
	s_or_b64 exec, exec, s[4:5]
	s_and_saveexec_b64 s[4:5], s[10:11]
	s_cbranch_execz .LBB1432_139
.LBB1432_138:
	v_add_co_u32_e32 v0, vcc, 0x1000, v0
	v_addc_co_u32_e32 v1, vcc, 0, v1, vcc
	flat_store_dwordx2 v[0:1], v[10:11] offset:2048
.LBB1432_139:
	s_or_b64 exec, exec, s[4:5]
                                        ; implicit-def: $vgpr86
                                        ; implicit-def: $vgpr0
                                        ; implicit-def: $vgpr1
                                        ; implicit-def: $vgpr2
                                        ; implicit-def: $vgpr3
                                        ; implicit-def: $vgpr4
                                        ; implicit-def: $vgpr5
                                        ; implicit-def: $vgpr6
                                        ; implicit-def: $vgpr7
                                        ; implicit-def: $vgpr8
                                        ; implicit-def: $vgpr10
                                        ; implicit-def: $vgpr11
                                        ; implicit-def: $vgpr12
                                        ; implicit-def: $vgpr31
                                        ; implicit-def: $vgpr20
                                        ; implicit-def: $vgpr22
                                        ; implicit-def: $vgpr18
.LBB1432_140:
	s_andn2_saveexec_b64 s[4:5], s[56:57]
	s_cbranch_execz .LBB1432_199
; %bb.141:
	s_load_dwordx2 s[4:5], s[8:9], 0x0
	v_mov_b32_e32 v9, 0
	v_and_b32_e32 v17, 0x3ff, v31
	v_lshlrev_b64 v[15:16], 2, v[8:9]
	s_waitcnt lgkmcnt(0)
	s_cmp_lt_u32 s13, s5
	s_cselect_b32 s5, 14, 20
	s_add_u32 s6, s8, s5
	s_addc_u32 s7, s9, 0
	s_cmp_lt_u32 s12, s4
	s_cselect_b32 s4, 12, 18
	s_add_u32 s4, s8, s4
	global_load_ushort v13, v9, s[6:7]
	s_addc_u32 s5, s9, 0
	global_load_ushort v14, v9, s[4:5]
	s_waitcnt vmcnt(0)
	v_mad_u32_u24 v13, v22, v13, v20
	v_mad_u64_u32 v[13:14], s[4:5], v13, v14, v[17:18]
	s_movk_i32 s4, 0x100
	v_cmp_lt_u32_e32 vcc, s4, v86
	s_and_saveexec_b64 s[4:5], vcc
	s_xor_b64 s[42:43], exec, s[4:5]
	s_cbranch_execz .LBB1432_179
; %bb.142:
	v_mbcnt_hi_u32_b32 v25, -1, v18
	v_add_co_u32_e32 v0, vcc, v0, v15
	v_and_b32_e32 v24, 63, v25
	v_lshlrev_b32_e32 v14, 1, v13
	v_addc_co_u32_e32 v1, vcc, v1, v16, vcc
	v_and_b32_e32 v20, 0xffffff80, v14
	v_lshlrev_b32_e32 v14, 2, v24
	v_add_co_u32_e32 v14, vcc, v0, v14
	v_mov_b32_e32 v21, v9
	v_addc_co_u32_e32 v18, vcc, 0, v1, vcc
	v_lshlrev_b64 v[0:1], 2, v[20:21]
	v_add_co_u32_e32 v0, vcc, v14, v0
	v_addc_co_u32_e32 v1, vcc, v18, v1, vcc
	v_or_b32_e32 v14, v24, v20
	v_bfrev_b32_e32 v18, -2
	v_cmp_lt_u32_e32 vcc, v14, v86
	v_mov_b32_e32 v19, v18
	s_and_saveexec_b64 s[4:5], vcc
	s_cbranch_execz .LBB1432_144
; %bb.143:
	flat_load_dword v22, v[0:1]
	v_mov_b32_e32 v23, v18
	s_waitcnt vmcnt(0) lgkmcnt(0)
	v_mov_b32_e32 v18, v22
	v_mov_b32_e32 v19, v23
.LBB1432_144:
	s_or_b64 exec, exec, s[4:5]
	v_or_b32_e32 v14, 64, v14
	v_cmp_lt_u32_e64 s[4:5], v14, v86
	s_and_saveexec_b64 s[6:7], s[4:5]
	s_cbranch_execz .LBB1432_146
; %bb.145:
	flat_load_dword v19, v[0:1] offset:256
.LBB1432_146:
	s_or_b64 exec, exec, s[6:7]
	v_lshlrev_b64 v[0:1], 3, v[8:9]
	v_lshlrev_b32_e32 v8, 3, v24
	v_add_co_u32_e64 v4, s[6:7], v4, v0
	v_addc_co_u32_e64 v5, s[6:7], v5, v1, s[6:7]
	v_add_co_u32_e64 v8, s[6:7], v4, v8
	v_addc_co_u32_e64 v9, s[6:7], 0, v5, s[6:7]
	v_lshlrev_b64 v[4:5], 3, v[20:21]
	v_mov_b32_e32 v22, 0
	v_mov_b32_e32 v20, 0
	v_add_co_u32_e64 v4, s[6:7], v8, v4
	v_mov_b32_e32 v23, 0
	v_mov_b32_e32 v21, 0
	v_addc_co_u32_e64 v5, s[6:7], v9, v5, s[6:7]
	s_and_saveexec_b64 s[6:7], vcc
	s_cbranch_execz .LBB1432_148
; %bb.147:
	flat_load_dwordx2 v[20:21], v[4:5]
.LBB1432_148:
	s_or_b64 exec, exec, s[6:7]
	s_and_saveexec_b64 s[6:7], s[4:5]
	s_cbranch_execz .LBB1432_150
; %bb.149:
	flat_load_dwordx2 v[22:23], v[4:5] offset:512
.LBB1432_150:
	s_or_b64 exec, exec, s[6:7]
	v_bfrev_b32_e32 v14, 1
	v_cmp_lt_i32_e32 vcc, -1, v18
	v_lshl_add_u32 v8, v17, 4, v12
	v_cndmask_b32_e32 v4, -1, v14, vcc
	s_waitcnt vmcnt(0) lgkmcnt(0)
	v_cmp_lt_i32_e32 vcc, -1, v19
	s_getpc_b64 s[4:5]
	s_add_u32 s4, s4, _ZN7rocprim17ROCPRIM_400000_NS16block_radix_sortIfLj256ELj2ElLj1ELj1ELj8ELNS0_26block_radix_rank_algorithmE2ELNS0_18block_padding_hintE2ELNS0_4arch9wavefront6targetE1EE19radix_bits_per_passE@rel32@lo+4
	s_addc_u32 s5, s5, _ZN7rocprim17ROCPRIM_400000_NS16block_radix_sortIfLj256ELj2ElLj1ELj1ELj8ELNS0_26block_radix_rank_algorithmE2ELNS0_18block_padding_hintE2ELNS0_4arch9wavefront6targetE1EE19radix_bits_per_passE@rel32@hi+12
	v_add_u32_e32 v26, 16, v8
	v_add_u32_e32 v27, 20, v8
	;; [unrolled: 1-line block ×4, first 2 shown]
	v_and_b32_e32 v8, 15, v25
	v_xor_b32_e32 v50, v4, v18
	v_cndmask_b32_e32 v4, -1, v14, vcc
	s_load_dword s58, s[4:5], 0x0
	v_cmp_eq_u32_e32 vcc, 0, v8
	v_cmp_lt_u32_e64 s[4:5], 1, v8
	v_cmp_lt_u32_e64 s[6:7], 3, v8
	;; [unrolled: 1-line block ×3, first 2 shown]
	v_and_b32_e32 v8, 16, v25
	v_cmp_eq_u32_e64 s[10:11], 0, v8
	v_and_b32_e32 v8, 0x3c0, v17
	v_min_u32_e32 v8, 0xc0, v8
	v_xor_b32_e32 v51, v4, v19
	v_lshlrev_b32_e32 v4, 2, v17
	v_or_b32_e32 v8, 63, v8
	v_cmp_eq_u32_e64 s[14:15], v17, v8
	v_subrev_co_u32_e64 v8, s[20:21], 1, v25
	v_and_b32_e32 v9, 64, v25
	v_add_co_u32_e64 v31, s[24:25], v12, v4
	v_and_b32_e32 v4, 3, v25
	v_cmp_lt_i32_e64 s[22:23], v8, v9
	v_cmp_eq_u32_e64 s[24:25], 0, v4
	v_cmp_lt_u32_e64 s[26:27], 1, v4
	v_lshlrev_b32_e32 v4, 1, v17
	s_movk_i32 s28, 0x780
	v_cndmask_b32_e64 v8, v8, v25, s[22:23]
	v_and_or_b32 v4, v4, s28, v24
	v_lshlrev_b32_e32 v32, 2, v8
	v_lshrrev_b32_e32 v8, 4, v17
	v_lshlrev_b32_e32 v4, 2, v4
	v_and_b32_e32 v8, 60, v8
	v_add_u32_e32 v35, v12, v4
	v_add_u32_e32 v33, v12, v8
	;; [unrolled: 1-line block ×3, first 2 shown]
	v_mov_b32_e32 v5, 0
	v_lshrrev_b32_e32 v30, 6, v13
	v_cmp_lt_u32_e64 s[12:13], 31, v25
	v_cmp_gt_u32_e64 s[16:17], 4, v17
	v_cmp_lt_u32_e64 s[18:19], 63, v17
	v_cmp_eq_u32_e64 s[22:23], 0, v17
	v_add_u32_e32 v34, -4, v33
	v_add_u32_e32 v36, 0x100, v35
	v_add_u32_e32 v38, 0x200, v37
	v_sub_u32_e32 v39, v11, v10
	s_mov_b64 s[44:45], 0
	s_brev_b32 s59, -2
	s_waitcnt lgkmcnt(0)
	s_barrier
	s_branch .LBB1432_152
.LBB1432_151:                           ;   in Loop: Header=BB1432_152 Depth=1
	s_or_b64 exec, exec, s[40:41]
	s_and_b64 s[28:29], exec, s[56:57]
	s_or_b64 s[44:45], s[28:29], s[44:45]
	s_andn2_b64 exec, exec, s[44:45]
	s_cbranch_execz .LBB1432_170
.LBB1432_152:                           ; =>This Inner Loop Header: Depth=1
	v_mov_b32_e32 v49, v50
	v_min_u32_e32 v4, s58, v39
	v_mov_b32_e32 v8, v22
	v_lshlrev_b32_e64 v4, v4, -1
	v_cmp_ne_u32_e64 s[28:29], s59, v49
	v_mov_b32_e32 v9, v23
	v_not_b32_e32 v23, v4
	v_cndmask_b32_e64 v4, v14, v49, s[28:29]
	v_lshrrev_b32_e32 v4, v10, v4
	v_and_b32_e32 v22, v4, v23
	v_mov_b32_e32 v18, v20
	v_lshl_add_u32 v4, v22, 2, v30
	v_mov_b32_e32 v19, v21
	v_lshlrev_b64 v[20:21], 2, v[4:5]
	v_mov_b32_e32 v48, v51
	v_add_co_u32_e64 v4, s[28:29], v12, v20
	v_add_co_u32_e64 v4, s[28:29], 16, v4
	v_and_b32_e32 v20, 1, v22
	v_add_co_u32_e64 v21, s[28:29], -1, v20
	v_addc_co_u32_e64 v24, s[28:29], 0, -1, s[28:29]
	v_cmp_ne_u32_e64 s[28:29], 0, v20
	v_xor_b32_e32 v20, s29, v24
	v_xor_b32_e32 v21, s28, v21
	v_and_b32_e32 v24, exec_hi, v20
	v_and_b32_e32 v25, exec_lo, v21
	v_lshlrev_b32_e32 v21, 30, v22
	v_mov_b32_e32 v20, v5
	v_cmp_gt_i64_e64 s[28:29], 0, v[20:21]
	v_not_b32_e32 v20, v21
	v_ashrrev_i32_e32 v20, 31, v20
	v_xor_b32_e32 v21, s29, v20
	v_xor_b32_e32 v20, s28, v20
	v_and_b32_e32 v24, v24, v21
	v_and_b32_e32 v25, v25, v20
	v_lshlrev_b32_e32 v21, 29, v22
	v_mov_b32_e32 v20, v5
	v_cmp_gt_i64_e64 s[28:29], 0, v[20:21]
	v_not_b32_e32 v20, v21
	v_ashrrev_i32_e32 v20, 31, v20
	v_xor_b32_e32 v21, s29, v20
	v_xor_b32_e32 v20, s28, v20
	v_and_b32_e32 v24, v24, v21
	v_and_b32_e32 v25, v25, v20
	;; [unrolled: 9-line block ×7, first 2 shown]
	v_mbcnt_lo_u32_b32 v22, v20, 0
	v_mbcnt_hi_u32_b32 v22, v21, v22
	v_cmp_ne_u64_e64 s[28:29], 0, v[20:21]
	v_cmp_eq_u32_e64 s[40:41], 0, v22
	s_and_b64 s[40:41], s[28:29], s[40:41]
	ds_write_b32 v26, v5
	ds_write_b32 v27, v5
	ds_write_b32 v28, v5
	ds_write_b32 v29, v5
	s_waitcnt lgkmcnt(0)
	s_barrier
	; wave barrier
	s_and_saveexec_b64 s[28:29], s[40:41]
; %bb.153:                              ;   in Loop: Header=BB1432_152 Depth=1
	v_bcnt_u32_b32 v20, v20, 0
	v_bcnt_u32_b32 v20, v21, v20
	ds_write_b32 v4, v20
; %bb.154:                              ;   in Loop: Header=BB1432_152 Depth=1
	s_or_b64 exec, exec, s[28:29]
	v_cmp_ne_u32_e64 s[28:29], s59, v48
	v_cndmask_b32_e64 v20, v14, v48, s[28:29]
	v_lshrrev_b32_e32 v20, v10, v20
	v_and_b32_e32 v25, v20, v23
	v_lshl_add_u32 v20, v25, 2, v30
	v_lshl_add_u32 v20, v20, 2, v12
	; wave barrier
	v_add_u32_e32 v24, 16, v20
	ds_read_b32 v23, v20 offset:16
	v_and_b32_e32 v20, 1, v25
	v_add_co_u32_e64 v21, s[28:29], -1, v20
	v_addc_co_u32_e64 v50, s[28:29], 0, -1, s[28:29]
	v_cmp_ne_u32_e64 s[28:29], 0, v20
	v_xor_b32_e32 v20, s29, v50
	v_xor_b32_e32 v21, s28, v21
	v_and_b32_e32 v50, exec_hi, v20
	v_and_b32_e32 v51, exec_lo, v21
	v_lshlrev_b32_e32 v21, 30, v25
	v_mov_b32_e32 v20, v5
	v_cmp_gt_i64_e64 s[28:29], 0, v[20:21]
	v_not_b32_e32 v20, v21
	v_ashrrev_i32_e32 v20, 31, v20
	v_xor_b32_e32 v21, s29, v20
	v_xor_b32_e32 v20, s28, v20
	v_and_b32_e32 v50, v50, v21
	v_and_b32_e32 v51, v51, v20
	v_lshlrev_b32_e32 v21, 29, v25
	v_mov_b32_e32 v20, v5
	v_cmp_gt_i64_e64 s[28:29], 0, v[20:21]
	v_not_b32_e32 v20, v21
	v_ashrrev_i32_e32 v20, 31, v20
	v_xor_b32_e32 v21, s29, v20
	v_xor_b32_e32 v20, s28, v20
	v_and_b32_e32 v50, v50, v21
	v_and_b32_e32 v51, v51, v20
	;; [unrolled: 9-line block ×7, first 2 shown]
	v_mbcnt_lo_u32_b32 v25, v20, 0
	v_mbcnt_hi_u32_b32 v25, v21, v25
	v_cmp_ne_u64_e64 s[28:29], 0, v[20:21]
	v_cmp_eq_u32_e64 s[40:41], 0, v25
	s_and_b64 s[40:41], s[28:29], s[40:41]
	; wave barrier
	s_and_saveexec_b64 s[28:29], s[40:41]
	s_cbranch_execz .LBB1432_156
; %bb.155:                              ;   in Loop: Header=BB1432_152 Depth=1
	v_bcnt_u32_b32 v20, v20, 0
	v_bcnt_u32_b32 v20, v21, v20
	s_waitcnt lgkmcnt(0)
	v_add_u32_e32 v20, v23, v20
	ds_write_b32 v24, v20
.LBB1432_156:                           ;   in Loop: Header=BB1432_152 Depth=1
	s_or_b64 exec, exec, s[28:29]
	; wave barrier
	s_waitcnt lgkmcnt(0)
	s_barrier
	ds_read_b32 v50, v26
	ds_read_b32 v21, v27
	;; [unrolled: 1-line block ×4, first 2 shown]
	s_waitcnt lgkmcnt(2)
	v_add_u32_e32 v52, v21, v50
	s_waitcnt lgkmcnt(0)
	v_add3_u32 v51, v52, v20, v51
	s_nop 1
	v_mov_b32_dpp v52, v51 row_shr:1 row_mask:0xf bank_mask:0xf
	v_cndmask_b32_e64 v52, v52, 0, vcc
	v_add_u32_e32 v51, v52, v51
	s_nop 1
	v_mov_b32_dpp v52, v51 row_shr:2 row_mask:0xf bank_mask:0xf
	v_cndmask_b32_e64 v52, 0, v52, s[4:5]
	v_add_u32_e32 v51, v51, v52
	s_nop 1
	v_mov_b32_dpp v52, v51 row_shr:4 row_mask:0xf bank_mask:0xf
	v_cndmask_b32_e64 v52, 0, v52, s[6:7]
	;; [unrolled: 4-line block ×3, first 2 shown]
	v_add_u32_e32 v51, v51, v52
	s_nop 1
	v_mov_b32_dpp v52, v51 row_bcast:15 row_mask:0xf bank_mask:0xf
	v_cndmask_b32_e64 v52, v52, 0, s[10:11]
	v_add_u32_e32 v51, v51, v52
	s_nop 1
	v_mov_b32_dpp v52, v51 row_bcast:31 row_mask:0xf bank_mask:0xf
	v_cndmask_b32_e64 v52, 0, v52, s[12:13]
	v_add_u32_e32 v51, v51, v52
	s_and_saveexec_b64 s[28:29], s[14:15]
; %bb.157:                              ;   in Loop: Header=BB1432_152 Depth=1
	ds_write_b32 v33, v51
; %bb.158:                              ;   in Loop: Header=BB1432_152 Depth=1
	s_or_b64 exec, exec, s[28:29]
	s_waitcnt lgkmcnt(0)
	s_barrier
	s_and_saveexec_b64 s[28:29], s[16:17]
	s_cbranch_execz .LBB1432_160
; %bb.159:                              ;   in Loop: Header=BB1432_152 Depth=1
	ds_read_b32 v52, v31
	s_waitcnt lgkmcnt(0)
	s_nop 0
	v_mov_b32_dpp v53, v52 row_shr:1 row_mask:0xf bank_mask:0xf
	v_cndmask_b32_e64 v53, v53, 0, s[24:25]
	v_add_u32_e32 v52, v53, v52
	s_nop 1
	v_mov_b32_dpp v53, v52 row_shr:2 row_mask:0xf bank_mask:0xf
	v_cndmask_b32_e64 v53, 0, v53, s[26:27]
	v_add_u32_e32 v52, v52, v53
	ds_write_b32 v31, v52
.LBB1432_160:                           ;   in Loop: Header=BB1432_152 Depth=1
	s_or_b64 exec, exec, s[28:29]
	v_mov_b32_e32 v52, 0
	s_waitcnt lgkmcnt(0)
	s_barrier
	s_and_saveexec_b64 s[28:29], s[18:19]
; %bb.161:                              ;   in Loop: Header=BB1432_152 Depth=1
	ds_read_b32 v52, v34
; %bb.162:                              ;   in Loop: Header=BB1432_152 Depth=1
	s_or_b64 exec, exec, s[28:29]
	s_waitcnt lgkmcnt(0)
	v_add_u32_e32 v51, v52, v51
	ds_bpermute_b32 v51, v32, v51
	v_add_u32_e32 v10, 8, v10
	v_cmp_lt_u32_e64 s[28:29], v10, v11
	s_mov_b64 s[56:57], -1
	s_waitcnt lgkmcnt(0)
	v_cndmask_b32_e64 v51, v51, v52, s[20:21]
	v_cndmask_b32_e64 v51, v51, 0, s[22:23]
	v_add_u32_e32 v50, v51, v50
	v_add_u32_e32 v21, v50, v21
	;; [unrolled: 1-line block ×3, first 2 shown]
	ds_write_b32 v26, v51
	ds_write_b32 v27, v50
	ds_write_b32 v28, v21
	ds_write_b32 v29, v20
	s_waitcnt lgkmcnt(0)
	s_barrier
	ds_read_b32 v4, v4
	ds_read_b32 v20, v24
	s_waitcnt lgkmcnt(0)
                                        ; implicit-def: $vgpr51
                                        ; implicit-def: $vgpr50
	v_add_u32_e32 v4, v4, v22
	v_add3_u32 v24, v25, v23, v20
	v_lshlrev_b64 v[20:21], 2, v[4:5]
	v_mov_b32_e32 v25, v5
	v_add_co_u32_e64 v52, s[40:41], v12, v20
	v_lshlrev_b64 v[20:21], 2, v[24:25]
                                        ; implicit-def: $vgpr22_vgpr23
	v_add_co_u32_e64 v25, s[40:41], v12, v20
                                        ; implicit-def: $vgpr20_vgpr21
	s_and_saveexec_b64 s[40:41], s[28:29]
	s_cbranch_execz .LBB1432_151
; %bb.163:                              ;   in Loop: Header=BB1432_152 Depth=1
	v_lshl_add_u32 v20, v4, 2, v52
	s_barrier
	ds_write_b32 v52, v49
	ds_write_b32 v25, v48
	s_waitcnt lgkmcnt(0)
	s_barrier
	ds_read_b32 v50, v35
	ds_read_b32 v51, v36
	s_waitcnt lgkmcnt(0)
	s_barrier
	ds_write_b64 v20, v[18:19]
	v_lshl_add_u32 v20, v24, 2, v25
	ds_write_b64 v20, v[8:9]
	s_waitcnt lgkmcnt(0)
	s_barrier
	ds_read_b64 v[20:21], v37
	ds_read_b64 v[22:23], v38
	v_add_u32_e32 v39, -8, v39
	s_xor_b64 s[56:57], exec, -1
	s_waitcnt lgkmcnt(0)
	s_barrier
	s_branch .LBB1432_151
.LBB1432_164:
	flat_load_dwordx2 v[24:25], v[4:5]
	s_or_b64 exec, exec, s[14:15]
                                        ; implicit-def: $vgpr26_vgpr27
	s_and_saveexec_b64 s[14:15], s[4:5]
	s_cbranch_execz .LBB1432_91
.LBB1432_165:
	flat_load_dwordx2 v[26:27], v[4:5] offset:512
	s_or_b64 exec, exec, s[14:15]
                                        ; implicit-def: $vgpr28_vgpr29
	s_and_saveexec_b64 s[4:5], s[6:7]
	s_cbranch_execz .LBB1432_92
.LBB1432_166:
	flat_load_dwordx2 v[28:29], v[4:5] offset:1024
	s_or_b64 exec, exec, s[4:5]
                                        ; implicit-def: $vgpr30_vgpr31
	s_and_saveexec_b64 s[4:5], s[10:11]
	s_cbranch_execnz .LBB1432_93
	s_branch .LBB1432_94
.LBB1432_167:
	flat_store_dwordx2 v[0:1], v[12:13]
	s_or_b64 exec, exec, s[14:15]
	s_and_saveexec_b64 s[14:15], s[4:5]
	s_cbranch_execz .LBB1432_136
.LBB1432_168:
	flat_store_dwordx2 v[0:1], v[14:15] offset:2048
	s_or_b64 exec, exec, s[14:15]
	s_and_saveexec_b64 s[4:5], s[6:7]
	s_cbranch_execz .LBB1432_137
.LBB1432_169:
	v_add_co_u32_e32 v2, vcc, 0x1000, v0
	v_addc_co_u32_e32 v3, vcc, 0, v1, vcc
	flat_store_dwordx2 v[2:3], v[8:9]
	s_or_b64 exec, exec, s[4:5]
	s_and_saveexec_b64 s[4:5], s[10:11]
	s_cbranch_execnz .LBB1432_138
	s_branch .LBB1432_139
.LBB1432_170:
	s_or_b64 exec, exec, s[44:45]
	v_lshl_add_u32 v4, v4, 2, v52
	s_barrier
	ds_write_b32 v52, v49
	ds_write_b32 v25, v48
	s_waitcnt lgkmcnt(0)
	s_barrier
	ds_read2st64_b32 v[20:21], v31 offset1:4
	s_waitcnt lgkmcnt(0)
	s_barrier
	ds_write_b64 v4, v[18:19]
	v_lshl_add_u32 v4, v24, 2, v25
	ds_write_b64 v4, v[8:9]
	v_lshl_add_u32 v4, v17, 3, v12
	s_waitcnt lgkmcnt(0)
	s_barrier
	ds_read2st64_b64 v[8:11], v4 offset1:4
	v_add_co_u32_e32 v4, vcc, v2, v15
	v_mov_b32_e32 v14, 0
	v_addc_co_u32_e32 v5, vcc, v3, v16, vcc
	v_lshlrev_b64 v[2:3], 2, v[13:14]
	s_waitcnt lgkmcnt(0)
	v_add_co_u32_e32 v2, vcc, v4, v2
	v_addc_co_u32_e32 v3, vcc, v5, v3, vcc
	v_cmp_lt_u32_e32 vcc, v13, v86
	s_barrier
	s_and_saveexec_b64 s[6:7], vcc
	s_cbranch_execz .LBB1432_172
; %bb.171:
	v_bfrev_b32_e32 v4, 1
	v_cmp_lt_i32_e64 s[4:5], -1, v20
	v_cndmask_b32_e64 v4, v4, -1, s[4:5]
	v_xor_b32_e32 v4, v4, v20
	flat_store_dword v[2:3], v4
.LBB1432_172:
	s_or_b64 exec, exec, s[6:7]
	v_add_u32_e32 v4, 0x100, v13
	v_cmp_lt_u32_e64 s[4:5], v4, v86
	s_and_saveexec_b64 s[8:9], s[4:5]
	s_cbranch_execz .LBB1432_174
; %bb.173:
	v_bfrev_b32_e32 v4, 1
	v_cmp_lt_i32_e64 s[6:7], -1, v21
	v_cndmask_b32_e64 v4, v4, -1, s[6:7]
	v_xor_b32_e32 v4, v4, v21
	flat_store_dword v[2:3], v4 offset:1024
.LBB1432_174:
	s_or_b64 exec, exec, s[8:9]
	v_add_co_u32_e64 v2, s[6:7], v6, v0
	v_addc_co_u32_e64 v3, s[6:7], v7, v1, s[6:7]
	v_lshlrev_b64 v[0:1], 3, v[13:14]
	v_add_co_u32_e64 v0, s[6:7], v2, v0
	v_addc_co_u32_e64 v1, s[6:7], v3, v1, s[6:7]
	s_and_saveexec_b64 s[6:7], vcc
	s_cbranch_execz .LBB1432_176
; %bb.175:
	flat_store_dwordx2 v[0:1], v[8:9]
.LBB1432_176:
	s_or_b64 exec, exec, s[6:7]
	s_and_saveexec_b64 s[6:7], s[4:5]
	s_cbranch_execz .LBB1432_178
; %bb.177:
	flat_store_dwordx2 v[0:1], v[10:11] offset:2048
.LBB1432_178:
	s_or_b64 exec, exec, s[6:7]
                                        ; implicit-def: $vgpr17
                                        ; implicit-def: $vgpr13_vgpr14
                                        ; implicit-def: $vgpr8_vgpr9
                                        ; implicit-def: $vgpr15_vgpr16
                                        ; implicit-def: $vgpr86
                                        ; implicit-def: $vgpr0
                                        ; implicit-def: $vgpr1
                                        ; implicit-def: $vgpr2
                                        ; implicit-def: $vgpr3
                                        ; implicit-def: $vgpr4
                                        ; implicit-def: $vgpr5
                                        ; implicit-def: $vgpr6
                                        ; implicit-def: $vgpr7
                                        ; implicit-def: $vgpr10
                                        ; implicit-def: $vgpr11
                                        ; implicit-def: $vgpr12
                                        ; implicit-def: $vgpr18
.LBB1432_179:
	s_andn2_saveexec_b64 s[4:5], s[42:43]
	s_cbranch_execz .LBB1432_199
; %bb.180:
	v_mbcnt_hi_u32_b32 v28, -1, v18
	v_bfi_b32 v14, 63, v28, v13
	v_and_b32_e32 v29, 63, v28
	v_and_b32_e32 v20, 0xffffffc0, v13
	v_cmp_lt_u32_e32 vcc, v14, v86
	v_bfrev_b32_e32 v22, -2
	s_and_saveexec_b64 s[6:7], vcc
	s_cbranch_execz .LBB1432_182
; %bb.181:
	v_add_co_u32_e64 v0, s[4:5], v0, v15
	v_addc_co_u32_e64 v1, s[4:5], v1, v16, s[4:5]
	v_lshlrev_b32_e32 v14, 2, v29
	v_mov_b32_e32 v21, 0
	v_add_co_u32_e64 v14, s[4:5], v0, v14
	v_addc_co_u32_e64 v18, s[4:5], 0, v1, s[4:5]
	v_lshlrev_b64 v[0:1], 2, v[20:21]
	v_add_co_u32_e64 v0, s[4:5], v14, v0
	v_addc_co_u32_e64 v1, s[4:5], v18, v1, s[4:5]
	flat_load_dword v22, v[0:1]
.LBB1432_182:
	s_or_b64 exec, exec, s[6:7]
	v_lshlrev_b64 v[0:1], 3, v[8:9]
                                        ; implicit-def: $vgpr18_vgpr19
	s_and_saveexec_b64 s[4:5], vcc
	s_cbranch_execz .LBB1432_184
; %bb.183:
	v_add_co_u32_e32 v4, vcc, v4, v0
	v_addc_co_u32_e32 v5, vcc, v5, v1, vcc
	v_lshlrev_b32_e32 v8, 3, v29
	v_mov_b32_e32 v21, 0
	v_add_co_u32_e32 v8, vcc, v4, v8
	v_addc_co_u32_e32 v9, vcc, 0, v5, vcc
	v_lshlrev_b64 v[4:5], 3, v[20:21]
	v_add_co_u32_e32 v4, vcc, v8, v4
	v_addc_co_u32_e32 v5, vcc, v9, v5, vcc
	flat_load_dwordx2 v[18:19], v[4:5]
.LBB1432_184:
	s_or_b64 exec, exec, s[4:5]
	v_bfrev_b32_e32 v14, 1
	s_waitcnt vmcnt(0) lgkmcnt(0)
	v_cmp_lt_i32_e32 vcc, -1, v22
	v_cndmask_b32_e32 v4, -1, v14, vcc
	v_lshl_add_u32 v5, v17, 4, v12
	v_xor_b32_e32 v8, v4, v22
	s_getpc_b64 s[4:5]
	s_add_u32 s4, s4, _ZN7rocprim17ROCPRIM_400000_NS16block_radix_sortIfLj256ELj1ElLj1ELj1ELj8ELNS0_26block_radix_rank_algorithmE2ELNS0_18block_padding_hintE2ELNS0_4arch9wavefront6targetE1EE19radix_bits_per_passE@rel32@lo+4
	s_addc_u32 s5, s5, _ZN7rocprim17ROCPRIM_400000_NS16block_radix_sortIfLj256ELj1ElLj1ELj1ELj8ELNS0_26block_radix_rank_algorithmE2ELNS0_18block_padding_hintE2ELNS0_4arch9wavefront6targetE1EE19radix_bits_per_passE@rel32@hi+12
	v_add_u32_e32 v20, 16, v5
	v_add_u32_e32 v21, 20, v5
	;; [unrolled: 1-line block ×4, first 2 shown]
	v_and_b32_e32 v5, 15, v28
	s_load_dword s56, s[4:5], 0x0
	v_cmp_eq_u32_e32 vcc, 0, v5
	v_cmp_lt_u32_e64 s[4:5], 1, v5
	v_cmp_lt_u32_e64 s[6:7], 3, v5
	;; [unrolled: 1-line block ×3, first 2 shown]
	v_and_b32_e32 v5, 16, v28
	v_cmp_eq_u32_e64 s[10:11], 0, v5
	v_and_b32_e32 v5, 0x3c0, v17
	v_min_u32_e32 v9, 0xc0, v5
	v_or_b32_e32 v9, 63, v9
	v_cmp_eq_u32_e64 s[14:15], v17, v9
	v_subrev_co_u32_e64 v9, s[20:21], 1, v28
	v_and_b32_e32 v25, 64, v28
	v_lshlrev_b32_e32 v4, 2, v17
	v_cmp_lt_i32_e64 s[22:23], v9, v25
	v_cndmask_b32_e64 v9, v9, v28, s[22:23]
	v_add_co_u32_e64 v25, s[24:25], v12, v4
	v_and_b32_e32 v4, 3, v28
	v_lshlrev_b32_e32 v26, 2, v9
	v_lshrrev_b32_e32 v9, 4, v17
	v_cmp_eq_u32_e64 s[24:25], 0, v4
	v_cmp_lt_u32_e64 s[26:27], 1, v4
	v_or_b32_e32 v4, v29, v5
	v_and_b32_e32 v9, 60, v9
	v_lshlrev_b32_e32 v4, 2, v4
	v_add_u32_e32 v27, v12, v9
	v_add_u32_e32 v29, v12, v4
	v_lshrrev_b32_e32 v24, 6, v13
	v_cmp_lt_u32_e64 s[12:13], 31, v28
	v_cmp_gt_u32_e64 s[16:17], 4, v17
	v_cmp_lt_u32_e64 s[18:19], 63, v17
	v_cmp_eq_u32_e64 s[22:23], 0, v17
	v_add_u32_e32 v28, -4, v27
	v_add_u32_e32 v30, v29, v4
	s_mov_b64 s[42:43], 0
	s_brev_b32 s57, -2
	v_sub_u32_e32 v31, v11, v10
	v_mov_b32_e32 v9, 0
	s_waitcnt lgkmcnt(0)
	s_barrier
	s_branch .LBB1432_186
.LBB1432_185:                           ;   in Loop: Header=BB1432_186 Depth=1
	s_or_b64 exec, exec, s[40:41]
	s_and_b64 s[28:29], exec, s[44:45]
	s_or_b64 s[42:43], s[28:29], s[42:43]
	s_andn2_b64 exec, exec, s[42:43]
	s_cbranch_execz .LBB1432_196
.LBB1432_186:                           ; =>This Inner Loop Header: Depth=1
	v_mov_b32_e32 v32, v8
	v_mov_b32_e32 v4, v18
	v_cmp_ne_u32_e64 s[28:29], s57, v32
	v_mov_b32_e32 v5, v19
	v_cndmask_b32_e64 v18, v14, v32, s[28:29]
	v_min_u32_e32 v8, s56, v31
	v_lshrrev_b32_e32 v18, v10, v18
	v_bfe_u32 v33, v18, 0, v8
	v_lshl_add_u32 v8, v33, 2, v24
	v_lshlrev_b64 v[18:19], 2, v[8:9]
	ds_write_b32 v20, v9
	ds_write_b32 v21, v9
	;; [unrolled: 1-line block ×4, first 2 shown]
	v_add_co_u32_e64 v8, s[28:29], v12, v18
	v_add_co_u32_e64 v8, s[28:29], 16, v8
	v_and_b32_e32 v18, 1, v33
	v_add_co_u32_e64 v19, s[28:29], -1, v18
	v_addc_co_u32_e64 v34, s[28:29], 0, -1, s[28:29]
	v_cmp_ne_u32_e64 s[28:29], 0, v18
	v_xor_b32_e32 v18, s29, v34
	v_xor_b32_e32 v19, s28, v19
	v_and_b32_e32 v34, exec_hi, v18
	v_and_b32_e32 v35, exec_lo, v19
	v_lshlrev_b32_e32 v19, 30, v33
	v_mov_b32_e32 v18, v9
	v_cmp_gt_i64_e64 s[28:29], 0, v[18:19]
	v_not_b32_e32 v18, v19
	v_ashrrev_i32_e32 v18, 31, v18
	v_xor_b32_e32 v19, s29, v18
	v_xor_b32_e32 v18, s28, v18
	v_and_b32_e32 v34, v34, v19
	v_and_b32_e32 v35, v35, v18
	v_lshlrev_b32_e32 v19, 29, v33
	v_mov_b32_e32 v18, v9
	v_cmp_gt_i64_e64 s[28:29], 0, v[18:19]
	v_not_b32_e32 v18, v19
	v_ashrrev_i32_e32 v18, 31, v18
	v_xor_b32_e32 v19, s29, v18
	v_xor_b32_e32 v18, s28, v18
	v_and_b32_e32 v34, v34, v19
	v_and_b32_e32 v35, v35, v18
	v_lshlrev_b32_e32 v19, 28, v33
	v_mov_b32_e32 v18, v9
	v_cmp_gt_i64_e64 s[28:29], 0, v[18:19]
	v_not_b32_e32 v18, v19
	v_ashrrev_i32_e32 v18, 31, v18
	v_xor_b32_e32 v19, s29, v18
	v_xor_b32_e32 v18, s28, v18
	v_and_b32_e32 v34, v34, v19
	v_and_b32_e32 v35, v35, v18
	v_lshlrev_b32_e32 v19, 27, v33
	v_mov_b32_e32 v18, v9
	v_cmp_gt_i64_e64 s[28:29], 0, v[18:19]
	v_not_b32_e32 v18, v19
	v_ashrrev_i32_e32 v18, 31, v18
	v_xor_b32_e32 v19, s29, v18
	v_xor_b32_e32 v18, s28, v18
	v_and_b32_e32 v34, v34, v19
	v_and_b32_e32 v35, v35, v18
	v_lshlrev_b32_e32 v19, 26, v33
	v_mov_b32_e32 v18, v9
	v_cmp_gt_i64_e64 s[28:29], 0, v[18:19]
	v_not_b32_e32 v18, v19
	v_ashrrev_i32_e32 v18, 31, v18
	v_xor_b32_e32 v19, s29, v18
	v_xor_b32_e32 v18, s28, v18
	v_and_b32_e32 v34, v34, v19
	v_and_b32_e32 v35, v35, v18
	v_lshlrev_b32_e32 v19, 25, v33
	v_mov_b32_e32 v18, v9
	v_cmp_gt_i64_e64 s[28:29], 0, v[18:19]
	v_not_b32_e32 v18, v19
	v_ashrrev_i32_e32 v18, 31, v18
	v_xor_b32_e32 v19, s29, v18
	v_xor_b32_e32 v18, s28, v18
	v_and_b32_e32 v34, v34, v19
	v_and_b32_e32 v35, v35, v18
	v_lshlrev_b32_e32 v19, 24, v33
	v_mov_b32_e32 v18, v9
	v_cmp_gt_i64_e64 s[28:29], 0, v[18:19]
	v_not_b32_e32 v18, v19
	v_ashrrev_i32_e32 v18, 31, v18
	v_xor_b32_e32 v19, s29, v18
	v_xor_b32_e32 v18, s28, v18
	v_and_b32_e32 v18, v35, v18
	v_and_b32_e32 v19, v34, v19
	v_mbcnt_lo_u32_b32 v33, v18, 0
	v_mbcnt_hi_u32_b32 v33, v19, v33
	v_cmp_ne_u64_e64 s[28:29], 0, v[18:19]
	v_cmp_eq_u32_e64 s[40:41], 0, v33
	s_and_b64 s[40:41], s[28:29], s[40:41]
	s_waitcnt lgkmcnt(0)
	s_barrier
	; wave barrier
	s_and_saveexec_b64 s[28:29], s[40:41]
; %bb.187:                              ;   in Loop: Header=BB1432_186 Depth=1
	v_bcnt_u32_b32 v18, v18, 0
	v_bcnt_u32_b32 v18, v19, v18
	ds_write_b32 v8, v18
; %bb.188:                              ;   in Loop: Header=BB1432_186 Depth=1
	s_or_b64 exec, exec, s[28:29]
	; wave barrier
	s_waitcnt lgkmcnt(0)
	s_barrier
	ds_read_b32 v34, v20
	ds_read_b32 v19, v21
	;; [unrolled: 1-line block ×4, first 2 shown]
	s_waitcnt lgkmcnt(2)
	v_add_u32_e32 v36, v19, v34
	s_waitcnt lgkmcnt(0)
	v_add3_u32 v35, v36, v18, v35
	s_nop 1
	v_mov_b32_dpp v36, v35 row_shr:1 row_mask:0xf bank_mask:0xf
	v_cndmask_b32_e64 v36, v36, 0, vcc
	v_add_u32_e32 v35, v36, v35
	s_nop 1
	v_mov_b32_dpp v36, v35 row_shr:2 row_mask:0xf bank_mask:0xf
	v_cndmask_b32_e64 v36, 0, v36, s[4:5]
	v_add_u32_e32 v35, v35, v36
	s_nop 1
	v_mov_b32_dpp v36, v35 row_shr:4 row_mask:0xf bank_mask:0xf
	v_cndmask_b32_e64 v36, 0, v36, s[6:7]
	;; [unrolled: 4-line block ×3, first 2 shown]
	v_add_u32_e32 v35, v35, v36
	s_nop 1
	v_mov_b32_dpp v36, v35 row_bcast:15 row_mask:0xf bank_mask:0xf
	v_cndmask_b32_e64 v36, v36, 0, s[10:11]
	v_add_u32_e32 v35, v35, v36
	s_nop 1
	v_mov_b32_dpp v36, v35 row_bcast:31 row_mask:0xf bank_mask:0xf
	v_cndmask_b32_e64 v36, 0, v36, s[12:13]
	v_add_u32_e32 v35, v35, v36
	s_and_saveexec_b64 s[28:29], s[14:15]
; %bb.189:                              ;   in Loop: Header=BB1432_186 Depth=1
	ds_write_b32 v27, v35
; %bb.190:                              ;   in Loop: Header=BB1432_186 Depth=1
	s_or_b64 exec, exec, s[28:29]
	s_waitcnt lgkmcnt(0)
	s_barrier
	s_and_saveexec_b64 s[28:29], s[16:17]
	s_cbranch_execz .LBB1432_192
; %bb.191:                              ;   in Loop: Header=BB1432_186 Depth=1
	ds_read_b32 v36, v25
	s_waitcnt lgkmcnt(0)
	s_nop 0
	v_mov_b32_dpp v37, v36 row_shr:1 row_mask:0xf bank_mask:0xf
	v_cndmask_b32_e64 v37, v37, 0, s[24:25]
	v_add_u32_e32 v36, v37, v36
	s_nop 1
	v_mov_b32_dpp v37, v36 row_shr:2 row_mask:0xf bank_mask:0xf
	v_cndmask_b32_e64 v37, 0, v37, s[26:27]
	v_add_u32_e32 v36, v36, v37
	ds_write_b32 v25, v36
.LBB1432_192:                           ;   in Loop: Header=BB1432_186 Depth=1
	s_or_b64 exec, exec, s[28:29]
	v_mov_b32_e32 v36, 0
	s_waitcnt lgkmcnt(0)
	s_barrier
	s_and_saveexec_b64 s[28:29], s[18:19]
; %bb.193:                              ;   in Loop: Header=BB1432_186 Depth=1
	ds_read_b32 v36, v28
; %bb.194:                              ;   in Loop: Header=BB1432_186 Depth=1
	s_or_b64 exec, exec, s[28:29]
	s_waitcnt lgkmcnt(0)
	v_add_u32_e32 v35, v36, v35
	ds_bpermute_b32 v35, v26, v35
	v_add_u32_e32 v10, 8, v10
	v_cmp_lt_u32_e64 s[28:29], v10, v11
	s_mov_b64 s[44:45], -1
	s_waitcnt lgkmcnt(0)
	v_cndmask_b32_e64 v35, v35, v36, s[20:21]
	v_cndmask_b32_e64 v35, v35, 0, s[22:23]
	v_add_u32_e32 v34, v35, v34
	v_add_u32_e32 v19, v34, v19
	ds_write_b32 v20, v35
	ds_write_b32 v21, v34
	v_add_u32_e32 v18, v19, v18
	ds_write_b32 v22, v19
	ds_write_b32 v23, v18
	s_waitcnt lgkmcnt(0)
	s_barrier
	ds_read_b32 v8, v8
	s_waitcnt lgkmcnt(0)
	v_add_u32_e32 v8, v8, v33
	v_lshlrev_b64 v[18:19], 2, v[8:9]
                                        ; implicit-def: $vgpr8
	v_add_co_u32_e64 v34, s[40:41], v12, v18
	v_add_co_u32_e64 v33, s[40:41], v34, v18
                                        ; implicit-def: $vgpr18_vgpr19
	s_and_saveexec_b64 s[40:41], s[28:29]
	s_cbranch_execz .LBB1432_185
; %bb.195:                              ;   in Loop: Header=BB1432_186 Depth=1
	s_barrier
	ds_write_b32 v34, v32
	s_waitcnt lgkmcnt(0)
	s_barrier
	ds_read_b32 v8, v29
	s_waitcnt lgkmcnt(0)
	s_barrier
	ds_write_b64 v33, v[4:5]
	s_waitcnt lgkmcnt(0)
	s_barrier
	ds_read_b64 v[18:19], v30
	v_add_u32_e32 v31, -8, v31
	s_xor_b64 s[44:45], exec, -1
	s_waitcnt lgkmcnt(0)
	s_barrier
	s_branch .LBB1432_185
.LBB1432_196:
	s_or_b64 exec, exec, s[42:43]
	s_barrier
	ds_write_b32 v34, v32
	s_waitcnt lgkmcnt(0)
	s_barrier
	ds_read_b32 v8, v25
	s_waitcnt lgkmcnt(0)
	s_barrier
	ds_write_b64 v33, v[4:5]
	v_lshl_add_u32 v4, v17, 2, v25
	s_waitcnt lgkmcnt(0)
	s_barrier
	ds_read_b64 v[4:5], v4
	v_cmp_lt_u32_e32 vcc, v13, v86
	s_waitcnt lgkmcnt(0)
	s_barrier
	s_and_saveexec_b64 s[4:5], vcc
	s_cbranch_execz .LBB1432_198
; %bb.197:
	v_add_co_u32_e32 v6, vcc, v6, v0
	v_mov_b32_e32 v14, 0
	v_addc_co_u32_e32 v7, vcc, v7, v1, vcc
	v_lshlrev_b64 v[0:1], 3, v[13:14]
	v_add_co_u32_e32 v0, vcc, v6, v0
	v_addc_co_u32_e32 v1, vcc, v7, v1, vcc
	v_bfrev_b32_e32 v6, 1
	v_cmp_lt_i32_e32 vcc, -1, v8
	v_cndmask_b32_e64 v6, v6, -1, vcc
	v_add_co_u32_e32 v7, vcc, v2, v15
	v_xor_b32_e32 v6, v6, v8
	v_addc_co_u32_e32 v8, vcc, v3, v16, vcc
	v_lshlrev_b64 v[2:3], 2, v[13:14]
	v_add_co_u32_e32 v2, vcc, v7, v2
	v_addc_co_u32_e32 v3, vcc, v8, v3, vcc
	flat_store_dword v[2:3], v6
	flat_store_dwordx2 v[0:1], v[4:5]
.LBB1432_198:
	s_or_b64 exec, exec, s[4:5]
.LBB1432_199:
	s_or_b64 exec, exec, s[46:47]
	s_waitcnt vmcnt(0) lgkmcnt(0)
	s_setpc_b64 s[30:31]
.Lfunc_end1432:
	.size	_ZN7rocprim17ROCPRIM_400000_NS6detail40segmented_radix_sort_single_block_helperIflLj256ELj8ELb0EE4sortIPKfPfPKlPlEEbT_T0_T1_T2_jjjjRNS3_12storage_typeE, .Lfunc_end1432-_ZN7rocprim17ROCPRIM_400000_NS6detail40segmented_radix_sort_single_block_helperIflLj256ELj8ELb0EE4sortIPKfPfPKlPlEEbT_T0_T1_T2_jjjjRNS3_12storage_typeE
                                        ; -- End function
	.set .L_ZN7rocprim17ROCPRIM_400000_NS6detail40segmented_radix_sort_single_block_helperIflLj256ELj8ELb0EE4sortIPKfPfPKlPlEEbT_T0_T1_T2_jjjjRNS3_12storage_typeE.num_vgpr, 178
	.set .L_ZN7rocprim17ROCPRIM_400000_NS6detail40segmented_radix_sort_single_block_helperIflLj256ELj8ELb0EE4sortIPKfPfPKlPlEEbT_T0_T1_T2_jjjjRNS3_12storage_typeE.num_agpr, 0
	.set .L_ZN7rocprim17ROCPRIM_400000_NS6detail40segmented_radix_sort_single_block_helperIflLj256ELj8ELb0EE4sortIPKfPfPKlPlEEbT_T0_T1_T2_jjjjRNS3_12storage_typeE.numbered_sgpr, 64
	.set .L_ZN7rocprim17ROCPRIM_400000_NS6detail40segmented_radix_sort_single_block_helperIflLj256ELj8ELb0EE4sortIPKfPfPKlPlEEbT_T0_T1_T2_jjjjRNS3_12storage_typeE.num_named_barrier, 0
	.set .L_ZN7rocprim17ROCPRIM_400000_NS6detail40segmented_radix_sort_single_block_helperIflLj256ELj8ELb0EE4sortIPKfPfPKlPlEEbT_T0_T1_T2_jjjjRNS3_12storage_typeE.private_seg_size, 0
	.set .L_ZN7rocprim17ROCPRIM_400000_NS6detail40segmented_radix_sort_single_block_helperIflLj256ELj8ELb0EE4sortIPKfPfPKlPlEEbT_T0_T1_T2_jjjjRNS3_12storage_typeE.uses_vcc, 1
	.set .L_ZN7rocprim17ROCPRIM_400000_NS6detail40segmented_radix_sort_single_block_helperIflLj256ELj8ELb0EE4sortIPKfPfPKlPlEEbT_T0_T1_T2_jjjjRNS3_12storage_typeE.uses_flat_scratch, 0
	.set .L_ZN7rocprim17ROCPRIM_400000_NS6detail40segmented_radix_sort_single_block_helperIflLj256ELj8ELb0EE4sortIPKfPfPKlPlEEbT_T0_T1_T2_jjjjRNS3_12storage_typeE.has_dyn_sized_stack, 0
	.set .L_ZN7rocprim17ROCPRIM_400000_NS6detail40segmented_radix_sort_single_block_helperIflLj256ELj8ELb0EE4sortIPKfPfPKlPlEEbT_T0_T1_T2_jjjjRNS3_12storage_typeE.has_recursion, 0
	.set .L_ZN7rocprim17ROCPRIM_400000_NS6detail40segmented_radix_sort_single_block_helperIflLj256ELj8ELb0EE4sortIPKfPfPKlPlEEbT_T0_T1_T2_jjjjRNS3_12storage_typeE.has_indirect_call, 0
	.section	.AMDGPU.csdata,"",@progbits
; Function info:
; codeLenInByte = 16388
; TotalNumSgprs: 68
; NumVgprs: 178
; ScratchSize: 0
; MemoryBound: 1
	.section	.text._ZN7rocprim17ROCPRIM_400000_NS6detail17trampoline_kernelINS0_14default_configENS1_36segmented_radix_sort_config_selectorIflEEZNS1_25segmented_radix_sort_implIS3_Lb0EPKfPfPKlPlN2at6native12_GLOBAL__N_18offset_tEEE10hipError_tPvRmT1_PNSt15iterator_traitsISK_E10value_typeET2_T3_PNSL_ISQ_E10value_typeET4_jRbjT5_SW_jjP12ihipStream_tbEUlT_E_NS1_11comp_targetILNS1_3genE2ELNS1_11target_archE906ELNS1_3gpuE6ELNS1_3repE0EEENS1_30default_config_static_selectorELNS0_4arch9wavefront6targetE1EEEvSK_,"axG",@progbits,_ZN7rocprim17ROCPRIM_400000_NS6detail17trampoline_kernelINS0_14default_configENS1_36segmented_radix_sort_config_selectorIflEEZNS1_25segmented_radix_sort_implIS3_Lb0EPKfPfPKlPlN2at6native12_GLOBAL__N_18offset_tEEE10hipError_tPvRmT1_PNSt15iterator_traitsISK_E10value_typeET2_T3_PNSL_ISQ_E10value_typeET4_jRbjT5_SW_jjP12ihipStream_tbEUlT_E_NS1_11comp_targetILNS1_3genE2ELNS1_11target_archE906ELNS1_3gpuE6ELNS1_3repE0EEENS1_30default_config_static_selectorELNS0_4arch9wavefront6targetE1EEEvSK_,comdat
	.globl	_ZN7rocprim17ROCPRIM_400000_NS6detail17trampoline_kernelINS0_14default_configENS1_36segmented_radix_sort_config_selectorIflEEZNS1_25segmented_radix_sort_implIS3_Lb0EPKfPfPKlPlN2at6native12_GLOBAL__N_18offset_tEEE10hipError_tPvRmT1_PNSt15iterator_traitsISK_E10value_typeET2_T3_PNSL_ISQ_E10value_typeET4_jRbjT5_SW_jjP12ihipStream_tbEUlT_E_NS1_11comp_targetILNS1_3genE2ELNS1_11target_archE906ELNS1_3gpuE6ELNS1_3repE0EEENS1_30default_config_static_selectorELNS0_4arch9wavefront6targetE1EEEvSK_ ; -- Begin function _ZN7rocprim17ROCPRIM_400000_NS6detail17trampoline_kernelINS0_14default_configENS1_36segmented_radix_sort_config_selectorIflEEZNS1_25segmented_radix_sort_implIS3_Lb0EPKfPfPKlPlN2at6native12_GLOBAL__N_18offset_tEEE10hipError_tPvRmT1_PNSt15iterator_traitsISK_E10value_typeET2_T3_PNSL_ISQ_E10value_typeET4_jRbjT5_SW_jjP12ihipStream_tbEUlT_E_NS1_11comp_targetILNS1_3genE2ELNS1_11target_archE906ELNS1_3gpuE6ELNS1_3repE0EEENS1_30default_config_static_selectorELNS0_4arch9wavefront6targetE1EEEvSK_
	.p2align	8
	.type	_ZN7rocprim17ROCPRIM_400000_NS6detail17trampoline_kernelINS0_14default_configENS1_36segmented_radix_sort_config_selectorIflEEZNS1_25segmented_radix_sort_implIS3_Lb0EPKfPfPKlPlN2at6native12_GLOBAL__N_18offset_tEEE10hipError_tPvRmT1_PNSt15iterator_traitsISK_E10value_typeET2_T3_PNSL_ISQ_E10value_typeET4_jRbjT5_SW_jjP12ihipStream_tbEUlT_E_NS1_11comp_targetILNS1_3genE2ELNS1_11target_archE906ELNS1_3gpuE6ELNS1_3repE0EEENS1_30default_config_static_selectorELNS0_4arch9wavefront6targetE1EEEvSK_,@function
_ZN7rocprim17ROCPRIM_400000_NS6detail17trampoline_kernelINS0_14default_configENS1_36segmented_radix_sort_config_selectorIflEEZNS1_25segmented_radix_sort_implIS3_Lb0EPKfPfPKlPlN2at6native12_GLOBAL__N_18offset_tEEE10hipError_tPvRmT1_PNSt15iterator_traitsISK_E10value_typeET2_T3_PNSL_ISQ_E10value_typeET4_jRbjT5_SW_jjP12ihipStream_tbEUlT_E_NS1_11comp_targetILNS1_3genE2ELNS1_11target_archE906ELNS1_3gpuE6ELNS1_3repE0EEENS1_30default_config_static_selectorELNS0_4arch9wavefront6targetE1EEEvSK_: ; @_ZN7rocprim17ROCPRIM_400000_NS6detail17trampoline_kernelINS0_14default_configENS1_36segmented_radix_sort_config_selectorIflEEZNS1_25segmented_radix_sort_implIS3_Lb0EPKfPfPKlPlN2at6native12_GLOBAL__N_18offset_tEEE10hipError_tPvRmT1_PNSt15iterator_traitsISK_E10value_typeET2_T3_PNSL_ISQ_E10value_typeET4_jRbjT5_SW_jjP12ihipStream_tbEUlT_E_NS1_11comp_targetILNS1_3genE2ELNS1_11target_archE906ELNS1_3gpuE6ELNS1_3repE0EEENS1_30default_config_static_selectorELNS0_4arch9wavefront6targetE1EEEvSK_
; %bb.0:
	s_add_u32 s0, s0, s8
	s_mov_b64 s[34:35], s[4:5]
	s_load_dwordx2 s[4:5], s[4:5], 0x38
	s_nop 0
	s_load_dwordx4 s[8:11], s[34:35], 0x40
	s_mov_b32 s33, s7
	s_mov_b32 s7, 0
	s_addc_u32 s1, s1, 0
	s_lshl_b64 s[12:13], s[6:7], 2
	s_waitcnt lgkmcnt(0)
	s_add_u32 s4, s4, s12
	s_addc_u32 s5, s5, s13
	s_load_dword s4, s[4:5], 0x0
	s_mov_b32 s32, 0
	s_waitcnt lgkmcnt(0)
	s_add_i32 s80, s4, s9
	s_add_i32 s81, s4, s11
	s_mul_i32 s80, s80, s8
	s_mul_i32 s81, s81, s10
	s_cmp_le_u32 s81, s80
	s_cbranch_scc1 .LBB1433_670
; %bb.1:
	s_load_dword s4, s[34:35], 0x30
	s_load_dwordx4 s[72:75], s[34:35], 0x20
	s_load_dwordx4 s[76:79], s[34:35], 0x50
	s_load_dwordx8 s[64:71], s[34:35], 0x0
	s_waitcnt lgkmcnt(0)
	s_bitcmp1_b32 s4, 0
	s_cselect_b64 s[54:55], -1, 0
	s_sub_i32 s79, s81, s80
	s_cmpk_lt_u32 s79, 0x801
	s_mov_b64 s[4:5], -1
	s_cbranch_scc0 .LBB1433_7
; %bb.2:
	s_and_b32 s4, s76, 1
	v_cndmask_b32_e64 v3, 0, 1, s[54:55]
	v_cmp_ne_u32_e32 vcc, s4, v3
	s_mov_b64 s[4:5], -1
	v_lshlrev_b32_e32 v41, 20, v2
	v_lshlrev_b32_e32 v42, 10, v1
	s_cbranch_vccnz .LBB1433_4
; %bb.3:
	s_add_u32 s8, s34, 0x60
	s_mov_b64 s[4:5], src_shared_base
	s_addc_u32 s9, s35, 0
	s_getpc_b64 s[10:11]
	s_add_u32 s10, s10, _ZN7rocprim17ROCPRIM_400000_NS6detail40segmented_radix_sort_single_block_helperIflLj256ELj8ELb0EE4sortIPKfPfPKlPlEEbT_T0_T1_T2_jjjjRNS3_12storage_typeE@rel32@lo+4
	s_addc_u32 s11, s11, _ZN7rocprim17ROCPRIM_400000_NS6detail40segmented_radix_sort_single_block_helperIflLj256ELj8ELb0EE4sortIPKfPfPKlPlEEbT_T0_T1_T2_jjjjRNS3_12storage_typeE@rel32@hi+12
	v_or3_b32 v31, v0, v42, v41
	s_mov_b32 s12, s6
	s_mov_b32 s13, s33
	v_mov_b32_e32 v40, v0
	v_mov_b32_e32 v0, s64
	v_mov_b32_e32 v43, v1
	v_mov_b32_e32 v1, s65
	v_mov_b32_e32 v44, v2
	v_mov_b32_e32 v2, s68
	v_mov_b32_e32 v3, s69
	v_mov_b32_e32 v4, s70
	v_mov_b32_e32 v5, s71
	v_mov_b32_e32 v6, s74
	v_mov_b32_e32 v7, s75
	v_mov_b32_e32 v8, s80
	v_mov_b32_e32 v9, s81
	v_mov_b32_e32 v10, s77
	v_mov_b32_e32 v11, s78
	v_mov_b32_e32 v12, 0
	v_mov_b32_e32 v13, s5
	s_mov_b32 s36, s6
	s_swappc_b64 s[30:31], s[10:11]
	v_mov_b32_e32 v1, v43
	v_mov_b32_e32 v2, v44
	;; [unrolled: 1-line block ×3, first 2 shown]
	s_mov_b32 s6, s36
	s_mov_b64 s[4:5], 0
.LBB1433_4:
	s_andn2_b64 vcc, exec, s[4:5]
	s_cbranch_vccnz .LBB1433_6
; %bb.5:
	s_add_u32 s8, s34, 0x60
	s_mov_b64 s[4:5], src_shared_base
	s_addc_u32 s9, s35, 0
	s_getpc_b64 s[10:11]
	s_add_u32 s10, s10, _ZN7rocprim17ROCPRIM_400000_NS6detail40segmented_radix_sort_single_block_helperIflLj256ELj8ELb0EE4sortIPKfPfPKlPlEEbT_T0_T1_T2_jjjjRNS3_12storage_typeE@rel32@lo+4
	s_addc_u32 s11, s11, _ZN7rocprim17ROCPRIM_400000_NS6detail40segmented_radix_sort_single_block_helperIflLj256ELj8ELb0EE4sortIPKfPfPKlPlEEbT_T0_T1_T2_jjjjRNS3_12storage_typeE@rel32@hi+12
	v_or3_b32 v31, v0, v42, v41
	s_mov_b32 s12, s6
	s_mov_b32 s13, s33
	v_mov_b32_e32 v40, v0
	v_mov_b32_e32 v0, s64
	;; [unrolled: 1-line block ×17, first 2 shown]
	s_mov_b32 s36, s6
	s_swappc_b64 s[30:31], s[10:11]
	v_mov_b32_e32 v1, v41
	v_mov_b32_e32 v2, v42
	;; [unrolled: 1-line block ×3, first 2 shown]
	s_mov_b32 s6, s36
.LBB1433_6:
	s_mov_b64 s[4:5], 0
.LBB1433_7:
	s_andn2_b64 vcc, exec, s[4:5]
	s_cbranch_vccnz .LBB1433_670
; %bb.8:
	s_cmp_ge_u32 s77, s78
	s_cbranch_scc1 .LBB1433_670
; %bb.9:
	v_and_b32_e32 v4, 3, v0
	v_lshlrev_b32_e32 v42, 2, v4
	v_or_b32_e32 v4, 63, v0
	v_lshlrev_b32_e32 v32, 2, v0
	v_cmp_eq_u32_e64 s[8:9], v0, v4
	v_lshrrev_b32_e32 v4, 4, v0
	v_mad_u32_u24 v43, v0, 12, v32
	v_and_b32_e32 v44, 12, v4
	v_lshlrev_b32_e32 v4, 3, v0
	v_mov_b32_e32 v5, s69
	v_add_co_u32_e32 v36, vcc, s68, v32
	v_and_b32_e32 v48, 0x600, v4
	v_add_u32_e32 v49, v43, v32
	v_lshlrev_b32_e32 v4, 4, v0
	v_addc_co_u32_e32 v37, vcc, 0, v5, vcc
	v_sub_u32_e32 v50, v49, v4
	v_lshlrev_b32_e32 v4, 3, v48
	v_mov_b32_e32 v5, s75
	v_add_co_u32_e32 v51, vcc, s74, v4
	v_addc_co_u32_e32 v52, vcc, 0, v5, vcc
	v_lshlrev_b32_e32 v5, 2, v48
	v_mov_b32_e32 v6, s69
	v_add_co_u32_e32 v53, vcc, s68, v5
	v_addc_co_u32_e32 v54, vcc, 0, v6, vcc
	v_mov_b32_e32 v6, s67
	v_add_co_u32_e32 v55, vcc, s66, v32
	v_addc_co_u32_e32 v56, vcc, 0, v6, vcc
	;; [unrolled: 3-line block ×7, first 2 shown]
	v_mbcnt_lo_u32_b32 v4, -1, 0
	s_movk_i32 s4, 0x100
	v_or_b32_e32 v38, 0x400, v0
	v_or_b32_e32 v39, 0x500, v0
	;; [unrolled: 1-line block ×4, first 2 shown]
	s_add_u32 s56, s34, 0x60
	s_movk_i32 s7, 0xff
	v_mbcnt_hi_u32_b32 v74, -1, v4
	v_mov_b32_e32 v3, 0
	v_or_b32_e32 v33, 0x100, v0
	v_or_b32_e32 v34, 0x200, v0
	;; [unrolled: 1-line block ×3, first 2 shown]
	v_cmp_gt_u32_e64 s[4:5], s4, v0
	v_or_b32_e32 v45, 0x4400, v44
	v_cmp_gt_u32_e64 s[10:11], 4, v0
	v_or_b32_e32 v46, 0x4400, v32
	v_cmp_lt_u32_e64 s[12:13], 63, v0
	v_add_u32_e32 v47, 0x43fc, v44
	s_addc_u32 s57, s35, 0
	s_mov_b32 s59, 0
	v_cmp_eq_u32_e64 s[14:15], 0, v0
	v_cmp_ne_u32_e64 s[16:17], s7, v0
	s_brev_b32 s7, -2
	v_mov_b32_e32 v67, 1
	v_lshlrev_b32_e32 v68, 2, v0
	v_lshlrev_b32_e32 v69, 2, v38
	v_lshlrev_b32_e32 v70, 2, v39
	v_lshlrev_b32_e32 v71, 2, v40
	v_lshlrev_b32_e32 v72, 2, v41
	v_bfrev_b32_e32 v73, 1
	v_and_b32_e32 v75, 15, v74
	v_bfe_i32 v76, v74, 4, 1
	v_and_b32_e32 v77, 16, v74
	v_and_b32_e32 v78, 3, v74
	v_bfrev_b32_e32 v11, -2
	s_mov_b32 s62, s77
	s_branch .LBB1433_12
.LBB1433_10:                            ;   in Loop: Header=BB1433_12 Depth=1
	s_waitcnt lgkmcnt(0)
	s_barrier
.LBB1433_11:                            ;   in Loop: Header=BB1433_12 Depth=1
	s_add_i32 s62, s62, 8
	s_cmp_ge_u32 s62, s78
	s_cbranch_scc1 .LBB1433_670
.LBB1433_12:                            ; =>This Loop Header: Depth=1
                                        ;     Child Loop BB1433_16 Depth 2
                                        ;     Child Loop BB1433_64 Depth 2
	;; [unrolled: 1-line block ×8, first 2 shown]
	s_sub_i32 s18, s78, s62
	s_min_u32 s18, s18, 8
	s_lshl_b32 s18, -1, s18
	s_xor_b64 s[54:55], s[54:55], -1
	s_not_b32 s63, s18
	s_cmp_lg_u32 s62, s77
	s_mov_b64 s[18:19], -1
	ds_write2st64_b32 v32, v3, v3 offset1:4
	ds_write2st64_b32 v32, v3, v3 offset0:8 offset1:12
	s_waitcnt lgkmcnt(0)
	s_cbranch_scc0 .LBB1433_342
; %bb.13:                               ;   in Loop: Header=BB1433_12 Depth=1
	s_and_b64 vcc, exec, s[54:55]
	s_cbranch_vccz .LBB1433_177
; %bb.14:                               ;   in Loop: Header=BB1433_12 Depth=1
	v_mov_b32_e32 v10, v3
	v_mov_b32_e32 v4, v3
	;; [unrolled: 1-line block ×8, first 2 shown]
	s_mov_b32 s22, s79
	s_mov_b32 s58, s80
	v_mov_b32_e32 v18, v9
	v_mov_b32_e32 v17, v8
	;; [unrolled: 1-line block ×7, first 2 shown]
	s_barrier
	s_branch .LBB1433_16
.LBB1433_15:                            ;   in Loop: Header=BB1433_16 Depth=2
	s_or_b64 exec, exec, s[18:19]
	s_addk_i32 s22, 0xf800
	s_cmp_ge_u32 s23, s81
	s_mov_b32 s58, s23
	s_cbranch_scc1 .LBB1433_52
.LBB1433_16:                            ;   Parent Loop BB1433_12 Depth=1
                                        ; =>  This Inner Loop Header: Depth=2
	s_add_i32 s23, s58, 0x800
	s_cmp_gt_u32 s23, s81
	s_mov_b64 s[18:19], -1
                                        ; implicit-def: $vgpr20_vgpr21_vgpr22_vgpr23_vgpr24_vgpr25_vgpr26_vgpr27
	s_cbranch_scc1 .LBB1433_18
; %bb.17:                               ;   in Loop: Header=BB1433_16 Depth=2
	s_lshl_b64 s[18:19], s[58:59], 2
	v_mov_b32_e32 v5, s19
	v_add_co_u32_e32 v4, vcc, s18, v36
	v_addc_co_u32_e32 v5, vcc, v37, v5, vcc
	v_add_co_u32_e32 v6, vcc, 0x1000, v4
	v_addc_co_u32_e32 v7, vcc, 0, v5, vcc
	global_load_dword v20, v[4:5], off
	global_load_dword v21, v[4:5], off offset:1024
	global_load_dword v22, v[4:5], off offset:2048
	global_load_dword v23, v[4:5], off offset:3072
	global_load_dword v24, v[6:7], off
	global_load_dword v25, v[6:7], off offset:1024
	global_load_dword v26, v[6:7], off offset:2048
	;; [unrolled: 1-line block ×3, first 2 shown]
	s_mov_b64 s[18:19], 0
.LBB1433_18:                            ;   in Loop: Header=BB1433_16 Depth=2
	s_andn2_b64 vcc, exec, s[18:19]
	s_movk_i32 s20, 0x800
	s_cbranch_vccnz .LBB1433_29
; %bb.19:                               ;   in Loop: Header=BB1433_16 Depth=2
	s_lshl_b64 s[18:19], s[58:59], 2
	s_add_u32 s18, s68, s18
	s_addc_u32 s19, s69, s19
	v_cmp_gt_u32_e32 vcc, s22, v0
	s_and_saveexec_b64 s[20:21], vcc
	s_cbranch_execnz .LBB1433_45
; %bb.20:                               ;   in Loop: Header=BB1433_16 Depth=2
	s_or_b64 exec, exec, s[20:21]
	v_cmp_gt_u32_e32 vcc, s22, v33
	s_and_saveexec_b64 s[20:21], vcc
	s_cbranch_execnz .LBB1433_46
.LBB1433_21:                            ;   in Loop: Header=BB1433_16 Depth=2
	s_or_b64 exec, exec, s[20:21]
	v_cmp_gt_u32_e32 vcc, s22, v34
	s_and_saveexec_b64 s[20:21], vcc
	s_cbranch_execnz .LBB1433_47
.LBB1433_22:                            ;   in Loop: Header=BB1433_16 Depth=2
	s_or_b64 exec, exec, s[20:21]
	v_cmp_gt_u32_e32 vcc, s22, v35
	s_and_saveexec_b64 s[20:21], vcc
	s_cbranch_execnz .LBB1433_48
.LBB1433_23:                            ;   in Loop: Header=BB1433_16 Depth=2
	s_or_b64 exec, exec, s[20:21]
	v_cmp_gt_u32_e32 vcc, s22, v38
	s_and_saveexec_b64 s[20:21], vcc
	s_cbranch_execnz .LBB1433_49
.LBB1433_24:                            ;   in Loop: Header=BB1433_16 Depth=2
	s_or_b64 exec, exec, s[20:21]
	v_cmp_gt_u32_e32 vcc, s22, v39
	s_and_saveexec_b64 s[20:21], vcc
	s_cbranch_execnz .LBB1433_50
.LBB1433_25:                            ;   in Loop: Header=BB1433_16 Depth=2
	s_or_b64 exec, exec, s[20:21]
	v_cmp_gt_u32_e32 vcc, s22, v40
	s_and_saveexec_b64 s[20:21], vcc
	s_cbranch_execnz .LBB1433_51
.LBB1433_26:                            ;   in Loop: Header=BB1433_16 Depth=2
	s_or_b64 exec, exec, s[20:21]
	v_cmp_gt_u32_e32 vcc, s22, v41
	s_and_saveexec_b64 s[20:21], vcc
	s_cbranch_execz .LBB1433_28
.LBB1433_27:                            ;   in Loop: Header=BB1433_16 Depth=2
	global_load_dword v19, v72, s[18:19]
.LBB1433_28:                            ;   in Loop: Header=BB1433_16 Depth=2
	s_or_b64 exec, exec, s[20:21]
	s_waitcnt vmcnt(0)
	v_mov_b32_e32 v27, v19
	s_mov_b32 s20, s22
	v_mov_b32_e32 v26, v18
	v_mov_b32_e32 v25, v17
	;; [unrolled: 1-line block ×7, first 2 shown]
.LBB1433_29:                            ;   in Loop: Header=BB1433_16 Depth=2
	s_waitcnt vmcnt(0)
	v_mov_b32_e32 v12, v20
	v_mov_b32_e32 v13, v21
	;; [unrolled: 1-line block ×8, first 2 shown]
	v_cmp_gt_u32_e32 vcc, s20, v0
	s_and_saveexec_b64 s[18:19], vcc
	s_cbranch_execnz .LBB1433_37
; %bb.30:                               ;   in Loop: Header=BB1433_16 Depth=2
	s_or_b64 exec, exec, s[18:19]
	v_cmp_gt_u32_e32 vcc, s20, v33
	s_and_saveexec_b64 s[18:19], vcc
	s_cbranch_execnz .LBB1433_38
.LBB1433_31:                            ;   in Loop: Header=BB1433_16 Depth=2
	s_or_b64 exec, exec, s[18:19]
	v_cmp_gt_u32_e32 vcc, s20, v34
	s_and_saveexec_b64 s[18:19], vcc
	s_cbranch_execnz .LBB1433_39
.LBB1433_32:                            ;   in Loop: Header=BB1433_16 Depth=2
	s_or_b64 exec, exec, s[18:19]
	v_cmp_gt_u32_e32 vcc, s20, v35
	s_and_saveexec_b64 s[18:19], vcc
	s_cbranch_execnz .LBB1433_40
.LBB1433_33:                            ;   in Loop: Header=BB1433_16 Depth=2
	s_or_b64 exec, exec, s[18:19]
	v_cmp_gt_u32_e32 vcc, s20, v38
	s_and_saveexec_b64 s[18:19], vcc
	s_cbranch_execnz .LBB1433_41
.LBB1433_34:                            ;   in Loop: Header=BB1433_16 Depth=2
	s_or_b64 exec, exec, s[18:19]
	v_cmp_gt_u32_e32 vcc, s20, v39
	s_and_saveexec_b64 s[18:19], vcc
	s_cbranch_execnz .LBB1433_42
.LBB1433_35:                            ;   in Loop: Header=BB1433_16 Depth=2
	s_or_b64 exec, exec, s[18:19]
	v_cmp_gt_u32_e32 vcc, s20, v40
	s_and_saveexec_b64 s[18:19], vcc
	s_cbranch_execnz .LBB1433_43
.LBB1433_36:                            ;   in Loop: Header=BB1433_16 Depth=2
	s_or_b64 exec, exec, s[18:19]
	v_cmp_gt_u32_e32 vcc, s20, v41
	s_and_saveexec_b64 s[18:19], vcc
	s_cbranch_execz .LBB1433_15
	s_branch .LBB1433_44
.LBB1433_37:                            ;   in Loop: Header=BB1433_16 Depth=2
	v_cmp_lt_i32_e32 vcc, -1, v12
	v_cndmask_b32_e32 v4, -1, v73, vcc
	v_xor_b32_e32 v4, v4, v12
	v_cmp_ne_u32_e32 vcc, s7, v4
	v_cndmask_b32_e32 v4, v73, v4, vcc
	v_lshrrev_b32_e32 v4, s62, v4
	v_and_b32_e32 v4, s63, v4
	v_lshl_or_b32 v4, v4, 4, v42
	ds_add_u32 v4, v67
	s_or_b64 exec, exec, s[18:19]
	v_cmp_gt_u32_e32 vcc, s20, v33
	s_and_saveexec_b64 s[18:19], vcc
	s_cbranch_execz .LBB1433_31
.LBB1433_38:                            ;   in Loop: Header=BB1433_16 Depth=2
	v_cmp_lt_i32_e32 vcc, -1, v13
	v_cndmask_b32_e32 v4, -1, v73, vcc
	v_xor_b32_e32 v4, v4, v13
	v_cmp_ne_u32_e32 vcc, s7, v4
	v_cndmask_b32_e32 v4, v73, v4, vcc
	v_lshrrev_b32_e32 v4, s62, v4
	v_and_b32_e32 v4, s63, v4
	v_lshl_or_b32 v4, v4, 4, v42
	ds_add_u32 v4, v67
	s_or_b64 exec, exec, s[18:19]
	v_cmp_gt_u32_e32 vcc, s20, v34
	s_and_saveexec_b64 s[18:19], vcc
	s_cbranch_execz .LBB1433_32
.LBB1433_39:                            ;   in Loop: Header=BB1433_16 Depth=2
	v_cmp_lt_i32_e32 vcc, -1, v14
	v_cndmask_b32_e32 v4, -1, v73, vcc
	v_xor_b32_e32 v4, v4, v14
	v_cmp_ne_u32_e32 vcc, s7, v4
	v_cndmask_b32_e32 v4, v73, v4, vcc
	v_lshrrev_b32_e32 v4, s62, v4
	v_and_b32_e32 v4, s63, v4
	v_lshl_or_b32 v4, v4, 4, v42
	ds_add_u32 v4, v67
	s_or_b64 exec, exec, s[18:19]
	v_cmp_gt_u32_e32 vcc, s20, v35
	s_and_saveexec_b64 s[18:19], vcc
	s_cbranch_execz .LBB1433_33
.LBB1433_40:                            ;   in Loop: Header=BB1433_16 Depth=2
	v_cmp_lt_i32_e32 vcc, -1, v15
	v_cndmask_b32_e32 v4, -1, v73, vcc
	v_xor_b32_e32 v4, v4, v15
	v_cmp_ne_u32_e32 vcc, s7, v4
	v_cndmask_b32_e32 v4, v73, v4, vcc
	v_lshrrev_b32_e32 v4, s62, v4
	v_and_b32_e32 v4, s63, v4
	v_lshl_or_b32 v4, v4, 4, v42
	ds_add_u32 v4, v67
	s_or_b64 exec, exec, s[18:19]
	v_cmp_gt_u32_e32 vcc, s20, v38
	s_and_saveexec_b64 s[18:19], vcc
	s_cbranch_execz .LBB1433_34
.LBB1433_41:                            ;   in Loop: Header=BB1433_16 Depth=2
	v_cmp_lt_i32_e32 vcc, -1, v16
	v_cndmask_b32_e32 v4, -1, v73, vcc
	v_xor_b32_e32 v4, v4, v16
	v_cmp_ne_u32_e32 vcc, s7, v4
	v_cndmask_b32_e32 v4, v73, v4, vcc
	v_lshrrev_b32_e32 v4, s62, v4
	v_and_b32_e32 v4, s63, v4
	v_lshl_or_b32 v4, v4, 4, v42
	ds_add_u32 v4, v67
	s_or_b64 exec, exec, s[18:19]
	v_cmp_gt_u32_e32 vcc, s20, v39
	s_and_saveexec_b64 s[18:19], vcc
	s_cbranch_execz .LBB1433_35
.LBB1433_42:                            ;   in Loop: Header=BB1433_16 Depth=2
	v_cmp_lt_i32_e32 vcc, -1, v17
	v_cndmask_b32_e32 v4, -1, v73, vcc
	v_xor_b32_e32 v4, v4, v17
	v_cmp_ne_u32_e32 vcc, s7, v4
	v_cndmask_b32_e32 v4, v73, v4, vcc
	v_lshrrev_b32_e32 v4, s62, v4
	v_and_b32_e32 v4, s63, v4
	v_lshl_or_b32 v4, v4, 4, v42
	ds_add_u32 v4, v67
	s_or_b64 exec, exec, s[18:19]
	v_cmp_gt_u32_e32 vcc, s20, v40
	s_and_saveexec_b64 s[18:19], vcc
	s_cbranch_execz .LBB1433_36
.LBB1433_43:                            ;   in Loop: Header=BB1433_16 Depth=2
	v_cmp_lt_i32_e32 vcc, -1, v18
	v_cndmask_b32_e32 v4, -1, v73, vcc
	v_xor_b32_e32 v4, v4, v18
	v_cmp_ne_u32_e32 vcc, s7, v4
	v_cndmask_b32_e32 v4, v73, v4, vcc
	v_lshrrev_b32_e32 v4, s62, v4
	v_and_b32_e32 v4, s63, v4
	v_lshl_or_b32 v4, v4, 4, v42
	ds_add_u32 v4, v67
	s_or_b64 exec, exec, s[18:19]
	v_cmp_gt_u32_e32 vcc, s20, v41
	s_and_saveexec_b64 s[18:19], vcc
	s_cbranch_execz .LBB1433_15
.LBB1433_44:                            ;   in Loop: Header=BB1433_16 Depth=2
	v_cmp_lt_i32_e32 vcc, -1, v19
	v_cndmask_b32_e32 v4, -1, v73, vcc
	v_xor_b32_e32 v4, v4, v19
	v_cmp_ne_u32_e32 vcc, s7, v4
	v_cndmask_b32_e32 v4, v73, v4, vcc
	v_lshrrev_b32_e32 v4, s62, v4
	v_and_b32_e32 v4, s63, v4
	v_lshl_or_b32 v4, v4, 4, v42
	ds_add_u32 v4, v67
	s_branch .LBB1433_15
.LBB1433_45:                            ;   in Loop: Header=BB1433_16 Depth=2
	global_load_dword v12, v68, s[18:19]
	s_or_b64 exec, exec, s[20:21]
	v_cmp_gt_u32_e32 vcc, s22, v33
	s_and_saveexec_b64 s[20:21], vcc
	s_cbranch_execz .LBB1433_21
.LBB1433_46:                            ;   in Loop: Header=BB1433_16 Depth=2
	global_load_dword v13, v68, s[18:19] offset:1024
	s_or_b64 exec, exec, s[20:21]
	v_cmp_gt_u32_e32 vcc, s22, v34
	s_and_saveexec_b64 s[20:21], vcc
	s_cbranch_execz .LBB1433_22
.LBB1433_47:                            ;   in Loop: Header=BB1433_16 Depth=2
	global_load_dword v14, v68, s[18:19] offset:2048
	s_or_b64 exec, exec, s[20:21]
	v_cmp_gt_u32_e32 vcc, s22, v35
	s_and_saveexec_b64 s[20:21], vcc
	s_cbranch_execz .LBB1433_23
.LBB1433_48:                            ;   in Loop: Header=BB1433_16 Depth=2
	global_load_dword v15, v68, s[18:19] offset:3072
	s_or_b64 exec, exec, s[20:21]
	v_cmp_gt_u32_e32 vcc, s22, v38
	s_and_saveexec_b64 s[20:21], vcc
	s_cbranch_execz .LBB1433_24
.LBB1433_49:                            ;   in Loop: Header=BB1433_16 Depth=2
	global_load_dword v16, v69, s[18:19]
	s_or_b64 exec, exec, s[20:21]
	v_cmp_gt_u32_e32 vcc, s22, v39
	s_and_saveexec_b64 s[20:21], vcc
	s_cbranch_execz .LBB1433_25
.LBB1433_50:                            ;   in Loop: Header=BB1433_16 Depth=2
	global_load_dword v17, v70, s[18:19]
	s_or_b64 exec, exec, s[20:21]
	v_cmp_gt_u32_e32 vcc, s22, v40
	s_and_saveexec_b64 s[20:21], vcc
	s_cbranch_execz .LBB1433_26
.LBB1433_51:                            ;   in Loop: Header=BB1433_16 Depth=2
	global_load_dword v18, v71, s[18:19]
	s_or_b64 exec, exec, s[20:21]
	v_cmp_gt_u32_e32 vcc, s22, v41
	s_and_saveexec_b64 s[20:21], vcc
	s_cbranch_execnz .LBB1433_27
	s_branch .LBB1433_28
.LBB1433_52:                            ;   in Loop: Header=BB1433_12 Depth=1
	v_mov_b32_e32 v4, 0
	s_waitcnt lgkmcnt(0)
	s_barrier
	s_and_saveexec_b64 s[18:19], s[4:5]
	s_cbranch_execz .LBB1433_54
; %bb.53:                               ;   in Loop: Header=BB1433_12 Depth=1
	ds_read2_b64 v[4:7], v43 offset1:1
	s_waitcnt lgkmcnt(0)
	v_add_u32_e32 v4, v5, v4
	v_add3_u32 v4, v4, v6, v7
.LBB1433_54:                            ;   in Loop: Header=BB1433_12 Depth=1
	s_or_b64 exec, exec, s[18:19]
	s_nop 0
	v_mov_b32_dpp v5, v4 row_shr:1 row_mask:0xf bank_mask:0xf
	v_cmp_eq_u32_e64 s[18:19], 0, v75
	v_cndmask_b32_e64 v5, v5, 0, s[18:19]
	v_add_u32_e32 v4, v5, v4
	v_cmp_lt_u32_e64 s[20:21], 1, v75
	v_cmp_lt_u32_e64 s[22:23], 3, v75
	v_mov_b32_dpp v5, v4 row_shr:2 row_mask:0xf bank_mask:0xf
	v_cndmask_b32_e64 v5, 0, v5, s[20:21]
	v_add_u32_e32 v4, v4, v5
	v_cmp_lt_u32_e64 s[24:25], 7, v75
	v_cmp_lt_u32_e64 s[28:29], 31, v74
	v_mov_b32_dpp v5, v4 row_shr:4 row_mask:0xf bank_mask:0xf
	v_cndmask_b32_e64 v5, 0, v5, s[22:23]
	v_add_u32_e32 v4, v4, v5
	v_cmp_eq_u32_e64 s[26:27], 0, v77
	s_nop 0
	v_mov_b32_dpp v5, v4 row_shr:8 row_mask:0xf bank_mask:0xf
	v_cndmask_b32_e64 v5, 0, v5, s[24:25]
	v_add_u32_e32 v4, v4, v5
	s_nop 1
	v_mov_b32_dpp v5, v4 row_bcast:15 row_mask:0xf bank_mask:0xf
	v_and_b32_e32 v5, v76, v5
	v_add_u32_e32 v4, v4, v5
	s_nop 1
	v_mov_b32_dpp v5, v4 row_bcast:31 row_mask:0xf bank_mask:0xf
	v_cndmask_b32_e64 v5, 0, v5, s[28:29]
	v_add_u32_e32 v4, v4, v5
	s_and_saveexec_b64 s[30:31], s[8:9]
; %bb.55:                               ;   in Loop: Header=BB1433_12 Depth=1
	ds_write_b32 v45, v4
; %bb.56:                               ;   in Loop: Header=BB1433_12 Depth=1
	s_or_b64 exec, exec, s[30:31]
	s_waitcnt lgkmcnt(0)
	s_barrier
	s_and_saveexec_b64 s[30:31], s[10:11]
	s_cbranch_execz .LBB1433_58
; %bb.57:                               ;   in Loop: Header=BB1433_12 Depth=1
	ds_read_b32 v5, v46
	v_cmp_ne_u32_e32 vcc, 0, v78
	s_waitcnt lgkmcnt(0)
	v_mov_b32_dpp v6, v5 row_shr:1 row_mask:0xf bank_mask:0xf
	v_cndmask_b32_e32 v6, 0, v6, vcc
	v_add_u32_e32 v5, v6, v5
	v_cmp_lt_u32_e32 vcc, 1, v78
	s_nop 0
	v_mov_b32_dpp v6, v5 row_shr:2 row_mask:0xf bank_mask:0xf
	v_cndmask_b32_e32 v6, 0, v6, vcc
	v_add_u32_e32 v5, v5, v6
	ds_write_b32 v46, v5
.LBB1433_58:                            ;   in Loop: Header=BB1433_12 Depth=1
	s_or_b64 exec, exec, s[30:31]
	v_mov_b32_e32 v5, 0
	s_waitcnt lgkmcnt(0)
	s_barrier
	s_and_saveexec_b64 s[30:31], s[12:13]
; %bb.59:                               ;   in Loop: Header=BB1433_12 Depth=1
	ds_read_b32 v5, v47
; %bb.60:                               ;   in Loop: Header=BB1433_12 Depth=1
	s_or_b64 exec, exec, s[30:31]
	v_subrev_co_u32_e64 v6, s[30:31], 1, v74
	v_and_b32_e32 v7, 64, v74
	v_cmp_lt_i32_e32 vcc, v6, v7
	v_cndmask_b32_e32 v6, v6, v74, vcc
	s_waitcnt lgkmcnt(0)
	v_add_u32_e32 v4, v5, v4
	v_lshlrev_b32_e32 v79, 2, v6
	ds_bpermute_b32 v4, v79, v4
	s_waitcnt lgkmcnt(0)
	s_barrier
	s_and_saveexec_b64 s[34:35], s[4:5]
; %bb.61:                               ;   in Loop: Header=BB1433_12 Depth=1
	v_cndmask_b32_e64 v4, v4, v5, s[30:31]
	v_add_u32_e32 v4, s80, v4
	ds_write_b32 v32, v4
; %bb.62:                               ;   in Loop: Header=BB1433_12 Depth=1
	s_or_b64 exec, exec, s[34:35]
	s_load_dword s34, s[56:57], 0x4
	s_load_dword s38, s[56:57], 0xc
	v_and_b32_e32 v12, 63, v74
	v_lshlrev_b32_e32 v13, 3, v12
	v_or_b32_e32 v84, v12, v48
	s_waitcnt lgkmcnt(0)
	s_cmp_lt_u32 s33, s34
	s_cselect_b32 s34, 14, 20
	s_add_u32 s34, s56, s34
	s_addc_u32 s35, s57, 0
	global_load_ushort v4, v3, s[34:35]
	s_and_b32 s38, s38, 0xffff
	v_lshlrev_b32_e32 v14, 2, v12
	v_add_co_u32_e32 v87, vcc, v51, v13
	v_addc_co_u32_e32 v89, vcc, 0, v52, vcc
	v_add_co_u32_e32 v98, vcc, v53, v14
	v_cmp_eq_u32_e64 s[34:35], 0, v78
	v_cmp_lt_u32_e64 s[36:37], 1, v78
	s_mov_b32 s70, s79
	v_or_b32_e32 v91, 64, v84
	v_or_b32_e32 v92, 0x80, v84
	;; [unrolled: 1-line block ×7, first 2 shown]
	v_addc_co_u32_e32 v99, vcc, 0, v54, vcc
	s_mov_b32 s58, s80
                                        ; implicit-def: $vgpr5_vgpr6
                                        ; implicit-def: $vgpr7_vgpr8
                                        ; implicit-def: $vgpr9_vgpr10
                                        ; implicit-def: $vgpr20_vgpr21
                                        ; implicit-def: $vgpr22_vgpr23
                                        ; implicit-def: $vgpr24_vgpr25
                                        ; implicit-def: $vgpr26_vgpr27
                                        ; implicit-def: $vgpr28_vgpr29
                                        ; implicit-def: $vgpr80
                                        ; implicit-def: $vgpr81
                                        ; implicit-def: $vgpr82
                                        ; implicit-def: $vgpr83
                                        ; implicit-def: $vgpr85
                                        ; implicit-def: $vgpr86
                                        ; implicit-def: $vgpr88
                                        ; implicit-def: $vgpr90
	s_waitcnt vmcnt(0)
	v_mad_u32_u24 v4, v2, v4, v1
	v_mad_u64_u32 v[12:13], s[38:39], v4, s38, v[0:1]
	v_lshrrev_b32_e32 v4, 4, v12
	v_and_b32_e32 v100, 0xffffffc, v4
	s_branch .LBB1433_64
.LBB1433_63:                            ;   in Loop: Header=BB1433_64 Depth=2
	s_or_b64 exec, exec, s[38:39]
	s_addk_i32 s70, 0xf800
	s_cmp_lt_u32 s71, s81
	s_mov_b32 s58, s71
	s_cbranch_scc0 .LBB1433_176
.LBB1433_64:                            ;   Parent Loop BB1433_12 Depth=1
                                        ; =>  This Inner Loop Header: Depth=2
	s_add_i32 s71, s58, 0x800
	s_cmp_gt_u32 s71, s81
	s_cbranch_scc1 .LBB1433_66
; %bb.65:                               ;   in Loop: Header=BB1433_64 Depth=2
	s_lshl_b64 s[38:39], s[58:59], 2
	v_mov_b32_e32 v4, s39
	v_add_co_u32_e32 v18, vcc, s38, v98
	v_addc_co_u32_e32 v19, vcc, v99, v4, vcc
	global_load_dword v12, v[18:19], off
	global_load_dword v13, v[18:19], off offset:256
	global_load_dword v14, v[18:19], off offset:512
	;; [unrolled: 1-line block ×5, first 2 shown]
	s_nop 0
	global_load_dword v18, v[18:19], off offset:1536
	s_mov_b64 s[38:39], -1
	s_movk_i32 s42, 0x800
	s_cbranch_execz .LBB1433_67
	s_branch .LBB1433_76
.LBB1433_66:                            ;   in Loop: Header=BB1433_64 Depth=2
	s_mov_b64 s[38:39], 0
                                        ; implicit-def: $vgpr12_vgpr13_vgpr14_vgpr15_vgpr16_vgpr17_vgpr18_vgpr19
	s_movk_i32 s42, 0x800
.LBB1433_67:                            ;   in Loop: Header=BB1433_64 Depth=2
	s_lshl_b64 s[38:39], s[58:59], 2
	v_mov_b32_e32 v4, s39
	v_add_co_u32_e32 v30, vcc, s38, v98
	s_waitcnt vmcnt(6)
	v_mov_b32_e32 v12, v11
	s_waitcnt vmcnt(5)
	v_mov_b32_e32 v13, v11
	;; [unrolled: 2-line block ×7, first 2 shown]
	v_addc_co_u32_e32 v31, vcc, v99, v4, vcc
	v_mov_b32_e32 v19, v18
	v_cmp_gt_u32_e32 vcc, s70, v84
	v_mov_b32_e32 v18, v17
	v_mov_b32_e32 v17, v16
	;; [unrolled: 1-line block ×7, first 2 shown]
	s_and_saveexec_b64 s[38:39], vcc
	s_cbranch_execnz .LBB1433_170
; %bb.68:                               ;   in Loop: Header=BB1433_64 Depth=2
	s_or_b64 exec, exec, s[38:39]
	v_cmp_gt_u32_e32 vcc, s70, v91
	s_and_saveexec_b64 s[38:39], vcc
	s_cbranch_execnz .LBB1433_171
.LBB1433_69:                            ;   in Loop: Header=BB1433_64 Depth=2
	s_or_b64 exec, exec, s[38:39]
	v_cmp_gt_u32_e32 vcc, s70, v92
	s_and_saveexec_b64 s[38:39], vcc
	s_cbranch_execnz .LBB1433_172
.LBB1433_70:                            ;   in Loop: Header=BB1433_64 Depth=2
	s_or_b64 exec, exec, s[38:39]
	v_cmp_gt_u32_e32 vcc, s70, v93
	s_and_saveexec_b64 s[38:39], vcc
	s_cbranch_execnz .LBB1433_173
.LBB1433_71:                            ;   in Loop: Header=BB1433_64 Depth=2
	s_or_b64 exec, exec, s[38:39]
	v_cmp_gt_u32_e32 vcc, s70, v94
	s_and_saveexec_b64 s[38:39], vcc
	s_cbranch_execnz .LBB1433_174
.LBB1433_72:                            ;   in Loop: Header=BB1433_64 Depth=2
	s_or_b64 exec, exec, s[38:39]
	v_cmp_gt_u32_e32 vcc, s70, v95
	s_and_saveexec_b64 s[38:39], vcc
	s_cbranch_execnz .LBB1433_175
.LBB1433_73:                            ;   in Loop: Header=BB1433_64 Depth=2
	s_or_b64 exec, exec, s[38:39]
	v_cmp_gt_u32_e32 vcc, s70, v96
	s_and_saveexec_b64 s[38:39], vcc
	s_cbranch_execz .LBB1433_75
.LBB1433_74:                            ;   in Loop: Header=BB1433_64 Depth=2
	global_load_dword v18, v[30:31], off offset:1536
.LBB1433_75:                            ;   in Loop: Header=BB1433_64 Depth=2
	s_or_b64 exec, exec, s[38:39]
	s_sub_i32 s42, s81, s58
	v_cmp_gt_u32_e64 s[38:39], s70, v97
.LBB1433_76:                            ;   in Loop: Header=BB1433_64 Depth=2
	v_mov_b32_e32 v101, s70
	s_and_saveexec_b64 s[40:41], s[38:39]
	s_cbranch_execz .LBB1433_78
; %bb.77:                               ;   in Loop: Header=BB1433_64 Depth=2
	s_lshl_b64 s[38:39], s[58:59], 2
	v_mov_b32_e32 v4, s39
	v_add_co_u32_e32 v30, vcc, s38, v98
	v_addc_co_u32_e32 v31, vcc, v99, v4, vcc
	global_load_dword v19, v[30:31], off offset:1792
	v_mov_b32_e32 v101, s42
.LBB1433_78:                            ;   in Loop: Header=BB1433_64 Depth=2
	s_or_b64 exec, exec, s[40:41]
	s_waitcnt vmcnt(0)
	v_cmp_lt_i32_e32 vcc, -1, v12
	v_cndmask_b32_e32 v4, -1, v73, vcc
	v_xor_b32_e32 v102, v4, v12
	v_cmp_ne_u32_e32 vcc, s7, v102
	v_cndmask_b32_e32 v4, v73, v102, vcc
	v_lshrrev_b32_e32 v4, s62, v4
	v_and_b32_e32 v12, s63, v4
	v_and_b32_e32 v4, 1, v12
	v_add_co_u32_e32 v30, vcc, -1, v4
	v_addc_co_u32_e64 v31, s[38:39], 0, -1, vcc
	v_cmp_ne_u32_e32 vcc, 0, v4
	v_xor_b32_e32 v4, vcc_hi, v31
	v_and_b32_e32 v31, exec_hi, v4
	v_lshlrev_b32_e32 v4, 30, v12
	v_xor_b32_e32 v30, vcc_lo, v30
	v_cmp_gt_i64_e32 vcc, 0, v[3:4]
	v_not_b32_e32 v4, v4
	v_ashrrev_i32_e32 v4, 31, v4
	v_and_b32_e32 v30, exec_lo, v30
	v_xor_b32_e32 v105, vcc_hi, v4
	v_xor_b32_e32 v4, vcc_lo, v4
	v_and_b32_e32 v30, v30, v4
	v_lshlrev_b32_e32 v4, 29, v12
	v_cmp_gt_i64_e32 vcc, 0, v[3:4]
	v_not_b32_e32 v4, v4
	v_ashrrev_i32_e32 v4, 31, v4
	v_and_b32_e32 v31, v31, v105
	v_xor_b32_e32 v105, vcc_hi, v4
	v_xor_b32_e32 v4, vcc_lo, v4
	v_and_b32_e32 v30, v30, v4
	v_lshlrev_b32_e32 v4, 28, v12
	v_cmp_gt_i64_e32 vcc, 0, v[3:4]
	v_not_b32_e32 v4, v4
	v_ashrrev_i32_e32 v4, 31, v4
	v_and_b32_e32 v31, v31, v105
	;; [unrolled: 8-line block ×5, first 2 shown]
	v_xor_b32_e32 v105, vcc_hi, v4
	v_xor_b32_e32 v4, vcc_lo, v4
	v_and_b32_e32 v30, v30, v4
	v_lshlrev_b32_e32 v4, 24, v12
	v_cmp_gt_i64_e32 vcc, 0, v[3:4]
	v_not_b32_e32 v4, v4
	v_ashrrev_i32_e32 v4, 31, v4
	v_mul_u32_u24_e32 v106, 20, v12
	v_xor_b32_e32 v12, vcc_hi, v4
	v_xor_b32_e32 v4, vcc_lo, v4
	v_and_b32_e32 v31, v31, v105
	v_and_b32_e32 v30, v30, v4
	;; [unrolled: 1-line block ×3, first 2 shown]
	v_mbcnt_lo_u32_b32 v4, v30, 0
	v_mbcnt_hi_u32_b32 v105, v31, v4
	v_cmp_ne_u64_e32 vcc, 0, v[30:31]
	v_cmp_eq_u32_e64 s[38:39], 0, v105
	v_add_u32_e32 v104, 0x410, v49
	v_add_u32_e32 v103, 0x418, v49
	s_and_b64 s[40:41], vcc, s[38:39]
	v_add_u32_e32 v106, v100, v106
	ds_write2_b32 v104, v3, v3 offset1:1
	ds_write2_b32 v103, v3, v3 offset1:1
	ds_write_b32 v49, v3 offset:1056
	s_waitcnt lgkmcnt(0)
	s_barrier
	; wave barrier
	s_and_saveexec_b64 s[38:39], s[40:41]
; %bb.79:                               ;   in Loop: Header=BB1433_64 Depth=2
	v_bcnt_u32_b32 v4, v30, 0
	v_bcnt_u32_b32 v4, v31, v4
	ds_write_b32 v106, v4 offset:1040
; %bb.80:                               ;   in Loop: Header=BB1433_64 Depth=2
	s_or_b64 exec, exec, s[38:39]
	v_cmp_lt_i32_e32 vcc, -1, v13
	v_cndmask_b32_e32 v4, -1, v73, vcc
	v_xor_b32_e32 v30, v4, v13
	v_cmp_ne_u32_e32 vcc, s7, v30
	v_cndmask_b32_e32 v4, v73, v30, vcc
	v_lshrrev_b32_e32 v4, s62, v4
	v_and_b32_e32 v12, s63, v4
	v_mad_u32_u24 v4, v12, 20, v100
	; wave barrier
	ds_read_b32 v31, v4 offset:1040
	v_and_b32_e32 v4, 1, v12
	v_add_co_u32_e32 v13, vcc, -1, v4
	v_addc_co_u32_e64 v107, s[38:39], 0, -1, vcc
	v_cmp_ne_u32_e32 vcc, 0, v4
	v_xor_b32_e32 v4, vcc_hi, v107
	v_and_b32_e32 v107, exec_hi, v4
	v_lshlrev_b32_e32 v4, 30, v12
	v_xor_b32_e32 v13, vcc_lo, v13
	v_cmp_gt_i64_e32 vcc, 0, v[3:4]
	v_not_b32_e32 v4, v4
	v_ashrrev_i32_e32 v4, 31, v4
	v_and_b32_e32 v13, exec_lo, v13
	v_xor_b32_e32 v109, vcc_hi, v4
	v_xor_b32_e32 v4, vcc_lo, v4
	v_and_b32_e32 v13, v13, v4
	v_lshlrev_b32_e32 v4, 29, v12
	v_cmp_gt_i64_e32 vcc, 0, v[3:4]
	v_not_b32_e32 v4, v4
	v_ashrrev_i32_e32 v4, 31, v4
	v_and_b32_e32 v107, v107, v109
	v_xor_b32_e32 v109, vcc_hi, v4
	v_xor_b32_e32 v4, vcc_lo, v4
	v_and_b32_e32 v13, v13, v4
	v_lshlrev_b32_e32 v4, 28, v12
	v_cmp_gt_i64_e32 vcc, 0, v[3:4]
	v_not_b32_e32 v4, v4
	v_ashrrev_i32_e32 v4, 31, v4
	v_and_b32_e32 v107, v107, v109
	v_xor_b32_e32 v109, vcc_hi, v4
	v_xor_b32_e32 v4, vcc_lo, v4
	v_and_b32_e32 v13, v13, v4
	v_lshlrev_b32_e32 v4, 27, v12
	v_cmp_gt_i64_e32 vcc, 0, v[3:4]
	v_not_b32_e32 v4, v4
	v_ashrrev_i32_e32 v4, 31, v4
	v_and_b32_e32 v107, v107, v109
	v_xor_b32_e32 v109, vcc_hi, v4
	v_xor_b32_e32 v4, vcc_lo, v4
	v_and_b32_e32 v13, v13, v4
	v_lshlrev_b32_e32 v4, 26, v12
	v_cmp_gt_i64_e32 vcc, 0, v[3:4]
	v_not_b32_e32 v4, v4
	v_ashrrev_i32_e32 v4, 31, v4
	v_and_b32_e32 v107, v107, v109
	v_xor_b32_e32 v109, vcc_hi, v4
	v_xor_b32_e32 v4, vcc_lo, v4
	v_and_b32_e32 v13, v13, v4
	v_lshlrev_b32_e32 v4, 25, v12
	v_cmp_gt_i64_e32 vcc, 0, v[3:4]
	v_not_b32_e32 v4, v4
	v_ashrrev_i32_e32 v4, 31, v4
	v_and_b32_e32 v107, v107, v109
	v_xor_b32_e32 v109, vcc_hi, v4
	v_xor_b32_e32 v4, vcc_lo, v4
	v_and_b32_e32 v107, v107, v109
	v_and_b32_e32 v109, v13, v4
	v_lshlrev_b32_e32 v4, 24, v12
	v_cmp_gt_i64_e32 vcc, 0, v[3:4]
	v_not_b32_e32 v4, v4
	v_ashrrev_i32_e32 v4, 31, v4
	v_mul_u32_u24_e32 v108, 20, v12
	v_xor_b32_e32 v12, vcc_hi, v4
	v_xor_b32_e32 v4, vcc_lo, v4
	v_and_b32_e32 v13, v107, v12
	v_and_b32_e32 v12, v109, v4
	v_mbcnt_lo_u32_b32 v4, v12, 0
	v_mbcnt_hi_u32_b32 v107, v13, v4
	v_cmp_ne_u64_e32 vcc, 0, v[12:13]
	v_cmp_eq_u32_e64 s[38:39], 0, v107
	s_and_b64 s[40:41], vcc, s[38:39]
	v_add_u32_e32 v110, v100, v108
	; wave barrier
	s_and_saveexec_b64 s[38:39], s[40:41]
	s_cbranch_execz .LBB1433_82
; %bb.81:                               ;   in Loop: Header=BB1433_64 Depth=2
	v_bcnt_u32_b32 v4, v12, 0
	v_bcnt_u32_b32 v4, v13, v4
	s_waitcnt lgkmcnt(0)
	v_add_u32_e32 v4, v31, v4
	ds_write_b32 v110, v4 offset:1040
.LBB1433_82:                            ;   in Loop: Header=BB1433_64 Depth=2
	s_or_b64 exec, exec, s[38:39]
	v_cmp_lt_i32_e32 vcc, -1, v14
	v_cndmask_b32_e32 v4, -1, v73, vcc
	v_xor_b32_e32 v108, v4, v14
	v_cmp_ne_u32_e32 vcc, s7, v108
	v_cndmask_b32_e32 v4, v73, v108, vcc
	v_lshrrev_b32_e32 v4, s62, v4
	v_and_b32_e32 v12, s63, v4
	v_mad_u32_u24 v4, v12, 20, v100
	; wave barrier
	ds_read_b32 v109, v4 offset:1040
	v_and_b32_e32 v4, 1, v12
	v_add_co_u32_e32 v13, vcc, -1, v4
	v_addc_co_u32_e64 v111, s[38:39], 0, -1, vcc
	v_cmp_ne_u32_e32 vcc, 0, v4
	v_xor_b32_e32 v4, vcc_hi, v111
	v_and_b32_e32 v111, exec_hi, v4
	v_lshlrev_b32_e32 v4, 30, v12
	v_xor_b32_e32 v13, vcc_lo, v13
	v_cmp_gt_i64_e32 vcc, 0, v[3:4]
	v_not_b32_e32 v4, v4
	v_ashrrev_i32_e32 v4, 31, v4
	v_and_b32_e32 v13, exec_lo, v13
	v_xor_b32_e32 v112, vcc_hi, v4
	v_xor_b32_e32 v4, vcc_lo, v4
	v_and_b32_e32 v13, v13, v4
	v_lshlrev_b32_e32 v4, 29, v12
	v_cmp_gt_i64_e32 vcc, 0, v[3:4]
	v_not_b32_e32 v4, v4
	v_ashrrev_i32_e32 v4, 31, v4
	v_and_b32_e32 v111, v111, v112
	v_xor_b32_e32 v112, vcc_hi, v4
	v_xor_b32_e32 v4, vcc_lo, v4
	v_and_b32_e32 v13, v13, v4
	v_lshlrev_b32_e32 v4, 28, v12
	v_cmp_gt_i64_e32 vcc, 0, v[3:4]
	v_not_b32_e32 v4, v4
	v_ashrrev_i32_e32 v4, 31, v4
	v_and_b32_e32 v111, v111, v112
	;; [unrolled: 8-line block ×5, first 2 shown]
	v_xor_b32_e32 v112, vcc_hi, v4
	v_xor_b32_e32 v4, vcc_lo, v4
	v_and_b32_e32 v111, v111, v112
	v_and_b32_e32 v112, v13, v4
	v_lshlrev_b32_e32 v4, 24, v12
	v_cmp_gt_i64_e32 vcc, 0, v[3:4]
	v_not_b32_e32 v4, v4
	v_ashrrev_i32_e32 v4, 31, v4
	v_mul_u32_u24_e32 v14, 20, v12
	v_xor_b32_e32 v12, vcc_hi, v4
	v_xor_b32_e32 v4, vcc_lo, v4
	v_and_b32_e32 v13, v111, v12
	v_and_b32_e32 v12, v112, v4
	v_mbcnt_lo_u32_b32 v4, v12, 0
	v_mbcnt_hi_u32_b32 v111, v13, v4
	v_cmp_ne_u64_e32 vcc, 0, v[12:13]
	v_cmp_eq_u32_e64 s[38:39], 0, v111
	s_and_b64 s[40:41], vcc, s[38:39]
	v_add_u32_e32 v114, v100, v14
	; wave barrier
	s_and_saveexec_b64 s[38:39], s[40:41]
	s_cbranch_execz .LBB1433_84
; %bb.83:                               ;   in Loop: Header=BB1433_64 Depth=2
	v_bcnt_u32_b32 v4, v12, 0
	v_bcnt_u32_b32 v4, v13, v4
	s_waitcnt lgkmcnt(0)
	v_add_u32_e32 v4, v109, v4
	ds_write_b32 v114, v4 offset:1040
.LBB1433_84:                            ;   in Loop: Header=BB1433_64 Depth=2
	s_or_b64 exec, exec, s[38:39]
	v_cmp_lt_i32_e32 vcc, -1, v15
	v_cndmask_b32_e32 v4, -1, v73, vcc
	v_xor_b32_e32 v112, v4, v15
	v_cmp_ne_u32_e32 vcc, s7, v112
	v_cndmask_b32_e32 v4, v73, v112, vcc
	v_lshrrev_b32_e32 v4, s62, v4
	v_and_b32_e32 v12, s63, v4
	v_mad_u32_u24 v4, v12, 20, v100
	; wave barrier
	ds_read_b32 v113, v4 offset:1040
	v_and_b32_e32 v4, 1, v12
	v_add_co_u32_e32 v13, vcc, -1, v4
	v_addc_co_u32_e64 v15, s[38:39], 0, -1, vcc
	v_cmp_ne_u32_e32 vcc, 0, v4
	v_xor_b32_e32 v4, vcc_hi, v15
	v_and_b32_e32 v15, exec_hi, v4
	v_lshlrev_b32_e32 v4, 30, v12
	v_xor_b32_e32 v13, vcc_lo, v13
	v_cmp_gt_i64_e32 vcc, 0, v[3:4]
	v_not_b32_e32 v4, v4
	v_ashrrev_i32_e32 v4, 31, v4
	v_and_b32_e32 v13, exec_lo, v13
	v_xor_b32_e32 v115, vcc_hi, v4
	v_xor_b32_e32 v4, vcc_lo, v4
	v_and_b32_e32 v13, v13, v4
	v_lshlrev_b32_e32 v4, 29, v12
	v_cmp_gt_i64_e32 vcc, 0, v[3:4]
	v_not_b32_e32 v4, v4
	v_ashrrev_i32_e32 v4, 31, v4
	v_and_b32_e32 v15, v15, v115
	v_xor_b32_e32 v115, vcc_hi, v4
	v_xor_b32_e32 v4, vcc_lo, v4
	v_and_b32_e32 v13, v13, v4
	v_lshlrev_b32_e32 v4, 28, v12
	v_cmp_gt_i64_e32 vcc, 0, v[3:4]
	v_not_b32_e32 v4, v4
	v_ashrrev_i32_e32 v4, 31, v4
	v_and_b32_e32 v15, v15, v115
	;; [unrolled: 8-line block ×5, first 2 shown]
	v_xor_b32_e32 v115, vcc_hi, v4
	v_xor_b32_e32 v4, vcc_lo, v4
	v_and_b32_e32 v15, v15, v115
	v_and_b32_e32 v115, v13, v4
	v_lshlrev_b32_e32 v4, 24, v12
	v_cmp_gt_i64_e32 vcc, 0, v[3:4]
	v_not_b32_e32 v4, v4
	v_ashrrev_i32_e32 v4, 31, v4
	v_mul_u32_u24_e32 v14, 20, v12
	v_xor_b32_e32 v12, vcc_hi, v4
	v_xor_b32_e32 v4, vcc_lo, v4
	v_and_b32_e32 v13, v15, v12
	v_and_b32_e32 v12, v115, v4
	v_mbcnt_lo_u32_b32 v4, v12, 0
	v_mbcnt_hi_u32_b32 v115, v13, v4
	v_cmp_ne_u64_e32 vcc, 0, v[12:13]
	v_cmp_eq_u32_e64 s[38:39], 0, v115
	s_and_b64 s[40:41], vcc, s[38:39]
	v_add_u32_e32 v117, v100, v14
	; wave barrier
	s_and_saveexec_b64 s[38:39], s[40:41]
	s_cbranch_execz .LBB1433_86
; %bb.85:                               ;   in Loop: Header=BB1433_64 Depth=2
	v_bcnt_u32_b32 v4, v12, 0
	v_bcnt_u32_b32 v4, v13, v4
	s_waitcnt lgkmcnt(0)
	v_add_u32_e32 v4, v113, v4
	ds_write_b32 v117, v4 offset:1040
.LBB1433_86:                            ;   in Loop: Header=BB1433_64 Depth=2
	s_or_b64 exec, exec, s[38:39]
	v_cmp_lt_i32_e32 vcc, -1, v16
	v_cndmask_b32_e32 v4, -1, v73, vcc
	v_xor_b32_e32 v116, v4, v16
	v_cmp_ne_u32_e32 vcc, s7, v116
	v_cndmask_b32_e32 v4, v73, v116, vcc
	v_lshrrev_b32_e32 v4, s62, v4
	v_and_b32_e32 v12, s63, v4
	v_mad_u32_u24 v4, v12, 20, v100
	; wave barrier
	ds_read_b32 v16, v4 offset:1040
	v_and_b32_e32 v4, 1, v12
	v_add_co_u32_e32 v13, vcc, -1, v4
	v_addc_co_u32_e64 v15, s[38:39], 0, -1, vcc
	v_cmp_ne_u32_e32 vcc, 0, v4
	v_xor_b32_e32 v4, vcc_hi, v15
	v_and_b32_e32 v15, exec_hi, v4
	v_lshlrev_b32_e32 v4, 30, v12
	v_xor_b32_e32 v13, vcc_lo, v13
	v_cmp_gt_i64_e32 vcc, 0, v[3:4]
	v_not_b32_e32 v4, v4
	v_ashrrev_i32_e32 v4, 31, v4
	v_and_b32_e32 v13, exec_lo, v13
	v_xor_b32_e32 v118, vcc_hi, v4
	v_xor_b32_e32 v4, vcc_lo, v4
	v_and_b32_e32 v13, v13, v4
	v_lshlrev_b32_e32 v4, 29, v12
	v_cmp_gt_i64_e32 vcc, 0, v[3:4]
	v_not_b32_e32 v4, v4
	v_ashrrev_i32_e32 v4, 31, v4
	v_and_b32_e32 v15, v15, v118
	v_xor_b32_e32 v118, vcc_hi, v4
	v_xor_b32_e32 v4, vcc_lo, v4
	v_and_b32_e32 v13, v13, v4
	v_lshlrev_b32_e32 v4, 28, v12
	v_cmp_gt_i64_e32 vcc, 0, v[3:4]
	v_not_b32_e32 v4, v4
	v_ashrrev_i32_e32 v4, 31, v4
	v_and_b32_e32 v15, v15, v118
	;; [unrolled: 8-line block ×5, first 2 shown]
	v_xor_b32_e32 v118, vcc_hi, v4
	v_xor_b32_e32 v4, vcc_lo, v4
	v_and_b32_e32 v15, v15, v118
	v_and_b32_e32 v118, v13, v4
	v_lshlrev_b32_e32 v4, 24, v12
	v_cmp_gt_i64_e32 vcc, 0, v[3:4]
	v_not_b32_e32 v4, v4
	v_ashrrev_i32_e32 v4, 31, v4
	v_mul_u32_u24_e32 v14, 20, v12
	v_xor_b32_e32 v12, vcc_hi, v4
	v_xor_b32_e32 v4, vcc_lo, v4
	v_and_b32_e32 v13, v15, v12
	v_and_b32_e32 v12, v118, v4
	v_mbcnt_lo_u32_b32 v4, v12, 0
	v_mbcnt_hi_u32_b32 v118, v13, v4
	v_cmp_ne_u64_e32 vcc, 0, v[12:13]
	v_cmp_eq_u32_e64 s[38:39], 0, v118
	s_and_b64 s[40:41], vcc, s[38:39]
	v_add_u32_e32 v121, v100, v14
	; wave barrier
	s_and_saveexec_b64 s[38:39], s[40:41]
	s_cbranch_execz .LBB1433_88
; %bb.87:                               ;   in Loop: Header=BB1433_64 Depth=2
	v_bcnt_u32_b32 v4, v12, 0
	v_bcnt_u32_b32 v4, v13, v4
	s_waitcnt lgkmcnt(0)
	v_add_u32_e32 v4, v16, v4
	ds_write_b32 v121, v4 offset:1040
.LBB1433_88:                            ;   in Loop: Header=BB1433_64 Depth=2
	s_or_b64 exec, exec, s[38:39]
	v_cmp_lt_i32_e32 vcc, -1, v17
	v_cndmask_b32_e32 v4, -1, v73, vcc
	v_xor_b32_e32 v119, v4, v17
	v_cmp_ne_u32_e32 vcc, s7, v119
	v_cndmask_b32_e32 v4, v73, v119, vcc
	v_lshrrev_b32_e32 v4, s62, v4
	v_and_b32_e32 v12, s63, v4
	v_mad_u32_u24 v4, v12, 20, v100
	; wave barrier
	ds_read_b32 v120, v4 offset:1040
	v_and_b32_e32 v4, 1, v12
	v_add_co_u32_e32 v13, vcc, -1, v4
	v_addc_co_u32_e64 v15, s[38:39], 0, -1, vcc
	v_cmp_ne_u32_e32 vcc, 0, v4
	v_xor_b32_e32 v4, vcc_hi, v15
	v_and_b32_e32 v15, exec_hi, v4
	v_lshlrev_b32_e32 v4, 30, v12
	v_xor_b32_e32 v13, vcc_lo, v13
	v_cmp_gt_i64_e32 vcc, 0, v[3:4]
	v_not_b32_e32 v4, v4
	v_ashrrev_i32_e32 v4, 31, v4
	v_and_b32_e32 v13, exec_lo, v13
	v_xor_b32_e32 v17, vcc_hi, v4
	v_xor_b32_e32 v4, vcc_lo, v4
	v_and_b32_e32 v13, v13, v4
	v_lshlrev_b32_e32 v4, 29, v12
	v_cmp_gt_i64_e32 vcc, 0, v[3:4]
	v_not_b32_e32 v4, v4
	v_ashrrev_i32_e32 v4, 31, v4
	v_and_b32_e32 v15, v15, v17
	v_xor_b32_e32 v17, vcc_hi, v4
	v_xor_b32_e32 v4, vcc_lo, v4
	v_and_b32_e32 v13, v13, v4
	v_lshlrev_b32_e32 v4, 28, v12
	v_cmp_gt_i64_e32 vcc, 0, v[3:4]
	v_not_b32_e32 v4, v4
	v_ashrrev_i32_e32 v4, 31, v4
	v_and_b32_e32 v15, v15, v17
	;; [unrolled: 8-line block ×5, first 2 shown]
	v_xor_b32_e32 v17, vcc_hi, v4
	v_xor_b32_e32 v4, vcc_lo, v4
	v_and_b32_e32 v15, v15, v17
	v_and_b32_e32 v17, v13, v4
	v_lshlrev_b32_e32 v4, 24, v12
	v_cmp_gt_i64_e32 vcc, 0, v[3:4]
	v_not_b32_e32 v4, v4
	v_ashrrev_i32_e32 v4, 31, v4
	v_mul_u32_u24_e32 v14, 20, v12
	v_xor_b32_e32 v12, vcc_hi, v4
	v_xor_b32_e32 v4, vcc_lo, v4
	v_and_b32_e32 v13, v15, v12
	v_and_b32_e32 v12, v17, v4
	v_mbcnt_lo_u32_b32 v4, v12, 0
	v_mbcnt_hi_u32_b32 v122, v13, v4
	v_cmp_ne_u64_e32 vcc, 0, v[12:13]
	v_cmp_eq_u32_e64 s[38:39], 0, v122
	s_and_b64 s[40:41], vcc, s[38:39]
	v_add_u32_e32 v17, v100, v14
	; wave barrier
	s_and_saveexec_b64 s[38:39], s[40:41]
	s_cbranch_execz .LBB1433_90
; %bb.89:                               ;   in Loop: Header=BB1433_64 Depth=2
	v_bcnt_u32_b32 v4, v12, 0
	v_bcnt_u32_b32 v4, v13, v4
	s_waitcnt lgkmcnt(0)
	v_add_u32_e32 v4, v120, v4
	ds_write_b32 v17, v4 offset:1040
.LBB1433_90:                            ;   in Loop: Header=BB1433_64 Depth=2
	s_or_b64 exec, exec, s[38:39]
	v_cmp_lt_i32_e32 vcc, -1, v18
	v_cndmask_b32_e32 v4, -1, v73, vcc
	v_xor_b32_e32 v123, v4, v18
	v_cmp_ne_u32_e32 vcc, s7, v123
	v_cndmask_b32_e32 v4, v73, v123, vcc
	v_lshrrev_b32_e32 v4, s62, v4
	v_and_b32_e32 v12, s63, v4
	v_mad_u32_u24 v4, v12, 20, v100
	; wave barrier
	ds_read_b32 v124, v4 offset:1040
	v_and_b32_e32 v4, 1, v12
	v_add_co_u32_e32 v13, vcc, -1, v4
	v_addc_co_u32_e64 v15, s[38:39], 0, -1, vcc
	v_cmp_ne_u32_e32 vcc, 0, v4
	v_xor_b32_e32 v4, vcc_hi, v15
	v_and_b32_e32 v15, exec_hi, v4
	v_lshlrev_b32_e32 v4, 30, v12
	v_xor_b32_e32 v13, vcc_lo, v13
	v_cmp_gt_i64_e32 vcc, 0, v[3:4]
	v_not_b32_e32 v4, v4
	v_ashrrev_i32_e32 v4, 31, v4
	v_and_b32_e32 v13, exec_lo, v13
	v_xor_b32_e32 v18, vcc_hi, v4
	v_xor_b32_e32 v4, vcc_lo, v4
	v_and_b32_e32 v13, v13, v4
	v_lshlrev_b32_e32 v4, 29, v12
	v_cmp_gt_i64_e32 vcc, 0, v[3:4]
	v_not_b32_e32 v4, v4
	v_ashrrev_i32_e32 v4, 31, v4
	v_and_b32_e32 v15, v15, v18
	v_xor_b32_e32 v18, vcc_hi, v4
	v_xor_b32_e32 v4, vcc_lo, v4
	v_and_b32_e32 v13, v13, v4
	v_lshlrev_b32_e32 v4, 28, v12
	v_cmp_gt_i64_e32 vcc, 0, v[3:4]
	v_not_b32_e32 v4, v4
	v_ashrrev_i32_e32 v4, 31, v4
	v_and_b32_e32 v15, v15, v18
	;; [unrolled: 8-line block ×5, first 2 shown]
	v_xor_b32_e32 v18, vcc_hi, v4
	v_xor_b32_e32 v4, vcc_lo, v4
	v_and_b32_e32 v15, v15, v18
	v_and_b32_e32 v18, v13, v4
	v_lshlrev_b32_e32 v4, 24, v12
	v_cmp_gt_i64_e32 vcc, 0, v[3:4]
	v_not_b32_e32 v4, v4
	v_ashrrev_i32_e32 v4, 31, v4
	v_mul_u32_u24_e32 v14, 20, v12
	v_xor_b32_e32 v12, vcc_hi, v4
	v_xor_b32_e32 v4, vcc_lo, v4
	v_and_b32_e32 v13, v15, v12
	v_and_b32_e32 v12, v18, v4
	v_mbcnt_lo_u32_b32 v4, v12, 0
	v_mbcnt_hi_u32_b32 v125, v13, v4
	v_cmp_ne_u64_e32 vcc, 0, v[12:13]
	v_cmp_eq_u32_e64 s[38:39], 0, v125
	s_and_b64 s[40:41], vcc, s[38:39]
	v_add_u32_e32 v18, v100, v14
	; wave barrier
	s_and_saveexec_b64 s[38:39], s[40:41]
	s_cbranch_execz .LBB1433_92
; %bb.91:                               ;   in Loop: Header=BB1433_64 Depth=2
	v_bcnt_u32_b32 v4, v12, 0
	v_bcnt_u32_b32 v4, v13, v4
	s_waitcnt lgkmcnt(0)
	v_add_u32_e32 v4, v124, v4
	ds_write_b32 v18, v4 offset:1040
.LBB1433_92:                            ;   in Loop: Header=BB1433_64 Depth=2
	s_or_b64 exec, exec, s[38:39]
	v_cmp_lt_i32_e32 vcc, -1, v19
	v_cndmask_b32_e32 v4, -1, v73, vcc
	v_xor_b32_e32 v126, v4, v19
	v_cmp_ne_u32_e32 vcc, s7, v126
	v_cndmask_b32_e32 v4, v73, v126, vcc
	v_lshrrev_b32_e32 v4, s62, v4
	v_and_b32_e32 v12, s63, v4
	v_mad_u32_u24 v4, v12, 20, v100
	; wave barrier
	ds_read_b32 v127, v4 offset:1040
	v_and_b32_e32 v4, 1, v12
	v_add_co_u32_e32 v13, vcc, -1, v4
	v_addc_co_u32_e64 v15, s[38:39], 0, -1, vcc
	v_cmp_ne_u32_e32 vcc, 0, v4
	v_xor_b32_e32 v4, vcc_hi, v15
	v_and_b32_e32 v15, exec_hi, v4
	v_lshlrev_b32_e32 v4, 30, v12
	v_xor_b32_e32 v13, vcc_lo, v13
	v_cmp_gt_i64_e32 vcc, 0, v[3:4]
	v_not_b32_e32 v4, v4
	v_ashrrev_i32_e32 v4, 31, v4
	v_and_b32_e32 v13, exec_lo, v13
	v_xor_b32_e32 v19, vcc_hi, v4
	v_xor_b32_e32 v4, vcc_lo, v4
	v_and_b32_e32 v13, v13, v4
	v_lshlrev_b32_e32 v4, 29, v12
	v_cmp_gt_i64_e32 vcc, 0, v[3:4]
	v_not_b32_e32 v4, v4
	v_ashrrev_i32_e32 v4, 31, v4
	v_and_b32_e32 v15, v15, v19
	v_xor_b32_e32 v19, vcc_hi, v4
	v_xor_b32_e32 v4, vcc_lo, v4
	v_and_b32_e32 v13, v13, v4
	v_lshlrev_b32_e32 v4, 28, v12
	v_cmp_gt_i64_e32 vcc, 0, v[3:4]
	v_not_b32_e32 v4, v4
	v_ashrrev_i32_e32 v4, 31, v4
	v_and_b32_e32 v15, v15, v19
	;; [unrolled: 8-line block ×5, first 2 shown]
	v_xor_b32_e32 v19, vcc_hi, v4
	v_xor_b32_e32 v4, vcc_lo, v4
	v_and_b32_e32 v15, v15, v19
	v_and_b32_e32 v19, v13, v4
	v_lshlrev_b32_e32 v4, 24, v12
	v_cmp_gt_i64_e32 vcc, 0, v[3:4]
	v_not_b32_e32 v4, v4
	v_ashrrev_i32_e32 v4, 31, v4
	v_mul_u32_u24_e32 v14, 20, v12
	v_xor_b32_e32 v12, vcc_hi, v4
	v_xor_b32_e32 v4, vcc_lo, v4
	v_and_b32_e32 v13, v15, v12
	v_and_b32_e32 v12, v19, v4
	v_mbcnt_lo_u32_b32 v4, v12, 0
	v_mbcnt_hi_u32_b32 v128, v13, v4
	v_cmp_ne_u64_e32 vcc, 0, v[12:13]
	v_cmp_eq_u32_e64 s[38:39], 0, v128
	s_and_b64 s[40:41], vcc, s[38:39]
	v_add_u32_e32 v4, v100, v14
	; wave barrier
	s_and_saveexec_b64 s[38:39], s[40:41]
	s_cbranch_execz .LBB1433_94
; %bb.93:                               ;   in Loop: Header=BB1433_64 Depth=2
	v_bcnt_u32_b32 v12, v12, 0
	v_bcnt_u32_b32 v12, v13, v12
	s_waitcnt lgkmcnt(0)
	v_add_u32_e32 v12, v127, v12
	ds_write_b32 v4, v12 offset:1040
.LBB1433_94:                            ;   in Loop: Header=BB1433_64 Depth=2
	s_or_b64 exec, exec, s[38:39]
	; wave barrier
	s_waitcnt lgkmcnt(0)
	s_barrier
	ds_read2_b32 v[14:15], v104 offset1:1
	ds_read2_b32 v[12:13], v103 offset1:1
	ds_read_b32 v19, v49 offset:1056
	s_waitcnt lgkmcnt(1)
	v_add3_u32 v129, v15, v14, v12
	s_waitcnt lgkmcnt(0)
	v_add3_u32 v19, v129, v13, v19
	s_nop 1
	v_mov_b32_dpp v129, v19 row_shr:1 row_mask:0xf bank_mask:0xf
	v_cndmask_b32_e64 v129, v129, 0, s[18:19]
	v_add_u32_e32 v19, v129, v19
	s_nop 1
	v_mov_b32_dpp v129, v19 row_shr:2 row_mask:0xf bank_mask:0xf
	v_cndmask_b32_e64 v129, 0, v129, s[20:21]
	v_add_u32_e32 v19, v19, v129
	;; [unrolled: 4-line block ×4, first 2 shown]
	s_nop 1
	v_mov_b32_dpp v129, v19 row_bcast:15 row_mask:0xf bank_mask:0xf
	v_cndmask_b32_e64 v129, v129, 0, s[26:27]
	v_add_u32_e32 v19, v19, v129
	s_nop 1
	v_mov_b32_dpp v129, v19 row_bcast:31 row_mask:0xf bank_mask:0xf
	v_cndmask_b32_e64 v129, 0, v129, s[28:29]
	v_add_u32_e32 v19, v19, v129
	s_and_saveexec_b64 s[38:39], s[8:9]
; %bb.95:                               ;   in Loop: Header=BB1433_64 Depth=2
	ds_write_b32 v44, v19 offset:1024
; %bb.96:                               ;   in Loop: Header=BB1433_64 Depth=2
	s_or_b64 exec, exec, s[38:39]
	s_waitcnt lgkmcnt(0)
	s_barrier
	s_and_saveexec_b64 s[38:39], s[10:11]
	s_cbranch_execz .LBB1433_98
; %bb.97:                               ;   in Loop: Header=BB1433_64 Depth=2
	ds_read_b32 v129, v50 offset:1024
	s_waitcnt lgkmcnt(0)
	s_nop 0
	v_mov_b32_dpp v130, v129 row_shr:1 row_mask:0xf bank_mask:0xf
	v_cndmask_b32_e64 v130, v130, 0, s[34:35]
	v_add_u32_e32 v129, v130, v129
	s_nop 1
	v_mov_b32_dpp v130, v129 row_shr:2 row_mask:0xf bank_mask:0xf
	v_cndmask_b32_e64 v130, 0, v130, s[36:37]
	v_add_u32_e32 v129, v129, v130
	ds_write_b32 v50, v129 offset:1024
.LBB1433_98:                            ;   in Loop: Header=BB1433_64 Depth=2
	s_or_b64 exec, exec, s[38:39]
	v_mov_b32_e32 v129, 0
	s_waitcnt lgkmcnt(0)
	s_barrier
	s_and_saveexec_b64 s[38:39], s[12:13]
; %bb.99:                               ;   in Loop: Header=BB1433_64 Depth=2
	ds_read_b32 v129, v44 offset:1020
; %bb.100:                              ;   in Loop: Header=BB1433_64 Depth=2
	s_or_b64 exec, exec, s[38:39]
	s_waitcnt lgkmcnt(0)
	v_add_u32_e32 v19, v129, v19
	ds_bpermute_b32 v19, v79, v19
	s_waitcnt lgkmcnt(0)
	v_cndmask_b32_e64 v19, v19, v129, s[30:31]
	v_cndmask_b32_e64 v19, v19, 0, s[14:15]
	v_add_u32_e32 v14, v19, v14
	v_add_u32_e32 v15, v14, v15
	;; [unrolled: 1-line block ×4, first 2 shown]
	ds_write2_b32 v104, v19, v14 offset1:1
	ds_write2_b32 v103, v15, v12 offset1:1
	ds_write_b32 v49, v13 offset:1056
	s_waitcnt lgkmcnt(0)
	s_barrier
	ds_read_b32 v12, v106 offset:1040
	ds_read_b32 v13, v110 offset:1040
	;; [unrolled: 1-line block ×9, first 2 shown]
	v_mov_b32_e32 v4, 0x800
	s_and_saveexec_b64 s[38:39], s[16:17]
; %bb.101:                              ;   in Loop: Header=BB1433_64 Depth=2
	ds_read_b32 v4, v49 offset:1060
; %bb.102:                              ;   in Loop: Header=BB1433_64 Depth=2
	s_or_b64 exec, exec, s[38:39]
	s_waitcnt lgkmcnt(0)
	s_barrier
	s_and_saveexec_b64 s[38:39], s[4:5]
	s_cbranch_execz .LBB1433_104
; %bb.103:                              ;   in Loop: Header=BB1433_64 Depth=2
	ds_read_b32 v18, v32
	s_waitcnt lgkmcnt(0)
	v_sub_u32_e32 v17, v18, v17
	ds_write_b32 v32, v17
.LBB1433_104:                           ;   in Loop: Header=BB1433_64 Depth=2
	s_or_b64 exec, exec, s[38:39]
	v_add_u32_e32 v103, v12, v105
	v_add3_u32 v31, v107, v31, v13
	v_lshlrev_b32_e32 v12, 2, v103
	v_add3_u32 v19, v111, v109, v14
	ds_write_b32 v12, v102 offset:1024
	v_lshlrev_b32_e32 v12, 2, v31
	v_add3_u32 v18, v115, v113, v15
	ds_write_b32 v12, v30 offset:1024
	;; [unrolled: 3-line block ×6, first 2 shown]
	v_lshlrev_b32_e32 v12, 2, v15
	ds_write_b32 v12, v123 offset:1024
	v_lshlrev_b32_e32 v12, 2, v14
	v_cmp_lt_u32_e32 vcc, v0, v101
	ds_write_b32 v12, v126 offset:1024
	s_waitcnt lgkmcnt(0)
	s_barrier
	s_and_saveexec_b64 s[40:41], vcc
	s_cbranch_execnz .LBB1433_141
; %bb.105:                              ;   in Loop: Header=BB1433_64 Depth=2
	s_or_b64 exec, exec, s[40:41]
	v_cmp_lt_u32_e64 s[38:39], v33, v101
	s_and_saveexec_b64 s[42:43], s[38:39]
	s_cbranch_execnz .LBB1433_142
.LBB1433_106:                           ;   in Loop: Header=BB1433_64 Depth=2
	s_or_b64 exec, exec, s[42:43]
	v_cmp_lt_u32_e64 s[40:41], v34, v101
	s_and_saveexec_b64 s[44:45], s[40:41]
	s_cbranch_execnz .LBB1433_143
.LBB1433_107:                           ;   in Loop: Header=BB1433_64 Depth=2
	s_or_b64 exec, exec, s[44:45]
	v_cmp_lt_u32_e64 s[42:43], v35, v101
	s_and_saveexec_b64 s[46:47], s[42:43]
	s_cbranch_execnz .LBB1433_144
.LBB1433_108:                           ;   in Loop: Header=BB1433_64 Depth=2
	s_or_b64 exec, exec, s[46:47]
	v_cmp_lt_u32_e64 s[44:45], v38, v101
	s_and_saveexec_b64 s[48:49], s[44:45]
	s_cbranch_execnz .LBB1433_145
.LBB1433_109:                           ;   in Loop: Header=BB1433_64 Depth=2
	s_or_b64 exec, exec, s[48:49]
	v_cmp_lt_u32_e64 s[46:47], v39, v101
	s_and_saveexec_b64 s[50:51], s[46:47]
	s_cbranch_execnz .LBB1433_146
.LBB1433_110:                           ;   in Loop: Header=BB1433_64 Depth=2
	s_or_b64 exec, exec, s[50:51]
	v_cmp_lt_u32_e64 s[48:49], v40, v101
	s_and_saveexec_b64 s[52:53], s[48:49]
	s_cbranch_execnz .LBB1433_147
.LBB1433_111:                           ;   in Loop: Header=BB1433_64 Depth=2
	s_or_b64 exec, exec, s[52:53]
	v_cmp_lt_u32_e64 s[50:51], v41, v101
	s_and_saveexec_b64 s[60:61], s[50:51]
	s_cbranch_execz .LBB1433_113
.LBB1433_112:                           ;   in Loop: Header=BB1433_64 Depth=2
	ds_read_b32 v12, v50 offset:8192
	v_mov_b32_e32 v13, v3
	v_mov_b32_e32 v102, s67
	s_waitcnt lgkmcnt(0)
	v_cmp_ne_u32_e64 s[52:53], s7, v12
	v_cndmask_b32_e64 v30, v73, v12, s[52:53]
	v_lshrrev_b32_e32 v30, s62, v30
	v_and_b32_e32 v30, s63, v30
	v_lshlrev_b32_e32 v30, 2, v30
	ds_read_b32 v30, v30
	v_cmp_lt_i32_e64 s[52:53], -1, v12
	v_cndmask_b32_e64 v104, v73, -1, s[52:53]
	v_xor_b32_e32 v104, v104, v12
	s_waitcnt lgkmcnt(0)
	v_add_u32_e32 v12, v30, v41
	v_lshlrev_b64 v[12:13], 2, v[12:13]
	v_add_co_u32_e64 v12, s[52:53], s66, v12
	v_addc_co_u32_e64 v13, s[52:53], v102, v13, s[52:53]
	global_store_dword v[12:13], v104, off
.LBB1433_113:                           ;   in Loop: Header=BB1433_64 Depth=2
	s_or_b64 exec, exec, s[60:61]
	s_lshl_b64 s[52:53], s[58:59], 3
	v_mov_b32_e32 v13, s53
	v_add_co_u32_e64 v12, s[52:53], s52, v87
	v_addc_co_u32_e64 v13, s[52:53], v89, v13, s[52:53]
	v_cmp_lt_u32_e64 s[52:53], v84, v101
	s_and_saveexec_b64 s[60:61], s[52:53]
	s_xor_b64 s[52:53], exec, s[60:61]
	s_cbranch_execnz .LBB1433_148
; %bb.114:                              ;   in Loop: Header=BB1433_64 Depth=2
	s_or_b64 exec, exec, s[52:53]
	v_cmp_lt_u32_e64 s[52:53], v91, v101
	s_and_saveexec_b64 s[60:61], s[52:53]
	s_cbranch_execnz .LBB1433_149
.LBB1433_115:                           ;   in Loop: Header=BB1433_64 Depth=2
	s_or_b64 exec, exec, s[60:61]
	v_cmp_lt_u32_e64 s[52:53], v92, v101
	s_and_saveexec_b64 s[60:61], s[52:53]
	s_cbranch_execnz .LBB1433_150
.LBB1433_116:                           ;   in Loop: Header=BB1433_64 Depth=2
	s_or_b64 exec, exec, s[60:61]
	v_cmp_lt_u32_e64 s[52:53], v93, v101
	s_and_saveexec_b64 s[60:61], s[52:53]
	s_cbranch_execnz .LBB1433_151
.LBB1433_117:                           ;   in Loop: Header=BB1433_64 Depth=2
	s_or_b64 exec, exec, s[60:61]
	v_cmp_lt_u32_e64 s[52:53], v94, v101
	s_and_saveexec_b64 s[60:61], s[52:53]
	s_cbranch_execnz .LBB1433_152
.LBB1433_118:                           ;   in Loop: Header=BB1433_64 Depth=2
	s_or_b64 exec, exec, s[60:61]
	v_cmp_lt_u32_e64 s[52:53], v95, v101
	s_and_saveexec_b64 s[60:61], s[52:53]
	s_cbranch_execnz .LBB1433_153
.LBB1433_119:                           ;   in Loop: Header=BB1433_64 Depth=2
	s_or_b64 exec, exec, s[60:61]
	v_cmp_lt_u32_e64 s[52:53], v96, v101
	s_and_saveexec_b64 s[60:61], s[52:53]
	s_cbranch_execnz .LBB1433_154
.LBB1433_120:                           ;   in Loop: Header=BB1433_64 Depth=2
	s_or_b64 exec, exec, s[60:61]
	v_cmp_lt_u32_e64 s[52:53], v97, v101
	s_and_saveexec_b64 s[60:61], s[52:53]
	s_cbranch_execnz .LBB1433_155
.LBB1433_121:                           ;   in Loop: Header=BB1433_64 Depth=2
	s_or_b64 exec, exec, s[60:61]
	s_and_saveexec_b64 s[60:61], vcc
	s_cbranch_execnz .LBB1433_156
.LBB1433_122:                           ;   in Loop: Header=BB1433_64 Depth=2
	s_or_b64 exec, exec, s[60:61]
	s_and_saveexec_b64 s[60:61], s[38:39]
	s_cbranch_execnz .LBB1433_157
.LBB1433_123:                           ;   in Loop: Header=BB1433_64 Depth=2
	s_or_b64 exec, exec, s[60:61]
	s_and_saveexec_b64 s[60:61], s[40:41]
	s_cbranch_execnz .LBB1433_158
.LBB1433_124:                           ;   in Loop: Header=BB1433_64 Depth=2
	s_or_b64 exec, exec, s[60:61]
	s_and_saveexec_b64 s[60:61], s[42:43]
	s_cbranch_execnz .LBB1433_159
.LBB1433_125:                           ;   in Loop: Header=BB1433_64 Depth=2
	s_or_b64 exec, exec, s[60:61]
	s_and_saveexec_b64 s[60:61], s[44:45]
	s_cbranch_execnz .LBB1433_160
.LBB1433_126:                           ;   in Loop: Header=BB1433_64 Depth=2
	s_or_b64 exec, exec, s[60:61]
	s_and_saveexec_b64 s[60:61], s[46:47]
	s_cbranch_execnz .LBB1433_161
.LBB1433_127:                           ;   in Loop: Header=BB1433_64 Depth=2
	s_or_b64 exec, exec, s[60:61]
	s_and_saveexec_b64 s[60:61], s[48:49]
	s_cbranch_execnz .LBB1433_162
.LBB1433_128:                           ;   in Loop: Header=BB1433_64 Depth=2
	s_or_b64 exec, exec, s[60:61]
	s_and_saveexec_b64 s[60:61], s[50:51]
	s_cbranch_execz .LBB1433_130
.LBB1433_129:                           ;   in Loop: Header=BB1433_64 Depth=2
	ds_read_b32 v12, v50 offset:8192
	s_waitcnt lgkmcnt(0)
	v_cmp_ne_u32_e64 s[52:53], s7, v12
	v_cndmask_b32_e64 v12, v73, v12, s[52:53]
	v_lshrrev_b32_e32 v12, s62, v12
	v_and_b32_e32 v80, s63, v12
.LBB1433_130:                           ;   in Loop: Header=BB1433_64 Depth=2
	s_or_b64 exec, exec, s[60:61]
	v_lshlrev_b32_e32 v12, 3, v103
	s_waitcnt vmcnt(0)
	s_barrier
	ds_write_b64 v12, v[28:29] offset:1024
	v_lshlrev_b32_e32 v12, 3, v31
	ds_write_b64 v12, v[26:27] offset:1024
	v_lshlrev_b32_e32 v12, 3, v19
	ds_write_b64 v12, v[24:25] offset:1024
	v_lshlrev_b32_e32 v12, 3, v18
	ds_write_b64 v12, v[22:23] offset:1024
	v_lshlrev_b32_e32 v12, 3, v17
	ds_write_b64 v12, v[20:21] offset:1024
	v_lshlrev_b32_e32 v12, 3, v16
	ds_write_b64 v12, v[9:10] offset:1024
	v_lshlrev_b32_e32 v12, 3, v15
	ds_write_b64 v12, v[7:8] offset:1024
	v_lshlrev_b32_e32 v12, 3, v14
	ds_write_b64 v12, v[5:6] offset:1024
	s_waitcnt lgkmcnt(0)
	s_barrier
	s_and_saveexec_b64 s[52:53], vcc
	s_cbranch_execnz .LBB1433_163
; %bb.131:                              ;   in Loop: Header=BB1433_64 Depth=2
	s_or_b64 exec, exec, s[52:53]
	s_and_saveexec_b64 s[52:53], s[38:39]
	s_cbranch_execnz .LBB1433_164
.LBB1433_132:                           ;   in Loop: Header=BB1433_64 Depth=2
	s_or_b64 exec, exec, s[52:53]
	s_and_saveexec_b64 s[38:39], s[40:41]
	s_cbranch_execnz .LBB1433_165
.LBB1433_133:                           ;   in Loop: Header=BB1433_64 Depth=2
	s_or_b64 exec, exec, s[38:39]
	s_and_saveexec_b64 s[38:39], s[42:43]
	s_cbranch_execnz .LBB1433_166
.LBB1433_134:                           ;   in Loop: Header=BB1433_64 Depth=2
	s_or_b64 exec, exec, s[38:39]
	s_and_saveexec_b64 s[38:39], s[44:45]
	s_cbranch_execnz .LBB1433_167
.LBB1433_135:                           ;   in Loop: Header=BB1433_64 Depth=2
	s_or_b64 exec, exec, s[38:39]
	s_and_saveexec_b64 s[38:39], s[46:47]
	s_cbranch_execnz .LBB1433_168
.LBB1433_136:                           ;   in Loop: Header=BB1433_64 Depth=2
	s_or_b64 exec, exec, s[38:39]
	s_and_saveexec_b64 s[38:39], s[48:49]
	s_cbranch_execnz .LBB1433_169
.LBB1433_137:                           ;   in Loop: Header=BB1433_64 Depth=2
	s_or_b64 exec, exec, s[38:39]
	s_and_saveexec_b64 s[38:39], s[50:51]
	s_cbranch_execz .LBB1433_139
.LBB1433_138:                           ;   in Loop: Header=BB1433_64 Depth=2
	v_lshlrev_b32_e32 v12, 2, v80
	ds_read_b32 v14, v12
	v_add_u32_e32 v12, v50, v32
	ds_read_b64 v[12:13], v12 offset:15360
	v_mov_b32_e32 v15, v3
	v_mov_b32_e32 v16, s73
	s_waitcnt lgkmcnt(1)
	v_add_u32_e32 v14, v14, v41
	v_lshlrev_b64 v[14:15], 3, v[14:15]
	v_add_co_u32_e32 v14, vcc, s72, v14
	v_addc_co_u32_e32 v15, vcc, v16, v15, vcc
	s_waitcnt lgkmcnt(0)
	global_store_dwordx2 v[14:15], v[12:13], off
.LBB1433_139:                           ;   in Loop: Header=BB1433_64 Depth=2
	s_or_b64 exec, exec, s[38:39]
	s_waitcnt vmcnt(0)
	s_barrier
	s_and_saveexec_b64 s[38:39], s[4:5]
	s_cbranch_execz .LBB1433_63
; %bb.140:                              ;   in Loop: Header=BB1433_64 Depth=2
	ds_read_b32 v12, v32
	s_waitcnt lgkmcnt(0)
	v_add_u32_e32 v4, v12, v4
	ds_write_b32 v32, v4
	s_branch .LBB1433_63
.LBB1433_141:                           ;   in Loop: Header=BB1433_64 Depth=2
	ds_read_b32 v12, v50 offset:1024
	v_mov_b32_e32 v13, v3
	v_mov_b32_e32 v102, s67
	s_waitcnt lgkmcnt(0)
	v_cmp_ne_u32_e64 s[38:39], s7, v12
	v_cndmask_b32_e64 v30, v73, v12, s[38:39]
	v_lshrrev_b32_e32 v30, s62, v30
	v_and_b32_e32 v30, s63, v30
	v_lshlrev_b32_e32 v30, 2, v30
	ds_read_b32 v30, v30
	v_cmp_lt_i32_e64 s[38:39], -1, v12
	v_cndmask_b32_e64 v104, v73, -1, s[38:39]
	v_xor_b32_e32 v104, v104, v12
	s_waitcnt lgkmcnt(0)
	v_add_u32_e32 v12, v30, v0
	v_lshlrev_b64 v[12:13], 2, v[12:13]
	v_add_co_u32_e64 v12, s[38:39], s66, v12
	v_addc_co_u32_e64 v13, s[38:39], v102, v13, s[38:39]
	global_store_dword v[12:13], v104, off
	s_or_b64 exec, exec, s[40:41]
	v_cmp_lt_u32_e64 s[38:39], v33, v101
	s_and_saveexec_b64 s[42:43], s[38:39]
	s_cbranch_execz .LBB1433_106
.LBB1433_142:                           ;   in Loop: Header=BB1433_64 Depth=2
	ds_read_b32 v12, v50 offset:2048
	v_mov_b32_e32 v13, v3
	v_mov_b32_e32 v102, s67
	s_waitcnt lgkmcnt(0)
	v_cmp_ne_u32_e64 s[40:41], s7, v12
	v_cndmask_b32_e64 v30, v73, v12, s[40:41]
	v_lshrrev_b32_e32 v30, s62, v30
	v_and_b32_e32 v30, s63, v30
	v_lshlrev_b32_e32 v30, 2, v30
	ds_read_b32 v30, v30
	v_cmp_lt_i32_e64 s[40:41], -1, v12
	v_cndmask_b32_e64 v104, v73, -1, s[40:41]
	v_xor_b32_e32 v104, v104, v12
	s_waitcnt lgkmcnt(0)
	v_add_u32_e32 v12, v30, v33
	v_lshlrev_b64 v[12:13], 2, v[12:13]
	v_add_co_u32_e64 v12, s[40:41], s66, v12
	v_addc_co_u32_e64 v13, s[40:41], v102, v13, s[40:41]
	global_store_dword v[12:13], v104, off
	s_or_b64 exec, exec, s[42:43]
	v_cmp_lt_u32_e64 s[40:41], v34, v101
	s_and_saveexec_b64 s[44:45], s[40:41]
	s_cbranch_execz .LBB1433_107
.LBB1433_143:                           ;   in Loop: Header=BB1433_64 Depth=2
	ds_read_b32 v12, v50 offset:3072
	v_mov_b32_e32 v13, v3
	v_mov_b32_e32 v102, s67
	s_waitcnt lgkmcnt(0)
	v_cmp_ne_u32_e64 s[42:43], s7, v12
	v_cndmask_b32_e64 v30, v73, v12, s[42:43]
	v_lshrrev_b32_e32 v30, s62, v30
	v_and_b32_e32 v30, s63, v30
	v_lshlrev_b32_e32 v30, 2, v30
	ds_read_b32 v30, v30
	v_cmp_lt_i32_e64 s[42:43], -1, v12
	v_cndmask_b32_e64 v104, v73, -1, s[42:43]
	v_xor_b32_e32 v104, v104, v12
	s_waitcnt lgkmcnt(0)
	v_add_u32_e32 v12, v30, v34
	v_lshlrev_b64 v[12:13], 2, v[12:13]
	v_add_co_u32_e64 v12, s[42:43], s66, v12
	v_addc_co_u32_e64 v13, s[42:43], v102, v13, s[42:43]
	global_store_dword v[12:13], v104, off
	s_or_b64 exec, exec, s[44:45]
	v_cmp_lt_u32_e64 s[42:43], v35, v101
	s_and_saveexec_b64 s[46:47], s[42:43]
	s_cbranch_execz .LBB1433_108
.LBB1433_144:                           ;   in Loop: Header=BB1433_64 Depth=2
	ds_read_b32 v12, v50 offset:4096
	v_mov_b32_e32 v13, v3
	v_mov_b32_e32 v102, s67
	s_waitcnt lgkmcnt(0)
	v_cmp_ne_u32_e64 s[44:45], s7, v12
	v_cndmask_b32_e64 v30, v73, v12, s[44:45]
	v_lshrrev_b32_e32 v30, s62, v30
	v_and_b32_e32 v30, s63, v30
	v_lshlrev_b32_e32 v30, 2, v30
	ds_read_b32 v30, v30
	v_cmp_lt_i32_e64 s[44:45], -1, v12
	v_cndmask_b32_e64 v104, v73, -1, s[44:45]
	v_xor_b32_e32 v104, v104, v12
	s_waitcnt lgkmcnt(0)
	v_add_u32_e32 v12, v30, v35
	v_lshlrev_b64 v[12:13], 2, v[12:13]
	v_add_co_u32_e64 v12, s[44:45], s66, v12
	v_addc_co_u32_e64 v13, s[44:45], v102, v13, s[44:45]
	global_store_dword v[12:13], v104, off
	s_or_b64 exec, exec, s[46:47]
	v_cmp_lt_u32_e64 s[44:45], v38, v101
	s_and_saveexec_b64 s[48:49], s[44:45]
	s_cbranch_execz .LBB1433_109
.LBB1433_145:                           ;   in Loop: Header=BB1433_64 Depth=2
	ds_read_b32 v12, v50 offset:5120
	v_mov_b32_e32 v13, v3
	v_mov_b32_e32 v102, s67
	s_waitcnt lgkmcnt(0)
	v_cmp_ne_u32_e64 s[46:47], s7, v12
	v_cndmask_b32_e64 v30, v73, v12, s[46:47]
	v_lshrrev_b32_e32 v30, s62, v30
	v_and_b32_e32 v30, s63, v30
	v_lshlrev_b32_e32 v30, 2, v30
	ds_read_b32 v30, v30
	v_cmp_lt_i32_e64 s[46:47], -1, v12
	v_cndmask_b32_e64 v104, v73, -1, s[46:47]
	v_xor_b32_e32 v104, v104, v12
	s_waitcnt lgkmcnt(0)
	v_add_u32_e32 v12, v30, v38
	v_lshlrev_b64 v[12:13], 2, v[12:13]
	v_add_co_u32_e64 v12, s[46:47], s66, v12
	v_addc_co_u32_e64 v13, s[46:47], v102, v13, s[46:47]
	global_store_dword v[12:13], v104, off
	s_or_b64 exec, exec, s[48:49]
	v_cmp_lt_u32_e64 s[46:47], v39, v101
	s_and_saveexec_b64 s[50:51], s[46:47]
	s_cbranch_execz .LBB1433_110
.LBB1433_146:                           ;   in Loop: Header=BB1433_64 Depth=2
	ds_read_b32 v12, v50 offset:6144
	v_mov_b32_e32 v13, v3
	v_mov_b32_e32 v102, s67
	s_waitcnt lgkmcnt(0)
	v_cmp_ne_u32_e64 s[48:49], s7, v12
	v_cndmask_b32_e64 v30, v73, v12, s[48:49]
	v_lshrrev_b32_e32 v30, s62, v30
	v_and_b32_e32 v30, s63, v30
	v_lshlrev_b32_e32 v30, 2, v30
	ds_read_b32 v30, v30
	v_cmp_lt_i32_e64 s[48:49], -1, v12
	v_cndmask_b32_e64 v104, v73, -1, s[48:49]
	v_xor_b32_e32 v104, v104, v12
	s_waitcnt lgkmcnt(0)
	v_add_u32_e32 v12, v30, v39
	v_lshlrev_b64 v[12:13], 2, v[12:13]
	v_add_co_u32_e64 v12, s[48:49], s66, v12
	v_addc_co_u32_e64 v13, s[48:49], v102, v13, s[48:49]
	global_store_dword v[12:13], v104, off
	s_or_b64 exec, exec, s[50:51]
	v_cmp_lt_u32_e64 s[48:49], v40, v101
	s_and_saveexec_b64 s[52:53], s[48:49]
	s_cbranch_execz .LBB1433_111
.LBB1433_147:                           ;   in Loop: Header=BB1433_64 Depth=2
	ds_read_b32 v12, v50 offset:7168
	v_mov_b32_e32 v13, v3
	v_mov_b32_e32 v102, s67
	s_waitcnt lgkmcnt(0)
	v_cmp_ne_u32_e64 s[50:51], s7, v12
	v_cndmask_b32_e64 v30, v73, v12, s[50:51]
	v_lshrrev_b32_e32 v30, s62, v30
	v_and_b32_e32 v30, s63, v30
	v_lshlrev_b32_e32 v30, 2, v30
	ds_read_b32 v30, v30
	v_cmp_lt_i32_e64 s[50:51], -1, v12
	v_cndmask_b32_e64 v104, v73, -1, s[50:51]
	v_xor_b32_e32 v104, v104, v12
	s_waitcnt lgkmcnt(0)
	v_add_u32_e32 v12, v30, v40
	v_lshlrev_b64 v[12:13], 2, v[12:13]
	v_add_co_u32_e64 v12, s[50:51], s66, v12
	v_addc_co_u32_e64 v13, s[50:51], v102, v13, s[50:51]
	global_store_dword v[12:13], v104, off
	s_or_b64 exec, exec, s[52:53]
	v_cmp_lt_u32_e64 s[50:51], v41, v101
	s_and_saveexec_b64 s[60:61], s[50:51]
	s_cbranch_execnz .LBB1433_112
	s_branch .LBB1433_113
.LBB1433_148:                           ;   in Loop: Header=BB1433_64 Depth=2
	global_load_dwordx2 v[28:29], v[12:13], off
	s_or_b64 exec, exec, s[52:53]
	v_cmp_lt_u32_e64 s[52:53], v91, v101
	s_and_saveexec_b64 s[60:61], s[52:53]
	s_cbranch_execz .LBB1433_115
.LBB1433_149:                           ;   in Loop: Header=BB1433_64 Depth=2
	global_load_dwordx2 v[26:27], v[12:13], off offset:512
	s_or_b64 exec, exec, s[60:61]
	v_cmp_lt_u32_e64 s[52:53], v92, v101
	s_and_saveexec_b64 s[60:61], s[52:53]
	s_cbranch_execz .LBB1433_116
.LBB1433_150:                           ;   in Loop: Header=BB1433_64 Depth=2
	global_load_dwordx2 v[24:25], v[12:13], off offset:1024
	s_or_b64 exec, exec, s[60:61]
	v_cmp_lt_u32_e64 s[52:53], v93, v101
	s_and_saveexec_b64 s[60:61], s[52:53]
	s_cbranch_execz .LBB1433_117
.LBB1433_151:                           ;   in Loop: Header=BB1433_64 Depth=2
	global_load_dwordx2 v[22:23], v[12:13], off offset:1536
	s_or_b64 exec, exec, s[60:61]
	v_cmp_lt_u32_e64 s[52:53], v94, v101
	s_and_saveexec_b64 s[60:61], s[52:53]
	s_cbranch_execz .LBB1433_118
.LBB1433_152:                           ;   in Loop: Header=BB1433_64 Depth=2
	global_load_dwordx2 v[20:21], v[12:13], off offset:2048
	s_or_b64 exec, exec, s[60:61]
	v_cmp_lt_u32_e64 s[52:53], v95, v101
	s_and_saveexec_b64 s[60:61], s[52:53]
	s_cbranch_execz .LBB1433_119
.LBB1433_153:                           ;   in Loop: Header=BB1433_64 Depth=2
	global_load_dwordx2 v[9:10], v[12:13], off offset:2560
	s_or_b64 exec, exec, s[60:61]
	v_cmp_lt_u32_e64 s[52:53], v96, v101
	s_and_saveexec_b64 s[60:61], s[52:53]
	s_cbranch_execz .LBB1433_120
.LBB1433_154:                           ;   in Loop: Header=BB1433_64 Depth=2
	global_load_dwordx2 v[7:8], v[12:13], off offset:3072
	s_or_b64 exec, exec, s[60:61]
	v_cmp_lt_u32_e64 s[52:53], v97, v101
	s_and_saveexec_b64 s[60:61], s[52:53]
	s_cbranch_execz .LBB1433_121
.LBB1433_155:                           ;   in Loop: Header=BB1433_64 Depth=2
	global_load_dwordx2 v[5:6], v[12:13], off offset:3584
	s_or_b64 exec, exec, s[60:61]
	s_and_saveexec_b64 s[60:61], vcc
	s_cbranch_execz .LBB1433_122
.LBB1433_156:                           ;   in Loop: Header=BB1433_64 Depth=2
	ds_read_b32 v12, v50 offset:1024
	s_waitcnt lgkmcnt(0)
	v_cmp_ne_u32_e64 s[52:53], s7, v12
	v_cndmask_b32_e64 v12, v73, v12, s[52:53]
	v_lshrrev_b32_e32 v12, s62, v12
	v_and_b32_e32 v90, s63, v12
	s_or_b64 exec, exec, s[60:61]
	s_and_saveexec_b64 s[60:61], s[38:39]
	s_cbranch_execz .LBB1433_123
.LBB1433_157:                           ;   in Loop: Header=BB1433_64 Depth=2
	ds_read_b32 v12, v50 offset:2048
	s_waitcnt lgkmcnt(0)
	v_cmp_ne_u32_e64 s[52:53], s7, v12
	v_cndmask_b32_e64 v12, v73, v12, s[52:53]
	v_lshrrev_b32_e32 v12, s62, v12
	v_and_b32_e32 v88, s63, v12
	s_or_b64 exec, exec, s[60:61]
	s_and_saveexec_b64 s[60:61], s[40:41]
	s_cbranch_execz .LBB1433_124
.LBB1433_158:                           ;   in Loop: Header=BB1433_64 Depth=2
	ds_read_b32 v12, v50 offset:3072
	s_waitcnt lgkmcnt(0)
	v_cmp_ne_u32_e64 s[52:53], s7, v12
	v_cndmask_b32_e64 v12, v73, v12, s[52:53]
	v_lshrrev_b32_e32 v12, s62, v12
	v_and_b32_e32 v86, s63, v12
	s_or_b64 exec, exec, s[60:61]
	s_and_saveexec_b64 s[60:61], s[42:43]
	s_cbranch_execz .LBB1433_125
.LBB1433_159:                           ;   in Loop: Header=BB1433_64 Depth=2
	ds_read_b32 v12, v50 offset:4096
	s_waitcnt lgkmcnt(0)
	v_cmp_ne_u32_e64 s[52:53], s7, v12
	v_cndmask_b32_e64 v12, v73, v12, s[52:53]
	v_lshrrev_b32_e32 v12, s62, v12
	v_and_b32_e32 v85, s63, v12
	s_or_b64 exec, exec, s[60:61]
	s_and_saveexec_b64 s[60:61], s[44:45]
	s_cbranch_execz .LBB1433_126
.LBB1433_160:                           ;   in Loop: Header=BB1433_64 Depth=2
	ds_read_b32 v12, v50 offset:5120
	s_waitcnt lgkmcnt(0)
	v_cmp_ne_u32_e64 s[52:53], s7, v12
	v_cndmask_b32_e64 v12, v73, v12, s[52:53]
	v_lshrrev_b32_e32 v12, s62, v12
	v_and_b32_e32 v83, s63, v12
	s_or_b64 exec, exec, s[60:61]
	s_and_saveexec_b64 s[60:61], s[46:47]
	s_cbranch_execz .LBB1433_127
.LBB1433_161:                           ;   in Loop: Header=BB1433_64 Depth=2
	ds_read_b32 v12, v50 offset:6144
	s_waitcnt lgkmcnt(0)
	v_cmp_ne_u32_e64 s[52:53], s7, v12
	v_cndmask_b32_e64 v12, v73, v12, s[52:53]
	v_lshrrev_b32_e32 v12, s62, v12
	v_and_b32_e32 v82, s63, v12
	s_or_b64 exec, exec, s[60:61]
	s_and_saveexec_b64 s[60:61], s[48:49]
	s_cbranch_execz .LBB1433_128
.LBB1433_162:                           ;   in Loop: Header=BB1433_64 Depth=2
	ds_read_b32 v12, v50 offset:7168
	s_waitcnt lgkmcnt(0)
	v_cmp_ne_u32_e64 s[52:53], s7, v12
	v_cndmask_b32_e64 v12, v73, v12, s[52:53]
	v_lshrrev_b32_e32 v12, s62, v12
	v_and_b32_e32 v81, s63, v12
	s_or_b64 exec, exec, s[60:61]
	s_and_saveexec_b64 s[60:61], s[50:51]
	s_cbranch_execnz .LBB1433_129
	s_branch .LBB1433_130
.LBB1433_163:                           ;   in Loop: Header=BB1433_64 Depth=2
	v_lshlrev_b32_e32 v12, 2, v90
	ds_read_b32 v14, v12
	v_add_u32_e32 v12, v50, v32
	ds_read_b64 v[12:13], v12 offset:1024
	v_mov_b32_e32 v15, v3
	v_mov_b32_e32 v16, s73
	s_waitcnt lgkmcnt(1)
	v_add_u32_e32 v14, v14, v0
	v_lshlrev_b64 v[14:15], 3, v[14:15]
	v_add_co_u32_e32 v14, vcc, s72, v14
	v_addc_co_u32_e32 v15, vcc, v16, v15, vcc
	s_waitcnt lgkmcnt(0)
	global_store_dwordx2 v[14:15], v[12:13], off
	s_or_b64 exec, exec, s[52:53]
	s_and_saveexec_b64 s[52:53], s[38:39]
	s_cbranch_execz .LBB1433_132
.LBB1433_164:                           ;   in Loop: Header=BB1433_64 Depth=2
	v_lshlrev_b32_e32 v12, 2, v88
	ds_read_b32 v14, v12
	v_add_u32_e32 v12, v50, v32
	ds_read_b64 v[12:13], v12 offset:3072
	v_mov_b32_e32 v15, v3
	v_mov_b32_e32 v16, s73
	s_waitcnt lgkmcnt(1)
	v_add_u32_e32 v14, v14, v33
	v_lshlrev_b64 v[14:15], 3, v[14:15]
	v_add_co_u32_e32 v14, vcc, s72, v14
	v_addc_co_u32_e32 v15, vcc, v16, v15, vcc
	s_waitcnt lgkmcnt(0)
	global_store_dwordx2 v[14:15], v[12:13], off
	s_or_b64 exec, exec, s[52:53]
	s_and_saveexec_b64 s[38:39], s[40:41]
	s_cbranch_execz .LBB1433_133
.LBB1433_165:                           ;   in Loop: Header=BB1433_64 Depth=2
	v_lshlrev_b32_e32 v12, 2, v86
	ds_read_b32 v14, v12
	v_add_u32_e32 v12, v50, v32
	ds_read_b64 v[12:13], v12 offset:5120
	v_mov_b32_e32 v15, v3
	v_mov_b32_e32 v16, s73
	s_waitcnt lgkmcnt(1)
	v_add_u32_e32 v14, v14, v34
	v_lshlrev_b64 v[14:15], 3, v[14:15]
	v_add_co_u32_e32 v14, vcc, s72, v14
	v_addc_co_u32_e32 v15, vcc, v16, v15, vcc
	s_waitcnt lgkmcnt(0)
	global_store_dwordx2 v[14:15], v[12:13], off
	s_or_b64 exec, exec, s[38:39]
	s_and_saveexec_b64 s[38:39], s[42:43]
	s_cbranch_execz .LBB1433_134
.LBB1433_166:                           ;   in Loop: Header=BB1433_64 Depth=2
	v_lshlrev_b32_e32 v12, 2, v85
	ds_read_b32 v14, v12
	v_add_u32_e32 v12, v50, v32
	ds_read_b64 v[12:13], v12 offset:7168
	v_mov_b32_e32 v15, v3
	v_mov_b32_e32 v16, s73
	s_waitcnt lgkmcnt(1)
	v_add_u32_e32 v14, v14, v35
	v_lshlrev_b64 v[14:15], 3, v[14:15]
	v_add_co_u32_e32 v14, vcc, s72, v14
	v_addc_co_u32_e32 v15, vcc, v16, v15, vcc
	s_waitcnt lgkmcnt(0)
	global_store_dwordx2 v[14:15], v[12:13], off
	s_or_b64 exec, exec, s[38:39]
	s_and_saveexec_b64 s[38:39], s[44:45]
	s_cbranch_execz .LBB1433_135
.LBB1433_167:                           ;   in Loop: Header=BB1433_64 Depth=2
	v_lshlrev_b32_e32 v12, 2, v83
	ds_read_b32 v14, v12
	v_add_u32_e32 v12, v50, v32
	ds_read_b64 v[12:13], v12 offset:9216
	v_mov_b32_e32 v15, v3
	v_mov_b32_e32 v16, s73
	s_waitcnt lgkmcnt(1)
	v_add_u32_e32 v14, v14, v38
	v_lshlrev_b64 v[14:15], 3, v[14:15]
	v_add_co_u32_e32 v14, vcc, s72, v14
	v_addc_co_u32_e32 v15, vcc, v16, v15, vcc
	s_waitcnt lgkmcnt(0)
	global_store_dwordx2 v[14:15], v[12:13], off
	s_or_b64 exec, exec, s[38:39]
	s_and_saveexec_b64 s[38:39], s[46:47]
	s_cbranch_execz .LBB1433_136
.LBB1433_168:                           ;   in Loop: Header=BB1433_64 Depth=2
	v_lshlrev_b32_e32 v12, 2, v82
	ds_read_b32 v14, v12
	v_add_u32_e32 v12, v50, v32
	ds_read_b64 v[12:13], v12 offset:11264
	v_mov_b32_e32 v15, v3
	v_mov_b32_e32 v16, s73
	s_waitcnt lgkmcnt(1)
	v_add_u32_e32 v14, v14, v39
	v_lshlrev_b64 v[14:15], 3, v[14:15]
	v_add_co_u32_e32 v14, vcc, s72, v14
	v_addc_co_u32_e32 v15, vcc, v16, v15, vcc
	s_waitcnt lgkmcnt(0)
	global_store_dwordx2 v[14:15], v[12:13], off
	s_or_b64 exec, exec, s[38:39]
	s_and_saveexec_b64 s[38:39], s[48:49]
	s_cbranch_execz .LBB1433_137
.LBB1433_169:                           ;   in Loop: Header=BB1433_64 Depth=2
	v_lshlrev_b32_e32 v12, 2, v81
	ds_read_b32 v14, v12
	v_add_u32_e32 v12, v50, v32
	ds_read_b64 v[12:13], v12 offset:13312
	v_mov_b32_e32 v15, v3
	v_mov_b32_e32 v16, s73
	s_waitcnt lgkmcnt(1)
	v_add_u32_e32 v14, v14, v40
	v_lshlrev_b64 v[14:15], 3, v[14:15]
	v_add_co_u32_e32 v14, vcc, s72, v14
	v_addc_co_u32_e32 v15, vcc, v16, v15, vcc
	s_waitcnt lgkmcnt(0)
	global_store_dwordx2 v[14:15], v[12:13], off
	s_or_b64 exec, exec, s[38:39]
	s_and_saveexec_b64 s[38:39], s[50:51]
	s_cbranch_execnz .LBB1433_138
	s_branch .LBB1433_139
.LBB1433_170:                           ;   in Loop: Header=BB1433_64 Depth=2
	global_load_dword v12, v[30:31], off
	v_mov_b32_e32 v13, v11
	v_mov_b32_e32 v14, v11
	;; [unrolled: 1-line block ×7, first 2 shown]
	s_or_b64 exec, exec, s[38:39]
	v_cmp_gt_u32_e32 vcc, s70, v91
	s_and_saveexec_b64 s[38:39], vcc
	s_cbranch_execz .LBB1433_69
.LBB1433_171:                           ;   in Loop: Header=BB1433_64 Depth=2
	global_load_dword v13, v[30:31], off offset:256
	s_or_b64 exec, exec, s[38:39]
	v_cmp_gt_u32_e32 vcc, s70, v92
	s_and_saveexec_b64 s[38:39], vcc
	s_cbranch_execz .LBB1433_70
.LBB1433_172:                           ;   in Loop: Header=BB1433_64 Depth=2
	global_load_dword v14, v[30:31], off offset:512
	s_or_b64 exec, exec, s[38:39]
	v_cmp_gt_u32_e32 vcc, s70, v93
	s_and_saveexec_b64 s[38:39], vcc
	s_cbranch_execz .LBB1433_71
.LBB1433_173:                           ;   in Loop: Header=BB1433_64 Depth=2
	global_load_dword v15, v[30:31], off offset:768
	s_or_b64 exec, exec, s[38:39]
	v_cmp_gt_u32_e32 vcc, s70, v94
	s_and_saveexec_b64 s[38:39], vcc
	s_cbranch_execz .LBB1433_72
.LBB1433_174:                           ;   in Loop: Header=BB1433_64 Depth=2
	global_load_dword v16, v[30:31], off offset:1024
	s_or_b64 exec, exec, s[38:39]
	v_cmp_gt_u32_e32 vcc, s70, v95
	s_and_saveexec_b64 s[38:39], vcc
	s_cbranch_execz .LBB1433_73
.LBB1433_175:                           ;   in Loop: Header=BB1433_64 Depth=2
	global_load_dword v17, v[30:31], off offset:1280
	s_or_b64 exec, exec, s[38:39]
	v_cmp_gt_u32_e32 vcc, s70, v96
	s_and_saveexec_b64 s[38:39], vcc
	s_cbranch_execnz .LBB1433_74
	s_branch .LBB1433_75
.LBB1433_176:                           ;   in Loop: Header=BB1433_12 Depth=1
	s_waitcnt lgkmcnt(0)
	s_barrier
	s_mov_b64 s[18:19], 0
.LBB1433_177:                           ;   in Loop: Header=BB1433_12 Depth=1
	s_and_b64 vcc, exec, s[18:19]
	s_cbranch_vccz .LBB1433_341
; %bb.178:                              ;   in Loop: Header=BB1433_12 Depth=1
	v_mov_b32_e32 v10, v3
	v_mov_b32_e32 v4, v3
	;; [unrolled: 1-line block ×8, first 2 shown]
	s_mov_b32 s22, s79
	s_mov_b32 s58, s80
	v_mov_b32_e32 v18, v9
	v_mov_b32_e32 v17, v8
	;; [unrolled: 1-line block ×7, first 2 shown]
	s_barrier
	s_branch .LBB1433_180
.LBB1433_179:                           ;   in Loop: Header=BB1433_180 Depth=2
	s_or_b64 exec, exec, s[18:19]
	s_addk_i32 s22, 0xf800
	s_cmp_ge_u32 s23, s81
	s_mov_b32 s58, s23
	s_cbranch_scc1 .LBB1433_216
.LBB1433_180:                           ;   Parent Loop BB1433_12 Depth=1
                                        ; =>  This Inner Loop Header: Depth=2
	s_add_i32 s23, s58, 0x800
	s_cmp_gt_u32 s23, s81
	s_mov_b64 s[18:19], -1
                                        ; implicit-def: $vgpr20_vgpr21_vgpr22_vgpr23_vgpr24_vgpr25_vgpr26_vgpr27
	s_cbranch_scc1 .LBB1433_182
; %bb.181:                              ;   in Loop: Header=BB1433_180 Depth=2
	s_lshl_b64 s[18:19], s[58:59], 2
	v_mov_b32_e32 v5, s19
	v_add_co_u32_e32 v4, vcc, s18, v55
	v_addc_co_u32_e32 v5, vcc, v56, v5, vcc
	v_add_co_u32_e32 v6, vcc, 0x1000, v4
	v_addc_co_u32_e32 v7, vcc, 0, v5, vcc
	global_load_dword v20, v[4:5], off
	global_load_dword v21, v[4:5], off offset:1024
	global_load_dword v22, v[4:5], off offset:2048
	;; [unrolled: 1-line block ×3, first 2 shown]
	global_load_dword v24, v[6:7], off
	global_load_dword v25, v[6:7], off offset:1024
	global_load_dword v26, v[6:7], off offset:2048
	global_load_dword v27, v[6:7], off offset:3072
	s_mov_b64 s[18:19], 0
.LBB1433_182:                           ;   in Loop: Header=BB1433_180 Depth=2
	s_andn2_b64 vcc, exec, s[18:19]
	s_movk_i32 s20, 0x800
	s_cbranch_vccnz .LBB1433_193
; %bb.183:                              ;   in Loop: Header=BB1433_180 Depth=2
	s_lshl_b64 s[18:19], s[58:59], 2
	s_add_u32 s18, s66, s18
	s_addc_u32 s19, s67, s19
	v_cmp_gt_u32_e32 vcc, s22, v0
	s_and_saveexec_b64 s[20:21], vcc
	s_cbranch_execnz .LBB1433_209
; %bb.184:                              ;   in Loop: Header=BB1433_180 Depth=2
	s_or_b64 exec, exec, s[20:21]
	v_cmp_gt_u32_e32 vcc, s22, v33
	s_and_saveexec_b64 s[20:21], vcc
	s_cbranch_execnz .LBB1433_210
.LBB1433_185:                           ;   in Loop: Header=BB1433_180 Depth=2
	s_or_b64 exec, exec, s[20:21]
	v_cmp_gt_u32_e32 vcc, s22, v34
	s_and_saveexec_b64 s[20:21], vcc
	s_cbranch_execnz .LBB1433_211
.LBB1433_186:                           ;   in Loop: Header=BB1433_180 Depth=2
	s_or_b64 exec, exec, s[20:21]
	v_cmp_gt_u32_e32 vcc, s22, v35
	s_and_saveexec_b64 s[20:21], vcc
	s_cbranch_execnz .LBB1433_212
.LBB1433_187:                           ;   in Loop: Header=BB1433_180 Depth=2
	s_or_b64 exec, exec, s[20:21]
	v_cmp_gt_u32_e32 vcc, s22, v38
	s_and_saveexec_b64 s[20:21], vcc
	s_cbranch_execnz .LBB1433_213
.LBB1433_188:                           ;   in Loop: Header=BB1433_180 Depth=2
	s_or_b64 exec, exec, s[20:21]
	v_cmp_gt_u32_e32 vcc, s22, v39
	s_and_saveexec_b64 s[20:21], vcc
	s_cbranch_execnz .LBB1433_214
.LBB1433_189:                           ;   in Loop: Header=BB1433_180 Depth=2
	s_or_b64 exec, exec, s[20:21]
	v_cmp_gt_u32_e32 vcc, s22, v40
	s_and_saveexec_b64 s[20:21], vcc
	s_cbranch_execnz .LBB1433_215
.LBB1433_190:                           ;   in Loop: Header=BB1433_180 Depth=2
	s_or_b64 exec, exec, s[20:21]
	v_cmp_gt_u32_e32 vcc, s22, v41
	s_and_saveexec_b64 s[20:21], vcc
	s_cbranch_execz .LBB1433_192
.LBB1433_191:                           ;   in Loop: Header=BB1433_180 Depth=2
	global_load_dword v19, v72, s[18:19]
.LBB1433_192:                           ;   in Loop: Header=BB1433_180 Depth=2
	s_or_b64 exec, exec, s[20:21]
	s_waitcnt vmcnt(0)
	v_mov_b32_e32 v27, v19
	s_mov_b32 s20, s22
	v_mov_b32_e32 v26, v18
	v_mov_b32_e32 v25, v17
	;; [unrolled: 1-line block ×7, first 2 shown]
.LBB1433_193:                           ;   in Loop: Header=BB1433_180 Depth=2
	s_waitcnt vmcnt(0)
	v_mov_b32_e32 v12, v20
	v_mov_b32_e32 v13, v21
	v_mov_b32_e32 v14, v22
	v_mov_b32_e32 v15, v23
	v_mov_b32_e32 v16, v24
	v_mov_b32_e32 v17, v25
	v_mov_b32_e32 v18, v26
	v_mov_b32_e32 v19, v27
	v_cmp_gt_u32_e32 vcc, s20, v0
	s_and_saveexec_b64 s[18:19], vcc
	s_cbranch_execnz .LBB1433_201
; %bb.194:                              ;   in Loop: Header=BB1433_180 Depth=2
	s_or_b64 exec, exec, s[18:19]
	v_cmp_gt_u32_e32 vcc, s20, v33
	s_and_saveexec_b64 s[18:19], vcc
	s_cbranch_execnz .LBB1433_202
.LBB1433_195:                           ;   in Loop: Header=BB1433_180 Depth=2
	s_or_b64 exec, exec, s[18:19]
	v_cmp_gt_u32_e32 vcc, s20, v34
	s_and_saveexec_b64 s[18:19], vcc
	s_cbranch_execnz .LBB1433_203
.LBB1433_196:                           ;   in Loop: Header=BB1433_180 Depth=2
	s_or_b64 exec, exec, s[18:19]
	v_cmp_gt_u32_e32 vcc, s20, v35
	s_and_saveexec_b64 s[18:19], vcc
	s_cbranch_execnz .LBB1433_204
.LBB1433_197:                           ;   in Loop: Header=BB1433_180 Depth=2
	s_or_b64 exec, exec, s[18:19]
	v_cmp_gt_u32_e32 vcc, s20, v38
	s_and_saveexec_b64 s[18:19], vcc
	s_cbranch_execnz .LBB1433_205
.LBB1433_198:                           ;   in Loop: Header=BB1433_180 Depth=2
	s_or_b64 exec, exec, s[18:19]
	v_cmp_gt_u32_e32 vcc, s20, v39
	s_and_saveexec_b64 s[18:19], vcc
	s_cbranch_execnz .LBB1433_206
.LBB1433_199:                           ;   in Loop: Header=BB1433_180 Depth=2
	s_or_b64 exec, exec, s[18:19]
	v_cmp_gt_u32_e32 vcc, s20, v40
	s_and_saveexec_b64 s[18:19], vcc
	s_cbranch_execnz .LBB1433_207
.LBB1433_200:                           ;   in Loop: Header=BB1433_180 Depth=2
	s_or_b64 exec, exec, s[18:19]
	v_cmp_gt_u32_e32 vcc, s20, v41
	s_and_saveexec_b64 s[18:19], vcc
	s_cbranch_execz .LBB1433_179
	s_branch .LBB1433_208
.LBB1433_201:                           ;   in Loop: Header=BB1433_180 Depth=2
	v_cmp_lt_i32_e32 vcc, -1, v12
	v_cndmask_b32_e32 v4, -1, v73, vcc
	v_xor_b32_e32 v4, v4, v12
	v_cmp_ne_u32_e32 vcc, s7, v4
	v_cndmask_b32_e32 v4, v73, v4, vcc
	v_lshrrev_b32_e32 v4, s62, v4
	v_and_b32_e32 v4, s63, v4
	v_lshl_or_b32 v4, v4, 4, v42
	ds_add_u32 v4, v67
	s_or_b64 exec, exec, s[18:19]
	v_cmp_gt_u32_e32 vcc, s20, v33
	s_and_saveexec_b64 s[18:19], vcc
	s_cbranch_execz .LBB1433_195
.LBB1433_202:                           ;   in Loop: Header=BB1433_180 Depth=2
	v_cmp_lt_i32_e32 vcc, -1, v13
	v_cndmask_b32_e32 v4, -1, v73, vcc
	v_xor_b32_e32 v4, v4, v13
	v_cmp_ne_u32_e32 vcc, s7, v4
	v_cndmask_b32_e32 v4, v73, v4, vcc
	v_lshrrev_b32_e32 v4, s62, v4
	v_and_b32_e32 v4, s63, v4
	v_lshl_or_b32 v4, v4, 4, v42
	ds_add_u32 v4, v67
	s_or_b64 exec, exec, s[18:19]
	v_cmp_gt_u32_e32 vcc, s20, v34
	s_and_saveexec_b64 s[18:19], vcc
	s_cbranch_execz .LBB1433_196
.LBB1433_203:                           ;   in Loop: Header=BB1433_180 Depth=2
	v_cmp_lt_i32_e32 vcc, -1, v14
	v_cndmask_b32_e32 v4, -1, v73, vcc
	v_xor_b32_e32 v4, v4, v14
	v_cmp_ne_u32_e32 vcc, s7, v4
	v_cndmask_b32_e32 v4, v73, v4, vcc
	v_lshrrev_b32_e32 v4, s62, v4
	v_and_b32_e32 v4, s63, v4
	v_lshl_or_b32 v4, v4, 4, v42
	ds_add_u32 v4, v67
	s_or_b64 exec, exec, s[18:19]
	v_cmp_gt_u32_e32 vcc, s20, v35
	s_and_saveexec_b64 s[18:19], vcc
	s_cbranch_execz .LBB1433_197
.LBB1433_204:                           ;   in Loop: Header=BB1433_180 Depth=2
	v_cmp_lt_i32_e32 vcc, -1, v15
	v_cndmask_b32_e32 v4, -1, v73, vcc
	v_xor_b32_e32 v4, v4, v15
	v_cmp_ne_u32_e32 vcc, s7, v4
	v_cndmask_b32_e32 v4, v73, v4, vcc
	v_lshrrev_b32_e32 v4, s62, v4
	v_and_b32_e32 v4, s63, v4
	v_lshl_or_b32 v4, v4, 4, v42
	ds_add_u32 v4, v67
	s_or_b64 exec, exec, s[18:19]
	v_cmp_gt_u32_e32 vcc, s20, v38
	s_and_saveexec_b64 s[18:19], vcc
	s_cbranch_execz .LBB1433_198
.LBB1433_205:                           ;   in Loop: Header=BB1433_180 Depth=2
	v_cmp_lt_i32_e32 vcc, -1, v16
	v_cndmask_b32_e32 v4, -1, v73, vcc
	v_xor_b32_e32 v4, v4, v16
	v_cmp_ne_u32_e32 vcc, s7, v4
	v_cndmask_b32_e32 v4, v73, v4, vcc
	v_lshrrev_b32_e32 v4, s62, v4
	v_and_b32_e32 v4, s63, v4
	v_lshl_or_b32 v4, v4, 4, v42
	ds_add_u32 v4, v67
	s_or_b64 exec, exec, s[18:19]
	v_cmp_gt_u32_e32 vcc, s20, v39
	s_and_saveexec_b64 s[18:19], vcc
	s_cbranch_execz .LBB1433_199
.LBB1433_206:                           ;   in Loop: Header=BB1433_180 Depth=2
	v_cmp_lt_i32_e32 vcc, -1, v17
	v_cndmask_b32_e32 v4, -1, v73, vcc
	v_xor_b32_e32 v4, v4, v17
	v_cmp_ne_u32_e32 vcc, s7, v4
	v_cndmask_b32_e32 v4, v73, v4, vcc
	v_lshrrev_b32_e32 v4, s62, v4
	v_and_b32_e32 v4, s63, v4
	v_lshl_or_b32 v4, v4, 4, v42
	ds_add_u32 v4, v67
	s_or_b64 exec, exec, s[18:19]
	v_cmp_gt_u32_e32 vcc, s20, v40
	s_and_saveexec_b64 s[18:19], vcc
	s_cbranch_execz .LBB1433_200
.LBB1433_207:                           ;   in Loop: Header=BB1433_180 Depth=2
	v_cmp_lt_i32_e32 vcc, -1, v18
	v_cndmask_b32_e32 v4, -1, v73, vcc
	v_xor_b32_e32 v4, v4, v18
	v_cmp_ne_u32_e32 vcc, s7, v4
	v_cndmask_b32_e32 v4, v73, v4, vcc
	v_lshrrev_b32_e32 v4, s62, v4
	v_and_b32_e32 v4, s63, v4
	v_lshl_or_b32 v4, v4, 4, v42
	ds_add_u32 v4, v67
	s_or_b64 exec, exec, s[18:19]
	v_cmp_gt_u32_e32 vcc, s20, v41
	s_and_saveexec_b64 s[18:19], vcc
	s_cbranch_execz .LBB1433_179
.LBB1433_208:                           ;   in Loop: Header=BB1433_180 Depth=2
	v_cmp_lt_i32_e32 vcc, -1, v19
	v_cndmask_b32_e32 v4, -1, v73, vcc
	v_xor_b32_e32 v4, v4, v19
	v_cmp_ne_u32_e32 vcc, s7, v4
	v_cndmask_b32_e32 v4, v73, v4, vcc
	v_lshrrev_b32_e32 v4, s62, v4
	v_and_b32_e32 v4, s63, v4
	v_lshl_or_b32 v4, v4, 4, v42
	ds_add_u32 v4, v67
	s_branch .LBB1433_179
.LBB1433_209:                           ;   in Loop: Header=BB1433_180 Depth=2
	global_load_dword v12, v68, s[18:19]
	s_or_b64 exec, exec, s[20:21]
	v_cmp_gt_u32_e32 vcc, s22, v33
	s_and_saveexec_b64 s[20:21], vcc
	s_cbranch_execz .LBB1433_185
.LBB1433_210:                           ;   in Loop: Header=BB1433_180 Depth=2
	global_load_dword v13, v68, s[18:19] offset:1024
	s_or_b64 exec, exec, s[20:21]
	v_cmp_gt_u32_e32 vcc, s22, v34
	s_and_saveexec_b64 s[20:21], vcc
	s_cbranch_execz .LBB1433_186
.LBB1433_211:                           ;   in Loop: Header=BB1433_180 Depth=2
	global_load_dword v14, v68, s[18:19] offset:2048
	s_or_b64 exec, exec, s[20:21]
	v_cmp_gt_u32_e32 vcc, s22, v35
	s_and_saveexec_b64 s[20:21], vcc
	s_cbranch_execz .LBB1433_187
.LBB1433_212:                           ;   in Loop: Header=BB1433_180 Depth=2
	global_load_dword v15, v68, s[18:19] offset:3072
	s_or_b64 exec, exec, s[20:21]
	v_cmp_gt_u32_e32 vcc, s22, v38
	s_and_saveexec_b64 s[20:21], vcc
	s_cbranch_execz .LBB1433_188
.LBB1433_213:                           ;   in Loop: Header=BB1433_180 Depth=2
	global_load_dword v16, v69, s[18:19]
	s_or_b64 exec, exec, s[20:21]
	v_cmp_gt_u32_e32 vcc, s22, v39
	s_and_saveexec_b64 s[20:21], vcc
	s_cbranch_execz .LBB1433_189
.LBB1433_214:                           ;   in Loop: Header=BB1433_180 Depth=2
	global_load_dword v17, v70, s[18:19]
	s_or_b64 exec, exec, s[20:21]
	v_cmp_gt_u32_e32 vcc, s22, v40
	s_and_saveexec_b64 s[20:21], vcc
	s_cbranch_execz .LBB1433_190
.LBB1433_215:                           ;   in Loop: Header=BB1433_180 Depth=2
	global_load_dword v18, v71, s[18:19]
	s_or_b64 exec, exec, s[20:21]
	v_cmp_gt_u32_e32 vcc, s22, v41
	s_and_saveexec_b64 s[20:21], vcc
	s_cbranch_execnz .LBB1433_191
	s_branch .LBB1433_192
.LBB1433_216:                           ;   in Loop: Header=BB1433_12 Depth=1
	v_mov_b32_e32 v4, 0
	s_waitcnt lgkmcnt(0)
	s_barrier
	s_and_saveexec_b64 s[18:19], s[4:5]
	s_cbranch_execz .LBB1433_218
; %bb.217:                              ;   in Loop: Header=BB1433_12 Depth=1
	ds_read2_b64 v[4:7], v43 offset1:1
	s_waitcnt lgkmcnt(0)
	v_add_u32_e32 v4, v5, v4
	v_add3_u32 v4, v4, v6, v7
.LBB1433_218:                           ;   in Loop: Header=BB1433_12 Depth=1
	s_or_b64 exec, exec, s[18:19]
	s_nop 0
	v_mov_b32_dpp v5, v4 row_shr:1 row_mask:0xf bank_mask:0xf
	v_cmp_eq_u32_e64 s[18:19], 0, v75
	v_cndmask_b32_e64 v5, v5, 0, s[18:19]
	v_add_u32_e32 v4, v5, v4
	v_cmp_lt_u32_e64 s[20:21], 1, v75
	v_cmp_lt_u32_e64 s[22:23], 3, v75
	v_mov_b32_dpp v5, v4 row_shr:2 row_mask:0xf bank_mask:0xf
	v_cndmask_b32_e64 v5, 0, v5, s[20:21]
	v_add_u32_e32 v4, v4, v5
	v_cmp_lt_u32_e64 s[24:25], 7, v75
	v_cmp_lt_u32_e64 s[28:29], 31, v74
	v_mov_b32_dpp v5, v4 row_shr:4 row_mask:0xf bank_mask:0xf
	v_cndmask_b32_e64 v5, 0, v5, s[22:23]
	v_add_u32_e32 v4, v4, v5
	v_cmp_eq_u32_e64 s[26:27], 0, v77
	s_nop 0
	v_mov_b32_dpp v5, v4 row_shr:8 row_mask:0xf bank_mask:0xf
	v_cndmask_b32_e64 v5, 0, v5, s[24:25]
	v_add_u32_e32 v4, v4, v5
	s_nop 1
	v_mov_b32_dpp v5, v4 row_bcast:15 row_mask:0xf bank_mask:0xf
	v_and_b32_e32 v5, v76, v5
	v_add_u32_e32 v4, v4, v5
	s_nop 1
	v_mov_b32_dpp v5, v4 row_bcast:31 row_mask:0xf bank_mask:0xf
	v_cndmask_b32_e64 v5, 0, v5, s[28:29]
	v_add_u32_e32 v4, v4, v5
	s_and_saveexec_b64 s[30:31], s[8:9]
; %bb.219:                              ;   in Loop: Header=BB1433_12 Depth=1
	ds_write_b32 v45, v4
; %bb.220:                              ;   in Loop: Header=BB1433_12 Depth=1
	s_or_b64 exec, exec, s[30:31]
	s_waitcnt lgkmcnt(0)
	s_barrier
	s_and_saveexec_b64 s[30:31], s[10:11]
	s_cbranch_execz .LBB1433_222
; %bb.221:                              ;   in Loop: Header=BB1433_12 Depth=1
	ds_read_b32 v5, v46
	v_cmp_ne_u32_e32 vcc, 0, v78
	s_waitcnt lgkmcnt(0)
	v_mov_b32_dpp v6, v5 row_shr:1 row_mask:0xf bank_mask:0xf
	v_cndmask_b32_e32 v6, 0, v6, vcc
	v_add_u32_e32 v5, v6, v5
	v_cmp_lt_u32_e32 vcc, 1, v78
	s_nop 0
	v_mov_b32_dpp v6, v5 row_shr:2 row_mask:0xf bank_mask:0xf
	v_cndmask_b32_e32 v6, 0, v6, vcc
	v_add_u32_e32 v5, v5, v6
	ds_write_b32 v46, v5
.LBB1433_222:                           ;   in Loop: Header=BB1433_12 Depth=1
	s_or_b64 exec, exec, s[30:31]
	v_mov_b32_e32 v5, 0
	s_waitcnt lgkmcnt(0)
	s_barrier
	s_and_saveexec_b64 s[30:31], s[12:13]
; %bb.223:                              ;   in Loop: Header=BB1433_12 Depth=1
	ds_read_b32 v5, v47
; %bb.224:                              ;   in Loop: Header=BB1433_12 Depth=1
	s_or_b64 exec, exec, s[30:31]
	v_subrev_co_u32_e64 v6, s[30:31], 1, v74
	v_and_b32_e32 v7, 64, v74
	v_cmp_lt_i32_e32 vcc, v6, v7
	v_cndmask_b32_e32 v6, v6, v74, vcc
	s_waitcnt lgkmcnt(0)
	v_add_u32_e32 v4, v5, v4
	v_lshlrev_b32_e32 v79, 2, v6
	ds_bpermute_b32 v4, v79, v4
	s_waitcnt lgkmcnt(0)
	s_barrier
	s_and_saveexec_b64 s[34:35], s[4:5]
; %bb.225:                              ;   in Loop: Header=BB1433_12 Depth=1
	v_cndmask_b32_e64 v4, v4, v5, s[30:31]
	v_add_u32_e32 v4, s80, v4
	ds_write_b32 v32, v4
; %bb.226:                              ;   in Loop: Header=BB1433_12 Depth=1
	s_or_b64 exec, exec, s[34:35]
	s_load_dwordx2 s[34:35], s[56:57], 0x0
	v_and_b32_e32 v13, 63, v74
	v_lshlrev_b32_e32 v14, 3, v13
	v_or_b32_e32 v84, v13, v48
	v_lshlrev_b32_e32 v15, 2, v13
	s_waitcnt lgkmcnt(0)
	s_cmp_lt_u32 s33, s35
	s_cselect_b32 s35, 14, 20
	s_add_u32 s36, s56, s35
	s_addc_u32 s37, s57, 0
	s_cmp_lt_u32 s6, s34
	s_cselect_b32 s34, 12, 18
	s_add_u32 s34, s56, s34
	global_load_ushort v4, v3, s[36:37]
	s_addc_u32 s35, s57, 0
	global_load_ushort v12, v3, s[34:35]
	v_add_co_u32_e32 v87, vcc, v57, v14
	v_addc_co_u32_e32 v89, vcc, 0, v58, vcc
	v_add_co_u32_e32 v98, vcc, v59, v15
	v_cmp_eq_u32_e64 s[34:35], 0, v78
	v_cmp_lt_u32_e64 s[36:37], 1, v78
	s_mov_b32 s70, s79
	v_or_b32_e32 v91, 64, v84
	v_or_b32_e32 v92, 0x80, v84
	;; [unrolled: 1-line block ×7, first 2 shown]
	v_addc_co_u32_e32 v99, vcc, 0, v60, vcc
	s_mov_b32 s58, s80
                                        ; implicit-def: $vgpr5_vgpr6
                                        ; implicit-def: $vgpr7_vgpr8
                                        ; implicit-def: $vgpr9_vgpr10
                                        ; implicit-def: $vgpr20_vgpr21
                                        ; implicit-def: $vgpr22_vgpr23
                                        ; implicit-def: $vgpr24_vgpr25
                                        ; implicit-def: $vgpr26_vgpr27
                                        ; implicit-def: $vgpr28_vgpr29
                                        ; implicit-def: $vgpr80
                                        ; implicit-def: $vgpr81
                                        ; implicit-def: $vgpr82
                                        ; implicit-def: $vgpr83
                                        ; implicit-def: $vgpr85
                                        ; implicit-def: $vgpr86
                                        ; implicit-def: $vgpr88
                                        ; implicit-def: $vgpr90
	s_waitcnt vmcnt(1)
	v_mad_u32_u24 v4, v2, v4, v1
	s_waitcnt vmcnt(0)
	v_mad_u64_u32 v[12:13], s[38:39], v4, v12, v[0:1]
	v_lshrrev_b32_e32 v4, 4, v12
	v_and_b32_e32 v100, 0xffffffc, v4
	s_branch .LBB1433_228
.LBB1433_227:                           ;   in Loop: Header=BB1433_228 Depth=2
	s_or_b64 exec, exec, s[38:39]
	s_addk_i32 s70, 0xf800
	s_cmp_lt_u32 s71, s81
	s_mov_b32 s58, s71
	s_cbranch_scc0 .LBB1433_340
.LBB1433_228:                           ;   Parent Loop BB1433_12 Depth=1
                                        ; =>  This Inner Loop Header: Depth=2
	s_add_i32 s71, s58, 0x800
	s_cmp_gt_u32 s71, s81
	s_cbranch_scc1 .LBB1433_230
; %bb.229:                              ;   in Loop: Header=BB1433_228 Depth=2
	s_lshl_b64 s[38:39], s[58:59], 2
	v_mov_b32_e32 v4, s39
	v_add_co_u32_e32 v18, vcc, s38, v98
	v_addc_co_u32_e32 v19, vcc, v99, v4, vcc
	global_load_dword v12, v[18:19], off
	global_load_dword v13, v[18:19], off offset:256
	global_load_dword v14, v[18:19], off offset:512
	global_load_dword v15, v[18:19], off offset:768
	global_load_dword v16, v[18:19], off offset:1024
	global_load_dword v17, v[18:19], off offset:1280
	s_nop 0
	global_load_dword v18, v[18:19], off offset:1536
	s_mov_b64 s[38:39], -1
	s_movk_i32 s42, 0x800
	s_cbranch_execz .LBB1433_231
	s_branch .LBB1433_240
.LBB1433_230:                           ;   in Loop: Header=BB1433_228 Depth=2
	s_mov_b64 s[38:39], 0
                                        ; implicit-def: $vgpr12_vgpr13_vgpr14_vgpr15_vgpr16_vgpr17_vgpr18_vgpr19
	s_movk_i32 s42, 0x800
.LBB1433_231:                           ;   in Loop: Header=BB1433_228 Depth=2
	s_lshl_b64 s[38:39], s[58:59], 2
	v_mov_b32_e32 v4, s39
	v_add_co_u32_e32 v30, vcc, s38, v98
	s_waitcnt vmcnt(6)
	v_mov_b32_e32 v12, v11
	s_waitcnt vmcnt(5)
	v_mov_b32_e32 v13, v11
	;; [unrolled: 2-line block ×7, first 2 shown]
	v_addc_co_u32_e32 v31, vcc, v99, v4, vcc
	v_mov_b32_e32 v19, v18
	v_cmp_gt_u32_e32 vcc, s70, v84
	v_mov_b32_e32 v18, v17
	v_mov_b32_e32 v17, v16
	;; [unrolled: 1-line block ×7, first 2 shown]
	s_and_saveexec_b64 s[38:39], vcc
	s_cbranch_execnz .LBB1433_334
; %bb.232:                              ;   in Loop: Header=BB1433_228 Depth=2
	s_or_b64 exec, exec, s[38:39]
	v_cmp_gt_u32_e32 vcc, s70, v91
	s_and_saveexec_b64 s[38:39], vcc
	s_cbranch_execnz .LBB1433_335
.LBB1433_233:                           ;   in Loop: Header=BB1433_228 Depth=2
	s_or_b64 exec, exec, s[38:39]
	v_cmp_gt_u32_e32 vcc, s70, v92
	s_and_saveexec_b64 s[38:39], vcc
	s_cbranch_execnz .LBB1433_336
.LBB1433_234:                           ;   in Loop: Header=BB1433_228 Depth=2
	s_or_b64 exec, exec, s[38:39]
	v_cmp_gt_u32_e32 vcc, s70, v93
	s_and_saveexec_b64 s[38:39], vcc
	s_cbranch_execnz .LBB1433_337
.LBB1433_235:                           ;   in Loop: Header=BB1433_228 Depth=2
	s_or_b64 exec, exec, s[38:39]
	v_cmp_gt_u32_e32 vcc, s70, v94
	s_and_saveexec_b64 s[38:39], vcc
	s_cbranch_execnz .LBB1433_338
.LBB1433_236:                           ;   in Loop: Header=BB1433_228 Depth=2
	s_or_b64 exec, exec, s[38:39]
	v_cmp_gt_u32_e32 vcc, s70, v95
	s_and_saveexec_b64 s[38:39], vcc
	s_cbranch_execnz .LBB1433_339
.LBB1433_237:                           ;   in Loop: Header=BB1433_228 Depth=2
	s_or_b64 exec, exec, s[38:39]
	v_cmp_gt_u32_e32 vcc, s70, v96
	s_and_saveexec_b64 s[38:39], vcc
	s_cbranch_execz .LBB1433_239
.LBB1433_238:                           ;   in Loop: Header=BB1433_228 Depth=2
	global_load_dword v18, v[30:31], off offset:1536
.LBB1433_239:                           ;   in Loop: Header=BB1433_228 Depth=2
	s_or_b64 exec, exec, s[38:39]
	s_sub_i32 s42, s81, s58
	v_cmp_gt_u32_e64 s[38:39], s70, v97
.LBB1433_240:                           ;   in Loop: Header=BB1433_228 Depth=2
	v_mov_b32_e32 v101, s70
	s_and_saveexec_b64 s[40:41], s[38:39]
	s_cbranch_execz .LBB1433_242
; %bb.241:                              ;   in Loop: Header=BB1433_228 Depth=2
	s_lshl_b64 s[38:39], s[58:59], 2
	v_mov_b32_e32 v4, s39
	v_add_co_u32_e32 v30, vcc, s38, v98
	v_addc_co_u32_e32 v31, vcc, v99, v4, vcc
	global_load_dword v19, v[30:31], off offset:1792
	v_mov_b32_e32 v101, s42
.LBB1433_242:                           ;   in Loop: Header=BB1433_228 Depth=2
	s_or_b64 exec, exec, s[40:41]
	s_waitcnt vmcnt(0)
	v_cmp_lt_i32_e32 vcc, -1, v12
	v_cndmask_b32_e32 v4, -1, v73, vcc
	v_xor_b32_e32 v102, v4, v12
	v_cmp_ne_u32_e32 vcc, s7, v102
	v_cndmask_b32_e32 v4, v73, v102, vcc
	v_lshrrev_b32_e32 v4, s62, v4
	v_and_b32_e32 v12, s63, v4
	v_and_b32_e32 v4, 1, v12
	v_add_co_u32_e32 v30, vcc, -1, v4
	v_addc_co_u32_e64 v31, s[38:39], 0, -1, vcc
	v_cmp_ne_u32_e32 vcc, 0, v4
	v_xor_b32_e32 v4, vcc_hi, v31
	v_and_b32_e32 v31, exec_hi, v4
	v_lshlrev_b32_e32 v4, 30, v12
	v_xor_b32_e32 v30, vcc_lo, v30
	v_cmp_gt_i64_e32 vcc, 0, v[3:4]
	v_not_b32_e32 v4, v4
	v_ashrrev_i32_e32 v4, 31, v4
	v_and_b32_e32 v30, exec_lo, v30
	v_xor_b32_e32 v105, vcc_hi, v4
	v_xor_b32_e32 v4, vcc_lo, v4
	v_and_b32_e32 v30, v30, v4
	v_lshlrev_b32_e32 v4, 29, v12
	v_cmp_gt_i64_e32 vcc, 0, v[3:4]
	v_not_b32_e32 v4, v4
	v_ashrrev_i32_e32 v4, 31, v4
	v_and_b32_e32 v31, v31, v105
	v_xor_b32_e32 v105, vcc_hi, v4
	v_xor_b32_e32 v4, vcc_lo, v4
	v_and_b32_e32 v30, v30, v4
	v_lshlrev_b32_e32 v4, 28, v12
	v_cmp_gt_i64_e32 vcc, 0, v[3:4]
	v_not_b32_e32 v4, v4
	v_ashrrev_i32_e32 v4, 31, v4
	v_and_b32_e32 v31, v31, v105
	v_xor_b32_e32 v105, vcc_hi, v4
	v_xor_b32_e32 v4, vcc_lo, v4
	v_and_b32_e32 v30, v30, v4
	v_lshlrev_b32_e32 v4, 27, v12
	v_cmp_gt_i64_e32 vcc, 0, v[3:4]
	v_not_b32_e32 v4, v4
	v_ashrrev_i32_e32 v4, 31, v4
	v_and_b32_e32 v31, v31, v105
	v_xor_b32_e32 v105, vcc_hi, v4
	v_xor_b32_e32 v4, vcc_lo, v4
	v_and_b32_e32 v30, v30, v4
	v_lshlrev_b32_e32 v4, 26, v12
	v_cmp_gt_i64_e32 vcc, 0, v[3:4]
	v_not_b32_e32 v4, v4
	v_ashrrev_i32_e32 v4, 31, v4
	v_and_b32_e32 v31, v31, v105
	v_xor_b32_e32 v105, vcc_hi, v4
	v_xor_b32_e32 v4, vcc_lo, v4
	v_and_b32_e32 v30, v30, v4
	v_lshlrev_b32_e32 v4, 25, v12
	v_cmp_gt_i64_e32 vcc, 0, v[3:4]
	v_not_b32_e32 v4, v4
	v_ashrrev_i32_e32 v4, 31, v4
	v_and_b32_e32 v31, v31, v105
	v_xor_b32_e32 v105, vcc_hi, v4
	v_xor_b32_e32 v4, vcc_lo, v4
	v_and_b32_e32 v30, v30, v4
	v_lshlrev_b32_e32 v4, 24, v12
	v_cmp_gt_i64_e32 vcc, 0, v[3:4]
	v_not_b32_e32 v4, v4
	v_ashrrev_i32_e32 v4, 31, v4
	v_mul_u32_u24_e32 v106, 20, v12
	v_xor_b32_e32 v12, vcc_hi, v4
	v_xor_b32_e32 v4, vcc_lo, v4
	v_and_b32_e32 v31, v31, v105
	v_and_b32_e32 v30, v30, v4
	;; [unrolled: 1-line block ×3, first 2 shown]
	v_mbcnt_lo_u32_b32 v4, v30, 0
	v_mbcnt_hi_u32_b32 v105, v31, v4
	v_cmp_ne_u64_e32 vcc, 0, v[30:31]
	v_cmp_eq_u32_e64 s[38:39], 0, v105
	v_add_u32_e32 v104, 0x410, v49
	v_add_u32_e32 v103, 0x418, v49
	s_and_b64 s[40:41], vcc, s[38:39]
	v_add_u32_e32 v106, v100, v106
	ds_write2_b32 v104, v3, v3 offset1:1
	ds_write2_b32 v103, v3, v3 offset1:1
	ds_write_b32 v49, v3 offset:1056
	s_waitcnt lgkmcnt(0)
	s_barrier
	; wave barrier
	s_and_saveexec_b64 s[38:39], s[40:41]
; %bb.243:                              ;   in Loop: Header=BB1433_228 Depth=2
	v_bcnt_u32_b32 v4, v30, 0
	v_bcnt_u32_b32 v4, v31, v4
	ds_write_b32 v106, v4 offset:1040
; %bb.244:                              ;   in Loop: Header=BB1433_228 Depth=2
	s_or_b64 exec, exec, s[38:39]
	v_cmp_lt_i32_e32 vcc, -1, v13
	v_cndmask_b32_e32 v4, -1, v73, vcc
	v_xor_b32_e32 v30, v4, v13
	v_cmp_ne_u32_e32 vcc, s7, v30
	v_cndmask_b32_e32 v4, v73, v30, vcc
	v_lshrrev_b32_e32 v4, s62, v4
	v_and_b32_e32 v12, s63, v4
	v_mad_u32_u24 v4, v12, 20, v100
	; wave barrier
	ds_read_b32 v31, v4 offset:1040
	v_and_b32_e32 v4, 1, v12
	v_add_co_u32_e32 v13, vcc, -1, v4
	v_addc_co_u32_e64 v107, s[38:39], 0, -1, vcc
	v_cmp_ne_u32_e32 vcc, 0, v4
	v_xor_b32_e32 v4, vcc_hi, v107
	v_and_b32_e32 v107, exec_hi, v4
	v_lshlrev_b32_e32 v4, 30, v12
	v_xor_b32_e32 v13, vcc_lo, v13
	v_cmp_gt_i64_e32 vcc, 0, v[3:4]
	v_not_b32_e32 v4, v4
	v_ashrrev_i32_e32 v4, 31, v4
	v_and_b32_e32 v13, exec_lo, v13
	v_xor_b32_e32 v109, vcc_hi, v4
	v_xor_b32_e32 v4, vcc_lo, v4
	v_and_b32_e32 v13, v13, v4
	v_lshlrev_b32_e32 v4, 29, v12
	v_cmp_gt_i64_e32 vcc, 0, v[3:4]
	v_not_b32_e32 v4, v4
	v_ashrrev_i32_e32 v4, 31, v4
	v_and_b32_e32 v107, v107, v109
	v_xor_b32_e32 v109, vcc_hi, v4
	v_xor_b32_e32 v4, vcc_lo, v4
	v_and_b32_e32 v13, v13, v4
	v_lshlrev_b32_e32 v4, 28, v12
	v_cmp_gt_i64_e32 vcc, 0, v[3:4]
	v_not_b32_e32 v4, v4
	v_ashrrev_i32_e32 v4, 31, v4
	v_and_b32_e32 v107, v107, v109
	;; [unrolled: 8-line block ×5, first 2 shown]
	v_xor_b32_e32 v109, vcc_hi, v4
	v_xor_b32_e32 v4, vcc_lo, v4
	v_and_b32_e32 v107, v107, v109
	v_and_b32_e32 v109, v13, v4
	v_lshlrev_b32_e32 v4, 24, v12
	v_cmp_gt_i64_e32 vcc, 0, v[3:4]
	v_not_b32_e32 v4, v4
	v_ashrrev_i32_e32 v4, 31, v4
	v_mul_u32_u24_e32 v108, 20, v12
	v_xor_b32_e32 v12, vcc_hi, v4
	v_xor_b32_e32 v4, vcc_lo, v4
	v_and_b32_e32 v13, v107, v12
	v_and_b32_e32 v12, v109, v4
	v_mbcnt_lo_u32_b32 v4, v12, 0
	v_mbcnt_hi_u32_b32 v107, v13, v4
	v_cmp_ne_u64_e32 vcc, 0, v[12:13]
	v_cmp_eq_u32_e64 s[38:39], 0, v107
	s_and_b64 s[40:41], vcc, s[38:39]
	v_add_u32_e32 v110, v100, v108
	; wave barrier
	s_and_saveexec_b64 s[38:39], s[40:41]
	s_cbranch_execz .LBB1433_246
; %bb.245:                              ;   in Loop: Header=BB1433_228 Depth=2
	v_bcnt_u32_b32 v4, v12, 0
	v_bcnt_u32_b32 v4, v13, v4
	s_waitcnt lgkmcnt(0)
	v_add_u32_e32 v4, v31, v4
	ds_write_b32 v110, v4 offset:1040
.LBB1433_246:                           ;   in Loop: Header=BB1433_228 Depth=2
	s_or_b64 exec, exec, s[38:39]
	v_cmp_lt_i32_e32 vcc, -1, v14
	v_cndmask_b32_e32 v4, -1, v73, vcc
	v_xor_b32_e32 v108, v4, v14
	v_cmp_ne_u32_e32 vcc, s7, v108
	v_cndmask_b32_e32 v4, v73, v108, vcc
	v_lshrrev_b32_e32 v4, s62, v4
	v_and_b32_e32 v12, s63, v4
	v_mad_u32_u24 v4, v12, 20, v100
	; wave barrier
	ds_read_b32 v109, v4 offset:1040
	v_and_b32_e32 v4, 1, v12
	v_add_co_u32_e32 v13, vcc, -1, v4
	v_addc_co_u32_e64 v111, s[38:39], 0, -1, vcc
	v_cmp_ne_u32_e32 vcc, 0, v4
	v_xor_b32_e32 v4, vcc_hi, v111
	v_and_b32_e32 v111, exec_hi, v4
	v_lshlrev_b32_e32 v4, 30, v12
	v_xor_b32_e32 v13, vcc_lo, v13
	v_cmp_gt_i64_e32 vcc, 0, v[3:4]
	v_not_b32_e32 v4, v4
	v_ashrrev_i32_e32 v4, 31, v4
	v_and_b32_e32 v13, exec_lo, v13
	v_xor_b32_e32 v112, vcc_hi, v4
	v_xor_b32_e32 v4, vcc_lo, v4
	v_and_b32_e32 v13, v13, v4
	v_lshlrev_b32_e32 v4, 29, v12
	v_cmp_gt_i64_e32 vcc, 0, v[3:4]
	v_not_b32_e32 v4, v4
	v_ashrrev_i32_e32 v4, 31, v4
	v_and_b32_e32 v111, v111, v112
	v_xor_b32_e32 v112, vcc_hi, v4
	v_xor_b32_e32 v4, vcc_lo, v4
	v_and_b32_e32 v13, v13, v4
	v_lshlrev_b32_e32 v4, 28, v12
	v_cmp_gt_i64_e32 vcc, 0, v[3:4]
	v_not_b32_e32 v4, v4
	v_ashrrev_i32_e32 v4, 31, v4
	v_and_b32_e32 v111, v111, v112
	;; [unrolled: 8-line block ×5, first 2 shown]
	v_xor_b32_e32 v112, vcc_hi, v4
	v_xor_b32_e32 v4, vcc_lo, v4
	v_and_b32_e32 v111, v111, v112
	v_and_b32_e32 v112, v13, v4
	v_lshlrev_b32_e32 v4, 24, v12
	v_cmp_gt_i64_e32 vcc, 0, v[3:4]
	v_not_b32_e32 v4, v4
	v_ashrrev_i32_e32 v4, 31, v4
	v_mul_u32_u24_e32 v14, 20, v12
	v_xor_b32_e32 v12, vcc_hi, v4
	v_xor_b32_e32 v4, vcc_lo, v4
	v_and_b32_e32 v13, v111, v12
	v_and_b32_e32 v12, v112, v4
	v_mbcnt_lo_u32_b32 v4, v12, 0
	v_mbcnt_hi_u32_b32 v111, v13, v4
	v_cmp_ne_u64_e32 vcc, 0, v[12:13]
	v_cmp_eq_u32_e64 s[38:39], 0, v111
	s_and_b64 s[40:41], vcc, s[38:39]
	v_add_u32_e32 v114, v100, v14
	; wave barrier
	s_and_saveexec_b64 s[38:39], s[40:41]
	s_cbranch_execz .LBB1433_248
; %bb.247:                              ;   in Loop: Header=BB1433_228 Depth=2
	v_bcnt_u32_b32 v4, v12, 0
	v_bcnt_u32_b32 v4, v13, v4
	s_waitcnt lgkmcnt(0)
	v_add_u32_e32 v4, v109, v4
	ds_write_b32 v114, v4 offset:1040
.LBB1433_248:                           ;   in Loop: Header=BB1433_228 Depth=2
	s_or_b64 exec, exec, s[38:39]
	v_cmp_lt_i32_e32 vcc, -1, v15
	v_cndmask_b32_e32 v4, -1, v73, vcc
	v_xor_b32_e32 v112, v4, v15
	v_cmp_ne_u32_e32 vcc, s7, v112
	v_cndmask_b32_e32 v4, v73, v112, vcc
	v_lshrrev_b32_e32 v4, s62, v4
	v_and_b32_e32 v12, s63, v4
	v_mad_u32_u24 v4, v12, 20, v100
	; wave barrier
	ds_read_b32 v113, v4 offset:1040
	v_and_b32_e32 v4, 1, v12
	v_add_co_u32_e32 v13, vcc, -1, v4
	v_addc_co_u32_e64 v15, s[38:39], 0, -1, vcc
	v_cmp_ne_u32_e32 vcc, 0, v4
	v_xor_b32_e32 v4, vcc_hi, v15
	v_and_b32_e32 v15, exec_hi, v4
	v_lshlrev_b32_e32 v4, 30, v12
	v_xor_b32_e32 v13, vcc_lo, v13
	v_cmp_gt_i64_e32 vcc, 0, v[3:4]
	v_not_b32_e32 v4, v4
	v_ashrrev_i32_e32 v4, 31, v4
	v_and_b32_e32 v13, exec_lo, v13
	v_xor_b32_e32 v115, vcc_hi, v4
	v_xor_b32_e32 v4, vcc_lo, v4
	v_and_b32_e32 v13, v13, v4
	v_lshlrev_b32_e32 v4, 29, v12
	v_cmp_gt_i64_e32 vcc, 0, v[3:4]
	v_not_b32_e32 v4, v4
	v_ashrrev_i32_e32 v4, 31, v4
	v_and_b32_e32 v15, v15, v115
	v_xor_b32_e32 v115, vcc_hi, v4
	v_xor_b32_e32 v4, vcc_lo, v4
	v_and_b32_e32 v13, v13, v4
	v_lshlrev_b32_e32 v4, 28, v12
	v_cmp_gt_i64_e32 vcc, 0, v[3:4]
	v_not_b32_e32 v4, v4
	v_ashrrev_i32_e32 v4, 31, v4
	v_and_b32_e32 v15, v15, v115
	;; [unrolled: 8-line block ×5, first 2 shown]
	v_xor_b32_e32 v115, vcc_hi, v4
	v_xor_b32_e32 v4, vcc_lo, v4
	v_and_b32_e32 v15, v15, v115
	v_and_b32_e32 v115, v13, v4
	v_lshlrev_b32_e32 v4, 24, v12
	v_cmp_gt_i64_e32 vcc, 0, v[3:4]
	v_not_b32_e32 v4, v4
	v_ashrrev_i32_e32 v4, 31, v4
	v_mul_u32_u24_e32 v14, 20, v12
	v_xor_b32_e32 v12, vcc_hi, v4
	v_xor_b32_e32 v4, vcc_lo, v4
	v_and_b32_e32 v13, v15, v12
	v_and_b32_e32 v12, v115, v4
	v_mbcnt_lo_u32_b32 v4, v12, 0
	v_mbcnt_hi_u32_b32 v115, v13, v4
	v_cmp_ne_u64_e32 vcc, 0, v[12:13]
	v_cmp_eq_u32_e64 s[38:39], 0, v115
	s_and_b64 s[40:41], vcc, s[38:39]
	v_add_u32_e32 v117, v100, v14
	; wave barrier
	s_and_saveexec_b64 s[38:39], s[40:41]
	s_cbranch_execz .LBB1433_250
; %bb.249:                              ;   in Loop: Header=BB1433_228 Depth=2
	v_bcnt_u32_b32 v4, v12, 0
	v_bcnt_u32_b32 v4, v13, v4
	s_waitcnt lgkmcnt(0)
	v_add_u32_e32 v4, v113, v4
	ds_write_b32 v117, v4 offset:1040
.LBB1433_250:                           ;   in Loop: Header=BB1433_228 Depth=2
	s_or_b64 exec, exec, s[38:39]
	v_cmp_lt_i32_e32 vcc, -1, v16
	v_cndmask_b32_e32 v4, -1, v73, vcc
	v_xor_b32_e32 v116, v4, v16
	v_cmp_ne_u32_e32 vcc, s7, v116
	v_cndmask_b32_e32 v4, v73, v116, vcc
	v_lshrrev_b32_e32 v4, s62, v4
	v_and_b32_e32 v12, s63, v4
	v_mad_u32_u24 v4, v12, 20, v100
	; wave barrier
	ds_read_b32 v16, v4 offset:1040
	v_and_b32_e32 v4, 1, v12
	v_add_co_u32_e32 v13, vcc, -1, v4
	v_addc_co_u32_e64 v15, s[38:39], 0, -1, vcc
	v_cmp_ne_u32_e32 vcc, 0, v4
	v_xor_b32_e32 v4, vcc_hi, v15
	v_and_b32_e32 v15, exec_hi, v4
	v_lshlrev_b32_e32 v4, 30, v12
	v_xor_b32_e32 v13, vcc_lo, v13
	v_cmp_gt_i64_e32 vcc, 0, v[3:4]
	v_not_b32_e32 v4, v4
	v_ashrrev_i32_e32 v4, 31, v4
	v_and_b32_e32 v13, exec_lo, v13
	v_xor_b32_e32 v118, vcc_hi, v4
	v_xor_b32_e32 v4, vcc_lo, v4
	v_and_b32_e32 v13, v13, v4
	v_lshlrev_b32_e32 v4, 29, v12
	v_cmp_gt_i64_e32 vcc, 0, v[3:4]
	v_not_b32_e32 v4, v4
	v_ashrrev_i32_e32 v4, 31, v4
	v_and_b32_e32 v15, v15, v118
	v_xor_b32_e32 v118, vcc_hi, v4
	v_xor_b32_e32 v4, vcc_lo, v4
	v_and_b32_e32 v13, v13, v4
	v_lshlrev_b32_e32 v4, 28, v12
	v_cmp_gt_i64_e32 vcc, 0, v[3:4]
	v_not_b32_e32 v4, v4
	v_ashrrev_i32_e32 v4, 31, v4
	v_and_b32_e32 v15, v15, v118
	;; [unrolled: 8-line block ×5, first 2 shown]
	v_xor_b32_e32 v118, vcc_hi, v4
	v_xor_b32_e32 v4, vcc_lo, v4
	v_and_b32_e32 v15, v15, v118
	v_and_b32_e32 v118, v13, v4
	v_lshlrev_b32_e32 v4, 24, v12
	v_cmp_gt_i64_e32 vcc, 0, v[3:4]
	v_not_b32_e32 v4, v4
	v_ashrrev_i32_e32 v4, 31, v4
	v_mul_u32_u24_e32 v14, 20, v12
	v_xor_b32_e32 v12, vcc_hi, v4
	v_xor_b32_e32 v4, vcc_lo, v4
	v_and_b32_e32 v13, v15, v12
	v_and_b32_e32 v12, v118, v4
	v_mbcnt_lo_u32_b32 v4, v12, 0
	v_mbcnt_hi_u32_b32 v118, v13, v4
	v_cmp_ne_u64_e32 vcc, 0, v[12:13]
	v_cmp_eq_u32_e64 s[38:39], 0, v118
	s_and_b64 s[40:41], vcc, s[38:39]
	v_add_u32_e32 v121, v100, v14
	; wave barrier
	s_and_saveexec_b64 s[38:39], s[40:41]
	s_cbranch_execz .LBB1433_252
; %bb.251:                              ;   in Loop: Header=BB1433_228 Depth=2
	v_bcnt_u32_b32 v4, v12, 0
	v_bcnt_u32_b32 v4, v13, v4
	s_waitcnt lgkmcnt(0)
	v_add_u32_e32 v4, v16, v4
	ds_write_b32 v121, v4 offset:1040
.LBB1433_252:                           ;   in Loop: Header=BB1433_228 Depth=2
	s_or_b64 exec, exec, s[38:39]
	v_cmp_lt_i32_e32 vcc, -1, v17
	v_cndmask_b32_e32 v4, -1, v73, vcc
	v_xor_b32_e32 v119, v4, v17
	v_cmp_ne_u32_e32 vcc, s7, v119
	v_cndmask_b32_e32 v4, v73, v119, vcc
	v_lshrrev_b32_e32 v4, s62, v4
	v_and_b32_e32 v12, s63, v4
	v_mad_u32_u24 v4, v12, 20, v100
	; wave barrier
	ds_read_b32 v120, v4 offset:1040
	v_and_b32_e32 v4, 1, v12
	v_add_co_u32_e32 v13, vcc, -1, v4
	v_addc_co_u32_e64 v15, s[38:39], 0, -1, vcc
	v_cmp_ne_u32_e32 vcc, 0, v4
	v_xor_b32_e32 v4, vcc_hi, v15
	v_and_b32_e32 v15, exec_hi, v4
	v_lshlrev_b32_e32 v4, 30, v12
	v_xor_b32_e32 v13, vcc_lo, v13
	v_cmp_gt_i64_e32 vcc, 0, v[3:4]
	v_not_b32_e32 v4, v4
	v_ashrrev_i32_e32 v4, 31, v4
	v_and_b32_e32 v13, exec_lo, v13
	v_xor_b32_e32 v17, vcc_hi, v4
	v_xor_b32_e32 v4, vcc_lo, v4
	v_and_b32_e32 v13, v13, v4
	v_lshlrev_b32_e32 v4, 29, v12
	v_cmp_gt_i64_e32 vcc, 0, v[3:4]
	v_not_b32_e32 v4, v4
	v_ashrrev_i32_e32 v4, 31, v4
	v_and_b32_e32 v15, v15, v17
	v_xor_b32_e32 v17, vcc_hi, v4
	v_xor_b32_e32 v4, vcc_lo, v4
	v_and_b32_e32 v13, v13, v4
	v_lshlrev_b32_e32 v4, 28, v12
	v_cmp_gt_i64_e32 vcc, 0, v[3:4]
	v_not_b32_e32 v4, v4
	v_ashrrev_i32_e32 v4, 31, v4
	v_and_b32_e32 v15, v15, v17
	;; [unrolled: 8-line block ×5, first 2 shown]
	v_xor_b32_e32 v17, vcc_hi, v4
	v_xor_b32_e32 v4, vcc_lo, v4
	v_and_b32_e32 v15, v15, v17
	v_and_b32_e32 v17, v13, v4
	v_lshlrev_b32_e32 v4, 24, v12
	v_cmp_gt_i64_e32 vcc, 0, v[3:4]
	v_not_b32_e32 v4, v4
	v_ashrrev_i32_e32 v4, 31, v4
	v_mul_u32_u24_e32 v14, 20, v12
	v_xor_b32_e32 v12, vcc_hi, v4
	v_xor_b32_e32 v4, vcc_lo, v4
	v_and_b32_e32 v13, v15, v12
	v_and_b32_e32 v12, v17, v4
	v_mbcnt_lo_u32_b32 v4, v12, 0
	v_mbcnt_hi_u32_b32 v122, v13, v4
	v_cmp_ne_u64_e32 vcc, 0, v[12:13]
	v_cmp_eq_u32_e64 s[38:39], 0, v122
	s_and_b64 s[40:41], vcc, s[38:39]
	v_add_u32_e32 v17, v100, v14
	; wave barrier
	s_and_saveexec_b64 s[38:39], s[40:41]
	s_cbranch_execz .LBB1433_254
; %bb.253:                              ;   in Loop: Header=BB1433_228 Depth=2
	v_bcnt_u32_b32 v4, v12, 0
	v_bcnt_u32_b32 v4, v13, v4
	s_waitcnt lgkmcnt(0)
	v_add_u32_e32 v4, v120, v4
	ds_write_b32 v17, v4 offset:1040
.LBB1433_254:                           ;   in Loop: Header=BB1433_228 Depth=2
	s_or_b64 exec, exec, s[38:39]
	v_cmp_lt_i32_e32 vcc, -1, v18
	v_cndmask_b32_e32 v4, -1, v73, vcc
	v_xor_b32_e32 v123, v4, v18
	v_cmp_ne_u32_e32 vcc, s7, v123
	v_cndmask_b32_e32 v4, v73, v123, vcc
	v_lshrrev_b32_e32 v4, s62, v4
	v_and_b32_e32 v12, s63, v4
	v_mad_u32_u24 v4, v12, 20, v100
	; wave barrier
	ds_read_b32 v124, v4 offset:1040
	v_and_b32_e32 v4, 1, v12
	v_add_co_u32_e32 v13, vcc, -1, v4
	v_addc_co_u32_e64 v15, s[38:39], 0, -1, vcc
	v_cmp_ne_u32_e32 vcc, 0, v4
	v_xor_b32_e32 v4, vcc_hi, v15
	v_and_b32_e32 v15, exec_hi, v4
	v_lshlrev_b32_e32 v4, 30, v12
	v_xor_b32_e32 v13, vcc_lo, v13
	v_cmp_gt_i64_e32 vcc, 0, v[3:4]
	v_not_b32_e32 v4, v4
	v_ashrrev_i32_e32 v4, 31, v4
	v_and_b32_e32 v13, exec_lo, v13
	v_xor_b32_e32 v18, vcc_hi, v4
	v_xor_b32_e32 v4, vcc_lo, v4
	v_and_b32_e32 v13, v13, v4
	v_lshlrev_b32_e32 v4, 29, v12
	v_cmp_gt_i64_e32 vcc, 0, v[3:4]
	v_not_b32_e32 v4, v4
	v_ashrrev_i32_e32 v4, 31, v4
	v_and_b32_e32 v15, v15, v18
	v_xor_b32_e32 v18, vcc_hi, v4
	v_xor_b32_e32 v4, vcc_lo, v4
	v_and_b32_e32 v13, v13, v4
	v_lshlrev_b32_e32 v4, 28, v12
	v_cmp_gt_i64_e32 vcc, 0, v[3:4]
	v_not_b32_e32 v4, v4
	v_ashrrev_i32_e32 v4, 31, v4
	v_and_b32_e32 v15, v15, v18
	;; [unrolled: 8-line block ×5, first 2 shown]
	v_xor_b32_e32 v18, vcc_hi, v4
	v_xor_b32_e32 v4, vcc_lo, v4
	v_and_b32_e32 v15, v15, v18
	v_and_b32_e32 v18, v13, v4
	v_lshlrev_b32_e32 v4, 24, v12
	v_cmp_gt_i64_e32 vcc, 0, v[3:4]
	v_not_b32_e32 v4, v4
	v_ashrrev_i32_e32 v4, 31, v4
	v_mul_u32_u24_e32 v14, 20, v12
	v_xor_b32_e32 v12, vcc_hi, v4
	v_xor_b32_e32 v4, vcc_lo, v4
	v_and_b32_e32 v13, v15, v12
	v_and_b32_e32 v12, v18, v4
	v_mbcnt_lo_u32_b32 v4, v12, 0
	v_mbcnt_hi_u32_b32 v125, v13, v4
	v_cmp_ne_u64_e32 vcc, 0, v[12:13]
	v_cmp_eq_u32_e64 s[38:39], 0, v125
	s_and_b64 s[40:41], vcc, s[38:39]
	v_add_u32_e32 v18, v100, v14
	; wave barrier
	s_and_saveexec_b64 s[38:39], s[40:41]
	s_cbranch_execz .LBB1433_256
; %bb.255:                              ;   in Loop: Header=BB1433_228 Depth=2
	v_bcnt_u32_b32 v4, v12, 0
	v_bcnt_u32_b32 v4, v13, v4
	s_waitcnt lgkmcnt(0)
	v_add_u32_e32 v4, v124, v4
	ds_write_b32 v18, v4 offset:1040
.LBB1433_256:                           ;   in Loop: Header=BB1433_228 Depth=2
	s_or_b64 exec, exec, s[38:39]
	v_cmp_lt_i32_e32 vcc, -1, v19
	v_cndmask_b32_e32 v4, -1, v73, vcc
	v_xor_b32_e32 v126, v4, v19
	v_cmp_ne_u32_e32 vcc, s7, v126
	v_cndmask_b32_e32 v4, v73, v126, vcc
	v_lshrrev_b32_e32 v4, s62, v4
	v_and_b32_e32 v12, s63, v4
	v_mad_u32_u24 v4, v12, 20, v100
	; wave barrier
	ds_read_b32 v127, v4 offset:1040
	v_and_b32_e32 v4, 1, v12
	v_add_co_u32_e32 v13, vcc, -1, v4
	v_addc_co_u32_e64 v15, s[38:39], 0, -1, vcc
	v_cmp_ne_u32_e32 vcc, 0, v4
	v_xor_b32_e32 v4, vcc_hi, v15
	v_and_b32_e32 v15, exec_hi, v4
	v_lshlrev_b32_e32 v4, 30, v12
	v_xor_b32_e32 v13, vcc_lo, v13
	v_cmp_gt_i64_e32 vcc, 0, v[3:4]
	v_not_b32_e32 v4, v4
	v_ashrrev_i32_e32 v4, 31, v4
	v_and_b32_e32 v13, exec_lo, v13
	v_xor_b32_e32 v19, vcc_hi, v4
	v_xor_b32_e32 v4, vcc_lo, v4
	v_and_b32_e32 v13, v13, v4
	v_lshlrev_b32_e32 v4, 29, v12
	v_cmp_gt_i64_e32 vcc, 0, v[3:4]
	v_not_b32_e32 v4, v4
	v_ashrrev_i32_e32 v4, 31, v4
	v_and_b32_e32 v15, v15, v19
	v_xor_b32_e32 v19, vcc_hi, v4
	v_xor_b32_e32 v4, vcc_lo, v4
	v_and_b32_e32 v13, v13, v4
	v_lshlrev_b32_e32 v4, 28, v12
	v_cmp_gt_i64_e32 vcc, 0, v[3:4]
	v_not_b32_e32 v4, v4
	v_ashrrev_i32_e32 v4, 31, v4
	v_and_b32_e32 v15, v15, v19
	;; [unrolled: 8-line block ×5, first 2 shown]
	v_xor_b32_e32 v19, vcc_hi, v4
	v_xor_b32_e32 v4, vcc_lo, v4
	v_and_b32_e32 v15, v15, v19
	v_and_b32_e32 v19, v13, v4
	v_lshlrev_b32_e32 v4, 24, v12
	v_cmp_gt_i64_e32 vcc, 0, v[3:4]
	v_not_b32_e32 v4, v4
	v_ashrrev_i32_e32 v4, 31, v4
	v_mul_u32_u24_e32 v14, 20, v12
	v_xor_b32_e32 v12, vcc_hi, v4
	v_xor_b32_e32 v4, vcc_lo, v4
	v_and_b32_e32 v13, v15, v12
	v_and_b32_e32 v12, v19, v4
	v_mbcnt_lo_u32_b32 v4, v12, 0
	v_mbcnt_hi_u32_b32 v128, v13, v4
	v_cmp_ne_u64_e32 vcc, 0, v[12:13]
	v_cmp_eq_u32_e64 s[38:39], 0, v128
	s_and_b64 s[40:41], vcc, s[38:39]
	v_add_u32_e32 v4, v100, v14
	; wave barrier
	s_and_saveexec_b64 s[38:39], s[40:41]
	s_cbranch_execz .LBB1433_258
; %bb.257:                              ;   in Loop: Header=BB1433_228 Depth=2
	v_bcnt_u32_b32 v12, v12, 0
	v_bcnt_u32_b32 v12, v13, v12
	s_waitcnt lgkmcnt(0)
	v_add_u32_e32 v12, v127, v12
	ds_write_b32 v4, v12 offset:1040
.LBB1433_258:                           ;   in Loop: Header=BB1433_228 Depth=2
	s_or_b64 exec, exec, s[38:39]
	; wave barrier
	s_waitcnt lgkmcnt(0)
	s_barrier
	ds_read2_b32 v[14:15], v104 offset1:1
	ds_read2_b32 v[12:13], v103 offset1:1
	ds_read_b32 v19, v49 offset:1056
	s_waitcnt lgkmcnt(1)
	v_add3_u32 v129, v15, v14, v12
	s_waitcnt lgkmcnt(0)
	v_add3_u32 v19, v129, v13, v19
	s_nop 1
	v_mov_b32_dpp v129, v19 row_shr:1 row_mask:0xf bank_mask:0xf
	v_cndmask_b32_e64 v129, v129, 0, s[18:19]
	v_add_u32_e32 v19, v129, v19
	s_nop 1
	v_mov_b32_dpp v129, v19 row_shr:2 row_mask:0xf bank_mask:0xf
	v_cndmask_b32_e64 v129, 0, v129, s[20:21]
	v_add_u32_e32 v19, v19, v129
	;; [unrolled: 4-line block ×4, first 2 shown]
	s_nop 1
	v_mov_b32_dpp v129, v19 row_bcast:15 row_mask:0xf bank_mask:0xf
	v_cndmask_b32_e64 v129, v129, 0, s[26:27]
	v_add_u32_e32 v19, v19, v129
	s_nop 1
	v_mov_b32_dpp v129, v19 row_bcast:31 row_mask:0xf bank_mask:0xf
	v_cndmask_b32_e64 v129, 0, v129, s[28:29]
	v_add_u32_e32 v19, v19, v129
	s_and_saveexec_b64 s[38:39], s[8:9]
; %bb.259:                              ;   in Loop: Header=BB1433_228 Depth=2
	ds_write_b32 v44, v19 offset:1024
; %bb.260:                              ;   in Loop: Header=BB1433_228 Depth=2
	s_or_b64 exec, exec, s[38:39]
	s_waitcnt lgkmcnt(0)
	s_barrier
	s_and_saveexec_b64 s[38:39], s[10:11]
	s_cbranch_execz .LBB1433_262
; %bb.261:                              ;   in Loop: Header=BB1433_228 Depth=2
	ds_read_b32 v129, v50 offset:1024
	s_waitcnt lgkmcnt(0)
	s_nop 0
	v_mov_b32_dpp v130, v129 row_shr:1 row_mask:0xf bank_mask:0xf
	v_cndmask_b32_e64 v130, v130, 0, s[34:35]
	v_add_u32_e32 v129, v130, v129
	s_nop 1
	v_mov_b32_dpp v130, v129 row_shr:2 row_mask:0xf bank_mask:0xf
	v_cndmask_b32_e64 v130, 0, v130, s[36:37]
	v_add_u32_e32 v129, v129, v130
	ds_write_b32 v50, v129 offset:1024
.LBB1433_262:                           ;   in Loop: Header=BB1433_228 Depth=2
	s_or_b64 exec, exec, s[38:39]
	v_mov_b32_e32 v129, 0
	s_waitcnt lgkmcnt(0)
	s_barrier
	s_and_saveexec_b64 s[38:39], s[12:13]
; %bb.263:                              ;   in Loop: Header=BB1433_228 Depth=2
	ds_read_b32 v129, v44 offset:1020
; %bb.264:                              ;   in Loop: Header=BB1433_228 Depth=2
	s_or_b64 exec, exec, s[38:39]
	s_waitcnt lgkmcnt(0)
	v_add_u32_e32 v19, v129, v19
	ds_bpermute_b32 v19, v79, v19
	s_waitcnt lgkmcnt(0)
	v_cndmask_b32_e64 v19, v19, v129, s[30:31]
	v_cndmask_b32_e64 v19, v19, 0, s[14:15]
	v_add_u32_e32 v14, v19, v14
	v_add_u32_e32 v15, v14, v15
	;; [unrolled: 1-line block ×4, first 2 shown]
	ds_write2_b32 v104, v19, v14 offset1:1
	ds_write2_b32 v103, v15, v12 offset1:1
	ds_write_b32 v49, v13 offset:1056
	s_waitcnt lgkmcnt(0)
	s_barrier
	ds_read_b32 v12, v106 offset:1040
	ds_read_b32 v13, v110 offset:1040
	;; [unrolled: 1-line block ×9, first 2 shown]
	v_mov_b32_e32 v4, 0x800
	s_and_saveexec_b64 s[38:39], s[16:17]
; %bb.265:                              ;   in Loop: Header=BB1433_228 Depth=2
	ds_read_b32 v4, v49 offset:1060
; %bb.266:                              ;   in Loop: Header=BB1433_228 Depth=2
	s_or_b64 exec, exec, s[38:39]
	s_waitcnt lgkmcnt(0)
	s_barrier
	s_and_saveexec_b64 s[38:39], s[4:5]
	s_cbranch_execz .LBB1433_268
; %bb.267:                              ;   in Loop: Header=BB1433_228 Depth=2
	ds_read_b32 v18, v32
	s_waitcnt lgkmcnt(0)
	v_sub_u32_e32 v17, v18, v17
	ds_write_b32 v32, v17
.LBB1433_268:                           ;   in Loop: Header=BB1433_228 Depth=2
	s_or_b64 exec, exec, s[38:39]
	v_add_u32_e32 v103, v12, v105
	v_add3_u32 v31, v107, v31, v13
	v_lshlrev_b32_e32 v12, 2, v103
	v_add3_u32 v19, v111, v109, v14
	ds_write_b32 v12, v102 offset:1024
	v_lshlrev_b32_e32 v12, 2, v31
	v_add3_u32 v18, v115, v113, v15
	ds_write_b32 v12, v30 offset:1024
	;; [unrolled: 3-line block ×6, first 2 shown]
	v_lshlrev_b32_e32 v12, 2, v15
	ds_write_b32 v12, v123 offset:1024
	v_lshlrev_b32_e32 v12, 2, v14
	v_cmp_lt_u32_e32 vcc, v0, v101
	ds_write_b32 v12, v126 offset:1024
	s_waitcnt lgkmcnt(0)
	s_barrier
	s_and_saveexec_b64 s[40:41], vcc
	s_cbranch_execnz .LBB1433_305
; %bb.269:                              ;   in Loop: Header=BB1433_228 Depth=2
	s_or_b64 exec, exec, s[40:41]
	v_cmp_lt_u32_e64 s[38:39], v33, v101
	s_and_saveexec_b64 s[42:43], s[38:39]
	s_cbranch_execnz .LBB1433_306
.LBB1433_270:                           ;   in Loop: Header=BB1433_228 Depth=2
	s_or_b64 exec, exec, s[42:43]
	v_cmp_lt_u32_e64 s[40:41], v34, v101
	s_and_saveexec_b64 s[44:45], s[40:41]
	s_cbranch_execnz .LBB1433_307
.LBB1433_271:                           ;   in Loop: Header=BB1433_228 Depth=2
	s_or_b64 exec, exec, s[44:45]
	v_cmp_lt_u32_e64 s[42:43], v35, v101
	s_and_saveexec_b64 s[46:47], s[42:43]
	s_cbranch_execnz .LBB1433_308
.LBB1433_272:                           ;   in Loop: Header=BB1433_228 Depth=2
	s_or_b64 exec, exec, s[46:47]
	v_cmp_lt_u32_e64 s[44:45], v38, v101
	s_and_saveexec_b64 s[48:49], s[44:45]
	s_cbranch_execnz .LBB1433_309
.LBB1433_273:                           ;   in Loop: Header=BB1433_228 Depth=2
	s_or_b64 exec, exec, s[48:49]
	v_cmp_lt_u32_e64 s[46:47], v39, v101
	s_and_saveexec_b64 s[50:51], s[46:47]
	s_cbranch_execnz .LBB1433_310
.LBB1433_274:                           ;   in Loop: Header=BB1433_228 Depth=2
	s_or_b64 exec, exec, s[50:51]
	v_cmp_lt_u32_e64 s[48:49], v40, v101
	s_and_saveexec_b64 s[52:53], s[48:49]
	s_cbranch_execnz .LBB1433_311
.LBB1433_275:                           ;   in Loop: Header=BB1433_228 Depth=2
	s_or_b64 exec, exec, s[52:53]
	v_cmp_lt_u32_e64 s[50:51], v41, v101
	s_and_saveexec_b64 s[60:61], s[50:51]
	s_cbranch_execz .LBB1433_277
.LBB1433_276:                           ;   in Loop: Header=BB1433_228 Depth=2
	ds_read_b32 v12, v50 offset:8192
	v_mov_b32_e32 v13, v3
	v_mov_b32_e32 v102, s69
	s_waitcnt lgkmcnt(0)
	v_cmp_ne_u32_e64 s[52:53], s7, v12
	v_cndmask_b32_e64 v30, v73, v12, s[52:53]
	v_lshrrev_b32_e32 v30, s62, v30
	v_and_b32_e32 v30, s63, v30
	v_lshlrev_b32_e32 v30, 2, v30
	ds_read_b32 v30, v30
	v_cmp_lt_i32_e64 s[52:53], -1, v12
	v_cndmask_b32_e64 v104, v73, -1, s[52:53]
	v_xor_b32_e32 v104, v104, v12
	s_waitcnt lgkmcnt(0)
	v_add_u32_e32 v12, v30, v41
	v_lshlrev_b64 v[12:13], 2, v[12:13]
	v_add_co_u32_e64 v12, s[52:53], s68, v12
	v_addc_co_u32_e64 v13, s[52:53], v102, v13, s[52:53]
	global_store_dword v[12:13], v104, off
.LBB1433_277:                           ;   in Loop: Header=BB1433_228 Depth=2
	s_or_b64 exec, exec, s[60:61]
	s_lshl_b64 s[52:53], s[58:59], 3
	v_mov_b32_e32 v13, s53
	v_add_co_u32_e64 v12, s[52:53], s52, v87
	v_addc_co_u32_e64 v13, s[52:53], v89, v13, s[52:53]
	v_cmp_lt_u32_e64 s[52:53], v84, v101
	s_and_saveexec_b64 s[60:61], s[52:53]
	s_xor_b64 s[52:53], exec, s[60:61]
	s_cbranch_execnz .LBB1433_312
; %bb.278:                              ;   in Loop: Header=BB1433_228 Depth=2
	s_or_b64 exec, exec, s[52:53]
	v_cmp_lt_u32_e64 s[52:53], v91, v101
	s_and_saveexec_b64 s[60:61], s[52:53]
	s_cbranch_execnz .LBB1433_313
.LBB1433_279:                           ;   in Loop: Header=BB1433_228 Depth=2
	s_or_b64 exec, exec, s[60:61]
	v_cmp_lt_u32_e64 s[52:53], v92, v101
	s_and_saveexec_b64 s[60:61], s[52:53]
	s_cbranch_execnz .LBB1433_314
.LBB1433_280:                           ;   in Loop: Header=BB1433_228 Depth=2
	s_or_b64 exec, exec, s[60:61]
	v_cmp_lt_u32_e64 s[52:53], v93, v101
	s_and_saveexec_b64 s[60:61], s[52:53]
	s_cbranch_execnz .LBB1433_315
.LBB1433_281:                           ;   in Loop: Header=BB1433_228 Depth=2
	s_or_b64 exec, exec, s[60:61]
	v_cmp_lt_u32_e64 s[52:53], v94, v101
	s_and_saveexec_b64 s[60:61], s[52:53]
	s_cbranch_execnz .LBB1433_316
.LBB1433_282:                           ;   in Loop: Header=BB1433_228 Depth=2
	s_or_b64 exec, exec, s[60:61]
	v_cmp_lt_u32_e64 s[52:53], v95, v101
	s_and_saveexec_b64 s[60:61], s[52:53]
	s_cbranch_execnz .LBB1433_317
.LBB1433_283:                           ;   in Loop: Header=BB1433_228 Depth=2
	s_or_b64 exec, exec, s[60:61]
	v_cmp_lt_u32_e64 s[52:53], v96, v101
	s_and_saveexec_b64 s[60:61], s[52:53]
	s_cbranch_execnz .LBB1433_318
.LBB1433_284:                           ;   in Loop: Header=BB1433_228 Depth=2
	s_or_b64 exec, exec, s[60:61]
	v_cmp_lt_u32_e64 s[52:53], v97, v101
	s_and_saveexec_b64 s[60:61], s[52:53]
	s_cbranch_execnz .LBB1433_319
.LBB1433_285:                           ;   in Loop: Header=BB1433_228 Depth=2
	s_or_b64 exec, exec, s[60:61]
	s_and_saveexec_b64 s[60:61], vcc
	s_cbranch_execnz .LBB1433_320
.LBB1433_286:                           ;   in Loop: Header=BB1433_228 Depth=2
	s_or_b64 exec, exec, s[60:61]
	s_and_saveexec_b64 s[60:61], s[38:39]
	s_cbranch_execnz .LBB1433_321
.LBB1433_287:                           ;   in Loop: Header=BB1433_228 Depth=2
	s_or_b64 exec, exec, s[60:61]
	s_and_saveexec_b64 s[60:61], s[40:41]
	s_cbranch_execnz .LBB1433_322
.LBB1433_288:                           ;   in Loop: Header=BB1433_228 Depth=2
	s_or_b64 exec, exec, s[60:61]
	s_and_saveexec_b64 s[60:61], s[42:43]
	s_cbranch_execnz .LBB1433_323
.LBB1433_289:                           ;   in Loop: Header=BB1433_228 Depth=2
	s_or_b64 exec, exec, s[60:61]
	s_and_saveexec_b64 s[60:61], s[44:45]
	s_cbranch_execnz .LBB1433_324
.LBB1433_290:                           ;   in Loop: Header=BB1433_228 Depth=2
	s_or_b64 exec, exec, s[60:61]
	s_and_saveexec_b64 s[60:61], s[46:47]
	s_cbranch_execnz .LBB1433_325
.LBB1433_291:                           ;   in Loop: Header=BB1433_228 Depth=2
	s_or_b64 exec, exec, s[60:61]
	s_and_saveexec_b64 s[60:61], s[48:49]
	s_cbranch_execnz .LBB1433_326
.LBB1433_292:                           ;   in Loop: Header=BB1433_228 Depth=2
	s_or_b64 exec, exec, s[60:61]
	s_and_saveexec_b64 s[60:61], s[50:51]
	s_cbranch_execz .LBB1433_294
.LBB1433_293:                           ;   in Loop: Header=BB1433_228 Depth=2
	ds_read_b32 v12, v50 offset:8192
	s_waitcnt lgkmcnt(0)
	v_cmp_ne_u32_e64 s[52:53], s7, v12
	v_cndmask_b32_e64 v12, v73, v12, s[52:53]
	v_lshrrev_b32_e32 v12, s62, v12
	v_and_b32_e32 v80, s63, v12
.LBB1433_294:                           ;   in Loop: Header=BB1433_228 Depth=2
	s_or_b64 exec, exec, s[60:61]
	v_lshlrev_b32_e32 v12, 3, v103
	s_waitcnt vmcnt(0)
	s_barrier
	ds_write_b64 v12, v[28:29] offset:1024
	v_lshlrev_b32_e32 v12, 3, v31
	ds_write_b64 v12, v[26:27] offset:1024
	v_lshlrev_b32_e32 v12, 3, v19
	;; [unrolled: 2-line block ×7, first 2 shown]
	ds_write_b64 v12, v[5:6] offset:1024
	s_waitcnt lgkmcnt(0)
	s_barrier
	s_and_saveexec_b64 s[52:53], vcc
	s_cbranch_execnz .LBB1433_327
; %bb.295:                              ;   in Loop: Header=BB1433_228 Depth=2
	s_or_b64 exec, exec, s[52:53]
	s_and_saveexec_b64 s[52:53], s[38:39]
	s_cbranch_execnz .LBB1433_328
.LBB1433_296:                           ;   in Loop: Header=BB1433_228 Depth=2
	s_or_b64 exec, exec, s[52:53]
	s_and_saveexec_b64 s[38:39], s[40:41]
	s_cbranch_execnz .LBB1433_329
.LBB1433_297:                           ;   in Loop: Header=BB1433_228 Depth=2
	s_or_b64 exec, exec, s[38:39]
	s_and_saveexec_b64 s[38:39], s[42:43]
	s_cbranch_execnz .LBB1433_330
.LBB1433_298:                           ;   in Loop: Header=BB1433_228 Depth=2
	s_or_b64 exec, exec, s[38:39]
	s_and_saveexec_b64 s[38:39], s[44:45]
	s_cbranch_execnz .LBB1433_331
.LBB1433_299:                           ;   in Loop: Header=BB1433_228 Depth=2
	s_or_b64 exec, exec, s[38:39]
	s_and_saveexec_b64 s[38:39], s[46:47]
	s_cbranch_execnz .LBB1433_332
.LBB1433_300:                           ;   in Loop: Header=BB1433_228 Depth=2
	s_or_b64 exec, exec, s[38:39]
	s_and_saveexec_b64 s[38:39], s[48:49]
	s_cbranch_execnz .LBB1433_333
.LBB1433_301:                           ;   in Loop: Header=BB1433_228 Depth=2
	s_or_b64 exec, exec, s[38:39]
	s_and_saveexec_b64 s[38:39], s[50:51]
	s_cbranch_execz .LBB1433_303
.LBB1433_302:                           ;   in Loop: Header=BB1433_228 Depth=2
	v_lshlrev_b32_e32 v12, 2, v80
	ds_read_b32 v14, v12
	v_add_u32_e32 v12, v50, v32
	ds_read_b64 v[12:13], v12 offset:15360
	v_mov_b32_e32 v15, v3
	v_mov_b32_e32 v16, s75
	s_waitcnt lgkmcnt(1)
	v_add_u32_e32 v14, v14, v41
	v_lshlrev_b64 v[14:15], 3, v[14:15]
	v_add_co_u32_e32 v14, vcc, s74, v14
	v_addc_co_u32_e32 v15, vcc, v16, v15, vcc
	s_waitcnt lgkmcnt(0)
	global_store_dwordx2 v[14:15], v[12:13], off
.LBB1433_303:                           ;   in Loop: Header=BB1433_228 Depth=2
	s_or_b64 exec, exec, s[38:39]
	s_waitcnt vmcnt(0)
	s_barrier
	s_and_saveexec_b64 s[38:39], s[4:5]
	s_cbranch_execz .LBB1433_227
; %bb.304:                              ;   in Loop: Header=BB1433_228 Depth=2
	ds_read_b32 v12, v32
	s_waitcnt lgkmcnt(0)
	v_add_u32_e32 v4, v12, v4
	ds_write_b32 v32, v4
	s_branch .LBB1433_227
.LBB1433_305:                           ;   in Loop: Header=BB1433_228 Depth=2
	ds_read_b32 v12, v50 offset:1024
	v_mov_b32_e32 v13, v3
	v_mov_b32_e32 v102, s69
	s_waitcnt lgkmcnt(0)
	v_cmp_ne_u32_e64 s[38:39], s7, v12
	v_cndmask_b32_e64 v30, v73, v12, s[38:39]
	v_lshrrev_b32_e32 v30, s62, v30
	v_and_b32_e32 v30, s63, v30
	v_lshlrev_b32_e32 v30, 2, v30
	ds_read_b32 v30, v30
	v_cmp_lt_i32_e64 s[38:39], -1, v12
	v_cndmask_b32_e64 v104, v73, -1, s[38:39]
	v_xor_b32_e32 v104, v104, v12
	s_waitcnt lgkmcnt(0)
	v_add_u32_e32 v12, v30, v0
	v_lshlrev_b64 v[12:13], 2, v[12:13]
	v_add_co_u32_e64 v12, s[38:39], s68, v12
	v_addc_co_u32_e64 v13, s[38:39], v102, v13, s[38:39]
	global_store_dword v[12:13], v104, off
	s_or_b64 exec, exec, s[40:41]
	v_cmp_lt_u32_e64 s[38:39], v33, v101
	s_and_saveexec_b64 s[42:43], s[38:39]
	s_cbranch_execz .LBB1433_270
.LBB1433_306:                           ;   in Loop: Header=BB1433_228 Depth=2
	ds_read_b32 v12, v50 offset:2048
	v_mov_b32_e32 v13, v3
	v_mov_b32_e32 v102, s69
	s_waitcnt lgkmcnt(0)
	v_cmp_ne_u32_e64 s[40:41], s7, v12
	v_cndmask_b32_e64 v30, v73, v12, s[40:41]
	v_lshrrev_b32_e32 v30, s62, v30
	v_and_b32_e32 v30, s63, v30
	v_lshlrev_b32_e32 v30, 2, v30
	ds_read_b32 v30, v30
	v_cmp_lt_i32_e64 s[40:41], -1, v12
	v_cndmask_b32_e64 v104, v73, -1, s[40:41]
	v_xor_b32_e32 v104, v104, v12
	s_waitcnt lgkmcnt(0)
	v_add_u32_e32 v12, v30, v33
	v_lshlrev_b64 v[12:13], 2, v[12:13]
	v_add_co_u32_e64 v12, s[40:41], s68, v12
	v_addc_co_u32_e64 v13, s[40:41], v102, v13, s[40:41]
	global_store_dword v[12:13], v104, off
	s_or_b64 exec, exec, s[42:43]
	v_cmp_lt_u32_e64 s[40:41], v34, v101
	s_and_saveexec_b64 s[44:45], s[40:41]
	s_cbranch_execz .LBB1433_271
.LBB1433_307:                           ;   in Loop: Header=BB1433_228 Depth=2
	ds_read_b32 v12, v50 offset:3072
	v_mov_b32_e32 v13, v3
	v_mov_b32_e32 v102, s69
	s_waitcnt lgkmcnt(0)
	v_cmp_ne_u32_e64 s[42:43], s7, v12
	v_cndmask_b32_e64 v30, v73, v12, s[42:43]
	v_lshrrev_b32_e32 v30, s62, v30
	v_and_b32_e32 v30, s63, v30
	v_lshlrev_b32_e32 v30, 2, v30
	ds_read_b32 v30, v30
	v_cmp_lt_i32_e64 s[42:43], -1, v12
	v_cndmask_b32_e64 v104, v73, -1, s[42:43]
	v_xor_b32_e32 v104, v104, v12
	s_waitcnt lgkmcnt(0)
	v_add_u32_e32 v12, v30, v34
	v_lshlrev_b64 v[12:13], 2, v[12:13]
	v_add_co_u32_e64 v12, s[42:43], s68, v12
	v_addc_co_u32_e64 v13, s[42:43], v102, v13, s[42:43]
	global_store_dword v[12:13], v104, off
	s_or_b64 exec, exec, s[44:45]
	v_cmp_lt_u32_e64 s[42:43], v35, v101
	s_and_saveexec_b64 s[46:47], s[42:43]
	s_cbranch_execz .LBB1433_272
.LBB1433_308:                           ;   in Loop: Header=BB1433_228 Depth=2
	ds_read_b32 v12, v50 offset:4096
	v_mov_b32_e32 v13, v3
	v_mov_b32_e32 v102, s69
	s_waitcnt lgkmcnt(0)
	v_cmp_ne_u32_e64 s[44:45], s7, v12
	v_cndmask_b32_e64 v30, v73, v12, s[44:45]
	v_lshrrev_b32_e32 v30, s62, v30
	v_and_b32_e32 v30, s63, v30
	v_lshlrev_b32_e32 v30, 2, v30
	ds_read_b32 v30, v30
	v_cmp_lt_i32_e64 s[44:45], -1, v12
	v_cndmask_b32_e64 v104, v73, -1, s[44:45]
	v_xor_b32_e32 v104, v104, v12
	s_waitcnt lgkmcnt(0)
	v_add_u32_e32 v12, v30, v35
	v_lshlrev_b64 v[12:13], 2, v[12:13]
	v_add_co_u32_e64 v12, s[44:45], s68, v12
	v_addc_co_u32_e64 v13, s[44:45], v102, v13, s[44:45]
	global_store_dword v[12:13], v104, off
	s_or_b64 exec, exec, s[46:47]
	v_cmp_lt_u32_e64 s[44:45], v38, v101
	s_and_saveexec_b64 s[48:49], s[44:45]
	s_cbranch_execz .LBB1433_273
.LBB1433_309:                           ;   in Loop: Header=BB1433_228 Depth=2
	ds_read_b32 v12, v50 offset:5120
	v_mov_b32_e32 v13, v3
	v_mov_b32_e32 v102, s69
	s_waitcnt lgkmcnt(0)
	v_cmp_ne_u32_e64 s[46:47], s7, v12
	v_cndmask_b32_e64 v30, v73, v12, s[46:47]
	v_lshrrev_b32_e32 v30, s62, v30
	v_and_b32_e32 v30, s63, v30
	v_lshlrev_b32_e32 v30, 2, v30
	ds_read_b32 v30, v30
	v_cmp_lt_i32_e64 s[46:47], -1, v12
	v_cndmask_b32_e64 v104, v73, -1, s[46:47]
	v_xor_b32_e32 v104, v104, v12
	s_waitcnt lgkmcnt(0)
	v_add_u32_e32 v12, v30, v38
	v_lshlrev_b64 v[12:13], 2, v[12:13]
	v_add_co_u32_e64 v12, s[46:47], s68, v12
	v_addc_co_u32_e64 v13, s[46:47], v102, v13, s[46:47]
	global_store_dword v[12:13], v104, off
	s_or_b64 exec, exec, s[48:49]
	v_cmp_lt_u32_e64 s[46:47], v39, v101
	s_and_saveexec_b64 s[50:51], s[46:47]
	s_cbranch_execz .LBB1433_274
.LBB1433_310:                           ;   in Loop: Header=BB1433_228 Depth=2
	ds_read_b32 v12, v50 offset:6144
	v_mov_b32_e32 v13, v3
	v_mov_b32_e32 v102, s69
	s_waitcnt lgkmcnt(0)
	v_cmp_ne_u32_e64 s[48:49], s7, v12
	v_cndmask_b32_e64 v30, v73, v12, s[48:49]
	v_lshrrev_b32_e32 v30, s62, v30
	v_and_b32_e32 v30, s63, v30
	v_lshlrev_b32_e32 v30, 2, v30
	ds_read_b32 v30, v30
	v_cmp_lt_i32_e64 s[48:49], -1, v12
	v_cndmask_b32_e64 v104, v73, -1, s[48:49]
	v_xor_b32_e32 v104, v104, v12
	s_waitcnt lgkmcnt(0)
	v_add_u32_e32 v12, v30, v39
	v_lshlrev_b64 v[12:13], 2, v[12:13]
	v_add_co_u32_e64 v12, s[48:49], s68, v12
	v_addc_co_u32_e64 v13, s[48:49], v102, v13, s[48:49]
	global_store_dword v[12:13], v104, off
	s_or_b64 exec, exec, s[50:51]
	v_cmp_lt_u32_e64 s[48:49], v40, v101
	s_and_saveexec_b64 s[52:53], s[48:49]
	s_cbranch_execz .LBB1433_275
.LBB1433_311:                           ;   in Loop: Header=BB1433_228 Depth=2
	ds_read_b32 v12, v50 offset:7168
	v_mov_b32_e32 v13, v3
	v_mov_b32_e32 v102, s69
	s_waitcnt lgkmcnt(0)
	v_cmp_ne_u32_e64 s[50:51], s7, v12
	v_cndmask_b32_e64 v30, v73, v12, s[50:51]
	v_lshrrev_b32_e32 v30, s62, v30
	v_and_b32_e32 v30, s63, v30
	v_lshlrev_b32_e32 v30, 2, v30
	ds_read_b32 v30, v30
	v_cmp_lt_i32_e64 s[50:51], -1, v12
	v_cndmask_b32_e64 v104, v73, -1, s[50:51]
	v_xor_b32_e32 v104, v104, v12
	s_waitcnt lgkmcnt(0)
	v_add_u32_e32 v12, v30, v40
	v_lshlrev_b64 v[12:13], 2, v[12:13]
	v_add_co_u32_e64 v12, s[50:51], s68, v12
	v_addc_co_u32_e64 v13, s[50:51], v102, v13, s[50:51]
	global_store_dword v[12:13], v104, off
	s_or_b64 exec, exec, s[52:53]
	v_cmp_lt_u32_e64 s[50:51], v41, v101
	s_and_saveexec_b64 s[60:61], s[50:51]
	s_cbranch_execnz .LBB1433_276
	s_branch .LBB1433_277
.LBB1433_312:                           ;   in Loop: Header=BB1433_228 Depth=2
	global_load_dwordx2 v[28:29], v[12:13], off
	s_or_b64 exec, exec, s[52:53]
	v_cmp_lt_u32_e64 s[52:53], v91, v101
	s_and_saveexec_b64 s[60:61], s[52:53]
	s_cbranch_execz .LBB1433_279
.LBB1433_313:                           ;   in Loop: Header=BB1433_228 Depth=2
	global_load_dwordx2 v[26:27], v[12:13], off offset:512
	s_or_b64 exec, exec, s[60:61]
	v_cmp_lt_u32_e64 s[52:53], v92, v101
	s_and_saveexec_b64 s[60:61], s[52:53]
	s_cbranch_execz .LBB1433_280
.LBB1433_314:                           ;   in Loop: Header=BB1433_228 Depth=2
	global_load_dwordx2 v[24:25], v[12:13], off offset:1024
	s_or_b64 exec, exec, s[60:61]
	v_cmp_lt_u32_e64 s[52:53], v93, v101
	s_and_saveexec_b64 s[60:61], s[52:53]
	s_cbranch_execz .LBB1433_281
.LBB1433_315:                           ;   in Loop: Header=BB1433_228 Depth=2
	global_load_dwordx2 v[22:23], v[12:13], off offset:1536
	s_or_b64 exec, exec, s[60:61]
	v_cmp_lt_u32_e64 s[52:53], v94, v101
	s_and_saveexec_b64 s[60:61], s[52:53]
	s_cbranch_execz .LBB1433_282
.LBB1433_316:                           ;   in Loop: Header=BB1433_228 Depth=2
	global_load_dwordx2 v[20:21], v[12:13], off offset:2048
	s_or_b64 exec, exec, s[60:61]
	v_cmp_lt_u32_e64 s[52:53], v95, v101
	s_and_saveexec_b64 s[60:61], s[52:53]
	s_cbranch_execz .LBB1433_283
.LBB1433_317:                           ;   in Loop: Header=BB1433_228 Depth=2
	global_load_dwordx2 v[9:10], v[12:13], off offset:2560
	s_or_b64 exec, exec, s[60:61]
	v_cmp_lt_u32_e64 s[52:53], v96, v101
	s_and_saveexec_b64 s[60:61], s[52:53]
	s_cbranch_execz .LBB1433_284
.LBB1433_318:                           ;   in Loop: Header=BB1433_228 Depth=2
	global_load_dwordx2 v[7:8], v[12:13], off offset:3072
	s_or_b64 exec, exec, s[60:61]
	v_cmp_lt_u32_e64 s[52:53], v97, v101
	s_and_saveexec_b64 s[60:61], s[52:53]
	s_cbranch_execz .LBB1433_285
.LBB1433_319:                           ;   in Loop: Header=BB1433_228 Depth=2
	global_load_dwordx2 v[5:6], v[12:13], off offset:3584
	s_or_b64 exec, exec, s[60:61]
	s_and_saveexec_b64 s[60:61], vcc
	s_cbranch_execz .LBB1433_286
.LBB1433_320:                           ;   in Loop: Header=BB1433_228 Depth=2
	ds_read_b32 v12, v50 offset:1024
	s_waitcnt lgkmcnt(0)
	v_cmp_ne_u32_e64 s[52:53], s7, v12
	v_cndmask_b32_e64 v12, v73, v12, s[52:53]
	v_lshrrev_b32_e32 v12, s62, v12
	v_and_b32_e32 v90, s63, v12
	s_or_b64 exec, exec, s[60:61]
	s_and_saveexec_b64 s[60:61], s[38:39]
	s_cbranch_execz .LBB1433_287
.LBB1433_321:                           ;   in Loop: Header=BB1433_228 Depth=2
	ds_read_b32 v12, v50 offset:2048
	s_waitcnt lgkmcnt(0)
	v_cmp_ne_u32_e64 s[52:53], s7, v12
	v_cndmask_b32_e64 v12, v73, v12, s[52:53]
	v_lshrrev_b32_e32 v12, s62, v12
	v_and_b32_e32 v88, s63, v12
	s_or_b64 exec, exec, s[60:61]
	s_and_saveexec_b64 s[60:61], s[40:41]
	s_cbranch_execz .LBB1433_288
.LBB1433_322:                           ;   in Loop: Header=BB1433_228 Depth=2
	ds_read_b32 v12, v50 offset:3072
	s_waitcnt lgkmcnt(0)
	v_cmp_ne_u32_e64 s[52:53], s7, v12
	v_cndmask_b32_e64 v12, v73, v12, s[52:53]
	v_lshrrev_b32_e32 v12, s62, v12
	v_and_b32_e32 v86, s63, v12
	s_or_b64 exec, exec, s[60:61]
	s_and_saveexec_b64 s[60:61], s[42:43]
	s_cbranch_execz .LBB1433_289
.LBB1433_323:                           ;   in Loop: Header=BB1433_228 Depth=2
	ds_read_b32 v12, v50 offset:4096
	s_waitcnt lgkmcnt(0)
	v_cmp_ne_u32_e64 s[52:53], s7, v12
	v_cndmask_b32_e64 v12, v73, v12, s[52:53]
	v_lshrrev_b32_e32 v12, s62, v12
	v_and_b32_e32 v85, s63, v12
	s_or_b64 exec, exec, s[60:61]
	s_and_saveexec_b64 s[60:61], s[44:45]
	s_cbranch_execz .LBB1433_290
.LBB1433_324:                           ;   in Loop: Header=BB1433_228 Depth=2
	ds_read_b32 v12, v50 offset:5120
	s_waitcnt lgkmcnt(0)
	v_cmp_ne_u32_e64 s[52:53], s7, v12
	v_cndmask_b32_e64 v12, v73, v12, s[52:53]
	v_lshrrev_b32_e32 v12, s62, v12
	v_and_b32_e32 v83, s63, v12
	s_or_b64 exec, exec, s[60:61]
	s_and_saveexec_b64 s[60:61], s[46:47]
	s_cbranch_execz .LBB1433_291
.LBB1433_325:                           ;   in Loop: Header=BB1433_228 Depth=2
	ds_read_b32 v12, v50 offset:6144
	s_waitcnt lgkmcnt(0)
	v_cmp_ne_u32_e64 s[52:53], s7, v12
	v_cndmask_b32_e64 v12, v73, v12, s[52:53]
	v_lshrrev_b32_e32 v12, s62, v12
	v_and_b32_e32 v82, s63, v12
	s_or_b64 exec, exec, s[60:61]
	s_and_saveexec_b64 s[60:61], s[48:49]
	s_cbranch_execz .LBB1433_292
.LBB1433_326:                           ;   in Loop: Header=BB1433_228 Depth=2
	ds_read_b32 v12, v50 offset:7168
	s_waitcnt lgkmcnt(0)
	v_cmp_ne_u32_e64 s[52:53], s7, v12
	v_cndmask_b32_e64 v12, v73, v12, s[52:53]
	v_lshrrev_b32_e32 v12, s62, v12
	v_and_b32_e32 v81, s63, v12
	s_or_b64 exec, exec, s[60:61]
	s_and_saveexec_b64 s[60:61], s[50:51]
	s_cbranch_execnz .LBB1433_293
	s_branch .LBB1433_294
.LBB1433_327:                           ;   in Loop: Header=BB1433_228 Depth=2
	v_lshlrev_b32_e32 v12, 2, v90
	ds_read_b32 v14, v12
	v_add_u32_e32 v12, v50, v32
	ds_read_b64 v[12:13], v12 offset:1024
	v_mov_b32_e32 v15, v3
	v_mov_b32_e32 v16, s75
	s_waitcnt lgkmcnt(1)
	v_add_u32_e32 v14, v14, v0
	v_lshlrev_b64 v[14:15], 3, v[14:15]
	v_add_co_u32_e32 v14, vcc, s74, v14
	v_addc_co_u32_e32 v15, vcc, v16, v15, vcc
	s_waitcnt lgkmcnt(0)
	global_store_dwordx2 v[14:15], v[12:13], off
	s_or_b64 exec, exec, s[52:53]
	s_and_saveexec_b64 s[52:53], s[38:39]
	s_cbranch_execz .LBB1433_296
.LBB1433_328:                           ;   in Loop: Header=BB1433_228 Depth=2
	v_lshlrev_b32_e32 v12, 2, v88
	ds_read_b32 v14, v12
	v_add_u32_e32 v12, v50, v32
	ds_read_b64 v[12:13], v12 offset:3072
	v_mov_b32_e32 v15, v3
	v_mov_b32_e32 v16, s75
	s_waitcnt lgkmcnt(1)
	v_add_u32_e32 v14, v14, v33
	v_lshlrev_b64 v[14:15], 3, v[14:15]
	v_add_co_u32_e32 v14, vcc, s74, v14
	v_addc_co_u32_e32 v15, vcc, v16, v15, vcc
	s_waitcnt lgkmcnt(0)
	global_store_dwordx2 v[14:15], v[12:13], off
	s_or_b64 exec, exec, s[52:53]
	s_and_saveexec_b64 s[38:39], s[40:41]
	s_cbranch_execz .LBB1433_297
.LBB1433_329:                           ;   in Loop: Header=BB1433_228 Depth=2
	v_lshlrev_b32_e32 v12, 2, v86
	ds_read_b32 v14, v12
	v_add_u32_e32 v12, v50, v32
	ds_read_b64 v[12:13], v12 offset:5120
	v_mov_b32_e32 v15, v3
	v_mov_b32_e32 v16, s75
	s_waitcnt lgkmcnt(1)
	v_add_u32_e32 v14, v14, v34
	v_lshlrev_b64 v[14:15], 3, v[14:15]
	v_add_co_u32_e32 v14, vcc, s74, v14
	v_addc_co_u32_e32 v15, vcc, v16, v15, vcc
	s_waitcnt lgkmcnt(0)
	global_store_dwordx2 v[14:15], v[12:13], off
	s_or_b64 exec, exec, s[38:39]
	s_and_saveexec_b64 s[38:39], s[42:43]
	s_cbranch_execz .LBB1433_298
.LBB1433_330:                           ;   in Loop: Header=BB1433_228 Depth=2
	v_lshlrev_b32_e32 v12, 2, v85
	ds_read_b32 v14, v12
	v_add_u32_e32 v12, v50, v32
	ds_read_b64 v[12:13], v12 offset:7168
	v_mov_b32_e32 v15, v3
	v_mov_b32_e32 v16, s75
	s_waitcnt lgkmcnt(1)
	v_add_u32_e32 v14, v14, v35
	v_lshlrev_b64 v[14:15], 3, v[14:15]
	v_add_co_u32_e32 v14, vcc, s74, v14
	v_addc_co_u32_e32 v15, vcc, v16, v15, vcc
	s_waitcnt lgkmcnt(0)
	global_store_dwordx2 v[14:15], v[12:13], off
	s_or_b64 exec, exec, s[38:39]
	s_and_saveexec_b64 s[38:39], s[44:45]
	s_cbranch_execz .LBB1433_299
.LBB1433_331:                           ;   in Loop: Header=BB1433_228 Depth=2
	v_lshlrev_b32_e32 v12, 2, v83
	ds_read_b32 v14, v12
	v_add_u32_e32 v12, v50, v32
	ds_read_b64 v[12:13], v12 offset:9216
	v_mov_b32_e32 v15, v3
	v_mov_b32_e32 v16, s75
	s_waitcnt lgkmcnt(1)
	v_add_u32_e32 v14, v14, v38
	v_lshlrev_b64 v[14:15], 3, v[14:15]
	v_add_co_u32_e32 v14, vcc, s74, v14
	v_addc_co_u32_e32 v15, vcc, v16, v15, vcc
	s_waitcnt lgkmcnt(0)
	global_store_dwordx2 v[14:15], v[12:13], off
	s_or_b64 exec, exec, s[38:39]
	s_and_saveexec_b64 s[38:39], s[46:47]
	s_cbranch_execz .LBB1433_300
.LBB1433_332:                           ;   in Loop: Header=BB1433_228 Depth=2
	v_lshlrev_b32_e32 v12, 2, v82
	ds_read_b32 v14, v12
	v_add_u32_e32 v12, v50, v32
	ds_read_b64 v[12:13], v12 offset:11264
	v_mov_b32_e32 v15, v3
	v_mov_b32_e32 v16, s75
	s_waitcnt lgkmcnt(1)
	v_add_u32_e32 v14, v14, v39
	v_lshlrev_b64 v[14:15], 3, v[14:15]
	v_add_co_u32_e32 v14, vcc, s74, v14
	v_addc_co_u32_e32 v15, vcc, v16, v15, vcc
	s_waitcnt lgkmcnt(0)
	global_store_dwordx2 v[14:15], v[12:13], off
	s_or_b64 exec, exec, s[38:39]
	s_and_saveexec_b64 s[38:39], s[48:49]
	s_cbranch_execz .LBB1433_301
.LBB1433_333:                           ;   in Loop: Header=BB1433_228 Depth=2
	v_lshlrev_b32_e32 v12, 2, v81
	ds_read_b32 v14, v12
	v_add_u32_e32 v12, v50, v32
	ds_read_b64 v[12:13], v12 offset:13312
	v_mov_b32_e32 v15, v3
	v_mov_b32_e32 v16, s75
	s_waitcnt lgkmcnt(1)
	v_add_u32_e32 v14, v14, v40
	v_lshlrev_b64 v[14:15], 3, v[14:15]
	v_add_co_u32_e32 v14, vcc, s74, v14
	v_addc_co_u32_e32 v15, vcc, v16, v15, vcc
	s_waitcnt lgkmcnt(0)
	global_store_dwordx2 v[14:15], v[12:13], off
	s_or_b64 exec, exec, s[38:39]
	s_and_saveexec_b64 s[38:39], s[50:51]
	s_cbranch_execnz .LBB1433_302
	s_branch .LBB1433_303
.LBB1433_334:                           ;   in Loop: Header=BB1433_228 Depth=2
	global_load_dword v12, v[30:31], off
	v_mov_b32_e32 v13, v11
	v_mov_b32_e32 v14, v11
	;; [unrolled: 1-line block ×7, first 2 shown]
	s_or_b64 exec, exec, s[38:39]
	v_cmp_gt_u32_e32 vcc, s70, v91
	s_and_saveexec_b64 s[38:39], vcc
	s_cbranch_execz .LBB1433_233
.LBB1433_335:                           ;   in Loop: Header=BB1433_228 Depth=2
	global_load_dword v13, v[30:31], off offset:256
	s_or_b64 exec, exec, s[38:39]
	v_cmp_gt_u32_e32 vcc, s70, v92
	s_and_saveexec_b64 s[38:39], vcc
	s_cbranch_execz .LBB1433_234
.LBB1433_336:                           ;   in Loop: Header=BB1433_228 Depth=2
	global_load_dword v14, v[30:31], off offset:512
	s_or_b64 exec, exec, s[38:39]
	v_cmp_gt_u32_e32 vcc, s70, v93
	s_and_saveexec_b64 s[38:39], vcc
	s_cbranch_execz .LBB1433_235
.LBB1433_337:                           ;   in Loop: Header=BB1433_228 Depth=2
	global_load_dword v15, v[30:31], off offset:768
	s_or_b64 exec, exec, s[38:39]
	v_cmp_gt_u32_e32 vcc, s70, v94
	s_and_saveexec_b64 s[38:39], vcc
	s_cbranch_execz .LBB1433_236
.LBB1433_338:                           ;   in Loop: Header=BB1433_228 Depth=2
	global_load_dword v16, v[30:31], off offset:1024
	s_or_b64 exec, exec, s[38:39]
	v_cmp_gt_u32_e32 vcc, s70, v95
	s_and_saveexec_b64 s[38:39], vcc
	s_cbranch_execz .LBB1433_237
.LBB1433_339:                           ;   in Loop: Header=BB1433_228 Depth=2
	global_load_dword v17, v[30:31], off offset:1280
	s_or_b64 exec, exec, s[38:39]
	v_cmp_gt_u32_e32 vcc, s70, v96
	s_and_saveexec_b64 s[38:39], vcc
	s_cbranch_execnz .LBB1433_238
	s_branch .LBB1433_239
.LBB1433_340:                           ;   in Loop: Header=BB1433_12 Depth=1
	s_waitcnt lgkmcnt(0)
	s_barrier
.LBB1433_341:                           ;   in Loop: Header=BB1433_12 Depth=1
	s_mov_b64 s[18:19], 0
.LBB1433_342:                           ;   in Loop: Header=BB1433_12 Depth=1
	s_andn2_b64 vcc, exec, s[18:19]
	s_cbranch_vccnz .LBB1433_11
; %bb.343:                              ;   in Loop: Header=BB1433_12 Depth=1
	s_mov_b64 s[18:19], -1
	s_and_b64 vcc, exec, s[54:55]
	s_cbranch_vccz .LBB1433_507
; %bb.344:                              ;   in Loop: Header=BB1433_12 Depth=1
	v_mov_b32_e32 v10, v3
	v_mov_b32_e32 v4, v3
	;; [unrolled: 1-line block ×8, first 2 shown]
	s_mov_b32 s22, s79
	s_mov_b32 s58, s80
	v_mov_b32_e32 v18, v9
	v_mov_b32_e32 v17, v8
	;; [unrolled: 1-line block ×7, first 2 shown]
	s_barrier
	s_branch .LBB1433_346
.LBB1433_345:                           ;   in Loop: Header=BB1433_346 Depth=2
	s_or_b64 exec, exec, s[18:19]
	s_addk_i32 s22, 0xf800
	s_cmp_ge_u32 s23, s81
	s_mov_b32 s58, s23
	s_cbranch_scc1 .LBB1433_382
.LBB1433_346:                           ;   Parent Loop BB1433_12 Depth=1
                                        ; =>  This Inner Loop Header: Depth=2
	s_add_i32 s23, s58, 0x800
	s_cmp_gt_u32 s23, s81
	s_mov_b64 s[18:19], -1
                                        ; implicit-def: $vgpr20_vgpr21_vgpr22_vgpr23_vgpr24_vgpr25_vgpr26_vgpr27
	s_cbranch_scc1 .LBB1433_348
; %bb.347:                              ;   in Loop: Header=BB1433_346 Depth=2
	s_lshl_b64 s[18:19], s[58:59], 2
	v_mov_b32_e32 v5, s19
	v_add_co_u32_e32 v4, vcc, s18, v61
	v_addc_co_u32_e32 v5, vcc, v62, v5, vcc
	v_add_co_u32_e32 v6, vcc, 0x1000, v4
	v_addc_co_u32_e32 v7, vcc, 0, v5, vcc
	global_load_dword v20, v[4:5], off
	global_load_dword v21, v[4:5], off offset:1024
	global_load_dword v22, v[4:5], off offset:2048
	;; [unrolled: 1-line block ×3, first 2 shown]
	global_load_dword v24, v[6:7], off
	global_load_dword v25, v[6:7], off offset:1024
	global_load_dword v26, v[6:7], off offset:2048
	;; [unrolled: 1-line block ×3, first 2 shown]
	s_mov_b64 s[18:19], 0
.LBB1433_348:                           ;   in Loop: Header=BB1433_346 Depth=2
	s_andn2_b64 vcc, exec, s[18:19]
	s_movk_i32 s20, 0x800
	s_cbranch_vccnz .LBB1433_359
; %bb.349:                              ;   in Loop: Header=BB1433_346 Depth=2
	s_lshl_b64 s[18:19], s[58:59], 2
	s_add_u32 s18, s64, s18
	s_addc_u32 s19, s65, s19
	v_cmp_gt_u32_e32 vcc, s22, v0
	s_and_saveexec_b64 s[20:21], vcc
	s_cbranch_execnz .LBB1433_375
; %bb.350:                              ;   in Loop: Header=BB1433_346 Depth=2
	s_or_b64 exec, exec, s[20:21]
	v_cmp_gt_u32_e32 vcc, s22, v33
	s_and_saveexec_b64 s[20:21], vcc
	s_cbranch_execnz .LBB1433_376
.LBB1433_351:                           ;   in Loop: Header=BB1433_346 Depth=2
	s_or_b64 exec, exec, s[20:21]
	v_cmp_gt_u32_e32 vcc, s22, v34
	s_and_saveexec_b64 s[20:21], vcc
	s_cbranch_execnz .LBB1433_377
.LBB1433_352:                           ;   in Loop: Header=BB1433_346 Depth=2
	s_or_b64 exec, exec, s[20:21]
	v_cmp_gt_u32_e32 vcc, s22, v35
	s_and_saveexec_b64 s[20:21], vcc
	s_cbranch_execnz .LBB1433_378
.LBB1433_353:                           ;   in Loop: Header=BB1433_346 Depth=2
	s_or_b64 exec, exec, s[20:21]
	v_cmp_gt_u32_e32 vcc, s22, v38
	s_and_saveexec_b64 s[20:21], vcc
	s_cbranch_execnz .LBB1433_379
.LBB1433_354:                           ;   in Loop: Header=BB1433_346 Depth=2
	s_or_b64 exec, exec, s[20:21]
	v_cmp_gt_u32_e32 vcc, s22, v39
	s_and_saveexec_b64 s[20:21], vcc
	s_cbranch_execnz .LBB1433_380
.LBB1433_355:                           ;   in Loop: Header=BB1433_346 Depth=2
	s_or_b64 exec, exec, s[20:21]
	v_cmp_gt_u32_e32 vcc, s22, v40
	s_and_saveexec_b64 s[20:21], vcc
	s_cbranch_execnz .LBB1433_381
.LBB1433_356:                           ;   in Loop: Header=BB1433_346 Depth=2
	s_or_b64 exec, exec, s[20:21]
	v_cmp_gt_u32_e32 vcc, s22, v41
	s_and_saveexec_b64 s[20:21], vcc
	s_cbranch_execz .LBB1433_358
.LBB1433_357:                           ;   in Loop: Header=BB1433_346 Depth=2
	global_load_dword v19, v72, s[18:19]
.LBB1433_358:                           ;   in Loop: Header=BB1433_346 Depth=2
	s_or_b64 exec, exec, s[20:21]
	s_waitcnt vmcnt(0)
	v_mov_b32_e32 v27, v19
	s_mov_b32 s20, s22
	v_mov_b32_e32 v26, v18
	v_mov_b32_e32 v25, v17
	;; [unrolled: 1-line block ×7, first 2 shown]
.LBB1433_359:                           ;   in Loop: Header=BB1433_346 Depth=2
	s_waitcnt vmcnt(0)
	v_mov_b32_e32 v12, v20
	v_mov_b32_e32 v13, v21
	;; [unrolled: 1-line block ×8, first 2 shown]
	v_cmp_gt_u32_e32 vcc, s20, v0
	s_and_saveexec_b64 s[18:19], vcc
	s_cbranch_execnz .LBB1433_367
; %bb.360:                              ;   in Loop: Header=BB1433_346 Depth=2
	s_or_b64 exec, exec, s[18:19]
	v_cmp_gt_u32_e32 vcc, s20, v33
	s_and_saveexec_b64 s[18:19], vcc
	s_cbranch_execnz .LBB1433_368
.LBB1433_361:                           ;   in Loop: Header=BB1433_346 Depth=2
	s_or_b64 exec, exec, s[18:19]
	v_cmp_gt_u32_e32 vcc, s20, v34
	s_and_saveexec_b64 s[18:19], vcc
	s_cbranch_execnz .LBB1433_369
.LBB1433_362:                           ;   in Loop: Header=BB1433_346 Depth=2
	s_or_b64 exec, exec, s[18:19]
	v_cmp_gt_u32_e32 vcc, s20, v35
	s_and_saveexec_b64 s[18:19], vcc
	s_cbranch_execnz .LBB1433_370
.LBB1433_363:                           ;   in Loop: Header=BB1433_346 Depth=2
	s_or_b64 exec, exec, s[18:19]
	v_cmp_gt_u32_e32 vcc, s20, v38
	s_and_saveexec_b64 s[18:19], vcc
	s_cbranch_execnz .LBB1433_371
.LBB1433_364:                           ;   in Loop: Header=BB1433_346 Depth=2
	s_or_b64 exec, exec, s[18:19]
	v_cmp_gt_u32_e32 vcc, s20, v39
	s_and_saveexec_b64 s[18:19], vcc
	s_cbranch_execnz .LBB1433_372
.LBB1433_365:                           ;   in Loop: Header=BB1433_346 Depth=2
	s_or_b64 exec, exec, s[18:19]
	v_cmp_gt_u32_e32 vcc, s20, v40
	s_and_saveexec_b64 s[18:19], vcc
	s_cbranch_execnz .LBB1433_373
.LBB1433_366:                           ;   in Loop: Header=BB1433_346 Depth=2
	s_or_b64 exec, exec, s[18:19]
	v_cmp_gt_u32_e32 vcc, s20, v41
	s_and_saveexec_b64 s[18:19], vcc
	s_cbranch_execz .LBB1433_345
	s_branch .LBB1433_374
.LBB1433_367:                           ;   in Loop: Header=BB1433_346 Depth=2
	v_cmp_lt_i32_e32 vcc, -1, v12
	v_cndmask_b32_e32 v4, -1, v73, vcc
	v_xor_b32_e32 v4, v4, v12
	v_cmp_ne_u32_e32 vcc, s7, v4
	v_cndmask_b32_e32 v4, v73, v4, vcc
	v_lshrrev_b32_e32 v4, s77, v4
	v_and_b32_e32 v4, s63, v4
	v_lshl_or_b32 v4, v4, 4, v42
	ds_add_u32 v4, v67
	s_or_b64 exec, exec, s[18:19]
	v_cmp_gt_u32_e32 vcc, s20, v33
	s_and_saveexec_b64 s[18:19], vcc
	s_cbranch_execz .LBB1433_361
.LBB1433_368:                           ;   in Loop: Header=BB1433_346 Depth=2
	v_cmp_lt_i32_e32 vcc, -1, v13
	v_cndmask_b32_e32 v4, -1, v73, vcc
	v_xor_b32_e32 v4, v4, v13
	v_cmp_ne_u32_e32 vcc, s7, v4
	v_cndmask_b32_e32 v4, v73, v4, vcc
	v_lshrrev_b32_e32 v4, s77, v4
	v_and_b32_e32 v4, s63, v4
	v_lshl_or_b32 v4, v4, 4, v42
	ds_add_u32 v4, v67
	s_or_b64 exec, exec, s[18:19]
	v_cmp_gt_u32_e32 vcc, s20, v34
	s_and_saveexec_b64 s[18:19], vcc
	s_cbranch_execz .LBB1433_362
.LBB1433_369:                           ;   in Loop: Header=BB1433_346 Depth=2
	v_cmp_lt_i32_e32 vcc, -1, v14
	v_cndmask_b32_e32 v4, -1, v73, vcc
	v_xor_b32_e32 v4, v4, v14
	v_cmp_ne_u32_e32 vcc, s7, v4
	v_cndmask_b32_e32 v4, v73, v4, vcc
	v_lshrrev_b32_e32 v4, s77, v4
	v_and_b32_e32 v4, s63, v4
	v_lshl_or_b32 v4, v4, 4, v42
	ds_add_u32 v4, v67
	s_or_b64 exec, exec, s[18:19]
	v_cmp_gt_u32_e32 vcc, s20, v35
	s_and_saveexec_b64 s[18:19], vcc
	s_cbranch_execz .LBB1433_363
.LBB1433_370:                           ;   in Loop: Header=BB1433_346 Depth=2
	v_cmp_lt_i32_e32 vcc, -1, v15
	v_cndmask_b32_e32 v4, -1, v73, vcc
	v_xor_b32_e32 v4, v4, v15
	v_cmp_ne_u32_e32 vcc, s7, v4
	v_cndmask_b32_e32 v4, v73, v4, vcc
	v_lshrrev_b32_e32 v4, s77, v4
	v_and_b32_e32 v4, s63, v4
	v_lshl_or_b32 v4, v4, 4, v42
	ds_add_u32 v4, v67
	s_or_b64 exec, exec, s[18:19]
	v_cmp_gt_u32_e32 vcc, s20, v38
	s_and_saveexec_b64 s[18:19], vcc
	s_cbranch_execz .LBB1433_364
.LBB1433_371:                           ;   in Loop: Header=BB1433_346 Depth=2
	v_cmp_lt_i32_e32 vcc, -1, v16
	v_cndmask_b32_e32 v4, -1, v73, vcc
	v_xor_b32_e32 v4, v4, v16
	v_cmp_ne_u32_e32 vcc, s7, v4
	v_cndmask_b32_e32 v4, v73, v4, vcc
	v_lshrrev_b32_e32 v4, s77, v4
	v_and_b32_e32 v4, s63, v4
	v_lshl_or_b32 v4, v4, 4, v42
	ds_add_u32 v4, v67
	s_or_b64 exec, exec, s[18:19]
	v_cmp_gt_u32_e32 vcc, s20, v39
	s_and_saveexec_b64 s[18:19], vcc
	s_cbranch_execz .LBB1433_365
.LBB1433_372:                           ;   in Loop: Header=BB1433_346 Depth=2
	v_cmp_lt_i32_e32 vcc, -1, v17
	v_cndmask_b32_e32 v4, -1, v73, vcc
	v_xor_b32_e32 v4, v4, v17
	v_cmp_ne_u32_e32 vcc, s7, v4
	v_cndmask_b32_e32 v4, v73, v4, vcc
	v_lshrrev_b32_e32 v4, s77, v4
	v_and_b32_e32 v4, s63, v4
	v_lshl_or_b32 v4, v4, 4, v42
	ds_add_u32 v4, v67
	s_or_b64 exec, exec, s[18:19]
	v_cmp_gt_u32_e32 vcc, s20, v40
	s_and_saveexec_b64 s[18:19], vcc
	s_cbranch_execz .LBB1433_366
.LBB1433_373:                           ;   in Loop: Header=BB1433_346 Depth=2
	v_cmp_lt_i32_e32 vcc, -1, v18
	v_cndmask_b32_e32 v4, -1, v73, vcc
	v_xor_b32_e32 v4, v4, v18
	v_cmp_ne_u32_e32 vcc, s7, v4
	v_cndmask_b32_e32 v4, v73, v4, vcc
	v_lshrrev_b32_e32 v4, s77, v4
	v_and_b32_e32 v4, s63, v4
	v_lshl_or_b32 v4, v4, 4, v42
	ds_add_u32 v4, v67
	s_or_b64 exec, exec, s[18:19]
	v_cmp_gt_u32_e32 vcc, s20, v41
	s_and_saveexec_b64 s[18:19], vcc
	s_cbranch_execz .LBB1433_345
.LBB1433_374:                           ;   in Loop: Header=BB1433_346 Depth=2
	v_cmp_lt_i32_e32 vcc, -1, v19
	v_cndmask_b32_e32 v4, -1, v73, vcc
	v_xor_b32_e32 v4, v4, v19
	v_cmp_ne_u32_e32 vcc, s7, v4
	v_cndmask_b32_e32 v4, v73, v4, vcc
	v_lshrrev_b32_e32 v4, s77, v4
	v_and_b32_e32 v4, s63, v4
	v_lshl_or_b32 v4, v4, 4, v42
	ds_add_u32 v4, v67
	s_branch .LBB1433_345
.LBB1433_375:                           ;   in Loop: Header=BB1433_346 Depth=2
	global_load_dword v12, v68, s[18:19]
	s_or_b64 exec, exec, s[20:21]
	v_cmp_gt_u32_e32 vcc, s22, v33
	s_and_saveexec_b64 s[20:21], vcc
	s_cbranch_execz .LBB1433_351
.LBB1433_376:                           ;   in Loop: Header=BB1433_346 Depth=2
	global_load_dword v13, v68, s[18:19] offset:1024
	s_or_b64 exec, exec, s[20:21]
	v_cmp_gt_u32_e32 vcc, s22, v34
	s_and_saveexec_b64 s[20:21], vcc
	s_cbranch_execz .LBB1433_352
.LBB1433_377:                           ;   in Loop: Header=BB1433_346 Depth=2
	global_load_dword v14, v68, s[18:19] offset:2048
	s_or_b64 exec, exec, s[20:21]
	v_cmp_gt_u32_e32 vcc, s22, v35
	s_and_saveexec_b64 s[20:21], vcc
	s_cbranch_execz .LBB1433_353
.LBB1433_378:                           ;   in Loop: Header=BB1433_346 Depth=2
	global_load_dword v15, v68, s[18:19] offset:3072
	s_or_b64 exec, exec, s[20:21]
	v_cmp_gt_u32_e32 vcc, s22, v38
	s_and_saveexec_b64 s[20:21], vcc
	s_cbranch_execz .LBB1433_354
.LBB1433_379:                           ;   in Loop: Header=BB1433_346 Depth=2
	global_load_dword v16, v69, s[18:19]
	s_or_b64 exec, exec, s[20:21]
	v_cmp_gt_u32_e32 vcc, s22, v39
	s_and_saveexec_b64 s[20:21], vcc
	s_cbranch_execz .LBB1433_355
.LBB1433_380:                           ;   in Loop: Header=BB1433_346 Depth=2
	global_load_dword v17, v70, s[18:19]
	s_or_b64 exec, exec, s[20:21]
	v_cmp_gt_u32_e32 vcc, s22, v40
	s_and_saveexec_b64 s[20:21], vcc
	s_cbranch_execz .LBB1433_356
.LBB1433_381:                           ;   in Loop: Header=BB1433_346 Depth=2
	global_load_dword v18, v71, s[18:19]
	s_or_b64 exec, exec, s[20:21]
	v_cmp_gt_u32_e32 vcc, s22, v41
	s_and_saveexec_b64 s[20:21], vcc
	s_cbranch_execnz .LBB1433_357
	s_branch .LBB1433_358
.LBB1433_382:                           ;   in Loop: Header=BB1433_12 Depth=1
	v_mov_b32_e32 v4, 0
	s_waitcnt lgkmcnt(0)
	s_barrier
	s_and_saveexec_b64 s[18:19], s[4:5]
	s_cbranch_execz .LBB1433_384
; %bb.383:                              ;   in Loop: Header=BB1433_12 Depth=1
	ds_read2_b64 v[4:7], v43 offset1:1
	s_waitcnt lgkmcnt(0)
	v_add_u32_e32 v4, v5, v4
	v_add3_u32 v4, v4, v6, v7
.LBB1433_384:                           ;   in Loop: Header=BB1433_12 Depth=1
	s_or_b64 exec, exec, s[18:19]
	s_nop 0
	v_mov_b32_dpp v5, v4 row_shr:1 row_mask:0xf bank_mask:0xf
	v_cmp_eq_u32_e64 s[18:19], 0, v75
	v_cndmask_b32_e64 v5, v5, 0, s[18:19]
	v_add_u32_e32 v4, v5, v4
	v_cmp_lt_u32_e64 s[20:21], 1, v75
	v_cmp_lt_u32_e64 s[22:23], 3, v75
	v_mov_b32_dpp v5, v4 row_shr:2 row_mask:0xf bank_mask:0xf
	v_cndmask_b32_e64 v5, 0, v5, s[20:21]
	v_add_u32_e32 v4, v4, v5
	v_cmp_lt_u32_e64 s[24:25], 7, v75
	v_cmp_lt_u32_e64 s[28:29], 31, v74
	v_mov_b32_dpp v5, v4 row_shr:4 row_mask:0xf bank_mask:0xf
	v_cndmask_b32_e64 v5, 0, v5, s[22:23]
	v_add_u32_e32 v4, v4, v5
	v_cmp_eq_u32_e64 s[26:27], 0, v77
	s_nop 0
	v_mov_b32_dpp v5, v4 row_shr:8 row_mask:0xf bank_mask:0xf
	v_cndmask_b32_e64 v5, 0, v5, s[24:25]
	v_add_u32_e32 v4, v4, v5
	s_nop 1
	v_mov_b32_dpp v5, v4 row_bcast:15 row_mask:0xf bank_mask:0xf
	v_and_b32_e32 v5, v76, v5
	v_add_u32_e32 v4, v4, v5
	s_nop 1
	v_mov_b32_dpp v5, v4 row_bcast:31 row_mask:0xf bank_mask:0xf
	v_cndmask_b32_e64 v5, 0, v5, s[28:29]
	v_add_u32_e32 v4, v4, v5
	s_and_saveexec_b64 s[30:31], s[8:9]
; %bb.385:                              ;   in Loop: Header=BB1433_12 Depth=1
	ds_write_b32 v45, v4
; %bb.386:                              ;   in Loop: Header=BB1433_12 Depth=1
	s_or_b64 exec, exec, s[30:31]
	s_waitcnt lgkmcnt(0)
	s_barrier
	s_and_saveexec_b64 s[30:31], s[10:11]
	s_cbranch_execz .LBB1433_388
; %bb.387:                              ;   in Loop: Header=BB1433_12 Depth=1
	ds_read_b32 v5, v46
	v_cmp_ne_u32_e32 vcc, 0, v78
	s_waitcnt lgkmcnt(0)
	v_mov_b32_dpp v6, v5 row_shr:1 row_mask:0xf bank_mask:0xf
	v_cndmask_b32_e32 v6, 0, v6, vcc
	v_add_u32_e32 v5, v6, v5
	v_cmp_lt_u32_e32 vcc, 1, v78
	s_nop 0
	v_mov_b32_dpp v6, v5 row_shr:2 row_mask:0xf bank_mask:0xf
	v_cndmask_b32_e32 v6, 0, v6, vcc
	v_add_u32_e32 v5, v5, v6
	ds_write_b32 v46, v5
.LBB1433_388:                           ;   in Loop: Header=BB1433_12 Depth=1
	s_or_b64 exec, exec, s[30:31]
	v_mov_b32_e32 v5, 0
	s_waitcnt lgkmcnt(0)
	s_barrier
	s_and_saveexec_b64 s[30:31], s[12:13]
; %bb.389:                              ;   in Loop: Header=BB1433_12 Depth=1
	ds_read_b32 v5, v47
; %bb.390:                              ;   in Loop: Header=BB1433_12 Depth=1
	s_or_b64 exec, exec, s[30:31]
	v_subrev_co_u32_e64 v6, s[30:31], 1, v74
	v_and_b32_e32 v7, 64, v74
	v_cmp_lt_i32_e32 vcc, v6, v7
	v_cndmask_b32_e32 v6, v6, v74, vcc
	s_waitcnt lgkmcnt(0)
	v_add_u32_e32 v4, v5, v4
	v_lshlrev_b32_e32 v79, 2, v6
	ds_bpermute_b32 v4, v79, v4
	s_waitcnt lgkmcnt(0)
	s_barrier
	s_and_saveexec_b64 s[34:35], s[4:5]
; %bb.391:                              ;   in Loop: Header=BB1433_12 Depth=1
	v_cndmask_b32_e64 v4, v4, v5, s[30:31]
	v_add_u32_e32 v4, s80, v4
	ds_write_b32 v32, v4
; %bb.392:                              ;   in Loop: Header=BB1433_12 Depth=1
	s_or_b64 exec, exec, s[34:35]
	s_load_dwordx2 s[34:35], s[56:57], 0x0
	v_and_b32_e32 v13, 63, v74
	v_lshlrev_b32_e32 v14, 3, v13
	v_or_b32_e32 v84, v13, v48
	v_lshlrev_b32_e32 v15, 2, v13
	s_waitcnt lgkmcnt(0)
	s_cmp_lt_u32 s33, s35
	s_cselect_b32 s35, 14, 20
	s_add_u32 s36, s56, s35
	s_addc_u32 s37, s57, 0
	s_cmp_lt_u32 s6, s34
	s_cselect_b32 s34, 12, 18
	s_add_u32 s34, s56, s34
	global_load_ushort v4, v3, s[36:37]
	s_addc_u32 s35, s57, 0
	global_load_ushort v12, v3, s[34:35]
	v_add_co_u32_e32 v87, vcc, v63, v14
	v_addc_co_u32_e32 v89, vcc, 0, v64, vcc
	v_add_co_u32_e32 v98, vcc, v65, v15
	v_cmp_eq_u32_e64 s[34:35], 0, v78
	v_cmp_lt_u32_e64 s[36:37], 1, v78
	s_mov_b32 s70, s79
	v_or_b32_e32 v91, 64, v84
	v_or_b32_e32 v92, 0x80, v84
	;; [unrolled: 1-line block ×7, first 2 shown]
	v_addc_co_u32_e32 v99, vcc, 0, v66, vcc
	s_mov_b32 s58, s80
                                        ; implicit-def: $vgpr5_vgpr6
                                        ; implicit-def: $vgpr7_vgpr8
                                        ; implicit-def: $vgpr9_vgpr10
                                        ; implicit-def: $vgpr20_vgpr21
                                        ; implicit-def: $vgpr22_vgpr23
                                        ; implicit-def: $vgpr24_vgpr25
                                        ; implicit-def: $vgpr26_vgpr27
                                        ; implicit-def: $vgpr28_vgpr29
                                        ; implicit-def: $vgpr80
                                        ; implicit-def: $vgpr81
                                        ; implicit-def: $vgpr82
                                        ; implicit-def: $vgpr83
                                        ; implicit-def: $vgpr85
                                        ; implicit-def: $vgpr86
                                        ; implicit-def: $vgpr88
                                        ; implicit-def: $vgpr90
	s_waitcnt vmcnt(1)
	v_mad_u32_u24 v4, v2, v4, v1
	s_waitcnt vmcnt(0)
	v_mad_u64_u32 v[12:13], s[38:39], v4, v12, v[0:1]
	v_lshrrev_b32_e32 v4, 4, v12
	v_and_b32_e32 v100, 0xffffffc, v4
	s_branch .LBB1433_394
.LBB1433_393:                           ;   in Loop: Header=BB1433_394 Depth=2
	s_or_b64 exec, exec, s[38:39]
	s_addk_i32 s70, 0xf800
	s_cmp_lt_u32 s71, s81
	s_mov_b32 s58, s71
	s_cbranch_scc0 .LBB1433_506
.LBB1433_394:                           ;   Parent Loop BB1433_12 Depth=1
                                        ; =>  This Inner Loop Header: Depth=2
	s_add_i32 s71, s58, 0x800
	s_cmp_gt_u32 s71, s81
	s_cbranch_scc1 .LBB1433_396
; %bb.395:                              ;   in Loop: Header=BB1433_394 Depth=2
	s_lshl_b64 s[38:39], s[58:59], 2
	v_mov_b32_e32 v4, s39
	v_add_co_u32_e32 v18, vcc, s38, v98
	v_addc_co_u32_e32 v19, vcc, v99, v4, vcc
	global_load_dword v12, v[18:19], off
	global_load_dword v13, v[18:19], off offset:256
	global_load_dword v14, v[18:19], off offset:512
	;; [unrolled: 1-line block ×5, first 2 shown]
	s_nop 0
	global_load_dword v18, v[18:19], off offset:1536
	s_mov_b64 s[38:39], -1
	s_movk_i32 s42, 0x800
	s_cbranch_execz .LBB1433_397
	s_branch .LBB1433_406
.LBB1433_396:                           ;   in Loop: Header=BB1433_394 Depth=2
	s_mov_b64 s[38:39], 0
                                        ; implicit-def: $vgpr12_vgpr13_vgpr14_vgpr15_vgpr16_vgpr17_vgpr18_vgpr19
	s_movk_i32 s42, 0x800
.LBB1433_397:                           ;   in Loop: Header=BB1433_394 Depth=2
	s_lshl_b64 s[38:39], s[58:59], 2
	v_mov_b32_e32 v4, s39
	v_add_co_u32_e32 v30, vcc, s38, v98
	s_waitcnt vmcnt(6)
	v_mov_b32_e32 v12, v11
	s_waitcnt vmcnt(5)
	v_mov_b32_e32 v13, v11
	;; [unrolled: 2-line block ×7, first 2 shown]
	v_addc_co_u32_e32 v31, vcc, v99, v4, vcc
	v_mov_b32_e32 v19, v18
	v_cmp_gt_u32_e32 vcc, s70, v84
	v_mov_b32_e32 v18, v17
	v_mov_b32_e32 v17, v16
	;; [unrolled: 1-line block ×7, first 2 shown]
	s_and_saveexec_b64 s[38:39], vcc
	s_cbranch_execnz .LBB1433_500
; %bb.398:                              ;   in Loop: Header=BB1433_394 Depth=2
	s_or_b64 exec, exec, s[38:39]
	v_cmp_gt_u32_e32 vcc, s70, v91
	s_and_saveexec_b64 s[38:39], vcc
	s_cbranch_execnz .LBB1433_501
.LBB1433_399:                           ;   in Loop: Header=BB1433_394 Depth=2
	s_or_b64 exec, exec, s[38:39]
	v_cmp_gt_u32_e32 vcc, s70, v92
	s_and_saveexec_b64 s[38:39], vcc
	s_cbranch_execnz .LBB1433_502
.LBB1433_400:                           ;   in Loop: Header=BB1433_394 Depth=2
	s_or_b64 exec, exec, s[38:39]
	v_cmp_gt_u32_e32 vcc, s70, v93
	s_and_saveexec_b64 s[38:39], vcc
	s_cbranch_execnz .LBB1433_503
.LBB1433_401:                           ;   in Loop: Header=BB1433_394 Depth=2
	s_or_b64 exec, exec, s[38:39]
	v_cmp_gt_u32_e32 vcc, s70, v94
	s_and_saveexec_b64 s[38:39], vcc
	s_cbranch_execnz .LBB1433_504
.LBB1433_402:                           ;   in Loop: Header=BB1433_394 Depth=2
	s_or_b64 exec, exec, s[38:39]
	v_cmp_gt_u32_e32 vcc, s70, v95
	s_and_saveexec_b64 s[38:39], vcc
	s_cbranch_execnz .LBB1433_505
.LBB1433_403:                           ;   in Loop: Header=BB1433_394 Depth=2
	s_or_b64 exec, exec, s[38:39]
	v_cmp_gt_u32_e32 vcc, s70, v96
	s_and_saveexec_b64 s[38:39], vcc
	s_cbranch_execz .LBB1433_405
.LBB1433_404:                           ;   in Loop: Header=BB1433_394 Depth=2
	global_load_dword v18, v[30:31], off offset:1536
.LBB1433_405:                           ;   in Loop: Header=BB1433_394 Depth=2
	s_or_b64 exec, exec, s[38:39]
	s_sub_i32 s42, s81, s58
	v_cmp_gt_u32_e64 s[38:39], s70, v97
.LBB1433_406:                           ;   in Loop: Header=BB1433_394 Depth=2
	v_mov_b32_e32 v101, s70
	s_and_saveexec_b64 s[40:41], s[38:39]
	s_cbranch_execz .LBB1433_408
; %bb.407:                              ;   in Loop: Header=BB1433_394 Depth=2
	s_lshl_b64 s[38:39], s[58:59], 2
	v_mov_b32_e32 v4, s39
	v_add_co_u32_e32 v30, vcc, s38, v98
	v_addc_co_u32_e32 v31, vcc, v99, v4, vcc
	global_load_dword v19, v[30:31], off offset:1792
	v_mov_b32_e32 v101, s42
.LBB1433_408:                           ;   in Loop: Header=BB1433_394 Depth=2
	s_or_b64 exec, exec, s[40:41]
	s_waitcnt vmcnt(0)
	v_cmp_lt_i32_e32 vcc, -1, v12
	v_cndmask_b32_e32 v4, -1, v73, vcc
	v_xor_b32_e32 v102, v4, v12
	v_cmp_ne_u32_e32 vcc, s7, v102
	v_cndmask_b32_e32 v4, v73, v102, vcc
	v_lshrrev_b32_e32 v4, s77, v4
	v_and_b32_e32 v12, s63, v4
	v_and_b32_e32 v4, 1, v12
	v_add_co_u32_e32 v30, vcc, -1, v4
	v_addc_co_u32_e64 v31, s[38:39], 0, -1, vcc
	v_cmp_ne_u32_e32 vcc, 0, v4
	v_xor_b32_e32 v4, vcc_hi, v31
	v_and_b32_e32 v31, exec_hi, v4
	v_lshlrev_b32_e32 v4, 30, v12
	v_xor_b32_e32 v30, vcc_lo, v30
	v_cmp_gt_i64_e32 vcc, 0, v[3:4]
	v_not_b32_e32 v4, v4
	v_ashrrev_i32_e32 v4, 31, v4
	v_and_b32_e32 v30, exec_lo, v30
	v_xor_b32_e32 v105, vcc_hi, v4
	v_xor_b32_e32 v4, vcc_lo, v4
	v_and_b32_e32 v30, v30, v4
	v_lshlrev_b32_e32 v4, 29, v12
	v_cmp_gt_i64_e32 vcc, 0, v[3:4]
	v_not_b32_e32 v4, v4
	v_ashrrev_i32_e32 v4, 31, v4
	v_and_b32_e32 v31, v31, v105
	v_xor_b32_e32 v105, vcc_hi, v4
	v_xor_b32_e32 v4, vcc_lo, v4
	v_and_b32_e32 v30, v30, v4
	v_lshlrev_b32_e32 v4, 28, v12
	v_cmp_gt_i64_e32 vcc, 0, v[3:4]
	v_not_b32_e32 v4, v4
	v_ashrrev_i32_e32 v4, 31, v4
	v_and_b32_e32 v31, v31, v105
	;; [unrolled: 8-line block ×5, first 2 shown]
	v_xor_b32_e32 v105, vcc_hi, v4
	v_xor_b32_e32 v4, vcc_lo, v4
	v_and_b32_e32 v30, v30, v4
	v_lshlrev_b32_e32 v4, 24, v12
	v_cmp_gt_i64_e32 vcc, 0, v[3:4]
	v_not_b32_e32 v4, v4
	v_ashrrev_i32_e32 v4, 31, v4
	v_mul_u32_u24_e32 v106, 20, v12
	v_xor_b32_e32 v12, vcc_hi, v4
	v_xor_b32_e32 v4, vcc_lo, v4
	v_and_b32_e32 v31, v31, v105
	v_and_b32_e32 v30, v30, v4
	;; [unrolled: 1-line block ×3, first 2 shown]
	v_mbcnt_lo_u32_b32 v4, v30, 0
	v_mbcnt_hi_u32_b32 v105, v31, v4
	v_cmp_ne_u64_e32 vcc, 0, v[30:31]
	v_cmp_eq_u32_e64 s[38:39], 0, v105
	v_add_u32_e32 v104, 0x410, v49
	v_add_u32_e32 v103, 0x418, v49
	s_and_b64 s[40:41], vcc, s[38:39]
	v_add_u32_e32 v106, v100, v106
	ds_write2_b32 v104, v3, v3 offset1:1
	ds_write2_b32 v103, v3, v3 offset1:1
	ds_write_b32 v49, v3 offset:1056
	s_waitcnt lgkmcnt(0)
	s_barrier
	; wave barrier
	s_and_saveexec_b64 s[38:39], s[40:41]
; %bb.409:                              ;   in Loop: Header=BB1433_394 Depth=2
	v_bcnt_u32_b32 v4, v30, 0
	v_bcnt_u32_b32 v4, v31, v4
	ds_write_b32 v106, v4 offset:1040
; %bb.410:                              ;   in Loop: Header=BB1433_394 Depth=2
	s_or_b64 exec, exec, s[38:39]
	v_cmp_lt_i32_e32 vcc, -1, v13
	v_cndmask_b32_e32 v4, -1, v73, vcc
	v_xor_b32_e32 v30, v4, v13
	v_cmp_ne_u32_e32 vcc, s7, v30
	v_cndmask_b32_e32 v4, v73, v30, vcc
	v_lshrrev_b32_e32 v4, s77, v4
	v_and_b32_e32 v12, s63, v4
	v_mad_u32_u24 v4, v12, 20, v100
	; wave barrier
	ds_read_b32 v31, v4 offset:1040
	v_and_b32_e32 v4, 1, v12
	v_add_co_u32_e32 v13, vcc, -1, v4
	v_addc_co_u32_e64 v107, s[38:39], 0, -1, vcc
	v_cmp_ne_u32_e32 vcc, 0, v4
	v_xor_b32_e32 v4, vcc_hi, v107
	v_and_b32_e32 v107, exec_hi, v4
	v_lshlrev_b32_e32 v4, 30, v12
	v_xor_b32_e32 v13, vcc_lo, v13
	v_cmp_gt_i64_e32 vcc, 0, v[3:4]
	v_not_b32_e32 v4, v4
	v_ashrrev_i32_e32 v4, 31, v4
	v_and_b32_e32 v13, exec_lo, v13
	v_xor_b32_e32 v109, vcc_hi, v4
	v_xor_b32_e32 v4, vcc_lo, v4
	v_and_b32_e32 v13, v13, v4
	v_lshlrev_b32_e32 v4, 29, v12
	v_cmp_gt_i64_e32 vcc, 0, v[3:4]
	v_not_b32_e32 v4, v4
	v_ashrrev_i32_e32 v4, 31, v4
	v_and_b32_e32 v107, v107, v109
	v_xor_b32_e32 v109, vcc_hi, v4
	v_xor_b32_e32 v4, vcc_lo, v4
	v_and_b32_e32 v13, v13, v4
	v_lshlrev_b32_e32 v4, 28, v12
	v_cmp_gt_i64_e32 vcc, 0, v[3:4]
	v_not_b32_e32 v4, v4
	v_ashrrev_i32_e32 v4, 31, v4
	v_and_b32_e32 v107, v107, v109
	;; [unrolled: 8-line block ×5, first 2 shown]
	v_xor_b32_e32 v109, vcc_hi, v4
	v_xor_b32_e32 v4, vcc_lo, v4
	v_and_b32_e32 v107, v107, v109
	v_and_b32_e32 v109, v13, v4
	v_lshlrev_b32_e32 v4, 24, v12
	v_cmp_gt_i64_e32 vcc, 0, v[3:4]
	v_not_b32_e32 v4, v4
	v_ashrrev_i32_e32 v4, 31, v4
	v_mul_u32_u24_e32 v108, 20, v12
	v_xor_b32_e32 v12, vcc_hi, v4
	v_xor_b32_e32 v4, vcc_lo, v4
	v_and_b32_e32 v13, v107, v12
	v_and_b32_e32 v12, v109, v4
	v_mbcnt_lo_u32_b32 v4, v12, 0
	v_mbcnt_hi_u32_b32 v107, v13, v4
	v_cmp_ne_u64_e32 vcc, 0, v[12:13]
	v_cmp_eq_u32_e64 s[38:39], 0, v107
	s_and_b64 s[40:41], vcc, s[38:39]
	v_add_u32_e32 v110, v100, v108
	; wave barrier
	s_and_saveexec_b64 s[38:39], s[40:41]
	s_cbranch_execz .LBB1433_412
; %bb.411:                              ;   in Loop: Header=BB1433_394 Depth=2
	v_bcnt_u32_b32 v4, v12, 0
	v_bcnt_u32_b32 v4, v13, v4
	s_waitcnt lgkmcnt(0)
	v_add_u32_e32 v4, v31, v4
	ds_write_b32 v110, v4 offset:1040
.LBB1433_412:                           ;   in Loop: Header=BB1433_394 Depth=2
	s_or_b64 exec, exec, s[38:39]
	v_cmp_lt_i32_e32 vcc, -1, v14
	v_cndmask_b32_e32 v4, -1, v73, vcc
	v_xor_b32_e32 v108, v4, v14
	v_cmp_ne_u32_e32 vcc, s7, v108
	v_cndmask_b32_e32 v4, v73, v108, vcc
	v_lshrrev_b32_e32 v4, s77, v4
	v_and_b32_e32 v12, s63, v4
	v_mad_u32_u24 v4, v12, 20, v100
	; wave barrier
	ds_read_b32 v109, v4 offset:1040
	v_and_b32_e32 v4, 1, v12
	v_add_co_u32_e32 v13, vcc, -1, v4
	v_addc_co_u32_e64 v111, s[38:39], 0, -1, vcc
	v_cmp_ne_u32_e32 vcc, 0, v4
	v_xor_b32_e32 v4, vcc_hi, v111
	v_and_b32_e32 v111, exec_hi, v4
	v_lshlrev_b32_e32 v4, 30, v12
	v_xor_b32_e32 v13, vcc_lo, v13
	v_cmp_gt_i64_e32 vcc, 0, v[3:4]
	v_not_b32_e32 v4, v4
	v_ashrrev_i32_e32 v4, 31, v4
	v_and_b32_e32 v13, exec_lo, v13
	v_xor_b32_e32 v112, vcc_hi, v4
	v_xor_b32_e32 v4, vcc_lo, v4
	v_and_b32_e32 v13, v13, v4
	v_lshlrev_b32_e32 v4, 29, v12
	v_cmp_gt_i64_e32 vcc, 0, v[3:4]
	v_not_b32_e32 v4, v4
	v_ashrrev_i32_e32 v4, 31, v4
	v_and_b32_e32 v111, v111, v112
	v_xor_b32_e32 v112, vcc_hi, v4
	v_xor_b32_e32 v4, vcc_lo, v4
	v_and_b32_e32 v13, v13, v4
	v_lshlrev_b32_e32 v4, 28, v12
	v_cmp_gt_i64_e32 vcc, 0, v[3:4]
	v_not_b32_e32 v4, v4
	v_ashrrev_i32_e32 v4, 31, v4
	v_and_b32_e32 v111, v111, v112
	;; [unrolled: 8-line block ×5, first 2 shown]
	v_xor_b32_e32 v112, vcc_hi, v4
	v_xor_b32_e32 v4, vcc_lo, v4
	v_and_b32_e32 v111, v111, v112
	v_and_b32_e32 v112, v13, v4
	v_lshlrev_b32_e32 v4, 24, v12
	v_cmp_gt_i64_e32 vcc, 0, v[3:4]
	v_not_b32_e32 v4, v4
	v_ashrrev_i32_e32 v4, 31, v4
	v_mul_u32_u24_e32 v14, 20, v12
	v_xor_b32_e32 v12, vcc_hi, v4
	v_xor_b32_e32 v4, vcc_lo, v4
	v_and_b32_e32 v13, v111, v12
	v_and_b32_e32 v12, v112, v4
	v_mbcnt_lo_u32_b32 v4, v12, 0
	v_mbcnt_hi_u32_b32 v111, v13, v4
	v_cmp_ne_u64_e32 vcc, 0, v[12:13]
	v_cmp_eq_u32_e64 s[38:39], 0, v111
	s_and_b64 s[40:41], vcc, s[38:39]
	v_add_u32_e32 v114, v100, v14
	; wave barrier
	s_and_saveexec_b64 s[38:39], s[40:41]
	s_cbranch_execz .LBB1433_414
; %bb.413:                              ;   in Loop: Header=BB1433_394 Depth=2
	v_bcnt_u32_b32 v4, v12, 0
	v_bcnt_u32_b32 v4, v13, v4
	s_waitcnt lgkmcnt(0)
	v_add_u32_e32 v4, v109, v4
	ds_write_b32 v114, v4 offset:1040
.LBB1433_414:                           ;   in Loop: Header=BB1433_394 Depth=2
	s_or_b64 exec, exec, s[38:39]
	v_cmp_lt_i32_e32 vcc, -1, v15
	v_cndmask_b32_e32 v4, -1, v73, vcc
	v_xor_b32_e32 v112, v4, v15
	v_cmp_ne_u32_e32 vcc, s7, v112
	v_cndmask_b32_e32 v4, v73, v112, vcc
	v_lshrrev_b32_e32 v4, s77, v4
	v_and_b32_e32 v12, s63, v4
	v_mad_u32_u24 v4, v12, 20, v100
	; wave barrier
	ds_read_b32 v113, v4 offset:1040
	v_and_b32_e32 v4, 1, v12
	v_add_co_u32_e32 v13, vcc, -1, v4
	v_addc_co_u32_e64 v15, s[38:39], 0, -1, vcc
	v_cmp_ne_u32_e32 vcc, 0, v4
	v_xor_b32_e32 v4, vcc_hi, v15
	v_and_b32_e32 v15, exec_hi, v4
	v_lshlrev_b32_e32 v4, 30, v12
	v_xor_b32_e32 v13, vcc_lo, v13
	v_cmp_gt_i64_e32 vcc, 0, v[3:4]
	v_not_b32_e32 v4, v4
	v_ashrrev_i32_e32 v4, 31, v4
	v_and_b32_e32 v13, exec_lo, v13
	v_xor_b32_e32 v115, vcc_hi, v4
	v_xor_b32_e32 v4, vcc_lo, v4
	v_and_b32_e32 v13, v13, v4
	v_lshlrev_b32_e32 v4, 29, v12
	v_cmp_gt_i64_e32 vcc, 0, v[3:4]
	v_not_b32_e32 v4, v4
	v_ashrrev_i32_e32 v4, 31, v4
	v_and_b32_e32 v15, v15, v115
	v_xor_b32_e32 v115, vcc_hi, v4
	v_xor_b32_e32 v4, vcc_lo, v4
	v_and_b32_e32 v13, v13, v4
	v_lshlrev_b32_e32 v4, 28, v12
	v_cmp_gt_i64_e32 vcc, 0, v[3:4]
	v_not_b32_e32 v4, v4
	v_ashrrev_i32_e32 v4, 31, v4
	v_and_b32_e32 v15, v15, v115
	;; [unrolled: 8-line block ×5, first 2 shown]
	v_xor_b32_e32 v115, vcc_hi, v4
	v_xor_b32_e32 v4, vcc_lo, v4
	v_and_b32_e32 v15, v15, v115
	v_and_b32_e32 v115, v13, v4
	v_lshlrev_b32_e32 v4, 24, v12
	v_cmp_gt_i64_e32 vcc, 0, v[3:4]
	v_not_b32_e32 v4, v4
	v_ashrrev_i32_e32 v4, 31, v4
	v_mul_u32_u24_e32 v14, 20, v12
	v_xor_b32_e32 v12, vcc_hi, v4
	v_xor_b32_e32 v4, vcc_lo, v4
	v_and_b32_e32 v13, v15, v12
	v_and_b32_e32 v12, v115, v4
	v_mbcnt_lo_u32_b32 v4, v12, 0
	v_mbcnt_hi_u32_b32 v115, v13, v4
	v_cmp_ne_u64_e32 vcc, 0, v[12:13]
	v_cmp_eq_u32_e64 s[38:39], 0, v115
	s_and_b64 s[40:41], vcc, s[38:39]
	v_add_u32_e32 v117, v100, v14
	; wave barrier
	s_and_saveexec_b64 s[38:39], s[40:41]
	s_cbranch_execz .LBB1433_416
; %bb.415:                              ;   in Loop: Header=BB1433_394 Depth=2
	v_bcnt_u32_b32 v4, v12, 0
	v_bcnt_u32_b32 v4, v13, v4
	s_waitcnt lgkmcnt(0)
	v_add_u32_e32 v4, v113, v4
	ds_write_b32 v117, v4 offset:1040
.LBB1433_416:                           ;   in Loop: Header=BB1433_394 Depth=2
	s_or_b64 exec, exec, s[38:39]
	v_cmp_lt_i32_e32 vcc, -1, v16
	v_cndmask_b32_e32 v4, -1, v73, vcc
	v_xor_b32_e32 v116, v4, v16
	v_cmp_ne_u32_e32 vcc, s7, v116
	v_cndmask_b32_e32 v4, v73, v116, vcc
	v_lshrrev_b32_e32 v4, s77, v4
	v_and_b32_e32 v12, s63, v4
	v_mad_u32_u24 v4, v12, 20, v100
	; wave barrier
	ds_read_b32 v16, v4 offset:1040
	v_and_b32_e32 v4, 1, v12
	v_add_co_u32_e32 v13, vcc, -1, v4
	v_addc_co_u32_e64 v15, s[38:39], 0, -1, vcc
	v_cmp_ne_u32_e32 vcc, 0, v4
	v_xor_b32_e32 v4, vcc_hi, v15
	v_and_b32_e32 v15, exec_hi, v4
	v_lshlrev_b32_e32 v4, 30, v12
	v_xor_b32_e32 v13, vcc_lo, v13
	v_cmp_gt_i64_e32 vcc, 0, v[3:4]
	v_not_b32_e32 v4, v4
	v_ashrrev_i32_e32 v4, 31, v4
	v_and_b32_e32 v13, exec_lo, v13
	v_xor_b32_e32 v118, vcc_hi, v4
	v_xor_b32_e32 v4, vcc_lo, v4
	v_and_b32_e32 v13, v13, v4
	v_lshlrev_b32_e32 v4, 29, v12
	v_cmp_gt_i64_e32 vcc, 0, v[3:4]
	v_not_b32_e32 v4, v4
	v_ashrrev_i32_e32 v4, 31, v4
	v_and_b32_e32 v15, v15, v118
	v_xor_b32_e32 v118, vcc_hi, v4
	v_xor_b32_e32 v4, vcc_lo, v4
	v_and_b32_e32 v13, v13, v4
	v_lshlrev_b32_e32 v4, 28, v12
	v_cmp_gt_i64_e32 vcc, 0, v[3:4]
	v_not_b32_e32 v4, v4
	v_ashrrev_i32_e32 v4, 31, v4
	v_and_b32_e32 v15, v15, v118
	;; [unrolled: 8-line block ×5, first 2 shown]
	v_xor_b32_e32 v118, vcc_hi, v4
	v_xor_b32_e32 v4, vcc_lo, v4
	v_and_b32_e32 v15, v15, v118
	v_and_b32_e32 v118, v13, v4
	v_lshlrev_b32_e32 v4, 24, v12
	v_cmp_gt_i64_e32 vcc, 0, v[3:4]
	v_not_b32_e32 v4, v4
	v_ashrrev_i32_e32 v4, 31, v4
	v_mul_u32_u24_e32 v14, 20, v12
	v_xor_b32_e32 v12, vcc_hi, v4
	v_xor_b32_e32 v4, vcc_lo, v4
	v_and_b32_e32 v13, v15, v12
	v_and_b32_e32 v12, v118, v4
	v_mbcnt_lo_u32_b32 v4, v12, 0
	v_mbcnt_hi_u32_b32 v118, v13, v4
	v_cmp_ne_u64_e32 vcc, 0, v[12:13]
	v_cmp_eq_u32_e64 s[38:39], 0, v118
	s_and_b64 s[40:41], vcc, s[38:39]
	v_add_u32_e32 v121, v100, v14
	; wave barrier
	s_and_saveexec_b64 s[38:39], s[40:41]
	s_cbranch_execz .LBB1433_418
; %bb.417:                              ;   in Loop: Header=BB1433_394 Depth=2
	v_bcnt_u32_b32 v4, v12, 0
	v_bcnt_u32_b32 v4, v13, v4
	s_waitcnt lgkmcnt(0)
	v_add_u32_e32 v4, v16, v4
	ds_write_b32 v121, v4 offset:1040
.LBB1433_418:                           ;   in Loop: Header=BB1433_394 Depth=2
	s_or_b64 exec, exec, s[38:39]
	v_cmp_lt_i32_e32 vcc, -1, v17
	v_cndmask_b32_e32 v4, -1, v73, vcc
	v_xor_b32_e32 v119, v4, v17
	v_cmp_ne_u32_e32 vcc, s7, v119
	v_cndmask_b32_e32 v4, v73, v119, vcc
	v_lshrrev_b32_e32 v4, s77, v4
	v_and_b32_e32 v12, s63, v4
	v_mad_u32_u24 v4, v12, 20, v100
	; wave barrier
	ds_read_b32 v120, v4 offset:1040
	v_and_b32_e32 v4, 1, v12
	v_add_co_u32_e32 v13, vcc, -1, v4
	v_addc_co_u32_e64 v15, s[38:39], 0, -1, vcc
	v_cmp_ne_u32_e32 vcc, 0, v4
	v_xor_b32_e32 v4, vcc_hi, v15
	v_and_b32_e32 v15, exec_hi, v4
	v_lshlrev_b32_e32 v4, 30, v12
	v_xor_b32_e32 v13, vcc_lo, v13
	v_cmp_gt_i64_e32 vcc, 0, v[3:4]
	v_not_b32_e32 v4, v4
	v_ashrrev_i32_e32 v4, 31, v4
	v_and_b32_e32 v13, exec_lo, v13
	v_xor_b32_e32 v17, vcc_hi, v4
	v_xor_b32_e32 v4, vcc_lo, v4
	v_and_b32_e32 v13, v13, v4
	v_lshlrev_b32_e32 v4, 29, v12
	v_cmp_gt_i64_e32 vcc, 0, v[3:4]
	v_not_b32_e32 v4, v4
	v_ashrrev_i32_e32 v4, 31, v4
	v_and_b32_e32 v15, v15, v17
	v_xor_b32_e32 v17, vcc_hi, v4
	v_xor_b32_e32 v4, vcc_lo, v4
	v_and_b32_e32 v13, v13, v4
	v_lshlrev_b32_e32 v4, 28, v12
	v_cmp_gt_i64_e32 vcc, 0, v[3:4]
	v_not_b32_e32 v4, v4
	v_ashrrev_i32_e32 v4, 31, v4
	v_and_b32_e32 v15, v15, v17
	;; [unrolled: 8-line block ×5, first 2 shown]
	v_xor_b32_e32 v17, vcc_hi, v4
	v_xor_b32_e32 v4, vcc_lo, v4
	v_and_b32_e32 v15, v15, v17
	v_and_b32_e32 v17, v13, v4
	v_lshlrev_b32_e32 v4, 24, v12
	v_cmp_gt_i64_e32 vcc, 0, v[3:4]
	v_not_b32_e32 v4, v4
	v_ashrrev_i32_e32 v4, 31, v4
	v_mul_u32_u24_e32 v14, 20, v12
	v_xor_b32_e32 v12, vcc_hi, v4
	v_xor_b32_e32 v4, vcc_lo, v4
	v_and_b32_e32 v13, v15, v12
	v_and_b32_e32 v12, v17, v4
	v_mbcnt_lo_u32_b32 v4, v12, 0
	v_mbcnt_hi_u32_b32 v122, v13, v4
	v_cmp_ne_u64_e32 vcc, 0, v[12:13]
	v_cmp_eq_u32_e64 s[38:39], 0, v122
	s_and_b64 s[40:41], vcc, s[38:39]
	v_add_u32_e32 v17, v100, v14
	; wave barrier
	s_and_saveexec_b64 s[38:39], s[40:41]
	s_cbranch_execz .LBB1433_420
; %bb.419:                              ;   in Loop: Header=BB1433_394 Depth=2
	v_bcnt_u32_b32 v4, v12, 0
	v_bcnt_u32_b32 v4, v13, v4
	s_waitcnt lgkmcnt(0)
	v_add_u32_e32 v4, v120, v4
	ds_write_b32 v17, v4 offset:1040
.LBB1433_420:                           ;   in Loop: Header=BB1433_394 Depth=2
	s_or_b64 exec, exec, s[38:39]
	v_cmp_lt_i32_e32 vcc, -1, v18
	v_cndmask_b32_e32 v4, -1, v73, vcc
	v_xor_b32_e32 v123, v4, v18
	v_cmp_ne_u32_e32 vcc, s7, v123
	v_cndmask_b32_e32 v4, v73, v123, vcc
	v_lshrrev_b32_e32 v4, s77, v4
	v_and_b32_e32 v12, s63, v4
	v_mad_u32_u24 v4, v12, 20, v100
	; wave barrier
	ds_read_b32 v124, v4 offset:1040
	v_and_b32_e32 v4, 1, v12
	v_add_co_u32_e32 v13, vcc, -1, v4
	v_addc_co_u32_e64 v15, s[38:39], 0, -1, vcc
	v_cmp_ne_u32_e32 vcc, 0, v4
	v_xor_b32_e32 v4, vcc_hi, v15
	v_and_b32_e32 v15, exec_hi, v4
	v_lshlrev_b32_e32 v4, 30, v12
	v_xor_b32_e32 v13, vcc_lo, v13
	v_cmp_gt_i64_e32 vcc, 0, v[3:4]
	v_not_b32_e32 v4, v4
	v_ashrrev_i32_e32 v4, 31, v4
	v_and_b32_e32 v13, exec_lo, v13
	v_xor_b32_e32 v18, vcc_hi, v4
	v_xor_b32_e32 v4, vcc_lo, v4
	v_and_b32_e32 v13, v13, v4
	v_lshlrev_b32_e32 v4, 29, v12
	v_cmp_gt_i64_e32 vcc, 0, v[3:4]
	v_not_b32_e32 v4, v4
	v_ashrrev_i32_e32 v4, 31, v4
	v_and_b32_e32 v15, v15, v18
	v_xor_b32_e32 v18, vcc_hi, v4
	v_xor_b32_e32 v4, vcc_lo, v4
	v_and_b32_e32 v13, v13, v4
	v_lshlrev_b32_e32 v4, 28, v12
	v_cmp_gt_i64_e32 vcc, 0, v[3:4]
	v_not_b32_e32 v4, v4
	v_ashrrev_i32_e32 v4, 31, v4
	v_and_b32_e32 v15, v15, v18
	;; [unrolled: 8-line block ×5, first 2 shown]
	v_xor_b32_e32 v18, vcc_hi, v4
	v_xor_b32_e32 v4, vcc_lo, v4
	v_and_b32_e32 v15, v15, v18
	v_and_b32_e32 v18, v13, v4
	v_lshlrev_b32_e32 v4, 24, v12
	v_cmp_gt_i64_e32 vcc, 0, v[3:4]
	v_not_b32_e32 v4, v4
	v_ashrrev_i32_e32 v4, 31, v4
	v_mul_u32_u24_e32 v14, 20, v12
	v_xor_b32_e32 v12, vcc_hi, v4
	v_xor_b32_e32 v4, vcc_lo, v4
	v_and_b32_e32 v13, v15, v12
	v_and_b32_e32 v12, v18, v4
	v_mbcnt_lo_u32_b32 v4, v12, 0
	v_mbcnt_hi_u32_b32 v125, v13, v4
	v_cmp_ne_u64_e32 vcc, 0, v[12:13]
	v_cmp_eq_u32_e64 s[38:39], 0, v125
	s_and_b64 s[40:41], vcc, s[38:39]
	v_add_u32_e32 v18, v100, v14
	; wave barrier
	s_and_saveexec_b64 s[38:39], s[40:41]
	s_cbranch_execz .LBB1433_422
; %bb.421:                              ;   in Loop: Header=BB1433_394 Depth=2
	v_bcnt_u32_b32 v4, v12, 0
	v_bcnt_u32_b32 v4, v13, v4
	s_waitcnt lgkmcnt(0)
	v_add_u32_e32 v4, v124, v4
	ds_write_b32 v18, v4 offset:1040
.LBB1433_422:                           ;   in Loop: Header=BB1433_394 Depth=2
	s_or_b64 exec, exec, s[38:39]
	v_cmp_lt_i32_e32 vcc, -1, v19
	v_cndmask_b32_e32 v4, -1, v73, vcc
	v_xor_b32_e32 v126, v4, v19
	v_cmp_ne_u32_e32 vcc, s7, v126
	v_cndmask_b32_e32 v4, v73, v126, vcc
	v_lshrrev_b32_e32 v4, s77, v4
	v_and_b32_e32 v12, s63, v4
	v_mad_u32_u24 v4, v12, 20, v100
	; wave barrier
	ds_read_b32 v127, v4 offset:1040
	v_and_b32_e32 v4, 1, v12
	v_add_co_u32_e32 v13, vcc, -1, v4
	v_addc_co_u32_e64 v15, s[38:39], 0, -1, vcc
	v_cmp_ne_u32_e32 vcc, 0, v4
	v_xor_b32_e32 v4, vcc_hi, v15
	v_and_b32_e32 v15, exec_hi, v4
	v_lshlrev_b32_e32 v4, 30, v12
	v_xor_b32_e32 v13, vcc_lo, v13
	v_cmp_gt_i64_e32 vcc, 0, v[3:4]
	v_not_b32_e32 v4, v4
	v_ashrrev_i32_e32 v4, 31, v4
	v_and_b32_e32 v13, exec_lo, v13
	v_xor_b32_e32 v19, vcc_hi, v4
	v_xor_b32_e32 v4, vcc_lo, v4
	v_and_b32_e32 v13, v13, v4
	v_lshlrev_b32_e32 v4, 29, v12
	v_cmp_gt_i64_e32 vcc, 0, v[3:4]
	v_not_b32_e32 v4, v4
	v_ashrrev_i32_e32 v4, 31, v4
	v_and_b32_e32 v15, v15, v19
	v_xor_b32_e32 v19, vcc_hi, v4
	v_xor_b32_e32 v4, vcc_lo, v4
	v_and_b32_e32 v13, v13, v4
	v_lshlrev_b32_e32 v4, 28, v12
	v_cmp_gt_i64_e32 vcc, 0, v[3:4]
	v_not_b32_e32 v4, v4
	v_ashrrev_i32_e32 v4, 31, v4
	v_and_b32_e32 v15, v15, v19
	;; [unrolled: 8-line block ×5, first 2 shown]
	v_xor_b32_e32 v19, vcc_hi, v4
	v_xor_b32_e32 v4, vcc_lo, v4
	v_and_b32_e32 v15, v15, v19
	v_and_b32_e32 v19, v13, v4
	v_lshlrev_b32_e32 v4, 24, v12
	v_cmp_gt_i64_e32 vcc, 0, v[3:4]
	v_not_b32_e32 v4, v4
	v_ashrrev_i32_e32 v4, 31, v4
	v_mul_u32_u24_e32 v14, 20, v12
	v_xor_b32_e32 v12, vcc_hi, v4
	v_xor_b32_e32 v4, vcc_lo, v4
	v_and_b32_e32 v13, v15, v12
	v_and_b32_e32 v12, v19, v4
	v_mbcnt_lo_u32_b32 v4, v12, 0
	v_mbcnt_hi_u32_b32 v128, v13, v4
	v_cmp_ne_u64_e32 vcc, 0, v[12:13]
	v_cmp_eq_u32_e64 s[38:39], 0, v128
	s_and_b64 s[40:41], vcc, s[38:39]
	v_add_u32_e32 v4, v100, v14
	; wave barrier
	s_and_saveexec_b64 s[38:39], s[40:41]
	s_cbranch_execz .LBB1433_424
; %bb.423:                              ;   in Loop: Header=BB1433_394 Depth=2
	v_bcnt_u32_b32 v12, v12, 0
	v_bcnt_u32_b32 v12, v13, v12
	s_waitcnt lgkmcnt(0)
	v_add_u32_e32 v12, v127, v12
	ds_write_b32 v4, v12 offset:1040
.LBB1433_424:                           ;   in Loop: Header=BB1433_394 Depth=2
	s_or_b64 exec, exec, s[38:39]
	; wave barrier
	s_waitcnt lgkmcnt(0)
	s_barrier
	ds_read2_b32 v[14:15], v104 offset1:1
	ds_read2_b32 v[12:13], v103 offset1:1
	ds_read_b32 v19, v49 offset:1056
	s_waitcnt lgkmcnt(1)
	v_add3_u32 v129, v15, v14, v12
	s_waitcnt lgkmcnt(0)
	v_add3_u32 v19, v129, v13, v19
	s_nop 1
	v_mov_b32_dpp v129, v19 row_shr:1 row_mask:0xf bank_mask:0xf
	v_cndmask_b32_e64 v129, v129, 0, s[18:19]
	v_add_u32_e32 v19, v129, v19
	s_nop 1
	v_mov_b32_dpp v129, v19 row_shr:2 row_mask:0xf bank_mask:0xf
	v_cndmask_b32_e64 v129, 0, v129, s[20:21]
	v_add_u32_e32 v19, v19, v129
	;; [unrolled: 4-line block ×4, first 2 shown]
	s_nop 1
	v_mov_b32_dpp v129, v19 row_bcast:15 row_mask:0xf bank_mask:0xf
	v_cndmask_b32_e64 v129, v129, 0, s[26:27]
	v_add_u32_e32 v19, v19, v129
	s_nop 1
	v_mov_b32_dpp v129, v19 row_bcast:31 row_mask:0xf bank_mask:0xf
	v_cndmask_b32_e64 v129, 0, v129, s[28:29]
	v_add_u32_e32 v19, v19, v129
	s_and_saveexec_b64 s[38:39], s[8:9]
; %bb.425:                              ;   in Loop: Header=BB1433_394 Depth=2
	ds_write_b32 v44, v19 offset:1024
; %bb.426:                              ;   in Loop: Header=BB1433_394 Depth=2
	s_or_b64 exec, exec, s[38:39]
	s_waitcnt lgkmcnt(0)
	s_barrier
	s_and_saveexec_b64 s[38:39], s[10:11]
	s_cbranch_execz .LBB1433_428
; %bb.427:                              ;   in Loop: Header=BB1433_394 Depth=2
	ds_read_b32 v129, v50 offset:1024
	s_waitcnt lgkmcnt(0)
	s_nop 0
	v_mov_b32_dpp v130, v129 row_shr:1 row_mask:0xf bank_mask:0xf
	v_cndmask_b32_e64 v130, v130, 0, s[34:35]
	v_add_u32_e32 v129, v130, v129
	s_nop 1
	v_mov_b32_dpp v130, v129 row_shr:2 row_mask:0xf bank_mask:0xf
	v_cndmask_b32_e64 v130, 0, v130, s[36:37]
	v_add_u32_e32 v129, v129, v130
	ds_write_b32 v50, v129 offset:1024
.LBB1433_428:                           ;   in Loop: Header=BB1433_394 Depth=2
	s_or_b64 exec, exec, s[38:39]
	v_mov_b32_e32 v129, 0
	s_waitcnt lgkmcnt(0)
	s_barrier
	s_and_saveexec_b64 s[38:39], s[12:13]
; %bb.429:                              ;   in Loop: Header=BB1433_394 Depth=2
	ds_read_b32 v129, v44 offset:1020
; %bb.430:                              ;   in Loop: Header=BB1433_394 Depth=2
	s_or_b64 exec, exec, s[38:39]
	s_waitcnt lgkmcnt(0)
	v_add_u32_e32 v19, v129, v19
	ds_bpermute_b32 v19, v79, v19
	s_waitcnt lgkmcnt(0)
	v_cndmask_b32_e64 v19, v19, v129, s[30:31]
	v_cndmask_b32_e64 v19, v19, 0, s[14:15]
	v_add_u32_e32 v14, v19, v14
	v_add_u32_e32 v15, v14, v15
	;; [unrolled: 1-line block ×4, first 2 shown]
	ds_write2_b32 v104, v19, v14 offset1:1
	ds_write2_b32 v103, v15, v12 offset1:1
	ds_write_b32 v49, v13 offset:1056
	s_waitcnt lgkmcnt(0)
	s_barrier
	ds_read_b32 v12, v106 offset:1040
	ds_read_b32 v13, v110 offset:1040
	;; [unrolled: 1-line block ×9, first 2 shown]
	v_mov_b32_e32 v4, 0x800
	s_and_saveexec_b64 s[38:39], s[16:17]
; %bb.431:                              ;   in Loop: Header=BB1433_394 Depth=2
	ds_read_b32 v4, v49 offset:1060
; %bb.432:                              ;   in Loop: Header=BB1433_394 Depth=2
	s_or_b64 exec, exec, s[38:39]
	s_waitcnt lgkmcnt(0)
	s_barrier
	s_and_saveexec_b64 s[38:39], s[4:5]
	s_cbranch_execz .LBB1433_434
; %bb.433:                              ;   in Loop: Header=BB1433_394 Depth=2
	ds_read_b32 v18, v32
	s_waitcnt lgkmcnt(0)
	v_sub_u32_e32 v17, v18, v17
	ds_write_b32 v32, v17
.LBB1433_434:                           ;   in Loop: Header=BB1433_394 Depth=2
	s_or_b64 exec, exec, s[38:39]
	v_add_u32_e32 v103, v12, v105
	v_add3_u32 v31, v107, v31, v13
	v_lshlrev_b32_e32 v12, 2, v103
	v_add3_u32 v19, v111, v109, v14
	ds_write_b32 v12, v102 offset:1024
	v_lshlrev_b32_e32 v12, 2, v31
	v_add3_u32 v18, v115, v113, v15
	ds_write_b32 v12, v30 offset:1024
	;; [unrolled: 3-line block ×6, first 2 shown]
	v_lshlrev_b32_e32 v12, 2, v15
	ds_write_b32 v12, v123 offset:1024
	v_lshlrev_b32_e32 v12, 2, v14
	v_cmp_lt_u32_e32 vcc, v0, v101
	ds_write_b32 v12, v126 offset:1024
	s_waitcnt lgkmcnt(0)
	s_barrier
	s_and_saveexec_b64 s[40:41], vcc
	s_cbranch_execnz .LBB1433_471
; %bb.435:                              ;   in Loop: Header=BB1433_394 Depth=2
	s_or_b64 exec, exec, s[40:41]
	v_cmp_lt_u32_e64 s[38:39], v33, v101
	s_and_saveexec_b64 s[42:43], s[38:39]
	s_cbranch_execnz .LBB1433_472
.LBB1433_436:                           ;   in Loop: Header=BB1433_394 Depth=2
	s_or_b64 exec, exec, s[42:43]
	v_cmp_lt_u32_e64 s[40:41], v34, v101
	s_and_saveexec_b64 s[44:45], s[40:41]
	s_cbranch_execnz .LBB1433_473
.LBB1433_437:                           ;   in Loop: Header=BB1433_394 Depth=2
	s_or_b64 exec, exec, s[44:45]
	v_cmp_lt_u32_e64 s[42:43], v35, v101
	s_and_saveexec_b64 s[46:47], s[42:43]
	s_cbranch_execnz .LBB1433_474
.LBB1433_438:                           ;   in Loop: Header=BB1433_394 Depth=2
	s_or_b64 exec, exec, s[46:47]
	v_cmp_lt_u32_e64 s[44:45], v38, v101
	s_and_saveexec_b64 s[48:49], s[44:45]
	s_cbranch_execnz .LBB1433_475
.LBB1433_439:                           ;   in Loop: Header=BB1433_394 Depth=2
	s_or_b64 exec, exec, s[48:49]
	v_cmp_lt_u32_e64 s[46:47], v39, v101
	s_and_saveexec_b64 s[50:51], s[46:47]
	s_cbranch_execnz .LBB1433_476
.LBB1433_440:                           ;   in Loop: Header=BB1433_394 Depth=2
	s_or_b64 exec, exec, s[50:51]
	v_cmp_lt_u32_e64 s[48:49], v40, v101
	s_and_saveexec_b64 s[52:53], s[48:49]
	s_cbranch_execnz .LBB1433_477
.LBB1433_441:                           ;   in Loop: Header=BB1433_394 Depth=2
	s_or_b64 exec, exec, s[52:53]
	v_cmp_lt_u32_e64 s[50:51], v41, v101
	s_and_saveexec_b64 s[60:61], s[50:51]
	s_cbranch_execz .LBB1433_443
.LBB1433_442:                           ;   in Loop: Header=BB1433_394 Depth=2
	ds_read_b32 v12, v50 offset:8192
	v_mov_b32_e32 v13, v3
	v_mov_b32_e32 v102, s67
	s_waitcnt lgkmcnt(0)
	v_cmp_ne_u32_e64 s[52:53], s7, v12
	v_cndmask_b32_e64 v30, v73, v12, s[52:53]
	v_lshrrev_b32_e32 v30, s77, v30
	v_and_b32_e32 v30, s63, v30
	v_lshlrev_b32_e32 v30, 2, v30
	ds_read_b32 v30, v30
	v_cmp_lt_i32_e64 s[52:53], -1, v12
	v_cndmask_b32_e64 v104, v73, -1, s[52:53]
	v_xor_b32_e32 v104, v104, v12
	s_waitcnt lgkmcnt(0)
	v_add_u32_e32 v12, v30, v41
	v_lshlrev_b64 v[12:13], 2, v[12:13]
	v_add_co_u32_e64 v12, s[52:53], s66, v12
	v_addc_co_u32_e64 v13, s[52:53], v102, v13, s[52:53]
	global_store_dword v[12:13], v104, off
.LBB1433_443:                           ;   in Loop: Header=BB1433_394 Depth=2
	s_or_b64 exec, exec, s[60:61]
	s_lshl_b64 s[52:53], s[58:59], 3
	v_mov_b32_e32 v13, s53
	v_add_co_u32_e64 v12, s[52:53], s52, v87
	v_addc_co_u32_e64 v13, s[52:53], v89, v13, s[52:53]
	v_cmp_lt_u32_e64 s[52:53], v84, v101
	s_and_saveexec_b64 s[60:61], s[52:53]
	s_xor_b64 s[52:53], exec, s[60:61]
	s_cbranch_execnz .LBB1433_478
; %bb.444:                              ;   in Loop: Header=BB1433_394 Depth=2
	s_or_b64 exec, exec, s[52:53]
	v_cmp_lt_u32_e64 s[52:53], v91, v101
	s_and_saveexec_b64 s[60:61], s[52:53]
	s_cbranch_execnz .LBB1433_479
.LBB1433_445:                           ;   in Loop: Header=BB1433_394 Depth=2
	s_or_b64 exec, exec, s[60:61]
	v_cmp_lt_u32_e64 s[52:53], v92, v101
	s_and_saveexec_b64 s[60:61], s[52:53]
	s_cbranch_execnz .LBB1433_480
.LBB1433_446:                           ;   in Loop: Header=BB1433_394 Depth=2
	s_or_b64 exec, exec, s[60:61]
	v_cmp_lt_u32_e64 s[52:53], v93, v101
	s_and_saveexec_b64 s[60:61], s[52:53]
	s_cbranch_execnz .LBB1433_481
.LBB1433_447:                           ;   in Loop: Header=BB1433_394 Depth=2
	s_or_b64 exec, exec, s[60:61]
	v_cmp_lt_u32_e64 s[52:53], v94, v101
	s_and_saveexec_b64 s[60:61], s[52:53]
	s_cbranch_execnz .LBB1433_482
.LBB1433_448:                           ;   in Loop: Header=BB1433_394 Depth=2
	s_or_b64 exec, exec, s[60:61]
	v_cmp_lt_u32_e64 s[52:53], v95, v101
	s_and_saveexec_b64 s[60:61], s[52:53]
	s_cbranch_execnz .LBB1433_483
.LBB1433_449:                           ;   in Loop: Header=BB1433_394 Depth=2
	s_or_b64 exec, exec, s[60:61]
	v_cmp_lt_u32_e64 s[52:53], v96, v101
	s_and_saveexec_b64 s[60:61], s[52:53]
	s_cbranch_execnz .LBB1433_484
.LBB1433_450:                           ;   in Loop: Header=BB1433_394 Depth=2
	s_or_b64 exec, exec, s[60:61]
	v_cmp_lt_u32_e64 s[52:53], v97, v101
	s_and_saveexec_b64 s[60:61], s[52:53]
	s_cbranch_execnz .LBB1433_485
.LBB1433_451:                           ;   in Loop: Header=BB1433_394 Depth=2
	s_or_b64 exec, exec, s[60:61]
	s_and_saveexec_b64 s[60:61], vcc
	s_cbranch_execnz .LBB1433_486
.LBB1433_452:                           ;   in Loop: Header=BB1433_394 Depth=2
	s_or_b64 exec, exec, s[60:61]
	s_and_saveexec_b64 s[60:61], s[38:39]
	s_cbranch_execnz .LBB1433_487
.LBB1433_453:                           ;   in Loop: Header=BB1433_394 Depth=2
	s_or_b64 exec, exec, s[60:61]
	s_and_saveexec_b64 s[60:61], s[40:41]
	s_cbranch_execnz .LBB1433_488
.LBB1433_454:                           ;   in Loop: Header=BB1433_394 Depth=2
	s_or_b64 exec, exec, s[60:61]
	s_and_saveexec_b64 s[60:61], s[42:43]
	s_cbranch_execnz .LBB1433_489
.LBB1433_455:                           ;   in Loop: Header=BB1433_394 Depth=2
	s_or_b64 exec, exec, s[60:61]
	s_and_saveexec_b64 s[60:61], s[44:45]
	s_cbranch_execnz .LBB1433_490
.LBB1433_456:                           ;   in Loop: Header=BB1433_394 Depth=2
	s_or_b64 exec, exec, s[60:61]
	s_and_saveexec_b64 s[60:61], s[46:47]
	s_cbranch_execnz .LBB1433_491
.LBB1433_457:                           ;   in Loop: Header=BB1433_394 Depth=2
	s_or_b64 exec, exec, s[60:61]
	s_and_saveexec_b64 s[60:61], s[48:49]
	s_cbranch_execnz .LBB1433_492
.LBB1433_458:                           ;   in Loop: Header=BB1433_394 Depth=2
	s_or_b64 exec, exec, s[60:61]
	s_and_saveexec_b64 s[60:61], s[50:51]
	s_cbranch_execz .LBB1433_460
.LBB1433_459:                           ;   in Loop: Header=BB1433_394 Depth=2
	ds_read_b32 v12, v50 offset:8192
	s_waitcnt lgkmcnt(0)
	v_cmp_ne_u32_e64 s[52:53], s7, v12
	v_cndmask_b32_e64 v12, v73, v12, s[52:53]
	v_lshrrev_b32_e32 v12, s77, v12
	v_and_b32_e32 v80, s63, v12
.LBB1433_460:                           ;   in Loop: Header=BB1433_394 Depth=2
	s_or_b64 exec, exec, s[60:61]
	v_lshlrev_b32_e32 v12, 3, v103
	s_waitcnt vmcnt(0)
	s_barrier
	ds_write_b64 v12, v[28:29] offset:1024
	v_lshlrev_b32_e32 v12, 3, v31
	ds_write_b64 v12, v[26:27] offset:1024
	v_lshlrev_b32_e32 v12, 3, v19
	;; [unrolled: 2-line block ×7, first 2 shown]
	ds_write_b64 v12, v[5:6] offset:1024
	s_waitcnt lgkmcnt(0)
	s_barrier
	s_and_saveexec_b64 s[52:53], vcc
	s_cbranch_execnz .LBB1433_493
; %bb.461:                              ;   in Loop: Header=BB1433_394 Depth=2
	s_or_b64 exec, exec, s[52:53]
	s_and_saveexec_b64 s[52:53], s[38:39]
	s_cbranch_execnz .LBB1433_494
.LBB1433_462:                           ;   in Loop: Header=BB1433_394 Depth=2
	s_or_b64 exec, exec, s[52:53]
	s_and_saveexec_b64 s[38:39], s[40:41]
	s_cbranch_execnz .LBB1433_495
.LBB1433_463:                           ;   in Loop: Header=BB1433_394 Depth=2
	s_or_b64 exec, exec, s[38:39]
	s_and_saveexec_b64 s[38:39], s[42:43]
	s_cbranch_execnz .LBB1433_496
.LBB1433_464:                           ;   in Loop: Header=BB1433_394 Depth=2
	s_or_b64 exec, exec, s[38:39]
	s_and_saveexec_b64 s[38:39], s[44:45]
	s_cbranch_execnz .LBB1433_497
.LBB1433_465:                           ;   in Loop: Header=BB1433_394 Depth=2
	s_or_b64 exec, exec, s[38:39]
	s_and_saveexec_b64 s[38:39], s[46:47]
	s_cbranch_execnz .LBB1433_498
.LBB1433_466:                           ;   in Loop: Header=BB1433_394 Depth=2
	s_or_b64 exec, exec, s[38:39]
	s_and_saveexec_b64 s[38:39], s[48:49]
	s_cbranch_execnz .LBB1433_499
.LBB1433_467:                           ;   in Loop: Header=BB1433_394 Depth=2
	s_or_b64 exec, exec, s[38:39]
	s_and_saveexec_b64 s[38:39], s[50:51]
	s_cbranch_execz .LBB1433_469
.LBB1433_468:                           ;   in Loop: Header=BB1433_394 Depth=2
	v_lshlrev_b32_e32 v12, 2, v80
	ds_read_b32 v14, v12
	v_add_u32_e32 v12, v50, v32
	ds_read_b64 v[12:13], v12 offset:15360
	v_mov_b32_e32 v15, v3
	v_mov_b32_e32 v16, s73
	s_waitcnt lgkmcnt(1)
	v_add_u32_e32 v14, v14, v41
	v_lshlrev_b64 v[14:15], 3, v[14:15]
	v_add_co_u32_e32 v14, vcc, s72, v14
	v_addc_co_u32_e32 v15, vcc, v16, v15, vcc
	s_waitcnt lgkmcnt(0)
	global_store_dwordx2 v[14:15], v[12:13], off
.LBB1433_469:                           ;   in Loop: Header=BB1433_394 Depth=2
	s_or_b64 exec, exec, s[38:39]
	s_waitcnt vmcnt(0)
	s_barrier
	s_and_saveexec_b64 s[38:39], s[4:5]
	s_cbranch_execz .LBB1433_393
; %bb.470:                              ;   in Loop: Header=BB1433_394 Depth=2
	ds_read_b32 v12, v32
	s_waitcnt lgkmcnt(0)
	v_add_u32_e32 v4, v12, v4
	ds_write_b32 v32, v4
	s_branch .LBB1433_393
.LBB1433_471:                           ;   in Loop: Header=BB1433_394 Depth=2
	ds_read_b32 v12, v50 offset:1024
	v_mov_b32_e32 v13, v3
	v_mov_b32_e32 v102, s67
	s_waitcnt lgkmcnt(0)
	v_cmp_ne_u32_e64 s[38:39], s7, v12
	v_cndmask_b32_e64 v30, v73, v12, s[38:39]
	v_lshrrev_b32_e32 v30, s77, v30
	v_and_b32_e32 v30, s63, v30
	v_lshlrev_b32_e32 v30, 2, v30
	ds_read_b32 v30, v30
	v_cmp_lt_i32_e64 s[38:39], -1, v12
	v_cndmask_b32_e64 v104, v73, -1, s[38:39]
	v_xor_b32_e32 v104, v104, v12
	s_waitcnt lgkmcnt(0)
	v_add_u32_e32 v12, v30, v0
	v_lshlrev_b64 v[12:13], 2, v[12:13]
	v_add_co_u32_e64 v12, s[38:39], s66, v12
	v_addc_co_u32_e64 v13, s[38:39], v102, v13, s[38:39]
	global_store_dword v[12:13], v104, off
	s_or_b64 exec, exec, s[40:41]
	v_cmp_lt_u32_e64 s[38:39], v33, v101
	s_and_saveexec_b64 s[42:43], s[38:39]
	s_cbranch_execz .LBB1433_436
.LBB1433_472:                           ;   in Loop: Header=BB1433_394 Depth=2
	ds_read_b32 v12, v50 offset:2048
	v_mov_b32_e32 v13, v3
	v_mov_b32_e32 v102, s67
	s_waitcnt lgkmcnt(0)
	v_cmp_ne_u32_e64 s[40:41], s7, v12
	v_cndmask_b32_e64 v30, v73, v12, s[40:41]
	v_lshrrev_b32_e32 v30, s77, v30
	v_and_b32_e32 v30, s63, v30
	v_lshlrev_b32_e32 v30, 2, v30
	ds_read_b32 v30, v30
	v_cmp_lt_i32_e64 s[40:41], -1, v12
	v_cndmask_b32_e64 v104, v73, -1, s[40:41]
	v_xor_b32_e32 v104, v104, v12
	s_waitcnt lgkmcnt(0)
	v_add_u32_e32 v12, v30, v33
	v_lshlrev_b64 v[12:13], 2, v[12:13]
	v_add_co_u32_e64 v12, s[40:41], s66, v12
	v_addc_co_u32_e64 v13, s[40:41], v102, v13, s[40:41]
	global_store_dword v[12:13], v104, off
	s_or_b64 exec, exec, s[42:43]
	v_cmp_lt_u32_e64 s[40:41], v34, v101
	s_and_saveexec_b64 s[44:45], s[40:41]
	s_cbranch_execz .LBB1433_437
.LBB1433_473:                           ;   in Loop: Header=BB1433_394 Depth=2
	ds_read_b32 v12, v50 offset:3072
	v_mov_b32_e32 v13, v3
	v_mov_b32_e32 v102, s67
	s_waitcnt lgkmcnt(0)
	v_cmp_ne_u32_e64 s[42:43], s7, v12
	v_cndmask_b32_e64 v30, v73, v12, s[42:43]
	v_lshrrev_b32_e32 v30, s77, v30
	v_and_b32_e32 v30, s63, v30
	v_lshlrev_b32_e32 v30, 2, v30
	ds_read_b32 v30, v30
	v_cmp_lt_i32_e64 s[42:43], -1, v12
	v_cndmask_b32_e64 v104, v73, -1, s[42:43]
	v_xor_b32_e32 v104, v104, v12
	s_waitcnt lgkmcnt(0)
	v_add_u32_e32 v12, v30, v34
	v_lshlrev_b64 v[12:13], 2, v[12:13]
	v_add_co_u32_e64 v12, s[42:43], s66, v12
	v_addc_co_u32_e64 v13, s[42:43], v102, v13, s[42:43]
	global_store_dword v[12:13], v104, off
	s_or_b64 exec, exec, s[44:45]
	v_cmp_lt_u32_e64 s[42:43], v35, v101
	s_and_saveexec_b64 s[46:47], s[42:43]
	s_cbranch_execz .LBB1433_438
.LBB1433_474:                           ;   in Loop: Header=BB1433_394 Depth=2
	ds_read_b32 v12, v50 offset:4096
	v_mov_b32_e32 v13, v3
	v_mov_b32_e32 v102, s67
	s_waitcnt lgkmcnt(0)
	v_cmp_ne_u32_e64 s[44:45], s7, v12
	v_cndmask_b32_e64 v30, v73, v12, s[44:45]
	v_lshrrev_b32_e32 v30, s77, v30
	v_and_b32_e32 v30, s63, v30
	v_lshlrev_b32_e32 v30, 2, v30
	ds_read_b32 v30, v30
	v_cmp_lt_i32_e64 s[44:45], -1, v12
	v_cndmask_b32_e64 v104, v73, -1, s[44:45]
	v_xor_b32_e32 v104, v104, v12
	s_waitcnt lgkmcnt(0)
	v_add_u32_e32 v12, v30, v35
	v_lshlrev_b64 v[12:13], 2, v[12:13]
	v_add_co_u32_e64 v12, s[44:45], s66, v12
	v_addc_co_u32_e64 v13, s[44:45], v102, v13, s[44:45]
	global_store_dword v[12:13], v104, off
	s_or_b64 exec, exec, s[46:47]
	v_cmp_lt_u32_e64 s[44:45], v38, v101
	s_and_saveexec_b64 s[48:49], s[44:45]
	s_cbranch_execz .LBB1433_439
.LBB1433_475:                           ;   in Loop: Header=BB1433_394 Depth=2
	ds_read_b32 v12, v50 offset:5120
	v_mov_b32_e32 v13, v3
	v_mov_b32_e32 v102, s67
	s_waitcnt lgkmcnt(0)
	v_cmp_ne_u32_e64 s[46:47], s7, v12
	v_cndmask_b32_e64 v30, v73, v12, s[46:47]
	v_lshrrev_b32_e32 v30, s77, v30
	v_and_b32_e32 v30, s63, v30
	v_lshlrev_b32_e32 v30, 2, v30
	ds_read_b32 v30, v30
	v_cmp_lt_i32_e64 s[46:47], -1, v12
	v_cndmask_b32_e64 v104, v73, -1, s[46:47]
	v_xor_b32_e32 v104, v104, v12
	s_waitcnt lgkmcnt(0)
	v_add_u32_e32 v12, v30, v38
	v_lshlrev_b64 v[12:13], 2, v[12:13]
	v_add_co_u32_e64 v12, s[46:47], s66, v12
	v_addc_co_u32_e64 v13, s[46:47], v102, v13, s[46:47]
	global_store_dword v[12:13], v104, off
	s_or_b64 exec, exec, s[48:49]
	v_cmp_lt_u32_e64 s[46:47], v39, v101
	s_and_saveexec_b64 s[50:51], s[46:47]
	s_cbranch_execz .LBB1433_440
.LBB1433_476:                           ;   in Loop: Header=BB1433_394 Depth=2
	ds_read_b32 v12, v50 offset:6144
	v_mov_b32_e32 v13, v3
	v_mov_b32_e32 v102, s67
	s_waitcnt lgkmcnt(0)
	v_cmp_ne_u32_e64 s[48:49], s7, v12
	v_cndmask_b32_e64 v30, v73, v12, s[48:49]
	v_lshrrev_b32_e32 v30, s77, v30
	v_and_b32_e32 v30, s63, v30
	v_lshlrev_b32_e32 v30, 2, v30
	ds_read_b32 v30, v30
	v_cmp_lt_i32_e64 s[48:49], -1, v12
	v_cndmask_b32_e64 v104, v73, -1, s[48:49]
	v_xor_b32_e32 v104, v104, v12
	s_waitcnt lgkmcnt(0)
	v_add_u32_e32 v12, v30, v39
	v_lshlrev_b64 v[12:13], 2, v[12:13]
	v_add_co_u32_e64 v12, s[48:49], s66, v12
	v_addc_co_u32_e64 v13, s[48:49], v102, v13, s[48:49]
	global_store_dword v[12:13], v104, off
	s_or_b64 exec, exec, s[50:51]
	v_cmp_lt_u32_e64 s[48:49], v40, v101
	s_and_saveexec_b64 s[52:53], s[48:49]
	s_cbranch_execz .LBB1433_441
.LBB1433_477:                           ;   in Loop: Header=BB1433_394 Depth=2
	ds_read_b32 v12, v50 offset:7168
	v_mov_b32_e32 v13, v3
	v_mov_b32_e32 v102, s67
	s_waitcnt lgkmcnt(0)
	v_cmp_ne_u32_e64 s[50:51], s7, v12
	v_cndmask_b32_e64 v30, v73, v12, s[50:51]
	v_lshrrev_b32_e32 v30, s77, v30
	v_and_b32_e32 v30, s63, v30
	v_lshlrev_b32_e32 v30, 2, v30
	ds_read_b32 v30, v30
	v_cmp_lt_i32_e64 s[50:51], -1, v12
	v_cndmask_b32_e64 v104, v73, -1, s[50:51]
	v_xor_b32_e32 v104, v104, v12
	s_waitcnt lgkmcnt(0)
	v_add_u32_e32 v12, v30, v40
	v_lshlrev_b64 v[12:13], 2, v[12:13]
	v_add_co_u32_e64 v12, s[50:51], s66, v12
	v_addc_co_u32_e64 v13, s[50:51], v102, v13, s[50:51]
	global_store_dword v[12:13], v104, off
	s_or_b64 exec, exec, s[52:53]
	v_cmp_lt_u32_e64 s[50:51], v41, v101
	s_and_saveexec_b64 s[60:61], s[50:51]
	s_cbranch_execnz .LBB1433_442
	s_branch .LBB1433_443
.LBB1433_478:                           ;   in Loop: Header=BB1433_394 Depth=2
	global_load_dwordx2 v[28:29], v[12:13], off
	s_or_b64 exec, exec, s[52:53]
	v_cmp_lt_u32_e64 s[52:53], v91, v101
	s_and_saveexec_b64 s[60:61], s[52:53]
	s_cbranch_execz .LBB1433_445
.LBB1433_479:                           ;   in Loop: Header=BB1433_394 Depth=2
	global_load_dwordx2 v[26:27], v[12:13], off offset:512
	s_or_b64 exec, exec, s[60:61]
	v_cmp_lt_u32_e64 s[52:53], v92, v101
	s_and_saveexec_b64 s[60:61], s[52:53]
	s_cbranch_execz .LBB1433_446
.LBB1433_480:                           ;   in Loop: Header=BB1433_394 Depth=2
	global_load_dwordx2 v[24:25], v[12:13], off offset:1024
	s_or_b64 exec, exec, s[60:61]
	v_cmp_lt_u32_e64 s[52:53], v93, v101
	s_and_saveexec_b64 s[60:61], s[52:53]
	s_cbranch_execz .LBB1433_447
.LBB1433_481:                           ;   in Loop: Header=BB1433_394 Depth=2
	global_load_dwordx2 v[22:23], v[12:13], off offset:1536
	s_or_b64 exec, exec, s[60:61]
	v_cmp_lt_u32_e64 s[52:53], v94, v101
	s_and_saveexec_b64 s[60:61], s[52:53]
	s_cbranch_execz .LBB1433_448
.LBB1433_482:                           ;   in Loop: Header=BB1433_394 Depth=2
	global_load_dwordx2 v[20:21], v[12:13], off offset:2048
	s_or_b64 exec, exec, s[60:61]
	v_cmp_lt_u32_e64 s[52:53], v95, v101
	s_and_saveexec_b64 s[60:61], s[52:53]
	s_cbranch_execz .LBB1433_449
.LBB1433_483:                           ;   in Loop: Header=BB1433_394 Depth=2
	global_load_dwordx2 v[9:10], v[12:13], off offset:2560
	s_or_b64 exec, exec, s[60:61]
	v_cmp_lt_u32_e64 s[52:53], v96, v101
	s_and_saveexec_b64 s[60:61], s[52:53]
	s_cbranch_execz .LBB1433_450
.LBB1433_484:                           ;   in Loop: Header=BB1433_394 Depth=2
	global_load_dwordx2 v[7:8], v[12:13], off offset:3072
	s_or_b64 exec, exec, s[60:61]
	v_cmp_lt_u32_e64 s[52:53], v97, v101
	s_and_saveexec_b64 s[60:61], s[52:53]
	s_cbranch_execz .LBB1433_451
.LBB1433_485:                           ;   in Loop: Header=BB1433_394 Depth=2
	global_load_dwordx2 v[5:6], v[12:13], off offset:3584
	s_or_b64 exec, exec, s[60:61]
	s_and_saveexec_b64 s[60:61], vcc
	s_cbranch_execz .LBB1433_452
.LBB1433_486:                           ;   in Loop: Header=BB1433_394 Depth=2
	ds_read_b32 v12, v50 offset:1024
	s_waitcnt lgkmcnt(0)
	v_cmp_ne_u32_e64 s[52:53], s7, v12
	v_cndmask_b32_e64 v12, v73, v12, s[52:53]
	v_lshrrev_b32_e32 v12, s77, v12
	v_and_b32_e32 v90, s63, v12
	s_or_b64 exec, exec, s[60:61]
	s_and_saveexec_b64 s[60:61], s[38:39]
	s_cbranch_execz .LBB1433_453
.LBB1433_487:                           ;   in Loop: Header=BB1433_394 Depth=2
	ds_read_b32 v12, v50 offset:2048
	s_waitcnt lgkmcnt(0)
	v_cmp_ne_u32_e64 s[52:53], s7, v12
	v_cndmask_b32_e64 v12, v73, v12, s[52:53]
	v_lshrrev_b32_e32 v12, s77, v12
	v_and_b32_e32 v88, s63, v12
	s_or_b64 exec, exec, s[60:61]
	s_and_saveexec_b64 s[60:61], s[40:41]
	s_cbranch_execz .LBB1433_454
.LBB1433_488:                           ;   in Loop: Header=BB1433_394 Depth=2
	ds_read_b32 v12, v50 offset:3072
	s_waitcnt lgkmcnt(0)
	v_cmp_ne_u32_e64 s[52:53], s7, v12
	v_cndmask_b32_e64 v12, v73, v12, s[52:53]
	v_lshrrev_b32_e32 v12, s77, v12
	v_and_b32_e32 v86, s63, v12
	s_or_b64 exec, exec, s[60:61]
	s_and_saveexec_b64 s[60:61], s[42:43]
	s_cbranch_execz .LBB1433_455
.LBB1433_489:                           ;   in Loop: Header=BB1433_394 Depth=2
	ds_read_b32 v12, v50 offset:4096
	s_waitcnt lgkmcnt(0)
	v_cmp_ne_u32_e64 s[52:53], s7, v12
	v_cndmask_b32_e64 v12, v73, v12, s[52:53]
	v_lshrrev_b32_e32 v12, s77, v12
	v_and_b32_e32 v85, s63, v12
	s_or_b64 exec, exec, s[60:61]
	s_and_saveexec_b64 s[60:61], s[44:45]
	s_cbranch_execz .LBB1433_456
.LBB1433_490:                           ;   in Loop: Header=BB1433_394 Depth=2
	ds_read_b32 v12, v50 offset:5120
	s_waitcnt lgkmcnt(0)
	v_cmp_ne_u32_e64 s[52:53], s7, v12
	v_cndmask_b32_e64 v12, v73, v12, s[52:53]
	v_lshrrev_b32_e32 v12, s77, v12
	v_and_b32_e32 v83, s63, v12
	s_or_b64 exec, exec, s[60:61]
	s_and_saveexec_b64 s[60:61], s[46:47]
	s_cbranch_execz .LBB1433_457
.LBB1433_491:                           ;   in Loop: Header=BB1433_394 Depth=2
	ds_read_b32 v12, v50 offset:6144
	s_waitcnt lgkmcnt(0)
	v_cmp_ne_u32_e64 s[52:53], s7, v12
	v_cndmask_b32_e64 v12, v73, v12, s[52:53]
	v_lshrrev_b32_e32 v12, s77, v12
	v_and_b32_e32 v82, s63, v12
	s_or_b64 exec, exec, s[60:61]
	s_and_saveexec_b64 s[60:61], s[48:49]
	s_cbranch_execz .LBB1433_458
.LBB1433_492:                           ;   in Loop: Header=BB1433_394 Depth=2
	ds_read_b32 v12, v50 offset:7168
	s_waitcnt lgkmcnt(0)
	v_cmp_ne_u32_e64 s[52:53], s7, v12
	v_cndmask_b32_e64 v12, v73, v12, s[52:53]
	v_lshrrev_b32_e32 v12, s77, v12
	v_and_b32_e32 v81, s63, v12
	s_or_b64 exec, exec, s[60:61]
	s_and_saveexec_b64 s[60:61], s[50:51]
	s_cbranch_execnz .LBB1433_459
	s_branch .LBB1433_460
.LBB1433_493:                           ;   in Loop: Header=BB1433_394 Depth=2
	v_lshlrev_b32_e32 v12, 2, v90
	ds_read_b32 v14, v12
	v_add_u32_e32 v12, v50, v32
	ds_read_b64 v[12:13], v12 offset:1024
	v_mov_b32_e32 v15, v3
	v_mov_b32_e32 v16, s73
	s_waitcnt lgkmcnt(1)
	v_add_u32_e32 v14, v14, v0
	v_lshlrev_b64 v[14:15], 3, v[14:15]
	v_add_co_u32_e32 v14, vcc, s72, v14
	v_addc_co_u32_e32 v15, vcc, v16, v15, vcc
	s_waitcnt lgkmcnt(0)
	global_store_dwordx2 v[14:15], v[12:13], off
	s_or_b64 exec, exec, s[52:53]
	s_and_saveexec_b64 s[52:53], s[38:39]
	s_cbranch_execz .LBB1433_462
.LBB1433_494:                           ;   in Loop: Header=BB1433_394 Depth=2
	v_lshlrev_b32_e32 v12, 2, v88
	ds_read_b32 v14, v12
	v_add_u32_e32 v12, v50, v32
	ds_read_b64 v[12:13], v12 offset:3072
	v_mov_b32_e32 v15, v3
	v_mov_b32_e32 v16, s73
	s_waitcnt lgkmcnt(1)
	v_add_u32_e32 v14, v14, v33
	v_lshlrev_b64 v[14:15], 3, v[14:15]
	v_add_co_u32_e32 v14, vcc, s72, v14
	v_addc_co_u32_e32 v15, vcc, v16, v15, vcc
	s_waitcnt lgkmcnt(0)
	global_store_dwordx2 v[14:15], v[12:13], off
	s_or_b64 exec, exec, s[52:53]
	s_and_saveexec_b64 s[38:39], s[40:41]
	s_cbranch_execz .LBB1433_463
.LBB1433_495:                           ;   in Loop: Header=BB1433_394 Depth=2
	v_lshlrev_b32_e32 v12, 2, v86
	ds_read_b32 v14, v12
	v_add_u32_e32 v12, v50, v32
	ds_read_b64 v[12:13], v12 offset:5120
	v_mov_b32_e32 v15, v3
	v_mov_b32_e32 v16, s73
	s_waitcnt lgkmcnt(1)
	v_add_u32_e32 v14, v14, v34
	v_lshlrev_b64 v[14:15], 3, v[14:15]
	v_add_co_u32_e32 v14, vcc, s72, v14
	v_addc_co_u32_e32 v15, vcc, v16, v15, vcc
	s_waitcnt lgkmcnt(0)
	global_store_dwordx2 v[14:15], v[12:13], off
	s_or_b64 exec, exec, s[38:39]
	s_and_saveexec_b64 s[38:39], s[42:43]
	s_cbranch_execz .LBB1433_464
.LBB1433_496:                           ;   in Loop: Header=BB1433_394 Depth=2
	v_lshlrev_b32_e32 v12, 2, v85
	ds_read_b32 v14, v12
	v_add_u32_e32 v12, v50, v32
	ds_read_b64 v[12:13], v12 offset:7168
	v_mov_b32_e32 v15, v3
	v_mov_b32_e32 v16, s73
	s_waitcnt lgkmcnt(1)
	v_add_u32_e32 v14, v14, v35
	v_lshlrev_b64 v[14:15], 3, v[14:15]
	v_add_co_u32_e32 v14, vcc, s72, v14
	v_addc_co_u32_e32 v15, vcc, v16, v15, vcc
	s_waitcnt lgkmcnt(0)
	global_store_dwordx2 v[14:15], v[12:13], off
	s_or_b64 exec, exec, s[38:39]
	s_and_saveexec_b64 s[38:39], s[44:45]
	s_cbranch_execz .LBB1433_465
.LBB1433_497:                           ;   in Loop: Header=BB1433_394 Depth=2
	v_lshlrev_b32_e32 v12, 2, v83
	ds_read_b32 v14, v12
	v_add_u32_e32 v12, v50, v32
	ds_read_b64 v[12:13], v12 offset:9216
	v_mov_b32_e32 v15, v3
	v_mov_b32_e32 v16, s73
	s_waitcnt lgkmcnt(1)
	v_add_u32_e32 v14, v14, v38
	v_lshlrev_b64 v[14:15], 3, v[14:15]
	v_add_co_u32_e32 v14, vcc, s72, v14
	v_addc_co_u32_e32 v15, vcc, v16, v15, vcc
	s_waitcnt lgkmcnt(0)
	global_store_dwordx2 v[14:15], v[12:13], off
	s_or_b64 exec, exec, s[38:39]
	s_and_saveexec_b64 s[38:39], s[46:47]
	s_cbranch_execz .LBB1433_466
.LBB1433_498:                           ;   in Loop: Header=BB1433_394 Depth=2
	v_lshlrev_b32_e32 v12, 2, v82
	ds_read_b32 v14, v12
	v_add_u32_e32 v12, v50, v32
	ds_read_b64 v[12:13], v12 offset:11264
	v_mov_b32_e32 v15, v3
	v_mov_b32_e32 v16, s73
	s_waitcnt lgkmcnt(1)
	v_add_u32_e32 v14, v14, v39
	v_lshlrev_b64 v[14:15], 3, v[14:15]
	v_add_co_u32_e32 v14, vcc, s72, v14
	v_addc_co_u32_e32 v15, vcc, v16, v15, vcc
	s_waitcnt lgkmcnt(0)
	global_store_dwordx2 v[14:15], v[12:13], off
	s_or_b64 exec, exec, s[38:39]
	s_and_saveexec_b64 s[38:39], s[48:49]
	s_cbranch_execz .LBB1433_467
.LBB1433_499:                           ;   in Loop: Header=BB1433_394 Depth=2
	v_lshlrev_b32_e32 v12, 2, v81
	ds_read_b32 v14, v12
	v_add_u32_e32 v12, v50, v32
	ds_read_b64 v[12:13], v12 offset:13312
	v_mov_b32_e32 v15, v3
	v_mov_b32_e32 v16, s73
	s_waitcnt lgkmcnt(1)
	v_add_u32_e32 v14, v14, v40
	v_lshlrev_b64 v[14:15], 3, v[14:15]
	v_add_co_u32_e32 v14, vcc, s72, v14
	v_addc_co_u32_e32 v15, vcc, v16, v15, vcc
	s_waitcnt lgkmcnt(0)
	global_store_dwordx2 v[14:15], v[12:13], off
	s_or_b64 exec, exec, s[38:39]
	s_and_saveexec_b64 s[38:39], s[50:51]
	s_cbranch_execnz .LBB1433_468
	s_branch .LBB1433_469
.LBB1433_500:                           ;   in Loop: Header=BB1433_394 Depth=2
	global_load_dword v12, v[30:31], off
	v_mov_b32_e32 v13, v11
	v_mov_b32_e32 v14, v11
	;; [unrolled: 1-line block ×7, first 2 shown]
	s_or_b64 exec, exec, s[38:39]
	v_cmp_gt_u32_e32 vcc, s70, v91
	s_and_saveexec_b64 s[38:39], vcc
	s_cbranch_execz .LBB1433_399
.LBB1433_501:                           ;   in Loop: Header=BB1433_394 Depth=2
	global_load_dword v13, v[30:31], off offset:256
	s_or_b64 exec, exec, s[38:39]
	v_cmp_gt_u32_e32 vcc, s70, v92
	s_and_saveexec_b64 s[38:39], vcc
	s_cbranch_execz .LBB1433_400
.LBB1433_502:                           ;   in Loop: Header=BB1433_394 Depth=2
	global_load_dword v14, v[30:31], off offset:512
	s_or_b64 exec, exec, s[38:39]
	v_cmp_gt_u32_e32 vcc, s70, v93
	s_and_saveexec_b64 s[38:39], vcc
	s_cbranch_execz .LBB1433_401
.LBB1433_503:                           ;   in Loop: Header=BB1433_394 Depth=2
	global_load_dword v15, v[30:31], off offset:768
	s_or_b64 exec, exec, s[38:39]
	v_cmp_gt_u32_e32 vcc, s70, v94
	s_and_saveexec_b64 s[38:39], vcc
	s_cbranch_execz .LBB1433_402
.LBB1433_504:                           ;   in Loop: Header=BB1433_394 Depth=2
	global_load_dword v16, v[30:31], off offset:1024
	s_or_b64 exec, exec, s[38:39]
	v_cmp_gt_u32_e32 vcc, s70, v95
	s_and_saveexec_b64 s[38:39], vcc
	s_cbranch_execz .LBB1433_403
.LBB1433_505:                           ;   in Loop: Header=BB1433_394 Depth=2
	global_load_dword v17, v[30:31], off offset:1280
	s_or_b64 exec, exec, s[38:39]
	v_cmp_gt_u32_e32 vcc, s70, v96
	s_and_saveexec_b64 s[38:39], vcc
	s_cbranch_execnz .LBB1433_404
	s_branch .LBB1433_405
.LBB1433_506:                           ;   in Loop: Header=BB1433_12 Depth=1
	s_waitcnt lgkmcnt(0)
	s_barrier
	s_mov_b64 s[18:19], 0
.LBB1433_507:                           ;   in Loop: Header=BB1433_12 Depth=1
	s_and_b64 vcc, exec, s[18:19]
	s_cbranch_vccz .LBB1433_11
; %bb.508:                              ;   in Loop: Header=BB1433_12 Depth=1
	v_mov_b32_e32 v10, v3
	v_mov_b32_e32 v4, v3
	v_mov_b32_e32 v5, v3
	v_mov_b32_e32 v6, v3
	v_mov_b32_e32 v7, v3
	v_mov_b32_e32 v8, v3
	v_mov_b32_e32 v9, v3
	v_mov_b32_e32 v19, v10
	s_mov_b32 s22, s79
	s_mov_b32 s58, s80
	v_mov_b32_e32 v18, v9
	v_mov_b32_e32 v17, v8
	;; [unrolled: 1-line block ×7, first 2 shown]
	s_barrier
	s_branch .LBB1433_510
.LBB1433_509:                           ;   in Loop: Header=BB1433_510 Depth=2
	s_or_b64 exec, exec, s[18:19]
	s_addk_i32 s22, 0xf800
	s_cmp_ge_u32 s23, s81
	s_mov_b32 s58, s23
	s_cbranch_scc1 .LBB1433_546
.LBB1433_510:                           ;   Parent Loop BB1433_12 Depth=1
                                        ; =>  This Inner Loop Header: Depth=2
	s_add_i32 s23, s58, 0x800
	s_cmp_gt_u32 s23, s81
	s_mov_b64 s[18:19], -1
                                        ; implicit-def: $vgpr20_vgpr21_vgpr22_vgpr23_vgpr24_vgpr25_vgpr26_vgpr27
	s_cbranch_scc1 .LBB1433_512
; %bb.511:                              ;   in Loop: Header=BB1433_510 Depth=2
	s_lshl_b64 s[18:19], s[58:59], 2
	v_mov_b32_e32 v5, s19
	v_add_co_u32_e32 v4, vcc, s18, v61
	v_addc_co_u32_e32 v5, vcc, v62, v5, vcc
	v_add_co_u32_e32 v6, vcc, 0x1000, v4
	v_addc_co_u32_e32 v7, vcc, 0, v5, vcc
	global_load_dword v20, v[4:5], off
	global_load_dword v21, v[4:5], off offset:1024
	global_load_dword v22, v[4:5], off offset:2048
	;; [unrolled: 1-line block ×3, first 2 shown]
	global_load_dword v24, v[6:7], off
	global_load_dword v25, v[6:7], off offset:1024
	global_load_dword v26, v[6:7], off offset:2048
	;; [unrolled: 1-line block ×3, first 2 shown]
	s_mov_b64 s[18:19], 0
.LBB1433_512:                           ;   in Loop: Header=BB1433_510 Depth=2
	s_andn2_b64 vcc, exec, s[18:19]
	s_movk_i32 s20, 0x800
	s_cbranch_vccnz .LBB1433_523
; %bb.513:                              ;   in Loop: Header=BB1433_510 Depth=2
	s_lshl_b64 s[18:19], s[58:59], 2
	s_add_u32 s18, s64, s18
	s_addc_u32 s19, s65, s19
	v_cmp_gt_u32_e32 vcc, s22, v0
	s_and_saveexec_b64 s[20:21], vcc
	s_cbranch_execnz .LBB1433_539
; %bb.514:                              ;   in Loop: Header=BB1433_510 Depth=2
	s_or_b64 exec, exec, s[20:21]
	v_cmp_gt_u32_e32 vcc, s22, v33
	s_and_saveexec_b64 s[20:21], vcc
	s_cbranch_execnz .LBB1433_540
.LBB1433_515:                           ;   in Loop: Header=BB1433_510 Depth=2
	s_or_b64 exec, exec, s[20:21]
	v_cmp_gt_u32_e32 vcc, s22, v34
	s_and_saveexec_b64 s[20:21], vcc
	s_cbranch_execnz .LBB1433_541
.LBB1433_516:                           ;   in Loop: Header=BB1433_510 Depth=2
	s_or_b64 exec, exec, s[20:21]
	v_cmp_gt_u32_e32 vcc, s22, v35
	s_and_saveexec_b64 s[20:21], vcc
	s_cbranch_execnz .LBB1433_542
.LBB1433_517:                           ;   in Loop: Header=BB1433_510 Depth=2
	s_or_b64 exec, exec, s[20:21]
	v_cmp_gt_u32_e32 vcc, s22, v38
	s_and_saveexec_b64 s[20:21], vcc
	s_cbranch_execnz .LBB1433_543
.LBB1433_518:                           ;   in Loop: Header=BB1433_510 Depth=2
	s_or_b64 exec, exec, s[20:21]
	v_cmp_gt_u32_e32 vcc, s22, v39
	s_and_saveexec_b64 s[20:21], vcc
	s_cbranch_execnz .LBB1433_544
.LBB1433_519:                           ;   in Loop: Header=BB1433_510 Depth=2
	s_or_b64 exec, exec, s[20:21]
	v_cmp_gt_u32_e32 vcc, s22, v40
	s_and_saveexec_b64 s[20:21], vcc
	s_cbranch_execnz .LBB1433_545
.LBB1433_520:                           ;   in Loop: Header=BB1433_510 Depth=2
	s_or_b64 exec, exec, s[20:21]
	v_cmp_gt_u32_e32 vcc, s22, v41
	s_and_saveexec_b64 s[20:21], vcc
	s_cbranch_execz .LBB1433_522
.LBB1433_521:                           ;   in Loop: Header=BB1433_510 Depth=2
	global_load_dword v19, v72, s[18:19]
.LBB1433_522:                           ;   in Loop: Header=BB1433_510 Depth=2
	s_or_b64 exec, exec, s[20:21]
	s_waitcnt vmcnt(0)
	v_mov_b32_e32 v27, v19
	s_mov_b32 s20, s22
	v_mov_b32_e32 v26, v18
	v_mov_b32_e32 v25, v17
	;; [unrolled: 1-line block ×7, first 2 shown]
.LBB1433_523:                           ;   in Loop: Header=BB1433_510 Depth=2
	s_waitcnt vmcnt(0)
	v_mov_b32_e32 v12, v20
	v_mov_b32_e32 v13, v21
	;; [unrolled: 1-line block ×8, first 2 shown]
	v_cmp_gt_u32_e32 vcc, s20, v0
	s_and_saveexec_b64 s[18:19], vcc
	s_cbranch_execnz .LBB1433_531
; %bb.524:                              ;   in Loop: Header=BB1433_510 Depth=2
	s_or_b64 exec, exec, s[18:19]
	v_cmp_gt_u32_e32 vcc, s20, v33
	s_and_saveexec_b64 s[18:19], vcc
	s_cbranch_execnz .LBB1433_532
.LBB1433_525:                           ;   in Loop: Header=BB1433_510 Depth=2
	s_or_b64 exec, exec, s[18:19]
	v_cmp_gt_u32_e32 vcc, s20, v34
	s_and_saveexec_b64 s[18:19], vcc
	s_cbranch_execnz .LBB1433_533
.LBB1433_526:                           ;   in Loop: Header=BB1433_510 Depth=2
	s_or_b64 exec, exec, s[18:19]
	v_cmp_gt_u32_e32 vcc, s20, v35
	s_and_saveexec_b64 s[18:19], vcc
	s_cbranch_execnz .LBB1433_534
.LBB1433_527:                           ;   in Loop: Header=BB1433_510 Depth=2
	s_or_b64 exec, exec, s[18:19]
	v_cmp_gt_u32_e32 vcc, s20, v38
	s_and_saveexec_b64 s[18:19], vcc
	s_cbranch_execnz .LBB1433_535
.LBB1433_528:                           ;   in Loop: Header=BB1433_510 Depth=2
	s_or_b64 exec, exec, s[18:19]
	v_cmp_gt_u32_e32 vcc, s20, v39
	s_and_saveexec_b64 s[18:19], vcc
	s_cbranch_execnz .LBB1433_536
.LBB1433_529:                           ;   in Loop: Header=BB1433_510 Depth=2
	s_or_b64 exec, exec, s[18:19]
	v_cmp_gt_u32_e32 vcc, s20, v40
	s_and_saveexec_b64 s[18:19], vcc
	s_cbranch_execnz .LBB1433_537
.LBB1433_530:                           ;   in Loop: Header=BB1433_510 Depth=2
	s_or_b64 exec, exec, s[18:19]
	v_cmp_gt_u32_e32 vcc, s20, v41
	s_and_saveexec_b64 s[18:19], vcc
	s_cbranch_execz .LBB1433_509
	s_branch .LBB1433_538
.LBB1433_531:                           ;   in Loop: Header=BB1433_510 Depth=2
	v_cmp_lt_i32_e32 vcc, -1, v12
	v_cndmask_b32_e32 v4, -1, v73, vcc
	v_xor_b32_e32 v4, v4, v12
	v_cmp_ne_u32_e32 vcc, s7, v4
	v_cndmask_b32_e32 v4, v73, v4, vcc
	v_lshrrev_b32_e32 v4, s77, v4
	v_and_b32_e32 v4, s63, v4
	v_lshl_or_b32 v4, v4, 4, v42
	ds_add_u32 v4, v67
	s_or_b64 exec, exec, s[18:19]
	v_cmp_gt_u32_e32 vcc, s20, v33
	s_and_saveexec_b64 s[18:19], vcc
	s_cbranch_execz .LBB1433_525
.LBB1433_532:                           ;   in Loop: Header=BB1433_510 Depth=2
	v_cmp_lt_i32_e32 vcc, -1, v13
	v_cndmask_b32_e32 v4, -1, v73, vcc
	v_xor_b32_e32 v4, v4, v13
	v_cmp_ne_u32_e32 vcc, s7, v4
	v_cndmask_b32_e32 v4, v73, v4, vcc
	v_lshrrev_b32_e32 v4, s77, v4
	v_and_b32_e32 v4, s63, v4
	v_lshl_or_b32 v4, v4, 4, v42
	ds_add_u32 v4, v67
	s_or_b64 exec, exec, s[18:19]
	v_cmp_gt_u32_e32 vcc, s20, v34
	s_and_saveexec_b64 s[18:19], vcc
	s_cbranch_execz .LBB1433_526
.LBB1433_533:                           ;   in Loop: Header=BB1433_510 Depth=2
	v_cmp_lt_i32_e32 vcc, -1, v14
	v_cndmask_b32_e32 v4, -1, v73, vcc
	v_xor_b32_e32 v4, v4, v14
	v_cmp_ne_u32_e32 vcc, s7, v4
	v_cndmask_b32_e32 v4, v73, v4, vcc
	v_lshrrev_b32_e32 v4, s77, v4
	v_and_b32_e32 v4, s63, v4
	v_lshl_or_b32 v4, v4, 4, v42
	ds_add_u32 v4, v67
	s_or_b64 exec, exec, s[18:19]
	v_cmp_gt_u32_e32 vcc, s20, v35
	s_and_saveexec_b64 s[18:19], vcc
	s_cbranch_execz .LBB1433_527
.LBB1433_534:                           ;   in Loop: Header=BB1433_510 Depth=2
	v_cmp_lt_i32_e32 vcc, -1, v15
	v_cndmask_b32_e32 v4, -1, v73, vcc
	v_xor_b32_e32 v4, v4, v15
	v_cmp_ne_u32_e32 vcc, s7, v4
	v_cndmask_b32_e32 v4, v73, v4, vcc
	v_lshrrev_b32_e32 v4, s77, v4
	v_and_b32_e32 v4, s63, v4
	v_lshl_or_b32 v4, v4, 4, v42
	ds_add_u32 v4, v67
	s_or_b64 exec, exec, s[18:19]
	v_cmp_gt_u32_e32 vcc, s20, v38
	s_and_saveexec_b64 s[18:19], vcc
	s_cbranch_execz .LBB1433_528
.LBB1433_535:                           ;   in Loop: Header=BB1433_510 Depth=2
	v_cmp_lt_i32_e32 vcc, -1, v16
	v_cndmask_b32_e32 v4, -1, v73, vcc
	v_xor_b32_e32 v4, v4, v16
	v_cmp_ne_u32_e32 vcc, s7, v4
	v_cndmask_b32_e32 v4, v73, v4, vcc
	v_lshrrev_b32_e32 v4, s77, v4
	v_and_b32_e32 v4, s63, v4
	v_lshl_or_b32 v4, v4, 4, v42
	ds_add_u32 v4, v67
	s_or_b64 exec, exec, s[18:19]
	v_cmp_gt_u32_e32 vcc, s20, v39
	s_and_saveexec_b64 s[18:19], vcc
	s_cbranch_execz .LBB1433_529
.LBB1433_536:                           ;   in Loop: Header=BB1433_510 Depth=2
	v_cmp_lt_i32_e32 vcc, -1, v17
	v_cndmask_b32_e32 v4, -1, v73, vcc
	v_xor_b32_e32 v4, v4, v17
	v_cmp_ne_u32_e32 vcc, s7, v4
	v_cndmask_b32_e32 v4, v73, v4, vcc
	v_lshrrev_b32_e32 v4, s77, v4
	v_and_b32_e32 v4, s63, v4
	v_lshl_or_b32 v4, v4, 4, v42
	ds_add_u32 v4, v67
	s_or_b64 exec, exec, s[18:19]
	v_cmp_gt_u32_e32 vcc, s20, v40
	s_and_saveexec_b64 s[18:19], vcc
	s_cbranch_execz .LBB1433_530
.LBB1433_537:                           ;   in Loop: Header=BB1433_510 Depth=2
	v_cmp_lt_i32_e32 vcc, -1, v18
	v_cndmask_b32_e32 v4, -1, v73, vcc
	v_xor_b32_e32 v4, v4, v18
	v_cmp_ne_u32_e32 vcc, s7, v4
	v_cndmask_b32_e32 v4, v73, v4, vcc
	v_lshrrev_b32_e32 v4, s77, v4
	v_and_b32_e32 v4, s63, v4
	v_lshl_or_b32 v4, v4, 4, v42
	ds_add_u32 v4, v67
	s_or_b64 exec, exec, s[18:19]
	v_cmp_gt_u32_e32 vcc, s20, v41
	s_and_saveexec_b64 s[18:19], vcc
	s_cbranch_execz .LBB1433_509
.LBB1433_538:                           ;   in Loop: Header=BB1433_510 Depth=2
	v_cmp_lt_i32_e32 vcc, -1, v19
	v_cndmask_b32_e32 v4, -1, v73, vcc
	v_xor_b32_e32 v4, v4, v19
	v_cmp_ne_u32_e32 vcc, s7, v4
	v_cndmask_b32_e32 v4, v73, v4, vcc
	v_lshrrev_b32_e32 v4, s77, v4
	v_and_b32_e32 v4, s63, v4
	v_lshl_or_b32 v4, v4, 4, v42
	ds_add_u32 v4, v67
	s_branch .LBB1433_509
.LBB1433_539:                           ;   in Loop: Header=BB1433_510 Depth=2
	global_load_dword v12, v68, s[18:19]
	s_or_b64 exec, exec, s[20:21]
	v_cmp_gt_u32_e32 vcc, s22, v33
	s_and_saveexec_b64 s[20:21], vcc
	s_cbranch_execz .LBB1433_515
.LBB1433_540:                           ;   in Loop: Header=BB1433_510 Depth=2
	global_load_dword v13, v68, s[18:19] offset:1024
	s_or_b64 exec, exec, s[20:21]
	v_cmp_gt_u32_e32 vcc, s22, v34
	s_and_saveexec_b64 s[20:21], vcc
	s_cbranch_execz .LBB1433_516
.LBB1433_541:                           ;   in Loop: Header=BB1433_510 Depth=2
	global_load_dword v14, v68, s[18:19] offset:2048
	s_or_b64 exec, exec, s[20:21]
	v_cmp_gt_u32_e32 vcc, s22, v35
	s_and_saveexec_b64 s[20:21], vcc
	s_cbranch_execz .LBB1433_517
.LBB1433_542:                           ;   in Loop: Header=BB1433_510 Depth=2
	global_load_dword v15, v68, s[18:19] offset:3072
	s_or_b64 exec, exec, s[20:21]
	v_cmp_gt_u32_e32 vcc, s22, v38
	s_and_saveexec_b64 s[20:21], vcc
	s_cbranch_execz .LBB1433_518
.LBB1433_543:                           ;   in Loop: Header=BB1433_510 Depth=2
	global_load_dword v16, v69, s[18:19]
	s_or_b64 exec, exec, s[20:21]
	v_cmp_gt_u32_e32 vcc, s22, v39
	s_and_saveexec_b64 s[20:21], vcc
	s_cbranch_execz .LBB1433_519
.LBB1433_544:                           ;   in Loop: Header=BB1433_510 Depth=2
	global_load_dword v17, v70, s[18:19]
	s_or_b64 exec, exec, s[20:21]
	v_cmp_gt_u32_e32 vcc, s22, v40
	s_and_saveexec_b64 s[20:21], vcc
	s_cbranch_execz .LBB1433_520
.LBB1433_545:                           ;   in Loop: Header=BB1433_510 Depth=2
	global_load_dword v18, v71, s[18:19]
	s_or_b64 exec, exec, s[20:21]
	v_cmp_gt_u32_e32 vcc, s22, v41
	s_and_saveexec_b64 s[20:21], vcc
	s_cbranch_execnz .LBB1433_521
	s_branch .LBB1433_522
.LBB1433_546:                           ;   in Loop: Header=BB1433_12 Depth=1
	v_mov_b32_e32 v4, 0
	s_waitcnt lgkmcnt(0)
	s_barrier
	s_and_saveexec_b64 s[18:19], s[4:5]
	s_cbranch_execz .LBB1433_548
; %bb.547:                              ;   in Loop: Header=BB1433_12 Depth=1
	ds_read2_b64 v[4:7], v43 offset1:1
	s_waitcnt lgkmcnt(0)
	v_add_u32_e32 v4, v5, v4
	v_add3_u32 v4, v4, v6, v7
.LBB1433_548:                           ;   in Loop: Header=BB1433_12 Depth=1
	s_or_b64 exec, exec, s[18:19]
	s_nop 0
	v_mov_b32_dpp v5, v4 row_shr:1 row_mask:0xf bank_mask:0xf
	v_cmp_eq_u32_e64 s[18:19], 0, v75
	v_cndmask_b32_e64 v5, v5, 0, s[18:19]
	v_add_u32_e32 v4, v5, v4
	v_cmp_lt_u32_e64 s[20:21], 1, v75
	v_cmp_lt_u32_e64 s[22:23], 3, v75
	v_mov_b32_dpp v5, v4 row_shr:2 row_mask:0xf bank_mask:0xf
	v_cndmask_b32_e64 v5, 0, v5, s[20:21]
	v_add_u32_e32 v4, v4, v5
	v_cmp_lt_u32_e64 s[24:25], 7, v75
	v_cmp_lt_u32_e64 s[28:29], 31, v74
	v_mov_b32_dpp v5, v4 row_shr:4 row_mask:0xf bank_mask:0xf
	v_cndmask_b32_e64 v5, 0, v5, s[22:23]
	v_add_u32_e32 v4, v4, v5
	v_cmp_eq_u32_e64 s[26:27], 0, v77
	s_nop 0
	v_mov_b32_dpp v5, v4 row_shr:8 row_mask:0xf bank_mask:0xf
	v_cndmask_b32_e64 v5, 0, v5, s[24:25]
	v_add_u32_e32 v4, v4, v5
	s_nop 1
	v_mov_b32_dpp v5, v4 row_bcast:15 row_mask:0xf bank_mask:0xf
	v_and_b32_e32 v5, v76, v5
	v_add_u32_e32 v4, v4, v5
	s_nop 1
	v_mov_b32_dpp v5, v4 row_bcast:31 row_mask:0xf bank_mask:0xf
	v_cndmask_b32_e64 v5, 0, v5, s[28:29]
	v_add_u32_e32 v4, v4, v5
	s_and_saveexec_b64 s[30:31], s[8:9]
; %bb.549:                              ;   in Loop: Header=BB1433_12 Depth=1
	ds_write_b32 v45, v4
; %bb.550:                              ;   in Loop: Header=BB1433_12 Depth=1
	s_or_b64 exec, exec, s[30:31]
	s_waitcnt lgkmcnt(0)
	s_barrier
	s_and_saveexec_b64 s[30:31], s[10:11]
	s_cbranch_execz .LBB1433_552
; %bb.551:                              ;   in Loop: Header=BB1433_12 Depth=1
	ds_read_b32 v5, v46
	v_cmp_ne_u32_e32 vcc, 0, v78
	s_waitcnt lgkmcnt(0)
	v_mov_b32_dpp v6, v5 row_shr:1 row_mask:0xf bank_mask:0xf
	v_cndmask_b32_e32 v6, 0, v6, vcc
	v_add_u32_e32 v5, v6, v5
	v_cmp_lt_u32_e32 vcc, 1, v78
	s_nop 0
	v_mov_b32_dpp v6, v5 row_shr:2 row_mask:0xf bank_mask:0xf
	v_cndmask_b32_e32 v6, 0, v6, vcc
	v_add_u32_e32 v5, v5, v6
	ds_write_b32 v46, v5
.LBB1433_552:                           ;   in Loop: Header=BB1433_12 Depth=1
	s_or_b64 exec, exec, s[30:31]
	v_mov_b32_e32 v5, 0
	s_waitcnt lgkmcnt(0)
	s_barrier
	s_and_saveexec_b64 s[30:31], s[12:13]
; %bb.553:                              ;   in Loop: Header=BB1433_12 Depth=1
	ds_read_b32 v5, v47
; %bb.554:                              ;   in Loop: Header=BB1433_12 Depth=1
	s_or_b64 exec, exec, s[30:31]
	v_subrev_co_u32_e64 v6, s[30:31], 1, v74
	v_and_b32_e32 v7, 64, v74
	v_cmp_lt_i32_e32 vcc, v6, v7
	v_cndmask_b32_e32 v6, v6, v74, vcc
	s_waitcnt lgkmcnt(0)
	v_add_u32_e32 v4, v5, v4
	v_lshlrev_b32_e32 v79, 2, v6
	ds_bpermute_b32 v4, v79, v4
	s_waitcnt lgkmcnt(0)
	s_barrier
	s_and_saveexec_b64 s[34:35], s[4:5]
; %bb.555:                              ;   in Loop: Header=BB1433_12 Depth=1
	v_cndmask_b32_e64 v4, v4, v5, s[30:31]
	v_add_u32_e32 v4, s80, v4
	ds_write_b32 v32, v4
; %bb.556:                              ;   in Loop: Header=BB1433_12 Depth=1
	s_or_b64 exec, exec, s[34:35]
	s_load_dwordx2 s[34:35], s[56:57], 0x0
	v_and_b32_e32 v13, 63, v74
	v_lshlrev_b32_e32 v14, 3, v13
	v_or_b32_e32 v84, v13, v48
	v_lshlrev_b32_e32 v15, 2, v13
	s_waitcnt lgkmcnt(0)
	s_cmp_lt_u32 s33, s35
	s_cselect_b32 s35, 14, 20
	s_add_u32 s36, s56, s35
	s_addc_u32 s37, s57, 0
	s_cmp_lt_u32 s6, s34
	s_cselect_b32 s34, 12, 18
	s_add_u32 s34, s56, s34
	global_load_ushort v4, v3, s[36:37]
	s_addc_u32 s35, s57, 0
	global_load_ushort v12, v3, s[34:35]
	v_add_co_u32_e32 v87, vcc, v63, v14
	v_addc_co_u32_e32 v89, vcc, 0, v64, vcc
	v_add_co_u32_e32 v98, vcc, v65, v15
	v_cmp_eq_u32_e64 s[34:35], 0, v78
	v_cmp_lt_u32_e64 s[36:37], 1, v78
	s_mov_b32 s70, s79
	v_or_b32_e32 v91, 64, v84
	v_or_b32_e32 v92, 0x80, v84
	;; [unrolled: 1-line block ×7, first 2 shown]
	v_addc_co_u32_e32 v99, vcc, 0, v66, vcc
	s_mov_b32 s58, s80
                                        ; implicit-def: $vgpr5_vgpr6
                                        ; implicit-def: $vgpr7_vgpr8
                                        ; implicit-def: $vgpr9_vgpr10
                                        ; implicit-def: $vgpr20_vgpr21
                                        ; implicit-def: $vgpr22_vgpr23
                                        ; implicit-def: $vgpr24_vgpr25
                                        ; implicit-def: $vgpr26_vgpr27
                                        ; implicit-def: $vgpr28_vgpr29
                                        ; implicit-def: $vgpr80
                                        ; implicit-def: $vgpr81
                                        ; implicit-def: $vgpr82
                                        ; implicit-def: $vgpr83
                                        ; implicit-def: $vgpr85
                                        ; implicit-def: $vgpr86
                                        ; implicit-def: $vgpr88
                                        ; implicit-def: $vgpr90
	s_waitcnt vmcnt(1)
	v_mad_u32_u24 v4, v2, v4, v1
	s_waitcnt vmcnt(0)
	v_mad_u64_u32 v[12:13], s[38:39], v4, v12, v[0:1]
	v_lshrrev_b32_e32 v4, 4, v12
	v_and_b32_e32 v100, 0xffffffc, v4
	s_branch .LBB1433_558
.LBB1433_557:                           ;   in Loop: Header=BB1433_558 Depth=2
	s_or_b64 exec, exec, s[38:39]
	s_addk_i32 s70, 0xf800
	s_cmp_lt_u32 s71, s81
	s_mov_b32 s58, s71
	s_cbranch_scc0 .LBB1433_10
.LBB1433_558:                           ;   Parent Loop BB1433_12 Depth=1
                                        ; =>  This Inner Loop Header: Depth=2
	s_add_i32 s71, s58, 0x800
	s_cmp_gt_u32 s71, s81
	s_cbranch_scc1 .LBB1433_560
; %bb.559:                              ;   in Loop: Header=BB1433_558 Depth=2
	s_lshl_b64 s[38:39], s[58:59], 2
	v_mov_b32_e32 v4, s39
	v_add_co_u32_e32 v18, vcc, s38, v98
	v_addc_co_u32_e32 v19, vcc, v99, v4, vcc
	global_load_dword v12, v[18:19], off
	global_load_dword v13, v[18:19], off offset:256
	global_load_dword v14, v[18:19], off offset:512
	;; [unrolled: 1-line block ×5, first 2 shown]
	s_nop 0
	global_load_dword v18, v[18:19], off offset:1536
	s_mov_b64 s[38:39], -1
	s_movk_i32 s42, 0x800
	s_cbranch_execz .LBB1433_561
	s_branch .LBB1433_570
.LBB1433_560:                           ;   in Loop: Header=BB1433_558 Depth=2
	s_mov_b64 s[38:39], 0
                                        ; implicit-def: $vgpr12_vgpr13_vgpr14_vgpr15_vgpr16_vgpr17_vgpr18_vgpr19
	s_movk_i32 s42, 0x800
.LBB1433_561:                           ;   in Loop: Header=BB1433_558 Depth=2
	s_lshl_b64 s[38:39], s[58:59], 2
	v_mov_b32_e32 v4, s39
	v_add_co_u32_e32 v30, vcc, s38, v98
	s_waitcnt vmcnt(6)
	v_mov_b32_e32 v12, v11
	s_waitcnt vmcnt(5)
	v_mov_b32_e32 v13, v11
	;; [unrolled: 2-line block ×7, first 2 shown]
	v_addc_co_u32_e32 v31, vcc, v99, v4, vcc
	v_mov_b32_e32 v19, v18
	v_cmp_gt_u32_e32 vcc, s70, v84
	v_mov_b32_e32 v18, v17
	v_mov_b32_e32 v17, v16
	;; [unrolled: 1-line block ×7, first 2 shown]
	s_and_saveexec_b64 s[38:39], vcc
	s_cbranch_execnz .LBB1433_664
; %bb.562:                              ;   in Loop: Header=BB1433_558 Depth=2
	s_or_b64 exec, exec, s[38:39]
	v_cmp_gt_u32_e32 vcc, s70, v91
	s_and_saveexec_b64 s[38:39], vcc
	s_cbranch_execnz .LBB1433_665
.LBB1433_563:                           ;   in Loop: Header=BB1433_558 Depth=2
	s_or_b64 exec, exec, s[38:39]
	v_cmp_gt_u32_e32 vcc, s70, v92
	s_and_saveexec_b64 s[38:39], vcc
	s_cbranch_execnz .LBB1433_666
.LBB1433_564:                           ;   in Loop: Header=BB1433_558 Depth=2
	s_or_b64 exec, exec, s[38:39]
	v_cmp_gt_u32_e32 vcc, s70, v93
	s_and_saveexec_b64 s[38:39], vcc
	s_cbranch_execnz .LBB1433_667
.LBB1433_565:                           ;   in Loop: Header=BB1433_558 Depth=2
	s_or_b64 exec, exec, s[38:39]
	v_cmp_gt_u32_e32 vcc, s70, v94
	s_and_saveexec_b64 s[38:39], vcc
	s_cbranch_execnz .LBB1433_668
.LBB1433_566:                           ;   in Loop: Header=BB1433_558 Depth=2
	s_or_b64 exec, exec, s[38:39]
	v_cmp_gt_u32_e32 vcc, s70, v95
	s_and_saveexec_b64 s[38:39], vcc
	s_cbranch_execnz .LBB1433_669
.LBB1433_567:                           ;   in Loop: Header=BB1433_558 Depth=2
	s_or_b64 exec, exec, s[38:39]
	v_cmp_gt_u32_e32 vcc, s70, v96
	s_and_saveexec_b64 s[38:39], vcc
	s_cbranch_execz .LBB1433_569
.LBB1433_568:                           ;   in Loop: Header=BB1433_558 Depth=2
	global_load_dword v18, v[30:31], off offset:1536
.LBB1433_569:                           ;   in Loop: Header=BB1433_558 Depth=2
	s_or_b64 exec, exec, s[38:39]
	s_sub_i32 s42, s81, s58
	v_cmp_gt_u32_e64 s[38:39], s70, v97
.LBB1433_570:                           ;   in Loop: Header=BB1433_558 Depth=2
	v_mov_b32_e32 v101, s70
	s_and_saveexec_b64 s[40:41], s[38:39]
	s_cbranch_execz .LBB1433_572
; %bb.571:                              ;   in Loop: Header=BB1433_558 Depth=2
	s_lshl_b64 s[38:39], s[58:59], 2
	v_mov_b32_e32 v4, s39
	v_add_co_u32_e32 v30, vcc, s38, v98
	v_addc_co_u32_e32 v31, vcc, v99, v4, vcc
	global_load_dword v19, v[30:31], off offset:1792
	v_mov_b32_e32 v101, s42
.LBB1433_572:                           ;   in Loop: Header=BB1433_558 Depth=2
	s_or_b64 exec, exec, s[40:41]
	s_waitcnt vmcnt(0)
	v_cmp_lt_i32_e32 vcc, -1, v12
	v_cndmask_b32_e32 v4, -1, v73, vcc
	v_xor_b32_e32 v102, v4, v12
	v_cmp_ne_u32_e32 vcc, s7, v102
	v_cndmask_b32_e32 v4, v73, v102, vcc
	v_lshrrev_b32_e32 v4, s77, v4
	v_and_b32_e32 v12, s63, v4
	v_and_b32_e32 v4, 1, v12
	v_add_co_u32_e32 v30, vcc, -1, v4
	v_addc_co_u32_e64 v31, s[38:39], 0, -1, vcc
	v_cmp_ne_u32_e32 vcc, 0, v4
	v_xor_b32_e32 v4, vcc_hi, v31
	v_and_b32_e32 v31, exec_hi, v4
	v_lshlrev_b32_e32 v4, 30, v12
	v_xor_b32_e32 v30, vcc_lo, v30
	v_cmp_gt_i64_e32 vcc, 0, v[3:4]
	v_not_b32_e32 v4, v4
	v_ashrrev_i32_e32 v4, 31, v4
	v_and_b32_e32 v30, exec_lo, v30
	v_xor_b32_e32 v105, vcc_hi, v4
	v_xor_b32_e32 v4, vcc_lo, v4
	v_and_b32_e32 v30, v30, v4
	v_lshlrev_b32_e32 v4, 29, v12
	v_cmp_gt_i64_e32 vcc, 0, v[3:4]
	v_not_b32_e32 v4, v4
	v_ashrrev_i32_e32 v4, 31, v4
	v_and_b32_e32 v31, v31, v105
	v_xor_b32_e32 v105, vcc_hi, v4
	v_xor_b32_e32 v4, vcc_lo, v4
	v_and_b32_e32 v30, v30, v4
	v_lshlrev_b32_e32 v4, 28, v12
	v_cmp_gt_i64_e32 vcc, 0, v[3:4]
	v_not_b32_e32 v4, v4
	v_ashrrev_i32_e32 v4, 31, v4
	v_and_b32_e32 v31, v31, v105
	;; [unrolled: 8-line block ×5, first 2 shown]
	v_xor_b32_e32 v105, vcc_hi, v4
	v_xor_b32_e32 v4, vcc_lo, v4
	v_and_b32_e32 v30, v30, v4
	v_lshlrev_b32_e32 v4, 24, v12
	v_cmp_gt_i64_e32 vcc, 0, v[3:4]
	v_not_b32_e32 v4, v4
	v_ashrrev_i32_e32 v4, 31, v4
	v_mul_u32_u24_e32 v106, 20, v12
	v_xor_b32_e32 v12, vcc_hi, v4
	v_xor_b32_e32 v4, vcc_lo, v4
	v_and_b32_e32 v31, v31, v105
	v_and_b32_e32 v30, v30, v4
	;; [unrolled: 1-line block ×3, first 2 shown]
	v_mbcnt_lo_u32_b32 v4, v30, 0
	v_mbcnt_hi_u32_b32 v105, v31, v4
	v_cmp_ne_u64_e32 vcc, 0, v[30:31]
	v_cmp_eq_u32_e64 s[38:39], 0, v105
	v_add_u32_e32 v104, 0x410, v49
	v_add_u32_e32 v103, 0x418, v49
	s_and_b64 s[40:41], vcc, s[38:39]
	v_add_u32_e32 v106, v100, v106
	ds_write2_b32 v104, v3, v3 offset1:1
	ds_write2_b32 v103, v3, v3 offset1:1
	ds_write_b32 v49, v3 offset:1056
	s_waitcnt lgkmcnt(0)
	s_barrier
	; wave barrier
	s_and_saveexec_b64 s[38:39], s[40:41]
; %bb.573:                              ;   in Loop: Header=BB1433_558 Depth=2
	v_bcnt_u32_b32 v4, v30, 0
	v_bcnt_u32_b32 v4, v31, v4
	ds_write_b32 v106, v4 offset:1040
; %bb.574:                              ;   in Loop: Header=BB1433_558 Depth=2
	s_or_b64 exec, exec, s[38:39]
	v_cmp_lt_i32_e32 vcc, -1, v13
	v_cndmask_b32_e32 v4, -1, v73, vcc
	v_xor_b32_e32 v30, v4, v13
	v_cmp_ne_u32_e32 vcc, s7, v30
	v_cndmask_b32_e32 v4, v73, v30, vcc
	v_lshrrev_b32_e32 v4, s77, v4
	v_and_b32_e32 v12, s63, v4
	v_mad_u32_u24 v4, v12, 20, v100
	; wave barrier
	ds_read_b32 v31, v4 offset:1040
	v_and_b32_e32 v4, 1, v12
	v_add_co_u32_e32 v13, vcc, -1, v4
	v_addc_co_u32_e64 v107, s[38:39], 0, -1, vcc
	v_cmp_ne_u32_e32 vcc, 0, v4
	v_xor_b32_e32 v4, vcc_hi, v107
	v_and_b32_e32 v107, exec_hi, v4
	v_lshlrev_b32_e32 v4, 30, v12
	v_xor_b32_e32 v13, vcc_lo, v13
	v_cmp_gt_i64_e32 vcc, 0, v[3:4]
	v_not_b32_e32 v4, v4
	v_ashrrev_i32_e32 v4, 31, v4
	v_and_b32_e32 v13, exec_lo, v13
	v_xor_b32_e32 v109, vcc_hi, v4
	v_xor_b32_e32 v4, vcc_lo, v4
	v_and_b32_e32 v13, v13, v4
	v_lshlrev_b32_e32 v4, 29, v12
	v_cmp_gt_i64_e32 vcc, 0, v[3:4]
	v_not_b32_e32 v4, v4
	v_ashrrev_i32_e32 v4, 31, v4
	v_and_b32_e32 v107, v107, v109
	v_xor_b32_e32 v109, vcc_hi, v4
	v_xor_b32_e32 v4, vcc_lo, v4
	v_and_b32_e32 v13, v13, v4
	v_lshlrev_b32_e32 v4, 28, v12
	v_cmp_gt_i64_e32 vcc, 0, v[3:4]
	v_not_b32_e32 v4, v4
	v_ashrrev_i32_e32 v4, 31, v4
	v_and_b32_e32 v107, v107, v109
	;; [unrolled: 8-line block ×5, first 2 shown]
	v_xor_b32_e32 v109, vcc_hi, v4
	v_xor_b32_e32 v4, vcc_lo, v4
	v_and_b32_e32 v107, v107, v109
	v_and_b32_e32 v109, v13, v4
	v_lshlrev_b32_e32 v4, 24, v12
	v_cmp_gt_i64_e32 vcc, 0, v[3:4]
	v_not_b32_e32 v4, v4
	v_ashrrev_i32_e32 v4, 31, v4
	v_mul_u32_u24_e32 v108, 20, v12
	v_xor_b32_e32 v12, vcc_hi, v4
	v_xor_b32_e32 v4, vcc_lo, v4
	v_and_b32_e32 v13, v107, v12
	v_and_b32_e32 v12, v109, v4
	v_mbcnt_lo_u32_b32 v4, v12, 0
	v_mbcnt_hi_u32_b32 v107, v13, v4
	v_cmp_ne_u64_e32 vcc, 0, v[12:13]
	v_cmp_eq_u32_e64 s[38:39], 0, v107
	s_and_b64 s[40:41], vcc, s[38:39]
	v_add_u32_e32 v110, v100, v108
	; wave barrier
	s_and_saveexec_b64 s[38:39], s[40:41]
	s_cbranch_execz .LBB1433_576
; %bb.575:                              ;   in Loop: Header=BB1433_558 Depth=2
	v_bcnt_u32_b32 v4, v12, 0
	v_bcnt_u32_b32 v4, v13, v4
	s_waitcnt lgkmcnt(0)
	v_add_u32_e32 v4, v31, v4
	ds_write_b32 v110, v4 offset:1040
.LBB1433_576:                           ;   in Loop: Header=BB1433_558 Depth=2
	s_or_b64 exec, exec, s[38:39]
	v_cmp_lt_i32_e32 vcc, -1, v14
	v_cndmask_b32_e32 v4, -1, v73, vcc
	v_xor_b32_e32 v108, v4, v14
	v_cmp_ne_u32_e32 vcc, s7, v108
	v_cndmask_b32_e32 v4, v73, v108, vcc
	v_lshrrev_b32_e32 v4, s77, v4
	v_and_b32_e32 v12, s63, v4
	v_mad_u32_u24 v4, v12, 20, v100
	; wave barrier
	ds_read_b32 v109, v4 offset:1040
	v_and_b32_e32 v4, 1, v12
	v_add_co_u32_e32 v13, vcc, -1, v4
	v_addc_co_u32_e64 v111, s[38:39], 0, -1, vcc
	v_cmp_ne_u32_e32 vcc, 0, v4
	v_xor_b32_e32 v4, vcc_hi, v111
	v_and_b32_e32 v111, exec_hi, v4
	v_lshlrev_b32_e32 v4, 30, v12
	v_xor_b32_e32 v13, vcc_lo, v13
	v_cmp_gt_i64_e32 vcc, 0, v[3:4]
	v_not_b32_e32 v4, v4
	v_ashrrev_i32_e32 v4, 31, v4
	v_and_b32_e32 v13, exec_lo, v13
	v_xor_b32_e32 v112, vcc_hi, v4
	v_xor_b32_e32 v4, vcc_lo, v4
	v_and_b32_e32 v13, v13, v4
	v_lshlrev_b32_e32 v4, 29, v12
	v_cmp_gt_i64_e32 vcc, 0, v[3:4]
	v_not_b32_e32 v4, v4
	v_ashrrev_i32_e32 v4, 31, v4
	v_and_b32_e32 v111, v111, v112
	v_xor_b32_e32 v112, vcc_hi, v4
	v_xor_b32_e32 v4, vcc_lo, v4
	v_and_b32_e32 v13, v13, v4
	v_lshlrev_b32_e32 v4, 28, v12
	v_cmp_gt_i64_e32 vcc, 0, v[3:4]
	v_not_b32_e32 v4, v4
	v_ashrrev_i32_e32 v4, 31, v4
	v_and_b32_e32 v111, v111, v112
	;; [unrolled: 8-line block ×5, first 2 shown]
	v_xor_b32_e32 v112, vcc_hi, v4
	v_xor_b32_e32 v4, vcc_lo, v4
	v_and_b32_e32 v111, v111, v112
	v_and_b32_e32 v112, v13, v4
	v_lshlrev_b32_e32 v4, 24, v12
	v_cmp_gt_i64_e32 vcc, 0, v[3:4]
	v_not_b32_e32 v4, v4
	v_ashrrev_i32_e32 v4, 31, v4
	v_mul_u32_u24_e32 v14, 20, v12
	v_xor_b32_e32 v12, vcc_hi, v4
	v_xor_b32_e32 v4, vcc_lo, v4
	v_and_b32_e32 v13, v111, v12
	v_and_b32_e32 v12, v112, v4
	v_mbcnt_lo_u32_b32 v4, v12, 0
	v_mbcnt_hi_u32_b32 v111, v13, v4
	v_cmp_ne_u64_e32 vcc, 0, v[12:13]
	v_cmp_eq_u32_e64 s[38:39], 0, v111
	s_and_b64 s[40:41], vcc, s[38:39]
	v_add_u32_e32 v114, v100, v14
	; wave barrier
	s_and_saveexec_b64 s[38:39], s[40:41]
	s_cbranch_execz .LBB1433_578
; %bb.577:                              ;   in Loop: Header=BB1433_558 Depth=2
	v_bcnt_u32_b32 v4, v12, 0
	v_bcnt_u32_b32 v4, v13, v4
	s_waitcnt lgkmcnt(0)
	v_add_u32_e32 v4, v109, v4
	ds_write_b32 v114, v4 offset:1040
.LBB1433_578:                           ;   in Loop: Header=BB1433_558 Depth=2
	s_or_b64 exec, exec, s[38:39]
	v_cmp_lt_i32_e32 vcc, -1, v15
	v_cndmask_b32_e32 v4, -1, v73, vcc
	v_xor_b32_e32 v112, v4, v15
	v_cmp_ne_u32_e32 vcc, s7, v112
	v_cndmask_b32_e32 v4, v73, v112, vcc
	v_lshrrev_b32_e32 v4, s77, v4
	v_and_b32_e32 v12, s63, v4
	v_mad_u32_u24 v4, v12, 20, v100
	; wave barrier
	ds_read_b32 v113, v4 offset:1040
	v_and_b32_e32 v4, 1, v12
	v_add_co_u32_e32 v13, vcc, -1, v4
	v_addc_co_u32_e64 v15, s[38:39], 0, -1, vcc
	v_cmp_ne_u32_e32 vcc, 0, v4
	v_xor_b32_e32 v4, vcc_hi, v15
	v_and_b32_e32 v15, exec_hi, v4
	v_lshlrev_b32_e32 v4, 30, v12
	v_xor_b32_e32 v13, vcc_lo, v13
	v_cmp_gt_i64_e32 vcc, 0, v[3:4]
	v_not_b32_e32 v4, v4
	v_ashrrev_i32_e32 v4, 31, v4
	v_and_b32_e32 v13, exec_lo, v13
	v_xor_b32_e32 v115, vcc_hi, v4
	v_xor_b32_e32 v4, vcc_lo, v4
	v_and_b32_e32 v13, v13, v4
	v_lshlrev_b32_e32 v4, 29, v12
	v_cmp_gt_i64_e32 vcc, 0, v[3:4]
	v_not_b32_e32 v4, v4
	v_ashrrev_i32_e32 v4, 31, v4
	v_and_b32_e32 v15, v15, v115
	v_xor_b32_e32 v115, vcc_hi, v4
	v_xor_b32_e32 v4, vcc_lo, v4
	v_and_b32_e32 v13, v13, v4
	v_lshlrev_b32_e32 v4, 28, v12
	v_cmp_gt_i64_e32 vcc, 0, v[3:4]
	v_not_b32_e32 v4, v4
	v_ashrrev_i32_e32 v4, 31, v4
	v_and_b32_e32 v15, v15, v115
	;; [unrolled: 8-line block ×5, first 2 shown]
	v_xor_b32_e32 v115, vcc_hi, v4
	v_xor_b32_e32 v4, vcc_lo, v4
	v_and_b32_e32 v15, v15, v115
	v_and_b32_e32 v115, v13, v4
	v_lshlrev_b32_e32 v4, 24, v12
	v_cmp_gt_i64_e32 vcc, 0, v[3:4]
	v_not_b32_e32 v4, v4
	v_ashrrev_i32_e32 v4, 31, v4
	v_mul_u32_u24_e32 v14, 20, v12
	v_xor_b32_e32 v12, vcc_hi, v4
	v_xor_b32_e32 v4, vcc_lo, v4
	v_and_b32_e32 v13, v15, v12
	v_and_b32_e32 v12, v115, v4
	v_mbcnt_lo_u32_b32 v4, v12, 0
	v_mbcnt_hi_u32_b32 v115, v13, v4
	v_cmp_ne_u64_e32 vcc, 0, v[12:13]
	v_cmp_eq_u32_e64 s[38:39], 0, v115
	s_and_b64 s[40:41], vcc, s[38:39]
	v_add_u32_e32 v117, v100, v14
	; wave barrier
	s_and_saveexec_b64 s[38:39], s[40:41]
	s_cbranch_execz .LBB1433_580
; %bb.579:                              ;   in Loop: Header=BB1433_558 Depth=2
	v_bcnt_u32_b32 v4, v12, 0
	v_bcnt_u32_b32 v4, v13, v4
	s_waitcnt lgkmcnt(0)
	v_add_u32_e32 v4, v113, v4
	ds_write_b32 v117, v4 offset:1040
.LBB1433_580:                           ;   in Loop: Header=BB1433_558 Depth=2
	s_or_b64 exec, exec, s[38:39]
	v_cmp_lt_i32_e32 vcc, -1, v16
	v_cndmask_b32_e32 v4, -1, v73, vcc
	v_xor_b32_e32 v116, v4, v16
	v_cmp_ne_u32_e32 vcc, s7, v116
	v_cndmask_b32_e32 v4, v73, v116, vcc
	v_lshrrev_b32_e32 v4, s77, v4
	v_and_b32_e32 v12, s63, v4
	v_mad_u32_u24 v4, v12, 20, v100
	; wave barrier
	ds_read_b32 v16, v4 offset:1040
	v_and_b32_e32 v4, 1, v12
	v_add_co_u32_e32 v13, vcc, -1, v4
	v_addc_co_u32_e64 v15, s[38:39], 0, -1, vcc
	v_cmp_ne_u32_e32 vcc, 0, v4
	v_xor_b32_e32 v4, vcc_hi, v15
	v_and_b32_e32 v15, exec_hi, v4
	v_lshlrev_b32_e32 v4, 30, v12
	v_xor_b32_e32 v13, vcc_lo, v13
	v_cmp_gt_i64_e32 vcc, 0, v[3:4]
	v_not_b32_e32 v4, v4
	v_ashrrev_i32_e32 v4, 31, v4
	v_and_b32_e32 v13, exec_lo, v13
	v_xor_b32_e32 v118, vcc_hi, v4
	v_xor_b32_e32 v4, vcc_lo, v4
	v_and_b32_e32 v13, v13, v4
	v_lshlrev_b32_e32 v4, 29, v12
	v_cmp_gt_i64_e32 vcc, 0, v[3:4]
	v_not_b32_e32 v4, v4
	v_ashrrev_i32_e32 v4, 31, v4
	v_and_b32_e32 v15, v15, v118
	v_xor_b32_e32 v118, vcc_hi, v4
	v_xor_b32_e32 v4, vcc_lo, v4
	v_and_b32_e32 v13, v13, v4
	v_lshlrev_b32_e32 v4, 28, v12
	v_cmp_gt_i64_e32 vcc, 0, v[3:4]
	v_not_b32_e32 v4, v4
	v_ashrrev_i32_e32 v4, 31, v4
	v_and_b32_e32 v15, v15, v118
	;; [unrolled: 8-line block ×5, first 2 shown]
	v_xor_b32_e32 v118, vcc_hi, v4
	v_xor_b32_e32 v4, vcc_lo, v4
	v_and_b32_e32 v15, v15, v118
	v_and_b32_e32 v118, v13, v4
	v_lshlrev_b32_e32 v4, 24, v12
	v_cmp_gt_i64_e32 vcc, 0, v[3:4]
	v_not_b32_e32 v4, v4
	v_ashrrev_i32_e32 v4, 31, v4
	v_mul_u32_u24_e32 v14, 20, v12
	v_xor_b32_e32 v12, vcc_hi, v4
	v_xor_b32_e32 v4, vcc_lo, v4
	v_and_b32_e32 v13, v15, v12
	v_and_b32_e32 v12, v118, v4
	v_mbcnt_lo_u32_b32 v4, v12, 0
	v_mbcnt_hi_u32_b32 v118, v13, v4
	v_cmp_ne_u64_e32 vcc, 0, v[12:13]
	v_cmp_eq_u32_e64 s[38:39], 0, v118
	s_and_b64 s[40:41], vcc, s[38:39]
	v_add_u32_e32 v121, v100, v14
	; wave barrier
	s_and_saveexec_b64 s[38:39], s[40:41]
	s_cbranch_execz .LBB1433_582
; %bb.581:                              ;   in Loop: Header=BB1433_558 Depth=2
	v_bcnt_u32_b32 v4, v12, 0
	v_bcnt_u32_b32 v4, v13, v4
	s_waitcnt lgkmcnt(0)
	v_add_u32_e32 v4, v16, v4
	ds_write_b32 v121, v4 offset:1040
.LBB1433_582:                           ;   in Loop: Header=BB1433_558 Depth=2
	s_or_b64 exec, exec, s[38:39]
	v_cmp_lt_i32_e32 vcc, -1, v17
	v_cndmask_b32_e32 v4, -1, v73, vcc
	v_xor_b32_e32 v119, v4, v17
	v_cmp_ne_u32_e32 vcc, s7, v119
	v_cndmask_b32_e32 v4, v73, v119, vcc
	v_lshrrev_b32_e32 v4, s77, v4
	v_and_b32_e32 v12, s63, v4
	v_mad_u32_u24 v4, v12, 20, v100
	; wave barrier
	ds_read_b32 v120, v4 offset:1040
	v_and_b32_e32 v4, 1, v12
	v_add_co_u32_e32 v13, vcc, -1, v4
	v_addc_co_u32_e64 v15, s[38:39], 0, -1, vcc
	v_cmp_ne_u32_e32 vcc, 0, v4
	v_xor_b32_e32 v4, vcc_hi, v15
	v_and_b32_e32 v15, exec_hi, v4
	v_lshlrev_b32_e32 v4, 30, v12
	v_xor_b32_e32 v13, vcc_lo, v13
	v_cmp_gt_i64_e32 vcc, 0, v[3:4]
	v_not_b32_e32 v4, v4
	v_ashrrev_i32_e32 v4, 31, v4
	v_and_b32_e32 v13, exec_lo, v13
	v_xor_b32_e32 v17, vcc_hi, v4
	v_xor_b32_e32 v4, vcc_lo, v4
	v_and_b32_e32 v13, v13, v4
	v_lshlrev_b32_e32 v4, 29, v12
	v_cmp_gt_i64_e32 vcc, 0, v[3:4]
	v_not_b32_e32 v4, v4
	v_ashrrev_i32_e32 v4, 31, v4
	v_and_b32_e32 v15, v15, v17
	v_xor_b32_e32 v17, vcc_hi, v4
	v_xor_b32_e32 v4, vcc_lo, v4
	v_and_b32_e32 v13, v13, v4
	v_lshlrev_b32_e32 v4, 28, v12
	v_cmp_gt_i64_e32 vcc, 0, v[3:4]
	v_not_b32_e32 v4, v4
	v_ashrrev_i32_e32 v4, 31, v4
	v_and_b32_e32 v15, v15, v17
	;; [unrolled: 8-line block ×5, first 2 shown]
	v_xor_b32_e32 v17, vcc_hi, v4
	v_xor_b32_e32 v4, vcc_lo, v4
	v_and_b32_e32 v15, v15, v17
	v_and_b32_e32 v17, v13, v4
	v_lshlrev_b32_e32 v4, 24, v12
	v_cmp_gt_i64_e32 vcc, 0, v[3:4]
	v_not_b32_e32 v4, v4
	v_ashrrev_i32_e32 v4, 31, v4
	v_mul_u32_u24_e32 v14, 20, v12
	v_xor_b32_e32 v12, vcc_hi, v4
	v_xor_b32_e32 v4, vcc_lo, v4
	v_and_b32_e32 v13, v15, v12
	v_and_b32_e32 v12, v17, v4
	v_mbcnt_lo_u32_b32 v4, v12, 0
	v_mbcnt_hi_u32_b32 v122, v13, v4
	v_cmp_ne_u64_e32 vcc, 0, v[12:13]
	v_cmp_eq_u32_e64 s[38:39], 0, v122
	s_and_b64 s[40:41], vcc, s[38:39]
	v_add_u32_e32 v17, v100, v14
	; wave barrier
	s_and_saveexec_b64 s[38:39], s[40:41]
	s_cbranch_execz .LBB1433_584
; %bb.583:                              ;   in Loop: Header=BB1433_558 Depth=2
	v_bcnt_u32_b32 v4, v12, 0
	v_bcnt_u32_b32 v4, v13, v4
	s_waitcnt lgkmcnt(0)
	v_add_u32_e32 v4, v120, v4
	ds_write_b32 v17, v4 offset:1040
.LBB1433_584:                           ;   in Loop: Header=BB1433_558 Depth=2
	s_or_b64 exec, exec, s[38:39]
	v_cmp_lt_i32_e32 vcc, -1, v18
	v_cndmask_b32_e32 v4, -1, v73, vcc
	v_xor_b32_e32 v123, v4, v18
	v_cmp_ne_u32_e32 vcc, s7, v123
	v_cndmask_b32_e32 v4, v73, v123, vcc
	v_lshrrev_b32_e32 v4, s77, v4
	v_and_b32_e32 v12, s63, v4
	v_mad_u32_u24 v4, v12, 20, v100
	; wave barrier
	ds_read_b32 v124, v4 offset:1040
	v_and_b32_e32 v4, 1, v12
	v_add_co_u32_e32 v13, vcc, -1, v4
	v_addc_co_u32_e64 v15, s[38:39], 0, -1, vcc
	v_cmp_ne_u32_e32 vcc, 0, v4
	v_xor_b32_e32 v4, vcc_hi, v15
	v_and_b32_e32 v15, exec_hi, v4
	v_lshlrev_b32_e32 v4, 30, v12
	v_xor_b32_e32 v13, vcc_lo, v13
	v_cmp_gt_i64_e32 vcc, 0, v[3:4]
	v_not_b32_e32 v4, v4
	v_ashrrev_i32_e32 v4, 31, v4
	v_and_b32_e32 v13, exec_lo, v13
	v_xor_b32_e32 v18, vcc_hi, v4
	v_xor_b32_e32 v4, vcc_lo, v4
	v_and_b32_e32 v13, v13, v4
	v_lshlrev_b32_e32 v4, 29, v12
	v_cmp_gt_i64_e32 vcc, 0, v[3:4]
	v_not_b32_e32 v4, v4
	v_ashrrev_i32_e32 v4, 31, v4
	v_and_b32_e32 v15, v15, v18
	v_xor_b32_e32 v18, vcc_hi, v4
	v_xor_b32_e32 v4, vcc_lo, v4
	v_and_b32_e32 v13, v13, v4
	v_lshlrev_b32_e32 v4, 28, v12
	v_cmp_gt_i64_e32 vcc, 0, v[3:4]
	v_not_b32_e32 v4, v4
	v_ashrrev_i32_e32 v4, 31, v4
	v_and_b32_e32 v15, v15, v18
	;; [unrolled: 8-line block ×5, first 2 shown]
	v_xor_b32_e32 v18, vcc_hi, v4
	v_xor_b32_e32 v4, vcc_lo, v4
	v_and_b32_e32 v15, v15, v18
	v_and_b32_e32 v18, v13, v4
	v_lshlrev_b32_e32 v4, 24, v12
	v_cmp_gt_i64_e32 vcc, 0, v[3:4]
	v_not_b32_e32 v4, v4
	v_ashrrev_i32_e32 v4, 31, v4
	v_mul_u32_u24_e32 v14, 20, v12
	v_xor_b32_e32 v12, vcc_hi, v4
	v_xor_b32_e32 v4, vcc_lo, v4
	v_and_b32_e32 v13, v15, v12
	v_and_b32_e32 v12, v18, v4
	v_mbcnt_lo_u32_b32 v4, v12, 0
	v_mbcnt_hi_u32_b32 v125, v13, v4
	v_cmp_ne_u64_e32 vcc, 0, v[12:13]
	v_cmp_eq_u32_e64 s[38:39], 0, v125
	s_and_b64 s[40:41], vcc, s[38:39]
	v_add_u32_e32 v18, v100, v14
	; wave barrier
	s_and_saveexec_b64 s[38:39], s[40:41]
	s_cbranch_execz .LBB1433_586
; %bb.585:                              ;   in Loop: Header=BB1433_558 Depth=2
	v_bcnt_u32_b32 v4, v12, 0
	v_bcnt_u32_b32 v4, v13, v4
	s_waitcnt lgkmcnt(0)
	v_add_u32_e32 v4, v124, v4
	ds_write_b32 v18, v4 offset:1040
.LBB1433_586:                           ;   in Loop: Header=BB1433_558 Depth=2
	s_or_b64 exec, exec, s[38:39]
	v_cmp_lt_i32_e32 vcc, -1, v19
	v_cndmask_b32_e32 v4, -1, v73, vcc
	v_xor_b32_e32 v126, v4, v19
	v_cmp_ne_u32_e32 vcc, s7, v126
	v_cndmask_b32_e32 v4, v73, v126, vcc
	v_lshrrev_b32_e32 v4, s77, v4
	v_and_b32_e32 v12, s63, v4
	v_mad_u32_u24 v4, v12, 20, v100
	; wave barrier
	ds_read_b32 v127, v4 offset:1040
	v_and_b32_e32 v4, 1, v12
	v_add_co_u32_e32 v13, vcc, -1, v4
	v_addc_co_u32_e64 v15, s[38:39], 0, -1, vcc
	v_cmp_ne_u32_e32 vcc, 0, v4
	v_xor_b32_e32 v4, vcc_hi, v15
	v_and_b32_e32 v15, exec_hi, v4
	v_lshlrev_b32_e32 v4, 30, v12
	v_xor_b32_e32 v13, vcc_lo, v13
	v_cmp_gt_i64_e32 vcc, 0, v[3:4]
	v_not_b32_e32 v4, v4
	v_ashrrev_i32_e32 v4, 31, v4
	v_and_b32_e32 v13, exec_lo, v13
	v_xor_b32_e32 v19, vcc_hi, v4
	v_xor_b32_e32 v4, vcc_lo, v4
	v_and_b32_e32 v13, v13, v4
	v_lshlrev_b32_e32 v4, 29, v12
	v_cmp_gt_i64_e32 vcc, 0, v[3:4]
	v_not_b32_e32 v4, v4
	v_ashrrev_i32_e32 v4, 31, v4
	v_and_b32_e32 v15, v15, v19
	v_xor_b32_e32 v19, vcc_hi, v4
	v_xor_b32_e32 v4, vcc_lo, v4
	v_and_b32_e32 v13, v13, v4
	v_lshlrev_b32_e32 v4, 28, v12
	v_cmp_gt_i64_e32 vcc, 0, v[3:4]
	v_not_b32_e32 v4, v4
	v_ashrrev_i32_e32 v4, 31, v4
	v_and_b32_e32 v15, v15, v19
	;; [unrolled: 8-line block ×5, first 2 shown]
	v_xor_b32_e32 v19, vcc_hi, v4
	v_xor_b32_e32 v4, vcc_lo, v4
	v_and_b32_e32 v15, v15, v19
	v_and_b32_e32 v19, v13, v4
	v_lshlrev_b32_e32 v4, 24, v12
	v_cmp_gt_i64_e32 vcc, 0, v[3:4]
	v_not_b32_e32 v4, v4
	v_ashrrev_i32_e32 v4, 31, v4
	v_mul_u32_u24_e32 v14, 20, v12
	v_xor_b32_e32 v12, vcc_hi, v4
	v_xor_b32_e32 v4, vcc_lo, v4
	v_and_b32_e32 v13, v15, v12
	v_and_b32_e32 v12, v19, v4
	v_mbcnt_lo_u32_b32 v4, v12, 0
	v_mbcnt_hi_u32_b32 v128, v13, v4
	v_cmp_ne_u64_e32 vcc, 0, v[12:13]
	v_cmp_eq_u32_e64 s[38:39], 0, v128
	s_and_b64 s[40:41], vcc, s[38:39]
	v_add_u32_e32 v4, v100, v14
	; wave barrier
	s_and_saveexec_b64 s[38:39], s[40:41]
	s_cbranch_execz .LBB1433_588
; %bb.587:                              ;   in Loop: Header=BB1433_558 Depth=2
	v_bcnt_u32_b32 v12, v12, 0
	v_bcnt_u32_b32 v12, v13, v12
	s_waitcnt lgkmcnt(0)
	v_add_u32_e32 v12, v127, v12
	ds_write_b32 v4, v12 offset:1040
.LBB1433_588:                           ;   in Loop: Header=BB1433_558 Depth=2
	s_or_b64 exec, exec, s[38:39]
	; wave barrier
	s_waitcnt lgkmcnt(0)
	s_barrier
	ds_read2_b32 v[14:15], v104 offset1:1
	ds_read2_b32 v[12:13], v103 offset1:1
	ds_read_b32 v19, v49 offset:1056
	s_waitcnt lgkmcnt(1)
	v_add3_u32 v129, v15, v14, v12
	s_waitcnt lgkmcnt(0)
	v_add3_u32 v19, v129, v13, v19
	s_nop 1
	v_mov_b32_dpp v129, v19 row_shr:1 row_mask:0xf bank_mask:0xf
	v_cndmask_b32_e64 v129, v129, 0, s[18:19]
	v_add_u32_e32 v19, v129, v19
	s_nop 1
	v_mov_b32_dpp v129, v19 row_shr:2 row_mask:0xf bank_mask:0xf
	v_cndmask_b32_e64 v129, 0, v129, s[20:21]
	v_add_u32_e32 v19, v19, v129
	;; [unrolled: 4-line block ×4, first 2 shown]
	s_nop 1
	v_mov_b32_dpp v129, v19 row_bcast:15 row_mask:0xf bank_mask:0xf
	v_cndmask_b32_e64 v129, v129, 0, s[26:27]
	v_add_u32_e32 v19, v19, v129
	s_nop 1
	v_mov_b32_dpp v129, v19 row_bcast:31 row_mask:0xf bank_mask:0xf
	v_cndmask_b32_e64 v129, 0, v129, s[28:29]
	v_add_u32_e32 v19, v19, v129
	s_and_saveexec_b64 s[38:39], s[8:9]
; %bb.589:                              ;   in Loop: Header=BB1433_558 Depth=2
	ds_write_b32 v44, v19 offset:1024
; %bb.590:                              ;   in Loop: Header=BB1433_558 Depth=2
	s_or_b64 exec, exec, s[38:39]
	s_waitcnt lgkmcnt(0)
	s_barrier
	s_and_saveexec_b64 s[38:39], s[10:11]
	s_cbranch_execz .LBB1433_592
; %bb.591:                              ;   in Loop: Header=BB1433_558 Depth=2
	ds_read_b32 v129, v50 offset:1024
	s_waitcnt lgkmcnt(0)
	s_nop 0
	v_mov_b32_dpp v130, v129 row_shr:1 row_mask:0xf bank_mask:0xf
	v_cndmask_b32_e64 v130, v130, 0, s[34:35]
	v_add_u32_e32 v129, v130, v129
	s_nop 1
	v_mov_b32_dpp v130, v129 row_shr:2 row_mask:0xf bank_mask:0xf
	v_cndmask_b32_e64 v130, 0, v130, s[36:37]
	v_add_u32_e32 v129, v129, v130
	ds_write_b32 v50, v129 offset:1024
.LBB1433_592:                           ;   in Loop: Header=BB1433_558 Depth=2
	s_or_b64 exec, exec, s[38:39]
	v_mov_b32_e32 v129, 0
	s_waitcnt lgkmcnt(0)
	s_barrier
	s_and_saveexec_b64 s[38:39], s[12:13]
; %bb.593:                              ;   in Loop: Header=BB1433_558 Depth=2
	ds_read_b32 v129, v44 offset:1020
; %bb.594:                              ;   in Loop: Header=BB1433_558 Depth=2
	s_or_b64 exec, exec, s[38:39]
	s_waitcnt lgkmcnt(0)
	v_add_u32_e32 v19, v129, v19
	ds_bpermute_b32 v19, v79, v19
	s_waitcnt lgkmcnt(0)
	v_cndmask_b32_e64 v19, v19, v129, s[30:31]
	v_cndmask_b32_e64 v19, v19, 0, s[14:15]
	v_add_u32_e32 v14, v19, v14
	v_add_u32_e32 v15, v14, v15
	;; [unrolled: 1-line block ×4, first 2 shown]
	ds_write2_b32 v104, v19, v14 offset1:1
	ds_write2_b32 v103, v15, v12 offset1:1
	ds_write_b32 v49, v13 offset:1056
	s_waitcnt lgkmcnt(0)
	s_barrier
	ds_read_b32 v12, v106 offset:1040
	ds_read_b32 v13, v110 offset:1040
	;; [unrolled: 1-line block ×9, first 2 shown]
	v_mov_b32_e32 v4, 0x800
	s_and_saveexec_b64 s[38:39], s[16:17]
; %bb.595:                              ;   in Loop: Header=BB1433_558 Depth=2
	ds_read_b32 v4, v49 offset:1060
; %bb.596:                              ;   in Loop: Header=BB1433_558 Depth=2
	s_or_b64 exec, exec, s[38:39]
	s_waitcnt lgkmcnt(0)
	s_barrier
	s_and_saveexec_b64 s[38:39], s[4:5]
	s_cbranch_execz .LBB1433_598
; %bb.597:                              ;   in Loop: Header=BB1433_558 Depth=2
	ds_read_b32 v18, v32
	s_waitcnt lgkmcnt(0)
	v_sub_u32_e32 v17, v18, v17
	ds_write_b32 v32, v17
.LBB1433_598:                           ;   in Loop: Header=BB1433_558 Depth=2
	s_or_b64 exec, exec, s[38:39]
	v_add_u32_e32 v103, v12, v105
	v_add3_u32 v31, v107, v31, v13
	v_lshlrev_b32_e32 v12, 2, v103
	v_add3_u32 v19, v111, v109, v14
	ds_write_b32 v12, v102 offset:1024
	v_lshlrev_b32_e32 v12, 2, v31
	v_add3_u32 v18, v115, v113, v15
	ds_write_b32 v12, v30 offset:1024
	v_lshlrev_b32_e32 v12, 2, v19
	v_add3_u32 v17, v118, v16, v104
	ds_write_b32 v12, v108 offset:1024
	v_lshlrev_b32_e32 v12, 2, v18
	v_add3_u32 v16, v122, v120, v106
	ds_write_b32 v12, v112 offset:1024
	v_lshlrev_b32_e32 v12, 2, v17
	v_add3_u32 v15, v125, v124, v110
	ds_write_b32 v12, v116 offset:1024
	v_lshlrev_b32_e32 v12, 2, v16
	v_add3_u32 v14, v128, v127, v114
	ds_write_b32 v12, v119 offset:1024
	v_lshlrev_b32_e32 v12, 2, v15
	ds_write_b32 v12, v123 offset:1024
	v_lshlrev_b32_e32 v12, 2, v14
	v_cmp_lt_u32_e32 vcc, v0, v101
	ds_write_b32 v12, v126 offset:1024
	s_waitcnt lgkmcnt(0)
	s_barrier
	s_and_saveexec_b64 s[40:41], vcc
	s_cbranch_execnz .LBB1433_635
; %bb.599:                              ;   in Loop: Header=BB1433_558 Depth=2
	s_or_b64 exec, exec, s[40:41]
	v_cmp_lt_u32_e64 s[38:39], v33, v101
	s_and_saveexec_b64 s[42:43], s[38:39]
	s_cbranch_execnz .LBB1433_636
.LBB1433_600:                           ;   in Loop: Header=BB1433_558 Depth=2
	s_or_b64 exec, exec, s[42:43]
	v_cmp_lt_u32_e64 s[40:41], v34, v101
	s_and_saveexec_b64 s[44:45], s[40:41]
	s_cbranch_execnz .LBB1433_637
.LBB1433_601:                           ;   in Loop: Header=BB1433_558 Depth=2
	s_or_b64 exec, exec, s[44:45]
	v_cmp_lt_u32_e64 s[42:43], v35, v101
	s_and_saveexec_b64 s[46:47], s[42:43]
	s_cbranch_execnz .LBB1433_638
.LBB1433_602:                           ;   in Loop: Header=BB1433_558 Depth=2
	s_or_b64 exec, exec, s[46:47]
	v_cmp_lt_u32_e64 s[44:45], v38, v101
	s_and_saveexec_b64 s[48:49], s[44:45]
	s_cbranch_execnz .LBB1433_639
.LBB1433_603:                           ;   in Loop: Header=BB1433_558 Depth=2
	s_or_b64 exec, exec, s[48:49]
	v_cmp_lt_u32_e64 s[46:47], v39, v101
	s_and_saveexec_b64 s[50:51], s[46:47]
	s_cbranch_execnz .LBB1433_640
.LBB1433_604:                           ;   in Loop: Header=BB1433_558 Depth=2
	s_or_b64 exec, exec, s[50:51]
	v_cmp_lt_u32_e64 s[48:49], v40, v101
	s_and_saveexec_b64 s[52:53], s[48:49]
	s_cbranch_execnz .LBB1433_641
.LBB1433_605:                           ;   in Loop: Header=BB1433_558 Depth=2
	s_or_b64 exec, exec, s[52:53]
	v_cmp_lt_u32_e64 s[50:51], v41, v101
	s_and_saveexec_b64 s[60:61], s[50:51]
	s_cbranch_execz .LBB1433_607
.LBB1433_606:                           ;   in Loop: Header=BB1433_558 Depth=2
	ds_read_b32 v12, v50 offset:8192
	v_mov_b32_e32 v13, v3
	v_mov_b32_e32 v102, s69
	s_waitcnt lgkmcnt(0)
	v_cmp_ne_u32_e64 s[52:53], s7, v12
	v_cndmask_b32_e64 v30, v73, v12, s[52:53]
	v_lshrrev_b32_e32 v30, s77, v30
	v_and_b32_e32 v30, s63, v30
	v_lshlrev_b32_e32 v30, 2, v30
	ds_read_b32 v30, v30
	v_cmp_lt_i32_e64 s[52:53], -1, v12
	v_cndmask_b32_e64 v104, v73, -1, s[52:53]
	v_xor_b32_e32 v104, v104, v12
	s_waitcnt lgkmcnt(0)
	v_add_u32_e32 v12, v30, v41
	v_lshlrev_b64 v[12:13], 2, v[12:13]
	v_add_co_u32_e64 v12, s[52:53], s68, v12
	v_addc_co_u32_e64 v13, s[52:53], v102, v13, s[52:53]
	global_store_dword v[12:13], v104, off
.LBB1433_607:                           ;   in Loop: Header=BB1433_558 Depth=2
	s_or_b64 exec, exec, s[60:61]
	s_lshl_b64 s[52:53], s[58:59], 3
	v_mov_b32_e32 v13, s53
	v_add_co_u32_e64 v12, s[52:53], s52, v87
	v_addc_co_u32_e64 v13, s[52:53], v89, v13, s[52:53]
	v_cmp_lt_u32_e64 s[52:53], v84, v101
	s_and_saveexec_b64 s[60:61], s[52:53]
	s_xor_b64 s[52:53], exec, s[60:61]
	s_cbranch_execnz .LBB1433_642
; %bb.608:                              ;   in Loop: Header=BB1433_558 Depth=2
	s_or_b64 exec, exec, s[52:53]
	v_cmp_lt_u32_e64 s[52:53], v91, v101
	s_and_saveexec_b64 s[60:61], s[52:53]
	s_cbranch_execnz .LBB1433_643
.LBB1433_609:                           ;   in Loop: Header=BB1433_558 Depth=2
	s_or_b64 exec, exec, s[60:61]
	v_cmp_lt_u32_e64 s[52:53], v92, v101
	s_and_saveexec_b64 s[60:61], s[52:53]
	s_cbranch_execnz .LBB1433_644
.LBB1433_610:                           ;   in Loop: Header=BB1433_558 Depth=2
	s_or_b64 exec, exec, s[60:61]
	v_cmp_lt_u32_e64 s[52:53], v93, v101
	s_and_saveexec_b64 s[60:61], s[52:53]
	s_cbranch_execnz .LBB1433_645
.LBB1433_611:                           ;   in Loop: Header=BB1433_558 Depth=2
	s_or_b64 exec, exec, s[60:61]
	v_cmp_lt_u32_e64 s[52:53], v94, v101
	s_and_saveexec_b64 s[60:61], s[52:53]
	s_cbranch_execnz .LBB1433_646
.LBB1433_612:                           ;   in Loop: Header=BB1433_558 Depth=2
	s_or_b64 exec, exec, s[60:61]
	v_cmp_lt_u32_e64 s[52:53], v95, v101
	s_and_saveexec_b64 s[60:61], s[52:53]
	s_cbranch_execnz .LBB1433_647
.LBB1433_613:                           ;   in Loop: Header=BB1433_558 Depth=2
	s_or_b64 exec, exec, s[60:61]
	v_cmp_lt_u32_e64 s[52:53], v96, v101
	s_and_saveexec_b64 s[60:61], s[52:53]
	s_cbranch_execnz .LBB1433_648
.LBB1433_614:                           ;   in Loop: Header=BB1433_558 Depth=2
	s_or_b64 exec, exec, s[60:61]
	v_cmp_lt_u32_e64 s[52:53], v97, v101
	s_and_saveexec_b64 s[60:61], s[52:53]
	s_cbranch_execnz .LBB1433_649
.LBB1433_615:                           ;   in Loop: Header=BB1433_558 Depth=2
	s_or_b64 exec, exec, s[60:61]
	s_and_saveexec_b64 s[60:61], vcc
	s_cbranch_execnz .LBB1433_650
.LBB1433_616:                           ;   in Loop: Header=BB1433_558 Depth=2
	s_or_b64 exec, exec, s[60:61]
	s_and_saveexec_b64 s[60:61], s[38:39]
	s_cbranch_execnz .LBB1433_651
.LBB1433_617:                           ;   in Loop: Header=BB1433_558 Depth=2
	s_or_b64 exec, exec, s[60:61]
	s_and_saveexec_b64 s[60:61], s[40:41]
	s_cbranch_execnz .LBB1433_652
.LBB1433_618:                           ;   in Loop: Header=BB1433_558 Depth=2
	s_or_b64 exec, exec, s[60:61]
	s_and_saveexec_b64 s[60:61], s[42:43]
	s_cbranch_execnz .LBB1433_653
.LBB1433_619:                           ;   in Loop: Header=BB1433_558 Depth=2
	s_or_b64 exec, exec, s[60:61]
	s_and_saveexec_b64 s[60:61], s[44:45]
	s_cbranch_execnz .LBB1433_654
.LBB1433_620:                           ;   in Loop: Header=BB1433_558 Depth=2
	s_or_b64 exec, exec, s[60:61]
	s_and_saveexec_b64 s[60:61], s[46:47]
	s_cbranch_execnz .LBB1433_655
.LBB1433_621:                           ;   in Loop: Header=BB1433_558 Depth=2
	s_or_b64 exec, exec, s[60:61]
	s_and_saveexec_b64 s[60:61], s[48:49]
	s_cbranch_execnz .LBB1433_656
.LBB1433_622:                           ;   in Loop: Header=BB1433_558 Depth=2
	s_or_b64 exec, exec, s[60:61]
	s_and_saveexec_b64 s[60:61], s[50:51]
	s_cbranch_execz .LBB1433_624
.LBB1433_623:                           ;   in Loop: Header=BB1433_558 Depth=2
	ds_read_b32 v12, v50 offset:8192
	s_waitcnt lgkmcnt(0)
	v_cmp_ne_u32_e64 s[52:53], s7, v12
	v_cndmask_b32_e64 v12, v73, v12, s[52:53]
	v_lshrrev_b32_e32 v12, s77, v12
	v_and_b32_e32 v80, s63, v12
.LBB1433_624:                           ;   in Loop: Header=BB1433_558 Depth=2
	s_or_b64 exec, exec, s[60:61]
	v_lshlrev_b32_e32 v12, 3, v103
	s_waitcnt vmcnt(0)
	s_barrier
	ds_write_b64 v12, v[28:29] offset:1024
	v_lshlrev_b32_e32 v12, 3, v31
	ds_write_b64 v12, v[26:27] offset:1024
	v_lshlrev_b32_e32 v12, 3, v19
	;; [unrolled: 2-line block ×7, first 2 shown]
	ds_write_b64 v12, v[5:6] offset:1024
	v_add_u32_e32 v12, v50, v32
	s_waitcnt lgkmcnt(0)
	s_barrier
	s_and_saveexec_b64 s[52:53], vcc
	s_cbranch_execnz .LBB1433_657
; %bb.625:                              ;   in Loop: Header=BB1433_558 Depth=2
	s_or_b64 exec, exec, s[52:53]
	s_and_saveexec_b64 s[52:53], s[38:39]
	s_cbranch_execnz .LBB1433_658
.LBB1433_626:                           ;   in Loop: Header=BB1433_558 Depth=2
	s_or_b64 exec, exec, s[52:53]
	s_and_saveexec_b64 s[38:39], s[40:41]
	s_cbranch_execnz .LBB1433_659
.LBB1433_627:                           ;   in Loop: Header=BB1433_558 Depth=2
	s_or_b64 exec, exec, s[38:39]
	s_and_saveexec_b64 s[38:39], s[42:43]
	s_cbranch_execnz .LBB1433_660
.LBB1433_628:                           ;   in Loop: Header=BB1433_558 Depth=2
	s_or_b64 exec, exec, s[38:39]
	s_and_saveexec_b64 s[38:39], s[44:45]
	s_cbranch_execnz .LBB1433_661
.LBB1433_629:                           ;   in Loop: Header=BB1433_558 Depth=2
	s_or_b64 exec, exec, s[38:39]
	s_and_saveexec_b64 s[38:39], s[46:47]
	s_cbranch_execnz .LBB1433_662
.LBB1433_630:                           ;   in Loop: Header=BB1433_558 Depth=2
	s_or_b64 exec, exec, s[38:39]
	s_and_saveexec_b64 s[38:39], s[48:49]
	s_cbranch_execnz .LBB1433_663
.LBB1433_631:                           ;   in Loop: Header=BB1433_558 Depth=2
	s_or_b64 exec, exec, s[38:39]
	s_and_saveexec_b64 s[38:39], s[50:51]
	s_cbranch_execz .LBB1433_633
.LBB1433_632:                           ;   in Loop: Header=BB1433_558 Depth=2
	v_lshlrev_b32_e32 v13, 2, v80
	ds_read_b32 v14, v13
	ds_read_b64 v[12:13], v12 offset:15360
	v_mov_b32_e32 v15, v3
	v_mov_b32_e32 v16, s75
	s_waitcnt lgkmcnt(1)
	v_add_u32_e32 v14, v14, v41
	v_lshlrev_b64 v[14:15], 3, v[14:15]
	v_add_co_u32_e32 v14, vcc, s74, v14
	v_addc_co_u32_e32 v15, vcc, v16, v15, vcc
	s_waitcnt lgkmcnt(0)
	global_store_dwordx2 v[14:15], v[12:13], off
.LBB1433_633:                           ;   in Loop: Header=BB1433_558 Depth=2
	s_or_b64 exec, exec, s[38:39]
	s_waitcnt vmcnt(0)
	s_barrier
	s_and_saveexec_b64 s[38:39], s[4:5]
	s_cbranch_execz .LBB1433_557
; %bb.634:                              ;   in Loop: Header=BB1433_558 Depth=2
	ds_read_b32 v12, v32
	s_waitcnt lgkmcnt(0)
	v_add_u32_e32 v4, v12, v4
	ds_write_b32 v32, v4
	s_branch .LBB1433_557
.LBB1433_635:                           ;   in Loop: Header=BB1433_558 Depth=2
	ds_read_b32 v12, v50 offset:1024
	v_mov_b32_e32 v13, v3
	v_mov_b32_e32 v102, s69
	s_waitcnt lgkmcnt(0)
	v_cmp_ne_u32_e64 s[38:39], s7, v12
	v_cndmask_b32_e64 v30, v73, v12, s[38:39]
	v_lshrrev_b32_e32 v30, s77, v30
	v_and_b32_e32 v30, s63, v30
	v_lshlrev_b32_e32 v30, 2, v30
	ds_read_b32 v30, v30
	v_cmp_lt_i32_e64 s[38:39], -1, v12
	v_cndmask_b32_e64 v104, v73, -1, s[38:39]
	v_xor_b32_e32 v104, v104, v12
	s_waitcnt lgkmcnt(0)
	v_add_u32_e32 v12, v30, v0
	v_lshlrev_b64 v[12:13], 2, v[12:13]
	v_add_co_u32_e64 v12, s[38:39], s68, v12
	v_addc_co_u32_e64 v13, s[38:39], v102, v13, s[38:39]
	global_store_dword v[12:13], v104, off
	s_or_b64 exec, exec, s[40:41]
	v_cmp_lt_u32_e64 s[38:39], v33, v101
	s_and_saveexec_b64 s[42:43], s[38:39]
	s_cbranch_execz .LBB1433_600
.LBB1433_636:                           ;   in Loop: Header=BB1433_558 Depth=2
	ds_read_b32 v12, v50 offset:2048
	v_mov_b32_e32 v13, v3
	v_mov_b32_e32 v102, s69
	s_waitcnt lgkmcnt(0)
	v_cmp_ne_u32_e64 s[40:41], s7, v12
	v_cndmask_b32_e64 v30, v73, v12, s[40:41]
	v_lshrrev_b32_e32 v30, s77, v30
	v_and_b32_e32 v30, s63, v30
	v_lshlrev_b32_e32 v30, 2, v30
	ds_read_b32 v30, v30
	v_cmp_lt_i32_e64 s[40:41], -1, v12
	v_cndmask_b32_e64 v104, v73, -1, s[40:41]
	v_xor_b32_e32 v104, v104, v12
	s_waitcnt lgkmcnt(0)
	v_add_u32_e32 v12, v30, v33
	v_lshlrev_b64 v[12:13], 2, v[12:13]
	v_add_co_u32_e64 v12, s[40:41], s68, v12
	v_addc_co_u32_e64 v13, s[40:41], v102, v13, s[40:41]
	global_store_dword v[12:13], v104, off
	s_or_b64 exec, exec, s[42:43]
	v_cmp_lt_u32_e64 s[40:41], v34, v101
	s_and_saveexec_b64 s[44:45], s[40:41]
	s_cbranch_execz .LBB1433_601
.LBB1433_637:                           ;   in Loop: Header=BB1433_558 Depth=2
	ds_read_b32 v12, v50 offset:3072
	v_mov_b32_e32 v13, v3
	v_mov_b32_e32 v102, s69
	s_waitcnt lgkmcnt(0)
	v_cmp_ne_u32_e64 s[42:43], s7, v12
	v_cndmask_b32_e64 v30, v73, v12, s[42:43]
	v_lshrrev_b32_e32 v30, s77, v30
	v_and_b32_e32 v30, s63, v30
	v_lshlrev_b32_e32 v30, 2, v30
	ds_read_b32 v30, v30
	v_cmp_lt_i32_e64 s[42:43], -1, v12
	v_cndmask_b32_e64 v104, v73, -1, s[42:43]
	v_xor_b32_e32 v104, v104, v12
	s_waitcnt lgkmcnt(0)
	v_add_u32_e32 v12, v30, v34
	v_lshlrev_b64 v[12:13], 2, v[12:13]
	v_add_co_u32_e64 v12, s[42:43], s68, v12
	v_addc_co_u32_e64 v13, s[42:43], v102, v13, s[42:43]
	global_store_dword v[12:13], v104, off
	s_or_b64 exec, exec, s[44:45]
	v_cmp_lt_u32_e64 s[42:43], v35, v101
	s_and_saveexec_b64 s[46:47], s[42:43]
	s_cbranch_execz .LBB1433_602
.LBB1433_638:                           ;   in Loop: Header=BB1433_558 Depth=2
	ds_read_b32 v12, v50 offset:4096
	v_mov_b32_e32 v13, v3
	v_mov_b32_e32 v102, s69
	s_waitcnt lgkmcnt(0)
	v_cmp_ne_u32_e64 s[44:45], s7, v12
	v_cndmask_b32_e64 v30, v73, v12, s[44:45]
	v_lshrrev_b32_e32 v30, s77, v30
	v_and_b32_e32 v30, s63, v30
	v_lshlrev_b32_e32 v30, 2, v30
	ds_read_b32 v30, v30
	v_cmp_lt_i32_e64 s[44:45], -1, v12
	v_cndmask_b32_e64 v104, v73, -1, s[44:45]
	v_xor_b32_e32 v104, v104, v12
	s_waitcnt lgkmcnt(0)
	v_add_u32_e32 v12, v30, v35
	v_lshlrev_b64 v[12:13], 2, v[12:13]
	v_add_co_u32_e64 v12, s[44:45], s68, v12
	v_addc_co_u32_e64 v13, s[44:45], v102, v13, s[44:45]
	global_store_dword v[12:13], v104, off
	s_or_b64 exec, exec, s[46:47]
	v_cmp_lt_u32_e64 s[44:45], v38, v101
	s_and_saveexec_b64 s[48:49], s[44:45]
	s_cbranch_execz .LBB1433_603
.LBB1433_639:                           ;   in Loop: Header=BB1433_558 Depth=2
	ds_read_b32 v12, v50 offset:5120
	v_mov_b32_e32 v13, v3
	v_mov_b32_e32 v102, s69
	s_waitcnt lgkmcnt(0)
	v_cmp_ne_u32_e64 s[46:47], s7, v12
	v_cndmask_b32_e64 v30, v73, v12, s[46:47]
	v_lshrrev_b32_e32 v30, s77, v30
	v_and_b32_e32 v30, s63, v30
	v_lshlrev_b32_e32 v30, 2, v30
	ds_read_b32 v30, v30
	v_cmp_lt_i32_e64 s[46:47], -1, v12
	v_cndmask_b32_e64 v104, v73, -1, s[46:47]
	v_xor_b32_e32 v104, v104, v12
	s_waitcnt lgkmcnt(0)
	v_add_u32_e32 v12, v30, v38
	v_lshlrev_b64 v[12:13], 2, v[12:13]
	v_add_co_u32_e64 v12, s[46:47], s68, v12
	v_addc_co_u32_e64 v13, s[46:47], v102, v13, s[46:47]
	global_store_dword v[12:13], v104, off
	s_or_b64 exec, exec, s[48:49]
	v_cmp_lt_u32_e64 s[46:47], v39, v101
	s_and_saveexec_b64 s[50:51], s[46:47]
	s_cbranch_execz .LBB1433_604
.LBB1433_640:                           ;   in Loop: Header=BB1433_558 Depth=2
	ds_read_b32 v12, v50 offset:6144
	v_mov_b32_e32 v13, v3
	v_mov_b32_e32 v102, s69
	s_waitcnt lgkmcnt(0)
	v_cmp_ne_u32_e64 s[48:49], s7, v12
	v_cndmask_b32_e64 v30, v73, v12, s[48:49]
	v_lshrrev_b32_e32 v30, s77, v30
	v_and_b32_e32 v30, s63, v30
	v_lshlrev_b32_e32 v30, 2, v30
	ds_read_b32 v30, v30
	v_cmp_lt_i32_e64 s[48:49], -1, v12
	v_cndmask_b32_e64 v104, v73, -1, s[48:49]
	v_xor_b32_e32 v104, v104, v12
	s_waitcnt lgkmcnt(0)
	v_add_u32_e32 v12, v30, v39
	v_lshlrev_b64 v[12:13], 2, v[12:13]
	v_add_co_u32_e64 v12, s[48:49], s68, v12
	v_addc_co_u32_e64 v13, s[48:49], v102, v13, s[48:49]
	global_store_dword v[12:13], v104, off
	s_or_b64 exec, exec, s[50:51]
	v_cmp_lt_u32_e64 s[48:49], v40, v101
	s_and_saveexec_b64 s[52:53], s[48:49]
	s_cbranch_execz .LBB1433_605
.LBB1433_641:                           ;   in Loop: Header=BB1433_558 Depth=2
	ds_read_b32 v12, v50 offset:7168
	v_mov_b32_e32 v13, v3
	v_mov_b32_e32 v102, s69
	s_waitcnt lgkmcnt(0)
	v_cmp_ne_u32_e64 s[50:51], s7, v12
	v_cndmask_b32_e64 v30, v73, v12, s[50:51]
	v_lshrrev_b32_e32 v30, s77, v30
	v_and_b32_e32 v30, s63, v30
	v_lshlrev_b32_e32 v30, 2, v30
	ds_read_b32 v30, v30
	v_cmp_lt_i32_e64 s[50:51], -1, v12
	v_cndmask_b32_e64 v104, v73, -1, s[50:51]
	v_xor_b32_e32 v104, v104, v12
	s_waitcnt lgkmcnt(0)
	v_add_u32_e32 v12, v30, v40
	v_lshlrev_b64 v[12:13], 2, v[12:13]
	v_add_co_u32_e64 v12, s[50:51], s68, v12
	v_addc_co_u32_e64 v13, s[50:51], v102, v13, s[50:51]
	global_store_dword v[12:13], v104, off
	s_or_b64 exec, exec, s[52:53]
	v_cmp_lt_u32_e64 s[50:51], v41, v101
	s_and_saveexec_b64 s[60:61], s[50:51]
	s_cbranch_execnz .LBB1433_606
	s_branch .LBB1433_607
.LBB1433_642:                           ;   in Loop: Header=BB1433_558 Depth=2
	global_load_dwordx2 v[28:29], v[12:13], off
	s_or_b64 exec, exec, s[52:53]
	v_cmp_lt_u32_e64 s[52:53], v91, v101
	s_and_saveexec_b64 s[60:61], s[52:53]
	s_cbranch_execz .LBB1433_609
.LBB1433_643:                           ;   in Loop: Header=BB1433_558 Depth=2
	global_load_dwordx2 v[26:27], v[12:13], off offset:512
	s_or_b64 exec, exec, s[60:61]
	v_cmp_lt_u32_e64 s[52:53], v92, v101
	s_and_saveexec_b64 s[60:61], s[52:53]
	s_cbranch_execz .LBB1433_610
.LBB1433_644:                           ;   in Loop: Header=BB1433_558 Depth=2
	global_load_dwordx2 v[24:25], v[12:13], off offset:1024
	s_or_b64 exec, exec, s[60:61]
	v_cmp_lt_u32_e64 s[52:53], v93, v101
	s_and_saveexec_b64 s[60:61], s[52:53]
	s_cbranch_execz .LBB1433_611
.LBB1433_645:                           ;   in Loop: Header=BB1433_558 Depth=2
	global_load_dwordx2 v[22:23], v[12:13], off offset:1536
	s_or_b64 exec, exec, s[60:61]
	v_cmp_lt_u32_e64 s[52:53], v94, v101
	s_and_saveexec_b64 s[60:61], s[52:53]
	s_cbranch_execz .LBB1433_612
.LBB1433_646:                           ;   in Loop: Header=BB1433_558 Depth=2
	global_load_dwordx2 v[20:21], v[12:13], off offset:2048
	s_or_b64 exec, exec, s[60:61]
	v_cmp_lt_u32_e64 s[52:53], v95, v101
	s_and_saveexec_b64 s[60:61], s[52:53]
	s_cbranch_execz .LBB1433_613
.LBB1433_647:                           ;   in Loop: Header=BB1433_558 Depth=2
	global_load_dwordx2 v[9:10], v[12:13], off offset:2560
	s_or_b64 exec, exec, s[60:61]
	v_cmp_lt_u32_e64 s[52:53], v96, v101
	s_and_saveexec_b64 s[60:61], s[52:53]
	s_cbranch_execz .LBB1433_614
.LBB1433_648:                           ;   in Loop: Header=BB1433_558 Depth=2
	global_load_dwordx2 v[7:8], v[12:13], off offset:3072
	s_or_b64 exec, exec, s[60:61]
	v_cmp_lt_u32_e64 s[52:53], v97, v101
	s_and_saveexec_b64 s[60:61], s[52:53]
	s_cbranch_execz .LBB1433_615
.LBB1433_649:                           ;   in Loop: Header=BB1433_558 Depth=2
	global_load_dwordx2 v[5:6], v[12:13], off offset:3584
	s_or_b64 exec, exec, s[60:61]
	s_and_saveexec_b64 s[60:61], vcc
	s_cbranch_execz .LBB1433_616
.LBB1433_650:                           ;   in Loop: Header=BB1433_558 Depth=2
	ds_read_b32 v12, v50 offset:1024
	s_waitcnt lgkmcnt(0)
	v_cmp_ne_u32_e64 s[52:53], s7, v12
	v_cndmask_b32_e64 v12, v73, v12, s[52:53]
	v_lshrrev_b32_e32 v12, s77, v12
	v_and_b32_e32 v90, s63, v12
	s_or_b64 exec, exec, s[60:61]
	s_and_saveexec_b64 s[60:61], s[38:39]
	s_cbranch_execz .LBB1433_617
.LBB1433_651:                           ;   in Loop: Header=BB1433_558 Depth=2
	ds_read_b32 v12, v50 offset:2048
	s_waitcnt lgkmcnt(0)
	v_cmp_ne_u32_e64 s[52:53], s7, v12
	v_cndmask_b32_e64 v12, v73, v12, s[52:53]
	v_lshrrev_b32_e32 v12, s77, v12
	v_and_b32_e32 v88, s63, v12
	s_or_b64 exec, exec, s[60:61]
	s_and_saveexec_b64 s[60:61], s[40:41]
	s_cbranch_execz .LBB1433_618
.LBB1433_652:                           ;   in Loop: Header=BB1433_558 Depth=2
	ds_read_b32 v12, v50 offset:3072
	s_waitcnt lgkmcnt(0)
	v_cmp_ne_u32_e64 s[52:53], s7, v12
	v_cndmask_b32_e64 v12, v73, v12, s[52:53]
	v_lshrrev_b32_e32 v12, s77, v12
	v_and_b32_e32 v86, s63, v12
	s_or_b64 exec, exec, s[60:61]
	s_and_saveexec_b64 s[60:61], s[42:43]
	s_cbranch_execz .LBB1433_619
.LBB1433_653:                           ;   in Loop: Header=BB1433_558 Depth=2
	ds_read_b32 v12, v50 offset:4096
	s_waitcnt lgkmcnt(0)
	v_cmp_ne_u32_e64 s[52:53], s7, v12
	v_cndmask_b32_e64 v12, v73, v12, s[52:53]
	v_lshrrev_b32_e32 v12, s77, v12
	v_and_b32_e32 v85, s63, v12
	s_or_b64 exec, exec, s[60:61]
	s_and_saveexec_b64 s[60:61], s[44:45]
	s_cbranch_execz .LBB1433_620
.LBB1433_654:                           ;   in Loop: Header=BB1433_558 Depth=2
	ds_read_b32 v12, v50 offset:5120
	s_waitcnt lgkmcnt(0)
	v_cmp_ne_u32_e64 s[52:53], s7, v12
	v_cndmask_b32_e64 v12, v73, v12, s[52:53]
	v_lshrrev_b32_e32 v12, s77, v12
	v_and_b32_e32 v83, s63, v12
	s_or_b64 exec, exec, s[60:61]
	s_and_saveexec_b64 s[60:61], s[46:47]
	s_cbranch_execz .LBB1433_621
.LBB1433_655:                           ;   in Loop: Header=BB1433_558 Depth=2
	ds_read_b32 v12, v50 offset:6144
	s_waitcnt lgkmcnt(0)
	v_cmp_ne_u32_e64 s[52:53], s7, v12
	v_cndmask_b32_e64 v12, v73, v12, s[52:53]
	v_lshrrev_b32_e32 v12, s77, v12
	v_and_b32_e32 v82, s63, v12
	s_or_b64 exec, exec, s[60:61]
	s_and_saveexec_b64 s[60:61], s[48:49]
	s_cbranch_execz .LBB1433_622
.LBB1433_656:                           ;   in Loop: Header=BB1433_558 Depth=2
	ds_read_b32 v12, v50 offset:7168
	s_waitcnt lgkmcnt(0)
	v_cmp_ne_u32_e64 s[52:53], s7, v12
	v_cndmask_b32_e64 v12, v73, v12, s[52:53]
	v_lshrrev_b32_e32 v12, s77, v12
	v_and_b32_e32 v81, s63, v12
	s_or_b64 exec, exec, s[60:61]
	s_and_saveexec_b64 s[60:61], s[50:51]
	s_cbranch_execnz .LBB1433_623
	s_branch .LBB1433_624
.LBB1433_657:                           ;   in Loop: Header=BB1433_558 Depth=2
	v_lshlrev_b32_e32 v13, 2, v90
	ds_read_b32 v15, v13
	ds_read_b64 v[13:14], v12 offset:1024
	v_mov_b32_e32 v16, v3
	v_mov_b32_e32 v17, s75
	s_waitcnt lgkmcnt(1)
	v_add_u32_e32 v15, v15, v0
	v_lshlrev_b64 v[15:16], 3, v[15:16]
	v_add_co_u32_e32 v15, vcc, s74, v15
	v_addc_co_u32_e32 v16, vcc, v17, v16, vcc
	s_waitcnt lgkmcnt(0)
	global_store_dwordx2 v[15:16], v[13:14], off
	s_or_b64 exec, exec, s[52:53]
	s_and_saveexec_b64 s[52:53], s[38:39]
	s_cbranch_execz .LBB1433_626
.LBB1433_658:                           ;   in Loop: Header=BB1433_558 Depth=2
	v_lshlrev_b32_e32 v13, 2, v88
	ds_read_b32 v15, v13
	ds_read_b64 v[13:14], v12 offset:3072
	v_mov_b32_e32 v16, v3
	v_mov_b32_e32 v17, s75
	s_waitcnt lgkmcnt(1)
	v_add_u32_e32 v15, v15, v33
	v_lshlrev_b64 v[15:16], 3, v[15:16]
	v_add_co_u32_e32 v15, vcc, s74, v15
	v_addc_co_u32_e32 v16, vcc, v17, v16, vcc
	s_waitcnt lgkmcnt(0)
	global_store_dwordx2 v[15:16], v[13:14], off
	s_or_b64 exec, exec, s[52:53]
	s_and_saveexec_b64 s[38:39], s[40:41]
	s_cbranch_execz .LBB1433_627
.LBB1433_659:                           ;   in Loop: Header=BB1433_558 Depth=2
	v_lshlrev_b32_e32 v13, 2, v86
	ds_read_b32 v15, v13
	ds_read_b64 v[13:14], v12 offset:5120
	v_mov_b32_e32 v16, v3
	v_mov_b32_e32 v17, s75
	s_waitcnt lgkmcnt(1)
	v_add_u32_e32 v15, v15, v34
	v_lshlrev_b64 v[15:16], 3, v[15:16]
	v_add_co_u32_e32 v15, vcc, s74, v15
	v_addc_co_u32_e32 v16, vcc, v17, v16, vcc
	s_waitcnt lgkmcnt(0)
	global_store_dwordx2 v[15:16], v[13:14], off
	s_or_b64 exec, exec, s[38:39]
	s_and_saveexec_b64 s[38:39], s[42:43]
	s_cbranch_execz .LBB1433_628
.LBB1433_660:                           ;   in Loop: Header=BB1433_558 Depth=2
	v_lshlrev_b32_e32 v13, 2, v85
	ds_read_b32 v15, v13
	ds_read_b64 v[13:14], v12 offset:7168
	v_mov_b32_e32 v16, v3
	v_mov_b32_e32 v17, s75
	s_waitcnt lgkmcnt(1)
	v_add_u32_e32 v15, v15, v35
	v_lshlrev_b64 v[15:16], 3, v[15:16]
	v_add_co_u32_e32 v15, vcc, s74, v15
	v_addc_co_u32_e32 v16, vcc, v17, v16, vcc
	s_waitcnt lgkmcnt(0)
	global_store_dwordx2 v[15:16], v[13:14], off
	s_or_b64 exec, exec, s[38:39]
	s_and_saveexec_b64 s[38:39], s[44:45]
	s_cbranch_execz .LBB1433_629
.LBB1433_661:                           ;   in Loop: Header=BB1433_558 Depth=2
	v_lshlrev_b32_e32 v13, 2, v83
	ds_read_b32 v15, v13
	ds_read_b64 v[13:14], v12 offset:9216
	v_mov_b32_e32 v16, v3
	v_mov_b32_e32 v17, s75
	s_waitcnt lgkmcnt(1)
	v_add_u32_e32 v15, v15, v38
	v_lshlrev_b64 v[15:16], 3, v[15:16]
	v_add_co_u32_e32 v15, vcc, s74, v15
	v_addc_co_u32_e32 v16, vcc, v17, v16, vcc
	s_waitcnt lgkmcnt(0)
	global_store_dwordx2 v[15:16], v[13:14], off
	s_or_b64 exec, exec, s[38:39]
	s_and_saveexec_b64 s[38:39], s[46:47]
	s_cbranch_execz .LBB1433_630
.LBB1433_662:                           ;   in Loop: Header=BB1433_558 Depth=2
	v_lshlrev_b32_e32 v13, 2, v82
	ds_read_b32 v15, v13
	ds_read_b64 v[13:14], v12 offset:11264
	v_mov_b32_e32 v16, v3
	v_mov_b32_e32 v17, s75
	s_waitcnt lgkmcnt(1)
	v_add_u32_e32 v15, v15, v39
	v_lshlrev_b64 v[15:16], 3, v[15:16]
	v_add_co_u32_e32 v15, vcc, s74, v15
	v_addc_co_u32_e32 v16, vcc, v17, v16, vcc
	s_waitcnt lgkmcnt(0)
	global_store_dwordx2 v[15:16], v[13:14], off
	s_or_b64 exec, exec, s[38:39]
	s_and_saveexec_b64 s[38:39], s[48:49]
	s_cbranch_execz .LBB1433_631
.LBB1433_663:                           ;   in Loop: Header=BB1433_558 Depth=2
	v_lshlrev_b32_e32 v13, 2, v81
	ds_read_b32 v15, v13
	ds_read_b64 v[13:14], v12 offset:13312
	v_mov_b32_e32 v16, v3
	v_mov_b32_e32 v17, s75
	s_waitcnt lgkmcnt(1)
	v_add_u32_e32 v15, v15, v40
	v_lshlrev_b64 v[15:16], 3, v[15:16]
	v_add_co_u32_e32 v15, vcc, s74, v15
	v_addc_co_u32_e32 v16, vcc, v17, v16, vcc
	s_waitcnt lgkmcnt(0)
	global_store_dwordx2 v[15:16], v[13:14], off
	s_or_b64 exec, exec, s[38:39]
	s_and_saveexec_b64 s[38:39], s[50:51]
	s_cbranch_execnz .LBB1433_632
	s_branch .LBB1433_633
.LBB1433_664:                           ;   in Loop: Header=BB1433_558 Depth=2
	global_load_dword v12, v[30:31], off
	v_mov_b32_e32 v13, v11
	v_mov_b32_e32 v14, v11
	;; [unrolled: 1-line block ×7, first 2 shown]
	s_or_b64 exec, exec, s[38:39]
	v_cmp_gt_u32_e32 vcc, s70, v91
	s_and_saveexec_b64 s[38:39], vcc
	s_cbranch_execz .LBB1433_563
.LBB1433_665:                           ;   in Loop: Header=BB1433_558 Depth=2
	global_load_dword v13, v[30:31], off offset:256
	s_or_b64 exec, exec, s[38:39]
	v_cmp_gt_u32_e32 vcc, s70, v92
	s_and_saveexec_b64 s[38:39], vcc
	s_cbranch_execz .LBB1433_564
.LBB1433_666:                           ;   in Loop: Header=BB1433_558 Depth=2
	global_load_dword v14, v[30:31], off offset:512
	s_or_b64 exec, exec, s[38:39]
	v_cmp_gt_u32_e32 vcc, s70, v93
	s_and_saveexec_b64 s[38:39], vcc
	s_cbranch_execz .LBB1433_565
.LBB1433_667:                           ;   in Loop: Header=BB1433_558 Depth=2
	global_load_dword v15, v[30:31], off offset:768
	s_or_b64 exec, exec, s[38:39]
	v_cmp_gt_u32_e32 vcc, s70, v94
	s_and_saveexec_b64 s[38:39], vcc
	s_cbranch_execz .LBB1433_566
.LBB1433_668:                           ;   in Loop: Header=BB1433_558 Depth=2
	global_load_dword v16, v[30:31], off offset:1024
	s_or_b64 exec, exec, s[38:39]
	v_cmp_gt_u32_e32 vcc, s70, v95
	s_and_saveexec_b64 s[38:39], vcc
	s_cbranch_execz .LBB1433_567
.LBB1433_669:                           ;   in Loop: Header=BB1433_558 Depth=2
	global_load_dword v17, v[30:31], off offset:1280
	s_or_b64 exec, exec, s[38:39]
	v_cmp_gt_u32_e32 vcc, s70, v96
	s_and_saveexec_b64 s[38:39], vcc
	s_cbranch_execnz .LBB1433_568
	s_branch .LBB1433_569
.LBB1433_670:
	s_endpgm
	.section	.rodata,"a",@progbits
	.p2align	6, 0x0
	.amdhsa_kernel _ZN7rocprim17ROCPRIM_400000_NS6detail17trampoline_kernelINS0_14default_configENS1_36segmented_radix_sort_config_selectorIflEEZNS1_25segmented_radix_sort_implIS3_Lb0EPKfPfPKlPlN2at6native12_GLOBAL__N_18offset_tEEE10hipError_tPvRmT1_PNSt15iterator_traitsISK_E10value_typeET2_T3_PNSL_ISQ_E10value_typeET4_jRbjT5_SW_jjP12ihipStream_tbEUlT_E_NS1_11comp_targetILNS1_3genE2ELNS1_11target_archE906ELNS1_3gpuE6ELNS1_3repE0EEENS1_30default_config_static_selectorELNS0_4arch9wavefront6targetE1EEEvSK_
		.amdhsa_group_segment_fixed_size 17424
		.amdhsa_private_segment_fixed_size 0
		.amdhsa_kernarg_size 352
		.amdhsa_user_sgpr_count 6
		.amdhsa_user_sgpr_private_segment_buffer 1
		.amdhsa_user_sgpr_dispatch_ptr 0
		.amdhsa_user_sgpr_queue_ptr 0
		.amdhsa_user_sgpr_kernarg_segment_ptr 1
		.amdhsa_user_sgpr_dispatch_id 0
		.amdhsa_user_sgpr_flat_scratch_init 0
		.amdhsa_user_sgpr_private_segment_size 0
		.amdhsa_uses_dynamic_stack 0
		.amdhsa_system_sgpr_private_segment_wavefront_offset 0
		.amdhsa_system_sgpr_workgroup_id_x 1
		.amdhsa_system_sgpr_workgroup_id_y 1
		.amdhsa_system_sgpr_workgroup_id_z 0
		.amdhsa_system_sgpr_workgroup_info 0
		.amdhsa_system_vgpr_workitem_id 2
		.amdhsa_next_free_vgpr 178
		.amdhsa_next_free_sgpr 98
		.amdhsa_reserve_vcc 1
		.amdhsa_reserve_flat_scratch 0
		.amdhsa_float_round_mode_32 0
		.amdhsa_float_round_mode_16_64 0
		.amdhsa_float_denorm_mode_32 3
		.amdhsa_float_denorm_mode_16_64 3
		.amdhsa_dx10_clamp 1
		.amdhsa_ieee_mode 1
		.amdhsa_fp16_overflow 0
		.amdhsa_exception_fp_ieee_invalid_op 0
		.amdhsa_exception_fp_denorm_src 0
		.amdhsa_exception_fp_ieee_div_zero 0
		.amdhsa_exception_fp_ieee_overflow 0
		.amdhsa_exception_fp_ieee_underflow 0
		.amdhsa_exception_fp_ieee_inexact 0
		.amdhsa_exception_int_div_zero 0
	.end_amdhsa_kernel
	.section	.text._ZN7rocprim17ROCPRIM_400000_NS6detail17trampoline_kernelINS0_14default_configENS1_36segmented_radix_sort_config_selectorIflEEZNS1_25segmented_radix_sort_implIS3_Lb0EPKfPfPKlPlN2at6native12_GLOBAL__N_18offset_tEEE10hipError_tPvRmT1_PNSt15iterator_traitsISK_E10value_typeET2_T3_PNSL_ISQ_E10value_typeET4_jRbjT5_SW_jjP12ihipStream_tbEUlT_E_NS1_11comp_targetILNS1_3genE2ELNS1_11target_archE906ELNS1_3gpuE6ELNS1_3repE0EEENS1_30default_config_static_selectorELNS0_4arch9wavefront6targetE1EEEvSK_,"axG",@progbits,_ZN7rocprim17ROCPRIM_400000_NS6detail17trampoline_kernelINS0_14default_configENS1_36segmented_radix_sort_config_selectorIflEEZNS1_25segmented_radix_sort_implIS3_Lb0EPKfPfPKlPlN2at6native12_GLOBAL__N_18offset_tEEE10hipError_tPvRmT1_PNSt15iterator_traitsISK_E10value_typeET2_T3_PNSL_ISQ_E10value_typeET4_jRbjT5_SW_jjP12ihipStream_tbEUlT_E_NS1_11comp_targetILNS1_3genE2ELNS1_11target_archE906ELNS1_3gpuE6ELNS1_3repE0EEENS1_30default_config_static_selectorELNS0_4arch9wavefront6targetE1EEEvSK_,comdat
.Lfunc_end1433:
	.size	_ZN7rocprim17ROCPRIM_400000_NS6detail17trampoline_kernelINS0_14default_configENS1_36segmented_radix_sort_config_selectorIflEEZNS1_25segmented_radix_sort_implIS3_Lb0EPKfPfPKlPlN2at6native12_GLOBAL__N_18offset_tEEE10hipError_tPvRmT1_PNSt15iterator_traitsISK_E10value_typeET2_T3_PNSL_ISQ_E10value_typeET4_jRbjT5_SW_jjP12ihipStream_tbEUlT_E_NS1_11comp_targetILNS1_3genE2ELNS1_11target_archE906ELNS1_3gpuE6ELNS1_3repE0EEENS1_30default_config_static_selectorELNS0_4arch9wavefront6targetE1EEEvSK_, .Lfunc_end1433-_ZN7rocprim17ROCPRIM_400000_NS6detail17trampoline_kernelINS0_14default_configENS1_36segmented_radix_sort_config_selectorIflEEZNS1_25segmented_radix_sort_implIS3_Lb0EPKfPfPKlPlN2at6native12_GLOBAL__N_18offset_tEEE10hipError_tPvRmT1_PNSt15iterator_traitsISK_E10value_typeET2_T3_PNSL_ISQ_E10value_typeET4_jRbjT5_SW_jjP12ihipStream_tbEUlT_E_NS1_11comp_targetILNS1_3genE2ELNS1_11target_archE906ELNS1_3gpuE6ELNS1_3repE0EEENS1_30default_config_static_selectorELNS0_4arch9wavefront6targetE1EEEvSK_
                                        ; -- End function
	.set _ZN7rocprim17ROCPRIM_400000_NS6detail17trampoline_kernelINS0_14default_configENS1_36segmented_radix_sort_config_selectorIflEEZNS1_25segmented_radix_sort_implIS3_Lb0EPKfPfPKlPlN2at6native12_GLOBAL__N_18offset_tEEE10hipError_tPvRmT1_PNSt15iterator_traitsISK_E10value_typeET2_T3_PNSL_ISQ_E10value_typeET4_jRbjT5_SW_jjP12ihipStream_tbEUlT_E_NS1_11comp_targetILNS1_3genE2ELNS1_11target_archE906ELNS1_3gpuE6ELNS1_3repE0EEENS1_30default_config_static_selectorELNS0_4arch9wavefront6targetE1EEEvSK_.num_vgpr, max(131, .L_ZN7rocprim17ROCPRIM_400000_NS6detail40segmented_radix_sort_single_block_helperIflLj256ELj8ELb0EE4sortIPKfPfPKlPlEEbT_T0_T1_T2_jjjjRNS3_12storage_typeE.num_vgpr)
	.set _ZN7rocprim17ROCPRIM_400000_NS6detail17trampoline_kernelINS0_14default_configENS1_36segmented_radix_sort_config_selectorIflEEZNS1_25segmented_radix_sort_implIS3_Lb0EPKfPfPKlPlN2at6native12_GLOBAL__N_18offset_tEEE10hipError_tPvRmT1_PNSt15iterator_traitsISK_E10value_typeET2_T3_PNSL_ISQ_E10value_typeET4_jRbjT5_SW_jjP12ihipStream_tbEUlT_E_NS1_11comp_targetILNS1_3genE2ELNS1_11target_archE906ELNS1_3gpuE6ELNS1_3repE0EEENS1_30default_config_static_selectorELNS0_4arch9wavefront6targetE1EEEvSK_.num_agpr, max(0, .L_ZN7rocprim17ROCPRIM_400000_NS6detail40segmented_radix_sort_single_block_helperIflLj256ELj8ELb0EE4sortIPKfPfPKlPlEEbT_T0_T1_T2_jjjjRNS3_12storage_typeE.num_agpr)
	.set _ZN7rocprim17ROCPRIM_400000_NS6detail17trampoline_kernelINS0_14default_configENS1_36segmented_radix_sort_config_selectorIflEEZNS1_25segmented_radix_sort_implIS3_Lb0EPKfPfPKlPlN2at6native12_GLOBAL__N_18offset_tEEE10hipError_tPvRmT1_PNSt15iterator_traitsISK_E10value_typeET2_T3_PNSL_ISQ_E10value_typeET4_jRbjT5_SW_jjP12ihipStream_tbEUlT_E_NS1_11comp_targetILNS1_3genE2ELNS1_11target_archE906ELNS1_3gpuE6ELNS1_3repE0EEENS1_30default_config_static_selectorELNS0_4arch9wavefront6targetE1EEEvSK_.numbered_sgpr, max(82, .L_ZN7rocprim17ROCPRIM_400000_NS6detail40segmented_radix_sort_single_block_helperIflLj256ELj8ELb0EE4sortIPKfPfPKlPlEEbT_T0_T1_T2_jjjjRNS3_12storage_typeE.numbered_sgpr)
	.set _ZN7rocprim17ROCPRIM_400000_NS6detail17trampoline_kernelINS0_14default_configENS1_36segmented_radix_sort_config_selectorIflEEZNS1_25segmented_radix_sort_implIS3_Lb0EPKfPfPKlPlN2at6native12_GLOBAL__N_18offset_tEEE10hipError_tPvRmT1_PNSt15iterator_traitsISK_E10value_typeET2_T3_PNSL_ISQ_E10value_typeET4_jRbjT5_SW_jjP12ihipStream_tbEUlT_E_NS1_11comp_targetILNS1_3genE2ELNS1_11target_archE906ELNS1_3gpuE6ELNS1_3repE0EEENS1_30default_config_static_selectorELNS0_4arch9wavefront6targetE1EEEvSK_.num_named_barrier, max(0, .L_ZN7rocprim17ROCPRIM_400000_NS6detail40segmented_radix_sort_single_block_helperIflLj256ELj8ELb0EE4sortIPKfPfPKlPlEEbT_T0_T1_T2_jjjjRNS3_12storage_typeE.num_named_barrier)
	.set _ZN7rocprim17ROCPRIM_400000_NS6detail17trampoline_kernelINS0_14default_configENS1_36segmented_radix_sort_config_selectorIflEEZNS1_25segmented_radix_sort_implIS3_Lb0EPKfPfPKlPlN2at6native12_GLOBAL__N_18offset_tEEE10hipError_tPvRmT1_PNSt15iterator_traitsISK_E10value_typeET2_T3_PNSL_ISQ_E10value_typeET4_jRbjT5_SW_jjP12ihipStream_tbEUlT_E_NS1_11comp_targetILNS1_3genE2ELNS1_11target_archE906ELNS1_3gpuE6ELNS1_3repE0EEENS1_30default_config_static_selectorELNS0_4arch9wavefront6targetE1EEEvSK_.private_seg_size, 0+max(.L_ZN7rocprim17ROCPRIM_400000_NS6detail40segmented_radix_sort_single_block_helperIflLj256ELj8ELb0EE4sortIPKfPfPKlPlEEbT_T0_T1_T2_jjjjRNS3_12storage_typeE.private_seg_size)
	.set _ZN7rocprim17ROCPRIM_400000_NS6detail17trampoline_kernelINS0_14default_configENS1_36segmented_radix_sort_config_selectorIflEEZNS1_25segmented_radix_sort_implIS3_Lb0EPKfPfPKlPlN2at6native12_GLOBAL__N_18offset_tEEE10hipError_tPvRmT1_PNSt15iterator_traitsISK_E10value_typeET2_T3_PNSL_ISQ_E10value_typeET4_jRbjT5_SW_jjP12ihipStream_tbEUlT_E_NS1_11comp_targetILNS1_3genE2ELNS1_11target_archE906ELNS1_3gpuE6ELNS1_3repE0EEENS1_30default_config_static_selectorELNS0_4arch9wavefront6targetE1EEEvSK_.uses_vcc, or(1, .L_ZN7rocprim17ROCPRIM_400000_NS6detail40segmented_radix_sort_single_block_helperIflLj256ELj8ELb0EE4sortIPKfPfPKlPlEEbT_T0_T1_T2_jjjjRNS3_12storage_typeE.uses_vcc)
	.set _ZN7rocprim17ROCPRIM_400000_NS6detail17trampoline_kernelINS0_14default_configENS1_36segmented_radix_sort_config_selectorIflEEZNS1_25segmented_radix_sort_implIS3_Lb0EPKfPfPKlPlN2at6native12_GLOBAL__N_18offset_tEEE10hipError_tPvRmT1_PNSt15iterator_traitsISK_E10value_typeET2_T3_PNSL_ISQ_E10value_typeET4_jRbjT5_SW_jjP12ihipStream_tbEUlT_E_NS1_11comp_targetILNS1_3genE2ELNS1_11target_archE906ELNS1_3gpuE6ELNS1_3repE0EEENS1_30default_config_static_selectorELNS0_4arch9wavefront6targetE1EEEvSK_.uses_flat_scratch, or(0, .L_ZN7rocprim17ROCPRIM_400000_NS6detail40segmented_radix_sort_single_block_helperIflLj256ELj8ELb0EE4sortIPKfPfPKlPlEEbT_T0_T1_T2_jjjjRNS3_12storage_typeE.uses_flat_scratch)
	.set _ZN7rocprim17ROCPRIM_400000_NS6detail17trampoline_kernelINS0_14default_configENS1_36segmented_radix_sort_config_selectorIflEEZNS1_25segmented_radix_sort_implIS3_Lb0EPKfPfPKlPlN2at6native12_GLOBAL__N_18offset_tEEE10hipError_tPvRmT1_PNSt15iterator_traitsISK_E10value_typeET2_T3_PNSL_ISQ_E10value_typeET4_jRbjT5_SW_jjP12ihipStream_tbEUlT_E_NS1_11comp_targetILNS1_3genE2ELNS1_11target_archE906ELNS1_3gpuE6ELNS1_3repE0EEENS1_30default_config_static_selectorELNS0_4arch9wavefront6targetE1EEEvSK_.has_dyn_sized_stack, or(0, .L_ZN7rocprim17ROCPRIM_400000_NS6detail40segmented_radix_sort_single_block_helperIflLj256ELj8ELb0EE4sortIPKfPfPKlPlEEbT_T0_T1_T2_jjjjRNS3_12storage_typeE.has_dyn_sized_stack)
	.set _ZN7rocprim17ROCPRIM_400000_NS6detail17trampoline_kernelINS0_14default_configENS1_36segmented_radix_sort_config_selectorIflEEZNS1_25segmented_radix_sort_implIS3_Lb0EPKfPfPKlPlN2at6native12_GLOBAL__N_18offset_tEEE10hipError_tPvRmT1_PNSt15iterator_traitsISK_E10value_typeET2_T3_PNSL_ISQ_E10value_typeET4_jRbjT5_SW_jjP12ihipStream_tbEUlT_E_NS1_11comp_targetILNS1_3genE2ELNS1_11target_archE906ELNS1_3gpuE6ELNS1_3repE0EEENS1_30default_config_static_selectorELNS0_4arch9wavefront6targetE1EEEvSK_.has_recursion, or(0, .L_ZN7rocprim17ROCPRIM_400000_NS6detail40segmented_radix_sort_single_block_helperIflLj256ELj8ELb0EE4sortIPKfPfPKlPlEEbT_T0_T1_T2_jjjjRNS3_12storage_typeE.has_recursion)
	.set _ZN7rocprim17ROCPRIM_400000_NS6detail17trampoline_kernelINS0_14default_configENS1_36segmented_radix_sort_config_selectorIflEEZNS1_25segmented_radix_sort_implIS3_Lb0EPKfPfPKlPlN2at6native12_GLOBAL__N_18offset_tEEE10hipError_tPvRmT1_PNSt15iterator_traitsISK_E10value_typeET2_T3_PNSL_ISQ_E10value_typeET4_jRbjT5_SW_jjP12ihipStream_tbEUlT_E_NS1_11comp_targetILNS1_3genE2ELNS1_11target_archE906ELNS1_3gpuE6ELNS1_3repE0EEENS1_30default_config_static_selectorELNS0_4arch9wavefront6targetE1EEEvSK_.has_indirect_call, or(0, .L_ZN7rocprim17ROCPRIM_400000_NS6detail40segmented_radix_sort_single_block_helperIflLj256ELj8ELb0EE4sortIPKfPfPKlPlEEbT_T0_T1_T2_jjjjRNS3_12storage_typeE.has_indirect_call)
	.section	.AMDGPU.csdata,"",@progbits
; Kernel info:
; codeLenInByte = 38168
; TotalNumSgprs: 86
; NumVgprs: 178
; ScratchSize: 0
; MemoryBound: 0
; FloatMode: 240
; IeeeMode: 1
; LDSByteSize: 17424 bytes/workgroup (compile time only)
; SGPRBlocks: 12
; VGPRBlocks: 44
; NumSGPRsForWavesPerEU: 102
; NumVGPRsForWavesPerEU: 178
; Occupancy: 1
; WaveLimiterHint : 1
; COMPUTE_PGM_RSRC2:SCRATCH_EN: 0
; COMPUTE_PGM_RSRC2:USER_SGPR: 6
; COMPUTE_PGM_RSRC2:TRAP_HANDLER: 0
; COMPUTE_PGM_RSRC2:TGID_X_EN: 1
; COMPUTE_PGM_RSRC2:TGID_Y_EN: 1
; COMPUTE_PGM_RSRC2:TGID_Z_EN: 0
; COMPUTE_PGM_RSRC2:TIDIG_COMP_CNT: 2
	.section	.text._ZN7rocprim17ROCPRIM_400000_NS6detail17trampoline_kernelINS0_14default_configENS1_36segmented_radix_sort_config_selectorIflEEZNS1_25segmented_radix_sort_implIS3_Lb0EPKfPfPKlPlN2at6native12_GLOBAL__N_18offset_tEEE10hipError_tPvRmT1_PNSt15iterator_traitsISK_E10value_typeET2_T3_PNSL_ISQ_E10value_typeET4_jRbjT5_SW_jjP12ihipStream_tbEUlT_E_NS1_11comp_targetILNS1_3genE10ELNS1_11target_archE1201ELNS1_3gpuE5ELNS1_3repE0EEENS1_30default_config_static_selectorELNS0_4arch9wavefront6targetE1EEEvSK_,"axG",@progbits,_ZN7rocprim17ROCPRIM_400000_NS6detail17trampoline_kernelINS0_14default_configENS1_36segmented_radix_sort_config_selectorIflEEZNS1_25segmented_radix_sort_implIS3_Lb0EPKfPfPKlPlN2at6native12_GLOBAL__N_18offset_tEEE10hipError_tPvRmT1_PNSt15iterator_traitsISK_E10value_typeET2_T3_PNSL_ISQ_E10value_typeET4_jRbjT5_SW_jjP12ihipStream_tbEUlT_E_NS1_11comp_targetILNS1_3genE10ELNS1_11target_archE1201ELNS1_3gpuE5ELNS1_3repE0EEENS1_30default_config_static_selectorELNS0_4arch9wavefront6targetE1EEEvSK_,comdat
	.globl	_ZN7rocprim17ROCPRIM_400000_NS6detail17trampoline_kernelINS0_14default_configENS1_36segmented_radix_sort_config_selectorIflEEZNS1_25segmented_radix_sort_implIS3_Lb0EPKfPfPKlPlN2at6native12_GLOBAL__N_18offset_tEEE10hipError_tPvRmT1_PNSt15iterator_traitsISK_E10value_typeET2_T3_PNSL_ISQ_E10value_typeET4_jRbjT5_SW_jjP12ihipStream_tbEUlT_E_NS1_11comp_targetILNS1_3genE10ELNS1_11target_archE1201ELNS1_3gpuE5ELNS1_3repE0EEENS1_30default_config_static_selectorELNS0_4arch9wavefront6targetE1EEEvSK_ ; -- Begin function _ZN7rocprim17ROCPRIM_400000_NS6detail17trampoline_kernelINS0_14default_configENS1_36segmented_radix_sort_config_selectorIflEEZNS1_25segmented_radix_sort_implIS3_Lb0EPKfPfPKlPlN2at6native12_GLOBAL__N_18offset_tEEE10hipError_tPvRmT1_PNSt15iterator_traitsISK_E10value_typeET2_T3_PNSL_ISQ_E10value_typeET4_jRbjT5_SW_jjP12ihipStream_tbEUlT_E_NS1_11comp_targetILNS1_3genE10ELNS1_11target_archE1201ELNS1_3gpuE5ELNS1_3repE0EEENS1_30default_config_static_selectorELNS0_4arch9wavefront6targetE1EEEvSK_
	.p2align	8
	.type	_ZN7rocprim17ROCPRIM_400000_NS6detail17trampoline_kernelINS0_14default_configENS1_36segmented_radix_sort_config_selectorIflEEZNS1_25segmented_radix_sort_implIS3_Lb0EPKfPfPKlPlN2at6native12_GLOBAL__N_18offset_tEEE10hipError_tPvRmT1_PNSt15iterator_traitsISK_E10value_typeET2_T3_PNSL_ISQ_E10value_typeET4_jRbjT5_SW_jjP12ihipStream_tbEUlT_E_NS1_11comp_targetILNS1_3genE10ELNS1_11target_archE1201ELNS1_3gpuE5ELNS1_3repE0EEENS1_30default_config_static_selectorELNS0_4arch9wavefront6targetE1EEEvSK_,@function
_ZN7rocprim17ROCPRIM_400000_NS6detail17trampoline_kernelINS0_14default_configENS1_36segmented_radix_sort_config_selectorIflEEZNS1_25segmented_radix_sort_implIS3_Lb0EPKfPfPKlPlN2at6native12_GLOBAL__N_18offset_tEEE10hipError_tPvRmT1_PNSt15iterator_traitsISK_E10value_typeET2_T3_PNSL_ISQ_E10value_typeET4_jRbjT5_SW_jjP12ihipStream_tbEUlT_E_NS1_11comp_targetILNS1_3genE10ELNS1_11target_archE1201ELNS1_3gpuE5ELNS1_3repE0EEENS1_30default_config_static_selectorELNS0_4arch9wavefront6targetE1EEEvSK_: ; @_ZN7rocprim17ROCPRIM_400000_NS6detail17trampoline_kernelINS0_14default_configENS1_36segmented_radix_sort_config_selectorIflEEZNS1_25segmented_radix_sort_implIS3_Lb0EPKfPfPKlPlN2at6native12_GLOBAL__N_18offset_tEEE10hipError_tPvRmT1_PNSt15iterator_traitsISK_E10value_typeET2_T3_PNSL_ISQ_E10value_typeET4_jRbjT5_SW_jjP12ihipStream_tbEUlT_E_NS1_11comp_targetILNS1_3genE10ELNS1_11target_archE1201ELNS1_3gpuE5ELNS1_3repE0EEENS1_30default_config_static_selectorELNS0_4arch9wavefront6targetE1EEEvSK_
; %bb.0:
	.section	.rodata,"a",@progbits
	.p2align	6, 0x0
	.amdhsa_kernel _ZN7rocprim17ROCPRIM_400000_NS6detail17trampoline_kernelINS0_14default_configENS1_36segmented_radix_sort_config_selectorIflEEZNS1_25segmented_radix_sort_implIS3_Lb0EPKfPfPKlPlN2at6native12_GLOBAL__N_18offset_tEEE10hipError_tPvRmT1_PNSt15iterator_traitsISK_E10value_typeET2_T3_PNSL_ISQ_E10value_typeET4_jRbjT5_SW_jjP12ihipStream_tbEUlT_E_NS1_11comp_targetILNS1_3genE10ELNS1_11target_archE1201ELNS1_3gpuE5ELNS1_3repE0EEENS1_30default_config_static_selectorELNS0_4arch9wavefront6targetE1EEEvSK_
		.amdhsa_group_segment_fixed_size 0
		.amdhsa_private_segment_fixed_size 0
		.amdhsa_kernarg_size 96
		.amdhsa_user_sgpr_count 6
		.amdhsa_user_sgpr_private_segment_buffer 1
		.amdhsa_user_sgpr_dispatch_ptr 0
		.amdhsa_user_sgpr_queue_ptr 0
		.amdhsa_user_sgpr_kernarg_segment_ptr 1
		.amdhsa_user_sgpr_dispatch_id 0
		.amdhsa_user_sgpr_flat_scratch_init 0
		.amdhsa_user_sgpr_private_segment_size 0
		.amdhsa_uses_dynamic_stack 0
		.amdhsa_system_sgpr_private_segment_wavefront_offset 0
		.amdhsa_system_sgpr_workgroup_id_x 1
		.amdhsa_system_sgpr_workgroup_id_y 0
		.amdhsa_system_sgpr_workgroup_id_z 0
		.amdhsa_system_sgpr_workgroup_info 0
		.amdhsa_system_vgpr_workitem_id 0
		.amdhsa_next_free_vgpr 1
		.amdhsa_next_free_sgpr 0
		.amdhsa_reserve_vcc 0
		.amdhsa_reserve_flat_scratch 0
		.amdhsa_float_round_mode_32 0
		.amdhsa_float_round_mode_16_64 0
		.amdhsa_float_denorm_mode_32 3
		.amdhsa_float_denorm_mode_16_64 3
		.amdhsa_dx10_clamp 1
		.amdhsa_ieee_mode 1
		.amdhsa_fp16_overflow 0
		.amdhsa_exception_fp_ieee_invalid_op 0
		.amdhsa_exception_fp_denorm_src 0
		.amdhsa_exception_fp_ieee_div_zero 0
		.amdhsa_exception_fp_ieee_overflow 0
		.amdhsa_exception_fp_ieee_underflow 0
		.amdhsa_exception_fp_ieee_inexact 0
		.amdhsa_exception_int_div_zero 0
	.end_amdhsa_kernel
	.section	.text._ZN7rocprim17ROCPRIM_400000_NS6detail17trampoline_kernelINS0_14default_configENS1_36segmented_radix_sort_config_selectorIflEEZNS1_25segmented_radix_sort_implIS3_Lb0EPKfPfPKlPlN2at6native12_GLOBAL__N_18offset_tEEE10hipError_tPvRmT1_PNSt15iterator_traitsISK_E10value_typeET2_T3_PNSL_ISQ_E10value_typeET4_jRbjT5_SW_jjP12ihipStream_tbEUlT_E_NS1_11comp_targetILNS1_3genE10ELNS1_11target_archE1201ELNS1_3gpuE5ELNS1_3repE0EEENS1_30default_config_static_selectorELNS0_4arch9wavefront6targetE1EEEvSK_,"axG",@progbits,_ZN7rocprim17ROCPRIM_400000_NS6detail17trampoline_kernelINS0_14default_configENS1_36segmented_radix_sort_config_selectorIflEEZNS1_25segmented_radix_sort_implIS3_Lb0EPKfPfPKlPlN2at6native12_GLOBAL__N_18offset_tEEE10hipError_tPvRmT1_PNSt15iterator_traitsISK_E10value_typeET2_T3_PNSL_ISQ_E10value_typeET4_jRbjT5_SW_jjP12ihipStream_tbEUlT_E_NS1_11comp_targetILNS1_3genE10ELNS1_11target_archE1201ELNS1_3gpuE5ELNS1_3repE0EEENS1_30default_config_static_selectorELNS0_4arch9wavefront6targetE1EEEvSK_,comdat
.Lfunc_end1434:
	.size	_ZN7rocprim17ROCPRIM_400000_NS6detail17trampoline_kernelINS0_14default_configENS1_36segmented_radix_sort_config_selectorIflEEZNS1_25segmented_radix_sort_implIS3_Lb0EPKfPfPKlPlN2at6native12_GLOBAL__N_18offset_tEEE10hipError_tPvRmT1_PNSt15iterator_traitsISK_E10value_typeET2_T3_PNSL_ISQ_E10value_typeET4_jRbjT5_SW_jjP12ihipStream_tbEUlT_E_NS1_11comp_targetILNS1_3genE10ELNS1_11target_archE1201ELNS1_3gpuE5ELNS1_3repE0EEENS1_30default_config_static_selectorELNS0_4arch9wavefront6targetE1EEEvSK_, .Lfunc_end1434-_ZN7rocprim17ROCPRIM_400000_NS6detail17trampoline_kernelINS0_14default_configENS1_36segmented_radix_sort_config_selectorIflEEZNS1_25segmented_radix_sort_implIS3_Lb0EPKfPfPKlPlN2at6native12_GLOBAL__N_18offset_tEEE10hipError_tPvRmT1_PNSt15iterator_traitsISK_E10value_typeET2_T3_PNSL_ISQ_E10value_typeET4_jRbjT5_SW_jjP12ihipStream_tbEUlT_E_NS1_11comp_targetILNS1_3genE10ELNS1_11target_archE1201ELNS1_3gpuE5ELNS1_3repE0EEENS1_30default_config_static_selectorELNS0_4arch9wavefront6targetE1EEEvSK_
                                        ; -- End function
	.set _ZN7rocprim17ROCPRIM_400000_NS6detail17trampoline_kernelINS0_14default_configENS1_36segmented_radix_sort_config_selectorIflEEZNS1_25segmented_radix_sort_implIS3_Lb0EPKfPfPKlPlN2at6native12_GLOBAL__N_18offset_tEEE10hipError_tPvRmT1_PNSt15iterator_traitsISK_E10value_typeET2_T3_PNSL_ISQ_E10value_typeET4_jRbjT5_SW_jjP12ihipStream_tbEUlT_E_NS1_11comp_targetILNS1_3genE10ELNS1_11target_archE1201ELNS1_3gpuE5ELNS1_3repE0EEENS1_30default_config_static_selectorELNS0_4arch9wavefront6targetE1EEEvSK_.num_vgpr, 0
	.set _ZN7rocprim17ROCPRIM_400000_NS6detail17trampoline_kernelINS0_14default_configENS1_36segmented_radix_sort_config_selectorIflEEZNS1_25segmented_radix_sort_implIS3_Lb0EPKfPfPKlPlN2at6native12_GLOBAL__N_18offset_tEEE10hipError_tPvRmT1_PNSt15iterator_traitsISK_E10value_typeET2_T3_PNSL_ISQ_E10value_typeET4_jRbjT5_SW_jjP12ihipStream_tbEUlT_E_NS1_11comp_targetILNS1_3genE10ELNS1_11target_archE1201ELNS1_3gpuE5ELNS1_3repE0EEENS1_30default_config_static_selectorELNS0_4arch9wavefront6targetE1EEEvSK_.num_agpr, 0
	.set _ZN7rocprim17ROCPRIM_400000_NS6detail17trampoline_kernelINS0_14default_configENS1_36segmented_radix_sort_config_selectorIflEEZNS1_25segmented_radix_sort_implIS3_Lb0EPKfPfPKlPlN2at6native12_GLOBAL__N_18offset_tEEE10hipError_tPvRmT1_PNSt15iterator_traitsISK_E10value_typeET2_T3_PNSL_ISQ_E10value_typeET4_jRbjT5_SW_jjP12ihipStream_tbEUlT_E_NS1_11comp_targetILNS1_3genE10ELNS1_11target_archE1201ELNS1_3gpuE5ELNS1_3repE0EEENS1_30default_config_static_selectorELNS0_4arch9wavefront6targetE1EEEvSK_.numbered_sgpr, 0
	.set _ZN7rocprim17ROCPRIM_400000_NS6detail17trampoline_kernelINS0_14default_configENS1_36segmented_radix_sort_config_selectorIflEEZNS1_25segmented_radix_sort_implIS3_Lb0EPKfPfPKlPlN2at6native12_GLOBAL__N_18offset_tEEE10hipError_tPvRmT1_PNSt15iterator_traitsISK_E10value_typeET2_T3_PNSL_ISQ_E10value_typeET4_jRbjT5_SW_jjP12ihipStream_tbEUlT_E_NS1_11comp_targetILNS1_3genE10ELNS1_11target_archE1201ELNS1_3gpuE5ELNS1_3repE0EEENS1_30default_config_static_selectorELNS0_4arch9wavefront6targetE1EEEvSK_.num_named_barrier, 0
	.set _ZN7rocprim17ROCPRIM_400000_NS6detail17trampoline_kernelINS0_14default_configENS1_36segmented_radix_sort_config_selectorIflEEZNS1_25segmented_radix_sort_implIS3_Lb0EPKfPfPKlPlN2at6native12_GLOBAL__N_18offset_tEEE10hipError_tPvRmT1_PNSt15iterator_traitsISK_E10value_typeET2_T3_PNSL_ISQ_E10value_typeET4_jRbjT5_SW_jjP12ihipStream_tbEUlT_E_NS1_11comp_targetILNS1_3genE10ELNS1_11target_archE1201ELNS1_3gpuE5ELNS1_3repE0EEENS1_30default_config_static_selectorELNS0_4arch9wavefront6targetE1EEEvSK_.private_seg_size, 0
	.set _ZN7rocprim17ROCPRIM_400000_NS6detail17trampoline_kernelINS0_14default_configENS1_36segmented_radix_sort_config_selectorIflEEZNS1_25segmented_radix_sort_implIS3_Lb0EPKfPfPKlPlN2at6native12_GLOBAL__N_18offset_tEEE10hipError_tPvRmT1_PNSt15iterator_traitsISK_E10value_typeET2_T3_PNSL_ISQ_E10value_typeET4_jRbjT5_SW_jjP12ihipStream_tbEUlT_E_NS1_11comp_targetILNS1_3genE10ELNS1_11target_archE1201ELNS1_3gpuE5ELNS1_3repE0EEENS1_30default_config_static_selectorELNS0_4arch9wavefront6targetE1EEEvSK_.uses_vcc, 0
	.set _ZN7rocprim17ROCPRIM_400000_NS6detail17trampoline_kernelINS0_14default_configENS1_36segmented_radix_sort_config_selectorIflEEZNS1_25segmented_radix_sort_implIS3_Lb0EPKfPfPKlPlN2at6native12_GLOBAL__N_18offset_tEEE10hipError_tPvRmT1_PNSt15iterator_traitsISK_E10value_typeET2_T3_PNSL_ISQ_E10value_typeET4_jRbjT5_SW_jjP12ihipStream_tbEUlT_E_NS1_11comp_targetILNS1_3genE10ELNS1_11target_archE1201ELNS1_3gpuE5ELNS1_3repE0EEENS1_30default_config_static_selectorELNS0_4arch9wavefront6targetE1EEEvSK_.uses_flat_scratch, 0
	.set _ZN7rocprim17ROCPRIM_400000_NS6detail17trampoline_kernelINS0_14default_configENS1_36segmented_radix_sort_config_selectorIflEEZNS1_25segmented_radix_sort_implIS3_Lb0EPKfPfPKlPlN2at6native12_GLOBAL__N_18offset_tEEE10hipError_tPvRmT1_PNSt15iterator_traitsISK_E10value_typeET2_T3_PNSL_ISQ_E10value_typeET4_jRbjT5_SW_jjP12ihipStream_tbEUlT_E_NS1_11comp_targetILNS1_3genE10ELNS1_11target_archE1201ELNS1_3gpuE5ELNS1_3repE0EEENS1_30default_config_static_selectorELNS0_4arch9wavefront6targetE1EEEvSK_.has_dyn_sized_stack, 0
	.set _ZN7rocprim17ROCPRIM_400000_NS6detail17trampoline_kernelINS0_14default_configENS1_36segmented_radix_sort_config_selectorIflEEZNS1_25segmented_radix_sort_implIS3_Lb0EPKfPfPKlPlN2at6native12_GLOBAL__N_18offset_tEEE10hipError_tPvRmT1_PNSt15iterator_traitsISK_E10value_typeET2_T3_PNSL_ISQ_E10value_typeET4_jRbjT5_SW_jjP12ihipStream_tbEUlT_E_NS1_11comp_targetILNS1_3genE10ELNS1_11target_archE1201ELNS1_3gpuE5ELNS1_3repE0EEENS1_30default_config_static_selectorELNS0_4arch9wavefront6targetE1EEEvSK_.has_recursion, 0
	.set _ZN7rocprim17ROCPRIM_400000_NS6detail17trampoline_kernelINS0_14default_configENS1_36segmented_radix_sort_config_selectorIflEEZNS1_25segmented_radix_sort_implIS3_Lb0EPKfPfPKlPlN2at6native12_GLOBAL__N_18offset_tEEE10hipError_tPvRmT1_PNSt15iterator_traitsISK_E10value_typeET2_T3_PNSL_ISQ_E10value_typeET4_jRbjT5_SW_jjP12ihipStream_tbEUlT_E_NS1_11comp_targetILNS1_3genE10ELNS1_11target_archE1201ELNS1_3gpuE5ELNS1_3repE0EEENS1_30default_config_static_selectorELNS0_4arch9wavefront6targetE1EEEvSK_.has_indirect_call, 0
	.section	.AMDGPU.csdata,"",@progbits
; Kernel info:
; codeLenInByte = 0
; TotalNumSgprs: 4
; NumVgprs: 0
; ScratchSize: 0
; MemoryBound: 0
; FloatMode: 240
; IeeeMode: 1
; LDSByteSize: 0 bytes/workgroup (compile time only)
; SGPRBlocks: 0
; VGPRBlocks: 0
; NumSGPRsForWavesPerEU: 4
; NumVGPRsForWavesPerEU: 1
; Occupancy: 10
; WaveLimiterHint : 0
; COMPUTE_PGM_RSRC2:SCRATCH_EN: 0
; COMPUTE_PGM_RSRC2:USER_SGPR: 6
; COMPUTE_PGM_RSRC2:TRAP_HANDLER: 0
; COMPUTE_PGM_RSRC2:TGID_X_EN: 1
; COMPUTE_PGM_RSRC2:TGID_Y_EN: 0
; COMPUTE_PGM_RSRC2:TGID_Z_EN: 0
; COMPUTE_PGM_RSRC2:TIDIG_COMP_CNT: 0
	.section	.text._ZN7rocprim17ROCPRIM_400000_NS6detail17trampoline_kernelINS0_14default_configENS1_36segmented_radix_sort_config_selectorIflEEZNS1_25segmented_radix_sort_implIS3_Lb0EPKfPfPKlPlN2at6native12_GLOBAL__N_18offset_tEEE10hipError_tPvRmT1_PNSt15iterator_traitsISK_E10value_typeET2_T3_PNSL_ISQ_E10value_typeET4_jRbjT5_SW_jjP12ihipStream_tbEUlT_E_NS1_11comp_targetILNS1_3genE10ELNS1_11target_archE1200ELNS1_3gpuE4ELNS1_3repE0EEENS1_30default_config_static_selectorELNS0_4arch9wavefront6targetE1EEEvSK_,"axG",@progbits,_ZN7rocprim17ROCPRIM_400000_NS6detail17trampoline_kernelINS0_14default_configENS1_36segmented_radix_sort_config_selectorIflEEZNS1_25segmented_radix_sort_implIS3_Lb0EPKfPfPKlPlN2at6native12_GLOBAL__N_18offset_tEEE10hipError_tPvRmT1_PNSt15iterator_traitsISK_E10value_typeET2_T3_PNSL_ISQ_E10value_typeET4_jRbjT5_SW_jjP12ihipStream_tbEUlT_E_NS1_11comp_targetILNS1_3genE10ELNS1_11target_archE1200ELNS1_3gpuE4ELNS1_3repE0EEENS1_30default_config_static_selectorELNS0_4arch9wavefront6targetE1EEEvSK_,comdat
	.globl	_ZN7rocprim17ROCPRIM_400000_NS6detail17trampoline_kernelINS0_14default_configENS1_36segmented_radix_sort_config_selectorIflEEZNS1_25segmented_radix_sort_implIS3_Lb0EPKfPfPKlPlN2at6native12_GLOBAL__N_18offset_tEEE10hipError_tPvRmT1_PNSt15iterator_traitsISK_E10value_typeET2_T3_PNSL_ISQ_E10value_typeET4_jRbjT5_SW_jjP12ihipStream_tbEUlT_E_NS1_11comp_targetILNS1_3genE10ELNS1_11target_archE1200ELNS1_3gpuE4ELNS1_3repE0EEENS1_30default_config_static_selectorELNS0_4arch9wavefront6targetE1EEEvSK_ ; -- Begin function _ZN7rocprim17ROCPRIM_400000_NS6detail17trampoline_kernelINS0_14default_configENS1_36segmented_radix_sort_config_selectorIflEEZNS1_25segmented_radix_sort_implIS3_Lb0EPKfPfPKlPlN2at6native12_GLOBAL__N_18offset_tEEE10hipError_tPvRmT1_PNSt15iterator_traitsISK_E10value_typeET2_T3_PNSL_ISQ_E10value_typeET4_jRbjT5_SW_jjP12ihipStream_tbEUlT_E_NS1_11comp_targetILNS1_3genE10ELNS1_11target_archE1200ELNS1_3gpuE4ELNS1_3repE0EEENS1_30default_config_static_selectorELNS0_4arch9wavefront6targetE1EEEvSK_
	.p2align	8
	.type	_ZN7rocprim17ROCPRIM_400000_NS6detail17trampoline_kernelINS0_14default_configENS1_36segmented_radix_sort_config_selectorIflEEZNS1_25segmented_radix_sort_implIS3_Lb0EPKfPfPKlPlN2at6native12_GLOBAL__N_18offset_tEEE10hipError_tPvRmT1_PNSt15iterator_traitsISK_E10value_typeET2_T3_PNSL_ISQ_E10value_typeET4_jRbjT5_SW_jjP12ihipStream_tbEUlT_E_NS1_11comp_targetILNS1_3genE10ELNS1_11target_archE1200ELNS1_3gpuE4ELNS1_3repE0EEENS1_30default_config_static_selectorELNS0_4arch9wavefront6targetE1EEEvSK_,@function
_ZN7rocprim17ROCPRIM_400000_NS6detail17trampoline_kernelINS0_14default_configENS1_36segmented_radix_sort_config_selectorIflEEZNS1_25segmented_radix_sort_implIS3_Lb0EPKfPfPKlPlN2at6native12_GLOBAL__N_18offset_tEEE10hipError_tPvRmT1_PNSt15iterator_traitsISK_E10value_typeET2_T3_PNSL_ISQ_E10value_typeET4_jRbjT5_SW_jjP12ihipStream_tbEUlT_E_NS1_11comp_targetILNS1_3genE10ELNS1_11target_archE1200ELNS1_3gpuE4ELNS1_3repE0EEENS1_30default_config_static_selectorELNS0_4arch9wavefront6targetE1EEEvSK_: ; @_ZN7rocprim17ROCPRIM_400000_NS6detail17trampoline_kernelINS0_14default_configENS1_36segmented_radix_sort_config_selectorIflEEZNS1_25segmented_radix_sort_implIS3_Lb0EPKfPfPKlPlN2at6native12_GLOBAL__N_18offset_tEEE10hipError_tPvRmT1_PNSt15iterator_traitsISK_E10value_typeET2_T3_PNSL_ISQ_E10value_typeET4_jRbjT5_SW_jjP12ihipStream_tbEUlT_E_NS1_11comp_targetILNS1_3genE10ELNS1_11target_archE1200ELNS1_3gpuE4ELNS1_3repE0EEENS1_30default_config_static_selectorELNS0_4arch9wavefront6targetE1EEEvSK_
; %bb.0:
	.section	.rodata,"a",@progbits
	.p2align	6, 0x0
	.amdhsa_kernel _ZN7rocprim17ROCPRIM_400000_NS6detail17trampoline_kernelINS0_14default_configENS1_36segmented_radix_sort_config_selectorIflEEZNS1_25segmented_radix_sort_implIS3_Lb0EPKfPfPKlPlN2at6native12_GLOBAL__N_18offset_tEEE10hipError_tPvRmT1_PNSt15iterator_traitsISK_E10value_typeET2_T3_PNSL_ISQ_E10value_typeET4_jRbjT5_SW_jjP12ihipStream_tbEUlT_E_NS1_11comp_targetILNS1_3genE10ELNS1_11target_archE1200ELNS1_3gpuE4ELNS1_3repE0EEENS1_30default_config_static_selectorELNS0_4arch9wavefront6targetE1EEEvSK_
		.amdhsa_group_segment_fixed_size 0
		.amdhsa_private_segment_fixed_size 0
		.amdhsa_kernarg_size 96
		.amdhsa_user_sgpr_count 6
		.amdhsa_user_sgpr_private_segment_buffer 1
		.amdhsa_user_sgpr_dispatch_ptr 0
		.amdhsa_user_sgpr_queue_ptr 0
		.amdhsa_user_sgpr_kernarg_segment_ptr 1
		.amdhsa_user_sgpr_dispatch_id 0
		.amdhsa_user_sgpr_flat_scratch_init 0
		.amdhsa_user_sgpr_private_segment_size 0
		.amdhsa_uses_dynamic_stack 0
		.amdhsa_system_sgpr_private_segment_wavefront_offset 0
		.amdhsa_system_sgpr_workgroup_id_x 1
		.amdhsa_system_sgpr_workgroup_id_y 0
		.amdhsa_system_sgpr_workgroup_id_z 0
		.amdhsa_system_sgpr_workgroup_info 0
		.amdhsa_system_vgpr_workitem_id 0
		.amdhsa_next_free_vgpr 1
		.amdhsa_next_free_sgpr 0
		.amdhsa_reserve_vcc 0
		.amdhsa_reserve_flat_scratch 0
		.amdhsa_float_round_mode_32 0
		.amdhsa_float_round_mode_16_64 0
		.amdhsa_float_denorm_mode_32 3
		.amdhsa_float_denorm_mode_16_64 3
		.amdhsa_dx10_clamp 1
		.amdhsa_ieee_mode 1
		.amdhsa_fp16_overflow 0
		.amdhsa_exception_fp_ieee_invalid_op 0
		.amdhsa_exception_fp_denorm_src 0
		.amdhsa_exception_fp_ieee_div_zero 0
		.amdhsa_exception_fp_ieee_overflow 0
		.amdhsa_exception_fp_ieee_underflow 0
		.amdhsa_exception_fp_ieee_inexact 0
		.amdhsa_exception_int_div_zero 0
	.end_amdhsa_kernel
	.section	.text._ZN7rocprim17ROCPRIM_400000_NS6detail17trampoline_kernelINS0_14default_configENS1_36segmented_radix_sort_config_selectorIflEEZNS1_25segmented_radix_sort_implIS3_Lb0EPKfPfPKlPlN2at6native12_GLOBAL__N_18offset_tEEE10hipError_tPvRmT1_PNSt15iterator_traitsISK_E10value_typeET2_T3_PNSL_ISQ_E10value_typeET4_jRbjT5_SW_jjP12ihipStream_tbEUlT_E_NS1_11comp_targetILNS1_3genE10ELNS1_11target_archE1200ELNS1_3gpuE4ELNS1_3repE0EEENS1_30default_config_static_selectorELNS0_4arch9wavefront6targetE1EEEvSK_,"axG",@progbits,_ZN7rocprim17ROCPRIM_400000_NS6detail17trampoline_kernelINS0_14default_configENS1_36segmented_radix_sort_config_selectorIflEEZNS1_25segmented_radix_sort_implIS3_Lb0EPKfPfPKlPlN2at6native12_GLOBAL__N_18offset_tEEE10hipError_tPvRmT1_PNSt15iterator_traitsISK_E10value_typeET2_T3_PNSL_ISQ_E10value_typeET4_jRbjT5_SW_jjP12ihipStream_tbEUlT_E_NS1_11comp_targetILNS1_3genE10ELNS1_11target_archE1200ELNS1_3gpuE4ELNS1_3repE0EEENS1_30default_config_static_selectorELNS0_4arch9wavefront6targetE1EEEvSK_,comdat
.Lfunc_end1435:
	.size	_ZN7rocprim17ROCPRIM_400000_NS6detail17trampoline_kernelINS0_14default_configENS1_36segmented_radix_sort_config_selectorIflEEZNS1_25segmented_radix_sort_implIS3_Lb0EPKfPfPKlPlN2at6native12_GLOBAL__N_18offset_tEEE10hipError_tPvRmT1_PNSt15iterator_traitsISK_E10value_typeET2_T3_PNSL_ISQ_E10value_typeET4_jRbjT5_SW_jjP12ihipStream_tbEUlT_E_NS1_11comp_targetILNS1_3genE10ELNS1_11target_archE1200ELNS1_3gpuE4ELNS1_3repE0EEENS1_30default_config_static_selectorELNS0_4arch9wavefront6targetE1EEEvSK_, .Lfunc_end1435-_ZN7rocprim17ROCPRIM_400000_NS6detail17trampoline_kernelINS0_14default_configENS1_36segmented_radix_sort_config_selectorIflEEZNS1_25segmented_radix_sort_implIS3_Lb0EPKfPfPKlPlN2at6native12_GLOBAL__N_18offset_tEEE10hipError_tPvRmT1_PNSt15iterator_traitsISK_E10value_typeET2_T3_PNSL_ISQ_E10value_typeET4_jRbjT5_SW_jjP12ihipStream_tbEUlT_E_NS1_11comp_targetILNS1_3genE10ELNS1_11target_archE1200ELNS1_3gpuE4ELNS1_3repE0EEENS1_30default_config_static_selectorELNS0_4arch9wavefront6targetE1EEEvSK_
                                        ; -- End function
	.set _ZN7rocprim17ROCPRIM_400000_NS6detail17trampoline_kernelINS0_14default_configENS1_36segmented_radix_sort_config_selectorIflEEZNS1_25segmented_radix_sort_implIS3_Lb0EPKfPfPKlPlN2at6native12_GLOBAL__N_18offset_tEEE10hipError_tPvRmT1_PNSt15iterator_traitsISK_E10value_typeET2_T3_PNSL_ISQ_E10value_typeET4_jRbjT5_SW_jjP12ihipStream_tbEUlT_E_NS1_11comp_targetILNS1_3genE10ELNS1_11target_archE1200ELNS1_3gpuE4ELNS1_3repE0EEENS1_30default_config_static_selectorELNS0_4arch9wavefront6targetE1EEEvSK_.num_vgpr, 0
	.set _ZN7rocprim17ROCPRIM_400000_NS6detail17trampoline_kernelINS0_14default_configENS1_36segmented_radix_sort_config_selectorIflEEZNS1_25segmented_radix_sort_implIS3_Lb0EPKfPfPKlPlN2at6native12_GLOBAL__N_18offset_tEEE10hipError_tPvRmT1_PNSt15iterator_traitsISK_E10value_typeET2_T3_PNSL_ISQ_E10value_typeET4_jRbjT5_SW_jjP12ihipStream_tbEUlT_E_NS1_11comp_targetILNS1_3genE10ELNS1_11target_archE1200ELNS1_3gpuE4ELNS1_3repE0EEENS1_30default_config_static_selectorELNS0_4arch9wavefront6targetE1EEEvSK_.num_agpr, 0
	.set _ZN7rocprim17ROCPRIM_400000_NS6detail17trampoline_kernelINS0_14default_configENS1_36segmented_radix_sort_config_selectorIflEEZNS1_25segmented_radix_sort_implIS3_Lb0EPKfPfPKlPlN2at6native12_GLOBAL__N_18offset_tEEE10hipError_tPvRmT1_PNSt15iterator_traitsISK_E10value_typeET2_T3_PNSL_ISQ_E10value_typeET4_jRbjT5_SW_jjP12ihipStream_tbEUlT_E_NS1_11comp_targetILNS1_3genE10ELNS1_11target_archE1200ELNS1_3gpuE4ELNS1_3repE0EEENS1_30default_config_static_selectorELNS0_4arch9wavefront6targetE1EEEvSK_.numbered_sgpr, 0
	.set _ZN7rocprim17ROCPRIM_400000_NS6detail17trampoline_kernelINS0_14default_configENS1_36segmented_radix_sort_config_selectorIflEEZNS1_25segmented_radix_sort_implIS3_Lb0EPKfPfPKlPlN2at6native12_GLOBAL__N_18offset_tEEE10hipError_tPvRmT1_PNSt15iterator_traitsISK_E10value_typeET2_T3_PNSL_ISQ_E10value_typeET4_jRbjT5_SW_jjP12ihipStream_tbEUlT_E_NS1_11comp_targetILNS1_3genE10ELNS1_11target_archE1200ELNS1_3gpuE4ELNS1_3repE0EEENS1_30default_config_static_selectorELNS0_4arch9wavefront6targetE1EEEvSK_.num_named_barrier, 0
	.set _ZN7rocprim17ROCPRIM_400000_NS6detail17trampoline_kernelINS0_14default_configENS1_36segmented_radix_sort_config_selectorIflEEZNS1_25segmented_radix_sort_implIS3_Lb0EPKfPfPKlPlN2at6native12_GLOBAL__N_18offset_tEEE10hipError_tPvRmT1_PNSt15iterator_traitsISK_E10value_typeET2_T3_PNSL_ISQ_E10value_typeET4_jRbjT5_SW_jjP12ihipStream_tbEUlT_E_NS1_11comp_targetILNS1_3genE10ELNS1_11target_archE1200ELNS1_3gpuE4ELNS1_3repE0EEENS1_30default_config_static_selectorELNS0_4arch9wavefront6targetE1EEEvSK_.private_seg_size, 0
	.set _ZN7rocprim17ROCPRIM_400000_NS6detail17trampoline_kernelINS0_14default_configENS1_36segmented_radix_sort_config_selectorIflEEZNS1_25segmented_radix_sort_implIS3_Lb0EPKfPfPKlPlN2at6native12_GLOBAL__N_18offset_tEEE10hipError_tPvRmT1_PNSt15iterator_traitsISK_E10value_typeET2_T3_PNSL_ISQ_E10value_typeET4_jRbjT5_SW_jjP12ihipStream_tbEUlT_E_NS1_11comp_targetILNS1_3genE10ELNS1_11target_archE1200ELNS1_3gpuE4ELNS1_3repE0EEENS1_30default_config_static_selectorELNS0_4arch9wavefront6targetE1EEEvSK_.uses_vcc, 0
	.set _ZN7rocprim17ROCPRIM_400000_NS6detail17trampoline_kernelINS0_14default_configENS1_36segmented_radix_sort_config_selectorIflEEZNS1_25segmented_radix_sort_implIS3_Lb0EPKfPfPKlPlN2at6native12_GLOBAL__N_18offset_tEEE10hipError_tPvRmT1_PNSt15iterator_traitsISK_E10value_typeET2_T3_PNSL_ISQ_E10value_typeET4_jRbjT5_SW_jjP12ihipStream_tbEUlT_E_NS1_11comp_targetILNS1_3genE10ELNS1_11target_archE1200ELNS1_3gpuE4ELNS1_3repE0EEENS1_30default_config_static_selectorELNS0_4arch9wavefront6targetE1EEEvSK_.uses_flat_scratch, 0
	.set _ZN7rocprim17ROCPRIM_400000_NS6detail17trampoline_kernelINS0_14default_configENS1_36segmented_radix_sort_config_selectorIflEEZNS1_25segmented_radix_sort_implIS3_Lb0EPKfPfPKlPlN2at6native12_GLOBAL__N_18offset_tEEE10hipError_tPvRmT1_PNSt15iterator_traitsISK_E10value_typeET2_T3_PNSL_ISQ_E10value_typeET4_jRbjT5_SW_jjP12ihipStream_tbEUlT_E_NS1_11comp_targetILNS1_3genE10ELNS1_11target_archE1200ELNS1_3gpuE4ELNS1_3repE0EEENS1_30default_config_static_selectorELNS0_4arch9wavefront6targetE1EEEvSK_.has_dyn_sized_stack, 0
	.set _ZN7rocprim17ROCPRIM_400000_NS6detail17trampoline_kernelINS0_14default_configENS1_36segmented_radix_sort_config_selectorIflEEZNS1_25segmented_radix_sort_implIS3_Lb0EPKfPfPKlPlN2at6native12_GLOBAL__N_18offset_tEEE10hipError_tPvRmT1_PNSt15iterator_traitsISK_E10value_typeET2_T3_PNSL_ISQ_E10value_typeET4_jRbjT5_SW_jjP12ihipStream_tbEUlT_E_NS1_11comp_targetILNS1_3genE10ELNS1_11target_archE1200ELNS1_3gpuE4ELNS1_3repE0EEENS1_30default_config_static_selectorELNS0_4arch9wavefront6targetE1EEEvSK_.has_recursion, 0
	.set _ZN7rocprim17ROCPRIM_400000_NS6detail17trampoline_kernelINS0_14default_configENS1_36segmented_radix_sort_config_selectorIflEEZNS1_25segmented_radix_sort_implIS3_Lb0EPKfPfPKlPlN2at6native12_GLOBAL__N_18offset_tEEE10hipError_tPvRmT1_PNSt15iterator_traitsISK_E10value_typeET2_T3_PNSL_ISQ_E10value_typeET4_jRbjT5_SW_jjP12ihipStream_tbEUlT_E_NS1_11comp_targetILNS1_3genE10ELNS1_11target_archE1200ELNS1_3gpuE4ELNS1_3repE0EEENS1_30default_config_static_selectorELNS0_4arch9wavefront6targetE1EEEvSK_.has_indirect_call, 0
	.section	.AMDGPU.csdata,"",@progbits
; Kernel info:
; codeLenInByte = 0
; TotalNumSgprs: 4
; NumVgprs: 0
; ScratchSize: 0
; MemoryBound: 0
; FloatMode: 240
; IeeeMode: 1
; LDSByteSize: 0 bytes/workgroup (compile time only)
; SGPRBlocks: 0
; VGPRBlocks: 0
; NumSGPRsForWavesPerEU: 4
; NumVGPRsForWavesPerEU: 1
; Occupancy: 10
; WaveLimiterHint : 0
; COMPUTE_PGM_RSRC2:SCRATCH_EN: 0
; COMPUTE_PGM_RSRC2:USER_SGPR: 6
; COMPUTE_PGM_RSRC2:TRAP_HANDLER: 0
; COMPUTE_PGM_RSRC2:TGID_X_EN: 1
; COMPUTE_PGM_RSRC2:TGID_Y_EN: 0
; COMPUTE_PGM_RSRC2:TGID_Z_EN: 0
; COMPUTE_PGM_RSRC2:TIDIG_COMP_CNT: 0
	.section	.text._ZN7rocprim17ROCPRIM_400000_NS6detail17trampoline_kernelINS0_14default_configENS1_36segmented_radix_sort_config_selectorIflEEZNS1_25segmented_radix_sort_implIS3_Lb0EPKfPfPKlPlN2at6native12_GLOBAL__N_18offset_tEEE10hipError_tPvRmT1_PNSt15iterator_traitsISK_E10value_typeET2_T3_PNSL_ISQ_E10value_typeET4_jRbjT5_SW_jjP12ihipStream_tbEUlT_E_NS1_11comp_targetILNS1_3genE9ELNS1_11target_archE1100ELNS1_3gpuE3ELNS1_3repE0EEENS1_30default_config_static_selectorELNS0_4arch9wavefront6targetE1EEEvSK_,"axG",@progbits,_ZN7rocprim17ROCPRIM_400000_NS6detail17trampoline_kernelINS0_14default_configENS1_36segmented_radix_sort_config_selectorIflEEZNS1_25segmented_radix_sort_implIS3_Lb0EPKfPfPKlPlN2at6native12_GLOBAL__N_18offset_tEEE10hipError_tPvRmT1_PNSt15iterator_traitsISK_E10value_typeET2_T3_PNSL_ISQ_E10value_typeET4_jRbjT5_SW_jjP12ihipStream_tbEUlT_E_NS1_11comp_targetILNS1_3genE9ELNS1_11target_archE1100ELNS1_3gpuE3ELNS1_3repE0EEENS1_30default_config_static_selectorELNS0_4arch9wavefront6targetE1EEEvSK_,comdat
	.globl	_ZN7rocprim17ROCPRIM_400000_NS6detail17trampoline_kernelINS0_14default_configENS1_36segmented_radix_sort_config_selectorIflEEZNS1_25segmented_radix_sort_implIS3_Lb0EPKfPfPKlPlN2at6native12_GLOBAL__N_18offset_tEEE10hipError_tPvRmT1_PNSt15iterator_traitsISK_E10value_typeET2_T3_PNSL_ISQ_E10value_typeET4_jRbjT5_SW_jjP12ihipStream_tbEUlT_E_NS1_11comp_targetILNS1_3genE9ELNS1_11target_archE1100ELNS1_3gpuE3ELNS1_3repE0EEENS1_30default_config_static_selectorELNS0_4arch9wavefront6targetE1EEEvSK_ ; -- Begin function _ZN7rocprim17ROCPRIM_400000_NS6detail17trampoline_kernelINS0_14default_configENS1_36segmented_radix_sort_config_selectorIflEEZNS1_25segmented_radix_sort_implIS3_Lb0EPKfPfPKlPlN2at6native12_GLOBAL__N_18offset_tEEE10hipError_tPvRmT1_PNSt15iterator_traitsISK_E10value_typeET2_T3_PNSL_ISQ_E10value_typeET4_jRbjT5_SW_jjP12ihipStream_tbEUlT_E_NS1_11comp_targetILNS1_3genE9ELNS1_11target_archE1100ELNS1_3gpuE3ELNS1_3repE0EEENS1_30default_config_static_selectorELNS0_4arch9wavefront6targetE1EEEvSK_
	.p2align	8
	.type	_ZN7rocprim17ROCPRIM_400000_NS6detail17trampoline_kernelINS0_14default_configENS1_36segmented_radix_sort_config_selectorIflEEZNS1_25segmented_radix_sort_implIS3_Lb0EPKfPfPKlPlN2at6native12_GLOBAL__N_18offset_tEEE10hipError_tPvRmT1_PNSt15iterator_traitsISK_E10value_typeET2_T3_PNSL_ISQ_E10value_typeET4_jRbjT5_SW_jjP12ihipStream_tbEUlT_E_NS1_11comp_targetILNS1_3genE9ELNS1_11target_archE1100ELNS1_3gpuE3ELNS1_3repE0EEENS1_30default_config_static_selectorELNS0_4arch9wavefront6targetE1EEEvSK_,@function
_ZN7rocprim17ROCPRIM_400000_NS6detail17trampoline_kernelINS0_14default_configENS1_36segmented_radix_sort_config_selectorIflEEZNS1_25segmented_radix_sort_implIS3_Lb0EPKfPfPKlPlN2at6native12_GLOBAL__N_18offset_tEEE10hipError_tPvRmT1_PNSt15iterator_traitsISK_E10value_typeET2_T3_PNSL_ISQ_E10value_typeET4_jRbjT5_SW_jjP12ihipStream_tbEUlT_E_NS1_11comp_targetILNS1_3genE9ELNS1_11target_archE1100ELNS1_3gpuE3ELNS1_3repE0EEENS1_30default_config_static_selectorELNS0_4arch9wavefront6targetE1EEEvSK_: ; @_ZN7rocprim17ROCPRIM_400000_NS6detail17trampoline_kernelINS0_14default_configENS1_36segmented_radix_sort_config_selectorIflEEZNS1_25segmented_radix_sort_implIS3_Lb0EPKfPfPKlPlN2at6native12_GLOBAL__N_18offset_tEEE10hipError_tPvRmT1_PNSt15iterator_traitsISK_E10value_typeET2_T3_PNSL_ISQ_E10value_typeET4_jRbjT5_SW_jjP12ihipStream_tbEUlT_E_NS1_11comp_targetILNS1_3genE9ELNS1_11target_archE1100ELNS1_3gpuE3ELNS1_3repE0EEENS1_30default_config_static_selectorELNS0_4arch9wavefront6targetE1EEEvSK_
; %bb.0:
	.section	.rodata,"a",@progbits
	.p2align	6, 0x0
	.amdhsa_kernel _ZN7rocprim17ROCPRIM_400000_NS6detail17trampoline_kernelINS0_14default_configENS1_36segmented_radix_sort_config_selectorIflEEZNS1_25segmented_radix_sort_implIS3_Lb0EPKfPfPKlPlN2at6native12_GLOBAL__N_18offset_tEEE10hipError_tPvRmT1_PNSt15iterator_traitsISK_E10value_typeET2_T3_PNSL_ISQ_E10value_typeET4_jRbjT5_SW_jjP12ihipStream_tbEUlT_E_NS1_11comp_targetILNS1_3genE9ELNS1_11target_archE1100ELNS1_3gpuE3ELNS1_3repE0EEENS1_30default_config_static_selectorELNS0_4arch9wavefront6targetE1EEEvSK_
		.amdhsa_group_segment_fixed_size 0
		.amdhsa_private_segment_fixed_size 0
		.amdhsa_kernarg_size 96
		.amdhsa_user_sgpr_count 6
		.amdhsa_user_sgpr_private_segment_buffer 1
		.amdhsa_user_sgpr_dispatch_ptr 0
		.amdhsa_user_sgpr_queue_ptr 0
		.amdhsa_user_sgpr_kernarg_segment_ptr 1
		.amdhsa_user_sgpr_dispatch_id 0
		.amdhsa_user_sgpr_flat_scratch_init 0
		.amdhsa_user_sgpr_private_segment_size 0
		.amdhsa_uses_dynamic_stack 0
		.amdhsa_system_sgpr_private_segment_wavefront_offset 0
		.amdhsa_system_sgpr_workgroup_id_x 1
		.amdhsa_system_sgpr_workgroup_id_y 0
		.amdhsa_system_sgpr_workgroup_id_z 0
		.amdhsa_system_sgpr_workgroup_info 0
		.amdhsa_system_vgpr_workitem_id 0
		.amdhsa_next_free_vgpr 1
		.amdhsa_next_free_sgpr 0
		.amdhsa_reserve_vcc 0
		.amdhsa_reserve_flat_scratch 0
		.amdhsa_float_round_mode_32 0
		.amdhsa_float_round_mode_16_64 0
		.amdhsa_float_denorm_mode_32 3
		.amdhsa_float_denorm_mode_16_64 3
		.amdhsa_dx10_clamp 1
		.amdhsa_ieee_mode 1
		.amdhsa_fp16_overflow 0
		.amdhsa_exception_fp_ieee_invalid_op 0
		.amdhsa_exception_fp_denorm_src 0
		.amdhsa_exception_fp_ieee_div_zero 0
		.amdhsa_exception_fp_ieee_overflow 0
		.amdhsa_exception_fp_ieee_underflow 0
		.amdhsa_exception_fp_ieee_inexact 0
		.amdhsa_exception_int_div_zero 0
	.end_amdhsa_kernel
	.section	.text._ZN7rocprim17ROCPRIM_400000_NS6detail17trampoline_kernelINS0_14default_configENS1_36segmented_radix_sort_config_selectorIflEEZNS1_25segmented_radix_sort_implIS3_Lb0EPKfPfPKlPlN2at6native12_GLOBAL__N_18offset_tEEE10hipError_tPvRmT1_PNSt15iterator_traitsISK_E10value_typeET2_T3_PNSL_ISQ_E10value_typeET4_jRbjT5_SW_jjP12ihipStream_tbEUlT_E_NS1_11comp_targetILNS1_3genE9ELNS1_11target_archE1100ELNS1_3gpuE3ELNS1_3repE0EEENS1_30default_config_static_selectorELNS0_4arch9wavefront6targetE1EEEvSK_,"axG",@progbits,_ZN7rocprim17ROCPRIM_400000_NS6detail17trampoline_kernelINS0_14default_configENS1_36segmented_radix_sort_config_selectorIflEEZNS1_25segmented_radix_sort_implIS3_Lb0EPKfPfPKlPlN2at6native12_GLOBAL__N_18offset_tEEE10hipError_tPvRmT1_PNSt15iterator_traitsISK_E10value_typeET2_T3_PNSL_ISQ_E10value_typeET4_jRbjT5_SW_jjP12ihipStream_tbEUlT_E_NS1_11comp_targetILNS1_3genE9ELNS1_11target_archE1100ELNS1_3gpuE3ELNS1_3repE0EEENS1_30default_config_static_selectorELNS0_4arch9wavefront6targetE1EEEvSK_,comdat
.Lfunc_end1436:
	.size	_ZN7rocprim17ROCPRIM_400000_NS6detail17trampoline_kernelINS0_14default_configENS1_36segmented_radix_sort_config_selectorIflEEZNS1_25segmented_radix_sort_implIS3_Lb0EPKfPfPKlPlN2at6native12_GLOBAL__N_18offset_tEEE10hipError_tPvRmT1_PNSt15iterator_traitsISK_E10value_typeET2_T3_PNSL_ISQ_E10value_typeET4_jRbjT5_SW_jjP12ihipStream_tbEUlT_E_NS1_11comp_targetILNS1_3genE9ELNS1_11target_archE1100ELNS1_3gpuE3ELNS1_3repE0EEENS1_30default_config_static_selectorELNS0_4arch9wavefront6targetE1EEEvSK_, .Lfunc_end1436-_ZN7rocprim17ROCPRIM_400000_NS6detail17trampoline_kernelINS0_14default_configENS1_36segmented_radix_sort_config_selectorIflEEZNS1_25segmented_radix_sort_implIS3_Lb0EPKfPfPKlPlN2at6native12_GLOBAL__N_18offset_tEEE10hipError_tPvRmT1_PNSt15iterator_traitsISK_E10value_typeET2_T3_PNSL_ISQ_E10value_typeET4_jRbjT5_SW_jjP12ihipStream_tbEUlT_E_NS1_11comp_targetILNS1_3genE9ELNS1_11target_archE1100ELNS1_3gpuE3ELNS1_3repE0EEENS1_30default_config_static_selectorELNS0_4arch9wavefront6targetE1EEEvSK_
                                        ; -- End function
	.set _ZN7rocprim17ROCPRIM_400000_NS6detail17trampoline_kernelINS0_14default_configENS1_36segmented_radix_sort_config_selectorIflEEZNS1_25segmented_radix_sort_implIS3_Lb0EPKfPfPKlPlN2at6native12_GLOBAL__N_18offset_tEEE10hipError_tPvRmT1_PNSt15iterator_traitsISK_E10value_typeET2_T3_PNSL_ISQ_E10value_typeET4_jRbjT5_SW_jjP12ihipStream_tbEUlT_E_NS1_11comp_targetILNS1_3genE9ELNS1_11target_archE1100ELNS1_3gpuE3ELNS1_3repE0EEENS1_30default_config_static_selectorELNS0_4arch9wavefront6targetE1EEEvSK_.num_vgpr, 0
	.set _ZN7rocprim17ROCPRIM_400000_NS6detail17trampoline_kernelINS0_14default_configENS1_36segmented_radix_sort_config_selectorIflEEZNS1_25segmented_radix_sort_implIS3_Lb0EPKfPfPKlPlN2at6native12_GLOBAL__N_18offset_tEEE10hipError_tPvRmT1_PNSt15iterator_traitsISK_E10value_typeET2_T3_PNSL_ISQ_E10value_typeET4_jRbjT5_SW_jjP12ihipStream_tbEUlT_E_NS1_11comp_targetILNS1_3genE9ELNS1_11target_archE1100ELNS1_3gpuE3ELNS1_3repE0EEENS1_30default_config_static_selectorELNS0_4arch9wavefront6targetE1EEEvSK_.num_agpr, 0
	.set _ZN7rocprim17ROCPRIM_400000_NS6detail17trampoline_kernelINS0_14default_configENS1_36segmented_radix_sort_config_selectorIflEEZNS1_25segmented_radix_sort_implIS3_Lb0EPKfPfPKlPlN2at6native12_GLOBAL__N_18offset_tEEE10hipError_tPvRmT1_PNSt15iterator_traitsISK_E10value_typeET2_T3_PNSL_ISQ_E10value_typeET4_jRbjT5_SW_jjP12ihipStream_tbEUlT_E_NS1_11comp_targetILNS1_3genE9ELNS1_11target_archE1100ELNS1_3gpuE3ELNS1_3repE0EEENS1_30default_config_static_selectorELNS0_4arch9wavefront6targetE1EEEvSK_.numbered_sgpr, 0
	.set _ZN7rocprim17ROCPRIM_400000_NS6detail17trampoline_kernelINS0_14default_configENS1_36segmented_radix_sort_config_selectorIflEEZNS1_25segmented_radix_sort_implIS3_Lb0EPKfPfPKlPlN2at6native12_GLOBAL__N_18offset_tEEE10hipError_tPvRmT1_PNSt15iterator_traitsISK_E10value_typeET2_T3_PNSL_ISQ_E10value_typeET4_jRbjT5_SW_jjP12ihipStream_tbEUlT_E_NS1_11comp_targetILNS1_3genE9ELNS1_11target_archE1100ELNS1_3gpuE3ELNS1_3repE0EEENS1_30default_config_static_selectorELNS0_4arch9wavefront6targetE1EEEvSK_.num_named_barrier, 0
	.set _ZN7rocprim17ROCPRIM_400000_NS6detail17trampoline_kernelINS0_14default_configENS1_36segmented_radix_sort_config_selectorIflEEZNS1_25segmented_radix_sort_implIS3_Lb0EPKfPfPKlPlN2at6native12_GLOBAL__N_18offset_tEEE10hipError_tPvRmT1_PNSt15iterator_traitsISK_E10value_typeET2_T3_PNSL_ISQ_E10value_typeET4_jRbjT5_SW_jjP12ihipStream_tbEUlT_E_NS1_11comp_targetILNS1_3genE9ELNS1_11target_archE1100ELNS1_3gpuE3ELNS1_3repE0EEENS1_30default_config_static_selectorELNS0_4arch9wavefront6targetE1EEEvSK_.private_seg_size, 0
	.set _ZN7rocprim17ROCPRIM_400000_NS6detail17trampoline_kernelINS0_14default_configENS1_36segmented_radix_sort_config_selectorIflEEZNS1_25segmented_radix_sort_implIS3_Lb0EPKfPfPKlPlN2at6native12_GLOBAL__N_18offset_tEEE10hipError_tPvRmT1_PNSt15iterator_traitsISK_E10value_typeET2_T3_PNSL_ISQ_E10value_typeET4_jRbjT5_SW_jjP12ihipStream_tbEUlT_E_NS1_11comp_targetILNS1_3genE9ELNS1_11target_archE1100ELNS1_3gpuE3ELNS1_3repE0EEENS1_30default_config_static_selectorELNS0_4arch9wavefront6targetE1EEEvSK_.uses_vcc, 0
	.set _ZN7rocprim17ROCPRIM_400000_NS6detail17trampoline_kernelINS0_14default_configENS1_36segmented_radix_sort_config_selectorIflEEZNS1_25segmented_radix_sort_implIS3_Lb0EPKfPfPKlPlN2at6native12_GLOBAL__N_18offset_tEEE10hipError_tPvRmT1_PNSt15iterator_traitsISK_E10value_typeET2_T3_PNSL_ISQ_E10value_typeET4_jRbjT5_SW_jjP12ihipStream_tbEUlT_E_NS1_11comp_targetILNS1_3genE9ELNS1_11target_archE1100ELNS1_3gpuE3ELNS1_3repE0EEENS1_30default_config_static_selectorELNS0_4arch9wavefront6targetE1EEEvSK_.uses_flat_scratch, 0
	.set _ZN7rocprim17ROCPRIM_400000_NS6detail17trampoline_kernelINS0_14default_configENS1_36segmented_radix_sort_config_selectorIflEEZNS1_25segmented_radix_sort_implIS3_Lb0EPKfPfPKlPlN2at6native12_GLOBAL__N_18offset_tEEE10hipError_tPvRmT1_PNSt15iterator_traitsISK_E10value_typeET2_T3_PNSL_ISQ_E10value_typeET4_jRbjT5_SW_jjP12ihipStream_tbEUlT_E_NS1_11comp_targetILNS1_3genE9ELNS1_11target_archE1100ELNS1_3gpuE3ELNS1_3repE0EEENS1_30default_config_static_selectorELNS0_4arch9wavefront6targetE1EEEvSK_.has_dyn_sized_stack, 0
	.set _ZN7rocprim17ROCPRIM_400000_NS6detail17trampoline_kernelINS0_14default_configENS1_36segmented_radix_sort_config_selectorIflEEZNS1_25segmented_radix_sort_implIS3_Lb0EPKfPfPKlPlN2at6native12_GLOBAL__N_18offset_tEEE10hipError_tPvRmT1_PNSt15iterator_traitsISK_E10value_typeET2_T3_PNSL_ISQ_E10value_typeET4_jRbjT5_SW_jjP12ihipStream_tbEUlT_E_NS1_11comp_targetILNS1_3genE9ELNS1_11target_archE1100ELNS1_3gpuE3ELNS1_3repE0EEENS1_30default_config_static_selectorELNS0_4arch9wavefront6targetE1EEEvSK_.has_recursion, 0
	.set _ZN7rocprim17ROCPRIM_400000_NS6detail17trampoline_kernelINS0_14default_configENS1_36segmented_radix_sort_config_selectorIflEEZNS1_25segmented_radix_sort_implIS3_Lb0EPKfPfPKlPlN2at6native12_GLOBAL__N_18offset_tEEE10hipError_tPvRmT1_PNSt15iterator_traitsISK_E10value_typeET2_T3_PNSL_ISQ_E10value_typeET4_jRbjT5_SW_jjP12ihipStream_tbEUlT_E_NS1_11comp_targetILNS1_3genE9ELNS1_11target_archE1100ELNS1_3gpuE3ELNS1_3repE0EEENS1_30default_config_static_selectorELNS0_4arch9wavefront6targetE1EEEvSK_.has_indirect_call, 0
	.section	.AMDGPU.csdata,"",@progbits
; Kernel info:
; codeLenInByte = 0
; TotalNumSgprs: 4
; NumVgprs: 0
; ScratchSize: 0
; MemoryBound: 0
; FloatMode: 240
; IeeeMode: 1
; LDSByteSize: 0 bytes/workgroup (compile time only)
; SGPRBlocks: 0
; VGPRBlocks: 0
; NumSGPRsForWavesPerEU: 4
; NumVGPRsForWavesPerEU: 1
; Occupancy: 10
; WaveLimiterHint : 0
; COMPUTE_PGM_RSRC2:SCRATCH_EN: 0
; COMPUTE_PGM_RSRC2:USER_SGPR: 6
; COMPUTE_PGM_RSRC2:TRAP_HANDLER: 0
; COMPUTE_PGM_RSRC2:TGID_X_EN: 1
; COMPUTE_PGM_RSRC2:TGID_Y_EN: 0
; COMPUTE_PGM_RSRC2:TGID_Z_EN: 0
; COMPUTE_PGM_RSRC2:TIDIG_COMP_CNT: 0
	.section	.text._ZN7rocprim17ROCPRIM_400000_NS6detail17trampoline_kernelINS0_14default_configENS1_36segmented_radix_sort_config_selectorIflEEZNS1_25segmented_radix_sort_implIS3_Lb0EPKfPfPKlPlN2at6native12_GLOBAL__N_18offset_tEEE10hipError_tPvRmT1_PNSt15iterator_traitsISK_E10value_typeET2_T3_PNSL_ISQ_E10value_typeET4_jRbjT5_SW_jjP12ihipStream_tbEUlT_E_NS1_11comp_targetILNS1_3genE8ELNS1_11target_archE1030ELNS1_3gpuE2ELNS1_3repE0EEENS1_30default_config_static_selectorELNS0_4arch9wavefront6targetE1EEEvSK_,"axG",@progbits,_ZN7rocprim17ROCPRIM_400000_NS6detail17trampoline_kernelINS0_14default_configENS1_36segmented_radix_sort_config_selectorIflEEZNS1_25segmented_radix_sort_implIS3_Lb0EPKfPfPKlPlN2at6native12_GLOBAL__N_18offset_tEEE10hipError_tPvRmT1_PNSt15iterator_traitsISK_E10value_typeET2_T3_PNSL_ISQ_E10value_typeET4_jRbjT5_SW_jjP12ihipStream_tbEUlT_E_NS1_11comp_targetILNS1_3genE8ELNS1_11target_archE1030ELNS1_3gpuE2ELNS1_3repE0EEENS1_30default_config_static_selectorELNS0_4arch9wavefront6targetE1EEEvSK_,comdat
	.globl	_ZN7rocprim17ROCPRIM_400000_NS6detail17trampoline_kernelINS0_14default_configENS1_36segmented_radix_sort_config_selectorIflEEZNS1_25segmented_radix_sort_implIS3_Lb0EPKfPfPKlPlN2at6native12_GLOBAL__N_18offset_tEEE10hipError_tPvRmT1_PNSt15iterator_traitsISK_E10value_typeET2_T3_PNSL_ISQ_E10value_typeET4_jRbjT5_SW_jjP12ihipStream_tbEUlT_E_NS1_11comp_targetILNS1_3genE8ELNS1_11target_archE1030ELNS1_3gpuE2ELNS1_3repE0EEENS1_30default_config_static_selectorELNS0_4arch9wavefront6targetE1EEEvSK_ ; -- Begin function _ZN7rocprim17ROCPRIM_400000_NS6detail17trampoline_kernelINS0_14default_configENS1_36segmented_radix_sort_config_selectorIflEEZNS1_25segmented_radix_sort_implIS3_Lb0EPKfPfPKlPlN2at6native12_GLOBAL__N_18offset_tEEE10hipError_tPvRmT1_PNSt15iterator_traitsISK_E10value_typeET2_T3_PNSL_ISQ_E10value_typeET4_jRbjT5_SW_jjP12ihipStream_tbEUlT_E_NS1_11comp_targetILNS1_3genE8ELNS1_11target_archE1030ELNS1_3gpuE2ELNS1_3repE0EEENS1_30default_config_static_selectorELNS0_4arch9wavefront6targetE1EEEvSK_
	.p2align	8
	.type	_ZN7rocprim17ROCPRIM_400000_NS6detail17trampoline_kernelINS0_14default_configENS1_36segmented_radix_sort_config_selectorIflEEZNS1_25segmented_radix_sort_implIS3_Lb0EPKfPfPKlPlN2at6native12_GLOBAL__N_18offset_tEEE10hipError_tPvRmT1_PNSt15iterator_traitsISK_E10value_typeET2_T3_PNSL_ISQ_E10value_typeET4_jRbjT5_SW_jjP12ihipStream_tbEUlT_E_NS1_11comp_targetILNS1_3genE8ELNS1_11target_archE1030ELNS1_3gpuE2ELNS1_3repE0EEENS1_30default_config_static_selectorELNS0_4arch9wavefront6targetE1EEEvSK_,@function
_ZN7rocprim17ROCPRIM_400000_NS6detail17trampoline_kernelINS0_14default_configENS1_36segmented_radix_sort_config_selectorIflEEZNS1_25segmented_radix_sort_implIS3_Lb0EPKfPfPKlPlN2at6native12_GLOBAL__N_18offset_tEEE10hipError_tPvRmT1_PNSt15iterator_traitsISK_E10value_typeET2_T3_PNSL_ISQ_E10value_typeET4_jRbjT5_SW_jjP12ihipStream_tbEUlT_E_NS1_11comp_targetILNS1_3genE8ELNS1_11target_archE1030ELNS1_3gpuE2ELNS1_3repE0EEENS1_30default_config_static_selectorELNS0_4arch9wavefront6targetE1EEEvSK_: ; @_ZN7rocprim17ROCPRIM_400000_NS6detail17trampoline_kernelINS0_14default_configENS1_36segmented_radix_sort_config_selectorIflEEZNS1_25segmented_radix_sort_implIS3_Lb0EPKfPfPKlPlN2at6native12_GLOBAL__N_18offset_tEEE10hipError_tPvRmT1_PNSt15iterator_traitsISK_E10value_typeET2_T3_PNSL_ISQ_E10value_typeET4_jRbjT5_SW_jjP12ihipStream_tbEUlT_E_NS1_11comp_targetILNS1_3genE8ELNS1_11target_archE1030ELNS1_3gpuE2ELNS1_3repE0EEENS1_30default_config_static_selectorELNS0_4arch9wavefront6targetE1EEEvSK_
; %bb.0:
	.section	.rodata,"a",@progbits
	.p2align	6, 0x0
	.amdhsa_kernel _ZN7rocprim17ROCPRIM_400000_NS6detail17trampoline_kernelINS0_14default_configENS1_36segmented_radix_sort_config_selectorIflEEZNS1_25segmented_radix_sort_implIS3_Lb0EPKfPfPKlPlN2at6native12_GLOBAL__N_18offset_tEEE10hipError_tPvRmT1_PNSt15iterator_traitsISK_E10value_typeET2_T3_PNSL_ISQ_E10value_typeET4_jRbjT5_SW_jjP12ihipStream_tbEUlT_E_NS1_11comp_targetILNS1_3genE8ELNS1_11target_archE1030ELNS1_3gpuE2ELNS1_3repE0EEENS1_30default_config_static_selectorELNS0_4arch9wavefront6targetE1EEEvSK_
		.amdhsa_group_segment_fixed_size 0
		.amdhsa_private_segment_fixed_size 0
		.amdhsa_kernarg_size 96
		.amdhsa_user_sgpr_count 6
		.amdhsa_user_sgpr_private_segment_buffer 1
		.amdhsa_user_sgpr_dispatch_ptr 0
		.amdhsa_user_sgpr_queue_ptr 0
		.amdhsa_user_sgpr_kernarg_segment_ptr 1
		.amdhsa_user_sgpr_dispatch_id 0
		.amdhsa_user_sgpr_flat_scratch_init 0
		.amdhsa_user_sgpr_private_segment_size 0
		.amdhsa_uses_dynamic_stack 0
		.amdhsa_system_sgpr_private_segment_wavefront_offset 0
		.amdhsa_system_sgpr_workgroup_id_x 1
		.amdhsa_system_sgpr_workgroup_id_y 0
		.amdhsa_system_sgpr_workgroup_id_z 0
		.amdhsa_system_sgpr_workgroup_info 0
		.amdhsa_system_vgpr_workitem_id 0
		.amdhsa_next_free_vgpr 1
		.amdhsa_next_free_sgpr 0
		.amdhsa_reserve_vcc 0
		.amdhsa_reserve_flat_scratch 0
		.amdhsa_float_round_mode_32 0
		.amdhsa_float_round_mode_16_64 0
		.amdhsa_float_denorm_mode_32 3
		.amdhsa_float_denorm_mode_16_64 3
		.amdhsa_dx10_clamp 1
		.amdhsa_ieee_mode 1
		.amdhsa_fp16_overflow 0
		.amdhsa_exception_fp_ieee_invalid_op 0
		.amdhsa_exception_fp_denorm_src 0
		.amdhsa_exception_fp_ieee_div_zero 0
		.amdhsa_exception_fp_ieee_overflow 0
		.amdhsa_exception_fp_ieee_underflow 0
		.amdhsa_exception_fp_ieee_inexact 0
		.amdhsa_exception_int_div_zero 0
	.end_amdhsa_kernel
	.section	.text._ZN7rocprim17ROCPRIM_400000_NS6detail17trampoline_kernelINS0_14default_configENS1_36segmented_radix_sort_config_selectorIflEEZNS1_25segmented_radix_sort_implIS3_Lb0EPKfPfPKlPlN2at6native12_GLOBAL__N_18offset_tEEE10hipError_tPvRmT1_PNSt15iterator_traitsISK_E10value_typeET2_T3_PNSL_ISQ_E10value_typeET4_jRbjT5_SW_jjP12ihipStream_tbEUlT_E_NS1_11comp_targetILNS1_3genE8ELNS1_11target_archE1030ELNS1_3gpuE2ELNS1_3repE0EEENS1_30default_config_static_selectorELNS0_4arch9wavefront6targetE1EEEvSK_,"axG",@progbits,_ZN7rocprim17ROCPRIM_400000_NS6detail17trampoline_kernelINS0_14default_configENS1_36segmented_radix_sort_config_selectorIflEEZNS1_25segmented_radix_sort_implIS3_Lb0EPKfPfPKlPlN2at6native12_GLOBAL__N_18offset_tEEE10hipError_tPvRmT1_PNSt15iterator_traitsISK_E10value_typeET2_T3_PNSL_ISQ_E10value_typeET4_jRbjT5_SW_jjP12ihipStream_tbEUlT_E_NS1_11comp_targetILNS1_3genE8ELNS1_11target_archE1030ELNS1_3gpuE2ELNS1_3repE0EEENS1_30default_config_static_selectorELNS0_4arch9wavefront6targetE1EEEvSK_,comdat
.Lfunc_end1437:
	.size	_ZN7rocprim17ROCPRIM_400000_NS6detail17trampoline_kernelINS0_14default_configENS1_36segmented_radix_sort_config_selectorIflEEZNS1_25segmented_radix_sort_implIS3_Lb0EPKfPfPKlPlN2at6native12_GLOBAL__N_18offset_tEEE10hipError_tPvRmT1_PNSt15iterator_traitsISK_E10value_typeET2_T3_PNSL_ISQ_E10value_typeET4_jRbjT5_SW_jjP12ihipStream_tbEUlT_E_NS1_11comp_targetILNS1_3genE8ELNS1_11target_archE1030ELNS1_3gpuE2ELNS1_3repE0EEENS1_30default_config_static_selectorELNS0_4arch9wavefront6targetE1EEEvSK_, .Lfunc_end1437-_ZN7rocprim17ROCPRIM_400000_NS6detail17trampoline_kernelINS0_14default_configENS1_36segmented_radix_sort_config_selectorIflEEZNS1_25segmented_radix_sort_implIS3_Lb0EPKfPfPKlPlN2at6native12_GLOBAL__N_18offset_tEEE10hipError_tPvRmT1_PNSt15iterator_traitsISK_E10value_typeET2_T3_PNSL_ISQ_E10value_typeET4_jRbjT5_SW_jjP12ihipStream_tbEUlT_E_NS1_11comp_targetILNS1_3genE8ELNS1_11target_archE1030ELNS1_3gpuE2ELNS1_3repE0EEENS1_30default_config_static_selectorELNS0_4arch9wavefront6targetE1EEEvSK_
                                        ; -- End function
	.set _ZN7rocprim17ROCPRIM_400000_NS6detail17trampoline_kernelINS0_14default_configENS1_36segmented_radix_sort_config_selectorIflEEZNS1_25segmented_radix_sort_implIS3_Lb0EPKfPfPKlPlN2at6native12_GLOBAL__N_18offset_tEEE10hipError_tPvRmT1_PNSt15iterator_traitsISK_E10value_typeET2_T3_PNSL_ISQ_E10value_typeET4_jRbjT5_SW_jjP12ihipStream_tbEUlT_E_NS1_11comp_targetILNS1_3genE8ELNS1_11target_archE1030ELNS1_3gpuE2ELNS1_3repE0EEENS1_30default_config_static_selectorELNS0_4arch9wavefront6targetE1EEEvSK_.num_vgpr, 0
	.set _ZN7rocprim17ROCPRIM_400000_NS6detail17trampoline_kernelINS0_14default_configENS1_36segmented_radix_sort_config_selectorIflEEZNS1_25segmented_radix_sort_implIS3_Lb0EPKfPfPKlPlN2at6native12_GLOBAL__N_18offset_tEEE10hipError_tPvRmT1_PNSt15iterator_traitsISK_E10value_typeET2_T3_PNSL_ISQ_E10value_typeET4_jRbjT5_SW_jjP12ihipStream_tbEUlT_E_NS1_11comp_targetILNS1_3genE8ELNS1_11target_archE1030ELNS1_3gpuE2ELNS1_3repE0EEENS1_30default_config_static_selectorELNS0_4arch9wavefront6targetE1EEEvSK_.num_agpr, 0
	.set _ZN7rocprim17ROCPRIM_400000_NS6detail17trampoline_kernelINS0_14default_configENS1_36segmented_radix_sort_config_selectorIflEEZNS1_25segmented_radix_sort_implIS3_Lb0EPKfPfPKlPlN2at6native12_GLOBAL__N_18offset_tEEE10hipError_tPvRmT1_PNSt15iterator_traitsISK_E10value_typeET2_T3_PNSL_ISQ_E10value_typeET4_jRbjT5_SW_jjP12ihipStream_tbEUlT_E_NS1_11comp_targetILNS1_3genE8ELNS1_11target_archE1030ELNS1_3gpuE2ELNS1_3repE0EEENS1_30default_config_static_selectorELNS0_4arch9wavefront6targetE1EEEvSK_.numbered_sgpr, 0
	.set _ZN7rocprim17ROCPRIM_400000_NS6detail17trampoline_kernelINS0_14default_configENS1_36segmented_radix_sort_config_selectorIflEEZNS1_25segmented_radix_sort_implIS3_Lb0EPKfPfPKlPlN2at6native12_GLOBAL__N_18offset_tEEE10hipError_tPvRmT1_PNSt15iterator_traitsISK_E10value_typeET2_T3_PNSL_ISQ_E10value_typeET4_jRbjT5_SW_jjP12ihipStream_tbEUlT_E_NS1_11comp_targetILNS1_3genE8ELNS1_11target_archE1030ELNS1_3gpuE2ELNS1_3repE0EEENS1_30default_config_static_selectorELNS0_4arch9wavefront6targetE1EEEvSK_.num_named_barrier, 0
	.set _ZN7rocprim17ROCPRIM_400000_NS6detail17trampoline_kernelINS0_14default_configENS1_36segmented_radix_sort_config_selectorIflEEZNS1_25segmented_radix_sort_implIS3_Lb0EPKfPfPKlPlN2at6native12_GLOBAL__N_18offset_tEEE10hipError_tPvRmT1_PNSt15iterator_traitsISK_E10value_typeET2_T3_PNSL_ISQ_E10value_typeET4_jRbjT5_SW_jjP12ihipStream_tbEUlT_E_NS1_11comp_targetILNS1_3genE8ELNS1_11target_archE1030ELNS1_3gpuE2ELNS1_3repE0EEENS1_30default_config_static_selectorELNS0_4arch9wavefront6targetE1EEEvSK_.private_seg_size, 0
	.set _ZN7rocprim17ROCPRIM_400000_NS6detail17trampoline_kernelINS0_14default_configENS1_36segmented_radix_sort_config_selectorIflEEZNS1_25segmented_radix_sort_implIS3_Lb0EPKfPfPKlPlN2at6native12_GLOBAL__N_18offset_tEEE10hipError_tPvRmT1_PNSt15iterator_traitsISK_E10value_typeET2_T3_PNSL_ISQ_E10value_typeET4_jRbjT5_SW_jjP12ihipStream_tbEUlT_E_NS1_11comp_targetILNS1_3genE8ELNS1_11target_archE1030ELNS1_3gpuE2ELNS1_3repE0EEENS1_30default_config_static_selectorELNS0_4arch9wavefront6targetE1EEEvSK_.uses_vcc, 0
	.set _ZN7rocprim17ROCPRIM_400000_NS6detail17trampoline_kernelINS0_14default_configENS1_36segmented_radix_sort_config_selectorIflEEZNS1_25segmented_radix_sort_implIS3_Lb0EPKfPfPKlPlN2at6native12_GLOBAL__N_18offset_tEEE10hipError_tPvRmT1_PNSt15iterator_traitsISK_E10value_typeET2_T3_PNSL_ISQ_E10value_typeET4_jRbjT5_SW_jjP12ihipStream_tbEUlT_E_NS1_11comp_targetILNS1_3genE8ELNS1_11target_archE1030ELNS1_3gpuE2ELNS1_3repE0EEENS1_30default_config_static_selectorELNS0_4arch9wavefront6targetE1EEEvSK_.uses_flat_scratch, 0
	.set _ZN7rocprim17ROCPRIM_400000_NS6detail17trampoline_kernelINS0_14default_configENS1_36segmented_radix_sort_config_selectorIflEEZNS1_25segmented_radix_sort_implIS3_Lb0EPKfPfPKlPlN2at6native12_GLOBAL__N_18offset_tEEE10hipError_tPvRmT1_PNSt15iterator_traitsISK_E10value_typeET2_T3_PNSL_ISQ_E10value_typeET4_jRbjT5_SW_jjP12ihipStream_tbEUlT_E_NS1_11comp_targetILNS1_3genE8ELNS1_11target_archE1030ELNS1_3gpuE2ELNS1_3repE0EEENS1_30default_config_static_selectorELNS0_4arch9wavefront6targetE1EEEvSK_.has_dyn_sized_stack, 0
	.set _ZN7rocprim17ROCPRIM_400000_NS6detail17trampoline_kernelINS0_14default_configENS1_36segmented_radix_sort_config_selectorIflEEZNS1_25segmented_radix_sort_implIS3_Lb0EPKfPfPKlPlN2at6native12_GLOBAL__N_18offset_tEEE10hipError_tPvRmT1_PNSt15iterator_traitsISK_E10value_typeET2_T3_PNSL_ISQ_E10value_typeET4_jRbjT5_SW_jjP12ihipStream_tbEUlT_E_NS1_11comp_targetILNS1_3genE8ELNS1_11target_archE1030ELNS1_3gpuE2ELNS1_3repE0EEENS1_30default_config_static_selectorELNS0_4arch9wavefront6targetE1EEEvSK_.has_recursion, 0
	.set _ZN7rocprim17ROCPRIM_400000_NS6detail17trampoline_kernelINS0_14default_configENS1_36segmented_radix_sort_config_selectorIflEEZNS1_25segmented_radix_sort_implIS3_Lb0EPKfPfPKlPlN2at6native12_GLOBAL__N_18offset_tEEE10hipError_tPvRmT1_PNSt15iterator_traitsISK_E10value_typeET2_T3_PNSL_ISQ_E10value_typeET4_jRbjT5_SW_jjP12ihipStream_tbEUlT_E_NS1_11comp_targetILNS1_3genE8ELNS1_11target_archE1030ELNS1_3gpuE2ELNS1_3repE0EEENS1_30default_config_static_selectorELNS0_4arch9wavefront6targetE1EEEvSK_.has_indirect_call, 0
	.section	.AMDGPU.csdata,"",@progbits
; Kernel info:
; codeLenInByte = 0
; TotalNumSgprs: 4
; NumVgprs: 0
; ScratchSize: 0
; MemoryBound: 0
; FloatMode: 240
; IeeeMode: 1
; LDSByteSize: 0 bytes/workgroup (compile time only)
; SGPRBlocks: 0
; VGPRBlocks: 0
; NumSGPRsForWavesPerEU: 4
; NumVGPRsForWavesPerEU: 1
; Occupancy: 10
; WaveLimiterHint : 0
; COMPUTE_PGM_RSRC2:SCRATCH_EN: 0
; COMPUTE_PGM_RSRC2:USER_SGPR: 6
; COMPUTE_PGM_RSRC2:TRAP_HANDLER: 0
; COMPUTE_PGM_RSRC2:TGID_X_EN: 1
; COMPUTE_PGM_RSRC2:TGID_Y_EN: 0
; COMPUTE_PGM_RSRC2:TGID_Z_EN: 0
; COMPUTE_PGM_RSRC2:TIDIG_COMP_CNT: 0
	.section	.text._ZN7rocprim17ROCPRIM_400000_NS6detail17trampoline_kernelINS0_14default_configENS1_36segmented_radix_sort_config_selectorIflEEZNS1_25segmented_radix_sort_implIS3_Lb0EPKfPfPKlPlN2at6native12_GLOBAL__N_18offset_tEEE10hipError_tPvRmT1_PNSt15iterator_traitsISK_E10value_typeET2_T3_PNSL_ISQ_E10value_typeET4_jRbjT5_SW_jjP12ihipStream_tbEUlT_E0_NS1_11comp_targetILNS1_3genE0ELNS1_11target_archE4294967295ELNS1_3gpuE0ELNS1_3repE0EEENS1_60segmented_radix_sort_warp_sort_medium_config_static_selectorELNS0_4arch9wavefront6targetE1EEEvSK_,"axG",@progbits,_ZN7rocprim17ROCPRIM_400000_NS6detail17trampoline_kernelINS0_14default_configENS1_36segmented_radix_sort_config_selectorIflEEZNS1_25segmented_radix_sort_implIS3_Lb0EPKfPfPKlPlN2at6native12_GLOBAL__N_18offset_tEEE10hipError_tPvRmT1_PNSt15iterator_traitsISK_E10value_typeET2_T3_PNSL_ISQ_E10value_typeET4_jRbjT5_SW_jjP12ihipStream_tbEUlT_E0_NS1_11comp_targetILNS1_3genE0ELNS1_11target_archE4294967295ELNS1_3gpuE0ELNS1_3repE0EEENS1_60segmented_radix_sort_warp_sort_medium_config_static_selectorELNS0_4arch9wavefront6targetE1EEEvSK_,comdat
	.globl	_ZN7rocprim17ROCPRIM_400000_NS6detail17trampoline_kernelINS0_14default_configENS1_36segmented_radix_sort_config_selectorIflEEZNS1_25segmented_radix_sort_implIS3_Lb0EPKfPfPKlPlN2at6native12_GLOBAL__N_18offset_tEEE10hipError_tPvRmT1_PNSt15iterator_traitsISK_E10value_typeET2_T3_PNSL_ISQ_E10value_typeET4_jRbjT5_SW_jjP12ihipStream_tbEUlT_E0_NS1_11comp_targetILNS1_3genE0ELNS1_11target_archE4294967295ELNS1_3gpuE0ELNS1_3repE0EEENS1_60segmented_radix_sort_warp_sort_medium_config_static_selectorELNS0_4arch9wavefront6targetE1EEEvSK_ ; -- Begin function _ZN7rocprim17ROCPRIM_400000_NS6detail17trampoline_kernelINS0_14default_configENS1_36segmented_radix_sort_config_selectorIflEEZNS1_25segmented_radix_sort_implIS3_Lb0EPKfPfPKlPlN2at6native12_GLOBAL__N_18offset_tEEE10hipError_tPvRmT1_PNSt15iterator_traitsISK_E10value_typeET2_T3_PNSL_ISQ_E10value_typeET4_jRbjT5_SW_jjP12ihipStream_tbEUlT_E0_NS1_11comp_targetILNS1_3genE0ELNS1_11target_archE4294967295ELNS1_3gpuE0ELNS1_3repE0EEENS1_60segmented_radix_sort_warp_sort_medium_config_static_selectorELNS0_4arch9wavefront6targetE1EEEvSK_
	.p2align	8
	.type	_ZN7rocprim17ROCPRIM_400000_NS6detail17trampoline_kernelINS0_14default_configENS1_36segmented_radix_sort_config_selectorIflEEZNS1_25segmented_radix_sort_implIS3_Lb0EPKfPfPKlPlN2at6native12_GLOBAL__N_18offset_tEEE10hipError_tPvRmT1_PNSt15iterator_traitsISK_E10value_typeET2_T3_PNSL_ISQ_E10value_typeET4_jRbjT5_SW_jjP12ihipStream_tbEUlT_E0_NS1_11comp_targetILNS1_3genE0ELNS1_11target_archE4294967295ELNS1_3gpuE0ELNS1_3repE0EEENS1_60segmented_radix_sort_warp_sort_medium_config_static_selectorELNS0_4arch9wavefront6targetE1EEEvSK_,@function
_ZN7rocprim17ROCPRIM_400000_NS6detail17trampoline_kernelINS0_14default_configENS1_36segmented_radix_sort_config_selectorIflEEZNS1_25segmented_radix_sort_implIS3_Lb0EPKfPfPKlPlN2at6native12_GLOBAL__N_18offset_tEEE10hipError_tPvRmT1_PNSt15iterator_traitsISK_E10value_typeET2_T3_PNSL_ISQ_E10value_typeET4_jRbjT5_SW_jjP12ihipStream_tbEUlT_E0_NS1_11comp_targetILNS1_3genE0ELNS1_11target_archE4294967295ELNS1_3gpuE0ELNS1_3repE0EEENS1_60segmented_radix_sort_warp_sort_medium_config_static_selectorELNS0_4arch9wavefront6targetE1EEEvSK_: ; @_ZN7rocprim17ROCPRIM_400000_NS6detail17trampoline_kernelINS0_14default_configENS1_36segmented_radix_sort_config_selectorIflEEZNS1_25segmented_radix_sort_implIS3_Lb0EPKfPfPKlPlN2at6native12_GLOBAL__N_18offset_tEEE10hipError_tPvRmT1_PNSt15iterator_traitsISK_E10value_typeET2_T3_PNSL_ISQ_E10value_typeET4_jRbjT5_SW_jjP12ihipStream_tbEUlT_E0_NS1_11comp_targetILNS1_3genE0ELNS1_11target_archE4294967295ELNS1_3gpuE0ELNS1_3repE0EEENS1_60segmented_radix_sort_warp_sort_medium_config_static_selectorELNS0_4arch9wavefront6targetE1EEEvSK_
; %bb.0:
	.section	.rodata,"a",@progbits
	.p2align	6, 0x0
	.amdhsa_kernel _ZN7rocprim17ROCPRIM_400000_NS6detail17trampoline_kernelINS0_14default_configENS1_36segmented_radix_sort_config_selectorIflEEZNS1_25segmented_radix_sort_implIS3_Lb0EPKfPfPKlPlN2at6native12_GLOBAL__N_18offset_tEEE10hipError_tPvRmT1_PNSt15iterator_traitsISK_E10value_typeET2_T3_PNSL_ISQ_E10value_typeET4_jRbjT5_SW_jjP12ihipStream_tbEUlT_E0_NS1_11comp_targetILNS1_3genE0ELNS1_11target_archE4294967295ELNS1_3gpuE0ELNS1_3repE0EEENS1_60segmented_radix_sort_warp_sort_medium_config_static_selectorELNS0_4arch9wavefront6targetE1EEEvSK_
		.amdhsa_group_segment_fixed_size 0
		.amdhsa_private_segment_fixed_size 0
		.amdhsa_kernarg_size 88
		.amdhsa_user_sgpr_count 6
		.amdhsa_user_sgpr_private_segment_buffer 1
		.amdhsa_user_sgpr_dispatch_ptr 0
		.amdhsa_user_sgpr_queue_ptr 0
		.amdhsa_user_sgpr_kernarg_segment_ptr 1
		.amdhsa_user_sgpr_dispatch_id 0
		.amdhsa_user_sgpr_flat_scratch_init 0
		.amdhsa_user_sgpr_private_segment_size 0
		.amdhsa_uses_dynamic_stack 0
		.amdhsa_system_sgpr_private_segment_wavefront_offset 0
		.amdhsa_system_sgpr_workgroup_id_x 1
		.amdhsa_system_sgpr_workgroup_id_y 0
		.amdhsa_system_sgpr_workgroup_id_z 0
		.amdhsa_system_sgpr_workgroup_info 0
		.amdhsa_system_vgpr_workitem_id 0
		.amdhsa_next_free_vgpr 1
		.amdhsa_next_free_sgpr 0
		.amdhsa_reserve_vcc 0
		.amdhsa_reserve_flat_scratch 0
		.amdhsa_float_round_mode_32 0
		.amdhsa_float_round_mode_16_64 0
		.amdhsa_float_denorm_mode_32 3
		.amdhsa_float_denorm_mode_16_64 3
		.amdhsa_dx10_clamp 1
		.amdhsa_ieee_mode 1
		.amdhsa_fp16_overflow 0
		.amdhsa_exception_fp_ieee_invalid_op 0
		.amdhsa_exception_fp_denorm_src 0
		.amdhsa_exception_fp_ieee_div_zero 0
		.amdhsa_exception_fp_ieee_overflow 0
		.amdhsa_exception_fp_ieee_underflow 0
		.amdhsa_exception_fp_ieee_inexact 0
		.amdhsa_exception_int_div_zero 0
	.end_amdhsa_kernel
	.section	.text._ZN7rocprim17ROCPRIM_400000_NS6detail17trampoline_kernelINS0_14default_configENS1_36segmented_radix_sort_config_selectorIflEEZNS1_25segmented_radix_sort_implIS3_Lb0EPKfPfPKlPlN2at6native12_GLOBAL__N_18offset_tEEE10hipError_tPvRmT1_PNSt15iterator_traitsISK_E10value_typeET2_T3_PNSL_ISQ_E10value_typeET4_jRbjT5_SW_jjP12ihipStream_tbEUlT_E0_NS1_11comp_targetILNS1_3genE0ELNS1_11target_archE4294967295ELNS1_3gpuE0ELNS1_3repE0EEENS1_60segmented_radix_sort_warp_sort_medium_config_static_selectorELNS0_4arch9wavefront6targetE1EEEvSK_,"axG",@progbits,_ZN7rocprim17ROCPRIM_400000_NS6detail17trampoline_kernelINS0_14default_configENS1_36segmented_radix_sort_config_selectorIflEEZNS1_25segmented_radix_sort_implIS3_Lb0EPKfPfPKlPlN2at6native12_GLOBAL__N_18offset_tEEE10hipError_tPvRmT1_PNSt15iterator_traitsISK_E10value_typeET2_T3_PNSL_ISQ_E10value_typeET4_jRbjT5_SW_jjP12ihipStream_tbEUlT_E0_NS1_11comp_targetILNS1_3genE0ELNS1_11target_archE4294967295ELNS1_3gpuE0ELNS1_3repE0EEENS1_60segmented_radix_sort_warp_sort_medium_config_static_selectorELNS0_4arch9wavefront6targetE1EEEvSK_,comdat
.Lfunc_end1438:
	.size	_ZN7rocprim17ROCPRIM_400000_NS6detail17trampoline_kernelINS0_14default_configENS1_36segmented_radix_sort_config_selectorIflEEZNS1_25segmented_radix_sort_implIS3_Lb0EPKfPfPKlPlN2at6native12_GLOBAL__N_18offset_tEEE10hipError_tPvRmT1_PNSt15iterator_traitsISK_E10value_typeET2_T3_PNSL_ISQ_E10value_typeET4_jRbjT5_SW_jjP12ihipStream_tbEUlT_E0_NS1_11comp_targetILNS1_3genE0ELNS1_11target_archE4294967295ELNS1_3gpuE0ELNS1_3repE0EEENS1_60segmented_radix_sort_warp_sort_medium_config_static_selectorELNS0_4arch9wavefront6targetE1EEEvSK_, .Lfunc_end1438-_ZN7rocprim17ROCPRIM_400000_NS6detail17trampoline_kernelINS0_14default_configENS1_36segmented_radix_sort_config_selectorIflEEZNS1_25segmented_radix_sort_implIS3_Lb0EPKfPfPKlPlN2at6native12_GLOBAL__N_18offset_tEEE10hipError_tPvRmT1_PNSt15iterator_traitsISK_E10value_typeET2_T3_PNSL_ISQ_E10value_typeET4_jRbjT5_SW_jjP12ihipStream_tbEUlT_E0_NS1_11comp_targetILNS1_3genE0ELNS1_11target_archE4294967295ELNS1_3gpuE0ELNS1_3repE0EEENS1_60segmented_radix_sort_warp_sort_medium_config_static_selectorELNS0_4arch9wavefront6targetE1EEEvSK_
                                        ; -- End function
	.set _ZN7rocprim17ROCPRIM_400000_NS6detail17trampoline_kernelINS0_14default_configENS1_36segmented_radix_sort_config_selectorIflEEZNS1_25segmented_radix_sort_implIS3_Lb0EPKfPfPKlPlN2at6native12_GLOBAL__N_18offset_tEEE10hipError_tPvRmT1_PNSt15iterator_traitsISK_E10value_typeET2_T3_PNSL_ISQ_E10value_typeET4_jRbjT5_SW_jjP12ihipStream_tbEUlT_E0_NS1_11comp_targetILNS1_3genE0ELNS1_11target_archE4294967295ELNS1_3gpuE0ELNS1_3repE0EEENS1_60segmented_radix_sort_warp_sort_medium_config_static_selectorELNS0_4arch9wavefront6targetE1EEEvSK_.num_vgpr, 0
	.set _ZN7rocprim17ROCPRIM_400000_NS6detail17trampoline_kernelINS0_14default_configENS1_36segmented_radix_sort_config_selectorIflEEZNS1_25segmented_radix_sort_implIS3_Lb0EPKfPfPKlPlN2at6native12_GLOBAL__N_18offset_tEEE10hipError_tPvRmT1_PNSt15iterator_traitsISK_E10value_typeET2_T3_PNSL_ISQ_E10value_typeET4_jRbjT5_SW_jjP12ihipStream_tbEUlT_E0_NS1_11comp_targetILNS1_3genE0ELNS1_11target_archE4294967295ELNS1_3gpuE0ELNS1_3repE0EEENS1_60segmented_radix_sort_warp_sort_medium_config_static_selectorELNS0_4arch9wavefront6targetE1EEEvSK_.num_agpr, 0
	.set _ZN7rocprim17ROCPRIM_400000_NS6detail17trampoline_kernelINS0_14default_configENS1_36segmented_radix_sort_config_selectorIflEEZNS1_25segmented_radix_sort_implIS3_Lb0EPKfPfPKlPlN2at6native12_GLOBAL__N_18offset_tEEE10hipError_tPvRmT1_PNSt15iterator_traitsISK_E10value_typeET2_T3_PNSL_ISQ_E10value_typeET4_jRbjT5_SW_jjP12ihipStream_tbEUlT_E0_NS1_11comp_targetILNS1_3genE0ELNS1_11target_archE4294967295ELNS1_3gpuE0ELNS1_3repE0EEENS1_60segmented_radix_sort_warp_sort_medium_config_static_selectorELNS0_4arch9wavefront6targetE1EEEvSK_.numbered_sgpr, 0
	.set _ZN7rocprim17ROCPRIM_400000_NS6detail17trampoline_kernelINS0_14default_configENS1_36segmented_radix_sort_config_selectorIflEEZNS1_25segmented_radix_sort_implIS3_Lb0EPKfPfPKlPlN2at6native12_GLOBAL__N_18offset_tEEE10hipError_tPvRmT1_PNSt15iterator_traitsISK_E10value_typeET2_T3_PNSL_ISQ_E10value_typeET4_jRbjT5_SW_jjP12ihipStream_tbEUlT_E0_NS1_11comp_targetILNS1_3genE0ELNS1_11target_archE4294967295ELNS1_3gpuE0ELNS1_3repE0EEENS1_60segmented_radix_sort_warp_sort_medium_config_static_selectorELNS0_4arch9wavefront6targetE1EEEvSK_.num_named_barrier, 0
	.set _ZN7rocprim17ROCPRIM_400000_NS6detail17trampoline_kernelINS0_14default_configENS1_36segmented_radix_sort_config_selectorIflEEZNS1_25segmented_radix_sort_implIS3_Lb0EPKfPfPKlPlN2at6native12_GLOBAL__N_18offset_tEEE10hipError_tPvRmT1_PNSt15iterator_traitsISK_E10value_typeET2_T3_PNSL_ISQ_E10value_typeET4_jRbjT5_SW_jjP12ihipStream_tbEUlT_E0_NS1_11comp_targetILNS1_3genE0ELNS1_11target_archE4294967295ELNS1_3gpuE0ELNS1_3repE0EEENS1_60segmented_radix_sort_warp_sort_medium_config_static_selectorELNS0_4arch9wavefront6targetE1EEEvSK_.private_seg_size, 0
	.set _ZN7rocprim17ROCPRIM_400000_NS6detail17trampoline_kernelINS0_14default_configENS1_36segmented_radix_sort_config_selectorIflEEZNS1_25segmented_radix_sort_implIS3_Lb0EPKfPfPKlPlN2at6native12_GLOBAL__N_18offset_tEEE10hipError_tPvRmT1_PNSt15iterator_traitsISK_E10value_typeET2_T3_PNSL_ISQ_E10value_typeET4_jRbjT5_SW_jjP12ihipStream_tbEUlT_E0_NS1_11comp_targetILNS1_3genE0ELNS1_11target_archE4294967295ELNS1_3gpuE0ELNS1_3repE0EEENS1_60segmented_radix_sort_warp_sort_medium_config_static_selectorELNS0_4arch9wavefront6targetE1EEEvSK_.uses_vcc, 0
	.set _ZN7rocprim17ROCPRIM_400000_NS6detail17trampoline_kernelINS0_14default_configENS1_36segmented_radix_sort_config_selectorIflEEZNS1_25segmented_radix_sort_implIS3_Lb0EPKfPfPKlPlN2at6native12_GLOBAL__N_18offset_tEEE10hipError_tPvRmT1_PNSt15iterator_traitsISK_E10value_typeET2_T3_PNSL_ISQ_E10value_typeET4_jRbjT5_SW_jjP12ihipStream_tbEUlT_E0_NS1_11comp_targetILNS1_3genE0ELNS1_11target_archE4294967295ELNS1_3gpuE0ELNS1_3repE0EEENS1_60segmented_radix_sort_warp_sort_medium_config_static_selectorELNS0_4arch9wavefront6targetE1EEEvSK_.uses_flat_scratch, 0
	.set _ZN7rocprim17ROCPRIM_400000_NS6detail17trampoline_kernelINS0_14default_configENS1_36segmented_radix_sort_config_selectorIflEEZNS1_25segmented_radix_sort_implIS3_Lb0EPKfPfPKlPlN2at6native12_GLOBAL__N_18offset_tEEE10hipError_tPvRmT1_PNSt15iterator_traitsISK_E10value_typeET2_T3_PNSL_ISQ_E10value_typeET4_jRbjT5_SW_jjP12ihipStream_tbEUlT_E0_NS1_11comp_targetILNS1_3genE0ELNS1_11target_archE4294967295ELNS1_3gpuE0ELNS1_3repE0EEENS1_60segmented_radix_sort_warp_sort_medium_config_static_selectorELNS0_4arch9wavefront6targetE1EEEvSK_.has_dyn_sized_stack, 0
	.set _ZN7rocprim17ROCPRIM_400000_NS6detail17trampoline_kernelINS0_14default_configENS1_36segmented_radix_sort_config_selectorIflEEZNS1_25segmented_radix_sort_implIS3_Lb0EPKfPfPKlPlN2at6native12_GLOBAL__N_18offset_tEEE10hipError_tPvRmT1_PNSt15iterator_traitsISK_E10value_typeET2_T3_PNSL_ISQ_E10value_typeET4_jRbjT5_SW_jjP12ihipStream_tbEUlT_E0_NS1_11comp_targetILNS1_3genE0ELNS1_11target_archE4294967295ELNS1_3gpuE0ELNS1_3repE0EEENS1_60segmented_radix_sort_warp_sort_medium_config_static_selectorELNS0_4arch9wavefront6targetE1EEEvSK_.has_recursion, 0
	.set _ZN7rocprim17ROCPRIM_400000_NS6detail17trampoline_kernelINS0_14default_configENS1_36segmented_radix_sort_config_selectorIflEEZNS1_25segmented_radix_sort_implIS3_Lb0EPKfPfPKlPlN2at6native12_GLOBAL__N_18offset_tEEE10hipError_tPvRmT1_PNSt15iterator_traitsISK_E10value_typeET2_T3_PNSL_ISQ_E10value_typeET4_jRbjT5_SW_jjP12ihipStream_tbEUlT_E0_NS1_11comp_targetILNS1_3genE0ELNS1_11target_archE4294967295ELNS1_3gpuE0ELNS1_3repE0EEENS1_60segmented_radix_sort_warp_sort_medium_config_static_selectorELNS0_4arch9wavefront6targetE1EEEvSK_.has_indirect_call, 0
	.section	.AMDGPU.csdata,"",@progbits
; Kernel info:
; codeLenInByte = 0
; TotalNumSgprs: 4
; NumVgprs: 0
; ScratchSize: 0
; MemoryBound: 0
; FloatMode: 240
; IeeeMode: 1
; LDSByteSize: 0 bytes/workgroup (compile time only)
; SGPRBlocks: 0
; VGPRBlocks: 0
; NumSGPRsForWavesPerEU: 4
; NumVGPRsForWavesPerEU: 1
; Occupancy: 10
; WaveLimiterHint : 0
; COMPUTE_PGM_RSRC2:SCRATCH_EN: 0
; COMPUTE_PGM_RSRC2:USER_SGPR: 6
; COMPUTE_PGM_RSRC2:TRAP_HANDLER: 0
; COMPUTE_PGM_RSRC2:TGID_X_EN: 1
; COMPUTE_PGM_RSRC2:TGID_Y_EN: 0
; COMPUTE_PGM_RSRC2:TGID_Z_EN: 0
; COMPUTE_PGM_RSRC2:TIDIG_COMP_CNT: 0
	.section	.text._ZN7rocprim17ROCPRIM_400000_NS6detail17trampoline_kernelINS0_14default_configENS1_36segmented_radix_sort_config_selectorIflEEZNS1_25segmented_radix_sort_implIS3_Lb0EPKfPfPKlPlN2at6native12_GLOBAL__N_18offset_tEEE10hipError_tPvRmT1_PNSt15iterator_traitsISK_E10value_typeET2_T3_PNSL_ISQ_E10value_typeET4_jRbjT5_SW_jjP12ihipStream_tbEUlT_E0_NS1_11comp_targetILNS1_3genE5ELNS1_11target_archE942ELNS1_3gpuE9ELNS1_3repE0EEENS1_60segmented_radix_sort_warp_sort_medium_config_static_selectorELNS0_4arch9wavefront6targetE1EEEvSK_,"axG",@progbits,_ZN7rocprim17ROCPRIM_400000_NS6detail17trampoline_kernelINS0_14default_configENS1_36segmented_radix_sort_config_selectorIflEEZNS1_25segmented_radix_sort_implIS3_Lb0EPKfPfPKlPlN2at6native12_GLOBAL__N_18offset_tEEE10hipError_tPvRmT1_PNSt15iterator_traitsISK_E10value_typeET2_T3_PNSL_ISQ_E10value_typeET4_jRbjT5_SW_jjP12ihipStream_tbEUlT_E0_NS1_11comp_targetILNS1_3genE5ELNS1_11target_archE942ELNS1_3gpuE9ELNS1_3repE0EEENS1_60segmented_radix_sort_warp_sort_medium_config_static_selectorELNS0_4arch9wavefront6targetE1EEEvSK_,comdat
	.globl	_ZN7rocprim17ROCPRIM_400000_NS6detail17trampoline_kernelINS0_14default_configENS1_36segmented_radix_sort_config_selectorIflEEZNS1_25segmented_radix_sort_implIS3_Lb0EPKfPfPKlPlN2at6native12_GLOBAL__N_18offset_tEEE10hipError_tPvRmT1_PNSt15iterator_traitsISK_E10value_typeET2_T3_PNSL_ISQ_E10value_typeET4_jRbjT5_SW_jjP12ihipStream_tbEUlT_E0_NS1_11comp_targetILNS1_3genE5ELNS1_11target_archE942ELNS1_3gpuE9ELNS1_3repE0EEENS1_60segmented_radix_sort_warp_sort_medium_config_static_selectorELNS0_4arch9wavefront6targetE1EEEvSK_ ; -- Begin function _ZN7rocprim17ROCPRIM_400000_NS6detail17trampoline_kernelINS0_14default_configENS1_36segmented_radix_sort_config_selectorIflEEZNS1_25segmented_radix_sort_implIS3_Lb0EPKfPfPKlPlN2at6native12_GLOBAL__N_18offset_tEEE10hipError_tPvRmT1_PNSt15iterator_traitsISK_E10value_typeET2_T3_PNSL_ISQ_E10value_typeET4_jRbjT5_SW_jjP12ihipStream_tbEUlT_E0_NS1_11comp_targetILNS1_3genE5ELNS1_11target_archE942ELNS1_3gpuE9ELNS1_3repE0EEENS1_60segmented_radix_sort_warp_sort_medium_config_static_selectorELNS0_4arch9wavefront6targetE1EEEvSK_
	.p2align	8
	.type	_ZN7rocprim17ROCPRIM_400000_NS6detail17trampoline_kernelINS0_14default_configENS1_36segmented_radix_sort_config_selectorIflEEZNS1_25segmented_radix_sort_implIS3_Lb0EPKfPfPKlPlN2at6native12_GLOBAL__N_18offset_tEEE10hipError_tPvRmT1_PNSt15iterator_traitsISK_E10value_typeET2_T3_PNSL_ISQ_E10value_typeET4_jRbjT5_SW_jjP12ihipStream_tbEUlT_E0_NS1_11comp_targetILNS1_3genE5ELNS1_11target_archE942ELNS1_3gpuE9ELNS1_3repE0EEENS1_60segmented_radix_sort_warp_sort_medium_config_static_selectorELNS0_4arch9wavefront6targetE1EEEvSK_,@function
_ZN7rocprim17ROCPRIM_400000_NS6detail17trampoline_kernelINS0_14default_configENS1_36segmented_radix_sort_config_selectorIflEEZNS1_25segmented_radix_sort_implIS3_Lb0EPKfPfPKlPlN2at6native12_GLOBAL__N_18offset_tEEE10hipError_tPvRmT1_PNSt15iterator_traitsISK_E10value_typeET2_T3_PNSL_ISQ_E10value_typeET4_jRbjT5_SW_jjP12ihipStream_tbEUlT_E0_NS1_11comp_targetILNS1_3genE5ELNS1_11target_archE942ELNS1_3gpuE9ELNS1_3repE0EEENS1_60segmented_radix_sort_warp_sort_medium_config_static_selectorELNS0_4arch9wavefront6targetE1EEEvSK_: ; @_ZN7rocprim17ROCPRIM_400000_NS6detail17trampoline_kernelINS0_14default_configENS1_36segmented_radix_sort_config_selectorIflEEZNS1_25segmented_radix_sort_implIS3_Lb0EPKfPfPKlPlN2at6native12_GLOBAL__N_18offset_tEEE10hipError_tPvRmT1_PNSt15iterator_traitsISK_E10value_typeET2_T3_PNSL_ISQ_E10value_typeET4_jRbjT5_SW_jjP12ihipStream_tbEUlT_E0_NS1_11comp_targetILNS1_3genE5ELNS1_11target_archE942ELNS1_3gpuE9ELNS1_3repE0EEENS1_60segmented_radix_sort_warp_sort_medium_config_static_selectorELNS0_4arch9wavefront6targetE1EEEvSK_
; %bb.0:
	.section	.rodata,"a",@progbits
	.p2align	6, 0x0
	.amdhsa_kernel _ZN7rocprim17ROCPRIM_400000_NS6detail17trampoline_kernelINS0_14default_configENS1_36segmented_radix_sort_config_selectorIflEEZNS1_25segmented_radix_sort_implIS3_Lb0EPKfPfPKlPlN2at6native12_GLOBAL__N_18offset_tEEE10hipError_tPvRmT1_PNSt15iterator_traitsISK_E10value_typeET2_T3_PNSL_ISQ_E10value_typeET4_jRbjT5_SW_jjP12ihipStream_tbEUlT_E0_NS1_11comp_targetILNS1_3genE5ELNS1_11target_archE942ELNS1_3gpuE9ELNS1_3repE0EEENS1_60segmented_radix_sort_warp_sort_medium_config_static_selectorELNS0_4arch9wavefront6targetE1EEEvSK_
		.amdhsa_group_segment_fixed_size 0
		.amdhsa_private_segment_fixed_size 0
		.amdhsa_kernarg_size 88
		.amdhsa_user_sgpr_count 6
		.amdhsa_user_sgpr_private_segment_buffer 1
		.amdhsa_user_sgpr_dispatch_ptr 0
		.amdhsa_user_sgpr_queue_ptr 0
		.amdhsa_user_sgpr_kernarg_segment_ptr 1
		.amdhsa_user_sgpr_dispatch_id 0
		.amdhsa_user_sgpr_flat_scratch_init 0
		.amdhsa_user_sgpr_private_segment_size 0
		.amdhsa_uses_dynamic_stack 0
		.amdhsa_system_sgpr_private_segment_wavefront_offset 0
		.amdhsa_system_sgpr_workgroup_id_x 1
		.amdhsa_system_sgpr_workgroup_id_y 0
		.amdhsa_system_sgpr_workgroup_id_z 0
		.amdhsa_system_sgpr_workgroup_info 0
		.amdhsa_system_vgpr_workitem_id 0
		.amdhsa_next_free_vgpr 1
		.amdhsa_next_free_sgpr 0
		.amdhsa_reserve_vcc 0
		.amdhsa_reserve_flat_scratch 0
		.amdhsa_float_round_mode_32 0
		.amdhsa_float_round_mode_16_64 0
		.amdhsa_float_denorm_mode_32 3
		.amdhsa_float_denorm_mode_16_64 3
		.amdhsa_dx10_clamp 1
		.amdhsa_ieee_mode 1
		.amdhsa_fp16_overflow 0
		.amdhsa_exception_fp_ieee_invalid_op 0
		.amdhsa_exception_fp_denorm_src 0
		.amdhsa_exception_fp_ieee_div_zero 0
		.amdhsa_exception_fp_ieee_overflow 0
		.amdhsa_exception_fp_ieee_underflow 0
		.amdhsa_exception_fp_ieee_inexact 0
		.amdhsa_exception_int_div_zero 0
	.end_amdhsa_kernel
	.section	.text._ZN7rocprim17ROCPRIM_400000_NS6detail17trampoline_kernelINS0_14default_configENS1_36segmented_radix_sort_config_selectorIflEEZNS1_25segmented_radix_sort_implIS3_Lb0EPKfPfPKlPlN2at6native12_GLOBAL__N_18offset_tEEE10hipError_tPvRmT1_PNSt15iterator_traitsISK_E10value_typeET2_T3_PNSL_ISQ_E10value_typeET4_jRbjT5_SW_jjP12ihipStream_tbEUlT_E0_NS1_11comp_targetILNS1_3genE5ELNS1_11target_archE942ELNS1_3gpuE9ELNS1_3repE0EEENS1_60segmented_radix_sort_warp_sort_medium_config_static_selectorELNS0_4arch9wavefront6targetE1EEEvSK_,"axG",@progbits,_ZN7rocprim17ROCPRIM_400000_NS6detail17trampoline_kernelINS0_14default_configENS1_36segmented_radix_sort_config_selectorIflEEZNS1_25segmented_radix_sort_implIS3_Lb0EPKfPfPKlPlN2at6native12_GLOBAL__N_18offset_tEEE10hipError_tPvRmT1_PNSt15iterator_traitsISK_E10value_typeET2_T3_PNSL_ISQ_E10value_typeET4_jRbjT5_SW_jjP12ihipStream_tbEUlT_E0_NS1_11comp_targetILNS1_3genE5ELNS1_11target_archE942ELNS1_3gpuE9ELNS1_3repE0EEENS1_60segmented_radix_sort_warp_sort_medium_config_static_selectorELNS0_4arch9wavefront6targetE1EEEvSK_,comdat
.Lfunc_end1439:
	.size	_ZN7rocprim17ROCPRIM_400000_NS6detail17trampoline_kernelINS0_14default_configENS1_36segmented_radix_sort_config_selectorIflEEZNS1_25segmented_radix_sort_implIS3_Lb0EPKfPfPKlPlN2at6native12_GLOBAL__N_18offset_tEEE10hipError_tPvRmT1_PNSt15iterator_traitsISK_E10value_typeET2_T3_PNSL_ISQ_E10value_typeET4_jRbjT5_SW_jjP12ihipStream_tbEUlT_E0_NS1_11comp_targetILNS1_3genE5ELNS1_11target_archE942ELNS1_3gpuE9ELNS1_3repE0EEENS1_60segmented_radix_sort_warp_sort_medium_config_static_selectorELNS0_4arch9wavefront6targetE1EEEvSK_, .Lfunc_end1439-_ZN7rocprim17ROCPRIM_400000_NS6detail17trampoline_kernelINS0_14default_configENS1_36segmented_radix_sort_config_selectorIflEEZNS1_25segmented_radix_sort_implIS3_Lb0EPKfPfPKlPlN2at6native12_GLOBAL__N_18offset_tEEE10hipError_tPvRmT1_PNSt15iterator_traitsISK_E10value_typeET2_T3_PNSL_ISQ_E10value_typeET4_jRbjT5_SW_jjP12ihipStream_tbEUlT_E0_NS1_11comp_targetILNS1_3genE5ELNS1_11target_archE942ELNS1_3gpuE9ELNS1_3repE0EEENS1_60segmented_radix_sort_warp_sort_medium_config_static_selectorELNS0_4arch9wavefront6targetE1EEEvSK_
                                        ; -- End function
	.set _ZN7rocprim17ROCPRIM_400000_NS6detail17trampoline_kernelINS0_14default_configENS1_36segmented_radix_sort_config_selectorIflEEZNS1_25segmented_radix_sort_implIS3_Lb0EPKfPfPKlPlN2at6native12_GLOBAL__N_18offset_tEEE10hipError_tPvRmT1_PNSt15iterator_traitsISK_E10value_typeET2_T3_PNSL_ISQ_E10value_typeET4_jRbjT5_SW_jjP12ihipStream_tbEUlT_E0_NS1_11comp_targetILNS1_3genE5ELNS1_11target_archE942ELNS1_3gpuE9ELNS1_3repE0EEENS1_60segmented_radix_sort_warp_sort_medium_config_static_selectorELNS0_4arch9wavefront6targetE1EEEvSK_.num_vgpr, 0
	.set _ZN7rocprim17ROCPRIM_400000_NS6detail17trampoline_kernelINS0_14default_configENS1_36segmented_radix_sort_config_selectorIflEEZNS1_25segmented_radix_sort_implIS3_Lb0EPKfPfPKlPlN2at6native12_GLOBAL__N_18offset_tEEE10hipError_tPvRmT1_PNSt15iterator_traitsISK_E10value_typeET2_T3_PNSL_ISQ_E10value_typeET4_jRbjT5_SW_jjP12ihipStream_tbEUlT_E0_NS1_11comp_targetILNS1_3genE5ELNS1_11target_archE942ELNS1_3gpuE9ELNS1_3repE0EEENS1_60segmented_radix_sort_warp_sort_medium_config_static_selectorELNS0_4arch9wavefront6targetE1EEEvSK_.num_agpr, 0
	.set _ZN7rocprim17ROCPRIM_400000_NS6detail17trampoline_kernelINS0_14default_configENS1_36segmented_radix_sort_config_selectorIflEEZNS1_25segmented_radix_sort_implIS3_Lb0EPKfPfPKlPlN2at6native12_GLOBAL__N_18offset_tEEE10hipError_tPvRmT1_PNSt15iterator_traitsISK_E10value_typeET2_T3_PNSL_ISQ_E10value_typeET4_jRbjT5_SW_jjP12ihipStream_tbEUlT_E0_NS1_11comp_targetILNS1_3genE5ELNS1_11target_archE942ELNS1_3gpuE9ELNS1_3repE0EEENS1_60segmented_radix_sort_warp_sort_medium_config_static_selectorELNS0_4arch9wavefront6targetE1EEEvSK_.numbered_sgpr, 0
	.set _ZN7rocprim17ROCPRIM_400000_NS6detail17trampoline_kernelINS0_14default_configENS1_36segmented_radix_sort_config_selectorIflEEZNS1_25segmented_radix_sort_implIS3_Lb0EPKfPfPKlPlN2at6native12_GLOBAL__N_18offset_tEEE10hipError_tPvRmT1_PNSt15iterator_traitsISK_E10value_typeET2_T3_PNSL_ISQ_E10value_typeET4_jRbjT5_SW_jjP12ihipStream_tbEUlT_E0_NS1_11comp_targetILNS1_3genE5ELNS1_11target_archE942ELNS1_3gpuE9ELNS1_3repE0EEENS1_60segmented_radix_sort_warp_sort_medium_config_static_selectorELNS0_4arch9wavefront6targetE1EEEvSK_.num_named_barrier, 0
	.set _ZN7rocprim17ROCPRIM_400000_NS6detail17trampoline_kernelINS0_14default_configENS1_36segmented_radix_sort_config_selectorIflEEZNS1_25segmented_radix_sort_implIS3_Lb0EPKfPfPKlPlN2at6native12_GLOBAL__N_18offset_tEEE10hipError_tPvRmT1_PNSt15iterator_traitsISK_E10value_typeET2_T3_PNSL_ISQ_E10value_typeET4_jRbjT5_SW_jjP12ihipStream_tbEUlT_E0_NS1_11comp_targetILNS1_3genE5ELNS1_11target_archE942ELNS1_3gpuE9ELNS1_3repE0EEENS1_60segmented_radix_sort_warp_sort_medium_config_static_selectorELNS0_4arch9wavefront6targetE1EEEvSK_.private_seg_size, 0
	.set _ZN7rocprim17ROCPRIM_400000_NS6detail17trampoline_kernelINS0_14default_configENS1_36segmented_radix_sort_config_selectorIflEEZNS1_25segmented_radix_sort_implIS3_Lb0EPKfPfPKlPlN2at6native12_GLOBAL__N_18offset_tEEE10hipError_tPvRmT1_PNSt15iterator_traitsISK_E10value_typeET2_T3_PNSL_ISQ_E10value_typeET4_jRbjT5_SW_jjP12ihipStream_tbEUlT_E0_NS1_11comp_targetILNS1_3genE5ELNS1_11target_archE942ELNS1_3gpuE9ELNS1_3repE0EEENS1_60segmented_radix_sort_warp_sort_medium_config_static_selectorELNS0_4arch9wavefront6targetE1EEEvSK_.uses_vcc, 0
	.set _ZN7rocprim17ROCPRIM_400000_NS6detail17trampoline_kernelINS0_14default_configENS1_36segmented_radix_sort_config_selectorIflEEZNS1_25segmented_radix_sort_implIS3_Lb0EPKfPfPKlPlN2at6native12_GLOBAL__N_18offset_tEEE10hipError_tPvRmT1_PNSt15iterator_traitsISK_E10value_typeET2_T3_PNSL_ISQ_E10value_typeET4_jRbjT5_SW_jjP12ihipStream_tbEUlT_E0_NS1_11comp_targetILNS1_3genE5ELNS1_11target_archE942ELNS1_3gpuE9ELNS1_3repE0EEENS1_60segmented_radix_sort_warp_sort_medium_config_static_selectorELNS0_4arch9wavefront6targetE1EEEvSK_.uses_flat_scratch, 0
	.set _ZN7rocprim17ROCPRIM_400000_NS6detail17trampoline_kernelINS0_14default_configENS1_36segmented_radix_sort_config_selectorIflEEZNS1_25segmented_radix_sort_implIS3_Lb0EPKfPfPKlPlN2at6native12_GLOBAL__N_18offset_tEEE10hipError_tPvRmT1_PNSt15iterator_traitsISK_E10value_typeET2_T3_PNSL_ISQ_E10value_typeET4_jRbjT5_SW_jjP12ihipStream_tbEUlT_E0_NS1_11comp_targetILNS1_3genE5ELNS1_11target_archE942ELNS1_3gpuE9ELNS1_3repE0EEENS1_60segmented_radix_sort_warp_sort_medium_config_static_selectorELNS0_4arch9wavefront6targetE1EEEvSK_.has_dyn_sized_stack, 0
	.set _ZN7rocprim17ROCPRIM_400000_NS6detail17trampoline_kernelINS0_14default_configENS1_36segmented_radix_sort_config_selectorIflEEZNS1_25segmented_radix_sort_implIS3_Lb0EPKfPfPKlPlN2at6native12_GLOBAL__N_18offset_tEEE10hipError_tPvRmT1_PNSt15iterator_traitsISK_E10value_typeET2_T3_PNSL_ISQ_E10value_typeET4_jRbjT5_SW_jjP12ihipStream_tbEUlT_E0_NS1_11comp_targetILNS1_3genE5ELNS1_11target_archE942ELNS1_3gpuE9ELNS1_3repE0EEENS1_60segmented_radix_sort_warp_sort_medium_config_static_selectorELNS0_4arch9wavefront6targetE1EEEvSK_.has_recursion, 0
	.set _ZN7rocprim17ROCPRIM_400000_NS6detail17trampoline_kernelINS0_14default_configENS1_36segmented_radix_sort_config_selectorIflEEZNS1_25segmented_radix_sort_implIS3_Lb0EPKfPfPKlPlN2at6native12_GLOBAL__N_18offset_tEEE10hipError_tPvRmT1_PNSt15iterator_traitsISK_E10value_typeET2_T3_PNSL_ISQ_E10value_typeET4_jRbjT5_SW_jjP12ihipStream_tbEUlT_E0_NS1_11comp_targetILNS1_3genE5ELNS1_11target_archE942ELNS1_3gpuE9ELNS1_3repE0EEENS1_60segmented_radix_sort_warp_sort_medium_config_static_selectorELNS0_4arch9wavefront6targetE1EEEvSK_.has_indirect_call, 0
	.section	.AMDGPU.csdata,"",@progbits
; Kernel info:
; codeLenInByte = 0
; TotalNumSgprs: 4
; NumVgprs: 0
; ScratchSize: 0
; MemoryBound: 0
; FloatMode: 240
; IeeeMode: 1
; LDSByteSize: 0 bytes/workgroup (compile time only)
; SGPRBlocks: 0
; VGPRBlocks: 0
; NumSGPRsForWavesPerEU: 4
; NumVGPRsForWavesPerEU: 1
; Occupancy: 10
; WaveLimiterHint : 0
; COMPUTE_PGM_RSRC2:SCRATCH_EN: 0
; COMPUTE_PGM_RSRC2:USER_SGPR: 6
; COMPUTE_PGM_RSRC2:TRAP_HANDLER: 0
; COMPUTE_PGM_RSRC2:TGID_X_EN: 1
; COMPUTE_PGM_RSRC2:TGID_Y_EN: 0
; COMPUTE_PGM_RSRC2:TGID_Z_EN: 0
; COMPUTE_PGM_RSRC2:TIDIG_COMP_CNT: 0
	.section	.text._ZN7rocprim17ROCPRIM_400000_NS6detail17trampoline_kernelINS0_14default_configENS1_36segmented_radix_sort_config_selectorIflEEZNS1_25segmented_radix_sort_implIS3_Lb0EPKfPfPKlPlN2at6native12_GLOBAL__N_18offset_tEEE10hipError_tPvRmT1_PNSt15iterator_traitsISK_E10value_typeET2_T3_PNSL_ISQ_E10value_typeET4_jRbjT5_SW_jjP12ihipStream_tbEUlT_E0_NS1_11comp_targetILNS1_3genE4ELNS1_11target_archE910ELNS1_3gpuE8ELNS1_3repE0EEENS1_60segmented_radix_sort_warp_sort_medium_config_static_selectorELNS0_4arch9wavefront6targetE1EEEvSK_,"axG",@progbits,_ZN7rocprim17ROCPRIM_400000_NS6detail17trampoline_kernelINS0_14default_configENS1_36segmented_radix_sort_config_selectorIflEEZNS1_25segmented_radix_sort_implIS3_Lb0EPKfPfPKlPlN2at6native12_GLOBAL__N_18offset_tEEE10hipError_tPvRmT1_PNSt15iterator_traitsISK_E10value_typeET2_T3_PNSL_ISQ_E10value_typeET4_jRbjT5_SW_jjP12ihipStream_tbEUlT_E0_NS1_11comp_targetILNS1_3genE4ELNS1_11target_archE910ELNS1_3gpuE8ELNS1_3repE0EEENS1_60segmented_radix_sort_warp_sort_medium_config_static_selectorELNS0_4arch9wavefront6targetE1EEEvSK_,comdat
	.globl	_ZN7rocprim17ROCPRIM_400000_NS6detail17trampoline_kernelINS0_14default_configENS1_36segmented_radix_sort_config_selectorIflEEZNS1_25segmented_radix_sort_implIS3_Lb0EPKfPfPKlPlN2at6native12_GLOBAL__N_18offset_tEEE10hipError_tPvRmT1_PNSt15iterator_traitsISK_E10value_typeET2_T3_PNSL_ISQ_E10value_typeET4_jRbjT5_SW_jjP12ihipStream_tbEUlT_E0_NS1_11comp_targetILNS1_3genE4ELNS1_11target_archE910ELNS1_3gpuE8ELNS1_3repE0EEENS1_60segmented_radix_sort_warp_sort_medium_config_static_selectorELNS0_4arch9wavefront6targetE1EEEvSK_ ; -- Begin function _ZN7rocprim17ROCPRIM_400000_NS6detail17trampoline_kernelINS0_14default_configENS1_36segmented_radix_sort_config_selectorIflEEZNS1_25segmented_radix_sort_implIS3_Lb0EPKfPfPKlPlN2at6native12_GLOBAL__N_18offset_tEEE10hipError_tPvRmT1_PNSt15iterator_traitsISK_E10value_typeET2_T3_PNSL_ISQ_E10value_typeET4_jRbjT5_SW_jjP12ihipStream_tbEUlT_E0_NS1_11comp_targetILNS1_3genE4ELNS1_11target_archE910ELNS1_3gpuE8ELNS1_3repE0EEENS1_60segmented_radix_sort_warp_sort_medium_config_static_selectorELNS0_4arch9wavefront6targetE1EEEvSK_
	.p2align	8
	.type	_ZN7rocprim17ROCPRIM_400000_NS6detail17trampoline_kernelINS0_14default_configENS1_36segmented_radix_sort_config_selectorIflEEZNS1_25segmented_radix_sort_implIS3_Lb0EPKfPfPKlPlN2at6native12_GLOBAL__N_18offset_tEEE10hipError_tPvRmT1_PNSt15iterator_traitsISK_E10value_typeET2_T3_PNSL_ISQ_E10value_typeET4_jRbjT5_SW_jjP12ihipStream_tbEUlT_E0_NS1_11comp_targetILNS1_3genE4ELNS1_11target_archE910ELNS1_3gpuE8ELNS1_3repE0EEENS1_60segmented_radix_sort_warp_sort_medium_config_static_selectorELNS0_4arch9wavefront6targetE1EEEvSK_,@function
_ZN7rocprim17ROCPRIM_400000_NS6detail17trampoline_kernelINS0_14default_configENS1_36segmented_radix_sort_config_selectorIflEEZNS1_25segmented_radix_sort_implIS3_Lb0EPKfPfPKlPlN2at6native12_GLOBAL__N_18offset_tEEE10hipError_tPvRmT1_PNSt15iterator_traitsISK_E10value_typeET2_T3_PNSL_ISQ_E10value_typeET4_jRbjT5_SW_jjP12ihipStream_tbEUlT_E0_NS1_11comp_targetILNS1_3genE4ELNS1_11target_archE910ELNS1_3gpuE8ELNS1_3repE0EEENS1_60segmented_radix_sort_warp_sort_medium_config_static_selectorELNS0_4arch9wavefront6targetE1EEEvSK_: ; @_ZN7rocprim17ROCPRIM_400000_NS6detail17trampoline_kernelINS0_14default_configENS1_36segmented_radix_sort_config_selectorIflEEZNS1_25segmented_radix_sort_implIS3_Lb0EPKfPfPKlPlN2at6native12_GLOBAL__N_18offset_tEEE10hipError_tPvRmT1_PNSt15iterator_traitsISK_E10value_typeET2_T3_PNSL_ISQ_E10value_typeET4_jRbjT5_SW_jjP12ihipStream_tbEUlT_E0_NS1_11comp_targetILNS1_3genE4ELNS1_11target_archE910ELNS1_3gpuE8ELNS1_3repE0EEENS1_60segmented_radix_sort_warp_sort_medium_config_static_selectorELNS0_4arch9wavefront6targetE1EEEvSK_
; %bb.0:
	.section	.rodata,"a",@progbits
	.p2align	6, 0x0
	.amdhsa_kernel _ZN7rocprim17ROCPRIM_400000_NS6detail17trampoline_kernelINS0_14default_configENS1_36segmented_radix_sort_config_selectorIflEEZNS1_25segmented_radix_sort_implIS3_Lb0EPKfPfPKlPlN2at6native12_GLOBAL__N_18offset_tEEE10hipError_tPvRmT1_PNSt15iterator_traitsISK_E10value_typeET2_T3_PNSL_ISQ_E10value_typeET4_jRbjT5_SW_jjP12ihipStream_tbEUlT_E0_NS1_11comp_targetILNS1_3genE4ELNS1_11target_archE910ELNS1_3gpuE8ELNS1_3repE0EEENS1_60segmented_radix_sort_warp_sort_medium_config_static_selectorELNS0_4arch9wavefront6targetE1EEEvSK_
		.amdhsa_group_segment_fixed_size 0
		.amdhsa_private_segment_fixed_size 0
		.amdhsa_kernarg_size 88
		.amdhsa_user_sgpr_count 6
		.amdhsa_user_sgpr_private_segment_buffer 1
		.amdhsa_user_sgpr_dispatch_ptr 0
		.amdhsa_user_sgpr_queue_ptr 0
		.amdhsa_user_sgpr_kernarg_segment_ptr 1
		.amdhsa_user_sgpr_dispatch_id 0
		.amdhsa_user_sgpr_flat_scratch_init 0
		.amdhsa_user_sgpr_private_segment_size 0
		.amdhsa_uses_dynamic_stack 0
		.amdhsa_system_sgpr_private_segment_wavefront_offset 0
		.amdhsa_system_sgpr_workgroup_id_x 1
		.amdhsa_system_sgpr_workgroup_id_y 0
		.amdhsa_system_sgpr_workgroup_id_z 0
		.amdhsa_system_sgpr_workgroup_info 0
		.amdhsa_system_vgpr_workitem_id 0
		.amdhsa_next_free_vgpr 1
		.amdhsa_next_free_sgpr 0
		.amdhsa_reserve_vcc 0
		.amdhsa_reserve_flat_scratch 0
		.amdhsa_float_round_mode_32 0
		.amdhsa_float_round_mode_16_64 0
		.amdhsa_float_denorm_mode_32 3
		.amdhsa_float_denorm_mode_16_64 3
		.amdhsa_dx10_clamp 1
		.amdhsa_ieee_mode 1
		.amdhsa_fp16_overflow 0
		.amdhsa_exception_fp_ieee_invalid_op 0
		.amdhsa_exception_fp_denorm_src 0
		.amdhsa_exception_fp_ieee_div_zero 0
		.amdhsa_exception_fp_ieee_overflow 0
		.amdhsa_exception_fp_ieee_underflow 0
		.amdhsa_exception_fp_ieee_inexact 0
		.amdhsa_exception_int_div_zero 0
	.end_amdhsa_kernel
	.section	.text._ZN7rocprim17ROCPRIM_400000_NS6detail17trampoline_kernelINS0_14default_configENS1_36segmented_radix_sort_config_selectorIflEEZNS1_25segmented_radix_sort_implIS3_Lb0EPKfPfPKlPlN2at6native12_GLOBAL__N_18offset_tEEE10hipError_tPvRmT1_PNSt15iterator_traitsISK_E10value_typeET2_T3_PNSL_ISQ_E10value_typeET4_jRbjT5_SW_jjP12ihipStream_tbEUlT_E0_NS1_11comp_targetILNS1_3genE4ELNS1_11target_archE910ELNS1_3gpuE8ELNS1_3repE0EEENS1_60segmented_radix_sort_warp_sort_medium_config_static_selectorELNS0_4arch9wavefront6targetE1EEEvSK_,"axG",@progbits,_ZN7rocprim17ROCPRIM_400000_NS6detail17trampoline_kernelINS0_14default_configENS1_36segmented_radix_sort_config_selectorIflEEZNS1_25segmented_radix_sort_implIS3_Lb0EPKfPfPKlPlN2at6native12_GLOBAL__N_18offset_tEEE10hipError_tPvRmT1_PNSt15iterator_traitsISK_E10value_typeET2_T3_PNSL_ISQ_E10value_typeET4_jRbjT5_SW_jjP12ihipStream_tbEUlT_E0_NS1_11comp_targetILNS1_3genE4ELNS1_11target_archE910ELNS1_3gpuE8ELNS1_3repE0EEENS1_60segmented_radix_sort_warp_sort_medium_config_static_selectorELNS0_4arch9wavefront6targetE1EEEvSK_,comdat
.Lfunc_end1440:
	.size	_ZN7rocprim17ROCPRIM_400000_NS6detail17trampoline_kernelINS0_14default_configENS1_36segmented_radix_sort_config_selectorIflEEZNS1_25segmented_radix_sort_implIS3_Lb0EPKfPfPKlPlN2at6native12_GLOBAL__N_18offset_tEEE10hipError_tPvRmT1_PNSt15iterator_traitsISK_E10value_typeET2_T3_PNSL_ISQ_E10value_typeET4_jRbjT5_SW_jjP12ihipStream_tbEUlT_E0_NS1_11comp_targetILNS1_3genE4ELNS1_11target_archE910ELNS1_3gpuE8ELNS1_3repE0EEENS1_60segmented_radix_sort_warp_sort_medium_config_static_selectorELNS0_4arch9wavefront6targetE1EEEvSK_, .Lfunc_end1440-_ZN7rocprim17ROCPRIM_400000_NS6detail17trampoline_kernelINS0_14default_configENS1_36segmented_radix_sort_config_selectorIflEEZNS1_25segmented_radix_sort_implIS3_Lb0EPKfPfPKlPlN2at6native12_GLOBAL__N_18offset_tEEE10hipError_tPvRmT1_PNSt15iterator_traitsISK_E10value_typeET2_T3_PNSL_ISQ_E10value_typeET4_jRbjT5_SW_jjP12ihipStream_tbEUlT_E0_NS1_11comp_targetILNS1_3genE4ELNS1_11target_archE910ELNS1_3gpuE8ELNS1_3repE0EEENS1_60segmented_radix_sort_warp_sort_medium_config_static_selectorELNS0_4arch9wavefront6targetE1EEEvSK_
                                        ; -- End function
	.set _ZN7rocprim17ROCPRIM_400000_NS6detail17trampoline_kernelINS0_14default_configENS1_36segmented_radix_sort_config_selectorIflEEZNS1_25segmented_radix_sort_implIS3_Lb0EPKfPfPKlPlN2at6native12_GLOBAL__N_18offset_tEEE10hipError_tPvRmT1_PNSt15iterator_traitsISK_E10value_typeET2_T3_PNSL_ISQ_E10value_typeET4_jRbjT5_SW_jjP12ihipStream_tbEUlT_E0_NS1_11comp_targetILNS1_3genE4ELNS1_11target_archE910ELNS1_3gpuE8ELNS1_3repE0EEENS1_60segmented_radix_sort_warp_sort_medium_config_static_selectorELNS0_4arch9wavefront6targetE1EEEvSK_.num_vgpr, 0
	.set _ZN7rocprim17ROCPRIM_400000_NS6detail17trampoline_kernelINS0_14default_configENS1_36segmented_radix_sort_config_selectorIflEEZNS1_25segmented_radix_sort_implIS3_Lb0EPKfPfPKlPlN2at6native12_GLOBAL__N_18offset_tEEE10hipError_tPvRmT1_PNSt15iterator_traitsISK_E10value_typeET2_T3_PNSL_ISQ_E10value_typeET4_jRbjT5_SW_jjP12ihipStream_tbEUlT_E0_NS1_11comp_targetILNS1_3genE4ELNS1_11target_archE910ELNS1_3gpuE8ELNS1_3repE0EEENS1_60segmented_radix_sort_warp_sort_medium_config_static_selectorELNS0_4arch9wavefront6targetE1EEEvSK_.num_agpr, 0
	.set _ZN7rocprim17ROCPRIM_400000_NS6detail17trampoline_kernelINS0_14default_configENS1_36segmented_radix_sort_config_selectorIflEEZNS1_25segmented_radix_sort_implIS3_Lb0EPKfPfPKlPlN2at6native12_GLOBAL__N_18offset_tEEE10hipError_tPvRmT1_PNSt15iterator_traitsISK_E10value_typeET2_T3_PNSL_ISQ_E10value_typeET4_jRbjT5_SW_jjP12ihipStream_tbEUlT_E0_NS1_11comp_targetILNS1_3genE4ELNS1_11target_archE910ELNS1_3gpuE8ELNS1_3repE0EEENS1_60segmented_radix_sort_warp_sort_medium_config_static_selectorELNS0_4arch9wavefront6targetE1EEEvSK_.numbered_sgpr, 0
	.set _ZN7rocprim17ROCPRIM_400000_NS6detail17trampoline_kernelINS0_14default_configENS1_36segmented_radix_sort_config_selectorIflEEZNS1_25segmented_radix_sort_implIS3_Lb0EPKfPfPKlPlN2at6native12_GLOBAL__N_18offset_tEEE10hipError_tPvRmT1_PNSt15iterator_traitsISK_E10value_typeET2_T3_PNSL_ISQ_E10value_typeET4_jRbjT5_SW_jjP12ihipStream_tbEUlT_E0_NS1_11comp_targetILNS1_3genE4ELNS1_11target_archE910ELNS1_3gpuE8ELNS1_3repE0EEENS1_60segmented_radix_sort_warp_sort_medium_config_static_selectorELNS0_4arch9wavefront6targetE1EEEvSK_.num_named_barrier, 0
	.set _ZN7rocprim17ROCPRIM_400000_NS6detail17trampoline_kernelINS0_14default_configENS1_36segmented_radix_sort_config_selectorIflEEZNS1_25segmented_radix_sort_implIS3_Lb0EPKfPfPKlPlN2at6native12_GLOBAL__N_18offset_tEEE10hipError_tPvRmT1_PNSt15iterator_traitsISK_E10value_typeET2_T3_PNSL_ISQ_E10value_typeET4_jRbjT5_SW_jjP12ihipStream_tbEUlT_E0_NS1_11comp_targetILNS1_3genE4ELNS1_11target_archE910ELNS1_3gpuE8ELNS1_3repE0EEENS1_60segmented_radix_sort_warp_sort_medium_config_static_selectorELNS0_4arch9wavefront6targetE1EEEvSK_.private_seg_size, 0
	.set _ZN7rocprim17ROCPRIM_400000_NS6detail17trampoline_kernelINS0_14default_configENS1_36segmented_radix_sort_config_selectorIflEEZNS1_25segmented_radix_sort_implIS3_Lb0EPKfPfPKlPlN2at6native12_GLOBAL__N_18offset_tEEE10hipError_tPvRmT1_PNSt15iterator_traitsISK_E10value_typeET2_T3_PNSL_ISQ_E10value_typeET4_jRbjT5_SW_jjP12ihipStream_tbEUlT_E0_NS1_11comp_targetILNS1_3genE4ELNS1_11target_archE910ELNS1_3gpuE8ELNS1_3repE0EEENS1_60segmented_radix_sort_warp_sort_medium_config_static_selectorELNS0_4arch9wavefront6targetE1EEEvSK_.uses_vcc, 0
	.set _ZN7rocprim17ROCPRIM_400000_NS6detail17trampoline_kernelINS0_14default_configENS1_36segmented_radix_sort_config_selectorIflEEZNS1_25segmented_radix_sort_implIS3_Lb0EPKfPfPKlPlN2at6native12_GLOBAL__N_18offset_tEEE10hipError_tPvRmT1_PNSt15iterator_traitsISK_E10value_typeET2_T3_PNSL_ISQ_E10value_typeET4_jRbjT5_SW_jjP12ihipStream_tbEUlT_E0_NS1_11comp_targetILNS1_3genE4ELNS1_11target_archE910ELNS1_3gpuE8ELNS1_3repE0EEENS1_60segmented_radix_sort_warp_sort_medium_config_static_selectorELNS0_4arch9wavefront6targetE1EEEvSK_.uses_flat_scratch, 0
	.set _ZN7rocprim17ROCPRIM_400000_NS6detail17trampoline_kernelINS0_14default_configENS1_36segmented_radix_sort_config_selectorIflEEZNS1_25segmented_radix_sort_implIS3_Lb0EPKfPfPKlPlN2at6native12_GLOBAL__N_18offset_tEEE10hipError_tPvRmT1_PNSt15iterator_traitsISK_E10value_typeET2_T3_PNSL_ISQ_E10value_typeET4_jRbjT5_SW_jjP12ihipStream_tbEUlT_E0_NS1_11comp_targetILNS1_3genE4ELNS1_11target_archE910ELNS1_3gpuE8ELNS1_3repE0EEENS1_60segmented_radix_sort_warp_sort_medium_config_static_selectorELNS0_4arch9wavefront6targetE1EEEvSK_.has_dyn_sized_stack, 0
	.set _ZN7rocprim17ROCPRIM_400000_NS6detail17trampoline_kernelINS0_14default_configENS1_36segmented_radix_sort_config_selectorIflEEZNS1_25segmented_radix_sort_implIS3_Lb0EPKfPfPKlPlN2at6native12_GLOBAL__N_18offset_tEEE10hipError_tPvRmT1_PNSt15iterator_traitsISK_E10value_typeET2_T3_PNSL_ISQ_E10value_typeET4_jRbjT5_SW_jjP12ihipStream_tbEUlT_E0_NS1_11comp_targetILNS1_3genE4ELNS1_11target_archE910ELNS1_3gpuE8ELNS1_3repE0EEENS1_60segmented_radix_sort_warp_sort_medium_config_static_selectorELNS0_4arch9wavefront6targetE1EEEvSK_.has_recursion, 0
	.set _ZN7rocprim17ROCPRIM_400000_NS6detail17trampoline_kernelINS0_14default_configENS1_36segmented_radix_sort_config_selectorIflEEZNS1_25segmented_radix_sort_implIS3_Lb0EPKfPfPKlPlN2at6native12_GLOBAL__N_18offset_tEEE10hipError_tPvRmT1_PNSt15iterator_traitsISK_E10value_typeET2_T3_PNSL_ISQ_E10value_typeET4_jRbjT5_SW_jjP12ihipStream_tbEUlT_E0_NS1_11comp_targetILNS1_3genE4ELNS1_11target_archE910ELNS1_3gpuE8ELNS1_3repE0EEENS1_60segmented_radix_sort_warp_sort_medium_config_static_selectorELNS0_4arch9wavefront6targetE1EEEvSK_.has_indirect_call, 0
	.section	.AMDGPU.csdata,"",@progbits
; Kernel info:
; codeLenInByte = 0
; TotalNumSgprs: 4
; NumVgprs: 0
; ScratchSize: 0
; MemoryBound: 0
; FloatMode: 240
; IeeeMode: 1
; LDSByteSize: 0 bytes/workgroup (compile time only)
; SGPRBlocks: 0
; VGPRBlocks: 0
; NumSGPRsForWavesPerEU: 4
; NumVGPRsForWavesPerEU: 1
; Occupancy: 10
; WaveLimiterHint : 0
; COMPUTE_PGM_RSRC2:SCRATCH_EN: 0
; COMPUTE_PGM_RSRC2:USER_SGPR: 6
; COMPUTE_PGM_RSRC2:TRAP_HANDLER: 0
; COMPUTE_PGM_RSRC2:TGID_X_EN: 1
; COMPUTE_PGM_RSRC2:TGID_Y_EN: 0
; COMPUTE_PGM_RSRC2:TGID_Z_EN: 0
; COMPUTE_PGM_RSRC2:TIDIG_COMP_CNT: 0
	.section	.text._ZN7rocprim17ROCPRIM_400000_NS6detail17trampoline_kernelINS0_14default_configENS1_36segmented_radix_sort_config_selectorIflEEZNS1_25segmented_radix_sort_implIS3_Lb0EPKfPfPKlPlN2at6native12_GLOBAL__N_18offset_tEEE10hipError_tPvRmT1_PNSt15iterator_traitsISK_E10value_typeET2_T3_PNSL_ISQ_E10value_typeET4_jRbjT5_SW_jjP12ihipStream_tbEUlT_E0_NS1_11comp_targetILNS1_3genE3ELNS1_11target_archE908ELNS1_3gpuE7ELNS1_3repE0EEENS1_60segmented_radix_sort_warp_sort_medium_config_static_selectorELNS0_4arch9wavefront6targetE1EEEvSK_,"axG",@progbits,_ZN7rocprim17ROCPRIM_400000_NS6detail17trampoline_kernelINS0_14default_configENS1_36segmented_radix_sort_config_selectorIflEEZNS1_25segmented_radix_sort_implIS3_Lb0EPKfPfPKlPlN2at6native12_GLOBAL__N_18offset_tEEE10hipError_tPvRmT1_PNSt15iterator_traitsISK_E10value_typeET2_T3_PNSL_ISQ_E10value_typeET4_jRbjT5_SW_jjP12ihipStream_tbEUlT_E0_NS1_11comp_targetILNS1_3genE3ELNS1_11target_archE908ELNS1_3gpuE7ELNS1_3repE0EEENS1_60segmented_radix_sort_warp_sort_medium_config_static_selectorELNS0_4arch9wavefront6targetE1EEEvSK_,comdat
	.globl	_ZN7rocprim17ROCPRIM_400000_NS6detail17trampoline_kernelINS0_14default_configENS1_36segmented_radix_sort_config_selectorIflEEZNS1_25segmented_radix_sort_implIS3_Lb0EPKfPfPKlPlN2at6native12_GLOBAL__N_18offset_tEEE10hipError_tPvRmT1_PNSt15iterator_traitsISK_E10value_typeET2_T3_PNSL_ISQ_E10value_typeET4_jRbjT5_SW_jjP12ihipStream_tbEUlT_E0_NS1_11comp_targetILNS1_3genE3ELNS1_11target_archE908ELNS1_3gpuE7ELNS1_3repE0EEENS1_60segmented_radix_sort_warp_sort_medium_config_static_selectorELNS0_4arch9wavefront6targetE1EEEvSK_ ; -- Begin function _ZN7rocprim17ROCPRIM_400000_NS6detail17trampoline_kernelINS0_14default_configENS1_36segmented_radix_sort_config_selectorIflEEZNS1_25segmented_radix_sort_implIS3_Lb0EPKfPfPKlPlN2at6native12_GLOBAL__N_18offset_tEEE10hipError_tPvRmT1_PNSt15iterator_traitsISK_E10value_typeET2_T3_PNSL_ISQ_E10value_typeET4_jRbjT5_SW_jjP12ihipStream_tbEUlT_E0_NS1_11comp_targetILNS1_3genE3ELNS1_11target_archE908ELNS1_3gpuE7ELNS1_3repE0EEENS1_60segmented_radix_sort_warp_sort_medium_config_static_selectorELNS0_4arch9wavefront6targetE1EEEvSK_
	.p2align	8
	.type	_ZN7rocprim17ROCPRIM_400000_NS6detail17trampoline_kernelINS0_14default_configENS1_36segmented_radix_sort_config_selectorIflEEZNS1_25segmented_radix_sort_implIS3_Lb0EPKfPfPKlPlN2at6native12_GLOBAL__N_18offset_tEEE10hipError_tPvRmT1_PNSt15iterator_traitsISK_E10value_typeET2_T3_PNSL_ISQ_E10value_typeET4_jRbjT5_SW_jjP12ihipStream_tbEUlT_E0_NS1_11comp_targetILNS1_3genE3ELNS1_11target_archE908ELNS1_3gpuE7ELNS1_3repE0EEENS1_60segmented_radix_sort_warp_sort_medium_config_static_selectorELNS0_4arch9wavefront6targetE1EEEvSK_,@function
_ZN7rocprim17ROCPRIM_400000_NS6detail17trampoline_kernelINS0_14default_configENS1_36segmented_radix_sort_config_selectorIflEEZNS1_25segmented_radix_sort_implIS3_Lb0EPKfPfPKlPlN2at6native12_GLOBAL__N_18offset_tEEE10hipError_tPvRmT1_PNSt15iterator_traitsISK_E10value_typeET2_T3_PNSL_ISQ_E10value_typeET4_jRbjT5_SW_jjP12ihipStream_tbEUlT_E0_NS1_11comp_targetILNS1_3genE3ELNS1_11target_archE908ELNS1_3gpuE7ELNS1_3repE0EEENS1_60segmented_radix_sort_warp_sort_medium_config_static_selectorELNS0_4arch9wavefront6targetE1EEEvSK_: ; @_ZN7rocprim17ROCPRIM_400000_NS6detail17trampoline_kernelINS0_14default_configENS1_36segmented_radix_sort_config_selectorIflEEZNS1_25segmented_radix_sort_implIS3_Lb0EPKfPfPKlPlN2at6native12_GLOBAL__N_18offset_tEEE10hipError_tPvRmT1_PNSt15iterator_traitsISK_E10value_typeET2_T3_PNSL_ISQ_E10value_typeET4_jRbjT5_SW_jjP12ihipStream_tbEUlT_E0_NS1_11comp_targetILNS1_3genE3ELNS1_11target_archE908ELNS1_3gpuE7ELNS1_3repE0EEENS1_60segmented_radix_sort_warp_sort_medium_config_static_selectorELNS0_4arch9wavefront6targetE1EEEvSK_
; %bb.0:
	.section	.rodata,"a",@progbits
	.p2align	6, 0x0
	.amdhsa_kernel _ZN7rocprim17ROCPRIM_400000_NS6detail17trampoline_kernelINS0_14default_configENS1_36segmented_radix_sort_config_selectorIflEEZNS1_25segmented_radix_sort_implIS3_Lb0EPKfPfPKlPlN2at6native12_GLOBAL__N_18offset_tEEE10hipError_tPvRmT1_PNSt15iterator_traitsISK_E10value_typeET2_T3_PNSL_ISQ_E10value_typeET4_jRbjT5_SW_jjP12ihipStream_tbEUlT_E0_NS1_11comp_targetILNS1_3genE3ELNS1_11target_archE908ELNS1_3gpuE7ELNS1_3repE0EEENS1_60segmented_radix_sort_warp_sort_medium_config_static_selectorELNS0_4arch9wavefront6targetE1EEEvSK_
		.amdhsa_group_segment_fixed_size 0
		.amdhsa_private_segment_fixed_size 0
		.amdhsa_kernarg_size 88
		.amdhsa_user_sgpr_count 6
		.amdhsa_user_sgpr_private_segment_buffer 1
		.amdhsa_user_sgpr_dispatch_ptr 0
		.amdhsa_user_sgpr_queue_ptr 0
		.amdhsa_user_sgpr_kernarg_segment_ptr 1
		.amdhsa_user_sgpr_dispatch_id 0
		.amdhsa_user_sgpr_flat_scratch_init 0
		.amdhsa_user_sgpr_private_segment_size 0
		.amdhsa_uses_dynamic_stack 0
		.amdhsa_system_sgpr_private_segment_wavefront_offset 0
		.amdhsa_system_sgpr_workgroup_id_x 1
		.amdhsa_system_sgpr_workgroup_id_y 0
		.amdhsa_system_sgpr_workgroup_id_z 0
		.amdhsa_system_sgpr_workgroup_info 0
		.amdhsa_system_vgpr_workitem_id 0
		.amdhsa_next_free_vgpr 1
		.amdhsa_next_free_sgpr 0
		.amdhsa_reserve_vcc 0
		.amdhsa_reserve_flat_scratch 0
		.amdhsa_float_round_mode_32 0
		.amdhsa_float_round_mode_16_64 0
		.amdhsa_float_denorm_mode_32 3
		.amdhsa_float_denorm_mode_16_64 3
		.amdhsa_dx10_clamp 1
		.amdhsa_ieee_mode 1
		.amdhsa_fp16_overflow 0
		.amdhsa_exception_fp_ieee_invalid_op 0
		.amdhsa_exception_fp_denorm_src 0
		.amdhsa_exception_fp_ieee_div_zero 0
		.amdhsa_exception_fp_ieee_overflow 0
		.amdhsa_exception_fp_ieee_underflow 0
		.amdhsa_exception_fp_ieee_inexact 0
		.amdhsa_exception_int_div_zero 0
	.end_amdhsa_kernel
	.section	.text._ZN7rocprim17ROCPRIM_400000_NS6detail17trampoline_kernelINS0_14default_configENS1_36segmented_radix_sort_config_selectorIflEEZNS1_25segmented_radix_sort_implIS3_Lb0EPKfPfPKlPlN2at6native12_GLOBAL__N_18offset_tEEE10hipError_tPvRmT1_PNSt15iterator_traitsISK_E10value_typeET2_T3_PNSL_ISQ_E10value_typeET4_jRbjT5_SW_jjP12ihipStream_tbEUlT_E0_NS1_11comp_targetILNS1_3genE3ELNS1_11target_archE908ELNS1_3gpuE7ELNS1_3repE0EEENS1_60segmented_radix_sort_warp_sort_medium_config_static_selectorELNS0_4arch9wavefront6targetE1EEEvSK_,"axG",@progbits,_ZN7rocprim17ROCPRIM_400000_NS6detail17trampoline_kernelINS0_14default_configENS1_36segmented_radix_sort_config_selectorIflEEZNS1_25segmented_radix_sort_implIS3_Lb0EPKfPfPKlPlN2at6native12_GLOBAL__N_18offset_tEEE10hipError_tPvRmT1_PNSt15iterator_traitsISK_E10value_typeET2_T3_PNSL_ISQ_E10value_typeET4_jRbjT5_SW_jjP12ihipStream_tbEUlT_E0_NS1_11comp_targetILNS1_3genE3ELNS1_11target_archE908ELNS1_3gpuE7ELNS1_3repE0EEENS1_60segmented_radix_sort_warp_sort_medium_config_static_selectorELNS0_4arch9wavefront6targetE1EEEvSK_,comdat
.Lfunc_end1441:
	.size	_ZN7rocprim17ROCPRIM_400000_NS6detail17trampoline_kernelINS0_14default_configENS1_36segmented_radix_sort_config_selectorIflEEZNS1_25segmented_radix_sort_implIS3_Lb0EPKfPfPKlPlN2at6native12_GLOBAL__N_18offset_tEEE10hipError_tPvRmT1_PNSt15iterator_traitsISK_E10value_typeET2_T3_PNSL_ISQ_E10value_typeET4_jRbjT5_SW_jjP12ihipStream_tbEUlT_E0_NS1_11comp_targetILNS1_3genE3ELNS1_11target_archE908ELNS1_3gpuE7ELNS1_3repE0EEENS1_60segmented_radix_sort_warp_sort_medium_config_static_selectorELNS0_4arch9wavefront6targetE1EEEvSK_, .Lfunc_end1441-_ZN7rocprim17ROCPRIM_400000_NS6detail17trampoline_kernelINS0_14default_configENS1_36segmented_radix_sort_config_selectorIflEEZNS1_25segmented_radix_sort_implIS3_Lb0EPKfPfPKlPlN2at6native12_GLOBAL__N_18offset_tEEE10hipError_tPvRmT1_PNSt15iterator_traitsISK_E10value_typeET2_T3_PNSL_ISQ_E10value_typeET4_jRbjT5_SW_jjP12ihipStream_tbEUlT_E0_NS1_11comp_targetILNS1_3genE3ELNS1_11target_archE908ELNS1_3gpuE7ELNS1_3repE0EEENS1_60segmented_radix_sort_warp_sort_medium_config_static_selectorELNS0_4arch9wavefront6targetE1EEEvSK_
                                        ; -- End function
	.set _ZN7rocprim17ROCPRIM_400000_NS6detail17trampoline_kernelINS0_14default_configENS1_36segmented_radix_sort_config_selectorIflEEZNS1_25segmented_radix_sort_implIS3_Lb0EPKfPfPKlPlN2at6native12_GLOBAL__N_18offset_tEEE10hipError_tPvRmT1_PNSt15iterator_traitsISK_E10value_typeET2_T3_PNSL_ISQ_E10value_typeET4_jRbjT5_SW_jjP12ihipStream_tbEUlT_E0_NS1_11comp_targetILNS1_3genE3ELNS1_11target_archE908ELNS1_3gpuE7ELNS1_3repE0EEENS1_60segmented_radix_sort_warp_sort_medium_config_static_selectorELNS0_4arch9wavefront6targetE1EEEvSK_.num_vgpr, 0
	.set _ZN7rocprim17ROCPRIM_400000_NS6detail17trampoline_kernelINS0_14default_configENS1_36segmented_radix_sort_config_selectorIflEEZNS1_25segmented_radix_sort_implIS3_Lb0EPKfPfPKlPlN2at6native12_GLOBAL__N_18offset_tEEE10hipError_tPvRmT1_PNSt15iterator_traitsISK_E10value_typeET2_T3_PNSL_ISQ_E10value_typeET4_jRbjT5_SW_jjP12ihipStream_tbEUlT_E0_NS1_11comp_targetILNS1_3genE3ELNS1_11target_archE908ELNS1_3gpuE7ELNS1_3repE0EEENS1_60segmented_radix_sort_warp_sort_medium_config_static_selectorELNS0_4arch9wavefront6targetE1EEEvSK_.num_agpr, 0
	.set _ZN7rocprim17ROCPRIM_400000_NS6detail17trampoline_kernelINS0_14default_configENS1_36segmented_radix_sort_config_selectorIflEEZNS1_25segmented_radix_sort_implIS3_Lb0EPKfPfPKlPlN2at6native12_GLOBAL__N_18offset_tEEE10hipError_tPvRmT1_PNSt15iterator_traitsISK_E10value_typeET2_T3_PNSL_ISQ_E10value_typeET4_jRbjT5_SW_jjP12ihipStream_tbEUlT_E0_NS1_11comp_targetILNS1_3genE3ELNS1_11target_archE908ELNS1_3gpuE7ELNS1_3repE0EEENS1_60segmented_radix_sort_warp_sort_medium_config_static_selectorELNS0_4arch9wavefront6targetE1EEEvSK_.numbered_sgpr, 0
	.set _ZN7rocprim17ROCPRIM_400000_NS6detail17trampoline_kernelINS0_14default_configENS1_36segmented_radix_sort_config_selectorIflEEZNS1_25segmented_radix_sort_implIS3_Lb0EPKfPfPKlPlN2at6native12_GLOBAL__N_18offset_tEEE10hipError_tPvRmT1_PNSt15iterator_traitsISK_E10value_typeET2_T3_PNSL_ISQ_E10value_typeET4_jRbjT5_SW_jjP12ihipStream_tbEUlT_E0_NS1_11comp_targetILNS1_3genE3ELNS1_11target_archE908ELNS1_3gpuE7ELNS1_3repE0EEENS1_60segmented_radix_sort_warp_sort_medium_config_static_selectorELNS0_4arch9wavefront6targetE1EEEvSK_.num_named_barrier, 0
	.set _ZN7rocprim17ROCPRIM_400000_NS6detail17trampoline_kernelINS0_14default_configENS1_36segmented_radix_sort_config_selectorIflEEZNS1_25segmented_radix_sort_implIS3_Lb0EPKfPfPKlPlN2at6native12_GLOBAL__N_18offset_tEEE10hipError_tPvRmT1_PNSt15iterator_traitsISK_E10value_typeET2_T3_PNSL_ISQ_E10value_typeET4_jRbjT5_SW_jjP12ihipStream_tbEUlT_E0_NS1_11comp_targetILNS1_3genE3ELNS1_11target_archE908ELNS1_3gpuE7ELNS1_3repE0EEENS1_60segmented_radix_sort_warp_sort_medium_config_static_selectorELNS0_4arch9wavefront6targetE1EEEvSK_.private_seg_size, 0
	.set _ZN7rocprim17ROCPRIM_400000_NS6detail17trampoline_kernelINS0_14default_configENS1_36segmented_radix_sort_config_selectorIflEEZNS1_25segmented_radix_sort_implIS3_Lb0EPKfPfPKlPlN2at6native12_GLOBAL__N_18offset_tEEE10hipError_tPvRmT1_PNSt15iterator_traitsISK_E10value_typeET2_T3_PNSL_ISQ_E10value_typeET4_jRbjT5_SW_jjP12ihipStream_tbEUlT_E0_NS1_11comp_targetILNS1_3genE3ELNS1_11target_archE908ELNS1_3gpuE7ELNS1_3repE0EEENS1_60segmented_radix_sort_warp_sort_medium_config_static_selectorELNS0_4arch9wavefront6targetE1EEEvSK_.uses_vcc, 0
	.set _ZN7rocprim17ROCPRIM_400000_NS6detail17trampoline_kernelINS0_14default_configENS1_36segmented_radix_sort_config_selectorIflEEZNS1_25segmented_radix_sort_implIS3_Lb0EPKfPfPKlPlN2at6native12_GLOBAL__N_18offset_tEEE10hipError_tPvRmT1_PNSt15iterator_traitsISK_E10value_typeET2_T3_PNSL_ISQ_E10value_typeET4_jRbjT5_SW_jjP12ihipStream_tbEUlT_E0_NS1_11comp_targetILNS1_3genE3ELNS1_11target_archE908ELNS1_3gpuE7ELNS1_3repE0EEENS1_60segmented_radix_sort_warp_sort_medium_config_static_selectorELNS0_4arch9wavefront6targetE1EEEvSK_.uses_flat_scratch, 0
	.set _ZN7rocprim17ROCPRIM_400000_NS6detail17trampoline_kernelINS0_14default_configENS1_36segmented_radix_sort_config_selectorIflEEZNS1_25segmented_radix_sort_implIS3_Lb0EPKfPfPKlPlN2at6native12_GLOBAL__N_18offset_tEEE10hipError_tPvRmT1_PNSt15iterator_traitsISK_E10value_typeET2_T3_PNSL_ISQ_E10value_typeET4_jRbjT5_SW_jjP12ihipStream_tbEUlT_E0_NS1_11comp_targetILNS1_3genE3ELNS1_11target_archE908ELNS1_3gpuE7ELNS1_3repE0EEENS1_60segmented_radix_sort_warp_sort_medium_config_static_selectorELNS0_4arch9wavefront6targetE1EEEvSK_.has_dyn_sized_stack, 0
	.set _ZN7rocprim17ROCPRIM_400000_NS6detail17trampoline_kernelINS0_14default_configENS1_36segmented_radix_sort_config_selectorIflEEZNS1_25segmented_radix_sort_implIS3_Lb0EPKfPfPKlPlN2at6native12_GLOBAL__N_18offset_tEEE10hipError_tPvRmT1_PNSt15iterator_traitsISK_E10value_typeET2_T3_PNSL_ISQ_E10value_typeET4_jRbjT5_SW_jjP12ihipStream_tbEUlT_E0_NS1_11comp_targetILNS1_3genE3ELNS1_11target_archE908ELNS1_3gpuE7ELNS1_3repE0EEENS1_60segmented_radix_sort_warp_sort_medium_config_static_selectorELNS0_4arch9wavefront6targetE1EEEvSK_.has_recursion, 0
	.set _ZN7rocprim17ROCPRIM_400000_NS6detail17trampoline_kernelINS0_14default_configENS1_36segmented_radix_sort_config_selectorIflEEZNS1_25segmented_radix_sort_implIS3_Lb0EPKfPfPKlPlN2at6native12_GLOBAL__N_18offset_tEEE10hipError_tPvRmT1_PNSt15iterator_traitsISK_E10value_typeET2_T3_PNSL_ISQ_E10value_typeET4_jRbjT5_SW_jjP12ihipStream_tbEUlT_E0_NS1_11comp_targetILNS1_3genE3ELNS1_11target_archE908ELNS1_3gpuE7ELNS1_3repE0EEENS1_60segmented_radix_sort_warp_sort_medium_config_static_selectorELNS0_4arch9wavefront6targetE1EEEvSK_.has_indirect_call, 0
	.section	.AMDGPU.csdata,"",@progbits
; Kernel info:
; codeLenInByte = 0
; TotalNumSgprs: 4
; NumVgprs: 0
; ScratchSize: 0
; MemoryBound: 0
; FloatMode: 240
; IeeeMode: 1
; LDSByteSize: 0 bytes/workgroup (compile time only)
; SGPRBlocks: 0
; VGPRBlocks: 0
; NumSGPRsForWavesPerEU: 4
; NumVGPRsForWavesPerEU: 1
; Occupancy: 10
; WaveLimiterHint : 0
; COMPUTE_PGM_RSRC2:SCRATCH_EN: 0
; COMPUTE_PGM_RSRC2:USER_SGPR: 6
; COMPUTE_PGM_RSRC2:TRAP_HANDLER: 0
; COMPUTE_PGM_RSRC2:TGID_X_EN: 1
; COMPUTE_PGM_RSRC2:TGID_Y_EN: 0
; COMPUTE_PGM_RSRC2:TGID_Z_EN: 0
; COMPUTE_PGM_RSRC2:TIDIG_COMP_CNT: 0
	.text
	.p2align	2                               ; -- Begin function _ZN7rocprim17ROCPRIM_400000_NS6detail26segmented_warp_sort_helperINS1_20WarpSortHelperConfigILj16ELj8ELj256EEEflLi256ELb0EvE4sortIPKfPfPKlPlEEvT_T0_T1_T2_jjjjRNS5_12storage_typeE
	.type	_ZN7rocprim17ROCPRIM_400000_NS6detail26segmented_warp_sort_helperINS1_20WarpSortHelperConfigILj16ELj8ELj256EEEflLi256ELb0EvE4sortIPKfPfPKlPlEEvT_T0_T1_T2_jjjjRNS5_12storage_typeE,@function
_ZN7rocprim17ROCPRIM_400000_NS6detail26segmented_warp_sort_helperINS1_20WarpSortHelperConfigILj16ELj8ELj256EEEflLi256ELb0EvE4sortIPKfPfPKlPlEEvT_T0_T1_T2_jjjjRNS5_12storage_typeE: ; @_ZN7rocprim17ROCPRIM_400000_NS6detail26segmented_warp_sort_helperINS1_20WarpSortHelperConfigILj16ELj8ELj256EEEflLi256ELb0EvE4sortIPKfPfPKlPlEEvT_T0_T1_T2_jjjjRNS5_12storage_typeE
; %bb.0:
	s_waitcnt vmcnt(0) expcnt(0) lgkmcnt(0)
	v_sub_u32_e32 v12, v9, v8
	v_mov_b32_e32 v9, 0
	v_mbcnt_lo_u32_b32 v13, -1, 0
	v_lshlrev_b64 v[10:11], 2, v[8:9]
	v_mbcnt_hi_u32_b32 v13, -1, v13
	v_lshlrev_b32_e32 v49, 3, v13
	v_add_co_u32_e32 v0, vcc, v0, v10
	v_and_b32_e32 v48, 0x78, v49
	v_addc_co_u32_e32 v1, vcc, v1, v11, vcc
	v_lshlrev_b32_e32 v38, 2, v48
	v_add_co_u32_e32 v0, vcc, v0, v38
	v_addc_co_u32_e32 v1, vcc, 0, v1, vcc
	v_cmp_lt_u32_e32 vcc, v48, v12
	v_bfrev_b32_e32 v19, -2
	v_bfrev_b32_e32 v18, -2
	s_and_saveexec_b64 s[4:5], vcc
	s_cbranch_execz .LBB1442_2
; %bb.1:
	flat_load_dword v18, v[0:1]
.LBB1442_2:
	s_or_b64 exec, exec, s[4:5]
	v_or_b32_e32 v13, 1, v48
	v_cmp_lt_u32_e64 s[4:5], v13, v12
	s_and_saveexec_b64 s[6:7], s[4:5]
	s_cbranch_execz .LBB1442_4
; %bb.3:
	flat_load_dword v19, v[0:1] offset:4
.LBB1442_4:
	s_or_b64 exec, exec, s[6:7]
	v_or_b32_e32 v13, 2, v48
	v_cmp_lt_u32_e64 s[6:7], v13, v12
	v_bfrev_b32_e32 v29, -2
	v_bfrev_b32_e32 v28, -2
	s_and_saveexec_b64 s[10:11], s[6:7]
	s_cbranch_execz .LBB1442_6
; %bb.5:
	flat_load_dword v28, v[0:1] offset:8
.LBB1442_6:
	s_or_b64 exec, exec, s[10:11]
	v_or_b32_e32 v13, 3, v48
	v_cmp_lt_u32_e64 s[18:19], v13, v12
	s_and_saveexec_b64 s[10:11], s[18:19]
	s_cbranch_execz .LBB1442_8
; %bb.7:
	flat_load_dword v29, v[0:1] offset:12
.LBB1442_8:
	s_or_b64 exec, exec, s[10:11]
	v_or_b32_e32 v13, 4, v48
	v_cmp_lt_u32_e64 s[10:11], v13, v12
	v_bfrev_b32_e32 v27, -2
	v_bfrev_b32_e32 v26, -2
	s_and_saveexec_b64 s[14:15], s[10:11]
	s_cbranch_execz .LBB1442_10
; %bb.9:
	flat_load_dword v26, v[0:1] offset:16
.LBB1442_10:
	;; [unrolled: 18-line block ×3, first 2 shown]
	s_or_b64 exec, exec, s[16:17]
	v_or_b32_e32 v13, 7, v48
	v_cmp_lt_u32_e64 s[16:17], v13, v12
	s_and_saveexec_b64 s[22:23], s[16:17]
	s_cbranch_execz .LBB1442_16
; %bb.15:
	flat_load_dword v17, v[0:1] offset:28
.LBB1442_16:
	s_or_b64 exec, exec, s[22:23]
	v_lshlrev_b64 v[0:1], 3, v[8:9]
	v_lshlrev_b32_e32 v39, 3, v48
	v_add_co_u32_e64 v4, s[22:23], v4, v0
	v_addc_co_u32_e64 v5, s[22:23], v5, v1, s[22:23]
	v_add_co_u32_e64 v34, s[22:23], v4, v39
	v_addc_co_u32_e64 v35, s[22:23], 0, v5, s[22:23]
	; wave barrier
                                        ; implicit-def: $vgpr4_vgpr5
	s_and_saveexec_b64 s[22:23], vcc
	s_cbranch_execnz .LBB1442_261
; %bb.17:
	s_or_b64 exec, exec, s[22:23]
	s_and_saveexec_b64 s[22:23], s[4:5]
                                        ; implicit-def: $vgpr8_vgpr9
	s_cbranch_execnz .LBB1442_262
.LBB1442_18:
	s_or_b64 exec, exec, s[22:23]
                                        ; implicit-def: $vgpr12_vgpr13
	s_and_saveexec_b64 s[22:23], s[6:7]
	s_cbranch_execnz .LBB1442_263
.LBB1442_19:
	s_or_b64 exec, exec, s[22:23]
	s_and_saveexec_b64 s[22:23], s[18:19]
                                        ; implicit-def: $vgpr14_vgpr15
	s_cbranch_execnz .LBB1442_264
.LBB1442_20:
	s_or_b64 exec, exec, s[22:23]
                                        ; implicit-def: $vgpr20_vgpr21
	s_and_saveexec_b64 s[22:23], s[10:11]
	s_cbranch_execnz .LBB1442_265
.LBB1442_21:
	s_or_b64 exec, exec, s[22:23]
	s_and_saveexec_b64 s[22:23], s[20:21]
                                        ; implicit-def: $vgpr24_vgpr25
	s_cbranch_execnz .LBB1442_266
.LBB1442_22:
	s_or_b64 exec, exec, s[22:23]
                                        ; implicit-def: $vgpr22_vgpr23
	s_and_saveexec_b64 s[22:23], s[14:15]
	s_cbranch_execnz .LBB1442_267
.LBB1442_23:
	s_or_b64 exec, exec, s[22:23]
	s_and_saveexec_b64 s[22:23], s[16:17]
                                        ; implicit-def: $vgpr32_vgpr33
	s_cbranch_execz .LBB1442_25
.LBB1442_24:
	flat_load_dwordx2 v[32:33], v[34:35] offset:56
.LBB1442_25:
	s_or_b64 exec, exec, s[22:23]
	; wave barrier
	s_load_dwordx2 s[22:23], s[8:9], 0x0
	v_mov_b32_e32 v30, 0
	v_bfe_u32 v36, v31, 20, 10
	s_waitcnt lgkmcnt(0)
	s_cmp_lt_u32 s13, s23
	s_cselect_b32 s13, 14, 20
	s_add_u32 s24, s8, s13
	s_addc_u32 s25, s9, 0
	s_cmp_lt_u32 s12, s22
	s_cselect_b32 s12, 12, 18
	s_add_u32 s8, s8, s12
	s_addc_u32 s9, s9, 0
	global_load_ushort v34, v30, s[24:25]
	global_load_ushort v35, v30, s[8:9]
	v_bfe_u32 v30, v31, 10, 10
	v_and_b32_e32 v31, 0x3ff, v31
	s_movk_i32 s8, 0x800
	s_waitcnt vmcnt(0)
	v_mad_u32_u24 v30, v36, v34, v30
	v_mul_lo_u32 v30, v30, v35
	v_add_lshl_u32 v50, v30, v31, 3
	v_cmp_gt_u32_e64 s[8:9], s8, v50
	s_and_saveexec_b64 s[12:13], s[8:9]
	s_cbranch_execz .LBB1442_83
; %bb.26:
	v_add_f32_e32 v30, 0, v18
	v_ashrrev_i32_e32 v34, 31, v30
	v_add_f32_e32 v31, 0, v19
	v_or_b32_e32 v34, 0x80000000, v34
	v_xor_b32_e32 v30, v34, v30
	v_ashrrev_i32_e32 v34, 31, v31
	v_or_b32_e32 v34, 0x80000000, v34
	v_xor_b32_e32 v31, v34, v31
	v_cmp_gt_u32_e64 s[8:9], v30, v31
	v_mov_b32_e32 v31, v9
	v_mov_b32_e32 v36, v19
	;; [unrolled: 1-line block ×3, first 2 shown]
	s_and_saveexec_b64 s[22:23], s[8:9]
; %bb.27:
	v_mov_b32_e32 v31, v5
	v_mov_b32_e32 v30, v4
	;; [unrolled: 1-line block ×6, first 2 shown]
; %bb.28:
	s_or_b64 exec, exec, s[22:23]
	v_add_f32_e32 v8, 0, v28
	v_ashrrev_i32_e32 v19, 31, v8
	v_add_f32_e32 v9, 0, v29
	v_or_b32_e32 v19, 0x80000000, v19
	v_xor_b32_e32 v8, v19, v8
	v_ashrrev_i32_e32 v19, 31, v9
	v_or_b32_e32 v19, 0x80000000, v19
	v_xor_b32_e32 v9, v19, v9
	v_mov_b32_e32 v35, v15
	v_cmp_gt_u32_e64 s[8:9], v8, v9
	v_mov_b32_e32 v19, v29
	v_mov_b32_e32 v34, v14
	s_and_saveexec_b64 s[22:23], s[8:9]
; %bb.29:
	v_mov_b32_e32 v35, v13
	v_mov_b32_e32 v34, v12
	;; [unrolled: 1-line block ×6, first 2 shown]
; %bb.30:
	s_or_b64 exec, exec, s[22:23]
	v_add_f32_e32 v8, 0, v26
	v_ashrrev_i32_e32 v14, 31, v8
	v_add_f32_e32 v9, 0, v27
	v_or_b32_e32 v14, 0x80000000, v14
	v_xor_b32_e32 v8, v14, v8
	v_ashrrev_i32_e32 v14, 31, v9
	v_or_b32_e32 v14, 0x80000000, v14
	v_xor_b32_e32 v9, v14, v9
	v_mov_b32_e32 v14, v24
	v_cmp_gt_u32_e64 s[8:9], v8, v9
	v_mov_b32_e32 v15, v25
	v_mov_b32_e32 v51, v26
	s_and_saveexec_b64 s[22:23], s[8:9]
; %bb.31:
	v_mov_b32_e32 v14, v20
	v_mov_b32_e32 v15, v21
	;; [unrolled: 1-line block ×6, first 2 shown]
; %bb.32:
	s_or_b64 exec, exec, s[22:23]
	v_add_f32_e32 v8, 0, v16
	v_ashrrev_i32_e32 v24, 31, v8
	v_add_f32_e32 v9, 0, v17
	v_or_b32_e32 v24, 0x80000000, v24
	v_xor_b32_e32 v8, v24, v8
	v_ashrrev_i32_e32 v24, 31, v9
	v_or_b32_e32 v24, 0x80000000, v24
	v_xor_b32_e32 v9, v24, v9
	v_cmp_gt_u32_e64 s[8:9], v8, v9
	v_mov_b32_e32 v8, v32
	v_mov_b32_e32 v9, v33
	;; [unrolled: 1-line block ×3, first 2 shown]
	s_and_saveexec_b64 s[22:23], s[8:9]
; %bb.33:
	v_mov_b32_e32 v8, v22
	v_mov_b32_e32 v9, v23
	;; [unrolled: 1-line block ×6, first 2 shown]
; %bb.34:
	s_or_b64 exec, exec, s[22:23]
	v_add_f32_e32 v16, 0, v36
	v_ashrrev_i32_e32 v25, 31, v16
	v_add_f32_e32 v24, 0, v28
	v_or_b32_e32 v25, 0x80000000, v25
	v_xor_b32_e32 v16, v25, v16
	v_ashrrev_i32_e32 v25, 31, v24
	v_or_b32_e32 v25, 0x80000000, v25
	v_xor_b32_e32 v24, v25, v24
	v_cmp_gt_u32_e64 s[8:9], v16, v24
	v_mov_b32_e32 v25, v13
	v_mov_b32_e32 v16, v28
	;; [unrolled: 1-line block ×3, first 2 shown]
	s_and_saveexec_b64 s[22:23], s[8:9]
	s_xor_b64 s[8:9], exec, s[22:23]
; %bb.35:
	v_mov_b32_e32 v24, v30
	v_mov_b32_e32 v25, v31
	;; [unrolled: 1-line block ×6, first 2 shown]
; %bb.36:
	s_or_b64 exec, exec, s[8:9]
	v_add_f32_e32 v12, 0, v19
	v_ashrrev_i32_e32 v26, 31, v12
	v_add_f32_e32 v13, 0, v51
	v_or_b32_e32 v26, 0x80000000, v26
	v_xor_b32_e32 v12, v26, v12
	v_ashrrev_i32_e32 v26, 31, v13
	v_or_b32_e32 v26, 0x80000000, v26
	v_xor_b32_e32 v13, v26, v13
	v_mov_b32_e32 v29, v21
	v_cmp_gt_u32_e64 s[8:9], v12, v13
	v_mov_b32_e32 v12, v19
	v_mov_b32_e32 v28, v20
	s_and_saveexec_b64 s[22:23], s[8:9]
; %bb.37:
	v_mov_b32_e32 v28, v34
	v_mov_b32_e32 v29, v35
	;; [unrolled: 1-line block ×6, first 2 shown]
; %bb.38:
	s_or_b64 exec, exec, s[22:23]
	v_add_f32_e32 v13, 0, v27
	v_ashrrev_i32_e32 v20, 31, v13
	v_add_f32_e32 v19, 0, v37
	v_or_b32_e32 v20, 0x80000000, v20
	v_xor_b32_e32 v13, v20, v13
	v_ashrrev_i32_e32 v20, 31, v19
	v_or_b32_e32 v20, 0x80000000, v20
	v_xor_b32_e32 v19, v20, v19
	v_cmp_gt_u32_e64 s[8:9], v13, v19
	v_mov_b32_e32 v19, v22
	v_mov_b32_e32 v20, v23
	v_mov_b32_e32 v52, v27
	s_and_saveexec_b64 s[22:23], s[8:9]
; %bb.39:
	v_mov_b32_e32 v20, v15
	v_mov_b32_e32 v19, v14
	v_mov_b32_e32 v14, v22
	v_mov_b32_e32 v15, v23
	v_mov_b32_e32 v52, v37
	v_mov_b32_e32 v37, v27
; %bb.40:
	s_or_b64 exec, exec, s[22:23]
	v_add_f32_e32 v13, 0, v18
	v_ashrrev_i32_e32 v22, 31, v13
	v_add_f32_e32 v21, 0, v36
	v_or_b32_e32 v22, 0x80000000, v22
	v_xor_b32_e32 v13, v22, v13
	v_ashrrev_i32_e32 v22, 31, v21
	v_or_b32_e32 v22, 0x80000000, v22
	v_xor_b32_e32 v21, v22, v21
	v_mov_b32_e32 v26, v30
	v_cmp_gt_u32_e64 s[8:9], v13, v21
	v_mov_b32_e32 v23, v36
	v_mov_b32_e32 v27, v31
	s_and_saveexec_b64 s[22:23], s[8:9]
; %bb.41:
	v_mov_b32_e32 v27, v5
	v_mov_b32_e32 v26, v4
	v_mov_b32_e32 v4, v30
	v_mov_b32_e32 v23, v18
	v_mov_b32_e32 v18, v36
	v_mov_b32_e32 v5, v31
; %bb.42:
	s_or_b64 exec, exec, s[22:23]
	v_add_f32_e32 v13, 0, v16
	v_ashrrev_i32_e32 v22, 31, v13
	v_add_f32_e32 v21, 0, v12
	v_or_b32_e32 v22, 0x80000000, v22
	v_xor_b32_e32 v13, v22, v13
	v_ashrrev_i32_e32 v22, 31, v21
	v_or_b32_e32 v22, 0x80000000, v22
	v_xor_b32_e32 v21, v22, v21
	v_mov_b32_e32 v30, v34
	v_cmp_gt_u32_e64 s[8:9], v13, v21
	v_mov_b32_e32 v53, v12
	v_mov_b32_e32 v31, v35
	;; [unrolled: 22-line block ×3, first 2 shown]
	s_and_saveexec_b64 s[22:23], s[8:9]
; %bb.45:
	v_mov_b32_e32 v21, v28
	v_mov_b32_e32 v22, v29
	;; [unrolled: 1-line block ×6, first 2 shown]
; %bb.46:
	s_or_b64 exec, exec, s[22:23]
	v_add_f32_e32 v12, 0, v37
	v_ashrrev_i32_e32 v14, 31, v12
	v_add_f32_e32 v13, 0, v17
	v_or_b32_e32 v14, 0x80000000, v14
	v_xor_b32_e32 v12, v14, v12
	v_ashrrev_i32_e32 v14, 31, v13
	v_or_b32_e32 v14, 0x80000000, v14
	v_xor_b32_e32 v13, v14, v13
	v_cmp_gt_u32_e64 s[8:9], v12, v13
	v_mov_b32_e32 v13, v9
	v_mov_b32_e32 v12, v8
	;; [unrolled: 1-line block ×3, first 2 shown]
	s_and_saveexec_b64 s[22:23], s[8:9]
; %bb.47:
	v_mov_b32_e32 v12, v19
	v_mov_b32_e32 v13, v20
	;; [unrolled: 1-line block ×6, first 2 shown]
; %bb.48:
	s_or_b64 exec, exec, s[22:23]
	v_add_f32_e32 v8, 0, v23
	v_ashrrev_i32_e32 v14, 31, v8
	v_add_f32_e32 v9, 0, v16
	v_or_b32_e32 v14, 0x80000000, v14
	v_xor_b32_e32 v8, v14, v8
	v_ashrrev_i32_e32 v14, 31, v9
	v_or_b32_e32 v14, 0x80000000, v14
	v_xor_b32_e32 v9, v14, v9
	v_mov_b32_e32 v33, v25
	v_cmp_gt_u32_e64 s[8:9], v8, v9
	v_mov_b32_e32 v51, v16
	v_mov_b32_e32 v32, v24
	s_and_saveexec_b64 s[22:23], s[8:9]
; %bb.49:
	v_mov_b32_e32 v33, v27
	v_mov_b32_e32 v32, v26
	;; [unrolled: 1-line block ×6, first 2 shown]
; %bb.50:
	s_or_b64 exec, exec, s[22:23]
	v_add_f32_e32 v8, 0, v53
	v_ashrrev_i32_e32 v14, 31, v8
	v_add_f32_e32 v9, 0, v54
	v_or_b32_e32 v14, 0x80000000, v14
	v_xor_b32_e32 v8, v14, v8
	v_ashrrev_i32_e32 v14, 31, v9
	v_or_b32_e32 v14, 0x80000000, v14
	v_xor_b32_e32 v9, v14, v9
	v_mov_b32_e32 v14, v28
	v_cmp_gt_u32_e64 s[8:9], v8, v9
	v_mov_b32_e32 v24, v53
	v_mov_b32_e32 v15, v29
	s_and_saveexec_b64 s[22:23], s[8:9]
; %bb.51:
	v_mov_b32_e32 v14, v30
	v_mov_b32_e32 v15, v31
	;; [unrolled: 1-line block ×6, first 2 shown]
; %bb.52:
	s_or_b64 exec, exec, s[22:23]
	v_add_f32_e32 v8, 0, v52
	v_ashrrev_i32_e32 v16, 31, v8
	v_add_f32_e32 v9, 0, v36
	v_or_b32_e32 v16, 0x80000000, v16
	v_xor_b32_e32 v8, v16, v8
	v_ashrrev_i32_e32 v16, 31, v9
	v_or_b32_e32 v16, 0x80000000, v16
	v_xor_b32_e32 v9, v16, v9
	v_cmp_gt_u32_e64 s[8:9], v8, v9
	v_mov_b32_e32 v8, v19
	v_mov_b32_e32 v9, v20
	;; [unrolled: 1-line block ×3, first 2 shown]
	s_and_saveexec_b64 s[22:23], s[8:9]
; %bb.53:
	v_mov_b32_e32 v8, v21
	v_mov_b32_e32 v9, v22
	v_mov_b32_e32 v22, v20
	v_mov_b32_e32 v21, v19
	v_mov_b32_e32 v53, v36
	v_mov_b32_e32 v36, v52
; %bb.54:
	s_or_b64 exec, exec, s[22:23]
	v_add_f32_e32 v16, 0, v18
	v_ashrrev_i32_e32 v20, 31, v16
	v_add_f32_e32 v19, 0, v23
	v_or_b32_e32 v20, 0x80000000, v20
	v_xor_b32_e32 v16, v20, v16
	v_ashrrev_i32_e32 v20, 31, v19
	v_or_b32_e32 v20, 0x80000000, v20
	v_xor_b32_e32 v19, v20, v19
	v_mov_b32_e32 v29, v27
	v_cmp_gt_u32_e64 s[8:9], v16, v19
	v_mov_b32_e32 v16, v23
	v_mov_b32_e32 v28, v26
	s_and_saveexec_b64 s[22:23], s[8:9]
; %bb.55:
	v_mov_b32_e32 v29, v5
	v_mov_b32_e32 v28, v4
	v_mov_b32_e32 v4, v26
	v_mov_b32_e32 v16, v18
	v_mov_b32_e32 v18, v23
	v_mov_b32_e32 v5, v27
; %bb.56:
	s_or_b64 exec, exec, s[22:23]
	v_add_f32_e32 v19, 0, v51
	v_ashrrev_i32_e32 v23, 31, v19
	v_add_f32_e32 v20, 0, v24
	v_or_b32_e32 v23, 0x80000000, v23
	v_xor_b32_e32 v19, v23, v19
	v_ashrrev_i32_e32 v23, 31, v20
	v_or_b32_e32 v23, 0x80000000, v23
	v_xor_b32_e32 v20, v23, v20
	v_mov_b32_e32 v35, v31
	v_cmp_gt_u32_e64 s[8:9], v19, v20
	v_mov_b32_e32 v19, v24
	v_mov_b32_e32 v34, v30
	;; [unrolled: 22-line block ×3, first 2 shown]
	s_and_saveexec_b64 s[22:23], s[8:9]
; %bb.59:
	v_mov_b32_e32 v25, v15
	v_mov_b32_e32 v24, v14
	;; [unrolled: 1-line block ×6, first 2 shown]
; %bb.60:
	s_or_b64 exec, exec, s[22:23]
	v_add_f32_e32 v20, 0, v36
	v_ashrrev_i32_e32 v22, 31, v20
	v_add_f32_e32 v21, 0, v17
	v_or_b32_e32 v22, 0x80000000, v22
	v_xor_b32_e32 v20, v22, v20
	v_ashrrev_i32_e32 v22, 31, v21
	v_or_b32_e32 v22, 0x80000000, v22
	v_xor_b32_e32 v21, v22, v21
	v_cmp_gt_u32_e64 s[8:9], v20, v21
	v_mov_b32_e32 v21, v13
	v_mov_b32_e32 v20, v12
	;; [unrolled: 1-line block ×3, first 2 shown]
	s_and_saveexec_b64 s[22:23], s[8:9]
; %bb.61:
	v_mov_b32_e32 v21, v9
	v_mov_b32_e32 v20, v8
	v_mov_b32_e32 v8, v12
	v_mov_b32_e32 v9, v13
	v_mov_b32_e32 v54, v17
	v_mov_b32_e32 v17, v36
; %bb.62:
	s_or_b64 exec, exec, s[22:23]
	v_add_f32_e32 v12, 0, v16
	v_ashrrev_i32_e32 v22, 31, v12
	v_add_f32_e32 v13, 0, v51
	v_or_b32_e32 v22, 0x80000000, v22
	v_xor_b32_e32 v12, v22, v12
	v_ashrrev_i32_e32 v22, 31, v13
	v_or_b32_e32 v22, 0x80000000, v22
	v_xor_b32_e32 v13, v22, v13
	v_mov_b32_e32 v37, v33
	v_cmp_gt_u32_e64 s[8:9], v12, v13
	v_mov_b32_e32 v52, v51
	v_mov_b32_e32 v36, v32
	s_and_saveexec_b64 s[22:23], s[8:9]
; %bb.63:
	v_mov_b32_e32 v37, v29
	v_mov_b32_e32 v36, v28
	v_mov_b32_e32 v28, v32
	v_mov_b32_e32 v52, v16
	v_mov_b32_e32 v16, v51
	v_mov_b32_e32 v29, v33
; %bb.64:
	s_or_b64 exec, exec, s[22:23]
	v_add_f32_e32 v12, 0, v19
	v_ashrrev_i32_e32 v22, 31, v12
	v_add_f32_e32 v13, 0, v55
	v_or_b32_e32 v22, 0x80000000, v22
	v_xor_b32_e32 v12, v22, v12
	v_ashrrev_i32_e32 v22, 31, v13
	v_or_b32_e32 v22, 0x80000000, v22
	v_xor_b32_e32 v13, v22, v13
	v_mov_b32_e32 v31, v15
	v_cmp_gt_u32_e64 s[8:9], v12, v13
	v_mov_b32_e32 v12, v19
	v_mov_b32_e32 v30, v14
	;; [unrolled: 22-line block ×3, first 2 shown]
	s_and_saveexec_b64 s[22:23], s[8:9]
; %bb.67:
	v_mov_b32_e32 v22, v24
	v_mov_b32_e32 v23, v25
	;; [unrolled: 1-line block ×6, first 2 shown]
; %bb.68:
	s_or_b64 exec, exec, s[22:23]
	v_add_f32_e32 v8, 0, v18
	v_ashrrev_i32_e32 v13, 31, v8
	v_add_f32_e32 v9, 0, v16
	v_or_b32_e32 v13, 0x80000000, v13
	v_xor_b32_e32 v8, v13, v8
	v_ashrrev_i32_e32 v13, 31, v9
	v_or_b32_e32 v13, 0x80000000, v13
	v_xor_b32_e32 v9, v13, v9
	v_cmp_gt_u32_e64 s[8:9], v8, v9
	v_mov_b32_e32 v8, v28
	v_mov_b32_e32 v19, v16
	;; [unrolled: 1-line block ×3, first 2 shown]
	s_and_saveexec_b64 s[22:23], s[8:9]
; %bb.69:
	v_mov_b32_e32 v9, v5
	v_mov_b32_e32 v8, v4
	;; [unrolled: 1-line block ×6, first 2 shown]
; %bb.70:
	s_or_b64 exec, exec, s[22:23]
	v_add_f32_e32 v13, 0, v52
	v_ashrrev_i32_e32 v15, 31, v13
	v_add_f32_e32 v14, 0, v12
	v_or_b32_e32 v15, 0x80000000, v15
	v_xor_b32_e32 v13, v15, v13
	v_ashrrev_i32_e32 v15, 31, v14
	v_or_b32_e32 v15, 0x80000000, v15
	v_xor_b32_e32 v14, v15, v14
	v_cmp_gt_u32_e64 s[8:9], v13, v14
	v_mov_b32_e32 v14, v34
	v_mov_b32_e32 v16, v12
	;; [unrolled: 1-line block ×3, first 2 shown]
	s_and_saveexec_b64 s[22:23], s[8:9]
; %bb.71:
	v_mov_b32_e32 v14, v36
	v_mov_b32_e32 v15, v37
	;; [unrolled: 1-line block ×6, first 2 shown]
; %bb.72:
	s_or_b64 exec, exec, s[22:23]
	v_add_f32_e32 v12, 0, v55
	v_ashrrev_i32_e32 v26, 31, v12
	v_add_f32_e32 v13, 0, v27
	v_or_b32_e32 v26, 0x80000000, v26
	v_xor_b32_e32 v12, v26, v12
	v_ashrrev_i32_e32 v26, 31, v13
	v_or_b32_e32 v26, 0x80000000, v26
	v_xor_b32_e32 v13, v26, v13
	v_mov_b32_e32 v35, v25
	v_cmp_gt_u32_e64 s[8:9], v12, v13
	v_mov_b32_e32 v34, v24
	v_mov_b32_e32 v26, v55
	s_and_saveexec_b64 s[22:23], s[8:9]
; %bb.73:
	v_mov_b32_e32 v35, v31
	v_mov_b32_e32 v34, v30
	;; [unrolled: 1-line block ×6, first 2 shown]
; %bb.74:
	s_or_b64 exec, exec, s[22:23]
	v_add_f32_e32 v12, 0, v54
	v_ashrrev_i32_e32 v24, 31, v12
	v_add_f32_e32 v13, 0, v17
	v_or_b32_e32 v24, 0x80000000, v24
	v_xor_b32_e32 v12, v24, v12
	v_ashrrev_i32_e32 v24, 31, v13
	v_or_b32_e32 v24, 0x80000000, v24
	v_xor_b32_e32 v13, v24, v13
	v_mov_b32_e32 v33, v21
	v_cmp_gt_u32_e64 s[8:9], v12, v13
	v_mov_b32_e32 v32, v20
	v_mov_b32_e32 v51, v54
	s_and_saveexec_b64 s[22:23], s[8:9]
; %bb.75:
	v_mov_b32_e32 v33, v23
	v_mov_b32_e32 v32, v22
	v_mov_b32_e32 v23, v21
	v_mov_b32_e32 v22, v20
	v_mov_b32_e32 v51, v17
	v_mov_b32_e32 v17, v54
; %bb.76:
	s_or_b64 exec, exec, s[22:23]
	v_add_f32_e32 v12, 0, v19
	v_ashrrev_i32_e32 v20, 31, v12
	v_add_f32_e32 v13, 0, v52
	v_or_b32_e32 v20, 0x80000000, v20
	v_xor_b32_e32 v12, v20, v12
	v_ashrrev_i32_e32 v20, 31, v13
	v_or_b32_e32 v20, 0x80000000, v20
	v_xor_b32_e32 v13, v20, v13
	v_cmp_gt_u32_e64 s[8:9], v12, v13
	v_mov_b32_e32 v12, v36
	v_mov_b32_e32 v28, v52
	v_mov_b32_e32 v13, v37
	s_and_saveexec_b64 s[22:23], s[8:9]
; %bb.77:
	v_mov_b32_e32 v13, v9
	v_mov_b32_e32 v12, v8
	v_mov_b32_e32 v8, v36
	v_mov_b32_e32 v28, v19
	v_mov_b32_e32 v19, v52
	v_mov_b32_e32 v9, v37
; %bb.78:
	s_or_b64 exec, exec, s[22:23]
	v_add_f32_e32 v20, 0, v16
	v_ashrrev_i32_e32 v24, 31, v20
	v_add_f32_e32 v21, 0, v26
	v_or_b32_e32 v24, 0x80000000, v24
	v_xor_b32_e32 v20, v24, v20
	v_ashrrev_i32_e32 v24, 31, v21
	v_or_b32_e32 v24, 0x80000000, v24
	v_xor_b32_e32 v21, v24, v21
	v_cmp_gt_u32_e64 s[8:9], v20, v21
	v_mov_b32_e32 v20, v30
	;; [unrolled: 22-line block ×3, first 2 shown]
	v_mov_b32_e32 v16, v51
	v_mov_b32_e32 v25, v35
	s_and_saveexec_b64 s[22:23], s[8:9]
; %bb.81:
	v_mov_b32_e32 v25, v23
	v_mov_b32_e32 v24, v22
	v_mov_b32_e32 v22, v34
	v_mov_b32_e32 v16, v27
	v_mov_b32_e32 v27, v51
	v_mov_b32_e32 v23, v35
; %bb.82:
	s_or_b64 exec, exec, s[22:23]
.LBB1442_83:
	s_or_b64 exec, exec, s[12:13]
	v_and_b32_e32 v30, 0xfffffe00, v50
	s_movk_i32 s8, 0x800
	v_lshlrev_b32_e32 v31, 2, v30
	v_sub_u32_e64 v34, s8, v30 clamp
	v_add_u32_e32 v30, v31, v31
	v_lshl_add_u32 v36, v49, 3, v30
	v_add_u32_e32 v37, 0x2000, v36
	v_lshl_add_u32 v35, v49, 2, v31
	ds_write2_b64 v37, v[4:5], v[8:9] offset1:1
	v_add_u32_e32 v37, 0x2010, v36
	ds_write2_b64 v35, v[18:19], v[28:29] offset1:1
	ds_write2_b64 v37, v[12:13], v[14:15] offset1:1
	v_add_u32_e32 v37, 0x2020, v36
	ds_write2_b64 v37, v[20:21], v[24:25] offset1:1
	v_add_u32_e32 v37, 0x2030, v36
	ds_write2_b64 v35, v[26:27], v[16:17] offset0:2 offset1:3
	ds_write2_b64 v37, v[22:23], v[32:33] offset1:1
	v_or_b32_e32 v37, 8, v49
	v_min_u32_e32 v37, v34, v37
	v_add_u32_e32 v50, 8, v37
	v_and_b32_e32 v53, 0x3f0, v49
	v_min_u32_e32 v50, v34, v50
	v_and_b32_e32 v51, 8, v49
	v_min_u32_e32 v54, v34, v51
	v_sub_u32_e32 v55, v37, v53
	v_sub_u32_e32 v52, v50, v37
	v_sub_u32_e64 v52, v54, v52 clamp
	v_min_u32_e32 v55, v54, v55
	v_lshl_add_u32 v51, v53, 2, v31
	v_cmp_lt_u32_e64 s[8:9], v52, v55
	; wave barrier
	s_and_saveexec_b64 s[12:13], s[8:9]
	s_cbranch_execz .LBB1442_87
; %bb.84:
	v_lshlrev_b32_e32 v64, 2, v37
	v_lshlrev_b32_e32 v65, 2, v54
	v_add3_u32 v64, v31, v64, v65
	s_mov_b64 s[22:23], 0
.LBB1442_85:                            ; =>This Inner Loop Header: Depth=1
	v_add_u32_e32 v65, v55, v52
	v_lshrrev_b32_e32 v65, 1, v65
	v_not_b32_e32 v66, v65
	v_lshl_add_u32 v67, v65, 2, v51
	v_lshl_add_u32 v66, v66, 2, v64
	ds_read_b32 v67, v67
	ds_read_b32 v66, v66
	v_add_u32_e32 v68, 1, v65
	s_waitcnt lgkmcnt(1)
	v_add_f32_e32 v67, 0, v67
	s_waitcnt lgkmcnt(0)
	v_add_f32_e32 v66, 0, v66
	v_ashrrev_i32_e32 v69, 31, v67
	v_or_b32_e32 v69, 0x80000000, v69
	v_ashrrev_i32_e32 v70, 31, v66
	v_xor_b32_e32 v67, v69, v67
	v_or_b32_e32 v69, 0x80000000, v70
	v_xor_b32_e32 v66, v69, v66
	v_cmp_gt_u32_e64 s[8:9], v67, v66
	v_cndmask_b32_e64 v55, v55, v65, s[8:9]
	v_cndmask_b32_e64 v52, v68, v52, s[8:9]
	v_cmp_ge_u32_e64 s[8:9], v52, v55
	s_or_b64 s[22:23], s[8:9], s[22:23]
	s_andn2_b64 exec, exec, s[22:23]
	s_cbranch_execnz .LBB1442_85
; %bb.86:
	s_or_b64 exec, exec, s[22:23]
.LBB1442_87:
	s_or_b64 exec, exec, s[12:13]
	v_add_u32_e32 v54, v37, v54
	v_add_u32_e32 v53, v52, v53
	v_sub_u32_e32 v54, v54, v52
	v_cmp_le_u32_e64 s[8:9], v53, v37
	v_cmp_le_u32_e64 s[12:13], v54, v50
	s_or_b64 s[8:9], s[8:9], s[12:13]
	s_and_saveexec_b64 s[22:23], s[8:9]
	s_cbranch_execz .LBB1442_123
; %bb.88:
	v_cmp_ge_u32_e64 s[8:9], v53, v37
	v_cmp_lt_u32_e64 s[12:13], v53, v37
                                        ; implicit-def: $vgpr17
	s_and_saveexec_b64 s[24:25], s[12:13]
; %bb.89:
	v_lshl_add_u32 v4, v52, 2, v51
	ds_read_b32 v17, v4
; %bb.90:
	s_or_b64 exec, exec, s[24:25]
	v_cmp_ge_u32_e64 s[24:25], v54, v50
	v_cmp_lt_u32_e64 s[12:13], v54, v50
                                        ; implicit-def: $vgpr18
	s_and_saveexec_b64 s[26:27], s[12:13]
; %bb.91:
	v_lshl_add_u32 v4, v54, 2, v31
	ds_read_b32 v18, v4
; %bb.92:
	s_or_b64 exec, exec, s[26:27]
	s_nor_b64 s[8:9], s[8:9], s[24:25]
	s_and_saveexec_b64 s[12:13], s[8:9]
	s_cbranch_execz .LBB1442_94
; %bb.93:
	s_waitcnt lgkmcnt(0)
	v_add_f32_e32 v4, 0, v17
	v_ashrrev_i32_e32 v8, 31, v4
	v_add_f32_e32 v5, 0, v18
	v_or_b32_e32 v8, 0x80000000, v8
	v_xor_b32_e32 v4, v8, v4
	v_ashrrev_i32_e32 v8, 31, v5
	v_or_b32_e32 v8, 0x80000000, v8
	v_xor_b32_e32 v5, v8, v5
	v_cmp_le_u32_e64 s[8:9], v4, v5
	s_andn2_b64 s[24:25], s[24:25], exec
	s_and_b64 s[8:9], s[8:9], exec
	s_or_b64 s[24:25], s[24:25], s[8:9]
.LBB1442_94:
	s_or_b64 exec, exec, s[12:13]
	v_cndmask_b32_e64 v4, v54, v53, s[24:25]
	v_cndmask_b32_e64 v5, v50, v37, s[24:25]
	v_add_u32_e32 v8, 1, v4
	v_add_u32_e32 v5, -1, v5
	v_min_u32_e32 v5, v8, v5
	v_lshl_add_u32 v5, v5, 2, v31
	ds_read_b32 v9, v5
	v_lshl_add_u32 v4, v4, 3, v30
	ds_read_b64 v[4:5], v4 offset:8192
	v_cndmask_b32_e64 v12, v8, v54, s[24:25]
	v_cndmask_b32_e64 v13, v53, v8, s[24:25]
	s_waitcnt lgkmcnt(1)
	v_cndmask_b32_e64 v19, v9, v18, s[24:25]
	v_cndmask_b32_e64 v51, v17, v9, s[24:25]
	v_cmp_lt_u32_e64 s[8:9], v12, v50
	s_mov_b64 s[26:27], -1
	s_mov_b64 s[12:13], -1
	s_and_saveexec_b64 s[28:29], s[8:9]
	s_cbranch_execz .LBB1442_98
; %bb.95:
	v_cmp_lt_u32_e64 s[8:9], v13, v37
	s_mov_b64 s[40:41], 0
	s_and_saveexec_b64 s[12:13], s[8:9]
	s_cbranch_execz .LBB1442_97
; %bb.96:
	v_add_f32_e32 v8, 0, v51
	v_ashrrev_i32_e32 v14, 31, v8
	v_add_f32_e32 v9, 0, v19
	v_or_b32_e32 v14, 0x80000000, v14
	v_xor_b32_e32 v8, v14, v8
	v_ashrrev_i32_e32 v14, 31, v9
	v_or_b32_e32 v14, 0x80000000, v14
	v_xor_b32_e32 v9, v14, v9
	v_cmp_le_u32_e64 s[8:9], v8, v9
	s_and_b64 s[40:41], s[8:9], exec
.LBB1442_97:
	s_or_b64 exec, exec, s[12:13]
	s_orn2_b64 s[12:13], s[40:41], exec
.LBB1442_98:
	s_or_b64 exec, exec, s[28:29]
	v_cndmask_b32_e64 v8, v12, v13, s[12:13]
	v_cndmask_b32_e64 v9, v50, v37, s[12:13]
	v_add_u32_e32 v15, 1, v8
	v_add_u32_e32 v9, -1, v9
	v_min_u32_e32 v9, v15, v9
	v_lshl_add_u32 v9, v9, 2, v31
	ds_read_b32 v14, v9
	v_lshl_add_u32 v8, v8, 3, v30
	ds_read_b64 v[8:9], v8 offset:8192
	s_waitcnt lgkmcnt(1)
	v_cndmask_b32_e64 v28, v14, v19, s[12:13]
	v_cndmask_b32_e64 v52, v51, v14, s[12:13]
	;; [unrolled: 1-line block ×4, first 2 shown]
	v_cmp_lt_u32_e64 s[8:9], v14, v50
	s_and_saveexec_b64 s[28:29], s[8:9]
	s_cbranch_execz .LBB1442_102
; %bb.99:
	v_cmp_lt_u32_e64 s[8:9], v15, v37
	s_mov_b64 s[40:41], 0
	s_and_saveexec_b64 s[26:27], s[8:9]
	s_cbranch_execz .LBB1442_101
; %bb.100:
	v_add_f32_e32 v12, 0, v52
	v_ashrrev_i32_e32 v16, 31, v12
	v_add_f32_e32 v13, 0, v28
	v_or_b32_e32 v16, 0x80000000, v16
	v_xor_b32_e32 v12, v16, v12
	v_ashrrev_i32_e32 v16, 31, v13
	v_or_b32_e32 v16, 0x80000000, v16
	v_xor_b32_e32 v13, v16, v13
	v_cmp_le_u32_e64 s[8:9], v12, v13
	s_and_b64 s[40:41], s[8:9], exec
.LBB1442_101:
	s_or_b64 exec, exec, s[26:27]
	s_orn2_b64 s[26:27], s[40:41], exec
.LBB1442_102:
	s_or_b64 exec, exec, s[28:29]
	v_cndmask_b32_e64 v12, v14, v15, s[26:27]
	v_cndmask_b32_e64 v13, v50, v37, s[26:27]
	v_add_u32_e32 v20, 1, v12
	v_add_u32_e32 v13, -1, v13
	v_min_u32_e32 v13, v20, v13
	v_lshl_add_u32 v13, v13, 2, v31
	ds_read_b32 v16, v13
	v_lshl_add_u32 v12, v12, 3, v30
	ds_read_b64 v[12:13], v12 offset:8192
	s_mov_b64 s[40:41], -1
	s_mov_b64 s[28:29], -1
	s_waitcnt lgkmcnt(1)
	v_cndmask_b32_e64 v29, v16, v28, s[26:27]
	v_cndmask_b32_e64 v32, v52, v16, s[26:27]
	;; [unrolled: 1-line block ×4, first 2 shown]
	v_cmp_lt_u32_e64 s[8:9], v16, v50
	s_and_saveexec_b64 s[42:43], s[8:9]
	s_cbranch_execz .LBB1442_106
; %bb.103:
	v_cmp_lt_u32_e64 s[8:9], v20, v37
	s_mov_b64 s[44:45], 0
	s_and_saveexec_b64 s[28:29], s[8:9]
	s_cbranch_execz .LBB1442_105
; %bb.104:
	v_add_f32_e32 v14, 0, v32
	v_ashrrev_i32_e32 v21, 31, v14
	v_add_f32_e32 v15, 0, v29
	v_or_b32_e32 v21, 0x80000000, v21
	v_xor_b32_e32 v14, v21, v14
	v_ashrrev_i32_e32 v21, 31, v15
	v_or_b32_e32 v21, 0x80000000, v21
	v_xor_b32_e32 v15, v21, v15
	v_cmp_le_u32_e64 s[8:9], v14, v15
	s_and_b64 s[44:45], s[8:9], exec
.LBB1442_105:
	s_or_b64 exec, exec, s[28:29]
	s_orn2_b64 s[28:29], s[44:45], exec
.LBB1442_106:
	s_or_b64 exec, exec, s[42:43]
	v_cndmask_b32_e64 v14, v16, v20, s[28:29]
	v_cndmask_b32_e64 v15, v50, v37, s[28:29]
	v_add_u32_e32 v21, 1, v14
	v_add_u32_e32 v15, -1, v15
	v_min_u32_e32 v15, v21, v15
	v_lshl_add_u32 v15, v15, 2, v31
	ds_read_b32 v22, v15
	v_lshl_add_u32 v14, v14, 3, v30
	ds_read_b64 v[14:15], v14 offset:8192
	v_cndmask_b32_e64 v16, v21, v16, s[28:29]
	v_cndmask_b32_e64 v23, v20, v21, s[28:29]
	s_waitcnt lgkmcnt(1)
	v_cndmask_b32_e64 v26, v22, v29, s[28:29]
	v_cndmask_b32_e64 v33, v32, v22, s[28:29]
	v_cmp_lt_u32_e64 s[8:9], v16, v50
	s_and_saveexec_b64 s[42:43], s[8:9]
	s_cbranch_execz .LBB1442_110
; %bb.107:
	v_cmp_lt_u32_e64 s[8:9], v23, v37
	s_mov_b64 s[44:45], 0
	s_and_saveexec_b64 s[40:41], s[8:9]
	s_cbranch_execz .LBB1442_109
; %bb.108:
	v_add_f32_e32 v20, 0, v33
	v_ashrrev_i32_e32 v22, 31, v20
	v_add_f32_e32 v21, 0, v26
	v_or_b32_e32 v22, 0x80000000, v22
	v_xor_b32_e32 v20, v22, v20
	v_ashrrev_i32_e32 v22, 31, v21
	v_or_b32_e32 v22, 0x80000000, v22
	v_xor_b32_e32 v21, v22, v21
	v_cmp_le_u32_e64 s[8:9], v20, v21
	s_and_b64 s[44:45], s[8:9], exec
.LBB1442_109:
	s_or_b64 exec, exec, s[40:41]
	s_orn2_b64 s[40:41], s[44:45], exec
.LBB1442_110:
	s_or_b64 exec, exec, s[42:43]
	v_cndmask_b32_e64 v20, v16, v23, s[40:41]
	v_cndmask_b32_e64 v21, v50, v37, s[40:41]
	v_add_u32_e32 v24, 1, v20
	v_add_u32_e32 v21, -1, v21
	v_min_u32_e32 v21, v24, v21
	v_lshl_add_u32 v21, v21, 2, v31
	ds_read_b32 v22, v21
	v_lshl_add_u32 v20, v20, 3, v30
	ds_read_b64 v[20:21], v20 offset:8192
	v_cndmask_b32_e64 v23, v23, v24, s[40:41]
	s_mov_b64 s[44:45], -1
	s_waitcnt lgkmcnt(1)
	v_cndmask_b32_e64 v27, v22, v26, s[40:41]
	v_cndmask_b32_e64 v53, v33, v22, s[40:41]
	;; [unrolled: 1-line block ×3, first 2 shown]
	v_cmp_lt_u32_e64 s[8:9], v22, v50
	s_mov_b64 s[42:43], -1
	s_and_saveexec_b64 s[46:47], s[8:9]
	s_cbranch_execz .LBB1442_114
; %bb.111:
	v_cmp_lt_u32_e64 s[8:9], v23, v37
	s_mov_b64 s[56:57], 0
	s_and_saveexec_b64 s[42:43], s[8:9]
	s_cbranch_execz .LBB1442_113
; %bb.112:
	v_add_f32_e32 v16, 0, v53
	v_ashrrev_i32_e32 v25, 31, v16
	v_add_f32_e32 v24, 0, v27
	v_or_b32_e32 v25, 0x80000000, v25
	v_xor_b32_e32 v16, v25, v16
	v_ashrrev_i32_e32 v25, 31, v24
	v_or_b32_e32 v25, 0x80000000, v25
	v_xor_b32_e32 v24, v25, v24
	v_cmp_le_u32_e64 s[8:9], v16, v24
	s_and_b64 s[56:57], s[8:9], exec
.LBB1442_113:
	s_or_b64 exec, exec, s[42:43]
	s_orn2_b64 s[42:43], s[56:57], exec
.LBB1442_114:
	s_or_b64 exec, exec, s[46:47]
	v_cndmask_b32_e64 v16, v22, v23, s[42:43]
	v_cndmask_b32_e64 v24, v50, v37, s[42:43]
	v_add_u32_e32 v55, 1, v16
	v_add_u32_e32 v24, -1, v24
	v_min_u32_e32 v24, v55, v24
	v_lshl_add_u32 v24, v24, 2, v31
	ds_read_b32 v54, v24
	v_lshl_add_u32 v16, v16, 3, v30
	ds_read_b64 v[24:25], v16 offset:8192
	v_cndmask_b32_e64 v65, v55, v22, s[42:43]
	v_cndmask_b32_e64 v66, v23, v55, s[42:43]
	s_waitcnt lgkmcnt(1)
	v_cndmask_b32_e64 v16, v54, v27, s[42:43]
	v_cndmask_b32_e64 v54, v53, v54, s[42:43]
	v_cmp_lt_u32_e64 s[8:9], v65, v50
	s_and_saveexec_b64 s[46:47], s[8:9]
	s_cbranch_execz .LBB1442_118
; %bb.115:
	v_cmp_lt_u32_e64 s[8:9], v66, v37
	s_mov_b64 s[56:57], 0
	s_and_saveexec_b64 s[44:45], s[8:9]
	s_cbranch_execz .LBB1442_117
; %bb.116:
	v_add_f32_e32 v22, 0, v54
	v_ashrrev_i32_e32 v55, 31, v22
	v_add_f32_e32 v23, 0, v16
	v_or_b32_e32 v55, 0x80000000, v55
	v_xor_b32_e32 v22, v55, v22
	v_ashrrev_i32_e32 v55, 31, v23
	v_or_b32_e32 v55, 0x80000000, v55
	v_xor_b32_e32 v23, v55, v23
	v_cmp_le_u32_e64 s[8:9], v22, v23
	s_and_b64 s[56:57], s[8:9], exec
.LBB1442_117:
	s_or_b64 exec, exec, s[44:45]
	s_orn2_b64 s[44:45], s[56:57], exec
.LBB1442_118:
	s_or_b64 exec, exec, s[46:47]
	v_cndmask_b32_e64 v22, v65, v66, s[44:45]
	v_cndmask_b32_e64 v23, v50, v37, s[44:45]
	v_add_u32_e32 v67, 1, v22
	v_add_u32_e32 v23, -1, v23
	v_min_u32_e32 v23, v67, v23
	v_lshl_add_u32 v23, v23, 2, v31
	ds_read_b32 v64, v23
	v_lshl_add_u32 v22, v22, 3, v30
	ds_read_b64 v[22:23], v22 offset:8192
	v_cndmask_b32_e64 v65, v67, v65, s[44:45]
	v_cndmask_b32_e64 v66, v66, v67, s[44:45]
	s_waitcnt lgkmcnt(1)
	v_cndmask_b32_e64 v55, v64, v16, s[44:45]
	v_cndmask_b32_e64 v64, v54, v64, s[44:45]
	v_cmp_lt_u32_e64 s[8:9], v65, v50
	s_mov_b64 s[56:57], -1
	s_and_saveexec_b64 s[46:47], s[8:9]
	s_cbranch_execz .LBB1442_122
; %bb.119:
	v_cmp_lt_u32_e64 s[8:9], v66, v37
	s_mov_b64 s[58:59], 0
	s_and_saveexec_b64 s[56:57], s[8:9]
	s_cbranch_execz .LBB1442_121
; %bb.120:
	v_add_f32_e32 v37, 0, v64
	v_ashrrev_i32_e32 v67, 31, v37
	v_add_f32_e32 v50, 0, v55
	v_or_b32_e32 v67, 0x80000000, v67
	v_xor_b32_e32 v37, v67, v37
	v_ashrrev_i32_e32 v67, 31, v50
	v_or_b32_e32 v67, 0x80000000, v67
	v_xor_b32_e32 v50, v67, v50
	v_cmp_le_u32_e64 s[8:9], v37, v50
	s_and_b64 s[58:59], s[8:9], exec
.LBB1442_121:
	s_or_b64 exec, exec, s[56:57]
	s_orn2_b64 s[56:57], s[58:59], exec
.LBB1442_122:
	s_or_b64 exec, exec, s[46:47]
	v_cndmask_b32_e64 v29, v29, v32, s[28:29]
	v_cndmask_b32_e64 v32, v65, v66, s[56:57]
	v_lshl_add_u32 v32, v32, 3, v30
	v_cndmask_b32_e64 v26, v26, v33, s[40:41]
	ds_read_b64 v[32:33], v32 offset:8192
	v_cndmask_b32_e64 v16, v16, v54, s[44:45]
	v_cndmask_b32_e64 v27, v27, v53, s[42:43]
	;; [unrolled: 1-line block ×6, first 2 shown]
.LBB1442_123:
	s_or_b64 exec, exec, s[22:23]
	v_add_u32_e32 v37, 0x2000, v36
	; wave barrier
	ds_write2_b64 v37, v[4:5], v[8:9] offset1:1
	v_add_u32_e32 v37, 0x2010, v36
	ds_write2_b64 v35, v[18:19], v[28:29] offset1:1
	ds_write2_b64 v37, v[12:13], v[14:15] offset1:1
	v_add_u32_e32 v37, 0x2020, v36
	ds_write2_b64 v37, v[20:21], v[24:25] offset1:1
	v_add_u32_e32 v37, 0x2030, v36
	v_and_b32_e32 v53, 0x3e0, v49
	ds_write2_b64 v35, v[26:27], v[16:17] offset0:2 offset1:3
	s_waitcnt lgkmcnt(5)
	ds_write2_b64 v37, v[22:23], v[32:33] offset1:1
	v_or_b32_e32 v37, 16, v53
	v_min_u32_e32 v37, v34, v37
	v_add_u32_e32 v50, 16, v37
	v_min_u32_e32 v50, v34, v50
	v_and_b32_e32 v51, 24, v49
	v_min_u32_e32 v54, v34, v51
	v_sub_u32_e32 v55, v37, v53
	v_sub_u32_e32 v52, v50, v37
	v_sub_u32_e64 v52, v54, v52 clamp
	v_min_u32_e32 v55, v54, v55
	v_lshl_add_u32 v51, v53, 2, v31
	v_cmp_lt_u32_e64 s[8:9], v52, v55
	; wave barrier
	s_and_saveexec_b64 s[12:13], s[8:9]
	s_cbranch_execz .LBB1442_127
; %bb.124:
	v_lshlrev_b32_e32 v64, 2, v37
	v_lshlrev_b32_e32 v65, 2, v54
	v_add3_u32 v64, v31, v64, v65
	s_mov_b64 s[22:23], 0
.LBB1442_125:                           ; =>This Inner Loop Header: Depth=1
	v_add_u32_e32 v65, v55, v52
	v_lshrrev_b32_e32 v65, 1, v65
	v_not_b32_e32 v66, v65
	v_lshl_add_u32 v67, v65, 2, v51
	v_lshl_add_u32 v66, v66, 2, v64
	ds_read_b32 v67, v67
	ds_read_b32 v66, v66
	v_add_u32_e32 v68, 1, v65
	s_waitcnt lgkmcnt(1)
	v_add_f32_e32 v67, 0, v67
	s_waitcnt lgkmcnt(0)
	v_add_f32_e32 v66, 0, v66
	v_ashrrev_i32_e32 v69, 31, v67
	v_or_b32_e32 v69, 0x80000000, v69
	v_ashrrev_i32_e32 v70, 31, v66
	v_xor_b32_e32 v67, v69, v67
	v_or_b32_e32 v69, 0x80000000, v70
	v_xor_b32_e32 v66, v69, v66
	v_cmp_gt_u32_e64 s[8:9], v67, v66
	v_cndmask_b32_e64 v55, v55, v65, s[8:9]
	v_cndmask_b32_e64 v52, v68, v52, s[8:9]
	v_cmp_ge_u32_e64 s[8:9], v52, v55
	s_or_b64 s[22:23], s[8:9], s[22:23]
	s_andn2_b64 exec, exec, s[22:23]
	s_cbranch_execnz .LBB1442_125
; %bb.126:
	s_or_b64 exec, exec, s[22:23]
.LBB1442_127:
	s_or_b64 exec, exec, s[12:13]
	v_add_u32_e32 v54, v37, v54
	v_add_u32_e32 v53, v52, v53
	v_sub_u32_e32 v54, v54, v52
	v_cmp_le_u32_e64 s[8:9], v53, v37
	v_cmp_le_u32_e64 s[12:13], v54, v50
	s_or_b64 s[8:9], s[8:9], s[12:13]
	s_and_saveexec_b64 s[22:23], s[8:9]
	s_cbranch_execz .LBB1442_163
; %bb.128:
	v_cmp_ge_u32_e64 s[8:9], v53, v37
	v_cmp_lt_u32_e64 s[12:13], v53, v37
                                        ; implicit-def: $vgpr17
	s_and_saveexec_b64 s[24:25], s[12:13]
; %bb.129:
	v_lshl_add_u32 v4, v52, 2, v51
	ds_read_b32 v17, v4
; %bb.130:
	s_or_b64 exec, exec, s[24:25]
	v_cmp_ge_u32_e64 s[24:25], v54, v50
	v_cmp_lt_u32_e64 s[12:13], v54, v50
                                        ; implicit-def: $vgpr18
	s_and_saveexec_b64 s[26:27], s[12:13]
; %bb.131:
	v_lshl_add_u32 v4, v54, 2, v31
	ds_read_b32 v18, v4
; %bb.132:
	s_or_b64 exec, exec, s[26:27]
	s_nor_b64 s[8:9], s[8:9], s[24:25]
	s_and_saveexec_b64 s[12:13], s[8:9]
	s_cbranch_execz .LBB1442_134
; %bb.133:
	s_waitcnt lgkmcnt(0)
	v_add_f32_e32 v4, 0, v17
	v_ashrrev_i32_e32 v8, 31, v4
	v_add_f32_e32 v5, 0, v18
	v_or_b32_e32 v8, 0x80000000, v8
	v_xor_b32_e32 v4, v8, v4
	v_ashrrev_i32_e32 v8, 31, v5
	v_or_b32_e32 v8, 0x80000000, v8
	v_xor_b32_e32 v5, v8, v5
	v_cmp_le_u32_e64 s[8:9], v4, v5
	s_andn2_b64 s[24:25], s[24:25], exec
	s_and_b64 s[8:9], s[8:9], exec
	s_or_b64 s[24:25], s[24:25], s[8:9]
.LBB1442_134:
	s_or_b64 exec, exec, s[12:13]
	v_cndmask_b32_e64 v4, v54, v53, s[24:25]
	v_cndmask_b32_e64 v5, v50, v37, s[24:25]
	v_add_u32_e32 v8, 1, v4
	v_add_u32_e32 v5, -1, v5
	v_min_u32_e32 v5, v8, v5
	v_lshl_add_u32 v5, v5, 2, v31
	ds_read_b32 v9, v5
	v_lshl_add_u32 v4, v4, 3, v30
	ds_read_b64 v[4:5], v4 offset:8192
	v_cndmask_b32_e64 v12, v8, v54, s[24:25]
	v_cndmask_b32_e64 v13, v53, v8, s[24:25]
	s_waitcnt lgkmcnt(1)
	v_cndmask_b32_e64 v19, v9, v18, s[24:25]
	v_cndmask_b32_e64 v51, v17, v9, s[24:25]
	v_cmp_lt_u32_e64 s[8:9], v12, v50
	s_mov_b64 s[26:27], -1
	s_mov_b64 s[12:13], -1
	s_and_saveexec_b64 s[28:29], s[8:9]
	s_cbranch_execz .LBB1442_138
; %bb.135:
	v_cmp_lt_u32_e64 s[8:9], v13, v37
	s_mov_b64 s[40:41], 0
	s_and_saveexec_b64 s[12:13], s[8:9]
	s_cbranch_execz .LBB1442_137
; %bb.136:
	v_add_f32_e32 v8, 0, v51
	v_ashrrev_i32_e32 v14, 31, v8
	v_add_f32_e32 v9, 0, v19
	v_or_b32_e32 v14, 0x80000000, v14
	v_xor_b32_e32 v8, v14, v8
	v_ashrrev_i32_e32 v14, 31, v9
	v_or_b32_e32 v14, 0x80000000, v14
	v_xor_b32_e32 v9, v14, v9
	v_cmp_le_u32_e64 s[8:9], v8, v9
	s_and_b64 s[40:41], s[8:9], exec
.LBB1442_137:
	s_or_b64 exec, exec, s[12:13]
	s_orn2_b64 s[12:13], s[40:41], exec
.LBB1442_138:
	s_or_b64 exec, exec, s[28:29]
	v_cndmask_b32_e64 v8, v12, v13, s[12:13]
	v_cndmask_b32_e64 v9, v50, v37, s[12:13]
	v_add_u32_e32 v15, 1, v8
	v_add_u32_e32 v9, -1, v9
	v_min_u32_e32 v9, v15, v9
	v_lshl_add_u32 v9, v9, 2, v31
	ds_read_b32 v14, v9
	v_lshl_add_u32 v8, v8, 3, v30
	ds_read_b64 v[8:9], v8 offset:8192
	s_waitcnt lgkmcnt(1)
	v_cndmask_b32_e64 v28, v14, v19, s[12:13]
	v_cndmask_b32_e64 v52, v51, v14, s[12:13]
	;; [unrolled: 1-line block ×4, first 2 shown]
	v_cmp_lt_u32_e64 s[8:9], v14, v50
	s_and_saveexec_b64 s[28:29], s[8:9]
	s_cbranch_execz .LBB1442_142
; %bb.139:
	v_cmp_lt_u32_e64 s[8:9], v15, v37
	s_mov_b64 s[40:41], 0
	s_and_saveexec_b64 s[26:27], s[8:9]
	s_cbranch_execz .LBB1442_141
; %bb.140:
	v_add_f32_e32 v12, 0, v52
	v_ashrrev_i32_e32 v16, 31, v12
	v_add_f32_e32 v13, 0, v28
	v_or_b32_e32 v16, 0x80000000, v16
	v_xor_b32_e32 v12, v16, v12
	v_ashrrev_i32_e32 v16, 31, v13
	v_or_b32_e32 v16, 0x80000000, v16
	v_xor_b32_e32 v13, v16, v13
	v_cmp_le_u32_e64 s[8:9], v12, v13
	s_and_b64 s[40:41], s[8:9], exec
.LBB1442_141:
	s_or_b64 exec, exec, s[26:27]
	s_orn2_b64 s[26:27], s[40:41], exec
.LBB1442_142:
	s_or_b64 exec, exec, s[28:29]
	v_cndmask_b32_e64 v12, v14, v15, s[26:27]
	v_cndmask_b32_e64 v13, v50, v37, s[26:27]
	v_add_u32_e32 v20, 1, v12
	v_add_u32_e32 v13, -1, v13
	v_min_u32_e32 v13, v20, v13
	v_lshl_add_u32 v13, v13, 2, v31
	ds_read_b32 v16, v13
	v_lshl_add_u32 v12, v12, 3, v30
	ds_read_b64 v[12:13], v12 offset:8192
	s_mov_b64 s[40:41], -1
	s_mov_b64 s[28:29], -1
	s_waitcnt lgkmcnt(1)
	v_cndmask_b32_e64 v29, v16, v28, s[26:27]
	v_cndmask_b32_e64 v32, v52, v16, s[26:27]
	;; [unrolled: 1-line block ×4, first 2 shown]
	v_cmp_lt_u32_e64 s[8:9], v16, v50
	s_and_saveexec_b64 s[42:43], s[8:9]
	s_cbranch_execz .LBB1442_146
; %bb.143:
	v_cmp_lt_u32_e64 s[8:9], v20, v37
	s_mov_b64 s[44:45], 0
	s_and_saveexec_b64 s[28:29], s[8:9]
	s_cbranch_execz .LBB1442_145
; %bb.144:
	v_add_f32_e32 v14, 0, v32
	v_ashrrev_i32_e32 v21, 31, v14
	v_add_f32_e32 v15, 0, v29
	v_or_b32_e32 v21, 0x80000000, v21
	v_xor_b32_e32 v14, v21, v14
	v_ashrrev_i32_e32 v21, 31, v15
	v_or_b32_e32 v21, 0x80000000, v21
	v_xor_b32_e32 v15, v21, v15
	v_cmp_le_u32_e64 s[8:9], v14, v15
	s_and_b64 s[44:45], s[8:9], exec
.LBB1442_145:
	s_or_b64 exec, exec, s[28:29]
	s_orn2_b64 s[28:29], s[44:45], exec
.LBB1442_146:
	s_or_b64 exec, exec, s[42:43]
	v_cndmask_b32_e64 v14, v16, v20, s[28:29]
	v_cndmask_b32_e64 v15, v50, v37, s[28:29]
	v_add_u32_e32 v21, 1, v14
	v_add_u32_e32 v15, -1, v15
	v_min_u32_e32 v15, v21, v15
	v_lshl_add_u32 v15, v15, 2, v31
	ds_read_b32 v22, v15
	v_lshl_add_u32 v14, v14, 3, v30
	ds_read_b64 v[14:15], v14 offset:8192
	v_cndmask_b32_e64 v16, v21, v16, s[28:29]
	v_cndmask_b32_e64 v23, v20, v21, s[28:29]
	s_waitcnt lgkmcnt(1)
	v_cndmask_b32_e64 v26, v22, v29, s[28:29]
	v_cndmask_b32_e64 v33, v32, v22, s[28:29]
	v_cmp_lt_u32_e64 s[8:9], v16, v50
	s_and_saveexec_b64 s[42:43], s[8:9]
	s_cbranch_execz .LBB1442_150
; %bb.147:
	v_cmp_lt_u32_e64 s[8:9], v23, v37
	s_mov_b64 s[44:45], 0
	s_and_saveexec_b64 s[40:41], s[8:9]
	s_cbranch_execz .LBB1442_149
; %bb.148:
	v_add_f32_e32 v20, 0, v33
	v_ashrrev_i32_e32 v22, 31, v20
	v_add_f32_e32 v21, 0, v26
	v_or_b32_e32 v22, 0x80000000, v22
	v_xor_b32_e32 v20, v22, v20
	v_ashrrev_i32_e32 v22, 31, v21
	v_or_b32_e32 v22, 0x80000000, v22
	v_xor_b32_e32 v21, v22, v21
	v_cmp_le_u32_e64 s[8:9], v20, v21
	s_and_b64 s[44:45], s[8:9], exec
.LBB1442_149:
	s_or_b64 exec, exec, s[40:41]
	s_orn2_b64 s[40:41], s[44:45], exec
.LBB1442_150:
	s_or_b64 exec, exec, s[42:43]
	v_cndmask_b32_e64 v20, v16, v23, s[40:41]
	v_cndmask_b32_e64 v21, v50, v37, s[40:41]
	v_add_u32_e32 v24, 1, v20
	v_add_u32_e32 v21, -1, v21
	v_min_u32_e32 v21, v24, v21
	v_lshl_add_u32 v21, v21, 2, v31
	ds_read_b32 v22, v21
	v_lshl_add_u32 v20, v20, 3, v30
	ds_read_b64 v[20:21], v20 offset:8192
	v_cndmask_b32_e64 v23, v23, v24, s[40:41]
	s_mov_b64 s[44:45], -1
	s_waitcnt lgkmcnt(1)
	v_cndmask_b32_e64 v27, v22, v26, s[40:41]
	v_cndmask_b32_e64 v53, v33, v22, s[40:41]
	;; [unrolled: 1-line block ×3, first 2 shown]
	v_cmp_lt_u32_e64 s[8:9], v22, v50
	s_mov_b64 s[42:43], -1
	s_and_saveexec_b64 s[46:47], s[8:9]
	s_cbranch_execz .LBB1442_154
; %bb.151:
	v_cmp_lt_u32_e64 s[8:9], v23, v37
	s_mov_b64 s[56:57], 0
	s_and_saveexec_b64 s[42:43], s[8:9]
	s_cbranch_execz .LBB1442_153
; %bb.152:
	v_add_f32_e32 v16, 0, v53
	v_ashrrev_i32_e32 v25, 31, v16
	v_add_f32_e32 v24, 0, v27
	v_or_b32_e32 v25, 0x80000000, v25
	v_xor_b32_e32 v16, v25, v16
	v_ashrrev_i32_e32 v25, 31, v24
	v_or_b32_e32 v25, 0x80000000, v25
	v_xor_b32_e32 v24, v25, v24
	v_cmp_le_u32_e64 s[8:9], v16, v24
	s_and_b64 s[56:57], s[8:9], exec
.LBB1442_153:
	s_or_b64 exec, exec, s[42:43]
	s_orn2_b64 s[42:43], s[56:57], exec
.LBB1442_154:
	s_or_b64 exec, exec, s[46:47]
	v_cndmask_b32_e64 v16, v22, v23, s[42:43]
	v_cndmask_b32_e64 v24, v50, v37, s[42:43]
	v_add_u32_e32 v55, 1, v16
	v_add_u32_e32 v24, -1, v24
	v_min_u32_e32 v24, v55, v24
	v_lshl_add_u32 v24, v24, 2, v31
	ds_read_b32 v54, v24
	v_lshl_add_u32 v16, v16, 3, v30
	ds_read_b64 v[24:25], v16 offset:8192
	v_cndmask_b32_e64 v65, v55, v22, s[42:43]
	v_cndmask_b32_e64 v66, v23, v55, s[42:43]
	s_waitcnt lgkmcnt(1)
	v_cndmask_b32_e64 v16, v54, v27, s[42:43]
	v_cndmask_b32_e64 v54, v53, v54, s[42:43]
	v_cmp_lt_u32_e64 s[8:9], v65, v50
	s_and_saveexec_b64 s[46:47], s[8:9]
	s_cbranch_execz .LBB1442_158
; %bb.155:
	v_cmp_lt_u32_e64 s[8:9], v66, v37
	s_mov_b64 s[56:57], 0
	s_and_saveexec_b64 s[44:45], s[8:9]
	s_cbranch_execz .LBB1442_157
; %bb.156:
	v_add_f32_e32 v22, 0, v54
	v_ashrrev_i32_e32 v55, 31, v22
	v_add_f32_e32 v23, 0, v16
	v_or_b32_e32 v55, 0x80000000, v55
	v_xor_b32_e32 v22, v55, v22
	v_ashrrev_i32_e32 v55, 31, v23
	v_or_b32_e32 v55, 0x80000000, v55
	v_xor_b32_e32 v23, v55, v23
	v_cmp_le_u32_e64 s[8:9], v22, v23
	s_and_b64 s[56:57], s[8:9], exec
.LBB1442_157:
	s_or_b64 exec, exec, s[44:45]
	s_orn2_b64 s[44:45], s[56:57], exec
.LBB1442_158:
	s_or_b64 exec, exec, s[46:47]
	v_cndmask_b32_e64 v22, v65, v66, s[44:45]
	v_cndmask_b32_e64 v23, v50, v37, s[44:45]
	v_add_u32_e32 v67, 1, v22
	v_add_u32_e32 v23, -1, v23
	v_min_u32_e32 v23, v67, v23
	v_lshl_add_u32 v23, v23, 2, v31
	ds_read_b32 v64, v23
	v_lshl_add_u32 v22, v22, 3, v30
	ds_read_b64 v[22:23], v22 offset:8192
	v_cndmask_b32_e64 v65, v67, v65, s[44:45]
	v_cndmask_b32_e64 v66, v66, v67, s[44:45]
	s_waitcnt lgkmcnt(1)
	v_cndmask_b32_e64 v55, v64, v16, s[44:45]
	v_cndmask_b32_e64 v64, v54, v64, s[44:45]
	v_cmp_lt_u32_e64 s[8:9], v65, v50
	s_mov_b64 s[56:57], -1
	s_and_saveexec_b64 s[46:47], s[8:9]
	s_cbranch_execz .LBB1442_162
; %bb.159:
	v_cmp_lt_u32_e64 s[8:9], v66, v37
	s_mov_b64 s[58:59], 0
	s_and_saveexec_b64 s[56:57], s[8:9]
	s_cbranch_execz .LBB1442_161
; %bb.160:
	v_add_f32_e32 v37, 0, v64
	v_ashrrev_i32_e32 v67, 31, v37
	v_add_f32_e32 v50, 0, v55
	v_or_b32_e32 v67, 0x80000000, v67
	v_xor_b32_e32 v37, v67, v37
	v_ashrrev_i32_e32 v67, 31, v50
	v_or_b32_e32 v67, 0x80000000, v67
	v_xor_b32_e32 v50, v67, v50
	v_cmp_le_u32_e64 s[8:9], v37, v50
	s_and_b64 s[58:59], s[8:9], exec
.LBB1442_161:
	s_or_b64 exec, exec, s[56:57]
	s_orn2_b64 s[56:57], s[58:59], exec
.LBB1442_162:
	s_or_b64 exec, exec, s[46:47]
	v_cndmask_b32_e64 v29, v29, v32, s[28:29]
	v_cndmask_b32_e64 v32, v65, v66, s[56:57]
	v_lshl_add_u32 v32, v32, 3, v30
	v_cndmask_b32_e64 v26, v26, v33, s[40:41]
	ds_read_b64 v[32:33], v32 offset:8192
	v_cndmask_b32_e64 v16, v16, v54, s[44:45]
	v_cndmask_b32_e64 v27, v27, v53, s[42:43]
	;; [unrolled: 1-line block ×6, first 2 shown]
.LBB1442_163:
	s_or_b64 exec, exec, s[22:23]
	v_add_u32_e32 v37, 0x2000, v36
	; wave barrier
	ds_write2_b64 v37, v[4:5], v[8:9] offset1:1
	v_add_u32_e32 v37, 0x2010, v36
	ds_write2_b64 v35, v[18:19], v[28:29] offset1:1
	ds_write2_b64 v37, v[12:13], v[14:15] offset1:1
	v_add_u32_e32 v37, 0x2020, v36
	ds_write2_b64 v37, v[20:21], v[24:25] offset1:1
	v_add_u32_e32 v37, 0x2030, v36
	v_and_b32_e32 v53, 0x3c0, v49
	ds_write2_b64 v35, v[26:27], v[16:17] offset0:2 offset1:3
	s_waitcnt lgkmcnt(5)
	ds_write2_b64 v37, v[22:23], v[32:33] offset1:1
	v_or_b32_e32 v37, 32, v53
	v_min_u32_e32 v37, v34, v37
	v_add_u32_e32 v50, 32, v37
	v_min_u32_e32 v50, v34, v50
	v_and_b32_e32 v51, 56, v49
	v_min_u32_e32 v54, v34, v51
	v_sub_u32_e32 v55, v37, v53
	v_sub_u32_e32 v52, v50, v37
	v_sub_u32_e64 v52, v54, v52 clamp
	v_min_u32_e32 v55, v54, v55
	v_lshl_add_u32 v51, v53, 2, v31
	v_cmp_lt_u32_e64 s[8:9], v52, v55
	; wave barrier
	s_and_saveexec_b64 s[12:13], s[8:9]
	s_cbranch_execz .LBB1442_167
; %bb.164:
	v_lshlrev_b32_e32 v64, 2, v37
	v_lshlrev_b32_e32 v65, 2, v54
	v_add3_u32 v64, v31, v64, v65
	s_mov_b64 s[22:23], 0
.LBB1442_165:                           ; =>This Inner Loop Header: Depth=1
	v_add_u32_e32 v65, v55, v52
	v_lshrrev_b32_e32 v65, 1, v65
	v_not_b32_e32 v66, v65
	v_lshl_add_u32 v67, v65, 2, v51
	v_lshl_add_u32 v66, v66, 2, v64
	ds_read_b32 v67, v67
	ds_read_b32 v66, v66
	v_add_u32_e32 v68, 1, v65
	s_waitcnt lgkmcnt(1)
	v_add_f32_e32 v67, 0, v67
	s_waitcnt lgkmcnt(0)
	v_add_f32_e32 v66, 0, v66
	v_ashrrev_i32_e32 v69, 31, v67
	v_or_b32_e32 v69, 0x80000000, v69
	v_ashrrev_i32_e32 v70, 31, v66
	v_xor_b32_e32 v67, v69, v67
	v_or_b32_e32 v69, 0x80000000, v70
	v_xor_b32_e32 v66, v69, v66
	v_cmp_gt_u32_e64 s[8:9], v67, v66
	v_cndmask_b32_e64 v55, v55, v65, s[8:9]
	v_cndmask_b32_e64 v52, v68, v52, s[8:9]
	v_cmp_ge_u32_e64 s[8:9], v52, v55
	s_or_b64 s[22:23], s[8:9], s[22:23]
	s_andn2_b64 exec, exec, s[22:23]
	s_cbranch_execnz .LBB1442_165
; %bb.166:
	s_or_b64 exec, exec, s[22:23]
.LBB1442_167:
	s_or_b64 exec, exec, s[12:13]
	v_add_u32_e32 v54, v37, v54
	v_add_u32_e32 v53, v52, v53
	v_sub_u32_e32 v54, v54, v52
	v_cmp_le_u32_e64 s[8:9], v53, v37
	v_cmp_le_u32_e64 s[12:13], v54, v50
	s_or_b64 s[8:9], s[8:9], s[12:13]
	s_and_saveexec_b64 s[22:23], s[8:9]
	s_cbranch_execz .LBB1442_203
; %bb.168:
	v_cmp_ge_u32_e64 s[8:9], v53, v37
	v_cmp_lt_u32_e64 s[12:13], v53, v37
                                        ; implicit-def: $vgpr17
	s_and_saveexec_b64 s[24:25], s[12:13]
; %bb.169:
	v_lshl_add_u32 v4, v52, 2, v51
	ds_read_b32 v17, v4
; %bb.170:
	s_or_b64 exec, exec, s[24:25]
	v_cmp_ge_u32_e64 s[24:25], v54, v50
	v_cmp_lt_u32_e64 s[12:13], v54, v50
                                        ; implicit-def: $vgpr18
	s_and_saveexec_b64 s[26:27], s[12:13]
; %bb.171:
	v_lshl_add_u32 v4, v54, 2, v31
	ds_read_b32 v18, v4
; %bb.172:
	s_or_b64 exec, exec, s[26:27]
	s_nor_b64 s[8:9], s[8:9], s[24:25]
	s_and_saveexec_b64 s[12:13], s[8:9]
	s_cbranch_execz .LBB1442_174
; %bb.173:
	s_waitcnt lgkmcnt(0)
	v_add_f32_e32 v4, 0, v17
	v_ashrrev_i32_e32 v8, 31, v4
	v_add_f32_e32 v5, 0, v18
	v_or_b32_e32 v8, 0x80000000, v8
	v_xor_b32_e32 v4, v8, v4
	v_ashrrev_i32_e32 v8, 31, v5
	v_or_b32_e32 v8, 0x80000000, v8
	v_xor_b32_e32 v5, v8, v5
	v_cmp_le_u32_e64 s[8:9], v4, v5
	s_andn2_b64 s[24:25], s[24:25], exec
	s_and_b64 s[8:9], s[8:9], exec
	s_or_b64 s[24:25], s[24:25], s[8:9]
.LBB1442_174:
	s_or_b64 exec, exec, s[12:13]
	v_cndmask_b32_e64 v4, v54, v53, s[24:25]
	v_cndmask_b32_e64 v5, v50, v37, s[24:25]
	v_add_u32_e32 v8, 1, v4
	v_add_u32_e32 v5, -1, v5
	v_min_u32_e32 v5, v8, v5
	v_lshl_add_u32 v5, v5, 2, v31
	ds_read_b32 v9, v5
	v_lshl_add_u32 v4, v4, 3, v30
	ds_read_b64 v[4:5], v4 offset:8192
	v_cndmask_b32_e64 v12, v8, v54, s[24:25]
	v_cndmask_b32_e64 v13, v53, v8, s[24:25]
	s_waitcnt lgkmcnt(1)
	v_cndmask_b32_e64 v19, v9, v18, s[24:25]
	v_cndmask_b32_e64 v51, v17, v9, s[24:25]
	v_cmp_lt_u32_e64 s[8:9], v12, v50
	s_mov_b64 s[26:27], -1
	s_mov_b64 s[12:13], -1
	s_and_saveexec_b64 s[28:29], s[8:9]
	s_cbranch_execz .LBB1442_178
; %bb.175:
	v_cmp_lt_u32_e64 s[8:9], v13, v37
	s_mov_b64 s[40:41], 0
	s_and_saveexec_b64 s[12:13], s[8:9]
	s_cbranch_execz .LBB1442_177
; %bb.176:
	v_add_f32_e32 v8, 0, v51
	v_ashrrev_i32_e32 v14, 31, v8
	v_add_f32_e32 v9, 0, v19
	v_or_b32_e32 v14, 0x80000000, v14
	v_xor_b32_e32 v8, v14, v8
	v_ashrrev_i32_e32 v14, 31, v9
	v_or_b32_e32 v14, 0x80000000, v14
	v_xor_b32_e32 v9, v14, v9
	v_cmp_le_u32_e64 s[8:9], v8, v9
	s_and_b64 s[40:41], s[8:9], exec
.LBB1442_177:
	s_or_b64 exec, exec, s[12:13]
	s_orn2_b64 s[12:13], s[40:41], exec
.LBB1442_178:
	s_or_b64 exec, exec, s[28:29]
	v_cndmask_b32_e64 v8, v12, v13, s[12:13]
	v_cndmask_b32_e64 v9, v50, v37, s[12:13]
	v_add_u32_e32 v15, 1, v8
	v_add_u32_e32 v9, -1, v9
	v_min_u32_e32 v9, v15, v9
	v_lshl_add_u32 v9, v9, 2, v31
	ds_read_b32 v14, v9
	v_lshl_add_u32 v8, v8, 3, v30
	ds_read_b64 v[8:9], v8 offset:8192
	s_waitcnt lgkmcnt(1)
	v_cndmask_b32_e64 v28, v14, v19, s[12:13]
	v_cndmask_b32_e64 v52, v51, v14, s[12:13]
	;; [unrolled: 1-line block ×4, first 2 shown]
	v_cmp_lt_u32_e64 s[8:9], v14, v50
	s_and_saveexec_b64 s[28:29], s[8:9]
	s_cbranch_execz .LBB1442_182
; %bb.179:
	v_cmp_lt_u32_e64 s[8:9], v15, v37
	s_mov_b64 s[40:41], 0
	s_and_saveexec_b64 s[26:27], s[8:9]
	s_cbranch_execz .LBB1442_181
; %bb.180:
	v_add_f32_e32 v12, 0, v52
	v_ashrrev_i32_e32 v16, 31, v12
	v_add_f32_e32 v13, 0, v28
	v_or_b32_e32 v16, 0x80000000, v16
	v_xor_b32_e32 v12, v16, v12
	v_ashrrev_i32_e32 v16, 31, v13
	v_or_b32_e32 v16, 0x80000000, v16
	v_xor_b32_e32 v13, v16, v13
	v_cmp_le_u32_e64 s[8:9], v12, v13
	s_and_b64 s[40:41], s[8:9], exec
.LBB1442_181:
	s_or_b64 exec, exec, s[26:27]
	s_orn2_b64 s[26:27], s[40:41], exec
.LBB1442_182:
	s_or_b64 exec, exec, s[28:29]
	v_cndmask_b32_e64 v12, v14, v15, s[26:27]
	v_cndmask_b32_e64 v13, v50, v37, s[26:27]
	v_add_u32_e32 v20, 1, v12
	v_add_u32_e32 v13, -1, v13
	v_min_u32_e32 v13, v20, v13
	v_lshl_add_u32 v13, v13, 2, v31
	ds_read_b32 v16, v13
	v_lshl_add_u32 v12, v12, 3, v30
	ds_read_b64 v[12:13], v12 offset:8192
	s_mov_b64 s[40:41], -1
	s_mov_b64 s[28:29], -1
	s_waitcnt lgkmcnt(1)
	v_cndmask_b32_e64 v29, v16, v28, s[26:27]
	v_cndmask_b32_e64 v32, v52, v16, s[26:27]
	;; [unrolled: 1-line block ×4, first 2 shown]
	v_cmp_lt_u32_e64 s[8:9], v16, v50
	s_and_saveexec_b64 s[42:43], s[8:9]
	s_cbranch_execz .LBB1442_186
; %bb.183:
	v_cmp_lt_u32_e64 s[8:9], v20, v37
	s_mov_b64 s[44:45], 0
	s_and_saveexec_b64 s[28:29], s[8:9]
	s_cbranch_execz .LBB1442_185
; %bb.184:
	v_add_f32_e32 v14, 0, v32
	v_ashrrev_i32_e32 v21, 31, v14
	v_add_f32_e32 v15, 0, v29
	v_or_b32_e32 v21, 0x80000000, v21
	v_xor_b32_e32 v14, v21, v14
	v_ashrrev_i32_e32 v21, 31, v15
	v_or_b32_e32 v21, 0x80000000, v21
	v_xor_b32_e32 v15, v21, v15
	v_cmp_le_u32_e64 s[8:9], v14, v15
	s_and_b64 s[44:45], s[8:9], exec
.LBB1442_185:
	s_or_b64 exec, exec, s[28:29]
	s_orn2_b64 s[28:29], s[44:45], exec
.LBB1442_186:
	s_or_b64 exec, exec, s[42:43]
	v_cndmask_b32_e64 v14, v16, v20, s[28:29]
	v_cndmask_b32_e64 v15, v50, v37, s[28:29]
	v_add_u32_e32 v21, 1, v14
	v_add_u32_e32 v15, -1, v15
	v_min_u32_e32 v15, v21, v15
	v_lshl_add_u32 v15, v15, 2, v31
	ds_read_b32 v22, v15
	v_lshl_add_u32 v14, v14, 3, v30
	ds_read_b64 v[14:15], v14 offset:8192
	v_cndmask_b32_e64 v16, v21, v16, s[28:29]
	v_cndmask_b32_e64 v23, v20, v21, s[28:29]
	s_waitcnt lgkmcnt(1)
	v_cndmask_b32_e64 v26, v22, v29, s[28:29]
	v_cndmask_b32_e64 v33, v32, v22, s[28:29]
	v_cmp_lt_u32_e64 s[8:9], v16, v50
	s_and_saveexec_b64 s[42:43], s[8:9]
	s_cbranch_execz .LBB1442_190
; %bb.187:
	v_cmp_lt_u32_e64 s[8:9], v23, v37
	s_mov_b64 s[44:45], 0
	s_and_saveexec_b64 s[40:41], s[8:9]
	s_cbranch_execz .LBB1442_189
; %bb.188:
	v_add_f32_e32 v20, 0, v33
	v_ashrrev_i32_e32 v22, 31, v20
	v_add_f32_e32 v21, 0, v26
	v_or_b32_e32 v22, 0x80000000, v22
	v_xor_b32_e32 v20, v22, v20
	v_ashrrev_i32_e32 v22, 31, v21
	v_or_b32_e32 v22, 0x80000000, v22
	v_xor_b32_e32 v21, v22, v21
	v_cmp_le_u32_e64 s[8:9], v20, v21
	s_and_b64 s[44:45], s[8:9], exec
.LBB1442_189:
	s_or_b64 exec, exec, s[40:41]
	s_orn2_b64 s[40:41], s[44:45], exec
.LBB1442_190:
	s_or_b64 exec, exec, s[42:43]
	v_cndmask_b32_e64 v20, v16, v23, s[40:41]
	v_cndmask_b32_e64 v21, v50, v37, s[40:41]
	v_add_u32_e32 v24, 1, v20
	v_add_u32_e32 v21, -1, v21
	v_min_u32_e32 v21, v24, v21
	v_lshl_add_u32 v21, v21, 2, v31
	ds_read_b32 v22, v21
	v_lshl_add_u32 v20, v20, 3, v30
	ds_read_b64 v[20:21], v20 offset:8192
	v_cndmask_b32_e64 v23, v23, v24, s[40:41]
	s_mov_b64 s[44:45], -1
	s_waitcnt lgkmcnt(1)
	v_cndmask_b32_e64 v27, v22, v26, s[40:41]
	v_cndmask_b32_e64 v53, v33, v22, s[40:41]
	;; [unrolled: 1-line block ×3, first 2 shown]
	v_cmp_lt_u32_e64 s[8:9], v22, v50
	s_mov_b64 s[42:43], -1
	s_and_saveexec_b64 s[46:47], s[8:9]
	s_cbranch_execz .LBB1442_194
; %bb.191:
	v_cmp_lt_u32_e64 s[8:9], v23, v37
	s_mov_b64 s[56:57], 0
	s_and_saveexec_b64 s[42:43], s[8:9]
	s_cbranch_execz .LBB1442_193
; %bb.192:
	v_add_f32_e32 v16, 0, v53
	v_ashrrev_i32_e32 v25, 31, v16
	v_add_f32_e32 v24, 0, v27
	v_or_b32_e32 v25, 0x80000000, v25
	v_xor_b32_e32 v16, v25, v16
	v_ashrrev_i32_e32 v25, 31, v24
	v_or_b32_e32 v25, 0x80000000, v25
	v_xor_b32_e32 v24, v25, v24
	v_cmp_le_u32_e64 s[8:9], v16, v24
	s_and_b64 s[56:57], s[8:9], exec
.LBB1442_193:
	s_or_b64 exec, exec, s[42:43]
	s_orn2_b64 s[42:43], s[56:57], exec
.LBB1442_194:
	s_or_b64 exec, exec, s[46:47]
	v_cndmask_b32_e64 v16, v22, v23, s[42:43]
	v_cndmask_b32_e64 v24, v50, v37, s[42:43]
	v_add_u32_e32 v55, 1, v16
	v_add_u32_e32 v24, -1, v24
	v_min_u32_e32 v24, v55, v24
	v_lshl_add_u32 v24, v24, 2, v31
	ds_read_b32 v54, v24
	v_lshl_add_u32 v16, v16, 3, v30
	ds_read_b64 v[24:25], v16 offset:8192
	v_cndmask_b32_e64 v65, v55, v22, s[42:43]
	v_cndmask_b32_e64 v66, v23, v55, s[42:43]
	s_waitcnt lgkmcnt(1)
	v_cndmask_b32_e64 v16, v54, v27, s[42:43]
	v_cndmask_b32_e64 v54, v53, v54, s[42:43]
	v_cmp_lt_u32_e64 s[8:9], v65, v50
	s_and_saveexec_b64 s[46:47], s[8:9]
	s_cbranch_execz .LBB1442_198
; %bb.195:
	v_cmp_lt_u32_e64 s[8:9], v66, v37
	s_mov_b64 s[56:57], 0
	s_and_saveexec_b64 s[44:45], s[8:9]
	s_cbranch_execz .LBB1442_197
; %bb.196:
	v_add_f32_e32 v22, 0, v54
	v_ashrrev_i32_e32 v55, 31, v22
	v_add_f32_e32 v23, 0, v16
	v_or_b32_e32 v55, 0x80000000, v55
	v_xor_b32_e32 v22, v55, v22
	v_ashrrev_i32_e32 v55, 31, v23
	v_or_b32_e32 v55, 0x80000000, v55
	v_xor_b32_e32 v23, v55, v23
	v_cmp_le_u32_e64 s[8:9], v22, v23
	s_and_b64 s[56:57], s[8:9], exec
.LBB1442_197:
	s_or_b64 exec, exec, s[44:45]
	s_orn2_b64 s[44:45], s[56:57], exec
.LBB1442_198:
	s_or_b64 exec, exec, s[46:47]
	v_cndmask_b32_e64 v22, v65, v66, s[44:45]
	v_cndmask_b32_e64 v23, v50, v37, s[44:45]
	v_add_u32_e32 v67, 1, v22
	v_add_u32_e32 v23, -1, v23
	v_min_u32_e32 v23, v67, v23
	v_lshl_add_u32 v23, v23, 2, v31
	ds_read_b32 v64, v23
	v_lshl_add_u32 v22, v22, 3, v30
	ds_read_b64 v[22:23], v22 offset:8192
	v_cndmask_b32_e64 v65, v67, v65, s[44:45]
	v_cndmask_b32_e64 v66, v66, v67, s[44:45]
	s_waitcnt lgkmcnt(1)
	v_cndmask_b32_e64 v55, v64, v16, s[44:45]
	v_cndmask_b32_e64 v64, v54, v64, s[44:45]
	v_cmp_lt_u32_e64 s[8:9], v65, v50
	s_mov_b64 s[56:57], -1
	s_and_saveexec_b64 s[46:47], s[8:9]
	s_cbranch_execz .LBB1442_202
; %bb.199:
	v_cmp_lt_u32_e64 s[8:9], v66, v37
	s_mov_b64 s[58:59], 0
	s_and_saveexec_b64 s[56:57], s[8:9]
	s_cbranch_execz .LBB1442_201
; %bb.200:
	v_add_f32_e32 v37, 0, v64
	v_ashrrev_i32_e32 v67, 31, v37
	v_add_f32_e32 v50, 0, v55
	v_or_b32_e32 v67, 0x80000000, v67
	v_xor_b32_e32 v37, v67, v37
	v_ashrrev_i32_e32 v67, 31, v50
	v_or_b32_e32 v67, 0x80000000, v67
	v_xor_b32_e32 v50, v67, v50
	v_cmp_le_u32_e64 s[8:9], v37, v50
	s_and_b64 s[58:59], s[8:9], exec
.LBB1442_201:
	s_or_b64 exec, exec, s[56:57]
	s_orn2_b64 s[56:57], s[58:59], exec
.LBB1442_202:
	s_or_b64 exec, exec, s[46:47]
	v_cndmask_b32_e64 v29, v29, v32, s[28:29]
	v_cndmask_b32_e64 v32, v65, v66, s[56:57]
	v_lshl_add_u32 v32, v32, 3, v30
	v_cndmask_b32_e64 v26, v26, v33, s[40:41]
	ds_read_b64 v[32:33], v32 offset:8192
	v_cndmask_b32_e64 v16, v16, v54, s[44:45]
	v_cndmask_b32_e64 v27, v27, v53, s[42:43]
	;; [unrolled: 1-line block ×6, first 2 shown]
.LBB1442_203:
	s_or_b64 exec, exec, s[22:23]
	v_add_u32_e32 v37, 0x2000, v36
	; wave barrier
	ds_write2_b64 v37, v[4:5], v[8:9] offset1:1
	v_add_u32_e32 v37, 0x2010, v36
	ds_write2_b64 v35, v[18:19], v[28:29] offset1:1
	ds_write2_b64 v37, v[12:13], v[14:15] offset1:1
	v_add_u32_e32 v37, 0x2020, v36
	v_and_b32_e32 v49, 0x380, v49
	ds_write2_b64 v37, v[20:21], v[24:25] offset1:1
	v_add_u32_e32 v36, 0x2030, v36
	ds_write2_b64 v35, v[26:27], v[16:17] offset0:2 offset1:3
	s_waitcnt lgkmcnt(5)
	ds_write2_b64 v36, v[22:23], v[32:33] offset1:1
	v_or_b32_e32 v35, 64, v49
	v_min_u32_e32 v35, v34, v35
	v_add_u32_e32 v36, 64, v35
	v_min_u32_e32 v36, v34, v36
	v_min_u32_e32 v50, v34, v48
	v_sub_u32_e32 v48, v35, v49
	v_sub_u32_e32 v37, v36, v35
	v_sub_u32_e64 v37, v50, v37 clamp
	v_min_u32_e32 v48, v50, v48
	v_lshl_add_u32 v34, v49, 2, v31
	v_cmp_lt_u32_e64 s[8:9], v37, v48
	; wave barrier
	s_and_saveexec_b64 s[12:13], s[8:9]
	s_cbranch_execz .LBB1442_207
; %bb.204:
	v_lshlrev_b32_e32 v51, 2, v35
	v_lshlrev_b32_e32 v52, 2, v50
	v_add3_u32 v51, v31, v51, v52
	s_mov_b64 s[22:23], 0
.LBB1442_205:                           ; =>This Inner Loop Header: Depth=1
	v_add_u32_e32 v52, v48, v37
	v_lshrrev_b32_e32 v52, 1, v52
	v_not_b32_e32 v53, v52
	v_lshl_add_u32 v54, v52, 2, v34
	v_lshl_add_u32 v53, v53, 2, v51
	ds_read_b32 v54, v54
	ds_read_b32 v53, v53
	v_add_u32_e32 v55, 1, v52
	s_waitcnt lgkmcnt(1)
	v_add_f32_e32 v54, 0, v54
	s_waitcnt lgkmcnt(0)
	v_add_f32_e32 v53, 0, v53
	v_ashrrev_i32_e32 v64, 31, v54
	v_or_b32_e32 v64, 0x80000000, v64
	v_ashrrev_i32_e32 v65, 31, v53
	v_xor_b32_e32 v54, v64, v54
	v_or_b32_e32 v64, 0x80000000, v65
	v_xor_b32_e32 v53, v64, v53
	v_cmp_gt_u32_e64 s[8:9], v54, v53
	v_cndmask_b32_e64 v48, v48, v52, s[8:9]
	v_cndmask_b32_e64 v37, v55, v37, s[8:9]
	v_cmp_ge_u32_e64 s[8:9], v37, v48
	s_or_b64 s[22:23], s[8:9], s[22:23]
	s_andn2_b64 exec, exec, s[22:23]
	s_cbranch_execnz .LBB1442_205
; %bb.206:
	s_or_b64 exec, exec, s[22:23]
.LBB1442_207:
	s_or_b64 exec, exec, s[12:13]
	v_add_u32_e32 v48, v37, v49
	v_add_u32_e32 v49, v35, v50
	v_sub_u32_e32 v49, v49, v37
	v_cmp_le_u32_e64 s[8:9], v48, v35
	v_cmp_le_u32_e64 s[12:13], v49, v36
	s_or_b64 s[8:9], s[8:9], s[12:13]
	s_and_saveexec_b64 s[22:23], s[8:9]
	s_cbranch_execz .LBB1442_243
; %bb.208:
	v_cmp_ge_u32_e64 s[8:9], v48, v35
	v_cmp_lt_u32_e64 s[12:13], v48, v35
                                        ; implicit-def: $vgpr17
	s_and_saveexec_b64 s[24:25], s[12:13]
; %bb.209:
	v_lshl_add_u32 v4, v37, 2, v34
	ds_read_b32 v17, v4
; %bb.210:
	s_or_b64 exec, exec, s[24:25]
	v_cmp_ge_u32_e64 s[24:25], v49, v36
	v_cmp_lt_u32_e64 s[12:13], v49, v36
                                        ; implicit-def: $vgpr18
	s_and_saveexec_b64 s[26:27], s[12:13]
; %bb.211:
	v_lshl_add_u32 v4, v49, 2, v31
	ds_read_b32 v18, v4
; %bb.212:
	s_or_b64 exec, exec, s[26:27]
	s_nor_b64 s[8:9], s[8:9], s[24:25]
	s_and_saveexec_b64 s[12:13], s[8:9]
	s_cbranch_execz .LBB1442_214
; %bb.213:
	s_waitcnt lgkmcnt(0)
	v_add_f32_e32 v4, 0, v17
	v_ashrrev_i32_e32 v8, 31, v4
	v_add_f32_e32 v5, 0, v18
	v_or_b32_e32 v8, 0x80000000, v8
	v_xor_b32_e32 v4, v8, v4
	v_ashrrev_i32_e32 v8, 31, v5
	v_or_b32_e32 v8, 0x80000000, v8
	v_xor_b32_e32 v5, v8, v5
	v_cmp_le_u32_e64 s[8:9], v4, v5
	s_andn2_b64 s[24:25], s[24:25], exec
	s_and_b64 s[8:9], s[8:9], exec
	s_or_b64 s[24:25], s[24:25], s[8:9]
.LBB1442_214:
	s_or_b64 exec, exec, s[12:13]
	v_cndmask_b32_e64 v4, v49, v48, s[24:25]
	v_cndmask_b32_e64 v5, v36, v35, s[24:25]
	v_add_u32_e32 v8, 1, v4
	v_add_u32_e32 v5, -1, v5
	v_min_u32_e32 v5, v8, v5
	v_lshl_add_u32 v5, v5, 2, v31
	ds_read_b32 v9, v5
	v_lshl_add_u32 v4, v4, 3, v30
	ds_read_b64 v[4:5], v4 offset:8192
	v_cndmask_b32_e64 v12, v8, v49, s[24:25]
	v_cndmask_b32_e64 v13, v48, v8, s[24:25]
	s_waitcnt lgkmcnt(1)
	v_cndmask_b32_e64 v19, v9, v18, s[24:25]
	v_cndmask_b32_e64 v34, v17, v9, s[24:25]
	v_cmp_lt_u32_e64 s[8:9], v12, v36
	s_mov_b64 s[26:27], -1
	s_mov_b64 s[12:13], -1
	s_and_saveexec_b64 s[28:29], s[8:9]
	s_cbranch_execz .LBB1442_218
; %bb.215:
	v_cmp_lt_u32_e64 s[8:9], v13, v35
	s_mov_b64 s[40:41], 0
	s_and_saveexec_b64 s[12:13], s[8:9]
	s_cbranch_execz .LBB1442_217
; %bb.216:
	v_add_f32_e32 v8, 0, v34
	v_ashrrev_i32_e32 v14, 31, v8
	v_add_f32_e32 v9, 0, v19
	v_or_b32_e32 v14, 0x80000000, v14
	v_xor_b32_e32 v8, v14, v8
	v_ashrrev_i32_e32 v14, 31, v9
	v_or_b32_e32 v14, 0x80000000, v14
	v_xor_b32_e32 v9, v14, v9
	v_cmp_le_u32_e64 s[8:9], v8, v9
	s_and_b64 s[40:41], s[8:9], exec
.LBB1442_217:
	s_or_b64 exec, exec, s[12:13]
	s_orn2_b64 s[12:13], s[40:41], exec
.LBB1442_218:
	s_or_b64 exec, exec, s[28:29]
	v_cndmask_b32_e64 v8, v12, v13, s[12:13]
	v_cndmask_b32_e64 v9, v36, v35, s[12:13]
	v_add_u32_e32 v15, 1, v8
	v_add_u32_e32 v9, -1, v9
	v_min_u32_e32 v9, v15, v9
	v_lshl_add_u32 v9, v9, 2, v31
	ds_read_b32 v14, v9
	v_lshl_add_u32 v8, v8, 3, v30
	ds_read_b64 v[8:9], v8 offset:8192
	s_waitcnt lgkmcnt(1)
	v_cndmask_b32_e64 v28, v14, v19, s[12:13]
	v_cndmask_b32_e64 v37, v34, v14, s[12:13]
	;; [unrolled: 1-line block ×4, first 2 shown]
	v_cmp_lt_u32_e64 s[8:9], v14, v36
	s_and_saveexec_b64 s[28:29], s[8:9]
	s_cbranch_execz .LBB1442_222
; %bb.219:
	v_cmp_lt_u32_e64 s[8:9], v15, v35
	s_mov_b64 s[40:41], 0
	s_and_saveexec_b64 s[26:27], s[8:9]
	s_cbranch_execz .LBB1442_221
; %bb.220:
	v_add_f32_e32 v12, 0, v37
	v_ashrrev_i32_e32 v16, 31, v12
	v_add_f32_e32 v13, 0, v28
	v_or_b32_e32 v16, 0x80000000, v16
	v_xor_b32_e32 v12, v16, v12
	v_ashrrev_i32_e32 v16, 31, v13
	v_or_b32_e32 v16, 0x80000000, v16
	v_xor_b32_e32 v13, v16, v13
	v_cmp_le_u32_e64 s[8:9], v12, v13
	s_and_b64 s[40:41], s[8:9], exec
.LBB1442_221:
	s_or_b64 exec, exec, s[26:27]
	s_orn2_b64 s[26:27], s[40:41], exec
.LBB1442_222:
	s_or_b64 exec, exec, s[28:29]
	v_cndmask_b32_e64 v12, v14, v15, s[26:27]
	v_cndmask_b32_e64 v13, v36, v35, s[26:27]
	v_add_u32_e32 v20, 1, v12
	v_add_u32_e32 v13, -1, v13
	v_min_u32_e32 v13, v20, v13
	v_lshl_add_u32 v13, v13, 2, v31
	ds_read_b32 v16, v13
	v_lshl_add_u32 v12, v12, 3, v30
	ds_read_b64 v[12:13], v12 offset:8192
	s_mov_b64 s[40:41], -1
	s_mov_b64 s[28:29], -1
	s_waitcnt lgkmcnt(1)
	v_cndmask_b32_e64 v29, v16, v28, s[26:27]
	v_cndmask_b32_e64 v32, v37, v16, s[26:27]
	v_cndmask_b32_e64 v16, v20, v14, s[26:27]
	v_cndmask_b32_e64 v20, v15, v20, s[26:27]
	v_cmp_lt_u32_e64 s[8:9], v16, v36
	s_and_saveexec_b64 s[42:43], s[8:9]
	s_cbranch_execz .LBB1442_226
; %bb.223:
	v_cmp_lt_u32_e64 s[8:9], v20, v35
	s_mov_b64 s[44:45], 0
	s_and_saveexec_b64 s[28:29], s[8:9]
	s_cbranch_execz .LBB1442_225
; %bb.224:
	v_add_f32_e32 v14, 0, v32
	v_ashrrev_i32_e32 v21, 31, v14
	v_add_f32_e32 v15, 0, v29
	v_or_b32_e32 v21, 0x80000000, v21
	v_xor_b32_e32 v14, v21, v14
	v_ashrrev_i32_e32 v21, 31, v15
	v_or_b32_e32 v21, 0x80000000, v21
	v_xor_b32_e32 v15, v21, v15
	v_cmp_le_u32_e64 s[8:9], v14, v15
	s_and_b64 s[44:45], s[8:9], exec
.LBB1442_225:
	s_or_b64 exec, exec, s[28:29]
	s_orn2_b64 s[28:29], s[44:45], exec
.LBB1442_226:
	s_or_b64 exec, exec, s[42:43]
	v_cndmask_b32_e64 v14, v16, v20, s[28:29]
	v_cndmask_b32_e64 v15, v36, v35, s[28:29]
	v_add_u32_e32 v21, 1, v14
	v_add_u32_e32 v15, -1, v15
	v_min_u32_e32 v15, v21, v15
	v_lshl_add_u32 v15, v15, 2, v31
	ds_read_b32 v22, v15
	v_lshl_add_u32 v14, v14, 3, v30
	ds_read_b64 v[14:15], v14 offset:8192
	v_cndmask_b32_e64 v16, v21, v16, s[28:29]
	v_cndmask_b32_e64 v23, v20, v21, s[28:29]
	s_waitcnt lgkmcnt(1)
	v_cndmask_b32_e64 v26, v22, v29, s[28:29]
	v_cndmask_b32_e64 v33, v32, v22, s[28:29]
	v_cmp_lt_u32_e64 s[8:9], v16, v36
	s_and_saveexec_b64 s[42:43], s[8:9]
	s_cbranch_execz .LBB1442_230
; %bb.227:
	v_cmp_lt_u32_e64 s[8:9], v23, v35
	s_mov_b64 s[44:45], 0
	s_and_saveexec_b64 s[40:41], s[8:9]
	s_cbranch_execz .LBB1442_229
; %bb.228:
	v_add_f32_e32 v20, 0, v33
	v_ashrrev_i32_e32 v22, 31, v20
	v_add_f32_e32 v21, 0, v26
	v_or_b32_e32 v22, 0x80000000, v22
	v_xor_b32_e32 v20, v22, v20
	v_ashrrev_i32_e32 v22, 31, v21
	v_or_b32_e32 v22, 0x80000000, v22
	v_xor_b32_e32 v21, v22, v21
	v_cmp_le_u32_e64 s[8:9], v20, v21
	s_and_b64 s[44:45], s[8:9], exec
.LBB1442_229:
	s_or_b64 exec, exec, s[40:41]
	s_orn2_b64 s[40:41], s[44:45], exec
.LBB1442_230:
	s_or_b64 exec, exec, s[42:43]
	v_cndmask_b32_e64 v20, v16, v23, s[40:41]
	v_cndmask_b32_e64 v21, v36, v35, s[40:41]
	v_add_u32_e32 v24, 1, v20
	v_add_u32_e32 v21, -1, v21
	v_min_u32_e32 v21, v24, v21
	v_lshl_add_u32 v21, v21, 2, v31
	ds_read_b32 v22, v21
	v_lshl_add_u32 v20, v20, 3, v30
	ds_read_b64 v[20:21], v20 offset:8192
	v_cndmask_b32_e64 v23, v23, v24, s[40:41]
	s_mov_b64 s[44:45], -1
	s_waitcnt lgkmcnt(1)
	v_cndmask_b32_e64 v27, v22, v26, s[40:41]
	v_cndmask_b32_e64 v48, v33, v22, s[40:41]
	;; [unrolled: 1-line block ×3, first 2 shown]
	v_cmp_lt_u32_e64 s[8:9], v22, v36
	s_mov_b64 s[42:43], -1
	s_and_saveexec_b64 s[46:47], s[8:9]
	s_cbranch_execz .LBB1442_234
; %bb.231:
	v_cmp_lt_u32_e64 s[8:9], v23, v35
	s_mov_b64 s[56:57], 0
	s_and_saveexec_b64 s[42:43], s[8:9]
	s_cbranch_execz .LBB1442_233
; %bb.232:
	v_add_f32_e32 v16, 0, v48
	v_ashrrev_i32_e32 v25, 31, v16
	v_add_f32_e32 v24, 0, v27
	v_or_b32_e32 v25, 0x80000000, v25
	v_xor_b32_e32 v16, v25, v16
	v_ashrrev_i32_e32 v25, 31, v24
	v_or_b32_e32 v25, 0x80000000, v25
	v_xor_b32_e32 v24, v25, v24
	v_cmp_le_u32_e64 s[8:9], v16, v24
	s_and_b64 s[56:57], s[8:9], exec
.LBB1442_233:
	s_or_b64 exec, exec, s[42:43]
	s_orn2_b64 s[42:43], s[56:57], exec
.LBB1442_234:
	s_or_b64 exec, exec, s[46:47]
	v_cndmask_b32_e64 v16, v22, v23, s[42:43]
	v_cndmask_b32_e64 v24, v36, v35, s[42:43]
	v_add_u32_e32 v50, 1, v16
	v_add_u32_e32 v24, -1, v24
	v_min_u32_e32 v24, v50, v24
	v_lshl_add_u32 v24, v24, 2, v31
	ds_read_b32 v49, v24
	v_lshl_add_u32 v16, v16, 3, v30
	ds_read_b64 v[24:25], v16 offset:8192
	v_cndmask_b32_e64 v51, v50, v22, s[42:43]
	v_cndmask_b32_e64 v52, v23, v50, s[42:43]
	s_waitcnt lgkmcnt(1)
	v_cndmask_b32_e64 v16, v49, v27, s[42:43]
	v_cndmask_b32_e64 v49, v48, v49, s[42:43]
	v_cmp_lt_u32_e64 s[8:9], v51, v36
	s_and_saveexec_b64 s[46:47], s[8:9]
	s_cbranch_execz .LBB1442_238
; %bb.235:
	v_cmp_lt_u32_e64 s[8:9], v52, v35
	s_mov_b64 s[56:57], 0
	s_and_saveexec_b64 s[44:45], s[8:9]
	s_cbranch_execz .LBB1442_237
; %bb.236:
	v_add_f32_e32 v22, 0, v49
	v_ashrrev_i32_e32 v50, 31, v22
	v_add_f32_e32 v23, 0, v16
	v_or_b32_e32 v50, 0x80000000, v50
	v_xor_b32_e32 v22, v50, v22
	v_ashrrev_i32_e32 v50, 31, v23
	v_or_b32_e32 v50, 0x80000000, v50
	v_xor_b32_e32 v23, v50, v23
	v_cmp_le_u32_e64 s[8:9], v22, v23
	s_and_b64 s[56:57], s[8:9], exec
.LBB1442_237:
	s_or_b64 exec, exec, s[44:45]
	s_orn2_b64 s[44:45], s[56:57], exec
.LBB1442_238:
	s_or_b64 exec, exec, s[46:47]
	v_cndmask_b32_e64 v22, v51, v52, s[44:45]
	v_cndmask_b32_e64 v23, v36, v35, s[44:45]
	v_add_u32_e32 v53, 1, v22
	v_add_u32_e32 v23, -1, v23
	v_min_u32_e32 v23, v53, v23
	v_lshl_add_u32 v23, v23, 2, v31
	ds_read_b32 v50, v23
	v_lshl_add_u32 v22, v22, 3, v30
	ds_read_b64 v[22:23], v22 offset:8192
	v_cndmask_b32_e64 v51, v53, v51, s[44:45]
	v_cndmask_b32_e64 v52, v52, v53, s[44:45]
	s_waitcnt lgkmcnt(1)
	v_cndmask_b32_e64 v31, v50, v16, s[44:45]
	v_cndmask_b32_e64 v50, v49, v50, s[44:45]
	v_cmp_lt_u32_e64 s[8:9], v51, v36
	s_mov_b64 s[56:57], -1
	s_and_saveexec_b64 s[46:47], s[8:9]
	s_cbranch_execz .LBB1442_242
; %bb.239:
	v_cmp_lt_u32_e64 s[8:9], v52, v35
	s_mov_b64 s[58:59], 0
	s_and_saveexec_b64 s[56:57], s[8:9]
	s_cbranch_execz .LBB1442_241
; %bb.240:
	v_add_f32_e32 v35, 0, v50
	v_ashrrev_i32_e32 v53, 31, v35
	v_add_f32_e32 v36, 0, v31
	v_or_b32_e32 v53, 0x80000000, v53
	v_xor_b32_e32 v35, v53, v35
	v_ashrrev_i32_e32 v53, 31, v36
	v_or_b32_e32 v53, 0x80000000, v53
	v_xor_b32_e32 v36, v53, v36
	v_cmp_le_u32_e64 s[8:9], v35, v36
	s_and_b64 s[58:59], s[8:9], exec
.LBB1442_241:
	s_or_b64 exec, exec, s[56:57]
	s_orn2_b64 s[56:57], s[58:59], exec
.LBB1442_242:
	s_or_b64 exec, exec, s[46:47]
	v_cndmask_b32_e64 v29, v29, v32, s[28:29]
	v_cndmask_b32_e64 v32, v51, v52, s[56:57]
	v_lshl_add_u32 v30, v32, 3, v30
	v_cndmask_b32_e64 v26, v26, v33, s[40:41]
	ds_read_b64 v[32:33], v30 offset:8192
	v_cndmask_b32_e64 v16, v16, v49, s[44:45]
	v_cndmask_b32_e64 v27, v27, v48, s[42:43]
	v_cndmask_b32_e64 v28, v28, v37, s[26:27]
	v_cndmask_b32_e64 v19, v19, v34, s[12:13]
	v_cndmask_b32_e64 v18, v18, v17, s[24:25]
	v_cndmask_b32_e64 v17, v31, v50, s[56:57]
.LBB1442_243:
	s_or_b64 exec, exec, s[22:23]
	v_add_co_u32_e64 v2, s[8:9], v2, v10
	v_addc_co_u32_e64 v3, s[8:9], v3, v11, s[8:9]
	v_add_co_u32_e64 v2, s[8:9], v2, v38
	v_addc_co_u32_e64 v3, s[8:9], 0, v3, s[8:9]
	; wave barrier
	s_waitcnt lgkmcnt(0)
	s_barrier
	; wave barrier
	s_and_saveexec_b64 s[8:9], vcc
	s_cbranch_execnz .LBB1442_268
; %bb.244:
	s_or_b64 exec, exec, s[8:9]
	s_and_saveexec_b64 s[8:9], s[4:5]
	s_cbranch_execnz .LBB1442_269
.LBB1442_245:
	s_or_b64 exec, exec, s[8:9]
	s_and_saveexec_b64 s[8:9], s[6:7]
	s_cbranch_execnz .LBB1442_270
.LBB1442_246:
	s_or_b64 exec, exec, s[8:9]
	s_and_saveexec_b64 s[8:9], s[18:19]
	s_cbranch_execnz .LBB1442_271
.LBB1442_247:
	s_or_b64 exec, exec, s[8:9]
	s_and_saveexec_b64 s[8:9], s[10:11]
	s_cbranch_execnz .LBB1442_272
.LBB1442_248:
	s_or_b64 exec, exec, s[8:9]
	s_and_saveexec_b64 s[8:9], s[20:21]
	s_cbranch_execnz .LBB1442_273
.LBB1442_249:
	s_or_b64 exec, exec, s[8:9]
	s_and_saveexec_b64 s[8:9], s[14:15]
	s_cbranch_execnz .LBB1442_274
.LBB1442_250:
	s_or_b64 exec, exec, s[8:9]
	s_and_saveexec_b64 s[8:9], s[16:17]
	s_cbranch_execz .LBB1442_252
.LBB1442_251:
	flat_store_dword v[2:3], v17 offset:28
.LBB1442_252:
	s_or_b64 exec, exec, s[8:9]
	v_add_co_u32_e64 v0, s[8:9], v6, v0
	v_addc_co_u32_e64 v1, s[8:9], v7, v1, s[8:9]
	v_add_co_u32_e64 v0, s[8:9], v0, v39
	v_addc_co_u32_e64 v1, s[8:9], 0, v1, s[8:9]
	; wave barrier
	s_and_saveexec_b64 s[8:9], vcc
	s_cbranch_execnz .LBB1442_275
; %bb.253:
	s_or_b64 exec, exec, s[8:9]
	s_and_saveexec_b64 s[8:9], s[4:5]
	s_cbranch_execnz .LBB1442_276
.LBB1442_254:
	s_or_b64 exec, exec, s[8:9]
	s_and_saveexec_b64 s[4:5], s[6:7]
	s_cbranch_execnz .LBB1442_277
.LBB1442_255:
	s_or_b64 exec, exec, s[4:5]
	s_and_saveexec_b64 s[4:5], s[18:19]
	s_cbranch_execnz .LBB1442_278
.LBB1442_256:
	s_or_b64 exec, exec, s[4:5]
	s_and_saveexec_b64 s[4:5], s[10:11]
	s_cbranch_execnz .LBB1442_279
.LBB1442_257:
	s_or_b64 exec, exec, s[4:5]
	s_and_saveexec_b64 s[4:5], s[20:21]
	s_cbranch_execnz .LBB1442_280
.LBB1442_258:
	s_or_b64 exec, exec, s[4:5]
	s_and_saveexec_b64 s[4:5], s[14:15]
	s_cbranch_execnz .LBB1442_281
.LBB1442_259:
	s_or_b64 exec, exec, s[4:5]
	s_and_saveexec_b64 s[4:5], s[16:17]
	s_cbranch_execnz .LBB1442_282
.LBB1442_260:
	s_or_b64 exec, exec, s[4:5]
	s_waitcnt vmcnt(0) lgkmcnt(0)
	s_setpc_b64 s[30:31]
.LBB1442_261:
	flat_load_dwordx2 v[4:5], v[34:35]
	s_or_b64 exec, exec, s[22:23]
	s_and_saveexec_b64 s[22:23], s[4:5]
                                        ; implicit-def: $vgpr8_vgpr9
	s_cbranch_execz .LBB1442_18
.LBB1442_262:
	flat_load_dwordx2 v[8:9], v[34:35] offset:8
	s_or_b64 exec, exec, s[22:23]
                                        ; implicit-def: $vgpr12_vgpr13
	s_and_saveexec_b64 s[22:23], s[6:7]
	s_cbranch_execz .LBB1442_19
.LBB1442_263:
	flat_load_dwordx2 v[12:13], v[34:35] offset:16
	s_or_b64 exec, exec, s[22:23]
	s_and_saveexec_b64 s[22:23], s[18:19]
                                        ; implicit-def: $vgpr14_vgpr15
	s_cbranch_execz .LBB1442_20
.LBB1442_264:
	flat_load_dwordx2 v[14:15], v[34:35] offset:24
	s_or_b64 exec, exec, s[22:23]
                                        ; implicit-def: $vgpr20_vgpr21
	s_and_saveexec_b64 s[22:23], s[10:11]
	s_cbranch_execz .LBB1442_21
.LBB1442_265:
	flat_load_dwordx2 v[20:21], v[34:35] offset:32
	s_or_b64 exec, exec, s[22:23]
	s_and_saveexec_b64 s[22:23], s[20:21]
                                        ; implicit-def: $vgpr24_vgpr25
	s_cbranch_execz .LBB1442_22
.LBB1442_266:
	flat_load_dwordx2 v[24:25], v[34:35] offset:40
	s_or_b64 exec, exec, s[22:23]
                                        ; implicit-def: $vgpr22_vgpr23
	s_and_saveexec_b64 s[22:23], s[14:15]
	s_cbranch_execz .LBB1442_23
.LBB1442_267:
	flat_load_dwordx2 v[22:23], v[34:35] offset:48
	s_or_b64 exec, exec, s[22:23]
	s_and_saveexec_b64 s[22:23], s[16:17]
                                        ; implicit-def: $vgpr32_vgpr33
	s_cbranch_execnz .LBB1442_24
	s_branch .LBB1442_25
.LBB1442_268:
	flat_store_dword v[2:3], v18
	s_or_b64 exec, exec, s[8:9]
	s_and_saveexec_b64 s[8:9], s[4:5]
	s_cbranch_execz .LBB1442_245
.LBB1442_269:
	flat_store_dword v[2:3], v19 offset:4
	s_or_b64 exec, exec, s[8:9]
	s_and_saveexec_b64 s[8:9], s[6:7]
	s_cbranch_execz .LBB1442_246
.LBB1442_270:
	flat_store_dword v[2:3], v28 offset:8
	s_or_b64 exec, exec, s[8:9]
	s_and_saveexec_b64 s[8:9], s[18:19]
	s_cbranch_execz .LBB1442_247
.LBB1442_271:
	flat_store_dword v[2:3], v29 offset:12
	s_or_b64 exec, exec, s[8:9]
	s_and_saveexec_b64 s[8:9], s[10:11]
	s_cbranch_execz .LBB1442_248
.LBB1442_272:
	flat_store_dword v[2:3], v26 offset:16
	s_or_b64 exec, exec, s[8:9]
	s_and_saveexec_b64 s[8:9], s[20:21]
	s_cbranch_execz .LBB1442_249
.LBB1442_273:
	flat_store_dword v[2:3], v27 offset:20
	s_or_b64 exec, exec, s[8:9]
	s_and_saveexec_b64 s[8:9], s[14:15]
	s_cbranch_execz .LBB1442_250
.LBB1442_274:
	flat_store_dword v[2:3], v16 offset:24
	s_or_b64 exec, exec, s[8:9]
	s_and_saveexec_b64 s[8:9], s[16:17]
	s_cbranch_execnz .LBB1442_251
	s_branch .LBB1442_252
.LBB1442_275:
	flat_store_dwordx2 v[0:1], v[4:5]
	s_or_b64 exec, exec, s[8:9]
	s_and_saveexec_b64 s[8:9], s[4:5]
	s_cbranch_execz .LBB1442_254
.LBB1442_276:
	flat_store_dwordx2 v[0:1], v[8:9] offset:8
	s_or_b64 exec, exec, s[8:9]
	s_and_saveexec_b64 s[4:5], s[6:7]
	s_cbranch_execz .LBB1442_255
.LBB1442_277:
	flat_store_dwordx2 v[0:1], v[12:13] offset:16
	s_or_b64 exec, exec, s[4:5]
	s_and_saveexec_b64 s[4:5], s[18:19]
	s_cbranch_execz .LBB1442_256
.LBB1442_278:
	flat_store_dwordx2 v[0:1], v[14:15] offset:24
	s_or_b64 exec, exec, s[4:5]
	s_and_saveexec_b64 s[4:5], s[10:11]
	s_cbranch_execz .LBB1442_257
.LBB1442_279:
	flat_store_dwordx2 v[0:1], v[20:21] offset:32
	s_or_b64 exec, exec, s[4:5]
	s_and_saveexec_b64 s[4:5], s[20:21]
	s_cbranch_execz .LBB1442_258
.LBB1442_280:
	flat_store_dwordx2 v[0:1], v[24:25] offset:40
	s_or_b64 exec, exec, s[4:5]
	s_and_saveexec_b64 s[4:5], s[14:15]
	s_cbranch_execz .LBB1442_259
.LBB1442_281:
	flat_store_dwordx2 v[0:1], v[22:23] offset:48
	s_or_b64 exec, exec, s[4:5]
	s_and_saveexec_b64 s[4:5], s[16:17]
	s_cbranch_execz .LBB1442_260
.LBB1442_282:
	flat_store_dwordx2 v[0:1], v[32:33] offset:56
	s_or_b64 exec, exec, s[4:5]
	s_waitcnt vmcnt(0) lgkmcnt(0)
	s_setpc_b64 s[30:31]
.Lfunc_end1442:
	.size	_ZN7rocprim17ROCPRIM_400000_NS6detail26segmented_warp_sort_helperINS1_20WarpSortHelperConfigILj16ELj8ELj256EEEflLi256ELb0EvE4sortIPKfPfPKlPlEEvT_T0_T1_T2_jjjjRNS5_12storage_typeE, .Lfunc_end1442-_ZN7rocprim17ROCPRIM_400000_NS6detail26segmented_warp_sort_helperINS1_20WarpSortHelperConfigILj16ELj8ELj256EEEflLi256ELb0EvE4sortIPKfPfPKlPlEEvT_T0_T1_T2_jjjjRNS5_12storage_typeE
                                        ; -- End function
	.set .L_ZN7rocprim17ROCPRIM_400000_NS6detail26segmented_warp_sort_helperINS1_20WarpSortHelperConfigILj16ELj8ELj256EEEflLi256ELb0EvE4sortIPKfPfPKlPlEEvT_T0_T1_T2_jjjjRNS5_12storage_typeE.num_vgpr, 71
	.set .L_ZN7rocprim17ROCPRIM_400000_NS6detail26segmented_warp_sort_helperINS1_20WarpSortHelperConfigILj16ELj8ELj256EEEflLi256ELb0EvE4sortIPKfPfPKlPlEEvT_T0_T1_T2_jjjjRNS5_12storage_typeE.num_agpr, 0
	.set .L_ZN7rocprim17ROCPRIM_400000_NS6detail26segmented_warp_sort_helperINS1_20WarpSortHelperConfigILj16ELj8ELj256EEEflLi256ELb0EvE4sortIPKfPfPKlPlEEvT_T0_T1_T2_jjjjRNS5_12storage_typeE.numbered_sgpr, 60
	.set .L_ZN7rocprim17ROCPRIM_400000_NS6detail26segmented_warp_sort_helperINS1_20WarpSortHelperConfigILj16ELj8ELj256EEEflLi256ELb0EvE4sortIPKfPfPKlPlEEvT_T0_T1_T2_jjjjRNS5_12storage_typeE.num_named_barrier, 0
	.set .L_ZN7rocprim17ROCPRIM_400000_NS6detail26segmented_warp_sort_helperINS1_20WarpSortHelperConfigILj16ELj8ELj256EEEflLi256ELb0EvE4sortIPKfPfPKlPlEEvT_T0_T1_T2_jjjjRNS5_12storage_typeE.private_seg_size, 0
	.set .L_ZN7rocprim17ROCPRIM_400000_NS6detail26segmented_warp_sort_helperINS1_20WarpSortHelperConfigILj16ELj8ELj256EEEflLi256ELb0EvE4sortIPKfPfPKlPlEEvT_T0_T1_T2_jjjjRNS5_12storage_typeE.uses_vcc, 1
	.set .L_ZN7rocprim17ROCPRIM_400000_NS6detail26segmented_warp_sort_helperINS1_20WarpSortHelperConfigILj16ELj8ELj256EEEflLi256ELb0EvE4sortIPKfPfPKlPlEEvT_T0_T1_T2_jjjjRNS5_12storage_typeE.uses_flat_scratch, 0
	.set .L_ZN7rocprim17ROCPRIM_400000_NS6detail26segmented_warp_sort_helperINS1_20WarpSortHelperConfigILj16ELj8ELj256EEEflLi256ELb0EvE4sortIPKfPfPKlPlEEvT_T0_T1_T2_jjjjRNS5_12storage_typeE.has_dyn_sized_stack, 0
	.set .L_ZN7rocprim17ROCPRIM_400000_NS6detail26segmented_warp_sort_helperINS1_20WarpSortHelperConfigILj16ELj8ELj256EEEflLi256ELb0EvE4sortIPKfPfPKlPlEEvT_T0_T1_T2_jjjjRNS5_12storage_typeE.has_recursion, 0
	.set .L_ZN7rocprim17ROCPRIM_400000_NS6detail26segmented_warp_sort_helperINS1_20WarpSortHelperConfigILj16ELj8ELj256EEEflLi256ELb0EvE4sortIPKfPfPKlPlEEvT_T0_T1_T2_jjjjRNS5_12storage_typeE.has_indirect_call, 0
	.section	.AMDGPU.csdata,"",@progbits
; Function info:
; codeLenInByte = 12060
; TotalNumSgprs: 64
; NumVgprs: 71
; ScratchSize: 0
; MemoryBound: 0
	.section	.text._ZN7rocprim17ROCPRIM_400000_NS6detail17trampoline_kernelINS0_14default_configENS1_36segmented_radix_sort_config_selectorIflEEZNS1_25segmented_radix_sort_implIS3_Lb0EPKfPfPKlPlN2at6native12_GLOBAL__N_18offset_tEEE10hipError_tPvRmT1_PNSt15iterator_traitsISK_E10value_typeET2_T3_PNSL_ISQ_E10value_typeET4_jRbjT5_SW_jjP12ihipStream_tbEUlT_E0_NS1_11comp_targetILNS1_3genE2ELNS1_11target_archE906ELNS1_3gpuE6ELNS1_3repE0EEENS1_60segmented_radix_sort_warp_sort_medium_config_static_selectorELNS0_4arch9wavefront6targetE1EEEvSK_,"axG",@progbits,_ZN7rocprim17ROCPRIM_400000_NS6detail17trampoline_kernelINS0_14default_configENS1_36segmented_radix_sort_config_selectorIflEEZNS1_25segmented_radix_sort_implIS3_Lb0EPKfPfPKlPlN2at6native12_GLOBAL__N_18offset_tEEE10hipError_tPvRmT1_PNSt15iterator_traitsISK_E10value_typeET2_T3_PNSL_ISQ_E10value_typeET4_jRbjT5_SW_jjP12ihipStream_tbEUlT_E0_NS1_11comp_targetILNS1_3genE2ELNS1_11target_archE906ELNS1_3gpuE6ELNS1_3repE0EEENS1_60segmented_radix_sort_warp_sort_medium_config_static_selectorELNS0_4arch9wavefront6targetE1EEEvSK_,comdat
	.globl	_ZN7rocprim17ROCPRIM_400000_NS6detail17trampoline_kernelINS0_14default_configENS1_36segmented_radix_sort_config_selectorIflEEZNS1_25segmented_radix_sort_implIS3_Lb0EPKfPfPKlPlN2at6native12_GLOBAL__N_18offset_tEEE10hipError_tPvRmT1_PNSt15iterator_traitsISK_E10value_typeET2_T3_PNSL_ISQ_E10value_typeET4_jRbjT5_SW_jjP12ihipStream_tbEUlT_E0_NS1_11comp_targetILNS1_3genE2ELNS1_11target_archE906ELNS1_3gpuE6ELNS1_3repE0EEENS1_60segmented_radix_sort_warp_sort_medium_config_static_selectorELNS0_4arch9wavefront6targetE1EEEvSK_ ; -- Begin function _ZN7rocprim17ROCPRIM_400000_NS6detail17trampoline_kernelINS0_14default_configENS1_36segmented_radix_sort_config_selectorIflEEZNS1_25segmented_radix_sort_implIS3_Lb0EPKfPfPKlPlN2at6native12_GLOBAL__N_18offset_tEEE10hipError_tPvRmT1_PNSt15iterator_traitsISK_E10value_typeET2_T3_PNSL_ISQ_E10value_typeET4_jRbjT5_SW_jjP12ihipStream_tbEUlT_E0_NS1_11comp_targetILNS1_3genE2ELNS1_11target_archE906ELNS1_3gpuE6ELNS1_3repE0EEENS1_60segmented_radix_sort_warp_sort_medium_config_static_selectorELNS0_4arch9wavefront6targetE1EEEvSK_
	.p2align	8
	.type	_ZN7rocprim17ROCPRIM_400000_NS6detail17trampoline_kernelINS0_14default_configENS1_36segmented_radix_sort_config_selectorIflEEZNS1_25segmented_radix_sort_implIS3_Lb0EPKfPfPKlPlN2at6native12_GLOBAL__N_18offset_tEEE10hipError_tPvRmT1_PNSt15iterator_traitsISK_E10value_typeET2_T3_PNSL_ISQ_E10value_typeET4_jRbjT5_SW_jjP12ihipStream_tbEUlT_E0_NS1_11comp_targetILNS1_3genE2ELNS1_11target_archE906ELNS1_3gpuE6ELNS1_3repE0EEENS1_60segmented_radix_sort_warp_sort_medium_config_static_selectorELNS0_4arch9wavefront6targetE1EEEvSK_,@function
_ZN7rocprim17ROCPRIM_400000_NS6detail17trampoline_kernelINS0_14default_configENS1_36segmented_radix_sort_config_selectorIflEEZNS1_25segmented_radix_sort_implIS3_Lb0EPKfPfPKlPlN2at6native12_GLOBAL__N_18offset_tEEE10hipError_tPvRmT1_PNSt15iterator_traitsISK_E10value_typeET2_T3_PNSL_ISQ_E10value_typeET4_jRbjT5_SW_jjP12ihipStream_tbEUlT_E0_NS1_11comp_targetILNS1_3genE2ELNS1_11target_archE906ELNS1_3gpuE6ELNS1_3repE0EEENS1_60segmented_radix_sort_warp_sort_medium_config_static_selectorELNS0_4arch9wavefront6targetE1EEEvSK_: ; @_ZN7rocprim17ROCPRIM_400000_NS6detail17trampoline_kernelINS0_14default_configENS1_36segmented_radix_sort_config_selectorIflEEZNS1_25segmented_radix_sort_implIS3_Lb0EPKfPfPKlPlN2at6native12_GLOBAL__N_18offset_tEEE10hipError_tPvRmT1_PNSt15iterator_traitsISK_E10value_typeET2_T3_PNSL_ISQ_E10value_typeET4_jRbjT5_SW_jjP12ihipStream_tbEUlT_E0_NS1_11comp_targetILNS1_3genE2ELNS1_11target_archE906ELNS1_3gpuE6ELNS1_3repE0EEENS1_60segmented_radix_sort_warp_sort_medium_config_static_selectorELNS0_4arch9wavefront6targetE1EEEvSK_
; %bb.0:
	s_add_u32 s0, s0, s8
	s_load_dword s8, s[4:5], 0x64
	s_addc_u32 s1, s1, 0
	s_mov_b32 s32, 0
	s_waitcnt lgkmcnt(0)
	s_lshr_b32 s9, s8, 16
	s_and_b32 s8, s8, 0xffff
	v_mad_u32_u24 v3, v2, s9, v1
	v_mad_u64_u32 v[3:4], s[8:9], v3, s8, v[0:1]
	s_load_dword s8, s[4:5], 0x34
	v_lshrrev_b32_e32 v3, 4, v3
	v_lshl_add_u32 v3, s6, 4, v3
	s_waitcnt lgkmcnt(0)
	v_cmp_gt_u32_e32 vcc, s8, v3
	s_and_saveexec_b64 s[8:9], vcc
	s_cbranch_execz .LBB1443_6
; %bb.1:
	s_load_dwordx2 s[12:13], s[4:5], 0x38
	s_load_dwordx4 s[8:11], s[4:5], 0x40
	v_mov_b32_e32 v4, 0
	v_lshlrev_b64 v[3:4], 2, v[3:4]
	s_waitcnt lgkmcnt(0)
	v_mov_b32_e32 v5, s13
	v_add_co_u32_e32 v3, vcc, s12, v3
	v_addc_co_u32_e32 v4, vcc, v5, v4, vcc
	global_load_dword v3, v[3:4], off
	s_waitcnt vmcnt(0)
	v_add_u32_e32 v4, s9, v3
	v_add_u32_e32 v3, s11, v3
	v_mul_lo_u32 v40, v4, s8
	v_mul_lo_u32 v41, v3, s10
	v_cmp_gt_u32_e32 vcc, v41, v40
	s_and_b64 exec, exec, vcc
	s_cbranch_execz .LBB1443_6
; %bb.2:
	s_load_dword s10, s[4:5], 0x30
	s_load_dwordx4 s[36:39], s[4:5], 0x20
	s_load_dwordx8 s[48:55], s[4:5], 0x0
	s_mov_b64 s[8:9], -1
	v_lshlrev_b32_e32 v43, 20, v2
	s_waitcnt lgkmcnt(0)
	s_bitcmp0_b32 s10, 0
	v_lshlrev_b32_e32 v44, 10, v1
	s_cbranch_scc0 .LBB1443_4
; %bb.3:
	s_add_u32 s8, s4, 0x58
	s_addc_u32 s9, s5, 0
	s_getpc_b64 s[10:11]
	s_add_u32 s10, s10, _ZN7rocprim17ROCPRIM_400000_NS6detail26segmented_warp_sort_helperINS1_20WarpSortHelperConfigILj16ELj8ELj256EEEflLi256ELb0EvE4sortIPKfPfPKlPlEEvT_T0_T1_T2_jjjjRNS5_12storage_typeE@rel32@lo+4
	s_addc_u32 s11, s11, _ZN7rocprim17ROCPRIM_400000_NS6detail26segmented_warp_sort_helperINS1_20WarpSortHelperConfigILj16ELj8ELj256EEEflLi256ELb0EvE4sortIPKfPfPKlPlEEvT_T0_T1_T2_jjjjRNS5_12storage_typeE@rel32@hi+12
	v_or3_b32 v31, v0, v44, v43
	s_mov_b32 s12, s6
	s_mov_b32 s13, s7
	v_mov_b32_e32 v42, v0
	v_mov_b32_e32 v0, s48
	;; [unrolled: 1-line block ×11, first 2 shown]
	s_mov_b64 s[34:35], s[4:5]
	s_mov_b32 s36, s7
	s_mov_b32 s33, s6
	s_swappc_b64 s[30:31], s[10:11]
	v_mov_b32_e32 v0, v42
	s_mov_b32 s6, s33
	s_mov_b32 s7, s36
	s_mov_b64 s[4:5], s[34:35]
	s_mov_b64 s[8:9], 0
.LBB1443_4:
	s_andn2_b64 vcc, exec, s[8:9]
	s_cbranch_vccnz .LBB1443_6
; %bb.5:
	s_add_u32 s8, s4, 0x58
	s_addc_u32 s9, s5, 0
	s_getpc_b64 s[4:5]
	s_add_u32 s4, s4, _ZN7rocprim17ROCPRIM_400000_NS6detail26segmented_warp_sort_helperINS1_20WarpSortHelperConfigILj16ELj8ELj256EEEflLi256ELb0EvE4sortIPKfPfPKlPlEEvT_T0_T1_T2_jjjjRNS5_12storage_typeE@rel32@lo+4
	s_addc_u32 s5, s5, _ZN7rocprim17ROCPRIM_400000_NS6detail26segmented_warp_sort_helperINS1_20WarpSortHelperConfigILj16ELj8ELj256EEEflLi256ELb0EvE4sortIPKfPfPKlPlEEvT_T0_T1_T2_jjjjRNS5_12storage_typeE@rel32@hi+12
	v_or3_b32 v31, v0, v44, v43
	s_mov_b32 s12, s6
	s_mov_b32 s13, s7
	v_mov_b32_e32 v0, s48
	v_mov_b32_e32 v1, s49
	;; [unrolled: 1-line block ×10, first 2 shown]
	s_swappc_b64 s[30:31], s[4:5]
.LBB1443_6:
	s_endpgm
	.section	.rodata,"a",@progbits
	.p2align	6, 0x0
	.amdhsa_kernel _ZN7rocprim17ROCPRIM_400000_NS6detail17trampoline_kernelINS0_14default_configENS1_36segmented_radix_sort_config_selectorIflEEZNS1_25segmented_radix_sort_implIS3_Lb0EPKfPfPKlPlN2at6native12_GLOBAL__N_18offset_tEEE10hipError_tPvRmT1_PNSt15iterator_traitsISK_E10value_typeET2_T3_PNSL_ISQ_E10value_typeET4_jRbjT5_SW_jjP12ihipStream_tbEUlT_E0_NS1_11comp_targetILNS1_3genE2ELNS1_11target_archE906ELNS1_3gpuE6ELNS1_3repE0EEENS1_60segmented_radix_sort_warp_sort_medium_config_static_selectorELNS0_4arch9wavefront6targetE1EEEvSK_
		.amdhsa_group_segment_fixed_size 24576
		.amdhsa_private_segment_fixed_size 0
		.amdhsa_kernarg_size 344
		.amdhsa_user_sgpr_count 6
		.amdhsa_user_sgpr_private_segment_buffer 1
		.amdhsa_user_sgpr_dispatch_ptr 0
		.amdhsa_user_sgpr_queue_ptr 0
		.amdhsa_user_sgpr_kernarg_segment_ptr 1
		.amdhsa_user_sgpr_dispatch_id 0
		.amdhsa_user_sgpr_flat_scratch_init 0
		.amdhsa_user_sgpr_private_segment_size 0
		.amdhsa_uses_dynamic_stack 0
		.amdhsa_system_sgpr_private_segment_wavefront_offset 0
		.amdhsa_system_sgpr_workgroup_id_x 1
		.amdhsa_system_sgpr_workgroup_id_y 1
		.amdhsa_system_sgpr_workgroup_id_z 0
		.amdhsa_system_sgpr_workgroup_info 0
		.amdhsa_system_vgpr_workitem_id 2
		.amdhsa_next_free_vgpr 85
		.amdhsa_next_free_sgpr 98
		.amdhsa_reserve_vcc 1
		.amdhsa_reserve_flat_scratch 0
		.amdhsa_float_round_mode_32 0
		.amdhsa_float_round_mode_16_64 0
		.amdhsa_float_denorm_mode_32 3
		.amdhsa_float_denorm_mode_16_64 3
		.amdhsa_dx10_clamp 1
		.amdhsa_ieee_mode 1
		.amdhsa_fp16_overflow 0
		.amdhsa_exception_fp_ieee_invalid_op 0
		.amdhsa_exception_fp_denorm_src 0
		.amdhsa_exception_fp_ieee_div_zero 0
		.amdhsa_exception_fp_ieee_overflow 0
		.amdhsa_exception_fp_ieee_underflow 0
		.amdhsa_exception_fp_ieee_inexact 0
		.amdhsa_exception_int_div_zero 0
	.end_amdhsa_kernel
	.section	.text._ZN7rocprim17ROCPRIM_400000_NS6detail17trampoline_kernelINS0_14default_configENS1_36segmented_radix_sort_config_selectorIflEEZNS1_25segmented_radix_sort_implIS3_Lb0EPKfPfPKlPlN2at6native12_GLOBAL__N_18offset_tEEE10hipError_tPvRmT1_PNSt15iterator_traitsISK_E10value_typeET2_T3_PNSL_ISQ_E10value_typeET4_jRbjT5_SW_jjP12ihipStream_tbEUlT_E0_NS1_11comp_targetILNS1_3genE2ELNS1_11target_archE906ELNS1_3gpuE6ELNS1_3repE0EEENS1_60segmented_radix_sort_warp_sort_medium_config_static_selectorELNS0_4arch9wavefront6targetE1EEEvSK_,"axG",@progbits,_ZN7rocprim17ROCPRIM_400000_NS6detail17trampoline_kernelINS0_14default_configENS1_36segmented_radix_sort_config_selectorIflEEZNS1_25segmented_radix_sort_implIS3_Lb0EPKfPfPKlPlN2at6native12_GLOBAL__N_18offset_tEEE10hipError_tPvRmT1_PNSt15iterator_traitsISK_E10value_typeET2_T3_PNSL_ISQ_E10value_typeET4_jRbjT5_SW_jjP12ihipStream_tbEUlT_E0_NS1_11comp_targetILNS1_3genE2ELNS1_11target_archE906ELNS1_3gpuE6ELNS1_3repE0EEENS1_60segmented_radix_sort_warp_sort_medium_config_static_selectorELNS0_4arch9wavefront6targetE1EEEvSK_,comdat
.Lfunc_end1443:
	.size	_ZN7rocprim17ROCPRIM_400000_NS6detail17trampoline_kernelINS0_14default_configENS1_36segmented_radix_sort_config_selectorIflEEZNS1_25segmented_radix_sort_implIS3_Lb0EPKfPfPKlPlN2at6native12_GLOBAL__N_18offset_tEEE10hipError_tPvRmT1_PNSt15iterator_traitsISK_E10value_typeET2_T3_PNSL_ISQ_E10value_typeET4_jRbjT5_SW_jjP12ihipStream_tbEUlT_E0_NS1_11comp_targetILNS1_3genE2ELNS1_11target_archE906ELNS1_3gpuE6ELNS1_3repE0EEENS1_60segmented_radix_sort_warp_sort_medium_config_static_selectorELNS0_4arch9wavefront6targetE1EEEvSK_, .Lfunc_end1443-_ZN7rocprim17ROCPRIM_400000_NS6detail17trampoline_kernelINS0_14default_configENS1_36segmented_radix_sort_config_selectorIflEEZNS1_25segmented_radix_sort_implIS3_Lb0EPKfPfPKlPlN2at6native12_GLOBAL__N_18offset_tEEE10hipError_tPvRmT1_PNSt15iterator_traitsISK_E10value_typeET2_T3_PNSL_ISQ_E10value_typeET4_jRbjT5_SW_jjP12ihipStream_tbEUlT_E0_NS1_11comp_targetILNS1_3genE2ELNS1_11target_archE906ELNS1_3gpuE6ELNS1_3repE0EEENS1_60segmented_radix_sort_warp_sort_medium_config_static_selectorELNS0_4arch9wavefront6targetE1EEEvSK_
                                        ; -- End function
	.set _ZN7rocprim17ROCPRIM_400000_NS6detail17trampoline_kernelINS0_14default_configENS1_36segmented_radix_sort_config_selectorIflEEZNS1_25segmented_radix_sort_implIS3_Lb0EPKfPfPKlPlN2at6native12_GLOBAL__N_18offset_tEEE10hipError_tPvRmT1_PNSt15iterator_traitsISK_E10value_typeET2_T3_PNSL_ISQ_E10value_typeET4_jRbjT5_SW_jjP12ihipStream_tbEUlT_E0_NS1_11comp_targetILNS1_3genE2ELNS1_11target_archE906ELNS1_3gpuE6ELNS1_3repE0EEENS1_60segmented_radix_sort_warp_sort_medium_config_static_selectorELNS0_4arch9wavefront6targetE1EEEvSK_.num_vgpr, max(45, .L_ZN7rocprim17ROCPRIM_400000_NS6detail26segmented_warp_sort_helperINS1_20WarpSortHelperConfigILj16ELj8ELj256EEEflLi256ELb0EvE4sortIPKfPfPKlPlEEvT_T0_T1_T2_jjjjRNS5_12storage_typeE.num_vgpr)
	.set _ZN7rocprim17ROCPRIM_400000_NS6detail17trampoline_kernelINS0_14default_configENS1_36segmented_radix_sort_config_selectorIflEEZNS1_25segmented_radix_sort_implIS3_Lb0EPKfPfPKlPlN2at6native12_GLOBAL__N_18offset_tEEE10hipError_tPvRmT1_PNSt15iterator_traitsISK_E10value_typeET2_T3_PNSL_ISQ_E10value_typeET4_jRbjT5_SW_jjP12ihipStream_tbEUlT_E0_NS1_11comp_targetILNS1_3genE2ELNS1_11target_archE906ELNS1_3gpuE6ELNS1_3repE0EEENS1_60segmented_radix_sort_warp_sort_medium_config_static_selectorELNS0_4arch9wavefront6targetE1EEEvSK_.num_agpr, max(0, .L_ZN7rocprim17ROCPRIM_400000_NS6detail26segmented_warp_sort_helperINS1_20WarpSortHelperConfigILj16ELj8ELj256EEEflLi256ELb0EvE4sortIPKfPfPKlPlEEvT_T0_T1_T2_jjjjRNS5_12storage_typeE.num_agpr)
	.set _ZN7rocprim17ROCPRIM_400000_NS6detail17trampoline_kernelINS0_14default_configENS1_36segmented_radix_sort_config_selectorIflEEZNS1_25segmented_radix_sort_implIS3_Lb0EPKfPfPKlPlN2at6native12_GLOBAL__N_18offset_tEEE10hipError_tPvRmT1_PNSt15iterator_traitsISK_E10value_typeET2_T3_PNSL_ISQ_E10value_typeET4_jRbjT5_SW_jjP12ihipStream_tbEUlT_E0_NS1_11comp_targetILNS1_3genE2ELNS1_11target_archE906ELNS1_3gpuE6ELNS1_3repE0EEENS1_60segmented_radix_sort_warp_sort_medium_config_static_selectorELNS0_4arch9wavefront6targetE1EEEvSK_.numbered_sgpr, max(56, .L_ZN7rocprim17ROCPRIM_400000_NS6detail26segmented_warp_sort_helperINS1_20WarpSortHelperConfigILj16ELj8ELj256EEEflLi256ELb0EvE4sortIPKfPfPKlPlEEvT_T0_T1_T2_jjjjRNS5_12storage_typeE.numbered_sgpr)
	.set _ZN7rocprim17ROCPRIM_400000_NS6detail17trampoline_kernelINS0_14default_configENS1_36segmented_radix_sort_config_selectorIflEEZNS1_25segmented_radix_sort_implIS3_Lb0EPKfPfPKlPlN2at6native12_GLOBAL__N_18offset_tEEE10hipError_tPvRmT1_PNSt15iterator_traitsISK_E10value_typeET2_T3_PNSL_ISQ_E10value_typeET4_jRbjT5_SW_jjP12ihipStream_tbEUlT_E0_NS1_11comp_targetILNS1_3genE2ELNS1_11target_archE906ELNS1_3gpuE6ELNS1_3repE0EEENS1_60segmented_radix_sort_warp_sort_medium_config_static_selectorELNS0_4arch9wavefront6targetE1EEEvSK_.num_named_barrier, max(0, .L_ZN7rocprim17ROCPRIM_400000_NS6detail26segmented_warp_sort_helperINS1_20WarpSortHelperConfigILj16ELj8ELj256EEEflLi256ELb0EvE4sortIPKfPfPKlPlEEvT_T0_T1_T2_jjjjRNS5_12storage_typeE.num_named_barrier)
	.set _ZN7rocprim17ROCPRIM_400000_NS6detail17trampoline_kernelINS0_14default_configENS1_36segmented_radix_sort_config_selectorIflEEZNS1_25segmented_radix_sort_implIS3_Lb0EPKfPfPKlPlN2at6native12_GLOBAL__N_18offset_tEEE10hipError_tPvRmT1_PNSt15iterator_traitsISK_E10value_typeET2_T3_PNSL_ISQ_E10value_typeET4_jRbjT5_SW_jjP12ihipStream_tbEUlT_E0_NS1_11comp_targetILNS1_3genE2ELNS1_11target_archE906ELNS1_3gpuE6ELNS1_3repE0EEENS1_60segmented_radix_sort_warp_sort_medium_config_static_selectorELNS0_4arch9wavefront6targetE1EEEvSK_.private_seg_size, 0+max(.L_ZN7rocprim17ROCPRIM_400000_NS6detail26segmented_warp_sort_helperINS1_20WarpSortHelperConfigILj16ELj8ELj256EEEflLi256ELb0EvE4sortIPKfPfPKlPlEEvT_T0_T1_T2_jjjjRNS5_12storage_typeE.private_seg_size)
	.set _ZN7rocprim17ROCPRIM_400000_NS6detail17trampoline_kernelINS0_14default_configENS1_36segmented_radix_sort_config_selectorIflEEZNS1_25segmented_radix_sort_implIS3_Lb0EPKfPfPKlPlN2at6native12_GLOBAL__N_18offset_tEEE10hipError_tPvRmT1_PNSt15iterator_traitsISK_E10value_typeET2_T3_PNSL_ISQ_E10value_typeET4_jRbjT5_SW_jjP12ihipStream_tbEUlT_E0_NS1_11comp_targetILNS1_3genE2ELNS1_11target_archE906ELNS1_3gpuE6ELNS1_3repE0EEENS1_60segmented_radix_sort_warp_sort_medium_config_static_selectorELNS0_4arch9wavefront6targetE1EEEvSK_.uses_vcc, or(1, .L_ZN7rocprim17ROCPRIM_400000_NS6detail26segmented_warp_sort_helperINS1_20WarpSortHelperConfigILj16ELj8ELj256EEEflLi256ELb0EvE4sortIPKfPfPKlPlEEvT_T0_T1_T2_jjjjRNS5_12storage_typeE.uses_vcc)
	.set _ZN7rocprim17ROCPRIM_400000_NS6detail17trampoline_kernelINS0_14default_configENS1_36segmented_radix_sort_config_selectorIflEEZNS1_25segmented_radix_sort_implIS3_Lb0EPKfPfPKlPlN2at6native12_GLOBAL__N_18offset_tEEE10hipError_tPvRmT1_PNSt15iterator_traitsISK_E10value_typeET2_T3_PNSL_ISQ_E10value_typeET4_jRbjT5_SW_jjP12ihipStream_tbEUlT_E0_NS1_11comp_targetILNS1_3genE2ELNS1_11target_archE906ELNS1_3gpuE6ELNS1_3repE0EEENS1_60segmented_radix_sort_warp_sort_medium_config_static_selectorELNS0_4arch9wavefront6targetE1EEEvSK_.uses_flat_scratch, or(0, .L_ZN7rocprim17ROCPRIM_400000_NS6detail26segmented_warp_sort_helperINS1_20WarpSortHelperConfigILj16ELj8ELj256EEEflLi256ELb0EvE4sortIPKfPfPKlPlEEvT_T0_T1_T2_jjjjRNS5_12storage_typeE.uses_flat_scratch)
	.set _ZN7rocprim17ROCPRIM_400000_NS6detail17trampoline_kernelINS0_14default_configENS1_36segmented_radix_sort_config_selectorIflEEZNS1_25segmented_radix_sort_implIS3_Lb0EPKfPfPKlPlN2at6native12_GLOBAL__N_18offset_tEEE10hipError_tPvRmT1_PNSt15iterator_traitsISK_E10value_typeET2_T3_PNSL_ISQ_E10value_typeET4_jRbjT5_SW_jjP12ihipStream_tbEUlT_E0_NS1_11comp_targetILNS1_3genE2ELNS1_11target_archE906ELNS1_3gpuE6ELNS1_3repE0EEENS1_60segmented_radix_sort_warp_sort_medium_config_static_selectorELNS0_4arch9wavefront6targetE1EEEvSK_.has_dyn_sized_stack, or(0, .L_ZN7rocprim17ROCPRIM_400000_NS6detail26segmented_warp_sort_helperINS1_20WarpSortHelperConfigILj16ELj8ELj256EEEflLi256ELb0EvE4sortIPKfPfPKlPlEEvT_T0_T1_T2_jjjjRNS5_12storage_typeE.has_dyn_sized_stack)
	.set _ZN7rocprim17ROCPRIM_400000_NS6detail17trampoline_kernelINS0_14default_configENS1_36segmented_radix_sort_config_selectorIflEEZNS1_25segmented_radix_sort_implIS3_Lb0EPKfPfPKlPlN2at6native12_GLOBAL__N_18offset_tEEE10hipError_tPvRmT1_PNSt15iterator_traitsISK_E10value_typeET2_T3_PNSL_ISQ_E10value_typeET4_jRbjT5_SW_jjP12ihipStream_tbEUlT_E0_NS1_11comp_targetILNS1_3genE2ELNS1_11target_archE906ELNS1_3gpuE6ELNS1_3repE0EEENS1_60segmented_radix_sort_warp_sort_medium_config_static_selectorELNS0_4arch9wavefront6targetE1EEEvSK_.has_recursion, or(0, .L_ZN7rocprim17ROCPRIM_400000_NS6detail26segmented_warp_sort_helperINS1_20WarpSortHelperConfigILj16ELj8ELj256EEEflLi256ELb0EvE4sortIPKfPfPKlPlEEvT_T0_T1_T2_jjjjRNS5_12storage_typeE.has_recursion)
	.set _ZN7rocprim17ROCPRIM_400000_NS6detail17trampoline_kernelINS0_14default_configENS1_36segmented_radix_sort_config_selectorIflEEZNS1_25segmented_radix_sort_implIS3_Lb0EPKfPfPKlPlN2at6native12_GLOBAL__N_18offset_tEEE10hipError_tPvRmT1_PNSt15iterator_traitsISK_E10value_typeET2_T3_PNSL_ISQ_E10value_typeET4_jRbjT5_SW_jjP12ihipStream_tbEUlT_E0_NS1_11comp_targetILNS1_3genE2ELNS1_11target_archE906ELNS1_3gpuE6ELNS1_3repE0EEENS1_60segmented_radix_sort_warp_sort_medium_config_static_selectorELNS0_4arch9wavefront6targetE1EEEvSK_.has_indirect_call, or(0, .L_ZN7rocprim17ROCPRIM_400000_NS6detail26segmented_warp_sort_helperINS1_20WarpSortHelperConfigILj16ELj8ELj256EEEflLi256ELb0EvE4sortIPKfPfPKlPlEEvT_T0_T1_T2_jjjjRNS5_12storage_typeE.has_indirect_call)
	.section	.AMDGPU.csdata,"",@progbits
; Kernel info:
; codeLenInByte = 460
; TotalNumSgprs: 64
; NumVgprs: 71
; ScratchSize: 0
; MemoryBound: 0
; FloatMode: 240
; IeeeMode: 1
; LDSByteSize: 24576 bytes/workgroup (compile time only)
; SGPRBlocks: 12
; VGPRBlocks: 21
; NumSGPRsForWavesPerEU: 102
; NumVGPRsForWavesPerEU: 85
; Occupancy: 2
; WaveLimiterHint : 0
; COMPUTE_PGM_RSRC2:SCRATCH_EN: 0
; COMPUTE_PGM_RSRC2:USER_SGPR: 6
; COMPUTE_PGM_RSRC2:TRAP_HANDLER: 0
; COMPUTE_PGM_RSRC2:TGID_X_EN: 1
; COMPUTE_PGM_RSRC2:TGID_Y_EN: 1
; COMPUTE_PGM_RSRC2:TGID_Z_EN: 0
; COMPUTE_PGM_RSRC2:TIDIG_COMP_CNT: 2
	.section	.text._ZN7rocprim17ROCPRIM_400000_NS6detail17trampoline_kernelINS0_14default_configENS1_36segmented_radix_sort_config_selectorIflEEZNS1_25segmented_radix_sort_implIS3_Lb0EPKfPfPKlPlN2at6native12_GLOBAL__N_18offset_tEEE10hipError_tPvRmT1_PNSt15iterator_traitsISK_E10value_typeET2_T3_PNSL_ISQ_E10value_typeET4_jRbjT5_SW_jjP12ihipStream_tbEUlT_E0_NS1_11comp_targetILNS1_3genE10ELNS1_11target_archE1201ELNS1_3gpuE5ELNS1_3repE0EEENS1_60segmented_radix_sort_warp_sort_medium_config_static_selectorELNS0_4arch9wavefront6targetE1EEEvSK_,"axG",@progbits,_ZN7rocprim17ROCPRIM_400000_NS6detail17trampoline_kernelINS0_14default_configENS1_36segmented_radix_sort_config_selectorIflEEZNS1_25segmented_radix_sort_implIS3_Lb0EPKfPfPKlPlN2at6native12_GLOBAL__N_18offset_tEEE10hipError_tPvRmT1_PNSt15iterator_traitsISK_E10value_typeET2_T3_PNSL_ISQ_E10value_typeET4_jRbjT5_SW_jjP12ihipStream_tbEUlT_E0_NS1_11comp_targetILNS1_3genE10ELNS1_11target_archE1201ELNS1_3gpuE5ELNS1_3repE0EEENS1_60segmented_radix_sort_warp_sort_medium_config_static_selectorELNS0_4arch9wavefront6targetE1EEEvSK_,comdat
	.globl	_ZN7rocprim17ROCPRIM_400000_NS6detail17trampoline_kernelINS0_14default_configENS1_36segmented_radix_sort_config_selectorIflEEZNS1_25segmented_radix_sort_implIS3_Lb0EPKfPfPKlPlN2at6native12_GLOBAL__N_18offset_tEEE10hipError_tPvRmT1_PNSt15iterator_traitsISK_E10value_typeET2_T3_PNSL_ISQ_E10value_typeET4_jRbjT5_SW_jjP12ihipStream_tbEUlT_E0_NS1_11comp_targetILNS1_3genE10ELNS1_11target_archE1201ELNS1_3gpuE5ELNS1_3repE0EEENS1_60segmented_radix_sort_warp_sort_medium_config_static_selectorELNS0_4arch9wavefront6targetE1EEEvSK_ ; -- Begin function _ZN7rocprim17ROCPRIM_400000_NS6detail17trampoline_kernelINS0_14default_configENS1_36segmented_radix_sort_config_selectorIflEEZNS1_25segmented_radix_sort_implIS3_Lb0EPKfPfPKlPlN2at6native12_GLOBAL__N_18offset_tEEE10hipError_tPvRmT1_PNSt15iterator_traitsISK_E10value_typeET2_T3_PNSL_ISQ_E10value_typeET4_jRbjT5_SW_jjP12ihipStream_tbEUlT_E0_NS1_11comp_targetILNS1_3genE10ELNS1_11target_archE1201ELNS1_3gpuE5ELNS1_3repE0EEENS1_60segmented_radix_sort_warp_sort_medium_config_static_selectorELNS0_4arch9wavefront6targetE1EEEvSK_
	.p2align	8
	.type	_ZN7rocprim17ROCPRIM_400000_NS6detail17trampoline_kernelINS0_14default_configENS1_36segmented_radix_sort_config_selectorIflEEZNS1_25segmented_radix_sort_implIS3_Lb0EPKfPfPKlPlN2at6native12_GLOBAL__N_18offset_tEEE10hipError_tPvRmT1_PNSt15iterator_traitsISK_E10value_typeET2_T3_PNSL_ISQ_E10value_typeET4_jRbjT5_SW_jjP12ihipStream_tbEUlT_E0_NS1_11comp_targetILNS1_3genE10ELNS1_11target_archE1201ELNS1_3gpuE5ELNS1_3repE0EEENS1_60segmented_radix_sort_warp_sort_medium_config_static_selectorELNS0_4arch9wavefront6targetE1EEEvSK_,@function
_ZN7rocprim17ROCPRIM_400000_NS6detail17trampoline_kernelINS0_14default_configENS1_36segmented_radix_sort_config_selectorIflEEZNS1_25segmented_radix_sort_implIS3_Lb0EPKfPfPKlPlN2at6native12_GLOBAL__N_18offset_tEEE10hipError_tPvRmT1_PNSt15iterator_traitsISK_E10value_typeET2_T3_PNSL_ISQ_E10value_typeET4_jRbjT5_SW_jjP12ihipStream_tbEUlT_E0_NS1_11comp_targetILNS1_3genE10ELNS1_11target_archE1201ELNS1_3gpuE5ELNS1_3repE0EEENS1_60segmented_radix_sort_warp_sort_medium_config_static_selectorELNS0_4arch9wavefront6targetE1EEEvSK_: ; @_ZN7rocprim17ROCPRIM_400000_NS6detail17trampoline_kernelINS0_14default_configENS1_36segmented_radix_sort_config_selectorIflEEZNS1_25segmented_radix_sort_implIS3_Lb0EPKfPfPKlPlN2at6native12_GLOBAL__N_18offset_tEEE10hipError_tPvRmT1_PNSt15iterator_traitsISK_E10value_typeET2_T3_PNSL_ISQ_E10value_typeET4_jRbjT5_SW_jjP12ihipStream_tbEUlT_E0_NS1_11comp_targetILNS1_3genE10ELNS1_11target_archE1201ELNS1_3gpuE5ELNS1_3repE0EEENS1_60segmented_radix_sort_warp_sort_medium_config_static_selectorELNS0_4arch9wavefront6targetE1EEEvSK_
; %bb.0:
	.section	.rodata,"a",@progbits
	.p2align	6, 0x0
	.amdhsa_kernel _ZN7rocprim17ROCPRIM_400000_NS6detail17trampoline_kernelINS0_14default_configENS1_36segmented_radix_sort_config_selectorIflEEZNS1_25segmented_radix_sort_implIS3_Lb0EPKfPfPKlPlN2at6native12_GLOBAL__N_18offset_tEEE10hipError_tPvRmT1_PNSt15iterator_traitsISK_E10value_typeET2_T3_PNSL_ISQ_E10value_typeET4_jRbjT5_SW_jjP12ihipStream_tbEUlT_E0_NS1_11comp_targetILNS1_3genE10ELNS1_11target_archE1201ELNS1_3gpuE5ELNS1_3repE0EEENS1_60segmented_radix_sort_warp_sort_medium_config_static_selectorELNS0_4arch9wavefront6targetE1EEEvSK_
		.amdhsa_group_segment_fixed_size 0
		.amdhsa_private_segment_fixed_size 0
		.amdhsa_kernarg_size 88
		.amdhsa_user_sgpr_count 6
		.amdhsa_user_sgpr_private_segment_buffer 1
		.amdhsa_user_sgpr_dispatch_ptr 0
		.amdhsa_user_sgpr_queue_ptr 0
		.amdhsa_user_sgpr_kernarg_segment_ptr 1
		.amdhsa_user_sgpr_dispatch_id 0
		.amdhsa_user_sgpr_flat_scratch_init 0
		.amdhsa_user_sgpr_private_segment_size 0
		.amdhsa_uses_dynamic_stack 0
		.amdhsa_system_sgpr_private_segment_wavefront_offset 0
		.amdhsa_system_sgpr_workgroup_id_x 1
		.amdhsa_system_sgpr_workgroup_id_y 0
		.amdhsa_system_sgpr_workgroup_id_z 0
		.amdhsa_system_sgpr_workgroup_info 0
		.amdhsa_system_vgpr_workitem_id 0
		.amdhsa_next_free_vgpr 1
		.amdhsa_next_free_sgpr 0
		.amdhsa_reserve_vcc 0
		.amdhsa_reserve_flat_scratch 0
		.amdhsa_float_round_mode_32 0
		.amdhsa_float_round_mode_16_64 0
		.amdhsa_float_denorm_mode_32 3
		.amdhsa_float_denorm_mode_16_64 3
		.amdhsa_dx10_clamp 1
		.amdhsa_ieee_mode 1
		.amdhsa_fp16_overflow 0
		.amdhsa_exception_fp_ieee_invalid_op 0
		.amdhsa_exception_fp_denorm_src 0
		.amdhsa_exception_fp_ieee_div_zero 0
		.amdhsa_exception_fp_ieee_overflow 0
		.amdhsa_exception_fp_ieee_underflow 0
		.amdhsa_exception_fp_ieee_inexact 0
		.amdhsa_exception_int_div_zero 0
	.end_amdhsa_kernel
	.section	.text._ZN7rocprim17ROCPRIM_400000_NS6detail17trampoline_kernelINS0_14default_configENS1_36segmented_radix_sort_config_selectorIflEEZNS1_25segmented_radix_sort_implIS3_Lb0EPKfPfPKlPlN2at6native12_GLOBAL__N_18offset_tEEE10hipError_tPvRmT1_PNSt15iterator_traitsISK_E10value_typeET2_T3_PNSL_ISQ_E10value_typeET4_jRbjT5_SW_jjP12ihipStream_tbEUlT_E0_NS1_11comp_targetILNS1_3genE10ELNS1_11target_archE1201ELNS1_3gpuE5ELNS1_3repE0EEENS1_60segmented_radix_sort_warp_sort_medium_config_static_selectorELNS0_4arch9wavefront6targetE1EEEvSK_,"axG",@progbits,_ZN7rocprim17ROCPRIM_400000_NS6detail17trampoline_kernelINS0_14default_configENS1_36segmented_radix_sort_config_selectorIflEEZNS1_25segmented_radix_sort_implIS3_Lb0EPKfPfPKlPlN2at6native12_GLOBAL__N_18offset_tEEE10hipError_tPvRmT1_PNSt15iterator_traitsISK_E10value_typeET2_T3_PNSL_ISQ_E10value_typeET4_jRbjT5_SW_jjP12ihipStream_tbEUlT_E0_NS1_11comp_targetILNS1_3genE10ELNS1_11target_archE1201ELNS1_3gpuE5ELNS1_3repE0EEENS1_60segmented_radix_sort_warp_sort_medium_config_static_selectorELNS0_4arch9wavefront6targetE1EEEvSK_,comdat
.Lfunc_end1444:
	.size	_ZN7rocprim17ROCPRIM_400000_NS6detail17trampoline_kernelINS0_14default_configENS1_36segmented_radix_sort_config_selectorIflEEZNS1_25segmented_radix_sort_implIS3_Lb0EPKfPfPKlPlN2at6native12_GLOBAL__N_18offset_tEEE10hipError_tPvRmT1_PNSt15iterator_traitsISK_E10value_typeET2_T3_PNSL_ISQ_E10value_typeET4_jRbjT5_SW_jjP12ihipStream_tbEUlT_E0_NS1_11comp_targetILNS1_3genE10ELNS1_11target_archE1201ELNS1_3gpuE5ELNS1_3repE0EEENS1_60segmented_radix_sort_warp_sort_medium_config_static_selectorELNS0_4arch9wavefront6targetE1EEEvSK_, .Lfunc_end1444-_ZN7rocprim17ROCPRIM_400000_NS6detail17trampoline_kernelINS0_14default_configENS1_36segmented_radix_sort_config_selectorIflEEZNS1_25segmented_radix_sort_implIS3_Lb0EPKfPfPKlPlN2at6native12_GLOBAL__N_18offset_tEEE10hipError_tPvRmT1_PNSt15iterator_traitsISK_E10value_typeET2_T3_PNSL_ISQ_E10value_typeET4_jRbjT5_SW_jjP12ihipStream_tbEUlT_E0_NS1_11comp_targetILNS1_3genE10ELNS1_11target_archE1201ELNS1_3gpuE5ELNS1_3repE0EEENS1_60segmented_radix_sort_warp_sort_medium_config_static_selectorELNS0_4arch9wavefront6targetE1EEEvSK_
                                        ; -- End function
	.set _ZN7rocprim17ROCPRIM_400000_NS6detail17trampoline_kernelINS0_14default_configENS1_36segmented_radix_sort_config_selectorIflEEZNS1_25segmented_radix_sort_implIS3_Lb0EPKfPfPKlPlN2at6native12_GLOBAL__N_18offset_tEEE10hipError_tPvRmT1_PNSt15iterator_traitsISK_E10value_typeET2_T3_PNSL_ISQ_E10value_typeET4_jRbjT5_SW_jjP12ihipStream_tbEUlT_E0_NS1_11comp_targetILNS1_3genE10ELNS1_11target_archE1201ELNS1_3gpuE5ELNS1_3repE0EEENS1_60segmented_radix_sort_warp_sort_medium_config_static_selectorELNS0_4arch9wavefront6targetE1EEEvSK_.num_vgpr, 0
	.set _ZN7rocprim17ROCPRIM_400000_NS6detail17trampoline_kernelINS0_14default_configENS1_36segmented_radix_sort_config_selectorIflEEZNS1_25segmented_radix_sort_implIS3_Lb0EPKfPfPKlPlN2at6native12_GLOBAL__N_18offset_tEEE10hipError_tPvRmT1_PNSt15iterator_traitsISK_E10value_typeET2_T3_PNSL_ISQ_E10value_typeET4_jRbjT5_SW_jjP12ihipStream_tbEUlT_E0_NS1_11comp_targetILNS1_3genE10ELNS1_11target_archE1201ELNS1_3gpuE5ELNS1_3repE0EEENS1_60segmented_radix_sort_warp_sort_medium_config_static_selectorELNS0_4arch9wavefront6targetE1EEEvSK_.num_agpr, 0
	.set _ZN7rocprim17ROCPRIM_400000_NS6detail17trampoline_kernelINS0_14default_configENS1_36segmented_radix_sort_config_selectorIflEEZNS1_25segmented_radix_sort_implIS3_Lb0EPKfPfPKlPlN2at6native12_GLOBAL__N_18offset_tEEE10hipError_tPvRmT1_PNSt15iterator_traitsISK_E10value_typeET2_T3_PNSL_ISQ_E10value_typeET4_jRbjT5_SW_jjP12ihipStream_tbEUlT_E0_NS1_11comp_targetILNS1_3genE10ELNS1_11target_archE1201ELNS1_3gpuE5ELNS1_3repE0EEENS1_60segmented_radix_sort_warp_sort_medium_config_static_selectorELNS0_4arch9wavefront6targetE1EEEvSK_.numbered_sgpr, 0
	.set _ZN7rocprim17ROCPRIM_400000_NS6detail17trampoline_kernelINS0_14default_configENS1_36segmented_radix_sort_config_selectorIflEEZNS1_25segmented_radix_sort_implIS3_Lb0EPKfPfPKlPlN2at6native12_GLOBAL__N_18offset_tEEE10hipError_tPvRmT1_PNSt15iterator_traitsISK_E10value_typeET2_T3_PNSL_ISQ_E10value_typeET4_jRbjT5_SW_jjP12ihipStream_tbEUlT_E0_NS1_11comp_targetILNS1_3genE10ELNS1_11target_archE1201ELNS1_3gpuE5ELNS1_3repE0EEENS1_60segmented_radix_sort_warp_sort_medium_config_static_selectorELNS0_4arch9wavefront6targetE1EEEvSK_.num_named_barrier, 0
	.set _ZN7rocprim17ROCPRIM_400000_NS6detail17trampoline_kernelINS0_14default_configENS1_36segmented_radix_sort_config_selectorIflEEZNS1_25segmented_radix_sort_implIS3_Lb0EPKfPfPKlPlN2at6native12_GLOBAL__N_18offset_tEEE10hipError_tPvRmT1_PNSt15iterator_traitsISK_E10value_typeET2_T3_PNSL_ISQ_E10value_typeET4_jRbjT5_SW_jjP12ihipStream_tbEUlT_E0_NS1_11comp_targetILNS1_3genE10ELNS1_11target_archE1201ELNS1_3gpuE5ELNS1_3repE0EEENS1_60segmented_radix_sort_warp_sort_medium_config_static_selectorELNS0_4arch9wavefront6targetE1EEEvSK_.private_seg_size, 0
	.set _ZN7rocprim17ROCPRIM_400000_NS6detail17trampoline_kernelINS0_14default_configENS1_36segmented_radix_sort_config_selectorIflEEZNS1_25segmented_radix_sort_implIS3_Lb0EPKfPfPKlPlN2at6native12_GLOBAL__N_18offset_tEEE10hipError_tPvRmT1_PNSt15iterator_traitsISK_E10value_typeET2_T3_PNSL_ISQ_E10value_typeET4_jRbjT5_SW_jjP12ihipStream_tbEUlT_E0_NS1_11comp_targetILNS1_3genE10ELNS1_11target_archE1201ELNS1_3gpuE5ELNS1_3repE0EEENS1_60segmented_radix_sort_warp_sort_medium_config_static_selectorELNS0_4arch9wavefront6targetE1EEEvSK_.uses_vcc, 0
	.set _ZN7rocprim17ROCPRIM_400000_NS6detail17trampoline_kernelINS0_14default_configENS1_36segmented_radix_sort_config_selectorIflEEZNS1_25segmented_radix_sort_implIS3_Lb0EPKfPfPKlPlN2at6native12_GLOBAL__N_18offset_tEEE10hipError_tPvRmT1_PNSt15iterator_traitsISK_E10value_typeET2_T3_PNSL_ISQ_E10value_typeET4_jRbjT5_SW_jjP12ihipStream_tbEUlT_E0_NS1_11comp_targetILNS1_3genE10ELNS1_11target_archE1201ELNS1_3gpuE5ELNS1_3repE0EEENS1_60segmented_radix_sort_warp_sort_medium_config_static_selectorELNS0_4arch9wavefront6targetE1EEEvSK_.uses_flat_scratch, 0
	.set _ZN7rocprim17ROCPRIM_400000_NS6detail17trampoline_kernelINS0_14default_configENS1_36segmented_radix_sort_config_selectorIflEEZNS1_25segmented_radix_sort_implIS3_Lb0EPKfPfPKlPlN2at6native12_GLOBAL__N_18offset_tEEE10hipError_tPvRmT1_PNSt15iterator_traitsISK_E10value_typeET2_T3_PNSL_ISQ_E10value_typeET4_jRbjT5_SW_jjP12ihipStream_tbEUlT_E0_NS1_11comp_targetILNS1_3genE10ELNS1_11target_archE1201ELNS1_3gpuE5ELNS1_3repE0EEENS1_60segmented_radix_sort_warp_sort_medium_config_static_selectorELNS0_4arch9wavefront6targetE1EEEvSK_.has_dyn_sized_stack, 0
	.set _ZN7rocprim17ROCPRIM_400000_NS6detail17trampoline_kernelINS0_14default_configENS1_36segmented_radix_sort_config_selectorIflEEZNS1_25segmented_radix_sort_implIS3_Lb0EPKfPfPKlPlN2at6native12_GLOBAL__N_18offset_tEEE10hipError_tPvRmT1_PNSt15iterator_traitsISK_E10value_typeET2_T3_PNSL_ISQ_E10value_typeET4_jRbjT5_SW_jjP12ihipStream_tbEUlT_E0_NS1_11comp_targetILNS1_3genE10ELNS1_11target_archE1201ELNS1_3gpuE5ELNS1_3repE0EEENS1_60segmented_radix_sort_warp_sort_medium_config_static_selectorELNS0_4arch9wavefront6targetE1EEEvSK_.has_recursion, 0
	.set _ZN7rocprim17ROCPRIM_400000_NS6detail17trampoline_kernelINS0_14default_configENS1_36segmented_radix_sort_config_selectorIflEEZNS1_25segmented_radix_sort_implIS3_Lb0EPKfPfPKlPlN2at6native12_GLOBAL__N_18offset_tEEE10hipError_tPvRmT1_PNSt15iterator_traitsISK_E10value_typeET2_T3_PNSL_ISQ_E10value_typeET4_jRbjT5_SW_jjP12ihipStream_tbEUlT_E0_NS1_11comp_targetILNS1_3genE10ELNS1_11target_archE1201ELNS1_3gpuE5ELNS1_3repE0EEENS1_60segmented_radix_sort_warp_sort_medium_config_static_selectorELNS0_4arch9wavefront6targetE1EEEvSK_.has_indirect_call, 0
	.section	.AMDGPU.csdata,"",@progbits
; Kernel info:
; codeLenInByte = 0
; TotalNumSgprs: 4
; NumVgprs: 0
; ScratchSize: 0
; MemoryBound: 0
; FloatMode: 240
; IeeeMode: 1
; LDSByteSize: 0 bytes/workgroup (compile time only)
; SGPRBlocks: 0
; VGPRBlocks: 0
; NumSGPRsForWavesPerEU: 4
; NumVGPRsForWavesPerEU: 1
; Occupancy: 10
; WaveLimiterHint : 0
; COMPUTE_PGM_RSRC2:SCRATCH_EN: 0
; COMPUTE_PGM_RSRC2:USER_SGPR: 6
; COMPUTE_PGM_RSRC2:TRAP_HANDLER: 0
; COMPUTE_PGM_RSRC2:TGID_X_EN: 1
; COMPUTE_PGM_RSRC2:TGID_Y_EN: 0
; COMPUTE_PGM_RSRC2:TGID_Z_EN: 0
; COMPUTE_PGM_RSRC2:TIDIG_COMP_CNT: 0
	.section	.text._ZN7rocprim17ROCPRIM_400000_NS6detail17trampoline_kernelINS0_14default_configENS1_36segmented_radix_sort_config_selectorIflEEZNS1_25segmented_radix_sort_implIS3_Lb0EPKfPfPKlPlN2at6native12_GLOBAL__N_18offset_tEEE10hipError_tPvRmT1_PNSt15iterator_traitsISK_E10value_typeET2_T3_PNSL_ISQ_E10value_typeET4_jRbjT5_SW_jjP12ihipStream_tbEUlT_E0_NS1_11comp_targetILNS1_3genE10ELNS1_11target_archE1200ELNS1_3gpuE4ELNS1_3repE0EEENS1_60segmented_radix_sort_warp_sort_medium_config_static_selectorELNS0_4arch9wavefront6targetE1EEEvSK_,"axG",@progbits,_ZN7rocprim17ROCPRIM_400000_NS6detail17trampoline_kernelINS0_14default_configENS1_36segmented_radix_sort_config_selectorIflEEZNS1_25segmented_radix_sort_implIS3_Lb0EPKfPfPKlPlN2at6native12_GLOBAL__N_18offset_tEEE10hipError_tPvRmT1_PNSt15iterator_traitsISK_E10value_typeET2_T3_PNSL_ISQ_E10value_typeET4_jRbjT5_SW_jjP12ihipStream_tbEUlT_E0_NS1_11comp_targetILNS1_3genE10ELNS1_11target_archE1200ELNS1_3gpuE4ELNS1_3repE0EEENS1_60segmented_radix_sort_warp_sort_medium_config_static_selectorELNS0_4arch9wavefront6targetE1EEEvSK_,comdat
	.globl	_ZN7rocprim17ROCPRIM_400000_NS6detail17trampoline_kernelINS0_14default_configENS1_36segmented_radix_sort_config_selectorIflEEZNS1_25segmented_radix_sort_implIS3_Lb0EPKfPfPKlPlN2at6native12_GLOBAL__N_18offset_tEEE10hipError_tPvRmT1_PNSt15iterator_traitsISK_E10value_typeET2_T3_PNSL_ISQ_E10value_typeET4_jRbjT5_SW_jjP12ihipStream_tbEUlT_E0_NS1_11comp_targetILNS1_3genE10ELNS1_11target_archE1200ELNS1_3gpuE4ELNS1_3repE0EEENS1_60segmented_radix_sort_warp_sort_medium_config_static_selectorELNS0_4arch9wavefront6targetE1EEEvSK_ ; -- Begin function _ZN7rocprim17ROCPRIM_400000_NS6detail17trampoline_kernelINS0_14default_configENS1_36segmented_radix_sort_config_selectorIflEEZNS1_25segmented_radix_sort_implIS3_Lb0EPKfPfPKlPlN2at6native12_GLOBAL__N_18offset_tEEE10hipError_tPvRmT1_PNSt15iterator_traitsISK_E10value_typeET2_T3_PNSL_ISQ_E10value_typeET4_jRbjT5_SW_jjP12ihipStream_tbEUlT_E0_NS1_11comp_targetILNS1_3genE10ELNS1_11target_archE1200ELNS1_3gpuE4ELNS1_3repE0EEENS1_60segmented_radix_sort_warp_sort_medium_config_static_selectorELNS0_4arch9wavefront6targetE1EEEvSK_
	.p2align	8
	.type	_ZN7rocprim17ROCPRIM_400000_NS6detail17trampoline_kernelINS0_14default_configENS1_36segmented_radix_sort_config_selectorIflEEZNS1_25segmented_radix_sort_implIS3_Lb0EPKfPfPKlPlN2at6native12_GLOBAL__N_18offset_tEEE10hipError_tPvRmT1_PNSt15iterator_traitsISK_E10value_typeET2_T3_PNSL_ISQ_E10value_typeET4_jRbjT5_SW_jjP12ihipStream_tbEUlT_E0_NS1_11comp_targetILNS1_3genE10ELNS1_11target_archE1200ELNS1_3gpuE4ELNS1_3repE0EEENS1_60segmented_radix_sort_warp_sort_medium_config_static_selectorELNS0_4arch9wavefront6targetE1EEEvSK_,@function
_ZN7rocprim17ROCPRIM_400000_NS6detail17trampoline_kernelINS0_14default_configENS1_36segmented_radix_sort_config_selectorIflEEZNS1_25segmented_radix_sort_implIS3_Lb0EPKfPfPKlPlN2at6native12_GLOBAL__N_18offset_tEEE10hipError_tPvRmT1_PNSt15iterator_traitsISK_E10value_typeET2_T3_PNSL_ISQ_E10value_typeET4_jRbjT5_SW_jjP12ihipStream_tbEUlT_E0_NS1_11comp_targetILNS1_3genE10ELNS1_11target_archE1200ELNS1_3gpuE4ELNS1_3repE0EEENS1_60segmented_radix_sort_warp_sort_medium_config_static_selectorELNS0_4arch9wavefront6targetE1EEEvSK_: ; @_ZN7rocprim17ROCPRIM_400000_NS6detail17trampoline_kernelINS0_14default_configENS1_36segmented_radix_sort_config_selectorIflEEZNS1_25segmented_radix_sort_implIS3_Lb0EPKfPfPKlPlN2at6native12_GLOBAL__N_18offset_tEEE10hipError_tPvRmT1_PNSt15iterator_traitsISK_E10value_typeET2_T3_PNSL_ISQ_E10value_typeET4_jRbjT5_SW_jjP12ihipStream_tbEUlT_E0_NS1_11comp_targetILNS1_3genE10ELNS1_11target_archE1200ELNS1_3gpuE4ELNS1_3repE0EEENS1_60segmented_radix_sort_warp_sort_medium_config_static_selectorELNS0_4arch9wavefront6targetE1EEEvSK_
; %bb.0:
	.section	.rodata,"a",@progbits
	.p2align	6, 0x0
	.amdhsa_kernel _ZN7rocprim17ROCPRIM_400000_NS6detail17trampoline_kernelINS0_14default_configENS1_36segmented_radix_sort_config_selectorIflEEZNS1_25segmented_radix_sort_implIS3_Lb0EPKfPfPKlPlN2at6native12_GLOBAL__N_18offset_tEEE10hipError_tPvRmT1_PNSt15iterator_traitsISK_E10value_typeET2_T3_PNSL_ISQ_E10value_typeET4_jRbjT5_SW_jjP12ihipStream_tbEUlT_E0_NS1_11comp_targetILNS1_3genE10ELNS1_11target_archE1200ELNS1_3gpuE4ELNS1_3repE0EEENS1_60segmented_radix_sort_warp_sort_medium_config_static_selectorELNS0_4arch9wavefront6targetE1EEEvSK_
		.amdhsa_group_segment_fixed_size 0
		.amdhsa_private_segment_fixed_size 0
		.amdhsa_kernarg_size 88
		.amdhsa_user_sgpr_count 6
		.amdhsa_user_sgpr_private_segment_buffer 1
		.amdhsa_user_sgpr_dispatch_ptr 0
		.amdhsa_user_sgpr_queue_ptr 0
		.amdhsa_user_sgpr_kernarg_segment_ptr 1
		.amdhsa_user_sgpr_dispatch_id 0
		.amdhsa_user_sgpr_flat_scratch_init 0
		.amdhsa_user_sgpr_private_segment_size 0
		.amdhsa_uses_dynamic_stack 0
		.amdhsa_system_sgpr_private_segment_wavefront_offset 0
		.amdhsa_system_sgpr_workgroup_id_x 1
		.amdhsa_system_sgpr_workgroup_id_y 0
		.amdhsa_system_sgpr_workgroup_id_z 0
		.amdhsa_system_sgpr_workgroup_info 0
		.amdhsa_system_vgpr_workitem_id 0
		.amdhsa_next_free_vgpr 1
		.amdhsa_next_free_sgpr 0
		.amdhsa_reserve_vcc 0
		.amdhsa_reserve_flat_scratch 0
		.amdhsa_float_round_mode_32 0
		.amdhsa_float_round_mode_16_64 0
		.amdhsa_float_denorm_mode_32 3
		.amdhsa_float_denorm_mode_16_64 3
		.amdhsa_dx10_clamp 1
		.amdhsa_ieee_mode 1
		.amdhsa_fp16_overflow 0
		.amdhsa_exception_fp_ieee_invalid_op 0
		.amdhsa_exception_fp_denorm_src 0
		.amdhsa_exception_fp_ieee_div_zero 0
		.amdhsa_exception_fp_ieee_overflow 0
		.amdhsa_exception_fp_ieee_underflow 0
		.amdhsa_exception_fp_ieee_inexact 0
		.amdhsa_exception_int_div_zero 0
	.end_amdhsa_kernel
	.section	.text._ZN7rocprim17ROCPRIM_400000_NS6detail17trampoline_kernelINS0_14default_configENS1_36segmented_radix_sort_config_selectorIflEEZNS1_25segmented_radix_sort_implIS3_Lb0EPKfPfPKlPlN2at6native12_GLOBAL__N_18offset_tEEE10hipError_tPvRmT1_PNSt15iterator_traitsISK_E10value_typeET2_T3_PNSL_ISQ_E10value_typeET4_jRbjT5_SW_jjP12ihipStream_tbEUlT_E0_NS1_11comp_targetILNS1_3genE10ELNS1_11target_archE1200ELNS1_3gpuE4ELNS1_3repE0EEENS1_60segmented_radix_sort_warp_sort_medium_config_static_selectorELNS0_4arch9wavefront6targetE1EEEvSK_,"axG",@progbits,_ZN7rocprim17ROCPRIM_400000_NS6detail17trampoline_kernelINS0_14default_configENS1_36segmented_radix_sort_config_selectorIflEEZNS1_25segmented_radix_sort_implIS3_Lb0EPKfPfPKlPlN2at6native12_GLOBAL__N_18offset_tEEE10hipError_tPvRmT1_PNSt15iterator_traitsISK_E10value_typeET2_T3_PNSL_ISQ_E10value_typeET4_jRbjT5_SW_jjP12ihipStream_tbEUlT_E0_NS1_11comp_targetILNS1_3genE10ELNS1_11target_archE1200ELNS1_3gpuE4ELNS1_3repE0EEENS1_60segmented_radix_sort_warp_sort_medium_config_static_selectorELNS0_4arch9wavefront6targetE1EEEvSK_,comdat
.Lfunc_end1445:
	.size	_ZN7rocprim17ROCPRIM_400000_NS6detail17trampoline_kernelINS0_14default_configENS1_36segmented_radix_sort_config_selectorIflEEZNS1_25segmented_radix_sort_implIS3_Lb0EPKfPfPKlPlN2at6native12_GLOBAL__N_18offset_tEEE10hipError_tPvRmT1_PNSt15iterator_traitsISK_E10value_typeET2_T3_PNSL_ISQ_E10value_typeET4_jRbjT5_SW_jjP12ihipStream_tbEUlT_E0_NS1_11comp_targetILNS1_3genE10ELNS1_11target_archE1200ELNS1_3gpuE4ELNS1_3repE0EEENS1_60segmented_radix_sort_warp_sort_medium_config_static_selectorELNS0_4arch9wavefront6targetE1EEEvSK_, .Lfunc_end1445-_ZN7rocprim17ROCPRIM_400000_NS6detail17trampoline_kernelINS0_14default_configENS1_36segmented_radix_sort_config_selectorIflEEZNS1_25segmented_radix_sort_implIS3_Lb0EPKfPfPKlPlN2at6native12_GLOBAL__N_18offset_tEEE10hipError_tPvRmT1_PNSt15iterator_traitsISK_E10value_typeET2_T3_PNSL_ISQ_E10value_typeET4_jRbjT5_SW_jjP12ihipStream_tbEUlT_E0_NS1_11comp_targetILNS1_3genE10ELNS1_11target_archE1200ELNS1_3gpuE4ELNS1_3repE0EEENS1_60segmented_radix_sort_warp_sort_medium_config_static_selectorELNS0_4arch9wavefront6targetE1EEEvSK_
                                        ; -- End function
	.set _ZN7rocprim17ROCPRIM_400000_NS6detail17trampoline_kernelINS0_14default_configENS1_36segmented_radix_sort_config_selectorIflEEZNS1_25segmented_radix_sort_implIS3_Lb0EPKfPfPKlPlN2at6native12_GLOBAL__N_18offset_tEEE10hipError_tPvRmT1_PNSt15iterator_traitsISK_E10value_typeET2_T3_PNSL_ISQ_E10value_typeET4_jRbjT5_SW_jjP12ihipStream_tbEUlT_E0_NS1_11comp_targetILNS1_3genE10ELNS1_11target_archE1200ELNS1_3gpuE4ELNS1_3repE0EEENS1_60segmented_radix_sort_warp_sort_medium_config_static_selectorELNS0_4arch9wavefront6targetE1EEEvSK_.num_vgpr, 0
	.set _ZN7rocprim17ROCPRIM_400000_NS6detail17trampoline_kernelINS0_14default_configENS1_36segmented_radix_sort_config_selectorIflEEZNS1_25segmented_radix_sort_implIS3_Lb0EPKfPfPKlPlN2at6native12_GLOBAL__N_18offset_tEEE10hipError_tPvRmT1_PNSt15iterator_traitsISK_E10value_typeET2_T3_PNSL_ISQ_E10value_typeET4_jRbjT5_SW_jjP12ihipStream_tbEUlT_E0_NS1_11comp_targetILNS1_3genE10ELNS1_11target_archE1200ELNS1_3gpuE4ELNS1_3repE0EEENS1_60segmented_radix_sort_warp_sort_medium_config_static_selectorELNS0_4arch9wavefront6targetE1EEEvSK_.num_agpr, 0
	.set _ZN7rocprim17ROCPRIM_400000_NS6detail17trampoline_kernelINS0_14default_configENS1_36segmented_radix_sort_config_selectorIflEEZNS1_25segmented_radix_sort_implIS3_Lb0EPKfPfPKlPlN2at6native12_GLOBAL__N_18offset_tEEE10hipError_tPvRmT1_PNSt15iterator_traitsISK_E10value_typeET2_T3_PNSL_ISQ_E10value_typeET4_jRbjT5_SW_jjP12ihipStream_tbEUlT_E0_NS1_11comp_targetILNS1_3genE10ELNS1_11target_archE1200ELNS1_3gpuE4ELNS1_3repE0EEENS1_60segmented_radix_sort_warp_sort_medium_config_static_selectorELNS0_4arch9wavefront6targetE1EEEvSK_.numbered_sgpr, 0
	.set _ZN7rocprim17ROCPRIM_400000_NS6detail17trampoline_kernelINS0_14default_configENS1_36segmented_radix_sort_config_selectorIflEEZNS1_25segmented_radix_sort_implIS3_Lb0EPKfPfPKlPlN2at6native12_GLOBAL__N_18offset_tEEE10hipError_tPvRmT1_PNSt15iterator_traitsISK_E10value_typeET2_T3_PNSL_ISQ_E10value_typeET4_jRbjT5_SW_jjP12ihipStream_tbEUlT_E0_NS1_11comp_targetILNS1_3genE10ELNS1_11target_archE1200ELNS1_3gpuE4ELNS1_3repE0EEENS1_60segmented_radix_sort_warp_sort_medium_config_static_selectorELNS0_4arch9wavefront6targetE1EEEvSK_.num_named_barrier, 0
	.set _ZN7rocprim17ROCPRIM_400000_NS6detail17trampoline_kernelINS0_14default_configENS1_36segmented_radix_sort_config_selectorIflEEZNS1_25segmented_radix_sort_implIS3_Lb0EPKfPfPKlPlN2at6native12_GLOBAL__N_18offset_tEEE10hipError_tPvRmT1_PNSt15iterator_traitsISK_E10value_typeET2_T3_PNSL_ISQ_E10value_typeET4_jRbjT5_SW_jjP12ihipStream_tbEUlT_E0_NS1_11comp_targetILNS1_3genE10ELNS1_11target_archE1200ELNS1_3gpuE4ELNS1_3repE0EEENS1_60segmented_radix_sort_warp_sort_medium_config_static_selectorELNS0_4arch9wavefront6targetE1EEEvSK_.private_seg_size, 0
	.set _ZN7rocprim17ROCPRIM_400000_NS6detail17trampoline_kernelINS0_14default_configENS1_36segmented_radix_sort_config_selectorIflEEZNS1_25segmented_radix_sort_implIS3_Lb0EPKfPfPKlPlN2at6native12_GLOBAL__N_18offset_tEEE10hipError_tPvRmT1_PNSt15iterator_traitsISK_E10value_typeET2_T3_PNSL_ISQ_E10value_typeET4_jRbjT5_SW_jjP12ihipStream_tbEUlT_E0_NS1_11comp_targetILNS1_3genE10ELNS1_11target_archE1200ELNS1_3gpuE4ELNS1_3repE0EEENS1_60segmented_radix_sort_warp_sort_medium_config_static_selectorELNS0_4arch9wavefront6targetE1EEEvSK_.uses_vcc, 0
	.set _ZN7rocprim17ROCPRIM_400000_NS6detail17trampoline_kernelINS0_14default_configENS1_36segmented_radix_sort_config_selectorIflEEZNS1_25segmented_radix_sort_implIS3_Lb0EPKfPfPKlPlN2at6native12_GLOBAL__N_18offset_tEEE10hipError_tPvRmT1_PNSt15iterator_traitsISK_E10value_typeET2_T3_PNSL_ISQ_E10value_typeET4_jRbjT5_SW_jjP12ihipStream_tbEUlT_E0_NS1_11comp_targetILNS1_3genE10ELNS1_11target_archE1200ELNS1_3gpuE4ELNS1_3repE0EEENS1_60segmented_radix_sort_warp_sort_medium_config_static_selectorELNS0_4arch9wavefront6targetE1EEEvSK_.uses_flat_scratch, 0
	.set _ZN7rocprim17ROCPRIM_400000_NS6detail17trampoline_kernelINS0_14default_configENS1_36segmented_radix_sort_config_selectorIflEEZNS1_25segmented_radix_sort_implIS3_Lb0EPKfPfPKlPlN2at6native12_GLOBAL__N_18offset_tEEE10hipError_tPvRmT1_PNSt15iterator_traitsISK_E10value_typeET2_T3_PNSL_ISQ_E10value_typeET4_jRbjT5_SW_jjP12ihipStream_tbEUlT_E0_NS1_11comp_targetILNS1_3genE10ELNS1_11target_archE1200ELNS1_3gpuE4ELNS1_3repE0EEENS1_60segmented_radix_sort_warp_sort_medium_config_static_selectorELNS0_4arch9wavefront6targetE1EEEvSK_.has_dyn_sized_stack, 0
	.set _ZN7rocprim17ROCPRIM_400000_NS6detail17trampoline_kernelINS0_14default_configENS1_36segmented_radix_sort_config_selectorIflEEZNS1_25segmented_radix_sort_implIS3_Lb0EPKfPfPKlPlN2at6native12_GLOBAL__N_18offset_tEEE10hipError_tPvRmT1_PNSt15iterator_traitsISK_E10value_typeET2_T3_PNSL_ISQ_E10value_typeET4_jRbjT5_SW_jjP12ihipStream_tbEUlT_E0_NS1_11comp_targetILNS1_3genE10ELNS1_11target_archE1200ELNS1_3gpuE4ELNS1_3repE0EEENS1_60segmented_radix_sort_warp_sort_medium_config_static_selectorELNS0_4arch9wavefront6targetE1EEEvSK_.has_recursion, 0
	.set _ZN7rocprim17ROCPRIM_400000_NS6detail17trampoline_kernelINS0_14default_configENS1_36segmented_radix_sort_config_selectorIflEEZNS1_25segmented_radix_sort_implIS3_Lb0EPKfPfPKlPlN2at6native12_GLOBAL__N_18offset_tEEE10hipError_tPvRmT1_PNSt15iterator_traitsISK_E10value_typeET2_T3_PNSL_ISQ_E10value_typeET4_jRbjT5_SW_jjP12ihipStream_tbEUlT_E0_NS1_11comp_targetILNS1_3genE10ELNS1_11target_archE1200ELNS1_3gpuE4ELNS1_3repE0EEENS1_60segmented_radix_sort_warp_sort_medium_config_static_selectorELNS0_4arch9wavefront6targetE1EEEvSK_.has_indirect_call, 0
	.section	.AMDGPU.csdata,"",@progbits
; Kernel info:
; codeLenInByte = 0
; TotalNumSgprs: 4
; NumVgprs: 0
; ScratchSize: 0
; MemoryBound: 0
; FloatMode: 240
; IeeeMode: 1
; LDSByteSize: 0 bytes/workgroup (compile time only)
; SGPRBlocks: 0
; VGPRBlocks: 0
; NumSGPRsForWavesPerEU: 4
; NumVGPRsForWavesPerEU: 1
; Occupancy: 10
; WaveLimiterHint : 0
; COMPUTE_PGM_RSRC2:SCRATCH_EN: 0
; COMPUTE_PGM_RSRC2:USER_SGPR: 6
; COMPUTE_PGM_RSRC2:TRAP_HANDLER: 0
; COMPUTE_PGM_RSRC2:TGID_X_EN: 1
; COMPUTE_PGM_RSRC2:TGID_Y_EN: 0
; COMPUTE_PGM_RSRC2:TGID_Z_EN: 0
; COMPUTE_PGM_RSRC2:TIDIG_COMP_CNT: 0
	.section	.text._ZN7rocprim17ROCPRIM_400000_NS6detail17trampoline_kernelINS0_14default_configENS1_36segmented_radix_sort_config_selectorIflEEZNS1_25segmented_radix_sort_implIS3_Lb0EPKfPfPKlPlN2at6native12_GLOBAL__N_18offset_tEEE10hipError_tPvRmT1_PNSt15iterator_traitsISK_E10value_typeET2_T3_PNSL_ISQ_E10value_typeET4_jRbjT5_SW_jjP12ihipStream_tbEUlT_E0_NS1_11comp_targetILNS1_3genE9ELNS1_11target_archE1100ELNS1_3gpuE3ELNS1_3repE0EEENS1_60segmented_radix_sort_warp_sort_medium_config_static_selectorELNS0_4arch9wavefront6targetE1EEEvSK_,"axG",@progbits,_ZN7rocprim17ROCPRIM_400000_NS6detail17trampoline_kernelINS0_14default_configENS1_36segmented_radix_sort_config_selectorIflEEZNS1_25segmented_radix_sort_implIS3_Lb0EPKfPfPKlPlN2at6native12_GLOBAL__N_18offset_tEEE10hipError_tPvRmT1_PNSt15iterator_traitsISK_E10value_typeET2_T3_PNSL_ISQ_E10value_typeET4_jRbjT5_SW_jjP12ihipStream_tbEUlT_E0_NS1_11comp_targetILNS1_3genE9ELNS1_11target_archE1100ELNS1_3gpuE3ELNS1_3repE0EEENS1_60segmented_radix_sort_warp_sort_medium_config_static_selectorELNS0_4arch9wavefront6targetE1EEEvSK_,comdat
	.globl	_ZN7rocprim17ROCPRIM_400000_NS6detail17trampoline_kernelINS0_14default_configENS1_36segmented_radix_sort_config_selectorIflEEZNS1_25segmented_radix_sort_implIS3_Lb0EPKfPfPKlPlN2at6native12_GLOBAL__N_18offset_tEEE10hipError_tPvRmT1_PNSt15iterator_traitsISK_E10value_typeET2_T3_PNSL_ISQ_E10value_typeET4_jRbjT5_SW_jjP12ihipStream_tbEUlT_E0_NS1_11comp_targetILNS1_3genE9ELNS1_11target_archE1100ELNS1_3gpuE3ELNS1_3repE0EEENS1_60segmented_radix_sort_warp_sort_medium_config_static_selectorELNS0_4arch9wavefront6targetE1EEEvSK_ ; -- Begin function _ZN7rocprim17ROCPRIM_400000_NS6detail17trampoline_kernelINS0_14default_configENS1_36segmented_radix_sort_config_selectorIflEEZNS1_25segmented_radix_sort_implIS3_Lb0EPKfPfPKlPlN2at6native12_GLOBAL__N_18offset_tEEE10hipError_tPvRmT1_PNSt15iterator_traitsISK_E10value_typeET2_T3_PNSL_ISQ_E10value_typeET4_jRbjT5_SW_jjP12ihipStream_tbEUlT_E0_NS1_11comp_targetILNS1_3genE9ELNS1_11target_archE1100ELNS1_3gpuE3ELNS1_3repE0EEENS1_60segmented_radix_sort_warp_sort_medium_config_static_selectorELNS0_4arch9wavefront6targetE1EEEvSK_
	.p2align	8
	.type	_ZN7rocprim17ROCPRIM_400000_NS6detail17trampoline_kernelINS0_14default_configENS1_36segmented_radix_sort_config_selectorIflEEZNS1_25segmented_radix_sort_implIS3_Lb0EPKfPfPKlPlN2at6native12_GLOBAL__N_18offset_tEEE10hipError_tPvRmT1_PNSt15iterator_traitsISK_E10value_typeET2_T3_PNSL_ISQ_E10value_typeET4_jRbjT5_SW_jjP12ihipStream_tbEUlT_E0_NS1_11comp_targetILNS1_3genE9ELNS1_11target_archE1100ELNS1_3gpuE3ELNS1_3repE0EEENS1_60segmented_radix_sort_warp_sort_medium_config_static_selectorELNS0_4arch9wavefront6targetE1EEEvSK_,@function
_ZN7rocprim17ROCPRIM_400000_NS6detail17trampoline_kernelINS0_14default_configENS1_36segmented_radix_sort_config_selectorIflEEZNS1_25segmented_radix_sort_implIS3_Lb0EPKfPfPKlPlN2at6native12_GLOBAL__N_18offset_tEEE10hipError_tPvRmT1_PNSt15iterator_traitsISK_E10value_typeET2_T3_PNSL_ISQ_E10value_typeET4_jRbjT5_SW_jjP12ihipStream_tbEUlT_E0_NS1_11comp_targetILNS1_3genE9ELNS1_11target_archE1100ELNS1_3gpuE3ELNS1_3repE0EEENS1_60segmented_radix_sort_warp_sort_medium_config_static_selectorELNS0_4arch9wavefront6targetE1EEEvSK_: ; @_ZN7rocprim17ROCPRIM_400000_NS6detail17trampoline_kernelINS0_14default_configENS1_36segmented_radix_sort_config_selectorIflEEZNS1_25segmented_radix_sort_implIS3_Lb0EPKfPfPKlPlN2at6native12_GLOBAL__N_18offset_tEEE10hipError_tPvRmT1_PNSt15iterator_traitsISK_E10value_typeET2_T3_PNSL_ISQ_E10value_typeET4_jRbjT5_SW_jjP12ihipStream_tbEUlT_E0_NS1_11comp_targetILNS1_3genE9ELNS1_11target_archE1100ELNS1_3gpuE3ELNS1_3repE0EEENS1_60segmented_radix_sort_warp_sort_medium_config_static_selectorELNS0_4arch9wavefront6targetE1EEEvSK_
; %bb.0:
	.section	.rodata,"a",@progbits
	.p2align	6, 0x0
	.amdhsa_kernel _ZN7rocprim17ROCPRIM_400000_NS6detail17trampoline_kernelINS0_14default_configENS1_36segmented_radix_sort_config_selectorIflEEZNS1_25segmented_radix_sort_implIS3_Lb0EPKfPfPKlPlN2at6native12_GLOBAL__N_18offset_tEEE10hipError_tPvRmT1_PNSt15iterator_traitsISK_E10value_typeET2_T3_PNSL_ISQ_E10value_typeET4_jRbjT5_SW_jjP12ihipStream_tbEUlT_E0_NS1_11comp_targetILNS1_3genE9ELNS1_11target_archE1100ELNS1_3gpuE3ELNS1_3repE0EEENS1_60segmented_radix_sort_warp_sort_medium_config_static_selectorELNS0_4arch9wavefront6targetE1EEEvSK_
		.amdhsa_group_segment_fixed_size 0
		.amdhsa_private_segment_fixed_size 0
		.amdhsa_kernarg_size 88
		.amdhsa_user_sgpr_count 6
		.amdhsa_user_sgpr_private_segment_buffer 1
		.amdhsa_user_sgpr_dispatch_ptr 0
		.amdhsa_user_sgpr_queue_ptr 0
		.amdhsa_user_sgpr_kernarg_segment_ptr 1
		.amdhsa_user_sgpr_dispatch_id 0
		.amdhsa_user_sgpr_flat_scratch_init 0
		.amdhsa_user_sgpr_private_segment_size 0
		.amdhsa_uses_dynamic_stack 0
		.amdhsa_system_sgpr_private_segment_wavefront_offset 0
		.amdhsa_system_sgpr_workgroup_id_x 1
		.amdhsa_system_sgpr_workgroup_id_y 0
		.amdhsa_system_sgpr_workgroup_id_z 0
		.amdhsa_system_sgpr_workgroup_info 0
		.amdhsa_system_vgpr_workitem_id 0
		.amdhsa_next_free_vgpr 1
		.amdhsa_next_free_sgpr 0
		.amdhsa_reserve_vcc 0
		.amdhsa_reserve_flat_scratch 0
		.amdhsa_float_round_mode_32 0
		.amdhsa_float_round_mode_16_64 0
		.amdhsa_float_denorm_mode_32 3
		.amdhsa_float_denorm_mode_16_64 3
		.amdhsa_dx10_clamp 1
		.amdhsa_ieee_mode 1
		.amdhsa_fp16_overflow 0
		.amdhsa_exception_fp_ieee_invalid_op 0
		.amdhsa_exception_fp_denorm_src 0
		.amdhsa_exception_fp_ieee_div_zero 0
		.amdhsa_exception_fp_ieee_overflow 0
		.amdhsa_exception_fp_ieee_underflow 0
		.amdhsa_exception_fp_ieee_inexact 0
		.amdhsa_exception_int_div_zero 0
	.end_amdhsa_kernel
	.section	.text._ZN7rocprim17ROCPRIM_400000_NS6detail17trampoline_kernelINS0_14default_configENS1_36segmented_radix_sort_config_selectorIflEEZNS1_25segmented_radix_sort_implIS3_Lb0EPKfPfPKlPlN2at6native12_GLOBAL__N_18offset_tEEE10hipError_tPvRmT1_PNSt15iterator_traitsISK_E10value_typeET2_T3_PNSL_ISQ_E10value_typeET4_jRbjT5_SW_jjP12ihipStream_tbEUlT_E0_NS1_11comp_targetILNS1_3genE9ELNS1_11target_archE1100ELNS1_3gpuE3ELNS1_3repE0EEENS1_60segmented_radix_sort_warp_sort_medium_config_static_selectorELNS0_4arch9wavefront6targetE1EEEvSK_,"axG",@progbits,_ZN7rocprim17ROCPRIM_400000_NS6detail17trampoline_kernelINS0_14default_configENS1_36segmented_radix_sort_config_selectorIflEEZNS1_25segmented_radix_sort_implIS3_Lb0EPKfPfPKlPlN2at6native12_GLOBAL__N_18offset_tEEE10hipError_tPvRmT1_PNSt15iterator_traitsISK_E10value_typeET2_T3_PNSL_ISQ_E10value_typeET4_jRbjT5_SW_jjP12ihipStream_tbEUlT_E0_NS1_11comp_targetILNS1_3genE9ELNS1_11target_archE1100ELNS1_3gpuE3ELNS1_3repE0EEENS1_60segmented_radix_sort_warp_sort_medium_config_static_selectorELNS0_4arch9wavefront6targetE1EEEvSK_,comdat
.Lfunc_end1446:
	.size	_ZN7rocprim17ROCPRIM_400000_NS6detail17trampoline_kernelINS0_14default_configENS1_36segmented_radix_sort_config_selectorIflEEZNS1_25segmented_radix_sort_implIS3_Lb0EPKfPfPKlPlN2at6native12_GLOBAL__N_18offset_tEEE10hipError_tPvRmT1_PNSt15iterator_traitsISK_E10value_typeET2_T3_PNSL_ISQ_E10value_typeET4_jRbjT5_SW_jjP12ihipStream_tbEUlT_E0_NS1_11comp_targetILNS1_3genE9ELNS1_11target_archE1100ELNS1_3gpuE3ELNS1_3repE0EEENS1_60segmented_radix_sort_warp_sort_medium_config_static_selectorELNS0_4arch9wavefront6targetE1EEEvSK_, .Lfunc_end1446-_ZN7rocprim17ROCPRIM_400000_NS6detail17trampoline_kernelINS0_14default_configENS1_36segmented_radix_sort_config_selectorIflEEZNS1_25segmented_radix_sort_implIS3_Lb0EPKfPfPKlPlN2at6native12_GLOBAL__N_18offset_tEEE10hipError_tPvRmT1_PNSt15iterator_traitsISK_E10value_typeET2_T3_PNSL_ISQ_E10value_typeET4_jRbjT5_SW_jjP12ihipStream_tbEUlT_E0_NS1_11comp_targetILNS1_3genE9ELNS1_11target_archE1100ELNS1_3gpuE3ELNS1_3repE0EEENS1_60segmented_radix_sort_warp_sort_medium_config_static_selectorELNS0_4arch9wavefront6targetE1EEEvSK_
                                        ; -- End function
	.set _ZN7rocprim17ROCPRIM_400000_NS6detail17trampoline_kernelINS0_14default_configENS1_36segmented_radix_sort_config_selectorIflEEZNS1_25segmented_radix_sort_implIS3_Lb0EPKfPfPKlPlN2at6native12_GLOBAL__N_18offset_tEEE10hipError_tPvRmT1_PNSt15iterator_traitsISK_E10value_typeET2_T3_PNSL_ISQ_E10value_typeET4_jRbjT5_SW_jjP12ihipStream_tbEUlT_E0_NS1_11comp_targetILNS1_3genE9ELNS1_11target_archE1100ELNS1_3gpuE3ELNS1_3repE0EEENS1_60segmented_radix_sort_warp_sort_medium_config_static_selectorELNS0_4arch9wavefront6targetE1EEEvSK_.num_vgpr, 0
	.set _ZN7rocprim17ROCPRIM_400000_NS6detail17trampoline_kernelINS0_14default_configENS1_36segmented_radix_sort_config_selectorIflEEZNS1_25segmented_radix_sort_implIS3_Lb0EPKfPfPKlPlN2at6native12_GLOBAL__N_18offset_tEEE10hipError_tPvRmT1_PNSt15iterator_traitsISK_E10value_typeET2_T3_PNSL_ISQ_E10value_typeET4_jRbjT5_SW_jjP12ihipStream_tbEUlT_E0_NS1_11comp_targetILNS1_3genE9ELNS1_11target_archE1100ELNS1_3gpuE3ELNS1_3repE0EEENS1_60segmented_radix_sort_warp_sort_medium_config_static_selectorELNS0_4arch9wavefront6targetE1EEEvSK_.num_agpr, 0
	.set _ZN7rocprim17ROCPRIM_400000_NS6detail17trampoline_kernelINS0_14default_configENS1_36segmented_radix_sort_config_selectorIflEEZNS1_25segmented_radix_sort_implIS3_Lb0EPKfPfPKlPlN2at6native12_GLOBAL__N_18offset_tEEE10hipError_tPvRmT1_PNSt15iterator_traitsISK_E10value_typeET2_T3_PNSL_ISQ_E10value_typeET4_jRbjT5_SW_jjP12ihipStream_tbEUlT_E0_NS1_11comp_targetILNS1_3genE9ELNS1_11target_archE1100ELNS1_3gpuE3ELNS1_3repE0EEENS1_60segmented_radix_sort_warp_sort_medium_config_static_selectorELNS0_4arch9wavefront6targetE1EEEvSK_.numbered_sgpr, 0
	.set _ZN7rocprim17ROCPRIM_400000_NS6detail17trampoline_kernelINS0_14default_configENS1_36segmented_radix_sort_config_selectorIflEEZNS1_25segmented_radix_sort_implIS3_Lb0EPKfPfPKlPlN2at6native12_GLOBAL__N_18offset_tEEE10hipError_tPvRmT1_PNSt15iterator_traitsISK_E10value_typeET2_T3_PNSL_ISQ_E10value_typeET4_jRbjT5_SW_jjP12ihipStream_tbEUlT_E0_NS1_11comp_targetILNS1_3genE9ELNS1_11target_archE1100ELNS1_3gpuE3ELNS1_3repE0EEENS1_60segmented_radix_sort_warp_sort_medium_config_static_selectorELNS0_4arch9wavefront6targetE1EEEvSK_.num_named_barrier, 0
	.set _ZN7rocprim17ROCPRIM_400000_NS6detail17trampoline_kernelINS0_14default_configENS1_36segmented_radix_sort_config_selectorIflEEZNS1_25segmented_radix_sort_implIS3_Lb0EPKfPfPKlPlN2at6native12_GLOBAL__N_18offset_tEEE10hipError_tPvRmT1_PNSt15iterator_traitsISK_E10value_typeET2_T3_PNSL_ISQ_E10value_typeET4_jRbjT5_SW_jjP12ihipStream_tbEUlT_E0_NS1_11comp_targetILNS1_3genE9ELNS1_11target_archE1100ELNS1_3gpuE3ELNS1_3repE0EEENS1_60segmented_radix_sort_warp_sort_medium_config_static_selectorELNS0_4arch9wavefront6targetE1EEEvSK_.private_seg_size, 0
	.set _ZN7rocprim17ROCPRIM_400000_NS6detail17trampoline_kernelINS0_14default_configENS1_36segmented_radix_sort_config_selectorIflEEZNS1_25segmented_radix_sort_implIS3_Lb0EPKfPfPKlPlN2at6native12_GLOBAL__N_18offset_tEEE10hipError_tPvRmT1_PNSt15iterator_traitsISK_E10value_typeET2_T3_PNSL_ISQ_E10value_typeET4_jRbjT5_SW_jjP12ihipStream_tbEUlT_E0_NS1_11comp_targetILNS1_3genE9ELNS1_11target_archE1100ELNS1_3gpuE3ELNS1_3repE0EEENS1_60segmented_radix_sort_warp_sort_medium_config_static_selectorELNS0_4arch9wavefront6targetE1EEEvSK_.uses_vcc, 0
	.set _ZN7rocprim17ROCPRIM_400000_NS6detail17trampoline_kernelINS0_14default_configENS1_36segmented_radix_sort_config_selectorIflEEZNS1_25segmented_radix_sort_implIS3_Lb0EPKfPfPKlPlN2at6native12_GLOBAL__N_18offset_tEEE10hipError_tPvRmT1_PNSt15iterator_traitsISK_E10value_typeET2_T3_PNSL_ISQ_E10value_typeET4_jRbjT5_SW_jjP12ihipStream_tbEUlT_E0_NS1_11comp_targetILNS1_3genE9ELNS1_11target_archE1100ELNS1_3gpuE3ELNS1_3repE0EEENS1_60segmented_radix_sort_warp_sort_medium_config_static_selectorELNS0_4arch9wavefront6targetE1EEEvSK_.uses_flat_scratch, 0
	.set _ZN7rocprim17ROCPRIM_400000_NS6detail17trampoline_kernelINS0_14default_configENS1_36segmented_radix_sort_config_selectorIflEEZNS1_25segmented_radix_sort_implIS3_Lb0EPKfPfPKlPlN2at6native12_GLOBAL__N_18offset_tEEE10hipError_tPvRmT1_PNSt15iterator_traitsISK_E10value_typeET2_T3_PNSL_ISQ_E10value_typeET4_jRbjT5_SW_jjP12ihipStream_tbEUlT_E0_NS1_11comp_targetILNS1_3genE9ELNS1_11target_archE1100ELNS1_3gpuE3ELNS1_3repE0EEENS1_60segmented_radix_sort_warp_sort_medium_config_static_selectorELNS0_4arch9wavefront6targetE1EEEvSK_.has_dyn_sized_stack, 0
	.set _ZN7rocprim17ROCPRIM_400000_NS6detail17trampoline_kernelINS0_14default_configENS1_36segmented_radix_sort_config_selectorIflEEZNS1_25segmented_radix_sort_implIS3_Lb0EPKfPfPKlPlN2at6native12_GLOBAL__N_18offset_tEEE10hipError_tPvRmT1_PNSt15iterator_traitsISK_E10value_typeET2_T3_PNSL_ISQ_E10value_typeET4_jRbjT5_SW_jjP12ihipStream_tbEUlT_E0_NS1_11comp_targetILNS1_3genE9ELNS1_11target_archE1100ELNS1_3gpuE3ELNS1_3repE0EEENS1_60segmented_radix_sort_warp_sort_medium_config_static_selectorELNS0_4arch9wavefront6targetE1EEEvSK_.has_recursion, 0
	.set _ZN7rocprim17ROCPRIM_400000_NS6detail17trampoline_kernelINS0_14default_configENS1_36segmented_radix_sort_config_selectorIflEEZNS1_25segmented_radix_sort_implIS3_Lb0EPKfPfPKlPlN2at6native12_GLOBAL__N_18offset_tEEE10hipError_tPvRmT1_PNSt15iterator_traitsISK_E10value_typeET2_T3_PNSL_ISQ_E10value_typeET4_jRbjT5_SW_jjP12ihipStream_tbEUlT_E0_NS1_11comp_targetILNS1_3genE9ELNS1_11target_archE1100ELNS1_3gpuE3ELNS1_3repE0EEENS1_60segmented_radix_sort_warp_sort_medium_config_static_selectorELNS0_4arch9wavefront6targetE1EEEvSK_.has_indirect_call, 0
	.section	.AMDGPU.csdata,"",@progbits
; Kernel info:
; codeLenInByte = 0
; TotalNumSgprs: 4
; NumVgprs: 0
; ScratchSize: 0
; MemoryBound: 0
; FloatMode: 240
; IeeeMode: 1
; LDSByteSize: 0 bytes/workgroup (compile time only)
; SGPRBlocks: 0
; VGPRBlocks: 0
; NumSGPRsForWavesPerEU: 4
; NumVGPRsForWavesPerEU: 1
; Occupancy: 10
; WaveLimiterHint : 0
; COMPUTE_PGM_RSRC2:SCRATCH_EN: 0
; COMPUTE_PGM_RSRC2:USER_SGPR: 6
; COMPUTE_PGM_RSRC2:TRAP_HANDLER: 0
; COMPUTE_PGM_RSRC2:TGID_X_EN: 1
; COMPUTE_PGM_RSRC2:TGID_Y_EN: 0
; COMPUTE_PGM_RSRC2:TGID_Z_EN: 0
; COMPUTE_PGM_RSRC2:TIDIG_COMP_CNT: 0
	.section	.text._ZN7rocprim17ROCPRIM_400000_NS6detail17trampoline_kernelINS0_14default_configENS1_36segmented_radix_sort_config_selectorIflEEZNS1_25segmented_radix_sort_implIS3_Lb0EPKfPfPKlPlN2at6native12_GLOBAL__N_18offset_tEEE10hipError_tPvRmT1_PNSt15iterator_traitsISK_E10value_typeET2_T3_PNSL_ISQ_E10value_typeET4_jRbjT5_SW_jjP12ihipStream_tbEUlT_E0_NS1_11comp_targetILNS1_3genE8ELNS1_11target_archE1030ELNS1_3gpuE2ELNS1_3repE0EEENS1_60segmented_radix_sort_warp_sort_medium_config_static_selectorELNS0_4arch9wavefront6targetE1EEEvSK_,"axG",@progbits,_ZN7rocprim17ROCPRIM_400000_NS6detail17trampoline_kernelINS0_14default_configENS1_36segmented_radix_sort_config_selectorIflEEZNS1_25segmented_radix_sort_implIS3_Lb0EPKfPfPKlPlN2at6native12_GLOBAL__N_18offset_tEEE10hipError_tPvRmT1_PNSt15iterator_traitsISK_E10value_typeET2_T3_PNSL_ISQ_E10value_typeET4_jRbjT5_SW_jjP12ihipStream_tbEUlT_E0_NS1_11comp_targetILNS1_3genE8ELNS1_11target_archE1030ELNS1_3gpuE2ELNS1_3repE0EEENS1_60segmented_radix_sort_warp_sort_medium_config_static_selectorELNS0_4arch9wavefront6targetE1EEEvSK_,comdat
	.globl	_ZN7rocprim17ROCPRIM_400000_NS6detail17trampoline_kernelINS0_14default_configENS1_36segmented_radix_sort_config_selectorIflEEZNS1_25segmented_radix_sort_implIS3_Lb0EPKfPfPKlPlN2at6native12_GLOBAL__N_18offset_tEEE10hipError_tPvRmT1_PNSt15iterator_traitsISK_E10value_typeET2_T3_PNSL_ISQ_E10value_typeET4_jRbjT5_SW_jjP12ihipStream_tbEUlT_E0_NS1_11comp_targetILNS1_3genE8ELNS1_11target_archE1030ELNS1_3gpuE2ELNS1_3repE0EEENS1_60segmented_radix_sort_warp_sort_medium_config_static_selectorELNS0_4arch9wavefront6targetE1EEEvSK_ ; -- Begin function _ZN7rocprim17ROCPRIM_400000_NS6detail17trampoline_kernelINS0_14default_configENS1_36segmented_radix_sort_config_selectorIflEEZNS1_25segmented_radix_sort_implIS3_Lb0EPKfPfPKlPlN2at6native12_GLOBAL__N_18offset_tEEE10hipError_tPvRmT1_PNSt15iterator_traitsISK_E10value_typeET2_T3_PNSL_ISQ_E10value_typeET4_jRbjT5_SW_jjP12ihipStream_tbEUlT_E0_NS1_11comp_targetILNS1_3genE8ELNS1_11target_archE1030ELNS1_3gpuE2ELNS1_3repE0EEENS1_60segmented_radix_sort_warp_sort_medium_config_static_selectorELNS0_4arch9wavefront6targetE1EEEvSK_
	.p2align	8
	.type	_ZN7rocprim17ROCPRIM_400000_NS6detail17trampoline_kernelINS0_14default_configENS1_36segmented_radix_sort_config_selectorIflEEZNS1_25segmented_radix_sort_implIS3_Lb0EPKfPfPKlPlN2at6native12_GLOBAL__N_18offset_tEEE10hipError_tPvRmT1_PNSt15iterator_traitsISK_E10value_typeET2_T3_PNSL_ISQ_E10value_typeET4_jRbjT5_SW_jjP12ihipStream_tbEUlT_E0_NS1_11comp_targetILNS1_3genE8ELNS1_11target_archE1030ELNS1_3gpuE2ELNS1_3repE0EEENS1_60segmented_radix_sort_warp_sort_medium_config_static_selectorELNS0_4arch9wavefront6targetE1EEEvSK_,@function
_ZN7rocprim17ROCPRIM_400000_NS6detail17trampoline_kernelINS0_14default_configENS1_36segmented_radix_sort_config_selectorIflEEZNS1_25segmented_radix_sort_implIS3_Lb0EPKfPfPKlPlN2at6native12_GLOBAL__N_18offset_tEEE10hipError_tPvRmT1_PNSt15iterator_traitsISK_E10value_typeET2_T3_PNSL_ISQ_E10value_typeET4_jRbjT5_SW_jjP12ihipStream_tbEUlT_E0_NS1_11comp_targetILNS1_3genE8ELNS1_11target_archE1030ELNS1_3gpuE2ELNS1_3repE0EEENS1_60segmented_radix_sort_warp_sort_medium_config_static_selectorELNS0_4arch9wavefront6targetE1EEEvSK_: ; @_ZN7rocprim17ROCPRIM_400000_NS6detail17trampoline_kernelINS0_14default_configENS1_36segmented_radix_sort_config_selectorIflEEZNS1_25segmented_radix_sort_implIS3_Lb0EPKfPfPKlPlN2at6native12_GLOBAL__N_18offset_tEEE10hipError_tPvRmT1_PNSt15iterator_traitsISK_E10value_typeET2_T3_PNSL_ISQ_E10value_typeET4_jRbjT5_SW_jjP12ihipStream_tbEUlT_E0_NS1_11comp_targetILNS1_3genE8ELNS1_11target_archE1030ELNS1_3gpuE2ELNS1_3repE0EEENS1_60segmented_radix_sort_warp_sort_medium_config_static_selectorELNS0_4arch9wavefront6targetE1EEEvSK_
; %bb.0:
	.section	.rodata,"a",@progbits
	.p2align	6, 0x0
	.amdhsa_kernel _ZN7rocprim17ROCPRIM_400000_NS6detail17trampoline_kernelINS0_14default_configENS1_36segmented_radix_sort_config_selectorIflEEZNS1_25segmented_radix_sort_implIS3_Lb0EPKfPfPKlPlN2at6native12_GLOBAL__N_18offset_tEEE10hipError_tPvRmT1_PNSt15iterator_traitsISK_E10value_typeET2_T3_PNSL_ISQ_E10value_typeET4_jRbjT5_SW_jjP12ihipStream_tbEUlT_E0_NS1_11comp_targetILNS1_3genE8ELNS1_11target_archE1030ELNS1_3gpuE2ELNS1_3repE0EEENS1_60segmented_radix_sort_warp_sort_medium_config_static_selectorELNS0_4arch9wavefront6targetE1EEEvSK_
		.amdhsa_group_segment_fixed_size 0
		.amdhsa_private_segment_fixed_size 0
		.amdhsa_kernarg_size 88
		.amdhsa_user_sgpr_count 6
		.amdhsa_user_sgpr_private_segment_buffer 1
		.amdhsa_user_sgpr_dispatch_ptr 0
		.amdhsa_user_sgpr_queue_ptr 0
		.amdhsa_user_sgpr_kernarg_segment_ptr 1
		.amdhsa_user_sgpr_dispatch_id 0
		.amdhsa_user_sgpr_flat_scratch_init 0
		.amdhsa_user_sgpr_private_segment_size 0
		.amdhsa_uses_dynamic_stack 0
		.amdhsa_system_sgpr_private_segment_wavefront_offset 0
		.amdhsa_system_sgpr_workgroup_id_x 1
		.amdhsa_system_sgpr_workgroup_id_y 0
		.amdhsa_system_sgpr_workgroup_id_z 0
		.amdhsa_system_sgpr_workgroup_info 0
		.amdhsa_system_vgpr_workitem_id 0
		.amdhsa_next_free_vgpr 1
		.amdhsa_next_free_sgpr 0
		.amdhsa_reserve_vcc 0
		.amdhsa_reserve_flat_scratch 0
		.amdhsa_float_round_mode_32 0
		.amdhsa_float_round_mode_16_64 0
		.amdhsa_float_denorm_mode_32 3
		.amdhsa_float_denorm_mode_16_64 3
		.amdhsa_dx10_clamp 1
		.amdhsa_ieee_mode 1
		.amdhsa_fp16_overflow 0
		.amdhsa_exception_fp_ieee_invalid_op 0
		.amdhsa_exception_fp_denorm_src 0
		.amdhsa_exception_fp_ieee_div_zero 0
		.amdhsa_exception_fp_ieee_overflow 0
		.amdhsa_exception_fp_ieee_underflow 0
		.amdhsa_exception_fp_ieee_inexact 0
		.amdhsa_exception_int_div_zero 0
	.end_amdhsa_kernel
	.section	.text._ZN7rocprim17ROCPRIM_400000_NS6detail17trampoline_kernelINS0_14default_configENS1_36segmented_radix_sort_config_selectorIflEEZNS1_25segmented_radix_sort_implIS3_Lb0EPKfPfPKlPlN2at6native12_GLOBAL__N_18offset_tEEE10hipError_tPvRmT1_PNSt15iterator_traitsISK_E10value_typeET2_T3_PNSL_ISQ_E10value_typeET4_jRbjT5_SW_jjP12ihipStream_tbEUlT_E0_NS1_11comp_targetILNS1_3genE8ELNS1_11target_archE1030ELNS1_3gpuE2ELNS1_3repE0EEENS1_60segmented_radix_sort_warp_sort_medium_config_static_selectorELNS0_4arch9wavefront6targetE1EEEvSK_,"axG",@progbits,_ZN7rocprim17ROCPRIM_400000_NS6detail17trampoline_kernelINS0_14default_configENS1_36segmented_radix_sort_config_selectorIflEEZNS1_25segmented_radix_sort_implIS3_Lb0EPKfPfPKlPlN2at6native12_GLOBAL__N_18offset_tEEE10hipError_tPvRmT1_PNSt15iterator_traitsISK_E10value_typeET2_T3_PNSL_ISQ_E10value_typeET4_jRbjT5_SW_jjP12ihipStream_tbEUlT_E0_NS1_11comp_targetILNS1_3genE8ELNS1_11target_archE1030ELNS1_3gpuE2ELNS1_3repE0EEENS1_60segmented_radix_sort_warp_sort_medium_config_static_selectorELNS0_4arch9wavefront6targetE1EEEvSK_,comdat
.Lfunc_end1447:
	.size	_ZN7rocprim17ROCPRIM_400000_NS6detail17trampoline_kernelINS0_14default_configENS1_36segmented_radix_sort_config_selectorIflEEZNS1_25segmented_radix_sort_implIS3_Lb0EPKfPfPKlPlN2at6native12_GLOBAL__N_18offset_tEEE10hipError_tPvRmT1_PNSt15iterator_traitsISK_E10value_typeET2_T3_PNSL_ISQ_E10value_typeET4_jRbjT5_SW_jjP12ihipStream_tbEUlT_E0_NS1_11comp_targetILNS1_3genE8ELNS1_11target_archE1030ELNS1_3gpuE2ELNS1_3repE0EEENS1_60segmented_radix_sort_warp_sort_medium_config_static_selectorELNS0_4arch9wavefront6targetE1EEEvSK_, .Lfunc_end1447-_ZN7rocprim17ROCPRIM_400000_NS6detail17trampoline_kernelINS0_14default_configENS1_36segmented_radix_sort_config_selectorIflEEZNS1_25segmented_radix_sort_implIS3_Lb0EPKfPfPKlPlN2at6native12_GLOBAL__N_18offset_tEEE10hipError_tPvRmT1_PNSt15iterator_traitsISK_E10value_typeET2_T3_PNSL_ISQ_E10value_typeET4_jRbjT5_SW_jjP12ihipStream_tbEUlT_E0_NS1_11comp_targetILNS1_3genE8ELNS1_11target_archE1030ELNS1_3gpuE2ELNS1_3repE0EEENS1_60segmented_radix_sort_warp_sort_medium_config_static_selectorELNS0_4arch9wavefront6targetE1EEEvSK_
                                        ; -- End function
	.set _ZN7rocprim17ROCPRIM_400000_NS6detail17trampoline_kernelINS0_14default_configENS1_36segmented_radix_sort_config_selectorIflEEZNS1_25segmented_radix_sort_implIS3_Lb0EPKfPfPKlPlN2at6native12_GLOBAL__N_18offset_tEEE10hipError_tPvRmT1_PNSt15iterator_traitsISK_E10value_typeET2_T3_PNSL_ISQ_E10value_typeET4_jRbjT5_SW_jjP12ihipStream_tbEUlT_E0_NS1_11comp_targetILNS1_3genE8ELNS1_11target_archE1030ELNS1_3gpuE2ELNS1_3repE0EEENS1_60segmented_radix_sort_warp_sort_medium_config_static_selectorELNS0_4arch9wavefront6targetE1EEEvSK_.num_vgpr, 0
	.set _ZN7rocprim17ROCPRIM_400000_NS6detail17trampoline_kernelINS0_14default_configENS1_36segmented_radix_sort_config_selectorIflEEZNS1_25segmented_radix_sort_implIS3_Lb0EPKfPfPKlPlN2at6native12_GLOBAL__N_18offset_tEEE10hipError_tPvRmT1_PNSt15iterator_traitsISK_E10value_typeET2_T3_PNSL_ISQ_E10value_typeET4_jRbjT5_SW_jjP12ihipStream_tbEUlT_E0_NS1_11comp_targetILNS1_3genE8ELNS1_11target_archE1030ELNS1_3gpuE2ELNS1_3repE0EEENS1_60segmented_radix_sort_warp_sort_medium_config_static_selectorELNS0_4arch9wavefront6targetE1EEEvSK_.num_agpr, 0
	.set _ZN7rocprim17ROCPRIM_400000_NS6detail17trampoline_kernelINS0_14default_configENS1_36segmented_radix_sort_config_selectorIflEEZNS1_25segmented_radix_sort_implIS3_Lb0EPKfPfPKlPlN2at6native12_GLOBAL__N_18offset_tEEE10hipError_tPvRmT1_PNSt15iterator_traitsISK_E10value_typeET2_T3_PNSL_ISQ_E10value_typeET4_jRbjT5_SW_jjP12ihipStream_tbEUlT_E0_NS1_11comp_targetILNS1_3genE8ELNS1_11target_archE1030ELNS1_3gpuE2ELNS1_3repE0EEENS1_60segmented_radix_sort_warp_sort_medium_config_static_selectorELNS0_4arch9wavefront6targetE1EEEvSK_.numbered_sgpr, 0
	.set _ZN7rocprim17ROCPRIM_400000_NS6detail17trampoline_kernelINS0_14default_configENS1_36segmented_radix_sort_config_selectorIflEEZNS1_25segmented_radix_sort_implIS3_Lb0EPKfPfPKlPlN2at6native12_GLOBAL__N_18offset_tEEE10hipError_tPvRmT1_PNSt15iterator_traitsISK_E10value_typeET2_T3_PNSL_ISQ_E10value_typeET4_jRbjT5_SW_jjP12ihipStream_tbEUlT_E0_NS1_11comp_targetILNS1_3genE8ELNS1_11target_archE1030ELNS1_3gpuE2ELNS1_3repE0EEENS1_60segmented_radix_sort_warp_sort_medium_config_static_selectorELNS0_4arch9wavefront6targetE1EEEvSK_.num_named_barrier, 0
	.set _ZN7rocprim17ROCPRIM_400000_NS6detail17trampoline_kernelINS0_14default_configENS1_36segmented_radix_sort_config_selectorIflEEZNS1_25segmented_radix_sort_implIS3_Lb0EPKfPfPKlPlN2at6native12_GLOBAL__N_18offset_tEEE10hipError_tPvRmT1_PNSt15iterator_traitsISK_E10value_typeET2_T3_PNSL_ISQ_E10value_typeET4_jRbjT5_SW_jjP12ihipStream_tbEUlT_E0_NS1_11comp_targetILNS1_3genE8ELNS1_11target_archE1030ELNS1_3gpuE2ELNS1_3repE0EEENS1_60segmented_radix_sort_warp_sort_medium_config_static_selectorELNS0_4arch9wavefront6targetE1EEEvSK_.private_seg_size, 0
	.set _ZN7rocprim17ROCPRIM_400000_NS6detail17trampoline_kernelINS0_14default_configENS1_36segmented_radix_sort_config_selectorIflEEZNS1_25segmented_radix_sort_implIS3_Lb0EPKfPfPKlPlN2at6native12_GLOBAL__N_18offset_tEEE10hipError_tPvRmT1_PNSt15iterator_traitsISK_E10value_typeET2_T3_PNSL_ISQ_E10value_typeET4_jRbjT5_SW_jjP12ihipStream_tbEUlT_E0_NS1_11comp_targetILNS1_3genE8ELNS1_11target_archE1030ELNS1_3gpuE2ELNS1_3repE0EEENS1_60segmented_radix_sort_warp_sort_medium_config_static_selectorELNS0_4arch9wavefront6targetE1EEEvSK_.uses_vcc, 0
	.set _ZN7rocprim17ROCPRIM_400000_NS6detail17trampoline_kernelINS0_14default_configENS1_36segmented_radix_sort_config_selectorIflEEZNS1_25segmented_radix_sort_implIS3_Lb0EPKfPfPKlPlN2at6native12_GLOBAL__N_18offset_tEEE10hipError_tPvRmT1_PNSt15iterator_traitsISK_E10value_typeET2_T3_PNSL_ISQ_E10value_typeET4_jRbjT5_SW_jjP12ihipStream_tbEUlT_E0_NS1_11comp_targetILNS1_3genE8ELNS1_11target_archE1030ELNS1_3gpuE2ELNS1_3repE0EEENS1_60segmented_radix_sort_warp_sort_medium_config_static_selectorELNS0_4arch9wavefront6targetE1EEEvSK_.uses_flat_scratch, 0
	.set _ZN7rocprim17ROCPRIM_400000_NS6detail17trampoline_kernelINS0_14default_configENS1_36segmented_radix_sort_config_selectorIflEEZNS1_25segmented_radix_sort_implIS3_Lb0EPKfPfPKlPlN2at6native12_GLOBAL__N_18offset_tEEE10hipError_tPvRmT1_PNSt15iterator_traitsISK_E10value_typeET2_T3_PNSL_ISQ_E10value_typeET4_jRbjT5_SW_jjP12ihipStream_tbEUlT_E0_NS1_11comp_targetILNS1_3genE8ELNS1_11target_archE1030ELNS1_3gpuE2ELNS1_3repE0EEENS1_60segmented_radix_sort_warp_sort_medium_config_static_selectorELNS0_4arch9wavefront6targetE1EEEvSK_.has_dyn_sized_stack, 0
	.set _ZN7rocprim17ROCPRIM_400000_NS6detail17trampoline_kernelINS0_14default_configENS1_36segmented_radix_sort_config_selectorIflEEZNS1_25segmented_radix_sort_implIS3_Lb0EPKfPfPKlPlN2at6native12_GLOBAL__N_18offset_tEEE10hipError_tPvRmT1_PNSt15iterator_traitsISK_E10value_typeET2_T3_PNSL_ISQ_E10value_typeET4_jRbjT5_SW_jjP12ihipStream_tbEUlT_E0_NS1_11comp_targetILNS1_3genE8ELNS1_11target_archE1030ELNS1_3gpuE2ELNS1_3repE0EEENS1_60segmented_radix_sort_warp_sort_medium_config_static_selectorELNS0_4arch9wavefront6targetE1EEEvSK_.has_recursion, 0
	.set _ZN7rocprim17ROCPRIM_400000_NS6detail17trampoline_kernelINS0_14default_configENS1_36segmented_radix_sort_config_selectorIflEEZNS1_25segmented_radix_sort_implIS3_Lb0EPKfPfPKlPlN2at6native12_GLOBAL__N_18offset_tEEE10hipError_tPvRmT1_PNSt15iterator_traitsISK_E10value_typeET2_T3_PNSL_ISQ_E10value_typeET4_jRbjT5_SW_jjP12ihipStream_tbEUlT_E0_NS1_11comp_targetILNS1_3genE8ELNS1_11target_archE1030ELNS1_3gpuE2ELNS1_3repE0EEENS1_60segmented_radix_sort_warp_sort_medium_config_static_selectorELNS0_4arch9wavefront6targetE1EEEvSK_.has_indirect_call, 0
	.section	.AMDGPU.csdata,"",@progbits
; Kernel info:
; codeLenInByte = 0
; TotalNumSgprs: 4
; NumVgprs: 0
; ScratchSize: 0
; MemoryBound: 0
; FloatMode: 240
; IeeeMode: 1
; LDSByteSize: 0 bytes/workgroup (compile time only)
; SGPRBlocks: 0
; VGPRBlocks: 0
; NumSGPRsForWavesPerEU: 4
; NumVGPRsForWavesPerEU: 1
; Occupancy: 10
; WaveLimiterHint : 0
; COMPUTE_PGM_RSRC2:SCRATCH_EN: 0
; COMPUTE_PGM_RSRC2:USER_SGPR: 6
; COMPUTE_PGM_RSRC2:TRAP_HANDLER: 0
; COMPUTE_PGM_RSRC2:TGID_X_EN: 1
; COMPUTE_PGM_RSRC2:TGID_Y_EN: 0
; COMPUTE_PGM_RSRC2:TGID_Z_EN: 0
; COMPUTE_PGM_RSRC2:TIDIG_COMP_CNT: 0
	.section	.text._ZN7rocprim17ROCPRIM_400000_NS6detail17trampoline_kernelINS0_14default_configENS1_36segmented_radix_sort_config_selectorIflEEZNS1_25segmented_radix_sort_implIS3_Lb0EPKfPfPKlPlN2at6native12_GLOBAL__N_18offset_tEEE10hipError_tPvRmT1_PNSt15iterator_traitsISK_E10value_typeET2_T3_PNSL_ISQ_E10value_typeET4_jRbjT5_SW_jjP12ihipStream_tbEUlT_E1_NS1_11comp_targetILNS1_3genE0ELNS1_11target_archE4294967295ELNS1_3gpuE0ELNS1_3repE0EEENS1_59segmented_radix_sort_warp_sort_small_config_static_selectorELNS0_4arch9wavefront6targetE1EEEvSK_,"axG",@progbits,_ZN7rocprim17ROCPRIM_400000_NS6detail17trampoline_kernelINS0_14default_configENS1_36segmented_radix_sort_config_selectorIflEEZNS1_25segmented_radix_sort_implIS3_Lb0EPKfPfPKlPlN2at6native12_GLOBAL__N_18offset_tEEE10hipError_tPvRmT1_PNSt15iterator_traitsISK_E10value_typeET2_T3_PNSL_ISQ_E10value_typeET4_jRbjT5_SW_jjP12ihipStream_tbEUlT_E1_NS1_11comp_targetILNS1_3genE0ELNS1_11target_archE4294967295ELNS1_3gpuE0ELNS1_3repE0EEENS1_59segmented_radix_sort_warp_sort_small_config_static_selectorELNS0_4arch9wavefront6targetE1EEEvSK_,comdat
	.globl	_ZN7rocprim17ROCPRIM_400000_NS6detail17trampoline_kernelINS0_14default_configENS1_36segmented_radix_sort_config_selectorIflEEZNS1_25segmented_radix_sort_implIS3_Lb0EPKfPfPKlPlN2at6native12_GLOBAL__N_18offset_tEEE10hipError_tPvRmT1_PNSt15iterator_traitsISK_E10value_typeET2_T3_PNSL_ISQ_E10value_typeET4_jRbjT5_SW_jjP12ihipStream_tbEUlT_E1_NS1_11comp_targetILNS1_3genE0ELNS1_11target_archE4294967295ELNS1_3gpuE0ELNS1_3repE0EEENS1_59segmented_radix_sort_warp_sort_small_config_static_selectorELNS0_4arch9wavefront6targetE1EEEvSK_ ; -- Begin function _ZN7rocprim17ROCPRIM_400000_NS6detail17trampoline_kernelINS0_14default_configENS1_36segmented_radix_sort_config_selectorIflEEZNS1_25segmented_radix_sort_implIS3_Lb0EPKfPfPKlPlN2at6native12_GLOBAL__N_18offset_tEEE10hipError_tPvRmT1_PNSt15iterator_traitsISK_E10value_typeET2_T3_PNSL_ISQ_E10value_typeET4_jRbjT5_SW_jjP12ihipStream_tbEUlT_E1_NS1_11comp_targetILNS1_3genE0ELNS1_11target_archE4294967295ELNS1_3gpuE0ELNS1_3repE0EEENS1_59segmented_radix_sort_warp_sort_small_config_static_selectorELNS0_4arch9wavefront6targetE1EEEvSK_
	.p2align	8
	.type	_ZN7rocprim17ROCPRIM_400000_NS6detail17trampoline_kernelINS0_14default_configENS1_36segmented_radix_sort_config_selectorIflEEZNS1_25segmented_radix_sort_implIS3_Lb0EPKfPfPKlPlN2at6native12_GLOBAL__N_18offset_tEEE10hipError_tPvRmT1_PNSt15iterator_traitsISK_E10value_typeET2_T3_PNSL_ISQ_E10value_typeET4_jRbjT5_SW_jjP12ihipStream_tbEUlT_E1_NS1_11comp_targetILNS1_3genE0ELNS1_11target_archE4294967295ELNS1_3gpuE0ELNS1_3repE0EEENS1_59segmented_radix_sort_warp_sort_small_config_static_selectorELNS0_4arch9wavefront6targetE1EEEvSK_,@function
_ZN7rocprim17ROCPRIM_400000_NS6detail17trampoline_kernelINS0_14default_configENS1_36segmented_radix_sort_config_selectorIflEEZNS1_25segmented_radix_sort_implIS3_Lb0EPKfPfPKlPlN2at6native12_GLOBAL__N_18offset_tEEE10hipError_tPvRmT1_PNSt15iterator_traitsISK_E10value_typeET2_T3_PNSL_ISQ_E10value_typeET4_jRbjT5_SW_jjP12ihipStream_tbEUlT_E1_NS1_11comp_targetILNS1_3genE0ELNS1_11target_archE4294967295ELNS1_3gpuE0ELNS1_3repE0EEENS1_59segmented_radix_sort_warp_sort_small_config_static_selectorELNS0_4arch9wavefront6targetE1EEEvSK_: ; @_ZN7rocprim17ROCPRIM_400000_NS6detail17trampoline_kernelINS0_14default_configENS1_36segmented_radix_sort_config_selectorIflEEZNS1_25segmented_radix_sort_implIS3_Lb0EPKfPfPKlPlN2at6native12_GLOBAL__N_18offset_tEEE10hipError_tPvRmT1_PNSt15iterator_traitsISK_E10value_typeET2_T3_PNSL_ISQ_E10value_typeET4_jRbjT5_SW_jjP12ihipStream_tbEUlT_E1_NS1_11comp_targetILNS1_3genE0ELNS1_11target_archE4294967295ELNS1_3gpuE0ELNS1_3repE0EEENS1_59segmented_radix_sort_warp_sort_small_config_static_selectorELNS0_4arch9wavefront6targetE1EEEvSK_
; %bb.0:
	.section	.rodata,"a",@progbits
	.p2align	6, 0x0
	.amdhsa_kernel _ZN7rocprim17ROCPRIM_400000_NS6detail17trampoline_kernelINS0_14default_configENS1_36segmented_radix_sort_config_selectorIflEEZNS1_25segmented_radix_sort_implIS3_Lb0EPKfPfPKlPlN2at6native12_GLOBAL__N_18offset_tEEE10hipError_tPvRmT1_PNSt15iterator_traitsISK_E10value_typeET2_T3_PNSL_ISQ_E10value_typeET4_jRbjT5_SW_jjP12ihipStream_tbEUlT_E1_NS1_11comp_targetILNS1_3genE0ELNS1_11target_archE4294967295ELNS1_3gpuE0ELNS1_3repE0EEENS1_59segmented_radix_sort_warp_sort_small_config_static_selectorELNS0_4arch9wavefront6targetE1EEEvSK_
		.amdhsa_group_segment_fixed_size 0
		.amdhsa_private_segment_fixed_size 0
		.amdhsa_kernarg_size 88
		.amdhsa_user_sgpr_count 6
		.amdhsa_user_sgpr_private_segment_buffer 1
		.amdhsa_user_sgpr_dispatch_ptr 0
		.amdhsa_user_sgpr_queue_ptr 0
		.amdhsa_user_sgpr_kernarg_segment_ptr 1
		.amdhsa_user_sgpr_dispatch_id 0
		.amdhsa_user_sgpr_flat_scratch_init 0
		.amdhsa_user_sgpr_private_segment_size 0
		.amdhsa_uses_dynamic_stack 0
		.amdhsa_system_sgpr_private_segment_wavefront_offset 0
		.amdhsa_system_sgpr_workgroup_id_x 1
		.amdhsa_system_sgpr_workgroup_id_y 0
		.amdhsa_system_sgpr_workgroup_id_z 0
		.amdhsa_system_sgpr_workgroup_info 0
		.amdhsa_system_vgpr_workitem_id 0
		.amdhsa_next_free_vgpr 1
		.amdhsa_next_free_sgpr 0
		.amdhsa_reserve_vcc 0
		.amdhsa_reserve_flat_scratch 0
		.amdhsa_float_round_mode_32 0
		.amdhsa_float_round_mode_16_64 0
		.amdhsa_float_denorm_mode_32 3
		.amdhsa_float_denorm_mode_16_64 3
		.amdhsa_dx10_clamp 1
		.amdhsa_ieee_mode 1
		.amdhsa_fp16_overflow 0
		.amdhsa_exception_fp_ieee_invalid_op 0
		.amdhsa_exception_fp_denorm_src 0
		.amdhsa_exception_fp_ieee_div_zero 0
		.amdhsa_exception_fp_ieee_overflow 0
		.amdhsa_exception_fp_ieee_underflow 0
		.amdhsa_exception_fp_ieee_inexact 0
		.amdhsa_exception_int_div_zero 0
	.end_amdhsa_kernel
	.section	.text._ZN7rocprim17ROCPRIM_400000_NS6detail17trampoline_kernelINS0_14default_configENS1_36segmented_radix_sort_config_selectorIflEEZNS1_25segmented_radix_sort_implIS3_Lb0EPKfPfPKlPlN2at6native12_GLOBAL__N_18offset_tEEE10hipError_tPvRmT1_PNSt15iterator_traitsISK_E10value_typeET2_T3_PNSL_ISQ_E10value_typeET4_jRbjT5_SW_jjP12ihipStream_tbEUlT_E1_NS1_11comp_targetILNS1_3genE0ELNS1_11target_archE4294967295ELNS1_3gpuE0ELNS1_3repE0EEENS1_59segmented_radix_sort_warp_sort_small_config_static_selectorELNS0_4arch9wavefront6targetE1EEEvSK_,"axG",@progbits,_ZN7rocprim17ROCPRIM_400000_NS6detail17trampoline_kernelINS0_14default_configENS1_36segmented_radix_sort_config_selectorIflEEZNS1_25segmented_radix_sort_implIS3_Lb0EPKfPfPKlPlN2at6native12_GLOBAL__N_18offset_tEEE10hipError_tPvRmT1_PNSt15iterator_traitsISK_E10value_typeET2_T3_PNSL_ISQ_E10value_typeET4_jRbjT5_SW_jjP12ihipStream_tbEUlT_E1_NS1_11comp_targetILNS1_3genE0ELNS1_11target_archE4294967295ELNS1_3gpuE0ELNS1_3repE0EEENS1_59segmented_radix_sort_warp_sort_small_config_static_selectorELNS0_4arch9wavefront6targetE1EEEvSK_,comdat
.Lfunc_end1448:
	.size	_ZN7rocprim17ROCPRIM_400000_NS6detail17trampoline_kernelINS0_14default_configENS1_36segmented_radix_sort_config_selectorIflEEZNS1_25segmented_radix_sort_implIS3_Lb0EPKfPfPKlPlN2at6native12_GLOBAL__N_18offset_tEEE10hipError_tPvRmT1_PNSt15iterator_traitsISK_E10value_typeET2_T3_PNSL_ISQ_E10value_typeET4_jRbjT5_SW_jjP12ihipStream_tbEUlT_E1_NS1_11comp_targetILNS1_3genE0ELNS1_11target_archE4294967295ELNS1_3gpuE0ELNS1_3repE0EEENS1_59segmented_radix_sort_warp_sort_small_config_static_selectorELNS0_4arch9wavefront6targetE1EEEvSK_, .Lfunc_end1448-_ZN7rocprim17ROCPRIM_400000_NS6detail17trampoline_kernelINS0_14default_configENS1_36segmented_radix_sort_config_selectorIflEEZNS1_25segmented_radix_sort_implIS3_Lb0EPKfPfPKlPlN2at6native12_GLOBAL__N_18offset_tEEE10hipError_tPvRmT1_PNSt15iterator_traitsISK_E10value_typeET2_T3_PNSL_ISQ_E10value_typeET4_jRbjT5_SW_jjP12ihipStream_tbEUlT_E1_NS1_11comp_targetILNS1_3genE0ELNS1_11target_archE4294967295ELNS1_3gpuE0ELNS1_3repE0EEENS1_59segmented_radix_sort_warp_sort_small_config_static_selectorELNS0_4arch9wavefront6targetE1EEEvSK_
                                        ; -- End function
	.set _ZN7rocprim17ROCPRIM_400000_NS6detail17trampoline_kernelINS0_14default_configENS1_36segmented_radix_sort_config_selectorIflEEZNS1_25segmented_radix_sort_implIS3_Lb0EPKfPfPKlPlN2at6native12_GLOBAL__N_18offset_tEEE10hipError_tPvRmT1_PNSt15iterator_traitsISK_E10value_typeET2_T3_PNSL_ISQ_E10value_typeET4_jRbjT5_SW_jjP12ihipStream_tbEUlT_E1_NS1_11comp_targetILNS1_3genE0ELNS1_11target_archE4294967295ELNS1_3gpuE0ELNS1_3repE0EEENS1_59segmented_radix_sort_warp_sort_small_config_static_selectorELNS0_4arch9wavefront6targetE1EEEvSK_.num_vgpr, 0
	.set _ZN7rocprim17ROCPRIM_400000_NS6detail17trampoline_kernelINS0_14default_configENS1_36segmented_radix_sort_config_selectorIflEEZNS1_25segmented_radix_sort_implIS3_Lb0EPKfPfPKlPlN2at6native12_GLOBAL__N_18offset_tEEE10hipError_tPvRmT1_PNSt15iterator_traitsISK_E10value_typeET2_T3_PNSL_ISQ_E10value_typeET4_jRbjT5_SW_jjP12ihipStream_tbEUlT_E1_NS1_11comp_targetILNS1_3genE0ELNS1_11target_archE4294967295ELNS1_3gpuE0ELNS1_3repE0EEENS1_59segmented_radix_sort_warp_sort_small_config_static_selectorELNS0_4arch9wavefront6targetE1EEEvSK_.num_agpr, 0
	.set _ZN7rocprim17ROCPRIM_400000_NS6detail17trampoline_kernelINS0_14default_configENS1_36segmented_radix_sort_config_selectorIflEEZNS1_25segmented_radix_sort_implIS3_Lb0EPKfPfPKlPlN2at6native12_GLOBAL__N_18offset_tEEE10hipError_tPvRmT1_PNSt15iterator_traitsISK_E10value_typeET2_T3_PNSL_ISQ_E10value_typeET4_jRbjT5_SW_jjP12ihipStream_tbEUlT_E1_NS1_11comp_targetILNS1_3genE0ELNS1_11target_archE4294967295ELNS1_3gpuE0ELNS1_3repE0EEENS1_59segmented_radix_sort_warp_sort_small_config_static_selectorELNS0_4arch9wavefront6targetE1EEEvSK_.numbered_sgpr, 0
	.set _ZN7rocprim17ROCPRIM_400000_NS6detail17trampoline_kernelINS0_14default_configENS1_36segmented_radix_sort_config_selectorIflEEZNS1_25segmented_radix_sort_implIS3_Lb0EPKfPfPKlPlN2at6native12_GLOBAL__N_18offset_tEEE10hipError_tPvRmT1_PNSt15iterator_traitsISK_E10value_typeET2_T3_PNSL_ISQ_E10value_typeET4_jRbjT5_SW_jjP12ihipStream_tbEUlT_E1_NS1_11comp_targetILNS1_3genE0ELNS1_11target_archE4294967295ELNS1_3gpuE0ELNS1_3repE0EEENS1_59segmented_radix_sort_warp_sort_small_config_static_selectorELNS0_4arch9wavefront6targetE1EEEvSK_.num_named_barrier, 0
	.set _ZN7rocprim17ROCPRIM_400000_NS6detail17trampoline_kernelINS0_14default_configENS1_36segmented_radix_sort_config_selectorIflEEZNS1_25segmented_radix_sort_implIS3_Lb0EPKfPfPKlPlN2at6native12_GLOBAL__N_18offset_tEEE10hipError_tPvRmT1_PNSt15iterator_traitsISK_E10value_typeET2_T3_PNSL_ISQ_E10value_typeET4_jRbjT5_SW_jjP12ihipStream_tbEUlT_E1_NS1_11comp_targetILNS1_3genE0ELNS1_11target_archE4294967295ELNS1_3gpuE0ELNS1_3repE0EEENS1_59segmented_radix_sort_warp_sort_small_config_static_selectorELNS0_4arch9wavefront6targetE1EEEvSK_.private_seg_size, 0
	.set _ZN7rocprim17ROCPRIM_400000_NS6detail17trampoline_kernelINS0_14default_configENS1_36segmented_radix_sort_config_selectorIflEEZNS1_25segmented_radix_sort_implIS3_Lb0EPKfPfPKlPlN2at6native12_GLOBAL__N_18offset_tEEE10hipError_tPvRmT1_PNSt15iterator_traitsISK_E10value_typeET2_T3_PNSL_ISQ_E10value_typeET4_jRbjT5_SW_jjP12ihipStream_tbEUlT_E1_NS1_11comp_targetILNS1_3genE0ELNS1_11target_archE4294967295ELNS1_3gpuE0ELNS1_3repE0EEENS1_59segmented_radix_sort_warp_sort_small_config_static_selectorELNS0_4arch9wavefront6targetE1EEEvSK_.uses_vcc, 0
	.set _ZN7rocprim17ROCPRIM_400000_NS6detail17trampoline_kernelINS0_14default_configENS1_36segmented_radix_sort_config_selectorIflEEZNS1_25segmented_radix_sort_implIS3_Lb0EPKfPfPKlPlN2at6native12_GLOBAL__N_18offset_tEEE10hipError_tPvRmT1_PNSt15iterator_traitsISK_E10value_typeET2_T3_PNSL_ISQ_E10value_typeET4_jRbjT5_SW_jjP12ihipStream_tbEUlT_E1_NS1_11comp_targetILNS1_3genE0ELNS1_11target_archE4294967295ELNS1_3gpuE0ELNS1_3repE0EEENS1_59segmented_radix_sort_warp_sort_small_config_static_selectorELNS0_4arch9wavefront6targetE1EEEvSK_.uses_flat_scratch, 0
	.set _ZN7rocprim17ROCPRIM_400000_NS6detail17trampoline_kernelINS0_14default_configENS1_36segmented_radix_sort_config_selectorIflEEZNS1_25segmented_radix_sort_implIS3_Lb0EPKfPfPKlPlN2at6native12_GLOBAL__N_18offset_tEEE10hipError_tPvRmT1_PNSt15iterator_traitsISK_E10value_typeET2_T3_PNSL_ISQ_E10value_typeET4_jRbjT5_SW_jjP12ihipStream_tbEUlT_E1_NS1_11comp_targetILNS1_3genE0ELNS1_11target_archE4294967295ELNS1_3gpuE0ELNS1_3repE0EEENS1_59segmented_radix_sort_warp_sort_small_config_static_selectorELNS0_4arch9wavefront6targetE1EEEvSK_.has_dyn_sized_stack, 0
	.set _ZN7rocprim17ROCPRIM_400000_NS6detail17trampoline_kernelINS0_14default_configENS1_36segmented_radix_sort_config_selectorIflEEZNS1_25segmented_radix_sort_implIS3_Lb0EPKfPfPKlPlN2at6native12_GLOBAL__N_18offset_tEEE10hipError_tPvRmT1_PNSt15iterator_traitsISK_E10value_typeET2_T3_PNSL_ISQ_E10value_typeET4_jRbjT5_SW_jjP12ihipStream_tbEUlT_E1_NS1_11comp_targetILNS1_3genE0ELNS1_11target_archE4294967295ELNS1_3gpuE0ELNS1_3repE0EEENS1_59segmented_radix_sort_warp_sort_small_config_static_selectorELNS0_4arch9wavefront6targetE1EEEvSK_.has_recursion, 0
	.set _ZN7rocprim17ROCPRIM_400000_NS6detail17trampoline_kernelINS0_14default_configENS1_36segmented_radix_sort_config_selectorIflEEZNS1_25segmented_radix_sort_implIS3_Lb0EPKfPfPKlPlN2at6native12_GLOBAL__N_18offset_tEEE10hipError_tPvRmT1_PNSt15iterator_traitsISK_E10value_typeET2_T3_PNSL_ISQ_E10value_typeET4_jRbjT5_SW_jjP12ihipStream_tbEUlT_E1_NS1_11comp_targetILNS1_3genE0ELNS1_11target_archE4294967295ELNS1_3gpuE0ELNS1_3repE0EEENS1_59segmented_radix_sort_warp_sort_small_config_static_selectorELNS0_4arch9wavefront6targetE1EEEvSK_.has_indirect_call, 0
	.section	.AMDGPU.csdata,"",@progbits
; Kernel info:
; codeLenInByte = 0
; TotalNumSgprs: 4
; NumVgprs: 0
; ScratchSize: 0
; MemoryBound: 0
; FloatMode: 240
; IeeeMode: 1
; LDSByteSize: 0 bytes/workgroup (compile time only)
; SGPRBlocks: 0
; VGPRBlocks: 0
; NumSGPRsForWavesPerEU: 4
; NumVGPRsForWavesPerEU: 1
; Occupancy: 10
; WaveLimiterHint : 0
; COMPUTE_PGM_RSRC2:SCRATCH_EN: 0
; COMPUTE_PGM_RSRC2:USER_SGPR: 6
; COMPUTE_PGM_RSRC2:TRAP_HANDLER: 0
; COMPUTE_PGM_RSRC2:TGID_X_EN: 1
; COMPUTE_PGM_RSRC2:TGID_Y_EN: 0
; COMPUTE_PGM_RSRC2:TGID_Z_EN: 0
; COMPUTE_PGM_RSRC2:TIDIG_COMP_CNT: 0
	.section	.text._ZN7rocprim17ROCPRIM_400000_NS6detail17trampoline_kernelINS0_14default_configENS1_36segmented_radix_sort_config_selectorIflEEZNS1_25segmented_radix_sort_implIS3_Lb0EPKfPfPKlPlN2at6native12_GLOBAL__N_18offset_tEEE10hipError_tPvRmT1_PNSt15iterator_traitsISK_E10value_typeET2_T3_PNSL_ISQ_E10value_typeET4_jRbjT5_SW_jjP12ihipStream_tbEUlT_E1_NS1_11comp_targetILNS1_3genE5ELNS1_11target_archE942ELNS1_3gpuE9ELNS1_3repE0EEENS1_59segmented_radix_sort_warp_sort_small_config_static_selectorELNS0_4arch9wavefront6targetE1EEEvSK_,"axG",@progbits,_ZN7rocprim17ROCPRIM_400000_NS6detail17trampoline_kernelINS0_14default_configENS1_36segmented_radix_sort_config_selectorIflEEZNS1_25segmented_radix_sort_implIS3_Lb0EPKfPfPKlPlN2at6native12_GLOBAL__N_18offset_tEEE10hipError_tPvRmT1_PNSt15iterator_traitsISK_E10value_typeET2_T3_PNSL_ISQ_E10value_typeET4_jRbjT5_SW_jjP12ihipStream_tbEUlT_E1_NS1_11comp_targetILNS1_3genE5ELNS1_11target_archE942ELNS1_3gpuE9ELNS1_3repE0EEENS1_59segmented_radix_sort_warp_sort_small_config_static_selectorELNS0_4arch9wavefront6targetE1EEEvSK_,comdat
	.globl	_ZN7rocprim17ROCPRIM_400000_NS6detail17trampoline_kernelINS0_14default_configENS1_36segmented_radix_sort_config_selectorIflEEZNS1_25segmented_radix_sort_implIS3_Lb0EPKfPfPKlPlN2at6native12_GLOBAL__N_18offset_tEEE10hipError_tPvRmT1_PNSt15iterator_traitsISK_E10value_typeET2_T3_PNSL_ISQ_E10value_typeET4_jRbjT5_SW_jjP12ihipStream_tbEUlT_E1_NS1_11comp_targetILNS1_3genE5ELNS1_11target_archE942ELNS1_3gpuE9ELNS1_3repE0EEENS1_59segmented_radix_sort_warp_sort_small_config_static_selectorELNS0_4arch9wavefront6targetE1EEEvSK_ ; -- Begin function _ZN7rocprim17ROCPRIM_400000_NS6detail17trampoline_kernelINS0_14default_configENS1_36segmented_radix_sort_config_selectorIflEEZNS1_25segmented_radix_sort_implIS3_Lb0EPKfPfPKlPlN2at6native12_GLOBAL__N_18offset_tEEE10hipError_tPvRmT1_PNSt15iterator_traitsISK_E10value_typeET2_T3_PNSL_ISQ_E10value_typeET4_jRbjT5_SW_jjP12ihipStream_tbEUlT_E1_NS1_11comp_targetILNS1_3genE5ELNS1_11target_archE942ELNS1_3gpuE9ELNS1_3repE0EEENS1_59segmented_radix_sort_warp_sort_small_config_static_selectorELNS0_4arch9wavefront6targetE1EEEvSK_
	.p2align	8
	.type	_ZN7rocprim17ROCPRIM_400000_NS6detail17trampoline_kernelINS0_14default_configENS1_36segmented_radix_sort_config_selectorIflEEZNS1_25segmented_radix_sort_implIS3_Lb0EPKfPfPKlPlN2at6native12_GLOBAL__N_18offset_tEEE10hipError_tPvRmT1_PNSt15iterator_traitsISK_E10value_typeET2_T3_PNSL_ISQ_E10value_typeET4_jRbjT5_SW_jjP12ihipStream_tbEUlT_E1_NS1_11comp_targetILNS1_3genE5ELNS1_11target_archE942ELNS1_3gpuE9ELNS1_3repE0EEENS1_59segmented_radix_sort_warp_sort_small_config_static_selectorELNS0_4arch9wavefront6targetE1EEEvSK_,@function
_ZN7rocprim17ROCPRIM_400000_NS6detail17trampoline_kernelINS0_14default_configENS1_36segmented_radix_sort_config_selectorIflEEZNS1_25segmented_radix_sort_implIS3_Lb0EPKfPfPKlPlN2at6native12_GLOBAL__N_18offset_tEEE10hipError_tPvRmT1_PNSt15iterator_traitsISK_E10value_typeET2_T3_PNSL_ISQ_E10value_typeET4_jRbjT5_SW_jjP12ihipStream_tbEUlT_E1_NS1_11comp_targetILNS1_3genE5ELNS1_11target_archE942ELNS1_3gpuE9ELNS1_3repE0EEENS1_59segmented_radix_sort_warp_sort_small_config_static_selectorELNS0_4arch9wavefront6targetE1EEEvSK_: ; @_ZN7rocprim17ROCPRIM_400000_NS6detail17trampoline_kernelINS0_14default_configENS1_36segmented_radix_sort_config_selectorIflEEZNS1_25segmented_radix_sort_implIS3_Lb0EPKfPfPKlPlN2at6native12_GLOBAL__N_18offset_tEEE10hipError_tPvRmT1_PNSt15iterator_traitsISK_E10value_typeET2_T3_PNSL_ISQ_E10value_typeET4_jRbjT5_SW_jjP12ihipStream_tbEUlT_E1_NS1_11comp_targetILNS1_3genE5ELNS1_11target_archE942ELNS1_3gpuE9ELNS1_3repE0EEENS1_59segmented_radix_sort_warp_sort_small_config_static_selectorELNS0_4arch9wavefront6targetE1EEEvSK_
; %bb.0:
	.section	.rodata,"a",@progbits
	.p2align	6, 0x0
	.amdhsa_kernel _ZN7rocprim17ROCPRIM_400000_NS6detail17trampoline_kernelINS0_14default_configENS1_36segmented_radix_sort_config_selectorIflEEZNS1_25segmented_radix_sort_implIS3_Lb0EPKfPfPKlPlN2at6native12_GLOBAL__N_18offset_tEEE10hipError_tPvRmT1_PNSt15iterator_traitsISK_E10value_typeET2_T3_PNSL_ISQ_E10value_typeET4_jRbjT5_SW_jjP12ihipStream_tbEUlT_E1_NS1_11comp_targetILNS1_3genE5ELNS1_11target_archE942ELNS1_3gpuE9ELNS1_3repE0EEENS1_59segmented_radix_sort_warp_sort_small_config_static_selectorELNS0_4arch9wavefront6targetE1EEEvSK_
		.amdhsa_group_segment_fixed_size 0
		.amdhsa_private_segment_fixed_size 0
		.amdhsa_kernarg_size 88
		.amdhsa_user_sgpr_count 6
		.amdhsa_user_sgpr_private_segment_buffer 1
		.amdhsa_user_sgpr_dispatch_ptr 0
		.amdhsa_user_sgpr_queue_ptr 0
		.amdhsa_user_sgpr_kernarg_segment_ptr 1
		.amdhsa_user_sgpr_dispatch_id 0
		.amdhsa_user_sgpr_flat_scratch_init 0
		.amdhsa_user_sgpr_private_segment_size 0
		.amdhsa_uses_dynamic_stack 0
		.amdhsa_system_sgpr_private_segment_wavefront_offset 0
		.amdhsa_system_sgpr_workgroup_id_x 1
		.amdhsa_system_sgpr_workgroup_id_y 0
		.amdhsa_system_sgpr_workgroup_id_z 0
		.amdhsa_system_sgpr_workgroup_info 0
		.amdhsa_system_vgpr_workitem_id 0
		.amdhsa_next_free_vgpr 1
		.amdhsa_next_free_sgpr 0
		.amdhsa_reserve_vcc 0
		.amdhsa_reserve_flat_scratch 0
		.amdhsa_float_round_mode_32 0
		.amdhsa_float_round_mode_16_64 0
		.amdhsa_float_denorm_mode_32 3
		.amdhsa_float_denorm_mode_16_64 3
		.amdhsa_dx10_clamp 1
		.amdhsa_ieee_mode 1
		.amdhsa_fp16_overflow 0
		.amdhsa_exception_fp_ieee_invalid_op 0
		.amdhsa_exception_fp_denorm_src 0
		.amdhsa_exception_fp_ieee_div_zero 0
		.amdhsa_exception_fp_ieee_overflow 0
		.amdhsa_exception_fp_ieee_underflow 0
		.amdhsa_exception_fp_ieee_inexact 0
		.amdhsa_exception_int_div_zero 0
	.end_amdhsa_kernel
	.section	.text._ZN7rocprim17ROCPRIM_400000_NS6detail17trampoline_kernelINS0_14default_configENS1_36segmented_radix_sort_config_selectorIflEEZNS1_25segmented_radix_sort_implIS3_Lb0EPKfPfPKlPlN2at6native12_GLOBAL__N_18offset_tEEE10hipError_tPvRmT1_PNSt15iterator_traitsISK_E10value_typeET2_T3_PNSL_ISQ_E10value_typeET4_jRbjT5_SW_jjP12ihipStream_tbEUlT_E1_NS1_11comp_targetILNS1_3genE5ELNS1_11target_archE942ELNS1_3gpuE9ELNS1_3repE0EEENS1_59segmented_radix_sort_warp_sort_small_config_static_selectorELNS0_4arch9wavefront6targetE1EEEvSK_,"axG",@progbits,_ZN7rocprim17ROCPRIM_400000_NS6detail17trampoline_kernelINS0_14default_configENS1_36segmented_radix_sort_config_selectorIflEEZNS1_25segmented_radix_sort_implIS3_Lb0EPKfPfPKlPlN2at6native12_GLOBAL__N_18offset_tEEE10hipError_tPvRmT1_PNSt15iterator_traitsISK_E10value_typeET2_T3_PNSL_ISQ_E10value_typeET4_jRbjT5_SW_jjP12ihipStream_tbEUlT_E1_NS1_11comp_targetILNS1_3genE5ELNS1_11target_archE942ELNS1_3gpuE9ELNS1_3repE0EEENS1_59segmented_radix_sort_warp_sort_small_config_static_selectorELNS0_4arch9wavefront6targetE1EEEvSK_,comdat
.Lfunc_end1449:
	.size	_ZN7rocprim17ROCPRIM_400000_NS6detail17trampoline_kernelINS0_14default_configENS1_36segmented_radix_sort_config_selectorIflEEZNS1_25segmented_radix_sort_implIS3_Lb0EPKfPfPKlPlN2at6native12_GLOBAL__N_18offset_tEEE10hipError_tPvRmT1_PNSt15iterator_traitsISK_E10value_typeET2_T3_PNSL_ISQ_E10value_typeET4_jRbjT5_SW_jjP12ihipStream_tbEUlT_E1_NS1_11comp_targetILNS1_3genE5ELNS1_11target_archE942ELNS1_3gpuE9ELNS1_3repE0EEENS1_59segmented_radix_sort_warp_sort_small_config_static_selectorELNS0_4arch9wavefront6targetE1EEEvSK_, .Lfunc_end1449-_ZN7rocprim17ROCPRIM_400000_NS6detail17trampoline_kernelINS0_14default_configENS1_36segmented_radix_sort_config_selectorIflEEZNS1_25segmented_radix_sort_implIS3_Lb0EPKfPfPKlPlN2at6native12_GLOBAL__N_18offset_tEEE10hipError_tPvRmT1_PNSt15iterator_traitsISK_E10value_typeET2_T3_PNSL_ISQ_E10value_typeET4_jRbjT5_SW_jjP12ihipStream_tbEUlT_E1_NS1_11comp_targetILNS1_3genE5ELNS1_11target_archE942ELNS1_3gpuE9ELNS1_3repE0EEENS1_59segmented_radix_sort_warp_sort_small_config_static_selectorELNS0_4arch9wavefront6targetE1EEEvSK_
                                        ; -- End function
	.set _ZN7rocprim17ROCPRIM_400000_NS6detail17trampoline_kernelINS0_14default_configENS1_36segmented_radix_sort_config_selectorIflEEZNS1_25segmented_radix_sort_implIS3_Lb0EPKfPfPKlPlN2at6native12_GLOBAL__N_18offset_tEEE10hipError_tPvRmT1_PNSt15iterator_traitsISK_E10value_typeET2_T3_PNSL_ISQ_E10value_typeET4_jRbjT5_SW_jjP12ihipStream_tbEUlT_E1_NS1_11comp_targetILNS1_3genE5ELNS1_11target_archE942ELNS1_3gpuE9ELNS1_3repE0EEENS1_59segmented_radix_sort_warp_sort_small_config_static_selectorELNS0_4arch9wavefront6targetE1EEEvSK_.num_vgpr, 0
	.set _ZN7rocprim17ROCPRIM_400000_NS6detail17trampoline_kernelINS0_14default_configENS1_36segmented_radix_sort_config_selectorIflEEZNS1_25segmented_radix_sort_implIS3_Lb0EPKfPfPKlPlN2at6native12_GLOBAL__N_18offset_tEEE10hipError_tPvRmT1_PNSt15iterator_traitsISK_E10value_typeET2_T3_PNSL_ISQ_E10value_typeET4_jRbjT5_SW_jjP12ihipStream_tbEUlT_E1_NS1_11comp_targetILNS1_3genE5ELNS1_11target_archE942ELNS1_3gpuE9ELNS1_3repE0EEENS1_59segmented_radix_sort_warp_sort_small_config_static_selectorELNS0_4arch9wavefront6targetE1EEEvSK_.num_agpr, 0
	.set _ZN7rocprim17ROCPRIM_400000_NS6detail17trampoline_kernelINS0_14default_configENS1_36segmented_radix_sort_config_selectorIflEEZNS1_25segmented_radix_sort_implIS3_Lb0EPKfPfPKlPlN2at6native12_GLOBAL__N_18offset_tEEE10hipError_tPvRmT1_PNSt15iterator_traitsISK_E10value_typeET2_T3_PNSL_ISQ_E10value_typeET4_jRbjT5_SW_jjP12ihipStream_tbEUlT_E1_NS1_11comp_targetILNS1_3genE5ELNS1_11target_archE942ELNS1_3gpuE9ELNS1_3repE0EEENS1_59segmented_radix_sort_warp_sort_small_config_static_selectorELNS0_4arch9wavefront6targetE1EEEvSK_.numbered_sgpr, 0
	.set _ZN7rocprim17ROCPRIM_400000_NS6detail17trampoline_kernelINS0_14default_configENS1_36segmented_radix_sort_config_selectorIflEEZNS1_25segmented_radix_sort_implIS3_Lb0EPKfPfPKlPlN2at6native12_GLOBAL__N_18offset_tEEE10hipError_tPvRmT1_PNSt15iterator_traitsISK_E10value_typeET2_T3_PNSL_ISQ_E10value_typeET4_jRbjT5_SW_jjP12ihipStream_tbEUlT_E1_NS1_11comp_targetILNS1_3genE5ELNS1_11target_archE942ELNS1_3gpuE9ELNS1_3repE0EEENS1_59segmented_radix_sort_warp_sort_small_config_static_selectorELNS0_4arch9wavefront6targetE1EEEvSK_.num_named_barrier, 0
	.set _ZN7rocprim17ROCPRIM_400000_NS6detail17trampoline_kernelINS0_14default_configENS1_36segmented_radix_sort_config_selectorIflEEZNS1_25segmented_radix_sort_implIS3_Lb0EPKfPfPKlPlN2at6native12_GLOBAL__N_18offset_tEEE10hipError_tPvRmT1_PNSt15iterator_traitsISK_E10value_typeET2_T3_PNSL_ISQ_E10value_typeET4_jRbjT5_SW_jjP12ihipStream_tbEUlT_E1_NS1_11comp_targetILNS1_3genE5ELNS1_11target_archE942ELNS1_3gpuE9ELNS1_3repE0EEENS1_59segmented_radix_sort_warp_sort_small_config_static_selectorELNS0_4arch9wavefront6targetE1EEEvSK_.private_seg_size, 0
	.set _ZN7rocprim17ROCPRIM_400000_NS6detail17trampoline_kernelINS0_14default_configENS1_36segmented_radix_sort_config_selectorIflEEZNS1_25segmented_radix_sort_implIS3_Lb0EPKfPfPKlPlN2at6native12_GLOBAL__N_18offset_tEEE10hipError_tPvRmT1_PNSt15iterator_traitsISK_E10value_typeET2_T3_PNSL_ISQ_E10value_typeET4_jRbjT5_SW_jjP12ihipStream_tbEUlT_E1_NS1_11comp_targetILNS1_3genE5ELNS1_11target_archE942ELNS1_3gpuE9ELNS1_3repE0EEENS1_59segmented_radix_sort_warp_sort_small_config_static_selectorELNS0_4arch9wavefront6targetE1EEEvSK_.uses_vcc, 0
	.set _ZN7rocprim17ROCPRIM_400000_NS6detail17trampoline_kernelINS0_14default_configENS1_36segmented_radix_sort_config_selectorIflEEZNS1_25segmented_radix_sort_implIS3_Lb0EPKfPfPKlPlN2at6native12_GLOBAL__N_18offset_tEEE10hipError_tPvRmT1_PNSt15iterator_traitsISK_E10value_typeET2_T3_PNSL_ISQ_E10value_typeET4_jRbjT5_SW_jjP12ihipStream_tbEUlT_E1_NS1_11comp_targetILNS1_3genE5ELNS1_11target_archE942ELNS1_3gpuE9ELNS1_3repE0EEENS1_59segmented_radix_sort_warp_sort_small_config_static_selectorELNS0_4arch9wavefront6targetE1EEEvSK_.uses_flat_scratch, 0
	.set _ZN7rocprim17ROCPRIM_400000_NS6detail17trampoline_kernelINS0_14default_configENS1_36segmented_radix_sort_config_selectorIflEEZNS1_25segmented_radix_sort_implIS3_Lb0EPKfPfPKlPlN2at6native12_GLOBAL__N_18offset_tEEE10hipError_tPvRmT1_PNSt15iterator_traitsISK_E10value_typeET2_T3_PNSL_ISQ_E10value_typeET4_jRbjT5_SW_jjP12ihipStream_tbEUlT_E1_NS1_11comp_targetILNS1_3genE5ELNS1_11target_archE942ELNS1_3gpuE9ELNS1_3repE0EEENS1_59segmented_radix_sort_warp_sort_small_config_static_selectorELNS0_4arch9wavefront6targetE1EEEvSK_.has_dyn_sized_stack, 0
	.set _ZN7rocprim17ROCPRIM_400000_NS6detail17trampoline_kernelINS0_14default_configENS1_36segmented_radix_sort_config_selectorIflEEZNS1_25segmented_radix_sort_implIS3_Lb0EPKfPfPKlPlN2at6native12_GLOBAL__N_18offset_tEEE10hipError_tPvRmT1_PNSt15iterator_traitsISK_E10value_typeET2_T3_PNSL_ISQ_E10value_typeET4_jRbjT5_SW_jjP12ihipStream_tbEUlT_E1_NS1_11comp_targetILNS1_3genE5ELNS1_11target_archE942ELNS1_3gpuE9ELNS1_3repE0EEENS1_59segmented_radix_sort_warp_sort_small_config_static_selectorELNS0_4arch9wavefront6targetE1EEEvSK_.has_recursion, 0
	.set _ZN7rocprim17ROCPRIM_400000_NS6detail17trampoline_kernelINS0_14default_configENS1_36segmented_radix_sort_config_selectorIflEEZNS1_25segmented_radix_sort_implIS3_Lb0EPKfPfPKlPlN2at6native12_GLOBAL__N_18offset_tEEE10hipError_tPvRmT1_PNSt15iterator_traitsISK_E10value_typeET2_T3_PNSL_ISQ_E10value_typeET4_jRbjT5_SW_jjP12ihipStream_tbEUlT_E1_NS1_11comp_targetILNS1_3genE5ELNS1_11target_archE942ELNS1_3gpuE9ELNS1_3repE0EEENS1_59segmented_radix_sort_warp_sort_small_config_static_selectorELNS0_4arch9wavefront6targetE1EEEvSK_.has_indirect_call, 0
	.section	.AMDGPU.csdata,"",@progbits
; Kernel info:
; codeLenInByte = 0
; TotalNumSgprs: 4
; NumVgprs: 0
; ScratchSize: 0
; MemoryBound: 0
; FloatMode: 240
; IeeeMode: 1
; LDSByteSize: 0 bytes/workgroup (compile time only)
; SGPRBlocks: 0
; VGPRBlocks: 0
; NumSGPRsForWavesPerEU: 4
; NumVGPRsForWavesPerEU: 1
; Occupancy: 10
; WaveLimiterHint : 0
; COMPUTE_PGM_RSRC2:SCRATCH_EN: 0
; COMPUTE_PGM_RSRC2:USER_SGPR: 6
; COMPUTE_PGM_RSRC2:TRAP_HANDLER: 0
; COMPUTE_PGM_RSRC2:TGID_X_EN: 1
; COMPUTE_PGM_RSRC2:TGID_Y_EN: 0
; COMPUTE_PGM_RSRC2:TGID_Z_EN: 0
; COMPUTE_PGM_RSRC2:TIDIG_COMP_CNT: 0
	.section	.text._ZN7rocprim17ROCPRIM_400000_NS6detail17trampoline_kernelINS0_14default_configENS1_36segmented_radix_sort_config_selectorIflEEZNS1_25segmented_radix_sort_implIS3_Lb0EPKfPfPKlPlN2at6native12_GLOBAL__N_18offset_tEEE10hipError_tPvRmT1_PNSt15iterator_traitsISK_E10value_typeET2_T3_PNSL_ISQ_E10value_typeET4_jRbjT5_SW_jjP12ihipStream_tbEUlT_E1_NS1_11comp_targetILNS1_3genE4ELNS1_11target_archE910ELNS1_3gpuE8ELNS1_3repE0EEENS1_59segmented_radix_sort_warp_sort_small_config_static_selectorELNS0_4arch9wavefront6targetE1EEEvSK_,"axG",@progbits,_ZN7rocprim17ROCPRIM_400000_NS6detail17trampoline_kernelINS0_14default_configENS1_36segmented_radix_sort_config_selectorIflEEZNS1_25segmented_radix_sort_implIS3_Lb0EPKfPfPKlPlN2at6native12_GLOBAL__N_18offset_tEEE10hipError_tPvRmT1_PNSt15iterator_traitsISK_E10value_typeET2_T3_PNSL_ISQ_E10value_typeET4_jRbjT5_SW_jjP12ihipStream_tbEUlT_E1_NS1_11comp_targetILNS1_3genE4ELNS1_11target_archE910ELNS1_3gpuE8ELNS1_3repE0EEENS1_59segmented_radix_sort_warp_sort_small_config_static_selectorELNS0_4arch9wavefront6targetE1EEEvSK_,comdat
	.globl	_ZN7rocprim17ROCPRIM_400000_NS6detail17trampoline_kernelINS0_14default_configENS1_36segmented_radix_sort_config_selectorIflEEZNS1_25segmented_radix_sort_implIS3_Lb0EPKfPfPKlPlN2at6native12_GLOBAL__N_18offset_tEEE10hipError_tPvRmT1_PNSt15iterator_traitsISK_E10value_typeET2_T3_PNSL_ISQ_E10value_typeET4_jRbjT5_SW_jjP12ihipStream_tbEUlT_E1_NS1_11comp_targetILNS1_3genE4ELNS1_11target_archE910ELNS1_3gpuE8ELNS1_3repE0EEENS1_59segmented_radix_sort_warp_sort_small_config_static_selectorELNS0_4arch9wavefront6targetE1EEEvSK_ ; -- Begin function _ZN7rocprim17ROCPRIM_400000_NS6detail17trampoline_kernelINS0_14default_configENS1_36segmented_radix_sort_config_selectorIflEEZNS1_25segmented_radix_sort_implIS3_Lb0EPKfPfPKlPlN2at6native12_GLOBAL__N_18offset_tEEE10hipError_tPvRmT1_PNSt15iterator_traitsISK_E10value_typeET2_T3_PNSL_ISQ_E10value_typeET4_jRbjT5_SW_jjP12ihipStream_tbEUlT_E1_NS1_11comp_targetILNS1_3genE4ELNS1_11target_archE910ELNS1_3gpuE8ELNS1_3repE0EEENS1_59segmented_radix_sort_warp_sort_small_config_static_selectorELNS0_4arch9wavefront6targetE1EEEvSK_
	.p2align	8
	.type	_ZN7rocprim17ROCPRIM_400000_NS6detail17trampoline_kernelINS0_14default_configENS1_36segmented_radix_sort_config_selectorIflEEZNS1_25segmented_radix_sort_implIS3_Lb0EPKfPfPKlPlN2at6native12_GLOBAL__N_18offset_tEEE10hipError_tPvRmT1_PNSt15iterator_traitsISK_E10value_typeET2_T3_PNSL_ISQ_E10value_typeET4_jRbjT5_SW_jjP12ihipStream_tbEUlT_E1_NS1_11comp_targetILNS1_3genE4ELNS1_11target_archE910ELNS1_3gpuE8ELNS1_3repE0EEENS1_59segmented_radix_sort_warp_sort_small_config_static_selectorELNS0_4arch9wavefront6targetE1EEEvSK_,@function
_ZN7rocprim17ROCPRIM_400000_NS6detail17trampoline_kernelINS0_14default_configENS1_36segmented_radix_sort_config_selectorIflEEZNS1_25segmented_radix_sort_implIS3_Lb0EPKfPfPKlPlN2at6native12_GLOBAL__N_18offset_tEEE10hipError_tPvRmT1_PNSt15iterator_traitsISK_E10value_typeET2_T3_PNSL_ISQ_E10value_typeET4_jRbjT5_SW_jjP12ihipStream_tbEUlT_E1_NS1_11comp_targetILNS1_3genE4ELNS1_11target_archE910ELNS1_3gpuE8ELNS1_3repE0EEENS1_59segmented_radix_sort_warp_sort_small_config_static_selectorELNS0_4arch9wavefront6targetE1EEEvSK_: ; @_ZN7rocprim17ROCPRIM_400000_NS6detail17trampoline_kernelINS0_14default_configENS1_36segmented_radix_sort_config_selectorIflEEZNS1_25segmented_radix_sort_implIS3_Lb0EPKfPfPKlPlN2at6native12_GLOBAL__N_18offset_tEEE10hipError_tPvRmT1_PNSt15iterator_traitsISK_E10value_typeET2_T3_PNSL_ISQ_E10value_typeET4_jRbjT5_SW_jjP12ihipStream_tbEUlT_E1_NS1_11comp_targetILNS1_3genE4ELNS1_11target_archE910ELNS1_3gpuE8ELNS1_3repE0EEENS1_59segmented_radix_sort_warp_sort_small_config_static_selectorELNS0_4arch9wavefront6targetE1EEEvSK_
; %bb.0:
	.section	.rodata,"a",@progbits
	.p2align	6, 0x0
	.amdhsa_kernel _ZN7rocprim17ROCPRIM_400000_NS6detail17trampoline_kernelINS0_14default_configENS1_36segmented_radix_sort_config_selectorIflEEZNS1_25segmented_radix_sort_implIS3_Lb0EPKfPfPKlPlN2at6native12_GLOBAL__N_18offset_tEEE10hipError_tPvRmT1_PNSt15iterator_traitsISK_E10value_typeET2_T3_PNSL_ISQ_E10value_typeET4_jRbjT5_SW_jjP12ihipStream_tbEUlT_E1_NS1_11comp_targetILNS1_3genE4ELNS1_11target_archE910ELNS1_3gpuE8ELNS1_3repE0EEENS1_59segmented_radix_sort_warp_sort_small_config_static_selectorELNS0_4arch9wavefront6targetE1EEEvSK_
		.amdhsa_group_segment_fixed_size 0
		.amdhsa_private_segment_fixed_size 0
		.amdhsa_kernarg_size 88
		.amdhsa_user_sgpr_count 6
		.amdhsa_user_sgpr_private_segment_buffer 1
		.amdhsa_user_sgpr_dispatch_ptr 0
		.amdhsa_user_sgpr_queue_ptr 0
		.amdhsa_user_sgpr_kernarg_segment_ptr 1
		.amdhsa_user_sgpr_dispatch_id 0
		.amdhsa_user_sgpr_flat_scratch_init 0
		.amdhsa_user_sgpr_private_segment_size 0
		.amdhsa_uses_dynamic_stack 0
		.amdhsa_system_sgpr_private_segment_wavefront_offset 0
		.amdhsa_system_sgpr_workgroup_id_x 1
		.amdhsa_system_sgpr_workgroup_id_y 0
		.amdhsa_system_sgpr_workgroup_id_z 0
		.amdhsa_system_sgpr_workgroup_info 0
		.amdhsa_system_vgpr_workitem_id 0
		.amdhsa_next_free_vgpr 1
		.amdhsa_next_free_sgpr 0
		.amdhsa_reserve_vcc 0
		.amdhsa_reserve_flat_scratch 0
		.amdhsa_float_round_mode_32 0
		.amdhsa_float_round_mode_16_64 0
		.amdhsa_float_denorm_mode_32 3
		.amdhsa_float_denorm_mode_16_64 3
		.amdhsa_dx10_clamp 1
		.amdhsa_ieee_mode 1
		.amdhsa_fp16_overflow 0
		.amdhsa_exception_fp_ieee_invalid_op 0
		.amdhsa_exception_fp_denorm_src 0
		.amdhsa_exception_fp_ieee_div_zero 0
		.amdhsa_exception_fp_ieee_overflow 0
		.amdhsa_exception_fp_ieee_underflow 0
		.amdhsa_exception_fp_ieee_inexact 0
		.amdhsa_exception_int_div_zero 0
	.end_amdhsa_kernel
	.section	.text._ZN7rocprim17ROCPRIM_400000_NS6detail17trampoline_kernelINS0_14default_configENS1_36segmented_radix_sort_config_selectorIflEEZNS1_25segmented_radix_sort_implIS3_Lb0EPKfPfPKlPlN2at6native12_GLOBAL__N_18offset_tEEE10hipError_tPvRmT1_PNSt15iterator_traitsISK_E10value_typeET2_T3_PNSL_ISQ_E10value_typeET4_jRbjT5_SW_jjP12ihipStream_tbEUlT_E1_NS1_11comp_targetILNS1_3genE4ELNS1_11target_archE910ELNS1_3gpuE8ELNS1_3repE0EEENS1_59segmented_radix_sort_warp_sort_small_config_static_selectorELNS0_4arch9wavefront6targetE1EEEvSK_,"axG",@progbits,_ZN7rocprim17ROCPRIM_400000_NS6detail17trampoline_kernelINS0_14default_configENS1_36segmented_radix_sort_config_selectorIflEEZNS1_25segmented_radix_sort_implIS3_Lb0EPKfPfPKlPlN2at6native12_GLOBAL__N_18offset_tEEE10hipError_tPvRmT1_PNSt15iterator_traitsISK_E10value_typeET2_T3_PNSL_ISQ_E10value_typeET4_jRbjT5_SW_jjP12ihipStream_tbEUlT_E1_NS1_11comp_targetILNS1_3genE4ELNS1_11target_archE910ELNS1_3gpuE8ELNS1_3repE0EEENS1_59segmented_radix_sort_warp_sort_small_config_static_selectorELNS0_4arch9wavefront6targetE1EEEvSK_,comdat
.Lfunc_end1450:
	.size	_ZN7rocprim17ROCPRIM_400000_NS6detail17trampoline_kernelINS0_14default_configENS1_36segmented_radix_sort_config_selectorIflEEZNS1_25segmented_radix_sort_implIS3_Lb0EPKfPfPKlPlN2at6native12_GLOBAL__N_18offset_tEEE10hipError_tPvRmT1_PNSt15iterator_traitsISK_E10value_typeET2_T3_PNSL_ISQ_E10value_typeET4_jRbjT5_SW_jjP12ihipStream_tbEUlT_E1_NS1_11comp_targetILNS1_3genE4ELNS1_11target_archE910ELNS1_3gpuE8ELNS1_3repE0EEENS1_59segmented_radix_sort_warp_sort_small_config_static_selectorELNS0_4arch9wavefront6targetE1EEEvSK_, .Lfunc_end1450-_ZN7rocprim17ROCPRIM_400000_NS6detail17trampoline_kernelINS0_14default_configENS1_36segmented_radix_sort_config_selectorIflEEZNS1_25segmented_radix_sort_implIS3_Lb0EPKfPfPKlPlN2at6native12_GLOBAL__N_18offset_tEEE10hipError_tPvRmT1_PNSt15iterator_traitsISK_E10value_typeET2_T3_PNSL_ISQ_E10value_typeET4_jRbjT5_SW_jjP12ihipStream_tbEUlT_E1_NS1_11comp_targetILNS1_3genE4ELNS1_11target_archE910ELNS1_3gpuE8ELNS1_3repE0EEENS1_59segmented_radix_sort_warp_sort_small_config_static_selectorELNS0_4arch9wavefront6targetE1EEEvSK_
                                        ; -- End function
	.set _ZN7rocprim17ROCPRIM_400000_NS6detail17trampoline_kernelINS0_14default_configENS1_36segmented_radix_sort_config_selectorIflEEZNS1_25segmented_radix_sort_implIS3_Lb0EPKfPfPKlPlN2at6native12_GLOBAL__N_18offset_tEEE10hipError_tPvRmT1_PNSt15iterator_traitsISK_E10value_typeET2_T3_PNSL_ISQ_E10value_typeET4_jRbjT5_SW_jjP12ihipStream_tbEUlT_E1_NS1_11comp_targetILNS1_3genE4ELNS1_11target_archE910ELNS1_3gpuE8ELNS1_3repE0EEENS1_59segmented_radix_sort_warp_sort_small_config_static_selectorELNS0_4arch9wavefront6targetE1EEEvSK_.num_vgpr, 0
	.set _ZN7rocprim17ROCPRIM_400000_NS6detail17trampoline_kernelINS0_14default_configENS1_36segmented_radix_sort_config_selectorIflEEZNS1_25segmented_radix_sort_implIS3_Lb0EPKfPfPKlPlN2at6native12_GLOBAL__N_18offset_tEEE10hipError_tPvRmT1_PNSt15iterator_traitsISK_E10value_typeET2_T3_PNSL_ISQ_E10value_typeET4_jRbjT5_SW_jjP12ihipStream_tbEUlT_E1_NS1_11comp_targetILNS1_3genE4ELNS1_11target_archE910ELNS1_3gpuE8ELNS1_3repE0EEENS1_59segmented_radix_sort_warp_sort_small_config_static_selectorELNS0_4arch9wavefront6targetE1EEEvSK_.num_agpr, 0
	.set _ZN7rocprim17ROCPRIM_400000_NS6detail17trampoline_kernelINS0_14default_configENS1_36segmented_radix_sort_config_selectorIflEEZNS1_25segmented_radix_sort_implIS3_Lb0EPKfPfPKlPlN2at6native12_GLOBAL__N_18offset_tEEE10hipError_tPvRmT1_PNSt15iterator_traitsISK_E10value_typeET2_T3_PNSL_ISQ_E10value_typeET4_jRbjT5_SW_jjP12ihipStream_tbEUlT_E1_NS1_11comp_targetILNS1_3genE4ELNS1_11target_archE910ELNS1_3gpuE8ELNS1_3repE0EEENS1_59segmented_radix_sort_warp_sort_small_config_static_selectorELNS0_4arch9wavefront6targetE1EEEvSK_.numbered_sgpr, 0
	.set _ZN7rocprim17ROCPRIM_400000_NS6detail17trampoline_kernelINS0_14default_configENS1_36segmented_radix_sort_config_selectorIflEEZNS1_25segmented_radix_sort_implIS3_Lb0EPKfPfPKlPlN2at6native12_GLOBAL__N_18offset_tEEE10hipError_tPvRmT1_PNSt15iterator_traitsISK_E10value_typeET2_T3_PNSL_ISQ_E10value_typeET4_jRbjT5_SW_jjP12ihipStream_tbEUlT_E1_NS1_11comp_targetILNS1_3genE4ELNS1_11target_archE910ELNS1_3gpuE8ELNS1_3repE0EEENS1_59segmented_radix_sort_warp_sort_small_config_static_selectorELNS0_4arch9wavefront6targetE1EEEvSK_.num_named_barrier, 0
	.set _ZN7rocprim17ROCPRIM_400000_NS6detail17trampoline_kernelINS0_14default_configENS1_36segmented_radix_sort_config_selectorIflEEZNS1_25segmented_radix_sort_implIS3_Lb0EPKfPfPKlPlN2at6native12_GLOBAL__N_18offset_tEEE10hipError_tPvRmT1_PNSt15iterator_traitsISK_E10value_typeET2_T3_PNSL_ISQ_E10value_typeET4_jRbjT5_SW_jjP12ihipStream_tbEUlT_E1_NS1_11comp_targetILNS1_3genE4ELNS1_11target_archE910ELNS1_3gpuE8ELNS1_3repE0EEENS1_59segmented_radix_sort_warp_sort_small_config_static_selectorELNS0_4arch9wavefront6targetE1EEEvSK_.private_seg_size, 0
	.set _ZN7rocprim17ROCPRIM_400000_NS6detail17trampoline_kernelINS0_14default_configENS1_36segmented_radix_sort_config_selectorIflEEZNS1_25segmented_radix_sort_implIS3_Lb0EPKfPfPKlPlN2at6native12_GLOBAL__N_18offset_tEEE10hipError_tPvRmT1_PNSt15iterator_traitsISK_E10value_typeET2_T3_PNSL_ISQ_E10value_typeET4_jRbjT5_SW_jjP12ihipStream_tbEUlT_E1_NS1_11comp_targetILNS1_3genE4ELNS1_11target_archE910ELNS1_3gpuE8ELNS1_3repE0EEENS1_59segmented_radix_sort_warp_sort_small_config_static_selectorELNS0_4arch9wavefront6targetE1EEEvSK_.uses_vcc, 0
	.set _ZN7rocprim17ROCPRIM_400000_NS6detail17trampoline_kernelINS0_14default_configENS1_36segmented_radix_sort_config_selectorIflEEZNS1_25segmented_radix_sort_implIS3_Lb0EPKfPfPKlPlN2at6native12_GLOBAL__N_18offset_tEEE10hipError_tPvRmT1_PNSt15iterator_traitsISK_E10value_typeET2_T3_PNSL_ISQ_E10value_typeET4_jRbjT5_SW_jjP12ihipStream_tbEUlT_E1_NS1_11comp_targetILNS1_3genE4ELNS1_11target_archE910ELNS1_3gpuE8ELNS1_3repE0EEENS1_59segmented_radix_sort_warp_sort_small_config_static_selectorELNS0_4arch9wavefront6targetE1EEEvSK_.uses_flat_scratch, 0
	.set _ZN7rocprim17ROCPRIM_400000_NS6detail17trampoline_kernelINS0_14default_configENS1_36segmented_radix_sort_config_selectorIflEEZNS1_25segmented_radix_sort_implIS3_Lb0EPKfPfPKlPlN2at6native12_GLOBAL__N_18offset_tEEE10hipError_tPvRmT1_PNSt15iterator_traitsISK_E10value_typeET2_T3_PNSL_ISQ_E10value_typeET4_jRbjT5_SW_jjP12ihipStream_tbEUlT_E1_NS1_11comp_targetILNS1_3genE4ELNS1_11target_archE910ELNS1_3gpuE8ELNS1_3repE0EEENS1_59segmented_radix_sort_warp_sort_small_config_static_selectorELNS0_4arch9wavefront6targetE1EEEvSK_.has_dyn_sized_stack, 0
	.set _ZN7rocprim17ROCPRIM_400000_NS6detail17trampoline_kernelINS0_14default_configENS1_36segmented_radix_sort_config_selectorIflEEZNS1_25segmented_radix_sort_implIS3_Lb0EPKfPfPKlPlN2at6native12_GLOBAL__N_18offset_tEEE10hipError_tPvRmT1_PNSt15iterator_traitsISK_E10value_typeET2_T3_PNSL_ISQ_E10value_typeET4_jRbjT5_SW_jjP12ihipStream_tbEUlT_E1_NS1_11comp_targetILNS1_3genE4ELNS1_11target_archE910ELNS1_3gpuE8ELNS1_3repE0EEENS1_59segmented_radix_sort_warp_sort_small_config_static_selectorELNS0_4arch9wavefront6targetE1EEEvSK_.has_recursion, 0
	.set _ZN7rocprim17ROCPRIM_400000_NS6detail17trampoline_kernelINS0_14default_configENS1_36segmented_radix_sort_config_selectorIflEEZNS1_25segmented_radix_sort_implIS3_Lb0EPKfPfPKlPlN2at6native12_GLOBAL__N_18offset_tEEE10hipError_tPvRmT1_PNSt15iterator_traitsISK_E10value_typeET2_T3_PNSL_ISQ_E10value_typeET4_jRbjT5_SW_jjP12ihipStream_tbEUlT_E1_NS1_11comp_targetILNS1_3genE4ELNS1_11target_archE910ELNS1_3gpuE8ELNS1_3repE0EEENS1_59segmented_radix_sort_warp_sort_small_config_static_selectorELNS0_4arch9wavefront6targetE1EEEvSK_.has_indirect_call, 0
	.section	.AMDGPU.csdata,"",@progbits
; Kernel info:
; codeLenInByte = 0
; TotalNumSgprs: 4
; NumVgprs: 0
; ScratchSize: 0
; MemoryBound: 0
; FloatMode: 240
; IeeeMode: 1
; LDSByteSize: 0 bytes/workgroup (compile time only)
; SGPRBlocks: 0
; VGPRBlocks: 0
; NumSGPRsForWavesPerEU: 4
; NumVGPRsForWavesPerEU: 1
; Occupancy: 10
; WaveLimiterHint : 0
; COMPUTE_PGM_RSRC2:SCRATCH_EN: 0
; COMPUTE_PGM_RSRC2:USER_SGPR: 6
; COMPUTE_PGM_RSRC2:TRAP_HANDLER: 0
; COMPUTE_PGM_RSRC2:TGID_X_EN: 1
; COMPUTE_PGM_RSRC2:TGID_Y_EN: 0
; COMPUTE_PGM_RSRC2:TGID_Z_EN: 0
; COMPUTE_PGM_RSRC2:TIDIG_COMP_CNT: 0
	.section	.text._ZN7rocprim17ROCPRIM_400000_NS6detail17trampoline_kernelINS0_14default_configENS1_36segmented_radix_sort_config_selectorIflEEZNS1_25segmented_radix_sort_implIS3_Lb0EPKfPfPKlPlN2at6native12_GLOBAL__N_18offset_tEEE10hipError_tPvRmT1_PNSt15iterator_traitsISK_E10value_typeET2_T3_PNSL_ISQ_E10value_typeET4_jRbjT5_SW_jjP12ihipStream_tbEUlT_E1_NS1_11comp_targetILNS1_3genE3ELNS1_11target_archE908ELNS1_3gpuE7ELNS1_3repE0EEENS1_59segmented_radix_sort_warp_sort_small_config_static_selectorELNS0_4arch9wavefront6targetE1EEEvSK_,"axG",@progbits,_ZN7rocprim17ROCPRIM_400000_NS6detail17trampoline_kernelINS0_14default_configENS1_36segmented_radix_sort_config_selectorIflEEZNS1_25segmented_radix_sort_implIS3_Lb0EPKfPfPKlPlN2at6native12_GLOBAL__N_18offset_tEEE10hipError_tPvRmT1_PNSt15iterator_traitsISK_E10value_typeET2_T3_PNSL_ISQ_E10value_typeET4_jRbjT5_SW_jjP12ihipStream_tbEUlT_E1_NS1_11comp_targetILNS1_3genE3ELNS1_11target_archE908ELNS1_3gpuE7ELNS1_3repE0EEENS1_59segmented_radix_sort_warp_sort_small_config_static_selectorELNS0_4arch9wavefront6targetE1EEEvSK_,comdat
	.globl	_ZN7rocprim17ROCPRIM_400000_NS6detail17trampoline_kernelINS0_14default_configENS1_36segmented_radix_sort_config_selectorIflEEZNS1_25segmented_radix_sort_implIS3_Lb0EPKfPfPKlPlN2at6native12_GLOBAL__N_18offset_tEEE10hipError_tPvRmT1_PNSt15iterator_traitsISK_E10value_typeET2_T3_PNSL_ISQ_E10value_typeET4_jRbjT5_SW_jjP12ihipStream_tbEUlT_E1_NS1_11comp_targetILNS1_3genE3ELNS1_11target_archE908ELNS1_3gpuE7ELNS1_3repE0EEENS1_59segmented_radix_sort_warp_sort_small_config_static_selectorELNS0_4arch9wavefront6targetE1EEEvSK_ ; -- Begin function _ZN7rocprim17ROCPRIM_400000_NS6detail17trampoline_kernelINS0_14default_configENS1_36segmented_radix_sort_config_selectorIflEEZNS1_25segmented_radix_sort_implIS3_Lb0EPKfPfPKlPlN2at6native12_GLOBAL__N_18offset_tEEE10hipError_tPvRmT1_PNSt15iterator_traitsISK_E10value_typeET2_T3_PNSL_ISQ_E10value_typeET4_jRbjT5_SW_jjP12ihipStream_tbEUlT_E1_NS1_11comp_targetILNS1_3genE3ELNS1_11target_archE908ELNS1_3gpuE7ELNS1_3repE0EEENS1_59segmented_radix_sort_warp_sort_small_config_static_selectorELNS0_4arch9wavefront6targetE1EEEvSK_
	.p2align	8
	.type	_ZN7rocprim17ROCPRIM_400000_NS6detail17trampoline_kernelINS0_14default_configENS1_36segmented_radix_sort_config_selectorIflEEZNS1_25segmented_radix_sort_implIS3_Lb0EPKfPfPKlPlN2at6native12_GLOBAL__N_18offset_tEEE10hipError_tPvRmT1_PNSt15iterator_traitsISK_E10value_typeET2_T3_PNSL_ISQ_E10value_typeET4_jRbjT5_SW_jjP12ihipStream_tbEUlT_E1_NS1_11comp_targetILNS1_3genE3ELNS1_11target_archE908ELNS1_3gpuE7ELNS1_3repE0EEENS1_59segmented_radix_sort_warp_sort_small_config_static_selectorELNS0_4arch9wavefront6targetE1EEEvSK_,@function
_ZN7rocprim17ROCPRIM_400000_NS6detail17trampoline_kernelINS0_14default_configENS1_36segmented_radix_sort_config_selectorIflEEZNS1_25segmented_radix_sort_implIS3_Lb0EPKfPfPKlPlN2at6native12_GLOBAL__N_18offset_tEEE10hipError_tPvRmT1_PNSt15iterator_traitsISK_E10value_typeET2_T3_PNSL_ISQ_E10value_typeET4_jRbjT5_SW_jjP12ihipStream_tbEUlT_E1_NS1_11comp_targetILNS1_3genE3ELNS1_11target_archE908ELNS1_3gpuE7ELNS1_3repE0EEENS1_59segmented_radix_sort_warp_sort_small_config_static_selectorELNS0_4arch9wavefront6targetE1EEEvSK_: ; @_ZN7rocprim17ROCPRIM_400000_NS6detail17trampoline_kernelINS0_14default_configENS1_36segmented_radix_sort_config_selectorIflEEZNS1_25segmented_radix_sort_implIS3_Lb0EPKfPfPKlPlN2at6native12_GLOBAL__N_18offset_tEEE10hipError_tPvRmT1_PNSt15iterator_traitsISK_E10value_typeET2_T3_PNSL_ISQ_E10value_typeET4_jRbjT5_SW_jjP12ihipStream_tbEUlT_E1_NS1_11comp_targetILNS1_3genE3ELNS1_11target_archE908ELNS1_3gpuE7ELNS1_3repE0EEENS1_59segmented_radix_sort_warp_sort_small_config_static_selectorELNS0_4arch9wavefront6targetE1EEEvSK_
; %bb.0:
	.section	.rodata,"a",@progbits
	.p2align	6, 0x0
	.amdhsa_kernel _ZN7rocprim17ROCPRIM_400000_NS6detail17trampoline_kernelINS0_14default_configENS1_36segmented_radix_sort_config_selectorIflEEZNS1_25segmented_radix_sort_implIS3_Lb0EPKfPfPKlPlN2at6native12_GLOBAL__N_18offset_tEEE10hipError_tPvRmT1_PNSt15iterator_traitsISK_E10value_typeET2_T3_PNSL_ISQ_E10value_typeET4_jRbjT5_SW_jjP12ihipStream_tbEUlT_E1_NS1_11comp_targetILNS1_3genE3ELNS1_11target_archE908ELNS1_3gpuE7ELNS1_3repE0EEENS1_59segmented_radix_sort_warp_sort_small_config_static_selectorELNS0_4arch9wavefront6targetE1EEEvSK_
		.amdhsa_group_segment_fixed_size 0
		.amdhsa_private_segment_fixed_size 0
		.amdhsa_kernarg_size 88
		.amdhsa_user_sgpr_count 6
		.amdhsa_user_sgpr_private_segment_buffer 1
		.amdhsa_user_sgpr_dispatch_ptr 0
		.amdhsa_user_sgpr_queue_ptr 0
		.amdhsa_user_sgpr_kernarg_segment_ptr 1
		.amdhsa_user_sgpr_dispatch_id 0
		.amdhsa_user_sgpr_flat_scratch_init 0
		.amdhsa_user_sgpr_private_segment_size 0
		.amdhsa_uses_dynamic_stack 0
		.amdhsa_system_sgpr_private_segment_wavefront_offset 0
		.amdhsa_system_sgpr_workgroup_id_x 1
		.amdhsa_system_sgpr_workgroup_id_y 0
		.amdhsa_system_sgpr_workgroup_id_z 0
		.amdhsa_system_sgpr_workgroup_info 0
		.amdhsa_system_vgpr_workitem_id 0
		.amdhsa_next_free_vgpr 1
		.amdhsa_next_free_sgpr 0
		.amdhsa_reserve_vcc 0
		.amdhsa_reserve_flat_scratch 0
		.amdhsa_float_round_mode_32 0
		.amdhsa_float_round_mode_16_64 0
		.amdhsa_float_denorm_mode_32 3
		.amdhsa_float_denorm_mode_16_64 3
		.amdhsa_dx10_clamp 1
		.amdhsa_ieee_mode 1
		.amdhsa_fp16_overflow 0
		.amdhsa_exception_fp_ieee_invalid_op 0
		.amdhsa_exception_fp_denorm_src 0
		.amdhsa_exception_fp_ieee_div_zero 0
		.amdhsa_exception_fp_ieee_overflow 0
		.amdhsa_exception_fp_ieee_underflow 0
		.amdhsa_exception_fp_ieee_inexact 0
		.amdhsa_exception_int_div_zero 0
	.end_amdhsa_kernel
	.section	.text._ZN7rocprim17ROCPRIM_400000_NS6detail17trampoline_kernelINS0_14default_configENS1_36segmented_radix_sort_config_selectorIflEEZNS1_25segmented_radix_sort_implIS3_Lb0EPKfPfPKlPlN2at6native12_GLOBAL__N_18offset_tEEE10hipError_tPvRmT1_PNSt15iterator_traitsISK_E10value_typeET2_T3_PNSL_ISQ_E10value_typeET4_jRbjT5_SW_jjP12ihipStream_tbEUlT_E1_NS1_11comp_targetILNS1_3genE3ELNS1_11target_archE908ELNS1_3gpuE7ELNS1_3repE0EEENS1_59segmented_radix_sort_warp_sort_small_config_static_selectorELNS0_4arch9wavefront6targetE1EEEvSK_,"axG",@progbits,_ZN7rocprim17ROCPRIM_400000_NS6detail17trampoline_kernelINS0_14default_configENS1_36segmented_radix_sort_config_selectorIflEEZNS1_25segmented_radix_sort_implIS3_Lb0EPKfPfPKlPlN2at6native12_GLOBAL__N_18offset_tEEE10hipError_tPvRmT1_PNSt15iterator_traitsISK_E10value_typeET2_T3_PNSL_ISQ_E10value_typeET4_jRbjT5_SW_jjP12ihipStream_tbEUlT_E1_NS1_11comp_targetILNS1_3genE3ELNS1_11target_archE908ELNS1_3gpuE7ELNS1_3repE0EEENS1_59segmented_radix_sort_warp_sort_small_config_static_selectorELNS0_4arch9wavefront6targetE1EEEvSK_,comdat
.Lfunc_end1451:
	.size	_ZN7rocprim17ROCPRIM_400000_NS6detail17trampoline_kernelINS0_14default_configENS1_36segmented_radix_sort_config_selectorIflEEZNS1_25segmented_radix_sort_implIS3_Lb0EPKfPfPKlPlN2at6native12_GLOBAL__N_18offset_tEEE10hipError_tPvRmT1_PNSt15iterator_traitsISK_E10value_typeET2_T3_PNSL_ISQ_E10value_typeET4_jRbjT5_SW_jjP12ihipStream_tbEUlT_E1_NS1_11comp_targetILNS1_3genE3ELNS1_11target_archE908ELNS1_3gpuE7ELNS1_3repE0EEENS1_59segmented_radix_sort_warp_sort_small_config_static_selectorELNS0_4arch9wavefront6targetE1EEEvSK_, .Lfunc_end1451-_ZN7rocprim17ROCPRIM_400000_NS6detail17trampoline_kernelINS0_14default_configENS1_36segmented_radix_sort_config_selectorIflEEZNS1_25segmented_radix_sort_implIS3_Lb0EPKfPfPKlPlN2at6native12_GLOBAL__N_18offset_tEEE10hipError_tPvRmT1_PNSt15iterator_traitsISK_E10value_typeET2_T3_PNSL_ISQ_E10value_typeET4_jRbjT5_SW_jjP12ihipStream_tbEUlT_E1_NS1_11comp_targetILNS1_3genE3ELNS1_11target_archE908ELNS1_3gpuE7ELNS1_3repE0EEENS1_59segmented_radix_sort_warp_sort_small_config_static_selectorELNS0_4arch9wavefront6targetE1EEEvSK_
                                        ; -- End function
	.set _ZN7rocprim17ROCPRIM_400000_NS6detail17trampoline_kernelINS0_14default_configENS1_36segmented_radix_sort_config_selectorIflEEZNS1_25segmented_radix_sort_implIS3_Lb0EPKfPfPKlPlN2at6native12_GLOBAL__N_18offset_tEEE10hipError_tPvRmT1_PNSt15iterator_traitsISK_E10value_typeET2_T3_PNSL_ISQ_E10value_typeET4_jRbjT5_SW_jjP12ihipStream_tbEUlT_E1_NS1_11comp_targetILNS1_3genE3ELNS1_11target_archE908ELNS1_3gpuE7ELNS1_3repE0EEENS1_59segmented_radix_sort_warp_sort_small_config_static_selectorELNS0_4arch9wavefront6targetE1EEEvSK_.num_vgpr, 0
	.set _ZN7rocprim17ROCPRIM_400000_NS6detail17trampoline_kernelINS0_14default_configENS1_36segmented_radix_sort_config_selectorIflEEZNS1_25segmented_radix_sort_implIS3_Lb0EPKfPfPKlPlN2at6native12_GLOBAL__N_18offset_tEEE10hipError_tPvRmT1_PNSt15iterator_traitsISK_E10value_typeET2_T3_PNSL_ISQ_E10value_typeET4_jRbjT5_SW_jjP12ihipStream_tbEUlT_E1_NS1_11comp_targetILNS1_3genE3ELNS1_11target_archE908ELNS1_3gpuE7ELNS1_3repE0EEENS1_59segmented_radix_sort_warp_sort_small_config_static_selectorELNS0_4arch9wavefront6targetE1EEEvSK_.num_agpr, 0
	.set _ZN7rocprim17ROCPRIM_400000_NS6detail17trampoline_kernelINS0_14default_configENS1_36segmented_radix_sort_config_selectorIflEEZNS1_25segmented_radix_sort_implIS3_Lb0EPKfPfPKlPlN2at6native12_GLOBAL__N_18offset_tEEE10hipError_tPvRmT1_PNSt15iterator_traitsISK_E10value_typeET2_T3_PNSL_ISQ_E10value_typeET4_jRbjT5_SW_jjP12ihipStream_tbEUlT_E1_NS1_11comp_targetILNS1_3genE3ELNS1_11target_archE908ELNS1_3gpuE7ELNS1_3repE0EEENS1_59segmented_radix_sort_warp_sort_small_config_static_selectorELNS0_4arch9wavefront6targetE1EEEvSK_.numbered_sgpr, 0
	.set _ZN7rocprim17ROCPRIM_400000_NS6detail17trampoline_kernelINS0_14default_configENS1_36segmented_radix_sort_config_selectorIflEEZNS1_25segmented_radix_sort_implIS3_Lb0EPKfPfPKlPlN2at6native12_GLOBAL__N_18offset_tEEE10hipError_tPvRmT1_PNSt15iterator_traitsISK_E10value_typeET2_T3_PNSL_ISQ_E10value_typeET4_jRbjT5_SW_jjP12ihipStream_tbEUlT_E1_NS1_11comp_targetILNS1_3genE3ELNS1_11target_archE908ELNS1_3gpuE7ELNS1_3repE0EEENS1_59segmented_radix_sort_warp_sort_small_config_static_selectorELNS0_4arch9wavefront6targetE1EEEvSK_.num_named_barrier, 0
	.set _ZN7rocprim17ROCPRIM_400000_NS6detail17trampoline_kernelINS0_14default_configENS1_36segmented_radix_sort_config_selectorIflEEZNS1_25segmented_radix_sort_implIS3_Lb0EPKfPfPKlPlN2at6native12_GLOBAL__N_18offset_tEEE10hipError_tPvRmT1_PNSt15iterator_traitsISK_E10value_typeET2_T3_PNSL_ISQ_E10value_typeET4_jRbjT5_SW_jjP12ihipStream_tbEUlT_E1_NS1_11comp_targetILNS1_3genE3ELNS1_11target_archE908ELNS1_3gpuE7ELNS1_3repE0EEENS1_59segmented_radix_sort_warp_sort_small_config_static_selectorELNS0_4arch9wavefront6targetE1EEEvSK_.private_seg_size, 0
	.set _ZN7rocprim17ROCPRIM_400000_NS6detail17trampoline_kernelINS0_14default_configENS1_36segmented_radix_sort_config_selectorIflEEZNS1_25segmented_radix_sort_implIS3_Lb0EPKfPfPKlPlN2at6native12_GLOBAL__N_18offset_tEEE10hipError_tPvRmT1_PNSt15iterator_traitsISK_E10value_typeET2_T3_PNSL_ISQ_E10value_typeET4_jRbjT5_SW_jjP12ihipStream_tbEUlT_E1_NS1_11comp_targetILNS1_3genE3ELNS1_11target_archE908ELNS1_3gpuE7ELNS1_3repE0EEENS1_59segmented_radix_sort_warp_sort_small_config_static_selectorELNS0_4arch9wavefront6targetE1EEEvSK_.uses_vcc, 0
	.set _ZN7rocprim17ROCPRIM_400000_NS6detail17trampoline_kernelINS0_14default_configENS1_36segmented_radix_sort_config_selectorIflEEZNS1_25segmented_radix_sort_implIS3_Lb0EPKfPfPKlPlN2at6native12_GLOBAL__N_18offset_tEEE10hipError_tPvRmT1_PNSt15iterator_traitsISK_E10value_typeET2_T3_PNSL_ISQ_E10value_typeET4_jRbjT5_SW_jjP12ihipStream_tbEUlT_E1_NS1_11comp_targetILNS1_3genE3ELNS1_11target_archE908ELNS1_3gpuE7ELNS1_3repE0EEENS1_59segmented_radix_sort_warp_sort_small_config_static_selectorELNS0_4arch9wavefront6targetE1EEEvSK_.uses_flat_scratch, 0
	.set _ZN7rocprim17ROCPRIM_400000_NS6detail17trampoline_kernelINS0_14default_configENS1_36segmented_radix_sort_config_selectorIflEEZNS1_25segmented_radix_sort_implIS3_Lb0EPKfPfPKlPlN2at6native12_GLOBAL__N_18offset_tEEE10hipError_tPvRmT1_PNSt15iterator_traitsISK_E10value_typeET2_T3_PNSL_ISQ_E10value_typeET4_jRbjT5_SW_jjP12ihipStream_tbEUlT_E1_NS1_11comp_targetILNS1_3genE3ELNS1_11target_archE908ELNS1_3gpuE7ELNS1_3repE0EEENS1_59segmented_radix_sort_warp_sort_small_config_static_selectorELNS0_4arch9wavefront6targetE1EEEvSK_.has_dyn_sized_stack, 0
	.set _ZN7rocprim17ROCPRIM_400000_NS6detail17trampoline_kernelINS0_14default_configENS1_36segmented_radix_sort_config_selectorIflEEZNS1_25segmented_radix_sort_implIS3_Lb0EPKfPfPKlPlN2at6native12_GLOBAL__N_18offset_tEEE10hipError_tPvRmT1_PNSt15iterator_traitsISK_E10value_typeET2_T3_PNSL_ISQ_E10value_typeET4_jRbjT5_SW_jjP12ihipStream_tbEUlT_E1_NS1_11comp_targetILNS1_3genE3ELNS1_11target_archE908ELNS1_3gpuE7ELNS1_3repE0EEENS1_59segmented_radix_sort_warp_sort_small_config_static_selectorELNS0_4arch9wavefront6targetE1EEEvSK_.has_recursion, 0
	.set _ZN7rocprim17ROCPRIM_400000_NS6detail17trampoline_kernelINS0_14default_configENS1_36segmented_radix_sort_config_selectorIflEEZNS1_25segmented_radix_sort_implIS3_Lb0EPKfPfPKlPlN2at6native12_GLOBAL__N_18offset_tEEE10hipError_tPvRmT1_PNSt15iterator_traitsISK_E10value_typeET2_T3_PNSL_ISQ_E10value_typeET4_jRbjT5_SW_jjP12ihipStream_tbEUlT_E1_NS1_11comp_targetILNS1_3genE3ELNS1_11target_archE908ELNS1_3gpuE7ELNS1_3repE0EEENS1_59segmented_radix_sort_warp_sort_small_config_static_selectorELNS0_4arch9wavefront6targetE1EEEvSK_.has_indirect_call, 0
	.section	.AMDGPU.csdata,"",@progbits
; Kernel info:
; codeLenInByte = 0
; TotalNumSgprs: 4
; NumVgprs: 0
; ScratchSize: 0
; MemoryBound: 0
; FloatMode: 240
; IeeeMode: 1
; LDSByteSize: 0 bytes/workgroup (compile time only)
; SGPRBlocks: 0
; VGPRBlocks: 0
; NumSGPRsForWavesPerEU: 4
; NumVGPRsForWavesPerEU: 1
; Occupancy: 10
; WaveLimiterHint : 0
; COMPUTE_PGM_RSRC2:SCRATCH_EN: 0
; COMPUTE_PGM_RSRC2:USER_SGPR: 6
; COMPUTE_PGM_RSRC2:TRAP_HANDLER: 0
; COMPUTE_PGM_RSRC2:TGID_X_EN: 1
; COMPUTE_PGM_RSRC2:TGID_Y_EN: 0
; COMPUTE_PGM_RSRC2:TGID_Z_EN: 0
; COMPUTE_PGM_RSRC2:TIDIG_COMP_CNT: 0
	.text
	.p2align	2                               ; -- Begin function _ZN7rocprim17ROCPRIM_400000_NS6detail26segmented_warp_sort_helperINS1_20WarpSortHelperConfigILj8ELj4ELj256EEEflLi256ELb0EvE4sortIPKfPfPKlPlEEvT_S9_T0_T1_SC_T2_bjjjjRNS5_12storage_typeE
	.type	_ZN7rocprim17ROCPRIM_400000_NS6detail26segmented_warp_sort_helperINS1_20WarpSortHelperConfigILj8ELj4ELj256EEEflLi256ELb0EvE4sortIPKfPfPKlPlEEvT_S9_T0_T1_SC_T2_bjjjjRNS5_12storage_typeE,@function
_ZN7rocprim17ROCPRIM_400000_NS6detail26segmented_warp_sort_helperINS1_20WarpSortHelperConfigILj8ELj4ELj256EEEflLi256ELb0EvE4sortIPKfPfPKlPlEEvT_S9_T0_T1_SC_T2_bjjjjRNS5_12storage_typeE: ; @_ZN7rocprim17ROCPRIM_400000_NS6detail26segmented_warp_sort_helperINS1_20WarpSortHelperConfigILj8ELj4ELj256EEEflLi256ELb0EvE4sortIPKfPfPKlPlEEvT_S9_T0_T1_SC_T2_bjjjjRNS5_12storage_typeE
; %bb.0:
	s_waitcnt vmcnt(0) expcnt(0) lgkmcnt(0)
	v_and_b32_e32 v12, 1, v12
	v_mov_b32_e32 v16, v14
	v_cmp_ne_u32_e32 vcc, 1, v12
	v_mov_b32_e32 v14, 0
	v_mbcnt_lo_u32_b32 v12, -1, 0
	v_lshlrev_b64 v[48:49], 2, v[13:14]
	v_mbcnt_hi_u32_b32 v12, -1, v12
	v_lshlrev_b32_e32 v51, 2, v12
	v_add_co_u32_e64 v0, s[4:5], v0, v48
	v_and_b32_e32 v12, 28, v51
	v_addc_co_u32_e64 v1, s[4:5], v1, v49, s[4:5]
	v_lshlrev_b32_e32 v50, 2, v12
	v_add_co_u32_e64 v0, s[4:5], v0, v50
	v_addc_co_u32_e64 v1, s[4:5], 0, v1, s[4:5]
	v_sub_u32_e32 v24, v16, v13
	v_cmp_lt_u32_e64 s[4:5], v12, v24
	s_mov_b64 s[16:17], 0
                                        ; implicit-def: $vgpr16_vgpr17_vgpr18_vgpr19_vgpr20_vgpr21_vgpr22_vgpr23
	s_and_saveexec_b64 s[6:7], vcc
	s_xor_b64 s[18:19], exec, s[6:7]
	s_cbranch_execnz .LBB1452_4
; %bb.1:
	s_andn2_saveexec_b64 s[18:19], s[18:19]
	s_cbranch_execnz .LBB1452_111
.LBB1452_2:
	s_or_b64 exec, exec, s[18:19]
	s_and_saveexec_b64 s[4:5], s[16:17]
	s_cbranch_execnz .LBB1452_218
.LBB1452_3:
	s_or_b64 exec, exec, s[4:5]
	s_waitcnt vmcnt(0) lgkmcnt(0)
	s_setpc_b64 s[30:31]
.LBB1452_4:
	v_bfrev_b32_e32 v11, -2
	v_bfrev_b32_e32 v52, -2
	s_and_saveexec_b64 s[6:7], s[4:5]
	s_cbranch_execz .LBB1452_6
; %bb.5:
	flat_load_dword v52, v[0:1]
.LBB1452_6:
	s_or_b64 exec, exec, s[6:7]
	v_or_b32_e32 v4, 1, v12
	v_cmp_lt_u32_e64 s[6:7], v4, v24
	s_and_saveexec_b64 s[10:11], s[6:7]
	s_cbranch_execz .LBB1452_8
; %bb.7:
	flat_load_dword v11, v[0:1] offset:4
.LBB1452_8:
	s_or_b64 exec, exec, s[10:11]
	v_or_b32_e32 v4, 2, v12
	v_cmp_lt_u32_e64 s[10:11], v4, v24
	v_bfrev_b32_e32 v10, -2
	v_bfrev_b32_e32 v30, -2
	s_and_saveexec_b64 s[14:15], s[10:11]
	s_cbranch_execz .LBB1452_10
; %bb.9:
	flat_load_dword v30, v[0:1] offset:8
.LBB1452_10:
	s_or_b64 exec, exec, s[14:15]
	v_or_b32_e32 v4, 3, v12
	v_cmp_lt_u32_e64 s[14:15], v4, v24
	s_and_saveexec_b64 s[16:17], s[14:15]
	s_cbranch_execz .LBB1452_12
; %bb.11:
	flat_load_dword v10, v[0:1] offset:12
.LBB1452_12:
	s_or_b64 exec, exec, s[16:17]
	v_lshlrev_b64 v[0:1], 3, v[13:14]
	v_mov_b32_e32 v16, 0
	v_add_co_u32_e32 v4, vcc, v6, v0
	v_addc_co_u32_e32 v5, vcc, v7, v1, vcc
	v_lshlrev_b32_e32 v6, 3, v12
	v_add_co_u32_e32 v4, vcc, v4, v6
	v_addc_co_u32_e32 v5, vcc, 0, v5, vcc
	v_mov_b32_e32 v17, v16
	v_mov_b32_e32 v18, v16
	;; [unrolled: 1-line block ×7, first 2 shown]
	; wave barrier
	s_and_saveexec_b64 s[16:17], s[4:5]
	s_cbranch_execnz .LBB1452_219
; %bb.13:
	s_or_b64 exec, exec, s[16:17]
	s_and_saveexec_b64 s[16:17], s[6:7]
	s_cbranch_execnz .LBB1452_220
.LBB1452_14:
	s_or_b64 exec, exec, s[16:17]
	s_and_saveexec_b64 s[16:17], s[10:11]
	s_cbranch_execnz .LBB1452_221
.LBB1452_15:
	s_or_b64 exec, exec, s[16:17]
	s_and_saveexec_b64 s[16:17], s[14:15]
	s_cbranch_execz .LBB1452_17
.LBB1452_16:
	flat_load_dwordx2 v[22:23], v[4:5] offset:24
.LBB1452_17:
	s_or_b64 exec, exec, s[16:17]
	; wave barrier
	s_load_dwordx2 s[16:17], s[8:9], 0x0
	v_mov_b32_e32 v4, 0
	v_bfe_u32 v24, v31, 20, 10
	s_waitcnt lgkmcnt(0)
	s_cmp_lt_u32 s13, s17
	s_cselect_b32 s17, 14, 20
	s_add_u32 s20, s8, s17
	s_addc_u32 s21, s9, 0
	s_cmp_lt_u32 s12, s16
	s_cselect_b32 s16, 12, 18
	s_add_u32 s16, s8, s16
	s_addc_u32 s17, s9, 0
	global_load_ushort v5, v4, s[20:21]
	global_load_ushort v7, v4, s[16:17]
	v_bfe_u32 v4, v31, 10, 10
	s_movk_i32 s16, 0x400
	s_waitcnt vmcnt(0)
	v_mad_u32_u24 v4, v24, v5, v4
	v_mul_lo_u32 v4, v4, v7
	v_and_b32_e32 v5, 0x3ff, v31
	v_add_lshl_u32 v4, v4, v5, 2
	v_cmp_gt_u32_e32 vcc, s16, v4
	s_and_saveexec_b64 s[20:21], vcc
	s_cbranch_execz .LBB1452_29
; %bb.18:
	v_add_f32_e32 v5, 0, v52
	v_ashrrev_i32_e32 v24, 31, v5
	v_add_f32_e32 v7, 0, v11
	v_or_b32_e32 v24, 0x80000000, v24
	v_xor_b32_e32 v5, v24, v5
	v_ashrrev_i32_e32 v24, 31, v7
	v_or_b32_e32 v24, 0x80000000, v24
	v_xor_b32_e32 v7, v24, v7
	v_cmp_gt_u32_e32 vcc, v5, v7
	v_add_f32_e32 v5, 0, v30
	v_cndmask_b32_e32 v26, v18, v16, vcc
	v_cndmask_b32_e32 v24, v16, v18, vcc
	v_ashrrev_i32_e32 v16, 31, v5
	v_add_f32_e32 v7, 0, v10
	v_or_b32_e32 v16, 0x80000000, v16
	v_xor_b32_e32 v16, v16, v5
	v_ashrrev_i32_e32 v5, 31, v7
	v_or_b32_e32 v5, 0x80000000, v5
	v_xor_b32_e32 v7, v5, v7
	v_mov_b32_e32 v29, v21
	v_cndmask_b32_e32 v27, v19, v17, vcc
	v_cndmask_b32_e32 v25, v17, v19, vcc
	v_cmp_gt_u32_e64 s[16:17], v16, v7
	v_mov_b32_e32 v5, v30
	v_mov_b32_e32 v28, v20
	s_and_saveexec_b64 s[22:23], s[16:17]
; %bb.19:
	v_mov_b32_e32 v29, v23
	v_mov_b32_e32 v28, v22
	;; [unrolled: 1-line block ×7, first 2 shown]
; %bb.20:
	s_or_b64 exec, exec, s[22:23]
	v_cndmask_b32_e32 v17, v11, v52, vcc
	v_add_f32_e32 v7, 0, v17
	v_ashrrev_i32_e32 v18, 31, v7
	v_or_b32_e32 v18, 0x80000000, v18
	v_mov_b32_e32 v30, v22
	v_xor_b32_e32 v18, v18, v7
	v_mov_b32_e32 v39, v31
	v_cmp_le_u32_e64 s[16:17], v18, v16
	v_mov_b32_e32 v33, v25
	v_mov_b32_e32 v32, v24
                                        ; implicit-def: $vgpr53
	v_mov_b32_e32 v38, v30
	v_mov_b32_e32 v37, v29
	v_mov_b32_e32 v36, v28
	v_mov_b32_e32 v35, v27
	v_mov_b32_e32 v34, v26
	s_and_saveexec_b64 s[22:23], s[16:17]
	s_xor_b64 s[16:17], exec, s[22:23]
; %bb.21:
	v_add_f32_e32 v7, 0, v5
	v_ashrrev_i32_e32 v16, 31, v7
	v_or_b32_e32 v16, 0x80000000, v16
	v_xor_b32_e32 v53, v16, v7
                                        ; implicit-def: $vgpr32_vgpr33_vgpr34_vgpr35_vgpr36_vgpr37_vgpr38_vgpr39
                                        ; implicit-def: $vgpr16
; %bb.22:
	s_or_saveexec_b64 s[16:17], s[16:17]
	v_mov_b32_e32 v31, v23
	v_mov_b32_e32 v7, v17
	s_xor_b64 exec, exec, s[16:17]
	s_cbranch_execz .LBB1452_24
; %bb.23:
	v_mov_b32_e32 v34, v28
	v_mov_b32_e32 v35, v29
	;; [unrolled: 1-line block ×18, first 2 shown]
.LBB1452_24:
	s_or_b64 exec, exec, s[16:17]
	v_cndmask_b32_e32 v32, v52, v11, vcc
	v_add_f32_e32 v11, 0, v32
	v_ashrrev_i32_e32 v16, 31, v11
	v_or_b32_e32 v16, 0x80000000, v16
	v_xor_b32_e32 v11, v16, v11
	v_cmp_gt_u32_e32 vcc, v11, v18
	v_add_f32_e32 v11, 0, v10
	v_cndmask_b32_e32 v18, v26, v24, vcc
	v_cndmask_b32_e32 v16, v24, v26, vcc
	v_ashrrev_i32_e32 v24, 31, v11
	v_or_b32_e32 v24, 0x80000000, v24
	v_xor_b32_e32 v11, v24, v11
	v_cndmask_b32_e32 v19, v27, v25, vcc
	v_cndmask_b32_e32 v17, v25, v27, vcc
	v_mov_b32_e32 v20, v28
	v_mov_b32_e32 v21, v29
	;; [unrolled: 1-line block ×4, first 2 shown]
	v_cmp_gt_u32_e64 s[16:17], v53, v11
	v_mov_b32_e32 v24, v5
	s_and_saveexec_b64 s[22:23], s[16:17]
; %bb.25:
	v_mov_b32_e32 v20, v30
	v_mov_b32_e32 v21, v31
	;; [unrolled: 1-line block ×7, first 2 shown]
; %bb.26:
	s_or_b64 exec, exec, s[22:23]
	v_cndmask_b32_e32 v11, v7, v32, vcc
	v_add_f32_e32 v5, 0, v11
	v_ashrrev_i32_e32 v25, 31, v5
	v_or_b32_e32 v25, 0x80000000, v25
	v_xor_b32_e32 v5, v25, v5
	v_cmp_gt_u32_e64 s[16:17], v5, v53
	v_mov_b32_e32 v30, v24
	s_and_saveexec_b64 s[22:23], s[16:17]
	s_cbranch_execz .LBB1452_28
; %bb.27:
	v_mov_b32_e32 v64, v16
	v_mov_b32_e32 v65, v17
	;; [unrolled: 1-line block ×18, first 2 shown]
.LBB1452_28:
	s_or_b64 exec, exec, s[22:23]
	v_cndmask_b32_e32 v52, v32, v7, vcc
.LBB1452_29:
	s_or_b64 exec, exec, s[20:21]
	v_and_b32_e32 v24, 0xffffff00, v4
	s_movk_i32 s16, 0x400
	v_mov_b32_e32 v25, 0
	v_sub_u32_e64 v7, s16, v24 clamp
	v_lshlrev_b64 v[4:5], 2, v[24:25]
	v_lshlrev_b64 v[24:25], 3, v[24:25]
	v_or_b32_e32 v25, 4, v51
	v_min_u32_e32 v32, v7, v25
	v_add_u32_e32 v25, 4, v32
	v_and_b32_e32 v34, 0x1f8, v51
	v_min_u32_e32 v33, v7, v25
	v_and_b32_e32 v25, 4, v51
	v_add_co_u32_e32 v5, vcc, v15, v4
	v_add_co_u32_e32 v4, vcc, v15, v24
	v_min_u32_e32 v35, v7, v25
	v_sub_u32_e32 v25, v32, v34
	v_sub_u32_e32 v26, v33, v32
	v_add_co_u32_e32 v4, vcc, 0x1000, v4
	v_sub_u32_e64 v37, v35, v26 clamp
	v_min_u32_e32 v25, v35, v25
	v_lshl_add_u32 v15, v51, 2, v5
	v_lshl_add_u32 v24, v51, 3, v4
	v_cmp_lt_u32_e32 vcc, v37, v25
	ds_write2_b32 v15, v52, v11 offset1:1
	ds_write2_b64 v24, v[16:17], v[18:19] offset1:1
	ds_write2_b32 v15, v30, v10 offset0:2 offset1:3
	ds_write2_b64 v24, v[20:21], v[22:23] offset0:2 offset1:3
	; wave barrier
	s_and_saveexec_b64 s[16:17], vcc
	s_cbranch_execz .LBB1452_33
; %bb.30:
	v_lshlrev_b32_e32 v26, 2, v34
	v_lshlrev_b32_e32 v27, 2, v32
	v_add_co_u32_e32 v26, vcc, v5, v26
	v_add_co_u32_e32 v27, vcc, v5, v27
	s_mov_b64 s[20:21], 0
.LBB1452_31:                            ; =>This Inner Loop Header: Depth=1
	v_add_u32_e32 v28, v25, v37
	v_lshrrev_b32_e32 v28, 1, v28
	v_xad_u32 v29, v28, -1, v35
	v_lshl_add_u32 v31, v28, 2, v26
	ds_read_b32 v31, v31
	v_lshl_add_u32 v29, v29, 2, v27
	ds_read_b32 v29, v29
	v_add_u32_e32 v36, 1, v28
	s_waitcnt lgkmcnt(1)
	v_add_f32_e32 v31, 0, v31
	v_ashrrev_i32_e32 v38, 31, v31
	s_waitcnt lgkmcnt(0)
	v_add_f32_e32 v29, 0, v29
	v_or_b32_e32 v38, 0x80000000, v38
	v_ashrrev_i32_e32 v39, 31, v29
	v_xor_b32_e32 v31, v38, v31
	v_or_b32_e32 v38, 0x80000000, v39
	v_xor_b32_e32 v29, v38, v29
	v_cmp_gt_u32_e32 vcc, v31, v29
	v_cndmask_b32_e32 v25, v25, v28, vcc
	v_cndmask_b32_e32 v37, v36, v37, vcc
	v_cmp_ge_u32_e32 vcc, v37, v25
	s_or_b64 s[20:21], vcc, s[20:21]
	s_andn2_b64 exec, exec, s[20:21]
	s_cbranch_execnz .LBB1452_31
; %bb.32:
	s_or_b64 exec, exec, s[20:21]
.LBB1452_33:
	s_or_b64 exec, exec, s[16:17]
	v_add_u32_e32 v36, v37, v34
	v_add_u32_e32 v34, v32, v35
	v_sub_u32_e32 v37, v34, v37
	v_cmp_le_u32_e32 vcc, v36, v32
	v_cmp_le_u32_e64 s[16:17], v37, v33
	v_add_u32_e32 v25, 4, v15
	v_add_u32_e32 v26, 8, v24
	v_add_u32_e32 v27, 8, v15
	v_add_u32_e32 v28, 16, v24
	v_add_u32_e32 v29, 12, v15
	v_add_u32_e32 v31, 24, v24
	s_or_b64 s[16:17], vcc, s[16:17]
	s_and_saveexec_b64 s[20:21], s[16:17]
	s_cbranch_execz .LBB1452_53
; %bb.34:
	v_cmp_ge_u32_e32 vcc, v36, v32
	v_cmp_lt_u32_e64 s[16:17], v36, v32
                                        ; implicit-def: $vgpr10
	s_and_saveexec_b64 s[22:23], s[16:17]
; %bb.35:
	v_lshl_add_u32 v10, v36, 2, v5
	ds_read_b32 v10, v10
; %bb.36:
	s_or_b64 exec, exec, s[22:23]
	v_cmp_ge_u32_e64 s[22:23], v37, v33
	v_cmp_lt_u32_e64 s[16:17], v37, v33
                                        ; implicit-def: $vgpr34
	s_and_saveexec_b64 s[24:25], s[16:17]
; %bb.37:
	v_lshl_add_u32 v11, v37, 2, v5
	ds_read_b32 v34, v11
; %bb.38:
	s_or_b64 exec, exec, s[24:25]
	s_nor_b64 s[24:25], vcc, s[22:23]
	s_and_saveexec_b64 s[16:17], s[24:25]
	s_cbranch_execz .LBB1452_40
; %bb.39:
	s_waitcnt lgkmcnt(0)
	v_add_f32_e32 v11, 0, v10
	v_ashrrev_i32_e32 v17, 31, v11
	v_add_f32_e32 v16, 0, v34
	v_or_b32_e32 v17, 0x80000000, v17
	v_xor_b32_e32 v11, v17, v11
	v_ashrrev_i32_e32 v17, 31, v16
	v_or_b32_e32 v17, 0x80000000, v17
	v_xor_b32_e32 v16, v17, v16
	v_cmp_le_u32_e32 vcc, v11, v16
	s_andn2_b64 s[22:23], s[22:23], exec
	s_and_b64 s[24:25], vcc, exec
	s_or_b64 s[22:23], s[22:23], s[24:25]
.LBB1452_40:
	s_or_b64 exec, exec, s[16:17]
	v_cndmask_b32_e64 v11, v37, v36, s[22:23]
	v_cndmask_b32_e64 v16, v33, v32, s[22:23]
	v_add_u32_e32 v18, 1, v11
	v_add_u32_e32 v16, -1, v16
	v_min_u32_e32 v16, v18, v16
	v_lshl_add_u32 v16, v16, 2, v5
	ds_read_b32 v19, v16
	v_lshl_add_u32 v11, v11, 3, v4
	ds_read_b64 v[16:17], v11
	v_cndmask_b32_e64 v20, v18, v37, s[22:23]
	v_cndmask_b32_e64 v21, v36, v18, s[22:23]
	s_waitcnt lgkmcnt(1)
	v_cndmask_b32_e64 v11, v19, v34, s[22:23]
	v_cndmask_b32_e64 v35, v10, v19, s[22:23]
	v_cmp_lt_u32_e32 vcc, v20, v33
	s_mov_b64 s[24:25], -1
	s_mov_b64 s[16:17], -1
	s_and_saveexec_b64 s[26:27], vcc
	s_cbranch_execz .LBB1452_44
; %bb.41:
	v_cmp_lt_u32_e32 vcc, v21, v32
	s_mov_b64 s[28:29], 0
	s_and_saveexec_b64 s[16:17], vcc
	s_cbranch_execz .LBB1452_43
; %bb.42:
	v_add_f32_e32 v18, 0, v35
	v_ashrrev_i32_e32 v22, 31, v18
	v_add_f32_e32 v19, 0, v11
	v_or_b32_e32 v22, 0x80000000, v22
	v_xor_b32_e32 v18, v22, v18
	v_ashrrev_i32_e32 v22, 31, v19
	v_or_b32_e32 v22, 0x80000000, v22
	v_xor_b32_e32 v19, v22, v19
	v_cmp_le_u32_e32 vcc, v18, v19
	s_and_b64 s[28:29], vcc, exec
.LBB1452_43:
	s_or_b64 exec, exec, s[16:17]
	s_orn2_b64 s[16:17], s[28:29], exec
.LBB1452_44:
	s_or_b64 exec, exec, s[26:27]
	v_cndmask_b32_e64 v18, v20, v21, s[16:17]
	v_cndmask_b32_e64 v19, v33, v32, s[16:17]
	v_add_u32_e32 v23, 1, v18
	v_add_u32_e32 v19, -1, v19
	v_min_u32_e32 v19, v23, v19
	v_lshl_add_u32 v19, v19, 2, v5
	ds_read_b32 v22, v19
	v_lshl_add_u32 v18, v18, 3, v4
	ds_read_b64 v[18:19], v18
	s_waitcnt lgkmcnt(1)
	v_cndmask_b32_e64 v30, v22, v11, s[16:17]
	v_cndmask_b32_e64 v36, v35, v22, s[16:17]
	v_cndmask_b32_e64 v22, v23, v20, s[16:17]
	v_cndmask_b32_e64 v23, v21, v23, s[16:17]
	v_cmp_lt_u32_e32 vcc, v22, v33
	s_and_saveexec_b64 s[26:27], vcc
	s_cbranch_execz .LBB1452_48
; %bb.45:
	v_cmp_lt_u32_e32 vcc, v23, v32
	s_mov_b64 s[28:29], 0
	s_and_saveexec_b64 s[24:25], vcc
	s_cbranch_execz .LBB1452_47
; %bb.46:
	v_add_f32_e32 v20, 0, v36
	v_ashrrev_i32_e32 v37, 31, v20
	v_add_f32_e32 v21, 0, v30
	v_or_b32_e32 v37, 0x80000000, v37
	v_xor_b32_e32 v20, v37, v20
	v_ashrrev_i32_e32 v37, 31, v21
	v_or_b32_e32 v37, 0x80000000, v37
	v_xor_b32_e32 v21, v37, v21
	v_cmp_le_u32_e32 vcc, v20, v21
	s_and_b64 s[28:29], vcc, exec
.LBB1452_47:
	s_or_b64 exec, exec, s[24:25]
	s_orn2_b64 s[24:25], s[28:29], exec
.LBB1452_48:
	s_or_b64 exec, exec, s[26:27]
	v_cndmask_b32_e64 v20, v22, v23, s[24:25]
	v_cndmask_b32_e64 v21, v33, v32, s[24:25]
	v_add_u32_e32 v39, 1, v20
	v_add_u32_e32 v21, -1, v21
	v_min_u32_e32 v21, v39, v21
	v_lshl_add_u32 v21, v21, 2, v5
	ds_read_b32 v38, v21
	v_lshl_add_u32 v20, v20, 3, v4
	ds_read_b64 v[20:21], v20
	v_cndmask_b32_e64 v22, v39, v22, s[24:25]
	v_cndmask_b32_e64 v23, v23, v39, s[24:25]
	s_waitcnt lgkmcnt(1)
	v_cndmask_b32_e64 v37, v38, v30, s[24:25]
	v_cndmask_b32_e64 v38, v36, v38, s[24:25]
	v_cmp_lt_u32_e32 vcc, v22, v33
	s_mov_b64 s[28:29], -1
	s_and_saveexec_b64 s[26:27], vcc
	s_cbranch_execz .LBB1452_52
; %bb.49:
	v_cmp_lt_u32_e32 vcc, v23, v32
	s_mov_b64 s[40:41], 0
	s_and_saveexec_b64 s[28:29], vcc
	s_cbranch_execz .LBB1452_51
; %bb.50:
	v_add_f32_e32 v32, 0, v38
	v_ashrrev_i32_e32 v39, 31, v32
	v_add_f32_e32 v33, 0, v37
	v_or_b32_e32 v39, 0x80000000, v39
	v_xor_b32_e32 v32, v39, v32
	v_ashrrev_i32_e32 v39, 31, v33
	v_or_b32_e32 v39, 0x80000000, v39
	v_xor_b32_e32 v33, v39, v33
	v_cmp_le_u32_e32 vcc, v32, v33
	s_and_b64 s[40:41], vcc, exec
.LBB1452_51:
	s_or_b64 exec, exec, s[28:29]
	s_orn2_b64 s[28:29], s[40:41], exec
.LBB1452_52:
	s_or_b64 exec, exec, s[26:27]
	v_cndmask_b32_e64 v22, v22, v23, s[28:29]
	v_lshl_add_u32 v22, v22, 3, v4
	ds_read_b64 v[22:23], v22
	v_cndmask_b32_e64 v30, v30, v36, s[24:25]
	v_cndmask_b32_e64 v11, v11, v35, s[16:17]
	v_cndmask_b32_e64 v52, v34, v10, s[22:23]
	v_cndmask_b32_e64 v10, v37, v38, s[28:29]
.LBB1452_53:
	s_or_b64 exec, exec, s[20:21]
	v_and_b32_e32 v34, 0x1f0, v51
	v_or_b32_e32 v32, 8, v34
	v_min_u32_e32 v32, v7, v32
	v_add_u32_e32 v33, 8, v32
	v_min_u32_e32 v33, v7, v33
	v_and_b32_e32 v35, 12, v51
	v_min_u32_e32 v35, v7, v35
	v_sub_u32_e32 v36, v32, v34
	v_sub_u32_e32 v37, v33, v32
	v_sub_u32_e64 v37, v35, v37 clamp
	v_min_u32_e32 v36, v35, v36
	v_cmp_lt_u32_e32 vcc, v37, v36
	; wave barrier
	ds_write_b32 v15, v52
	ds_write_b64 v24, v[16:17]
	ds_write_b32 v25, v11
	ds_write_b64 v26, v[18:19]
	ds_write_b32 v27, v30
	s_waitcnt lgkmcnt(6)
	ds_write_b64 v28, v[20:21]
	ds_write_b32 v29, v10
	s_waitcnt lgkmcnt(7)
	ds_write_b64 v31, v[22:23]
	; wave barrier
	s_and_saveexec_b64 s[16:17], vcc
	s_cbranch_execz .LBB1452_57
; %bb.54:
	v_lshlrev_b32_e32 v38, 2, v34
	v_lshlrev_b32_e32 v39, 2, v32
	v_add_co_u32_e32 v38, vcc, v5, v38
	v_add_co_u32_e32 v39, vcc, v5, v39
	s_mov_b64 s[20:21], 0
.LBB1452_55:                            ; =>This Inner Loop Header: Depth=1
	v_add_u32_e32 v53, v36, v37
	v_lshrrev_b32_e32 v53, 1, v53
	v_xad_u32 v54, v53, -1, v35
	v_lshl_add_u32 v55, v53, 2, v38
	ds_read_b32 v55, v55
	v_lshl_add_u32 v54, v54, 2, v39
	ds_read_b32 v54, v54
	v_add_u32_e32 v64, 1, v53
	s_waitcnt lgkmcnt(1)
	v_add_f32_e32 v55, 0, v55
	v_ashrrev_i32_e32 v65, 31, v55
	s_waitcnt lgkmcnt(0)
	v_add_f32_e32 v54, 0, v54
	v_or_b32_e32 v65, 0x80000000, v65
	v_ashrrev_i32_e32 v66, 31, v54
	v_xor_b32_e32 v55, v65, v55
	v_or_b32_e32 v65, 0x80000000, v66
	v_xor_b32_e32 v54, v65, v54
	v_cmp_gt_u32_e32 vcc, v55, v54
	v_cndmask_b32_e32 v36, v36, v53, vcc
	v_cndmask_b32_e32 v37, v64, v37, vcc
	v_cmp_ge_u32_e32 vcc, v37, v36
	s_or_b64 s[20:21], vcc, s[20:21]
	s_andn2_b64 exec, exec, s[20:21]
	s_cbranch_execnz .LBB1452_55
; %bb.56:
	s_or_b64 exec, exec, s[20:21]
.LBB1452_57:
	s_or_b64 exec, exec, s[16:17]
	v_add_u32_e32 v36, v37, v34
	v_add_u32_e32 v34, v32, v35
	v_sub_u32_e32 v37, v34, v37
	v_cmp_le_u32_e32 vcc, v36, v32
	v_cmp_le_u32_e64 s[16:17], v37, v33
	s_or_b64 s[16:17], vcc, s[16:17]
	s_and_saveexec_b64 s[20:21], s[16:17]
	s_cbranch_execz .LBB1452_77
; %bb.58:
	v_cmp_ge_u32_e32 vcc, v36, v32
	v_cmp_lt_u32_e64 s[16:17], v36, v32
                                        ; implicit-def: $vgpr10
	s_and_saveexec_b64 s[22:23], s[16:17]
; %bb.59:
	v_lshl_add_u32 v10, v36, 2, v5
	ds_read_b32 v10, v10
; %bb.60:
	s_or_b64 exec, exec, s[22:23]
	v_cmp_ge_u32_e64 s[22:23], v37, v33
	v_cmp_lt_u32_e64 s[16:17], v37, v33
                                        ; implicit-def: $vgpr34
	s_and_saveexec_b64 s[24:25], s[16:17]
; %bb.61:
	v_lshl_add_u32 v11, v37, 2, v5
	ds_read_b32 v34, v11
; %bb.62:
	s_or_b64 exec, exec, s[24:25]
	s_nor_b64 s[24:25], vcc, s[22:23]
	s_and_saveexec_b64 s[16:17], s[24:25]
	s_cbranch_execz .LBB1452_64
; %bb.63:
	s_waitcnt lgkmcnt(0)
	v_add_f32_e32 v11, 0, v10
	v_ashrrev_i32_e32 v17, 31, v11
	v_add_f32_e32 v16, 0, v34
	v_or_b32_e32 v17, 0x80000000, v17
	v_xor_b32_e32 v11, v17, v11
	v_ashrrev_i32_e32 v17, 31, v16
	v_or_b32_e32 v17, 0x80000000, v17
	v_xor_b32_e32 v16, v17, v16
	v_cmp_le_u32_e32 vcc, v11, v16
	s_andn2_b64 s[22:23], s[22:23], exec
	s_and_b64 s[24:25], vcc, exec
	s_or_b64 s[22:23], s[22:23], s[24:25]
.LBB1452_64:
	s_or_b64 exec, exec, s[16:17]
	v_cndmask_b32_e64 v11, v37, v36, s[22:23]
	v_cndmask_b32_e64 v16, v33, v32, s[22:23]
	v_add_u32_e32 v18, 1, v11
	v_add_u32_e32 v16, -1, v16
	v_min_u32_e32 v16, v18, v16
	v_lshl_add_u32 v16, v16, 2, v5
	ds_read_b32 v19, v16
	v_lshl_add_u32 v11, v11, 3, v4
	ds_read_b64 v[16:17], v11
	v_cndmask_b32_e64 v20, v18, v37, s[22:23]
	v_cndmask_b32_e64 v21, v36, v18, s[22:23]
	s_waitcnt lgkmcnt(1)
	v_cndmask_b32_e64 v11, v19, v34, s[22:23]
	v_cndmask_b32_e64 v35, v10, v19, s[22:23]
	v_cmp_lt_u32_e32 vcc, v20, v33
	s_mov_b64 s[24:25], -1
	s_mov_b64 s[16:17], -1
	s_and_saveexec_b64 s[26:27], vcc
	s_cbranch_execz .LBB1452_68
; %bb.65:
	v_cmp_lt_u32_e32 vcc, v21, v32
	s_mov_b64 s[28:29], 0
	s_and_saveexec_b64 s[16:17], vcc
	s_cbranch_execz .LBB1452_67
; %bb.66:
	v_add_f32_e32 v18, 0, v35
	v_ashrrev_i32_e32 v22, 31, v18
	v_add_f32_e32 v19, 0, v11
	v_or_b32_e32 v22, 0x80000000, v22
	v_xor_b32_e32 v18, v22, v18
	v_ashrrev_i32_e32 v22, 31, v19
	v_or_b32_e32 v22, 0x80000000, v22
	v_xor_b32_e32 v19, v22, v19
	v_cmp_le_u32_e32 vcc, v18, v19
	s_and_b64 s[28:29], vcc, exec
.LBB1452_67:
	s_or_b64 exec, exec, s[16:17]
	s_orn2_b64 s[16:17], s[28:29], exec
.LBB1452_68:
	s_or_b64 exec, exec, s[26:27]
	v_cndmask_b32_e64 v18, v20, v21, s[16:17]
	v_cndmask_b32_e64 v19, v33, v32, s[16:17]
	v_add_u32_e32 v23, 1, v18
	v_add_u32_e32 v19, -1, v19
	v_min_u32_e32 v19, v23, v19
	v_lshl_add_u32 v19, v19, 2, v5
	ds_read_b32 v22, v19
	v_lshl_add_u32 v18, v18, 3, v4
	ds_read_b64 v[18:19], v18
	s_waitcnt lgkmcnt(1)
	v_cndmask_b32_e64 v30, v22, v11, s[16:17]
	v_cndmask_b32_e64 v36, v35, v22, s[16:17]
	;; [unrolled: 1-line block ×4, first 2 shown]
	v_cmp_lt_u32_e32 vcc, v22, v33
	s_and_saveexec_b64 s[26:27], vcc
	s_cbranch_execz .LBB1452_72
; %bb.69:
	v_cmp_lt_u32_e32 vcc, v23, v32
	s_mov_b64 s[28:29], 0
	s_and_saveexec_b64 s[24:25], vcc
	s_cbranch_execz .LBB1452_71
; %bb.70:
	v_add_f32_e32 v20, 0, v36
	v_ashrrev_i32_e32 v37, 31, v20
	v_add_f32_e32 v21, 0, v30
	v_or_b32_e32 v37, 0x80000000, v37
	v_xor_b32_e32 v20, v37, v20
	v_ashrrev_i32_e32 v37, 31, v21
	v_or_b32_e32 v37, 0x80000000, v37
	v_xor_b32_e32 v21, v37, v21
	v_cmp_le_u32_e32 vcc, v20, v21
	s_and_b64 s[28:29], vcc, exec
.LBB1452_71:
	s_or_b64 exec, exec, s[24:25]
	s_orn2_b64 s[24:25], s[28:29], exec
.LBB1452_72:
	s_or_b64 exec, exec, s[26:27]
	v_cndmask_b32_e64 v20, v22, v23, s[24:25]
	v_cndmask_b32_e64 v21, v33, v32, s[24:25]
	v_add_u32_e32 v39, 1, v20
	v_add_u32_e32 v21, -1, v21
	v_min_u32_e32 v21, v39, v21
	v_lshl_add_u32 v21, v21, 2, v5
	ds_read_b32 v38, v21
	v_lshl_add_u32 v20, v20, 3, v4
	ds_read_b64 v[20:21], v20
	v_cndmask_b32_e64 v22, v39, v22, s[24:25]
	v_cndmask_b32_e64 v23, v23, v39, s[24:25]
	s_waitcnt lgkmcnt(1)
	v_cndmask_b32_e64 v37, v38, v30, s[24:25]
	v_cndmask_b32_e64 v38, v36, v38, s[24:25]
	v_cmp_lt_u32_e32 vcc, v22, v33
	s_mov_b64 s[28:29], -1
	s_and_saveexec_b64 s[26:27], vcc
	s_cbranch_execz .LBB1452_76
; %bb.73:
	v_cmp_lt_u32_e32 vcc, v23, v32
	s_mov_b64 s[40:41], 0
	s_and_saveexec_b64 s[28:29], vcc
	s_cbranch_execz .LBB1452_75
; %bb.74:
	v_add_f32_e32 v32, 0, v38
	v_ashrrev_i32_e32 v39, 31, v32
	v_add_f32_e32 v33, 0, v37
	v_or_b32_e32 v39, 0x80000000, v39
	v_xor_b32_e32 v32, v39, v32
	v_ashrrev_i32_e32 v39, 31, v33
	v_or_b32_e32 v39, 0x80000000, v39
	v_xor_b32_e32 v33, v39, v33
	v_cmp_le_u32_e32 vcc, v32, v33
	s_and_b64 s[40:41], vcc, exec
.LBB1452_75:
	s_or_b64 exec, exec, s[28:29]
	s_orn2_b64 s[28:29], s[40:41], exec
.LBB1452_76:
	s_or_b64 exec, exec, s[26:27]
	v_cndmask_b32_e64 v22, v22, v23, s[28:29]
	v_lshl_add_u32 v22, v22, 3, v4
	ds_read_b64 v[22:23], v22
	v_cndmask_b32_e64 v30, v30, v36, s[24:25]
	v_cndmask_b32_e64 v11, v11, v35, s[16:17]
	;; [unrolled: 1-line block ×4, first 2 shown]
.LBB1452_77:
	s_or_b64 exec, exec, s[20:21]
	; wave barrier
	ds_write_b32 v15, v52
	ds_write_b64 v24, v[16:17]
	ds_write_b32 v25, v11
	ds_write_b64 v26, v[18:19]
	ds_write_b32 v27, v30
	s_waitcnt lgkmcnt(6)
	ds_write_b64 v28, v[20:21]
	ds_write_b32 v29, v10
	s_waitcnt lgkmcnt(7)
	ds_write_b64 v31, v[22:23]
	v_and_b32_e32 v25, 0x1e0, v51
	v_or_b32_e32 v15, 16, v25
	v_min_u32_e32 v15, v7, v15
	v_add_u32_e32 v24, 16, v15
	v_min_u32_e32 v24, v7, v24
	v_min_u32_e32 v7, v7, v12
	v_sub_u32_e32 v26, v15, v25
	v_sub_u32_e32 v27, v24, v15
	v_sub_u32_e64 v27, v7, v27 clamp
	v_min_u32_e32 v26, v7, v26
	v_cmp_lt_u32_e32 vcc, v27, v26
	; wave barrier
	s_and_saveexec_b64 s[16:17], vcc
	s_cbranch_execz .LBB1452_81
; %bb.78:
	v_lshlrev_b32_e32 v28, 2, v25
	v_lshlrev_b32_e32 v29, 2, v15
	v_add_co_u32_e32 v28, vcc, v5, v28
	v_add_co_u32_e32 v29, vcc, v5, v29
	s_mov_b64 s[20:21], 0
.LBB1452_79:                            ; =>This Inner Loop Header: Depth=1
	v_add_u32_e32 v31, v26, v27
	v_lshrrev_b32_e32 v31, 1, v31
	v_xad_u32 v32, v31, -1, v7
	v_lshl_add_u32 v33, v31, 2, v28
	ds_read_b32 v33, v33
	v_lshl_add_u32 v32, v32, 2, v29
	ds_read_b32 v32, v32
	v_add_u32_e32 v34, 1, v31
	s_waitcnt lgkmcnt(1)
	v_add_f32_e32 v33, 0, v33
	v_ashrrev_i32_e32 v35, 31, v33
	s_waitcnt lgkmcnt(0)
	v_add_f32_e32 v32, 0, v32
	v_or_b32_e32 v35, 0x80000000, v35
	v_ashrrev_i32_e32 v36, 31, v32
	v_xor_b32_e32 v33, v35, v33
	v_or_b32_e32 v35, 0x80000000, v36
	v_xor_b32_e32 v32, v35, v32
	v_cmp_gt_u32_e32 vcc, v33, v32
	v_cndmask_b32_e32 v26, v26, v31, vcc
	v_cndmask_b32_e32 v27, v34, v27, vcc
	v_cmp_ge_u32_e32 vcc, v27, v26
	s_or_b64 s[20:21], vcc, s[20:21]
	s_andn2_b64 exec, exec, s[20:21]
	s_cbranch_execnz .LBB1452_79
; %bb.80:
	s_or_b64 exec, exec, s[20:21]
.LBB1452_81:
	s_or_b64 exec, exec, s[16:17]
	v_add_u32_e32 v7, v15, v7
	v_add_u32_e32 v26, v27, v25
	v_sub_u32_e32 v27, v7, v27
	v_cmp_le_u32_e32 vcc, v26, v15
	v_cmp_le_u32_e64 s[16:17], v27, v24
	s_or_b64 s[16:17], vcc, s[16:17]
	s_and_saveexec_b64 s[20:21], s[16:17]
	s_cbranch_execz .LBB1452_101
; %bb.82:
	v_cmp_ge_u32_e32 vcc, v26, v15
	v_cmp_lt_u32_e64 s[16:17], v26, v15
                                        ; implicit-def: $vgpr7
	s_and_saveexec_b64 s[22:23], s[16:17]
; %bb.83:
	v_lshl_add_u32 v7, v26, 2, v5
	ds_read_b32 v7, v7
; %bb.84:
	s_or_b64 exec, exec, s[22:23]
	v_cmp_ge_u32_e64 s[22:23], v27, v24
	v_cmp_lt_u32_e64 s[16:17], v27, v24
                                        ; implicit-def: $vgpr10
	s_and_saveexec_b64 s[24:25], s[16:17]
; %bb.85:
	v_lshl_add_u32 v10, v27, 2, v5
	ds_read_b32 v10, v10
; %bb.86:
	s_or_b64 exec, exec, s[24:25]
	s_nor_b64 s[24:25], vcc, s[22:23]
	s_and_saveexec_b64 s[16:17], s[24:25]
	s_cbranch_execz .LBB1452_88
; %bb.87:
	s_waitcnt lgkmcnt(0)
	v_add_f32_e32 v11, 0, v7
	v_ashrrev_i32_e32 v17, 31, v11
	v_add_f32_e32 v16, 0, v10
	v_or_b32_e32 v17, 0x80000000, v17
	v_xor_b32_e32 v11, v17, v11
	v_ashrrev_i32_e32 v17, 31, v16
	v_or_b32_e32 v17, 0x80000000, v17
	v_xor_b32_e32 v16, v17, v16
	v_cmp_le_u32_e32 vcc, v11, v16
	s_andn2_b64 s[22:23], s[22:23], exec
	s_and_b64 s[24:25], vcc, exec
	s_or_b64 s[22:23], s[22:23], s[24:25]
.LBB1452_88:
	s_or_b64 exec, exec, s[16:17]
	v_cndmask_b32_e64 v11, v27, v26, s[22:23]
	v_cndmask_b32_e64 v16, v24, v15, s[22:23]
	v_add_u32_e32 v18, 1, v11
	v_add_u32_e32 v16, -1, v16
	v_min_u32_e32 v16, v18, v16
	v_lshl_add_u32 v16, v16, 2, v5
	ds_read_b32 v19, v16
	v_lshl_add_u32 v11, v11, 3, v4
	ds_read_b64 v[16:17], v11
	v_cndmask_b32_e64 v20, v18, v27, s[22:23]
	v_cndmask_b32_e64 v21, v26, v18, s[22:23]
	s_waitcnt lgkmcnt(1)
	v_cndmask_b32_e64 v11, v19, v10, s[22:23]
	v_cndmask_b32_e64 v25, v7, v19, s[22:23]
	v_cmp_lt_u32_e32 vcc, v20, v24
	s_mov_b64 s[24:25], -1
	s_mov_b64 s[16:17], -1
	s_and_saveexec_b64 s[26:27], vcc
	s_cbranch_execz .LBB1452_92
; %bb.89:
	v_cmp_lt_u32_e32 vcc, v21, v15
	s_mov_b64 s[28:29], 0
	s_and_saveexec_b64 s[16:17], vcc
	s_cbranch_execz .LBB1452_91
; %bb.90:
	v_add_f32_e32 v18, 0, v25
	v_ashrrev_i32_e32 v22, 31, v18
	v_add_f32_e32 v19, 0, v11
	v_or_b32_e32 v22, 0x80000000, v22
	v_xor_b32_e32 v18, v22, v18
	v_ashrrev_i32_e32 v22, 31, v19
	v_or_b32_e32 v22, 0x80000000, v22
	v_xor_b32_e32 v19, v22, v19
	v_cmp_le_u32_e32 vcc, v18, v19
	s_and_b64 s[28:29], vcc, exec
.LBB1452_91:
	s_or_b64 exec, exec, s[16:17]
	s_orn2_b64 s[16:17], s[28:29], exec
.LBB1452_92:
	s_or_b64 exec, exec, s[26:27]
	v_cndmask_b32_e64 v18, v20, v21, s[16:17]
	v_cndmask_b32_e64 v19, v24, v15, s[16:17]
	v_add_u32_e32 v23, 1, v18
	v_add_u32_e32 v19, -1, v19
	v_min_u32_e32 v19, v23, v19
	v_lshl_add_u32 v19, v19, 2, v5
	ds_read_b32 v22, v19
	v_lshl_add_u32 v18, v18, 3, v4
	ds_read_b64 v[18:19], v18
	s_waitcnt lgkmcnt(1)
	v_cndmask_b32_e64 v26, v22, v11, s[16:17]
	v_cndmask_b32_e64 v27, v25, v22, s[16:17]
	;; [unrolled: 1-line block ×4, first 2 shown]
	v_cmp_lt_u32_e32 vcc, v22, v24
	s_and_saveexec_b64 s[26:27], vcc
	s_cbranch_execz .LBB1452_96
; %bb.93:
	v_cmp_lt_u32_e32 vcc, v23, v15
	s_mov_b64 s[28:29], 0
	s_and_saveexec_b64 s[24:25], vcc
	s_cbranch_execz .LBB1452_95
; %bb.94:
	v_add_f32_e32 v20, 0, v27
	v_ashrrev_i32_e32 v28, 31, v20
	v_add_f32_e32 v21, 0, v26
	v_or_b32_e32 v28, 0x80000000, v28
	v_xor_b32_e32 v20, v28, v20
	v_ashrrev_i32_e32 v28, 31, v21
	v_or_b32_e32 v28, 0x80000000, v28
	v_xor_b32_e32 v21, v28, v21
	v_cmp_le_u32_e32 vcc, v20, v21
	s_and_b64 s[28:29], vcc, exec
.LBB1452_95:
	s_or_b64 exec, exec, s[24:25]
	s_orn2_b64 s[24:25], s[28:29], exec
.LBB1452_96:
	s_or_b64 exec, exec, s[26:27]
	v_cndmask_b32_e64 v20, v22, v23, s[24:25]
	v_cndmask_b32_e64 v21, v24, v15, s[24:25]
	v_add_u32_e32 v29, 1, v20
	v_add_u32_e32 v21, -1, v21
	v_min_u32_e32 v21, v29, v21
	v_lshl_add_u32 v5, v21, 2, v5
	ds_read_b32 v28, v5
	v_lshl_add_u32 v5, v20, 3, v4
	ds_read_b64 v[20:21], v5
	v_cndmask_b32_e64 v22, v29, v22, s[24:25]
	v_cndmask_b32_e64 v23, v23, v29, s[24:25]
	s_waitcnt lgkmcnt(1)
	v_cndmask_b32_e64 v5, v28, v26, s[24:25]
	v_cndmask_b32_e64 v28, v27, v28, s[24:25]
	v_cmp_lt_u32_e32 vcc, v22, v24
	s_mov_b64 s[28:29], -1
	s_and_saveexec_b64 s[26:27], vcc
	s_cbranch_execz .LBB1452_100
; %bb.97:
	v_cmp_lt_u32_e32 vcc, v23, v15
	s_mov_b64 s[40:41], 0
	s_and_saveexec_b64 s[28:29], vcc
	s_cbranch_execz .LBB1452_99
; %bb.98:
	v_add_f32_e32 v15, 0, v28
	v_ashrrev_i32_e32 v29, 31, v15
	v_add_f32_e32 v24, 0, v5
	v_or_b32_e32 v29, 0x80000000, v29
	v_xor_b32_e32 v15, v29, v15
	v_ashrrev_i32_e32 v29, 31, v24
	v_or_b32_e32 v29, 0x80000000, v29
	v_xor_b32_e32 v24, v29, v24
	v_cmp_le_u32_e32 vcc, v15, v24
	s_and_b64 s[40:41], vcc, exec
.LBB1452_99:
	s_or_b64 exec, exec, s[28:29]
	s_orn2_b64 s[28:29], s[40:41], exec
.LBB1452_100:
	s_or_b64 exec, exec, s[26:27]
	v_cndmask_b32_e64 v15, v22, v23, s[28:29]
	v_lshl_add_u32 v4, v15, 3, v4
	ds_read_b64 v[22:23], v4
	v_cndmask_b32_e64 v30, v26, v27, s[24:25]
	v_cndmask_b32_e64 v11, v11, v25, s[16:17]
	v_cndmask_b32_e64 v52, v10, v7, s[22:23]
	v_cndmask_b32_e64 v10, v5, v28, s[28:29]
.LBB1452_101:
	s_or_b64 exec, exec, s[20:21]
	v_add_co_u32_e32 v2, vcc, v2, v48
	v_addc_co_u32_e32 v3, vcc, v3, v49, vcc
	v_add_co_u32_e32 v2, vcc, v2, v50
	v_addc_co_u32_e32 v3, vcc, 0, v3, vcc
	; wave barrier
	s_waitcnt lgkmcnt(0)
	s_barrier
	; wave barrier
	s_and_saveexec_b64 s[16:17], s[4:5]
	s_cbranch_execnz .LBB1452_222
; %bb.102:
	s_or_b64 exec, exec, s[16:17]
	s_and_saveexec_b64 s[16:17], s[6:7]
	s_cbranch_execnz .LBB1452_223
.LBB1452_103:
	s_or_b64 exec, exec, s[16:17]
	s_and_saveexec_b64 s[16:17], s[10:11]
	s_cbranch_execnz .LBB1452_224
.LBB1452_104:
	s_or_b64 exec, exec, s[16:17]
	s_and_saveexec_b64 s[16:17], s[14:15]
	s_cbranch_execz .LBB1452_106
.LBB1452_105:
	flat_store_dword v[2:3], v10 offset:12
.LBB1452_106:
	s_or_b64 exec, exec, s[16:17]
	v_add_co_u32_e32 v0, vcc, v8, v0
	v_addc_co_u32_e32 v1, vcc, v9, v1, vcc
	v_add_co_u32_e32 v0, vcc, v0, v6
	v_addc_co_u32_e32 v1, vcc, 0, v1, vcc
	; wave barrier
	s_and_saveexec_b64 s[16:17], s[4:5]
	s_cbranch_execnz .LBB1452_225
; %bb.107:
	s_or_b64 exec, exec, s[16:17]
	s_and_saveexec_b64 s[16:17], s[6:7]
	s_cbranch_execnz .LBB1452_226
.LBB1452_108:
	s_or_b64 exec, exec, s[16:17]
	s_and_saveexec_b64 s[6:7], s[10:11]
	s_cbranch_execz .LBB1452_110
.LBB1452_109:
	flat_store_dwordx2 v[0:1], v[20:21] offset:16
.LBB1452_110:
	s_or_b64 exec, exec, s[6:7]
	s_and_b64 s[16:17], s[14:15], exec
                                        ; implicit-def: $vgpr24
                                        ; implicit-def: $vgpr51
                                        ; implicit-def: $vgpr0_vgpr1
                                        ; implicit-def: $vgpr4
                                        ; implicit-def: $vgpr5
                                        ; implicit-def: $vgpr6
                                        ; implicit-def: $vgpr7
                                        ; implicit-def: $vgpr10
                                        ; implicit-def: $vgpr15
                                        ; implicit-def: $vgpr48_vgpr49
                                        ; implicit-def: $vgpr50
                                        ; implicit-def: $vgpr31
	s_andn2_saveexec_b64 s[18:19], s[18:19]
	s_cbranch_execz .LBB1452_2
.LBB1452_111:
	v_bfrev_b32_e32 v9, -2
	v_bfrev_b32_e32 v52, -2
	s_and_saveexec_b64 s[6:7], s[4:5]
	s_cbranch_execz .LBB1452_113
; %bb.112:
	flat_load_dword v52, v[0:1]
.LBB1452_113:
	s_or_b64 exec, exec, s[6:7]
	v_or_b32_e32 v2, 1, v12
	v_cmp_lt_u32_e64 s[6:7], v2, v24
	s_and_saveexec_b64 s[10:11], s[6:7]
	s_cbranch_execz .LBB1452_115
; %bb.114:
	flat_load_dword v9, v[0:1] offset:4
.LBB1452_115:
	s_or_b64 exec, exec, s[10:11]
	v_or_b32_e32 v2, 2, v12
	v_cmp_lt_u32_e64 s[10:11], v2, v24
	v_bfrev_b32_e32 v8, -2
	v_bfrev_b32_e32 v30, -2
	s_and_saveexec_b64 s[14:15], s[10:11]
	s_cbranch_execz .LBB1452_117
; %bb.116:
	flat_load_dword v30, v[0:1] offset:8
.LBB1452_117:
	s_or_b64 exec, exec, s[14:15]
	v_or_b32_e32 v2, 3, v12
	v_cmp_lt_u32_e64 s[14:15], v2, v24
	s_and_saveexec_b64 s[20:21], s[14:15]
	s_cbranch_execz .LBB1452_119
; %bb.118:
	flat_load_dword v8, v[0:1] offset:12
.LBB1452_119:
	s_or_b64 exec, exec, s[20:21]
	v_lshlrev_b64 v[0:1], 3, v[13:14]
	v_mov_b32_e32 v16, 0
	v_add_co_u32_e32 v2, vcc, v6, v0
	v_addc_co_u32_e32 v3, vcc, v7, v1, vcc
	v_lshlrev_b32_e32 v6, 3, v12
	v_add_co_u32_e32 v2, vcc, v2, v6
	v_addc_co_u32_e32 v3, vcc, 0, v3, vcc
	v_mov_b32_e32 v17, v16
	v_mov_b32_e32 v18, v16
	;; [unrolled: 1-line block ×7, first 2 shown]
	; wave barrier
	s_and_saveexec_b64 s[20:21], s[4:5]
	s_cbranch_execnz .LBB1452_227
; %bb.120:
	s_or_b64 exec, exec, s[20:21]
	s_and_saveexec_b64 s[20:21], s[6:7]
	s_cbranch_execnz .LBB1452_228
.LBB1452_121:
	s_or_b64 exec, exec, s[20:21]
	s_and_saveexec_b64 s[20:21], s[10:11]
	s_cbranch_execnz .LBB1452_229
.LBB1452_122:
	s_or_b64 exec, exec, s[20:21]
	s_and_saveexec_b64 s[20:21], s[14:15]
	s_cbranch_execz .LBB1452_124
.LBB1452_123:
	flat_load_dwordx2 v[22:23], v[2:3] offset:24
.LBB1452_124:
	s_or_b64 exec, exec, s[20:21]
	; wave barrier
	s_load_dwordx2 s[20:21], s[8:9], 0x0
	v_mov_b32_e32 v2, 0
	v_bfe_u32 v24, v31, 20, 10
	s_waitcnt lgkmcnt(0)
	s_cmp_lt_u32 s13, s21
	s_cselect_b32 s13, 14, 20
	s_add_u32 s22, s8, s13
	s_addc_u32 s23, s9, 0
	s_cmp_lt_u32 s12, s20
	s_cselect_b32 s12, 12, 18
	s_add_u32 s8, s8, s12
	s_addc_u32 s9, s9, 0
	global_load_ushort v3, v2, s[22:23]
	global_load_ushort v7, v2, s[8:9]
	v_bfe_u32 v2, v31, 10, 10
	s_movk_i32 s8, 0x400
	s_waitcnt vmcnt(0)
	v_mad_u32_u24 v2, v24, v3, v2
	v_mul_lo_u32 v2, v2, v7
	v_and_b32_e32 v3, 0x3ff, v31
	v_add_lshl_u32 v2, v2, v3, 2
	v_cmp_gt_u32_e32 vcc, s8, v2
	s_and_saveexec_b64 s[12:13], vcc
	s_cbranch_execz .LBB1452_136
; %bb.125:
	v_add_f32_e32 v3, 0, v52
	v_ashrrev_i32_e32 v24, 31, v3
	v_add_f32_e32 v7, 0, v9
	v_or_b32_e32 v24, 0x80000000, v24
	v_xor_b32_e32 v3, v24, v3
	v_ashrrev_i32_e32 v24, 31, v7
	v_or_b32_e32 v24, 0x80000000, v24
	v_xor_b32_e32 v7, v24, v7
	v_cmp_gt_u32_e32 vcc, v3, v7
	v_add_f32_e32 v3, 0, v30
	v_cndmask_b32_e32 v26, v18, v16, vcc
	v_cndmask_b32_e32 v24, v16, v18, vcc
	v_ashrrev_i32_e32 v16, 31, v3
	v_add_f32_e32 v7, 0, v8
	v_or_b32_e32 v16, 0x80000000, v16
	v_xor_b32_e32 v16, v16, v3
	v_ashrrev_i32_e32 v3, 31, v7
	v_or_b32_e32 v3, 0x80000000, v3
	v_xor_b32_e32 v7, v3, v7
	v_mov_b32_e32 v29, v21
	v_cndmask_b32_e32 v27, v19, v17, vcc
	v_cndmask_b32_e32 v25, v17, v19, vcc
	v_cmp_gt_u32_e64 s[8:9], v16, v7
	v_mov_b32_e32 v3, v30
	v_mov_b32_e32 v28, v20
	s_and_saveexec_b64 s[20:21], s[8:9]
; %bb.126:
	v_mov_b32_e32 v29, v23
	v_mov_b32_e32 v28, v22
	;; [unrolled: 1-line block ×7, first 2 shown]
; %bb.127:
	s_or_b64 exec, exec, s[20:21]
	v_cndmask_b32_e32 v17, v9, v52, vcc
	v_add_f32_e32 v7, 0, v17
	v_ashrrev_i32_e32 v18, 31, v7
	v_or_b32_e32 v18, 0x80000000, v18
	v_mov_b32_e32 v30, v22
	v_xor_b32_e32 v18, v18, v7
	v_mov_b32_e32 v39, v31
	v_cmp_le_u32_e64 s[8:9], v18, v16
	v_mov_b32_e32 v33, v25
	v_mov_b32_e32 v32, v24
                                        ; implicit-def: $vgpr53
	v_mov_b32_e32 v38, v30
	v_mov_b32_e32 v37, v29
	;; [unrolled: 1-line block ×5, first 2 shown]
	s_and_saveexec_b64 s[20:21], s[8:9]
	s_xor_b64 s[8:9], exec, s[20:21]
; %bb.128:
	v_add_f32_e32 v7, 0, v3
	v_ashrrev_i32_e32 v16, 31, v7
	v_or_b32_e32 v16, 0x80000000, v16
	v_xor_b32_e32 v53, v16, v7
                                        ; implicit-def: $vgpr32_vgpr33_vgpr34_vgpr35_vgpr36_vgpr37_vgpr38_vgpr39
                                        ; implicit-def: $vgpr16
; %bb.129:
	s_or_saveexec_b64 s[8:9], s[8:9]
	v_mov_b32_e32 v31, v23
	v_mov_b32_e32 v7, v17
	s_xor_b64 exec, exec, s[8:9]
	s_cbranch_execz .LBB1452_131
; %bb.130:
	v_mov_b32_e32 v34, v28
	v_mov_b32_e32 v35, v29
	;; [unrolled: 1-line block ×18, first 2 shown]
.LBB1452_131:
	s_or_b64 exec, exec, s[8:9]
	v_cndmask_b32_e32 v32, v52, v9, vcc
	v_add_f32_e32 v9, 0, v32
	v_ashrrev_i32_e32 v16, 31, v9
	v_or_b32_e32 v16, 0x80000000, v16
	v_xor_b32_e32 v9, v16, v9
	v_cmp_gt_u32_e32 vcc, v9, v18
	v_add_f32_e32 v9, 0, v8
	v_cndmask_b32_e32 v18, v26, v24, vcc
	v_cndmask_b32_e32 v16, v24, v26, vcc
	v_ashrrev_i32_e32 v24, 31, v9
	v_or_b32_e32 v24, 0x80000000, v24
	v_xor_b32_e32 v9, v24, v9
	v_cndmask_b32_e32 v19, v27, v25, vcc
	v_cndmask_b32_e32 v17, v25, v27, vcc
	v_mov_b32_e32 v20, v28
	v_mov_b32_e32 v21, v29
	;; [unrolled: 1-line block ×4, first 2 shown]
	v_cmp_gt_u32_e64 s[8:9], v53, v9
	v_mov_b32_e32 v24, v3
	s_and_saveexec_b64 s[20:21], s[8:9]
; %bb.132:
	v_mov_b32_e32 v20, v30
	v_mov_b32_e32 v21, v31
	;; [unrolled: 1-line block ×7, first 2 shown]
; %bb.133:
	s_or_b64 exec, exec, s[20:21]
	v_cndmask_b32_e32 v9, v7, v32, vcc
	v_add_f32_e32 v3, 0, v9
	v_ashrrev_i32_e32 v25, 31, v3
	v_or_b32_e32 v25, 0x80000000, v25
	v_xor_b32_e32 v3, v25, v3
	v_cmp_gt_u32_e64 s[8:9], v3, v53
	v_mov_b32_e32 v30, v24
	s_and_saveexec_b64 s[20:21], s[8:9]
	s_cbranch_execz .LBB1452_135
; %bb.134:
	v_mov_b32_e32 v64, v16
	v_mov_b32_e32 v65, v17
	;; [unrolled: 1-line block ×18, first 2 shown]
.LBB1452_135:
	s_or_b64 exec, exec, s[20:21]
	v_cndmask_b32_e32 v52, v32, v7, vcc
.LBB1452_136:
	s_or_b64 exec, exec, s[12:13]
	v_and_b32_e32 v24, 0xffffff00, v2
	s_movk_i32 s8, 0x400
	v_mov_b32_e32 v25, 0
	v_sub_u32_e64 v7, s8, v24 clamp
	v_lshlrev_b64 v[2:3], 2, v[24:25]
	v_lshlrev_b64 v[24:25], 3, v[24:25]
	v_or_b32_e32 v25, 4, v51
	v_min_u32_e32 v32, v7, v25
	v_add_u32_e32 v25, 4, v32
	v_and_b32_e32 v34, 0x1f8, v51
	v_min_u32_e32 v33, v7, v25
	v_and_b32_e32 v25, 4, v51
	v_add_co_u32_e32 v3, vcc, v15, v2
	v_add_co_u32_e32 v2, vcc, v15, v24
	v_min_u32_e32 v35, v7, v25
	v_sub_u32_e32 v25, v32, v34
	v_sub_u32_e32 v26, v33, v32
	v_add_co_u32_e32 v2, vcc, 0x1000, v2
	v_sub_u32_e64 v37, v35, v26 clamp
	v_min_u32_e32 v25, v35, v25
	v_lshl_add_u32 v15, v51, 2, v3
	v_lshl_add_u32 v24, v51, 3, v2
	v_cmp_lt_u32_e32 vcc, v37, v25
	ds_write2_b32 v15, v52, v9 offset1:1
	ds_write2_b64 v24, v[16:17], v[18:19] offset1:1
	ds_write2_b32 v15, v30, v8 offset0:2 offset1:3
	ds_write2_b64 v24, v[20:21], v[22:23] offset0:2 offset1:3
	; wave barrier
	s_and_saveexec_b64 s[8:9], vcc
	s_cbranch_execz .LBB1452_140
; %bb.137:
	v_lshlrev_b32_e32 v26, 2, v34
	v_lshlrev_b32_e32 v27, 2, v32
	v_add_co_u32_e32 v26, vcc, v3, v26
	v_add_co_u32_e32 v27, vcc, v3, v27
	s_mov_b64 s[12:13], 0
.LBB1452_138:                           ; =>This Inner Loop Header: Depth=1
	v_add_u32_e32 v28, v25, v37
	v_lshrrev_b32_e32 v28, 1, v28
	v_xad_u32 v29, v28, -1, v35
	v_lshl_add_u32 v31, v28, 2, v26
	ds_read_b32 v31, v31
	v_lshl_add_u32 v29, v29, 2, v27
	ds_read_b32 v29, v29
	v_add_u32_e32 v36, 1, v28
	s_waitcnt lgkmcnt(1)
	v_add_f32_e32 v31, 0, v31
	v_ashrrev_i32_e32 v38, 31, v31
	s_waitcnt lgkmcnt(0)
	v_add_f32_e32 v29, 0, v29
	v_or_b32_e32 v38, 0x80000000, v38
	v_ashrrev_i32_e32 v39, 31, v29
	v_xor_b32_e32 v31, v38, v31
	v_or_b32_e32 v38, 0x80000000, v39
	v_xor_b32_e32 v29, v38, v29
	v_cmp_gt_u32_e32 vcc, v31, v29
	v_cndmask_b32_e32 v25, v25, v28, vcc
	v_cndmask_b32_e32 v37, v36, v37, vcc
	v_cmp_ge_u32_e32 vcc, v37, v25
	s_or_b64 s[12:13], vcc, s[12:13]
	s_andn2_b64 exec, exec, s[12:13]
	s_cbranch_execnz .LBB1452_138
; %bb.139:
	s_or_b64 exec, exec, s[12:13]
.LBB1452_140:
	s_or_b64 exec, exec, s[8:9]
	v_add_u32_e32 v36, v37, v34
	v_add_u32_e32 v34, v32, v35
	v_sub_u32_e32 v37, v34, v37
	v_cmp_le_u32_e32 vcc, v36, v32
	v_cmp_le_u32_e64 s[8:9], v37, v33
	v_add_u32_e32 v25, 4, v15
	v_add_u32_e32 v26, 8, v24
	;; [unrolled: 1-line block ×6, first 2 shown]
	s_or_b64 s[8:9], vcc, s[8:9]
	s_and_saveexec_b64 s[12:13], s[8:9]
	s_cbranch_execz .LBB1452_160
; %bb.141:
	v_cmp_ge_u32_e32 vcc, v36, v32
	v_cmp_lt_u32_e64 s[8:9], v36, v32
                                        ; implicit-def: $vgpr8
	s_and_saveexec_b64 s[20:21], s[8:9]
; %bb.142:
	v_lshl_add_u32 v8, v36, 2, v3
	ds_read_b32 v8, v8
; %bb.143:
	s_or_b64 exec, exec, s[20:21]
	v_cmp_ge_u32_e64 s[20:21], v37, v33
	v_cmp_lt_u32_e64 s[8:9], v37, v33
                                        ; implicit-def: $vgpr34
	s_and_saveexec_b64 s[22:23], s[8:9]
; %bb.144:
	v_lshl_add_u32 v9, v37, 2, v3
	ds_read_b32 v34, v9
; %bb.145:
	s_or_b64 exec, exec, s[22:23]
	s_nor_b64 s[22:23], vcc, s[20:21]
	s_and_saveexec_b64 s[8:9], s[22:23]
	s_cbranch_execz .LBB1452_147
; %bb.146:
	s_waitcnt lgkmcnt(0)
	v_add_f32_e32 v9, 0, v8
	v_ashrrev_i32_e32 v17, 31, v9
	v_add_f32_e32 v16, 0, v34
	v_or_b32_e32 v17, 0x80000000, v17
	v_xor_b32_e32 v9, v17, v9
	v_ashrrev_i32_e32 v17, 31, v16
	v_or_b32_e32 v17, 0x80000000, v17
	v_xor_b32_e32 v16, v17, v16
	v_cmp_le_u32_e32 vcc, v9, v16
	s_andn2_b64 s[20:21], s[20:21], exec
	s_and_b64 s[22:23], vcc, exec
	s_or_b64 s[20:21], s[20:21], s[22:23]
.LBB1452_147:
	s_or_b64 exec, exec, s[8:9]
	v_cndmask_b32_e64 v9, v37, v36, s[20:21]
	v_cndmask_b32_e64 v16, v33, v32, s[20:21]
	v_add_u32_e32 v18, 1, v9
	v_add_u32_e32 v16, -1, v16
	v_min_u32_e32 v16, v18, v16
	v_lshl_add_u32 v16, v16, 2, v3
	ds_read_b32 v19, v16
	v_lshl_add_u32 v9, v9, 3, v2
	ds_read_b64 v[16:17], v9
	v_cndmask_b32_e64 v20, v18, v37, s[20:21]
	v_cndmask_b32_e64 v21, v36, v18, s[20:21]
	s_waitcnt lgkmcnt(1)
	v_cndmask_b32_e64 v9, v19, v34, s[20:21]
	v_cndmask_b32_e64 v35, v8, v19, s[20:21]
	v_cmp_lt_u32_e32 vcc, v20, v33
	s_mov_b64 s[22:23], -1
	s_mov_b64 s[8:9], -1
	s_and_saveexec_b64 s[24:25], vcc
	s_cbranch_execz .LBB1452_151
; %bb.148:
	v_cmp_lt_u32_e32 vcc, v21, v32
	s_mov_b64 s[26:27], 0
	s_and_saveexec_b64 s[8:9], vcc
	s_cbranch_execz .LBB1452_150
; %bb.149:
	v_add_f32_e32 v18, 0, v35
	v_ashrrev_i32_e32 v22, 31, v18
	v_add_f32_e32 v19, 0, v9
	v_or_b32_e32 v22, 0x80000000, v22
	v_xor_b32_e32 v18, v22, v18
	v_ashrrev_i32_e32 v22, 31, v19
	v_or_b32_e32 v22, 0x80000000, v22
	v_xor_b32_e32 v19, v22, v19
	v_cmp_le_u32_e32 vcc, v18, v19
	s_and_b64 s[26:27], vcc, exec
.LBB1452_150:
	s_or_b64 exec, exec, s[8:9]
	s_orn2_b64 s[8:9], s[26:27], exec
.LBB1452_151:
	s_or_b64 exec, exec, s[24:25]
	v_cndmask_b32_e64 v18, v20, v21, s[8:9]
	v_cndmask_b32_e64 v19, v33, v32, s[8:9]
	v_add_u32_e32 v23, 1, v18
	v_add_u32_e32 v19, -1, v19
	v_min_u32_e32 v19, v23, v19
	v_lshl_add_u32 v19, v19, 2, v3
	ds_read_b32 v22, v19
	v_lshl_add_u32 v18, v18, 3, v2
	ds_read_b64 v[18:19], v18
	s_waitcnt lgkmcnt(1)
	v_cndmask_b32_e64 v30, v22, v9, s[8:9]
	v_cndmask_b32_e64 v36, v35, v22, s[8:9]
	;; [unrolled: 1-line block ×4, first 2 shown]
	v_cmp_lt_u32_e32 vcc, v22, v33
	s_and_saveexec_b64 s[24:25], vcc
	s_cbranch_execz .LBB1452_155
; %bb.152:
	v_cmp_lt_u32_e32 vcc, v23, v32
	s_mov_b64 s[26:27], 0
	s_and_saveexec_b64 s[22:23], vcc
	s_cbranch_execz .LBB1452_154
; %bb.153:
	v_add_f32_e32 v20, 0, v36
	v_ashrrev_i32_e32 v37, 31, v20
	v_add_f32_e32 v21, 0, v30
	v_or_b32_e32 v37, 0x80000000, v37
	v_xor_b32_e32 v20, v37, v20
	v_ashrrev_i32_e32 v37, 31, v21
	v_or_b32_e32 v37, 0x80000000, v37
	v_xor_b32_e32 v21, v37, v21
	v_cmp_le_u32_e32 vcc, v20, v21
	s_and_b64 s[26:27], vcc, exec
.LBB1452_154:
	s_or_b64 exec, exec, s[22:23]
	s_orn2_b64 s[22:23], s[26:27], exec
.LBB1452_155:
	s_or_b64 exec, exec, s[24:25]
	v_cndmask_b32_e64 v20, v22, v23, s[22:23]
	v_cndmask_b32_e64 v21, v33, v32, s[22:23]
	v_add_u32_e32 v39, 1, v20
	v_add_u32_e32 v21, -1, v21
	v_min_u32_e32 v21, v39, v21
	v_lshl_add_u32 v21, v21, 2, v3
	ds_read_b32 v38, v21
	v_lshl_add_u32 v20, v20, 3, v2
	ds_read_b64 v[20:21], v20
	v_cndmask_b32_e64 v22, v39, v22, s[22:23]
	v_cndmask_b32_e64 v23, v23, v39, s[22:23]
	s_waitcnt lgkmcnt(1)
	v_cndmask_b32_e64 v37, v38, v30, s[22:23]
	v_cndmask_b32_e64 v38, v36, v38, s[22:23]
	v_cmp_lt_u32_e32 vcc, v22, v33
	s_mov_b64 s[26:27], -1
	s_and_saveexec_b64 s[24:25], vcc
	s_cbranch_execz .LBB1452_159
; %bb.156:
	v_cmp_lt_u32_e32 vcc, v23, v32
	s_mov_b64 s[28:29], 0
	s_and_saveexec_b64 s[26:27], vcc
	s_cbranch_execz .LBB1452_158
; %bb.157:
	v_add_f32_e32 v32, 0, v38
	v_ashrrev_i32_e32 v39, 31, v32
	v_add_f32_e32 v33, 0, v37
	v_or_b32_e32 v39, 0x80000000, v39
	v_xor_b32_e32 v32, v39, v32
	v_ashrrev_i32_e32 v39, 31, v33
	v_or_b32_e32 v39, 0x80000000, v39
	v_xor_b32_e32 v33, v39, v33
	v_cmp_le_u32_e32 vcc, v32, v33
	s_and_b64 s[28:29], vcc, exec
.LBB1452_158:
	s_or_b64 exec, exec, s[26:27]
	s_orn2_b64 s[26:27], s[28:29], exec
.LBB1452_159:
	s_or_b64 exec, exec, s[24:25]
	v_cndmask_b32_e64 v22, v22, v23, s[26:27]
	v_lshl_add_u32 v22, v22, 3, v2
	ds_read_b64 v[22:23], v22
	v_cndmask_b32_e64 v30, v30, v36, s[22:23]
	v_cndmask_b32_e64 v9, v9, v35, s[8:9]
	;; [unrolled: 1-line block ×4, first 2 shown]
.LBB1452_160:
	s_or_b64 exec, exec, s[12:13]
	v_and_b32_e32 v34, 0x1f0, v51
	v_or_b32_e32 v32, 8, v34
	v_min_u32_e32 v32, v7, v32
	v_add_u32_e32 v33, 8, v32
	v_min_u32_e32 v33, v7, v33
	v_and_b32_e32 v35, 12, v51
	v_min_u32_e32 v35, v7, v35
	v_sub_u32_e32 v36, v32, v34
	v_sub_u32_e32 v37, v33, v32
	v_sub_u32_e64 v37, v35, v37 clamp
	v_min_u32_e32 v36, v35, v36
	v_cmp_lt_u32_e32 vcc, v37, v36
	; wave barrier
	ds_write_b32 v15, v52
	ds_write_b64 v24, v[16:17]
	ds_write_b32 v25, v9
	ds_write_b64 v26, v[18:19]
	ds_write_b32 v27, v30
	s_waitcnt lgkmcnt(6)
	ds_write_b64 v28, v[20:21]
	ds_write_b32 v29, v8
	s_waitcnt lgkmcnt(7)
	ds_write_b64 v31, v[22:23]
	; wave barrier
	s_and_saveexec_b64 s[8:9], vcc
	s_cbranch_execz .LBB1452_164
; %bb.161:
	v_lshlrev_b32_e32 v38, 2, v34
	v_lshlrev_b32_e32 v39, 2, v32
	v_add_co_u32_e32 v38, vcc, v3, v38
	v_add_co_u32_e32 v39, vcc, v3, v39
	s_mov_b64 s[12:13], 0
.LBB1452_162:                           ; =>This Inner Loop Header: Depth=1
	v_add_u32_e32 v53, v36, v37
	v_lshrrev_b32_e32 v53, 1, v53
	v_xad_u32 v54, v53, -1, v35
	v_lshl_add_u32 v55, v53, 2, v38
	ds_read_b32 v55, v55
	v_lshl_add_u32 v54, v54, 2, v39
	ds_read_b32 v54, v54
	v_add_u32_e32 v64, 1, v53
	s_waitcnt lgkmcnt(1)
	v_add_f32_e32 v55, 0, v55
	v_ashrrev_i32_e32 v65, 31, v55
	s_waitcnt lgkmcnt(0)
	v_add_f32_e32 v54, 0, v54
	v_or_b32_e32 v65, 0x80000000, v65
	v_ashrrev_i32_e32 v66, 31, v54
	v_xor_b32_e32 v55, v65, v55
	v_or_b32_e32 v65, 0x80000000, v66
	v_xor_b32_e32 v54, v65, v54
	v_cmp_gt_u32_e32 vcc, v55, v54
	v_cndmask_b32_e32 v36, v36, v53, vcc
	v_cndmask_b32_e32 v37, v64, v37, vcc
	v_cmp_ge_u32_e32 vcc, v37, v36
	s_or_b64 s[12:13], vcc, s[12:13]
	s_andn2_b64 exec, exec, s[12:13]
	s_cbranch_execnz .LBB1452_162
; %bb.163:
	s_or_b64 exec, exec, s[12:13]
.LBB1452_164:
	s_or_b64 exec, exec, s[8:9]
	v_add_u32_e32 v36, v37, v34
	v_add_u32_e32 v34, v32, v35
	v_sub_u32_e32 v37, v34, v37
	v_cmp_le_u32_e32 vcc, v36, v32
	v_cmp_le_u32_e64 s[8:9], v37, v33
	s_or_b64 s[8:9], vcc, s[8:9]
	s_and_saveexec_b64 s[12:13], s[8:9]
	s_cbranch_execz .LBB1452_184
; %bb.165:
	v_cmp_ge_u32_e32 vcc, v36, v32
	v_cmp_lt_u32_e64 s[8:9], v36, v32
                                        ; implicit-def: $vgpr8
	s_and_saveexec_b64 s[20:21], s[8:9]
; %bb.166:
	v_lshl_add_u32 v8, v36, 2, v3
	ds_read_b32 v8, v8
; %bb.167:
	s_or_b64 exec, exec, s[20:21]
	v_cmp_ge_u32_e64 s[20:21], v37, v33
	v_cmp_lt_u32_e64 s[8:9], v37, v33
                                        ; implicit-def: $vgpr34
	s_and_saveexec_b64 s[22:23], s[8:9]
; %bb.168:
	v_lshl_add_u32 v9, v37, 2, v3
	ds_read_b32 v34, v9
; %bb.169:
	s_or_b64 exec, exec, s[22:23]
	s_nor_b64 s[22:23], vcc, s[20:21]
	s_and_saveexec_b64 s[8:9], s[22:23]
	s_cbranch_execz .LBB1452_171
; %bb.170:
	s_waitcnt lgkmcnt(0)
	v_add_f32_e32 v9, 0, v8
	v_ashrrev_i32_e32 v17, 31, v9
	v_add_f32_e32 v16, 0, v34
	v_or_b32_e32 v17, 0x80000000, v17
	v_xor_b32_e32 v9, v17, v9
	v_ashrrev_i32_e32 v17, 31, v16
	v_or_b32_e32 v17, 0x80000000, v17
	v_xor_b32_e32 v16, v17, v16
	v_cmp_le_u32_e32 vcc, v9, v16
	s_andn2_b64 s[20:21], s[20:21], exec
	s_and_b64 s[22:23], vcc, exec
	s_or_b64 s[20:21], s[20:21], s[22:23]
.LBB1452_171:
	s_or_b64 exec, exec, s[8:9]
	v_cndmask_b32_e64 v9, v37, v36, s[20:21]
	v_cndmask_b32_e64 v16, v33, v32, s[20:21]
	v_add_u32_e32 v18, 1, v9
	v_add_u32_e32 v16, -1, v16
	v_min_u32_e32 v16, v18, v16
	v_lshl_add_u32 v16, v16, 2, v3
	ds_read_b32 v19, v16
	v_lshl_add_u32 v9, v9, 3, v2
	ds_read_b64 v[16:17], v9
	v_cndmask_b32_e64 v20, v18, v37, s[20:21]
	v_cndmask_b32_e64 v21, v36, v18, s[20:21]
	s_waitcnt lgkmcnt(1)
	v_cndmask_b32_e64 v9, v19, v34, s[20:21]
	v_cndmask_b32_e64 v35, v8, v19, s[20:21]
	v_cmp_lt_u32_e32 vcc, v20, v33
	s_mov_b64 s[22:23], -1
	s_mov_b64 s[8:9], -1
	s_and_saveexec_b64 s[24:25], vcc
	s_cbranch_execz .LBB1452_175
; %bb.172:
	v_cmp_lt_u32_e32 vcc, v21, v32
	s_mov_b64 s[26:27], 0
	s_and_saveexec_b64 s[8:9], vcc
	s_cbranch_execz .LBB1452_174
; %bb.173:
	v_add_f32_e32 v18, 0, v35
	v_ashrrev_i32_e32 v22, 31, v18
	v_add_f32_e32 v19, 0, v9
	v_or_b32_e32 v22, 0x80000000, v22
	v_xor_b32_e32 v18, v22, v18
	v_ashrrev_i32_e32 v22, 31, v19
	v_or_b32_e32 v22, 0x80000000, v22
	v_xor_b32_e32 v19, v22, v19
	v_cmp_le_u32_e32 vcc, v18, v19
	s_and_b64 s[26:27], vcc, exec
.LBB1452_174:
	s_or_b64 exec, exec, s[8:9]
	s_orn2_b64 s[8:9], s[26:27], exec
.LBB1452_175:
	s_or_b64 exec, exec, s[24:25]
	v_cndmask_b32_e64 v18, v20, v21, s[8:9]
	v_cndmask_b32_e64 v19, v33, v32, s[8:9]
	v_add_u32_e32 v23, 1, v18
	v_add_u32_e32 v19, -1, v19
	v_min_u32_e32 v19, v23, v19
	v_lshl_add_u32 v19, v19, 2, v3
	ds_read_b32 v22, v19
	v_lshl_add_u32 v18, v18, 3, v2
	ds_read_b64 v[18:19], v18
	s_waitcnt lgkmcnt(1)
	v_cndmask_b32_e64 v30, v22, v9, s[8:9]
	v_cndmask_b32_e64 v36, v35, v22, s[8:9]
	;; [unrolled: 1-line block ×4, first 2 shown]
	v_cmp_lt_u32_e32 vcc, v22, v33
	s_and_saveexec_b64 s[24:25], vcc
	s_cbranch_execz .LBB1452_179
; %bb.176:
	v_cmp_lt_u32_e32 vcc, v23, v32
	s_mov_b64 s[26:27], 0
	s_and_saveexec_b64 s[22:23], vcc
	s_cbranch_execz .LBB1452_178
; %bb.177:
	v_add_f32_e32 v20, 0, v36
	v_ashrrev_i32_e32 v37, 31, v20
	v_add_f32_e32 v21, 0, v30
	v_or_b32_e32 v37, 0x80000000, v37
	v_xor_b32_e32 v20, v37, v20
	v_ashrrev_i32_e32 v37, 31, v21
	v_or_b32_e32 v37, 0x80000000, v37
	v_xor_b32_e32 v21, v37, v21
	v_cmp_le_u32_e32 vcc, v20, v21
	s_and_b64 s[26:27], vcc, exec
.LBB1452_178:
	s_or_b64 exec, exec, s[22:23]
	s_orn2_b64 s[22:23], s[26:27], exec
.LBB1452_179:
	s_or_b64 exec, exec, s[24:25]
	v_cndmask_b32_e64 v20, v22, v23, s[22:23]
	v_cndmask_b32_e64 v21, v33, v32, s[22:23]
	v_add_u32_e32 v39, 1, v20
	v_add_u32_e32 v21, -1, v21
	v_min_u32_e32 v21, v39, v21
	v_lshl_add_u32 v21, v21, 2, v3
	ds_read_b32 v38, v21
	v_lshl_add_u32 v20, v20, 3, v2
	ds_read_b64 v[20:21], v20
	v_cndmask_b32_e64 v22, v39, v22, s[22:23]
	v_cndmask_b32_e64 v23, v23, v39, s[22:23]
	s_waitcnt lgkmcnt(1)
	v_cndmask_b32_e64 v37, v38, v30, s[22:23]
	v_cndmask_b32_e64 v38, v36, v38, s[22:23]
	v_cmp_lt_u32_e32 vcc, v22, v33
	s_mov_b64 s[26:27], -1
	s_and_saveexec_b64 s[24:25], vcc
	s_cbranch_execz .LBB1452_183
; %bb.180:
	v_cmp_lt_u32_e32 vcc, v23, v32
	s_mov_b64 s[28:29], 0
	s_and_saveexec_b64 s[26:27], vcc
	s_cbranch_execz .LBB1452_182
; %bb.181:
	v_add_f32_e32 v32, 0, v38
	v_ashrrev_i32_e32 v39, 31, v32
	v_add_f32_e32 v33, 0, v37
	v_or_b32_e32 v39, 0x80000000, v39
	v_xor_b32_e32 v32, v39, v32
	v_ashrrev_i32_e32 v39, 31, v33
	v_or_b32_e32 v39, 0x80000000, v39
	v_xor_b32_e32 v33, v39, v33
	v_cmp_le_u32_e32 vcc, v32, v33
	s_and_b64 s[28:29], vcc, exec
.LBB1452_182:
	s_or_b64 exec, exec, s[26:27]
	s_orn2_b64 s[26:27], s[28:29], exec
.LBB1452_183:
	s_or_b64 exec, exec, s[24:25]
	v_cndmask_b32_e64 v22, v22, v23, s[26:27]
	v_lshl_add_u32 v22, v22, 3, v2
	ds_read_b64 v[22:23], v22
	v_cndmask_b32_e64 v30, v30, v36, s[22:23]
	v_cndmask_b32_e64 v9, v9, v35, s[8:9]
	;; [unrolled: 1-line block ×4, first 2 shown]
.LBB1452_184:
	s_or_b64 exec, exec, s[12:13]
	; wave barrier
	ds_write_b32 v15, v52
	ds_write_b64 v24, v[16:17]
	ds_write_b32 v25, v9
	ds_write_b64 v26, v[18:19]
	ds_write_b32 v27, v30
	s_waitcnt lgkmcnt(6)
	ds_write_b64 v28, v[20:21]
	ds_write_b32 v29, v8
	s_waitcnt lgkmcnt(7)
	ds_write_b64 v31, v[22:23]
	v_and_b32_e32 v25, 0x1e0, v51
	v_or_b32_e32 v15, 16, v25
	v_min_u32_e32 v15, v7, v15
	v_add_u32_e32 v24, 16, v15
	v_min_u32_e32 v24, v7, v24
	v_min_u32_e32 v7, v7, v12
	v_sub_u32_e32 v26, v15, v25
	v_sub_u32_e32 v27, v24, v15
	v_sub_u32_e64 v27, v7, v27 clamp
	v_min_u32_e32 v26, v7, v26
	v_cmp_lt_u32_e32 vcc, v27, v26
	; wave barrier
	s_and_saveexec_b64 s[8:9], vcc
	s_cbranch_execz .LBB1452_188
; %bb.185:
	v_lshlrev_b32_e32 v28, 2, v25
	v_lshlrev_b32_e32 v29, 2, v15
	v_add_co_u32_e32 v28, vcc, v3, v28
	v_add_co_u32_e32 v29, vcc, v3, v29
	s_mov_b64 s[12:13], 0
.LBB1452_186:                           ; =>This Inner Loop Header: Depth=1
	v_add_u32_e32 v31, v26, v27
	v_lshrrev_b32_e32 v31, 1, v31
	v_xad_u32 v32, v31, -1, v7
	v_lshl_add_u32 v33, v31, 2, v28
	ds_read_b32 v33, v33
	v_lshl_add_u32 v32, v32, 2, v29
	ds_read_b32 v32, v32
	v_add_u32_e32 v34, 1, v31
	s_waitcnt lgkmcnt(1)
	v_add_f32_e32 v33, 0, v33
	v_ashrrev_i32_e32 v35, 31, v33
	s_waitcnt lgkmcnt(0)
	v_add_f32_e32 v32, 0, v32
	v_or_b32_e32 v35, 0x80000000, v35
	v_ashrrev_i32_e32 v36, 31, v32
	v_xor_b32_e32 v33, v35, v33
	v_or_b32_e32 v35, 0x80000000, v36
	v_xor_b32_e32 v32, v35, v32
	v_cmp_gt_u32_e32 vcc, v33, v32
	v_cndmask_b32_e32 v26, v26, v31, vcc
	v_cndmask_b32_e32 v27, v34, v27, vcc
	v_cmp_ge_u32_e32 vcc, v27, v26
	s_or_b64 s[12:13], vcc, s[12:13]
	s_andn2_b64 exec, exec, s[12:13]
	s_cbranch_execnz .LBB1452_186
; %bb.187:
	s_or_b64 exec, exec, s[12:13]
.LBB1452_188:
	s_or_b64 exec, exec, s[8:9]
	v_add_u32_e32 v7, v15, v7
	v_add_u32_e32 v26, v27, v25
	v_sub_u32_e32 v27, v7, v27
	v_cmp_le_u32_e32 vcc, v26, v15
	v_cmp_le_u32_e64 s[8:9], v27, v24
	s_or_b64 s[8:9], vcc, s[8:9]
	s_and_saveexec_b64 s[12:13], s[8:9]
	s_cbranch_execz .LBB1452_208
; %bb.189:
	v_cmp_ge_u32_e32 vcc, v26, v15
	v_cmp_lt_u32_e64 s[8:9], v26, v15
                                        ; implicit-def: $vgpr7
	s_and_saveexec_b64 s[20:21], s[8:9]
; %bb.190:
	v_lshl_add_u32 v7, v26, 2, v3
	ds_read_b32 v7, v7
; %bb.191:
	s_or_b64 exec, exec, s[20:21]
	v_cmp_ge_u32_e64 s[20:21], v27, v24
	v_cmp_lt_u32_e64 s[8:9], v27, v24
                                        ; implicit-def: $vgpr8
	s_and_saveexec_b64 s[22:23], s[8:9]
; %bb.192:
	v_lshl_add_u32 v8, v27, 2, v3
	ds_read_b32 v8, v8
; %bb.193:
	s_or_b64 exec, exec, s[22:23]
	s_nor_b64 s[22:23], vcc, s[20:21]
	s_and_saveexec_b64 s[8:9], s[22:23]
	s_cbranch_execz .LBB1452_195
; %bb.194:
	s_waitcnt lgkmcnt(0)
	v_add_f32_e32 v9, 0, v7
	v_ashrrev_i32_e32 v17, 31, v9
	v_add_f32_e32 v16, 0, v8
	v_or_b32_e32 v17, 0x80000000, v17
	v_xor_b32_e32 v9, v17, v9
	v_ashrrev_i32_e32 v17, 31, v16
	v_or_b32_e32 v17, 0x80000000, v17
	v_xor_b32_e32 v16, v17, v16
	v_cmp_le_u32_e32 vcc, v9, v16
	s_andn2_b64 s[20:21], s[20:21], exec
	s_and_b64 s[22:23], vcc, exec
	s_or_b64 s[20:21], s[20:21], s[22:23]
.LBB1452_195:
	s_or_b64 exec, exec, s[8:9]
	v_cndmask_b32_e64 v9, v27, v26, s[20:21]
	v_cndmask_b32_e64 v16, v24, v15, s[20:21]
	v_add_u32_e32 v18, 1, v9
	v_add_u32_e32 v16, -1, v16
	v_min_u32_e32 v16, v18, v16
	v_lshl_add_u32 v16, v16, 2, v3
	ds_read_b32 v19, v16
	v_lshl_add_u32 v9, v9, 3, v2
	ds_read_b64 v[16:17], v9
	v_cndmask_b32_e64 v20, v18, v27, s[20:21]
	v_cndmask_b32_e64 v21, v26, v18, s[20:21]
	s_waitcnt lgkmcnt(1)
	v_cndmask_b32_e64 v9, v19, v8, s[20:21]
	v_cndmask_b32_e64 v25, v7, v19, s[20:21]
	v_cmp_lt_u32_e32 vcc, v20, v24
	s_mov_b64 s[22:23], -1
	s_mov_b64 s[8:9], -1
	s_and_saveexec_b64 s[24:25], vcc
	s_cbranch_execz .LBB1452_199
; %bb.196:
	v_cmp_lt_u32_e32 vcc, v21, v15
	s_mov_b64 s[26:27], 0
	s_and_saveexec_b64 s[8:9], vcc
	s_cbranch_execz .LBB1452_198
; %bb.197:
	v_add_f32_e32 v18, 0, v25
	v_ashrrev_i32_e32 v22, 31, v18
	v_add_f32_e32 v19, 0, v9
	v_or_b32_e32 v22, 0x80000000, v22
	v_xor_b32_e32 v18, v22, v18
	v_ashrrev_i32_e32 v22, 31, v19
	v_or_b32_e32 v22, 0x80000000, v22
	v_xor_b32_e32 v19, v22, v19
	v_cmp_le_u32_e32 vcc, v18, v19
	s_and_b64 s[26:27], vcc, exec
.LBB1452_198:
	s_or_b64 exec, exec, s[8:9]
	s_orn2_b64 s[8:9], s[26:27], exec
.LBB1452_199:
	s_or_b64 exec, exec, s[24:25]
	v_cndmask_b32_e64 v18, v20, v21, s[8:9]
	v_cndmask_b32_e64 v19, v24, v15, s[8:9]
	v_add_u32_e32 v23, 1, v18
	v_add_u32_e32 v19, -1, v19
	v_min_u32_e32 v19, v23, v19
	v_lshl_add_u32 v19, v19, 2, v3
	ds_read_b32 v22, v19
	v_lshl_add_u32 v18, v18, 3, v2
	ds_read_b64 v[18:19], v18
	s_waitcnt lgkmcnt(1)
	v_cndmask_b32_e64 v26, v22, v9, s[8:9]
	v_cndmask_b32_e64 v27, v25, v22, s[8:9]
	v_cndmask_b32_e64 v22, v23, v20, s[8:9]
	v_cndmask_b32_e64 v23, v21, v23, s[8:9]
	v_cmp_lt_u32_e32 vcc, v22, v24
	s_and_saveexec_b64 s[24:25], vcc
	s_cbranch_execz .LBB1452_203
; %bb.200:
	v_cmp_lt_u32_e32 vcc, v23, v15
	s_mov_b64 s[26:27], 0
	s_and_saveexec_b64 s[22:23], vcc
	s_cbranch_execz .LBB1452_202
; %bb.201:
	v_add_f32_e32 v20, 0, v27
	v_ashrrev_i32_e32 v28, 31, v20
	v_add_f32_e32 v21, 0, v26
	v_or_b32_e32 v28, 0x80000000, v28
	v_xor_b32_e32 v20, v28, v20
	v_ashrrev_i32_e32 v28, 31, v21
	v_or_b32_e32 v28, 0x80000000, v28
	v_xor_b32_e32 v21, v28, v21
	v_cmp_le_u32_e32 vcc, v20, v21
	s_and_b64 s[26:27], vcc, exec
.LBB1452_202:
	s_or_b64 exec, exec, s[22:23]
	s_orn2_b64 s[22:23], s[26:27], exec
.LBB1452_203:
	s_or_b64 exec, exec, s[24:25]
	v_cndmask_b32_e64 v20, v22, v23, s[22:23]
	v_cndmask_b32_e64 v21, v24, v15, s[22:23]
	v_add_u32_e32 v29, 1, v20
	v_add_u32_e32 v21, -1, v21
	v_min_u32_e32 v21, v29, v21
	v_lshl_add_u32 v3, v21, 2, v3
	ds_read_b32 v28, v3
	v_lshl_add_u32 v3, v20, 3, v2
	ds_read_b64 v[20:21], v3
	v_cndmask_b32_e64 v22, v29, v22, s[22:23]
	v_cndmask_b32_e64 v23, v23, v29, s[22:23]
	s_waitcnt lgkmcnt(1)
	v_cndmask_b32_e64 v3, v28, v26, s[22:23]
	v_cndmask_b32_e64 v28, v27, v28, s[22:23]
	v_cmp_lt_u32_e32 vcc, v22, v24
	s_mov_b64 s[26:27], -1
	s_and_saveexec_b64 s[24:25], vcc
	s_cbranch_execz .LBB1452_207
; %bb.204:
	v_cmp_lt_u32_e32 vcc, v23, v15
	s_mov_b64 s[28:29], 0
	s_and_saveexec_b64 s[26:27], vcc
	s_cbranch_execz .LBB1452_206
; %bb.205:
	v_add_f32_e32 v15, 0, v28
	v_ashrrev_i32_e32 v29, 31, v15
	v_add_f32_e32 v24, 0, v3
	v_or_b32_e32 v29, 0x80000000, v29
	v_xor_b32_e32 v15, v29, v15
	v_ashrrev_i32_e32 v29, 31, v24
	v_or_b32_e32 v29, 0x80000000, v29
	v_xor_b32_e32 v24, v29, v24
	v_cmp_le_u32_e32 vcc, v15, v24
	s_and_b64 s[28:29], vcc, exec
.LBB1452_206:
	s_or_b64 exec, exec, s[26:27]
	s_orn2_b64 s[26:27], s[28:29], exec
.LBB1452_207:
	s_or_b64 exec, exec, s[24:25]
	v_cndmask_b32_e64 v15, v22, v23, s[26:27]
	v_lshl_add_u32 v2, v15, 3, v2
	ds_read_b64 v[22:23], v2
	v_cndmask_b32_e64 v30, v26, v27, s[22:23]
	v_cndmask_b32_e64 v9, v9, v25, s[8:9]
	;; [unrolled: 1-line block ×4, first 2 shown]
.LBB1452_208:
	s_or_b64 exec, exec, s[12:13]
	v_add_co_u32_e32 v2, vcc, v4, v48
	v_addc_co_u32_e32 v3, vcc, v5, v49, vcc
	v_add_co_u32_e32 v2, vcc, v2, v50
	v_addc_co_u32_e32 v3, vcc, 0, v3, vcc
	; wave barrier
	s_waitcnt lgkmcnt(0)
	s_barrier
	; wave barrier
	s_and_saveexec_b64 s[8:9], s[4:5]
	s_cbranch_execnz .LBB1452_230
; %bb.209:
	s_or_b64 exec, exec, s[8:9]
	s_and_saveexec_b64 s[8:9], s[6:7]
	s_cbranch_execnz .LBB1452_231
.LBB1452_210:
	s_or_b64 exec, exec, s[8:9]
	s_and_saveexec_b64 s[8:9], s[10:11]
	s_cbranch_execnz .LBB1452_232
.LBB1452_211:
	s_or_b64 exec, exec, s[8:9]
	s_and_saveexec_b64 s[8:9], s[14:15]
	s_cbranch_execz .LBB1452_213
.LBB1452_212:
	flat_store_dword v[2:3], v8 offset:12
.LBB1452_213:
	s_or_b64 exec, exec, s[8:9]
	v_add_co_u32_e32 v0, vcc, v10, v0
	v_addc_co_u32_e32 v1, vcc, v11, v1, vcc
	v_add_co_u32_e32 v0, vcc, v0, v6
	v_addc_co_u32_e32 v1, vcc, 0, v1, vcc
	; wave barrier
	s_and_saveexec_b64 s[8:9], s[4:5]
	s_cbranch_execnz .LBB1452_233
; %bb.214:
	s_or_b64 exec, exec, s[8:9]
	s_and_saveexec_b64 s[4:5], s[6:7]
	s_cbranch_execnz .LBB1452_234
.LBB1452_215:
	s_or_b64 exec, exec, s[4:5]
	s_and_saveexec_b64 s[4:5], s[10:11]
	s_cbranch_execz .LBB1452_217
.LBB1452_216:
	flat_store_dwordx2 v[0:1], v[20:21] offset:16
.LBB1452_217:
	s_or_b64 exec, exec, s[4:5]
	s_andn2_b64 s[4:5], s[16:17], exec
	s_and_b64 s[6:7], s[14:15], exec
	v_mov_b32_e32 v8, v10
	s_or_b64 s[16:17], s[4:5], s[6:7]
	v_mov_b32_e32 v9, v11
	s_or_b64 exec, exec, s[18:19]
	s_and_saveexec_b64 s[4:5], s[16:17]
	s_cbranch_execz .LBB1452_3
.LBB1452_218:
	v_lshlrev_b64 v[0:1], 3, v[13:14]
	v_lshlrev_b32_e32 v2, 3, v12
	v_add_co_u32_e32 v0, vcc, v8, v0
	v_addc_co_u32_e32 v1, vcc, v9, v1, vcc
	v_add_co_u32_e32 v0, vcc, v0, v2
	v_addc_co_u32_e32 v1, vcc, 0, v1, vcc
	flat_store_dwordx2 v[0:1], v[22:23] offset:24
	s_or_b64 exec, exec, s[4:5]
	s_waitcnt vmcnt(0) lgkmcnt(0)
	s_setpc_b64 s[30:31]
.LBB1452_219:
	flat_load_dwordx2 v[17:18], v[4:5]
	v_mov_b32_e32 v19, v16
	v_mov_b32_e32 v20, v16
	;; [unrolled: 1-line block ×6, first 2 shown]
	s_waitcnt vmcnt(0) lgkmcnt(0)
	v_mov_b32_e32 v16, v17
	v_mov_b32_e32 v17, v18
	;; [unrolled: 1-line block ×8, first 2 shown]
	s_or_b64 exec, exec, s[16:17]
	s_and_saveexec_b64 s[16:17], s[6:7]
	s_cbranch_execz .LBB1452_14
.LBB1452_220:
	flat_load_dwordx2 v[18:19], v[4:5] offset:8
	s_or_b64 exec, exec, s[16:17]
	s_and_saveexec_b64 s[16:17], s[10:11]
	s_cbranch_execz .LBB1452_15
.LBB1452_221:
	flat_load_dwordx2 v[20:21], v[4:5] offset:16
	s_or_b64 exec, exec, s[16:17]
	s_and_saveexec_b64 s[16:17], s[14:15]
	s_cbranch_execnz .LBB1452_16
	s_branch .LBB1452_17
.LBB1452_222:
	flat_store_dword v[2:3], v52
	s_or_b64 exec, exec, s[16:17]
	s_and_saveexec_b64 s[16:17], s[6:7]
	s_cbranch_execz .LBB1452_103
.LBB1452_223:
	flat_store_dword v[2:3], v11 offset:4
	s_or_b64 exec, exec, s[16:17]
	s_and_saveexec_b64 s[16:17], s[10:11]
	s_cbranch_execz .LBB1452_104
.LBB1452_224:
	flat_store_dword v[2:3], v30 offset:8
	s_or_b64 exec, exec, s[16:17]
	s_and_saveexec_b64 s[16:17], s[14:15]
	s_cbranch_execnz .LBB1452_105
	s_branch .LBB1452_106
.LBB1452_225:
	flat_store_dwordx2 v[0:1], v[16:17]
	s_or_b64 exec, exec, s[16:17]
	s_and_saveexec_b64 s[16:17], s[6:7]
	s_cbranch_execz .LBB1452_108
.LBB1452_226:
	flat_store_dwordx2 v[0:1], v[18:19] offset:8
	s_or_b64 exec, exec, s[16:17]
	s_and_saveexec_b64 s[6:7], s[10:11]
	s_cbranch_execnz .LBB1452_109
	s_branch .LBB1452_110
.LBB1452_227:
	flat_load_dwordx2 v[17:18], v[2:3]
	v_mov_b32_e32 v19, v16
	v_mov_b32_e32 v20, v16
	;; [unrolled: 1-line block ×6, first 2 shown]
	s_waitcnt vmcnt(0) lgkmcnt(0)
	v_mov_b32_e32 v16, v17
	v_mov_b32_e32 v17, v18
	;; [unrolled: 1-line block ×8, first 2 shown]
	s_or_b64 exec, exec, s[20:21]
	s_and_saveexec_b64 s[20:21], s[6:7]
	s_cbranch_execz .LBB1452_121
.LBB1452_228:
	flat_load_dwordx2 v[18:19], v[2:3] offset:8
	s_or_b64 exec, exec, s[20:21]
	s_and_saveexec_b64 s[20:21], s[10:11]
	s_cbranch_execz .LBB1452_122
.LBB1452_229:
	flat_load_dwordx2 v[20:21], v[2:3] offset:16
	s_or_b64 exec, exec, s[20:21]
	s_and_saveexec_b64 s[20:21], s[14:15]
	s_cbranch_execnz .LBB1452_123
	s_branch .LBB1452_124
.LBB1452_230:
	flat_store_dword v[2:3], v52
	s_or_b64 exec, exec, s[8:9]
	s_and_saveexec_b64 s[8:9], s[6:7]
	s_cbranch_execz .LBB1452_210
.LBB1452_231:
	flat_store_dword v[2:3], v9 offset:4
	s_or_b64 exec, exec, s[8:9]
	s_and_saveexec_b64 s[8:9], s[10:11]
	s_cbranch_execz .LBB1452_211
.LBB1452_232:
	flat_store_dword v[2:3], v30 offset:8
	s_or_b64 exec, exec, s[8:9]
	s_and_saveexec_b64 s[8:9], s[14:15]
	s_cbranch_execnz .LBB1452_212
	s_branch .LBB1452_213
.LBB1452_233:
	flat_store_dwordx2 v[0:1], v[16:17]
	s_or_b64 exec, exec, s[8:9]
	s_and_saveexec_b64 s[4:5], s[6:7]
	s_cbranch_execz .LBB1452_215
.LBB1452_234:
	flat_store_dwordx2 v[0:1], v[18:19] offset:8
	s_or_b64 exec, exec, s[4:5]
	s_and_saveexec_b64 s[4:5], s[10:11]
	s_cbranch_execnz .LBB1452_216
	s_branch .LBB1452_217
.Lfunc_end1452:
	.size	_ZN7rocprim17ROCPRIM_400000_NS6detail26segmented_warp_sort_helperINS1_20WarpSortHelperConfigILj8ELj4ELj256EEEflLi256ELb0EvE4sortIPKfPfPKlPlEEvT_S9_T0_T1_SC_T2_bjjjjRNS5_12storage_typeE, .Lfunc_end1452-_ZN7rocprim17ROCPRIM_400000_NS6detail26segmented_warp_sort_helperINS1_20WarpSortHelperConfigILj8ELj4ELj256EEEflLi256ELb0EvE4sortIPKfPfPKlPlEEvT_S9_T0_T1_SC_T2_bjjjjRNS5_12storage_typeE
                                        ; -- End function
	.set .L_ZN7rocprim17ROCPRIM_400000_NS6detail26segmented_warp_sort_helperINS1_20WarpSortHelperConfigILj8ELj4ELj256EEEflLi256ELb0EvE4sortIPKfPfPKlPlEEvT_S9_T0_T1_SC_T2_bjjjjRNS5_12storage_typeE.num_vgpr, 72
	.set .L_ZN7rocprim17ROCPRIM_400000_NS6detail26segmented_warp_sort_helperINS1_20WarpSortHelperConfigILj8ELj4ELj256EEEflLi256ELb0EvE4sortIPKfPfPKlPlEEvT_S9_T0_T1_SC_T2_bjjjjRNS5_12storage_typeE.num_agpr, 0
	.set .L_ZN7rocprim17ROCPRIM_400000_NS6detail26segmented_warp_sort_helperINS1_20WarpSortHelperConfigILj8ELj4ELj256EEEflLi256ELb0EvE4sortIPKfPfPKlPlEEvT_S9_T0_T1_SC_T2_bjjjjRNS5_12storage_typeE.numbered_sgpr, 42
	.set .L_ZN7rocprim17ROCPRIM_400000_NS6detail26segmented_warp_sort_helperINS1_20WarpSortHelperConfigILj8ELj4ELj256EEEflLi256ELb0EvE4sortIPKfPfPKlPlEEvT_S9_T0_T1_SC_T2_bjjjjRNS5_12storage_typeE.num_named_barrier, 0
	.set .L_ZN7rocprim17ROCPRIM_400000_NS6detail26segmented_warp_sort_helperINS1_20WarpSortHelperConfigILj8ELj4ELj256EEEflLi256ELb0EvE4sortIPKfPfPKlPlEEvT_S9_T0_T1_SC_T2_bjjjjRNS5_12storage_typeE.private_seg_size, 0
	.set .L_ZN7rocprim17ROCPRIM_400000_NS6detail26segmented_warp_sort_helperINS1_20WarpSortHelperConfigILj8ELj4ELj256EEEflLi256ELb0EvE4sortIPKfPfPKlPlEEvT_S9_T0_T1_SC_T2_bjjjjRNS5_12storage_typeE.uses_vcc, 1
	.set .L_ZN7rocprim17ROCPRIM_400000_NS6detail26segmented_warp_sort_helperINS1_20WarpSortHelperConfigILj8ELj4ELj256EEEflLi256ELb0EvE4sortIPKfPfPKlPlEEvT_S9_T0_T1_SC_T2_bjjjjRNS5_12storage_typeE.uses_flat_scratch, 0
	.set .L_ZN7rocprim17ROCPRIM_400000_NS6detail26segmented_warp_sort_helperINS1_20WarpSortHelperConfigILj8ELj4ELj256EEEflLi256ELb0EvE4sortIPKfPfPKlPlEEvT_S9_T0_T1_SC_T2_bjjjjRNS5_12storage_typeE.has_dyn_sized_stack, 0
	.set .L_ZN7rocprim17ROCPRIM_400000_NS6detail26segmented_warp_sort_helperINS1_20WarpSortHelperConfigILj8ELj4ELj256EEEflLi256ELb0EvE4sortIPKfPfPKlPlEEvT_S9_T0_T1_SC_T2_bjjjjRNS5_12storage_typeE.has_recursion, 0
	.set .L_ZN7rocprim17ROCPRIM_400000_NS6detail26segmented_warp_sort_helperINS1_20WarpSortHelperConfigILj8ELj4ELj256EEEflLi256ELb0EvE4sortIPKfPfPKlPlEEvT_S9_T0_T1_SC_T2_bjjjjRNS5_12storage_typeE.has_indirect_call, 0
	.section	.AMDGPU.csdata,"",@progbits
; Function info:
; codeLenInByte = 9680
; TotalNumSgprs: 46
; NumVgprs: 72
; ScratchSize: 0
; MemoryBound: 1
	.section	.text._ZN7rocprim17ROCPRIM_400000_NS6detail17trampoline_kernelINS0_14default_configENS1_36segmented_radix_sort_config_selectorIflEEZNS1_25segmented_radix_sort_implIS3_Lb0EPKfPfPKlPlN2at6native12_GLOBAL__N_18offset_tEEE10hipError_tPvRmT1_PNSt15iterator_traitsISK_E10value_typeET2_T3_PNSL_ISQ_E10value_typeET4_jRbjT5_SW_jjP12ihipStream_tbEUlT_E1_NS1_11comp_targetILNS1_3genE2ELNS1_11target_archE906ELNS1_3gpuE6ELNS1_3repE0EEENS1_59segmented_radix_sort_warp_sort_small_config_static_selectorELNS0_4arch9wavefront6targetE1EEEvSK_,"axG",@progbits,_ZN7rocprim17ROCPRIM_400000_NS6detail17trampoline_kernelINS0_14default_configENS1_36segmented_radix_sort_config_selectorIflEEZNS1_25segmented_radix_sort_implIS3_Lb0EPKfPfPKlPlN2at6native12_GLOBAL__N_18offset_tEEE10hipError_tPvRmT1_PNSt15iterator_traitsISK_E10value_typeET2_T3_PNSL_ISQ_E10value_typeET4_jRbjT5_SW_jjP12ihipStream_tbEUlT_E1_NS1_11comp_targetILNS1_3genE2ELNS1_11target_archE906ELNS1_3gpuE6ELNS1_3repE0EEENS1_59segmented_radix_sort_warp_sort_small_config_static_selectorELNS0_4arch9wavefront6targetE1EEEvSK_,comdat
	.globl	_ZN7rocprim17ROCPRIM_400000_NS6detail17trampoline_kernelINS0_14default_configENS1_36segmented_radix_sort_config_selectorIflEEZNS1_25segmented_radix_sort_implIS3_Lb0EPKfPfPKlPlN2at6native12_GLOBAL__N_18offset_tEEE10hipError_tPvRmT1_PNSt15iterator_traitsISK_E10value_typeET2_T3_PNSL_ISQ_E10value_typeET4_jRbjT5_SW_jjP12ihipStream_tbEUlT_E1_NS1_11comp_targetILNS1_3genE2ELNS1_11target_archE906ELNS1_3gpuE6ELNS1_3repE0EEENS1_59segmented_radix_sort_warp_sort_small_config_static_selectorELNS0_4arch9wavefront6targetE1EEEvSK_ ; -- Begin function _ZN7rocprim17ROCPRIM_400000_NS6detail17trampoline_kernelINS0_14default_configENS1_36segmented_radix_sort_config_selectorIflEEZNS1_25segmented_radix_sort_implIS3_Lb0EPKfPfPKlPlN2at6native12_GLOBAL__N_18offset_tEEE10hipError_tPvRmT1_PNSt15iterator_traitsISK_E10value_typeET2_T3_PNSL_ISQ_E10value_typeET4_jRbjT5_SW_jjP12ihipStream_tbEUlT_E1_NS1_11comp_targetILNS1_3genE2ELNS1_11target_archE906ELNS1_3gpuE6ELNS1_3repE0EEENS1_59segmented_radix_sort_warp_sort_small_config_static_selectorELNS0_4arch9wavefront6targetE1EEEvSK_
	.p2align	8
	.type	_ZN7rocprim17ROCPRIM_400000_NS6detail17trampoline_kernelINS0_14default_configENS1_36segmented_radix_sort_config_selectorIflEEZNS1_25segmented_radix_sort_implIS3_Lb0EPKfPfPKlPlN2at6native12_GLOBAL__N_18offset_tEEE10hipError_tPvRmT1_PNSt15iterator_traitsISK_E10value_typeET2_T3_PNSL_ISQ_E10value_typeET4_jRbjT5_SW_jjP12ihipStream_tbEUlT_E1_NS1_11comp_targetILNS1_3genE2ELNS1_11target_archE906ELNS1_3gpuE6ELNS1_3repE0EEENS1_59segmented_radix_sort_warp_sort_small_config_static_selectorELNS0_4arch9wavefront6targetE1EEEvSK_,@function
_ZN7rocprim17ROCPRIM_400000_NS6detail17trampoline_kernelINS0_14default_configENS1_36segmented_radix_sort_config_selectorIflEEZNS1_25segmented_radix_sort_implIS3_Lb0EPKfPfPKlPlN2at6native12_GLOBAL__N_18offset_tEEE10hipError_tPvRmT1_PNSt15iterator_traitsISK_E10value_typeET2_T3_PNSL_ISQ_E10value_typeET4_jRbjT5_SW_jjP12ihipStream_tbEUlT_E1_NS1_11comp_targetILNS1_3genE2ELNS1_11target_archE906ELNS1_3gpuE6ELNS1_3repE0EEENS1_59segmented_radix_sort_warp_sort_small_config_static_selectorELNS0_4arch9wavefront6targetE1EEEvSK_: ; @_ZN7rocprim17ROCPRIM_400000_NS6detail17trampoline_kernelINS0_14default_configENS1_36segmented_radix_sort_config_selectorIflEEZNS1_25segmented_radix_sort_implIS3_Lb0EPKfPfPKlPlN2at6native12_GLOBAL__N_18offset_tEEE10hipError_tPvRmT1_PNSt15iterator_traitsISK_E10value_typeET2_T3_PNSL_ISQ_E10value_typeET4_jRbjT5_SW_jjP12ihipStream_tbEUlT_E1_NS1_11comp_targetILNS1_3genE2ELNS1_11target_archE906ELNS1_3gpuE6ELNS1_3repE0EEENS1_59segmented_radix_sort_warp_sort_small_config_static_selectorELNS0_4arch9wavefront6targetE1EEEvSK_
; %bb.0:
	s_add_u32 s0, s0, s8
	s_load_dword s8, s[4:5], 0x64
	s_addc_u32 s1, s1, 0
	s_mov_b32 s32, 0
	s_waitcnt lgkmcnt(0)
	s_lshr_b32 s9, s8, 16
	s_and_b32 s8, s8, 0xffff
	v_mad_u32_u24 v3, v2, s9, v1
	v_mad_u64_u32 v[3:4], s[8:9], v3, s8, v[0:1]
	s_load_dword s8, s[4:5], 0x34
	v_lshrrev_b32_e32 v3, 3, v3
	v_lshl_add_u32 v3, s6, 5, v3
	s_waitcnt lgkmcnt(0)
	v_cmp_gt_u32_e32 vcc, s8, v3
	s_and_saveexec_b64 s[8:9], vcc
	s_cbranch_execz .LBB1453_3
; %bb.1:
	s_load_dwordx2 s[12:13], s[4:5], 0x38
	s_load_dwordx4 s[8:11], s[4:5], 0x40
	v_mov_b32_e32 v4, 0
	v_lshlrev_b64 v[3:4], 2, v[3:4]
	s_waitcnt lgkmcnt(0)
	v_mov_b32_e32 v5, s13
	v_sub_co_u32_e32 v3, vcc, s12, v3
	v_subb_co_u32_e32 v4, vcc, v5, v4, vcc
	global_load_dword v3, v[3:4], off offset:-4
	s_waitcnt vmcnt(0)
	v_add_u32_e32 v4, s9, v3
	v_add_u32_e32 v3, s11, v3
	v_mul_lo_u32 v13, v4, s8
	v_mul_lo_u32 v14, v3, s10
	v_cmp_gt_u32_e32 vcc, v14, v13
	s_and_b64 exec, exec, vcc
	s_cbranch_execz .LBB1453_3
; %bb.2:
	s_load_dword s8, s[4:5], 0x30
	s_load_dwordx4 s[24:27], s[4:5], 0x20
	s_load_dwordx8 s[16:23], s[4:5], 0x0
	s_mov_b64 s[10:11], src_shared_base
	v_lshlrev_b32_e32 v2, 20, v2
	s_waitcnt lgkmcnt(0)
	s_and_b32 s10, s8, 0xff
	s_add_u32 s8, s4, 0x58
	s_addc_u32 s9, s5, 0
	v_lshlrev_b32_e32 v1, 10, v1
	s_getpc_b64 s[4:5]
	s_add_u32 s4, s4, _ZN7rocprim17ROCPRIM_400000_NS6detail26segmented_warp_sort_helperINS1_20WarpSortHelperConfigILj8ELj4ELj256EEEflLi256ELb0EvE4sortIPKfPfPKlPlEEvT_S9_T0_T1_SC_T2_bjjjjRNS5_12storage_typeE@rel32@lo+4
	s_addc_u32 s5, s5, _ZN7rocprim17ROCPRIM_400000_NS6detail26segmented_warp_sort_helperINS1_20WarpSortHelperConfigILj8ELj4ELj256EEEflLi256ELb0EvE4sortIPKfPfPKlPlEEvT_S9_T0_T1_SC_T2_bjjjjRNS5_12storage_typeE@rel32@hi+12
	v_or3_b32 v31, v0, v1, v2
	s_mov_b32 s12, s6
	s_mov_b32 s13, s7
	v_mov_b32_e32 v0, s16
	v_mov_b32_e32 v1, s17
	;; [unrolled: 1-line block ×15, first 2 shown]
	s_swappc_b64 s[30:31], s[4:5]
.LBB1453_3:
	s_endpgm
	.section	.rodata,"a",@progbits
	.p2align	6, 0x0
	.amdhsa_kernel _ZN7rocprim17ROCPRIM_400000_NS6detail17trampoline_kernelINS0_14default_configENS1_36segmented_radix_sort_config_selectorIflEEZNS1_25segmented_radix_sort_implIS3_Lb0EPKfPfPKlPlN2at6native12_GLOBAL__N_18offset_tEEE10hipError_tPvRmT1_PNSt15iterator_traitsISK_E10value_typeET2_T3_PNSL_ISQ_E10value_typeET4_jRbjT5_SW_jjP12ihipStream_tbEUlT_E1_NS1_11comp_targetILNS1_3genE2ELNS1_11target_archE906ELNS1_3gpuE6ELNS1_3repE0EEENS1_59segmented_radix_sort_warp_sort_small_config_static_selectorELNS0_4arch9wavefront6targetE1EEEvSK_
		.amdhsa_group_segment_fixed_size 12288
		.amdhsa_private_segment_fixed_size 0
		.amdhsa_kernarg_size 344
		.amdhsa_user_sgpr_count 6
		.amdhsa_user_sgpr_private_segment_buffer 1
		.amdhsa_user_sgpr_dispatch_ptr 0
		.amdhsa_user_sgpr_queue_ptr 0
		.amdhsa_user_sgpr_kernarg_segment_ptr 1
		.amdhsa_user_sgpr_dispatch_id 0
		.amdhsa_user_sgpr_flat_scratch_init 0
		.amdhsa_user_sgpr_private_segment_size 0
		.amdhsa_uses_dynamic_stack 0
		.amdhsa_system_sgpr_private_segment_wavefront_offset 0
		.amdhsa_system_sgpr_workgroup_id_x 1
		.amdhsa_system_sgpr_workgroup_id_y 1
		.amdhsa_system_sgpr_workgroup_id_z 0
		.amdhsa_system_sgpr_workgroup_info 0
		.amdhsa_system_vgpr_workitem_id 2
		.amdhsa_next_free_vgpr 72
		.amdhsa_next_free_sgpr 98
		.amdhsa_reserve_vcc 1
		.amdhsa_reserve_flat_scratch 0
		.amdhsa_float_round_mode_32 0
		.amdhsa_float_round_mode_16_64 0
		.amdhsa_float_denorm_mode_32 3
		.amdhsa_float_denorm_mode_16_64 3
		.amdhsa_dx10_clamp 1
		.amdhsa_ieee_mode 1
		.amdhsa_fp16_overflow 0
		.amdhsa_exception_fp_ieee_invalid_op 0
		.amdhsa_exception_fp_denorm_src 0
		.amdhsa_exception_fp_ieee_div_zero 0
		.amdhsa_exception_fp_ieee_overflow 0
		.amdhsa_exception_fp_ieee_underflow 0
		.amdhsa_exception_fp_ieee_inexact 0
		.amdhsa_exception_int_div_zero 0
	.end_amdhsa_kernel
	.section	.text._ZN7rocprim17ROCPRIM_400000_NS6detail17trampoline_kernelINS0_14default_configENS1_36segmented_radix_sort_config_selectorIflEEZNS1_25segmented_radix_sort_implIS3_Lb0EPKfPfPKlPlN2at6native12_GLOBAL__N_18offset_tEEE10hipError_tPvRmT1_PNSt15iterator_traitsISK_E10value_typeET2_T3_PNSL_ISQ_E10value_typeET4_jRbjT5_SW_jjP12ihipStream_tbEUlT_E1_NS1_11comp_targetILNS1_3genE2ELNS1_11target_archE906ELNS1_3gpuE6ELNS1_3repE0EEENS1_59segmented_radix_sort_warp_sort_small_config_static_selectorELNS0_4arch9wavefront6targetE1EEEvSK_,"axG",@progbits,_ZN7rocprim17ROCPRIM_400000_NS6detail17trampoline_kernelINS0_14default_configENS1_36segmented_radix_sort_config_selectorIflEEZNS1_25segmented_radix_sort_implIS3_Lb0EPKfPfPKlPlN2at6native12_GLOBAL__N_18offset_tEEE10hipError_tPvRmT1_PNSt15iterator_traitsISK_E10value_typeET2_T3_PNSL_ISQ_E10value_typeET4_jRbjT5_SW_jjP12ihipStream_tbEUlT_E1_NS1_11comp_targetILNS1_3genE2ELNS1_11target_archE906ELNS1_3gpuE6ELNS1_3repE0EEENS1_59segmented_radix_sort_warp_sort_small_config_static_selectorELNS0_4arch9wavefront6targetE1EEEvSK_,comdat
.Lfunc_end1453:
	.size	_ZN7rocprim17ROCPRIM_400000_NS6detail17trampoline_kernelINS0_14default_configENS1_36segmented_radix_sort_config_selectorIflEEZNS1_25segmented_radix_sort_implIS3_Lb0EPKfPfPKlPlN2at6native12_GLOBAL__N_18offset_tEEE10hipError_tPvRmT1_PNSt15iterator_traitsISK_E10value_typeET2_T3_PNSL_ISQ_E10value_typeET4_jRbjT5_SW_jjP12ihipStream_tbEUlT_E1_NS1_11comp_targetILNS1_3genE2ELNS1_11target_archE906ELNS1_3gpuE6ELNS1_3repE0EEENS1_59segmented_radix_sort_warp_sort_small_config_static_selectorELNS0_4arch9wavefront6targetE1EEEvSK_, .Lfunc_end1453-_ZN7rocprim17ROCPRIM_400000_NS6detail17trampoline_kernelINS0_14default_configENS1_36segmented_radix_sort_config_selectorIflEEZNS1_25segmented_radix_sort_implIS3_Lb0EPKfPfPKlPlN2at6native12_GLOBAL__N_18offset_tEEE10hipError_tPvRmT1_PNSt15iterator_traitsISK_E10value_typeET2_T3_PNSL_ISQ_E10value_typeET4_jRbjT5_SW_jjP12ihipStream_tbEUlT_E1_NS1_11comp_targetILNS1_3genE2ELNS1_11target_archE906ELNS1_3gpuE6ELNS1_3repE0EEENS1_59segmented_radix_sort_warp_sort_small_config_static_selectorELNS0_4arch9wavefront6targetE1EEEvSK_
                                        ; -- End function
	.set _ZN7rocprim17ROCPRIM_400000_NS6detail17trampoline_kernelINS0_14default_configENS1_36segmented_radix_sort_config_selectorIflEEZNS1_25segmented_radix_sort_implIS3_Lb0EPKfPfPKlPlN2at6native12_GLOBAL__N_18offset_tEEE10hipError_tPvRmT1_PNSt15iterator_traitsISK_E10value_typeET2_T3_PNSL_ISQ_E10value_typeET4_jRbjT5_SW_jjP12ihipStream_tbEUlT_E1_NS1_11comp_targetILNS1_3genE2ELNS1_11target_archE906ELNS1_3gpuE6ELNS1_3repE0EEENS1_59segmented_radix_sort_warp_sort_small_config_static_selectorELNS0_4arch9wavefront6targetE1EEEvSK_.num_vgpr, max(32, .L_ZN7rocprim17ROCPRIM_400000_NS6detail26segmented_warp_sort_helperINS1_20WarpSortHelperConfigILj8ELj4ELj256EEEflLi256ELb0EvE4sortIPKfPfPKlPlEEvT_S9_T0_T1_SC_T2_bjjjjRNS5_12storage_typeE.num_vgpr)
	.set _ZN7rocprim17ROCPRIM_400000_NS6detail17trampoline_kernelINS0_14default_configENS1_36segmented_radix_sort_config_selectorIflEEZNS1_25segmented_radix_sort_implIS3_Lb0EPKfPfPKlPlN2at6native12_GLOBAL__N_18offset_tEEE10hipError_tPvRmT1_PNSt15iterator_traitsISK_E10value_typeET2_T3_PNSL_ISQ_E10value_typeET4_jRbjT5_SW_jjP12ihipStream_tbEUlT_E1_NS1_11comp_targetILNS1_3genE2ELNS1_11target_archE906ELNS1_3gpuE6ELNS1_3repE0EEENS1_59segmented_radix_sort_warp_sort_small_config_static_selectorELNS0_4arch9wavefront6targetE1EEEvSK_.num_agpr, max(0, .L_ZN7rocprim17ROCPRIM_400000_NS6detail26segmented_warp_sort_helperINS1_20WarpSortHelperConfigILj8ELj4ELj256EEEflLi256ELb0EvE4sortIPKfPfPKlPlEEvT_S9_T0_T1_SC_T2_bjjjjRNS5_12storage_typeE.num_agpr)
	.set _ZN7rocprim17ROCPRIM_400000_NS6detail17trampoline_kernelINS0_14default_configENS1_36segmented_radix_sort_config_selectorIflEEZNS1_25segmented_radix_sort_implIS3_Lb0EPKfPfPKlPlN2at6native12_GLOBAL__N_18offset_tEEE10hipError_tPvRmT1_PNSt15iterator_traitsISK_E10value_typeET2_T3_PNSL_ISQ_E10value_typeET4_jRbjT5_SW_jjP12ihipStream_tbEUlT_E1_NS1_11comp_targetILNS1_3genE2ELNS1_11target_archE906ELNS1_3gpuE6ELNS1_3repE0EEENS1_59segmented_radix_sort_warp_sort_small_config_static_selectorELNS0_4arch9wavefront6targetE1EEEvSK_.numbered_sgpr, max(33, .L_ZN7rocprim17ROCPRIM_400000_NS6detail26segmented_warp_sort_helperINS1_20WarpSortHelperConfigILj8ELj4ELj256EEEflLi256ELb0EvE4sortIPKfPfPKlPlEEvT_S9_T0_T1_SC_T2_bjjjjRNS5_12storage_typeE.numbered_sgpr)
	.set _ZN7rocprim17ROCPRIM_400000_NS6detail17trampoline_kernelINS0_14default_configENS1_36segmented_radix_sort_config_selectorIflEEZNS1_25segmented_radix_sort_implIS3_Lb0EPKfPfPKlPlN2at6native12_GLOBAL__N_18offset_tEEE10hipError_tPvRmT1_PNSt15iterator_traitsISK_E10value_typeET2_T3_PNSL_ISQ_E10value_typeET4_jRbjT5_SW_jjP12ihipStream_tbEUlT_E1_NS1_11comp_targetILNS1_3genE2ELNS1_11target_archE906ELNS1_3gpuE6ELNS1_3repE0EEENS1_59segmented_radix_sort_warp_sort_small_config_static_selectorELNS0_4arch9wavefront6targetE1EEEvSK_.num_named_barrier, max(0, .L_ZN7rocprim17ROCPRIM_400000_NS6detail26segmented_warp_sort_helperINS1_20WarpSortHelperConfigILj8ELj4ELj256EEEflLi256ELb0EvE4sortIPKfPfPKlPlEEvT_S9_T0_T1_SC_T2_bjjjjRNS5_12storage_typeE.num_named_barrier)
	.set _ZN7rocprim17ROCPRIM_400000_NS6detail17trampoline_kernelINS0_14default_configENS1_36segmented_radix_sort_config_selectorIflEEZNS1_25segmented_radix_sort_implIS3_Lb0EPKfPfPKlPlN2at6native12_GLOBAL__N_18offset_tEEE10hipError_tPvRmT1_PNSt15iterator_traitsISK_E10value_typeET2_T3_PNSL_ISQ_E10value_typeET4_jRbjT5_SW_jjP12ihipStream_tbEUlT_E1_NS1_11comp_targetILNS1_3genE2ELNS1_11target_archE906ELNS1_3gpuE6ELNS1_3repE0EEENS1_59segmented_radix_sort_warp_sort_small_config_static_selectorELNS0_4arch9wavefront6targetE1EEEvSK_.private_seg_size, 0+max(.L_ZN7rocprim17ROCPRIM_400000_NS6detail26segmented_warp_sort_helperINS1_20WarpSortHelperConfigILj8ELj4ELj256EEEflLi256ELb0EvE4sortIPKfPfPKlPlEEvT_S9_T0_T1_SC_T2_bjjjjRNS5_12storage_typeE.private_seg_size)
	.set _ZN7rocprim17ROCPRIM_400000_NS6detail17trampoline_kernelINS0_14default_configENS1_36segmented_radix_sort_config_selectorIflEEZNS1_25segmented_radix_sort_implIS3_Lb0EPKfPfPKlPlN2at6native12_GLOBAL__N_18offset_tEEE10hipError_tPvRmT1_PNSt15iterator_traitsISK_E10value_typeET2_T3_PNSL_ISQ_E10value_typeET4_jRbjT5_SW_jjP12ihipStream_tbEUlT_E1_NS1_11comp_targetILNS1_3genE2ELNS1_11target_archE906ELNS1_3gpuE6ELNS1_3repE0EEENS1_59segmented_radix_sort_warp_sort_small_config_static_selectorELNS0_4arch9wavefront6targetE1EEEvSK_.uses_vcc, or(1, .L_ZN7rocprim17ROCPRIM_400000_NS6detail26segmented_warp_sort_helperINS1_20WarpSortHelperConfigILj8ELj4ELj256EEEflLi256ELb0EvE4sortIPKfPfPKlPlEEvT_S9_T0_T1_SC_T2_bjjjjRNS5_12storage_typeE.uses_vcc)
	.set _ZN7rocprim17ROCPRIM_400000_NS6detail17trampoline_kernelINS0_14default_configENS1_36segmented_radix_sort_config_selectorIflEEZNS1_25segmented_radix_sort_implIS3_Lb0EPKfPfPKlPlN2at6native12_GLOBAL__N_18offset_tEEE10hipError_tPvRmT1_PNSt15iterator_traitsISK_E10value_typeET2_T3_PNSL_ISQ_E10value_typeET4_jRbjT5_SW_jjP12ihipStream_tbEUlT_E1_NS1_11comp_targetILNS1_3genE2ELNS1_11target_archE906ELNS1_3gpuE6ELNS1_3repE0EEENS1_59segmented_radix_sort_warp_sort_small_config_static_selectorELNS0_4arch9wavefront6targetE1EEEvSK_.uses_flat_scratch, or(0, .L_ZN7rocprim17ROCPRIM_400000_NS6detail26segmented_warp_sort_helperINS1_20WarpSortHelperConfigILj8ELj4ELj256EEEflLi256ELb0EvE4sortIPKfPfPKlPlEEvT_S9_T0_T1_SC_T2_bjjjjRNS5_12storage_typeE.uses_flat_scratch)
	.set _ZN7rocprim17ROCPRIM_400000_NS6detail17trampoline_kernelINS0_14default_configENS1_36segmented_radix_sort_config_selectorIflEEZNS1_25segmented_radix_sort_implIS3_Lb0EPKfPfPKlPlN2at6native12_GLOBAL__N_18offset_tEEE10hipError_tPvRmT1_PNSt15iterator_traitsISK_E10value_typeET2_T3_PNSL_ISQ_E10value_typeET4_jRbjT5_SW_jjP12ihipStream_tbEUlT_E1_NS1_11comp_targetILNS1_3genE2ELNS1_11target_archE906ELNS1_3gpuE6ELNS1_3repE0EEENS1_59segmented_radix_sort_warp_sort_small_config_static_selectorELNS0_4arch9wavefront6targetE1EEEvSK_.has_dyn_sized_stack, or(0, .L_ZN7rocprim17ROCPRIM_400000_NS6detail26segmented_warp_sort_helperINS1_20WarpSortHelperConfigILj8ELj4ELj256EEEflLi256ELb0EvE4sortIPKfPfPKlPlEEvT_S9_T0_T1_SC_T2_bjjjjRNS5_12storage_typeE.has_dyn_sized_stack)
	.set _ZN7rocprim17ROCPRIM_400000_NS6detail17trampoline_kernelINS0_14default_configENS1_36segmented_radix_sort_config_selectorIflEEZNS1_25segmented_radix_sort_implIS3_Lb0EPKfPfPKlPlN2at6native12_GLOBAL__N_18offset_tEEE10hipError_tPvRmT1_PNSt15iterator_traitsISK_E10value_typeET2_T3_PNSL_ISQ_E10value_typeET4_jRbjT5_SW_jjP12ihipStream_tbEUlT_E1_NS1_11comp_targetILNS1_3genE2ELNS1_11target_archE906ELNS1_3gpuE6ELNS1_3repE0EEENS1_59segmented_radix_sort_warp_sort_small_config_static_selectorELNS0_4arch9wavefront6targetE1EEEvSK_.has_recursion, or(0, .L_ZN7rocprim17ROCPRIM_400000_NS6detail26segmented_warp_sort_helperINS1_20WarpSortHelperConfigILj8ELj4ELj256EEEflLi256ELb0EvE4sortIPKfPfPKlPlEEvT_S9_T0_T1_SC_T2_bjjjjRNS5_12storage_typeE.has_recursion)
	.set _ZN7rocprim17ROCPRIM_400000_NS6detail17trampoline_kernelINS0_14default_configENS1_36segmented_radix_sort_config_selectorIflEEZNS1_25segmented_radix_sort_implIS3_Lb0EPKfPfPKlPlN2at6native12_GLOBAL__N_18offset_tEEE10hipError_tPvRmT1_PNSt15iterator_traitsISK_E10value_typeET2_T3_PNSL_ISQ_E10value_typeET4_jRbjT5_SW_jjP12ihipStream_tbEUlT_E1_NS1_11comp_targetILNS1_3genE2ELNS1_11target_archE906ELNS1_3gpuE6ELNS1_3repE0EEENS1_59segmented_radix_sort_warp_sort_small_config_static_selectorELNS0_4arch9wavefront6targetE1EEEvSK_.has_indirect_call, or(0, .L_ZN7rocprim17ROCPRIM_400000_NS6detail26segmented_warp_sort_helperINS1_20WarpSortHelperConfigILj8ELj4ELj256EEEflLi256ELb0EvE4sortIPKfPfPKlPlEEvT_S9_T0_T1_SC_T2_bjjjjRNS5_12storage_typeE.has_indirect_call)
	.section	.AMDGPU.csdata,"",@progbits
; Kernel info:
; codeLenInByte = 344
; TotalNumSgprs: 46
; NumVgprs: 72
; ScratchSize: 0
; MemoryBound: 0
; FloatMode: 240
; IeeeMode: 1
; LDSByteSize: 12288 bytes/workgroup (compile time only)
; SGPRBlocks: 12
; VGPRBlocks: 17
; NumSGPRsForWavesPerEU: 102
; NumVGPRsForWavesPerEU: 72
; Occupancy: 3
; WaveLimiterHint : 0
; COMPUTE_PGM_RSRC2:SCRATCH_EN: 0
; COMPUTE_PGM_RSRC2:USER_SGPR: 6
; COMPUTE_PGM_RSRC2:TRAP_HANDLER: 0
; COMPUTE_PGM_RSRC2:TGID_X_EN: 1
; COMPUTE_PGM_RSRC2:TGID_Y_EN: 1
; COMPUTE_PGM_RSRC2:TGID_Z_EN: 0
; COMPUTE_PGM_RSRC2:TIDIG_COMP_CNT: 2
	.section	.text._ZN7rocprim17ROCPRIM_400000_NS6detail17trampoline_kernelINS0_14default_configENS1_36segmented_radix_sort_config_selectorIflEEZNS1_25segmented_radix_sort_implIS3_Lb0EPKfPfPKlPlN2at6native12_GLOBAL__N_18offset_tEEE10hipError_tPvRmT1_PNSt15iterator_traitsISK_E10value_typeET2_T3_PNSL_ISQ_E10value_typeET4_jRbjT5_SW_jjP12ihipStream_tbEUlT_E1_NS1_11comp_targetILNS1_3genE10ELNS1_11target_archE1201ELNS1_3gpuE5ELNS1_3repE0EEENS1_59segmented_radix_sort_warp_sort_small_config_static_selectorELNS0_4arch9wavefront6targetE1EEEvSK_,"axG",@progbits,_ZN7rocprim17ROCPRIM_400000_NS6detail17trampoline_kernelINS0_14default_configENS1_36segmented_radix_sort_config_selectorIflEEZNS1_25segmented_radix_sort_implIS3_Lb0EPKfPfPKlPlN2at6native12_GLOBAL__N_18offset_tEEE10hipError_tPvRmT1_PNSt15iterator_traitsISK_E10value_typeET2_T3_PNSL_ISQ_E10value_typeET4_jRbjT5_SW_jjP12ihipStream_tbEUlT_E1_NS1_11comp_targetILNS1_3genE10ELNS1_11target_archE1201ELNS1_3gpuE5ELNS1_3repE0EEENS1_59segmented_radix_sort_warp_sort_small_config_static_selectorELNS0_4arch9wavefront6targetE1EEEvSK_,comdat
	.globl	_ZN7rocprim17ROCPRIM_400000_NS6detail17trampoline_kernelINS0_14default_configENS1_36segmented_radix_sort_config_selectorIflEEZNS1_25segmented_radix_sort_implIS3_Lb0EPKfPfPKlPlN2at6native12_GLOBAL__N_18offset_tEEE10hipError_tPvRmT1_PNSt15iterator_traitsISK_E10value_typeET2_T3_PNSL_ISQ_E10value_typeET4_jRbjT5_SW_jjP12ihipStream_tbEUlT_E1_NS1_11comp_targetILNS1_3genE10ELNS1_11target_archE1201ELNS1_3gpuE5ELNS1_3repE0EEENS1_59segmented_radix_sort_warp_sort_small_config_static_selectorELNS0_4arch9wavefront6targetE1EEEvSK_ ; -- Begin function _ZN7rocprim17ROCPRIM_400000_NS6detail17trampoline_kernelINS0_14default_configENS1_36segmented_radix_sort_config_selectorIflEEZNS1_25segmented_radix_sort_implIS3_Lb0EPKfPfPKlPlN2at6native12_GLOBAL__N_18offset_tEEE10hipError_tPvRmT1_PNSt15iterator_traitsISK_E10value_typeET2_T3_PNSL_ISQ_E10value_typeET4_jRbjT5_SW_jjP12ihipStream_tbEUlT_E1_NS1_11comp_targetILNS1_3genE10ELNS1_11target_archE1201ELNS1_3gpuE5ELNS1_3repE0EEENS1_59segmented_radix_sort_warp_sort_small_config_static_selectorELNS0_4arch9wavefront6targetE1EEEvSK_
	.p2align	8
	.type	_ZN7rocprim17ROCPRIM_400000_NS6detail17trampoline_kernelINS0_14default_configENS1_36segmented_radix_sort_config_selectorIflEEZNS1_25segmented_radix_sort_implIS3_Lb0EPKfPfPKlPlN2at6native12_GLOBAL__N_18offset_tEEE10hipError_tPvRmT1_PNSt15iterator_traitsISK_E10value_typeET2_T3_PNSL_ISQ_E10value_typeET4_jRbjT5_SW_jjP12ihipStream_tbEUlT_E1_NS1_11comp_targetILNS1_3genE10ELNS1_11target_archE1201ELNS1_3gpuE5ELNS1_3repE0EEENS1_59segmented_radix_sort_warp_sort_small_config_static_selectorELNS0_4arch9wavefront6targetE1EEEvSK_,@function
_ZN7rocprim17ROCPRIM_400000_NS6detail17trampoline_kernelINS0_14default_configENS1_36segmented_radix_sort_config_selectorIflEEZNS1_25segmented_radix_sort_implIS3_Lb0EPKfPfPKlPlN2at6native12_GLOBAL__N_18offset_tEEE10hipError_tPvRmT1_PNSt15iterator_traitsISK_E10value_typeET2_T3_PNSL_ISQ_E10value_typeET4_jRbjT5_SW_jjP12ihipStream_tbEUlT_E1_NS1_11comp_targetILNS1_3genE10ELNS1_11target_archE1201ELNS1_3gpuE5ELNS1_3repE0EEENS1_59segmented_radix_sort_warp_sort_small_config_static_selectorELNS0_4arch9wavefront6targetE1EEEvSK_: ; @_ZN7rocprim17ROCPRIM_400000_NS6detail17trampoline_kernelINS0_14default_configENS1_36segmented_radix_sort_config_selectorIflEEZNS1_25segmented_radix_sort_implIS3_Lb0EPKfPfPKlPlN2at6native12_GLOBAL__N_18offset_tEEE10hipError_tPvRmT1_PNSt15iterator_traitsISK_E10value_typeET2_T3_PNSL_ISQ_E10value_typeET4_jRbjT5_SW_jjP12ihipStream_tbEUlT_E1_NS1_11comp_targetILNS1_3genE10ELNS1_11target_archE1201ELNS1_3gpuE5ELNS1_3repE0EEENS1_59segmented_radix_sort_warp_sort_small_config_static_selectorELNS0_4arch9wavefront6targetE1EEEvSK_
; %bb.0:
	.section	.rodata,"a",@progbits
	.p2align	6, 0x0
	.amdhsa_kernel _ZN7rocprim17ROCPRIM_400000_NS6detail17trampoline_kernelINS0_14default_configENS1_36segmented_radix_sort_config_selectorIflEEZNS1_25segmented_radix_sort_implIS3_Lb0EPKfPfPKlPlN2at6native12_GLOBAL__N_18offset_tEEE10hipError_tPvRmT1_PNSt15iterator_traitsISK_E10value_typeET2_T3_PNSL_ISQ_E10value_typeET4_jRbjT5_SW_jjP12ihipStream_tbEUlT_E1_NS1_11comp_targetILNS1_3genE10ELNS1_11target_archE1201ELNS1_3gpuE5ELNS1_3repE0EEENS1_59segmented_radix_sort_warp_sort_small_config_static_selectorELNS0_4arch9wavefront6targetE1EEEvSK_
		.amdhsa_group_segment_fixed_size 0
		.amdhsa_private_segment_fixed_size 0
		.amdhsa_kernarg_size 88
		.amdhsa_user_sgpr_count 6
		.amdhsa_user_sgpr_private_segment_buffer 1
		.amdhsa_user_sgpr_dispatch_ptr 0
		.amdhsa_user_sgpr_queue_ptr 0
		.amdhsa_user_sgpr_kernarg_segment_ptr 1
		.amdhsa_user_sgpr_dispatch_id 0
		.amdhsa_user_sgpr_flat_scratch_init 0
		.amdhsa_user_sgpr_private_segment_size 0
		.amdhsa_uses_dynamic_stack 0
		.amdhsa_system_sgpr_private_segment_wavefront_offset 0
		.amdhsa_system_sgpr_workgroup_id_x 1
		.amdhsa_system_sgpr_workgroup_id_y 0
		.amdhsa_system_sgpr_workgroup_id_z 0
		.amdhsa_system_sgpr_workgroup_info 0
		.amdhsa_system_vgpr_workitem_id 0
		.amdhsa_next_free_vgpr 1
		.amdhsa_next_free_sgpr 0
		.amdhsa_reserve_vcc 0
		.amdhsa_reserve_flat_scratch 0
		.amdhsa_float_round_mode_32 0
		.amdhsa_float_round_mode_16_64 0
		.amdhsa_float_denorm_mode_32 3
		.amdhsa_float_denorm_mode_16_64 3
		.amdhsa_dx10_clamp 1
		.amdhsa_ieee_mode 1
		.amdhsa_fp16_overflow 0
		.amdhsa_exception_fp_ieee_invalid_op 0
		.amdhsa_exception_fp_denorm_src 0
		.amdhsa_exception_fp_ieee_div_zero 0
		.amdhsa_exception_fp_ieee_overflow 0
		.amdhsa_exception_fp_ieee_underflow 0
		.amdhsa_exception_fp_ieee_inexact 0
		.amdhsa_exception_int_div_zero 0
	.end_amdhsa_kernel
	.section	.text._ZN7rocprim17ROCPRIM_400000_NS6detail17trampoline_kernelINS0_14default_configENS1_36segmented_radix_sort_config_selectorIflEEZNS1_25segmented_radix_sort_implIS3_Lb0EPKfPfPKlPlN2at6native12_GLOBAL__N_18offset_tEEE10hipError_tPvRmT1_PNSt15iterator_traitsISK_E10value_typeET2_T3_PNSL_ISQ_E10value_typeET4_jRbjT5_SW_jjP12ihipStream_tbEUlT_E1_NS1_11comp_targetILNS1_3genE10ELNS1_11target_archE1201ELNS1_3gpuE5ELNS1_3repE0EEENS1_59segmented_radix_sort_warp_sort_small_config_static_selectorELNS0_4arch9wavefront6targetE1EEEvSK_,"axG",@progbits,_ZN7rocprim17ROCPRIM_400000_NS6detail17trampoline_kernelINS0_14default_configENS1_36segmented_radix_sort_config_selectorIflEEZNS1_25segmented_radix_sort_implIS3_Lb0EPKfPfPKlPlN2at6native12_GLOBAL__N_18offset_tEEE10hipError_tPvRmT1_PNSt15iterator_traitsISK_E10value_typeET2_T3_PNSL_ISQ_E10value_typeET4_jRbjT5_SW_jjP12ihipStream_tbEUlT_E1_NS1_11comp_targetILNS1_3genE10ELNS1_11target_archE1201ELNS1_3gpuE5ELNS1_3repE0EEENS1_59segmented_radix_sort_warp_sort_small_config_static_selectorELNS0_4arch9wavefront6targetE1EEEvSK_,comdat
.Lfunc_end1454:
	.size	_ZN7rocprim17ROCPRIM_400000_NS6detail17trampoline_kernelINS0_14default_configENS1_36segmented_radix_sort_config_selectorIflEEZNS1_25segmented_radix_sort_implIS3_Lb0EPKfPfPKlPlN2at6native12_GLOBAL__N_18offset_tEEE10hipError_tPvRmT1_PNSt15iterator_traitsISK_E10value_typeET2_T3_PNSL_ISQ_E10value_typeET4_jRbjT5_SW_jjP12ihipStream_tbEUlT_E1_NS1_11comp_targetILNS1_3genE10ELNS1_11target_archE1201ELNS1_3gpuE5ELNS1_3repE0EEENS1_59segmented_radix_sort_warp_sort_small_config_static_selectorELNS0_4arch9wavefront6targetE1EEEvSK_, .Lfunc_end1454-_ZN7rocprim17ROCPRIM_400000_NS6detail17trampoline_kernelINS0_14default_configENS1_36segmented_radix_sort_config_selectorIflEEZNS1_25segmented_radix_sort_implIS3_Lb0EPKfPfPKlPlN2at6native12_GLOBAL__N_18offset_tEEE10hipError_tPvRmT1_PNSt15iterator_traitsISK_E10value_typeET2_T3_PNSL_ISQ_E10value_typeET4_jRbjT5_SW_jjP12ihipStream_tbEUlT_E1_NS1_11comp_targetILNS1_3genE10ELNS1_11target_archE1201ELNS1_3gpuE5ELNS1_3repE0EEENS1_59segmented_radix_sort_warp_sort_small_config_static_selectorELNS0_4arch9wavefront6targetE1EEEvSK_
                                        ; -- End function
	.set _ZN7rocprim17ROCPRIM_400000_NS6detail17trampoline_kernelINS0_14default_configENS1_36segmented_radix_sort_config_selectorIflEEZNS1_25segmented_radix_sort_implIS3_Lb0EPKfPfPKlPlN2at6native12_GLOBAL__N_18offset_tEEE10hipError_tPvRmT1_PNSt15iterator_traitsISK_E10value_typeET2_T3_PNSL_ISQ_E10value_typeET4_jRbjT5_SW_jjP12ihipStream_tbEUlT_E1_NS1_11comp_targetILNS1_3genE10ELNS1_11target_archE1201ELNS1_3gpuE5ELNS1_3repE0EEENS1_59segmented_radix_sort_warp_sort_small_config_static_selectorELNS0_4arch9wavefront6targetE1EEEvSK_.num_vgpr, 0
	.set _ZN7rocprim17ROCPRIM_400000_NS6detail17trampoline_kernelINS0_14default_configENS1_36segmented_radix_sort_config_selectorIflEEZNS1_25segmented_radix_sort_implIS3_Lb0EPKfPfPKlPlN2at6native12_GLOBAL__N_18offset_tEEE10hipError_tPvRmT1_PNSt15iterator_traitsISK_E10value_typeET2_T3_PNSL_ISQ_E10value_typeET4_jRbjT5_SW_jjP12ihipStream_tbEUlT_E1_NS1_11comp_targetILNS1_3genE10ELNS1_11target_archE1201ELNS1_3gpuE5ELNS1_3repE0EEENS1_59segmented_radix_sort_warp_sort_small_config_static_selectorELNS0_4arch9wavefront6targetE1EEEvSK_.num_agpr, 0
	.set _ZN7rocprim17ROCPRIM_400000_NS6detail17trampoline_kernelINS0_14default_configENS1_36segmented_radix_sort_config_selectorIflEEZNS1_25segmented_radix_sort_implIS3_Lb0EPKfPfPKlPlN2at6native12_GLOBAL__N_18offset_tEEE10hipError_tPvRmT1_PNSt15iterator_traitsISK_E10value_typeET2_T3_PNSL_ISQ_E10value_typeET4_jRbjT5_SW_jjP12ihipStream_tbEUlT_E1_NS1_11comp_targetILNS1_3genE10ELNS1_11target_archE1201ELNS1_3gpuE5ELNS1_3repE0EEENS1_59segmented_radix_sort_warp_sort_small_config_static_selectorELNS0_4arch9wavefront6targetE1EEEvSK_.numbered_sgpr, 0
	.set _ZN7rocprim17ROCPRIM_400000_NS6detail17trampoline_kernelINS0_14default_configENS1_36segmented_radix_sort_config_selectorIflEEZNS1_25segmented_radix_sort_implIS3_Lb0EPKfPfPKlPlN2at6native12_GLOBAL__N_18offset_tEEE10hipError_tPvRmT1_PNSt15iterator_traitsISK_E10value_typeET2_T3_PNSL_ISQ_E10value_typeET4_jRbjT5_SW_jjP12ihipStream_tbEUlT_E1_NS1_11comp_targetILNS1_3genE10ELNS1_11target_archE1201ELNS1_3gpuE5ELNS1_3repE0EEENS1_59segmented_radix_sort_warp_sort_small_config_static_selectorELNS0_4arch9wavefront6targetE1EEEvSK_.num_named_barrier, 0
	.set _ZN7rocprim17ROCPRIM_400000_NS6detail17trampoline_kernelINS0_14default_configENS1_36segmented_radix_sort_config_selectorIflEEZNS1_25segmented_radix_sort_implIS3_Lb0EPKfPfPKlPlN2at6native12_GLOBAL__N_18offset_tEEE10hipError_tPvRmT1_PNSt15iterator_traitsISK_E10value_typeET2_T3_PNSL_ISQ_E10value_typeET4_jRbjT5_SW_jjP12ihipStream_tbEUlT_E1_NS1_11comp_targetILNS1_3genE10ELNS1_11target_archE1201ELNS1_3gpuE5ELNS1_3repE0EEENS1_59segmented_radix_sort_warp_sort_small_config_static_selectorELNS0_4arch9wavefront6targetE1EEEvSK_.private_seg_size, 0
	.set _ZN7rocprim17ROCPRIM_400000_NS6detail17trampoline_kernelINS0_14default_configENS1_36segmented_radix_sort_config_selectorIflEEZNS1_25segmented_radix_sort_implIS3_Lb0EPKfPfPKlPlN2at6native12_GLOBAL__N_18offset_tEEE10hipError_tPvRmT1_PNSt15iterator_traitsISK_E10value_typeET2_T3_PNSL_ISQ_E10value_typeET4_jRbjT5_SW_jjP12ihipStream_tbEUlT_E1_NS1_11comp_targetILNS1_3genE10ELNS1_11target_archE1201ELNS1_3gpuE5ELNS1_3repE0EEENS1_59segmented_radix_sort_warp_sort_small_config_static_selectorELNS0_4arch9wavefront6targetE1EEEvSK_.uses_vcc, 0
	.set _ZN7rocprim17ROCPRIM_400000_NS6detail17trampoline_kernelINS0_14default_configENS1_36segmented_radix_sort_config_selectorIflEEZNS1_25segmented_radix_sort_implIS3_Lb0EPKfPfPKlPlN2at6native12_GLOBAL__N_18offset_tEEE10hipError_tPvRmT1_PNSt15iterator_traitsISK_E10value_typeET2_T3_PNSL_ISQ_E10value_typeET4_jRbjT5_SW_jjP12ihipStream_tbEUlT_E1_NS1_11comp_targetILNS1_3genE10ELNS1_11target_archE1201ELNS1_3gpuE5ELNS1_3repE0EEENS1_59segmented_radix_sort_warp_sort_small_config_static_selectorELNS0_4arch9wavefront6targetE1EEEvSK_.uses_flat_scratch, 0
	.set _ZN7rocprim17ROCPRIM_400000_NS6detail17trampoline_kernelINS0_14default_configENS1_36segmented_radix_sort_config_selectorIflEEZNS1_25segmented_radix_sort_implIS3_Lb0EPKfPfPKlPlN2at6native12_GLOBAL__N_18offset_tEEE10hipError_tPvRmT1_PNSt15iterator_traitsISK_E10value_typeET2_T3_PNSL_ISQ_E10value_typeET4_jRbjT5_SW_jjP12ihipStream_tbEUlT_E1_NS1_11comp_targetILNS1_3genE10ELNS1_11target_archE1201ELNS1_3gpuE5ELNS1_3repE0EEENS1_59segmented_radix_sort_warp_sort_small_config_static_selectorELNS0_4arch9wavefront6targetE1EEEvSK_.has_dyn_sized_stack, 0
	.set _ZN7rocprim17ROCPRIM_400000_NS6detail17trampoline_kernelINS0_14default_configENS1_36segmented_radix_sort_config_selectorIflEEZNS1_25segmented_radix_sort_implIS3_Lb0EPKfPfPKlPlN2at6native12_GLOBAL__N_18offset_tEEE10hipError_tPvRmT1_PNSt15iterator_traitsISK_E10value_typeET2_T3_PNSL_ISQ_E10value_typeET4_jRbjT5_SW_jjP12ihipStream_tbEUlT_E1_NS1_11comp_targetILNS1_3genE10ELNS1_11target_archE1201ELNS1_3gpuE5ELNS1_3repE0EEENS1_59segmented_radix_sort_warp_sort_small_config_static_selectorELNS0_4arch9wavefront6targetE1EEEvSK_.has_recursion, 0
	.set _ZN7rocprim17ROCPRIM_400000_NS6detail17trampoline_kernelINS0_14default_configENS1_36segmented_radix_sort_config_selectorIflEEZNS1_25segmented_radix_sort_implIS3_Lb0EPKfPfPKlPlN2at6native12_GLOBAL__N_18offset_tEEE10hipError_tPvRmT1_PNSt15iterator_traitsISK_E10value_typeET2_T3_PNSL_ISQ_E10value_typeET4_jRbjT5_SW_jjP12ihipStream_tbEUlT_E1_NS1_11comp_targetILNS1_3genE10ELNS1_11target_archE1201ELNS1_3gpuE5ELNS1_3repE0EEENS1_59segmented_radix_sort_warp_sort_small_config_static_selectorELNS0_4arch9wavefront6targetE1EEEvSK_.has_indirect_call, 0
	.section	.AMDGPU.csdata,"",@progbits
; Kernel info:
; codeLenInByte = 0
; TotalNumSgprs: 4
; NumVgprs: 0
; ScratchSize: 0
; MemoryBound: 0
; FloatMode: 240
; IeeeMode: 1
; LDSByteSize: 0 bytes/workgroup (compile time only)
; SGPRBlocks: 0
; VGPRBlocks: 0
; NumSGPRsForWavesPerEU: 4
; NumVGPRsForWavesPerEU: 1
; Occupancy: 10
; WaveLimiterHint : 0
; COMPUTE_PGM_RSRC2:SCRATCH_EN: 0
; COMPUTE_PGM_RSRC2:USER_SGPR: 6
; COMPUTE_PGM_RSRC2:TRAP_HANDLER: 0
; COMPUTE_PGM_RSRC2:TGID_X_EN: 1
; COMPUTE_PGM_RSRC2:TGID_Y_EN: 0
; COMPUTE_PGM_RSRC2:TGID_Z_EN: 0
; COMPUTE_PGM_RSRC2:TIDIG_COMP_CNT: 0
	.section	.text._ZN7rocprim17ROCPRIM_400000_NS6detail17trampoline_kernelINS0_14default_configENS1_36segmented_radix_sort_config_selectorIflEEZNS1_25segmented_radix_sort_implIS3_Lb0EPKfPfPKlPlN2at6native12_GLOBAL__N_18offset_tEEE10hipError_tPvRmT1_PNSt15iterator_traitsISK_E10value_typeET2_T3_PNSL_ISQ_E10value_typeET4_jRbjT5_SW_jjP12ihipStream_tbEUlT_E1_NS1_11comp_targetILNS1_3genE10ELNS1_11target_archE1200ELNS1_3gpuE4ELNS1_3repE0EEENS1_59segmented_radix_sort_warp_sort_small_config_static_selectorELNS0_4arch9wavefront6targetE1EEEvSK_,"axG",@progbits,_ZN7rocprim17ROCPRIM_400000_NS6detail17trampoline_kernelINS0_14default_configENS1_36segmented_radix_sort_config_selectorIflEEZNS1_25segmented_radix_sort_implIS3_Lb0EPKfPfPKlPlN2at6native12_GLOBAL__N_18offset_tEEE10hipError_tPvRmT1_PNSt15iterator_traitsISK_E10value_typeET2_T3_PNSL_ISQ_E10value_typeET4_jRbjT5_SW_jjP12ihipStream_tbEUlT_E1_NS1_11comp_targetILNS1_3genE10ELNS1_11target_archE1200ELNS1_3gpuE4ELNS1_3repE0EEENS1_59segmented_radix_sort_warp_sort_small_config_static_selectorELNS0_4arch9wavefront6targetE1EEEvSK_,comdat
	.globl	_ZN7rocprim17ROCPRIM_400000_NS6detail17trampoline_kernelINS0_14default_configENS1_36segmented_radix_sort_config_selectorIflEEZNS1_25segmented_radix_sort_implIS3_Lb0EPKfPfPKlPlN2at6native12_GLOBAL__N_18offset_tEEE10hipError_tPvRmT1_PNSt15iterator_traitsISK_E10value_typeET2_T3_PNSL_ISQ_E10value_typeET4_jRbjT5_SW_jjP12ihipStream_tbEUlT_E1_NS1_11comp_targetILNS1_3genE10ELNS1_11target_archE1200ELNS1_3gpuE4ELNS1_3repE0EEENS1_59segmented_radix_sort_warp_sort_small_config_static_selectorELNS0_4arch9wavefront6targetE1EEEvSK_ ; -- Begin function _ZN7rocprim17ROCPRIM_400000_NS6detail17trampoline_kernelINS0_14default_configENS1_36segmented_radix_sort_config_selectorIflEEZNS1_25segmented_radix_sort_implIS3_Lb0EPKfPfPKlPlN2at6native12_GLOBAL__N_18offset_tEEE10hipError_tPvRmT1_PNSt15iterator_traitsISK_E10value_typeET2_T3_PNSL_ISQ_E10value_typeET4_jRbjT5_SW_jjP12ihipStream_tbEUlT_E1_NS1_11comp_targetILNS1_3genE10ELNS1_11target_archE1200ELNS1_3gpuE4ELNS1_3repE0EEENS1_59segmented_radix_sort_warp_sort_small_config_static_selectorELNS0_4arch9wavefront6targetE1EEEvSK_
	.p2align	8
	.type	_ZN7rocprim17ROCPRIM_400000_NS6detail17trampoline_kernelINS0_14default_configENS1_36segmented_radix_sort_config_selectorIflEEZNS1_25segmented_radix_sort_implIS3_Lb0EPKfPfPKlPlN2at6native12_GLOBAL__N_18offset_tEEE10hipError_tPvRmT1_PNSt15iterator_traitsISK_E10value_typeET2_T3_PNSL_ISQ_E10value_typeET4_jRbjT5_SW_jjP12ihipStream_tbEUlT_E1_NS1_11comp_targetILNS1_3genE10ELNS1_11target_archE1200ELNS1_3gpuE4ELNS1_3repE0EEENS1_59segmented_radix_sort_warp_sort_small_config_static_selectorELNS0_4arch9wavefront6targetE1EEEvSK_,@function
_ZN7rocprim17ROCPRIM_400000_NS6detail17trampoline_kernelINS0_14default_configENS1_36segmented_radix_sort_config_selectorIflEEZNS1_25segmented_radix_sort_implIS3_Lb0EPKfPfPKlPlN2at6native12_GLOBAL__N_18offset_tEEE10hipError_tPvRmT1_PNSt15iterator_traitsISK_E10value_typeET2_T3_PNSL_ISQ_E10value_typeET4_jRbjT5_SW_jjP12ihipStream_tbEUlT_E1_NS1_11comp_targetILNS1_3genE10ELNS1_11target_archE1200ELNS1_3gpuE4ELNS1_3repE0EEENS1_59segmented_radix_sort_warp_sort_small_config_static_selectorELNS0_4arch9wavefront6targetE1EEEvSK_: ; @_ZN7rocprim17ROCPRIM_400000_NS6detail17trampoline_kernelINS0_14default_configENS1_36segmented_radix_sort_config_selectorIflEEZNS1_25segmented_radix_sort_implIS3_Lb0EPKfPfPKlPlN2at6native12_GLOBAL__N_18offset_tEEE10hipError_tPvRmT1_PNSt15iterator_traitsISK_E10value_typeET2_T3_PNSL_ISQ_E10value_typeET4_jRbjT5_SW_jjP12ihipStream_tbEUlT_E1_NS1_11comp_targetILNS1_3genE10ELNS1_11target_archE1200ELNS1_3gpuE4ELNS1_3repE0EEENS1_59segmented_radix_sort_warp_sort_small_config_static_selectorELNS0_4arch9wavefront6targetE1EEEvSK_
; %bb.0:
	.section	.rodata,"a",@progbits
	.p2align	6, 0x0
	.amdhsa_kernel _ZN7rocprim17ROCPRIM_400000_NS6detail17trampoline_kernelINS0_14default_configENS1_36segmented_radix_sort_config_selectorIflEEZNS1_25segmented_radix_sort_implIS3_Lb0EPKfPfPKlPlN2at6native12_GLOBAL__N_18offset_tEEE10hipError_tPvRmT1_PNSt15iterator_traitsISK_E10value_typeET2_T3_PNSL_ISQ_E10value_typeET4_jRbjT5_SW_jjP12ihipStream_tbEUlT_E1_NS1_11comp_targetILNS1_3genE10ELNS1_11target_archE1200ELNS1_3gpuE4ELNS1_3repE0EEENS1_59segmented_radix_sort_warp_sort_small_config_static_selectorELNS0_4arch9wavefront6targetE1EEEvSK_
		.amdhsa_group_segment_fixed_size 0
		.amdhsa_private_segment_fixed_size 0
		.amdhsa_kernarg_size 88
		.amdhsa_user_sgpr_count 6
		.amdhsa_user_sgpr_private_segment_buffer 1
		.amdhsa_user_sgpr_dispatch_ptr 0
		.amdhsa_user_sgpr_queue_ptr 0
		.amdhsa_user_sgpr_kernarg_segment_ptr 1
		.amdhsa_user_sgpr_dispatch_id 0
		.amdhsa_user_sgpr_flat_scratch_init 0
		.amdhsa_user_sgpr_private_segment_size 0
		.amdhsa_uses_dynamic_stack 0
		.amdhsa_system_sgpr_private_segment_wavefront_offset 0
		.amdhsa_system_sgpr_workgroup_id_x 1
		.amdhsa_system_sgpr_workgroup_id_y 0
		.amdhsa_system_sgpr_workgroup_id_z 0
		.amdhsa_system_sgpr_workgroup_info 0
		.amdhsa_system_vgpr_workitem_id 0
		.amdhsa_next_free_vgpr 1
		.amdhsa_next_free_sgpr 0
		.amdhsa_reserve_vcc 0
		.amdhsa_reserve_flat_scratch 0
		.amdhsa_float_round_mode_32 0
		.amdhsa_float_round_mode_16_64 0
		.amdhsa_float_denorm_mode_32 3
		.amdhsa_float_denorm_mode_16_64 3
		.amdhsa_dx10_clamp 1
		.amdhsa_ieee_mode 1
		.amdhsa_fp16_overflow 0
		.amdhsa_exception_fp_ieee_invalid_op 0
		.amdhsa_exception_fp_denorm_src 0
		.amdhsa_exception_fp_ieee_div_zero 0
		.amdhsa_exception_fp_ieee_overflow 0
		.amdhsa_exception_fp_ieee_underflow 0
		.amdhsa_exception_fp_ieee_inexact 0
		.amdhsa_exception_int_div_zero 0
	.end_amdhsa_kernel
	.section	.text._ZN7rocprim17ROCPRIM_400000_NS6detail17trampoline_kernelINS0_14default_configENS1_36segmented_radix_sort_config_selectorIflEEZNS1_25segmented_radix_sort_implIS3_Lb0EPKfPfPKlPlN2at6native12_GLOBAL__N_18offset_tEEE10hipError_tPvRmT1_PNSt15iterator_traitsISK_E10value_typeET2_T3_PNSL_ISQ_E10value_typeET4_jRbjT5_SW_jjP12ihipStream_tbEUlT_E1_NS1_11comp_targetILNS1_3genE10ELNS1_11target_archE1200ELNS1_3gpuE4ELNS1_3repE0EEENS1_59segmented_radix_sort_warp_sort_small_config_static_selectorELNS0_4arch9wavefront6targetE1EEEvSK_,"axG",@progbits,_ZN7rocprim17ROCPRIM_400000_NS6detail17trampoline_kernelINS0_14default_configENS1_36segmented_radix_sort_config_selectorIflEEZNS1_25segmented_radix_sort_implIS3_Lb0EPKfPfPKlPlN2at6native12_GLOBAL__N_18offset_tEEE10hipError_tPvRmT1_PNSt15iterator_traitsISK_E10value_typeET2_T3_PNSL_ISQ_E10value_typeET4_jRbjT5_SW_jjP12ihipStream_tbEUlT_E1_NS1_11comp_targetILNS1_3genE10ELNS1_11target_archE1200ELNS1_3gpuE4ELNS1_3repE0EEENS1_59segmented_radix_sort_warp_sort_small_config_static_selectorELNS0_4arch9wavefront6targetE1EEEvSK_,comdat
.Lfunc_end1455:
	.size	_ZN7rocprim17ROCPRIM_400000_NS6detail17trampoline_kernelINS0_14default_configENS1_36segmented_radix_sort_config_selectorIflEEZNS1_25segmented_radix_sort_implIS3_Lb0EPKfPfPKlPlN2at6native12_GLOBAL__N_18offset_tEEE10hipError_tPvRmT1_PNSt15iterator_traitsISK_E10value_typeET2_T3_PNSL_ISQ_E10value_typeET4_jRbjT5_SW_jjP12ihipStream_tbEUlT_E1_NS1_11comp_targetILNS1_3genE10ELNS1_11target_archE1200ELNS1_3gpuE4ELNS1_3repE0EEENS1_59segmented_radix_sort_warp_sort_small_config_static_selectorELNS0_4arch9wavefront6targetE1EEEvSK_, .Lfunc_end1455-_ZN7rocprim17ROCPRIM_400000_NS6detail17trampoline_kernelINS0_14default_configENS1_36segmented_radix_sort_config_selectorIflEEZNS1_25segmented_radix_sort_implIS3_Lb0EPKfPfPKlPlN2at6native12_GLOBAL__N_18offset_tEEE10hipError_tPvRmT1_PNSt15iterator_traitsISK_E10value_typeET2_T3_PNSL_ISQ_E10value_typeET4_jRbjT5_SW_jjP12ihipStream_tbEUlT_E1_NS1_11comp_targetILNS1_3genE10ELNS1_11target_archE1200ELNS1_3gpuE4ELNS1_3repE0EEENS1_59segmented_radix_sort_warp_sort_small_config_static_selectorELNS0_4arch9wavefront6targetE1EEEvSK_
                                        ; -- End function
	.set _ZN7rocprim17ROCPRIM_400000_NS6detail17trampoline_kernelINS0_14default_configENS1_36segmented_radix_sort_config_selectorIflEEZNS1_25segmented_radix_sort_implIS3_Lb0EPKfPfPKlPlN2at6native12_GLOBAL__N_18offset_tEEE10hipError_tPvRmT1_PNSt15iterator_traitsISK_E10value_typeET2_T3_PNSL_ISQ_E10value_typeET4_jRbjT5_SW_jjP12ihipStream_tbEUlT_E1_NS1_11comp_targetILNS1_3genE10ELNS1_11target_archE1200ELNS1_3gpuE4ELNS1_3repE0EEENS1_59segmented_radix_sort_warp_sort_small_config_static_selectorELNS0_4arch9wavefront6targetE1EEEvSK_.num_vgpr, 0
	.set _ZN7rocprim17ROCPRIM_400000_NS6detail17trampoline_kernelINS0_14default_configENS1_36segmented_radix_sort_config_selectorIflEEZNS1_25segmented_radix_sort_implIS3_Lb0EPKfPfPKlPlN2at6native12_GLOBAL__N_18offset_tEEE10hipError_tPvRmT1_PNSt15iterator_traitsISK_E10value_typeET2_T3_PNSL_ISQ_E10value_typeET4_jRbjT5_SW_jjP12ihipStream_tbEUlT_E1_NS1_11comp_targetILNS1_3genE10ELNS1_11target_archE1200ELNS1_3gpuE4ELNS1_3repE0EEENS1_59segmented_radix_sort_warp_sort_small_config_static_selectorELNS0_4arch9wavefront6targetE1EEEvSK_.num_agpr, 0
	.set _ZN7rocprim17ROCPRIM_400000_NS6detail17trampoline_kernelINS0_14default_configENS1_36segmented_radix_sort_config_selectorIflEEZNS1_25segmented_radix_sort_implIS3_Lb0EPKfPfPKlPlN2at6native12_GLOBAL__N_18offset_tEEE10hipError_tPvRmT1_PNSt15iterator_traitsISK_E10value_typeET2_T3_PNSL_ISQ_E10value_typeET4_jRbjT5_SW_jjP12ihipStream_tbEUlT_E1_NS1_11comp_targetILNS1_3genE10ELNS1_11target_archE1200ELNS1_3gpuE4ELNS1_3repE0EEENS1_59segmented_radix_sort_warp_sort_small_config_static_selectorELNS0_4arch9wavefront6targetE1EEEvSK_.numbered_sgpr, 0
	.set _ZN7rocprim17ROCPRIM_400000_NS6detail17trampoline_kernelINS0_14default_configENS1_36segmented_radix_sort_config_selectorIflEEZNS1_25segmented_radix_sort_implIS3_Lb0EPKfPfPKlPlN2at6native12_GLOBAL__N_18offset_tEEE10hipError_tPvRmT1_PNSt15iterator_traitsISK_E10value_typeET2_T3_PNSL_ISQ_E10value_typeET4_jRbjT5_SW_jjP12ihipStream_tbEUlT_E1_NS1_11comp_targetILNS1_3genE10ELNS1_11target_archE1200ELNS1_3gpuE4ELNS1_3repE0EEENS1_59segmented_radix_sort_warp_sort_small_config_static_selectorELNS0_4arch9wavefront6targetE1EEEvSK_.num_named_barrier, 0
	.set _ZN7rocprim17ROCPRIM_400000_NS6detail17trampoline_kernelINS0_14default_configENS1_36segmented_radix_sort_config_selectorIflEEZNS1_25segmented_radix_sort_implIS3_Lb0EPKfPfPKlPlN2at6native12_GLOBAL__N_18offset_tEEE10hipError_tPvRmT1_PNSt15iterator_traitsISK_E10value_typeET2_T3_PNSL_ISQ_E10value_typeET4_jRbjT5_SW_jjP12ihipStream_tbEUlT_E1_NS1_11comp_targetILNS1_3genE10ELNS1_11target_archE1200ELNS1_3gpuE4ELNS1_3repE0EEENS1_59segmented_radix_sort_warp_sort_small_config_static_selectorELNS0_4arch9wavefront6targetE1EEEvSK_.private_seg_size, 0
	.set _ZN7rocprim17ROCPRIM_400000_NS6detail17trampoline_kernelINS0_14default_configENS1_36segmented_radix_sort_config_selectorIflEEZNS1_25segmented_radix_sort_implIS3_Lb0EPKfPfPKlPlN2at6native12_GLOBAL__N_18offset_tEEE10hipError_tPvRmT1_PNSt15iterator_traitsISK_E10value_typeET2_T3_PNSL_ISQ_E10value_typeET4_jRbjT5_SW_jjP12ihipStream_tbEUlT_E1_NS1_11comp_targetILNS1_3genE10ELNS1_11target_archE1200ELNS1_3gpuE4ELNS1_3repE0EEENS1_59segmented_radix_sort_warp_sort_small_config_static_selectorELNS0_4arch9wavefront6targetE1EEEvSK_.uses_vcc, 0
	.set _ZN7rocprim17ROCPRIM_400000_NS6detail17trampoline_kernelINS0_14default_configENS1_36segmented_radix_sort_config_selectorIflEEZNS1_25segmented_radix_sort_implIS3_Lb0EPKfPfPKlPlN2at6native12_GLOBAL__N_18offset_tEEE10hipError_tPvRmT1_PNSt15iterator_traitsISK_E10value_typeET2_T3_PNSL_ISQ_E10value_typeET4_jRbjT5_SW_jjP12ihipStream_tbEUlT_E1_NS1_11comp_targetILNS1_3genE10ELNS1_11target_archE1200ELNS1_3gpuE4ELNS1_3repE0EEENS1_59segmented_radix_sort_warp_sort_small_config_static_selectorELNS0_4arch9wavefront6targetE1EEEvSK_.uses_flat_scratch, 0
	.set _ZN7rocprim17ROCPRIM_400000_NS6detail17trampoline_kernelINS0_14default_configENS1_36segmented_radix_sort_config_selectorIflEEZNS1_25segmented_radix_sort_implIS3_Lb0EPKfPfPKlPlN2at6native12_GLOBAL__N_18offset_tEEE10hipError_tPvRmT1_PNSt15iterator_traitsISK_E10value_typeET2_T3_PNSL_ISQ_E10value_typeET4_jRbjT5_SW_jjP12ihipStream_tbEUlT_E1_NS1_11comp_targetILNS1_3genE10ELNS1_11target_archE1200ELNS1_3gpuE4ELNS1_3repE0EEENS1_59segmented_radix_sort_warp_sort_small_config_static_selectorELNS0_4arch9wavefront6targetE1EEEvSK_.has_dyn_sized_stack, 0
	.set _ZN7rocprim17ROCPRIM_400000_NS6detail17trampoline_kernelINS0_14default_configENS1_36segmented_radix_sort_config_selectorIflEEZNS1_25segmented_radix_sort_implIS3_Lb0EPKfPfPKlPlN2at6native12_GLOBAL__N_18offset_tEEE10hipError_tPvRmT1_PNSt15iterator_traitsISK_E10value_typeET2_T3_PNSL_ISQ_E10value_typeET4_jRbjT5_SW_jjP12ihipStream_tbEUlT_E1_NS1_11comp_targetILNS1_3genE10ELNS1_11target_archE1200ELNS1_3gpuE4ELNS1_3repE0EEENS1_59segmented_radix_sort_warp_sort_small_config_static_selectorELNS0_4arch9wavefront6targetE1EEEvSK_.has_recursion, 0
	.set _ZN7rocprim17ROCPRIM_400000_NS6detail17trampoline_kernelINS0_14default_configENS1_36segmented_radix_sort_config_selectorIflEEZNS1_25segmented_radix_sort_implIS3_Lb0EPKfPfPKlPlN2at6native12_GLOBAL__N_18offset_tEEE10hipError_tPvRmT1_PNSt15iterator_traitsISK_E10value_typeET2_T3_PNSL_ISQ_E10value_typeET4_jRbjT5_SW_jjP12ihipStream_tbEUlT_E1_NS1_11comp_targetILNS1_3genE10ELNS1_11target_archE1200ELNS1_3gpuE4ELNS1_3repE0EEENS1_59segmented_radix_sort_warp_sort_small_config_static_selectorELNS0_4arch9wavefront6targetE1EEEvSK_.has_indirect_call, 0
	.section	.AMDGPU.csdata,"",@progbits
; Kernel info:
; codeLenInByte = 0
; TotalNumSgprs: 4
; NumVgprs: 0
; ScratchSize: 0
; MemoryBound: 0
; FloatMode: 240
; IeeeMode: 1
; LDSByteSize: 0 bytes/workgroup (compile time only)
; SGPRBlocks: 0
; VGPRBlocks: 0
; NumSGPRsForWavesPerEU: 4
; NumVGPRsForWavesPerEU: 1
; Occupancy: 10
; WaveLimiterHint : 0
; COMPUTE_PGM_RSRC2:SCRATCH_EN: 0
; COMPUTE_PGM_RSRC2:USER_SGPR: 6
; COMPUTE_PGM_RSRC2:TRAP_HANDLER: 0
; COMPUTE_PGM_RSRC2:TGID_X_EN: 1
; COMPUTE_PGM_RSRC2:TGID_Y_EN: 0
; COMPUTE_PGM_RSRC2:TGID_Z_EN: 0
; COMPUTE_PGM_RSRC2:TIDIG_COMP_CNT: 0
	.section	.text._ZN7rocprim17ROCPRIM_400000_NS6detail17trampoline_kernelINS0_14default_configENS1_36segmented_radix_sort_config_selectorIflEEZNS1_25segmented_radix_sort_implIS3_Lb0EPKfPfPKlPlN2at6native12_GLOBAL__N_18offset_tEEE10hipError_tPvRmT1_PNSt15iterator_traitsISK_E10value_typeET2_T3_PNSL_ISQ_E10value_typeET4_jRbjT5_SW_jjP12ihipStream_tbEUlT_E1_NS1_11comp_targetILNS1_3genE9ELNS1_11target_archE1100ELNS1_3gpuE3ELNS1_3repE0EEENS1_59segmented_radix_sort_warp_sort_small_config_static_selectorELNS0_4arch9wavefront6targetE1EEEvSK_,"axG",@progbits,_ZN7rocprim17ROCPRIM_400000_NS6detail17trampoline_kernelINS0_14default_configENS1_36segmented_radix_sort_config_selectorIflEEZNS1_25segmented_radix_sort_implIS3_Lb0EPKfPfPKlPlN2at6native12_GLOBAL__N_18offset_tEEE10hipError_tPvRmT1_PNSt15iterator_traitsISK_E10value_typeET2_T3_PNSL_ISQ_E10value_typeET4_jRbjT5_SW_jjP12ihipStream_tbEUlT_E1_NS1_11comp_targetILNS1_3genE9ELNS1_11target_archE1100ELNS1_3gpuE3ELNS1_3repE0EEENS1_59segmented_radix_sort_warp_sort_small_config_static_selectorELNS0_4arch9wavefront6targetE1EEEvSK_,comdat
	.globl	_ZN7rocprim17ROCPRIM_400000_NS6detail17trampoline_kernelINS0_14default_configENS1_36segmented_radix_sort_config_selectorIflEEZNS1_25segmented_radix_sort_implIS3_Lb0EPKfPfPKlPlN2at6native12_GLOBAL__N_18offset_tEEE10hipError_tPvRmT1_PNSt15iterator_traitsISK_E10value_typeET2_T3_PNSL_ISQ_E10value_typeET4_jRbjT5_SW_jjP12ihipStream_tbEUlT_E1_NS1_11comp_targetILNS1_3genE9ELNS1_11target_archE1100ELNS1_3gpuE3ELNS1_3repE0EEENS1_59segmented_radix_sort_warp_sort_small_config_static_selectorELNS0_4arch9wavefront6targetE1EEEvSK_ ; -- Begin function _ZN7rocprim17ROCPRIM_400000_NS6detail17trampoline_kernelINS0_14default_configENS1_36segmented_radix_sort_config_selectorIflEEZNS1_25segmented_radix_sort_implIS3_Lb0EPKfPfPKlPlN2at6native12_GLOBAL__N_18offset_tEEE10hipError_tPvRmT1_PNSt15iterator_traitsISK_E10value_typeET2_T3_PNSL_ISQ_E10value_typeET4_jRbjT5_SW_jjP12ihipStream_tbEUlT_E1_NS1_11comp_targetILNS1_3genE9ELNS1_11target_archE1100ELNS1_3gpuE3ELNS1_3repE0EEENS1_59segmented_radix_sort_warp_sort_small_config_static_selectorELNS0_4arch9wavefront6targetE1EEEvSK_
	.p2align	8
	.type	_ZN7rocprim17ROCPRIM_400000_NS6detail17trampoline_kernelINS0_14default_configENS1_36segmented_radix_sort_config_selectorIflEEZNS1_25segmented_radix_sort_implIS3_Lb0EPKfPfPKlPlN2at6native12_GLOBAL__N_18offset_tEEE10hipError_tPvRmT1_PNSt15iterator_traitsISK_E10value_typeET2_T3_PNSL_ISQ_E10value_typeET4_jRbjT5_SW_jjP12ihipStream_tbEUlT_E1_NS1_11comp_targetILNS1_3genE9ELNS1_11target_archE1100ELNS1_3gpuE3ELNS1_3repE0EEENS1_59segmented_radix_sort_warp_sort_small_config_static_selectorELNS0_4arch9wavefront6targetE1EEEvSK_,@function
_ZN7rocprim17ROCPRIM_400000_NS6detail17trampoline_kernelINS0_14default_configENS1_36segmented_radix_sort_config_selectorIflEEZNS1_25segmented_radix_sort_implIS3_Lb0EPKfPfPKlPlN2at6native12_GLOBAL__N_18offset_tEEE10hipError_tPvRmT1_PNSt15iterator_traitsISK_E10value_typeET2_T3_PNSL_ISQ_E10value_typeET4_jRbjT5_SW_jjP12ihipStream_tbEUlT_E1_NS1_11comp_targetILNS1_3genE9ELNS1_11target_archE1100ELNS1_3gpuE3ELNS1_3repE0EEENS1_59segmented_radix_sort_warp_sort_small_config_static_selectorELNS0_4arch9wavefront6targetE1EEEvSK_: ; @_ZN7rocprim17ROCPRIM_400000_NS6detail17trampoline_kernelINS0_14default_configENS1_36segmented_radix_sort_config_selectorIflEEZNS1_25segmented_radix_sort_implIS3_Lb0EPKfPfPKlPlN2at6native12_GLOBAL__N_18offset_tEEE10hipError_tPvRmT1_PNSt15iterator_traitsISK_E10value_typeET2_T3_PNSL_ISQ_E10value_typeET4_jRbjT5_SW_jjP12ihipStream_tbEUlT_E1_NS1_11comp_targetILNS1_3genE9ELNS1_11target_archE1100ELNS1_3gpuE3ELNS1_3repE0EEENS1_59segmented_radix_sort_warp_sort_small_config_static_selectorELNS0_4arch9wavefront6targetE1EEEvSK_
; %bb.0:
	.section	.rodata,"a",@progbits
	.p2align	6, 0x0
	.amdhsa_kernel _ZN7rocprim17ROCPRIM_400000_NS6detail17trampoline_kernelINS0_14default_configENS1_36segmented_radix_sort_config_selectorIflEEZNS1_25segmented_radix_sort_implIS3_Lb0EPKfPfPKlPlN2at6native12_GLOBAL__N_18offset_tEEE10hipError_tPvRmT1_PNSt15iterator_traitsISK_E10value_typeET2_T3_PNSL_ISQ_E10value_typeET4_jRbjT5_SW_jjP12ihipStream_tbEUlT_E1_NS1_11comp_targetILNS1_3genE9ELNS1_11target_archE1100ELNS1_3gpuE3ELNS1_3repE0EEENS1_59segmented_radix_sort_warp_sort_small_config_static_selectorELNS0_4arch9wavefront6targetE1EEEvSK_
		.amdhsa_group_segment_fixed_size 0
		.amdhsa_private_segment_fixed_size 0
		.amdhsa_kernarg_size 88
		.amdhsa_user_sgpr_count 6
		.amdhsa_user_sgpr_private_segment_buffer 1
		.amdhsa_user_sgpr_dispatch_ptr 0
		.amdhsa_user_sgpr_queue_ptr 0
		.amdhsa_user_sgpr_kernarg_segment_ptr 1
		.amdhsa_user_sgpr_dispatch_id 0
		.amdhsa_user_sgpr_flat_scratch_init 0
		.amdhsa_user_sgpr_private_segment_size 0
		.amdhsa_uses_dynamic_stack 0
		.amdhsa_system_sgpr_private_segment_wavefront_offset 0
		.amdhsa_system_sgpr_workgroup_id_x 1
		.amdhsa_system_sgpr_workgroup_id_y 0
		.amdhsa_system_sgpr_workgroup_id_z 0
		.amdhsa_system_sgpr_workgroup_info 0
		.amdhsa_system_vgpr_workitem_id 0
		.amdhsa_next_free_vgpr 1
		.amdhsa_next_free_sgpr 0
		.amdhsa_reserve_vcc 0
		.amdhsa_reserve_flat_scratch 0
		.amdhsa_float_round_mode_32 0
		.amdhsa_float_round_mode_16_64 0
		.amdhsa_float_denorm_mode_32 3
		.amdhsa_float_denorm_mode_16_64 3
		.amdhsa_dx10_clamp 1
		.amdhsa_ieee_mode 1
		.amdhsa_fp16_overflow 0
		.amdhsa_exception_fp_ieee_invalid_op 0
		.amdhsa_exception_fp_denorm_src 0
		.amdhsa_exception_fp_ieee_div_zero 0
		.amdhsa_exception_fp_ieee_overflow 0
		.amdhsa_exception_fp_ieee_underflow 0
		.amdhsa_exception_fp_ieee_inexact 0
		.amdhsa_exception_int_div_zero 0
	.end_amdhsa_kernel
	.section	.text._ZN7rocprim17ROCPRIM_400000_NS6detail17trampoline_kernelINS0_14default_configENS1_36segmented_radix_sort_config_selectorIflEEZNS1_25segmented_radix_sort_implIS3_Lb0EPKfPfPKlPlN2at6native12_GLOBAL__N_18offset_tEEE10hipError_tPvRmT1_PNSt15iterator_traitsISK_E10value_typeET2_T3_PNSL_ISQ_E10value_typeET4_jRbjT5_SW_jjP12ihipStream_tbEUlT_E1_NS1_11comp_targetILNS1_3genE9ELNS1_11target_archE1100ELNS1_3gpuE3ELNS1_3repE0EEENS1_59segmented_radix_sort_warp_sort_small_config_static_selectorELNS0_4arch9wavefront6targetE1EEEvSK_,"axG",@progbits,_ZN7rocprim17ROCPRIM_400000_NS6detail17trampoline_kernelINS0_14default_configENS1_36segmented_radix_sort_config_selectorIflEEZNS1_25segmented_radix_sort_implIS3_Lb0EPKfPfPKlPlN2at6native12_GLOBAL__N_18offset_tEEE10hipError_tPvRmT1_PNSt15iterator_traitsISK_E10value_typeET2_T3_PNSL_ISQ_E10value_typeET4_jRbjT5_SW_jjP12ihipStream_tbEUlT_E1_NS1_11comp_targetILNS1_3genE9ELNS1_11target_archE1100ELNS1_3gpuE3ELNS1_3repE0EEENS1_59segmented_radix_sort_warp_sort_small_config_static_selectorELNS0_4arch9wavefront6targetE1EEEvSK_,comdat
.Lfunc_end1456:
	.size	_ZN7rocprim17ROCPRIM_400000_NS6detail17trampoline_kernelINS0_14default_configENS1_36segmented_radix_sort_config_selectorIflEEZNS1_25segmented_radix_sort_implIS3_Lb0EPKfPfPKlPlN2at6native12_GLOBAL__N_18offset_tEEE10hipError_tPvRmT1_PNSt15iterator_traitsISK_E10value_typeET2_T3_PNSL_ISQ_E10value_typeET4_jRbjT5_SW_jjP12ihipStream_tbEUlT_E1_NS1_11comp_targetILNS1_3genE9ELNS1_11target_archE1100ELNS1_3gpuE3ELNS1_3repE0EEENS1_59segmented_radix_sort_warp_sort_small_config_static_selectorELNS0_4arch9wavefront6targetE1EEEvSK_, .Lfunc_end1456-_ZN7rocprim17ROCPRIM_400000_NS6detail17trampoline_kernelINS0_14default_configENS1_36segmented_radix_sort_config_selectorIflEEZNS1_25segmented_radix_sort_implIS3_Lb0EPKfPfPKlPlN2at6native12_GLOBAL__N_18offset_tEEE10hipError_tPvRmT1_PNSt15iterator_traitsISK_E10value_typeET2_T3_PNSL_ISQ_E10value_typeET4_jRbjT5_SW_jjP12ihipStream_tbEUlT_E1_NS1_11comp_targetILNS1_3genE9ELNS1_11target_archE1100ELNS1_3gpuE3ELNS1_3repE0EEENS1_59segmented_radix_sort_warp_sort_small_config_static_selectorELNS0_4arch9wavefront6targetE1EEEvSK_
                                        ; -- End function
	.set _ZN7rocprim17ROCPRIM_400000_NS6detail17trampoline_kernelINS0_14default_configENS1_36segmented_radix_sort_config_selectorIflEEZNS1_25segmented_radix_sort_implIS3_Lb0EPKfPfPKlPlN2at6native12_GLOBAL__N_18offset_tEEE10hipError_tPvRmT1_PNSt15iterator_traitsISK_E10value_typeET2_T3_PNSL_ISQ_E10value_typeET4_jRbjT5_SW_jjP12ihipStream_tbEUlT_E1_NS1_11comp_targetILNS1_3genE9ELNS1_11target_archE1100ELNS1_3gpuE3ELNS1_3repE0EEENS1_59segmented_radix_sort_warp_sort_small_config_static_selectorELNS0_4arch9wavefront6targetE1EEEvSK_.num_vgpr, 0
	.set _ZN7rocprim17ROCPRIM_400000_NS6detail17trampoline_kernelINS0_14default_configENS1_36segmented_radix_sort_config_selectorIflEEZNS1_25segmented_radix_sort_implIS3_Lb0EPKfPfPKlPlN2at6native12_GLOBAL__N_18offset_tEEE10hipError_tPvRmT1_PNSt15iterator_traitsISK_E10value_typeET2_T3_PNSL_ISQ_E10value_typeET4_jRbjT5_SW_jjP12ihipStream_tbEUlT_E1_NS1_11comp_targetILNS1_3genE9ELNS1_11target_archE1100ELNS1_3gpuE3ELNS1_3repE0EEENS1_59segmented_radix_sort_warp_sort_small_config_static_selectorELNS0_4arch9wavefront6targetE1EEEvSK_.num_agpr, 0
	.set _ZN7rocprim17ROCPRIM_400000_NS6detail17trampoline_kernelINS0_14default_configENS1_36segmented_radix_sort_config_selectorIflEEZNS1_25segmented_radix_sort_implIS3_Lb0EPKfPfPKlPlN2at6native12_GLOBAL__N_18offset_tEEE10hipError_tPvRmT1_PNSt15iterator_traitsISK_E10value_typeET2_T3_PNSL_ISQ_E10value_typeET4_jRbjT5_SW_jjP12ihipStream_tbEUlT_E1_NS1_11comp_targetILNS1_3genE9ELNS1_11target_archE1100ELNS1_3gpuE3ELNS1_3repE0EEENS1_59segmented_radix_sort_warp_sort_small_config_static_selectorELNS0_4arch9wavefront6targetE1EEEvSK_.numbered_sgpr, 0
	.set _ZN7rocprim17ROCPRIM_400000_NS6detail17trampoline_kernelINS0_14default_configENS1_36segmented_radix_sort_config_selectorIflEEZNS1_25segmented_radix_sort_implIS3_Lb0EPKfPfPKlPlN2at6native12_GLOBAL__N_18offset_tEEE10hipError_tPvRmT1_PNSt15iterator_traitsISK_E10value_typeET2_T3_PNSL_ISQ_E10value_typeET4_jRbjT5_SW_jjP12ihipStream_tbEUlT_E1_NS1_11comp_targetILNS1_3genE9ELNS1_11target_archE1100ELNS1_3gpuE3ELNS1_3repE0EEENS1_59segmented_radix_sort_warp_sort_small_config_static_selectorELNS0_4arch9wavefront6targetE1EEEvSK_.num_named_barrier, 0
	.set _ZN7rocprim17ROCPRIM_400000_NS6detail17trampoline_kernelINS0_14default_configENS1_36segmented_radix_sort_config_selectorIflEEZNS1_25segmented_radix_sort_implIS3_Lb0EPKfPfPKlPlN2at6native12_GLOBAL__N_18offset_tEEE10hipError_tPvRmT1_PNSt15iterator_traitsISK_E10value_typeET2_T3_PNSL_ISQ_E10value_typeET4_jRbjT5_SW_jjP12ihipStream_tbEUlT_E1_NS1_11comp_targetILNS1_3genE9ELNS1_11target_archE1100ELNS1_3gpuE3ELNS1_3repE0EEENS1_59segmented_radix_sort_warp_sort_small_config_static_selectorELNS0_4arch9wavefront6targetE1EEEvSK_.private_seg_size, 0
	.set _ZN7rocprim17ROCPRIM_400000_NS6detail17trampoline_kernelINS0_14default_configENS1_36segmented_radix_sort_config_selectorIflEEZNS1_25segmented_radix_sort_implIS3_Lb0EPKfPfPKlPlN2at6native12_GLOBAL__N_18offset_tEEE10hipError_tPvRmT1_PNSt15iterator_traitsISK_E10value_typeET2_T3_PNSL_ISQ_E10value_typeET4_jRbjT5_SW_jjP12ihipStream_tbEUlT_E1_NS1_11comp_targetILNS1_3genE9ELNS1_11target_archE1100ELNS1_3gpuE3ELNS1_3repE0EEENS1_59segmented_radix_sort_warp_sort_small_config_static_selectorELNS0_4arch9wavefront6targetE1EEEvSK_.uses_vcc, 0
	.set _ZN7rocprim17ROCPRIM_400000_NS6detail17trampoline_kernelINS0_14default_configENS1_36segmented_radix_sort_config_selectorIflEEZNS1_25segmented_radix_sort_implIS3_Lb0EPKfPfPKlPlN2at6native12_GLOBAL__N_18offset_tEEE10hipError_tPvRmT1_PNSt15iterator_traitsISK_E10value_typeET2_T3_PNSL_ISQ_E10value_typeET4_jRbjT5_SW_jjP12ihipStream_tbEUlT_E1_NS1_11comp_targetILNS1_3genE9ELNS1_11target_archE1100ELNS1_3gpuE3ELNS1_3repE0EEENS1_59segmented_radix_sort_warp_sort_small_config_static_selectorELNS0_4arch9wavefront6targetE1EEEvSK_.uses_flat_scratch, 0
	.set _ZN7rocprim17ROCPRIM_400000_NS6detail17trampoline_kernelINS0_14default_configENS1_36segmented_radix_sort_config_selectorIflEEZNS1_25segmented_radix_sort_implIS3_Lb0EPKfPfPKlPlN2at6native12_GLOBAL__N_18offset_tEEE10hipError_tPvRmT1_PNSt15iterator_traitsISK_E10value_typeET2_T3_PNSL_ISQ_E10value_typeET4_jRbjT5_SW_jjP12ihipStream_tbEUlT_E1_NS1_11comp_targetILNS1_3genE9ELNS1_11target_archE1100ELNS1_3gpuE3ELNS1_3repE0EEENS1_59segmented_radix_sort_warp_sort_small_config_static_selectorELNS0_4arch9wavefront6targetE1EEEvSK_.has_dyn_sized_stack, 0
	.set _ZN7rocprim17ROCPRIM_400000_NS6detail17trampoline_kernelINS0_14default_configENS1_36segmented_radix_sort_config_selectorIflEEZNS1_25segmented_radix_sort_implIS3_Lb0EPKfPfPKlPlN2at6native12_GLOBAL__N_18offset_tEEE10hipError_tPvRmT1_PNSt15iterator_traitsISK_E10value_typeET2_T3_PNSL_ISQ_E10value_typeET4_jRbjT5_SW_jjP12ihipStream_tbEUlT_E1_NS1_11comp_targetILNS1_3genE9ELNS1_11target_archE1100ELNS1_3gpuE3ELNS1_3repE0EEENS1_59segmented_radix_sort_warp_sort_small_config_static_selectorELNS0_4arch9wavefront6targetE1EEEvSK_.has_recursion, 0
	.set _ZN7rocprim17ROCPRIM_400000_NS6detail17trampoline_kernelINS0_14default_configENS1_36segmented_radix_sort_config_selectorIflEEZNS1_25segmented_radix_sort_implIS3_Lb0EPKfPfPKlPlN2at6native12_GLOBAL__N_18offset_tEEE10hipError_tPvRmT1_PNSt15iterator_traitsISK_E10value_typeET2_T3_PNSL_ISQ_E10value_typeET4_jRbjT5_SW_jjP12ihipStream_tbEUlT_E1_NS1_11comp_targetILNS1_3genE9ELNS1_11target_archE1100ELNS1_3gpuE3ELNS1_3repE0EEENS1_59segmented_radix_sort_warp_sort_small_config_static_selectorELNS0_4arch9wavefront6targetE1EEEvSK_.has_indirect_call, 0
	.section	.AMDGPU.csdata,"",@progbits
; Kernel info:
; codeLenInByte = 0
; TotalNumSgprs: 4
; NumVgprs: 0
; ScratchSize: 0
; MemoryBound: 0
; FloatMode: 240
; IeeeMode: 1
; LDSByteSize: 0 bytes/workgroup (compile time only)
; SGPRBlocks: 0
; VGPRBlocks: 0
; NumSGPRsForWavesPerEU: 4
; NumVGPRsForWavesPerEU: 1
; Occupancy: 10
; WaveLimiterHint : 0
; COMPUTE_PGM_RSRC2:SCRATCH_EN: 0
; COMPUTE_PGM_RSRC2:USER_SGPR: 6
; COMPUTE_PGM_RSRC2:TRAP_HANDLER: 0
; COMPUTE_PGM_RSRC2:TGID_X_EN: 1
; COMPUTE_PGM_RSRC2:TGID_Y_EN: 0
; COMPUTE_PGM_RSRC2:TGID_Z_EN: 0
; COMPUTE_PGM_RSRC2:TIDIG_COMP_CNT: 0
	.section	.text._ZN7rocprim17ROCPRIM_400000_NS6detail17trampoline_kernelINS0_14default_configENS1_36segmented_radix_sort_config_selectorIflEEZNS1_25segmented_radix_sort_implIS3_Lb0EPKfPfPKlPlN2at6native12_GLOBAL__N_18offset_tEEE10hipError_tPvRmT1_PNSt15iterator_traitsISK_E10value_typeET2_T3_PNSL_ISQ_E10value_typeET4_jRbjT5_SW_jjP12ihipStream_tbEUlT_E1_NS1_11comp_targetILNS1_3genE8ELNS1_11target_archE1030ELNS1_3gpuE2ELNS1_3repE0EEENS1_59segmented_radix_sort_warp_sort_small_config_static_selectorELNS0_4arch9wavefront6targetE1EEEvSK_,"axG",@progbits,_ZN7rocprim17ROCPRIM_400000_NS6detail17trampoline_kernelINS0_14default_configENS1_36segmented_radix_sort_config_selectorIflEEZNS1_25segmented_radix_sort_implIS3_Lb0EPKfPfPKlPlN2at6native12_GLOBAL__N_18offset_tEEE10hipError_tPvRmT1_PNSt15iterator_traitsISK_E10value_typeET2_T3_PNSL_ISQ_E10value_typeET4_jRbjT5_SW_jjP12ihipStream_tbEUlT_E1_NS1_11comp_targetILNS1_3genE8ELNS1_11target_archE1030ELNS1_3gpuE2ELNS1_3repE0EEENS1_59segmented_radix_sort_warp_sort_small_config_static_selectorELNS0_4arch9wavefront6targetE1EEEvSK_,comdat
	.globl	_ZN7rocprim17ROCPRIM_400000_NS6detail17trampoline_kernelINS0_14default_configENS1_36segmented_radix_sort_config_selectorIflEEZNS1_25segmented_radix_sort_implIS3_Lb0EPKfPfPKlPlN2at6native12_GLOBAL__N_18offset_tEEE10hipError_tPvRmT1_PNSt15iterator_traitsISK_E10value_typeET2_T3_PNSL_ISQ_E10value_typeET4_jRbjT5_SW_jjP12ihipStream_tbEUlT_E1_NS1_11comp_targetILNS1_3genE8ELNS1_11target_archE1030ELNS1_3gpuE2ELNS1_3repE0EEENS1_59segmented_radix_sort_warp_sort_small_config_static_selectorELNS0_4arch9wavefront6targetE1EEEvSK_ ; -- Begin function _ZN7rocprim17ROCPRIM_400000_NS6detail17trampoline_kernelINS0_14default_configENS1_36segmented_radix_sort_config_selectorIflEEZNS1_25segmented_radix_sort_implIS3_Lb0EPKfPfPKlPlN2at6native12_GLOBAL__N_18offset_tEEE10hipError_tPvRmT1_PNSt15iterator_traitsISK_E10value_typeET2_T3_PNSL_ISQ_E10value_typeET4_jRbjT5_SW_jjP12ihipStream_tbEUlT_E1_NS1_11comp_targetILNS1_3genE8ELNS1_11target_archE1030ELNS1_3gpuE2ELNS1_3repE0EEENS1_59segmented_radix_sort_warp_sort_small_config_static_selectorELNS0_4arch9wavefront6targetE1EEEvSK_
	.p2align	8
	.type	_ZN7rocprim17ROCPRIM_400000_NS6detail17trampoline_kernelINS0_14default_configENS1_36segmented_radix_sort_config_selectorIflEEZNS1_25segmented_radix_sort_implIS3_Lb0EPKfPfPKlPlN2at6native12_GLOBAL__N_18offset_tEEE10hipError_tPvRmT1_PNSt15iterator_traitsISK_E10value_typeET2_T3_PNSL_ISQ_E10value_typeET4_jRbjT5_SW_jjP12ihipStream_tbEUlT_E1_NS1_11comp_targetILNS1_3genE8ELNS1_11target_archE1030ELNS1_3gpuE2ELNS1_3repE0EEENS1_59segmented_radix_sort_warp_sort_small_config_static_selectorELNS0_4arch9wavefront6targetE1EEEvSK_,@function
_ZN7rocprim17ROCPRIM_400000_NS6detail17trampoline_kernelINS0_14default_configENS1_36segmented_radix_sort_config_selectorIflEEZNS1_25segmented_radix_sort_implIS3_Lb0EPKfPfPKlPlN2at6native12_GLOBAL__N_18offset_tEEE10hipError_tPvRmT1_PNSt15iterator_traitsISK_E10value_typeET2_T3_PNSL_ISQ_E10value_typeET4_jRbjT5_SW_jjP12ihipStream_tbEUlT_E1_NS1_11comp_targetILNS1_3genE8ELNS1_11target_archE1030ELNS1_3gpuE2ELNS1_3repE0EEENS1_59segmented_radix_sort_warp_sort_small_config_static_selectorELNS0_4arch9wavefront6targetE1EEEvSK_: ; @_ZN7rocprim17ROCPRIM_400000_NS6detail17trampoline_kernelINS0_14default_configENS1_36segmented_radix_sort_config_selectorIflEEZNS1_25segmented_radix_sort_implIS3_Lb0EPKfPfPKlPlN2at6native12_GLOBAL__N_18offset_tEEE10hipError_tPvRmT1_PNSt15iterator_traitsISK_E10value_typeET2_T3_PNSL_ISQ_E10value_typeET4_jRbjT5_SW_jjP12ihipStream_tbEUlT_E1_NS1_11comp_targetILNS1_3genE8ELNS1_11target_archE1030ELNS1_3gpuE2ELNS1_3repE0EEENS1_59segmented_radix_sort_warp_sort_small_config_static_selectorELNS0_4arch9wavefront6targetE1EEEvSK_
; %bb.0:
	.section	.rodata,"a",@progbits
	.p2align	6, 0x0
	.amdhsa_kernel _ZN7rocprim17ROCPRIM_400000_NS6detail17trampoline_kernelINS0_14default_configENS1_36segmented_radix_sort_config_selectorIflEEZNS1_25segmented_radix_sort_implIS3_Lb0EPKfPfPKlPlN2at6native12_GLOBAL__N_18offset_tEEE10hipError_tPvRmT1_PNSt15iterator_traitsISK_E10value_typeET2_T3_PNSL_ISQ_E10value_typeET4_jRbjT5_SW_jjP12ihipStream_tbEUlT_E1_NS1_11comp_targetILNS1_3genE8ELNS1_11target_archE1030ELNS1_3gpuE2ELNS1_3repE0EEENS1_59segmented_radix_sort_warp_sort_small_config_static_selectorELNS0_4arch9wavefront6targetE1EEEvSK_
		.amdhsa_group_segment_fixed_size 0
		.amdhsa_private_segment_fixed_size 0
		.amdhsa_kernarg_size 88
		.amdhsa_user_sgpr_count 6
		.amdhsa_user_sgpr_private_segment_buffer 1
		.amdhsa_user_sgpr_dispatch_ptr 0
		.amdhsa_user_sgpr_queue_ptr 0
		.amdhsa_user_sgpr_kernarg_segment_ptr 1
		.amdhsa_user_sgpr_dispatch_id 0
		.amdhsa_user_sgpr_flat_scratch_init 0
		.amdhsa_user_sgpr_private_segment_size 0
		.amdhsa_uses_dynamic_stack 0
		.amdhsa_system_sgpr_private_segment_wavefront_offset 0
		.amdhsa_system_sgpr_workgroup_id_x 1
		.amdhsa_system_sgpr_workgroup_id_y 0
		.amdhsa_system_sgpr_workgroup_id_z 0
		.amdhsa_system_sgpr_workgroup_info 0
		.amdhsa_system_vgpr_workitem_id 0
		.amdhsa_next_free_vgpr 1
		.amdhsa_next_free_sgpr 0
		.amdhsa_reserve_vcc 0
		.amdhsa_reserve_flat_scratch 0
		.amdhsa_float_round_mode_32 0
		.amdhsa_float_round_mode_16_64 0
		.amdhsa_float_denorm_mode_32 3
		.amdhsa_float_denorm_mode_16_64 3
		.amdhsa_dx10_clamp 1
		.amdhsa_ieee_mode 1
		.amdhsa_fp16_overflow 0
		.amdhsa_exception_fp_ieee_invalid_op 0
		.amdhsa_exception_fp_denorm_src 0
		.amdhsa_exception_fp_ieee_div_zero 0
		.amdhsa_exception_fp_ieee_overflow 0
		.amdhsa_exception_fp_ieee_underflow 0
		.amdhsa_exception_fp_ieee_inexact 0
		.amdhsa_exception_int_div_zero 0
	.end_amdhsa_kernel
	.section	.text._ZN7rocprim17ROCPRIM_400000_NS6detail17trampoline_kernelINS0_14default_configENS1_36segmented_radix_sort_config_selectorIflEEZNS1_25segmented_radix_sort_implIS3_Lb0EPKfPfPKlPlN2at6native12_GLOBAL__N_18offset_tEEE10hipError_tPvRmT1_PNSt15iterator_traitsISK_E10value_typeET2_T3_PNSL_ISQ_E10value_typeET4_jRbjT5_SW_jjP12ihipStream_tbEUlT_E1_NS1_11comp_targetILNS1_3genE8ELNS1_11target_archE1030ELNS1_3gpuE2ELNS1_3repE0EEENS1_59segmented_radix_sort_warp_sort_small_config_static_selectorELNS0_4arch9wavefront6targetE1EEEvSK_,"axG",@progbits,_ZN7rocprim17ROCPRIM_400000_NS6detail17trampoline_kernelINS0_14default_configENS1_36segmented_radix_sort_config_selectorIflEEZNS1_25segmented_radix_sort_implIS3_Lb0EPKfPfPKlPlN2at6native12_GLOBAL__N_18offset_tEEE10hipError_tPvRmT1_PNSt15iterator_traitsISK_E10value_typeET2_T3_PNSL_ISQ_E10value_typeET4_jRbjT5_SW_jjP12ihipStream_tbEUlT_E1_NS1_11comp_targetILNS1_3genE8ELNS1_11target_archE1030ELNS1_3gpuE2ELNS1_3repE0EEENS1_59segmented_radix_sort_warp_sort_small_config_static_selectorELNS0_4arch9wavefront6targetE1EEEvSK_,comdat
.Lfunc_end1457:
	.size	_ZN7rocprim17ROCPRIM_400000_NS6detail17trampoline_kernelINS0_14default_configENS1_36segmented_radix_sort_config_selectorIflEEZNS1_25segmented_radix_sort_implIS3_Lb0EPKfPfPKlPlN2at6native12_GLOBAL__N_18offset_tEEE10hipError_tPvRmT1_PNSt15iterator_traitsISK_E10value_typeET2_T3_PNSL_ISQ_E10value_typeET4_jRbjT5_SW_jjP12ihipStream_tbEUlT_E1_NS1_11comp_targetILNS1_3genE8ELNS1_11target_archE1030ELNS1_3gpuE2ELNS1_3repE0EEENS1_59segmented_radix_sort_warp_sort_small_config_static_selectorELNS0_4arch9wavefront6targetE1EEEvSK_, .Lfunc_end1457-_ZN7rocprim17ROCPRIM_400000_NS6detail17trampoline_kernelINS0_14default_configENS1_36segmented_radix_sort_config_selectorIflEEZNS1_25segmented_radix_sort_implIS3_Lb0EPKfPfPKlPlN2at6native12_GLOBAL__N_18offset_tEEE10hipError_tPvRmT1_PNSt15iterator_traitsISK_E10value_typeET2_T3_PNSL_ISQ_E10value_typeET4_jRbjT5_SW_jjP12ihipStream_tbEUlT_E1_NS1_11comp_targetILNS1_3genE8ELNS1_11target_archE1030ELNS1_3gpuE2ELNS1_3repE0EEENS1_59segmented_radix_sort_warp_sort_small_config_static_selectorELNS0_4arch9wavefront6targetE1EEEvSK_
                                        ; -- End function
	.set _ZN7rocprim17ROCPRIM_400000_NS6detail17trampoline_kernelINS0_14default_configENS1_36segmented_radix_sort_config_selectorIflEEZNS1_25segmented_radix_sort_implIS3_Lb0EPKfPfPKlPlN2at6native12_GLOBAL__N_18offset_tEEE10hipError_tPvRmT1_PNSt15iterator_traitsISK_E10value_typeET2_T3_PNSL_ISQ_E10value_typeET4_jRbjT5_SW_jjP12ihipStream_tbEUlT_E1_NS1_11comp_targetILNS1_3genE8ELNS1_11target_archE1030ELNS1_3gpuE2ELNS1_3repE0EEENS1_59segmented_radix_sort_warp_sort_small_config_static_selectorELNS0_4arch9wavefront6targetE1EEEvSK_.num_vgpr, 0
	.set _ZN7rocprim17ROCPRIM_400000_NS6detail17trampoline_kernelINS0_14default_configENS1_36segmented_radix_sort_config_selectorIflEEZNS1_25segmented_radix_sort_implIS3_Lb0EPKfPfPKlPlN2at6native12_GLOBAL__N_18offset_tEEE10hipError_tPvRmT1_PNSt15iterator_traitsISK_E10value_typeET2_T3_PNSL_ISQ_E10value_typeET4_jRbjT5_SW_jjP12ihipStream_tbEUlT_E1_NS1_11comp_targetILNS1_3genE8ELNS1_11target_archE1030ELNS1_3gpuE2ELNS1_3repE0EEENS1_59segmented_radix_sort_warp_sort_small_config_static_selectorELNS0_4arch9wavefront6targetE1EEEvSK_.num_agpr, 0
	.set _ZN7rocprim17ROCPRIM_400000_NS6detail17trampoline_kernelINS0_14default_configENS1_36segmented_radix_sort_config_selectorIflEEZNS1_25segmented_radix_sort_implIS3_Lb0EPKfPfPKlPlN2at6native12_GLOBAL__N_18offset_tEEE10hipError_tPvRmT1_PNSt15iterator_traitsISK_E10value_typeET2_T3_PNSL_ISQ_E10value_typeET4_jRbjT5_SW_jjP12ihipStream_tbEUlT_E1_NS1_11comp_targetILNS1_3genE8ELNS1_11target_archE1030ELNS1_3gpuE2ELNS1_3repE0EEENS1_59segmented_radix_sort_warp_sort_small_config_static_selectorELNS0_4arch9wavefront6targetE1EEEvSK_.numbered_sgpr, 0
	.set _ZN7rocprim17ROCPRIM_400000_NS6detail17trampoline_kernelINS0_14default_configENS1_36segmented_radix_sort_config_selectorIflEEZNS1_25segmented_radix_sort_implIS3_Lb0EPKfPfPKlPlN2at6native12_GLOBAL__N_18offset_tEEE10hipError_tPvRmT1_PNSt15iterator_traitsISK_E10value_typeET2_T3_PNSL_ISQ_E10value_typeET4_jRbjT5_SW_jjP12ihipStream_tbEUlT_E1_NS1_11comp_targetILNS1_3genE8ELNS1_11target_archE1030ELNS1_3gpuE2ELNS1_3repE0EEENS1_59segmented_radix_sort_warp_sort_small_config_static_selectorELNS0_4arch9wavefront6targetE1EEEvSK_.num_named_barrier, 0
	.set _ZN7rocprim17ROCPRIM_400000_NS6detail17trampoline_kernelINS0_14default_configENS1_36segmented_radix_sort_config_selectorIflEEZNS1_25segmented_radix_sort_implIS3_Lb0EPKfPfPKlPlN2at6native12_GLOBAL__N_18offset_tEEE10hipError_tPvRmT1_PNSt15iterator_traitsISK_E10value_typeET2_T3_PNSL_ISQ_E10value_typeET4_jRbjT5_SW_jjP12ihipStream_tbEUlT_E1_NS1_11comp_targetILNS1_3genE8ELNS1_11target_archE1030ELNS1_3gpuE2ELNS1_3repE0EEENS1_59segmented_radix_sort_warp_sort_small_config_static_selectorELNS0_4arch9wavefront6targetE1EEEvSK_.private_seg_size, 0
	.set _ZN7rocprim17ROCPRIM_400000_NS6detail17trampoline_kernelINS0_14default_configENS1_36segmented_radix_sort_config_selectorIflEEZNS1_25segmented_radix_sort_implIS3_Lb0EPKfPfPKlPlN2at6native12_GLOBAL__N_18offset_tEEE10hipError_tPvRmT1_PNSt15iterator_traitsISK_E10value_typeET2_T3_PNSL_ISQ_E10value_typeET4_jRbjT5_SW_jjP12ihipStream_tbEUlT_E1_NS1_11comp_targetILNS1_3genE8ELNS1_11target_archE1030ELNS1_3gpuE2ELNS1_3repE0EEENS1_59segmented_radix_sort_warp_sort_small_config_static_selectorELNS0_4arch9wavefront6targetE1EEEvSK_.uses_vcc, 0
	.set _ZN7rocprim17ROCPRIM_400000_NS6detail17trampoline_kernelINS0_14default_configENS1_36segmented_radix_sort_config_selectorIflEEZNS1_25segmented_radix_sort_implIS3_Lb0EPKfPfPKlPlN2at6native12_GLOBAL__N_18offset_tEEE10hipError_tPvRmT1_PNSt15iterator_traitsISK_E10value_typeET2_T3_PNSL_ISQ_E10value_typeET4_jRbjT5_SW_jjP12ihipStream_tbEUlT_E1_NS1_11comp_targetILNS1_3genE8ELNS1_11target_archE1030ELNS1_3gpuE2ELNS1_3repE0EEENS1_59segmented_radix_sort_warp_sort_small_config_static_selectorELNS0_4arch9wavefront6targetE1EEEvSK_.uses_flat_scratch, 0
	.set _ZN7rocprim17ROCPRIM_400000_NS6detail17trampoline_kernelINS0_14default_configENS1_36segmented_radix_sort_config_selectorIflEEZNS1_25segmented_radix_sort_implIS3_Lb0EPKfPfPKlPlN2at6native12_GLOBAL__N_18offset_tEEE10hipError_tPvRmT1_PNSt15iterator_traitsISK_E10value_typeET2_T3_PNSL_ISQ_E10value_typeET4_jRbjT5_SW_jjP12ihipStream_tbEUlT_E1_NS1_11comp_targetILNS1_3genE8ELNS1_11target_archE1030ELNS1_3gpuE2ELNS1_3repE0EEENS1_59segmented_radix_sort_warp_sort_small_config_static_selectorELNS0_4arch9wavefront6targetE1EEEvSK_.has_dyn_sized_stack, 0
	.set _ZN7rocprim17ROCPRIM_400000_NS6detail17trampoline_kernelINS0_14default_configENS1_36segmented_radix_sort_config_selectorIflEEZNS1_25segmented_radix_sort_implIS3_Lb0EPKfPfPKlPlN2at6native12_GLOBAL__N_18offset_tEEE10hipError_tPvRmT1_PNSt15iterator_traitsISK_E10value_typeET2_T3_PNSL_ISQ_E10value_typeET4_jRbjT5_SW_jjP12ihipStream_tbEUlT_E1_NS1_11comp_targetILNS1_3genE8ELNS1_11target_archE1030ELNS1_3gpuE2ELNS1_3repE0EEENS1_59segmented_radix_sort_warp_sort_small_config_static_selectorELNS0_4arch9wavefront6targetE1EEEvSK_.has_recursion, 0
	.set _ZN7rocprim17ROCPRIM_400000_NS6detail17trampoline_kernelINS0_14default_configENS1_36segmented_radix_sort_config_selectorIflEEZNS1_25segmented_radix_sort_implIS3_Lb0EPKfPfPKlPlN2at6native12_GLOBAL__N_18offset_tEEE10hipError_tPvRmT1_PNSt15iterator_traitsISK_E10value_typeET2_T3_PNSL_ISQ_E10value_typeET4_jRbjT5_SW_jjP12ihipStream_tbEUlT_E1_NS1_11comp_targetILNS1_3genE8ELNS1_11target_archE1030ELNS1_3gpuE2ELNS1_3repE0EEENS1_59segmented_radix_sort_warp_sort_small_config_static_selectorELNS0_4arch9wavefront6targetE1EEEvSK_.has_indirect_call, 0
	.section	.AMDGPU.csdata,"",@progbits
; Kernel info:
; codeLenInByte = 0
; TotalNumSgprs: 4
; NumVgprs: 0
; ScratchSize: 0
; MemoryBound: 0
; FloatMode: 240
; IeeeMode: 1
; LDSByteSize: 0 bytes/workgroup (compile time only)
; SGPRBlocks: 0
; VGPRBlocks: 0
; NumSGPRsForWavesPerEU: 4
; NumVGPRsForWavesPerEU: 1
; Occupancy: 10
; WaveLimiterHint : 0
; COMPUTE_PGM_RSRC2:SCRATCH_EN: 0
; COMPUTE_PGM_RSRC2:USER_SGPR: 6
; COMPUTE_PGM_RSRC2:TRAP_HANDLER: 0
; COMPUTE_PGM_RSRC2:TGID_X_EN: 1
; COMPUTE_PGM_RSRC2:TGID_Y_EN: 0
; COMPUTE_PGM_RSRC2:TGID_Z_EN: 0
; COMPUTE_PGM_RSRC2:TIDIG_COMP_CNT: 0
	.section	.text._ZN7rocprim17ROCPRIM_400000_NS6detail17trampoline_kernelINS0_14default_configENS1_36segmented_radix_sort_config_selectorIflEEZNS1_25segmented_radix_sort_implIS3_Lb0EPKfPfPKlPlN2at6native12_GLOBAL__N_18offset_tEEE10hipError_tPvRmT1_PNSt15iterator_traitsISK_E10value_typeET2_T3_PNSL_ISQ_E10value_typeET4_jRbjT5_SW_jjP12ihipStream_tbEUlT_E2_NS1_11comp_targetILNS1_3genE0ELNS1_11target_archE4294967295ELNS1_3gpuE0ELNS1_3repE0EEENS1_30default_config_static_selectorELNS0_4arch9wavefront6targetE1EEEvSK_,"axG",@progbits,_ZN7rocprim17ROCPRIM_400000_NS6detail17trampoline_kernelINS0_14default_configENS1_36segmented_radix_sort_config_selectorIflEEZNS1_25segmented_radix_sort_implIS3_Lb0EPKfPfPKlPlN2at6native12_GLOBAL__N_18offset_tEEE10hipError_tPvRmT1_PNSt15iterator_traitsISK_E10value_typeET2_T3_PNSL_ISQ_E10value_typeET4_jRbjT5_SW_jjP12ihipStream_tbEUlT_E2_NS1_11comp_targetILNS1_3genE0ELNS1_11target_archE4294967295ELNS1_3gpuE0ELNS1_3repE0EEENS1_30default_config_static_selectorELNS0_4arch9wavefront6targetE1EEEvSK_,comdat
	.globl	_ZN7rocprim17ROCPRIM_400000_NS6detail17trampoline_kernelINS0_14default_configENS1_36segmented_radix_sort_config_selectorIflEEZNS1_25segmented_radix_sort_implIS3_Lb0EPKfPfPKlPlN2at6native12_GLOBAL__N_18offset_tEEE10hipError_tPvRmT1_PNSt15iterator_traitsISK_E10value_typeET2_T3_PNSL_ISQ_E10value_typeET4_jRbjT5_SW_jjP12ihipStream_tbEUlT_E2_NS1_11comp_targetILNS1_3genE0ELNS1_11target_archE4294967295ELNS1_3gpuE0ELNS1_3repE0EEENS1_30default_config_static_selectorELNS0_4arch9wavefront6targetE1EEEvSK_ ; -- Begin function _ZN7rocprim17ROCPRIM_400000_NS6detail17trampoline_kernelINS0_14default_configENS1_36segmented_radix_sort_config_selectorIflEEZNS1_25segmented_radix_sort_implIS3_Lb0EPKfPfPKlPlN2at6native12_GLOBAL__N_18offset_tEEE10hipError_tPvRmT1_PNSt15iterator_traitsISK_E10value_typeET2_T3_PNSL_ISQ_E10value_typeET4_jRbjT5_SW_jjP12ihipStream_tbEUlT_E2_NS1_11comp_targetILNS1_3genE0ELNS1_11target_archE4294967295ELNS1_3gpuE0ELNS1_3repE0EEENS1_30default_config_static_selectorELNS0_4arch9wavefront6targetE1EEEvSK_
	.p2align	8
	.type	_ZN7rocprim17ROCPRIM_400000_NS6detail17trampoline_kernelINS0_14default_configENS1_36segmented_radix_sort_config_selectorIflEEZNS1_25segmented_radix_sort_implIS3_Lb0EPKfPfPKlPlN2at6native12_GLOBAL__N_18offset_tEEE10hipError_tPvRmT1_PNSt15iterator_traitsISK_E10value_typeET2_T3_PNSL_ISQ_E10value_typeET4_jRbjT5_SW_jjP12ihipStream_tbEUlT_E2_NS1_11comp_targetILNS1_3genE0ELNS1_11target_archE4294967295ELNS1_3gpuE0ELNS1_3repE0EEENS1_30default_config_static_selectorELNS0_4arch9wavefront6targetE1EEEvSK_,@function
_ZN7rocprim17ROCPRIM_400000_NS6detail17trampoline_kernelINS0_14default_configENS1_36segmented_radix_sort_config_selectorIflEEZNS1_25segmented_radix_sort_implIS3_Lb0EPKfPfPKlPlN2at6native12_GLOBAL__N_18offset_tEEE10hipError_tPvRmT1_PNSt15iterator_traitsISK_E10value_typeET2_T3_PNSL_ISQ_E10value_typeET4_jRbjT5_SW_jjP12ihipStream_tbEUlT_E2_NS1_11comp_targetILNS1_3genE0ELNS1_11target_archE4294967295ELNS1_3gpuE0ELNS1_3repE0EEENS1_30default_config_static_selectorELNS0_4arch9wavefront6targetE1EEEvSK_: ; @_ZN7rocprim17ROCPRIM_400000_NS6detail17trampoline_kernelINS0_14default_configENS1_36segmented_radix_sort_config_selectorIflEEZNS1_25segmented_radix_sort_implIS3_Lb0EPKfPfPKlPlN2at6native12_GLOBAL__N_18offset_tEEE10hipError_tPvRmT1_PNSt15iterator_traitsISK_E10value_typeET2_T3_PNSL_ISQ_E10value_typeET4_jRbjT5_SW_jjP12ihipStream_tbEUlT_E2_NS1_11comp_targetILNS1_3genE0ELNS1_11target_archE4294967295ELNS1_3gpuE0ELNS1_3repE0EEENS1_30default_config_static_selectorELNS0_4arch9wavefront6targetE1EEEvSK_
; %bb.0:
	.section	.rodata,"a",@progbits
	.p2align	6, 0x0
	.amdhsa_kernel _ZN7rocprim17ROCPRIM_400000_NS6detail17trampoline_kernelINS0_14default_configENS1_36segmented_radix_sort_config_selectorIflEEZNS1_25segmented_radix_sort_implIS3_Lb0EPKfPfPKlPlN2at6native12_GLOBAL__N_18offset_tEEE10hipError_tPvRmT1_PNSt15iterator_traitsISK_E10value_typeET2_T3_PNSL_ISQ_E10value_typeET4_jRbjT5_SW_jjP12ihipStream_tbEUlT_E2_NS1_11comp_targetILNS1_3genE0ELNS1_11target_archE4294967295ELNS1_3gpuE0ELNS1_3repE0EEENS1_30default_config_static_selectorELNS0_4arch9wavefront6targetE1EEEvSK_
		.amdhsa_group_segment_fixed_size 0
		.amdhsa_private_segment_fixed_size 0
		.amdhsa_kernarg_size 80
		.amdhsa_user_sgpr_count 6
		.amdhsa_user_sgpr_private_segment_buffer 1
		.amdhsa_user_sgpr_dispatch_ptr 0
		.amdhsa_user_sgpr_queue_ptr 0
		.amdhsa_user_sgpr_kernarg_segment_ptr 1
		.amdhsa_user_sgpr_dispatch_id 0
		.amdhsa_user_sgpr_flat_scratch_init 0
		.amdhsa_user_sgpr_private_segment_size 0
		.amdhsa_uses_dynamic_stack 0
		.amdhsa_system_sgpr_private_segment_wavefront_offset 0
		.amdhsa_system_sgpr_workgroup_id_x 1
		.amdhsa_system_sgpr_workgroup_id_y 0
		.amdhsa_system_sgpr_workgroup_id_z 0
		.amdhsa_system_sgpr_workgroup_info 0
		.amdhsa_system_vgpr_workitem_id 0
		.amdhsa_next_free_vgpr 1
		.amdhsa_next_free_sgpr 0
		.amdhsa_reserve_vcc 0
		.amdhsa_reserve_flat_scratch 0
		.amdhsa_float_round_mode_32 0
		.amdhsa_float_round_mode_16_64 0
		.amdhsa_float_denorm_mode_32 3
		.amdhsa_float_denorm_mode_16_64 3
		.amdhsa_dx10_clamp 1
		.amdhsa_ieee_mode 1
		.amdhsa_fp16_overflow 0
		.amdhsa_exception_fp_ieee_invalid_op 0
		.amdhsa_exception_fp_denorm_src 0
		.amdhsa_exception_fp_ieee_div_zero 0
		.amdhsa_exception_fp_ieee_overflow 0
		.amdhsa_exception_fp_ieee_underflow 0
		.amdhsa_exception_fp_ieee_inexact 0
		.amdhsa_exception_int_div_zero 0
	.end_amdhsa_kernel
	.section	.text._ZN7rocprim17ROCPRIM_400000_NS6detail17trampoline_kernelINS0_14default_configENS1_36segmented_radix_sort_config_selectorIflEEZNS1_25segmented_radix_sort_implIS3_Lb0EPKfPfPKlPlN2at6native12_GLOBAL__N_18offset_tEEE10hipError_tPvRmT1_PNSt15iterator_traitsISK_E10value_typeET2_T3_PNSL_ISQ_E10value_typeET4_jRbjT5_SW_jjP12ihipStream_tbEUlT_E2_NS1_11comp_targetILNS1_3genE0ELNS1_11target_archE4294967295ELNS1_3gpuE0ELNS1_3repE0EEENS1_30default_config_static_selectorELNS0_4arch9wavefront6targetE1EEEvSK_,"axG",@progbits,_ZN7rocprim17ROCPRIM_400000_NS6detail17trampoline_kernelINS0_14default_configENS1_36segmented_radix_sort_config_selectorIflEEZNS1_25segmented_radix_sort_implIS3_Lb0EPKfPfPKlPlN2at6native12_GLOBAL__N_18offset_tEEE10hipError_tPvRmT1_PNSt15iterator_traitsISK_E10value_typeET2_T3_PNSL_ISQ_E10value_typeET4_jRbjT5_SW_jjP12ihipStream_tbEUlT_E2_NS1_11comp_targetILNS1_3genE0ELNS1_11target_archE4294967295ELNS1_3gpuE0ELNS1_3repE0EEENS1_30default_config_static_selectorELNS0_4arch9wavefront6targetE1EEEvSK_,comdat
.Lfunc_end1458:
	.size	_ZN7rocprim17ROCPRIM_400000_NS6detail17trampoline_kernelINS0_14default_configENS1_36segmented_radix_sort_config_selectorIflEEZNS1_25segmented_radix_sort_implIS3_Lb0EPKfPfPKlPlN2at6native12_GLOBAL__N_18offset_tEEE10hipError_tPvRmT1_PNSt15iterator_traitsISK_E10value_typeET2_T3_PNSL_ISQ_E10value_typeET4_jRbjT5_SW_jjP12ihipStream_tbEUlT_E2_NS1_11comp_targetILNS1_3genE0ELNS1_11target_archE4294967295ELNS1_3gpuE0ELNS1_3repE0EEENS1_30default_config_static_selectorELNS0_4arch9wavefront6targetE1EEEvSK_, .Lfunc_end1458-_ZN7rocprim17ROCPRIM_400000_NS6detail17trampoline_kernelINS0_14default_configENS1_36segmented_radix_sort_config_selectorIflEEZNS1_25segmented_radix_sort_implIS3_Lb0EPKfPfPKlPlN2at6native12_GLOBAL__N_18offset_tEEE10hipError_tPvRmT1_PNSt15iterator_traitsISK_E10value_typeET2_T3_PNSL_ISQ_E10value_typeET4_jRbjT5_SW_jjP12ihipStream_tbEUlT_E2_NS1_11comp_targetILNS1_3genE0ELNS1_11target_archE4294967295ELNS1_3gpuE0ELNS1_3repE0EEENS1_30default_config_static_selectorELNS0_4arch9wavefront6targetE1EEEvSK_
                                        ; -- End function
	.set _ZN7rocprim17ROCPRIM_400000_NS6detail17trampoline_kernelINS0_14default_configENS1_36segmented_radix_sort_config_selectorIflEEZNS1_25segmented_radix_sort_implIS3_Lb0EPKfPfPKlPlN2at6native12_GLOBAL__N_18offset_tEEE10hipError_tPvRmT1_PNSt15iterator_traitsISK_E10value_typeET2_T3_PNSL_ISQ_E10value_typeET4_jRbjT5_SW_jjP12ihipStream_tbEUlT_E2_NS1_11comp_targetILNS1_3genE0ELNS1_11target_archE4294967295ELNS1_3gpuE0ELNS1_3repE0EEENS1_30default_config_static_selectorELNS0_4arch9wavefront6targetE1EEEvSK_.num_vgpr, 0
	.set _ZN7rocprim17ROCPRIM_400000_NS6detail17trampoline_kernelINS0_14default_configENS1_36segmented_radix_sort_config_selectorIflEEZNS1_25segmented_radix_sort_implIS3_Lb0EPKfPfPKlPlN2at6native12_GLOBAL__N_18offset_tEEE10hipError_tPvRmT1_PNSt15iterator_traitsISK_E10value_typeET2_T3_PNSL_ISQ_E10value_typeET4_jRbjT5_SW_jjP12ihipStream_tbEUlT_E2_NS1_11comp_targetILNS1_3genE0ELNS1_11target_archE4294967295ELNS1_3gpuE0ELNS1_3repE0EEENS1_30default_config_static_selectorELNS0_4arch9wavefront6targetE1EEEvSK_.num_agpr, 0
	.set _ZN7rocprim17ROCPRIM_400000_NS6detail17trampoline_kernelINS0_14default_configENS1_36segmented_radix_sort_config_selectorIflEEZNS1_25segmented_radix_sort_implIS3_Lb0EPKfPfPKlPlN2at6native12_GLOBAL__N_18offset_tEEE10hipError_tPvRmT1_PNSt15iterator_traitsISK_E10value_typeET2_T3_PNSL_ISQ_E10value_typeET4_jRbjT5_SW_jjP12ihipStream_tbEUlT_E2_NS1_11comp_targetILNS1_3genE0ELNS1_11target_archE4294967295ELNS1_3gpuE0ELNS1_3repE0EEENS1_30default_config_static_selectorELNS0_4arch9wavefront6targetE1EEEvSK_.numbered_sgpr, 0
	.set _ZN7rocprim17ROCPRIM_400000_NS6detail17trampoline_kernelINS0_14default_configENS1_36segmented_radix_sort_config_selectorIflEEZNS1_25segmented_radix_sort_implIS3_Lb0EPKfPfPKlPlN2at6native12_GLOBAL__N_18offset_tEEE10hipError_tPvRmT1_PNSt15iterator_traitsISK_E10value_typeET2_T3_PNSL_ISQ_E10value_typeET4_jRbjT5_SW_jjP12ihipStream_tbEUlT_E2_NS1_11comp_targetILNS1_3genE0ELNS1_11target_archE4294967295ELNS1_3gpuE0ELNS1_3repE0EEENS1_30default_config_static_selectorELNS0_4arch9wavefront6targetE1EEEvSK_.num_named_barrier, 0
	.set _ZN7rocprim17ROCPRIM_400000_NS6detail17trampoline_kernelINS0_14default_configENS1_36segmented_radix_sort_config_selectorIflEEZNS1_25segmented_radix_sort_implIS3_Lb0EPKfPfPKlPlN2at6native12_GLOBAL__N_18offset_tEEE10hipError_tPvRmT1_PNSt15iterator_traitsISK_E10value_typeET2_T3_PNSL_ISQ_E10value_typeET4_jRbjT5_SW_jjP12ihipStream_tbEUlT_E2_NS1_11comp_targetILNS1_3genE0ELNS1_11target_archE4294967295ELNS1_3gpuE0ELNS1_3repE0EEENS1_30default_config_static_selectorELNS0_4arch9wavefront6targetE1EEEvSK_.private_seg_size, 0
	.set _ZN7rocprim17ROCPRIM_400000_NS6detail17trampoline_kernelINS0_14default_configENS1_36segmented_radix_sort_config_selectorIflEEZNS1_25segmented_radix_sort_implIS3_Lb0EPKfPfPKlPlN2at6native12_GLOBAL__N_18offset_tEEE10hipError_tPvRmT1_PNSt15iterator_traitsISK_E10value_typeET2_T3_PNSL_ISQ_E10value_typeET4_jRbjT5_SW_jjP12ihipStream_tbEUlT_E2_NS1_11comp_targetILNS1_3genE0ELNS1_11target_archE4294967295ELNS1_3gpuE0ELNS1_3repE0EEENS1_30default_config_static_selectorELNS0_4arch9wavefront6targetE1EEEvSK_.uses_vcc, 0
	.set _ZN7rocprim17ROCPRIM_400000_NS6detail17trampoline_kernelINS0_14default_configENS1_36segmented_radix_sort_config_selectorIflEEZNS1_25segmented_radix_sort_implIS3_Lb0EPKfPfPKlPlN2at6native12_GLOBAL__N_18offset_tEEE10hipError_tPvRmT1_PNSt15iterator_traitsISK_E10value_typeET2_T3_PNSL_ISQ_E10value_typeET4_jRbjT5_SW_jjP12ihipStream_tbEUlT_E2_NS1_11comp_targetILNS1_3genE0ELNS1_11target_archE4294967295ELNS1_3gpuE0ELNS1_3repE0EEENS1_30default_config_static_selectorELNS0_4arch9wavefront6targetE1EEEvSK_.uses_flat_scratch, 0
	.set _ZN7rocprim17ROCPRIM_400000_NS6detail17trampoline_kernelINS0_14default_configENS1_36segmented_radix_sort_config_selectorIflEEZNS1_25segmented_radix_sort_implIS3_Lb0EPKfPfPKlPlN2at6native12_GLOBAL__N_18offset_tEEE10hipError_tPvRmT1_PNSt15iterator_traitsISK_E10value_typeET2_T3_PNSL_ISQ_E10value_typeET4_jRbjT5_SW_jjP12ihipStream_tbEUlT_E2_NS1_11comp_targetILNS1_3genE0ELNS1_11target_archE4294967295ELNS1_3gpuE0ELNS1_3repE0EEENS1_30default_config_static_selectorELNS0_4arch9wavefront6targetE1EEEvSK_.has_dyn_sized_stack, 0
	.set _ZN7rocprim17ROCPRIM_400000_NS6detail17trampoline_kernelINS0_14default_configENS1_36segmented_radix_sort_config_selectorIflEEZNS1_25segmented_radix_sort_implIS3_Lb0EPKfPfPKlPlN2at6native12_GLOBAL__N_18offset_tEEE10hipError_tPvRmT1_PNSt15iterator_traitsISK_E10value_typeET2_T3_PNSL_ISQ_E10value_typeET4_jRbjT5_SW_jjP12ihipStream_tbEUlT_E2_NS1_11comp_targetILNS1_3genE0ELNS1_11target_archE4294967295ELNS1_3gpuE0ELNS1_3repE0EEENS1_30default_config_static_selectorELNS0_4arch9wavefront6targetE1EEEvSK_.has_recursion, 0
	.set _ZN7rocprim17ROCPRIM_400000_NS6detail17trampoline_kernelINS0_14default_configENS1_36segmented_radix_sort_config_selectorIflEEZNS1_25segmented_radix_sort_implIS3_Lb0EPKfPfPKlPlN2at6native12_GLOBAL__N_18offset_tEEE10hipError_tPvRmT1_PNSt15iterator_traitsISK_E10value_typeET2_T3_PNSL_ISQ_E10value_typeET4_jRbjT5_SW_jjP12ihipStream_tbEUlT_E2_NS1_11comp_targetILNS1_3genE0ELNS1_11target_archE4294967295ELNS1_3gpuE0ELNS1_3repE0EEENS1_30default_config_static_selectorELNS0_4arch9wavefront6targetE1EEEvSK_.has_indirect_call, 0
	.section	.AMDGPU.csdata,"",@progbits
; Kernel info:
; codeLenInByte = 0
; TotalNumSgprs: 4
; NumVgprs: 0
; ScratchSize: 0
; MemoryBound: 0
; FloatMode: 240
; IeeeMode: 1
; LDSByteSize: 0 bytes/workgroup (compile time only)
; SGPRBlocks: 0
; VGPRBlocks: 0
; NumSGPRsForWavesPerEU: 4
; NumVGPRsForWavesPerEU: 1
; Occupancy: 10
; WaveLimiterHint : 0
; COMPUTE_PGM_RSRC2:SCRATCH_EN: 0
; COMPUTE_PGM_RSRC2:USER_SGPR: 6
; COMPUTE_PGM_RSRC2:TRAP_HANDLER: 0
; COMPUTE_PGM_RSRC2:TGID_X_EN: 1
; COMPUTE_PGM_RSRC2:TGID_Y_EN: 0
; COMPUTE_PGM_RSRC2:TGID_Z_EN: 0
; COMPUTE_PGM_RSRC2:TIDIG_COMP_CNT: 0
	.section	.text._ZN7rocprim17ROCPRIM_400000_NS6detail17trampoline_kernelINS0_14default_configENS1_36segmented_radix_sort_config_selectorIflEEZNS1_25segmented_radix_sort_implIS3_Lb0EPKfPfPKlPlN2at6native12_GLOBAL__N_18offset_tEEE10hipError_tPvRmT1_PNSt15iterator_traitsISK_E10value_typeET2_T3_PNSL_ISQ_E10value_typeET4_jRbjT5_SW_jjP12ihipStream_tbEUlT_E2_NS1_11comp_targetILNS1_3genE5ELNS1_11target_archE942ELNS1_3gpuE9ELNS1_3repE0EEENS1_30default_config_static_selectorELNS0_4arch9wavefront6targetE1EEEvSK_,"axG",@progbits,_ZN7rocprim17ROCPRIM_400000_NS6detail17trampoline_kernelINS0_14default_configENS1_36segmented_radix_sort_config_selectorIflEEZNS1_25segmented_radix_sort_implIS3_Lb0EPKfPfPKlPlN2at6native12_GLOBAL__N_18offset_tEEE10hipError_tPvRmT1_PNSt15iterator_traitsISK_E10value_typeET2_T3_PNSL_ISQ_E10value_typeET4_jRbjT5_SW_jjP12ihipStream_tbEUlT_E2_NS1_11comp_targetILNS1_3genE5ELNS1_11target_archE942ELNS1_3gpuE9ELNS1_3repE0EEENS1_30default_config_static_selectorELNS0_4arch9wavefront6targetE1EEEvSK_,comdat
	.globl	_ZN7rocprim17ROCPRIM_400000_NS6detail17trampoline_kernelINS0_14default_configENS1_36segmented_radix_sort_config_selectorIflEEZNS1_25segmented_radix_sort_implIS3_Lb0EPKfPfPKlPlN2at6native12_GLOBAL__N_18offset_tEEE10hipError_tPvRmT1_PNSt15iterator_traitsISK_E10value_typeET2_T3_PNSL_ISQ_E10value_typeET4_jRbjT5_SW_jjP12ihipStream_tbEUlT_E2_NS1_11comp_targetILNS1_3genE5ELNS1_11target_archE942ELNS1_3gpuE9ELNS1_3repE0EEENS1_30default_config_static_selectorELNS0_4arch9wavefront6targetE1EEEvSK_ ; -- Begin function _ZN7rocprim17ROCPRIM_400000_NS6detail17trampoline_kernelINS0_14default_configENS1_36segmented_radix_sort_config_selectorIflEEZNS1_25segmented_radix_sort_implIS3_Lb0EPKfPfPKlPlN2at6native12_GLOBAL__N_18offset_tEEE10hipError_tPvRmT1_PNSt15iterator_traitsISK_E10value_typeET2_T3_PNSL_ISQ_E10value_typeET4_jRbjT5_SW_jjP12ihipStream_tbEUlT_E2_NS1_11comp_targetILNS1_3genE5ELNS1_11target_archE942ELNS1_3gpuE9ELNS1_3repE0EEENS1_30default_config_static_selectorELNS0_4arch9wavefront6targetE1EEEvSK_
	.p2align	8
	.type	_ZN7rocprim17ROCPRIM_400000_NS6detail17trampoline_kernelINS0_14default_configENS1_36segmented_radix_sort_config_selectorIflEEZNS1_25segmented_radix_sort_implIS3_Lb0EPKfPfPKlPlN2at6native12_GLOBAL__N_18offset_tEEE10hipError_tPvRmT1_PNSt15iterator_traitsISK_E10value_typeET2_T3_PNSL_ISQ_E10value_typeET4_jRbjT5_SW_jjP12ihipStream_tbEUlT_E2_NS1_11comp_targetILNS1_3genE5ELNS1_11target_archE942ELNS1_3gpuE9ELNS1_3repE0EEENS1_30default_config_static_selectorELNS0_4arch9wavefront6targetE1EEEvSK_,@function
_ZN7rocprim17ROCPRIM_400000_NS6detail17trampoline_kernelINS0_14default_configENS1_36segmented_radix_sort_config_selectorIflEEZNS1_25segmented_radix_sort_implIS3_Lb0EPKfPfPKlPlN2at6native12_GLOBAL__N_18offset_tEEE10hipError_tPvRmT1_PNSt15iterator_traitsISK_E10value_typeET2_T3_PNSL_ISQ_E10value_typeET4_jRbjT5_SW_jjP12ihipStream_tbEUlT_E2_NS1_11comp_targetILNS1_3genE5ELNS1_11target_archE942ELNS1_3gpuE9ELNS1_3repE0EEENS1_30default_config_static_selectorELNS0_4arch9wavefront6targetE1EEEvSK_: ; @_ZN7rocprim17ROCPRIM_400000_NS6detail17trampoline_kernelINS0_14default_configENS1_36segmented_radix_sort_config_selectorIflEEZNS1_25segmented_radix_sort_implIS3_Lb0EPKfPfPKlPlN2at6native12_GLOBAL__N_18offset_tEEE10hipError_tPvRmT1_PNSt15iterator_traitsISK_E10value_typeET2_T3_PNSL_ISQ_E10value_typeET4_jRbjT5_SW_jjP12ihipStream_tbEUlT_E2_NS1_11comp_targetILNS1_3genE5ELNS1_11target_archE942ELNS1_3gpuE9ELNS1_3repE0EEENS1_30default_config_static_selectorELNS0_4arch9wavefront6targetE1EEEvSK_
; %bb.0:
	.section	.rodata,"a",@progbits
	.p2align	6, 0x0
	.amdhsa_kernel _ZN7rocprim17ROCPRIM_400000_NS6detail17trampoline_kernelINS0_14default_configENS1_36segmented_radix_sort_config_selectorIflEEZNS1_25segmented_radix_sort_implIS3_Lb0EPKfPfPKlPlN2at6native12_GLOBAL__N_18offset_tEEE10hipError_tPvRmT1_PNSt15iterator_traitsISK_E10value_typeET2_T3_PNSL_ISQ_E10value_typeET4_jRbjT5_SW_jjP12ihipStream_tbEUlT_E2_NS1_11comp_targetILNS1_3genE5ELNS1_11target_archE942ELNS1_3gpuE9ELNS1_3repE0EEENS1_30default_config_static_selectorELNS0_4arch9wavefront6targetE1EEEvSK_
		.amdhsa_group_segment_fixed_size 0
		.amdhsa_private_segment_fixed_size 0
		.amdhsa_kernarg_size 80
		.amdhsa_user_sgpr_count 6
		.amdhsa_user_sgpr_private_segment_buffer 1
		.amdhsa_user_sgpr_dispatch_ptr 0
		.amdhsa_user_sgpr_queue_ptr 0
		.amdhsa_user_sgpr_kernarg_segment_ptr 1
		.amdhsa_user_sgpr_dispatch_id 0
		.amdhsa_user_sgpr_flat_scratch_init 0
		.amdhsa_user_sgpr_private_segment_size 0
		.amdhsa_uses_dynamic_stack 0
		.amdhsa_system_sgpr_private_segment_wavefront_offset 0
		.amdhsa_system_sgpr_workgroup_id_x 1
		.amdhsa_system_sgpr_workgroup_id_y 0
		.amdhsa_system_sgpr_workgroup_id_z 0
		.amdhsa_system_sgpr_workgroup_info 0
		.amdhsa_system_vgpr_workitem_id 0
		.amdhsa_next_free_vgpr 1
		.amdhsa_next_free_sgpr 0
		.amdhsa_reserve_vcc 0
		.amdhsa_reserve_flat_scratch 0
		.amdhsa_float_round_mode_32 0
		.amdhsa_float_round_mode_16_64 0
		.amdhsa_float_denorm_mode_32 3
		.amdhsa_float_denorm_mode_16_64 3
		.amdhsa_dx10_clamp 1
		.amdhsa_ieee_mode 1
		.amdhsa_fp16_overflow 0
		.amdhsa_exception_fp_ieee_invalid_op 0
		.amdhsa_exception_fp_denorm_src 0
		.amdhsa_exception_fp_ieee_div_zero 0
		.amdhsa_exception_fp_ieee_overflow 0
		.amdhsa_exception_fp_ieee_underflow 0
		.amdhsa_exception_fp_ieee_inexact 0
		.amdhsa_exception_int_div_zero 0
	.end_amdhsa_kernel
	.section	.text._ZN7rocprim17ROCPRIM_400000_NS6detail17trampoline_kernelINS0_14default_configENS1_36segmented_radix_sort_config_selectorIflEEZNS1_25segmented_radix_sort_implIS3_Lb0EPKfPfPKlPlN2at6native12_GLOBAL__N_18offset_tEEE10hipError_tPvRmT1_PNSt15iterator_traitsISK_E10value_typeET2_T3_PNSL_ISQ_E10value_typeET4_jRbjT5_SW_jjP12ihipStream_tbEUlT_E2_NS1_11comp_targetILNS1_3genE5ELNS1_11target_archE942ELNS1_3gpuE9ELNS1_3repE0EEENS1_30default_config_static_selectorELNS0_4arch9wavefront6targetE1EEEvSK_,"axG",@progbits,_ZN7rocprim17ROCPRIM_400000_NS6detail17trampoline_kernelINS0_14default_configENS1_36segmented_radix_sort_config_selectorIflEEZNS1_25segmented_radix_sort_implIS3_Lb0EPKfPfPKlPlN2at6native12_GLOBAL__N_18offset_tEEE10hipError_tPvRmT1_PNSt15iterator_traitsISK_E10value_typeET2_T3_PNSL_ISQ_E10value_typeET4_jRbjT5_SW_jjP12ihipStream_tbEUlT_E2_NS1_11comp_targetILNS1_3genE5ELNS1_11target_archE942ELNS1_3gpuE9ELNS1_3repE0EEENS1_30default_config_static_selectorELNS0_4arch9wavefront6targetE1EEEvSK_,comdat
.Lfunc_end1459:
	.size	_ZN7rocprim17ROCPRIM_400000_NS6detail17trampoline_kernelINS0_14default_configENS1_36segmented_radix_sort_config_selectorIflEEZNS1_25segmented_radix_sort_implIS3_Lb0EPKfPfPKlPlN2at6native12_GLOBAL__N_18offset_tEEE10hipError_tPvRmT1_PNSt15iterator_traitsISK_E10value_typeET2_T3_PNSL_ISQ_E10value_typeET4_jRbjT5_SW_jjP12ihipStream_tbEUlT_E2_NS1_11comp_targetILNS1_3genE5ELNS1_11target_archE942ELNS1_3gpuE9ELNS1_3repE0EEENS1_30default_config_static_selectorELNS0_4arch9wavefront6targetE1EEEvSK_, .Lfunc_end1459-_ZN7rocprim17ROCPRIM_400000_NS6detail17trampoline_kernelINS0_14default_configENS1_36segmented_radix_sort_config_selectorIflEEZNS1_25segmented_radix_sort_implIS3_Lb0EPKfPfPKlPlN2at6native12_GLOBAL__N_18offset_tEEE10hipError_tPvRmT1_PNSt15iterator_traitsISK_E10value_typeET2_T3_PNSL_ISQ_E10value_typeET4_jRbjT5_SW_jjP12ihipStream_tbEUlT_E2_NS1_11comp_targetILNS1_3genE5ELNS1_11target_archE942ELNS1_3gpuE9ELNS1_3repE0EEENS1_30default_config_static_selectorELNS0_4arch9wavefront6targetE1EEEvSK_
                                        ; -- End function
	.set _ZN7rocprim17ROCPRIM_400000_NS6detail17trampoline_kernelINS0_14default_configENS1_36segmented_radix_sort_config_selectorIflEEZNS1_25segmented_radix_sort_implIS3_Lb0EPKfPfPKlPlN2at6native12_GLOBAL__N_18offset_tEEE10hipError_tPvRmT1_PNSt15iterator_traitsISK_E10value_typeET2_T3_PNSL_ISQ_E10value_typeET4_jRbjT5_SW_jjP12ihipStream_tbEUlT_E2_NS1_11comp_targetILNS1_3genE5ELNS1_11target_archE942ELNS1_3gpuE9ELNS1_3repE0EEENS1_30default_config_static_selectorELNS0_4arch9wavefront6targetE1EEEvSK_.num_vgpr, 0
	.set _ZN7rocprim17ROCPRIM_400000_NS6detail17trampoline_kernelINS0_14default_configENS1_36segmented_radix_sort_config_selectorIflEEZNS1_25segmented_radix_sort_implIS3_Lb0EPKfPfPKlPlN2at6native12_GLOBAL__N_18offset_tEEE10hipError_tPvRmT1_PNSt15iterator_traitsISK_E10value_typeET2_T3_PNSL_ISQ_E10value_typeET4_jRbjT5_SW_jjP12ihipStream_tbEUlT_E2_NS1_11comp_targetILNS1_3genE5ELNS1_11target_archE942ELNS1_3gpuE9ELNS1_3repE0EEENS1_30default_config_static_selectorELNS0_4arch9wavefront6targetE1EEEvSK_.num_agpr, 0
	.set _ZN7rocprim17ROCPRIM_400000_NS6detail17trampoline_kernelINS0_14default_configENS1_36segmented_radix_sort_config_selectorIflEEZNS1_25segmented_radix_sort_implIS3_Lb0EPKfPfPKlPlN2at6native12_GLOBAL__N_18offset_tEEE10hipError_tPvRmT1_PNSt15iterator_traitsISK_E10value_typeET2_T3_PNSL_ISQ_E10value_typeET4_jRbjT5_SW_jjP12ihipStream_tbEUlT_E2_NS1_11comp_targetILNS1_3genE5ELNS1_11target_archE942ELNS1_3gpuE9ELNS1_3repE0EEENS1_30default_config_static_selectorELNS0_4arch9wavefront6targetE1EEEvSK_.numbered_sgpr, 0
	.set _ZN7rocprim17ROCPRIM_400000_NS6detail17trampoline_kernelINS0_14default_configENS1_36segmented_radix_sort_config_selectorIflEEZNS1_25segmented_radix_sort_implIS3_Lb0EPKfPfPKlPlN2at6native12_GLOBAL__N_18offset_tEEE10hipError_tPvRmT1_PNSt15iterator_traitsISK_E10value_typeET2_T3_PNSL_ISQ_E10value_typeET4_jRbjT5_SW_jjP12ihipStream_tbEUlT_E2_NS1_11comp_targetILNS1_3genE5ELNS1_11target_archE942ELNS1_3gpuE9ELNS1_3repE0EEENS1_30default_config_static_selectorELNS0_4arch9wavefront6targetE1EEEvSK_.num_named_barrier, 0
	.set _ZN7rocprim17ROCPRIM_400000_NS6detail17trampoline_kernelINS0_14default_configENS1_36segmented_radix_sort_config_selectorIflEEZNS1_25segmented_radix_sort_implIS3_Lb0EPKfPfPKlPlN2at6native12_GLOBAL__N_18offset_tEEE10hipError_tPvRmT1_PNSt15iterator_traitsISK_E10value_typeET2_T3_PNSL_ISQ_E10value_typeET4_jRbjT5_SW_jjP12ihipStream_tbEUlT_E2_NS1_11comp_targetILNS1_3genE5ELNS1_11target_archE942ELNS1_3gpuE9ELNS1_3repE0EEENS1_30default_config_static_selectorELNS0_4arch9wavefront6targetE1EEEvSK_.private_seg_size, 0
	.set _ZN7rocprim17ROCPRIM_400000_NS6detail17trampoline_kernelINS0_14default_configENS1_36segmented_radix_sort_config_selectorIflEEZNS1_25segmented_radix_sort_implIS3_Lb0EPKfPfPKlPlN2at6native12_GLOBAL__N_18offset_tEEE10hipError_tPvRmT1_PNSt15iterator_traitsISK_E10value_typeET2_T3_PNSL_ISQ_E10value_typeET4_jRbjT5_SW_jjP12ihipStream_tbEUlT_E2_NS1_11comp_targetILNS1_3genE5ELNS1_11target_archE942ELNS1_3gpuE9ELNS1_3repE0EEENS1_30default_config_static_selectorELNS0_4arch9wavefront6targetE1EEEvSK_.uses_vcc, 0
	.set _ZN7rocprim17ROCPRIM_400000_NS6detail17trampoline_kernelINS0_14default_configENS1_36segmented_radix_sort_config_selectorIflEEZNS1_25segmented_radix_sort_implIS3_Lb0EPKfPfPKlPlN2at6native12_GLOBAL__N_18offset_tEEE10hipError_tPvRmT1_PNSt15iterator_traitsISK_E10value_typeET2_T3_PNSL_ISQ_E10value_typeET4_jRbjT5_SW_jjP12ihipStream_tbEUlT_E2_NS1_11comp_targetILNS1_3genE5ELNS1_11target_archE942ELNS1_3gpuE9ELNS1_3repE0EEENS1_30default_config_static_selectorELNS0_4arch9wavefront6targetE1EEEvSK_.uses_flat_scratch, 0
	.set _ZN7rocprim17ROCPRIM_400000_NS6detail17trampoline_kernelINS0_14default_configENS1_36segmented_radix_sort_config_selectorIflEEZNS1_25segmented_radix_sort_implIS3_Lb0EPKfPfPKlPlN2at6native12_GLOBAL__N_18offset_tEEE10hipError_tPvRmT1_PNSt15iterator_traitsISK_E10value_typeET2_T3_PNSL_ISQ_E10value_typeET4_jRbjT5_SW_jjP12ihipStream_tbEUlT_E2_NS1_11comp_targetILNS1_3genE5ELNS1_11target_archE942ELNS1_3gpuE9ELNS1_3repE0EEENS1_30default_config_static_selectorELNS0_4arch9wavefront6targetE1EEEvSK_.has_dyn_sized_stack, 0
	.set _ZN7rocprim17ROCPRIM_400000_NS6detail17trampoline_kernelINS0_14default_configENS1_36segmented_radix_sort_config_selectorIflEEZNS1_25segmented_radix_sort_implIS3_Lb0EPKfPfPKlPlN2at6native12_GLOBAL__N_18offset_tEEE10hipError_tPvRmT1_PNSt15iterator_traitsISK_E10value_typeET2_T3_PNSL_ISQ_E10value_typeET4_jRbjT5_SW_jjP12ihipStream_tbEUlT_E2_NS1_11comp_targetILNS1_3genE5ELNS1_11target_archE942ELNS1_3gpuE9ELNS1_3repE0EEENS1_30default_config_static_selectorELNS0_4arch9wavefront6targetE1EEEvSK_.has_recursion, 0
	.set _ZN7rocprim17ROCPRIM_400000_NS6detail17trampoline_kernelINS0_14default_configENS1_36segmented_radix_sort_config_selectorIflEEZNS1_25segmented_radix_sort_implIS3_Lb0EPKfPfPKlPlN2at6native12_GLOBAL__N_18offset_tEEE10hipError_tPvRmT1_PNSt15iterator_traitsISK_E10value_typeET2_T3_PNSL_ISQ_E10value_typeET4_jRbjT5_SW_jjP12ihipStream_tbEUlT_E2_NS1_11comp_targetILNS1_3genE5ELNS1_11target_archE942ELNS1_3gpuE9ELNS1_3repE0EEENS1_30default_config_static_selectorELNS0_4arch9wavefront6targetE1EEEvSK_.has_indirect_call, 0
	.section	.AMDGPU.csdata,"",@progbits
; Kernel info:
; codeLenInByte = 0
; TotalNumSgprs: 4
; NumVgprs: 0
; ScratchSize: 0
; MemoryBound: 0
; FloatMode: 240
; IeeeMode: 1
; LDSByteSize: 0 bytes/workgroup (compile time only)
; SGPRBlocks: 0
; VGPRBlocks: 0
; NumSGPRsForWavesPerEU: 4
; NumVGPRsForWavesPerEU: 1
; Occupancy: 10
; WaveLimiterHint : 0
; COMPUTE_PGM_RSRC2:SCRATCH_EN: 0
; COMPUTE_PGM_RSRC2:USER_SGPR: 6
; COMPUTE_PGM_RSRC2:TRAP_HANDLER: 0
; COMPUTE_PGM_RSRC2:TGID_X_EN: 1
; COMPUTE_PGM_RSRC2:TGID_Y_EN: 0
; COMPUTE_PGM_RSRC2:TGID_Z_EN: 0
; COMPUTE_PGM_RSRC2:TIDIG_COMP_CNT: 0
	.section	.text._ZN7rocprim17ROCPRIM_400000_NS6detail17trampoline_kernelINS0_14default_configENS1_36segmented_radix_sort_config_selectorIflEEZNS1_25segmented_radix_sort_implIS3_Lb0EPKfPfPKlPlN2at6native12_GLOBAL__N_18offset_tEEE10hipError_tPvRmT1_PNSt15iterator_traitsISK_E10value_typeET2_T3_PNSL_ISQ_E10value_typeET4_jRbjT5_SW_jjP12ihipStream_tbEUlT_E2_NS1_11comp_targetILNS1_3genE4ELNS1_11target_archE910ELNS1_3gpuE8ELNS1_3repE0EEENS1_30default_config_static_selectorELNS0_4arch9wavefront6targetE1EEEvSK_,"axG",@progbits,_ZN7rocprim17ROCPRIM_400000_NS6detail17trampoline_kernelINS0_14default_configENS1_36segmented_radix_sort_config_selectorIflEEZNS1_25segmented_radix_sort_implIS3_Lb0EPKfPfPKlPlN2at6native12_GLOBAL__N_18offset_tEEE10hipError_tPvRmT1_PNSt15iterator_traitsISK_E10value_typeET2_T3_PNSL_ISQ_E10value_typeET4_jRbjT5_SW_jjP12ihipStream_tbEUlT_E2_NS1_11comp_targetILNS1_3genE4ELNS1_11target_archE910ELNS1_3gpuE8ELNS1_3repE0EEENS1_30default_config_static_selectorELNS0_4arch9wavefront6targetE1EEEvSK_,comdat
	.globl	_ZN7rocprim17ROCPRIM_400000_NS6detail17trampoline_kernelINS0_14default_configENS1_36segmented_radix_sort_config_selectorIflEEZNS1_25segmented_radix_sort_implIS3_Lb0EPKfPfPKlPlN2at6native12_GLOBAL__N_18offset_tEEE10hipError_tPvRmT1_PNSt15iterator_traitsISK_E10value_typeET2_T3_PNSL_ISQ_E10value_typeET4_jRbjT5_SW_jjP12ihipStream_tbEUlT_E2_NS1_11comp_targetILNS1_3genE4ELNS1_11target_archE910ELNS1_3gpuE8ELNS1_3repE0EEENS1_30default_config_static_selectorELNS0_4arch9wavefront6targetE1EEEvSK_ ; -- Begin function _ZN7rocprim17ROCPRIM_400000_NS6detail17trampoline_kernelINS0_14default_configENS1_36segmented_radix_sort_config_selectorIflEEZNS1_25segmented_radix_sort_implIS3_Lb0EPKfPfPKlPlN2at6native12_GLOBAL__N_18offset_tEEE10hipError_tPvRmT1_PNSt15iterator_traitsISK_E10value_typeET2_T3_PNSL_ISQ_E10value_typeET4_jRbjT5_SW_jjP12ihipStream_tbEUlT_E2_NS1_11comp_targetILNS1_3genE4ELNS1_11target_archE910ELNS1_3gpuE8ELNS1_3repE0EEENS1_30default_config_static_selectorELNS0_4arch9wavefront6targetE1EEEvSK_
	.p2align	8
	.type	_ZN7rocprim17ROCPRIM_400000_NS6detail17trampoline_kernelINS0_14default_configENS1_36segmented_radix_sort_config_selectorIflEEZNS1_25segmented_radix_sort_implIS3_Lb0EPKfPfPKlPlN2at6native12_GLOBAL__N_18offset_tEEE10hipError_tPvRmT1_PNSt15iterator_traitsISK_E10value_typeET2_T3_PNSL_ISQ_E10value_typeET4_jRbjT5_SW_jjP12ihipStream_tbEUlT_E2_NS1_11comp_targetILNS1_3genE4ELNS1_11target_archE910ELNS1_3gpuE8ELNS1_3repE0EEENS1_30default_config_static_selectorELNS0_4arch9wavefront6targetE1EEEvSK_,@function
_ZN7rocprim17ROCPRIM_400000_NS6detail17trampoline_kernelINS0_14default_configENS1_36segmented_radix_sort_config_selectorIflEEZNS1_25segmented_radix_sort_implIS3_Lb0EPKfPfPKlPlN2at6native12_GLOBAL__N_18offset_tEEE10hipError_tPvRmT1_PNSt15iterator_traitsISK_E10value_typeET2_T3_PNSL_ISQ_E10value_typeET4_jRbjT5_SW_jjP12ihipStream_tbEUlT_E2_NS1_11comp_targetILNS1_3genE4ELNS1_11target_archE910ELNS1_3gpuE8ELNS1_3repE0EEENS1_30default_config_static_selectorELNS0_4arch9wavefront6targetE1EEEvSK_: ; @_ZN7rocprim17ROCPRIM_400000_NS6detail17trampoline_kernelINS0_14default_configENS1_36segmented_radix_sort_config_selectorIflEEZNS1_25segmented_radix_sort_implIS3_Lb0EPKfPfPKlPlN2at6native12_GLOBAL__N_18offset_tEEE10hipError_tPvRmT1_PNSt15iterator_traitsISK_E10value_typeET2_T3_PNSL_ISQ_E10value_typeET4_jRbjT5_SW_jjP12ihipStream_tbEUlT_E2_NS1_11comp_targetILNS1_3genE4ELNS1_11target_archE910ELNS1_3gpuE8ELNS1_3repE0EEENS1_30default_config_static_selectorELNS0_4arch9wavefront6targetE1EEEvSK_
; %bb.0:
	.section	.rodata,"a",@progbits
	.p2align	6, 0x0
	.amdhsa_kernel _ZN7rocprim17ROCPRIM_400000_NS6detail17trampoline_kernelINS0_14default_configENS1_36segmented_radix_sort_config_selectorIflEEZNS1_25segmented_radix_sort_implIS3_Lb0EPKfPfPKlPlN2at6native12_GLOBAL__N_18offset_tEEE10hipError_tPvRmT1_PNSt15iterator_traitsISK_E10value_typeET2_T3_PNSL_ISQ_E10value_typeET4_jRbjT5_SW_jjP12ihipStream_tbEUlT_E2_NS1_11comp_targetILNS1_3genE4ELNS1_11target_archE910ELNS1_3gpuE8ELNS1_3repE0EEENS1_30default_config_static_selectorELNS0_4arch9wavefront6targetE1EEEvSK_
		.amdhsa_group_segment_fixed_size 0
		.amdhsa_private_segment_fixed_size 0
		.amdhsa_kernarg_size 80
		.amdhsa_user_sgpr_count 6
		.amdhsa_user_sgpr_private_segment_buffer 1
		.amdhsa_user_sgpr_dispatch_ptr 0
		.amdhsa_user_sgpr_queue_ptr 0
		.amdhsa_user_sgpr_kernarg_segment_ptr 1
		.amdhsa_user_sgpr_dispatch_id 0
		.amdhsa_user_sgpr_flat_scratch_init 0
		.amdhsa_user_sgpr_private_segment_size 0
		.amdhsa_uses_dynamic_stack 0
		.amdhsa_system_sgpr_private_segment_wavefront_offset 0
		.amdhsa_system_sgpr_workgroup_id_x 1
		.amdhsa_system_sgpr_workgroup_id_y 0
		.amdhsa_system_sgpr_workgroup_id_z 0
		.amdhsa_system_sgpr_workgroup_info 0
		.amdhsa_system_vgpr_workitem_id 0
		.amdhsa_next_free_vgpr 1
		.amdhsa_next_free_sgpr 0
		.amdhsa_reserve_vcc 0
		.amdhsa_reserve_flat_scratch 0
		.amdhsa_float_round_mode_32 0
		.amdhsa_float_round_mode_16_64 0
		.amdhsa_float_denorm_mode_32 3
		.amdhsa_float_denorm_mode_16_64 3
		.amdhsa_dx10_clamp 1
		.amdhsa_ieee_mode 1
		.amdhsa_fp16_overflow 0
		.amdhsa_exception_fp_ieee_invalid_op 0
		.amdhsa_exception_fp_denorm_src 0
		.amdhsa_exception_fp_ieee_div_zero 0
		.amdhsa_exception_fp_ieee_overflow 0
		.amdhsa_exception_fp_ieee_underflow 0
		.amdhsa_exception_fp_ieee_inexact 0
		.amdhsa_exception_int_div_zero 0
	.end_amdhsa_kernel
	.section	.text._ZN7rocprim17ROCPRIM_400000_NS6detail17trampoline_kernelINS0_14default_configENS1_36segmented_radix_sort_config_selectorIflEEZNS1_25segmented_radix_sort_implIS3_Lb0EPKfPfPKlPlN2at6native12_GLOBAL__N_18offset_tEEE10hipError_tPvRmT1_PNSt15iterator_traitsISK_E10value_typeET2_T3_PNSL_ISQ_E10value_typeET4_jRbjT5_SW_jjP12ihipStream_tbEUlT_E2_NS1_11comp_targetILNS1_3genE4ELNS1_11target_archE910ELNS1_3gpuE8ELNS1_3repE0EEENS1_30default_config_static_selectorELNS0_4arch9wavefront6targetE1EEEvSK_,"axG",@progbits,_ZN7rocprim17ROCPRIM_400000_NS6detail17trampoline_kernelINS0_14default_configENS1_36segmented_radix_sort_config_selectorIflEEZNS1_25segmented_radix_sort_implIS3_Lb0EPKfPfPKlPlN2at6native12_GLOBAL__N_18offset_tEEE10hipError_tPvRmT1_PNSt15iterator_traitsISK_E10value_typeET2_T3_PNSL_ISQ_E10value_typeET4_jRbjT5_SW_jjP12ihipStream_tbEUlT_E2_NS1_11comp_targetILNS1_3genE4ELNS1_11target_archE910ELNS1_3gpuE8ELNS1_3repE0EEENS1_30default_config_static_selectorELNS0_4arch9wavefront6targetE1EEEvSK_,comdat
.Lfunc_end1460:
	.size	_ZN7rocprim17ROCPRIM_400000_NS6detail17trampoline_kernelINS0_14default_configENS1_36segmented_radix_sort_config_selectorIflEEZNS1_25segmented_radix_sort_implIS3_Lb0EPKfPfPKlPlN2at6native12_GLOBAL__N_18offset_tEEE10hipError_tPvRmT1_PNSt15iterator_traitsISK_E10value_typeET2_T3_PNSL_ISQ_E10value_typeET4_jRbjT5_SW_jjP12ihipStream_tbEUlT_E2_NS1_11comp_targetILNS1_3genE4ELNS1_11target_archE910ELNS1_3gpuE8ELNS1_3repE0EEENS1_30default_config_static_selectorELNS0_4arch9wavefront6targetE1EEEvSK_, .Lfunc_end1460-_ZN7rocprim17ROCPRIM_400000_NS6detail17trampoline_kernelINS0_14default_configENS1_36segmented_radix_sort_config_selectorIflEEZNS1_25segmented_radix_sort_implIS3_Lb0EPKfPfPKlPlN2at6native12_GLOBAL__N_18offset_tEEE10hipError_tPvRmT1_PNSt15iterator_traitsISK_E10value_typeET2_T3_PNSL_ISQ_E10value_typeET4_jRbjT5_SW_jjP12ihipStream_tbEUlT_E2_NS1_11comp_targetILNS1_3genE4ELNS1_11target_archE910ELNS1_3gpuE8ELNS1_3repE0EEENS1_30default_config_static_selectorELNS0_4arch9wavefront6targetE1EEEvSK_
                                        ; -- End function
	.set _ZN7rocprim17ROCPRIM_400000_NS6detail17trampoline_kernelINS0_14default_configENS1_36segmented_radix_sort_config_selectorIflEEZNS1_25segmented_radix_sort_implIS3_Lb0EPKfPfPKlPlN2at6native12_GLOBAL__N_18offset_tEEE10hipError_tPvRmT1_PNSt15iterator_traitsISK_E10value_typeET2_T3_PNSL_ISQ_E10value_typeET4_jRbjT5_SW_jjP12ihipStream_tbEUlT_E2_NS1_11comp_targetILNS1_3genE4ELNS1_11target_archE910ELNS1_3gpuE8ELNS1_3repE0EEENS1_30default_config_static_selectorELNS0_4arch9wavefront6targetE1EEEvSK_.num_vgpr, 0
	.set _ZN7rocprim17ROCPRIM_400000_NS6detail17trampoline_kernelINS0_14default_configENS1_36segmented_radix_sort_config_selectorIflEEZNS1_25segmented_radix_sort_implIS3_Lb0EPKfPfPKlPlN2at6native12_GLOBAL__N_18offset_tEEE10hipError_tPvRmT1_PNSt15iterator_traitsISK_E10value_typeET2_T3_PNSL_ISQ_E10value_typeET4_jRbjT5_SW_jjP12ihipStream_tbEUlT_E2_NS1_11comp_targetILNS1_3genE4ELNS1_11target_archE910ELNS1_3gpuE8ELNS1_3repE0EEENS1_30default_config_static_selectorELNS0_4arch9wavefront6targetE1EEEvSK_.num_agpr, 0
	.set _ZN7rocprim17ROCPRIM_400000_NS6detail17trampoline_kernelINS0_14default_configENS1_36segmented_radix_sort_config_selectorIflEEZNS1_25segmented_radix_sort_implIS3_Lb0EPKfPfPKlPlN2at6native12_GLOBAL__N_18offset_tEEE10hipError_tPvRmT1_PNSt15iterator_traitsISK_E10value_typeET2_T3_PNSL_ISQ_E10value_typeET4_jRbjT5_SW_jjP12ihipStream_tbEUlT_E2_NS1_11comp_targetILNS1_3genE4ELNS1_11target_archE910ELNS1_3gpuE8ELNS1_3repE0EEENS1_30default_config_static_selectorELNS0_4arch9wavefront6targetE1EEEvSK_.numbered_sgpr, 0
	.set _ZN7rocprim17ROCPRIM_400000_NS6detail17trampoline_kernelINS0_14default_configENS1_36segmented_radix_sort_config_selectorIflEEZNS1_25segmented_radix_sort_implIS3_Lb0EPKfPfPKlPlN2at6native12_GLOBAL__N_18offset_tEEE10hipError_tPvRmT1_PNSt15iterator_traitsISK_E10value_typeET2_T3_PNSL_ISQ_E10value_typeET4_jRbjT5_SW_jjP12ihipStream_tbEUlT_E2_NS1_11comp_targetILNS1_3genE4ELNS1_11target_archE910ELNS1_3gpuE8ELNS1_3repE0EEENS1_30default_config_static_selectorELNS0_4arch9wavefront6targetE1EEEvSK_.num_named_barrier, 0
	.set _ZN7rocprim17ROCPRIM_400000_NS6detail17trampoline_kernelINS0_14default_configENS1_36segmented_radix_sort_config_selectorIflEEZNS1_25segmented_radix_sort_implIS3_Lb0EPKfPfPKlPlN2at6native12_GLOBAL__N_18offset_tEEE10hipError_tPvRmT1_PNSt15iterator_traitsISK_E10value_typeET2_T3_PNSL_ISQ_E10value_typeET4_jRbjT5_SW_jjP12ihipStream_tbEUlT_E2_NS1_11comp_targetILNS1_3genE4ELNS1_11target_archE910ELNS1_3gpuE8ELNS1_3repE0EEENS1_30default_config_static_selectorELNS0_4arch9wavefront6targetE1EEEvSK_.private_seg_size, 0
	.set _ZN7rocprim17ROCPRIM_400000_NS6detail17trampoline_kernelINS0_14default_configENS1_36segmented_radix_sort_config_selectorIflEEZNS1_25segmented_radix_sort_implIS3_Lb0EPKfPfPKlPlN2at6native12_GLOBAL__N_18offset_tEEE10hipError_tPvRmT1_PNSt15iterator_traitsISK_E10value_typeET2_T3_PNSL_ISQ_E10value_typeET4_jRbjT5_SW_jjP12ihipStream_tbEUlT_E2_NS1_11comp_targetILNS1_3genE4ELNS1_11target_archE910ELNS1_3gpuE8ELNS1_3repE0EEENS1_30default_config_static_selectorELNS0_4arch9wavefront6targetE1EEEvSK_.uses_vcc, 0
	.set _ZN7rocprim17ROCPRIM_400000_NS6detail17trampoline_kernelINS0_14default_configENS1_36segmented_radix_sort_config_selectorIflEEZNS1_25segmented_radix_sort_implIS3_Lb0EPKfPfPKlPlN2at6native12_GLOBAL__N_18offset_tEEE10hipError_tPvRmT1_PNSt15iterator_traitsISK_E10value_typeET2_T3_PNSL_ISQ_E10value_typeET4_jRbjT5_SW_jjP12ihipStream_tbEUlT_E2_NS1_11comp_targetILNS1_3genE4ELNS1_11target_archE910ELNS1_3gpuE8ELNS1_3repE0EEENS1_30default_config_static_selectorELNS0_4arch9wavefront6targetE1EEEvSK_.uses_flat_scratch, 0
	.set _ZN7rocprim17ROCPRIM_400000_NS6detail17trampoline_kernelINS0_14default_configENS1_36segmented_radix_sort_config_selectorIflEEZNS1_25segmented_radix_sort_implIS3_Lb0EPKfPfPKlPlN2at6native12_GLOBAL__N_18offset_tEEE10hipError_tPvRmT1_PNSt15iterator_traitsISK_E10value_typeET2_T3_PNSL_ISQ_E10value_typeET4_jRbjT5_SW_jjP12ihipStream_tbEUlT_E2_NS1_11comp_targetILNS1_3genE4ELNS1_11target_archE910ELNS1_3gpuE8ELNS1_3repE0EEENS1_30default_config_static_selectorELNS0_4arch9wavefront6targetE1EEEvSK_.has_dyn_sized_stack, 0
	.set _ZN7rocprim17ROCPRIM_400000_NS6detail17trampoline_kernelINS0_14default_configENS1_36segmented_radix_sort_config_selectorIflEEZNS1_25segmented_radix_sort_implIS3_Lb0EPKfPfPKlPlN2at6native12_GLOBAL__N_18offset_tEEE10hipError_tPvRmT1_PNSt15iterator_traitsISK_E10value_typeET2_T3_PNSL_ISQ_E10value_typeET4_jRbjT5_SW_jjP12ihipStream_tbEUlT_E2_NS1_11comp_targetILNS1_3genE4ELNS1_11target_archE910ELNS1_3gpuE8ELNS1_3repE0EEENS1_30default_config_static_selectorELNS0_4arch9wavefront6targetE1EEEvSK_.has_recursion, 0
	.set _ZN7rocprim17ROCPRIM_400000_NS6detail17trampoline_kernelINS0_14default_configENS1_36segmented_radix_sort_config_selectorIflEEZNS1_25segmented_radix_sort_implIS3_Lb0EPKfPfPKlPlN2at6native12_GLOBAL__N_18offset_tEEE10hipError_tPvRmT1_PNSt15iterator_traitsISK_E10value_typeET2_T3_PNSL_ISQ_E10value_typeET4_jRbjT5_SW_jjP12ihipStream_tbEUlT_E2_NS1_11comp_targetILNS1_3genE4ELNS1_11target_archE910ELNS1_3gpuE8ELNS1_3repE0EEENS1_30default_config_static_selectorELNS0_4arch9wavefront6targetE1EEEvSK_.has_indirect_call, 0
	.section	.AMDGPU.csdata,"",@progbits
; Kernel info:
; codeLenInByte = 0
; TotalNumSgprs: 4
; NumVgprs: 0
; ScratchSize: 0
; MemoryBound: 0
; FloatMode: 240
; IeeeMode: 1
; LDSByteSize: 0 bytes/workgroup (compile time only)
; SGPRBlocks: 0
; VGPRBlocks: 0
; NumSGPRsForWavesPerEU: 4
; NumVGPRsForWavesPerEU: 1
; Occupancy: 10
; WaveLimiterHint : 0
; COMPUTE_PGM_RSRC2:SCRATCH_EN: 0
; COMPUTE_PGM_RSRC2:USER_SGPR: 6
; COMPUTE_PGM_RSRC2:TRAP_HANDLER: 0
; COMPUTE_PGM_RSRC2:TGID_X_EN: 1
; COMPUTE_PGM_RSRC2:TGID_Y_EN: 0
; COMPUTE_PGM_RSRC2:TGID_Z_EN: 0
; COMPUTE_PGM_RSRC2:TIDIG_COMP_CNT: 0
	.section	.text._ZN7rocprim17ROCPRIM_400000_NS6detail17trampoline_kernelINS0_14default_configENS1_36segmented_radix_sort_config_selectorIflEEZNS1_25segmented_radix_sort_implIS3_Lb0EPKfPfPKlPlN2at6native12_GLOBAL__N_18offset_tEEE10hipError_tPvRmT1_PNSt15iterator_traitsISK_E10value_typeET2_T3_PNSL_ISQ_E10value_typeET4_jRbjT5_SW_jjP12ihipStream_tbEUlT_E2_NS1_11comp_targetILNS1_3genE3ELNS1_11target_archE908ELNS1_3gpuE7ELNS1_3repE0EEENS1_30default_config_static_selectorELNS0_4arch9wavefront6targetE1EEEvSK_,"axG",@progbits,_ZN7rocprim17ROCPRIM_400000_NS6detail17trampoline_kernelINS0_14default_configENS1_36segmented_radix_sort_config_selectorIflEEZNS1_25segmented_radix_sort_implIS3_Lb0EPKfPfPKlPlN2at6native12_GLOBAL__N_18offset_tEEE10hipError_tPvRmT1_PNSt15iterator_traitsISK_E10value_typeET2_T3_PNSL_ISQ_E10value_typeET4_jRbjT5_SW_jjP12ihipStream_tbEUlT_E2_NS1_11comp_targetILNS1_3genE3ELNS1_11target_archE908ELNS1_3gpuE7ELNS1_3repE0EEENS1_30default_config_static_selectorELNS0_4arch9wavefront6targetE1EEEvSK_,comdat
	.globl	_ZN7rocprim17ROCPRIM_400000_NS6detail17trampoline_kernelINS0_14default_configENS1_36segmented_radix_sort_config_selectorIflEEZNS1_25segmented_radix_sort_implIS3_Lb0EPKfPfPKlPlN2at6native12_GLOBAL__N_18offset_tEEE10hipError_tPvRmT1_PNSt15iterator_traitsISK_E10value_typeET2_T3_PNSL_ISQ_E10value_typeET4_jRbjT5_SW_jjP12ihipStream_tbEUlT_E2_NS1_11comp_targetILNS1_3genE3ELNS1_11target_archE908ELNS1_3gpuE7ELNS1_3repE0EEENS1_30default_config_static_selectorELNS0_4arch9wavefront6targetE1EEEvSK_ ; -- Begin function _ZN7rocprim17ROCPRIM_400000_NS6detail17trampoline_kernelINS0_14default_configENS1_36segmented_radix_sort_config_selectorIflEEZNS1_25segmented_radix_sort_implIS3_Lb0EPKfPfPKlPlN2at6native12_GLOBAL__N_18offset_tEEE10hipError_tPvRmT1_PNSt15iterator_traitsISK_E10value_typeET2_T3_PNSL_ISQ_E10value_typeET4_jRbjT5_SW_jjP12ihipStream_tbEUlT_E2_NS1_11comp_targetILNS1_3genE3ELNS1_11target_archE908ELNS1_3gpuE7ELNS1_3repE0EEENS1_30default_config_static_selectorELNS0_4arch9wavefront6targetE1EEEvSK_
	.p2align	8
	.type	_ZN7rocprim17ROCPRIM_400000_NS6detail17trampoline_kernelINS0_14default_configENS1_36segmented_radix_sort_config_selectorIflEEZNS1_25segmented_radix_sort_implIS3_Lb0EPKfPfPKlPlN2at6native12_GLOBAL__N_18offset_tEEE10hipError_tPvRmT1_PNSt15iterator_traitsISK_E10value_typeET2_T3_PNSL_ISQ_E10value_typeET4_jRbjT5_SW_jjP12ihipStream_tbEUlT_E2_NS1_11comp_targetILNS1_3genE3ELNS1_11target_archE908ELNS1_3gpuE7ELNS1_3repE0EEENS1_30default_config_static_selectorELNS0_4arch9wavefront6targetE1EEEvSK_,@function
_ZN7rocprim17ROCPRIM_400000_NS6detail17trampoline_kernelINS0_14default_configENS1_36segmented_radix_sort_config_selectorIflEEZNS1_25segmented_radix_sort_implIS3_Lb0EPKfPfPKlPlN2at6native12_GLOBAL__N_18offset_tEEE10hipError_tPvRmT1_PNSt15iterator_traitsISK_E10value_typeET2_T3_PNSL_ISQ_E10value_typeET4_jRbjT5_SW_jjP12ihipStream_tbEUlT_E2_NS1_11comp_targetILNS1_3genE3ELNS1_11target_archE908ELNS1_3gpuE7ELNS1_3repE0EEENS1_30default_config_static_selectorELNS0_4arch9wavefront6targetE1EEEvSK_: ; @_ZN7rocprim17ROCPRIM_400000_NS6detail17trampoline_kernelINS0_14default_configENS1_36segmented_radix_sort_config_selectorIflEEZNS1_25segmented_radix_sort_implIS3_Lb0EPKfPfPKlPlN2at6native12_GLOBAL__N_18offset_tEEE10hipError_tPvRmT1_PNSt15iterator_traitsISK_E10value_typeET2_T3_PNSL_ISQ_E10value_typeET4_jRbjT5_SW_jjP12ihipStream_tbEUlT_E2_NS1_11comp_targetILNS1_3genE3ELNS1_11target_archE908ELNS1_3gpuE7ELNS1_3repE0EEENS1_30default_config_static_selectorELNS0_4arch9wavefront6targetE1EEEvSK_
; %bb.0:
	.section	.rodata,"a",@progbits
	.p2align	6, 0x0
	.amdhsa_kernel _ZN7rocprim17ROCPRIM_400000_NS6detail17trampoline_kernelINS0_14default_configENS1_36segmented_radix_sort_config_selectorIflEEZNS1_25segmented_radix_sort_implIS3_Lb0EPKfPfPKlPlN2at6native12_GLOBAL__N_18offset_tEEE10hipError_tPvRmT1_PNSt15iterator_traitsISK_E10value_typeET2_T3_PNSL_ISQ_E10value_typeET4_jRbjT5_SW_jjP12ihipStream_tbEUlT_E2_NS1_11comp_targetILNS1_3genE3ELNS1_11target_archE908ELNS1_3gpuE7ELNS1_3repE0EEENS1_30default_config_static_selectorELNS0_4arch9wavefront6targetE1EEEvSK_
		.amdhsa_group_segment_fixed_size 0
		.amdhsa_private_segment_fixed_size 0
		.amdhsa_kernarg_size 80
		.amdhsa_user_sgpr_count 6
		.amdhsa_user_sgpr_private_segment_buffer 1
		.amdhsa_user_sgpr_dispatch_ptr 0
		.amdhsa_user_sgpr_queue_ptr 0
		.amdhsa_user_sgpr_kernarg_segment_ptr 1
		.amdhsa_user_sgpr_dispatch_id 0
		.amdhsa_user_sgpr_flat_scratch_init 0
		.amdhsa_user_sgpr_private_segment_size 0
		.amdhsa_uses_dynamic_stack 0
		.amdhsa_system_sgpr_private_segment_wavefront_offset 0
		.amdhsa_system_sgpr_workgroup_id_x 1
		.amdhsa_system_sgpr_workgroup_id_y 0
		.amdhsa_system_sgpr_workgroup_id_z 0
		.amdhsa_system_sgpr_workgroup_info 0
		.amdhsa_system_vgpr_workitem_id 0
		.amdhsa_next_free_vgpr 1
		.amdhsa_next_free_sgpr 0
		.amdhsa_reserve_vcc 0
		.amdhsa_reserve_flat_scratch 0
		.amdhsa_float_round_mode_32 0
		.amdhsa_float_round_mode_16_64 0
		.amdhsa_float_denorm_mode_32 3
		.amdhsa_float_denorm_mode_16_64 3
		.amdhsa_dx10_clamp 1
		.amdhsa_ieee_mode 1
		.amdhsa_fp16_overflow 0
		.amdhsa_exception_fp_ieee_invalid_op 0
		.amdhsa_exception_fp_denorm_src 0
		.amdhsa_exception_fp_ieee_div_zero 0
		.amdhsa_exception_fp_ieee_overflow 0
		.amdhsa_exception_fp_ieee_underflow 0
		.amdhsa_exception_fp_ieee_inexact 0
		.amdhsa_exception_int_div_zero 0
	.end_amdhsa_kernel
	.section	.text._ZN7rocprim17ROCPRIM_400000_NS6detail17trampoline_kernelINS0_14default_configENS1_36segmented_radix_sort_config_selectorIflEEZNS1_25segmented_radix_sort_implIS3_Lb0EPKfPfPKlPlN2at6native12_GLOBAL__N_18offset_tEEE10hipError_tPvRmT1_PNSt15iterator_traitsISK_E10value_typeET2_T3_PNSL_ISQ_E10value_typeET4_jRbjT5_SW_jjP12ihipStream_tbEUlT_E2_NS1_11comp_targetILNS1_3genE3ELNS1_11target_archE908ELNS1_3gpuE7ELNS1_3repE0EEENS1_30default_config_static_selectorELNS0_4arch9wavefront6targetE1EEEvSK_,"axG",@progbits,_ZN7rocprim17ROCPRIM_400000_NS6detail17trampoline_kernelINS0_14default_configENS1_36segmented_radix_sort_config_selectorIflEEZNS1_25segmented_radix_sort_implIS3_Lb0EPKfPfPKlPlN2at6native12_GLOBAL__N_18offset_tEEE10hipError_tPvRmT1_PNSt15iterator_traitsISK_E10value_typeET2_T3_PNSL_ISQ_E10value_typeET4_jRbjT5_SW_jjP12ihipStream_tbEUlT_E2_NS1_11comp_targetILNS1_3genE3ELNS1_11target_archE908ELNS1_3gpuE7ELNS1_3repE0EEENS1_30default_config_static_selectorELNS0_4arch9wavefront6targetE1EEEvSK_,comdat
.Lfunc_end1461:
	.size	_ZN7rocprim17ROCPRIM_400000_NS6detail17trampoline_kernelINS0_14default_configENS1_36segmented_radix_sort_config_selectorIflEEZNS1_25segmented_radix_sort_implIS3_Lb0EPKfPfPKlPlN2at6native12_GLOBAL__N_18offset_tEEE10hipError_tPvRmT1_PNSt15iterator_traitsISK_E10value_typeET2_T3_PNSL_ISQ_E10value_typeET4_jRbjT5_SW_jjP12ihipStream_tbEUlT_E2_NS1_11comp_targetILNS1_3genE3ELNS1_11target_archE908ELNS1_3gpuE7ELNS1_3repE0EEENS1_30default_config_static_selectorELNS0_4arch9wavefront6targetE1EEEvSK_, .Lfunc_end1461-_ZN7rocprim17ROCPRIM_400000_NS6detail17trampoline_kernelINS0_14default_configENS1_36segmented_radix_sort_config_selectorIflEEZNS1_25segmented_radix_sort_implIS3_Lb0EPKfPfPKlPlN2at6native12_GLOBAL__N_18offset_tEEE10hipError_tPvRmT1_PNSt15iterator_traitsISK_E10value_typeET2_T3_PNSL_ISQ_E10value_typeET4_jRbjT5_SW_jjP12ihipStream_tbEUlT_E2_NS1_11comp_targetILNS1_3genE3ELNS1_11target_archE908ELNS1_3gpuE7ELNS1_3repE0EEENS1_30default_config_static_selectorELNS0_4arch9wavefront6targetE1EEEvSK_
                                        ; -- End function
	.set _ZN7rocprim17ROCPRIM_400000_NS6detail17trampoline_kernelINS0_14default_configENS1_36segmented_radix_sort_config_selectorIflEEZNS1_25segmented_radix_sort_implIS3_Lb0EPKfPfPKlPlN2at6native12_GLOBAL__N_18offset_tEEE10hipError_tPvRmT1_PNSt15iterator_traitsISK_E10value_typeET2_T3_PNSL_ISQ_E10value_typeET4_jRbjT5_SW_jjP12ihipStream_tbEUlT_E2_NS1_11comp_targetILNS1_3genE3ELNS1_11target_archE908ELNS1_3gpuE7ELNS1_3repE0EEENS1_30default_config_static_selectorELNS0_4arch9wavefront6targetE1EEEvSK_.num_vgpr, 0
	.set _ZN7rocprim17ROCPRIM_400000_NS6detail17trampoline_kernelINS0_14default_configENS1_36segmented_radix_sort_config_selectorIflEEZNS1_25segmented_radix_sort_implIS3_Lb0EPKfPfPKlPlN2at6native12_GLOBAL__N_18offset_tEEE10hipError_tPvRmT1_PNSt15iterator_traitsISK_E10value_typeET2_T3_PNSL_ISQ_E10value_typeET4_jRbjT5_SW_jjP12ihipStream_tbEUlT_E2_NS1_11comp_targetILNS1_3genE3ELNS1_11target_archE908ELNS1_3gpuE7ELNS1_3repE0EEENS1_30default_config_static_selectorELNS0_4arch9wavefront6targetE1EEEvSK_.num_agpr, 0
	.set _ZN7rocprim17ROCPRIM_400000_NS6detail17trampoline_kernelINS0_14default_configENS1_36segmented_radix_sort_config_selectorIflEEZNS1_25segmented_radix_sort_implIS3_Lb0EPKfPfPKlPlN2at6native12_GLOBAL__N_18offset_tEEE10hipError_tPvRmT1_PNSt15iterator_traitsISK_E10value_typeET2_T3_PNSL_ISQ_E10value_typeET4_jRbjT5_SW_jjP12ihipStream_tbEUlT_E2_NS1_11comp_targetILNS1_3genE3ELNS1_11target_archE908ELNS1_3gpuE7ELNS1_3repE0EEENS1_30default_config_static_selectorELNS0_4arch9wavefront6targetE1EEEvSK_.numbered_sgpr, 0
	.set _ZN7rocprim17ROCPRIM_400000_NS6detail17trampoline_kernelINS0_14default_configENS1_36segmented_radix_sort_config_selectorIflEEZNS1_25segmented_radix_sort_implIS3_Lb0EPKfPfPKlPlN2at6native12_GLOBAL__N_18offset_tEEE10hipError_tPvRmT1_PNSt15iterator_traitsISK_E10value_typeET2_T3_PNSL_ISQ_E10value_typeET4_jRbjT5_SW_jjP12ihipStream_tbEUlT_E2_NS1_11comp_targetILNS1_3genE3ELNS1_11target_archE908ELNS1_3gpuE7ELNS1_3repE0EEENS1_30default_config_static_selectorELNS0_4arch9wavefront6targetE1EEEvSK_.num_named_barrier, 0
	.set _ZN7rocprim17ROCPRIM_400000_NS6detail17trampoline_kernelINS0_14default_configENS1_36segmented_radix_sort_config_selectorIflEEZNS1_25segmented_radix_sort_implIS3_Lb0EPKfPfPKlPlN2at6native12_GLOBAL__N_18offset_tEEE10hipError_tPvRmT1_PNSt15iterator_traitsISK_E10value_typeET2_T3_PNSL_ISQ_E10value_typeET4_jRbjT5_SW_jjP12ihipStream_tbEUlT_E2_NS1_11comp_targetILNS1_3genE3ELNS1_11target_archE908ELNS1_3gpuE7ELNS1_3repE0EEENS1_30default_config_static_selectorELNS0_4arch9wavefront6targetE1EEEvSK_.private_seg_size, 0
	.set _ZN7rocprim17ROCPRIM_400000_NS6detail17trampoline_kernelINS0_14default_configENS1_36segmented_radix_sort_config_selectorIflEEZNS1_25segmented_radix_sort_implIS3_Lb0EPKfPfPKlPlN2at6native12_GLOBAL__N_18offset_tEEE10hipError_tPvRmT1_PNSt15iterator_traitsISK_E10value_typeET2_T3_PNSL_ISQ_E10value_typeET4_jRbjT5_SW_jjP12ihipStream_tbEUlT_E2_NS1_11comp_targetILNS1_3genE3ELNS1_11target_archE908ELNS1_3gpuE7ELNS1_3repE0EEENS1_30default_config_static_selectorELNS0_4arch9wavefront6targetE1EEEvSK_.uses_vcc, 0
	.set _ZN7rocprim17ROCPRIM_400000_NS6detail17trampoline_kernelINS0_14default_configENS1_36segmented_radix_sort_config_selectorIflEEZNS1_25segmented_radix_sort_implIS3_Lb0EPKfPfPKlPlN2at6native12_GLOBAL__N_18offset_tEEE10hipError_tPvRmT1_PNSt15iterator_traitsISK_E10value_typeET2_T3_PNSL_ISQ_E10value_typeET4_jRbjT5_SW_jjP12ihipStream_tbEUlT_E2_NS1_11comp_targetILNS1_3genE3ELNS1_11target_archE908ELNS1_3gpuE7ELNS1_3repE0EEENS1_30default_config_static_selectorELNS0_4arch9wavefront6targetE1EEEvSK_.uses_flat_scratch, 0
	.set _ZN7rocprim17ROCPRIM_400000_NS6detail17trampoline_kernelINS0_14default_configENS1_36segmented_radix_sort_config_selectorIflEEZNS1_25segmented_radix_sort_implIS3_Lb0EPKfPfPKlPlN2at6native12_GLOBAL__N_18offset_tEEE10hipError_tPvRmT1_PNSt15iterator_traitsISK_E10value_typeET2_T3_PNSL_ISQ_E10value_typeET4_jRbjT5_SW_jjP12ihipStream_tbEUlT_E2_NS1_11comp_targetILNS1_3genE3ELNS1_11target_archE908ELNS1_3gpuE7ELNS1_3repE0EEENS1_30default_config_static_selectorELNS0_4arch9wavefront6targetE1EEEvSK_.has_dyn_sized_stack, 0
	.set _ZN7rocprim17ROCPRIM_400000_NS6detail17trampoline_kernelINS0_14default_configENS1_36segmented_radix_sort_config_selectorIflEEZNS1_25segmented_radix_sort_implIS3_Lb0EPKfPfPKlPlN2at6native12_GLOBAL__N_18offset_tEEE10hipError_tPvRmT1_PNSt15iterator_traitsISK_E10value_typeET2_T3_PNSL_ISQ_E10value_typeET4_jRbjT5_SW_jjP12ihipStream_tbEUlT_E2_NS1_11comp_targetILNS1_3genE3ELNS1_11target_archE908ELNS1_3gpuE7ELNS1_3repE0EEENS1_30default_config_static_selectorELNS0_4arch9wavefront6targetE1EEEvSK_.has_recursion, 0
	.set _ZN7rocprim17ROCPRIM_400000_NS6detail17trampoline_kernelINS0_14default_configENS1_36segmented_radix_sort_config_selectorIflEEZNS1_25segmented_radix_sort_implIS3_Lb0EPKfPfPKlPlN2at6native12_GLOBAL__N_18offset_tEEE10hipError_tPvRmT1_PNSt15iterator_traitsISK_E10value_typeET2_T3_PNSL_ISQ_E10value_typeET4_jRbjT5_SW_jjP12ihipStream_tbEUlT_E2_NS1_11comp_targetILNS1_3genE3ELNS1_11target_archE908ELNS1_3gpuE7ELNS1_3repE0EEENS1_30default_config_static_selectorELNS0_4arch9wavefront6targetE1EEEvSK_.has_indirect_call, 0
	.section	.AMDGPU.csdata,"",@progbits
; Kernel info:
; codeLenInByte = 0
; TotalNumSgprs: 4
; NumVgprs: 0
; ScratchSize: 0
; MemoryBound: 0
; FloatMode: 240
; IeeeMode: 1
; LDSByteSize: 0 bytes/workgroup (compile time only)
; SGPRBlocks: 0
; VGPRBlocks: 0
; NumSGPRsForWavesPerEU: 4
; NumVGPRsForWavesPerEU: 1
; Occupancy: 10
; WaveLimiterHint : 0
; COMPUTE_PGM_RSRC2:SCRATCH_EN: 0
; COMPUTE_PGM_RSRC2:USER_SGPR: 6
; COMPUTE_PGM_RSRC2:TRAP_HANDLER: 0
; COMPUTE_PGM_RSRC2:TGID_X_EN: 1
; COMPUTE_PGM_RSRC2:TGID_Y_EN: 0
; COMPUTE_PGM_RSRC2:TGID_Z_EN: 0
; COMPUTE_PGM_RSRC2:TIDIG_COMP_CNT: 0
	.section	.text._ZN7rocprim17ROCPRIM_400000_NS6detail17trampoline_kernelINS0_14default_configENS1_36segmented_radix_sort_config_selectorIflEEZNS1_25segmented_radix_sort_implIS3_Lb0EPKfPfPKlPlN2at6native12_GLOBAL__N_18offset_tEEE10hipError_tPvRmT1_PNSt15iterator_traitsISK_E10value_typeET2_T3_PNSL_ISQ_E10value_typeET4_jRbjT5_SW_jjP12ihipStream_tbEUlT_E2_NS1_11comp_targetILNS1_3genE2ELNS1_11target_archE906ELNS1_3gpuE6ELNS1_3repE0EEENS1_30default_config_static_selectorELNS0_4arch9wavefront6targetE1EEEvSK_,"axG",@progbits,_ZN7rocprim17ROCPRIM_400000_NS6detail17trampoline_kernelINS0_14default_configENS1_36segmented_radix_sort_config_selectorIflEEZNS1_25segmented_radix_sort_implIS3_Lb0EPKfPfPKlPlN2at6native12_GLOBAL__N_18offset_tEEE10hipError_tPvRmT1_PNSt15iterator_traitsISK_E10value_typeET2_T3_PNSL_ISQ_E10value_typeET4_jRbjT5_SW_jjP12ihipStream_tbEUlT_E2_NS1_11comp_targetILNS1_3genE2ELNS1_11target_archE906ELNS1_3gpuE6ELNS1_3repE0EEENS1_30default_config_static_selectorELNS0_4arch9wavefront6targetE1EEEvSK_,comdat
	.globl	_ZN7rocprim17ROCPRIM_400000_NS6detail17trampoline_kernelINS0_14default_configENS1_36segmented_radix_sort_config_selectorIflEEZNS1_25segmented_radix_sort_implIS3_Lb0EPKfPfPKlPlN2at6native12_GLOBAL__N_18offset_tEEE10hipError_tPvRmT1_PNSt15iterator_traitsISK_E10value_typeET2_T3_PNSL_ISQ_E10value_typeET4_jRbjT5_SW_jjP12ihipStream_tbEUlT_E2_NS1_11comp_targetILNS1_3genE2ELNS1_11target_archE906ELNS1_3gpuE6ELNS1_3repE0EEENS1_30default_config_static_selectorELNS0_4arch9wavefront6targetE1EEEvSK_ ; -- Begin function _ZN7rocprim17ROCPRIM_400000_NS6detail17trampoline_kernelINS0_14default_configENS1_36segmented_radix_sort_config_selectorIflEEZNS1_25segmented_radix_sort_implIS3_Lb0EPKfPfPKlPlN2at6native12_GLOBAL__N_18offset_tEEE10hipError_tPvRmT1_PNSt15iterator_traitsISK_E10value_typeET2_T3_PNSL_ISQ_E10value_typeET4_jRbjT5_SW_jjP12ihipStream_tbEUlT_E2_NS1_11comp_targetILNS1_3genE2ELNS1_11target_archE906ELNS1_3gpuE6ELNS1_3repE0EEENS1_30default_config_static_selectorELNS0_4arch9wavefront6targetE1EEEvSK_
	.p2align	8
	.type	_ZN7rocprim17ROCPRIM_400000_NS6detail17trampoline_kernelINS0_14default_configENS1_36segmented_radix_sort_config_selectorIflEEZNS1_25segmented_radix_sort_implIS3_Lb0EPKfPfPKlPlN2at6native12_GLOBAL__N_18offset_tEEE10hipError_tPvRmT1_PNSt15iterator_traitsISK_E10value_typeET2_T3_PNSL_ISQ_E10value_typeET4_jRbjT5_SW_jjP12ihipStream_tbEUlT_E2_NS1_11comp_targetILNS1_3genE2ELNS1_11target_archE906ELNS1_3gpuE6ELNS1_3repE0EEENS1_30default_config_static_selectorELNS0_4arch9wavefront6targetE1EEEvSK_,@function
_ZN7rocprim17ROCPRIM_400000_NS6detail17trampoline_kernelINS0_14default_configENS1_36segmented_radix_sort_config_selectorIflEEZNS1_25segmented_radix_sort_implIS3_Lb0EPKfPfPKlPlN2at6native12_GLOBAL__N_18offset_tEEE10hipError_tPvRmT1_PNSt15iterator_traitsISK_E10value_typeET2_T3_PNSL_ISQ_E10value_typeET4_jRbjT5_SW_jjP12ihipStream_tbEUlT_E2_NS1_11comp_targetILNS1_3genE2ELNS1_11target_archE906ELNS1_3gpuE6ELNS1_3repE0EEENS1_30default_config_static_selectorELNS0_4arch9wavefront6targetE1EEEvSK_: ; @_ZN7rocprim17ROCPRIM_400000_NS6detail17trampoline_kernelINS0_14default_configENS1_36segmented_radix_sort_config_selectorIflEEZNS1_25segmented_radix_sort_implIS3_Lb0EPKfPfPKlPlN2at6native12_GLOBAL__N_18offset_tEEE10hipError_tPvRmT1_PNSt15iterator_traitsISK_E10value_typeET2_T3_PNSL_ISQ_E10value_typeET4_jRbjT5_SW_jjP12ihipStream_tbEUlT_E2_NS1_11comp_targetILNS1_3genE2ELNS1_11target_archE906ELNS1_3gpuE6ELNS1_3repE0EEENS1_30default_config_static_selectorELNS0_4arch9wavefront6targetE1EEEvSK_
; %bb.0:
	s_add_u32 s0, s0, s8
	s_load_dwordx4 s[8:11], s[4:5], 0x34
	s_addc_u32 s1, s1, 0
	s_mov_b32 s32, 0
	s_waitcnt lgkmcnt(0)
	s_add_i32 s51, s9, s6
	s_add_i32 s80, s11, s6
	s_mul_i32 s51, s51, s8
	s_mul_i32 s80, s80, s10
	s_cmp_le_u32 s80, s51
	s_cbranch_scc1 .LBB1462_675
; %bb.1:
	s_mov_b32 s50, s6
	s_load_dword s6, s[4:5], 0x30
	s_load_dwordx4 s[72:75], s[4:5], 0x20
	s_load_dwordx4 s[76:79], s[4:5], 0x44
	s_load_dwordx8 s[64:71], s[4:5], 0x0
	s_mov_b32 s33, s7
	s_waitcnt lgkmcnt(0)
	s_bitcmp1_b32 s6, 0
	s_cselect_b64 s[54:55], -1, 0
	s_sub_i32 s79, s80, s51
	s_cmpk_lt_u32 s79, 0x801
	s_mov_b64 s[6:7], -1
	s_cbranch_scc0 .LBB1462_12
; %bb.2:
	s_cmp_lt_u32 s79, 33
	s_cbranch_scc0 .LBB1462_6
; %bb.3:
	s_load_dword s6, s[4:5], 0x5c
	s_waitcnt lgkmcnt(0)
	s_lshr_b32 s7, s6, 16
	s_and_b32 s6, s6, 0xffff
	v_mad_u32_u24 v3, v2, s7, v1
	v_mad_u64_u32 v[3:4], s[6:7], v3, s6, v[0:1]
	v_cmp_gt_u32_e32 vcc, 8, v3
	s_and_saveexec_b64 s[34:35], vcc
	s_cbranch_execz .LBB1462_5
; %bb.4:
	s_bitcmp1_b32 s76, 0
	s_cselect_b64 s[8:9], -1, 0
	s_xor_b64 s[8:9], s[54:55], s[8:9]
	s_xor_b64 s[8:9], s[8:9], -1
	v_cndmask_b32_e64 v12, 0, 1, s[8:9]
	s_add_u32 s8, s4, 0x50
	s_mov_b64 s[6:7], src_shared_base
	s_addc_u32 s9, s5, 0
	v_lshlrev_b32_e32 v3, 20, v2
	v_lshlrev_b32_e32 v4, 10, v1
	s_getpc_b64 s[10:11]
	s_add_u32 s10, s10, _ZN7rocprim17ROCPRIM_400000_NS6detail26segmented_warp_sort_helperINS1_20WarpSortHelperConfigILj8ELj4ELj256EEEflLi256ELb0EvE4sortIPKfPfPKlPlEEvT_S9_T0_T1_SC_T2_bjjjjRNS5_12storage_typeE@rel32@lo+4
	s_addc_u32 s11, s11, _ZN7rocprim17ROCPRIM_400000_NS6detail26segmented_warp_sort_helperINS1_20WarpSortHelperConfigILj8ELj4ELj256EEEflLi256ELb0EvE4sortIPKfPfPKlPlEEvT_S9_T0_T1_SC_T2_bjjjjRNS5_12storage_typeE@rel32@hi+12
	v_or3_b32 v31, v0, v4, v3
	s_mov_b32 s12, s50
	s_mov_b32 s13, s33
	v_mov_b32_e32 v40, v0
	v_mov_b32_e32 v0, s64
	;; [unrolled: 1-line block ×19, first 2 shown]
	s_mov_b64 s[36:37], s[4:5]
	s_swappc_b64 s[30:31], s[10:11]
	v_mov_b32_e32 v1, v41
	v_mov_b32_e32 v2, v42
	;; [unrolled: 1-line block ×3, first 2 shown]
	s_mov_b64 s[4:5], s[36:37]
.LBB1462_5:
	s_or_b64 exec, exec, s[34:35]
	s_mov_b64 s[6:7], 0
.LBB1462_6:
	s_andn2_b64 vcc, exec, s[6:7]
	s_cbranch_vccnz .LBB1462_11
; %bb.7:
	s_and_b32 s6, s76, 1
	v_cndmask_b32_e64 v3, 0, 1, s[54:55]
	v_cmp_ne_u32_e32 vcc, s6, v3
	s_mov_b64 s[6:7], -1
	v_lshlrev_b32_e32 v41, 20, v2
	v_lshlrev_b32_e32 v42, 10, v1
	s_cbranch_vccnz .LBB1462_9
; %bb.8:
	s_add_u32 s8, s4, 0x50
	s_mov_b64 s[6:7], src_shared_base
	s_addc_u32 s9, s5, 0
	s_getpc_b64 s[10:11]
	s_add_u32 s10, s10, _ZN7rocprim17ROCPRIM_400000_NS6detail40segmented_radix_sort_single_block_helperIflLj256ELj8ELb0EE4sortIPKfPfPKlPlEEbT_T0_T1_T2_jjjjRNS3_12storage_typeE@rel32@lo+4
	s_addc_u32 s11, s11, _ZN7rocprim17ROCPRIM_400000_NS6detail40segmented_radix_sort_single_block_helperIflLj256ELj8ELb0EE4sortIPKfPfPKlPlEEbT_T0_T1_T2_jjjjRNS3_12storage_typeE@rel32@hi+12
	v_or3_b32 v31, v0, v42, v41
	s_mov_b32 s12, s50
	s_mov_b32 s13, s33
	v_mov_b32_e32 v40, v0
	v_mov_b32_e32 v0, s64
	;; [unrolled: 1-line block ×17, first 2 shown]
	s_mov_b64 s[34:35], s[4:5]
	s_swappc_b64 s[30:31], s[10:11]
	v_mov_b32_e32 v1, v43
	v_mov_b32_e32 v2, v44
	;; [unrolled: 1-line block ×3, first 2 shown]
	s_mov_b64 s[4:5], s[34:35]
	s_mov_b64 s[6:7], 0
.LBB1462_9:
	s_andn2_b64 vcc, exec, s[6:7]
	s_cbranch_vccnz .LBB1462_11
; %bb.10:
	s_add_u32 s8, s4, 0x50
	s_mov_b64 s[6:7], src_shared_base
	s_addc_u32 s9, s5, 0
	s_getpc_b64 s[10:11]
	s_add_u32 s10, s10, _ZN7rocprim17ROCPRIM_400000_NS6detail40segmented_radix_sort_single_block_helperIflLj256ELj8ELb0EE4sortIPKfPfPKlPlEEbT_T0_T1_T2_jjjjRNS3_12storage_typeE@rel32@lo+4
	s_addc_u32 s11, s11, _ZN7rocprim17ROCPRIM_400000_NS6detail40segmented_radix_sort_single_block_helperIflLj256ELj8ELb0EE4sortIPKfPfPKlPlEEbT_T0_T1_T2_jjjjRNS3_12storage_typeE@rel32@hi+12
	v_or3_b32 v31, v0, v42, v41
	s_mov_b32 s12, s50
	s_mov_b32 s13, s33
	v_mov_b32_e32 v40, v0
	v_mov_b32_e32 v0, s64
	;; [unrolled: 1-line block ×17, first 2 shown]
	s_mov_b64 s[34:35], s[4:5]
	s_swappc_b64 s[30:31], s[10:11]
	v_mov_b32_e32 v1, v41
	v_mov_b32_e32 v2, v42
	;; [unrolled: 1-line block ×3, first 2 shown]
	s_mov_b64 s[4:5], s[34:35]
.LBB1462_11:
	s_mov_b64 s[6:7], 0
.LBB1462_12:
	s_andn2_b64 vcc, exec, s[6:7]
	s_cbranch_vccnz .LBB1462_675
; %bb.13:
	s_cmp_ge_u32 s77, s78
	s_cbranch_scc1 .LBB1462_675
; %bb.14:
	v_and_b32_e32 v4, 3, v0
	s_movk_i32 s6, 0x100
	v_lshlrev_b32_e32 v42, 2, v4
	v_or_b32_e32 v4, 63, v0
	v_lshlrev_b32_e32 v32, 2, v0
	s_mov_b64 s[12:13], s[4:5]
	v_cmp_gt_u32_e64 s[4:5], s6, v0
	v_cmp_eq_u32_e64 s[6:7], v0, v4
	v_lshrrev_b32_e32 v4, 4, v0
	v_mad_u32_u24 v43, v0, 12, v32
	v_and_b32_e32 v44, 12, v4
	v_lshlrev_b32_e32 v4, 3, v0
	v_mov_b32_e32 v5, s69
	v_add_co_u32_e32 v36, vcc, s68, v32
	v_and_b32_e32 v48, 0x600, v4
	v_add_u32_e32 v49, v43, v32
	v_lshlrev_b32_e32 v4, 4, v0
	v_addc_co_u32_e32 v37, vcc, 0, v5, vcc
	v_sub_u32_e32 v50, v49, v4
	v_lshlrev_b32_e32 v4, 3, v48
	v_mov_b32_e32 v5, s75
	v_add_co_u32_e32 v51, vcc, s74, v4
	v_addc_co_u32_e32 v52, vcc, 0, v5, vcc
	v_lshlrev_b32_e32 v5, 2, v48
	v_mov_b32_e32 v6, s69
	v_add_co_u32_e32 v53, vcc, s68, v5
	v_addc_co_u32_e32 v54, vcc, 0, v6, vcc
	v_mov_b32_e32 v6, s67
	v_add_co_u32_e32 v55, vcc, s66, v32
	v_addc_co_u32_e32 v56, vcc, 0, v6, vcc
	;; [unrolled: 3-line block ×7, first 2 shown]
	v_mbcnt_lo_u32_b32 v4, -1, 0
	v_or_b32_e32 v38, 0x400, v0
	v_or_b32_e32 v39, 0x500, v0
	;; [unrolled: 1-line block ×4, first 2 shown]
	s_add_u32 s56, s12, 0x50
	s_movk_i32 s14, 0xff
	v_mbcnt_hi_u32_b32 v74, -1, v4
	v_mov_b32_e32 v3, 0
	v_or_b32_e32 v33, 0x100, v0
	v_or_b32_e32 v34, 0x200, v0
	;; [unrolled: 1-line block ×4, first 2 shown]
	v_cmp_gt_u32_e64 s[8:9], 4, v0
	v_or_b32_e32 v46, 0x4400, v32
	v_cmp_lt_u32_e64 s[10:11], 63, v0
	v_add_u32_e32 v47, 0x43fc, v44
	s_addc_u32 s57, s13, 0
	s_mov_b32 s59, 0
	v_cmp_eq_u32_e64 s[12:13], 0, v0
	v_cmp_ne_u32_e64 s[14:15], s14, v0
	s_brev_b32 s62, -2
	v_mov_b32_e32 v67, 1
	v_lshlrev_b32_e32 v68, 2, v0
	v_lshlrev_b32_e32 v69, 2, v38
	;; [unrolled: 1-line block ×5, first 2 shown]
	v_bfrev_b32_e32 v73, 1
	v_and_b32_e32 v75, 15, v74
	v_bfe_i32 v76, v74, 4, 1
	v_and_b32_e32 v77, 16, v74
	v_and_b32_e32 v78, 3, v74
	v_bfrev_b32_e32 v11, -2
	s_mov_b32 s63, s77
	s_branch .LBB1462_17
.LBB1462_15:                            ;   in Loop: Header=BB1462_17 Depth=1
	s_waitcnt lgkmcnt(0)
	s_barrier
.LBB1462_16:                            ;   in Loop: Header=BB1462_17 Depth=1
	s_add_i32 s63, s63, 8
	s_cmp_ge_u32 s63, s78
	s_cbranch_scc1 .LBB1462_675
.LBB1462_17:                            ; =>This Loop Header: Depth=1
                                        ;     Child Loop BB1462_21 Depth 2
                                        ;     Child Loop BB1462_69 Depth 2
	;; [unrolled: 1-line block ×8, first 2 shown]
	s_sub_i32 s16, s78, s63
	s_min_u32 s16, s16, 8
	s_lshl_b32 s16, -1, s16
	s_xor_b64 s[54:55], s[54:55], -1
	s_not_b32 s70, s16
	s_cmp_lg_u32 s63, s77
	s_mov_b64 s[16:17], -1
	ds_write2st64_b32 v32, v3, v3 offset1:4
	ds_write2st64_b32 v32, v3, v3 offset0:8 offset1:12
	s_waitcnt lgkmcnt(0)
	s_cbranch_scc0 .LBB1462_347
; %bb.18:                               ;   in Loop: Header=BB1462_17 Depth=1
	s_and_b64 vcc, exec, s[54:55]
	s_cbranch_vccz .LBB1462_182
; %bb.19:                               ;   in Loop: Header=BB1462_17 Depth=1
	v_mov_b32_e32 v10, v3
	v_mov_b32_e32 v4, v3
	;; [unrolled: 1-line block ×8, first 2 shown]
	s_mov_b32 s20, s79
	s_mov_b32 s58, s51
	v_mov_b32_e32 v18, v9
	v_mov_b32_e32 v17, v8
	;; [unrolled: 1-line block ×7, first 2 shown]
	s_barrier
	s_branch .LBB1462_21
.LBB1462_20:                            ;   in Loop: Header=BB1462_21 Depth=2
	s_or_b64 exec, exec, s[16:17]
	s_addk_i32 s20, 0xf800
	s_cmp_ge_u32 s21, s80
	s_mov_b32 s58, s21
	s_cbranch_scc1 .LBB1462_57
.LBB1462_21:                            ;   Parent Loop BB1462_17 Depth=1
                                        ; =>  This Inner Loop Header: Depth=2
	s_add_i32 s21, s58, 0x800
	s_cmp_gt_u32 s21, s80
	s_mov_b64 s[16:17], -1
                                        ; implicit-def: $vgpr20_vgpr21_vgpr22_vgpr23_vgpr24_vgpr25_vgpr26_vgpr27
	s_cbranch_scc1 .LBB1462_23
; %bb.22:                               ;   in Loop: Header=BB1462_21 Depth=2
	s_lshl_b64 s[16:17], s[58:59], 2
	v_mov_b32_e32 v5, s17
	v_add_co_u32_e32 v4, vcc, s16, v36
	v_addc_co_u32_e32 v5, vcc, v37, v5, vcc
	v_add_co_u32_e32 v6, vcc, 0x1000, v4
	v_addc_co_u32_e32 v7, vcc, 0, v5, vcc
	global_load_dword v20, v[4:5], off
	global_load_dword v21, v[4:5], off offset:1024
	global_load_dword v22, v[4:5], off offset:2048
	;; [unrolled: 1-line block ×3, first 2 shown]
	global_load_dword v24, v[6:7], off
	global_load_dword v25, v[6:7], off offset:1024
	global_load_dword v26, v[6:7], off offset:2048
	global_load_dword v27, v[6:7], off offset:3072
	s_mov_b64 s[16:17], 0
.LBB1462_23:                            ;   in Loop: Header=BB1462_21 Depth=2
	s_andn2_b64 vcc, exec, s[16:17]
	s_movk_i32 s18, 0x800
	s_cbranch_vccnz .LBB1462_34
; %bb.24:                               ;   in Loop: Header=BB1462_21 Depth=2
	s_lshl_b64 s[16:17], s[58:59], 2
	s_add_u32 s16, s68, s16
	s_addc_u32 s17, s69, s17
	v_cmp_gt_u32_e32 vcc, s20, v0
	s_and_saveexec_b64 s[18:19], vcc
	s_cbranch_execnz .LBB1462_50
; %bb.25:                               ;   in Loop: Header=BB1462_21 Depth=2
	s_or_b64 exec, exec, s[18:19]
	v_cmp_gt_u32_e32 vcc, s20, v33
	s_and_saveexec_b64 s[18:19], vcc
	s_cbranch_execnz .LBB1462_51
.LBB1462_26:                            ;   in Loop: Header=BB1462_21 Depth=2
	s_or_b64 exec, exec, s[18:19]
	v_cmp_gt_u32_e32 vcc, s20, v34
	s_and_saveexec_b64 s[18:19], vcc
	s_cbranch_execnz .LBB1462_52
.LBB1462_27:                            ;   in Loop: Header=BB1462_21 Depth=2
	s_or_b64 exec, exec, s[18:19]
	v_cmp_gt_u32_e32 vcc, s20, v35
	s_and_saveexec_b64 s[18:19], vcc
	s_cbranch_execnz .LBB1462_53
.LBB1462_28:                            ;   in Loop: Header=BB1462_21 Depth=2
	s_or_b64 exec, exec, s[18:19]
	v_cmp_gt_u32_e32 vcc, s20, v38
	s_and_saveexec_b64 s[18:19], vcc
	s_cbranch_execnz .LBB1462_54
.LBB1462_29:                            ;   in Loop: Header=BB1462_21 Depth=2
	s_or_b64 exec, exec, s[18:19]
	v_cmp_gt_u32_e32 vcc, s20, v39
	s_and_saveexec_b64 s[18:19], vcc
	s_cbranch_execnz .LBB1462_55
.LBB1462_30:                            ;   in Loop: Header=BB1462_21 Depth=2
	s_or_b64 exec, exec, s[18:19]
	v_cmp_gt_u32_e32 vcc, s20, v40
	s_and_saveexec_b64 s[18:19], vcc
	s_cbranch_execnz .LBB1462_56
.LBB1462_31:                            ;   in Loop: Header=BB1462_21 Depth=2
	s_or_b64 exec, exec, s[18:19]
	v_cmp_gt_u32_e32 vcc, s20, v41
	s_and_saveexec_b64 s[18:19], vcc
	s_cbranch_execz .LBB1462_33
.LBB1462_32:                            ;   in Loop: Header=BB1462_21 Depth=2
	global_load_dword v19, v72, s[16:17]
.LBB1462_33:                            ;   in Loop: Header=BB1462_21 Depth=2
	s_or_b64 exec, exec, s[18:19]
	s_waitcnt vmcnt(0)
	v_mov_b32_e32 v27, v19
	s_mov_b32 s18, s20
	v_mov_b32_e32 v26, v18
	v_mov_b32_e32 v25, v17
	;; [unrolled: 1-line block ×7, first 2 shown]
.LBB1462_34:                            ;   in Loop: Header=BB1462_21 Depth=2
	s_waitcnt vmcnt(0)
	v_mov_b32_e32 v12, v20
	v_mov_b32_e32 v13, v21
	;; [unrolled: 1-line block ×8, first 2 shown]
	v_cmp_gt_u32_e32 vcc, s18, v0
	s_and_saveexec_b64 s[16:17], vcc
	s_cbranch_execnz .LBB1462_42
; %bb.35:                               ;   in Loop: Header=BB1462_21 Depth=2
	s_or_b64 exec, exec, s[16:17]
	v_cmp_gt_u32_e32 vcc, s18, v33
	s_and_saveexec_b64 s[16:17], vcc
	s_cbranch_execnz .LBB1462_43
.LBB1462_36:                            ;   in Loop: Header=BB1462_21 Depth=2
	s_or_b64 exec, exec, s[16:17]
	v_cmp_gt_u32_e32 vcc, s18, v34
	s_and_saveexec_b64 s[16:17], vcc
	s_cbranch_execnz .LBB1462_44
.LBB1462_37:                            ;   in Loop: Header=BB1462_21 Depth=2
	s_or_b64 exec, exec, s[16:17]
	v_cmp_gt_u32_e32 vcc, s18, v35
	s_and_saveexec_b64 s[16:17], vcc
	s_cbranch_execnz .LBB1462_45
.LBB1462_38:                            ;   in Loop: Header=BB1462_21 Depth=2
	s_or_b64 exec, exec, s[16:17]
	v_cmp_gt_u32_e32 vcc, s18, v38
	s_and_saveexec_b64 s[16:17], vcc
	s_cbranch_execnz .LBB1462_46
.LBB1462_39:                            ;   in Loop: Header=BB1462_21 Depth=2
	s_or_b64 exec, exec, s[16:17]
	v_cmp_gt_u32_e32 vcc, s18, v39
	s_and_saveexec_b64 s[16:17], vcc
	s_cbranch_execnz .LBB1462_47
.LBB1462_40:                            ;   in Loop: Header=BB1462_21 Depth=2
	s_or_b64 exec, exec, s[16:17]
	v_cmp_gt_u32_e32 vcc, s18, v40
	s_and_saveexec_b64 s[16:17], vcc
	s_cbranch_execnz .LBB1462_48
.LBB1462_41:                            ;   in Loop: Header=BB1462_21 Depth=2
	s_or_b64 exec, exec, s[16:17]
	v_cmp_gt_u32_e32 vcc, s18, v41
	s_and_saveexec_b64 s[16:17], vcc
	s_cbranch_execz .LBB1462_20
	s_branch .LBB1462_49
.LBB1462_42:                            ;   in Loop: Header=BB1462_21 Depth=2
	v_cmp_lt_i32_e32 vcc, -1, v12
	v_cndmask_b32_e32 v4, -1, v73, vcc
	v_xor_b32_e32 v4, v4, v12
	v_cmp_ne_u32_e32 vcc, s62, v4
	v_cndmask_b32_e32 v4, v73, v4, vcc
	v_lshrrev_b32_e32 v4, s63, v4
	v_and_b32_e32 v4, s70, v4
	v_lshl_or_b32 v4, v4, 4, v42
	ds_add_u32 v4, v67
	s_or_b64 exec, exec, s[16:17]
	v_cmp_gt_u32_e32 vcc, s18, v33
	s_and_saveexec_b64 s[16:17], vcc
	s_cbranch_execz .LBB1462_36
.LBB1462_43:                            ;   in Loop: Header=BB1462_21 Depth=2
	v_cmp_lt_i32_e32 vcc, -1, v13
	v_cndmask_b32_e32 v4, -1, v73, vcc
	v_xor_b32_e32 v4, v4, v13
	v_cmp_ne_u32_e32 vcc, s62, v4
	v_cndmask_b32_e32 v4, v73, v4, vcc
	v_lshrrev_b32_e32 v4, s63, v4
	v_and_b32_e32 v4, s70, v4
	v_lshl_or_b32 v4, v4, 4, v42
	ds_add_u32 v4, v67
	s_or_b64 exec, exec, s[16:17]
	v_cmp_gt_u32_e32 vcc, s18, v34
	s_and_saveexec_b64 s[16:17], vcc
	s_cbranch_execz .LBB1462_37
.LBB1462_44:                            ;   in Loop: Header=BB1462_21 Depth=2
	v_cmp_lt_i32_e32 vcc, -1, v14
	v_cndmask_b32_e32 v4, -1, v73, vcc
	v_xor_b32_e32 v4, v4, v14
	v_cmp_ne_u32_e32 vcc, s62, v4
	v_cndmask_b32_e32 v4, v73, v4, vcc
	v_lshrrev_b32_e32 v4, s63, v4
	v_and_b32_e32 v4, s70, v4
	v_lshl_or_b32 v4, v4, 4, v42
	ds_add_u32 v4, v67
	s_or_b64 exec, exec, s[16:17]
	v_cmp_gt_u32_e32 vcc, s18, v35
	s_and_saveexec_b64 s[16:17], vcc
	s_cbranch_execz .LBB1462_38
.LBB1462_45:                            ;   in Loop: Header=BB1462_21 Depth=2
	v_cmp_lt_i32_e32 vcc, -1, v15
	v_cndmask_b32_e32 v4, -1, v73, vcc
	v_xor_b32_e32 v4, v4, v15
	v_cmp_ne_u32_e32 vcc, s62, v4
	v_cndmask_b32_e32 v4, v73, v4, vcc
	v_lshrrev_b32_e32 v4, s63, v4
	v_and_b32_e32 v4, s70, v4
	v_lshl_or_b32 v4, v4, 4, v42
	ds_add_u32 v4, v67
	s_or_b64 exec, exec, s[16:17]
	v_cmp_gt_u32_e32 vcc, s18, v38
	s_and_saveexec_b64 s[16:17], vcc
	s_cbranch_execz .LBB1462_39
.LBB1462_46:                            ;   in Loop: Header=BB1462_21 Depth=2
	v_cmp_lt_i32_e32 vcc, -1, v16
	v_cndmask_b32_e32 v4, -1, v73, vcc
	v_xor_b32_e32 v4, v4, v16
	v_cmp_ne_u32_e32 vcc, s62, v4
	v_cndmask_b32_e32 v4, v73, v4, vcc
	v_lshrrev_b32_e32 v4, s63, v4
	v_and_b32_e32 v4, s70, v4
	v_lshl_or_b32 v4, v4, 4, v42
	ds_add_u32 v4, v67
	s_or_b64 exec, exec, s[16:17]
	v_cmp_gt_u32_e32 vcc, s18, v39
	s_and_saveexec_b64 s[16:17], vcc
	s_cbranch_execz .LBB1462_40
.LBB1462_47:                            ;   in Loop: Header=BB1462_21 Depth=2
	v_cmp_lt_i32_e32 vcc, -1, v17
	v_cndmask_b32_e32 v4, -1, v73, vcc
	v_xor_b32_e32 v4, v4, v17
	v_cmp_ne_u32_e32 vcc, s62, v4
	v_cndmask_b32_e32 v4, v73, v4, vcc
	v_lshrrev_b32_e32 v4, s63, v4
	v_and_b32_e32 v4, s70, v4
	v_lshl_or_b32 v4, v4, 4, v42
	ds_add_u32 v4, v67
	s_or_b64 exec, exec, s[16:17]
	v_cmp_gt_u32_e32 vcc, s18, v40
	s_and_saveexec_b64 s[16:17], vcc
	s_cbranch_execz .LBB1462_41
.LBB1462_48:                            ;   in Loop: Header=BB1462_21 Depth=2
	v_cmp_lt_i32_e32 vcc, -1, v18
	v_cndmask_b32_e32 v4, -1, v73, vcc
	v_xor_b32_e32 v4, v4, v18
	v_cmp_ne_u32_e32 vcc, s62, v4
	v_cndmask_b32_e32 v4, v73, v4, vcc
	v_lshrrev_b32_e32 v4, s63, v4
	v_and_b32_e32 v4, s70, v4
	v_lshl_or_b32 v4, v4, 4, v42
	ds_add_u32 v4, v67
	s_or_b64 exec, exec, s[16:17]
	v_cmp_gt_u32_e32 vcc, s18, v41
	s_and_saveexec_b64 s[16:17], vcc
	s_cbranch_execz .LBB1462_20
.LBB1462_49:                            ;   in Loop: Header=BB1462_21 Depth=2
	v_cmp_lt_i32_e32 vcc, -1, v19
	v_cndmask_b32_e32 v4, -1, v73, vcc
	v_xor_b32_e32 v4, v4, v19
	v_cmp_ne_u32_e32 vcc, s62, v4
	v_cndmask_b32_e32 v4, v73, v4, vcc
	v_lshrrev_b32_e32 v4, s63, v4
	v_and_b32_e32 v4, s70, v4
	v_lshl_or_b32 v4, v4, 4, v42
	ds_add_u32 v4, v67
	s_branch .LBB1462_20
.LBB1462_50:                            ;   in Loop: Header=BB1462_21 Depth=2
	global_load_dword v12, v68, s[16:17]
	s_or_b64 exec, exec, s[18:19]
	v_cmp_gt_u32_e32 vcc, s20, v33
	s_and_saveexec_b64 s[18:19], vcc
	s_cbranch_execz .LBB1462_26
.LBB1462_51:                            ;   in Loop: Header=BB1462_21 Depth=2
	global_load_dword v13, v68, s[16:17] offset:1024
	s_or_b64 exec, exec, s[18:19]
	v_cmp_gt_u32_e32 vcc, s20, v34
	s_and_saveexec_b64 s[18:19], vcc
	s_cbranch_execz .LBB1462_27
.LBB1462_52:                            ;   in Loop: Header=BB1462_21 Depth=2
	global_load_dword v14, v68, s[16:17] offset:2048
	s_or_b64 exec, exec, s[18:19]
	v_cmp_gt_u32_e32 vcc, s20, v35
	s_and_saveexec_b64 s[18:19], vcc
	s_cbranch_execz .LBB1462_28
.LBB1462_53:                            ;   in Loop: Header=BB1462_21 Depth=2
	global_load_dword v15, v68, s[16:17] offset:3072
	s_or_b64 exec, exec, s[18:19]
	v_cmp_gt_u32_e32 vcc, s20, v38
	s_and_saveexec_b64 s[18:19], vcc
	s_cbranch_execz .LBB1462_29
.LBB1462_54:                            ;   in Loop: Header=BB1462_21 Depth=2
	global_load_dword v16, v69, s[16:17]
	s_or_b64 exec, exec, s[18:19]
	v_cmp_gt_u32_e32 vcc, s20, v39
	s_and_saveexec_b64 s[18:19], vcc
	s_cbranch_execz .LBB1462_30
.LBB1462_55:                            ;   in Loop: Header=BB1462_21 Depth=2
	global_load_dword v17, v70, s[16:17]
	s_or_b64 exec, exec, s[18:19]
	v_cmp_gt_u32_e32 vcc, s20, v40
	s_and_saveexec_b64 s[18:19], vcc
	s_cbranch_execz .LBB1462_31
.LBB1462_56:                            ;   in Loop: Header=BB1462_21 Depth=2
	global_load_dword v18, v71, s[16:17]
	s_or_b64 exec, exec, s[18:19]
	v_cmp_gt_u32_e32 vcc, s20, v41
	s_and_saveexec_b64 s[18:19], vcc
	s_cbranch_execnz .LBB1462_32
	s_branch .LBB1462_33
.LBB1462_57:                            ;   in Loop: Header=BB1462_17 Depth=1
	v_mov_b32_e32 v4, 0
	s_waitcnt lgkmcnt(0)
	s_barrier
	s_and_saveexec_b64 s[16:17], s[4:5]
	s_cbranch_execz .LBB1462_59
; %bb.58:                               ;   in Loop: Header=BB1462_17 Depth=1
	ds_read2_b64 v[4:7], v43 offset1:1
	s_waitcnt lgkmcnt(0)
	v_add_u32_e32 v4, v5, v4
	v_add3_u32 v4, v4, v6, v7
.LBB1462_59:                            ;   in Loop: Header=BB1462_17 Depth=1
	s_or_b64 exec, exec, s[16:17]
	s_nop 0
	v_mov_b32_dpp v5, v4 row_shr:1 row_mask:0xf bank_mask:0xf
	v_cmp_eq_u32_e64 s[16:17], 0, v75
	v_cndmask_b32_e64 v5, v5, 0, s[16:17]
	v_add_u32_e32 v4, v5, v4
	v_cmp_lt_u32_e64 s[18:19], 1, v75
	v_cmp_lt_u32_e64 s[20:21], 3, v75
	v_mov_b32_dpp v5, v4 row_shr:2 row_mask:0xf bank_mask:0xf
	v_cndmask_b32_e64 v5, 0, v5, s[18:19]
	v_add_u32_e32 v4, v4, v5
	v_cmp_lt_u32_e64 s[22:23], 7, v75
	v_cmp_lt_u32_e64 s[26:27], 31, v74
	v_mov_b32_dpp v5, v4 row_shr:4 row_mask:0xf bank_mask:0xf
	v_cndmask_b32_e64 v5, 0, v5, s[20:21]
	v_add_u32_e32 v4, v4, v5
	v_cmp_eq_u32_e64 s[24:25], 0, v77
	s_nop 0
	v_mov_b32_dpp v5, v4 row_shr:8 row_mask:0xf bank_mask:0xf
	v_cndmask_b32_e64 v5, 0, v5, s[22:23]
	v_add_u32_e32 v4, v4, v5
	s_nop 1
	v_mov_b32_dpp v5, v4 row_bcast:15 row_mask:0xf bank_mask:0xf
	v_and_b32_e32 v5, v76, v5
	v_add_u32_e32 v4, v4, v5
	s_nop 1
	v_mov_b32_dpp v5, v4 row_bcast:31 row_mask:0xf bank_mask:0xf
	v_cndmask_b32_e64 v5, 0, v5, s[26:27]
	v_add_u32_e32 v4, v4, v5
	s_and_saveexec_b64 s[28:29], s[6:7]
; %bb.60:                               ;   in Loop: Header=BB1462_17 Depth=1
	ds_write_b32 v45, v4
; %bb.61:                               ;   in Loop: Header=BB1462_17 Depth=1
	s_or_b64 exec, exec, s[28:29]
	s_waitcnt lgkmcnt(0)
	s_barrier
	s_and_saveexec_b64 s[28:29], s[8:9]
	s_cbranch_execz .LBB1462_63
; %bb.62:                               ;   in Loop: Header=BB1462_17 Depth=1
	ds_read_b32 v5, v46
	v_cmp_ne_u32_e32 vcc, 0, v78
	s_waitcnt lgkmcnt(0)
	v_mov_b32_dpp v6, v5 row_shr:1 row_mask:0xf bank_mask:0xf
	v_cndmask_b32_e32 v6, 0, v6, vcc
	v_add_u32_e32 v5, v6, v5
	v_cmp_lt_u32_e32 vcc, 1, v78
	s_nop 0
	v_mov_b32_dpp v6, v5 row_shr:2 row_mask:0xf bank_mask:0xf
	v_cndmask_b32_e32 v6, 0, v6, vcc
	v_add_u32_e32 v5, v5, v6
	ds_write_b32 v46, v5
.LBB1462_63:                            ;   in Loop: Header=BB1462_17 Depth=1
	s_or_b64 exec, exec, s[28:29]
	v_mov_b32_e32 v5, 0
	s_waitcnt lgkmcnt(0)
	s_barrier
	s_and_saveexec_b64 s[28:29], s[10:11]
; %bb.64:                               ;   in Loop: Header=BB1462_17 Depth=1
	ds_read_b32 v5, v47
; %bb.65:                               ;   in Loop: Header=BB1462_17 Depth=1
	s_or_b64 exec, exec, s[28:29]
	v_subrev_co_u32_e64 v6, s[28:29], 1, v74
	v_and_b32_e32 v7, 64, v74
	v_cmp_lt_i32_e32 vcc, v6, v7
	v_cndmask_b32_e32 v6, v6, v74, vcc
	s_waitcnt lgkmcnt(0)
	v_add_u32_e32 v4, v5, v4
	v_lshlrev_b32_e32 v79, 2, v6
	ds_bpermute_b32 v4, v79, v4
	s_waitcnt lgkmcnt(0)
	s_barrier
	s_and_saveexec_b64 s[30:31], s[4:5]
; %bb.66:                               ;   in Loop: Header=BB1462_17 Depth=1
	v_cndmask_b32_e64 v4, v4, v5, s[28:29]
	v_add_u32_e32 v4, s51, v4
	ds_write_b32 v32, v4
; %bb.67:                               ;   in Loop: Header=BB1462_17 Depth=1
	s_or_b64 exec, exec, s[30:31]
	s_load_dword s30, s[56:57], 0x4
	s_load_dword s36, s[56:57], 0xc
	v_and_b32_e32 v12, 63, v74
	v_lshlrev_b32_e32 v13, 3, v12
	v_or_b32_e32 v84, v12, v48
	s_waitcnt lgkmcnt(0)
	s_cmp_lt_u32 s33, s30
	s_cselect_b32 s30, 14, 20
	s_add_u32 s30, s56, s30
	s_addc_u32 s31, s57, 0
	global_load_ushort v4, v3, s[30:31]
	s_and_b32 s36, s36, 0xffff
	v_lshlrev_b32_e32 v14, 2, v12
	v_add_co_u32_e32 v87, vcc, v51, v13
	v_addc_co_u32_e32 v89, vcc, 0, v52, vcc
	v_add_co_u32_e32 v98, vcc, v53, v14
	v_cmp_eq_u32_e64 s[30:31], 0, v78
	v_cmp_lt_u32_e64 s[34:35], 1, v78
	s_mov_b32 s71, s79
	v_or_b32_e32 v91, 64, v84
	v_or_b32_e32 v92, 0x80, v84
	;; [unrolled: 1-line block ×7, first 2 shown]
	v_addc_co_u32_e32 v99, vcc, 0, v54, vcc
	s_mov_b32 s58, s51
                                        ; implicit-def: $vgpr5_vgpr6
                                        ; implicit-def: $vgpr7_vgpr8
                                        ; implicit-def: $vgpr9_vgpr10
                                        ; implicit-def: $vgpr20_vgpr21
                                        ; implicit-def: $vgpr22_vgpr23
                                        ; implicit-def: $vgpr24_vgpr25
                                        ; implicit-def: $vgpr26_vgpr27
                                        ; implicit-def: $vgpr28_vgpr29
                                        ; implicit-def: $vgpr80
                                        ; implicit-def: $vgpr81
                                        ; implicit-def: $vgpr82
                                        ; implicit-def: $vgpr83
                                        ; implicit-def: $vgpr85
                                        ; implicit-def: $vgpr86
                                        ; implicit-def: $vgpr88
                                        ; implicit-def: $vgpr90
	s_waitcnt vmcnt(0)
	v_mad_u32_u24 v4, v2, v4, v1
	v_mad_u64_u32 v[12:13], s[36:37], v4, s36, v[0:1]
	v_lshrrev_b32_e32 v4, 4, v12
	v_and_b32_e32 v100, 0xffffffc, v4
	s_branch .LBB1462_69
.LBB1462_68:                            ;   in Loop: Header=BB1462_69 Depth=2
	s_or_b64 exec, exec, s[36:37]
	s_addk_i32 s71, 0xf800
	s_cmp_lt_u32 s76, s80
	s_mov_b32 s58, s76
	s_cbranch_scc0 .LBB1462_181
.LBB1462_69:                            ;   Parent Loop BB1462_17 Depth=1
                                        ; =>  This Inner Loop Header: Depth=2
	s_add_i32 s76, s58, 0x800
	s_cmp_gt_u32 s76, s80
	s_cbranch_scc1 .LBB1462_71
; %bb.70:                               ;   in Loop: Header=BB1462_69 Depth=2
	s_lshl_b64 s[36:37], s[58:59], 2
	v_mov_b32_e32 v4, s37
	v_add_co_u32_e32 v18, vcc, s36, v98
	v_addc_co_u32_e32 v19, vcc, v99, v4, vcc
	global_load_dword v12, v[18:19], off
	global_load_dword v13, v[18:19], off offset:256
	global_load_dword v14, v[18:19], off offset:512
	;; [unrolled: 1-line block ×5, first 2 shown]
	s_nop 0
	global_load_dword v18, v[18:19], off offset:1536
	s_mov_b64 s[36:37], -1
	s_movk_i32 s40, 0x800
	s_cbranch_execz .LBB1462_72
	s_branch .LBB1462_81
.LBB1462_71:                            ;   in Loop: Header=BB1462_69 Depth=2
	s_mov_b64 s[36:37], 0
                                        ; implicit-def: $vgpr12_vgpr13_vgpr14_vgpr15_vgpr16_vgpr17_vgpr18_vgpr19
	s_movk_i32 s40, 0x800
.LBB1462_72:                            ;   in Loop: Header=BB1462_69 Depth=2
	s_lshl_b64 s[36:37], s[58:59], 2
	v_mov_b32_e32 v4, s37
	v_add_co_u32_e32 v30, vcc, s36, v98
	s_waitcnt vmcnt(6)
	v_mov_b32_e32 v12, v11
	s_waitcnt vmcnt(5)
	v_mov_b32_e32 v13, v11
	;; [unrolled: 2-line block ×7, first 2 shown]
	v_addc_co_u32_e32 v31, vcc, v99, v4, vcc
	v_mov_b32_e32 v19, v18
	v_cmp_gt_u32_e32 vcc, s71, v84
	v_mov_b32_e32 v18, v17
	v_mov_b32_e32 v17, v16
	;; [unrolled: 1-line block ×7, first 2 shown]
	s_and_saveexec_b64 s[36:37], vcc
	s_cbranch_execnz .LBB1462_175
; %bb.73:                               ;   in Loop: Header=BB1462_69 Depth=2
	s_or_b64 exec, exec, s[36:37]
	v_cmp_gt_u32_e32 vcc, s71, v91
	s_and_saveexec_b64 s[36:37], vcc
	s_cbranch_execnz .LBB1462_176
.LBB1462_74:                            ;   in Loop: Header=BB1462_69 Depth=2
	s_or_b64 exec, exec, s[36:37]
	v_cmp_gt_u32_e32 vcc, s71, v92
	s_and_saveexec_b64 s[36:37], vcc
	s_cbranch_execnz .LBB1462_177
.LBB1462_75:                            ;   in Loop: Header=BB1462_69 Depth=2
	s_or_b64 exec, exec, s[36:37]
	v_cmp_gt_u32_e32 vcc, s71, v93
	s_and_saveexec_b64 s[36:37], vcc
	s_cbranch_execnz .LBB1462_178
.LBB1462_76:                            ;   in Loop: Header=BB1462_69 Depth=2
	s_or_b64 exec, exec, s[36:37]
	v_cmp_gt_u32_e32 vcc, s71, v94
	s_and_saveexec_b64 s[36:37], vcc
	s_cbranch_execnz .LBB1462_179
.LBB1462_77:                            ;   in Loop: Header=BB1462_69 Depth=2
	s_or_b64 exec, exec, s[36:37]
	v_cmp_gt_u32_e32 vcc, s71, v95
	s_and_saveexec_b64 s[36:37], vcc
	s_cbranch_execnz .LBB1462_180
.LBB1462_78:                            ;   in Loop: Header=BB1462_69 Depth=2
	s_or_b64 exec, exec, s[36:37]
	v_cmp_gt_u32_e32 vcc, s71, v96
	s_and_saveexec_b64 s[36:37], vcc
	s_cbranch_execz .LBB1462_80
.LBB1462_79:                            ;   in Loop: Header=BB1462_69 Depth=2
	global_load_dword v18, v[30:31], off offset:1536
.LBB1462_80:                            ;   in Loop: Header=BB1462_69 Depth=2
	s_or_b64 exec, exec, s[36:37]
	s_sub_i32 s40, s80, s58
	v_cmp_gt_u32_e64 s[36:37], s71, v97
.LBB1462_81:                            ;   in Loop: Header=BB1462_69 Depth=2
	v_mov_b32_e32 v101, s71
	s_and_saveexec_b64 s[38:39], s[36:37]
	s_cbranch_execz .LBB1462_83
; %bb.82:                               ;   in Loop: Header=BB1462_69 Depth=2
	s_lshl_b64 s[36:37], s[58:59], 2
	v_mov_b32_e32 v4, s37
	v_add_co_u32_e32 v30, vcc, s36, v98
	v_addc_co_u32_e32 v31, vcc, v99, v4, vcc
	global_load_dword v19, v[30:31], off offset:1792
	v_mov_b32_e32 v101, s40
.LBB1462_83:                            ;   in Loop: Header=BB1462_69 Depth=2
	s_or_b64 exec, exec, s[38:39]
	s_waitcnt vmcnt(0)
	v_cmp_lt_i32_e32 vcc, -1, v12
	v_cndmask_b32_e32 v4, -1, v73, vcc
	v_xor_b32_e32 v102, v4, v12
	v_cmp_ne_u32_e32 vcc, s62, v102
	v_cndmask_b32_e32 v4, v73, v102, vcc
	v_lshrrev_b32_e32 v4, s63, v4
	v_and_b32_e32 v12, s70, v4
	v_and_b32_e32 v4, 1, v12
	v_add_co_u32_e32 v30, vcc, -1, v4
	v_addc_co_u32_e64 v31, s[36:37], 0, -1, vcc
	v_cmp_ne_u32_e32 vcc, 0, v4
	v_xor_b32_e32 v4, vcc_hi, v31
	v_and_b32_e32 v31, exec_hi, v4
	v_lshlrev_b32_e32 v4, 30, v12
	v_xor_b32_e32 v30, vcc_lo, v30
	v_cmp_gt_i64_e32 vcc, 0, v[3:4]
	v_not_b32_e32 v4, v4
	v_ashrrev_i32_e32 v4, 31, v4
	v_and_b32_e32 v30, exec_lo, v30
	v_xor_b32_e32 v105, vcc_hi, v4
	v_xor_b32_e32 v4, vcc_lo, v4
	v_and_b32_e32 v30, v30, v4
	v_lshlrev_b32_e32 v4, 29, v12
	v_cmp_gt_i64_e32 vcc, 0, v[3:4]
	v_not_b32_e32 v4, v4
	v_ashrrev_i32_e32 v4, 31, v4
	v_and_b32_e32 v31, v31, v105
	v_xor_b32_e32 v105, vcc_hi, v4
	v_xor_b32_e32 v4, vcc_lo, v4
	v_and_b32_e32 v30, v30, v4
	v_lshlrev_b32_e32 v4, 28, v12
	v_cmp_gt_i64_e32 vcc, 0, v[3:4]
	v_not_b32_e32 v4, v4
	v_ashrrev_i32_e32 v4, 31, v4
	v_and_b32_e32 v31, v31, v105
	;; [unrolled: 8-line block ×5, first 2 shown]
	v_xor_b32_e32 v105, vcc_hi, v4
	v_xor_b32_e32 v4, vcc_lo, v4
	v_and_b32_e32 v30, v30, v4
	v_lshlrev_b32_e32 v4, 24, v12
	v_cmp_gt_i64_e32 vcc, 0, v[3:4]
	v_not_b32_e32 v4, v4
	v_ashrrev_i32_e32 v4, 31, v4
	v_mul_u32_u24_e32 v106, 20, v12
	v_xor_b32_e32 v12, vcc_hi, v4
	v_xor_b32_e32 v4, vcc_lo, v4
	v_and_b32_e32 v31, v31, v105
	v_and_b32_e32 v30, v30, v4
	;; [unrolled: 1-line block ×3, first 2 shown]
	v_mbcnt_lo_u32_b32 v4, v30, 0
	v_mbcnt_hi_u32_b32 v105, v31, v4
	v_cmp_ne_u64_e32 vcc, 0, v[30:31]
	v_cmp_eq_u32_e64 s[36:37], 0, v105
	v_add_u32_e32 v104, 0x410, v49
	v_add_u32_e32 v103, 0x418, v49
	s_and_b64 s[38:39], vcc, s[36:37]
	v_add_u32_e32 v106, v100, v106
	ds_write2_b32 v104, v3, v3 offset1:1
	ds_write2_b32 v103, v3, v3 offset1:1
	ds_write_b32 v49, v3 offset:1056
	s_waitcnt lgkmcnt(0)
	s_barrier
	; wave barrier
	s_and_saveexec_b64 s[36:37], s[38:39]
; %bb.84:                               ;   in Loop: Header=BB1462_69 Depth=2
	v_bcnt_u32_b32 v4, v30, 0
	v_bcnt_u32_b32 v4, v31, v4
	ds_write_b32 v106, v4 offset:1040
; %bb.85:                               ;   in Loop: Header=BB1462_69 Depth=2
	s_or_b64 exec, exec, s[36:37]
	v_cmp_lt_i32_e32 vcc, -1, v13
	v_cndmask_b32_e32 v4, -1, v73, vcc
	v_xor_b32_e32 v30, v4, v13
	v_cmp_ne_u32_e32 vcc, s62, v30
	v_cndmask_b32_e32 v4, v73, v30, vcc
	v_lshrrev_b32_e32 v4, s63, v4
	v_and_b32_e32 v12, s70, v4
	v_mad_u32_u24 v4, v12, 20, v100
	; wave barrier
	ds_read_b32 v31, v4 offset:1040
	v_and_b32_e32 v4, 1, v12
	v_add_co_u32_e32 v13, vcc, -1, v4
	v_addc_co_u32_e64 v107, s[36:37], 0, -1, vcc
	v_cmp_ne_u32_e32 vcc, 0, v4
	v_xor_b32_e32 v4, vcc_hi, v107
	v_and_b32_e32 v107, exec_hi, v4
	v_lshlrev_b32_e32 v4, 30, v12
	v_xor_b32_e32 v13, vcc_lo, v13
	v_cmp_gt_i64_e32 vcc, 0, v[3:4]
	v_not_b32_e32 v4, v4
	v_ashrrev_i32_e32 v4, 31, v4
	v_and_b32_e32 v13, exec_lo, v13
	v_xor_b32_e32 v109, vcc_hi, v4
	v_xor_b32_e32 v4, vcc_lo, v4
	v_and_b32_e32 v13, v13, v4
	v_lshlrev_b32_e32 v4, 29, v12
	v_cmp_gt_i64_e32 vcc, 0, v[3:4]
	v_not_b32_e32 v4, v4
	v_ashrrev_i32_e32 v4, 31, v4
	v_and_b32_e32 v107, v107, v109
	v_xor_b32_e32 v109, vcc_hi, v4
	v_xor_b32_e32 v4, vcc_lo, v4
	v_and_b32_e32 v13, v13, v4
	v_lshlrev_b32_e32 v4, 28, v12
	v_cmp_gt_i64_e32 vcc, 0, v[3:4]
	v_not_b32_e32 v4, v4
	v_ashrrev_i32_e32 v4, 31, v4
	v_and_b32_e32 v107, v107, v109
	;; [unrolled: 8-line block ×5, first 2 shown]
	v_xor_b32_e32 v109, vcc_hi, v4
	v_xor_b32_e32 v4, vcc_lo, v4
	v_and_b32_e32 v107, v107, v109
	v_and_b32_e32 v109, v13, v4
	v_lshlrev_b32_e32 v4, 24, v12
	v_cmp_gt_i64_e32 vcc, 0, v[3:4]
	v_not_b32_e32 v4, v4
	v_ashrrev_i32_e32 v4, 31, v4
	v_mul_u32_u24_e32 v108, 20, v12
	v_xor_b32_e32 v12, vcc_hi, v4
	v_xor_b32_e32 v4, vcc_lo, v4
	v_and_b32_e32 v13, v107, v12
	v_and_b32_e32 v12, v109, v4
	v_mbcnt_lo_u32_b32 v4, v12, 0
	v_mbcnt_hi_u32_b32 v107, v13, v4
	v_cmp_ne_u64_e32 vcc, 0, v[12:13]
	v_cmp_eq_u32_e64 s[36:37], 0, v107
	s_and_b64 s[38:39], vcc, s[36:37]
	v_add_u32_e32 v110, v100, v108
	; wave barrier
	s_and_saveexec_b64 s[36:37], s[38:39]
	s_cbranch_execz .LBB1462_87
; %bb.86:                               ;   in Loop: Header=BB1462_69 Depth=2
	v_bcnt_u32_b32 v4, v12, 0
	v_bcnt_u32_b32 v4, v13, v4
	s_waitcnt lgkmcnt(0)
	v_add_u32_e32 v4, v31, v4
	ds_write_b32 v110, v4 offset:1040
.LBB1462_87:                            ;   in Loop: Header=BB1462_69 Depth=2
	s_or_b64 exec, exec, s[36:37]
	v_cmp_lt_i32_e32 vcc, -1, v14
	v_cndmask_b32_e32 v4, -1, v73, vcc
	v_xor_b32_e32 v108, v4, v14
	v_cmp_ne_u32_e32 vcc, s62, v108
	v_cndmask_b32_e32 v4, v73, v108, vcc
	v_lshrrev_b32_e32 v4, s63, v4
	v_and_b32_e32 v12, s70, v4
	v_mad_u32_u24 v4, v12, 20, v100
	; wave barrier
	ds_read_b32 v109, v4 offset:1040
	v_and_b32_e32 v4, 1, v12
	v_add_co_u32_e32 v13, vcc, -1, v4
	v_addc_co_u32_e64 v111, s[36:37], 0, -1, vcc
	v_cmp_ne_u32_e32 vcc, 0, v4
	v_xor_b32_e32 v4, vcc_hi, v111
	v_and_b32_e32 v111, exec_hi, v4
	v_lshlrev_b32_e32 v4, 30, v12
	v_xor_b32_e32 v13, vcc_lo, v13
	v_cmp_gt_i64_e32 vcc, 0, v[3:4]
	v_not_b32_e32 v4, v4
	v_ashrrev_i32_e32 v4, 31, v4
	v_and_b32_e32 v13, exec_lo, v13
	v_xor_b32_e32 v112, vcc_hi, v4
	v_xor_b32_e32 v4, vcc_lo, v4
	v_and_b32_e32 v13, v13, v4
	v_lshlrev_b32_e32 v4, 29, v12
	v_cmp_gt_i64_e32 vcc, 0, v[3:4]
	v_not_b32_e32 v4, v4
	v_ashrrev_i32_e32 v4, 31, v4
	v_and_b32_e32 v111, v111, v112
	v_xor_b32_e32 v112, vcc_hi, v4
	v_xor_b32_e32 v4, vcc_lo, v4
	v_and_b32_e32 v13, v13, v4
	v_lshlrev_b32_e32 v4, 28, v12
	v_cmp_gt_i64_e32 vcc, 0, v[3:4]
	v_not_b32_e32 v4, v4
	v_ashrrev_i32_e32 v4, 31, v4
	v_and_b32_e32 v111, v111, v112
	;; [unrolled: 8-line block ×5, first 2 shown]
	v_xor_b32_e32 v112, vcc_hi, v4
	v_xor_b32_e32 v4, vcc_lo, v4
	v_and_b32_e32 v111, v111, v112
	v_and_b32_e32 v112, v13, v4
	v_lshlrev_b32_e32 v4, 24, v12
	v_cmp_gt_i64_e32 vcc, 0, v[3:4]
	v_not_b32_e32 v4, v4
	v_ashrrev_i32_e32 v4, 31, v4
	v_mul_u32_u24_e32 v14, 20, v12
	v_xor_b32_e32 v12, vcc_hi, v4
	v_xor_b32_e32 v4, vcc_lo, v4
	v_and_b32_e32 v13, v111, v12
	v_and_b32_e32 v12, v112, v4
	v_mbcnt_lo_u32_b32 v4, v12, 0
	v_mbcnt_hi_u32_b32 v111, v13, v4
	v_cmp_ne_u64_e32 vcc, 0, v[12:13]
	v_cmp_eq_u32_e64 s[36:37], 0, v111
	s_and_b64 s[38:39], vcc, s[36:37]
	v_add_u32_e32 v114, v100, v14
	; wave barrier
	s_and_saveexec_b64 s[36:37], s[38:39]
	s_cbranch_execz .LBB1462_89
; %bb.88:                               ;   in Loop: Header=BB1462_69 Depth=2
	v_bcnt_u32_b32 v4, v12, 0
	v_bcnt_u32_b32 v4, v13, v4
	s_waitcnt lgkmcnt(0)
	v_add_u32_e32 v4, v109, v4
	ds_write_b32 v114, v4 offset:1040
.LBB1462_89:                            ;   in Loop: Header=BB1462_69 Depth=2
	s_or_b64 exec, exec, s[36:37]
	v_cmp_lt_i32_e32 vcc, -1, v15
	v_cndmask_b32_e32 v4, -1, v73, vcc
	v_xor_b32_e32 v112, v4, v15
	v_cmp_ne_u32_e32 vcc, s62, v112
	v_cndmask_b32_e32 v4, v73, v112, vcc
	v_lshrrev_b32_e32 v4, s63, v4
	v_and_b32_e32 v12, s70, v4
	v_mad_u32_u24 v4, v12, 20, v100
	; wave barrier
	ds_read_b32 v113, v4 offset:1040
	v_and_b32_e32 v4, 1, v12
	v_add_co_u32_e32 v13, vcc, -1, v4
	v_addc_co_u32_e64 v15, s[36:37], 0, -1, vcc
	v_cmp_ne_u32_e32 vcc, 0, v4
	v_xor_b32_e32 v4, vcc_hi, v15
	v_and_b32_e32 v15, exec_hi, v4
	v_lshlrev_b32_e32 v4, 30, v12
	v_xor_b32_e32 v13, vcc_lo, v13
	v_cmp_gt_i64_e32 vcc, 0, v[3:4]
	v_not_b32_e32 v4, v4
	v_ashrrev_i32_e32 v4, 31, v4
	v_and_b32_e32 v13, exec_lo, v13
	v_xor_b32_e32 v115, vcc_hi, v4
	v_xor_b32_e32 v4, vcc_lo, v4
	v_and_b32_e32 v13, v13, v4
	v_lshlrev_b32_e32 v4, 29, v12
	v_cmp_gt_i64_e32 vcc, 0, v[3:4]
	v_not_b32_e32 v4, v4
	v_ashrrev_i32_e32 v4, 31, v4
	v_and_b32_e32 v15, v15, v115
	v_xor_b32_e32 v115, vcc_hi, v4
	v_xor_b32_e32 v4, vcc_lo, v4
	v_and_b32_e32 v13, v13, v4
	v_lshlrev_b32_e32 v4, 28, v12
	v_cmp_gt_i64_e32 vcc, 0, v[3:4]
	v_not_b32_e32 v4, v4
	v_ashrrev_i32_e32 v4, 31, v4
	v_and_b32_e32 v15, v15, v115
	;; [unrolled: 8-line block ×5, first 2 shown]
	v_xor_b32_e32 v115, vcc_hi, v4
	v_xor_b32_e32 v4, vcc_lo, v4
	v_and_b32_e32 v15, v15, v115
	v_and_b32_e32 v115, v13, v4
	v_lshlrev_b32_e32 v4, 24, v12
	v_cmp_gt_i64_e32 vcc, 0, v[3:4]
	v_not_b32_e32 v4, v4
	v_ashrrev_i32_e32 v4, 31, v4
	v_mul_u32_u24_e32 v14, 20, v12
	v_xor_b32_e32 v12, vcc_hi, v4
	v_xor_b32_e32 v4, vcc_lo, v4
	v_and_b32_e32 v13, v15, v12
	v_and_b32_e32 v12, v115, v4
	v_mbcnt_lo_u32_b32 v4, v12, 0
	v_mbcnt_hi_u32_b32 v115, v13, v4
	v_cmp_ne_u64_e32 vcc, 0, v[12:13]
	v_cmp_eq_u32_e64 s[36:37], 0, v115
	s_and_b64 s[38:39], vcc, s[36:37]
	v_add_u32_e32 v117, v100, v14
	; wave barrier
	s_and_saveexec_b64 s[36:37], s[38:39]
	s_cbranch_execz .LBB1462_91
; %bb.90:                               ;   in Loop: Header=BB1462_69 Depth=2
	v_bcnt_u32_b32 v4, v12, 0
	v_bcnt_u32_b32 v4, v13, v4
	s_waitcnt lgkmcnt(0)
	v_add_u32_e32 v4, v113, v4
	ds_write_b32 v117, v4 offset:1040
.LBB1462_91:                            ;   in Loop: Header=BB1462_69 Depth=2
	s_or_b64 exec, exec, s[36:37]
	v_cmp_lt_i32_e32 vcc, -1, v16
	v_cndmask_b32_e32 v4, -1, v73, vcc
	v_xor_b32_e32 v116, v4, v16
	v_cmp_ne_u32_e32 vcc, s62, v116
	v_cndmask_b32_e32 v4, v73, v116, vcc
	v_lshrrev_b32_e32 v4, s63, v4
	v_and_b32_e32 v12, s70, v4
	v_mad_u32_u24 v4, v12, 20, v100
	; wave barrier
	ds_read_b32 v16, v4 offset:1040
	v_and_b32_e32 v4, 1, v12
	v_add_co_u32_e32 v13, vcc, -1, v4
	v_addc_co_u32_e64 v15, s[36:37], 0, -1, vcc
	v_cmp_ne_u32_e32 vcc, 0, v4
	v_xor_b32_e32 v4, vcc_hi, v15
	v_and_b32_e32 v15, exec_hi, v4
	v_lshlrev_b32_e32 v4, 30, v12
	v_xor_b32_e32 v13, vcc_lo, v13
	v_cmp_gt_i64_e32 vcc, 0, v[3:4]
	v_not_b32_e32 v4, v4
	v_ashrrev_i32_e32 v4, 31, v4
	v_and_b32_e32 v13, exec_lo, v13
	v_xor_b32_e32 v118, vcc_hi, v4
	v_xor_b32_e32 v4, vcc_lo, v4
	v_and_b32_e32 v13, v13, v4
	v_lshlrev_b32_e32 v4, 29, v12
	v_cmp_gt_i64_e32 vcc, 0, v[3:4]
	v_not_b32_e32 v4, v4
	v_ashrrev_i32_e32 v4, 31, v4
	v_and_b32_e32 v15, v15, v118
	v_xor_b32_e32 v118, vcc_hi, v4
	v_xor_b32_e32 v4, vcc_lo, v4
	v_and_b32_e32 v13, v13, v4
	v_lshlrev_b32_e32 v4, 28, v12
	v_cmp_gt_i64_e32 vcc, 0, v[3:4]
	v_not_b32_e32 v4, v4
	v_ashrrev_i32_e32 v4, 31, v4
	v_and_b32_e32 v15, v15, v118
	v_xor_b32_e32 v118, vcc_hi, v4
	v_xor_b32_e32 v4, vcc_lo, v4
	v_and_b32_e32 v13, v13, v4
	v_lshlrev_b32_e32 v4, 27, v12
	v_cmp_gt_i64_e32 vcc, 0, v[3:4]
	v_not_b32_e32 v4, v4
	v_ashrrev_i32_e32 v4, 31, v4
	v_and_b32_e32 v15, v15, v118
	v_xor_b32_e32 v118, vcc_hi, v4
	v_xor_b32_e32 v4, vcc_lo, v4
	v_and_b32_e32 v13, v13, v4
	v_lshlrev_b32_e32 v4, 26, v12
	v_cmp_gt_i64_e32 vcc, 0, v[3:4]
	v_not_b32_e32 v4, v4
	v_ashrrev_i32_e32 v4, 31, v4
	v_and_b32_e32 v15, v15, v118
	v_xor_b32_e32 v118, vcc_hi, v4
	v_xor_b32_e32 v4, vcc_lo, v4
	v_and_b32_e32 v13, v13, v4
	v_lshlrev_b32_e32 v4, 25, v12
	v_cmp_gt_i64_e32 vcc, 0, v[3:4]
	v_not_b32_e32 v4, v4
	v_ashrrev_i32_e32 v4, 31, v4
	v_and_b32_e32 v15, v15, v118
	v_xor_b32_e32 v118, vcc_hi, v4
	v_xor_b32_e32 v4, vcc_lo, v4
	v_and_b32_e32 v15, v15, v118
	v_and_b32_e32 v118, v13, v4
	v_lshlrev_b32_e32 v4, 24, v12
	v_cmp_gt_i64_e32 vcc, 0, v[3:4]
	v_not_b32_e32 v4, v4
	v_ashrrev_i32_e32 v4, 31, v4
	v_mul_u32_u24_e32 v14, 20, v12
	v_xor_b32_e32 v12, vcc_hi, v4
	v_xor_b32_e32 v4, vcc_lo, v4
	v_and_b32_e32 v13, v15, v12
	v_and_b32_e32 v12, v118, v4
	v_mbcnt_lo_u32_b32 v4, v12, 0
	v_mbcnt_hi_u32_b32 v118, v13, v4
	v_cmp_ne_u64_e32 vcc, 0, v[12:13]
	v_cmp_eq_u32_e64 s[36:37], 0, v118
	s_and_b64 s[38:39], vcc, s[36:37]
	v_add_u32_e32 v121, v100, v14
	; wave barrier
	s_and_saveexec_b64 s[36:37], s[38:39]
	s_cbranch_execz .LBB1462_93
; %bb.92:                               ;   in Loop: Header=BB1462_69 Depth=2
	v_bcnt_u32_b32 v4, v12, 0
	v_bcnt_u32_b32 v4, v13, v4
	s_waitcnt lgkmcnt(0)
	v_add_u32_e32 v4, v16, v4
	ds_write_b32 v121, v4 offset:1040
.LBB1462_93:                            ;   in Loop: Header=BB1462_69 Depth=2
	s_or_b64 exec, exec, s[36:37]
	v_cmp_lt_i32_e32 vcc, -1, v17
	v_cndmask_b32_e32 v4, -1, v73, vcc
	v_xor_b32_e32 v119, v4, v17
	v_cmp_ne_u32_e32 vcc, s62, v119
	v_cndmask_b32_e32 v4, v73, v119, vcc
	v_lshrrev_b32_e32 v4, s63, v4
	v_and_b32_e32 v12, s70, v4
	v_mad_u32_u24 v4, v12, 20, v100
	; wave barrier
	ds_read_b32 v120, v4 offset:1040
	v_and_b32_e32 v4, 1, v12
	v_add_co_u32_e32 v13, vcc, -1, v4
	v_addc_co_u32_e64 v15, s[36:37], 0, -1, vcc
	v_cmp_ne_u32_e32 vcc, 0, v4
	v_xor_b32_e32 v4, vcc_hi, v15
	v_and_b32_e32 v15, exec_hi, v4
	v_lshlrev_b32_e32 v4, 30, v12
	v_xor_b32_e32 v13, vcc_lo, v13
	v_cmp_gt_i64_e32 vcc, 0, v[3:4]
	v_not_b32_e32 v4, v4
	v_ashrrev_i32_e32 v4, 31, v4
	v_and_b32_e32 v13, exec_lo, v13
	v_xor_b32_e32 v17, vcc_hi, v4
	v_xor_b32_e32 v4, vcc_lo, v4
	v_and_b32_e32 v13, v13, v4
	v_lshlrev_b32_e32 v4, 29, v12
	v_cmp_gt_i64_e32 vcc, 0, v[3:4]
	v_not_b32_e32 v4, v4
	v_ashrrev_i32_e32 v4, 31, v4
	v_and_b32_e32 v15, v15, v17
	v_xor_b32_e32 v17, vcc_hi, v4
	v_xor_b32_e32 v4, vcc_lo, v4
	v_and_b32_e32 v13, v13, v4
	v_lshlrev_b32_e32 v4, 28, v12
	v_cmp_gt_i64_e32 vcc, 0, v[3:4]
	v_not_b32_e32 v4, v4
	v_ashrrev_i32_e32 v4, 31, v4
	v_and_b32_e32 v15, v15, v17
	;; [unrolled: 8-line block ×5, first 2 shown]
	v_xor_b32_e32 v17, vcc_hi, v4
	v_xor_b32_e32 v4, vcc_lo, v4
	v_and_b32_e32 v15, v15, v17
	v_and_b32_e32 v17, v13, v4
	v_lshlrev_b32_e32 v4, 24, v12
	v_cmp_gt_i64_e32 vcc, 0, v[3:4]
	v_not_b32_e32 v4, v4
	v_ashrrev_i32_e32 v4, 31, v4
	v_mul_u32_u24_e32 v14, 20, v12
	v_xor_b32_e32 v12, vcc_hi, v4
	v_xor_b32_e32 v4, vcc_lo, v4
	v_and_b32_e32 v13, v15, v12
	v_and_b32_e32 v12, v17, v4
	v_mbcnt_lo_u32_b32 v4, v12, 0
	v_mbcnt_hi_u32_b32 v122, v13, v4
	v_cmp_ne_u64_e32 vcc, 0, v[12:13]
	v_cmp_eq_u32_e64 s[36:37], 0, v122
	s_and_b64 s[38:39], vcc, s[36:37]
	v_add_u32_e32 v17, v100, v14
	; wave barrier
	s_and_saveexec_b64 s[36:37], s[38:39]
	s_cbranch_execz .LBB1462_95
; %bb.94:                               ;   in Loop: Header=BB1462_69 Depth=2
	v_bcnt_u32_b32 v4, v12, 0
	v_bcnt_u32_b32 v4, v13, v4
	s_waitcnt lgkmcnt(0)
	v_add_u32_e32 v4, v120, v4
	ds_write_b32 v17, v4 offset:1040
.LBB1462_95:                            ;   in Loop: Header=BB1462_69 Depth=2
	s_or_b64 exec, exec, s[36:37]
	v_cmp_lt_i32_e32 vcc, -1, v18
	v_cndmask_b32_e32 v4, -1, v73, vcc
	v_xor_b32_e32 v123, v4, v18
	v_cmp_ne_u32_e32 vcc, s62, v123
	v_cndmask_b32_e32 v4, v73, v123, vcc
	v_lshrrev_b32_e32 v4, s63, v4
	v_and_b32_e32 v12, s70, v4
	v_mad_u32_u24 v4, v12, 20, v100
	; wave barrier
	ds_read_b32 v124, v4 offset:1040
	v_and_b32_e32 v4, 1, v12
	v_add_co_u32_e32 v13, vcc, -1, v4
	v_addc_co_u32_e64 v15, s[36:37], 0, -1, vcc
	v_cmp_ne_u32_e32 vcc, 0, v4
	v_xor_b32_e32 v4, vcc_hi, v15
	v_and_b32_e32 v15, exec_hi, v4
	v_lshlrev_b32_e32 v4, 30, v12
	v_xor_b32_e32 v13, vcc_lo, v13
	v_cmp_gt_i64_e32 vcc, 0, v[3:4]
	v_not_b32_e32 v4, v4
	v_ashrrev_i32_e32 v4, 31, v4
	v_and_b32_e32 v13, exec_lo, v13
	v_xor_b32_e32 v18, vcc_hi, v4
	v_xor_b32_e32 v4, vcc_lo, v4
	v_and_b32_e32 v13, v13, v4
	v_lshlrev_b32_e32 v4, 29, v12
	v_cmp_gt_i64_e32 vcc, 0, v[3:4]
	v_not_b32_e32 v4, v4
	v_ashrrev_i32_e32 v4, 31, v4
	v_and_b32_e32 v15, v15, v18
	v_xor_b32_e32 v18, vcc_hi, v4
	v_xor_b32_e32 v4, vcc_lo, v4
	v_and_b32_e32 v13, v13, v4
	v_lshlrev_b32_e32 v4, 28, v12
	v_cmp_gt_i64_e32 vcc, 0, v[3:4]
	v_not_b32_e32 v4, v4
	v_ashrrev_i32_e32 v4, 31, v4
	v_and_b32_e32 v15, v15, v18
	;; [unrolled: 8-line block ×5, first 2 shown]
	v_xor_b32_e32 v18, vcc_hi, v4
	v_xor_b32_e32 v4, vcc_lo, v4
	v_and_b32_e32 v15, v15, v18
	v_and_b32_e32 v18, v13, v4
	v_lshlrev_b32_e32 v4, 24, v12
	v_cmp_gt_i64_e32 vcc, 0, v[3:4]
	v_not_b32_e32 v4, v4
	v_ashrrev_i32_e32 v4, 31, v4
	v_mul_u32_u24_e32 v14, 20, v12
	v_xor_b32_e32 v12, vcc_hi, v4
	v_xor_b32_e32 v4, vcc_lo, v4
	v_and_b32_e32 v13, v15, v12
	v_and_b32_e32 v12, v18, v4
	v_mbcnt_lo_u32_b32 v4, v12, 0
	v_mbcnt_hi_u32_b32 v125, v13, v4
	v_cmp_ne_u64_e32 vcc, 0, v[12:13]
	v_cmp_eq_u32_e64 s[36:37], 0, v125
	s_and_b64 s[38:39], vcc, s[36:37]
	v_add_u32_e32 v18, v100, v14
	; wave barrier
	s_and_saveexec_b64 s[36:37], s[38:39]
	s_cbranch_execz .LBB1462_97
; %bb.96:                               ;   in Loop: Header=BB1462_69 Depth=2
	v_bcnt_u32_b32 v4, v12, 0
	v_bcnt_u32_b32 v4, v13, v4
	s_waitcnt lgkmcnt(0)
	v_add_u32_e32 v4, v124, v4
	ds_write_b32 v18, v4 offset:1040
.LBB1462_97:                            ;   in Loop: Header=BB1462_69 Depth=2
	s_or_b64 exec, exec, s[36:37]
	v_cmp_lt_i32_e32 vcc, -1, v19
	v_cndmask_b32_e32 v4, -1, v73, vcc
	v_xor_b32_e32 v126, v4, v19
	v_cmp_ne_u32_e32 vcc, s62, v126
	v_cndmask_b32_e32 v4, v73, v126, vcc
	v_lshrrev_b32_e32 v4, s63, v4
	v_and_b32_e32 v12, s70, v4
	v_mad_u32_u24 v4, v12, 20, v100
	; wave barrier
	ds_read_b32 v127, v4 offset:1040
	v_and_b32_e32 v4, 1, v12
	v_add_co_u32_e32 v13, vcc, -1, v4
	v_addc_co_u32_e64 v15, s[36:37], 0, -1, vcc
	v_cmp_ne_u32_e32 vcc, 0, v4
	v_xor_b32_e32 v4, vcc_hi, v15
	v_and_b32_e32 v15, exec_hi, v4
	v_lshlrev_b32_e32 v4, 30, v12
	v_xor_b32_e32 v13, vcc_lo, v13
	v_cmp_gt_i64_e32 vcc, 0, v[3:4]
	v_not_b32_e32 v4, v4
	v_ashrrev_i32_e32 v4, 31, v4
	v_and_b32_e32 v13, exec_lo, v13
	v_xor_b32_e32 v19, vcc_hi, v4
	v_xor_b32_e32 v4, vcc_lo, v4
	v_and_b32_e32 v13, v13, v4
	v_lshlrev_b32_e32 v4, 29, v12
	v_cmp_gt_i64_e32 vcc, 0, v[3:4]
	v_not_b32_e32 v4, v4
	v_ashrrev_i32_e32 v4, 31, v4
	v_and_b32_e32 v15, v15, v19
	v_xor_b32_e32 v19, vcc_hi, v4
	v_xor_b32_e32 v4, vcc_lo, v4
	v_and_b32_e32 v13, v13, v4
	v_lshlrev_b32_e32 v4, 28, v12
	v_cmp_gt_i64_e32 vcc, 0, v[3:4]
	v_not_b32_e32 v4, v4
	v_ashrrev_i32_e32 v4, 31, v4
	v_and_b32_e32 v15, v15, v19
	;; [unrolled: 8-line block ×5, first 2 shown]
	v_xor_b32_e32 v19, vcc_hi, v4
	v_xor_b32_e32 v4, vcc_lo, v4
	v_and_b32_e32 v15, v15, v19
	v_and_b32_e32 v19, v13, v4
	v_lshlrev_b32_e32 v4, 24, v12
	v_cmp_gt_i64_e32 vcc, 0, v[3:4]
	v_not_b32_e32 v4, v4
	v_ashrrev_i32_e32 v4, 31, v4
	v_mul_u32_u24_e32 v14, 20, v12
	v_xor_b32_e32 v12, vcc_hi, v4
	v_xor_b32_e32 v4, vcc_lo, v4
	v_and_b32_e32 v13, v15, v12
	v_and_b32_e32 v12, v19, v4
	v_mbcnt_lo_u32_b32 v4, v12, 0
	v_mbcnt_hi_u32_b32 v128, v13, v4
	v_cmp_ne_u64_e32 vcc, 0, v[12:13]
	v_cmp_eq_u32_e64 s[36:37], 0, v128
	s_and_b64 s[38:39], vcc, s[36:37]
	v_add_u32_e32 v4, v100, v14
	; wave barrier
	s_and_saveexec_b64 s[36:37], s[38:39]
	s_cbranch_execz .LBB1462_99
; %bb.98:                               ;   in Loop: Header=BB1462_69 Depth=2
	v_bcnt_u32_b32 v12, v12, 0
	v_bcnt_u32_b32 v12, v13, v12
	s_waitcnt lgkmcnt(0)
	v_add_u32_e32 v12, v127, v12
	ds_write_b32 v4, v12 offset:1040
.LBB1462_99:                            ;   in Loop: Header=BB1462_69 Depth=2
	s_or_b64 exec, exec, s[36:37]
	; wave barrier
	s_waitcnt lgkmcnt(0)
	s_barrier
	ds_read2_b32 v[14:15], v104 offset1:1
	ds_read2_b32 v[12:13], v103 offset1:1
	ds_read_b32 v19, v49 offset:1056
	s_waitcnt lgkmcnt(1)
	v_add3_u32 v129, v15, v14, v12
	s_waitcnt lgkmcnt(0)
	v_add3_u32 v19, v129, v13, v19
	s_nop 1
	v_mov_b32_dpp v129, v19 row_shr:1 row_mask:0xf bank_mask:0xf
	v_cndmask_b32_e64 v129, v129, 0, s[16:17]
	v_add_u32_e32 v19, v129, v19
	s_nop 1
	v_mov_b32_dpp v129, v19 row_shr:2 row_mask:0xf bank_mask:0xf
	v_cndmask_b32_e64 v129, 0, v129, s[18:19]
	v_add_u32_e32 v19, v19, v129
	;; [unrolled: 4-line block ×4, first 2 shown]
	s_nop 1
	v_mov_b32_dpp v129, v19 row_bcast:15 row_mask:0xf bank_mask:0xf
	v_cndmask_b32_e64 v129, v129, 0, s[24:25]
	v_add_u32_e32 v19, v19, v129
	s_nop 1
	v_mov_b32_dpp v129, v19 row_bcast:31 row_mask:0xf bank_mask:0xf
	v_cndmask_b32_e64 v129, 0, v129, s[26:27]
	v_add_u32_e32 v19, v19, v129
	s_and_saveexec_b64 s[36:37], s[6:7]
; %bb.100:                              ;   in Loop: Header=BB1462_69 Depth=2
	ds_write_b32 v44, v19 offset:1024
; %bb.101:                              ;   in Loop: Header=BB1462_69 Depth=2
	s_or_b64 exec, exec, s[36:37]
	s_waitcnt lgkmcnt(0)
	s_barrier
	s_and_saveexec_b64 s[36:37], s[8:9]
	s_cbranch_execz .LBB1462_103
; %bb.102:                              ;   in Loop: Header=BB1462_69 Depth=2
	ds_read_b32 v129, v50 offset:1024
	s_waitcnt lgkmcnt(0)
	s_nop 0
	v_mov_b32_dpp v130, v129 row_shr:1 row_mask:0xf bank_mask:0xf
	v_cndmask_b32_e64 v130, v130, 0, s[30:31]
	v_add_u32_e32 v129, v130, v129
	s_nop 1
	v_mov_b32_dpp v130, v129 row_shr:2 row_mask:0xf bank_mask:0xf
	v_cndmask_b32_e64 v130, 0, v130, s[34:35]
	v_add_u32_e32 v129, v129, v130
	ds_write_b32 v50, v129 offset:1024
.LBB1462_103:                           ;   in Loop: Header=BB1462_69 Depth=2
	s_or_b64 exec, exec, s[36:37]
	v_mov_b32_e32 v129, 0
	s_waitcnt lgkmcnt(0)
	s_barrier
	s_and_saveexec_b64 s[36:37], s[10:11]
; %bb.104:                              ;   in Loop: Header=BB1462_69 Depth=2
	ds_read_b32 v129, v44 offset:1020
; %bb.105:                              ;   in Loop: Header=BB1462_69 Depth=2
	s_or_b64 exec, exec, s[36:37]
	s_waitcnt lgkmcnt(0)
	v_add_u32_e32 v19, v129, v19
	ds_bpermute_b32 v19, v79, v19
	s_waitcnt lgkmcnt(0)
	v_cndmask_b32_e64 v19, v19, v129, s[28:29]
	v_cndmask_b32_e64 v19, v19, 0, s[12:13]
	v_add_u32_e32 v14, v19, v14
	v_add_u32_e32 v15, v14, v15
	v_add_u32_e32 v12, v15, v12
	v_add_u32_e32 v13, v12, v13
	ds_write2_b32 v104, v19, v14 offset1:1
	ds_write2_b32 v103, v15, v12 offset1:1
	ds_write_b32 v49, v13 offset:1056
	s_waitcnt lgkmcnt(0)
	s_barrier
	ds_read_b32 v12, v106 offset:1040
	ds_read_b32 v13, v110 offset:1040
	;; [unrolled: 1-line block ×9, first 2 shown]
	v_mov_b32_e32 v4, 0x800
	s_and_saveexec_b64 s[36:37], s[14:15]
; %bb.106:                              ;   in Loop: Header=BB1462_69 Depth=2
	ds_read_b32 v4, v49 offset:1060
; %bb.107:                              ;   in Loop: Header=BB1462_69 Depth=2
	s_or_b64 exec, exec, s[36:37]
	s_waitcnt lgkmcnt(0)
	s_barrier
	s_and_saveexec_b64 s[36:37], s[4:5]
	s_cbranch_execz .LBB1462_109
; %bb.108:                              ;   in Loop: Header=BB1462_69 Depth=2
	ds_read_b32 v18, v32
	s_waitcnt lgkmcnt(0)
	v_sub_u32_e32 v17, v18, v17
	ds_write_b32 v32, v17
.LBB1462_109:                           ;   in Loop: Header=BB1462_69 Depth=2
	s_or_b64 exec, exec, s[36:37]
	v_add_u32_e32 v103, v12, v105
	v_add3_u32 v31, v107, v31, v13
	v_lshlrev_b32_e32 v12, 2, v103
	v_add3_u32 v19, v111, v109, v14
	ds_write_b32 v12, v102 offset:1024
	v_lshlrev_b32_e32 v12, 2, v31
	v_add3_u32 v18, v115, v113, v15
	ds_write_b32 v12, v30 offset:1024
	;; [unrolled: 3-line block ×6, first 2 shown]
	v_lshlrev_b32_e32 v12, 2, v15
	ds_write_b32 v12, v123 offset:1024
	v_lshlrev_b32_e32 v12, 2, v14
	v_cmp_lt_u32_e32 vcc, v0, v101
	ds_write_b32 v12, v126 offset:1024
	s_waitcnt lgkmcnt(0)
	s_barrier
	s_and_saveexec_b64 s[38:39], vcc
	s_cbranch_execnz .LBB1462_146
; %bb.110:                              ;   in Loop: Header=BB1462_69 Depth=2
	s_or_b64 exec, exec, s[38:39]
	v_cmp_lt_u32_e64 s[36:37], v33, v101
	s_and_saveexec_b64 s[40:41], s[36:37]
	s_cbranch_execnz .LBB1462_147
.LBB1462_111:                           ;   in Loop: Header=BB1462_69 Depth=2
	s_or_b64 exec, exec, s[40:41]
	v_cmp_lt_u32_e64 s[38:39], v34, v101
	s_and_saveexec_b64 s[42:43], s[38:39]
	s_cbranch_execnz .LBB1462_148
.LBB1462_112:                           ;   in Loop: Header=BB1462_69 Depth=2
	s_or_b64 exec, exec, s[42:43]
	v_cmp_lt_u32_e64 s[40:41], v35, v101
	s_and_saveexec_b64 s[44:45], s[40:41]
	s_cbranch_execnz .LBB1462_149
.LBB1462_113:                           ;   in Loop: Header=BB1462_69 Depth=2
	s_or_b64 exec, exec, s[44:45]
	v_cmp_lt_u32_e64 s[42:43], v38, v101
	s_and_saveexec_b64 s[46:47], s[42:43]
	s_cbranch_execnz .LBB1462_150
.LBB1462_114:                           ;   in Loop: Header=BB1462_69 Depth=2
	s_or_b64 exec, exec, s[46:47]
	v_cmp_lt_u32_e64 s[44:45], v39, v101
	s_and_saveexec_b64 s[48:49], s[44:45]
	s_cbranch_execnz .LBB1462_151
.LBB1462_115:                           ;   in Loop: Header=BB1462_69 Depth=2
	s_or_b64 exec, exec, s[48:49]
	v_cmp_lt_u32_e64 s[46:47], v40, v101
	s_and_saveexec_b64 s[52:53], s[46:47]
	s_cbranch_execnz .LBB1462_152
.LBB1462_116:                           ;   in Loop: Header=BB1462_69 Depth=2
	s_or_b64 exec, exec, s[52:53]
	v_cmp_lt_u32_e64 s[48:49], v41, v101
	s_and_saveexec_b64 s[60:61], s[48:49]
	s_cbranch_execz .LBB1462_118
.LBB1462_117:                           ;   in Loop: Header=BB1462_69 Depth=2
	ds_read_b32 v12, v50 offset:8192
	v_mov_b32_e32 v13, v3
	v_mov_b32_e32 v102, s67
	s_waitcnt lgkmcnt(0)
	v_cmp_ne_u32_e64 s[52:53], s62, v12
	v_cndmask_b32_e64 v30, v73, v12, s[52:53]
	v_lshrrev_b32_e32 v30, s63, v30
	v_and_b32_e32 v30, s70, v30
	v_lshlrev_b32_e32 v30, 2, v30
	ds_read_b32 v30, v30
	v_cmp_lt_i32_e64 s[52:53], -1, v12
	v_cndmask_b32_e64 v104, v73, -1, s[52:53]
	v_xor_b32_e32 v104, v104, v12
	s_waitcnt lgkmcnt(0)
	v_add_u32_e32 v12, v30, v41
	v_lshlrev_b64 v[12:13], 2, v[12:13]
	v_add_co_u32_e64 v12, s[52:53], s66, v12
	v_addc_co_u32_e64 v13, s[52:53], v102, v13, s[52:53]
	global_store_dword v[12:13], v104, off
.LBB1462_118:                           ;   in Loop: Header=BB1462_69 Depth=2
	s_or_b64 exec, exec, s[60:61]
	s_lshl_b64 s[52:53], s[58:59], 3
	v_mov_b32_e32 v13, s53
	v_add_co_u32_e64 v12, s[52:53], s52, v87
	v_addc_co_u32_e64 v13, s[52:53], v89, v13, s[52:53]
	v_cmp_lt_u32_e64 s[52:53], v84, v101
	s_and_saveexec_b64 s[60:61], s[52:53]
	s_xor_b64 s[52:53], exec, s[60:61]
	s_cbranch_execnz .LBB1462_153
; %bb.119:                              ;   in Loop: Header=BB1462_69 Depth=2
	s_or_b64 exec, exec, s[52:53]
	v_cmp_lt_u32_e64 s[52:53], v91, v101
	s_and_saveexec_b64 s[60:61], s[52:53]
	s_cbranch_execnz .LBB1462_154
.LBB1462_120:                           ;   in Loop: Header=BB1462_69 Depth=2
	s_or_b64 exec, exec, s[60:61]
	v_cmp_lt_u32_e64 s[52:53], v92, v101
	s_and_saveexec_b64 s[60:61], s[52:53]
	s_cbranch_execnz .LBB1462_155
.LBB1462_121:                           ;   in Loop: Header=BB1462_69 Depth=2
	s_or_b64 exec, exec, s[60:61]
	v_cmp_lt_u32_e64 s[52:53], v93, v101
	s_and_saveexec_b64 s[60:61], s[52:53]
	s_cbranch_execnz .LBB1462_156
.LBB1462_122:                           ;   in Loop: Header=BB1462_69 Depth=2
	s_or_b64 exec, exec, s[60:61]
	v_cmp_lt_u32_e64 s[52:53], v94, v101
	s_and_saveexec_b64 s[60:61], s[52:53]
	s_cbranch_execnz .LBB1462_157
.LBB1462_123:                           ;   in Loop: Header=BB1462_69 Depth=2
	s_or_b64 exec, exec, s[60:61]
	v_cmp_lt_u32_e64 s[52:53], v95, v101
	s_and_saveexec_b64 s[60:61], s[52:53]
	s_cbranch_execnz .LBB1462_158
.LBB1462_124:                           ;   in Loop: Header=BB1462_69 Depth=2
	s_or_b64 exec, exec, s[60:61]
	v_cmp_lt_u32_e64 s[52:53], v96, v101
	s_and_saveexec_b64 s[60:61], s[52:53]
	s_cbranch_execnz .LBB1462_159
.LBB1462_125:                           ;   in Loop: Header=BB1462_69 Depth=2
	s_or_b64 exec, exec, s[60:61]
	v_cmp_lt_u32_e64 s[52:53], v97, v101
	s_and_saveexec_b64 s[60:61], s[52:53]
	s_cbranch_execnz .LBB1462_160
.LBB1462_126:                           ;   in Loop: Header=BB1462_69 Depth=2
	s_or_b64 exec, exec, s[60:61]
	s_and_saveexec_b64 s[60:61], vcc
	s_cbranch_execnz .LBB1462_161
.LBB1462_127:                           ;   in Loop: Header=BB1462_69 Depth=2
	s_or_b64 exec, exec, s[60:61]
	s_and_saveexec_b64 s[60:61], s[36:37]
	s_cbranch_execnz .LBB1462_162
.LBB1462_128:                           ;   in Loop: Header=BB1462_69 Depth=2
	s_or_b64 exec, exec, s[60:61]
	s_and_saveexec_b64 s[60:61], s[38:39]
	s_cbranch_execnz .LBB1462_163
.LBB1462_129:                           ;   in Loop: Header=BB1462_69 Depth=2
	s_or_b64 exec, exec, s[60:61]
	s_and_saveexec_b64 s[60:61], s[40:41]
	s_cbranch_execnz .LBB1462_164
.LBB1462_130:                           ;   in Loop: Header=BB1462_69 Depth=2
	s_or_b64 exec, exec, s[60:61]
	s_and_saveexec_b64 s[60:61], s[42:43]
	s_cbranch_execnz .LBB1462_165
.LBB1462_131:                           ;   in Loop: Header=BB1462_69 Depth=2
	s_or_b64 exec, exec, s[60:61]
	s_and_saveexec_b64 s[60:61], s[44:45]
	s_cbranch_execnz .LBB1462_166
.LBB1462_132:                           ;   in Loop: Header=BB1462_69 Depth=2
	s_or_b64 exec, exec, s[60:61]
	s_and_saveexec_b64 s[60:61], s[46:47]
	s_cbranch_execnz .LBB1462_167
.LBB1462_133:                           ;   in Loop: Header=BB1462_69 Depth=2
	s_or_b64 exec, exec, s[60:61]
	s_and_saveexec_b64 s[60:61], s[48:49]
	s_cbranch_execz .LBB1462_135
.LBB1462_134:                           ;   in Loop: Header=BB1462_69 Depth=2
	ds_read_b32 v12, v50 offset:8192
	s_waitcnt lgkmcnt(0)
	v_cmp_ne_u32_e64 s[52:53], s62, v12
	v_cndmask_b32_e64 v12, v73, v12, s[52:53]
	v_lshrrev_b32_e32 v12, s63, v12
	v_and_b32_e32 v80, s70, v12
.LBB1462_135:                           ;   in Loop: Header=BB1462_69 Depth=2
	s_or_b64 exec, exec, s[60:61]
	v_lshlrev_b32_e32 v12, 3, v103
	s_waitcnt vmcnt(0)
	s_barrier
	ds_write_b64 v12, v[28:29] offset:1024
	v_lshlrev_b32_e32 v12, 3, v31
	ds_write_b64 v12, v[26:27] offset:1024
	v_lshlrev_b32_e32 v12, 3, v19
	;; [unrolled: 2-line block ×7, first 2 shown]
	ds_write_b64 v12, v[5:6] offset:1024
	s_waitcnt lgkmcnt(0)
	s_barrier
	s_and_saveexec_b64 s[52:53], vcc
	s_cbranch_execnz .LBB1462_168
; %bb.136:                              ;   in Loop: Header=BB1462_69 Depth=2
	s_or_b64 exec, exec, s[52:53]
	s_and_saveexec_b64 s[52:53], s[36:37]
	s_cbranch_execnz .LBB1462_169
.LBB1462_137:                           ;   in Loop: Header=BB1462_69 Depth=2
	s_or_b64 exec, exec, s[52:53]
	s_and_saveexec_b64 s[36:37], s[38:39]
	s_cbranch_execnz .LBB1462_170
.LBB1462_138:                           ;   in Loop: Header=BB1462_69 Depth=2
	s_or_b64 exec, exec, s[36:37]
	s_and_saveexec_b64 s[36:37], s[40:41]
	s_cbranch_execnz .LBB1462_171
.LBB1462_139:                           ;   in Loop: Header=BB1462_69 Depth=2
	s_or_b64 exec, exec, s[36:37]
	s_and_saveexec_b64 s[36:37], s[42:43]
	s_cbranch_execnz .LBB1462_172
.LBB1462_140:                           ;   in Loop: Header=BB1462_69 Depth=2
	s_or_b64 exec, exec, s[36:37]
	s_and_saveexec_b64 s[36:37], s[44:45]
	s_cbranch_execnz .LBB1462_173
.LBB1462_141:                           ;   in Loop: Header=BB1462_69 Depth=2
	s_or_b64 exec, exec, s[36:37]
	s_and_saveexec_b64 s[36:37], s[46:47]
	s_cbranch_execnz .LBB1462_174
.LBB1462_142:                           ;   in Loop: Header=BB1462_69 Depth=2
	s_or_b64 exec, exec, s[36:37]
	s_and_saveexec_b64 s[36:37], s[48:49]
	s_cbranch_execz .LBB1462_144
.LBB1462_143:                           ;   in Loop: Header=BB1462_69 Depth=2
	v_lshlrev_b32_e32 v12, 2, v80
	ds_read_b32 v14, v12
	v_add_u32_e32 v12, v50, v32
	ds_read_b64 v[12:13], v12 offset:15360
	v_mov_b32_e32 v15, v3
	v_mov_b32_e32 v16, s73
	s_waitcnt lgkmcnt(1)
	v_add_u32_e32 v14, v14, v41
	v_lshlrev_b64 v[14:15], 3, v[14:15]
	v_add_co_u32_e32 v14, vcc, s72, v14
	v_addc_co_u32_e32 v15, vcc, v16, v15, vcc
	s_waitcnt lgkmcnt(0)
	global_store_dwordx2 v[14:15], v[12:13], off
.LBB1462_144:                           ;   in Loop: Header=BB1462_69 Depth=2
	s_or_b64 exec, exec, s[36:37]
	s_waitcnt vmcnt(0)
	s_barrier
	s_and_saveexec_b64 s[36:37], s[4:5]
	s_cbranch_execz .LBB1462_68
; %bb.145:                              ;   in Loop: Header=BB1462_69 Depth=2
	ds_read_b32 v12, v32
	s_waitcnt lgkmcnt(0)
	v_add_u32_e32 v4, v12, v4
	ds_write_b32 v32, v4
	s_branch .LBB1462_68
.LBB1462_146:                           ;   in Loop: Header=BB1462_69 Depth=2
	ds_read_b32 v12, v50 offset:1024
	v_mov_b32_e32 v13, v3
	v_mov_b32_e32 v102, s67
	s_waitcnt lgkmcnt(0)
	v_cmp_ne_u32_e64 s[36:37], s62, v12
	v_cndmask_b32_e64 v30, v73, v12, s[36:37]
	v_lshrrev_b32_e32 v30, s63, v30
	v_and_b32_e32 v30, s70, v30
	v_lshlrev_b32_e32 v30, 2, v30
	ds_read_b32 v30, v30
	v_cmp_lt_i32_e64 s[36:37], -1, v12
	v_cndmask_b32_e64 v104, v73, -1, s[36:37]
	v_xor_b32_e32 v104, v104, v12
	s_waitcnt lgkmcnt(0)
	v_add_u32_e32 v12, v30, v0
	v_lshlrev_b64 v[12:13], 2, v[12:13]
	v_add_co_u32_e64 v12, s[36:37], s66, v12
	v_addc_co_u32_e64 v13, s[36:37], v102, v13, s[36:37]
	global_store_dword v[12:13], v104, off
	s_or_b64 exec, exec, s[38:39]
	v_cmp_lt_u32_e64 s[36:37], v33, v101
	s_and_saveexec_b64 s[40:41], s[36:37]
	s_cbranch_execz .LBB1462_111
.LBB1462_147:                           ;   in Loop: Header=BB1462_69 Depth=2
	ds_read_b32 v12, v50 offset:2048
	v_mov_b32_e32 v13, v3
	v_mov_b32_e32 v102, s67
	s_waitcnt lgkmcnt(0)
	v_cmp_ne_u32_e64 s[38:39], s62, v12
	v_cndmask_b32_e64 v30, v73, v12, s[38:39]
	v_lshrrev_b32_e32 v30, s63, v30
	v_and_b32_e32 v30, s70, v30
	v_lshlrev_b32_e32 v30, 2, v30
	ds_read_b32 v30, v30
	v_cmp_lt_i32_e64 s[38:39], -1, v12
	v_cndmask_b32_e64 v104, v73, -1, s[38:39]
	v_xor_b32_e32 v104, v104, v12
	s_waitcnt lgkmcnt(0)
	v_add_u32_e32 v12, v30, v33
	v_lshlrev_b64 v[12:13], 2, v[12:13]
	v_add_co_u32_e64 v12, s[38:39], s66, v12
	v_addc_co_u32_e64 v13, s[38:39], v102, v13, s[38:39]
	global_store_dword v[12:13], v104, off
	s_or_b64 exec, exec, s[40:41]
	v_cmp_lt_u32_e64 s[38:39], v34, v101
	s_and_saveexec_b64 s[42:43], s[38:39]
	s_cbranch_execz .LBB1462_112
.LBB1462_148:                           ;   in Loop: Header=BB1462_69 Depth=2
	ds_read_b32 v12, v50 offset:3072
	v_mov_b32_e32 v13, v3
	v_mov_b32_e32 v102, s67
	s_waitcnt lgkmcnt(0)
	v_cmp_ne_u32_e64 s[40:41], s62, v12
	v_cndmask_b32_e64 v30, v73, v12, s[40:41]
	v_lshrrev_b32_e32 v30, s63, v30
	v_and_b32_e32 v30, s70, v30
	v_lshlrev_b32_e32 v30, 2, v30
	ds_read_b32 v30, v30
	v_cmp_lt_i32_e64 s[40:41], -1, v12
	v_cndmask_b32_e64 v104, v73, -1, s[40:41]
	v_xor_b32_e32 v104, v104, v12
	s_waitcnt lgkmcnt(0)
	v_add_u32_e32 v12, v30, v34
	v_lshlrev_b64 v[12:13], 2, v[12:13]
	v_add_co_u32_e64 v12, s[40:41], s66, v12
	v_addc_co_u32_e64 v13, s[40:41], v102, v13, s[40:41]
	global_store_dword v[12:13], v104, off
	s_or_b64 exec, exec, s[42:43]
	v_cmp_lt_u32_e64 s[40:41], v35, v101
	s_and_saveexec_b64 s[44:45], s[40:41]
	s_cbranch_execz .LBB1462_113
.LBB1462_149:                           ;   in Loop: Header=BB1462_69 Depth=2
	ds_read_b32 v12, v50 offset:4096
	v_mov_b32_e32 v13, v3
	v_mov_b32_e32 v102, s67
	s_waitcnt lgkmcnt(0)
	v_cmp_ne_u32_e64 s[42:43], s62, v12
	v_cndmask_b32_e64 v30, v73, v12, s[42:43]
	v_lshrrev_b32_e32 v30, s63, v30
	v_and_b32_e32 v30, s70, v30
	v_lshlrev_b32_e32 v30, 2, v30
	ds_read_b32 v30, v30
	v_cmp_lt_i32_e64 s[42:43], -1, v12
	v_cndmask_b32_e64 v104, v73, -1, s[42:43]
	v_xor_b32_e32 v104, v104, v12
	s_waitcnt lgkmcnt(0)
	v_add_u32_e32 v12, v30, v35
	v_lshlrev_b64 v[12:13], 2, v[12:13]
	v_add_co_u32_e64 v12, s[42:43], s66, v12
	v_addc_co_u32_e64 v13, s[42:43], v102, v13, s[42:43]
	global_store_dword v[12:13], v104, off
	s_or_b64 exec, exec, s[44:45]
	v_cmp_lt_u32_e64 s[42:43], v38, v101
	s_and_saveexec_b64 s[46:47], s[42:43]
	s_cbranch_execz .LBB1462_114
.LBB1462_150:                           ;   in Loop: Header=BB1462_69 Depth=2
	ds_read_b32 v12, v50 offset:5120
	v_mov_b32_e32 v13, v3
	v_mov_b32_e32 v102, s67
	s_waitcnt lgkmcnt(0)
	v_cmp_ne_u32_e64 s[44:45], s62, v12
	v_cndmask_b32_e64 v30, v73, v12, s[44:45]
	v_lshrrev_b32_e32 v30, s63, v30
	v_and_b32_e32 v30, s70, v30
	v_lshlrev_b32_e32 v30, 2, v30
	ds_read_b32 v30, v30
	v_cmp_lt_i32_e64 s[44:45], -1, v12
	v_cndmask_b32_e64 v104, v73, -1, s[44:45]
	v_xor_b32_e32 v104, v104, v12
	s_waitcnt lgkmcnt(0)
	v_add_u32_e32 v12, v30, v38
	v_lshlrev_b64 v[12:13], 2, v[12:13]
	v_add_co_u32_e64 v12, s[44:45], s66, v12
	v_addc_co_u32_e64 v13, s[44:45], v102, v13, s[44:45]
	global_store_dword v[12:13], v104, off
	s_or_b64 exec, exec, s[46:47]
	v_cmp_lt_u32_e64 s[44:45], v39, v101
	s_and_saveexec_b64 s[48:49], s[44:45]
	s_cbranch_execz .LBB1462_115
.LBB1462_151:                           ;   in Loop: Header=BB1462_69 Depth=2
	ds_read_b32 v12, v50 offset:6144
	v_mov_b32_e32 v13, v3
	v_mov_b32_e32 v102, s67
	s_waitcnt lgkmcnt(0)
	v_cmp_ne_u32_e64 s[46:47], s62, v12
	v_cndmask_b32_e64 v30, v73, v12, s[46:47]
	v_lshrrev_b32_e32 v30, s63, v30
	v_and_b32_e32 v30, s70, v30
	v_lshlrev_b32_e32 v30, 2, v30
	ds_read_b32 v30, v30
	v_cmp_lt_i32_e64 s[46:47], -1, v12
	v_cndmask_b32_e64 v104, v73, -1, s[46:47]
	v_xor_b32_e32 v104, v104, v12
	s_waitcnt lgkmcnt(0)
	v_add_u32_e32 v12, v30, v39
	v_lshlrev_b64 v[12:13], 2, v[12:13]
	v_add_co_u32_e64 v12, s[46:47], s66, v12
	v_addc_co_u32_e64 v13, s[46:47], v102, v13, s[46:47]
	global_store_dword v[12:13], v104, off
	s_or_b64 exec, exec, s[48:49]
	v_cmp_lt_u32_e64 s[46:47], v40, v101
	s_and_saveexec_b64 s[52:53], s[46:47]
	s_cbranch_execz .LBB1462_116
.LBB1462_152:                           ;   in Loop: Header=BB1462_69 Depth=2
	ds_read_b32 v12, v50 offset:7168
	v_mov_b32_e32 v13, v3
	v_mov_b32_e32 v102, s67
	s_waitcnt lgkmcnt(0)
	v_cmp_ne_u32_e64 s[48:49], s62, v12
	v_cndmask_b32_e64 v30, v73, v12, s[48:49]
	v_lshrrev_b32_e32 v30, s63, v30
	v_and_b32_e32 v30, s70, v30
	v_lshlrev_b32_e32 v30, 2, v30
	ds_read_b32 v30, v30
	v_cmp_lt_i32_e64 s[48:49], -1, v12
	v_cndmask_b32_e64 v104, v73, -1, s[48:49]
	v_xor_b32_e32 v104, v104, v12
	s_waitcnt lgkmcnt(0)
	v_add_u32_e32 v12, v30, v40
	v_lshlrev_b64 v[12:13], 2, v[12:13]
	v_add_co_u32_e64 v12, s[48:49], s66, v12
	v_addc_co_u32_e64 v13, s[48:49], v102, v13, s[48:49]
	global_store_dword v[12:13], v104, off
	s_or_b64 exec, exec, s[52:53]
	v_cmp_lt_u32_e64 s[48:49], v41, v101
	s_and_saveexec_b64 s[60:61], s[48:49]
	s_cbranch_execnz .LBB1462_117
	s_branch .LBB1462_118
.LBB1462_153:                           ;   in Loop: Header=BB1462_69 Depth=2
	global_load_dwordx2 v[28:29], v[12:13], off
	s_or_b64 exec, exec, s[52:53]
	v_cmp_lt_u32_e64 s[52:53], v91, v101
	s_and_saveexec_b64 s[60:61], s[52:53]
	s_cbranch_execz .LBB1462_120
.LBB1462_154:                           ;   in Loop: Header=BB1462_69 Depth=2
	global_load_dwordx2 v[26:27], v[12:13], off offset:512
	s_or_b64 exec, exec, s[60:61]
	v_cmp_lt_u32_e64 s[52:53], v92, v101
	s_and_saveexec_b64 s[60:61], s[52:53]
	s_cbranch_execz .LBB1462_121
.LBB1462_155:                           ;   in Loop: Header=BB1462_69 Depth=2
	global_load_dwordx2 v[24:25], v[12:13], off offset:1024
	s_or_b64 exec, exec, s[60:61]
	v_cmp_lt_u32_e64 s[52:53], v93, v101
	s_and_saveexec_b64 s[60:61], s[52:53]
	s_cbranch_execz .LBB1462_122
.LBB1462_156:                           ;   in Loop: Header=BB1462_69 Depth=2
	global_load_dwordx2 v[22:23], v[12:13], off offset:1536
	s_or_b64 exec, exec, s[60:61]
	v_cmp_lt_u32_e64 s[52:53], v94, v101
	s_and_saveexec_b64 s[60:61], s[52:53]
	s_cbranch_execz .LBB1462_123
.LBB1462_157:                           ;   in Loop: Header=BB1462_69 Depth=2
	global_load_dwordx2 v[20:21], v[12:13], off offset:2048
	s_or_b64 exec, exec, s[60:61]
	v_cmp_lt_u32_e64 s[52:53], v95, v101
	s_and_saveexec_b64 s[60:61], s[52:53]
	s_cbranch_execz .LBB1462_124
.LBB1462_158:                           ;   in Loop: Header=BB1462_69 Depth=2
	global_load_dwordx2 v[9:10], v[12:13], off offset:2560
	s_or_b64 exec, exec, s[60:61]
	v_cmp_lt_u32_e64 s[52:53], v96, v101
	s_and_saveexec_b64 s[60:61], s[52:53]
	s_cbranch_execz .LBB1462_125
.LBB1462_159:                           ;   in Loop: Header=BB1462_69 Depth=2
	global_load_dwordx2 v[7:8], v[12:13], off offset:3072
	s_or_b64 exec, exec, s[60:61]
	v_cmp_lt_u32_e64 s[52:53], v97, v101
	s_and_saveexec_b64 s[60:61], s[52:53]
	s_cbranch_execz .LBB1462_126
.LBB1462_160:                           ;   in Loop: Header=BB1462_69 Depth=2
	global_load_dwordx2 v[5:6], v[12:13], off offset:3584
	s_or_b64 exec, exec, s[60:61]
	s_and_saveexec_b64 s[60:61], vcc
	s_cbranch_execz .LBB1462_127
.LBB1462_161:                           ;   in Loop: Header=BB1462_69 Depth=2
	ds_read_b32 v12, v50 offset:1024
	s_waitcnt lgkmcnt(0)
	v_cmp_ne_u32_e64 s[52:53], s62, v12
	v_cndmask_b32_e64 v12, v73, v12, s[52:53]
	v_lshrrev_b32_e32 v12, s63, v12
	v_and_b32_e32 v90, s70, v12
	s_or_b64 exec, exec, s[60:61]
	s_and_saveexec_b64 s[60:61], s[36:37]
	s_cbranch_execz .LBB1462_128
.LBB1462_162:                           ;   in Loop: Header=BB1462_69 Depth=2
	ds_read_b32 v12, v50 offset:2048
	s_waitcnt lgkmcnt(0)
	v_cmp_ne_u32_e64 s[52:53], s62, v12
	v_cndmask_b32_e64 v12, v73, v12, s[52:53]
	v_lshrrev_b32_e32 v12, s63, v12
	v_and_b32_e32 v88, s70, v12
	s_or_b64 exec, exec, s[60:61]
	s_and_saveexec_b64 s[60:61], s[38:39]
	s_cbranch_execz .LBB1462_129
.LBB1462_163:                           ;   in Loop: Header=BB1462_69 Depth=2
	ds_read_b32 v12, v50 offset:3072
	s_waitcnt lgkmcnt(0)
	v_cmp_ne_u32_e64 s[52:53], s62, v12
	v_cndmask_b32_e64 v12, v73, v12, s[52:53]
	v_lshrrev_b32_e32 v12, s63, v12
	v_and_b32_e32 v86, s70, v12
	s_or_b64 exec, exec, s[60:61]
	s_and_saveexec_b64 s[60:61], s[40:41]
	s_cbranch_execz .LBB1462_130
.LBB1462_164:                           ;   in Loop: Header=BB1462_69 Depth=2
	ds_read_b32 v12, v50 offset:4096
	s_waitcnt lgkmcnt(0)
	v_cmp_ne_u32_e64 s[52:53], s62, v12
	v_cndmask_b32_e64 v12, v73, v12, s[52:53]
	v_lshrrev_b32_e32 v12, s63, v12
	v_and_b32_e32 v85, s70, v12
	s_or_b64 exec, exec, s[60:61]
	s_and_saveexec_b64 s[60:61], s[42:43]
	s_cbranch_execz .LBB1462_131
.LBB1462_165:                           ;   in Loop: Header=BB1462_69 Depth=2
	ds_read_b32 v12, v50 offset:5120
	s_waitcnt lgkmcnt(0)
	v_cmp_ne_u32_e64 s[52:53], s62, v12
	v_cndmask_b32_e64 v12, v73, v12, s[52:53]
	v_lshrrev_b32_e32 v12, s63, v12
	v_and_b32_e32 v83, s70, v12
	s_or_b64 exec, exec, s[60:61]
	s_and_saveexec_b64 s[60:61], s[44:45]
	s_cbranch_execz .LBB1462_132
.LBB1462_166:                           ;   in Loop: Header=BB1462_69 Depth=2
	ds_read_b32 v12, v50 offset:6144
	s_waitcnt lgkmcnt(0)
	v_cmp_ne_u32_e64 s[52:53], s62, v12
	v_cndmask_b32_e64 v12, v73, v12, s[52:53]
	v_lshrrev_b32_e32 v12, s63, v12
	v_and_b32_e32 v82, s70, v12
	s_or_b64 exec, exec, s[60:61]
	s_and_saveexec_b64 s[60:61], s[46:47]
	s_cbranch_execz .LBB1462_133
.LBB1462_167:                           ;   in Loop: Header=BB1462_69 Depth=2
	ds_read_b32 v12, v50 offset:7168
	s_waitcnt lgkmcnt(0)
	v_cmp_ne_u32_e64 s[52:53], s62, v12
	v_cndmask_b32_e64 v12, v73, v12, s[52:53]
	v_lshrrev_b32_e32 v12, s63, v12
	v_and_b32_e32 v81, s70, v12
	s_or_b64 exec, exec, s[60:61]
	s_and_saveexec_b64 s[60:61], s[48:49]
	s_cbranch_execnz .LBB1462_134
	s_branch .LBB1462_135
.LBB1462_168:                           ;   in Loop: Header=BB1462_69 Depth=2
	v_lshlrev_b32_e32 v12, 2, v90
	ds_read_b32 v14, v12
	v_add_u32_e32 v12, v50, v32
	ds_read_b64 v[12:13], v12 offset:1024
	v_mov_b32_e32 v15, v3
	v_mov_b32_e32 v16, s73
	s_waitcnt lgkmcnt(1)
	v_add_u32_e32 v14, v14, v0
	v_lshlrev_b64 v[14:15], 3, v[14:15]
	v_add_co_u32_e32 v14, vcc, s72, v14
	v_addc_co_u32_e32 v15, vcc, v16, v15, vcc
	s_waitcnt lgkmcnt(0)
	global_store_dwordx2 v[14:15], v[12:13], off
	s_or_b64 exec, exec, s[52:53]
	s_and_saveexec_b64 s[52:53], s[36:37]
	s_cbranch_execz .LBB1462_137
.LBB1462_169:                           ;   in Loop: Header=BB1462_69 Depth=2
	v_lshlrev_b32_e32 v12, 2, v88
	ds_read_b32 v14, v12
	v_add_u32_e32 v12, v50, v32
	ds_read_b64 v[12:13], v12 offset:3072
	v_mov_b32_e32 v15, v3
	v_mov_b32_e32 v16, s73
	s_waitcnt lgkmcnt(1)
	v_add_u32_e32 v14, v14, v33
	v_lshlrev_b64 v[14:15], 3, v[14:15]
	v_add_co_u32_e32 v14, vcc, s72, v14
	v_addc_co_u32_e32 v15, vcc, v16, v15, vcc
	s_waitcnt lgkmcnt(0)
	global_store_dwordx2 v[14:15], v[12:13], off
	s_or_b64 exec, exec, s[52:53]
	s_and_saveexec_b64 s[36:37], s[38:39]
	s_cbranch_execz .LBB1462_138
.LBB1462_170:                           ;   in Loop: Header=BB1462_69 Depth=2
	v_lshlrev_b32_e32 v12, 2, v86
	ds_read_b32 v14, v12
	v_add_u32_e32 v12, v50, v32
	ds_read_b64 v[12:13], v12 offset:5120
	v_mov_b32_e32 v15, v3
	v_mov_b32_e32 v16, s73
	s_waitcnt lgkmcnt(1)
	v_add_u32_e32 v14, v14, v34
	v_lshlrev_b64 v[14:15], 3, v[14:15]
	v_add_co_u32_e32 v14, vcc, s72, v14
	v_addc_co_u32_e32 v15, vcc, v16, v15, vcc
	s_waitcnt lgkmcnt(0)
	global_store_dwordx2 v[14:15], v[12:13], off
	s_or_b64 exec, exec, s[36:37]
	s_and_saveexec_b64 s[36:37], s[40:41]
	s_cbranch_execz .LBB1462_139
.LBB1462_171:                           ;   in Loop: Header=BB1462_69 Depth=2
	v_lshlrev_b32_e32 v12, 2, v85
	ds_read_b32 v14, v12
	v_add_u32_e32 v12, v50, v32
	ds_read_b64 v[12:13], v12 offset:7168
	v_mov_b32_e32 v15, v3
	v_mov_b32_e32 v16, s73
	s_waitcnt lgkmcnt(1)
	v_add_u32_e32 v14, v14, v35
	v_lshlrev_b64 v[14:15], 3, v[14:15]
	v_add_co_u32_e32 v14, vcc, s72, v14
	v_addc_co_u32_e32 v15, vcc, v16, v15, vcc
	s_waitcnt lgkmcnt(0)
	global_store_dwordx2 v[14:15], v[12:13], off
	s_or_b64 exec, exec, s[36:37]
	s_and_saveexec_b64 s[36:37], s[42:43]
	s_cbranch_execz .LBB1462_140
.LBB1462_172:                           ;   in Loop: Header=BB1462_69 Depth=2
	v_lshlrev_b32_e32 v12, 2, v83
	ds_read_b32 v14, v12
	v_add_u32_e32 v12, v50, v32
	ds_read_b64 v[12:13], v12 offset:9216
	v_mov_b32_e32 v15, v3
	v_mov_b32_e32 v16, s73
	s_waitcnt lgkmcnt(1)
	v_add_u32_e32 v14, v14, v38
	v_lshlrev_b64 v[14:15], 3, v[14:15]
	v_add_co_u32_e32 v14, vcc, s72, v14
	v_addc_co_u32_e32 v15, vcc, v16, v15, vcc
	s_waitcnt lgkmcnt(0)
	global_store_dwordx2 v[14:15], v[12:13], off
	s_or_b64 exec, exec, s[36:37]
	s_and_saveexec_b64 s[36:37], s[44:45]
	s_cbranch_execz .LBB1462_141
.LBB1462_173:                           ;   in Loop: Header=BB1462_69 Depth=2
	v_lshlrev_b32_e32 v12, 2, v82
	ds_read_b32 v14, v12
	v_add_u32_e32 v12, v50, v32
	ds_read_b64 v[12:13], v12 offset:11264
	v_mov_b32_e32 v15, v3
	v_mov_b32_e32 v16, s73
	s_waitcnt lgkmcnt(1)
	v_add_u32_e32 v14, v14, v39
	v_lshlrev_b64 v[14:15], 3, v[14:15]
	v_add_co_u32_e32 v14, vcc, s72, v14
	v_addc_co_u32_e32 v15, vcc, v16, v15, vcc
	s_waitcnt lgkmcnt(0)
	global_store_dwordx2 v[14:15], v[12:13], off
	s_or_b64 exec, exec, s[36:37]
	s_and_saveexec_b64 s[36:37], s[46:47]
	s_cbranch_execz .LBB1462_142
.LBB1462_174:                           ;   in Loop: Header=BB1462_69 Depth=2
	v_lshlrev_b32_e32 v12, 2, v81
	ds_read_b32 v14, v12
	v_add_u32_e32 v12, v50, v32
	ds_read_b64 v[12:13], v12 offset:13312
	v_mov_b32_e32 v15, v3
	v_mov_b32_e32 v16, s73
	s_waitcnt lgkmcnt(1)
	v_add_u32_e32 v14, v14, v40
	v_lshlrev_b64 v[14:15], 3, v[14:15]
	v_add_co_u32_e32 v14, vcc, s72, v14
	v_addc_co_u32_e32 v15, vcc, v16, v15, vcc
	s_waitcnt lgkmcnt(0)
	global_store_dwordx2 v[14:15], v[12:13], off
	s_or_b64 exec, exec, s[36:37]
	s_and_saveexec_b64 s[36:37], s[48:49]
	s_cbranch_execnz .LBB1462_143
	s_branch .LBB1462_144
.LBB1462_175:                           ;   in Loop: Header=BB1462_69 Depth=2
	global_load_dword v12, v[30:31], off
	v_mov_b32_e32 v13, v11
	v_mov_b32_e32 v14, v11
	;; [unrolled: 1-line block ×7, first 2 shown]
	s_or_b64 exec, exec, s[36:37]
	v_cmp_gt_u32_e32 vcc, s71, v91
	s_and_saveexec_b64 s[36:37], vcc
	s_cbranch_execz .LBB1462_74
.LBB1462_176:                           ;   in Loop: Header=BB1462_69 Depth=2
	global_load_dword v13, v[30:31], off offset:256
	s_or_b64 exec, exec, s[36:37]
	v_cmp_gt_u32_e32 vcc, s71, v92
	s_and_saveexec_b64 s[36:37], vcc
	s_cbranch_execz .LBB1462_75
.LBB1462_177:                           ;   in Loop: Header=BB1462_69 Depth=2
	global_load_dword v14, v[30:31], off offset:512
	s_or_b64 exec, exec, s[36:37]
	v_cmp_gt_u32_e32 vcc, s71, v93
	s_and_saveexec_b64 s[36:37], vcc
	s_cbranch_execz .LBB1462_76
.LBB1462_178:                           ;   in Loop: Header=BB1462_69 Depth=2
	global_load_dword v15, v[30:31], off offset:768
	s_or_b64 exec, exec, s[36:37]
	v_cmp_gt_u32_e32 vcc, s71, v94
	s_and_saveexec_b64 s[36:37], vcc
	s_cbranch_execz .LBB1462_77
.LBB1462_179:                           ;   in Loop: Header=BB1462_69 Depth=2
	global_load_dword v16, v[30:31], off offset:1024
	s_or_b64 exec, exec, s[36:37]
	v_cmp_gt_u32_e32 vcc, s71, v95
	s_and_saveexec_b64 s[36:37], vcc
	s_cbranch_execz .LBB1462_78
.LBB1462_180:                           ;   in Loop: Header=BB1462_69 Depth=2
	global_load_dword v17, v[30:31], off offset:1280
	s_or_b64 exec, exec, s[36:37]
	v_cmp_gt_u32_e32 vcc, s71, v96
	s_and_saveexec_b64 s[36:37], vcc
	s_cbranch_execnz .LBB1462_79
	s_branch .LBB1462_80
.LBB1462_181:                           ;   in Loop: Header=BB1462_17 Depth=1
	s_waitcnt lgkmcnt(0)
	s_barrier
	s_mov_b64 s[16:17], 0
.LBB1462_182:                           ;   in Loop: Header=BB1462_17 Depth=1
	s_and_b64 vcc, exec, s[16:17]
	s_cbranch_vccz .LBB1462_346
; %bb.183:                              ;   in Loop: Header=BB1462_17 Depth=1
	v_mov_b32_e32 v10, v3
	v_mov_b32_e32 v4, v3
	;; [unrolled: 1-line block ×8, first 2 shown]
	s_mov_b32 s20, s79
	s_mov_b32 s58, s51
	v_mov_b32_e32 v18, v9
	v_mov_b32_e32 v17, v8
	v_mov_b32_e32 v16, v7
	v_mov_b32_e32 v15, v6
	v_mov_b32_e32 v14, v5
	v_mov_b32_e32 v13, v4
	v_mov_b32_e32 v12, v3
	s_barrier
	s_branch .LBB1462_185
.LBB1462_184:                           ;   in Loop: Header=BB1462_185 Depth=2
	s_or_b64 exec, exec, s[16:17]
	s_addk_i32 s20, 0xf800
	s_cmp_ge_u32 s21, s80
	s_mov_b32 s58, s21
	s_cbranch_scc1 .LBB1462_221
.LBB1462_185:                           ;   Parent Loop BB1462_17 Depth=1
                                        ; =>  This Inner Loop Header: Depth=2
	s_add_i32 s21, s58, 0x800
	s_cmp_gt_u32 s21, s80
	s_mov_b64 s[16:17], -1
                                        ; implicit-def: $vgpr20_vgpr21_vgpr22_vgpr23_vgpr24_vgpr25_vgpr26_vgpr27
	s_cbranch_scc1 .LBB1462_187
; %bb.186:                              ;   in Loop: Header=BB1462_185 Depth=2
	s_lshl_b64 s[16:17], s[58:59], 2
	v_mov_b32_e32 v5, s17
	v_add_co_u32_e32 v4, vcc, s16, v55
	v_addc_co_u32_e32 v5, vcc, v56, v5, vcc
	v_add_co_u32_e32 v6, vcc, 0x1000, v4
	v_addc_co_u32_e32 v7, vcc, 0, v5, vcc
	global_load_dword v20, v[4:5], off
	global_load_dword v21, v[4:5], off offset:1024
	global_load_dword v22, v[4:5], off offset:2048
	;; [unrolled: 1-line block ×3, first 2 shown]
	global_load_dword v24, v[6:7], off
	global_load_dword v25, v[6:7], off offset:1024
	global_load_dword v26, v[6:7], off offset:2048
	;; [unrolled: 1-line block ×3, first 2 shown]
	s_mov_b64 s[16:17], 0
.LBB1462_187:                           ;   in Loop: Header=BB1462_185 Depth=2
	s_andn2_b64 vcc, exec, s[16:17]
	s_movk_i32 s18, 0x800
	s_cbranch_vccnz .LBB1462_198
; %bb.188:                              ;   in Loop: Header=BB1462_185 Depth=2
	s_lshl_b64 s[16:17], s[58:59], 2
	s_add_u32 s16, s66, s16
	s_addc_u32 s17, s67, s17
	v_cmp_gt_u32_e32 vcc, s20, v0
	s_and_saveexec_b64 s[18:19], vcc
	s_cbranch_execnz .LBB1462_214
; %bb.189:                              ;   in Loop: Header=BB1462_185 Depth=2
	s_or_b64 exec, exec, s[18:19]
	v_cmp_gt_u32_e32 vcc, s20, v33
	s_and_saveexec_b64 s[18:19], vcc
	s_cbranch_execnz .LBB1462_215
.LBB1462_190:                           ;   in Loop: Header=BB1462_185 Depth=2
	s_or_b64 exec, exec, s[18:19]
	v_cmp_gt_u32_e32 vcc, s20, v34
	s_and_saveexec_b64 s[18:19], vcc
	s_cbranch_execnz .LBB1462_216
.LBB1462_191:                           ;   in Loop: Header=BB1462_185 Depth=2
	s_or_b64 exec, exec, s[18:19]
	v_cmp_gt_u32_e32 vcc, s20, v35
	s_and_saveexec_b64 s[18:19], vcc
	s_cbranch_execnz .LBB1462_217
.LBB1462_192:                           ;   in Loop: Header=BB1462_185 Depth=2
	s_or_b64 exec, exec, s[18:19]
	v_cmp_gt_u32_e32 vcc, s20, v38
	s_and_saveexec_b64 s[18:19], vcc
	s_cbranch_execnz .LBB1462_218
.LBB1462_193:                           ;   in Loop: Header=BB1462_185 Depth=2
	s_or_b64 exec, exec, s[18:19]
	v_cmp_gt_u32_e32 vcc, s20, v39
	s_and_saveexec_b64 s[18:19], vcc
	s_cbranch_execnz .LBB1462_219
.LBB1462_194:                           ;   in Loop: Header=BB1462_185 Depth=2
	s_or_b64 exec, exec, s[18:19]
	v_cmp_gt_u32_e32 vcc, s20, v40
	s_and_saveexec_b64 s[18:19], vcc
	s_cbranch_execnz .LBB1462_220
.LBB1462_195:                           ;   in Loop: Header=BB1462_185 Depth=2
	s_or_b64 exec, exec, s[18:19]
	v_cmp_gt_u32_e32 vcc, s20, v41
	s_and_saveexec_b64 s[18:19], vcc
	s_cbranch_execz .LBB1462_197
.LBB1462_196:                           ;   in Loop: Header=BB1462_185 Depth=2
	global_load_dword v19, v72, s[16:17]
.LBB1462_197:                           ;   in Loop: Header=BB1462_185 Depth=2
	s_or_b64 exec, exec, s[18:19]
	s_waitcnt vmcnt(0)
	v_mov_b32_e32 v27, v19
	s_mov_b32 s18, s20
	v_mov_b32_e32 v26, v18
	v_mov_b32_e32 v25, v17
	v_mov_b32_e32 v24, v16
	v_mov_b32_e32 v23, v15
	v_mov_b32_e32 v22, v14
	v_mov_b32_e32 v21, v13
	v_mov_b32_e32 v20, v12
.LBB1462_198:                           ;   in Loop: Header=BB1462_185 Depth=2
	s_waitcnt vmcnt(0)
	v_mov_b32_e32 v12, v20
	v_mov_b32_e32 v13, v21
	;; [unrolled: 1-line block ×8, first 2 shown]
	v_cmp_gt_u32_e32 vcc, s18, v0
	s_and_saveexec_b64 s[16:17], vcc
	s_cbranch_execnz .LBB1462_206
; %bb.199:                              ;   in Loop: Header=BB1462_185 Depth=2
	s_or_b64 exec, exec, s[16:17]
	v_cmp_gt_u32_e32 vcc, s18, v33
	s_and_saveexec_b64 s[16:17], vcc
	s_cbranch_execnz .LBB1462_207
.LBB1462_200:                           ;   in Loop: Header=BB1462_185 Depth=2
	s_or_b64 exec, exec, s[16:17]
	v_cmp_gt_u32_e32 vcc, s18, v34
	s_and_saveexec_b64 s[16:17], vcc
	s_cbranch_execnz .LBB1462_208
.LBB1462_201:                           ;   in Loop: Header=BB1462_185 Depth=2
	s_or_b64 exec, exec, s[16:17]
	v_cmp_gt_u32_e32 vcc, s18, v35
	s_and_saveexec_b64 s[16:17], vcc
	s_cbranch_execnz .LBB1462_209
.LBB1462_202:                           ;   in Loop: Header=BB1462_185 Depth=2
	s_or_b64 exec, exec, s[16:17]
	v_cmp_gt_u32_e32 vcc, s18, v38
	s_and_saveexec_b64 s[16:17], vcc
	s_cbranch_execnz .LBB1462_210
.LBB1462_203:                           ;   in Loop: Header=BB1462_185 Depth=2
	s_or_b64 exec, exec, s[16:17]
	v_cmp_gt_u32_e32 vcc, s18, v39
	s_and_saveexec_b64 s[16:17], vcc
	s_cbranch_execnz .LBB1462_211
.LBB1462_204:                           ;   in Loop: Header=BB1462_185 Depth=2
	s_or_b64 exec, exec, s[16:17]
	v_cmp_gt_u32_e32 vcc, s18, v40
	s_and_saveexec_b64 s[16:17], vcc
	s_cbranch_execnz .LBB1462_212
.LBB1462_205:                           ;   in Loop: Header=BB1462_185 Depth=2
	s_or_b64 exec, exec, s[16:17]
	v_cmp_gt_u32_e32 vcc, s18, v41
	s_and_saveexec_b64 s[16:17], vcc
	s_cbranch_execz .LBB1462_184
	s_branch .LBB1462_213
.LBB1462_206:                           ;   in Loop: Header=BB1462_185 Depth=2
	v_cmp_lt_i32_e32 vcc, -1, v12
	v_cndmask_b32_e32 v4, -1, v73, vcc
	v_xor_b32_e32 v4, v4, v12
	v_cmp_ne_u32_e32 vcc, s62, v4
	v_cndmask_b32_e32 v4, v73, v4, vcc
	v_lshrrev_b32_e32 v4, s63, v4
	v_and_b32_e32 v4, s70, v4
	v_lshl_or_b32 v4, v4, 4, v42
	ds_add_u32 v4, v67
	s_or_b64 exec, exec, s[16:17]
	v_cmp_gt_u32_e32 vcc, s18, v33
	s_and_saveexec_b64 s[16:17], vcc
	s_cbranch_execz .LBB1462_200
.LBB1462_207:                           ;   in Loop: Header=BB1462_185 Depth=2
	v_cmp_lt_i32_e32 vcc, -1, v13
	v_cndmask_b32_e32 v4, -1, v73, vcc
	v_xor_b32_e32 v4, v4, v13
	v_cmp_ne_u32_e32 vcc, s62, v4
	v_cndmask_b32_e32 v4, v73, v4, vcc
	v_lshrrev_b32_e32 v4, s63, v4
	v_and_b32_e32 v4, s70, v4
	v_lshl_or_b32 v4, v4, 4, v42
	ds_add_u32 v4, v67
	s_or_b64 exec, exec, s[16:17]
	v_cmp_gt_u32_e32 vcc, s18, v34
	s_and_saveexec_b64 s[16:17], vcc
	s_cbranch_execz .LBB1462_201
.LBB1462_208:                           ;   in Loop: Header=BB1462_185 Depth=2
	v_cmp_lt_i32_e32 vcc, -1, v14
	v_cndmask_b32_e32 v4, -1, v73, vcc
	v_xor_b32_e32 v4, v4, v14
	v_cmp_ne_u32_e32 vcc, s62, v4
	v_cndmask_b32_e32 v4, v73, v4, vcc
	v_lshrrev_b32_e32 v4, s63, v4
	v_and_b32_e32 v4, s70, v4
	v_lshl_or_b32 v4, v4, 4, v42
	ds_add_u32 v4, v67
	s_or_b64 exec, exec, s[16:17]
	v_cmp_gt_u32_e32 vcc, s18, v35
	s_and_saveexec_b64 s[16:17], vcc
	s_cbranch_execz .LBB1462_202
.LBB1462_209:                           ;   in Loop: Header=BB1462_185 Depth=2
	v_cmp_lt_i32_e32 vcc, -1, v15
	v_cndmask_b32_e32 v4, -1, v73, vcc
	v_xor_b32_e32 v4, v4, v15
	v_cmp_ne_u32_e32 vcc, s62, v4
	v_cndmask_b32_e32 v4, v73, v4, vcc
	v_lshrrev_b32_e32 v4, s63, v4
	v_and_b32_e32 v4, s70, v4
	v_lshl_or_b32 v4, v4, 4, v42
	ds_add_u32 v4, v67
	s_or_b64 exec, exec, s[16:17]
	v_cmp_gt_u32_e32 vcc, s18, v38
	s_and_saveexec_b64 s[16:17], vcc
	s_cbranch_execz .LBB1462_203
.LBB1462_210:                           ;   in Loop: Header=BB1462_185 Depth=2
	v_cmp_lt_i32_e32 vcc, -1, v16
	v_cndmask_b32_e32 v4, -1, v73, vcc
	v_xor_b32_e32 v4, v4, v16
	v_cmp_ne_u32_e32 vcc, s62, v4
	v_cndmask_b32_e32 v4, v73, v4, vcc
	v_lshrrev_b32_e32 v4, s63, v4
	v_and_b32_e32 v4, s70, v4
	v_lshl_or_b32 v4, v4, 4, v42
	ds_add_u32 v4, v67
	s_or_b64 exec, exec, s[16:17]
	v_cmp_gt_u32_e32 vcc, s18, v39
	s_and_saveexec_b64 s[16:17], vcc
	s_cbranch_execz .LBB1462_204
.LBB1462_211:                           ;   in Loop: Header=BB1462_185 Depth=2
	v_cmp_lt_i32_e32 vcc, -1, v17
	v_cndmask_b32_e32 v4, -1, v73, vcc
	v_xor_b32_e32 v4, v4, v17
	v_cmp_ne_u32_e32 vcc, s62, v4
	v_cndmask_b32_e32 v4, v73, v4, vcc
	v_lshrrev_b32_e32 v4, s63, v4
	v_and_b32_e32 v4, s70, v4
	v_lshl_or_b32 v4, v4, 4, v42
	ds_add_u32 v4, v67
	s_or_b64 exec, exec, s[16:17]
	v_cmp_gt_u32_e32 vcc, s18, v40
	s_and_saveexec_b64 s[16:17], vcc
	s_cbranch_execz .LBB1462_205
.LBB1462_212:                           ;   in Loop: Header=BB1462_185 Depth=2
	v_cmp_lt_i32_e32 vcc, -1, v18
	v_cndmask_b32_e32 v4, -1, v73, vcc
	v_xor_b32_e32 v4, v4, v18
	v_cmp_ne_u32_e32 vcc, s62, v4
	v_cndmask_b32_e32 v4, v73, v4, vcc
	v_lshrrev_b32_e32 v4, s63, v4
	v_and_b32_e32 v4, s70, v4
	v_lshl_or_b32 v4, v4, 4, v42
	ds_add_u32 v4, v67
	s_or_b64 exec, exec, s[16:17]
	v_cmp_gt_u32_e32 vcc, s18, v41
	s_and_saveexec_b64 s[16:17], vcc
	s_cbranch_execz .LBB1462_184
.LBB1462_213:                           ;   in Loop: Header=BB1462_185 Depth=2
	v_cmp_lt_i32_e32 vcc, -1, v19
	v_cndmask_b32_e32 v4, -1, v73, vcc
	v_xor_b32_e32 v4, v4, v19
	v_cmp_ne_u32_e32 vcc, s62, v4
	v_cndmask_b32_e32 v4, v73, v4, vcc
	v_lshrrev_b32_e32 v4, s63, v4
	v_and_b32_e32 v4, s70, v4
	v_lshl_or_b32 v4, v4, 4, v42
	ds_add_u32 v4, v67
	s_branch .LBB1462_184
.LBB1462_214:                           ;   in Loop: Header=BB1462_185 Depth=2
	global_load_dword v12, v68, s[16:17]
	s_or_b64 exec, exec, s[18:19]
	v_cmp_gt_u32_e32 vcc, s20, v33
	s_and_saveexec_b64 s[18:19], vcc
	s_cbranch_execz .LBB1462_190
.LBB1462_215:                           ;   in Loop: Header=BB1462_185 Depth=2
	global_load_dword v13, v68, s[16:17] offset:1024
	s_or_b64 exec, exec, s[18:19]
	v_cmp_gt_u32_e32 vcc, s20, v34
	s_and_saveexec_b64 s[18:19], vcc
	s_cbranch_execz .LBB1462_191
.LBB1462_216:                           ;   in Loop: Header=BB1462_185 Depth=2
	global_load_dword v14, v68, s[16:17] offset:2048
	s_or_b64 exec, exec, s[18:19]
	v_cmp_gt_u32_e32 vcc, s20, v35
	s_and_saveexec_b64 s[18:19], vcc
	s_cbranch_execz .LBB1462_192
.LBB1462_217:                           ;   in Loop: Header=BB1462_185 Depth=2
	global_load_dword v15, v68, s[16:17] offset:3072
	s_or_b64 exec, exec, s[18:19]
	v_cmp_gt_u32_e32 vcc, s20, v38
	s_and_saveexec_b64 s[18:19], vcc
	s_cbranch_execz .LBB1462_193
.LBB1462_218:                           ;   in Loop: Header=BB1462_185 Depth=2
	global_load_dword v16, v69, s[16:17]
	s_or_b64 exec, exec, s[18:19]
	v_cmp_gt_u32_e32 vcc, s20, v39
	s_and_saveexec_b64 s[18:19], vcc
	s_cbranch_execz .LBB1462_194
.LBB1462_219:                           ;   in Loop: Header=BB1462_185 Depth=2
	global_load_dword v17, v70, s[16:17]
	s_or_b64 exec, exec, s[18:19]
	v_cmp_gt_u32_e32 vcc, s20, v40
	s_and_saveexec_b64 s[18:19], vcc
	s_cbranch_execz .LBB1462_195
.LBB1462_220:                           ;   in Loop: Header=BB1462_185 Depth=2
	global_load_dword v18, v71, s[16:17]
	s_or_b64 exec, exec, s[18:19]
	v_cmp_gt_u32_e32 vcc, s20, v41
	s_and_saveexec_b64 s[18:19], vcc
	s_cbranch_execnz .LBB1462_196
	s_branch .LBB1462_197
.LBB1462_221:                           ;   in Loop: Header=BB1462_17 Depth=1
	v_mov_b32_e32 v4, 0
	s_waitcnt lgkmcnt(0)
	s_barrier
	s_and_saveexec_b64 s[16:17], s[4:5]
	s_cbranch_execz .LBB1462_223
; %bb.222:                              ;   in Loop: Header=BB1462_17 Depth=1
	ds_read2_b64 v[4:7], v43 offset1:1
	s_waitcnt lgkmcnt(0)
	v_add_u32_e32 v4, v5, v4
	v_add3_u32 v4, v4, v6, v7
.LBB1462_223:                           ;   in Loop: Header=BB1462_17 Depth=1
	s_or_b64 exec, exec, s[16:17]
	s_nop 0
	v_mov_b32_dpp v5, v4 row_shr:1 row_mask:0xf bank_mask:0xf
	v_cmp_eq_u32_e64 s[16:17], 0, v75
	v_cndmask_b32_e64 v5, v5, 0, s[16:17]
	v_add_u32_e32 v4, v5, v4
	v_cmp_lt_u32_e64 s[18:19], 1, v75
	v_cmp_lt_u32_e64 s[20:21], 3, v75
	v_mov_b32_dpp v5, v4 row_shr:2 row_mask:0xf bank_mask:0xf
	v_cndmask_b32_e64 v5, 0, v5, s[18:19]
	v_add_u32_e32 v4, v4, v5
	v_cmp_lt_u32_e64 s[22:23], 7, v75
	v_cmp_lt_u32_e64 s[26:27], 31, v74
	v_mov_b32_dpp v5, v4 row_shr:4 row_mask:0xf bank_mask:0xf
	v_cndmask_b32_e64 v5, 0, v5, s[20:21]
	v_add_u32_e32 v4, v4, v5
	v_cmp_eq_u32_e64 s[24:25], 0, v77
	s_nop 0
	v_mov_b32_dpp v5, v4 row_shr:8 row_mask:0xf bank_mask:0xf
	v_cndmask_b32_e64 v5, 0, v5, s[22:23]
	v_add_u32_e32 v4, v4, v5
	s_nop 1
	v_mov_b32_dpp v5, v4 row_bcast:15 row_mask:0xf bank_mask:0xf
	v_and_b32_e32 v5, v76, v5
	v_add_u32_e32 v4, v4, v5
	s_nop 1
	v_mov_b32_dpp v5, v4 row_bcast:31 row_mask:0xf bank_mask:0xf
	v_cndmask_b32_e64 v5, 0, v5, s[26:27]
	v_add_u32_e32 v4, v4, v5
	s_and_saveexec_b64 s[28:29], s[6:7]
; %bb.224:                              ;   in Loop: Header=BB1462_17 Depth=1
	ds_write_b32 v45, v4
; %bb.225:                              ;   in Loop: Header=BB1462_17 Depth=1
	s_or_b64 exec, exec, s[28:29]
	s_waitcnt lgkmcnt(0)
	s_barrier
	s_and_saveexec_b64 s[28:29], s[8:9]
	s_cbranch_execz .LBB1462_227
; %bb.226:                              ;   in Loop: Header=BB1462_17 Depth=1
	ds_read_b32 v5, v46
	v_cmp_ne_u32_e32 vcc, 0, v78
	s_waitcnt lgkmcnt(0)
	v_mov_b32_dpp v6, v5 row_shr:1 row_mask:0xf bank_mask:0xf
	v_cndmask_b32_e32 v6, 0, v6, vcc
	v_add_u32_e32 v5, v6, v5
	v_cmp_lt_u32_e32 vcc, 1, v78
	s_nop 0
	v_mov_b32_dpp v6, v5 row_shr:2 row_mask:0xf bank_mask:0xf
	v_cndmask_b32_e32 v6, 0, v6, vcc
	v_add_u32_e32 v5, v5, v6
	ds_write_b32 v46, v5
.LBB1462_227:                           ;   in Loop: Header=BB1462_17 Depth=1
	s_or_b64 exec, exec, s[28:29]
	v_mov_b32_e32 v5, 0
	s_waitcnt lgkmcnt(0)
	s_barrier
	s_and_saveexec_b64 s[28:29], s[10:11]
; %bb.228:                              ;   in Loop: Header=BB1462_17 Depth=1
	ds_read_b32 v5, v47
; %bb.229:                              ;   in Loop: Header=BB1462_17 Depth=1
	s_or_b64 exec, exec, s[28:29]
	v_subrev_co_u32_e64 v6, s[28:29], 1, v74
	v_and_b32_e32 v7, 64, v74
	v_cmp_lt_i32_e32 vcc, v6, v7
	v_cndmask_b32_e32 v6, v6, v74, vcc
	s_waitcnt lgkmcnt(0)
	v_add_u32_e32 v4, v5, v4
	v_lshlrev_b32_e32 v79, 2, v6
	ds_bpermute_b32 v4, v79, v4
	s_waitcnt lgkmcnt(0)
	s_barrier
	s_and_saveexec_b64 s[30:31], s[4:5]
; %bb.230:                              ;   in Loop: Header=BB1462_17 Depth=1
	v_cndmask_b32_e64 v4, v4, v5, s[28:29]
	v_add_u32_e32 v4, s51, v4
	ds_write_b32 v32, v4
; %bb.231:                              ;   in Loop: Header=BB1462_17 Depth=1
	s_or_b64 exec, exec, s[30:31]
	s_load_dwordx2 s[30:31], s[56:57], 0x0
	v_and_b32_e32 v13, 63, v74
	v_lshlrev_b32_e32 v14, 3, v13
	v_or_b32_e32 v84, v13, v48
	v_lshlrev_b32_e32 v15, 2, v13
	s_waitcnt lgkmcnt(0)
	s_cmp_lt_u32 s33, s31
	s_cselect_b32 s31, 14, 20
	s_add_u32 s34, s56, s31
	s_addc_u32 s35, s57, 0
	s_cmp_lt_u32 s50, s30
	s_cselect_b32 s30, 12, 18
	s_add_u32 s30, s56, s30
	global_load_ushort v4, v3, s[34:35]
	s_addc_u32 s31, s57, 0
	global_load_ushort v12, v3, s[30:31]
	v_add_co_u32_e32 v87, vcc, v57, v14
	v_addc_co_u32_e32 v89, vcc, 0, v58, vcc
	v_add_co_u32_e32 v98, vcc, v59, v15
	v_cmp_eq_u32_e64 s[30:31], 0, v78
	v_cmp_lt_u32_e64 s[34:35], 1, v78
	s_mov_b32 s71, s79
	v_or_b32_e32 v91, 64, v84
	v_or_b32_e32 v92, 0x80, v84
	;; [unrolled: 1-line block ×7, first 2 shown]
	v_addc_co_u32_e32 v99, vcc, 0, v60, vcc
	s_mov_b32 s58, s51
                                        ; implicit-def: $vgpr5_vgpr6
                                        ; implicit-def: $vgpr7_vgpr8
                                        ; implicit-def: $vgpr9_vgpr10
                                        ; implicit-def: $vgpr20_vgpr21
                                        ; implicit-def: $vgpr22_vgpr23
                                        ; implicit-def: $vgpr24_vgpr25
                                        ; implicit-def: $vgpr26_vgpr27
                                        ; implicit-def: $vgpr28_vgpr29
                                        ; implicit-def: $vgpr80
                                        ; implicit-def: $vgpr81
                                        ; implicit-def: $vgpr82
                                        ; implicit-def: $vgpr83
                                        ; implicit-def: $vgpr85
                                        ; implicit-def: $vgpr86
                                        ; implicit-def: $vgpr88
                                        ; implicit-def: $vgpr90
	s_waitcnt vmcnt(1)
	v_mad_u32_u24 v4, v2, v4, v1
	s_waitcnt vmcnt(0)
	v_mad_u64_u32 v[12:13], s[36:37], v4, v12, v[0:1]
	v_lshrrev_b32_e32 v4, 4, v12
	v_and_b32_e32 v100, 0xffffffc, v4
	s_branch .LBB1462_233
.LBB1462_232:                           ;   in Loop: Header=BB1462_233 Depth=2
	s_or_b64 exec, exec, s[36:37]
	s_addk_i32 s71, 0xf800
	s_cmp_lt_u32 s76, s80
	s_mov_b32 s58, s76
	s_cbranch_scc0 .LBB1462_345
.LBB1462_233:                           ;   Parent Loop BB1462_17 Depth=1
                                        ; =>  This Inner Loop Header: Depth=2
	s_add_i32 s76, s58, 0x800
	s_cmp_gt_u32 s76, s80
	s_cbranch_scc1 .LBB1462_235
; %bb.234:                              ;   in Loop: Header=BB1462_233 Depth=2
	s_lshl_b64 s[36:37], s[58:59], 2
	v_mov_b32_e32 v4, s37
	v_add_co_u32_e32 v18, vcc, s36, v98
	v_addc_co_u32_e32 v19, vcc, v99, v4, vcc
	global_load_dword v12, v[18:19], off
	global_load_dword v13, v[18:19], off offset:256
	global_load_dword v14, v[18:19], off offset:512
	;; [unrolled: 1-line block ×5, first 2 shown]
	s_nop 0
	global_load_dword v18, v[18:19], off offset:1536
	s_mov_b64 s[36:37], -1
	s_movk_i32 s40, 0x800
	s_cbranch_execz .LBB1462_236
	s_branch .LBB1462_245
.LBB1462_235:                           ;   in Loop: Header=BB1462_233 Depth=2
	s_mov_b64 s[36:37], 0
                                        ; implicit-def: $vgpr12_vgpr13_vgpr14_vgpr15_vgpr16_vgpr17_vgpr18_vgpr19
	s_movk_i32 s40, 0x800
.LBB1462_236:                           ;   in Loop: Header=BB1462_233 Depth=2
	s_lshl_b64 s[36:37], s[58:59], 2
	v_mov_b32_e32 v4, s37
	v_add_co_u32_e32 v30, vcc, s36, v98
	s_waitcnt vmcnt(6)
	v_mov_b32_e32 v12, v11
	s_waitcnt vmcnt(5)
	v_mov_b32_e32 v13, v11
	;; [unrolled: 2-line block ×7, first 2 shown]
	v_addc_co_u32_e32 v31, vcc, v99, v4, vcc
	v_mov_b32_e32 v19, v18
	v_cmp_gt_u32_e32 vcc, s71, v84
	v_mov_b32_e32 v18, v17
	v_mov_b32_e32 v17, v16
	;; [unrolled: 1-line block ×7, first 2 shown]
	s_and_saveexec_b64 s[36:37], vcc
	s_cbranch_execnz .LBB1462_339
; %bb.237:                              ;   in Loop: Header=BB1462_233 Depth=2
	s_or_b64 exec, exec, s[36:37]
	v_cmp_gt_u32_e32 vcc, s71, v91
	s_and_saveexec_b64 s[36:37], vcc
	s_cbranch_execnz .LBB1462_340
.LBB1462_238:                           ;   in Loop: Header=BB1462_233 Depth=2
	s_or_b64 exec, exec, s[36:37]
	v_cmp_gt_u32_e32 vcc, s71, v92
	s_and_saveexec_b64 s[36:37], vcc
	s_cbranch_execnz .LBB1462_341
.LBB1462_239:                           ;   in Loop: Header=BB1462_233 Depth=2
	s_or_b64 exec, exec, s[36:37]
	v_cmp_gt_u32_e32 vcc, s71, v93
	s_and_saveexec_b64 s[36:37], vcc
	s_cbranch_execnz .LBB1462_342
.LBB1462_240:                           ;   in Loop: Header=BB1462_233 Depth=2
	s_or_b64 exec, exec, s[36:37]
	v_cmp_gt_u32_e32 vcc, s71, v94
	s_and_saveexec_b64 s[36:37], vcc
	s_cbranch_execnz .LBB1462_343
.LBB1462_241:                           ;   in Loop: Header=BB1462_233 Depth=2
	s_or_b64 exec, exec, s[36:37]
	v_cmp_gt_u32_e32 vcc, s71, v95
	s_and_saveexec_b64 s[36:37], vcc
	s_cbranch_execnz .LBB1462_344
.LBB1462_242:                           ;   in Loop: Header=BB1462_233 Depth=2
	s_or_b64 exec, exec, s[36:37]
	v_cmp_gt_u32_e32 vcc, s71, v96
	s_and_saveexec_b64 s[36:37], vcc
	s_cbranch_execz .LBB1462_244
.LBB1462_243:                           ;   in Loop: Header=BB1462_233 Depth=2
	global_load_dword v18, v[30:31], off offset:1536
.LBB1462_244:                           ;   in Loop: Header=BB1462_233 Depth=2
	s_or_b64 exec, exec, s[36:37]
	s_sub_i32 s40, s80, s58
	v_cmp_gt_u32_e64 s[36:37], s71, v97
.LBB1462_245:                           ;   in Loop: Header=BB1462_233 Depth=2
	v_mov_b32_e32 v101, s71
	s_and_saveexec_b64 s[38:39], s[36:37]
	s_cbranch_execz .LBB1462_247
; %bb.246:                              ;   in Loop: Header=BB1462_233 Depth=2
	s_lshl_b64 s[36:37], s[58:59], 2
	v_mov_b32_e32 v4, s37
	v_add_co_u32_e32 v30, vcc, s36, v98
	v_addc_co_u32_e32 v31, vcc, v99, v4, vcc
	global_load_dword v19, v[30:31], off offset:1792
	v_mov_b32_e32 v101, s40
.LBB1462_247:                           ;   in Loop: Header=BB1462_233 Depth=2
	s_or_b64 exec, exec, s[38:39]
	s_waitcnt vmcnt(0)
	v_cmp_lt_i32_e32 vcc, -1, v12
	v_cndmask_b32_e32 v4, -1, v73, vcc
	v_xor_b32_e32 v102, v4, v12
	v_cmp_ne_u32_e32 vcc, s62, v102
	v_cndmask_b32_e32 v4, v73, v102, vcc
	v_lshrrev_b32_e32 v4, s63, v4
	v_and_b32_e32 v12, s70, v4
	v_and_b32_e32 v4, 1, v12
	v_add_co_u32_e32 v30, vcc, -1, v4
	v_addc_co_u32_e64 v31, s[36:37], 0, -1, vcc
	v_cmp_ne_u32_e32 vcc, 0, v4
	v_xor_b32_e32 v4, vcc_hi, v31
	v_and_b32_e32 v31, exec_hi, v4
	v_lshlrev_b32_e32 v4, 30, v12
	v_xor_b32_e32 v30, vcc_lo, v30
	v_cmp_gt_i64_e32 vcc, 0, v[3:4]
	v_not_b32_e32 v4, v4
	v_ashrrev_i32_e32 v4, 31, v4
	v_and_b32_e32 v30, exec_lo, v30
	v_xor_b32_e32 v105, vcc_hi, v4
	v_xor_b32_e32 v4, vcc_lo, v4
	v_and_b32_e32 v30, v30, v4
	v_lshlrev_b32_e32 v4, 29, v12
	v_cmp_gt_i64_e32 vcc, 0, v[3:4]
	v_not_b32_e32 v4, v4
	v_ashrrev_i32_e32 v4, 31, v4
	v_and_b32_e32 v31, v31, v105
	v_xor_b32_e32 v105, vcc_hi, v4
	v_xor_b32_e32 v4, vcc_lo, v4
	v_and_b32_e32 v30, v30, v4
	v_lshlrev_b32_e32 v4, 28, v12
	v_cmp_gt_i64_e32 vcc, 0, v[3:4]
	v_not_b32_e32 v4, v4
	v_ashrrev_i32_e32 v4, 31, v4
	v_and_b32_e32 v31, v31, v105
	;; [unrolled: 8-line block ×5, first 2 shown]
	v_xor_b32_e32 v105, vcc_hi, v4
	v_xor_b32_e32 v4, vcc_lo, v4
	v_and_b32_e32 v30, v30, v4
	v_lshlrev_b32_e32 v4, 24, v12
	v_cmp_gt_i64_e32 vcc, 0, v[3:4]
	v_not_b32_e32 v4, v4
	v_ashrrev_i32_e32 v4, 31, v4
	v_mul_u32_u24_e32 v106, 20, v12
	v_xor_b32_e32 v12, vcc_hi, v4
	v_xor_b32_e32 v4, vcc_lo, v4
	v_and_b32_e32 v31, v31, v105
	v_and_b32_e32 v30, v30, v4
	;; [unrolled: 1-line block ×3, first 2 shown]
	v_mbcnt_lo_u32_b32 v4, v30, 0
	v_mbcnt_hi_u32_b32 v105, v31, v4
	v_cmp_ne_u64_e32 vcc, 0, v[30:31]
	v_cmp_eq_u32_e64 s[36:37], 0, v105
	v_add_u32_e32 v104, 0x410, v49
	v_add_u32_e32 v103, 0x418, v49
	s_and_b64 s[38:39], vcc, s[36:37]
	v_add_u32_e32 v106, v100, v106
	ds_write2_b32 v104, v3, v3 offset1:1
	ds_write2_b32 v103, v3, v3 offset1:1
	ds_write_b32 v49, v3 offset:1056
	s_waitcnt lgkmcnt(0)
	s_barrier
	; wave barrier
	s_and_saveexec_b64 s[36:37], s[38:39]
; %bb.248:                              ;   in Loop: Header=BB1462_233 Depth=2
	v_bcnt_u32_b32 v4, v30, 0
	v_bcnt_u32_b32 v4, v31, v4
	ds_write_b32 v106, v4 offset:1040
; %bb.249:                              ;   in Loop: Header=BB1462_233 Depth=2
	s_or_b64 exec, exec, s[36:37]
	v_cmp_lt_i32_e32 vcc, -1, v13
	v_cndmask_b32_e32 v4, -1, v73, vcc
	v_xor_b32_e32 v30, v4, v13
	v_cmp_ne_u32_e32 vcc, s62, v30
	v_cndmask_b32_e32 v4, v73, v30, vcc
	v_lshrrev_b32_e32 v4, s63, v4
	v_and_b32_e32 v12, s70, v4
	v_mad_u32_u24 v4, v12, 20, v100
	; wave barrier
	ds_read_b32 v31, v4 offset:1040
	v_and_b32_e32 v4, 1, v12
	v_add_co_u32_e32 v13, vcc, -1, v4
	v_addc_co_u32_e64 v107, s[36:37], 0, -1, vcc
	v_cmp_ne_u32_e32 vcc, 0, v4
	v_xor_b32_e32 v4, vcc_hi, v107
	v_and_b32_e32 v107, exec_hi, v4
	v_lshlrev_b32_e32 v4, 30, v12
	v_xor_b32_e32 v13, vcc_lo, v13
	v_cmp_gt_i64_e32 vcc, 0, v[3:4]
	v_not_b32_e32 v4, v4
	v_ashrrev_i32_e32 v4, 31, v4
	v_and_b32_e32 v13, exec_lo, v13
	v_xor_b32_e32 v109, vcc_hi, v4
	v_xor_b32_e32 v4, vcc_lo, v4
	v_and_b32_e32 v13, v13, v4
	v_lshlrev_b32_e32 v4, 29, v12
	v_cmp_gt_i64_e32 vcc, 0, v[3:4]
	v_not_b32_e32 v4, v4
	v_ashrrev_i32_e32 v4, 31, v4
	v_and_b32_e32 v107, v107, v109
	v_xor_b32_e32 v109, vcc_hi, v4
	v_xor_b32_e32 v4, vcc_lo, v4
	v_and_b32_e32 v13, v13, v4
	v_lshlrev_b32_e32 v4, 28, v12
	v_cmp_gt_i64_e32 vcc, 0, v[3:4]
	v_not_b32_e32 v4, v4
	v_ashrrev_i32_e32 v4, 31, v4
	v_and_b32_e32 v107, v107, v109
	;; [unrolled: 8-line block ×5, first 2 shown]
	v_xor_b32_e32 v109, vcc_hi, v4
	v_xor_b32_e32 v4, vcc_lo, v4
	v_and_b32_e32 v107, v107, v109
	v_and_b32_e32 v109, v13, v4
	v_lshlrev_b32_e32 v4, 24, v12
	v_cmp_gt_i64_e32 vcc, 0, v[3:4]
	v_not_b32_e32 v4, v4
	v_ashrrev_i32_e32 v4, 31, v4
	v_mul_u32_u24_e32 v108, 20, v12
	v_xor_b32_e32 v12, vcc_hi, v4
	v_xor_b32_e32 v4, vcc_lo, v4
	v_and_b32_e32 v13, v107, v12
	v_and_b32_e32 v12, v109, v4
	v_mbcnt_lo_u32_b32 v4, v12, 0
	v_mbcnt_hi_u32_b32 v107, v13, v4
	v_cmp_ne_u64_e32 vcc, 0, v[12:13]
	v_cmp_eq_u32_e64 s[36:37], 0, v107
	s_and_b64 s[38:39], vcc, s[36:37]
	v_add_u32_e32 v110, v100, v108
	; wave barrier
	s_and_saveexec_b64 s[36:37], s[38:39]
	s_cbranch_execz .LBB1462_251
; %bb.250:                              ;   in Loop: Header=BB1462_233 Depth=2
	v_bcnt_u32_b32 v4, v12, 0
	v_bcnt_u32_b32 v4, v13, v4
	s_waitcnt lgkmcnt(0)
	v_add_u32_e32 v4, v31, v4
	ds_write_b32 v110, v4 offset:1040
.LBB1462_251:                           ;   in Loop: Header=BB1462_233 Depth=2
	s_or_b64 exec, exec, s[36:37]
	v_cmp_lt_i32_e32 vcc, -1, v14
	v_cndmask_b32_e32 v4, -1, v73, vcc
	v_xor_b32_e32 v108, v4, v14
	v_cmp_ne_u32_e32 vcc, s62, v108
	v_cndmask_b32_e32 v4, v73, v108, vcc
	v_lshrrev_b32_e32 v4, s63, v4
	v_and_b32_e32 v12, s70, v4
	v_mad_u32_u24 v4, v12, 20, v100
	; wave barrier
	ds_read_b32 v109, v4 offset:1040
	v_and_b32_e32 v4, 1, v12
	v_add_co_u32_e32 v13, vcc, -1, v4
	v_addc_co_u32_e64 v111, s[36:37], 0, -1, vcc
	v_cmp_ne_u32_e32 vcc, 0, v4
	v_xor_b32_e32 v4, vcc_hi, v111
	v_and_b32_e32 v111, exec_hi, v4
	v_lshlrev_b32_e32 v4, 30, v12
	v_xor_b32_e32 v13, vcc_lo, v13
	v_cmp_gt_i64_e32 vcc, 0, v[3:4]
	v_not_b32_e32 v4, v4
	v_ashrrev_i32_e32 v4, 31, v4
	v_and_b32_e32 v13, exec_lo, v13
	v_xor_b32_e32 v112, vcc_hi, v4
	v_xor_b32_e32 v4, vcc_lo, v4
	v_and_b32_e32 v13, v13, v4
	v_lshlrev_b32_e32 v4, 29, v12
	v_cmp_gt_i64_e32 vcc, 0, v[3:4]
	v_not_b32_e32 v4, v4
	v_ashrrev_i32_e32 v4, 31, v4
	v_and_b32_e32 v111, v111, v112
	v_xor_b32_e32 v112, vcc_hi, v4
	v_xor_b32_e32 v4, vcc_lo, v4
	v_and_b32_e32 v13, v13, v4
	v_lshlrev_b32_e32 v4, 28, v12
	v_cmp_gt_i64_e32 vcc, 0, v[3:4]
	v_not_b32_e32 v4, v4
	v_ashrrev_i32_e32 v4, 31, v4
	v_and_b32_e32 v111, v111, v112
	v_xor_b32_e32 v112, vcc_hi, v4
	v_xor_b32_e32 v4, vcc_lo, v4
	v_and_b32_e32 v13, v13, v4
	v_lshlrev_b32_e32 v4, 27, v12
	v_cmp_gt_i64_e32 vcc, 0, v[3:4]
	v_not_b32_e32 v4, v4
	v_ashrrev_i32_e32 v4, 31, v4
	v_and_b32_e32 v111, v111, v112
	v_xor_b32_e32 v112, vcc_hi, v4
	v_xor_b32_e32 v4, vcc_lo, v4
	v_and_b32_e32 v13, v13, v4
	v_lshlrev_b32_e32 v4, 26, v12
	v_cmp_gt_i64_e32 vcc, 0, v[3:4]
	v_not_b32_e32 v4, v4
	v_ashrrev_i32_e32 v4, 31, v4
	v_and_b32_e32 v111, v111, v112
	v_xor_b32_e32 v112, vcc_hi, v4
	v_xor_b32_e32 v4, vcc_lo, v4
	v_and_b32_e32 v13, v13, v4
	v_lshlrev_b32_e32 v4, 25, v12
	v_cmp_gt_i64_e32 vcc, 0, v[3:4]
	v_not_b32_e32 v4, v4
	v_ashrrev_i32_e32 v4, 31, v4
	v_and_b32_e32 v111, v111, v112
	v_xor_b32_e32 v112, vcc_hi, v4
	v_xor_b32_e32 v4, vcc_lo, v4
	v_and_b32_e32 v111, v111, v112
	v_and_b32_e32 v112, v13, v4
	v_lshlrev_b32_e32 v4, 24, v12
	v_cmp_gt_i64_e32 vcc, 0, v[3:4]
	v_not_b32_e32 v4, v4
	v_ashrrev_i32_e32 v4, 31, v4
	v_mul_u32_u24_e32 v14, 20, v12
	v_xor_b32_e32 v12, vcc_hi, v4
	v_xor_b32_e32 v4, vcc_lo, v4
	v_and_b32_e32 v13, v111, v12
	v_and_b32_e32 v12, v112, v4
	v_mbcnt_lo_u32_b32 v4, v12, 0
	v_mbcnt_hi_u32_b32 v111, v13, v4
	v_cmp_ne_u64_e32 vcc, 0, v[12:13]
	v_cmp_eq_u32_e64 s[36:37], 0, v111
	s_and_b64 s[38:39], vcc, s[36:37]
	v_add_u32_e32 v114, v100, v14
	; wave barrier
	s_and_saveexec_b64 s[36:37], s[38:39]
	s_cbranch_execz .LBB1462_253
; %bb.252:                              ;   in Loop: Header=BB1462_233 Depth=2
	v_bcnt_u32_b32 v4, v12, 0
	v_bcnt_u32_b32 v4, v13, v4
	s_waitcnt lgkmcnt(0)
	v_add_u32_e32 v4, v109, v4
	ds_write_b32 v114, v4 offset:1040
.LBB1462_253:                           ;   in Loop: Header=BB1462_233 Depth=2
	s_or_b64 exec, exec, s[36:37]
	v_cmp_lt_i32_e32 vcc, -1, v15
	v_cndmask_b32_e32 v4, -1, v73, vcc
	v_xor_b32_e32 v112, v4, v15
	v_cmp_ne_u32_e32 vcc, s62, v112
	v_cndmask_b32_e32 v4, v73, v112, vcc
	v_lshrrev_b32_e32 v4, s63, v4
	v_and_b32_e32 v12, s70, v4
	v_mad_u32_u24 v4, v12, 20, v100
	; wave barrier
	ds_read_b32 v113, v4 offset:1040
	v_and_b32_e32 v4, 1, v12
	v_add_co_u32_e32 v13, vcc, -1, v4
	v_addc_co_u32_e64 v15, s[36:37], 0, -1, vcc
	v_cmp_ne_u32_e32 vcc, 0, v4
	v_xor_b32_e32 v4, vcc_hi, v15
	v_and_b32_e32 v15, exec_hi, v4
	v_lshlrev_b32_e32 v4, 30, v12
	v_xor_b32_e32 v13, vcc_lo, v13
	v_cmp_gt_i64_e32 vcc, 0, v[3:4]
	v_not_b32_e32 v4, v4
	v_ashrrev_i32_e32 v4, 31, v4
	v_and_b32_e32 v13, exec_lo, v13
	v_xor_b32_e32 v115, vcc_hi, v4
	v_xor_b32_e32 v4, vcc_lo, v4
	v_and_b32_e32 v13, v13, v4
	v_lshlrev_b32_e32 v4, 29, v12
	v_cmp_gt_i64_e32 vcc, 0, v[3:4]
	v_not_b32_e32 v4, v4
	v_ashrrev_i32_e32 v4, 31, v4
	v_and_b32_e32 v15, v15, v115
	v_xor_b32_e32 v115, vcc_hi, v4
	v_xor_b32_e32 v4, vcc_lo, v4
	v_and_b32_e32 v13, v13, v4
	v_lshlrev_b32_e32 v4, 28, v12
	v_cmp_gt_i64_e32 vcc, 0, v[3:4]
	v_not_b32_e32 v4, v4
	v_ashrrev_i32_e32 v4, 31, v4
	v_and_b32_e32 v15, v15, v115
	;; [unrolled: 8-line block ×5, first 2 shown]
	v_xor_b32_e32 v115, vcc_hi, v4
	v_xor_b32_e32 v4, vcc_lo, v4
	v_and_b32_e32 v15, v15, v115
	v_and_b32_e32 v115, v13, v4
	v_lshlrev_b32_e32 v4, 24, v12
	v_cmp_gt_i64_e32 vcc, 0, v[3:4]
	v_not_b32_e32 v4, v4
	v_ashrrev_i32_e32 v4, 31, v4
	v_mul_u32_u24_e32 v14, 20, v12
	v_xor_b32_e32 v12, vcc_hi, v4
	v_xor_b32_e32 v4, vcc_lo, v4
	v_and_b32_e32 v13, v15, v12
	v_and_b32_e32 v12, v115, v4
	v_mbcnt_lo_u32_b32 v4, v12, 0
	v_mbcnt_hi_u32_b32 v115, v13, v4
	v_cmp_ne_u64_e32 vcc, 0, v[12:13]
	v_cmp_eq_u32_e64 s[36:37], 0, v115
	s_and_b64 s[38:39], vcc, s[36:37]
	v_add_u32_e32 v117, v100, v14
	; wave barrier
	s_and_saveexec_b64 s[36:37], s[38:39]
	s_cbranch_execz .LBB1462_255
; %bb.254:                              ;   in Loop: Header=BB1462_233 Depth=2
	v_bcnt_u32_b32 v4, v12, 0
	v_bcnt_u32_b32 v4, v13, v4
	s_waitcnt lgkmcnt(0)
	v_add_u32_e32 v4, v113, v4
	ds_write_b32 v117, v4 offset:1040
.LBB1462_255:                           ;   in Loop: Header=BB1462_233 Depth=2
	s_or_b64 exec, exec, s[36:37]
	v_cmp_lt_i32_e32 vcc, -1, v16
	v_cndmask_b32_e32 v4, -1, v73, vcc
	v_xor_b32_e32 v116, v4, v16
	v_cmp_ne_u32_e32 vcc, s62, v116
	v_cndmask_b32_e32 v4, v73, v116, vcc
	v_lshrrev_b32_e32 v4, s63, v4
	v_and_b32_e32 v12, s70, v4
	v_mad_u32_u24 v4, v12, 20, v100
	; wave barrier
	ds_read_b32 v16, v4 offset:1040
	v_and_b32_e32 v4, 1, v12
	v_add_co_u32_e32 v13, vcc, -1, v4
	v_addc_co_u32_e64 v15, s[36:37], 0, -1, vcc
	v_cmp_ne_u32_e32 vcc, 0, v4
	v_xor_b32_e32 v4, vcc_hi, v15
	v_and_b32_e32 v15, exec_hi, v4
	v_lshlrev_b32_e32 v4, 30, v12
	v_xor_b32_e32 v13, vcc_lo, v13
	v_cmp_gt_i64_e32 vcc, 0, v[3:4]
	v_not_b32_e32 v4, v4
	v_ashrrev_i32_e32 v4, 31, v4
	v_and_b32_e32 v13, exec_lo, v13
	v_xor_b32_e32 v118, vcc_hi, v4
	v_xor_b32_e32 v4, vcc_lo, v4
	v_and_b32_e32 v13, v13, v4
	v_lshlrev_b32_e32 v4, 29, v12
	v_cmp_gt_i64_e32 vcc, 0, v[3:4]
	v_not_b32_e32 v4, v4
	v_ashrrev_i32_e32 v4, 31, v4
	v_and_b32_e32 v15, v15, v118
	v_xor_b32_e32 v118, vcc_hi, v4
	v_xor_b32_e32 v4, vcc_lo, v4
	v_and_b32_e32 v13, v13, v4
	v_lshlrev_b32_e32 v4, 28, v12
	v_cmp_gt_i64_e32 vcc, 0, v[3:4]
	v_not_b32_e32 v4, v4
	v_ashrrev_i32_e32 v4, 31, v4
	v_and_b32_e32 v15, v15, v118
	;; [unrolled: 8-line block ×5, first 2 shown]
	v_xor_b32_e32 v118, vcc_hi, v4
	v_xor_b32_e32 v4, vcc_lo, v4
	v_and_b32_e32 v15, v15, v118
	v_and_b32_e32 v118, v13, v4
	v_lshlrev_b32_e32 v4, 24, v12
	v_cmp_gt_i64_e32 vcc, 0, v[3:4]
	v_not_b32_e32 v4, v4
	v_ashrrev_i32_e32 v4, 31, v4
	v_mul_u32_u24_e32 v14, 20, v12
	v_xor_b32_e32 v12, vcc_hi, v4
	v_xor_b32_e32 v4, vcc_lo, v4
	v_and_b32_e32 v13, v15, v12
	v_and_b32_e32 v12, v118, v4
	v_mbcnt_lo_u32_b32 v4, v12, 0
	v_mbcnt_hi_u32_b32 v118, v13, v4
	v_cmp_ne_u64_e32 vcc, 0, v[12:13]
	v_cmp_eq_u32_e64 s[36:37], 0, v118
	s_and_b64 s[38:39], vcc, s[36:37]
	v_add_u32_e32 v121, v100, v14
	; wave barrier
	s_and_saveexec_b64 s[36:37], s[38:39]
	s_cbranch_execz .LBB1462_257
; %bb.256:                              ;   in Loop: Header=BB1462_233 Depth=2
	v_bcnt_u32_b32 v4, v12, 0
	v_bcnt_u32_b32 v4, v13, v4
	s_waitcnt lgkmcnt(0)
	v_add_u32_e32 v4, v16, v4
	ds_write_b32 v121, v4 offset:1040
.LBB1462_257:                           ;   in Loop: Header=BB1462_233 Depth=2
	s_or_b64 exec, exec, s[36:37]
	v_cmp_lt_i32_e32 vcc, -1, v17
	v_cndmask_b32_e32 v4, -1, v73, vcc
	v_xor_b32_e32 v119, v4, v17
	v_cmp_ne_u32_e32 vcc, s62, v119
	v_cndmask_b32_e32 v4, v73, v119, vcc
	v_lshrrev_b32_e32 v4, s63, v4
	v_and_b32_e32 v12, s70, v4
	v_mad_u32_u24 v4, v12, 20, v100
	; wave barrier
	ds_read_b32 v120, v4 offset:1040
	v_and_b32_e32 v4, 1, v12
	v_add_co_u32_e32 v13, vcc, -1, v4
	v_addc_co_u32_e64 v15, s[36:37], 0, -1, vcc
	v_cmp_ne_u32_e32 vcc, 0, v4
	v_xor_b32_e32 v4, vcc_hi, v15
	v_and_b32_e32 v15, exec_hi, v4
	v_lshlrev_b32_e32 v4, 30, v12
	v_xor_b32_e32 v13, vcc_lo, v13
	v_cmp_gt_i64_e32 vcc, 0, v[3:4]
	v_not_b32_e32 v4, v4
	v_ashrrev_i32_e32 v4, 31, v4
	v_and_b32_e32 v13, exec_lo, v13
	v_xor_b32_e32 v17, vcc_hi, v4
	v_xor_b32_e32 v4, vcc_lo, v4
	v_and_b32_e32 v13, v13, v4
	v_lshlrev_b32_e32 v4, 29, v12
	v_cmp_gt_i64_e32 vcc, 0, v[3:4]
	v_not_b32_e32 v4, v4
	v_ashrrev_i32_e32 v4, 31, v4
	v_and_b32_e32 v15, v15, v17
	v_xor_b32_e32 v17, vcc_hi, v4
	v_xor_b32_e32 v4, vcc_lo, v4
	v_and_b32_e32 v13, v13, v4
	v_lshlrev_b32_e32 v4, 28, v12
	v_cmp_gt_i64_e32 vcc, 0, v[3:4]
	v_not_b32_e32 v4, v4
	v_ashrrev_i32_e32 v4, 31, v4
	v_and_b32_e32 v15, v15, v17
	;; [unrolled: 8-line block ×5, first 2 shown]
	v_xor_b32_e32 v17, vcc_hi, v4
	v_xor_b32_e32 v4, vcc_lo, v4
	v_and_b32_e32 v15, v15, v17
	v_and_b32_e32 v17, v13, v4
	v_lshlrev_b32_e32 v4, 24, v12
	v_cmp_gt_i64_e32 vcc, 0, v[3:4]
	v_not_b32_e32 v4, v4
	v_ashrrev_i32_e32 v4, 31, v4
	v_mul_u32_u24_e32 v14, 20, v12
	v_xor_b32_e32 v12, vcc_hi, v4
	v_xor_b32_e32 v4, vcc_lo, v4
	v_and_b32_e32 v13, v15, v12
	v_and_b32_e32 v12, v17, v4
	v_mbcnt_lo_u32_b32 v4, v12, 0
	v_mbcnt_hi_u32_b32 v122, v13, v4
	v_cmp_ne_u64_e32 vcc, 0, v[12:13]
	v_cmp_eq_u32_e64 s[36:37], 0, v122
	s_and_b64 s[38:39], vcc, s[36:37]
	v_add_u32_e32 v17, v100, v14
	; wave barrier
	s_and_saveexec_b64 s[36:37], s[38:39]
	s_cbranch_execz .LBB1462_259
; %bb.258:                              ;   in Loop: Header=BB1462_233 Depth=2
	v_bcnt_u32_b32 v4, v12, 0
	v_bcnt_u32_b32 v4, v13, v4
	s_waitcnt lgkmcnt(0)
	v_add_u32_e32 v4, v120, v4
	ds_write_b32 v17, v4 offset:1040
.LBB1462_259:                           ;   in Loop: Header=BB1462_233 Depth=2
	s_or_b64 exec, exec, s[36:37]
	v_cmp_lt_i32_e32 vcc, -1, v18
	v_cndmask_b32_e32 v4, -1, v73, vcc
	v_xor_b32_e32 v123, v4, v18
	v_cmp_ne_u32_e32 vcc, s62, v123
	v_cndmask_b32_e32 v4, v73, v123, vcc
	v_lshrrev_b32_e32 v4, s63, v4
	v_and_b32_e32 v12, s70, v4
	v_mad_u32_u24 v4, v12, 20, v100
	; wave barrier
	ds_read_b32 v124, v4 offset:1040
	v_and_b32_e32 v4, 1, v12
	v_add_co_u32_e32 v13, vcc, -1, v4
	v_addc_co_u32_e64 v15, s[36:37], 0, -1, vcc
	v_cmp_ne_u32_e32 vcc, 0, v4
	v_xor_b32_e32 v4, vcc_hi, v15
	v_and_b32_e32 v15, exec_hi, v4
	v_lshlrev_b32_e32 v4, 30, v12
	v_xor_b32_e32 v13, vcc_lo, v13
	v_cmp_gt_i64_e32 vcc, 0, v[3:4]
	v_not_b32_e32 v4, v4
	v_ashrrev_i32_e32 v4, 31, v4
	v_and_b32_e32 v13, exec_lo, v13
	v_xor_b32_e32 v18, vcc_hi, v4
	v_xor_b32_e32 v4, vcc_lo, v4
	v_and_b32_e32 v13, v13, v4
	v_lshlrev_b32_e32 v4, 29, v12
	v_cmp_gt_i64_e32 vcc, 0, v[3:4]
	v_not_b32_e32 v4, v4
	v_ashrrev_i32_e32 v4, 31, v4
	v_and_b32_e32 v15, v15, v18
	v_xor_b32_e32 v18, vcc_hi, v4
	v_xor_b32_e32 v4, vcc_lo, v4
	v_and_b32_e32 v13, v13, v4
	v_lshlrev_b32_e32 v4, 28, v12
	v_cmp_gt_i64_e32 vcc, 0, v[3:4]
	v_not_b32_e32 v4, v4
	v_ashrrev_i32_e32 v4, 31, v4
	v_and_b32_e32 v15, v15, v18
	;; [unrolled: 8-line block ×5, first 2 shown]
	v_xor_b32_e32 v18, vcc_hi, v4
	v_xor_b32_e32 v4, vcc_lo, v4
	v_and_b32_e32 v15, v15, v18
	v_and_b32_e32 v18, v13, v4
	v_lshlrev_b32_e32 v4, 24, v12
	v_cmp_gt_i64_e32 vcc, 0, v[3:4]
	v_not_b32_e32 v4, v4
	v_ashrrev_i32_e32 v4, 31, v4
	v_mul_u32_u24_e32 v14, 20, v12
	v_xor_b32_e32 v12, vcc_hi, v4
	v_xor_b32_e32 v4, vcc_lo, v4
	v_and_b32_e32 v13, v15, v12
	v_and_b32_e32 v12, v18, v4
	v_mbcnt_lo_u32_b32 v4, v12, 0
	v_mbcnt_hi_u32_b32 v125, v13, v4
	v_cmp_ne_u64_e32 vcc, 0, v[12:13]
	v_cmp_eq_u32_e64 s[36:37], 0, v125
	s_and_b64 s[38:39], vcc, s[36:37]
	v_add_u32_e32 v18, v100, v14
	; wave barrier
	s_and_saveexec_b64 s[36:37], s[38:39]
	s_cbranch_execz .LBB1462_261
; %bb.260:                              ;   in Loop: Header=BB1462_233 Depth=2
	v_bcnt_u32_b32 v4, v12, 0
	v_bcnt_u32_b32 v4, v13, v4
	s_waitcnt lgkmcnt(0)
	v_add_u32_e32 v4, v124, v4
	ds_write_b32 v18, v4 offset:1040
.LBB1462_261:                           ;   in Loop: Header=BB1462_233 Depth=2
	s_or_b64 exec, exec, s[36:37]
	v_cmp_lt_i32_e32 vcc, -1, v19
	v_cndmask_b32_e32 v4, -1, v73, vcc
	v_xor_b32_e32 v126, v4, v19
	v_cmp_ne_u32_e32 vcc, s62, v126
	v_cndmask_b32_e32 v4, v73, v126, vcc
	v_lshrrev_b32_e32 v4, s63, v4
	v_and_b32_e32 v12, s70, v4
	v_mad_u32_u24 v4, v12, 20, v100
	; wave barrier
	ds_read_b32 v127, v4 offset:1040
	v_and_b32_e32 v4, 1, v12
	v_add_co_u32_e32 v13, vcc, -1, v4
	v_addc_co_u32_e64 v15, s[36:37], 0, -1, vcc
	v_cmp_ne_u32_e32 vcc, 0, v4
	v_xor_b32_e32 v4, vcc_hi, v15
	v_and_b32_e32 v15, exec_hi, v4
	v_lshlrev_b32_e32 v4, 30, v12
	v_xor_b32_e32 v13, vcc_lo, v13
	v_cmp_gt_i64_e32 vcc, 0, v[3:4]
	v_not_b32_e32 v4, v4
	v_ashrrev_i32_e32 v4, 31, v4
	v_and_b32_e32 v13, exec_lo, v13
	v_xor_b32_e32 v19, vcc_hi, v4
	v_xor_b32_e32 v4, vcc_lo, v4
	v_and_b32_e32 v13, v13, v4
	v_lshlrev_b32_e32 v4, 29, v12
	v_cmp_gt_i64_e32 vcc, 0, v[3:4]
	v_not_b32_e32 v4, v4
	v_ashrrev_i32_e32 v4, 31, v4
	v_and_b32_e32 v15, v15, v19
	v_xor_b32_e32 v19, vcc_hi, v4
	v_xor_b32_e32 v4, vcc_lo, v4
	v_and_b32_e32 v13, v13, v4
	v_lshlrev_b32_e32 v4, 28, v12
	v_cmp_gt_i64_e32 vcc, 0, v[3:4]
	v_not_b32_e32 v4, v4
	v_ashrrev_i32_e32 v4, 31, v4
	v_and_b32_e32 v15, v15, v19
	;; [unrolled: 8-line block ×5, first 2 shown]
	v_xor_b32_e32 v19, vcc_hi, v4
	v_xor_b32_e32 v4, vcc_lo, v4
	v_and_b32_e32 v15, v15, v19
	v_and_b32_e32 v19, v13, v4
	v_lshlrev_b32_e32 v4, 24, v12
	v_cmp_gt_i64_e32 vcc, 0, v[3:4]
	v_not_b32_e32 v4, v4
	v_ashrrev_i32_e32 v4, 31, v4
	v_mul_u32_u24_e32 v14, 20, v12
	v_xor_b32_e32 v12, vcc_hi, v4
	v_xor_b32_e32 v4, vcc_lo, v4
	v_and_b32_e32 v13, v15, v12
	v_and_b32_e32 v12, v19, v4
	v_mbcnt_lo_u32_b32 v4, v12, 0
	v_mbcnt_hi_u32_b32 v128, v13, v4
	v_cmp_ne_u64_e32 vcc, 0, v[12:13]
	v_cmp_eq_u32_e64 s[36:37], 0, v128
	s_and_b64 s[38:39], vcc, s[36:37]
	v_add_u32_e32 v4, v100, v14
	; wave barrier
	s_and_saveexec_b64 s[36:37], s[38:39]
	s_cbranch_execz .LBB1462_263
; %bb.262:                              ;   in Loop: Header=BB1462_233 Depth=2
	v_bcnt_u32_b32 v12, v12, 0
	v_bcnt_u32_b32 v12, v13, v12
	s_waitcnt lgkmcnt(0)
	v_add_u32_e32 v12, v127, v12
	ds_write_b32 v4, v12 offset:1040
.LBB1462_263:                           ;   in Loop: Header=BB1462_233 Depth=2
	s_or_b64 exec, exec, s[36:37]
	; wave barrier
	s_waitcnt lgkmcnt(0)
	s_barrier
	ds_read2_b32 v[14:15], v104 offset1:1
	ds_read2_b32 v[12:13], v103 offset1:1
	ds_read_b32 v19, v49 offset:1056
	s_waitcnt lgkmcnt(1)
	v_add3_u32 v129, v15, v14, v12
	s_waitcnt lgkmcnt(0)
	v_add3_u32 v19, v129, v13, v19
	s_nop 1
	v_mov_b32_dpp v129, v19 row_shr:1 row_mask:0xf bank_mask:0xf
	v_cndmask_b32_e64 v129, v129, 0, s[16:17]
	v_add_u32_e32 v19, v129, v19
	s_nop 1
	v_mov_b32_dpp v129, v19 row_shr:2 row_mask:0xf bank_mask:0xf
	v_cndmask_b32_e64 v129, 0, v129, s[18:19]
	v_add_u32_e32 v19, v19, v129
	;; [unrolled: 4-line block ×4, first 2 shown]
	s_nop 1
	v_mov_b32_dpp v129, v19 row_bcast:15 row_mask:0xf bank_mask:0xf
	v_cndmask_b32_e64 v129, v129, 0, s[24:25]
	v_add_u32_e32 v19, v19, v129
	s_nop 1
	v_mov_b32_dpp v129, v19 row_bcast:31 row_mask:0xf bank_mask:0xf
	v_cndmask_b32_e64 v129, 0, v129, s[26:27]
	v_add_u32_e32 v19, v19, v129
	s_and_saveexec_b64 s[36:37], s[6:7]
; %bb.264:                              ;   in Loop: Header=BB1462_233 Depth=2
	ds_write_b32 v44, v19 offset:1024
; %bb.265:                              ;   in Loop: Header=BB1462_233 Depth=2
	s_or_b64 exec, exec, s[36:37]
	s_waitcnt lgkmcnt(0)
	s_barrier
	s_and_saveexec_b64 s[36:37], s[8:9]
	s_cbranch_execz .LBB1462_267
; %bb.266:                              ;   in Loop: Header=BB1462_233 Depth=2
	ds_read_b32 v129, v50 offset:1024
	s_waitcnt lgkmcnt(0)
	s_nop 0
	v_mov_b32_dpp v130, v129 row_shr:1 row_mask:0xf bank_mask:0xf
	v_cndmask_b32_e64 v130, v130, 0, s[30:31]
	v_add_u32_e32 v129, v130, v129
	s_nop 1
	v_mov_b32_dpp v130, v129 row_shr:2 row_mask:0xf bank_mask:0xf
	v_cndmask_b32_e64 v130, 0, v130, s[34:35]
	v_add_u32_e32 v129, v129, v130
	ds_write_b32 v50, v129 offset:1024
.LBB1462_267:                           ;   in Loop: Header=BB1462_233 Depth=2
	s_or_b64 exec, exec, s[36:37]
	v_mov_b32_e32 v129, 0
	s_waitcnt lgkmcnt(0)
	s_barrier
	s_and_saveexec_b64 s[36:37], s[10:11]
; %bb.268:                              ;   in Loop: Header=BB1462_233 Depth=2
	ds_read_b32 v129, v44 offset:1020
; %bb.269:                              ;   in Loop: Header=BB1462_233 Depth=2
	s_or_b64 exec, exec, s[36:37]
	s_waitcnt lgkmcnt(0)
	v_add_u32_e32 v19, v129, v19
	ds_bpermute_b32 v19, v79, v19
	s_waitcnt lgkmcnt(0)
	v_cndmask_b32_e64 v19, v19, v129, s[28:29]
	v_cndmask_b32_e64 v19, v19, 0, s[12:13]
	v_add_u32_e32 v14, v19, v14
	v_add_u32_e32 v15, v14, v15
	;; [unrolled: 1-line block ×4, first 2 shown]
	ds_write2_b32 v104, v19, v14 offset1:1
	ds_write2_b32 v103, v15, v12 offset1:1
	ds_write_b32 v49, v13 offset:1056
	s_waitcnt lgkmcnt(0)
	s_barrier
	ds_read_b32 v12, v106 offset:1040
	ds_read_b32 v13, v110 offset:1040
	;; [unrolled: 1-line block ×9, first 2 shown]
	v_mov_b32_e32 v4, 0x800
	s_and_saveexec_b64 s[36:37], s[14:15]
; %bb.270:                              ;   in Loop: Header=BB1462_233 Depth=2
	ds_read_b32 v4, v49 offset:1060
; %bb.271:                              ;   in Loop: Header=BB1462_233 Depth=2
	s_or_b64 exec, exec, s[36:37]
	s_waitcnt lgkmcnt(0)
	s_barrier
	s_and_saveexec_b64 s[36:37], s[4:5]
	s_cbranch_execz .LBB1462_273
; %bb.272:                              ;   in Loop: Header=BB1462_233 Depth=2
	ds_read_b32 v18, v32
	s_waitcnt lgkmcnt(0)
	v_sub_u32_e32 v17, v18, v17
	ds_write_b32 v32, v17
.LBB1462_273:                           ;   in Loop: Header=BB1462_233 Depth=2
	s_or_b64 exec, exec, s[36:37]
	v_add_u32_e32 v103, v12, v105
	v_add3_u32 v31, v107, v31, v13
	v_lshlrev_b32_e32 v12, 2, v103
	v_add3_u32 v19, v111, v109, v14
	ds_write_b32 v12, v102 offset:1024
	v_lshlrev_b32_e32 v12, 2, v31
	v_add3_u32 v18, v115, v113, v15
	ds_write_b32 v12, v30 offset:1024
	;; [unrolled: 3-line block ×6, first 2 shown]
	v_lshlrev_b32_e32 v12, 2, v15
	ds_write_b32 v12, v123 offset:1024
	v_lshlrev_b32_e32 v12, 2, v14
	v_cmp_lt_u32_e32 vcc, v0, v101
	ds_write_b32 v12, v126 offset:1024
	s_waitcnt lgkmcnt(0)
	s_barrier
	s_and_saveexec_b64 s[38:39], vcc
	s_cbranch_execnz .LBB1462_310
; %bb.274:                              ;   in Loop: Header=BB1462_233 Depth=2
	s_or_b64 exec, exec, s[38:39]
	v_cmp_lt_u32_e64 s[36:37], v33, v101
	s_and_saveexec_b64 s[40:41], s[36:37]
	s_cbranch_execnz .LBB1462_311
.LBB1462_275:                           ;   in Loop: Header=BB1462_233 Depth=2
	s_or_b64 exec, exec, s[40:41]
	v_cmp_lt_u32_e64 s[38:39], v34, v101
	s_and_saveexec_b64 s[42:43], s[38:39]
	s_cbranch_execnz .LBB1462_312
.LBB1462_276:                           ;   in Loop: Header=BB1462_233 Depth=2
	s_or_b64 exec, exec, s[42:43]
	v_cmp_lt_u32_e64 s[40:41], v35, v101
	s_and_saveexec_b64 s[44:45], s[40:41]
	s_cbranch_execnz .LBB1462_313
.LBB1462_277:                           ;   in Loop: Header=BB1462_233 Depth=2
	s_or_b64 exec, exec, s[44:45]
	v_cmp_lt_u32_e64 s[42:43], v38, v101
	s_and_saveexec_b64 s[46:47], s[42:43]
	s_cbranch_execnz .LBB1462_314
.LBB1462_278:                           ;   in Loop: Header=BB1462_233 Depth=2
	s_or_b64 exec, exec, s[46:47]
	v_cmp_lt_u32_e64 s[44:45], v39, v101
	s_and_saveexec_b64 s[48:49], s[44:45]
	s_cbranch_execnz .LBB1462_315
.LBB1462_279:                           ;   in Loop: Header=BB1462_233 Depth=2
	s_or_b64 exec, exec, s[48:49]
	v_cmp_lt_u32_e64 s[46:47], v40, v101
	s_and_saveexec_b64 s[52:53], s[46:47]
	s_cbranch_execnz .LBB1462_316
.LBB1462_280:                           ;   in Loop: Header=BB1462_233 Depth=2
	s_or_b64 exec, exec, s[52:53]
	v_cmp_lt_u32_e64 s[48:49], v41, v101
	s_and_saveexec_b64 s[60:61], s[48:49]
	s_cbranch_execz .LBB1462_282
.LBB1462_281:                           ;   in Loop: Header=BB1462_233 Depth=2
	ds_read_b32 v12, v50 offset:8192
	v_mov_b32_e32 v13, v3
	v_mov_b32_e32 v102, s69
	s_waitcnt lgkmcnt(0)
	v_cmp_ne_u32_e64 s[52:53], s62, v12
	v_cndmask_b32_e64 v30, v73, v12, s[52:53]
	v_lshrrev_b32_e32 v30, s63, v30
	v_and_b32_e32 v30, s70, v30
	v_lshlrev_b32_e32 v30, 2, v30
	ds_read_b32 v30, v30
	v_cmp_lt_i32_e64 s[52:53], -1, v12
	v_cndmask_b32_e64 v104, v73, -1, s[52:53]
	v_xor_b32_e32 v104, v104, v12
	s_waitcnt lgkmcnt(0)
	v_add_u32_e32 v12, v30, v41
	v_lshlrev_b64 v[12:13], 2, v[12:13]
	v_add_co_u32_e64 v12, s[52:53], s68, v12
	v_addc_co_u32_e64 v13, s[52:53], v102, v13, s[52:53]
	global_store_dword v[12:13], v104, off
.LBB1462_282:                           ;   in Loop: Header=BB1462_233 Depth=2
	s_or_b64 exec, exec, s[60:61]
	s_lshl_b64 s[52:53], s[58:59], 3
	v_mov_b32_e32 v13, s53
	v_add_co_u32_e64 v12, s[52:53], s52, v87
	v_addc_co_u32_e64 v13, s[52:53], v89, v13, s[52:53]
	v_cmp_lt_u32_e64 s[52:53], v84, v101
	s_and_saveexec_b64 s[60:61], s[52:53]
	s_xor_b64 s[52:53], exec, s[60:61]
	s_cbranch_execnz .LBB1462_317
; %bb.283:                              ;   in Loop: Header=BB1462_233 Depth=2
	s_or_b64 exec, exec, s[52:53]
	v_cmp_lt_u32_e64 s[52:53], v91, v101
	s_and_saveexec_b64 s[60:61], s[52:53]
	s_cbranch_execnz .LBB1462_318
.LBB1462_284:                           ;   in Loop: Header=BB1462_233 Depth=2
	s_or_b64 exec, exec, s[60:61]
	v_cmp_lt_u32_e64 s[52:53], v92, v101
	s_and_saveexec_b64 s[60:61], s[52:53]
	s_cbranch_execnz .LBB1462_319
.LBB1462_285:                           ;   in Loop: Header=BB1462_233 Depth=2
	s_or_b64 exec, exec, s[60:61]
	v_cmp_lt_u32_e64 s[52:53], v93, v101
	s_and_saveexec_b64 s[60:61], s[52:53]
	s_cbranch_execnz .LBB1462_320
.LBB1462_286:                           ;   in Loop: Header=BB1462_233 Depth=2
	s_or_b64 exec, exec, s[60:61]
	v_cmp_lt_u32_e64 s[52:53], v94, v101
	s_and_saveexec_b64 s[60:61], s[52:53]
	s_cbranch_execnz .LBB1462_321
.LBB1462_287:                           ;   in Loop: Header=BB1462_233 Depth=2
	s_or_b64 exec, exec, s[60:61]
	v_cmp_lt_u32_e64 s[52:53], v95, v101
	s_and_saveexec_b64 s[60:61], s[52:53]
	s_cbranch_execnz .LBB1462_322
.LBB1462_288:                           ;   in Loop: Header=BB1462_233 Depth=2
	s_or_b64 exec, exec, s[60:61]
	v_cmp_lt_u32_e64 s[52:53], v96, v101
	s_and_saveexec_b64 s[60:61], s[52:53]
	s_cbranch_execnz .LBB1462_323
.LBB1462_289:                           ;   in Loop: Header=BB1462_233 Depth=2
	s_or_b64 exec, exec, s[60:61]
	v_cmp_lt_u32_e64 s[52:53], v97, v101
	s_and_saveexec_b64 s[60:61], s[52:53]
	s_cbranch_execnz .LBB1462_324
.LBB1462_290:                           ;   in Loop: Header=BB1462_233 Depth=2
	s_or_b64 exec, exec, s[60:61]
	s_and_saveexec_b64 s[60:61], vcc
	s_cbranch_execnz .LBB1462_325
.LBB1462_291:                           ;   in Loop: Header=BB1462_233 Depth=2
	s_or_b64 exec, exec, s[60:61]
	s_and_saveexec_b64 s[60:61], s[36:37]
	s_cbranch_execnz .LBB1462_326
.LBB1462_292:                           ;   in Loop: Header=BB1462_233 Depth=2
	s_or_b64 exec, exec, s[60:61]
	s_and_saveexec_b64 s[60:61], s[38:39]
	s_cbranch_execnz .LBB1462_327
.LBB1462_293:                           ;   in Loop: Header=BB1462_233 Depth=2
	s_or_b64 exec, exec, s[60:61]
	s_and_saveexec_b64 s[60:61], s[40:41]
	s_cbranch_execnz .LBB1462_328
.LBB1462_294:                           ;   in Loop: Header=BB1462_233 Depth=2
	s_or_b64 exec, exec, s[60:61]
	s_and_saveexec_b64 s[60:61], s[42:43]
	s_cbranch_execnz .LBB1462_329
.LBB1462_295:                           ;   in Loop: Header=BB1462_233 Depth=2
	s_or_b64 exec, exec, s[60:61]
	s_and_saveexec_b64 s[60:61], s[44:45]
	s_cbranch_execnz .LBB1462_330
.LBB1462_296:                           ;   in Loop: Header=BB1462_233 Depth=2
	s_or_b64 exec, exec, s[60:61]
	s_and_saveexec_b64 s[60:61], s[46:47]
	s_cbranch_execnz .LBB1462_331
.LBB1462_297:                           ;   in Loop: Header=BB1462_233 Depth=2
	s_or_b64 exec, exec, s[60:61]
	s_and_saveexec_b64 s[60:61], s[48:49]
	s_cbranch_execz .LBB1462_299
.LBB1462_298:                           ;   in Loop: Header=BB1462_233 Depth=2
	ds_read_b32 v12, v50 offset:8192
	s_waitcnt lgkmcnt(0)
	v_cmp_ne_u32_e64 s[52:53], s62, v12
	v_cndmask_b32_e64 v12, v73, v12, s[52:53]
	v_lshrrev_b32_e32 v12, s63, v12
	v_and_b32_e32 v80, s70, v12
.LBB1462_299:                           ;   in Loop: Header=BB1462_233 Depth=2
	s_or_b64 exec, exec, s[60:61]
	v_lshlrev_b32_e32 v12, 3, v103
	s_waitcnt vmcnt(0)
	s_barrier
	ds_write_b64 v12, v[28:29] offset:1024
	v_lshlrev_b32_e32 v12, 3, v31
	ds_write_b64 v12, v[26:27] offset:1024
	v_lshlrev_b32_e32 v12, 3, v19
	;; [unrolled: 2-line block ×7, first 2 shown]
	ds_write_b64 v12, v[5:6] offset:1024
	s_waitcnt lgkmcnt(0)
	s_barrier
	s_and_saveexec_b64 s[52:53], vcc
	s_cbranch_execnz .LBB1462_332
; %bb.300:                              ;   in Loop: Header=BB1462_233 Depth=2
	s_or_b64 exec, exec, s[52:53]
	s_and_saveexec_b64 s[52:53], s[36:37]
	s_cbranch_execnz .LBB1462_333
.LBB1462_301:                           ;   in Loop: Header=BB1462_233 Depth=2
	s_or_b64 exec, exec, s[52:53]
	s_and_saveexec_b64 s[36:37], s[38:39]
	s_cbranch_execnz .LBB1462_334
.LBB1462_302:                           ;   in Loop: Header=BB1462_233 Depth=2
	s_or_b64 exec, exec, s[36:37]
	s_and_saveexec_b64 s[36:37], s[40:41]
	s_cbranch_execnz .LBB1462_335
.LBB1462_303:                           ;   in Loop: Header=BB1462_233 Depth=2
	s_or_b64 exec, exec, s[36:37]
	s_and_saveexec_b64 s[36:37], s[42:43]
	s_cbranch_execnz .LBB1462_336
.LBB1462_304:                           ;   in Loop: Header=BB1462_233 Depth=2
	s_or_b64 exec, exec, s[36:37]
	s_and_saveexec_b64 s[36:37], s[44:45]
	s_cbranch_execnz .LBB1462_337
.LBB1462_305:                           ;   in Loop: Header=BB1462_233 Depth=2
	s_or_b64 exec, exec, s[36:37]
	s_and_saveexec_b64 s[36:37], s[46:47]
	s_cbranch_execnz .LBB1462_338
.LBB1462_306:                           ;   in Loop: Header=BB1462_233 Depth=2
	s_or_b64 exec, exec, s[36:37]
	s_and_saveexec_b64 s[36:37], s[48:49]
	s_cbranch_execz .LBB1462_308
.LBB1462_307:                           ;   in Loop: Header=BB1462_233 Depth=2
	v_lshlrev_b32_e32 v12, 2, v80
	ds_read_b32 v14, v12
	v_add_u32_e32 v12, v50, v32
	ds_read_b64 v[12:13], v12 offset:15360
	v_mov_b32_e32 v15, v3
	v_mov_b32_e32 v16, s75
	s_waitcnt lgkmcnt(1)
	v_add_u32_e32 v14, v14, v41
	v_lshlrev_b64 v[14:15], 3, v[14:15]
	v_add_co_u32_e32 v14, vcc, s74, v14
	v_addc_co_u32_e32 v15, vcc, v16, v15, vcc
	s_waitcnt lgkmcnt(0)
	global_store_dwordx2 v[14:15], v[12:13], off
.LBB1462_308:                           ;   in Loop: Header=BB1462_233 Depth=2
	s_or_b64 exec, exec, s[36:37]
	s_waitcnt vmcnt(0)
	s_barrier
	s_and_saveexec_b64 s[36:37], s[4:5]
	s_cbranch_execz .LBB1462_232
; %bb.309:                              ;   in Loop: Header=BB1462_233 Depth=2
	ds_read_b32 v12, v32
	s_waitcnt lgkmcnt(0)
	v_add_u32_e32 v4, v12, v4
	ds_write_b32 v32, v4
	s_branch .LBB1462_232
.LBB1462_310:                           ;   in Loop: Header=BB1462_233 Depth=2
	ds_read_b32 v12, v50 offset:1024
	v_mov_b32_e32 v13, v3
	v_mov_b32_e32 v102, s69
	s_waitcnt lgkmcnt(0)
	v_cmp_ne_u32_e64 s[36:37], s62, v12
	v_cndmask_b32_e64 v30, v73, v12, s[36:37]
	v_lshrrev_b32_e32 v30, s63, v30
	v_and_b32_e32 v30, s70, v30
	v_lshlrev_b32_e32 v30, 2, v30
	ds_read_b32 v30, v30
	v_cmp_lt_i32_e64 s[36:37], -1, v12
	v_cndmask_b32_e64 v104, v73, -1, s[36:37]
	v_xor_b32_e32 v104, v104, v12
	s_waitcnt lgkmcnt(0)
	v_add_u32_e32 v12, v30, v0
	v_lshlrev_b64 v[12:13], 2, v[12:13]
	v_add_co_u32_e64 v12, s[36:37], s68, v12
	v_addc_co_u32_e64 v13, s[36:37], v102, v13, s[36:37]
	global_store_dword v[12:13], v104, off
	s_or_b64 exec, exec, s[38:39]
	v_cmp_lt_u32_e64 s[36:37], v33, v101
	s_and_saveexec_b64 s[40:41], s[36:37]
	s_cbranch_execz .LBB1462_275
.LBB1462_311:                           ;   in Loop: Header=BB1462_233 Depth=2
	ds_read_b32 v12, v50 offset:2048
	v_mov_b32_e32 v13, v3
	v_mov_b32_e32 v102, s69
	s_waitcnt lgkmcnt(0)
	v_cmp_ne_u32_e64 s[38:39], s62, v12
	v_cndmask_b32_e64 v30, v73, v12, s[38:39]
	v_lshrrev_b32_e32 v30, s63, v30
	v_and_b32_e32 v30, s70, v30
	v_lshlrev_b32_e32 v30, 2, v30
	ds_read_b32 v30, v30
	v_cmp_lt_i32_e64 s[38:39], -1, v12
	v_cndmask_b32_e64 v104, v73, -1, s[38:39]
	v_xor_b32_e32 v104, v104, v12
	s_waitcnt lgkmcnt(0)
	v_add_u32_e32 v12, v30, v33
	v_lshlrev_b64 v[12:13], 2, v[12:13]
	v_add_co_u32_e64 v12, s[38:39], s68, v12
	v_addc_co_u32_e64 v13, s[38:39], v102, v13, s[38:39]
	global_store_dword v[12:13], v104, off
	s_or_b64 exec, exec, s[40:41]
	v_cmp_lt_u32_e64 s[38:39], v34, v101
	s_and_saveexec_b64 s[42:43], s[38:39]
	s_cbranch_execz .LBB1462_276
.LBB1462_312:                           ;   in Loop: Header=BB1462_233 Depth=2
	ds_read_b32 v12, v50 offset:3072
	v_mov_b32_e32 v13, v3
	v_mov_b32_e32 v102, s69
	s_waitcnt lgkmcnt(0)
	v_cmp_ne_u32_e64 s[40:41], s62, v12
	v_cndmask_b32_e64 v30, v73, v12, s[40:41]
	v_lshrrev_b32_e32 v30, s63, v30
	v_and_b32_e32 v30, s70, v30
	v_lshlrev_b32_e32 v30, 2, v30
	ds_read_b32 v30, v30
	v_cmp_lt_i32_e64 s[40:41], -1, v12
	v_cndmask_b32_e64 v104, v73, -1, s[40:41]
	v_xor_b32_e32 v104, v104, v12
	s_waitcnt lgkmcnt(0)
	v_add_u32_e32 v12, v30, v34
	v_lshlrev_b64 v[12:13], 2, v[12:13]
	v_add_co_u32_e64 v12, s[40:41], s68, v12
	v_addc_co_u32_e64 v13, s[40:41], v102, v13, s[40:41]
	global_store_dword v[12:13], v104, off
	s_or_b64 exec, exec, s[42:43]
	v_cmp_lt_u32_e64 s[40:41], v35, v101
	s_and_saveexec_b64 s[44:45], s[40:41]
	s_cbranch_execz .LBB1462_277
.LBB1462_313:                           ;   in Loop: Header=BB1462_233 Depth=2
	ds_read_b32 v12, v50 offset:4096
	v_mov_b32_e32 v13, v3
	v_mov_b32_e32 v102, s69
	s_waitcnt lgkmcnt(0)
	v_cmp_ne_u32_e64 s[42:43], s62, v12
	v_cndmask_b32_e64 v30, v73, v12, s[42:43]
	v_lshrrev_b32_e32 v30, s63, v30
	v_and_b32_e32 v30, s70, v30
	v_lshlrev_b32_e32 v30, 2, v30
	ds_read_b32 v30, v30
	v_cmp_lt_i32_e64 s[42:43], -1, v12
	v_cndmask_b32_e64 v104, v73, -1, s[42:43]
	v_xor_b32_e32 v104, v104, v12
	s_waitcnt lgkmcnt(0)
	v_add_u32_e32 v12, v30, v35
	v_lshlrev_b64 v[12:13], 2, v[12:13]
	v_add_co_u32_e64 v12, s[42:43], s68, v12
	v_addc_co_u32_e64 v13, s[42:43], v102, v13, s[42:43]
	global_store_dword v[12:13], v104, off
	s_or_b64 exec, exec, s[44:45]
	v_cmp_lt_u32_e64 s[42:43], v38, v101
	s_and_saveexec_b64 s[46:47], s[42:43]
	s_cbranch_execz .LBB1462_278
.LBB1462_314:                           ;   in Loop: Header=BB1462_233 Depth=2
	ds_read_b32 v12, v50 offset:5120
	v_mov_b32_e32 v13, v3
	v_mov_b32_e32 v102, s69
	s_waitcnt lgkmcnt(0)
	v_cmp_ne_u32_e64 s[44:45], s62, v12
	v_cndmask_b32_e64 v30, v73, v12, s[44:45]
	v_lshrrev_b32_e32 v30, s63, v30
	v_and_b32_e32 v30, s70, v30
	v_lshlrev_b32_e32 v30, 2, v30
	ds_read_b32 v30, v30
	v_cmp_lt_i32_e64 s[44:45], -1, v12
	v_cndmask_b32_e64 v104, v73, -1, s[44:45]
	v_xor_b32_e32 v104, v104, v12
	s_waitcnt lgkmcnt(0)
	v_add_u32_e32 v12, v30, v38
	v_lshlrev_b64 v[12:13], 2, v[12:13]
	v_add_co_u32_e64 v12, s[44:45], s68, v12
	v_addc_co_u32_e64 v13, s[44:45], v102, v13, s[44:45]
	global_store_dword v[12:13], v104, off
	s_or_b64 exec, exec, s[46:47]
	v_cmp_lt_u32_e64 s[44:45], v39, v101
	s_and_saveexec_b64 s[48:49], s[44:45]
	s_cbranch_execz .LBB1462_279
.LBB1462_315:                           ;   in Loop: Header=BB1462_233 Depth=2
	ds_read_b32 v12, v50 offset:6144
	v_mov_b32_e32 v13, v3
	v_mov_b32_e32 v102, s69
	s_waitcnt lgkmcnt(0)
	v_cmp_ne_u32_e64 s[46:47], s62, v12
	v_cndmask_b32_e64 v30, v73, v12, s[46:47]
	v_lshrrev_b32_e32 v30, s63, v30
	v_and_b32_e32 v30, s70, v30
	v_lshlrev_b32_e32 v30, 2, v30
	ds_read_b32 v30, v30
	v_cmp_lt_i32_e64 s[46:47], -1, v12
	v_cndmask_b32_e64 v104, v73, -1, s[46:47]
	v_xor_b32_e32 v104, v104, v12
	s_waitcnt lgkmcnt(0)
	v_add_u32_e32 v12, v30, v39
	v_lshlrev_b64 v[12:13], 2, v[12:13]
	v_add_co_u32_e64 v12, s[46:47], s68, v12
	v_addc_co_u32_e64 v13, s[46:47], v102, v13, s[46:47]
	global_store_dword v[12:13], v104, off
	s_or_b64 exec, exec, s[48:49]
	v_cmp_lt_u32_e64 s[46:47], v40, v101
	s_and_saveexec_b64 s[52:53], s[46:47]
	s_cbranch_execz .LBB1462_280
.LBB1462_316:                           ;   in Loop: Header=BB1462_233 Depth=2
	ds_read_b32 v12, v50 offset:7168
	v_mov_b32_e32 v13, v3
	v_mov_b32_e32 v102, s69
	s_waitcnt lgkmcnt(0)
	v_cmp_ne_u32_e64 s[48:49], s62, v12
	v_cndmask_b32_e64 v30, v73, v12, s[48:49]
	v_lshrrev_b32_e32 v30, s63, v30
	v_and_b32_e32 v30, s70, v30
	v_lshlrev_b32_e32 v30, 2, v30
	ds_read_b32 v30, v30
	v_cmp_lt_i32_e64 s[48:49], -1, v12
	v_cndmask_b32_e64 v104, v73, -1, s[48:49]
	v_xor_b32_e32 v104, v104, v12
	s_waitcnt lgkmcnt(0)
	v_add_u32_e32 v12, v30, v40
	v_lshlrev_b64 v[12:13], 2, v[12:13]
	v_add_co_u32_e64 v12, s[48:49], s68, v12
	v_addc_co_u32_e64 v13, s[48:49], v102, v13, s[48:49]
	global_store_dword v[12:13], v104, off
	s_or_b64 exec, exec, s[52:53]
	v_cmp_lt_u32_e64 s[48:49], v41, v101
	s_and_saveexec_b64 s[60:61], s[48:49]
	s_cbranch_execnz .LBB1462_281
	s_branch .LBB1462_282
.LBB1462_317:                           ;   in Loop: Header=BB1462_233 Depth=2
	global_load_dwordx2 v[28:29], v[12:13], off
	s_or_b64 exec, exec, s[52:53]
	v_cmp_lt_u32_e64 s[52:53], v91, v101
	s_and_saveexec_b64 s[60:61], s[52:53]
	s_cbranch_execz .LBB1462_284
.LBB1462_318:                           ;   in Loop: Header=BB1462_233 Depth=2
	global_load_dwordx2 v[26:27], v[12:13], off offset:512
	s_or_b64 exec, exec, s[60:61]
	v_cmp_lt_u32_e64 s[52:53], v92, v101
	s_and_saveexec_b64 s[60:61], s[52:53]
	s_cbranch_execz .LBB1462_285
.LBB1462_319:                           ;   in Loop: Header=BB1462_233 Depth=2
	global_load_dwordx2 v[24:25], v[12:13], off offset:1024
	s_or_b64 exec, exec, s[60:61]
	v_cmp_lt_u32_e64 s[52:53], v93, v101
	s_and_saveexec_b64 s[60:61], s[52:53]
	s_cbranch_execz .LBB1462_286
.LBB1462_320:                           ;   in Loop: Header=BB1462_233 Depth=2
	global_load_dwordx2 v[22:23], v[12:13], off offset:1536
	s_or_b64 exec, exec, s[60:61]
	v_cmp_lt_u32_e64 s[52:53], v94, v101
	s_and_saveexec_b64 s[60:61], s[52:53]
	s_cbranch_execz .LBB1462_287
.LBB1462_321:                           ;   in Loop: Header=BB1462_233 Depth=2
	global_load_dwordx2 v[20:21], v[12:13], off offset:2048
	s_or_b64 exec, exec, s[60:61]
	v_cmp_lt_u32_e64 s[52:53], v95, v101
	s_and_saveexec_b64 s[60:61], s[52:53]
	s_cbranch_execz .LBB1462_288
.LBB1462_322:                           ;   in Loop: Header=BB1462_233 Depth=2
	global_load_dwordx2 v[9:10], v[12:13], off offset:2560
	s_or_b64 exec, exec, s[60:61]
	v_cmp_lt_u32_e64 s[52:53], v96, v101
	s_and_saveexec_b64 s[60:61], s[52:53]
	s_cbranch_execz .LBB1462_289
.LBB1462_323:                           ;   in Loop: Header=BB1462_233 Depth=2
	global_load_dwordx2 v[7:8], v[12:13], off offset:3072
	s_or_b64 exec, exec, s[60:61]
	v_cmp_lt_u32_e64 s[52:53], v97, v101
	s_and_saveexec_b64 s[60:61], s[52:53]
	s_cbranch_execz .LBB1462_290
.LBB1462_324:                           ;   in Loop: Header=BB1462_233 Depth=2
	global_load_dwordx2 v[5:6], v[12:13], off offset:3584
	s_or_b64 exec, exec, s[60:61]
	s_and_saveexec_b64 s[60:61], vcc
	s_cbranch_execz .LBB1462_291
.LBB1462_325:                           ;   in Loop: Header=BB1462_233 Depth=2
	ds_read_b32 v12, v50 offset:1024
	s_waitcnt lgkmcnt(0)
	v_cmp_ne_u32_e64 s[52:53], s62, v12
	v_cndmask_b32_e64 v12, v73, v12, s[52:53]
	v_lshrrev_b32_e32 v12, s63, v12
	v_and_b32_e32 v90, s70, v12
	s_or_b64 exec, exec, s[60:61]
	s_and_saveexec_b64 s[60:61], s[36:37]
	s_cbranch_execz .LBB1462_292
.LBB1462_326:                           ;   in Loop: Header=BB1462_233 Depth=2
	ds_read_b32 v12, v50 offset:2048
	s_waitcnt lgkmcnt(0)
	v_cmp_ne_u32_e64 s[52:53], s62, v12
	v_cndmask_b32_e64 v12, v73, v12, s[52:53]
	v_lshrrev_b32_e32 v12, s63, v12
	v_and_b32_e32 v88, s70, v12
	s_or_b64 exec, exec, s[60:61]
	s_and_saveexec_b64 s[60:61], s[38:39]
	s_cbranch_execz .LBB1462_293
.LBB1462_327:                           ;   in Loop: Header=BB1462_233 Depth=2
	ds_read_b32 v12, v50 offset:3072
	s_waitcnt lgkmcnt(0)
	v_cmp_ne_u32_e64 s[52:53], s62, v12
	v_cndmask_b32_e64 v12, v73, v12, s[52:53]
	v_lshrrev_b32_e32 v12, s63, v12
	v_and_b32_e32 v86, s70, v12
	s_or_b64 exec, exec, s[60:61]
	s_and_saveexec_b64 s[60:61], s[40:41]
	s_cbranch_execz .LBB1462_294
.LBB1462_328:                           ;   in Loop: Header=BB1462_233 Depth=2
	ds_read_b32 v12, v50 offset:4096
	s_waitcnt lgkmcnt(0)
	v_cmp_ne_u32_e64 s[52:53], s62, v12
	v_cndmask_b32_e64 v12, v73, v12, s[52:53]
	v_lshrrev_b32_e32 v12, s63, v12
	v_and_b32_e32 v85, s70, v12
	s_or_b64 exec, exec, s[60:61]
	s_and_saveexec_b64 s[60:61], s[42:43]
	s_cbranch_execz .LBB1462_295
.LBB1462_329:                           ;   in Loop: Header=BB1462_233 Depth=2
	ds_read_b32 v12, v50 offset:5120
	s_waitcnt lgkmcnt(0)
	v_cmp_ne_u32_e64 s[52:53], s62, v12
	v_cndmask_b32_e64 v12, v73, v12, s[52:53]
	v_lshrrev_b32_e32 v12, s63, v12
	v_and_b32_e32 v83, s70, v12
	s_or_b64 exec, exec, s[60:61]
	s_and_saveexec_b64 s[60:61], s[44:45]
	s_cbranch_execz .LBB1462_296
.LBB1462_330:                           ;   in Loop: Header=BB1462_233 Depth=2
	ds_read_b32 v12, v50 offset:6144
	s_waitcnt lgkmcnt(0)
	v_cmp_ne_u32_e64 s[52:53], s62, v12
	v_cndmask_b32_e64 v12, v73, v12, s[52:53]
	v_lshrrev_b32_e32 v12, s63, v12
	v_and_b32_e32 v82, s70, v12
	s_or_b64 exec, exec, s[60:61]
	s_and_saveexec_b64 s[60:61], s[46:47]
	s_cbranch_execz .LBB1462_297
.LBB1462_331:                           ;   in Loop: Header=BB1462_233 Depth=2
	ds_read_b32 v12, v50 offset:7168
	s_waitcnt lgkmcnt(0)
	v_cmp_ne_u32_e64 s[52:53], s62, v12
	v_cndmask_b32_e64 v12, v73, v12, s[52:53]
	v_lshrrev_b32_e32 v12, s63, v12
	v_and_b32_e32 v81, s70, v12
	s_or_b64 exec, exec, s[60:61]
	s_and_saveexec_b64 s[60:61], s[48:49]
	s_cbranch_execnz .LBB1462_298
	s_branch .LBB1462_299
.LBB1462_332:                           ;   in Loop: Header=BB1462_233 Depth=2
	v_lshlrev_b32_e32 v12, 2, v90
	ds_read_b32 v14, v12
	v_add_u32_e32 v12, v50, v32
	ds_read_b64 v[12:13], v12 offset:1024
	v_mov_b32_e32 v15, v3
	v_mov_b32_e32 v16, s75
	s_waitcnt lgkmcnt(1)
	v_add_u32_e32 v14, v14, v0
	v_lshlrev_b64 v[14:15], 3, v[14:15]
	v_add_co_u32_e32 v14, vcc, s74, v14
	v_addc_co_u32_e32 v15, vcc, v16, v15, vcc
	s_waitcnt lgkmcnt(0)
	global_store_dwordx2 v[14:15], v[12:13], off
	s_or_b64 exec, exec, s[52:53]
	s_and_saveexec_b64 s[52:53], s[36:37]
	s_cbranch_execz .LBB1462_301
.LBB1462_333:                           ;   in Loop: Header=BB1462_233 Depth=2
	v_lshlrev_b32_e32 v12, 2, v88
	ds_read_b32 v14, v12
	v_add_u32_e32 v12, v50, v32
	ds_read_b64 v[12:13], v12 offset:3072
	v_mov_b32_e32 v15, v3
	v_mov_b32_e32 v16, s75
	s_waitcnt lgkmcnt(1)
	v_add_u32_e32 v14, v14, v33
	v_lshlrev_b64 v[14:15], 3, v[14:15]
	v_add_co_u32_e32 v14, vcc, s74, v14
	v_addc_co_u32_e32 v15, vcc, v16, v15, vcc
	s_waitcnt lgkmcnt(0)
	global_store_dwordx2 v[14:15], v[12:13], off
	s_or_b64 exec, exec, s[52:53]
	s_and_saveexec_b64 s[36:37], s[38:39]
	s_cbranch_execz .LBB1462_302
.LBB1462_334:                           ;   in Loop: Header=BB1462_233 Depth=2
	v_lshlrev_b32_e32 v12, 2, v86
	ds_read_b32 v14, v12
	v_add_u32_e32 v12, v50, v32
	ds_read_b64 v[12:13], v12 offset:5120
	v_mov_b32_e32 v15, v3
	v_mov_b32_e32 v16, s75
	s_waitcnt lgkmcnt(1)
	v_add_u32_e32 v14, v14, v34
	v_lshlrev_b64 v[14:15], 3, v[14:15]
	v_add_co_u32_e32 v14, vcc, s74, v14
	v_addc_co_u32_e32 v15, vcc, v16, v15, vcc
	s_waitcnt lgkmcnt(0)
	global_store_dwordx2 v[14:15], v[12:13], off
	s_or_b64 exec, exec, s[36:37]
	s_and_saveexec_b64 s[36:37], s[40:41]
	s_cbranch_execz .LBB1462_303
.LBB1462_335:                           ;   in Loop: Header=BB1462_233 Depth=2
	v_lshlrev_b32_e32 v12, 2, v85
	ds_read_b32 v14, v12
	v_add_u32_e32 v12, v50, v32
	ds_read_b64 v[12:13], v12 offset:7168
	v_mov_b32_e32 v15, v3
	v_mov_b32_e32 v16, s75
	s_waitcnt lgkmcnt(1)
	v_add_u32_e32 v14, v14, v35
	v_lshlrev_b64 v[14:15], 3, v[14:15]
	v_add_co_u32_e32 v14, vcc, s74, v14
	v_addc_co_u32_e32 v15, vcc, v16, v15, vcc
	s_waitcnt lgkmcnt(0)
	global_store_dwordx2 v[14:15], v[12:13], off
	s_or_b64 exec, exec, s[36:37]
	s_and_saveexec_b64 s[36:37], s[42:43]
	s_cbranch_execz .LBB1462_304
.LBB1462_336:                           ;   in Loop: Header=BB1462_233 Depth=2
	v_lshlrev_b32_e32 v12, 2, v83
	ds_read_b32 v14, v12
	v_add_u32_e32 v12, v50, v32
	ds_read_b64 v[12:13], v12 offset:9216
	v_mov_b32_e32 v15, v3
	v_mov_b32_e32 v16, s75
	s_waitcnt lgkmcnt(1)
	v_add_u32_e32 v14, v14, v38
	v_lshlrev_b64 v[14:15], 3, v[14:15]
	v_add_co_u32_e32 v14, vcc, s74, v14
	v_addc_co_u32_e32 v15, vcc, v16, v15, vcc
	s_waitcnt lgkmcnt(0)
	global_store_dwordx2 v[14:15], v[12:13], off
	s_or_b64 exec, exec, s[36:37]
	s_and_saveexec_b64 s[36:37], s[44:45]
	s_cbranch_execz .LBB1462_305
.LBB1462_337:                           ;   in Loop: Header=BB1462_233 Depth=2
	v_lshlrev_b32_e32 v12, 2, v82
	ds_read_b32 v14, v12
	v_add_u32_e32 v12, v50, v32
	ds_read_b64 v[12:13], v12 offset:11264
	v_mov_b32_e32 v15, v3
	v_mov_b32_e32 v16, s75
	s_waitcnt lgkmcnt(1)
	v_add_u32_e32 v14, v14, v39
	v_lshlrev_b64 v[14:15], 3, v[14:15]
	v_add_co_u32_e32 v14, vcc, s74, v14
	v_addc_co_u32_e32 v15, vcc, v16, v15, vcc
	s_waitcnt lgkmcnt(0)
	global_store_dwordx2 v[14:15], v[12:13], off
	s_or_b64 exec, exec, s[36:37]
	s_and_saveexec_b64 s[36:37], s[46:47]
	s_cbranch_execz .LBB1462_306
.LBB1462_338:                           ;   in Loop: Header=BB1462_233 Depth=2
	v_lshlrev_b32_e32 v12, 2, v81
	ds_read_b32 v14, v12
	v_add_u32_e32 v12, v50, v32
	ds_read_b64 v[12:13], v12 offset:13312
	v_mov_b32_e32 v15, v3
	v_mov_b32_e32 v16, s75
	s_waitcnt lgkmcnt(1)
	v_add_u32_e32 v14, v14, v40
	v_lshlrev_b64 v[14:15], 3, v[14:15]
	v_add_co_u32_e32 v14, vcc, s74, v14
	v_addc_co_u32_e32 v15, vcc, v16, v15, vcc
	s_waitcnt lgkmcnt(0)
	global_store_dwordx2 v[14:15], v[12:13], off
	s_or_b64 exec, exec, s[36:37]
	s_and_saveexec_b64 s[36:37], s[48:49]
	s_cbranch_execnz .LBB1462_307
	s_branch .LBB1462_308
.LBB1462_339:                           ;   in Loop: Header=BB1462_233 Depth=2
	global_load_dword v12, v[30:31], off
	v_mov_b32_e32 v13, v11
	v_mov_b32_e32 v14, v11
	;; [unrolled: 1-line block ×7, first 2 shown]
	s_or_b64 exec, exec, s[36:37]
	v_cmp_gt_u32_e32 vcc, s71, v91
	s_and_saveexec_b64 s[36:37], vcc
	s_cbranch_execz .LBB1462_238
.LBB1462_340:                           ;   in Loop: Header=BB1462_233 Depth=2
	global_load_dword v13, v[30:31], off offset:256
	s_or_b64 exec, exec, s[36:37]
	v_cmp_gt_u32_e32 vcc, s71, v92
	s_and_saveexec_b64 s[36:37], vcc
	s_cbranch_execz .LBB1462_239
.LBB1462_341:                           ;   in Loop: Header=BB1462_233 Depth=2
	global_load_dword v14, v[30:31], off offset:512
	s_or_b64 exec, exec, s[36:37]
	v_cmp_gt_u32_e32 vcc, s71, v93
	s_and_saveexec_b64 s[36:37], vcc
	s_cbranch_execz .LBB1462_240
.LBB1462_342:                           ;   in Loop: Header=BB1462_233 Depth=2
	global_load_dword v15, v[30:31], off offset:768
	s_or_b64 exec, exec, s[36:37]
	v_cmp_gt_u32_e32 vcc, s71, v94
	s_and_saveexec_b64 s[36:37], vcc
	s_cbranch_execz .LBB1462_241
.LBB1462_343:                           ;   in Loop: Header=BB1462_233 Depth=2
	global_load_dword v16, v[30:31], off offset:1024
	s_or_b64 exec, exec, s[36:37]
	v_cmp_gt_u32_e32 vcc, s71, v95
	s_and_saveexec_b64 s[36:37], vcc
	s_cbranch_execz .LBB1462_242
.LBB1462_344:                           ;   in Loop: Header=BB1462_233 Depth=2
	global_load_dword v17, v[30:31], off offset:1280
	s_or_b64 exec, exec, s[36:37]
	v_cmp_gt_u32_e32 vcc, s71, v96
	s_and_saveexec_b64 s[36:37], vcc
	s_cbranch_execnz .LBB1462_243
	s_branch .LBB1462_244
.LBB1462_345:                           ;   in Loop: Header=BB1462_17 Depth=1
	s_waitcnt lgkmcnt(0)
	s_barrier
.LBB1462_346:                           ;   in Loop: Header=BB1462_17 Depth=1
	s_mov_b64 s[16:17], 0
.LBB1462_347:                           ;   in Loop: Header=BB1462_17 Depth=1
	s_andn2_b64 vcc, exec, s[16:17]
	s_cbranch_vccnz .LBB1462_16
; %bb.348:                              ;   in Loop: Header=BB1462_17 Depth=1
	s_mov_b64 s[16:17], -1
	s_and_b64 vcc, exec, s[54:55]
	s_cbranch_vccz .LBB1462_512
; %bb.349:                              ;   in Loop: Header=BB1462_17 Depth=1
	v_mov_b32_e32 v10, v3
	v_mov_b32_e32 v4, v3
	;; [unrolled: 1-line block ×8, first 2 shown]
	s_mov_b32 s20, s79
	s_mov_b32 s58, s51
	v_mov_b32_e32 v18, v9
	v_mov_b32_e32 v17, v8
	;; [unrolled: 1-line block ×7, first 2 shown]
	s_barrier
	s_branch .LBB1462_351
.LBB1462_350:                           ;   in Loop: Header=BB1462_351 Depth=2
	s_or_b64 exec, exec, s[16:17]
	s_addk_i32 s20, 0xf800
	s_cmp_ge_u32 s21, s80
	s_mov_b32 s58, s21
	s_cbranch_scc1 .LBB1462_387
.LBB1462_351:                           ;   Parent Loop BB1462_17 Depth=1
                                        ; =>  This Inner Loop Header: Depth=2
	s_add_i32 s21, s58, 0x800
	s_cmp_gt_u32 s21, s80
	s_mov_b64 s[16:17], -1
                                        ; implicit-def: $vgpr20_vgpr21_vgpr22_vgpr23_vgpr24_vgpr25_vgpr26_vgpr27
	s_cbranch_scc1 .LBB1462_353
; %bb.352:                              ;   in Loop: Header=BB1462_351 Depth=2
	s_lshl_b64 s[16:17], s[58:59], 2
	v_mov_b32_e32 v5, s17
	v_add_co_u32_e32 v4, vcc, s16, v61
	v_addc_co_u32_e32 v5, vcc, v62, v5, vcc
	v_add_co_u32_e32 v6, vcc, 0x1000, v4
	v_addc_co_u32_e32 v7, vcc, 0, v5, vcc
	global_load_dword v20, v[4:5], off
	global_load_dword v21, v[4:5], off offset:1024
	global_load_dword v22, v[4:5], off offset:2048
	;; [unrolled: 1-line block ×3, first 2 shown]
	global_load_dword v24, v[6:7], off
	global_load_dword v25, v[6:7], off offset:1024
	global_load_dword v26, v[6:7], off offset:2048
	;; [unrolled: 1-line block ×3, first 2 shown]
	s_mov_b64 s[16:17], 0
.LBB1462_353:                           ;   in Loop: Header=BB1462_351 Depth=2
	s_andn2_b64 vcc, exec, s[16:17]
	s_movk_i32 s18, 0x800
	s_cbranch_vccnz .LBB1462_364
; %bb.354:                              ;   in Loop: Header=BB1462_351 Depth=2
	s_lshl_b64 s[16:17], s[58:59], 2
	s_add_u32 s16, s64, s16
	s_addc_u32 s17, s65, s17
	v_cmp_gt_u32_e32 vcc, s20, v0
	s_and_saveexec_b64 s[18:19], vcc
	s_cbranch_execnz .LBB1462_380
; %bb.355:                              ;   in Loop: Header=BB1462_351 Depth=2
	s_or_b64 exec, exec, s[18:19]
	v_cmp_gt_u32_e32 vcc, s20, v33
	s_and_saveexec_b64 s[18:19], vcc
	s_cbranch_execnz .LBB1462_381
.LBB1462_356:                           ;   in Loop: Header=BB1462_351 Depth=2
	s_or_b64 exec, exec, s[18:19]
	v_cmp_gt_u32_e32 vcc, s20, v34
	s_and_saveexec_b64 s[18:19], vcc
	s_cbranch_execnz .LBB1462_382
.LBB1462_357:                           ;   in Loop: Header=BB1462_351 Depth=2
	s_or_b64 exec, exec, s[18:19]
	v_cmp_gt_u32_e32 vcc, s20, v35
	s_and_saveexec_b64 s[18:19], vcc
	s_cbranch_execnz .LBB1462_383
.LBB1462_358:                           ;   in Loop: Header=BB1462_351 Depth=2
	s_or_b64 exec, exec, s[18:19]
	v_cmp_gt_u32_e32 vcc, s20, v38
	s_and_saveexec_b64 s[18:19], vcc
	s_cbranch_execnz .LBB1462_384
.LBB1462_359:                           ;   in Loop: Header=BB1462_351 Depth=2
	s_or_b64 exec, exec, s[18:19]
	v_cmp_gt_u32_e32 vcc, s20, v39
	s_and_saveexec_b64 s[18:19], vcc
	s_cbranch_execnz .LBB1462_385
.LBB1462_360:                           ;   in Loop: Header=BB1462_351 Depth=2
	s_or_b64 exec, exec, s[18:19]
	v_cmp_gt_u32_e32 vcc, s20, v40
	s_and_saveexec_b64 s[18:19], vcc
	s_cbranch_execnz .LBB1462_386
.LBB1462_361:                           ;   in Loop: Header=BB1462_351 Depth=2
	s_or_b64 exec, exec, s[18:19]
	v_cmp_gt_u32_e32 vcc, s20, v41
	s_and_saveexec_b64 s[18:19], vcc
	s_cbranch_execz .LBB1462_363
.LBB1462_362:                           ;   in Loop: Header=BB1462_351 Depth=2
	global_load_dword v19, v72, s[16:17]
.LBB1462_363:                           ;   in Loop: Header=BB1462_351 Depth=2
	s_or_b64 exec, exec, s[18:19]
	s_waitcnt vmcnt(0)
	v_mov_b32_e32 v27, v19
	s_mov_b32 s18, s20
	v_mov_b32_e32 v26, v18
	v_mov_b32_e32 v25, v17
	;; [unrolled: 1-line block ×7, first 2 shown]
.LBB1462_364:                           ;   in Loop: Header=BB1462_351 Depth=2
	s_waitcnt vmcnt(0)
	v_mov_b32_e32 v12, v20
	v_mov_b32_e32 v13, v21
	v_mov_b32_e32 v14, v22
	v_mov_b32_e32 v15, v23
	v_mov_b32_e32 v16, v24
	v_mov_b32_e32 v17, v25
	v_mov_b32_e32 v18, v26
	v_mov_b32_e32 v19, v27
	v_cmp_gt_u32_e32 vcc, s18, v0
	s_and_saveexec_b64 s[16:17], vcc
	s_cbranch_execnz .LBB1462_372
; %bb.365:                              ;   in Loop: Header=BB1462_351 Depth=2
	s_or_b64 exec, exec, s[16:17]
	v_cmp_gt_u32_e32 vcc, s18, v33
	s_and_saveexec_b64 s[16:17], vcc
	s_cbranch_execnz .LBB1462_373
.LBB1462_366:                           ;   in Loop: Header=BB1462_351 Depth=2
	s_or_b64 exec, exec, s[16:17]
	v_cmp_gt_u32_e32 vcc, s18, v34
	s_and_saveexec_b64 s[16:17], vcc
	s_cbranch_execnz .LBB1462_374
.LBB1462_367:                           ;   in Loop: Header=BB1462_351 Depth=2
	s_or_b64 exec, exec, s[16:17]
	v_cmp_gt_u32_e32 vcc, s18, v35
	s_and_saveexec_b64 s[16:17], vcc
	s_cbranch_execnz .LBB1462_375
.LBB1462_368:                           ;   in Loop: Header=BB1462_351 Depth=2
	s_or_b64 exec, exec, s[16:17]
	v_cmp_gt_u32_e32 vcc, s18, v38
	s_and_saveexec_b64 s[16:17], vcc
	s_cbranch_execnz .LBB1462_376
.LBB1462_369:                           ;   in Loop: Header=BB1462_351 Depth=2
	s_or_b64 exec, exec, s[16:17]
	v_cmp_gt_u32_e32 vcc, s18, v39
	s_and_saveexec_b64 s[16:17], vcc
	s_cbranch_execnz .LBB1462_377
.LBB1462_370:                           ;   in Loop: Header=BB1462_351 Depth=2
	s_or_b64 exec, exec, s[16:17]
	v_cmp_gt_u32_e32 vcc, s18, v40
	s_and_saveexec_b64 s[16:17], vcc
	s_cbranch_execnz .LBB1462_378
.LBB1462_371:                           ;   in Loop: Header=BB1462_351 Depth=2
	s_or_b64 exec, exec, s[16:17]
	v_cmp_gt_u32_e32 vcc, s18, v41
	s_and_saveexec_b64 s[16:17], vcc
	s_cbranch_execz .LBB1462_350
	s_branch .LBB1462_379
.LBB1462_372:                           ;   in Loop: Header=BB1462_351 Depth=2
	v_cmp_lt_i32_e32 vcc, -1, v12
	v_cndmask_b32_e32 v4, -1, v73, vcc
	v_xor_b32_e32 v4, v4, v12
	v_cmp_ne_u32_e32 vcc, s62, v4
	v_cndmask_b32_e32 v4, v73, v4, vcc
	v_lshrrev_b32_e32 v4, s77, v4
	v_and_b32_e32 v4, s70, v4
	v_lshl_or_b32 v4, v4, 4, v42
	ds_add_u32 v4, v67
	s_or_b64 exec, exec, s[16:17]
	v_cmp_gt_u32_e32 vcc, s18, v33
	s_and_saveexec_b64 s[16:17], vcc
	s_cbranch_execz .LBB1462_366
.LBB1462_373:                           ;   in Loop: Header=BB1462_351 Depth=2
	v_cmp_lt_i32_e32 vcc, -1, v13
	v_cndmask_b32_e32 v4, -1, v73, vcc
	v_xor_b32_e32 v4, v4, v13
	v_cmp_ne_u32_e32 vcc, s62, v4
	v_cndmask_b32_e32 v4, v73, v4, vcc
	v_lshrrev_b32_e32 v4, s77, v4
	v_and_b32_e32 v4, s70, v4
	v_lshl_or_b32 v4, v4, 4, v42
	ds_add_u32 v4, v67
	s_or_b64 exec, exec, s[16:17]
	v_cmp_gt_u32_e32 vcc, s18, v34
	s_and_saveexec_b64 s[16:17], vcc
	s_cbranch_execz .LBB1462_367
.LBB1462_374:                           ;   in Loop: Header=BB1462_351 Depth=2
	v_cmp_lt_i32_e32 vcc, -1, v14
	v_cndmask_b32_e32 v4, -1, v73, vcc
	v_xor_b32_e32 v4, v4, v14
	v_cmp_ne_u32_e32 vcc, s62, v4
	v_cndmask_b32_e32 v4, v73, v4, vcc
	v_lshrrev_b32_e32 v4, s77, v4
	v_and_b32_e32 v4, s70, v4
	v_lshl_or_b32 v4, v4, 4, v42
	ds_add_u32 v4, v67
	s_or_b64 exec, exec, s[16:17]
	v_cmp_gt_u32_e32 vcc, s18, v35
	s_and_saveexec_b64 s[16:17], vcc
	s_cbranch_execz .LBB1462_368
.LBB1462_375:                           ;   in Loop: Header=BB1462_351 Depth=2
	v_cmp_lt_i32_e32 vcc, -1, v15
	v_cndmask_b32_e32 v4, -1, v73, vcc
	v_xor_b32_e32 v4, v4, v15
	v_cmp_ne_u32_e32 vcc, s62, v4
	v_cndmask_b32_e32 v4, v73, v4, vcc
	v_lshrrev_b32_e32 v4, s77, v4
	v_and_b32_e32 v4, s70, v4
	v_lshl_or_b32 v4, v4, 4, v42
	ds_add_u32 v4, v67
	s_or_b64 exec, exec, s[16:17]
	v_cmp_gt_u32_e32 vcc, s18, v38
	s_and_saveexec_b64 s[16:17], vcc
	s_cbranch_execz .LBB1462_369
.LBB1462_376:                           ;   in Loop: Header=BB1462_351 Depth=2
	v_cmp_lt_i32_e32 vcc, -1, v16
	v_cndmask_b32_e32 v4, -1, v73, vcc
	v_xor_b32_e32 v4, v4, v16
	v_cmp_ne_u32_e32 vcc, s62, v4
	v_cndmask_b32_e32 v4, v73, v4, vcc
	v_lshrrev_b32_e32 v4, s77, v4
	v_and_b32_e32 v4, s70, v4
	v_lshl_or_b32 v4, v4, 4, v42
	ds_add_u32 v4, v67
	s_or_b64 exec, exec, s[16:17]
	v_cmp_gt_u32_e32 vcc, s18, v39
	s_and_saveexec_b64 s[16:17], vcc
	s_cbranch_execz .LBB1462_370
.LBB1462_377:                           ;   in Loop: Header=BB1462_351 Depth=2
	v_cmp_lt_i32_e32 vcc, -1, v17
	v_cndmask_b32_e32 v4, -1, v73, vcc
	v_xor_b32_e32 v4, v4, v17
	v_cmp_ne_u32_e32 vcc, s62, v4
	v_cndmask_b32_e32 v4, v73, v4, vcc
	v_lshrrev_b32_e32 v4, s77, v4
	v_and_b32_e32 v4, s70, v4
	v_lshl_or_b32 v4, v4, 4, v42
	ds_add_u32 v4, v67
	s_or_b64 exec, exec, s[16:17]
	v_cmp_gt_u32_e32 vcc, s18, v40
	s_and_saveexec_b64 s[16:17], vcc
	s_cbranch_execz .LBB1462_371
.LBB1462_378:                           ;   in Loop: Header=BB1462_351 Depth=2
	v_cmp_lt_i32_e32 vcc, -1, v18
	v_cndmask_b32_e32 v4, -1, v73, vcc
	v_xor_b32_e32 v4, v4, v18
	v_cmp_ne_u32_e32 vcc, s62, v4
	v_cndmask_b32_e32 v4, v73, v4, vcc
	v_lshrrev_b32_e32 v4, s77, v4
	v_and_b32_e32 v4, s70, v4
	v_lshl_or_b32 v4, v4, 4, v42
	ds_add_u32 v4, v67
	s_or_b64 exec, exec, s[16:17]
	v_cmp_gt_u32_e32 vcc, s18, v41
	s_and_saveexec_b64 s[16:17], vcc
	s_cbranch_execz .LBB1462_350
.LBB1462_379:                           ;   in Loop: Header=BB1462_351 Depth=2
	v_cmp_lt_i32_e32 vcc, -1, v19
	v_cndmask_b32_e32 v4, -1, v73, vcc
	v_xor_b32_e32 v4, v4, v19
	v_cmp_ne_u32_e32 vcc, s62, v4
	v_cndmask_b32_e32 v4, v73, v4, vcc
	v_lshrrev_b32_e32 v4, s77, v4
	v_and_b32_e32 v4, s70, v4
	v_lshl_or_b32 v4, v4, 4, v42
	ds_add_u32 v4, v67
	s_branch .LBB1462_350
.LBB1462_380:                           ;   in Loop: Header=BB1462_351 Depth=2
	global_load_dword v12, v68, s[16:17]
	s_or_b64 exec, exec, s[18:19]
	v_cmp_gt_u32_e32 vcc, s20, v33
	s_and_saveexec_b64 s[18:19], vcc
	s_cbranch_execz .LBB1462_356
.LBB1462_381:                           ;   in Loop: Header=BB1462_351 Depth=2
	global_load_dword v13, v68, s[16:17] offset:1024
	s_or_b64 exec, exec, s[18:19]
	v_cmp_gt_u32_e32 vcc, s20, v34
	s_and_saveexec_b64 s[18:19], vcc
	s_cbranch_execz .LBB1462_357
.LBB1462_382:                           ;   in Loop: Header=BB1462_351 Depth=2
	global_load_dword v14, v68, s[16:17] offset:2048
	s_or_b64 exec, exec, s[18:19]
	v_cmp_gt_u32_e32 vcc, s20, v35
	s_and_saveexec_b64 s[18:19], vcc
	s_cbranch_execz .LBB1462_358
.LBB1462_383:                           ;   in Loop: Header=BB1462_351 Depth=2
	global_load_dword v15, v68, s[16:17] offset:3072
	s_or_b64 exec, exec, s[18:19]
	v_cmp_gt_u32_e32 vcc, s20, v38
	s_and_saveexec_b64 s[18:19], vcc
	s_cbranch_execz .LBB1462_359
.LBB1462_384:                           ;   in Loop: Header=BB1462_351 Depth=2
	global_load_dword v16, v69, s[16:17]
	s_or_b64 exec, exec, s[18:19]
	v_cmp_gt_u32_e32 vcc, s20, v39
	s_and_saveexec_b64 s[18:19], vcc
	s_cbranch_execz .LBB1462_360
.LBB1462_385:                           ;   in Loop: Header=BB1462_351 Depth=2
	global_load_dword v17, v70, s[16:17]
	s_or_b64 exec, exec, s[18:19]
	v_cmp_gt_u32_e32 vcc, s20, v40
	s_and_saveexec_b64 s[18:19], vcc
	s_cbranch_execz .LBB1462_361
.LBB1462_386:                           ;   in Loop: Header=BB1462_351 Depth=2
	global_load_dword v18, v71, s[16:17]
	s_or_b64 exec, exec, s[18:19]
	v_cmp_gt_u32_e32 vcc, s20, v41
	s_and_saveexec_b64 s[18:19], vcc
	s_cbranch_execnz .LBB1462_362
	s_branch .LBB1462_363
.LBB1462_387:                           ;   in Loop: Header=BB1462_17 Depth=1
	v_mov_b32_e32 v4, 0
	s_waitcnt lgkmcnt(0)
	s_barrier
	s_and_saveexec_b64 s[16:17], s[4:5]
	s_cbranch_execz .LBB1462_389
; %bb.388:                              ;   in Loop: Header=BB1462_17 Depth=1
	ds_read2_b64 v[4:7], v43 offset1:1
	s_waitcnt lgkmcnt(0)
	v_add_u32_e32 v4, v5, v4
	v_add3_u32 v4, v4, v6, v7
.LBB1462_389:                           ;   in Loop: Header=BB1462_17 Depth=1
	s_or_b64 exec, exec, s[16:17]
	s_nop 0
	v_mov_b32_dpp v5, v4 row_shr:1 row_mask:0xf bank_mask:0xf
	v_cmp_eq_u32_e64 s[16:17], 0, v75
	v_cndmask_b32_e64 v5, v5, 0, s[16:17]
	v_add_u32_e32 v4, v5, v4
	v_cmp_lt_u32_e64 s[18:19], 1, v75
	v_cmp_lt_u32_e64 s[20:21], 3, v75
	v_mov_b32_dpp v5, v4 row_shr:2 row_mask:0xf bank_mask:0xf
	v_cndmask_b32_e64 v5, 0, v5, s[18:19]
	v_add_u32_e32 v4, v4, v5
	v_cmp_lt_u32_e64 s[22:23], 7, v75
	v_cmp_lt_u32_e64 s[26:27], 31, v74
	v_mov_b32_dpp v5, v4 row_shr:4 row_mask:0xf bank_mask:0xf
	v_cndmask_b32_e64 v5, 0, v5, s[20:21]
	v_add_u32_e32 v4, v4, v5
	v_cmp_eq_u32_e64 s[24:25], 0, v77
	s_nop 0
	v_mov_b32_dpp v5, v4 row_shr:8 row_mask:0xf bank_mask:0xf
	v_cndmask_b32_e64 v5, 0, v5, s[22:23]
	v_add_u32_e32 v4, v4, v5
	s_nop 1
	v_mov_b32_dpp v5, v4 row_bcast:15 row_mask:0xf bank_mask:0xf
	v_and_b32_e32 v5, v76, v5
	v_add_u32_e32 v4, v4, v5
	s_nop 1
	v_mov_b32_dpp v5, v4 row_bcast:31 row_mask:0xf bank_mask:0xf
	v_cndmask_b32_e64 v5, 0, v5, s[26:27]
	v_add_u32_e32 v4, v4, v5
	s_and_saveexec_b64 s[28:29], s[6:7]
; %bb.390:                              ;   in Loop: Header=BB1462_17 Depth=1
	ds_write_b32 v45, v4
; %bb.391:                              ;   in Loop: Header=BB1462_17 Depth=1
	s_or_b64 exec, exec, s[28:29]
	s_waitcnt lgkmcnt(0)
	s_barrier
	s_and_saveexec_b64 s[28:29], s[8:9]
	s_cbranch_execz .LBB1462_393
; %bb.392:                              ;   in Loop: Header=BB1462_17 Depth=1
	ds_read_b32 v5, v46
	v_cmp_ne_u32_e32 vcc, 0, v78
	s_waitcnt lgkmcnt(0)
	v_mov_b32_dpp v6, v5 row_shr:1 row_mask:0xf bank_mask:0xf
	v_cndmask_b32_e32 v6, 0, v6, vcc
	v_add_u32_e32 v5, v6, v5
	v_cmp_lt_u32_e32 vcc, 1, v78
	s_nop 0
	v_mov_b32_dpp v6, v5 row_shr:2 row_mask:0xf bank_mask:0xf
	v_cndmask_b32_e32 v6, 0, v6, vcc
	v_add_u32_e32 v5, v5, v6
	ds_write_b32 v46, v5
.LBB1462_393:                           ;   in Loop: Header=BB1462_17 Depth=1
	s_or_b64 exec, exec, s[28:29]
	v_mov_b32_e32 v5, 0
	s_waitcnt lgkmcnt(0)
	s_barrier
	s_and_saveexec_b64 s[28:29], s[10:11]
; %bb.394:                              ;   in Loop: Header=BB1462_17 Depth=1
	ds_read_b32 v5, v47
; %bb.395:                              ;   in Loop: Header=BB1462_17 Depth=1
	s_or_b64 exec, exec, s[28:29]
	v_subrev_co_u32_e64 v6, s[28:29], 1, v74
	v_and_b32_e32 v7, 64, v74
	v_cmp_lt_i32_e32 vcc, v6, v7
	v_cndmask_b32_e32 v6, v6, v74, vcc
	s_waitcnt lgkmcnt(0)
	v_add_u32_e32 v4, v5, v4
	v_lshlrev_b32_e32 v79, 2, v6
	ds_bpermute_b32 v4, v79, v4
	s_waitcnt lgkmcnt(0)
	s_barrier
	s_and_saveexec_b64 s[30:31], s[4:5]
; %bb.396:                              ;   in Loop: Header=BB1462_17 Depth=1
	v_cndmask_b32_e64 v4, v4, v5, s[28:29]
	v_add_u32_e32 v4, s51, v4
	ds_write_b32 v32, v4
; %bb.397:                              ;   in Loop: Header=BB1462_17 Depth=1
	s_or_b64 exec, exec, s[30:31]
	s_load_dwordx2 s[30:31], s[56:57], 0x0
	v_and_b32_e32 v13, 63, v74
	v_lshlrev_b32_e32 v14, 3, v13
	v_or_b32_e32 v84, v13, v48
	v_lshlrev_b32_e32 v15, 2, v13
	s_waitcnt lgkmcnt(0)
	s_cmp_lt_u32 s33, s31
	s_cselect_b32 s31, 14, 20
	s_add_u32 s34, s56, s31
	s_addc_u32 s35, s57, 0
	s_cmp_lt_u32 s50, s30
	s_cselect_b32 s30, 12, 18
	s_add_u32 s30, s56, s30
	global_load_ushort v4, v3, s[34:35]
	s_addc_u32 s31, s57, 0
	global_load_ushort v12, v3, s[30:31]
	v_add_co_u32_e32 v87, vcc, v63, v14
	v_addc_co_u32_e32 v89, vcc, 0, v64, vcc
	v_add_co_u32_e32 v98, vcc, v65, v15
	v_cmp_eq_u32_e64 s[30:31], 0, v78
	v_cmp_lt_u32_e64 s[34:35], 1, v78
	s_mov_b32 s71, s79
	v_or_b32_e32 v91, 64, v84
	v_or_b32_e32 v92, 0x80, v84
	;; [unrolled: 1-line block ×7, first 2 shown]
	v_addc_co_u32_e32 v99, vcc, 0, v66, vcc
	s_mov_b32 s58, s51
                                        ; implicit-def: $vgpr5_vgpr6
                                        ; implicit-def: $vgpr7_vgpr8
                                        ; implicit-def: $vgpr9_vgpr10
                                        ; implicit-def: $vgpr20_vgpr21
                                        ; implicit-def: $vgpr22_vgpr23
                                        ; implicit-def: $vgpr24_vgpr25
                                        ; implicit-def: $vgpr26_vgpr27
                                        ; implicit-def: $vgpr28_vgpr29
                                        ; implicit-def: $vgpr80
                                        ; implicit-def: $vgpr81
                                        ; implicit-def: $vgpr82
                                        ; implicit-def: $vgpr83
                                        ; implicit-def: $vgpr85
                                        ; implicit-def: $vgpr86
                                        ; implicit-def: $vgpr88
                                        ; implicit-def: $vgpr90
	s_waitcnt vmcnt(1)
	v_mad_u32_u24 v4, v2, v4, v1
	s_waitcnt vmcnt(0)
	v_mad_u64_u32 v[12:13], s[36:37], v4, v12, v[0:1]
	v_lshrrev_b32_e32 v4, 4, v12
	v_and_b32_e32 v100, 0xffffffc, v4
	s_branch .LBB1462_399
.LBB1462_398:                           ;   in Loop: Header=BB1462_399 Depth=2
	s_or_b64 exec, exec, s[36:37]
	s_addk_i32 s71, 0xf800
	s_cmp_lt_u32 s76, s80
	s_mov_b32 s58, s76
	s_cbranch_scc0 .LBB1462_511
.LBB1462_399:                           ;   Parent Loop BB1462_17 Depth=1
                                        ; =>  This Inner Loop Header: Depth=2
	s_add_i32 s76, s58, 0x800
	s_cmp_gt_u32 s76, s80
	s_cbranch_scc1 .LBB1462_401
; %bb.400:                              ;   in Loop: Header=BB1462_399 Depth=2
	s_lshl_b64 s[36:37], s[58:59], 2
	v_mov_b32_e32 v4, s37
	v_add_co_u32_e32 v18, vcc, s36, v98
	v_addc_co_u32_e32 v19, vcc, v99, v4, vcc
	global_load_dword v12, v[18:19], off
	global_load_dword v13, v[18:19], off offset:256
	global_load_dword v14, v[18:19], off offset:512
	;; [unrolled: 1-line block ×5, first 2 shown]
	s_nop 0
	global_load_dword v18, v[18:19], off offset:1536
	s_mov_b64 s[36:37], -1
	s_movk_i32 s40, 0x800
	s_cbranch_execz .LBB1462_402
	s_branch .LBB1462_411
.LBB1462_401:                           ;   in Loop: Header=BB1462_399 Depth=2
	s_mov_b64 s[36:37], 0
                                        ; implicit-def: $vgpr12_vgpr13_vgpr14_vgpr15_vgpr16_vgpr17_vgpr18_vgpr19
	s_movk_i32 s40, 0x800
.LBB1462_402:                           ;   in Loop: Header=BB1462_399 Depth=2
	s_lshl_b64 s[36:37], s[58:59], 2
	v_mov_b32_e32 v4, s37
	v_add_co_u32_e32 v30, vcc, s36, v98
	s_waitcnt vmcnt(6)
	v_mov_b32_e32 v12, v11
	s_waitcnt vmcnt(5)
	v_mov_b32_e32 v13, v11
	;; [unrolled: 2-line block ×7, first 2 shown]
	v_addc_co_u32_e32 v31, vcc, v99, v4, vcc
	v_mov_b32_e32 v19, v18
	v_cmp_gt_u32_e32 vcc, s71, v84
	v_mov_b32_e32 v18, v17
	v_mov_b32_e32 v17, v16
	;; [unrolled: 1-line block ×7, first 2 shown]
	s_and_saveexec_b64 s[36:37], vcc
	s_cbranch_execnz .LBB1462_505
; %bb.403:                              ;   in Loop: Header=BB1462_399 Depth=2
	s_or_b64 exec, exec, s[36:37]
	v_cmp_gt_u32_e32 vcc, s71, v91
	s_and_saveexec_b64 s[36:37], vcc
	s_cbranch_execnz .LBB1462_506
.LBB1462_404:                           ;   in Loop: Header=BB1462_399 Depth=2
	s_or_b64 exec, exec, s[36:37]
	v_cmp_gt_u32_e32 vcc, s71, v92
	s_and_saveexec_b64 s[36:37], vcc
	s_cbranch_execnz .LBB1462_507
.LBB1462_405:                           ;   in Loop: Header=BB1462_399 Depth=2
	s_or_b64 exec, exec, s[36:37]
	v_cmp_gt_u32_e32 vcc, s71, v93
	s_and_saveexec_b64 s[36:37], vcc
	s_cbranch_execnz .LBB1462_508
.LBB1462_406:                           ;   in Loop: Header=BB1462_399 Depth=2
	s_or_b64 exec, exec, s[36:37]
	v_cmp_gt_u32_e32 vcc, s71, v94
	s_and_saveexec_b64 s[36:37], vcc
	s_cbranch_execnz .LBB1462_509
.LBB1462_407:                           ;   in Loop: Header=BB1462_399 Depth=2
	s_or_b64 exec, exec, s[36:37]
	v_cmp_gt_u32_e32 vcc, s71, v95
	s_and_saveexec_b64 s[36:37], vcc
	s_cbranch_execnz .LBB1462_510
.LBB1462_408:                           ;   in Loop: Header=BB1462_399 Depth=2
	s_or_b64 exec, exec, s[36:37]
	v_cmp_gt_u32_e32 vcc, s71, v96
	s_and_saveexec_b64 s[36:37], vcc
	s_cbranch_execz .LBB1462_410
.LBB1462_409:                           ;   in Loop: Header=BB1462_399 Depth=2
	global_load_dword v18, v[30:31], off offset:1536
.LBB1462_410:                           ;   in Loop: Header=BB1462_399 Depth=2
	s_or_b64 exec, exec, s[36:37]
	s_sub_i32 s40, s80, s58
	v_cmp_gt_u32_e64 s[36:37], s71, v97
.LBB1462_411:                           ;   in Loop: Header=BB1462_399 Depth=2
	v_mov_b32_e32 v101, s71
	s_and_saveexec_b64 s[38:39], s[36:37]
	s_cbranch_execz .LBB1462_413
; %bb.412:                              ;   in Loop: Header=BB1462_399 Depth=2
	s_lshl_b64 s[36:37], s[58:59], 2
	v_mov_b32_e32 v4, s37
	v_add_co_u32_e32 v30, vcc, s36, v98
	v_addc_co_u32_e32 v31, vcc, v99, v4, vcc
	global_load_dword v19, v[30:31], off offset:1792
	v_mov_b32_e32 v101, s40
.LBB1462_413:                           ;   in Loop: Header=BB1462_399 Depth=2
	s_or_b64 exec, exec, s[38:39]
	s_waitcnt vmcnt(0)
	v_cmp_lt_i32_e32 vcc, -1, v12
	v_cndmask_b32_e32 v4, -1, v73, vcc
	v_xor_b32_e32 v102, v4, v12
	v_cmp_ne_u32_e32 vcc, s62, v102
	v_cndmask_b32_e32 v4, v73, v102, vcc
	v_lshrrev_b32_e32 v4, s77, v4
	v_and_b32_e32 v12, s70, v4
	v_and_b32_e32 v4, 1, v12
	v_add_co_u32_e32 v30, vcc, -1, v4
	v_addc_co_u32_e64 v31, s[36:37], 0, -1, vcc
	v_cmp_ne_u32_e32 vcc, 0, v4
	v_xor_b32_e32 v4, vcc_hi, v31
	v_and_b32_e32 v31, exec_hi, v4
	v_lshlrev_b32_e32 v4, 30, v12
	v_xor_b32_e32 v30, vcc_lo, v30
	v_cmp_gt_i64_e32 vcc, 0, v[3:4]
	v_not_b32_e32 v4, v4
	v_ashrrev_i32_e32 v4, 31, v4
	v_and_b32_e32 v30, exec_lo, v30
	v_xor_b32_e32 v105, vcc_hi, v4
	v_xor_b32_e32 v4, vcc_lo, v4
	v_and_b32_e32 v30, v30, v4
	v_lshlrev_b32_e32 v4, 29, v12
	v_cmp_gt_i64_e32 vcc, 0, v[3:4]
	v_not_b32_e32 v4, v4
	v_ashrrev_i32_e32 v4, 31, v4
	v_and_b32_e32 v31, v31, v105
	v_xor_b32_e32 v105, vcc_hi, v4
	v_xor_b32_e32 v4, vcc_lo, v4
	v_and_b32_e32 v30, v30, v4
	v_lshlrev_b32_e32 v4, 28, v12
	v_cmp_gt_i64_e32 vcc, 0, v[3:4]
	v_not_b32_e32 v4, v4
	v_ashrrev_i32_e32 v4, 31, v4
	v_and_b32_e32 v31, v31, v105
	;; [unrolled: 8-line block ×5, first 2 shown]
	v_xor_b32_e32 v105, vcc_hi, v4
	v_xor_b32_e32 v4, vcc_lo, v4
	v_and_b32_e32 v30, v30, v4
	v_lshlrev_b32_e32 v4, 24, v12
	v_cmp_gt_i64_e32 vcc, 0, v[3:4]
	v_not_b32_e32 v4, v4
	v_ashrrev_i32_e32 v4, 31, v4
	v_mul_u32_u24_e32 v106, 20, v12
	v_xor_b32_e32 v12, vcc_hi, v4
	v_xor_b32_e32 v4, vcc_lo, v4
	v_and_b32_e32 v31, v31, v105
	v_and_b32_e32 v30, v30, v4
	;; [unrolled: 1-line block ×3, first 2 shown]
	v_mbcnt_lo_u32_b32 v4, v30, 0
	v_mbcnt_hi_u32_b32 v105, v31, v4
	v_cmp_ne_u64_e32 vcc, 0, v[30:31]
	v_cmp_eq_u32_e64 s[36:37], 0, v105
	v_add_u32_e32 v104, 0x410, v49
	v_add_u32_e32 v103, 0x418, v49
	s_and_b64 s[38:39], vcc, s[36:37]
	v_add_u32_e32 v106, v100, v106
	ds_write2_b32 v104, v3, v3 offset1:1
	ds_write2_b32 v103, v3, v3 offset1:1
	ds_write_b32 v49, v3 offset:1056
	s_waitcnt lgkmcnt(0)
	s_barrier
	; wave barrier
	s_and_saveexec_b64 s[36:37], s[38:39]
; %bb.414:                              ;   in Loop: Header=BB1462_399 Depth=2
	v_bcnt_u32_b32 v4, v30, 0
	v_bcnt_u32_b32 v4, v31, v4
	ds_write_b32 v106, v4 offset:1040
; %bb.415:                              ;   in Loop: Header=BB1462_399 Depth=2
	s_or_b64 exec, exec, s[36:37]
	v_cmp_lt_i32_e32 vcc, -1, v13
	v_cndmask_b32_e32 v4, -1, v73, vcc
	v_xor_b32_e32 v30, v4, v13
	v_cmp_ne_u32_e32 vcc, s62, v30
	v_cndmask_b32_e32 v4, v73, v30, vcc
	v_lshrrev_b32_e32 v4, s77, v4
	v_and_b32_e32 v12, s70, v4
	v_mad_u32_u24 v4, v12, 20, v100
	; wave barrier
	ds_read_b32 v31, v4 offset:1040
	v_and_b32_e32 v4, 1, v12
	v_add_co_u32_e32 v13, vcc, -1, v4
	v_addc_co_u32_e64 v107, s[36:37], 0, -1, vcc
	v_cmp_ne_u32_e32 vcc, 0, v4
	v_xor_b32_e32 v4, vcc_hi, v107
	v_and_b32_e32 v107, exec_hi, v4
	v_lshlrev_b32_e32 v4, 30, v12
	v_xor_b32_e32 v13, vcc_lo, v13
	v_cmp_gt_i64_e32 vcc, 0, v[3:4]
	v_not_b32_e32 v4, v4
	v_ashrrev_i32_e32 v4, 31, v4
	v_and_b32_e32 v13, exec_lo, v13
	v_xor_b32_e32 v109, vcc_hi, v4
	v_xor_b32_e32 v4, vcc_lo, v4
	v_and_b32_e32 v13, v13, v4
	v_lshlrev_b32_e32 v4, 29, v12
	v_cmp_gt_i64_e32 vcc, 0, v[3:4]
	v_not_b32_e32 v4, v4
	v_ashrrev_i32_e32 v4, 31, v4
	v_and_b32_e32 v107, v107, v109
	v_xor_b32_e32 v109, vcc_hi, v4
	v_xor_b32_e32 v4, vcc_lo, v4
	v_and_b32_e32 v13, v13, v4
	v_lshlrev_b32_e32 v4, 28, v12
	v_cmp_gt_i64_e32 vcc, 0, v[3:4]
	v_not_b32_e32 v4, v4
	v_ashrrev_i32_e32 v4, 31, v4
	v_and_b32_e32 v107, v107, v109
	v_xor_b32_e32 v109, vcc_hi, v4
	v_xor_b32_e32 v4, vcc_lo, v4
	v_and_b32_e32 v13, v13, v4
	v_lshlrev_b32_e32 v4, 27, v12
	v_cmp_gt_i64_e32 vcc, 0, v[3:4]
	v_not_b32_e32 v4, v4
	v_ashrrev_i32_e32 v4, 31, v4
	v_and_b32_e32 v107, v107, v109
	v_xor_b32_e32 v109, vcc_hi, v4
	v_xor_b32_e32 v4, vcc_lo, v4
	v_and_b32_e32 v13, v13, v4
	v_lshlrev_b32_e32 v4, 26, v12
	v_cmp_gt_i64_e32 vcc, 0, v[3:4]
	v_not_b32_e32 v4, v4
	v_ashrrev_i32_e32 v4, 31, v4
	v_and_b32_e32 v107, v107, v109
	v_xor_b32_e32 v109, vcc_hi, v4
	v_xor_b32_e32 v4, vcc_lo, v4
	v_and_b32_e32 v13, v13, v4
	v_lshlrev_b32_e32 v4, 25, v12
	v_cmp_gt_i64_e32 vcc, 0, v[3:4]
	v_not_b32_e32 v4, v4
	v_ashrrev_i32_e32 v4, 31, v4
	v_and_b32_e32 v107, v107, v109
	v_xor_b32_e32 v109, vcc_hi, v4
	v_xor_b32_e32 v4, vcc_lo, v4
	v_and_b32_e32 v107, v107, v109
	v_and_b32_e32 v109, v13, v4
	v_lshlrev_b32_e32 v4, 24, v12
	v_cmp_gt_i64_e32 vcc, 0, v[3:4]
	v_not_b32_e32 v4, v4
	v_ashrrev_i32_e32 v4, 31, v4
	v_mul_u32_u24_e32 v108, 20, v12
	v_xor_b32_e32 v12, vcc_hi, v4
	v_xor_b32_e32 v4, vcc_lo, v4
	v_and_b32_e32 v13, v107, v12
	v_and_b32_e32 v12, v109, v4
	v_mbcnt_lo_u32_b32 v4, v12, 0
	v_mbcnt_hi_u32_b32 v107, v13, v4
	v_cmp_ne_u64_e32 vcc, 0, v[12:13]
	v_cmp_eq_u32_e64 s[36:37], 0, v107
	s_and_b64 s[38:39], vcc, s[36:37]
	v_add_u32_e32 v110, v100, v108
	; wave barrier
	s_and_saveexec_b64 s[36:37], s[38:39]
	s_cbranch_execz .LBB1462_417
; %bb.416:                              ;   in Loop: Header=BB1462_399 Depth=2
	v_bcnt_u32_b32 v4, v12, 0
	v_bcnt_u32_b32 v4, v13, v4
	s_waitcnt lgkmcnt(0)
	v_add_u32_e32 v4, v31, v4
	ds_write_b32 v110, v4 offset:1040
.LBB1462_417:                           ;   in Loop: Header=BB1462_399 Depth=2
	s_or_b64 exec, exec, s[36:37]
	v_cmp_lt_i32_e32 vcc, -1, v14
	v_cndmask_b32_e32 v4, -1, v73, vcc
	v_xor_b32_e32 v108, v4, v14
	v_cmp_ne_u32_e32 vcc, s62, v108
	v_cndmask_b32_e32 v4, v73, v108, vcc
	v_lshrrev_b32_e32 v4, s77, v4
	v_and_b32_e32 v12, s70, v4
	v_mad_u32_u24 v4, v12, 20, v100
	; wave barrier
	ds_read_b32 v109, v4 offset:1040
	v_and_b32_e32 v4, 1, v12
	v_add_co_u32_e32 v13, vcc, -1, v4
	v_addc_co_u32_e64 v111, s[36:37], 0, -1, vcc
	v_cmp_ne_u32_e32 vcc, 0, v4
	v_xor_b32_e32 v4, vcc_hi, v111
	v_and_b32_e32 v111, exec_hi, v4
	v_lshlrev_b32_e32 v4, 30, v12
	v_xor_b32_e32 v13, vcc_lo, v13
	v_cmp_gt_i64_e32 vcc, 0, v[3:4]
	v_not_b32_e32 v4, v4
	v_ashrrev_i32_e32 v4, 31, v4
	v_and_b32_e32 v13, exec_lo, v13
	v_xor_b32_e32 v112, vcc_hi, v4
	v_xor_b32_e32 v4, vcc_lo, v4
	v_and_b32_e32 v13, v13, v4
	v_lshlrev_b32_e32 v4, 29, v12
	v_cmp_gt_i64_e32 vcc, 0, v[3:4]
	v_not_b32_e32 v4, v4
	v_ashrrev_i32_e32 v4, 31, v4
	v_and_b32_e32 v111, v111, v112
	v_xor_b32_e32 v112, vcc_hi, v4
	v_xor_b32_e32 v4, vcc_lo, v4
	v_and_b32_e32 v13, v13, v4
	v_lshlrev_b32_e32 v4, 28, v12
	v_cmp_gt_i64_e32 vcc, 0, v[3:4]
	v_not_b32_e32 v4, v4
	v_ashrrev_i32_e32 v4, 31, v4
	v_and_b32_e32 v111, v111, v112
	;; [unrolled: 8-line block ×5, first 2 shown]
	v_xor_b32_e32 v112, vcc_hi, v4
	v_xor_b32_e32 v4, vcc_lo, v4
	v_and_b32_e32 v111, v111, v112
	v_and_b32_e32 v112, v13, v4
	v_lshlrev_b32_e32 v4, 24, v12
	v_cmp_gt_i64_e32 vcc, 0, v[3:4]
	v_not_b32_e32 v4, v4
	v_ashrrev_i32_e32 v4, 31, v4
	v_mul_u32_u24_e32 v14, 20, v12
	v_xor_b32_e32 v12, vcc_hi, v4
	v_xor_b32_e32 v4, vcc_lo, v4
	v_and_b32_e32 v13, v111, v12
	v_and_b32_e32 v12, v112, v4
	v_mbcnt_lo_u32_b32 v4, v12, 0
	v_mbcnt_hi_u32_b32 v111, v13, v4
	v_cmp_ne_u64_e32 vcc, 0, v[12:13]
	v_cmp_eq_u32_e64 s[36:37], 0, v111
	s_and_b64 s[38:39], vcc, s[36:37]
	v_add_u32_e32 v114, v100, v14
	; wave barrier
	s_and_saveexec_b64 s[36:37], s[38:39]
	s_cbranch_execz .LBB1462_419
; %bb.418:                              ;   in Loop: Header=BB1462_399 Depth=2
	v_bcnt_u32_b32 v4, v12, 0
	v_bcnt_u32_b32 v4, v13, v4
	s_waitcnt lgkmcnt(0)
	v_add_u32_e32 v4, v109, v4
	ds_write_b32 v114, v4 offset:1040
.LBB1462_419:                           ;   in Loop: Header=BB1462_399 Depth=2
	s_or_b64 exec, exec, s[36:37]
	v_cmp_lt_i32_e32 vcc, -1, v15
	v_cndmask_b32_e32 v4, -1, v73, vcc
	v_xor_b32_e32 v112, v4, v15
	v_cmp_ne_u32_e32 vcc, s62, v112
	v_cndmask_b32_e32 v4, v73, v112, vcc
	v_lshrrev_b32_e32 v4, s77, v4
	v_and_b32_e32 v12, s70, v4
	v_mad_u32_u24 v4, v12, 20, v100
	; wave barrier
	ds_read_b32 v113, v4 offset:1040
	v_and_b32_e32 v4, 1, v12
	v_add_co_u32_e32 v13, vcc, -1, v4
	v_addc_co_u32_e64 v15, s[36:37], 0, -1, vcc
	v_cmp_ne_u32_e32 vcc, 0, v4
	v_xor_b32_e32 v4, vcc_hi, v15
	v_and_b32_e32 v15, exec_hi, v4
	v_lshlrev_b32_e32 v4, 30, v12
	v_xor_b32_e32 v13, vcc_lo, v13
	v_cmp_gt_i64_e32 vcc, 0, v[3:4]
	v_not_b32_e32 v4, v4
	v_ashrrev_i32_e32 v4, 31, v4
	v_and_b32_e32 v13, exec_lo, v13
	v_xor_b32_e32 v115, vcc_hi, v4
	v_xor_b32_e32 v4, vcc_lo, v4
	v_and_b32_e32 v13, v13, v4
	v_lshlrev_b32_e32 v4, 29, v12
	v_cmp_gt_i64_e32 vcc, 0, v[3:4]
	v_not_b32_e32 v4, v4
	v_ashrrev_i32_e32 v4, 31, v4
	v_and_b32_e32 v15, v15, v115
	v_xor_b32_e32 v115, vcc_hi, v4
	v_xor_b32_e32 v4, vcc_lo, v4
	v_and_b32_e32 v13, v13, v4
	v_lshlrev_b32_e32 v4, 28, v12
	v_cmp_gt_i64_e32 vcc, 0, v[3:4]
	v_not_b32_e32 v4, v4
	v_ashrrev_i32_e32 v4, 31, v4
	v_and_b32_e32 v15, v15, v115
	v_xor_b32_e32 v115, vcc_hi, v4
	v_xor_b32_e32 v4, vcc_lo, v4
	v_and_b32_e32 v13, v13, v4
	v_lshlrev_b32_e32 v4, 27, v12
	v_cmp_gt_i64_e32 vcc, 0, v[3:4]
	v_not_b32_e32 v4, v4
	v_ashrrev_i32_e32 v4, 31, v4
	v_and_b32_e32 v15, v15, v115
	v_xor_b32_e32 v115, vcc_hi, v4
	v_xor_b32_e32 v4, vcc_lo, v4
	v_and_b32_e32 v13, v13, v4
	v_lshlrev_b32_e32 v4, 26, v12
	v_cmp_gt_i64_e32 vcc, 0, v[3:4]
	v_not_b32_e32 v4, v4
	v_ashrrev_i32_e32 v4, 31, v4
	v_and_b32_e32 v15, v15, v115
	v_xor_b32_e32 v115, vcc_hi, v4
	v_xor_b32_e32 v4, vcc_lo, v4
	v_and_b32_e32 v13, v13, v4
	v_lshlrev_b32_e32 v4, 25, v12
	v_cmp_gt_i64_e32 vcc, 0, v[3:4]
	v_not_b32_e32 v4, v4
	v_ashrrev_i32_e32 v4, 31, v4
	v_and_b32_e32 v15, v15, v115
	v_xor_b32_e32 v115, vcc_hi, v4
	v_xor_b32_e32 v4, vcc_lo, v4
	v_and_b32_e32 v15, v15, v115
	v_and_b32_e32 v115, v13, v4
	v_lshlrev_b32_e32 v4, 24, v12
	v_cmp_gt_i64_e32 vcc, 0, v[3:4]
	v_not_b32_e32 v4, v4
	v_ashrrev_i32_e32 v4, 31, v4
	v_mul_u32_u24_e32 v14, 20, v12
	v_xor_b32_e32 v12, vcc_hi, v4
	v_xor_b32_e32 v4, vcc_lo, v4
	v_and_b32_e32 v13, v15, v12
	v_and_b32_e32 v12, v115, v4
	v_mbcnt_lo_u32_b32 v4, v12, 0
	v_mbcnt_hi_u32_b32 v115, v13, v4
	v_cmp_ne_u64_e32 vcc, 0, v[12:13]
	v_cmp_eq_u32_e64 s[36:37], 0, v115
	s_and_b64 s[38:39], vcc, s[36:37]
	v_add_u32_e32 v117, v100, v14
	; wave barrier
	s_and_saveexec_b64 s[36:37], s[38:39]
	s_cbranch_execz .LBB1462_421
; %bb.420:                              ;   in Loop: Header=BB1462_399 Depth=2
	v_bcnt_u32_b32 v4, v12, 0
	v_bcnt_u32_b32 v4, v13, v4
	s_waitcnt lgkmcnt(0)
	v_add_u32_e32 v4, v113, v4
	ds_write_b32 v117, v4 offset:1040
.LBB1462_421:                           ;   in Loop: Header=BB1462_399 Depth=2
	s_or_b64 exec, exec, s[36:37]
	v_cmp_lt_i32_e32 vcc, -1, v16
	v_cndmask_b32_e32 v4, -1, v73, vcc
	v_xor_b32_e32 v116, v4, v16
	v_cmp_ne_u32_e32 vcc, s62, v116
	v_cndmask_b32_e32 v4, v73, v116, vcc
	v_lshrrev_b32_e32 v4, s77, v4
	v_and_b32_e32 v12, s70, v4
	v_mad_u32_u24 v4, v12, 20, v100
	; wave barrier
	ds_read_b32 v16, v4 offset:1040
	v_and_b32_e32 v4, 1, v12
	v_add_co_u32_e32 v13, vcc, -1, v4
	v_addc_co_u32_e64 v15, s[36:37], 0, -1, vcc
	v_cmp_ne_u32_e32 vcc, 0, v4
	v_xor_b32_e32 v4, vcc_hi, v15
	v_and_b32_e32 v15, exec_hi, v4
	v_lshlrev_b32_e32 v4, 30, v12
	v_xor_b32_e32 v13, vcc_lo, v13
	v_cmp_gt_i64_e32 vcc, 0, v[3:4]
	v_not_b32_e32 v4, v4
	v_ashrrev_i32_e32 v4, 31, v4
	v_and_b32_e32 v13, exec_lo, v13
	v_xor_b32_e32 v118, vcc_hi, v4
	v_xor_b32_e32 v4, vcc_lo, v4
	v_and_b32_e32 v13, v13, v4
	v_lshlrev_b32_e32 v4, 29, v12
	v_cmp_gt_i64_e32 vcc, 0, v[3:4]
	v_not_b32_e32 v4, v4
	v_ashrrev_i32_e32 v4, 31, v4
	v_and_b32_e32 v15, v15, v118
	v_xor_b32_e32 v118, vcc_hi, v4
	v_xor_b32_e32 v4, vcc_lo, v4
	v_and_b32_e32 v13, v13, v4
	v_lshlrev_b32_e32 v4, 28, v12
	v_cmp_gt_i64_e32 vcc, 0, v[3:4]
	v_not_b32_e32 v4, v4
	v_ashrrev_i32_e32 v4, 31, v4
	v_and_b32_e32 v15, v15, v118
	;; [unrolled: 8-line block ×5, first 2 shown]
	v_xor_b32_e32 v118, vcc_hi, v4
	v_xor_b32_e32 v4, vcc_lo, v4
	v_and_b32_e32 v15, v15, v118
	v_and_b32_e32 v118, v13, v4
	v_lshlrev_b32_e32 v4, 24, v12
	v_cmp_gt_i64_e32 vcc, 0, v[3:4]
	v_not_b32_e32 v4, v4
	v_ashrrev_i32_e32 v4, 31, v4
	v_mul_u32_u24_e32 v14, 20, v12
	v_xor_b32_e32 v12, vcc_hi, v4
	v_xor_b32_e32 v4, vcc_lo, v4
	v_and_b32_e32 v13, v15, v12
	v_and_b32_e32 v12, v118, v4
	v_mbcnt_lo_u32_b32 v4, v12, 0
	v_mbcnt_hi_u32_b32 v118, v13, v4
	v_cmp_ne_u64_e32 vcc, 0, v[12:13]
	v_cmp_eq_u32_e64 s[36:37], 0, v118
	s_and_b64 s[38:39], vcc, s[36:37]
	v_add_u32_e32 v121, v100, v14
	; wave barrier
	s_and_saveexec_b64 s[36:37], s[38:39]
	s_cbranch_execz .LBB1462_423
; %bb.422:                              ;   in Loop: Header=BB1462_399 Depth=2
	v_bcnt_u32_b32 v4, v12, 0
	v_bcnt_u32_b32 v4, v13, v4
	s_waitcnt lgkmcnt(0)
	v_add_u32_e32 v4, v16, v4
	ds_write_b32 v121, v4 offset:1040
.LBB1462_423:                           ;   in Loop: Header=BB1462_399 Depth=2
	s_or_b64 exec, exec, s[36:37]
	v_cmp_lt_i32_e32 vcc, -1, v17
	v_cndmask_b32_e32 v4, -1, v73, vcc
	v_xor_b32_e32 v119, v4, v17
	v_cmp_ne_u32_e32 vcc, s62, v119
	v_cndmask_b32_e32 v4, v73, v119, vcc
	v_lshrrev_b32_e32 v4, s77, v4
	v_and_b32_e32 v12, s70, v4
	v_mad_u32_u24 v4, v12, 20, v100
	; wave barrier
	ds_read_b32 v120, v4 offset:1040
	v_and_b32_e32 v4, 1, v12
	v_add_co_u32_e32 v13, vcc, -1, v4
	v_addc_co_u32_e64 v15, s[36:37], 0, -1, vcc
	v_cmp_ne_u32_e32 vcc, 0, v4
	v_xor_b32_e32 v4, vcc_hi, v15
	v_and_b32_e32 v15, exec_hi, v4
	v_lshlrev_b32_e32 v4, 30, v12
	v_xor_b32_e32 v13, vcc_lo, v13
	v_cmp_gt_i64_e32 vcc, 0, v[3:4]
	v_not_b32_e32 v4, v4
	v_ashrrev_i32_e32 v4, 31, v4
	v_and_b32_e32 v13, exec_lo, v13
	v_xor_b32_e32 v17, vcc_hi, v4
	v_xor_b32_e32 v4, vcc_lo, v4
	v_and_b32_e32 v13, v13, v4
	v_lshlrev_b32_e32 v4, 29, v12
	v_cmp_gt_i64_e32 vcc, 0, v[3:4]
	v_not_b32_e32 v4, v4
	v_ashrrev_i32_e32 v4, 31, v4
	v_and_b32_e32 v15, v15, v17
	v_xor_b32_e32 v17, vcc_hi, v4
	v_xor_b32_e32 v4, vcc_lo, v4
	v_and_b32_e32 v13, v13, v4
	v_lshlrev_b32_e32 v4, 28, v12
	v_cmp_gt_i64_e32 vcc, 0, v[3:4]
	v_not_b32_e32 v4, v4
	v_ashrrev_i32_e32 v4, 31, v4
	v_and_b32_e32 v15, v15, v17
	;; [unrolled: 8-line block ×5, first 2 shown]
	v_xor_b32_e32 v17, vcc_hi, v4
	v_xor_b32_e32 v4, vcc_lo, v4
	v_and_b32_e32 v15, v15, v17
	v_and_b32_e32 v17, v13, v4
	v_lshlrev_b32_e32 v4, 24, v12
	v_cmp_gt_i64_e32 vcc, 0, v[3:4]
	v_not_b32_e32 v4, v4
	v_ashrrev_i32_e32 v4, 31, v4
	v_mul_u32_u24_e32 v14, 20, v12
	v_xor_b32_e32 v12, vcc_hi, v4
	v_xor_b32_e32 v4, vcc_lo, v4
	v_and_b32_e32 v13, v15, v12
	v_and_b32_e32 v12, v17, v4
	v_mbcnt_lo_u32_b32 v4, v12, 0
	v_mbcnt_hi_u32_b32 v122, v13, v4
	v_cmp_ne_u64_e32 vcc, 0, v[12:13]
	v_cmp_eq_u32_e64 s[36:37], 0, v122
	s_and_b64 s[38:39], vcc, s[36:37]
	v_add_u32_e32 v17, v100, v14
	; wave barrier
	s_and_saveexec_b64 s[36:37], s[38:39]
	s_cbranch_execz .LBB1462_425
; %bb.424:                              ;   in Loop: Header=BB1462_399 Depth=2
	v_bcnt_u32_b32 v4, v12, 0
	v_bcnt_u32_b32 v4, v13, v4
	s_waitcnt lgkmcnt(0)
	v_add_u32_e32 v4, v120, v4
	ds_write_b32 v17, v4 offset:1040
.LBB1462_425:                           ;   in Loop: Header=BB1462_399 Depth=2
	s_or_b64 exec, exec, s[36:37]
	v_cmp_lt_i32_e32 vcc, -1, v18
	v_cndmask_b32_e32 v4, -1, v73, vcc
	v_xor_b32_e32 v123, v4, v18
	v_cmp_ne_u32_e32 vcc, s62, v123
	v_cndmask_b32_e32 v4, v73, v123, vcc
	v_lshrrev_b32_e32 v4, s77, v4
	v_and_b32_e32 v12, s70, v4
	v_mad_u32_u24 v4, v12, 20, v100
	; wave barrier
	ds_read_b32 v124, v4 offset:1040
	v_and_b32_e32 v4, 1, v12
	v_add_co_u32_e32 v13, vcc, -1, v4
	v_addc_co_u32_e64 v15, s[36:37], 0, -1, vcc
	v_cmp_ne_u32_e32 vcc, 0, v4
	v_xor_b32_e32 v4, vcc_hi, v15
	v_and_b32_e32 v15, exec_hi, v4
	v_lshlrev_b32_e32 v4, 30, v12
	v_xor_b32_e32 v13, vcc_lo, v13
	v_cmp_gt_i64_e32 vcc, 0, v[3:4]
	v_not_b32_e32 v4, v4
	v_ashrrev_i32_e32 v4, 31, v4
	v_and_b32_e32 v13, exec_lo, v13
	v_xor_b32_e32 v18, vcc_hi, v4
	v_xor_b32_e32 v4, vcc_lo, v4
	v_and_b32_e32 v13, v13, v4
	v_lshlrev_b32_e32 v4, 29, v12
	v_cmp_gt_i64_e32 vcc, 0, v[3:4]
	v_not_b32_e32 v4, v4
	v_ashrrev_i32_e32 v4, 31, v4
	v_and_b32_e32 v15, v15, v18
	v_xor_b32_e32 v18, vcc_hi, v4
	v_xor_b32_e32 v4, vcc_lo, v4
	v_and_b32_e32 v13, v13, v4
	v_lshlrev_b32_e32 v4, 28, v12
	v_cmp_gt_i64_e32 vcc, 0, v[3:4]
	v_not_b32_e32 v4, v4
	v_ashrrev_i32_e32 v4, 31, v4
	v_and_b32_e32 v15, v15, v18
	v_xor_b32_e32 v18, vcc_hi, v4
	v_xor_b32_e32 v4, vcc_lo, v4
	v_and_b32_e32 v13, v13, v4
	v_lshlrev_b32_e32 v4, 27, v12
	v_cmp_gt_i64_e32 vcc, 0, v[3:4]
	v_not_b32_e32 v4, v4
	v_ashrrev_i32_e32 v4, 31, v4
	v_and_b32_e32 v15, v15, v18
	v_xor_b32_e32 v18, vcc_hi, v4
	v_xor_b32_e32 v4, vcc_lo, v4
	v_and_b32_e32 v13, v13, v4
	v_lshlrev_b32_e32 v4, 26, v12
	v_cmp_gt_i64_e32 vcc, 0, v[3:4]
	v_not_b32_e32 v4, v4
	v_ashrrev_i32_e32 v4, 31, v4
	v_and_b32_e32 v15, v15, v18
	v_xor_b32_e32 v18, vcc_hi, v4
	v_xor_b32_e32 v4, vcc_lo, v4
	v_and_b32_e32 v13, v13, v4
	v_lshlrev_b32_e32 v4, 25, v12
	v_cmp_gt_i64_e32 vcc, 0, v[3:4]
	v_not_b32_e32 v4, v4
	v_ashrrev_i32_e32 v4, 31, v4
	v_and_b32_e32 v15, v15, v18
	v_xor_b32_e32 v18, vcc_hi, v4
	v_xor_b32_e32 v4, vcc_lo, v4
	v_and_b32_e32 v15, v15, v18
	v_and_b32_e32 v18, v13, v4
	v_lshlrev_b32_e32 v4, 24, v12
	v_cmp_gt_i64_e32 vcc, 0, v[3:4]
	v_not_b32_e32 v4, v4
	v_ashrrev_i32_e32 v4, 31, v4
	v_mul_u32_u24_e32 v14, 20, v12
	v_xor_b32_e32 v12, vcc_hi, v4
	v_xor_b32_e32 v4, vcc_lo, v4
	v_and_b32_e32 v13, v15, v12
	v_and_b32_e32 v12, v18, v4
	v_mbcnt_lo_u32_b32 v4, v12, 0
	v_mbcnt_hi_u32_b32 v125, v13, v4
	v_cmp_ne_u64_e32 vcc, 0, v[12:13]
	v_cmp_eq_u32_e64 s[36:37], 0, v125
	s_and_b64 s[38:39], vcc, s[36:37]
	v_add_u32_e32 v18, v100, v14
	; wave barrier
	s_and_saveexec_b64 s[36:37], s[38:39]
	s_cbranch_execz .LBB1462_427
; %bb.426:                              ;   in Loop: Header=BB1462_399 Depth=2
	v_bcnt_u32_b32 v4, v12, 0
	v_bcnt_u32_b32 v4, v13, v4
	s_waitcnt lgkmcnt(0)
	v_add_u32_e32 v4, v124, v4
	ds_write_b32 v18, v4 offset:1040
.LBB1462_427:                           ;   in Loop: Header=BB1462_399 Depth=2
	s_or_b64 exec, exec, s[36:37]
	v_cmp_lt_i32_e32 vcc, -1, v19
	v_cndmask_b32_e32 v4, -1, v73, vcc
	v_xor_b32_e32 v126, v4, v19
	v_cmp_ne_u32_e32 vcc, s62, v126
	v_cndmask_b32_e32 v4, v73, v126, vcc
	v_lshrrev_b32_e32 v4, s77, v4
	v_and_b32_e32 v12, s70, v4
	v_mad_u32_u24 v4, v12, 20, v100
	; wave barrier
	ds_read_b32 v127, v4 offset:1040
	v_and_b32_e32 v4, 1, v12
	v_add_co_u32_e32 v13, vcc, -1, v4
	v_addc_co_u32_e64 v15, s[36:37], 0, -1, vcc
	v_cmp_ne_u32_e32 vcc, 0, v4
	v_xor_b32_e32 v4, vcc_hi, v15
	v_and_b32_e32 v15, exec_hi, v4
	v_lshlrev_b32_e32 v4, 30, v12
	v_xor_b32_e32 v13, vcc_lo, v13
	v_cmp_gt_i64_e32 vcc, 0, v[3:4]
	v_not_b32_e32 v4, v4
	v_ashrrev_i32_e32 v4, 31, v4
	v_and_b32_e32 v13, exec_lo, v13
	v_xor_b32_e32 v19, vcc_hi, v4
	v_xor_b32_e32 v4, vcc_lo, v4
	v_and_b32_e32 v13, v13, v4
	v_lshlrev_b32_e32 v4, 29, v12
	v_cmp_gt_i64_e32 vcc, 0, v[3:4]
	v_not_b32_e32 v4, v4
	v_ashrrev_i32_e32 v4, 31, v4
	v_and_b32_e32 v15, v15, v19
	v_xor_b32_e32 v19, vcc_hi, v4
	v_xor_b32_e32 v4, vcc_lo, v4
	v_and_b32_e32 v13, v13, v4
	v_lshlrev_b32_e32 v4, 28, v12
	v_cmp_gt_i64_e32 vcc, 0, v[3:4]
	v_not_b32_e32 v4, v4
	v_ashrrev_i32_e32 v4, 31, v4
	v_and_b32_e32 v15, v15, v19
	;; [unrolled: 8-line block ×5, first 2 shown]
	v_xor_b32_e32 v19, vcc_hi, v4
	v_xor_b32_e32 v4, vcc_lo, v4
	v_and_b32_e32 v15, v15, v19
	v_and_b32_e32 v19, v13, v4
	v_lshlrev_b32_e32 v4, 24, v12
	v_cmp_gt_i64_e32 vcc, 0, v[3:4]
	v_not_b32_e32 v4, v4
	v_ashrrev_i32_e32 v4, 31, v4
	v_mul_u32_u24_e32 v14, 20, v12
	v_xor_b32_e32 v12, vcc_hi, v4
	v_xor_b32_e32 v4, vcc_lo, v4
	v_and_b32_e32 v13, v15, v12
	v_and_b32_e32 v12, v19, v4
	v_mbcnt_lo_u32_b32 v4, v12, 0
	v_mbcnt_hi_u32_b32 v128, v13, v4
	v_cmp_ne_u64_e32 vcc, 0, v[12:13]
	v_cmp_eq_u32_e64 s[36:37], 0, v128
	s_and_b64 s[38:39], vcc, s[36:37]
	v_add_u32_e32 v4, v100, v14
	; wave barrier
	s_and_saveexec_b64 s[36:37], s[38:39]
	s_cbranch_execz .LBB1462_429
; %bb.428:                              ;   in Loop: Header=BB1462_399 Depth=2
	v_bcnt_u32_b32 v12, v12, 0
	v_bcnt_u32_b32 v12, v13, v12
	s_waitcnt lgkmcnt(0)
	v_add_u32_e32 v12, v127, v12
	ds_write_b32 v4, v12 offset:1040
.LBB1462_429:                           ;   in Loop: Header=BB1462_399 Depth=2
	s_or_b64 exec, exec, s[36:37]
	; wave barrier
	s_waitcnt lgkmcnt(0)
	s_barrier
	ds_read2_b32 v[14:15], v104 offset1:1
	ds_read2_b32 v[12:13], v103 offset1:1
	ds_read_b32 v19, v49 offset:1056
	s_waitcnt lgkmcnt(1)
	v_add3_u32 v129, v15, v14, v12
	s_waitcnt lgkmcnt(0)
	v_add3_u32 v19, v129, v13, v19
	s_nop 1
	v_mov_b32_dpp v129, v19 row_shr:1 row_mask:0xf bank_mask:0xf
	v_cndmask_b32_e64 v129, v129, 0, s[16:17]
	v_add_u32_e32 v19, v129, v19
	s_nop 1
	v_mov_b32_dpp v129, v19 row_shr:2 row_mask:0xf bank_mask:0xf
	v_cndmask_b32_e64 v129, 0, v129, s[18:19]
	v_add_u32_e32 v19, v19, v129
	;; [unrolled: 4-line block ×4, first 2 shown]
	s_nop 1
	v_mov_b32_dpp v129, v19 row_bcast:15 row_mask:0xf bank_mask:0xf
	v_cndmask_b32_e64 v129, v129, 0, s[24:25]
	v_add_u32_e32 v19, v19, v129
	s_nop 1
	v_mov_b32_dpp v129, v19 row_bcast:31 row_mask:0xf bank_mask:0xf
	v_cndmask_b32_e64 v129, 0, v129, s[26:27]
	v_add_u32_e32 v19, v19, v129
	s_and_saveexec_b64 s[36:37], s[6:7]
; %bb.430:                              ;   in Loop: Header=BB1462_399 Depth=2
	ds_write_b32 v44, v19 offset:1024
; %bb.431:                              ;   in Loop: Header=BB1462_399 Depth=2
	s_or_b64 exec, exec, s[36:37]
	s_waitcnt lgkmcnt(0)
	s_barrier
	s_and_saveexec_b64 s[36:37], s[8:9]
	s_cbranch_execz .LBB1462_433
; %bb.432:                              ;   in Loop: Header=BB1462_399 Depth=2
	ds_read_b32 v129, v50 offset:1024
	s_waitcnt lgkmcnt(0)
	s_nop 0
	v_mov_b32_dpp v130, v129 row_shr:1 row_mask:0xf bank_mask:0xf
	v_cndmask_b32_e64 v130, v130, 0, s[30:31]
	v_add_u32_e32 v129, v130, v129
	s_nop 1
	v_mov_b32_dpp v130, v129 row_shr:2 row_mask:0xf bank_mask:0xf
	v_cndmask_b32_e64 v130, 0, v130, s[34:35]
	v_add_u32_e32 v129, v129, v130
	ds_write_b32 v50, v129 offset:1024
.LBB1462_433:                           ;   in Loop: Header=BB1462_399 Depth=2
	s_or_b64 exec, exec, s[36:37]
	v_mov_b32_e32 v129, 0
	s_waitcnt lgkmcnt(0)
	s_barrier
	s_and_saveexec_b64 s[36:37], s[10:11]
; %bb.434:                              ;   in Loop: Header=BB1462_399 Depth=2
	ds_read_b32 v129, v44 offset:1020
; %bb.435:                              ;   in Loop: Header=BB1462_399 Depth=2
	s_or_b64 exec, exec, s[36:37]
	s_waitcnt lgkmcnt(0)
	v_add_u32_e32 v19, v129, v19
	ds_bpermute_b32 v19, v79, v19
	s_waitcnt lgkmcnt(0)
	v_cndmask_b32_e64 v19, v19, v129, s[28:29]
	v_cndmask_b32_e64 v19, v19, 0, s[12:13]
	v_add_u32_e32 v14, v19, v14
	v_add_u32_e32 v15, v14, v15
	v_add_u32_e32 v12, v15, v12
	v_add_u32_e32 v13, v12, v13
	ds_write2_b32 v104, v19, v14 offset1:1
	ds_write2_b32 v103, v15, v12 offset1:1
	ds_write_b32 v49, v13 offset:1056
	s_waitcnt lgkmcnt(0)
	s_barrier
	ds_read_b32 v12, v106 offset:1040
	ds_read_b32 v13, v110 offset:1040
	;; [unrolled: 1-line block ×9, first 2 shown]
	v_mov_b32_e32 v4, 0x800
	s_and_saveexec_b64 s[36:37], s[14:15]
; %bb.436:                              ;   in Loop: Header=BB1462_399 Depth=2
	ds_read_b32 v4, v49 offset:1060
; %bb.437:                              ;   in Loop: Header=BB1462_399 Depth=2
	s_or_b64 exec, exec, s[36:37]
	s_waitcnt lgkmcnt(0)
	s_barrier
	s_and_saveexec_b64 s[36:37], s[4:5]
	s_cbranch_execz .LBB1462_439
; %bb.438:                              ;   in Loop: Header=BB1462_399 Depth=2
	ds_read_b32 v18, v32
	s_waitcnt lgkmcnt(0)
	v_sub_u32_e32 v17, v18, v17
	ds_write_b32 v32, v17
.LBB1462_439:                           ;   in Loop: Header=BB1462_399 Depth=2
	s_or_b64 exec, exec, s[36:37]
	v_add_u32_e32 v103, v12, v105
	v_add3_u32 v31, v107, v31, v13
	v_lshlrev_b32_e32 v12, 2, v103
	v_add3_u32 v19, v111, v109, v14
	ds_write_b32 v12, v102 offset:1024
	v_lshlrev_b32_e32 v12, 2, v31
	v_add3_u32 v18, v115, v113, v15
	ds_write_b32 v12, v30 offset:1024
	;; [unrolled: 3-line block ×6, first 2 shown]
	v_lshlrev_b32_e32 v12, 2, v15
	ds_write_b32 v12, v123 offset:1024
	v_lshlrev_b32_e32 v12, 2, v14
	v_cmp_lt_u32_e32 vcc, v0, v101
	ds_write_b32 v12, v126 offset:1024
	s_waitcnt lgkmcnt(0)
	s_barrier
	s_and_saveexec_b64 s[38:39], vcc
	s_cbranch_execnz .LBB1462_476
; %bb.440:                              ;   in Loop: Header=BB1462_399 Depth=2
	s_or_b64 exec, exec, s[38:39]
	v_cmp_lt_u32_e64 s[36:37], v33, v101
	s_and_saveexec_b64 s[40:41], s[36:37]
	s_cbranch_execnz .LBB1462_477
.LBB1462_441:                           ;   in Loop: Header=BB1462_399 Depth=2
	s_or_b64 exec, exec, s[40:41]
	v_cmp_lt_u32_e64 s[38:39], v34, v101
	s_and_saveexec_b64 s[42:43], s[38:39]
	s_cbranch_execnz .LBB1462_478
.LBB1462_442:                           ;   in Loop: Header=BB1462_399 Depth=2
	s_or_b64 exec, exec, s[42:43]
	v_cmp_lt_u32_e64 s[40:41], v35, v101
	s_and_saveexec_b64 s[44:45], s[40:41]
	s_cbranch_execnz .LBB1462_479
.LBB1462_443:                           ;   in Loop: Header=BB1462_399 Depth=2
	s_or_b64 exec, exec, s[44:45]
	v_cmp_lt_u32_e64 s[42:43], v38, v101
	s_and_saveexec_b64 s[46:47], s[42:43]
	s_cbranch_execnz .LBB1462_480
.LBB1462_444:                           ;   in Loop: Header=BB1462_399 Depth=2
	s_or_b64 exec, exec, s[46:47]
	v_cmp_lt_u32_e64 s[44:45], v39, v101
	s_and_saveexec_b64 s[48:49], s[44:45]
	s_cbranch_execnz .LBB1462_481
.LBB1462_445:                           ;   in Loop: Header=BB1462_399 Depth=2
	s_or_b64 exec, exec, s[48:49]
	v_cmp_lt_u32_e64 s[46:47], v40, v101
	s_and_saveexec_b64 s[52:53], s[46:47]
	s_cbranch_execnz .LBB1462_482
.LBB1462_446:                           ;   in Loop: Header=BB1462_399 Depth=2
	s_or_b64 exec, exec, s[52:53]
	v_cmp_lt_u32_e64 s[48:49], v41, v101
	s_and_saveexec_b64 s[60:61], s[48:49]
	s_cbranch_execz .LBB1462_448
.LBB1462_447:                           ;   in Loop: Header=BB1462_399 Depth=2
	ds_read_b32 v12, v50 offset:8192
	v_mov_b32_e32 v13, v3
	v_mov_b32_e32 v102, s67
	s_waitcnt lgkmcnt(0)
	v_cmp_ne_u32_e64 s[52:53], s62, v12
	v_cndmask_b32_e64 v30, v73, v12, s[52:53]
	v_lshrrev_b32_e32 v30, s77, v30
	v_and_b32_e32 v30, s70, v30
	v_lshlrev_b32_e32 v30, 2, v30
	ds_read_b32 v30, v30
	v_cmp_lt_i32_e64 s[52:53], -1, v12
	v_cndmask_b32_e64 v104, v73, -1, s[52:53]
	v_xor_b32_e32 v104, v104, v12
	s_waitcnt lgkmcnt(0)
	v_add_u32_e32 v12, v30, v41
	v_lshlrev_b64 v[12:13], 2, v[12:13]
	v_add_co_u32_e64 v12, s[52:53], s66, v12
	v_addc_co_u32_e64 v13, s[52:53], v102, v13, s[52:53]
	global_store_dword v[12:13], v104, off
.LBB1462_448:                           ;   in Loop: Header=BB1462_399 Depth=2
	s_or_b64 exec, exec, s[60:61]
	s_lshl_b64 s[52:53], s[58:59], 3
	v_mov_b32_e32 v13, s53
	v_add_co_u32_e64 v12, s[52:53], s52, v87
	v_addc_co_u32_e64 v13, s[52:53], v89, v13, s[52:53]
	v_cmp_lt_u32_e64 s[52:53], v84, v101
	s_and_saveexec_b64 s[60:61], s[52:53]
	s_xor_b64 s[52:53], exec, s[60:61]
	s_cbranch_execnz .LBB1462_483
; %bb.449:                              ;   in Loop: Header=BB1462_399 Depth=2
	s_or_b64 exec, exec, s[52:53]
	v_cmp_lt_u32_e64 s[52:53], v91, v101
	s_and_saveexec_b64 s[60:61], s[52:53]
	s_cbranch_execnz .LBB1462_484
.LBB1462_450:                           ;   in Loop: Header=BB1462_399 Depth=2
	s_or_b64 exec, exec, s[60:61]
	v_cmp_lt_u32_e64 s[52:53], v92, v101
	s_and_saveexec_b64 s[60:61], s[52:53]
	s_cbranch_execnz .LBB1462_485
.LBB1462_451:                           ;   in Loop: Header=BB1462_399 Depth=2
	s_or_b64 exec, exec, s[60:61]
	v_cmp_lt_u32_e64 s[52:53], v93, v101
	s_and_saveexec_b64 s[60:61], s[52:53]
	s_cbranch_execnz .LBB1462_486
.LBB1462_452:                           ;   in Loop: Header=BB1462_399 Depth=2
	s_or_b64 exec, exec, s[60:61]
	v_cmp_lt_u32_e64 s[52:53], v94, v101
	s_and_saveexec_b64 s[60:61], s[52:53]
	s_cbranch_execnz .LBB1462_487
.LBB1462_453:                           ;   in Loop: Header=BB1462_399 Depth=2
	s_or_b64 exec, exec, s[60:61]
	v_cmp_lt_u32_e64 s[52:53], v95, v101
	s_and_saveexec_b64 s[60:61], s[52:53]
	s_cbranch_execnz .LBB1462_488
.LBB1462_454:                           ;   in Loop: Header=BB1462_399 Depth=2
	s_or_b64 exec, exec, s[60:61]
	v_cmp_lt_u32_e64 s[52:53], v96, v101
	s_and_saveexec_b64 s[60:61], s[52:53]
	s_cbranch_execnz .LBB1462_489
.LBB1462_455:                           ;   in Loop: Header=BB1462_399 Depth=2
	s_or_b64 exec, exec, s[60:61]
	v_cmp_lt_u32_e64 s[52:53], v97, v101
	s_and_saveexec_b64 s[60:61], s[52:53]
	s_cbranch_execnz .LBB1462_490
.LBB1462_456:                           ;   in Loop: Header=BB1462_399 Depth=2
	s_or_b64 exec, exec, s[60:61]
	s_and_saveexec_b64 s[60:61], vcc
	s_cbranch_execnz .LBB1462_491
.LBB1462_457:                           ;   in Loop: Header=BB1462_399 Depth=2
	s_or_b64 exec, exec, s[60:61]
	s_and_saveexec_b64 s[60:61], s[36:37]
	s_cbranch_execnz .LBB1462_492
.LBB1462_458:                           ;   in Loop: Header=BB1462_399 Depth=2
	s_or_b64 exec, exec, s[60:61]
	s_and_saveexec_b64 s[60:61], s[38:39]
	s_cbranch_execnz .LBB1462_493
.LBB1462_459:                           ;   in Loop: Header=BB1462_399 Depth=2
	s_or_b64 exec, exec, s[60:61]
	s_and_saveexec_b64 s[60:61], s[40:41]
	s_cbranch_execnz .LBB1462_494
.LBB1462_460:                           ;   in Loop: Header=BB1462_399 Depth=2
	s_or_b64 exec, exec, s[60:61]
	s_and_saveexec_b64 s[60:61], s[42:43]
	s_cbranch_execnz .LBB1462_495
.LBB1462_461:                           ;   in Loop: Header=BB1462_399 Depth=2
	s_or_b64 exec, exec, s[60:61]
	s_and_saveexec_b64 s[60:61], s[44:45]
	s_cbranch_execnz .LBB1462_496
.LBB1462_462:                           ;   in Loop: Header=BB1462_399 Depth=2
	s_or_b64 exec, exec, s[60:61]
	s_and_saveexec_b64 s[60:61], s[46:47]
	s_cbranch_execnz .LBB1462_497
.LBB1462_463:                           ;   in Loop: Header=BB1462_399 Depth=2
	s_or_b64 exec, exec, s[60:61]
	s_and_saveexec_b64 s[60:61], s[48:49]
	s_cbranch_execz .LBB1462_465
.LBB1462_464:                           ;   in Loop: Header=BB1462_399 Depth=2
	ds_read_b32 v12, v50 offset:8192
	s_waitcnt lgkmcnt(0)
	v_cmp_ne_u32_e64 s[52:53], s62, v12
	v_cndmask_b32_e64 v12, v73, v12, s[52:53]
	v_lshrrev_b32_e32 v12, s77, v12
	v_and_b32_e32 v80, s70, v12
.LBB1462_465:                           ;   in Loop: Header=BB1462_399 Depth=2
	s_or_b64 exec, exec, s[60:61]
	v_lshlrev_b32_e32 v12, 3, v103
	s_waitcnt vmcnt(0)
	s_barrier
	ds_write_b64 v12, v[28:29] offset:1024
	v_lshlrev_b32_e32 v12, 3, v31
	ds_write_b64 v12, v[26:27] offset:1024
	v_lshlrev_b32_e32 v12, 3, v19
	;; [unrolled: 2-line block ×7, first 2 shown]
	ds_write_b64 v12, v[5:6] offset:1024
	s_waitcnt lgkmcnt(0)
	s_barrier
	s_and_saveexec_b64 s[52:53], vcc
	s_cbranch_execnz .LBB1462_498
; %bb.466:                              ;   in Loop: Header=BB1462_399 Depth=2
	s_or_b64 exec, exec, s[52:53]
	s_and_saveexec_b64 s[52:53], s[36:37]
	s_cbranch_execnz .LBB1462_499
.LBB1462_467:                           ;   in Loop: Header=BB1462_399 Depth=2
	s_or_b64 exec, exec, s[52:53]
	s_and_saveexec_b64 s[36:37], s[38:39]
	s_cbranch_execnz .LBB1462_500
.LBB1462_468:                           ;   in Loop: Header=BB1462_399 Depth=2
	s_or_b64 exec, exec, s[36:37]
	s_and_saveexec_b64 s[36:37], s[40:41]
	s_cbranch_execnz .LBB1462_501
.LBB1462_469:                           ;   in Loop: Header=BB1462_399 Depth=2
	s_or_b64 exec, exec, s[36:37]
	s_and_saveexec_b64 s[36:37], s[42:43]
	s_cbranch_execnz .LBB1462_502
.LBB1462_470:                           ;   in Loop: Header=BB1462_399 Depth=2
	s_or_b64 exec, exec, s[36:37]
	s_and_saveexec_b64 s[36:37], s[44:45]
	s_cbranch_execnz .LBB1462_503
.LBB1462_471:                           ;   in Loop: Header=BB1462_399 Depth=2
	s_or_b64 exec, exec, s[36:37]
	s_and_saveexec_b64 s[36:37], s[46:47]
	s_cbranch_execnz .LBB1462_504
.LBB1462_472:                           ;   in Loop: Header=BB1462_399 Depth=2
	s_or_b64 exec, exec, s[36:37]
	s_and_saveexec_b64 s[36:37], s[48:49]
	s_cbranch_execz .LBB1462_474
.LBB1462_473:                           ;   in Loop: Header=BB1462_399 Depth=2
	v_lshlrev_b32_e32 v12, 2, v80
	ds_read_b32 v14, v12
	v_add_u32_e32 v12, v50, v32
	ds_read_b64 v[12:13], v12 offset:15360
	v_mov_b32_e32 v15, v3
	v_mov_b32_e32 v16, s73
	s_waitcnt lgkmcnt(1)
	v_add_u32_e32 v14, v14, v41
	v_lshlrev_b64 v[14:15], 3, v[14:15]
	v_add_co_u32_e32 v14, vcc, s72, v14
	v_addc_co_u32_e32 v15, vcc, v16, v15, vcc
	s_waitcnt lgkmcnt(0)
	global_store_dwordx2 v[14:15], v[12:13], off
.LBB1462_474:                           ;   in Loop: Header=BB1462_399 Depth=2
	s_or_b64 exec, exec, s[36:37]
	s_waitcnt vmcnt(0)
	s_barrier
	s_and_saveexec_b64 s[36:37], s[4:5]
	s_cbranch_execz .LBB1462_398
; %bb.475:                              ;   in Loop: Header=BB1462_399 Depth=2
	ds_read_b32 v12, v32
	s_waitcnt lgkmcnt(0)
	v_add_u32_e32 v4, v12, v4
	ds_write_b32 v32, v4
	s_branch .LBB1462_398
.LBB1462_476:                           ;   in Loop: Header=BB1462_399 Depth=2
	ds_read_b32 v12, v50 offset:1024
	v_mov_b32_e32 v13, v3
	v_mov_b32_e32 v102, s67
	s_waitcnt lgkmcnt(0)
	v_cmp_ne_u32_e64 s[36:37], s62, v12
	v_cndmask_b32_e64 v30, v73, v12, s[36:37]
	v_lshrrev_b32_e32 v30, s77, v30
	v_and_b32_e32 v30, s70, v30
	v_lshlrev_b32_e32 v30, 2, v30
	ds_read_b32 v30, v30
	v_cmp_lt_i32_e64 s[36:37], -1, v12
	v_cndmask_b32_e64 v104, v73, -1, s[36:37]
	v_xor_b32_e32 v104, v104, v12
	s_waitcnt lgkmcnt(0)
	v_add_u32_e32 v12, v30, v0
	v_lshlrev_b64 v[12:13], 2, v[12:13]
	v_add_co_u32_e64 v12, s[36:37], s66, v12
	v_addc_co_u32_e64 v13, s[36:37], v102, v13, s[36:37]
	global_store_dword v[12:13], v104, off
	s_or_b64 exec, exec, s[38:39]
	v_cmp_lt_u32_e64 s[36:37], v33, v101
	s_and_saveexec_b64 s[40:41], s[36:37]
	s_cbranch_execz .LBB1462_441
.LBB1462_477:                           ;   in Loop: Header=BB1462_399 Depth=2
	ds_read_b32 v12, v50 offset:2048
	v_mov_b32_e32 v13, v3
	v_mov_b32_e32 v102, s67
	s_waitcnt lgkmcnt(0)
	v_cmp_ne_u32_e64 s[38:39], s62, v12
	v_cndmask_b32_e64 v30, v73, v12, s[38:39]
	v_lshrrev_b32_e32 v30, s77, v30
	v_and_b32_e32 v30, s70, v30
	v_lshlrev_b32_e32 v30, 2, v30
	ds_read_b32 v30, v30
	v_cmp_lt_i32_e64 s[38:39], -1, v12
	v_cndmask_b32_e64 v104, v73, -1, s[38:39]
	v_xor_b32_e32 v104, v104, v12
	s_waitcnt lgkmcnt(0)
	v_add_u32_e32 v12, v30, v33
	v_lshlrev_b64 v[12:13], 2, v[12:13]
	v_add_co_u32_e64 v12, s[38:39], s66, v12
	v_addc_co_u32_e64 v13, s[38:39], v102, v13, s[38:39]
	global_store_dword v[12:13], v104, off
	s_or_b64 exec, exec, s[40:41]
	v_cmp_lt_u32_e64 s[38:39], v34, v101
	s_and_saveexec_b64 s[42:43], s[38:39]
	s_cbranch_execz .LBB1462_442
.LBB1462_478:                           ;   in Loop: Header=BB1462_399 Depth=2
	ds_read_b32 v12, v50 offset:3072
	v_mov_b32_e32 v13, v3
	v_mov_b32_e32 v102, s67
	s_waitcnt lgkmcnt(0)
	v_cmp_ne_u32_e64 s[40:41], s62, v12
	v_cndmask_b32_e64 v30, v73, v12, s[40:41]
	v_lshrrev_b32_e32 v30, s77, v30
	v_and_b32_e32 v30, s70, v30
	v_lshlrev_b32_e32 v30, 2, v30
	ds_read_b32 v30, v30
	v_cmp_lt_i32_e64 s[40:41], -1, v12
	v_cndmask_b32_e64 v104, v73, -1, s[40:41]
	v_xor_b32_e32 v104, v104, v12
	s_waitcnt lgkmcnt(0)
	v_add_u32_e32 v12, v30, v34
	v_lshlrev_b64 v[12:13], 2, v[12:13]
	v_add_co_u32_e64 v12, s[40:41], s66, v12
	v_addc_co_u32_e64 v13, s[40:41], v102, v13, s[40:41]
	global_store_dword v[12:13], v104, off
	s_or_b64 exec, exec, s[42:43]
	v_cmp_lt_u32_e64 s[40:41], v35, v101
	s_and_saveexec_b64 s[44:45], s[40:41]
	s_cbranch_execz .LBB1462_443
.LBB1462_479:                           ;   in Loop: Header=BB1462_399 Depth=2
	ds_read_b32 v12, v50 offset:4096
	v_mov_b32_e32 v13, v3
	v_mov_b32_e32 v102, s67
	s_waitcnt lgkmcnt(0)
	v_cmp_ne_u32_e64 s[42:43], s62, v12
	v_cndmask_b32_e64 v30, v73, v12, s[42:43]
	v_lshrrev_b32_e32 v30, s77, v30
	v_and_b32_e32 v30, s70, v30
	v_lshlrev_b32_e32 v30, 2, v30
	ds_read_b32 v30, v30
	v_cmp_lt_i32_e64 s[42:43], -1, v12
	v_cndmask_b32_e64 v104, v73, -1, s[42:43]
	v_xor_b32_e32 v104, v104, v12
	s_waitcnt lgkmcnt(0)
	v_add_u32_e32 v12, v30, v35
	v_lshlrev_b64 v[12:13], 2, v[12:13]
	v_add_co_u32_e64 v12, s[42:43], s66, v12
	v_addc_co_u32_e64 v13, s[42:43], v102, v13, s[42:43]
	global_store_dword v[12:13], v104, off
	s_or_b64 exec, exec, s[44:45]
	v_cmp_lt_u32_e64 s[42:43], v38, v101
	s_and_saveexec_b64 s[46:47], s[42:43]
	s_cbranch_execz .LBB1462_444
.LBB1462_480:                           ;   in Loop: Header=BB1462_399 Depth=2
	ds_read_b32 v12, v50 offset:5120
	v_mov_b32_e32 v13, v3
	v_mov_b32_e32 v102, s67
	s_waitcnt lgkmcnt(0)
	v_cmp_ne_u32_e64 s[44:45], s62, v12
	v_cndmask_b32_e64 v30, v73, v12, s[44:45]
	v_lshrrev_b32_e32 v30, s77, v30
	v_and_b32_e32 v30, s70, v30
	v_lshlrev_b32_e32 v30, 2, v30
	ds_read_b32 v30, v30
	v_cmp_lt_i32_e64 s[44:45], -1, v12
	v_cndmask_b32_e64 v104, v73, -1, s[44:45]
	v_xor_b32_e32 v104, v104, v12
	s_waitcnt lgkmcnt(0)
	v_add_u32_e32 v12, v30, v38
	v_lshlrev_b64 v[12:13], 2, v[12:13]
	v_add_co_u32_e64 v12, s[44:45], s66, v12
	v_addc_co_u32_e64 v13, s[44:45], v102, v13, s[44:45]
	global_store_dword v[12:13], v104, off
	s_or_b64 exec, exec, s[46:47]
	v_cmp_lt_u32_e64 s[44:45], v39, v101
	s_and_saveexec_b64 s[48:49], s[44:45]
	s_cbranch_execz .LBB1462_445
.LBB1462_481:                           ;   in Loop: Header=BB1462_399 Depth=2
	ds_read_b32 v12, v50 offset:6144
	v_mov_b32_e32 v13, v3
	v_mov_b32_e32 v102, s67
	s_waitcnt lgkmcnt(0)
	v_cmp_ne_u32_e64 s[46:47], s62, v12
	v_cndmask_b32_e64 v30, v73, v12, s[46:47]
	v_lshrrev_b32_e32 v30, s77, v30
	v_and_b32_e32 v30, s70, v30
	v_lshlrev_b32_e32 v30, 2, v30
	ds_read_b32 v30, v30
	v_cmp_lt_i32_e64 s[46:47], -1, v12
	v_cndmask_b32_e64 v104, v73, -1, s[46:47]
	v_xor_b32_e32 v104, v104, v12
	s_waitcnt lgkmcnt(0)
	v_add_u32_e32 v12, v30, v39
	v_lshlrev_b64 v[12:13], 2, v[12:13]
	v_add_co_u32_e64 v12, s[46:47], s66, v12
	v_addc_co_u32_e64 v13, s[46:47], v102, v13, s[46:47]
	global_store_dword v[12:13], v104, off
	s_or_b64 exec, exec, s[48:49]
	v_cmp_lt_u32_e64 s[46:47], v40, v101
	s_and_saveexec_b64 s[52:53], s[46:47]
	s_cbranch_execz .LBB1462_446
.LBB1462_482:                           ;   in Loop: Header=BB1462_399 Depth=2
	ds_read_b32 v12, v50 offset:7168
	v_mov_b32_e32 v13, v3
	v_mov_b32_e32 v102, s67
	s_waitcnt lgkmcnt(0)
	v_cmp_ne_u32_e64 s[48:49], s62, v12
	v_cndmask_b32_e64 v30, v73, v12, s[48:49]
	v_lshrrev_b32_e32 v30, s77, v30
	v_and_b32_e32 v30, s70, v30
	v_lshlrev_b32_e32 v30, 2, v30
	ds_read_b32 v30, v30
	v_cmp_lt_i32_e64 s[48:49], -1, v12
	v_cndmask_b32_e64 v104, v73, -1, s[48:49]
	v_xor_b32_e32 v104, v104, v12
	s_waitcnt lgkmcnt(0)
	v_add_u32_e32 v12, v30, v40
	v_lshlrev_b64 v[12:13], 2, v[12:13]
	v_add_co_u32_e64 v12, s[48:49], s66, v12
	v_addc_co_u32_e64 v13, s[48:49], v102, v13, s[48:49]
	global_store_dword v[12:13], v104, off
	s_or_b64 exec, exec, s[52:53]
	v_cmp_lt_u32_e64 s[48:49], v41, v101
	s_and_saveexec_b64 s[60:61], s[48:49]
	s_cbranch_execnz .LBB1462_447
	s_branch .LBB1462_448
.LBB1462_483:                           ;   in Loop: Header=BB1462_399 Depth=2
	global_load_dwordx2 v[28:29], v[12:13], off
	s_or_b64 exec, exec, s[52:53]
	v_cmp_lt_u32_e64 s[52:53], v91, v101
	s_and_saveexec_b64 s[60:61], s[52:53]
	s_cbranch_execz .LBB1462_450
.LBB1462_484:                           ;   in Loop: Header=BB1462_399 Depth=2
	global_load_dwordx2 v[26:27], v[12:13], off offset:512
	s_or_b64 exec, exec, s[60:61]
	v_cmp_lt_u32_e64 s[52:53], v92, v101
	s_and_saveexec_b64 s[60:61], s[52:53]
	s_cbranch_execz .LBB1462_451
.LBB1462_485:                           ;   in Loop: Header=BB1462_399 Depth=2
	global_load_dwordx2 v[24:25], v[12:13], off offset:1024
	s_or_b64 exec, exec, s[60:61]
	v_cmp_lt_u32_e64 s[52:53], v93, v101
	s_and_saveexec_b64 s[60:61], s[52:53]
	s_cbranch_execz .LBB1462_452
.LBB1462_486:                           ;   in Loop: Header=BB1462_399 Depth=2
	global_load_dwordx2 v[22:23], v[12:13], off offset:1536
	s_or_b64 exec, exec, s[60:61]
	v_cmp_lt_u32_e64 s[52:53], v94, v101
	s_and_saveexec_b64 s[60:61], s[52:53]
	s_cbranch_execz .LBB1462_453
.LBB1462_487:                           ;   in Loop: Header=BB1462_399 Depth=2
	global_load_dwordx2 v[20:21], v[12:13], off offset:2048
	s_or_b64 exec, exec, s[60:61]
	v_cmp_lt_u32_e64 s[52:53], v95, v101
	s_and_saveexec_b64 s[60:61], s[52:53]
	s_cbranch_execz .LBB1462_454
.LBB1462_488:                           ;   in Loop: Header=BB1462_399 Depth=2
	global_load_dwordx2 v[9:10], v[12:13], off offset:2560
	s_or_b64 exec, exec, s[60:61]
	v_cmp_lt_u32_e64 s[52:53], v96, v101
	s_and_saveexec_b64 s[60:61], s[52:53]
	s_cbranch_execz .LBB1462_455
.LBB1462_489:                           ;   in Loop: Header=BB1462_399 Depth=2
	global_load_dwordx2 v[7:8], v[12:13], off offset:3072
	s_or_b64 exec, exec, s[60:61]
	v_cmp_lt_u32_e64 s[52:53], v97, v101
	s_and_saveexec_b64 s[60:61], s[52:53]
	s_cbranch_execz .LBB1462_456
.LBB1462_490:                           ;   in Loop: Header=BB1462_399 Depth=2
	global_load_dwordx2 v[5:6], v[12:13], off offset:3584
	s_or_b64 exec, exec, s[60:61]
	s_and_saveexec_b64 s[60:61], vcc
	s_cbranch_execz .LBB1462_457
.LBB1462_491:                           ;   in Loop: Header=BB1462_399 Depth=2
	ds_read_b32 v12, v50 offset:1024
	s_waitcnt lgkmcnt(0)
	v_cmp_ne_u32_e64 s[52:53], s62, v12
	v_cndmask_b32_e64 v12, v73, v12, s[52:53]
	v_lshrrev_b32_e32 v12, s77, v12
	v_and_b32_e32 v90, s70, v12
	s_or_b64 exec, exec, s[60:61]
	s_and_saveexec_b64 s[60:61], s[36:37]
	s_cbranch_execz .LBB1462_458
.LBB1462_492:                           ;   in Loop: Header=BB1462_399 Depth=2
	ds_read_b32 v12, v50 offset:2048
	s_waitcnt lgkmcnt(0)
	v_cmp_ne_u32_e64 s[52:53], s62, v12
	v_cndmask_b32_e64 v12, v73, v12, s[52:53]
	v_lshrrev_b32_e32 v12, s77, v12
	v_and_b32_e32 v88, s70, v12
	s_or_b64 exec, exec, s[60:61]
	s_and_saveexec_b64 s[60:61], s[38:39]
	s_cbranch_execz .LBB1462_459
.LBB1462_493:                           ;   in Loop: Header=BB1462_399 Depth=2
	ds_read_b32 v12, v50 offset:3072
	s_waitcnt lgkmcnt(0)
	v_cmp_ne_u32_e64 s[52:53], s62, v12
	v_cndmask_b32_e64 v12, v73, v12, s[52:53]
	v_lshrrev_b32_e32 v12, s77, v12
	v_and_b32_e32 v86, s70, v12
	s_or_b64 exec, exec, s[60:61]
	s_and_saveexec_b64 s[60:61], s[40:41]
	s_cbranch_execz .LBB1462_460
.LBB1462_494:                           ;   in Loop: Header=BB1462_399 Depth=2
	ds_read_b32 v12, v50 offset:4096
	s_waitcnt lgkmcnt(0)
	v_cmp_ne_u32_e64 s[52:53], s62, v12
	v_cndmask_b32_e64 v12, v73, v12, s[52:53]
	v_lshrrev_b32_e32 v12, s77, v12
	v_and_b32_e32 v85, s70, v12
	s_or_b64 exec, exec, s[60:61]
	s_and_saveexec_b64 s[60:61], s[42:43]
	s_cbranch_execz .LBB1462_461
.LBB1462_495:                           ;   in Loop: Header=BB1462_399 Depth=2
	ds_read_b32 v12, v50 offset:5120
	s_waitcnt lgkmcnt(0)
	v_cmp_ne_u32_e64 s[52:53], s62, v12
	v_cndmask_b32_e64 v12, v73, v12, s[52:53]
	v_lshrrev_b32_e32 v12, s77, v12
	v_and_b32_e32 v83, s70, v12
	s_or_b64 exec, exec, s[60:61]
	s_and_saveexec_b64 s[60:61], s[44:45]
	s_cbranch_execz .LBB1462_462
.LBB1462_496:                           ;   in Loop: Header=BB1462_399 Depth=2
	ds_read_b32 v12, v50 offset:6144
	s_waitcnt lgkmcnt(0)
	v_cmp_ne_u32_e64 s[52:53], s62, v12
	v_cndmask_b32_e64 v12, v73, v12, s[52:53]
	v_lshrrev_b32_e32 v12, s77, v12
	v_and_b32_e32 v82, s70, v12
	s_or_b64 exec, exec, s[60:61]
	s_and_saveexec_b64 s[60:61], s[46:47]
	s_cbranch_execz .LBB1462_463
.LBB1462_497:                           ;   in Loop: Header=BB1462_399 Depth=2
	ds_read_b32 v12, v50 offset:7168
	s_waitcnt lgkmcnt(0)
	v_cmp_ne_u32_e64 s[52:53], s62, v12
	v_cndmask_b32_e64 v12, v73, v12, s[52:53]
	v_lshrrev_b32_e32 v12, s77, v12
	v_and_b32_e32 v81, s70, v12
	s_or_b64 exec, exec, s[60:61]
	s_and_saveexec_b64 s[60:61], s[48:49]
	s_cbranch_execnz .LBB1462_464
	s_branch .LBB1462_465
.LBB1462_498:                           ;   in Loop: Header=BB1462_399 Depth=2
	v_lshlrev_b32_e32 v12, 2, v90
	ds_read_b32 v14, v12
	v_add_u32_e32 v12, v50, v32
	ds_read_b64 v[12:13], v12 offset:1024
	v_mov_b32_e32 v15, v3
	v_mov_b32_e32 v16, s73
	s_waitcnt lgkmcnt(1)
	v_add_u32_e32 v14, v14, v0
	v_lshlrev_b64 v[14:15], 3, v[14:15]
	v_add_co_u32_e32 v14, vcc, s72, v14
	v_addc_co_u32_e32 v15, vcc, v16, v15, vcc
	s_waitcnt lgkmcnt(0)
	global_store_dwordx2 v[14:15], v[12:13], off
	s_or_b64 exec, exec, s[52:53]
	s_and_saveexec_b64 s[52:53], s[36:37]
	s_cbranch_execz .LBB1462_467
.LBB1462_499:                           ;   in Loop: Header=BB1462_399 Depth=2
	v_lshlrev_b32_e32 v12, 2, v88
	ds_read_b32 v14, v12
	v_add_u32_e32 v12, v50, v32
	ds_read_b64 v[12:13], v12 offset:3072
	v_mov_b32_e32 v15, v3
	v_mov_b32_e32 v16, s73
	s_waitcnt lgkmcnt(1)
	v_add_u32_e32 v14, v14, v33
	v_lshlrev_b64 v[14:15], 3, v[14:15]
	v_add_co_u32_e32 v14, vcc, s72, v14
	v_addc_co_u32_e32 v15, vcc, v16, v15, vcc
	s_waitcnt lgkmcnt(0)
	global_store_dwordx2 v[14:15], v[12:13], off
	s_or_b64 exec, exec, s[52:53]
	s_and_saveexec_b64 s[36:37], s[38:39]
	s_cbranch_execz .LBB1462_468
.LBB1462_500:                           ;   in Loop: Header=BB1462_399 Depth=2
	v_lshlrev_b32_e32 v12, 2, v86
	ds_read_b32 v14, v12
	v_add_u32_e32 v12, v50, v32
	ds_read_b64 v[12:13], v12 offset:5120
	v_mov_b32_e32 v15, v3
	v_mov_b32_e32 v16, s73
	s_waitcnt lgkmcnt(1)
	v_add_u32_e32 v14, v14, v34
	v_lshlrev_b64 v[14:15], 3, v[14:15]
	v_add_co_u32_e32 v14, vcc, s72, v14
	v_addc_co_u32_e32 v15, vcc, v16, v15, vcc
	s_waitcnt lgkmcnt(0)
	global_store_dwordx2 v[14:15], v[12:13], off
	s_or_b64 exec, exec, s[36:37]
	s_and_saveexec_b64 s[36:37], s[40:41]
	s_cbranch_execz .LBB1462_469
.LBB1462_501:                           ;   in Loop: Header=BB1462_399 Depth=2
	v_lshlrev_b32_e32 v12, 2, v85
	ds_read_b32 v14, v12
	v_add_u32_e32 v12, v50, v32
	ds_read_b64 v[12:13], v12 offset:7168
	v_mov_b32_e32 v15, v3
	v_mov_b32_e32 v16, s73
	s_waitcnt lgkmcnt(1)
	v_add_u32_e32 v14, v14, v35
	v_lshlrev_b64 v[14:15], 3, v[14:15]
	v_add_co_u32_e32 v14, vcc, s72, v14
	v_addc_co_u32_e32 v15, vcc, v16, v15, vcc
	s_waitcnt lgkmcnt(0)
	global_store_dwordx2 v[14:15], v[12:13], off
	s_or_b64 exec, exec, s[36:37]
	s_and_saveexec_b64 s[36:37], s[42:43]
	s_cbranch_execz .LBB1462_470
.LBB1462_502:                           ;   in Loop: Header=BB1462_399 Depth=2
	v_lshlrev_b32_e32 v12, 2, v83
	ds_read_b32 v14, v12
	v_add_u32_e32 v12, v50, v32
	ds_read_b64 v[12:13], v12 offset:9216
	v_mov_b32_e32 v15, v3
	v_mov_b32_e32 v16, s73
	s_waitcnt lgkmcnt(1)
	v_add_u32_e32 v14, v14, v38
	v_lshlrev_b64 v[14:15], 3, v[14:15]
	v_add_co_u32_e32 v14, vcc, s72, v14
	v_addc_co_u32_e32 v15, vcc, v16, v15, vcc
	s_waitcnt lgkmcnt(0)
	global_store_dwordx2 v[14:15], v[12:13], off
	s_or_b64 exec, exec, s[36:37]
	s_and_saveexec_b64 s[36:37], s[44:45]
	s_cbranch_execz .LBB1462_471
.LBB1462_503:                           ;   in Loop: Header=BB1462_399 Depth=2
	v_lshlrev_b32_e32 v12, 2, v82
	ds_read_b32 v14, v12
	v_add_u32_e32 v12, v50, v32
	ds_read_b64 v[12:13], v12 offset:11264
	v_mov_b32_e32 v15, v3
	v_mov_b32_e32 v16, s73
	s_waitcnt lgkmcnt(1)
	v_add_u32_e32 v14, v14, v39
	v_lshlrev_b64 v[14:15], 3, v[14:15]
	v_add_co_u32_e32 v14, vcc, s72, v14
	v_addc_co_u32_e32 v15, vcc, v16, v15, vcc
	s_waitcnt lgkmcnt(0)
	global_store_dwordx2 v[14:15], v[12:13], off
	s_or_b64 exec, exec, s[36:37]
	s_and_saveexec_b64 s[36:37], s[46:47]
	s_cbranch_execz .LBB1462_472
.LBB1462_504:                           ;   in Loop: Header=BB1462_399 Depth=2
	v_lshlrev_b32_e32 v12, 2, v81
	ds_read_b32 v14, v12
	v_add_u32_e32 v12, v50, v32
	ds_read_b64 v[12:13], v12 offset:13312
	v_mov_b32_e32 v15, v3
	v_mov_b32_e32 v16, s73
	s_waitcnt lgkmcnt(1)
	v_add_u32_e32 v14, v14, v40
	v_lshlrev_b64 v[14:15], 3, v[14:15]
	v_add_co_u32_e32 v14, vcc, s72, v14
	v_addc_co_u32_e32 v15, vcc, v16, v15, vcc
	s_waitcnt lgkmcnt(0)
	global_store_dwordx2 v[14:15], v[12:13], off
	s_or_b64 exec, exec, s[36:37]
	s_and_saveexec_b64 s[36:37], s[48:49]
	s_cbranch_execnz .LBB1462_473
	s_branch .LBB1462_474
.LBB1462_505:                           ;   in Loop: Header=BB1462_399 Depth=2
	global_load_dword v12, v[30:31], off
	v_mov_b32_e32 v13, v11
	v_mov_b32_e32 v14, v11
	v_mov_b32_e32 v15, v11
	v_mov_b32_e32 v16, v11
	v_mov_b32_e32 v17, v11
	v_mov_b32_e32 v18, v11
	v_mov_b32_e32 v19, v11
	s_or_b64 exec, exec, s[36:37]
	v_cmp_gt_u32_e32 vcc, s71, v91
	s_and_saveexec_b64 s[36:37], vcc
	s_cbranch_execz .LBB1462_404
.LBB1462_506:                           ;   in Loop: Header=BB1462_399 Depth=2
	global_load_dword v13, v[30:31], off offset:256
	s_or_b64 exec, exec, s[36:37]
	v_cmp_gt_u32_e32 vcc, s71, v92
	s_and_saveexec_b64 s[36:37], vcc
	s_cbranch_execz .LBB1462_405
.LBB1462_507:                           ;   in Loop: Header=BB1462_399 Depth=2
	global_load_dword v14, v[30:31], off offset:512
	s_or_b64 exec, exec, s[36:37]
	v_cmp_gt_u32_e32 vcc, s71, v93
	s_and_saveexec_b64 s[36:37], vcc
	s_cbranch_execz .LBB1462_406
.LBB1462_508:                           ;   in Loop: Header=BB1462_399 Depth=2
	global_load_dword v15, v[30:31], off offset:768
	s_or_b64 exec, exec, s[36:37]
	v_cmp_gt_u32_e32 vcc, s71, v94
	s_and_saveexec_b64 s[36:37], vcc
	s_cbranch_execz .LBB1462_407
.LBB1462_509:                           ;   in Loop: Header=BB1462_399 Depth=2
	global_load_dword v16, v[30:31], off offset:1024
	s_or_b64 exec, exec, s[36:37]
	v_cmp_gt_u32_e32 vcc, s71, v95
	s_and_saveexec_b64 s[36:37], vcc
	s_cbranch_execz .LBB1462_408
.LBB1462_510:                           ;   in Loop: Header=BB1462_399 Depth=2
	global_load_dword v17, v[30:31], off offset:1280
	s_or_b64 exec, exec, s[36:37]
	v_cmp_gt_u32_e32 vcc, s71, v96
	s_and_saveexec_b64 s[36:37], vcc
	s_cbranch_execnz .LBB1462_409
	s_branch .LBB1462_410
.LBB1462_511:                           ;   in Loop: Header=BB1462_17 Depth=1
	s_waitcnt lgkmcnt(0)
	s_barrier
	s_mov_b64 s[16:17], 0
.LBB1462_512:                           ;   in Loop: Header=BB1462_17 Depth=1
	s_and_b64 vcc, exec, s[16:17]
	s_cbranch_vccz .LBB1462_16
; %bb.513:                              ;   in Loop: Header=BB1462_17 Depth=1
	v_mov_b32_e32 v10, v3
	v_mov_b32_e32 v4, v3
	;; [unrolled: 1-line block ×8, first 2 shown]
	s_mov_b32 s20, s79
	s_mov_b32 s58, s51
	v_mov_b32_e32 v18, v9
	v_mov_b32_e32 v17, v8
	;; [unrolled: 1-line block ×7, first 2 shown]
	s_barrier
	s_branch .LBB1462_515
.LBB1462_514:                           ;   in Loop: Header=BB1462_515 Depth=2
	s_or_b64 exec, exec, s[16:17]
	s_addk_i32 s20, 0xf800
	s_cmp_ge_u32 s21, s80
	s_mov_b32 s58, s21
	s_cbranch_scc1 .LBB1462_551
.LBB1462_515:                           ;   Parent Loop BB1462_17 Depth=1
                                        ; =>  This Inner Loop Header: Depth=2
	s_add_i32 s21, s58, 0x800
	s_cmp_gt_u32 s21, s80
	s_mov_b64 s[16:17], -1
                                        ; implicit-def: $vgpr20_vgpr21_vgpr22_vgpr23_vgpr24_vgpr25_vgpr26_vgpr27
	s_cbranch_scc1 .LBB1462_517
; %bb.516:                              ;   in Loop: Header=BB1462_515 Depth=2
	s_lshl_b64 s[16:17], s[58:59], 2
	v_mov_b32_e32 v5, s17
	v_add_co_u32_e32 v4, vcc, s16, v61
	v_addc_co_u32_e32 v5, vcc, v62, v5, vcc
	v_add_co_u32_e32 v6, vcc, 0x1000, v4
	v_addc_co_u32_e32 v7, vcc, 0, v5, vcc
	global_load_dword v20, v[4:5], off
	global_load_dword v21, v[4:5], off offset:1024
	global_load_dword v22, v[4:5], off offset:2048
	;; [unrolled: 1-line block ×3, first 2 shown]
	global_load_dword v24, v[6:7], off
	global_load_dword v25, v[6:7], off offset:1024
	global_load_dword v26, v[6:7], off offset:2048
	;; [unrolled: 1-line block ×3, first 2 shown]
	s_mov_b64 s[16:17], 0
.LBB1462_517:                           ;   in Loop: Header=BB1462_515 Depth=2
	s_andn2_b64 vcc, exec, s[16:17]
	s_movk_i32 s18, 0x800
	s_cbranch_vccnz .LBB1462_528
; %bb.518:                              ;   in Loop: Header=BB1462_515 Depth=2
	s_lshl_b64 s[16:17], s[58:59], 2
	s_add_u32 s16, s64, s16
	s_addc_u32 s17, s65, s17
	v_cmp_gt_u32_e32 vcc, s20, v0
	s_and_saveexec_b64 s[18:19], vcc
	s_cbranch_execnz .LBB1462_544
; %bb.519:                              ;   in Loop: Header=BB1462_515 Depth=2
	s_or_b64 exec, exec, s[18:19]
	v_cmp_gt_u32_e32 vcc, s20, v33
	s_and_saveexec_b64 s[18:19], vcc
	s_cbranch_execnz .LBB1462_545
.LBB1462_520:                           ;   in Loop: Header=BB1462_515 Depth=2
	s_or_b64 exec, exec, s[18:19]
	v_cmp_gt_u32_e32 vcc, s20, v34
	s_and_saveexec_b64 s[18:19], vcc
	s_cbranch_execnz .LBB1462_546
.LBB1462_521:                           ;   in Loop: Header=BB1462_515 Depth=2
	s_or_b64 exec, exec, s[18:19]
	v_cmp_gt_u32_e32 vcc, s20, v35
	s_and_saveexec_b64 s[18:19], vcc
	s_cbranch_execnz .LBB1462_547
.LBB1462_522:                           ;   in Loop: Header=BB1462_515 Depth=2
	s_or_b64 exec, exec, s[18:19]
	v_cmp_gt_u32_e32 vcc, s20, v38
	s_and_saveexec_b64 s[18:19], vcc
	s_cbranch_execnz .LBB1462_548
.LBB1462_523:                           ;   in Loop: Header=BB1462_515 Depth=2
	s_or_b64 exec, exec, s[18:19]
	v_cmp_gt_u32_e32 vcc, s20, v39
	s_and_saveexec_b64 s[18:19], vcc
	s_cbranch_execnz .LBB1462_549
.LBB1462_524:                           ;   in Loop: Header=BB1462_515 Depth=2
	s_or_b64 exec, exec, s[18:19]
	v_cmp_gt_u32_e32 vcc, s20, v40
	s_and_saveexec_b64 s[18:19], vcc
	s_cbranch_execnz .LBB1462_550
.LBB1462_525:                           ;   in Loop: Header=BB1462_515 Depth=2
	s_or_b64 exec, exec, s[18:19]
	v_cmp_gt_u32_e32 vcc, s20, v41
	s_and_saveexec_b64 s[18:19], vcc
	s_cbranch_execz .LBB1462_527
.LBB1462_526:                           ;   in Loop: Header=BB1462_515 Depth=2
	global_load_dword v19, v72, s[16:17]
.LBB1462_527:                           ;   in Loop: Header=BB1462_515 Depth=2
	s_or_b64 exec, exec, s[18:19]
	s_waitcnt vmcnt(0)
	v_mov_b32_e32 v27, v19
	s_mov_b32 s18, s20
	v_mov_b32_e32 v26, v18
	v_mov_b32_e32 v25, v17
	;; [unrolled: 1-line block ×7, first 2 shown]
.LBB1462_528:                           ;   in Loop: Header=BB1462_515 Depth=2
	s_waitcnt vmcnt(0)
	v_mov_b32_e32 v12, v20
	v_mov_b32_e32 v13, v21
	;; [unrolled: 1-line block ×8, first 2 shown]
	v_cmp_gt_u32_e32 vcc, s18, v0
	s_and_saveexec_b64 s[16:17], vcc
	s_cbranch_execnz .LBB1462_536
; %bb.529:                              ;   in Loop: Header=BB1462_515 Depth=2
	s_or_b64 exec, exec, s[16:17]
	v_cmp_gt_u32_e32 vcc, s18, v33
	s_and_saveexec_b64 s[16:17], vcc
	s_cbranch_execnz .LBB1462_537
.LBB1462_530:                           ;   in Loop: Header=BB1462_515 Depth=2
	s_or_b64 exec, exec, s[16:17]
	v_cmp_gt_u32_e32 vcc, s18, v34
	s_and_saveexec_b64 s[16:17], vcc
	s_cbranch_execnz .LBB1462_538
.LBB1462_531:                           ;   in Loop: Header=BB1462_515 Depth=2
	s_or_b64 exec, exec, s[16:17]
	v_cmp_gt_u32_e32 vcc, s18, v35
	s_and_saveexec_b64 s[16:17], vcc
	s_cbranch_execnz .LBB1462_539
.LBB1462_532:                           ;   in Loop: Header=BB1462_515 Depth=2
	s_or_b64 exec, exec, s[16:17]
	v_cmp_gt_u32_e32 vcc, s18, v38
	s_and_saveexec_b64 s[16:17], vcc
	s_cbranch_execnz .LBB1462_540
.LBB1462_533:                           ;   in Loop: Header=BB1462_515 Depth=2
	s_or_b64 exec, exec, s[16:17]
	v_cmp_gt_u32_e32 vcc, s18, v39
	s_and_saveexec_b64 s[16:17], vcc
	s_cbranch_execnz .LBB1462_541
.LBB1462_534:                           ;   in Loop: Header=BB1462_515 Depth=2
	s_or_b64 exec, exec, s[16:17]
	v_cmp_gt_u32_e32 vcc, s18, v40
	s_and_saveexec_b64 s[16:17], vcc
	s_cbranch_execnz .LBB1462_542
.LBB1462_535:                           ;   in Loop: Header=BB1462_515 Depth=2
	s_or_b64 exec, exec, s[16:17]
	v_cmp_gt_u32_e32 vcc, s18, v41
	s_and_saveexec_b64 s[16:17], vcc
	s_cbranch_execz .LBB1462_514
	s_branch .LBB1462_543
.LBB1462_536:                           ;   in Loop: Header=BB1462_515 Depth=2
	v_cmp_lt_i32_e32 vcc, -1, v12
	v_cndmask_b32_e32 v4, -1, v73, vcc
	v_xor_b32_e32 v4, v4, v12
	v_cmp_ne_u32_e32 vcc, s62, v4
	v_cndmask_b32_e32 v4, v73, v4, vcc
	v_lshrrev_b32_e32 v4, s77, v4
	v_and_b32_e32 v4, s70, v4
	v_lshl_or_b32 v4, v4, 4, v42
	ds_add_u32 v4, v67
	s_or_b64 exec, exec, s[16:17]
	v_cmp_gt_u32_e32 vcc, s18, v33
	s_and_saveexec_b64 s[16:17], vcc
	s_cbranch_execz .LBB1462_530
.LBB1462_537:                           ;   in Loop: Header=BB1462_515 Depth=2
	v_cmp_lt_i32_e32 vcc, -1, v13
	v_cndmask_b32_e32 v4, -1, v73, vcc
	v_xor_b32_e32 v4, v4, v13
	v_cmp_ne_u32_e32 vcc, s62, v4
	v_cndmask_b32_e32 v4, v73, v4, vcc
	v_lshrrev_b32_e32 v4, s77, v4
	v_and_b32_e32 v4, s70, v4
	v_lshl_or_b32 v4, v4, 4, v42
	ds_add_u32 v4, v67
	s_or_b64 exec, exec, s[16:17]
	v_cmp_gt_u32_e32 vcc, s18, v34
	s_and_saveexec_b64 s[16:17], vcc
	s_cbranch_execz .LBB1462_531
.LBB1462_538:                           ;   in Loop: Header=BB1462_515 Depth=2
	v_cmp_lt_i32_e32 vcc, -1, v14
	v_cndmask_b32_e32 v4, -1, v73, vcc
	v_xor_b32_e32 v4, v4, v14
	v_cmp_ne_u32_e32 vcc, s62, v4
	v_cndmask_b32_e32 v4, v73, v4, vcc
	v_lshrrev_b32_e32 v4, s77, v4
	v_and_b32_e32 v4, s70, v4
	v_lshl_or_b32 v4, v4, 4, v42
	ds_add_u32 v4, v67
	s_or_b64 exec, exec, s[16:17]
	v_cmp_gt_u32_e32 vcc, s18, v35
	s_and_saveexec_b64 s[16:17], vcc
	s_cbranch_execz .LBB1462_532
.LBB1462_539:                           ;   in Loop: Header=BB1462_515 Depth=2
	v_cmp_lt_i32_e32 vcc, -1, v15
	v_cndmask_b32_e32 v4, -1, v73, vcc
	v_xor_b32_e32 v4, v4, v15
	v_cmp_ne_u32_e32 vcc, s62, v4
	v_cndmask_b32_e32 v4, v73, v4, vcc
	v_lshrrev_b32_e32 v4, s77, v4
	v_and_b32_e32 v4, s70, v4
	v_lshl_or_b32 v4, v4, 4, v42
	ds_add_u32 v4, v67
	s_or_b64 exec, exec, s[16:17]
	v_cmp_gt_u32_e32 vcc, s18, v38
	s_and_saveexec_b64 s[16:17], vcc
	s_cbranch_execz .LBB1462_533
.LBB1462_540:                           ;   in Loop: Header=BB1462_515 Depth=2
	v_cmp_lt_i32_e32 vcc, -1, v16
	v_cndmask_b32_e32 v4, -1, v73, vcc
	v_xor_b32_e32 v4, v4, v16
	v_cmp_ne_u32_e32 vcc, s62, v4
	v_cndmask_b32_e32 v4, v73, v4, vcc
	v_lshrrev_b32_e32 v4, s77, v4
	v_and_b32_e32 v4, s70, v4
	v_lshl_or_b32 v4, v4, 4, v42
	ds_add_u32 v4, v67
	s_or_b64 exec, exec, s[16:17]
	v_cmp_gt_u32_e32 vcc, s18, v39
	s_and_saveexec_b64 s[16:17], vcc
	s_cbranch_execz .LBB1462_534
.LBB1462_541:                           ;   in Loop: Header=BB1462_515 Depth=2
	v_cmp_lt_i32_e32 vcc, -1, v17
	v_cndmask_b32_e32 v4, -1, v73, vcc
	v_xor_b32_e32 v4, v4, v17
	v_cmp_ne_u32_e32 vcc, s62, v4
	v_cndmask_b32_e32 v4, v73, v4, vcc
	v_lshrrev_b32_e32 v4, s77, v4
	v_and_b32_e32 v4, s70, v4
	v_lshl_or_b32 v4, v4, 4, v42
	ds_add_u32 v4, v67
	s_or_b64 exec, exec, s[16:17]
	v_cmp_gt_u32_e32 vcc, s18, v40
	s_and_saveexec_b64 s[16:17], vcc
	s_cbranch_execz .LBB1462_535
.LBB1462_542:                           ;   in Loop: Header=BB1462_515 Depth=2
	v_cmp_lt_i32_e32 vcc, -1, v18
	v_cndmask_b32_e32 v4, -1, v73, vcc
	v_xor_b32_e32 v4, v4, v18
	v_cmp_ne_u32_e32 vcc, s62, v4
	v_cndmask_b32_e32 v4, v73, v4, vcc
	v_lshrrev_b32_e32 v4, s77, v4
	v_and_b32_e32 v4, s70, v4
	v_lshl_or_b32 v4, v4, 4, v42
	ds_add_u32 v4, v67
	s_or_b64 exec, exec, s[16:17]
	v_cmp_gt_u32_e32 vcc, s18, v41
	s_and_saveexec_b64 s[16:17], vcc
	s_cbranch_execz .LBB1462_514
.LBB1462_543:                           ;   in Loop: Header=BB1462_515 Depth=2
	v_cmp_lt_i32_e32 vcc, -1, v19
	v_cndmask_b32_e32 v4, -1, v73, vcc
	v_xor_b32_e32 v4, v4, v19
	v_cmp_ne_u32_e32 vcc, s62, v4
	v_cndmask_b32_e32 v4, v73, v4, vcc
	v_lshrrev_b32_e32 v4, s77, v4
	v_and_b32_e32 v4, s70, v4
	v_lshl_or_b32 v4, v4, 4, v42
	ds_add_u32 v4, v67
	s_branch .LBB1462_514
.LBB1462_544:                           ;   in Loop: Header=BB1462_515 Depth=2
	global_load_dword v12, v68, s[16:17]
	s_or_b64 exec, exec, s[18:19]
	v_cmp_gt_u32_e32 vcc, s20, v33
	s_and_saveexec_b64 s[18:19], vcc
	s_cbranch_execz .LBB1462_520
.LBB1462_545:                           ;   in Loop: Header=BB1462_515 Depth=2
	global_load_dword v13, v68, s[16:17] offset:1024
	s_or_b64 exec, exec, s[18:19]
	v_cmp_gt_u32_e32 vcc, s20, v34
	s_and_saveexec_b64 s[18:19], vcc
	s_cbranch_execz .LBB1462_521
.LBB1462_546:                           ;   in Loop: Header=BB1462_515 Depth=2
	global_load_dword v14, v68, s[16:17] offset:2048
	s_or_b64 exec, exec, s[18:19]
	v_cmp_gt_u32_e32 vcc, s20, v35
	s_and_saveexec_b64 s[18:19], vcc
	s_cbranch_execz .LBB1462_522
.LBB1462_547:                           ;   in Loop: Header=BB1462_515 Depth=2
	global_load_dword v15, v68, s[16:17] offset:3072
	s_or_b64 exec, exec, s[18:19]
	v_cmp_gt_u32_e32 vcc, s20, v38
	s_and_saveexec_b64 s[18:19], vcc
	s_cbranch_execz .LBB1462_523
.LBB1462_548:                           ;   in Loop: Header=BB1462_515 Depth=2
	global_load_dword v16, v69, s[16:17]
	s_or_b64 exec, exec, s[18:19]
	v_cmp_gt_u32_e32 vcc, s20, v39
	s_and_saveexec_b64 s[18:19], vcc
	s_cbranch_execz .LBB1462_524
.LBB1462_549:                           ;   in Loop: Header=BB1462_515 Depth=2
	global_load_dword v17, v70, s[16:17]
	s_or_b64 exec, exec, s[18:19]
	v_cmp_gt_u32_e32 vcc, s20, v40
	s_and_saveexec_b64 s[18:19], vcc
	s_cbranch_execz .LBB1462_525
.LBB1462_550:                           ;   in Loop: Header=BB1462_515 Depth=2
	global_load_dword v18, v71, s[16:17]
	s_or_b64 exec, exec, s[18:19]
	v_cmp_gt_u32_e32 vcc, s20, v41
	s_and_saveexec_b64 s[18:19], vcc
	s_cbranch_execnz .LBB1462_526
	s_branch .LBB1462_527
.LBB1462_551:                           ;   in Loop: Header=BB1462_17 Depth=1
	v_mov_b32_e32 v4, 0
	s_waitcnt lgkmcnt(0)
	s_barrier
	s_and_saveexec_b64 s[16:17], s[4:5]
	s_cbranch_execz .LBB1462_553
; %bb.552:                              ;   in Loop: Header=BB1462_17 Depth=1
	ds_read2_b64 v[4:7], v43 offset1:1
	s_waitcnt lgkmcnt(0)
	v_add_u32_e32 v4, v5, v4
	v_add3_u32 v4, v4, v6, v7
.LBB1462_553:                           ;   in Loop: Header=BB1462_17 Depth=1
	s_or_b64 exec, exec, s[16:17]
	s_nop 0
	v_mov_b32_dpp v5, v4 row_shr:1 row_mask:0xf bank_mask:0xf
	v_cmp_eq_u32_e64 s[16:17], 0, v75
	v_cndmask_b32_e64 v5, v5, 0, s[16:17]
	v_add_u32_e32 v4, v5, v4
	v_cmp_lt_u32_e64 s[18:19], 1, v75
	v_cmp_lt_u32_e64 s[20:21], 3, v75
	v_mov_b32_dpp v5, v4 row_shr:2 row_mask:0xf bank_mask:0xf
	v_cndmask_b32_e64 v5, 0, v5, s[18:19]
	v_add_u32_e32 v4, v4, v5
	v_cmp_lt_u32_e64 s[22:23], 7, v75
	v_cmp_lt_u32_e64 s[26:27], 31, v74
	v_mov_b32_dpp v5, v4 row_shr:4 row_mask:0xf bank_mask:0xf
	v_cndmask_b32_e64 v5, 0, v5, s[20:21]
	v_add_u32_e32 v4, v4, v5
	v_cmp_eq_u32_e64 s[24:25], 0, v77
	s_nop 0
	v_mov_b32_dpp v5, v4 row_shr:8 row_mask:0xf bank_mask:0xf
	v_cndmask_b32_e64 v5, 0, v5, s[22:23]
	v_add_u32_e32 v4, v4, v5
	s_nop 1
	v_mov_b32_dpp v5, v4 row_bcast:15 row_mask:0xf bank_mask:0xf
	v_and_b32_e32 v5, v76, v5
	v_add_u32_e32 v4, v4, v5
	s_nop 1
	v_mov_b32_dpp v5, v4 row_bcast:31 row_mask:0xf bank_mask:0xf
	v_cndmask_b32_e64 v5, 0, v5, s[26:27]
	v_add_u32_e32 v4, v4, v5
	s_and_saveexec_b64 s[28:29], s[6:7]
; %bb.554:                              ;   in Loop: Header=BB1462_17 Depth=1
	ds_write_b32 v45, v4
; %bb.555:                              ;   in Loop: Header=BB1462_17 Depth=1
	s_or_b64 exec, exec, s[28:29]
	s_waitcnt lgkmcnt(0)
	s_barrier
	s_and_saveexec_b64 s[28:29], s[8:9]
	s_cbranch_execz .LBB1462_557
; %bb.556:                              ;   in Loop: Header=BB1462_17 Depth=1
	ds_read_b32 v5, v46
	v_cmp_ne_u32_e32 vcc, 0, v78
	s_waitcnt lgkmcnt(0)
	v_mov_b32_dpp v6, v5 row_shr:1 row_mask:0xf bank_mask:0xf
	v_cndmask_b32_e32 v6, 0, v6, vcc
	v_add_u32_e32 v5, v6, v5
	v_cmp_lt_u32_e32 vcc, 1, v78
	s_nop 0
	v_mov_b32_dpp v6, v5 row_shr:2 row_mask:0xf bank_mask:0xf
	v_cndmask_b32_e32 v6, 0, v6, vcc
	v_add_u32_e32 v5, v5, v6
	ds_write_b32 v46, v5
.LBB1462_557:                           ;   in Loop: Header=BB1462_17 Depth=1
	s_or_b64 exec, exec, s[28:29]
	v_mov_b32_e32 v5, 0
	s_waitcnt lgkmcnt(0)
	s_barrier
	s_and_saveexec_b64 s[28:29], s[10:11]
; %bb.558:                              ;   in Loop: Header=BB1462_17 Depth=1
	ds_read_b32 v5, v47
; %bb.559:                              ;   in Loop: Header=BB1462_17 Depth=1
	s_or_b64 exec, exec, s[28:29]
	v_subrev_co_u32_e64 v6, s[28:29], 1, v74
	v_and_b32_e32 v7, 64, v74
	v_cmp_lt_i32_e32 vcc, v6, v7
	v_cndmask_b32_e32 v6, v6, v74, vcc
	s_waitcnt lgkmcnt(0)
	v_add_u32_e32 v4, v5, v4
	v_lshlrev_b32_e32 v79, 2, v6
	ds_bpermute_b32 v4, v79, v4
	s_waitcnt lgkmcnt(0)
	s_barrier
	s_and_saveexec_b64 s[30:31], s[4:5]
; %bb.560:                              ;   in Loop: Header=BB1462_17 Depth=1
	v_cndmask_b32_e64 v4, v4, v5, s[28:29]
	v_add_u32_e32 v4, s51, v4
	ds_write_b32 v32, v4
; %bb.561:                              ;   in Loop: Header=BB1462_17 Depth=1
	s_or_b64 exec, exec, s[30:31]
	s_load_dwordx2 s[30:31], s[56:57], 0x0
	v_and_b32_e32 v13, 63, v74
	v_lshlrev_b32_e32 v14, 3, v13
	v_or_b32_e32 v84, v13, v48
	v_lshlrev_b32_e32 v15, 2, v13
	s_waitcnt lgkmcnt(0)
	s_cmp_lt_u32 s33, s31
	s_cselect_b32 s31, 14, 20
	s_add_u32 s34, s56, s31
	s_addc_u32 s35, s57, 0
	s_cmp_lt_u32 s50, s30
	s_cselect_b32 s30, 12, 18
	s_add_u32 s30, s56, s30
	global_load_ushort v4, v3, s[34:35]
	s_addc_u32 s31, s57, 0
	global_load_ushort v12, v3, s[30:31]
	v_add_co_u32_e32 v87, vcc, v63, v14
	v_addc_co_u32_e32 v89, vcc, 0, v64, vcc
	v_add_co_u32_e32 v98, vcc, v65, v15
	v_cmp_eq_u32_e64 s[30:31], 0, v78
	v_cmp_lt_u32_e64 s[34:35], 1, v78
	s_mov_b32 s71, s79
	v_or_b32_e32 v91, 64, v84
	v_or_b32_e32 v92, 0x80, v84
	;; [unrolled: 1-line block ×7, first 2 shown]
	v_addc_co_u32_e32 v99, vcc, 0, v66, vcc
	s_mov_b32 s58, s51
                                        ; implicit-def: $vgpr5_vgpr6
                                        ; implicit-def: $vgpr7_vgpr8
                                        ; implicit-def: $vgpr9_vgpr10
                                        ; implicit-def: $vgpr20_vgpr21
                                        ; implicit-def: $vgpr22_vgpr23
                                        ; implicit-def: $vgpr24_vgpr25
                                        ; implicit-def: $vgpr26_vgpr27
                                        ; implicit-def: $vgpr28_vgpr29
                                        ; implicit-def: $vgpr80
                                        ; implicit-def: $vgpr81
                                        ; implicit-def: $vgpr82
                                        ; implicit-def: $vgpr83
                                        ; implicit-def: $vgpr85
                                        ; implicit-def: $vgpr86
                                        ; implicit-def: $vgpr88
                                        ; implicit-def: $vgpr90
	s_waitcnt vmcnt(1)
	v_mad_u32_u24 v4, v2, v4, v1
	s_waitcnt vmcnt(0)
	v_mad_u64_u32 v[12:13], s[36:37], v4, v12, v[0:1]
	v_lshrrev_b32_e32 v4, 4, v12
	v_and_b32_e32 v100, 0xffffffc, v4
	s_branch .LBB1462_563
.LBB1462_562:                           ;   in Loop: Header=BB1462_563 Depth=2
	s_or_b64 exec, exec, s[36:37]
	s_addk_i32 s71, 0xf800
	s_cmp_lt_u32 s76, s80
	s_mov_b32 s58, s76
	s_cbranch_scc0 .LBB1462_15
.LBB1462_563:                           ;   Parent Loop BB1462_17 Depth=1
                                        ; =>  This Inner Loop Header: Depth=2
	s_add_i32 s76, s58, 0x800
	s_cmp_gt_u32 s76, s80
	s_cbranch_scc1 .LBB1462_565
; %bb.564:                              ;   in Loop: Header=BB1462_563 Depth=2
	s_lshl_b64 s[36:37], s[58:59], 2
	v_mov_b32_e32 v4, s37
	v_add_co_u32_e32 v18, vcc, s36, v98
	v_addc_co_u32_e32 v19, vcc, v99, v4, vcc
	global_load_dword v12, v[18:19], off
	global_load_dword v13, v[18:19], off offset:256
	global_load_dword v14, v[18:19], off offset:512
	;; [unrolled: 1-line block ×5, first 2 shown]
	s_nop 0
	global_load_dword v18, v[18:19], off offset:1536
	s_mov_b64 s[36:37], -1
	s_movk_i32 s40, 0x800
	s_cbranch_execz .LBB1462_566
	s_branch .LBB1462_575
.LBB1462_565:                           ;   in Loop: Header=BB1462_563 Depth=2
	s_mov_b64 s[36:37], 0
                                        ; implicit-def: $vgpr12_vgpr13_vgpr14_vgpr15_vgpr16_vgpr17_vgpr18_vgpr19
	s_movk_i32 s40, 0x800
.LBB1462_566:                           ;   in Loop: Header=BB1462_563 Depth=2
	s_lshl_b64 s[36:37], s[58:59], 2
	v_mov_b32_e32 v4, s37
	v_add_co_u32_e32 v30, vcc, s36, v98
	s_waitcnt vmcnt(6)
	v_mov_b32_e32 v12, v11
	s_waitcnt vmcnt(5)
	v_mov_b32_e32 v13, v11
	;; [unrolled: 2-line block ×7, first 2 shown]
	v_addc_co_u32_e32 v31, vcc, v99, v4, vcc
	v_mov_b32_e32 v19, v18
	v_cmp_gt_u32_e32 vcc, s71, v84
	v_mov_b32_e32 v18, v17
	v_mov_b32_e32 v17, v16
	;; [unrolled: 1-line block ×7, first 2 shown]
	s_and_saveexec_b64 s[36:37], vcc
	s_cbranch_execnz .LBB1462_669
; %bb.567:                              ;   in Loop: Header=BB1462_563 Depth=2
	s_or_b64 exec, exec, s[36:37]
	v_cmp_gt_u32_e32 vcc, s71, v91
	s_and_saveexec_b64 s[36:37], vcc
	s_cbranch_execnz .LBB1462_670
.LBB1462_568:                           ;   in Loop: Header=BB1462_563 Depth=2
	s_or_b64 exec, exec, s[36:37]
	v_cmp_gt_u32_e32 vcc, s71, v92
	s_and_saveexec_b64 s[36:37], vcc
	s_cbranch_execnz .LBB1462_671
.LBB1462_569:                           ;   in Loop: Header=BB1462_563 Depth=2
	s_or_b64 exec, exec, s[36:37]
	v_cmp_gt_u32_e32 vcc, s71, v93
	s_and_saveexec_b64 s[36:37], vcc
	s_cbranch_execnz .LBB1462_672
.LBB1462_570:                           ;   in Loop: Header=BB1462_563 Depth=2
	s_or_b64 exec, exec, s[36:37]
	v_cmp_gt_u32_e32 vcc, s71, v94
	s_and_saveexec_b64 s[36:37], vcc
	s_cbranch_execnz .LBB1462_673
.LBB1462_571:                           ;   in Loop: Header=BB1462_563 Depth=2
	s_or_b64 exec, exec, s[36:37]
	v_cmp_gt_u32_e32 vcc, s71, v95
	s_and_saveexec_b64 s[36:37], vcc
	s_cbranch_execnz .LBB1462_674
.LBB1462_572:                           ;   in Loop: Header=BB1462_563 Depth=2
	s_or_b64 exec, exec, s[36:37]
	v_cmp_gt_u32_e32 vcc, s71, v96
	s_and_saveexec_b64 s[36:37], vcc
	s_cbranch_execz .LBB1462_574
.LBB1462_573:                           ;   in Loop: Header=BB1462_563 Depth=2
	global_load_dword v18, v[30:31], off offset:1536
.LBB1462_574:                           ;   in Loop: Header=BB1462_563 Depth=2
	s_or_b64 exec, exec, s[36:37]
	s_sub_i32 s40, s80, s58
	v_cmp_gt_u32_e64 s[36:37], s71, v97
.LBB1462_575:                           ;   in Loop: Header=BB1462_563 Depth=2
	v_mov_b32_e32 v101, s71
	s_and_saveexec_b64 s[38:39], s[36:37]
	s_cbranch_execz .LBB1462_577
; %bb.576:                              ;   in Loop: Header=BB1462_563 Depth=2
	s_lshl_b64 s[36:37], s[58:59], 2
	v_mov_b32_e32 v4, s37
	v_add_co_u32_e32 v30, vcc, s36, v98
	v_addc_co_u32_e32 v31, vcc, v99, v4, vcc
	global_load_dword v19, v[30:31], off offset:1792
	v_mov_b32_e32 v101, s40
.LBB1462_577:                           ;   in Loop: Header=BB1462_563 Depth=2
	s_or_b64 exec, exec, s[38:39]
	s_waitcnt vmcnt(0)
	v_cmp_lt_i32_e32 vcc, -1, v12
	v_cndmask_b32_e32 v4, -1, v73, vcc
	v_xor_b32_e32 v102, v4, v12
	v_cmp_ne_u32_e32 vcc, s62, v102
	v_cndmask_b32_e32 v4, v73, v102, vcc
	v_lshrrev_b32_e32 v4, s77, v4
	v_and_b32_e32 v12, s70, v4
	v_and_b32_e32 v4, 1, v12
	v_add_co_u32_e32 v30, vcc, -1, v4
	v_addc_co_u32_e64 v31, s[36:37], 0, -1, vcc
	v_cmp_ne_u32_e32 vcc, 0, v4
	v_xor_b32_e32 v4, vcc_hi, v31
	v_and_b32_e32 v31, exec_hi, v4
	v_lshlrev_b32_e32 v4, 30, v12
	v_xor_b32_e32 v30, vcc_lo, v30
	v_cmp_gt_i64_e32 vcc, 0, v[3:4]
	v_not_b32_e32 v4, v4
	v_ashrrev_i32_e32 v4, 31, v4
	v_and_b32_e32 v30, exec_lo, v30
	v_xor_b32_e32 v105, vcc_hi, v4
	v_xor_b32_e32 v4, vcc_lo, v4
	v_and_b32_e32 v30, v30, v4
	v_lshlrev_b32_e32 v4, 29, v12
	v_cmp_gt_i64_e32 vcc, 0, v[3:4]
	v_not_b32_e32 v4, v4
	v_ashrrev_i32_e32 v4, 31, v4
	v_and_b32_e32 v31, v31, v105
	v_xor_b32_e32 v105, vcc_hi, v4
	v_xor_b32_e32 v4, vcc_lo, v4
	v_and_b32_e32 v30, v30, v4
	v_lshlrev_b32_e32 v4, 28, v12
	v_cmp_gt_i64_e32 vcc, 0, v[3:4]
	v_not_b32_e32 v4, v4
	v_ashrrev_i32_e32 v4, 31, v4
	v_and_b32_e32 v31, v31, v105
	;; [unrolled: 8-line block ×5, first 2 shown]
	v_xor_b32_e32 v105, vcc_hi, v4
	v_xor_b32_e32 v4, vcc_lo, v4
	v_and_b32_e32 v30, v30, v4
	v_lshlrev_b32_e32 v4, 24, v12
	v_cmp_gt_i64_e32 vcc, 0, v[3:4]
	v_not_b32_e32 v4, v4
	v_ashrrev_i32_e32 v4, 31, v4
	v_mul_u32_u24_e32 v106, 20, v12
	v_xor_b32_e32 v12, vcc_hi, v4
	v_xor_b32_e32 v4, vcc_lo, v4
	v_and_b32_e32 v31, v31, v105
	v_and_b32_e32 v30, v30, v4
	;; [unrolled: 1-line block ×3, first 2 shown]
	v_mbcnt_lo_u32_b32 v4, v30, 0
	v_mbcnt_hi_u32_b32 v105, v31, v4
	v_cmp_ne_u64_e32 vcc, 0, v[30:31]
	v_cmp_eq_u32_e64 s[36:37], 0, v105
	v_add_u32_e32 v104, 0x410, v49
	v_add_u32_e32 v103, 0x418, v49
	s_and_b64 s[38:39], vcc, s[36:37]
	v_add_u32_e32 v106, v100, v106
	ds_write2_b32 v104, v3, v3 offset1:1
	ds_write2_b32 v103, v3, v3 offset1:1
	ds_write_b32 v49, v3 offset:1056
	s_waitcnt lgkmcnt(0)
	s_barrier
	; wave barrier
	s_and_saveexec_b64 s[36:37], s[38:39]
; %bb.578:                              ;   in Loop: Header=BB1462_563 Depth=2
	v_bcnt_u32_b32 v4, v30, 0
	v_bcnt_u32_b32 v4, v31, v4
	ds_write_b32 v106, v4 offset:1040
; %bb.579:                              ;   in Loop: Header=BB1462_563 Depth=2
	s_or_b64 exec, exec, s[36:37]
	v_cmp_lt_i32_e32 vcc, -1, v13
	v_cndmask_b32_e32 v4, -1, v73, vcc
	v_xor_b32_e32 v30, v4, v13
	v_cmp_ne_u32_e32 vcc, s62, v30
	v_cndmask_b32_e32 v4, v73, v30, vcc
	v_lshrrev_b32_e32 v4, s77, v4
	v_and_b32_e32 v12, s70, v4
	v_mad_u32_u24 v4, v12, 20, v100
	; wave barrier
	ds_read_b32 v31, v4 offset:1040
	v_and_b32_e32 v4, 1, v12
	v_add_co_u32_e32 v13, vcc, -1, v4
	v_addc_co_u32_e64 v107, s[36:37], 0, -1, vcc
	v_cmp_ne_u32_e32 vcc, 0, v4
	v_xor_b32_e32 v4, vcc_hi, v107
	v_and_b32_e32 v107, exec_hi, v4
	v_lshlrev_b32_e32 v4, 30, v12
	v_xor_b32_e32 v13, vcc_lo, v13
	v_cmp_gt_i64_e32 vcc, 0, v[3:4]
	v_not_b32_e32 v4, v4
	v_ashrrev_i32_e32 v4, 31, v4
	v_and_b32_e32 v13, exec_lo, v13
	v_xor_b32_e32 v109, vcc_hi, v4
	v_xor_b32_e32 v4, vcc_lo, v4
	v_and_b32_e32 v13, v13, v4
	v_lshlrev_b32_e32 v4, 29, v12
	v_cmp_gt_i64_e32 vcc, 0, v[3:4]
	v_not_b32_e32 v4, v4
	v_ashrrev_i32_e32 v4, 31, v4
	v_and_b32_e32 v107, v107, v109
	v_xor_b32_e32 v109, vcc_hi, v4
	v_xor_b32_e32 v4, vcc_lo, v4
	v_and_b32_e32 v13, v13, v4
	v_lshlrev_b32_e32 v4, 28, v12
	v_cmp_gt_i64_e32 vcc, 0, v[3:4]
	v_not_b32_e32 v4, v4
	v_ashrrev_i32_e32 v4, 31, v4
	v_and_b32_e32 v107, v107, v109
	;; [unrolled: 8-line block ×5, first 2 shown]
	v_xor_b32_e32 v109, vcc_hi, v4
	v_xor_b32_e32 v4, vcc_lo, v4
	v_and_b32_e32 v107, v107, v109
	v_and_b32_e32 v109, v13, v4
	v_lshlrev_b32_e32 v4, 24, v12
	v_cmp_gt_i64_e32 vcc, 0, v[3:4]
	v_not_b32_e32 v4, v4
	v_ashrrev_i32_e32 v4, 31, v4
	v_mul_u32_u24_e32 v108, 20, v12
	v_xor_b32_e32 v12, vcc_hi, v4
	v_xor_b32_e32 v4, vcc_lo, v4
	v_and_b32_e32 v13, v107, v12
	v_and_b32_e32 v12, v109, v4
	v_mbcnt_lo_u32_b32 v4, v12, 0
	v_mbcnt_hi_u32_b32 v107, v13, v4
	v_cmp_ne_u64_e32 vcc, 0, v[12:13]
	v_cmp_eq_u32_e64 s[36:37], 0, v107
	s_and_b64 s[38:39], vcc, s[36:37]
	v_add_u32_e32 v110, v100, v108
	; wave barrier
	s_and_saveexec_b64 s[36:37], s[38:39]
	s_cbranch_execz .LBB1462_581
; %bb.580:                              ;   in Loop: Header=BB1462_563 Depth=2
	v_bcnt_u32_b32 v4, v12, 0
	v_bcnt_u32_b32 v4, v13, v4
	s_waitcnt lgkmcnt(0)
	v_add_u32_e32 v4, v31, v4
	ds_write_b32 v110, v4 offset:1040
.LBB1462_581:                           ;   in Loop: Header=BB1462_563 Depth=2
	s_or_b64 exec, exec, s[36:37]
	v_cmp_lt_i32_e32 vcc, -1, v14
	v_cndmask_b32_e32 v4, -1, v73, vcc
	v_xor_b32_e32 v108, v4, v14
	v_cmp_ne_u32_e32 vcc, s62, v108
	v_cndmask_b32_e32 v4, v73, v108, vcc
	v_lshrrev_b32_e32 v4, s77, v4
	v_and_b32_e32 v12, s70, v4
	v_mad_u32_u24 v4, v12, 20, v100
	; wave barrier
	ds_read_b32 v109, v4 offset:1040
	v_and_b32_e32 v4, 1, v12
	v_add_co_u32_e32 v13, vcc, -1, v4
	v_addc_co_u32_e64 v111, s[36:37], 0, -1, vcc
	v_cmp_ne_u32_e32 vcc, 0, v4
	v_xor_b32_e32 v4, vcc_hi, v111
	v_and_b32_e32 v111, exec_hi, v4
	v_lshlrev_b32_e32 v4, 30, v12
	v_xor_b32_e32 v13, vcc_lo, v13
	v_cmp_gt_i64_e32 vcc, 0, v[3:4]
	v_not_b32_e32 v4, v4
	v_ashrrev_i32_e32 v4, 31, v4
	v_and_b32_e32 v13, exec_lo, v13
	v_xor_b32_e32 v112, vcc_hi, v4
	v_xor_b32_e32 v4, vcc_lo, v4
	v_and_b32_e32 v13, v13, v4
	v_lshlrev_b32_e32 v4, 29, v12
	v_cmp_gt_i64_e32 vcc, 0, v[3:4]
	v_not_b32_e32 v4, v4
	v_ashrrev_i32_e32 v4, 31, v4
	v_and_b32_e32 v111, v111, v112
	v_xor_b32_e32 v112, vcc_hi, v4
	v_xor_b32_e32 v4, vcc_lo, v4
	v_and_b32_e32 v13, v13, v4
	v_lshlrev_b32_e32 v4, 28, v12
	v_cmp_gt_i64_e32 vcc, 0, v[3:4]
	v_not_b32_e32 v4, v4
	v_ashrrev_i32_e32 v4, 31, v4
	v_and_b32_e32 v111, v111, v112
	;; [unrolled: 8-line block ×5, first 2 shown]
	v_xor_b32_e32 v112, vcc_hi, v4
	v_xor_b32_e32 v4, vcc_lo, v4
	v_and_b32_e32 v111, v111, v112
	v_and_b32_e32 v112, v13, v4
	v_lshlrev_b32_e32 v4, 24, v12
	v_cmp_gt_i64_e32 vcc, 0, v[3:4]
	v_not_b32_e32 v4, v4
	v_ashrrev_i32_e32 v4, 31, v4
	v_mul_u32_u24_e32 v14, 20, v12
	v_xor_b32_e32 v12, vcc_hi, v4
	v_xor_b32_e32 v4, vcc_lo, v4
	v_and_b32_e32 v13, v111, v12
	v_and_b32_e32 v12, v112, v4
	v_mbcnt_lo_u32_b32 v4, v12, 0
	v_mbcnt_hi_u32_b32 v111, v13, v4
	v_cmp_ne_u64_e32 vcc, 0, v[12:13]
	v_cmp_eq_u32_e64 s[36:37], 0, v111
	s_and_b64 s[38:39], vcc, s[36:37]
	v_add_u32_e32 v114, v100, v14
	; wave barrier
	s_and_saveexec_b64 s[36:37], s[38:39]
	s_cbranch_execz .LBB1462_583
; %bb.582:                              ;   in Loop: Header=BB1462_563 Depth=2
	v_bcnt_u32_b32 v4, v12, 0
	v_bcnt_u32_b32 v4, v13, v4
	s_waitcnt lgkmcnt(0)
	v_add_u32_e32 v4, v109, v4
	ds_write_b32 v114, v4 offset:1040
.LBB1462_583:                           ;   in Loop: Header=BB1462_563 Depth=2
	s_or_b64 exec, exec, s[36:37]
	v_cmp_lt_i32_e32 vcc, -1, v15
	v_cndmask_b32_e32 v4, -1, v73, vcc
	v_xor_b32_e32 v112, v4, v15
	v_cmp_ne_u32_e32 vcc, s62, v112
	v_cndmask_b32_e32 v4, v73, v112, vcc
	v_lshrrev_b32_e32 v4, s77, v4
	v_and_b32_e32 v12, s70, v4
	v_mad_u32_u24 v4, v12, 20, v100
	; wave barrier
	ds_read_b32 v113, v4 offset:1040
	v_and_b32_e32 v4, 1, v12
	v_add_co_u32_e32 v13, vcc, -1, v4
	v_addc_co_u32_e64 v15, s[36:37], 0, -1, vcc
	v_cmp_ne_u32_e32 vcc, 0, v4
	v_xor_b32_e32 v4, vcc_hi, v15
	v_and_b32_e32 v15, exec_hi, v4
	v_lshlrev_b32_e32 v4, 30, v12
	v_xor_b32_e32 v13, vcc_lo, v13
	v_cmp_gt_i64_e32 vcc, 0, v[3:4]
	v_not_b32_e32 v4, v4
	v_ashrrev_i32_e32 v4, 31, v4
	v_and_b32_e32 v13, exec_lo, v13
	v_xor_b32_e32 v115, vcc_hi, v4
	v_xor_b32_e32 v4, vcc_lo, v4
	v_and_b32_e32 v13, v13, v4
	v_lshlrev_b32_e32 v4, 29, v12
	v_cmp_gt_i64_e32 vcc, 0, v[3:4]
	v_not_b32_e32 v4, v4
	v_ashrrev_i32_e32 v4, 31, v4
	v_and_b32_e32 v15, v15, v115
	v_xor_b32_e32 v115, vcc_hi, v4
	v_xor_b32_e32 v4, vcc_lo, v4
	v_and_b32_e32 v13, v13, v4
	v_lshlrev_b32_e32 v4, 28, v12
	v_cmp_gt_i64_e32 vcc, 0, v[3:4]
	v_not_b32_e32 v4, v4
	v_ashrrev_i32_e32 v4, 31, v4
	v_and_b32_e32 v15, v15, v115
	;; [unrolled: 8-line block ×5, first 2 shown]
	v_xor_b32_e32 v115, vcc_hi, v4
	v_xor_b32_e32 v4, vcc_lo, v4
	v_and_b32_e32 v15, v15, v115
	v_and_b32_e32 v115, v13, v4
	v_lshlrev_b32_e32 v4, 24, v12
	v_cmp_gt_i64_e32 vcc, 0, v[3:4]
	v_not_b32_e32 v4, v4
	v_ashrrev_i32_e32 v4, 31, v4
	v_mul_u32_u24_e32 v14, 20, v12
	v_xor_b32_e32 v12, vcc_hi, v4
	v_xor_b32_e32 v4, vcc_lo, v4
	v_and_b32_e32 v13, v15, v12
	v_and_b32_e32 v12, v115, v4
	v_mbcnt_lo_u32_b32 v4, v12, 0
	v_mbcnt_hi_u32_b32 v115, v13, v4
	v_cmp_ne_u64_e32 vcc, 0, v[12:13]
	v_cmp_eq_u32_e64 s[36:37], 0, v115
	s_and_b64 s[38:39], vcc, s[36:37]
	v_add_u32_e32 v117, v100, v14
	; wave barrier
	s_and_saveexec_b64 s[36:37], s[38:39]
	s_cbranch_execz .LBB1462_585
; %bb.584:                              ;   in Loop: Header=BB1462_563 Depth=2
	v_bcnt_u32_b32 v4, v12, 0
	v_bcnt_u32_b32 v4, v13, v4
	s_waitcnt lgkmcnt(0)
	v_add_u32_e32 v4, v113, v4
	ds_write_b32 v117, v4 offset:1040
.LBB1462_585:                           ;   in Loop: Header=BB1462_563 Depth=2
	s_or_b64 exec, exec, s[36:37]
	v_cmp_lt_i32_e32 vcc, -1, v16
	v_cndmask_b32_e32 v4, -1, v73, vcc
	v_xor_b32_e32 v116, v4, v16
	v_cmp_ne_u32_e32 vcc, s62, v116
	v_cndmask_b32_e32 v4, v73, v116, vcc
	v_lshrrev_b32_e32 v4, s77, v4
	v_and_b32_e32 v12, s70, v4
	v_mad_u32_u24 v4, v12, 20, v100
	; wave barrier
	ds_read_b32 v16, v4 offset:1040
	v_and_b32_e32 v4, 1, v12
	v_add_co_u32_e32 v13, vcc, -1, v4
	v_addc_co_u32_e64 v15, s[36:37], 0, -1, vcc
	v_cmp_ne_u32_e32 vcc, 0, v4
	v_xor_b32_e32 v4, vcc_hi, v15
	v_and_b32_e32 v15, exec_hi, v4
	v_lshlrev_b32_e32 v4, 30, v12
	v_xor_b32_e32 v13, vcc_lo, v13
	v_cmp_gt_i64_e32 vcc, 0, v[3:4]
	v_not_b32_e32 v4, v4
	v_ashrrev_i32_e32 v4, 31, v4
	v_and_b32_e32 v13, exec_lo, v13
	v_xor_b32_e32 v118, vcc_hi, v4
	v_xor_b32_e32 v4, vcc_lo, v4
	v_and_b32_e32 v13, v13, v4
	v_lshlrev_b32_e32 v4, 29, v12
	v_cmp_gt_i64_e32 vcc, 0, v[3:4]
	v_not_b32_e32 v4, v4
	v_ashrrev_i32_e32 v4, 31, v4
	v_and_b32_e32 v15, v15, v118
	v_xor_b32_e32 v118, vcc_hi, v4
	v_xor_b32_e32 v4, vcc_lo, v4
	v_and_b32_e32 v13, v13, v4
	v_lshlrev_b32_e32 v4, 28, v12
	v_cmp_gt_i64_e32 vcc, 0, v[3:4]
	v_not_b32_e32 v4, v4
	v_ashrrev_i32_e32 v4, 31, v4
	v_and_b32_e32 v15, v15, v118
	;; [unrolled: 8-line block ×5, first 2 shown]
	v_xor_b32_e32 v118, vcc_hi, v4
	v_xor_b32_e32 v4, vcc_lo, v4
	v_and_b32_e32 v15, v15, v118
	v_and_b32_e32 v118, v13, v4
	v_lshlrev_b32_e32 v4, 24, v12
	v_cmp_gt_i64_e32 vcc, 0, v[3:4]
	v_not_b32_e32 v4, v4
	v_ashrrev_i32_e32 v4, 31, v4
	v_mul_u32_u24_e32 v14, 20, v12
	v_xor_b32_e32 v12, vcc_hi, v4
	v_xor_b32_e32 v4, vcc_lo, v4
	v_and_b32_e32 v13, v15, v12
	v_and_b32_e32 v12, v118, v4
	v_mbcnt_lo_u32_b32 v4, v12, 0
	v_mbcnt_hi_u32_b32 v118, v13, v4
	v_cmp_ne_u64_e32 vcc, 0, v[12:13]
	v_cmp_eq_u32_e64 s[36:37], 0, v118
	s_and_b64 s[38:39], vcc, s[36:37]
	v_add_u32_e32 v121, v100, v14
	; wave barrier
	s_and_saveexec_b64 s[36:37], s[38:39]
	s_cbranch_execz .LBB1462_587
; %bb.586:                              ;   in Loop: Header=BB1462_563 Depth=2
	v_bcnt_u32_b32 v4, v12, 0
	v_bcnt_u32_b32 v4, v13, v4
	s_waitcnt lgkmcnt(0)
	v_add_u32_e32 v4, v16, v4
	ds_write_b32 v121, v4 offset:1040
.LBB1462_587:                           ;   in Loop: Header=BB1462_563 Depth=2
	s_or_b64 exec, exec, s[36:37]
	v_cmp_lt_i32_e32 vcc, -1, v17
	v_cndmask_b32_e32 v4, -1, v73, vcc
	v_xor_b32_e32 v119, v4, v17
	v_cmp_ne_u32_e32 vcc, s62, v119
	v_cndmask_b32_e32 v4, v73, v119, vcc
	v_lshrrev_b32_e32 v4, s77, v4
	v_and_b32_e32 v12, s70, v4
	v_mad_u32_u24 v4, v12, 20, v100
	; wave barrier
	ds_read_b32 v120, v4 offset:1040
	v_and_b32_e32 v4, 1, v12
	v_add_co_u32_e32 v13, vcc, -1, v4
	v_addc_co_u32_e64 v15, s[36:37], 0, -1, vcc
	v_cmp_ne_u32_e32 vcc, 0, v4
	v_xor_b32_e32 v4, vcc_hi, v15
	v_and_b32_e32 v15, exec_hi, v4
	v_lshlrev_b32_e32 v4, 30, v12
	v_xor_b32_e32 v13, vcc_lo, v13
	v_cmp_gt_i64_e32 vcc, 0, v[3:4]
	v_not_b32_e32 v4, v4
	v_ashrrev_i32_e32 v4, 31, v4
	v_and_b32_e32 v13, exec_lo, v13
	v_xor_b32_e32 v17, vcc_hi, v4
	v_xor_b32_e32 v4, vcc_lo, v4
	v_and_b32_e32 v13, v13, v4
	v_lshlrev_b32_e32 v4, 29, v12
	v_cmp_gt_i64_e32 vcc, 0, v[3:4]
	v_not_b32_e32 v4, v4
	v_ashrrev_i32_e32 v4, 31, v4
	v_and_b32_e32 v15, v15, v17
	v_xor_b32_e32 v17, vcc_hi, v4
	v_xor_b32_e32 v4, vcc_lo, v4
	v_and_b32_e32 v13, v13, v4
	v_lshlrev_b32_e32 v4, 28, v12
	v_cmp_gt_i64_e32 vcc, 0, v[3:4]
	v_not_b32_e32 v4, v4
	v_ashrrev_i32_e32 v4, 31, v4
	v_and_b32_e32 v15, v15, v17
	;; [unrolled: 8-line block ×5, first 2 shown]
	v_xor_b32_e32 v17, vcc_hi, v4
	v_xor_b32_e32 v4, vcc_lo, v4
	v_and_b32_e32 v15, v15, v17
	v_and_b32_e32 v17, v13, v4
	v_lshlrev_b32_e32 v4, 24, v12
	v_cmp_gt_i64_e32 vcc, 0, v[3:4]
	v_not_b32_e32 v4, v4
	v_ashrrev_i32_e32 v4, 31, v4
	v_mul_u32_u24_e32 v14, 20, v12
	v_xor_b32_e32 v12, vcc_hi, v4
	v_xor_b32_e32 v4, vcc_lo, v4
	v_and_b32_e32 v13, v15, v12
	v_and_b32_e32 v12, v17, v4
	v_mbcnt_lo_u32_b32 v4, v12, 0
	v_mbcnt_hi_u32_b32 v122, v13, v4
	v_cmp_ne_u64_e32 vcc, 0, v[12:13]
	v_cmp_eq_u32_e64 s[36:37], 0, v122
	s_and_b64 s[38:39], vcc, s[36:37]
	v_add_u32_e32 v17, v100, v14
	; wave barrier
	s_and_saveexec_b64 s[36:37], s[38:39]
	s_cbranch_execz .LBB1462_589
; %bb.588:                              ;   in Loop: Header=BB1462_563 Depth=2
	v_bcnt_u32_b32 v4, v12, 0
	v_bcnt_u32_b32 v4, v13, v4
	s_waitcnt lgkmcnt(0)
	v_add_u32_e32 v4, v120, v4
	ds_write_b32 v17, v4 offset:1040
.LBB1462_589:                           ;   in Loop: Header=BB1462_563 Depth=2
	s_or_b64 exec, exec, s[36:37]
	v_cmp_lt_i32_e32 vcc, -1, v18
	v_cndmask_b32_e32 v4, -1, v73, vcc
	v_xor_b32_e32 v123, v4, v18
	v_cmp_ne_u32_e32 vcc, s62, v123
	v_cndmask_b32_e32 v4, v73, v123, vcc
	v_lshrrev_b32_e32 v4, s77, v4
	v_and_b32_e32 v12, s70, v4
	v_mad_u32_u24 v4, v12, 20, v100
	; wave barrier
	ds_read_b32 v124, v4 offset:1040
	v_and_b32_e32 v4, 1, v12
	v_add_co_u32_e32 v13, vcc, -1, v4
	v_addc_co_u32_e64 v15, s[36:37], 0, -1, vcc
	v_cmp_ne_u32_e32 vcc, 0, v4
	v_xor_b32_e32 v4, vcc_hi, v15
	v_and_b32_e32 v15, exec_hi, v4
	v_lshlrev_b32_e32 v4, 30, v12
	v_xor_b32_e32 v13, vcc_lo, v13
	v_cmp_gt_i64_e32 vcc, 0, v[3:4]
	v_not_b32_e32 v4, v4
	v_ashrrev_i32_e32 v4, 31, v4
	v_and_b32_e32 v13, exec_lo, v13
	v_xor_b32_e32 v18, vcc_hi, v4
	v_xor_b32_e32 v4, vcc_lo, v4
	v_and_b32_e32 v13, v13, v4
	v_lshlrev_b32_e32 v4, 29, v12
	v_cmp_gt_i64_e32 vcc, 0, v[3:4]
	v_not_b32_e32 v4, v4
	v_ashrrev_i32_e32 v4, 31, v4
	v_and_b32_e32 v15, v15, v18
	v_xor_b32_e32 v18, vcc_hi, v4
	v_xor_b32_e32 v4, vcc_lo, v4
	v_and_b32_e32 v13, v13, v4
	v_lshlrev_b32_e32 v4, 28, v12
	v_cmp_gt_i64_e32 vcc, 0, v[3:4]
	v_not_b32_e32 v4, v4
	v_ashrrev_i32_e32 v4, 31, v4
	v_and_b32_e32 v15, v15, v18
	;; [unrolled: 8-line block ×5, first 2 shown]
	v_xor_b32_e32 v18, vcc_hi, v4
	v_xor_b32_e32 v4, vcc_lo, v4
	v_and_b32_e32 v15, v15, v18
	v_and_b32_e32 v18, v13, v4
	v_lshlrev_b32_e32 v4, 24, v12
	v_cmp_gt_i64_e32 vcc, 0, v[3:4]
	v_not_b32_e32 v4, v4
	v_ashrrev_i32_e32 v4, 31, v4
	v_mul_u32_u24_e32 v14, 20, v12
	v_xor_b32_e32 v12, vcc_hi, v4
	v_xor_b32_e32 v4, vcc_lo, v4
	v_and_b32_e32 v13, v15, v12
	v_and_b32_e32 v12, v18, v4
	v_mbcnt_lo_u32_b32 v4, v12, 0
	v_mbcnt_hi_u32_b32 v125, v13, v4
	v_cmp_ne_u64_e32 vcc, 0, v[12:13]
	v_cmp_eq_u32_e64 s[36:37], 0, v125
	s_and_b64 s[38:39], vcc, s[36:37]
	v_add_u32_e32 v18, v100, v14
	; wave barrier
	s_and_saveexec_b64 s[36:37], s[38:39]
	s_cbranch_execz .LBB1462_591
; %bb.590:                              ;   in Loop: Header=BB1462_563 Depth=2
	v_bcnt_u32_b32 v4, v12, 0
	v_bcnt_u32_b32 v4, v13, v4
	s_waitcnt lgkmcnt(0)
	v_add_u32_e32 v4, v124, v4
	ds_write_b32 v18, v4 offset:1040
.LBB1462_591:                           ;   in Loop: Header=BB1462_563 Depth=2
	s_or_b64 exec, exec, s[36:37]
	v_cmp_lt_i32_e32 vcc, -1, v19
	v_cndmask_b32_e32 v4, -1, v73, vcc
	v_xor_b32_e32 v126, v4, v19
	v_cmp_ne_u32_e32 vcc, s62, v126
	v_cndmask_b32_e32 v4, v73, v126, vcc
	v_lshrrev_b32_e32 v4, s77, v4
	v_and_b32_e32 v12, s70, v4
	v_mad_u32_u24 v4, v12, 20, v100
	; wave barrier
	ds_read_b32 v127, v4 offset:1040
	v_and_b32_e32 v4, 1, v12
	v_add_co_u32_e32 v13, vcc, -1, v4
	v_addc_co_u32_e64 v15, s[36:37], 0, -1, vcc
	v_cmp_ne_u32_e32 vcc, 0, v4
	v_xor_b32_e32 v4, vcc_hi, v15
	v_and_b32_e32 v15, exec_hi, v4
	v_lshlrev_b32_e32 v4, 30, v12
	v_xor_b32_e32 v13, vcc_lo, v13
	v_cmp_gt_i64_e32 vcc, 0, v[3:4]
	v_not_b32_e32 v4, v4
	v_ashrrev_i32_e32 v4, 31, v4
	v_and_b32_e32 v13, exec_lo, v13
	v_xor_b32_e32 v19, vcc_hi, v4
	v_xor_b32_e32 v4, vcc_lo, v4
	v_and_b32_e32 v13, v13, v4
	v_lshlrev_b32_e32 v4, 29, v12
	v_cmp_gt_i64_e32 vcc, 0, v[3:4]
	v_not_b32_e32 v4, v4
	v_ashrrev_i32_e32 v4, 31, v4
	v_and_b32_e32 v15, v15, v19
	v_xor_b32_e32 v19, vcc_hi, v4
	v_xor_b32_e32 v4, vcc_lo, v4
	v_and_b32_e32 v13, v13, v4
	v_lshlrev_b32_e32 v4, 28, v12
	v_cmp_gt_i64_e32 vcc, 0, v[3:4]
	v_not_b32_e32 v4, v4
	v_ashrrev_i32_e32 v4, 31, v4
	v_and_b32_e32 v15, v15, v19
	;; [unrolled: 8-line block ×5, first 2 shown]
	v_xor_b32_e32 v19, vcc_hi, v4
	v_xor_b32_e32 v4, vcc_lo, v4
	v_and_b32_e32 v15, v15, v19
	v_and_b32_e32 v19, v13, v4
	v_lshlrev_b32_e32 v4, 24, v12
	v_cmp_gt_i64_e32 vcc, 0, v[3:4]
	v_not_b32_e32 v4, v4
	v_ashrrev_i32_e32 v4, 31, v4
	v_mul_u32_u24_e32 v14, 20, v12
	v_xor_b32_e32 v12, vcc_hi, v4
	v_xor_b32_e32 v4, vcc_lo, v4
	v_and_b32_e32 v13, v15, v12
	v_and_b32_e32 v12, v19, v4
	v_mbcnt_lo_u32_b32 v4, v12, 0
	v_mbcnt_hi_u32_b32 v128, v13, v4
	v_cmp_ne_u64_e32 vcc, 0, v[12:13]
	v_cmp_eq_u32_e64 s[36:37], 0, v128
	s_and_b64 s[38:39], vcc, s[36:37]
	v_add_u32_e32 v4, v100, v14
	; wave barrier
	s_and_saveexec_b64 s[36:37], s[38:39]
	s_cbranch_execz .LBB1462_593
; %bb.592:                              ;   in Loop: Header=BB1462_563 Depth=2
	v_bcnt_u32_b32 v12, v12, 0
	v_bcnt_u32_b32 v12, v13, v12
	s_waitcnt lgkmcnt(0)
	v_add_u32_e32 v12, v127, v12
	ds_write_b32 v4, v12 offset:1040
.LBB1462_593:                           ;   in Loop: Header=BB1462_563 Depth=2
	s_or_b64 exec, exec, s[36:37]
	; wave barrier
	s_waitcnt lgkmcnt(0)
	s_barrier
	ds_read2_b32 v[14:15], v104 offset1:1
	ds_read2_b32 v[12:13], v103 offset1:1
	ds_read_b32 v19, v49 offset:1056
	s_waitcnt lgkmcnt(1)
	v_add3_u32 v129, v15, v14, v12
	s_waitcnt lgkmcnt(0)
	v_add3_u32 v19, v129, v13, v19
	s_nop 1
	v_mov_b32_dpp v129, v19 row_shr:1 row_mask:0xf bank_mask:0xf
	v_cndmask_b32_e64 v129, v129, 0, s[16:17]
	v_add_u32_e32 v19, v129, v19
	s_nop 1
	v_mov_b32_dpp v129, v19 row_shr:2 row_mask:0xf bank_mask:0xf
	v_cndmask_b32_e64 v129, 0, v129, s[18:19]
	v_add_u32_e32 v19, v19, v129
	;; [unrolled: 4-line block ×4, first 2 shown]
	s_nop 1
	v_mov_b32_dpp v129, v19 row_bcast:15 row_mask:0xf bank_mask:0xf
	v_cndmask_b32_e64 v129, v129, 0, s[24:25]
	v_add_u32_e32 v19, v19, v129
	s_nop 1
	v_mov_b32_dpp v129, v19 row_bcast:31 row_mask:0xf bank_mask:0xf
	v_cndmask_b32_e64 v129, 0, v129, s[26:27]
	v_add_u32_e32 v19, v19, v129
	s_and_saveexec_b64 s[36:37], s[6:7]
; %bb.594:                              ;   in Loop: Header=BB1462_563 Depth=2
	ds_write_b32 v44, v19 offset:1024
; %bb.595:                              ;   in Loop: Header=BB1462_563 Depth=2
	s_or_b64 exec, exec, s[36:37]
	s_waitcnt lgkmcnt(0)
	s_barrier
	s_and_saveexec_b64 s[36:37], s[8:9]
	s_cbranch_execz .LBB1462_597
; %bb.596:                              ;   in Loop: Header=BB1462_563 Depth=2
	ds_read_b32 v129, v50 offset:1024
	s_waitcnt lgkmcnt(0)
	s_nop 0
	v_mov_b32_dpp v130, v129 row_shr:1 row_mask:0xf bank_mask:0xf
	v_cndmask_b32_e64 v130, v130, 0, s[30:31]
	v_add_u32_e32 v129, v130, v129
	s_nop 1
	v_mov_b32_dpp v130, v129 row_shr:2 row_mask:0xf bank_mask:0xf
	v_cndmask_b32_e64 v130, 0, v130, s[34:35]
	v_add_u32_e32 v129, v129, v130
	ds_write_b32 v50, v129 offset:1024
.LBB1462_597:                           ;   in Loop: Header=BB1462_563 Depth=2
	s_or_b64 exec, exec, s[36:37]
	v_mov_b32_e32 v129, 0
	s_waitcnt lgkmcnt(0)
	s_barrier
	s_and_saveexec_b64 s[36:37], s[10:11]
; %bb.598:                              ;   in Loop: Header=BB1462_563 Depth=2
	ds_read_b32 v129, v44 offset:1020
; %bb.599:                              ;   in Loop: Header=BB1462_563 Depth=2
	s_or_b64 exec, exec, s[36:37]
	s_waitcnt lgkmcnt(0)
	v_add_u32_e32 v19, v129, v19
	ds_bpermute_b32 v19, v79, v19
	s_waitcnt lgkmcnt(0)
	v_cndmask_b32_e64 v19, v19, v129, s[28:29]
	v_cndmask_b32_e64 v19, v19, 0, s[12:13]
	v_add_u32_e32 v14, v19, v14
	v_add_u32_e32 v15, v14, v15
	;; [unrolled: 1-line block ×4, first 2 shown]
	ds_write2_b32 v104, v19, v14 offset1:1
	ds_write2_b32 v103, v15, v12 offset1:1
	ds_write_b32 v49, v13 offset:1056
	s_waitcnt lgkmcnt(0)
	s_barrier
	ds_read_b32 v12, v106 offset:1040
	ds_read_b32 v13, v110 offset:1040
	;; [unrolled: 1-line block ×9, first 2 shown]
	v_mov_b32_e32 v4, 0x800
	s_and_saveexec_b64 s[36:37], s[14:15]
; %bb.600:                              ;   in Loop: Header=BB1462_563 Depth=2
	ds_read_b32 v4, v49 offset:1060
; %bb.601:                              ;   in Loop: Header=BB1462_563 Depth=2
	s_or_b64 exec, exec, s[36:37]
	s_waitcnt lgkmcnt(0)
	s_barrier
	s_and_saveexec_b64 s[36:37], s[4:5]
	s_cbranch_execz .LBB1462_603
; %bb.602:                              ;   in Loop: Header=BB1462_563 Depth=2
	ds_read_b32 v18, v32
	s_waitcnt lgkmcnt(0)
	v_sub_u32_e32 v17, v18, v17
	ds_write_b32 v32, v17
.LBB1462_603:                           ;   in Loop: Header=BB1462_563 Depth=2
	s_or_b64 exec, exec, s[36:37]
	v_add_u32_e32 v103, v12, v105
	v_add3_u32 v31, v107, v31, v13
	v_lshlrev_b32_e32 v12, 2, v103
	v_add3_u32 v19, v111, v109, v14
	ds_write_b32 v12, v102 offset:1024
	v_lshlrev_b32_e32 v12, 2, v31
	v_add3_u32 v18, v115, v113, v15
	ds_write_b32 v12, v30 offset:1024
	;; [unrolled: 3-line block ×6, first 2 shown]
	v_lshlrev_b32_e32 v12, 2, v15
	ds_write_b32 v12, v123 offset:1024
	v_lshlrev_b32_e32 v12, 2, v14
	v_cmp_lt_u32_e32 vcc, v0, v101
	ds_write_b32 v12, v126 offset:1024
	s_waitcnt lgkmcnt(0)
	s_barrier
	s_and_saveexec_b64 s[38:39], vcc
	s_cbranch_execnz .LBB1462_640
; %bb.604:                              ;   in Loop: Header=BB1462_563 Depth=2
	s_or_b64 exec, exec, s[38:39]
	v_cmp_lt_u32_e64 s[36:37], v33, v101
	s_and_saveexec_b64 s[40:41], s[36:37]
	s_cbranch_execnz .LBB1462_641
.LBB1462_605:                           ;   in Loop: Header=BB1462_563 Depth=2
	s_or_b64 exec, exec, s[40:41]
	v_cmp_lt_u32_e64 s[38:39], v34, v101
	s_and_saveexec_b64 s[42:43], s[38:39]
	s_cbranch_execnz .LBB1462_642
.LBB1462_606:                           ;   in Loop: Header=BB1462_563 Depth=2
	s_or_b64 exec, exec, s[42:43]
	v_cmp_lt_u32_e64 s[40:41], v35, v101
	s_and_saveexec_b64 s[44:45], s[40:41]
	s_cbranch_execnz .LBB1462_643
.LBB1462_607:                           ;   in Loop: Header=BB1462_563 Depth=2
	s_or_b64 exec, exec, s[44:45]
	v_cmp_lt_u32_e64 s[42:43], v38, v101
	s_and_saveexec_b64 s[46:47], s[42:43]
	s_cbranch_execnz .LBB1462_644
.LBB1462_608:                           ;   in Loop: Header=BB1462_563 Depth=2
	s_or_b64 exec, exec, s[46:47]
	v_cmp_lt_u32_e64 s[44:45], v39, v101
	s_and_saveexec_b64 s[48:49], s[44:45]
	s_cbranch_execnz .LBB1462_645
.LBB1462_609:                           ;   in Loop: Header=BB1462_563 Depth=2
	s_or_b64 exec, exec, s[48:49]
	v_cmp_lt_u32_e64 s[46:47], v40, v101
	s_and_saveexec_b64 s[52:53], s[46:47]
	s_cbranch_execnz .LBB1462_646
.LBB1462_610:                           ;   in Loop: Header=BB1462_563 Depth=2
	s_or_b64 exec, exec, s[52:53]
	v_cmp_lt_u32_e64 s[48:49], v41, v101
	s_and_saveexec_b64 s[60:61], s[48:49]
	s_cbranch_execz .LBB1462_612
.LBB1462_611:                           ;   in Loop: Header=BB1462_563 Depth=2
	ds_read_b32 v12, v50 offset:8192
	v_mov_b32_e32 v13, v3
	v_mov_b32_e32 v102, s69
	s_waitcnt lgkmcnt(0)
	v_cmp_ne_u32_e64 s[52:53], s62, v12
	v_cndmask_b32_e64 v30, v73, v12, s[52:53]
	v_lshrrev_b32_e32 v30, s77, v30
	v_and_b32_e32 v30, s70, v30
	v_lshlrev_b32_e32 v30, 2, v30
	ds_read_b32 v30, v30
	v_cmp_lt_i32_e64 s[52:53], -1, v12
	v_cndmask_b32_e64 v104, v73, -1, s[52:53]
	v_xor_b32_e32 v104, v104, v12
	s_waitcnt lgkmcnt(0)
	v_add_u32_e32 v12, v30, v41
	v_lshlrev_b64 v[12:13], 2, v[12:13]
	v_add_co_u32_e64 v12, s[52:53], s68, v12
	v_addc_co_u32_e64 v13, s[52:53], v102, v13, s[52:53]
	global_store_dword v[12:13], v104, off
.LBB1462_612:                           ;   in Loop: Header=BB1462_563 Depth=2
	s_or_b64 exec, exec, s[60:61]
	s_lshl_b64 s[52:53], s[58:59], 3
	v_mov_b32_e32 v13, s53
	v_add_co_u32_e64 v12, s[52:53], s52, v87
	v_addc_co_u32_e64 v13, s[52:53], v89, v13, s[52:53]
	v_cmp_lt_u32_e64 s[52:53], v84, v101
	s_and_saveexec_b64 s[60:61], s[52:53]
	s_xor_b64 s[52:53], exec, s[60:61]
	s_cbranch_execnz .LBB1462_647
; %bb.613:                              ;   in Loop: Header=BB1462_563 Depth=2
	s_or_b64 exec, exec, s[52:53]
	v_cmp_lt_u32_e64 s[52:53], v91, v101
	s_and_saveexec_b64 s[60:61], s[52:53]
	s_cbranch_execnz .LBB1462_648
.LBB1462_614:                           ;   in Loop: Header=BB1462_563 Depth=2
	s_or_b64 exec, exec, s[60:61]
	v_cmp_lt_u32_e64 s[52:53], v92, v101
	s_and_saveexec_b64 s[60:61], s[52:53]
	s_cbranch_execnz .LBB1462_649
.LBB1462_615:                           ;   in Loop: Header=BB1462_563 Depth=2
	s_or_b64 exec, exec, s[60:61]
	v_cmp_lt_u32_e64 s[52:53], v93, v101
	s_and_saveexec_b64 s[60:61], s[52:53]
	s_cbranch_execnz .LBB1462_650
.LBB1462_616:                           ;   in Loop: Header=BB1462_563 Depth=2
	s_or_b64 exec, exec, s[60:61]
	v_cmp_lt_u32_e64 s[52:53], v94, v101
	s_and_saveexec_b64 s[60:61], s[52:53]
	s_cbranch_execnz .LBB1462_651
.LBB1462_617:                           ;   in Loop: Header=BB1462_563 Depth=2
	s_or_b64 exec, exec, s[60:61]
	v_cmp_lt_u32_e64 s[52:53], v95, v101
	s_and_saveexec_b64 s[60:61], s[52:53]
	s_cbranch_execnz .LBB1462_652
.LBB1462_618:                           ;   in Loop: Header=BB1462_563 Depth=2
	s_or_b64 exec, exec, s[60:61]
	v_cmp_lt_u32_e64 s[52:53], v96, v101
	s_and_saveexec_b64 s[60:61], s[52:53]
	s_cbranch_execnz .LBB1462_653
.LBB1462_619:                           ;   in Loop: Header=BB1462_563 Depth=2
	s_or_b64 exec, exec, s[60:61]
	v_cmp_lt_u32_e64 s[52:53], v97, v101
	s_and_saveexec_b64 s[60:61], s[52:53]
	s_cbranch_execnz .LBB1462_654
.LBB1462_620:                           ;   in Loop: Header=BB1462_563 Depth=2
	s_or_b64 exec, exec, s[60:61]
	s_and_saveexec_b64 s[60:61], vcc
	s_cbranch_execnz .LBB1462_655
.LBB1462_621:                           ;   in Loop: Header=BB1462_563 Depth=2
	s_or_b64 exec, exec, s[60:61]
	s_and_saveexec_b64 s[60:61], s[36:37]
	s_cbranch_execnz .LBB1462_656
.LBB1462_622:                           ;   in Loop: Header=BB1462_563 Depth=2
	s_or_b64 exec, exec, s[60:61]
	s_and_saveexec_b64 s[60:61], s[38:39]
	s_cbranch_execnz .LBB1462_657
.LBB1462_623:                           ;   in Loop: Header=BB1462_563 Depth=2
	s_or_b64 exec, exec, s[60:61]
	s_and_saveexec_b64 s[60:61], s[40:41]
	s_cbranch_execnz .LBB1462_658
.LBB1462_624:                           ;   in Loop: Header=BB1462_563 Depth=2
	s_or_b64 exec, exec, s[60:61]
	s_and_saveexec_b64 s[60:61], s[42:43]
	s_cbranch_execnz .LBB1462_659
.LBB1462_625:                           ;   in Loop: Header=BB1462_563 Depth=2
	s_or_b64 exec, exec, s[60:61]
	s_and_saveexec_b64 s[60:61], s[44:45]
	s_cbranch_execnz .LBB1462_660
.LBB1462_626:                           ;   in Loop: Header=BB1462_563 Depth=2
	s_or_b64 exec, exec, s[60:61]
	s_and_saveexec_b64 s[60:61], s[46:47]
	s_cbranch_execnz .LBB1462_661
.LBB1462_627:                           ;   in Loop: Header=BB1462_563 Depth=2
	s_or_b64 exec, exec, s[60:61]
	s_and_saveexec_b64 s[60:61], s[48:49]
	s_cbranch_execz .LBB1462_629
.LBB1462_628:                           ;   in Loop: Header=BB1462_563 Depth=2
	ds_read_b32 v12, v50 offset:8192
	s_waitcnt lgkmcnt(0)
	v_cmp_ne_u32_e64 s[52:53], s62, v12
	v_cndmask_b32_e64 v12, v73, v12, s[52:53]
	v_lshrrev_b32_e32 v12, s77, v12
	v_and_b32_e32 v80, s70, v12
.LBB1462_629:                           ;   in Loop: Header=BB1462_563 Depth=2
	s_or_b64 exec, exec, s[60:61]
	v_lshlrev_b32_e32 v12, 3, v103
	s_waitcnt vmcnt(0)
	s_barrier
	ds_write_b64 v12, v[28:29] offset:1024
	v_lshlrev_b32_e32 v12, 3, v31
	ds_write_b64 v12, v[26:27] offset:1024
	v_lshlrev_b32_e32 v12, 3, v19
	;; [unrolled: 2-line block ×7, first 2 shown]
	ds_write_b64 v12, v[5:6] offset:1024
	v_add_u32_e32 v12, v50, v32
	s_waitcnt lgkmcnt(0)
	s_barrier
	s_and_saveexec_b64 s[52:53], vcc
	s_cbranch_execnz .LBB1462_662
; %bb.630:                              ;   in Loop: Header=BB1462_563 Depth=2
	s_or_b64 exec, exec, s[52:53]
	s_and_saveexec_b64 s[52:53], s[36:37]
	s_cbranch_execnz .LBB1462_663
.LBB1462_631:                           ;   in Loop: Header=BB1462_563 Depth=2
	s_or_b64 exec, exec, s[52:53]
	s_and_saveexec_b64 s[36:37], s[38:39]
	s_cbranch_execnz .LBB1462_664
.LBB1462_632:                           ;   in Loop: Header=BB1462_563 Depth=2
	s_or_b64 exec, exec, s[36:37]
	s_and_saveexec_b64 s[36:37], s[40:41]
	s_cbranch_execnz .LBB1462_665
.LBB1462_633:                           ;   in Loop: Header=BB1462_563 Depth=2
	s_or_b64 exec, exec, s[36:37]
	s_and_saveexec_b64 s[36:37], s[42:43]
	s_cbranch_execnz .LBB1462_666
.LBB1462_634:                           ;   in Loop: Header=BB1462_563 Depth=2
	s_or_b64 exec, exec, s[36:37]
	s_and_saveexec_b64 s[36:37], s[44:45]
	s_cbranch_execnz .LBB1462_667
.LBB1462_635:                           ;   in Loop: Header=BB1462_563 Depth=2
	s_or_b64 exec, exec, s[36:37]
	s_and_saveexec_b64 s[36:37], s[46:47]
	s_cbranch_execnz .LBB1462_668
.LBB1462_636:                           ;   in Loop: Header=BB1462_563 Depth=2
	s_or_b64 exec, exec, s[36:37]
	s_and_saveexec_b64 s[36:37], s[48:49]
	s_cbranch_execz .LBB1462_638
.LBB1462_637:                           ;   in Loop: Header=BB1462_563 Depth=2
	v_lshlrev_b32_e32 v13, 2, v80
	ds_read_b32 v14, v13
	ds_read_b64 v[12:13], v12 offset:15360
	v_mov_b32_e32 v15, v3
	v_mov_b32_e32 v16, s75
	s_waitcnt lgkmcnt(1)
	v_add_u32_e32 v14, v14, v41
	v_lshlrev_b64 v[14:15], 3, v[14:15]
	v_add_co_u32_e32 v14, vcc, s74, v14
	v_addc_co_u32_e32 v15, vcc, v16, v15, vcc
	s_waitcnt lgkmcnt(0)
	global_store_dwordx2 v[14:15], v[12:13], off
.LBB1462_638:                           ;   in Loop: Header=BB1462_563 Depth=2
	s_or_b64 exec, exec, s[36:37]
	s_waitcnt vmcnt(0)
	s_barrier
	s_and_saveexec_b64 s[36:37], s[4:5]
	s_cbranch_execz .LBB1462_562
; %bb.639:                              ;   in Loop: Header=BB1462_563 Depth=2
	ds_read_b32 v12, v32
	s_waitcnt lgkmcnt(0)
	v_add_u32_e32 v4, v12, v4
	ds_write_b32 v32, v4
	s_branch .LBB1462_562
.LBB1462_640:                           ;   in Loop: Header=BB1462_563 Depth=2
	ds_read_b32 v12, v50 offset:1024
	v_mov_b32_e32 v13, v3
	v_mov_b32_e32 v102, s69
	s_waitcnt lgkmcnt(0)
	v_cmp_ne_u32_e64 s[36:37], s62, v12
	v_cndmask_b32_e64 v30, v73, v12, s[36:37]
	v_lshrrev_b32_e32 v30, s77, v30
	v_and_b32_e32 v30, s70, v30
	v_lshlrev_b32_e32 v30, 2, v30
	ds_read_b32 v30, v30
	v_cmp_lt_i32_e64 s[36:37], -1, v12
	v_cndmask_b32_e64 v104, v73, -1, s[36:37]
	v_xor_b32_e32 v104, v104, v12
	s_waitcnt lgkmcnt(0)
	v_add_u32_e32 v12, v30, v0
	v_lshlrev_b64 v[12:13], 2, v[12:13]
	v_add_co_u32_e64 v12, s[36:37], s68, v12
	v_addc_co_u32_e64 v13, s[36:37], v102, v13, s[36:37]
	global_store_dword v[12:13], v104, off
	s_or_b64 exec, exec, s[38:39]
	v_cmp_lt_u32_e64 s[36:37], v33, v101
	s_and_saveexec_b64 s[40:41], s[36:37]
	s_cbranch_execz .LBB1462_605
.LBB1462_641:                           ;   in Loop: Header=BB1462_563 Depth=2
	ds_read_b32 v12, v50 offset:2048
	v_mov_b32_e32 v13, v3
	v_mov_b32_e32 v102, s69
	s_waitcnt lgkmcnt(0)
	v_cmp_ne_u32_e64 s[38:39], s62, v12
	v_cndmask_b32_e64 v30, v73, v12, s[38:39]
	v_lshrrev_b32_e32 v30, s77, v30
	v_and_b32_e32 v30, s70, v30
	v_lshlrev_b32_e32 v30, 2, v30
	ds_read_b32 v30, v30
	v_cmp_lt_i32_e64 s[38:39], -1, v12
	v_cndmask_b32_e64 v104, v73, -1, s[38:39]
	v_xor_b32_e32 v104, v104, v12
	s_waitcnt lgkmcnt(0)
	v_add_u32_e32 v12, v30, v33
	v_lshlrev_b64 v[12:13], 2, v[12:13]
	v_add_co_u32_e64 v12, s[38:39], s68, v12
	v_addc_co_u32_e64 v13, s[38:39], v102, v13, s[38:39]
	global_store_dword v[12:13], v104, off
	s_or_b64 exec, exec, s[40:41]
	v_cmp_lt_u32_e64 s[38:39], v34, v101
	s_and_saveexec_b64 s[42:43], s[38:39]
	s_cbranch_execz .LBB1462_606
.LBB1462_642:                           ;   in Loop: Header=BB1462_563 Depth=2
	ds_read_b32 v12, v50 offset:3072
	v_mov_b32_e32 v13, v3
	v_mov_b32_e32 v102, s69
	s_waitcnt lgkmcnt(0)
	v_cmp_ne_u32_e64 s[40:41], s62, v12
	v_cndmask_b32_e64 v30, v73, v12, s[40:41]
	v_lshrrev_b32_e32 v30, s77, v30
	v_and_b32_e32 v30, s70, v30
	v_lshlrev_b32_e32 v30, 2, v30
	ds_read_b32 v30, v30
	v_cmp_lt_i32_e64 s[40:41], -1, v12
	v_cndmask_b32_e64 v104, v73, -1, s[40:41]
	v_xor_b32_e32 v104, v104, v12
	s_waitcnt lgkmcnt(0)
	v_add_u32_e32 v12, v30, v34
	v_lshlrev_b64 v[12:13], 2, v[12:13]
	v_add_co_u32_e64 v12, s[40:41], s68, v12
	v_addc_co_u32_e64 v13, s[40:41], v102, v13, s[40:41]
	global_store_dword v[12:13], v104, off
	s_or_b64 exec, exec, s[42:43]
	v_cmp_lt_u32_e64 s[40:41], v35, v101
	s_and_saveexec_b64 s[44:45], s[40:41]
	s_cbranch_execz .LBB1462_607
.LBB1462_643:                           ;   in Loop: Header=BB1462_563 Depth=2
	ds_read_b32 v12, v50 offset:4096
	v_mov_b32_e32 v13, v3
	v_mov_b32_e32 v102, s69
	s_waitcnt lgkmcnt(0)
	v_cmp_ne_u32_e64 s[42:43], s62, v12
	v_cndmask_b32_e64 v30, v73, v12, s[42:43]
	v_lshrrev_b32_e32 v30, s77, v30
	v_and_b32_e32 v30, s70, v30
	v_lshlrev_b32_e32 v30, 2, v30
	ds_read_b32 v30, v30
	v_cmp_lt_i32_e64 s[42:43], -1, v12
	v_cndmask_b32_e64 v104, v73, -1, s[42:43]
	v_xor_b32_e32 v104, v104, v12
	s_waitcnt lgkmcnt(0)
	v_add_u32_e32 v12, v30, v35
	v_lshlrev_b64 v[12:13], 2, v[12:13]
	v_add_co_u32_e64 v12, s[42:43], s68, v12
	v_addc_co_u32_e64 v13, s[42:43], v102, v13, s[42:43]
	global_store_dword v[12:13], v104, off
	s_or_b64 exec, exec, s[44:45]
	v_cmp_lt_u32_e64 s[42:43], v38, v101
	s_and_saveexec_b64 s[46:47], s[42:43]
	s_cbranch_execz .LBB1462_608
.LBB1462_644:                           ;   in Loop: Header=BB1462_563 Depth=2
	ds_read_b32 v12, v50 offset:5120
	v_mov_b32_e32 v13, v3
	v_mov_b32_e32 v102, s69
	s_waitcnt lgkmcnt(0)
	v_cmp_ne_u32_e64 s[44:45], s62, v12
	v_cndmask_b32_e64 v30, v73, v12, s[44:45]
	v_lshrrev_b32_e32 v30, s77, v30
	v_and_b32_e32 v30, s70, v30
	v_lshlrev_b32_e32 v30, 2, v30
	ds_read_b32 v30, v30
	v_cmp_lt_i32_e64 s[44:45], -1, v12
	v_cndmask_b32_e64 v104, v73, -1, s[44:45]
	v_xor_b32_e32 v104, v104, v12
	s_waitcnt lgkmcnt(0)
	v_add_u32_e32 v12, v30, v38
	v_lshlrev_b64 v[12:13], 2, v[12:13]
	v_add_co_u32_e64 v12, s[44:45], s68, v12
	v_addc_co_u32_e64 v13, s[44:45], v102, v13, s[44:45]
	global_store_dword v[12:13], v104, off
	s_or_b64 exec, exec, s[46:47]
	v_cmp_lt_u32_e64 s[44:45], v39, v101
	s_and_saveexec_b64 s[48:49], s[44:45]
	s_cbranch_execz .LBB1462_609
.LBB1462_645:                           ;   in Loop: Header=BB1462_563 Depth=2
	ds_read_b32 v12, v50 offset:6144
	v_mov_b32_e32 v13, v3
	v_mov_b32_e32 v102, s69
	s_waitcnt lgkmcnt(0)
	v_cmp_ne_u32_e64 s[46:47], s62, v12
	v_cndmask_b32_e64 v30, v73, v12, s[46:47]
	v_lshrrev_b32_e32 v30, s77, v30
	v_and_b32_e32 v30, s70, v30
	v_lshlrev_b32_e32 v30, 2, v30
	ds_read_b32 v30, v30
	v_cmp_lt_i32_e64 s[46:47], -1, v12
	v_cndmask_b32_e64 v104, v73, -1, s[46:47]
	v_xor_b32_e32 v104, v104, v12
	s_waitcnt lgkmcnt(0)
	v_add_u32_e32 v12, v30, v39
	v_lshlrev_b64 v[12:13], 2, v[12:13]
	v_add_co_u32_e64 v12, s[46:47], s68, v12
	v_addc_co_u32_e64 v13, s[46:47], v102, v13, s[46:47]
	global_store_dword v[12:13], v104, off
	s_or_b64 exec, exec, s[48:49]
	v_cmp_lt_u32_e64 s[46:47], v40, v101
	s_and_saveexec_b64 s[52:53], s[46:47]
	s_cbranch_execz .LBB1462_610
.LBB1462_646:                           ;   in Loop: Header=BB1462_563 Depth=2
	ds_read_b32 v12, v50 offset:7168
	v_mov_b32_e32 v13, v3
	v_mov_b32_e32 v102, s69
	s_waitcnt lgkmcnt(0)
	v_cmp_ne_u32_e64 s[48:49], s62, v12
	v_cndmask_b32_e64 v30, v73, v12, s[48:49]
	v_lshrrev_b32_e32 v30, s77, v30
	v_and_b32_e32 v30, s70, v30
	v_lshlrev_b32_e32 v30, 2, v30
	ds_read_b32 v30, v30
	v_cmp_lt_i32_e64 s[48:49], -1, v12
	v_cndmask_b32_e64 v104, v73, -1, s[48:49]
	v_xor_b32_e32 v104, v104, v12
	s_waitcnt lgkmcnt(0)
	v_add_u32_e32 v12, v30, v40
	v_lshlrev_b64 v[12:13], 2, v[12:13]
	v_add_co_u32_e64 v12, s[48:49], s68, v12
	v_addc_co_u32_e64 v13, s[48:49], v102, v13, s[48:49]
	global_store_dword v[12:13], v104, off
	s_or_b64 exec, exec, s[52:53]
	v_cmp_lt_u32_e64 s[48:49], v41, v101
	s_and_saveexec_b64 s[60:61], s[48:49]
	s_cbranch_execnz .LBB1462_611
	s_branch .LBB1462_612
.LBB1462_647:                           ;   in Loop: Header=BB1462_563 Depth=2
	global_load_dwordx2 v[28:29], v[12:13], off
	s_or_b64 exec, exec, s[52:53]
	v_cmp_lt_u32_e64 s[52:53], v91, v101
	s_and_saveexec_b64 s[60:61], s[52:53]
	s_cbranch_execz .LBB1462_614
.LBB1462_648:                           ;   in Loop: Header=BB1462_563 Depth=2
	global_load_dwordx2 v[26:27], v[12:13], off offset:512
	s_or_b64 exec, exec, s[60:61]
	v_cmp_lt_u32_e64 s[52:53], v92, v101
	s_and_saveexec_b64 s[60:61], s[52:53]
	s_cbranch_execz .LBB1462_615
.LBB1462_649:                           ;   in Loop: Header=BB1462_563 Depth=2
	global_load_dwordx2 v[24:25], v[12:13], off offset:1024
	s_or_b64 exec, exec, s[60:61]
	v_cmp_lt_u32_e64 s[52:53], v93, v101
	s_and_saveexec_b64 s[60:61], s[52:53]
	s_cbranch_execz .LBB1462_616
.LBB1462_650:                           ;   in Loop: Header=BB1462_563 Depth=2
	global_load_dwordx2 v[22:23], v[12:13], off offset:1536
	s_or_b64 exec, exec, s[60:61]
	v_cmp_lt_u32_e64 s[52:53], v94, v101
	s_and_saveexec_b64 s[60:61], s[52:53]
	s_cbranch_execz .LBB1462_617
.LBB1462_651:                           ;   in Loop: Header=BB1462_563 Depth=2
	global_load_dwordx2 v[20:21], v[12:13], off offset:2048
	s_or_b64 exec, exec, s[60:61]
	v_cmp_lt_u32_e64 s[52:53], v95, v101
	s_and_saveexec_b64 s[60:61], s[52:53]
	s_cbranch_execz .LBB1462_618
.LBB1462_652:                           ;   in Loop: Header=BB1462_563 Depth=2
	global_load_dwordx2 v[9:10], v[12:13], off offset:2560
	s_or_b64 exec, exec, s[60:61]
	v_cmp_lt_u32_e64 s[52:53], v96, v101
	s_and_saveexec_b64 s[60:61], s[52:53]
	s_cbranch_execz .LBB1462_619
.LBB1462_653:                           ;   in Loop: Header=BB1462_563 Depth=2
	global_load_dwordx2 v[7:8], v[12:13], off offset:3072
	s_or_b64 exec, exec, s[60:61]
	v_cmp_lt_u32_e64 s[52:53], v97, v101
	s_and_saveexec_b64 s[60:61], s[52:53]
	s_cbranch_execz .LBB1462_620
.LBB1462_654:                           ;   in Loop: Header=BB1462_563 Depth=2
	global_load_dwordx2 v[5:6], v[12:13], off offset:3584
	s_or_b64 exec, exec, s[60:61]
	s_and_saveexec_b64 s[60:61], vcc
	s_cbranch_execz .LBB1462_621
.LBB1462_655:                           ;   in Loop: Header=BB1462_563 Depth=2
	ds_read_b32 v12, v50 offset:1024
	s_waitcnt lgkmcnt(0)
	v_cmp_ne_u32_e64 s[52:53], s62, v12
	v_cndmask_b32_e64 v12, v73, v12, s[52:53]
	v_lshrrev_b32_e32 v12, s77, v12
	v_and_b32_e32 v90, s70, v12
	s_or_b64 exec, exec, s[60:61]
	s_and_saveexec_b64 s[60:61], s[36:37]
	s_cbranch_execz .LBB1462_622
.LBB1462_656:                           ;   in Loop: Header=BB1462_563 Depth=2
	ds_read_b32 v12, v50 offset:2048
	s_waitcnt lgkmcnt(0)
	v_cmp_ne_u32_e64 s[52:53], s62, v12
	v_cndmask_b32_e64 v12, v73, v12, s[52:53]
	v_lshrrev_b32_e32 v12, s77, v12
	v_and_b32_e32 v88, s70, v12
	s_or_b64 exec, exec, s[60:61]
	s_and_saveexec_b64 s[60:61], s[38:39]
	s_cbranch_execz .LBB1462_623
.LBB1462_657:                           ;   in Loop: Header=BB1462_563 Depth=2
	ds_read_b32 v12, v50 offset:3072
	s_waitcnt lgkmcnt(0)
	v_cmp_ne_u32_e64 s[52:53], s62, v12
	v_cndmask_b32_e64 v12, v73, v12, s[52:53]
	v_lshrrev_b32_e32 v12, s77, v12
	v_and_b32_e32 v86, s70, v12
	s_or_b64 exec, exec, s[60:61]
	s_and_saveexec_b64 s[60:61], s[40:41]
	s_cbranch_execz .LBB1462_624
.LBB1462_658:                           ;   in Loop: Header=BB1462_563 Depth=2
	ds_read_b32 v12, v50 offset:4096
	s_waitcnt lgkmcnt(0)
	v_cmp_ne_u32_e64 s[52:53], s62, v12
	v_cndmask_b32_e64 v12, v73, v12, s[52:53]
	v_lshrrev_b32_e32 v12, s77, v12
	v_and_b32_e32 v85, s70, v12
	s_or_b64 exec, exec, s[60:61]
	s_and_saveexec_b64 s[60:61], s[42:43]
	s_cbranch_execz .LBB1462_625
.LBB1462_659:                           ;   in Loop: Header=BB1462_563 Depth=2
	ds_read_b32 v12, v50 offset:5120
	s_waitcnt lgkmcnt(0)
	v_cmp_ne_u32_e64 s[52:53], s62, v12
	v_cndmask_b32_e64 v12, v73, v12, s[52:53]
	v_lshrrev_b32_e32 v12, s77, v12
	v_and_b32_e32 v83, s70, v12
	s_or_b64 exec, exec, s[60:61]
	s_and_saveexec_b64 s[60:61], s[44:45]
	s_cbranch_execz .LBB1462_626
.LBB1462_660:                           ;   in Loop: Header=BB1462_563 Depth=2
	ds_read_b32 v12, v50 offset:6144
	s_waitcnt lgkmcnt(0)
	v_cmp_ne_u32_e64 s[52:53], s62, v12
	v_cndmask_b32_e64 v12, v73, v12, s[52:53]
	v_lshrrev_b32_e32 v12, s77, v12
	v_and_b32_e32 v82, s70, v12
	s_or_b64 exec, exec, s[60:61]
	s_and_saveexec_b64 s[60:61], s[46:47]
	s_cbranch_execz .LBB1462_627
.LBB1462_661:                           ;   in Loop: Header=BB1462_563 Depth=2
	ds_read_b32 v12, v50 offset:7168
	s_waitcnt lgkmcnt(0)
	v_cmp_ne_u32_e64 s[52:53], s62, v12
	v_cndmask_b32_e64 v12, v73, v12, s[52:53]
	v_lshrrev_b32_e32 v12, s77, v12
	v_and_b32_e32 v81, s70, v12
	s_or_b64 exec, exec, s[60:61]
	s_and_saveexec_b64 s[60:61], s[48:49]
	s_cbranch_execnz .LBB1462_628
	s_branch .LBB1462_629
.LBB1462_662:                           ;   in Loop: Header=BB1462_563 Depth=2
	v_lshlrev_b32_e32 v13, 2, v90
	ds_read_b32 v15, v13
	ds_read_b64 v[13:14], v12 offset:1024
	v_mov_b32_e32 v16, v3
	v_mov_b32_e32 v17, s75
	s_waitcnt lgkmcnt(1)
	v_add_u32_e32 v15, v15, v0
	v_lshlrev_b64 v[15:16], 3, v[15:16]
	v_add_co_u32_e32 v15, vcc, s74, v15
	v_addc_co_u32_e32 v16, vcc, v17, v16, vcc
	s_waitcnt lgkmcnt(0)
	global_store_dwordx2 v[15:16], v[13:14], off
	s_or_b64 exec, exec, s[52:53]
	s_and_saveexec_b64 s[52:53], s[36:37]
	s_cbranch_execz .LBB1462_631
.LBB1462_663:                           ;   in Loop: Header=BB1462_563 Depth=2
	v_lshlrev_b32_e32 v13, 2, v88
	ds_read_b32 v15, v13
	ds_read_b64 v[13:14], v12 offset:3072
	v_mov_b32_e32 v16, v3
	v_mov_b32_e32 v17, s75
	s_waitcnt lgkmcnt(1)
	v_add_u32_e32 v15, v15, v33
	v_lshlrev_b64 v[15:16], 3, v[15:16]
	v_add_co_u32_e32 v15, vcc, s74, v15
	v_addc_co_u32_e32 v16, vcc, v17, v16, vcc
	s_waitcnt lgkmcnt(0)
	global_store_dwordx2 v[15:16], v[13:14], off
	s_or_b64 exec, exec, s[52:53]
	s_and_saveexec_b64 s[36:37], s[38:39]
	s_cbranch_execz .LBB1462_632
.LBB1462_664:                           ;   in Loop: Header=BB1462_563 Depth=2
	v_lshlrev_b32_e32 v13, 2, v86
	ds_read_b32 v15, v13
	ds_read_b64 v[13:14], v12 offset:5120
	v_mov_b32_e32 v16, v3
	v_mov_b32_e32 v17, s75
	s_waitcnt lgkmcnt(1)
	v_add_u32_e32 v15, v15, v34
	v_lshlrev_b64 v[15:16], 3, v[15:16]
	v_add_co_u32_e32 v15, vcc, s74, v15
	v_addc_co_u32_e32 v16, vcc, v17, v16, vcc
	s_waitcnt lgkmcnt(0)
	global_store_dwordx2 v[15:16], v[13:14], off
	s_or_b64 exec, exec, s[36:37]
	s_and_saveexec_b64 s[36:37], s[40:41]
	s_cbranch_execz .LBB1462_633
.LBB1462_665:                           ;   in Loop: Header=BB1462_563 Depth=2
	v_lshlrev_b32_e32 v13, 2, v85
	ds_read_b32 v15, v13
	ds_read_b64 v[13:14], v12 offset:7168
	v_mov_b32_e32 v16, v3
	v_mov_b32_e32 v17, s75
	s_waitcnt lgkmcnt(1)
	v_add_u32_e32 v15, v15, v35
	v_lshlrev_b64 v[15:16], 3, v[15:16]
	v_add_co_u32_e32 v15, vcc, s74, v15
	v_addc_co_u32_e32 v16, vcc, v17, v16, vcc
	s_waitcnt lgkmcnt(0)
	global_store_dwordx2 v[15:16], v[13:14], off
	s_or_b64 exec, exec, s[36:37]
	s_and_saveexec_b64 s[36:37], s[42:43]
	s_cbranch_execz .LBB1462_634
.LBB1462_666:                           ;   in Loop: Header=BB1462_563 Depth=2
	v_lshlrev_b32_e32 v13, 2, v83
	ds_read_b32 v15, v13
	ds_read_b64 v[13:14], v12 offset:9216
	v_mov_b32_e32 v16, v3
	v_mov_b32_e32 v17, s75
	s_waitcnt lgkmcnt(1)
	v_add_u32_e32 v15, v15, v38
	v_lshlrev_b64 v[15:16], 3, v[15:16]
	v_add_co_u32_e32 v15, vcc, s74, v15
	v_addc_co_u32_e32 v16, vcc, v17, v16, vcc
	s_waitcnt lgkmcnt(0)
	global_store_dwordx2 v[15:16], v[13:14], off
	s_or_b64 exec, exec, s[36:37]
	s_and_saveexec_b64 s[36:37], s[44:45]
	s_cbranch_execz .LBB1462_635
.LBB1462_667:                           ;   in Loop: Header=BB1462_563 Depth=2
	v_lshlrev_b32_e32 v13, 2, v82
	ds_read_b32 v15, v13
	ds_read_b64 v[13:14], v12 offset:11264
	v_mov_b32_e32 v16, v3
	v_mov_b32_e32 v17, s75
	s_waitcnt lgkmcnt(1)
	v_add_u32_e32 v15, v15, v39
	v_lshlrev_b64 v[15:16], 3, v[15:16]
	v_add_co_u32_e32 v15, vcc, s74, v15
	v_addc_co_u32_e32 v16, vcc, v17, v16, vcc
	s_waitcnt lgkmcnt(0)
	global_store_dwordx2 v[15:16], v[13:14], off
	s_or_b64 exec, exec, s[36:37]
	s_and_saveexec_b64 s[36:37], s[46:47]
	s_cbranch_execz .LBB1462_636
.LBB1462_668:                           ;   in Loop: Header=BB1462_563 Depth=2
	v_lshlrev_b32_e32 v13, 2, v81
	ds_read_b32 v15, v13
	ds_read_b64 v[13:14], v12 offset:13312
	v_mov_b32_e32 v16, v3
	v_mov_b32_e32 v17, s75
	s_waitcnt lgkmcnt(1)
	v_add_u32_e32 v15, v15, v40
	v_lshlrev_b64 v[15:16], 3, v[15:16]
	v_add_co_u32_e32 v15, vcc, s74, v15
	v_addc_co_u32_e32 v16, vcc, v17, v16, vcc
	s_waitcnt lgkmcnt(0)
	global_store_dwordx2 v[15:16], v[13:14], off
	s_or_b64 exec, exec, s[36:37]
	s_and_saveexec_b64 s[36:37], s[48:49]
	s_cbranch_execnz .LBB1462_637
	s_branch .LBB1462_638
.LBB1462_669:                           ;   in Loop: Header=BB1462_563 Depth=2
	global_load_dword v12, v[30:31], off
	v_mov_b32_e32 v13, v11
	v_mov_b32_e32 v14, v11
	v_mov_b32_e32 v15, v11
	v_mov_b32_e32 v16, v11
	v_mov_b32_e32 v17, v11
	v_mov_b32_e32 v18, v11
	v_mov_b32_e32 v19, v11
	s_or_b64 exec, exec, s[36:37]
	v_cmp_gt_u32_e32 vcc, s71, v91
	s_and_saveexec_b64 s[36:37], vcc
	s_cbranch_execz .LBB1462_568
.LBB1462_670:                           ;   in Loop: Header=BB1462_563 Depth=2
	global_load_dword v13, v[30:31], off offset:256
	s_or_b64 exec, exec, s[36:37]
	v_cmp_gt_u32_e32 vcc, s71, v92
	s_and_saveexec_b64 s[36:37], vcc
	s_cbranch_execz .LBB1462_569
.LBB1462_671:                           ;   in Loop: Header=BB1462_563 Depth=2
	global_load_dword v14, v[30:31], off offset:512
	s_or_b64 exec, exec, s[36:37]
	v_cmp_gt_u32_e32 vcc, s71, v93
	s_and_saveexec_b64 s[36:37], vcc
	s_cbranch_execz .LBB1462_570
.LBB1462_672:                           ;   in Loop: Header=BB1462_563 Depth=2
	global_load_dword v15, v[30:31], off offset:768
	s_or_b64 exec, exec, s[36:37]
	v_cmp_gt_u32_e32 vcc, s71, v94
	s_and_saveexec_b64 s[36:37], vcc
	s_cbranch_execz .LBB1462_571
.LBB1462_673:                           ;   in Loop: Header=BB1462_563 Depth=2
	global_load_dword v16, v[30:31], off offset:1024
	s_or_b64 exec, exec, s[36:37]
	v_cmp_gt_u32_e32 vcc, s71, v95
	s_and_saveexec_b64 s[36:37], vcc
	s_cbranch_execz .LBB1462_572
.LBB1462_674:                           ;   in Loop: Header=BB1462_563 Depth=2
	global_load_dword v17, v[30:31], off offset:1280
	s_or_b64 exec, exec, s[36:37]
	v_cmp_gt_u32_e32 vcc, s71, v96
	s_and_saveexec_b64 s[36:37], vcc
	s_cbranch_execnz .LBB1462_573
	s_branch .LBB1462_574
.LBB1462_675:
	s_endpgm
	.section	.rodata,"a",@progbits
	.p2align	6, 0x0
	.amdhsa_kernel _ZN7rocprim17ROCPRIM_400000_NS6detail17trampoline_kernelINS0_14default_configENS1_36segmented_radix_sort_config_selectorIflEEZNS1_25segmented_radix_sort_implIS3_Lb0EPKfPfPKlPlN2at6native12_GLOBAL__N_18offset_tEEE10hipError_tPvRmT1_PNSt15iterator_traitsISK_E10value_typeET2_T3_PNSL_ISQ_E10value_typeET4_jRbjT5_SW_jjP12ihipStream_tbEUlT_E2_NS1_11comp_targetILNS1_3genE2ELNS1_11target_archE906ELNS1_3gpuE6ELNS1_3repE0EEENS1_30default_config_static_selectorELNS0_4arch9wavefront6targetE1EEEvSK_
		.amdhsa_group_segment_fixed_size 17424
		.amdhsa_private_segment_fixed_size 0
		.amdhsa_kernarg_size 336
		.amdhsa_user_sgpr_count 6
		.amdhsa_user_sgpr_private_segment_buffer 1
		.amdhsa_user_sgpr_dispatch_ptr 0
		.amdhsa_user_sgpr_queue_ptr 0
		.amdhsa_user_sgpr_kernarg_segment_ptr 1
		.amdhsa_user_sgpr_dispatch_id 0
		.amdhsa_user_sgpr_flat_scratch_init 0
		.amdhsa_user_sgpr_private_segment_size 0
		.amdhsa_uses_dynamic_stack 0
		.amdhsa_system_sgpr_private_segment_wavefront_offset 0
		.amdhsa_system_sgpr_workgroup_id_x 1
		.amdhsa_system_sgpr_workgroup_id_y 1
		.amdhsa_system_sgpr_workgroup_id_z 0
		.amdhsa_system_sgpr_workgroup_info 0
		.amdhsa_system_vgpr_workitem_id 2
		.amdhsa_next_free_vgpr 178
		.amdhsa_next_free_sgpr 98
		.amdhsa_reserve_vcc 1
		.amdhsa_reserve_flat_scratch 0
		.amdhsa_float_round_mode_32 0
		.amdhsa_float_round_mode_16_64 0
		.amdhsa_float_denorm_mode_32 3
		.amdhsa_float_denorm_mode_16_64 3
		.amdhsa_dx10_clamp 1
		.amdhsa_ieee_mode 1
		.amdhsa_fp16_overflow 0
		.amdhsa_exception_fp_ieee_invalid_op 0
		.amdhsa_exception_fp_denorm_src 0
		.amdhsa_exception_fp_ieee_div_zero 0
		.amdhsa_exception_fp_ieee_overflow 0
		.amdhsa_exception_fp_ieee_underflow 0
		.amdhsa_exception_fp_ieee_inexact 0
		.amdhsa_exception_int_div_zero 0
	.end_amdhsa_kernel
	.section	.text._ZN7rocprim17ROCPRIM_400000_NS6detail17trampoline_kernelINS0_14default_configENS1_36segmented_radix_sort_config_selectorIflEEZNS1_25segmented_radix_sort_implIS3_Lb0EPKfPfPKlPlN2at6native12_GLOBAL__N_18offset_tEEE10hipError_tPvRmT1_PNSt15iterator_traitsISK_E10value_typeET2_T3_PNSL_ISQ_E10value_typeET4_jRbjT5_SW_jjP12ihipStream_tbEUlT_E2_NS1_11comp_targetILNS1_3genE2ELNS1_11target_archE906ELNS1_3gpuE6ELNS1_3repE0EEENS1_30default_config_static_selectorELNS0_4arch9wavefront6targetE1EEEvSK_,"axG",@progbits,_ZN7rocprim17ROCPRIM_400000_NS6detail17trampoline_kernelINS0_14default_configENS1_36segmented_radix_sort_config_selectorIflEEZNS1_25segmented_radix_sort_implIS3_Lb0EPKfPfPKlPlN2at6native12_GLOBAL__N_18offset_tEEE10hipError_tPvRmT1_PNSt15iterator_traitsISK_E10value_typeET2_T3_PNSL_ISQ_E10value_typeET4_jRbjT5_SW_jjP12ihipStream_tbEUlT_E2_NS1_11comp_targetILNS1_3genE2ELNS1_11target_archE906ELNS1_3gpuE6ELNS1_3repE0EEENS1_30default_config_static_selectorELNS0_4arch9wavefront6targetE1EEEvSK_,comdat
.Lfunc_end1462:
	.size	_ZN7rocprim17ROCPRIM_400000_NS6detail17trampoline_kernelINS0_14default_configENS1_36segmented_radix_sort_config_selectorIflEEZNS1_25segmented_radix_sort_implIS3_Lb0EPKfPfPKlPlN2at6native12_GLOBAL__N_18offset_tEEE10hipError_tPvRmT1_PNSt15iterator_traitsISK_E10value_typeET2_T3_PNSL_ISQ_E10value_typeET4_jRbjT5_SW_jjP12ihipStream_tbEUlT_E2_NS1_11comp_targetILNS1_3genE2ELNS1_11target_archE906ELNS1_3gpuE6ELNS1_3repE0EEENS1_30default_config_static_selectorELNS0_4arch9wavefront6targetE1EEEvSK_, .Lfunc_end1462-_ZN7rocprim17ROCPRIM_400000_NS6detail17trampoline_kernelINS0_14default_configENS1_36segmented_radix_sort_config_selectorIflEEZNS1_25segmented_radix_sort_implIS3_Lb0EPKfPfPKlPlN2at6native12_GLOBAL__N_18offset_tEEE10hipError_tPvRmT1_PNSt15iterator_traitsISK_E10value_typeET2_T3_PNSL_ISQ_E10value_typeET4_jRbjT5_SW_jjP12ihipStream_tbEUlT_E2_NS1_11comp_targetILNS1_3genE2ELNS1_11target_archE906ELNS1_3gpuE6ELNS1_3repE0EEENS1_30default_config_static_selectorELNS0_4arch9wavefront6targetE1EEEvSK_
                                        ; -- End function
	.set _ZN7rocprim17ROCPRIM_400000_NS6detail17trampoline_kernelINS0_14default_configENS1_36segmented_radix_sort_config_selectorIflEEZNS1_25segmented_radix_sort_implIS3_Lb0EPKfPfPKlPlN2at6native12_GLOBAL__N_18offset_tEEE10hipError_tPvRmT1_PNSt15iterator_traitsISK_E10value_typeET2_T3_PNSL_ISQ_E10value_typeET4_jRbjT5_SW_jjP12ihipStream_tbEUlT_E2_NS1_11comp_targetILNS1_3genE2ELNS1_11target_archE906ELNS1_3gpuE6ELNS1_3repE0EEENS1_30default_config_static_selectorELNS0_4arch9wavefront6targetE1EEEvSK_.num_vgpr, max(131, .L_ZN7rocprim17ROCPRIM_400000_NS6detail26segmented_warp_sort_helperINS1_20WarpSortHelperConfigILj8ELj4ELj256EEEflLi256ELb0EvE4sortIPKfPfPKlPlEEvT_S9_T0_T1_SC_T2_bjjjjRNS5_12storage_typeE.num_vgpr, .L_ZN7rocprim17ROCPRIM_400000_NS6detail40segmented_radix_sort_single_block_helperIflLj256ELj8ELb0EE4sortIPKfPfPKlPlEEbT_T0_T1_T2_jjjjRNS3_12storage_typeE.num_vgpr)
	.set _ZN7rocprim17ROCPRIM_400000_NS6detail17trampoline_kernelINS0_14default_configENS1_36segmented_radix_sort_config_selectorIflEEZNS1_25segmented_radix_sort_implIS3_Lb0EPKfPfPKlPlN2at6native12_GLOBAL__N_18offset_tEEE10hipError_tPvRmT1_PNSt15iterator_traitsISK_E10value_typeET2_T3_PNSL_ISQ_E10value_typeET4_jRbjT5_SW_jjP12ihipStream_tbEUlT_E2_NS1_11comp_targetILNS1_3genE2ELNS1_11target_archE906ELNS1_3gpuE6ELNS1_3repE0EEENS1_30default_config_static_selectorELNS0_4arch9wavefront6targetE1EEEvSK_.num_agpr, max(0, .L_ZN7rocprim17ROCPRIM_400000_NS6detail26segmented_warp_sort_helperINS1_20WarpSortHelperConfigILj8ELj4ELj256EEEflLi256ELb0EvE4sortIPKfPfPKlPlEEvT_S9_T0_T1_SC_T2_bjjjjRNS5_12storage_typeE.num_agpr, .L_ZN7rocprim17ROCPRIM_400000_NS6detail40segmented_radix_sort_single_block_helperIflLj256ELj8ELb0EE4sortIPKfPfPKlPlEEbT_T0_T1_T2_jjjjRNS3_12storage_typeE.num_agpr)
	.set _ZN7rocprim17ROCPRIM_400000_NS6detail17trampoline_kernelINS0_14default_configENS1_36segmented_radix_sort_config_selectorIflEEZNS1_25segmented_radix_sort_implIS3_Lb0EPKfPfPKlPlN2at6native12_GLOBAL__N_18offset_tEEE10hipError_tPvRmT1_PNSt15iterator_traitsISK_E10value_typeET2_T3_PNSL_ISQ_E10value_typeET4_jRbjT5_SW_jjP12ihipStream_tbEUlT_E2_NS1_11comp_targetILNS1_3genE2ELNS1_11target_archE906ELNS1_3gpuE6ELNS1_3repE0EEENS1_30default_config_static_selectorELNS0_4arch9wavefront6targetE1EEEvSK_.numbered_sgpr, max(81, .L_ZN7rocprim17ROCPRIM_400000_NS6detail26segmented_warp_sort_helperINS1_20WarpSortHelperConfigILj8ELj4ELj256EEEflLi256ELb0EvE4sortIPKfPfPKlPlEEvT_S9_T0_T1_SC_T2_bjjjjRNS5_12storage_typeE.numbered_sgpr, .L_ZN7rocprim17ROCPRIM_400000_NS6detail40segmented_radix_sort_single_block_helperIflLj256ELj8ELb0EE4sortIPKfPfPKlPlEEbT_T0_T1_T2_jjjjRNS3_12storage_typeE.numbered_sgpr)
	.set _ZN7rocprim17ROCPRIM_400000_NS6detail17trampoline_kernelINS0_14default_configENS1_36segmented_radix_sort_config_selectorIflEEZNS1_25segmented_radix_sort_implIS3_Lb0EPKfPfPKlPlN2at6native12_GLOBAL__N_18offset_tEEE10hipError_tPvRmT1_PNSt15iterator_traitsISK_E10value_typeET2_T3_PNSL_ISQ_E10value_typeET4_jRbjT5_SW_jjP12ihipStream_tbEUlT_E2_NS1_11comp_targetILNS1_3genE2ELNS1_11target_archE906ELNS1_3gpuE6ELNS1_3repE0EEENS1_30default_config_static_selectorELNS0_4arch9wavefront6targetE1EEEvSK_.num_named_barrier, max(0, .L_ZN7rocprim17ROCPRIM_400000_NS6detail26segmented_warp_sort_helperINS1_20WarpSortHelperConfigILj8ELj4ELj256EEEflLi256ELb0EvE4sortIPKfPfPKlPlEEvT_S9_T0_T1_SC_T2_bjjjjRNS5_12storage_typeE.num_named_barrier, .L_ZN7rocprim17ROCPRIM_400000_NS6detail40segmented_radix_sort_single_block_helperIflLj256ELj8ELb0EE4sortIPKfPfPKlPlEEbT_T0_T1_T2_jjjjRNS3_12storage_typeE.num_named_barrier)
	.set _ZN7rocprim17ROCPRIM_400000_NS6detail17trampoline_kernelINS0_14default_configENS1_36segmented_radix_sort_config_selectorIflEEZNS1_25segmented_radix_sort_implIS3_Lb0EPKfPfPKlPlN2at6native12_GLOBAL__N_18offset_tEEE10hipError_tPvRmT1_PNSt15iterator_traitsISK_E10value_typeET2_T3_PNSL_ISQ_E10value_typeET4_jRbjT5_SW_jjP12ihipStream_tbEUlT_E2_NS1_11comp_targetILNS1_3genE2ELNS1_11target_archE906ELNS1_3gpuE6ELNS1_3repE0EEENS1_30default_config_static_selectorELNS0_4arch9wavefront6targetE1EEEvSK_.private_seg_size, 0+max(.L_ZN7rocprim17ROCPRIM_400000_NS6detail26segmented_warp_sort_helperINS1_20WarpSortHelperConfigILj8ELj4ELj256EEEflLi256ELb0EvE4sortIPKfPfPKlPlEEvT_S9_T0_T1_SC_T2_bjjjjRNS5_12storage_typeE.private_seg_size, .L_ZN7rocprim17ROCPRIM_400000_NS6detail40segmented_radix_sort_single_block_helperIflLj256ELj8ELb0EE4sortIPKfPfPKlPlEEbT_T0_T1_T2_jjjjRNS3_12storage_typeE.private_seg_size)
	.set _ZN7rocprim17ROCPRIM_400000_NS6detail17trampoline_kernelINS0_14default_configENS1_36segmented_radix_sort_config_selectorIflEEZNS1_25segmented_radix_sort_implIS3_Lb0EPKfPfPKlPlN2at6native12_GLOBAL__N_18offset_tEEE10hipError_tPvRmT1_PNSt15iterator_traitsISK_E10value_typeET2_T3_PNSL_ISQ_E10value_typeET4_jRbjT5_SW_jjP12ihipStream_tbEUlT_E2_NS1_11comp_targetILNS1_3genE2ELNS1_11target_archE906ELNS1_3gpuE6ELNS1_3repE0EEENS1_30default_config_static_selectorELNS0_4arch9wavefront6targetE1EEEvSK_.uses_vcc, or(1, .L_ZN7rocprim17ROCPRIM_400000_NS6detail26segmented_warp_sort_helperINS1_20WarpSortHelperConfigILj8ELj4ELj256EEEflLi256ELb0EvE4sortIPKfPfPKlPlEEvT_S9_T0_T1_SC_T2_bjjjjRNS5_12storage_typeE.uses_vcc, .L_ZN7rocprim17ROCPRIM_400000_NS6detail40segmented_radix_sort_single_block_helperIflLj256ELj8ELb0EE4sortIPKfPfPKlPlEEbT_T0_T1_T2_jjjjRNS3_12storage_typeE.uses_vcc)
	.set _ZN7rocprim17ROCPRIM_400000_NS6detail17trampoline_kernelINS0_14default_configENS1_36segmented_radix_sort_config_selectorIflEEZNS1_25segmented_radix_sort_implIS3_Lb0EPKfPfPKlPlN2at6native12_GLOBAL__N_18offset_tEEE10hipError_tPvRmT1_PNSt15iterator_traitsISK_E10value_typeET2_T3_PNSL_ISQ_E10value_typeET4_jRbjT5_SW_jjP12ihipStream_tbEUlT_E2_NS1_11comp_targetILNS1_3genE2ELNS1_11target_archE906ELNS1_3gpuE6ELNS1_3repE0EEENS1_30default_config_static_selectorELNS0_4arch9wavefront6targetE1EEEvSK_.uses_flat_scratch, or(0, .L_ZN7rocprim17ROCPRIM_400000_NS6detail26segmented_warp_sort_helperINS1_20WarpSortHelperConfigILj8ELj4ELj256EEEflLi256ELb0EvE4sortIPKfPfPKlPlEEvT_S9_T0_T1_SC_T2_bjjjjRNS5_12storage_typeE.uses_flat_scratch, .L_ZN7rocprim17ROCPRIM_400000_NS6detail40segmented_radix_sort_single_block_helperIflLj256ELj8ELb0EE4sortIPKfPfPKlPlEEbT_T0_T1_T2_jjjjRNS3_12storage_typeE.uses_flat_scratch)
	.set _ZN7rocprim17ROCPRIM_400000_NS6detail17trampoline_kernelINS0_14default_configENS1_36segmented_radix_sort_config_selectorIflEEZNS1_25segmented_radix_sort_implIS3_Lb0EPKfPfPKlPlN2at6native12_GLOBAL__N_18offset_tEEE10hipError_tPvRmT1_PNSt15iterator_traitsISK_E10value_typeET2_T3_PNSL_ISQ_E10value_typeET4_jRbjT5_SW_jjP12ihipStream_tbEUlT_E2_NS1_11comp_targetILNS1_3genE2ELNS1_11target_archE906ELNS1_3gpuE6ELNS1_3repE0EEENS1_30default_config_static_selectorELNS0_4arch9wavefront6targetE1EEEvSK_.has_dyn_sized_stack, or(0, .L_ZN7rocprim17ROCPRIM_400000_NS6detail26segmented_warp_sort_helperINS1_20WarpSortHelperConfigILj8ELj4ELj256EEEflLi256ELb0EvE4sortIPKfPfPKlPlEEvT_S9_T0_T1_SC_T2_bjjjjRNS5_12storage_typeE.has_dyn_sized_stack, .L_ZN7rocprim17ROCPRIM_400000_NS6detail40segmented_radix_sort_single_block_helperIflLj256ELj8ELb0EE4sortIPKfPfPKlPlEEbT_T0_T1_T2_jjjjRNS3_12storage_typeE.has_dyn_sized_stack)
	.set _ZN7rocprim17ROCPRIM_400000_NS6detail17trampoline_kernelINS0_14default_configENS1_36segmented_radix_sort_config_selectorIflEEZNS1_25segmented_radix_sort_implIS3_Lb0EPKfPfPKlPlN2at6native12_GLOBAL__N_18offset_tEEE10hipError_tPvRmT1_PNSt15iterator_traitsISK_E10value_typeET2_T3_PNSL_ISQ_E10value_typeET4_jRbjT5_SW_jjP12ihipStream_tbEUlT_E2_NS1_11comp_targetILNS1_3genE2ELNS1_11target_archE906ELNS1_3gpuE6ELNS1_3repE0EEENS1_30default_config_static_selectorELNS0_4arch9wavefront6targetE1EEEvSK_.has_recursion, or(0, .L_ZN7rocprim17ROCPRIM_400000_NS6detail26segmented_warp_sort_helperINS1_20WarpSortHelperConfigILj8ELj4ELj256EEEflLi256ELb0EvE4sortIPKfPfPKlPlEEvT_S9_T0_T1_SC_T2_bjjjjRNS5_12storage_typeE.has_recursion, .L_ZN7rocprim17ROCPRIM_400000_NS6detail40segmented_radix_sort_single_block_helperIflLj256ELj8ELb0EE4sortIPKfPfPKlPlEEbT_T0_T1_T2_jjjjRNS3_12storage_typeE.has_recursion)
	.set _ZN7rocprim17ROCPRIM_400000_NS6detail17trampoline_kernelINS0_14default_configENS1_36segmented_radix_sort_config_selectorIflEEZNS1_25segmented_radix_sort_implIS3_Lb0EPKfPfPKlPlN2at6native12_GLOBAL__N_18offset_tEEE10hipError_tPvRmT1_PNSt15iterator_traitsISK_E10value_typeET2_T3_PNSL_ISQ_E10value_typeET4_jRbjT5_SW_jjP12ihipStream_tbEUlT_E2_NS1_11comp_targetILNS1_3genE2ELNS1_11target_archE906ELNS1_3gpuE6ELNS1_3repE0EEENS1_30default_config_static_selectorELNS0_4arch9wavefront6targetE1EEEvSK_.has_indirect_call, or(0, .L_ZN7rocprim17ROCPRIM_400000_NS6detail26segmented_warp_sort_helperINS1_20WarpSortHelperConfigILj8ELj4ELj256EEEflLi256ELb0EvE4sortIPKfPfPKlPlEEvT_S9_T0_T1_SC_T2_bjjjjRNS5_12storage_typeE.has_indirect_call, .L_ZN7rocprim17ROCPRIM_400000_NS6detail40segmented_radix_sort_single_block_helperIflLj256ELj8ELb0EE4sortIPKfPfPKlPlEEbT_T0_T1_T2_jjjjRNS3_12storage_typeE.has_indirect_call)
	.section	.AMDGPU.csdata,"",@progbits
; Kernel info:
; codeLenInByte = 38392
; TotalNumSgprs: 85
; NumVgprs: 178
; ScratchSize: 0
; MemoryBound: 0
; FloatMode: 240
; IeeeMode: 1
; LDSByteSize: 17424 bytes/workgroup (compile time only)
; SGPRBlocks: 12
; VGPRBlocks: 44
; NumSGPRsForWavesPerEU: 102
; NumVGPRsForWavesPerEU: 178
; Occupancy: 1
; WaveLimiterHint : 1
; COMPUTE_PGM_RSRC2:SCRATCH_EN: 0
; COMPUTE_PGM_RSRC2:USER_SGPR: 6
; COMPUTE_PGM_RSRC2:TRAP_HANDLER: 0
; COMPUTE_PGM_RSRC2:TGID_X_EN: 1
; COMPUTE_PGM_RSRC2:TGID_Y_EN: 1
; COMPUTE_PGM_RSRC2:TGID_Z_EN: 0
; COMPUTE_PGM_RSRC2:TIDIG_COMP_CNT: 2
	.section	.text._ZN7rocprim17ROCPRIM_400000_NS6detail17trampoline_kernelINS0_14default_configENS1_36segmented_radix_sort_config_selectorIflEEZNS1_25segmented_radix_sort_implIS3_Lb0EPKfPfPKlPlN2at6native12_GLOBAL__N_18offset_tEEE10hipError_tPvRmT1_PNSt15iterator_traitsISK_E10value_typeET2_T3_PNSL_ISQ_E10value_typeET4_jRbjT5_SW_jjP12ihipStream_tbEUlT_E2_NS1_11comp_targetILNS1_3genE10ELNS1_11target_archE1201ELNS1_3gpuE5ELNS1_3repE0EEENS1_30default_config_static_selectorELNS0_4arch9wavefront6targetE1EEEvSK_,"axG",@progbits,_ZN7rocprim17ROCPRIM_400000_NS6detail17trampoline_kernelINS0_14default_configENS1_36segmented_radix_sort_config_selectorIflEEZNS1_25segmented_radix_sort_implIS3_Lb0EPKfPfPKlPlN2at6native12_GLOBAL__N_18offset_tEEE10hipError_tPvRmT1_PNSt15iterator_traitsISK_E10value_typeET2_T3_PNSL_ISQ_E10value_typeET4_jRbjT5_SW_jjP12ihipStream_tbEUlT_E2_NS1_11comp_targetILNS1_3genE10ELNS1_11target_archE1201ELNS1_3gpuE5ELNS1_3repE0EEENS1_30default_config_static_selectorELNS0_4arch9wavefront6targetE1EEEvSK_,comdat
	.globl	_ZN7rocprim17ROCPRIM_400000_NS6detail17trampoline_kernelINS0_14default_configENS1_36segmented_radix_sort_config_selectorIflEEZNS1_25segmented_radix_sort_implIS3_Lb0EPKfPfPKlPlN2at6native12_GLOBAL__N_18offset_tEEE10hipError_tPvRmT1_PNSt15iterator_traitsISK_E10value_typeET2_T3_PNSL_ISQ_E10value_typeET4_jRbjT5_SW_jjP12ihipStream_tbEUlT_E2_NS1_11comp_targetILNS1_3genE10ELNS1_11target_archE1201ELNS1_3gpuE5ELNS1_3repE0EEENS1_30default_config_static_selectorELNS0_4arch9wavefront6targetE1EEEvSK_ ; -- Begin function _ZN7rocprim17ROCPRIM_400000_NS6detail17trampoline_kernelINS0_14default_configENS1_36segmented_radix_sort_config_selectorIflEEZNS1_25segmented_radix_sort_implIS3_Lb0EPKfPfPKlPlN2at6native12_GLOBAL__N_18offset_tEEE10hipError_tPvRmT1_PNSt15iterator_traitsISK_E10value_typeET2_T3_PNSL_ISQ_E10value_typeET4_jRbjT5_SW_jjP12ihipStream_tbEUlT_E2_NS1_11comp_targetILNS1_3genE10ELNS1_11target_archE1201ELNS1_3gpuE5ELNS1_3repE0EEENS1_30default_config_static_selectorELNS0_4arch9wavefront6targetE1EEEvSK_
	.p2align	8
	.type	_ZN7rocprim17ROCPRIM_400000_NS6detail17trampoline_kernelINS0_14default_configENS1_36segmented_radix_sort_config_selectorIflEEZNS1_25segmented_radix_sort_implIS3_Lb0EPKfPfPKlPlN2at6native12_GLOBAL__N_18offset_tEEE10hipError_tPvRmT1_PNSt15iterator_traitsISK_E10value_typeET2_T3_PNSL_ISQ_E10value_typeET4_jRbjT5_SW_jjP12ihipStream_tbEUlT_E2_NS1_11comp_targetILNS1_3genE10ELNS1_11target_archE1201ELNS1_3gpuE5ELNS1_3repE0EEENS1_30default_config_static_selectorELNS0_4arch9wavefront6targetE1EEEvSK_,@function
_ZN7rocprim17ROCPRIM_400000_NS6detail17trampoline_kernelINS0_14default_configENS1_36segmented_radix_sort_config_selectorIflEEZNS1_25segmented_radix_sort_implIS3_Lb0EPKfPfPKlPlN2at6native12_GLOBAL__N_18offset_tEEE10hipError_tPvRmT1_PNSt15iterator_traitsISK_E10value_typeET2_T3_PNSL_ISQ_E10value_typeET4_jRbjT5_SW_jjP12ihipStream_tbEUlT_E2_NS1_11comp_targetILNS1_3genE10ELNS1_11target_archE1201ELNS1_3gpuE5ELNS1_3repE0EEENS1_30default_config_static_selectorELNS0_4arch9wavefront6targetE1EEEvSK_: ; @_ZN7rocprim17ROCPRIM_400000_NS6detail17trampoline_kernelINS0_14default_configENS1_36segmented_radix_sort_config_selectorIflEEZNS1_25segmented_radix_sort_implIS3_Lb0EPKfPfPKlPlN2at6native12_GLOBAL__N_18offset_tEEE10hipError_tPvRmT1_PNSt15iterator_traitsISK_E10value_typeET2_T3_PNSL_ISQ_E10value_typeET4_jRbjT5_SW_jjP12ihipStream_tbEUlT_E2_NS1_11comp_targetILNS1_3genE10ELNS1_11target_archE1201ELNS1_3gpuE5ELNS1_3repE0EEENS1_30default_config_static_selectorELNS0_4arch9wavefront6targetE1EEEvSK_
; %bb.0:
	.section	.rodata,"a",@progbits
	.p2align	6, 0x0
	.amdhsa_kernel _ZN7rocprim17ROCPRIM_400000_NS6detail17trampoline_kernelINS0_14default_configENS1_36segmented_radix_sort_config_selectorIflEEZNS1_25segmented_radix_sort_implIS3_Lb0EPKfPfPKlPlN2at6native12_GLOBAL__N_18offset_tEEE10hipError_tPvRmT1_PNSt15iterator_traitsISK_E10value_typeET2_T3_PNSL_ISQ_E10value_typeET4_jRbjT5_SW_jjP12ihipStream_tbEUlT_E2_NS1_11comp_targetILNS1_3genE10ELNS1_11target_archE1201ELNS1_3gpuE5ELNS1_3repE0EEENS1_30default_config_static_selectorELNS0_4arch9wavefront6targetE1EEEvSK_
		.amdhsa_group_segment_fixed_size 0
		.amdhsa_private_segment_fixed_size 0
		.amdhsa_kernarg_size 80
		.amdhsa_user_sgpr_count 6
		.amdhsa_user_sgpr_private_segment_buffer 1
		.amdhsa_user_sgpr_dispatch_ptr 0
		.amdhsa_user_sgpr_queue_ptr 0
		.amdhsa_user_sgpr_kernarg_segment_ptr 1
		.amdhsa_user_sgpr_dispatch_id 0
		.amdhsa_user_sgpr_flat_scratch_init 0
		.amdhsa_user_sgpr_private_segment_size 0
		.amdhsa_uses_dynamic_stack 0
		.amdhsa_system_sgpr_private_segment_wavefront_offset 0
		.amdhsa_system_sgpr_workgroup_id_x 1
		.amdhsa_system_sgpr_workgroup_id_y 0
		.amdhsa_system_sgpr_workgroup_id_z 0
		.amdhsa_system_sgpr_workgroup_info 0
		.amdhsa_system_vgpr_workitem_id 0
		.amdhsa_next_free_vgpr 1
		.amdhsa_next_free_sgpr 0
		.amdhsa_reserve_vcc 0
		.amdhsa_reserve_flat_scratch 0
		.amdhsa_float_round_mode_32 0
		.amdhsa_float_round_mode_16_64 0
		.amdhsa_float_denorm_mode_32 3
		.amdhsa_float_denorm_mode_16_64 3
		.amdhsa_dx10_clamp 1
		.amdhsa_ieee_mode 1
		.amdhsa_fp16_overflow 0
		.amdhsa_exception_fp_ieee_invalid_op 0
		.amdhsa_exception_fp_denorm_src 0
		.amdhsa_exception_fp_ieee_div_zero 0
		.amdhsa_exception_fp_ieee_overflow 0
		.amdhsa_exception_fp_ieee_underflow 0
		.amdhsa_exception_fp_ieee_inexact 0
		.amdhsa_exception_int_div_zero 0
	.end_amdhsa_kernel
	.section	.text._ZN7rocprim17ROCPRIM_400000_NS6detail17trampoline_kernelINS0_14default_configENS1_36segmented_radix_sort_config_selectorIflEEZNS1_25segmented_radix_sort_implIS3_Lb0EPKfPfPKlPlN2at6native12_GLOBAL__N_18offset_tEEE10hipError_tPvRmT1_PNSt15iterator_traitsISK_E10value_typeET2_T3_PNSL_ISQ_E10value_typeET4_jRbjT5_SW_jjP12ihipStream_tbEUlT_E2_NS1_11comp_targetILNS1_3genE10ELNS1_11target_archE1201ELNS1_3gpuE5ELNS1_3repE0EEENS1_30default_config_static_selectorELNS0_4arch9wavefront6targetE1EEEvSK_,"axG",@progbits,_ZN7rocprim17ROCPRIM_400000_NS6detail17trampoline_kernelINS0_14default_configENS1_36segmented_radix_sort_config_selectorIflEEZNS1_25segmented_radix_sort_implIS3_Lb0EPKfPfPKlPlN2at6native12_GLOBAL__N_18offset_tEEE10hipError_tPvRmT1_PNSt15iterator_traitsISK_E10value_typeET2_T3_PNSL_ISQ_E10value_typeET4_jRbjT5_SW_jjP12ihipStream_tbEUlT_E2_NS1_11comp_targetILNS1_3genE10ELNS1_11target_archE1201ELNS1_3gpuE5ELNS1_3repE0EEENS1_30default_config_static_selectorELNS0_4arch9wavefront6targetE1EEEvSK_,comdat
.Lfunc_end1463:
	.size	_ZN7rocprim17ROCPRIM_400000_NS6detail17trampoline_kernelINS0_14default_configENS1_36segmented_radix_sort_config_selectorIflEEZNS1_25segmented_radix_sort_implIS3_Lb0EPKfPfPKlPlN2at6native12_GLOBAL__N_18offset_tEEE10hipError_tPvRmT1_PNSt15iterator_traitsISK_E10value_typeET2_T3_PNSL_ISQ_E10value_typeET4_jRbjT5_SW_jjP12ihipStream_tbEUlT_E2_NS1_11comp_targetILNS1_3genE10ELNS1_11target_archE1201ELNS1_3gpuE5ELNS1_3repE0EEENS1_30default_config_static_selectorELNS0_4arch9wavefront6targetE1EEEvSK_, .Lfunc_end1463-_ZN7rocprim17ROCPRIM_400000_NS6detail17trampoline_kernelINS0_14default_configENS1_36segmented_radix_sort_config_selectorIflEEZNS1_25segmented_radix_sort_implIS3_Lb0EPKfPfPKlPlN2at6native12_GLOBAL__N_18offset_tEEE10hipError_tPvRmT1_PNSt15iterator_traitsISK_E10value_typeET2_T3_PNSL_ISQ_E10value_typeET4_jRbjT5_SW_jjP12ihipStream_tbEUlT_E2_NS1_11comp_targetILNS1_3genE10ELNS1_11target_archE1201ELNS1_3gpuE5ELNS1_3repE0EEENS1_30default_config_static_selectorELNS0_4arch9wavefront6targetE1EEEvSK_
                                        ; -- End function
	.set _ZN7rocprim17ROCPRIM_400000_NS6detail17trampoline_kernelINS0_14default_configENS1_36segmented_radix_sort_config_selectorIflEEZNS1_25segmented_radix_sort_implIS3_Lb0EPKfPfPKlPlN2at6native12_GLOBAL__N_18offset_tEEE10hipError_tPvRmT1_PNSt15iterator_traitsISK_E10value_typeET2_T3_PNSL_ISQ_E10value_typeET4_jRbjT5_SW_jjP12ihipStream_tbEUlT_E2_NS1_11comp_targetILNS1_3genE10ELNS1_11target_archE1201ELNS1_3gpuE5ELNS1_3repE0EEENS1_30default_config_static_selectorELNS0_4arch9wavefront6targetE1EEEvSK_.num_vgpr, 0
	.set _ZN7rocprim17ROCPRIM_400000_NS6detail17trampoline_kernelINS0_14default_configENS1_36segmented_radix_sort_config_selectorIflEEZNS1_25segmented_radix_sort_implIS3_Lb0EPKfPfPKlPlN2at6native12_GLOBAL__N_18offset_tEEE10hipError_tPvRmT1_PNSt15iterator_traitsISK_E10value_typeET2_T3_PNSL_ISQ_E10value_typeET4_jRbjT5_SW_jjP12ihipStream_tbEUlT_E2_NS1_11comp_targetILNS1_3genE10ELNS1_11target_archE1201ELNS1_3gpuE5ELNS1_3repE0EEENS1_30default_config_static_selectorELNS0_4arch9wavefront6targetE1EEEvSK_.num_agpr, 0
	.set _ZN7rocprim17ROCPRIM_400000_NS6detail17trampoline_kernelINS0_14default_configENS1_36segmented_radix_sort_config_selectorIflEEZNS1_25segmented_radix_sort_implIS3_Lb0EPKfPfPKlPlN2at6native12_GLOBAL__N_18offset_tEEE10hipError_tPvRmT1_PNSt15iterator_traitsISK_E10value_typeET2_T3_PNSL_ISQ_E10value_typeET4_jRbjT5_SW_jjP12ihipStream_tbEUlT_E2_NS1_11comp_targetILNS1_3genE10ELNS1_11target_archE1201ELNS1_3gpuE5ELNS1_3repE0EEENS1_30default_config_static_selectorELNS0_4arch9wavefront6targetE1EEEvSK_.numbered_sgpr, 0
	.set _ZN7rocprim17ROCPRIM_400000_NS6detail17trampoline_kernelINS0_14default_configENS1_36segmented_radix_sort_config_selectorIflEEZNS1_25segmented_radix_sort_implIS3_Lb0EPKfPfPKlPlN2at6native12_GLOBAL__N_18offset_tEEE10hipError_tPvRmT1_PNSt15iterator_traitsISK_E10value_typeET2_T3_PNSL_ISQ_E10value_typeET4_jRbjT5_SW_jjP12ihipStream_tbEUlT_E2_NS1_11comp_targetILNS1_3genE10ELNS1_11target_archE1201ELNS1_3gpuE5ELNS1_3repE0EEENS1_30default_config_static_selectorELNS0_4arch9wavefront6targetE1EEEvSK_.num_named_barrier, 0
	.set _ZN7rocprim17ROCPRIM_400000_NS6detail17trampoline_kernelINS0_14default_configENS1_36segmented_radix_sort_config_selectorIflEEZNS1_25segmented_radix_sort_implIS3_Lb0EPKfPfPKlPlN2at6native12_GLOBAL__N_18offset_tEEE10hipError_tPvRmT1_PNSt15iterator_traitsISK_E10value_typeET2_T3_PNSL_ISQ_E10value_typeET4_jRbjT5_SW_jjP12ihipStream_tbEUlT_E2_NS1_11comp_targetILNS1_3genE10ELNS1_11target_archE1201ELNS1_3gpuE5ELNS1_3repE0EEENS1_30default_config_static_selectorELNS0_4arch9wavefront6targetE1EEEvSK_.private_seg_size, 0
	.set _ZN7rocprim17ROCPRIM_400000_NS6detail17trampoline_kernelINS0_14default_configENS1_36segmented_radix_sort_config_selectorIflEEZNS1_25segmented_radix_sort_implIS3_Lb0EPKfPfPKlPlN2at6native12_GLOBAL__N_18offset_tEEE10hipError_tPvRmT1_PNSt15iterator_traitsISK_E10value_typeET2_T3_PNSL_ISQ_E10value_typeET4_jRbjT5_SW_jjP12ihipStream_tbEUlT_E2_NS1_11comp_targetILNS1_3genE10ELNS1_11target_archE1201ELNS1_3gpuE5ELNS1_3repE0EEENS1_30default_config_static_selectorELNS0_4arch9wavefront6targetE1EEEvSK_.uses_vcc, 0
	.set _ZN7rocprim17ROCPRIM_400000_NS6detail17trampoline_kernelINS0_14default_configENS1_36segmented_radix_sort_config_selectorIflEEZNS1_25segmented_radix_sort_implIS3_Lb0EPKfPfPKlPlN2at6native12_GLOBAL__N_18offset_tEEE10hipError_tPvRmT1_PNSt15iterator_traitsISK_E10value_typeET2_T3_PNSL_ISQ_E10value_typeET4_jRbjT5_SW_jjP12ihipStream_tbEUlT_E2_NS1_11comp_targetILNS1_3genE10ELNS1_11target_archE1201ELNS1_3gpuE5ELNS1_3repE0EEENS1_30default_config_static_selectorELNS0_4arch9wavefront6targetE1EEEvSK_.uses_flat_scratch, 0
	.set _ZN7rocprim17ROCPRIM_400000_NS6detail17trampoline_kernelINS0_14default_configENS1_36segmented_radix_sort_config_selectorIflEEZNS1_25segmented_radix_sort_implIS3_Lb0EPKfPfPKlPlN2at6native12_GLOBAL__N_18offset_tEEE10hipError_tPvRmT1_PNSt15iterator_traitsISK_E10value_typeET2_T3_PNSL_ISQ_E10value_typeET4_jRbjT5_SW_jjP12ihipStream_tbEUlT_E2_NS1_11comp_targetILNS1_3genE10ELNS1_11target_archE1201ELNS1_3gpuE5ELNS1_3repE0EEENS1_30default_config_static_selectorELNS0_4arch9wavefront6targetE1EEEvSK_.has_dyn_sized_stack, 0
	.set _ZN7rocprim17ROCPRIM_400000_NS6detail17trampoline_kernelINS0_14default_configENS1_36segmented_radix_sort_config_selectorIflEEZNS1_25segmented_radix_sort_implIS3_Lb0EPKfPfPKlPlN2at6native12_GLOBAL__N_18offset_tEEE10hipError_tPvRmT1_PNSt15iterator_traitsISK_E10value_typeET2_T3_PNSL_ISQ_E10value_typeET4_jRbjT5_SW_jjP12ihipStream_tbEUlT_E2_NS1_11comp_targetILNS1_3genE10ELNS1_11target_archE1201ELNS1_3gpuE5ELNS1_3repE0EEENS1_30default_config_static_selectorELNS0_4arch9wavefront6targetE1EEEvSK_.has_recursion, 0
	.set _ZN7rocprim17ROCPRIM_400000_NS6detail17trampoline_kernelINS0_14default_configENS1_36segmented_radix_sort_config_selectorIflEEZNS1_25segmented_radix_sort_implIS3_Lb0EPKfPfPKlPlN2at6native12_GLOBAL__N_18offset_tEEE10hipError_tPvRmT1_PNSt15iterator_traitsISK_E10value_typeET2_T3_PNSL_ISQ_E10value_typeET4_jRbjT5_SW_jjP12ihipStream_tbEUlT_E2_NS1_11comp_targetILNS1_3genE10ELNS1_11target_archE1201ELNS1_3gpuE5ELNS1_3repE0EEENS1_30default_config_static_selectorELNS0_4arch9wavefront6targetE1EEEvSK_.has_indirect_call, 0
	.section	.AMDGPU.csdata,"",@progbits
; Kernel info:
; codeLenInByte = 0
; TotalNumSgprs: 4
; NumVgprs: 0
; ScratchSize: 0
; MemoryBound: 0
; FloatMode: 240
; IeeeMode: 1
; LDSByteSize: 0 bytes/workgroup (compile time only)
; SGPRBlocks: 0
; VGPRBlocks: 0
; NumSGPRsForWavesPerEU: 4
; NumVGPRsForWavesPerEU: 1
; Occupancy: 10
; WaveLimiterHint : 0
; COMPUTE_PGM_RSRC2:SCRATCH_EN: 0
; COMPUTE_PGM_RSRC2:USER_SGPR: 6
; COMPUTE_PGM_RSRC2:TRAP_HANDLER: 0
; COMPUTE_PGM_RSRC2:TGID_X_EN: 1
; COMPUTE_PGM_RSRC2:TGID_Y_EN: 0
; COMPUTE_PGM_RSRC2:TGID_Z_EN: 0
; COMPUTE_PGM_RSRC2:TIDIG_COMP_CNT: 0
	.section	.text._ZN7rocprim17ROCPRIM_400000_NS6detail17trampoline_kernelINS0_14default_configENS1_36segmented_radix_sort_config_selectorIflEEZNS1_25segmented_radix_sort_implIS3_Lb0EPKfPfPKlPlN2at6native12_GLOBAL__N_18offset_tEEE10hipError_tPvRmT1_PNSt15iterator_traitsISK_E10value_typeET2_T3_PNSL_ISQ_E10value_typeET4_jRbjT5_SW_jjP12ihipStream_tbEUlT_E2_NS1_11comp_targetILNS1_3genE10ELNS1_11target_archE1200ELNS1_3gpuE4ELNS1_3repE0EEENS1_30default_config_static_selectorELNS0_4arch9wavefront6targetE1EEEvSK_,"axG",@progbits,_ZN7rocprim17ROCPRIM_400000_NS6detail17trampoline_kernelINS0_14default_configENS1_36segmented_radix_sort_config_selectorIflEEZNS1_25segmented_radix_sort_implIS3_Lb0EPKfPfPKlPlN2at6native12_GLOBAL__N_18offset_tEEE10hipError_tPvRmT1_PNSt15iterator_traitsISK_E10value_typeET2_T3_PNSL_ISQ_E10value_typeET4_jRbjT5_SW_jjP12ihipStream_tbEUlT_E2_NS1_11comp_targetILNS1_3genE10ELNS1_11target_archE1200ELNS1_3gpuE4ELNS1_3repE0EEENS1_30default_config_static_selectorELNS0_4arch9wavefront6targetE1EEEvSK_,comdat
	.globl	_ZN7rocprim17ROCPRIM_400000_NS6detail17trampoline_kernelINS0_14default_configENS1_36segmented_radix_sort_config_selectorIflEEZNS1_25segmented_radix_sort_implIS3_Lb0EPKfPfPKlPlN2at6native12_GLOBAL__N_18offset_tEEE10hipError_tPvRmT1_PNSt15iterator_traitsISK_E10value_typeET2_T3_PNSL_ISQ_E10value_typeET4_jRbjT5_SW_jjP12ihipStream_tbEUlT_E2_NS1_11comp_targetILNS1_3genE10ELNS1_11target_archE1200ELNS1_3gpuE4ELNS1_3repE0EEENS1_30default_config_static_selectorELNS0_4arch9wavefront6targetE1EEEvSK_ ; -- Begin function _ZN7rocprim17ROCPRIM_400000_NS6detail17trampoline_kernelINS0_14default_configENS1_36segmented_radix_sort_config_selectorIflEEZNS1_25segmented_radix_sort_implIS3_Lb0EPKfPfPKlPlN2at6native12_GLOBAL__N_18offset_tEEE10hipError_tPvRmT1_PNSt15iterator_traitsISK_E10value_typeET2_T3_PNSL_ISQ_E10value_typeET4_jRbjT5_SW_jjP12ihipStream_tbEUlT_E2_NS1_11comp_targetILNS1_3genE10ELNS1_11target_archE1200ELNS1_3gpuE4ELNS1_3repE0EEENS1_30default_config_static_selectorELNS0_4arch9wavefront6targetE1EEEvSK_
	.p2align	8
	.type	_ZN7rocprim17ROCPRIM_400000_NS6detail17trampoline_kernelINS0_14default_configENS1_36segmented_radix_sort_config_selectorIflEEZNS1_25segmented_radix_sort_implIS3_Lb0EPKfPfPKlPlN2at6native12_GLOBAL__N_18offset_tEEE10hipError_tPvRmT1_PNSt15iterator_traitsISK_E10value_typeET2_T3_PNSL_ISQ_E10value_typeET4_jRbjT5_SW_jjP12ihipStream_tbEUlT_E2_NS1_11comp_targetILNS1_3genE10ELNS1_11target_archE1200ELNS1_3gpuE4ELNS1_3repE0EEENS1_30default_config_static_selectorELNS0_4arch9wavefront6targetE1EEEvSK_,@function
_ZN7rocprim17ROCPRIM_400000_NS6detail17trampoline_kernelINS0_14default_configENS1_36segmented_radix_sort_config_selectorIflEEZNS1_25segmented_radix_sort_implIS3_Lb0EPKfPfPKlPlN2at6native12_GLOBAL__N_18offset_tEEE10hipError_tPvRmT1_PNSt15iterator_traitsISK_E10value_typeET2_T3_PNSL_ISQ_E10value_typeET4_jRbjT5_SW_jjP12ihipStream_tbEUlT_E2_NS1_11comp_targetILNS1_3genE10ELNS1_11target_archE1200ELNS1_3gpuE4ELNS1_3repE0EEENS1_30default_config_static_selectorELNS0_4arch9wavefront6targetE1EEEvSK_: ; @_ZN7rocprim17ROCPRIM_400000_NS6detail17trampoline_kernelINS0_14default_configENS1_36segmented_radix_sort_config_selectorIflEEZNS1_25segmented_radix_sort_implIS3_Lb0EPKfPfPKlPlN2at6native12_GLOBAL__N_18offset_tEEE10hipError_tPvRmT1_PNSt15iterator_traitsISK_E10value_typeET2_T3_PNSL_ISQ_E10value_typeET4_jRbjT5_SW_jjP12ihipStream_tbEUlT_E2_NS1_11comp_targetILNS1_3genE10ELNS1_11target_archE1200ELNS1_3gpuE4ELNS1_3repE0EEENS1_30default_config_static_selectorELNS0_4arch9wavefront6targetE1EEEvSK_
; %bb.0:
	.section	.rodata,"a",@progbits
	.p2align	6, 0x0
	.amdhsa_kernel _ZN7rocprim17ROCPRIM_400000_NS6detail17trampoline_kernelINS0_14default_configENS1_36segmented_radix_sort_config_selectorIflEEZNS1_25segmented_radix_sort_implIS3_Lb0EPKfPfPKlPlN2at6native12_GLOBAL__N_18offset_tEEE10hipError_tPvRmT1_PNSt15iterator_traitsISK_E10value_typeET2_T3_PNSL_ISQ_E10value_typeET4_jRbjT5_SW_jjP12ihipStream_tbEUlT_E2_NS1_11comp_targetILNS1_3genE10ELNS1_11target_archE1200ELNS1_3gpuE4ELNS1_3repE0EEENS1_30default_config_static_selectorELNS0_4arch9wavefront6targetE1EEEvSK_
		.amdhsa_group_segment_fixed_size 0
		.amdhsa_private_segment_fixed_size 0
		.amdhsa_kernarg_size 80
		.amdhsa_user_sgpr_count 6
		.amdhsa_user_sgpr_private_segment_buffer 1
		.amdhsa_user_sgpr_dispatch_ptr 0
		.amdhsa_user_sgpr_queue_ptr 0
		.amdhsa_user_sgpr_kernarg_segment_ptr 1
		.amdhsa_user_sgpr_dispatch_id 0
		.amdhsa_user_sgpr_flat_scratch_init 0
		.amdhsa_user_sgpr_private_segment_size 0
		.amdhsa_uses_dynamic_stack 0
		.amdhsa_system_sgpr_private_segment_wavefront_offset 0
		.amdhsa_system_sgpr_workgroup_id_x 1
		.amdhsa_system_sgpr_workgroup_id_y 0
		.amdhsa_system_sgpr_workgroup_id_z 0
		.amdhsa_system_sgpr_workgroup_info 0
		.amdhsa_system_vgpr_workitem_id 0
		.amdhsa_next_free_vgpr 1
		.amdhsa_next_free_sgpr 0
		.amdhsa_reserve_vcc 0
		.amdhsa_reserve_flat_scratch 0
		.amdhsa_float_round_mode_32 0
		.amdhsa_float_round_mode_16_64 0
		.amdhsa_float_denorm_mode_32 3
		.amdhsa_float_denorm_mode_16_64 3
		.amdhsa_dx10_clamp 1
		.amdhsa_ieee_mode 1
		.amdhsa_fp16_overflow 0
		.amdhsa_exception_fp_ieee_invalid_op 0
		.amdhsa_exception_fp_denorm_src 0
		.amdhsa_exception_fp_ieee_div_zero 0
		.amdhsa_exception_fp_ieee_overflow 0
		.amdhsa_exception_fp_ieee_underflow 0
		.amdhsa_exception_fp_ieee_inexact 0
		.amdhsa_exception_int_div_zero 0
	.end_amdhsa_kernel
	.section	.text._ZN7rocprim17ROCPRIM_400000_NS6detail17trampoline_kernelINS0_14default_configENS1_36segmented_radix_sort_config_selectorIflEEZNS1_25segmented_radix_sort_implIS3_Lb0EPKfPfPKlPlN2at6native12_GLOBAL__N_18offset_tEEE10hipError_tPvRmT1_PNSt15iterator_traitsISK_E10value_typeET2_T3_PNSL_ISQ_E10value_typeET4_jRbjT5_SW_jjP12ihipStream_tbEUlT_E2_NS1_11comp_targetILNS1_3genE10ELNS1_11target_archE1200ELNS1_3gpuE4ELNS1_3repE0EEENS1_30default_config_static_selectorELNS0_4arch9wavefront6targetE1EEEvSK_,"axG",@progbits,_ZN7rocprim17ROCPRIM_400000_NS6detail17trampoline_kernelINS0_14default_configENS1_36segmented_radix_sort_config_selectorIflEEZNS1_25segmented_radix_sort_implIS3_Lb0EPKfPfPKlPlN2at6native12_GLOBAL__N_18offset_tEEE10hipError_tPvRmT1_PNSt15iterator_traitsISK_E10value_typeET2_T3_PNSL_ISQ_E10value_typeET4_jRbjT5_SW_jjP12ihipStream_tbEUlT_E2_NS1_11comp_targetILNS1_3genE10ELNS1_11target_archE1200ELNS1_3gpuE4ELNS1_3repE0EEENS1_30default_config_static_selectorELNS0_4arch9wavefront6targetE1EEEvSK_,comdat
.Lfunc_end1464:
	.size	_ZN7rocprim17ROCPRIM_400000_NS6detail17trampoline_kernelINS0_14default_configENS1_36segmented_radix_sort_config_selectorIflEEZNS1_25segmented_radix_sort_implIS3_Lb0EPKfPfPKlPlN2at6native12_GLOBAL__N_18offset_tEEE10hipError_tPvRmT1_PNSt15iterator_traitsISK_E10value_typeET2_T3_PNSL_ISQ_E10value_typeET4_jRbjT5_SW_jjP12ihipStream_tbEUlT_E2_NS1_11comp_targetILNS1_3genE10ELNS1_11target_archE1200ELNS1_3gpuE4ELNS1_3repE0EEENS1_30default_config_static_selectorELNS0_4arch9wavefront6targetE1EEEvSK_, .Lfunc_end1464-_ZN7rocprim17ROCPRIM_400000_NS6detail17trampoline_kernelINS0_14default_configENS1_36segmented_radix_sort_config_selectorIflEEZNS1_25segmented_radix_sort_implIS3_Lb0EPKfPfPKlPlN2at6native12_GLOBAL__N_18offset_tEEE10hipError_tPvRmT1_PNSt15iterator_traitsISK_E10value_typeET2_T3_PNSL_ISQ_E10value_typeET4_jRbjT5_SW_jjP12ihipStream_tbEUlT_E2_NS1_11comp_targetILNS1_3genE10ELNS1_11target_archE1200ELNS1_3gpuE4ELNS1_3repE0EEENS1_30default_config_static_selectorELNS0_4arch9wavefront6targetE1EEEvSK_
                                        ; -- End function
	.set _ZN7rocprim17ROCPRIM_400000_NS6detail17trampoline_kernelINS0_14default_configENS1_36segmented_radix_sort_config_selectorIflEEZNS1_25segmented_radix_sort_implIS3_Lb0EPKfPfPKlPlN2at6native12_GLOBAL__N_18offset_tEEE10hipError_tPvRmT1_PNSt15iterator_traitsISK_E10value_typeET2_T3_PNSL_ISQ_E10value_typeET4_jRbjT5_SW_jjP12ihipStream_tbEUlT_E2_NS1_11comp_targetILNS1_3genE10ELNS1_11target_archE1200ELNS1_3gpuE4ELNS1_3repE0EEENS1_30default_config_static_selectorELNS0_4arch9wavefront6targetE1EEEvSK_.num_vgpr, 0
	.set _ZN7rocprim17ROCPRIM_400000_NS6detail17trampoline_kernelINS0_14default_configENS1_36segmented_radix_sort_config_selectorIflEEZNS1_25segmented_radix_sort_implIS3_Lb0EPKfPfPKlPlN2at6native12_GLOBAL__N_18offset_tEEE10hipError_tPvRmT1_PNSt15iterator_traitsISK_E10value_typeET2_T3_PNSL_ISQ_E10value_typeET4_jRbjT5_SW_jjP12ihipStream_tbEUlT_E2_NS1_11comp_targetILNS1_3genE10ELNS1_11target_archE1200ELNS1_3gpuE4ELNS1_3repE0EEENS1_30default_config_static_selectorELNS0_4arch9wavefront6targetE1EEEvSK_.num_agpr, 0
	.set _ZN7rocprim17ROCPRIM_400000_NS6detail17trampoline_kernelINS0_14default_configENS1_36segmented_radix_sort_config_selectorIflEEZNS1_25segmented_radix_sort_implIS3_Lb0EPKfPfPKlPlN2at6native12_GLOBAL__N_18offset_tEEE10hipError_tPvRmT1_PNSt15iterator_traitsISK_E10value_typeET2_T3_PNSL_ISQ_E10value_typeET4_jRbjT5_SW_jjP12ihipStream_tbEUlT_E2_NS1_11comp_targetILNS1_3genE10ELNS1_11target_archE1200ELNS1_3gpuE4ELNS1_3repE0EEENS1_30default_config_static_selectorELNS0_4arch9wavefront6targetE1EEEvSK_.numbered_sgpr, 0
	.set _ZN7rocprim17ROCPRIM_400000_NS6detail17trampoline_kernelINS0_14default_configENS1_36segmented_radix_sort_config_selectorIflEEZNS1_25segmented_radix_sort_implIS3_Lb0EPKfPfPKlPlN2at6native12_GLOBAL__N_18offset_tEEE10hipError_tPvRmT1_PNSt15iterator_traitsISK_E10value_typeET2_T3_PNSL_ISQ_E10value_typeET4_jRbjT5_SW_jjP12ihipStream_tbEUlT_E2_NS1_11comp_targetILNS1_3genE10ELNS1_11target_archE1200ELNS1_3gpuE4ELNS1_3repE0EEENS1_30default_config_static_selectorELNS0_4arch9wavefront6targetE1EEEvSK_.num_named_barrier, 0
	.set _ZN7rocprim17ROCPRIM_400000_NS6detail17trampoline_kernelINS0_14default_configENS1_36segmented_radix_sort_config_selectorIflEEZNS1_25segmented_radix_sort_implIS3_Lb0EPKfPfPKlPlN2at6native12_GLOBAL__N_18offset_tEEE10hipError_tPvRmT1_PNSt15iterator_traitsISK_E10value_typeET2_T3_PNSL_ISQ_E10value_typeET4_jRbjT5_SW_jjP12ihipStream_tbEUlT_E2_NS1_11comp_targetILNS1_3genE10ELNS1_11target_archE1200ELNS1_3gpuE4ELNS1_3repE0EEENS1_30default_config_static_selectorELNS0_4arch9wavefront6targetE1EEEvSK_.private_seg_size, 0
	.set _ZN7rocprim17ROCPRIM_400000_NS6detail17trampoline_kernelINS0_14default_configENS1_36segmented_radix_sort_config_selectorIflEEZNS1_25segmented_radix_sort_implIS3_Lb0EPKfPfPKlPlN2at6native12_GLOBAL__N_18offset_tEEE10hipError_tPvRmT1_PNSt15iterator_traitsISK_E10value_typeET2_T3_PNSL_ISQ_E10value_typeET4_jRbjT5_SW_jjP12ihipStream_tbEUlT_E2_NS1_11comp_targetILNS1_3genE10ELNS1_11target_archE1200ELNS1_3gpuE4ELNS1_3repE0EEENS1_30default_config_static_selectorELNS0_4arch9wavefront6targetE1EEEvSK_.uses_vcc, 0
	.set _ZN7rocprim17ROCPRIM_400000_NS6detail17trampoline_kernelINS0_14default_configENS1_36segmented_radix_sort_config_selectorIflEEZNS1_25segmented_radix_sort_implIS3_Lb0EPKfPfPKlPlN2at6native12_GLOBAL__N_18offset_tEEE10hipError_tPvRmT1_PNSt15iterator_traitsISK_E10value_typeET2_T3_PNSL_ISQ_E10value_typeET4_jRbjT5_SW_jjP12ihipStream_tbEUlT_E2_NS1_11comp_targetILNS1_3genE10ELNS1_11target_archE1200ELNS1_3gpuE4ELNS1_3repE0EEENS1_30default_config_static_selectorELNS0_4arch9wavefront6targetE1EEEvSK_.uses_flat_scratch, 0
	.set _ZN7rocprim17ROCPRIM_400000_NS6detail17trampoline_kernelINS0_14default_configENS1_36segmented_radix_sort_config_selectorIflEEZNS1_25segmented_radix_sort_implIS3_Lb0EPKfPfPKlPlN2at6native12_GLOBAL__N_18offset_tEEE10hipError_tPvRmT1_PNSt15iterator_traitsISK_E10value_typeET2_T3_PNSL_ISQ_E10value_typeET4_jRbjT5_SW_jjP12ihipStream_tbEUlT_E2_NS1_11comp_targetILNS1_3genE10ELNS1_11target_archE1200ELNS1_3gpuE4ELNS1_3repE0EEENS1_30default_config_static_selectorELNS0_4arch9wavefront6targetE1EEEvSK_.has_dyn_sized_stack, 0
	.set _ZN7rocprim17ROCPRIM_400000_NS6detail17trampoline_kernelINS0_14default_configENS1_36segmented_radix_sort_config_selectorIflEEZNS1_25segmented_radix_sort_implIS3_Lb0EPKfPfPKlPlN2at6native12_GLOBAL__N_18offset_tEEE10hipError_tPvRmT1_PNSt15iterator_traitsISK_E10value_typeET2_T3_PNSL_ISQ_E10value_typeET4_jRbjT5_SW_jjP12ihipStream_tbEUlT_E2_NS1_11comp_targetILNS1_3genE10ELNS1_11target_archE1200ELNS1_3gpuE4ELNS1_3repE0EEENS1_30default_config_static_selectorELNS0_4arch9wavefront6targetE1EEEvSK_.has_recursion, 0
	.set _ZN7rocprim17ROCPRIM_400000_NS6detail17trampoline_kernelINS0_14default_configENS1_36segmented_radix_sort_config_selectorIflEEZNS1_25segmented_radix_sort_implIS3_Lb0EPKfPfPKlPlN2at6native12_GLOBAL__N_18offset_tEEE10hipError_tPvRmT1_PNSt15iterator_traitsISK_E10value_typeET2_T3_PNSL_ISQ_E10value_typeET4_jRbjT5_SW_jjP12ihipStream_tbEUlT_E2_NS1_11comp_targetILNS1_3genE10ELNS1_11target_archE1200ELNS1_3gpuE4ELNS1_3repE0EEENS1_30default_config_static_selectorELNS0_4arch9wavefront6targetE1EEEvSK_.has_indirect_call, 0
	.section	.AMDGPU.csdata,"",@progbits
; Kernel info:
; codeLenInByte = 0
; TotalNumSgprs: 4
; NumVgprs: 0
; ScratchSize: 0
; MemoryBound: 0
; FloatMode: 240
; IeeeMode: 1
; LDSByteSize: 0 bytes/workgroup (compile time only)
; SGPRBlocks: 0
; VGPRBlocks: 0
; NumSGPRsForWavesPerEU: 4
; NumVGPRsForWavesPerEU: 1
; Occupancy: 10
; WaveLimiterHint : 0
; COMPUTE_PGM_RSRC2:SCRATCH_EN: 0
; COMPUTE_PGM_RSRC2:USER_SGPR: 6
; COMPUTE_PGM_RSRC2:TRAP_HANDLER: 0
; COMPUTE_PGM_RSRC2:TGID_X_EN: 1
; COMPUTE_PGM_RSRC2:TGID_Y_EN: 0
; COMPUTE_PGM_RSRC2:TGID_Z_EN: 0
; COMPUTE_PGM_RSRC2:TIDIG_COMP_CNT: 0
	.section	.text._ZN7rocprim17ROCPRIM_400000_NS6detail17trampoline_kernelINS0_14default_configENS1_36segmented_radix_sort_config_selectorIflEEZNS1_25segmented_radix_sort_implIS3_Lb0EPKfPfPKlPlN2at6native12_GLOBAL__N_18offset_tEEE10hipError_tPvRmT1_PNSt15iterator_traitsISK_E10value_typeET2_T3_PNSL_ISQ_E10value_typeET4_jRbjT5_SW_jjP12ihipStream_tbEUlT_E2_NS1_11comp_targetILNS1_3genE9ELNS1_11target_archE1100ELNS1_3gpuE3ELNS1_3repE0EEENS1_30default_config_static_selectorELNS0_4arch9wavefront6targetE1EEEvSK_,"axG",@progbits,_ZN7rocprim17ROCPRIM_400000_NS6detail17trampoline_kernelINS0_14default_configENS1_36segmented_radix_sort_config_selectorIflEEZNS1_25segmented_radix_sort_implIS3_Lb0EPKfPfPKlPlN2at6native12_GLOBAL__N_18offset_tEEE10hipError_tPvRmT1_PNSt15iterator_traitsISK_E10value_typeET2_T3_PNSL_ISQ_E10value_typeET4_jRbjT5_SW_jjP12ihipStream_tbEUlT_E2_NS1_11comp_targetILNS1_3genE9ELNS1_11target_archE1100ELNS1_3gpuE3ELNS1_3repE0EEENS1_30default_config_static_selectorELNS0_4arch9wavefront6targetE1EEEvSK_,comdat
	.globl	_ZN7rocprim17ROCPRIM_400000_NS6detail17trampoline_kernelINS0_14default_configENS1_36segmented_radix_sort_config_selectorIflEEZNS1_25segmented_radix_sort_implIS3_Lb0EPKfPfPKlPlN2at6native12_GLOBAL__N_18offset_tEEE10hipError_tPvRmT1_PNSt15iterator_traitsISK_E10value_typeET2_T3_PNSL_ISQ_E10value_typeET4_jRbjT5_SW_jjP12ihipStream_tbEUlT_E2_NS1_11comp_targetILNS1_3genE9ELNS1_11target_archE1100ELNS1_3gpuE3ELNS1_3repE0EEENS1_30default_config_static_selectorELNS0_4arch9wavefront6targetE1EEEvSK_ ; -- Begin function _ZN7rocprim17ROCPRIM_400000_NS6detail17trampoline_kernelINS0_14default_configENS1_36segmented_radix_sort_config_selectorIflEEZNS1_25segmented_radix_sort_implIS3_Lb0EPKfPfPKlPlN2at6native12_GLOBAL__N_18offset_tEEE10hipError_tPvRmT1_PNSt15iterator_traitsISK_E10value_typeET2_T3_PNSL_ISQ_E10value_typeET4_jRbjT5_SW_jjP12ihipStream_tbEUlT_E2_NS1_11comp_targetILNS1_3genE9ELNS1_11target_archE1100ELNS1_3gpuE3ELNS1_3repE0EEENS1_30default_config_static_selectorELNS0_4arch9wavefront6targetE1EEEvSK_
	.p2align	8
	.type	_ZN7rocprim17ROCPRIM_400000_NS6detail17trampoline_kernelINS0_14default_configENS1_36segmented_radix_sort_config_selectorIflEEZNS1_25segmented_radix_sort_implIS3_Lb0EPKfPfPKlPlN2at6native12_GLOBAL__N_18offset_tEEE10hipError_tPvRmT1_PNSt15iterator_traitsISK_E10value_typeET2_T3_PNSL_ISQ_E10value_typeET4_jRbjT5_SW_jjP12ihipStream_tbEUlT_E2_NS1_11comp_targetILNS1_3genE9ELNS1_11target_archE1100ELNS1_3gpuE3ELNS1_3repE0EEENS1_30default_config_static_selectorELNS0_4arch9wavefront6targetE1EEEvSK_,@function
_ZN7rocprim17ROCPRIM_400000_NS6detail17trampoline_kernelINS0_14default_configENS1_36segmented_radix_sort_config_selectorIflEEZNS1_25segmented_radix_sort_implIS3_Lb0EPKfPfPKlPlN2at6native12_GLOBAL__N_18offset_tEEE10hipError_tPvRmT1_PNSt15iterator_traitsISK_E10value_typeET2_T3_PNSL_ISQ_E10value_typeET4_jRbjT5_SW_jjP12ihipStream_tbEUlT_E2_NS1_11comp_targetILNS1_3genE9ELNS1_11target_archE1100ELNS1_3gpuE3ELNS1_3repE0EEENS1_30default_config_static_selectorELNS0_4arch9wavefront6targetE1EEEvSK_: ; @_ZN7rocprim17ROCPRIM_400000_NS6detail17trampoline_kernelINS0_14default_configENS1_36segmented_radix_sort_config_selectorIflEEZNS1_25segmented_radix_sort_implIS3_Lb0EPKfPfPKlPlN2at6native12_GLOBAL__N_18offset_tEEE10hipError_tPvRmT1_PNSt15iterator_traitsISK_E10value_typeET2_T3_PNSL_ISQ_E10value_typeET4_jRbjT5_SW_jjP12ihipStream_tbEUlT_E2_NS1_11comp_targetILNS1_3genE9ELNS1_11target_archE1100ELNS1_3gpuE3ELNS1_3repE0EEENS1_30default_config_static_selectorELNS0_4arch9wavefront6targetE1EEEvSK_
; %bb.0:
	.section	.rodata,"a",@progbits
	.p2align	6, 0x0
	.amdhsa_kernel _ZN7rocprim17ROCPRIM_400000_NS6detail17trampoline_kernelINS0_14default_configENS1_36segmented_radix_sort_config_selectorIflEEZNS1_25segmented_radix_sort_implIS3_Lb0EPKfPfPKlPlN2at6native12_GLOBAL__N_18offset_tEEE10hipError_tPvRmT1_PNSt15iterator_traitsISK_E10value_typeET2_T3_PNSL_ISQ_E10value_typeET4_jRbjT5_SW_jjP12ihipStream_tbEUlT_E2_NS1_11comp_targetILNS1_3genE9ELNS1_11target_archE1100ELNS1_3gpuE3ELNS1_3repE0EEENS1_30default_config_static_selectorELNS0_4arch9wavefront6targetE1EEEvSK_
		.amdhsa_group_segment_fixed_size 0
		.amdhsa_private_segment_fixed_size 0
		.amdhsa_kernarg_size 80
		.amdhsa_user_sgpr_count 6
		.amdhsa_user_sgpr_private_segment_buffer 1
		.amdhsa_user_sgpr_dispatch_ptr 0
		.amdhsa_user_sgpr_queue_ptr 0
		.amdhsa_user_sgpr_kernarg_segment_ptr 1
		.amdhsa_user_sgpr_dispatch_id 0
		.amdhsa_user_sgpr_flat_scratch_init 0
		.amdhsa_user_sgpr_private_segment_size 0
		.amdhsa_uses_dynamic_stack 0
		.amdhsa_system_sgpr_private_segment_wavefront_offset 0
		.amdhsa_system_sgpr_workgroup_id_x 1
		.amdhsa_system_sgpr_workgroup_id_y 0
		.amdhsa_system_sgpr_workgroup_id_z 0
		.amdhsa_system_sgpr_workgroup_info 0
		.amdhsa_system_vgpr_workitem_id 0
		.amdhsa_next_free_vgpr 1
		.amdhsa_next_free_sgpr 0
		.amdhsa_reserve_vcc 0
		.amdhsa_reserve_flat_scratch 0
		.amdhsa_float_round_mode_32 0
		.amdhsa_float_round_mode_16_64 0
		.amdhsa_float_denorm_mode_32 3
		.amdhsa_float_denorm_mode_16_64 3
		.amdhsa_dx10_clamp 1
		.amdhsa_ieee_mode 1
		.amdhsa_fp16_overflow 0
		.amdhsa_exception_fp_ieee_invalid_op 0
		.amdhsa_exception_fp_denorm_src 0
		.amdhsa_exception_fp_ieee_div_zero 0
		.amdhsa_exception_fp_ieee_overflow 0
		.amdhsa_exception_fp_ieee_underflow 0
		.amdhsa_exception_fp_ieee_inexact 0
		.amdhsa_exception_int_div_zero 0
	.end_amdhsa_kernel
	.section	.text._ZN7rocprim17ROCPRIM_400000_NS6detail17trampoline_kernelINS0_14default_configENS1_36segmented_radix_sort_config_selectorIflEEZNS1_25segmented_radix_sort_implIS3_Lb0EPKfPfPKlPlN2at6native12_GLOBAL__N_18offset_tEEE10hipError_tPvRmT1_PNSt15iterator_traitsISK_E10value_typeET2_T3_PNSL_ISQ_E10value_typeET4_jRbjT5_SW_jjP12ihipStream_tbEUlT_E2_NS1_11comp_targetILNS1_3genE9ELNS1_11target_archE1100ELNS1_3gpuE3ELNS1_3repE0EEENS1_30default_config_static_selectorELNS0_4arch9wavefront6targetE1EEEvSK_,"axG",@progbits,_ZN7rocprim17ROCPRIM_400000_NS6detail17trampoline_kernelINS0_14default_configENS1_36segmented_radix_sort_config_selectorIflEEZNS1_25segmented_radix_sort_implIS3_Lb0EPKfPfPKlPlN2at6native12_GLOBAL__N_18offset_tEEE10hipError_tPvRmT1_PNSt15iterator_traitsISK_E10value_typeET2_T3_PNSL_ISQ_E10value_typeET4_jRbjT5_SW_jjP12ihipStream_tbEUlT_E2_NS1_11comp_targetILNS1_3genE9ELNS1_11target_archE1100ELNS1_3gpuE3ELNS1_3repE0EEENS1_30default_config_static_selectorELNS0_4arch9wavefront6targetE1EEEvSK_,comdat
.Lfunc_end1465:
	.size	_ZN7rocprim17ROCPRIM_400000_NS6detail17trampoline_kernelINS0_14default_configENS1_36segmented_radix_sort_config_selectorIflEEZNS1_25segmented_radix_sort_implIS3_Lb0EPKfPfPKlPlN2at6native12_GLOBAL__N_18offset_tEEE10hipError_tPvRmT1_PNSt15iterator_traitsISK_E10value_typeET2_T3_PNSL_ISQ_E10value_typeET4_jRbjT5_SW_jjP12ihipStream_tbEUlT_E2_NS1_11comp_targetILNS1_3genE9ELNS1_11target_archE1100ELNS1_3gpuE3ELNS1_3repE0EEENS1_30default_config_static_selectorELNS0_4arch9wavefront6targetE1EEEvSK_, .Lfunc_end1465-_ZN7rocprim17ROCPRIM_400000_NS6detail17trampoline_kernelINS0_14default_configENS1_36segmented_radix_sort_config_selectorIflEEZNS1_25segmented_radix_sort_implIS3_Lb0EPKfPfPKlPlN2at6native12_GLOBAL__N_18offset_tEEE10hipError_tPvRmT1_PNSt15iterator_traitsISK_E10value_typeET2_T3_PNSL_ISQ_E10value_typeET4_jRbjT5_SW_jjP12ihipStream_tbEUlT_E2_NS1_11comp_targetILNS1_3genE9ELNS1_11target_archE1100ELNS1_3gpuE3ELNS1_3repE0EEENS1_30default_config_static_selectorELNS0_4arch9wavefront6targetE1EEEvSK_
                                        ; -- End function
	.set _ZN7rocprim17ROCPRIM_400000_NS6detail17trampoline_kernelINS0_14default_configENS1_36segmented_radix_sort_config_selectorIflEEZNS1_25segmented_radix_sort_implIS3_Lb0EPKfPfPKlPlN2at6native12_GLOBAL__N_18offset_tEEE10hipError_tPvRmT1_PNSt15iterator_traitsISK_E10value_typeET2_T3_PNSL_ISQ_E10value_typeET4_jRbjT5_SW_jjP12ihipStream_tbEUlT_E2_NS1_11comp_targetILNS1_3genE9ELNS1_11target_archE1100ELNS1_3gpuE3ELNS1_3repE0EEENS1_30default_config_static_selectorELNS0_4arch9wavefront6targetE1EEEvSK_.num_vgpr, 0
	.set _ZN7rocprim17ROCPRIM_400000_NS6detail17trampoline_kernelINS0_14default_configENS1_36segmented_radix_sort_config_selectorIflEEZNS1_25segmented_radix_sort_implIS3_Lb0EPKfPfPKlPlN2at6native12_GLOBAL__N_18offset_tEEE10hipError_tPvRmT1_PNSt15iterator_traitsISK_E10value_typeET2_T3_PNSL_ISQ_E10value_typeET4_jRbjT5_SW_jjP12ihipStream_tbEUlT_E2_NS1_11comp_targetILNS1_3genE9ELNS1_11target_archE1100ELNS1_3gpuE3ELNS1_3repE0EEENS1_30default_config_static_selectorELNS0_4arch9wavefront6targetE1EEEvSK_.num_agpr, 0
	.set _ZN7rocprim17ROCPRIM_400000_NS6detail17trampoline_kernelINS0_14default_configENS1_36segmented_radix_sort_config_selectorIflEEZNS1_25segmented_radix_sort_implIS3_Lb0EPKfPfPKlPlN2at6native12_GLOBAL__N_18offset_tEEE10hipError_tPvRmT1_PNSt15iterator_traitsISK_E10value_typeET2_T3_PNSL_ISQ_E10value_typeET4_jRbjT5_SW_jjP12ihipStream_tbEUlT_E2_NS1_11comp_targetILNS1_3genE9ELNS1_11target_archE1100ELNS1_3gpuE3ELNS1_3repE0EEENS1_30default_config_static_selectorELNS0_4arch9wavefront6targetE1EEEvSK_.numbered_sgpr, 0
	.set _ZN7rocprim17ROCPRIM_400000_NS6detail17trampoline_kernelINS0_14default_configENS1_36segmented_radix_sort_config_selectorIflEEZNS1_25segmented_radix_sort_implIS3_Lb0EPKfPfPKlPlN2at6native12_GLOBAL__N_18offset_tEEE10hipError_tPvRmT1_PNSt15iterator_traitsISK_E10value_typeET2_T3_PNSL_ISQ_E10value_typeET4_jRbjT5_SW_jjP12ihipStream_tbEUlT_E2_NS1_11comp_targetILNS1_3genE9ELNS1_11target_archE1100ELNS1_3gpuE3ELNS1_3repE0EEENS1_30default_config_static_selectorELNS0_4arch9wavefront6targetE1EEEvSK_.num_named_barrier, 0
	.set _ZN7rocprim17ROCPRIM_400000_NS6detail17trampoline_kernelINS0_14default_configENS1_36segmented_radix_sort_config_selectorIflEEZNS1_25segmented_radix_sort_implIS3_Lb0EPKfPfPKlPlN2at6native12_GLOBAL__N_18offset_tEEE10hipError_tPvRmT1_PNSt15iterator_traitsISK_E10value_typeET2_T3_PNSL_ISQ_E10value_typeET4_jRbjT5_SW_jjP12ihipStream_tbEUlT_E2_NS1_11comp_targetILNS1_3genE9ELNS1_11target_archE1100ELNS1_3gpuE3ELNS1_3repE0EEENS1_30default_config_static_selectorELNS0_4arch9wavefront6targetE1EEEvSK_.private_seg_size, 0
	.set _ZN7rocprim17ROCPRIM_400000_NS6detail17trampoline_kernelINS0_14default_configENS1_36segmented_radix_sort_config_selectorIflEEZNS1_25segmented_radix_sort_implIS3_Lb0EPKfPfPKlPlN2at6native12_GLOBAL__N_18offset_tEEE10hipError_tPvRmT1_PNSt15iterator_traitsISK_E10value_typeET2_T3_PNSL_ISQ_E10value_typeET4_jRbjT5_SW_jjP12ihipStream_tbEUlT_E2_NS1_11comp_targetILNS1_3genE9ELNS1_11target_archE1100ELNS1_3gpuE3ELNS1_3repE0EEENS1_30default_config_static_selectorELNS0_4arch9wavefront6targetE1EEEvSK_.uses_vcc, 0
	.set _ZN7rocprim17ROCPRIM_400000_NS6detail17trampoline_kernelINS0_14default_configENS1_36segmented_radix_sort_config_selectorIflEEZNS1_25segmented_radix_sort_implIS3_Lb0EPKfPfPKlPlN2at6native12_GLOBAL__N_18offset_tEEE10hipError_tPvRmT1_PNSt15iterator_traitsISK_E10value_typeET2_T3_PNSL_ISQ_E10value_typeET4_jRbjT5_SW_jjP12ihipStream_tbEUlT_E2_NS1_11comp_targetILNS1_3genE9ELNS1_11target_archE1100ELNS1_3gpuE3ELNS1_3repE0EEENS1_30default_config_static_selectorELNS0_4arch9wavefront6targetE1EEEvSK_.uses_flat_scratch, 0
	.set _ZN7rocprim17ROCPRIM_400000_NS6detail17trampoline_kernelINS0_14default_configENS1_36segmented_radix_sort_config_selectorIflEEZNS1_25segmented_radix_sort_implIS3_Lb0EPKfPfPKlPlN2at6native12_GLOBAL__N_18offset_tEEE10hipError_tPvRmT1_PNSt15iterator_traitsISK_E10value_typeET2_T3_PNSL_ISQ_E10value_typeET4_jRbjT5_SW_jjP12ihipStream_tbEUlT_E2_NS1_11comp_targetILNS1_3genE9ELNS1_11target_archE1100ELNS1_3gpuE3ELNS1_3repE0EEENS1_30default_config_static_selectorELNS0_4arch9wavefront6targetE1EEEvSK_.has_dyn_sized_stack, 0
	.set _ZN7rocprim17ROCPRIM_400000_NS6detail17trampoline_kernelINS0_14default_configENS1_36segmented_radix_sort_config_selectorIflEEZNS1_25segmented_radix_sort_implIS3_Lb0EPKfPfPKlPlN2at6native12_GLOBAL__N_18offset_tEEE10hipError_tPvRmT1_PNSt15iterator_traitsISK_E10value_typeET2_T3_PNSL_ISQ_E10value_typeET4_jRbjT5_SW_jjP12ihipStream_tbEUlT_E2_NS1_11comp_targetILNS1_3genE9ELNS1_11target_archE1100ELNS1_3gpuE3ELNS1_3repE0EEENS1_30default_config_static_selectorELNS0_4arch9wavefront6targetE1EEEvSK_.has_recursion, 0
	.set _ZN7rocprim17ROCPRIM_400000_NS6detail17trampoline_kernelINS0_14default_configENS1_36segmented_radix_sort_config_selectorIflEEZNS1_25segmented_radix_sort_implIS3_Lb0EPKfPfPKlPlN2at6native12_GLOBAL__N_18offset_tEEE10hipError_tPvRmT1_PNSt15iterator_traitsISK_E10value_typeET2_T3_PNSL_ISQ_E10value_typeET4_jRbjT5_SW_jjP12ihipStream_tbEUlT_E2_NS1_11comp_targetILNS1_3genE9ELNS1_11target_archE1100ELNS1_3gpuE3ELNS1_3repE0EEENS1_30default_config_static_selectorELNS0_4arch9wavefront6targetE1EEEvSK_.has_indirect_call, 0
	.section	.AMDGPU.csdata,"",@progbits
; Kernel info:
; codeLenInByte = 0
; TotalNumSgprs: 4
; NumVgprs: 0
; ScratchSize: 0
; MemoryBound: 0
; FloatMode: 240
; IeeeMode: 1
; LDSByteSize: 0 bytes/workgroup (compile time only)
; SGPRBlocks: 0
; VGPRBlocks: 0
; NumSGPRsForWavesPerEU: 4
; NumVGPRsForWavesPerEU: 1
; Occupancy: 10
; WaveLimiterHint : 0
; COMPUTE_PGM_RSRC2:SCRATCH_EN: 0
; COMPUTE_PGM_RSRC2:USER_SGPR: 6
; COMPUTE_PGM_RSRC2:TRAP_HANDLER: 0
; COMPUTE_PGM_RSRC2:TGID_X_EN: 1
; COMPUTE_PGM_RSRC2:TGID_Y_EN: 0
; COMPUTE_PGM_RSRC2:TGID_Z_EN: 0
; COMPUTE_PGM_RSRC2:TIDIG_COMP_CNT: 0
	.section	.text._ZN7rocprim17ROCPRIM_400000_NS6detail17trampoline_kernelINS0_14default_configENS1_36segmented_radix_sort_config_selectorIflEEZNS1_25segmented_radix_sort_implIS3_Lb0EPKfPfPKlPlN2at6native12_GLOBAL__N_18offset_tEEE10hipError_tPvRmT1_PNSt15iterator_traitsISK_E10value_typeET2_T3_PNSL_ISQ_E10value_typeET4_jRbjT5_SW_jjP12ihipStream_tbEUlT_E2_NS1_11comp_targetILNS1_3genE8ELNS1_11target_archE1030ELNS1_3gpuE2ELNS1_3repE0EEENS1_30default_config_static_selectorELNS0_4arch9wavefront6targetE1EEEvSK_,"axG",@progbits,_ZN7rocprim17ROCPRIM_400000_NS6detail17trampoline_kernelINS0_14default_configENS1_36segmented_radix_sort_config_selectorIflEEZNS1_25segmented_radix_sort_implIS3_Lb0EPKfPfPKlPlN2at6native12_GLOBAL__N_18offset_tEEE10hipError_tPvRmT1_PNSt15iterator_traitsISK_E10value_typeET2_T3_PNSL_ISQ_E10value_typeET4_jRbjT5_SW_jjP12ihipStream_tbEUlT_E2_NS1_11comp_targetILNS1_3genE8ELNS1_11target_archE1030ELNS1_3gpuE2ELNS1_3repE0EEENS1_30default_config_static_selectorELNS0_4arch9wavefront6targetE1EEEvSK_,comdat
	.globl	_ZN7rocprim17ROCPRIM_400000_NS6detail17trampoline_kernelINS0_14default_configENS1_36segmented_radix_sort_config_selectorIflEEZNS1_25segmented_radix_sort_implIS3_Lb0EPKfPfPKlPlN2at6native12_GLOBAL__N_18offset_tEEE10hipError_tPvRmT1_PNSt15iterator_traitsISK_E10value_typeET2_T3_PNSL_ISQ_E10value_typeET4_jRbjT5_SW_jjP12ihipStream_tbEUlT_E2_NS1_11comp_targetILNS1_3genE8ELNS1_11target_archE1030ELNS1_3gpuE2ELNS1_3repE0EEENS1_30default_config_static_selectorELNS0_4arch9wavefront6targetE1EEEvSK_ ; -- Begin function _ZN7rocprim17ROCPRIM_400000_NS6detail17trampoline_kernelINS0_14default_configENS1_36segmented_radix_sort_config_selectorIflEEZNS1_25segmented_radix_sort_implIS3_Lb0EPKfPfPKlPlN2at6native12_GLOBAL__N_18offset_tEEE10hipError_tPvRmT1_PNSt15iterator_traitsISK_E10value_typeET2_T3_PNSL_ISQ_E10value_typeET4_jRbjT5_SW_jjP12ihipStream_tbEUlT_E2_NS1_11comp_targetILNS1_3genE8ELNS1_11target_archE1030ELNS1_3gpuE2ELNS1_3repE0EEENS1_30default_config_static_selectorELNS0_4arch9wavefront6targetE1EEEvSK_
	.p2align	8
	.type	_ZN7rocprim17ROCPRIM_400000_NS6detail17trampoline_kernelINS0_14default_configENS1_36segmented_radix_sort_config_selectorIflEEZNS1_25segmented_radix_sort_implIS3_Lb0EPKfPfPKlPlN2at6native12_GLOBAL__N_18offset_tEEE10hipError_tPvRmT1_PNSt15iterator_traitsISK_E10value_typeET2_T3_PNSL_ISQ_E10value_typeET4_jRbjT5_SW_jjP12ihipStream_tbEUlT_E2_NS1_11comp_targetILNS1_3genE8ELNS1_11target_archE1030ELNS1_3gpuE2ELNS1_3repE0EEENS1_30default_config_static_selectorELNS0_4arch9wavefront6targetE1EEEvSK_,@function
_ZN7rocprim17ROCPRIM_400000_NS6detail17trampoline_kernelINS0_14default_configENS1_36segmented_radix_sort_config_selectorIflEEZNS1_25segmented_radix_sort_implIS3_Lb0EPKfPfPKlPlN2at6native12_GLOBAL__N_18offset_tEEE10hipError_tPvRmT1_PNSt15iterator_traitsISK_E10value_typeET2_T3_PNSL_ISQ_E10value_typeET4_jRbjT5_SW_jjP12ihipStream_tbEUlT_E2_NS1_11comp_targetILNS1_3genE8ELNS1_11target_archE1030ELNS1_3gpuE2ELNS1_3repE0EEENS1_30default_config_static_selectorELNS0_4arch9wavefront6targetE1EEEvSK_: ; @_ZN7rocprim17ROCPRIM_400000_NS6detail17trampoline_kernelINS0_14default_configENS1_36segmented_radix_sort_config_selectorIflEEZNS1_25segmented_radix_sort_implIS3_Lb0EPKfPfPKlPlN2at6native12_GLOBAL__N_18offset_tEEE10hipError_tPvRmT1_PNSt15iterator_traitsISK_E10value_typeET2_T3_PNSL_ISQ_E10value_typeET4_jRbjT5_SW_jjP12ihipStream_tbEUlT_E2_NS1_11comp_targetILNS1_3genE8ELNS1_11target_archE1030ELNS1_3gpuE2ELNS1_3repE0EEENS1_30default_config_static_selectorELNS0_4arch9wavefront6targetE1EEEvSK_
; %bb.0:
	.section	.rodata,"a",@progbits
	.p2align	6, 0x0
	.amdhsa_kernel _ZN7rocprim17ROCPRIM_400000_NS6detail17trampoline_kernelINS0_14default_configENS1_36segmented_radix_sort_config_selectorIflEEZNS1_25segmented_radix_sort_implIS3_Lb0EPKfPfPKlPlN2at6native12_GLOBAL__N_18offset_tEEE10hipError_tPvRmT1_PNSt15iterator_traitsISK_E10value_typeET2_T3_PNSL_ISQ_E10value_typeET4_jRbjT5_SW_jjP12ihipStream_tbEUlT_E2_NS1_11comp_targetILNS1_3genE8ELNS1_11target_archE1030ELNS1_3gpuE2ELNS1_3repE0EEENS1_30default_config_static_selectorELNS0_4arch9wavefront6targetE1EEEvSK_
		.amdhsa_group_segment_fixed_size 0
		.amdhsa_private_segment_fixed_size 0
		.amdhsa_kernarg_size 80
		.amdhsa_user_sgpr_count 6
		.amdhsa_user_sgpr_private_segment_buffer 1
		.amdhsa_user_sgpr_dispatch_ptr 0
		.amdhsa_user_sgpr_queue_ptr 0
		.amdhsa_user_sgpr_kernarg_segment_ptr 1
		.amdhsa_user_sgpr_dispatch_id 0
		.amdhsa_user_sgpr_flat_scratch_init 0
		.amdhsa_user_sgpr_private_segment_size 0
		.amdhsa_uses_dynamic_stack 0
		.amdhsa_system_sgpr_private_segment_wavefront_offset 0
		.amdhsa_system_sgpr_workgroup_id_x 1
		.amdhsa_system_sgpr_workgroup_id_y 0
		.amdhsa_system_sgpr_workgroup_id_z 0
		.amdhsa_system_sgpr_workgroup_info 0
		.amdhsa_system_vgpr_workitem_id 0
		.amdhsa_next_free_vgpr 1
		.amdhsa_next_free_sgpr 0
		.amdhsa_reserve_vcc 0
		.amdhsa_reserve_flat_scratch 0
		.amdhsa_float_round_mode_32 0
		.amdhsa_float_round_mode_16_64 0
		.amdhsa_float_denorm_mode_32 3
		.amdhsa_float_denorm_mode_16_64 3
		.amdhsa_dx10_clamp 1
		.amdhsa_ieee_mode 1
		.amdhsa_fp16_overflow 0
		.amdhsa_exception_fp_ieee_invalid_op 0
		.amdhsa_exception_fp_denorm_src 0
		.amdhsa_exception_fp_ieee_div_zero 0
		.amdhsa_exception_fp_ieee_overflow 0
		.amdhsa_exception_fp_ieee_underflow 0
		.amdhsa_exception_fp_ieee_inexact 0
		.amdhsa_exception_int_div_zero 0
	.end_amdhsa_kernel
	.section	.text._ZN7rocprim17ROCPRIM_400000_NS6detail17trampoline_kernelINS0_14default_configENS1_36segmented_radix_sort_config_selectorIflEEZNS1_25segmented_radix_sort_implIS3_Lb0EPKfPfPKlPlN2at6native12_GLOBAL__N_18offset_tEEE10hipError_tPvRmT1_PNSt15iterator_traitsISK_E10value_typeET2_T3_PNSL_ISQ_E10value_typeET4_jRbjT5_SW_jjP12ihipStream_tbEUlT_E2_NS1_11comp_targetILNS1_3genE8ELNS1_11target_archE1030ELNS1_3gpuE2ELNS1_3repE0EEENS1_30default_config_static_selectorELNS0_4arch9wavefront6targetE1EEEvSK_,"axG",@progbits,_ZN7rocprim17ROCPRIM_400000_NS6detail17trampoline_kernelINS0_14default_configENS1_36segmented_radix_sort_config_selectorIflEEZNS1_25segmented_radix_sort_implIS3_Lb0EPKfPfPKlPlN2at6native12_GLOBAL__N_18offset_tEEE10hipError_tPvRmT1_PNSt15iterator_traitsISK_E10value_typeET2_T3_PNSL_ISQ_E10value_typeET4_jRbjT5_SW_jjP12ihipStream_tbEUlT_E2_NS1_11comp_targetILNS1_3genE8ELNS1_11target_archE1030ELNS1_3gpuE2ELNS1_3repE0EEENS1_30default_config_static_selectorELNS0_4arch9wavefront6targetE1EEEvSK_,comdat
.Lfunc_end1466:
	.size	_ZN7rocprim17ROCPRIM_400000_NS6detail17trampoline_kernelINS0_14default_configENS1_36segmented_radix_sort_config_selectorIflEEZNS1_25segmented_radix_sort_implIS3_Lb0EPKfPfPKlPlN2at6native12_GLOBAL__N_18offset_tEEE10hipError_tPvRmT1_PNSt15iterator_traitsISK_E10value_typeET2_T3_PNSL_ISQ_E10value_typeET4_jRbjT5_SW_jjP12ihipStream_tbEUlT_E2_NS1_11comp_targetILNS1_3genE8ELNS1_11target_archE1030ELNS1_3gpuE2ELNS1_3repE0EEENS1_30default_config_static_selectorELNS0_4arch9wavefront6targetE1EEEvSK_, .Lfunc_end1466-_ZN7rocprim17ROCPRIM_400000_NS6detail17trampoline_kernelINS0_14default_configENS1_36segmented_radix_sort_config_selectorIflEEZNS1_25segmented_radix_sort_implIS3_Lb0EPKfPfPKlPlN2at6native12_GLOBAL__N_18offset_tEEE10hipError_tPvRmT1_PNSt15iterator_traitsISK_E10value_typeET2_T3_PNSL_ISQ_E10value_typeET4_jRbjT5_SW_jjP12ihipStream_tbEUlT_E2_NS1_11comp_targetILNS1_3genE8ELNS1_11target_archE1030ELNS1_3gpuE2ELNS1_3repE0EEENS1_30default_config_static_selectorELNS0_4arch9wavefront6targetE1EEEvSK_
                                        ; -- End function
	.set _ZN7rocprim17ROCPRIM_400000_NS6detail17trampoline_kernelINS0_14default_configENS1_36segmented_radix_sort_config_selectorIflEEZNS1_25segmented_radix_sort_implIS3_Lb0EPKfPfPKlPlN2at6native12_GLOBAL__N_18offset_tEEE10hipError_tPvRmT1_PNSt15iterator_traitsISK_E10value_typeET2_T3_PNSL_ISQ_E10value_typeET4_jRbjT5_SW_jjP12ihipStream_tbEUlT_E2_NS1_11comp_targetILNS1_3genE8ELNS1_11target_archE1030ELNS1_3gpuE2ELNS1_3repE0EEENS1_30default_config_static_selectorELNS0_4arch9wavefront6targetE1EEEvSK_.num_vgpr, 0
	.set _ZN7rocprim17ROCPRIM_400000_NS6detail17trampoline_kernelINS0_14default_configENS1_36segmented_radix_sort_config_selectorIflEEZNS1_25segmented_radix_sort_implIS3_Lb0EPKfPfPKlPlN2at6native12_GLOBAL__N_18offset_tEEE10hipError_tPvRmT1_PNSt15iterator_traitsISK_E10value_typeET2_T3_PNSL_ISQ_E10value_typeET4_jRbjT5_SW_jjP12ihipStream_tbEUlT_E2_NS1_11comp_targetILNS1_3genE8ELNS1_11target_archE1030ELNS1_3gpuE2ELNS1_3repE0EEENS1_30default_config_static_selectorELNS0_4arch9wavefront6targetE1EEEvSK_.num_agpr, 0
	.set _ZN7rocprim17ROCPRIM_400000_NS6detail17trampoline_kernelINS0_14default_configENS1_36segmented_radix_sort_config_selectorIflEEZNS1_25segmented_radix_sort_implIS3_Lb0EPKfPfPKlPlN2at6native12_GLOBAL__N_18offset_tEEE10hipError_tPvRmT1_PNSt15iterator_traitsISK_E10value_typeET2_T3_PNSL_ISQ_E10value_typeET4_jRbjT5_SW_jjP12ihipStream_tbEUlT_E2_NS1_11comp_targetILNS1_3genE8ELNS1_11target_archE1030ELNS1_3gpuE2ELNS1_3repE0EEENS1_30default_config_static_selectorELNS0_4arch9wavefront6targetE1EEEvSK_.numbered_sgpr, 0
	.set _ZN7rocprim17ROCPRIM_400000_NS6detail17trampoline_kernelINS0_14default_configENS1_36segmented_radix_sort_config_selectorIflEEZNS1_25segmented_radix_sort_implIS3_Lb0EPKfPfPKlPlN2at6native12_GLOBAL__N_18offset_tEEE10hipError_tPvRmT1_PNSt15iterator_traitsISK_E10value_typeET2_T3_PNSL_ISQ_E10value_typeET4_jRbjT5_SW_jjP12ihipStream_tbEUlT_E2_NS1_11comp_targetILNS1_3genE8ELNS1_11target_archE1030ELNS1_3gpuE2ELNS1_3repE0EEENS1_30default_config_static_selectorELNS0_4arch9wavefront6targetE1EEEvSK_.num_named_barrier, 0
	.set _ZN7rocprim17ROCPRIM_400000_NS6detail17trampoline_kernelINS0_14default_configENS1_36segmented_radix_sort_config_selectorIflEEZNS1_25segmented_radix_sort_implIS3_Lb0EPKfPfPKlPlN2at6native12_GLOBAL__N_18offset_tEEE10hipError_tPvRmT1_PNSt15iterator_traitsISK_E10value_typeET2_T3_PNSL_ISQ_E10value_typeET4_jRbjT5_SW_jjP12ihipStream_tbEUlT_E2_NS1_11comp_targetILNS1_3genE8ELNS1_11target_archE1030ELNS1_3gpuE2ELNS1_3repE0EEENS1_30default_config_static_selectorELNS0_4arch9wavefront6targetE1EEEvSK_.private_seg_size, 0
	.set _ZN7rocprim17ROCPRIM_400000_NS6detail17trampoline_kernelINS0_14default_configENS1_36segmented_radix_sort_config_selectorIflEEZNS1_25segmented_radix_sort_implIS3_Lb0EPKfPfPKlPlN2at6native12_GLOBAL__N_18offset_tEEE10hipError_tPvRmT1_PNSt15iterator_traitsISK_E10value_typeET2_T3_PNSL_ISQ_E10value_typeET4_jRbjT5_SW_jjP12ihipStream_tbEUlT_E2_NS1_11comp_targetILNS1_3genE8ELNS1_11target_archE1030ELNS1_3gpuE2ELNS1_3repE0EEENS1_30default_config_static_selectorELNS0_4arch9wavefront6targetE1EEEvSK_.uses_vcc, 0
	.set _ZN7rocprim17ROCPRIM_400000_NS6detail17trampoline_kernelINS0_14default_configENS1_36segmented_radix_sort_config_selectorIflEEZNS1_25segmented_radix_sort_implIS3_Lb0EPKfPfPKlPlN2at6native12_GLOBAL__N_18offset_tEEE10hipError_tPvRmT1_PNSt15iterator_traitsISK_E10value_typeET2_T3_PNSL_ISQ_E10value_typeET4_jRbjT5_SW_jjP12ihipStream_tbEUlT_E2_NS1_11comp_targetILNS1_3genE8ELNS1_11target_archE1030ELNS1_3gpuE2ELNS1_3repE0EEENS1_30default_config_static_selectorELNS0_4arch9wavefront6targetE1EEEvSK_.uses_flat_scratch, 0
	.set _ZN7rocprim17ROCPRIM_400000_NS6detail17trampoline_kernelINS0_14default_configENS1_36segmented_radix_sort_config_selectorIflEEZNS1_25segmented_radix_sort_implIS3_Lb0EPKfPfPKlPlN2at6native12_GLOBAL__N_18offset_tEEE10hipError_tPvRmT1_PNSt15iterator_traitsISK_E10value_typeET2_T3_PNSL_ISQ_E10value_typeET4_jRbjT5_SW_jjP12ihipStream_tbEUlT_E2_NS1_11comp_targetILNS1_3genE8ELNS1_11target_archE1030ELNS1_3gpuE2ELNS1_3repE0EEENS1_30default_config_static_selectorELNS0_4arch9wavefront6targetE1EEEvSK_.has_dyn_sized_stack, 0
	.set _ZN7rocprim17ROCPRIM_400000_NS6detail17trampoline_kernelINS0_14default_configENS1_36segmented_radix_sort_config_selectorIflEEZNS1_25segmented_radix_sort_implIS3_Lb0EPKfPfPKlPlN2at6native12_GLOBAL__N_18offset_tEEE10hipError_tPvRmT1_PNSt15iterator_traitsISK_E10value_typeET2_T3_PNSL_ISQ_E10value_typeET4_jRbjT5_SW_jjP12ihipStream_tbEUlT_E2_NS1_11comp_targetILNS1_3genE8ELNS1_11target_archE1030ELNS1_3gpuE2ELNS1_3repE0EEENS1_30default_config_static_selectorELNS0_4arch9wavefront6targetE1EEEvSK_.has_recursion, 0
	.set _ZN7rocprim17ROCPRIM_400000_NS6detail17trampoline_kernelINS0_14default_configENS1_36segmented_radix_sort_config_selectorIflEEZNS1_25segmented_radix_sort_implIS3_Lb0EPKfPfPKlPlN2at6native12_GLOBAL__N_18offset_tEEE10hipError_tPvRmT1_PNSt15iterator_traitsISK_E10value_typeET2_T3_PNSL_ISQ_E10value_typeET4_jRbjT5_SW_jjP12ihipStream_tbEUlT_E2_NS1_11comp_targetILNS1_3genE8ELNS1_11target_archE1030ELNS1_3gpuE2ELNS1_3repE0EEENS1_30default_config_static_selectorELNS0_4arch9wavefront6targetE1EEEvSK_.has_indirect_call, 0
	.section	.AMDGPU.csdata,"",@progbits
; Kernel info:
; codeLenInByte = 0
; TotalNumSgprs: 4
; NumVgprs: 0
; ScratchSize: 0
; MemoryBound: 0
; FloatMode: 240
; IeeeMode: 1
; LDSByteSize: 0 bytes/workgroup (compile time only)
; SGPRBlocks: 0
; VGPRBlocks: 0
; NumSGPRsForWavesPerEU: 4
; NumVGPRsForWavesPerEU: 1
; Occupancy: 10
; WaveLimiterHint : 0
; COMPUTE_PGM_RSRC2:SCRATCH_EN: 0
; COMPUTE_PGM_RSRC2:USER_SGPR: 6
; COMPUTE_PGM_RSRC2:TRAP_HANDLER: 0
; COMPUTE_PGM_RSRC2:TGID_X_EN: 1
; COMPUTE_PGM_RSRC2:TGID_Y_EN: 0
; COMPUTE_PGM_RSRC2:TGID_Z_EN: 0
; COMPUTE_PGM_RSRC2:TIDIG_COMP_CNT: 0
	.section	.text._ZN2at6native12_GLOBAL__N_123sort_postprocess_kernelIbEEvPKT_PS3_PlPK15HIP_vector_typeIiLj2EEii,"axG",@progbits,_ZN2at6native12_GLOBAL__N_123sort_postprocess_kernelIbEEvPKT_PS3_PlPK15HIP_vector_typeIiLj2EEii,comdat
	.globl	_ZN2at6native12_GLOBAL__N_123sort_postprocess_kernelIbEEvPKT_PS3_PlPK15HIP_vector_typeIiLj2EEii ; -- Begin function _ZN2at6native12_GLOBAL__N_123sort_postprocess_kernelIbEEvPKT_PS3_PlPK15HIP_vector_typeIiLj2EEii
	.p2align	8
	.type	_ZN2at6native12_GLOBAL__N_123sort_postprocess_kernelIbEEvPKT_PS3_PlPK15HIP_vector_typeIiLj2EEii,@function
_ZN2at6native12_GLOBAL__N_123sort_postprocess_kernelIbEEvPKT_PS3_PlPK15HIP_vector_typeIiLj2EEii: ; @_ZN2at6native12_GLOBAL__N_123sort_postprocess_kernelIbEEvPKT_PS3_PlPK15HIP_vector_typeIiLj2EEii
; %bb.0:
	s_load_dword s2, s[4:5], 0x34
	s_load_dwordx2 s[8:9], s[4:5], 0x20
	s_add_u32 s0, s4, 40
	s_addc_u32 s1, s5, 0
	s_waitcnt lgkmcnt(0)
	s_and_b32 s16, s2, 0xffff
	s_mul_hi_u32 s17, s16, s6
	s_mul_i32 s6, s16, s6
	v_mov_b32_e32 v2, s17
	v_add_co_u32_e32 v1, vcc, s6, v0
	s_mul_i32 s2, s9, s8
	v_addc_co_u32_e32 v2, vcc, 0, v2, vcc
	s_ashr_i32 s3, s2, 31
	v_cmp_gt_i64_e32 vcc, s[2:3], v[1:2]
	v_mov_b32_e32 v1, 0
	s_and_saveexec_b64 s[10:11], vcc
	s_cbranch_execz .LBB1467_3
; %bb.1:
	s_abs_i32 s7, s9
	v_cvt_f32_u32_e32 v2, s7
	s_load_dword s18, s[0:1], 0x0
	s_load_dwordx8 s[8:15], s[4:5], 0x0
	s_sub_i32 s0, 0, s7
	s_mov_b64 s[4:5], 0
	v_rcp_iflag_f32_e32 v2, v2
	s_waitcnt lgkmcnt(0)
	s_mul_i32 s16, s18, s16
	v_mov_b32_e32 v4, s13
	v_mov_b32_e32 v5, s15
	v_mul_f32_e32 v2, 0x4f7ffffe, v2
	v_cvt_u32_f32_e32 v6, v2
	v_mov_b32_e32 v2, s9
	v_mul_lo_u32 v3, s0, v6
	v_mul_hi_u32 v7, v6, v3
	v_mov_b32_e32 v3, s11
	v_add_u32_e32 v6, v6, v7
	v_mov_b32_e32 v7, s17
.LBB1467_2:                             ; =>This Inner Loop Header: Depth=1
	v_add_u32_e32 v8, s6, v0
	v_ashrrev_i32_e32 v9, 31, v8
	v_sub_u32_e32 v10, 0, v8
	v_add_u32_e32 v11, v8, v9
	v_max_i32_e32 v8, v8, v10
	v_mul_hi_u32 v10, v8, v6
	v_mul_lo_u32 v10, v10, s7
	v_sub_u32_e32 v8, v8, v10
	v_subrev_u32_e32 v10, s7, v8
	v_cmp_le_u32_e32 vcc, s7, v8
	v_cndmask_b32_e32 v8, v8, v10, vcc
	v_subrev_u32_e32 v10, s7, v8
	v_cmp_le_u32_e32 vcc, s7, v8
	v_cndmask_b32_e32 v8, v8, v10, vcc
	v_xor_b32_e32 v10, v8, v9
	v_sub_u32_e32 v8, v10, v9
	v_sub_u32_e32 v10, v11, v10
	v_ashrrev_i32_e32 v11, 31, v10
	v_lshlrev_b64 v[12:13], 3, v[10:11]
	v_ashrrev_i32_e32 v9, 31, v8
	v_lshlrev_b64 v[14:15], 3, v[8:9]
	v_add_co_u32_e32 v16, vcc, s14, v12
	v_addc_co_u32_e32 v17, vcc, v5, v13, vcc
	v_add_co_u32_e32 v16, vcc, v16, v14
	v_addc_co_u32_e32 v17, vcc, v17, v15, vcc
	global_load_dword v16, v[16:17], off offset:4
	v_add_co_u32_e32 v0, vcc, s16, v0
	v_addc_co_u32_e32 v1, vcc, 0, v1, vcc
	v_add_co_u32_e32 v17, vcc, s6, v0
	v_addc_co_u32_e32 v18, vcc, v7, v1, vcc
	v_cmp_le_i64_e32 vcc, s[2:3], v[17:18]
	v_add_co_u32_e64 v18, s[0:1], s8, v10
	v_addc_co_u32_e64 v19, s[0:1], v2, v11, s[0:1]
	s_or_b64 s[4:5], vcc, s[4:5]
	v_add_co_u32_e32 v10, vcc, s10, v10
	v_addc_co_u32_e32 v11, vcc, v3, v11, vcc
	v_add_co_u32_e32 v8, vcc, v10, v8
	v_addc_co_u32_e32 v9, vcc, v11, v9, vcc
	;; [unrolled: 2-line block ×4, first 2 shown]
	s_waitcnt vmcnt(0)
	v_ashrrev_i32_e32 v17, 31, v16
	v_add_co_u32_e64 v18, s[0:1], v18, v16
	v_addc_co_u32_e64 v19, s[0:1], v19, v17, s[0:1]
	global_load_ubyte v18, v[18:19], off
	s_nop 0
	global_store_dwordx2 v[10:11], v[16:17], off
	s_waitcnt vmcnt(1)
	global_store_byte v[8:9], v18, off
	s_andn2_b64 exec, exec, s[4:5]
	s_cbranch_execnz .LBB1467_2
.LBB1467_3:
	s_endpgm
	.section	.rodata,"a",@progbits
	.p2align	6, 0x0
	.amdhsa_kernel _ZN2at6native12_GLOBAL__N_123sort_postprocess_kernelIbEEvPKT_PS3_PlPK15HIP_vector_typeIiLj2EEii
		.amdhsa_group_segment_fixed_size 0
		.amdhsa_private_segment_fixed_size 0
		.amdhsa_kernarg_size 296
		.amdhsa_user_sgpr_count 6
		.amdhsa_user_sgpr_private_segment_buffer 1
		.amdhsa_user_sgpr_dispatch_ptr 0
		.amdhsa_user_sgpr_queue_ptr 0
		.amdhsa_user_sgpr_kernarg_segment_ptr 1
		.amdhsa_user_sgpr_dispatch_id 0
		.amdhsa_user_sgpr_flat_scratch_init 0
		.amdhsa_user_sgpr_private_segment_size 0
		.amdhsa_uses_dynamic_stack 0
		.amdhsa_system_sgpr_private_segment_wavefront_offset 0
		.amdhsa_system_sgpr_workgroup_id_x 1
		.amdhsa_system_sgpr_workgroup_id_y 0
		.amdhsa_system_sgpr_workgroup_id_z 0
		.amdhsa_system_sgpr_workgroup_info 0
		.amdhsa_system_vgpr_workitem_id 0
		.amdhsa_next_free_vgpr 20
		.amdhsa_next_free_sgpr 19
		.amdhsa_reserve_vcc 1
		.amdhsa_reserve_flat_scratch 0
		.amdhsa_float_round_mode_32 0
		.amdhsa_float_round_mode_16_64 0
		.amdhsa_float_denorm_mode_32 3
		.amdhsa_float_denorm_mode_16_64 3
		.amdhsa_dx10_clamp 1
		.amdhsa_ieee_mode 1
		.amdhsa_fp16_overflow 0
		.amdhsa_exception_fp_ieee_invalid_op 0
		.amdhsa_exception_fp_denorm_src 0
		.amdhsa_exception_fp_ieee_div_zero 0
		.amdhsa_exception_fp_ieee_overflow 0
		.amdhsa_exception_fp_ieee_underflow 0
		.amdhsa_exception_fp_ieee_inexact 0
		.amdhsa_exception_int_div_zero 0
	.end_amdhsa_kernel
	.section	.text._ZN2at6native12_GLOBAL__N_123sort_postprocess_kernelIbEEvPKT_PS3_PlPK15HIP_vector_typeIiLj2EEii,"axG",@progbits,_ZN2at6native12_GLOBAL__N_123sort_postprocess_kernelIbEEvPKT_PS3_PlPK15HIP_vector_typeIiLj2EEii,comdat
.Lfunc_end1467:
	.size	_ZN2at6native12_GLOBAL__N_123sort_postprocess_kernelIbEEvPKT_PS3_PlPK15HIP_vector_typeIiLj2EEii, .Lfunc_end1467-_ZN2at6native12_GLOBAL__N_123sort_postprocess_kernelIbEEvPKT_PS3_PlPK15HIP_vector_typeIiLj2EEii
                                        ; -- End function
	.set _ZN2at6native12_GLOBAL__N_123sort_postprocess_kernelIbEEvPKT_PS3_PlPK15HIP_vector_typeIiLj2EEii.num_vgpr, 20
	.set _ZN2at6native12_GLOBAL__N_123sort_postprocess_kernelIbEEvPKT_PS3_PlPK15HIP_vector_typeIiLj2EEii.num_agpr, 0
	.set _ZN2at6native12_GLOBAL__N_123sort_postprocess_kernelIbEEvPKT_PS3_PlPK15HIP_vector_typeIiLj2EEii.numbered_sgpr, 19
	.set _ZN2at6native12_GLOBAL__N_123sort_postprocess_kernelIbEEvPKT_PS3_PlPK15HIP_vector_typeIiLj2EEii.num_named_barrier, 0
	.set _ZN2at6native12_GLOBAL__N_123sort_postprocess_kernelIbEEvPKT_PS3_PlPK15HIP_vector_typeIiLj2EEii.private_seg_size, 0
	.set _ZN2at6native12_GLOBAL__N_123sort_postprocess_kernelIbEEvPKT_PS3_PlPK15HIP_vector_typeIiLj2EEii.uses_vcc, 1
	.set _ZN2at6native12_GLOBAL__N_123sort_postprocess_kernelIbEEvPKT_PS3_PlPK15HIP_vector_typeIiLj2EEii.uses_flat_scratch, 0
	.set _ZN2at6native12_GLOBAL__N_123sort_postprocess_kernelIbEEvPKT_PS3_PlPK15HIP_vector_typeIiLj2EEii.has_dyn_sized_stack, 0
	.set _ZN2at6native12_GLOBAL__N_123sort_postprocess_kernelIbEEvPKT_PS3_PlPK15HIP_vector_typeIiLj2EEii.has_recursion, 0
	.set _ZN2at6native12_GLOBAL__N_123sort_postprocess_kernelIbEEvPKT_PS3_PlPK15HIP_vector_typeIiLj2EEii.has_indirect_call, 0
	.section	.AMDGPU.csdata,"",@progbits
; Kernel info:
; codeLenInByte = 440
; TotalNumSgprs: 23
; NumVgprs: 20
; ScratchSize: 0
; MemoryBound: 0
; FloatMode: 240
; IeeeMode: 1
; LDSByteSize: 0 bytes/workgroup (compile time only)
; SGPRBlocks: 2
; VGPRBlocks: 4
; NumSGPRsForWavesPerEU: 23
; NumVGPRsForWavesPerEU: 20
; Occupancy: 10
; WaveLimiterHint : 1
; COMPUTE_PGM_RSRC2:SCRATCH_EN: 0
; COMPUTE_PGM_RSRC2:USER_SGPR: 6
; COMPUTE_PGM_RSRC2:TRAP_HANDLER: 0
; COMPUTE_PGM_RSRC2:TGID_X_EN: 1
; COMPUTE_PGM_RSRC2:TGID_Y_EN: 0
; COMPUTE_PGM_RSRC2:TGID_Z_EN: 0
; COMPUTE_PGM_RSRC2:TIDIG_COMP_CNT: 0
	.section	.text._ZN7rocprim17ROCPRIM_400000_NS6detail17trampoline_kernelINS0_13select_configILj256ELj13ELNS0_17block_load_methodE3ELS4_3ELS4_3ELNS0_20block_scan_algorithmE0ELj4294967295EEENS1_25partition_config_selectorILNS1_17partition_subalgoE4EjNS0_10empty_typeEbEEZZNS1_14partition_implILS8_4ELb0ES6_15HIP_vector_typeIjLj2EENS0_17counting_iteratorIjlEEPS9_SG_NS0_5tupleIJPjSI_NS0_16reverse_iteratorISI_EEEEENSH_IJSG_SG_SG_EEES9_SI_JZNS1_25segmented_radix_sort_implINS0_14default_configELb1EPKbPbPKlPlN2at6native12_GLOBAL__N_18offset_tEEE10hipError_tPvRmT1_PNSt15iterator_traitsIS12_E10value_typeET2_T3_PNS13_IS18_E10value_typeET4_jRbjT5_S1E_jjP12ihipStream_tbEUljE_ZNSN_ISO_Lb1ESQ_SR_ST_SU_SY_EESZ_S10_S11_S12_S16_S17_S18_S1B_S1C_jS1D_jS1E_S1E_jjS1G_bEUljE0_EEESZ_S10_S11_S18_S1C_S1E_T6_T7_T9_mT8_S1G_bDpT10_ENKUlT_T0_E_clISt17integral_constantIbLb0EES1U_EEDaS1P_S1Q_EUlS1P_E_NS1_11comp_targetILNS1_3genE0ELNS1_11target_archE4294967295ELNS1_3gpuE0ELNS1_3repE0EEENS1_30default_config_static_selectorELNS0_4arch9wavefront6targetE1EEEvS12_,"axG",@progbits,_ZN7rocprim17ROCPRIM_400000_NS6detail17trampoline_kernelINS0_13select_configILj256ELj13ELNS0_17block_load_methodE3ELS4_3ELS4_3ELNS0_20block_scan_algorithmE0ELj4294967295EEENS1_25partition_config_selectorILNS1_17partition_subalgoE4EjNS0_10empty_typeEbEEZZNS1_14partition_implILS8_4ELb0ES6_15HIP_vector_typeIjLj2EENS0_17counting_iteratorIjlEEPS9_SG_NS0_5tupleIJPjSI_NS0_16reverse_iteratorISI_EEEEENSH_IJSG_SG_SG_EEES9_SI_JZNS1_25segmented_radix_sort_implINS0_14default_configELb1EPKbPbPKlPlN2at6native12_GLOBAL__N_18offset_tEEE10hipError_tPvRmT1_PNSt15iterator_traitsIS12_E10value_typeET2_T3_PNS13_IS18_E10value_typeET4_jRbjT5_S1E_jjP12ihipStream_tbEUljE_ZNSN_ISO_Lb1ESQ_SR_ST_SU_SY_EESZ_S10_S11_S12_S16_S17_S18_S1B_S1C_jS1D_jS1E_S1E_jjS1G_bEUljE0_EEESZ_S10_S11_S18_S1C_S1E_T6_T7_T9_mT8_S1G_bDpT10_ENKUlT_T0_E_clISt17integral_constantIbLb0EES1U_EEDaS1P_S1Q_EUlS1P_E_NS1_11comp_targetILNS1_3genE0ELNS1_11target_archE4294967295ELNS1_3gpuE0ELNS1_3repE0EEENS1_30default_config_static_selectorELNS0_4arch9wavefront6targetE1EEEvS12_,comdat
	.globl	_ZN7rocprim17ROCPRIM_400000_NS6detail17trampoline_kernelINS0_13select_configILj256ELj13ELNS0_17block_load_methodE3ELS4_3ELS4_3ELNS0_20block_scan_algorithmE0ELj4294967295EEENS1_25partition_config_selectorILNS1_17partition_subalgoE4EjNS0_10empty_typeEbEEZZNS1_14partition_implILS8_4ELb0ES6_15HIP_vector_typeIjLj2EENS0_17counting_iteratorIjlEEPS9_SG_NS0_5tupleIJPjSI_NS0_16reverse_iteratorISI_EEEEENSH_IJSG_SG_SG_EEES9_SI_JZNS1_25segmented_radix_sort_implINS0_14default_configELb1EPKbPbPKlPlN2at6native12_GLOBAL__N_18offset_tEEE10hipError_tPvRmT1_PNSt15iterator_traitsIS12_E10value_typeET2_T3_PNS13_IS18_E10value_typeET4_jRbjT5_S1E_jjP12ihipStream_tbEUljE_ZNSN_ISO_Lb1ESQ_SR_ST_SU_SY_EESZ_S10_S11_S12_S16_S17_S18_S1B_S1C_jS1D_jS1E_S1E_jjS1G_bEUljE0_EEESZ_S10_S11_S18_S1C_S1E_T6_T7_T9_mT8_S1G_bDpT10_ENKUlT_T0_E_clISt17integral_constantIbLb0EES1U_EEDaS1P_S1Q_EUlS1P_E_NS1_11comp_targetILNS1_3genE0ELNS1_11target_archE4294967295ELNS1_3gpuE0ELNS1_3repE0EEENS1_30default_config_static_selectorELNS0_4arch9wavefront6targetE1EEEvS12_ ; -- Begin function _ZN7rocprim17ROCPRIM_400000_NS6detail17trampoline_kernelINS0_13select_configILj256ELj13ELNS0_17block_load_methodE3ELS4_3ELS4_3ELNS0_20block_scan_algorithmE0ELj4294967295EEENS1_25partition_config_selectorILNS1_17partition_subalgoE4EjNS0_10empty_typeEbEEZZNS1_14partition_implILS8_4ELb0ES6_15HIP_vector_typeIjLj2EENS0_17counting_iteratorIjlEEPS9_SG_NS0_5tupleIJPjSI_NS0_16reverse_iteratorISI_EEEEENSH_IJSG_SG_SG_EEES9_SI_JZNS1_25segmented_radix_sort_implINS0_14default_configELb1EPKbPbPKlPlN2at6native12_GLOBAL__N_18offset_tEEE10hipError_tPvRmT1_PNSt15iterator_traitsIS12_E10value_typeET2_T3_PNS13_IS18_E10value_typeET4_jRbjT5_S1E_jjP12ihipStream_tbEUljE_ZNSN_ISO_Lb1ESQ_SR_ST_SU_SY_EESZ_S10_S11_S12_S16_S17_S18_S1B_S1C_jS1D_jS1E_S1E_jjS1G_bEUljE0_EEESZ_S10_S11_S18_S1C_S1E_T6_T7_T9_mT8_S1G_bDpT10_ENKUlT_T0_E_clISt17integral_constantIbLb0EES1U_EEDaS1P_S1Q_EUlS1P_E_NS1_11comp_targetILNS1_3genE0ELNS1_11target_archE4294967295ELNS1_3gpuE0ELNS1_3repE0EEENS1_30default_config_static_selectorELNS0_4arch9wavefront6targetE1EEEvS12_
	.p2align	8
	.type	_ZN7rocprim17ROCPRIM_400000_NS6detail17trampoline_kernelINS0_13select_configILj256ELj13ELNS0_17block_load_methodE3ELS4_3ELS4_3ELNS0_20block_scan_algorithmE0ELj4294967295EEENS1_25partition_config_selectorILNS1_17partition_subalgoE4EjNS0_10empty_typeEbEEZZNS1_14partition_implILS8_4ELb0ES6_15HIP_vector_typeIjLj2EENS0_17counting_iteratorIjlEEPS9_SG_NS0_5tupleIJPjSI_NS0_16reverse_iteratorISI_EEEEENSH_IJSG_SG_SG_EEES9_SI_JZNS1_25segmented_radix_sort_implINS0_14default_configELb1EPKbPbPKlPlN2at6native12_GLOBAL__N_18offset_tEEE10hipError_tPvRmT1_PNSt15iterator_traitsIS12_E10value_typeET2_T3_PNS13_IS18_E10value_typeET4_jRbjT5_S1E_jjP12ihipStream_tbEUljE_ZNSN_ISO_Lb1ESQ_SR_ST_SU_SY_EESZ_S10_S11_S12_S16_S17_S18_S1B_S1C_jS1D_jS1E_S1E_jjS1G_bEUljE0_EEESZ_S10_S11_S18_S1C_S1E_T6_T7_T9_mT8_S1G_bDpT10_ENKUlT_T0_E_clISt17integral_constantIbLb0EES1U_EEDaS1P_S1Q_EUlS1P_E_NS1_11comp_targetILNS1_3genE0ELNS1_11target_archE4294967295ELNS1_3gpuE0ELNS1_3repE0EEENS1_30default_config_static_selectorELNS0_4arch9wavefront6targetE1EEEvS12_,@function
_ZN7rocprim17ROCPRIM_400000_NS6detail17trampoline_kernelINS0_13select_configILj256ELj13ELNS0_17block_load_methodE3ELS4_3ELS4_3ELNS0_20block_scan_algorithmE0ELj4294967295EEENS1_25partition_config_selectorILNS1_17partition_subalgoE4EjNS0_10empty_typeEbEEZZNS1_14partition_implILS8_4ELb0ES6_15HIP_vector_typeIjLj2EENS0_17counting_iteratorIjlEEPS9_SG_NS0_5tupleIJPjSI_NS0_16reverse_iteratorISI_EEEEENSH_IJSG_SG_SG_EEES9_SI_JZNS1_25segmented_radix_sort_implINS0_14default_configELb1EPKbPbPKlPlN2at6native12_GLOBAL__N_18offset_tEEE10hipError_tPvRmT1_PNSt15iterator_traitsIS12_E10value_typeET2_T3_PNS13_IS18_E10value_typeET4_jRbjT5_S1E_jjP12ihipStream_tbEUljE_ZNSN_ISO_Lb1ESQ_SR_ST_SU_SY_EESZ_S10_S11_S12_S16_S17_S18_S1B_S1C_jS1D_jS1E_S1E_jjS1G_bEUljE0_EEESZ_S10_S11_S18_S1C_S1E_T6_T7_T9_mT8_S1G_bDpT10_ENKUlT_T0_E_clISt17integral_constantIbLb0EES1U_EEDaS1P_S1Q_EUlS1P_E_NS1_11comp_targetILNS1_3genE0ELNS1_11target_archE4294967295ELNS1_3gpuE0ELNS1_3repE0EEENS1_30default_config_static_selectorELNS0_4arch9wavefront6targetE1EEEvS12_: ; @_ZN7rocprim17ROCPRIM_400000_NS6detail17trampoline_kernelINS0_13select_configILj256ELj13ELNS0_17block_load_methodE3ELS4_3ELS4_3ELNS0_20block_scan_algorithmE0ELj4294967295EEENS1_25partition_config_selectorILNS1_17partition_subalgoE4EjNS0_10empty_typeEbEEZZNS1_14partition_implILS8_4ELb0ES6_15HIP_vector_typeIjLj2EENS0_17counting_iteratorIjlEEPS9_SG_NS0_5tupleIJPjSI_NS0_16reverse_iteratorISI_EEEEENSH_IJSG_SG_SG_EEES9_SI_JZNS1_25segmented_radix_sort_implINS0_14default_configELb1EPKbPbPKlPlN2at6native12_GLOBAL__N_18offset_tEEE10hipError_tPvRmT1_PNSt15iterator_traitsIS12_E10value_typeET2_T3_PNS13_IS18_E10value_typeET4_jRbjT5_S1E_jjP12ihipStream_tbEUljE_ZNSN_ISO_Lb1ESQ_SR_ST_SU_SY_EESZ_S10_S11_S12_S16_S17_S18_S1B_S1C_jS1D_jS1E_S1E_jjS1G_bEUljE0_EEESZ_S10_S11_S18_S1C_S1E_T6_T7_T9_mT8_S1G_bDpT10_ENKUlT_T0_E_clISt17integral_constantIbLb0EES1U_EEDaS1P_S1Q_EUlS1P_E_NS1_11comp_targetILNS1_3genE0ELNS1_11target_archE4294967295ELNS1_3gpuE0ELNS1_3repE0EEENS1_30default_config_static_selectorELNS0_4arch9wavefront6targetE1EEEvS12_
; %bb.0:
	.section	.rodata,"a",@progbits
	.p2align	6, 0x0
	.amdhsa_kernel _ZN7rocprim17ROCPRIM_400000_NS6detail17trampoline_kernelINS0_13select_configILj256ELj13ELNS0_17block_load_methodE3ELS4_3ELS4_3ELNS0_20block_scan_algorithmE0ELj4294967295EEENS1_25partition_config_selectorILNS1_17partition_subalgoE4EjNS0_10empty_typeEbEEZZNS1_14partition_implILS8_4ELb0ES6_15HIP_vector_typeIjLj2EENS0_17counting_iteratorIjlEEPS9_SG_NS0_5tupleIJPjSI_NS0_16reverse_iteratorISI_EEEEENSH_IJSG_SG_SG_EEES9_SI_JZNS1_25segmented_radix_sort_implINS0_14default_configELb1EPKbPbPKlPlN2at6native12_GLOBAL__N_18offset_tEEE10hipError_tPvRmT1_PNSt15iterator_traitsIS12_E10value_typeET2_T3_PNS13_IS18_E10value_typeET4_jRbjT5_S1E_jjP12ihipStream_tbEUljE_ZNSN_ISO_Lb1ESQ_SR_ST_SU_SY_EESZ_S10_S11_S12_S16_S17_S18_S1B_S1C_jS1D_jS1E_S1E_jjS1G_bEUljE0_EEESZ_S10_S11_S18_S1C_S1E_T6_T7_T9_mT8_S1G_bDpT10_ENKUlT_T0_E_clISt17integral_constantIbLb0EES1U_EEDaS1P_S1Q_EUlS1P_E_NS1_11comp_targetILNS1_3genE0ELNS1_11target_archE4294967295ELNS1_3gpuE0ELNS1_3repE0EEENS1_30default_config_static_selectorELNS0_4arch9wavefront6targetE1EEEvS12_
		.amdhsa_group_segment_fixed_size 0
		.amdhsa_private_segment_fixed_size 0
		.amdhsa_kernarg_size 176
		.amdhsa_user_sgpr_count 6
		.amdhsa_user_sgpr_private_segment_buffer 1
		.amdhsa_user_sgpr_dispatch_ptr 0
		.amdhsa_user_sgpr_queue_ptr 0
		.amdhsa_user_sgpr_kernarg_segment_ptr 1
		.amdhsa_user_sgpr_dispatch_id 0
		.amdhsa_user_sgpr_flat_scratch_init 0
		.amdhsa_user_sgpr_private_segment_size 0
		.amdhsa_uses_dynamic_stack 0
		.amdhsa_system_sgpr_private_segment_wavefront_offset 0
		.amdhsa_system_sgpr_workgroup_id_x 1
		.amdhsa_system_sgpr_workgroup_id_y 0
		.amdhsa_system_sgpr_workgroup_id_z 0
		.amdhsa_system_sgpr_workgroup_info 0
		.amdhsa_system_vgpr_workitem_id 0
		.amdhsa_next_free_vgpr 1
		.amdhsa_next_free_sgpr 0
		.amdhsa_reserve_vcc 0
		.amdhsa_reserve_flat_scratch 0
		.amdhsa_float_round_mode_32 0
		.amdhsa_float_round_mode_16_64 0
		.amdhsa_float_denorm_mode_32 3
		.amdhsa_float_denorm_mode_16_64 3
		.amdhsa_dx10_clamp 1
		.amdhsa_ieee_mode 1
		.amdhsa_fp16_overflow 0
		.amdhsa_exception_fp_ieee_invalid_op 0
		.amdhsa_exception_fp_denorm_src 0
		.amdhsa_exception_fp_ieee_div_zero 0
		.amdhsa_exception_fp_ieee_overflow 0
		.amdhsa_exception_fp_ieee_underflow 0
		.amdhsa_exception_fp_ieee_inexact 0
		.amdhsa_exception_int_div_zero 0
	.end_amdhsa_kernel
	.section	.text._ZN7rocprim17ROCPRIM_400000_NS6detail17trampoline_kernelINS0_13select_configILj256ELj13ELNS0_17block_load_methodE3ELS4_3ELS4_3ELNS0_20block_scan_algorithmE0ELj4294967295EEENS1_25partition_config_selectorILNS1_17partition_subalgoE4EjNS0_10empty_typeEbEEZZNS1_14partition_implILS8_4ELb0ES6_15HIP_vector_typeIjLj2EENS0_17counting_iteratorIjlEEPS9_SG_NS0_5tupleIJPjSI_NS0_16reverse_iteratorISI_EEEEENSH_IJSG_SG_SG_EEES9_SI_JZNS1_25segmented_radix_sort_implINS0_14default_configELb1EPKbPbPKlPlN2at6native12_GLOBAL__N_18offset_tEEE10hipError_tPvRmT1_PNSt15iterator_traitsIS12_E10value_typeET2_T3_PNS13_IS18_E10value_typeET4_jRbjT5_S1E_jjP12ihipStream_tbEUljE_ZNSN_ISO_Lb1ESQ_SR_ST_SU_SY_EESZ_S10_S11_S12_S16_S17_S18_S1B_S1C_jS1D_jS1E_S1E_jjS1G_bEUljE0_EEESZ_S10_S11_S18_S1C_S1E_T6_T7_T9_mT8_S1G_bDpT10_ENKUlT_T0_E_clISt17integral_constantIbLb0EES1U_EEDaS1P_S1Q_EUlS1P_E_NS1_11comp_targetILNS1_3genE0ELNS1_11target_archE4294967295ELNS1_3gpuE0ELNS1_3repE0EEENS1_30default_config_static_selectorELNS0_4arch9wavefront6targetE1EEEvS12_,"axG",@progbits,_ZN7rocprim17ROCPRIM_400000_NS6detail17trampoline_kernelINS0_13select_configILj256ELj13ELNS0_17block_load_methodE3ELS4_3ELS4_3ELNS0_20block_scan_algorithmE0ELj4294967295EEENS1_25partition_config_selectorILNS1_17partition_subalgoE4EjNS0_10empty_typeEbEEZZNS1_14partition_implILS8_4ELb0ES6_15HIP_vector_typeIjLj2EENS0_17counting_iteratorIjlEEPS9_SG_NS0_5tupleIJPjSI_NS0_16reverse_iteratorISI_EEEEENSH_IJSG_SG_SG_EEES9_SI_JZNS1_25segmented_radix_sort_implINS0_14default_configELb1EPKbPbPKlPlN2at6native12_GLOBAL__N_18offset_tEEE10hipError_tPvRmT1_PNSt15iterator_traitsIS12_E10value_typeET2_T3_PNS13_IS18_E10value_typeET4_jRbjT5_S1E_jjP12ihipStream_tbEUljE_ZNSN_ISO_Lb1ESQ_SR_ST_SU_SY_EESZ_S10_S11_S12_S16_S17_S18_S1B_S1C_jS1D_jS1E_S1E_jjS1G_bEUljE0_EEESZ_S10_S11_S18_S1C_S1E_T6_T7_T9_mT8_S1G_bDpT10_ENKUlT_T0_E_clISt17integral_constantIbLb0EES1U_EEDaS1P_S1Q_EUlS1P_E_NS1_11comp_targetILNS1_3genE0ELNS1_11target_archE4294967295ELNS1_3gpuE0ELNS1_3repE0EEENS1_30default_config_static_selectorELNS0_4arch9wavefront6targetE1EEEvS12_,comdat
.Lfunc_end1468:
	.size	_ZN7rocprim17ROCPRIM_400000_NS6detail17trampoline_kernelINS0_13select_configILj256ELj13ELNS0_17block_load_methodE3ELS4_3ELS4_3ELNS0_20block_scan_algorithmE0ELj4294967295EEENS1_25partition_config_selectorILNS1_17partition_subalgoE4EjNS0_10empty_typeEbEEZZNS1_14partition_implILS8_4ELb0ES6_15HIP_vector_typeIjLj2EENS0_17counting_iteratorIjlEEPS9_SG_NS0_5tupleIJPjSI_NS0_16reverse_iteratorISI_EEEEENSH_IJSG_SG_SG_EEES9_SI_JZNS1_25segmented_radix_sort_implINS0_14default_configELb1EPKbPbPKlPlN2at6native12_GLOBAL__N_18offset_tEEE10hipError_tPvRmT1_PNSt15iterator_traitsIS12_E10value_typeET2_T3_PNS13_IS18_E10value_typeET4_jRbjT5_S1E_jjP12ihipStream_tbEUljE_ZNSN_ISO_Lb1ESQ_SR_ST_SU_SY_EESZ_S10_S11_S12_S16_S17_S18_S1B_S1C_jS1D_jS1E_S1E_jjS1G_bEUljE0_EEESZ_S10_S11_S18_S1C_S1E_T6_T7_T9_mT8_S1G_bDpT10_ENKUlT_T0_E_clISt17integral_constantIbLb0EES1U_EEDaS1P_S1Q_EUlS1P_E_NS1_11comp_targetILNS1_3genE0ELNS1_11target_archE4294967295ELNS1_3gpuE0ELNS1_3repE0EEENS1_30default_config_static_selectorELNS0_4arch9wavefront6targetE1EEEvS12_, .Lfunc_end1468-_ZN7rocprim17ROCPRIM_400000_NS6detail17trampoline_kernelINS0_13select_configILj256ELj13ELNS0_17block_load_methodE3ELS4_3ELS4_3ELNS0_20block_scan_algorithmE0ELj4294967295EEENS1_25partition_config_selectorILNS1_17partition_subalgoE4EjNS0_10empty_typeEbEEZZNS1_14partition_implILS8_4ELb0ES6_15HIP_vector_typeIjLj2EENS0_17counting_iteratorIjlEEPS9_SG_NS0_5tupleIJPjSI_NS0_16reverse_iteratorISI_EEEEENSH_IJSG_SG_SG_EEES9_SI_JZNS1_25segmented_radix_sort_implINS0_14default_configELb1EPKbPbPKlPlN2at6native12_GLOBAL__N_18offset_tEEE10hipError_tPvRmT1_PNSt15iterator_traitsIS12_E10value_typeET2_T3_PNS13_IS18_E10value_typeET4_jRbjT5_S1E_jjP12ihipStream_tbEUljE_ZNSN_ISO_Lb1ESQ_SR_ST_SU_SY_EESZ_S10_S11_S12_S16_S17_S18_S1B_S1C_jS1D_jS1E_S1E_jjS1G_bEUljE0_EEESZ_S10_S11_S18_S1C_S1E_T6_T7_T9_mT8_S1G_bDpT10_ENKUlT_T0_E_clISt17integral_constantIbLb0EES1U_EEDaS1P_S1Q_EUlS1P_E_NS1_11comp_targetILNS1_3genE0ELNS1_11target_archE4294967295ELNS1_3gpuE0ELNS1_3repE0EEENS1_30default_config_static_selectorELNS0_4arch9wavefront6targetE1EEEvS12_
                                        ; -- End function
	.set _ZN7rocprim17ROCPRIM_400000_NS6detail17trampoline_kernelINS0_13select_configILj256ELj13ELNS0_17block_load_methodE3ELS4_3ELS4_3ELNS0_20block_scan_algorithmE0ELj4294967295EEENS1_25partition_config_selectorILNS1_17partition_subalgoE4EjNS0_10empty_typeEbEEZZNS1_14partition_implILS8_4ELb0ES6_15HIP_vector_typeIjLj2EENS0_17counting_iteratorIjlEEPS9_SG_NS0_5tupleIJPjSI_NS0_16reverse_iteratorISI_EEEEENSH_IJSG_SG_SG_EEES9_SI_JZNS1_25segmented_radix_sort_implINS0_14default_configELb1EPKbPbPKlPlN2at6native12_GLOBAL__N_18offset_tEEE10hipError_tPvRmT1_PNSt15iterator_traitsIS12_E10value_typeET2_T3_PNS13_IS18_E10value_typeET4_jRbjT5_S1E_jjP12ihipStream_tbEUljE_ZNSN_ISO_Lb1ESQ_SR_ST_SU_SY_EESZ_S10_S11_S12_S16_S17_S18_S1B_S1C_jS1D_jS1E_S1E_jjS1G_bEUljE0_EEESZ_S10_S11_S18_S1C_S1E_T6_T7_T9_mT8_S1G_bDpT10_ENKUlT_T0_E_clISt17integral_constantIbLb0EES1U_EEDaS1P_S1Q_EUlS1P_E_NS1_11comp_targetILNS1_3genE0ELNS1_11target_archE4294967295ELNS1_3gpuE0ELNS1_3repE0EEENS1_30default_config_static_selectorELNS0_4arch9wavefront6targetE1EEEvS12_.num_vgpr, 0
	.set _ZN7rocprim17ROCPRIM_400000_NS6detail17trampoline_kernelINS0_13select_configILj256ELj13ELNS0_17block_load_methodE3ELS4_3ELS4_3ELNS0_20block_scan_algorithmE0ELj4294967295EEENS1_25partition_config_selectorILNS1_17partition_subalgoE4EjNS0_10empty_typeEbEEZZNS1_14partition_implILS8_4ELb0ES6_15HIP_vector_typeIjLj2EENS0_17counting_iteratorIjlEEPS9_SG_NS0_5tupleIJPjSI_NS0_16reverse_iteratorISI_EEEEENSH_IJSG_SG_SG_EEES9_SI_JZNS1_25segmented_radix_sort_implINS0_14default_configELb1EPKbPbPKlPlN2at6native12_GLOBAL__N_18offset_tEEE10hipError_tPvRmT1_PNSt15iterator_traitsIS12_E10value_typeET2_T3_PNS13_IS18_E10value_typeET4_jRbjT5_S1E_jjP12ihipStream_tbEUljE_ZNSN_ISO_Lb1ESQ_SR_ST_SU_SY_EESZ_S10_S11_S12_S16_S17_S18_S1B_S1C_jS1D_jS1E_S1E_jjS1G_bEUljE0_EEESZ_S10_S11_S18_S1C_S1E_T6_T7_T9_mT8_S1G_bDpT10_ENKUlT_T0_E_clISt17integral_constantIbLb0EES1U_EEDaS1P_S1Q_EUlS1P_E_NS1_11comp_targetILNS1_3genE0ELNS1_11target_archE4294967295ELNS1_3gpuE0ELNS1_3repE0EEENS1_30default_config_static_selectorELNS0_4arch9wavefront6targetE1EEEvS12_.num_agpr, 0
	.set _ZN7rocprim17ROCPRIM_400000_NS6detail17trampoline_kernelINS0_13select_configILj256ELj13ELNS0_17block_load_methodE3ELS4_3ELS4_3ELNS0_20block_scan_algorithmE0ELj4294967295EEENS1_25partition_config_selectorILNS1_17partition_subalgoE4EjNS0_10empty_typeEbEEZZNS1_14partition_implILS8_4ELb0ES6_15HIP_vector_typeIjLj2EENS0_17counting_iteratorIjlEEPS9_SG_NS0_5tupleIJPjSI_NS0_16reverse_iteratorISI_EEEEENSH_IJSG_SG_SG_EEES9_SI_JZNS1_25segmented_radix_sort_implINS0_14default_configELb1EPKbPbPKlPlN2at6native12_GLOBAL__N_18offset_tEEE10hipError_tPvRmT1_PNSt15iterator_traitsIS12_E10value_typeET2_T3_PNS13_IS18_E10value_typeET4_jRbjT5_S1E_jjP12ihipStream_tbEUljE_ZNSN_ISO_Lb1ESQ_SR_ST_SU_SY_EESZ_S10_S11_S12_S16_S17_S18_S1B_S1C_jS1D_jS1E_S1E_jjS1G_bEUljE0_EEESZ_S10_S11_S18_S1C_S1E_T6_T7_T9_mT8_S1G_bDpT10_ENKUlT_T0_E_clISt17integral_constantIbLb0EES1U_EEDaS1P_S1Q_EUlS1P_E_NS1_11comp_targetILNS1_3genE0ELNS1_11target_archE4294967295ELNS1_3gpuE0ELNS1_3repE0EEENS1_30default_config_static_selectorELNS0_4arch9wavefront6targetE1EEEvS12_.numbered_sgpr, 0
	.set _ZN7rocprim17ROCPRIM_400000_NS6detail17trampoline_kernelINS0_13select_configILj256ELj13ELNS0_17block_load_methodE3ELS4_3ELS4_3ELNS0_20block_scan_algorithmE0ELj4294967295EEENS1_25partition_config_selectorILNS1_17partition_subalgoE4EjNS0_10empty_typeEbEEZZNS1_14partition_implILS8_4ELb0ES6_15HIP_vector_typeIjLj2EENS0_17counting_iteratorIjlEEPS9_SG_NS0_5tupleIJPjSI_NS0_16reverse_iteratorISI_EEEEENSH_IJSG_SG_SG_EEES9_SI_JZNS1_25segmented_radix_sort_implINS0_14default_configELb1EPKbPbPKlPlN2at6native12_GLOBAL__N_18offset_tEEE10hipError_tPvRmT1_PNSt15iterator_traitsIS12_E10value_typeET2_T3_PNS13_IS18_E10value_typeET4_jRbjT5_S1E_jjP12ihipStream_tbEUljE_ZNSN_ISO_Lb1ESQ_SR_ST_SU_SY_EESZ_S10_S11_S12_S16_S17_S18_S1B_S1C_jS1D_jS1E_S1E_jjS1G_bEUljE0_EEESZ_S10_S11_S18_S1C_S1E_T6_T7_T9_mT8_S1G_bDpT10_ENKUlT_T0_E_clISt17integral_constantIbLb0EES1U_EEDaS1P_S1Q_EUlS1P_E_NS1_11comp_targetILNS1_3genE0ELNS1_11target_archE4294967295ELNS1_3gpuE0ELNS1_3repE0EEENS1_30default_config_static_selectorELNS0_4arch9wavefront6targetE1EEEvS12_.num_named_barrier, 0
	.set _ZN7rocprim17ROCPRIM_400000_NS6detail17trampoline_kernelINS0_13select_configILj256ELj13ELNS0_17block_load_methodE3ELS4_3ELS4_3ELNS0_20block_scan_algorithmE0ELj4294967295EEENS1_25partition_config_selectorILNS1_17partition_subalgoE4EjNS0_10empty_typeEbEEZZNS1_14partition_implILS8_4ELb0ES6_15HIP_vector_typeIjLj2EENS0_17counting_iteratorIjlEEPS9_SG_NS0_5tupleIJPjSI_NS0_16reverse_iteratorISI_EEEEENSH_IJSG_SG_SG_EEES9_SI_JZNS1_25segmented_radix_sort_implINS0_14default_configELb1EPKbPbPKlPlN2at6native12_GLOBAL__N_18offset_tEEE10hipError_tPvRmT1_PNSt15iterator_traitsIS12_E10value_typeET2_T3_PNS13_IS18_E10value_typeET4_jRbjT5_S1E_jjP12ihipStream_tbEUljE_ZNSN_ISO_Lb1ESQ_SR_ST_SU_SY_EESZ_S10_S11_S12_S16_S17_S18_S1B_S1C_jS1D_jS1E_S1E_jjS1G_bEUljE0_EEESZ_S10_S11_S18_S1C_S1E_T6_T7_T9_mT8_S1G_bDpT10_ENKUlT_T0_E_clISt17integral_constantIbLb0EES1U_EEDaS1P_S1Q_EUlS1P_E_NS1_11comp_targetILNS1_3genE0ELNS1_11target_archE4294967295ELNS1_3gpuE0ELNS1_3repE0EEENS1_30default_config_static_selectorELNS0_4arch9wavefront6targetE1EEEvS12_.private_seg_size, 0
	.set _ZN7rocprim17ROCPRIM_400000_NS6detail17trampoline_kernelINS0_13select_configILj256ELj13ELNS0_17block_load_methodE3ELS4_3ELS4_3ELNS0_20block_scan_algorithmE0ELj4294967295EEENS1_25partition_config_selectorILNS1_17partition_subalgoE4EjNS0_10empty_typeEbEEZZNS1_14partition_implILS8_4ELb0ES6_15HIP_vector_typeIjLj2EENS0_17counting_iteratorIjlEEPS9_SG_NS0_5tupleIJPjSI_NS0_16reverse_iteratorISI_EEEEENSH_IJSG_SG_SG_EEES9_SI_JZNS1_25segmented_radix_sort_implINS0_14default_configELb1EPKbPbPKlPlN2at6native12_GLOBAL__N_18offset_tEEE10hipError_tPvRmT1_PNSt15iterator_traitsIS12_E10value_typeET2_T3_PNS13_IS18_E10value_typeET4_jRbjT5_S1E_jjP12ihipStream_tbEUljE_ZNSN_ISO_Lb1ESQ_SR_ST_SU_SY_EESZ_S10_S11_S12_S16_S17_S18_S1B_S1C_jS1D_jS1E_S1E_jjS1G_bEUljE0_EEESZ_S10_S11_S18_S1C_S1E_T6_T7_T9_mT8_S1G_bDpT10_ENKUlT_T0_E_clISt17integral_constantIbLb0EES1U_EEDaS1P_S1Q_EUlS1P_E_NS1_11comp_targetILNS1_3genE0ELNS1_11target_archE4294967295ELNS1_3gpuE0ELNS1_3repE0EEENS1_30default_config_static_selectorELNS0_4arch9wavefront6targetE1EEEvS12_.uses_vcc, 0
	.set _ZN7rocprim17ROCPRIM_400000_NS6detail17trampoline_kernelINS0_13select_configILj256ELj13ELNS0_17block_load_methodE3ELS4_3ELS4_3ELNS0_20block_scan_algorithmE0ELj4294967295EEENS1_25partition_config_selectorILNS1_17partition_subalgoE4EjNS0_10empty_typeEbEEZZNS1_14partition_implILS8_4ELb0ES6_15HIP_vector_typeIjLj2EENS0_17counting_iteratorIjlEEPS9_SG_NS0_5tupleIJPjSI_NS0_16reverse_iteratorISI_EEEEENSH_IJSG_SG_SG_EEES9_SI_JZNS1_25segmented_radix_sort_implINS0_14default_configELb1EPKbPbPKlPlN2at6native12_GLOBAL__N_18offset_tEEE10hipError_tPvRmT1_PNSt15iterator_traitsIS12_E10value_typeET2_T3_PNS13_IS18_E10value_typeET4_jRbjT5_S1E_jjP12ihipStream_tbEUljE_ZNSN_ISO_Lb1ESQ_SR_ST_SU_SY_EESZ_S10_S11_S12_S16_S17_S18_S1B_S1C_jS1D_jS1E_S1E_jjS1G_bEUljE0_EEESZ_S10_S11_S18_S1C_S1E_T6_T7_T9_mT8_S1G_bDpT10_ENKUlT_T0_E_clISt17integral_constantIbLb0EES1U_EEDaS1P_S1Q_EUlS1P_E_NS1_11comp_targetILNS1_3genE0ELNS1_11target_archE4294967295ELNS1_3gpuE0ELNS1_3repE0EEENS1_30default_config_static_selectorELNS0_4arch9wavefront6targetE1EEEvS12_.uses_flat_scratch, 0
	.set _ZN7rocprim17ROCPRIM_400000_NS6detail17trampoline_kernelINS0_13select_configILj256ELj13ELNS0_17block_load_methodE3ELS4_3ELS4_3ELNS0_20block_scan_algorithmE0ELj4294967295EEENS1_25partition_config_selectorILNS1_17partition_subalgoE4EjNS0_10empty_typeEbEEZZNS1_14partition_implILS8_4ELb0ES6_15HIP_vector_typeIjLj2EENS0_17counting_iteratorIjlEEPS9_SG_NS0_5tupleIJPjSI_NS0_16reverse_iteratorISI_EEEEENSH_IJSG_SG_SG_EEES9_SI_JZNS1_25segmented_radix_sort_implINS0_14default_configELb1EPKbPbPKlPlN2at6native12_GLOBAL__N_18offset_tEEE10hipError_tPvRmT1_PNSt15iterator_traitsIS12_E10value_typeET2_T3_PNS13_IS18_E10value_typeET4_jRbjT5_S1E_jjP12ihipStream_tbEUljE_ZNSN_ISO_Lb1ESQ_SR_ST_SU_SY_EESZ_S10_S11_S12_S16_S17_S18_S1B_S1C_jS1D_jS1E_S1E_jjS1G_bEUljE0_EEESZ_S10_S11_S18_S1C_S1E_T6_T7_T9_mT8_S1G_bDpT10_ENKUlT_T0_E_clISt17integral_constantIbLb0EES1U_EEDaS1P_S1Q_EUlS1P_E_NS1_11comp_targetILNS1_3genE0ELNS1_11target_archE4294967295ELNS1_3gpuE0ELNS1_3repE0EEENS1_30default_config_static_selectorELNS0_4arch9wavefront6targetE1EEEvS12_.has_dyn_sized_stack, 0
	.set _ZN7rocprim17ROCPRIM_400000_NS6detail17trampoline_kernelINS0_13select_configILj256ELj13ELNS0_17block_load_methodE3ELS4_3ELS4_3ELNS0_20block_scan_algorithmE0ELj4294967295EEENS1_25partition_config_selectorILNS1_17partition_subalgoE4EjNS0_10empty_typeEbEEZZNS1_14partition_implILS8_4ELb0ES6_15HIP_vector_typeIjLj2EENS0_17counting_iteratorIjlEEPS9_SG_NS0_5tupleIJPjSI_NS0_16reverse_iteratorISI_EEEEENSH_IJSG_SG_SG_EEES9_SI_JZNS1_25segmented_radix_sort_implINS0_14default_configELb1EPKbPbPKlPlN2at6native12_GLOBAL__N_18offset_tEEE10hipError_tPvRmT1_PNSt15iterator_traitsIS12_E10value_typeET2_T3_PNS13_IS18_E10value_typeET4_jRbjT5_S1E_jjP12ihipStream_tbEUljE_ZNSN_ISO_Lb1ESQ_SR_ST_SU_SY_EESZ_S10_S11_S12_S16_S17_S18_S1B_S1C_jS1D_jS1E_S1E_jjS1G_bEUljE0_EEESZ_S10_S11_S18_S1C_S1E_T6_T7_T9_mT8_S1G_bDpT10_ENKUlT_T0_E_clISt17integral_constantIbLb0EES1U_EEDaS1P_S1Q_EUlS1P_E_NS1_11comp_targetILNS1_3genE0ELNS1_11target_archE4294967295ELNS1_3gpuE0ELNS1_3repE0EEENS1_30default_config_static_selectorELNS0_4arch9wavefront6targetE1EEEvS12_.has_recursion, 0
	.set _ZN7rocprim17ROCPRIM_400000_NS6detail17trampoline_kernelINS0_13select_configILj256ELj13ELNS0_17block_load_methodE3ELS4_3ELS4_3ELNS0_20block_scan_algorithmE0ELj4294967295EEENS1_25partition_config_selectorILNS1_17partition_subalgoE4EjNS0_10empty_typeEbEEZZNS1_14partition_implILS8_4ELb0ES6_15HIP_vector_typeIjLj2EENS0_17counting_iteratorIjlEEPS9_SG_NS0_5tupleIJPjSI_NS0_16reverse_iteratorISI_EEEEENSH_IJSG_SG_SG_EEES9_SI_JZNS1_25segmented_radix_sort_implINS0_14default_configELb1EPKbPbPKlPlN2at6native12_GLOBAL__N_18offset_tEEE10hipError_tPvRmT1_PNSt15iterator_traitsIS12_E10value_typeET2_T3_PNS13_IS18_E10value_typeET4_jRbjT5_S1E_jjP12ihipStream_tbEUljE_ZNSN_ISO_Lb1ESQ_SR_ST_SU_SY_EESZ_S10_S11_S12_S16_S17_S18_S1B_S1C_jS1D_jS1E_S1E_jjS1G_bEUljE0_EEESZ_S10_S11_S18_S1C_S1E_T6_T7_T9_mT8_S1G_bDpT10_ENKUlT_T0_E_clISt17integral_constantIbLb0EES1U_EEDaS1P_S1Q_EUlS1P_E_NS1_11comp_targetILNS1_3genE0ELNS1_11target_archE4294967295ELNS1_3gpuE0ELNS1_3repE0EEENS1_30default_config_static_selectorELNS0_4arch9wavefront6targetE1EEEvS12_.has_indirect_call, 0
	.section	.AMDGPU.csdata,"",@progbits
; Kernel info:
; codeLenInByte = 0
; TotalNumSgprs: 4
; NumVgprs: 0
; ScratchSize: 0
; MemoryBound: 0
; FloatMode: 240
; IeeeMode: 1
; LDSByteSize: 0 bytes/workgroup (compile time only)
; SGPRBlocks: 0
; VGPRBlocks: 0
; NumSGPRsForWavesPerEU: 4
; NumVGPRsForWavesPerEU: 1
; Occupancy: 10
; WaveLimiterHint : 0
; COMPUTE_PGM_RSRC2:SCRATCH_EN: 0
; COMPUTE_PGM_RSRC2:USER_SGPR: 6
; COMPUTE_PGM_RSRC2:TRAP_HANDLER: 0
; COMPUTE_PGM_RSRC2:TGID_X_EN: 1
; COMPUTE_PGM_RSRC2:TGID_Y_EN: 0
; COMPUTE_PGM_RSRC2:TGID_Z_EN: 0
; COMPUTE_PGM_RSRC2:TIDIG_COMP_CNT: 0
	.section	.text._ZN7rocprim17ROCPRIM_400000_NS6detail17trampoline_kernelINS0_13select_configILj256ELj13ELNS0_17block_load_methodE3ELS4_3ELS4_3ELNS0_20block_scan_algorithmE0ELj4294967295EEENS1_25partition_config_selectorILNS1_17partition_subalgoE4EjNS0_10empty_typeEbEEZZNS1_14partition_implILS8_4ELb0ES6_15HIP_vector_typeIjLj2EENS0_17counting_iteratorIjlEEPS9_SG_NS0_5tupleIJPjSI_NS0_16reverse_iteratorISI_EEEEENSH_IJSG_SG_SG_EEES9_SI_JZNS1_25segmented_radix_sort_implINS0_14default_configELb1EPKbPbPKlPlN2at6native12_GLOBAL__N_18offset_tEEE10hipError_tPvRmT1_PNSt15iterator_traitsIS12_E10value_typeET2_T3_PNS13_IS18_E10value_typeET4_jRbjT5_S1E_jjP12ihipStream_tbEUljE_ZNSN_ISO_Lb1ESQ_SR_ST_SU_SY_EESZ_S10_S11_S12_S16_S17_S18_S1B_S1C_jS1D_jS1E_S1E_jjS1G_bEUljE0_EEESZ_S10_S11_S18_S1C_S1E_T6_T7_T9_mT8_S1G_bDpT10_ENKUlT_T0_E_clISt17integral_constantIbLb0EES1U_EEDaS1P_S1Q_EUlS1P_E_NS1_11comp_targetILNS1_3genE5ELNS1_11target_archE942ELNS1_3gpuE9ELNS1_3repE0EEENS1_30default_config_static_selectorELNS0_4arch9wavefront6targetE1EEEvS12_,"axG",@progbits,_ZN7rocprim17ROCPRIM_400000_NS6detail17trampoline_kernelINS0_13select_configILj256ELj13ELNS0_17block_load_methodE3ELS4_3ELS4_3ELNS0_20block_scan_algorithmE0ELj4294967295EEENS1_25partition_config_selectorILNS1_17partition_subalgoE4EjNS0_10empty_typeEbEEZZNS1_14partition_implILS8_4ELb0ES6_15HIP_vector_typeIjLj2EENS0_17counting_iteratorIjlEEPS9_SG_NS0_5tupleIJPjSI_NS0_16reverse_iteratorISI_EEEEENSH_IJSG_SG_SG_EEES9_SI_JZNS1_25segmented_radix_sort_implINS0_14default_configELb1EPKbPbPKlPlN2at6native12_GLOBAL__N_18offset_tEEE10hipError_tPvRmT1_PNSt15iterator_traitsIS12_E10value_typeET2_T3_PNS13_IS18_E10value_typeET4_jRbjT5_S1E_jjP12ihipStream_tbEUljE_ZNSN_ISO_Lb1ESQ_SR_ST_SU_SY_EESZ_S10_S11_S12_S16_S17_S18_S1B_S1C_jS1D_jS1E_S1E_jjS1G_bEUljE0_EEESZ_S10_S11_S18_S1C_S1E_T6_T7_T9_mT8_S1G_bDpT10_ENKUlT_T0_E_clISt17integral_constantIbLb0EES1U_EEDaS1P_S1Q_EUlS1P_E_NS1_11comp_targetILNS1_3genE5ELNS1_11target_archE942ELNS1_3gpuE9ELNS1_3repE0EEENS1_30default_config_static_selectorELNS0_4arch9wavefront6targetE1EEEvS12_,comdat
	.globl	_ZN7rocprim17ROCPRIM_400000_NS6detail17trampoline_kernelINS0_13select_configILj256ELj13ELNS0_17block_load_methodE3ELS4_3ELS4_3ELNS0_20block_scan_algorithmE0ELj4294967295EEENS1_25partition_config_selectorILNS1_17partition_subalgoE4EjNS0_10empty_typeEbEEZZNS1_14partition_implILS8_4ELb0ES6_15HIP_vector_typeIjLj2EENS0_17counting_iteratorIjlEEPS9_SG_NS0_5tupleIJPjSI_NS0_16reverse_iteratorISI_EEEEENSH_IJSG_SG_SG_EEES9_SI_JZNS1_25segmented_radix_sort_implINS0_14default_configELb1EPKbPbPKlPlN2at6native12_GLOBAL__N_18offset_tEEE10hipError_tPvRmT1_PNSt15iterator_traitsIS12_E10value_typeET2_T3_PNS13_IS18_E10value_typeET4_jRbjT5_S1E_jjP12ihipStream_tbEUljE_ZNSN_ISO_Lb1ESQ_SR_ST_SU_SY_EESZ_S10_S11_S12_S16_S17_S18_S1B_S1C_jS1D_jS1E_S1E_jjS1G_bEUljE0_EEESZ_S10_S11_S18_S1C_S1E_T6_T7_T9_mT8_S1G_bDpT10_ENKUlT_T0_E_clISt17integral_constantIbLb0EES1U_EEDaS1P_S1Q_EUlS1P_E_NS1_11comp_targetILNS1_3genE5ELNS1_11target_archE942ELNS1_3gpuE9ELNS1_3repE0EEENS1_30default_config_static_selectorELNS0_4arch9wavefront6targetE1EEEvS12_ ; -- Begin function _ZN7rocprim17ROCPRIM_400000_NS6detail17trampoline_kernelINS0_13select_configILj256ELj13ELNS0_17block_load_methodE3ELS4_3ELS4_3ELNS0_20block_scan_algorithmE0ELj4294967295EEENS1_25partition_config_selectorILNS1_17partition_subalgoE4EjNS0_10empty_typeEbEEZZNS1_14partition_implILS8_4ELb0ES6_15HIP_vector_typeIjLj2EENS0_17counting_iteratorIjlEEPS9_SG_NS0_5tupleIJPjSI_NS0_16reverse_iteratorISI_EEEEENSH_IJSG_SG_SG_EEES9_SI_JZNS1_25segmented_radix_sort_implINS0_14default_configELb1EPKbPbPKlPlN2at6native12_GLOBAL__N_18offset_tEEE10hipError_tPvRmT1_PNSt15iterator_traitsIS12_E10value_typeET2_T3_PNS13_IS18_E10value_typeET4_jRbjT5_S1E_jjP12ihipStream_tbEUljE_ZNSN_ISO_Lb1ESQ_SR_ST_SU_SY_EESZ_S10_S11_S12_S16_S17_S18_S1B_S1C_jS1D_jS1E_S1E_jjS1G_bEUljE0_EEESZ_S10_S11_S18_S1C_S1E_T6_T7_T9_mT8_S1G_bDpT10_ENKUlT_T0_E_clISt17integral_constantIbLb0EES1U_EEDaS1P_S1Q_EUlS1P_E_NS1_11comp_targetILNS1_3genE5ELNS1_11target_archE942ELNS1_3gpuE9ELNS1_3repE0EEENS1_30default_config_static_selectorELNS0_4arch9wavefront6targetE1EEEvS12_
	.p2align	8
	.type	_ZN7rocprim17ROCPRIM_400000_NS6detail17trampoline_kernelINS0_13select_configILj256ELj13ELNS0_17block_load_methodE3ELS4_3ELS4_3ELNS0_20block_scan_algorithmE0ELj4294967295EEENS1_25partition_config_selectorILNS1_17partition_subalgoE4EjNS0_10empty_typeEbEEZZNS1_14partition_implILS8_4ELb0ES6_15HIP_vector_typeIjLj2EENS0_17counting_iteratorIjlEEPS9_SG_NS0_5tupleIJPjSI_NS0_16reverse_iteratorISI_EEEEENSH_IJSG_SG_SG_EEES9_SI_JZNS1_25segmented_radix_sort_implINS0_14default_configELb1EPKbPbPKlPlN2at6native12_GLOBAL__N_18offset_tEEE10hipError_tPvRmT1_PNSt15iterator_traitsIS12_E10value_typeET2_T3_PNS13_IS18_E10value_typeET4_jRbjT5_S1E_jjP12ihipStream_tbEUljE_ZNSN_ISO_Lb1ESQ_SR_ST_SU_SY_EESZ_S10_S11_S12_S16_S17_S18_S1B_S1C_jS1D_jS1E_S1E_jjS1G_bEUljE0_EEESZ_S10_S11_S18_S1C_S1E_T6_T7_T9_mT8_S1G_bDpT10_ENKUlT_T0_E_clISt17integral_constantIbLb0EES1U_EEDaS1P_S1Q_EUlS1P_E_NS1_11comp_targetILNS1_3genE5ELNS1_11target_archE942ELNS1_3gpuE9ELNS1_3repE0EEENS1_30default_config_static_selectorELNS0_4arch9wavefront6targetE1EEEvS12_,@function
_ZN7rocprim17ROCPRIM_400000_NS6detail17trampoline_kernelINS0_13select_configILj256ELj13ELNS0_17block_load_methodE3ELS4_3ELS4_3ELNS0_20block_scan_algorithmE0ELj4294967295EEENS1_25partition_config_selectorILNS1_17partition_subalgoE4EjNS0_10empty_typeEbEEZZNS1_14partition_implILS8_4ELb0ES6_15HIP_vector_typeIjLj2EENS0_17counting_iteratorIjlEEPS9_SG_NS0_5tupleIJPjSI_NS0_16reverse_iteratorISI_EEEEENSH_IJSG_SG_SG_EEES9_SI_JZNS1_25segmented_radix_sort_implINS0_14default_configELb1EPKbPbPKlPlN2at6native12_GLOBAL__N_18offset_tEEE10hipError_tPvRmT1_PNSt15iterator_traitsIS12_E10value_typeET2_T3_PNS13_IS18_E10value_typeET4_jRbjT5_S1E_jjP12ihipStream_tbEUljE_ZNSN_ISO_Lb1ESQ_SR_ST_SU_SY_EESZ_S10_S11_S12_S16_S17_S18_S1B_S1C_jS1D_jS1E_S1E_jjS1G_bEUljE0_EEESZ_S10_S11_S18_S1C_S1E_T6_T7_T9_mT8_S1G_bDpT10_ENKUlT_T0_E_clISt17integral_constantIbLb0EES1U_EEDaS1P_S1Q_EUlS1P_E_NS1_11comp_targetILNS1_3genE5ELNS1_11target_archE942ELNS1_3gpuE9ELNS1_3repE0EEENS1_30default_config_static_selectorELNS0_4arch9wavefront6targetE1EEEvS12_: ; @_ZN7rocprim17ROCPRIM_400000_NS6detail17trampoline_kernelINS0_13select_configILj256ELj13ELNS0_17block_load_methodE3ELS4_3ELS4_3ELNS0_20block_scan_algorithmE0ELj4294967295EEENS1_25partition_config_selectorILNS1_17partition_subalgoE4EjNS0_10empty_typeEbEEZZNS1_14partition_implILS8_4ELb0ES6_15HIP_vector_typeIjLj2EENS0_17counting_iteratorIjlEEPS9_SG_NS0_5tupleIJPjSI_NS0_16reverse_iteratorISI_EEEEENSH_IJSG_SG_SG_EEES9_SI_JZNS1_25segmented_radix_sort_implINS0_14default_configELb1EPKbPbPKlPlN2at6native12_GLOBAL__N_18offset_tEEE10hipError_tPvRmT1_PNSt15iterator_traitsIS12_E10value_typeET2_T3_PNS13_IS18_E10value_typeET4_jRbjT5_S1E_jjP12ihipStream_tbEUljE_ZNSN_ISO_Lb1ESQ_SR_ST_SU_SY_EESZ_S10_S11_S12_S16_S17_S18_S1B_S1C_jS1D_jS1E_S1E_jjS1G_bEUljE0_EEESZ_S10_S11_S18_S1C_S1E_T6_T7_T9_mT8_S1G_bDpT10_ENKUlT_T0_E_clISt17integral_constantIbLb0EES1U_EEDaS1P_S1Q_EUlS1P_E_NS1_11comp_targetILNS1_3genE5ELNS1_11target_archE942ELNS1_3gpuE9ELNS1_3repE0EEENS1_30default_config_static_selectorELNS0_4arch9wavefront6targetE1EEEvS12_
; %bb.0:
	.section	.rodata,"a",@progbits
	.p2align	6, 0x0
	.amdhsa_kernel _ZN7rocprim17ROCPRIM_400000_NS6detail17trampoline_kernelINS0_13select_configILj256ELj13ELNS0_17block_load_methodE3ELS4_3ELS4_3ELNS0_20block_scan_algorithmE0ELj4294967295EEENS1_25partition_config_selectorILNS1_17partition_subalgoE4EjNS0_10empty_typeEbEEZZNS1_14partition_implILS8_4ELb0ES6_15HIP_vector_typeIjLj2EENS0_17counting_iteratorIjlEEPS9_SG_NS0_5tupleIJPjSI_NS0_16reverse_iteratorISI_EEEEENSH_IJSG_SG_SG_EEES9_SI_JZNS1_25segmented_radix_sort_implINS0_14default_configELb1EPKbPbPKlPlN2at6native12_GLOBAL__N_18offset_tEEE10hipError_tPvRmT1_PNSt15iterator_traitsIS12_E10value_typeET2_T3_PNS13_IS18_E10value_typeET4_jRbjT5_S1E_jjP12ihipStream_tbEUljE_ZNSN_ISO_Lb1ESQ_SR_ST_SU_SY_EESZ_S10_S11_S12_S16_S17_S18_S1B_S1C_jS1D_jS1E_S1E_jjS1G_bEUljE0_EEESZ_S10_S11_S18_S1C_S1E_T6_T7_T9_mT8_S1G_bDpT10_ENKUlT_T0_E_clISt17integral_constantIbLb0EES1U_EEDaS1P_S1Q_EUlS1P_E_NS1_11comp_targetILNS1_3genE5ELNS1_11target_archE942ELNS1_3gpuE9ELNS1_3repE0EEENS1_30default_config_static_selectorELNS0_4arch9wavefront6targetE1EEEvS12_
		.amdhsa_group_segment_fixed_size 0
		.amdhsa_private_segment_fixed_size 0
		.amdhsa_kernarg_size 176
		.amdhsa_user_sgpr_count 6
		.amdhsa_user_sgpr_private_segment_buffer 1
		.amdhsa_user_sgpr_dispatch_ptr 0
		.amdhsa_user_sgpr_queue_ptr 0
		.amdhsa_user_sgpr_kernarg_segment_ptr 1
		.amdhsa_user_sgpr_dispatch_id 0
		.amdhsa_user_sgpr_flat_scratch_init 0
		.amdhsa_user_sgpr_private_segment_size 0
		.amdhsa_uses_dynamic_stack 0
		.amdhsa_system_sgpr_private_segment_wavefront_offset 0
		.amdhsa_system_sgpr_workgroup_id_x 1
		.amdhsa_system_sgpr_workgroup_id_y 0
		.amdhsa_system_sgpr_workgroup_id_z 0
		.amdhsa_system_sgpr_workgroup_info 0
		.amdhsa_system_vgpr_workitem_id 0
		.amdhsa_next_free_vgpr 1
		.amdhsa_next_free_sgpr 0
		.amdhsa_reserve_vcc 0
		.amdhsa_reserve_flat_scratch 0
		.amdhsa_float_round_mode_32 0
		.amdhsa_float_round_mode_16_64 0
		.amdhsa_float_denorm_mode_32 3
		.amdhsa_float_denorm_mode_16_64 3
		.amdhsa_dx10_clamp 1
		.amdhsa_ieee_mode 1
		.amdhsa_fp16_overflow 0
		.amdhsa_exception_fp_ieee_invalid_op 0
		.amdhsa_exception_fp_denorm_src 0
		.amdhsa_exception_fp_ieee_div_zero 0
		.amdhsa_exception_fp_ieee_overflow 0
		.amdhsa_exception_fp_ieee_underflow 0
		.amdhsa_exception_fp_ieee_inexact 0
		.amdhsa_exception_int_div_zero 0
	.end_amdhsa_kernel
	.section	.text._ZN7rocprim17ROCPRIM_400000_NS6detail17trampoline_kernelINS0_13select_configILj256ELj13ELNS0_17block_load_methodE3ELS4_3ELS4_3ELNS0_20block_scan_algorithmE0ELj4294967295EEENS1_25partition_config_selectorILNS1_17partition_subalgoE4EjNS0_10empty_typeEbEEZZNS1_14partition_implILS8_4ELb0ES6_15HIP_vector_typeIjLj2EENS0_17counting_iteratorIjlEEPS9_SG_NS0_5tupleIJPjSI_NS0_16reverse_iteratorISI_EEEEENSH_IJSG_SG_SG_EEES9_SI_JZNS1_25segmented_radix_sort_implINS0_14default_configELb1EPKbPbPKlPlN2at6native12_GLOBAL__N_18offset_tEEE10hipError_tPvRmT1_PNSt15iterator_traitsIS12_E10value_typeET2_T3_PNS13_IS18_E10value_typeET4_jRbjT5_S1E_jjP12ihipStream_tbEUljE_ZNSN_ISO_Lb1ESQ_SR_ST_SU_SY_EESZ_S10_S11_S12_S16_S17_S18_S1B_S1C_jS1D_jS1E_S1E_jjS1G_bEUljE0_EEESZ_S10_S11_S18_S1C_S1E_T6_T7_T9_mT8_S1G_bDpT10_ENKUlT_T0_E_clISt17integral_constantIbLb0EES1U_EEDaS1P_S1Q_EUlS1P_E_NS1_11comp_targetILNS1_3genE5ELNS1_11target_archE942ELNS1_3gpuE9ELNS1_3repE0EEENS1_30default_config_static_selectorELNS0_4arch9wavefront6targetE1EEEvS12_,"axG",@progbits,_ZN7rocprim17ROCPRIM_400000_NS6detail17trampoline_kernelINS0_13select_configILj256ELj13ELNS0_17block_load_methodE3ELS4_3ELS4_3ELNS0_20block_scan_algorithmE0ELj4294967295EEENS1_25partition_config_selectorILNS1_17partition_subalgoE4EjNS0_10empty_typeEbEEZZNS1_14partition_implILS8_4ELb0ES6_15HIP_vector_typeIjLj2EENS0_17counting_iteratorIjlEEPS9_SG_NS0_5tupleIJPjSI_NS0_16reverse_iteratorISI_EEEEENSH_IJSG_SG_SG_EEES9_SI_JZNS1_25segmented_radix_sort_implINS0_14default_configELb1EPKbPbPKlPlN2at6native12_GLOBAL__N_18offset_tEEE10hipError_tPvRmT1_PNSt15iterator_traitsIS12_E10value_typeET2_T3_PNS13_IS18_E10value_typeET4_jRbjT5_S1E_jjP12ihipStream_tbEUljE_ZNSN_ISO_Lb1ESQ_SR_ST_SU_SY_EESZ_S10_S11_S12_S16_S17_S18_S1B_S1C_jS1D_jS1E_S1E_jjS1G_bEUljE0_EEESZ_S10_S11_S18_S1C_S1E_T6_T7_T9_mT8_S1G_bDpT10_ENKUlT_T0_E_clISt17integral_constantIbLb0EES1U_EEDaS1P_S1Q_EUlS1P_E_NS1_11comp_targetILNS1_3genE5ELNS1_11target_archE942ELNS1_3gpuE9ELNS1_3repE0EEENS1_30default_config_static_selectorELNS0_4arch9wavefront6targetE1EEEvS12_,comdat
.Lfunc_end1469:
	.size	_ZN7rocprim17ROCPRIM_400000_NS6detail17trampoline_kernelINS0_13select_configILj256ELj13ELNS0_17block_load_methodE3ELS4_3ELS4_3ELNS0_20block_scan_algorithmE0ELj4294967295EEENS1_25partition_config_selectorILNS1_17partition_subalgoE4EjNS0_10empty_typeEbEEZZNS1_14partition_implILS8_4ELb0ES6_15HIP_vector_typeIjLj2EENS0_17counting_iteratorIjlEEPS9_SG_NS0_5tupleIJPjSI_NS0_16reverse_iteratorISI_EEEEENSH_IJSG_SG_SG_EEES9_SI_JZNS1_25segmented_radix_sort_implINS0_14default_configELb1EPKbPbPKlPlN2at6native12_GLOBAL__N_18offset_tEEE10hipError_tPvRmT1_PNSt15iterator_traitsIS12_E10value_typeET2_T3_PNS13_IS18_E10value_typeET4_jRbjT5_S1E_jjP12ihipStream_tbEUljE_ZNSN_ISO_Lb1ESQ_SR_ST_SU_SY_EESZ_S10_S11_S12_S16_S17_S18_S1B_S1C_jS1D_jS1E_S1E_jjS1G_bEUljE0_EEESZ_S10_S11_S18_S1C_S1E_T6_T7_T9_mT8_S1G_bDpT10_ENKUlT_T0_E_clISt17integral_constantIbLb0EES1U_EEDaS1P_S1Q_EUlS1P_E_NS1_11comp_targetILNS1_3genE5ELNS1_11target_archE942ELNS1_3gpuE9ELNS1_3repE0EEENS1_30default_config_static_selectorELNS0_4arch9wavefront6targetE1EEEvS12_, .Lfunc_end1469-_ZN7rocprim17ROCPRIM_400000_NS6detail17trampoline_kernelINS0_13select_configILj256ELj13ELNS0_17block_load_methodE3ELS4_3ELS4_3ELNS0_20block_scan_algorithmE0ELj4294967295EEENS1_25partition_config_selectorILNS1_17partition_subalgoE4EjNS0_10empty_typeEbEEZZNS1_14partition_implILS8_4ELb0ES6_15HIP_vector_typeIjLj2EENS0_17counting_iteratorIjlEEPS9_SG_NS0_5tupleIJPjSI_NS0_16reverse_iteratorISI_EEEEENSH_IJSG_SG_SG_EEES9_SI_JZNS1_25segmented_radix_sort_implINS0_14default_configELb1EPKbPbPKlPlN2at6native12_GLOBAL__N_18offset_tEEE10hipError_tPvRmT1_PNSt15iterator_traitsIS12_E10value_typeET2_T3_PNS13_IS18_E10value_typeET4_jRbjT5_S1E_jjP12ihipStream_tbEUljE_ZNSN_ISO_Lb1ESQ_SR_ST_SU_SY_EESZ_S10_S11_S12_S16_S17_S18_S1B_S1C_jS1D_jS1E_S1E_jjS1G_bEUljE0_EEESZ_S10_S11_S18_S1C_S1E_T6_T7_T9_mT8_S1G_bDpT10_ENKUlT_T0_E_clISt17integral_constantIbLb0EES1U_EEDaS1P_S1Q_EUlS1P_E_NS1_11comp_targetILNS1_3genE5ELNS1_11target_archE942ELNS1_3gpuE9ELNS1_3repE0EEENS1_30default_config_static_selectorELNS0_4arch9wavefront6targetE1EEEvS12_
                                        ; -- End function
	.set _ZN7rocprim17ROCPRIM_400000_NS6detail17trampoline_kernelINS0_13select_configILj256ELj13ELNS0_17block_load_methodE3ELS4_3ELS4_3ELNS0_20block_scan_algorithmE0ELj4294967295EEENS1_25partition_config_selectorILNS1_17partition_subalgoE4EjNS0_10empty_typeEbEEZZNS1_14partition_implILS8_4ELb0ES6_15HIP_vector_typeIjLj2EENS0_17counting_iteratorIjlEEPS9_SG_NS0_5tupleIJPjSI_NS0_16reverse_iteratorISI_EEEEENSH_IJSG_SG_SG_EEES9_SI_JZNS1_25segmented_radix_sort_implINS0_14default_configELb1EPKbPbPKlPlN2at6native12_GLOBAL__N_18offset_tEEE10hipError_tPvRmT1_PNSt15iterator_traitsIS12_E10value_typeET2_T3_PNS13_IS18_E10value_typeET4_jRbjT5_S1E_jjP12ihipStream_tbEUljE_ZNSN_ISO_Lb1ESQ_SR_ST_SU_SY_EESZ_S10_S11_S12_S16_S17_S18_S1B_S1C_jS1D_jS1E_S1E_jjS1G_bEUljE0_EEESZ_S10_S11_S18_S1C_S1E_T6_T7_T9_mT8_S1G_bDpT10_ENKUlT_T0_E_clISt17integral_constantIbLb0EES1U_EEDaS1P_S1Q_EUlS1P_E_NS1_11comp_targetILNS1_3genE5ELNS1_11target_archE942ELNS1_3gpuE9ELNS1_3repE0EEENS1_30default_config_static_selectorELNS0_4arch9wavefront6targetE1EEEvS12_.num_vgpr, 0
	.set _ZN7rocprim17ROCPRIM_400000_NS6detail17trampoline_kernelINS0_13select_configILj256ELj13ELNS0_17block_load_methodE3ELS4_3ELS4_3ELNS0_20block_scan_algorithmE0ELj4294967295EEENS1_25partition_config_selectorILNS1_17partition_subalgoE4EjNS0_10empty_typeEbEEZZNS1_14partition_implILS8_4ELb0ES6_15HIP_vector_typeIjLj2EENS0_17counting_iteratorIjlEEPS9_SG_NS0_5tupleIJPjSI_NS0_16reverse_iteratorISI_EEEEENSH_IJSG_SG_SG_EEES9_SI_JZNS1_25segmented_radix_sort_implINS0_14default_configELb1EPKbPbPKlPlN2at6native12_GLOBAL__N_18offset_tEEE10hipError_tPvRmT1_PNSt15iterator_traitsIS12_E10value_typeET2_T3_PNS13_IS18_E10value_typeET4_jRbjT5_S1E_jjP12ihipStream_tbEUljE_ZNSN_ISO_Lb1ESQ_SR_ST_SU_SY_EESZ_S10_S11_S12_S16_S17_S18_S1B_S1C_jS1D_jS1E_S1E_jjS1G_bEUljE0_EEESZ_S10_S11_S18_S1C_S1E_T6_T7_T9_mT8_S1G_bDpT10_ENKUlT_T0_E_clISt17integral_constantIbLb0EES1U_EEDaS1P_S1Q_EUlS1P_E_NS1_11comp_targetILNS1_3genE5ELNS1_11target_archE942ELNS1_3gpuE9ELNS1_3repE0EEENS1_30default_config_static_selectorELNS0_4arch9wavefront6targetE1EEEvS12_.num_agpr, 0
	.set _ZN7rocprim17ROCPRIM_400000_NS6detail17trampoline_kernelINS0_13select_configILj256ELj13ELNS0_17block_load_methodE3ELS4_3ELS4_3ELNS0_20block_scan_algorithmE0ELj4294967295EEENS1_25partition_config_selectorILNS1_17partition_subalgoE4EjNS0_10empty_typeEbEEZZNS1_14partition_implILS8_4ELb0ES6_15HIP_vector_typeIjLj2EENS0_17counting_iteratorIjlEEPS9_SG_NS0_5tupleIJPjSI_NS0_16reverse_iteratorISI_EEEEENSH_IJSG_SG_SG_EEES9_SI_JZNS1_25segmented_radix_sort_implINS0_14default_configELb1EPKbPbPKlPlN2at6native12_GLOBAL__N_18offset_tEEE10hipError_tPvRmT1_PNSt15iterator_traitsIS12_E10value_typeET2_T3_PNS13_IS18_E10value_typeET4_jRbjT5_S1E_jjP12ihipStream_tbEUljE_ZNSN_ISO_Lb1ESQ_SR_ST_SU_SY_EESZ_S10_S11_S12_S16_S17_S18_S1B_S1C_jS1D_jS1E_S1E_jjS1G_bEUljE0_EEESZ_S10_S11_S18_S1C_S1E_T6_T7_T9_mT8_S1G_bDpT10_ENKUlT_T0_E_clISt17integral_constantIbLb0EES1U_EEDaS1P_S1Q_EUlS1P_E_NS1_11comp_targetILNS1_3genE5ELNS1_11target_archE942ELNS1_3gpuE9ELNS1_3repE0EEENS1_30default_config_static_selectorELNS0_4arch9wavefront6targetE1EEEvS12_.numbered_sgpr, 0
	.set _ZN7rocprim17ROCPRIM_400000_NS6detail17trampoline_kernelINS0_13select_configILj256ELj13ELNS0_17block_load_methodE3ELS4_3ELS4_3ELNS0_20block_scan_algorithmE0ELj4294967295EEENS1_25partition_config_selectorILNS1_17partition_subalgoE4EjNS0_10empty_typeEbEEZZNS1_14partition_implILS8_4ELb0ES6_15HIP_vector_typeIjLj2EENS0_17counting_iteratorIjlEEPS9_SG_NS0_5tupleIJPjSI_NS0_16reverse_iteratorISI_EEEEENSH_IJSG_SG_SG_EEES9_SI_JZNS1_25segmented_radix_sort_implINS0_14default_configELb1EPKbPbPKlPlN2at6native12_GLOBAL__N_18offset_tEEE10hipError_tPvRmT1_PNSt15iterator_traitsIS12_E10value_typeET2_T3_PNS13_IS18_E10value_typeET4_jRbjT5_S1E_jjP12ihipStream_tbEUljE_ZNSN_ISO_Lb1ESQ_SR_ST_SU_SY_EESZ_S10_S11_S12_S16_S17_S18_S1B_S1C_jS1D_jS1E_S1E_jjS1G_bEUljE0_EEESZ_S10_S11_S18_S1C_S1E_T6_T7_T9_mT8_S1G_bDpT10_ENKUlT_T0_E_clISt17integral_constantIbLb0EES1U_EEDaS1P_S1Q_EUlS1P_E_NS1_11comp_targetILNS1_3genE5ELNS1_11target_archE942ELNS1_3gpuE9ELNS1_3repE0EEENS1_30default_config_static_selectorELNS0_4arch9wavefront6targetE1EEEvS12_.num_named_barrier, 0
	.set _ZN7rocprim17ROCPRIM_400000_NS6detail17trampoline_kernelINS0_13select_configILj256ELj13ELNS0_17block_load_methodE3ELS4_3ELS4_3ELNS0_20block_scan_algorithmE0ELj4294967295EEENS1_25partition_config_selectorILNS1_17partition_subalgoE4EjNS0_10empty_typeEbEEZZNS1_14partition_implILS8_4ELb0ES6_15HIP_vector_typeIjLj2EENS0_17counting_iteratorIjlEEPS9_SG_NS0_5tupleIJPjSI_NS0_16reverse_iteratorISI_EEEEENSH_IJSG_SG_SG_EEES9_SI_JZNS1_25segmented_radix_sort_implINS0_14default_configELb1EPKbPbPKlPlN2at6native12_GLOBAL__N_18offset_tEEE10hipError_tPvRmT1_PNSt15iterator_traitsIS12_E10value_typeET2_T3_PNS13_IS18_E10value_typeET4_jRbjT5_S1E_jjP12ihipStream_tbEUljE_ZNSN_ISO_Lb1ESQ_SR_ST_SU_SY_EESZ_S10_S11_S12_S16_S17_S18_S1B_S1C_jS1D_jS1E_S1E_jjS1G_bEUljE0_EEESZ_S10_S11_S18_S1C_S1E_T6_T7_T9_mT8_S1G_bDpT10_ENKUlT_T0_E_clISt17integral_constantIbLb0EES1U_EEDaS1P_S1Q_EUlS1P_E_NS1_11comp_targetILNS1_3genE5ELNS1_11target_archE942ELNS1_3gpuE9ELNS1_3repE0EEENS1_30default_config_static_selectorELNS0_4arch9wavefront6targetE1EEEvS12_.private_seg_size, 0
	.set _ZN7rocprim17ROCPRIM_400000_NS6detail17trampoline_kernelINS0_13select_configILj256ELj13ELNS0_17block_load_methodE3ELS4_3ELS4_3ELNS0_20block_scan_algorithmE0ELj4294967295EEENS1_25partition_config_selectorILNS1_17partition_subalgoE4EjNS0_10empty_typeEbEEZZNS1_14partition_implILS8_4ELb0ES6_15HIP_vector_typeIjLj2EENS0_17counting_iteratorIjlEEPS9_SG_NS0_5tupleIJPjSI_NS0_16reverse_iteratorISI_EEEEENSH_IJSG_SG_SG_EEES9_SI_JZNS1_25segmented_radix_sort_implINS0_14default_configELb1EPKbPbPKlPlN2at6native12_GLOBAL__N_18offset_tEEE10hipError_tPvRmT1_PNSt15iterator_traitsIS12_E10value_typeET2_T3_PNS13_IS18_E10value_typeET4_jRbjT5_S1E_jjP12ihipStream_tbEUljE_ZNSN_ISO_Lb1ESQ_SR_ST_SU_SY_EESZ_S10_S11_S12_S16_S17_S18_S1B_S1C_jS1D_jS1E_S1E_jjS1G_bEUljE0_EEESZ_S10_S11_S18_S1C_S1E_T6_T7_T9_mT8_S1G_bDpT10_ENKUlT_T0_E_clISt17integral_constantIbLb0EES1U_EEDaS1P_S1Q_EUlS1P_E_NS1_11comp_targetILNS1_3genE5ELNS1_11target_archE942ELNS1_3gpuE9ELNS1_3repE0EEENS1_30default_config_static_selectorELNS0_4arch9wavefront6targetE1EEEvS12_.uses_vcc, 0
	.set _ZN7rocprim17ROCPRIM_400000_NS6detail17trampoline_kernelINS0_13select_configILj256ELj13ELNS0_17block_load_methodE3ELS4_3ELS4_3ELNS0_20block_scan_algorithmE0ELj4294967295EEENS1_25partition_config_selectorILNS1_17partition_subalgoE4EjNS0_10empty_typeEbEEZZNS1_14partition_implILS8_4ELb0ES6_15HIP_vector_typeIjLj2EENS0_17counting_iteratorIjlEEPS9_SG_NS0_5tupleIJPjSI_NS0_16reverse_iteratorISI_EEEEENSH_IJSG_SG_SG_EEES9_SI_JZNS1_25segmented_radix_sort_implINS0_14default_configELb1EPKbPbPKlPlN2at6native12_GLOBAL__N_18offset_tEEE10hipError_tPvRmT1_PNSt15iterator_traitsIS12_E10value_typeET2_T3_PNS13_IS18_E10value_typeET4_jRbjT5_S1E_jjP12ihipStream_tbEUljE_ZNSN_ISO_Lb1ESQ_SR_ST_SU_SY_EESZ_S10_S11_S12_S16_S17_S18_S1B_S1C_jS1D_jS1E_S1E_jjS1G_bEUljE0_EEESZ_S10_S11_S18_S1C_S1E_T6_T7_T9_mT8_S1G_bDpT10_ENKUlT_T0_E_clISt17integral_constantIbLb0EES1U_EEDaS1P_S1Q_EUlS1P_E_NS1_11comp_targetILNS1_3genE5ELNS1_11target_archE942ELNS1_3gpuE9ELNS1_3repE0EEENS1_30default_config_static_selectorELNS0_4arch9wavefront6targetE1EEEvS12_.uses_flat_scratch, 0
	.set _ZN7rocprim17ROCPRIM_400000_NS6detail17trampoline_kernelINS0_13select_configILj256ELj13ELNS0_17block_load_methodE3ELS4_3ELS4_3ELNS0_20block_scan_algorithmE0ELj4294967295EEENS1_25partition_config_selectorILNS1_17partition_subalgoE4EjNS0_10empty_typeEbEEZZNS1_14partition_implILS8_4ELb0ES6_15HIP_vector_typeIjLj2EENS0_17counting_iteratorIjlEEPS9_SG_NS0_5tupleIJPjSI_NS0_16reverse_iteratorISI_EEEEENSH_IJSG_SG_SG_EEES9_SI_JZNS1_25segmented_radix_sort_implINS0_14default_configELb1EPKbPbPKlPlN2at6native12_GLOBAL__N_18offset_tEEE10hipError_tPvRmT1_PNSt15iterator_traitsIS12_E10value_typeET2_T3_PNS13_IS18_E10value_typeET4_jRbjT5_S1E_jjP12ihipStream_tbEUljE_ZNSN_ISO_Lb1ESQ_SR_ST_SU_SY_EESZ_S10_S11_S12_S16_S17_S18_S1B_S1C_jS1D_jS1E_S1E_jjS1G_bEUljE0_EEESZ_S10_S11_S18_S1C_S1E_T6_T7_T9_mT8_S1G_bDpT10_ENKUlT_T0_E_clISt17integral_constantIbLb0EES1U_EEDaS1P_S1Q_EUlS1P_E_NS1_11comp_targetILNS1_3genE5ELNS1_11target_archE942ELNS1_3gpuE9ELNS1_3repE0EEENS1_30default_config_static_selectorELNS0_4arch9wavefront6targetE1EEEvS12_.has_dyn_sized_stack, 0
	.set _ZN7rocprim17ROCPRIM_400000_NS6detail17trampoline_kernelINS0_13select_configILj256ELj13ELNS0_17block_load_methodE3ELS4_3ELS4_3ELNS0_20block_scan_algorithmE0ELj4294967295EEENS1_25partition_config_selectorILNS1_17partition_subalgoE4EjNS0_10empty_typeEbEEZZNS1_14partition_implILS8_4ELb0ES6_15HIP_vector_typeIjLj2EENS0_17counting_iteratorIjlEEPS9_SG_NS0_5tupleIJPjSI_NS0_16reverse_iteratorISI_EEEEENSH_IJSG_SG_SG_EEES9_SI_JZNS1_25segmented_radix_sort_implINS0_14default_configELb1EPKbPbPKlPlN2at6native12_GLOBAL__N_18offset_tEEE10hipError_tPvRmT1_PNSt15iterator_traitsIS12_E10value_typeET2_T3_PNS13_IS18_E10value_typeET4_jRbjT5_S1E_jjP12ihipStream_tbEUljE_ZNSN_ISO_Lb1ESQ_SR_ST_SU_SY_EESZ_S10_S11_S12_S16_S17_S18_S1B_S1C_jS1D_jS1E_S1E_jjS1G_bEUljE0_EEESZ_S10_S11_S18_S1C_S1E_T6_T7_T9_mT8_S1G_bDpT10_ENKUlT_T0_E_clISt17integral_constantIbLb0EES1U_EEDaS1P_S1Q_EUlS1P_E_NS1_11comp_targetILNS1_3genE5ELNS1_11target_archE942ELNS1_3gpuE9ELNS1_3repE0EEENS1_30default_config_static_selectorELNS0_4arch9wavefront6targetE1EEEvS12_.has_recursion, 0
	.set _ZN7rocprim17ROCPRIM_400000_NS6detail17trampoline_kernelINS0_13select_configILj256ELj13ELNS0_17block_load_methodE3ELS4_3ELS4_3ELNS0_20block_scan_algorithmE0ELj4294967295EEENS1_25partition_config_selectorILNS1_17partition_subalgoE4EjNS0_10empty_typeEbEEZZNS1_14partition_implILS8_4ELb0ES6_15HIP_vector_typeIjLj2EENS0_17counting_iteratorIjlEEPS9_SG_NS0_5tupleIJPjSI_NS0_16reverse_iteratorISI_EEEEENSH_IJSG_SG_SG_EEES9_SI_JZNS1_25segmented_radix_sort_implINS0_14default_configELb1EPKbPbPKlPlN2at6native12_GLOBAL__N_18offset_tEEE10hipError_tPvRmT1_PNSt15iterator_traitsIS12_E10value_typeET2_T3_PNS13_IS18_E10value_typeET4_jRbjT5_S1E_jjP12ihipStream_tbEUljE_ZNSN_ISO_Lb1ESQ_SR_ST_SU_SY_EESZ_S10_S11_S12_S16_S17_S18_S1B_S1C_jS1D_jS1E_S1E_jjS1G_bEUljE0_EEESZ_S10_S11_S18_S1C_S1E_T6_T7_T9_mT8_S1G_bDpT10_ENKUlT_T0_E_clISt17integral_constantIbLb0EES1U_EEDaS1P_S1Q_EUlS1P_E_NS1_11comp_targetILNS1_3genE5ELNS1_11target_archE942ELNS1_3gpuE9ELNS1_3repE0EEENS1_30default_config_static_selectorELNS0_4arch9wavefront6targetE1EEEvS12_.has_indirect_call, 0
	.section	.AMDGPU.csdata,"",@progbits
; Kernel info:
; codeLenInByte = 0
; TotalNumSgprs: 4
; NumVgprs: 0
; ScratchSize: 0
; MemoryBound: 0
; FloatMode: 240
; IeeeMode: 1
; LDSByteSize: 0 bytes/workgroup (compile time only)
; SGPRBlocks: 0
; VGPRBlocks: 0
; NumSGPRsForWavesPerEU: 4
; NumVGPRsForWavesPerEU: 1
; Occupancy: 10
; WaveLimiterHint : 0
; COMPUTE_PGM_RSRC2:SCRATCH_EN: 0
; COMPUTE_PGM_RSRC2:USER_SGPR: 6
; COMPUTE_PGM_RSRC2:TRAP_HANDLER: 0
; COMPUTE_PGM_RSRC2:TGID_X_EN: 1
; COMPUTE_PGM_RSRC2:TGID_Y_EN: 0
; COMPUTE_PGM_RSRC2:TGID_Z_EN: 0
; COMPUTE_PGM_RSRC2:TIDIG_COMP_CNT: 0
	.section	.text._ZN7rocprim17ROCPRIM_400000_NS6detail17trampoline_kernelINS0_13select_configILj256ELj13ELNS0_17block_load_methodE3ELS4_3ELS4_3ELNS0_20block_scan_algorithmE0ELj4294967295EEENS1_25partition_config_selectorILNS1_17partition_subalgoE4EjNS0_10empty_typeEbEEZZNS1_14partition_implILS8_4ELb0ES6_15HIP_vector_typeIjLj2EENS0_17counting_iteratorIjlEEPS9_SG_NS0_5tupleIJPjSI_NS0_16reverse_iteratorISI_EEEEENSH_IJSG_SG_SG_EEES9_SI_JZNS1_25segmented_radix_sort_implINS0_14default_configELb1EPKbPbPKlPlN2at6native12_GLOBAL__N_18offset_tEEE10hipError_tPvRmT1_PNSt15iterator_traitsIS12_E10value_typeET2_T3_PNS13_IS18_E10value_typeET4_jRbjT5_S1E_jjP12ihipStream_tbEUljE_ZNSN_ISO_Lb1ESQ_SR_ST_SU_SY_EESZ_S10_S11_S12_S16_S17_S18_S1B_S1C_jS1D_jS1E_S1E_jjS1G_bEUljE0_EEESZ_S10_S11_S18_S1C_S1E_T6_T7_T9_mT8_S1G_bDpT10_ENKUlT_T0_E_clISt17integral_constantIbLb0EES1U_EEDaS1P_S1Q_EUlS1P_E_NS1_11comp_targetILNS1_3genE4ELNS1_11target_archE910ELNS1_3gpuE8ELNS1_3repE0EEENS1_30default_config_static_selectorELNS0_4arch9wavefront6targetE1EEEvS12_,"axG",@progbits,_ZN7rocprim17ROCPRIM_400000_NS6detail17trampoline_kernelINS0_13select_configILj256ELj13ELNS0_17block_load_methodE3ELS4_3ELS4_3ELNS0_20block_scan_algorithmE0ELj4294967295EEENS1_25partition_config_selectorILNS1_17partition_subalgoE4EjNS0_10empty_typeEbEEZZNS1_14partition_implILS8_4ELb0ES6_15HIP_vector_typeIjLj2EENS0_17counting_iteratorIjlEEPS9_SG_NS0_5tupleIJPjSI_NS0_16reverse_iteratorISI_EEEEENSH_IJSG_SG_SG_EEES9_SI_JZNS1_25segmented_radix_sort_implINS0_14default_configELb1EPKbPbPKlPlN2at6native12_GLOBAL__N_18offset_tEEE10hipError_tPvRmT1_PNSt15iterator_traitsIS12_E10value_typeET2_T3_PNS13_IS18_E10value_typeET4_jRbjT5_S1E_jjP12ihipStream_tbEUljE_ZNSN_ISO_Lb1ESQ_SR_ST_SU_SY_EESZ_S10_S11_S12_S16_S17_S18_S1B_S1C_jS1D_jS1E_S1E_jjS1G_bEUljE0_EEESZ_S10_S11_S18_S1C_S1E_T6_T7_T9_mT8_S1G_bDpT10_ENKUlT_T0_E_clISt17integral_constantIbLb0EES1U_EEDaS1P_S1Q_EUlS1P_E_NS1_11comp_targetILNS1_3genE4ELNS1_11target_archE910ELNS1_3gpuE8ELNS1_3repE0EEENS1_30default_config_static_selectorELNS0_4arch9wavefront6targetE1EEEvS12_,comdat
	.globl	_ZN7rocprim17ROCPRIM_400000_NS6detail17trampoline_kernelINS0_13select_configILj256ELj13ELNS0_17block_load_methodE3ELS4_3ELS4_3ELNS0_20block_scan_algorithmE0ELj4294967295EEENS1_25partition_config_selectorILNS1_17partition_subalgoE4EjNS0_10empty_typeEbEEZZNS1_14partition_implILS8_4ELb0ES6_15HIP_vector_typeIjLj2EENS0_17counting_iteratorIjlEEPS9_SG_NS0_5tupleIJPjSI_NS0_16reverse_iteratorISI_EEEEENSH_IJSG_SG_SG_EEES9_SI_JZNS1_25segmented_radix_sort_implINS0_14default_configELb1EPKbPbPKlPlN2at6native12_GLOBAL__N_18offset_tEEE10hipError_tPvRmT1_PNSt15iterator_traitsIS12_E10value_typeET2_T3_PNS13_IS18_E10value_typeET4_jRbjT5_S1E_jjP12ihipStream_tbEUljE_ZNSN_ISO_Lb1ESQ_SR_ST_SU_SY_EESZ_S10_S11_S12_S16_S17_S18_S1B_S1C_jS1D_jS1E_S1E_jjS1G_bEUljE0_EEESZ_S10_S11_S18_S1C_S1E_T6_T7_T9_mT8_S1G_bDpT10_ENKUlT_T0_E_clISt17integral_constantIbLb0EES1U_EEDaS1P_S1Q_EUlS1P_E_NS1_11comp_targetILNS1_3genE4ELNS1_11target_archE910ELNS1_3gpuE8ELNS1_3repE0EEENS1_30default_config_static_selectorELNS0_4arch9wavefront6targetE1EEEvS12_ ; -- Begin function _ZN7rocprim17ROCPRIM_400000_NS6detail17trampoline_kernelINS0_13select_configILj256ELj13ELNS0_17block_load_methodE3ELS4_3ELS4_3ELNS0_20block_scan_algorithmE0ELj4294967295EEENS1_25partition_config_selectorILNS1_17partition_subalgoE4EjNS0_10empty_typeEbEEZZNS1_14partition_implILS8_4ELb0ES6_15HIP_vector_typeIjLj2EENS0_17counting_iteratorIjlEEPS9_SG_NS0_5tupleIJPjSI_NS0_16reverse_iteratorISI_EEEEENSH_IJSG_SG_SG_EEES9_SI_JZNS1_25segmented_radix_sort_implINS0_14default_configELb1EPKbPbPKlPlN2at6native12_GLOBAL__N_18offset_tEEE10hipError_tPvRmT1_PNSt15iterator_traitsIS12_E10value_typeET2_T3_PNS13_IS18_E10value_typeET4_jRbjT5_S1E_jjP12ihipStream_tbEUljE_ZNSN_ISO_Lb1ESQ_SR_ST_SU_SY_EESZ_S10_S11_S12_S16_S17_S18_S1B_S1C_jS1D_jS1E_S1E_jjS1G_bEUljE0_EEESZ_S10_S11_S18_S1C_S1E_T6_T7_T9_mT8_S1G_bDpT10_ENKUlT_T0_E_clISt17integral_constantIbLb0EES1U_EEDaS1P_S1Q_EUlS1P_E_NS1_11comp_targetILNS1_3genE4ELNS1_11target_archE910ELNS1_3gpuE8ELNS1_3repE0EEENS1_30default_config_static_selectorELNS0_4arch9wavefront6targetE1EEEvS12_
	.p2align	8
	.type	_ZN7rocprim17ROCPRIM_400000_NS6detail17trampoline_kernelINS0_13select_configILj256ELj13ELNS0_17block_load_methodE3ELS4_3ELS4_3ELNS0_20block_scan_algorithmE0ELj4294967295EEENS1_25partition_config_selectorILNS1_17partition_subalgoE4EjNS0_10empty_typeEbEEZZNS1_14partition_implILS8_4ELb0ES6_15HIP_vector_typeIjLj2EENS0_17counting_iteratorIjlEEPS9_SG_NS0_5tupleIJPjSI_NS0_16reverse_iteratorISI_EEEEENSH_IJSG_SG_SG_EEES9_SI_JZNS1_25segmented_radix_sort_implINS0_14default_configELb1EPKbPbPKlPlN2at6native12_GLOBAL__N_18offset_tEEE10hipError_tPvRmT1_PNSt15iterator_traitsIS12_E10value_typeET2_T3_PNS13_IS18_E10value_typeET4_jRbjT5_S1E_jjP12ihipStream_tbEUljE_ZNSN_ISO_Lb1ESQ_SR_ST_SU_SY_EESZ_S10_S11_S12_S16_S17_S18_S1B_S1C_jS1D_jS1E_S1E_jjS1G_bEUljE0_EEESZ_S10_S11_S18_S1C_S1E_T6_T7_T9_mT8_S1G_bDpT10_ENKUlT_T0_E_clISt17integral_constantIbLb0EES1U_EEDaS1P_S1Q_EUlS1P_E_NS1_11comp_targetILNS1_3genE4ELNS1_11target_archE910ELNS1_3gpuE8ELNS1_3repE0EEENS1_30default_config_static_selectorELNS0_4arch9wavefront6targetE1EEEvS12_,@function
_ZN7rocprim17ROCPRIM_400000_NS6detail17trampoline_kernelINS0_13select_configILj256ELj13ELNS0_17block_load_methodE3ELS4_3ELS4_3ELNS0_20block_scan_algorithmE0ELj4294967295EEENS1_25partition_config_selectorILNS1_17partition_subalgoE4EjNS0_10empty_typeEbEEZZNS1_14partition_implILS8_4ELb0ES6_15HIP_vector_typeIjLj2EENS0_17counting_iteratorIjlEEPS9_SG_NS0_5tupleIJPjSI_NS0_16reverse_iteratorISI_EEEEENSH_IJSG_SG_SG_EEES9_SI_JZNS1_25segmented_radix_sort_implINS0_14default_configELb1EPKbPbPKlPlN2at6native12_GLOBAL__N_18offset_tEEE10hipError_tPvRmT1_PNSt15iterator_traitsIS12_E10value_typeET2_T3_PNS13_IS18_E10value_typeET4_jRbjT5_S1E_jjP12ihipStream_tbEUljE_ZNSN_ISO_Lb1ESQ_SR_ST_SU_SY_EESZ_S10_S11_S12_S16_S17_S18_S1B_S1C_jS1D_jS1E_S1E_jjS1G_bEUljE0_EEESZ_S10_S11_S18_S1C_S1E_T6_T7_T9_mT8_S1G_bDpT10_ENKUlT_T0_E_clISt17integral_constantIbLb0EES1U_EEDaS1P_S1Q_EUlS1P_E_NS1_11comp_targetILNS1_3genE4ELNS1_11target_archE910ELNS1_3gpuE8ELNS1_3repE0EEENS1_30default_config_static_selectorELNS0_4arch9wavefront6targetE1EEEvS12_: ; @_ZN7rocprim17ROCPRIM_400000_NS6detail17trampoline_kernelINS0_13select_configILj256ELj13ELNS0_17block_load_methodE3ELS4_3ELS4_3ELNS0_20block_scan_algorithmE0ELj4294967295EEENS1_25partition_config_selectorILNS1_17partition_subalgoE4EjNS0_10empty_typeEbEEZZNS1_14partition_implILS8_4ELb0ES6_15HIP_vector_typeIjLj2EENS0_17counting_iteratorIjlEEPS9_SG_NS0_5tupleIJPjSI_NS0_16reverse_iteratorISI_EEEEENSH_IJSG_SG_SG_EEES9_SI_JZNS1_25segmented_radix_sort_implINS0_14default_configELb1EPKbPbPKlPlN2at6native12_GLOBAL__N_18offset_tEEE10hipError_tPvRmT1_PNSt15iterator_traitsIS12_E10value_typeET2_T3_PNS13_IS18_E10value_typeET4_jRbjT5_S1E_jjP12ihipStream_tbEUljE_ZNSN_ISO_Lb1ESQ_SR_ST_SU_SY_EESZ_S10_S11_S12_S16_S17_S18_S1B_S1C_jS1D_jS1E_S1E_jjS1G_bEUljE0_EEESZ_S10_S11_S18_S1C_S1E_T6_T7_T9_mT8_S1G_bDpT10_ENKUlT_T0_E_clISt17integral_constantIbLb0EES1U_EEDaS1P_S1Q_EUlS1P_E_NS1_11comp_targetILNS1_3genE4ELNS1_11target_archE910ELNS1_3gpuE8ELNS1_3repE0EEENS1_30default_config_static_selectorELNS0_4arch9wavefront6targetE1EEEvS12_
; %bb.0:
	.section	.rodata,"a",@progbits
	.p2align	6, 0x0
	.amdhsa_kernel _ZN7rocprim17ROCPRIM_400000_NS6detail17trampoline_kernelINS0_13select_configILj256ELj13ELNS0_17block_load_methodE3ELS4_3ELS4_3ELNS0_20block_scan_algorithmE0ELj4294967295EEENS1_25partition_config_selectorILNS1_17partition_subalgoE4EjNS0_10empty_typeEbEEZZNS1_14partition_implILS8_4ELb0ES6_15HIP_vector_typeIjLj2EENS0_17counting_iteratorIjlEEPS9_SG_NS0_5tupleIJPjSI_NS0_16reverse_iteratorISI_EEEEENSH_IJSG_SG_SG_EEES9_SI_JZNS1_25segmented_radix_sort_implINS0_14default_configELb1EPKbPbPKlPlN2at6native12_GLOBAL__N_18offset_tEEE10hipError_tPvRmT1_PNSt15iterator_traitsIS12_E10value_typeET2_T3_PNS13_IS18_E10value_typeET4_jRbjT5_S1E_jjP12ihipStream_tbEUljE_ZNSN_ISO_Lb1ESQ_SR_ST_SU_SY_EESZ_S10_S11_S12_S16_S17_S18_S1B_S1C_jS1D_jS1E_S1E_jjS1G_bEUljE0_EEESZ_S10_S11_S18_S1C_S1E_T6_T7_T9_mT8_S1G_bDpT10_ENKUlT_T0_E_clISt17integral_constantIbLb0EES1U_EEDaS1P_S1Q_EUlS1P_E_NS1_11comp_targetILNS1_3genE4ELNS1_11target_archE910ELNS1_3gpuE8ELNS1_3repE0EEENS1_30default_config_static_selectorELNS0_4arch9wavefront6targetE1EEEvS12_
		.amdhsa_group_segment_fixed_size 0
		.amdhsa_private_segment_fixed_size 0
		.amdhsa_kernarg_size 176
		.amdhsa_user_sgpr_count 6
		.amdhsa_user_sgpr_private_segment_buffer 1
		.amdhsa_user_sgpr_dispatch_ptr 0
		.amdhsa_user_sgpr_queue_ptr 0
		.amdhsa_user_sgpr_kernarg_segment_ptr 1
		.amdhsa_user_sgpr_dispatch_id 0
		.amdhsa_user_sgpr_flat_scratch_init 0
		.amdhsa_user_sgpr_private_segment_size 0
		.amdhsa_uses_dynamic_stack 0
		.amdhsa_system_sgpr_private_segment_wavefront_offset 0
		.amdhsa_system_sgpr_workgroup_id_x 1
		.amdhsa_system_sgpr_workgroup_id_y 0
		.amdhsa_system_sgpr_workgroup_id_z 0
		.amdhsa_system_sgpr_workgroup_info 0
		.amdhsa_system_vgpr_workitem_id 0
		.amdhsa_next_free_vgpr 1
		.amdhsa_next_free_sgpr 0
		.amdhsa_reserve_vcc 0
		.amdhsa_reserve_flat_scratch 0
		.amdhsa_float_round_mode_32 0
		.amdhsa_float_round_mode_16_64 0
		.amdhsa_float_denorm_mode_32 3
		.amdhsa_float_denorm_mode_16_64 3
		.amdhsa_dx10_clamp 1
		.amdhsa_ieee_mode 1
		.amdhsa_fp16_overflow 0
		.amdhsa_exception_fp_ieee_invalid_op 0
		.amdhsa_exception_fp_denorm_src 0
		.amdhsa_exception_fp_ieee_div_zero 0
		.amdhsa_exception_fp_ieee_overflow 0
		.amdhsa_exception_fp_ieee_underflow 0
		.amdhsa_exception_fp_ieee_inexact 0
		.amdhsa_exception_int_div_zero 0
	.end_amdhsa_kernel
	.section	.text._ZN7rocprim17ROCPRIM_400000_NS6detail17trampoline_kernelINS0_13select_configILj256ELj13ELNS0_17block_load_methodE3ELS4_3ELS4_3ELNS0_20block_scan_algorithmE0ELj4294967295EEENS1_25partition_config_selectorILNS1_17partition_subalgoE4EjNS0_10empty_typeEbEEZZNS1_14partition_implILS8_4ELb0ES6_15HIP_vector_typeIjLj2EENS0_17counting_iteratorIjlEEPS9_SG_NS0_5tupleIJPjSI_NS0_16reverse_iteratorISI_EEEEENSH_IJSG_SG_SG_EEES9_SI_JZNS1_25segmented_radix_sort_implINS0_14default_configELb1EPKbPbPKlPlN2at6native12_GLOBAL__N_18offset_tEEE10hipError_tPvRmT1_PNSt15iterator_traitsIS12_E10value_typeET2_T3_PNS13_IS18_E10value_typeET4_jRbjT5_S1E_jjP12ihipStream_tbEUljE_ZNSN_ISO_Lb1ESQ_SR_ST_SU_SY_EESZ_S10_S11_S12_S16_S17_S18_S1B_S1C_jS1D_jS1E_S1E_jjS1G_bEUljE0_EEESZ_S10_S11_S18_S1C_S1E_T6_T7_T9_mT8_S1G_bDpT10_ENKUlT_T0_E_clISt17integral_constantIbLb0EES1U_EEDaS1P_S1Q_EUlS1P_E_NS1_11comp_targetILNS1_3genE4ELNS1_11target_archE910ELNS1_3gpuE8ELNS1_3repE0EEENS1_30default_config_static_selectorELNS0_4arch9wavefront6targetE1EEEvS12_,"axG",@progbits,_ZN7rocprim17ROCPRIM_400000_NS6detail17trampoline_kernelINS0_13select_configILj256ELj13ELNS0_17block_load_methodE3ELS4_3ELS4_3ELNS0_20block_scan_algorithmE0ELj4294967295EEENS1_25partition_config_selectorILNS1_17partition_subalgoE4EjNS0_10empty_typeEbEEZZNS1_14partition_implILS8_4ELb0ES6_15HIP_vector_typeIjLj2EENS0_17counting_iteratorIjlEEPS9_SG_NS0_5tupleIJPjSI_NS0_16reverse_iteratorISI_EEEEENSH_IJSG_SG_SG_EEES9_SI_JZNS1_25segmented_radix_sort_implINS0_14default_configELb1EPKbPbPKlPlN2at6native12_GLOBAL__N_18offset_tEEE10hipError_tPvRmT1_PNSt15iterator_traitsIS12_E10value_typeET2_T3_PNS13_IS18_E10value_typeET4_jRbjT5_S1E_jjP12ihipStream_tbEUljE_ZNSN_ISO_Lb1ESQ_SR_ST_SU_SY_EESZ_S10_S11_S12_S16_S17_S18_S1B_S1C_jS1D_jS1E_S1E_jjS1G_bEUljE0_EEESZ_S10_S11_S18_S1C_S1E_T6_T7_T9_mT8_S1G_bDpT10_ENKUlT_T0_E_clISt17integral_constantIbLb0EES1U_EEDaS1P_S1Q_EUlS1P_E_NS1_11comp_targetILNS1_3genE4ELNS1_11target_archE910ELNS1_3gpuE8ELNS1_3repE0EEENS1_30default_config_static_selectorELNS0_4arch9wavefront6targetE1EEEvS12_,comdat
.Lfunc_end1470:
	.size	_ZN7rocprim17ROCPRIM_400000_NS6detail17trampoline_kernelINS0_13select_configILj256ELj13ELNS0_17block_load_methodE3ELS4_3ELS4_3ELNS0_20block_scan_algorithmE0ELj4294967295EEENS1_25partition_config_selectorILNS1_17partition_subalgoE4EjNS0_10empty_typeEbEEZZNS1_14partition_implILS8_4ELb0ES6_15HIP_vector_typeIjLj2EENS0_17counting_iteratorIjlEEPS9_SG_NS0_5tupleIJPjSI_NS0_16reverse_iteratorISI_EEEEENSH_IJSG_SG_SG_EEES9_SI_JZNS1_25segmented_radix_sort_implINS0_14default_configELb1EPKbPbPKlPlN2at6native12_GLOBAL__N_18offset_tEEE10hipError_tPvRmT1_PNSt15iterator_traitsIS12_E10value_typeET2_T3_PNS13_IS18_E10value_typeET4_jRbjT5_S1E_jjP12ihipStream_tbEUljE_ZNSN_ISO_Lb1ESQ_SR_ST_SU_SY_EESZ_S10_S11_S12_S16_S17_S18_S1B_S1C_jS1D_jS1E_S1E_jjS1G_bEUljE0_EEESZ_S10_S11_S18_S1C_S1E_T6_T7_T9_mT8_S1G_bDpT10_ENKUlT_T0_E_clISt17integral_constantIbLb0EES1U_EEDaS1P_S1Q_EUlS1P_E_NS1_11comp_targetILNS1_3genE4ELNS1_11target_archE910ELNS1_3gpuE8ELNS1_3repE0EEENS1_30default_config_static_selectorELNS0_4arch9wavefront6targetE1EEEvS12_, .Lfunc_end1470-_ZN7rocprim17ROCPRIM_400000_NS6detail17trampoline_kernelINS0_13select_configILj256ELj13ELNS0_17block_load_methodE3ELS4_3ELS4_3ELNS0_20block_scan_algorithmE0ELj4294967295EEENS1_25partition_config_selectorILNS1_17partition_subalgoE4EjNS0_10empty_typeEbEEZZNS1_14partition_implILS8_4ELb0ES6_15HIP_vector_typeIjLj2EENS0_17counting_iteratorIjlEEPS9_SG_NS0_5tupleIJPjSI_NS0_16reverse_iteratorISI_EEEEENSH_IJSG_SG_SG_EEES9_SI_JZNS1_25segmented_radix_sort_implINS0_14default_configELb1EPKbPbPKlPlN2at6native12_GLOBAL__N_18offset_tEEE10hipError_tPvRmT1_PNSt15iterator_traitsIS12_E10value_typeET2_T3_PNS13_IS18_E10value_typeET4_jRbjT5_S1E_jjP12ihipStream_tbEUljE_ZNSN_ISO_Lb1ESQ_SR_ST_SU_SY_EESZ_S10_S11_S12_S16_S17_S18_S1B_S1C_jS1D_jS1E_S1E_jjS1G_bEUljE0_EEESZ_S10_S11_S18_S1C_S1E_T6_T7_T9_mT8_S1G_bDpT10_ENKUlT_T0_E_clISt17integral_constantIbLb0EES1U_EEDaS1P_S1Q_EUlS1P_E_NS1_11comp_targetILNS1_3genE4ELNS1_11target_archE910ELNS1_3gpuE8ELNS1_3repE0EEENS1_30default_config_static_selectorELNS0_4arch9wavefront6targetE1EEEvS12_
                                        ; -- End function
	.set _ZN7rocprim17ROCPRIM_400000_NS6detail17trampoline_kernelINS0_13select_configILj256ELj13ELNS0_17block_load_methodE3ELS4_3ELS4_3ELNS0_20block_scan_algorithmE0ELj4294967295EEENS1_25partition_config_selectorILNS1_17partition_subalgoE4EjNS0_10empty_typeEbEEZZNS1_14partition_implILS8_4ELb0ES6_15HIP_vector_typeIjLj2EENS0_17counting_iteratorIjlEEPS9_SG_NS0_5tupleIJPjSI_NS0_16reverse_iteratorISI_EEEEENSH_IJSG_SG_SG_EEES9_SI_JZNS1_25segmented_radix_sort_implINS0_14default_configELb1EPKbPbPKlPlN2at6native12_GLOBAL__N_18offset_tEEE10hipError_tPvRmT1_PNSt15iterator_traitsIS12_E10value_typeET2_T3_PNS13_IS18_E10value_typeET4_jRbjT5_S1E_jjP12ihipStream_tbEUljE_ZNSN_ISO_Lb1ESQ_SR_ST_SU_SY_EESZ_S10_S11_S12_S16_S17_S18_S1B_S1C_jS1D_jS1E_S1E_jjS1G_bEUljE0_EEESZ_S10_S11_S18_S1C_S1E_T6_T7_T9_mT8_S1G_bDpT10_ENKUlT_T0_E_clISt17integral_constantIbLb0EES1U_EEDaS1P_S1Q_EUlS1P_E_NS1_11comp_targetILNS1_3genE4ELNS1_11target_archE910ELNS1_3gpuE8ELNS1_3repE0EEENS1_30default_config_static_selectorELNS0_4arch9wavefront6targetE1EEEvS12_.num_vgpr, 0
	.set _ZN7rocprim17ROCPRIM_400000_NS6detail17trampoline_kernelINS0_13select_configILj256ELj13ELNS0_17block_load_methodE3ELS4_3ELS4_3ELNS0_20block_scan_algorithmE0ELj4294967295EEENS1_25partition_config_selectorILNS1_17partition_subalgoE4EjNS0_10empty_typeEbEEZZNS1_14partition_implILS8_4ELb0ES6_15HIP_vector_typeIjLj2EENS0_17counting_iteratorIjlEEPS9_SG_NS0_5tupleIJPjSI_NS0_16reverse_iteratorISI_EEEEENSH_IJSG_SG_SG_EEES9_SI_JZNS1_25segmented_radix_sort_implINS0_14default_configELb1EPKbPbPKlPlN2at6native12_GLOBAL__N_18offset_tEEE10hipError_tPvRmT1_PNSt15iterator_traitsIS12_E10value_typeET2_T3_PNS13_IS18_E10value_typeET4_jRbjT5_S1E_jjP12ihipStream_tbEUljE_ZNSN_ISO_Lb1ESQ_SR_ST_SU_SY_EESZ_S10_S11_S12_S16_S17_S18_S1B_S1C_jS1D_jS1E_S1E_jjS1G_bEUljE0_EEESZ_S10_S11_S18_S1C_S1E_T6_T7_T9_mT8_S1G_bDpT10_ENKUlT_T0_E_clISt17integral_constantIbLb0EES1U_EEDaS1P_S1Q_EUlS1P_E_NS1_11comp_targetILNS1_3genE4ELNS1_11target_archE910ELNS1_3gpuE8ELNS1_3repE0EEENS1_30default_config_static_selectorELNS0_4arch9wavefront6targetE1EEEvS12_.num_agpr, 0
	.set _ZN7rocprim17ROCPRIM_400000_NS6detail17trampoline_kernelINS0_13select_configILj256ELj13ELNS0_17block_load_methodE3ELS4_3ELS4_3ELNS0_20block_scan_algorithmE0ELj4294967295EEENS1_25partition_config_selectorILNS1_17partition_subalgoE4EjNS0_10empty_typeEbEEZZNS1_14partition_implILS8_4ELb0ES6_15HIP_vector_typeIjLj2EENS0_17counting_iteratorIjlEEPS9_SG_NS0_5tupleIJPjSI_NS0_16reverse_iteratorISI_EEEEENSH_IJSG_SG_SG_EEES9_SI_JZNS1_25segmented_radix_sort_implINS0_14default_configELb1EPKbPbPKlPlN2at6native12_GLOBAL__N_18offset_tEEE10hipError_tPvRmT1_PNSt15iterator_traitsIS12_E10value_typeET2_T3_PNS13_IS18_E10value_typeET4_jRbjT5_S1E_jjP12ihipStream_tbEUljE_ZNSN_ISO_Lb1ESQ_SR_ST_SU_SY_EESZ_S10_S11_S12_S16_S17_S18_S1B_S1C_jS1D_jS1E_S1E_jjS1G_bEUljE0_EEESZ_S10_S11_S18_S1C_S1E_T6_T7_T9_mT8_S1G_bDpT10_ENKUlT_T0_E_clISt17integral_constantIbLb0EES1U_EEDaS1P_S1Q_EUlS1P_E_NS1_11comp_targetILNS1_3genE4ELNS1_11target_archE910ELNS1_3gpuE8ELNS1_3repE0EEENS1_30default_config_static_selectorELNS0_4arch9wavefront6targetE1EEEvS12_.numbered_sgpr, 0
	.set _ZN7rocprim17ROCPRIM_400000_NS6detail17trampoline_kernelINS0_13select_configILj256ELj13ELNS0_17block_load_methodE3ELS4_3ELS4_3ELNS0_20block_scan_algorithmE0ELj4294967295EEENS1_25partition_config_selectorILNS1_17partition_subalgoE4EjNS0_10empty_typeEbEEZZNS1_14partition_implILS8_4ELb0ES6_15HIP_vector_typeIjLj2EENS0_17counting_iteratorIjlEEPS9_SG_NS0_5tupleIJPjSI_NS0_16reverse_iteratorISI_EEEEENSH_IJSG_SG_SG_EEES9_SI_JZNS1_25segmented_radix_sort_implINS0_14default_configELb1EPKbPbPKlPlN2at6native12_GLOBAL__N_18offset_tEEE10hipError_tPvRmT1_PNSt15iterator_traitsIS12_E10value_typeET2_T3_PNS13_IS18_E10value_typeET4_jRbjT5_S1E_jjP12ihipStream_tbEUljE_ZNSN_ISO_Lb1ESQ_SR_ST_SU_SY_EESZ_S10_S11_S12_S16_S17_S18_S1B_S1C_jS1D_jS1E_S1E_jjS1G_bEUljE0_EEESZ_S10_S11_S18_S1C_S1E_T6_T7_T9_mT8_S1G_bDpT10_ENKUlT_T0_E_clISt17integral_constantIbLb0EES1U_EEDaS1P_S1Q_EUlS1P_E_NS1_11comp_targetILNS1_3genE4ELNS1_11target_archE910ELNS1_3gpuE8ELNS1_3repE0EEENS1_30default_config_static_selectorELNS0_4arch9wavefront6targetE1EEEvS12_.num_named_barrier, 0
	.set _ZN7rocprim17ROCPRIM_400000_NS6detail17trampoline_kernelINS0_13select_configILj256ELj13ELNS0_17block_load_methodE3ELS4_3ELS4_3ELNS0_20block_scan_algorithmE0ELj4294967295EEENS1_25partition_config_selectorILNS1_17partition_subalgoE4EjNS0_10empty_typeEbEEZZNS1_14partition_implILS8_4ELb0ES6_15HIP_vector_typeIjLj2EENS0_17counting_iteratorIjlEEPS9_SG_NS0_5tupleIJPjSI_NS0_16reverse_iteratorISI_EEEEENSH_IJSG_SG_SG_EEES9_SI_JZNS1_25segmented_radix_sort_implINS0_14default_configELb1EPKbPbPKlPlN2at6native12_GLOBAL__N_18offset_tEEE10hipError_tPvRmT1_PNSt15iterator_traitsIS12_E10value_typeET2_T3_PNS13_IS18_E10value_typeET4_jRbjT5_S1E_jjP12ihipStream_tbEUljE_ZNSN_ISO_Lb1ESQ_SR_ST_SU_SY_EESZ_S10_S11_S12_S16_S17_S18_S1B_S1C_jS1D_jS1E_S1E_jjS1G_bEUljE0_EEESZ_S10_S11_S18_S1C_S1E_T6_T7_T9_mT8_S1G_bDpT10_ENKUlT_T0_E_clISt17integral_constantIbLb0EES1U_EEDaS1P_S1Q_EUlS1P_E_NS1_11comp_targetILNS1_3genE4ELNS1_11target_archE910ELNS1_3gpuE8ELNS1_3repE0EEENS1_30default_config_static_selectorELNS0_4arch9wavefront6targetE1EEEvS12_.private_seg_size, 0
	.set _ZN7rocprim17ROCPRIM_400000_NS6detail17trampoline_kernelINS0_13select_configILj256ELj13ELNS0_17block_load_methodE3ELS4_3ELS4_3ELNS0_20block_scan_algorithmE0ELj4294967295EEENS1_25partition_config_selectorILNS1_17partition_subalgoE4EjNS0_10empty_typeEbEEZZNS1_14partition_implILS8_4ELb0ES6_15HIP_vector_typeIjLj2EENS0_17counting_iteratorIjlEEPS9_SG_NS0_5tupleIJPjSI_NS0_16reverse_iteratorISI_EEEEENSH_IJSG_SG_SG_EEES9_SI_JZNS1_25segmented_radix_sort_implINS0_14default_configELb1EPKbPbPKlPlN2at6native12_GLOBAL__N_18offset_tEEE10hipError_tPvRmT1_PNSt15iterator_traitsIS12_E10value_typeET2_T3_PNS13_IS18_E10value_typeET4_jRbjT5_S1E_jjP12ihipStream_tbEUljE_ZNSN_ISO_Lb1ESQ_SR_ST_SU_SY_EESZ_S10_S11_S12_S16_S17_S18_S1B_S1C_jS1D_jS1E_S1E_jjS1G_bEUljE0_EEESZ_S10_S11_S18_S1C_S1E_T6_T7_T9_mT8_S1G_bDpT10_ENKUlT_T0_E_clISt17integral_constantIbLb0EES1U_EEDaS1P_S1Q_EUlS1P_E_NS1_11comp_targetILNS1_3genE4ELNS1_11target_archE910ELNS1_3gpuE8ELNS1_3repE0EEENS1_30default_config_static_selectorELNS0_4arch9wavefront6targetE1EEEvS12_.uses_vcc, 0
	.set _ZN7rocprim17ROCPRIM_400000_NS6detail17trampoline_kernelINS0_13select_configILj256ELj13ELNS0_17block_load_methodE3ELS4_3ELS4_3ELNS0_20block_scan_algorithmE0ELj4294967295EEENS1_25partition_config_selectorILNS1_17partition_subalgoE4EjNS0_10empty_typeEbEEZZNS1_14partition_implILS8_4ELb0ES6_15HIP_vector_typeIjLj2EENS0_17counting_iteratorIjlEEPS9_SG_NS0_5tupleIJPjSI_NS0_16reverse_iteratorISI_EEEEENSH_IJSG_SG_SG_EEES9_SI_JZNS1_25segmented_radix_sort_implINS0_14default_configELb1EPKbPbPKlPlN2at6native12_GLOBAL__N_18offset_tEEE10hipError_tPvRmT1_PNSt15iterator_traitsIS12_E10value_typeET2_T3_PNS13_IS18_E10value_typeET4_jRbjT5_S1E_jjP12ihipStream_tbEUljE_ZNSN_ISO_Lb1ESQ_SR_ST_SU_SY_EESZ_S10_S11_S12_S16_S17_S18_S1B_S1C_jS1D_jS1E_S1E_jjS1G_bEUljE0_EEESZ_S10_S11_S18_S1C_S1E_T6_T7_T9_mT8_S1G_bDpT10_ENKUlT_T0_E_clISt17integral_constantIbLb0EES1U_EEDaS1P_S1Q_EUlS1P_E_NS1_11comp_targetILNS1_3genE4ELNS1_11target_archE910ELNS1_3gpuE8ELNS1_3repE0EEENS1_30default_config_static_selectorELNS0_4arch9wavefront6targetE1EEEvS12_.uses_flat_scratch, 0
	.set _ZN7rocprim17ROCPRIM_400000_NS6detail17trampoline_kernelINS0_13select_configILj256ELj13ELNS0_17block_load_methodE3ELS4_3ELS4_3ELNS0_20block_scan_algorithmE0ELj4294967295EEENS1_25partition_config_selectorILNS1_17partition_subalgoE4EjNS0_10empty_typeEbEEZZNS1_14partition_implILS8_4ELb0ES6_15HIP_vector_typeIjLj2EENS0_17counting_iteratorIjlEEPS9_SG_NS0_5tupleIJPjSI_NS0_16reverse_iteratorISI_EEEEENSH_IJSG_SG_SG_EEES9_SI_JZNS1_25segmented_radix_sort_implINS0_14default_configELb1EPKbPbPKlPlN2at6native12_GLOBAL__N_18offset_tEEE10hipError_tPvRmT1_PNSt15iterator_traitsIS12_E10value_typeET2_T3_PNS13_IS18_E10value_typeET4_jRbjT5_S1E_jjP12ihipStream_tbEUljE_ZNSN_ISO_Lb1ESQ_SR_ST_SU_SY_EESZ_S10_S11_S12_S16_S17_S18_S1B_S1C_jS1D_jS1E_S1E_jjS1G_bEUljE0_EEESZ_S10_S11_S18_S1C_S1E_T6_T7_T9_mT8_S1G_bDpT10_ENKUlT_T0_E_clISt17integral_constantIbLb0EES1U_EEDaS1P_S1Q_EUlS1P_E_NS1_11comp_targetILNS1_3genE4ELNS1_11target_archE910ELNS1_3gpuE8ELNS1_3repE0EEENS1_30default_config_static_selectorELNS0_4arch9wavefront6targetE1EEEvS12_.has_dyn_sized_stack, 0
	.set _ZN7rocprim17ROCPRIM_400000_NS6detail17trampoline_kernelINS0_13select_configILj256ELj13ELNS0_17block_load_methodE3ELS4_3ELS4_3ELNS0_20block_scan_algorithmE0ELj4294967295EEENS1_25partition_config_selectorILNS1_17partition_subalgoE4EjNS0_10empty_typeEbEEZZNS1_14partition_implILS8_4ELb0ES6_15HIP_vector_typeIjLj2EENS0_17counting_iteratorIjlEEPS9_SG_NS0_5tupleIJPjSI_NS0_16reverse_iteratorISI_EEEEENSH_IJSG_SG_SG_EEES9_SI_JZNS1_25segmented_radix_sort_implINS0_14default_configELb1EPKbPbPKlPlN2at6native12_GLOBAL__N_18offset_tEEE10hipError_tPvRmT1_PNSt15iterator_traitsIS12_E10value_typeET2_T3_PNS13_IS18_E10value_typeET4_jRbjT5_S1E_jjP12ihipStream_tbEUljE_ZNSN_ISO_Lb1ESQ_SR_ST_SU_SY_EESZ_S10_S11_S12_S16_S17_S18_S1B_S1C_jS1D_jS1E_S1E_jjS1G_bEUljE0_EEESZ_S10_S11_S18_S1C_S1E_T6_T7_T9_mT8_S1G_bDpT10_ENKUlT_T0_E_clISt17integral_constantIbLb0EES1U_EEDaS1P_S1Q_EUlS1P_E_NS1_11comp_targetILNS1_3genE4ELNS1_11target_archE910ELNS1_3gpuE8ELNS1_3repE0EEENS1_30default_config_static_selectorELNS0_4arch9wavefront6targetE1EEEvS12_.has_recursion, 0
	.set _ZN7rocprim17ROCPRIM_400000_NS6detail17trampoline_kernelINS0_13select_configILj256ELj13ELNS0_17block_load_methodE3ELS4_3ELS4_3ELNS0_20block_scan_algorithmE0ELj4294967295EEENS1_25partition_config_selectorILNS1_17partition_subalgoE4EjNS0_10empty_typeEbEEZZNS1_14partition_implILS8_4ELb0ES6_15HIP_vector_typeIjLj2EENS0_17counting_iteratorIjlEEPS9_SG_NS0_5tupleIJPjSI_NS0_16reverse_iteratorISI_EEEEENSH_IJSG_SG_SG_EEES9_SI_JZNS1_25segmented_radix_sort_implINS0_14default_configELb1EPKbPbPKlPlN2at6native12_GLOBAL__N_18offset_tEEE10hipError_tPvRmT1_PNSt15iterator_traitsIS12_E10value_typeET2_T3_PNS13_IS18_E10value_typeET4_jRbjT5_S1E_jjP12ihipStream_tbEUljE_ZNSN_ISO_Lb1ESQ_SR_ST_SU_SY_EESZ_S10_S11_S12_S16_S17_S18_S1B_S1C_jS1D_jS1E_S1E_jjS1G_bEUljE0_EEESZ_S10_S11_S18_S1C_S1E_T6_T7_T9_mT8_S1G_bDpT10_ENKUlT_T0_E_clISt17integral_constantIbLb0EES1U_EEDaS1P_S1Q_EUlS1P_E_NS1_11comp_targetILNS1_3genE4ELNS1_11target_archE910ELNS1_3gpuE8ELNS1_3repE0EEENS1_30default_config_static_selectorELNS0_4arch9wavefront6targetE1EEEvS12_.has_indirect_call, 0
	.section	.AMDGPU.csdata,"",@progbits
; Kernel info:
; codeLenInByte = 0
; TotalNumSgprs: 4
; NumVgprs: 0
; ScratchSize: 0
; MemoryBound: 0
; FloatMode: 240
; IeeeMode: 1
; LDSByteSize: 0 bytes/workgroup (compile time only)
; SGPRBlocks: 0
; VGPRBlocks: 0
; NumSGPRsForWavesPerEU: 4
; NumVGPRsForWavesPerEU: 1
; Occupancy: 10
; WaveLimiterHint : 0
; COMPUTE_PGM_RSRC2:SCRATCH_EN: 0
; COMPUTE_PGM_RSRC2:USER_SGPR: 6
; COMPUTE_PGM_RSRC2:TRAP_HANDLER: 0
; COMPUTE_PGM_RSRC2:TGID_X_EN: 1
; COMPUTE_PGM_RSRC2:TGID_Y_EN: 0
; COMPUTE_PGM_RSRC2:TGID_Z_EN: 0
; COMPUTE_PGM_RSRC2:TIDIG_COMP_CNT: 0
	.section	.text._ZN7rocprim17ROCPRIM_400000_NS6detail17trampoline_kernelINS0_13select_configILj256ELj13ELNS0_17block_load_methodE3ELS4_3ELS4_3ELNS0_20block_scan_algorithmE0ELj4294967295EEENS1_25partition_config_selectorILNS1_17partition_subalgoE4EjNS0_10empty_typeEbEEZZNS1_14partition_implILS8_4ELb0ES6_15HIP_vector_typeIjLj2EENS0_17counting_iteratorIjlEEPS9_SG_NS0_5tupleIJPjSI_NS0_16reverse_iteratorISI_EEEEENSH_IJSG_SG_SG_EEES9_SI_JZNS1_25segmented_radix_sort_implINS0_14default_configELb1EPKbPbPKlPlN2at6native12_GLOBAL__N_18offset_tEEE10hipError_tPvRmT1_PNSt15iterator_traitsIS12_E10value_typeET2_T3_PNS13_IS18_E10value_typeET4_jRbjT5_S1E_jjP12ihipStream_tbEUljE_ZNSN_ISO_Lb1ESQ_SR_ST_SU_SY_EESZ_S10_S11_S12_S16_S17_S18_S1B_S1C_jS1D_jS1E_S1E_jjS1G_bEUljE0_EEESZ_S10_S11_S18_S1C_S1E_T6_T7_T9_mT8_S1G_bDpT10_ENKUlT_T0_E_clISt17integral_constantIbLb0EES1U_EEDaS1P_S1Q_EUlS1P_E_NS1_11comp_targetILNS1_3genE3ELNS1_11target_archE908ELNS1_3gpuE7ELNS1_3repE0EEENS1_30default_config_static_selectorELNS0_4arch9wavefront6targetE1EEEvS12_,"axG",@progbits,_ZN7rocprim17ROCPRIM_400000_NS6detail17trampoline_kernelINS0_13select_configILj256ELj13ELNS0_17block_load_methodE3ELS4_3ELS4_3ELNS0_20block_scan_algorithmE0ELj4294967295EEENS1_25partition_config_selectorILNS1_17partition_subalgoE4EjNS0_10empty_typeEbEEZZNS1_14partition_implILS8_4ELb0ES6_15HIP_vector_typeIjLj2EENS0_17counting_iteratorIjlEEPS9_SG_NS0_5tupleIJPjSI_NS0_16reverse_iteratorISI_EEEEENSH_IJSG_SG_SG_EEES9_SI_JZNS1_25segmented_radix_sort_implINS0_14default_configELb1EPKbPbPKlPlN2at6native12_GLOBAL__N_18offset_tEEE10hipError_tPvRmT1_PNSt15iterator_traitsIS12_E10value_typeET2_T3_PNS13_IS18_E10value_typeET4_jRbjT5_S1E_jjP12ihipStream_tbEUljE_ZNSN_ISO_Lb1ESQ_SR_ST_SU_SY_EESZ_S10_S11_S12_S16_S17_S18_S1B_S1C_jS1D_jS1E_S1E_jjS1G_bEUljE0_EEESZ_S10_S11_S18_S1C_S1E_T6_T7_T9_mT8_S1G_bDpT10_ENKUlT_T0_E_clISt17integral_constantIbLb0EES1U_EEDaS1P_S1Q_EUlS1P_E_NS1_11comp_targetILNS1_3genE3ELNS1_11target_archE908ELNS1_3gpuE7ELNS1_3repE0EEENS1_30default_config_static_selectorELNS0_4arch9wavefront6targetE1EEEvS12_,comdat
	.globl	_ZN7rocprim17ROCPRIM_400000_NS6detail17trampoline_kernelINS0_13select_configILj256ELj13ELNS0_17block_load_methodE3ELS4_3ELS4_3ELNS0_20block_scan_algorithmE0ELj4294967295EEENS1_25partition_config_selectorILNS1_17partition_subalgoE4EjNS0_10empty_typeEbEEZZNS1_14partition_implILS8_4ELb0ES6_15HIP_vector_typeIjLj2EENS0_17counting_iteratorIjlEEPS9_SG_NS0_5tupleIJPjSI_NS0_16reverse_iteratorISI_EEEEENSH_IJSG_SG_SG_EEES9_SI_JZNS1_25segmented_radix_sort_implINS0_14default_configELb1EPKbPbPKlPlN2at6native12_GLOBAL__N_18offset_tEEE10hipError_tPvRmT1_PNSt15iterator_traitsIS12_E10value_typeET2_T3_PNS13_IS18_E10value_typeET4_jRbjT5_S1E_jjP12ihipStream_tbEUljE_ZNSN_ISO_Lb1ESQ_SR_ST_SU_SY_EESZ_S10_S11_S12_S16_S17_S18_S1B_S1C_jS1D_jS1E_S1E_jjS1G_bEUljE0_EEESZ_S10_S11_S18_S1C_S1E_T6_T7_T9_mT8_S1G_bDpT10_ENKUlT_T0_E_clISt17integral_constantIbLb0EES1U_EEDaS1P_S1Q_EUlS1P_E_NS1_11comp_targetILNS1_3genE3ELNS1_11target_archE908ELNS1_3gpuE7ELNS1_3repE0EEENS1_30default_config_static_selectorELNS0_4arch9wavefront6targetE1EEEvS12_ ; -- Begin function _ZN7rocprim17ROCPRIM_400000_NS6detail17trampoline_kernelINS0_13select_configILj256ELj13ELNS0_17block_load_methodE3ELS4_3ELS4_3ELNS0_20block_scan_algorithmE0ELj4294967295EEENS1_25partition_config_selectorILNS1_17partition_subalgoE4EjNS0_10empty_typeEbEEZZNS1_14partition_implILS8_4ELb0ES6_15HIP_vector_typeIjLj2EENS0_17counting_iteratorIjlEEPS9_SG_NS0_5tupleIJPjSI_NS0_16reverse_iteratorISI_EEEEENSH_IJSG_SG_SG_EEES9_SI_JZNS1_25segmented_radix_sort_implINS0_14default_configELb1EPKbPbPKlPlN2at6native12_GLOBAL__N_18offset_tEEE10hipError_tPvRmT1_PNSt15iterator_traitsIS12_E10value_typeET2_T3_PNS13_IS18_E10value_typeET4_jRbjT5_S1E_jjP12ihipStream_tbEUljE_ZNSN_ISO_Lb1ESQ_SR_ST_SU_SY_EESZ_S10_S11_S12_S16_S17_S18_S1B_S1C_jS1D_jS1E_S1E_jjS1G_bEUljE0_EEESZ_S10_S11_S18_S1C_S1E_T6_T7_T9_mT8_S1G_bDpT10_ENKUlT_T0_E_clISt17integral_constantIbLb0EES1U_EEDaS1P_S1Q_EUlS1P_E_NS1_11comp_targetILNS1_3genE3ELNS1_11target_archE908ELNS1_3gpuE7ELNS1_3repE0EEENS1_30default_config_static_selectorELNS0_4arch9wavefront6targetE1EEEvS12_
	.p2align	8
	.type	_ZN7rocprim17ROCPRIM_400000_NS6detail17trampoline_kernelINS0_13select_configILj256ELj13ELNS0_17block_load_methodE3ELS4_3ELS4_3ELNS0_20block_scan_algorithmE0ELj4294967295EEENS1_25partition_config_selectorILNS1_17partition_subalgoE4EjNS0_10empty_typeEbEEZZNS1_14partition_implILS8_4ELb0ES6_15HIP_vector_typeIjLj2EENS0_17counting_iteratorIjlEEPS9_SG_NS0_5tupleIJPjSI_NS0_16reverse_iteratorISI_EEEEENSH_IJSG_SG_SG_EEES9_SI_JZNS1_25segmented_radix_sort_implINS0_14default_configELb1EPKbPbPKlPlN2at6native12_GLOBAL__N_18offset_tEEE10hipError_tPvRmT1_PNSt15iterator_traitsIS12_E10value_typeET2_T3_PNS13_IS18_E10value_typeET4_jRbjT5_S1E_jjP12ihipStream_tbEUljE_ZNSN_ISO_Lb1ESQ_SR_ST_SU_SY_EESZ_S10_S11_S12_S16_S17_S18_S1B_S1C_jS1D_jS1E_S1E_jjS1G_bEUljE0_EEESZ_S10_S11_S18_S1C_S1E_T6_T7_T9_mT8_S1G_bDpT10_ENKUlT_T0_E_clISt17integral_constantIbLb0EES1U_EEDaS1P_S1Q_EUlS1P_E_NS1_11comp_targetILNS1_3genE3ELNS1_11target_archE908ELNS1_3gpuE7ELNS1_3repE0EEENS1_30default_config_static_selectorELNS0_4arch9wavefront6targetE1EEEvS12_,@function
_ZN7rocprim17ROCPRIM_400000_NS6detail17trampoline_kernelINS0_13select_configILj256ELj13ELNS0_17block_load_methodE3ELS4_3ELS4_3ELNS0_20block_scan_algorithmE0ELj4294967295EEENS1_25partition_config_selectorILNS1_17partition_subalgoE4EjNS0_10empty_typeEbEEZZNS1_14partition_implILS8_4ELb0ES6_15HIP_vector_typeIjLj2EENS0_17counting_iteratorIjlEEPS9_SG_NS0_5tupleIJPjSI_NS0_16reverse_iteratorISI_EEEEENSH_IJSG_SG_SG_EEES9_SI_JZNS1_25segmented_radix_sort_implINS0_14default_configELb1EPKbPbPKlPlN2at6native12_GLOBAL__N_18offset_tEEE10hipError_tPvRmT1_PNSt15iterator_traitsIS12_E10value_typeET2_T3_PNS13_IS18_E10value_typeET4_jRbjT5_S1E_jjP12ihipStream_tbEUljE_ZNSN_ISO_Lb1ESQ_SR_ST_SU_SY_EESZ_S10_S11_S12_S16_S17_S18_S1B_S1C_jS1D_jS1E_S1E_jjS1G_bEUljE0_EEESZ_S10_S11_S18_S1C_S1E_T6_T7_T9_mT8_S1G_bDpT10_ENKUlT_T0_E_clISt17integral_constantIbLb0EES1U_EEDaS1P_S1Q_EUlS1P_E_NS1_11comp_targetILNS1_3genE3ELNS1_11target_archE908ELNS1_3gpuE7ELNS1_3repE0EEENS1_30default_config_static_selectorELNS0_4arch9wavefront6targetE1EEEvS12_: ; @_ZN7rocprim17ROCPRIM_400000_NS6detail17trampoline_kernelINS0_13select_configILj256ELj13ELNS0_17block_load_methodE3ELS4_3ELS4_3ELNS0_20block_scan_algorithmE0ELj4294967295EEENS1_25partition_config_selectorILNS1_17partition_subalgoE4EjNS0_10empty_typeEbEEZZNS1_14partition_implILS8_4ELb0ES6_15HIP_vector_typeIjLj2EENS0_17counting_iteratorIjlEEPS9_SG_NS0_5tupleIJPjSI_NS0_16reverse_iteratorISI_EEEEENSH_IJSG_SG_SG_EEES9_SI_JZNS1_25segmented_radix_sort_implINS0_14default_configELb1EPKbPbPKlPlN2at6native12_GLOBAL__N_18offset_tEEE10hipError_tPvRmT1_PNSt15iterator_traitsIS12_E10value_typeET2_T3_PNS13_IS18_E10value_typeET4_jRbjT5_S1E_jjP12ihipStream_tbEUljE_ZNSN_ISO_Lb1ESQ_SR_ST_SU_SY_EESZ_S10_S11_S12_S16_S17_S18_S1B_S1C_jS1D_jS1E_S1E_jjS1G_bEUljE0_EEESZ_S10_S11_S18_S1C_S1E_T6_T7_T9_mT8_S1G_bDpT10_ENKUlT_T0_E_clISt17integral_constantIbLb0EES1U_EEDaS1P_S1Q_EUlS1P_E_NS1_11comp_targetILNS1_3genE3ELNS1_11target_archE908ELNS1_3gpuE7ELNS1_3repE0EEENS1_30default_config_static_selectorELNS0_4arch9wavefront6targetE1EEEvS12_
; %bb.0:
	.section	.rodata,"a",@progbits
	.p2align	6, 0x0
	.amdhsa_kernel _ZN7rocprim17ROCPRIM_400000_NS6detail17trampoline_kernelINS0_13select_configILj256ELj13ELNS0_17block_load_methodE3ELS4_3ELS4_3ELNS0_20block_scan_algorithmE0ELj4294967295EEENS1_25partition_config_selectorILNS1_17partition_subalgoE4EjNS0_10empty_typeEbEEZZNS1_14partition_implILS8_4ELb0ES6_15HIP_vector_typeIjLj2EENS0_17counting_iteratorIjlEEPS9_SG_NS0_5tupleIJPjSI_NS0_16reverse_iteratorISI_EEEEENSH_IJSG_SG_SG_EEES9_SI_JZNS1_25segmented_radix_sort_implINS0_14default_configELb1EPKbPbPKlPlN2at6native12_GLOBAL__N_18offset_tEEE10hipError_tPvRmT1_PNSt15iterator_traitsIS12_E10value_typeET2_T3_PNS13_IS18_E10value_typeET4_jRbjT5_S1E_jjP12ihipStream_tbEUljE_ZNSN_ISO_Lb1ESQ_SR_ST_SU_SY_EESZ_S10_S11_S12_S16_S17_S18_S1B_S1C_jS1D_jS1E_S1E_jjS1G_bEUljE0_EEESZ_S10_S11_S18_S1C_S1E_T6_T7_T9_mT8_S1G_bDpT10_ENKUlT_T0_E_clISt17integral_constantIbLb0EES1U_EEDaS1P_S1Q_EUlS1P_E_NS1_11comp_targetILNS1_3genE3ELNS1_11target_archE908ELNS1_3gpuE7ELNS1_3repE0EEENS1_30default_config_static_selectorELNS0_4arch9wavefront6targetE1EEEvS12_
		.amdhsa_group_segment_fixed_size 0
		.amdhsa_private_segment_fixed_size 0
		.amdhsa_kernarg_size 176
		.amdhsa_user_sgpr_count 6
		.amdhsa_user_sgpr_private_segment_buffer 1
		.amdhsa_user_sgpr_dispatch_ptr 0
		.amdhsa_user_sgpr_queue_ptr 0
		.amdhsa_user_sgpr_kernarg_segment_ptr 1
		.amdhsa_user_sgpr_dispatch_id 0
		.amdhsa_user_sgpr_flat_scratch_init 0
		.amdhsa_user_sgpr_private_segment_size 0
		.amdhsa_uses_dynamic_stack 0
		.amdhsa_system_sgpr_private_segment_wavefront_offset 0
		.amdhsa_system_sgpr_workgroup_id_x 1
		.amdhsa_system_sgpr_workgroup_id_y 0
		.amdhsa_system_sgpr_workgroup_id_z 0
		.amdhsa_system_sgpr_workgroup_info 0
		.amdhsa_system_vgpr_workitem_id 0
		.amdhsa_next_free_vgpr 1
		.amdhsa_next_free_sgpr 0
		.amdhsa_reserve_vcc 0
		.amdhsa_reserve_flat_scratch 0
		.amdhsa_float_round_mode_32 0
		.amdhsa_float_round_mode_16_64 0
		.amdhsa_float_denorm_mode_32 3
		.amdhsa_float_denorm_mode_16_64 3
		.amdhsa_dx10_clamp 1
		.amdhsa_ieee_mode 1
		.amdhsa_fp16_overflow 0
		.amdhsa_exception_fp_ieee_invalid_op 0
		.amdhsa_exception_fp_denorm_src 0
		.amdhsa_exception_fp_ieee_div_zero 0
		.amdhsa_exception_fp_ieee_overflow 0
		.amdhsa_exception_fp_ieee_underflow 0
		.amdhsa_exception_fp_ieee_inexact 0
		.amdhsa_exception_int_div_zero 0
	.end_amdhsa_kernel
	.section	.text._ZN7rocprim17ROCPRIM_400000_NS6detail17trampoline_kernelINS0_13select_configILj256ELj13ELNS0_17block_load_methodE3ELS4_3ELS4_3ELNS0_20block_scan_algorithmE0ELj4294967295EEENS1_25partition_config_selectorILNS1_17partition_subalgoE4EjNS0_10empty_typeEbEEZZNS1_14partition_implILS8_4ELb0ES6_15HIP_vector_typeIjLj2EENS0_17counting_iteratorIjlEEPS9_SG_NS0_5tupleIJPjSI_NS0_16reverse_iteratorISI_EEEEENSH_IJSG_SG_SG_EEES9_SI_JZNS1_25segmented_radix_sort_implINS0_14default_configELb1EPKbPbPKlPlN2at6native12_GLOBAL__N_18offset_tEEE10hipError_tPvRmT1_PNSt15iterator_traitsIS12_E10value_typeET2_T3_PNS13_IS18_E10value_typeET4_jRbjT5_S1E_jjP12ihipStream_tbEUljE_ZNSN_ISO_Lb1ESQ_SR_ST_SU_SY_EESZ_S10_S11_S12_S16_S17_S18_S1B_S1C_jS1D_jS1E_S1E_jjS1G_bEUljE0_EEESZ_S10_S11_S18_S1C_S1E_T6_T7_T9_mT8_S1G_bDpT10_ENKUlT_T0_E_clISt17integral_constantIbLb0EES1U_EEDaS1P_S1Q_EUlS1P_E_NS1_11comp_targetILNS1_3genE3ELNS1_11target_archE908ELNS1_3gpuE7ELNS1_3repE0EEENS1_30default_config_static_selectorELNS0_4arch9wavefront6targetE1EEEvS12_,"axG",@progbits,_ZN7rocprim17ROCPRIM_400000_NS6detail17trampoline_kernelINS0_13select_configILj256ELj13ELNS0_17block_load_methodE3ELS4_3ELS4_3ELNS0_20block_scan_algorithmE0ELj4294967295EEENS1_25partition_config_selectorILNS1_17partition_subalgoE4EjNS0_10empty_typeEbEEZZNS1_14partition_implILS8_4ELb0ES6_15HIP_vector_typeIjLj2EENS0_17counting_iteratorIjlEEPS9_SG_NS0_5tupleIJPjSI_NS0_16reverse_iteratorISI_EEEEENSH_IJSG_SG_SG_EEES9_SI_JZNS1_25segmented_radix_sort_implINS0_14default_configELb1EPKbPbPKlPlN2at6native12_GLOBAL__N_18offset_tEEE10hipError_tPvRmT1_PNSt15iterator_traitsIS12_E10value_typeET2_T3_PNS13_IS18_E10value_typeET4_jRbjT5_S1E_jjP12ihipStream_tbEUljE_ZNSN_ISO_Lb1ESQ_SR_ST_SU_SY_EESZ_S10_S11_S12_S16_S17_S18_S1B_S1C_jS1D_jS1E_S1E_jjS1G_bEUljE0_EEESZ_S10_S11_S18_S1C_S1E_T6_T7_T9_mT8_S1G_bDpT10_ENKUlT_T0_E_clISt17integral_constantIbLb0EES1U_EEDaS1P_S1Q_EUlS1P_E_NS1_11comp_targetILNS1_3genE3ELNS1_11target_archE908ELNS1_3gpuE7ELNS1_3repE0EEENS1_30default_config_static_selectorELNS0_4arch9wavefront6targetE1EEEvS12_,comdat
.Lfunc_end1471:
	.size	_ZN7rocprim17ROCPRIM_400000_NS6detail17trampoline_kernelINS0_13select_configILj256ELj13ELNS0_17block_load_methodE3ELS4_3ELS4_3ELNS0_20block_scan_algorithmE0ELj4294967295EEENS1_25partition_config_selectorILNS1_17partition_subalgoE4EjNS0_10empty_typeEbEEZZNS1_14partition_implILS8_4ELb0ES6_15HIP_vector_typeIjLj2EENS0_17counting_iteratorIjlEEPS9_SG_NS0_5tupleIJPjSI_NS0_16reverse_iteratorISI_EEEEENSH_IJSG_SG_SG_EEES9_SI_JZNS1_25segmented_radix_sort_implINS0_14default_configELb1EPKbPbPKlPlN2at6native12_GLOBAL__N_18offset_tEEE10hipError_tPvRmT1_PNSt15iterator_traitsIS12_E10value_typeET2_T3_PNS13_IS18_E10value_typeET4_jRbjT5_S1E_jjP12ihipStream_tbEUljE_ZNSN_ISO_Lb1ESQ_SR_ST_SU_SY_EESZ_S10_S11_S12_S16_S17_S18_S1B_S1C_jS1D_jS1E_S1E_jjS1G_bEUljE0_EEESZ_S10_S11_S18_S1C_S1E_T6_T7_T9_mT8_S1G_bDpT10_ENKUlT_T0_E_clISt17integral_constantIbLb0EES1U_EEDaS1P_S1Q_EUlS1P_E_NS1_11comp_targetILNS1_3genE3ELNS1_11target_archE908ELNS1_3gpuE7ELNS1_3repE0EEENS1_30default_config_static_selectorELNS0_4arch9wavefront6targetE1EEEvS12_, .Lfunc_end1471-_ZN7rocprim17ROCPRIM_400000_NS6detail17trampoline_kernelINS0_13select_configILj256ELj13ELNS0_17block_load_methodE3ELS4_3ELS4_3ELNS0_20block_scan_algorithmE0ELj4294967295EEENS1_25partition_config_selectorILNS1_17partition_subalgoE4EjNS0_10empty_typeEbEEZZNS1_14partition_implILS8_4ELb0ES6_15HIP_vector_typeIjLj2EENS0_17counting_iteratorIjlEEPS9_SG_NS0_5tupleIJPjSI_NS0_16reverse_iteratorISI_EEEEENSH_IJSG_SG_SG_EEES9_SI_JZNS1_25segmented_radix_sort_implINS0_14default_configELb1EPKbPbPKlPlN2at6native12_GLOBAL__N_18offset_tEEE10hipError_tPvRmT1_PNSt15iterator_traitsIS12_E10value_typeET2_T3_PNS13_IS18_E10value_typeET4_jRbjT5_S1E_jjP12ihipStream_tbEUljE_ZNSN_ISO_Lb1ESQ_SR_ST_SU_SY_EESZ_S10_S11_S12_S16_S17_S18_S1B_S1C_jS1D_jS1E_S1E_jjS1G_bEUljE0_EEESZ_S10_S11_S18_S1C_S1E_T6_T7_T9_mT8_S1G_bDpT10_ENKUlT_T0_E_clISt17integral_constantIbLb0EES1U_EEDaS1P_S1Q_EUlS1P_E_NS1_11comp_targetILNS1_3genE3ELNS1_11target_archE908ELNS1_3gpuE7ELNS1_3repE0EEENS1_30default_config_static_selectorELNS0_4arch9wavefront6targetE1EEEvS12_
                                        ; -- End function
	.set _ZN7rocprim17ROCPRIM_400000_NS6detail17trampoline_kernelINS0_13select_configILj256ELj13ELNS0_17block_load_methodE3ELS4_3ELS4_3ELNS0_20block_scan_algorithmE0ELj4294967295EEENS1_25partition_config_selectorILNS1_17partition_subalgoE4EjNS0_10empty_typeEbEEZZNS1_14partition_implILS8_4ELb0ES6_15HIP_vector_typeIjLj2EENS0_17counting_iteratorIjlEEPS9_SG_NS0_5tupleIJPjSI_NS0_16reverse_iteratorISI_EEEEENSH_IJSG_SG_SG_EEES9_SI_JZNS1_25segmented_radix_sort_implINS0_14default_configELb1EPKbPbPKlPlN2at6native12_GLOBAL__N_18offset_tEEE10hipError_tPvRmT1_PNSt15iterator_traitsIS12_E10value_typeET2_T3_PNS13_IS18_E10value_typeET4_jRbjT5_S1E_jjP12ihipStream_tbEUljE_ZNSN_ISO_Lb1ESQ_SR_ST_SU_SY_EESZ_S10_S11_S12_S16_S17_S18_S1B_S1C_jS1D_jS1E_S1E_jjS1G_bEUljE0_EEESZ_S10_S11_S18_S1C_S1E_T6_T7_T9_mT8_S1G_bDpT10_ENKUlT_T0_E_clISt17integral_constantIbLb0EES1U_EEDaS1P_S1Q_EUlS1P_E_NS1_11comp_targetILNS1_3genE3ELNS1_11target_archE908ELNS1_3gpuE7ELNS1_3repE0EEENS1_30default_config_static_selectorELNS0_4arch9wavefront6targetE1EEEvS12_.num_vgpr, 0
	.set _ZN7rocprim17ROCPRIM_400000_NS6detail17trampoline_kernelINS0_13select_configILj256ELj13ELNS0_17block_load_methodE3ELS4_3ELS4_3ELNS0_20block_scan_algorithmE0ELj4294967295EEENS1_25partition_config_selectorILNS1_17partition_subalgoE4EjNS0_10empty_typeEbEEZZNS1_14partition_implILS8_4ELb0ES6_15HIP_vector_typeIjLj2EENS0_17counting_iteratorIjlEEPS9_SG_NS0_5tupleIJPjSI_NS0_16reverse_iteratorISI_EEEEENSH_IJSG_SG_SG_EEES9_SI_JZNS1_25segmented_radix_sort_implINS0_14default_configELb1EPKbPbPKlPlN2at6native12_GLOBAL__N_18offset_tEEE10hipError_tPvRmT1_PNSt15iterator_traitsIS12_E10value_typeET2_T3_PNS13_IS18_E10value_typeET4_jRbjT5_S1E_jjP12ihipStream_tbEUljE_ZNSN_ISO_Lb1ESQ_SR_ST_SU_SY_EESZ_S10_S11_S12_S16_S17_S18_S1B_S1C_jS1D_jS1E_S1E_jjS1G_bEUljE0_EEESZ_S10_S11_S18_S1C_S1E_T6_T7_T9_mT8_S1G_bDpT10_ENKUlT_T0_E_clISt17integral_constantIbLb0EES1U_EEDaS1P_S1Q_EUlS1P_E_NS1_11comp_targetILNS1_3genE3ELNS1_11target_archE908ELNS1_3gpuE7ELNS1_3repE0EEENS1_30default_config_static_selectorELNS0_4arch9wavefront6targetE1EEEvS12_.num_agpr, 0
	.set _ZN7rocprim17ROCPRIM_400000_NS6detail17trampoline_kernelINS0_13select_configILj256ELj13ELNS0_17block_load_methodE3ELS4_3ELS4_3ELNS0_20block_scan_algorithmE0ELj4294967295EEENS1_25partition_config_selectorILNS1_17partition_subalgoE4EjNS0_10empty_typeEbEEZZNS1_14partition_implILS8_4ELb0ES6_15HIP_vector_typeIjLj2EENS0_17counting_iteratorIjlEEPS9_SG_NS0_5tupleIJPjSI_NS0_16reverse_iteratorISI_EEEEENSH_IJSG_SG_SG_EEES9_SI_JZNS1_25segmented_radix_sort_implINS0_14default_configELb1EPKbPbPKlPlN2at6native12_GLOBAL__N_18offset_tEEE10hipError_tPvRmT1_PNSt15iterator_traitsIS12_E10value_typeET2_T3_PNS13_IS18_E10value_typeET4_jRbjT5_S1E_jjP12ihipStream_tbEUljE_ZNSN_ISO_Lb1ESQ_SR_ST_SU_SY_EESZ_S10_S11_S12_S16_S17_S18_S1B_S1C_jS1D_jS1E_S1E_jjS1G_bEUljE0_EEESZ_S10_S11_S18_S1C_S1E_T6_T7_T9_mT8_S1G_bDpT10_ENKUlT_T0_E_clISt17integral_constantIbLb0EES1U_EEDaS1P_S1Q_EUlS1P_E_NS1_11comp_targetILNS1_3genE3ELNS1_11target_archE908ELNS1_3gpuE7ELNS1_3repE0EEENS1_30default_config_static_selectorELNS0_4arch9wavefront6targetE1EEEvS12_.numbered_sgpr, 0
	.set _ZN7rocprim17ROCPRIM_400000_NS6detail17trampoline_kernelINS0_13select_configILj256ELj13ELNS0_17block_load_methodE3ELS4_3ELS4_3ELNS0_20block_scan_algorithmE0ELj4294967295EEENS1_25partition_config_selectorILNS1_17partition_subalgoE4EjNS0_10empty_typeEbEEZZNS1_14partition_implILS8_4ELb0ES6_15HIP_vector_typeIjLj2EENS0_17counting_iteratorIjlEEPS9_SG_NS0_5tupleIJPjSI_NS0_16reverse_iteratorISI_EEEEENSH_IJSG_SG_SG_EEES9_SI_JZNS1_25segmented_radix_sort_implINS0_14default_configELb1EPKbPbPKlPlN2at6native12_GLOBAL__N_18offset_tEEE10hipError_tPvRmT1_PNSt15iterator_traitsIS12_E10value_typeET2_T3_PNS13_IS18_E10value_typeET4_jRbjT5_S1E_jjP12ihipStream_tbEUljE_ZNSN_ISO_Lb1ESQ_SR_ST_SU_SY_EESZ_S10_S11_S12_S16_S17_S18_S1B_S1C_jS1D_jS1E_S1E_jjS1G_bEUljE0_EEESZ_S10_S11_S18_S1C_S1E_T6_T7_T9_mT8_S1G_bDpT10_ENKUlT_T0_E_clISt17integral_constantIbLb0EES1U_EEDaS1P_S1Q_EUlS1P_E_NS1_11comp_targetILNS1_3genE3ELNS1_11target_archE908ELNS1_3gpuE7ELNS1_3repE0EEENS1_30default_config_static_selectorELNS0_4arch9wavefront6targetE1EEEvS12_.num_named_barrier, 0
	.set _ZN7rocprim17ROCPRIM_400000_NS6detail17trampoline_kernelINS0_13select_configILj256ELj13ELNS0_17block_load_methodE3ELS4_3ELS4_3ELNS0_20block_scan_algorithmE0ELj4294967295EEENS1_25partition_config_selectorILNS1_17partition_subalgoE4EjNS0_10empty_typeEbEEZZNS1_14partition_implILS8_4ELb0ES6_15HIP_vector_typeIjLj2EENS0_17counting_iteratorIjlEEPS9_SG_NS0_5tupleIJPjSI_NS0_16reverse_iteratorISI_EEEEENSH_IJSG_SG_SG_EEES9_SI_JZNS1_25segmented_radix_sort_implINS0_14default_configELb1EPKbPbPKlPlN2at6native12_GLOBAL__N_18offset_tEEE10hipError_tPvRmT1_PNSt15iterator_traitsIS12_E10value_typeET2_T3_PNS13_IS18_E10value_typeET4_jRbjT5_S1E_jjP12ihipStream_tbEUljE_ZNSN_ISO_Lb1ESQ_SR_ST_SU_SY_EESZ_S10_S11_S12_S16_S17_S18_S1B_S1C_jS1D_jS1E_S1E_jjS1G_bEUljE0_EEESZ_S10_S11_S18_S1C_S1E_T6_T7_T9_mT8_S1G_bDpT10_ENKUlT_T0_E_clISt17integral_constantIbLb0EES1U_EEDaS1P_S1Q_EUlS1P_E_NS1_11comp_targetILNS1_3genE3ELNS1_11target_archE908ELNS1_3gpuE7ELNS1_3repE0EEENS1_30default_config_static_selectorELNS0_4arch9wavefront6targetE1EEEvS12_.private_seg_size, 0
	.set _ZN7rocprim17ROCPRIM_400000_NS6detail17trampoline_kernelINS0_13select_configILj256ELj13ELNS0_17block_load_methodE3ELS4_3ELS4_3ELNS0_20block_scan_algorithmE0ELj4294967295EEENS1_25partition_config_selectorILNS1_17partition_subalgoE4EjNS0_10empty_typeEbEEZZNS1_14partition_implILS8_4ELb0ES6_15HIP_vector_typeIjLj2EENS0_17counting_iteratorIjlEEPS9_SG_NS0_5tupleIJPjSI_NS0_16reverse_iteratorISI_EEEEENSH_IJSG_SG_SG_EEES9_SI_JZNS1_25segmented_radix_sort_implINS0_14default_configELb1EPKbPbPKlPlN2at6native12_GLOBAL__N_18offset_tEEE10hipError_tPvRmT1_PNSt15iterator_traitsIS12_E10value_typeET2_T3_PNS13_IS18_E10value_typeET4_jRbjT5_S1E_jjP12ihipStream_tbEUljE_ZNSN_ISO_Lb1ESQ_SR_ST_SU_SY_EESZ_S10_S11_S12_S16_S17_S18_S1B_S1C_jS1D_jS1E_S1E_jjS1G_bEUljE0_EEESZ_S10_S11_S18_S1C_S1E_T6_T7_T9_mT8_S1G_bDpT10_ENKUlT_T0_E_clISt17integral_constantIbLb0EES1U_EEDaS1P_S1Q_EUlS1P_E_NS1_11comp_targetILNS1_3genE3ELNS1_11target_archE908ELNS1_3gpuE7ELNS1_3repE0EEENS1_30default_config_static_selectorELNS0_4arch9wavefront6targetE1EEEvS12_.uses_vcc, 0
	.set _ZN7rocprim17ROCPRIM_400000_NS6detail17trampoline_kernelINS0_13select_configILj256ELj13ELNS0_17block_load_methodE3ELS4_3ELS4_3ELNS0_20block_scan_algorithmE0ELj4294967295EEENS1_25partition_config_selectorILNS1_17partition_subalgoE4EjNS0_10empty_typeEbEEZZNS1_14partition_implILS8_4ELb0ES6_15HIP_vector_typeIjLj2EENS0_17counting_iteratorIjlEEPS9_SG_NS0_5tupleIJPjSI_NS0_16reverse_iteratorISI_EEEEENSH_IJSG_SG_SG_EEES9_SI_JZNS1_25segmented_radix_sort_implINS0_14default_configELb1EPKbPbPKlPlN2at6native12_GLOBAL__N_18offset_tEEE10hipError_tPvRmT1_PNSt15iterator_traitsIS12_E10value_typeET2_T3_PNS13_IS18_E10value_typeET4_jRbjT5_S1E_jjP12ihipStream_tbEUljE_ZNSN_ISO_Lb1ESQ_SR_ST_SU_SY_EESZ_S10_S11_S12_S16_S17_S18_S1B_S1C_jS1D_jS1E_S1E_jjS1G_bEUljE0_EEESZ_S10_S11_S18_S1C_S1E_T6_T7_T9_mT8_S1G_bDpT10_ENKUlT_T0_E_clISt17integral_constantIbLb0EES1U_EEDaS1P_S1Q_EUlS1P_E_NS1_11comp_targetILNS1_3genE3ELNS1_11target_archE908ELNS1_3gpuE7ELNS1_3repE0EEENS1_30default_config_static_selectorELNS0_4arch9wavefront6targetE1EEEvS12_.uses_flat_scratch, 0
	.set _ZN7rocprim17ROCPRIM_400000_NS6detail17trampoline_kernelINS0_13select_configILj256ELj13ELNS0_17block_load_methodE3ELS4_3ELS4_3ELNS0_20block_scan_algorithmE0ELj4294967295EEENS1_25partition_config_selectorILNS1_17partition_subalgoE4EjNS0_10empty_typeEbEEZZNS1_14partition_implILS8_4ELb0ES6_15HIP_vector_typeIjLj2EENS0_17counting_iteratorIjlEEPS9_SG_NS0_5tupleIJPjSI_NS0_16reverse_iteratorISI_EEEEENSH_IJSG_SG_SG_EEES9_SI_JZNS1_25segmented_radix_sort_implINS0_14default_configELb1EPKbPbPKlPlN2at6native12_GLOBAL__N_18offset_tEEE10hipError_tPvRmT1_PNSt15iterator_traitsIS12_E10value_typeET2_T3_PNS13_IS18_E10value_typeET4_jRbjT5_S1E_jjP12ihipStream_tbEUljE_ZNSN_ISO_Lb1ESQ_SR_ST_SU_SY_EESZ_S10_S11_S12_S16_S17_S18_S1B_S1C_jS1D_jS1E_S1E_jjS1G_bEUljE0_EEESZ_S10_S11_S18_S1C_S1E_T6_T7_T9_mT8_S1G_bDpT10_ENKUlT_T0_E_clISt17integral_constantIbLb0EES1U_EEDaS1P_S1Q_EUlS1P_E_NS1_11comp_targetILNS1_3genE3ELNS1_11target_archE908ELNS1_3gpuE7ELNS1_3repE0EEENS1_30default_config_static_selectorELNS0_4arch9wavefront6targetE1EEEvS12_.has_dyn_sized_stack, 0
	.set _ZN7rocprim17ROCPRIM_400000_NS6detail17trampoline_kernelINS0_13select_configILj256ELj13ELNS0_17block_load_methodE3ELS4_3ELS4_3ELNS0_20block_scan_algorithmE0ELj4294967295EEENS1_25partition_config_selectorILNS1_17partition_subalgoE4EjNS0_10empty_typeEbEEZZNS1_14partition_implILS8_4ELb0ES6_15HIP_vector_typeIjLj2EENS0_17counting_iteratorIjlEEPS9_SG_NS0_5tupleIJPjSI_NS0_16reverse_iteratorISI_EEEEENSH_IJSG_SG_SG_EEES9_SI_JZNS1_25segmented_radix_sort_implINS0_14default_configELb1EPKbPbPKlPlN2at6native12_GLOBAL__N_18offset_tEEE10hipError_tPvRmT1_PNSt15iterator_traitsIS12_E10value_typeET2_T3_PNS13_IS18_E10value_typeET4_jRbjT5_S1E_jjP12ihipStream_tbEUljE_ZNSN_ISO_Lb1ESQ_SR_ST_SU_SY_EESZ_S10_S11_S12_S16_S17_S18_S1B_S1C_jS1D_jS1E_S1E_jjS1G_bEUljE0_EEESZ_S10_S11_S18_S1C_S1E_T6_T7_T9_mT8_S1G_bDpT10_ENKUlT_T0_E_clISt17integral_constantIbLb0EES1U_EEDaS1P_S1Q_EUlS1P_E_NS1_11comp_targetILNS1_3genE3ELNS1_11target_archE908ELNS1_3gpuE7ELNS1_3repE0EEENS1_30default_config_static_selectorELNS0_4arch9wavefront6targetE1EEEvS12_.has_recursion, 0
	.set _ZN7rocprim17ROCPRIM_400000_NS6detail17trampoline_kernelINS0_13select_configILj256ELj13ELNS0_17block_load_methodE3ELS4_3ELS4_3ELNS0_20block_scan_algorithmE0ELj4294967295EEENS1_25partition_config_selectorILNS1_17partition_subalgoE4EjNS0_10empty_typeEbEEZZNS1_14partition_implILS8_4ELb0ES6_15HIP_vector_typeIjLj2EENS0_17counting_iteratorIjlEEPS9_SG_NS0_5tupleIJPjSI_NS0_16reverse_iteratorISI_EEEEENSH_IJSG_SG_SG_EEES9_SI_JZNS1_25segmented_radix_sort_implINS0_14default_configELb1EPKbPbPKlPlN2at6native12_GLOBAL__N_18offset_tEEE10hipError_tPvRmT1_PNSt15iterator_traitsIS12_E10value_typeET2_T3_PNS13_IS18_E10value_typeET4_jRbjT5_S1E_jjP12ihipStream_tbEUljE_ZNSN_ISO_Lb1ESQ_SR_ST_SU_SY_EESZ_S10_S11_S12_S16_S17_S18_S1B_S1C_jS1D_jS1E_S1E_jjS1G_bEUljE0_EEESZ_S10_S11_S18_S1C_S1E_T6_T7_T9_mT8_S1G_bDpT10_ENKUlT_T0_E_clISt17integral_constantIbLb0EES1U_EEDaS1P_S1Q_EUlS1P_E_NS1_11comp_targetILNS1_3genE3ELNS1_11target_archE908ELNS1_3gpuE7ELNS1_3repE0EEENS1_30default_config_static_selectorELNS0_4arch9wavefront6targetE1EEEvS12_.has_indirect_call, 0
	.section	.AMDGPU.csdata,"",@progbits
; Kernel info:
; codeLenInByte = 0
; TotalNumSgprs: 4
; NumVgprs: 0
; ScratchSize: 0
; MemoryBound: 0
; FloatMode: 240
; IeeeMode: 1
; LDSByteSize: 0 bytes/workgroup (compile time only)
; SGPRBlocks: 0
; VGPRBlocks: 0
; NumSGPRsForWavesPerEU: 4
; NumVGPRsForWavesPerEU: 1
; Occupancy: 10
; WaveLimiterHint : 0
; COMPUTE_PGM_RSRC2:SCRATCH_EN: 0
; COMPUTE_PGM_RSRC2:USER_SGPR: 6
; COMPUTE_PGM_RSRC2:TRAP_HANDLER: 0
; COMPUTE_PGM_RSRC2:TGID_X_EN: 1
; COMPUTE_PGM_RSRC2:TGID_Y_EN: 0
; COMPUTE_PGM_RSRC2:TGID_Z_EN: 0
; COMPUTE_PGM_RSRC2:TIDIG_COMP_CNT: 0
	.section	.text._ZN7rocprim17ROCPRIM_400000_NS6detail17trampoline_kernelINS0_13select_configILj256ELj13ELNS0_17block_load_methodE3ELS4_3ELS4_3ELNS0_20block_scan_algorithmE0ELj4294967295EEENS1_25partition_config_selectorILNS1_17partition_subalgoE4EjNS0_10empty_typeEbEEZZNS1_14partition_implILS8_4ELb0ES6_15HIP_vector_typeIjLj2EENS0_17counting_iteratorIjlEEPS9_SG_NS0_5tupleIJPjSI_NS0_16reverse_iteratorISI_EEEEENSH_IJSG_SG_SG_EEES9_SI_JZNS1_25segmented_radix_sort_implINS0_14default_configELb1EPKbPbPKlPlN2at6native12_GLOBAL__N_18offset_tEEE10hipError_tPvRmT1_PNSt15iterator_traitsIS12_E10value_typeET2_T3_PNS13_IS18_E10value_typeET4_jRbjT5_S1E_jjP12ihipStream_tbEUljE_ZNSN_ISO_Lb1ESQ_SR_ST_SU_SY_EESZ_S10_S11_S12_S16_S17_S18_S1B_S1C_jS1D_jS1E_S1E_jjS1G_bEUljE0_EEESZ_S10_S11_S18_S1C_S1E_T6_T7_T9_mT8_S1G_bDpT10_ENKUlT_T0_E_clISt17integral_constantIbLb0EES1U_EEDaS1P_S1Q_EUlS1P_E_NS1_11comp_targetILNS1_3genE2ELNS1_11target_archE906ELNS1_3gpuE6ELNS1_3repE0EEENS1_30default_config_static_selectorELNS0_4arch9wavefront6targetE1EEEvS12_,"axG",@progbits,_ZN7rocprim17ROCPRIM_400000_NS6detail17trampoline_kernelINS0_13select_configILj256ELj13ELNS0_17block_load_methodE3ELS4_3ELS4_3ELNS0_20block_scan_algorithmE0ELj4294967295EEENS1_25partition_config_selectorILNS1_17partition_subalgoE4EjNS0_10empty_typeEbEEZZNS1_14partition_implILS8_4ELb0ES6_15HIP_vector_typeIjLj2EENS0_17counting_iteratorIjlEEPS9_SG_NS0_5tupleIJPjSI_NS0_16reverse_iteratorISI_EEEEENSH_IJSG_SG_SG_EEES9_SI_JZNS1_25segmented_radix_sort_implINS0_14default_configELb1EPKbPbPKlPlN2at6native12_GLOBAL__N_18offset_tEEE10hipError_tPvRmT1_PNSt15iterator_traitsIS12_E10value_typeET2_T3_PNS13_IS18_E10value_typeET4_jRbjT5_S1E_jjP12ihipStream_tbEUljE_ZNSN_ISO_Lb1ESQ_SR_ST_SU_SY_EESZ_S10_S11_S12_S16_S17_S18_S1B_S1C_jS1D_jS1E_S1E_jjS1G_bEUljE0_EEESZ_S10_S11_S18_S1C_S1E_T6_T7_T9_mT8_S1G_bDpT10_ENKUlT_T0_E_clISt17integral_constantIbLb0EES1U_EEDaS1P_S1Q_EUlS1P_E_NS1_11comp_targetILNS1_3genE2ELNS1_11target_archE906ELNS1_3gpuE6ELNS1_3repE0EEENS1_30default_config_static_selectorELNS0_4arch9wavefront6targetE1EEEvS12_,comdat
	.globl	_ZN7rocprim17ROCPRIM_400000_NS6detail17trampoline_kernelINS0_13select_configILj256ELj13ELNS0_17block_load_methodE3ELS4_3ELS4_3ELNS0_20block_scan_algorithmE0ELj4294967295EEENS1_25partition_config_selectorILNS1_17partition_subalgoE4EjNS0_10empty_typeEbEEZZNS1_14partition_implILS8_4ELb0ES6_15HIP_vector_typeIjLj2EENS0_17counting_iteratorIjlEEPS9_SG_NS0_5tupleIJPjSI_NS0_16reverse_iteratorISI_EEEEENSH_IJSG_SG_SG_EEES9_SI_JZNS1_25segmented_radix_sort_implINS0_14default_configELb1EPKbPbPKlPlN2at6native12_GLOBAL__N_18offset_tEEE10hipError_tPvRmT1_PNSt15iterator_traitsIS12_E10value_typeET2_T3_PNS13_IS18_E10value_typeET4_jRbjT5_S1E_jjP12ihipStream_tbEUljE_ZNSN_ISO_Lb1ESQ_SR_ST_SU_SY_EESZ_S10_S11_S12_S16_S17_S18_S1B_S1C_jS1D_jS1E_S1E_jjS1G_bEUljE0_EEESZ_S10_S11_S18_S1C_S1E_T6_T7_T9_mT8_S1G_bDpT10_ENKUlT_T0_E_clISt17integral_constantIbLb0EES1U_EEDaS1P_S1Q_EUlS1P_E_NS1_11comp_targetILNS1_3genE2ELNS1_11target_archE906ELNS1_3gpuE6ELNS1_3repE0EEENS1_30default_config_static_selectorELNS0_4arch9wavefront6targetE1EEEvS12_ ; -- Begin function _ZN7rocprim17ROCPRIM_400000_NS6detail17trampoline_kernelINS0_13select_configILj256ELj13ELNS0_17block_load_methodE3ELS4_3ELS4_3ELNS0_20block_scan_algorithmE0ELj4294967295EEENS1_25partition_config_selectorILNS1_17partition_subalgoE4EjNS0_10empty_typeEbEEZZNS1_14partition_implILS8_4ELb0ES6_15HIP_vector_typeIjLj2EENS0_17counting_iteratorIjlEEPS9_SG_NS0_5tupleIJPjSI_NS0_16reverse_iteratorISI_EEEEENSH_IJSG_SG_SG_EEES9_SI_JZNS1_25segmented_radix_sort_implINS0_14default_configELb1EPKbPbPKlPlN2at6native12_GLOBAL__N_18offset_tEEE10hipError_tPvRmT1_PNSt15iterator_traitsIS12_E10value_typeET2_T3_PNS13_IS18_E10value_typeET4_jRbjT5_S1E_jjP12ihipStream_tbEUljE_ZNSN_ISO_Lb1ESQ_SR_ST_SU_SY_EESZ_S10_S11_S12_S16_S17_S18_S1B_S1C_jS1D_jS1E_S1E_jjS1G_bEUljE0_EEESZ_S10_S11_S18_S1C_S1E_T6_T7_T9_mT8_S1G_bDpT10_ENKUlT_T0_E_clISt17integral_constantIbLb0EES1U_EEDaS1P_S1Q_EUlS1P_E_NS1_11comp_targetILNS1_3genE2ELNS1_11target_archE906ELNS1_3gpuE6ELNS1_3repE0EEENS1_30default_config_static_selectorELNS0_4arch9wavefront6targetE1EEEvS12_
	.p2align	8
	.type	_ZN7rocprim17ROCPRIM_400000_NS6detail17trampoline_kernelINS0_13select_configILj256ELj13ELNS0_17block_load_methodE3ELS4_3ELS4_3ELNS0_20block_scan_algorithmE0ELj4294967295EEENS1_25partition_config_selectorILNS1_17partition_subalgoE4EjNS0_10empty_typeEbEEZZNS1_14partition_implILS8_4ELb0ES6_15HIP_vector_typeIjLj2EENS0_17counting_iteratorIjlEEPS9_SG_NS0_5tupleIJPjSI_NS0_16reverse_iteratorISI_EEEEENSH_IJSG_SG_SG_EEES9_SI_JZNS1_25segmented_radix_sort_implINS0_14default_configELb1EPKbPbPKlPlN2at6native12_GLOBAL__N_18offset_tEEE10hipError_tPvRmT1_PNSt15iterator_traitsIS12_E10value_typeET2_T3_PNS13_IS18_E10value_typeET4_jRbjT5_S1E_jjP12ihipStream_tbEUljE_ZNSN_ISO_Lb1ESQ_SR_ST_SU_SY_EESZ_S10_S11_S12_S16_S17_S18_S1B_S1C_jS1D_jS1E_S1E_jjS1G_bEUljE0_EEESZ_S10_S11_S18_S1C_S1E_T6_T7_T9_mT8_S1G_bDpT10_ENKUlT_T0_E_clISt17integral_constantIbLb0EES1U_EEDaS1P_S1Q_EUlS1P_E_NS1_11comp_targetILNS1_3genE2ELNS1_11target_archE906ELNS1_3gpuE6ELNS1_3repE0EEENS1_30default_config_static_selectorELNS0_4arch9wavefront6targetE1EEEvS12_,@function
_ZN7rocprim17ROCPRIM_400000_NS6detail17trampoline_kernelINS0_13select_configILj256ELj13ELNS0_17block_load_methodE3ELS4_3ELS4_3ELNS0_20block_scan_algorithmE0ELj4294967295EEENS1_25partition_config_selectorILNS1_17partition_subalgoE4EjNS0_10empty_typeEbEEZZNS1_14partition_implILS8_4ELb0ES6_15HIP_vector_typeIjLj2EENS0_17counting_iteratorIjlEEPS9_SG_NS0_5tupleIJPjSI_NS0_16reverse_iteratorISI_EEEEENSH_IJSG_SG_SG_EEES9_SI_JZNS1_25segmented_radix_sort_implINS0_14default_configELb1EPKbPbPKlPlN2at6native12_GLOBAL__N_18offset_tEEE10hipError_tPvRmT1_PNSt15iterator_traitsIS12_E10value_typeET2_T3_PNS13_IS18_E10value_typeET4_jRbjT5_S1E_jjP12ihipStream_tbEUljE_ZNSN_ISO_Lb1ESQ_SR_ST_SU_SY_EESZ_S10_S11_S12_S16_S17_S18_S1B_S1C_jS1D_jS1E_S1E_jjS1G_bEUljE0_EEESZ_S10_S11_S18_S1C_S1E_T6_T7_T9_mT8_S1G_bDpT10_ENKUlT_T0_E_clISt17integral_constantIbLb0EES1U_EEDaS1P_S1Q_EUlS1P_E_NS1_11comp_targetILNS1_3genE2ELNS1_11target_archE906ELNS1_3gpuE6ELNS1_3repE0EEENS1_30default_config_static_selectorELNS0_4arch9wavefront6targetE1EEEvS12_: ; @_ZN7rocprim17ROCPRIM_400000_NS6detail17trampoline_kernelINS0_13select_configILj256ELj13ELNS0_17block_load_methodE3ELS4_3ELS4_3ELNS0_20block_scan_algorithmE0ELj4294967295EEENS1_25partition_config_selectorILNS1_17partition_subalgoE4EjNS0_10empty_typeEbEEZZNS1_14partition_implILS8_4ELb0ES6_15HIP_vector_typeIjLj2EENS0_17counting_iteratorIjlEEPS9_SG_NS0_5tupleIJPjSI_NS0_16reverse_iteratorISI_EEEEENSH_IJSG_SG_SG_EEES9_SI_JZNS1_25segmented_radix_sort_implINS0_14default_configELb1EPKbPbPKlPlN2at6native12_GLOBAL__N_18offset_tEEE10hipError_tPvRmT1_PNSt15iterator_traitsIS12_E10value_typeET2_T3_PNS13_IS18_E10value_typeET4_jRbjT5_S1E_jjP12ihipStream_tbEUljE_ZNSN_ISO_Lb1ESQ_SR_ST_SU_SY_EESZ_S10_S11_S12_S16_S17_S18_S1B_S1C_jS1D_jS1E_S1E_jjS1G_bEUljE0_EEESZ_S10_S11_S18_S1C_S1E_T6_T7_T9_mT8_S1G_bDpT10_ENKUlT_T0_E_clISt17integral_constantIbLb0EES1U_EEDaS1P_S1Q_EUlS1P_E_NS1_11comp_targetILNS1_3genE2ELNS1_11target_archE906ELNS1_3gpuE6ELNS1_3repE0EEENS1_30default_config_static_selectorELNS0_4arch9wavefront6targetE1EEEvS12_
; %bb.0:
	s_load_dwordx2 s[0:1], s[4:5], 0x68
	s_load_dwordx4 s[44:47], s[4:5], 0x58
	s_load_dword s8, s[4:5], 0x8
	s_load_dwordx2 s[56:57], s[4:5], 0x10
	s_load_dword s7, s[4:5], 0x80
	s_load_dwordx2 s[58:59], s[4:5], 0xa8
	s_load_dwordx8 s[36:43], s[4:5], 0x88
	s_waitcnt lgkmcnt(0)
	s_load_dwordx4 s[48:51], s[46:47], 0x0
	s_mul_i32 s33, s6, 0xd00
	s_add_i32 s9, s7, -1
	s_mulk_i32 s7, 0xd00
	s_add_u32 s2, s56, s7
	s_addc_u32 s3, s57, 0
	v_mov_b32_e32 v1, s2
	v_mov_b32_e32 v2, s3
	s_cmp_eq_u32 s6, s9
	v_cmp_gt_u64_e32 vcc, s[0:1], v[1:2]
	s_cselect_b64 s[34:35], -1, 0
	s_cmp_lg_u32 s6, s9
	s_cselect_b64 s[2:3], -1, 0
	s_add_i32 s1, s8, s33
	s_or_b64 s[2:3], s[2:3], vcc
	s_add_i32 s1, s1, s56
	s_mov_b64 s[8:9], -1
	s_and_b64 vcc, exec, s[2:3]
	v_add_u32_e32 v1, s1, v0
	s_cbranch_vccz .LBB1472_2
; %bb.1:
	v_add_u32_e32 v2, 0x100, v1
	v_lshlrev_b32_e32 v14, 2, v0
	v_add_u32_e32 v3, 0x200, v1
	v_add_u32_e32 v4, 0x300, v1
	;; [unrolled: 1-line block ×11, first 2 shown]
	ds_write2st64_b32 v14, v1, v2 offset1:4
	ds_write2st64_b32 v14, v3, v4 offset0:8 offset1:12
	ds_write2st64_b32 v14, v5, v6 offset0:16 offset1:20
	;; [unrolled: 1-line block ×5, first 2 shown]
	ds_write_b32 v14, v13 offset:12288
	s_waitcnt lgkmcnt(0)
	s_barrier
	s_mov_b64 s[8:9], 0
.LBB1472_2:
	s_andn2_b64 vcc, exec, s[8:9]
	s_add_i32 s7, s7, s56
	s_cbranch_vccnz .LBB1472_4
; %bb.3:
	v_add_u32_e32 v2, 0x100, v1
	v_lshlrev_b32_e32 v14, 2, v0
	v_add_u32_e32 v3, 0x200, v1
	v_add_u32_e32 v4, 0x300, v1
	;; [unrolled: 1-line block ×11, first 2 shown]
	ds_write2st64_b32 v14, v1, v2 offset1:4
	ds_write2st64_b32 v14, v3, v4 offset0:8 offset1:12
	ds_write2st64_b32 v14, v5, v6 offset0:16 offset1:20
	;; [unrolled: 1-line block ×5, first 2 shown]
	ds_write_b32 v14, v13 offset:12288
	s_waitcnt lgkmcnt(0)
	s_barrier
.LBB1472_4:
	v_mul_u32_u24_e32 v30, 13, v0
	v_lshlrev_b32_e32 v1, 2, v30
	s_load_dwordx4 s[52:55], s[4:5], 0x28
	s_load_dwordx2 s[46:47], s[4:5], 0x38
	s_waitcnt lgkmcnt(0)
	ds_read_b32 v29, v1 offset:48
	ds_read2_b32 v[9:10], v1 offset0:10 offset1:11
	ds_read2_b32 v[11:12], v1 offset0:8 offset1:9
	;; [unrolled: 1-line block ×4, first 2 shown]
	ds_read2_b32 v[19:20], v1 offset1:1
	ds_read2_b32 v[17:18], v1 offset0:2 offset1:3
	v_cndmask_b32_e64 v1, 0, 1, s[2:3]
	s_sub_i32 s7, s0, s7
	v_cmp_ne_u32_e64 s[0:1], 1, v1
	s_andn2_b64 vcc, exec, s[2:3]
	s_waitcnt lgkmcnt(0)
	s_barrier
	s_cbranch_vccnz .LBB1472_32
; %bb.5:
	v_add_u32_e32 v1, s37, v19
	v_add_u32_e32 v2, s39, v19
	v_mul_lo_u32 v1, v1, s36
	v_mul_lo_u32 v2, v2, s38
	s_mov_b64 s[62:63], 0
	s_mov_b64 s[60:61], 0
	v_sub_u32_e32 v1, v1, v2
	v_cmp_lt_u32_e32 vcc, s40, v1
	v_cmp_ge_u32_e64 s[2:3], s40, v1
	s_and_saveexec_b64 s[8:9], s[2:3]
	s_cbranch_execz .LBB1472_7
; %bb.6:
	v_add_u32_e32 v1, s42, v19
	v_add_u32_e32 v2, s58, v19
	v_mul_lo_u32 v1, v1, s41
	v_mul_lo_u32 v2, v2, s43
	v_sub_u32_e32 v1, v1, v2
	v_cmp_lt_u32_e64 s[2:3], s59, v1
	s_and_b64 s[60:61], s[2:3], exec
.LBB1472_7:
	s_or_b64 exec, exec, s[8:9]
	v_add_u32_e32 v1, s37, v20
	v_add_u32_e32 v2, s39, v20
	v_mul_lo_u32 v1, v1, s36
	v_mul_lo_u32 v2, v2, s38
	v_sub_u32_e32 v1, v1, v2
	v_cmp_lt_u32_e64 s[2:3], s40, v1
	v_cmp_ge_u32_e64 s[8:9], s40, v1
	s_and_saveexec_b64 s[10:11], s[8:9]
	s_cbranch_execz .LBB1472_9
; %bb.8:
	v_add_u32_e32 v1, s42, v20
	v_add_u32_e32 v2, s58, v20
	v_mul_lo_u32 v1, v1, s41
	v_mul_lo_u32 v2, v2, s43
	v_sub_u32_e32 v1, v1, v2
	v_cmp_lt_u32_e64 s[8:9], s59, v1
	s_and_b64 s[62:63], s[8:9], exec
.LBB1472_9:
	s_or_b64 exec, exec, s[10:11]
	v_add_u32_e32 v1, s37, v17
	v_add_u32_e32 v2, s39, v17
	v_mul_lo_u32 v1, v1, s36
	v_mul_lo_u32 v2, v2, s38
	s_mov_b64 s[66:67], 0
	s_mov_b64 s[64:65], 0
	v_sub_u32_e32 v1, v1, v2
	v_cmp_lt_u32_e64 s[28:29], s40, v1
	v_cmp_ge_u32_e64 s[8:9], s40, v1
	s_and_saveexec_b64 s[10:11], s[8:9]
	s_cbranch_execz .LBB1472_11
; %bb.10:
	v_add_u32_e32 v1, s42, v17
	v_add_u32_e32 v2, s58, v17
	v_mul_lo_u32 v1, v1, s41
	v_mul_lo_u32 v2, v2, s43
	v_sub_u32_e32 v1, v1, v2
	v_cmp_lt_u32_e64 s[8:9], s59, v1
	s_and_b64 s[64:65], s[8:9], exec
.LBB1472_11:
	s_or_b64 exec, exec, s[10:11]
	v_add_u32_e32 v1, s37, v18
	v_add_u32_e32 v2, s39, v18
	v_mul_lo_u32 v1, v1, s36
	v_mul_lo_u32 v2, v2, s38
	v_sub_u32_e32 v1, v1, v2
	v_cmp_lt_u32_e64 s[8:9], s40, v1
	v_cmp_ge_u32_e64 s[10:11], s40, v1
	s_and_saveexec_b64 s[12:13], s[10:11]
	s_cbranch_execz .LBB1472_13
; %bb.12:
	v_add_u32_e32 v1, s42, v18
	v_add_u32_e32 v2, s58, v18
	v_mul_lo_u32 v1, v1, s41
	v_mul_lo_u32 v2, v2, s43
	v_sub_u32_e32 v1, v1, v2
	v_cmp_lt_u32_e64 s[10:11], s59, v1
	s_and_b64 s[66:67], s[10:11], exec
.LBB1472_13:
	s_or_b64 exec, exec, s[12:13]
	v_add_u32_e32 v1, s37, v15
	v_add_u32_e32 v2, s39, v15
	v_mul_lo_u32 v1, v1, s36
	v_mul_lo_u32 v2, v2, s38
	s_mov_b64 s[70:71], 0
	s_mov_b64 s[68:69], 0
	v_sub_u32_e32 v1, v1, v2
	v_cmp_lt_u32_e64 s[10:11], s40, v1
	;; [unrolled: 40-line block ×6, first 2 shown]
	v_cmp_ge_u32_e64 s[30:31], s40, v1
	s_and_saveexec_b64 s[88:89], s[30:31]
	s_cbranch_execz .LBB1472_31
; %bb.30:
	v_add_u32_e32 v1, s42, v29
	v_add_u32_e32 v2, s58, v29
	v_mul_lo_u32 v1, v1, s41
	v_mul_lo_u32 v2, v2, s43
	v_sub_u32_e32 v1, v1, v2
	v_cmp_lt_u32_e64 s[30:31], s59, v1
	s_and_b64 s[86:87], s[30:31], exec
.LBB1472_31:
	s_or_b64 exec, exec, s[88:89]
	v_cndmask_b32_e64 v2, 0, 1, s[2:3]
	v_cndmask_b32_e64 v1, 0, 1, vcc
	v_cndmask_b32_e64 v4, 0, 1, s[8:9]
	v_lshlrev_b16_e32 v2, 8, v2
	v_cndmask_b32_e64 v3, 0, 1, s[28:29]
	v_or_b32_e32 v1, v1, v2
	v_lshlrev_b16_e32 v2, 8, v4
	v_cndmask_b32_e64 v6, 0, 1, s[12:13]
	v_cndmask_b32_e64 v8, 0, 1, s[16:17]
	v_or_b32_sdwa v2, v3, v2 dst_sel:WORD_1 dst_unused:UNUSED_PAD src0_sel:DWORD src1_sel:DWORD
	v_cndmask_b32_e64 v5, 0, 1, s[10:11]
	v_cndmask_b32_e64 v7, 0, 1, s[14:15]
	v_or_b32_sdwa v31, v1, v2 dst_sel:DWORD dst_unused:UNUSED_PAD src0_sel:WORD_0 src1_sel:DWORD
	v_lshlrev_b16_e32 v1, 8, v6
	v_lshlrev_b16_e32 v2, 8, v8
	v_cndmask_b32_e64 v22, 0, 1, s[20:21]
	v_cndmask_b32_e64 v25, 0, 1, s[24:25]
	v_or_b32_e32 v1, v5, v1
	v_or_b32_sdwa v2, v7, v2 dst_sel:WORD_1 dst_unused:UNUSED_PAD src0_sel:DWORD src1_sel:DWORD
	v_cndmask_b32_e64 v21, 0, 1, s[18:19]
	v_cndmask_b32_e64 v23, 0, 1, s[22:23]
	v_or_b32_sdwa v33, v1, v2 dst_sel:DWORD dst_unused:UNUSED_PAD src0_sel:WORD_0 src1_sel:DWORD
	v_lshlrev_b16_e32 v1, 8, v22
	v_lshlrev_b16_e32 v2, 8, v25
	v_cndmask_b32_e64 v37, 0, 1, s[64:65]
	v_cndmask_b32_e64 v42, 0, 1, s[60:61]
	v_or_b32_e32 v1, v21, v1
	v_or_b32_sdwa v2, v23, v2 dst_sel:WORD_1 dst_unused:UNUSED_PAD src0_sel:DWORD src1_sel:DWORD
	v_cndmask_b32_e64 v41, 0, 1, s[62:63]
	v_cndmask_b32_e64 v43, 0, 1, s[26:27]
	v_or_b32_sdwa v36, v1, v2 dst_sel:DWORD dst_unused:UNUSED_PAD src0_sel:WORD_0 src1_sel:DWORD
	v_lshlrev_b16_e32 v1, 8, v42
	v_lshlrev_b16_e32 v2, 8, v37
	v_cndmask_b32_e64 v32, 0, 1, s[72:73]
	v_cndmask_b32_e64 v39, 0, 1, s[68:69]
	v_or_b32_e32 v1, v43, v1
	v_or_b32_sdwa v2, v41, v2 dst_sel:WORD_1 dst_unused:UNUSED_PAD src0_sel:DWORD src1_sel:DWORD
	v_cndmask_b32_e64 v34, 0, 1, s[70:71]
	v_cndmask_b32_e64 v40, 0, 1, s[66:67]
	v_or_b32_sdwa v37, v1, v2 dst_sel:DWORD dst_unused:UNUSED_PAD src0_sel:WORD_0 src1_sel:DWORD
	v_lshlrev_b16_e32 v1, 8, v39
	v_lshlrev_b16_e32 v2, 8, v32
	v_cndmask_b32_e64 v24, 0, 1, s[84:85]
	v_cndmask_b32_e64 v27, 0, 1, s[76:77]
	v_or_b32_e32 v1, v40, v1
	v_or_b32_sdwa v2, v34, v2 dst_sel:WORD_1 dst_unused:UNUSED_PAD src0_sel:DWORD src1_sel:DWORD
	v_cndmask_b32_e64 v26, 0, 1, s[78:79]
	v_cndmask_b32_e64 v28, 0, 1, s[74:75]
	v_or_b32_sdwa v32, v1, v2 dst_sel:DWORD dst_unused:UNUSED_PAD src0_sel:WORD_0 src1_sel:DWORD
	v_lshlrev_b16_e32 v1, 8, v27
	v_lshlrev_b16_e32 v2, 8, v24
	v_or_b32_e32 v1, v28, v1
	v_or_b32_sdwa v2, v26, v2 dst_sel:WORD_1 dst_unused:UNUSED_PAD src0_sel:DWORD src1_sel:DWORD
	v_cndmask_b32_e64 v35, 0, 1, s[82:83]
	v_cndmask_b32_e64 v38, 0, 1, s[86:87]
	v_or_b32_sdwa v34, v1, v2 dst_sel:DWORD dst_unused:UNUSED_PAD src0_sel:WORD_0 src1_sel:DWORD
	s_load_dwordx2 s[12:13], s[4:5], 0x78
	s_add_i32 s18, s7, 0xd00
	s_and_b64 vcc, exec, s[80:81]
	s_cbranch_vccnz .LBB1472_33
	s_branch .LBB1472_110
.LBB1472_32:
                                        ; implicit-def: $vgpr38
                                        ; implicit-def: $vgpr35
                                        ; implicit-def: $vgpr34
                                        ; implicit-def: $vgpr32
                                        ; implicit-def: $vgpr37
                                        ; implicit-def: $vgpr36
                                        ; implicit-def: $vgpr33
                                        ; implicit-def: $vgpr31
	s_load_dwordx2 s[12:13], s[4:5], 0x78
	s_add_i32 s18, s7, 0xd00
	s_cbranch_execz .LBB1472_110
.LBB1472_33:
	v_cmp_gt_u32_e32 vcc, s18, v30
	v_mov_b32_e32 v2, 0
	v_mov_b32_e32 v1, 0
	s_and_saveexec_b64 s[4:5], vcc
	s_cbranch_execz .LBB1472_37
; %bb.34:
	v_add_u32_e32 v1, s37, v19
	v_add_u32_e32 v2, s39, v19
	v_mul_lo_u32 v1, v1, s36
	v_mul_lo_u32 v2, v2, s38
	s_mov_b64 s[10:11], 0
	v_sub_u32_e32 v1, v1, v2
	v_cmp_lt_u32_e32 vcc, s40, v1
	v_cmp_ge_u32_e64 s[2:3], s40, v1
	s_and_saveexec_b64 s[8:9], s[2:3]
	s_cbranch_execz .LBB1472_36
; %bb.35:
	v_add_u32_e32 v1, s42, v19
	v_add_u32_e32 v2, s58, v19
	v_mul_lo_u32 v1, v1, s41
	v_mul_lo_u32 v2, v2, s43
	v_sub_u32_e32 v1, v1, v2
	v_cmp_lt_u32_e64 s[2:3], s59, v1
	s_and_b64 s[10:11], s[2:3], exec
.LBB1472_36:
	s_or_b64 exec, exec, s[8:9]
	v_cndmask_b32_e64 v2, 0, 1, s[10:11]
	v_cndmask_b32_e64 v1, 0, 1, vcc
.LBB1472_37:
	s_or_b64 exec, exec, s[4:5]
	v_lshlrev_b16_e32 v7, 8, v2
	v_add_u32_e32 v2, 1, v30
	v_cmp_le_u32_e32 vcc, s18, v2
	v_lshlrev_b16_e64 v4, 8, 0
                                        ; implicit-def: $vgpr3
                                        ; implicit-def: $vgpr5
                                        ; implicit-def: $vgpr6
                                        ; implicit-def: $vgpr2
                                        ; implicit-def: $vgpr8
	s_and_saveexec_b64 s[2:3], vcc
	s_xor_b64 s[2:3], exec, s[2:3]
; %bb.38:
	v_mov_b32_e32 v2, 8
	v_lshrrev_b32_sdwa v3, v2, v7 dst_sel:BYTE_1 dst_unused:UNUSED_PAD src0_sel:DWORD src1_sel:DWORD
	v_and_b32_e32 v8, 0xff, v1
	v_or_b32_sdwa v1, v7, v3 dst_sel:DWORD dst_unused:UNUSED_PAD src0_sel:BYTE_0 src1_sel:DWORD
	v_mov_b32_e32 v5, 0
	v_lshlrev_b16_e64 v4, 8, 0
	v_lshlrev_b16_e64 v2, 8, 0
	v_and_b32_e32 v6, 0xffff, v1
	v_lshlrev_b16_e64 v3, 8, 0
                                        ; implicit-def: $vgpr1
                                        ; implicit-def: $vgpr7
; %bb.39:
	s_andn2_saveexec_b64 s[4:5], s[2:3]
	s_cbranch_execz .LBB1472_43
; %bb.40:
	v_add_u32_e32 v2, s37, v20
	v_add_u32_e32 v3, s39, v20
	v_mul_lo_u32 v2, v2, s36
	v_mul_lo_u32 v3, v3, s38
	s_mov_b64 s[8:9], 0
	v_sub_u32_e32 v2, v2, v3
	v_cmp_lt_u32_e32 vcc, s40, v2
	v_cmp_ge_u32_e64 s[2:3], s40, v2
	s_and_saveexec_b64 s[10:11], s[2:3]
	s_cbranch_execz .LBB1472_42
; %bb.41:
	v_add_u32_e32 v2, s42, v20
	v_add_u32_e32 v3, s58, v20
	v_mul_lo_u32 v2, v2, s41
	v_mul_lo_u32 v3, v3, s43
	v_sub_u32_e32 v2, v2, v3
	v_cmp_lt_u32_e64 s[2:3], s59, v2
	s_and_b64 s[8:9], s[2:3], exec
.LBB1472_42:
	s_or_b64 exec, exec, s[10:11]
	v_cndmask_b32_e64 v3, 0, 1, vcc
	v_lshlrev_b16_e32 v3, 8, v3
	v_or_b32_sdwa v1, v1, v3 dst_sel:DWORD dst_unused:UNUSED_PAD src0_sel:BYTE_0 src1_sel:DWORD
	v_and_b32_e32 v8, 0xffff, v1
	v_mov_b32_e32 v1, 8
	v_lshrrev_b32_sdwa v1, v1, v7 dst_sel:BYTE_1 dst_unused:UNUSED_PAD src0_sel:DWORD src1_sel:DWORD
	v_or_b32_sdwa v1, v7, v1 dst_sel:DWORD dst_unused:UNUSED_PAD src0_sel:BYTE_0 src1_sel:DWORD
	v_and_b32_e32 v1, 0xffff, v1
	v_cndmask_b32_e64 v3, 0, 1, s[8:9]
	v_mov_b32_e32 v2, 0
	v_mov_b32_e32 v5, 0
	v_lshl_or_b32 v6, v3, 16, v1
	v_lshlrev_b16_e64 v3, 8, 0
.LBB1472_43:
	s_or_b64 exec, exec, s[4:5]
	v_add_u32_e32 v1, 2, v30
	v_cmp_le_u32_e32 vcc, s18, v1
	v_lshrrev_b32_e32 v21, 24, v8
                                        ; implicit-def: $vgpr1
                                        ; implicit-def: $vgpr7
	s_and_saveexec_b64 s[2:3], vcc
	s_xor_b64 s[2:3], exec, s[2:3]
	s_cbranch_execz .LBB1472_45
; %bb.44:
	s_mov_b32 s4, 0x40c0100
	v_perm_b32 v7, v21, v8, s4
	v_mov_b32_e32 v8, 8
	v_lshrrev_b32_sdwa v8, v8, v7 dst_sel:BYTE_1 dst_unused:UNUSED_PAD src0_sel:DWORD src1_sel:DWORD
	v_or_b32_sdwa v8, v7, v8 dst_sel:DWORD dst_unused:UNUSED_PAD src0_sel:BYTE_0 src1_sel:DWORD
	v_and_b32_e32 v8, 0xffff, v8
	s_mov_b32 s4, 0xff000000
	v_and_or_b32 v7, v7, s4, v8
	s_mov_b32 s4, 0x3060504
	v_and_b32_e32 v1, 0xff0000, v6
	v_perm_b32 v4, v4, v4, s4
	s_mov_b32 s4, 0x3020504
	v_perm_b32 v1, v6, v1, s4
                                        ; implicit-def: $vgpr8
                                        ; implicit-def: $vgpr21
                                        ; implicit-def: $vgpr6
.LBB1472_45:
	s_andn2_saveexec_b64 s[4:5], s[2:3]
	s_cbranch_execz .LBB1472_49
; %bb.46:
	v_add_u32_e32 v1, s37, v17
	v_add_u32_e32 v7, s39, v17
	v_mul_lo_u32 v1, v1, s36
	v_mul_lo_u32 v7, v7, s38
	s_mov_b64 s[8:9], 0
	v_sub_u32_e32 v1, v1, v7
	v_cmp_lt_u32_e32 vcc, s40, v1
	v_cmp_ge_u32_e64 s[2:3], s40, v1
	s_and_saveexec_b64 s[10:11], s[2:3]
	s_cbranch_execz .LBB1472_48
; %bb.47:
	v_add_u32_e32 v1, s42, v17
	v_add_u32_e32 v7, s58, v17
	v_mul_lo_u32 v1, v1, s41
	v_mul_lo_u32 v7, v7, s43
	v_sub_u32_e32 v1, v1, v7
	v_cmp_lt_u32_e64 s[2:3], s59, v1
	s_and_b64 s[8:9], s[2:3], exec
.LBB1472_48:
	s_or_b64 exec, exec, s[10:11]
	v_mov_b32_e32 v23, 8
	v_lshrrev_b32_sdwa v7, v23, v8 dst_sel:BYTE_1 dst_unused:UNUSED_PAD src0_sel:DWORD src1_sel:DWORD
	v_cndmask_b32_e64 v1, 0, 1, vcc
	v_or_b32_sdwa v7, v8, v7 dst_sel:DWORD dst_unused:UNUSED_PAD src0_sel:BYTE_0 src1_sel:DWORD
	v_lshlrev_b16_e32 v8, 8, v21
	v_or_b32_sdwa v1, v1, v8 dst_sel:WORD_1 dst_unused:UNUSED_PAD src0_sel:DWORD src1_sel:DWORD
	v_cndmask_b32_e64 v22, 0, 1, s[8:9]
	s_movk_i32 s2, 0xff
	v_or_b32_sdwa v7, v7, v1 dst_sel:DWORD dst_unused:UNUSED_PAD src0_sel:WORD_0 src1_sel:DWORD
	v_lshrrev_b32_sdwa v1, v23, v6 dst_sel:BYTE_1 dst_unused:UNUSED_PAD src0_sel:DWORD src1_sel:DWORD
	v_or_b32_sdwa v1, v6, v1 dst_sel:DWORD dst_unused:UNUSED_PAD src0_sel:BYTE_0 src1_sel:DWORD
	v_lshlrev_b16_e32 v8, 8, v22
	v_and_b32_sdwa v6, v6, s2 dst_sel:DWORD dst_unused:UNUSED_PAD src0_sel:WORD_1 src1_sel:DWORD
	v_or_b32_sdwa v6, v6, v8 dst_sel:WORD_1 dst_unused:UNUSED_PAD src0_sel:DWORD src1_sel:DWORD
	v_or_b32_sdwa v1, v1, v6 dst_sel:DWORD dst_unused:UNUSED_PAD src0_sel:WORD_0 src1_sel:DWORD
.LBB1472_49:
	s_or_b64 exec, exec, s[4:5]
	v_add_u32_e32 v6, 3, v30
	v_cmp_le_u32_e32 vcc, s18, v6
	v_lshrrev_b32_e32 v8, 24, v5
                                        ; implicit-def: $vgpr6
                                        ; implicit-def: $vgpr31
	s_and_saveexec_b64 s[2:3], vcc
	s_xor_b64 s[2:3], exec, s[2:3]
	s_cbranch_execz .LBB1472_51
; %bb.50:
	v_and_b32_e32 v6, 0xff0000, v7
	s_mov_b32 s4, 0x3020504
	s_movk_i32 s5, 0xff
	v_perm_b32 v31, v7, v6, s4
	v_lshlrev_b16_e32 v6, 8, v8
	v_and_b32_sdwa v7, v5, s5 dst_sel:DWORD dst_unused:UNUSED_PAD src0_sel:WORD_1 src1_sel:DWORD
	s_mov_b32 s4, 0x3060504
	v_or_b32_sdwa v6, v7, v6 dst_sel:WORD_1 dst_unused:UNUSED_PAD src0_sel:DWORD src1_sel:DWORD
	v_mov_b32_e32 v7, 8
	v_perm_b32 v4, v4, v4, s4
	v_lshrrev_b32_sdwa v6, v7, v5 dst_sel:BYTE_1 dst_unused:UNUSED_PRESERVE src0_sel:DWORD src1_sel:DWORD
	v_perm_b32 v3, v3, v3, s4
                                        ; implicit-def: $vgpr7
                                        ; implicit-def: $vgpr8
                                        ; implicit-def: $vgpr5
.LBB1472_51:
	s_andn2_saveexec_b64 s[4:5], s[2:3]
	s_cbranch_execz .LBB1472_55
; %bb.52:
	v_add_u32_e32 v6, s37, v18
	v_add_u32_e32 v21, s39, v18
	v_mul_lo_u32 v6, v6, s36
	v_mul_lo_u32 v21, v21, s38
	s_mov_b64 s[8:9], 0
	v_sub_u32_e32 v6, v6, v21
	v_cmp_lt_u32_e32 vcc, s40, v6
	v_cmp_ge_u32_e64 s[2:3], s40, v6
	s_and_saveexec_b64 s[10:11], s[2:3]
	s_cbranch_execz .LBB1472_54
; %bb.53:
	v_add_u32_e32 v6, s42, v18
	v_add_u32_e32 v21, s58, v18
	v_mul_lo_u32 v6, v6, s41
	v_mul_lo_u32 v21, v21, s43
	v_sub_u32_e32 v6, v6, v21
	v_cmp_lt_u32_e64 s[2:3], s59, v6
	s_and_b64 s[8:9], s[2:3], exec
.LBB1472_54:
	s_or_b64 exec, exec, s[10:11]
	v_mov_b32_e32 v22, 8
	v_cndmask_b32_e64 v6, 0, 1, vcc
	s_movk_i32 s2, 0xff
	v_lshrrev_b32_sdwa v23, v22, v7 dst_sel:BYTE_1 dst_unused:UNUSED_PAD src0_sel:DWORD src1_sel:DWORD
	v_or_b32_sdwa v23, v7, v23 dst_sel:DWORD dst_unused:UNUSED_PAD src0_sel:BYTE_0 src1_sel:DWORD
	v_lshlrev_b16_e32 v6, 8, v6
	v_and_b32_sdwa v7, v7, s2 dst_sel:DWORD dst_unused:UNUSED_PAD src0_sel:WORD_1 src1_sel:DWORD
	v_or_b32_sdwa v6, v7, v6 dst_sel:WORD_1 dst_unused:UNUSED_PAD src0_sel:DWORD src1_sel:DWORD
	v_cndmask_b32_e64 v21, 0, 1, s[8:9]
	v_or_b32_sdwa v31, v23, v6 dst_sel:DWORD dst_unused:UNUSED_PAD src0_sel:WORD_0 src1_sel:DWORD
	v_lshlrev_b16_e32 v6, 8, v8
	v_and_b32_sdwa v7, v5, s2 dst_sel:DWORD dst_unused:UNUSED_PAD src0_sel:WORD_1 src1_sel:DWORD
	v_lshrrev_b32_sdwa v5, v22, v5 dst_sel:BYTE_1 dst_unused:UNUSED_PAD src0_sel:DWORD src1_sel:DWORD
	v_or_b32_sdwa v6, v7, v6 dst_sel:WORD_1 dst_unused:UNUSED_PAD src0_sel:DWORD src1_sel:DWORD
	v_or_b32_e32 v5, v21, v5
	v_or_b32_sdwa v6, v5, v6 dst_sel:DWORD dst_unused:UNUSED_PAD src0_sel:WORD_0 src1_sel:DWORD
.LBB1472_55:
	s_or_b64 exec, exec, s[4:5]
	v_add_u32_e32 v5, 4, v30
	v_cmp_le_u32_e32 vcc, s18, v5
	v_lshrrev_b32_e32 v21, 24, v4
	v_lshrrev_b32_e32 v8, 24, v6
                                        ; implicit-def: $vgpr7
                                        ; implicit-def: $vgpr5
	s_and_saveexec_b64 s[2:3], vcc
	s_xor_b64 s[2:3], exec, s[2:3]
	s_cbranch_execz .LBB1472_57
; %bb.56:
	s_movk_i32 s4, 0xff
	v_lshlrev_b16_e32 v5, 8, v21
	v_and_b32_sdwa v21, v4, s4 dst_sel:DWORD dst_unused:UNUSED_PAD src0_sel:WORD_1 src1_sel:DWORD
	v_mov_b32_e32 v7, 8
	v_or_b32_sdwa v5, v21, v5 dst_sel:WORD_1 dst_unused:UNUSED_PAD src0_sel:DWORD src1_sel:DWORD
	v_lshrrev_b32_sdwa v5, v7, v4 dst_sel:BYTE_1 dst_unused:UNUSED_PRESERVE src0_sel:DWORD src1_sel:DWORD
	v_lshlrev_b16_e32 v4, 8, v8
	v_and_b32_sdwa v7, v6, s4 dst_sel:DWORD dst_unused:UNUSED_PAD src0_sel:WORD_1 src1_sel:DWORD
	v_or_b32_e32 v4, v7, v4
	s_mov_b32 s4, 0x5040c00
	v_perm_b32 v7, v4, v6, s4
	s_mov_b32 s4, 0x3060504
	v_perm_b32 v3, v3, v3, s4
                                        ; implicit-def: $vgpr21
                                        ; implicit-def: $vgpr4
                                        ; implicit-def: $vgpr6
                                        ; implicit-def: $vgpr8
.LBB1472_57:
	s_andn2_saveexec_b64 s[4:5], s[2:3]
	s_cbranch_execz .LBB1472_61
; %bb.58:
	v_add_u32_e32 v5, s37, v15
	v_add_u32_e32 v7, s39, v15
	v_mul_lo_u32 v5, v5, s36
	v_mul_lo_u32 v7, v7, s38
	s_mov_b64 s[8:9], 0
	v_sub_u32_e32 v5, v5, v7
	v_cmp_lt_u32_e32 vcc, s40, v5
	v_cmp_ge_u32_e64 s[2:3], s40, v5
	s_and_saveexec_b64 s[10:11], s[2:3]
	s_cbranch_execz .LBB1472_60
; %bb.59:
	v_add_u32_e32 v5, s42, v15
	v_add_u32_e32 v7, s58, v15
	v_mul_lo_u32 v5, v5, s41
	v_mul_lo_u32 v7, v7, s43
	v_sub_u32_e32 v5, v5, v7
	v_cmp_lt_u32_e64 s[2:3], s59, v5
	s_and_b64 s[8:9], s[2:3], exec
.LBB1472_60:
	s_or_b64 exec, exec, s[10:11]
	s_movk_i32 s2, 0xff
	v_lshlrev_b16_e32 v21, 8, v21
	v_and_b32_sdwa v22, v4, s2 dst_sel:DWORD dst_unused:UNUSED_PAD src0_sel:WORD_1 src1_sel:DWORD
	v_or_b32_sdwa v21, v22, v21 dst_sel:WORD_1 dst_unused:UNUSED_PAD src0_sel:DWORD src1_sel:DWORD
	v_mov_b32_e32 v22, 8
	v_cndmask_b32_e64 v5, 0, 1, vcc
	v_lshrrev_b32_sdwa v4, v22, v4 dst_sel:BYTE_1 dst_unused:UNUSED_PAD src0_sel:DWORD src1_sel:DWORD
	v_cndmask_b32_e64 v7, 0, 1, s[8:9]
	v_or_b32_e32 v4, v5, v4
	v_or_b32_sdwa v5, v4, v21 dst_sel:DWORD dst_unused:UNUSED_PAD src0_sel:WORD_0 src1_sel:DWORD
	v_lshlrev_b16_e32 v4, 8, v7
	v_or_b32_sdwa v4, v6, v4 dst_sel:DWORD dst_unused:UNUSED_PAD src0_sel:BYTE_0 src1_sel:DWORD
	v_lshlrev_b16_e32 v7, 8, v8
	v_and_b32_sdwa v6, v6, s2 dst_sel:DWORD dst_unused:UNUSED_PAD src0_sel:WORD_1 src1_sel:DWORD
	v_or_b32_sdwa v6, v6, v7 dst_sel:WORD_1 dst_unused:UNUSED_PAD src0_sel:DWORD src1_sel:DWORD
	v_or_b32_sdwa v7, v4, v6 dst_sel:DWORD dst_unused:UNUSED_PAD src0_sel:WORD_0 src1_sel:DWORD
.LBB1472_61:
	s_or_b64 exec, exec, s[4:5]
	v_add_u32_e32 v4, 5, v30
	v_cmp_le_u32_e32 vcc, s18, v4
	v_lshrrev_b32_e32 v8, 24, v7
	v_lshrrev_b32_e32 v21, 24, v5
                                        ; implicit-def: $vgpr4
                                        ; implicit-def: $vgpr6
	s_and_saveexec_b64 s[2:3], vcc
	s_xor_b64 s[2:3], exec, s[2:3]
	s_cbranch_execz .LBB1472_63
; %bb.62:
	s_mov_b32 s4, 0x40c0100
	v_perm_b32 v4, v8, v7, s4
	s_movk_i32 s4, 0xff
	v_lshlrev_b16_e32 v6, 8, v21
	v_and_b32_sdwa v7, v5, s4 dst_sel:DWORD dst_unused:UNUSED_PAD src0_sel:WORD_1 src1_sel:DWORD
	v_or_b32_e32 v6, v7, v6
	s_mov_b32 s4, 0x5040c00
	v_perm_b32 v6, v6, v5, s4
	v_mov_b32_e32 v5, 8
	v_lshrrev_b32_sdwa v5, v5, v4 dst_sel:BYTE_1 dst_unused:UNUSED_PAD src0_sel:DWORD src1_sel:DWORD
	v_or_b32_sdwa v5, v4, v5 dst_sel:DWORD dst_unused:UNUSED_PAD src0_sel:BYTE_0 src1_sel:DWORD
	v_and_b32_e32 v5, 0xffff, v5
	s_mov_b32 s4, 0xff000000
	v_and_or_b32 v4, v4, s4, v5
	s_mov_b32 s4, 0x3060504
	v_perm_b32 v3, v3, v3, s4
                                        ; implicit-def: $vgpr5
                                        ; implicit-def: $vgpr21
                                        ; implicit-def: $vgpr7
                                        ; implicit-def: $vgpr8
.LBB1472_63:
	s_andn2_saveexec_b64 s[4:5], s[2:3]
	s_cbranch_execz .LBB1472_67
; %bb.64:
	v_add_u32_e32 v4, s37, v16
	v_add_u32_e32 v6, s39, v16
	v_mul_lo_u32 v4, v4, s36
	v_mul_lo_u32 v6, v6, s38
	s_mov_b64 s[8:9], 0
	v_sub_u32_e32 v4, v4, v6
	v_cmp_lt_u32_e32 vcc, s40, v4
	v_cmp_ge_u32_e64 s[2:3], s40, v4
	s_and_saveexec_b64 s[10:11], s[2:3]
	s_cbranch_execz .LBB1472_66
; %bb.65:
	v_add_u32_e32 v4, s42, v16
	v_add_u32_e32 v6, s58, v16
	v_mul_lo_u32 v4, v4, s41
	v_mul_lo_u32 v6, v6, s43
	v_sub_u32_e32 v4, v4, v6
	v_cmp_lt_u32_e64 s[2:3], s59, v4
	s_and_b64 s[8:9], s[2:3], exec
.LBB1472_66:
	s_or_b64 exec, exec, s[10:11]
	v_cndmask_b32_e64 v4, 0, 1, vcc
	v_lshlrev_b16_e32 v4, 8, v4
	s_movk_i32 s2, 0xff
	v_or_b32_sdwa v4, v5, v4 dst_sel:DWORD dst_unused:UNUSED_PAD src0_sel:BYTE_0 src1_sel:DWORD
	v_lshlrev_b16_e32 v6, 8, v21
	v_and_b32_sdwa v5, v5, s2 dst_sel:DWORD dst_unused:UNUSED_PAD src0_sel:WORD_1 src1_sel:DWORD
	v_or_b32_sdwa v5, v5, v6 dst_sel:WORD_1 dst_unused:UNUSED_PAD src0_sel:DWORD src1_sel:DWORD
	v_or_b32_sdwa v6, v4, v5 dst_sel:DWORD dst_unused:UNUSED_PAD src0_sel:WORD_0 src1_sel:DWORD
	v_mov_b32_e32 v4, 8
	v_cndmask_b32_e64 v22, 0, 1, s[8:9]
	v_lshrrev_b32_sdwa v4, v4, v7 dst_sel:BYTE_1 dst_unused:UNUSED_PAD src0_sel:DWORD src1_sel:DWORD
	v_lshlrev_b16_e32 v5, 8, v8
	v_or_b32_sdwa v4, v7, v4 dst_sel:DWORD dst_unused:UNUSED_PAD src0_sel:BYTE_0 src1_sel:DWORD
	v_or_b32_sdwa v5, v22, v5 dst_sel:WORD_1 dst_unused:UNUSED_PAD src0_sel:DWORD src1_sel:DWORD
	v_or_b32_sdwa v4, v4, v5 dst_sel:DWORD dst_unused:UNUSED_PAD src0_sel:WORD_0 src1_sel:DWORD
.LBB1472_67:
	s_or_b64 exec, exec, s[4:5]
	v_add_u32_e32 v5, 6, v30
	v_cmp_le_u32_e32 vcc, s18, v5
	v_lshrrev_b32_e32 v7, 24, v6
                                        ; implicit-def: $vgpr32
                                        ; implicit-def: $vgpr5
	s_and_saveexec_b64 s[2:3], vcc
	s_xor_b64 s[2:3], exec, s[2:3]
	s_cbranch_execz .LBB1472_69
; %bb.68:
	s_mov_b32 s4, 0x40c0100
	v_perm_b32 v5, v7, v6, s4
	v_mov_b32_e32 v6, 8
	v_lshrrev_b32_sdwa v6, v6, v5 dst_sel:BYTE_1 dst_unused:UNUSED_PAD src0_sel:DWORD src1_sel:DWORD
	v_or_b32_sdwa v6, v5, v6 dst_sel:DWORD dst_unused:UNUSED_PAD src0_sel:BYTE_0 src1_sel:DWORD
	v_and_b32_e32 v6, 0xffff, v6
	s_mov_b32 s4, 0xff000000
	v_and_b32_e32 v8, 0xff0000, v4
	v_and_or_b32 v5, v5, s4, v6
	s_mov_b32 s4, 0x3020504
	v_perm_b32 v32, v4, v8, s4
	s_mov_b32 s4, 0x3060504
	v_perm_b32 v3, v3, v3, s4
                                        ; implicit-def: $vgpr6
                                        ; implicit-def: $vgpr7
                                        ; implicit-def: $vgpr4
.LBB1472_69:
	s_andn2_saveexec_b64 s[4:5], s[2:3]
	s_cbranch_execz .LBB1472_73
; %bb.70:
	v_add_u32_e32 v5, s37, v13
	v_add_u32_e32 v8, s39, v13
	v_mul_lo_u32 v5, v5, s36
	v_mul_lo_u32 v8, v8, s38
	s_mov_b64 s[8:9], 0
	v_sub_u32_e32 v5, v5, v8
	v_cmp_lt_u32_e32 vcc, s40, v5
	v_cmp_ge_u32_e64 s[2:3], s40, v5
	s_and_saveexec_b64 s[10:11], s[2:3]
	s_cbranch_execz .LBB1472_72
; %bb.71:
	v_add_u32_e32 v5, s42, v13
	v_add_u32_e32 v8, s58, v13
	v_mul_lo_u32 v5, v5, s41
	v_mul_lo_u32 v8, v8, s43
	v_sub_u32_e32 v5, v5, v8
	v_cmp_lt_u32_e64 s[2:3], s59, v5
	s_and_b64 s[8:9], s[2:3], exec
.LBB1472_72:
	s_or_b64 exec, exec, s[10:11]
	v_mov_b32_e32 v21, 8
	v_cndmask_b32_e64 v5, 0, 1, vcc
	v_lshrrev_b32_sdwa v22, v21, v6 dst_sel:BYTE_1 dst_unused:UNUSED_PAD src0_sel:DWORD src1_sel:DWORD
	v_lshlrev_b16_e32 v7, 8, v7
	v_or_b32_sdwa v6, v6, v22 dst_sel:DWORD dst_unused:UNUSED_PAD src0_sel:BYTE_0 src1_sel:DWORD
	v_or_b32_sdwa v5, v5, v7 dst_sel:WORD_1 dst_unused:UNUSED_PAD src0_sel:DWORD src1_sel:DWORD
	v_cndmask_b32_e64 v8, 0, 1, s[8:9]
	s_movk_i32 s2, 0xff
	v_or_b32_sdwa v5, v6, v5 dst_sel:DWORD dst_unused:UNUSED_PAD src0_sel:WORD_0 src1_sel:DWORD
	v_lshrrev_b32_sdwa v6, v21, v4 dst_sel:BYTE_1 dst_unused:UNUSED_PAD src0_sel:DWORD src1_sel:DWORD
	v_or_b32_sdwa v6, v4, v6 dst_sel:DWORD dst_unused:UNUSED_PAD src0_sel:BYTE_0 src1_sel:DWORD
	v_lshlrev_b16_e32 v7, 8, v8
	v_and_b32_sdwa v4, v4, s2 dst_sel:DWORD dst_unused:UNUSED_PAD src0_sel:WORD_1 src1_sel:DWORD
	v_or_b32_sdwa v4, v4, v7 dst_sel:WORD_1 dst_unused:UNUSED_PAD src0_sel:DWORD src1_sel:DWORD
	v_or_b32_sdwa v32, v6, v4 dst_sel:DWORD dst_unused:UNUSED_PAD src0_sel:WORD_0 src1_sel:DWORD
.LBB1472_73:
	s_or_b64 exec, exec, s[4:5]
	v_add_u32_e32 v4, 7, v30
	v_cmp_le_u32_e32 vcc, s18, v4
	v_lshrrev_b32_e32 v6, 24, v3
                                        ; implicit-def: $vgpr4
                                        ; implicit-def: $vgpr33
	s_and_saveexec_b64 s[2:3], vcc
	s_xor_b64 s[2:3], exec, s[2:3]
; %bb.74:
	v_and_b32_e32 v4, 0xff0000, v5
	s_mov_b32 s4, 0x3020504
	v_perm_b32 v33, v5, v4, s4
	s_movk_i32 s4, 0xff
	v_lshlrev_b16_e32 v4, 8, v6
	v_and_b32_sdwa v5, v3, s4 dst_sel:DWORD dst_unused:UNUSED_PAD src0_sel:WORD_1 src1_sel:DWORD
	v_mov_b32_e32 v7, 8
	v_or_b32_sdwa v4, v5, v4 dst_sel:WORD_1 dst_unused:UNUSED_PAD src0_sel:DWORD src1_sel:DWORD
	v_lshrrev_b32_sdwa v4, v7, v3 dst_sel:BYTE_1 dst_unused:UNUSED_PRESERVE src0_sel:DWORD src1_sel:DWORD
                                        ; implicit-def: $vgpr5
                                        ; implicit-def: $vgpr6
                                        ; implicit-def: $vgpr3
; %bb.75:
	s_andn2_saveexec_b64 s[4:5], s[2:3]
	s_cbranch_execz .LBB1472_79
; %bb.76:
	v_add_u32_e32 v4, s37, v14
	v_add_u32_e32 v7, s39, v14
	v_mul_lo_u32 v4, v4, s36
	v_mul_lo_u32 v7, v7, s38
	s_mov_b64 s[8:9], 0
	v_sub_u32_e32 v4, v4, v7
	v_cmp_lt_u32_e32 vcc, s40, v4
	v_cmp_ge_u32_e64 s[2:3], s40, v4
	s_and_saveexec_b64 s[10:11], s[2:3]
	s_cbranch_execz .LBB1472_78
; %bb.77:
	v_add_u32_e32 v4, s42, v14
	v_add_u32_e32 v7, s58, v14
	v_mul_lo_u32 v4, v4, s41
	v_mul_lo_u32 v7, v7, s43
	v_sub_u32_e32 v4, v4, v7
	v_cmp_lt_u32_e64 s[2:3], s59, v4
	s_and_b64 s[8:9], s[2:3], exec
.LBB1472_78:
	s_or_b64 exec, exec, s[10:11]
	v_mov_b32_e32 v8, 8
	v_cndmask_b32_e64 v4, 0, 1, vcc
	s_movk_i32 s2, 0xff
	v_lshrrev_b32_sdwa v21, v8, v5 dst_sel:BYTE_1 dst_unused:UNUSED_PAD src0_sel:DWORD src1_sel:DWORD
	v_or_b32_sdwa v21, v5, v21 dst_sel:DWORD dst_unused:UNUSED_PAD src0_sel:BYTE_0 src1_sel:DWORD
	v_lshlrev_b16_e32 v4, 8, v4
	v_and_b32_sdwa v5, v5, s2 dst_sel:DWORD dst_unused:UNUSED_PAD src0_sel:WORD_1 src1_sel:DWORD
	v_or_b32_sdwa v4, v5, v4 dst_sel:WORD_1 dst_unused:UNUSED_PAD src0_sel:DWORD src1_sel:DWORD
	v_cndmask_b32_e64 v7, 0, 1, s[8:9]
	v_or_b32_sdwa v33, v21, v4 dst_sel:DWORD dst_unused:UNUSED_PAD src0_sel:WORD_0 src1_sel:DWORD
	v_lshlrev_b16_e32 v4, 8, v6
	v_and_b32_sdwa v5, v3, s2 dst_sel:DWORD dst_unused:UNUSED_PAD src0_sel:WORD_1 src1_sel:DWORD
	v_lshrrev_b32_sdwa v3, v8, v3 dst_sel:BYTE_1 dst_unused:UNUSED_PAD src0_sel:DWORD src1_sel:DWORD
	v_or_b32_sdwa v4, v5, v4 dst_sel:WORD_1 dst_unused:UNUSED_PAD src0_sel:DWORD src1_sel:DWORD
	v_or_b32_e32 v3, v7, v3
	v_or_b32_sdwa v4, v3, v4 dst_sel:DWORD dst_unused:UNUSED_PAD src0_sel:WORD_0 src1_sel:DWORD
.LBB1472_79:
	s_or_b64 exec, exec, s[4:5]
	v_add_u32_e32 v3, 8, v30
	v_cmp_le_u32_e32 vcc, s18, v3
	v_lshrrev_b32_e32 v6, 24, v4
	v_lshrrev_b32_e32 v7, 24, v2
                                        ; implicit-def: $vgpr5
                                        ; implicit-def: $vgpr3
	s_and_saveexec_b64 s[2:3], vcc
	s_xor_b64 s[2:3], exec, s[2:3]
	s_cbranch_execz .LBB1472_81
; %bb.80:
	s_movk_i32 s4, 0xff
	v_lshlrev_b16_e32 v3, 8, v7
	v_and_b32_sdwa v5, v2, s4 dst_sel:DWORD dst_unused:UNUSED_PAD src0_sel:WORD_1 src1_sel:DWORD
	v_or_b32_sdwa v3, v5, v3 dst_sel:WORD_1 dst_unused:UNUSED_PAD src0_sel:DWORD src1_sel:DWORD
	v_mov_b32_e32 v5, 8
	v_lshrrev_b32_sdwa v3, v5, v2 dst_sel:BYTE_1 dst_unused:UNUSED_PRESERVE src0_sel:DWORD src1_sel:DWORD
	v_lshlrev_b16_e32 v2, 8, v6
	v_and_b32_sdwa v5, v4, s4 dst_sel:DWORD dst_unused:UNUSED_PAD src0_sel:WORD_1 src1_sel:DWORD
	s_mov_b32 s5, 0x3060504
	v_or_b32_e32 v2, v5, v2
	s_mov_b32 s4, 0x5040c00
	v_perm_b32 v1, v1, v1, s5
	v_perm_b32 v5, v2, v4, s4
                                        ; implicit-def: $vgpr7
                                        ; implicit-def: $vgpr2
                                        ; implicit-def: $vgpr4
                                        ; implicit-def: $vgpr6
.LBB1472_81:
	s_andn2_saveexec_b64 s[4:5], s[2:3]
	s_cbranch_execz .LBB1472_85
; %bb.82:
	v_add_u32_e32 v3, s37, v11
	v_add_u32_e32 v5, s39, v11
	v_mul_lo_u32 v3, v3, s36
	v_mul_lo_u32 v5, v5, s38
	s_mov_b64 s[8:9], 0
	v_sub_u32_e32 v3, v3, v5
	v_cmp_lt_u32_e32 vcc, s40, v3
	v_cmp_ge_u32_e64 s[2:3], s40, v3
	s_and_saveexec_b64 s[10:11], s[2:3]
	s_cbranch_execz .LBB1472_84
; %bb.83:
	v_add_u32_e32 v3, s42, v11
	v_add_u32_e32 v5, s58, v11
	v_mul_lo_u32 v3, v3, s41
	v_mul_lo_u32 v5, v5, s43
	v_sub_u32_e32 v3, v3, v5
	v_cmp_lt_u32_e64 s[2:3], s59, v3
	s_and_b64 s[8:9], s[2:3], exec
.LBB1472_84:
	s_or_b64 exec, exec, s[10:11]
	s_movk_i32 s2, 0xff
	v_lshlrev_b16_e32 v7, 8, v7
	v_and_b32_sdwa v8, v2, s2 dst_sel:DWORD dst_unused:UNUSED_PAD src0_sel:WORD_1 src1_sel:DWORD
	v_or_b32_sdwa v7, v8, v7 dst_sel:WORD_1 dst_unused:UNUSED_PAD src0_sel:DWORD src1_sel:DWORD
	v_mov_b32_e32 v8, 8
	v_cndmask_b32_e64 v3, 0, 1, vcc
	v_lshrrev_b32_sdwa v2, v8, v2 dst_sel:BYTE_1 dst_unused:UNUSED_PAD src0_sel:DWORD src1_sel:DWORD
	v_cndmask_b32_e64 v5, 0, 1, s[8:9]
	v_or_b32_e32 v2, v3, v2
	v_or_b32_sdwa v3, v2, v7 dst_sel:DWORD dst_unused:UNUSED_PAD src0_sel:WORD_0 src1_sel:DWORD
	v_lshlrev_b16_e32 v2, 8, v5
	v_or_b32_sdwa v2, v4, v2 dst_sel:DWORD dst_unused:UNUSED_PAD src0_sel:BYTE_0 src1_sel:DWORD
	v_lshlrev_b16_e32 v5, 8, v6
	v_and_b32_sdwa v4, v4, s2 dst_sel:DWORD dst_unused:UNUSED_PAD src0_sel:WORD_1 src1_sel:DWORD
	v_or_b32_sdwa v4, v4, v5 dst_sel:WORD_1 dst_unused:UNUSED_PAD src0_sel:DWORD src1_sel:DWORD
	v_or_b32_sdwa v5, v2, v4 dst_sel:DWORD dst_unused:UNUSED_PAD src0_sel:WORD_0 src1_sel:DWORD
.LBB1472_85:
	s_or_b64 exec, exec, s[4:5]
	v_add_u32_e32 v2, 9, v30
	v_cmp_le_u32_e32 vcc, s18, v2
	v_lshrrev_b32_e32 v6, 24, v5
	v_lshrrev_b32_e32 v7, 24, v3
                                        ; implicit-def: $vgpr2
                                        ; implicit-def: $vgpr4
	s_and_saveexec_b64 s[2:3], vcc
	s_xor_b64 s[2:3], exec, s[2:3]
	s_cbranch_execz .LBB1472_87
; %bb.86:
	s_mov_b32 s4, 0x40c0100
	v_perm_b32 v2, v6, v5, s4
	v_mov_b32_e32 v4, 8
	s_movk_i32 s4, 0xff
	v_lshrrev_b32_sdwa v5, v4, v2 dst_sel:BYTE_1 dst_unused:UNUSED_PAD src0_sel:DWORD src1_sel:DWORD
	v_lshlrev_b16_e32 v4, 8, v7
	v_and_b32_sdwa v6, v3, s4 dst_sel:DWORD dst_unused:UNUSED_PAD src0_sel:WORD_1 src1_sel:DWORD
	v_or_b32_e32 v4, v6, v4
	s_mov_b32 s4, 0x5040c00
	v_perm_b32 v4, v4, v3, s4
	s_mov_b32 s4, 0x3060504
	v_or_b32_sdwa v3, v2, v5 dst_sel:DWORD dst_unused:UNUSED_PAD src0_sel:BYTE_0 src1_sel:DWORD
	v_perm_b32 v1, v1, v1, s4
	v_and_b32_e32 v3, 0xffff, v3
	s_mov_b32 s4, 0xff000000
	v_and_or_b32 v2, v2, s4, v3
                                        ; implicit-def: $vgpr3
                                        ; implicit-def: $vgpr7
                                        ; implicit-def: $vgpr5
                                        ; implicit-def: $vgpr6
.LBB1472_87:
	s_andn2_saveexec_b64 s[4:5], s[2:3]
	s_cbranch_execz .LBB1472_91
; %bb.88:
	v_add_u32_e32 v2, s37, v12
	v_add_u32_e32 v4, s39, v12
	v_mul_lo_u32 v2, v2, s36
	v_mul_lo_u32 v4, v4, s38
	s_mov_b64 s[8:9], 0
	v_sub_u32_e32 v2, v2, v4
	v_cmp_lt_u32_e32 vcc, s40, v2
	v_cmp_ge_u32_e64 s[2:3], s40, v2
	s_and_saveexec_b64 s[10:11], s[2:3]
	s_cbranch_execz .LBB1472_90
; %bb.89:
	v_add_u32_e32 v2, s42, v12
	v_add_u32_e32 v4, s58, v12
	v_mul_lo_u32 v2, v2, s41
	v_mul_lo_u32 v4, v4, s43
	v_sub_u32_e32 v2, v2, v4
	v_cmp_lt_u32_e64 s[2:3], s59, v2
	s_and_b64 s[8:9], s[2:3], exec
.LBB1472_90:
	s_or_b64 exec, exec, s[10:11]
	v_cndmask_b32_e64 v2, 0, 1, vcc
	v_lshlrev_b16_e32 v2, 8, v2
	s_movk_i32 s2, 0xff
	v_or_b32_sdwa v2, v3, v2 dst_sel:DWORD dst_unused:UNUSED_PAD src0_sel:BYTE_0 src1_sel:DWORD
	v_lshlrev_b16_e32 v4, 8, v7
	v_and_b32_sdwa v3, v3, s2 dst_sel:DWORD dst_unused:UNUSED_PAD src0_sel:WORD_1 src1_sel:DWORD
	v_or_b32_sdwa v3, v3, v4 dst_sel:WORD_1 dst_unused:UNUSED_PAD src0_sel:DWORD src1_sel:DWORD
	v_or_b32_sdwa v4, v2, v3 dst_sel:DWORD dst_unused:UNUSED_PAD src0_sel:WORD_0 src1_sel:DWORD
	v_mov_b32_e32 v2, 8
	v_cndmask_b32_e64 v8, 0, 1, s[8:9]
	v_lshrrev_b32_sdwa v2, v2, v5 dst_sel:BYTE_1 dst_unused:UNUSED_PAD src0_sel:DWORD src1_sel:DWORD
	v_lshlrev_b16_e32 v3, 8, v6
	v_or_b32_sdwa v2, v5, v2 dst_sel:DWORD dst_unused:UNUSED_PAD src0_sel:BYTE_0 src1_sel:DWORD
	v_or_b32_sdwa v3, v8, v3 dst_sel:WORD_1 dst_unused:UNUSED_PAD src0_sel:DWORD src1_sel:DWORD
	v_or_b32_sdwa v2, v2, v3 dst_sel:DWORD dst_unused:UNUSED_PAD src0_sel:WORD_0 src1_sel:DWORD
.LBB1472_91:
	s_or_b64 exec, exec, s[4:5]
	v_add_u32_e32 v3, 10, v30
	v_cmp_le_u32_e32 vcc, s18, v3
	v_lshrrev_b32_e32 v5, 24, v4
                                        ; implicit-def: $vgpr34
                                        ; implicit-def: $vgpr3
	s_and_saveexec_b64 s[2:3], vcc
	s_xor_b64 s[2:3], exec, s[2:3]
	s_cbranch_execz .LBB1472_93
; %bb.92:
	s_mov_b32 s4, 0x40c0100
	v_perm_b32 v3, v5, v4, s4
	v_mov_b32_e32 v4, 8
	v_lshrrev_b32_sdwa v4, v4, v3 dst_sel:BYTE_1 dst_unused:UNUSED_PAD src0_sel:DWORD src1_sel:DWORD
	v_or_b32_sdwa v4, v3, v4 dst_sel:DWORD dst_unused:UNUSED_PAD src0_sel:BYTE_0 src1_sel:DWORD
	v_and_b32_e32 v4, 0xffff, v4
	s_mov_b32 s4, 0xff000000
	v_and_or_b32 v3, v3, s4, v4
	s_mov_b32 s4, 0x3060504
	v_and_b32_e32 v6, 0xff0000, v2
	v_perm_b32 v1, v1, v1, s4
	s_mov_b32 s4, 0x3020504
	v_perm_b32 v34, v2, v6, s4
                                        ; implicit-def: $vgpr4
                                        ; implicit-def: $vgpr5
                                        ; implicit-def: $vgpr2
.LBB1472_93:
	s_andn2_saveexec_b64 s[4:5], s[2:3]
	s_cbranch_execz .LBB1472_97
; %bb.94:
	v_add_u32_e32 v3, s37, v9
	v_add_u32_e32 v6, s39, v9
	v_mul_lo_u32 v3, v3, s36
	v_mul_lo_u32 v6, v6, s38
	s_mov_b64 s[8:9], 0
	v_sub_u32_e32 v3, v3, v6
	v_cmp_lt_u32_e32 vcc, s40, v3
	v_cmp_ge_u32_e64 s[2:3], s40, v3
	s_and_saveexec_b64 s[10:11], s[2:3]
	s_cbranch_execz .LBB1472_96
; %bb.95:
	v_add_u32_e32 v3, s42, v9
	v_add_u32_e32 v6, s58, v9
	v_mul_lo_u32 v3, v3, s41
	v_mul_lo_u32 v6, v6, s43
	v_sub_u32_e32 v3, v3, v6
	v_cmp_lt_u32_e64 s[2:3], s59, v3
	s_and_b64 s[8:9], s[2:3], exec
.LBB1472_96:
	s_or_b64 exec, exec, s[10:11]
	v_mov_b32_e32 v7, 8
	v_cndmask_b32_e64 v3, 0, 1, vcc
	v_lshrrev_b32_sdwa v8, v7, v4 dst_sel:BYTE_1 dst_unused:UNUSED_PAD src0_sel:DWORD src1_sel:DWORD
	v_lshlrev_b16_e32 v5, 8, v5
	v_or_b32_sdwa v4, v4, v8 dst_sel:DWORD dst_unused:UNUSED_PAD src0_sel:BYTE_0 src1_sel:DWORD
	v_or_b32_sdwa v3, v3, v5 dst_sel:WORD_1 dst_unused:UNUSED_PAD src0_sel:DWORD src1_sel:DWORD
	v_cndmask_b32_e64 v6, 0, 1, s[8:9]
	s_movk_i32 s2, 0xff
	v_or_b32_sdwa v3, v4, v3 dst_sel:DWORD dst_unused:UNUSED_PAD src0_sel:WORD_0 src1_sel:DWORD
	v_lshrrev_b32_sdwa v4, v7, v2 dst_sel:BYTE_1 dst_unused:UNUSED_PAD src0_sel:DWORD src1_sel:DWORD
	v_or_b32_sdwa v4, v2, v4 dst_sel:DWORD dst_unused:UNUSED_PAD src0_sel:BYTE_0 src1_sel:DWORD
	v_lshlrev_b16_e32 v5, 8, v6
	v_and_b32_sdwa v2, v2, s2 dst_sel:DWORD dst_unused:UNUSED_PAD src0_sel:WORD_1 src1_sel:DWORD
	v_or_b32_sdwa v2, v2, v5 dst_sel:WORD_1 dst_unused:UNUSED_PAD src0_sel:DWORD src1_sel:DWORD
	v_or_b32_sdwa v34, v4, v2 dst_sel:DWORD dst_unused:UNUSED_PAD src0_sel:WORD_0 src1_sel:DWORD
.LBB1472_97:
	s_or_b64 exec, exec, s[4:5]
	v_add_u32_e32 v2, 11, v30
	v_mov_b32_e32 v35, 0
	v_cmp_le_u32_e32 vcc, s18, v2
                                        ; implicit-def: $vgpr36
	s_and_saveexec_b64 s[2:3], vcc
	s_xor_b64 s[2:3], exec, s[2:3]
; %bb.98:
	v_and_b32_e32 v2, 0xff0000, v3
	s_mov_b32 s4, 0x3020504
	v_perm_b32 v36, v3, v2, s4
	s_mov_b32 s4, 0x3060504
	v_perm_b32 v1, v1, v1, s4
                                        ; implicit-def: $vgpr3
; %bb.99:
	s_andn2_saveexec_b64 s[4:5], s[2:3]
	s_cbranch_execz .LBB1472_103
; %bb.100:
	v_add_u32_e32 v2, s37, v10
	v_add_u32_e32 v4, s39, v10
	v_mul_lo_u32 v2, v2, s36
	v_mul_lo_u32 v4, v4, s38
	s_mov_b64 s[8:9], 0
	v_sub_u32_e32 v2, v2, v4
	v_cmp_lt_u32_e32 vcc, s40, v2
	v_cmp_ge_u32_e64 s[2:3], s40, v2
	s_and_saveexec_b64 s[10:11], s[2:3]
	s_cbranch_execz .LBB1472_102
; %bb.101:
	v_add_u32_e32 v2, s42, v10
	v_add_u32_e32 v4, s58, v10
	v_mul_lo_u32 v2, v2, s41
	v_mul_lo_u32 v4, v4, s43
	v_sub_u32_e32 v2, v2, v4
	v_cmp_lt_u32_e64 s[2:3], s59, v2
	s_and_b64 s[8:9], s[2:3], exec
.LBB1472_102:
	s_or_b64 exec, exec, s[10:11]
	v_mov_b32_e32 v4, 8
	v_cndmask_b32_e64 v2, 0, 1, vcc
	s_movk_i32 s2, 0xff
	v_lshrrev_b32_sdwa v4, v4, v3 dst_sel:BYTE_1 dst_unused:UNUSED_PAD src0_sel:DWORD src1_sel:DWORD
	v_or_b32_sdwa v4, v3, v4 dst_sel:DWORD dst_unused:UNUSED_PAD src0_sel:BYTE_0 src1_sel:DWORD
	v_lshlrev_b16_e32 v2, 8, v2
	v_and_b32_sdwa v3, v3, s2 dst_sel:DWORD dst_unused:UNUSED_PAD src0_sel:WORD_1 src1_sel:DWORD
	v_or_b32_sdwa v2, v3, v2 dst_sel:WORD_1 dst_unused:UNUSED_PAD src0_sel:DWORD src1_sel:DWORD
	v_cndmask_b32_e64 v35, 0, 1, s[8:9]
	v_or_b32_sdwa v36, v4, v2 dst_sel:DWORD dst_unused:UNUSED_PAD src0_sel:WORD_0 src1_sel:DWORD
.LBB1472_103:
	s_or_b64 exec, exec, s[4:5]
	v_add_u32_e32 v2, 12, v30
	v_cmp_le_u32_e32 vcc, s18, v2
	v_lshrrev_b32_e32 v2, 24, v1
                                        ; implicit-def: $vgpr37
	s_and_saveexec_b64 s[2:3], vcc
	s_xor_b64 s[2:3], exec, s[2:3]
; %bb.104:
	s_movk_i32 s4, 0xff
	v_lshlrev_b16_e32 v2, 8, v2
	v_and_b32_sdwa v4, v1, s4 dst_sel:DWORD dst_unused:UNUSED_PAD src0_sel:WORD_1 src1_sel:DWORD
	v_mov_b32_e32 v3, 8
	v_or_b32_sdwa v37, v4, v2 dst_sel:WORD_1 dst_unused:UNUSED_PAD src0_sel:DWORD src1_sel:DWORD
	v_lshrrev_b32_sdwa v37, v3, v1 dst_sel:BYTE_1 dst_unused:UNUSED_PRESERVE src0_sel:DWORD src1_sel:DWORD
                                        ; implicit-def: $vgpr2
                                        ; implicit-def: $vgpr1
; %bb.105:
	s_or_saveexec_b64 s[4:5], s[2:3]
	v_mov_b32_e32 v38, 0
	s_xor_b64 exec, exec, s[4:5]
	s_cbranch_execz .LBB1472_109
; %bb.106:
	v_add_u32_e32 v3, s37, v29
	v_add_u32_e32 v4, s39, v29
	v_mul_lo_u32 v3, v3, s36
	v_mul_lo_u32 v4, v4, s38
	s_mov_b64 s[8:9], 0
	v_sub_u32_e32 v3, v3, v4
	v_cmp_lt_u32_e32 vcc, s40, v3
	v_cmp_ge_u32_e64 s[2:3], s40, v3
	s_and_saveexec_b64 s[10:11], s[2:3]
	s_cbranch_execz .LBB1472_108
; %bb.107:
	v_add_u32_e32 v3, s42, v29
	v_add_u32_e32 v4, s58, v29
	v_mul_lo_u32 v3, v3, s41
	v_mul_lo_u32 v4, v4, s43
	v_sub_u32_e32 v3, v3, v4
	v_cmp_lt_u32_e64 s[2:3], s59, v3
	s_and_b64 s[8:9], s[2:3], exec
.LBB1472_108:
	s_or_b64 exec, exec, s[10:11]
	s_movk_i32 s2, 0xff
	v_lshlrev_b16_e32 v2, 8, v2
	v_and_b32_sdwa v4, v1, s2 dst_sel:DWORD dst_unused:UNUSED_PAD src0_sel:WORD_1 src1_sel:DWORD
	v_or_b32_sdwa v2, v4, v2 dst_sel:WORD_1 dst_unused:UNUSED_PAD src0_sel:DWORD src1_sel:DWORD
	v_mov_b32_e32 v4, 8
	v_cndmask_b32_e64 v3, 0, 1, vcc
	v_lshrrev_b32_sdwa v1, v4, v1 dst_sel:BYTE_1 dst_unused:UNUSED_PAD src0_sel:DWORD src1_sel:DWORD
	v_or_b32_e32 v1, v3, v1
	v_cndmask_b32_e64 v38, 0, 1, s[8:9]
	v_or_b32_sdwa v37, v1, v2 dst_sel:DWORD dst_unused:UNUSED_PAD src0_sel:WORD_0 src1_sel:DWORD
.LBB1472_109:
	s_or_b64 exec, exec, s[4:5]
.LBB1472_110:
	v_and_b32_e32 v48, 0xff, v31
	v_bfe_u32 v45, v31, 8, 8
	v_bfe_u32 v50, v31, 16, 8
	v_lshrrev_b32_e32 v43, 24, v31
	v_and_b32_e32 v51, 0xff, v33
	v_add3_u32 v4, v45, v48, v50
	v_bfe_u32 v46, v33, 8, 8
	v_bfe_u32 v53, v33, 16, 8
	v_add3_u32 v4, v4, v43, v51
	v_bfe_u32 v49, v37, 8, 8
	v_bfe_u32 v57, v37, 16, 8
	v_lshrrev_b32_e32 v44, 24, v37
	v_lshrrev_b32_e32 v41, 24, v33
	v_and_b32_e32 v54, 0xff, v36
	v_add3_u32 v4, v4, v46, v53
	v_and_b32_e32 v58, 0xff, v32
	v_bfe_u32 v52, v32, 8, 8
	v_bfe_u32 v47, v36, 8, 8
	;; [unrolled: 1-line block ×3, first 2 shown]
	v_add3_u32 v3, v57, v49, v44
	v_add3_u32 v4, v4, v41, v54
	v_bfe_u32 v59, v32, 16, 8
	v_lshrrev_b32_e32 v42, 24, v32
	v_lshrrev_b32_e32 v39, 24, v36
	v_and_b32_e32 v1, 0xff, v37
	v_add3_u32 v3, v3, v58, v52
	v_add3_u32 v4, v4, v47, v56
	v_and_b32_e32 v60, 0xff, v34
	v_bfe_u32 v55, v34, 8, 8
	v_add3_u32 v3, v3, v59, v42
	v_add3_u32 v68, v4, v39, v1
	v_mbcnt_lo_u32_b32 v1, -1, 0
	v_bfe_u32 v61, v34, 16, 8
	v_lshrrev_b32_e32 v40, 24, v34
	v_add3_u32 v3, v3, v60, v55
	v_mbcnt_hi_u32_b32 v63, -1, v1
	v_and_b32_e32 v62, 0xff, v35
	v_and_b32_e32 v2, 0xff, v38
	v_add3_u32 v3, v3, v61, v40
	v_and_b32_e32 v67, 15, v63
	s_cmp_lg_u32 s6, 0
	v_add3_u32 v69, v3, v62, v2
	v_cmp_eq_u32_e64 s[4:5], 0, v67
	v_cmp_lt_u32_e64 s[2:3], 1, v67
	v_cmp_lt_u32_e64 s[8:9], 3, v67
	;; [unrolled: 1-line block ×3, first 2 shown]
	v_and_b32_e32 v66, 16, v63
	v_cmp_lt_u32_e32 vcc, 31, v63
	v_lshrrev_b32_e32 v64, 6, v0
	v_or_b32_e32 v65, 63, v0
	s_cbranch_scc0 .LBB1472_132
; %bb.111:
	v_mov_b32_dpp v1, v68 row_shr:1 row_mask:0xf bank_mask:0xf
	v_mov_b32_dpp v2, v69 row_shr:1 row_mask:0xf bank_mask:0xf
	v_add_u32_e32 v1, v1, v68
	v_add_u32_e32 v2, v2, v69
	v_cndmask_b32_e64 v2, v2, v69, s[4:5]
	v_cndmask_b32_e64 v1, v1, v68, s[4:5]
	s_nop 0
	v_mov_b32_dpp v4, v2 row_shr:2 row_mask:0xf bank_mask:0xf
	v_mov_b32_dpp v3, v1 row_shr:2 row_mask:0xf bank_mask:0xf
	v_add_u32_e32 v3, v1, v3
	v_add_u32_e32 v4, v2, v4
	v_cndmask_b32_e64 v2, v2, v4, s[2:3]
	v_cndmask_b32_e64 v1, v1, v3, s[2:3]
	s_nop 0
	v_mov_b32_dpp v4, v2 row_shr:4 row_mask:0xf bank_mask:0xf
	v_mov_b32_dpp v3, v1 row_shr:4 row_mask:0xf bank_mask:0xf
	v_add_u32_e32 v3, v1, v3
	v_add_u32_e32 v4, v2, v4
	v_cndmask_b32_e64 v2, v2, v4, s[8:9]
	v_cndmask_b32_e64 v1, v1, v3, s[8:9]
	v_cmp_eq_u32_e64 s[8:9], 0, v66
	v_mov_b32_dpp v4, v2 row_shr:8 row_mask:0xf bank_mask:0xf
	v_mov_b32_dpp v3, v1 row_shr:8 row_mask:0xf bank_mask:0xf
	v_add_u32_e32 v3, v1, v3
	v_add_u32_e32 v4, v2, v4
	v_cndmask_b32_e64 v2, v2, v4, s[10:11]
	v_cndmask_b32_e64 v3, v1, v3, s[10:11]
	s_nop 0
	v_mov_b32_dpp v4, v2 row_bcast:15 row_mask:0xf bank_mask:0xf
	v_mov_b32_dpp v1, v3 row_bcast:15 row_mask:0xf bank_mask:0xf
	v_add_u32_e32 v5, v3, v1
	v_add_u32_e32 v1, v2, v4
	v_cndmask_b32_e64 v1, v1, v2, s[8:9]
	v_cndmask_b32_e64 v2, v5, v3, s[8:9]
	v_cmp_eq_u32_e64 s[8:9], v0, v65
	v_mov_b32_dpp v3, v1 row_bcast:31 row_mask:0xf bank_mask:0xf
	v_mov_b32_dpp v4, v2 row_bcast:31 row_mask:0xf bank_mask:0xf
	v_add_u32_e32 v3, v1, v3
	v_add_u32_e32 v4, v2, v4
	s_and_saveexec_b64 s[10:11], s[8:9]
; %bb.112:
	v_lshlrev_b32_e32 v7, 3, v64
	v_cndmask_b32_e32 v6, v1, v3, vcc
	v_cndmask_b32_e32 v5, v2, v4, vcc
	ds_write_b64 v7, v[5:6]
; %bb.113:
	s_or_b64 exec, exec, s[10:11]
	v_cmp_gt_u32_e64 s[8:9], 4, v0
	s_waitcnt lgkmcnt(0)
	s_barrier
	s_and_saveexec_b64 s[10:11], s[8:9]
	s_cbranch_execz .LBB1472_115
; %bb.114:
	v_lshlrev_b32_e32 v7, 3, v0
	ds_read_b64 v[5:6], v7
	v_and_b32_e32 v8, 3, v63
	v_cmp_eq_u32_e64 s[8:9], 0, v8
	s_waitcnt lgkmcnt(0)
	v_mov_b32_dpp v21, v5 row_shr:1 row_mask:0xf bank_mask:0xf
	v_mov_b32_dpp v22, v6 row_shr:1 row_mask:0xf bank_mask:0xf
	v_add_u32_e32 v21, v21, v5
	v_add_u32_e32 v22, v22, v6
	v_cndmask_b32_e64 v6, v22, v6, s[8:9]
	v_cndmask_b32_e64 v5, v21, v5, s[8:9]
	v_cmp_lt_u32_e64 s[8:9], 1, v8
	v_mov_b32_dpp v22, v6 row_shr:2 row_mask:0xf bank_mask:0xf
	v_mov_b32_dpp v21, v5 row_shr:2 row_mask:0xf bank_mask:0xf
	v_cndmask_b32_e64 v8, 0, v21, s[8:9]
	v_cndmask_b32_e64 v21, 0, v22, s[8:9]
	v_add_u32_e32 v6, v21, v6
	v_add_u32_e32 v5, v8, v5
	ds_write_b64 v7, v[5:6]
.LBB1472_115:
	s_or_b64 exec, exec, s[10:11]
	v_cndmask_b32_e32 v1, v1, v3, vcc
	v_cndmask_b32_e32 v2, v2, v4, vcc
	v_cmp_gt_u32_e32 vcc, 64, v0
	v_cmp_lt_u32_e64 s[8:9], 63, v0
	s_waitcnt lgkmcnt(0)
	s_barrier
                                        ; implicit-def: $vgpr21
	s_and_saveexec_b64 s[10:11], s[8:9]
	s_cbranch_execz .LBB1472_117
; %bb.116:
	v_lshl_add_u32 v3, v64, 3, -8
	ds_read_b64 v[21:22], v3
	s_waitcnt lgkmcnt(0)
	v_add_u32_e32 v1, v22, v1
	v_add_u32_e32 v2, v21, v2
.LBB1472_117:
	s_or_b64 exec, exec, s[10:11]
	v_subrev_co_u32_e64 v3, s[8:9], 1, v63
	v_and_b32_e32 v4, 64, v63
	v_cmp_lt_i32_e64 s[10:11], v3, v4
	v_cndmask_b32_e64 v3, v3, v63, s[10:11]
	v_lshlrev_b32_e32 v3, 2, v3
	ds_bpermute_b32 v70, v3, v2
	ds_bpermute_b32 v71, v3, v1
	s_and_saveexec_b64 s[10:11], vcc
	s_cbranch_execz .LBB1472_137
; %bb.118:
	v_mov_b32_e32 v4, 0
	ds_read_b64 v[1:2], v4 offset:24
	s_and_saveexec_b64 s[14:15], s[8:9]
	s_cbranch_execz .LBB1472_120
; %bb.119:
	s_add_i32 s16, s6, 64
	s_mov_b32 s17, 0
	s_lshl_b64 s[16:17], s[16:17], 4
	s_add_u32 s16, s12, s16
	s_addc_u32 s17, s13, s17
	v_mov_b32_e32 v5, s16
	v_mov_b32_e32 v3, 1
	;; [unrolled: 1-line block ×3, first 2 shown]
	s_waitcnt lgkmcnt(0)
	;;#ASMSTART
	global_store_dwordx4 v[5:6], v[1:4] off	
s_waitcnt vmcnt(0)
	;;#ASMEND
.LBB1472_120:
	s_or_b64 exec, exec, s[14:15]
	v_xad_u32 v23, v63, -1, s6
	v_add_u32_e32 v3, 64, v23
	v_lshlrev_b64 v[5:6], 4, v[3:4]
	v_mov_b32_e32 v3, s13
	v_add_co_u32_e32 v24, vcc, s12, v5
	v_addc_co_u32_e32 v25, vcc, v3, v6, vcc
	;;#ASMSTART
	global_load_dwordx4 v[5:8], v[24:25] off glc	
s_waitcnt vmcnt(0)
	;;#ASMEND
	v_cmp_eq_u16_sdwa s[16:17], v7, v4 src0_sel:BYTE_0 src1_sel:DWORD
	s_and_saveexec_b64 s[14:15], s[16:17]
	s_cbranch_execz .LBB1472_124
; %bb.121:
	s_mov_b64 s[16:17], 0
	v_mov_b32_e32 v3, 0
.LBB1472_122:                           ; =>This Inner Loop Header: Depth=1
	;;#ASMSTART
	global_load_dwordx4 v[5:8], v[24:25] off glc	
s_waitcnt vmcnt(0)
	;;#ASMEND
	v_cmp_ne_u16_sdwa s[20:21], v7, v3 src0_sel:BYTE_0 src1_sel:DWORD
	s_or_b64 s[16:17], s[20:21], s[16:17]
	s_andn2_b64 exec, exec, s[16:17]
	s_cbranch_execnz .LBB1472_122
; %bb.123:
	s_or_b64 exec, exec, s[16:17]
.LBB1472_124:
	s_or_b64 exec, exec, s[14:15]
	v_and_b32_e32 v73, 63, v63
	v_cmp_ne_u32_e32 vcc, 63, v73
	v_mov_b32_e32 v72, 2
	v_lshlrev_b64 v[25:26], v63, -1
	v_addc_co_u32_e32 v8, vcc, 0, v63, vcc
	v_cmp_eq_u16_sdwa s[14:15], v7, v72 src0_sel:BYTE_0 src1_sel:DWORD
	v_lshlrev_b32_e32 v74, 2, v8
	v_and_b32_e32 v3, s15, v26
	ds_bpermute_b32 v8, v74, v5
	ds_bpermute_b32 v24, v74, v6
	v_or_b32_e32 v3, 0x80000000, v3
	v_and_b32_e32 v4, s14, v25
	v_ffbl_b32_e32 v3, v3
	v_add_u32_e32 v3, 32, v3
	v_ffbl_b32_e32 v4, v4
	v_min_u32_e32 v3, v4, v3
	s_waitcnt lgkmcnt(1)
	v_add_u32_e32 v4, v8, v5
	s_waitcnt lgkmcnt(0)
	v_add_u32_e32 v8, v24, v6
	v_cmp_lt_u32_e32 vcc, v73, v3
	v_cndmask_b32_e32 v6, v6, v8, vcc
	v_cndmask_b32_e32 v4, v5, v4, vcc
	v_cmp_gt_u32_e32 vcc, 62, v73
	v_cndmask_b32_e64 v5, 0, 2, vcc
	v_add_lshl_u32 v75, v5, v63, 2
	ds_bpermute_b32 v5, v75, v4
	ds_bpermute_b32 v8, v75, v6
	v_add_u32_e32 v76, 2, v73
	v_cmp_gt_u32_e32 vcc, v76, v3
	v_add_u32_e32 v78, 4, v73
	s_waitcnt lgkmcnt(1)
	v_add_u32_e32 v5, v4, v5
	s_waitcnt lgkmcnt(0)
	v_add_u32_e32 v8, v6, v8
	v_cndmask_b32_e32 v6, v8, v6, vcc
	v_cndmask_b32_e32 v4, v5, v4, vcc
	v_cmp_gt_u32_e32 vcc, 60, v73
	v_cndmask_b32_e64 v5, 0, 4, vcc
	v_add_lshl_u32 v77, v5, v63, 2
	ds_bpermute_b32 v5, v77, v4
	ds_bpermute_b32 v8, v77, v6
	v_cmp_gt_u32_e32 vcc, v78, v3
	v_add_u32_e32 v80, 8, v73
	v_add_u32_e32 v82, 16, v73
	s_waitcnt lgkmcnt(1)
	v_add_u32_e32 v5, v4, v5
	s_waitcnt lgkmcnt(0)
	v_add_u32_e32 v8, v6, v8
	v_cndmask_b32_e32 v6, v8, v6, vcc
	v_cndmask_b32_e32 v4, v5, v4, vcc
	v_cmp_gt_u32_e32 vcc, 56, v73
	v_cndmask_b32_e64 v5, 0, 8, vcc
	v_add_lshl_u32 v79, v5, v63, 2
	ds_bpermute_b32 v5, v79, v4
	ds_bpermute_b32 v8, v79, v6
	v_cmp_gt_u32_e32 vcc, v80, v3
	v_add_u32_e32 v84, 32, v73
	v_mov_b32_e32 v24, 0
	s_waitcnt lgkmcnt(1)
	v_add_u32_e32 v5, v4, v5
	s_waitcnt lgkmcnt(0)
	v_add_u32_e32 v8, v6, v8
	v_cndmask_b32_e32 v6, v8, v6, vcc
	v_cndmask_b32_e32 v4, v5, v4, vcc
	v_cmp_gt_u32_e32 vcc, 48, v73
	v_cndmask_b32_e64 v5, 0, 16, vcc
	v_add_lshl_u32 v81, v5, v63, 2
	ds_bpermute_b32 v5, v81, v4
	ds_bpermute_b32 v8, v81, v6
	v_cmp_gt_u32_e32 vcc, v82, v3
	s_waitcnt lgkmcnt(1)
	v_add_u32_e32 v5, v4, v5
	s_waitcnt lgkmcnt(0)
	v_add_u32_e32 v8, v6, v8
	v_cndmask_b32_e32 v4, v5, v4, vcc
	v_mov_b32_e32 v5, 0x80
	v_cndmask_b32_e32 v6, v8, v6, vcc
	v_lshl_or_b32 v83, v63, 2, v5
	ds_bpermute_b32 v5, v83, v4
	ds_bpermute_b32 v8, v83, v6
	v_cmp_le_u32_e32 vcc, v84, v3
	s_waitcnt lgkmcnt(1)
	v_cndmask_b32_e32 v3, 0, v5, vcc
	s_waitcnt lgkmcnt(0)
	v_cndmask_b32_e32 v5, 0, v8, vcc
	v_add_u32_e32 v6, v6, v5
	v_add_u32_e32 v5, v4, v3
	s_branch .LBB1472_128
.LBB1472_125:                           ;   in Loop: Header=BB1472_128 Depth=1
	s_or_b64 exec, exec, s[16:17]
.LBB1472_126:                           ;   in Loop: Header=BB1472_128 Depth=1
	s_or_b64 exec, exec, s[14:15]
	v_cmp_eq_u16_sdwa s[14:15], v7, v72 src0_sel:BYTE_0 src1_sel:DWORD
	v_and_b32_e32 v8, s15, v26
	ds_bpermute_b32 v28, v74, v5
	ds_bpermute_b32 v85, v74, v6
	v_or_b32_e32 v8, 0x80000000, v8
	v_and_b32_e32 v27, s14, v25
	v_ffbl_b32_e32 v8, v8
	v_add_u32_e32 v8, 32, v8
	v_ffbl_b32_e32 v27, v27
	v_min_u32_e32 v8, v27, v8
	s_waitcnt lgkmcnt(1)
	v_add_u32_e32 v27, v28, v5
	s_waitcnt lgkmcnt(0)
	v_add_u32_e32 v28, v85, v6
	v_cmp_lt_u32_e32 vcc, v73, v8
	v_cndmask_b32_e32 v6, v6, v28, vcc
	v_cndmask_b32_e32 v5, v5, v27, vcc
	ds_bpermute_b32 v27, v75, v5
	ds_bpermute_b32 v28, v75, v6
	v_cmp_gt_u32_e32 vcc, v76, v8
	v_subrev_u32_e32 v23, 64, v23
	s_mov_b64 s[14:15], 0
	s_waitcnt lgkmcnt(1)
	v_add_u32_e32 v27, v5, v27
	s_waitcnt lgkmcnt(0)
	v_add_u32_e32 v28, v6, v28
	v_cndmask_b32_e32 v6, v28, v6, vcc
	v_cndmask_b32_e32 v5, v27, v5, vcc
	ds_bpermute_b32 v27, v77, v5
	ds_bpermute_b32 v28, v77, v6
	v_cmp_gt_u32_e32 vcc, v78, v8
	s_waitcnt lgkmcnt(1)
	v_add_u32_e32 v27, v5, v27
	s_waitcnt lgkmcnt(0)
	v_add_u32_e32 v28, v6, v28
	v_cndmask_b32_e32 v6, v28, v6, vcc
	v_cndmask_b32_e32 v5, v27, v5, vcc
	ds_bpermute_b32 v27, v79, v5
	ds_bpermute_b32 v28, v79, v6
	v_cmp_gt_u32_e32 vcc, v80, v8
	;; [unrolled: 9-line block ×3, first 2 shown]
	s_waitcnt lgkmcnt(1)
	v_add_u32_e32 v27, v5, v27
	s_waitcnt lgkmcnt(0)
	v_add_u32_e32 v28, v6, v28
	v_cndmask_b32_e32 v6, v28, v6, vcc
	v_cndmask_b32_e32 v5, v27, v5, vcc
	ds_bpermute_b32 v27, v83, v5
	ds_bpermute_b32 v28, v83, v6
	v_cmp_le_u32_e32 vcc, v84, v8
	s_waitcnt lgkmcnt(1)
	v_cndmask_b32_e32 v8, 0, v27, vcc
	s_waitcnt lgkmcnt(0)
	v_cndmask_b32_e32 v27, 0, v28, vcc
	v_add3_u32 v6, v27, v4, v6
	v_add3_u32 v5, v8, v3, v5
.LBB1472_127:                           ;   in Loop: Header=BB1472_128 Depth=1
	s_and_b64 vcc, exec, s[14:15]
	s_cbranch_vccnz .LBB1472_133
.LBB1472_128:                           ; =>This Loop Header: Depth=1
                                        ;     Child Loop BB1472_131 Depth 2
	v_mov_b32_e32 v3, v5
	v_cmp_ne_u16_sdwa s[14:15], v7, v72 src0_sel:BYTE_0 src1_sel:DWORD
	v_mov_b32_e32 v4, v6
	s_cmp_lg_u64 s[14:15], exec
	s_mov_b64 s[14:15], -1
                                        ; implicit-def: $vgpr7
                                        ; implicit-def: $vgpr5_vgpr6
	s_cbranch_scc1 .LBB1472_127
; %bb.129:                              ;   in Loop: Header=BB1472_128 Depth=1
	v_lshlrev_b64 v[5:6], 4, v[23:24]
	v_mov_b32_e32 v7, s13
	v_add_co_u32_e32 v27, vcc, s12, v5
	v_addc_co_u32_e32 v28, vcc, v7, v6, vcc
	;;#ASMSTART
	global_load_dwordx4 v[5:8], v[27:28] off glc	
s_waitcnt vmcnt(0)
	;;#ASMEND
	v_cmp_eq_u16_sdwa s[16:17], v7, v24 src0_sel:BYTE_0 src1_sel:DWORD
	s_and_saveexec_b64 s[14:15], s[16:17]
	s_cbranch_execz .LBB1472_126
; %bb.130:                              ;   in Loop: Header=BB1472_128 Depth=1
	s_mov_b64 s[16:17], 0
.LBB1472_131:                           ;   Parent Loop BB1472_128 Depth=1
                                        ; =>  This Inner Loop Header: Depth=2
	;;#ASMSTART
	global_load_dwordx4 v[5:8], v[27:28] off glc	
s_waitcnt vmcnt(0)
	;;#ASMEND
	v_cmp_ne_u16_sdwa s[20:21], v7, v24 src0_sel:BYTE_0 src1_sel:DWORD
	s_or_b64 s[16:17], s[20:21], s[16:17]
	s_andn2_b64 exec, exec, s[16:17]
	s_cbranch_execnz .LBB1472_131
	s_branch .LBB1472_125
.LBB1472_132:
                                        ; implicit-def: $vgpr22
                                        ; implicit-def: $vgpr3
                                        ; implicit-def: $vgpr23
	s_cbranch_execnz .LBB1472_138
	s_branch .LBB1472_147
.LBB1472_133:
	s_and_saveexec_b64 s[14:15], s[8:9]
	s_cbranch_execnz .LBB1472_375
; %bb.134:
	s_or_b64 exec, exec, s[14:15]
	s_and_saveexec_b64 s[6:7], s[8:9]
	s_cbranch_execnz .LBB1472_376
.LBB1472_135:
	s_or_b64 exec, exec, s[6:7]
	v_cmp_eq_u32_e32 vcc, 0, v0
	s_and_b64 exec, exec, vcc
.LBB1472_136:
	v_mov_b32_e32 v1, 0
	ds_write_b64 v1, v[3:4] offset:24
.LBB1472_137:
	s_or_b64 exec, exec, s[10:11]
	v_mov_b32_e32 v1, 0
	s_waitcnt lgkmcnt(0)
	s_barrier
	ds_read_b64 v[5:6], v1 offset:24
	v_cndmask_b32_e64 v2, v71, v22, s[8:9]
	v_cndmask_b32_e64 v3, v70, v21, s[8:9]
	s_waitcnt lgkmcnt(0)
	s_barrier
	v_add_u32_e32 v7, v5, v3
	v_add_u32_e32 v8, v6, v2
	ds_read_b128 v[1:4], v1 offset:13312
	v_cmp_eq_u32_e32 vcc, 0, v0
	v_cndmask_b32_e32 v22, v8, v6, vcc
	v_cndmask_b32_e32 v23, v7, v5, vcc
	s_branch .LBB1472_147
.LBB1472_138:
	s_waitcnt lgkmcnt(0)
	v_mov_b32_dpp v1, v68 row_shr:1 row_mask:0xf bank_mask:0xf
	v_mov_b32_dpp v2, v69 row_shr:1 row_mask:0xf bank_mask:0xf
	v_add_u32_e32 v1, v1, v68
	v_add_u32_e32 v2, v2, v69
	v_cndmask_b32_e64 v2, v2, v69, s[4:5]
	v_cndmask_b32_e64 v1, v1, v68, s[4:5]
	v_cmp_lt_u32_e32 vcc, 3, v67
	v_mov_b32_dpp v4, v2 row_shr:2 row_mask:0xf bank_mask:0xf
	v_mov_b32_dpp v3, v1 row_shr:2 row_mask:0xf bank_mask:0xf
	v_add_u32_e32 v3, v1, v3
	v_add_u32_e32 v4, v2, v4
	v_cndmask_b32_e64 v2, v2, v4, s[2:3]
	v_cndmask_b32_e64 v1, v1, v3, s[2:3]
	v_cmp_eq_u32_e64 s[2:3], v0, v65
	v_mov_b32_dpp v4, v2 row_shr:4 row_mask:0xf bank_mask:0xf
	v_mov_b32_dpp v3, v1 row_shr:4 row_mask:0xf bank_mask:0xf
	v_add_u32_e32 v3, v1, v3
	v_add_u32_e32 v4, v2, v4
	v_cndmask_b32_e32 v2, v2, v4, vcc
	v_cndmask_b32_e32 v1, v1, v3, vcc
	v_cmp_lt_u32_e32 vcc, 7, v67
	v_mov_b32_dpp v4, v2 row_shr:8 row_mask:0xf bank_mask:0xf
	v_mov_b32_dpp v3, v1 row_shr:8 row_mask:0xf bank_mask:0xf
	v_add_u32_e32 v3, v1, v3
	v_add_u32_e32 v4, v2, v4
	v_cndmask_b32_e32 v2, v2, v4, vcc
	v_cndmask_b32_e32 v3, v1, v3, vcc
	v_cmp_eq_u32_e32 vcc, 0, v66
	v_mov_b32_dpp v4, v2 row_bcast:15 row_mask:0xf bank_mask:0xf
	v_mov_b32_dpp v1, v3 row_bcast:15 row_mask:0xf bank_mask:0xf
	v_add_u32_e32 v5, v3, v1
	v_add_u32_e32 v1, v2, v4
	v_cndmask_b32_e32 v1, v1, v2, vcc
	v_cndmask_b32_e32 v2, v5, v3, vcc
	v_cmp_lt_u32_e32 vcc, 31, v63
	v_mov_b32_dpp v3, v1 row_bcast:31 row_mask:0xf bank_mask:0xf
	v_mov_b32_dpp v4, v2 row_bcast:31 row_mask:0xf bank_mask:0xf
	v_add_u32_e32 v3, v1, v3
	v_add_u32_e32 v4, v2, v4
	s_and_saveexec_b64 s[4:5], s[2:3]
; %bb.139:
	v_cndmask_b32_e32 v5, v2, v4, vcc
	v_cndmask_b32_e32 v6, v1, v3, vcc
	v_lshlrev_b32_e32 v7, 3, v64
	ds_write_b64 v7, v[5:6]
; %bb.140:
	s_or_b64 exec, exec, s[4:5]
	v_cmp_gt_u32_e64 s[2:3], 4, v0
	s_waitcnt lgkmcnt(0)
	s_barrier
	s_and_saveexec_b64 s[4:5], s[2:3]
	s_cbranch_execz .LBB1472_142
; %bb.141:
	v_lshlrev_b32_e32 v7, 3, v0
	ds_read_b64 v[5:6], v7
	v_and_b32_e32 v8, 3, v63
	v_cmp_eq_u32_e64 s[2:3], 0, v8
	s_waitcnt lgkmcnt(0)
	v_mov_b32_dpp v21, v5 row_shr:1 row_mask:0xf bank_mask:0xf
	v_mov_b32_dpp v22, v6 row_shr:1 row_mask:0xf bank_mask:0xf
	v_add_u32_e32 v21, v21, v5
	v_add_u32_e32 v22, v22, v6
	v_cndmask_b32_e64 v6, v22, v6, s[2:3]
	v_cndmask_b32_e64 v5, v21, v5, s[2:3]
	v_cmp_lt_u32_e64 s[2:3], 1, v8
	v_mov_b32_dpp v22, v6 row_shr:2 row_mask:0xf bank_mask:0xf
	v_mov_b32_dpp v21, v5 row_shr:2 row_mask:0xf bank_mask:0xf
	v_cndmask_b32_e64 v8, 0, v21, s[2:3]
	v_cndmask_b32_e64 v21, 0, v22, s[2:3]
	v_add_u32_e32 v6, v21, v6
	v_add_u32_e32 v5, v8, v5
	ds_write_b64 v7, v[5:6]
.LBB1472_142:
	s_or_b64 exec, exec, s[4:5]
	v_cmp_lt_u32_e64 s[2:3], 63, v0
	v_mov_b32_e32 v7, 0
	v_mov_b32_e32 v5, 0
	;; [unrolled: 1-line block ×3, first 2 shown]
	s_waitcnt lgkmcnt(0)
	s_barrier
	s_and_saveexec_b64 s[4:5], s[2:3]
; %bb.143:
	v_lshl_add_u32 v5, v64, 3, -8
	ds_read_b64 v[5:6], v5
; %bb.144:
	s_or_b64 exec, exec, s[4:5]
	v_cndmask_b32_e32 v2, v2, v4, vcc
	v_cndmask_b32_e32 v1, v1, v3, vcc
	v_subrev_co_u32_e32 v3, vcc, 1, v63
	v_and_b32_e32 v4, 64, v63
	v_cmp_lt_i32_e64 s[2:3], v3, v4
	v_cndmask_b32_e64 v3, v3, v63, s[2:3]
	s_waitcnt lgkmcnt(0)
	v_add_u32_e32 v1, v6, v1
	v_add_u32_e32 v2, v5, v2
	v_lshlrev_b32_e32 v3, 2, v3
	ds_bpermute_b32 v8, v3, v2
	ds_bpermute_b32 v21, v3, v1
	ds_read_b64 v[1:2], v7 offset:24
	v_cmp_eq_u32_e64 s[2:3], 0, v0
	s_and_saveexec_b64 s[4:5], s[2:3]
	s_cbranch_execz .LBB1472_146
; %bb.145:
	s_add_u32 s6, s12, 0x400
	s_addc_u32 s7, s13, 0
	v_mov_b32_e32 v23, s7
	v_mov_b32_e32 v3, 2
	v_mov_b32_e32 v4, 0
	v_mov_b32_e32 v22, s6
	s_waitcnt lgkmcnt(0)
	;;#ASMSTART
	global_store_dwordx4 v[22:23], v[1:4] off	
s_waitcnt vmcnt(0)
	;;#ASMEND
.LBB1472_146:
	s_or_b64 exec, exec, s[4:5]
	s_waitcnt lgkmcnt(2)
	v_cndmask_b32_e32 v3, v8, v5, vcc
	s_waitcnt lgkmcnt(1)
	v_cndmask_b32_e32 v4, v21, v6, vcc
	v_cndmask_b32_e64 v22, v4, 0, s[2:3]
	v_cndmask_b32_e64 v23, v3, 0, s[2:3]
	v_mov_b32_e32 v4, 0
	v_mov_b32_e32 v3, 0
	s_waitcnt lgkmcnt(0)
	s_barrier
.LBB1472_147:
	v_mov_b32_e32 v6, s49
	s_waitcnt lgkmcnt(0)
	v_add_co_u32_e32 v5, vcc, s48, v3
	v_addc_co_u32_e32 v6, vcc, 0, v6, vcc
	v_mov_b32_e32 v27, s51
	v_sub_co_u32_e32 v28, vcc, s50, v1
	v_subbrev_co_u32_e32 v69, vcc, 0, v27, vcc
	v_add_co_u32_e32 v27, vcc, v28, v4
	v_add_u32_e32 v49, v22, v49
	v_addc_co_u32_e32 v28, vcc, 0, v69, vcc
	v_lshlrev_b32_e32 v69, 1, v1
	v_sub_u32_e32 v22, v22, v4
	v_lshrrev_b32_e32 v26, 8, v37
	v_add_u32_e32 v48, v23, v48
	v_add_u32_e32 v70, v69, v2
	v_sub_u32_e32 v23, v23, v3
	v_add_u32_e32 v22, v22, v1
	v_add_u32_e32 v30, v70, v30
	v_and_b32_e32 v26, 1, v26
	v_add_u32_e32 v71, v23, v22
	v_and_b32_e32 v70, 1, v31
	v_sub_u32_e32 v71, v30, v71
	v_cmp_eq_u32_e32 vcc, 1, v26
	v_cndmask_b32_e32 v22, v71, v22, vcc
	v_cmp_eq_u32_e32 vcc, 1, v70
	v_cndmask_b32_e32 v22, v22, v23, vcc
	v_lshlrev_b32_e32 v22, 2, v22
	v_sub_u32_e32 v23, v49, v4
	v_lshrrev_b32_e32 v25, 8, v31
	ds_write_b32 v22, v19
	v_sub_u32_e32 v19, v48, v3
	v_add_u32_e32 v23, v23, v1
	v_add_u32_e32 v45, v48, v45
	v_and_b32_e32 v22, 1, v25
	v_mov_b32_e32 v25, 1
	v_add_u32_e32 v48, v23, v19
	v_and_b32_sdwa v26, v25, v37 dst_sel:DWORD dst_unused:UNUSED_PAD src0_sel:DWORD src1_sel:WORD_1
	v_sub_u32_e32 v48, v30, v48
	v_add_u32_e32 v48, 1, v48
	v_cmp_eq_u32_e32 vcc, 1, v26
	v_cndmask_b32_e32 v23, v48, v23, vcc
	v_cmp_eq_u32_e32 vcc, 1, v22
	v_add_u32_e32 v57, v49, v57
	v_cndmask_b32_e32 v19, v23, v19, vcc
	v_lshlrev_b32_e32 v19, 2, v19
	v_sub_u32_e32 v22, v57, v4
	ds_write_b32 v19, v20
	v_sub_u32_e32 v19, v45, v3
	v_add_u32_e32 v22, v22, v1
	v_add_u32_e32 v26, v22, v19
	v_and_b32_e32 v23, 1, v44
	v_sub_u32_e32 v26, v30, v26
	v_and_b32_sdwa v20, v25, v31 dst_sel:DWORD dst_unused:UNUSED_PAD src0_sel:DWORD src1_sel:WORD_1
	v_add_u32_e32 v26, 2, v26
	v_cmp_eq_u32_e32 vcc, 1, v23
	v_cndmask_b32_e32 v22, v26, v22, vcc
	v_cmp_eq_u32_e32 vcc, 1, v20
	v_add_u32_e32 v63, v57, v44
	v_cndmask_b32_e32 v19, v22, v19, vcc
	v_add_u32_e32 v50, v45, v50
	v_lshlrev_b32_e32 v19, 2, v19
	v_sub_u32_e32 v20, v63, v4
	ds_write_b32 v19, v17
	v_sub_u32_e32 v17, v50, v3
	v_add_u32_e32 v20, v20, v1
	v_add_u32_e32 v23, v17, v20
	v_and_b32_e32 v22, 1, v32
	v_sub_u32_e32 v23, v30, v23
	v_and_b32_e32 v19, 1, v43
	v_add_u32_e32 v23, 3, v23
	v_cmp_eq_u32_e32 vcc, 1, v22
	v_cndmask_b32_e32 v20, v23, v20, vcc
	v_cmp_eq_u32_e32 vcc, 1, v19
	v_add_u32_e32 v58, v63, v58
	v_cndmask_b32_e32 v17, v20, v17, vcc
	v_add_u32_e32 v64, v50, v43
	v_lshlrev_b32_e32 v17, 2, v17
	v_sub_u32_e32 v19, v58, v4
	ds_write_b32 v17, v18
	v_sub_u32_e32 v17, v64, v3
	v_add_u32_e32 v19, v19, v1
	v_lshrrev_b32_e32 v24, 8, v32
	v_add_u32_e32 v22, v17, v19
	v_and_b32_e32 v20, 1, v24
	v_sub_u32_e32 v22, v30, v22
	v_and_b32_e32 v18, 1, v33
	v_add_u32_e32 v22, 4, v22
	v_cmp_eq_u32_e32 vcc, 1, v20
	v_cndmask_b32_e32 v19, v22, v19, vcc
	v_cmp_eq_u32_e32 vcc, 1, v18
	v_add_u32_e32 v52, v58, v52
	v_cndmask_b32_e32 v17, v19, v17, vcc
	v_add_u32_e32 v51, v64, v51
	v_lshlrev_b32_e32 v17, 2, v17
	v_sub_u32_e32 v18, v52, v4
	ds_write_b32 v17, v15
	v_sub_u32_e32 v15, v51, v3
	v_add_u32_e32 v18, v18, v1
	v_add_u32_e32 v20, v15, v18
	v_lshrrev_b32_e32 v21, 8, v33
	v_and_b32_sdwa v19, v25, v32 dst_sel:DWORD dst_unused:UNUSED_PAD src0_sel:DWORD src1_sel:WORD_1
	v_sub_u32_e32 v20, v30, v20
	v_and_b32_e32 v17, 1, v21
	v_add_u32_e32 v20, 5, v20
	v_cmp_eq_u32_e32 vcc, 1, v19
	v_cndmask_b32_e32 v18, v20, v18, vcc
	v_cmp_eq_u32_e32 vcc, 1, v17
	v_add_u32_e32 v59, v52, v59
	v_cndmask_b32_e32 v15, v18, v15, vcc
	v_add_u32_e32 v46, v51, v46
	v_lshlrev_b32_e32 v15, 2, v15
	v_sub_u32_e32 v17, v59, v4
	ds_write_b32 v15, v16
	v_sub_u32_e32 v15, v46, v3
	v_add_u32_e32 v17, v17, v1
	v_add_u32_e32 v19, v15, v17
	v_and_b32_e32 v18, 1, v42
	v_sub_u32_e32 v19, v30, v19
	v_and_b32_sdwa v16, v25, v33 dst_sel:DWORD dst_unused:UNUSED_PAD src0_sel:DWORD src1_sel:WORD_1
	v_add_u32_e32 v19, 6, v19
	v_cmp_eq_u32_e32 vcc, 1, v18
	v_cndmask_b32_e32 v17, v19, v17, vcc
	v_cmp_eq_u32_e32 vcc, 1, v16
	v_add_u32_e32 v65, v59, v42
	v_cndmask_b32_e32 v15, v17, v15, vcc
	v_add_u32_e32 v53, v46, v53
	v_lshlrev_b32_e32 v15, 2, v15
	v_sub_u32_e32 v16, v65, v4
	ds_write_b32 v15, v13
	v_sub_u32_e32 v13, v53, v3
	v_add_u32_e32 v16, v16, v1
	v_add_u32_e32 v18, v13, v16
	v_and_b32_e32 v17, 1, v34
	v_sub_u32_e32 v18, v30, v18
	v_and_b32_e32 v15, 1, v41
	v_add_u32_e32 v18, 7, v18
	v_cmp_eq_u32_e32 vcc, 1, v17
	v_cndmask_b32_e32 v16, v18, v16, vcc
	v_cmp_eq_u32_e32 vcc, 1, v15
	v_add_u32_e32 v60, v65, v60
	v_cndmask_b32_e32 v13, v16, v13, vcc
	v_add_u32_e32 v66, v53, v41
	v_lshlrev_b32_e32 v13, 2, v13
	v_sub_u32_e32 v15, v60, v4
	ds_write_b32 v13, v14
	v_sub_u32_e32 v13, v66, v3
	v_add_u32_e32 v15, v15, v1
	v_lshrrev_b32_e32 v8, 8, v34
	v_add_u32_e32 v16, v13, v15
	v_and_b32_e32 v8, 1, v8
	v_sub_u32_e32 v16, v30, v16
	v_and_b32_e32 v14, 1, v36
	v_add_u32_e32 v16, 8, v16
	v_cmp_eq_u32_e32 vcc, 1, v8
	v_cndmask_b32_e32 v8, v16, v15, vcc
	v_cmp_eq_u32_e32 vcc, 1, v14
	v_cndmask_b32_e32 v8, v8, v13, vcc
	v_add_u32_e32 v55, v60, v55
	v_lshlrev_b32_e32 v8, 2, v8
	v_add_u32_e32 v54, v66, v54
	ds_write_b32 v8, v11
	v_sub_u32_e32 v11, v55, v4
	v_sub_u32_e32 v8, v54, v3
	v_add_u32_e32 v11, v11, v1
	v_add_u32_e32 v14, v8, v11
	v_lshrrev_b32_e32 v7, 8, v36
	v_and_b32_sdwa v13, v25, v34 dst_sel:DWORD dst_unused:UNUSED_PAD src0_sel:DWORD src1_sel:WORD_1
	v_sub_u32_e32 v14, v30, v14
	v_and_b32_e32 v7, 1, v7
	v_add_u32_e32 v14, 9, v14
	v_cmp_eq_u32_e32 vcc, 1, v13
	v_cndmask_b32_e32 v11, v14, v11, vcc
	v_cmp_eq_u32_e32 vcc, 1, v7
	v_add_u32_e32 v61, v55, v61
	v_cndmask_b32_e32 v7, v11, v8, vcc
	v_add_u32_e32 v47, v54, v47
	v_lshlrev_b32_e32 v7, 2, v7
	v_sub_u32_e32 v11, v61, v4
	ds_write_b32 v7, v12
	v_sub_u32_e32 v7, v47, v3
	v_add_u32_e32 v11, v11, v1
	v_add_u32_e32 v13, v7, v11
	v_and_b32_e32 v12, 1, v40
	v_sub_u32_e32 v13, v30, v13
	v_and_b32_sdwa v8, v25, v36 dst_sel:DWORD dst_unused:UNUSED_PAD src0_sel:DWORD src1_sel:WORD_1
	v_add_u32_e32 v13, 10, v13
	v_cmp_eq_u32_e32 vcc, 1, v12
	v_cndmask_b32_e32 v11, v13, v11, vcc
	v_cmp_eq_u32_e32 vcc, 1, v8
	v_cndmask_b32_e32 v7, v11, v7, vcc
	v_add_u32_e32 v67, v61, v40
	v_lshlrev_b32_e32 v7, 2, v7
	v_add_u32_e32 v56, v47, v56
	ds_write_b32 v7, v9
	v_sub_u32_e32 v9, v67, v4
	v_sub_u32_e32 v7, v56, v3
	v_add_u32_e32 v9, v9, v1
	v_add_u32_e32 v12, v7, v9
	v_and_b32_e32 v11, 1, v35
	v_sub_u32_e32 v12, v30, v12
	v_and_b32_e32 v8, 1, v39
	v_add_u32_e32 v12, 11, v12
	v_cmp_eq_u32_e32 vcc, 1, v11
	v_add_u32_e32 v62, v67, v62
	v_cndmask_b32_e32 v9, v12, v9, vcc
	v_cmp_eq_u32_e32 vcc, 1, v8
	v_add_u32_e32 v68, v56, v39
	v_cndmask_b32_e32 v7, v9, v7, vcc
	v_sub_u32_e32 v8, v62, v4
	v_lshlrev_b32_e32 v7, 2, v7
	v_sub_u32_e32 v3, v68, v3
	v_add_u32_e32 v8, v8, v1
	ds_write_b32 v7, v10
	v_add_u32_e32 v10, v3, v8
	v_and_b32_e32 v9, 1, v38
	v_sub_u32_e32 v10, v30, v10
	v_and_b32_e32 v7, 1, v37
	v_add_u32_e32 v10, 12, v10
	v_cmp_eq_u32_e32 vcc, 1, v9
	v_cndmask_b32_e32 v8, v10, v8, vcc
	v_cmp_eq_u32_e32 vcc, 1, v7
	v_cndmask_b32_e32 v3, v8, v3, vcc
	v_lshlrev_b32_e32 v3, 2, v3
	ds_write_b32 v3, v29
	v_add_co_u32_e32 v3, vcc, v2, v69
	v_addc_co_u32_e64 v7, s[2:3], 0, 0, vcc
	v_add_co_u32_e32 v3, vcc, v3, v27
	v_addc_co_u32_e32 v7, vcc, v7, v28, vcc
	s_add_u32 s4, s56, s33
	v_add_co_u32_e32 v3, vcc, v3, v5
	s_addc_u32 s5, s57, 0
	v_addc_co_u32_e32 v7, vcc, v7, v6, vcc
	v_mov_b32_e32 v8, s5
	v_sub_co_u32_e32 v3, vcc, s4, v3
	v_subb_co_u32_e32 v11, vcc, v8, v7, vcc
	v_lshlrev_b64 v[7:8], 2, v[27:28]
	v_mov_b32_e32 v9, s55
	v_add_co_u32_e32 v7, vcc, s54, v7
	v_addc_co_u32_e32 v8, vcc, v9, v8, vcc
	v_lshlrev_b64 v[9:10], 2, v[5:6]
	v_mov_b32_e32 v13, s53
	v_add_co_u32_e32 v9, vcc, s52, v9
	v_addc_co_u32_e32 v10, vcc, v13, v10, vcc
	v_add_u32_e32 v12, v1, v2
	s_and_b64 vcc, exec, s[0:1]
	s_mov_b64 s[0:1], -1
	s_waitcnt lgkmcnt(0)
	s_barrier
	s_cbranch_vccz .LBB1472_151
; %bb.148:
	s_and_b64 vcc, exec, s[0:1]
	s_cbranch_vccnz .LBB1472_256
.LBB1472_149:
	v_cmp_eq_u32_e32 vcc, 0, v0
	s_and_b64 s[0:1], vcc, s[34:35]
	s_and_saveexec_b64 s[2:3], s[0:1]
	s_cbranch_execnz .LBB1472_374
.LBB1472_150:
	s_endpgm
.LBB1472_151:
	v_cmp_ge_u32_e32 vcc, v0, v1
	s_and_saveexec_b64 s[0:1], vcc
	s_xor_b64 s[0:1], exec, s[0:1]
	s_cbranch_execz .LBB1472_157
; %bb.152:
	v_cmp_ge_u32_e32 vcc, v0, v12
	s_and_saveexec_b64 s[2:3], vcc
	s_xor_b64 s[2:3], exec, s[2:3]
	s_cbranch_execz .LBB1472_154
; %bb.153:
	v_add_co_u32_e32 v13, vcc, v3, v0
	v_lshlrev_b32_e32 v15, 2, v0
	v_addc_co_u32_e32 v14, vcc, 0, v11, vcc
	ds_read_b32 v15, v15
	v_lshlrev_b64 v[13:14], 2, v[13:14]
	v_mov_b32_e32 v16, s47
	v_sub_co_u32_e32 v13, vcc, s46, v13
	v_subb_co_u32_e32 v14, vcc, v16, v14, vcc
	s_waitcnt lgkmcnt(0)
	global_store_dword v[13:14], v15, off offset:-4
.LBB1472_154:
	s_andn2_saveexec_b64 s[2:3], s[2:3]
	s_cbranch_execz .LBB1472_156
; %bb.155:
	v_lshlrev_b32_e32 v13, 2, v0
	ds_read_b32 v14, v13
	v_readfirstlane_b32 s4, v7
	v_readfirstlane_b32 s5, v8
	s_waitcnt lgkmcnt(0)
	s_nop 3
	global_store_dword v13, v14, s[4:5]
.LBB1472_156:
	s_or_b64 exec, exec, s[2:3]
.LBB1472_157:
	s_andn2_saveexec_b64 s[0:1], s[0:1]
	s_cbranch_execz .LBB1472_159
; %bb.158:
	v_lshlrev_b32_e32 v13, 2, v0
	ds_read_b32 v14, v13
	v_readfirstlane_b32 s2, v9
	v_readfirstlane_b32 s3, v10
	s_waitcnt lgkmcnt(0)
	s_nop 3
	global_store_dword v13, v14, s[2:3]
.LBB1472_159:
	s_or_b64 exec, exec, s[0:1]
	v_or_b32_e32 v13, 0x100, v0
	v_cmp_ge_u32_e32 vcc, v13, v1
	s_and_saveexec_b64 s[0:1], vcc
	s_xor_b64 s[0:1], exec, s[0:1]
	s_cbranch_execz .LBB1472_165
; %bb.160:
	v_cmp_ge_u32_e32 vcc, v13, v12
	s_and_saveexec_b64 s[2:3], vcc
	s_xor_b64 s[2:3], exec, s[2:3]
	s_cbranch_execz .LBB1472_162
; %bb.161:
	v_lshlrev_b32_e32 v13, 2, v0
	ds_read_b32 v15, v13 offset:1024
	v_add_co_u32_e32 v13, vcc, v3, v0
	v_addc_co_u32_e32 v14, vcc, 0, v11, vcc
	v_lshlrev_b64 v[13:14], 2, v[13:14]
	v_mov_b32_e32 v16, s47
	v_sub_co_u32_e32 v13, vcc, s46, v13
	v_subb_co_u32_e32 v14, vcc, v16, v14, vcc
	s_waitcnt lgkmcnt(0)
	global_store_dword v[13:14], v15, off offset:-1028
.LBB1472_162:
	s_andn2_saveexec_b64 s[2:3], s[2:3]
	s_cbranch_execz .LBB1472_164
; %bb.163:
	v_lshlrev_b32_e32 v13, 2, v0
	ds_read_b32 v14, v13 offset:1024
	v_readfirstlane_b32 s4, v7
	v_readfirstlane_b32 s5, v8
	s_waitcnt lgkmcnt(0)
	s_nop 3
	global_store_dword v13, v14, s[4:5] offset:1024
.LBB1472_164:
	s_or_b64 exec, exec, s[2:3]
.LBB1472_165:
	s_andn2_saveexec_b64 s[0:1], s[0:1]
	s_cbranch_execz .LBB1472_167
; %bb.166:
	v_lshlrev_b32_e32 v13, 2, v0
	ds_read_b32 v14, v13 offset:1024
	v_readfirstlane_b32 s2, v9
	v_readfirstlane_b32 s3, v10
	s_waitcnt lgkmcnt(0)
	s_nop 3
	global_store_dword v13, v14, s[2:3] offset:1024
.LBB1472_167:
	s_or_b64 exec, exec, s[0:1]
	v_or_b32_e32 v13, 0x200, v0
	v_cmp_ge_u32_e32 vcc, v13, v1
	s_and_saveexec_b64 s[0:1], vcc
	s_xor_b64 s[0:1], exec, s[0:1]
	s_cbranch_execz .LBB1472_173
; %bb.168:
	v_cmp_ge_u32_e32 vcc, v13, v12
	s_and_saveexec_b64 s[2:3], vcc
	s_xor_b64 s[2:3], exec, s[2:3]
	s_cbranch_execz .LBB1472_170
; %bb.169:
	v_lshlrev_b32_e32 v13, 2, v0
	ds_read_b32 v15, v13 offset:2048
	v_add_co_u32_e32 v13, vcc, v3, v0
	v_addc_co_u32_e32 v14, vcc, 0, v11, vcc
	v_lshlrev_b64 v[13:14], 2, v[13:14]
	v_mov_b32_e32 v16, s47
	v_sub_co_u32_e32 v13, vcc, s46, v13
	v_subb_co_u32_e32 v14, vcc, v16, v14, vcc
	s_waitcnt lgkmcnt(0)
	global_store_dword v[13:14], v15, off offset:-2052
.LBB1472_170:
	s_andn2_saveexec_b64 s[2:3], s[2:3]
	s_cbranch_execz .LBB1472_172
; %bb.171:
	v_lshlrev_b32_e32 v13, 2, v0
	ds_read_b32 v14, v13 offset:2048
	v_readfirstlane_b32 s4, v7
	v_readfirstlane_b32 s5, v8
	s_waitcnt lgkmcnt(0)
	s_nop 3
	global_store_dword v13, v14, s[4:5] offset:2048
.LBB1472_172:
	s_or_b64 exec, exec, s[2:3]
.LBB1472_173:
	s_andn2_saveexec_b64 s[0:1], s[0:1]
	s_cbranch_execz .LBB1472_175
; %bb.174:
	v_lshlrev_b32_e32 v13, 2, v0
	ds_read_b32 v14, v13 offset:2048
	v_readfirstlane_b32 s2, v9
	v_readfirstlane_b32 s3, v10
	s_waitcnt lgkmcnt(0)
	s_nop 3
	global_store_dword v13, v14, s[2:3] offset:2048
.LBB1472_175:
	;; [unrolled: 47-line block ×3, first 2 shown]
	s_or_b64 exec, exec, s[0:1]
	v_or_b32_e32 v13, 0x400, v0
	v_cmp_ge_u32_e32 vcc, v13, v1
	s_and_saveexec_b64 s[0:1], vcc
	s_xor_b64 s[0:1], exec, s[0:1]
	s_cbranch_execz .LBB1472_189
; %bb.184:
	v_cmp_ge_u32_e32 vcc, v13, v12
	s_and_saveexec_b64 s[2:3], vcc
	s_xor_b64 s[2:3], exec, s[2:3]
	s_cbranch_execz .LBB1472_186
; %bb.185:
	v_lshlrev_b32_e32 v13, 2, v0
	ds_read_b32 v15, v13 offset:4096
	v_add_co_u32_e32 v13, vcc, v3, v0
	v_addc_co_u32_e32 v14, vcc, 0, v11, vcc
	v_lshlrev_b64 v[13:14], 2, v[13:14]
	v_mov_b32_e32 v16, s47
	v_sub_co_u32_e32 v13, vcc, s46, v13
	v_subb_co_u32_e32 v14, vcc, v16, v14, vcc
	v_add_co_u32_e32 v13, vcc, 0xfffff000, v13
	v_addc_co_u32_e32 v14, vcc, -1, v14, vcc
	s_waitcnt lgkmcnt(0)
	global_store_dword v[13:14], v15, off offset:-4
                                        ; implicit-def: $vgpr13
.LBB1472_186:
	s_andn2_saveexec_b64 s[2:3], s[2:3]
	s_cbranch_execz .LBB1472_188
; %bb.187:
	v_lshlrev_b32_e32 v14, 2, v0
	ds_read_b32 v14, v14 offset:4096
	v_lshlrev_b32_e32 v13, 2, v13
	v_readfirstlane_b32 s4, v7
	v_readfirstlane_b32 s5, v8
	s_waitcnt lgkmcnt(0)
	s_nop 3
	global_store_dword v13, v14, s[4:5]
.LBB1472_188:
	s_or_b64 exec, exec, s[2:3]
                                        ; implicit-def: $vgpr13
.LBB1472_189:
	s_andn2_saveexec_b64 s[0:1], s[0:1]
	s_cbranch_execz .LBB1472_191
; %bb.190:
	v_lshlrev_b32_e32 v14, 2, v0
	ds_read_b32 v14, v14 offset:4096
	v_lshlrev_b32_e32 v13, 2, v13
	v_readfirstlane_b32 s2, v9
	v_readfirstlane_b32 s3, v10
	s_waitcnt lgkmcnt(0)
	s_nop 3
	global_store_dword v13, v14, s[2:3]
.LBB1472_191:
	s_or_b64 exec, exec, s[0:1]
	v_or_b32_e32 v13, 0x500, v0
	v_cmp_ge_u32_e32 vcc, v13, v1
	s_and_saveexec_b64 s[0:1], vcc
	s_xor_b64 s[0:1], exec, s[0:1]
	s_cbranch_execz .LBB1472_197
; %bb.192:
	v_cmp_ge_u32_e32 vcc, v13, v12
	s_and_saveexec_b64 s[2:3], vcc
	s_xor_b64 s[2:3], exec, s[2:3]
	s_cbranch_execz .LBB1472_194
; %bb.193:
	v_add_co_u32_e32 v13, vcc, v3, v13
	v_lshlrev_b32_e32 v15, 2, v0
	v_addc_co_u32_e32 v14, vcc, 0, v11, vcc
	ds_read_b32 v15, v15 offset:5120
	v_lshlrev_b64 v[13:14], 2, v[13:14]
	v_mov_b32_e32 v16, s47
	v_sub_co_u32_e32 v13, vcc, s46, v13
	v_subb_co_u32_e32 v14, vcc, v16, v14, vcc
	s_waitcnt lgkmcnt(0)
	global_store_dword v[13:14], v15, off offset:-4
                                        ; implicit-def: $vgpr13
.LBB1472_194:
	s_andn2_saveexec_b64 s[2:3], s[2:3]
	s_cbranch_execz .LBB1472_196
; %bb.195:
	v_lshlrev_b32_e32 v14, 2, v0
	ds_read_b32 v14, v14 offset:5120
	v_lshlrev_b32_e32 v13, 2, v13
	v_readfirstlane_b32 s4, v7
	v_readfirstlane_b32 s5, v8
	s_waitcnt lgkmcnt(0)
	s_nop 3
	global_store_dword v13, v14, s[4:5]
.LBB1472_196:
	s_or_b64 exec, exec, s[2:3]
                                        ; implicit-def: $vgpr13
.LBB1472_197:
	s_andn2_saveexec_b64 s[0:1], s[0:1]
	s_cbranch_execz .LBB1472_199
; %bb.198:
	v_lshlrev_b32_e32 v14, 2, v0
	ds_read_b32 v14, v14 offset:5120
	v_lshlrev_b32_e32 v13, 2, v13
	v_readfirstlane_b32 s2, v9
	v_readfirstlane_b32 s3, v10
	s_waitcnt lgkmcnt(0)
	s_nop 3
	global_store_dword v13, v14, s[2:3]
.LBB1472_199:
	s_or_b64 exec, exec, s[0:1]
	v_or_b32_e32 v13, 0x600, v0
	v_cmp_ge_u32_e32 vcc, v13, v1
	s_and_saveexec_b64 s[0:1], vcc
	s_xor_b64 s[0:1], exec, s[0:1]
	s_cbranch_execz .LBB1472_205
; %bb.200:
	v_cmp_ge_u32_e32 vcc, v13, v12
	s_and_saveexec_b64 s[2:3], vcc
	s_xor_b64 s[2:3], exec, s[2:3]
	s_cbranch_execz .LBB1472_202
; %bb.201:
	v_add_co_u32_e32 v13, vcc, v3, v13
	v_lshlrev_b32_e32 v15, 2, v0
	v_addc_co_u32_e32 v14, vcc, 0, v11, vcc
	ds_read_b32 v15, v15 offset:6144
	v_lshlrev_b64 v[13:14], 2, v[13:14]
	v_mov_b32_e32 v16, s47
	v_sub_co_u32_e32 v13, vcc, s46, v13
	v_subb_co_u32_e32 v14, vcc, v16, v14, vcc
	s_waitcnt lgkmcnt(0)
	global_store_dword v[13:14], v15, off offset:-4
                                        ; implicit-def: $vgpr13
.LBB1472_202:
	s_andn2_saveexec_b64 s[2:3], s[2:3]
	s_cbranch_execz .LBB1472_204
; %bb.203:
	v_lshlrev_b32_e32 v14, 2, v0
	ds_read_b32 v14, v14 offset:6144
	v_lshlrev_b32_e32 v13, 2, v13
	v_readfirstlane_b32 s4, v7
	v_readfirstlane_b32 s5, v8
	s_waitcnt lgkmcnt(0)
	s_nop 3
	global_store_dword v13, v14, s[4:5]
.LBB1472_204:
	s_or_b64 exec, exec, s[2:3]
                                        ; implicit-def: $vgpr13
.LBB1472_205:
	;; [unrolled: 51-line block ×8, first 2 shown]
	s_andn2_saveexec_b64 s[0:1], s[0:1]
	s_cbranch_execz .LBB1472_255
; %bb.254:
	v_lshlrev_b32_e32 v14, 2, v0
	ds_read_b32 v14, v14 offset:12288
	v_lshlrev_b32_e32 v13, 2, v13
	v_readfirstlane_b32 s2, v9
	v_readfirstlane_b32 s3, v10
	s_waitcnt lgkmcnt(0)
	s_nop 3
	global_store_dword v13, v14, s[2:3]
.LBB1472_255:
	s_or_b64 exec, exec, s[0:1]
	s_branch .LBB1472_149
.LBB1472_256:
	v_cmp_gt_u32_e32 vcc, s18, v0
	s_and_saveexec_b64 s[0:1], vcc
	s_cbranch_execz .LBB1472_265
; %bb.257:
	v_cmp_ge_u32_e32 vcc, v0, v1
	s_and_saveexec_b64 s[2:3], vcc
	s_xor_b64 s[2:3], exec, s[2:3]
	s_cbranch_execz .LBB1472_263
; %bb.258:
	v_cmp_ge_u32_e32 vcc, v0, v12
	s_and_saveexec_b64 s[4:5], vcc
	s_xor_b64 s[4:5], exec, s[4:5]
	s_cbranch_execz .LBB1472_260
; %bb.259:
	v_add_co_u32_e32 v13, vcc, v3, v0
	v_lshlrev_b32_e32 v15, 2, v0
	v_addc_co_u32_e32 v14, vcc, 0, v11, vcc
	ds_read_b32 v15, v15
	v_lshlrev_b64 v[13:14], 2, v[13:14]
	v_mov_b32_e32 v16, s47
	v_sub_co_u32_e32 v13, vcc, s46, v13
	v_subb_co_u32_e32 v14, vcc, v16, v14, vcc
	s_waitcnt lgkmcnt(0)
	global_store_dword v[13:14], v15, off offset:-4
.LBB1472_260:
	s_andn2_saveexec_b64 s[4:5], s[4:5]
	s_cbranch_execz .LBB1472_262
; %bb.261:
	v_lshlrev_b32_e32 v13, 2, v0
	ds_read_b32 v14, v13
	v_readfirstlane_b32 s6, v7
	v_readfirstlane_b32 s7, v8
	s_waitcnt lgkmcnt(0)
	s_nop 3
	global_store_dword v13, v14, s[6:7]
.LBB1472_262:
	s_or_b64 exec, exec, s[4:5]
.LBB1472_263:
	s_andn2_saveexec_b64 s[2:3], s[2:3]
	s_cbranch_execz .LBB1472_265
; %bb.264:
	v_lshlrev_b32_e32 v13, 2, v0
	ds_read_b32 v14, v13
	v_readfirstlane_b32 s2, v9
	v_readfirstlane_b32 s3, v10
	s_waitcnt lgkmcnt(0)
	s_nop 3
	global_store_dword v13, v14, s[2:3]
.LBB1472_265:
	s_or_b64 exec, exec, s[0:1]
	v_or_b32_e32 v13, 0x100, v0
	v_cmp_gt_u32_e32 vcc, s18, v13
	s_and_saveexec_b64 s[0:1], vcc
	s_cbranch_execz .LBB1472_274
; %bb.266:
	v_cmp_ge_u32_e32 vcc, v13, v1
	s_and_saveexec_b64 s[2:3], vcc
	s_xor_b64 s[2:3], exec, s[2:3]
	s_cbranch_execz .LBB1472_272
; %bb.267:
	v_cmp_ge_u32_e32 vcc, v13, v12
	s_and_saveexec_b64 s[4:5], vcc
	s_xor_b64 s[4:5], exec, s[4:5]
	s_cbranch_execz .LBB1472_269
; %bb.268:
	v_lshlrev_b32_e32 v13, 2, v0
	ds_read_b32 v15, v13 offset:1024
	v_add_co_u32_e32 v13, vcc, v3, v0
	v_addc_co_u32_e32 v14, vcc, 0, v11, vcc
	v_lshlrev_b64 v[13:14], 2, v[13:14]
	v_mov_b32_e32 v16, s47
	v_sub_co_u32_e32 v13, vcc, s46, v13
	v_subb_co_u32_e32 v14, vcc, v16, v14, vcc
	s_waitcnt lgkmcnt(0)
	global_store_dword v[13:14], v15, off offset:-1028
.LBB1472_269:
	s_andn2_saveexec_b64 s[4:5], s[4:5]
	s_cbranch_execz .LBB1472_271
; %bb.270:
	v_lshlrev_b32_e32 v13, 2, v0
	ds_read_b32 v14, v13 offset:1024
	v_readfirstlane_b32 s6, v7
	v_readfirstlane_b32 s7, v8
	s_waitcnt lgkmcnt(0)
	s_nop 3
	global_store_dword v13, v14, s[6:7] offset:1024
.LBB1472_271:
	s_or_b64 exec, exec, s[4:5]
.LBB1472_272:
	s_andn2_saveexec_b64 s[2:3], s[2:3]
	s_cbranch_execz .LBB1472_274
; %bb.273:
	v_lshlrev_b32_e32 v13, 2, v0
	ds_read_b32 v14, v13 offset:1024
	v_readfirstlane_b32 s2, v9
	v_readfirstlane_b32 s3, v10
	s_waitcnt lgkmcnt(0)
	s_nop 3
	global_store_dword v13, v14, s[2:3] offset:1024
.LBB1472_274:
	s_or_b64 exec, exec, s[0:1]
	v_or_b32_e32 v13, 0x200, v0
	v_cmp_gt_u32_e32 vcc, s18, v13
	s_and_saveexec_b64 s[0:1], vcc
	s_cbranch_execz .LBB1472_283
; %bb.275:
	v_cmp_ge_u32_e32 vcc, v13, v1
	s_and_saveexec_b64 s[2:3], vcc
	s_xor_b64 s[2:3], exec, s[2:3]
	s_cbranch_execz .LBB1472_281
; %bb.276:
	v_cmp_ge_u32_e32 vcc, v13, v12
	s_and_saveexec_b64 s[4:5], vcc
	s_xor_b64 s[4:5], exec, s[4:5]
	s_cbranch_execz .LBB1472_278
; %bb.277:
	v_lshlrev_b32_e32 v13, 2, v0
	ds_read_b32 v15, v13 offset:2048
	v_add_co_u32_e32 v13, vcc, v3, v0
	v_addc_co_u32_e32 v14, vcc, 0, v11, vcc
	v_lshlrev_b64 v[13:14], 2, v[13:14]
	v_mov_b32_e32 v16, s47
	v_sub_co_u32_e32 v13, vcc, s46, v13
	v_subb_co_u32_e32 v14, vcc, v16, v14, vcc
	s_waitcnt lgkmcnt(0)
	global_store_dword v[13:14], v15, off offset:-2052
.LBB1472_278:
	s_andn2_saveexec_b64 s[4:5], s[4:5]
	s_cbranch_execz .LBB1472_280
; %bb.279:
	v_lshlrev_b32_e32 v13, 2, v0
	ds_read_b32 v14, v13 offset:2048
	v_readfirstlane_b32 s6, v7
	v_readfirstlane_b32 s7, v8
	s_waitcnt lgkmcnt(0)
	s_nop 3
	global_store_dword v13, v14, s[6:7] offset:2048
.LBB1472_280:
	s_or_b64 exec, exec, s[4:5]
.LBB1472_281:
	s_andn2_saveexec_b64 s[2:3], s[2:3]
	s_cbranch_execz .LBB1472_283
; %bb.282:
	v_lshlrev_b32_e32 v13, 2, v0
	ds_read_b32 v14, v13 offset:2048
	v_readfirstlane_b32 s2, v9
	v_readfirstlane_b32 s3, v10
	s_waitcnt lgkmcnt(0)
	s_nop 3
	global_store_dword v13, v14, s[2:3] offset:2048
.LBB1472_283:
	;; [unrolled: 51-line block ×3, first 2 shown]
	s_or_b64 exec, exec, s[0:1]
	v_or_b32_e32 v13, 0x400, v0
	v_cmp_gt_u32_e32 vcc, s18, v13
	s_and_saveexec_b64 s[0:1], vcc
	s_cbranch_execz .LBB1472_301
; %bb.293:
	v_cmp_ge_u32_e32 vcc, v13, v1
	s_and_saveexec_b64 s[2:3], vcc
	s_xor_b64 s[2:3], exec, s[2:3]
	s_cbranch_execz .LBB1472_299
; %bb.294:
	v_cmp_ge_u32_e32 vcc, v13, v12
	s_and_saveexec_b64 s[4:5], vcc
	s_xor_b64 s[4:5], exec, s[4:5]
	s_cbranch_execz .LBB1472_296
; %bb.295:
	v_lshlrev_b32_e32 v13, 2, v0
	ds_read_b32 v15, v13 offset:4096
	v_add_co_u32_e32 v13, vcc, v3, v0
	v_addc_co_u32_e32 v14, vcc, 0, v11, vcc
	v_lshlrev_b64 v[13:14], 2, v[13:14]
	v_mov_b32_e32 v16, s47
	v_sub_co_u32_e32 v13, vcc, s46, v13
	v_subb_co_u32_e32 v14, vcc, v16, v14, vcc
	v_add_co_u32_e32 v13, vcc, 0xfffff000, v13
	v_addc_co_u32_e32 v14, vcc, -1, v14, vcc
	s_waitcnt lgkmcnt(0)
	global_store_dword v[13:14], v15, off offset:-4
                                        ; implicit-def: $vgpr13
.LBB1472_296:
	s_andn2_saveexec_b64 s[4:5], s[4:5]
	s_cbranch_execz .LBB1472_298
; %bb.297:
	v_lshlrev_b32_e32 v14, 2, v0
	ds_read_b32 v14, v14 offset:4096
	v_lshlrev_b32_e32 v13, 2, v13
	v_readfirstlane_b32 s6, v7
	v_readfirstlane_b32 s7, v8
	s_waitcnt lgkmcnt(0)
	s_nop 3
	global_store_dword v13, v14, s[6:7]
.LBB1472_298:
	s_or_b64 exec, exec, s[4:5]
                                        ; implicit-def: $vgpr13
.LBB1472_299:
	s_andn2_saveexec_b64 s[2:3], s[2:3]
	s_cbranch_execz .LBB1472_301
; %bb.300:
	v_lshlrev_b32_e32 v14, 2, v0
	ds_read_b32 v14, v14 offset:4096
	v_lshlrev_b32_e32 v13, 2, v13
	v_readfirstlane_b32 s2, v9
	v_readfirstlane_b32 s3, v10
	s_waitcnt lgkmcnt(0)
	s_nop 3
	global_store_dword v13, v14, s[2:3]
.LBB1472_301:
	s_or_b64 exec, exec, s[0:1]
	v_or_b32_e32 v13, 0x500, v0
	v_cmp_gt_u32_e32 vcc, s18, v13
	s_and_saveexec_b64 s[0:1], vcc
	s_cbranch_execz .LBB1472_310
; %bb.302:
	v_cmp_ge_u32_e32 vcc, v13, v1
	s_and_saveexec_b64 s[2:3], vcc
	s_xor_b64 s[2:3], exec, s[2:3]
	s_cbranch_execz .LBB1472_308
; %bb.303:
	v_cmp_ge_u32_e32 vcc, v13, v12
	s_and_saveexec_b64 s[4:5], vcc
	s_xor_b64 s[4:5], exec, s[4:5]
	s_cbranch_execz .LBB1472_305
; %bb.304:
	v_add_co_u32_e32 v13, vcc, v3, v13
	v_lshlrev_b32_e32 v15, 2, v0
	v_addc_co_u32_e32 v14, vcc, 0, v11, vcc
	ds_read_b32 v15, v15 offset:5120
	v_lshlrev_b64 v[13:14], 2, v[13:14]
	v_mov_b32_e32 v16, s47
	v_sub_co_u32_e32 v13, vcc, s46, v13
	v_subb_co_u32_e32 v14, vcc, v16, v14, vcc
	s_waitcnt lgkmcnt(0)
	global_store_dword v[13:14], v15, off offset:-4
                                        ; implicit-def: $vgpr13
.LBB1472_305:
	s_andn2_saveexec_b64 s[4:5], s[4:5]
	s_cbranch_execz .LBB1472_307
; %bb.306:
	v_lshlrev_b32_e32 v14, 2, v0
	ds_read_b32 v14, v14 offset:5120
	v_lshlrev_b32_e32 v13, 2, v13
	v_readfirstlane_b32 s6, v7
	v_readfirstlane_b32 s7, v8
	s_waitcnt lgkmcnt(0)
	s_nop 3
	global_store_dword v13, v14, s[6:7]
.LBB1472_307:
	s_or_b64 exec, exec, s[4:5]
                                        ; implicit-def: $vgpr13
.LBB1472_308:
	s_andn2_saveexec_b64 s[2:3], s[2:3]
	s_cbranch_execz .LBB1472_310
; %bb.309:
	v_lshlrev_b32_e32 v14, 2, v0
	ds_read_b32 v14, v14 offset:5120
	v_lshlrev_b32_e32 v13, 2, v13
	v_readfirstlane_b32 s2, v9
	v_readfirstlane_b32 s3, v10
	s_waitcnt lgkmcnt(0)
	s_nop 3
	global_store_dword v13, v14, s[2:3]
.LBB1472_310:
	s_or_b64 exec, exec, s[0:1]
	v_or_b32_e32 v13, 0x600, v0
	v_cmp_gt_u32_e32 vcc, s18, v13
	s_and_saveexec_b64 s[0:1], vcc
	s_cbranch_execz .LBB1472_319
; %bb.311:
	v_cmp_ge_u32_e32 vcc, v13, v1
	s_and_saveexec_b64 s[2:3], vcc
	s_xor_b64 s[2:3], exec, s[2:3]
	s_cbranch_execz .LBB1472_317
; %bb.312:
	v_cmp_ge_u32_e32 vcc, v13, v12
	s_and_saveexec_b64 s[4:5], vcc
	s_xor_b64 s[4:5], exec, s[4:5]
	s_cbranch_execz .LBB1472_314
; %bb.313:
	v_add_co_u32_e32 v13, vcc, v3, v13
	v_lshlrev_b32_e32 v15, 2, v0
	v_addc_co_u32_e32 v14, vcc, 0, v11, vcc
	ds_read_b32 v15, v15 offset:6144
	v_lshlrev_b64 v[13:14], 2, v[13:14]
	v_mov_b32_e32 v16, s47
	v_sub_co_u32_e32 v13, vcc, s46, v13
	v_subb_co_u32_e32 v14, vcc, v16, v14, vcc
	s_waitcnt lgkmcnt(0)
	global_store_dword v[13:14], v15, off offset:-4
                                        ; implicit-def: $vgpr13
.LBB1472_314:
	s_andn2_saveexec_b64 s[4:5], s[4:5]
	s_cbranch_execz .LBB1472_316
; %bb.315:
	v_lshlrev_b32_e32 v14, 2, v0
	ds_read_b32 v14, v14 offset:6144
	v_lshlrev_b32_e32 v13, 2, v13
	v_readfirstlane_b32 s6, v7
	v_readfirstlane_b32 s7, v8
	s_waitcnt lgkmcnt(0)
	s_nop 3
	global_store_dword v13, v14, s[6:7]
.LBB1472_316:
	s_or_b64 exec, exec, s[4:5]
                                        ; implicit-def: $vgpr13
.LBB1472_317:
	s_andn2_saveexec_b64 s[2:3], s[2:3]
	s_cbranch_execz .LBB1472_319
; %bb.318:
	v_lshlrev_b32_e32 v14, 2, v0
	ds_read_b32 v14, v14 offset:6144
	v_lshlrev_b32_e32 v13, 2, v13
	v_readfirstlane_b32 s2, v9
	v_readfirstlane_b32 s3, v10
	s_waitcnt lgkmcnt(0)
	s_nop 3
	global_store_dword v13, v14, s[2:3]
.LBB1472_319:
	;; [unrolled: 55-line block ×7, first 2 shown]
	s_or_b64 exec, exec, s[0:1]
	v_or_b32_e32 v13, 0xc00, v0
	v_cmp_gt_u32_e32 vcc, s18, v13
	s_and_saveexec_b64 s[0:1], vcc
	s_cbranch_execz .LBB1472_373
; %bb.365:
	v_cmp_ge_u32_e32 vcc, v13, v1
	s_and_saveexec_b64 s[2:3], vcc
	s_xor_b64 s[2:3], exec, s[2:3]
	s_cbranch_execz .LBB1472_371
; %bb.366:
	v_cmp_ge_u32_e32 vcc, v13, v12
	s_and_saveexec_b64 s[4:5], vcc
	s_xor_b64 s[4:5], exec, s[4:5]
	s_cbranch_execz .LBB1472_368
; %bb.367:
	v_add_co_u32_e32 v7, vcc, v3, v13
	v_lshlrev_b32_e32 v3, 2, v0
	v_addc_co_u32_e32 v8, vcc, 0, v11, vcc
	ds_read_b32 v3, v3 offset:12288
	v_lshlrev_b64 v[7:8], 2, v[7:8]
	v_mov_b32_e32 v9, s47
	v_sub_co_u32_e32 v7, vcc, s46, v7
	v_subb_co_u32_e32 v8, vcc, v9, v8, vcc
	s_waitcnt lgkmcnt(0)
	global_store_dword v[7:8], v3, off offset:-4
                                        ; implicit-def: $vgpr13
                                        ; implicit-def: $vgpr7_vgpr8
.LBB1472_368:
	s_andn2_saveexec_b64 s[4:5], s[4:5]
	s_cbranch_execz .LBB1472_370
; %bb.369:
	v_lshlrev_b32_e32 v3, 2, v0
	ds_read_b32 v3, v3 offset:12288
	v_lshlrev_b32_e32 v9, 2, v13
	v_readfirstlane_b32 s6, v7
	v_readfirstlane_b32 s7, v8
	s_waitcnt lgkmcnt(0)
	s_nop 3
	global_store_dword v9, v3, s[6:7]
.LBB1472_370:
	s_or_b64 exec, exec, s[4:5]
                                        ; implicit-def: $vgpr13
                                        ; implicit-def: $vgpr9_vgpr10
.LBB1472_371:
	s_andn2_saveexec_b64 s[2:3], s[2:3]
	s_cbranch_execz .LBB1472_373
; %bb.372:
	v_lshlrev_b32_e32 v3, 2, v0
	ds_read_b32 v3, v3 offset:12288
	v_lshlrev_b32_e32 v7, 2, v13
	v_readfirstlane_b32 s2, v9
	v_readfirstlane_b32 s3, v10
	s_waitcnt lgkmcnt(0)
	s_nop 3
	global_store_dword v7, v3, s[2:3]
.LBB1472_373:
	s_or_b64 exec, exec, s[0:1]
	v_cmp_eq_u32_e32 vcc, 0, v0
	s_and_b64 s[0:1], vcc, s[34:35]
	s_and_saveexec_b64 s[2:3], s[0:1]
	s_cbranch_execz .LBB1472_150
.LBB1472_374:
	v_mov_b32_e32 v0, s51
	v_add_co_u32_e32 v2, vcc, s50, v2
	v_addc_co_u32_e32 v0, vcc, 0, v0, vcc
	v_add_co_u32_e32 v2, vcc, v2, v4
	v_addc_co_u32_e32 v3, vcc, 0, v0, vcc
	v_add_co_u32_e32 v0, vcc, v5, v1
	v_mov_b32_e32 v7, 0
	v_addc_co_u32_e32 v1, vcc, 0, v6, vcc
	global_store_dwordx4 v7, v[0:3], s[44:45]
	s_endpgm
.LBB1472_375:
	s_add_i32 s6, s6, 64
	s_mov_b32 s7, 0
	s_lshl_b64 s[6:7], s[6:7], 4
	s_add_u32 s6, s12, s6
	s_addc_u32 s7, s13, s7
	v_mov_b32_e32 v24, s7
	v_add_u32_e32 v6, v4, v2
	v_add_u32_e32 v5, v3, v1
	v_mov_b32_e32 v7, 2
	v_mov_b32_e32 v8, 0
	;; [unrolled: 1-line block ×3, first 2 shown]
	;;#ASMSTART
	global_store_dwordx4 v[23:24], v[5:8] off	
s_waitcnt vmcnt(0)
	;;#ASMEND
	s_or_b64 exec, exec, s[14:15]
	s_and_saveexec_b64 s[6:7], s[8:9]
	s_cbranch_execz .LBB1472_135
.LBB1472_376:
	v_mov_b32_e32 v5, 0
	ds_write_b128 v5, v[1:4] offset:13312
	s_or_b64 exec, exec, s[6:7]
	v_cmp_eq_u32_e32 vcc, 0, v0
	s_and_b64 exec, exec, vcc
	s_cbranch_execnz .LBB1472_136
	s_branch .LBB1472_137
	.section	.rodata,"a",@progbits
	.p2align	6, 0x0
	.amdhsa_kernel _ZN7rocprim17ROCPRIM_400000_NS6detail17trampoline_kernelINS0_13select_configILj256ELj13ELNS0_17block_load_methodE3ELS4_3ELS4_3ELNS0_20block_scan_algorithmE0ELj4294967295EEENS1_25partition_config_selectorILNS1_17partition_subalgoE4EjNS0_10empty_typeEbEEZZNS1_14partition_implILS8_4ELb0ES6_15HIP_vector_typeIjLj2EENS0_17counting_iteratorIjlEEPS9_SG_NS0_5tupleIJPjSI_NS0_16reverse_iteratorISI_EEEEENSH_IJSG_SG_SG_EEES9_SI_JZNS1_25segmented_radix_sort_implINS0_14default_configELb1EPKbPbPKlPlN2at6native12_GLOBAL__N_18offset_tEEE10hipError_tPvRmT1_PNSt15iterator_traitsIS12_E10value_typeET2_T3_PNS13_IS18_E10value_typeET4_jRbjT5_S1E_jjP12ihipStream_tbEUljE_ZNSN_ISO_Lb1ESQ_SR_ST_SU_SY_EESZ_S10_S11_S12_S16_S17_S18_S1B_S1C_jS1D_jS1E_S1E_jjS1G_bEUljE0_EEESZ_S10_S11_S18_S1C_S1E_T6_T7_T9_mT8_S1G_bDpT10_ENKUlT_T0_E_clISt17integral_constantIbLb0EES1U_EEDaS1P_S1Q_EUlS1P_E_NS1_11comp_targetILNS1_3genE2ELNS1_11target_archE906ELNS1_3gpuE6ELNS1_3repE0EEENS1_30default_config_static_selectorELNS0_4arch9wavefront6targetE1EEEvS12_
		.amdhsa_group_segment_fixed_size 13328
		.amdhsa_private_segment_fixed_size 0
		.amdhsa_kernarg_size 176
		.amdhsa_user_sgpr_count 6
		.amdhsa_user_sgpr_private_segment_buffer 1
		.amdhsa_user_sgpr_dispatch_ptr 0
		.amdhsa_user_sgpr_queue_ptr 0
		.amdhsa_user_sgpr_kernarg_segment_ptr 1
		.amdhsa_user_sgpr_dispatch_id 0
		.amdhsa_user_sgpr_flat_scratch_init 0
		.amdhsa_user_sgpr_private_segment_size 0
		.amdhsa_uses_dynamic_stack 0
		.amdhsa_system_sgpr_private_segment_wavefront_offset 0
		.amdhsa_system_sgpr_workgroup_id_x 1
		.amdhsa_system_sgpr_workgroup_id_y 0
		.amdhsa_system_sgpr_workgroup_id_z 0
		.amdhsa_system_sgpr_workgroup_info 0
		.amdhsa_system_vgpr_workitem_id 0
		.amdhsa_next_free_vgpr 86
		.amdhsa_next_free_sgpr 98
		.amdhsa_reserve_vcc 1
		.amdhsa_reserve_flat_scratch 0
		.amdhsa_float_round_mode_32 0
		.amdhsa_float_round_mode_16_64 0
		.amdhsa_float_denorm_mode_32 3
		.amdhsa_float_denorm_mode_16_64 3
		.amdhsa_dx10_clamp 1
		.amdhsa_ieee_mode 1
		.amdhsa_fp16_overflow 0
		.amdhsa_exception_fp_ieee_invalid_op 0
		.amdhsa_exception_fp_denorm_src 0
		.amdhsa_exception_fp_ieee_div_zero 0
		.amdhsa_exception_fp_ieee_overflow 0
		.amdhsa_exception_fp_ieee_underflow 0
		.amdhsa_exception_fp_ieee_inexact 0
		.amdhsa_exception_int_div_zero 0
	.end_amdhsa_kernel
	.section	.text._ZN7rocprim17ROCPRIM_400000_NS6detail17trampoline_kernelINS0_13select_configILj256ELj13ELNS0_17block_load_methodE3ELS4_3ELS4_3ELNS0_20block_scan_algorithmE0ELj4294967295EEENS1_25partition_config_selectorILNS1_17partition_subalgoE4EjNS0_10empty_typeEbEEZZNS1_14partition_implILS8_4ELb0ES6_15HIP_vector_typeIjLj2EENS0_17counting_iteratorIjlEEPS9_SG_NS0_5tupleIJPjSI_NS0_16reverse_iteratorISI_EEEEENSH_IJSG_SG_SG_EEES9_SI_JZNS1_25segmented_radix_sort_implINS0_14default_configELb1EPKbPbPKlPlN2at6native12_GLOBAL__N_18offset_tEEE10hipError_tPvRmT1_PNSt15iterator_traitsIS12_E10value_typeET2_T3_PNS13_IS18_E10value_typeET4_jRbjT5_S1E_jjP12ihipStream_tbEUljE_ZNSN_ISO_Lb1ESQ_SR_ST_SU_SY_EESZ_S10_S11_S12_S16_S17_S18_S1B_S1C_jS1D_jS1E_S1E_jjS1G_bEUljE0_EEESZ_S10_S11_S18_S1C_S1E_T6_T7_T9_mT8_S1G_bDpT10_ENKUlT_T0_E_clISt17integral_constantIbLb0EES1U_EEDaS1P_S1Q_EUlS1P_E_NS1_11comp_targetILNS1_3genE2ELNS1_11target_archE906ELNS1_3gpuE6ELNS1_3repE0EEENS1_30default_config_static_selectorELNS0_4arch9wavefront6targetE1EEEvS12_,"axG",@progbits,_ZN7rocprim17ROCPRIM_400000_NS6detail17trampoline_kernelINS0_13select_configILj256ELj13ELNS0_17block_load_methodE3ELS4_3ELS4_3ELNS0_20block_scan_algorithmE0ELj4294967295EEENS1_25partition_config_selectorILNS1_17partition_subalgoE4EjNS0_10empty_typeEbEEZZNS1_14partition_implILS8_4ELb0ES6_15HIP_vector_typeIjLj2EENS0_17counting_iteratorIjlEEPS9_SG_NS0_5tupleIJPjSI_NS0_16reverse_iteratorISI_EEEEENSH_IJSG_SG_SG_EEES9_SI_JZNS1_25segmented_radix_sort_implINS0_14default_configELb1EPKbPbPKlPlN2at6native12_GLOBAL__N_18offset_tEEE10hipError_tPvRmT1_PNSt15iterator_traitsIS12_E10value_typeET2_T3_PNS13_IS18_E10value_typeET4_jRbjT5_S1E_jjP12ihipStream_tbEUljE_ZNSN_ISO_Lb1ESQ_SR_ST_SU_SY_EESZ_S10_S11_S12_S16_S17_S18_S1B_S1C_jS1D_jS1E_S1E_jjS1G_bEUljE0_EEESZ_S10_S11_S18_S1C_S1E_T6_T7_T9_mT8_S1G_bDpT10_ENKUlT_T0_E_clISt17integral_constantIbLb0EES1U_EEDaS1P_S1Q_EUlS1P_E_NS1_11comp_targetILNS1_3genE2ELNS1_11target_archE906ELNS1_3gpuE6ELNS1_3repE0EEENS1_30default_config_static_selectorELNS0_4arch9wavefront6targetE1EEEvS12_,comdat
.Lfunc_end1472:
	.size	_ZN7rocprim17ROCPRIM_400000_NS6detail17trampoline_kernelINS0_13select_configILj256ELj13ELNS0_17block_load_methodE3ELS4_3ELS4_3ELNS0_20block_scan_algorithmE0ELj4294967295EEENS1_25partition_config_selectorILNS1_17partition_subalgoE4EjNS0_10empty_typeEbEEZZNS1_14partition_implILS8_4ELb0ES6_15HIP_vector_typeIjLj2EENS0_17counting_iteratorIjlEEPS9_SG_NS0_5tupleIJPjSI_NS0_16reverse_iteratorISI_EEEEENSH_IJSG_SG_SG_EEES9_SI_JZNS1_25segmented_radix_sort_implINS0_14default_configELb1EPKbPbPKlPlN2at6native12_GLOBAL__N_18offset_tEEE10hipError_tPvRmT1_PNSt15iterator_traitsIS12_E10value_typeET2_T3_PNS13_IS18_E10value_typeET4_jRbjT5_S1E_jjP12ihipStream_tbEUljE_ZNSN_ISO_Lb1ESQ_SR_ST_SU_SY_EESZ_S10_S11_S12_S16_S17_S18_S1B_S1C_jS1D_jS1E_S1E_jjS1G_bEUljE0_EEESZ_S10_S11_S18_S1C_S1E_T6_T7_T9_mT8_S1G_bDpT10_ENKUlT_T0_E_clISt17integral_constantIbLb0EES1U_EEDaS1P_S1Q_EUlS1P_E_NS1_11comp_targetILNS1_3genE2ELNS1_11target_archE906ELNS1_3gpuE6ELNS1_3repE0EEENS1_30default_config_static_selectorELNS0_4arch9wavefront6targetE1EEEvS12_, .Lfunc_end1472-_ZN7rocprim17ROCPRIM_400000_NS6detail17trampoline_kernelINS0_13select_configILj256ELj13ELNS0_17block_load_methodE3ELS4_3ELS4_3ELNS0_20block_scan_algorithmE0ELj4294967295EEENS1_25partition_config_selectorILNS1_17partition_subalgoE4EjNS0_10empty_typeEbEEZZNS1_14partition_implILS8_4ELb0ES6_15HIP_vector_typeIjLj2EENS0_17counting_iteratorIjlEEPS9_SG_NS0_5tupleIJPjSI_NS0_16reverse_iteratorISI_EEEEENSH_IJSG_SG_SG_EEES9_SI_JZNS1_25segmented_radix_sort_implINS0_14default_configELb1EPKbPbPKlPlN2at6native12_GLOBAL__N_18offset_tEEE10hipError_tPvRmT1_PNSt15iterator_traitsIS12_E10value_typeET2_T3_PNS13_IS18_E10value_typeET4_jRbjT5_S1E_jjP12ihipStream_tbEUljE_ZNSN_ISO_Lb1ESQ_SR_ST_SU_SY_EESZ_S10_S11_S12_S16_S17_S18_S1B_S1C_jS1D_jS1E_S1E_jjS1G_bEUljE0_EEESZ_S10_S11_S18_S1C_S1E_T6_T7_T9_mT8_S1G_bDpT10_ENKUlT_T0_E_clISt17integral_constantIbLb0EES1U_EEDaS1P_S1Q_EUlS1P_E_NS1_11comp_targetILNS1_3genE2ELNS1_11target_archE906ELNS1_3gpuE6ELNS1_3repE0EEENS1_30default_config_static_selectorELNS0_4arch9wavefront6targetE1EEEvS12_
                                        ; -- End function
	.set _ZN7rocprim17ROCPRIM_400000_NS6detail17trampoline_kernelINS0_13select_configILj256ELj13ELNS0_17block_load_methodE3ELS4_3ELS4_3ELNS0_20block_scan_algorithmE0ELj4294967295EEENS1_25partition_config_selectorILNS1_17partition_subalgoE4EjNS0_10empty_typeEbEEZZNS1_14partition_implILS8_4ELb0ES6_15HIP_vector_typeIjLj2EENS0_17counting_iteratorIjlEEPS9_SG_NS0_5tupleIJPjSI_NS0_16reverse_iteratorISI_EEEEENSH_IJSG_SG_SG_EEES9_SI_JZNS1_25segmented_radix_sort_implINS0_14default_configELb1EPKbPbPKlPlN2at6native12_GLOBAL__N_18offset_tEEE10hipError_tPvRmT1_PNSt15iterator_traitsIS12_E10value_typeET2_T3_PNS13_IS18_E10value_typeET4_jRbjT5_S1E_jjP12ihipStream_tbEUljE_ZNSN_ISO_Lb1ESQ_SR_ST_SU_SY_EESZ_S10_S11_S12_S16_S17_S18_S1B_S1C_jS1D_jS1E_S1E_jjS1G_bEUljE0_EEESZ_S10_S11_S18_S1C_S1E_T6_T7_T9_mT8_S1G_bDpT10_ENKUlT_T0_E_clISt17integral_constantIbLb0EES1U_EEDaS1P_S1Q_EUlS1P_E_NS1_11comp_targetILNS1_3genE2ELNS1_11target_archE906ELNS1_3gpuE6ELNS1_3repE0EEENS1_30default_config_static_selectorELNS0_4arch9wavefront6targetE1EEEvS12_.num_vgpr, 86
	.set _ZN7rocprim17ROCPRIM_400000_NS6detail17trampoline_kernelINS0_13select_configILj256ELj13ELNS0_17block_load_methodE3ELS4_3ELS4_3ELNS0_20block_scan_algorithmE0ELj4294967295EEENS1_25partition_config_selectorILNS1_17partition_subalgoE4EjNS0_10empty_typeEbEEZZNS1_14partition_implILS8_4ELb0ES6_15HIP_vector_typeIjLj2EENS0_17counting_iteratorIjlEEPS9_SG_NS0_5tupleIJPjSI_NS0_16reverse_iteratorISI_EEEEENSH_IJSG_SG_SG_EEES9_SI_JZNS1_25segmented_radix_sort_implINS0_14default_configELb1EPKbPbPKlPlN2at6native12_GLOBAL__N_18offset_tEEE10hipError_tPvRmT1_PNSt15iterator_traitsIS12_E10value_typeET2_T3_PNS13_IS18_E10value_typeET4_jRbjT5_S1E_jjP12ihipStream_tbEUljE_ZNSN_ISO_Lb1ESQ_SR_ST_SU_SY_EESZ_S10_S11_S12_S16_S17_S18_S1B_S1C_jS1D_jS1E_S1E_jjS1G_bEUljE0_EEESZ_S10_S11_S18_S1C_S1E_T6_T7_T9_mT8_S1G_bDpT10_ENKUlT_T0_E_clISt17integral_constantIbLb0EES1U_EEDaS1P_S1Q_EUlS1P_E_NS1_11comp_targetILNS1_3genE2ELNS1_11target_archE906ELNS1_3gpuE6ELNS1_3repE0EEENS1_30default_config_static_selectorELNS0_4arch9wavefront6targetE1EEEvS12_.num_agpr, 0
	.set _ZN7rocprim17ROCPRIM_400000_NS6detail17trampoline_kernelINS0_13select_configILj256ELj13ELNS0_17block_load_methodE3ELS4_3ELS4_3ELNS0_20block_scan_algorithmE0ELj4294967295EEENS1_25partition_config_selectorILNS1_17partition_subalgoE4EjNS0_10empty_typeEbEEZZNS1_14partition_implILS8_4ELb0ES6_15HIP_vector_typeIjLj2EENS0_17counting_iteratorIjlEEPS9_SG_NS0_5tupleIJPjSI_NS0_16reverse_iteratorISI_EEEEENSH_IJSG_SG_SG_EEES9_SI_JZNS1_25segmented_radix_sort_implINS0_14default_configELb1EPKbPbPKlPlN2at6native12_GLOBAL__N_18offset_tEEE10hipError_tPvRmT1_PNSt15iterator_traitsIS12_E10value_typeET2_T3_PNS13_IS18_E10value_typeET4_jRbjT5_S1E_jjP12ihipStream_tbEUljE_ZNSN_ISO_Lb1ESQ_SR_ST_SU_SY_EESZ_S10_S11_S12_S16_S17_S18_S1B_S1C_jS1D_jS1E_S1E_jjS1G_bEUljE0_EEESZ_S10_S11_S18_S1C_S1E_T6_T7_T9_mT8_S1G_bDpT10_ENKUlT_T0_E_clISt17integral_constantIbLb0EES1U_EEDaS1P_S1Q_EUlS1P_E_NS1_11comp_targetILNS1_3genE2ELNS1_11target_archE906ELNS1_3gpuE6ELNS1_3repE0EEENS1_30default_config_static_selectorELNS0_4arch9wavefront6targetE1EEEvS12_.numbered_sgpr, 90
	.set _ZN7rocprim17ROCPRIM_400000_NS6detail17trampoline_kernelINS0_13select_configILj256ELj13ELNS0_17block_load_methodE3ELS4_3ELS4_3ELNS0_20block_scan_algorithmE0ELj4294967295EEENS1_25partition_config_selectorILNS1_17partition_subalgoE4EjNS0_10empty_typeEbEEZZNS1_14partition_implILS8_4ELb0ES6_15HIP_vector_typeIjLj2EENS0_17counting_iteratorIjlEEPS9_SG_NS0_5tupleIJPjSI_NS0_16reverse_iteratorISI_EEEEENSH_IJSG_SG_SG_EEES9_SI_JZNS1_25segmented_radix_sort_implINS0_14default_configELb1EPKbPbPKlPlN2at6native12_GLOBAL__N_18offset_tEEE10hipError_tPvRmT1_PNSt15iterator_traitsIS12_E10value_typeET2_T3_PNS13_IS18_E10value_typeET4_jRbjT5_S1E_jjP12ihipStream_tbEUljE_ZNSN_ISO_Lb1ESQ_SR_ST_SU_SY_EESZ_S10_S11_S12_S16_S17_S18_S1B_S1C_jS1D_jS1E_S1E_jjS1G_bEUljE0_EEESZ_S10_S11_S18_S1C_S1E_T6_T7_T9_mT8_S1G_bDpT10_ENKUlT_T0_E_clISt17integral_constantIbLb0EES1U_EEDaS1P_S1Q_EUlS1P_E_NS1_11comp_targetILNS1_3genE2ELNS1_11target_archE906ELNS1_3gpuE6ELNS1_3repE0EEENS1_30default_config_static_selectorELNS0_4arch9wavefront6targetE1EEEvS12_.num_named_barrier, 0
	.set _ZN7rocprim17ROCPRIM_400000_NS6detail17trampoline_kernelINS0_13select_configILj256ELj13ELNS0_17block_load_methodE3ELS4_3ELS4_3ELNS0_20block_scan_algorithmE0ELj4294967295EEENS1_25partition_config_selectorILNS1_17partition_subalgoE4EjNS0_10empty_typeEbEEZZNS1_14partition_implILS8_4ELb0ES6_15HIP_vector_typeIjLj2EENS0_17counting_iteratorIjlEEPS9_SG_NS0_5tupleIJPjSI_NS0_16reverse_iteratorISI_EEEEENSH_IJSG_SG_SG_EEES9_SI_JZNS1_25segmented_radix_sort_implINS0_14default_configELb1EPKbPbPKlPlN2at6native12_GLOBAL__N_18offset_tEEE10hipError_tPvRmT1_PNSt15iterator_traitsIS12_E10value_typeET2_T3_PNS13_IS18_E10value_typeET4_jRbjT5_S1E_jjP12ihipStream_tbEUljE_ZNSN_ISO_Lb1ESQ_SR_ST_SU_SY_EESZ_S10_S11_S12_S16_S17_S18_S1B_S1C_jS1D_jS1E_S1E_jjS1G_bEUljE0_EEESZ_S10_S11_S18_S1C_S1E_T6_T7_T9_mT8_S1G_bDpT10_ENKUlT_T0_E_clISt17integral_constantIbLb0EES1U_EEDaS1P_S1Q_EUlS1P_E_NS1_11comp_targetILNS1_3genE2ELNS1_11target_archE906ELNS1_3gpuE6ELNS1_3repE0EEENS1_30default_config_static_selectorELNS0_4arch9wavefront6targetE1EEEvS12_.private_seg_size, 0
	.set _ZN7rocprim17ROCPRIM_400000_NS6detail17trampoline_kernelINS0_13select_configILj256ELj13ELNS0_17block_load_methodE3ELS4_3ELS4_3ELNS0_20block_scan_algorithmE0ELj4294967295EEENS1_25partition_config_selectorILNS1_17partition_subalgoE4EjNS0_10empty_typeEbEEZZNS1_14partition_implILS8_4ELb0ES6_15HIP_vector_typeIjLj2EENS0_17counting_iteratorIjlEEPS9_SG_NS0_5tupleIJPjSI_NS0_16reverse_iteratorISI_EEEEENSH_IJSG_SG_SG_EEES9_SI_JZNS1_25segmented_radix_sort_implINS0_14default_configELb1EPKbPbPKlPlN2at6native12_GLOBAL__N_18offset_tEEE10hipError_tPvRmT1_PNSt15iterator_traitsIS12_E10value_typeET2_T3_PNS13_IS18_E10value_typeET4_jRbjT5_S1E_jjP12ihipStream_tbEUljE_ZNSN_ISO_Lb1ESQ_SR_ST_SU_SY_EESZ_S10_S11_S12_S16_S17_S18_S1B_S1C_jS1D_jS1E_S1E_jjS1G_bEUljE0_EEESZ_S10_S11_S18_S1C_S1E_T6_T7_T9_mT8_S1G_bDpT10_ENKUlT_T0_E_clISt17integral_constantIbLb0EES1U_EEDaS1P_S1Q_EUlS1P_E_NS1_11comp_targetILNS1_3genE2ELNS1_11target_archE906ELNS1_3gpuE6ELNS1_3repE0EEENS1_30default_config_static_selectorELNS0_4arch9wavefront6targetE1EEEvS12_.uses_vcc, 1
	.set _ZN7rocprim17ROCPRIM_400000_NS6detail17trampoline_kernelINS0_13select_configILj256ELj13ELNS0_17block_load_methodE3ELS4_3ELS4_3ELNS0_20block_scan_algorithmE0ELj4294967295EEENS1_25partition_config_selectorILNS1_17partition_subalgoE4EjNS0_10empty_typeEbEEZZNS1_14partition_implILS8_4ELb0ES6_15HIP_vector_typeIjLj2EENS0_17counting_iteratorIjlEEPS9_SG_NS0_5tupleIJPjSI_NS0_16reverse_iteratorISI_EEEEENSH_IJSG_SG_SG_EEES9_SI_JZNS1_25segmented_radix_sort_implINS0_14default_configELb1EPKbPbPKlPlN2at6native12_GLOBAL__N_18offset_tEEE10hipError_tPvRmT1_PNSt15iterator_traitsIS12_E10value_typeET2_T3_PNS13_IS18_E10value_typeET4_jRbjT5_S1E_jjP12ihipStream_tbEUljE_ZNSN_ISO_Lb1ESQ_SR_ST_SU_SY_EESZ_S10_S11_S12_S16_S17_S18_S1B_S1C_jS1D_jS1E_S1E_jjS1G_bEUljE0_EEESZ_S10_S11_S18_S1C_S1E_T6_T7_T9_mT8_S1G_bDpT10_ENKUlT_T0_E_clISt17integral_constantIbLb0EES1U_EEDaS1P_S1Q_EUlS1P_E_NS1_11comp_targetILNS1_3genE2ELNS1_11target_archE906ELNS1_3gpuE6ELNS1_3repE0EEENS1_30default_config_static_selectorELNS0_4arch9wavefront6targetE1EEEvS12_.uses_flat_scratch, 0
	.set _ZN7rocprim17ROCPRIM_400000_NS6detail17trampoline_kernelINS0_13select_configILj256ELj13ELNS0_17block_load_methodE3ELS4_3ELS4_3ELNS0_20block_scan_algorithmE0ELj4294967295EEENS1_25partition_config_selectorILNS1_17partition_subalgoE4EjNS0_10empty_typeEbEEZZNS1_14partition_implILS8_4ELb0ES6_15HIP_vector_typeIjLj2EENS0_17counting_iteratorIjlEEPS9_SG_NS0_5tupleIJPjSI_NS0_16reverse_iteratorISI_EEEEENSH_IJSG_SG_SG_EEES9_SI_JZNS1_25segmented_radix_sort_implINS0_14default_configELb1EPKbPbPKlPlN2at6native12_GLOBAL__N_18offset_tEEE10hipError_tPvRmT1_PNSt15iterator_traitsIS12_E10value_typeET2_T3_PNS13_IS18_E10value_typeET4_jRbjT5_S1E_jjP12ihipStream_tbEUljE_ZNSN_ISO_Lb1ESQ_SR_ST_SU_SY_EESZ_S10_S11_S12_S16_S17_S18_S1B_S1C_jS1D_jS1E_S1E_jjS1G_bEUljE0_EEESZ_S10_S11_S18_S1C_S1E_T6_T7_T9_mT8_S1G_bDpT10_ENKUlT_T0_E_clISt17integral_constantIbLb0EES1U_EEDaS1P_S1Q_EUlS1P_E_NS1_11comp_targetILNS1_3genE2ELNS1_11target_archE906ELNS1_3gpuE6ELNS1_3repE0EEENS1_30default_config_static_selectorELNS0_4arch9wavefront6targetE1EEEvS12_.has_dyn_sized_stack, 0
	.set _ZN7rocprim17ROCPRIM_400000_NS6detail17trampoline_kernelINS0_13select_configILj256ELj13ELNS0_17block_load_methodE3ELS4_3ELS4_3ELNS0_20block_scan_algorithmE0ELj4294967295EEENS1_25partition_config_selectorILNS1_17partition_subalgoE4EjNS0_10empty_typeEbEEZZNS1_14partition_implILS8_4ELb0ES6_15HIP_vector_typeIjLj2EENS0_17counting_iteratorIjlEEPS9_SG_NS0_5tupleIJPjSI_NS0_16reverse_iteratorISI_EEEEENSH_IJSG_SG_SG_EEES9_SI_JZNS1_25segmented_radix_sort_implINS0_14default_configELb1EPKbPbPKlPlN2at6native12_GLOBAL__N_18offset_tEEE10hipError_tPvRmT1_PNSt15iterator_traitsIS12_E10value_typeET2_T3_PNS13_IS18_E10value_typeET4_jRbjT5_S1E_jjP12ihipStream_tbEUljE_ZNSN_ISO_Lb1ESQ_SR_ST_SU_SY_EESZ_S10_S11_S12_S16_S17_S18_S1B_S1C_jS1D_jS1E_S1E_jjS1G_bEUljE0_EEESZ_S10_S11_S18_S1C_S1E_T6_T7_T9_mT8_S1G_bDpT10_ENKUlT_T0_E_clISt17integral_constantIbLb0EES1U_EEDaS1P_S1Q_EUlS1P_E_NS1_11comp_targetILNS1_3genE2ELNS1_11target_archE906ELNS1_3gpuE6ELNS1_3repE0EEENS1_30default_config_static_selectorELNS0_4arch9wavefront6targetE1EEEvS12_.has_recursion, 0
	.set _ZN7rocprim17ROCPRIM_400000_NS6detail17trampoline_kernelINS0_13select_configILj256ELj13ELNS0_17block_load_methodE3ELS4_3ELS4_3ELNS0_20block_scan_algorithmE0ELj4294967295EEENS1_25partition_config_selectorILNS1_17partition_subalgoE4EjNS0_10empty_typeEbEEZZNS1_14partition_implILS8_4ELb0ES6_15HIP_vector_typeIjLj2EENS0_17counting_iteratorIjlEEPS9_SG_NS0_5tupleIJPjSI_NS0_16reverse_iteratorISI_EEEEENSH_IJSG_SG_SG_EEES9_SI_JZNS1_25segmented_radix_sort_implINS0_14default_configELb1EPKbPbPKlPlN2at6native12_GLOBAL__N_18offset_tEEE10hipError_tPvRmT1_PNSt15iterator_traitsIS12_E10value_typeET2_T3_PNS13_IS18_E10value_typeET4_jRbjT5_S1E_jjP12ihipStream_tbEUljE_ZNSN_ISO_Lb1ESQ_SR_ST_SU_SY_EESZ_S10_S11_S12_S16_S17_S18_S1B_S1C_jS1D_jS1E_S1E_jjS1G_bEUljE0_EEESZ_S10_S11_S18_S1C_S1E_T6_T7_T9_mT8_S1G_bDpT10_ENKUlT_T0_E_clISt17integral_constantIbLb0EES1U_EEDaS1P_S1Q_EUlS1P_E_NS1_11comp_targetILNS1_3genE2ELNS1_11target_archE906ELNS1_3gpuE6ELNS1_3repE0EEENS1_30default_config_static_selectorELNS0_4arch9wavefront6targetE1EEEvS12_.has_indirect_call, 0
	.section	.AMDGPU.csdata,"",@progbits
; Kernel info:
; codeLenInByte = 15480
; TotalNumSgprs: 94
; NumVgprs: 86
; ScratchSize: 0
; MemoryBound: 0
; FloatMode: 240
; IeeeMode: 1
; LDSByteSize: 13328 bytes/workgroup (compile time only)
; SGPRBlocks: 12
; VGPRBlocks: 21
; NumSGPRsForWavesPerEU: 102
; NumVGPRsForWavesPerEU: 86
; Occupancy: 2
; WaveLimiterHint : 1
; COMPUTE_PGM_RSRC2:SCRATCH_EN: 0
; COMPUTE_PGM_RSRC2:USER_SGPR: 6
; COMPUTE_PGM_RSRC2:TRAP_HANDLER: 0
; COMPUTE_PGM_RSRC2:TGID_X_EN: 1
; COMPUTE_PGM_RSRC2:TGID_Y_EN: 0
; COMPUTE_PGM_RSRC2:TGID_Z_EN: 0
; COMPUTE_PGM_RSRC2:TIDIG_COMP_CNT: 0
	.section	.text._ZN7rocprim17ROCPRIM_400000_NS6detail17trampoline_kernelINS0_13select_configILj256ELj13ELNS0_17block_load_methodE3ELS4_3ELS4_3ELNS0_20block_scan_algorithmE0ELj4294967295EEENS1_25partition_config_selectorILNS1_17partition_subalgoE4EjNS0_10empty_typeEbEEZZNS1_14partition_implILS8_4ELb0ES6_15HIP_vector_typeIjLj2EENS0_17counting_iteratorIjlEEPS9_SG_NS0_5tupleIJPjSI_NS0_16reverse_iteratorISI_EEEEENSH_IJSG_SG_SG_EEES9_SI_JZNS1_25segmented_radix_sort_implINS0_14default_configELb1EPKbPbPKlPlN2at6native12_GLOBAL__N_18offset_tEEE10hipError_tPvRmT1_PNSt15iterator_traitsIS12_E10value_typeET2_T3_PNS13_IS18_E10value_typeET4_jRbjT5_S1E_jjP12ihipStream_tbEUljE_ZNSN_ISO_Lb1ESQ_SR_ST_SU_SY_EESZ_S10_S11_S12_S16_S17_S18_S1B_S1C_jS1D_jS1E_S1E_jjS1G_bEUljE0_EEESZ_S10_S11_S18_S1C_S1E_T6_T7_T9_mT8_S1G_bDpT10_ENKUlT_T0_E_clISt17integral_constantIbLb0EES1U_EEDaS1P_S1Q_EUlS1P_E_NS1_11comp_targetILNS1_3genE10ELNS1_11target_archE1200ELNS1_3gpuE4ELNS1_3repE0EEENS1_30default_config_static_selectorELNS0_4arch9wavefront6targetE1EEEvS12_,"axG",@progbits,_ZN7rocprim17ROCPRIM_400000_NS6detail17trampoline_kernelINS0_13select_configILj256ELj13ELNS0_17block_load_methodE3ELS4_3ELS4_3ELNS0_20block_scan_algorithmE0ELj4294967295EEENS1_25partition_config_selectorILNS1_17partition_subalgoE4EjNS0_10empty_typeEbEEZZNS1_14partition_implILS8_4ELb0ES6_15HIP_vector_typeIjLj2EENS0_17counting_iteratorIjlEEPS9_SG_NS0_5tupleIJPjSI_NS0_16reverse_iteratorISI_EEEEENSH_IJSG_SG_SG_EEES9_SI_JZNS1_25segmented_radix_sort_implINS0_14default_configELb1EPKbPbPKlPlN2at6native12_GLOBAL__N_18offset_tEEE10hipError_tPvRmT1_PNSt15iterator_traitsIS12_E10value_typeET2_T3_PNS13_IS18_E10value_typeET4_jRbjT5_S1E_jjP12ihipStream_tbEUljE_ZNSN_ISO_Lb1ESQ_SR_ST_SU_SY_EESZ_S10_S11_S12_S16_S17_S18_S1B_S1C_jS1D_jS1E_S1E_jjS1G_bEUljE0_EEESZ_S10_S11_S18_S1C_S1E_T6_T7_T9_mT8_S1G_bDpT10_ENKUlT_T0_E_clISt17integral_constantIbLb0EES1U_EEDaS1P_S1Q_EUlS1P_E_NS1_11comp_targetILNS1_3genE10ELNS1_11target_archE1200ELNS1_3gpuE4ELNS1_3repE0EEENS1_30default_config_static_selectorELNS0_4arch9wavefront6targetE1EEEvS12_,comdat
	.globl	_ZN7rocprim17ROCPRIM_400000_NS6detail17trampoline_kernelINS0_13select_configILj256ELj13ELNS0_17block_load_methodE3ELS4_3ELS4_3ELNS0_20block_scan_algorithmE0ELj4294967295EEENS1_25partition_config_selectorILNS1_17partition_subalgoE4EjNS0_10empty_typeEbEEZZNS1_14partition_implILS8_4ELb0ES6_15HIP_vector_typeIjLj2EENS0_17counting_iteratorIjlEEPS9_SG_NS0_5tupleIJPjSI_NS0_16reverse_iteratorISI_EEEEENSH_IJSG_SG_SG_EEES9_SI_JZNS1_25segmented_radix_sort_implINS0_14default_configELb1EPKbPbPKlPlN2at6native12_GLOBAL__N_18offset_tEEE10hipError_tPvRmT1_PNSt15iterator_traitsIS12_E10value_typeET2_T3_PNS13_IS18_E10value_typeET4_jRbjT5_S1E_jjP12ihipStream_tbEUljE_ZNSN_ISO_Lb1ESQ_SR_ST_SU_SY_EESZ_S10_S11_S12_S16_S17_S18_S1B_S1C_jS1D_jS1E_S1E_jjS1G_bEUljE0_EEESZ_S10_S11_S18_S1C_S1E_T6_T7_T9_mT8_S1G_bDpT10_ENKUlT_T0_E_clISt17integral_constantIbLb0EES1U_EEDaS1P_S1Q_EUlS1P_E_NS1_11comp_targetILNS1_3genE10ELNS1_11target_archE1200ELNS1_3gpuE4ELNS1_3repE0EEENS1_30default_config_static_selectorELNS0_4arch9wavefront6targetE1EEEvS12_ ; -- Begin function _ZN7rocprim17ROCPRIM_400000_NS6detail17trampoline_kernelINS0_13select_configILj256ELj13ELNS0_17block_load_methodE3ELS4_3ELS4_3ELNS0_20block_scan_algorithmE0ELj4294967295EEENS1_25partition_config_selectorILNS1_17partition_subalgoE4EjNS0_10empty_typeEbEEZZNS1_14partition_implILS8_4ELb0ES6_15HIP_vector_typeIjLj2EENS0_17counting_iteratorIjlEEPS9_SG_NS0_5tupleIJPjSI_NS0_16reverse_iteratorISI_EEEEENSH_IJSG_SG_SG_EEES9_SI_JZNS1_25segmented_radix_sort_implINS0_14default_configELb1EPKbPbPKlPlN2at6native12_GLOBAL__N_18offset_tEEE10hipError_tPvRmT1_PNSt15iterator_traitsIS12_E10value_typeET2_T3_PNS13_IS18_E10value_typeET4_jRbjT5_S1E_jjP12ihipStream_tbEUljE_ZNSN_ISO_Lb1ESQ_SR_ST_SU_SY_EESZ_S10_S11_S12_S16_S17_S18_S1B_S1C_jS1D_jS1E_S1E_jjS1G_bEUljE0_EEESZ_S10_S11_S18_S1C_S1E_T6_T7_T9_mT8_S1G_bDpT10_ENKUlT_T0_E_clISt17integral_constantIbLb0EES1U_EEDaS1P_S1Q_EUlS1P_E_NS1_11comp_targetILNS1_3genE10ELNS1_11target_archE1200ELNS1_3gpuE4ELNS1_3repE0EEENS1_30default_config_static_selectorELNS0_4arch9wavefront6targetE1EEEvS12_
	.p2align	8
	.type	_ZN7rocprim17ROCPRIM_400000_NS6detail17trampoline_kernelINS0_13select_configILj256ELj13ELNS0_17block_load_methodE3ELS4_3ELS4_3ELNS0_20block_scan_algorithmE0ELj4294967295EEENS1_25partition_config_selectorILNS1_17partition_subalgoE4EjNS0_10empty_typeEbEEZZNS1_14partition_implILS8_4ELb0ES6_15HIP_vector_typeIjLj2EENS0_17counting_iteratorIjlEEPS9_SG_NS0_5tupleIJPjSI_NS0_16reverse_iteratorISI_EEEEENSH_IJSG_SG_SG_EEES9_SI_JZNS1_25segmented_radix_sort_implINS0_14default_configELb1EPKbPbPKlPlN2at6native12_GLOBAL__N_18offset_tEEE10hipError_tPvRmT1_PNSt15iterator_traitsIS12_E10value_typeET2_T3_PNS13_IS18_E10value_typeET4_jRbjT5_S1E_jjP12ihipStream_tbEUljE_ZNSN_ISO_Lb1ESQ_SR_ST_SU_SY_EESZ_S10_S11_S12_S16_S17_S18_S1B_S1C_jS1D_jS1E_S1E_jjS1G_bEUljE0_EEESZ_S10_S11_S18_S1C_S1E_T6_T7_T9_mT8_S1G_bDpT10_ENKUlT_T0_E_clISt17integral_constantIbLb0EES1U_EEDaS1P_S1Q_EUlS1P_E_NS1_11comp_targetILNS1_3genE10ELNS1_11target_archE1200ELNS1_3gpuE4ELNS1_3repE0EEENS1_30default_config_static_selectorELNS0_4arch9wavefront6targetE1EEEvS12_,@function
_ZN7rocprim17ROCPRIM_400000_NS6detail17trampoline_kernelINS0_13select_configILj256ELj13ELNS0_17block_load_methodE3ELS4_3ELS4_3ELNS0_20block_scan_algorithmE0ELj4294967295EEENS1_25partition_config_selectorILNS1_17partition_subalgoE4EjNS0_10empty_typeEbEEZZNS1_14partition_implILS8_4ELb0ES6_15HIP_vector_typeIjLj2EENS0_17counting_iteratorIjlEEPS9_SG_NS0_5tupleIJPjSI_NS0_16reverse_iteratorISI_EEEEENSH_IJSG_SG_SG_EEES9_SI_JZNS1_25segmented_radix_sort_implINS0_14default_configELb1EPKbPbPKlPlN2at6native12_GLOBAL__N_18offset_tEEE10hipError_tPvRmT1_PNSt15iterator_traitsIS12_E10value_typeET2_T3_PNS13_IS18_E10value_typeET4_jRbjT5_S1E_jjP12ihipStream_tbEUljE_ZNSN_ISO_Lb1ESQ_SR_ST_SU_SY_EESZ_S10_S11_S12_S16_S17_S18_S1B_S1C_jS1D_jS1E_S1E_jjS1G_bEUljE0_EEESZ_S10_S11_S18_S1C_S1E_T6_T7_T9_mT8_S1G_bDpT10_ENKUlT_T0_E_clISt17integral_constantIbLb0EES1U_EEDaS1P_S1Q_EUlS1P_E_NS1_11comp_targetILNS1_3genE10ELNS1_11target_archE1200ELNS1_3gpuE4ELNS1_3repE0EEENS1_30default_config_static_selectorELNS0_4arch9wavefront6targetE1EEEvS12_: ; @_ZN7rocprim17ROCPRIM_400000_NS6detail17trampoline_kernelINS0_13select_configILj256ELj13ELNS0_17block_load_methodE3ELS4_3ELS4_3ELNS0_20block_scan_algorithmE0ELj4294967295EEENS1_25partition_config_selectorILNS1_17partition_subalgoE4EjNS0_10empty_typeEbEEZZNS1_14partition_implILS8_4ELb0ES6_15HIP_vector_typeIjLj2EENS0_17counting_iteratorIjlEEPS9_SG_NS0_5tupleIJPjSI_NS0_16reverse_iteratorISI_EEEEENSH_IJSG_SG_SG_EEES9_SI_JZNS1_25segmented_radix_sort_implINS0_14default_configELb1EPKbPbPKlPlN2at6native12_GLOBAL__N_18offset_tEEE10hipError_tPvRmT1_PNSt15iterator_traitsIS12_E10value_typeET2_T3_PNS13_IS18_E10value_typeET4_jRbjT5_S1E_jjP12ihipStream_tbEUljE_ZNSN_ISO_Lb1ESQ_SR_ST_SU_SY_EESZ_S10_S11_S12_S16_S17_S18_S1B_S1C_jS1D_jS1E_S1E_jjS1G_bEUljE0_EEESZ_S10_S11_S18_S1C_S1E_T6_T7_T9_mT8_S1G_bDpT10_ENKUlT_T0_E_clISt17integral_constantIbLb0EES1U_EEDaS1P_S1Q_EUlS1P_E_NS1_11comp_targetILNS1_3genE10ELNS1_11target_archE1200ELNS1_3gpuE4ELNS1_3repE0EEENS1_30default_config_static_selectorELNS0_4arch9wavefront6targetE1EEEvS12_
; %bb.0:
	.section	.rodata,"a",@progbits
	.p2align	6, 0x0
	.amdhsa_kernel _ZN7rocprim17ROCPRIM_400000_NS6detail17trampoline_kernelINS0_13select_configILj256ELj13ELNS0_17block_load_methodE3ELS4_3ELS4_3ELNS0_20block_scan_algorithmE0ELj4294967295EEENS1_25partition_config_selectorILNS1_17partition_subalgoE4EjNS0_10empty_typeEbEEZZNS1_14partition_implILS8_4ELb0ES6_15HIP_vector_typeIjLj2EENS0_17counting_iteratorIjlEEPS9_SG_NS0_5tupleIJPjSI_NS0_16reverse_iteratorISI_EEEEENSH_IJSG_SG_SG_EEES9_SI_JZNS1_25segmented_radix_sort_implINS0_14default_configELb1EPKbPbPKlPlN2at6native12_GLOBAL__N_18offset_tEEE10hipError_tPvRmT1_PNSt15iterator_traitsIS12_E10value_typeET2_T3_PNS13_IS18_E10value_typeET4_jRbjT5_S1E_jjP12ihipStream_tbEUljE_ZNSN_ISO_Lb1ESQ_SR_ST_SU_SY_EESZ_S10_S11_S12_S16_S17_S18_S1B_S1C_jS1D_jS1E_S1E_jjS1G_bEUljE0_EEESZ_S10_S11_S18_S1C_S1E_T6_T7_T9_mT8_S1G_bDpT10_ENKUlT_T0_E_clISt17integral_constantIbLb0EES1U_EEDaS1P_S1Q_EUlS1P_E_NS1_11comp_targetILNS1_3genE10ELNS1_11target_archE1200ELNS1_3gpuE4ELNS1_3repE0EEENS1_30default_config_static_selectorELNS0_4arch9wavefront6targetE1EEEvS12_
		.amdhsa_group_segment_fixed_size 0
		.amdhsa_private_segment_fixed_size 0
		.amdhsa_kernarg_size 176
		.amdhsa_user_sgpr_count 6
		.amdhsa_user_sgpr_private_segment_buffer 1
		.amdhsa_user_sgpr_dispatch_ptr 0
		.amdhsa_user_sgpr_queue_ptr 0
		.amdhsa_user_sgpr_kernarg_segment_ptr 1
		.amdhsa_user_sgpr_dispatch_id 0
		.amdhsa_user_sgpr_flat_scratch_init 0
		.amdhsa_user_sgpr_private_segment_size 0
		.amdhsa_uses_dynamic_stack 0
		.amdhsa_system_sgpr_private_segment_wavefront_offset 0
		.amdhsa_system_sgpr_workgroup_id_x 1
		.amdhsa_system_sgpr_workgroup_id_y 0
		.amdhsa_system_sgpr_workgroup_id_z 0
		.amdhsa_system_sgpr_workgroup_info 0
		.amdhsa_system_vgpr_workitem_id 0
		.amdhsa_next_free_vgpr 1
		.amdhsa_next_free_sgpr 0
		.amdhsa_reserve_vcc 0
		.amdhsa_reserve_flat_scratch 0
		.amdhsa_float_round_mode_32 0
		.amdhsa_float_round_mode_16_64 0
		.amdhsa_float_denorm_mode_32 3
		.amdhsa_float_denorm_mode_16_64 3
		.amdhsa_dx10_clamp 1
		.amdhsa_ieee_mode 1
		.amdhsa_fp16_overflow 0
		.amdhsa_exception_fp_ieee_invalid_op 0
		.amdhsa_exception_fp_denorm_src 0
		.amdhsa_exception_fp_ieee_div_zero 0
		.amdhsa_exception_fp_ieee_overflow 0
		.amdhsa_exception_fp_ieee_underflow 0
		.amdhsa_exception_fp_ieee_inexact 0
		.amdhsa_exception_int_div_zero 0
	.end_amdhsa_kernel
	.section	.text._ZN7rocprim17ROCPRIM_400000_NS6detail17trampoline_kernelINS0_13select_configILj256ELj13ELNS0_17block_load_methodE3ELS4_3ELS4_3ELNS0_20block_scan_algorithmE0ELj4294967295EEENS1_25partition_config_selectorILNS1_17partition_subalgoE4EjNS0_10empty_typeEbEEZZNS1_14partition_implILS8_4ELb0ES6_15HIP_vector_typeIjLj2EENS0_17counting_iteratorIjlEEPS9_SG_NS0_5tupleIJPjSI_NS0_16reverse_iteratorISI_EEEEENSH_IJSG_SG_SG_EEES9_SI_JZNS1_25segmented_radix_sort_implINS0_14default_configELb1EPKbPbPKlPlN2at6native12_GLOBAL__N_18offset_tEEE10hipError_tPvRmT1_PNSt15iterator_traitsIS12_E10value_typeET2_T3_PNS13_IS18_E10value_typeET4_jRbjT5_S1E_jjP12ihipStream_tbEUljE_ZNSN_ISO_Lb1ESQ_SR_ST_SU_SY_EESZ_S10_S11_S12_S16_S17_S18_S1B_S1C_jS1D_jS1E_S1E_jjS1G_bEUljE0_EEESZ_S10_S11_S18_S1C_S1E_T6_T7_T9_mT8_S1G_bDpT10_ENKUlT_T0_E_clISt17integral_constantIbLb0EES1U_EEDaS1P_S1Q_EUlS1P_E_NS1_11comp_targetILNS1_3genE10ELNS1_11target_archE1200ELNS1_3gpuE4ELNS1_3repE0EEENS1_30default_config_static_selectorELNS0_4arch9wavefront6targetE1EEEvS12_,"axG",@progbits,_ZN7rocprim17ROCPRIM_400000_NS6detail17trampoline_kernelINS0_13select_configILj256ELj13ELNS0_17block_load_methodE3ELS4_3ELS4_3ELNS0_20block_scan_algorithmE0ELj4294967295EEENS1_25partition_config_selectorILNS1_17partition_subalgoE4EjNS0_10empty_typeEbEEZZNS1_14partition_implILS8_4ELb0ES6_15HIP_vector_typeIjLj2EENS0_17counting_iteratorIjlEEPS9_SG_NS0_5tupleIJPjSI_NS0_16reverse_iteratorISI_EEEEENSH_IJSG_SG_SG_EEES9_SI_JZNS1_25segmented_radix_sort_implINS0_14default_configELb1EPKbPbPKlPlN2at6native12_GLOBAL__N_18offset_tEEE10hipError_tPvRmT1_PNSt15iterator_traitsIS12_E10value_typeET2_T3_PNS13_IS18_E10value_typeET4_jRbjT5_S1E_jjP12ihipStream_tbEUljE_ZNSN_ISO_Lb1ESQ_SR_ST_SU_SY_EESZ_S10_S11_S12_S16_S17_S18_S1B_S1C_jS1D_jS1E_S1E_jjS1G_bEUljE0_EEESZ_S10_S11_S18_S1C_S1E_T6_T7_T9_mT8_S1G_bDpT10_ENKUlT_T0_E_clISt17integral_constantIbLb0EES1U_EEDaS1P_S1Q_EUlS1P_E_NS1_11comp_targetILNS1_3genE10ELNS1_11target_archE1200ELNS1_3gpuE4ELNS1_3repE0EEENS1_30default_config_static_selectorELNS0_4arch9wavefront6targetE1EEEvS12_,comdat
.Lfunc_end1473:
	.size	_ZN7rocprim17ROCPRIM_400000_NS6detail17trampoline_kernelINS0_13select_configILj256ELj13ELNS0_17block_load_methodE3ELS4_3ELS4_3ELNS0_20block_scan_algorithmE0ELj4294967295EEENS1_25partition_config_selectorILNS1_17partition_subalgoE4EjNS0_10empty_typeEbEEZZNS1_14partition_implILS8_4ELb0ES6_15HIP_vector_typeIjLj2EENS0_17counting_iteratorIjlEEPS9_SG_NS0_5tupleIJPjSI_NS0_16reverse_iteratorISI_EEEEENSH_IJSG_SG_SG_EEES9_SI_JZNS1_25segmented_radix_sort_implINS0_14default_configELb1EPKbPbPKlPlN2at6native12_GLOBAL__N_18offset_tEEE10hipError_tPvRmT1_PNSt15iterator_traitsIS12_E10value_typeET2_T3_PNS13_IS18_E10value_typeET4_jRbjT5_S1E_jjP12ihipStream_tbEUljE_ZNSN_ISO_Lb1ESQ_SR_ST_SU_SY_EESZ_S10_S11_S12_S16_S17_S18_S1B_S1C_jS1D_jS1E_S1E_jjS1G_bEUljE0_EEESZ_S10_S11_S18_S1C_S1E_T6_T7_T9_mT8_S1G_bDpT10_ENKUlT_T0_E_clISt17integral_constantIbLb0EES1U_EEDaS1P_S1Q_EUlS1P_E_NS1_11comp_targetILNS1_3genE10ELNS1_11target_archE1200ELNS1_3gpuE4ELNS1_3repE0EEENS1_30default_config_static_selectorELNS0_4arch9wavefront6targetE1EEEvS12_, .Lfunc_end1473-_ZN7rocprim17ROCPRIM_400000_NS6detail17trampoline_kernelINS0_13select_configILj256ELj13ELNS0_17block_load_methodE3ELS4_3ELS4_3ELNS0_20block_scan_algorithmE0ELj4294967295EEENS1_25partition_config_selectorILNS1_17partition_subalgoE4EjNS0_10empty_typeEbEEZZNS1_14partition_implILS8_4ELb0ES6_15HIP_vector_typeIjLj2EENS0_17counting_iteratorIjlEEPS9_SG_NS0_5tupleIJPjSI_NS0_16reverse_iteratorISI_EEEEENSH_IJSG_SG_SG_EEES9_SI_JZNS1_25segmented_radix_sort_implINS0_14default_configELb1EPKbPbPKlPlN2at6native12_GLOBAL__N_18offset_tEEE10hipError_tPvRmT1_PNSt15iterator_traitsIS12_E10value_typeET2_T3_PNS13_IS18_E10value_typeET4_jRbjT5_S1E_jjP12ihipStream_tbEUljE_ZNSN_ISO_Lb1ESQ_SR_ST_SU_SY_EESZ_S10_S11_S12_S16_S17_S18_S1B_S1C_jS1D_jS1E_S1E_jjS1G_bEUljE0_EEESZ_S10_S11_S18_S1C_S1E_T6_T7_T9_mT8_S1G_bDpT10_ENKUlT_T0_E_clISt17integral_constantIbLb0EES1U_EEDaS1P_S1Q_EUlS1P_E_NS1_11comp_targetILNS1_3genE10ELNS1_11target_archE1200ELNS1_3gpuE4ELNS1_3repE0EEENS1_30default_config_static_selectorELNS0_4arch9wavefront6targetE1EEEvS12_
                                        ; -- End function
	.set _ZN7rocprim17ROCPRIM_400000_NS6detail17trampoline_kernelINS0_13select_configILj256ELj13ELNS0_17block_load_methodE3ELS4_3ELS4_3ELNS0_20block_scan_algorithmE0ELj4294967295EEENS1_25partition_config_selectorILNS1_17partition_subalgoE4EjNS0_10empty_typeEbEEZZNS1_14partition_implILS8_4ELb0ES6_15HIP_vector_typeIjLj2EENS0_17counting_iteratorIjlEEPS9_SG_NS0_5tupleIJPjSI_NS0_16reverse_iteratorISI_EEEEENSH_IJSG_SG_SG_EEES9_SI_JZNS1_25segmented_radix_sort_implINS0_14default_configELb1EPKbPbPKlPlN2at6native12_GLOBAL__N_18offset_tEEE10hipError_tPvRmT1_PNSt15iterator_traitsIS12_E10value_typeET2_T3_PNS13_IS18_E10value_typeET4_jRbjT5_S1E_jjP12ihipStream_tbEUljE_ZNSN_ISO_Lb1ESQ_SR_ST_SU_SY_EESZ_S10_S11_S12_S16_S17_S18_S1B_S1C_jS1D_jS1E_S1E_jjS1G_bEUljE0_EEESZ_S10_S11_S18_S1C_S1E_T6_T7_T9_mT8_S1G_bDpT10_ENKUlT_T0_E_clISt17integral_constantIbLb0EES1U_EEDaS1P_S1Q_EUlS1P_E_NS1_11comp_targetILNS1_3genE10ELNS1_11target_archE1200ELNS1_3gpuE4ELNS1_3repE0EEENS1_30default_config_static_selectorELNS0_4arch9wavefront6targetE1EEEvS12_.num_vgpr, 0
	.set _ZN7rocprim17ROCPRIM_400000_NS6detail17trampoline_kernelINS0_13select_configILj256ELj13ELNS0_17block_load_methodE3ELS4_3ELS4_3ELNS0_20block_scan_algorithmE0ELj4294967295EEENS1_25partition_config_selectorILNS1_17partition_subalgoE4EjNS0_10empty_typeEbEEZZNS1_14partition_implILS8_4ELb0ES6_15HIP_vector_typeIjLj2EENS0_17counting_iteratorIjlEEPS9_SG_NS0_5tupleIJPjSI_NS0_16reverse_iteratorISI_EEEEENSH_IJSG_SG_SG_EEES9_SI_JZNS1_25segmented_radix_sort_implINS0_14default_configELb1EPKbPbPKlPlN2at6native12_GLOBAL__N_18offset_tEEE10hipError_tPvRmT1_PNSt15iterator_traitsIS12_E10value_typeET2_T3_PNS13_IS18_E10value_typeET4_jRbjT5_S1E_jjP12ihipStream_tbEUljE_ZNSN_ISO_Lb1ESQ_SR_ST_SU_SY_EESZ_S10_S11_S12_S16_S17_S18_S1B_S1C_jS1D_jS1E_S1E_jjS1G_bEUljE0_EEESZ_S10_S11_S18_S1C_S1E_T6_T7_T9_mT8_S1G_bDpT10_ENKUlT_T0_E_clISt17integral_constantIbLb0EES1U_EEDaS1P_S1Q_EUlS1P_E_NS1_11comp_targetILNS1_3genE10ELNS1_11target_archE1200ELNS1_3gpuE4ELNS1_3repE0EEENS1_30default_config_static_selectorELNS0_4arch9wavefront6targetE1EEEvS12_.num_agpr, 0
	.set _ZN7rocprim17ROCPRIM_400000_NS6detail17trampoline_kernelINS0_13select_configILj256ELj13ELNS0_17block_load_methodE3ELS4_3ELS4_3ELNS0_20block_scan_algorithmE0ELj4294967295EEENS1_25partition_config_selectorILNS1_17partition_subalgoE4EjNS0_10empty_typeEbEEZZNS1_14partition_implILS8_4ELb0ES6_15HIP_vector_typeIjLj2EENS0_17counting_iteratorIjlEEPS9_SG_NS0_5tupleIJPjSI_NS0_16reverse_iteratorISI_EEEEENSH_IJSG_SG_SG_EEES9_SI_JZNS1_25segmented_radix_sort_implINS0_14default_configELb1EPKbPbPKlPlN2at6native12_GLOBAL__N_18offset_tEEE10hipError_tPvRmT1_PNSt15iterator_traitsIS12_E10value_typeET2_T3_PNS13_IS18_E10value_typeET4_jRbjT5_S1E_jjP12ihipStream_tbEUljE_ZNSN_ISO_Lb1ESQ_SR_ST_SU_SY_EESZ_S10_S11_S12_S16_S17_S18_S1B_S1C_jS1D_jS1E_S1E_jjS1G_bEUljE0_EEESZ_S10_S11_S18_S1C_S1E_T6_T7_T9_mT8_S1G_bDpT10_ENKUlT_T0_E_clISt17integral_constantIbLb0EES1U_EEDaS1P_S1Q_EUlS1P_E_NS1_11comp_targetILNS1_3genE10ELNS1_11target_archE1200ELNS1_3gpuE4ELNS1_3repE0EEENS1_30default_config_static_selectorELNS0_4arch9wavefront6targetE1EEEvS12_.numbered_sgpr, 0
	.set _ZN7rocprim17ROCPRIM_400000_NS6detail17trampoline_kernelINS0_13select_configILj256ELj13ELNS0_17block_load_methodE3ELS4_3ELS4_3ELNS0_20block_scan_algorithmE0ELj4294967295EEENS1_25partition_config_selectorILNS1_17partition_subalgoE4EjNS0_10empty_typeEbEEZZNS1_14partition_implILS8_4ELb0ES6_15HIP_vector_typeIjLj2EENS0_17counting_iteratorIjlEEPS9_SG_NS0_5tupleIJPjSI_NS0_16reverse_iteratorISI_EEEEENSH_IJSG_SG_SG_EEES9_SI_JZNS1_25segmented_radix_sort_implINS0_14default_configELb1EPKbPbPKlPlN2at6native12_GLOBAL__N_18offset_tEEE10hipError_tPvRmT1_PNSt15iterator_traitsIS12_E10value_typeET2_T3_PNS13_IS18_E10value_typeET4_jRbjT5_S1E_jjP12ihipStream_tbEUljE_ZNSN_ISO_Lb1ESQ_SR_ST_SU_SY_EESZ_S10_S11_S12_S16_S17_S18_S1B_S1C_jS1D_jS1E_S1E_jjS1G_bEUljE0_EEESZ_S10_S11_S18_S1C_S1E_T6_T7_T9_mT8_S1G_bDpT10_ENKUlT_T0_E_clISt17integral_constantIbLb0EES1U_EEDaS1P_S1Q_EUlS1P_E_NS1_11comp_targetILNS1_3genE10ELNS1_11target_archE1200ELNS1_3gpuE4ELNS1_3repE0EEENS1_30default_config_static_selectorELNS0_4arch9wavefront6targetE1EEEvS12_.num_named_barrier, 0
	.set _ZN7rocprim17ROCPRIM_400000_NS6detail17trampoline_kernelINS0_13select_configILj256ELj13ELNS0_17block_load_methodE3ELS4_3ELS4_3ELNS0_20block_scan_algorithmE0ELj4294967295EEENS1_25partition_config_selectorILNS1_17partition_subalgoE4EjNS0_10empty_typeEbEEZZNS1_14partition_implILS8_4ELb0ES6_15HIP_vector_typeIjLj2EENS0_17counting_iteratorIjlEEPS9_SG_NS0_5tupleIJPjSI_NS0_16reverse_iteratorISI_EEEEENSH_IJSG_SG_SG_EEES9_SI_JZNS1_25segmented_radix_sort_implINS0_14default_configELb1EPKbPbPKlPlN2at6native12_GLOBAL__N_18offset_tEEE10hipError_tPvRmT1_PNSt15iterator_traitsIS12_E10value_typeET2_T3_PNS13_IS18_E10value_typeET4_jRbjT5_S1E_jjP12ihipStream_tbEUljE_ZNSN_ISO_Lb1ESQ_SR_ST_SU_SY_EESZ_S10_S11_S12_S16_S17_S18_S1B_S1C_jS1D_jS1E_S1E_jjS1G_bEUljE0_EEESZ_S10_S11_S18_S1C_S1E_T6_T7_T9_mT8_S1G_bDpT10_ENKUlT_T0_E_clISt17integral_constantIbLb0EES1U_EEDaS1P_S1Q_EUlS1P_E_NS1_11comp_targetILNS1_3genE10ELNS1_11target_archE1200ELNS1_3gpuE4ELNS1_3repE0EEENS1_30default_config_static_selectorELNS0_4arch9wavefront6targetE1EEEvS12_.private_seg_size, 0
	.set _ZN7rocprim17ROCPRIM_400000_NS6detail17trampoline_kernelINS0_13select_configILj256ELj13ELNS0_17block_load_methodE3ELS4_3ELS4_3ELNS0_20block_scan_algorithmE0ELj4294967295EEENS1_25partition_config_selectorILNS1_17partition_subalgoE4EjNS0_10empty_typeEbEEZZNS1_14partition_implILS8_4ELb0ES6_15HIP_vector_typeIjLj2EENS0_17counting_iteratorIjlEEPS9_SG_NS0_5tupleIJPjSI_NS0_16reverse_iteratorISI_EEEEENSH_IJSG_SG_SG_EEES9_SI_JZNS1_25segmented_radix_sort_implINS0_14default_configELb1EPKbPbPKlPlN2at6native12_GLOBAL__N_18offset_tEEE10hipError_tPvRmT1_PNSt15iterator_traitsIS12_E10value_typeET2_T3_PNS13_IS18_E10value_typeET4_jRbjT5_S1E_jjP12ihipStream_tbEUljE_ZNSN_ISO_Lb1ESQ_SR_ST_SU_SY_EESZ_S10_S11_S12_S16_S17_S18_S1B_S1C_jS1D_jS1E_S1E_jjS1G_bEUljE0_EEESZ_S10_S11_S18_S1C_S1E_T6_T7_T9_mT8_S1G_bDpT10_ENKUlT_T0_E_clISt17integral_constantIbLb0EES1U_EEDaS1P_S1Q_EUlS1P_E_NS1_11comp_targetILNS1_3genE10ELNS1_11target_archE1200ELNS1_3gpuE4ELNS1_3repE0EEENS1_30default_config_static_selectorELNS0_4arch9wavefront6targetE1EEEvS12_.uses_vcc, 0
	.set _ZN7rocprim17ROCPRIM_400000_NS6detail17trampoline_kernelINS0_13select_configILj256ELj13ELNS0_17block_load_methodE3ELS4_3ELS4_3ELNS0_20block_scan_algorithmE0ELj4294967295EEENS1_25partition_config_selectorILNS1_17partition_subalgoE4EjNS0_10empty_typeEbEEZZNS1_14partition_implILS8_4ELb0ES6_15HIP_vector_typeIjLj2EENS0_17counting_iteratorIjlEEPS9_SG_NS0_5tupleIJPjSI_NS0_16reverse_iteratorISI_EEEEENSH_IJSG_SG_SG_EEES9_SI_JZNS1_25segmented_radix_sort_implINS0_14default_configELb1EPKbPbPKlPlN2at6native12_GLOBAL__N_18offset_tEEE10hipError_tPvRmT1_PNSt15iterator_traitsIS12_E10value_typeET2_T3_PNS13_IS18_E10value_typeET4_jRbjT5_S1E_jjP12ihipStream_tbEUljE_ZNSN_ISO_Lb1ESQ_SR_ST_SU_SY_EESZ_S10_S11_S12_S16_S17_S18_S1B_S1C_jS1D_jS1E_S1E_jjS1G_bEUljE0_EEESZ_S10_S11_S18_S1C_S1E_T6_T7_T9_mT8_S1G_bDpT10_ENKUlT_T0_E_clISt17integral_constantIbLb0EES1U_EEDaS1P_S1Q_EUlS1P_E_NS1_11comp_targetILNS1_3genE10ELNS1_11target_archE1200ELNS1_3gpuE4ELNS1_3repE0EEENS1_30default_config_static_selectorELNS0_4arch9wavefront6targetE1EEEvS12_.uses_flat_scratch, 0
	.set _ZN7rocprim17ROCPRIM_400000_NS6detail17trampoline_kernelINS0_13select_configILj256ELj13ELNS0_17block_load_methodE3ELS4_3ELS4_3ELNS0_20block_scan_algorithmE0ELj4294967295EEENS1_25partition_config_selectorILNS1_17partition_subalgoE4EjNS0_10empty_typeEbEEZZNS1_14partition_implILS8_4ELb0ES6_15HIP_vector_typeIjLj2EENS0_17counting_iteratorIjlEEPS9_SG_NS0_5tupleIJPjSI_NS0_16reverse_iteratorISI_EEEEENSH_IJSG_SG_SG_EEES9_SI_JZNS1_25segmented_radix_sort_implINS0_14default_configELb1EPKbPbPKlPlN2at6native12_GLOBAL__N_18offset_tEEE10hipError_tPvRmT1_PNSt15iterator_traitsIS12_E10value_typeET2_T3_PNS13_IS18_E10value_typeET4_jRbjT5_S1E_jjP12ihipStream_tbEUljE_ZNSN_ISO_Lb1ESQ_SR_ST_SU_SY_EESZ_S10_S11_S12_S16_S17_S18_S1B_S1C_jS1D_jS1E_S1E_jjS1G_bEUljE0_EEESZ_S10_S11_S18_S1C_S1E_T6_T7_T9_mT8_S1G_bDpT10_ENKUlT_T0_E_clISt17integral_constantIbLb0EES1U_EEDaS1P_S1Q_EUlS1P_E_NS1_11comp_targetILNS1_3genE10ELNS1_11target_archE1200ELNS1_3gpuE4ELNS1_3repE0EEENS1_30default_config_static_selectorELNS0_4arch9wavefront6targetE1EEEvS12_.has_dyn_sized_stack, 0
	.set _ZN7rocprim17ROCPRIM_400000_NS6detail17trampoline_kernelINS0_13select_configILj256ELj13ELNS0_17block_load_methodE3ELS4_3ELS4_3ELNS0_20block_scan_algorithmE0ELj4294967295EEENS1_25partition_config_selectorILNS1_17partition_subalgoE4EjNS0_10empty_typeEbEEZZNS1_14partition_implILS8_4ELb0ES6_15HIP_vector_typeIjLj2EENS0_17counting_iteratorIjlEEPS9_SG_NS0_5tupleIJPjSI_NS0_16reverse_iteratorISI_EEEEENSH_IJSG_SG_SG_EEES9_SI_JZNS1_25segmented_radix_sort_implINS0_14default_configELb1EPKbPbPKlPlN2at6native12_GLOBAL__N_18offset_tEEE10hipError_tPvRmT1_PNSt15iterator_traitsIS12_E10value_typeET2_T3_PNS13_IS18_E10value_typeET4_jRbjT5_S1E_jjP12ihipStream_tbEUljE_ZNSN_ISO_Lb1ESQ_SR_ST_SU_SY_EESZ_S10_S11_S12_S16_S17_S18_S1B_S1C_jS1D_jS1E_S1E_jjS1G_bEUljE0_EEESZ_S10_S11_S18_S1C_S1E_T6_T7_T9_mT8_S1G_bDpT10_ENKUlT_T0_E_clISt17integral_constantIbLb0EES1U_EEDaS1P_S1Q_EUlS1P_E_NS1_11comp_targetILNS1_3genE10ELNS1_11target_archE1200ELNS1_3gpuE4ELNS1_3repE0EEENS1_30default_config_static_selectorELNS0_4arch9wavefront6targetE1EEEvS12_.has_recursion, 0
	.set _ZN7rocprim17ROCPRIM_400000_NS6detail17trampoline_kernelINS0_13select_configILj256ELj13ELNS0_17block_load_methodE3ELS4_3ELS4_3ELNS0_20block_scan_algorithmE0ELj4294967295EEENS1_25partition_config_selectorILNS1_17partition_subalgoE4EjNS0_10empty_typeEbEEZZNS1_14partition_implILS8_4ELb0ES6_15HIP_vector_typeIjLj2EENS0_17counting_iteratorIjlEEPS9_SG_NS0_5tupleIJPjSI_NS0_16reverse_iteratorISI_EEEEENSH_IJSG_SG_SG_EEES9_SI_JZNS1_25segmented_radix_sort_implINS0_14default_configELb1EPKbPbPKlPlN2at6native12_GLOBAL__N_18offset_tEEE10hipError_tPvRmT1_PNSt15iterator_traitsIS12_E10value_typeET2_T3_PNS13_IS18_E10value_typeET4_jRbjT5_S1E_jjP12ihipStream_tbEUljE_ZNSN_ISO_Lb1ESQ_SR_ST_SU_SY_EESZ_S10_S11_S12_S16_S17_S18_S1B_S1C_jS1D_jS1E_S1E_jjS1G_bEUljE0_EEESZ_S10_S11_S18_S1C_S1E_T6_T7_T9_mT8_S1G_bDpT10_ENKUlT_T0_E_clISt17integral_constantIbLb0EES1U_EEDaS1P_S1Q_EUlS1P_E_NS1_11comp_targetILNS1_3genE10ELNS1_11target_archE1200ELNS1_3gpuE4ELNS1_3repE0EEENS1_30default_config_static_selectorELNS0_4arch9wavefront6targetE1EEEvS12_.has_indirect_call, 0
	.section	.AMDGPU.csdata,"",@progbits
; Kernel info:
; codeLenInByte = 0
; TotalNumSgprs: 4
; NumVgprs: 0
; ScratchSize: 0
; MemoryBound: 0
; FloatMode: 240
; IeeeMode: 1
; LDSByteSize: 0 bytes/workgroup (compile time only)
; SGPRBlocks: 0
; VGPRBlocks: 0
; NumSGPRsForWavesPerEU: 4
; NumVGPRsForWavesPerEU: 1
; Occupancy: 10
; WaveLimiterHint : 0
; COMPUTE_PGM_RSRC2:SCRATCH_EN: 0
; COMPUTE_PGM_RSRC2:USER_SGPR: 6
; COMPUTE_PGM_RSRC2:TRAP_HANDLER: 0
; COMPUTE_PGM_RSRC2:TGID_X_EN: 1
; COMPUTE_PGM_RSRC2:TGID_Y_EN: 0
; COMPUTE_PGM_RSRC2:TGID_Z_EN: 0
; COMPUTE_PGM_RSRC2:TIDIG_COMP_CNT: 0
	.section	.text._ZN7rocprim17ROCPRIM_400000_NS6detail17trampoline_kernelINS0_13select_configILj256ELj13ELNS0_17block_load_methodE3ELS4_3ELS4_3ELNS0_20block_scan_algorithmE0ELj4294967295EEENS1_25partition_config_selectorILNS1_17partition_subalgoE4EjNS0_10empty_typeEbEEZZNS1_14partition_implILS8_4ELb0ES6_15HIP_vector_typeIjLj2EENS0_17counting_iteratorIjlEEPS9_SG_NS0_5tupleIJPjSI_NS0_16reverse_iteratorISI_EEEEENSH_IJSG_SG_SG_EEES9_SI_JZNS1_25segmented_radix_sort_implINS0_14default_configELb1EPKbPbPKlPlN2at6native12_GLOBAL__N_18offset_tEEE10hipError_tPvRmT1_PNSt15iterator_traitsIS12_E10value_typeET2_T3_PNS13_IS18_E10value_typeET4_jRbjT5_S1E_jjP12ihipStream_tbEUljE_ZNSN_ISO_Lb1ESQ_SR_ST_SU_SY_EESZ_S10_S11_S12_S16_S17_S18_S1B_S1C_jS1D_jS1E_S1E_jjS1G_bEUljE0_EEESZ_S10_S11_S18_S1C_S1E_T6_T7_T9_mT8_S1G_bDpT10_ENKUlT_T0_E_clISt17integral_constantIbLb0EES1U_EEDaS1P_S1Q_EUlS1P_E_NS1_11comp_targetILNS1_3genE9ELNS1_11target_archE1100ELNS1_3gpuE3ELNS1_3repE0EEENS1_30default_config_static_selectorELNS0_4arch9wavefront6targetE1EEEvS12_,"axG",@progbits,_ZN7rocprim17ROCPRIM_400000_NS6detail17trampoline_kernelINS0_13select_configILj256ELj13ELNS0_17block_load_methodE3ELS4_3ELS4_3ELNS0_20block_scan_algorithmE0ELj4294967295EEENS1_25partition_config_selectorILNS1_17partition_subalgoE4EjNS0_10empty_typeEbEEZZNS1_14partition_implILS8_4ELb0ES6_15HIP_vector_typeIjLj2EENS0_17counting_iteratorIjlEEPS9_SG_NS0_5tupleIJPjSI_NS0_16reverse_iteratorISI_EEEEENSH_IJSG_SG_SG_EEES9_SI_JZNS1_25segmented_radix_sort_implINS0_14default_configELb1EPKbPbPKlPlN2at6native12_GLOBAL__N_18offset_tEEE10hipError_tPvRmT1_PNSt15iterator_traitsIS12_E10value_typeET2_T3_PNS13_IS18_E10value_typeET4_jRbjT5_S1E_jjP12ihipStream_tbEUljE_ZNSN_ISO_Lb1ESQ_SR_ST_SU_SY_EESZ_S10_S11_S12_S16_S17_S18_S1B_S1C_jS1D_jS1E_S1E_jjS1G_bEUljE0_EEESZ_S10_S11_S18_S1C_S1E_T6_T7_T9_mT8_S1G_bDpT10_ENKUlT_T0_E_clISt17integral_constantIbLb0EES1U_EEDaS1P_S1Q_EUlS1P_E_NS1_11comp_targetILNS1_3genE9ELNS1_11target_archE1100ELNS1_3gpuE3ELNS1_3repE0EEENS1_30default_config_static_selectorELNS0_4arch9wavefront6targetE1EEEvS12_,comdat
	.globl	_ZN7rocprim17ROCPRIM_400000_NS6detail17trampoline_kernelINS0_13select_configILj256ELj13ELNS0_17block_load_methodE3ELS4_3ELS4_3ELNS0_20block_scan_algorithmE0ELj4294967295EEENS1_25partition_config_selectorILNS1_17partition_subalgoE4EjNS0_10empty_typeEbEEZZNS1_14partition_implILS8_4ELb0ES6_15HIP_vector_typeIjLj2EENS0_17counting_iteratorIjlEEPS9_SG_NS0_5tupleIJPjSI_NS0_16reverse_iteratorISI_EEEEENSH_IJSG_SG_SG_EEES9_SI_JZNS1_25segmented_radix_sort_implINS0_14default_configELb1EPKbPbPKlPlN2at6native12_GLOBAL__N_18offset_tEEE10hipError_tPvRmT1_PNSt15iterator_traitsIS12_E10value_typeET2_T3_PNS13_IS18_E10value_typeET4_jRbjT5_S1E_jjP12ihipStream_tbEUljE_ZNSN_ISO_Lb1ESQ_SR_ST_SU_SY_EESZ_S10_S11_S12_S16_S17_S18_S1B_S1C_jS1D_jS1E_S1E_jjS1G_bEUljE0_EEESZ_S10_S11_S18_S1C_S1E_T6_T7_T9_mT8_S1G_bDpT10_ENKUlT_T0_E_clISt17integral_constantIbLb0EES1U_EEDaS1P_S1Q_EUlS1P_E_NS1_11comp_targetILNS1_3genE9ELNS1_11target_archE1100ELNS1_3gpuE3ELNS1_3repE0EEENS1_30default_config_static_selectorELNS0_4arch9wavefront6targetE1EEEvS12_ ; -- Begin function _ZN7rocprim17ROCPRIM_400000_NS6detail17trampoline_kernelINS0_13select_configILj256ELj13ELNS0_17block_load_methodE3ELS4_3ELS4_3ELNS0_20block_scan_algorithmE0ELj4294967295EEENS1_25partition_config_selectorILNS1_17partition_subalgoE4EjNS0_10empty_typeEbEEZZNS1_14partition_implILS8_4ELb0ES6_15HIP_vector_typeIjLj2EENS0_17counting_iteratorIjlEEPS9_SG_NS0_5tupleIJPjSI_NS0_16reverse_iteratorISI_EEEEENSH_IJSG_SG_SG_EEES9_SI_JZNS1_25segmented_radix_sort_implINS0_14default_configELb1EPKbPbPKlPlN2at6native12_GLOBAL__N_18offset_tEEE10hipError_tPvRmT1_PNSt15iterator_traitsIS12_E10value_typeET2_T3_PNS13_IS18_E10value_typeET4_jRbjT5_S1E_jjP12ihipStream_tbEUljE_ZNSN_ISO_Lb1ESQ_SR_ST_SU_SY_EESZ_S10_S11_S12_S16_S17_S18_S1B_S1C_jS1D_jS1E_S1E_jjS1G_bEUljE0_EEESZ_S10_S11_S18_S1C_S1E_T6_T7_T9_mT8_S1G_bDpT10_ENKUlT_T0_E_clISt17integral_constantIbLb0EES1U_EEDaS1P_S1Q_EUlS1P_E_NS1_11comp_targetILNS1_3genE9ELNS1_11target_archE1100ELNS1_3gpuE3ELNS1_3repE0EEENS1_30default_config_static_selectorELNS0_4arch9wavefront6targetE1EEEvS12_
	.p2align	8
	.type	_ZN7rocprim17ROCPRIM_400000_NS6detail17trampoline_kernelINS0_13select_configILj256ELj13ELNS0_17block_load_methodE3ELS4_3ELS4_3ELNS0_20block_scan_algorithmE0ELj4294967295EEENS1_25partition_config_selectorILNS1_17partition_subalgoE4EjNS0_10empty_typeEbEEZZNS1_14partition_implILS8_4ELb0ES6_15HIP_vector_typeIjLj2EENS0_17counting_iteratorIjlEEPS9_SG_NS0_5tupleIJPjSI_NS0_16reverse_iteratorISI_EEEEENSH_IJSG_SG_SG_EEES9_SI_JZNS1_25segmented_radix_sort_implINS0_14default_configELb1EPKbPbPKlPlN2at6native12_GLOBAL__N_18offset_tEEE10hipError_tPvRmT1_PNSt15iterator_traitsIS12_E10value_typeET2_T3_PNS13_IS18_E10value_typeET4_jRbjT5_S1E_jjP12ihipStream_tbEUljE_ZNSN_ISO_Lb1ESQ_SR_ST_SU_SY_EESZ_S10_S11_S12_S16_S17_S18_S1B_S1C_jS1D_jS1E_S1E_jjS1G_bEUljE0_EEESZ_S10_S11_S18_S1C_S1E_T6_T7_T9_mT8_S1G_bDpT10_ENKUlT_T0_E_clISt17integral_constantIbLb0EES1U_EEDaS1P_S1Q_EUlS1P_E_NS1_11comp_targetILNS1_3genE9ELNS1_11target_archE1100ELNS1_3gpuE3ELNS1_3repE0EEENS1_30default_config_static_selectorELNS0_4arch9wavefront6targetE1EEEvS12_,@function
_ZN7rocprim17ROCPRIM_400000_NS6detail17trampoline_kernelINS0_13select_configILj256ELj13ELNS0_17block_load_methodE3ELS4_3ELS4_3ELNS0_20block_scan_algorithmE0ELj4294967295EEENS1_25partition_config_selectorILNS1_17partition_subalgoE4EjNS0_10empty_typeEbEEZZNS1_14partition_implILS8_4ELb0ES6_15HIP_vector_typeIjLj2EENS0_17counting_iteratorIjlEEPS9_SG_NS0_5tupleIJPjSI_NS0_16reverse_iteratorISI_EEEEENSH_IJSG_SG_SG_EEES9_SI_JZNS1_25segmented_radix_sort_implINS0_14default_configELb1EPKbPbPKlPlN2at6native12_GLOBAL__N_18offset_tEEE10hipError_tPvRmT1_PNSt15iterator_traitsIS12_E10value_typeET2_T3_PNS13_IS18_E10value_typeET4_jRbjT5_S1E_jjP12ihipStream_tbEUljE_ZNSN_ISO_Lb1ESQ_SR_ST_SU_SY_EESZ_S10_S11_S12_S16_S17_S18_S1B_S1C_jS1D_jS1E_S1E_jjS1G_bEUljE0_EEESZ_S10_S11_S18_S1C_S1E_T6_T7_T9_mT8_S1G_bDpT10_ENKUlT_T0_E_clISt17integral_constantIbLb0EES1U_EEDaS1P_S1Q_EUlS1P_E_NS1_11comp_targetILNS1_3genE9ELNS1_11target_archE1100ELNS1_3gpuE3ELNS1_3repE0EEENS1_30default_config_static_selectorELNS0_4arch9wavefront6targetE1EEEvS12_: ; @_ZN7rocprim17ROCPRIM_400000_NS6detail17trampoline_kernelINS0_13select_configILj256ELj13ELNS0_17block_load_methodE3ELS4_3ELS4_3ELNS0_20block_scan_algorithmE0ELj4294967295EEENS1_25partition_config_selectorILNS1_17partition_subalgoE4EjNS0_10empty_typeEbEEZZNS1_14partition_implILS8_4ELb0ES6_15HIP_vector_typeIjLj2EENS0_17counting_iteratorIjlEEPS9_SG_NS0_5tupleIJPjSI_NS0_16reverse_iteratorISI_EEEEENSH_IJSG_SG_SG_EEES9_SI_JZNS1_25segmented_radix_sort_implINS0_14default_configELb1EPKbPbPKlPlN2at6native12_GLOBAL__N_18offset_tEEE10hipError_tPvRmT1_PNSt15iterator_traitsIS12_E10value_typeET2_T3_PNS13_IS18_E10value_typeET4_jRbjT5_S1E_jjP12ihipStream_tbEUljE_ZNSN_ISO_Lb1ESQ_SR_ST_SU_SY_EESZ_S10_S11_S12_S16_S17_S18_S1B_S1C_jS1D_jS1E_S1E_jjS1G_bEUljE0_EEESZ_S10_S11_S18_S1C_S1E_T6_T7_T9_mT8_S1G_bDpT10_ENKUlT_T0_E_clISt17integral_constantIbLb0EES1U_EEDaS1P_S1Q_EUlS1P_E_NS1_11comp_targetILNS1_3genE9ELNS1_11target_archE1100ELNS1_3gpuE3ELNS1_3repE0EEENS1_30default_config_static_selectorELNS0_4arch9wavefront6targetE1EEEvS12_
; %bb.0:
	.section	.rodata,"a",@progbits
	.p2align	6, 0x0
	.amdhsa_kernel _ZN7rocprim17ROCPRIM_400000_NS6detail17trampoline_kernelINS0_13select_configILj256ELj13ELNS0_17block_load_methodE3ELS4_3ELS4_3ELNS0_20block_scan_algorithmE0ELj4294967295EEENS1_25partition_config_selectorILNS1_17partition_subalgoE4EjNS0_10empty_typeEbEEZZNS1_14partition_implILS8_4ELb0ES6_15HIP_vector_typeIjLj2EENS0_17counting_iteratorIjlEEPS9_SG_NS0_5tupleIJPjSI_NS0_16reverse_iteratorISI_EEEEENSH_IJSG_SG_SG_EEES9_SI_JZNS1_25segmented_radix_sort_implINS0_14default_configELb1EPKbPbPKlPlN2at6native12_GLOBAL__N_18offset_tEEE10hipError_tPvRmT1_PNSt15iterator_traitsIS12_E10value_typeET2_T3_PNS13_IS18_E10value_typeET4_jRbjT5_S1E_jjP12ihipStream_tbEUljE_ZNSN_ISO_Lb1ESQ_SR_ST_SU_SY_EESZ_S10_S11_S12_S16_S17_S18_S1B_S1C_jS1D_jS1E_S1E_jjS1G_bEUljE0_EEESZ_S10_S11_S18_S1C_S1E_T6_T7_T9_mT8_S1G_bDpT10_ENKUlT_T0_E_clISt17integral_constantIbLb0EES1U_EEDaS1P_S1Q_EUlS1P_E_NS1_11comp_targetILNS1_3genE9ELNS1_11target_archE1100ELNS1_3gpuE3ELNS1_3repE0EEENS1_30default_config_static_selectorELNS0_4arch9wavefront6targetE1EEEvS12_
		.amdhsa_group_segment_fixed_size 0
		.amdhsa_private_segment_fixed_size 0
		.amdhsa_kernarg_size 176
		.amdhsa_user_sgpr_count 6
		.amdhsa_user_sgpr_private_segment_buffer 1
		.amdhsa_user_sgpr_dispatch_ptr 0
		.amdhsa_user_sgpr_queue_ptr 0
		.amdhsa_user_sgpr_kernarg_segment_ptr 1
		.amdhsa_user_sgpr_dispatch_id 0
		.amdhsa_user_sgpr_flat_scratch_init 0
		.amdhsa_user_sgpr_private_segment_size 0
		.amdhsa_uses_dynamic_stack 0
		.amdhsa_system_sgpr_private_segment_wavefront_offset 0
		.amdhsa_system_sgpr_workgroup_id_x 1
		.amdhsa_system_sgpr_workgroup_id_y 0
		.amdhsa_system_sgpr_workgroup_id_z 0
		.amdhsa_system_sgpr_workgroup_info 0
		.amdhsa_system_vgpr_workitem_id 0
		.amdhsa_next_free_vgpr 1
		.amdhsa_next_free_sgpr 0
		.amdhsa_reserve_vcc 0
		.amdhsa_reserve_flat_scratch 0
		.amdhsa_float_round_mode_32 0
		.amdhsa_float_round_mode_16_64 0
		.amdhsa_float_denorm_mode_32 3
		.amdhsa_float_denorm_mode_16_64 3
		.amdhsa_dx10_clamp 1
		.amdhsa_ieee_mode 1
		.amdhsa_fp16_overflow 0
		.amdhsa_exception_fp_ieee_invalid_op 0
		.amdhsa_exception_fp_denorm_src 0
		.amdhsa_exception_fp_ieee_div_zero 0
		.amdhsa_exception_fp_ieee_overflow 0
		.amdhsa_exception_fp_ieee_underflow 0
		.amdhsa_exception_fp_ieee_inexact 0
		.amdhsa_exception_int_div_zero 0
	.end_amdhsa_kernel
	.section	.text._ZN7rocprim17ROCPRIM_400000_NS6detail17trampoline_kernelINS0_13select_configILj256ELj13ELNS0_17block_load_methodE3ELS4_3ELS4_3ELNS0_20block_scan_algorithmE0ELj4294967295EEENS1_25partition_config_selectorILNS1_17partition_subalgoE4EjNS0_10empty_typeEbEEZZNS1_14partition_implILS8_4ELb0ES6_15HIP_vector_typeIjLj2EENS0_17counting_iteratorIjlEEPS9_SG_NS0_5tupleIJPjSI_NS0_16reverse_iteratorISI_EEEEENSH_IJSG_SG_SG_EEES9_SI_JZNS1_25segmented_radix_sort_implINS0_14default_configELb1EPKbPbPKlPlN2at6native12_GLOBAL__N_18offset_tEEE10hipError_tPvRmT1_PNSt15iterator_traitsIS12_E10value_typeET2_T3_PNS13_IS18_E10value_typeET4_jRbjT5_S1E_jjP12ihipStream_tbEUljE_ZNSN_ISO_Lb1ESQ_SR_ST_SU_SY_EESZ_S10_S11_S12_S16_S17_S18_S1B_S1C_jS1D_jS1E_S1E_jjS1G_bEUljE0_EEESZ_S10_S11_S18_S1C_S1E_T6_T7_T9_mT8_S1G_bDpT10_ENKUlT_T0_E_clISt17integral_constantIbLb0EES1U_EEDaS1P_S1Q_EUlS1P_E_NS1_11comp_targetILNS1_3genE9ELNS1_11target_archE1100ELNS1_3gpuE3ELNS1_3repE0EEENS1_30default_config_static_selectorELNS0_4arch9wavefront6targetE1EEEvS12_,"axG",@progbits,_ZN7rocprim17ROCPRIM_400000_NS6detail17trampoline_kernelINS0_13select_configILj256ELj13ELNS0_17block_load_methodE3ELS4_3ELS4_3ELNS0_20block_scan_algorithmE0ELj4294967295EEENS1_25partition_config_selectorILNS1_17partition_subalgoE4EjNS0_10empty_typeEbEEZZNS1_14partition_implILS8_4ELb0ES6_15HIP_vector_typeIjLj2EENS0_17counting_iteratorIjlEEPS9_SG_NS0_5tupleIJPjSI_NS0_16reverse_iteratorISI_EEEEENSH_IJSG_SG_SG_EEES9_SI_JZNS1_25segmented_radix_sort_implINS0_14default_configELb1EPKbPbPKlPlN2at6native12_GLOBAL__N_18offset_tEEE10hipError_tPvRmT1_PNSt15iterator_traitsIS12_E10value_typeET2_T3_PNS13_IS18_E10value_typeET4_jRbjT5_S1E_jjP12ihipStream_tbEUljE_ZNSN_ISO_Lb1ESQ_SR_ST_SU_SY_EESZ_S10_S11_S12_S16_S17_S18_S1B_S1C_jS1D_jS1E_S1E_jjS1G_bEUljE0_EEESZ_S10_S11_S18_S1C_S1E_T6_T7_T9_mT8_S1G_bDpT10_ENKUlT_T0_E_clISt17integral_constantIbLb0EES1U_EEDaS1P_S1Q_EUlS1P_E_NS1_11comp_targetILNS1_3genE9ELNS1_11target_archE1100ELNS1_3gpuE3ELNS1_3repE0EEENS1_30default_config_static_selectorELNS0_4arch9wavefront6targetE1EEEvS12_,comdat
.Lfunc_end1474:
	.size	_ZN7rocprim17ROCPRIM_400000_NS6detail17trampoline_kernelINS0_13select_configILj256ELj13ELNS0_17block_load_methodE3ELS4_3ELS4_3ELNS0_20block_scan_algorithmE0ELj4294967295EEENS1_25partition_config_selectorILNS1_17partition_subalgoE4EjNS0_10empty_typeEbEEZZNS1_14partition_implILS8_4ELb0ES6_15HIP_vector_typeIjLj2EENS0_17counting_iteratorIjlEEPS9_SG_NS0_5tupleIJPjSI_NS0_16reverse_iteratorISI_EEEEENSH_IJSG_SG_SG_EEES9_SI_JZNS1_25segmented_radix_sort_implINS0_14default_configELb1EPKbPbPKlPlN2at6native12_GLOBAL__N_18offset_tEEE10hipError_tPvRmT1_PNSt15iterator_traitsIS12_E10value_typeET2_T3_PNS13_IS18_E10value_typeET4_jRbjT5_S1E_jjP12ihipStream_tbEUljE_ZNSN_ISO_Lb1ESQ_SR_ST_SU_SY_EESZ_S10_S11_S12_S16_S17_S18_S1B_S1C_jS1D_jS1E_S1E_jjS1G_bEUljE0_EEESZ_S10_S11_S18_S1C_S1E_T6_T7_T9_mT8_S1G_bDpT10_ENKUlT_T0_E_clISt17integral_constantIbLb0EES1U_EEDaS1P_S1Q_EUlS1P_E_NS1_11comp_targetILNS1_3genE9ELNS1_11target_archE1100ELNS1_3gpuE3ELNS1_3repE0EEENS1_30default_config_static_selectorELNS0_4arch9wavefront6targetE1EEEvS12_, .Lfunc_end1474-_ZN7rocprim17ROCPRIM_400000_NS6detail17trampoline_kernelINS0_13select_configILj256ELj13ELNS0_17block_load_methodE3ELS4_3ELS4_3ELNS0_20block_scan_algorithmE0ELj4294967295EEENS1_25partition_config_selectorILNS1_17partition_subalgoE4EjNS0_10empty_typeEbEEZZNS1_14partition_implILS8_4ELb0ES6_15HIP_vector_typeIjLj2EENS0_17counting_iteratorIjlEEPS9_SG_NS0_5tupleIJPjSI_NS0_16reverse_iteratorISI_EEEEENSH_IJSG_SG_SG_EEES9_SI_JZNS1_25segmented_radix_sort_implINS0_14default_configELb1EPKbPbPKlPlN2at6native12_GLOBAL__N_18offset_tEEE10hipError_tPvRmT1_PNSt15iterator_traitsIS12_E10value_typeET2_T3_PNS13_IS18_E10value_typeET4_jRbjT5_S1E_jjP12ihipStream_tbEUljE_ZNSN_ISO_Lb1ESQ_SR_ST_SU_SY_EESZ_S10_S11_S12_S16_S17_S18_S1B_S1C_jS1D_jS1E_S1E_jjS1G_bEUljE0_EEESZ_S10_S11_S18_S1C_S1E_T6_T7_T9_mT8_S1G_bDpT10_ENKUlT_T0_E_clISt17integral_constantIbLb0EES1U_EEDaS1P_S1Q_EUlS1P_E_NS1_11comp_targetILNS1_3genE9ELNS1_11target_archE1100ELNS1_3gpuE3ELNS1_3repE0EEENS1_30default_config_static_selectorELNS0_4arch9wavefront6targetE1EEEvS12_
                                        ; -- End function
	.set _ZN7rocprim17ROCPRIM_400000_NS6detail17trampoline_kernelINS0_13select_configILj256ELj13ELNS0_17block_load_methodE3ELS4_3ELS4_3ELNS0_20block_scan_algorithmE0ELj4294967295EEENS1_25partition_config_selectorILNS1_17partition_subalgoE4EjNS0_10empty_typeEbEEZZNS1_14partition_implILS8_4ELb0ES6_15HIP_vector_typeIjLj2EENS0_17counting_iteratorIjlEEPS9_SG_NS0_5tupleIJPjSI_NS0_16reverse_iteratorISI_EEEEENSH_IJSG_SG_SG_EEES9_SI_JZNS1_25segmented_radix_sort_implINS0_14default_configELb1EPKbPbPKlPlN2at6native12_GLOBAL__N_18offset_tEEE10hipError_tPvRmT1_PNSt15iterator_traitsIS12_E10value_typeET2_T3_PNS13_IS18_E10value_typeET4_jRbjT5_S1E_jjP12ihipStream_tbEUljE_ZNSN_ISO_Lb1ESQ_SR_ST_SU_SY_EESZ_S10_S11_S12_S16_S17_S18_S1B_S1C_jS1D_jS1E_S1E_jjS1G_bEUljE0_EEESZ_S10_S11_S18_S1C_S1E_T6_T7_T9_mT8_S1G_bDpT10_ENKUlT_T0_E_clISt17integral_constantIbLb0EES1U_EEDaS1P_S1Q_EUlS1P_E_NS1_11comp_targetILNS1_3genE9ELNS1_11target_archE1100ELNS1_3gpuE3ELNS1_3repE0EEENS1_30default_config_static_selectorELNS0_4arch9wavefront6targetE1EEEvS12_.num_vgpr, 0
	.set _ZN7rocprim17ROCPRIM_400000_NS6detail17trampoline_kernelINS0_13select_configILj256ELj13ELNS0_17block_load_methodE3ELS4_3ELS4_3ELNS0_20block_scan_algorithmE0ELj4294967295EEENS1_25partition_config_selectorILNS1_17partition_subalgoE4EjNS0_10empty_typeEbEEZZNS1_14partition_implILS8_4ELb0ES6_15HIP_vector_typeIjLj2EENS0_17counting_iteratorIjlEEPS9_SG_NS0_5tupleIJPjSI_NS0_16reverse_iteratorISI_EEEEENSH_IJSG_SG_SG_EEES9_SI_JZNS1_25segmented_radix_sort_implINS0_14default_configELb1EPKbPbPKlPlN2at6native12_GLOBAL__N_18offset_tEEE10hipError_tPvRmT1_PNSt15iterator_traitsIS12_E10value_typeET2_T3_PNS13_IS18_E10value_typeET4_jRbjT5_S1E_jjP12ihipStream_tbEUljE_ZNSN_ISO_Lb1ESQ_SR_ST_SU_SY_EESZ_S10_S11_S12_S16_S17_S18_S1B_S1C_jS1D_jS1E_S1E_jjS1G_bEUljE0_EEESZ_S10_S11_S18_S1C_S1E_T6_T7_T9_mT8_S1G_bDpT10_ENKUlT_T0_E_clISt17integral_constantIbLb0EES1U_EEDaS1P_S1Q_EUlS1P_E_NS1_11comp_targetILNS1_3genE9ELNS1_11target_archE1100ELNS1_3gpuE3ELNS1_3repE0EEENS1_30default_config_static_selectorELNS0_4arch9wavefront6targetE1EEEvS12_.num_agpr, 0
	.set _ZN7rocprim17ROCPRIM_400000_NS6detail17trampoline_kernelINS0_13select_configILj256ELj13ELNS0_17block_load_methodE3ELS4_3ELS4_3ELNS0_20block_scan_algorithmE0ELj4294967295EEENS1_25partition_config_selectorILNS1_17partition_subalgoE4EjNS0_10empty_typeEbEEZZNS1_14partition_implILS8_4ELb0ES6_15HIP_vector_typeIjLj2EENS0_17counting_iteratorIjlEEPS9_SG_NS0_5tupleIJPjSI_NS0_16reverse_iteratorISI_EEEEENSH_IJSG_SG_SG_EEES9_SI_JZNS1_25segmented_radix_sort_implINS0_14default_configELb1EPKbPbPKlPlN2at6native12_GLOBAL__N_18offset_tEEE10hipError_tPvRmT1_PNSt15iterator_traitsIS12_E10value_typeET2_T3_PNS13_IS18_E10value_typeET4_jRbjT5_S1E_jjP12ihipStream_tbEUljE_ZNSN_ISO_Lb1ESQ_SR_ST_SU_SY_EESZ_S10_S11_S12_S16_S17_S18_S1B_S1C_jS1D_jS1E_S1E_jjS1G_bEUljE0_EEESZ_S10_S11_S18_S1C_S1E_T6_T7_T9_mT8_S1G_bDpT10_ENKUlT_T0_E_clISt17integral_constantIbLb0EES1U_EEDaS1P_S1Q_EUlS1P_E_NS1_11comp_targetILNS1_3genE9ELNS1_11target_archE1100ELNS1_3gpuE3ELNS1_3repE0EEENS1_30default_config_static_selectorELNS0_4arch9wavefront6targetE1EEEvS12_.numbered_sgpr, 0
	.set _ZN7rocprim17ROCPRIM_400000_NS6detail17trampoline_kernelINS0_13select_configILj256ELj13ELNS0_17block_load_methodE3ELS4_3ELS4_3ELNS0_20block_scan_algorithmE0ELj4294967295EEENS1_25partition_config_selectorILNS1_17partition_subalgoE4EjNS0_10empty_typeEbEEZZNS1_14partition_implILS8_4ELb0ES6_15HIP_vector_typeIjLj2EENS0_17counting_iteratorIjlEEPS9_SG_NS0_5tupleIJPjSI_NS0_16reverse_iteratorISI_EEEEENSH_IJSG_SG_SG_EEES9_SI_JZNS1_25segmented_radix_sort_implINS0_14default_configELb1EPKbPbPKlPlN2at6native12_GLOBAL__N_18offset_tEEE10hipError_tPvRmT1_PNSt15iterator_traitsIS12_E10value_typeET2_T3_PNS13_IS18_E10value_typeET4_jRbjT5_S1E_jjP12ihipStream_tbEUljE_ZNSN_ISO_Lb1ESQ_SR_ST_SU_SY_EESZ_S10_S11_S12_S16_S17_S18_S1B_S1C_jS1D_jS1E_S1E_jjS1G_bEUljE0_EEESZ_S10_S11_S18_S1C_S1E_T6_T7_T9_mT8_S1G_bDpT10_ENKUlT_T0_E_clISt17integral_constantIbLb0EES1U_EEDaS1P_S1Q_EUlS1P_E_NS1_11comp_targetILNS1_3genE9ELNS1_11target_archE1100ELNS1_3gpuE3ELNS1_3repE0EEENS1_30default_config_static_selectorELNS0_4arch9wavefront6targetE1EEEvS12_.num_named_barrier, 0
	.set _ZN7rocprim17ROCPRIM_400000_NS6detail17trampoline_kernelINS0_13select_configILj256ELj13ELNS0_17block_load_methodE3ELS4_3ELS4_3ELNS0_20block_scan_algorithmE0ELj4294967295EEENS1_25partition_config_selectorILNS1_17partition_subalgoE4EjNS0_10empty_typeEbEEZZNS1_14partition_implILS8_4ELb0ES6_15HIP_vector_typeIjLj2EENS0_17counting_iteratorIjlEEPS9_SG_NS0_5tupleIJPjSI_NS0_16reverse_iteratorISI_EEEEENSH_IJSG_SG_SG_EEES9_SI_JZNS1_25segmented_radix_sort_implINS0_14default_configELb1EPKbPbPKlPlN2at6native12_GLOBAL__N_18offset_tEEE10hipError_tPvRmT1_PNSt15iterator_traitsIS12_E10value_typeET2_T3_PNS13_IS18_E10value_typeET4_jRbjT5_S1E_jjP12ihipStream_tbEUljE_ZNSN_ISO_Lb1ESQ_SR_ST_SU_SY_EESZ_S10_S11_S12_S16_S17_S18_S1B_S1C_jS1D_jS1E_S1E_jjS1G_bEUljE0_EEESZ_S10_S11_S18_S1C_S1E_T6_T7_T9_mT8_S1G_bDpT10_ENKUlT_T0_E_clISt17integral_constantIbLb0EES1U_EEDaS1P_S1Q_EUlS1P_E_NS1_11comp_targetILNS1_3genE9ELNS1_11target_archE1100ELNS1_3gpuE3ELNS1_3repE0EEENS1_30default_config_static_selectorELNS0_4arch9wavefront6targetE1EEEvS12_.private_seg_size, 0
	.set _ZN7rocprim17ROCPRIM_400000_NS6detail17trampoline_kernelINS0_13select_configILj256ELj13ELNS0_17block_load_methodE3ELS4_3ELS4_3ELNS0_20block_scan_algorithmE0ELj4294967295EEENS1_25partition_config_selectorILNS1_17partition_subalgoE4EjNS0_10empty_typeEbEEZZNS1_14partition_implILS8_4ELb0ES6_15HIP_vector_typeIjLj2EENS0_17counting_iteratorIjlEEPS9_SG_NS0_5tupleIJPjSI_NS0_16reverse_iteratorISI_EEEEENSH_IJSG_SG_SG_EEES9_SI_JZNS1_25segmented_radix_sort_implINS0_14default_configELb1EPKbPbPKlPlN2at6native12_GLOBAL__N_18offset_tEEE10hipError_tPvRmT1_PNSt15iterator_traitsIS12_E10value_typeET2_T3_PNS13_IS18_E10value_typeET4_jRbjT5_S1E_jjP12ihipStream_tbEUljE_ZNSN_ISO_Lb1ESQ_SR_ST_SU_SY_EESZ_S10_S11_S12_S16_S17_S18_S1B_S1C_jS1D_jS1E_S1E_jjS1G_bEUljE0_EEESZ_S10_S11_S18_S1C_S1E_T6_T7_T9_mT8_S1G_bDpT10_ENKUlT_T0_E_clISt17integral_constantIbLb0EES1U_EEDaS1P_S1Q_EUlS1P_E_NS1_11comp_targetILNS1_3genE9ELNS1_11target_archE1100ELNS1_3gpuE3ELNS1_3repE0EEENS1_30default_config_static_selectorELNS0_4arch9wavefront6targetE1EEEvS12_.uses_vcc, 0
	.set _ZN7rocprim17ROCPRIM_400000_NS6detail17trampoline_kernelINS0_13select_configILj256ELj13ELNS0_17block_load_methodE3ELS4_3ELS4_3ELNS0_20block_scan_algorithmE0ELj4294967295EEENS1_25partition_config_selectorILNS1_17partition_subalgoE4EjNS0_10empty_typeEbEEZZNS1_14partition_implILS8_4ELb0ES6_15HIP_vector_typeIjLj2EENS0_17counting_iteratorIjlEEPS9_SG_NS0_5tupleIJPjSI_NS0_16reverse_iteratorISI_EEEEENSH_IJSG_SG_SG_EEES9_SI_JZNS1_25segmented_radix_sort_implINS0_14default_configELb1EPKbPbPKlPlN2at6native12_GLOBAL__N_18offset_tEEE10hipError_tPvRmT1_PNSt15iterator_traitsIS12_E10value_typeET2_T3_PNS13_IS18_E10value_typeET4_jRbjT5_S1E_jjP12ihipStream_tbEUljE_ZNSN_ISO_Lb1ESQ_SR_ST_SU_SY_EESZ_S10_S11_S12_S16_S17_S18_S1B_S1C_jS1D_jS1E_S1E_jjS1G_bEUljE0_EEESZ_S10_S11_S18_S1C_S1E_T6_T7_T9_mT8_S1G_bDpT10_ENKUlT_T0_E_clISt17integral_constantIbLb0EES1U_EEDaS1P_S1Q_EUlS1P_E_NS1_11comp_targetILNS1_3genE9ELNS1_11target_archE1100ELNS1_3gpuE3ELNS1_3repE0EEENS1_30default_config_static_selectorELNS0_4arch9wavefront6targetE1EEEvS12_.uses_flat_scratch, 0
	.set _ZN7rocprim17ROCPRIM_400000_NS6detail17trampoline_kernelINS0_13select_configILj256ELj13ELNS0_17block_load_methodE3ELS4_3ELS4_3ELNS0_20block_scan_algorithmE0ELj4294967295EEENS1_25partition_config_selectorILNS1_17partition_subalgoE4EjNS0_10empty_typeEbEEZZNS1_14partition_implILS8_4ELb0ES6_15HIP_vector_typeIjLj2EENS0_17counting_iteratorIjlEEPS9_SG_NS0_5tupleIJPjSI_NS0_16reverse_iteratorISI_EEEEENSH_IJSG_SG_SG_EEES9_SI_JZNS1_25segmented_radix_sort_implINS0_14default_configELb1EPKbPbPKlPlN2at6native12_GLOBAL__N_18offset_tEEE10hipError_tPvRmT1_PNSt15iterator_traitsIS12_E10value_typeET2_T3_PNS13_IS18_E10value_typeET4_jRbjT5_S1E_jjP12ihipStream_tbEUljE_ZNSN_ISO_Lb1ESQ_SR_ST_SU_SY_EESZ_S10_S11_S12_S16_S17_S18_S1B_S1C_jS1D_jS1E_S1E_jjS1G_bEUljE0_EEESZ_S10_S11_S18_S1C_S1E_T6_T7_T9_mT8_S1G_bDpT10_ENKUlT_T0_E_clISt17integral_constantIbLb0EES1U_EEDaS1P_S1Q_EUlS1P_E_NS1_11comp_targetILNS1_3genE9ELNS1_11target_archE1100ELNS1_3gpuE3ELNS1_3repE0EEENS1_30default_config_static_selectorELNS0_4arch9wavefront6targetE1EEEvS12_.has_dyn_sized_stack, 0
	.set _ZN7rocprim17ROCPRIM_400000_NS6detail17trampoline_kernelINS0_13select_configILj256ELj13ELNS0_17block_load_methodE3ELS4_3ELS4_3ELNS0_20block_scan_algorithmE0ELj4294967295EEENS1_25partition_config_selectorILNS1_17partition_subalgoE4EjNS0_10empty_typeEbEEZZNS1_14partition_implILS8_4ELb0ES6_15HIP_vector_typeIjLj2EENS0_17counting_iteratorIjlEEPS9_SG_NS0_5tupleIJPjSI_NS0_16reverse_iteratorISI_EEEEENSH_IJSG_SG_SG_EEES9_SI_JZNS1_25segmented_radix_sort_implINS0_14default_configELb1EPKbPbPKlPlN2at6native12_GLOBAL__N_18offset_tEEE10hipError_tPvRmT1_PNSt15iterator_traitsIS12_E10value_typeET2_T3_PNS13_IS18_E10value_typeET4_jRbjT5_S1E_jjP12ihipStream_tbEUljE_ZNSN_ISO_Lb1ESQ_SR_ST_SU_SY_EESZ_S10_S11_S12_S16_S17_S18_S1B_S1C_jS1D_jS1E_S1E_jjS1G_bEUljE0_EEESZ_S10_S11_S18_S1C_S1E_T6_T7_T9_mT8_S1G_bDpT10_ENKUlT_T0_E_clISt17integral_constantIbLb0EES1U_EEDaS1P_S1Q_EUlS1P_E_NS1_11comp_targetILNS1_3genE9ELNS1_11target_archE1100ELNS1_3gpuE3ELNS1_3repE0EEENS1_30default_config_static_selectorELNS0_4arch9wavefront6targetE1EEEvS12_.has_recursion, 0
	.set _ZN7rocprim17ROCPRIM_400000_NS6detail17trampoline_kernelINS0_13select_configILj256ELj13ELNS0_17block_load_methodE3ELS4_3ELS4_3ELNS0_20block_scan_algorithmE0ELj4294967295EEENS1_25partition_config_selectorILNS1_17partition_subalgoE4EjNS0_10empty_typeEbEEZZNS1_14partition_implILS8_4ELb0ES6_15HIP_vector_typeIjLj2EENS0_17counting_iteratorIjlEEPS9_SG_NS0_5tupleIJPjSI_NS0_16reverse_iteratorISI_EEEEENSH_IJSG_SG_SG_EEES9_SI_JZNS1_25segmented_radix_sort_implINS0_14default_configELb1EPKbPbPKlPlN2at6native12_GLOBAL__N_18offset_tEEE10hipError_tPvRmT1_PNSt15iterator_traitsIS12_E10value_typeET2_T3_PNS13_IS18_E10value_typeET4_jRbjT5_S1E_jjP12ihipStream_tbEUljE_ZNSN_ISO_Lb1ESQ_SR_ST_SU_SY_EESZ_S10_S11_S12_S16_S17_S18_S1B_S1C_jS1D_jS1E_S1E_jjS1G_bEUljE0_EEESZ_S10_S11_S18_S1C_S1E_T6_T7_T9_mT8_S1G_bDpT10_ENKUlT_T0_E_clISt17integral_constantIbLb0EES1U_EEDaS1P_S1Q_EUlS1P_E_NS1_11comp_targetILNS1_3genE9ELNS1_11target_archE1100ELNS1_3gpuE3ELNS1_3repE0EEENS1_30default_config_static_selectorELNS0_4arch9wavefront6targetE1EEEvS12_.has_indirect_call, 0
	.section	.AMDGPU.csdata,"",@progbits
; Kernel info:
; codeLenInByte = 0
; TotalNumSgprs: 4
; NumVgprs: 0
; ScratchSize: 0
; MemoryBound: 0
; FloatMode: 240
; IeeeMode: 1
; LDSByteSize: 0 bytes/workgroup (compile time only)
; SGPRBlocks: 0
; VGPRBlocks: 0
; NumSGPRsForWavesPerEU: 4
; NumVGPRsForWavesPerEU: 1
; Occupancy: 10
; WaveLimiterHint : 0
; COMPUTE_PGM_RSRC2:SCRATCH_EN: 0
; COMPUTE_PGM_RSRC2:USER_SGPR: 6
; COMPUTE_PGM_RSRC2:TRAP_HANDLER: 0
; COMPUTE_PGM_RSRC2:TGID_X_EN: 1
; COMPUTE_PGM_RSRC2:TGID_Y_EN: 0
; COMPUTE_PGM_RSRC2:TGID_Z_EN: 0
; COMPUTE_PGM_RSRC2:TIDIG_COMP_CNT: 0
	.section	.text._ZN7rocprim17ROCPRIM_400000_NS6detail17trampoline_kernelINS0_13select_configILj256ELj13ELNS0_17block_load_methodE3ELS4_3ELS4_3ELNS0_20block_scan_algorithmE0ELj4294967295EEENS1_25partition_config_selectorILNS1_17partition_subalgoE4EjNS0_10empty_typeEbEEZZNS1_14partition_implILS8_4ELb0ES6_15HIP_vector_typeIjLj2EENS0_17counting_iteratorIjlEEPS9_SG_NS0_5tupleIJPjSI_NS0_16reverse_iteratorISI_EEEEENSH_IJSG_SG_SG_EEES9_SI_JZNS1_25segmented_radix_sort_implINS0_14default_configELb1EPKbPbPKlPlN2at6native12_GLOBAL__N_18offset_tEEE10hipError_tPvRmT1_PNSt15iterator_traitsIS12_E10value_typeET2_T3_PNS13_IS18_E10value_typeET4_jRbjT5_S1E_jjP12ihipStream_tbEUljE_ZNSN_ISO_Lb1ESQ_SR_ST_SU_SY_EESZ_S10_S11_S12_S16_S17_S18_S1B_S1C_jS1D_jS1E_S1E_jjS1G_bEUljE0_EEESZ_S10_S11_S18_S1C_S1E_T6_T7_T9_mT8_S1G_bDpT10_ENKUlT_T0_E_clISt17integral_constantIbLb0EES1U_EEDaS1P_S1Q_EUlS1P_E_NS1_11comp_targetILNS1_3genE8ELNS1_11target_archE1030ELNS1_3gpuE2ELNS1_3repE0EEENS1_30default_config_static_selectorELNS0_4arch9wavefront6targetE1EEEvS12_,"axG",@progbits,_ZN7rocprim17ROCPRIM_400000_NS6detail17trampoline_kernelINS0_13select_configILj256ELj13ELNS0_17block_load_methodE3ELS4_3ELS4_3ELNS0_20block_scan_algorithmE0ELj4294967295EEENS1_25partition_config_selectorILNS1_17partition_subalgoE4EjNS0_10empty_typeEbEEZZNS1_14partition_implILS8_4ELb0ES6_15HIP_vector_typeIjLj2EENS0_17counting_iteratorIjlEEPS9_SG_NS0_5tupleIJPjSI_NS0_16reverse_iteratorISI_EEEEENSH_IJSG_SG_SG_EEES9_SI_JZNS1_25segmented_radix_sort_implINS0_14default_configELb1EPKbPbPKlPlN2at6native12_GLOBAL__N_18offset_tEEE10hipError_tPvRmT1_PNSt15iterator_traitsIS12_E10value_typeET2_T3_PNS13_IS18_E10value_typeET4_jRbjT5_S1E_jjP12ihipStream_tbEUljE_ZNSN_ISO_Lb1ESQ_SR_ST_SU_SY_EESZ_S10_S11_S12_S16_S17_S18_S1B_S1C_jS1D_jS1E_S1E_jjS1G_bEUljE0_EEESZ_S10_S11_S18_S1C_S1E_T6_T7_T9_mT8_S1G_bDpT10_ENKUlT_T0_E_clISt17integral_constantIbLb0EES1U_EEDaS1P_S1Q_EUlS1P_E_NS1_11comp_targetILNS1_3genE8ELNS1_11target_archE1030ELNS1_3gpuE2ELNS1_3repE0EEENS1_30default_config_static_selectorELNS0_4arch9wavefront6targetE1EEEvS12_,comdat
	.globl	_ZN7rocprim17ROCPRIM_400000_NS6detail17trampoline_kernelINS0_13select_configILj256ELj13ELNS0_17block_load_methodE3ELS4_3ELS4_3ELNS0_20block_scan_algorithmE0ELj4294967295EEENS1_25partition_config_selectorILNS1_17partition_subalgoE4EjNS0_10empty_typeEbEEZZNS1_14partition_implILS8_4ELb0ES6_15HIP_vector_typeIjLj2EENS0_17counting_iteratorIjlEEPS9_SG_NS0_5tupleIJPjSI_NS0_16reverse_iteratorISI_EEEEENSH_IJSG_SG_SG_EEES9_SI_JZNS1_25segmented_radix_sort_implINS0_14default_configELb1EPKbPbPKlPlN2at6native12_GLOBAL__N_18offset_tEEE10hipError_tPvRmT1_PNSt15iterator_traitsIS12_E10value_typeET2_T3_PNS13_IS18_E10value_typeET4_jRbjT5_S1E_jjP12ihipStream_tbEUljE_ZNSN_ISO_Lb1ESQ_SR_ST_SU_SY_EESZ_S10_S11_S12_S16_S17_S18_S1B_S1C_jS1D_jS1E_S1E_jjS1G_bEUljE0_EEESZ_S10_S11_S18_S1C_S1E_T6_T7_T9_mT8_S1G_bDpT10_ENKUlT_T0_E_clISt17integral_constantIbLb0EES1U_EEDaS1P_S1Q_EUlS1P_E_NS1_11comp_targetILNS1_3genE8ELNS1_11target_archE1030ELNS1_3gpuE2ELNS1_3repE0EEENS1_30default_config_static_selectorELNS0_4arch9wavefront6targetE1EEEvS12_ ; -- Begin function _ZN7rocprim17ROCPRIM_400000_NS6detail17trampoline_kernelINS0_13select_configILj256ELj13ELNS0_17block_load_methodE3ELS4_3ELS4_3ELNS0_20block_scan_algorithmE0ELj4294967295EEENS1_25partition_config_selectorILNS1_17partition_subalgoE4EjNS0_10empty_typeEbEEZZNS1_14partition_implILS8_4ELb0ES6_15HIP_vector_typeIjLj2EENS0_17counting_iteratorIjlEEPS9_SG_NS0_5tupleIJPjSI_NS0_16reverse_iteratorISI_EEEEENSH_IJSG_SG_SG_EEES9_SI_JZNS1_25segmented_radix_sort_implINS0_14default_configELb1EPKbPbPKlPlN2at6native12_GLOBAL__N_18offset_tEEE10hipError_tPvRmT1_PNSt15iterator_traitsIS12_E10value_typeET2_T3_PNS13_IS18_E10value_typeET4_jRbjT5_S1E_jjP12ihipStream_tbEUljE_ZNSN_ISO_Lb1ESQ_SR_ST_SU_SY_EESZ_S10_S11_S12_S16_S17_S18_S1B_S1C_jS1D_jS1E_S1E_jjS1G_bEUljE0_EEESZ_S10_S11_S18_S1C_S1E_T6_T7_T9_mT8_S1G_bDpT10_ENKUlT_T0_E_clISt17integral_constantIbLb0EES1U_EEDaS1P_S1Q_EUlS1P_E_NS1_11comp_targetILNS1_3genE8ELNS1_11target_archE1030ELNS1_3gpuE2ELNS1_3repE0EEENS1_30default_config_static_selectorELNS0_4arch9wavefront6targetE1EEEvS12_
	.p2align	8
	.type	_ZN7rocprim17ROCPRIM_400000_NS6detail17trampoline_kernelINS0_13select_configILj256ELj13ELNS0_17block_load_methodE3ELS4_3ELS4_3ELNS0_20block_scan_algorithmE0ELj4294967295EEENS1_25partition_config_selectorILNS1_17partition_subalgoE4EjNS0_10empty_typeEbEEZZNS1_14partition_implILS8_4ELb0ES6_15HIP_vector_typeIjLj2EENS0_17counting_iteratorIjlEEPS9_SG_NS0_5tupleIJPjSI_NS0_16reverse_iteratorISI_EEEEENSH_IJSG_SG_SG_EEES9_SI_JZNS1_25segmented_radix_sort_implINS0_14default_configELb1EPKbPbPKlPlN2at6native12_GLOBAL__N_18offset_tEEE10hipError_tPvRmT1_PNSt15iterator_traitsIS12_E10value_typeET2_T3_PNS13_IS18_E10value_typeET4_jRbjT5_S1E_jjP12ihipStream_tbEUljE_ZNSN_ISO_Lb1ESQ_SR_ST_SU_SY_EESZ_S10_S11_S12_S16_S17_S18_S1B_S1C_jS1D_jS1E_S1E_jjS1G_bEUljE0_EEESZ_S10_S11_S18_S1C_S1E_T6_T7_T9_mT8_S1G_bDpT10_ENKUlT_T0_E_clISt17integral_constantIbLb0EES1U_EEDaS1P_S1Q_EUlS1P_E_NS1_11comp_targetILNS1_3genE8ELNS1_11target_archE1030ELNS1_3gpuE2ELNS1_3repE0EEENS1_30default_config_static_selectorELNS0_4arch9wavefront6targetE1EEEvS12_,@function
_ZN7rocprim17ROCPRIM_400000_NS6detail17trampoline_kernelINS0_13select_configILj256ELj13ELNS0_17block_load_methodE3ELS4_3ELS4_3ELNS0_20block_scan_algorithmE0ELj4294967295EEENS1_25partition_config_selectorILNS1_17partition_subalgoE4EjNS0_10empty_typeEbEEZZNS1_14partition_implILS8_4ELb0ES6_15HIP_vector_typeIjLj2EENS0_17counting_iteratorIjlEEPS9_SG_NS0_5tupleIJPjSI_NS0_16reverse_iteratorISI_EEEEENSH_IJSG_SG_SG_EEES9_SI_JZNS1_25segmented_radix_sort_implINS0_14default_configELb1EPKbPbPKlPlN2at6native12_GLOBAL__N_18offset_tEEE10hipError_tPvRmT1_PNSt15iterator_traitsIS12_E10value_typeET2_T3_PNS13_IS18_E10value_typeET4_jRbjT5_S1E_jjP12ihipStream_tbEUljE_ZNSN_ISO_Lb1ESQ_SR_ST_SU_SY_EESZ_S10_S11_S12_S16_S17_S18_S1B_S1C_jS1D_jS1E_S1E_jjS1G_bEUljE0_EEESZ_S10_S11_S18_S1C_S1E_T6_T7_T9_mT8_S1G_bDpT10_ENKUlT_T0_E_clISt17integral_constantIbLb0EES1U_EEDaS1P_S1Q_EUlS1P_E_NS1_11comp_targetILNS1_3genE8ELNS1_11target_archE1030ELNS1_3gpuE2ELNS1_3repE0EEENS1_30default_config_static_selectorELNS0_4arch9wavefront6targetE1EEEvS12_: ; @_ZN7rocprim17ROCPRIM_400000_NS6detail17trampoline_kernelINS0_13select_configILj256ELj13ELNS0_17block_load_methodE3ELS4_3ELS4_3ELNS0_20block_scan_algorithmE0ELj4294967295EEENS1_25partition_config_selectorILNS1_17partition_subalgoE4EjNS0_10empty_typeEbEEZZNS1_14partition_implILS8_4ELb0ES6_15HIP_vector_typeIjLj2EENS0_17counting_iteratorIjlEEPS9_SG_NS0_5tupleIJPjSI_NS0_16reverse_iteratorISI_EEEEENSH_IJSG_SG_SG_EEES9_SI_JZNS1_25segmented_radix_sort_implINS0_14default_configELb1EPKbPbPKlPlN2at6native12_GLOBAL__N_18offset_tEEE10hipError_tPvRmT1_PNSt15iterator_traitsIS12_E10value_typeET2_T3_PNS13_IS18_E10value_typeET4_jRbjT5_S1E_jjP12ihipStream_tbEUljE_ZNSN_ISO_Lb1ESQ_SR_ST_SU_SY_EESZ_S10_S11_S12_S16_S17_S18_S1B_S1C_jS1D_jS1E_S1E_jjS1G_bEUljE0_EEESZ_S10_S11_S18_S1C_S1E_T6_T7_T9_mT8_S1G_bDpT10_ENKUlT_T0_E_clISt17integral_constantIbLb0EES1U_EEDaS1P_S1Q_EUlS1P_E_NS1_11comp_targetILNS1_3genE8ELNS1_11target_archE1030ELNS1_3gpuE2ELNS1_3repE0EEENS1_30default_config_static_selectorELNS0_4arch9wavefront6targetE1EEEvS12_
; %bb.0:
	.section	.rodata,"a",@progbits
	.p2align	6, 0x0
	.amdhsa_kernel _ZN7rocprim17ROCPRIM_400000_NS6detail17trampoline_kernelINS0_13select_configILj256ELj13ELNS0_17block_load_methodE3ELS4_3ELS4_3ELNS0_20block_scan_algorithmE0ELj4294967295EEENS1_25partition_config_selectorILNS1_17partition_subalgoE4EjNS0_10empty_typeEbEEZZNS1_14partition_implILS8_4ELb0ES6_15HIP_vector_typeIjLj2EENS0_17counting_iteratorIjlEEPS9_SG_NS0_5tupleIJPjSI_NS0_16reverse_iteratorISI_EEEEENSH_IJSG_SG_SG_EEES9_SI_JZNS1_25segmented_radix_sort_implINS0_14default_configELb1EPKbPbPKlPlN2at6native12_GLOBAL__N_18offset_tEEE10hipError_tPvRmT1_PNSt15iterator_traitsIS12_E10value_typeET2_T3_PNS13_IS18_E10value_typeET4_jRbjT5_S1E_jjP12ihipStream_tbEUljE_ZNSN_ISO_Lb1ESQ_SR_ST_SU_SY_EESZ_S10_S11_S12_S16_S17_S18_S1B_S1C_jS1D_jS1E_S1E_jjS1G_bEUljE0_EEESZ_S10_S11_S18_S1C_S1E_T6_T7_T9_mT8_S1G_bDpT10_ENKUlT_T0_E_clISt17integral_constantIbLb0EES1U_EEDaS1P_S1Q_EUlS1P_E_NS1_11comp_targetILNS1_3genE8ELNS1_11target_archE1030ELNS1_3gpuE2ELNS1_3repE0EEENS1_30default_config_static_selectorELNS0_4arch9wavefront6targetE1EEEvS12_
		.amdhsa_group_segment_fixed_size 0
		.amdhsa_private_segment_fixed_size 0
		.amdhsa_kernarg_size 176
		.amdhsa_user_sgpr_count 6
		.amdhsa_user_sgpr_private_segment_buffer 1
		.amdhsa_user_sgpr_dispatch_ptr 0
		.amdhsa_user_sgpr_queue_ptr 0
		.amdhsa_user_sgpr_kernarg_segment_ptr 1
		.amdhsa_user_sgpr_dispatch_id 0
		.amdhsa_user_sgpr_flat_scratch_init 0
		.amdhsa_user_sgpr_private_segment_size 0
		.amdhsa_uses_dynamic_stack 0
		.amdhsa_system_sgpr_private_segment_wavefront_offset 0
		.amdhsa_system_sgpr_workgroup_id_x 1
		.amdhsa_system_sgpr_workgroup_id_y 0
		.amdhsa_system_sgpr_workgroup_id_z 0
		.amdhsa_system_sgpr_workgroup_info 0
		.amdhsa_system_vgpr_workitem_id 0
		.amdhsa_next_free_vgpr 1
		.amdhsa_next_free_sgpr 0
		.amdhsa_reserve_vcc 0
		.amdhsa_reserve_flat_scratch 0
		.amdhsa_float_round_mode_32 0
		.amdhsa_float_round_mode_16_64 0
		.amdhsa_float_denorm_mode_32 3
		.amdhsa_float_denorm_mode_16_64 3
		.amdhsa_dx10_clamp 1
		.amdhsa_ieee_mode 1
		.amdhsa_fp16_overflow 0
		.amdhsa_exception_fp_ieee_invalid_op 0
		.amdhsa_exception_fp_denorm_src 0
		.amdhsa_exception_fp_ieee_div_zero 0
		.amdhsa_exception_fp_ieee_overflow 0
		.amdhsa_exception_fp_ieee_underflow 0
		.amdhsa_exception_fp_ieee_inexact 0
		.amdhsa_exception_int_div_zero 0
	.end_amdhsa_kernel
	.section	.text._ZN7rocprim17ROCPRIM_400000_NS6detail17trampoline_kernelINS0_13select_configILj256ELj13ELNS0_17block_load_methodE3ELS4_3ELS4_3ELNS0_20block_scan_algorithmE0ELj4294967295EEENS1_25partition_config_selectorILNS1_17partition_subalgoE4EjNS0_10empty_typeEbEEZZNS1_14partition_implILS8_4ELb0ES6_15HIP_vector_typeIjLj2EENS0_17counting_iteratorIjlEEPS9_SG_NS0_5tupleIJPjSI_NS0_16reverse_iteratorISI_EEEEENSH_IJSG_SG_SG_EEES9_SI_JZNS1_25segmented_radix_sort_implINS0_14default_configELb1EPKbPbPKlPlN2at6native12_GLOBAL__N_18offset_tEEE10hipError_tPvRmT1_PNSt15iterator_traitsIS12_E10value_typeET2_T3_PNS13_IS18_E10value_typeET4_jRbjT5_S1E_jjP12ihipStream_tbEUljE_ZNSN_ISO_Lb1ESQ_SR_ST_SU_SY_EESZ_S10_S11_S12_S16_S17_S18_S1B_S1C_jS1D_jS1E_S1E_jjS1G_bEUljE0_EEESZ_S10_S11_S18_S1C_S1E_T6_T7_T9_mT8_S1G_bDpT10_ENKUlT_T0_E_clISt17integral_constantIbLb0EES1U_EEDaS1P_S1Q_EUlS1P_E_NS1_11comp_targetILNS1_3genE8ELNS1_11target_archE1030ELNS1_3gpuE2ELNS1_3repE0EEENS1_30default_config_static_selectorELNS0_4arch9wavefront6targetE1EEEvS12_,"axG",@progbits,_ZN7rocprim17ROCPRIM_400000_NS6detail17trampoline_kernelINS0_13select_configILj256ELj13ELNS0_17block_load_methodE3ELS4_3ELS4_3ELNS0_20block_scan_algorithmE0ELj4294967295EEENS1_25partition_config_selectorILNS1_17partition_subalgoE4EjNS0_10empty_typeEbEEZZNS1_14partition_implILS8_4ELb0ES6_15HIP_vector_typeIjLj2EENS0_17counting_iteratorIjlEEPS9_SG_NS0_5tupleIJPjSI_NS0_16reverse_iteratorISI_EEEEENSH_IJSG_SG_SG_EEES9_SI_JZNS1_25segmented_radix_sort_implINS0_14default_configELb1EPKbPbPKlPlN2at6native12_GLOBAL__N_18offset_tEEE10hipError_tPvRmT1_PNSt15iterator_traitsIS12_E10value_typeET2_T3_PNS13_IS18_E10value_typeET4_jRbjT5_S1E_jjP12ihipStream_tbEUljE_ZNSN_ISO_Lb1ESQ_SR_ST_SU_SY_EESZ_S10_S11_S12_S16_S17_S18_S1B_S1C_jS1D_jS1E_S1E_jjS1G_bEUljE0_EEESZ_S10_S11_S18_S1C_S1E_T6_T7_T9_mT8_S1G_bDpT10_ENKUlT_T0_E_clISt17integral_constantIbLb0EES1U_EEDaS1P_S1Q_EUlS1P_E_NS1_11comp_targetILNS1_3genE8ELNS1_11target_archE1030ELNS1_3gpuE2ELNS1_3repE0EEENS1_30default_config_static_selectorELNS0_4arch9wavefront6targetE1EEEvS12_,comdat
.Lfunc_end1475:
	.size	_ZN7rocprim17ROCPRIM_400000_NS6detail17trampoline_kernelINS0_13select_configILj256ELj13ELNS0_17block_load_methodE3ELS4_3ELS4_3ELNS0_20block_scan_algorithmE0ELj4294967295EEENS1_25partition_config_selectorILNS1_17partition_subalgoE4EjNS0_10empty_typeEbEEZZNS1_14partition_implILS8_4ELb0ES6_15HIP_vector_typeIjLj2EENS0_17counting_iteratorIjlEEPS9_SG_NS0_5tupleIJPjSI_NS0_16reverse_iteratorISI_EEEEENSH_IJSG_SG_SG_EEES9_SI_JZNS1_25segmented_radix_sort_implINS0_14default_configELb1EPKbPbPKlPlN2at6native12_GLOBAL__N_18offset_tEEE10hipError_tPvRmT1_PNSt15iterator_traitsIS12_E10value_typeET2_T3_PNS13_IS18_E10value_typeET4_jRbjT5_S1E_jjP12ihipStream_tbEUljE_ZNSN_ISO_Lb1ESQ_SR_ST_SU_SY_EESZ_S10_S11_S12_S16_S17_S18_S1B_S1C_jS1D_jS1E_S1E_jjS1G_bEUljE0_EEESZ_S10_S11_S18_S1C_S1E_T6_T7_T9_mT8_S1G_bDpT10_ENKUlT_T0_E_clISt17integral_constantIbLb0EES1U_EEDaS1P_S1Q_EUlS1P_E_NS1_11comp_targetILNS1_3genE8ELNS1_11target_archE1030ELNS1_3gpuE2ELNS1_3repE0EEENS1_30default_config_static_selectorELNS0_4arch9wavefront6targetE1EEEvS12_, .Lfunc_end1475-_ZN7rocprim17ROCPRIM_400000_NS6detail17trampoline_kernelINS0_13select_configILj256ELj13ELNS0_17block_load_methodE3ELS4_3ELS4_3ELNS0_20block_scan_algorithmE0ELj4294967295EEENS1_25partition_config_selectorILNS1_17partition_subalgoE4EjNS0_10empty_typeEbEEZZNS1_14partition_implILS8_4ELb0ES6_15HIP_vector_typeIjLj2EENS0_17counting_iteratorIjlEEPS9_SG_NS0_5tupleIJPjSI_NS0_16reverse_iteratorISI_EEEEENSH_IJSG_SG_SG_EEES9_SI_JZNS1_25segmented_radix_sort_implINS0_14default_configELb1EPKbPbPKlPlN2at6native12_GLOBAL__N_18offset_tEEE10hipError_tPvRmT1_PNSt15iterator_traitsIS12_E10value_typeET2_T3_PNS13_IS18_E10value_typeET4_jRbjT5_S1E_jjP12ihipStream_tbEUljE_ZNSN_ISO_Lb1ESQ_SR_ST_SU_SY_EESZ_S10_S11_S12_S16_S17_S18_S1B_S1C_jS1D_jS1E_S1E_jjS1G_bEUljE0_EEESZ_S10_S11_S18_S1C_S1E_T6_T7_T9_mT8_S1G_bDpT10_ENKUlT_T0_E_clISt17integral_constantIbLb0EES1U_EEDaS1P_S1Q_EUlS1P_E_NS1_11comp_targetILNS1_3genE8ELNS1_11target_archE1030ELNS1_3gpuE2ELNS1_3repE0EEENS1_30default_config_static_selectorELNS0_4arch9wavefront6targetE1EEEvS12_
                                        ; -- End function
	.set _ZN7rocprim17ROCPRIM_400000_NS6detail17trampoline_kernelINS0_13select_configILj256ELj13ELNS0_17block_load_methodE3ELS4_3ELS4_3ELNS0_20block_scan_algorithmE0ELj4294967295EEENS1_25partition_config_selectorILNS1_17partition_subalgoE4EjNS0_10empty_typeEbEEZZNS1_14partition_implILS8_4ELb0ES6_15HIP_vector_typeIjLj2EENS0_17counting_iteratorIjlEEPS9_SG_NS0_5tupleIJPjSI_NS0_16reverse_iteratorISI_EEEEENSH_IJSG_SG_SG_EEES9_SI_JZNS1_25segmented_radix_sort_implINS0_14default_configELb1EPKbPbPKlPlN2at6native12_GLOBAL__N_18offset_tEEE10hipError_tPvRmT1_PNSt15iterator_traitsIS12_E10value_typeET2_T3_PNS13_IS18_E10value_typeET4_jRbjT5_S1E_jjP12ihipStream_tbEUljE_ZNSN_ISO_Lb1ESQ_SR_ST_SU_SY_EESZ_S10_S11_S12_S16_S17_S18_S1B_S1C_jS1D_jS1E_S1E_jjS1G_bEUljE0_EEESZ_S10_S11_S18_S1C_S1E_T6_T7_T9_mT8_S1G_bDpT10_ENKUlT_T0_E_clISt17integral_constantIbLb0EES1U_EEDaS1P_S1Q_EUlS1P_E_NS1_11comp_targetILNS1_3genE8ELNS1_11target_archE1030ELNS1_3gpuE2ELNS1_3repE0EEENS1_30default_config_static_selectorELNS0_4arch9wavefront6targetE1EEEvS12_.num_vgpr, 0
	.set _ZN7rocprim17ROCPRIM_400000_NS6detail17trampoline_kernelINS0_13select_configILj256ELj13ELNS0_17block_load_methodE3ELS4_3ELS4_3ELNS0_20block_scan_algorithmE0ELj4294967295EEENS1_25partition_config_selectorILNS1_17partition_subalgoE4EjNS0_10empty_typeEbEEZZNS1_14partition_implILS8_4ELb0ES6_15HIP_vector_typeIjLj2EENS0_17counting_iteratorIjlEEPS9_SG_NS0_5tupleIJPjSI_NS0_16reverse_iteratorISI_EEEEENSH_IJSG_SG_SG_EEES9_SI_JZNS1_25segmented_radix_sort_implINS0_14default_configELb1EPKbPbPKlPlN2at6native12_GLOBAL__N_18offset_tEEE10hipError_tPvRmT1_PNSt15iterator_traitsIS12_E10value_typeET2_T3_PNS13_IS18_E10value_typeET4_jRbjT5_S1E_jjP12ihipStream_tbEUljE_ZNSN_ISO_Lb1ESQ_SR_ST_SU_SY_EESZ_S10_S11_S12_S16_S17_S18_S1B_S1C_jS1D_jS1E_S1E_jjS1G_bEUljE0_EEESZ_S10_S11_S18_S1C_S1E_T6_T7_T9_mT8_S1G_bDpT10_ENKUlT_T0_E_clISt17integral_constantIbLb0EES1U_EEDaS1P_S1Q_EUlS1P_E_NS1_11comp_targetILNS1_3genE8ELNS1_11target_archE1030ELNS1_3gpuE2ELNS1_3repE0EEENS1_30default_config_static_selectorELNS0_4arch9wavefront6targetE1EEEvS12_.num_agpr, 0
	.set _ZN7rocprim17ROCPRIM_400000_NS6detail17trampoline_kernelINS0_13select_configILj256ELj13ELNS0_17block_load_methodE3ELS4_3ELS4_3ELNS0_20block_scan_algorithmE0ELj4294967295EEENS1_25partition_config_selectorILNS1_17partition_subalgoE4EjNS0_10empty_typeEbEEZZNS1_14partition_implILS8_4ELb0ES6_15HIP_vector_typeIjLj2EENS0_17counting_iteratorIjlEEPS9_SG_NS0_5tupleIJPjSI_NS0_16reverse_iteratorISI_EEEEENSH_IJSG_SG_SG_EEES9_SI_JZNS1_25segmented_radix_sort_implINS0_14default_configELb1EPKbPbPKlPlN2at6native12_GLOBAL__N_18offset_tEEE10hipError_tPvRmT1_PNSt15iterator_traitsIS12_E10value_typeET2_T3_PNS13_IS18_E10value_typeET4_jRbjT5_S1E_jjP12ihipStream_tbEUljE_ZNSN_ISO_Lb1ESQ_SR_ST_SU_SY_EESZ_S10_S11_S12_S16_S17_S18_S1B_S1C_jS1D_jS1E_S1E_jjS1G_bEUljE0_EEESZ_S10_S11_S18_S1C_S1E_T6_T7_T9_mT8_S1G_bDpT10_ENKUlT_T0_E_clISt17integral_constantIbLb0EES1U_EEDaS1P_S1Q_EUlS1P_E_NS1_11comp_targetILNS1_3genE8ELNS1_11target_archE1030ELNS1_3gpuE2ELNS1_3repE0EEENS1_30default_config_static_selectorELNS0_4arch9wavefront6targetE1EEEvS12_.numbered_sgpr, 0
	.set _ZN7rocprim17ROCPRIM_400000_NS6detail17trampoline_kernelINS0_13select_configILj256ELj13ELNS0_17block_load_methodE3ELS4_3ELS4_3ELNS0_20block_scan_algorithmE0ELj4294967295EEENS1_25partition_config_selectorILNS1_17partition_subalgoE4EjNS0_10empty_typeEbEEZZNS1_14partition_implILS8_4ELb0ES6_15HIP_vector_typeIjLj2EENS0_17counting_iteratorIjlEEPS9_SG_NS0_5tupleIJPjSI_NS0_16reverse_iteratorISI_EEEEENSH_IJSG_SG_SG_EEES9_SI_JZNS1_25segmented_radix_sort_implINS0_14default_configELb1EPKbPbPKlPlN2at6native12_GLOBAL__N_18offset_tEEE10hipError_tPvRmT1_PNSt15iterator_traitsIS12_E10value_typeET2_T3_PNS13_IS18_E10value_typeET4_jRbjT5_S1E_jjP12ihipStream_tbEUljE_ZNSN_ISO_Lb1ESQ_SR_ST_SU_SY_EESZ_S10_S11_S12_S16_S17_S18_S1B_S1C_jS1D_jS1E_S1E_jjS1G_bEUljE0_EEESZ_S10_S11_S18_S1C_S1E_T6_T7_T9_mT8_S1G_bDpT10_ENKUlT_T0_E_clISt17integral_constantIbLb0EES1U_EEDaS1P_S1Q_EUlS1P_E_NS1_11comp_targetILNS1_3genE8ELNS1_11target_archE1030ELNS1_3gpuE2ELNS1_3repE0EEENS1_30default_config_static_selectorELNS0_4arch9wavefront6targetE1EEEvS12_.num_named_barrier, 0
	.set _ZN7rocprim17ROCPRIM_400000_NS6detail17trampoline_kernelINS0_13select_configILj256ELj13ELNS0_17block_load_methodE3ELS4_3ELS4_3ELNS0_20block_scan_algorithmE0ELj4294967295EEENS1_25partition_config_selectorILNS1_17partition_subalgoE4EjNS0_10empty_typeEbEEZZNS1_14partition_implILS8_4ELb0ES6_15HIP_vector_typeIjLj2EENS0_17counting_iteratorIjlEEPS9_SG_NS0_5tupleIJPjSI_NS0_16reverse_iteratorISI_EEEEENSH_IJSG_SG_SG_EEES9_SI_JZNS1_25segmented_radix_sort_implINS0_14default_configELb1EPKbPbPKlPlN2at6native12_GLOBAL__N_18offset_tEEE10hipError_tPvRmT1_PNSt15iterator_traitsIS12_E10value_typeET2_T3_PNS13_IS18_E10value_typeET4_jRbjT5_S1E_jjP12ihipStream_tbEUljE_ZNSN_ISO_Lb1ESQ_SR_ST_SU_SY_EESZ_S10_S11_S12_S16_S17_S18_S1B_S1C_jS1D_jS1E_S1E_jjS1G_bEUljE0_EEESZ_S10_S11_S18_S1C_S1E_T6_T7_T9_mT8_S1G_bDpT10_ENKUlT_T0_E_clISt17integral_constantIbLb0EES1U_EEDaS1P_S1Q_EUlS1P_E_NS1_11comp_targetILNS1_3genE8ELNS1_11target_archE1030ELNS1_3gpuE2ELNS1_3repE0EEENS1_30default_config_static_selectorELNS0_4arch9wavefront6targetE1EEEvS12_.private_seg_size, 0
	.set _ZN7rocprim17ROCPRIM_400000_NS6detail17trampoline_kernelINS0_13select_configILj256ELj13ELNS0_17block_load_methodE3ELS4_3ELS4_3ELNS0_20block_scan_algorithmE0ELj4294967295EEENS1_25partition_config_selectorILNS1_17partition_subalgoE4EjNS0_10empty_typeEbEEZZNS1_14partition_implILS8_4ELb0ES6_15HIP_vector_typeIjLj2EENS0_17counting_iteratorIjlEEPS9_SG_NS0_5tupleIJPjSI_NS0_16reverse_iteratorISI_EEEEENSH_IJSG_SG_SG_EEES9_SI_JZNS1_25segmented_radix_sort_implINS0_14default_configELb1EPKbPbPKlPlN2at6native12_GLOBAL__N_18offset_tEEE10hipError_tPvRmT1_PNSt15iterator_traitsIS12_E10value_typeET2_T3_PNS13_IS18_E10value_typeET4_jRbjT5_S1E_jjP12ihipStream_tbEUljE_ZNSN_ISO_Lb1ESQ_SR_ST_SU_SY_EESZ_S10_S11_S12_S16_S17_S18_S1B_S1C_jS1D_jS1E_S1E_jjS1G_bEUljE0_EEESZ_S10_S11_S18_S1C_S1E_T6_T7_T9_mT8_S1G_bDpT10_ENKUlT_T0_E_clISt17integral_constantIbLb0EES1U_EEDaS1P_S1Q_EUlS1P_E_NS1_11comp_targetILNS1_3genE8ELNS1_11target_archE1030ELNS1_3gpuE2ELNS1_3repE0EEENS1_30default_config_static_selectorELNS0_4arch9wavefront6targetE1EEEvS12_.uses_vcc, 0
	.set _ZN7rocprim17ROCPRIM_400000_NS6detail17trampoline_kernelINS0_13select_configILj256ELj13ELNS0_17block_load_methodE3ELS4_3ELS4_3ELNS0_20block_scan_algorithmE0ELj4294967295EEENS1_25partition_config_selectorILNS1_17partition_subalgoE4EjNS0_10empty_typeEbEEZZNS1_14partition_implILS8_4ELb0ES6_15HIP_vector_typeIjLj2EENS0_17counting_iteratorIjlEEPS9_SG_NS0_5tupleIJPjSI_NS0_16reverse_iteratorISI_EEEEENSH_IJSG_SG_SG_EEES9_SI_JZNS1_25segmented_radix_sort_implINS0_14default_configELb1EPKbPbPKlPlN2at6native12_GLOBAL__N_18offset_tEEE10hipError_tPvRmT1_PNSt15iterator_traitsIS12_E10value_typeET2_T3_PNS13_IS18_E10value_typeET4_jRbjT5_S1E_jjP12ihipStream_tbEUljE_ZNSN_ISO_Lb1ESQ_SR_ST_SU_SY_EESZ_S10_S11_S12_S16_S17_S18_S1B_S1C_jS1D_jS1E_S1E_jjS1G_bEUljE0_EEESZ_S10_S11_S18_S1C_S1E_T6_T7_T9_mT8_S1G_bDpT10_ENKUlT_T0_E_clISt17integral_constantIbLb0EES1U_EEDaS1P_S1Q_EUlS1P_E_NS1_11comp_targetILNS1_3genE8ELNS1_11target_archE1030ELNS1_3gpuE2ELNS1_3repE0EEENS1_30default_config_static_selectorELNS0_4arch9wavefront6targetE1EEEvS12_.uses_flat_scratch, 0
	.set _ZN7rocprim17ROCPRIM_400000_NS6detail17trampoline_kernelINS0_13select_configILj256ELj13ELNS0_17block_load_methodE3ELS4_3ELS4_3ELNS0_20block_scan_algorithmE0ELj4294967295EEENS1_25partition_config_selectorILNS1_17partition_subalgoE4EjNS0_10empty_typeEbEEZZNS1_14partition_implILS8_4ELb0ES6_15HIP_vector_typeIjLj2EENS0_17counting_iteratorIjlEEPS9_SG_NS0_5tupleIJPjSI_NS0_16reverse_iteratorISI_EEEEENSH_IJSG_SG_SG_EEES9_SI_JZNS1_25segmented_radix_sort_implINS0_14default_configELb1EPKbPbPKlPlN2at6native12_GLOBAL__N_18offset_tEEE10hipError_tPvRmT1_PNSt15iterator_traitsIS12_E10value_typeET2_T3_PNS13_IS18_E10value_typeET4_jRbjT5_S1E_jjP12ihipStream_tbEUljE_ZNSN_ISO_Lb1ESQ_SR_ST_SU_SY_EESZ_S10_S11_S12_S16_S17_S18_S1B_S1C_jS1D_jS1E_S1E_jjS1G_bEUljE0_EEESZ_S10_S11_S18_S1C_S1E_T6_T7_T9_mT8_S1G_bDpT10_ENKUlT_T0_E_clISt17integral_constantIbLb0EES1U_EEDaS1P_S1Q_EUlS1P_E_NS1_11comp_targetILNS1_3genE8ELNS1_11target_archE1030ELNS1_3gpuE2ELNS1_3repE0EEENS1_30default_config_static_selectorELNS0_4arch9wavefront6targetE1EEEvS12_.has_dyn_sized_stack, 0
	.set _ZN7rocprim17ROCPRIM_400000_NS6detail17trampoline_kernelINS0_13select_configILj256ELj13ELNS0_17block_load_methodE3ELS4_3ELS4_3ELNS0_20block_scan_algorithmE0ELj4294967295EEENS1_25partition_config_selectorILNS1_17partition_subalgoE4EjNS0_10empty_typeEbEEZZNS1_14partition_implILS8_4ELb0ES6_15HIP_vector_typeIjLj2EENS0_17counting_iteratorIjlEEPS9_SG_NS0_5tupleIJPjSI_NS0_16reverse_iteratorISI_EEEEENSH_IJSG_SG_SG_EEES9_SI_JZNS1_25segmented_radix_sort_implINS0_14default_configELb1EPKbPbPKlPlN2at6native12_GLOBAL__N_18offset_tEEE10hipError_tPvRmT1_PNSt15iterator_traitsIS12_E10value_typeET2_T3_PNS13_IS18_E10value_typeET4_jRbjT5_S1E_jjP12ihipStream_tbEUljE_ZNSN_ISO_Lb1ESQ_SR_ST_SU_SY_EESZ_S10_S11_S12_S16_S17_S18_S1B_S1C_jS1D_jS1E_S1E_jjS1G_bEUljE0_EEESZ_S10_S11_S18_S1C_S1E_T6_T7_T9_mT8_S1G_bDpT10_ENKUlT_T0_E_clISt17integral_constantIbLb0EES1U_EEDaS1P_S1Q_EUlS1P_E_NS1_11comp_targetILNS1_3genE8ELNS1_11target_archE1030ELNS1_3gpuE2ELNS1_3repE0EEENS1_30default_config_static_selectorELNS0_4arch9wavefront6targetE1EEEvS12_.has_recursion, 0
	.set _ZN7rocprim17ROCPRIM_400000_NS6detail17trampoline_kernelINS0_13select_configILj256ELj13ELNS0_17block_load_methodE3ELS4_3ELS4_3ELNS0_20block_scan_algorithmE0ELj4294967295EEENS1_25partition_config_selectorILNS1_17partition_subalgoE4EjNS0_10empty_typeEbEEZZNS1_14partition_implILS8_4ELb0ES6_15HIP_vector_typeIjLj2EENS0_17counting_iteratorIjlEEPS9_SG_NS0_5tupleIJPjSI_NS0_16reverse_iteratorISI_EEEEENSH_IJSG_SG_SG_EEES9_SI_JZNS1_25segmented_radix_sort_implINS0_14default_configELb1EPKbPbPKlPlN2at6native12_GLOBAL__N_18offset_tEEE10hipError_tPvRmT1_PNSt15iterator_traitsIS12_E10value_typeET2_T3_PNS13_IS18_E10value_typeET4_jRbjT5_S1E_jjP12ihipStream_tbEUljE_ZNSN_ISO_Lb1ESQ_SR_ST_SU_SY_EESZ_S10_S11_S12_S16_S17_S18_S1B_S1C_jS1D_jS1E_S1E_jjS1G_bEUljE0_EEESZ_S10_S11_S18_S1C_S1E_T6_T7_T9_mT8_S1G_bDpT10_ENKUlT_T0_E_clISt17integral_constantIbLb0EES1U_EEDaS1P_S1Q_EUlS1P_E_NS1_11comp_targetILNS1_3genE8ELNS1_11target_archE1030ELNS1_3gpuE2ELNS1_3repE0EEENS1_30default_config_static_selectorELNS0_4arch9wavefront6targetE1EEEvS12_.has_indirect_call, 0
	.section	.AMDGPU.csdata,"",@progbits
; Kernel info:
; codeLenInByte = 0
; TotalNumSgprs: 4
; NumVgprs: 0
; ScratchSize: 0
; MemoryBound: 0
; FloatMode: 240
; IeeeMode: 1
; LDSByteSize: 0 bytes/workgroup (compile time only)
; SGPRBlocks: 0
; VGPRBlocks: 0
; NumSGPRsForWavesPerEU: 4
; NumVGPRsForWavesPerEU: 1
; Occupancy: 10
; WaveLimiterHint : 0
; COMPUTE_PGM_RSRC2:SCRATCH_EN: 0
; COMPUTE_PGM_RSRC2:USER_SGPR: 6
; COMPUTE_PGM_RSRC2:TRAP_HANDLER: 0
; COMPUTE_PGM_RSRC2:TGID_X_EN: 1
; COMPUTE_PGM_RSRC2:TGID_Y_EN: 0
; COMPUTE_PGM_RSRC2:TGID_Z_EN: 0
; COMPUTE_PGM_RSRC2:TIDIG_COMP_CNT: 0
	.section	.text._ZN7rocprim17ROCPRIM_400000_NS6detail17trampoline_kernelINS0_13select_configILj256ELj13ELNS0_17block_load_methodE3ELS4_3ELS4_3ELNS0_20block_scan_algorithmE0ELj4294967295EEENS1_25partition_config_selectorILNS1_17partition_subalgoE4EjNS0_10empty_typeEbEEZZNS1_14partition_implILS8_4ELb0ES6_15HIP_vector_typeIjLj2EENS0_17counting_iteratorIjlEEPS9_SG_NS0_5tupleIJPjSI_NS0_16reverse_iteratorISI_EEEEENSH_IJSG_SG_SG_EEES9_SI_JZNS1_25segmented_radix_sort_implINS0_14default_configELb1EPKbPbPKlPlN2at6native12_GLOBAL__N_18offset_tEEE10hipError_tPvRmT1_PNSt15iterator_traitsIS12_E10value_typeET2_T3_PNS13_IS18_E10value_typeET4_jRbjT5_S1E_jjP12ihipStream_tbEUljE_ZNSN_ISO_Lb1ESQ_SR_ST_SU_SY_EESZ_S10_S11_S12_S16_S17_S18_S1B_S1C_jS1D_jS1E_S1E_jjS1G_bEUljE0_EEESZ_S10_S11_S18_S1C_S1E_T6_T7_T9_mT8_S1G_bDpT10_ENKUlT_T0_E_clISt17integral_constantIbLb1EES1U_EEDaS1P_S1Q_EUlS1P_E_NS1_11comp_targetILNS1_3genE0ELNS1_11target_archE4294967295ELNS1_3gpuE0ELNS1_3repE0EEENS1_30default_config_static_selectorELNS0_4arch9wavefront6targetE1EEEvS12_,"axG",@progbits,_ZN7rocprim17ROCPRIM_400000_NS6detail17trampoline_kernelINS0_13select_configILj256ELj13ELNS0_17block_load_methodE3ELS4_3ELS4_3ELNS0_20block_scan_algorithmE0ELj4294967295EEENS1_25partition_config_selectorILNS1_17partition_subalgoE4EjNS0_10empty_typeEbEEZZNS1_14partition_implILS8_4ELb0ES6_15HIP_vector_typeIjLj2EENS0_17counting_iteratorIjlEEPS9_SG_NS0_5tupleIJPjSI_NS0_16reverse_iteratorISI_EEEEENSH_IJSG_SG_SG_EEES9_SI_JZNS1_25segmented_radix_sort_implINS0_14default_configELb1EPKbPbPKlPlN2at6native12_GLOBAL__N_18offset_tEEE10hipError_tPvRmT1_PNSt15iterator_traitsIS12_E10value_typeET2_T3_PNS13_IS18_E10value_typeET4_jRbjT5_S1E_jjP12ihipStream_tbEUljE_ZNSN_ISO_Lb1ESQ_SR_ST_SU_SY_EESZ_S10_S11_S12_S16_S17_S18_S1B_S1C_jS1D_jS1E_S1E_jjS1G_bEUljE0_EEESZ_S10_S11_S18_S1C_S1E_T6_T7_T9_mT8_S1G_bDpT10_ENKUlT_T0_E_clISt17integral_constantIbLb1EES1U_EEDaS1P_S1Q_EUlS1P_E_NS1_11comp_targetILNS1_3genE0ELNS1_11target_archE4294967295ELNS1_3gpuE0ELNS1_3repE0EEENS1_30default_config_static_selectorELNS0_4arch9wavefront6targetE1EEEvS12_,comdat
	.globl	_ZN7rocprim17ROCPRIM_400000_NS6detail17trampoline_kernelINS0_13select_configILj256ELj13ELNS0_17block_load_methodE3ELS4_3ELS4_3ELNS0_20block_scan_algorithmE0ELj4294967295EEENS1_25partition_config_selectorILNS1_17partition_subalgoE4EjNS0_10empty_typeEbEEZZNS1_14partition_implILS8_4ELb0ES6_15HIP_vector_typeIjLj2EENS0_17counting_iteratorIjlEEPS9_SG_NS0_5tupleIJPjSI_NS0_16reverse_iteratorISI_EEEEENSH_IJSG_SG_SG_EEES9_SI_JZNS1_25segmented_radix_sort_implINS0_14default_configELb1EPKbPbPKlPlN2at6native12_GLOBAL__N_18offset_tEEE10hipError_tPvRmT1_PNSt15iterator_traitsIS12_E10value_typeET2_T3_PNS13_IS18_E10value_typeET4_jRbjT5_S1E_jjP12ihipStream_tbEUljE_ZNSN_ISO_Lb1ESQ_SR_ST_SU_SY_EESZ_S10_S11_S12_S16_S17_S18_S1B_S1C_jS1D_jS1E_S1E_jjS1G_bEUljE0_EEESZ_S10_S11_S18_S1C_S1E_T6_T7_T9_mT8_S1G_bDpT10_ENKUlT_T0_E_clISt17integral_constantIbLb1EES1U_EEDaS1P_S1Q_EUlS1P_E_NS1_11comp_targetILNS1_3genE0ELNS1_11target_archE4294967295ELNS1_3gpuE0ELNS1_3repE0EEENS1_30default_config_static_selectorELNS0_4arch9wavefront6targetE1EEEvS12_ ; -- Begin function _ZN7rocprim17ROCPRIM_400000_NS6detail17trampoline_kernelINS0_13select_configILj256ELj13ELNS0_17block_load_methodE3ELS4_3ELS4_3ELNS0_20block_scan_algorithmE0ELj4294967295EEENS1_25partition_config_selectorILNS1_17partition_subalgoE4EjNS0_10empty_typeEbEEZZNS1_14partition_implILS8_4ELb0ES6_15HIP_vector_typeIjLj2EENS0_17counting_iteratorIjlEEPS9_SG_NS0_5tupleIJPjSI_NS0_16reverse_iteratorISI_EEEEENSH_IJSG_SG_SG_EEES9_SI_JZNS1_25segmented_radix_sort_implINS0_14default_configELb1EPKbPbPKlPlN2at6native12_GLOBAL__N_18offset_tEEE10hipError_tPvRmT1_PNSt15iterator_traitsIS12_E10value_typeET2_T3_PNS13_IS18_E10value_typeET4_jRbjT5_S1E_jjP12ihipStream_tbEUljE_ZNSN_ISO_Lb1ESQ_SR_ST_SU_SY_EESZ_S10_S11_S12_S16_S17_S18_S1B_S1C_jS1D_jS1E_S1E_jjS1G_bEUljE0_EEESZ_S10_S11_S18_S1C_S1E_T6_T7_T9_mT8_S1G_bDpT10_ENKUlT_T0_E_clISt17integral_constantIbLb1EES1U_EEDaS1P_S1Q_EUlS1P_E_NS1_11comp_targetILNS1_3genE0ELNS1_11target_archE4294967295ELNS1_3gpuE0ELNS1_3repE0EEENS1_30default_config_static_selectorELNS0_4arch9wavefront6targetE1EEEvS12_
	.p2align	8
	.type	_ZN7rocprim17ROCPRIM_400000_NS6detail17trampoline_kernelINS0_13select_configILj256ELj13ELNS0_17block_load_methodE3ELS4_3ELS4_3ELNS0_20block_scan_algorithmE0ELj4294967295EEENS1_25partition_config_selectorILNS1_17partition_subalgoE4EjNS0_10empty_typeEbEEZZNS1_14partition_implILS8_4ELb0ES6_15HIP_vector_typeIjLj2EENS0_17counting_iteratorIjlEEPS9_SG_NS0_5tupleIJPjSI_NS0_16reverse_iteratorISI_EEEEENSH_IJSG_SG_SG_EEES9_SI_JZNS1_25segmented_radix_sort_implINS0_14default_configELb1EPKbPbPKlPlN2at6native12_GLOBAL__N_18offset_tEEE10hipError_tPvRmT1_PNSt15iterator_traitsIS12_E10value_typeET2_T3_PNS13_IS18_E10value_typeET4_jRbjT5_S1E_jjP12ihipStream_tbEUljE_ZNSN_ISO_Lb1ESQ_SR_ST_SU_SY_EESZ_S10_S11_S12_S16_S17_S18_S1B_S1C_jS1D_jS1E_S1E_jjS1G_bEUljE0_EEESZ_S10_S11_S18_S1C_S1E_T6_T7_T9_mT8_S1G_bDpT10_ENKUlT_T0_E_clISt17integral_constantIbLb1EES1U_EEDaS1P_S1Q_EUlS1P_E_NS1_11comp_targetILNS1_3genE0ELNS1_11target_archE4294967295ELNS1_3gpuE0ELNS1_3repE0EEENS1_30default_config_static_selectorELNS0_4arch9wavefront6targetE1EEEvS12_,@function
_ZN7rocprim17ROCPRIM_400000_NS6detail17trampoline_kernelINS0_13select_configILj256ELj13ELNS0_17block_load_methodE3ELS4_3ELS4_3ELNS0_20block_scan_algorithmE0ELj4294967295EEENS1_25partition_config_selectorILNS1_17partition_subalgoE4EjNS0_10empty_typeEbEEZZNS1_14partition_implILS8_4ELb0ES6_15HIP_vector_typeIjLj2EENS0_17counting_iteratorIjlEEPS9_SG_NS0_5tupleIJPjSI_NS0_16reverse_iteratorISI_EEEEENSH_IJSG_SG_SG_EEES9_SI_JZNS1_25segmented_radix_sort_implINS0_14default_configELb1EPKbPbPKlPlN2at6native12_GLOBAL__N_18offset_tEEE10hipError_tPvRmT1_PNSt15iterator_traitsIS12_E10value_typeET2_T3_PNS13_IS18_E10value_typeET4_jRbjT5_S1E_jjP12ihipStream_tbEUljE_ZNSN_ISO_Lb1ESQ_SR_ST_SU_SY_EESZ_S10_S11_S12_S16_S17_S18_S1B_S1C_jS1D_jS1E_S1E_jjS1G_bEUljE0_EEESZ_S10_S11_S18_S1C_S1E_T6_T7_T9_mT8_S1G_bDpT10_ENKUlT_T0_E_clISt17integral_constantIbLb1EES1U_EEDaS1P_S1Q_EUlS1P_E_NS1_11comp_targetILNS1_3genE0ELNS1_11target_archE4294967295ELNS1_3gpuE0ELNS1_3repE0EEENS1_30default_config_static_selectorELNS0_4arch9wavefront6targetE1EEEvS12_: ; @_ZN7rocprim17ROCPRIM_400000_NS6detail17trampoline_kernelINS0_13select_configILj256ELj13ELNS0_17block_load_methodE3ELS4_3ELS4_3ELNS0_20block_scan_algorithmE0ELj4294967295EEENS1_25partition_config_selectorILNS1_17partition_subalgoE4EjNS0_10empty_typeEbEEZZNS1_14partition_implILS8_4ELb0ES6_15HIP_vector_typeIjLj2EENS0_17counting_iteratorIjlEEPS9_SG_NS0_5tupleIJPjSI_NS0_16reverse_iteratorISI_EEEEENSH_IJSG_SG_SG_EEES9_SI_JZNS1_25segmented_radix_sort_implINS0_14default_configELb1EPKbPbPKlPlN2at6native12_GLOBAL__N_18offset_tEEE10hipError_tPvRmT1_PNSt15iterator_traitsIS12_E10value_typeET2_T3_PNS13_IS18_E10value_typeET4_jRbjT5_S1E_jjP12ihipStream_tbEUljE_ZNSN_ISO_Lb1ESQ_SR_ST_SU_SY_EESZ_S10_S11_S12_S16_S17_S18_S1B_S1C_jS1D_jS1E_S1E_jjS1G_bEUljE0_EEESZ_S10_S11_S18_S1C_S1E_T6_T7_T9_mT8_S1G_bDpT10_ENKUlT_T0_E_clISt17integral_constantIbLb1EES1U_EEDaS1P_S1Q_EUlS1P_E_NS1_11comp_targetILNS1_3genE0ELNS1_11target_archE4294967295ELNS1_3gpuE0ELNS1_3repE0EEENS1_30default_config_static_selectorELNS0_4arch9wavefront6targetE1EEEvS12_
; %bb.0:
	.section	.rodata,"a",@progbits
	.p2align	6, 0x0
	.amdhsa_kernel _ZN7rocprim17ROCPRIM_400000_NS6detail17trampoline_kernelINS0_13select_configILj256ELj13ELNS0_17block_load_methodE3ELS4_3ELS4_3ELNS0_20block_scan_algorithmE0ELj4294967295EEENS1_25partition_config_selectorILNS1_17partition_subalgoE4EjNS0_10empty_typeEbEEZZNS1_14partition_implILS8_4ELb0ES6_15HIP_vector_typeIjLj2EENS0_17counting_iteratorIjlEEPS9_SG_NS0_5tupleIJPjSI_NS0_16reverse_iteratorISI_EEEEENSH_IJSG_SG_SG_EEES9_SI_JZNS1_25segmented_radix_sort_implINS0_14default_configELb1EPKbPbPKlPlN2at6native12_GLOBAL__N_18offset_tEEE10hipError_tPvRmT1_PNSt15iterator_traitsIS12_E10value_typeET2_T3_PNS13_IS18_E10value_typeET4_jRbjT5_S1E_jjP12ihipStream_tbEUljE_ZNSN_ISO_Lb1ESQ_SR_ST_SU_SY_EESZ_S10_S11_S12_S16_S17_S18_S1B_S1C_jS1D_jS1E_S1E_jjS1G_bEUljE0_EEESZ_S10_S11_S18_S1C_S1E_T6_T7_T9_mT8_S1G_bDpT10_ENKUlT_T0_E_clISt17integral_constantIbLb1EES1U_EEDaS1P_S1Q_EUlS1P_E_NS1_11comp_targetILNS1_3genE0ELNS1_11target_archE4294967295ELNS1_3gpuE0ELNS1_3repE0EEENS1_30default_config_static_selectorELNS0_4arch9wavefront6targetE1EEEvS12_
		.amdhsa_group_segment_fixed_size 0
		.amdhsa_private_segment_fixed_size 0
		.amdhsa_kernarg_size 184
		.amdhsa_user_sgpr_count 6
		.amdhsa_user_sgpr_private_segment_buffer 1
		.amdhsa_user_sgpr_dispatch_ptr 0
		.amdhsa_user_sgpr_queue_ptr 0
		.amdhsa_user_sgpr_kernarg_segment_ptr 1
		.amdhsa_user_sgpr_dispatch_id 0
		.amdhsa_user_sgpr_flat_scratch_init 0
		.amdhsa_user_sgpr_private_segment_size 0
		.amdhsa_uses_dynamic_stack 0
		.amdhsa_system_sgpr_private_segment_wavefront_offset 0
		.amdhsa_system_sgpr_workgroup_id_x 1
		.amdhsa_system_sgpr_workgroup_id_y 0
		.amdhsa_system_sgpr_workgroup_id_z 0
		.amdhsa_system_sgpr_workgroup_info 0
		.amdhsa_system_vgpr_workitem_id 0
		.amdhsa_next_free_vgpr 1
		.amdhsa_next_free_sgpr 0
		.amdhsa_reserve_vcc 0
		.amdhsa_reserve_flat_scratch 0
		.amdhsa_float_round_mode_32 0
		.amdhsa_float_round_mode_16_64 0
		.amdhsa_float_denorm_mode_32 3
		.amdhsa_float_denorm_mode_16_64 3
		.amdhsa_dx10_clamp 1
		.amdhsa_ieee_mode 1
		.amdhsa_fp16_overflow 0
		.amdhsa_exception_fp_ieee_invalid_op 0
		.amdhsa_exception_fp_denorm_src 0
		.amdhsa_exception_fp_ieee_div_zero 0
		.amdhsa_exception_fp_ieee_overflow 0
		.amdhsa_exception_fp_ieee_underflow 0
		.amdhsa_exception_fp_ieee_inexact 0
		.amdhsa_exception_int_div_zero 0
	.end_amdhsa_kernel
	.section	.text._ZN7rocprim17ROCPRIM_400000_NS6detail17trampoline_kernelINS0_13select_configILj256ELj13ELNS0_17block_load_methodE3ELS4_3ELS4_3ELNS0_20block_scan_algorithmE0ELj4294967295EEENS1_25partition_config_selectorILNS1_17partition_subalgoE4EjNS0_10empty_typeEbEEZZNS1_14partition_implILS8_4ELb0ES6_15HIP_vector_typeIjLj2EENS0_17counting_iteratorIjlEEPS9_SG_NS0_5tupleIJPjSI_NS0_16reverse_iteratorISI_EEEEENSH_IJSG_SG_SG_EEES9_SI_JZNS1_25segmented_radix_sort_implINS0_14default_configELb1EPKbPbPKlPlN2at6native12_GLOBAL__N_18offset_tEEE10hipError_tPvRmT1_PNSt15iterator_traitsIS12_E10value_typeET2_T3_PNS13_IS18_E10value_typeET4_jRbjT5_S1E_jjP12ihipStream_tbEUljE_ZNSN_ISO_Lb1ESQ_SR_ST_SU_SY_EESZ_S10_S11_S12_S16_S17_S18_S1B_S1C_jS1D_jS1E_S1E_jjS1G_bEUljE0_EEESZ_S10_S11_S18_S1C_S1E_T6_T7_T9_mT8_S1G_bDpT10_ENKUlT_T0_E_clISt17integral_constantIbLb1EES1U_EEDaS1P_S1Q_EUlS1P_E_NS1_11comp_targetILNS1_3genE0ELNS1_11target_archE4294967295ELNS1_3gpuE0ELNS1_3repE0EEENS1_30default_config_static_selectorELNS0_4arch9wavefront6targetE1EEEvS12_,"axG",@progbits,_ZN7rocprim17ROCPRIM_400000_NS6detail17trampoline_kernelINS0_13select_configILj256ELj13ELNS0_17block_load_methodE3ELS4_3ELS4_3ELNS0_20block_scan_algorithmE0ELj4294967295EEENS1_25partition_config_selectorILNS1_17partition_subalgoE4EjNS0_10empty_typeEbEEZZNS1_14partition_implILS8_4ELb0ES6_15HIP_vector_typeIjLj2EENS0_17counting_iteratorIjlEEPS9_SG_NS0_5tupleIJPjSI_NS0_16reverse_iteratorISI_EEEEENSH_IJSG_SG_SG_EEES9_SI_JZNS1_25segmented_radix_sort_implINS0_14default_configELb1EPKbPbPKlPlN2at6native12_GLOBAL__N_18offset_tEEE10hipError_tPvRmT1_PNSt15iterator_traitsIS12_E10value_typeET2_T3_PNS13_IS18_E10value_typeET4_jRbjT5_S1E_jjP12ihipStream_tbEUljE_ZNSN_ISO_Lb1ESQ_SR_ST_SU_SY_EESZ_S10_S11_S12_S16_S17_S18_S1B_S1C_jS1D_jS1E_S1E_jjS1G_bEUljE0_EEESZ_S10_S11_S18_S1C_S1E_T6_T7_T9_mT8_S1G_bDpT10_ENKUlT_T0_E_clISt17integral_constantIbLb1EES1U_EEDaS1P_S1Q_EUlS1P_E_NS1_11comp_targetILNS1_3genE0ELNS1_11target_archE4294967295ELNS1_3gpuE0ELNS1_3repE0EEENS1_30default_config_static_selectorELNS0_4arch9wavefront6targetE1EEEvS12_,comdat
.Lfunc_end1476:
	.size	_ZN7rocprim17ROCPRIM_400000_NS6detail17trampoline_kernelINS0_13select_configILj256ELj13ELNS0_17block_load_methodE3ELS4_3ELS4_3ELNS0_20block_scan_algorithmE0ELj4294967295EEENS1_25partition_config_selectorILNS1_17partition_subalgoE4EjNS0_10empty_typeEbEEZZNS1_14partition_implILS8_4ELb0ES6_15HIP_vector_typeIjLj2EENS0_17counting_iteratorIjlEEPS9_SG_NS0_5tupleIJPjSI_NS0_16reverse_iteratorISI_EEEEENSH_IJSG_SG_SG_EEES9_SI_JZNS1_25segmented_radix_sort_implINS0_14default_configELb1EPKbPbPKlPlN2at6native12_GLOBAL__N_18offset_tEEE10hipError_tPvRmT1_PNSt15iterator_traitsIS12_E10value_typeET2_T3_PNS13_IS18_E10value_typeET4_jRbjT5_S1E_jjP12ihipStream_tbEUljE_ZNSN_ISO_Lb1ESQ_SR_ST_SU_SY_EESZ_S10_S11_S12_S16_S17_S18_S1B_S1C_jS1D_jS1E_S1E_jjS1G_bEUljE0_EEESZ_S10_S11_S18_S1C_S1E_T6_T7_T9_mT8_S1G_bDpT10_ENKUlT_T0_E_clISt17integral_constantIbLb1EES1U_EEDaS1P_S1Q_EUlS1P_E_NS1_11comp_targetILNS1_3genE0ELNS1_11target_archE4294967295ELNS1_3gpuE0ELNS1_3repE0EEENS1_30default_config_static_selectorELNS0_4arch9wavefront6targetE1EEEvS12_, .Lfunc_end1476-_ZN7rocprim17ROCPRIM_400000_NS6detail17trampoline_kernelINS0_13select_configILj256ELj13ELNS0_17block_load_methodE3ELS4_3ELS4_3ELNS0_20block_scan_algorithmE0ELj4294967295EEENS1_25partition_config_selectorILNS1_17partition_subalgoE4EjNS0_10empty_typeEbEEZZNS1_14partition_implILS8_4ELb0ES6_15HIP_vector_typeIjLj2EENS0_17counting_iteratorIjlEEPS9_SG_NS0_5tupleIJPjSI_NS0_16reverse_iteratorISI_EEEEENSH_IJSG_SG_SG_EEES9_SI_JZNS1_25segmented_radix_sort_implINS0_14default_configELb1EPKbPbPKlPlN2at6native12_GLOBAL__N_18offset_tEEE10hipError_tPvRmT1_PNSt15iterator_traitsIS12_E10value_typeET2_T3_PNS13_IS18_E10value_typeET4_jRbjT5_S1E_jjP12ihipStream_tbEUljE_ZNSN_ISO_Lb1ESQ_SR_ST_SU_SY_EESZ_S10_S11_S12_S16_S17_S18_S1B_S1C_jS1D_jS1E_S1E_jjS1G_bEUljE0_EEESZ_S10_S11_S18_S1C_S1E_T6_T7_T9_mT8_S1G_bDpT10_ENKUlT_T0_E_clISt17integral_constantIbLb1EES1U_EEDaS1P_S1Q_EUlS1P_E_NS1_11comp_targetILNS1_3genE0ELNS1_11target_archE4294967295ELNS1_3gpuE0ELNS1_3repE0EEENS1_30default_config_static_selectorELNS0_4arch9wavefront6targetE1EEEvS12_
                                        ; -- End function
	.set _ZN7rocprim17ROCPRIM_400000_NS6detail17trampoline_kernelINS0_13select_configILj256ELj13ELNS0_17block_load_methodE3ELS4_3ELS4_3ELNS0_20block_scan_algorithmE0ELj4294967295EEENS1_25partition_config_selectorILNS1_17partition_subalgoE4EjNS0_10empty_typeEbEEZZNS1_14partition_implILS8_4ELb0ES6_15HIP_vector_typeIjLj2EENS0_17counting_iteratorIjlEEPS9_SG_NS0_5tupleIJPjSI_NS0_16reverse_iteratorISI_EEEEENSH_IJSG_SG_SG_EEES9_SI_JZNS1_25segmented_radix_sort_implINS0_14default_configELb1EPKbPbPKlPlN2at6native12_GLOBAL__N_18offset_tEEE10hipError_tPvRmT1_PNSt15iterator_traitsIS12_E10value_typeET2_T3_PNS13_IS18_E10value_typeET4_jRbjT5_S1E_jjP12ihipStream_tbEUljE_ZNSN_ISO_Lb1ESQ_SR_ST_SU_SY_EESZ_S10_S11_S12_S16_S17_S18_S1B_S1C_jS1D_jS1E_S1E_jjS1G_bEUljE0_EEESZ_S10_S11_S18_S1C_S1E_T6_T7_T9_mT8_S1G_bDpT10_ENKUlT_T0_E_clISt17integral_constantIbLb1EES1U_EEDaS1P_S1Q_EUlS1P_E_NS1_11comp_targetILNS1_3genE0ELNS1_11target_archE4294967295ELNS1_3gpuE0ELNS1_3repE0EEENS1_30default_config_static_selectorELNS0_4arch9wavefront6targetE1EEEvS12_.num_vgpr, 0
	.set _ZN7rocprim17ROCPRIM_400000_NS6detail17trampoline_kernelINS0_13select_configILj256ELj13ELNS0_17block_load_methodE3ELS4_3ELS4_3ELNS0_20block_scan_algorithmE0ELj4294967295EEENS1_25partition_config_selectorILNS1_17partition_subalgoE4EjNS0_10empty_typeEbEEZZNS1_14partition_implILS8_4ELb0ES6_15HIP_vector_typeIjLj2EENS0_17counting_iteratorIjlEEPS9_SG_NS0_5tupleIJPjSI_NS0_16reverse_iteratorISI_EEEEENSH_IJSG_SG_SG_EEES9_SI_JZNS1_25segmented_radix_sort_implINS0_14default_configELb1EPKbPbPKlPlN2at6native12_GLOBAL__N_18offset_tEEE10hipError_tPvRmT1_PNSt15iterator_traitsIS12_E10value_typeET2_T3_PNS13_IS18_E10value_typeET4_jRbjT5_S1E_jjP12ihipStream_tbEUljE_ZNSN_ISO_Lb1ESQ_SR_ST_SU_SY_EESZ_S10_S11_S12_S16_S17_S18_S1B_S1C_jS1D_jS1E_S1E_jjS1G_bEUljE0_EEESZ_S10_S11_S18_S1C_S1E_T6_T7_T9_mT8_S1G_bDpT10_ENKUlT_T0_E_clISt17integral_constantIbLb1EES1U_EEDaS1P_S1Q_EUlS1P_E_NS1_11comp_targetILNS1_3genE0ELNS1_11target_archE4294967295ELNS1_3gpuE0ELNS1_3repE0EEENS1_30default_config_static_selectorELNS0_4arch9wavefront6targetE1EEEvS12_.num_agpr, 0
	.set _ZN7rocprim17ROCPRIM_400000_NS6detail17trampoline_kernelINS0_13select_configILj256ELj13ELNS0_17block_load_methodE3ELS4_3ELS4_3ELNS0_20block_scan_algorithmE0ELj4294967295EEENS1_25partition_config_selectorILNS1_17partition_subalgoE4EjNS0_10empty_typeEbEEZZNS1_14partition_implILS8_4ELb0ES6_15HIP_vector_typeIjLj2EENS0_17counting_iteratorIjlEEPS9_SG_NS0_5tupleIJPjSI_NS0_16reverse_iteratorISI_EEEEENSH_IJSG_SG_SG_EEES9_SI_JZNS1_25segmented_radix_sort_implINS0_14default_configELb1EPKbPbPKlPlN2at6native12_GLOBAL__N_18offset_tEEE10hipError_tPvRmT1_PNSt15iterator_traitsIS12_E10value_typeET2_T3_PNS13_IS18_E10value_typeET4_jRbjT5_S1E_jjP12ihipStream_tbEUljE_ZNSN_ISO_Lb1ESQ_SR_ST_SU_SY_EESZ_S10_S11_S12_S16_S17_S18_S1B_S1C_jS1D_jS1E_S1E_jjS1G_bEUljE0_EEESZ_S10_S11_S18_S1C_S1E_T6_T7_T9_mT8_S1G_bDpT10_ENKUlT_T0_E_clISt17integral_constantIbLb1EES1U_EEDaS1P_S1Q_EUlS1P_E_NS1_11comp_targetILNS1_3genE0ELNS1_11target_archE4294967295ELNS1_3gpuE0ELNS1_3repE0EEENS1_30default_config_static_selectorELNS0_4arch9wavefront6targetE1EEEvS12_.numbered_sgpr, 0
	.set _ZN7rocprim17ROCPRIM_400000_NS6detail17trampoline_kernelINS0_13select_configILj256ELj13ELNS0_17block_load_methodE3ELS4_3ELS4_3ELNS0_20block_scan_algorithmE0ELj4294967295EEENS1_25partition_config_selectorILNS1_17partition_subalgoE4EjNS0_10empty_typeEbEEZZNS1_14partition_implILS8_4ELb0ES6_15HIP_vector_typeIjLj2EENS0_17counting_iteratorIjlEEPS9_SG_NS0_5tupleIJPjSI_NS0_16reverse_iteratorISI_EEEEENSH_IJSG_SG_SG_EEES9_SI_JZNS1_25segmented_radix_sort_implINS0_14default_configELb1EPKbPbPKlPlN2at6native12_GLOBAL__N_18offset_tEEE10hipError_tPvRmT1_PNSt15iterator_traitsIS12_E10value_typeET2_T3_PNS13_IS18_E10value_typeET4_jRbjT5_S1E_jjP12ihipStream_tbEUljE_ZNSN_ISO_Lb1ESQ_SR_ST_SU_SY_EESZ_S10_S11_S12_S16_S17_S18_S1B_S1C_jS1D_jS1E_S1E_jjS1G_bEUljE0_EEESZ_S10_S11_S18_S1C_S1E_T6_T7_T9_mT8_S1G_bDpT10_ENKUlT_T0_E_clISt17integral_constantIbLb1EES1U_EEDaS1P_S1Q_EUlS1P_E_NS1_11comp_targetILNS1_3genE0ELNS1_11target_archE4294967295ELNS1_3gpuE0ELNS1_3repE0EEENS1_30default_config_static_selectorELNS0_4arch9wavefront6targetE1EEEvS12_.num_named_barrier, 0
	.set _ZN7rocprim17ROCPRIM_400000_NS6detail17trampoline_kernelINS0_13select_configILj256ELj13ELNS0_17block_load_methodE3ELS4_3ELS4_3ELNS0_20block_scan_algorithmE0ELj4294967295EEENS1_25partition_config_selectorILNS1_17partition_subalgoE4EjNS0_10empty_typeEbEEZZNS1_14partition_implILS8_4ELb0ES6_15HIP_vector_typeIjLj2EENS0_17counting_iteratorIjlEEPS9_SG_NS0_5tupleIJPjSI_NS0_16reverse_iteratorISI_EEEEENSH_IJSG_SG_SG_EEES9_SI_JZNS1_25segmented_radix_sort_implINS0_14default_configELb1EPKbPbPKlPlN2at6native12_GLOBAL__N_18offset_tEEE10hipError_tPvRmT1_PNSt15iterator_traitsIS12_E10value_typeET2_T3_PNS13_IS18_E10value_typeET4_jRbjT5_S1E_jjP12ihipStream_tbEUljE_ZNSN_ISO_Lb1ESQ_SR_ST_SU_SY_EESZ_S10_S11_S12_S16_S17_S18_S1B_S1C_jS1D_jS1E_S1E_jjS1G_bEUljE0_EEESZ_S10_S11_S18_S1C_S1E_T6_T7_T9_mT8_S1G_bDpT10_ENKUlT_T0_E_clISt17integral_constantIbLb1EES1U_EEDaS1P_S1Q_EUlS1P_E_NS1_11comp_targetILNS1_3genE0ELNS1_11target_archE4294967295ELNS1_3gpuE0ELNS1_3repE0EEENS1_30default_config_static_selectorELNS0_4arch9wavefront6targetE1EEEvS12_.private_seg_size, 0
	.set _ZN7rocprim17ROCPRIM_400000_NS6detail17trampoline_kernelINS0_13select_configILj256ELj13ELNS0_17block_load_methodE3ELS4_3ELS4_3ELNS0_20block_scan_algorithmE0ELj4294967295EEENS1_25partition_config_selectorILNS1_17partition_subalgoE4EjNS0_10empty_typeEbEEZZNS1_14partition_implILS8_4ELb0ES6_15HIP_vector_typeIjLj2EENS0_17counting_iteratorIjlEEPS9_SG_NS0_5tupleIJPjSI_NS0_16reverse_iteratorISI_EEEEENSH_IJSG_SG_SG_EEES9_SI_JZNS1_25segmented_radix_sort_implINS0_14default_configELb1EPKbPbPKlPlN2at6native12_GLOBAL__N_18offset_tEEE10hipError_tPvRmT1_PNSt15iterator_traitsIS12_E10value_typeET2_T3_PNS13_IS18_E10value_typeET4_jRbjT5_S1E_jjP12ihipStream_tbEUljE_ZNSN_ISO_Lb1ESQ_SR_ST_SU_SY_EESZ_S10_S11_S12_S16_S17_S18_S1B_S1C_jS1D_jS1E_S1E_jjS1G_bEUljE0_EEESZ_S10_S11_S18_S1C_S1E_T6_T7_T9_mT8_S1G_bDpT10_ENKUlT_T0_E_clISt17integral_constantIbLb1EES1U_EEDaS1P_S1Q_EUlS1P_E_NS1_11comp_targetILNS1_3genE0ELNS1_11target_archE4294967295ELNS1_3gpuE0ELNS1_3repE0EEENS1_30default_config_static_selectorELNS0_4arch9wavefront6targetE1EEEvS12_.uses_vcc, 0
	.set _ZN7rocprim17ROCPRIM_400000_NS6detail17trampoline_kernelINS0_13select_configILj256ELj13ELNS0_17block_load_methodE3ELS4_3ELS4_3ELNS0_20block_scan_algorithmE0ELj4294967295EEENS1_25partition_config_selectorILNS1_17partition_subalgoE4EjNS0_10empty_typeEbEEZZNS1_14partition_implILS8_4ELb0ES6_15HIP_vector_typeIjLj2EENS0_17counting_iteratorIjlEEPS9_SG_NS0_5tupleIJPjSI_NS0_16reverse_iteratorISI_EEEEENSH_IJSG_SG_SG_EEES9_SI_JZNS1_25segmented_radix_sort_implINS0_14default_configELb1EPKbPbPKlPlN2at6native12_GLOBAL__N_18offset_tEEE10hipError_tPvRmT1_PNSt15iterator_traitsIS12_E10value_typeET2_T3_PNS13_IS18_E10value_typeET4_jRbjT5_S1E_jjP12ihipStream_tbEUljE_ZNSN_ISO_Lb1ESQ_SR_ST_SU_SY_EESZ_S10_S11_S12_S16_S17_S18_S1B_S1C_jS1D_jS1E_S1E_jjS1G_bEUljE0_EEESZ_S10_S11_S18_S1C_S1E_T6_T7_T9_mT8_S1G_bDpT10_ENKUlT_T0_E_clISt17integral_constantIbLb1EES1U_EEDaS1P_S1Q_EUlS1P_E_NS1_11comp_targetILNS1_3genE0ELNS1_11target_archE4294967295ELNS1_3gpuE0ELNS1_3repE0EEENS1_30default_config_static_selectorELNS0_4arch9wavefront6targetE1EEEvS12_.uses_flat_scratch, 0
	.set _ZN7rocprim17ROCPRIM_400000_NS6detail17trampoline_kernelINS0_13select_configILj256ELj13ELNS0_17block_load_methodE3ELS4_3ELS4_3ELNS0_20block_scan_algorithmE0ELj4294967295EEENS1_25partition_config_selectorILNS1_17partition_subalgoE4EjNS0_10empty_typeEbEEZZNS1_14partition_implILS8_4ELb0ES6_15HIP_vector_typeIjLj2EENS0_17counting_iteratorIjlEEPS9_SG_NS0_5tupleIJPjSI_NS0_16reverse_iteratorISI_EEEEENSH_IJSG_SG_SG_EEES9_SI_JZNS1_25segmented_radix_sort_implINS0_14default_configELb1EPKbPbPKlPlN2at6native12_GLOBAL__N_18offset_tEEE10hipError_tPvRmT1_PNSt15iterator_traitsIS12_E10value_typeET2_T3_PNS13_IS18_E10value_typeET4_jRbjT5_S1E_jjP12ihipStream_tbEUljE_ZNSN_ISO_Lb1ESQ_SR_ST_SU_SY_EESZ_S10_S11_S12_S16_S17_S18_S1B_S1C_jS1D_jS1E_S1E_jjS1G_bEUljE0_EEESZ_S10_S11_S18_S1C_S1E_T6_T7_T9_mT8_S1G_bDpT10_ENKUlT_T0_E_clISt17integral_constantIbLb1EES1U_EEDaS1P_S1Q_EUlS1P_E_NS1_11comp_targetILNS1_3genE0ELNS1_11target_archE4294967295ELNS1_3gpuE0ELNS1_3repE0EEENS1_30default_config_static_selectorELNS0_4arch9wavefront6targetE1EEEvS12_.has_dyn_sized_stack, 0
	.set _ZN7rocprim17ROCPRIM_400000_NS6detail17trampoline_kernelINS0_13select_configILj256ELj13ELNS0_17block_load_methodE3ELS4_3ELS4_3ELNS0_20block_scan_algorithmE0ELj4294967295EEENS1_25partition_config_selectorILNS1_17partition_subalgoE4EjNS0_10empty_typeEbEEZZNS1_14partition_implILS8_4ELb0ES6_15HIP_vector_typeIjLj2EENS0_17counting_iteratorIjlEEPS9_SG_NS0_5tupleIJPjSI_NS0_16reverse_iteratorISI_EEEEENSH_IJSG_SG_SG_EEES9_SI_JZNS1_25segmented_radix_sort_implINS0_14default_configELb1EPKbPbPKlPlN2at6native12_GLOBAL__N_18offset_tEEE10hipError_tPvRmT1_PNSt15iterator_traitsIS12_E10value_typeET2_T3_PNS13_IS18_E10value_typeET4_jRbjT5_S1E_jjP12ihipStream_tbEUljE_ZNSN_ISO_Lb1ESQ_SR_ST_SU_SY_EESZ_S10_S11_S12_S16_S17_S18_S1B_S1C_jS1D_jS1E_S1E_jjS1G_bEUljE0_EEESZ_S10_S11_S18_S1C_S1E_T6_T7_T9_mT8_S1G_bDpT10_ENKUlT_T0_E_clISt17integral_constantIbLb1EES1U_EEDaS1P_S1Q_EUlS1P_E_NS1_11comp_targetILNS1_3genE0ELNS1_11target_archE4294967295ELNS1_3gpuE0ELNS1_3repE0EEENS1_30default_config_static_selectorELNS0_4arch9wavefront6targetE1EEEvS12_.has_recursion, 0
	.set _ZN7rocprim17ROCPRIM_400000_NS6detail17trampoline_kernelINS0_13select_configILj256ELj13ELNS0_17block_load_methodE3ELS4_3ELS4_3ELNS0_20block_scan_algorithmE0ELj4294967295EEENS1_25partition_config_selectorILNS1_17partition_subalgoE4EjNS0_10empty_typeEbEEZZNS1_14partition_implILS8_4ELb0ES6_15HIP_vector_typeIjLj2EENS0_17counting_iteratorIjlEEPS9_SG_NS0_5tupleIJPjSI_NS0_16reverse_iteratorISI_EEEEENSH_IJSG_SG_SG_EEES9_SI_JZNS1_25segmented_radix_sort_implINS0_14default_configELb1EPKbPbPKlPlN2at6native12_GLOBAL__N_18offset_tEEE10hipError_tPvRmT1_PNSt15iterator_traitsIS12_E10value_typeET2_T3_PNS13_IS18_E10value_typeET4_jRbjT5_S1E_jjP12ihipStream_tbEUljE_ZNSN_ISO_Lb1ESQ_SR_ST_SU_SY_EESZ_S10_S11_S12_S16_S17_S18_S1B_S1C_jS1D_jS1E_S1E_jjS1G_bEUljE0_EEESZ_S10_S11_S18_S1C_S1E_T6_T7_T9_mT8_S1G_bDpT10_ENKUlT_T0_E_clISt17integral_constantIbLb1EES1U_EEDaS1P_S1Q_EUlS1P_E_NS1_11comp_targetILNS1_3genE0ELNS1_11target_archE4294967295ELNS1_3gpuE0ELNS1_3repE0EEENS1_30default_config_static_selectorELNS0_4arch9wavefront6targetE1EEEvS12_.has_indirect_call, 0
	.section	.AMDGPU.csdata,"",@progbits
; Kernel info:
; codeLenInByte = 0
; TotalNumSgprs: 4
; NumVgprs: 0
; ScratchSize: 0
; MemoryBound: 0
; FloatMode: 240
; IeeeMode: 1
; LDSByteSize: 0 bytes/workgroup (compile time only)
; SGPRBlocks: 0
; VGPRBlocks: 0
; NumSGPRsForWavesPerEU: 4
; NumVGPRsForWavesPerEU: 1
; Occupancy: 10
; WaveLimiterHint : 0
; COMPUTE_PGM_RSRC2:SCRATCH_EN: 0
; COMPUTE_PGM_RSRC2:USER_SGPR: 6
; COMPUTE_PGM_RSRC2:TRAP_HANDLER: 0
; COMPUTE_PGM_RSRC2:TGID_X_EN: 1
; COMPUTE_PGM_RSRC2:TGID_Y_EN: 0
; COMPUTE_PGM_RSRC2:TGID_Z_EN: 0
; COMPUTE_PGM_RSRC2:TIDIG_COMP_CNT: 0
	.section	.text._ZN7rocprim17ROCPRIM_400000_NS6detail17trampoline_kernelINS0_13select_configILj256ELj13ELNS0_17block_load_methodE3ELS4_3ELS4_3ELNS0_20block_scan_algorithmE0ELj4294967295EEENS1_25partition_config_selectorILNS1_17partition_subalgoE4EjNS0_10empty_typeEbEEZZNS1_14partition_implILS8_4ELb0ES6_15HIP_vector_typeIjLj2EENS0_17counting_iteratorIjlEEPS9_SG_NS0_5tupleIJPjSI_NS0_16reverse_iteratorISI_EEEEENSH_IJSG_SG_SG_EEES9_SI_JZNS1_25segmented_radix_sort_implINS0_14default_configELb1EPKbPbPKlPlN2at6native12_GLOBAL__N_18offset_tEEE10hipError_tPvRmT1_PNSt15iterator_traitsIS12_E10value_typeET2_T3_PNS13_IS18_E10value_typeET4_jRbjT5_S1E_jjP12ihipStream_tbEUljE_ZNSN_ISO_Lb1ESQ_SR_ST_SU_SY_EESZ_S10_S11_S12_S16_S17_S18_S1B_S1C_jS1D_jS1E_S1E_jjS1G_bEUljE0_EEESZ_S10_S11_S18_S1C_S1E_T6_T7_T9_mT8_S1G_bDpT10_ENKUlT_T0_E_clISt17integral_constantIbLb1EES1U_EEDaS1P_S1Q_EUlS1P_E_NS1_11comp_targetILNS1_3genE5ELNS1_11target_archE942ELNS1_3gpuE9ELNS1_3repE0EEENS1_30default_config_static_selectorELNS0_4arch9wavefront6targetE1EEEvS12_,"axG",@progbits,_ZN7rocprim17ROCPRIM_400000_NS6detail17trampoline_kernelINS0_13select_configILj256ELj13ELNS0_17block_load_methodE3ELS4_3ELS4_3ELNS0_20block_scan_algorithmE0ELj4294967295EEENS1_25partition_config_selectorILNS1_17partition_subalgoE4EjNS0_10empty_typeEbEEZZNS1_14partition_implILS8_4ELb0ES6_15HIP_vector_typeIjLj2EENS0_17counting_iteratorIjlEEPS9_SG_NS0_5tupleIJPjSI_NS0_16reverse_iteratorISI_EEEEENSH_IJSG_SG_SG_EEES9_SI_JZNS1_25segmented_radix_sort_implINS0_14default_configELb1EPKbPbPKlPlN2at6native12_GLOBAL__N_18offset_tEEE10hipError_tPvRmT1_PNSt15iterator_traitsIS12_E10value_typeET2_T3_PNS13_IS18_E10value_typeET4_jRbjT5_S1E_jjP12ihipStream_tbEUljE_ZNSN_ISO_Lb1ESQ_SR_ST_SU_SY_EESZ_S10_S11_S12_S16_S17_S18_S1B_S1C_jS1D_jS1E_S1E_jjS1G_bEUljE0_EEESZ_S10_S11_S18_S1C_S1E_T6_T7_T9_mT8_S1G_bDpT10_ENKUlT_T0_E_clISt17integral_constantIbLb1EES1U_EEDaS1P_S1Q_EUlS1P_E_NS1_11comp_targetILNS1_3genE5ELNS1_11target_archE942ELNS1_3gpuE9ELNS1_3repE0EEENS1_30default_config_static_selectorELNS0_4arch9wavefront6targetE1EEEvS12_,comdat
	.globl	_ZN7rocprim17ROCPRIM_400000_NS6detail17trampoline_kernelINS0_13select_configILj256ELj13ELNS0_17block_load_methodE3ELS4_3ELS4_3ELNS0_20block_scan_algorithmE0ELj4294967295EEENS1_25partition_config_selectorILNS1_17partition_subalgoE4EjNS0_10empty_typeEbEEZZNS1_14partition_implILS8_4ELb0ES6_15HIP_vector_typeIjLj2EENS0_17counting_iteratorIjlEEPS9_SG_NS0_5tupleIJPjSI_NS0_16reverse_iteratorISI_EEEEENSH_IJSG_SG_SG_EEES9_SI_JZNS1_25segmented_radix_sort_implINS0_14default_configELb1EPKbPbPKlPlN2at6native12_GLOBAL__N_18offset_tEEE10hipError_tPvRmT1_PNSt15iterator_traitsIS12_E10value_typeET2_T3_PNS13_IS18_E10value_typeET4_jRbjT5_S1E_jjP12ihipStream_tbEUljE_ZNSN_ISO_Lb1ESQ_SR_ST_SU_SY_EESZ_S10_S11_S12_S16_S17_S18_S1B_S1C_jS1D_jS1E_S1E_jjS1G_bEUljE0_EEESZ_S10_S11_S18_S1C_S1E_T6_T7_T9_mT8_S1G_bDpT10_ENKUlT_T0_E_clISt17integral_constantIbLb1EES1U_EEDaS1P_S1Q_EUlS1P_E_NS1_11comp_targetILNS1_3genE5ELNS1_11target_archE942ELNS1_3gpuE9ELNS1_3repE0EEENS1_30default_config_static_selectorELNS0_4arch9wavefront6targetE1EEEvS12_ ; -- Begin function _ZN7rocprim17ROCPRIM_400000_NS6detail17trampoline_kernelINS0_13select_configILj256ELj13ELNS0_17block_load_methodE3ELS4_3ELS4_3ELNS0_20block_scan_algorithmE0ELj4294967295EEENS1_25partition_config_selectorILNS1_17partition_subalgoE4EjNS0_10empty_typeEbEEZZNS1_14partition_implILS8_4ELb0ES6_15HIP_vector_typeIjLj2EENS0_17counting_iteratorIjlEEPS9_SG_NS0_5tupleIJPjSI_NS0_16reverse_iteratorISI_EEEEENSH_IJSG_SG_SG_EEES9_SI_JZNS1_25segmented_radix_sort_implINS0_14default_configELb1EPKbPbPKlPlN2at6native12_GLOBAL__N_18offset_tEEE10hipError_tPvRmT1_PNSt15iterator_traitsIS12_E10value_typeET2_T3_PNS13_IS18_E10value_typeET4_jRbjT5_S1E_jjP12ihipStream_tbEUljE_ZNSN_ISO_Lb1ESQ_SR_ST_SU_SY_EESZ_S10_S11_S12_S16_S17_S18_S1B_S1C_jS1D_jS1E_S1E_jjS1G_bEUljE0_EEESZ_S10_S11_S18_S1C_S1E_T6_T7_T9_mT8_S1G_bDpT10_ENKUlT_T0_E_clISt17integral_constantIbLb1EES1U_EEDaS1P_S1Q_EUlS1P_E_NS1_11comp_targetILNS1_3genE5ELNS1_11target_archE942ELNS1_3gpuE9ELNS1_3repE0EEENS1_30default_config_static_selectorELNS0_4arch9wavefront6targetE1EEEvS12_
	.p2align	8
	.type	_ZN7rocprim17ROCPRIM_400000_NS6detail17trampoline_kernelINS0_13select_configILj256ELj13ELNS0_17block_load_methodE3ELS4_3ELS4_3ELNS0_20block_scan_algorithmE0ELj4294967295EEENS1_25partition_config_selectorILNS1_17partition_subalgoE4EjNS0_10empty_typeEbEEZZNS1_14partition_implILS8_4ELb0ES6_15HIP_vector_typeIjLj2EENS0_17counting_iteratorIjlEEPS9_SG_NS0_5tupleIJPjSI_NS0_16reverse_iteratorISI_EEEEENSH_IJSG_SG_SG_EEES9_SI_JZNS1_25segmented_radix_sort_implINS0_14default_configELb1EPKbPbPKlPlN2at6native12_GLOBAL__N_18offset_tEEE10hipError_tPvRmT1_PNSt15iterator_traitsIS12_E10value_typeET2_T3_PNS13_IS18_E10value_typeET4_jRbjT5_S1E_jjP12ihipStream_tbEUljE_ZNSN_ISO_Lb1ESQ_SR_ST_SU_SY_EESZ_S10_S11_S12_S16_S17_S18_S1B_S1C_jS1D_jS1E_S1E_jjS1G_bEUljE0_EEESZ_S10_S11_S18_S1C_S1E_T6_T7_T9_mT8_S1G_bDpT10_ENKUlT_T0_E_clISt17integral_constantIbLb1EES1U_EEDaS1P_S1Q_EUlS1P_E_NS1_11comp_targetILNS1_3genE5ELNS1_11target_archE942ELNS1_3gpuE9ELNS1_3repE0EEENS1_30default_config_static_selectorELNS0_4arch9wavefront6targetE1EEEvS12_,@function
_ZN7rocprim17ROCPRIM_400000_NS6detail17trampoline_kernelINS0_13select_configILj256ELj13ELNS0_17block_load_methodE3ELS4_3ELS4_3ELNS0_20block_scan_algorithmE0ELj4294967295EEENS1_25partition_config_selectorILNS1_17partition_subalgoE4EjNS0_10empty_typeEbEEZZNS1_14partition_implILS8_4ELb0ES6_15HIP_vector_typeIjLj2EENS0_17counting_iteratorIjlEEPS9_SG_NS0_5tupleIJPjSI_NS0_16reverse_iteratorISI_EEEEENSH_IJSG_SG_SG_EEES9_SI_JZNS1_25segmented_radix_sort_implINS0_14default_configELb1EPKbPbPKlPlN2at6native12_GLOBAL__N_18offset_tEEE10hipError_tPvRmT1_PNSt15iterator_traitsIS12_E10value_typeET2_T3_PNS13_IS18_E10value_typeET4_jRbjT5_S1E_jjP12ihipStream_tbEUljE_ZNSN_ISO_Lb1ESQ_SR_ST_SU_SY_EESZ_S10_S11_S12_S16_S17_S18_S1B_S1C_jS1D_jS1E_S1E_jjS1G_bEUljE0_EEESZ_S10_S11_S18_S1C_S1E_T6_T7_T9_mT8_S1G_bDpT10_ENKUlT_T0_E_clISt17integral_constantIbLb1EES1U_EEDaS1P_S1Q_EUlS1P_E_NS1_11comp_targetILNS1_3genE5ELNS1_11target_archE942ELNS1_3gpuE9ELNS1_3repE0EEENS1_30default_config_static_selectorELNS0_4arch9wavefront6targetE1EEEvS12_: ; @_ZN7rocprim17ROCPRIM_400000_NS6detail17trampoline_kernelINS0_13select_configILj256ELj13ELNS0_17block_load_methodE3ELS4_3ELS4_3ELNS0_20block_scan_algorithmE0ELj4294967295EEENS1_25partition_config_selectorILNS1_17partition_subalgoE4EjNS0_10empty_typeEbEEZZNS1_14partition_implILS8_4ELb0ES6_15HIP_vector_typeIjLj2EENS0_17counting_iteratorIjlEEPS9_SG_NS0_5tupleIJPjSI_NS0_16reverse_iteratorISI_EEEEENSH_IJSG_SG_SG_EEES9_SI_JZNS1_25segmented_radix_sort_implINS0_14default_configELb1EPKbPbPKlPlN2at6native12_GLOBAL__N_18offset_tEEE10hipError_tPvRmT1_PNSt15iterator_traitsIS12_E10value_typeET2_T3_PNS13_IS18_E10value_typeET4_jRbjT5_S1E_jjP12ihipStream_tbEUljE_ZNSN_ISO_Lb1ESQ_SR_ST_SU_SY_EESZ_S10_S11_S12_S16_S17_S18_S1B_S1C_jS1D_jS1E_S1E_jjS1G_bEUljE0_EEESZ_S10_S11_S18_S1C_S1E_T6_T7_T9_mT8_S1G_bDpT10_ENKUlT_T0_E_clISt17integral_constantIbLb1EES1U_EEDaS1P_S1Q_EUlS1P_E_NS1_11comp_targetILNS1_3genE5ELNS1_11target_archE942ELNS1_3gpuE9ELNS1_3repE0EEENS1_30default_config_static_selectorELNS0_4arch9wavefront6targetE1EEEvS12_
; %bb.0:
	.section	.rodata,"a",@progbits
	.p2align	6, 0x0
	.amdhsa_kernel _ZN7rocprim17ROCPRIM_400000_NS6detail17trampoline_kernelINS0_13select_configILj256ELj13ELNS0_17block_load_methodE3ELS4_3ELS4_3ELNS0_20block_scan_algorithmE0ELj4294967295EEENS1_25partition_config_selectorILNS1_17partition_subalgoE4EjNS0_10empty_typeEbEEZZNS1_14partition_implILS8_4ELb0ES6_15HIP_vector_typeIjLj2EENS0_17counting_iteratorIjlEEPS9_SG_NS0_5tupleIJPjSI_NS0_16reverse_iteratorISI_EEEEENSH_IJSG_SG_SG_EEES9_SI_JZNS1_25segmented_radix_sort_implINS0_14default_configELb1EPKbPbPKlPlN2at6native12_GLOBAL__N_18offset_tEEE10hipError_tPvRmT1_PNSt15iterator_traitsIS12_E10value_typeET2_T3_PNS13_IS18_E10value_typeET4_jRbjT5_S1E_jjP12ihipStream_tbEUljE_ZNSN_ISO_Lb1ESQ_SR_ST_SU_SY_EESZ_S10_S11_S12_S16_S17_S18_S1B_S1C_jS1D_jS1E_S1E_jjS1G_bEUljE0_EEESZ_S10_S11_S18_S1C_S1E_T6_T7_T9_mT8_S1G_bDpT10_ENKUlT_T0_E_clISt17integral_constantIbLb1EES1U_EEDaS1P_S1Q_EUlS1P_E_NS1_11comp_targetILNS1_3genE5ELNS1_11target_archE942ELNS1_3gpuE9ELNS1_3repE0EEENS1_30default_config_static_selectorELNS0_4arch9wavefront6targetE1EEEvS12_
		.amdhsa_group_segment_fixed_size 0
		.amdhsa_private_segment_fixed_size 0
		.amdhsa_kernarg_size 184
		.amdhsa_user_sgpr_count 6
		.amdhsa_user_sgpr_private_segment_buffer 1
		.amdhsa_user_sgpr_dispatch_ptr 0
		.amdhsa_user_sgpr_queue_ptr 0
		.amdhsa_user_sgpr_kernarg_segment_ptr 1
		.amdhsa_user_sgpr_dispatch_id 0
		.amdhsa_user_sgpr_flat_scratch_init 0
		.amdhsa_user_sgpr_private_segment_size 0
		.amdhsa_uses_dynamic_stack 0
		.amdhsa_system_sgpr_private_segment_wavefront_offset 0
		.amdhsa_system_sgpr_workgroup_id_x 1
		.amdhsa_system_sgpr_workgroup_id_y 0
		.amdhsa_system_sgpr_workgroup_id_z 0
		.amdhsa_system_sgpr_workgroup_info 0
		.amdhsa_system_vgpr_workitem_id 0
		.amdhsa_next_free_vgpr 1
		.amdhsa_next_free_sgpr 0
		.amdhsa_reserve_vcc 0
		.amdhsa_reserve_flat_scratch 0
		.amdhsa_float_round_mode_32 0
		.amdhsa_float_round_mode_16_64 0
		.amdhsa_float_denorm_mode_32 3
		.amdhsa_float_denorm_mode_16_64 3
		.amdhsa_dx10_clamp 1
		.amdhsa_ieee_mode 1
		.amdhsa_fp16_overflow 0
		.amdhsa_exception_fp_ieee_invalid_op 0
		.amdhsa_exception_fp_denorm_src 0
		.amdhsa_exception_fp_ieee_div_zero 0
		.amdhsa_exception_fp_ieee_overflow 0
		.amdhsa_exception_fp_ieee_underflow 0
		.amdhsa_exception_fp_ieee_inexact 0
		.amdhsa_exception_int_div_zero 0
	.end_amdhsa_kernel
	.section	.text._ZN7rocprim17ROCPRIM_400000_NS6detail17trampoline_kernelINS0_13select_configILj256ELj13ELNS0_17block_load_methodE3ELS4_3ELS4_3ELNS0_20block_scan_algorithmE0ELj4294967295EEENS1_25partition_config_selectorILNS1_17partition_subalgoE4EjNS0_10empty_typeEbEEZZNS1_14partition_implILS8_4ELb0ES6_15HIP_vector_typeIjLj2EENS0_17counting_iteratorIjlEEPS9_SG_NS0_5tupleIJPjSI_NS0_16reverse_iteratorISI_EEEEENSH_IJSG_SG_SG_EEES9_SI_JZNS1_25segmented_radix_sort_implINS0_14default_configELb1EPKbPbPKlPlN2at6native12_GLOBAL__N_18offset_tEEE10hipError_tPvRmT1_PNSt15iterator_traitsIS12_E10value_typeET2_T3_PNS13_IS18_E10value_typeET4_jRbjT5_S1E_jjP12ihipStream_tbEUljE_ZNSN_ISO_Lb1ESQ_SR_ST_SU_SY_EESZ_S10_S11_S12_S16_S17_S18_S1B_S1C_jS1D_jS1E_S1E_jjS1G_bEUljE0_EEESZ_S10_S11_S18_S1C_S1E_T6_T7_T9_mT8_S1G_bDpT10_ENKUlT_T0_E_clISt17integral_constantIbLb1EES1U_EEDaS1P_S1Q_EUlS1P_E_NS1_11comp_targetILNS1_3genE5ELNS1_11target_archE942ELNS1_3gpuE9ELNS1_3repE0EEENS1_30default_config_static_selectorELNS0_4arch9wavefront6targetE1EEEvS12_,"axG",@progbits,_ZN7rocprim17ROCPRIM_400000_NS6detail17trampoline_kernelINS0_13select_configILj256ELj13ELNS0_17block_load_methodE3ELS4_3ELS4_3ELNS0_20block_scan_algorithmE0ELj4294967295EEENS1_25partition_config_selectorILNS1_17partition_subalgoE4EjNS0_10empty_typeEbEEZZNS1_14partition_implILS8_4ELb0ES6_15HIP_vector_typeIjLj2EENS0_17counting_iteratorIjlEEPS9_SG_NS0_5tupleIJPjSI_NS0_16reverse_iteratorISI_EEEEENSH_IJSG_SG_SG_EEES9_SI_JZNS1_25segmented_radix_sort_implINS0_14default_configELb1EPKbPbPKlPlN2at6native12_GLOBAL__N_18offset_tEEE10hipError_tPvRmT1_PNSt15iterator_traitsIS12_E10value_typeET2_T3_PNS13_IS18_E10value_typeET4_jRbjT5_S1E_jjP12ihipStream_tbEUljE_ZNSN_ISO_Lb1ESQ_SR_ST_SU_SY_EESZ_S10_S11_S12_S16_S17_S18_S1B_S1C_jS1D_jS1E_S1E_jjS1G_bEUljE0_EEESZ_S10_S11_S18_S1C_S1E_T6_T7_T9_mT8_S1G_bDpT10_ENKUlT_T0_E_clISt17integral_constantIbLb1EES1U_EEDaS1P_S1Q_EUlS1P_E_NS1_11comp_targetILNS1_3genE5ELNS1_11target_archE942ELNS1_3gpuE9ELNS1_3repE0EEENS1_30default_config_static_selectorELNS0_4arch9wavefront6targetE1EEEvS12_,comdat
.Lfunc_end1477:
	.size	_ZN7rocprim17ROCPRIM_400000_NS6detail17trampoline_kernelINS0_13select_configILj256ELj13ELNS0_17block_load_methodE3ELS4_3ELS4_3ELNS0_20block_scan_algorithmE0ELj4294967295EEENS1_25partition_config_selectorILNS1_17partition_subalgoE4EjNS0_10empty_typeEbEEZZNS1_14partition_implILS8_4ELb0ES6_15HIP_vector_typeIjLj2EENS0_17counting_iteratorIjlEEPS9_SG_NS0_5tupleIJPjSI_NS0_16reverse_iteratorISI_EEEEENSH_IJSG_SG_SG_EEES9_SI_JZNS1_25segmented_radix_sort_implINS0_14default_configELb1EPKbPbPKlPlN2at6native12_GLOBAL__N_18offset_tEEE10hipError_tPvRmT1_PNSt15iterator_traitsIS12_E10value_typeET2_T3_PNS13_IS18_E10value_typeET4_jRbjT5_S1E_jjP12ihipStream_tbEUljE_ZNSN_ISO_Lb1ESQ_SR_ST_SU_SY_EESZ_S10_S11_S12_S16_S17_S18_S1B_S1C_jS1D_jS1E_S1E_jjS1G_bEUljE0_EEESZ_S10_S11_S18_S1C_S1E_T6_T7_T9_mT8_S1G_bDpT10_ENKUlT_T0_E_clISt17integral_constantIbLb1EES1U_EEDaS1P_S1Q_EUlS1P_E_NS1_11comp_targetILNS1_3genE5ELNS1_11target_archE942ELNS1_3gpuE9ELNS1_3repE0EEENS1_30default_config_static_selectorELNS0_4arch9wavefront6targetE1EEEvS12_, .Lfunc_end1477-_ZN7rocprim17ROCPRIM_400000_NS6detail17trampoline_kernelINS0_13select_configILj256ELj13ELNS0_17block_load_methodE3ELS4_3ELS4_3ELNS0_20block_scan_algorithmE0ELj4294967295EEENS1_25partition_config_selectorILNS1_17partition_subalgoE4EjNS0_10empty_typeEbEEZZNS1_14partition_implILS8_4ELb0ES6_15HIP_vector_typeIjLj2EENS0_17counting_iteratorIjlEEPS9_SG_NS0_5tupleIJPjSI_NS0_16reverse_iteratorISI_EEEEENSH_IJSG_SG_SG_EEES9_SI_JZNS1_25segmented_radix_sort_implINS0_14default_configELb1EPKbPbPKlPlN2at6native12_GLOBAL__N_18offset_tEEE10hipError_tPvRmT1_PNSt15iterator_traitsIS12_E10value_typeET2_T3_PNS13_IS18_E10value_typeET4_jRbjT5_S1E_jjP12ihipStream_tbEUljE_ZNSN_ISO_Lb1ESQ_SR_ST_SU_SY_EESZ_S10_S11_S12_S16_S17_S18_S1B_S1C_jS1D_jS1E_S1E_jjS1G_bEUljE0_EEESZ_S10_S11_S18_S1C_S1E_T6_T7_T9_mT8_S1G_bDpT10_ENKUlT_T0_E_clISt17integral_constantIbLb1EES1U_EEDaS1P_S1Q_EUlS1P_E_NS1_11comp_targetILNS1_3genE5ELNS1_11target_archE942ELNS1_3gpuE9ELNS1_3repE0EEENS1_30default_config_static_selectorELNS0_4arch9wavefront6targetE1EEEvS12_
                                        ; -- End function
	.set _ZN7rocprim17ROCPRIM_400000_NS6detail17trampoline_kernelINS0_13select_configILj256ELj13ELNS0_17block_load_methodE3ELS4_3ELS4_3ELNS0_20block_scan_algorithmE0ELj4294967295EEENS1_25partition_config_selectorILNS1_17partition_subalgoE4EjNS0_10empty_typeEbEEZZNS1_14partition_implILS8_4ELb0ES6_15HIP_vector_typeIjLj2EENS0_17counting_iteratorIjlEEPS9_SG_NS0_5tupleIJPjSI_NS0_16reverse_iteratorISI_EEEEENSH_IJSG_SG_SG_EEES9_SI_JZNS1_25segmented_radix_sort_implINS0_14default_configELb1EPKbPbPKlPlN2at6native12_GLOBAL__N_18offset_tEEE10hipError_tPvRmT1_PNSt15iterator_traitsIS12_E10value_typeET2_T3_PNS13_IS18_E10value_typeET4_jRbjT5_S1E_jjP12ihipStream_tbEUljE_ZNSN_ISO_Lb1ESQ_SR_ST_SU_SY_EESZ_S10_S11_S12_S16_S17_S18_S1B_S1C_jS1D_jS1E_S1E_jjS1G_bEUljE0_EEESZ_S10_S11_S18_S1C_S1E_T6_T7_T9_mT8_S1G_bDpT10_ENKUlT_T0_E_clISt17integral_constantIbLb1EES1U_EEDaS1P_S1Q_EUlS1P_E_NS1_11comp_targetILNS1_3genE5ELNS1_11target_archE942ELNS1_3gpuE9ELNS1_3repE0EEENS1_30default_config_static_selectorELNS0_4arch9wavefront6targetE1EEEvS12_.num_vgpr, 0
	.set _ZN7rocprim17ROCPRIM_400000_NS6detail17trampoline_kernelINS0_13select_configILj256ELj13ELNS0_17block_load_methodE3ELS4_3ELS4_3ELNS0_20block_scan_algorithmE0ELj4294967295EEENS1_25partition_config_selectorILNS1_17partition_subalgoE4EjNS0_10empty_typeEbEEZZNS1_14partition_implILS8_4ELb0ES6_15HIP_vector_typeIjLj2EENS0_17counting_iteratorIjlEEPS9_SG_NS0_5tupleIJPjSI_NS0_16reverse_iteratorISI_EEEEENSH_IJSG_SG_SG_EEES9_SI_JZNS1_25segmented_radix_sort_implINS0_14default_configELb1EPKbPbPKlPlN2at6native12_GLOBAL__N_18offset_tEEE10hipError_tPvRmT1_PNSt15iterator_traitsIS12_E10value_typeET2_T3_PNS13_IS18_E10value_typeET4_jRbjT5_S1E_jjP12ihipStream_tbEUljE_ZNSN_ISO_Lb1ESQ_SR_ST_SU_SY_EESZ_S10_S11_S12_S16_S17_S18_S1B_S1C_jS1D_jS1E_S1E_jjS1G_bEUljE0_EEESZ_S10_S11_S18_S1C_S1E_T6_T7_T9_mT8_S1G_bDpT10_ENKUlT_T0_E_clISt17integral_constantIbLb1EES1U_EEDaS1P_S1Q_EUlS1P_E_NS1_11comp_targetILNS1_3genE5ELNS1_11target_archE942ELNS1_3gpuE9ELNS1_3repE0EEENS1_30default_config_static_selectorELNS0_4arch9wavefront6targetE1EEEvS12_.num_agpr, 0
	.set _ZN7rocprim17ROCPRIM_400000_NS6detail17trampoline_kernelINS0_13select_configILj256ELj13ELNS0_17block_load_methodE3ELS4_3ELS4_3ELNS0_20block_scan_algorithmE0ELj4294967295EEENS1_25partition_config_selectorILNS1_17partition_subalgoE4EjNS0_10empty_typeEbEEZZNS1_14partition_implILS8_4ELb0ES6_15HIP_vector_typeIjLj2EENS0_17counting_iteratorIjlEEPS9_SG_NS0_5tupleIJPjSI_NS0_16reverse_iteratorISI_EEEEENSH_IJSG_SG_SG_EEES9_SI_JZNS1_25segmented_radix_sort_implINS0_14default_configELb1EPKbPbPKlPlN2at6native12_GLOBAL__N_18offset_tEEE10hipError_tPvRmT1_PNSt15iterator_traitsIS12_E10value_typeET2_T3_PNS13_IS18_E10value_typeET4_jRbjT5_S1E_jjP12ihipStream_tbEUljE_ZNSN_ISO_Lb1ESQ_SR_ST_SU_SY_EESZ_S10_S11_S12_S16_S17_S18_S1B_S1C_jS1D_jS1E_S1E_jjS1G_bEUljE0_EEESZ_S10_S11_S18_S1C_S1E_T6_T7_T9_mT8_S1G_bDpT10_ENKUlT_T0_E_clISt17integral_constantIbLb1EES1U_EEDaS1P_S1Q_EUlS1P_E_NS1_11comp_targetILNS1_3genE5ELNS1_11target_archE942ELNS1_3gpuE9ELNS1_3repE0EEENS1_30default_config_static_selectorELNS0_4arch9wavefront6targetE1EEEvS12_.numbered_sgpr, 0
	.set _ZN7rocprim17ROCPRIM_400000_NS6detail17trampoline_kernelINS0_13select_configILj256ELj13ELNS0_17block_load_methodE3ELS4_3ELS4_3ELNS0_20block_scan_algorithmE0ELj4294967295EEENS1_25partition_config_selectorILNS1_17partition_subalgoE4EjNS0_10empty_typeEbEEZZNS1_14partition_implILS8_4ELb0ES6_15HIP_vector_typeIjLj2EENS0_17counting_iteratorIjlEEPS9_SG_NS0_5tupleIJPjSI_NS0_16reverse_iteratorISI_EEEEENSH_IJSG_SG_SG_EEES9_SI_JZNS1_25segmented_radix_sort_implINS0_14default_configELb1EPKbPbPKlPlN2at6native12_GLOBAL__N_18offset_tEEE10hipError_tPvRmT1_PNSt15iterator_traitsIS12_E10value_typeET2_T3_PNS13_IS18_E10value_typeET4_jRbjT5_S1E_jjP12ihipStream_tbEUljE_ZNSN_ISO_Lb1ESQ_SR_ST_SU_SY_EESZ_S10_S11_S12_S16_S17_S18_S1B_S1C_jS1D_jS1E_S1E_jjS1G_bEUljE0_EEESZ_S10_S11_S18_S1C_S1E_T6_T7_T9_mT8_S1G_bDpT10_ENKUlT_T0_E_clISt17integral_constantIbLb1EES1U_EEDaS1P_S1Q_EUlS1P_E_NS1_11comp_targetILNS1_3genE5ELNS1_11target_archE942ELNS1_3gpuE9ELNS1_3repE0EEENS1_30default_config_static_selectorELNS0_4arch9wavefront6targetE1EEEvS12_.num_named_barrier, 0
	.set _ZN7rocprim17ROCPRIM_400000_NS6detail17trampoline_kernelINS0_13select_configILj256ELj13ELNS0_17block_load_methodE3ELS4_3ELS4_3ELNS0_20block_scan_algorithmE0ELj4294967295EEENS1_25partition_config_selectorILNS1_17partition_subalgoE4EjNS0_10empty_typeEbEEZZNS1_14partition_implILS8_4ELb0ES6_15HIP_vector_typeIjLj2EENS0_17counting_iteratorIjlEEPS9_SG_NS0_5tupleIJPjSI_NS0_16reverse_iteratorISI_EEEEENSH_IJSG_SG_SG_EEES9_SI_JZNS1_25segmented_radix_sort_implINS0_14default_configELb1EPKbPbPKlPlN2at6native12_GLOBAL__N_18offset_tEEE10hipError_tPvRmT1_PNSt15iterator_traitsIS12_E10value_typeET2_T3_PNS13_IS18_E10value_typeET4_jRbjT5_S1E_jjP12ihipStream_tbEUljE_ZNSN_ISO_Lb1ESQ_SR_ST_SU_SY_EESZ_S10_S11_S12_S16_S17_S18_S1B_S1C_jS1D_jS1E_S1E_jjS1G_bEUljE0_EEESZ_S10_S11_S18_S1C_S1E_T6_T7_T9_mT8_S1G_bDpT10_ENKUlT_T0_E_clISt17integral_constantIbLb1EES1U_EEDaS1P_S1Q_EUlS1P_E_NS1_11comp_targetILNS1_3genE5ELNS1_11target_archE942ELNS1_3gpuE9ELNS1_3repE0EEENS1_30default_config_static_selectorELNS0_4arch9wavefront6targetE1EEEvS12_.private_seg_size, 0
	.set _ZN7rocprim17ROCPRIM_400000_NS6detail17trampoline_kernelINS0_13select_configILj256ELj13ELNS0_17block_load_methodE3ELS4_3ELS4_3ELNS0_20block_scan_algorithmE0ELj4294967295EEENS1_25partition_config_selectorILNS1_17partition_subalgoE4EjNS0_10empty_typeEbEEZZNS1_14partition_implILS8_4ELb0ES6_15HIP_vector_typeIjLj2EENS0_17counting_iteratorIjlEEPS9_SG_NS0_5tupleIJPjSI_NS0_16reverse_iteratorISI_EEEEENSH_IJSG_SG_SG_EEES9_SI_JZNS1_25segmented_radix_sort_implINS0_14default_configELb1EPKbPbPKlPlN2at6native12_GLOBAL__N_18offset_tEEE10hipError_tPvRmT1_PNSt15iterator_traitsIS12_E10value_typeET2_T3_PNS13_IS18_E10value_typeET4_jRbjT5_S1E_jjP12ihipStream_tbEUljE_ZNSN_ISO_Lb1ESQ_SR_ST_SU_SY_EESZ_S10_S11_S12_S16_S17_S18_S1B_S1C_jS1D_jS1E_S1E_jjS1G_bEUljE0_EEESZ_S10_S11_S18_S1C_S1E_T6_T7_T9_mT8_S1G_bDpT10_ENKUlT_T0_E_clISt17integral_constantIbLb1EES1U_EEDaS1P_S1Q_EUlS1P_E_NS1_11comp_targetILNS1_3genE5ELNS1_11target_archE942ELNS1_3gpuE9ELNS1_3repE0EEENS1_30default_config_static_selectorELNS0_4arch9wavefront6targetE1EEEvS12_.uses_vcc, 0
	.set _ZN7rocprim17ROCPRIM_400000_NS6detail17trampoline_kernelINS0_13select_configILj256ELj13ELNS0_17block_load_methodE3ELS4_3ELS4_3ELNS0_20block_scan_algorithmE0ELj4294967295EEENS1_25partition_config_selectorILNS1_17partition_subalgoE4EjNS0_10empty_typeEbEEZZNS1_14partition_implILS8_4ELb0ES6_15HIP_vector_typeIjLj2EENS0_17counting_iteratorIjlEEPS9_SG_NS0_5tupleIJPjSI_NS0_16reverse_iteratorISI_EEEEENSH_IJSG_SG_SG_EEES9_SI_JZNS1_25segmented_radix_sort_implINS0_14default_configELb1EPKbPbPKlPlN2at6native12_GLOBAL__N_18offset_tEEE10hipError_tPvRmT1_PNSt15iterator_traitsIS12_E10value_typeET2_T3_PNS13_IS18_E10value_typeET4_jRbjT5_S1E_jjP12ihipStream_tbEUljE_ZNSN_ISO_Lb1ESQ_SR_ST_SU_SY_EESZ_S10_S11_S12_S16_S17_S18_S1B_S1C_jS1D_jS1E_S1E_jjS1G_bEUljE0_EEESZ_S10_S11_S18_S1C_S1E_T6_T7_T9_mT8_S1G_bDpT10_ENKUlT_T0_E_clISt17integral_constantIbLb1EES1U_EEDaS1P_S1Q_EUlS1P_E_NS1_11comp_targetILNS1_3genE5ELNS1_11target_archE942ELNS1_3gpuE9ELNS1_3repE0EEENS1_30default_config_static_selectorELNS0_4arch9wavefront6targetE1EEEvS12_.uses_flat_scratch, 0
	.set _ZN7rocprim17ROCPRIM_400000_NS6detail17trampoline_kernelINS0_13select_configILj256ELj13ELNS0_17block_load_methodE3ELS4_3ELS4_3ELNS0_20block_scan_algorithmE0ELj4294967295EEENS1_25partition_config_selectorILNS1_17partition_subalgoE4EjNS0_10empty_typeEbEEZZNS1_14partition_implILS8_4ELb0ES6_15HIP_vector_typeIjLj2EENS0_17counting_iteratorIjlEEPS9_SG_NS0_5tupleIJPjSI_NS0_16reverse_iteratorISI_EEEEENSH_IJSG_SG_SG_EEES9_SI_JZNS1_25segmented_radix_sort_implINS0_14default_configELb1EPKbPbPKlPlN2at6native12_GLOBAL__N_18offset_tEEE10hipError_tPvRmT1_PNSt15iterator_traitsIS12_E10value_typeET2_T3_PNS13_IS18_E10value_typeET4_jRbjT5_S1E_jjP12ihipStream_tbEUljE_ZNSN_ISO_Lb1ESQ_SR_ST_SU_SY_EESZ_S10_S11_S12_S16_S17_S18_S1B_S1C_jS1D_jS1E_S1E_jjS1G_bEUljE0_EEESZ_S10_S11_S18_S1C_S1E_T6_T7_T9_mT8_S1G_bDpT10_ENKUlT_T0_E_clISt17integral_constantIbLb1EES1U_EEDaS1P_S1Q_EUlS1P_E_NS1_11comp_targetILNS1_3genE5ELNS1_11target_archE942ELNS1_3gpuE9ELNS1_3repE0EEENS1_30default_config_static_selectorELNS0_4arch9wavefront6targetE1EEEvS12_.has_dyn_sized_stack, 0
	.set _ZN7rocprim17ROCPRIM_400000_NS6detail17trampoline_kernelINS0_13select_configILj256ELj13ELNS0_17block_load_methodE3ELS4_3ELS4_3ELNS0_20block_scan_algorithmE0ELj4294967295EEENS1_25partition_config_selectorILNS1_17partition_subalgoE4EjNS0_10empty_typeEbEEZZNS1_14partition_implILS8_4ELb0ES6_15HIP_vector_typeIjLj2EENS0_17counting_iteratorIjlEEPS9_SG_NS0_5tupleIJPjSI_NS0_16reverse_iteratorISI_EEEEENSH_IJSG_SG_SG_EEES9_SI_JZNS1_25segmented_radix_sort_implINS0_14default_configELb1EPKbPbPKlPlN2at6native12_GLOBAL__N_18offset_tEEE10hipError_tPvRmT1_PNSt15iterator_traitsIS12_E10value_typeET2_T3_PNS13_IS18_E10value_typeET4_jRbjT5_S1E_jjP12ihipStream_tbEUljE_ZNSN_ISO_Lb1ESQ_SR_ST_SU_SY_EESZ_S10_S11_S12_S16_S17_S18_S1B_S1C_jS1D_jS1E_S1E_jjS1G_bEUljE0_EEESZ_S10_S11_S18_S1C_S1E_T6_T7_T9_mT8_S1G_bDpT10_ENKUlT_T0_E_clISt17integral_constantIbLb1EES1U_EEDaS1P_S1Q_EUlS1P_E_NS1_11comp_targetILNS1_3genE5ELNS1_11target_archE942ELNS1_3gpuE9ELNS1_3repE0EEENS1_30default_config_static_selectorELNS0_4arch9wavefront6targetE1EEEvS12_.has_recursion, 0
	.set _ZN7rocprim17ROCPRIM_400000_NS6detail17trampoline_kernelINS0_13select_configILj256ELj13ELNS0_17block_load_methodE3ELS4_3ELS4_3ELNS0_20block_scan_algorithmE0ELj4294967295EEENS1_25partition_config_selectorILNS1_17partition_subalgoE4EjNS0_10empty_typeEbEEZZNS1_14partition_implILS8_4ELb0ES6_15HIP_vector_typeIjLj2EENS0_17counting_iteratorIjlEEPS9_SG_NS0_5tupleIJPjSI_NS0_16reverse_iteratorISI_EEEEENSH_IJSG_SG_SG_EEES9_SI_JZNS1_25segmented_radix_sort_implINS0_14default_configELb1EPKbPbPKlPlN2at6native12_GLOBAL__N_18offset_tEEE10hipError_tPvRmT1_PNSt15iterator_traitsIS12_E10value_typeET2_T3_PNS13_IS18_E10value_typeET4_jRbjT5_S1E_jjP12ihipStream_tbEUljE_ZNSN_ISO_Lb1ESQ_SR_ST_SU_SY_EESZ_S10_S11_S12_S16_S17_S18_S1B_S1C_jS1D_jS1E_S1E_jjS1G_bEUljE0_EEESZ_S10_S11_S18_S1C_S1E_T6_T7_T9_mT8_S1G_bDpT10_ENKUlT_T0_E_clISt17integral_constantIbLb1EES1U_EEDaS1P_S1Q_EUlS1P_E_NS1_11comp_targetILNS1_3genE5ELNS1_11target_archE942ELNS1_3gpuE9ELNS1_3repE0EEENS1_30default_config_static_selectorELNS0_4arch9wavefront6targetE1EEEvS12_.has_indirect_call, 0
	.section	.AMDGPU.csdata,"",@progbits
; Kernel info:
; codeLenInByte = 0
; TotalNumSgprs: 4
; NumVgprs: 0
; ScratchSize: 0
; MemoryBound: 0
; FloatMode: 240
; IeeeMode: 1
; LDSByteSize: 0 bytes/workgroup (compile time only)
; SGPRBlocks: 0
; VGPRBlocks: 0
; NumSGPRsForWavesPerEU: 4
; NumVGPRsForWavesPerEU: 1
; Occupancy: 10
; WaveLimiterHint : 0
; COMPUTE_PGM_RSRC2:SCRATCH_EN: 0
; COMPUTE_PGM_RSRC2:USER_SGPR: 6
; COMPUTE_PGM_RSRC2:TRAP_HANDLER: 0
; COMPUTE_PGM_RSRC2:TGID_X_EN: 1
; COMPUTE_PGM_RSRC2:TGID_Y_EN: 0
; COMPUTE_PGM_RSRC2:TGID_Z_EN: 0
; COMPUTE_PGM_RSRC2:TIDIG_COMP_CNT: 0
	.section	.text._ZN7rocprim17ROCPRIM_400000_NS6detail17trampoline_kernelINS0_13select_configILj256ELj13ELNS0_17block_load_methodE3ELS4_3ELS4_3ELNS0_20block_scan_algorithmE0ELj4294967295EEENS1_25partition_config_selectorILNS1_17partition_subalgoE4EjNS0_10empty_typeEbEEZZNS1_14partition_implILS8_4ELb0ES6_15HIP_vector_typeIjLj2EENS0_17counting_iteratorIjlEEPS9_SG_NS0_5tupleIJPjSI_NS0_16reverse_iteratorISI_EEEEENSH_IJSG_SG_SG_EEES9_SI_JZNS1_25segmented_radix_sort_implINS0_14default_configELb1EPKbPbPKlPlN2at6native12_GLOBAL__N_18offset_tEEE10hipError_tPvRmT1_PNSt15iterator_traitsIS12_E10value_typeET2_T3_PNS13_IS18_E10value_typeET4_jRbjT5_S1E_jjP12ihipStream_tbEUljE_ZNSN_ISO_Lb1ESQ_SR_ST_SU_SY_EESZ_S10_S11_S12_S16_S17_S18_S1B_S1C_jS1D_jS1E_S1E_jjS1G_bEUljE0_EEESZ_S10_S11_S18_S1C_S1E_T6_T7_T9_mT8_S1G_bDpT10_ENKUlT_T0_E_clISt17integral_constantIbLb1EES1U_EEDaS1P_S1Q_EUlS1P_E_NS1_11comp_targetILNS1_3genE4ELNS1_11target_archE910ELNS1_3gpuE8ELNS1_3repE0EEENS1_30default_config_static_selectorELNS0_4arch9wavefront6targetE1EEEvS12_,"axG",@progbits,_ZN7rocprim17ROCPRIM_400000_NS6detail17trampoline_kernelINS0_13select_configILj256ELj13ELNS0_17block_load_methodE3ELS4_3ELS4_3ELNS0_20block_scan_algorithmE0ELj4294967295EEENS1_25partition_config_selectorILNS1_17partition_subalgoE4EjNS0_10empty_typeEbEEZZNS1_14partition_implILS8_4ELb0ES6_15HIP_vector_typeIjLj2EENS0_17counting_iteratorIjlEEPS9_SG_NS0_5tupleIJPjSI_NS0_16reverse_iteratorISI_EEEEENSH_IJSG_SG_SG_EEES9_SI_JZNS1_25segmented_radix_sort_implINS0_14default_configELb1EPKbPbPKlPlN2at6native12_GLOBAL__N_18offset_tEEE10hipError_tPvRmT1_PNSt15iterator_traitsIS12_E10value_typeET2_T3_PNS13_IS18_E10value_typeET4_jRbjT5_S1E_jjP12ihipStream_tbEUljE_ZNSN_ISO_Lb1ESQ_SR_ST_SU_SY_EESZ_S10_S11_S12_S16_S17_S18_S1B_S1C_jS1D_jS1E_S1E_jjS1G_bEUljE0_EEESZ_S10_S11_S18_S1C_S1E_T6_T7_T9_mT8_S1G_bDpT10_ENKUlT_T0_E_clISt17integral_constantIbLb1EES1U_EEDaS1P_S1Q_EUlS1P_E_NS1_11comp_targetILNS1_3genE4ELNS1_11target_archE910ELNS1_3gpuE8ELNS1_3repE0EEENS1_30default_config_static_selectorELNS0_4arch9wavefront6targetE1EEEvS12_,comdat
	.globl	_ZN7rocprim17ROCPRIM_400000_NS6detail17trampoline_kernelINS0_13select_configILj256ELj13ELNS0_17block_load_methodE3ELS4_3ELS4_3ELNS0_20block_scan_algorithmE0ELj4294967295EEENS1_25partition_config_selectorILNS1_17partition_subalgoE4EjNS0_10empty_typeEbEEZZNS1_14partition_implILS8_4ELb0ES6_15HIP_vector_typeIjLj2EENS0_17counting_iteratorIjlEEPS9_SG_NS0_5tupleIJPjSI_NS0_16reverse_iteratorISI_EEEEENSH_IJSG_SG_SG_EEES9_SI_JZNS1_25segmented_radix_sort_implINS0_14default_configELb1EPKbPbPKlPlN2at6native12_GLOBAL__N_18offset_tEEE10hipError_tPvRmT1_PNSt15iterator_traitsIS12_E10value_typeET2_T3_PNS13_IS18_E10value_typeET4_jRbjT5_S1E_jjP12ihipStream_tbEUljE_ZNSN_ISO_Lb1ESQ_SR_ST_SU_SY_EESZ_S10_S11_S12_S16_S17_S18_S1B_S1C_jS1D_jS1E_S1E_jjS1G_bEUljE0_EEESZ_S10_S11_S18_S1C_S1E_T6_T7_T9_mT8_S1G_bDpT10_ENKUlT_T0_E_clISt17integral_constantIbLb1EES1U_EEDaS1P_S1Q_EUlS1P_E_NS1_11comp_targetILNS1_3genE4ELNS1_11target_archE910ELNS1_3gpuE8ELNS1_3repE0EEENS1_30default_config_static_selectorELNS0_4arch9wavefront6targetE1EEEvS12_ ; -- Begin function _ZN7rocprim17ROCPRIM_400000_NS6detail17trampoline_kernelINS0_13select_configILj256ELj13ELNS0_17block_load_methodE3ELS4_3ELS4_3ELNS0_20block_scan_algorithmE0ELj4294967295EEENS1_25partition_config_selectorILNS1_17partition_subalgoE4EjNS0_10empty_typeEbEEZZNS1_14partition_implILS8_4ELb0ES6_15HIP_vector_typeIjLj2EENS0_17counting_iteratorIjlEEPS9_SG_NS0_5tupleIJPjSI_NS0_16reverse_iteratorISI_EEEEENSH_IJSG_SG_SG_EEES9_SI_JZNS1_25segmented_radix_sort_implINS0_14default_configELb1EPKbPbPKlPlN2at6native12_GLOBAL__N_18offset_tEEE10hipError_tPvRmT1_PNSt15iterator_traitsIS12_E10value_typeET2_T3_PNS13_IS18_E10value_typeET4_jRbjT5_S1E_jjP12ihipStream_tbEUljE_ZNSN_ISO_Lb1ESQ_SR_ST_SU_SY_EESZ_S10_S11_S12_S16_S17_S18_S1B_S1C_jS1D_jS1E_S1E_jjS1G_bEUljE0_EEESZ_S10_S11_S18_S1C_S1E_T6_T7_T9_mT8_S1G_bDpT10_ENKUlT_T0_E_clISt17integral_constantIbLb1EES1U_EEDaS1P_S1Q_EUlS1P_E_NS1_11comp_targetILNS1_3genE4ELNS1_11target_archE910ELNS1_3gpuE8ELNS1_3repE0EEENS1_30default_config_static_selectorELNS0_4arch9wavefront6targetE1EEEvS12_
	.p2align	8
	.type	_ZN7rocprim17ROCPRIM_400000_NS6detail17trampoline_kernelINS0_13select_configILj256ELj13ELNS0_17block_load_methodE3ELS4_3ELS4_3ELNS0_20block_scan_algorithmE0ELj4294967295EEENS1_25partition_config_selectorILNS1_17partition_subalgoE4EjNS0_10empty_typeEbEEZZNS1_14partition_implILS8_4ELb0ES6_15HIP_vector_typeIjLj2EENS0_17counting_iteratorIjlEEPS9_SG_NS0_5tupleIJPjSI_NS0_16reverse_iteratorISI_EEEEENSH_IJSG_SG_SG_EEES9_SI_JZNS1_25segmented_radix_sort_implINS0_14default_configELb1EPKbPbPKlPlN2at6native12_GLOBAL__N_18offset_tEEE10hipError_tPvRmT1_PNSt15iterator_traitsIS12_E10value_typeET2_T3_PNS13_IS18_E10value_typeET4_jRbjT5_S1E_jjP12ihipStream_tbEUljE_ZNSN_ISO_Lb1ESQ_SR_ST_SU_SY_EESZ_S10_S11_S12_S16_S17_S18_S1B_S1C_jS1D_jS1E_S1E_jjS1G_bEUljE0_EEESZ_S10_S11_S18_S1C_S1E_T6_T7_T9_mT8_S1G_bDpT10_ENKUlT_T0_E_clISt17integral_constantIbLb1EES1U_EEDaS1P_S1Q_EUlS1P_E_NS1_11comp_targetILNS1_3genE4ELNS1_11target_archE910ELNS1_3gpuE8ELNS1_3repE0EEENS1_30default_config_static_selectorELNS0_4arch9wavefront6targetE1EEEvS12_,@function
_ZN7rocprim17ROCPRIM_400000_NS6detail17trampoline_kernelINS0_13select_configILj256ELj13ELNS0_17block_load_methodE3ELS4_3ELS4_3ELNS0_20block_scan_algorithmE0ELj4294967295EEENS1_25partition_config_selectorILNS1_17partition_subalgoE4EjNS0_10empty_typeEbEEZZNS1_14partition_implILS8_4ELb0ES6_15HIP_vector_typeIjLj2EENS0_17counting_iteratorIjlEEPS9_SG_NS0_5tupleIJPjSI_NS0_16reverse_iteratorISI_EEEEENSH_IJSG_SG_SG_EEES9_SI_JZNS1_25segmented_radix_sort_implINS0_14default_configELb1EPKbPbPKlPlN2at6native12_GLOBAL__N_18offset_tEEE10hipError_tPvRmT1_PNSt15iterator_traitsIS12_E10value_typeET2_T3_PNS13_IS18_E10value_typeET4_jRbjT5_S1E_jjP12ihipStream_tbEUljE_ZNSN_ISO_Lb1ESQ_SR_ST_SU_SY_EESZ_S10_S11_S12_S16_S17_S18_S1B_S1C_jS1D_jS1E_S1E_jjS1G_bEUljE0_EEESZ_S10_S11_S18_S1C_S1E_T6_T7_T9_mT8_S1G_bDpT10_ENKUlT_T0_E_clISt17integral_constantIbLb1EES1U_EEDaS1P_S1Q_EUlS1P_E_NS1_11comp_targetILNS1_3genE4ELNS1_11target_archE910ELNS1_3gpuE8ELNS1_3repE0EEENS1_30default_config_static_selectorELNS0_4arch9wavefront6targetE1EEEvS12_: ; @_ZN7rocprim17ROCPRIM_400000_NS6detail17trampoline_kernelINS0_13select_configILj256ELj13ELNS0_17block_load_methodE3ELS4_3ELS4_3ELNS0_20block_scan_algorithmE0ELj4294967295EEENS1_25partition_config_selectorILNS1_17partition_subalgoE4EjNS0_10empty_typeEbEEZZNS1_14partition_implILS8_4ELb0ES6_15HIP_vector_typeIjLj2EENS0_17counting_iteratorIjlEEPS9_SG_NS0_5tupleIJPjSI_NS0_16reverse_iteratorISI_EEEEENSH_IJSG_SG_SG_EEES9_SI_JZNS1_25segmented_radix_sort_implINS0_14default_configELb1EPKbPbPKlPlN2at6native12_GLOBAL__N_18offset_tEEE10hipError_tPvRmT1_PNSt15iterator_traitsIS12_E10value_typeET2_T3_PNS13_IS18_E10value_typeET4_jRbjT5_S1E_jjP12ihipStream_tbEUljE_ZNSN_ISO_Lb1ESQ_SR_ST_SU_SY_EESZ_S10_S11_S12_S16_S17_S18_S1B_S1C_jS1D_jS1E_S1E_jjS1G_bEUljE0_EEESZ_S10_S11_S18_S1C_S1E_T6_T7_T9_mT8_S1G_bDpT10_ENKUlT_T0_E_clISt17integral_constantIbLb1EES1U_EEDaS1P_S1Q_EUlS1P_E_NS1_11comp_targetILNS1_3genE4ELNS1_11target_archE910ELNS1_3gpuE8ELNS1_3repE0EEENS1_30default_config_static_selectorELNS0_4arch9wavefront6targetE1EEEvS12_
; %bb.0:
	.section	.rodata,"a",@progbits
	.p2align	6, 0x0
	.amdhsa_kernel _ZN7rocprim17ROCPRIM_400000_NS6detail17trampoline_kernelINS0_13select_configILj256ELj13ELNS0_17block_load_methodE3ELS4_3ELS4_3ELNS0_20block_scan_algorithmE0ELj4294967295EEENS1_25partition_config_selectorILNS1_17partition_subalgoE4EjNS0_10empty_typeEbEEZZNS1_14partition_implILS8_4ELb0ES6_15HIP_vector_typeIjLj2EENS0_17counting_iteratorIjlEEPS9_SG_NS0_5tupleIJPjSI_NS0_16reverse_iteratorISI_EEEEENSH_IJSG_SG_SG_EEES9_SI_JZNS1_25segmented_radix_sort_implINS0_14default_configELb1EPKbPbPKlPlN2at6native12_GLOBAL__N_18offset_tEEE10hipError_tPvRmT1_PNSt15iterator_traitsIS12_E10value_typeET2_T3_PNS13_IS18_E10value_typeET4_jRbjT5_S1E_jjP12ihipStream_tbEUljE_ZNSN_ISO_Lb1ESQ_SR_ST_SU_SY_EESZ_S10_S11_S12_S16_S17_S18_S1B_S1C_jS1D_jS1E_S1E_jjS1G_bEUljE0_EEESZ_S10_S11_S18_S1C_S1E_T6_T7_T9_mT8_S1G_bDpT10_ENKUlT_T0_E_clISt17integral_constantIbLb1EES1U_EEDaS1P_S1Q_EUlS1P_E_NS1_11comp_targetILNS1_3genE4ELNS1_11target_archE910ELNS1_3gpuE8ELNS1_3repE0EEENS1_30default_config_static_selectorELNS0_4arch9wavefront6targetE1EEEvS12_
		.amdhsa_group_segment_fixed_size 0
		.amdhsa_private_segment_fixed_size 0
		.amdhsa_kernarg_size 184
		.amdhsa_user_sgpr_count 6
		.amdhsa_user_sgpr_private_segment_buffer 1
		.amdhsa_user_sgpr_dispatch_ptr 0
		.amdhsa_user_sgpr_queue_ptr 0
		.amdhsa_user_sgpr_kernarg_segment_ptr 1
		.amdhsa_user_sgpr_dispatch_id 0
		.amdhsa_user_sgpr_flat_scratch_init 0
		.amdhsa_user_sgpr_private_segment_size 0
		.amdhsa_uses_dynamic_stack 0
		.amdhsa_system_sgpr_private_segment_wavefront_offset 0
		.amdhsa_system_sgpr_workgroup_id_x 1
		.amdhsa_system_sgpr_workgroup_id_y 0
		.amdhsa_system_sgpr_workgroup_id_z 0
		.amdhsa_system_sgpr_workgroup_info 0
		.amdhsa_system_vgpr_workitem_id 0
		.amdhsa_next_free_vgpr 1
		.amdhsa_next_free_sgpr 0
		.amdhsa_reserve_vcc 0
		.amdhsa_reserve_flat_scratch 0
		.amdhsa_float_round_mode_32 0
		.amdhsa_float_round_mode_16_64 0
		.amdhsa_float_denorm_mode_32 3
		.amdhsa_float_denorm_mode_16_64 3
		.amdhsa_dx10_clamp 1
		.amdhsa_ieee_mode 1
		.amdhsa_fp16_overflow 0
		.amdhsa_exception_fp_ieee_invalid_op 0
		.amdhsa_exception_fp_denorm_src 0
		.amdhsa_exception_fp_ieee_div_zero 0
		.amdhsa_exception_fp_ieee_overflow 0
		.amdhsa_exception_fp_ieee_underflow 0
		.amdhsa_exception_fp_ieee_inexact 0
		.amdhsa_exception_int_div_zero 0
	.end_amdhsa_kernel
	.section	.text._ZN7rocprim17ROCPRIM_400000_NS6detail17trampoline_kernelINS0_13select_configILj256ELj13ELNS0_17block_load_methodE3ELS4_3ELS4_3ELNS0_20block_scan_algorithmE0ELj4294967295EEENS1_25partition_config_selectorILNS1_17partition_subalgoE4EjNS0_10empty_typeEbEEZZNS1_14partition_implILS8_4ELb0ES6_15HIP_vector_typeIjLj2EENS0_17counting_iteratorIjlEEPS9_SG_NS0_5tupleIJPjSI_NS0_16reverse_iteratorISI_EEEEENSH_IJSG_SG_SG_EEES9_SI_JZNS1_25segmented_radix_sort_implINS0_14default_configELb1EPKbPbPKlPlN2at6native12_GLOBAL__N_18offset_tEEE10hipError_tPvRmT1_PNSt15iterator_traitsIS12_E10value_typeET2_T3_PNS13_IS18_E10value_typeET4_jRbjT5_S1E_jjP12ihipStream_tbEUljE_ZNSN_ISO_Lb1ESQ_SR_ST_SU_SY_EESZ_S10_S11_S12_S16_S17_S18_S1B_S1C_jS1D_jS1E_S1E_jjS1G_bEUljE0_EEESZ_S10_S11_S18_S1C_S1E_T6_T7_T9_mT8_S1G_bDpT10_ENKUlT_T0_E_clISt17integral_constantIbLb1EES1U_EEDaS1P_S1Q_EUlS1P_E_NS1_11comp_targetILNS1_3genE4ELNS1_11target_archE910ELNS1_3gpuE8ELNS1_3repE0EEENS1_30default_config_static_selectorELNS0_4arch9wavefront6targetE1EEEvS12_,"axG",@progbits,_ZN7rocprim17ROCPRIM_400000_NS6detail17trampoline_kernelINS0_13select_configILj256ELj13ELNS0_17block_load_methodE3ELS4_3ELS4_3ELNS0_20block_scan_algorithmE0ELj4294967295EEENS1_25partition_config_selectorILNS1_17partition_subalgoE4EjNS0_10empty_typeEbEEZZNS1_14partition_implILS8_4ELb0ES6_15HIP_vector_typeIjLj2EENS0_17counting_iteratorIjlEEPS9_SG_NS0_5tupleIJPjSI_NS0_16reverse_iteratorISI_EEEEENSH_IJSG_SG_SG_EEES9_SI_JZNS1_25segmented_radix_sort_implINS0_14default_configELb1EPKbPbPKlPlN2at6native12_GLOBAL__N_18offset_tEEE10hipError_tPvRmT1_PNSt15iterator_traitsIS12_E10value_typeET2_T3_PNS13_IS18_E10value_typeET4_jRbjT5_S1E_jjP12ihipStream_tbEUljE_ZNSN_ISO_Lb1ESQ_SR_ST_SU_SY_EESZ_S10_S11_S12_S16_S17_S18_S1B_S1C_jS1D_jS1E_S1E_jjS1G_bEUljE0_EEESZ_S10_S11_S18_S1C_S1E_T6_T7_T9_mT8_S1G_bDpT10_ENKUlT_T0_E_clISt17integral_constantIbLb1EES1U_EEDaS1P_S1Q_EUlS1P_E_NS1_11comp_targetILNS1_3genE4ELNS1_11target_archE910ELNS1_3gpuE8ELNS1_3repE0EEENS1_30default_config_static_selectorELNS0_4arch9wavefront6targetE1EEEvS12_,comdat
.Lfunc_end1478:
	.size	_ZN7rocprim17ROCPRIM_400000_NS6detail17trampoline_kernelINS0_13select_configILj256ELj13ELNS0_17block_load_methodE3ELS4_3ELS4_3ELNS0_20block_scan_algorithmE0ELj4294967295EEENS1_25partition_config_selectorILNS1_17partition_subalgoE4EjNS0_10empty_typeEbEEZZNS1_14partition_implILS8_4ELb0ES6_15HIP_vector_typeIjLj2EENS0_17counting_iteratorIjlEEPS9_SG_NS0_5tupleIJPjSI_NS0_16reverse_iteratorISI_EEEEENSH_IJSG_SG_SG_EEES9_SI_JZNS1_25segmented_radix_sort_implINS0_14default_configELb1EPKbPbPKlPlN2at6native12_GLOBAL__N_18offset_tEEE10hipError_tPvRmT1_PNSt15iterator_traitsIS12_E10value_typeET2_T3_PNS13_IS18_E10value_typeET4_jRbjT5_S1E_jjP12ihipStream_tbEUljE_ZNSN_ISO_Lb1ESQ_SR_ST_SU_SY_EESZ_S10_S11_S12_S16_S17_S18_S1B_S1C_jS1D_jS1E_S1E_jjS1G_bEUljE0_EEESZ_S10_S11_S18_S1C_S1E_T6_T7_T9_mT8_S1G_bDpT10_ENKUlT_T0_E_clISt17integral_constantIbLb1EES1U_EEDaS1P_S1Q_EUlS1P_E_NS1_11comp_targetILNS1_3genE4ELNS1_11target_archE910ELNS1_3gpuE8ELNS1_3repE0EEENS1_30default_config_static_selectorELNS0_4arch9wavefront6targetE1EEEvS12_, .Lfunc_end1478-_ZN7rocprim17ROCPRIM_400000_NS6detail17trampoline_kernelINS0_13select_configILj256ELj13ELNS0_17block_load_methodE3ELS4_3ELS4_3ELNS0_20block_scan_algorithmE0ELj4294967295EEENS1_25partition_config_selectorILNS1_17partition_subalgoE4EjNS0_10empty_typeEbEEZZNS1_14partition_implILS8_4ELb0ES6_15HIP_vector_typeIjLj2EENS0_17counting_iteratorIjlEEPS9_SG_NS0_5tupleIJPjSI_NS0_16reverse_iteratorISI_EEEEENSH_IJSG_SG_SG_EEES9_SI_JZNS1_25segmented_radix_sort_implINS0_14default_configELb1EPKbPbPKlPlN2at6native12_GLOBAL__N_18offset_tEEE10hipError_tPvRmT1_PNSt15iterator_traitsIS12_E10value_typeET2_T3_PNS13_IS18_E10value_typeET4_jRbjT5_S1E_jjP12ihipStream_tbEUljE_ZNSN_ISO_Lb1ESQ_SR_ST_SU_SY_EESZ_S10_S11_S12_S16_S17_S18_S1B_S1C_jS1D_jS1E_S1E_jjS1G_bEUljE0_EEESZ_S10_S11_S18_S1C_S1E_T6_T7_T9_mT8_S1G_bDpT10_ENKUlT_T0_E_clISt17integral_constantIbLb1EES1U_EEDaS1P_S1Q_EUlS1P_E_NS1_11comp_targetILNS1_3genE4ELNS1_11target_archE910ELNS1_3gpuE8ELNS1_3repE0EEENS1_30default_config_static_selectorELNS0_4arch9wavefront6targetE1EEEvS12_
                                        ; -- End function
	.set _ZN7rocprim17ROCPRIM_400000_NS6detail17trampoline_kernelINS0_13select_configILj256ELj13ELNS0_17block_load_methodE3ELS4_3ELS4_3ELNS0_20block_scan_algorithmE0ELj4294967295EEENS1_25partition_config_selectorILNS1_17partition_subalgoE4EjNS0_10empty_typeEbEEZZNS1_14partition_implILS8_4ELb0ES6_15HIP_vector_typeIjLj2EENS0_17counting_iteratorIjlEEPS9_SG_NS0_5tupleIJPjSI_NS0_16reverse_iteratorISI_EEEEENSH_IJSG_SG_SG_EEES9_SI_JZNS1_25segmented_radix_sort_implINS0_14default_configELb1EPKbPbPKlPlN2at6native12_GLOBAL__N_18offset_tEEE10hipError_tPvRmT1_PNSt15iterator_traitsIS12_E10value_typeET2_T3_PNS13_IS18_E10value_typeET4_jRbjT5_S1E_jjP12ihipStream_tbEUljE_ZNSN_ISO_Lb1ESQ_SR_ST_SU_SY_EESZ_S10_S11_S12_S16_S17_S18_S1B_S1C_jS1D_jS1E_S1E_jjS1G_bEUljE0_EEESZ_S10_S11_S18_S1C_S1E_T6_T7_T9_mT8_S1G_bDpT10_ENKUlT_T0_E_clISt17integral_constantIbLb1EES1U_EEDaS1P_S1Q_EUlS1P_E_NS1_11comp_targetILNS1_3genE4ELNS1_11target_archE910ELNS1_3gpuE8ELNS1_3repE0EEENS1_30default_config_static_selectorELNS0_4arch9wavefront6targetE1EEEvS12_.num_vgpr, 0
	.set _ZN7rocprim17ROCPRIM_400000_NS6detail17trampoline_kernelINS0_13select_configILj256ELj13ELNS0_17block_load_methodE3ELS4_3ELS4_3ELNS0_20block_scan_algorithmE0ELj4294967295EEENS1_25partition_config_selectorILNS1_17partition_subalgoE4EjNS0_10empty_typeEbEEZZNS1_14partition_implILS8_4ELb0ES6_15HIP_vector_typeIjLj2EENS0_17counting_iteratorIjlEEPS9_SG_NS0_5tupleIJPjSI_NS0_16reverse_iteratorISI_EEEEENSH_IJSG_SG_SG_EEES9_SI_JZNS1_25segmented_radix_sort_implINS0_14default_configELb1EPKbPbPKlPlN2at6native12_GLOBAL__N_18offset_tEEE10hipError_tPvRmT1_PNSt15iterator_traitsIS12_E10value_typeET2_T3_PNS13_IS18_E10value_typeET4_jRbjT5_S1E_jjP12ihipStream_tbEUljE_ZNSN_ISO_Lb1ESQ_SR_ST_SU_SY_EESZ_S10_S11_S12_S16_S17_S18_S1B_S1C_jS1D_jS1E_S1E_jjS1G_bEUljE0_EEESZ_S10_S11_S18_S1C_S1E_T6_T7_T9_mT8_S1G_bDpT10_ENKUlT_T0_E_clISt17integral_constantIbLb1EES1U_EEDaS1P_S1Q_EUlS1P_E_NS1_11comp_targetILNS1_3genE4ELNS1_11target_archE910ELNS1_3gpuE8ELNS1_3repE0EEENS1_30default_config_static_selectorELNS0_4arch9wavefront6targetE1EEEvS12_.num_agpr, 0
	.set _ZN7rocprim17ROCPRIM_400000_NS6detail17trampoline_kernelINS0_13select_configILj256ELj13ELNS0_17block_load_methodE3ELS4_3ELS4_3ELNS0_20block_scan_algorithmE0ELj4294967295EEENS1_25partition_config_selectorILNS1_17partition_subalgoE4EjNS0_10empty_typeEbEEZZNS1_14partition_implILS8_4ELb0ES6_15HIP_vector_typeIjLj2EENS0_17counting_iteratorIjlEEPS9_SG_NS0_5tupleIJPjSI_NS0_16reverse_iteratorISI_EEEEENSH_IJSG_SG_SG_EEES9_SI_JZNS1_25segmented_radix_sort_implINS0_14default_configELb1EPKbPbPKlPlN2at6native12_GLOBAL__N_18offset_tEEE10hipError_tPvRmT1_PNSt15iterator_traitsIS12_E10value_typeET2_T3_PNS13_IS18_E10value_typeET4_jRbjT5_S1E_jjP12ihipStream_tbEUljE_ZNSN_ISO_Lb1ESQ_SR_ST_SU_SY_EESZ_S10_S11_S12_S16_S17_S18_S1B_S1C_jS1D_jS1E_S1E_jjS1G_bEUljE0_EEESZ_S10_S11_S18_S1C_S1E_T6_T7_T9_mT8_S1G_bDpT10_ENKUlT_T0_E_clISt17integral_constantIbLb1EES1U_EEDaS1P_S1Q_EUlS1P_E_NS1_11comp_targetILNS1_3genE4ELNS1_11target_archE910ELNS1_3gpuE8ELNS1_3repE0EEENS1_30default_config_static_selectorELNS0_4arch9wavefront6targetE1EEEvS12_.numbered_sgpr, 0
	.set _ZN7rocprim17ROCPRIM_400000_NS6detail17trampoline_kernelINS0_13select_configILj256ELj13ELNS0_17block_load_methodE3ELS4_3ELS4_3ELNS0_20block_scan_algorithmE0ELj4294967295EEENS1_25partition_config_selectorILNS1_17partition_subalgoE4EjNS0_10empty_typeEbEEZZNS1_14partition_implILS8_4ELb0ES6_15HIP_vector_typeIjLj2EENS0_17counting_iteratorIjlEEPS9_SG_NS0_5tupleIJPjSI_NS0_16reverse_iteratorISI_EEEEENSH_IJSG_SG_SG_EEES9_SI_JZNS1_25segmented_radix_sort_implINS0_14default_configELb1EPKbPbPKlPlN2at6native12_GLOBAL__N_18offset_tEEE10hipError_tPvRmT1_PNSt15iterator_traitsIS12_E10value_typeET2_T3_PNS13_IS18_E10value_typeET4_jRbjT5_S1E_jjP12ihipStream_tbEUljE_ZNSN_ISO_Lb1ESQ_SR_ST_SU_SY_EESZ_S10_S11_S12_S16_S17_S18_S1B_S1C_jS1D_jS1E_S1E_jjS1G_bEUljE0_EEESZ_S10_S11_S18_S1C_S1E_T6_T7_T9_mT8_S1G_bDpT10_ENKUlT_T0_E_clISt17integral_constantIbLb1EES1U_EEDaS1P_S1Q_EUlS1P_E_NS1_11comp_targetILNS1_3genE4ELNS1_11target_archE910ELNS1_3gpuE8ELNS1_3repE0EEENS1_30default_config_static_selectorELNS0_4arch9wavefront6targetE1EEEvS12_.num_named_barrier, 0
	.set _ZN7rocprim17ROCPRIM_400000_NS6detail17trampoline_kernelINS0_13select_configILj256ELj13ELNS0_17block_load_methodE3ELS4_3ELS4_3ELNS0_20block_scan_algorithmE0ELj4294967295EEENS1_25partition_config_selectorILNS1_17partition_subalgoE4EjNS0_10empty_typeEbEEZZNS1_14partition_implILS8_4ELb0ES6_15HIP_vector_typeIjLj2EENS0_17counting_iteratorIjlEEPS9_SG_NS0_5tupleIJPjSI_NS0_16reverse_iteratorISI_EEEEENSH_IJSG_SG_SG_EEES9_SI_JZNS1_25segmented_radix_sort_implINS0_14default_configELb1EPKbPbPKlPlN2at6native12_GLOBAL__N_18offset_tEEE10hipError_tPvRmT1_PNSt15iterator_traitsIS12_E10value_typeET2_T3_PNS13_IS18_E10value_typeET4_jRbjT5_S1E_jjP12ihipStream_tbEUljE_ZNSN_ISO_Lb1ESQ_SR_ST_SU_SY_EESZ_S10_S11_S12_S16_S17_S18_S1B_S1C_jS1D_jS1E_S1E_jjS1G_bEUljE0_EEESZ_S10_S11_S18_S1C_S1E_T6_T7_T9_mT8_S1G_bDpT10_ENKUlT_T0_E_clISt17integral_constantIbLb1EES1U_EEDaS1P_S1Q_EUlS1P_E_NS1_11comp_targetILNS1_3genE4ELNS1_11target_archE910ELNS1_3gpuE8ELNS1_3repE0EEENS1_30default_config_static_selectorELNS0_4arch9wavefront6targetE1EEEvS12_.private_seg_size, 0
	.set _ZN7rocprim17ROCPRIM_400000_NS6detail17trampoline_kernelINS0_13select_configILj256ELj13ELNS0_17block_load_methodE3ELS4_3ELS4_3ELNS0_20block_scan_algorithmE0ELj4294967295EEENS1_25partition_config_selectorILNS1_17partition_subalgoE4EjNS0_10empty_typeEbEEZZNS1_14partition_implILS8_4ELb0ES6_15HIP_vector_typeIjLj2EENS0_17counting_iteratorIjlEEPS9_SG_NS0_5tupleIJPjSI_NS0_16reverse_iteratorISI_EEEEENSH_IJSG_SG_SG_EEES9_SI_JZNS1_25segmented_radix_sort_implINS0_14default_configELb1EPKbPbPKlPlN2at6native12_GLOBAL__N_18offset_tEEE10hipError_tPvRmT1_PNSt15iterator_traitsIS12_E10value_typeET2_T3_PNS13_IS18_E10value_typeET4_jRbjT5_S1E_jjP12ihipStream_tbEUljE_ZNSN_ISO_Lb1ESQ_SR_ST_SU_SY_EESZ_S10_S11_S12_S16_S17_S18_S1B_S1C_jS1D_jS1E_S1E_jjS1G_bEUljE0_EEESZ_S10_S11_S18_S1C_S1E_T6_T7_T9_mT8_S1G_bDpT10_ENKUlT_T0_E_clISt17integral_constantIbLb1EES1U_EEDaS1P_S1Q_EUlS1P_E_NS1_11comp_targetILNS1_3genE4ELNS1_11target_archE910ELNS1_3gpuE8ELNS1_3repE0EEENS1_30default_config_static_selectorELNS0_4arch9wavefront6targetE1EEEvS12_.uses_vcc, 0
	.set _ZN7rocprim17ROCPRIM_400000_NS6detail17trampoline_kernelINS0_13select_configILj256ELj13ELNS0_17block_load_methodE3ELS4_3ELS4_3ELNS0_20block_scan_algorithmE0ELj4294967295EEENS1_25partition_config_selectorILNS1_17partition_subalgoE4EjNS0_10empty_typeEbEEZZNS1_14partition_implILS8_4ELb0ES6_15HIP_vector_typeIjLj2EENS0_17counting_iteratorIjlEEPS9_SG_NS0_5tupleIJPjSI_NS0_16reverse_iteratorISI_EEEEENSH_IJSG_SG_SG_EEES9_SI_JZNS1_25segmented_radix_sort_implINS0_14default_configELb1EPKbPbPKlPlN2at6native12_GLOBAL__N_18offset_tEEE10hipError_tPvRmT1_PNSt15iterator_traitsIS12_E10value_typeET2_T3_PNS13_IS18_E10value_typeET4_jRbjT5_S1E_jjP12ihipStream_tbEUljE_ZNSN_ISO_Lb1ESQ_SR_ST_SU_SY_EESZ_S10_S11_S12_S16_S17_S18_S1B_S1C_jS1D_jS1E_S1E_jjS1G_bEUljE0_EEESZ_S10_S11_S18_S1C_S1E_T6_T7_T9_mT8_S1G_bDpT10_ENKUlT_T0_E_clISt17integral_constantIbLb1EES1U_EEDaS1P_S1Q_EUlS1P_E_NS1_11comp_targetILNS1_3genE4ELNS1_11target_archE910ELNS1_3gpuE8ELNS1_3repE0EEENS1_30default_config_static_selectorELNS0_4arch9wavefront6targetE1EEEvS12_.uses_flat_scratch, 0
	.set _ZN7rocprim17ROCPRIM_400000_NS6detail17trampoline_kernelINS0_13select_configILj256ELj13ELNS0_17block_load_methodE3ELS4_3ELS4_3ELNS0_20block_scan_algorithmE0ELj4294967295EEENS1_25partition_config_selectorILNS1_17partition_subalgoE4EjNS0_10empty_typeEbEEZZNS1_14partition_implILS8_4ELb0ES6_15HIP_vector_typeIjLj2EENS0_17counting_iteratorIjlEEPS9_SG_NS0_5tupleIJPjSI_NS0_16reverse_iteratorISI_EEEEENSH_IJSG_SG_SG_EEES9_SI_JZNS1_25segmented_radix_sort_implINS0_14default_configELb1EPKbPbPKlPlN2at6native12_GLOBAL__N_18offset_tEEE10hipError_tPvRmT1_PNSt15iterator_traitsIS12_E10value_typeET2_T3_PNS13_IS18_E10value_typeET4_jRbjT5_S1E_jjP12ihipStream_tbEUljE_ZNSN_ISO_Lb1ESQ_SR_ST_SU_SY_EESZ_S10_S11_S12_S16_S17_S18_S1B_S1C_jS1D_jS1E_S1E_jjS1G_bEUljE0_EEESZ_S10_S11_S18_S1C_S1E_T6_T7_T9_mT8_S1G_bDpT10_ENKUlT_T0_E_clISt17integral_constantIbLb1EES1U_EEDaS1P_S1Q_EUlS1P_E_NS1_11comp_targetILNS1_3genE4ELNS1_11target_archE910ELNS1_3gpuE8ELNS1_3repE0EEENS1_30default_config_static_selectorELNS0_4arch9wavefront6targetE1EEEvS12_.has_dyn_sized_stack, 0
	.set _ZN7rocprim17ROCPRIM_400000_NS6detail17trampoline_kernelINS0_13select_configILj256ELj13ELNS0_17block_load_methodE3ELS4_3ELS4_3ELNS0_20block_scan_algorithmE0ELj4294967295EEENS1_25partition_config_selectorILNS1_17partition_subalgoE4EjNS0_10empty_typeEbEEZZNS1_14partition_implILS8_4ELb0ES6_15HIP_vector_typeIjLj2EENS0_17counting_iteratorIjlEEPS9_SG_NS0_5tupleIJPjSI_NS0_16reverse_iteratorISI_EEEEENSH_IJSG_SG_SG_EEES9_SI_JZNS1_25segmented_radix_sort_implINS0_14default_configELb1EPKbPbPKlPlN2at6native12_GLOBAL__N_18offset_tEEE10hipError_tPvRmT1_PNSt15iterator_traitsIS12_E10value_typeET2_T3_PNS13_IS18_E10value_typeET4_jRbjT5_S1E_jjP12ihipStream_tbEUljE_ZNSN_ISO_Lb1ESQ_SR_ST_SU_SY_EESZ_S10_S11_S12_S16_S17_S18_S1B_S1C_jS1D_jS1E_S1E_jjS1G_bEUljE0_EEESZ_S10_S11_S18_S1C_S1E_T6_T7_T9_mT8_S1G_bDpT10_ENKUlT_T0_E_clISt17integral_constantIbLb1EES1U_EEDaS1P_S1Q_EUlS1P_E_NS1_11comp_targetILNS1_3genE4ELNS1_11target_archE910ELNS1_3gpuE8ELNS1_3repE0EEENS1_30default_config_static_selectorELNS0_4arch9wavefront6targetE1EEEvS12_.has_recursion, 0
	.set _ZN7rocprim17ROCPRIM_400000_NS6detail17trampoline_kernelINS0_13select_configILj256ELj13ELNS0_17block_load_methodE3ELS4_3ELS4_3ELNS0_20block_scan_algorithmE0ELj4294967295EEENS1_25partition_config_selectorILNS1_17partition_subalgoE4EjNS0_10empty_typeEbEEZZNS1_14partition_implILS8_4ELb0ES6_15HIP_vector_typeIjLj2EENS0_17counting_iteratorIjlEEPS9_SG_NS0_5tupleIJPjSI_NS0_16reverse_iteratorISI_EEEEENSH_IJSG_SG_SG_EEES9_SI_JZNS1_25segmented_radix_sort_implINS0_14default_configELb1EPKbPbPKlPlN2at6native12_GLOBAL__N_18offset_tEEE10hipError_tPvRmT1_PNSt15iterator_traitsIS12_E10value_typeET2_T3_PNS13_IS18_E10value_typeET4_jRbjT5_S1E_jjP12ihipStream_tbEUljE_ZNSN_ISO_Lb1ESQ_SR_ST_SU_SY_EESZ_S10_S11_S12_S16_S17_S18_S1B_S1C_jS1D_jS1E_S1E_jjS1G_bEUljE0_EEESZ_S10_S11_S18_S1C_S1E_T6_T7_T9_mT8_S1G_bDpT10_ENKUlT_T0_E_clISt17integral_constantIbLb1EES1U_EEDaS1P_S1Q_EUlS1P_E_NS1_11comp_targetILNS1_3genE4ELNS1_11target_archE910ELNS1_3gpuE8ELNS1_3repE0EEENS1_30default_config_static_selectorELNS0_4arch9wavefront6targetE1EEEvS12_.has_indirect_call, 0
	.section	.AMDGPU.csdata,"",@progbits
; Kernel info:
; codeLenInByte = 0
; TotalNumSgprs: 4
; NumVgprs: 0
; ScratchSize: 0
; MemoryBound: 0
; FloatMode: 240
; IeeeMode: 1
; LDSByteSize: 0 bytes/workgroup (compile time only)
; SGPRBlocks: 0
; VGPRBlocks: 0
; NumSGPRsForWavesPerEU: 4
; NumVGPRsForWavesPerEU: 1
; Occupancy: 10
; WaveLimiterHint : 0
; COMPUTE_PGM_RSRC2:SCRATCH_EN: 0
; COMPUTE_PGM_RSRC2:USER_SGPR: 6
; COMPUTE_PGM_RSRC2:TRAP_HANDLER: 0
; COMPUTE_PGM_RSRC2:TGID_X_EN: 1
; COMPUTE_PGM_RSRC2:TGID_Y_EN: 0
; COMPUTE_PGM_RSRC2:TGID_Z_EN: 0
; COMPUTE_PGM_RSRC2:TIDIG_COMP_CNT: 0
	.section	.text._ZN7rocprim17ROCPRIM_400000_NS6detail17trampoline_kernelINS0_13select_configILj256ELj13ELNS0_17block_load_methodE3ELS4_3ELS4_3ELNS0_20block_scan_algorithmE0ELj4294967295EEENS1_25partition_config_selectorILNS1_17partition_subalgoE4EjNS0_10empty_typeEbEEZZNS1_14partition_implILS8_4ELb0ES6_15HIP_vector_typeIjLj2EENS0_17counting_iteratorIjlEEPS9_SG_NS0_5tupleIJPjSI_NS0_16reverse_iteratorISI_EEEEENSH_IJSG_SG_SG_EEES9_SI_JZNS1_25segmented_radix_sort_implINS0_14default_configELb1EPKbPbPKlPlN2at6native12_GLOBAL__N_18offset_tEEE10hipError_tPvRmT1_PNSt15iterator_traitsIS12_E10value_typeET2_T3_PNS13_IS18_E10value_typeET4_jRbjT5_S1E_jjP12ihipStream_tbEUljE_ZNSN_ISO_Lb1ESQ_SR_ST_SU_SY_EESZ_S10_S11_S12_S16_S17_S18_S1B_S1C_jS1D_jS1E_S1E_jjS1G_bEUljE0_EEESZ_S10_S11_S18_S1C_S1E_T6_T7_T9_mT8_S1G_bDpT10_ENKUlT_T0_E_clISt17integral_constantIbLb1EES1U_EEDaS1P_S1Q_EUlS1P_E_NS1_11comp_targetILNS1_3genE3ELNS1_11target_archE908ELNS1_3gpuE7ELNS1_3repE0EEENS1_30default_config_static_selectorELNS0_4arch9wavefront6targetE1EEEvS12_,"axG",@progbits,_ZN7rocprim17ROCPRIM_400000_NS6detail17trampoline_kernelINS0_13select_configILj256ELj13ELNS0_17block_load_methodE3ELS4_3ELS4_3ELNS0_20block_scan_algorithmE0ELj4294967295EEENS1_25partition_config_selectorILNS1_17partition_subalgoE4EjNS0_10empty_typeEbEEZZNS1_14partition_implILS8_4ELb0ES6_15HIP_vector_typeIjLj2EENS0_17counting_iteratorIjlEEPS9_SG_NS0_5tupleIJPjSI_NS0_16reverse_iteratorISI_EEEEENSH_IJSG_SG_SG_EEES9_SI_JZNS1_25segmented_radix_sort_implINS0_14default_configELb1EPKbPbPKlPlN2at6native12_GLOBAL__N_18offset_tEEE10hipError_tPvRmT1_PNSt15iterator_traitsIS12_E10value_typeET2_T3_PNS13_IS18_E10value_typeET4_jRbjT5_S1E_jjP12ihipStream_tbEUljE_ZNSN_ISO_Lb1ESQ_SR_ST_SU_SY_EESZ_S10_S11_S12_S16_S17_S18_S1B_S1C_jS1D_jS1E_S1E_jjS1G_bEUljE0_EEESZ_S10_S11_S18_S1C_S1E_T6_T7_T9_mT8_S1G_bDpT10_ENKUlT_T0_E_clISt17integral_constantIbLb1EES1U_EEDaS1P_S1Q_EUlS1P_E_NS1_11comp_targetILNS1_3genE3ELNS1_11target_archE908ELNS1_3gpuE7ELNS1_3repE0EEENS1_30default_config_static_selectorELNS0_4arch9wavefront6targetE1EEEvS12_,comdat
	.globl	_ZN7rocprim17ROCPRIM_400000_NS6detail17trampoline_kernelINS0_13select_configILj256ELj13ELNS0_17block_load_methodE3ELS4_3ELS4_3ELNS0_20block_scan_algorithmE0ELj4294967295EEENS1_25partition_config_selectorILNS1_17partition_subalgoE4EjNS0_10empty_typeEbEEZZNS1_14partition_implILS8_4ELb0ES6_15HIP_vector_typeIjLj2EENS0_17counting_iteratorIjlEEPS9_SG_NS0_5tupleIJPjSI_NS0_16reverse_iteratorISI_EEEEENSH_IJSG_SG_SG_EEES9_SI_JZNS1_25segmented_radix_sort_implINS0_14default_configELb1EPKbPbPKlPlN2at6native12_GLOBAL__N_18offset_tEEE10hipError_tPvRmT1_PNSt15iterator_traitsIS12_E10value_typeET2_T3_PNS13_IS18_E10value_typeET4_jRbjT5_S1E_jjP12ihipStream_tbEUljE_ZNSN_ISO_Lb1ESQ_SR_ST_SU_SY_EESZ_S10_S11_S12_S16_S17_S18_S1B_S1C_jS1D_jS1E_S1E_jjS1G_bEUljE0_EEESZ_S10_S11_S18_S1C_S1E_T6_T7_T9_mT8_S1G_bDpT10_ENKUlT_T0_E_clISt17integral_constantIbLb1EES1U_EEDaS1P_S1Q_EUlS1P_E_NS1_11comp_targetILNS1_3genE3ELNS1_11target_archE908ELNS1_3gpuE7ELNS1_3repE0EEENS1_30default_config_static_selectorELNS0_4arch9wavefront6targetE1EEEvS12_ ; -- Begin function _ZN7rocprim17ROCPRIM_400000_NS6detail17trampoline_kernelINS0_13select_configILj256ELj13ELNS0_17block_load_methodE3ELS4_3ELS4_3ELNS0_20block_scan_algorithmE0ELj4294967295EEENS1_25partition_config_selectorILNS1_17partition_subalgoE4EjNS0_10empty_typeEbEEZZNS1_14partition_implILS8_4ELb0ES6_15HIP_vector_typeIjLj2EENS0_17counting_iteratorIjlEEPS9_SG_NS0_5tupleIJPjSI_NS0_16reverse_iteratorISI_EEEEENSH_IJSG_SG_SG_EEES9_SI_JZNS1_25segmented_radix_sort_implINS0_14default_configELb1EPKbPbPKlPlN2at6native12_GLOBAL__N_18offset_tEEE10hipError_tPvRmT1_PNSt15iterator_traitsIS12_E10value_typeET2_T3_PNS13_IS18_E10value_typeET4_jRbjT5_S1E_jjP12ihipStream_tbEUljE_ZNSN_ISO_Lb1ESQ_SR_ST_SU_SY_EESZ_S10_S11_S12_S16_S17_S18_S1B_S1C_jS1D_jS1E_S1E_jjS1G_bEUljE0_EEESZ_S10_S11_S18_S1C_S1E_T6_T7_T9_mT8_S1G_bDpT10_ENKUlT_T0_E_clISt17integral_constantIbLb1EES1U_EEDaS1P_S1Q_EUlS1P_E_NS1_11comp_targetILNS1_3genE3ELNS1_11target_archE908ELNS1_3gpuE7ELNS1_3repE0EEENS1_30default_config_static_selectorELNS0_4arch9wavefront6targetE1EEEvS12_
	.p2align	8
	.type	_ZN7rocprim17ROCPRIM_400000_NS6detail17trampoline_kernelINS0_13select_configILj256ELj13ELNS0_17block_load_methodE3ELS4_3ELS4_3ELNS0_20block_scan_algorithmE0ELj4294967295EEENS1_25partition_config_selectorILNS1_17partition_subalgoE4EjNS0_10empty_typeEbEEZZNS1_14partition_implILS8_4ELb0ES6_15HIP_vector_typeIjLj2EENS0_17counting_iteratorIjlEEPS9_SG_NS0_5tupleIJPjSI_NS0_16reverse_iteratorISI_EEEEENSH_IJSG_SG_SG_EEES9_SI_JZNS1_25segmented_radix_sort_implINS0_14default_configELb1EPKbPbPKlPlN2at6native12_GLOBAL__N_18offset_tEEE10hipError_tPvRmT1_PNSt15iterator_traitsIS12_E10value_typeET2_T3_PNS13_IS18_E10value_typeET4_jRbjT5_S1E_jjP12ihipStream_tbEUljE_ZNSN_ISO_Lb1ESQ_SR_ST_SU_SY_EESZ_S10_S11_S12_S16_S17_S18_S1B_S1C_jS1D_jS1E_S1E_jjS1G_bEUljE0_EEESZ_S10_S11_S18_S1C_S1E_T6_T7_T9_mT8_S1G_bDpT10_ENKUlT_T0_E_clISt17integral_constantIbLb1EES1U_EEDaS1P_S1Q_EUlS1P_E_NS1_11comp_targetILNS1_3genE3ELNS1_11target_archE908ELNS1_3gpuE7ELNS1_3repE0EEENS1_30default_config_static_selectorELNS0_4arch9wavefront6targetE1EEEvS12_,@function
_ZN7rocprim17ROCPRIM_400000_NS6detail17trampoline_kernelINS0_13select_configILj256ELj13ELNS0_17block_load_methodE3ELS4_3ELS4_3ELNS0_20block_scan_algorithmE0ELj4294967295EEENS1_25partition_config_selectorILNS1_17partition_subalgoE4EjNS0_10empty_typeEbEEZZNS1_14partition_implILS8_4ELb0ES6_15HIP_vector_typeIjLj2EENS0_17counting_iteratorIjlEEPS9_SG_NS0_5tupleIJPjSI_NS0_16reverse_iteratorISI_EEEEENSH_IJSG_SG_SG_EEES9_SI_JZNS1_25segmented_radix_sort_implINS0_14default_configELb1EPKbPbPKlPlN2at6native12_GLOBAL__N_18offset_tEEE10hipError_tPvRmT1_PNSt15iterator_traitsIS12_E10value_typeET2_T3_PNS13_IS18_E10value_typeET4_jRbjT5_S1E_jjP12ihipStream_tbEUljE_ZNSN_ISO_Lb1ESQ_SR_ST_SU_SY_EESZ_S10_S11_S12_S16_S17_S18_S1B_S1C_jS1D_jS1E_S1E_jjS1G_bEUljE0_EEESZ_S10_S11_S18_S1C_S1E_T6_T7_T9_mT8_S1G_bDpT10_ENKUlT_T0_E_clISt17integral_constantIbLb1EES1U_EEDaS1P_S1Q_EUlS1P_E_NS1_11comp_targetILNS1_3genE3ELNS1_11target_archE908ELNS1_3gpuE7ELNS1_3repE0EEENS1_30default_config_static_selectorELNS0_4arch9wavefront6targetE1EEEvS12_: ; @_ZN7rocprim17ROCPRIM_400000_NS6detail17trampoline_kernelINS0_13select_configILj256ELj13ELNS0_17block_load_methodE3ELS4_3ELS4_3ELNS0_20block_scan_algorithmE0ELj4294967295EEENS1_25partition_config_selectorILNS1_17partition_subalgoE4EjNS0_10empty_typeEbEEZZNS1_14partition_implILS8_4ELb0ES6_15HIP_vector_typeIjLj2EENS0_17counting_iteratorIjlEEPS9_SG_NS0_5tupleIJPjSI_NS0_16reverse_iteratorISI_EEEEENSH_IJSG_SG_SG_EEES9_SI_JZNS1_25segmented_radix_sort_implINS0_14default_configELb1EPKbPbPKlPlN2at6native12_GLOBAL__N_18offset_tEEE10hipError_tPvRmT1_PNSt15iterator_traitsIS12_E10value_typeET2_T3_PNS13_IS18_E10value_typeET4_jRbjT5_S1E_jjP12ihipStream_tbEUljE_ZNSN_ISO_Lb1ESQ_SR_ST_SU_SY_EESZ_S10_S11_S12_S16_S17_S18_S1B_S1C_jS1D_jS1E_S1E_jjS1G_bEUljE0_EEESZ_S10_S11_S18_S1C_S1E_T6_T7_T9_mT8_S1G_bDpT10_ENKUlT_T0_E_clISt17integral_constantIbLb1EES1U_EEDaS1P_S1Q_EUlS1P_E_NS1_11comp_targetILNS1_3genE3ELNS1_11target_archE908ELNS1_3gpuE7ELNS1_3repE0EEENS1_30default_config_static_selectorELNS0_4arch9wavefront6targetE1EEEvS12_
; %bb.0:
	.section	.rodata,"a",@progbits
	.p2align	6, 0x0
	.amdhsa_kernel _ZN7rocprim17ROCPRIM_400000_NS6detail17trampoline_kernelINS0_13select_configILj256ELj13ELNS0_17block_load_methodE3ELS4_3ELS4_3ELNS0_20block_scan_algorithmE0ELj4294967295EEENS1_25partition_config_selectorILNS1_17partition_subalgoE4EjNS0_10empty_typeEbEEZZNS1_14partition_implILS8_4ELb0ES6_15HIP_vector_typeIjLj2EENS0_17counting_iteratorIjlEEPS9_SG_NS0_5tupleIJPjSI_NS0_16reverse_iteratorISI_EEEEENSH_IJSG_SG_SG_EEES9_SI_JZNS1_25segmented_radix_sort_implINS0_14default_configELb1EPKbPbPKlPlN2at6native12_GLOBAL__N_18offset_tEEE10hipError_tPvRmT1_PNSt15iterator_traitsIS12_E10value_typeET2_T3_PNS13_IS18_E10value_typeET4_jRbjT5_S1E_jjP12ihipStream_tbEUljE_ZNSN_ISO_Lb1ESQ_SR_ST_SU_SY_EESZ_S10_S11_S12_S16_S17_S18_S1B_S1C_jS1D_jS1E_S1E_jjS1G_bEUljE0_EEESZ_S10_S11_S18_S1C_S1E_T6_T7_T9_mT8_S1G_bDpT10_ENKUlT_T0_E_clISt17integral_constantIbLb1EES1U_EEDaS1P_S1Q_EUlS1P_E_NS1_11comp_targetILNS1_3genE3ELNS1_11target_archE908ELNS1_3gpuE7ELNS1_3repE0EEENS1_30default_config_static_selectorELNS0_4arch9wavefront6targetE1EEEvS12_
		.amdhsa_group_segment_fixed_size 0
		.amdhsa_private_segment_fixed_size 0
		.amdhsa_kernarg_size 184
		.amdhsa_user_sgpr_count 6
		.amdhsa_user_sgpr_private_segment_buffer 1
		.amdhsa_user_sgpr_dispatch_ptr 0
		.amdhsa_user_sgpr_queue_ptr 0
		.amdhsa_user_sgpr_kernarg_segment_ptr 1
		.amdhsa_user_sgpr_dispatch_id 0
		.amdhsa_user_sgpr_flat_scratch_init 0
		.amdhsa_user_sgpr_private_segment_size 0
		.amdhsa_uses_dynamic_stack 0
		.amdhsa_system_sgpr_private_segment_wavefront_offset 0
		.amdhsa_system_sgpr_workgroup_id_x 1
		.amdhsa_system_sgpr_workgroup_id_y 0
		.amdhsa_system_sgpr_workgroup_id_z 0
		.amdhsa_system_sgpr_workgroup_info 0
		.amdhsa_system_vgpr_workitem_id 0
		.amdhsa_next_free_vgpr 1
		.amdhsa_next_free_sgpr 0
		.amdhsa_reserve_vcc 0
		.amdhsa_reserve_flat_scratch 0
		.amdhsa_float_round_mode_32 0
		.amdhsa_float_round_mode_16_64 0
		.amdhsa_float_denorm_mode_32 3
		.amdhsa_float_denorm_mode_16_64 3
		.amdhsa_dx10_clamp 1
		.amdhsa_ieee_mode 1
		.amdhsa_fp16_overflow 0
		.amdhsa_exception_fp_ieee_invalid_op 0
		.amdhsa_exception_fp_denorm_src 0
		.amdhsa_exception_fp_ieee_div_zero 0
		.amdhsa_exception_fp_ieee_overflow 0
		.amdhsa_exception_fp_ieee_underflow 0
		.amdhsa_exception_fp_ieee_inexact 0
		.amdhsa_exception_int_div_zero 0
	.end_amdhsa_kernel
	.section	.text._ZN7rocprim17ROCPRIM_400000_NS6detail17trampoline_kernelINS0_13select_configILj256ELj13ELNS0_17block_load_methodE3ELS4_3ELS4_3ELNS0_20block_scan_algorithmE0ELj4294967295EEENS1_25partition_config_selectorILNS1_17partition_subalgoE4EjNS0_10empty_typeEbEEZZNS1_14partition_implILS8_4ELb0ES6_15HIP_vector_typeIjLj2EENS0_17counting_iteratorIjlEEPS9_SG_NS0_5tupleIJPjSI_NS0_16reverse_iteratorISI_EEEEENSH_IJSG_SG_SG_EEES9_SI_JZNS1_25segmented_radix_sort_implINS0_14default_configELb1EPKbPbPKlPlN2at6native12_GLOBAL__N_18offset_tEEE10hipError_tPvRmT1_PNSt15iterator_traitsIS12_E10value_typeET2_T3_PNS13_IS18_E10value_typeET4_jRbjT5_S1E_jjP12ihipStream_tbEUljE_ZNSN_ISO_Lb1ESQ_SR_ST_SU_SY_EESZ_S10_S11_S12_S16_S17_S18_S1B_S1C_jS1D_jS1E_S1E_jjS1G_bEUljE0_EEESZ_S10_S11_S18_S1C_S1E_T6_T7_T9_mT8_S1G_bDpT10_ENKUlT_T0_E_clISt17integral_constantIbLb1EES1U_EEDaS1P_S1Q_EUlS1P_E_NS1_11comp_targetILNS1_3genE3ELNS1_11target_archE908ELNS1_3gpuE7ELNS1_3repE0EEENS1_30default_config_static_selectorELNS0_4arch9wavefront6targetE1EEEvS12_,"axG",@progbits,_ZN7rocprim17ROCPRIM_400000_NS6detail17trampoline_kernelINS0_13select_configILj256ELj13ELNS0_17block_load_methodE3ELS4_3ELS4_3ELNS0_20block_scan_algorithmE0ELj4294967295EEENS1_25partition_config_selectorILNS1_17partition_subalgoE4EjNS0_10empty_typeEbEEZZNS1_14partition_implILS8_4ELb0ES6_15HIP_vector_typeIjLj2EENS0_17counting_iteratorIjlEEPS9_SG_NS0_5tupleIJPjSI_NS0_16reverse_iteratorISI_EEEEENSH_IJSG_SG_SG_EEES9_SI_JZNS1_25segmented_radix_sort_implINS0_14default_configELb1EPKbPbPKlPlN2at6native12_GLOBAL__N_18offset_tEEE10hipError_tPvRmT1_PNSt15iterator_traitsIS12_E10value_typeET2_T3_PNS13_IS18_E10value_typeET4_jRbjT5_S1E_jjP12ihipStream_tbEUljE_ZNSN_ISO_Lb1ESQ_SR_ST_SU_SY_EESZ_S10_S11_S12_S16_S17_S18_S1B_S1C_jS1D_jS1E_S1E_jjS1G_bEUljE0_EEESZ_S10_S11_S18_S1C_S1E_T6_T7_T9_mT8_S1G_bDpT10_ENKUlT_T0_E_clISt17integral_constantIbLb1EES1U_EEDaS1P_S1Q_EUlS1P_E_NS1_11comp_targetILNS1_3genE3ELNS1_11target_archE908ELNS1_3gpuE7ELNS1_3repE0EEENS1_30default_config_static_selectorELNS0_4arch9wavefront6targetE1EEEvS12_,comdat
.Lfunc_end1479:
	.size	_ZN7rocprim17ROCPRIM_400000_NS6detail17trampoline_kernelINS0_13select_configILj256ELj13ELNS0_17block_load_methodE3ELS4_3ELS4_3ELNS0_20block_scan_algorithmE0ELj4294967295EEENS1_25partition_config_selectorILNS1_17partition_subalgoE4EjNS0_10empty_typeEbEEZZNS1_14partition_implILS8_4ELb0ES6_15HIP_vector_typeIjLj2EENS0_17counting_iteratorIjlEEPS9_SG_NS0_5tupleIJPjSI_NS0_16reverse_iteratorISI_EEEEENSH_IJSG_SG_SG_EEES9_SI_JZNS1_25segmented_radix_sort_implINS0_14default_configELb1EPKbPbPKlPlN2at6native12_GLOBAL__N_18offset_tEEE10hipError_tPvRmT1_PNSt15iterator_traitsIS12_E10value_typeET2_T3_PNS13_IS18_E10value_typeET4_jRbjT5_S1E_jjP12ihipStream_tbEUljE_ZNSN_ISO_Lb1ESQ_SR_ST_SU_SY_EESZ_S10_S11_S12_S16_S17_S18_S1B_S1C_jS1D_jS1E_S1E_jjS1G_bEUljE0_EEESZ_S10_S11_S18_S1C_S1E_T6_T7_T9_mT8_S1G_bDpT10_ENKUlT_T0_E_clISt17integral_constantIbLb1EES1U_EEDaS1P_S1Q_EUlS1P_E_NS1_11comp_targetILNS1_3genE3ELNS1_11target_archE908ELNS1_3gpuE7ELNS1_3repE0EEENS1_30default_config_static_selectorELNS0_4arch9wavefront6targetE1EEEvS12_, .Lfunc_end1479-_ZN7rocprim17ROCPRIM_400000_NS6detail17trampoline_kernelINS0_13select_configILj256ELj13ELNS0_17block_load_methodE3ELS4_3ELS4_3ELNS0_20block_scan_algorithmE0ELj4294967295EEENS1_25partition_config_selectorILNS1_17partition_subalgoE4EjNS0_10empty_typeEbEEZZNS1_14partition_implILS8_4ELb0ES6_15HIP_vector_typeIjLj2EENS0_17counting_iteratorIjlEEPS9_SG_NS0_5tupleIJPjSI_NS0_16reverse_iteratorISI_EEEEENSH_IJSG_SG_SG_EEES9_SI_JZNS1_25segmented_radix_sort_implINS0_14default_configELb1EPKbPbPKlPlN2at6native12_GLOBAL__N_18offset_tEEE10hipError_tPvRmT1_PNSt15iterator_traitsIS12_E10value_typeET2_T3_PNS13_IS18_E10value_typeET4_jRbjT5_S1E_jjP12ihipStream_tbEUljE_ZNSN_ISO_Lb1ESQ_SR_ST_SU_SY_EESZ_S10_S11_S12_S16_S17_S18_S1B_S1C_jS1D_jS1E_S1E_jjS1G_bEUljE0_EEESZ_S10_S11_S18_S1C_S1E_T6_T7_T9_mT8_S1G_bDpT10_ENKUlT_T0_E_clISt17integral_constantIbLb1EES1U_EEDaS1P_S1Q_EUlS1P_E_NS1_11comp_targetILNS1_3genE3ELNS1_11target_archE908ELNS1_3gpuE7ELNS1_3repE0EEENS1_30default_config_static_selectorELNS0_4arch9wavefront6targetE1EEEvS12_
                                        ; -- End function
	.set _ZN7rocprim17ROCPRIM_400000_NS6detail17trampoline_kernelINS0_13select_configILj256ELj13ELNS0_17block_load_methodE3ELS4_3ELS4_3ELNS0_20block_scan_algorithmE0ELj4294967295EEENS1_25partition_config_selectorILNS1_17partition_subalgoE4EjNS0_10empty_typeEbEEZZNS1_14partition_implILS8_4ELb0ES6_15HIP_vector_typeIjLj2EENS0_17counting_iteratorIjlEEPS9_SG_NS0_5tupleIJPjSI_NS0_16reverse_iteratorISI_EEEEENSH_IJSG_SG_SG_EEES9_SI_JZNS1_25segmented_radix_sort_implINS0_14default_configELb1EPKbPbPKlPlN2at6native12_GLOBAL__N_18offset_tEEE10hipError_tPvRmT1_PNSt15iterator_traitsIS12_E10value_typeET2_T3_PNS13_IS18_E10value_typeET4_jRbjT5_S1E_jjP12ihipStream_tbEUljE_ZNSN_ISO_Lb1ESQ_SR_ST_SU_SY_EESZ_S10_S11_S12_S16_S17_S18_S1B_S1C_jS1D_jS1E_S1E_jjS1G_bEUljE0_EEESZ_S10_S11_S18_S1C_S1E_T6_T7_T9_mT8_S1G_bDpT10_ENKUlT_T0_E_clISt17integral_constantIbLb1EES1U_EEDaS1P_S1Q_EUlS1P_E_NS1_11comp_targetILNS1_3genE3ELNS1_11target_archE908ELNS1_3gpuE7ELNS1_3repE0EEENS1_30default_config_static_selectorELNS0_4arch9wavefront6targetE1EEEvS12_.num_vgpr, 0
	.set _ZN7rocprim17ROCPRIM_400000_NS6detail17trampoline_kernelINS0_13select_configILj256ELj13ELNS0_17block_load_methodE3ELS4_3ELS4_3ELNS0_20block_scan_algorithmE0ELj4294967295EEENS1_25partition_config_selectorILNS1_17partition_subalgoE4EjNS0_10empty_typeEbEEZZNS1_14partition_implILS8_4ELb0ES6_15HIP_vector_typeIjLj2EENS0_17counting_iteratorIjlEEPS9_SG_NS0_5tupleIJPjSI_NS0_16reverse_iteratorISI_EEEEENSH_IJSG_SG_SG_EEES9_SI_JZNS1_25segmented_radix_sort_implINS0_14default_configELb1EPKbPbPKlPlN2at6native12_GLOBAL__N_18offset_tEEE10hipError_tPvRmT1_PNSt15iterator_traitsIS12_E10value_typeET2_T3_PNS13_IS18_E10value_typeET4_jRbjT5_S1E_jjP12ihipStream_tbEUljE_ZNSN_ISO_Lb1ESQ_SR_ST_SU_SY_EESZ_S10_S11_S12_S16_S17_S18_S1B_S1C_jS1D_jS1E_S1E_jjS1G_bEUljE0_EEESZ_S10_S11_S18_S1C_S1E_T6_T7_T9_mT8_S1G_bDpT10_ENKUlT_T0_E_clISt17integral_constantIbLb1EES1U_EEDaS1P_S1Q_EUlS1P_E_NS1_11comp_targetILNS1_3genE3ELNS1_11target_archE908ELNS1_3gpuE7ELNS1_3repE0EEENS1_30default_config_static_selectorELNS0_4arch9wavefront6targetE1EEEvS12_.num_agpr, 0
	.set _ZN7rocprim17ROCPRIM_400000_NS6detail17trampoline_kernelINS0_13select_configILj256ELj13ELNS0_17block_load_methodE3ELS4_3ELS4_3ELNS0_20block_scan_algorithmE0ELj4294967295EEENS1_25partition_config_selectorILNS1_17partition_subalgoE4EjNS0_10empty_typeEbEEZZNS1_14partition_implILS8_4ELb0ES6_15HIP_vector_typeIjLj2EENS0_17counting_iteratorIjlEEPS9_SG_NS0_5tupleIJPjSI_NS0_16reverse_iteratorISI_EEEEENSH_IJSG_SG_SG_EEES9_SI_JZNS1_25segmented_radix_sort_implINS0_14default_configELb1EPKbPbPKlPlN2at6native12_GLOBAL__N_18offset_tEEE10hipError_tPvRmT1_PNSt15iterator_traitsIS12_E10value_typeET2_T3_PNS13_IS18_E10value_typeET4_jRbjT5_S1E_jjP12ihipStream_tbEUljE_ZNSN_ISO_Lb1ESQ_SR_ST_SU_SY_EESZ_S10_S11_S12_S16_S17_S18_S1B_S1C_jS1D_jS1E_S1E_jjS1G_bEUljE0_EEESZ_S10_S11_S18_S1C_S1E_T6_T7_T9_mT8_S1G_bDpT10_ENKUlT_T0_E_clISt17integral_constantIbLb1EES1U_EEDaS1P_S1Q_EUlS1P_E_NS1_11comp_targetILNS1_3genE3ELNS1_11target_archE908ELNS1_3gpuE7ELNS1_3repE0EEENS1_30default_config_static_selectorELNS0_4arch9wavefront6targetE1EEEvS12_.numbered_sgpr, 0
	.set _ZN7rocprim17ROCPRIM_400000_NS6detail17trampoline_kernelINS0_13select_configILj256ELj13ELNS0_17block_load_methodE3ELS4_3ELS4_3ELNS0_20block_scan_algorithmE0ELj4294967295EEENS1_25partition_config_selectorILNS1_17partition_subalgoE4EjNS0_10empty_typeEbEEZZNS1_14partition_implILS8_4ELb0ES6_15HIP_vector_typeIjLj2EENS0_17counting_iteratorIjlEEPS9_SG_NS0_5tupleIJPjSI_NS0_16reverse_iteratorISI_EEEEENSH_IJSG_SG_SG_EEES9_SI_JZNS1_25segmented_radix_sort_implINS0_14default_configELb1EPKbPbPKlPlN2at6native12_GLOBAL__N_18offset_tEEE10hipError_tPvRmT1_PNSt15iterator_traitsIS12_E10value_typeET2_T3_PNS13_IS18_E10value_typeET4_jRbjT5_S1E_jjP12ihipStream_tbEUljE_ZNSN_ISO_Lb1ESQ_SR_ST_SU_SY_EESZ_S10_S11_S12_S16_S17_S18_S1B_S1C_jS1D_jS1E_S1E_jjS1G_bEUljE0_EEESZ_S10_S11_S18_S1C_S1E_T6_T7_T9_mT8_S1G_bDpT10_ENKUlT_T0_E_clISt17integral_constantIbLb1EES1U_EEDaS1P_S1Q_EUlS1P_E_NS1_11comp_targetILNS1_3genE3ELNS1_11target_archE908ELNS1_3gpuE7ELNS1_3repE0EEENS1_30default_config_static_selectorELNS0_4arch9wavefront6targetE1EEEvS12_.num_named_barrier, 0
	.set _ZN7rocprim17ROCPRIM_400000_NS6detail17trampoline_kernelINS0_13select_configILj256ELj13ELNS0_17block_load_methodE3ELS4_3ELS4_3ELNS0_20block_scan_algorithmE0ELj4294967295EEENS1_25partition_config_selectorILNS1_17partition_subalgoE4EjNS0_10empty_typeEbEEZZNS1_14partition_implILS8_4ELb0ES6_15HIP_vector_typeIjLj2EENS0_17counting_iteratorIjlEEPS9_SG_NS0_5tupleIJPjSI_NS0_16reverse_iteratorISI_EEEEENSH_IJSG_SG_SG_EEES9_SI_JZNS1_25segmented_radix_sort_implINS0_14default_configELb1EPKbPbPKlPlN2at6native12_GLOBAL__N_18offset_tEEE10hipError_tPvRmT1_PNSt15iterator_traitsIS12_E10value_typeET2_T3_PNS13_IS18_E10value_typeET4_jRbjT5_S1E_jjP12ihipStream_tbEUljE_ZNSN_ISO_Lb1ESQ_SR_ST_SU_SY_EESZ_S10_S11_S12_S16_S17_S18_S1B_S1C_jS1D_jS1E_S1E_jjS1G_bEUljE0_EEESZ_S10_S11_S18_S1C_S1E_T6_T7_T9_mT8_S1G_bDpT10_ENKUlT_T0_E_clISt17integral_constantIbLb1EES1U_EEDaS1P_S1Q_EUlS1P_E_NS1_11comp_targetILNS1_3genE3ELNS1_11target_archE908ELNS1_3gpuE7ELNS1_3repE0EEENS1_30default_config_static_selectorELNS0_4arch9wavefront6targetE1EEEvS12_.private_seg_size, 0
	.set _ZN7rocprim17ROCPRIM_400000_NS6detail17trampoline_kernelINS0_13select_configILj256ELj13ELNS0_17block_load_methodE3ELS4_3ELS4_3ELNS0_20block_scan_algorithmE0ELj4294967295EEENS1_25partition_config_selectorILNS1_17partition_subalgoE4EjNS0_10empty_typeEbEEZZNS1_14partition_implILS8_4ELb0ES6_15HIP_vector_typeIjLj2EENS0_17counting_iteratorIjlEEPS9_SG_NS0_5tupleIJPjSI_NS0_16reverse_iteratorISI_EEEEENSH_IJSG_SG_SG_EEES9_SI_JZNS1_25segmented_radix_sort_implINS0_14default_configELb1EPKbPbPKlPlN2at6native12_GLOBAL__N_18offset_tEEE10hipError_tPvRmT1_PNSt15iterator_traitsIS12_E10value_typeET2_T3_PNS13_IS18_E10value_typeET4_jRbjT5_S1E_jjP12ihipStream_tbEUljE_ZNSN_ISO_Lb1ESQ_SR_ST_SU_SY_EESZ_S10_S11_S12_S16_S17_S18_S1B_S1C_jS1D_jS1E_S1E_jjS1G_bEUljE0_EEESZ_S10_S11_S18_S1C_S1E_T6_T7_T9_mT8_S1G_bDpT10_ENKUlT_T0_E_clISt17integral_constantIbLb1EES1U_EEDaS1P_S1Q_EUlS1P_E_NS1_11comp_targetILNS1_3genE3ELNS1_11target_archE908ELNS1_3gpuE7ELNS1_3repE0EEENS1_30default_config_static_selectorELNS0_4arch9wavefront6targetE1EEEvS12_.uses_vcc, 0
	.set _ZN7rocprim17ROCPRIM_400000_NS6detail17trampoline_kernelINS0_13select_configILj256ELj13ELNS0_17block_load_methodE3ELS4_3ELS4_3ELNS0_20block_scan_algorithmE0ELj4294967295EEENS1_25partition_config_selectorILNS1_17partition_subalgoE4EjNS0_10empty_typeEbEEZZNS1_14partition_implILS8_4ELb0ES6_15HIP_vector_typeIjLj2EENS0_17counting_iteratorIjlEEPS9_SG_NS0_5tupleIJPjSI_NS0_16reverse_iteratorISI_EEEEENSH_IJSG_SG_SG_EEES9_SI_JZNS1_25segmented_radix_sort_implINS0_14default_configELb1EPKbPbPKlPlN2at6native12_GLOBAL__N_18offset_tEEE10hipError_tPvRmT1_PNSt15iterator_traitsIS12_E10value_typeET2_T3_PNS13_IS18_E10value_typeET4_jRbjT5_S1E_jjP12ihipStream_tbEUljE_ZNSN_ISO_Lb1ESQ_SR_ST_SU_SY_EESZ_S10_S11_S12_S16_S17_S18_S1B_S1C_jS1D_jS1E_S1E_jjS1G_bEUljE0_EEESZ_S10_S11_S18_S1C_S1E_T6_T7_T9_mT8_S1G_bDpT10_ENKUlT_T0_E_clISt17integral_constantIbLb1EES1U_EEDaS1P_S1Q_EUlS1P_E_NS1_11comp_targetILNS1_3genE3ELNS1_11target_archE908ELNS1_3gpuE7ELNS1_3repE0EEENS1_30default_config_static_selectorELNS0_4arch9wavefront6targetE1EEEvS12_.uses_flat_scratch, 0
	.set _ZN7rocprim17ROCPRIM_400000_NS6detail17trampoline_kernelINS0_13select_configILj256ELj13ELNS0_17block_load_methodE3ELS4_3ELS4_3ELNS0_20block_scan_algorithmE0ELj4294967295EEENS1_25partition_config_selectorILNS1_17partition_subalgoE4EjNS0_10empty_typeEbEEZZNS1_14partition_implILS8_4ELb0ES6_15HIP_vector_typeIjLj2EENS0_17counting_iteratorIjlEEPS9_SG_NS0_5tupleIJPjSI_NS0_16reverse_iteratorISI_EEEEENSH_IJSG_SG_SG_EEES9_SI_JZNS1_25segmented_radix_sort_implINS0_14default_configELb1EPKbPbPKlPlN2at6native12_GLOBAL__N_18offset_tEEE10hipError_tPvRmT1_PNSt15iterator_traitsIS12_E10value_typeET2_T3_PNS13_IS18_E10value_typeET4_jRbjT5_S1E_jjP12ihipStream_tbEUljE_ZNSN_ISO_Lb1ESQ_SR_ST_SU_SY_EESZ_S10_S11_S12_S16_S17_S18_S1B_S1C_jS1D_jS1E_S1E_jjS1G_bEUljE0_EEESZ_S10_S11_S18_S1C_S1E_T6_T7_T9_mT8_S1G_bDpT10_ENKUlT_T0_E_clISt17integral_constantIbLb1EES1U_EEDaS1P_S1Q_EUlS1P_E_NS1_11comp_targetILNS1_3genE3ELNS1_11target_archE908ELNS1_3gpuE7ELNS1_3repE0EEENS1_30default_config_static_selectorELNS0_4arch9wavefront6targetE1EEEvS12_.has_dyn_sized_stack, 0
	.set _ZN7rocprim17ROCPRIM_400000_NS6detail17trampoline_kernelINS0_13select_configILj256ELj13ELNS0_17block_load_methodE3ELS4_3ELS4_3ELNS0_20block_scan_algorithmE0ELj4294967295EEENS1_25partition_config_selectorILNS1_17partition_subalgoE4EjNS0_10empty_typeEbEEZZNS1_14partition_implILS8_4ELb0ES6_15HIP_vector_typeIjLj2EENS0_17counting_iteratorIjlEEPS9_SG_NS0_5tupleIJPjSI_NS0_16reverse_iteratorISI_EEEEENSH_IJSG_SG_SG_EEES9_SI_JZNS1_25segmented_radix_sort_implINS0_14default_configELb1EPKbPbPKlPlN2at6native12_GLOBAL__N_18offset_tEEE10hipError_tPvRmT1_PNSt15iterator_traitsIS12_E10value_typeET2_T3_PNS13_IS18_E10value_typeET4_jRbjT5_S1E_jjP12ihipStream_tbEUljE_ZNSN_ISO_Lb1ESQ_SR_ST_SU_SY_EESZ_S10_S11_S12_S16_S17_S18_S1B_S1C_jS1D_jS1E_S1E_jjS1G_bEUljE0_EEESZ_S10_S11_S18_S1C_S1E_T6_T7_T9_mT8_S1G_bDpT10_ENKUlT_T0_E_clISt17integral_constantIbLb1EES1U_EEDaS1P_S1Q_EUlS1P_E_NS1_11comp_targetILNS1_3genE3ELNS1_11target_archE908ELNS1_3gpuE7ELNS1_3repE0EEENS1_30default_config_static_selectorELNS0_4arch9wavefront6targetE1EEEvS12_.has_recursion, 0
	.set _ZN7rocprim17ROCPRIM_400000_NS6detail17trampoline_kernelINS0_13select_configILj256ELj13ELNS0_17block_load_methodE3ELS4_3ELS4_3ELNS0_20block_scan_algorithmE0ELj4294967295EEENS1_25partition_config_selectorILNS1_17partition_subalgoE4EjNS0_10empty_typeEbEEZZNS1_14partition_implILS8_4ELb0ES6_15HIP_vector_typeIjLj2EENS0_17counting_iteratorIjlEEPS9_SG_NS0_5tupleIJPjSI_NS0_16reverse_iteratorISI_EEEEENSH_IJSG_SG_SG_EEES9_SI_JZNS1_25segmented_radix_sort_implINS0_14default_configELb1EPKbPbPKlPlN2at6native12_GLOBAL__N_18offset_tEEE10hipError_tPvRmT1_PNSt15iterator_traitsIS12_E10value_typeET2_T3_PNS13_IS18_E10value_typeET4_jRbjT5_S1E_jjP12ihipStream_tbEUljE_ZNSN_ISO_Lb1ESQ_SR_ST_SU_SY_EESZ_S10_S11_S12_S16_S17_S18_S1B_S1C_jS1D_jS1E_S1E_jjS1G_bEUljE0_EEESZ_S10_S11_S18_S1C_S1E_T6_T7_T9_mT8_S1G_bDpT10_ENKUlT_T0_E_clISt17integral_constantIbLb1EES1U_EEDaS1P_S1Q_EUlS1P_E_NS1_11comp_targetILNS1_3genE3ELNS1_11target_archE908ELNS1_3gpuE7ELNS1_3repE0EEENS1_30default_config_static_selectorELNS0_4arch9wavefront6targetE1EEEvS12_.has_indirect_call, 0
	.section	.AMDGPU.csdata,"",@progbits
; Kernel info:
; codeLenInByte = 0
; TotalNumSgprs: 4
; NumVgprs: 0
; ScratchSize: 0
; MemoryBound: 0
; FloatMode: 240
; IeeeMode: 1
; LDSByteSize: 0 bytes/workgroup (compile time only)
; SGPRBlocks: 0
; VGPRBlocks: 0
; NumSGPRsForWavesPerEU: 4
; NumVGPRsForWavesPerEU: 1
; Occupancy: 10
; WaveLimiterHint : 0
; COMPUTE_PGM_RSRC2:SCRATCH_EN: 0
; COMPUTE_PGM_RSRC2:USER_SGPR: 6
; COMPUTE_PGM_RSRC2:TRAP_HANDLER: 0
; COMPUTE_PGM_RSRC2:TGID_X_EN: 1
; COMPUTE_PGM_RSRC2:TGID_Y_EN: 0
; COMPUTE_PGM_RSRC2:TGID_Z_EN: 0
; COMPUTE_PGM_RSRC2:TIDIG_COMP_CNT: 0
	.section	.text._ZN7rocprim17ROCPRIM_400000_NS6detail17trampoline_kernelINS0_13select_configILj256ELj13ELNS0_17block_load_methodE3ELS4_3ELS4_3ELNS0_20block_scan_algorithmE0ELj4294967295EEENS1_25partition_config_selectorILNS1_17partition_subalgoE4EjNS0_10empty_typeEbEEZZNS1_14partition_implILS8_4ELb0ES6_15HIP_vector_typeIjLj2EENS0_17counting_iteratorIjlEEPS9_SG_NS0_5tupleIJPjSI_NS0_16reverse_iteratorISI_EEEEENSH_IJSG_SG_SG_EEES9_SI_JZNS1_25segmented_radix_sort_implINS0_14default_configELb1EPKbPbPKlPlN2at6native12_GLOBAL__N_18offset_tEEE10hipError_tPvRmT1_PNSt15iterator_traitsIS12_E10value_typeET2_T3_PNS13_IS18_E10value_typeET4_jRbjT5_S1E_jjP12ihipStream_tbEUljE_ZNSN_ISO_Lb1ESQ_SR_ST_SU_SY_EESZ_S10_S11_S12_S16_S17_S18_S1B_S1C_jS1D_jS1E_S1E_jjS1G_bEUljE0_EEESZ_S10_S11_S18_S1C_S1E_T6_T7_T9_mT8_S1G_bDpT10_ENKUlT_T0_E_clISt17integral_constantIbLb1EES1U_EEDaS1P_S1Q_EUlS1P_E_NS1_11comp_targetILNS1_3genE2ELNS1_11target_archE906ELNS1_3gpuE6ELNS1_3repE0EEENS1_30default_config_static_selectorELNS0_4arch9wavefront6targetE1EEEvS12_,"axG",@progbits,_ZN7rocprim17ROCPRIM_400000_NS6detail17trampoline_kernelINS0_13select_configILj256ELj13ELNS0_17block_load_methodE3ELS4_3ELS4_3ELNS0_20block_scan_algorithmE0ELj4294967295EEENS1_25partition_config_selectorILNS1_17partition_subalgoE4EjNS0_10empty_typeEbEEZZNS1_14partition_implILS8_4ELb0ES6_15HIP_vector_typeIjLj2EENS0_17counting_iteratorIjlEEPS9_SG_NS0_5tupleIJPjSI_NS0_16reverse_iteratorISI_EEEEENSH_IJSG_SG_SG_EEES9_SI_JZNS1_25segmented_radix_sort_implINS0_14default_configELb1EPKbPbPKlPlN2at6native12_GLOBAL__N_18offset_tEEE10hipError_tPvRmT1_PNSt15iterator_traitsIS12_E10value_typeET2_T3_PNS13_IS18_E10value_typeET4_jRbjT5_S1E_jjP12ihipStream_tbEUljE_ZNSN_ISO_Lb1ESQ_SR_ST_SU_SY_EESZ_S10_S11_S12_S16_S17_S18_S1B_S1C_jS1D_jS1E_S1E_jjS1G_bEUljE0_EEESZ_S10_S11_S18_S1C_S1E_T6_T7_T9_mT8_S1G_bDpT10_ENKUlT_T0_E_clISt17integral_constantIbLb1EES1U_EEDaS1P_S1Q_EUlS1P_E_NS1_11comp_targetILNS1_3genE2ELNS1_11target_archE906ELNS1_3gpuE6ELNS1_3repE0EEENS1_30default_config_static_selectorELNS0_4arch9wavefront6targetE1EEEvS12_,comdat
	.globl	_ZN7rocprim17ROCPRIM_400000_NS6detail17trampoline_kernelINS0_13select_configILj256ELj13ELNS0_17block_load_methodE3ELS4_3ELS4_3ELNS0_20block_scan_algorithmE0ELj4294967295EEENS1_25partition_config_selectorILNS1_17partition_subalgoE4EjNS0_10empty_typeEbEEZZNS1_14partition_implILS8_4ELb0ES6_15HIP_vector_typeIjLj2EENS0_17counting_iteratorIjlEEPS9_SG_NS0_5tupleIJPjSI_NS0_16reverse_iteratorISI_EEEEENSH_IJSG_SG_SG_EEES9_SI_JZNS1_25segmented_radix_sort_implINS0_14default_configELb1EPKbPbPKlPlN2at6native12_GLOBAL__N_18offset_tEEE10hipError_tPvRmT1_PNSt15iterator_traitsIS12_E10value_typeET2_T3_PNS13_IS18_E10value_typeET4_jRbjT5_S1E_jjP12ihipStream_tbEUljE_ZNSN_ISO_Lb1ESQ_SR_ST_SU_SY_EESZ_S10_S11_S12_S16_S17_S18_S1B_S1C_jS1D_jS1E_S1E_jjS1G_bEUljE0_EEESZ_S10_S11_S18_S1C_S1E_T6_T7_T9_mT8_S1G_bDpT10_ENKUlT_T0_E_clISt17integral_constantIbLb1EES1U_EEDaS1P_S1Q_EUlS1P_E_NS1_11comp_targetILNS1_3genE2ELNS1_11target_archE906ELNS1_3gpuE6ELNS1_3repE0EEENS1_30default_config_static_selectorELNS0_4arch9wavefront6targetE1EEEvS12_ ; -- Begin function _ZN7rocprim17ROCPRIM_400000_NS6detail17trampoline_kernelINS0_13select_configILj256ELj13ELNS0_17block_load_methodE3ELS4_3ELS4_3ELNS0_20block_scan_algorithmE0ELj4294967295EEENS1_25partition_config_selectorILNS1_17partition_subalgoE4EjNS0_10empty_typeEbEEZZNS1_14partition_implILS8_4ELb0ES6_15HIP_vector_typeIjLj2EENS0_17counting_iteratorIjlEEPS9_SG_NS0_5tupleIJPjSI_NS0_16reverse_iteratorISI_EEEEENSH_IJSG_SG_SG_EEES9_SI_JZNS1_25segmented_radix_sort_implINS0_14default_configELb1EPKbPbPKlPlN2at6native12_GLOBAL__N_18offset_tEEE10hipError_tPvRmT1_PNSt15iterator_traitsIS12_E10value_typeET2_T3_PNS13_IS18_E10value_typeET4_jRbjT5_S1E_jjP12ihipStream_tbEUljE_ZNSN_ISO_Lb1ESQ_SR_ST_SU_SY_EESZ_S10_S11_S12_S16_S17_S18_S1B_S1C_jS1D_jS1E_S1E_jjS1G_bEUljE0_EEESZ_S10_S11_S18_S1C_S1E_T6_T7_T9_mT8_S1G_bDpT10_ENKUlT_T0_E_clISt17integral_constantIbLb1EES1U_EEDaS1P_S1Q_EUlS1P_E_NS1_11comp_targetILNS1_3genE2ELNS1_11target_archE906ELNS1_3gpuE6ELNS1_3repE0EEENS1_30default_config_static_selectorELNS0_4arch9wavefront6targetE1EEEvS12_
	.p2align	8
	.type	_ZN7rocprim17ROCPRIM_400000_NS6detail17trampoline_kernelINS0_13select_configILj256ELj13ELNS0_17block_load_methodE3ELS4_3ELS4_3ELNS0_20block_scan_algorithmE0ELj4294967295EEENS1_25partition_config_selectorILNS1_17partition_subalgoE4EjNS0_10empty_typeEbEEZZNS1_14partition_implILS8_4ELb0ES6_15HIP_vector_typeIjLj2EENS0_17counting_iteratorIjlEEPS9_SG_NS0_5tupleIJPjSI_NS0_16reverse_iteratorISI_EEEEENSH_IJSG_SG_SG_EEES9_SI_JZNS1_25segmented_radix_sort_implINS0_14default_configELb1EPKbPbPKlPlN2at6native12_GLOBAL__N_18offset_tEEE10hipError_tPvRmT1_PNSt15iterator_traitsIS12_E10value_typeET2_T3_PNS13_IS18_E10value_typeET4_jRbjT5_S1E_jjP12ihipStream_tbEUljE_ZNSN_ISO_Lb1ESQ_SR_ST_SU_SY_EESZ_S10_S11_S12_S16_S17_S18_S1B_S1C_jS1D_jS1E_S1E_jjS1G_bEUljE0_EEESZ_S10_S11_S18_S1C_S1E_T6_T7_T9_mT8_S1G_bDpT10_ENKUlT_T0_E_clISt17integral_constantIbLb1EES1U_EEDaS1P_S1Q_EUlS1P_E_NS1_11comp_targetILNS1_3genE2ELNS1_11target_archE906ELNS1_3gpuE6ELNS1_3repE0EEENS1_30default_config_static_selectorELNS0_4arch9wavefront6targetE1EEEvS12_,@function
_ZN7rocprim17ROCPRIM_400000_NS6detail17trampoline_kernelINS0_13select_configILj256ELj13ELNS0_17block_load_methodE3ELS4_3ELS4_3ELNS0_20block_scan_algorithmE0ELj4294967295EEENS1_25partition_config_selectorILNS1_17partition_subalgoE4EjNS0_10empty_typeEbEEZZNS1_14partition_implILS8_4ELb0ES6_15HIP_vector_typeIjLj2EENS0_17counting_iteratorIjlEEPS9_SG_NS0_5tupleIJPjSI_NS0_16reverse_iteratorISI_EEEEENSH_IJSG_SG_SG_EEES9_SI_JZNS1_25segmented_radix_sort_implINS0_14default_configELb1EPKbPbPKlPlN2at6native12_GLOBAL__N_18offset_tEEE10hipError_tPvRmT1_PNSt15iterator_traitsIS12_E10value_typeET2_T3_PNS13_IS18_E10value_typeET4_jRbjT5_S1E_jjP12ihipStream_tbEUljE_ZNSN_ISO_Lb1ESQ_SR_ST_SU_SY_EESZ_S10_S11_S12_S16_S17_S18_S1B_S1C_jS1D_jS1E_S1E_jjS1G_bEUljE0_EEESZ_S10_S11_S18_S1C_S1E_T6_T7_T9_mT8_S1G_bDpT10_ENKUlT_T0_E_clISt17integral_constantIbLb1EES1U_EEDaS1P_S1Q_EUlS1P_E_NS1_11comp_targetILNS1_3genE2ELNS1_11target_archE906ELNS1_3gpuE6ELNS1_3repE0EEENS1_30default_config_static_selectorELNS0_4arch9wavefront6targetE1EEEvS12_: ; @_ZN7rocprim17ROCPRIM_400000_NS6detail17trampoline_kernelINS0_13select_configILj256ELj13ELNS0_17block_load_methodE3ELS4_3ELS4_3ELNS0_20block_scan_algorithmE0ELj4294967295EEENS1_25partition_config_selectorILNS1_17partition_subalgoE4EjNS0_10empty_typeEbEEZZNS1_14partition_implILS8_4ELb0ES6_15HIP_vector_typeIjLj2EENS0_17counting_iteratorIjlEEPS9_SG_NS0_5tupleIJPjSI_NS0_16reverse_iteratorISI_EEEEENSH_IJSG_SG_SG_EEES9_SI_JZNS1_25segmented_radix_sort_implINS0_14default_configELb1EPKbPbPKlPlN2at6native12_GLOBAL__N_18offset_tEEE10hipError_tPvRmT1_PNSt15iterator_traitsIS12_E10value_typeET2_T3_PNS13_IS18_E10value_typeET4_jRbjT5_S1E_jjP12ihipStream_tbEUljE_ZNSN_ISO_Lb1ESQ_SR_ST_SU_SY_EESZ_S10_S11_S12_S16_S17_S18_S1B_S1C_jS1D_jS1E_S1E_jjS1G_bEUljE0_EEESZ_S10_S11_S18_S1C_S1E_T6_T7_T9_mT8_S1G_bDpT10_ENKUlT_T0_E_clISt17integral_constantIbLb1EES1U_EEDaS1P_S1Q_EUlS1P_E_NS1_11comp_targetILNS1_3genE2ELNS1_11target_archE906ELNS1_3gpuE6ELNS1_3repE0EEENS1_30default_config_static_selectorELNS0_4arch9wavefront6targetE1EEEvS12_
; %bb.0:
	s_endpgm
	.section	.rodata,"a",@progbits
	.p2align	6, 0x0
	.amdhsa_kernel _ZN7rocprim17ROCPRIM_400000_NS6detail17trampoline_kernelINS0_13select_configILj256ELj13ELNS0_17block_load_methodE3ELS4_3ELS4_3ELNS0_20block_scan_algorithmE0ELj4294967295EEENS1_25partition_config_selectorILNS1_17partition_subalgoE4EjNS0_10empty_typeEbEEZZNS1_14partition_implILS8_4ELb0ES6_15HIP_vector_typeIjLj2EENS0_17counting_iteratorIjlEEPS9_SG_NS0_5tupleIJPjSI_NS0_16reverse_iteratorISI_EEEEENSH_IJSG_SG_SG_EEES9_SI_JZNS1_25segmented_radix_sort_implINS0_14default_configELb1EPKbPbPKlPlN2at6native12_GLOBAL__N_18offset_tEEE10hipError_tPvRmT1_PNSt15iterator_traitsIS12_E10value_typeET2_T3_PNS13_IS18_E10value_typeET4_jRbjT5_S1E_jjP12ihipStream_tbEUljE_ZNSN_ISO_Lb1ESQ_SR_ST_SU_SY_EESZ_S10_S11_S12_S16_S17_S18_S1B_S1C_jS1D_jS1E_S1E_jjS1G_bEUljE0_EEESZ_S10_S11_S18_S1C_S1E_T6_T7_T9_mT8_S1G_bDpT10_ENKUlT_T0_E_clISt17integral_constantIbLb1EES1U_EEDaS1P_S1Q_EUlS1P_E_NS1_11comp_targetILNS1_3genE2ELNS1_11target_archE906ELNS1_3gpuE6ELNS1_3repE0EEENS1_30default_config_static_selectorELNS0_4arch9wavefront6targetE1EEEvS12_
		.amdhsa_group_segment_fixed_size 0
		.amdhsa_private_segment_fixed_size 0
		.amdhsa_kernarg_size 184
		.amdhsa_user_sgpr_count 6
		.amdhsa_user_sgpr_private_segment_buffer 1
		.amdhsa_user_sgpr_dispatch_ptr 0
		.amdhsa_user_sgpr_queue_ptr 0
		.amdhsa_user_sgpr_kernarg_segment_ptr 1
		.amdhsa_user_sgpr_dispatch_id 0
		.amdhsa_user_sgpr_flat_scratch_init 0
		.amdhsa_user_sgpr_private_segment_size 0
		.amdhsa_uses_dynamic_stack 0
		.amdhsa_system_sgpr_private_segment_wavefront_offset 0
		.amdhsa_system_sgpr_workgroup_id_x 1
		.amdhsa_system_sgpr_workgroup_id_y 0
		.amdhsa_system_sgpr_workgroup_id_z 0
		.amdhsa_system_sgpr_workgroup_info 0
		.amdhsa_system_vgpr_workitem_id 0
		.amdhsa_next_free_vgpr 1
		.amdhsa_next_free_sgpr 0
		.amdhsa_reserve_vcc 0
		.amdhsa_reserve_flat_scratch 0
		.amdhsa_float_round_mode_32 0
		.amdhsa_float_round_mode_16_64 0
		.amdhsa_float_denorm_mode_32 3
		.amdhsa_float_denorm_mode_16_64 3
		.amdhsa_dx10_clamp 1
		.amdhsa_ieee_mode 1
		.amdhsa_fp16_overflow 0
		.amdhsa_exception_fp_ieee_invalid_op 0
		.amdhsa_exception_fp_denorm_src 0
		.amdhsa_exception_fp_ieee_div_zero 0
		.amdhsa_exception_fp_ieee_overflow 0
		.amdhsa_exception_fp_ieee_underflow 0
		.amdhsa_exception_fp_ieee_inexact 0
		.amdhsa_exception_int_div_zero 0
	.end_amdhsa_kernel
	.section	.text._ZN7rocprim17ROCPRIM_400000_NS6detail17trampoline_kernelINS0_13select_configILj256ELj13ELNS0_17block_load_methodE3ELS4_3ELS4_3ELNS0_20block_scan_algorithmE0ELj4294967295EEENS1_25partition_config_selectorILNS1_17partition_subalgoE4EjNS0_10empty_typeEbEEZZNS1_14partition_implILS8_4ELb0ES6_15HIP_vector_typeIjLj2EENS0_17counting_iteratorIjlEEPS9_SG_NS0_5tupleIJPjSI_NS0_16reverse_iteratorISI_EEEEENSH_IJSG_SG_SG_EEES9_SI_JZNS1_25segmented_radix_sort_implINS0_14default_configELb1EPKbPbPKlPlN2at6native12_GLOBAL__N_18offset_tEEE10hipError_tPvRmT1_PNSt15iterator_traitsIS12_E10value_typeET2_T3_PNS13_IS18_E10value_typeET4_jRbjT5_S1E_jjP12ihipStream_tbEUljE_ZNSN_ISO_Lb1ESQ_SR_ST_SU_SY_EESZ_S10_S11_S12_S16_S17_S18_S1B_S1C_jS1D_jS1E_S1E_jjS1G_bEUljE0_EEESZ_S10_S11_S18_S1C_S1E_T6_T7_T9_mT8_S1G_bDpT10_ENKUlT_T0_E_clISt17integral_constantIbLb1EES1U_EEDaS1P_S1Q_EUlS1P_E_NS1_11comp_targetILNS1_3genE2ELNS1_11target_archE906ELNS1_3gpuE6ELNS1_3repE0EEENS1_30default_config_static_selectorELNS0_4arch9wavefront6targetE1EEEvS12_,"axG",@progbits,_ZN7rocprim17ROCPRIM_400000_NS6detail17trampoline_kernelINS0_13select_configILj256ELj13ELNS0_17block_load_methodE3ELS4_3ELS4_3ELNS0_20block_scan_algorithmE0ELj4294967295EEENS1_25partition_config_selectorILNS1_17partition_subalgoE4EjNS0_10empty_typeEbEEZZNS1_14partition_implILS8_4ELb0ES6_15HIP_vector_typeIjLj2EENS0_17counting_iteratorIjlEEPS9_SG_NS0_5tupleIJPjSI_NS0_16reverse_iteratorISI_EEEEENSH_IJSG_SG_SG_EEES9_SI_JZNS1_25segmented_radix_sort_implINS0_14default_configELb1EPKbPbPKlPlN2at6native12_GLOBAL__N_18offset_tEEE10hipError_tPvRmT1_PNSt15iterator_traitsIS12_E10value_typeET2_T3_PNS13_IS18_E10value_typeET4_jRbjT5_S1E_jjP12ihipStream_tbEUljE_ZNSN_ISO_Lb1ESQ_SR_ST_SU_SY_EESZ_S10_S11_S12_S16_S17_S18_S1B_S1C_jS1D_jS1E_S1E_jjS1G_bEUljE0_EEESZ_S10_S11_S18_S1C_S1E_T6_T7_T9_mT8_S1G_bDpT10_ENKUlT_T0_E_clISt17integral_constantIbLb1EES1U_EEDaS1P_S1Q_EUlS1P_E_NS1_11comp_targetILNS1_3genE2ELNS1_11target_archE906ELNS1_3gpuE6ELNS1_3repE0EEENS1_30default_config_static_selectorELNS0_4arch9wavefront6targetE1EEEvS12_,comdat
.Lfunc_end1480:
	.size	_ZN7rocprim17ROCPRIM_400000_NS6detail17trampoline_kernelINS0_13select_configILj256ELj13ELNS0_17block_load_methodE3ELS4_3ELS4_3ELNS0_20block_scan_algorithmE0ELj4294967295EEENS1_25partition_config_selectorILNS1_17partition_subalgoE4EjNS0_10empty_typeEbEEZZNS1_14partition_implILS8_4ELb0ES6_15HIP_vector_typeIjLj2EENS0_17counting_iteratorIjlEEPS9_SG_NS0_5tupleIJPjSI_NS0_16reverse_iteratorISI_EEEEENSH_IJSG_SG_SG_EEES9_SI_JZNS1_25segmented_radix_sort_implINS0_14default_configELb1EPKbPbPKlPlN2at6native12_GLOBAL__N_18offset_tEEE10hipError_tPvRmT1_PNSt15iterator_traitsIS12_E10value_typeET2_T3_PNS13_IS18_E10value_typeET4_jRbjT5_S1E_jjP12ihipStream_tbEUljE_ZNSN_ISO_Lb1ESQ_SR_ST_SU_SY_EESZ_S10_S11_S12_S16_S17_S18_S1B_S1C_jS1D_jS1E_S1E_jjS1G_bEUljE0_EEESZ_S10_S11_S18_S1C_S1E_T6_T7_T9_mT8_S1G_bDpT10_ENKUlT_T0_E_clISt17integral_constantIbLb1EES1U_EEDaS1P_S1Q_EUlS1P_E_NS1_11comp_targetILNS1_3genE2ELNS1_11target_archE906ELNS1_3gpuE6ELNS1_3repE0EEENS1_30default_config_static_selectorELNS0_4arch9wavefront6targetE1EEEvS12_, .Lfunc_end1480-_ZN7rocprim17ROCPRIM_400000_NS6detail17trampoline_kernelINS0_13select_configILj256ELj13ELNS0_17block_load_methodE3ELS4_3ELS4_3ELNS0_20block_scan_algorithmE0ELj4294967295EEENS1_25partition_config_selectorILNS1_17partition_subalgoE4EjNS0_10empty_typeEbEEZZNS1_14partition_implILS8_4ELb0ES6_15HIP_vector_typeIjLj2EENS0_17counting_iteratorIjlEEPS9_SG_NS0_5tupleIJPjSI_NS0_16reverse_iteratorISI_EEEEENSH_IJSG_SG_SG_EEES9_SI_JZNS1_25segmented_radix_sort_implINS0_14default_configELb1EPKbPbPKlPlN2at6native12_GLOBAL__N_18offset_tEEE10hipError_tPvRmT1_PNSt15iterator_traitsIS12_E10value_typeET2_T3_PNS13_IS18_E10value_typeET4_jRbjT5_S1E_jjP12ihipStream_tbEUljE_ZNSN_ISO_Lb1ESQ_SR_ST_SU_SY_EESZ_S10_S11_S12_S16_S17_S18_S1B_S1C_jS1D_jS1E_S1E_jjS1G_bEUljE0_EEESZ_S10_S11_S18_S1C_S1E_T6_T7_T9_mT8_S1G_bDpT10_ENKUlT_T0_E_clISt17integral_constantIbLb1EES1U_EEDaS1P_S1Q_EUlS1P_E_NS1_11comp_targetILNS1_3genE2ELNS1_11target_archE906ELNS1_3gpuE6ELNS1_3repE0EEENS1_30default_config_static_selectorELNS0_4arch9wavefront6targetE1EEEvS12_
                                        ; -- End function
	.set _ZN7rocprim17ROCPRIM_400000_NS6detail17trampoline_kernelINS0_13select_configILj256ELj13ELNS0_17block_load_methodE3ELS4_3ELS4_3ELNS0_20block_scan_algorithmE0ELj4294967295EEENS1_25partition_config_selectorILNS1_17partition_subalgoE4EjNS0_10empty_typeEbEEZZNS1_14partition_implILS8_4ELb0ES6_15HIP_vector_typeIjLj2EENS0_17counting_iteratorIjlEEPS9_SG_NS0_5tupleIJPjSI_NS0_16reverse_iteratorISI_EEEEENSH_IJSG_SG_SG_EEES9_SI_JZNS1_25segmented_radix_sort_implINS0_14default_configELb1EPKbPbPKlPlN2at6native12_GLOBAL__N_18offset_tEEE10hipError_tPvRmT1_PNSt15iterator_traitsIS12_E10value_typeET2_T3_PNS13_IS18_E10value_typeET4_jRbjT5_S1E_jjP12ihipStream_tbEUljE_ZNSN_ISO_Lb1ESQ_SR_ST_SU_SY_EESZ_S10_S11_S12_S16_S17_S18_S1B_S1C_jS1D_jS1E_S1E_jjS1G_bEUljE0_EEESZ_S10_S11_S18_S1C_S1E_T6_T7_T9_mT8_S1G_bDpT10_ENKUlT_T0_E_clISt17integral_constantIbLb1EES1U_EEDaS1P_S1Q_EUlS1P_E_NS1_11comp_targetILNS1_3genE2ELNS1_11target_archE906ELNS1_3gpuE6ELNS1_3repE0EEENS1_30default_config_static_selectorELNS0_4arch9wavefront6targetE1EEEvS12_.num_vgpr, 0
	.set _ZN7rocprim17ROCPRIM_400000_NS6detail17trampoline_kernelINS0_13select_configILj256ELj13ELNS0_17block_load_methodE3ELS4_3ELS4_3ELNS0_20block_scan_algorithmE0ELj4294967295EEENS1_25partition_config_selectorILNS1_17partition_subalgoE4EjNS0_10empty_typeEbEEZZNS1_14partition_implILS8_4ELb0ES6_15HIP_vector_typeIjLj2EENS0_17counting_iteratorIjlEEPS9_SG_NS0_5tupleIJPjSI_NS0_16reverse_iteratorISI_EEEEENSH_IJSG_SG_SG_EEES9_SI_JZNS1_25segmented_radix_sort_implINS0_14default_configELb1EPKbPbPKlPlN2at6native12_GLOBAL__N_18offset_tEEE10hipError_tPvRmT1_PNSt15iterator_traitsIS12_E10value_typeET2_T3_PNS13_IS18_E10value_typeET4_jRbjT5_S1E_jjP12ihipStream_tbEUljE_ZNSN_ISO_Lb1ESQ_SR_ST_SU_SY_EESZ_S10_S11_S12_S16_S17_S18_S1B_S1C_jS1D_jS1E_S1E_jjS1G_bEUljE0_EEESZ_S10_S11_S18_S1C_S1E_T6_T7_T9_mT8_S1G_bDpT10_ENKUlT_T0_E_clISt17integral_constantIbLb1EES1U_EEDaS1P_S1Q_EUlS1P_E_NS1_11comp_targetILNS1_3genE2ELNS1_11target_archE906ELNS1_3gpuE6ELNS1_3repE0EEENS1_30default_config_static_selectorELNS0_4arch9wavefront6targetE1EEEvS12_.num_agpr, 0
	.set _ZN7rocprim17ROCPRIM_400000_NS6detail17trampoline_kernelINS0_13select_configILj256ELj13ELNS0_17block_load_methodE3ELS4_3ELS4_3ELNS0_20block_scan_algorithmE0ELj4294967295EEENS1_25partition_config_selectorILNS1_17partition_subalgoE4EjNS0_10empty_typeEbEEZZNS1_14partition_implILS8_4ELb0ES6_15HIP_vector_typeIjLj2EENS0_17counting_iteratorIjlEEPS9_SG_NS0_5tupleIJPjSI_NS0_16reverse_iteratorISI_EEEEENSH_IJSG_SG_SG_EEES9_SI_JZNS1_25segmented_radix_sort_implINS0_14default_configELb1EPKbPbPKlPlN2at6native12_GLOBAL__N_18offset_tEEE10hipError_tPvRmT1_PNSt15iterator_traitsIS12_E10value_typeET2_T3_PNS13_IS18_E10value_typeET4_jRbjT5_S1E_jjP12ihipStream_tbEUljE_ZNSN_ISO_Lb1ESQ_SR_ST_SU_SY_EESZ_S10_S11_S12_S16_S17_S18_S1B_S1C_jS1D_jS1E_S1E_jjS1G_bEUljE0_EEESZ_S10_S11_S18_S1C_S1E_T6_T7_T9_mT8_S1G_bDpT10_ENKUlT_T0_E_clISt17integral_constantIbLb1EES1U_EEDaS1P_S1Q_EUlS1P_E_NS1_11comp_targetILNS1_3genE2ELNS1_11target_archE906ELNS1_3gpuE6ELNS1_3repE0EEENS1_30default_config_static_selectorELNS0_4arch9wavefront6targetE1EEEvS12_.numbered_sgpr, 0
	.set _ZN7rocprim17ROCPRIM_400000_NS6detail17trampoline_kernelINS0_13select_configILj256ELj13ELNS0_17block_load_methodE3ELS4_3ELS4_3ELNS0_20block_scan_algorithmE0ELj4294967295EEENS1_25partition_config_selectorILNS1_17partition_subalgoE4EjNS0_10empty_typeEbEEZZNS1_14partition_implILS8_4ELb0ES6_15HIP_vector_typeIjLj2EENS0_17counting_iteratorIjlEEPS9_SG_NS0_5tupleIJPjSI_NS0_16reverse_iteratorISI_EEEEENSH_IJSG_SG_SG_EEES9_SI_JZNS1_25segmented_radix_sort_implINS0_14default_configELb1EPKbPbPKlPlN2at6native12_GLOBAL__N_18offset_tEEE10hipError_tPvRmT1_PNSt15iterator_traitsIS12_E10value_typeET2_T3_PNS13_IS18_E10value_typeET4_jRbjT5_S1E_jjP12ihipStream_tbEUljE_ZNSN_ISO_Lb1ESQ_SR_ST_SU_SY_EESZ_S10_S11_S12_S16_S17_S18_S1B_S1C_jS1D_jS1E_S1E_jjS1G_bEUljE0_EEESZ_S10_S11_S18_S1C_S1E_T6_T7_T9_mT8_S1G_bDpT10_ENKUlT_T0_E_clISt17integral_constantIbLb1EES1U_EEDaS1P_S1Q_EUlS1P_E_NS1_11comp_targetILNS1_3genE2ELNS1_11target_archE906ELNS1_3gpuE6ELNS1_3repE0EEENS1_30default_config_static_selectorELNS0_4arch9wavefront6targetE1EEEvS12_.num_named_barrier, 0
	.set _ZN7rocprim17ROCPRIM_400000_NS6detail17trampoline_kernelINS0_13select_configILj256ELj13ELNS0_17block_load_methodE3ELS4_3ELS4_3ELNS0_20block_scan_algorithmE0ELj4294967295EEENS1_25partition_config_selectorILNS1_17partition_subalgoE4EjNS0_10empty_typeEbEEZZNS1_14partition_implILS8_4ELb0ES6_15HIP_vector_typeIjLj2EENS0_17counting_iteratorIjlEEPS9_SG_NS0_5tupleIJPjSI_NS0_16reverse_iteratorISI_EEEEENSH_IJSG_SG_SG_EEES9_SI_JZNS1_25segmented_radix_sort_implINS0_14default_configELb1EPKbPbPKlPlN2at6native12_GLOBAL__N_18offset_tEEE10hipError_tPvRmT1_PNSt15iterator_traitsIS12_E10value_typeET2_T3_PNS13_IS18_E10value_typeET4_jRbjT5_S1E_jjP12ihipStream_tbEUljE_ZNSN_ISO_Lb1ESQ_SR_ST_SU_SY_EESZ_S10_S11_S12_S16_S17_S18_S1B_S1C_jS1D_jS1E_S1E_jjS1G_bEUljE0_EEESZ_S10_S11_S18_S1C_S1E_T6_T7_T9_mT8_S1G_bDpT10_ENKUlT_T0_E_clISt17integral_constantIbLb1EES1U_EEDaS1P_S1Q_EUlS1P_E_NS1_11comp_targetILNS1_3genE2ELNS1_11target_archE906ELNS1_3gpuE6ELNS1_3repE0EEENS1_30default_config_static_selectorELNS0_4arch9wavefront6targetE1EEEvS12_.private_seg_size, 0
	.set _ZN7rocprim17ROCPRIM_400000_NS6detail17trampoline_kernelINS0_13select_configILj256ELj13ELNS0_17block_load_methodE3ELS4_3ELS4_3ELNS0_20block_scan_algorithmE0ELj4294967295EEENS1_25partition_config_selectorILNS1_17partition_subalgoE4EjNS0_10empty_typeEbEEZZNS1_14partition_implILS8_4ELb0ES6_15HIP_vector_typeIjLj2EENS0_17counting_iteratorIjlEEPS9_SG_NS0_5tupleIJPjSI_NS0_16reverse_iteratorISI_EEEEENSH_IJSG_SG_SG_EEES9_SI_JZNS1_25segmented_radix_sort_implINS0_14default_configELb1EPKbPbPKlPlN2at6native12_GLOBAL__N_18offset_tEEE10hipError_tPvRmT1_PNSt15iterator_traitsIS12_E10value_typeET2_T3_PNS13_IS18_E10value_typeET4_jRbjT5_S1E_jjP12ihipStream_tbEUljE_ZNSN_ISO_Lb1ESQ_SR_ST_SU_SY_EESZ_S10_S11_S12_S16_S17_S18_S1B_S1C_jS1D_jS1E_S1E_jjS1G_bEUljE0_EEESZ_S10_S11_S18_S1C_S1E_T6_T7_T9_mT8_S1G_bDpT10_ENKUlT_T0_E_clISt17integral_constantIbLb1EES1U_EEDaS1P_S1Q_EUlS1P_E_NS1_11comp_targetILNS1_3genE2ELNS1_11target_archE906ELNS1_3gpuE6ELNS1_3repE0EEENS1_30default_config_static_selectorELNS0_4arch9wavefront6targetE1EEEvS12_.uses_vcc, 0
	.set _ZN7rocprim17ROCPRIM_400000_NS6detail17trampoline_kernelINS0_13select_configILj256ELj13ELNS0_17block_load_methodE3ELS4_3ELS4_3ELNS0_20block_scan_algorithmE0ELj4294967295EEENS1_25partition_config_selectorILNS1_17partition_subalgoE4EjNS0_10empty_typeEbEEZZNS1_14partition_implILS8_4ELb0ES6_15HIP_vector_typeIjLj2EENS0_17counting_iteratorIjlEEPS9_SG_NS0_5tupleIJPjSI_NS0_16reverse_iteratorISI_EEEEENSH_IJSG_SG_SG_EEES9_SI_JZNS1_25segmented_radix_sort_implINS0_14default_configELb1EPKbPbPKlPlN2at6native12_GLOBAL__N_18offset_tEEE10hipError_tPvRmT1_PNSt15iterator_traitsIS12_E10value_typeET2_T3_PNS13_IS18_E10value_typeET4_jRbjT5_S1E_jjP12ihipStream_tbEUljE_ZNSN_ISO_Lb1ESQ_SR_ST_SU_SY_EESZ_S10_S11_S12_S16_S17_S18_S1B_S1C_jS1D_jS1E_S1E_jjS1G_bEUljE0_EEESZ_S10_S11_S18_S1C_S1E_T6_T7_T9_mT8_S1G_bDpT10_ENKUlT_T0_E_clISt17integral_constantIbLb1EES1U_EEDaS1P_S1Q_EUlS1P_E_NS1_11comp_targetILNS1_3genE2ELNS1_11target_archE906ELNS1_3gpuE6ELNS1_3repE0EEENS1_30default_config_static_selectorELNS0_4arch9wavefront6targetE1EEEvS12_.uses_flat_scratch, 0
	.set _ZN7rocprim17ROCPRIM_400000_NS6detail17trampoline_kernelINS0_13select_configILj256ELj13ELNS0_17block_load_methodE3ELS4_3ELS4_3ELNS0_20block_scan_algorithmE0ELj4294967295EEENS1_25partition_config_selectorILNS1_17partition_subalgoE4EjNS0_10empty_typeEbEEZZNS1_14partition_implILS8_4ELb0ES6_15HIP_vector_typeIjLj2EENS0_17counting_iteratorIjlEEPS9_SG_NS0_5tupleIJPjSI_NS0_16reverse_iteratorISI_EEEEENSH_IJSG_SG_SG_EEES9_SI_JZNS1_25segmented_radix_sort_implINS0_14default_configELb1EPKbPbPKlPlN2at6native12_GLOBAL__N_18offset_tEEE10hipError_tPvRmT1_PNSt15iterator_traitsIS12_E10value_typeET2_T3_PNS13_IS18_E10value_typeET4_jRbjT5_S1E_jjP12ihipStream_tbEUljE_ZNSN_ISO_Lb1ESQ_SR_ST_SU_SY_EESZ_S10_S11_S12_S16_S17_S18_S1B_S1C_jS1D_jS1E_S1E_jjS1G_bEUljE0_EEESZ_S10_S11_S18_S1C_S1E_T6_T7_T9_mT8_S1G_bDpT10_ENKUlT_T0_E_clISt17integral_constantIbLb1EES1U_EEDaS1P_S1Q_EUlS1P_E_NS1_11comp_targetILNS1_3genE2ELNS1_11target_archE906ELNS1_3gpuE6ELNS1_3repE0EEENS1_30default_config_static_selectorELNS0_4arch9wavefront6targetE1EEEvS12_.has_dyn_sized_stack, 0
	.set _ZN7rocprim17ROCPRIM_400000_NS6detail17trampoline_kernelINS0_13select_configILj256ELj13ELNS0_17block_load_methodE3ELS4_3ELS4_3ELNS0_20block_scan_algorithmE0ELj4294967295EEENS1_25partition_config_selectorILNS1_17partition_subalgoE4EjNS0_10empty_typeEbEEZZNS1_14partition_implILS8_4ELb0ES6_15HIP_vector_typeIjLj2EENS0_17counting_iteratorIjlEEPS9_SG_NS0_5tupleIJPjSI_NS0_16reverse_iteratorISI_EEEEENSH_IJSG_SG_SG_EEES9_SI_JZNS1_25segmented_radix_sort_implINS0_14default_configELb1EPKbPbPKlPlN2at6native12_GLOBAL__N_18offset_tEEE10hipError_tPvRmT1_PNSt15iterator_traitsIS12_E10value_typeET2_T3_PNS13_IS18_E10value_typeET4_jRbjT5_S1E_jjP12ihipStream_tbEUljE_ZNSN_ISO_Lb1ESQ_SR_ST_SU_SY_EESZ_S10_S11_S12_S16_S17_S18_S1B_S1C_jS1D_jS1E_S1E_jjS1G_bEUljE0_EEESZ_S10_S11_S18_S1C_S1E_T6_T7_T9_mT8_S1G_bDpT10_ENKUlT_T0_E_clISt17integral_constantIbLb1EES1U_EEDaS1P_S1Q_EUlS1P_E_NS1_11comp_targetILNS1_3genE2ELNS1_11target_archE906ELNS1_3gpuE6ELNS1_3repE0EEENS1_30default_config_static_selectorELNS0_4arch9wavefront6targetE1EEEvS12_.has_recursion, 0
	.set _ZN7rocprim17ROCPRIM_400000_NS6detail17trampoline_kernelINS0_13select_configILj256ELj13ELNS0_17block_load_methodE3ELS4_3ELS4_3ELNS0_20block_scan_algorithmE0ELj4294967295EEENS1_25partition_config_selectorILNS1_17partition_subalgoE4EjNS0_10empty_typeEbEEZZNS1_14partition_implILS8_4ELb0ES6_15HIP_vector_typeIjLj2EENS0_17counting_iteratorIjlEEPS9_SG_NS0_5tupleIJPjSI_NS0_16reverse_iteratorISI_EEEEENSH_IJSG_SG_SG_EEES9_SI_JZNS1_25segmented_radix_sort_implINS0_14default_configELb1EPKbPbPKlPlN2at6native12_GLOBAL__N_18offset_tEEE10hipError_tPvRmT1_PNSt15iterator_traitsIS12_E10value_typeET2_T3_PNS13_IS18_E10value_typeET4_jRbjT5_S1E_jjP12ihipStream_tbEUljE_ZNSN_ISO_Lb1ESQ_SR_ST_SU_SY_EESZ_S10_S11_S12_S16_S17_S18_S1B_S1C_jS1D_jS1E_S1E_jjS1G_bEUljE0_EEESZ_S10_S11_S18_S1C_S1E_T6_T7_T9_mT8_S1G_bDpT10_ENKUlT_T0_E_clISt17integral_constantIbLb1EES1U_EEDaS1P_S1Q_EUlS1P_E_NS1_11comp_targetILNS1_3genE2ELNS1_11target_archE906ELNS1_3gpuE6ELNS1_3repE0EEENS1_30default_config_static_selectorELNS0_4arch9wavefront6targetE1EEEvS12_.has_indirect_call, 0
	.section	.AMDGPU.csdata,"",@progbits
; Kernel info:
; codeLenInByte = 4
; TotalNumSgprs: 4
; NumVgprs: 0
; ScratchSize: 0
; MemoryBound: 0
; FloatMode: 240
; IeeeMode: 1
; LDSByteSize: 0 bytes/workgroup (compile time only)
; SGPRBlocks: 0
; VGPRBlocks: 0
; NumSGPRsForWavesPerEU: 4
; NumVGPRsForWavesPerEU: 1
; Occupancy: 10
; WaveLimiterHint : 0
; COMPUTE_PGM_RSRC2:SCRATCH_EN: 0
; COMPUTE_PGM_RSRC2:USER_SGPR: 6
; COMPUTE_PGM_RSRC2:TRAP_HANDLER: 0
; COMPUTE_PGM_RSRC2:TGID_X_EN: 1
; COMPUTE_PGM_RSRC2:TGID_Y_EN: 0
; COMPUTE_PGM_RSRC2:TGID_Z_EN: 0
; COMPUTE_PGM_RSRC2:TIDIG_COMP_CNT: 0
	.section	.text._ZN7rocprim17ROCPRIM_400000_NS6detail17trampoline_kernelINS0_13select_configILj256ELj13ELNS0_17block_load_methodE3ELS4_3ELS4_3ELNS0_20block_scan_algorithmE0ELj4294967295EEENS1_25partition_config_selectorILNS1_17partition_subalgoE4EjNS0_10empty_typeEbEEZZNS1_14partition_implILS8_4ELb0ES6_15HIP_vector_typeIjLj2EENS0_17counting_iteratorIjlEEPS9_SG_NS0_5tupleIJPjSI_NS0_16reverse_iteratorISI_EEEEENSH_IJSG_SG_SG_EEES9_SI_JZNS1_25segmented_radix_sort_implINS0_14default_configELb1EPKbPbPKlPlN2at6native12_GLOBAL__N_18offset_tEEE10hipError_tPvRmT1_PNSt15iterator_traitsIS12_E10value_typeET2_T3_PNS13_IS18_E10value_typeET4_jRbjT5_S1E_jjP12ihipStream_tbEUljE_ZNSN_ISO_Lb1ESQ_SR_ST_SU_SY_EESZ_S10_S11_S12_S16_S17_S18_S1B_S1C_jS1D_jS1E_S1E_jjS1G_bEUljE0_EEESZ_S10_S11_S18_S1C_S1E_T6_T7_T9_mT8_S1G_bDpT10_ENKUlT_T0_E_clISt17integral_constantIbLb1EES1U_EEDaS1P_S1Q_EUlS1P_E_NS1_11comp_targetILNS1_3genE10ELNS1_11target_archE1200ELNS1_3gpuE4ELNS1_3repE0EEENS1_30default_config_static_selectorELNS0_4arch9wavefront6targetE1EEEvS12_,"axG",@progbits,_ZN7rocprim17ROCPRIM_400000_NS6detail17trampoline_kernelINS0_13select_configILj256ELj13ELNS0_17block_load_methodE3ELS4_3ELS4_3ELNS0_20block_scan_algorithmE0ELj4294967295EEENS1_25partition_config_selectorILNS1_17partition_subalgoE4EjNS0_10empty_typeEbEEZZNS1_14partition_implILS8_4ELb0ES6_15HIP_vector_typeIjLj2EENS0_17counting_iteratorIjlEEPS9_SG_NS0_5tupleIJPjSI_NS0_16reverse_iteratorISI_EEEEENSH_IJSG_SG_SG_EEES9_SI_JZNS1_25segmented_radix_sort_implINS0_14default_configELb1EPKbPbPKlPlN2at6native12_GLOBAL__N_18offset_tEEE10hipError_tPvRmT1_PNSt15iterator_traitsIS12_E10value_typeET2_T3_PNS13_IS18_E10value_typeET4_jRbjT5_S1E_jjP12ihipStream_tbEUljE_ZNSN_ISO_Lb1ESQ_SR_ST_SU_SY_EESZ_S10_S11_S12_S16_S17_S18_S1B_S1C_jS1D_jS1E_S1E_jjS1G_bEUljE0_EEESZ_S10_S11_S18_S1C_S1E_T6_T7_T9_mT8_S1G_bDpT10_ENKUlT_T0_E_clISt17integral_constantIbLb1EES1U_EEDaS1P_S1Q_EUlS1P_E_NS1_11comp_targetILNS1_3genE10ELNS1_11target_archE1200ELNS1_3gpuE4ELNS1_3repE0EEENS1_30default_config_static_selectorELNS0_4arch9wavefront6targetE1EEEvS12_,comdat
	.globl	_ZN7rocprim17ROCPRIM_400000_NS6detail17trampoline_kernelINS0_13select_configILj256ELj13ELNS0_17block_load_methodE3ELS4_3ELS4_3ELNS0_20block_scan_algorithmE0ELj4294967295EEENS1_25partition_config_selectorILNS1_17partition_subalgoE4EjNS0_10empty_typeEbEEZZNS1_14partition_implILS8_4ELb0ES6_15HIP_vector_typeIjLj2EENS0_17counting_iteratorIjlEEPS9_SG_NS0_5tupleIJPjSI_NS0_16reverse_iteratorISI_EEEEENSH_IJSG_SG_SG_EEES9_SI_JZNS1_25segmented_radix_sort_implINS0_14default_configELb1EPKbPbPKlPlN2at6native12_GLOBAL__N_18offset_tEEE10hipError_tPvRmT1_PNSt15iterator_traitsIS12_E10value_typeET2_T3_PNS13_IS18_E10value_typeET4_jRbjT5_S1E_jjP12ihipStream_tbEUljE_ZNSN_ISO_Lb1ESQ_SR_ST_SU_SY_EESZ_S10_S11_S12_S16_S17_S18_S1B_S1C_jS1D_jS1E_S1E_jjS1G_bEUljE0_EEESZ_S10_S11_S18_S1C_S1E_T6_T7_T9_mT8_S1G_bDpT10_ENKUlT_T0_E_clISt17integral_constantIbLb1EES1U_EEDaS1P_S1Q_EUlS1P_E_NS1_11comp_targetILNS1_3genE10ELNS1_11target_archE1200ELNS1_3gpuE4ELNS1_3repE0EEENS1_30default_config_static_selectorELNS0_4arch9wavefront6targetE1EEEvS12_ ; -- Begin function _ZN7rocprim17ROCPRIM_400000_NS6detail17trampoline_kernelINS0_13select_configILj256ELj13ELNS0_17block_load_methodE3ELS4_3ELS4_3ELNS0_20block_scan_algorithmE0ELj4294967295EEENS1_25partition_config_selectorILNS1_17partition_subalgoE4EjNS0_10empty_typeEbEEZZNS1_14partition_implILS8_4ELb0ES6_15HIP_vector_typeIjLj2EENS0_17counting_iteratorIjlEEPS9_SG_NS0_5tupleIJPjSI_NS0_16reverse_iteratorISI_EEEEENSH_IJSG_SG_SG_EEES9_SI_JZNS1_25segmented_radix_sort_implINS0_14default_configELb1EPKbPbPKlPlN2at6native12_GLOBAL__N_18offset_tEEE10hipError_tPvRmT1_PNSt15iterator_traitsIS12_E10value_typeET2_T3_PNS13_IS18_E10value_typeET4_jRbjT5_S1E_jjP12ihipStream_tbEUljE_ZNSN_ISO_Lb1ESQ_SR_ST_SU_SY_EESZ_S10_S11_S12_S16_S17_S18_S1B_S1C_jS1D_jS1E_S1E_jjS1G_bEUljE0_EEESZ_S10_S11_S18_S1C_S1E_T6_T7_T9_mT8_S1G_bDpT10_ENKUlT_T0_E_clISt17integral_constantIbLb1EES1U_EEDaS1P_S1Q_EUlS1P_E_NS1_11comp_targetILNS1_3genE10ELNS1_11target_archE1200ELNS1_3gpuE4ELNS1_3repE0EEENS1_30default_config_static_selectorELNS0_4arch9wavefront6targetE1EEEvS12_
	.p2align	8
	.type	_ZN7rocprim17ROCPRIM_400000_NS6detail17trampoline_kernelINS0_13select_configILj256ELj13ELNS0_17block_load_methodE3ELS4_3ELS4_3ELNS0_20block_scan_algorithmE0ELj4294967295EEENS1_25partition_config_selectorILNS1_17partition_subalgoE4EjNS0_10empty_typeEbEEZZNS1_14partition_implILS8_4ELb0ES6_15HIP_vector_typeIjLj2EENS0_17counting_iteratorIjlEEPS9_SG_NS0_5tupleIJPjSI_NS0_16reverse_iteratorISI_EEEEENSH_IJSG_SG_SG_EEES9_SI_JZNS1_25segmented_radix_sort_implINS0_14default_configELb1EPKbPbPKlPlN2at6native12_GLOBAL__N_18offset_tEEE10hipError_tPvRmT1_PNSt15iterator_traitsIS12_E10value_typeET2_T3_PNS13_IS18_E10value_typeET4_jRbjT5_S1E_jjP12ihipStream_tbEUljE_ZNSN_ISO_Lb1ESQ_SR_ST_SU_SY_EESZ_S10_S11_S12_S16_S17_S18_S1B_S1C_jS1D_jS1E_S1E_jjS1G_bEUljE0_EEESZ_S10_S11_S18_S1C_S1E_T6_T7_T9_mT8_S1G_bDpT10_ENKUlT_T0_E_clISt17integral_constantIbLb1EES1U_EEDaS1P_S1Q_EUlS1P_E_NS1_11comp_targetILNS1_3genE10ELNS1_11target_archE1200ELNS1_3gpuE4ELNS1_3repE0EEENS1_30default_config_static_selectorELNS0_4arch9wavefront6targetE1EEEvS12_,@function
_ZN7rocprim17ROCPRIM_400000_NS6detail17trampoline_kernelINS0_13select_configILj256ELj13ELNS0_17block_load_methodE3ELS4_3ELS4_3ELNS0_20block_scan_algorithmE0ELj4294967295EEENS1_25partition_config_selectorILNS1_17partition_subalgoE4EjNS0_10empty_typeEbEEZZNS1_14partition_implILS8_4ELb0ES6_15HIP_vector_typeIjLj2EENS0_17counting_iteratorIjlEEPS9_SG_NS0_5tupleIJPjSI_NS0_16reverse_iteratorISI_EEEEENSH_IJSG_SG_SG_EEES9_SI_JZNS1_25segmented_radix_sort_implINS0_14default_configELb1EPKbPbPKlPlN2at6native12_GLOBAL__N_18offset_tEEE10hipError_tPvRmT1_PNSt15iterator_traitsIS12_E10value_typeET2_T3_PNS13_IS18_E10value_typeET4_jRbjT5_S1E_jjP12ihipStream_tbEUljE_ZNSN_ISO_Lb1ESQ_SR_ST_SU_SY_EESZ_S10_S11_S12_S16_S17_S18_S1B_S1C_jS1D_jS1E_S1E_jjS1G_bEUljE0_EEESZ_S10_S11_S18_S1C_S1E_T6_T7_T9_mT8_S1G_bDpT10_ENKUlT_T0_E_clISt17integral_constantIbLb1EES1U_EEDaS1P_S1Q_EUlS1P_E_NS1_11comp_targetILNS1_3genE10ELNS1_11target_archE1200ELNS1_3gpuE4ELNS1_3repE0EEENS1_30default_config_static_selectorELNS0_4arch9wavefront6targetE1EEEvS12_: ; @_ZN7rocprim17ROCPRIM_400000_NS6detail17trampoline_kernelINS0_13select_configILj256ELj13ELNS0_17block_load_methodE3ELS4_3ELS4_3ELNS0_20block_scan_algorithmE0ELj4294967295EEENS1_25partition_config_selectorILNS1_17partition_subalgoE4EjNS0_10empty_typeEbEEZZNS1_14partition_implILS8_4ELb0ES6_15HIP_vector_typeIjLj2EENS0_17counting_iteratorIjlEEPS9_SG_NS0_5tupleIJPjSI_NS0_16reverse_iteratorISI_EEEEENSH_IJSG_SG_SG_EEES9_SI_JZNS1_25segmented_radix_sort_implINS0_14default_configELb1EPKbPbPKlPlN2at6native12_GLOBAL__N_18offset_tEEE10hipError_tPvRmT1_PNSt15iterator_traitsIS12_E10value_typeET2_T3_PNS13_IS18_E10value_typeET4_jRbjT5_S1E_jjP12ihipStream_tbEUljE_ZNSN_ISO_Lb1ESQ_SR_ST_SU_SY_EESZ_S10_S11_S12_S16_S17_S18_S1B_S1C_jS1D_jS1E_S1E_jjS1G_bEUljE0_EEESZ_S10_S11_S18_S1C_S1E_T6_T7_T9_mT8_S1G_bDpT10_ENKUlT_T0_E_clISt17integral_constantIbLb1EES1U_EEDaS1P_S1Q_EUlS1P_E_NS1_11comp_targetILNS1_3genE10ELNS1_11target_archE1200ELNS1_3gpuE4ELNS1_3repE0EEENS1_30default_config_static_selectorELNS0_4arch9wavefront6targetE1EEEvS12_
; %bb.0:
	.section	.rodata,"a",@progbits
	.p2align	6, 0x0
	.amdhsa_kernel _ZN7rocprim17ROCPRIM_400000_NS6detail17trampoline_kernelINS0_13select_configILj256ELj13ELNS0_17block_load_methodE3ELS4_3ELS4_3ELNS0_20block_scan_algorithmE0ELj4294967295EEENS1_25partition_config_selectorILNS1_17partition_subalgoE4EjNS0_10empty_typeEbEEZZNS1_14partition_implILS8_4ELb0ES6_15HIP_vector_typeIjLj2EENS0_17counting_iteratorIjlEEPS9_SG_NS0_5tupleIJPjSI_NS0_16reverse_iteratorISI_EEEEENSH_IJSG_SG_SG_EEES9_SI_JZNS1_25segmented_radix_sort_implINS0_14default_configELb1EPKbPbPKlPlN2at6native12_GLOBAL__N_18offset_tEEE10hipError_tPvRmT1_PNSt15iterator_traitsIS12_E10value_typeET2_T3_PNS13_IS18_E10value_typeET4_jRbjT5_S1E_jjP12ihipStream_tbEUljE_ZNSN_ISO_Lb1ESQ_SR_ST_SU_SY_EESZ_S10_S11_S12_S16_S17_S18_S1B_S1C_jS1D_jS1E_S1E_jjS1G_bEUljE0_EEESZ_S10_S11_S18_S1C_S1E_T6_T7_T9_mT8_S1G_bDpT10_ENKUlT_T0_E_clISt17integral_constantIbLb1EES1U_EEDaS1P_S1Q_EUlS1P_E_NS1_11comp_targetILNS1_3genE10ELNS1_11target_archE1200ELNS1_3gpuE4ELNS1_3repE0EEENS1_30default_config_static_selectorELNS0_4arch9wavefront6targetE1EEEvS12_
		.amdhsa_group_segment_fixed_size 0
		.amdhsa_private_segment_fixed_size 0
		.amdhsa_kernarg_size 184
		.amdhsa_user_sgpr_count 6
		.amdhsa_user_sgpr_private_segment_buffer 1
		.amdhsa_user_sgpr_dispatch_ptr 0
		.amdhsa_user_sgpr_queue_ptr 0
		.amdhsa_user_sgpr_kernarg_segment_ptr 1
		.amdhsa_user_sgpr_dispatch_id 0
		.amdhsa_user_sgpr_flat_scratch_init 0
		.amdhsa_user_sgpr_private_segment_size 0
		.amdhsa_uses_dynamic_stack 0
		.amdhsa_system_sgpr_private_segment_wavefront_offset 0
		.amdhsa_system_sgpr_workgroup_id_x 1
		.amdhsa_system_sgpr_workgroup_id_y 0
		.amdhsa_system_sgpr_workgroup_id_z 0
		.amdhsa_system_sgpr_workgroup_info 0
		.amdhsa_system_vgpr_workitem_id 0
		.amdhsa_next_free_vgpr 1
		.amdhsa_next_free_sgpr 0
		.amdhsa_reserve_vcc 0
		.amdhsa_reserve_flat_scratch 0
		.amdhsa_float_round_mode_32 0
		.amdhsa_float_round_mode_16_64 0
		.amdhsa_float_denorm_mode_32 3
		.amdhsa_float_denorm_mode_16_64 3
		.amdhsa_dx10_clamp 1
		.amdhsa_ieee_mode 1
		.amdhsa_fp16_overflow 0
		.amdhsa_exception_fp_ieee_invalid_op 0
		.amdhsa_exception_fp_denorm_src 0
		.amdhsa_exception_fp_ieee_div_zero 0
		.amdhsa_exception_fp_ieee_overflow 0
		.amdhsa_exception_fp_ieee_underflow 0
		.amdhsa_exception_fp_ieee_inexact 0
		.amdhsa_exception_int_div_zero 0
	.end_amdhsa_kernel
	.section	.text._ZN7rocprim17ROCPRIM_400000_NS6detail17trampoline_kernelINS0_13select_configILj256ELj13ELNS0_17block_load_methodE3ELS4_3ELS4_3ELNS0_20block_scan_algorithmE0ELj4294967295EEENS1_25partition_config_selectorILNS1_17partition_subalgoE4EjNS0_10empty_typeEbEEZZNS1_14partition_implILS8_4ELb0ES6_15HIP_vector_typeIjLj2EENS0_17counting_iteratorIjlEEPS9_SG_NS0_5tupleIJPjSI_NS0_16reverse_iteratorISI_EEEEENSH_IJSG_SG_SG_EEES9_SI_JZNS1_25segmented_radix_sort_implINS0_14default_configELb1EPKbPbPKlPlN2at6native12_GLOBAL__N_18offset_tEEE10hipError_tPvRmT1_PNSt15iterator_traitsIS12_E10value_typeET2_T3_PNS13_IS18_E10value_typeET4_jRbjT5_S1E_jjP12ihipStream_tbEUljE_ZNSN_ISO_Lb1ESQ_SR_ST_SU_SY_EESZ_S10_S11_S12_S16_S17_S18_S1B_S1C_jS1D_jS1E_S1E_jjS1G_bEUljE0_EEESZ_S10_S11_S18_S1C_S1E_T6_T7_T9_mT8_S1G_bDpT10_ENKUlT_T0_E_clISt17integral_constantIbLb1EES1U_EEDaS1P_S1Q_EUlS1P_E_NS1_11comp_targetILNS1_3genE10ELNS1_11target_archE1200ELNS1_3gpuE4ELNS1_3repE0EEENS1_30default_config_static_selectorELNS0_4arch9wavefront6targetE1EEEvS12_,"axG",@progbits,_ZN7rocprim17ROCPRIM_400000_NS6detail17trampoline_kernelINS0_13select_configILj256ELj13ELNS0_17block_load_methodE3ELS4_3ELS4_3ELNS0_20block_scan_algorithmE0ELj4294967295EEENS1_25partition_config_selectorILNS1_17partition_subalgoE4EjNS0_10empty_typeEbEEZZNS1_14partition_implILS8_4ELb0ES6_15HIP_vector_typeIjLj2EENS0_17counting_iteratorIjlEEPS9_SG_NS0_5tupleIJPjSI_NS0_16reverse_iteratorISI_EEEEENSH_IJSG_SG_SG_EEES9_SI_JZNS1_25segmented_radix_sort_implINS0_14default_configELb1EPKbPbPKlPlN2at6native12_GLOBAL__N_18offset_tEEE10hipError_tPvRmT1_PNSt15iterator_traitsIS12_E10value_typeET2_T3_PNS13_IS18_E10value_typeET4_jRbjT5_S1E_jjP12ihipStream_tbEUljE_ZNSN_ISO_Lb1ESQ_SR_ST_SU_SY_EESZ_S10_S11_S12_S16_S17_S18_S1B_S1C_jS1D_jS1E_S1E_jjS1G_bEUljE0_EEESZ_S10_S11_S18_S1C_S1E_T6_T7_T9_mT8_S1G_bDpT10_ENKUlT_T0_E_clISt17integral_constantIbLb1EES1U_EEDaS1P_S1Q_EUlS1P_E_NS1_11comp_targetILNS1_3genE10ELNS1_11target_archE1200ELNS1_3gpuE4ELNS1_3repE0EEENS1_30default_config_static_selectorELNS0_4arch9wavefront6targetE1EEEvS12_,comdat
.Lfunc_end1481:
	.size	_ZN7rocprim17ROCPRIM_400000_NS6detail17trampoline_kernelINS0_13select_configILj256ELj13ELNS0_17block_load_methodE3ELS4_3ELS4_3ELNS0_20block_scan_algorithmE0ELj4294967295EEENS1_25partition_config_selectorILNS1_17partition_subalgoE4EjNS0_10empty_typeEbEEZZNS1_14partition_implILS8_4ELb0ES6_15HIP_vector_typeIjLj2EENS0_17counting_iteratorIjlEEPS9_SG_NS0_5tupleIJPjSI_NS0_16reverse_iteratorISI_EEEEENSH_IJSG_SG_SG_EEES9_SI_JZNS1_25segmented_radix_sort_implINS0_14default_configELb1EPKbPbPKlPlN2at6native12_GLOBAL__N_18offset_tEEE10hipError_tPvRmT1_PNSt15iterator_traitsIS12_E10value_typeET2_T3_PNS13_IS18_E10value_typeET4_jRbjT5_S1E_jjP12ihipStream_tbEUljE_ZNSN_ISO_Lb1ESQ_SR_ST_SU_SY_EESZ_S10_S11_S12_S16_S17_S18_S1B_S1C_jS1D_jS1E_S1E_jjS1G_bEUljE0_EEESZ_S10_S11_S18_S1C_S1E_T6_T7_T9_mT8_S1G_bDpT10_ENKUlT_T0_E_clISt17integral_constantIbLb1EES1U_EEDaS1P_S1Q_EUlS1P_E_NS1_11comp_targetILNS1_3genE10ELNS1_11target_archE1200ELNS1_3gpuE4ELNS1_3repE0EEENS1_30default_config_static_selectorELNS0_4arch9wavefront6targetE1EEEvS12_, .Lfunc_end1481-_ZN7rocprim17ROCPRIM_400000_NS6detail17trampoline_kernelINS0_13select_configILj256ELj13ELNS0_17block_load_methodE3ELS4_3ELS4_3ELNS0_20block_scan_algorithmE0ELj4294967295EEENS1_25partition_config_selectorILNS1_17partition_subalgoE4EjNS0_10empty_typeEbEEZZNS1_14partition_implILS8_4ELb0ES6_15HIP_vector_typeIjLj2EENS0_17counting_iteratorIjlEEPS9_SG_NS0_5tupleIJPjSI_NS0_16reverse_iteratorISI_EEEEENSH_IJSG_SG_SG_EEES9_SI_JZNS1_25segmented_radix_sort_implINS0_14default_configELb1EPKbPbPKlPlN2at6native12_GLOBAL__N_18offset_tEEE10hipError_tPvRmT1_PNSt15iterator_traitsIS12_E10value_typeET2_T3_PNS13_IS18_E10value_typeET4_jRbjT5_S1E_jjP12ihipStream_tbEUljE_ZNSN_ISO_Lb1ESQ_SR_ST_SU_SY_EESZ_S10_S11_S12_S16_S17_S18_S1B_S1C_jS1D_jS1E_S1E_jjS1G_bEUljE0_EEESZ_S10_S11_S18_S1C_S1E_T6_T7_T9_mT8_S1G_bDpT10_ENKUlT_T0_E_clISt17integral_constantIbLb1EES1U_EEDaS1P_S1Q_EUlS1P_E_NS1_11comp_targetILNS1_3genE10ELNS1_11target_archE1200ELNS1_3gpuE4ELNS1_3repE0EEENS1_30default_config_static_selectorELNS0_4arch9wavefront6targetE1EEEvS12_
                                        ; -- End function
	.set _ZN7rocprim17ROCPRIM_400000_NS6detail17trampoline_kernelINS0_13select_configILj256ELj13ELNS0_17block_load_methodE3ELS4_3ELS4_3ELNS0_20block_scan_algorithmE0ELj4294967295EEENS1_25partition_config_selectorILNS1_17partition_subalgoE4EjNS0_10empty_typeEbEEZZNS1_14partition_implILS8_4ELb0ES6_15HIP_vector_typeIjLj2EENS0_17counting_iteratorIjlEEPS9_SG_NS0_5tupleIJPjSI_NS0_16reverse_iteratorISI_EEEEENSH_IJSG_SG_SG_EEES9_SI_JZNS1_25segmented_radix_sort_implINS0_14default_configELb1EPKbPbPKlPlN2at6native12_GLOBAL__N_18offset_tEEE10hipError_tPvRmT1_PNSt15iterator_traitsIS12_E10value_typeET2_T3_PNS13_IS18_E10value_typeET4_jRbjT5_S1E_jjP12ihipStream_tbEUljE_ZNSN_ISO_Lb1ESQ_SR_ST_SU_SY_EESZ_S10_S11_S12_S16_S17_S18_S1B_S1C_jS1D_jS1E_S1E_jjS1G_bEUljE0_EEESZ_S10_S11_S18_S1C_S1E_T6_T7_T9_mT8_S1G_bDpT10_ENKUlT_T0_E_clISt17integral_constantIbLb1EES1U_EEDaS1P_S1Q_EUlS1P_E_NS1_11comp_targetILNS1_3genE10ELNS1_11target_archE1200ELNS1_3gpuE4ELNS1_3repE0EEENS1_30default_config_static_selectorELNS0_4arch9wavefront6targetE1EEEvS12_.num_vgpr, 0
	.set _ZN7rocprim17ROCPRIM_400000_NS6detail17trampoline_kernelINS0_13select_configILj256ELj13ELNS0_17block_load_methodE3ELS4_3ELS4_3ELNS0_20block_scan_algorithmE0ELj4294967295EEENS1_25partition_config_selectorILNS1_17partition_subalgoE4EjNS0_10empty_typeEbEEZZNS1_14partition_implILS8_4ELb0ES6_15HIP_vector_typeIjLj2EENS0_17counting_iteratorIjlEEPS9_SG_NS0_5tupleIJPjSI_NS0_16reverse_iteratorISI_EEEEENSH_IJSG_SG_SG_EEES9_SI_JZNS1_25segmented_radix_sort_implINS0_14default_configELb1EPKbPbPKlPlN2at6native12_GLOBAL__N_18offset_tEEE10hipError_tPvRmT1_PNSt15iterator_traitsIS12_E10value_typeET2_T3_PNS13_IS18_E10value_typeET4_jRbjT5_S1E_jjP12ihipStream_tbEUljE_ZNSN_ISO_Lb1ESQ_SR_ST_SU_SY_EESZ_S10_S11_S12_S16_S17_S18_S1B_S1C_jS1D_jS1E_S1E_jjS1G_bEUljE0_EEESZ_S10_S11_S18_S1C_S1E_T6_T7_T9_mT8_S1G_bDpT10_ENKUlT_T0_E_clISt17integral_constantIbLb1EES1U_EEDaS1P_S1Q_EUlS1P_E_NS1_11comp_targetILNS1_3genE10ELNS1_11target_archE1200ELNS1_3gpuE4ELNS1_3repE0EEENS1_30default_config_static_selectorELNS0_4arch9wavefront6targetE1EEEvS12_.num_agpr, 0
	.set _ZN7rocprim17ROCPRIM_400000_NS6detail17trampoline_kernelINS0_13select_configILj256ELj13ELNS0_17block_load_methodE3ELS4_3ELS4_3ELNS0_20block_scan_algorithmE0ELj4294967295EEENS1_25partition_config_selectorILNS1_17partition_subalgoE4EjNS0_10empty_typeEbEEZZNS1_14partition_implILS8_4ELb0ES6_15HIP_vector_typeIjLj2EENS0_17counting_iteratorIjlEEPS9_SG_NS0_5tupleIJPjSI_NS0_16reverse_iteratorISI_EEEEENSH_IJSG_SG_SG_EEES9_SI_JZNS1_25segmented_radix_sort_implINS0_14default_configELb1EPKbPbPKlPlN2at6native12_GLOBAL__N_18offset_tEEE10hipError_tPvRmT1_PNSt15iterator_traitsIS12_E10value_typeET2_T3_PNS13_IS18_E10value_typeET4_jRbjT5_S1E_jjP12ihipStream_tbEUljE_ZNSN_ISO_Lb1ESQ_SR_ST_SU_SY_EESZ_S10_S11_S12_S16_S17_S18_S1B_S1C_jS1D_jS1E_S1E_jjS1G_bEUljE0_EEESZ_S10_S11_S18_S1C_S1E_T6_T7_T9_mT8_S1G_bDpT10_ENKUlT_T0_E_clISt17integral_constantIbLb1EES1U_EEDaS1P_S1Q_EUlS1P_E_NS1_11comp_targetILNS1_3genE10ELNS1_11target_archE1200ELNS1_3gpuE4ELNS1_3repE0EEENS1_30default_config_static_selectorELNS0_4arch9wavefront6targetE1EEEvS12_.numbered_sgpr, 0
	.set _ZN7rocprim17ROCPRIM_400000_NS6detail17trampoline_kernelINS0_13select_configILj256ELj13ELNS0_17block_load_methodE3ELS4_3ELS4_3ELNS0_20block_scan_algorithmE0ELj4294967295EEENS1_25partition_config_selectorILNS1_17partition_subalgoE4EjNS0_10empty_typeEbEEZZNS1_14partition_implILS8_4ELb0ES6_15HIP_vector_typeIjLj2EENS0_17counting_iteratorIjlEEPS9_SG_NS0_5tupleIJPjSI_NS0_16reverse_iteratorISI_EEEEENSH_IJSG_SG_SG_EEES9_SI_JZNS1_25segmented_radix_sort_implINS0_14default_configELb1EPKbPbPKlPlN2at6native12_GLOBAL__N_18offset_tEEE10hipError_tPvRmT1_PNSt15iterator_traitsIS12_E10value_typeET2_T3_PNS13_IS18_E10value_typeET4_jRbjT5_S1E_jjP12ihipStream_tbEUljE_ZNSN_ISO_Lb1ESQ_SR_ST_SU_SY_EESZ_S10_S11_S12_S16_S17_S18_S1B_S1C_jS1D_jS1E_S1E_jjS1G_bEUljE0_EEESZ_S10_S11_S18_S1C_S1E_T6_T7_T9_mT8_S1G_bDpT10_ENKUlT_T0_E_clISt17integral_constantIbLb1EES1U_EEDaS1P_S1Q_EUlS1P_E_NS1_11comp_targetILNS1_3genE10ELNS1_11target_archE1200ELNS1_3gpuE4ELNS1_3repE0EEENS1_30default_config_static_selectorELNS0_4arch9wavefront6targetE1EEEvS12_.num_named_barrier, 0
	.set _ZN7rocprim17ROCPRIM_400000_NS6detail17trampoline_kernelINS0_13select_configILj256ELj13ELNS0_17block_load_methodE3ELS4_3ELS4_3ELNS0_20block_scan_algorithmE0ELj4294967295EEENS1_25partition_config_selectorILNS1_17partition_subalgoE4EjNS0_10empty_typeEbEEZZNS1_14partition_implILS8_4ELb0ES6_15HIP_vector_typeIjLj2EENS0_17counting_iteratorIjlEEPS9_SG_NS0_5tupleIJPjSI_NS0_16reverse_iteratorISI_EEEEENSH_IJSG_SG_SG_EEES9_SI_JZNS1_25segmented_radix_sort_implINS0_14default_configELb1EPKbPbPKlPlN2at6native12_GLOBAL__N_18offset_tEEE10hipError_tPvRmT1_PNSt15iterator_traitsIS12_E10value_typeET2_T3_PNS13_IS18_E10value_typeET4_jRbjT5_S1E_jjP12ihipStream_tbEUljE_ZNSN_ISO_Lb1ESQ_SR_ST_SU_SY_EESZ_S10_S11_S12_S16_S17_S18_S1B_S1C_jS1D_jS1E_S1E_jjS1G_bEUljE0_EEESZ_S10_S11_S18_S1C_S1E_T6_T7_T9_mT8_S1G_bDpT10_ENKUlT_T0_E_clISt17integral_constantIbLb1EES1U_EEDaS1P_S1Q_EUlS1P_E_NS1_11comp_targetILNS1_3genE10ELNS1_11target_archE1200ELNS1_3gpuE4ELNS1_3repE0EEENS1_30default_config_static_selectorELNS0_4arch9wavefront6targetE1EEEvS12_.private_seg_size, 0
	.set _ZN7rocprim17ROCPRIM_400000_NS6detail17trampoline_kernelINS0_13select_configILj256ELj13ELNS0_17block_load_methodE3ELS4_3ELS4_3ELNS0_20block_scan_algorithmE0ELj4294967295EEENS1_25partition_config_selectorILNS1_17partition_subalgoE4EjNS0_10empty_typeEbEEZZNS1_14partition_implILS8_4ELb0ES6_15HIP_vector_typeIjLj2EENS0_17counting_iteratorIjlEEPS9_SG_NS0_5tupleIJPjSI_NS0_16reverse_iteratorISI_EEEEENSH_IJSG_SG_SG_EEES9_SI_JZNS1_25segmented_radix_sort_implINS0_14default_configELb1EPKbPbPKlPlN2at6native12_GLOBAL__N_18offset_tEEE10hipError_tPvRmT1_PNSt15iterator_traitsIS12_E10value_typeET2_T3_PNS13_IS18_E10value_typeET4_jRbjT5_S1E_jjP12ihipStream_tbEUljE_ZNSN_ISO_Lb1ESQ_SR_ST_SU_SY_EESZ_S10_S11_S12_S16_S17_S18_S1B_S1C_jS1D_jS1E_S1E_jjS1G_bEUljE0_EEESZ_S10_S11_S18_S1C_S1E_T6_T7_T9_mT8_S1G_bDpT10_ENKUlT_T0_E_clISt17integral_constantIbLb1EES1U_EEDaS1P_S1Q_EUlS1P_E_NS1_11comp_targetILNS1_3genE10ELNS1_11target_archE1200ELNS1_3gpuE4ELNS1_3repE0EEENS1_30default_config_static_selectorELNS0_4arch9wavefront6targetE1EEEvS12_.uses_vcc, 0
	.set _ZN7rocprim17ROCPRIM_400000_NS6detail17trampoline_kernelINS0_13select_configILj256ELj13ELNS0_17block_load_methodE3ELS4_3ELS4_3ELNS0_20block_scan_algorithmE0ELj4294967295EEENS1_25partition_config_selectorILNS1_17partition_subalgoE4EjNS0_10empty_typeEbEEZZNS1_14partition_implILS8_4ELb0ES6_15HIP_vector_typeIjLj2EENS0_17counting_iteratorIjlEEPS9_SG_NS0_5tupleIJPjSI_NS0_16reverse_iteratorISI_EEEEENSH_IJSG_SG_SG_EEES9_SI_JZNS1_25segmented_radix_sort_implINS0_14default_configELb1EPKbPbPKlPlN2at6native12_GLOBAL__N_18offset_tEEE10hipError_tPvRmT1_PNSt15iterator_traitsIS12_E10value_typeET2_T3_PNS13_IS18_E10value_typeET4_jRbjT5_S1E_jjP12ihipStream_tbEUljE_ZNSN_ISO_Lb1ESQ_SR_ST_SU_SY_EESZ_S10_S11_S12_S16_S17_S18_S1B_S1C_jS1D_jS1E_S1E_jjS1G_bEUljE0_EEESZ_S10_S11_S18_S1C_S1E_T6_T7_T9_mT8_S1G_bDpT10_ENKUlT_T0_E_clISt17integral_constantIbLb1EES1U_EEDaS1P_S1Q_EUlS1P_E_NS1_11comp_targetILNS1_3genE10ELNS1_11target_archE1200ELNS1_3gpuE4ELNS1_3repE0EEENS1_30default_config_static_selectorELNS0_4arch9wavefront6targetE1EEEvS12_.uses_flat_scratch, 0
	.set _ZN7rocprim17ROCPRIM_400000_NS6detail17trampoline_kernelINS0_13select_configILj256ELj13ELNS0_17block_load_methodE3ELS4_3ELS4_3ELNS0_20block_scan_algorithmE0ELj4294967295EEENS1_25partition_config_selectorILNS1_17partition_subalgoE4EjNS0_10empty_typeEbEEZZNS1_14partition_implILS8_4ELb0ES6_15HIP_vector_typeIjLj2EENS0_17counting_iteratorIjlEEPS9_SG_NS0_5tupleIJPjSI_NS0_16reverse_iteratorISI_EEEEENSH_IJSG_SG_SG_EEES9_SI_JZNS1_25segmented_radix_sort_implINS0_14default_configELb1EPKbPbPKlPlN2at6native12_GLOBAL__N_18offset_tEEE10hipError_tPvRmT1_PNSt15iterator_traitsIS12_E10value_typeET2_T3_PNS13_IS18_E10value_typeET4_jRbjT5_S1E_jjP12ihipStream_tbEUljE_ZNSN_ISO_Lb1ESQ_SR_ST_SU_SY_EESZ_S10_S11_S12_S16_S17_S18_S1B_S1C_jS1D_jS1E_S1E_jjS1G_bEUljE0_EEESZ_S10_S11_S18_S1C_S1E_T6_T7_T9_mT8_S1G_bDpT10_ENKUlT_T0_E_clISt17integral_constantIbLb1EES1U_EEDaS1P_S1Q_EUlS1P_E_NS1_11comp_targetILNS1_3genE10ELNS1_11target_archE1200ELNS1_3gpuE4ELNS1_3repE0EEENS1_30default_config_static_selectorELNS0_4arch9wavefront6targetE1EEEvS12_.has_dyn_sized_stack, 0
	.set _ZN7rocprim17ROCPRIM_400000_NS6detail17trampoline_kernelINS0_13select_configILj256ELj13ELNS0_17block_load_methodE3ELS4_3ELS4_3ELNS0_20block_scan_algorithmE0ELj4294967295EEENS1_25partition_config_selectorILNS1_17partition_subalgoE4EjNS0_10empty_typeEbEEZZNS1_14partition_implILS8_4ELb0ES6_15HIP_vector_typeIjLj2EENS0_17counting_iteratorIjlEEPS9_SG_NS0_5tupleIJPjSI_NS0_16reverse_iteratorISI_EEEEENSH_IJSG_SG_SG_EEES9_SI_JZNS1_25segmented_radix_sort_implINS0_14default_configELb1EPKbPbPKlPlN2at6native12_GLOBAL__N_18offset_tEEE10hipError_tPvRmT1_PNSt15iterator_traitsIS12_E10value_typeET2_T3_PNS13_IS18_E10value_typeET4_jRbjT5_S1E_jjP12ihipStream_tbEUljE_ZNSN_ISO_Lb1ESQ_SR_ST_SU_SY_EESZ_S10_S11_S12_S16_S17_S18_S1B_S1C_jS1D_jS1E_S1E_jjS1G_bEUljE0_EEESZ_S10_S11_S18_S1C_S1E_T6_T7_T9_mT8_S1G_bDpT10_ENKUlT_T0_E_clISt17integral_constantIbLb1EES1U_EEDaS1P_S1Q_EUlS1P_E_NS1_11comp_targetILNS1_3genE10ELNS1_11target_archE1200ELNS1_3gpuE4ELNS1_3repE0EEENS1_30default_config_static_selectorELNS0_4arch9wavefront6targetE1EEEvS12_.has_recursion, 0
	.set _ZN7rocprim17ROCPRIM_400000_NS6detail17trampoline_kernelINS0_13select_configILj256ELj13ELNS0_17block_load_methodE3ELS4_3ELS4_3ELNS0_20block_scan_algorithmE0ELj4294967295EEENS1_25partition_config_selectorILNS1_17partition_subalgoE4EjNS0_10empty_typeEbEEZZNS1_14partition_implILS8_4ELb0ES6_15HIP_vector_typeIjLj2EENS0_17counting_iteratorIjlEEPS9_SG_NS0_5tupleIJPjSI_NS0_16reverse_iteratorISI_EEEEENSH_IJSG_SG_SG_EEES9_SI_JZNS1_25segmented_radix_sort_implINS0_14default_configELb1EPKbPbPKlPlN2at6native12_GLOBAL__N_18offset_tEEE10hipError_tPvRmT1_PNSt15iterator_traitsIS12_E10value_typeET2_T3_PNS13_IS18_E10value_typeET4_jRbjT5_S1E_jjP12ihipStream_tbEUljE_ZNSN_ISO_Lb1ESQ_SR_ST_SU_SY_EESZ_S10_S11_S12_S16_S17_S18_S1B_S1C_jS1D_jS1E_S1E_jjS1G_bEUljE0_EEESZ_S10_S11_S18_S1C_S1E_T6_T7_T9_mT8_S1G_bDpT10_ENKUlT_T0_E_clISt17integral_constantIbLb1EES1U_EEDaS1P_S1Q_EUlS1P_E_NS1_11comp_targetILNS1_3genE10ELNS1_11target_archE1200ELNS1_3gpuE4ELNS1_3repE0EEENS1_30default_config_static_selectorELNS0_4arch9wavefront6targetE1EEEvS12_.has_indirect_call, 0
	.section	.AMDGPU.csdata,"",@progbits
; Kernel info:
; codeLenInByte = 0
; TotalNumSgprs: 4
; NumVgprs: 0
; ScratchSize: 0
; MemoryBound: 0
; FloatMode: 240
; IeeeMode: 1
; LDSByteSize: 0 bytes/workgroup (compile time only)
; SGPRBlocks: 0
; VGPRBlocks: 0
; NumSGPRsForWavesPerEU: 4
; NumVGPRsForWavesPerEU: 1
; Occupancy: 10
; WaveLimiterHint : 0
; COMPUTE_PGM_RSRC2:SCRATCH_EN: 0
; COMPUTE_PGM_RSRC2:USER_SGPR: 6
; COMPUTE_PGM_RSRC2:TRAP_HANDLER: 0
; COMPUTE_PGM_RSRC2:TGID_X_EN: 1
; COMPUTE_PGM_RSRC2:TGID_Y_EN: 0
; COMPUTE_PGM_RSRC2:TGID_Z_EN: 0
; COMPUTE_PGM_RSRC2:TIDIG_COMP_CNT: 0
	.section	.text._ZN7rocprim17ROCPRIM_400000_NS6detail17trampoline_kernelINS0_13select_configILj256ELj13ELNS0_17block_load_methodE3ELS4_3ELS4_3ELNS0_20block_scan_algorithmE0ELj4294967295EEENS1_25partition_config_selectorILNS1_17partition_subalgoE4EjNS0_10empty_typeEbEEZZNS1_14partition_implILS8_4ELb0ES6_15HIP_vector_typeIjLj2EENS0_17counting_iteratorIjlEEPS9_SG_NS0_5tupleIJPjSI_NS0_16reverse_iteratorISI_EEEEENSH_IJSG_SG_SG_EEES9_SI_JZNS1_25segmented_radix_sort_implINS0_14default_configELb1EPKbPbPKlPlN2at6native12_GLOBAL__N_18offset_tEEE10hipError_tPvRmT1_PNSt15iterator_traitsIS12_E10value_typeET2_T3_PNS13_IS18_E10value_typeET4_jRbjT5_S1E_jjP12ihipStream_tbEUljE_ZNSN_ISO_Lb1ESQ_SR_ST_SU_SY_EESZ_S10_S11_S12_S16_S17_S18_S1B_S1C_jS1D_jS1E_S1E_jjS1G_bEUljE0_EEESZ_S10_S11_S18_S1C_S1E_T6_T7_T9_mT8_S1G_bDpT10_ENKUlT_T0_E_clISt17integral_constantIbLb1EES1U_EEDaS1P_S1Q_EUlS1P_E_NS1_11comp_targetILNS1_3genE9ELNS1_11target_archE1100ELNS1_3gpuE3ELNS1_3repE0EEENS1_30default_config_static_selectorELNS0_4arch9wavefront6targetE1EEEvS12_,"axG",@progbits,_ZN7rocprim17ROCPRIM_400000_NS6detail17trampoline_kernelINS0_13select_configILj256ELj13ELNS0_17block_load_methodE3ELS4_3ELS4_3ELNS0_20block_scan_algorithmE0ELj4294967295EEENS1_25partition_config_selectorILNS1_17partition_subalgoE4EjNS0_10empty_typeEbEEZZNS1_14partition_implILS8_4ELb0ES6_15HIP_vector_typeIjLj2EENS0_17counting_iteratorIjlEEPS9_SG_NS0_5tupleIJPjSI_NS0_16reverse_iteratorISI_EEEEENSH_IJSG_SG_SG_EEES9_SI_JZNS1_25segmented_radix_sort_implINS0_14default_configELb1EPKbPbPKlPlN2at6native12_GLOBAL__N_18offset_tEEE10hipError_tPvRmT1_PNSt15iterator_traitsIS12_E10value_typeET2_T3_PNS13_IS18_E10value_typeET4_jRbjT5_S1E_jjP12ihipStream_tbEUljE_ZNSN_ISO_Lb1ESQ_SR_ST_SU_SY_EESZ_S10_S11_S12_S16_S17_S18_S1B_S1C_jS1D_jS1E_S1E_jjS1G_bEUljE0_EEESZ_S10_S11_S18_S1C_S1E_T6_T7_T9_mT8_S1G_bDpT10_ENKUlT_T0_E_clISt17integral_constantIbLb1EES1U_EEDaS1P_S1Q_EUlS1P_E_NS1_11comp_targetILNS1_3genE9ELNS1_11target_archE1100ELNS1_3gpuE3ELNS1_3repE0EEENS1_30default_config_static_selectorELNS0_4arch9wavefront6targetE1EEEvS12_,comdat
	.globl	_ZN7rocprim17ROCPRIM_400000_NS6detail17trampoline_kernelINS0_13select_configILj256ELj13ELNS0_17block_load_methodE3ELS4_3ELS4_3ELNS0_20block_scan_algorithmE0ELj4294967295EEENS1_25partition_config_selectorILNS1_17partition_subalgoE4EjNS0_10empty_typeEbEEZZNS1_14partition_implILS8_4ELb0ES6_15HIP_vector_typeIjLj2EENS0_17counting_iteratorIjlEEPS9_SG_NS0_5tupleIJPjSI_NS0_16reverse_iteratorISI_EEEEENSH_IJSG_SG_SG_EEES9_SI_JZNS1_25segmented_radix_sort_implINS0_14default_configELb1EPKbPbPKlPlN2at6native12_GLOBAL__N_18offset_tEEE10hipError_tPvRmT1_PNSt15iterator_traitsIS12_E10value_typeET2_T3_PNS13_IS18_E10value_typeET4_jRbjT5_S1E_jjP12ihipStream_tbEUljE_ZNSN_ISO_Lb1ESQ_SR_ST_SU_SY_EESZ_S10_S11_S12_S16_S17_S18_S1B_S1C_jS1D_jS1E_S1E_jjS1G_bEUljE0_EEESZ_S10_S11_S18_S1C_S1E_T6_T7_T9_mT8_S1G_bDpT10_ENKUlT_T0_E_clISt17integral_constantIbLb1EES1U_EEDaS1P_S1Q_EUlS1P_E_NS1_11comp_targetILNS1_3genE9ELNS1_11target_archE1100ELNS1_3gpuE3ELNS1_3repE0EEENS1_30default_config_static_selectorELNS0_4arch9wavefront6targetE1EEEvS12_ ; -- Begin function _ZN7rocprim17ROCPRIM_400000_NS6detail17trampoline_kernelINS0_13select_configILj256ELj13ELNS0_17block_load_methodE3ELS4_3ELS4_3ELNS0_20block_scan_algorithmE0ELj4294967295EEENS1_25partition_config_selectorILNS1_17partition_subalgoE4EjNS0_10empty_typeEbEEZZNS1_14partition_implILS8_4ELb0ES6_15HIP_vector_typeIjLj2EENS0_17counting_iteratorIjlEEPS9_SG_NS0_5tupleIJPjSI_NS0_16reverse_iteratorISI_EEEEENSH_IJSG_SG_SG_EEES9_SI_JZNS1_25segmented_radix_sort_implINS0_14default_configELb1EPKbPbPKlPlN2at6native12_GLOBAL__N_18offset_tEEE10hipError_tPvRmT1_PNSt15iterator_traitsIS12_E10value_typeET2_T3_PNS13_IS18_E10value_typeET4_jRbjT5_S1E_jjP12ihipStream_tbEUljE_ZNSN_ISO_Lb1ESQ_SR_ST_SU_SY_EESZ_S10_S11_S12_S16_S17_S18_S1B_S1C_jS1D_jS1E_S1E_jjS1G_bEUljE0_EEESZ_S10_S11_S18_S1C_S1E_T6_T7_T9_mT8_S1G_bDpT10_ENKUlT_T0_E_clISt17integral_constantIbLb1EES1U_EEDaS1P_S1Q_EUlS1P_E_NS1_11comp_targetILNS1_3genE9ELNS1_11target_archE1100ELNS1_3gpuE3ELNS1_3repE0EEENS1_30default_config_static_selectorELNS0_4arch9wavefront6targetE1EEEvS12_
	.p2align	8
	.type	_ZN7rocprim17ROCPRIM_400000_NS6detail17trampoline_kernelINS0_13select_configILj256ELj13ELNS0_17block_load_methodE3ELS4_3ELS4_3ELNS0_20block_scan_algorithmE0ELj4294967295EEENS1_25partition_config_selectorILNS1_17partition_subalgoE4EjNS0_10empty_typeEbEEZZNS1_14partition_implILS8_4ELb0ES6_15HIP_vector_typeIjLj2EENS0_17counting_iteratorIjlEEPS9_SG_NS0_5tupleIJPjSI_NS0_16reverse_iteratorISI_EEEEENSH_IJSG_SG_SG_EEES9_SI_JZNS1_25segmented_radix_sort_implINS0_14default_configELb1EPKbPbPKlPlN2at6native12_GLOBAL__N_18offset_tEEE10hipError_tPvRmT1_PNSt15iterator_traitsIS12_E10value_typeET2_T3_PNS13_IS18_E10value_typeET4_jRbjT5_S1E_jjP12ihipStream_tbEUljE_ZNSN_ISO_Lb1ESQ_SR_ST_SU_SY_EESZ_S10_S11_S12_S16_S17_S18_S1B_S1C_jS1D_jS1E_S1E_jjS1G_bEUljE0_EEESZ_S10_S11_S18_S1C_S1E_T6_T7_T9_mT8_S1G_bDpT10_ENKUlT_T0_E_clISt17integral_constantIbLb1EES1U_EEDaS1P_S1Q_EUlS1P_E_NS1_11comp_targetILNS1_3genE9ELNS1_11target_archE1100ELNS1_3gpuE3ELNS1_3repE0EEENS1_30default_config_static_selectorELNS0_4arch9wavefront6targetE1EEEvS12_,@function
_ZN7rocprim17ROCPRIM_400000_NS6detail17trampoline_kernelINS0_13select_configILj256ELj13ELNS0_17block_load_methodE3ELS4_3ELS4_3ELNS0_20block_scan_algorithmE0ELj4294967295EEENS1_25partition_config_selectorILNS1_17partition_subalgoE4EjNS0_10empty_typeEbEEZZNS1_14partition_implILS8_4ELb0ES6_15HIP_vector_typeIjLj2EENS0_17counting_iteratorIjlEEPS9_SG_NS0_5tupleIJPjSI_NS0_16reverse_iteratorISI_EEEEENSH_IJSG_SG_SG_EEES9_SI_JZNS1_25segmented_radix_sort_implINS0_14default_configELb1EPKbPbPKlPlN2at6native12_GLOBAL__N_18offset_tEEE10hipError_tPvRmT1_PNSt15iterator_traitsIS12_E10value_typeET2_T3_PNS13_IS18_E10value_typeET4_jRbjT5_S1E_jjP12ihipStream_tbEUljE_ZNSN_ISO_Lb1ESQ_SR_ST_SU_SY_EESZ_S10_S11_S12_S16_S17_S18_S1B_S1C_jS1D_jS1E_S1E_jjS1G_bEUljE0_EEESZ_S10_S11_S18_S1C_S1E_T6_T7_T9_mT8_S1G_bDpT10_ENKUlT_T0_E_clISt17integral_constantIbLb1EES1U_EEDaS1P_S1Q_EUlS1P_E_NS1_11comp_targetILNS1_3genE9ELNS1_11target_archE1100ELNS1_3gpuE3ELNS1_3repE0EEENS1_30default_config_static_selectorELNS0_4arch9wavefront6targetE1EEEvS12_: ; @_ZN7rocprim17ROCPRIM_400000_NS6detail17trampoline_kernelINS0_13select_configILj256ELj13ELNS0_17block_load_methodE3ELS4_3ELS4_3ELNS0_20block_scan_algorithmE0ELj4294967295EEENS1_25partition_config_selectorILNS1_17partition_subalgoE4EjNS0_10empty_typeEbEEZZNS1_14partition_implILS8_4ELb0ES6_15HIP_vector_typeIjLj2EENS0_17counting_iteratorIjlEEPS9_SG_NS0_5tupleIJPjSI_NS0_16reverse_iteratorISI_EEEEENSH_IJSG_SG_SG_EEES9_SI_JZNS1_25segmented_radix_sort_implINS0_14default_configELb1EPKbPbPKlPlN2at6native12_GLOBAL__N_18offset_tEEE10hipError_tPvRmT1_PNSt15iterator_traitsIS12_E10value_typeET2_T3_PNS13_IS18_E10value_typeET4_jRbjT5_S1E_jjP12ihipStream_tbEUljE_ZNSN_ISO_Lb1ESQ_SR_ST_SU_SY_EESZ_S10_S11_S12_S16_S17_S18_S1B_S1C_jS1D_jS1E_S1E_jjS1G_bEUljE0_EEESZ_S10_S11_S18_S1C_S1E_T6_T7_T9_mT8_S1G_bDpT10_ENKUlT_T0_E_clISt17integral_constantIbLb1EES1U_EEDaS1P_S1Q_EUlS1P_E_NS1_11comp_targetILNS1_3genE9ELNS1_11target_archE1100ELNS1_3gpuE3ELNS1_3repE0EEENS1_30default_config_static_selectorELNS0_4arch9wavefront6targetE1EEEvS12_
; %bb.0:
	.section	.rodata,"a",@progbits
	.p2align	6, 0x0
	.amdhsa_kernel _ZN7rocprim17ROCPRIM_400000_NS6detail17trampoline_kernelINS0_13select_configILj256ELj13ELNS0_17block_load_methodE3ELS4_3ELS4_3ELNS0_20block_scan_algorithmE0ELj4294967295EEENS1_25partition_config_selectorILNS1_17partition_subalgoE4EjNS0_10empty_typeEbEEZZNS1_14partition_implILS8_4ELb0ES6_15HIP_vector_typeIjLj2EENS0_17counting_iteratorIjlEEPS9_SG_NS0_5tupleIJPjSI_NS0_16reverse_iteratorISI_EEEEENSH_IJSG_SG_SG_EEES9_SI_JZNS1_25segmented_radix_sort_implINS0_14default_configELb1EPKbPbPKlPlN2at6native12_GLOBAL__N_18offset_tEEE10hipError_tPvRmT1_PNSt15iterator_traitsIS12_E10value_typeET2_T3_PNS13_IS18_E10value_typeET4_jRbjT5_S1E_jjP12ihipStream_tbEUljE_ZNSN_ISO_Lb1ESQ_SR_ST_SU_SY_EESZ_S10_S11_S12_S16_S17_S18_S1B_S1C_jS1D_jS1E_S1E_jjS1G_bEUljE0_EEESZ_S10_S11_S18_S1C_S1E_T6_T7_T9_mT8_S1G_bDpT10_ENKUlT_T0_E_clISt17integral_constantIbLb1EES1U_EEDaS1P_S1Q_EUlS1P_E_NS1_11comp_targetILNS1_3genE9ELNS1_11target_archE1100ELNS1_3gpuE3ELNS1_3repE0EEENS1_30default_config_static_selectorELNS0_4arch9wavefront6targetE1EEEvS12_
		.amdhsa_group_segment_fixed_size 0
		.amdhsa_private_segment_fixed_size 0
		.amdhsa_kernarg_size 184
		.amdhsa_user_sgpr_count 6
		.amdhsa_user_sgpr_private_segment_buffer 1
		.amdhsa_user_sgpr_dispatch_ptr 0
		.amdhsa_user_sgpr_queue_ptr 0
		.amdhsa_user_sgpr_kernarg_segment_ptr 1
		.amdhsa_user_sgpr_dispatch_id 0
		.amdhsa_user_sgpr_flat_scratch_init 0
		.amdhsa_user_sgpr_private_segment_size 0
		.amdhsa_uses_dynamic_stack 0
		.amdhsa_system_sgpr_private_segment_wavefront_offset 0
		.amdhsa_system_sgpr_workgroup_id_x 1
		.amdhsa_system_sgpr_workgroup_id_y 0
		.amdhsa_system_sgpr_workgroup_id_z 0
		.amdhsa_system_sgpr_workgroup_info 0
		.amdhsa_system_vgpr_workitem_id 0
		.amdhsa_next_free_vgpr 1
		.amdhsa_next_free_sgpr 0
		.amdhsa_reserve_vcc 0
		.amdhsa_reserve_flat_scratch 0
		.amdhsa_float_round_mode_32 0
		.amdhsa_float_round_mode_16_64 0
		.amdhsa_float_denorm_mode_32 3
		.amdhsa_float_denorm_mode_16_64 3
		.amdhsa_dx10_clamp 1
		.amdhsa_ieee_mode 1
		.amdhsa_fp16_overflow 0
		.amdhsa_exception_fp_ieee_invalid_op 0
		.amdhsa_exception_fp_denorm_src 0
		.amdhsa_exception_fp_ieee_div_zero 0
		.amdhsa_exception_fp_ieee_overflow 0
		.amdhsa_exception_fp_ieee_underflow 0
		.amdhsa_exception_fp_ieee_inexact 0
		.amdhsa_exception_int_div_zero 0
	.end_amdhsa_kernel
	.section	.text._ZN7rocprim17ROCPRIM_400000_NS6detail17trampoline_kernelINS0_13select_configILj256ELj13ELNS0_17block_load_methodE3ELS4_3ELS4_3ELNS0_20block_scan_algorithmE0ELj4294967295EEENS1_25partition_config_selectorILNS1_17partition_subalgoE4EjNS0_10empty_typeEbEEZZNS1_14partition_implILS8_4ELb0ES6_15HIP_vector_typeIjLj2EENS0_17counting_iteratorIjlEEPS9_SG_NS0_5tupleIJPjSI_NS0_16reverse_iteratorISI_EEEEENSH_IJSG_SG_SG_EEES9_SI_JZNS1_25segmented_radix_sort_implINS0_14default_configELb1EPKbPbPKlPlN2at6native12_GLOBAL__N_18offset_tEEE10hipError_tPvRmT1_PNSt15iterator_traitsIS12_E10value_typeET2_T3_PNS13_IS18_E10value_typeET4_jRbjT5_S1E_jjP12ihipStream_tbEUljE_ZNSN_ISO_Lb1ESQ_SR_ST_SU_SY_EESZ_S10_S11_S12_S16_S17_S18_S1B_S1C_jS1D_jS1E_S1E_jjS1G_bEUljE0_EEESZ_S10_S11_S18_S1C_S1E_T6_T7_T9_mT8_S1G_bDpT10_ENKUlT_T0_E_clISt17integral_constantIbLb1EES1U_EEDaS1P_S1Q_EUlS1P_E_NS1_11comp_targetILNS1_3genE9ELNS1_11target_archE1100ELNS1_3gpuE3ELNS1_3repE0EEENS1_30default_config_static_selectorELNS0_4arch9wavefront6targetE1EEEvS12_,"axG",@progbits,_ZN7rocprim17ROCPRIM_400000_NS6detail17trampoline_kernelINS0_13select_configILj256ELj13ELNS0_17block_load_methodE3ELS4_3ELS4_3ELNS0_20block_scan_algorithmE0ELj4294967295EEENS1_25partition_config_selectorILNS1_17partition_subalgoE4EjNS0_10empty_typeEbEEZZNS1_14partition_implILS8_4ELb0ES6_15HIP_vector_typeIjLj2EENS0_17counting_iteratorIjlEEPS9_SG_NS0_5tupleIJPjSI_NS0_16reverse_iteratorISI_EEEEENSH_IJSG_SG_SG_EEES9_SI_JZNS1_25segmented_radix_sort_implINS0_14default_configELb1EPKbPbPKlPlN2at6native12_GLOBAL__N_18offset_tEEE10hipError_tPvRmT1_PNSt15iterator_traitsIS12_E10value_typeET2_T3_PNS13_IS18_E10value_typeET4_jRbjT5_S1E_jjP12ihipStream_tbEUljE_ZNSN_ISO_Lb1ESQ_SR_ST_SU_SY_EESZ_S10_S11_S12_S16_S17_S18_S1B_S1C_jS1D_jS1E_S1E_jjS1G_bEUljE0_EEESZ_S10_S11_S18_S1C_S1E_T6_T7_T9_mT8_S1G_bDpT10_ENKUlT_T0_E_clISt17integral_constantIbLb1EES1U_EEDaS1P_S1Q_EUlS1P_E_NS1_11comp_targetILNS1_3genE9ELNS1_11target_archE1100ELNS1_3gpuE3ELNS1_3repE0EEENS1_30default_config_static_selectorELNS0_4arch9wavefront6targetE1EEEvS12_,comdat
.Lfunc_end1482:
	.size	_ZN7rocprim17ROCPRIM_400000_NS6detail17trampoline_kernelINS0_13select_configILj256ELj13ELNS0_17block_load_methodE3ELS4_3ELS4_3ELNS0_20block_scan_algorithmE0ELj4294967295EEENS1_25partition_config_selectorILNS1_17partition_subalgoE4EjNS0_10empty_typeEbEEZZNS1_14partition_implILS8_4ELb0ES6_15HIP_vector_typeIjLj2EENS0_17counting_iteratorIjlEEPS9_SG_NS0_5tupleIJPjSI_NS0_16reverse_iteratorISI_EEEEENSH_IJSG_SG_SG_EEES9_SI_JZNS1_25segmented_radix_sort_implINS0_14default_configELb1EPKbPbPKlPlN2at6native12_GLOBAL__N_18offset_tEEE10hipError_tPvRmT1_PNSt15iterator_traitsIS12_E10value_typeET2_T3_PNS13_IS18_E10value_typeET4_jRbjT5_S1E_jjP12ihipStream_tbEUljE_ZNSN_ISO_Lb1ESQ_SR_ST_SU_SY_EESZ_S10_S11_S12_S16_S17_S18_S1B_S1C_jS1D_jS1E_S1E_jjS1G_bEUljE0_EEESZ_S10_S11_S18_S1C_S1E_T6_T7_T9_mT8_S1G_bDpT10_ENKUlT_T0_E_clISt17integral_constantIbLb1EES1U_EEDaS1P_S1Q_EUlS1P_E_NS1_11comp_targetILNS1_3genE9ELNS1_11target_archE1100ELNS1_3gpuE3ELNS1_3repE0EEENS1_30default_config_static_selectorELNS0_4arch9wavefront6targetE1EEEvS12_, .Lfunc_end1482-_ZN7rocprim17ROCPRIM_400000_NS6detail17trampoline_kernelINS0_13select_configILj256ELj13ELNS0_17block_load_methodE3ELS4_3ELS4_3ELNS0_20block_scan_algorithmE0ELj4294967295EEENS1_25partition_config_selectorILNS1_17partition_subalgoE4EjNS0_10empty_typeEbEEZZNS1_14partition_implILS8_4ELb0ES6_15HIP_vector_typeIjLj2EENS0_17counting_iteratorIjlEEPS9_SG_NS0_5tupleIJPjSI_NS0_16reverse_iteratorISI_EEEEENSH_IJSG_SG_SG_EEES9_SI_JZNS1_25segmented_radix_sort_implINS0_14default_configELb1EPKbPbPKlPlN2at6native12_GLOBAL__N_18offset_tEEE10hipError_tPvRmT1_PNSt15iterator_traitsIS12_E10value_typeET2_T3_PNS13_IS18_E10value_typeET4_jRbjT5_S1E_jjP12ihipStream_tbEUljE_ZNSN_ISO_Lb1ESQ_SR_ST_SU_SY_EESZ_S10_S11_S12_S16_S17_S18_S1B_S1C_jS1D_jS1E_S1E_jjS1G_bEUljE0_EEESZ_S10_S11_S18_S1C_S1E_T6_T7_T9_mT8_S1G_bDpT10_ENKUlT_T0_E_clISt17integral_constantIbLb1EES1U_EEDaS1P_S1Q_EUlS1P_E_NS1_11comp_targetILNS1_3genE9ELNS1_11target_archE1100ELNS1_3gpuE3ELNS1_3repE0EEENS1_30default_config_static_selectorELNS0_4arch9wavefront6targetE1EEEvS12_
                                        ; -- End function
	.set _ZN7rocprim17ROCPRIM_400000_NS6detail17trampoline_kernelINS0_13select_configILj256ELj13ELNS0_17block_load_methodE3ELS4_3ELS4_3ELNS0_20block_scan_algorithmE0ELj4294967295EEENS1_25partition_config_selectorILNS1_17partition_subalgoE4EjNS0_10empty_typeEbEEZZNS1_14partition_implILS8_4ELb0ES6_15HIP_vector_typeIjLj2EENS0_17counting_iteratorIjlEEPS9_SG_NS0_5tupleIJPjSI_NS0_16reverse_iteratorISI_EEEEENSH_IJSG_SG_SG_EEES9_SI_JZNS1_25segmented_radix_sort_implINS0_14default_configELb1EPKbPbPKlPlN2at6native12_GLOBAL__N_18offset_tEEE10hipError_tPvRmT1_PNSt15iterator_traitsIS12_E10value_typeET2_T3_PNS13_IS18_E10value_typeET4_jRbjT5_S1E_jjP12ihipStream_tbEUljE_ZNSN_ISO_Lb1ESQ_SR_ST_SU_SY_EESZ_S10_S11_S12_S16_S17_S18_S1B_S1C_jS1D_jS1E_S1E_jjS1G_bEUljE0_EEESZ_S10_S11_S18_S1C_S1E_T6_T7_T9_mT8_S1G_bDpT10_ENKUlT_T0_E_clISt17integral_constantIbLb1EES1U_EEDaS1P_S1Q_EUlS1P_E_NS1_11comp_targetILNS1_3genE9ELNS1_11target_archE1100ELNS1_3gpuE3ELNS1_3repE0EEENS1_30default_config_static_selectorELNS0_4arch9wavefront6targetE1EEEvS12_.num_vgpr, 0
	.set _ZN7rocprim17ROCPRIM_400000_NS6detail17trampoline_kernelINS0_13select_configILj256ELj13ELNS0_17block_load_methodE3ELS4_3ELS4_3ELNS0_20block_scan_algorithmE0ELj4294967295EEENS1_25partition_config_selectorILNS1_17partition_subalgoE4EjNS0_10empty_typeEbEEZZNS1_14partition_implILS8_4ELb0ES6_15HIP_vector_typeIjLj2EENS0_17counting_iteratorIjlEEPS9_SG_NS0_5tupleIJPjSI_NS0_16reverse_iteratorISI_EEEEENSH_IJSG_SG_SG_EEES9_SI_JZNS1_25segmented_radix_sort_implINS0_14default_configELb1EPKbPbPKlPlN2at6native12_GLOBAL__N_18offset_tEEE10hipError_tPvRmT1_PNSt15iterator_traitsIS12_E10value_typeET2_T3_PNS13_IS18_E10value_typeET4_jRbjT5_S1E_jjP12ihipStream_tbEUljE_ZNSN_ISO_Lb1ESQ_SR_ST_SU_SY_EESZ_S10_S11_S12_S16_S17_S18_S1B_S1C_jS1D_jS1E_S1E_jjS1G_bEUljE0_EEESZ_S10_S11_S18_S1C_S1E_T6_T7_T9_mT8_S1G_bDpT10_ENKUlT_T0_E_clISt17integral_constantIbLb1EES1U_EEDaS1P_S1Q_EUlS1P_E_NS1_11comp_targetILNS1_3genE9ELNS1_11target_archE1100ELNS1_3gpuE3ELNS1_3repE0EEENS1_30default_config_static_selectorELNS0_4arch9wavefront6targetE1EEEvS12_.num_agpr, 0
	.set _ZN7rocprim17ROCPRIM_400000_NS6detail17trampoline_kernelINS0_13select_configILj256ELj13ELNS0_17block_load_methodE3ELS4_3ELS4_3ELNS0_20block_scan_algorithmE0ELj4294967295EEENS1_25partition_config_selectorILNS1_17partition_subalgoE4EjNS0_10empty_typeEbEEZZNS1_14partition_implILS8_4ELb0ES6_15HIP_vector_typeIjLj2EENS0_17counting_iteratorIjlEEPS9_SG_NS0_5tupleIJPjSI_NS0_16reverse_iteratorISI_EEEEENSH_IJSG_SG_SG_EEES9_SI_JZNS1_25segmented_radix_sort_implINS0_14default_configELb1EPKbPbPKlPlN2at6native12_GLOBAL__N_18offset_tEEE10hipError_tPvRmT1_PNSt15iterator_traitsIS12_E10value_typeET2_T3_PNS13_IS18_E10value_typeET4_jRbjT5_S1E_jjP12ihipStream_tbEUljE_ZNSN_ISO_Lb1ESQ_SR_ST_SU_SY_EESZ_S10_S11_S12_S16_S17_S18_S1B_S1C_jS1D_jS1E_S1E_jjS1G_bEUljE0_EEESZ_S10_S11_S18_S1C_S1E_T6_T7_T9_mT8_S1G_bDpT10_ENKUlT_T0_E_clISt17integral_constantIbLb1EES1U_EEDaS1P_S1Q_EUlS1P_E_NS1_11comp_targetILNS1_3genE9ELNS1_11target_archE1100ELNS1_3gpuE3ELNS1_3repE0EEENS1_30default_config_static_selectorELNS0_4arch9wavefront6targetE1EEEvS12_.numbered_sgpr, 0
	.set _ZN7rocprim17ROCPRIM_400000_NS6detail17trampoline_kernelINS0_13select_configILj256ELj13ELNS0_17block_load_methodE3ELS4_3ELS4_3ELNS0_20block_scan_algorithmE0ELj4294967295EEENS1_25partition_config_selectorILNS1_17partition_subalgoE4EjNS0_10empty_typeEbEEZZNS1_14partition_implILS8_4ELb0ES6_15HIP_vector_typeIjLj2EENS0_17counting_iteratorIjlEEPS9_SG_NS0_5tupleIJPjSI_NS0_16reverse_iteratorISI_EEEEENSH_IJSG_SG_SG_EEES9_SI_JZNS1_25segmented_radix_sort_implINS0_14default_configELb1EPKbPbPKlPlN2at6native12_GLOBAL__N_18offset_tEEE10hipError_tPvRmT1_PNSt15iterator_traitsIS12_E10value_typeET2_T3_PNS13_IS18_E10value_typeET4_jRbjT5_S1E_jjP12ihipStream_tbEUljE_ZNSN_ISO_Lb1ESQ_SR_ST_SU_SY_EESZ_S10_S11_S12_S16_S17_S18_S1B_S1C_jS1D_jS1E_S1E_jjS1G_bEUljE0_EEESZ_S10_S11_S18_S1C_S1E_T6_T7_T9_mT8_S1G_bDpT10_ENKUlT_T0_E_clISt17integral_constantIbLb1EES1U_EEDaS1P_S1Q_EUlS1P_E_NS1_11comp_targetILNS1_3genE9ELNS1_11target_archE1100ELNS1_3gpuE3ELNS1_3repE0EEENS1_30default_config_static_selectorELNS0_4arch9wavefront6targetE1EEEvS12_.num_named_barrier, 0
	.set _ZN7rocprim17ROCPRIM_400000_NS6detail17trampoline_kernelINS0_13select_configILj256ELj13ELNS0_17block_load_methodE3ELS4_3ELS4_3ELNS0_20block_scan_algorithmE0ELj4294967295EEENS1_25partition_config_selectorILNS1_17partition_subalgoE4EjNS0_10empty_typeEbEEZZNS1_14partition_implILS8_4ELb0ES6_15HIP_vector_typeIjLj2EENS0_17counting_iteratorIjlEEPS9_SG_NS0_5tupleIJPjSI_NS0_16reverse_iteratorISI_EEEEENSH_IJSG_SG_SG_EEES9_SI_JZNS1_25segmented_radix_sort_implINS0_14default_configELb1EPKbPbPKlPlN2at6native12_GLOBAL__N_18offset_tEEE10hipError_tPvRmT1_PNSt15iterator_traitsIS12_E10value_typeET2_T3_PNS13_IS18_E10value_typeET4_jRbjT5_S1E_jjP12ihipStream_tbEUljE_ZNSN_ISO_Lb1ESQ_SR_ST_SU_SY_EESZ_S10_S11_S12_S16_S17_S18_S1B_S1C_jS1D_jS1E_S1E_jjS1G_bEUljE0_EEESZ_S10_S11_S18_S1C_S1E_T6_T7_T9_mT8_S1G_bDpT10_ENKUlT_T0_E_clISt17integral_constantIbLb1EES1U_EEDaS1P_S1Q_EUlS1P_E_NS1_11comp_targetILNS1_3genE9ELNS1_11target_archE1100ELNS1_3gpuE3ELNS1_3repE0EEENS1_30default_config_static_selectorELNS0_4arch9wavefront6targetE1EEEvS12_.private_seg_size, 0
	.set _ZN7rocprim17ROCPRIM_400000_NS6detail17trampoline_kernelINS0_13select_configILj256ELj13ELNS0_17block_load_methodE3ELS4_3ELS4_3ELNS0_20block_scan_algorithmE0ELj4294967295EEENS1_25partition_config_selectorILNS1_17partition_subalgoE4EjNS0_10empty_typeEbEEZZNS1_14partition_implILS8_4ELb0ES6_15HIP_vector_typeIjLj2EENS0_17counting_iteratorIjlEEPS9_SG_NS0_5tupleIJPjSI_NS0_16reverse_iteratorISI_EEEEENSH_IJSG_SG_SG_EEES9_SI_JZNS1_25segmented_radix_sort_implINS0_14default_configELb1EPKbPbPKlPlN2at6native12_GLOBAL__N_18offset_tEEE10hipError_tPvRmT1_PNSt15iterator_traitsIS12_E10value_typeET2_T3_PNS13_IS18_E10value_typeET4_jRbjT5_S1E_jjP12ihipStream_tbEUljE_ZNSN_ISO_Lb1ESQ_SR_ST_SU_SY_EESZ_S10_S11_S12_S16_S17_S18_S1B_S1C_jS1D_jS1E_S1E_jjS1G_bEUljE0_EEESZ_S10_S11_S18_S1C_S1E_T6_T7_T9_mT8_S1G_bDpT10_ENKUlT_T0_E_clISt17integral_constantIbLb1EES1U_EEDaS1P_S1Q_EUlS1P_E_NS1_11comp_targetILNS1_3genE9ELNS1_11target_archE1100ELNS1_3gpuE3ELNS1_3repE0EEENS1_30default_config_static_selectorELNS0_4arch9wavefront6targetE1EEEvS12_.uses_vcc, 0
	.set _ZN7rocprim17ROCPRIM_400000_NS6detail17trampoline_kernelINS0_13select_configILj256ELj13ELNS0_17block_load_methodE3ELS4_3ELS4_3ELNS0_20block_scan_algorithmE0ELj4294967295EEENS1_25partition_config_selectorILNS1_17partition_subalgoE4EjNS0_10empty_typeEbEEZZNS1_14partition_implILS8_4ELb0ES6_15HIP_vector_typeIjLj2EENS0_17counting_iteratorIjlEEPS9_SG_NS0_5tupleIJPjSI_NS0_16reverse_iteratorISI_EEEEENSH_IJSG_SG_SG_EEES9_SI_JZNS1_25segmented_radix_sort_implINS0_14default_configELb1EPKbPbPKlPlN2at6native12_GLOBAL__N_18offset_tEEE10hipError_tPvRmT1_PNSt15iterator_traitsIS12_E10value_typeET2_T3_PNS13_IS18_E10value_typeET4_jRbjT5_S1E_jjP12ihipStream_tbEUljE_ZNSN_ISO_Lb1ESQ_SR_ST_SU_SY_EESZ_S10_S11_S12_S16_S17_S18_S1B_S1C_jS1D_jS1E_S1E_jjS1G_bEUljE0_EEESZ_S10_S11_S18_S1C_S1E_T6_T7_T9_mT8_S1G_bDpT10_ENKUlT_T0_E_clISt17integral_constantIbLb1EES1U_EEDaS1P_S1Q_EUlS1P_E_NS1_11comp_targetILNS1_3genE9ELNS1_11target_archE1100ELNS1_3gpuE3ELNS1_3repE0EEENS1_30default_config_static_selectorELNS0_4arch9wavefront6targetE1EEEvS12_.uses_flat_scratch, 0
	.set _ZN7rocprim17ROCPRIM_400000_NS6detail17trampoline_kernelINS0_13select_configILj256ELj13ELNS0_17block_load_methodE3ELS4_3ELS4_3ELNS0_20block_scan_algorithmE0ELj4294967295EEENS1_25partition_config_selectorILNS1_17partition_subalgoE4EjNS0_10empty_typeEbEEZZNS1_14partition_implILS8_4ELb0ES6_15HIP_vector_typeIjLj2EENS0_17counting_iteratorIjlEEPS9_SG_NS0_5tupleIJPjSI_NS0_16reverse_iteratorISI_EEEEENSH_IJSG_SG_SG_EEES9_SI_JZNS1_25segmented_radix_sort_implINS0_14default_configELb1EPKbPbPKlPlN2at6native12_GLOBAL__N_18offset_tEEE10hipError_tPvRmT1_PNSt15iterator_traitsIS12_E10value_typeET2_T3_PNS13_IS18_E10value_typeET4_jRbjT5_S1E_jjP12ihipStream_tbEUljE_ZNSN_ISO_Lb1ESQ_SR_ST_SU_SY_EESZ_S10_S11_S12_S16_S17_S18_S1B_S1C_jS1D_jS1E_S1E_jjS1G_bEUljE0_EEESZ_S10_S11_S18_S1C_S1E_T6_T7_T9_mT8_S1G_bDpT10_ENKUlT_T0_E_clISt17integral_constantIbLb1EES1U_EEDaS1P_S1Q_EUlS1P_E_NS1_11comp_targetILNS1_3genE9ELNS1_11target_archE1100ELNS1_3gpuE3ELNS1_3repE0EEENS1_30default_config_static_selectorELNS0_4arch9wavefront6targetE1EEEvS12_.has_dyn_sized_stack, 0
	.set _ZN7rocprim17ROCPRIM_400000_NS6detail17trampoline_kernelINS0_13select_configILj256ELj13ELNS0_17block_load_methodE3ELS4_3ELS4_3ELNS0_20block_scan_algorithmE0ELj4294967295EEENS1_25partition_config_selectorILNS1_17partition_subalgoE4EjNS0_10empty_typeEbEEZZNS1_14partition_implILS8_4ELb0ES6_15HIP_vector_typeIjLj2EENS0_17counting_iteratorIjlEEPS9_SG_NS0_5tupleIJPjSI_NS0_16reverse_iteratorISI_EEEEENSH_IJSG_SG_SG_EEES9_SI_JZNS1_25segmented_radix_sort_implINS0_14default_configELb1EPKbPbPKlPlN2at6native12_GLOBAL__N_18offset_tEEE10hipError_tPvRmT1_PNSt15iterator_traitsIS12_E10value_typeET2_T3_PNS13_IS18_E10value_typeET4_jRbjT5_S1E_jjP12ihipStream_tbEUljE_ZNSN_ISO_Lb1ESQ_SR_ST_SU_SY_EESZ_S10_S11_S12_S16_S17_S18_S1B_S1C_jS1D_jS1E_S1E_jjS1G_bEUljE0_EEESZ_S10_S11_S18_S1C_S1E_T6_T7_T9_mT8_S1G_bDpT10_ENKUlT_T0_E_clISt17integral_constantIbLb1EES1U_EEDaS1P_S1Q_EUlS1P_E_NS1_11comp_targetILNS1_3genE9ELNS1_11target_archE1100ELNS1_3gpuE3ELNS1_3repE0EEENS1_30default_config_static_selectorELNS0_4arch9wavefront6targetE1EEEvS12_.has_recursion, 0
	.set _ZN7rocprim17ROCPRIM_400000_NS6detail17trampoline_kernelINS0_13select_configILj256ELj13ELNS0_17block_load_methodE3ELS4_3ELS4_3ELNS0_20block_scan_algorithmE0ELj4294967295EEENS1_25partition_config_selectorILNS1_17partition_subalgoE4EjNS0_10empty_typeEbEEZZNS1_14partition_implILS8_4ELb0ES6_15HIP_vector_typeIjLj2EENS0_17counting_iteratorIjlEEPS9_SG_NS0_5tupleIJPjSI_NS0_16reverse_iteratorISI_EEEEENSH_IJSG_SG_SG_EEES9_SI_JZNS1_25segmented_radix_sort_implINS0_14default_configELb1EPKbPbPKlPlN2at6native12_GLOBAL__N_18offset_tEEE10hipError_tPvRmT1_PNSt15iterator_traitsIS12_E10value_typeET2_T3_PNS13_IS18_E10value_typeET4_jRbjT5_S1E_jjP12ihipStream_tbEUljE_ZNSN_ISO_Lb1ESQ_SR_ST_SU_SY_EESZ_S10_S11_S12_S16_S17_S18_S1B_S1C_jS1D_jS1E_S1E_jjS1G_bEUljE0_EEESZ_S10_S11_S18_S1C_S1E_T6_T7_T9_mT8_S1G_bDpT10_ENKUlT_T0_E_clISt17integral_constantIbLb1EES1U_EEDaS1P_S1Q_EUlS1P_E_NS1_11comp_targetILNS1_3genE9ELNS1_11target_archE1100ELNS1_3gpuE3ELNS1_3repE0EEENS1_30default_config_static_selectorELNS0_4arch9wavefront6targetE1EEEvS12_.has_indirect_call, 0
	.section	.AMDGPU.csdata,"",@progbits
; Kernel info:
; codeLenInByte = 0
; TotalNumSgprs: 4
; NumVgprs: 0
; ScratchSize: 0
; MemoryBound: 0
; FloatMode: 240
; IeeeMode: 1
; LDSByteSize: 0 bytes/workgroup (compile time only)
; SGPRBlocks: 0
; VGPRBlocks: 0
; NumSGPRsForWavesPerEU: 4
; NumVGPRsForWavesPerEU: 1
; Occupancy: 10
; WaveLimiterHint : 0
; COMPUTE_PGM_RSRC2:SCRATCH_EN: 0
; COMPUTE_PGM_RSRC2:USER_SGPR: 6
; COMPUTE_PGM_RSRC2:TRAP_HANDLER: 0
; COMPUTE_PGM_RSRC2:TGID_X_EN: 1
; COMPUTE_PGM_RSRC2:TGID_Y_EN: 0
; COMPUTE_PGM_RSRC2:TGID_Z_EN: 0
; COMPUTE_PGM_RSRC2:TIDIG_COMP_CNT: 0
	.section	.text._ZN7rocprim17ROCPRIM_400000_NS6detail17trampoline_kernelINS0_13select_configILj256ELj13ELNS0_17block_load_methodE3ELS4_3ELS4_3ELNS0_20block_scan_algorithmE0ELj4294967295EEENS1_25partition_config_selectorILNS1_17partition_subalgoE4EjNS0_10empty_typeEbEEZZNS1_14partition_implILS8_4ELb0ES6_15HIP_vector_typeIjLj2EENS0_17counting_iteratorIjlEEPS9_SG_NS0_5tupleIJPjSI_NS0_16reverse_iteratorISI_EEEEENSH_IJSG_SG_SG_EEES9_SI_JZNS1_25segmented_radix_sort_implINS0_14default_configELb1EPKbPbPKlPlN2at6native12_GLOBAL__N_18offset_tEEE10hipError_tPvRmT1_PNSt15iterator_traitsIS12_E10value_typeET2_T3_PNS13_IS18_E10value_typeET4_jRbjT5_S1E_jjP12ihipStream_tbEUljE_ZNSN_ISO_Lb1ESQ_SR_ST_SU_SY_EESZ_S10_S11_S12_S16_S17_S18_S1B_S1C_jS1D_jS1E_S1E_jjS1G_bEUljE0_EEESZ_S10_S11_S18_S1C_S1E_T6_T7_T9_mT8_S1G_bDpT10_ENKUlT_T0_E_clISt17integral_constantIbLb1EES1U_EEDaS1P_S1Q_EUlS1P_E_NS1_11comp_targetILNS1_3genE8ELNS1_11target_archE1030ELNS1_3gpuE2ELNS1_3repE0EEENS1_30default_config_static_selectorELNS0_4arch9wavefront6targetE1EEEvS12_,"axG",@progbits,_ZN7rocprim17ROCPRIM_400000_NS6detail17trampoline_kernelINS0_13select_configILj256ELj13ELNS0_17block_load_methodE3ELS4_3ELS4_3ELNS0_20block_scan_algorithmE0ELj4294967295EEENS1_25partition_config_selectorILNS1_17partition_subalgoE4EjNS0_10empty_typeEbEEZZNS1_14partition_implILS8_4ELb0ES6_15HIP_vector_typeIjLj2EENS0_17counting_iteratorIjlEEPS9_SG_NS0_5tupleIJPjSI_NS0_16reverse_iteratorISI_EEEEENSH_IJSG_SG_SG_EEES9_SI_JZNS1_25segmented_radix_sort_implINS0_14default_configELb1EPKbPbPKlPlN2at6native12_GLOBAL__N_18offset_tEEE10hipError_tPvRmT1_PNSt15iterator_traitsIS12_E10value_typeET2_T3_PNS13_IS18_E10value_typeET4_jRbjT5_S1E_jjP12ihipStream_tbEUljE_ZNSN_ISO_Lb1ESQ_SR_ST_SU_SY_EESZ_S10_S11_S12_S16_S17_S18_S1B_S1C_jS1D_jS1E_S1E_jjS1G_bEUljE0_EEESZ_S10_S11_S18_S1C_S1E_T6_T7_T9_mT8_S1G_bDpT10_ENKUlT_T0_E_clISt17integral_constantIbLb1EES1U_EEDaS1P_S1Q_EUlS1P_E_NS1_11comp_targetILNS1_3genE8ELNS1_11target_archE1030ELNS1_3gpuE2ELNS1_3repE0EEENS1_30default_config_static_selectorELNS0_4arch9wavefront6targetE1EEEvS12_,comdat
	.globl	_ZN7rocprim17ROCPRIM_400000_NS6detail17trampoline_kernelINS0_13select_configILj256ELj13ELNS0_17block_load_methodE3ELS4_3ELS4_3ELNS0_20block_scan_algorithmE0ELj4294967295EEENS1_25partition_config_selectorILNS1_17partition_subalgoE4EjNS0_10empty_typeEbEEZZNS1_14partition_implILS8_4ELb0ES6_15HIP_vector_typeIjLj2EENS0_17counting_iteratorIjlEEPS9_SG_NS0_5tupleIJPjSI_NS0_16reverse_iteratorISI_EEEEENSH_IJSG_SG_SG_EEES9_SI_JZNS1_25segmented_radix_sort_implINS0_14default_configELb1EPKbPbPKlPlN2at6native12_GLOBAL__N_18offset_tEEE10hipError_tPvRmT1_PNSt15iterator_traitsIS12_E10value_typeET2_T3_PNS13_IS18_E10value_typeET4_jRbjT5_S1E_jjP12ihipStream_tbEUljE_ZNSN_ISO_Lb1ESQ_SR_ST_SU_SY_EESZ_S10_S11_S12_S16_S17_S18_S1B_S1C_jS1D_jS1E_S1E_jjS1G_bEUljE0_EEESZ_S10_S11_S18_S1C_S1E_T6_T7_T9_mT8_S1G_bDpT10_ENKUlT_T0_E_clISt17integral_constantIbLb1EES1U_EEDaS1P_S1Q_EUlS1P_E_NS1_11comp_targetILNS1_3genE8ELNS1_11target_archE1030ELNS1_3gpuE2ELNS1_3repE0EEENS1_30default_config_static_selectorELNS0_4arch9wavefront6targetE1EEEvS12_ ; -- Begin function _ZN7rocprim17ROCPRIM_400000_NS6detail17trampoline_kernelINS0_13select_configILj256ELj13ELNS0_17block_load_methodE3ELS4_3ELS4_3ELNS0_20block_scan_algorithmE0ELj4294967295EEENS1_25partition_config_selectorILNS1_17partition_subalgoE4EjNS0_10empty_typeEbEEZZNS1_14partition_implILS8_4ELb0ES6_15HIP_vector_typeIjLj2EENS0_17counting_iteratorIjlEEPS9_SG_NS0_5tupleIJPjSI_NS0_16reverse_iteratorISI_EEEEENSH_IJSG_SG_SG_EEES9_SI_JZNS1_25segmented_radix_sort_implINS0_14default_configELb1EPKbPbPKlPlN2at6native12_GLOBAL__N_18offset_tEEE10hipError_tPvRmT1_PNSt15iterator_traitsIS12_E10value_typeET2_T3_PNS13_IS18_E10value_typeET4_jRbjT5_S1E_jjP12ihipStream_tbEUljE_ZNSN_ISO_Lb1ESQ_SR_ST_SU_SY_EESZ_S10_S11_S12_S16_S17_S18_S1B_S1C_jS1D_jS1E_S1E_jjS1G_bEUljE0_EEESZ_S10_S11_S18_S1C_S1E_T6_T7_T9_mT8_S1G_bDpT10_ENKUlT_T0_E_clISt17integral_constantIbLb1EES1U_EEDaS1P_S1Q_EUlS1P_E_NS1_11comp_targetILNS1_3genE8ELNS1_11target_archE1030ELNS1_3gpuE2ELNS1_3repE0EEENS1_30default_config_static_selectorELNS0_4arch9wavefront6targetE1EEEvS12_
	.p2align	8
	.type	_ZN7rocprim17ROCPRIM_400000_NS6detail17trampoline_kernelINS0_13select_configILj256ELj13ELNS0_17block_load_methodE3ELS4_3ELS4_3ELNS0_20block_scan_algorithmE0ELj4294967295EEENS1_25partition_config_selectorILNS1_17partition_subalgoE4EjNS0_10empty_typeEbEEZZNS1_14partition_implILS8_4ELb0ES6_15HIP_vector_typeIjLj2EENS0_17counting_iteratorIjlEEPS9_SG_NS0_5tupleIJPjSI_NS0_16reverse_iteratorISI_EEEEENSH_IJSG_SG_SG_EEES9_SI_JZNS1_25segmented_radix_sort_implINS0_14default_configELb1EPKbPbPKlPlN2at6native12_GLOBAL__N_18offset_tEEE10hipError_tPvRmT1_PNSt15iterator_traitsIS12_E10value_typeET2_T3_PNS13_IS18_E10value_typeET4_jRbjT5_S1E_jjP12ihipStream_tbEUljE_ZNSN_ISO_Lb1ESQ_SR_ST_SU_SY_EESZ_S10_S11_S12_S16_S17_S18_S1B_S1C_jS1D_jS1E_S1E_jjS1G_bEUljE0_EEESZ_S10_S11_S18_S1C_S1E_T6_T7_T9_mT8_S1G_bDpT10_ENKUlT_T0_E_clISt17integral_constantIbLb1EES1U_EEDaS1P_S1Q_EUlS1P_E_NS1_11comp_targetILNS1_3genE8ELNS1_11target_archE1030ELNS1_3gpuE2ELNS1_3repE0EEENS1_30default_config_static_selectorELNS0_4arch9wavefront6targetE1EEEvS12_,@function
_ZN7rocprim17ROCPRIM_400000_NS6detail17trampoline_kernelINS0_13select_configILj256ELj13ELNS0_17block_load_methodE3ELS4_3ELS4_3ELNS0_20block_scan_algorithmE0ELj4294967295EEENS1_25partition_config_selectorILNS1_17partition_subalgoE4EjNS0_10empty_typeEbEEZZNS1_14partition_implILS8_4ELb0ES6_15HIP_vector_typeIjLj2EENS0_17counting_iteratorIjlEEPS9_SG_NS0_5tupleIJPjSI_NS0_16reverse_iteratorISI_EEEEENSH_IJSG_SG_SG_EEES9_SI_JZNS1_25segmented_radix_sort_implINS0_14default_configELb1EPKbPbPKlPlN2at6native12_GLOBAL__N_18offset_tEEE10hipError_tPvRmT1_PNSt15iterator_traitsIS12_E10value_typeET2_T3_PNS13_IS18_E10value_typeET4_jRbjT5_S1E_jjP12ihipStream_tbEUljE_ZNSN_ISO_Lb1ESQ_SR_ST_SU_SY_EESZ_S10_S11_S12_S16_S17_S18_S1B_S1C_jS1D_jS1E_S1E_jjS1G_bEUljE0_EEESZ_S10_S11_S18_S1C_S1E_T6_T7_T9_mT8_S1G_bDpT10_ENKUlT_T0_E_clISt17integral_constantIbLb1EES1U_EEDaS1P_S1Q_EUlS1P_E_NS1_11comp_targetILNS1_3genE8ELNS1_11target_archE1030ELNS1_3gpuE2ELNS1_3repE0EEENS1_30default_config_static_selectorELNS0_4arch9wavefront6targetE1EEEvS12_: ; @_ZN7rocprim17ROCPRIM_400000_NS6detail17trampoline_kernelINS0_13select_configILj256ELj13ELNS0_17block_load_methodE3ELS4_3ELS4_3ELNS0_20block_scan_algorithmE0ELj4294967295EEENS1_25partition_config_selectorILNS1_17partition_subalgoE4EjNS0_10empty_typeEbEEZZNS1_14partition_implILS8_4ELb0ES6_15HIP_vector_typeIjLj2EENS0_17counting_iteratorIjlEEPS9_SG_NS0_5tupleIJPjSI_NS0_16reverse_iteratorISI_EEEEENSH_IJSG_SG_SG_EEES9_SI_JZNS1_25segmented_radix_sort_implINS0_14default_configELb1EPKbPbPKlPlN2at6native12_GLOBAL__N_18offset_tEEE10hipError_tPvRmT1_PNSt15iterator_traitsIS12_E10value_typeET2_T3_PNS13_IS18_E10value_typeET4_jRbjT5_S1E_jjP12ihipStream_tbEUljE_ZNSN_ISO_Lb1ESQ_SR_ST_SU_SY_EESZ_S10_S11_S12_S16_S17_S18_S1B_S1C_jS1D_jS1E_S1E_jjS1G_bEUljE0_EEESZ_S10_S11_S18_S1C_S1E_T6_T7_T9_mT8_S1G_bDpT10_ENKUlT_T0_E_clISt17integral_constantIbLb1EES1U_EEDaS1P_S1Q_EUlS1P_E_NS1_11comp_targetILNS1_3genE8ELNS1_11target_archE1030ELNS1_3gpuE2ELNS1_3repE0EEENS1_30default_config_static_selectorELNS0_4arch9wavefront6targetE1EEEvS12_
; %bb.0:
	.section	.rodata,"a",@progbits
	.p2align	6, 0x0
	.amdhsa_kernel _ZN7rocprim17ROCPRIM_400000_NS6detail17trampoline_kernelINS0_13select_configILj256ELj13ELNS0_17block_load_methodE3ELS4_3ELS4_3ELNS0_20block_scan_algorithmE0ELj4294967295EEENS1_25partition_config_selectorILNS1_17partition_subalgoE4EjNS0_10empty_typeEbEEZZNS1_14partition_implILS8_4ELb0ES6_15HIP_vector_typeIjLj2EENS0_17counting_iteratorIjlEEPS9_SG_NS0_5tupleIJPjSI_NS0_16reverse_iteratorISI_EEEEENSH_IJSG_SG_SG_EEES9_SI_JZNS1_25segmented_radix_sort_implINS0_14default_configELb1EPKbPbPKlPlN2at6native12_GLOBAL__N_18offset_tEEE10hipError_tPvRmT1_PNSt15iterator_traitsIS12_E10value_typeET2_T3_PNS13_IS18_E10value_typeET4_jRbjT5_S1E_jjP12ihipStream_tbEUljE_ZNSN_ISO_Lb1ESQ_SR_ST_SU_SY_EESZ_S10_S11_S12_S16_S17_S18_S1B_S1C_jS1D_jS1E_S1E_jjS1G_bEUljE0_EEESZ_S10_S11_S18_S1C_S1E_T6_T7_T9_mT8_S1G_bDpT10_ENKUlT_T0_E_clISt17integral_constantIbLb1EES1U_EEDaS1P_S1Q_EUlS1P_E_NS1_11comp_targetILNS1_3genE8ELNS1_11target_archE1030ELNS1_3gpuE2ELNS1_3repE0EEENS1_30default_config_static_selectorELNS0_4arch9wavefront6targetE1EEEvS12_
		.amdhsa_group_segment_fixed_size 0
		.amdhsa_private_segment_fixed_size 0
		.amdhsa_kernarg_size 184
		.amdhsa_user_sgpr_count 6
		.amdhsa_user_sgpr_private_segment_buffer 1
		.amdhsa_user_sgpr_dispatch_ptr 0
		.amdhsa_user_sgpr_queue_ptr 0
		.amdhsa_user_sgpr_kernarg_segment_ptr 1
		.amdhsa_user_sgpr_dispatch_id 0
		.amdhsa_user_sgpr_flat_scratch_init 0
		.amdhsa_user_sgpr_private_segment_size 0
		.amdhsa_uses_dynamic_stack 0
		.amdhsa_system_sgpr_private_segment_wavefront_offset 0
		.amdhsa_system_sgpr_workgroup_id_x 1
		.amdhsa_system_sgpr_workgroup_id_y 0
		.amdhsa_system_sgpr_workgroup_id_z 0
		.amdhsa_system_sgpr_workgroup_info 0
		.amdhsa_system_vgpr_workitem_id 0
		.amdhsa_next_free_vgpr 1
		.amdhsa_next_free_sgpr 0
		.amdhsa_reserve_vcc 0
		.amdhsa_reserve_flat_scratch 0
		.amdhsa_float_round_mode_32 0
		.amdhsa_float_round_mode_16_64 0
		.amdhsa_float_denorm_mode_32 3
		.amdhsa_float_denorm_mode_16_64 3
		.amdhsa_dx10_clamp 1
		.amdhsa_ieee_mode 1
		.amdhsa_fp16_overflow 0
		.amdhsa_exception_fp_ieee_invalid_op 0
		.amdhsa_exception_fp_denorm_src 0
		.amdhsa_exception_fp_ieee_div_zero 0
		.amdhsa_exception_fp_ieee_overflow 0
		.amdhsa_exception_fp_ieee_underflow 0
		.amdhsa_exception_fp_ieee_inexact 0
		.amdhsa_exception_int_div_zero 0
	.end_amdhsa_kernel
	.section	.text._ZN7rocprim17ROCPRIM_400000_NS6detail17trampoline_kernelINS0_13select_configILj256ELj13ELNS0_17block_load_methodE3ELS4_3ELS4_3ELNS0_20block_scan_algorithmE0ELj4294967295EEENS1_25partition_config_selectorILNS1_17partition_subalgoE4EjNS0_10empty_typeEbEEZZNS1_14partition_implILS8_4ELb0ES6_15HIP_vector_typeIjLj2EENS0_17counting_iteratorIjlEEPS9_SG_NS0_5tupleIJPjSI_NS0_16reverse_iteratorISI_EEEEENSH_IJSG_SG_SG_EEES9_SI_JZNS1_25segmented_radix_sort_implINS0_14default_configELb1EPKbPbPKlPlN2at6native12_GLOBAL__N_18offset_tEEE10hipError_tPvRmT1_PNSt15iterator_traitsIS12_E10value_typeET2_T3_PNS13_IS18_E10value_typeET4_jRbjT5_S1E_jjP12ihipStream_tbEUljE_ZNSN_ISO_Lb1ESQ_SR_ST_SU_SY_EESZ_S10_S11_S12_S16_S17_S18_S1B_S1C_jS1D_jS1E_S1E_jjS1G_bEUljE0_EEESZ_S10_S11_S18_S1C_S1E_T6_T7_T9_mT8_S1G_bDpT10_ENKUlT_T0_E_clISt17integral_constantIbLb1EES1U_EEDaS1P_S1Q_EUlS1P_E_NS1_11comp_targetILNS1_3genE8ELNS1_11target_archE1030ELNS1_3gpuE2ELNS1_3repE0EEENS1_30default_config_static_selectorELNS0_4arch9wavefront6targetE1EEEvS12_,"axG",@progbits,_ZN7rocprim17ROCPRIM_400000_NS6detail17trampoline_kernelINS0_13select_configILj256ELj13ELNS0_17block_load_methodE3ELS4_3ELS4_3ELNS0_20block_scan_algorithmE0ELj4294967295EEENS1_25partition_config_selectorILNS1_17partition_subalgoE4EjNS0_10empty_typeEbEEZZNS1_14partition_implILS8_4ELb0ES6_15HIP_vector_typeIjLj2EENS0_17counting_iteratorIjlEEPS9_SG_NS0_5tupleIJPjSI_NS0_16reverse_iteratorISI_EEEEENSH_IJSG_SG_SG_EEES9_SI_JZNS1_25segmented_radix_sort_implINS0_14default_configELb1EPKbPbPKlPlN2at6native12_GLOBAL__N_18offset_tEEE10hipError_tPvRmT1_PNSt15iterator_traitsIS12_E10value_typeET2_T3_PNS13_IS18_E10value_typeET4_jRbjT5_S1E_jjP12ihipStream_tbEUljE_ZNSN_ISO_Lb1ESQ_SR_ST_SU_SY_EESZ_S10_S11_S12_S16_S17_S18_S1B_S1C_jS1D_jS1E_S1E_jjS1G_bEUljE0_EEESZ_S10_S11_S18_S1C_S1E_T6_T7_T9_mT8_S1G_bDpT10_ENKUlT_T0_E_clISt17integral_constantIbLb1EES1U_EEDaS1P_S1Q_EUlS1P_E_NS1_11comp_targetILNS1_3genE8ELNS1_11target_archE1030ELNS1_3gpuE2ELNS1_3repE0EEENS1_30default_config_static_selectorELNS0_4arch9wavefront6targetE1EEEvS12_,comdat
.Lfunc_end1483:
	.size	_ZN7rocprim17ROCPRIM_400000_NS6detail17trampoline_kernelINS0_13select_configILj256ELj13ELNS0_17block_load_methodE3ELS4_3ELS4_3ELNS0_20block_scan_algorithmE0ELj4294967295EEENS1_25partition_config_selectorILNS1_17partition_subalgoE4EjNS0_10empty_typeEbEEZZNS1_14partition_implILS8_4ELb0ES6_15HIP_vector_typeIjLj2EENS0_17counting_iteratorIjlEEPS9_SG_NS0_5tupleIJPjSI_NS0_16reverse_iteratorISI_EEEEENSH_IJSG_SG_SG_EEES9_SI_JZNS1_25segmented_radix_sort_implINS0_14default_configELb1EPKbPbPKlPlN2at6native12_GLOBAL__N_18offset_tEEE10hipError_tPvRmT1_PNSt15iterator_traitsIS12_E10value_typeET2_T3_PNS13_IS18_E10value_typeET4_jRbjT5_S1E_jjP12ihipStream_tbEUljE_ZNSN_ISO_Lb1ESQ_SR_ST_SU_SY_EESZ_S10_S11_S12_S16_S17_S18_S1B_S1C_jS1D_jS1E_S1E_jjS1G_bEUljE0_EEESZ_S10_S11_S18_S1C_S1E_T6_T7_T9_mT8_S1G_bDpT10_ENKUlT_T0_E_clISt17integral_constantIbLb1EES1U_EEDaS1P_S1Q_EUlS1P_E_NS1_11comp_targetILNS1_3genE8ELNS1_11target_archE1030ELNS1_3gpuE2ELNS1_3repE0EEENS1_30default_config_static_selectorELNS0_4arch9wavefront6targetE1EEEvS12_, .Lfunc_end1483-_ZN7rocprim17ROCPRIM_400000_NS6detail17trampoline_kernelINS0_13select_configILj256ELj13ELNS0_17block_load_methodE3ELS4_3ELS4_3ELNS0_20block_scan_algorithmE0ELj4294967295EEENS1_25partition_config_selectorILNS1_17partition_subalgoE4EjNS0_10empty_typeEbEEZZNS1_14partition_implILS8_4ELb0ES6_15HIP_vector_typeIjLj2EENS0_17counting_iteratorIjlEEPS9_SG_NS0_5tupleIJPjSI_NS0_16reverse_iteratorISI_EEEEENSH_IJSG_SG_SG_EEES9_SI_JZNS1_25segmented_radix_sort_implINS0_14default_configELb1EPKbPbPKlPlN2at6native12_GLOBAL__N_18offset_tEEE10hipError_tPvRmT1_PNSt15iterator_traitsIS12_E10value_typeET2_T3_PNS13_IS18_E10value_typeET4_jRbjT5_S1E_jjP12ihipStream_tbEUljE_ZNSN_ISO_Lb1ESQ_SR_ST_SU_SY_EESZ_S10_S11_S12_S16_S17_S18_S1B_S1C_jS1D_jS1E_S1E_jjS1G_bEUljE0_EEESZ_S10_S11_S18_S1C_S1E_T6_T7_T9_mT8_S1G_bDpT10_ENKUlT_T0_E_clISt17integral_constantIbLb1EES1U_EEDaS1P_S1Q_EUlS1P_E_NS1_11comp_targetILNS1_3genE8ELNS1_11target_archE1030ELNS1_3gpuE2ELNS1_3repE0EEENS1_30default_config_static_selectorELNS0_4arch9wavefront6targetE1EEEvS12_
                                        ; -- End function
	.set _ZN7rocprim17ROCPRIM_400000_NS6detail17trampoline_kernelINS0_13select_configILj256ELj13ELNS0_17block_load_methodE3ELS4_3ELS4_3ELNS0_20block_scan_algorithmE0ELj4294967295EEENS1_25partition_config_selectorILNS1_17partition_subalgoE4EjNS0_10empty_typeEbEEZZNS1_14partition_implILS8_4ELb0ES6_15HIP_vector_typeIjLj2EENS0_17counting_iteratorIjlEEPS9_SG_NS0_5tupleIJPjSI_NS0_16reverse_iteratorISI_EEEEENSH_IJSG_SG_SG_EEES9_SI_JZNS1_25segmented_radix_sort_implINS0_14default_configELb1EPKbPbPKlPlN2at6native12_GLOBAL__N_18offset_tEEE10hipError_tPvRmT1_PNSt15iterator_traitsIS12_E10value_typeET2_T3_PNS13_IS18_E10value_typeET4_jRbjT5_S1E_jjP12ihipStream_tbEUljE_ZNSN_ISO_Lb1ESQ_SR_ST_SU_SY_EESZ_S10_S11_S12_S16_S17_S18_S1B_S1C_jS1D_jS1E_S1E_jjS1G_bEUljE0_EEESZ_S10_S11_S18_S1C_S1E_T6_T7_T9_mT8_S1G_bDpT10_ENKUlT_T0_E_clISt17integral_constantIbLb1EES1U_EEDaS1P_S1Q_EUlS1P_E_NS1_11comp_targetILNS1_3genE8ELNS1_11target_archE1030ELNS1_3gpuE2ELNS1_3repE0EEENS1_30default_config_static_selectorELNS0_4arch9wavefront6targetE1EEEvS12_.num_vgpr, 0
	.set _ZN7rocprim17ROCPRIM_400000_NS6detail17trampoline_kernelINS0_13select_configILj256ELj13ELNS0_17block_load_methodE3ELS4_3ELS4_3ELNS0_20block_scan_algorithmE0ELj4294967295EEENS1_25partition_config_selectorILNS1_17partition_subalgoE4EjNS0_10empty_typeEbEEZZNS1_14partition_implILS8_4ELb0ES6_15HIP_vector_typeIjLj2EENS0_17counting_iteratorIjlEEPS9_SG_NS0_5tupleIJPjSI_NS0_16reverse_iteratorISI_EEEEENSH_IJSG_SG_SG_EEES9_SI_JZNS1_25segmented_radix_sort_implINS0_14default_configELb1EPKbPbPKlPlN2at6native12_GLOBAL__N_18offset_tEEE10hipError_tPvRmT1_PNSt15iterator_traitsIS12_E10value_typeET2_T3_PNS13_IS18_E10value_typeET4_jRbjT5_S1E_jjP12ihipStream_tbEUljE_ZNSN_ISO_Lb1ESQ_SR_ST_SU_SY_EESZ_S10_S11_S12_S16_S17_S18_S1B_S1C_jS1D_jS1E_S1E_jjS1G_bEUljE0_EEESZ_S10_S11_S18_S1C_S1E_T6_T7_T9_mT8_S1G_bDpT10_ENKUlT_T0_E_clISt17integral_constantIbLb1EES1U_EEDaS1P_S1Q_EUlS1P_E_NS1_11comp_targetILNS1_3genE8ELNS1_11target_archE1030ELNS1_3gpuE2ELNS1_3repE0EEENS1_30default_config_static_selectorELNS0_4arch9wavefront6targetE1EEEvS12_.num_agpr, 0
	.set _ZN7rocprim17ROCPRIM_400000_NS6detail17trampoline_kernelINS0_13select_configILj256ELj13ELNS0_17block_load_methodE3ELS4_3ELS4_3ELNS0_20block_scan_algorithmE0ELj4294967295EEENS1_25partition_config_selectorILNS1_17partition_subalgoE4EjNS0_10empty_typeEbEEZZNS1_14partition_implILS8_4ELb0ES6_15HIP_vector_typeIjLj2EENS0_17counting_iteratorIjlEEPS9_SG_NS0_5tupleIJPjSI_NS0_16reverse_iteratorISI_EEEEENSH_IJSG_SG_SG_EEES9_SI_JZNS1_25segmented_radix_sort_implINS0_14default_configELb1EPKbPbPKlPlN2at6native12_GLOBAL__N_18offset_tEEE10hipError_tPvRmT1_PNSt15iterator_traitsIS12_E10value_typeET2_T3_PNS13_IS18_E10value_typeET4_jRbjT5_S1E_jjP12ihipStream_tbEUljE_ZNSN_ISO_Lb1ESQ_SR_ST_SU_SY_EESZ_S10_S11_S12_S16_S17_S18_S1B_S1C_jS1D_jS1E_S1E_jjS1G_bEUljE0_EEESZ_S10_S11_S18_S1C_S1E_T6_T7_T9_mT8_S1G_bDpT10_ENKUlT_T0_E_clISt17integral_constantIbLb1EES1U_EEDaS1P_S1Q_EUlS1P_E_NS1_11comp_targetILNS1_3genE8ELNS1_11target_archE1030ELNS1_3gpuE2ELNS1_3repE0EEENS1_30default_config_static_selectorELNS0_4arch9wavefront6targetE1EEEvS12_.numbered_sgpr, 0
	.set _ZN7rocprim17ROCPRIM_400000_NS6detail17trampoline_kernelINS0_13select_configILj256ELj13ELNS0_17block_load_methodE3ELS4_3ELS4_3ELNS0_20block_scan_algorithmE0ELj4294967295EEENS1_25partition_config_selectorILNS1_17partition_subalgoE4EjNS0_10empty_typeEbEEZZNS1_14partition_implILS8_4ELb0ES6_15HIP_vector_typeIjLj2EENS0_17counting_iteratorIjlEEPS9_SG_NS0_5tupleIJPjSI_NS0_16reverse_iteratorISI_EEEEENSH_IJSG_SG_SG_EEES9_SI_JZNS1_25segmented_radix_sort_implINS0_14default_configELb1EPKbPbPKlPlN2at6native12_GLOBAL__N_18offset_tEEE10hipError_tPvRmT1_PNSt15iterator_traitsIS12_E10value_typeET2_T3_PNS13_IS18_E10value_typeET4_jRbjT5_S1E_jjP12ihipStream_tbEUljE_ZNSN_ISO_Lb1ESQ_SR_ST_SU_SY_EESZ_S10_S11_S12_S16_S17_S18_S1B_S1C_jS1D_jS1E_S1E_jjS1G_bEUljE0_EEESZ_S10_S11_S18_S1C_S1E_T6_T7_T9_mT8_S1G_bDpT10_ENKUlT_T0_E_clISt17integral_constantIbLb1EES1U_EEDaS1P_S1Q_EUlS1P_E_NS1_11comp_targetILNS1_3genE8ELNS1_11target_archE1030ELNS1_3gpuE2ELNS1_3repE0EEENS1_30default_config_static_selectorELNS0_4arch9wavefront6targetE1EEEvS12_.num_named_barrier, 0
	.set _ZN7rocprim17ROCPRIM_400000_NS6detail17trampoline_kernelINS0_13select_configILj256ELj13ELNS0_17block_load_methodE3ELS4_3ELS4_3ELNS0_20block_scan_algorithmE0ELj4294967295EEENS1_25partition_config_selectorILNS1_17partition_subalgoE4EjNS0_10empty_typeEbEEZZNS1_14partition_implILS8_4ELb0ES6_15HIP_vector_typeIjLj2EENS0_17counting_iteratorIjlEEPS9_SG_NS0_5tupleIJPjSI_NS0_16reverse_iteratorISI_EEEEENSH_IJSG_SG_SG_EEES9_SI_JZNS1_25segmented_radix_sort_implINS0_14default_configELb1EPKbPbPKlPlN2at6native12_GLOBAL__N_18offset_tEEE10hipError_tPvRmT1_PNSt15iterator_traitsIS12_E10value_typeET2_T3_PNS13_IS18_E10value_typeET4_jRbjT5_S1E_jjP12ihipStream_tbEUljE_ZNSN_ISO_Lb1ESQ_SR_ST_SU_SY_EESZ_S10_S11_S12_S16_S17_S18_S1B_S1C_jS1D_jS1E_S1E_jjS1G_bEUljE0_EEESZ_S10_S11_S18_S1C_S1E_T6_T7_T9_mT8_S1G_bDpT10_ENKUlT_T0_E_clISt17integral_constantIbLb1EES1U_EEDaS1P_S1Q_EUlS1P_E_NS1_11comp_targetILNS1_3genE8ELNS1_11target_archE1030ELNS1_3gpuE2ELNS1_3repE0EEENS1_30default_config_static_selectorELNS0_4arch9wavefront6targetE1EEEvS12_.private_seg_size, 0
	.set _ZN7rocprim17ROCPRIM_400000_NS6detail17trampoline_kernelINS0_13select_configILj256ELj13ELNS0_17block_load_methodE3ELS4_3ELS4_3ELNS0_20block_scan_algorithmE0ELj4294967295EEENS1_25partition_config_selectorILNS1_17partition_subalgoE4EjNS0_10empty_typeEbEEZZNS1_14partition_implILS8_4ELb0ES6_15HIP_vector_typeIjLj2EENS0_17counting_iteratorIjlEEPS9_SG_NS0_5tupleIJPjSI_NS0_16reverse_iteratorISI_EEEEENSH_IJSG_SG_SG_EEES9_SI_JZNS1_25segmented_radix_sort_implINS0_14default_configELb1EPKbPbPKlPlN2at6native12_GLOBAL__N_18offset_tEEE10hipError_tPvRmT1_PNSt15iterator_traitsIS12_E10value_typeET2_T3_PNS13_IS18_E10value_typeET4_jRbjT5_S1E_jjP12ihipStream_tbEUljE_ZNSN_ISO_Lb1ESQ_SR_ST_SU_SY_EESZ_S10_S11_S12_S16_S17_S18_S1B_S1C_jS1D_jS1E_S1E_jjS1G_bEUljE0_EEESZ_S10_S11_S18_S1C_S1E_T6_T7_T9_mT8_S1G_bDpT10_ENKUlT_T0_E_clISt17integral_constantIbLb1EES1U_EEDaS1P_S1Q_EUlS1P_E_NS1_11comp_targetILNS1_3genE8ELNS1_11target_archE1030ELNS1_3gpuE2ELNS1_3repE0EEENS1_30default_config_static_selectorELNS0_4arch9wavefront6targetE1EEEvS12_.uses_vcc, 0
	.set _ZN7rocprim17ROCPRIM_400000_NS6detail17trampoline_kernelINS0_13select_configILj256ELj13ELNS0_17block_load_methodE3ELS4_3ELS4_3ELNS0_20block_scan_algorithmE0ELj4294967295EEENS1_25partition_config_selectorILNS1_17partition_subalgoE4EjNS0_10empty_typeEbEEZZNS1_14partition_implILS8_4ELb0ES6_15HIP_vector_typeIjLj2EENS0_17counting_iteratorIjlEEPS9_SG_NS0_5tupleIJPjSI_NS0_16reverse_iteratorISI_EEEEENSH_IJSG_SG_SG_EEES9_SI_JZNS1_25segmented_radix_sort_implINS0_14default_configELb1EPKbPbPKlPlN2at6native12_GLOBAL__N_18offset_tEEE10hipError_tPvRmT1_PNSt15iterator_traitsIS12_E10value_typeET2_T3_PNS13_IS18_E10value_typeET4_jRbjT5_S1E_jjP12ihipStream_tbEUljE_ZNSN_ISO_Lb1ESQ_SR_ST_SU_SY_EESZ_S10_S11_S12_S16_S17_S18_S1B_S1C_jS1D_jS1E_S1E_jjS1G_bEUljE0_EEESZ_S10_S11_S18_S1C_S1E_T6_T7_T9_mT8_S1G_bDpT10_ENKUlT_T0_E_clISt17integral_constantIbLb1EES1U_EEDaS1P_S1Q_EUlS1P_E_NS1_11comp_targetILNS1_3genE8ELNS1_11target_archE1030ELNS1_3gpuE2ELNS1_3repE0EEENS1_30default_config_static_selectorELNS0_4arch9wavefront6targetE1EEEvS12_.uses_flat_scratch, 0
	.set _ZN7rocprim17ROCPRIM_400000_NS6detail17trampoline_kernelINS0_13select_configILj256ELj13ELNS0_17block_load_methodE3ELS4_3ELS4_3ELNS0_20block_scan_algorithmE0ELj4294967295EEENS1_25partition_config_selectorILNS1_17partition_subalgoE4EjNS0_10empty_typeEbEEZZNS1_14partition_implILS8_4ELb0ES6_15HIP_vector_typeIjLj2EENS0_17counting_iteratorIjlEEPS9_SG_NS0_5tupleIJPjSI_NS0_16reverse_iteratorISI_EEEEENSH_IJSG_SG_SG_EEES9_SI_JZNS1_25segmented_radix_sort_implINS0_14default_configELb1EPKbPbPKlPlN2at6native12_GLOBAL__N_18offset_tEEE10hipError_tPvRmT1_PNSt15iterator_traitsIS12_E10value_typeET2_T3_PNS13_IS18_E10value_typeET4_jRbjT5_S1E_jjP12ihipStream_tbEUljE_ZNSN_ISO_Lb1ESQ_SR_ST_SU_SY_EESZ_S10_S11_S12_S16_S17_S18_S1B_S1C_jS1D_jS1E_S1E_jjS1G_bEUljE0_EEESZ_S10_S11_S18_S1C_S1E_T6_T7_T9_mT8_S1G_bDpT10_ENKUlT_T0_E_clISt17integral_constantIbLb1EES1U_EEDaS1P_S1Q_EUlS1P_E_NS1_11comp_targetILNS1_3genE8ELNS1_11target_archE1030ELNS1_3gpuE2ELNS1_3repE0EEENS1_30default_config_static_selectorELNS0_4arch9wavefront6targetE1EEEvS12_.has_dyn_sized_stack, 0
	.set _ZN7rocprim17ROCPRIM_400000_NS6detail17trampoline_kernelINS0_13select_configILj256ELj13ELNS0_17block_load_methodE3ELS4_3ELS4_3ELNS0_20block_scan_algorithmE0ELj4294967295EEENS1_25partition_config_selectorILNS1_17partition_subalgoE4EjNS0_10empty_typeEbEEZZNS1_14partition_implILS8_4ELb0ES6_15HIP_vector_typeIjLj2EENS0_17counting_iteratorIjlEEPS9_SG_NS0_5tupleIJPjSI_NS0_16reverse_iteratorISI_EEEEENSH_IJSG_SG_SG_EEES9_SI_JZNS1_25segmented_radix_sort_implINS0_14default_configELb1EPKbPbPKlPlN2at6native12_GLOBAL__N_18offset_tEEE10hipError_tPvRmT1_PNSt15iterator_traitsIS12_E10value_typeET2_T3_PNS13_IS18_E10value_typeET4_jRbjT5_S1E_jjP12ihipStream_tbEUljE_ZNSN_ISO_Lb1ESQ_SR_ST_SU_SY_EESZ_S10_S11_S12_S16_S17_S18_S1B_S1C_jS1D_jS1E_S1E_jjS1G_bEUljE0_EEESZ_S10_S11_S18_S1C_S1E_T6_T7_T9_mT8_S1G_bDpT10_ENKUlT_T0_E_clISt17integral_constantIbLb1EES1U_EEDaS1P_S1Q_EUlS1P_E_NS1_11comp_targetILNS1_3genE8ELNS1_11target_archE1030ELNS1_3gpuE2ELNS1_3repE0EEENS1_30default_config_static_selectorELNS0_4arch9wavefront6targetE1EEEvS12_.has_recursion, 0
	.set _ZN7rocprim17ROCPRIM_400000_NS6detail17trampoline_kernelINS0_13select_configILj256ELj13ELNS0_17block_load_methodE3ELS4_3ELS4_3ELNS0_20block_scan_algorithmE0ELj4294967295EEENS1_25partition_config_selectorILNS1_17partition_subalgoE4EjNS0_10empty_typeEbEEZZNS1_14partition_implILS8_4ELb0ES6_15HIP_vector_typeIjLj2EENS0_17counting_iteratorIjlEEPS9_SG_NS0_5tupleIJPjSI_NS0_16reverse_iteratorISI_EEEEENSH_IJSG_SG_SG_EEES9_SI_JZNS1_25segmented_radix_sort_implINS0_14default_configELb1EPKbPbPKlPlN2at6native12_GLOBAL__N_18offset_tEEE10hipError_tPvRmT1_PNSt15iterator_traitsIS12_E10value_typeET2_T3_PNS13_IS18_E10value_typeET4_jRbjT5_S1E_jjP12ihipStream_tbEUljE_ZNSN_ISO_Lb1ESQ_SR_ST_SU_SY_EESZ_S10_S11_S12_S16_S17_S18_S1B_S1C_jS1D_jS1E_S1E_jjS1G_bEUljE0_EEESZ_S10_S11_S18_S1C_S1E_T6_T7_T9_mT8_S1G_bDpT10_ENKUlT_T0_E_clISt17integral_constantIbLb1EES1U_EEDaS1P_S1Q_EUlS1P_E_NS1_11comp_targetILNS1_3genE8ELNS1_11target_archE1030ELNS1_3gpuE2ELNS1_3repE0EEENS1_30default_config_static_selectorELNS0_4arch9wavefront6targetE1EEEvS12_.has_indirect_call, 0
	.section	.AMDGPU.csdata,"",@progbits
; Kernel info:
; codeLenInByte = 0
; TotalNumSgprs: 4
; NumVgprs: 0
; ScratchSize: 0
; MemoryBound: 0
; FloatMode: 240
; IeeeMode: 1
; LDSByteSize: 0 bytes/workgroup (compile time only)
; SGPRBlocks: 0
; VGPRBlocks: 0
; NumSGPRsForWavesPerEU: 4
; NumVGPRsForWavesPerEU: 1
; Occupancy: 10
; WaveLimiterHint : 0
; COMPUTE_PGM_RSRC2:SCRATCH_EN: 0
; COMPUTE_PGM_RSRC2:USER_SGPR: 6
; COMPUTE_PGM_RSRC2:TRAP_HANDLER: 0
; COMPUTE_PGM_RSRC2:TGID_X_EN: 1
; COMPUTE_PGM_RSRC2:TGID_Y_EN: 0
; COMPUTE_PGM_RSRC2:TGID_Z_EN: 0
; COMPUTE_PGM_RSRC2:TIDIG_COMP_CNT: 0
	.section	.text._ZN7rocprim17ROCPRIM_400000_NS6detail17trampoline_kernelINS0_13select_configILj256ELj13ELNS0_17block_load_methodE3ELS4_3ELS4_3ELNS0_20block_scan_algorithmE0ELj4294967295EEENS1_25partition_config_selectorILNS1_17partition_subalgoE4EjNS0_10empty_typeEbEEZZNS1_14partition_implILS8_4ELb0ES6_15HIP_vector_typeIjLj2EENS0_17counting_iteratorIjlEEPS9_SG_NS0_5tupleIJPjSI_NS0_16reverse_iteratorISI_EEEEENSH_IJSG_SG_SG_EEES9_SI_JZNS1_25segmented_radix_sort_implINS0_14default_configELb1EPKbPbPKlPlN2at6native12_GLOBAL__N_18offset_tEEE10hipError_tPvRmT1_PNSt15iterator_traitsIS12_E10value_typeET2_T3_PNS13_IS18_E10value_typeET4_jRbjT5_S1E_jjP12ihipStream_tbEUljE_ZNSN_ISO_Lb1ESQ_SR_ST_SU_SY_EESZ_S10_S11_S12_S16_S17_S18_S1B_S1C_jS1D_jS1E_S1E_jjS1G_bEUljE0_EEESZ_S10_S11_S18_S1C_S1E_T6_T7_T9_mT8_S1G_bDpT10_ENKUlT_T0_E_clISt17integral_constantIbLb1EES1T_IbLb0EEEEDaS1P_S1Q_EUlS1P_E_NS1_11comp_targetILNS1_3genE0ELNS1_11target_archE4294967295ELNS1_3gpuE0ELNS1_3repE0EEENS1_30default_config_static_selectorELNS0_4arch9wavefront6targetE1EEEvS12_,"axG",@progbits,_ZN7rocprim17ROCPRIM_400000_NS6detail17trampoline_kernelINS0_13select_configILj256ELj13ELNS0_17block_load_methodE3ELS4_3ELS4_3ELNS0_20block_scan_algorithmE0ELj4294967295EEENS1_25partition_config_selectorILNS1_17partition_subalgoE4EjNS0_10empty_typeEbEEZZNS1_14partition_implILS8_4ELb0ES6_15HIP_vector_typeIjLj2EENS0_17counting_iteratorIjlEEPS9_SG_NS0_5tupleIJPjSI_NS0_16reverse_iteratorISI_EEEEENSH_IJSG_SG_SG_EEES9_SI_JZNS1_25segmented_radix_sort_implINS0_14default_configELb1EPKbPbPKlPlN2at6native12_GLOBAL__N_18offset_tEEE10hipError_tPvRmT1_PNSt15iterator_traitsIS12_E10value_typeET2_T3_PNS13_IS18_E10value_typeET4_jRbjT5_S1E_jjP12ihipStream_tbEUljE_ZNSN_ISO_Lb1ESQ_SR_ST_SU_SY_EESZ_S10_S11_S12_S16_S17_S18_S1B_S1C_jS1D_jS1E_S1E_jjS1G_bEUljE0_EEESZ_S10_S11_S18_S1C_S1E_T6_T7_T9_mT8_S1G_bDpT10_ENKUlT_T0_E_clISt17integral_constantIbLb1EES1T_IbLb0EEEEDaS1P_S1Q_EUlS1P_E_NS1_11comp_targetILNS1_3genE0ELNS1_11target_archE4294967295ELNS1_3gpuE0ELNS1_3repE0EEENS1_30default_config_static_selectorELNS0_4arch9wavefront6targetE1EEEvS12_,comdat
	.globl	_ZN7rocprim17ROCPRIM_400000_NS6detail17trampoline_kernelINS0_13select_configILj256ELj13ELNS0_17block_load_methodE3ELS4_3ELS4_3ELNS0_20block_scan_algorithmE0ELj4294967295EEENS1_25partition_config_selectorILNS1_17partition_subalgoE4EjNS0_10empty_typeEbEEZZNS1_14partition_implILS8_4ELb0ES6_15HIP_vector_typeIjLj2EENS0_17counting_iteratorIjlEEPS9_SG_NS0_5tupleIJPjSI_NS0_16reverse_iteratorISI_EEEEENSH_IJSG_SG_SG_EEES9_SI_JZNS1_25segmented_radix_sort_implINS0_14default_configELb1EPKbPbPKlPlN2at6native12_GLOBAL__N_18offset_tEEE10hipError_tPvRmT1_PNSt15iterator_traitsIS12_E10value_typeET2_T3_PNS13_IS18_E10value_typeET4_jRbjT5_S1E_jjP12ihipStream_tbEUljE_ZNSN_ISO_Lb1ESQ_SR_ST_SU_SY_EESZ_S10_S11_S12_S16_S17_S18_S1B_S1C_jS1D_jS1E_S1E_jjS1G_bEUljE0_EEESZ_S10_S11_S18_S1C_S1E_T6_T7_T9_mT8_S1G_bDpT10_ENKUlT_T0_E_clISt17integral_constantIbLb1EES1T_IbLb0EEEEDaS1P_S1Q_EUlS1P_E_NS1_11comp_targetILNS1_3genE0ELNS1_11target_archE4294967295ELNS1_3gpuE0ELNS1_3repE0EEENS1_30default_config_static_selectorELNS0_4arch9wavefront6targetE1EEEvS12_ ; -- Begin function _ZN7rocprim17ROCPRIM_400000_NS6detail17trampoline_kernelINS0_13select_configILj256ELj13ELNS0_17block_load_methodE3ELS4_3ELS4_3ELNS0_20block_scan_algorithmE0ELj4294967295EEENS1_25partition_config_selectorILNS1_17partition_subalgoE4EjNS0_10empty_typeEbEEZZNS1_14partition_implILS8_4ELb0ES6_15HIP_vector_typeIjLj2EENS0_17counting_iteratorIjlEEPS9_SG_NS0_5tupleIJPjSI_NS0_16reverse_iteratorISI_EEEEENSH_IJSG_SG_SG_EEES9_SI_JZNS1_25segmented_radix_sort_implINS0_14default_configELb1EPKbPbPKlPlN2at6native12_GLOBAL__N_18offset_tEEE10hipError_tPvRmT1_PNSt15iterator_traitsIS12_E10value_typeET2_T3_PNS13_IS18_E10value_typeET4_jRbjT5_S1E_jjP12ihipStream_tbEUljE_ZNSN_ISO_Lb1ESQ_SR_ST_SU_SY_EESZ_S10_S11_S12_S16_S17_S18_S1B_S1C_jS1D_jS1E_S1E_jjS1G_bEUljE0_EEESZ_S10_S11_S18_S1C_S1E_T6_T7_T9_mT8_S1G_bDpT10_ENKUlT_T0_E_clISt17integral_constantIbLb1EES1T_IbLb0EEEEDaS1P_S1Q_EUlS1P_E_NS1_11comp_targetILNS1_3genE0ELNS1_11target_archE4294967295ELNS1_3gpuE0ELNS1_3repE0EEENS1_30default_config_static_selectorELNS0_4arch9wavefront6targetE1EEEvS12_
	.p2align	8
	.type	_ZN7rocprim17ROCPRIM_400000_NS6detail17trampoline_kernelINS0_13select_configILj256ELj13ELNS0_17block_load_methodE3ELS4_3ELS4_3ELNS0_20block_scan_algorithmE0ELj4294967295EEENS1_25partition_config_selectorILNS1_17partition_subalgoE4EjNS0_10empty_typeEbEEZZNS1_14partition_implILS8_4ELb0ES6_15HIP_vector_typeIjLj2EENS0_17counting_iteratorIjlEEPS9_SG_NS0_5tupleIJPjSI_NS0_16reverse_iteratorISI_EEEEENSH_IJSG_SG_SG_EEES9_SI_JZNS1_25segmented_radix_sort_implINS0_14default_configELb1EPKbPbPKlPlN2at6native12_GLOBAL__N_18offset_tEEE10hipError_tPvRmT1_PNSt15iterator_traitsIS12_E10value_typeET2_T3_PNS13_IS18_E10value_typeET4_jRbjT5_S1E_jjP12ihipStream_tbEUljE_ZNSN_ISO_Lb1ESQ_SR_ST_SU_SY_EESZ_S10_S11_S12_S16_S17_S18_S1B_S1C_jS1D_jS1E_S1E_jjS1G_bEUljE0_EEESZ_S10_S11_S18_S1C_S1E_T6_T7_T9_mT8_S1G_bDpT10_ENKUlT_T0_E_clISt17integral_constantIbLb1EES1T_IbLb0EEEEDaS1P_S1Q_EUlS1P_E_NS1_11comp_targetILNS1_3genE0ELNS1_11target_archE4294967295ELNS1_3gpuE0ELNS1_3repE0EEENS1_30default_config_static_selectorELNS0_4arch9wavefront6targetE1EEEvS12_,@function
_ZN7rocprim17ROCPRIM_400000_NS6detail17trampoline_kernelINS0_13select_configILj256ELj13ELNS0_17block_load_methodE3ELS4_3ELS4_3ELNS0_20block_scan_algorithmE0ELj4294967295EEENS1_25partition_config_selectorILNS1_17partition_subalgoE4EjNS0_10empty_typeEbEEZZNS1_14partition_implILS8_4ELb0ES6_15HIP_vector_typeIjLj2EENS0_17counting_iteratorIjlEEPS9_SG_NS0_5tupleIJPjSI_NS0_16reverse_iteratorISI_EEEEENSH_IJSG_SG_SG_EEES9_SI_JZNS1_25segmented_radix_sort_implINS0_14default_configELb1EPKbPbPKlPlN2at6native12_GLOBAL__N_18offset_tEEE10hipError_tPvRmT1_PNSt15iterator_traitsIS12_E10value_typeET2_T3_PNS13_IS18_E10value_typeET4_jRbjT5_S1E_jjP12ihipStream_tbEUljE_ZNSN_ISO_Lb1ESQ_SR_ST_SU_SY_EESZ_S10_S11_S12_S16_S17_S18_S1B_S1C_jS1D_jS1E_S1E_jjS1G_bEUljE0_EEESZ_S10_S11_S18_S1C_S1E_T6_T7_T9_mT8_S1G_bDpT10_ENKUlT_T0_E_clISt17integral_constantIbLb1EES1T_IbLb0EEEEDaS1P_S1Q_EUlS1P_E_NS1_11comp_targetILNS1_3genE0ELNS1_11target_archE4294967295ELNS1_3gpuE0ELNS1_3repE0EEENS1_30default_config_static_selectorELNS0_4arch9wavefront6targetE1EEEvS12_: ; @_ZN7rocprim17ROCPRIM_400000_NS6detail17trampoline_kernelINS0_13select_configILj256ELj13ELNS0_17block_load_methodE3ELS4_3ELS4_3ELNS0_20block_scan_algorithmE0ELj4294967295EEENS1_25partition_config_selectorILNS1_17partition_subalgoE4EjNS0_10empty_typeEbEEZZNS1_14partition_implILS8_4ELb0ES6_15HIP_vector_typeIjLj2EENS0_17counting_iteratorIjlEEPS9_SG_NS0_5tupleIJPjSI_NS0_16reverse_iteratorISI_EEEEENSH_IJSG_SG_SG_EEES9_SI_JZNS1_25segmented_radix_sort_implINS0_14default_configELb1EPKbPbPKlPlN2at6native12_GLOBAL__N_18offset_tEEE10hipError_tPvRmT1_PNSt15iterator_traitsIS12_E10value_typeET2_T3_PNS13_IS18_E10value_typeET4_jRbjT5_S1E_jjP12ihipStream_tbEUljE_ZNSN_ISO_Lb1ESQ_SR_ST_SU_SY_EESZ_S10_S11_S12_S16_S17_S18_S1B_S1C_jS1D_jS1E_S1E_jjS1G_bEUljE0_EEESZ_S10_S11_S18_S1C_S1E_T6_T7_T9_mT8_S1G_bDpT10_ENKUlT_T0_E_clISt17integral_constantIbLb1EES1T_IbLb0EEEEDaS1P_S1Q_EUlS1P_E_NS1_11comp_targetILNS1_3genE0ELNS1_11target_archE4294967295ELNS1_3gpuE0ELNS1_3repE0EEENS1_30default_config_static_selectorELNS0_4arch9wavefront6targetE1EEEvS12_
; %bb.0:
	.section	.rodata,"a",@progbits
	.p2align	6, 0x0
	.amdhsa_kernel _ZN7rocprim17ROCPRIM_400000_NS6detail17trampoline_kernelINS0_13select_configILj256ELj13ELNS0_17block_load_methodE3ELS4_3ELS4_3ELNS0_20block_scan_algorithmE0ELj4294967295EEENS1_25partition_config_selectorILNS1_17partition_subalgoE4EjNS0_10empty_typeEbEEZZNS1_14partition_implILS8_4ELb0ES6_15HIP_vector_typeIjLj2EENS0_17counting_iteratorIjlEEPS9_SG_NS0_5tupleIJPjSI_NS0_16reverse_iteratorISI_EEEEENSH_IJSG_SG_SG_EEES9_SI_JZNS1_25segmented_radix_sort_implINS0_14default_configELb1EPKbPbPKlPlN2at6native12_GLOBAL__N_18offset_tEEE10hipError_tPvRmT1_PNSt15iterator_traitsIS12_E10value_typeET2_T3_PNS13_IS18_E10value_typeET4_jRbjT5_S1E_jjP12ihipStream_tbEUljE_ZNSN_ISO_Lb1ESQ_SR_ST_SU_SY_EESZ_S10_S11_S12_S16_S17_S18_S1B_S1C_jS1D_jS1E_S1E_jjS1G_bEUljE0_EEESZ_S10_S11_S18_S1C_S1E_T6_T7_T9_mT8_S1G_bDpT10_ENKUlT_T0_E_clISt17integral_constantIbLb1EES1T_IbLb0EEEEDaS1P_S1Q_EUlS1P_E_NS1_11comp_targetILNS1_3genE0ELNS1_11target_archE4294967295ELNS1_3gpuE0ELNS1_3repE0EEENS1_30default_config_static_selectorELNS0_4arch9wavefront6targetE1EEEvS12_
		.amdhsa_group_segment_fixed_size 0
		.amdhsa_private_segment_fixed_size 0
		.amdhsa_kernarg_size 176
		.amdhsa_user_sgpr_count 6
		.amdhsa_user_sgpr_private_segment_buffer 1
		.amdhsa_user_sgpr_dispatch_ptr 0
		.amdhsa_user_sgpr_queue_ptr 0
		.amdhsa_user_sgpr_kernarg_segment_ptr 1
		.amdhsa_user_sgpr_dispatch_id 0
		.amdhsa_user_sgpr_flat_scratch_init 0
		.amdhsa_user_sgpr_private_segment_size 0
		.amdhsa_uses_dynamic_stack 0
		.amdhsa_system_sgpr_private_segment_wavefront_offset 0
		.amdhsa_system_sgpr_workgroup_id_x 1
		.amdhsa_system_sgpr_workgroup_id_y 0
		.amdhsa_system_sgpr_workgroup_id_z 0
		.amdhsa_system_sgpr_workgroup_info 0
		.amdhsa_system_vgpr_workitem_id 0
		.amdhsa_next_free_vgpr 1
		.amdhsa_next_free_sgpr 0
		.amdhsa_reserve_vcc 0
		.amdhsa_reserve_flat_scratch 0
		.amdhsa_float_round_mode_32 0
		.amdhsa_float_round_mode_16_64 0
		.amdhsa_float_denorm_mode_32 3
		.amdhsa_float_denorm_mode_16_64 3
		.amdhsa_dx10_clamp 1
		.amdhsa_ieee_mode 1
		.amdhsa_fp16_overflow 0
		.amdhsa_exception_fp_ieee_invalid_op 0
		.amdhsa_exception_fp_denorm_src 0
		.amdhsa_exception_fp_ieee_div_zero 0
		.amdhsa_exception_fp_ieee_overflow 0
		.amdhsa_exception_fp_ieee_underflow 0
		.amdhsa_exception_fp_ieee_inexact 0
		.amdhsa_exception_int_div_zero 0
	.end_amdhsa_kernel
	.section	.text._ZN7rocprim17ROCPRIM_400000_NS6detail17trampoline_kernelINS0_13select_configILj256ELj13ELNS0_17block_load_methodE3ELS4_3ELS4_3ELNS0_20block_scan_algorithmE0ELj4294967295EEENS1_25partition_config_selectorILNS1_17partition_subalgoE4EjNS0_10empty_typeEbEEZZNS1_14partition_implILS8_4ELb0ES6_15HIP_vector_typeIjLj2EENS0_17counting_iteratorIjlEEPS9_SG_NS0_5tupleIJPjSI_NS0_16reverse_iteratorISI_EEEEENSH_IJSG_SG_SG_EEES9_SI_JZNS1_25segmented_radix_sort_implINS0_14default_configELb1EPKbPbPKlPlN2at6native12_GLOBAL__N_18offset_tEEE10hipError_tPvRmT1_PNSt15iterator_traitsIS12_E10value_typeET2_T3_PNS13_IS18_E10value_typeET4_jRbjT5_S1E_jjP12ihipStream_tbEUljE_ZNSN_ISO_Lb1ESQ_SR_ST_SU_SY_EESZ_S10_S11_S12_S16_S17_S18_S1B_S1C_jS1D_jS1E_S1E_jjS1G_bEUljE0_EEESZ_S10_S11_S18_S1C_S1E_T6_T7_T9_mT8_S1G_bDpT10_ENKUlT_T0_E_clISt17integral_constantIbLb1EES1T_IbLb0EEEEDaS1P_S1Q_EUlS1P_E_NS1_11comp_targetILNS1_3genE0ELNS1_11target_archE4294967295ELNS1_3gpuE0ELNS1_3repE0EEENS1_30default_config_static_selectorELNS0_4arch9wavefront6targetE1EEEvS12_,"axG",@progbits,_ZN7rocprim17ROCPRIM_400000_NS6detail17trampoline_kernelINS0_13select_configILj256ELj13ELNS0_17block_load_methodE3ELS4_3ELS4_3ELNS0_20block_scan_algorithmE0ELj4294967295EEENS1_25partition_config_selectorILNS1_17partition_subalgoE4EjNS0_10empty_typeEbEEZZNS1_14partition_implILS8_4ELb0ES6_15HIP_vector_typeIjLj2EENS0_17counting_iteratorIjlEEPS9_SG_NS0_5tupleIJPjSI_NS0_16reverse_iteratorISI_EEEEENSH_IJSG_SG_SG_EEES9_SI_JZNS1_25segmented_radix_sort_implINS0_14default_configELb1EPKbPbPKlPlN2at6native12_GLOBAL__N_18offset_tEEE10hipError_tPvRmT1_PNSt15iterator_traitsIS12_E10value_typeET2_T3_PNS13_IS18_E10value_typeET4_jRbjT5_S1E_jjP12ihipStream_tbEUljE_ZNSN_ISO_Lb1ESQ_SR_ST_SU_SY_EESZ_S10_S11_S12_S16_S17_S18_S1B_S1C_jS1D_jS1E_S1E_jjS1G_bEUljE0_EEESZ_S10_S11_S18_S1C_S1E_T6_T7_T9_mT8_S1G_bDpT10_ENKUlT_T0_E_clISt17integral_constantIbLb1EES1T_IbLb0EEEEDaS1P_S1Q_EUlS1P_E_NS1_11comp_targetILNS1_3genE0ELNS1_11target_archE4294967295ELNS1_3gpuE0ELNS1_3repE0EEENS1_30default_config_static_selectorELNS0_4arch9wavefront6targetE1EEEvS12_,comdat
.Lfunc_end1484:
	.size	_ZN7rocprim17ROCPRIM_400000_NS6detail17trampoline_kernelINS0_13select_configILj256ELj13ELNS0_17block_load_methodE3ELS4_3ELS4_3ELNS0_20block_scan_algorithmE0ELj4294967295EEENS1_25partition_config_selectorILNS1_17partition_subalgoE4EjNS0_10empty_typeEbEEZZNS1_14partition_implILS8_4ELb0ES6_15HIP_vector_typeIjLj2EENS0_17counting_iteratorIjlEEPS9_SG_NS0_5tupleIJPjSI_NS0_16reverse_iteratorISI_EEEEENSH_IJSG_SG_SG_EEES9_SI_JZNS1_25segmented_radix_sort_implINS0_14default_configELb1EPKbPbPKlPlN2at6native12_GLOBAL__N_18offset_tEEE10hipError_tPvRmT1_PNSt15iterator_traitsIS12_E10value_typeET2_T3_PNS13_IS18_E10value_typeET4_jRbjT5_S1E_jjP12ihipStream_tbEUljE_ZNSN_ISO_Lb1ESQ_SR_ST_SU_SY_EESZ_S10_S11_S12_S16_S17_S18_S1B_S1C_jS1D_jS1E_S1E_jjS1G_bEUljE0_EEESZ_S10_S11_S18_S1C_S1E_T6_T7_T9_mT8_S1G_bDpT10_ENKUlT_T0_E_clISt17integral_constantIbLb1EES1T_IbLb0EEEEDaS1P_S1Q_EUlS1P_E_NS1_11comp_targetILNS1_3genE0ELNS1_11target_archE4294967295ELNS1_3gpuE0ELNS1_3repE0EEENS1_30default_config_static_selectorELNS0_4arch9wavefront6targetE1EEEvS12_, .Lfunc_end1484-_ZN7rocprim17ROCPRIM_400000_NS6detail17trampoline_kernelINS0_13select_configILj256ELj13ELNS0_17block_load_methodE3ELS4_3ELS4_3ELNS0_20block_scan_algorithmE0ELj4294967295EEENS1_25partition_config_selectorILNS1_17partition_subalgoE4EjNS0_10empty_typeEbEEZZNS1_14partition_implILS8_4ELb0ES6_15HIP_vector_typeIjLj2EENS0_17counting_iteratorIjlEEPS9_SG_NS0_5tupleIJPjSI_NS0_16reverse_iteratorISI_EEEEENSH_IJSG_SG_SG_EEES9_SI_JZNS1_25segmented_radix_sort_implINS0_14default_configELb1EPKbPbPKlPlN2at6native12_GLOBAL__N_18offset_tEEE10hipError_tPvRmT1_PNSt15iterator_traitsIS12_E10value_typeET2_T3_PNS13_IS18_E10value_typeET4_jRbjT5_S1E_jjP12ihipStream_tbEUljE_ZNSN_ISO_Lb1ESQ_SR_ST_SU_SY_EESZ_S10_S11_S12_S16_S17_S18_S1B_S1C_jS1D_jS1E_S1E_jjS1G_bEUljE0_EEESZ_S10_S11_S18_S1C_S1E_T6_T7_T9_mT8_S1G_bDpT10_ENKUlT_T0_E_clISt17integral_constantIbLb1EES1T_IbLb0EEEEDaS1P_S1Q_EUlS1P_E_NS1_11comp_targetILNS1_3genE0ELNS1_11target_archE4294967295ELNS1_3gpuE0ELNS1_3repE0EEENS1_30default_config_static_selectorELNS0_4arch9wavefront6targetE1EEEvS12_
                                        ; -- End function
	.set _ZN7rocprim17ROCPRIM_400000_NS6detail17trampoline_kernelINS0_13select_configILj256ELj13ELNS0_17block_load_methodE3ELS4_3ELS4_3ELNS0_20block_scan_algorithmE0ELj4294967295EEENS1_25partition_config_selectorILNS1_17partition_subalgoE4EjNS0_10empty_typeEbEEZZNS1_14partition_implILS8_4ELb0ES6_15HIP_vector_typeIjLj2EENS0_17counting_iteratorIjlEEPS9_SG_NS0_5tupleIJPjSI_NS0_16reverse_iteratorISI_EEEEENSH_IJSG_SG_SG_EEES9_SI_JZNS1_25segmented_radix_sort_implINS0_14default_configELb1EPKbPbPKlPlN2at6native12_GLOBAL__N_18offset_tEEE10hipError_tPvRmT1_PNSt15iterator_traitsIS12_E10value_typeET2_T3_PNS13_IS18_E10value_typeET4_jRbjT5_S1E_jjP12ihipStream_tbEUljE_ZNSN_ISO_Lb1ESQ_SR_ST_SU_SY_EESZ_S10_S11_S12_S16_S17_S18_S1B_S1C_jS1D_jS1E_S1E_jjS1G_bEUljE0_EEESZ_S10_S11_S18_S1C_S1E_T6_T7_T9_mT8_S1G_bDpT10_ENKUlT_T0_E_clISt17integral_constantIbLb1EES1T_IbLb0EEEEDaS1P_S1Q_EUlS1P_E_NS1_11comp_targetILNS1_3genE0ELNS1_11target_archE4294967295ELNS1_3gpuE0ELNS1_3repE0EEENS1_30default_config_static_selectorELNS0_4arch9wavefront6targetE1EEEvS12_.num_vgpr, 0
	.set _ZN7rocprim17ROCPRIM_400000_NS6detail17trampoline_kernelINS0_13select_configILj256ELj13ELNS0_17block_load_methodE3ELS4_3ELS4_3ELNS0_20block_scan_algorithmE0ELj4294967295EEENS1_25partition_config_selectorILNS1_17partition_subalgoE4EjNS0_10empty_typeEbEEZZNS1_14partition_implILS8_4ELb0ES6_15HIP_vector_typeIjLj2EENS0_17counting_iteratorIjlEEPS9_SG_NS0_5tupleIJPjSI_NS0_16reverse_iteratorISI_EEEEENSH_IJSG_SG_SG_EEES9_SI_JZNS1_25segmented_radix_sort_implINS0_14default_configELb1EPKbPbPKlPlN2at6native12_GLOBAL__N_18offset_tEEE10hipError_tPvRmT1_PNSt15iterator_traitsIS12_E10value_typeET2_T3_PNS13_IS18_E10value_typeET4_jRbjT5_S1E_jjP12ihipStream_tbEUljE_ZNSN_ISO_Lb1ESQ_SR_ST_SU_SY_EESZ_S10_S11_S12_S16_S17_S18_S1B_S1C_jS1D_jS1E_S1E_jjS1G_bEUljE0_EEESZ_S10_S11_S18_S1C_S1E_T6_T7_T9_mT8_S1G_bDpT10_ENKUlT_T0_E_clISt17integral_constantIbLb1EES1T_IbLb0EEEEDaS1P_S1Q_EUlS1P_E_NS1_11comp_targetILNS1_3genE0ELNS1_11target_archE4294967295ELNS1_3gpuE0ELNS1_3repE0EEENS1_30default_config_static_selectorELNS0_4arch9wavefront6targetE1EEEvS12_.num_agpr, 0
	.set _ZN7rocprim17ROCPRIM_400000_NS6detail17trampoline_kernelINS0_13select_configILj256ELj13ELNS0_17block_load_methodE3ELS4_3ELS4_3ELNS0_20block_scan_algorithmE0ELj4294967295EEENS1_25partition_config_selectorILNS1_17partition_subalgoE4EjNS0_10empty_typeEbEEZZNS1_14partition_implILS8_4ELb0ES6_15HIP_vector_typeIjLj2EENS0_17counting_iteratorIjlEEPS9_SG_NS0_5tupleIJPjSI_NS0_16reverse_iteratorISI_EEEEENSH_IJSG_SG_SG_EEES9_SI_JZNS1_25segmented_radix_sort_implINS0_14default_configELb1EPKbPbPKlPlN2at6native12_GLOBAL__N_18offset_tEEE10hipError_tPvRmT1_PNSt15iterator_traitsIS12_E10value_typeET2_T3_PNS13_IS18_E10value_typeET4_jRbjT5_S1E_jjP12ihipStream_tbEUljE_ZNSN_ISO_Lb1ESQ_SR_ST_SU_SY_EESZ_S10_S11_S12_S16_S17_S18_S1B_S1C_jS1D_jS1E_S1E_jjS1G_bEUljE0_EEESZ_S10_S11_S18_S1C_S1E_T6_T7_T9_mT8_S1G_bDpT10_ENKUlT_T0_E_clISt17integral_constantIbLb1EES1T_IbLb0EEEEDaS1P_S1Q_EUlS1P_E_NS1_11comp_targetILNS1_3genE0ELNS1_11target_archE4294967295ELNS1_3gpuE0ELNS1_3repE0EEENS1_30default_config_static_selectorELNS0_4arch9wavefront6targetE1EEEvS12_.numbered_sgpr, 0
	.set _ZN7rocprim17ROCPRIM_400000_NS6detail17trampoline_kernelINS0_13select_configILj256ELj13ELNS0_17block_load_methodE3ELS4_3ELS4_3ELNS0_20block_scan_algorithmE0ELj4294967295EEENS1_25partition_config_selectorILNS1_17partition_subalgoE4EjNS0_10empty_typeEbEEZZNS1_14partition_implILS8_4ELb0ES6_15HIP_vector_typeIjLj2EENS0_17counting_iteratorIjlEEPS9_SG_NS0_5tupleIJPjSI_NS0_16reverse_iteratorISI_EEEEENSH_IJSG_SG_SG_EEES9_SI_JZNS1_25segmented_radix_sort_implINS0_14default_configELb1EPKbPbPKlPlN2at6native12_GLOBAL__N_18offset_tEEE10hipError_tPvRmT1_PNSt15iterator_traitsIS12_E10value_typeET2_T3_PNS13_IS18_E10value_typeET4_jRbjT5_S1E_jjP12ihipStream_tbEUljE_ZNSN_ISO_Lb1ESQ_SR_ST_SU_SY_EESZ_S10_S11_S12_S16_S17_S18_S1B_S1C_jS1D_jS1E_S1E_jjS1G_bEUljE0_EEESZ_S10_S11_S18_S1C_S1E_T6_T7_T9_mT8_S1G_bDpT10_ENKUlT_T0_E_clISt17integral_constantIbLb1EES1T_IbLb0EEEEDaS1P_S1Q_EUlS1P_E_NS1_11comp_targetILNS1_3genE0ELNS1_11target_archE4294967295ELNS1_3gpuE0ELNS1_3repE0EEENS1_30default_config_static_selectorELNS0_4arch9wavefront6targetE1EEEvS12_.num_named_barrier, 0
	.set _ZN7rocprim17ROCPRIM_400000_NS6detail17trampoline_kernelINS0_13select_configILj256ELj13ELNS0_17block_load_methodE3ELS4_3ELS4_3ELNS0_20block_scan_algorithmE0ELj4294967295EEENS1_25partition_config_selectorILNS1_17partition_subalgoE4EjNS0_10empty_typeEbEEZZNS1_14partition_implILS8_4ELb0ES6_15HIP_vector_typeIjLj2EENS0_17counting_iteratorIjlEEPS9_SG_NS0_5tupleIJPjSI_NS0_16reverse_iteratorISI_EEEEENSH_IJSG_SG_SG_EEES9_SI_JZNS1_25segmented_radix_sort_implINS0_14default_configELb1EPKbPbPKlPlN2at6native12_GLOBAL__N_18offset_tEEE10hipError_tPvRmT1_PNSt15iterator_traitsIS12_E10value_typeET2_T3_PNS13_IS18_E10value_typeET4_jRbjT5_S1E_jjP12ihipStream_tbEUljE_ZNSN_ISO_Lb1ESQ_SR_ST_SU_SY_EESZ_S10_S11_S12_S16_S17_S18_S1B_S1C_jS1D_jS1E_S1E_jjS1G_bEUljE0_EEESZ_S10_S11_S18_S1C_S1E_T6_T7_T9_mT8_S1G_bDpT10_ENKUlT_T0_E_clISt17integral_constantIbLb1EES1T_IbLb0EEEEDaS1P_S1Q_EUlS1P_E_NS1_11comp_targetILNS1_3genE0ELNS1_11target_archE4294967295ELNS1_3gpuE0ELNS1_3repE0EEENS1_30default_config_static_selectorELNS0_4arch9wavefront6targetE1EEEvS12_.private_seg_size, 0
	.set _ZN7rocprim17ROCPRIM_400000_NS6detail17trampoline_kernelINS0_13select_configILj256ELj13ELNS0_17block_load_methodE3ELS4_3ELS4_3ELNS0_20block_scan_algorithmE0ELj4294967295EEENS1_25partition_config_selectorILNS1_17partition_subalgoE4EjNS0_10empty_typeEbEEZZNS1_14partition_implILS8_4ELb0ES6_15HIP_vector_typeIjLj2EENS0_17counting_iteratorIjlEEPS9_SG_NS0_5tupleIJPjSI_NS0_16reverse_iteratorISI_EEEEENSH_IJSG_SG_SG_EEES9_SI_JZNS1_25segmented_radix_sort_implINS0_14default_configELb1EPKbPbPKlPlN2at6native12_GLOBAL__N_18offset_tEEE10hipError_tPvRmT1_PNSt15iterator_traitsIS12_E10value_typeET2_T3_PNS13_IS18_E10value_typeET4_jRbjT5_S1E_jjP12ihipStream_tbEUljE_ZNSN_ISO_Lb1ESQ_SR_ST_SU_SY_EESZ_S10_S11_S12_S16_S17_S18_S1B_S1C_jS1D_jS1E_S1E_jjS1G_bEUljE0_EEESZ_S10_S11_S18_S1C_S1E_T6_T7_T9_mT8_S1G_bDpT10_ENKUlT_T0_E_clISt17integral_constantIbLb1EES1T_IbLb0EEEEDaS1P_S1Q_EUlS1P_E_NS1_11comp_targetILNS1_3genE0ELNS1_11target_archE4294967295ELNS1_3gpuE0ELNS1_3repE0EEENS1_30default_config_static_selectorELNS0_4arch9wavefront6targetE1EEEvS12_.uses_vcc, 0
	.set _ZN7rocprim17ROCPRIM_400000_NS6detail17trampoline_kernelINS0_13select_configILj256ELj13ELNS0_17block_load_methodE3ELS4_3ELS4_3ELNS0_20block_scan_algorithmE0ELj4294967295EEENS1_25partition_config_selectorILNS1_17partition_subalgoE4EjNS0_10empty_typeEbEEZZNS1_14partition_implILS8_4ELb0ES6_15HIP_vector_typeIjLj2EENS0_17counting_iteratorIjlEEPS9_SG_NS0_5tupleIJPjSI_NS0_16reverse_iteratorISI_EEEEENSH_IJSG_SG_SG_EEES9_SI_JZNS1_25segmented_radix_sort_implINS0_14default_configELb1EPKbPbPKlPlN2at6native12_GLOBAL__N_18offset_tEEE10hipError_tPvRmT1_PNSt15iterator_traitsIS12_E10value_typeET2_T3_PNS13_IS18_E10value_typeET4_jRbjT5_S1E_jjP12ihipStream_tbEUljE_ZNSN_ISO_Lb1ESQ_SR_ST_SU_SY_EESZ_S10_S11_S12_S16_S17_S18_S1B_S1C_jS1D_jS1E_S1E_jjS1G_bEUljE0_EEESZ_S10_S11_S18_S1C_S1E_T6_T7_T9_mT8_S1G_bDpT10_ENKUlT_T0_E_clISt17integral_constantIbLb1EES1T_IbLb0EEEEDaS1P_S1Q_EUlS1P_E_NS1_11comp_targetILNS1_3genE0ELNS1_11target_archE4294967295ELNS1_3gpuE0ELNS1_3repE0EEENS1_30default_config_static_selectorELNS0_4arch9wavefront6targetE1EEEvS12_.uses_flat_scratch, 0
	.set _ZN7rocprim17ROCPRIM_400000_NS6detail17trampoline_kernelINS0_13select_configILj256ELj13ELNS0_17block_load_methodE3ELS4_3ELS4_3ELNS0_20block_scan_algorithmE0ELj4294967295EEENS1_25partition_config_selectorILNS1_17partition_subalgoE4EjNS0_10empty_typeEbEEZZNS1_14partition_implILS8_4ELb0ES6_15HIP_vector_typeIjLj2EENS0_17counting_iteratorIjlEEPS9_SG_NS0_5tupleIJPjSI_NS0_16reverse_iteratorISI_EEEEENSH_IJSG_SG_SG_EEES9_SI_JZNS1_25segmented_radix_sort_implINS0_14default_configELb1EPKbPbPKlPlN2at6native12_GLOBAL__N_18offset_tEEE10hipError_tPvRmT1_PNSt15iterator_traitsIS12_E10value_typeET2_T3_PNS13_IS18_E10value_typeET4_jRbjT5_S1E_jjP12ihipStream_tbEUljE_ZNSN_ISO_Lb1ESQ_SR_ST_SU_SY_EESZ_S10_S11_S12_S16_S17_S18_S1B_S1C_jS1D_jS1E_S1E_jjS1G_bEUljE0_EEESZ_S10_S11_S18_S1C_S1E_T6_T7_T9_mT8_S1G_bDpT10_ENKUlT_T0_E_clISt17integral_constantIbLb1EES1T_IbLb0EEEEDaS1P_S1Q_EUlS1P_E_NS1_11comp_targetILNS1_3genE0ELNS1_11target_archE4294967295ELNS1_3gpuE0ELNS1_3repE0EEENS1_30default_config_static_selectorELNS0_4arch9wavefront6targetE1EEEvS12_.has_dyn_sized_stack, 0
	.set _ZN7rocprim17ROCPRIM_400000_NS6detail17trampoline_kernelINS0_13select_configILj256ELj13ELNS0_17block_load_methodE3ELS4_3ELS4_3ELNS0_20block_scan_algorithmE0ELj4294967295EEENS1_25partition_config_selectorILNS1_17partition_subalgoE4EjNS0_10empty_typeEbEEZZNS1_14partition_implILS8_4ELb0ES6_15HIP_vector_typeIjLj2EENS0_17counting_iteratorIjlEEPS9_SG_NS0_5tupleIJPjSI_NS0_16reverse_iteratorISI_EEEEENSH_IJSG_SG_SG_EEES9_SI_JZNS1_25segmented_radix_sort_implINS0_14default_configELb1EPKbPbPKlPlN2at6native12_GLOBAL__N_18offset_tEEE10hipError_tPvRmT1_PNSt15iterator_traitsIS12_E10value_typeET2_T3_PNS13_IS18_E10value_typeET4_jRbjT5_S1E_jjP12ihipStream_tbEUljE_ZNSN_ISO_Lb1ESQ_SR_ST_SU_SY_EESZ_S10_S11_S12_S16_S17_S18_S1B_S1C_jS1D_jS1E_S1E_jjS1G_bEUljE0_EEESZ_S10_S11_S18_S1C_S1E_T6_T7_T9_mT8_S1G_bDpT10_ENKUlT_T0_E_clISt17integral_constantIbLb1EES1T_IbLb0EEEEDaS1P_S1Q_EUlS1P_E_NS1_11comp_targetILNS1_3genE0ELNS1_11target_archE4294967295ELNS1_3gpuE0ELNS1_3repE0EEENS1_30default_config_static_selectorELNS0_4arch9wavefront6targetE1EEEvS12_.has_recursion, 0
	.set _ZN7rocprim17ROCPRIM_400000_NS6detail17trampoline_kernelINS0_13select_configILj256ELj13ELNS0_17block_load_methodE3ELS4_3ELS4_3ELNS0_20block_scan_algorithmE0ELj4294967295EEENS1_25partition_config_selectorILNS1_17partition_subalgoE4EjNS0_10empty_typeEbEEZZNS1_14partition_implILS8_4ELb0ES6_15HIP_vector_typeIjLj2EENS0_17counting_iteratorIjlEEPS9_SG_NS0_5tupleIJPjSI_NS0_16reverse_iteratorISI_EEEEENSH_IJSG_SG_SG_EEES9_SI_JZNS1_25segmented_radix_sort_implINS0_14default_configELb1EPKbPbPKlPlN2at6native12_GLOBAL__N_18offset_tEEE10hipError_tPvRmT1_PNSt15iterator_traitsIS12_E10value_typeET2_T3_PNS13_IS18_E10value_typeET4_jRbjT5_S1E_jjP12ihipStream_tbEUljE_ZNSN_ISO_Lb1ESQ_SR_ST_SU_SY_EESZ_S10_S11_S12_S16_S17_S18_S1B_S1C_jS1D_jS1E_S1E_jjS1G_bEUljE0_EEESZ_S10_S11_S18_S1C_S1E_T6_T7_T9_mT8_S1G_bDpT10_ENKUlT_T0_E_clISt17integral_constantIbLb1EES1T_IbLb0EEEEDaS1P_S1Q_EUlS1P_E_NS1_11comp_targetILNS1_3genE0ELNS1_11target_archE4294967295ELNS1_3gpuE0ELNS1_3repE0EEENS1_30default_config_static_selectorELNS0_4arch9wavefront6targetE1EEEvS12_.has_indirect_call, 0
	.section	.AMDGPU.csdata,"",@progbits
; Kernel info:
; codeLenInByte = 0
; TotalNumSgprs: 4
; NumVgprs: 0
; ScratchSize: 0
; MemoryBound: 0
; FloatMode: 240
; IeeeMode: 1
; LDSByteSize: 0 bytes/workgroup (compile time only)
; SGPRBlocks: 0
; VGPRBlocks: 0
; NumSGPRsForWavesPerEU: 4
; NumVGPRsForWavesPerEU: 1
; Occupancy: 10
; WaveLimiterHint : 0
; COMPUTE_PGM_RSRC2:SCRATCH_EN: 0
; COMPUTE_PGM_RSRC2:USER_SGPR: 6
; COMPUTE_PGM_RSRC2:TRAP_HANDLER: 0
; COMPUTE_PGM_RSRC2:TGID_X_EN: 1
; COMPUTE_PGM_RSRC2:TGID_Y_EN: 0
; COMPUTE_PGM_RSRC2:TGID_Z_EN: 0
; COMPUTE_PGM_RSRC2:TIDIG_COMP_CNT: 0
	.section	.text._ZN7rocprim17ROCPRIM_400000_NS6detail17trampoline_kernelINS0_13select_configILj256ELj13ELNS0_17block_load_methodE3ELS4_3ELS4_3ELNS0_20block_scan_algorithmE0ELj4294967295EEENS1_25partition_config_selectorILNS1_17partition_subalgoE4EjNS0_10empty_typeEbEEZZNS1_14partition_implILS8_4ELb0ES6_15HIP_vector_typeIjLj2EENS0_17counting_iteratorIjlEEPS9_SG_NS0_5tupleIJPjSI_NS0_16reverse_iteratorISI_EEEEENSH_IJSG_SG_SG_EEES9_SI_JZNS1_25segmented_radix_sort_implINS0_14default_configELb1EPKbPbPKlPlN2at6native12_GLOBAL__N_18offset_tEEE10hipError_tPvRmT1_PNSt15iterator_traitsIS12_E10value_typeET2_T3_PNS13_IS18_E10value_typeET4_jRbjT5_S1E_jjP12ihipStream_tbEUljE_ZNSN_ISO_Lb1ESQ_SR_ST_SU_SY_EESZ_S10_S11_S12_S16_S17_S18_S1B_S1C_jS1D_jS1E_S1E_jjS1G_bEUljE0_EEESZ_S10_S11_S18_S1C_S1E_T6_T7_T9_mT8_S1G_bDpT10_ENKUlT_T0_E_clISt17integral_constantIbLb1EES1T_IbLb0EEEEDaS1P_S1Q_EUlS1P_E_NS1_11comp_targetILNS1_3genE5ELNS1_11target_archE942ELNS1_3gpuE9ELNS1_3repE0EEENS1_30default_config_static_selectorELNS0_4arch9wavefront6targetE1EEEvS12_,"axG",@progbits,_ZN7rocprim17ROCPRIM_400000_NS6detail17trampoline_kernelINS0_13select_configILj256ELj13ELNS0_17block_load_methodE3ELS4_3ELS4_3ELNS0_20block_scan_algorithmE0ELj4294967295EEENS1_25partition_config_selectorILNS1_17partition_subalgoE4EjNS0_10empty_typeEbEEZZNS1_14partition_implILS8_4ELb0ES6_15HIP_vector_typeIjLj2EENS0_17counting_iteratorIjlEEPS9_SG_NS0_5tupleIJPjSI_NS0_16reverse_iteratorISI_EEEEENSH_IJSG_SG_SG_EEES9_SI_JZNS1_25segmented_radix_sort_implINS0_14default_configELb1EPKbPbPKlPlN2at6native12_GLOBAL__N_18offset_tEEE10hipError_tPvRmT1_PNSt15iterator_traitsIS12_E10value_typeET2_T3_PNS13_IS18_E10value_typeET4_jRbjT5_S1E_jjP12ihipStream_tbEUljE_ZNSN_ISO_Lb1ESQ_SR_ST_SU_SY_EESZ_S10_S11_S12_S16_S17_S18_S1B_S1C_jS1D_jS1E_S1E_jjS1G_bEUljE0_EEESZ_S10_S11_S18_S1C_S1E_T6_T7_T9_mT8_S1G_bDpT10_ENKUlT_T0_E_clISt17integral_constantIbLb1EES1T_IbLb0EEEEDaS1P_S1Q_EUlS1P_E_NS1_11comp_targetILNS1_3genE5ELNS1_11target_archE942ELNS1_3gpuE9ELNS1_3repE0EEENS1_30default_config_static_selectorELNS0_4arch9wavefront6targetE1EEEvS12_,comdat
	.globl	_ZN7rocprim17ROCPRIM_400000_NS6detail17trampoline_kernelINS0_13select_configILj256ELj13ELNS0_17block_load_methodE3ELS4_3ELS4_3ELNS0_20block_scan_algorithmE0ELj4294967295EEENS1_25partition_config_selectorILNS1_17partition_subalgoE4EjNS0_10empty_typeEbEEZZNS1_14partition_implILS8_4ELb0ES6_15HIP_vector_typeIjLj2EENS0_17counting_iteratorIjlEEPS9_SG_NS0_5tupleIJPjSI_NS0_16reverse_iteratorISI_EEEEENSH_IJSG_SG_SG_EEES9_SI_JZNS1_25segmented_radix_sort_implINS0_14default_configELb1EPKbPbPKlPlN2at6native12_GLOBAL__N_18offset_tEEE10hipError_tPvRmT1_PNSt15iterator_traitsIS12_E10value_typeET2_T3_PNS13_IS18_E10value_typeET4_jRbjT5_S1E_jjP12ihipStream_tbEUljE_ZNSN_ISO_Lb1ESQ_SR_ST_SU_SY_EESZ_S10_S11_S12_S16_S17_S18_S1B_S1C_jS1D_jS1E_S1E_jjS1G_bEUljE0_EEESZ_S10_S11_S18_S1C_S1E_T6_T7_T9_mT8_S1G_bDpT10_ENKUlT_T0_E_clISt17integral_constantIbLb1EES1T_IbLb0EEEEDaS1P_S1Q_EUlS1P_E_NS1_11comp_targetILNS1_3genE5ELNS1_11target_archE942ELNS1_3gpuE9ELNS1_3repE0EEENS1_30default_config_static_selectorELNS0_4arch9wavefront6targetE1EEEvS12_ ; -- Begin function _ZN7rocprim17ROCPRIM_400000_NS6detail17trampoline_kernelINS0_13select_configILj256ELj13ELNS0_17block_load_methodE3ELS4_3ELS4_3ELNS0_20block_scan_algorithmE0ELj4294967295EEENS1_25partition_config_selectorILNS1_17partition_subalgoE4EjNS0_10empty_typeEbEEZZNS1_14partition_implILS8_4ELb0ES6_15HIP_vector_typeIjLj2EENS0_17counting_iteratorIjlEEPS9_SG_NS0_5tupleIJPjSI_NS0_16reverse_iteratorISI_EEEEENSH_IJSG_SG_SG_EEES9_SI_JZNS1_25segmented_radix_sort_implINS0_14default_configELb1EPKbPbPKlPlN2at6native12_GLOBAL__N_18offset_tEEE10hipError_tPvRmT1_PNSt15iterator_traitsIS12_E10value_typeET2_T3_PNS13_IS18_E10value_typeET4_jRbjT5_S1E_jjP12ihipStream_tbEUljE_ZNSN_ISO_Lb1ESQ_SR_ST_SU_SY_EESZ_S10_S11_S12_S16_S17_S18_S1B_S1C_jS1D_jS1E_S1E_jjS1G_bEUljE0_EEESZ_S10_S11_S18_S1C_S1E_T6_T7_T9_mT8_S1G_bDpT10_ENKUlT_T0_E_clISt17integral_constantIbLb1EES1T_IbLb0EEEEDaS1P_S1Q_EUlS1P_E_NS1_11comp_targetILNS1_3genE5ELNS1_11target_archE942ELNS1_3gpuE9ELNS1_3repE0EEENS1_30default_config_static_selectorELNS0_4arch9wavefront6targetE1EEEvS12_
	.p2align	8
	.type	_ZN7rocprim17ROCPRIM_400000_NS6detail17trampoline_kernelINS0_13select_configILj256ELj13ELNS0_17block_load_methodE3ELS4_3ELS4_3ELNS0_20block_scan_algorithmE0ELj4294967295EEENS1_25partition_config_selectorILNS1_17partition_subalgoE4EjNS0_10empty_typeEbEEZZNS1_14partition_implILS8_4ELb0ES6_15HIP_vector_typeIjLj2EENS0_17counting_iteratorIjlEEPS9_SG_NS0_5tupleIJPjSI_NS0_16reverse_iteratorISI_EEEEENSH_IJSG_SG_SG_EEES9_SI_JZNS1_25segmented_radix_sort_implINS0_14default_configELb1EPKbPbPKlPlN2at6native12_GLOBAL__N_18offset_tEEE10hipError_tPvRmT1_PNSt15iterator_traitsIS12_E10value_typeET2_T3_PNS13_IS18_E10value_typeET4_jRbjT5_S1E_jjP12ihipStream_tbEUljE_ZNSN_ISO_Lb1ESQ_SR_ST_SU_SY_EESZ_S10_S11_S12_S16_S17_S18_S1B_S1C_jS1D_jS1E_S1E_jjS1G_bEUljE0_EEESZ_S10_S11_S18_S1C_S1E_T6_T7_T9_mT8_S1G_bDpT10_ENKUlT_T0_E_clISt17integral_constantIbLb1EES1T_IbLb0EEEEDaS1P_S1Q_EUlS1P_E_NS1_11comp_targetILNS1_3genE5ELNS1_11target_archE942ELNS1_3gpuE9ELNS1_3repE0EEENS1_30default_config_static_selectorELNS0_4arch9wavefront6targetE1EEEvS12_,@function
_ZN7rocprim17ROCPRIM_400000_NS6detail17trampoline_kernelINS0_13select_configILj256ELj13ELNS0_17block_load_methodE3ELS4_3ELS4_3ELNS0_20block_scan_algorithmE0ELj4294967295EEENS1_25partition_config_selectorILNS1_17partition_subalgoE4EjNS0_10empty_typeEbEEZZNS1_14partition_implILS8_4ELb0ES6_15HIP_vector_typeIjLj2EENS0_17counting_iteratorIjlEEPS9_SG_NS0_5tupleIJPjSI_NS0_16reverse_iteratorISI_EEEEENSH_IJSG_SG_SG_EEES9_SI_JZNS1_25segmented_radix_sort_implINS0_14default_configELb1EPKbPbPKlPlN2at6native12_GLOBAL__N_18offset_tEEE10hipError_tPvRmT1_PNSt15iterator_traitsIS12_E10value_typeET2_T3_PNS13_IS18_E10value_typeET4_jRbjT5_S1E_jjP12ihipStream_tbEUljE_ZNSN_ISO_Lb1ESQ_SR_ST_SU_SY_EESZ_S10_S11_S12_S16_S17_S18_S1B_S1C_jS1D_jS1E_S1E_jjS1G_bEUljE0_EEESZ_S10_S11_S18_S1C_S1E_T6_T7_T9_mT8_S1G_bDpT10_ENKUlT_T0_E_clISt17integral_constantIbLb1EES1T_IbLb0EEEEDaS1P_S1Q_EUlS1P_E_NS1_11comp_targetILNS1_3genE5ELNS1_11target_archE942ELNS1_3gpuE9ELNS1_3repE0EEENS1_30default_config_static_selectorELNS0_4arch9wavefront6targetE1EEEvS12_: ; @_ZN7rocprim17ROCPRIM_400000_NS6detail17trampoline_kernelINS0_13select_configILj256ELj13ELNS0_17block_load_methodE3ELS4_3ELS4_3ELNS0_20block_scan_algorithmE0ELj4294967295EEENS1_25partition_config_selectorILNS1_17partition_subalgoE4EjNS0_10empty_typeEbEEZZNS1_14partition_implILS8_4ELb0ES6_15HIP_vector_typeIjLj2EENS0_17counting_iteratorIjlEEPS9_SG_NS0_5tupleIJPjSI_NS0_16reverse_iteratorISI_EEEEENSH_IJSG_SG_SG_EEES9_SI_JZNS1_25segmented_radix_sort_implINS0_14default_configELb1EPKbPbPKlPlN2at6native12_GLOBAL__N_18offset_tEEE10hipError_tPvRmT1_PNSt15iterator_traitsIS12_E10value_typeET2_T3_PNS13_IS18_E10value_typeET4_jRbjT5_S1E_jjP12ihipStream_tbEUljE_ZNSN_ISO_Lb1ESQ_SR_ST_SU_SY_EESZ_S10_S11_S12_S16_S17_S18_S1B_S1C_jS1D_jS1E_S1E_jjS1G_bEUljE0_EEESZ_S10_S11_S18_S1C_S1E_T6_T7_T9_mT8_S1G_bDpT10_ENKUlT_T0_E_clISt17integral_constantIbLb1EES1T_IbLb0EEEEDaS1P_S1Q_EUlS1P_E_NS1_11comp_targetILNS1_3genE5ELNS1_11target_archE942ELNS1_3gpuE9ELNS1_3repE0EEENS1_30default_config_static_selectorELNS0_4arch9wavefront6targetE1EEEvS12_
; %bb.0:
	.section	.rodata,"a",@progbits
	.p2align	6, 0x0
	.amdhsa_kernel _ZN7rocprim17ROCPRIM_400000_NS6detail17trampoline_kernelINS0_13select_configILj256ELj13ELNS0_17block_load_methodE3ELS4_3ELS4_3ELNS0_20block_scan_algorithmE0ELj4294967295EEENS1_25partition_config_selectorILNS1_17partition_subalgoE4EjNS0_10empty_typeEbEEZZNS1_14partition_implILS8_4ELb0ES6_15HIP_vector_typeIjLj2EENS0_17counting_iteratorIjlEEPS9_SG_NS0_5tupleIJPjSI_NS0_16reverse_iteratorISI_EEEEENSH_IJSG_SG_SG_EEES9_SI_JZNS1_25segmented_radix_sort_implINS0_14default_configELb1EPKbPbPKlPlN2at6native12_GLOBAL__N_18offset_tEEE10hipError_tPvRmT1_PNSt15iterator_traitsIS12_E10value_typeET2_T3_PNS13_IS18_E10value_typeET4_jRbjT5_S1E_jjP12ihipStream_tbEUljE_ZNSN_ISO_Lb1ESQ_SR_ST_SU_SY_EESZ_S10_S11_S12_S16_S17_S18_S1B_S1C_jS1D_jS1E_S1E_jjS1G_bEUljE0_EEESZ_S10_S11_S18_S1C_S1E_T6_T7_T9_mT8_S1G_bDpT10_ENKUlT_T0_E_clISt17integral_constantIbLb1EES1T_IbLb0EEEEDaS1P_S1Q_EUlS1P_E_NS1_11comp_targetILNS1_3genE5ELNS1_11target_archE942ELNS1_3gpuE9ELNS1_3repE0EEENS1_30default_config_static_selectorELNS0_4arch9wavefront6targetE1EEEvS12_
		.amdhsa_group_segment_fixed_size 0
		.amdhsa_private_segment_fixed_size 0
		.amdhsa_kernarg_size 176
		.amdhsa_user_sgpr_count 6
		.amdhsa_user_sgpr_private_segment_buffer 1
		.amdhsa_user_sgpr_dispatch_ptr 0
		.amdhsa_user_sgpr_queue_ptr 0
		.amdhsa_user_sgpr_kernarg_segment_ptr 1
		.amdhsa_user_sgpr_dispatch_id 0
		.amdhsa_user_sgpr_flat_scratch_init 0
		.amdhsa_user_sgpr_private_segment_size 0
		.amdhsa_uses_dynamic_stack 0
		.amdhsa_system_sgpr_private_segment_wavefront_offset 0
		.amdhsa_system_sgpr_workgroup_id_x 1
		.amdhsa_system_sgpr_workgroup_id_y 0
		.amdhsa_system_sgpr_workgroup_id_z 0
		.amdhsa_system_sgpr_workgroup_info 0
		.amdhsa_system_vgpr_workitem_id 0
		.amdhsa_next_free_vgpr 1
		.amdhsa_next_free_sgpr 0
		.amdhsa_reserve_vcc 0
		.amdhsa_reserve_flat_scratch 0
		.amdhsa_float_round_mode_32 0
		.amdhsa_float_round_mode_16_64 0
		.amdhsa_float_denorm_mode_32 3
		.amdhsa_float_denorm_mode_16_64 3
		.amdhsa_dx10_clamp 1
		.amdhsa_ieee_mode 1
		.amdhsa_fp16_overflow 0
		.amdhsa_exception_fp_ieee_invalid_op 0
		.amdhsa_exception_fp_denorm_src 0
		.amdhsa_exception_fp_ieee_div_zero 0
		.amdhsa_exception_fp_ieee_overflow 0
		.amdhsa_exception_fp_ieee_underflow 0
		.amdhsa_exception_fp_ieee_inexact 0
		.amdhsa_exception_int_div_zero 0
	.end_amdhsa_kernel
	.section	.text._ZN7rocprim17ROCPRIM_400000_NS6detail17trampoline_kernelINS0_13select_configILj256ELj13ELNS0_17block_load_methodE3ELS4_3ELS4_3ELNS0_20block_scan_algorithmE0ELj4294967295EEENS1_25partition_config_selectorILNS1_17partition_subalgoE4EjNS0_10empty_typeEbEEZZNS1_14partition_implILS8_4ELb0ES6_15HIP_vector_typeIjLj2EENS0_17counting_iteratorIjlEEPS9_SG_NS0_5tupleIJPjSI_NS0_16reverse_iteratorISI_EEEEENSH_IJSG_SG_SG_EEES9_SI_JZNS1_25segmented_radix_sort_implINS0_14default_configELb1EPKbPbPKlPlN2at6native12_GLOBAL__N_18offset_tEEE10hipError_tPvRmT1_PNSt15iterator_traitsIS12_E10value_typeET2_T3_PNS13_IS18_E10value_typeET4_jRbjT5_S1E_jjP12ihipStream_tbEUljE_ZNSN_ISO_Lb1ESQ_SR_ST_SU_SY_EESZ_S10_S11_S12_S16_S17_S18_S1B_S1C_jS1D_jS1E_S1E_jjS1G_bEUljE0_EEESZ_S10_S11_S18_S1C_S1E_T6_T7_T9_mT8_S1G_bDpT10_ENKUlT_T0_E_clISt17integral_constantIbLb1EES1T_IbLb0EEEEDaS1P_S1Q_EUlS1P_E_NS1_11comp_targetILNS1_3genE5ELNS1_11target_archE942ELNS1_3gpuE9ELNS1_3repE0EEENS1_30default_config_static_selectorELNS0_4arch9wavefront6targetE1EEEvS12_,"axG",@progbits,_ZN7rocprim17ROCPRIM_400000_NS6detail17trampoline_kernelINS0_13select_configILj256ELj13ELNS0_17block_load_methodE3ELS4_3ELS4_3ELNS0_20block_scan_algorithmE0ELj4294967295EEENS1_25partition_config_selectorILNS1_17partition_subalgoE4EjNS0_10empty_typeEbEEZZNS1_14partition_implILS8_4ELb0ES6_15HIP_vector_typeIjLj2EENS0_17counting_iteratorIjlEEPS9_SG_NS0_5tupleIJPjSI_NS0_16reverse_iteratorISI_EEEEENSH_IJSG_SG_SG_EEES9_SI_JZNS1_25segmented_radix_sort_implINS0_14default_configELb1EPKbPbPKlPlN2at6native12_GLOBAL__N_18offset_tEEE10hipError_tPvRmT1_PNSt15iterator_traitsIS12_E10value_typeET2_T3_PNS13_IS18_E10value_typeET4_jRbjT5_S1E_jjP12ihipStream_tbEUljE_ZNSN_ISO_Lb1ESQ_SR_ST_SU_SY_EESZ_S10_S11_S12_S16_S17_S18_S1B_S1C_jS1D_jS1E_S1E_jjS1G_bEUljE0_EEESZ_S10_S11_S18_S1C_S1E_T6_T7_T9_mT8_S1G_bDpT10_ENKUlT_T0_E_clISt17integral_constantIbLb1EES1T_IbLb0EEEEDaS1P_S1Q_EUlS1P_E_NS1_11comp_targetILNS1_3genE5ELNS1_11target_archE942ELNS1_3gpuE9ELNS1_3repE0EEENS1_30default_config_static_selectorELNS0_4arch9wavefront6targetE1EEEvS12_,comdat
.Lfunc_end1485:
	.size	_ZN7rocprim17ROCPRIM_400000_NS6detail17trampoline_kernelINS0_13select_configILj256ELj13ELNS0_17block_load_methodE3ELS4_3ELS4_3ELNS0_20block_scan_algorithmE0ELj4294967295EEENS1_25partition_config_selectorILNS1_17partition_subalgoE4EjNS0_10empty_typeEbEEZZNS1_14partition_implILS8_4ELb0ES6_15HIP_vector_typeIjLj2EENS0_17counting_iteratorIjlEEPS9_SG_NS0_5tupleIJPjSI_NS0_16reverse_iteratorISI_EEEEENSH_IJSG_SG_SG_EEES9_SI_JZNS1_25segmented_radix_sort_implINS0_14default_configELb1EPKbPbPKlPlN2at6native12_GLOBAL__N_18offset_tEEE10hipError_tPvRmT1_PNSt15iterator_traitsIS12_E10value_typeET2_T3_PNS13_IS18_E10value_typeET4_jRbjT5_S1E_jjP12ihipStream_tbEUljE_ZNSN_ISO_Lb1ESQ_SR_ST_SU_SY_EESZ_S10_S11_S12_S16_S17_S18_S1B_S1C_jS1D_jS1E_S1E_jjS1G_bEUljE0_EEESZ_S10_S11_S18_S1C_S1E_T6_T7_T9_mT8_S1G_bDpT10_ENKUlT_T0_E_clISt17integral_constantIbLb1EES1T_IbLb0EEEEDaS1P_S1Q_EUlS1P_E_NS1_11comp_targetILNS1_3genE5ELNS1_11target_archE942ELNS1_3gpuE9ELNS1_3repE0EEENS1_30default_config_static_selectorELNS0_4arch9wavefront6targetE1EEEvS12_, .Lfunc_end1485-_ZN7rocprim17ROCPRIM_400000_NS6detail17trampoline_kernelINS0_13select_configILj256ELj13ELNS0_17block_load_methodE3ELS4_3ELS4_3ELNS0_20block_scan_algorithmE0ELj4294967295EEENS1_25partition_config_selectorILNS1_17partition_subalgoE4EjNS0_10empty_typeEbEEZZNS1_14partition_implILS8_4ELb0ES6_15HIP_vector_typeIjLj2EENS0_17counting_iteratorIjlEEPS9_SG_NS0_5tupleIJPjSI_NS0_16reverse_iteratorISI_EEEEENSH_IJSG_SG_SG_EEES9_SI_JZNS1_25segmented_radix_sort_implINS0_14default_configELb1EPKbPbPKlPlN2at6native12_GLOBAL__N_18offset_tEEE10hipError_tPvRmT1_PNSt15iterator_traitsIS12_E10value_typeET2_T3_PNS13_IS18_E10value_typeET4_jRbjT5_S1E_jjP12ihipStream_tbEUljE_ZNSN_ISO_Lb1ESQ_SR_ST_SU_SY_EESZ_S10_S11_S12_S16_S17_S18_S1B_S1C_jS1D_jS1E_S1E_jjS1G_bEUljE0_EEESZ_S10_S11_S18_S1C_S1E_T6_T7_T9_mT8_S1G_bDpT10_ENKUlT_T0_E_clISt17integral_constantIbLb1EES1T_IbLb0EEEEDaS1P_S1Q_EUlS1P_E_NS1_11comp_targetILNS1_3genE5ELNS1_11target_archE942ELNS1_3gpuE9ELNS1_3repE0EEENS1_30default_config_static_selectorELNS0_4arch9wavefront6targetE1EEEvS12_
                                        ; -- End function
	.set _ZN7rocprim17ROCPRIM_400000_NS6detail17trampoline_kernelINS0_13select_configILj256ELj13ELNS0_17block_load_methodE3ELS4_3ELS4_3ELNS0_20block_scan_algorithmE0ELj4294967295EEENS1_25partition_config_selectorILNS1_17partition_subalgoE4EjNS0_10empty_typeEbEEZZNS1_14partition_implILS8_4ELb0ES6_15HIP_vector_typeIjLj2EENS0_17counting_iteratorIjlEEPS9_SG_NS0_5tupleIJPjSI_NS0_16reverse_iteratorISI_EEEEENSH_IJSG_SG_SG_EEES9_SI_JZNS1_25segmented_radix_sort_implINS0_14default_configELb1EPKbPbPKlPlN2at6native12_GLOBAL__N_18offset_tEEE10hipError_tPvRmT1_PNSt15iterator_traitsIS12_E10value_typeET2_T3_PNS13_IS18_E10value_typeET4_jRbjT5_S1E_jjP12ihipStream_tbEUljE_ZNSN_ISO_Lb1ESQ_SR_ST_SU_SY_EESZ_S10_S11_S12_S16_S17_S18_S1B_S1C_jS1D_jS1E_S1E_jjS1G_bEUljE0_EEESZ_S10_S11_S18_S1C_S1E_T6_T7_T9_mT8_S1G_bDpT10_ENKUlT_T0_E_clISt17integral_constantIbLb1EES1T_IbLb0EEEEDaS1P_S1Q_EUlS1P_E_NS1_11comp_targetILNS1_3genE5ELNS1_11target_archE942ELNS1_3gpuE9ELNS1_3repE0EEENS1_30default_config_static_selectorELNS0_4arch9wavefront6targetE1EEEvS12_.num_vgpr, 0
	.set _ZN7rocprim17ROCPRIM_400000_NS6detail17trampoline_kernelINS0_13select_configILj256ELj13ELNS0_17block_load_methodE3ELS4_3ELS4_3ELNS0_20block_scan_algorithmE0ELj4294967295EEENS1_25partition_config_selectorILNS1_17partition_subalgoE4EjNS0_10empty_typeEbEEZZNS1_14partition_implILS8_4ELb0ES6_15HIP_vector_typeIjLj2EENS0_17counting_iteratorIjlEEPS9_SG_NS0_5tupleIJPjSI_NS0_16reverse_iteratorISI_EEEEENSH_IJSG_SG_SG_EEES9_SI_JZNS1_25segmented_radix_sort_implINS0_14default_configELb1EPKbPbPKlPlN2at6native12_GLOBAL__N_18offset_tEEE10hipError_tPvRmT1_PNSt15iterator_traitsIS12_E10value_typeET2_T3_PNS13_IS18_E10value_typeET4_jRbjT5_S1E_jjP12ihipStream_tbEUljE_ZNSN_ISO_Lb1ESQ_SR_ST_SU_SY_EESZ_S10_S11_S12_S16_S17_S18_S1B_S1C_jS1D_jS1E_S1E_jjS1G_bEUljE0_EEESZ_S10_S11_S18_S1C_S1E_T6_T7_T9_mT8_S1G_bDpT10_ENKUlT_T0_E_clISt17integral_constantIbLb1EES1T_IbLb0EEEEDaS1P_S1Q_EUlS1P_E_NS1_11comp_targetILNS1_3genE5ELNS1_11target_archE942ELNS1_3gpuE9ELNS1_3repE0EEENS1_30default_config_static_selectorELNS0_4arch9wavefront6targetE1EEEvS12_.num_agpr, 0
	.set _ZN7rocprim17ROCPRIM_400000_NS6detail17trampoline_kernelINS0_13select_configILj256ELj13ELNS0_17block_load_methodE3ELS4_3ELS4_3ELNS0_20block_scan_algorithmE0ELj4294967295EEENS1_25partition_config_selectorILNS1_17partition_subalgoE4EjNS0_10empty_typeEbEEZZNS1_14partition_implILS8_4ELb0ES6_15HIP_vector_typeIjLj2EENS0_17counting_iteratorIjlEEPS9_SG_NS0_5tupleIJPjSI_NS0_16reverse_iteratorISI_EEEEENSH_IJSG_SG_SG_EEES9_SI_JZNS1_25segmented_radix_sort_implINS0_14default_configELb1EPKbPbPKlPlN2at6native12_GLOBAL__N_18offset_tEEE10hipError_tPvRmT1_PNSt15iterator_traitsIS12_E10value_typeET2_T3_PNS13_IS18_E10value_typeET4_jRbjT5_S1E_jjP12ihipStream_tbEUljE_ZNSN_ISO_Lb1ESQ_SR_ST_SU_SY_EESZ_S10_S11_S12_S16_S17_S18_S1B_S1C_jS1D_jS1E_S1E_jjS1G_bEUljE0_EEESZ_S10_S11_S18_S1C_S1E_T6_T7_T9_mT8_S1G_bDpT10_ENKUlT_T0_E_clISt17integral_constantIbLb1EES1T_IbLb0EEEEDaS1P_S1Q_EUlS1P_E_NS1_11comp_targetILNS1_3genE5ELNS1_11target_archE942ELNS1_3gpuE9ELNS1_3repE0EEENS1_30default_config_static_selectorELNS0_4arch9wavefront6targetE1EEEvS12_.numbered_sgpr, 0
	.set _ZN7rocprim17ROCPRIM_400000_NS6detail17trampoline_kernelINS0_13select_configILj256ELj13ELNS0_17block_load_methodE3ELS4_3ELS4_3ELNS0_20block_scan_algorithmE0ELj4294967295EEENS1_25partition_config_selectorILNS1_17partition_subalgoE4EjNS0_10empty_typeEbEEZZNS1_14partition_implILS8_4ELb0ES6_15HIP_vector_typeIjLj2EENS0_17counting_iteratorIjlEEPS9_SG_NS0_5tupleIJPjSI_NS0_16reverse_iteratorISI_EEEEENSH_IJSG_SG_SG_EEES9_SI_JZNS1_25segmented_radix_sort_implINS0_14default_configELb1EPKbPbPKlPlN2at6native12_GLOBAL__N_18offset_tEEE10hipError_tPvRmT1_PNSt15iterator_traitsIS12_E10value_typeET2_T3_PNS13_IS18_E10value_typeET4_jRbjT5_S1E_jjP12ihipStream_tbEUljE_ZNSN_ISO_Lb1ESQ_SR_ST_SU_SY_EESZ_S10_S11_S12_S16_S17_S18_S1B_S1C_jS1D_jS1E_S1E_jjS1G_bEUljE0_EEESZ_S10_S11_S18_S1C_S1E_T6_T7_T9_mT8_S1G_bDpT10_ENKUlT_T0_E_clISt17integral_constantIbLb1EES1T_IbLb0EEEEDaS1P_S1Q_EUlS1P_E_NS1_11comp_targetILNS1_3genE5ELNS1_11target_archE942ELNS1_3gpuE9ELNS1_3repE0EEENS1_30default_config_static_selectorELNS0_4arch9wavefront6targetE1EEEvS12_.num_named_barrier, 0
	.set _ZN7rocprim17ROCPRIM_400000_NS6detail17trampoline_kernelINS0_13select_configILj256ELj13ELNS0_17block_load_methodE3ELS4_3ELS4_3ELNS0_20block_scan_algorithmE0ELj4294967295EEENS1_25partition_config_selectorILNS1_17partition_subalgoE4EjNS0_10empty_typeEbEEZZNS1_14partition_implILS8_4ELb0ES6_15HIP_vector_typeIjLj2EENS0_17counting_iteratorIjlEEPS9_SG_NS0_5tupleIJPjSI_NS0_16reverse_iteratorISI_EEEEENSH_IJSG_SG_SG_EEES9_SI_JZNS1_25segmented_radix_sort_implINS0_14default_configELb1EPKbPbPKlPlN2at6native12_GLOBAL__N_18offset_tEEE10hipError_tPvRmT1_PNSt15iterator_traitsIS12_E10value_typeET2_T3_PNS13_IS18_E10value_typeET4_jRbjT5_S1E_jjP12ihipStream_tbEUljE_ZNSN_ISO_Lb1ESQ_SR_ST_SU_SY_EESZ_S10_S11_S12_S16_S17_S18_S1B_S1C_jS1D_jS1E_S1E_jjS1G_bEUljE0_EEESZ_S10_S11_S18_S1C_S1E_T6_T7_T9_mT8_S1G_bDpT10_ENKUlT_T0_E_clISt17integral_constantIbLb1EES1T_IbLb0EEEEDaS1P_S1Q_EUlS1P_E_NS1_11comp_targetILNS1_3genE5ELNS1_11target_archE942ELNS1_3gpuE9ELNS1_3repE0EEENS1_30default_config_static_selectorELNS0_4arch9wavefront6targetE1EEEvS12_.private_seg_size, 0
	.set _ZN7rocprim17ROCPRIM_400000_NS6detail17trampoline_kernelINS0_13select_configILj256ELj13ELNS0_17block_load_methodE3ELS4_3ELS4_3ELNS0_20block_scan_algorithmE0ELj4294967295EEENS1_25partition_config_selectorILNS1_17partition_subalgoE4EjNS0_10empty_typeEbEEZZNS1_14partition_implILS8_4ELb0ES6_15HIP_vector_typeIjLj2EENS0_17counting_iteratorIjlEEPS9_SG_NS0_5tupleIJPjSI_NS0_16reverse_iteratorISI_EEEEENSH_IJSG_SG_SG_EEES9_SI_JZNS1_25segmented_radix_sort_implINS0_14default_configELb1EPKbPbPKlPlN2at6native12_GLOBAL__N_18offset_tEEE10hipError_tPvRmT1_PNSt15iterator_traitsIS12_E10value_typeET2_T3_PNS13_IS18_E10value_typeET4_jRbjT5_S1E_jjP12ihipStream_tbEUljE_ZNSN_ISO_Lb1ESQ_SR_ST_SU_SY_EESZ_S10_S11_S12_S16_S17_S18_S1B_S1C_jS1D_jS1E_S1E_jjS1G_bEUljE0_EEESZ_S10_S11_S18_S1C_S1E_T6_T7_T9_mT8_S1G_bDpT10_ENKUlT_T0_E_clISt17integral_constantIbLb1EES1T_IbLb0EEEEDaS1P_S1Q_EUlS1P_E_NS1_11comp_targetILNS1_3genE5ELNS1_11target_archE942ELNS1_3gpuE9ELNS1_3repE0EEENS1_30default_config_static_selectorELNS0_4arch9wavefront6targetE1EEEvS12_.uses_vcc, 0
	.set _ZN7rocprim17ROCPRIM_400000_NS6detail17trampoline_kernelINS0_13select_configILj256ELj13ELNS0_17block_load_methodE3ELS4_3ELS4_3ELNS0_20block_scan_algorithmE0ELj4294967295EEENS1_25partition_config_selectorILNS1_17partition_subalgoE4EjNS0_10empty_typeEbEEZZNS1_14partition_implILS8_4ELb0ES6_15HIP_vector_typeIjLj2EENS0_17counting_iteratorIjlEEPS9_SG_NS0_5tupleIJPjSI_NS0_16reverse_iteratorISI_EEEEENSH_IJSG_SG_SG_EEES9_SI_JZNS1_25segmented_radix_sort_implINS0_14default_configELb1EPKbPbPKlPlN2at6native12_GLOBAL__N_18offset_tEEE10hipError_tPvRmT1_PNSt15iterator_traitsIS12_E10value_typeET2_T3_PNS13_IS18_E10value_typeET4_jRbjT5_S1E_jjP12ihipStream_tbEUljE_ZNSN_ISO_Lb1ESQ_SR_ST_SU_SY_EESZ_S10_S11_S12_S16_S17_S18_S1B_S1C_jS1D_jS1E_S1E_jjS1G_bEUljE0_EEESZ_S10_S11_S18_S1C_S1E_T6_T7_T9_mT8_S1G_bDpT10_ENKUlT_T0_E_clISt17integral_constantIbLb1EES1T_IbLb0EEEEDaS1P_S1Q_EUlS1P_E_NS1_11comp_targetILNS1_3genE5ELNS1_11target_archE942ELNS1_3gpuE9ELNS1_3repE0EEENS1_30default_config_static_selectorELNS0_4arch9wavefront6targetE1EEEvS12_.uses_flat_scratch, 0
	.set _ZN7rocprim17ROCPRIM_400000_NS6detail17trampoline_kernelINS0_13select_configILj256ELj13ELNS0_17block_load_methodE3ELS4_3ELS4_3ELNS0_20block_scan_algorithmE0ELj4294967295EEENS1_25partition_config_selectorILNS1_17partition_subalgoE4EjNS0_10empty_typeEbEEZZNS1_14partition_implILS8_4ELb0ES6_15HIP_vector_typeIjLj2EENS0_17counting_iteratorIjlEEPS9_SG_NS0_5tupleIJPjSI_NS0_16reverse_iteratorISI_EEEEENSH_IJSG_SG_SG_EEES9_SI_JZNS1_25segmented_radix_sort_implINS0_14default_configELb1EPKbPbPKlPlN2at6native12_GLOBAL__N_18offset_tEEE10hipError_tPvRmT1_PNSt15iterator_traitsIS12_E10value_typeET2_T3_PNS13_IS18_E10value_typeET4_jRbjT5_S1E_jjP12ihipStream_tbEUljE_ZNSN_ISO_Lb1ESQ_SR_ST_SU_SY_EESZ_S10_S11_S12_S16_S17_S18_S1B_S1C_jS1D_jS1E_S1E_jjS1G_bEUljE0_EEESZ_S10_S11_S18_S1C_S1E_T6_T7_T9_mT8_S1G_bDpT10_ENKUlT_T0_E_clISt17integral_constantIbLb1EES1T_IbLb0EEEEDaS1P_S1Q_EUlS1P_E_NS1_11comp_targetILNS1_3genE5ELNS1_11target_archE942ELNS1_3gpuE9ELNS1_3repE0EEENS1_30default_config_static_selectorELNS0_4arch9wavefront6targetE1EEEvS12_.has_dyn_sized_stack, 0
	.set _ZN7rocprim17ROCPRIM_400000_NS6detail17trampoline_kernelINS0_13select_configILj256ELj13ELNS0_17block_load_methodE3ELS4_3ELS4_3ELNS0_20block_scan_algorithmE0ELj4294967295EEENS1_25partition_config_selectorILNS1_17partition_subalgoE4EjNS0_10empty_typeEbEEZZNS1_14partition_implILS8_4ELb0ES6_15HIP_vector_typeIjLj2EENS0_17counting_iteratorIjlEEPS9_SG_NS0_5tupleIJPjSI_NS0_16reverse_iteratorISI_EEEEENSH_IJSG_SG_SG_EEES9_SI_JZNS1_25segmented_radix_sort_implINS0_14default_configELb1EPKbPbPKlPlN2at6native12_GLOBAL__N_18offset_tEEE10hipError_tPvRmT1_PNSt15iterator_traitsIS12_E10value_typeET2_T3_PNS13_IS18_E10value_typeET4_jRbjT5_S1E_jjP12ihipStream_tbEUljE_ZNSN_ISO_Lb1ESQ_SR_ST_SU_SY_EESZ_S10_S11_S12_S16_S17_S18_S1B_S1C_jS1D_jS1E_S1E_jjS1G_bEUljE0_EEESZ_S10_S11_S18_S1C_S1E_T6_T7_T9_mT8_S1G_bDpT10_ENKUlT_T0_E_clISt17integral_constantIbLb1EES1T_IbLb0EEEEDaS1P_S1Q_EUlS1P_E_NS1_11comp_targetILNS1_3genE5ELNS1_11target_archE942ELNS1_3gpuE9ELNS1_3repE0EEENS1_30default_config_static_selectorELNS0_4arch9wavefront6targetE1EEEvS12_.has_recursion, 0
	.set _ZN7rocprim17ROCPRIM_400000_NS6detail17trampoline_kernelINS0_13select_configILj256ELj13ELNS0_17block_load_methodE3ELS4_3ELS4_3ELNS0_20block_scan_algorithmE0ELj4294967295EEENS1_25partition_config_selectorILNS1_17partition_subalgoE4EjNS0_10empty_typeEbEEZZNS1_14partition_implILS8_4ELb0ES6_15HIP_vector_typeIjLj2EENS0_17counting_iteratorIjlEEPS9_SG_NS0_5tupleIJPjSI_NS0_16reverse_iteratorISI_EEEEENSH_IJSG_SG_SG_EEES9_SI_JZNS1_25segmented_radix_sort_implINS0_14default_configELb1EPKbPbPKlPlN2at6native12_GLOBAL__N_18offset_tEEE10hipError_tPvRmT1_PNSt15iterator_traitsIS12_E10value_typeET2_T3_PNS13_IS18_E10value_typeET4_jRbjT5_S1E_jjP12ihipStream_tbEUljE_ZNSN_ISO_Lb1ESQ_SR_ST_SU_SY_EESZ_S10_S11_S12_S16_S17_S18_S1B_S1C_jS1D_jS1E_S1E_jjS1G_bEUljE0_EEESZ_S10_S11_S18_S1C_S1E_T6_T7_T9_mT8_S1G_bDpT10_ENKUlT_T0_E_clISt17integral_constantIbLb1EES1T_IbLb0EEEEDaS1P_S1Q_EUlS1P_E_NS1_11comp_targetILNS1_3genE5ELNS1_11target_archE942ELNS1_3gpuE9ELNS1_3repE0EEENS1_30default_config_static_selectorELNS0_4arch9wavefront6targetE1EEEvS12_.has_indirect_call, 0
	.section	.AMDGPU.csdata,"",@progbits
; Kernel info:
; codeLenInByte = 0
; TotalNumSgprs: 4
; NumVgprs: 0
; ScratchSize: 0
; MemoryBound: 0
; FloatMode: 240
; IeeeMode: 1
; LDSByteSize: 0 bytes/workgroup (compile time only)
; SGPRBlocks: 0
; VGPRBlocks: 0
; NumSGPRsForWavesPerEU: 4
; NumVGPRsForWavesPerEU: 1
; Occupancy: 10
; WaveLimiterHint : 0
; COMPUTE_PGM_RSRC2:SCRATCH_EN: 0
; COMPUTE_PGM_RSRC2:USER_SGPR: 6
; COMPUTE_PGM_RSRC2:TRAP_HANDLER: 0
; COMPUTE_PGM_RSRC2:TGID_X_EN: 1
; COMPUTE_PGM_RSRC2:TGID_Y_EN: 0
; COMPUTE_PGM_RSRC2:TGID_Z_EN: 0
; COMPUTE_PGM_RSRC2:TIDIG_COMP_CNT: 0
	.section	.text._ZN7rocprim17ROCPRIM_400000_NS6detail17trampoline_kernelINS0_13select_configILj256ELj13ELNS0_17block_load_methodE3ELS4_3ELS4_3ELNS0_20block_scan_algorithmE0ELj4294967295EEENS1_25partition_config_selectorILNS1_17partition_subalgoE4EjNS0_10empty_typeEbEEZZNS1_14partition_implILS8_4ELb0ES6_15HIP_vector_typeIjLj2EENS0_17counting_iteratorIjlEEPS9_SG_NS0_5tupleIJPjSI_NS0_16reverse_iteratorISI_EEEEENSH_IJSG_SG_SG_EEES9_SI_JZNS1_25segmented_radix_sort_implINS0_14default_configELb1EPKbPbPKlPlN2at6native12_GLOBAL__N_18offset_tEEE10hipError_tPvRmT1_PNSt15iterator_traitsIS12_E10value_typeET2_T3_PNS13_IS18_E10value_typeET4_jRbjT5_S1E_jjP12ihipStream_tbEUljE_ZNSN_ISO_Lb1ESQ_SR_ST_SU_SY_EESZ_S10_S11_S12_S16_S17_S18_S1B_S1C_jS1D_jS1E_S1E_jjS1G_bEUljE0_EEESZ_S10_S11_S18_S1C_S1E_T6_T7_T9_mT8_S1G_bDpT10_ENKUlT_T0_E_clISt17integral_constantIbLb1EES1T_IbLb0EEEEDaS1P_S1Q_EUlS1P_E_NS1_11comp_targetILNS1_3genE4ELNS1_11target_archE910ELNS1_3gpuE8ELNS1_3repE0EEENS1_30default_config_static_selectorELNS0_4arch9wavefront6targetE1EEEvS12_,"axG",@progbits,_ZN7rocprim17ROCPRIM_400000_NS6detail17trampoline_kernelINS0_13select_configILj256ELj13ELNS0_17block_load_methodE3ELS4_3ELS4_3ELNS0_20block_scan_algorithmE0ELj4294967295EEENS1_25partition_config_selectorILNS1_17partition_subalgoE4EjNS0_10empty_typeEbEEZZNS1_14partition_implILS8_4ELb0ES6_15HIP_vector_typeIjLj2EENS0_17counting_iteratorIjlEEPS9_SG_NS0_5tupleIJPjSI_NS0_16reverse_iteratorISI_EEEEENSH_IJSG_SG_SG_EEES9_SI_JZNS1_25segmented_radix_sort_implINS0_14default_configELb1EPKbPbPKlPlN2at6native12_GLOBAL__N_18offset_tEEE10hipError_tPvRmT1_PNSt15iterator_traitsIS12_E10value_typeET2_T3_PNS13_IS18_E10value_typeET4_jRbjT5_S1E_jjP12ihipStream_tbEUljE_ZNSN_ISO_Lb1ESQ_SR_ST_SU_SY_EESZ_S10_S11_S12_S16_S17_S18_S1B_S1C_jS1D_jS1E_S1E_jjS1G_bEUljE0_EEESZ_S10_S11_S18_S1C_S1E_T6_T7_T9_mT8_S1G_bDpT10_ENKUlT_T0_E_clISt17integral_constantIbLb1EES1T_IbLb0EEEEDaS1P_S1Q_EUlS1P_E_NS1_11comp_targetILNS1_3genE4ELNS1_11target_archE910ELNS1_3gpuE8ELNS1_3repE0EEENS1_30default_config_static_selectorELNS0_4arch9wavefront6targetE1EEEvS12_,comdat
	.globl	_ZN7rocprim17ROCPRIM_400000_NS6detail17trampoline_kernelINS0_13select_configILj256ELj13ELNS0_17block_load_methodE3ELS4_3ELS4_3ELNS0_20block_scan_algorithmE0ELj4294967295EEENS1_25partition_config_selectorILNS1_17partition_subalgoE4EjNS0_10empty_typeEbEEZZNS1_14partition_implILS8_4ELb0ES6_15HIP_vector_typeIjLj2EENS0_17counting_iteratorIjlEEPS9_SG_NS0_5tupleIJPjSI_NS0_16reverse_iteratorISI_EEEEENSH_IJSG_SG_SG_EEES9_SI_JZNS1_25segmented_radix_sort_implINS0_14default_configELb1EPKbPbPKlPlN2at6native12_GLOBAL__N_18offset_tEEE10hipError_tPvRmT1_PNSt15iterator_traitsIS12_E10value_typeET2_T3_PNS13_IS18_E10value_typeET4_jRbjT5_S1E_jjP12ihipStream_tbEUljE_ZNSN_ISO_Lb1ESQ_SR_ST_SU_SY_EESZ_S10_S11_S12_S16_S17_S18_S1B_S1C_jS1D_jS1E_S1E_jjS1G_bEUljE0_EEESZ_S10_S11_S18_S1C_S1E_T6_T7_T9_mT8_S1G_bDpT10_ENKUlT_T0_E_clISt17integral_constantIbLb1EES1T_IbLb0EEEEDaS1P_S1Q_EUlS1P_E_NS1_11comp_targetILNS1_3genE4ELNS1_11target_archE910ELNS1_3gpuE8ELNS1_3repE0EEENS1_30default_config_static_selectorELNS0_4arch9wavefront6targetE1EEEvS12_ ; -- Begin function _ZN7rocprim17ROCPRIM_400000_NS6detail17trampoline_kernelINS0_13select_configILj256ELj13ELNS0_17block_load_methodE3ELS4_3ELS4_3ELNS0_20block_scan_algorithmE0ELj4294967295EEENS1_25partition_config_selectorILNS1_17partition_subalgoE4EjNS0_10empty_typeEbEEZZNS1_14partition_implILS8_4ELb0ES6_15HIP_vector_typeIjLj2EENS0_17counting_iteratorIjlEEPS9_SG_NS0_5tupleIJPjSI_NS0_16reverse_iteratorISI_EEEEENSH_IJSG_SG_SG_EEES9_SI_JZNS1_25segmented_radix_sort_implINS0_14default_configELb1EPKbPbPKlPlN2at6native12_GLOBAL__N_18offset_tEEE10hipError_tPvRmT1_PNSt15iterator_traitsIS12_E10value_typeET2_T3_PNS13_IS18_E10value_typeET4_jRbjT5_S1E_jjP12ihipStream_tbEUljE_ZNSN_ISO_Lb1ESQ_SR_ST_SU_SY_EESZ_S10_S11_S12_S16_S17_S18_S1B_S1C_jS1D_jS1E_S1E_jjS1G_bEUljE0_EEESZ_S10_S11_S18_S1C_S1E_T6_T7_T9_mT8_S1G_bDpT10_ENKUlT_T0_E_clISt17integral_constantIbLb1EES1T_IbLb0EEEEDaS1P_S1Q_EUlS1P_E_NS1_11comp_targetILNS1_3genE4ELNS1_11target_archE910ELNS1_3gpuE8ELNS1_3repE0EEENS1_30default_config_static_selectorELNS0_4arch9wavefront6targetE1EEEvS12_
	.p2align	8
	.type	_ZN7rocprim17ROCPRIM_400000_NS6detail17trampoline_kernelINS0_13select_configILj256ELj13ELNS0_17block_load_methodE3ELS4_3ELS4_3ELNS0_20block_scan_algorithmE0ELj4294967295EEENS1_25partition_config_selectorILNS1_17partition_subalgoE4EjNS0_10empty_typeEbEEZZNS1_14partition_implILS8_4ELb0ES6_15HIP_vector_typeIjLj2EENS0_17counting_iteratorIjlEEPS9_SG_NS0_5tupleIJPjSI_NS0_16reverse_iteratorISI_EEEEENSH_IJSG_SG_SG_EEES9_SI_JZNS1_25segmented_radix_sort_implINS0_14default_configELb1EPKbPbPKlPlN2at6native12_GLOBAL__N_18offset_tEEE10hipError_tPvRmT1_PNSt15iterator_traitsIS12_E10value_typeET2_T3_PNS13_IS18_E10value_typeET4_jRbjT5_S1E_jjP12ihipStream_tbEUljE_ZNSN_ISO_Lb1ESQ_SR_ST_SU_SY_EESZ_S10_S11_S12_S16_S17_S18_S1B_S1C_jS1D_jS1E_S1E_jjS1G_bEUljE0_EEESZ_S10_S11_S18_S1C_S1E_T6_T7_T9_mT8_S1G_bDpT10_ENKUlT_T0_E_clISt17integral_constantIbLb1EES1T_IbLb0EEEEDaS1P_S1Q_EUlS1P_E_NS1_11comp_targetILNS1_3genE4ELNS1_11target_archE910ELNS1_3gpuE8ELNS1_3repE0EEENS1_30default_config_static_selectorELNS0_4arch9wavefront6targetE1EEEvS12_,@function
_ZN7rocprim17ROCPRIM_400000_NS6detail17trampoline_kernelINS0_13select_configILj256ELj13ELNS0_17block_load_methodE3ELS4_3ELS4_3ELNS0_20block_scan_algorithmE0ELj4294967295EEENS1_25partition_config_selectorILNS1_17partition_subalgoE4EjNS0_10empty_typeEbEEZZNS1_14partition_implILS8_4ELb0ES6_15HIP_vector_typeIjLj2EENS0_17counting_iteratorIjlEEPS9_SG_NS0_5tupleIJPjSI_NS0_16reverse_iteratorISI_EEEEENSH_IJSG_SG_SG_EEES9_SI_JZNS1_25segmented_radix_sort_implINS0_14default_configELb1EPKbPbPKlPlN2at6native12_GLOBAL__N_18offset_tEEE10hipError_tPvRmT1_PNSt15iterator_traitsIS12_E10value_typeET2_T3_PNS13_IS18_E10value_typeET4_jRbjT5_S1E_jjP12ihipStream_tbEUljE_ZNSN_ISO_Lb1ESQ_SR_ST_SU_SY_EESZ_S10_S11_S12_S16_S17_S18_S1B_S1C_jS1D_jS1E_S1E_jjS1G_bEUljE0_EEESZ_S10_S11_S18_S1C_S1E_T6_T7_T9_mT8_S1G_bDpT10_ENKUlT_T0_E_clISt17integral_constantIbLb1EES1T_IbLb0EEEEDaS1P_S1Q_EUlS1P_E_NS1_11comp_targetILNS1_3genE4ELNS1_11target_archE910ELNS1_3gpuE8ELNS1_3repE0EEENS1_30default_config_static_selectorELNS0_4arch9wavefront6targetE1EEEvS12_: ; @_ZN7rocprim17ROCPRIM_400000_NS6detail17trampoline_kernelINS0_13select_configILj256ELj13ELNS0_17block_load_methodE3ELS4_3ELS4_3ELNS0_20block_scan_algorithmE0ELj4294967295EEENS1_25partition_config_selectorILNS1_17partition_subalgoE4EjNS0_10empty_typeEbEEZZNS1_14partition_implILS8_4ELb0ES6_15HIP_vector_typeIjLj2EENS0_17counting_iteratorIjlEEPS9_SG_NS0_5tupleIJPjSI_NS0_16reverse_iteratorISI_EEEEENSH_IJSG_SG_SG_EEES9_SI_JZNS1_25segmented_radix_sort_implINS0_14default_configELb1EPKbPbPKlPlN2at6native12_GLOBAL__N_18offset_tEEE10hipError_tPvRmT1_PNSt15iterator_traitsIS12_E10value_typeET2_T3_PNS13_IS18_E10value_typeET4_jRbjT5_S1E_jjP12ihipStream_tbEUljE_ZNSN_ISO_Lb1ESQ_SR_ST_SU_SY_EESZ_S10_S11_S12_S16_S17_S18_S1B_S1C_jS1D_jS1E_S1E_jjS1G_bEUljE0_EEESZ_S10_S11_S18_S1C_S1E_T6_T7_T9_mT8_S1G_bDpT10_ENKUlT_T0_E_clISt17integral_constantIbLb1EES1T_IbLb0EEEEDaS1P_S1Q_EUlS1P_E_NS1_11comp_targetILNS1_3genE4ELNS1_11target_archE910ELNS1_3gpuE8ELNS1_3repE0EEENS1_30default_config_static_selectorELNS0_4arch9wavefront6targetE1EEEvS12_
; %bb.0:
	.section	.rodata,"a",@progbits
	.p2align	6, 0x0
	.amdhsa_kernel _ZN7rocprim17ROCPRIM_400000_NS6detail17trampoline_kernelINS0_13select_configILj256ELj13ELNS0_17block_load_methodE3ELS4_3ELS4_3ELNS0_20block_scan_algorithmE0ELj4294967295EEENS1_25partition_config_selectorILNS1_17partition_subalgoE4EjNS0_10empty_typeEbEEZZNS1_14partition_implILS8_4ELb0ES6_15HIP_vector_typeIjLj2EENS0_17counting_iteratorIjlEEPS9_SG_NS0_5tupleIJPjSI_NS0_16reverse_iteratorISI_EEEEENSH_IJSG_SG_SG_EEES9_SI_JZNS1_25segmented_radix_sort_implINS0_14default_configELb1EPKbPbPKlPlN2at6native12_GLOBAL__N_18offset_tEEE10hipError_tPvRmT1_PNSt15iterator_traitsIS12_E10value_typeET2_T3_PNS13_IS18_E10value_typeET4_jRbjT5_S1E_jjP12ihipStream_tbEUljE_ZNSN_ISO_Lb1ESQ_SR_ST_SU_SY_EESZ_S10_S11_S12_S16_S17_S18_S1B_S1C_jS1D_jS1E_S1E_jjS1G_bEUljE0_EEESZ_S10_S11_S18_S1C_S1E_T6_T7_T9_mT8_S1G_bDpT10_ENKUlT_T0_E_clISt17integral_constantIbLb1EES1T_IbLb0EEEEDaS1P_S1Q_EUlS1P_E_NS1_11comp_targetILNS1_3genE4ELNS1_11target_archE910ELNS1_3gpuE8ELNS1_3repE0EEENS1_30default_config_static_selectorELNS0_4arch9wavefront6targetE1EEEvS12_
		.amdhsa_group_segment_fixed_size 0
		.amdhsa_private_segment_fixed_size 0
		.amdhsa_kernarg_size 176
		.amdhsa_user_sgpr_count 6
		.amdhsa_user_sgpr_private_segment_buffer 1
		.amdhsa_user_sgpr_dispatch_ptr 0
		.amdhsa_user_sgpr_queue_ptr 0
		.amdhsa_user_sgpr_kernarg_segment_ptr 1
		.amdhsa_user_sgpr_dispatch_id 0
		.amdhsa_user_sgpr_flat_scratch_init 0
		.amdhsa_user_sgpr_private_segment_size 0
		.amdhsa_uses_dynamic_stack 0
		.amdhsa_system_sgpr_private_segment_wavefront_offset 0
		.amdhsa_system_sgpr_workgroup_id_x 1
		.amdhsa_system_sgpr_workgroup_id_y 0
		.amdhsa_system_sgpr_workgroup_id_z 0
		.amdhsa_system_sgpr_workgroup_info 0
		.amdhsa_system_vgpr_workitem_id 0
		.amdhsa_next_free_vgpr 1
		.amdhsa_next_free_sgpr 0
		.amdhsa_reserve_vcc 0
		.amdhsa_reserve_flat_scratch 0
		.amdhsa_float_round_mode_32 0
		.amdhsa_float_round_mode_16_64 0
		.amdhsa_float_denorm_mode_32 3
		.amdhsa_float_denorm_mode_16_64 3
		.amdhsa_dx10_clamp 1
		.amdhsa_ieee_mode 1
		.amdhsa_fp16_overflow 0
		.amdhsa_exception_fp_ieee_invalid_op 0
		.amdhsa_exception_fp_denorm_src 0
		.amdhsa_exception_fp_ieee_div_zero 0
		.amdhsa_exception_fp_ieee_overflow 0
		.amdhsa_exception_fp_ieee_underflow 0
		.amdhsa_exception_fp_ieee_inexact 0
		.amdhsa_exception_int_div_zero 0
	.end_amdhsa_kernel
	.section	.text._ZN7rocprim17ROCPRIM_400000_NS6detail17trampoline_kernelINS0_13select_configILj256ELj13ELNS0_17block_load_methodE3ELS4_3ELS4_3ELNS0_20block_scan_algorithmE0ELj4294967295EEENS1_25partition_config_selectorILNS1_17partition_subalgoE4EjNS0_10empty_typeEbEEZZNS1_14partition_implILS8_4ELb0ES6_15HIP_vector_typeIjLj2EENS0_17counting_iteratorIjlEEPS9_SG_NS0_5tupleIJPjSI_NS0_16reverse_iteratorISI_EEEEENSH_IJSG_SG_SG_EEES9_SI_JZNS1_25segmented_radix_sort_implINS0_14default_configELb1EPKbPbPKlPlN2at6native12_GLOBAL__N_18offset_tEEE10hipError_tPvRmT1_PNSt15iterator_traitsIS12_E10value_typeET2_T3_PNS13_IS18_E10value_typeET4_jRbjT5_S1E_jjP12ihipStream_tbEUljE_ZNSN_ISO_Lb1ESQ_SR_ST_SU_SY_EESZ_S10_S11_S12_S16_S17_S18_S1B_S1C_jS1D_jS1E_S1E_jjS1G_bEUljE0_EEESZ_S10_S11_S18_S1C_S1E_T6_T7_T9_mT8_S1G_bDpT10_ENKUlT_T0_E_clISt17integral_constantIbLb1EES1T_IbLb0EEEEDaS1P_S1Q_EUlS1P_E_NS1_11comp_targetILNS1_3genE4ELNS1_11target_archE910ELNS1_3gpuE8ELNS1_3repE0EEENS1_30default_config_static_selectorELNS0_4arch9wavefront6targetE1EEEvS12_,"axG",@progbits,_ZN7rocprim17ROCPRIM_400000_NS6detail17trampoline_kernelINS0_13select_configILj256ELj13ELNS0_17block_load_methodE3ELS4_3ELS4_3ELNS0_20block_scan_algorithmE0ELj4294967295EEENS1_25partition_config_selectorILNS1_17partition_subalgoE4EjNS0_10empty_typeEbEEZZNS1_14partition_implILS8_4ELb0ES6_15HIP_vector_typeIjLj2EENS0_17counting_iteratorIjlEEPS9_SG_NS0_5tupleIJPjSI_NS0_16reverse_iteratorISI_EEEEENSH_IJSG_SG_SG_EEES9_SI_JZNS1_25segmented_radix_sort_implINS0_14default_configELb1EPKbPbPKlPlN2at6native12_GLOBAL__N_18offset_tEEE10hipError_tPvRmT1_PNSt15iterator_traitsIS12_E10value_typeET2_T3_PNS13_IS18_E10value_typeET4_jRbjT5_S1E_jjP12ihipStream_tbEUljE_ZNSN_ISO_Lb1ESQ_SR_ST_SU_SY_EESZ_S10_S11_S12_S16_S17_S18_S1B_S1C_jS1D_jS1E_S1E_jjS1G_bEUljE0_EEESZ_S10_S11_S18_S1C_S1E_T6_T7_T9_mT8_S1G_bDpT10_ENKUlT_T0_E_clISt17integral_constantIbLb1EES1T_IbLb0EEEEDaS1P_S1Q_EUlS1P_E_NS1_11comp_targetILNS1_3genE4ELNS1_11target_archE910ELNS1_3gpuE8ELNS1_3repE0EEENS1_30default_config_static_selectorELNS0_4arch9wavefront6targetE1EEEvS12_,comdat
.Lfunc_end1486:
	.size	_ZN7rocprim17ROCPRIM_400000_NS6detail17trampoline_kernelINS0_13select_configILj256ELj13ELNS0_17block_load_methodE3ELS4_3ELS4_3ELNS0_20block_scan_algorithmE0ELj4294967295EEENS1_25partition_config_selectorILNS1_17partition_subalgoE4EjNS0_10empty_typeEbEEZZNS1_14partition_implILS8_4ELb0ES6_15HIP_vector_typeIjLj2EENS0_17counting_iteratorIjlEEPS9_SG_NS0_5tupleIJPjSI_NS0_16reverse_iteratorISI_EEEEENSH_IJSG_SG_SG_EEES9_SI_JZNS1_25segmented_radix_sort_implINS0_14default_configELb1EPKbPbPKlPlN2at6native12_GLOBAL__N_18offset_tEEE10hipError_tPvRmT1_PNSt15iterator_traitsIS12_E10value_typeET2_T3_PNS13_IS18_E10value_typeET4_jRbjT5_S1E_jjP12ihipStream_tbEUljE_ZNSN_ISO_Lb1ESQ_SR_ST_SU_SY_EESZ_S10_S11_S12_S16_S17_S18_S1B_S1C_jS1D_jS1E_S1E_jjS1G_bEUljE0_EEESZ_S10_S11_S18_S1C_S1E_T6_T7_T9_mT8_S1G_bDpT10_ENKUlT_T0_E_clISt17integral_constantIbLb1EES1T_IbLb0EEEEDaS1P_S1Q_EUlS1P_E_NS1_11comp_targetILNS1_3genE4ELNS1_11target_archE910ELNS1_3gpuE8ELNS1_3repE0EEENS1_30default_config_static_selectorELNS0_4arch9wavefront6targetE1EEEvS12_, .Lfunc_end1486-_ZN7rocprim17ROCPRIM_400000_NS6detail17trampoline_kernelINS0_13select_configILj256ELj13ELNS0_17block_load_methodE3ELS4_3ELS4_3ELNS0_20block_scan_algorithmE0ELj4294967295EEENS1_25partition_config_selectorILNS1_17partition_subalgoE4EjNS0_10empty_typeEbEEZZNS1_14partition_implILS8_4ELb0ES6_15HIP_vector_typeIjLj2EENS0_17counting_iteratorIjlEEPS9_SG_NS0_5tupleIJPjSI_NS0_16reverse_iteratorISI_EEEEENSH_IJSG_SG_SG_EEES9_SI_JZNS1_25segmented_radix_sort_implINS0_14default_configELb1EPKbPbPKlPlN2at6native12_GLOBAL__N_18offset_tEEE10hipError_tPvRmT1_PNSt15iterator_traitsIS12_E10value_typeET2_T3_PNS13_IS18_E10value_typeET4_jRbjT5_S1E_jjP12ihipStream_tbEUljE_ZNSN_ISO_Lb1ESQ_SR_ST_SU_SY_EESZ_S10_S11_S12_S16_S17_S18_S1B_S1C_jS1D_jS1E_S1E_jjS1G_bEUljE0_EEESZ_S10_S11_S18_S1C_S1E_T6_T7_T9_mT8_S1G_bDpT10_ENKUlT_T0_E_clISt17integral_constantIbLb1EES1T_IbLb0EEEEDaS1P_S1Q_EUlS1P_E_NS1_11comp_targetILNS1_3genE4ELNS1_11target_archE910ELNS1_3gpuE8ELNS1_3repE0EEENS1_30default_config_static_selectorELNS0_4arch9wavefront6targetE1EEEvS12_
                                        ; -- End function
	.set _ZN7rocprim17ROCPRIM_400000_NS6detail17trampoline_kernelINS0_13select_configILj256ELj13ELNS0_17block_load_methodE3ELS4_3ELS4_3ELNS0_20block_scan_algorithmE0ELj4294967295EEENS1_25partition_config_selectorILNS1_17partition_subalgoE4EjNS0_10empty_typeEbEEZZNS1_14partition_implILS8_4ELb0ES6_15HIP_vector_typeIjLj2EENS0_17counting_iteratorIjlEEPS9_SG_NS0_5tupleIJPjSI_NS0_16reverse_iteratorISI_EEEEENSH_IJSG_SG_SG_EEES9_SI_JZNS1_25segmented_radix_sort_implINS0_14default_configELb1EPKbPbPKlPlN2at6native12_GLOBAL__N_18offset_tEEE10hipError_tPvRmT1_PNSt15iterator_traitsIS12_E10value_typeET2_T3_PNS13_IS18_E10value_typeET4_jRbjT5_S1E_jjP12ihipStream_tbEUljE_ZNSN_ISO_Lb1ESQ_SR_ST_SU_SY_EESZ_S10_S11_S12_S16_S17_S18_S1B_S1C_jS1D_jS1E_S1E_jjS1G_bEUljE0_EEESZ_S10_S11_S18_S1C_S1E_T6_T7_T9_mT8_S1G_bDpT10_ENKUlT_T0_E_clISt17integral_constantIbLb1EES1T_IbLb0EEEEDaS1P_S1Q_EUlS1P_E_NS1_11comp_targetILNS1_3genE4ELNS1_11target_archE910ELNS1_3gpuE8ELNS1_3repE0EEENS1_30default_config_static_selectorELNS0_4arch9wavefront6targetE1EEEvS12_.num_vgpr, 0
	.set _ZN7rocprim17ROCPRIM_400000_NS6detail17trampoline_kernelINS0_13select_configILj256ELj13ELNS0_17block_load_methodE3ELS4_3ELS4_3ELNS0_20block_scan_algorithmE0ELj4294967295EEENS1_25partition_config_selectorILNS1_17partition_subalgoE4EjNS0_10empty_typeEbEEZZNS1_14partition_implILS8_4ELb0ES6_15HIP_vector_typeIjLj2EENS0_17counting_iteratorIjlEEPS9_SG_NS0_5tupleIJPjSI_NS0_16reverse_iteratorISI_EEEEENSH_IJSG_SG_SG_EEES9_SI_JZNS1_25segmented_radix_sort_implINS0_14default_configELb1EPKbPbPKlPlN2at6native12_GLOBAL__N_18offset_tEEE10hipError_tPvRmT1_PNSt15iterator_traitsIS12_E10value_typeET2_T3_PNS13_IS18_E10value_typeET4_jRbjT5_S1E_jjP12ihipStream_tbEUljE_ZNSN_ISO_Lb1ESQ_SR_ST_SU_SY_EESZ_S10_S11_S12_S16_S17_S18_S1B_S1C_jS1D_jS1E_S1E_jjS1G_bEUljE0_EEESZ_S10_S11_S18_S1C_S1E_T6_T7_T9_mT8_S1G_bDpT10_ENKUlT_T0_E_clISt17integral_constantIbLb1EES1T_IbLb0EEEEDaS1P_S1Q_EUlS1P_E_NS1_11comp_targetILNS1_3genE4ELNS1_11target_archE910ELNS1_3gpuE8ELNS1_3repE0EEENS1_30default_config_static_selectorELNS0_4arch9wavefront6targetE1EEEvS12_.num_agpr, 0
	.set _ZN7rocprim17ROCPRIM_400000_NS6detail17trampoline_kernelINS0_13select_configILj256ELj13ELNS0_17block_load_methodE3ELS4_3ELS4_3ELNS0_20block_scan_algorithmE0ELj4294967295EEENS1_25partition_config_selectorILNS1_17partition_subalgoE4EjNS0_10empty_typeEbEEZZNS1_14partition_implILS8_4ELb0ES6_15HIP_vector_typeIjLj2EENS0_17counting_iteratorIjlEEPS9_SG_NS0_5tupleIJPjSI_NS0_16reverse_iteratorISI_EEEEENSH_IJSG_SG_SG_EEES9_SI_JZNS1_25segmented_radix_sort_implINS0_14default_configELb1EPKbPbPKlPlN2at6native12_GLOBAL__N_18offset_tEEE10hipError_tPvRmT1_PNSt15iterator_traitsIS12_E10value_typeET2_T3_PNS13_IS18_E10value_typeET4_jRbjT5_S1E_jjP12ihipStream_tbEUljE_ZNSN_ISO_Lb1ESQ_SR_ST_SU_SY_EESZ_S10_S11_S12_S16_S17_S18_S1B_S1C_jS1D_jS1E_S1E_jjS1G_bEUljE0_EEESZ_S10_S11_S18_S1C_S1E_T6_T7_T9_mT8_S1G_bDpT10_ENKUlT_T0_E_clISt17integral_constantIbLb1EES1T_IbLb0EEEEDaS1P_S1Q_EUlS1P_E_NS1_11comp_targetILNS1_3genE4ELNS1_11target_archE910ELNS1_3gpuE8ELNS1_3repE0EEENS1_30default_config_static_selectorELNS0_4arch9wavefront6targetE1EEEvS12_.numbered_sgpr, 0
	.set _ZN7rocprim17ROCPRIM_400000_NS6detail17trampoline_kernelINS0_13select_configILj256ELj13ELNS0_17block_load_methodE3ELS4_3ELS4_3ELNS0_20block_scan_algorithmE0ELj4294967295EEENS1_25partition_config_selectorILNS1_17partition_subalgoE4EjNS0_10empty_typeEbEEZZNS1_14partition_implILS8_4ELb0ES6_15HIP_vector_typeIjLj2EENS0_17counting_iteratorIjlEEPS9_SG_NS0_5tupleIJPjSI_NS0_16reverse_iteratorISI_EEEEENSH_IJSG_SG_SG_EEES9_SI_JZNS1_25segmented_radix_sort_implINS0_14default_configELb1EPKbPbPKlPlN2at6native12_GLOBAL__N_18offset_tEEE10hipError_tPvRmT1_PNSt15iterator_traitsIS12_E10value_typeET2_T3_PNS13_IS18_E10value_typeET4_jRbjT5_S1E_jjP12ihipStream_tbEUljE_ZNSN_ISO_Lb1ESQ_SR_ST_SU_SY_EESZ_S10_S11_S12_S16_S17_S18_S1B_S1C_jS1D_jS1E_S1E_jjS1G_bEUljE0_EEESZ_S10_S11_S18_S1C_S1E_T6_T7_T9_mT8_S1G_bDpT10_ENKUlT_T0_E_clISt17integral_constantIbLb1EES1T_IbLb0EEEEDaS1P_S1Q_EUlS1P_E_NS1_11comp_targetILNS1_3genE4ELNS1_11target_archE910ELNS1_3gpuE8ELNS1_3repE0EEENS1_30default_config_static_selectorELNS0_4arch9wavefront6targetE1EEEvS12_.num_named_barrier, 0
	.set _ZN7rocprim17ROCPRIM_400000_NS6detail17trampoline_kernelINS0_13select_configILj256ELj13ELNS0_17block_load_methodE3ELS4_3ELS4_3ELNS0_20block_scan_algorithmE0ELj4294967295EEENS1_25partition_config_selectorILNS1_17partition_subalgoE4EjNS0_10empty_typeEbEEZZNS1_14partition_implILS8_4ELb0ES6_15HIP_vector_typeIjLj2EENS0_17counting_iteratorIjlEEPS9_SG_NS0_5tupleIJPjSI_NS0_16reverse_iteratorISI_EEEEENSH_IJSG_SG_SG_EEES9_SI_JZNS1_25segmented_radix_sort_implINS0_14default_configELb1EPKbPbPKlPlN2at6native12_GLOBAL__N_18offset_tEEE10hipError_tPvRmT1_PNSt15iterator_traitsIS12_E10value_typeET2_T3_PNS13_IS18_E10value_typeET4_jRbjT5_S1E_jjP12ihipStream_tbEUljE_ZNSN_ISO_Lb1ESQ_SR_ST_SU_SY_EESZ_S10_S11_S12_S16_S17_S18_S1B_S1C_jS1D_jS1E_S1E_jjS1G_bEUljE0_EEESZ_S10_S11_S18_S1C_S1E_T6_T7_T9_mT8_S1G_bDpT10_ENKUlT_T0_E_clISt17integral_constantIbLb1EES1T_IbLb0EEEEDaS1P_S1Q_EUlS1P_E_NS1_11comp_targetILNS1_3genE4ELNS1_11target_archE910ELNS1_3gpuE8ELNS1_3repE0EEENS1_30default_config_static_selectorELNS0_4arch9wavefront6targetE1EEEvS12_.private_seg_size, 0
	.set _ZN7rocprim17ROCPRIM_400000_NS6detail17trampoline_kernelINS0_13select_configILj256ELj13ELNS0_17block_load_methodE3ELS4_3ELS4_3ELNS0_20block_scan_algorithmE0ELj4294967295EEENS1_25partition_config_selectorILNS1_17partition_subalgoE4EjNS0_10empty_typeEbEEZZNS1_14partition_implILS8_4ELb0ES6_15HIP_vector_typeIjLj2EENS0_17counting_iteratorIjlEEPS9_SG_NS0_5tupleIJPjSI_NS0_16reverse_iteratorISI_EEEEENSH_IJSG_SG_SG_EEES9_SI_JZNS1_25segmented_radix_sort_implINS0_14default_configELb1EPKbPbPKlPlN2at6native12_GLOBAL__N_18offset_tEEE10hipError_tPvRmT1_PNSt15iterator_traitsIS12_E10value_typeET2_T3_PNS13_IS18_E10value_typeET4_jRbjT5_S1E_jjP12ihipStream_tbEUljE_ZNSN_ISO_Lb1ESQ_SR_ST_SU_SY_EESZ_S10_S11_S12_S16_S17_S18_S1B_S1C_jS1D_jS1E_S1E_jjS1G_bEUljE0_EEESZ_S10_S11_S18_S1C_S1E_T6_T7_T9_mT8_S1G_bDpT10_ENKUlT_T0_E_clISt17integral_constantIbLb1EES1T_IbLb0EEEEDaS1P_S1Q_EUlS1P_E_NS1_11comp_targetILNS1_3genE4ELNS1_11target_archE910ELNS1_3gpuE8ELNS1_3repE0EEENS1_30default_config_static_selectorELNS0_4arch9wavefront6targetE1EEEvS12_.uses_vcc, 0
	.set _ZN7rocprim17ROCPRIM_400000_NS6detail17trampoline_kernelINS0_13select_configILj256ELj13ELNS0_17block_load_methodE3ELS4_3ELS4_3ELNS0_20block_scan_algorithmE0ELj4294967295EEENS1_25partition_config_selectorILNS1_17partition_subalgoE4EjNS0_10empty_typeEbEEZZNS1_14partition_implILS8_4ELb0ES6_15HIP_vector_typeIjLj2EENS0_17counting_iteratorIjlEEPS9_SG_NS0_5tupleIJPjSI_NS0_16reverse_iteratorISI_EEEEENSH_IJSG_SG_SG_EEES9_SI_JZNS1_25segmented_radix_sort_implINS0_14default_configELb1EPKbPbPKlPlN2at6native12_GLOBAL__N_18offset_tEEE10hipError_tPvRmT1_PNSt15iterator_traitsIS12_E10value_typeET2_T3_PNS13_IS18_E10value_typeET4_jRbjT5_S1E_jjP12ihipStream_tbEUljE_ZNSN_ISO_Lb1ESQ_SR_ST_SU_SY_EESZ_S10_S11_S12_S16_S17_S18_S1B_S1C_jS1D_jS1E_S1E_jjS1G_bEUljE0_EEESZ_S10_S11_S18_S1C_S1E_T6_T7_T9_mT8_S1G_bDpT10_ENKUlT_T0_E_clISt17integral_constantIbLb1EES1T_IbLb0EEEEDaS1P_S1Q_EUlS1P_E_NS1_11comp_targetILNS1_3genE4ELNS1_11target_archE910ELNS1_3gpuE8ELNS1_3repE0EEENS1_30default_config_static_selectorELNS0_4arch9wavefront6targetE1EEEvS12_.uses_flat_scratch, 0
	.set _ZN7rocprim17ROCPRIM_400000_NS6detail17trampoline_kernelINS0_13select_configILj256ELj13ELNS0_17block_load_methodE3ELS4_3ELS4_3ELNS0_20block_scan_algorithmE0ELj4294967295EEENS1_25partition_config_selectorILNS1_17partition_subalgoE4EjNS0_10empty_typeEbEEZZNS1_14partition_implILS8_4ELb0ES6_15HIP_vector_typeIjLj2EENS0_17counting_iteratorIjlEEPS9_SG_NS0_5tupleIJPjSI_NS0_16reverse_iteratorISI_EEEEENSH_IJSG_SG_SG_EEES9_SI_JZNS1_25segmented_radix_sort_implINS0_14default_configELb1EPKbPbPKlPlN2at6native12_GLOBAL__N_18offset_tEEE10hipError_tPvRmT1_PNSt15iterator_traitsIS12_E10value_typeET2_T3_PNS13_IS18_E10value_typeET4_jRbjT5_S1E_jjP12ihipStream_tbEUljE_ZNSN_ISO_Lb1ESQ_SR_ST_SU_SY_EESZ_S10_S11_S12_S16_S17_S18_S1B_S1C_jS1D_jS1E_S1E_jjS1G_bEUljE0_EEESZ_S10_S11_S18_S1C_S1E_T6_T7_T9_mT8_S1G_bDpT10_ENKUlT_T0_E_clISt17integral_constantIbLb1EES1T_IbLb0EEEEDaS1P_S1Q_EUlS1P_E_NS1_11comp_targetILNS1_3genE4ELNS1_11target_archE910ELNS1_3gpuE8ELNS1_3repE0EEENS1_30default_config_static_selectorELNS0_4arch9wavefront6targetE1EEEvS12_.has_dyn_sized_stack, 0
	.set _ZN7rocprim17ROCPRIM_400000_NS6detail17trampoline_kernelINS0_13select_configILj256ELj13ELNS0_17block_load_methodE3ELS4_3ELS4_3ELNS0_20block_scan_algorithmE0ELj4294967295EEENS1_25partition_config_selectorILNS1_17partition_subalgoE4EjNS0_10empty_typeEbEEZZNS1_14partition_implILS8_4ELb0ES6_15HIP_vector_typeIjLj2EENS0_17counting_iteratorIjlEEPS9_SG_NS0_5tupleIJPjSI_NS0_16reverse_iteratorISI_EEEEENSH_IJSG_SG_SG_EEES9_SI_JZNS1_25segmented_radix_sort_implINS0_14default_configELb1EPKbPbPKlPlN2at6native12_GLOBAL__N_18offset_tEEE10hipError_tPvRmT1_PNSt15iterator_traitsIS12_E10value_typeET2_T3_PNS13_IS18_E10value_typeET4_jRbjT5_S1E_jjP12ihipStream_tbEUljE_ZNSN_ISO_Lb1ESQ_SR_ST_SU_SY_EESZ_S10_S11_S12_S16_S17_S18_S1B_S1C_jS1D_jS1E_S1E_jjS1G_bEUljE0_EEESZ_S10_S11_S18_S1C_S1E_T6_T7_T9_mT8_S1G_bDpT10_ENKUlT_T0_E_clISt17integral_constantIbLb1EES1T_IbLb0EEEEDaS1P_S1Q_EUlS1P_E_NS1_11comp_targetILNS1_3genE4ELNS1_11target_archE910ELNS1_3gpuE8ELNS1_3repE0EEENS1_30default_config_static_selectorELNS0_4arch9wavefront6targetE1EEEvS12_.has_recursion, 0
	.set _ZN7rocprim17ROCPRIM_400000_NS6detail17trampoline_kernelINS0_13select_configILj256ELj13ELNS0_17block_load_methodE3ELS4_3ELS4_3ELNS0_20block_scan_algorithmE0ELj4294967295EEENS1_25partition_config_selectorILNS1_17partition_subalgoE4EjNS0_10empty_typeEbEEZZNS1_14partition_implILS8_4ELb0ES6_15HIP_vector_typeIjLj2EENS0_17counting_iteratorIjlEEPS9_SG_NS0_5tupleIJPjSI_NS0_16reverse_iteratorISI_EEEEENSH_IJSG_SG_SG_EEES9_SI_JZNS1_25segmented_radix_sort_implINS0_14default_configELb1EPKbPbPKlPlN2at6native12_GLOBAL__N_18offset_tEEE10hipError_tPvRmT1_PNSt15iterator_traitsIS12_E10value_typeET2_T3_PNS13_IS18_E10value_typeET4_jRbjT5_S1E_jjP12ihipStream_tbEUljE_ZNSN_ISO_Lb1ESQ_SR_ST_SU_SY_EESZ_S10_S11_S12_S16_S17_S18_S1B_S1C_jS1D_jS1E_S1E_jjS1G_bEUljE0_EEESZ_S10_S11_S18_S1C_S1E_T6_T7_T9_mT8_S1G_bDpT10_ENKUlT_T0_E_clISt17integral_constantIbLb1EES1T_IbLb0EEEEDaS1P_S1Q_EUlS1P_E_NS1_11comp_targetILNS1_3genE4ELNS1_11target_archE910ELNS1_3gpuE8ELNS1_3repE0EEENS1_30default_config_static_selectorELNS0_4arch9wavefront6targetE1EEEvS12_.has_indirect_call, 0
	.section	.AMDGPU.csdata,"",@progbits
; Kernel info:
; codeLenInByte = 0
; TotalNumSgprs: 4
; NumVgprs: 0
; ScratchSize: 0
; MemoryBound: 0
; FloatMode: 240
; IeeeMode: 1
; LDSByteSize: 0 bytes/workgroup (compile time only)
; SGPRBlocks: 0
; VGPRBlocks: 0
; NumSGPRsForWavesPerEU: 4
; NumVGPRsForWavesPerEU: 1
; Occupancy: 10
; WaveLimiterHint : 0
; COMPUTE_PGM_RSRC2:SCRATCH_EN: 0
; COMPUTE_PGM_RSRC2:USER_SGPR: 6
; COMPUTE_PGM_RSRC2:TRAP_HANDLER: 0
; COMPUTE_PGM_RSRC2:TGID_X_EN: 1
; COMPUTE_PGM_RSRC2:TGID_Y_EN: 0
; COMPUTE_PGM_RSRC2:TGID_Z_EN: 0
; COMPUTE_PGM_RSRC2:TIDIG_COMP_CNT: 0
	.section	.text._ZN7rocprim17ROCPRIM_400000_NS6detail17trampoline_kernelINS0_13select_configILj256ELj13ELNS0_17block_load_methodE3ELS4_3ELS4_3ELNS0_20block_scan_algorithmE0ELj4294967295EEENS1_25partition_config_selectorILNS1_17partition_subalgoE4EjNS0_10empty_typeEbEEZZNS1_14partition_implILS8_4ELb0ES6_15HIP_vector_typeIjLj2EENS0_17counting_iteratorIjlEEPS9_SG_NS0_5tupleIJPjSI_NS0_16reverse_iteratorISI_EEEEENSH_IJSG_SG_SG_EEES9_SI_JZNS1_25segmented_radix_sort_implINS0_14default_configELb1EPKbPbPKlPlN2at6native12_GLOBAL__N_18offset_tEEE10hipError_tPvRmT1_PNSt15iterator_traitsIS12_E10value_typeET2_T3_PNS13_IS18_E10value_typeET4_jRbjT5_S1E_jjP12ihipStream_tbEUljE_ZNSN_ISO_Lb1ESQ_SR_ST_SU_SY_EESZ_S10_S11_S12_S16_S17_S18_S1B_S1C_jS1D_jS1E_S1E_jjS1G_bEUljE0_EEESZ_S10_S11_S18_S1C_S1E_T6_T7_T9_mT8_S1G_bDpT10_ENKUlT_T0_E_clISt17integral_constantIbLb1EES1T_IbLb0EEEEDaS1P_S1Q_EUlS1P_E_NS1_11comp_targetILNS1_3genE3ELNS1_11target_archE908ELNS1_3gpuE7ELNS1_3repE0EEENS1_30default_config_static_selectorELNS0_4arch9wavefront6targetE1EEEvS12_,"axG",@progbits,_ZN7rocprim17ROCPRIM_400000_NS6detail17trampoline_kernelINS0_13select_configILj256ELj13ELNS0_17block_load_methodE3ELS4_3ELS4_3ELNS0_20block_scan_algorithmE0ELj4294967295EEENS1_25partition_config_selectorILNS1_17partition_subalgoE4EjNS0_10empty_typeEbEEZZNS1_14partition_implILS8_4ELb0ES6_15HIP_vector_typeIjLj2EENS0_17counting_iteratorIjlEEPS9_SG_NS0_5tupleIJPjSI_NS0_16reverse_iteratorISI_EEEEENSH_IJSG_SG_SG_EEES9_SI_JZNS1_25segmented_radix_sort_implINS0_14default_configELb1EPKbPbPKlPlN2at6native12_GLOBAL__N_18offset_tEEE10hipError_tPvRmT1_PNSt15iterator_traitsIS12_E10value_typeET2_T3_PNS13_IS18_E10value_typeET4_jRbjT5_S1E_jjP12ihipStream_tbEUljE_ZNSN_ISO_Lb1ESQ_SR_ST_SU_SY_EESZ_S10_S11_S12_S16_S17_S18_S1B_S1C_jS1D_jS1E_S1E_jjS1G_bEUljE0_EEESZ_S10_S11_S18_S1C_S1E_T6_T7_T9_mT8_S1G_bDpT10_ENKUlT_T0_E_clISt17integral_constantIbLb1EES1T_IbLb0EEEEDaS1P_S1Q_EUlS1P_E_NS1_11comp_targetILNS1_3genE3ELNS1_11target_archE908ELNS1_3gpuE7ELNS1_3repE0EEENS1_30default_config_static_selectorELNS0_4arch9wavefront6targetE1EEEvS12_,comdat
	.globl	_ZN7rocprim17ROCPRIM_400000_NS6detail17trampoline_kernelINS0_13select_configILj256ELj13ELNS0_17block_load_methodE3ELS4_3ELS4_3ELNS0_20block_scan_algorithmE0ELj4294967295EEENS1_25partition_config_selectorILNS1_17partition_subalgoE4EjNS0_10empty_typeEbEEZZNS1_14partition_implILS8_4ELb0ES6_15HIP_vector_typeIjLj2EENS0_17counting_iteratorIjlEEPS9_SG_NS0_5tupleIJPjSI_NS0_16reverse_iteratorISI_EEEEENSH_IJSG_SG_SG_EEES9_SI_JZNS1_25segmented_radix_sort_implINS0_14default_configELb1EPKbPbPKlPlN2at6native12_GLOBAL__N_18offset_tEEE10hipError_tPvRmT1_PNSt15iterator_traitsIS12_E10value_typeET2_T3_PNS13_IS18_E10value_typeET4_jRbjT5_S1E_jjP12ihipStream_tbEUljE_ZNSN_ISO_Lb1ESQ_SR_ST_SU_SY_EESZ_S10_S11_S12_S16_S17_S18_S1B_S1C_jS1D_jS1E_S1E_jjS1G_bEUljE0_EEESZ_S10_S11_S18_S1C_S1E_T6_T7_T9_mT8_S1G_bDpT10_ENKUlT_T0_E_clISt17integral_constantIbLb1EES1T_IbLb0EEEEDaS1P_S1Q_EUlS1P_E_NS1_11comp_targetILNS1_3genE3ELNS1_11target_archE908ELNS1_3gpuE7ELNS1_3repE0EEENS1_30default_config_static_selectorELNS0_4arch9wavefront6targetE1EEEvS12_ ; -- Begin function _ZN7rocprim17ROCPRIM_400000_NS6detail17trampoline_kernelINS0_13select_configILj256ELj13ELNS0_17block_load_methodE3ELS4_3ELS4_3ELNS0_20block_scan_algorithmE0ELj4294967295EEENS1_25partition_config_selectorILNS1_17partition_subalgoE4EjNS0_10empty_typeEbEEZZNS1_14partition_implILS8_4ELb0ES6_15HIP_vector_typeIjLj2EENS0_17counting_iteratorIjlEEPS9_SG_NS0_5tupleIJPjSI_NS0_16reverse_iteratorISI_EEEEENSH_IJSG_SG_SG_EEES9_SI_JZNS1_25segmented_radix_sort_implINS0_14default_configELb1EPKbPbPKlPlN2at6native12_GLOBAL__N_18offset_tEEE10hipError_tPvRmT1_PNSt15iterator_traitsIS12_E10value_typeET2_T3_PNS13_IS18_E10value_typeET4_jRbjT5_S1E_jjP12ihipStream_tbEUljE_ZNSN_ISO_Lb1ESQ_SR_ST_SU_SY_EESZ_S10_S11_S12_S16_S17_S18_S1B_S1C_jS1D_jS1E_S1E_jjS1G_bEUljE0_EEESZ_S10_S11_S18_S1C_S1E_T6_T7_T9_mT8_S1G_bDpT10_ENKUlT_T0_E_clISt17integral_constantIbLb1EES1T_IbLb0EEEEDaS1P_S1Q_EUlS1P_E_NS1_11comp_targetILNS1_3genE3ELNS1_11target_archE908ELNS1_3gpuE7ELNS1_3repE0EEENS1_30default_config_static_selectorELNS0_4arch9wavefront6targetE1EEEvS12_
	.p2align	8
	.type	_ZN7rocprim17ROCPRIM_400000_NS6detail17trampoline_kernelINS0_13select_configILj256ELj13ELNS0_17block_load_methodE3ELS4_3ELS4_3ELNS0_20block_scan_algorithmE0ELj4294967295EEENS1_25partition_config_selectorILNS1_17partition_subalgoE4EjNS0_10empty_typeEbEEZZNS1_14partition_implILS8_4ELb0ES6_15HIP_vector_typeIjLj2EENS0_17counting_iteratorIjlEEPS9_SG_NS0_5tupleIJPjSI_NS0_16reverse_iteratorISI_EEEEENSH_IJSG_SG_SG_EEES9_SI_JZNS1_25segmented_radix_sort_implINS0_14default_configELb1EPKbPbPKlPlN2at6native12_GLOBAL__N_18offset_tEEE10hipError_tPvRmT1_PNSt15iterator_traitsIS12_E10value_typeET2_T3_PNS13_IS18_E10value_typeET4_jRbjT5_S1E_jjP12ihipStream_tbEUljE_ZNSN_ISO_Lb1ESQ_SR_ST_SU_SY_EESZ_S10_S11_S12_S16_S17_S18_S1B_S1C_jS1D_jS1E_S1E_jjS1G_bEUljE0_EEESZ_S10_S11_S18_S1C_S1E_T6_T7_T9_mT8_S1G_bDpT10_ENKUlT_T0_E_clISt17integral_constantIbLb1EES1T_IbLb0EEEEDaS1P_S1Q_EUlS1P_E_NS1_11comp_targetILNS1_3genE3ELNS1_11target_archE908ELNS1_3gpuE7ELNS1_3repE0EEENS1_30default_config_static_selectorELNS0_4arch9wavefront6targetE1EEEvS12_,@function
_ZN7rocprim17ROCPRIM_400000_NS6detail17trampoline_kernelINS0_13select_configILj256ELj13ELNS0_17block_load_methodE3ELS4_3ELS4_3ELNS0_20block_scan_algorithmE0ELj4294967295EEENS1_25partition_config_selectorILNS1_17partition_subalgoE4EjNS0_10empty_typeEbEEZZNS1_14partition_implILS8_4ELb0ES6_15HIP_vector_typeIjLj2EENS0_17counting_iteratorIjlEEPS9_SG_NS0_5tupleIJPjSI_NS0_16reverse_iteratorISI_EEEEENSH_IJSG_SG_SG_EEES9_SI_JZNS1_25segmented_radix_sort_implINS0_14default_configELb1EPKbPbPKlPlN2at6native12_GLOBAL__N_18offset_tEEE10hipError_tPvRmT1_PNSt15iterator_traitsIS12_E10value_typeET2_T3_PNS13_IS18_E10value_typeET4_jRbjT5_S1E_jjP12ihipStream_tbEUljE_ZNSN_ISO_Lb1ESQ_SR_ST_SU_SY_EESZ_S10_S11_S12_S16_S17_S18_S1B_S1C_jS1D_jS1E_S1E_jjS1G_bEUljE0_EEESZ_S10_S11_S18_S1C_S1E_T6_T7_T9_mT8_S1G_bDpT10_ENKUlT_T0_E_clISt17integral_constantIbLb1EES1T_IbLb0EEEEDaS1P_S1Q_EUlS1P_E_NS1_11comp_targetILNS1_3genE3ELNS1_11target_archE908ELNS1_3gpuE7ELNS1_3repE0EEENS1_30default_config_static_selectorELNS0_4arch9wavefront6targetE1EEEvS12_: ; @_ZN7rocprim17ROCPRIM_400000_NS6detail17trampoline_kernelINS0_13select_configILj256ELj13ELNS0_17block_load_methodE3ELS4_3ELS4_3ELNS0_20block_scan_algorithmE0ELj4294967295EEENS1_25partition_config_selectorILNS1_17partition_subalgoE4EjNS0_10empty_typeEbEEZZNS1_14partition_implILS8_4ELb0ES6_15HIP_vector_typeIjLj2EENS0_17counting_iteratorIjlEEPS9_SG_NS0_5tupleIJPjSI_NS0_16reverse_iteratorISI_EEEEENSH_IJSG_SG_SG_EEES9_SI_JZNS1_25segmented_radix_sort_implINS0_14default_configELb1EPKbPbPKlPlN2at6native12_GLOBAL__N_18offset_tEEE10hipError_tPvRmT1_PNSt15iterator_traitsIS12_E10value_typeET2_T3_PNS13_IS18_E10value_typeET4_jRbjT5_S1E_jjP12ihipStream_tbEUljE_ZNSN_ISO_Lb1ESQ_SR_ST_SU_SY_EESZ_S10_S11_S12_S16_S17_S18_S1B_S1C_jS1D_jS1E_S1E_jjS1G_bEUljE0_EEESZ_S10_S11_S18_S1C_S1E_T6_T7_T9_mT8_S1G_bDpT10_ENKUlT_T0_E_clISt17integral_constantIbLb1EES1T_IbLb0EEEEDaS1P_S1Q_EUlS1P_E_NS1_11comp_targetILNS1_3genE3ELNS1_11target_archE908ELNS1_3gpuE7ELNS1_3repE0EEENS1_30default_config_static_selectorELNS0_4arch9wavefront6targetE1EEEvS12_
; %bb.0:
	.section	.rodata,"a",@progbits
	.p2align	6, 0x0
	.amdhsa_kernel _ZN7rocprim17ROCPRIM_400000_NS6detail17trampoline_kernelINS0_13select_configILj256ELj13ELNS0_17block_load_methodE3ELS4_3ELS4_3ELNS0_20block_scan_algorithmE0ELj4294967295EEENS1_25partition_config_selectorILNS1_17partition_subalgoE4EjNS0_10empty_typeEbEEZZNS1_14partition_implILS8_4ELb0ES6_15HIP_vector_typeIjLj2EENS0_17counting_iteratorIjlEEPS9_SG_NS0_5tupleIJPjSI_NS0_16reverse_iteratorISI_EEEEENSH_IJSG_SG_SG_EEES9_SI_JZNS1_25segmented_radix_sort_implINS0_14default_configELb1EPKbPbPKlPlN2at6native12_GLOBAL__N_18offset_tEEE10hipError_tPvRmT1_PNSt15iterator_traitsIS12_E10value_typeET2_T3_PNS13_IS18_E10value_typeET4_jRbjT5_S1E_jjP12ihipStream_tbEUljE_ZNSN_ISO_Lb1ESQ_SR_ST_SU_SY_EESZ_S10_S11_S12_S16_S17_S18_S1B_S1C_jS1D_jS1E_S1E_jjS1G_bEUljE0_EEESZ_S10_S11_S18_S1C_S1E_T6_T7_T9_mT8_S1G_bDpT10_ENKUlT_T0_E_clISt17integral_constantIbLb1EES1T_IbLb0EEEEDaS1P_S1Q_EUlS1P_E_NS1_11comp_targetILNS1_3genE3ELNS1_11target_archE908ELNS1_3gpuE7ELNS1_3repE0EEENS1_30default_config_static_selectorELNS0_4arch9wavefront6targetE1EEEvS12_
		.amdhsa_group_segment_fixed_size 0
		.amdhsa_private_segment_fixed_size 0
		.amdhsa_kernarg_size 176
		.amdhsa_user_sgpr_count 6
		.amdhsa_user_sgpr_private_segment_buffer 1
		.amdhsa_user_sgpr_dispatch_ptr 0
		.amdhsa_user_sgpr_queue_ptr 0
		.amdhsa_user_sgpr_kernarg_segment_ptr 1
		.amdhsa_user_sgpr_dispatch_id 0
		.amdhsa_user_sgpr_flat_scratch_init 0
		.amdhsa_user_sgpr_private_segment_size 0
		.amdhsa_uses_dynamic_stack 0
		.amdhsa_system_sgpr_private_segment_wavefront_offset 0
		.amdhsa_system_sgpr_workgroup_id_x 1
		.amdhsa_system_sgpr_workgroup_id_y 0
		.amdhsa_system_sgpr_workgroup_id_z 0
		.amdhsa_system_sgpr_workgroup_info 0
		.amdhsa_system_vgpr_workitem_id 0
		.amdhsa_next_free_vgpr 1
		.amdhsa_next_free_sgpr 0
		.amdhsa_reserve_vcc 0
		.amdhsa_reserve_flat_scratch 0
		.amdhsa_float_round_mode_32 0
		.amdhsa_float_round_mode_16_64 0
		.amdhsa_float_denorm_mode_32 3
		.amdhsa_float_denorm_mode_16_64 3
		.amdhsa_dx10_clamp 1
		.amdhsa_ieee_mode 1
		.amdhsa_fp16_overflow 0
		.amdhsa_exception_fp_ieee_invalid_op 0
		.amdhsa_exception_fp_denorm_src 0
		.amdhsa_exception_fp_ieee_div_zero 0
		.amdhsa_exception_fp_ieee_overflow 0
		.amdhsa_exception_fp_ieee_underflow 0
		.amdhsa_exception_fp_ieee_inexact 0
		.amdhsa_exception_int_div_zero 0
	.end_amdhsa_kernel
	.section	.text._ZN7rocprim17ROCPRIM_400000_NS6detail17trampoline_kernelINS0_13select_configILj256ELj13ELNS0_17block_load_methodE3ELS4_3ELS4_3ELNS0_20block_scan_algorithmE0ELj4294967295EEENS1_25partition_config_selectorILNS1_17partition_subalgoE4EjNS0_10empty_typeEbEEZZNS1_14partition_implILS8_4ELb0ES6_15HIP_vector_typeIjLj2EENS0_17counting_iteratorIjlEEPS9_SG_NS0_5tupleIJPjSI_NS0_16reverse_iteratorISI_EEEEENSH_IJSG_SG_SG_EEES9_SI_JZNS1_25segmented_radix_sort_implINS0_14default_configELb1EPKbPbPKlPlN2at6native12_GLOBAL__N_18offset_tEEE10hipError_tPvRmT1_PNSt15iterator_traitsIS12_E10value_typeET2_T3_PNS13_IS18_E10value_typeET4_jRbjT5_S1E_jjP12ihipStream_tbEUljE_ZNSN_ISO_Lb1ESQ_SR_ST_SU_SY_EESZ_S10_S11_S12_S16_S17_S18_S1B_S1C_jS1D_jS1E_S1E_jjS1G_bEUljE0_EEESZ_S10_S11_S18_S1C_S1E_T6_T7_T9_mT8_S1G_bDpT10_ENKUlT_T0_E_clISt17integral_constantIbLb1EES1T_IbLb0EEEEDaS1P_S1Q_EUlS1P_E_NS1_11comp_targetILNS1_3genE3ELNS1_11target_archE908ELNS1_3gpuE7ELNS1_3repE0EEENS1_30default_config_static_selectorELNS0_4arch9wavefront6targetE1EEEvS12_,"axG",@progbits,_ZN7rocprim17ROCPRIM_400000_NS6detail17trampoline_kernelINS0_13select_configILj256ELj13ELNS0_17block_load_methodE3ELS4_3ELS4_3ELNS0_20block_scan_algorithmE0ELj4294967295EEENS1_25partition_config_selectorILNS1_17partition_subalgoE4EjNS0_10empty_typeEbEEZZNS1_14partition_implILS8_4ELb0ES6_15HIP_vector_typeIjLj2EENS0_17counting_iteratorIjlEEPS9_SG_NS0_5tupleIJPjSI_NS0_16reverse_iteratorISI_EEEEENSH_IJSG_SG_SG_EEES9_SI_JZNS1_25segmented_radix_sort_implINS0_14default_configELb1EPKbPbPKlPlN2at6native12_GLOBAL__N_18offset_tEEE10hipError_tPvRmT1_PNSt15iterator_traitsIS12_E10value_typeET2_T3_PNS13_IS18_E10value_typeET4_jRbjT5_S1E_jjP12ihipStream_tbEUljE_ZNSN_ISO_Lb1ESQ_SR_ST_SU_SY_EESZ_S10_S11_S12_S16_S17_S18_S1B_S1C_jS1D_jS1E_S1E_jjS1G_bEUljE0_EEESZ_S10_S11_S18_S1C_S1E_T6_T7_T9_mT8_S1G_bDpT10_ENKUlT_T0_E_clISt17integral_constantIbLb1EES1T_IbLb0EEEEDaS1P_S1Q_EUlS1P_E_NS1_11comp_targetILNS1_3genE3ELNS1_11target_archE908ELNS1_3gpuE7ELNS1_3repE0EEENS1_30default_config_static_selectorELNS0_4arch9wavefront6targetE1EEEvS12_,comdat
.Lfunc_end1487:
	.size	_ZN7rocprim17ROCPRIM_400000_NS6detail17trampoline_kernelINS0_13select_configILj256ELj13ELNS0_17block_load_methodE3ELS4_3ELS4_3ELNS0_20block_scan_algorithmE0ELj4294967295EEENS1_25partition_config_selectorILNS1_17partition_subalgoE4EjNS0_10empty_typeEbEEZZNS1_14partition_implILS8_4ELb0ES6_15HIP_vector_typeIjLj2EENS0_17counting_iteratorIjlEEPS9_SG_NS0_5tupleIJPjSI_NS0_16reverse_iteratorISI_EEEEENSH_IJSG_SG_SG_EEES9_SI_JZNS1_25segmented_radix_sort_implINS0_14default_configELb1EPKbPbPKlPlN2at6native12_GLOBAL__N_18offset_tEEE10hipError_tPvRmT1_PNSt15iterator_traitsIS12_E10value_typeET2_T3_PNS13_IS18_E10value_typeET4_jRbjT5_S1E_jjP12ihipStream_tbEUljE_ZNSN_ISO_Lb1ESQ_SR_ST_SU_SY_EESZ_S10_S11_S12_S16_S17_S18_S1B_S1C_jS1D_jS1E_S1E_jjS1G_bEUljE0_EEESZ_S10_S11_S18_S1C_S1E_T6_T7_T9_mT8_S1G_bDpT10_ENKUlT_T0_E_clISt17integral_constantIbLb1EES1T_IbLb0EEEEDaS1P_S1Q_EUlS1P_E_NS1_11comp_targetILNS1_3genE3ELNS1_11target_archE908ELNS1_3gpuE7ELNS1_3repE0EEENS1_30default_config_static_selectorELNS0_4arch9wavefront6targetE1EEEvS12_, .Lfunc_end1487-_ZN7rocprim17ROCPRIM_400000_NS6detail17trampoline_kernelINS0_13select_configILj256ELj13ELNS0_17block_load_methodE3ELS4_3ELS4_3ELNS0_20block_scan_algorithmE0ELj4294967295EEENS1_25partition_config_selectorILNS1_17partition_subalgoE4EjNS0_10empty_typeEbEEZZNS1_14partition_implILS8_4ELb0ES6_15HIP_vector_typeIjLj2EENS0_17counting_iteratorIjlEEPS9_SG_NS0_5tupleIJPjSI_NS0_16reverse_iteratorISI_EEEEENSH_IJSG_SG_SG_EEES9_SI_JZNS1_25segmented_radix_sort_implINS0_14default_configELb1EPKbPbPKlPlN2at6native12_GLOBAL__N_18offset_tEEE10hipError_tPvRmT1_PNSt15iterator_traitsIS12_E10value_typeET2_T3_PNS13_IS18_E10value_typeET4_jRbjT5_S1E_jjP12ihipStream_tbEUljE_ZNSN_ISO_Lb1ESQ_SR_ST_SU_SY_EESZ_S10_S11_S12_S16_S17_S18_S1B_S1C_jS1D_jS1E_S1E_jjS1G_bEUljE0_EEESZ_S10_S11_S18_S1C_S1E_T6_T7_T9_mT8_S1G_bDpT10_ENKUlT_T0_E_clISt17integral_constantIbLb1EES1T_IbLb0EEEEDaS1P_S1Q_EUlS1P_E_NS1_11comp_targetILNS1_3genE3ELNS1_11target_archE908ELNS1_3gpuE7ELNS1_3repE0EEENS1_30default_config_static_selectorELNS0_4arch9wavefront6targetE1EEEvS12_
                                        ; -- End function
	.set _ZN7rocprim17ROCPRIM_400000_NS6detail17trampoline_kernelINS0_13select_configILj256ELj13ELNS0_17block_load_methodE3ELS4_3ELS4_3ELNS0_20block_scan_algorithmE0ELj4294967295EEENS1_25partition_config_selectorILNS1_17partition_subalgoE4EjNS0_10empty_typeEbEEZZNS1_14partition_implILS8_4ELb0ES6_15HIP_vector_typeIjLj2EENS0_17counting_iteratorIjlEEPS9_SG_NS0_5tupleIJPjSI_NS0_16reverse_iteratorISI_EEEEENSH_IJSG_SG_SG_EEES9_SI_JZNS1_25segmented_radix_sort_implINS0_14default_configELb1EPKbPbPKlPlN2at6native12_GLOBAL__N_18offset_tEEE10hipError_tPvRmT1_PNSt15iterator_traitsIS12_E10value_typeET2_T3_PNS13_IS18_E10value_typeET4_jRbjT5_S1E_jjP12ihipStream_tbEUljE_ZNSN_ISO_Lb1ESQ_SR_ST_SU_SY_EESZ_S10_S11_S12_S16_S17_S18_S1B_S1C_jS1D_jS1E_S1E_jjS1G_bEUljE0_EEESZ_S10_S11_S18_S1C_S1E_T6_T7_T9_mT8_S1G_bDpT10_ENKUlT_T0_E_clISt17integral_constantIbLb1EES1T_IbLb0EEEEDaS1P_S1Q_EUlS1P_E_NS1_11comp_targetILNS1_3genE3ELNS1_11target_archE908ELNS1_3gpuE7ELNS1_3repE0EEENS1_30default_config_static_selectorELNS0_4arch9wavefront6targetE1EEEvS12_.num_vgpr, 0
	.set _ZN7rocprim17ROCPRIM_400000_NS6detail17trampoline_kernelINS0_13select_configILj256ELj13ELNS0_17block_load_methodE3ELS4_3ELS4_3ELNS0_20block_scan_algorithmE0ELj4294967295EEENS1_25partition_config_selectorILNS1_17partition_subalgoE4EjNS0_10empty_typeEbEEZZNS1_14partition_implILS8_4ELb0ES6_15HIP_vector_typeIjLj2EENS0_17counting_iteratorIjlEEPS9_SG_NS0_5tupleIJPjSI_NS0_16reverse_iteratorISI_EEEEENSH_IJSG_SG_SG_EEES9_SI_JZNS1_25segmented_radix_sort_implINS0_14default_configELb1EPKbPbPKlPlN2at6native12_GLOBAL__N_18offset_tEEE10hipError_tPvRmT1_PNSt15iterator_traitsIS12_E10value_typeET2_T3_PNS13_IS18_E10value_typeET4_jRbjT5_S1E_jjP12ihipStream_tbEUljE_ZNSN_ISO_Lb1ESQ_SR_ST_SU_SY_EESZ_S10_S11_S12_S16_S17_S18_S1B_S1C_jS1D_jS1E_S1E_jjS1G_bEUljE0_EEESZ_S10_S11_S18_S1C_S1E_T6_T7_T9_mT8_S1G_bDpT10_ENKUlT_T0_E_clISt17integral_constantIbLb1EES1T_IbLb0EEEEDaS1P_S1Q_EUlS1P_E_NS1_11comp_targetILNS1_3genE3ELNS1_11target_archE908ELNS1_3gpuE7ELNS1_3repE0EEENS1_30default_config_static_selectorELNS0_4arch9wavefront6targetE1EEEvS12_.num_agpr, 0
	.set _ZN7rocprim17ROCPRIM_400000_NS6detail17trampoline_kernelINS0_13select_configILj256ELj13ELNS0_17block_load_methodE3ELS4_3ELS4_3ELNS0_20block_scan_algorithmE0ELj4294967295EEENS1_25partition_config_selectorILNS1_17partition_subalgoE4EjNS0_10empty_typeEbEEZZNS1_14partition_implILS8_4ELb0ES6_15HIP_vector_typeIjLj2EENS0_17counting_iteratorIjlEEPS9_SG_NS0_5tupleIJPjSI_NS0_16reverse_iteratorISI_EEEEENSH_IJSG_SG_SG_EEES9_SI_JZNS1_25segmented_radix_sort_implINS0_14default_configELb1EPKbPbPKlPlN2at6native12_GLOBAL__N_18offset_tEEE10hipError_tPvRmT1_PNSt15iterator_traitsIS12_E10value_typeET2_T3_PNS13_IS18_E10value_typeET4_jRbjT5_S1E_jjP12ihipStream_tbEUljE_ZNSN_ISO_Lb1ESQ_SR_ST_SU_SY_EESZ_S10_S11_S12_S16_S17_S18_S1B_S1C_jS1D_jS1E_S1E_jjS1G_bEUljE0_EEESZ_S10_S11_S18_S1C_S1E_T6_T7_T9_mT8_S1G_bDpT10_ENKUlT_T0_E_clISt17integral_constantIbLb1EES1T_IbLb0EEEEDaS1P_S1Q_EUlS1P_E_NS1_11comp_targetILNS1_3genE3ELNS1_11target_archE908ELNS1_3gpuE7ELNS1_3repE0EEENS1_30default_config_static_selectorELNS0_4arch9wavefront6targetE1EEEvS12_.numbered_sgpr, 0
	.set _ZN7rocprim17ROCPRIM_400000_NS6detail17trampoline_kernelINS0_13select_configILj256ELj13ELNS0_17block_load_methodE3ELS4_3ELS4_3ELNS0_20block_scan_algorithmE0ELj4294967295EEENS1_25partition_config_selectorILNS1_17partition_subalgoE4EjNS0_10empty_typeEbEEZZNS1_14partition_implILS8_4ELb0ES6_15HIP_vector_typeIjLj2EENS0_17counting_iteratorIjlEEPS9_SG_NS0_5tupleIJPjSI_NS0_16reverse_iteratorISI_EEEEENSH_IJSG_SG_SG_EEES9_SI_JZNS1_25segmented_radix_sort_implINS0_14default_configELb1EPKbPbPKlPlN2at6native12_GLOBAL__N_18offset_tEEE10hipError_tPvRmT1_PNSt15iterator_traitsIS12_E10value_typeET2_T3_PNS13_IS18_E10value_typeET4_jRbjT5_S1E_jjP12ihipStream_tbEUljE_ZNSN_ISO_Lb1ESQ_SR_ST_SU_SY_EESZ_S10_S11_S12_S16_S17_S18_S1B_S1C_jS1D_jS1E_S1E_jjS1G_bEUljE0_EEESZ_S10_S11_S18_S1C_S1E_T6_T7_T9_mT8_S1G_bDpT10_ENKUlT_T0_E_clISt17integral_constantIbLb1EES1T_IbLb0EEEEDaS1P_S1Q_EUlS1P_E_NS1_11comp_targetILNS1_3genE3ELNS1_11target_archE908ELNS1_3gpuE7ELNS1_3repE0EEENS1_30default_config_static_selectorELNS0_4arch9wavefront6targetE1EEEvS12_.num_named_barrier, 0
	.set _ZN7rocprim17ROCPRIM_400000_NS6detail17trampoline_kernelINS0_13select_configILj256ELj13ELNS0_17block_load_methodE3ELS4_3ELS4_3ELNS0_20block_scan_algorithmE0ELj4294967295EEENS1_25partition_config_selectorILNS1_17partition_subalgoE4EjNS0_10empty_typeEbEEZZNS1_14partition_implILS8_4ELb0ES6_15HIP_vector_typeIjLj2EENS0_17counting_iteratorIjlEEPS9_SG_NS0_5tupleIJPjSI_NS0_16reverse_iteratorISI_EEEEENSH_IJSG_SG_SG_EEES9_SI_JZNS1_25segmented_radix_sort_implINS0_14default_configELb1EPKbPbPKlPlN2at6native12_GLOBAL__N_18offset_tEEE10hipError_tPvRmT1_PNSt15iterator_traitsIS12_E10value_typeET2_T3_PNS13_IS18_E10value_typeET4_jRbjT5_S1E_jjP12ihipStream_tbEUljE_ZNSN_ISO_Lb1ESQ_SR_ST_SU_SY_EESZ_S10_S11_S12_S16_S17_S18_S1B_S1C_jS1D_jS1E_S1E_jjS1G_bEUljE0_EEESZ_S10_S11_S18_S1C_S1E_T6_T7_T9_mT8_S1G_bDpT10_ENKUlT_T0_E_clISt17integral_constantIbLb1EES1T_IbLb0EEEEDaS1P_S1Q_EUlS1P_E_NS1_11comp_targetILNS1_3genE3ELNS1_11target_archE908ELNS1_3gpuE7ELNS1_3repE0EEENS1_30default_config_static_selectorELNS0_4arch9wavefront6targetE1EEEvS12_.private_seg_size, 0
	.set _ZN7rocprim17ROCPRIM_400000_NS6detail17trampoline_kernelINS0_13select_configILj256ELj13ELNS0_17block_load_methodE3ELS4_3ELS4_3ELNS0_20block_scan_algorithmE0ELj4294967295EEENS1_25partition_config_selectorILNS1_17partition_subalgoE4EjNS0_10empty_typeEbEEZZNS1_14partition_implILS8_4ELb0ES6_15HIP_vector_typeIjLj2EENS0_17counting_iteratorIjlEEPS9_SG_NS0_5tupleIJPjSI_NS0_16reverse_iteratorISI_EEEEENSH_IJSG_SG_SG_EEES9_SI_JZNS1_25segmented_radix_sort_implINS0_14default_configELb1EPKbPbPKlPlN2at6native12_GLOBAL__N_18offset_tEEE10hipError_tPvRmT1_PNSt15iterator_traitsIS12_E10value_typeET2_T3_PNS13_IS18_E10value_typeET4_jRbjT5_S1E_jjP12ihipStream_tbEUljE_ZNSN_ISO_Lb1ESQ_SR_ST_SU_SY_EESZ_S10_S11_S12_S16_S17_S18_S1B_S1C_jS1D_jS1E_S1E_jjS1G_bEUljE0_EEESZ_S10_S11_S18_S1C_S1E_T6_T7_T9_mT8_S1G_bDpT10_ENKUlT_T0_E_clISt17integral_constantIbLb1EES1T_IbLb0EEEEDaS1P_S1Q_EUlS1P_E_NS1_11comp_targetILNS1_3genE3ELNS1_11target_archE908ELNS1_3gpuE7ELNS1_3repE0EEENS1_30default_config_static_selectorELNS0_4arch9wavefront6targetE1EEEvS12_.uses_vcc, 0
	.set _ZN7rocprim17ROCPRIM_400000_NS6detail17trampoline_kernelINS0_13select_configILj256ELj13ELNS0_17block_load_methodE3ELS4_3ELS4_3ELNS0_20block_scan_algorithmE0ELj4294967295EEENS1_25partition_config_selectorILNS1_17partition_subalgoE4EjNS0_10empty_typeEbEEZZNS1_14partition_implILS8_4ELb0ES6_15HIP_vector_typeIjLj2EENS0_17counting_iteratorIjlEEPS9_SG_NS0_5tupleIJPjSI_NS0_16reverse_iteratorISI_EEEEENSH_IJSG_SG_SG_EEES9_SI_JZNS1_25segmented_radix_sort_implINS0_14default_configELb1EPKbPbPKlPlN2at6native12_GLOBAL__N_18offset_tEEE10hipError_tPvRmT1_PNSt15iterator_traitsIS12_E10value_typeET2_T3_PNS13_IS18_E10value_typeET4_jRbjT5_S1E_jjP12ihipStream_tbEUljE_ZNSN_ISO_Lb1ESQ_SR_ST_SU_SY_EESZ_S10_S11_S12_S16_S17_S18_S1B_S1C_jS1D_jS1E_S1E_jjS1G_bEUljE0_EEESZ_S10_S11_S18_S1C_S1E_T6_T7_T9_mT8_S1G_bDpT10_ENKUlT_T0_E_clISt17integral_constantIbLb1EES1T_IbLb0EEEEDaS1P_S1Q_EUlS1P_E_NS1_11comp_targetILNS1_3genE3ELNS1_11target_archE908ELNS1_3gpuE7ELNS1_3repE0EEENS1_30default_config_static_selectorELNS0_4arch9wavefront6targetE1EEEvS12_.uses_flat_scratch, 0
	.set _ZN7rocprim17ROCPRIM_400000_NS6detail17trampoline_kernelINS0_13select_configILj256ELj13ELNS0_17block_load_methodE3ELS4_3ELS4_3ELNS0_20block_scan_algorithmE0ELj4294967295EEENS1_25partition_config_selectorILNS1_17partition_subalgoE4EjNS0_10empty_typeEbEEZZNS1_14partition_implILS8_4ELb0ES6_15HIP_vector_typeIjLj2EENS0_17counting_iteratorIjlEEPS9_SG_NS0_5tupleIJPjSI_NS0_16reverse_iteratorISI_EEEEENSH_IJSG_SG_SG_EEES9_SI_JZNS1_25segmented_radix_sort_implINS0_14default_configELb1EPKbPbPKlPlN2at6native12_GLOBAL__N_18offset_tEEE10hipError_tPvRmT1_PNSt15iterator_traitsIS12_E10value_typeET2_T3_PNS13_IS18_E10value_typeET4_jRbjT5_S1E_jjP12ihipStream_tbEUljE_ZNSN_ISO_Lb1ESQ_SR_ST_SU_SY_EESZ_S10_S11_S12_S16_S17_S18_S1B_S1C_jS1D_jS1E_S1E_jjS1G_bEUljE0_EEESZ_S10_S11_S18_S1C_S1E_T6_T7_T9_mT8_S1G_bDpT10_ENKUlT_T0_E_clISt17integral_constantIbLb1EES1T_IbLb0EEEEDaS1P_S1Q_EUlS1P_E_NS1_11comp_targetILNS1_3genE3ELNS1_11target_archE908ELNS1_3gpuE7ELNS1_3repE0EEENS1_30default_config_static_selectorELNS0_4arch9wavefront6targetE1EEEvS12_.has_dyn_sized_stack, 0
	.set _ZN7rocprim17ROCPRIM_400000_NS6detail17trampoline_kernelINS0_13select_configILj256ELj13ELNS0_17block_load_methodE3ELS4_3ELS4_3ELNS0_20block_scan_algorithmE0ELj4294967295EEENS1_25partition_config_selectorILNS1_17partition_subalgoE4EjNS0_10empty_typeEbEEZZNS1_14partition_implILS8_4ELb0ES6_15HIP_vector_typeIjLj2EENS0_17counting_iteratorIjlEEPS9_SG_NS0_5tupleIJPjSI_NS0_16reverse_iteratorISI_EEEEENSH_IJSG_SG_SG_EEES9_SI_JZNS1_25segmented_radix_sort_implINS0_14default_configELb1EPKbPbPKlPlN2at6native12_GLOBAL__N_18offset_tEEE10hipError_tPvRmT1_PNSt15iterator_traitsIS12_E10value_typeET2_T3_PNS13_IS18_E10value_typeET4_jRbjT5_S1E_jjP12ihipStream_tbEUljE_ZNSN_ISO_Lb1ESQ_SR_ST_SU_SY_EESZ_S10_S11_S12_S16_S17_S18_S1B_S1C_jS1D_jS1E_S1E_jjS1G_bEUljE0_EEESZ_S10_S11_S18_S1C_S1E_T6_T7_T9_mT8_S1G_bDpT10_ENKUlT_T0_E_clISt17integral_constantIbLb1EES1T_IbLb0EEEEDaS1P_S1Q_EUlS1P_E_NS1_11comp_targetILNS1_3genE3ELNS1_11target_archE908ELNS1_3gpuE7ELNS1_3repE0EEENS1_30default_config_static_selectorELNS0_4arch9wavefront6targetE1EEEvS12_.has_recursion, 0
	.set _ZN7rocprim17ROCPRIM_400000_NS6detail17trampoline_kernelINS0_13select_configILj256ELj13ELNS0_17block_load_methodE3ELS4_3ELS4_3ELNS0_20block_scan_algorithmE0ELj4294967295EEENS1_25partition_config_selectorILNS1_17partition_subalgoE4EjNS0_10empty_typeEbEEZZNS1_14partition_implILS8_4ELb0ES6_15HIP_vector_typeIjLj2EENS0_17counting_iteratorIjlEEPS9_SG_NS0_5tupleIJPjSI_NS0_16reverse_iteratorISI_EEEEENSH_IJSG_SG_SG_EEES9_SI_JZNS1_25segmented_radix_sort_implINS0_14default_configELb1EPKbPbPKlPlN2at6native12_GLOBAL__N_18offset_tEEE10hipError_tPvRmT1_PNSt15iterator_traitsIS12_E10value_typeET2_T3_PNS13_IS18_E10value_typeET4_jRbjT5_S1E_jjP12ihipStream_tbEUljE_ZNSN_ISO_Lb1ESQ_SR_ST_SU_SY_EESZ_S10_S11_S12_S16_S17_S18_S1B_S1C_jS1D_jS1E_S1E_jjS1G_bEUljE0_EEESZ_S10_S11_S18_S1C_S1E_T6_T7_T9_mT8_S1G_bDpT10_ENKUlT_T0_E_clISt17integral_constantIbLb1EES1T_IbLb0EEEEDaS1P_S1Q_EUlS1P_E_NS1_11comp_targetILNS1_3genE3ELNS1_11target_archE908ELNS1_3gpuE7ELNS1_3repE0EEENS1_30default_config_static_selectorELNS0_4arch9wavefront6targetE1EEEvS12_.has_indirect_call, 0
	.section	.AMDGPU.csdata,"",@progbits
; Kernel info:
; codeLenInByte = 0
; TotalNumSgprs: 4
; NumVgprs: 0
; ScratchSize: 0
; MemoryBound: 0
; FloatMode: 240
; IeeeMode: 1
; LDSByteSize: 0 bytes/workgroup (compile time only)
; SGPRBlocks: 0
; VGPRBlocks: 0
; NumSGPRsForWavesPerEU: 4
; NumVGPRsForWavesPerEU: 1
; Occupancy: 10
; WaveLimiterHint : 0
; COMPUTE_PGM_RSRC2:SCRATCH_EN: 0
; COMPUTE_PGM_RSRC2:USER_SGPR: 6
; COMPUTE_PGM_RSRC2:TRAP_HANDLER: 0
; COMPUTE_PGM_RSRC2:TGID_X_EN: 1
; COMPUTE_PGM_RSRC2:TGID_Y_EN: 0
; COMPUTE_PGM_RSRC2:TGID_Z_EN: 0
; COMPUTE_PGM_RSRC2:TIDIG_COMP_CNT: 0
	.section	.text._ZN7rocprim17ROCPRIM_400000_NS6detail17trampoline_kernelINS0_13select_configILj256ELj13ELNS0_17block_load_methodE3ELS4_3ELS4_3ELNS0_20block_scan_algorithmE0ELj4294967295EEENS1_25partition_config_selectorILNS1_17partition_subalgoE4EjNS0_10empty_typeEbEEZZNS1_14partition_implILS8_4ELb0ES6_15HIP_vector_typeIjLj2EENS0_17counting_iteratorIjlEEPS9_SG_NS0_5tupleIJPjSI_NS0_16reverse_iteratorISI_EEEEENSH_IJSG_SG_SG_EEES9_SI_JZNS1_25segmented_radix_sort_implINS0_14default_configELb1EPKbPbPKlPlN2at6native12_GLOBAL__N_18offset_tEEE10hipError_tPvRmT1_PNSt15iterator_traitsIS12_E10value_typeET2_T3_PNS13_IS18_E10value_typeET4_jRbjT5_S1E_jjP12ihipStream_tbEUljE_ZNSN_ISO_Lb1ESQ_SR_ST_SU_SY_EESZ_S10_S11_S12_S16_S17_S18_S1B_S1C_jS1D_jS1E_S1E_jjS1G_bEUljE0_EEESZ_S10_S11_S18_S1C_S1E_T6_T7_T9_mT8_S1G_bDpT10_ENKUlT_T0_E_clISt17integral_constantIbLb1EES1T_IbLb0EEEEDaS1P_S1Q_EUlS1P_E_NS1_11comp_targetILNS1_3genE2ELNS1_11target_archE906ELNS1_3gpuE6ELNS1_3repE0EEENS1_30default_config_static_selectorELNS0_4arch9wavefront6targetE1EEEvS12_,"axG",@progbits,_ZN7rocprim17ROCPRIM_400000_NS6detail17trampoline_kernelINS0_13select_configILj256ELj13ELNS0_17block_load_methodE3ELS4_3ELS4_3ELNS0_20block_scan_algorithmE0ELj4294967295EEENS1_25partition_config_selectorILNS1_17partition_subalgoE4EjNS0_10empty_typeEbEEZZNS1_14partition_implILS8_4ELb0ES6_15HIP_vector_typeIjLj2EENS0_17counting_iteratorIjlEEPS9_SG_NS0_5tupleIJPjSI_NS0_16reverse_iteratorISI_EEEEENSH_IJSG_SG_SG_EEES9_SI_JZNS1_25segmented_radix_sort_implINS0_14default_configELb1EPKbPbPKlPlN2at6native12_GLOBAL__N_18offset_tEEE10hipError_tPvRmT1_PNSt15iterator_traitsIS12_E10value_typeET2_T3_PNS13_IS18_E10value_typeET4_jRbjT5_S1E_jjP12ihipStream_tbEUljE_ZNSN_ISO_Lb1ESQ_SR_ST_SU_SY_EESZ_S10_S11_S12_S16_S17_S18_S1B_S1C_jS1D_jS1E_S1E_jjS1G_bEUljE0_EEESZ_S10_S11_S18_S1C_S1E_T6_T7_T9_mT8_S1G_bDpT10_ENKUlT_T0_E_clISt17integral_constantIbLb1EES1T_IbLb0EEEEDaS1P_S1Q_EUlS1P_E_NS1_11comp_targetILNS1_3genE2ELNS1_11target_archE906ELNS1_3gpuE6ELNS1_3repE0EEENS1_30default_config_static_selectorELNS0_4arch9wavefront6targetE1EEEvS12_,comdat
	.globl	_ZN7rocprim17ROCPRIM_400000_NS6detail17trampoline_kernelINS0_13select_configILj256ELj13ELNS0_17block_load_methodE3ELS4_3ELS4_3ELNS0_20block_scan_algorithmE0ELj4294967295EEENS1_25partition_config_selectorILNS1_17partition_subalgoE4EjNS0_10empty_typeEbEEZZNS1_14partition_implILS8_4ELb0ES6_15HIP_vector_typeIjLj2EENS0_17counting_iteratorIjlEEPS9_SG_NS0_5tupleIJPjSI_NS0_16reverse_iteratorISI_EEEEENSH_IJSG_SG_SG_EEES9_SI_JZNS1_25segmented_radix_sort_implINS0_14default_configELb1EPKbPbPKlPlN2at6native12_GLOBAL__N_18offset_tEEE10hipError_tPvRmT1_PNSt15iterator_traitsIS12_E10value_typeET2_T3_PNS13_IS18_E10value_typeET4_jRbjT5_S1E_jjP12ihipStream_tbEUljE_ZNSN_ISO_Lb1ESQ_SR_ST_SU_SY_EESZ_S10_S11_S12_S16_S17_S18_S1B_S1C_jS1D_jS1E_S1E_jjS1G_bEUljE0_EEESZ_S10_S11_S18_S1C_S1E_T6_T7_T9_mT8_S1G_bDpT10_ENKUlT_T0_E_clISt17integral_constantIbLb1EES1T_IbLb0EEEEDaS1P_S1Q_EUlS1P_E_NS1_11comp_targetILNS1_3genE2ELNS1_11target_archE906ELNS1_3gpuE6ELNS1_3repE0EEENS1_30default_config_static_selectorELNS0_4arch9wavefront6targetE1EEEvS12_ ; -- Begin function _ZN7rocprim17ROCPRIM_400000_NS6detail17trampoline_kernelINS0_13select_configILj256ELj13ELNS0_17block_load_methodE3ELS4_3ELS4_3ELNS0_20block_scan_algorithmE0ELj4294967295EEENS1_25partition_config_selectorILNS1_17partition_subalgoE4EjNS0_10empty_typeEbEEZZNS1_14partition_implILS8_4ELb0ES6_15HIP_vector_typeIjLj2EENS0_17counting_iteratorIjlEEPS9_SG_NS0_5tupleIJPjSI_NS0_16reverse_iteratorISI_EEEEENSH_IJSG_SG_SG_EEES9_SI_JZNS1_25segmented_radix_sort_implINS0_14default_configELb1EPKbPbPKlPlN2at6native12_GLOBAL__N_18offset_tEEE10hipError_tPvRmT1_PNSt15iterator_traitsIS12_E10value_typeET2_T3_PNS13_IS18_E10value_typeET4_jRbjT5_S1E_jjP12ihipStream_tbEUljE_ZNSN_ISO_Lb1ESQ_SR_ST_SU_SY_EESZ_S10_S11_S12_S16_S17_S18_S1B_S1C_jS1D_jS1E_S1E_jjS1G_bEUljE0_EEESZ_S10_S11_S18_S1C_S1E_T6_T7_T9_mT8_S1G_bDpT10_ENKUlT_T0_E_clISt17integral_constantIbLb1EES1T_IbLb0EEEEDaS1P_S1Q_EUlS1P_E_NS1_11comp_targetILNS1_3genE2ELNS1_11target_archE906ELNS1_3gpuE6ELNS1_3repE0EEENS1_30default_config_static_selectorELNS0_4arch9wavefront6targetE1EEEvS12_
	.p2align	8
	.type	_ZN7rocprim17ROCPRIM_400000_NS6detail17trampoline_kernelINS0_13select_configILj256ELj13ELNS0_17block_load_methodE3ELS4_3ELS4_3ELNS0_20block_scan_algorithmE0ELj4294967295EEENS1_25partition_config_selectorILNS1_17partition_subalgoE4EjNS0_10empty_typeEbEEZZNS1_14partition_implILS8_4ELb0ES6_15HIP_vector_typeIjLj2EENS0_17counting_iteratorIjlEEPS9_SG_NS0_5tupleIJPjSI_NS0_16reverse_iteratorISI_EEEEENSH_IJSG_SG_SG_EEES9_SI_JZNS1_25segmented_radix_sort_implINS0_14default_configELb1EPKbPbPKlPlN2at6native12_GLOBAL__N_18offset_tEEE10hipError_tPvRmT1_PNSt15iterator_traitsIS12_E10value_typeET2_T3_PNS13_IS18_E10value_typeET4_jRbjT5_S1E_jjP12ihipStream_tbEUljE_ZNSN_ISO_Lb1ESQ_SR_ST_SU_SY_EESZ_S10_S11_S12_S16_S17_S18_S1B_S1C_jS1D_jS1E_S1E_jjS1G_bEUljE0_EEESZ_S10_S11_S18_S1C_S1E_T6_T7_T9_mT8_S1G_bDpT10_ENKUlT_T0_E_clISt17integral_constantIbLb1EES1T_IbLb0EEEEDaS1P_S1Q_EUlS1P_E_NS1_11comp_targetILNS1_3genE2ELNS1_11target_archE906ELNS1_3gpuE6ELNS1_3repE0EEENS1_30default_config_static_selectorELNS0_4arch9wavefront6targetE1EEEvS12_,@function
_ZN7rocprim17ROCPRIM_400000_NS6detail17trampoline_kernelINS0_13select_configILj256ELj13ELNS0_17block_load_methodE3ELS4_3ELS4_3ELNS0_20block_scan_algorithmE0ELj4294967295EEENS1_25partition_config_selectorILNS1_17partition_subalgoE4EjNS0_10empty_typeEbEEZZNS1_14partition_implILS8_4ELb0ES6_15HIP_vector_typeIjLj2EENS0_17counting_iteratorIjlEEPS9_SG_NS0_5tupleIJPjSI_NS0_16reverse_iteratorISI_EEEEENSH_IJSG_SG_SG_EEES9_SI_JZNS1_25segmented_radix_sort_implINS0_14default_configELb1EPKbPbPKlPlN2at6native12_GLOBAL__N_18offset_tEEE10hipError_tPvRmT1_PNSt15iterator_traitsIS12_E10value_typeET2_T3_PNS13_IS18_E10value_typeET4_jRbjT5_S1E_jjP12ihipStream_tbEUljE_ZNSN_ISO_Lb1ESQ_SR_ST_SU_SY_EESZ_S10_S11_S12_S16_S17_S18_S1B_S1C_jS1D_jS1E_S1E_jjS1G_bEUljE0_EEESZ_S10_S11_S18_S1C_S1E_T6_T7_T9_mT8_S1G_bDpT10_ENKUlT_T0_E_clISt17integral_constantIbLb1EES1T_IbLb0EEEEDaS1P_S1Q_EUlS1P_E_NS1_11comp_targetILNS1_3genE2ELNS1_11target_archE906ELNS1_3gpuE6ELNS1_3repE0EEENS1_30default_config_static_selectorELNS0_4arch9wavefront6targetE1EEEvS12_: ; @_ZN7rocprim17ROCPRIM_400000_NS6detail17trampoline_kernelINS0_13select_configILj256ELj13ELNS0_17block_load_methodE3ELS4_3ELS4_3ELNS0_20block_scan_algorithmE0ELj4294967295EEENS1_25partition_config_selectorILNS1_17partition_subalgoE4EjNS0_10empty_typeEbEEZZNS1_14partition_implILS8_4ELb0ES6_15HIP_vector_typeIjLj2EENS0_17counting_iteratorIjlEEPS9_SG_NS0_5tupleIJPjSI_NS0_16reverse_iteratorISI_EEEEENSH_IJSG_SG_SG_EEES9_SI_JZNS1_25segmented_radix_sort_implINS0_14default_configELb1EPKbPbPKlPlN2at6native12_GLOBAL__N_18offset_tEEE10hipError_tPvRmT1_PNSt15iterator_traitsIS12_E10value_typeET2_T3_PNS13_IS18_E10value_typeET4_jRbjT5_S1E_jjP12ihipStream_tbEUljE_ZNSN_ISO_Lb1ESQ_SR_ST_SU_SY_EESZ_S10_S11_S12_S16_S17_S18_S1B_S1C_jS1D_jS1E_S1E_jjS1G_bEUljE0_EEESZ_S10_S11_S18_S1C_S1E_T6_T7_T9_mT8_S1G_bDpT10_ENKUlT_T0_E_clISt17integral_constantIbLb1EES1T_IbLb0EEEEDaS1P_S1Q_EUlS1P_E_NS1_11comp_targetILNS1_3genE2ELNS1_11target_archE906ELNS1_3gpuE6ELNS1_3repE0EEENS1_30default_config_static_selectorELNS0_4arch9wavefront6targetE1EEEvS12_
; %bb.0:
	s_endpgm
	.section	.rodata,"a",@progbits
	.p2align	6, 0x0
	.amdhsa_kernel _ZN7rocprim17ROCPRIM_400000_NS6detail17trampoline_kernelINS0_13select_configILj256ELj13ELNS0_17block_load_methodE3ELS4_3ELS4_3ELNS0_20block_scan_algorithmE0ELj4294967295EEENS1_25partition_config_selectorILNS1_17partition_subalgoE4EjNS0_10empty_typeEbEEZZNS1_14partition_implILS8_4ELb0ES6_15HIP_vector_typeIjLj2EENS0_17counting_iteratorIjlEEPS9_SG_NS0_5tupleIJPjSI_NS0_16reverse_iteratorISI_EEEEENSH_IJSG_SG_SG_EEES9_SI_JZNS1_25segmented_radix_sort_implINS0_14default_configELb1EPKbPbPKlPlN2at6native12_GLOBAL__N_18offset_tEEE10hipError_tPvRmT1_PNSt15iterator_traitsIS12_E10value_typeET2_T3_PNS13_IS18_E10value_typeET4_jRbjT5_S1E_jjP12ihipStream_tbEUljE_ZNSN_ISO_Lb1ESQ_SR_ST_SU_SY_EESZ_S10_S11_S12_S16_S17_S18_S1B_S1C_jS1D_jS1E_S1E_jjS1G_bEUljE0_EEESZ_S10_S11_S18_S1C_S1E_T6_T7_T9_mT8_S1G_bDpT10_ENKUlT_T0_E_clISt17integral_constantIbLb1EES1T_IbLb0EEEEDaS1P_S1Q_EUlS1P_E_NS1_11comp_targetILNS1_3genE2ELNS1_11target_archE906ELNS1_3gpuE6ELNS1_3repE0EEENS1_30default_config_static_selectorELNS0_4arch9wavefront6targetE1EEEvS12_
		.amdhsa_group_segment_fixed_size 0
		.amdhsa_private_segment_fixed_size 0
		.amdhsa_kernarg_size 176
		.amdhsa_user_sgpr_count 6
		.amdhsa_user_sgpr_private_segment_buffer 1
		.amdhsa_user_sgpr_dispatch_ptr 0
		.amdhsa_user_sgpr_queue_ptr 0
		.amdhsa_user_sgpr_kernarg_segment_ptr 1
		.amdhsa_user_sgpr_dispatch_id 0
		.amdhsa_user_sgpr_flat_scratch_init 0
		.amdhsa_user_sgpr_private_segment_size 0
		.amdhsa_uses_dynamic_stack 0
		.amdhsa_system_sgpr_private_segment_wavefront_offset 0
		.amdhsa_system_sgpr_workgroup_id_x 1
		.amdhsa_system_sgpr_workgroup_id_y 0
		.amdhsa_system_sgpr_workgroup_id_z 0
		.amdhsa_system_sgpr_workgroup_info 0
		.amdhsa_system_vgpr_workitem_id 0
		.amdhsa_next_free_vgpr 1
		.amdhsa_next_free_sgpr 0
		.amdhsa_reserve_vcc 0
		.amdhsa_reserve_flat_scratch 0
		.amdhsa_float_round_mode_32 0
		.amdhsa_float_round_mode_16_64 0
		.amdhsa_float_denorm_mode_32 3
		.amdhsa_float_denorm_mode_16_64 3
		.amdhsa_dx10_clamp 1
		.amdhsa_ieee_mode 1
		.amdhsa_fp16_overflow 0
		.amdhsa_exception_fp_ieee_invalid_op 0
		.amdhsa_exception_fp_denorm_src 0
		.amdhsa_exception_fp_ieee_div_zero 0
		.amdhsa_exception_fp_ieee_overflow 0
		.amdhsa_exception_fp_ieee_underflow 0
		.amdhsa_exception_fp_ieee_inexact 0
		.amdhsa_exception_int_div_zero 0
	.end_amdhsa_kernel
	.section	.text._ZN7rocprim17ROCPRIM_400000_NS6detail17trampoline_kernelINS0_13select_configILj256ELj13ELNS0_17block_load_methodE3ELS4_3ELS4_3ELNS0_20block_scan_algorithmE0ELj4294967295EEENS1_25partition_config_selectorILNS1_17partition_subalgoE4EjNS0_10empty_typeEbEEZZNS1_14partition_implILS8_4ELb0ES6_15HIP_vector_typeIjLj2EENS0_17counting_iteratorIjlEEPS9_SG_NS0_5tupleIJPjSI_NS0_16reverse_iteratorISI_EEEEENSH_IJSG_SG_SG_EEES9_SI_JZNS1_25segmented_radix_sort_implINS0_14default_configELb1EPKbPbPKlPlN2at6native12_GLOBAL__N_18offset_tEEE10hipError_tPvRmT1_PNSt15iterator_traitsIS12_E10value_typeET2_T3_PNS13_IS18_E10value_typeET4_jRbjT5_S1E_jjP12ihipStream_tbEUljE_ZNSN_ISO_Lb1ESQ_SR_ST_SU_SY_EESZ_S10_S11_S12_S16_S17_S18_S1B_S1C_jS1D_jS1E_S1E_jjS1G_bEUljE0_EEESZ_S10_S11_S18_S1C_S1E_T6_T7_T9_mT8_S1G_bDpT10_ENKUlT_T0_E_clISt17integral_constantIbLb1EES1T_IbLb0EEEEDaS1P_S1Q_EUlS1P_E_NS1_11comp_targetILNS1_3genE2ELNS1_11target_archE906ELNS1_3gpuE6ELNS1_3repE0EEENS1_30default_config_static_selectorELNS0_4arch9wavefront6targetE1EEEvS12_,"axG",@progbits,_ZN7rocprim17ROCPRIM_400000_NS6detail17trampoline_kernelINS0_13select_configILj256ELj13ELNS0_17block_load_methodE3ELS4_3ELS4_3ELNS0_20block_scan_algorithmE0ELj4294967295EEENS1_25partition_config_selectorILNS1_17partition_subalgoE4EjNS0_10empty_typeEbEEZZNS1_14partition_implILS8_4ELb0ES6_15HIP_vector_typeIjLj2EENS0_17counting_iteratorIjlEEPS9_SG_NS0_5tupleIJPjSI_NS0_16reverse_iteratorISI_EEEEENSH_IJSG_SG_SG_EEES9_SI_JZNS1_25segmented_radix_sort_implINS0_14default_configELb1EPKbPbPKlPlN2at6native12_GLOBAL__N_18offset_tEEE10hipError_tPvRmT1_PNSt15iterator_traitsIS12_E10value_typeET2_T3_PNS13_IS18_E10value_typeET4_jRbjT5_S1E_jjP12ihipStream_tbEUljE_ZNSN_ISO_Lb1ESQ_SR_ST_SU_SY_EESZ_S10_S11_S12_S16_S17_S18_S1B_S1C_jS1D_jS1E_S1E_jjS1G_bEUljE0_EEESZ_S10_S11_S18_S1C_S1E_T6_T7_T9_mT8_S1G_bDpT10_ENKUlT_T0_E_clISt17integral_constantIbLb1EES1T_IbLb0EEEEDaS1P_S1Q_EUlS1P_E_NS1_11comp_targetILNS1_3genE2ELNS1_11target_archE906ELNS1_3gpuE6ELNS1_3repE0EEENS1_30default_config_static_selectorELNS0_4arch9wavefront6targetE1EEEvS12_,comdat
.Lfunc_end1488:
	.size	_ZN7rocprim17ROCPRIM_400000_NS6detail17trampoline_kernelINS0_13select_configILj256ELj13ELNS0_17block_load_methodE3ELS4_3ELS4_3ELNS0_20block_scan_algorithmE0ELj4294967295EEENS1_25partition_config_selectorILNS1_17partition_subalgoE4EjNS0_10empty_typeEbEEZZNS1_14partition_implILS8_4ELb0ES6_15HIP_vector_typeIjLj2EENS0_17counting_iteratorIjlEEPS9_SG_NS0_5tupleIJPjSI_NS0_16reverse_iteratorISI_EEEEENSH_IJSG_SG_SG_EEES9_SI_JZNS1_25segmented_radix_sort_implINS0_14default_configELb1EPKbPbPKlPlN2at6native12_GLOBAL__N_18offset_tEEE10hipError_tPvRmT1_PNSt15iterator_traitsIS12_E10value_typeET2_T3_PNS13_IS18_E10value_typeET4_jRbjT5_S1E_jjP12ihipStream_tbEUljE_ZNSN_ISO_Lb1ESQ_SR_ST_SU_SY_EESZ_S10_S11_S12_S16_S17_S18_S1B_S1C_jS1D_jS1E_S1E_jjS1G_bEUljE0_EEESZ_S10_S11_S18_S1C_S1E_T6_T7_T9_mT8_S1G_bDpT10_ENKUlT_T0_E_clISt17integral_constantIbLb1EES1T_IbLb0EEEEDaS1P_S1Q_EUlS1P_E_NS1_11comp_targetILNS1_3genE2ELNS1_11target_archE906ELNS1_3gpuE6ELNS1_3repE0EEENS1_30default_config_static_selectorELNS0_4arch9wavefront6targetE1EEEvS12_, .Lfunc_end1488-_ZN7rocprim17ROCPRIM_400000_NS6detail17trampoline_kernelINS0_13select_configILj256ELj13ELNS0_17block_load_methodE3ELS4_3ELS4_3ELNS0_20block_scan_algorithmE0ELj4294967295EEENS1_25partition_config_selectorILNS1_17partition_subalgoE4EjNS0_10empty_typeEbEEZZNS1_14partition_implILS8_4ELb0ES6_15HIP_vector_typeIjLj2EENS0_17counting_iteratorIjlEEPS9_SG_NS0_5tupleIJPjSI_NS0_16reverse_iteratorISI_EEEEENSH_IJSG_SG_SG_EEES9_SI_JZNS1_25segmented_radix_sort_implINS0_14default_configELb1EPKbPbPKlPlN2at6native12_GLOBAL__N_18offset_tEEE10hipError_tPvRmT1_PNSt15iterator_traitsIS12_E10value_typeET2_T3_PNS13_IS18_E10value_typeET4_jRbjT5_S1E_jjP12ihipStream_tbEUljE_ZNSN_ISO_Lb1ESQ_SR_ST_SU_SY_EESZ_S10_S11_S12_S16_S17_S18_S1B_S1C_jS1D_jS1E_S1E_jjS1G_bEUljE0_EEESZ_S10_S11_S18_S1C_S1E_T6_T7_T9_mT8_S1G_bDpT10_ENKUlT_T0_E_clISt17integral_constantIbLb1EES1T_IbLb0EEEEDaS1P_S1Q_EUlS1P_E_NS1_11comp_targetILNS1_3genE2ELNS1_11target_archE906ELNS1_3gpuE6ELNS1_3repE0EEENS1_30default_config_static_selectorELNS0_4arch9wavefront6targetE1EEEvS12_
                                        ; -- End function
	.set _ZN7rocprim17ROCPRIM_400000_NS6detail17trampoline_kernelINS0_13select_configILj256ELj13ELNS0_17block_load_methodE3ELS4_3ELS4_3ELNS0_20block_scan_algorithmE0ELj4294967295EEENS1_25partition_config_selectorILNS1_17partition_subalgoE4EjNS0_10empty_typeEbEEZZNS1_14partition_implILS8_4ELb0ES6_15HIP_vector_typeIjLj2EENS0_17counting_iteratorIjlEEPS9_SG_NS0_5tupleIJPjSI_NS0_16reverse_iteratorISI_EEEEENSH_IJSG_SG_SG_EEES9_SI_JZNS1_25segmented_radix_sort_implINS0_14default_configELb1EPKbPbPKlPlN2at6native12_GLOBAL__N_18offset_tEEE10hipError_tPvRmT1_PNSt15iterator_traitsIS12_E10value_typeET2_T3_PNS13_IS18_E10value_typeET4_jRbjT5_S1E_jjP12ihipStream_tbEUljE_ZNSN_ISO_Lb1ESQ_SR_ST_SU_SY_EESZ_S10_S11_S12_S16_S17_S18_S1B_S1C_jS1D_jS1E_S1E_jjS1G_bEUljE0_EEESZ_S10_S11_S18_S1C_S1E_T6_T7_T9_mT8_S1G_bDpT10_ENKUlT_T0_E_clISt17integral_constantIbLb1EES1T_IbLb0EEEEDaS1P_S1Q_EUlS1P_E_NS1_11comp_targetILNS1_3genE2ELNS1_11target_archE906ELNS1_3gpuE6ELNS1_3repE0EEENS1_30default_config_static_selectorELNS0_4arch9wavefront6targetE1EEEvS12_.num_vgpr, 0
	.set _ZN7rocprim17ROCPRIM_400000_NS6detail17trampoline_kernelINS0_13select_configILj256ELj13ELNS0_17block_load_methodE3ELS4_3ELS4_3ELNS0_20block_scan_algorithmE0ELj4294967295EEENS1_25partition_config_selectorILNS1_17partition_subalgoE4EjNS0_10empty_typeEbEEZZNS1_14partition_implILS8_4ELb0ES6_15HIP_vector_typeIjLj2EENS0_17counting_iteratorIjlEEPS9_SG_NS0_5tupleIJPjSI_NS0_16reverse_iteratorISI_EEEEENSH_IJSG_SG_SG_EEES9_SI_JZNS1_25segmented_radix_sort_implINS0_14default_configELb1EPKbPbPKlPlN2at6native12_GLOBAL__N_18offset_tEEE10hipError_tPvRmT1_PNSt15iterator_traitsIS12_E10value_typeET2_T3_PNS13_IS18_E10value_typeET4_jRbjT5_S1E_jjP12ihipStream_tbEUljE_ZNSN_ISO_Lb1ESQ_SR_ST_SU_SY_EESZ_S10_S11_S12_S16_S17_S18_S1B_S1C_jS1D_jS1E_S1E_jjS1G_bEUljE0_EEESZ_S10_S11_S18_S1C_S1E_T6_T7_T9_mT8_S1G_bDpT10_ENKUlT_T0_E_clISt17integral_constantIbLb1EES1T_IbLb0EEEEDaS1P_S1Q_EUlS1P_E_NS1_11comp_targetILNS1_3genE2ELNS1_11target_archE906ELNS1_3gpuE6ELNS1_3repE0EEENS1_30default_config_static_selectorELNS0_4arch9wavefront6targetE1EEEvS12_.num_agpr, 0
	.set _ZN7rocprim17ROCPRIM_400000_NS6detail17trampoline_kernelINS0_13select_configILj256ELj13ELNS0_17block_load_methodE3ELS4_3ELS4_3ELNS0_20block_scan_algorithmE0ELj4294967295EEENS1_25partition_config_selectorILNS1_17partition_subalgoE4EjNS0_10empty_typeEbEEZZNS1_14partition_implILS8_4ELb0ES6_15HIP_vector_typeIjLj2EENS0_17counting_iteratorIjlEEPS9_SG_NS0_5tupleIJPjSI_NS0_16reverse_iteratorISI_EEEEENSH_IJSG_SG_SG_EEES9_SI_JZNS1_25segmented_radix_sort_implINS0_14default_configELb1EPKbPbPKlPlN2at6native12_GLOBAL__N_18offset_tEEE10hipError_tPvRmT1_PNSt15iterator_traitsIS12_E10value_typeET2_T3_PNS13_IS18_E10value_typeET4_jRbjT5_S1E_jjP12ihipStream_tbEUljE_ZNSN_ISO_Lb1ESQ_SR_ST_SU_SY_EESZ_S10_S11_S12_S16_S17_S18_S1B_S1C_jS1D_jS1E_S1E_jjS1G_bEUljE0_EEESZ_S10_S11_S18_S1C_S1E_T6_T7_T9_mT8_S1G_bDpT10_ENKUlT_T0_E_clISt17integral_constantIbLb1EES1T_IbLb0EEEEDaS1P_S1Q_EUlS1P_E_NS1_11comp_targetILNS1_3genE2ELNS1_11target_archE906ELNS1_3gpuE6ELNS1_3repE0EEENS1_30default_config_static_selectorELNS0_4arch9wavefront6targetE1EEEvS12_.numbered_sgpr, 0
	.set _ZN7rocprim17ROCPRIM_400000_NS6detail17trampoline_kernelINS0_13select_configILj256ELj13ELNS0_17block_load_methodE3ELS4_3ELS4_3ELNS0_20block_scan_algorithmE0ELj4294967295EEENS1_25partition_config_selectorILNS1_17partition_subalgoE4EjNS0_10empty_typeEbEEZZNS1_14partition_implILS8_4ELb0ES6_15HIP_vector_typeIjLj2EENS0_17counting_iteratorIjlEEPS9_SG_NS0_5tupleIJPjSI_NS0_16reverse_iteratorISI_EEEEENSH_IJSG_SG_SG_EEES9_SI_JZNS1_25segmented_radix_sort_implINS0_14default_configELb1EPKbPbPKlPlN2at6native12_GLOBAL__N_18offset_tEEE10hipError_tPvRmT1_PNSt15iterator_traitsIS12_E10value_typeET2_T3_PNS13_IS18_E10value_typeET4_jRbjT5_S1E_jjP12ihipStream_tbEUljE_ZNSN_ISO_Lb1ESQ_SR_ST_SU_SY_EESZ_S10_S11_S12_S16_S17_S18_S1B_S1C_jS1D_jS1E_S1E_jjS1G_bEUljE0_EEESZ_S10_S11_S18_S1C_S1E_T6_T7_T9_mT8_S1G_bDpT10_ENKUlT_T0_E_clISt17integral_constantIbLb1EES1T_IbLb0EEEEDaS1P_S1Q_EUlS1P_E_NS1_11comp_targetILNS1_3genE2ELNS1_11target_archE906ELNS1_3gpuE6ELNS1_3repE0EEENS1_30default_config_static_selectorELNS0_4arch9wavefront6targetE1EEEvS12_.num_named_barrier, 0
	.set _ZN7rocprim17ROCPRIM_400000_NS6detail17trampoline_kernelINS0_13select_configILj256ELj13ELNS0_17block_load_methodE3ELS4_3ELS4_3ELNS0_20block_scan_algorithmE0ELj4294967295EEENS1_25partition_config_selectorILNS1_17partition_subalgoE4EjNS0_10empty_typeEbEEZZNS1_14partition_implILS8_4ELb0ES6_15HIP_vector_typeIjLj2EENS0_17counting_iteratorIjlEEPS9_SG_NS0_5tupleIJPjSI_NS0_16reverse_iteratorISI_EEEEENSH_IJSG_SG_SG_EEES9_SI_JZNS1_25segmented_radix_sort_implINS0_14default_configELb1EPKbPbPKlPlN2at6native12_GLOBAL__N_18offset_tEEE10hipError_tPvRmT1_PNSt15iterator_traitsIS12_E10value_typeET2_T3_PNS13_IS18_E10value_typeET4_jRbjT5_S1E_jjP12ihipStream_tbEUljE_ZNSN_ISO_Lb1ESQ_SR_ST_SU_SY_EESZ_S10_S11_S12_S16_S17_S18_S1B_S1C_jS1D_jS1E_S1E_jjS1G_bEUljE0_EEESZ_S10_S11_S18_S1C_S1E_T6_T7_T9_mT8_S1G_bDpT10_ENKUlT_T0_E_clISt17integral_constantIbLb1EES1T_IbLb0EEEEDaS1P_S1Q_EUlS1P_E_NS1_11comp_targetILNS1_3genE2ELNS1_11target_archE906ELNS1_3gpuE6ELNS1_3repE0EEENS1_30default_config_static_selectorELNS0_4arch9wavefront6targetE1EEEvS12_.private_seg_size, 0
	.set _ZN7rocprim17ROCPRIM_400000_NS6detail17trampoline_kernelINS0_13select_configILj256ELj13ELNS0_17block_load_methodE3ELS4_3ELS4_3ELNS0_20block_scan_algorithmE0ELj4294967295EEENS1_25partition_config_selectorILNS1_17partition_subalgoE4EjNS0_10empty_typeEbEEZZNS1_14partition_implILS8_4ELb0ES6_15HIP_vector_typeIjLj2EENS0_17counting_iteratorIjlEEPS9_SG_NS0_5tupleIJPjSI_NS0_16reverse_iteratorISI_EEEEENSH_IJSG_SG_SG_EEES9_SI_JZNS1_25segmented_radix_sort_implINS0_14default_configELb1EPKbPbPKlPlN2at6native12_GLOBAL__N_18offset_tEEE10hipError_tPvRmT1_PNSt15iterator_traitsIS12_E10value_typeET2_T3_PNS13_IS18_E10value_typeET4_jRbjT5_S1E_jjP12ihipStream_tbEUljE_ZNSN_ISO_Lb1ESQ_SR_ST_SU_SY_EESZ_S10_S11_S12_S16_S17_S18_S1B_S1C_jS1D_jS1E_S1E_jjS1G_bEUljE0_EEESZ_S10_S11_S18_S1C_S1E_T6_T7_T9_mT8_S1G_bDpT10_ENKUlT_T0_E_clISt17integral_constantIbLb1EES1T_IbLb0EEEEDaS1P_S1Q_EUlS1P_E_NS1_11comp_targetILNS1_3genE2ELNS1_11target_archE906ELNS1_3gpuE6ELNS1_3repE0EEENS1_30default_config_static_selectorELNS0_4arch9wavefront6targetE1EEEvS12_.uses_vcc, 0
	.set _ZN7rocprim17ROCPRIM_400000_NS6detail17trampoline_kernelINS0_13select_configILj256ELj13ELNS0_17block_load_methodE3ELS4_3ELS4_3ELNS0_20block_scan_algorithmE0ELj4294967295EEENS1_25partition_config_selectorILNS1_17partition_subalgoE4EjNS0_10empty_typeEbEEZZNS1_14partition_implILS8_4ELb0ES6_15HIP_vector_typeIjLj2EENS0_17counting_iteratorIjlEEPS9_SG_NS0_5tupleIJPjSI_NS0_16reverse_iteratorISI_EEEEENSH_IJSG_SG_SG_EEES9_SI_JZNS1_25segmented_radix_sort_implINS0_14default_configELb1EPKbPbPKlPlN2at6native12_GLOBAL__N_18offset_tEEE10hipError_tPvRmT1_PNSt15iterator_traitsIS12_E10value_typeET2_T3_PNS13_IS18_E10value_typeET4_jRbjT5_S1E_jjP12ihipStream_tbEUljE_ZNSN_ISO_Lb1ESQ_SR_ST_SU_SY_EESZ_S10_S11_S12_S16_S17_S18_S1B_S1C_jS1D_jS1E_S1E_jjS1G_bEUljE0_EEESZ_S10_S11_S18_S1C_S1E_T6_T7_T9_mT8_S1G_bDpT10_ENKUlT_T0_E_clISt17integral_constantIbLb1EES1T_IbLb0EEEEDaS1P_S1Q_EUlS1P_E_NS1_11comp_targetILNS1_3genE2ELNS1_11target_archE906ELNS1_3gpuE6ELNS1_3repE0EEENS1_30default_config_static_selectorELNS0_4arch9wavefront6targetE1EEEvS12_.uses_flat_scratch, 0
	.set _ZN7rocprim17ROCPRIM_400000_NS6detail17trampoline_kernelINS0_13select_configILj256ELj13ELNS0_17block_load_methodE3ELS4_3ELS4_3ELNS0_20block_scan_algorithmE0ELj4294967295EEENS1_25partition_config_selectorILNS1_17partition_subalgoE4EjNS0_10empty_typeEbEEZZNS1_14partition_implILS8_4ELb0ES6_15HIP_vector_typeIjLj2EENS0_17counting_iteratorIjlEEPS9_SG_NS0_5tupleIJPjSI_NS0_16reverse_iteratorISI_EEEEENSH_IJSG_SG_SG_EEES9_SI_JZNS1_25segmented_radix_sort_implINS0_14default_configELb1EPKbPbPKlPlN2at6native12_GLOBAL__N_18offset_tEEE10hipError_tPvRmT1_PNSt15iterator_traitsIS12_E10value_typeET2_T3_PNS13_IS18_E10value_typeET4_jRbjT5_S1E_jjP12ihipStream_tbEUljE_ZNSN_ISO_Lb1ESQ_SR_ST_SU_SY_EESZ_S10_S11_S12_S16_S17_S18_S1B_S1C_jS1D_jS1E_S1E_jjS1G_bEUljE0_EEESZ_S10_S11_S18_S1C_S1E_T6_T7_T9_mT8_S1G_bDpT10_ENKUlT_T0_E_clISt17integral_constantIbLb1EES1T_IbLb0EEEEDaS1P_S1Q_EUlS1P_E_NS1_11comp_targetILNS1_3genE2ELNS1_11target_archE906ELNS1_3gpuE6ELNS1_3repE0EEENS1_30default_config_static_selectorELNS0_4arch9wavefront6targetE1EEEvS12_.has_dyn_sized_stack, 0
	.set _ZN7rocprim17ROCPRIM_400000_NS6detail17trampoline_kernelINS0_13select_configILj256ELj13ELNS0_17block_load_methodE3ELS4_3ELS4_3ELNS0_20block_scan_algorithmE0ELj4294967295EEENS1_25partition_config_selectorILNS1_17partition_subalgoE4EjNS0_10empty_typeEbEEZZNS1_14partition_implILS8_4ELb0ES6_15HIP_vector_typeIjLj2EENS0_17counting_iteratorIjlEEPS9_SG_NS0_5tupleIJPjSI_NS0_16reverse_iteratorISI_EEEEENSH_IJSG_SG_SG_EEES9_SI_JZNS1_25segmented_radix_sort_implINS0_14default_configELb1EPKbPbPKlPlN2at6native12_GLOBAL__N_18offset_tEEE10hipError_tPvRmT1_PNSt15iterator_traitsIS12_E10value_typeET2_T3_PNS13_IS18_E10value_typeET4_jRbjT5_S1E_jjP12ihipStream_tbEUljE_ZNSN_ISO_Lb1ESQ_SR_ST_SU_SY_EESZ_S10_S11_S12_S16_S17_S18_S1B_S1C_jS1D_jS1E_S1E_jjS1G_bEUljE0_EEESZ_S10_S11_S18_S1C_S1E_T6_T7_T9_mT8_S1G_bDpT10_ENKUlT_T0_E_clISt17integral_constantIbLb1EES1T_IbLb0EEEEDaS1P_S1Q_EUlS1P_E_NS1_11comp_targetILNS1_3genE2ELNS1_11target_archE906ELNS1_3gpuE6ELNS1_3repE0EEENS1_30default_config_static_selectorELNS0_4arch9wavefront6targetE1EEEvS12_.has_recursion, 0
	.set _ZN7rocprim17ROCPRIM_400000_NS6detail17trampoline_kernelINS0_13select_configILj256ELj13ELNS0_17block_load_methodE3ELS4_3ELS4_3ELNS0_20block_scan_algorithmE0ELj4294967295EEENS1_25partition_config_selectorILNS1_17partition_subalgoE4EjNS0_10empty_typeEbEEZZNS1_14partition_implILS8_4ELb0ES6_15HIP_vector_typeIjLj2EENS0_17counting_iteratorIjlEEPS9_SG_NS0_5tupleIJPjSI_NS0_16reverse_iteratorISI_EEEEENSH_IJSG_SG_SG_EEES9_SI_JZNS1_25segmented_radix_sort_implINS0_14default_configELb1EPKbPbPKlPlN2at6native12_GLOBAL__N_18offset_tEEE10hipError_tPvRmT1_PNSt15iterator_traitsIS12_E10value_typeET2_T3_PNS13_IS18_E10value_typeET4_jRbjT5_S1E_jjP12ihipStream_tbEUljE_ZNSN_ISO_Lb1ESQ_SR_ST_SU_SY_EESZ_S10_S11_S12_S16_S17_S18_S1B_S1C_jS1D_jS1E_S1E_jjS1G_bEUljE0_EEESZ_S10_S11_S18_S1C_S1E_T6_T7_T9_mT8_S1G_bDpT10_ENKUlT_T0_E_clISt17integral_constantIbLb1EES1T_IbLb0EEEEDaS1P_S1Q_EUlS1P_E_NS1_11comp_targetILNS1_3genE2ELNS1_11target_archE906ELNS1_3gpuE6ELNS1_3repE0EEENS1_30default_config_static_selectorELNS0_4arch9wavefront6targetE1EEEvS12_.has_indirect_call, 0
	.section	.AMDGPU.csdata,"",@progbits
; Kernel info:
; codeLenInByte = 4
; TotalNumSgprs: 4
; NumVgprs: 0
; ScratchSize: 0
; MemoryBound: 0
; FloatMode: 240
; IeeeMode: 1
; LDSByteSize: 0 bytes/workgroup (compile time only)
; SGPRBlocks: 0
; VGPRBlocks: 0
; NumSGPRsForWavesPerEU: 4
; NumVGPRsForWavesPerEU: 1
; Occupancy: 10
; WaveLimiterHint : 0
; COMPUTE_PGM_RSRC2:SCRATCH_EN: 0
; COMPUTE_PGM_RSRC2:USER_SGPR: 6
; COMPUTE_PGM_RSRC2:TRAP_HANDLER: 0
; COMPUTE_PGM_RSRC2:TGID_X_EN: 1
; COMPUTE_PGM_RSRC2:TGID_Y_EN: 0
; COMPUTE_PGM_RSRC2:TGID_Z_EN: 0
; COMPUTE_PGM_RSRC2:TIDIG_COMP_CNT: 0
	.section	.text._ZN7rocprim17ROCPRIM_400000_NS6detail17trampoline_kernelINS0_13select_configILj256ELj13ELNS0_17block_load_methodE3ELS4_3ELS4_3ELNS0_20block_scan_algorithmE0ELj4294967295EEENS1_25partition_config_selectorILNS1_17partition_subalgoE4EjNS0_10empty_typeEbEEZZNS1_14partition_implILS8_4ELb0ES6_15HIP_vector_typeIjLj2EENS0_17counting_iteratorIjlEEPS9_SG_NS0_5tupleIJPjSI_NS0_16reverse_iteratorISI_EEEEENSH_IJSG_SG_SG_EEES9_SI_JZNS1_25segmented_radix_sort_implINS0_14default_configELb1EPKbPbPKlPlN2at6native12_GLOBAL__N_18offset_tEEE10hipError_tPvRmT1_PNSt15iterator_traitsIS12_E10value_typeET2_T3_PNS13_IS18_E10value_typeET4_jRbjT5_S1E_jjP12ihipStream_tbEUljE_ZNSN_ISO_Lb1ESQ_SR_ST_SU_SY_EESZ_S10_S11_S12_S16_S17_S18_S1B_S1C_jS1D_jS1E_S1E_jjS1G_bEUljE0_EEESZ_S10_S11_S18_S1C_S1E_T6_T7_T9_mT8_S1G_bDpT10_ENKUlT_T0_E_clISt17integral_constantIbLb1EES1T_IbLb0EEEEDaS1P_S1Q_EUlS1P_E_NS1_11comp_targetILNS1_3genE10ELNS1_11target_archE1200ELNS1_3gpuE4ELNS1_3repE0EEENS1_30default_config_static_selectorELNS0_4arch9wavefront6targetE1EEEvS12_,"axG",@progbits,_ZN7rocprim17ROCPRIM_400000_NS6detail17trampoline_kernelINS0_13select_configILj256ELj13ELNS0_17block_load_methodE3ELS4_3ELS4_3ELNS0_20block_scan_algorithmE0ELj4294967295EEENS1_25partition_config_selectorILNS1_17partition_subalgoE4EjNS0_10empty_typeEbEEZZNS1_14partition_implILS8_4ELb0ES6_15HIP_vector_typeIjLj2EENS0_17counting_iteratorIjlEEPS9_SG_NS0_5tupleIJPjSI_NS0_16reverse_iteratorISI_EEEEENSH_IJSG_SG_SG_EEES9_SI_JZNS1_25segmented_radix_sort_implINS0_14default_configELb1EPKbPbPKlPlN2at6native12_GLOBAL__N_18offset_tEEE10hipError_tPvRmT1_PNSt15iterator_traitsIS12_E10value_typeET2_T3_PNS13_IS18_E10value_typeET4_jRbjT5_S1E_jjP12ihipStream_tbEUljE_ZNSN_ISO_Lb1ESQ_SR_ST_SU_SY_EESZ_S10_S11_S12_S16_S17_S18_S1B_S1C_jS1D_jS1E_S1E_jjS1G_bEUljE0_EEESZ_S10_S11_S18_S1C_S1E_T6_T7_T9_mT8_S1G_bDpT10_ENKUlT_T0_E_clISt17integral_constantIbLb1EES1T_IbLb0EEEEDaS1P_S1Q_EUlS1P_E_NS1_11comp_targetILNS1_3genE10ELNS1_11target_archE1200ELNS1_3gpuE4ELNS1_3repE0EEENS1_30default_config_static_selectorELNS0_4arch9wavefront6targetE1EEEvS12_,comdat
	.globl	_ZN7rocprim17ROCPRIM_400000_NS6detail17trampoline_kernelINS0_13select_configILj256ELj13ELNS0_17block_load_methodE3ELS4_3ELS4_3ELNS0_20block_scan_algorithmE0ELj4294967295EEENS1_25partition_config_selectorILNS1_17partition_subalgoE4EjNS0_10empty_typeEbEEZZNS1_14partition_implILS8_4ELb0ES6_15HIP_vector_typeIjLj2EENS0_17counting_iteratorIjlEEPS9_SG_NS0_5tupleIJPjSI_NS0_16reverse_iteratorISI_EEEEENSH_IJSG_SG_SG_EEES9_SI_JZNS1_25segmented_radix_sort_implINS0_14default_configELb1EPKbPbPKlPlN2at6native12_GLOBAL__N_18offset_tEEE10hipError_tPvRmT1_PNSt15iterator_traitsIS12_E10value_typeET2_T3_PNS13_IS18_E10value_typeET4_jRbjT5_S1E_jjP12ihipStream_tbEUljE_ZNSN_ISO_Lb1ESQ_SR_ST_SU_SY_EESZ_S10_S11_S12_S16_S17_S18_S1B_S1C_jS1D_jS1E_S1E_jjS1G_bEUljE0_EEESZ_S10_S11_S18_S1C_S1E_T6_T7_T9_mT8_S1G_bDpT10_ENKUlT_T0_E_clISt17integral_constantIbLb1EES1T_IbLb0EEEEDaS1P_S1Q_EUlS1P_E_NS1_11comp_targetILNS1_3genE10ELNS1_11target_archE1200ELNS1_3gpuE4ELNS1_3repE0EEENS1_30default_config_static_selectorELNS0_4arch9wavefront6targetE1EEEvS12_ ; -- Begin function _ZN7rocprim17ROCPRIM_400000_NS6detail17trampoline_kernelINS0_13select_configILj256ELj13ELNS0_17block_load_methodE3ELS4_3ELS4_3ELNS0_20block_scan_algorithmE0ELj4294967295EEENS1_25partition_config_selectorILNS1_17partition_subalgoE4EjNS0_10empty_typeEbEEZZNS1_14partition_implILS8_4ELb0ES6_15HIP_vector_typeIjLj2EENS0_17counting_iteratorIjlEEPS9_SG_NS0_5tupleIJPjSI_NS0_16reverse_iteratorISI_EEEEENSH_IJSG_SG_SG_EEES9_SI_JZNS1_25segmented_radix_sort_implINS0_14default_configELb1EPKbPbPKlPlN2at6native12_GLOBAL__N_18offset_tEEE10hipError_tPvRmT1_PNSt15iterator_traitsIS12_E10value_typeET2_T3_PNS13_IS18_E10value_typeET4_jRbjT5_S1E_jjP12ihipStream_tbEUljE_ZNSN_ISO_Lb1ESQ_SR_ST_SU_SY_EESZ_S10_S11_S12_S16_S17_S18_S1B_S1C_jS1D_jS1E_S1E_jjS1G_bEUljE0_EEESZ_S10_S11_S18_S1C_S1E_T6_T7_T9_mT8_S1G_bDpT10_ENKUlT_T0_E_clISt17integral_constantIbLb1EES1T_IbLb0EEEEDaS1P_S1Q_EUlS1P_E_NS1_11comp_targetILNS1_3genE10ELNS1_11target_archE1200ELNS1_3gpuE4ELNS1_3repE0EEENS1_30default_config_static_selectorELNS0_4arch9wavefront6targetE1EEEvS12_
	.p2align	8
	.type	_ZN7rocprim17ROCPRIM_400000_NS6detail17trampoline_kernelINS0_13select_configILj256ELj13ELNS0_17block_load_methodE3ELS4_3ELS4_3ELNS0_20block_scan_algorithmE0ELj4294967295EEENS1_25partition_config_selectorILNS1_17partition_subalgoE4EjNS0_10empty_typeEbEEZZNS1_14partition_implILS8_4ELb0ES6_15HIP_vector_typeIjLj2EENS0_17counting_iteratorIjlEEPS9_SG_NS0_5tupleIJPjSI_NS0_16reverse_iteratorISI_EEEEENSH_IJSG_SG_SG_EEES9_SI_JZNS1_25segmented_radix_sort_implINS0_14default_configELb1EPKbPbPKlPlN2at6native12_GLOBAL__N_18offset_tEEE10hipError_tPvRmT1_PNSt15iterator_traitsIS12_E10value_typeET2_T3_PNS13_IS18_E10value_typeET4_jRbjT5_S1E_jjP12ihipStream_tbEUljE_ZNSN_ISO_Lb1ESQ_SR_ST_SU_SY_EESZ_S10_S11_S12_S16_S17_S18_S1B_S1C_jS1D_jS1E_S1E_jjS1G_bEUljE0_EEESZ_S10_S11_S18_S1C_S1E_T6_T7_T9_mT8_S1G_bDpT10_ENKUlT_T0_E_clISt17integral_constantIbLb1EES1T_IbLb0EEEEDaS1P_S1Q_EUlS1P_E_NS1_11comp_targetILNS1_3genE10ELNS1_11target_archE1200ELNS1_3gpuE4ELNS1_3repE0EEENS1_30default_config_static_selectorELNS0_4arch9wavefront6targetE1EEEvS12_,@function
_ZN7rocprim17ROCPRIM_400000_NS6detail17trampoline_kernelINS0_13select_configILj256ELj13ELNS0_17block_load_methodE3ELS4_3ELS4_3ELNS0_20block_scan_algorithmE0ELj4294967295EEENS1_25partition_config_selectorILNS1_17partition_subalgoE4EjNS0_10empty_typeEbEEZZNS1_14partition_implILS8_4ELb0ES6_15HIP_vector_typeIjLj2EENS0_17counting_iteratorIjlEEPS9_SG_NS0_5tupleIJPjSI_NS0_16reverse_iteratorISI_EEEEENSH_IJSG_SG_SG_EEES9_SI_JZNS1_25segmented_radix_sort_implINS0_14default_configELb1EPKbPbPKlPlN2at6native12_GLOBAL__N_18offset_tEEE10hipError_tPvRmT1_PNSt15iterator_traitsIS12_E10value_typeET2_T3_PNS13_IS18_E10value_typeET4_jRbjT5_S1E_jjP12ihipStream_tbEUljE_ZNSN_ISO_Lb1ESQ_SR_ST_SU_SY_EESZ_S10_S11_S12_S16_S17_S18_S1B_S1C_jS1D_jS1E_S1E_jjS1G_bEUljE0_EEESZ_S10_S11_S18_S1C_S1E_T6_T7_T9_mT8_S1G_bDpT10_ENKUlT_T0_E_clISt17integral_constantIbLb1EES1T_IbLb0EEEEDaS1P_S1Q_EUlS1P_E_NS1_11comp_targetILNS1_3genE10ELNS1_11target_archE1200ELNS1_3gpuE4ELNS1_3repE0EEENS1_30default_config_static_selectorELNS0_4arch9wavefront6targetE1EEEvS12_: ; @_ZN7rocprim17ROCPRIM_400000_NS6detail17trampoline_kernelINS0_13select_configILj256ELj13ELNS0_17block_load_methodE3ELS4_3ELS4_3ELNS0_20block_scan_algorithmE0ELj4294967295EEENS1_25partition_config_selectorILNS1_17partition_subalgoE4EjNS0_10empty_typeEbEEZZNS1_14partition_implILS8_4ELb0ES6_15HIP_vector_typeIjLj2EENS0_17counting_iteratorIjlEEPS9_SG_NS0_5tupleIJPjSI_NS0_16reverse_iteratorISI_EEEEENSH_IJSG_SG_SG_EEES9_SI_JZNS1_25segmented_radix_sort_implINS0_14default_configELb1EPKbPbPKlPlN2at6native12_GLOBAL__N_18offset_tEEE10hipError_tPvRmT1_PNSt15iterator_traitsIS12_E10value_typeET2_T3_PNS13_IS18_E10value_typeET4_jRbjT5_S1E_jjP12ihipStream_tbEUljE_ZNSN_ISO_Lb1ESQ_SR_ST_SU_SY_EESZ_S10_S11_S12_S16_S17_S18_S1B_S1C_jS1D_jS1E_S1E_jjS1G_bEUljE0_EEESZ_S10_S11_S18_S1C_S1E_T6_T7_T9_mT8_S1G_bDpT10_ENKUlT_T0_E_clISt17integral_constantIbLb1EES1T_IbLb0EEEEDaS1P_S1Q_EUlS1P_E_NS1_11comp_targetILNS1_3genE10ELNS1_11target_archE1200ELNS1_3gpuE4ELNS1_3repE0EEENS1_30default_config_static_selectorELNS0_4arch9wavefront6targetE1EEEvS12_
; %bb.0:
	.section	.rodata,"a",@progbits
	.p2align	6, 0x0
	.amdhsa_kernel _ZN7rocprim17ROCPRIM_400000_NS6detail17trampoline_kernelINS0_13select_configILj256ELj13ELNS0_17block_load_methodE3ELS4_3ELS4_3ELNS0_20block_scan_algorithmE0ELj4294967295EEENS1_25partition_config_selectorILNS1_17partition_subalgoE4EjNS0_10empty_typeEbEEZZNS1_14partition_implILS8_4ELb0ES6_15HIP_vector_typeIjLj2EENS0_17counting_iteratorIjlEEPS9_SG_NS0_5tupleIJPjSI_NS0_16reverse_iteratorISI_EEEEENSH_IJSG_SG_SG_EEES9_SI_JZNS1_25segmented_radix_sort_implINS0_14default_configELb1EPKbPbPKlPlN2at6native12_GLOBAL__N_18offset_tEEE10hipError_tPvRmT1_PNSt15iterator_traitsIS12_E10value_typeET2_T3_PNS13_IS18_E10value_typeET4_jRbjT5_S1E_jjP12ihipStream_tbEUljE_ZNSN_ISO_Lb1ESQ_SR_ST_SU_SY_EESZ_S10_S11_S12_S16_S17_S18_S1B_S1C_jS1D_jS1E_S1E_jjS1G_bEUljE0_EEESZ_S10_S11_S18_S1C_S1E_T6_T7_T9_mT8_S1G_bDpT10_ENKUlT_T0_E_clISt17integral_constantIbLb1EES1T_IbLb0EEEEDaS1P_S1Q_EUlS1P_E_NS1_11comp_targetILNS1_3genE10ELNS1_11target_archE1200ELNS1_3gpuE4ELNS1_3repE0EEENS1_30default_config_static_selectorELNS0_4arch9wavefront6targetE1EEEvS12_
		.amdhsa_group_segment_fixed_size 0
		.amdhsa_private_segment_fixed_size 0
		.amdhsa_kernarg_size 176
		.amdhsa_user_sgpr_count 6
		.amdhsa_user_sgpr_private_segment_buffer 1
		.amdhsa_user_sgpr_dispatch_ptr 0
		.amdhsa_user_sgpr_queue_ptr 0
		.amdhsa_user_sgpr_kernarg_segment_ptr 1
		.amdhsa_user_sgpr_dispatch_id 0
		.amdhsa_user_sgpr_flat_scratch_init 0
		.amdhsa_user_sgpr_private_segment_size 0
		.amdhsa_uses_dynamic_stack 0
		.amdhsa_system_sgpr_private_segment_wavefront_offset 0
		.amdhsa_system_sgpr_workgroup_id_x 1
		.amdhsa_system_sgpr_workgroup_id_y 0
		.amdhsa_system_sgpr_workgroup_id_z 0
		.amdhsa_system_sgpr_workgroup_info 0
		.amdhsa_system_vgpr_workitem_id 0
		.amdhsa_next_free_vgpr 1
		.amdhsa_next_free_sgpr 0
		.amdhsa_reserve_vcc 0
		.amdhsa_reserve_flat_scratch 0
		.amdhsa_float_round_mode_32 0
		.amdhsa_float_round_mode_16_64 0
		.amdhsa_float_denorm_mode_32 3
		.amdhsa_float_denorm_mode_16_64 3
		.amdhsa_dx10_clamp 1
		.amdhsa_ieee_mode 1
		.amdhsa_fp16_overflow 0
		.amdhsa_exception_fp_ieee_invalid_op 0
		.amdhsa_exception_fp_denorm_src 0
		.amdhsa_exception_fp_ieee_div_zero 0
		.amdhsa_exception_fp_ieee_overflow 0
		.amdhsa_exception_fp_ieee_underflow 0
		.amdhsa_exception_fp_ieee_inexact 0
		.amdhsa_exception_int_div_zero 0
	.end_amdhsa_kernel
	.section	.text._ZN7rocprim17ROCPRIM_400000_NS6detail17trampoline_kernelINS0_13select_configILj256ELj13ELNS0_17block_load_methodE3ELS4_3ELS4_3ELNS0_20block_scan_algorithmE0ELj4294967295EEENS1_25partition_config_selectorILNS1_17partition_subalgoE4EjNS0_10empty_typeEbEEZZNS1_14partition_implILS8_4ELb0ES6_15HIP_vector_typeIjLj2EENS0_17counting_iteratorIjlEEPS9_SG_NS0_5tupleIJPjSI_NS0_16reverse_iteratorISI_EEEEENSH_IJSG_SG_SG_EEES9_SI_JZNS1_25segmented_radix_sort_implINS0_14default_configELb1EPKbPbPKlPlN2at6native12_GLOBAL__N_18offset_tEEE10hipError_tPvRmT1_PNSt15iterator_traitsIS12_E10value_typeET2_T3_PNS13_IS18_E10value_typeET4_jRbjT5_S1E_jjP12ihipStream_tbEUljE_ZNSN_ISO_Lb1ESQ_SR_ST_SU_SY_EESZ_S10_S11_S12_S16_S17_S18_S1B_S1C_jS1D_jS1E_S1E_jjS1G_bEUljE0_EEESZ_S10_S11_S18_S1C_S1E_T6_T7_T9_mT8_S1G_bDpT10_ENKUlT_T0_E_clISt17integral_constantIbLb1EES1T_IbLb0EEEEDaS1P_S1Q_EUlS1P_E_NS1_11comp_targetILNS1_3genE10ELNS1_11target_archE1200ELNS1_3gpuE4ELNS1_3repE0EEENS1_30default_config_static_selectorELNS0_4arch9wavefront6targetE1EEEvS12_,"axG",@progbits,_ZN7rocprim17ROCPRIM_400000_NS6detail17trampoline_kernelINS0_13select_configILj256ELj13ELNS0_17block_load_methodE3ELS4_3ELS4_3ELNS0_20block_scan_algorithmE0ELj4294967295EEENS1_25partition_config_selectorILNS1_17partition_subalgoE4EjNS0_10empty_typeEbEEZZNS1_14partition_implILS8_4ELb0ES6_15HIP_vector_typeIjLj2EENS0_17counting_iteratorIjlEEPS9_SG_NS0_5tupleIJPjSI_NS0_16reverse_iteratorISI_EEEEENSH_IJSG_SG_SG_EEES9_SI_JZNS1_25segmented_radix_sort_implINS0_14default_configELb1EPKbPbPKlPlN2at6native12_GLOBAL__N_18offset_tEEE10hipError_tPvRmT1_PNSt15iterator_traitsIS12_E10value_typeET2_T3_PNS13_IS18_E10value_typeET4_jRbjT5_S1E_jjP12ihipStream_tbEUljE_ZNSN_ISO_Lb1ESQ_SR_ST_SU_SY_EESZ_S10_S11_S12_S16_S17_S18_S1B_S1C_jS1D_jS1E_S1E_jjS1G_bEUljE0_EEESZ_S10_S11_S18_S1C_S1E_T6_T7_T9_mT8_S1G_bDpT10_ENKUlT_T0_E_clISt17integral_constantIbLb1EES1T_IbLb0EEEEDaS1P_S1Q_EUlS1P_E_NS1_11comp_targetILNS1_3genE10ELNS1_11target_archE1200ELNS1_3gpuE4ELNS1_3repE0EEENS1_30default_config_static_selectorELNS0_4arch9wavefront6targetE1EEEvS12_,comdat
.Lfunc_end1489:
	.size	_ZN7rocprim17ROCPRIM_400000_NS6detail17trampoline_kernelINS0_13select_configILj256ELj13ELNS0_17block_load_methodE3ELS4_3ELS4_3ELNS0_20block_scan_algorithmE0ELj4294967295EEENS1_25partition_config_selectorILNS1_17partition_subalgoE4EjNS0_10empty_typeEbEEZZNS1_14partition_implILS8_4ELb0ES6_15HIP_vector_typeIjLj2EENS0_17counting_iteratorIjlEEPS9_SG_NS0_5tupleIJPjSI_NS0_16reverse_iteratorISI_EEEEENSH_IJSG_SG_SG_EEES9_SI_JZNS1_25segmented_radix_sort_implINS0_14default_configELb1EPKbPbPKlPlN2at6native12_GLOBAL__N_18offset_tEEE10hipError_tPvRmT1_PNSt15iterator_traitsIS12_E10value_typeET2_T3_PNS13_IS18_E10value_typeET4_jRbjT5_S1E_jjP12ihipStream_tbEUljE_ZNSN_ISO_Lb1ESQ_SR_ST_SU_SY_EESZ_S10_S11_S12_S16_S17_S18_S1B_S1C_jS1D_jS1E_S1E_jjS1G_bEUljE0_EEESZ_S10_S11_S18_S1C_S1E_T6_T7_T9_mT8_S1G_bDpT10_ENKUlT_T0_E_clISt17integral_constantIbLb1EES1T_IbLb0EEEEDaS1P_S1Q_EUlS1P_E_NS1_11comp_targetILNS1_3genE10ELNS1_11target_archE1200ELNS1_3gpuE4ELNS1_3repE0EEENS1_30default_config_static_selectorELNS0_4arch9wavefront6targetE1EEEvS12_, .Lfunc_end1489-_ZN7rocprim17ROCPRIM_400000_NS6detail17trampoline_kernelINS0_13select_configILj256ELj13ELNS0_17block_load_methodE3ELS4_3ELS4_3ELNS0_20block_scan_algorithmE0ELj4294967295EEENS1_25partition_config_selectorILNS1_17partition_subalgoE4EjNS0_10empty_typeEbEEZZNS1_14partition_implILS8_4ELb0ES6_15HIP_vector_typeIjLj2EENS0_17counting_iteratorIjlEEPS9_SG_NS0_5tupleIJPjSI_NS0_16reverse_iteratorISI_EEEEENSH_IJSG_SG_SG_EEES9_SI_JZNS1_25segmented_radix_sort_implINS0_14default_configELb1EPKbPbPKlPlN2at6native12_GLOBAL__N_18offset_tEEE10hipError_tPvRmT1_PNSt15iterator_traitsIS12_E10value_typeET2_T3_PNS13_IS18_E10value_typeET4_jRbjT5_S1E_jjP12ihipStream_tbEUljE_ZNSN_ISO_Lb1ESQ_SR_ST_SU_SY_EESZ_S10_S11_S12_S16_S17_S18_S1B_S1C_jS1D_jS1E_S1E_jjS1G_bEUljE0_EEESZ_S10_S11_S18_S1C_S1E_T6_T7_T9_mT8_S1G_bDpT10_ENKUlT_T0_E_clISt17integral_constantIbLb1EES1T_IbLb0EEEEDaS1P_S1Q_EUlS1P_E_NS1_11comp_targetILNS1_3genE10ELNS1_11target_archE1200ELNS1_3gpuE4ELNS1_3repE0EEENS1_30default_config_static_selectorELNS0_4arch9wavefront6targetE1EEEvS12_
                                        ; -- End function
	.set _ZN7rocprim17ROCPRIM_400000_NS6detail17trampoline_kernelINS0_13select_configILj256ELj13ELNS0_17block_load_methodE3ELS4_3ELS4_3ELNS0_20block_scan_algorithmE0ELj4294967295EEENS1_25partition_config_selectorILNS1_17partition_subalgoE4EjNS0_10empty_typeEbEEZZNS1_14partition_implILS8_4ELb0ES6_15HIP_vector_typeIjLj2EENS0_17counting_iteratorIjlEEPS9_SG_NS0_5tupleIJPjSI_NS0_16reverse_iteratorISI_EEEEENSH_IJSG_SG_SG_EEES9_SI_JZNS1_25segmented_radix_sort_implINS0_14default_configELb1EPKbPbPKlPlN2at6native12_GLOBAL__N_18offset_tEEE10hipError_tPvRmT1_PNSt15iterator_traitsIS12_E10value_typeET2_T3_PNS13_IS18_E10value_typeET4_jRbjT5_S1E_jjP12ihipStream_tbEUljE_ZNSN_ISO_Lb1ESQ_SR_ST_SU_SY_EESZ_S10_S11_S12_S16_S17_S18_S1B_S1C_jS1D_jS1E_S1E_jjS1G_bEUljE0_EEESZ_S10_S11_S18_S1C_S1E_T6_T7_T9_mT8_S1G_bDpT10_ENKUlT_T0_E_clISt17integral_constantIbLb1EES1T_IbLb0EEEEDaS1P_S1Q_EUlS1P_E_NS1_11comp_targetILNS1_3genE10ELNS1_11target_archE1200ELNS1_3gpuE4ELNS1_3repE0EEENS1_30default_config_static_selectorELNS0_4arch9wavefront6targetE1EEEvS12_.num_vgpr, 0
	.set _ZN7rocprim17ROCPRIM_400000_NS6detail17trampoline_kernelINS0_13select_configILj256ELj13ELNS0_17block_load_methodE3ELS4_3ELS4_3ELNS0_20block_scan_algorithmE0ELj4294967295EEENS1_25partition_config_selectorILNS1_17partition_subalgoE4EjNS0_10empty_typeEbEEZZNS1_14partition_implILS8_4ELb0ES6_15HIP_vector_typeIjLj2EENS0_17counting_iteratorIjlEEPS9_SG_NS0_5tupleIJPjSI_NS0_16reverse_iteratorISI_EEEEENSH_IJSG_SG_SG_EEES9_SI_JZNS1_25segmented_radix_sort_implINS0_14default_configELb1EPKbPbPKlPlN2at6native12_GLOBAL__N_18offset_tEEE10hipError_tPvRmT1_PNSt15iterator_traitsIS12_E10value_typeET2_T3_PNS13_IS18_E10value_typeET4_jRbjT5_S1E_jjP12ihipStream_tbEUljE_ZNSN_ISO_Lb1ESQ_SR_ST_SU_SY_EESZ_S10_S11_S12_S16_S17_S18_S1B_S1C_jS1D_jS1E_S1E_jjS1G_bEUljE0_EEESZ_S10_S11_S18_S1C_S1E_T6_T7_T9_mT8_S1G_bDpT10_ENKUlT_T0_E_clISt17integral_constantIbLb1EES1T_IbLb0EEEEDaS1P_S1Q_EUlS1P_E_NS1_11comp_targetILNS1_3genE10ELNS1_11target_archE1200ELNS1_3gpuE4ELNS1_3repE0EEENS1_30default_config_static_selectorELNS0_4arch9wavefront6targetE1EEEvS12_.num_agpr, 0
	.set _ZN7rocprim17ROCPRIM_400000_NS6detail17trampoline_kernelINS0_13select_configILj256ELj13ELNS0_17block_load_methodE3ELS4_3ELS4_3ELNS0_20block_scan_algorithmE0ELj4294967295EEENS1_25partition_config_selectorILNS1_17partition_subalgoE4EjNS0_10empty_typeEbEEZZNS1_14partition_implILS8_4ELb0ES6_15HIP_vector_typeIjLj2EENS0_17counting_iteratorIjlEEPS9_SG_NS0_5tupleIJPjSI_NS0_16reverse_iteratorISI_EEEEENSH_IJSG_SG_SG_EEES9_SI_JZNS1_25segmented_radix_sort_implINS0_14default_configELb1EPKbPbPKlPlN2at6native12_GLOBAL__N_18offset_tEEE10hipError_tPvRmT1_PNSt15iterator_traitsIS12_E10value_typeET2_T3_PNS13_IS18_E10value_typeET4_jRbjT5_S1E_jjP12ihipStream_tbEUljE_ZNSN_ISO_Lb1ESQ_SR_ST_SU_SY_EESZ_S10_S11_S12_S16_S17_S18_S1B_S1C_jS1D_jS1E_S1E_jjS1G_bEUljE0_EEESZ_S10_S11_S18_S1C_S1E_T6_T7_T9_mT8_S1G_bDpT10_ENKUlT_T0_E_clISt17integral_constantIbLb1EES1T_IbLb0EEEEDaS1P_S1Q_EUlS1P_E_NS1_11comp_targetILNS1_3genE10ELNS1_11target_archE1200ELNS1_3gpuE4ELNS1_3repE0EEENS1_30default_config_static_selectorELNS0_4arch9wavefront6targetE1EEEvS12_.numbered_sgpr, 0
	.set _ZN7rocprim17ROCPRIM_400000_NS6detail17trampoline_kernelINS0_13select_configILj256ELj13ELNS0_17block_load_methodE3ELS4_3ELS4_3ELNS0_20block_scan_algorithmE0ELj4294967295EEENS1_25partition_config_selectorILNS1_17partition_subalgoE4EjNS0_10empty_typeEbEEZZNS1_14partition_implILS8_4ELb0ES6_15HIP_vector_typeIjLj2EENS0_17counting_iteratorIjlEEPS9_SG_NS0_5tupleIJPjSI_NS0_16reverse_iteratorISI_EEEEENSH_IJSG_SG_SG_EEES9_SI_JZNS1_25segmented_radix_sort_implINS0_14default_configELb1EPKbPbPKlPlN2at6native12_GLOBAL__N_18offset_tEEE10hipError_tPvRmT1_PNSt15iterator_traitsIS12_E10value_typeET2_T3_PNS13_IS18_E10value_typeET4_jRbjT5_S1E_jjP12ihipStream_tbEUljE_ZNSN_ISO_Lb1ESQ_SR_ST_SU_SY_EESZ_S10_S11_S12_S16_S17_S18_S1B_S1C_jS1D_jS1E_S1E_jjS1G_bEUljE0_EEESZ_S10_S11_S18_S1C_S1E_T6_T7_T9_mT8_S1G_bDpT10_ENKUlT_T0_E_clISt17integral_constantIbLb1EES1T_IbLb0EEEEDaS1P_S1Q_EUlS1P_E_NS1_11comp_targetILNS1_3genE10ELNS1_11target_archE1200ELNS1_3gpuE4ELNS1_3repE0EEENS1_30default_config_static_selectorELNS0_4arch9wavefront6targetE1EEEvS12_.num_named_barrier, 0
	.set _ZN7rocprim17ROCPRIM_400000_NS6detail17trampoline_kernelINS0_13select_configILj256ELj13ELNS0_17block_load_methodE3ELS4_3ELS4_3ELNS0_20block_scan_algorithmE0ELj4294967295EEENS1_25partition_config_selectorILNS1_17partition_subalgoE4EjNS0_10empty_typeEbEEZZNS1_14partition_implILS8_4ELb0ES6_15HIP_vector_typeIjLj2EENS0_17counting_iteratorIjlEEPS9_SG_NS0_5tupleIJPjSI_NS0_16reverse_iteratorISI_EEEEENSH_IJSG_SG_SG_EEES9_SI_JZNS1_25segmented_radix_sort_implINS0_14default_configELb1EPKbPbPKlPlN2at6native12_GLOBAL__N_18offset_tEEE10hipError_tPvRmT1_PNSt15iterator_traitsIS12_E10value_typeET2_T3_PNS13_IS18_E10value_typeET4_jRbjT5_S1E_jjP12ihipStream_tbEUljE_ZNSN_ISO_Lb1ESQ_SR_ST_SU_SY_EESZ_S10_S11_S12_S16_S17_S18_S1B_S1C_jS1D_jS1E_S1E_jjS1G_bEUljE0_EEESZ_S10_S11_S18_S1C_S1E_T6_T7_T9_mT8_S1G_bDpT10_ENKUlT_T0_E_clISt17integral_constantIbLb1EES1T_IbLb0EEEEDaS1P_S1Q_EUlS1P_E_NS1_11comp_targetILNS1_3genE10ELNS1_11target_archE1200ELNS1_3gpuE4ELNS1_3repE0EEENS1_30default_config_static_selectorELNS0_4arch9wavefront6targetE1EEEvS12_.private_seg_size, 0
	.set _ZN7rocprim17ROCPRIM_400000_NS6detail17trampoline_kernelINS0_13select_configILj256ELj13ELNS0_17block_load_methodE3ELS4_3ELS4_3ELNS0_20block_scan_algorithmE0ELj4294967295EEENS1_25partition_config_selectorILNS1_17partition_subalgoE4EjNS0_10empty_typeEbEEZZNS1_14partition_implILS8_4ELb0ES6_15HIP_vector_typeIjLj2EENS0_17counting_iteratorIjlEEPS9_SG_NS0_5tupleIJPjSI_NS0_16reverse_iteratorISI_EEEEENSH_IJSG_SG_SG_EEES9_SI_JZNS1_25segmented_radix_sort_implINS0_14default_configELb1EPKbPbPKlPlN2at6native12_GLOBAL__N_18offset_tEEE10hipError_tPvRmT1_PNSt15iterator_traitsIS12_E10value_typeET2_T3_PNS13_IS18_E10value_typeET4_jRbjT5_S1E_jjP12ihipStream_tbEUljE_ZNSN_ISO_Lb1ESQ_SR_ST_SU_SY_EESZ_S10_S11_S12_S16_S17_S18_S1B_S1C_jS1D_jS1E_S1E_jjS1G_bEUljE0_EEESZ_S10_S11_S18_S1C_S1E_T6_T7_T9_mT8_S1G_bDpT10_ENKUlT_T0_E_clISt17integral_constantIbLb1EES1T_IbLb0EEEEDaS1P_S1Q_EUlS1P_E_NS1_11comp_targetILNS1_3genE10ELNS1_11target_archE1200ELNS1_3gpuE4ELNS1_3repE0EEENS1_30default_config_static_selectorELNS0_4arch9wavefront6targetE1EEEvS12_.uses_vcc, 0
	.set _ZN7rocprim17ROCPRIM_400000_NS6detail17trampoline_kernelINS0_13select_configILj256ELj13ELNS0_17block_load_methodE3ELS4_3ELS4_3ELNS0_20block_scan_algorithmE0ELj4294967295EEENS1_25partition_config_selectorILNS1_17partition_subalgoE4EjNS0_10empty_typeEbEEZZNS1_14partition_implILS8_4ELb0ES6_15HIP_vector_typeIjLj2EENS0_17counting_iteratorIjlEEPS9_SG_NS0_5tupleIJPjSI_NS0_16reverse_iteratorISI_EEEEENSH_IJSG_SG_SG_EEES9_SI_JZNS1_25segmented_radix_sort_implINS0_14default_configELb1EPKbPbPKlPlN2at6native12_GLOBAL__N_18offset_tEEE10hipError_tPvRmT1_PNSt15iterator_traitsIS12_E10value_typeET2_T3_PNS13_IS18_E10value_typeET4_jRbjT5_S1E_jjP12ihipStream_tbEUljE_ZNSN_ISO_Lb1ESQ_SR_ST_SU_SY_EESZ_S10_S11_S12_S16_S17_S18_S1B_S1C_jS1D_jS1E_S1E_jjS1G_bEUljE0_EEESZ_S10_S11_S18_S1C_S1E_T6_T7_T9_mT8_S1G_bDpT10_ENKUlT_T0_E_clISt17integral_constantIbLb1EES1T_IbLb0EEEEDaS1P_S1Q_EUlS1P_E_NS1_11comp_targetILNS1_3genE10ELNS1_11target_archE1200ELNS1_3gpuE4ELNS1_3repE0EEENS1_30default_config_static_selectorELNS0_4arch9wavefront6targetE1EEEvS12_.uses_flat_scratch, 0
	.set _ZN7rocprim17ROCPRIM_400000_NS6detail17trampoline_kernelINS0_13select_configILj256ELj13ELNS0_17block_load_methodE3ELS4_3ELS4_3ELNS0_20block_scan_algorithmE0ELj4294967295EEENS1_25partition_config_selectorILNS1_17partition_subalgoE4EjNS0_10empty_typeEbEEZZNS1_14partition_implILS8_4ELb0ES6_15HIP_vector_typeIjLj2EENS0_17counting_iteratorIjlEEPS9_SG_NS0_5tupleIJPjSI_NS0_16reverse_iteratorISI_EEEEENSH_IJSG_SG_SG_EEES9_SI_JZNS1_25segmented_radix_sort_implINS0_14default_configELb1EPKbPbPKlPlN2at6native12_GLOBAL__N_18offset_tEEE10hipError_tPvRmT1_PNSt15iterator_traitsIS12_E10value_typeET2_T3_PNS13_IS18_E10value_typeET4_jRbjT5_S1E_jjP12ihipStream_tbEUljE_ZNSN_ISO_Lb1ESQ_SR_ST_SU_SY_EESZ_S10_S11_S12_S16_S17_S18_S1B_S1C_jS1D_jS1E_S1E_jjS1G_bEUljE0_EEESZ_S10_S11_S18_S1C_S1E_T6_T7_T9_mT8_S1G_bDpT10_ENKUlT_T0_E_clISt17integral_constantIbLb1EES1T_IbLb0EEEEDaS1P_S1Q_EUlS1P_E_NS1_11comp_targetILNS1_3genE10ELNS1_11target_archE1200ELNS1_3gpuE4ELNS1_3repE0EEENS1_30default_config_static_selectorELNS0_4arch9wavefront6targetE1EEEvS12_.has_dyn_sized_stack, 0
	.set _ZN7rocprim17ROCPRIM_400000_NS6detail17trampoline_kernelINS0_13select_configILj256ELj13ELNS0_17block_load_methodE3ELS4_3ELS4_3ELNS0_20block_scan_algorithmE0ELj4294967295EEENS1_25partition_config_selectorILNS1_17partition_subalgoE4EjNS0_10empty_typeEbEEZZNS1_14partition_implILS8_4ELb0ES6_15HIP_vector_typeIjLj2EENS0_17counting_iteratorIjlEEPS9_SG_NS0_5tupleIJPjSI_NS0_16reverse_iteratorISI_EEEEENSH_IJSG_SG_SG_EEES9_SI_JZNS1_25segmented_radix_sort_implINS0_14default_configELb1EPKbPbPKlPlN2at6native12_GLOBAL__N_18offset_tEEE10hipError_tPvRmT1_PNSt15iterator_traitsIS12_E10value_typeET2_T3_PNS13_IS18_E10value_typeET4_jRbjT5_S1E_jjP12ihipStream_tbEUljE_ZNSN_ISO_Lb1ESQ_SR_ST_SU_SY_EESZ_S10_S11_S12_S16_S17_S18_S1B_S1C_jS1D_jS1E_S1E_jjS1G_bEUljE0_EEESZ_S10_S11_S18_S1C_S1E_T6_T7_T9_mT8_S1G_bDpT10_ENKUlT_T0_E_clISt17integral_constantIbLb1EES1T_IbLb0EEEEDaS1P_S1Q_EUlS1P_E_NS1_11comp_targetILNS1_3genE10ELNS1_11target_archE1200ELNS1_3gpuE4ELNS1_3repE0EEENS1_30default_config_static_selectorELNS0_4arch9wavefront6targetE1EEEvS12_.has_recursion, 0
	.set _ZN7rocprim17ROCPRIM_400000_NS6detail17trampoline_kernelINS0_13select_configILj256ELj13ELNS0_17block_load_methodE3ELS4_3ELS4_3ELNS0_20block_scan_algorithmE0ELj4294967295EEENS1_25partition_config_selectorILNS1_17partition_subalgoE4EjNS0_10empty_typeEbEEZZNS1_14partition_implILS8_4ELb0ES6_15HIP_vector_typeIjLj2EENS0_17counting_iteratorIjlEEPS9_SG_NS0_5tupleIJPjSI_NS0_16reverse_iteratorISI_EEEEENSH_IJSG_SG_SG_EEES9_SI_JZNS1_25segmented_radix_sort_implINS0_14default_configELb1EPKbPbPKlPlN2at6native12_GLOBAL__N_18offset_tEEE10hipError_tPvRmT1_PNSt15iterator_traitsIS12_E10value_typeET2_T3_PNS13_IS18_E10value_typeET4_jRbjT5_S1E_jjP12ihipStream_tbEUljE_ZNSN_ISO_Lb1ESQ_SR_ST_SU_SY_EESZ_S10_S11_S12_S16_S17_S18_S1B_S1C_jS1D_jS1E_S1E_jjS1G_bEUljE0_EEESZ_S10_S11_S18_S1C_S1E_T6_T7_T9_mT8_S1G_bDpT10_ENKUlT_T0_E_clISt17integral_constantIbLb1EES1T_IbLb0EEEEDaS1P_S1Q_EUlS1P_E_NS1_11comp_targetILNS1_3genE10ELNS1_11target_archE1200ELNS1_3gpuE4ELNS1_3repE0EEENS1_30default_config_static_selectorELNS0_4arch9wavefront6targetE1EEEvS12_.has_indirect_call, 0
	.section	.AMDGPU.csdata,"",@progbits
; Kernel info:
; codeLenInByte = 0
; TotalNumSgprs: 4
; NumVgprs: 0
; ScratchSize: 0
; MemoryBound: 0
; FloatMode: 240
; IeeeMode: 1
; LDSByteSize: 0 bytes/workgroup (compile time only)
; SGPRBlocks: 0
; VGPRBlocks: 0
; NumSGPRsForWavesPerEU: 4
; NumVGPRsForWavesPerEU: 1
; Occupancy: 10
; WaveLimiterHint : 0
; COMPUTE_PGM_RSRC2:SCRATCH_EN: 0
; COMPUTE_PGM_RSRC2:USER_SGPR: 6
; COMPUTE_PGM_RSRC2:TRAP_HANDLER: 0
; COMPUTE_PGM_RSRC2:TGID_X_EN: 1
; COMPUTE_PGM_RSRC2:TGID_Y_EN: 0
; COMPUTE_PGM_RSRC2:TGID_Z_EN: 0
; COMPUTE_PGM_RSRC2:TIDIG_COMP_CNT: 0
	.section	.text._ZN7rocprim17ROCPRIM_400000_NS6detail17trampoline_kernelINS0_13select_configILj256ELj13ELNS0_17block_load_methodE3ELS4_3ELS4_3ELNS0_20block_scan_algorithmE0ELj4294967295EEENS1_25partition_config_selectorILNS1_17partition_subalgoE4EjNS0_10empty_typeEbEEZZNS1_14partition_implILS8_4ELb0ES6_15HIP_vector_typeIjLj2EENS0_17counting_iteratorIjlEEPS9_SG_NS0_5tupleIJPjSI_NS0_16reverse_iteratorISI_EEEEENSH_IJSG_SG_SG_EEES9_SI_JZNS1_25segmented_radix_sort_implINS0_14default_configELb1EPKbPbPKlPlN2at6native12_GLOBAL__N_18offset_tEEE10hipError_tPvRmT1_PNSt15iterator_traitsIS12_E10value_typeET2_T3_PNS13_IS18_E10value_typeET4_jRbjT5_S1E_jjP12ihipStream_tbEUljE_ZNSN_ISO_Lb1ESQ_SR_ST_SU_SY_EESZ_S10_S11_S12_S16_S17_S18_S1B_S1C_jS1D_jS1E_S1E_jjS1G_bEUljE0_EEESZ_S10_S11_S18_S1C_S1E_T6_T7_T9_mT8_S1G_bDpT10_ENKUlT_T0_E_clISt17integral_constantIbLb1EES1T_IbLb0EEEEDaS1P_S1Q_EUlS1P_E_NS1_11comp_targetILNS1_3genE9ELNS1_11target_archE1100ELNS1_3gpuE3ELNS1_3repE0EEENS1_30default_config_static_selectorELNS0_4arch9wavefront6targetE1EEEvS12_,"axG",@progbits,_ZN7rocprim17ROCPRIM_400000_NS6detail17trampoline_kernelINS0_13select_configILj256ELj13ELNS0_17block_load_methodE3ELS4_3ELS4_3ELNS0_20block_scan_algorithmE0ELj4294967295EEENS1_25partition_config_selectorILNS1_17partition_subalgoE4EjNS0_10empty_typeEbEEZZNS1_14partition_implILS8_4ELb0ES6_15HIP_vector_typeIjLj2EENS0_17counting_iteratorIjlEEPS9_SG_NS0_5tupleIJPjSI_NS0_16reverse_iteratorISI_EEEEENSH_IJSG_SG_SG_EEES9_SI_JZNS1_25segmented_radix_sort_implINS0_14default_configELb1EPKbPbPKlPlN2at6native12_GLOBAL__N_18offset_tEEE10hipError_tPvRmT1_PNSt15iterator_traitsIS12_E10value_typeET2_T3_PNS13_IS18_E10value_typeET4_jRbjT5_S1E_jjP12ihipStream_tbEUljE_ZNSN_ISO_Lb1ESQ_SR_ST_SU_SY_EESZ_S10_S11_S12_S16_S17_S18_S1B_S1C_jS1D_jS1E_S1E_jjS1G_bEUljE0_EEESZ_S10_S11_S18_S1C_S1E_T6_T7_T9_mT8_S1G_bDpT10_ENKUlT_T0_E_clISt17integral_constantIbLb1EES1T_IbLb0EEEEDaS1P_S1Q_EUlS1P_E_NS1_11comp_targetILNS1_3genE9ELNS1_11target_archE1100ELNS1_3gpuE3ELNS1_3repE0EEENS1_30default_config_static_selectorELNS0_4arch9wavefront6targetE1EEEvS12_,comdat
	.globl	_ZN7rocprim17ROCPRIM_400000_NS6detail17trampoline_kernelINS0_13select_configILj256ELj13ELNS0_17block_load_methodE3ELS4_3ELS4_3ELNS0_20block_scan_algorithmE0ELj4294967295EEENS1_25partition_config_selectorILNS1_17partition_subalgoE4EjNS0_10empty_typeEbEEZZNS1_14partition_implILS8_4ELb0ES6_15HIP_vector_typeIjLj2EENS0_17counting_iteratorIjlEEPS9_SG_NS0_5tupleIJPjSI_NS0_16reverse_iteratorISI_EEEEENSH_IJSG_SG_SG_EEES9_SI_JZNS1_25segmented_radix_sort_implINS0_14default_configELb1EPKbPbPKlPlN2at6native12_GLOBAL__N_18offset_tEEE10hipError_tPvRmT1_PNSt15iterator_traitsIS12_E10value_typeET2_T3_PNS13_IS18_E10value_typeET4_jRbjT5_S1E_jjP12ihipStream_tbEUljE_ZNSN_ISO_Lb1ESQ_SR_ST_SU_SY_EESZ_S10_S11_S12_S16_S17_S18_S1B_S1C_jS1D_jS1E_S1E_jjS1G_bEUljE0_EEESZ_S10_S11_S18_S1C_S1E_T6_T7_T9_mT8_S1G_bDpT10_ENKUlT_T0_E_clISt17integral_constantIbLb1EES1T_IbLb0EEEEDaS1P_S1Q_EUlS1P_E_NS1_11comp_targetILNS1_3genE9ELNS1_11target_archE1100ELNS1_3gpuE3ELNS1_3repE0EEENS1_30default_config_static_selectorELNS0_4arch9wavefront6targetE1EEEvS12_ ; -- Begin function _ZN7rocprim17ROCPRIM_400000_NS6detail17trampoline_kernelINS0_13select_configILj256ELj13ELNS0_17block_load_methodE3ELS4_3ELS4_3ELNS0_20block_scan_algorithmE0ELj4294967295EEENS1_25partition_config_selectorILNS1_17partition_subalgoE4EjNS0_10empty_typeEbEEZZNS1_14partition_implILS8_4ELb0ES6_15HIP_vector_typeIjLj2EENS0_17counting_iteratorIjlEEPS9_SG_NS0_5tupleIJPjSI_NS0_16reverse_iteratorISI_EEEEENSH_IJSG_SG_SG_EEES9_SI_JZNS1_25segmented_radix_sort_implINS0_14default_configELb1EPKbPbPKlPlN2at6native12_GLOBAL__N_18offset_tEEE10hipError_tPvRmT1_PNSt15iterator_traitsIS12_E10value_typeET2_T3_PNS13_IS18_E10value_typeET4_jRbjT5_S1E_jjP12ihipStream_tbEUljE_ZNSN_ISO_Lb1ESQ_SR_ST_SU_SY_EESZ_S10_S11_S12_S16_S17_S18_S1B_S1C_jS1D_jS1E_S1E_jjS1G_bEUljE0_EEESZ_S10_S11_S18_S1C_S1E_T6_T7_T9_mT8_S1G_bDpT10_ENKUlT_T0_E_clISt17integral_constantIbLb1EES1T_IbLb0EEEEDaS1P_S1Q_EUlS1P_E_NS1_11comp_targetILNS1_3genE9ELNS1_11target_archE1100ELNS1_3gpuE3ELNS1_3repE0EEENS1_30default_config_static_selectorELNS0_4arch9wavefront6targetE1EEEvS12_
	.p2align	8
	.type	_ZN7rocprim17ROCPRIM_400000_NS6detail17trampoline_kernelINS0_13select_configILj256ELj13ELNS0_17block_load_methodE3ELS4_3ELS4_3ELNS0_20block_scan_algorithmE0ELj4294967295EEENS1_25partition_config_selectorILNS1_17partition_subalgoE4EjNS0_10empty_typeEbEEZZNS1_14partition_implILS8_4ELb0ES6_15HIP_vector_typeIjLj2EENS0_17counting_iteratorIjlEEPS9_SG_NS0_5tupleIJPjSI_NS0_16reverse_iteratorISI_EEEEENSH_IJSG_SG_SG_EEES9_SI_JZNS1_25segmented_radix_sort_implINS0_14default_configELb1EPKbPbPKlPlN2at6native12_GLOBAL__N_18offset_tEEE10hipError_tPvRmT1_PNSt15iterator_traitsIS12_E10value_typeET2_T3_PNS13_IS18_E10value_typeET4_jRbjT5_S1E_jjP12ihipStream_tbEUljE_ZNSN_ISO_Lb1ESQ_SR_ST_SU_SY_EESZ_S10_S11_S12_S16_S17_S18_S1B_S1C_jS1D_jS1E_S1E_jjS1G_bEUljE0_EEESZ_S10_S11_S18_S1C_S1E_T6_T7_T9_mT8_S1G_bDpT10_ENKUlT_T0_E_clISt17integral_constantIbLb1EES1T_IbLb0EEEEDaS1P_S1Q_EUlS1P_E_NS1_11comp_targetILNS1_3genE9ELNS1_11target_archE1100ELNS1_3gpuE3ELNS1_3repE0EEENS1_30default_config_static_selectorELNS0_4arch9wavefront6targetE1EEEvS12_,@function
_ZN7rocprim17ROCPRIM_400000_NS6detail17trampoline_kernelINS0_13select_configILj256ELj13ELNS0_17block_load_methodE3ELS4_3ELS4_3ELNS0_20block_scan_algorithmE0ELj4294967295EEENS1_25partition_config_selectorILNS1_17partition_subalgoE4EjNS0_10empty_typeEbEEZZNS1_14partition_implILS8_4ELb0ES6_15HIP_vector_typeIjLj2EENS0_17counting_iteratorIjlEEPS9_SG_NS0_5tupleIJPjSI_NS0_16reverse_iteratorISI_EEEEENSH_IJSG_SG_SG_EEES9_SI_JZNS1_25segmented_radix_sort_implINS0_14default_configELb1EPKbPbPKlPlN2at6native12_GLOBAL__N_18offset_tEEE10hipError_tPvRmT1_PNSt15iterator_traitsIS12_E10value_typeET2_T3_PNS13_IS18_E10value_typeET4_jRbjT5_S1E_jjP12ihipStream_tbEUljE_ZNSN_ISO_Lb1ESQ_SR_ST_SU_SY_EESZ_S10_S11_S12_S16_S17_S18_S1B_S1C_jS1D_jS1E_S1E_jjS1G_bEUljE0_EEESZ_S10_S11_S18_S1C_S1E_T6_T7_T9_mT8_S1G_bDpT10_ENKUlT_T0_E_clISt17integral_constantIbLb1EES1T_IbLb0EEEEDaS1P_S1Q_EUlS1P_E_NS1_11comp_targetILNS1_3genE9ELNS1_11target_archE1100ELNS1_3gpuE3ELNS1_3repE0EEENS1_30default_config_static_selectorELNS0_4arch9wavefront6targetE1EEEvS12_: ; @_ZN7rocprim17ROCPRIM_400000_NS6detail17trampoline_kernelINS0_13select_configILj256ELj13ELNS0_17block_load_methodE3ELS4_3ELS4_3ELNS0_20block_scan_algorithmE0ELj4294967295EEENS1_25partition_config_selectorILNS1_17partition_subalgoE4EjNS0_10empty_typeEbEEZZNS1_14partition_implILS8_4ELb0ES6_15HIP_vector_typeIjLj2EENS0_17counting_iteratorIjlEEPS9_SG_NS0_5tupleIJPjSI_NS0_16reverse_iteratorISI_EEEEENSH_IJSG_SG_SG_EEES9_SI_JZNS1_25segmented_radix_sort_implINS0_14default_configELb1EPKbPbPKlPlN2at6native12_GLOBAL__N_18offset_tEEE10hipError_tPvRmT1_PNSt15iterator_traitsIS12_E10value_typeET2_T3_PNS13_IS18_E10value_typeET4_jRbjT5_S1E_jjP12ihipStream_tbEUljE_ZNSN_ISO_Lb1ESQ_SR_ST_SU_SY_EESZ_S10_S11_S12_S16_S17_S18_S1B_S1C_jS1D_jS1E_S1E_jjS1G_bEUljE0_EEESZ_S10_S11_S18_S1C_S1E_T6_T7_T9_mT8_S1G_bDpT10_ENKUlT_T0_E_clISt17integral_constantIbLb1EES1T_IbLb0EEEEDaS1P_S1Q_EUlS1P_E_NS1_11comp_targetILNS1_3genE9ELNS1_11target_archE1100ELNS1_3gpuE3ELNS1_3repE0EEENS1_30default_config_static_selectorELNS0_4arch9wavefront6targetE1EEEvS12_
; %bb.0:
	.section	.rodata,"a",@progbits
	.p2align	6, 0x0
	.amdhsa_kernel _ZN7rocprim17ROCPRIM_400000_NS6detail17trampoline_kernelINS0_13select_configILj256ELj13ELNS0_17block_load_methodE3ELS4_3ELS4_3ELNS0_20block_scan_algorithmE0ELj4294967295EEENS1_25partition_config_selectorILNS1_17partition_subalgoE4EjNS0_10empty_typeEbEEZZNS1_14partition_implILS8_4ELb0ES6_15HIP_vector_typeIjLj2EENS0_17counting_iteratorIjlEEPS9_SG_NS0_5tupleIJPjSI_NS0_16reverse_iteratorISI_EEEEENSH_IJSG_SG_SG_EEES9_SI_JZNS1_25segmented_radix_sort_implINS0_14default_configELb1EPKbPbPKlPlN2at6native12_GLOBAL__N_18offset_tEEE10hipError_tPvRmT1_PNSt15iterator_traitsIS12_E10value_typeET2_T3_PNS13_IS18_E10value_typeET4_jRbjT5_S1E_jjP12ihipStream_tbEUljE_ZNSN_ISO_Lb1ESQ_SR_ST_SU_SY_EESZ_S10_S11_S12_S16_S17_S18_S1B_S1C_jS1D_jS1E_S1E_jjS1G_bEUljE0_EEESZ_S10_S11_S18_S1C_S1E_T6_T7_T9_mT8_S1G_bDpT10_ENKUlT_T0_E_clISt17integral_constantIbLb1EES1T_IbLb0EEEEDaS1P_S1Q_EUlS1P_E_NS1_11comp_targetILNS1_3genE9ELNS1_11target_archE1100ELNS1_3gpuE3ELNS1_3repE0EEENS1_30default_config_static_selectorELNS0_4arch9wavefront6targetE1EEEvS12_
		.amdhsa_group_segment_fixed_size 0
		.amdhsa_private_segment_fixed_size 0
		.amdhsa_kernarg_size 176
		.amdhsa_user_sgpr_count 6
		.amdhsa_user_sgpr_private_segment_buffer 1
		.amdhsa_user_sgpr_dispatch_ptr 0
		.amdhsa_user_sgpr_queue_ptr 0
		.amdhsa_user_sgpr_kernarg_segment_ptr 1
		.amdhsa_user_sgpr_dispatch_id 0
		.amdhsa_user_sgpr_flat_scratch_init 0
		.amdhsa_user_sgpr_private_segment_size 0
		.amdhsa_uses_dynamic_stack 0
		.amdhsa_system_sgpr_private_segment_wavefront_offset 0
		.amdhsa_system_sgpr_workgroup_id_x 1
		.amdhsa_system_sgpr_workgroup_id_y 0
		.amdhsa_system_sgpr_workgroup_id_z 0
		.amdhsa_system_sgpr_workgroup_info 0
		.amdhsa_system_vgpr_workitem_id 0
		.amdhsa_next_free_vgpr 1
		.amdhsa_next_free_sgpr 0
		.amdhsa_reserve_vcc 0
		.amdhsa_reserve_flat_scratch 0
		.amdhsa_float_round_mode_32 0
		.amdhsa_float_round_mode_16_64 0
		.amdhsa_float_denorm_mode_32 3
		.amdhsa_float_denorm_mode_16_64 3
		.amdhsa_dx10_clamp 1
		.amdhsa_ieee_mode 1
		.amdhsa_fp16_overflow 0
		.amdhsa_exception_fp_ieee_invalid_op 0
		.amdhsa_exception_fp_denorm_src 0
		.amdhsa_exception_fp_ieee_div_zero 0
		.amdhsa_exception_fp_ieee_overflow 0
		.amdhsa_exception_fp_ieee_underflow 0
		.amdhsa_exception_fp_ieee_inexact 0
		.amdhsa_exception_int_div_zero 0
	.end_amdhsa_kernel
	.section	.text._ZN7rocprim17ROCPRIM_400000_NS6detail17trampoline_kernelINS0_13select_configILj256ELj13ELNS0_17block_load_methodE3ELS4_3ELS4_3ELNS0_20block_scan_algorithmE0ELj4294967295EEENS1_25partition_config_selectorILNS1_17partition_subalgoE4EjNS0_10empty_typeEbEEZZNS1_14partition_implILS8_4ELb0ES6_15HIP_vector_typeIjLj2EENS0_17counting_iteratorIjlEEPS9_SG_NS0_5tupleIJPjSI_NS0_16reverse_iteratorISI_EEEEENSH_IJSG_SG_SG_EEES9_SI_JZNS1_25segmented_radix_sort_implINS0_14default_configELb1EPKbPbPKlPlN2at6native12_GLOBAL__N_18offset_tEEE10hipError_tPvRmT1_PNSt15iterator_traitsIS12_E10value_typeET2_T3_PNS13_IS18_E10value_typeET4_jRbjT5_S1E_jjP12ihipStream_tbEUljE_ZNSN_ISO_Lb1ESQ_SR_ST_SU_SY_EESZ_S10_S11_S12_S16_S17_S18_S1B_S1C_jS1D_jS1E_S1E_jjS1G_bEUljE0_EEESZ_S10_S11_S18_S1C_S1E_T6_T7_T9_mT8_S1G_bDpT10_ENKUlT_T0_E_clISt17integral_constantIbLb1EES1T_IbLb0EEEEDaS1P_S1Q_EUlS1P_E_NS1_11comp_targetILNS1_3genE9ELNS1_11target_archE1100ELNS1_3gpuE3ELNS1_3repE0EEENS1_30default_config_static_selectorELNS0_4arch9wavefront6targetE1EEEvS12_,"axG",@progbits,_ZN7rocprim17ROCPRIM_400000_NS6detail17trampoline_kernelINS0_13select_configILj256ELj13ELNS0_17block_load_methodE3ELS4_3ELS4_3ELNS0_20block_scan_algorithmE0ELj4294967295EEENS1_25partition_config_selectorILNS1_17partition_subalgoE4EjNS0_10empty_typeEbEEZZNS1_14partition_implILS8_4ELb0ES6_15HIP_vector_typeIjLj2EENS0_17counting_iteratorIjlEEPS9_SG_NS0_5tupleIJPjSI_NS0_16reverse_iteratorISI_EEEEENSH_IJSG_SG_SG_EEES9_SI_JZNS1_25segmented_radix_sort_implINS0_14default_configELb1EPKbPbPKlPlN2at6native12_GLOBAL__N_18offset_tEEE10hipError_tPvRmT1_PNSt15iterator_traitsIS12_E10value_typeET2_T3_PNS13_IS18_E10value_typeET4_jRbjT5_S1E_jjP12ihipStream_tbEUljE_ZNSN_ISO_Lb1ESQ_SR_ST_SU_SY_EESZ_S10_S11_S12_S16_S17_S18_S1B_S1C_jS1D_jS1E_S1E_jjS1G_bEUljE0_EEESZ_S10_S11_S18_S1C_S1E_T6_T7_T9_mT8_S1G_bDpT10_ENKUlT_T0_E_clISt17integral_constantIbLb1EES1T_IbLb0EEEEDaS1P_S1Q_EUlS1P_E_NS1_11comp_targetILNS1_3genE9ELNS1_11target_archE1100ELNS1_3gpuE3ELNS1_3repE0EEENS1_30default_config_static_selectorELNS0_4arch9wavefront6targetE1EEEvS12_,comdat
.Lfunc_end1490:
	.size	_ZN7rocprim17ROCPRIM_400000_NS6detail17trampoline_kernelINS0_13select_configILj256ELj13ELNS0_17block_load_methodE3ELS4_3ELS4_3ELNS0_20block_scan_algorithmE0ELj4294967295EEENS1_25partition_config_selectorILNS1_17partition_subalgoE4EjNS0_10empty_typeEbEEZZNS1_14partition_implILS8_4ELb0ES6_15HIP_vector_typeIjLj2EENS0_17counting_iteratorIjlEEPS9_SG_NS0_5tupleIJPjSI_NS0_16reverse_iteratorISI_EEEEENSH_IJSG_SG_SG_EEES9_SI_JZNS1_25segmented_radix_sort_implINS0_14default_configELb1EPKbPbPKlPlN2at6native12_GLOBAL__N_18offset_tEEE10hipError_tPvRmT1_PNSt15iterator_traitsIS12_E10value_typeET2_T3_PNS13_IS18_E10value_typeET4_jRbjT5_S1E_jjP12ihipStream_tbEUljE_ZNSN_ISO_Lb1ESQ_SR_ST_SU_SY_EESZ_S10_S11_S12_S16_S17_S18_S1B_S1C_jS1D_jS1E_S1E_jjS1G_bEUljE0_EEESZ_S10_S11_S18_S1C_S1E_T6_T7_T9_mT8_S1G_bDpT10_ENKUlT_T0_E_clISt17integral_constantIbLb1EES1T_IbLb0EEEEDaS1P_S1Q_EUlS1P_E_NS1_11comp_targetILNS1_3genE9ELNS1_11target_archE1100ELNS1_3gpuE3ELNS1_3repE0EEENS1_30default_config_static_selectorELNS0_4arch9wavefront6targetE1EEEvS12_, .Lfunc_end1490-_ZN7rocprim17ROCPRIM_400000_NS6detail17trampoline_kernelINS0_13select_configILj256ELj13ELNS0_17block_load_methodE3ELS4_3ELS4_3ELNS0_20block_scan_algorithmE0ELj4294967295EEENS1_25partition_config_selectorILNS1_17partition_subalgoE4EjNS0_10empty_typeEbEEZZNS1_14partition_implILS8_4ELb0ES6_15HIP_vector_typeIjLj2EENS0_17counting_iteratorIjlEEPS9_SG_NS0_5tupleIJPjSI_NS0_16reverse_iteratorISI_EEEEENSH_IJSG_SG_SG_EEES9_SI_JZNS1_25segmented_radix_sort_implINS0_14default_configELb1EPKbPbPKlPlN2at6native12_GLOBAL__N_18offset_tEEE10hipError_tPvRmT1_PNSt15iterator_traitsIS12_E10value_typeET2_T3_PNS13_IS18_E10value_typeET4_jRbjT5_S1E_jjP12ihipStream_tbEUljE_ZNSN_ISO_Lb1ESQ_SR_ST_SU_SY_EESZ_S10_S11_S12_S16_S17_S18_S1B_S1C_jS1D_jS1E_S1E_jjS1G_bEUljE0_EEESZ_S10_S11_S18_S1C_S1E_T6_T7_T9_mT8_S1G_bDpT10_ENKUlT_T0_E_clISt17integral_constantIbLb1EES1T_IbLb0EEEEDaS1P_S1Q_EUlS1P_E_NS1_11comp_targetILNS1_3genE9ELNS1_11target_archE1100ELNS1_3gpuE3ELNS1_3repE0EEENS1_30default_config_static_selectorELNS0_4arch9wavefront6targetE1EEEvS12_
                                        ; -- End function
	.set _ZN7rocprim17ROCPRIM_400000_NS6detail17trampoline_kernelINS0_13select_configILj256ELj13ELNS0_17block_load_methodE3ELS4_3ELS4_3ELNS0_20block_scan_algorithmE0ELj4294967295EEENS1_25partition_config_selectorILNS1_17partition_subalgoE4EjNS0_10empty_typeEbEEZZNS1_14partition_implILS8_4ELb0ES6_15HIP_vector_typeIjLj2EENS0_17counting_iteratorIjlEEPS9_SG_NS0_5tupleIJPjSI_NS0_16reverse_iteratorISI_EEEEENSH_IJSG_SG_SG_EEES9_SI_JZNS1_25segmented_radix_sort_implINS0_14default_configELb1EPKbPbPKlPlN2at6native12_GLOBAL__N_18offset_tEEE10hipError_tPvRmT1_PNSt15iterator_traitsIS12_E10value_typeET2_T3_PNS13_IS18_E10value_typeET4_jRbjT5_S1E_jjP12ihipStream_tbEUljE_ZNSN_ISO_Lb1ESQ_SR_ST_SU_SY_EESZ_S10_S11_S12_S16_S17_S18_S1B_S1C_jS1D_jS1E_S1E_jjS1G_bEUljE0_EEESZ_S10_S11_S18_S1C_S1E_T6_T7_T9_mT8_S1G_bDpT10_ENKUlT_T0_E_clISt17integral_constantIbLb1EES1T_IbLb0EEEEDaS1P_S1Q_EUlS1P_E_NS1_11comp_targetILNS1_3genE9ELNS1_11target_archE1100ELNS1_3gpuE3ELNS1_3repE0EEENS1_30default_config_static_selectorELNS0_4arch9wavefront6targetE1EEEvS12_.num_vgpr, 0
	.set _ZN7rocprim17ROCPRIM_400000_NS6detail17trampoline_kernelINS0_13select_configILj256ELj13ELNS0_17block_load_methodE3ELS4_3ELS4_3ELNS0_20block_scan_algorithmE0ELj4294967295EEENS1_25partition_config_selectorILNS1_17partition_subalgoE4EjNS0_10empty_typeEbEEZZNS1_14partition_implILS8_4ELb0ES6_15HIP_vector_typeIjLj2EENS0_17counting_iteratorIjlEEPS9_SG_NS0_5tupleIJPjSI_NS0_16reverse_iteratorISI_EEEEENSH_IJSG_SG_SG_EEES9_SI_JZNS1_25segmented_radix_sort_implINS0_14default_configELb1EPKbPbPKlPlN2at6native12_GLOBAL__N_18offset_tEEE10hipError_tPvRmT1_PNSt15iterator_traitsIS12_E10value_typeET2_T3_PNS13_IS18_E10value_typeET4_jRbjT5_S1E_jjP12ihipStream_tbEUljE_ZNSN_ISO_Lb1ESQ_SR_ST_SU_SY_EESZ_S10_S11_S12_S16_S17_S18_S1B_S1C_jS1D_jS1E_S1E_jjS1G_bEUljE0_EEESZ_S10_S11_S18_S1C_S1E_T6_T7_T9_mT8_S1G_bDpT10_ENKUlT_T0_E_clISt17integral_constantIbLb1EES1T_IbLb0EEEEDaS1P_S1Q_EUlS1P_E_NS1_11comp_targetILNS1_3genE9ELNS1_11target_archE1100ELNS1_3gpuE3ELNS1_3repE0EEENS1_30default_config_static_selectorELNS0_4arch9wavefront6targetE1EEEvS12_.num_agpr, 0
	.set _ZN7rocprim17ROCPRIM_400000_NS6detail17trampoline_kernelINS0_13select_configILj256ELj13ELNS0_17block_load_methodE3ELS4_3ELS4_3ELNS0_20block_scan_algorithmE0ELj4294967295EEENS1_25partition_config_selectorILNS1_17partition_subalgoE4EjNS0_10empty_typeEbEEZZNS1_14partition_implILS8_4ELb0ES6_15HIP_vector_typeIjLj2EENS0_17counting_iteratorIjlEEPS9_SG_NS0_5tupleIJPjSI_NS0_16reverse_iteratorISI_EEEEENSH_IJSG_SG_SG_EEES9_SI_JZNS1_25segmented_radix_sort_implINS0_14default_configELb1EPKbPbPKlPlN2at6native12_GLOBAL__N_18offset_tEEE10hipError_tPvRmT1_PNSt15iterator_traitsIS12_E10value_typeET2_T3_PNS13_IS18_E10value_typeET4_jRbjT5_S1E_jjP12ihipStream_tbEUljE_ZNSN_ISO_Lb1ESQ_SR_ST_SU_SY_EESZ_S10_S11_S12_S16_S17_S18_S1B_S1C_jS1D_jS1E_S1E_jjS1G_bEUljE0_EEESZ_S10_S11_S18_S1C_S1E_T6_T7_T9_mT8_S1G_bDpT10_ENKUlT_T0_E_clISt17integral_constantIbLb1EES1T_IbLb0EEEEDaS1P_S1Q_EUlS1P_E_NS1_11comp_targetILNS1_3genE9ELNS1_11target_archE1100ELNS1_3gpuE3ELNS1_3repE0EEENS1_30default_config_static_selectorELNS0_4arch9wavefront6targetE1EEEvS12_.numbered_sgpr, 0
	.set _ZN7rocprim17ROCPRIM_400000_NS6detail17trampoline_kernelINS0_13select_configILj256ELj13ELNS0_17block_load_methodE3ELS4_3ELS4_3ELNS0_20block_scan_algorithmE0ELj4294967295EEENS1_25partition_config_selectorILNS1_17partition_subalgoE4EjNS0_10empty_typeEbEEZZNS1_14partition_implILS8_4ELb0ES6_15HIP_vector_typeIjLj2EENS0_17counting_iteratorIjlEEPS9_SG_NS0_5tupleIJPjSI_NS0_16reverse_iteratorISI_EEEEENSH_IJSG_SG_SG_EEES9_SI_JZNS1_25segmented_radix_sort_implINS0_14default_configELb1EPKbPbPKlPlN2at6native12_GLOBAL__N_18offset_tEEE10hipError_tPvRmT1_PNSt15iterator_traitsIS12_E10value_typeET2_T3_PNS13_IS18_E10value_typeET4_jRbjT5_S1E_jjP12ihipStream_tbEUljE_ZNSN_ISO_Lb1ESQ_SR_ST_SU_SY_EESZ_S10_S11_S12_S16_S17_S18_S1B_S1C_jS1D_jS1E_S1E_jjS1G_bEUljE0_EEESZ_S10_S11_S18_S1C_S1E_T6_T7_T9_mT8_S1G_bDpT10_ENKUlT_T0_E_clISt17integral_constantIbLb1EES1T_IbLb0EEEEDaS1P_S1Q_EUlS1P_E_NS1_11comp_targetILNS1_3genE9ELNS1_11target_archE1100ELNS1_3gpuE3ELNS1_3repE0EEENS1_30default_config_static_selectorELNS0_4arch9wavefront6targetE1EEEvS12_.num_named_barrier, 0
	.set _ZN7rocprim17ROCPRIM_400000_NS6detail17trampoline_kernelINS0_13select_configILj256ELj13ELNS0_17block_load_methodE3ELS4_3ELS4_3ELNS0_20block_scan_algorithmE0ELj4294967295EEENS1_25partition_config_selectorILNS1_17partition_subalgoE4EjNS0_10empty_typeEbEEZZNS1_14partition_implILS8_4ELb0ES6_15HIP_vector_typeIjLj2EENS0_17counting_iteratorIjlEEPS9_SG_NS0_5tupleIJPjSI_NS0_16reverse_iteratorISI_EEEEENSH_IJSG_SG_SG_EEES9_SI_JZNS1_25segmented_radix_sort_implINS0_14default_configELb1EPKbPbPKlPlN2at6native12_GLOBAL__N_18offset_tEEE10hipError_tPvRmT1_PNSt15iterator_traitsIS12_E10value_typeET2_T3_PNS13_IS18_E10value_typeET4_jRbjT5_S1E_jjP12ihipStream_tbEUljE_ZNSN_ISO_Lb1ESQ_SR_ST_SU_SY_EESZ_S10_S11_S12_S16_S17_S18_S1B_S1C_jS1D_jS1E_S1E_jjS1G_bEUljE0_EEESZ_S10_S11_S18_S1C_S1E_T6_T7_T9_mT8_S1G_bDpT10_ENKUlT_T0_E_clISt17integral_constantIbLb1EES1T_IbLb0EEEEDaS1P_S1Q_EUlS1P_E_NS1_11comp_targetILNS1_3genE9ELNS1_11target_archE1100ELNS1_3gpuE3ELNS1_3repE0EEENS1_30default_config_static_selectorELNS0_4arch9wavefront6targetE1EEEvS12_.private_seg_size, 0
	.set _ZN7rocprim17ROCPRIM_400000_NS6detail17trampoline_kernelINS0_13select_configILj256ELj13ELNS0_17block_load_methodE3ELS4_3ELS4_3ELNS0_20block_scan_algorithmE0ELj4294967295EEENS1_25partition_config_selectorILNS1_17partition_subalgoE4EjNS0_10empty_typeEbEEZZNS1_14partition_implILS8_4ELb0ES6_15HIP_vector_typeIjLj2EENS0_17counting_iteratorIjlEEPS9_SG_NS0_5tupleIJPjSI_NS0_16reverse_iteratorISI_EEEEENSH_IJSG_SG_SG_EEES9_SI_JZNS1_25segmented_radix_sort_implINS0_14default_configELb1EPKbPbPKlPlN2at6native12_GLOBAL__N_18offset_tEEE10hipError_tPvRmT1_PNSt15iterator_traitsIS12_E10value_typeET2_T3_PNS13_IS18_E10value_typeET4_jRbjT5_S1E_jjP12ihipStream_tbEUljE_ZNSN_ISO_Lb1ESQ_SR_ST_SU_SY_EESZ_S10_S11_S12_S16_S17_S18_S1B_S1C_jS1D_jS1E_S1E_jjS1G_bEUljE0_EEESZ_S10_S11_S18_S1C_S1E_T6_T7_T9_mT8_S1G_bDpT10_ENKUlT_T0_E_clISt17integral_constantIbLb1EES1T_IbLb0EEEEDaS1P_S1Q_EUlS1P_E_NS1_11comp_targetILNS1_3genE9ELNS1_11target_archE1100ELNS1_3gpuE3ELNS1_3repE0EEENS1_30default_config_static_selectorELNS0_4arch9wavefront6targetE1EEEvS12_.uses_vcc, 0
	.set _ZN7rocprim17ROCPRIM_400000_NS6detail17trampoline_kernelINS0_13select_configILj256ELj13ELNS0_17block_load_methodE3ELS4_3ELS4_3ELNS0_20block_scan_algorithmE0ELj4294967295EEENS1_25partition_config_selectorILNS1_17partition_subalgoE4EjNS0_10empty_typeEbEEZZNS1_14partition_implILS8_4ELb0ES6_15HIP_vector_typeIjLj2EENS0_17counting_iteratorIjlEEPS9_SG_NS0_5tupleIJPjSI_NS0_16reverse_iteratorISI_EEEEENSH_IJSG_SG_SG_EEES9_SI_JZNS1_25segmented_radix_sort_implINS0_14default_configELb1EPKbPbPKlPlN2at6native12_GLOBAL__N_18offset_tEEE10hipError_tPvRmT1_PNSt15iterator_traitsIS12_E10value_typeET2_T3_PNS13_IS18_E10value_typeET4_jRbjT5_S1E_jjP12ihipStream_tbEUljE_ZNSN_ISO_Lb1ESQ_SR_ST_SU_SY_EESZ_S10_S11_S12_S16_S17_S18_S1B_S1C_jS1D_jS1E_S1E_jjS1G_bEUljE0_EEESZ_S10_S11_S18_S1C_S1E_T6_T7_T9_mT8_S1G_bDpT10_ENKUlT_T0_E_clISt17integral_constantIbLb1EES1T_IbLb0EEEEDaS1P_S1Q_EUlS1P_E_NS1_11comp_targetILNS1_3genE9ELNS1_11target_archE1100ELNS1_3gpuE3ELNS1_3repE0EEENS1_30default_config_static_selectorELNS0_4arch9wavefront6targetE1EEEvS12_.uses_flat_scratch, 0
	.set _ZN7rocprim17ROCPRIM_400000_NS6detail17trampoline_kernelINS0_13select_configILj256ELj13ELNS0_17block_load_methodE3ELS4_3ELS4_3ELNS0_20block_scan_algorithmE0ELj4294967295EEENS1_25partition_config_selectorILNS1_17partition_subalgoE4EjNS0_10empty_typeEbEEZZNS1_14partition_implILS8_4ELb0ES6_15HIP_vector_typeIjLj2EENS0_17counting_iteratorIjlEEPS9_SG_NS0_5tupleIJPjSI_NS0_16reverse_iteratorISI_EEEEENSH_IJSG_SG_SG_EEES9_SI_JZNS1_25segmented_radix_sort_implINS0_14default_configELb1EPKbPbPKlPlN2at6native12_GLOBAL__N_18offset_tEEE10hipError_tPvRmT1_PNSt15iterator_traitsIS12_E10value_typeET2_T3_PNS13_IS18_E10value_typeET4_jRbjT5_S1E_jjP12ihipStream_tbEUljE_ZNSN_ISO_Lb1ESQ_SR_ST_SU_SY_EESZ_S10_S11_S12_S16_S17_S18_S1B_S1C_jS1D_jS1E_S1E_jjS1G_bEUljE0_EEESZ_S10_S11_S18_S1C_S1E_T6_T7_T9_mT8_S1G_bDpT10_ENKUlT_T0_E_clISt17integral_constantIbLb1EES1T_IbLb0EEEEDaS1P_S1Q_EUlS1P_E_NS1_11comp_targetILNS1_3genE9ELNS1_11target_archE1100ELNS1_3gpuE3ELNS1_3repE0EEENS1_30default_config_static_selectorELNS0_4arch9wavefront6targetE1EEEvS12_.has_dyn_sized_stack, 0
	.set _ZN7rocprim17ROCPRIM_400000_NS6detail17trampoline_kernelINS0_13select_configILj256ELj13ELNS0_17block_load_methodE3ELS4_3ELS4_3ELNS0_20block_scan_algorithmE0ELj4294967295EEENS1_25partition_config_selectorILNS1_17partition_subalgoE4EjNS0_10empty_typeEbEEZZNS1_14partition_implILS8_4ELb0ES6_15HIP_vector_typeIjLj2EENS0_17counting_iteratorIjlEEPS9_SG_NS0_5tupleIJPjSI_NS0_16reverse_iteratorISI_EEEEENSH_IJSG_SG_SG_EEES9_SI_JZNS1_25segmented_radix_sort_implINS0_14default_configELb1EPKbPbPKlPlN2at6native12_GLOBAL__N_18offset_tEEE10hipError_tPvRmT1_PNSt15iterator_traitsIS12_E10value_typeET2_T3_PNS13_IS18_E10value_typeET4_jRbjT5_S1E_jjP12ihipStream_tbEUljE_ZNSN_ISO_Lb1ESQ_SR_ST_SU_SY_EESZ_S10_S11_S12_S16_S17_S18_S1B_S1C_jS1D_jS1E_S1E_jjS1G_bEUljE0_EEESZ_S10_S11_S18_S1C_S1E_T6_T7_T9_mT8_S1G_bDpT10_ENKUlT_T0_E_clISt17integral_constantIbLb1EES1T_IbLb0EEEEDaS1P_S1Q_EUlS1P_E_NS1_11comp_targetILNS1_3genE9ELNS1_11target_archE1100ELNS1_3gpuE3ELNS1_3repE0EEENS1_30default_config_static_selectorELNS0_4arch9wavefront6targetE1EEEvS12_.has_recursion, 0
	.set _ZN7rocprim17ROCPRIM_400000_NS6detail17trampoline_kernelINS0_13select_configILj256ELj13ELNS0_17block_load_methodE3ELS4_3ELS4_3ELNS0_20block_scan_algorithmE0ELj4294967295EEENS1_25partition_config_selectorILNS1_17partition_subalgoE4EjNS0_10empty_typeEbEEZZNS1_14partition_implILS8_4ELb0ES6_15HIP_vector_typeIjLj2EENS0_17counting_iteratorIjlEEPS9_SG_NS0_5tupleIJPjSI_NS0_16reverse_iteratorISI_EEEEENSH_IJSG_SG_SG_EEES9_SI_JZNS1_25segmented_radix_sort_implINS0_14default_configELb1EPKbPbPKlPlN2at6native12_GLOBAL__N_18offset_tEEE10hipError_tPvRmT1_PNSt15iterator_traitsIS12_E10value_typeET2_T3_PNS13_IS18_E10value_typeET4_jRbjT5_S1E_jjP12ihipStream_tbEUljE_ZNSN_ISO_Lb1ESQ_SR_ST_SU_SY_EESZ_S10_S11_S12_S16_S17_S18_S1B_S1C_jS1D_jS1E_S1E_jjS1G_bEUljE0_EEESZ_S10_S11_S18_S1C_S1E_T6_T7_T9_mT8_S1G_bDpT10_ENKUlT_T0_E_clISt17integral_constantIbLb1EES1T_IbLb0EEEEDaS1P_S1Q_EUlS1P_E_NS1_11comp_targetILNS1_3genE9ELNS1_11target_archE1100ELNS1_3gpuE3ELNS1_3repE0EEENS1_30default_config_static_selectorELNS0_4arch9wavefront6targetE1EEEvS12_.has_indirect_call, 0
	.section	.AMDGPU.csdata,"",@progbits
; Kernel info:
; codeLenInByte = 0
; TotalNumSgprs: 4
; NumVgprs: 0
; ScratchSize: 0
; MemoryBound: 0
; FloatMode: 240
; IeeeMode: 1
; LDSByteSize: 0 bytes/workgroup (compile time only)
; SGPRBlocks: 0
; VGPRBlocks: 0
; NumSGPRsForWavesPerEU: 4
; NumVGPRsForWavesPerEU: 1
; Occupancy: 10
; WaveLimiterHint : 0
; COMPUTE_PGM_RSRC2:SCRATCH_EN: 0
; COMPUTE_PGM_RSRC2:USER_SGPR: 6
; COMPUTE_PGM_RSRC2:TRAP_HANDLER: 0
; COMPUTE_PGM_RSRC2:TGID_X_EN: 1
; COMPUTE_PGM_RSRC2:TGID_Y_EN: 0
; COMPUTE_PGM_RSRC2:TGID_Z_EN: 0
; COMPUTE_PGM_RSRC2:TIDIG_COMP_CNT: 0
	.section	.text._ZN7rocprim17ROCPRIM_400000_NS6detail17trampoline_kernelINS0_13select_configILj256ELj13ELNS0_17block_load_methodE3ELS4_3ELS4_3ELNS0_20block_scan_algorithmE0ELj4294967295EEENS1_25partition_config_selectorILNS1_17partition_subalgoE4EjNS0_10empty_typeEbEEZZNS1_14partition_implILS8_4ELb0ES6_15HIP_vector_typeIjLj2EENS0_17counting_iteratorIjlEEPS9_SG_NS0_5tupleIJPjSI_NS0_16reverse_iteratorISI_EEEEENSH_IJSG_SG_SG_EEES9_SI_JZNS1_25segmented_radix_sort_implINS0_14default_configELb1EPKbPbPKlPlN2at6native12_GLOBAL__N_18offset_tEEE10hipError_tPvRmT1_PNSt15iterator_traitsIS12_E10value_typeET2_T3_PNS13_IS18_E10value_typeET4_jRbjT5_S1E_jjP12ihipStream_tbEUljE_ZNSN_ISO_Lb1ESQ_SR_ST_SU_SY_EESZ_S10_S11_S12_S16_S17_S18_S1B_S1C_jS1D_jS1E_S1E_jjS1G_bEUljE0_EEESZ_S10_S11_S18_S1C_S1E_T6_T7_T9_mT8_S1G_bDpT10_ENKUlT_T0_E_clISt17integral_constantIbLb1EES1T_IbLb0EEEEDaS1P_S1Q_EUlS1P_E_NS1_11comp_targetILNS1_3genE8ELNS1_11target_archE1030ELNS1_3gpuE2ELNS1_3repE0EEENS1_30default_config_static_selectorELNS0_4arch9wavefront6targetE1EEEvS12_,"axG",@progbits,_ZN7rocprim17ROCPRIM_400000_NS6detail17trampoline_kernelINS0_13select_configILj256ELj13ELNS0_17block_load_methodE3ELS4_3ELS4_3ELNS0_20block_scan_algorithmE0ELj4294967295EEENS1_25partition_config_selectorILNS1_17partition_subalgoE4EjNS0_10empty_typeEbEEZZNS1_14partition_implILS8_4ELb0ES6_15HIP_vector_typeIjLj2EENS0_17counting_iteratorIjlEEPS9_SG_NS0_5tupleIJPjSI_NS0_16reverse_iteratorISI_EEEEENSH_IJSG_SG_SG_EEES9_SI_JZNS1_25segmented_radix_sort_implINS0_14default_configELb1EPKbPbPKlPlN2at6native12_GLOBAL__N_18offset_tEEE10hipError_tPvRmT1_PNSt15iterator_traitsIS12_E10value_typeET2_T3_PNS13_IS18_E10value_typeET4_jRbjT5_S1E_jjP12ihipStream_tbEUljE_ZNSN_ISO_Lb1ESQ_SR_ST_SU_SY_EESZ_S10_S11_S12_S16_S17_S18_S1B_S1C_jS1D_jS1E_S1E_jjS1G_bEUljE0_EEESZ_S10_S11_S18_S1C_S1E_T6_T7_T9_mT8_S1G_bDpT10_ENKUlT_T0_E_clISt17integral_constantIbLb1EES1T_IbLb0EEEEDaS1P_S1Q_EUlS1P_E_NS1_11comp_targetILNS1_3genE8ELNS1_11target_archE1030ELNS1_3gpuE2ELNS1_3repE0EEENS1_30default_config_static_selectorELNS0_4arch9wavefront6targetE1EEEvS12_,comdat
	.globl	_ZN7rocprim17ROCPRIM_400000_NS6detail17trampoline_kernelINS0_13select_configILj256ELj13ELNS0_17block_load_methodE3ELS4_3ELS4_3ELNS0_20block_scan_algorithmE0ELj4294967295EEENS1_25partition_config_selectorILNS1_17partition_subalgoE4EjNS0_10empty_typeEbEEZZNS1_14partition_implILS8_4ELb0ES6_15HIP_vector_typeIjLj2EENS0_17counting_iteratorIjlEEPS9_SG_NS0_5tupleIJPjSI_NS0_16reverse_iteratorISI_EEEEENSH_IJSG_SG_SG_EEES9_SI_JZNS1_25segmented_radix_sort_implINS0_14default_configELb1EPKbPbPKlPlN2at6native12_GLOBAL__N_18offset_tEEE10hipError_tPvRmT1_PNSt15iterator_traitsIS12_E10value_typeET2_T3_PNS13_IS18_E10value_typeET4_jRbjT5_S1E_jjP12ihipStream_tbEUljE_ZNSN_ISO_Lb1ESQ_SR_ST_SU_SY_EESZ_S10_S11_S12_S16_S17_S18_S1B_S1C_jS1D_jS1E_S1E_jjS1G_bEUljE0_EEESZ_S10_S11_S18_S1C_S1E_T6_T7_T9_mT8_S1G_bDpT10_ENKUlT_T0_E_clISt17integral_constantIbLb1EES1T_IbLb0EEEEDaS1P_S1Q_EUlS1P_E_NS1_11comp_targetILNS1_3genE8ELNS1_11target_archE1030ELNS1_3gpuE2ELNS1_3repE0EEENS1_30default_config_static_selectorELNS0_4arch9wavefront6targetE1EEEvS12_ ; -- Begin function _ZN7rocprim17ROCPRIM_400000_NS6detail17trampoline_kernelINS0_13select_configILj256ELj13ELNS0_17block_load_methodE3ELS4_3ELS4_3ELNS0_20block_scan_algorithmE0ELj4294967295EEENS1_25partition_config_selectorILNS1_17partition_subalgoE4EjNS0_10empty_typeEbEEZZNS1_14partition_implILS8_4ELb0ES6_15HIP_vector_typeIjLj2EENS0_17counting_iteratorIjlEEPS9_SG_NS0_5tupleIJPjSI_NS0_16reverse_iteratorISI_EEEEENSH_IJSG_SG_SG_EEES9_SI_JZNS1_25segmented_radix_sort_implINS0_14default_configELb1EPKbPbPKlPlN2at6native12_GLOBAL__N_18offset_tEEE10hipError_tPvRmT1_PNSt15iterator_traitsIS12_E10value_typeET2_T3_PNS13_IS18_E10value_typeET4_jRbjT5_S1E_jjP12ihipStream_tbEUljE_ZNSN_ISO_Lb1ESQ_SR_ST_SU_SY_EESZ_S10_S11_S12_S16_S17_S18_S1B_S1C_jS1D_jS1E_S1E_jjS1G_bEUljE0_EEESZ_S10_S11_S18_S1C_S1E_T6_T7_T9_mT8_S1G_bDpT10_ENKUlT_T0_E_clISt17integral_constantIbLb1EES1T_IbLb0EEEEDaS1P_S1Q_EUlS1P_E_NS1_11comp_targetILNS1_3genE8ELNS1_11target_archE1030ELNS1_3gpuE2ELNS1_3repE0EEENS1_30default_config_static_selectorELNS0_4arch9wavefront6targetE1EEEvS12_
	.p2align	8
	.type	_ZN7rocprim17ROCPRIM_400000_NS6detail17trampoline_kernelINS0_13select_configILj256ELj13ELNS0_17block_load_methodE3ELS4_3ELS4_3ELNS0_20block_scan_algorithmE0ELj4294967295EEENS1_25partition_config_selectorILNS1_17partition_subalgoE4EjNS0_10empty_typeEbEEZZNS1_14partition_implILS8_4ELb0ES6_15HIP_vector_typeIjLj2EENS0_17counting_iteratorIjlEEPS9_SG_NS0_5tupleIJPjSI_NS0_16reverse_iteratorISI_EEEEENSH_IJSG_SG_SG_EEES9_SI_JZNS1_25segmented_radix_sort_implINS0_14default_configELb1EPKbPbPKlPlN2at6native12_GLOBAL__N_18offset_tEEE10hipError_tPvRmT1_PNSt15iterator_traitsIS12_E10value_typeET2_T3_PNS13_IS18_E10value_typeET4_jRbjT5_S1E_jjP12ihipStream_tbEUljE_ZNSN_ISO_Lb1ESQ_SR_ST_SU_SY_EESZ_S10_S11_S12_S16_S17_S18_S1B_S1C_jS1D_jS1E_S1E_jjS1G_bEUljE0_EEESZ_S10_S11_S18_S1C_S1E_T6_T7_T9_mT8_S1G_bDpT10_ENKUlT_T0_E_clISt17integral_constantIbLb1EES1T_IbLb0EEEEDaS1P_S1Q_EUlS1P_E_NS1_11comp_targetILNS1_3genE8ELNS1_11target_archE1030ELNS1_3gpuE2ELNS1_3repE0EEENS1_30default_config_static_selectorELNS0_4arch9wavefront6targetE1EEEvS12_,@function
_ZN7rocprim17ROCPRIM_400000_NS6detail17trampoline_kernelINS0_13select_configILj256ELj13ELNS0_17block_load_methodE3ELS4_3ELS4_3ELNS0_20block_scan_algorithmE0ELj4294967295EEENS1_25partition_config_selectorILNS1_17partition_subalgoE4EjNS0_10empty_typeEbEEZZNS1_14partition_implILS8_4ELb0ES6_15HIP_vector_typeIjLj2EENS0_17counting_iteratorIjlEEPS9_SG_NS0_5tupleIJPjSI_NS0_16reverse_iteratorISI_EEEEENSH_IJSG_SG_SG_EEES9_SI_JZNS1_25segmented_radix_sort_implINS0_14default_configELb1EPKbPbPKlPlN2at6native12_GLOBAL__N_18offset_tEEE10hipError_tPvRmT1_PNSt15iterator_traitsIS12_E10value_typeET2_T3_PNS13_IS18_E10value_typeET4_jRbjT5_S1E_jjP12ihipStream_tbEUljE_ZNSN_ISO_Lb1ESQ_SR_ST_SU_SY_EESZ_S10_S11_S12_S16_S17_S18_S1B_S1C_jS1D_jS1E_S1E_jjS1G_bEUljE0_EEESZ_S10_S11_S18_S1C_S1E_T6_T7_T9_mT8_S1G_bDpT10_ENKUlT_T0_E_clISt17integral_constantIbLb1EES1T_IbLb0EEEEDaS1P_S1Q_EUlS1P_E_NS1_11comp_targetILNS1_3genE8ELNS1_11target_archE1030ELNS1_3gpuE2ELNS1_3repE0EEENS1_30default_config_static_selectorELNS0_4arch9wavefront6targetE1EEEvS12_: ; @_ZN7rocprim17ROCPRIM_400000_NS6detail17trampoline_kernelINS0_13select_configILj256ELj13ELNS0_17block_load_methodE3ELS4_3ELS4_3ELNS0_20block_scan_algorithmE0ELj4294967295EEENS1_25partition_config_selectorILNS1_17partition_subalgoE4EjNS0_10empty_typeEbEEZZNS1_14partition_implILS8_4ELb0ES6_15HIP_vector_typeIjLj2EENS0_17counting_iteratorIjlEEPS9_SG_NS0_5tupleIJPjSI_NS0_16reverse_iteratorISI_EEEEENSH_IJSG_SG_SG_EEES9_SI_JZNS1_25segmented_radix_sort_implINS0_14default_configELb1EPKbPbPKlPlN2at6native12_GLOBAL__N_18offset_tEEE10hipError_tPvRmT1_PNSt15iterator_traitsIS12_E10value_typeET2_T3_PNS13_IS18_E10value_typeET4_jRbjT5_S1E_jjP12ihipStream_tbEUljE_ZNSN_ISO_Lb1ESQ_SR_ST_SU_SY_EESZ_S10_S11_S12_S16_S17_S18_S1B_S1C_jS1D_jS1E_S1E_jjS1G_bEUljE0_EEESZ_S10_S11_S18_S1C_S1E_T6_T7_T9_mT8_S1G_bDpT10_ENKUlT_T0_E_clISt17integral_constantIbLb1EES1T_IbLb0EEEEDaS1P_S1Q_EUlS1P_E_NS1_11comp_targetILNS1_3genE8ELNS1_11target_archE1030ELNS1_3gpuE2ELNS1_3repE0EEENS1_30default_config_static_selectorELNS0_4arch9wavefront6targetE1EEEvS12_
; %bb.0:
	.section	.rodata,"a",@progbits
	.p2align	6, 0x0
	.amdhsa_kernel _ZN7rocprim17ROCPRIM_400000_NS6detail17trampoline_kernelINS0_13select_configILj256ELj13ELNS0_17block_load_methodE3ELS4_3ELS4_3ELNS0_20block_scan_algorithmE0ELj4294967295EEENS1_25partition_config_selectorILNS1_17partition_subalgoE4EjNS0_10empty_typeEbEEZZNS1_14partition_implILS8_4ELb0ES6_15HIP_vector_typeIjLj2EENS0_17counting_iteratorIjlEEPS9_SG_NS0_5tupleIJPjSI_NS0_16reverse_iteratorISI_EEEEENSH_IJSG_SG_SG_EEES9_SI_JZNS1_25segmented_radix_sort_implINS0_14default_configELb1EPKbPbPKlPlN2at6native12_GLOBAL__N_18offset_tEEE10hipError_tPvRmT1_PNSt15iterator_traitsIS12_E10value_typeET2_T3_PNS13_IS18_E10value_typeET4_jRbjT5_S1E_jjP12ihipStream_tbEUljE_ZNSN_ISO_Lb1ESQ_SR_ST_SU_SY_EESZ_S10_S11_S12_S16_S17_S18_S1B_S1C_jS1D_jS1E_S1E_jjS1G_bEUljE0_EEESZ_S10_S11_S18_S1C_S1E_T6_T7_T9_mT8_S1G_bDpT10_ENKUlT_T0_E_clISt17integral_constantIbLb1EES1T_IbLb0EEEEDaS1P_S1Q_EUlS1P_E_NS1_11comp_targetILNS1_3genE8ELNS1_11target_archE1030ELNS1_3gpuE2ELNS1_3repE0EEENS1_30default_config_static_selectorELNS0_4arch9wavefront6targetE1EEEvS12_
		.amdhsa_group_segment_fixed_size 0
		.amdhsa_private_segment_fixed_size 0
		.amdhsa_kernarg_size 176
		.amdhsa_user_sgpr_count 6
		.amdhsa_user_sgpr_private_segment_buffer 1
		.amdhsa_user_sgpr_dispatch_ptr 0
		.amdhsa_user_sgpr_queue_ptr 0
		.amdhsa_user_sgpr_kernarg_segment_ptr 1
		.amdhsa_user_sgpr_dispatch_id 0
		.amdhsa_user_sgpr_flat_scratch_init 0
		.amdhsa_user_sgpr_private_segment_size 0
		.amdhsa_uses_dynamic_stack 0
		.amdhsa_system_sgpr_private_segment_wavefront_offset 0
		.amdhsa_system_sgpr_workgroup_id_x 1
		.amdhsa_system_sgpr_workgroup_id_y 0
		.amdhsa_system_sgpr_workgroup_id_z 0
		.amdhsa_system_sgpr_workgroup_info 0
		.amdhsa_system_vgpr_workitem_id 0
		.amdhsa_next_free_vgpr 1
		.amdhsa_next_free_sgpr 0
		.amdhsa_reserve_vcc 0
		.amdhsa_reserve_flat_scratch 0
		.amdhsa_float_round_mode_32 0
		.amdhsa_float_round_mode_16_64 0
		.amdhsa_float_denorm_mode_32 3
		.amdhsa_float_denorm_mode_16_64 3
		.amdhsa_dx10_clamp 1
		.amdhsa_ieee_mode 1
		.amdhsa_fp16_overflow 0
		.amdhsa_exception_fp_ieee_invalid_op 0
		.amdhsa_exception_fp_denorm_src 0
		.amdhsa_exception_fp_ieee_div_zero 0
		.amdhsa_exception_fp_ieee_overflow 0
		.amdhsa_exception_fp_ieee_underflow 0
		.amdhsa_exception_fp_ieee_inexact 0
		.amdhsa_exception_int_div_zero 0
	.end_amdhsa_kernel
	.section	.text._ZN7rocprim17ROCPRIM_400000_NS6detail17trampoline_kernelINS0_13select_configILj256ELj13ELNS0_17block_load_methodE3ELS4_3ELS4_3ELNS0_20block_scan_algorithmE0ELj4294967295EEENS1_25partition_config_selectorILNS1_17partition_subalgoE4EjNS0_10empty_typeEbEEZZNS1_14partition_implILS8_4ELb0ES6_15HIP_vector_typeIjLj2EENS0_17counting_iteratorIjlEEPS9_SG_NS0_5tupleIJPjSI_NS0_16reverse_iteratorISI_EEEEENSH_IJSG_SG_SG_EEES9_SI_JZNS1_25segmented_radix_sort_implINS0_14default_configELb1EPKbPbPKlPlN2at6native12_GLOBAL__N_18offset_tEEE10hipError_tPvRmT1_PNSt15iterator_traitsIS12_E10value_typeET2_T3_PNS13_IS18_E10value_typeET4_jRbjT5_S1E_jjP12ihipStream_tbEUljE_ZNSN_ISO_Lb1ESQ_SR_ST_SU_SY_EESZ_S10_S11_S12_S16_S17_S18_S1B_S1C_jS1D_jS1E_S1E_jjS1G_bEUljE0_EEESZ_S10_S11_S18_S1C_S1E_T6_T7_T9_mT8_S1G_bDpT10_ENKUlT_T0_E_clISt17integral_constantIbLb1EES1T_IbLb0EEEEDaS1P_S1Q_EUlS1P_E_NS1_11comp_targetILNS1_3genE8ELNS1_11target_archE1030ELNS1_3gpuE2ELNS1_3repE0EEENS1_30default_config_static_selectorELNS0_4arch9wavefront6targetE1EEEvS12_,"axG",@progbits,_ZN7rocprim17ROCPRIM_400000_NS6detail17trampoline_kernelINS0_13select_configILj256ELj13ELNS0_17block_load_methodE3ELS4_3ELS4_3ELNS0_20block_scan_algorithmE0ELj4294967295EEENS1_25partition_config_selectorILNS1_17partition_subalgoE4EjNS0_10empty_typeEbEEZZNS1_14partition_implILS8_4ELb0ES6_15HIP_vector_typeIjLj2EENS0_17counting_iteratorIjlEEPS9_SG_NS0_5tupleIJPjSI_NS0_16reverse_iteratorISI_EEEEENSH_IJSG_SG_SG_EEES9_SI_JZNS1_25segmented_radix_sort_implINS0_14default_configELb1EPKbPbPKlPlN2at6native12_GLOBAL__N_18offset_tEEE10hipError_tPvRmT1_PNSt15iterator_traitsIS12_E10value_typeET2_T3_PNS13_IS18_E10value_typeET4_jRbjT5_S1E_jjP12ihipStream_tbEUljE_ZNSN_ISO_Lb1ESQ_SR_ST_SU_SY_EESZ_S10_S11_S12_S16_S17_S18_S1B_S1C_jS1D_jS1E_S1E_jjS1G_bEUljE0_EEESZ_S10_S11_S18_S1C_S1E_T6_T7_T9_mT8_S1G_bDpT10_ENKUlT_T0_E_clISt17integral_constantIbLb1EES1T_IbLb0EEEEDaS1P_S1Q_EUlS1P_E_NS1_11comp_targetILNS1_3genE8ELNS1_11target_archE1030ELNS1_3gpuE2ELNS1_3repE0EEENS1_30default_config_static_selectorELNS0_4arch9wavefront6targetE1EEEvS12_,comdat
.Lfunc_end1491:
	.size	_ZN7rocprim17ROCPRIM_400000_NS6detail17trampoline_kernelINS0_13select_configILj256ELj13ELNS0_17block_load_methodE3ELS4_3ELS4_3ELNS0_20block_scan_algorithmE0ELj4294967295EEENS1_25partition_config_selectorILNS1_17partition_subalgoE4EjNS0_10empty_typeEbEEZZNS1_14partition_implILS8_4ELb0ES6_15HIP_vector_typeIjLj2EENS0_17counting_iteratorIjlEEPS9_SG_NS0_5tupleIJPjSI_NS0_16reverse_iteratorISI_EEEEENSH_IJSG_SG_SG_EEES9_SI_JZNS1_25segmented_radix_sort_implINS0_14default_configELb1EPKbPbPKlPlN2at6native12_GLOBAL__N_18offset_tEEE10hipError_tPvRmT1_PNSt15iterator_traitsIS12_E10value_typeET2_T3_PNS13_IS18_E10value_typeET4_jRbjT5_S1E_jjP12ihipStream_tbEUljE_ZNSN_ISO_Lb1ESQ_SR_ST_SU_SY_EESZ_S10_S11_S12_S16_S17_S18_S1B_S1C_jS1D_jS1E_S1E_jjS1G_bEUljE0_EEESZ_S10_S11_S18_S1C_S1E_T6_T7_T9_mT8_S1G_bDpT10_ENKUlT_T0_E_clISt17integral_constantIbLb1EES1T_IbLb0EEEEDaS1P_S1Q_EUlS1P_E_NS1_11comp_targetILNS1_3genE8ELNS1_11target_archE1030ELNS1_3gpuE2ELNS1_3repE0EEENS1_30default_config_static_selectorELNS0_4arch9wavefront6targetE1EEEvS12_, .Lfunc_end1491-_ZN7rocprim17ROCPRIM_400000_NS6detail17trampoline_kernelINS0_13select_configILj256ELj13ELNS0_17block_load_methodE3ELS4_3ELS4_3ELNS0_20block_scan_algorithmE0ELj4294967295EEENS1_25partition_config_selectorILNS1_17partition_subalgoE4EjNS0_10empty_typeEbEEZZNS1_14partition_implILS8_4ELb0ES6_15HIP_vector_typeIjLj2EENS0_17counting_iteratorIjlEEPS9_SG_NS0_5tupleIJPjSI_NS0_16reverse_iteratorISI_EEEEENSH_IJSG_SG_SG_EEES9_SI_JZNS1_25segmented_radix_sort_implINS0_14default_configELb1EPKbPbPKlPlN2at6native12_GLOBAL__N_18offset_tEEE10hipError_tPvRmT1_PNSt15iterator_traitsIS12_E10value_typeET2_T3_PNS13_IS18_E10value_typeET4_jRbjT5_S1E_jjP12ihipStream_tbEUljE_ZNSN_ISO_Lb1ESQ_SR_ST_SU_SY_EESZ_S10_S11_S12_S16_S17_S18_S1B_S1C_jS1D_jS1E_S1E_jjS1G_bEUljE0_EEESZ_S10_S11_S18_S1C_S1E_T6_T7_T9_mT8_S1G_bDpT10_ENKUlT_T0_E_clISt17integral_constantIbLb1EES1T_IbLb0EEEEDaS1P_S1Q_EUlS1P_E_NS1_11comp_targetILNS1_3genE8ELNS1_11target_archE1030ELNS1_3gpuE2ELNS1_3repE0EEENS1_30default_config_static_selectorELNS0_4arch9wavefront6targetE1EEEvS12_
                                        ; -- End function
	.set _ZN7rocprim17ROCPRIM_400000_NS6detail17trampoline_kernelINS0_13select_configILj256ELj13ELNS0_17block_load_methodE3ELS4_3ELS4_3ELNS0_20block_scan_algorithmE0ELj4294967295EEENS1_25partition_config_selectorILNS1_17partition_subalgoE4EjNS0_10empty_typeEbEEZZNS1_14partition_implILS8_4ELb0ES6_15HIP_vector_typeIjLj2EENS0_17counting_iteratorIjlEEPS9_SG_NS0_5tupleIJPjSI_NS0_16reverse_iteratorISI_EEEEENSH_IJSG_SG_SG_EEES9_SI_JZNS1_25segmented_radix_sort_implINS0_14default_configELb1EPKbPbPKlPlN2at6native12_GLOBAL__N_18offset_tEEE10hipError_tPvRmT1_PNSt15iterator_traitsIS12_E10value_typeET2_T3_PNS13_IS18_E10value_typeET4_jRbjT5_S1E_jjP12ihipStream_tbEUljE_ZNSN_ISO_Lb1ESQ_SR_ST_SU_SY_EESZ_S10_S11_S12_S16_S17_S18_S1B_S1C_jS1D_jS1E_S1E_jjS1G_bEUljE0_EEESZ_S10_S11_S18_S1C_S1E_T6_T7_T9_mT8_S1G_bDpT10_ENKUlT_T0_E_clISt17integral_constantIbLb1EES1T_IbLb0EEEEDaS1P_S1Q_EUlS1P_E_NS1_11comp_targetILNS1_3genE8ELNS1_11target_archE1030ELNS1_3gpuE2ELNS1_3repE0EEENS1_30default_config_static_selectorELNS0_4arch9wavefront6targetE1EEEvS12_.num_vgpr, 0
	.set _ZN7rocprim17ROCPRIM_400000_NS6detail17trampoline_kernelINS0_13select_configILj256ELj13ELNS0_17block_load_methodE3ELS4_3ELS4_3ELNS0_20block_scan_algorithmE0ELj4294967295EEENS1_25partition_config_selectorILNS1_17partition_subalgoE4EjNS0_10empty_typeEbEEZZNS1_14partition_implILS8_4ELb0ES6_15HIP_vector_typeIjLj2EENS0_17counting_iteratorIjlEEPS9_SG_NS0_5tupleIJPjSI_NS0_16reverse_iteratorISI_EEEEENSH_IJSG_SG_SG_EEES9_SI_JZNS1_25segmented_radix_sort_implINS0_14default_configELb1EPKbPbPKlPlN2at6native12_GLOBAL__N_18offset_tEEE10hipError_tPvRmT1_PNSt15iterator_traitsIS12_E10value_typeET2_T3_PNS13_IS18_E10value_typeET4_jRbjT5_S1E_jjP12ihipStream_tbEUljE_ZNSN_ISO_Lb1ESQ_SR_ST_SU_SY_EESZ_S10_S11_S12_S16_S17_S18_S1B_S1C_jS1D_jS1E_S1E_jjS1G_bEUljE0_EEESZ_S10_S11_S18_S1C_S1E_T6_T7_T9_mT8_S1G_bDpT10_ENKUlT_T0_E_clISt17integral_constantIbLb1EES1T_IbLb0EEEEDaS1P_S1Q_EUlS1P_E_NS1_11comp_targetILNS1_3genE8ELNS1_11target_archE1030ELNS1_3gpuE2ELNS1_3repE0EEENS1_30default_config_static_selectorELNS0_4arch9wavefront6targetE1EEEvS12_.num_agpr, 0
	.set _ZN7rocprim17ROCPRIM_400000_NS6detail17trampoline_kernelINS0_13select_configILj256ELj13ELNS0_17block_load_methodE3ELS4_3ELS4_3ELNS0_20block_scan_algorithmE0ELj4294967295EEENS1_25partition_config_selectorILNS1_17partition_subalgoE4EjNS0_10empty_typeEbEEZZNS1_14partition_implILS8_4ELb0ES6_15HIP_vector_typeIjLj2EENS0_17counting_iteratorIjlEEPS9_SG_NS0_5tupleIJPjSI_NS0_16reverse_iteratorISI_EEEEENSH_IJSG_SG_SG_EEES9_SI_JZNS1_25segmented_radix_sort_implINS0_14default_configELb1EPKbPbPKlPlN2at6native12_GLOBAL__N_18offset_tEEE10hipError_tPvRmT1_PNSt15iterator_traitsIS12_E10value_typeET2_T3_PNS13_IS18_E10value_typeET4_jRbjT5_S1E_jjP12ihipStream_tbEUljE_ZNSN_ISO_Lb1ESQ_SR_ST_SU_SY_EESZ_S10_S11_S12_S16_S17_S18_S1B_S1C_jS1D_jS1E_S1E_jjS1G_bEUljE0_EEESZ_S10_S11_S18_S1C_S1E_T6_T7_T9_mT8_S1G_bDpT10_ENKUlT_T0_E_clISt17integral_constantIbLb1EES1T_IbLb0EEEEDaS1P_S1Q_EUlS1P_E_NS1_11comp_targetILNS1_3genE8ELNS1_11target_archE1030ELNS1_3gpuE2ELNS1_3repE0EEENS1_30default_config_static_selectorELNS0_4arch9wavefront6targetE1EEEvS12_.numbered_sgpr, 0
	.set _ZN7rocprim17ROCPRIM_400000_NS6detail17trampoline_kernelINS0_13select_configILj256ELj13ELNS0_17block_load_methodE3ELS4_3ELS4_3ELNS0_20block_scan_algorithmE0ELj4294967295EEENS1_25partition_config_selectorILNS1_17partition_subalgoE4EjNS0_10empty_typeEbEEZZNS1_14partition_implILS8_4ELb0ES6_15HIP_vector_typeIjLj2EENS0_17counting_iteratorIjlEEPS9_SG_NS0_5tupleIJPjSI_NS0_16reverse_iteratorISI_EEEEENSH_IJSG_SG_SG_EEES9_SI_JZNS1_25segmented_radix_sort_implINS0_14default_configELb1EPKbPbPKlPlN2at6native12_GLOBAL__N_18offset_tEEE10hipError_tPvRmT1_PNSt15iterator_traitsIS12_E10value_typeET2_T3_PNS13_IS18_E10value_typeET4_jRbjT5_S1E_jjP12ihipStream_tbEUljE_ZNSN_ISO_Lb1ESQ_SR_ST_SU_SY_EESZ_S10_S11_S12_S16_S17_S18_S1B_S1C_jS1D_jS1E_S1E_jjS1G_bEUljE0_EEESZ_S10_S11_S18_S1C_S1E_T6_T7_T9_mT8_S1G_bDpT10_ENKUlT_T0_E_clISt17integral_constantIbLb1EES1T_IbLb0EEEEDaS1P_S1Q_EUlS1P_E_NS1_11comp_targetILNS1_3genE8ELNS1_11target_archE1030ELNS1_3gpuE2ELNS1_3repE0EEENS1_30default_config_static_selectorELNS0_4arch9wavefront6targetE1EEEvS12_.num_named_barrier, 0
	.set _ZN7rocprim17ROCPRIM_400000_NS6detail17trampoline_kernelINS0_13select_configILj256ELj13ELNS0_17block_load_methodE3ELS4_3ELS4_3ELNS0_20block_scan_algorithmE0ELj4294967295EEENS1_25partition_config_selectorILNS1_17partition_subalgoE4EjNS0_10empty_typeEbEEZZNS1_14partition_implILS8_4ELb0ES6_15HIP_vector_typeIjLj2EENS0_17counting_iteratorIjlEEPS9_SG_NS0_5tupleIJPjSI_NS0_16reverse_iteratorISI_EEEEENSH_IJSG_SG_SG_EEES9_SI_JZNS1_25segmented_radix_sort_implINS0_14default_configELb1EPKbPbPKlPlN2at6native12_GLOBAL__N_18offset_tEEE10hipError_tPvRmT1_PNSt15iterator_traitsIS12_E10value_typeET2_T3_PNS13_IS18_E10value_typeET4_jRbjT5_S1E_jjP12ihipStream_tbEUljE_ZNSN_ISO_Lb1ESQ_SR_ST_SU_SY_EESZ_S10_S11_S12_S16_S17_S18_S1B_S1C_jS1D_jS1E_S1E_jjS1G_bEUljE0_EEESZ_S10_S11_S18_S1C_S1E_T6_T7_T9_mT8_S1G_bDpT10_ENKUlT_T0_E_clISt17integral_constantIbLb1EES1T_IbLb0EEEEDaS1P_S1Q_EUlS1P_E_NS1_11comp_targetILNS1_3genE8ELNS1_11target_archE1030ELNS1_3gpuE2ELNS1_3repE0EEENS1_30default_config_static_selectorELNS0_4arch9wavefront6targetE1EEEvS12_.private_seg_size, 0
	.set _ZN7rocprim17ROCPRIM_400000_NS6detail17trampoline_kernelINS0_13select_configILj256ELj13ELNS0_17block_load_methodE3ELS4_3ELS4_3ELNS0_20block_scan_algorithmE0ELj4294967295EEENS1_25partition_config_selectorILNS1_17partition_subalgoE4EjNS0_10empty_typeEbEEZZNS1_14partition_implILS8_4ELb0ES6_15HIP_vector_typeIjLj2EENS0_17counting_iteratorIjlEEPS9_SG_NS0_5tupleIJPjSI_NS0_16reverse_iteratorISI_EEEEENSH_IJSG_SG_SG_EEES9_SI_JZNS1_25segmented_radix_sort_implINS0_14default_configELb1EPKbPbPKlPlN2at6native12_GLOBAL__N_18offset_tEEE10hipError_tPvRmT1_PNSt15iterator_traitsIS12_E10value_typeET2_T3_PNS13_IS18_E10value_typeET4_jRbjT5_S1E_jjP12ihipStream_tbEUljE_ZNSN_ISO_Lb1ESQ_SR_ST_SU_SY_EESZ_S10_S11_S12_S16_S17_S18_S1B_S1C_jS1D_jS1E_S1E_jjS1G_bEUljE0_EEESZ_S10_S11_S18_S1C_S1E_T6_T7_T9_mT8_S1G_bDpT10_ENKUlT_T0_E_clISt17integral_constantIbLb1EES1T_IbLb0EEEEDaS1P_S1Q_EUlS1P_E_NS1_11comp_targetILNS1_3genE8ELNS1_11target_archE1030ELNS1_3gpuE2ELNS1_3repE0EEENS1_30default_config_static_selectorELNS0_4arch9wavefront6targetE1EEEvS12_.uses_vcc, 0
	.set _ZN7rocprim17ROCPRIM_400000_NS6detail17trampoline_kernelINS0_13select_configILj256ELj13ELNS0_17block_load_methodE3ELS4_3ELS4_3ELNS0_20block_scan_algorithmE0ELj4294967295EEENS1_25partition_config_selectorILNS1_17partition_subalgoE4EjNS0_10empty_typeEbEEZZNS1_14partition_implILS8_4ELb0ES6_15HIP_vector_typeIjLj2EENS0_17counting_iteratorIjlEEPS9_SG_NS0_5tupleIJPjSI_NS0_16reverse_iteratorISI_EEEEENSH_IJSG_SG_SG_EEES9_SI_JZNS1_25segmented_radix_sort_implINS0_14default_configELb1EPKbPbPKlPlN2at6native12_GLOBAL__N_18offset_tEEE10hipError_tPvRmT1_PNSt15iterator_traitsIS12_E10value_typeET2_T3_PNS13_IS18_E10value_typeET4_jRbjT5_S1E_jjP12ihipStream_tbEUljE_ZNSN_ISO_Lb1ESQ_SR_ST_SU_SY_EESZ_S10_S11_S12_S16_S17_S18_S1B_S1C_jS1D_jS1E_S1E_jjS1G_bEUljE0_EEESZ_S10_S11_S18_S1C_S1E_T6_T7_T9_mT8_S1G_bDpT10_ENKUlT_T0_E_clISt17integral_constantIbLb1EES1T_IbLb0EEEEDaS1P_S1Q_EUlS1P_E_NS1_11comp_targetILNS1_3genE8ELNS1_11target_archE1030ELNS1_3gpuE2ELNS1_3repE0EEENS1_30default_config_static_selectorELNS0_4arch9wavefront6targetE1EEEvS12_.uses_flat_scratch, 0
	.set _ZN7rocprim17ROCPRIM_400000_NS6detail17trampoline_kernelINS0_13select_configILj256ELj13ELNS0_17block_load_methodE3ELS4_3ELS4_3ELNS0_20block_scan_algorithmE0ELj4294967295EEENS1_25partition_config_selectorILNS1_17partition_subalgoE4EjNS0_10empty_typeEbEEZZNS1_14partition_implILS8_4ELb0ES6_15HIP_vector_typeIjLj2EENS0_17counting_iteratorIjlEEPS9_SG_NS0_5tupleIJPjSI_NS0_16reverse_iteratorISI_EEEEENSH_IJSG_SG_SG_EEES9_SI_JZNS1_25segmented_radix_sort_implINS0_14default_configELb1EPKbPbPKlPlN2at6native12_GLOBAL__N_18offset_tEEE10hipError_tPvRmT1_PNSt15iterator_traitsIS12_E10value_typeET2_T3_PNS13_IS18_E10value_typeET4_jRbjT5_S1E_jjP12ihipStream_tbEUljE_ZNSN_ISO_Lb1ESQ_SR_ST_SU_SY_EESZ_S10_S11_S12_S16_S17_S18_S1B_S1C_jS1D_jS1E_S1E_jjS1G_bEUljE0_EEESZ_S10_S11_S18_S1C_S1E_T6_T7_T9_mT8_S1G_bDpT10_ENKUlT_T0_E_clISt17integral_constantIbLb1EES1T_IbLb0EEEEDaS1P_S1Q_EUlS1P_E_NS1_11comp_targetILNS1_3genE8ELNS1_11target_archE1030ELNS1_3gpuE2ELNS1_3repE0EEENS1_30default_config_static_selectorELNS0_4arch9wavefront6targetE1EEEvS12_.has_dyn_sized_stack, 0
	.set _ZN7rocprim17ROCPRIM_400000_NS6detail17trampoline_kernelINS0_13select_configILj256ELj13ELNS0_17block_load_methodE3ELS4_3ELS4_3ELNS0_20block_scan_algorithmE0ELj4294967295EEENS1_25partition_config_selectorILNS1_17partition_subalgoE4EjNS0_10empty_typeEbEEZZNS1_14partition_implILS8_4ELb0ES6_15HIP_vector_typeIjLj2EENS0_17counting_iteratorIjlEEPS9_SG_NS0_5tupleIJPjSI_NS0_16reverse_iteratorISI_EEEEENSH_IJSG_SG_SG_EEES9_SI_JZNS1_25segmented_radix_sort_implINS0_14default_configELb1EPKbPbPKlPlN2at6native12_GLOBAL__N_18offset_tEEE10hipError_tPvRmT1_PNSt15iterator_traitsIS12_E10value_typeET2_T3_PNS13_IS18_E10value_typeET4_jRbjT5_S1E_jjP12ihipStream_tbEUljE_ZNSN_ISO_Lb1ESQ_SR_ST_SU_SY_EESZ_S10_S11_S12_S16_S17_S18_S1B_S1C_jS1D_jS1E_S1E_jjS1G_bEUljE0_EEESZ_S10_S11_S18_S1C_S1E_T6_T7_T9_mT8_S1G_bDpT10_ENKUlT_T0_E_clISt17integral_constantIbLb1EES1T_IbLb0EEEEDaS1P_S1Q_EUlS1P_E_NS1_11comp_targetILNS1_3genE8ELNS1_11target_archE1030ELNS1_3gpuE2ELNS1_3repE0EEENS1_30default_config_static_selectorELNS0_4arch9wavefront6targetE1EEEvS12_.has_recursion, 0
	.set _ZN7rocprim17ROCPRIM_400000_NS6detail17trampoline_kernelINS0_13select_configILj256ELj13ELNS0_17block_load_methodE3ELS4_3ELS4_3ELNS0_20block_scan_algorithmE0ELj4294967295EEENS1_25partition_config_selectorILNS1_17partition_subalgoE4EjNS0_10empty_typeEbEEZZNS1_14partition_implILS8_4ELb0ES6_15HIP_vector_typeIjLj2EENS0_17counting_iteratorIjlEEPS9_SG_NS0_5tupleIJPjSI_NS0_16reverse_iteratorISI_EEEEENSH_IJSG_SG_SG_EEES9_SI_JZNS1_25segmented_radix_sort_implINS0_14default_configELb1EPKbPbPKlPlN2at6native12_GLOBAL__N_18offset_tEEE10hipError_tPvRmT1_PNSt15iterator_traitsIS12_E10value_typeET2_T3_PNS13_IS18_E10value_typeET4_jRbjT5_S1E_jjP12ihipStream_tbEUljE_ZNSN_ISO_Lb1ESQ_SR_ST_SU_SY_EESZ_S10_S11_S12_S16_S17_S18_S1B_S1C_jS1D_jS1E_S1E_jjS1G_bEUljE0_EEESZ_S10_S11_S18_S1C_S1E_T6_T7_T9_mT8_S1G_bDpT10_ENKUlT_T0_E_clISt17integral_constantIbLb1EES1T_IbLb0EEEEDaS1P_S1Q_EUlS1P_E_NS1_11comp_targetILNS1_3genE8ELNS1_11target_archE1030ELNS1_3gpuE2ELNS1_3repE0EEENS1_30default_config_static_selectorELNS0_4arch9wavefront6targetE1EEEvS12_.has_indirect_call, 0
	.section	.AMDGPU.csdata,"",@progbits
; Kernel info:
; codeLenInByte = 0
; TotalNumSgprs: 4
; NumVgprs: 0
; ScratchSize: 0
; MemoryBound: 0
; FloatMode: 240
; IeeeMode: 1
; LDSByteSize: 0 bytes/workgroup (compile time only)
; SGPRBlocks: 0
; VGPRBlocks: 0
; NumSGPRsForWavesPerEU: 4
; NumVGPRsForWavesPerEU: 1
; Occupancy: 10
; WaveLimiterHint : 0
; COMPUTE_PGM_RSRC2:SCRATCH_EN: 0
; COMPUTE_PGM_RSRC2:USER_SGPR: 6
; COMPUTE_PGM_RSRC2:TRAP_HANDLER: 0
; COMPUTE_PGM_RSRC2:TGID_X_EN: 1
; COMPUTE_PGM_RSRC2:TGID_Y_EN: 0
; COMPUTE_PGM_RSRC2:TGID_Z_EN: 0
; COMPUTE_PGM_RSRC2:TIDIG_COMP_CNT: 0
	.section	.text._ZN7rocprim17ROCPRIM_400000_NS6detail17trampoline_kernelINS0_13select_configILj256ELj13ELNS0_17block_load_methodE3ELS4_3ELS4_3ELNS0_20block_scan_algorithmE0ELj4294967295EEENS1_25partition_config_selectorILNS1_17partition_subalgoE4EjNS0_10empty_typeEbEEZZNS1_14partition_implILS8_4ELb0ES6_15HIP_vector_typeIjLj2EENS0_17counting_iteratorIjlEEPS9_SG_NS0_5tupleIJPjSI_NS0_16reverse_iteratorISI_EEEEENSH_IJSG_SG_SG_EEES9_SI_JZNS1_25segmented_radix_sort_implINS0_14default_configELb1EPKbPbPKlPlN2at6native12_GLOBAL__N_18offset_tEEE10hipError_tPvRmT1_PNSt15iterator_traitsIS12_E10value_typeET2_T3_PNS13_IS18_E10value_typeET4_jRbjT5_S1E_jjP12ihipStream_tbEUljE_ZNSN_ISO_Lb1ESQ_SR_ST_SU_SY_EESZ_S10_S11_S12_S16_S17_S18_S1B_S1C_jS1D_jS1E_S1E_jjS1G_bEUljE0_EEESZ_S10_S11_S18_S1C_S1E_T6_T7_T9_mT8_S1G_bDpT10_ENKUlT_T0_E_clISt17integral_constantIbLb0EES1T_IbLb1EEEEDaS1P_S1Q_EUlS1P_E_NS1_11comp_targetILNS1_3genE0ELNS1_11target_archE4294967295ELNS1_3gpuE0ELNS1_3repE0EEENS1_30default_config_static_selectorELNS0_4arch9wavefront6targetE1EEEvS12_,"axG",@progbits,_ZN7rocprim17ROCPRIM_400000_NS6detail17trampoline_kernelINS0_13select_configILj256ELj13ELNS0_17block_load_methodE3ELS4_3ELS4_3ELNS0_20block_scan_algorithmE0ELj4294967295EEENS1_25partition_config_selectorILNS1_17partition_subalgoE4EjNS0_10empty_typeEbEEZZNS1_14partition_implILS8_4ELb0ES6_15HIP_vector_typeIjLj2EENS0_17counting_iteratorIjlEEPS9_SG_NS0_5tupleIJPjSI_NS0_16reverse_iteratorISI_EEEEENSH_IJSG_SG_SG_EEES9_SI_JZNS1_25segmented_radix_sort_implINS0_14default_configELb1EPKbPbPKlPlN2at6native12_GLOBAL__N_18offset_tEEE10hipError_tPvRmT1_PNSt15iterator_traitsIS12_E10value_typeET2_T3_PNS13_IS18_E10value_typeET4_jRbjT5_S1E_jjP12ihipStream_tbEUljE_ZNSN_ISO_Lb1ESQ_SR_ST_SU_SY_EESZ_S10_S11_S12_S16_S17_S18_S1B_S1C_jS1D_jS1E_S1E_jjS1G_bEUljE0_EEESZ_S10_S11_S18_S1C_S1E_T6_T7_T9_mT8_S1G_bDpT10_ENKUlT_T0_E_clISt17integral_constantIbLb0EES1T_IbLb1EEEEDaS1P_S1Q_EUlS1P_E_NS1_11comp_targetILNS1_3genE0ELNS1_11target_archE4294967295ELNS1_3gpuE0ELNS1_3repE0EEENS1_30default_config_static_selectorELNS0_4arch9wavefront6targetE1EEEvS12_,comdat
	.globl	_ZN7rocprim17ROCPRIM_400000_NS6detail17trampoline_kernelINS0_13select_configILj256ELj13ELNS0_17block_load_methodE3ELS4_3ELS4_3ELNS0_20block_scan_algorithmE0ELj4294967295EEENS1_25partition_config_selectorILNS1_17partition_subalgoE4EjNS0_10empty_typeEbEEZZNS1_14partition_implILS8_4ELb0ES6_15HIP_vector_typeIjLj2EENS0_17counting_iteratorIjlEEPS9_SG_NS0_5tupleIJPjSI_NS0_16reverse_iteratorISI_EEEEENSH_IJSG_SG_SG_EEES9_SI_JZNS1_25segmented_radix_sort_implINS0_14default_configELb1EPKbPbPKlPlN2at6native12_GLOBAL__N_18offset_tEEE10hipError_tPvRmT1_PNSt15iterator_traitsIS12_E10value_typeET2_T3_PNS13_IS18_E10value_typeET4_jRbjT5_S1E_jjP12ihipStream_tbEUljE_ZNSN_ISO_Lb1ESQ_SR_ST_SU_SY_EESZ_S10_S11_S12_S16_S17_S18_S1B_S1C_jS1D_jS1E_S1E_jjS1G_bEUljE0_EEESZ_S10_S11_S18_S1C_S1E_T6_T7_T9_mT8_S1G_bDpT10_ENKUlT_T0_E_clISt17integral_constantIbLb0EES1T_IbLb1EEEEDaS1P_S1Q_EUlS1P_E_NS1_11comp_targetILNS1_3genE0ELNS1_11target_archE4294967295ELNS1_3gpuE0ELNS1_3repE0EEENS1_30default_config_static_selectorELNS0_4arch9wavefront6targetE1EEEvS12_ ; -- Begin function _ZN7rocprim17ROCPRIM_400000_NS6detail17trampoline_kernelINS0_13select_configILj256ELj13ELNS0_17block_load_methodE3ELS4_3ELS4_3ELNS0_20block_scan_algorithmE0ELj4294967295EEENS1_25partition_config_selectorILNS1_17partition_subalgoE4EjNS0_10empty_typeEbEEZZNS1_14partition_implILS8_4ELb0ES6_15HIP_vector_typeIjLj2EENS0_17counting_iteratorIjlEEPS9_SG_NS0_5tupleIJPjSI_NS0_16reverse_iteratorISI_EEEEENSH_IJSG_SG_SG_EEES9_SI_JZNS1_25segmented_radix_sort_implINS0_14default_configELb1EPKbPbPKlPlN2at6native12_GLOBAL__N_18offset_tEEE10hipError_tPvRmT1_PNSt15iterator_traitsIS12_E10value_typeET2_T3_PNS13_IS18_E10value_typeET4_jRbjT5_S1E_jjP12ihipStream_tbEUljE_ZNSN_ISO_Lb1ESQ_SR_ST_SU_SY_EESZ_S10_S11_S12_S16_S17_S18_S1B_S1C_jS1D_jS1E_S1E_jjS1G_bEUljE0_EEESZ_S10_S11_S18_S1C_S1E_T6_T7_T9_mT8_S1G_bDpT10_ENKUlT_T0_E_clISt17integral_constantIbLb0EES1T_IbLb1EEEEDaS1P_S1Q_EUlS1P_E_NS1_11comp_targetILNS1_3genE0ELNS1_11target_archE4294967295ELNS1_3gpuE0ELNS1_3repE0EEENS1_30default_config_static_selectorELNS0_4arch9wavefront6targetE1EEEvS12_
	.p2align	8
	.type	_ZN7rocprim17ROCPRIM_400000_NS6detail17trampoline_kernelINS0_13select_configILj256ELj13ELNS0_17block_load_methodE3ELS4_3ELS4_3ELNS0_20block_scan_algorithmE0ELj4294967295EEENS1_25partition_config_selectorILNS1_17partition_subalgoE4EjNS0_10empty_typeEbEEZZNS1_14partition_implILS8_4ELb0ES6_15HIP_vector_typeIjLj2EENS0_17counting_iteratorIjlEEPS9_SG_NS0_5tupleIJPjSI_NS0_16reverse_iteratorISI_EEEEENSH_IJSG_SG_SG_EEES9_SI_JZNS1_25segmented_radix_sort_implINS0_14default_configELb1EPKbPbPKlPlN2at6native12_GLOBAL__N_18offset_tEEE10hipError_tPvRmT1_PNSt15iterator_traitsIS12_E10value_typeET2_T3_PNS13_IS18_E10value_typeET4_jRbjT5_S1E_jjP12ihipStream_tbEUljE_ZNSN_ISO_Lb1ESQ_SR_ST_SU_SY_EESZ_S10_S11_S12_S16_S17_S18_S1B_S1C_jS1D_jS1E_S1E_jjS1G_bEUljE0_EEESZ_S10_S11_S18_S1C_S1E_T6_T7_T9_mT8_S1G_bDpT10_ENKUlT_T0_E_clISt17integral_constantIbLb0EES1T_IbLb1EEEEDaS1P_S1Q_EUlS1P_E_NS1_11comp_targetILNS1_3genE0ELNS1_11target_archE4294967295ELNS1_3gpuE0ELNS1_3repE0EEENS1_30default_config_static_selectorELNS0_4arch9wavefront6targetE1EEEvS12_,@function
_ZN7rocprim17ROCPRIM_400000_NS6detail17trampoline_kernelINS0_13select_configILj256ELj13ELNS0_17block_load_methodE3ELS4_3ELS4_3ELNS0_20block_scan_algorithmE0ELj4294967295EEENS1_25partition_config_selectorILNS1_17partition_subalgoE4EjNS0_10empty_typeEbEEZZNS1_14partition_implILS8_4ELb0ES6_15HIP_vector_typeIjLj2EENS0_17counting_iteratorIjlEEPS9_SG_NS0_5tupleIJPjSI_NS0_16reverse_iteratorISI_EEEEENSH_IJSG_SG_SG_EEES9_SI_JZNS1_25segmented_radix_sort_implINS0_14default_configELb1EPKbPbPKlPlN2at6native12_GLOBAL__N_18offset_tEEE10hipError_tPvRmT1_PNSt15iterator_traitsIS12_E10value_typeET2_T3_PNS13_IS18_E10value_typeET4_jRbjT5_S1E_jjP12ihipStream_tbEUljE_ZNSN_ISO_Lb1ESQ_SR_ST_SU_SY_EESZ_S10_S11_S12_S16_S17_S18_S1B_S1C_jS1D_jS1E_S1E_jjS1G_bEUljE0_EEESZ_S10_S11_S18_S1C_S1E_T6_T7_T9_mT8_S1G_bDpT10_ENKUlT_T0_E_clISt17integral_constantIbLb0EES1T_IbLb1EEEEDaS1P_S1Q_EUlS1P_E_NS1_11comp_targetILNS1_3genE0ELNS1_11target_archE4294967295ELNS1_3gpuE0ELNS1_3repE0EEENS1_30default_config_static_selectorELNS0_4arch9wavefront6targetE1EEEvS12_: ; @_ZN7rocprim17ROCPRIM_400000_NS6detail17trampoline_kernelINS0_13select_configILj256ELj13ELNS0_17block_load_methodE3ELS4_3ELS4_3ELNS0_20block_scan_algorithmE0ELj4294967295EEENS1_25partition_config_selectorILNS1_17partition_subalgoE4EjNS0_10empty_typeEbEEZZNS1_14partition_implILS8_4ELb0ES6_15HIP_vector_typeIjLj2EENS0_17counting_iteratorIjlEEPS9_SG_NS0_5tupleIJPjSI_NS0_16reverse_iteratorISI_EEEEENSH_IJSG_SG_SG_EEES9_SI_JZNS1_25segmented_radix_sort_implINS0_14default_configELb1EPKbPbPKlPlN2at6native12_GLOBAL__N_18offset_tEEE10hipError_tPvRmT1_PNSt15iterator_traitsIS12_E10value_typeET2_T3_PNS13_IS18_E10value_typeET4_jRbjT5_S1E_jjP12ihipStream_tbEUljE_ZNSN_ISO_Lb1ESQ_SR_ST_SU_SY_EESZ_S10_S11_S12_S16_S17_S18_S1B_S1C_jS1D_jS1E_S1E_jjS1G_bEUljE0_EEESZ_S10_S11_S18_S1C_S1E_T6_T7_T9_mT8_S1G_bDpT10_ENKUlT_T0_E_clISt17integral_constantIbLb0EES1T_IbLb1EEEEDaS1P_S1Q_EUlS1P_E_NS1_11comp_targetILNS1_3genE0ELNS1_11target_archE4294967295ELNS1_3gpuE0ELNS1_3repE0EEENS1_30default_config_static_selectorELNS0_4arch9wavefront6targetE1EEEvS12_
; %bb.0:
	.section	.rodata,"a",@progbits
	.p2align	6, 0x0
	.amdhsa_kernel _ZN7rocprim17ROCPRIM_400000_NS6detail17trampoline_kernelINS0_13select_configILj256ELj13ELNS0_17block_load_methodE3ELS4_3ELS4_3ELNS0_20block_scan_algorithmE0ELj4294967295EEENS1_25partition_config_selectorILNS1_17partition_subalgoE4EjNS0_10empty_typeEbEEZZNS1_14partition_implILS8_4ELb0ES6_15HIP_vector_typeIjLj2EENS0_17counting_iteratorIjlEEPS9_SG_NS0_5tupleIJPjSI_NS0_16reverse_iteratorISI_EEEEENSH_IJSG_SG_SG_EEES9_SI_JZNS1_25segmented_radix_sort_implINS0_14default_configELb1EPKbPbPKlPlN2at6native12_GLOBAL__N_18offset_tEEE10hipError_tPvRmT1_PNSt15iterator_traitsIS12_E10value_typeET2_T3_PNS13_IS18_E10value_typeET4_jRbjT5_S1E_jjP12ihipStream_tbEUljE_ZNSN_ISO_Lb1ESQ_SR_ST_SU_SY_EESZ_S10_S11_S12_S16_S17_S18_S1B_S1C_jS1D_jS1E_S1E_jjS1G_bEUljE0_EEESZ_S10_S11_S18_S1C_S1E_T6_T7_T9_mT8_S1G_bDpT10_ENKUlT_T0_E_clISt17integral_constantIbLb0EES1T_IbLb1EEEEDaS1P_S1Q_EUlS1P_E_NS1_11comp_targetILNS1_3genE0ELNS1_11target_archE4294967295ELNS1_3gpuE0ELNS1_3repE0EEENS1_30default_config_static_selectorELNS0_4arch9wavefront6targetE1EEEvS12_
		.amdhsa_group_segment_fixed_size 0
		.amdhsa_private_segment_fixed_size 0
		.amdhsa_kernarg_size 184
		.amdhsa_user_sgpr_count 6
		.amdhsa_user_sgpr_private_segment_buffer 1
		.amdhsa_user_sgpr_dispatch_ptr 0
		.amdhsa_user_sgpr_queue_ptr 0
		.amdhsa_user_sgpr_kernarg_segment_ptr 1
		.amdhsa_user_sgpr_dispatch_id 0
		.amdhsa_user_sgpr_flat_scratch_init 0
		.amdhsa_user_sgpr_private_segment_size 0
		.amdhsa_uses_dynamic_stack 0
		.amdhsa_system_sgpr_private_segment_wavefront_offset 0
		.amdhsa_system_sgpr_workgroup_id_x 1
		.amdhsa_system_sgpr_workgroup_id_y 0
		.amdhsa_system_sgpr_workgroup_id_z 0
		.amdhsa_system_sgpr_workgroup_info 0
		.amdhsa_system_vgpr_workitem_id 0
		.amdhsa_next_free_vgpr 1
		.amdhsa_next_free_sgpr 0
		.amdhsa_reserve_vcc 0
		.amdhsa_reserve_flat_scratch 0
		.amdhsa_float_round_mode_32 0
		.amdhsa_float_round_mode_16_64 0
		.amdhsa_float_denorm_mode_32 3
		.amdhsa_float_denorm_mode_16_64 3
		.amdhsa_dx10_clamp 1
		.amdhsa_ieee_mode 1
		.amdhsa_fp16_overflow 0
		.amdhsa_exception_fp_ieee_invalid_op 0
		.amdhsa_exception_fp_denorm_src 0
		.amdhsa_exception_fp_ieee_div_zero 0
		.amdhsa_exception_fp_ieee_overflow 0
		.amdhsa_exception_fp_ieee_underflow 0
		.amdhsa_exception_fp_ieee_inexact 0
		.amdhsa_exception_int_div_zero 0
	.end_amdhsa_kernel
	.section	.text._ZN7rocprim17ROCPRIM_400000_NS6detail17trampoline_kernelINS0_13select_configILj256ELj13ELNS0_17block_load_methodE3ELS4_3ELS4_3ELNS0_20block_scan_algorithmE0ELj4294967295EEENS1_25partition_config_selectorILNS1_17partition_subalgoE4EjNS0_10empty_typeEbEEZZNS1_14partition_implILS8_4ELb0ES6_15HIP_vector_typeIjLj2EENS0_17counting_iteratorIjlEEPS9_SG_NS0_5tupleIJPjSI_NS0_16reverse_iteratorISI_EEEEENSH_IJSG_SG_SG_EEES9_SI_JZNS1_25segmented_radix_sort_implINS0_14default_configELb1EPKbPbPKlPlN2at6native12_GLOBAL__N_18offset_tEEE10hipError_tPvRmT1_PNSt15iterator_traitsIS12_E10value_typeET2_T3_PNS13_IS18_E10value_typeET4_jRbjT5_S1E_jjP12ihipStream_tbEUljE_ZNSN_ISO_Lb1ESQ_SR_ST_SU_SY_EESZ_S10_S11_S12_S16_S17_S18_S1B_S1C_jS1D_jS1E_S1E_jjS1G_bEUljE0_EEESZ_S10_S11_S18_S1C_S1E_T6_T7_T9_mT8_S1G_bDpT10_ENKUlT_T0_E_clISt17integral_constantIbLb0EES1T_IbLb1EEEEDaS1P_S1Q_EUlS1P_E_NS1_11comp_targetILNS1_3genE0ELNS1_11target_archE4294967295ELNS1_3gpuE0ELNS1_3repE0EEENS1_30default_config_static_selectorELNS0_4arch9wavefront6targetE1EEEvS12_,"axG",@progbits,_ZN7rocprim17ROCPRIM_400000_NS6detail17trampoline_kernelINS0_13select_configILj256ELj13ELNS0_17block_load_methodE3ELS4_3ELS4_3ELNS0_20block_scan_algorithmE0ELj4294967295EEENS1_25partition_config_selectorILNS1_17partition_subalgoE4EjNS0_10empty_typeEbEEZZNS1_14partition_implILS8_4ELb0ES6_15HIP_vector_typeIjLj2EENS0_17counting_iteratorIjlEEPS9_SG_NS0_5tupleIJPjSI_NS0_16reverse_iteratorISI_EEEEENSH_IJSG_SG_SG_EEES9_SI_JZNS1_25segmented_radix_sort_implINS0_14default_configELb1EPKbPbPKlPlN2at6native12_GLOBAL__N_18offset_tEEE10hipError_tPvRmT1_PNSt15iterator_traitsIS12_E10value_typeET2_T3_PNS13_IS18_E10value_typeET4_jRbjT5_S1E_jjP12ihipStream_tbEUljE_ZNSN_ISO_Lb1ESQ_SR_ST_SU_SY_EESZ_S10_S11_S12_S16_S17_S18_S1B_S1C_jS1D_jS1E_S1E_jjS1G_bEUljE0_EEESZ_S10_S11_S18_S1C_S1E_T6_T7_T9_mT8_S1G_bDpT10_ENKUlT_T0_E_clISt17integral_constantIbLb0EES1T_IbLb1EEEEDaS1P_S1Q_EUlS1P_E_NS1_11comp_targetILNS1_3genE0ELNS1_11target_archE4294967295ELNS1_3gpuE0ELNS1_3repE0EEENS1_30default_config_static_selectorELNS0_4arch9wavefront6targetE1EEEvS12_,comdat
.Lfunc_end1492:
	.size	_ZN7rocprim17ROCPRIM_400000_NS6detail17trampoline_kernelINS0_13select_configILj256ELj13ELNS0_17block_load_methodE3ELS4_3ELS4_3ELNS0_20block_scan_algorithmE0ELj4294967295EEENS1_25partition_config_selectorILNS1_17partition_subalgoE4EjNS0_10empty_typeEbEEZZNS1_14partition_implILS8_4ELb0ES6_15HIP_vector_typeIjLj2EENS0_17counting_iteratorIjlEEPS9_SG_NS0_5tupleIJPjSI_NS0_16reverse_iteratorISI_EEEEENSH_IJSG_SG_SG_EEES9_SI_JZNS1_25segmented_radix_sort_implINS0_14default_configELb1EPKbPbPKlPlN2at6native12_GLOBAL__N_18offset_tEEE10hipError_tPvRmT1_PNSt15iterator_traitsIS12_E10value_typeET2_T3_PNS13_IS18_E10value_typeET4_jRbjT5_S1E_jjP12ihipStream_tbEUljE_ZNSN_ISO_Lb1ESQ_SR_ST_SU_SY_EESZ_S10_S11_S12_S16_S17_S18_S1B_S1C_jS1D_jS1E_S1E_jjS1G_bEUljE0_EEESZ_S10_S11_S18_S1C_S1E_T6_T7_T9_mT8_S1G_bDpT10_ENKUlT_T0_E_clISt17integral_constantIbLb0EES1T_IbLb1EEEEDaS1P_S1Q_EUlS1P_E_NS1_11comp_targetILNS1_3genE0ELNS1_11target_archE4294967295ELNS1_3gpuE0ELNS1_3repE0EEENS1_30default_config_static_selectorELNS0_4arch9wavefront6targetE1EEEvS12_, .Lfunc_end1492-_ZN7rocprim17ROCPRIM_400000_NS6detail17trampoline_kernelINS0_13select_configILj256ELj13ELNS0_17block_load_methodE3ELS4_3ELS4_3ELNS0_20block_scan_algorithmE0ELj4294967295EEENS1_25partition_config_selectorILNS1_17partition_subalgoE4EjNS0_10empty_typeEbEEZZNS1_14partition_implILS8_4ELb0ES6_15HIP_vector_typeIjLj2EENS0_17counting_iteratorIjlEEPS9_SG_NS0_5tupleIJPjSI_NS0_16reverse_iteratorISI_EEEEENSH_IJSG_SG_SG_EEES9_SI_JZNS1_25segmented_radix_sort_implINS0_14default_configELb1EPKbPbPKlPlN2at6native12_GLOBAL__N_18offset_tEEE10hipError_tPvRmT1_PNSt15iterator_traitsIS12_E10value_typeET2_T3_PNS13_IS18_E10value_typeET4_jRbjT5_S1E_jjP12ihipStream_tbEUljE_ZNSN_ISO_Lb1ESQ_SR_ST_SU_SY_EESZ_S10_S11_S12_S16_S17_S18_S1B_S1C_jS1D_jS1E_S1E_jjS1G_bEUljE0_EEESZ_S10_S11_S18_S1C_S1E_T6_T7_T9_mT8_S1G_bDpT10_ENKUlT_T0_E_clISt17integral_constantIbLb0EES1T_IbLb1EEEEDaS1P_S1Q_EUlS1P_E_NS1_11comp_targetILNS1_3genE0ELNS1_11target_archE4294967295ELNS1_3gpuE0ELNS1_3repE0EEENS1_30default_config_static_selectorELNS0_4arch9wavefront6targetE1EEEvS12_
                                        ; -- End function
	.set _ZN7rocprim17ROCPRIM_400000_NS6detail17trampoline_kernelINS0_13select_configILj256ELj13ELNS0_17block_load_methodE3ELS4_3ELS4_3ELNS0_20block_scan_algorithmE0ELj4294967295EEENS1_25partition_config_selectorILNS1_17partition_subalgoE4EjNS0_10empty_typeEbEEZZNS1_14partition_implILS8_4ELb0ES6_15HIP_vector_typeIjLj2EENS0_17counting_iteratorIjlEEPS9_SG_NS0_5tupleIJPjSI_NS0_16reverse_iteratorISI_EEEEENSH_IJSG_SG_SG_EEES9_SI_JZNS1_25segmented_radix_sort_implINS0_14default_configELb1EPKbPbPKlPlN2at6native12_GLOBAL__N_18offset_tEEE10hipError_tPvRmT1_PNSt15iterator_traitsIS12_E10value_typeET2_T3_PNS13_IS18_E10value_typeET4_jRbjT5_S1E_jjP12ihipStream_tbEUljE_ZNSN_ISO_Lb1ESQ_SR_ST_SU_SY_EESZ_S10_S11_S12_S16_S17_S18_S1B_S1C_jS1D_jS1E_S1E_jjS1G_bEUljE0_EEESZ_S10_S11_S18_S1C_S1E_T6_T7_T9_mT8_S1G_bDpT10_ENKUlT_T0_E_clISt17integral_constantIbLb0EES1T_IbLb1EEEEDaS1P_S1Q_EUlS1P_E_NS1_11comp_targetILNS1_3genE0ELNS1_11target_archE4294967295ELNS1_3gpuE0ELNS1_3repE0EEENS1_30default_config_static_selectorELNS0_4arch9wavefront6targetE1EEEvS12_.num_vgpr, 0
	.set _ZN7rocprim17ROCPRIM_400000_NS6detail17trampoline_kernelINS0_13select_configILj256ELj13ELNS0_17block_load_methodE3ELS4_3ELS4_3ELNS0_20block_scan_algorithmE0ELj4294967295EEENS1_25partition_config_selectorILNS1_17partition_subalgoE4EjNS0_10empty_typeEbEEZZNS1_14partition_implILS8_4ELb0ES6_15HIP_vector_typeIjLj2EENS0_17counting_iteratorIjlEEPS9_SG_NS0_5tupleIJPjSI_NS0_16reverse_iteratorISI_EEEEENSH_IJSG_SG_SG_EEES9_SI_JZNS1_25segmented_radix_sort_implINS0_14default_configELb1EPKbPbPKlPlN2at6native12_GLOBAL__N_18offset_tEEE10hipError_tPvRmT1_PNSt15iterator_traitsIS12_E10value_typeET2_T3_PNS13_IS18_E10value_typeET4_jRbjT5_S1E_jjP12ihipStream_tbEUljE_ZNSN_ISO_Lb1ESQ_SR_ST_SU_SY_EESZ_S10_S11_S12_S16_S17_S18_S1B_S1C_jS1D_jS1E_S1E_jjS1G_bEUljE0_EEESZ_S10_S11_S18_S1C_S1E_T6_T7_T9_mT8_S1G_bDpT10_ENKUlT_T0_E_clISt17integral_constantIbLb0EES1T_IbLb1EEEEDaS1P_S1Q_EUlS1P_E_NS1_11comp_targetILNS1_3genE0ELNS1_11target_archE4294967295ELNS1_3gpuE0ELNS1_3repE0EEENS1_30default_config_static_selectorELNS0_4arch9wavefront6targetE1EEEvS12_.num_agpr, 0
	.set _ZN7rocprim17ROCPRIM_400000_NS6detail17trampoline_kernelINS0_13select_configILj256ELj13ELNS0_17block_load_methodE3ELS4_3ELS4_3ELNS0_20block_scan_algorithmE0ELj4294967295EEENS1_25partition_config_selectorILNS1_17partition_subalgoE4EjNS0_10empty_typeEbEEZZNS1_14partition_implILS8_4ELb0ES6_15HIP_vector_typeIjLj2EENS0_17counting_iteratorIjlEEPS9_SG_NS0_5tupleIJPjSI_NS0_16reverse_iteratorISI_EEEEENSH_IJSG_SG_SG_EEES9_SI_JZNS1_25segmented_radix_sort_implINS0_14default_configELb1EPKbPbPKlPlN2at6native12_GLOBAL__N_18offset_tEEE10hipError_tPvRmT1_PNSt15iterator_traitsIS12_E10value_typeET2_T3_PNS13_IS18_E10value_typeET4_jRbjT5_S1E_jjP12ihipStream_tbEUljE_ZNSN_ISO_Lb1ESQ_SR_ST_SU_SY_EESZ_S10_S11_S12_S16_S17_S18_S1B_S1C_jS1D_jS1E_S1E_jjS1G_bEUljE0_EEESZ_S10_S11_S18_S1C_S1E_T6_T7_T9_mT8_S1G_bDpT10_ENKUlT_T0_E_clISt17integral_constantIbLb0EES1T_IbLb1EEEEDaS1P_S1Q_EUlS1P_E_NS1_11comp_targetILNS1_3genE0ELNS1_11target_archE4294967295ELNS1_3gpuE0ELNS1_3repE0EEENS1_30default_config_static_selectorELNS0_4arch9wavefront6targetE1EEEvS12_.numbered_sgpr, 0
	.set _ZN7rocprim17ROCPRIM_400000_NS6detail17trampoline_kernelINS0_13select_configILj256ELj13ELNS0_17block_load_methodE3ELS4_3ELS4_3ELNS0_20block_scan_algorithmE0ELj4294967295EEENS1_25partition_config_selectorILNS1_17partition_subalgoE4EjNS0_10empty_typeEbEEZZNS1_14partition_implILS8_4ELb0ES6_15HIP_vector_typeIjLj2EENS0_17counting_iteratorIjlEEPS9_SG_NS0_5tupleIJPjSI_NS0_16reverse_iteratorISI_EEEEENSH_IJSG_SG_SG_EEES9_SI_JZNS1_25segmented_radix_sort_implINS0_14default_configELb1EPKbPbPKlPlN2at6native12_GLOBAL__N_18offset_tEEE10hipError_tPvRmT1_PNSt15iterator_traitsIS12_E10value_typeET2_T3_PNS13_IS18_E10value_typeET4_jRbjT5_S1E_jjP12ihipStream_tbEUljE_ZNSN_ISO_Lb1ESQ_SR_ST_SU_SY_EESZ_S10_S11_S12_S16_S17_S18_S1B_S1C_jS1D_jS1E_S1E_jjS1G_bEUljE0_EEESZ_S10_S11_S18_S1C_S1E_T6_T7_T9_mT8_S1G_bDpT10_ENKUlT_T0_E_clISt17integral_constantIbLb0EES1T_IbLb1EEEEDaS1P_S1Q_EUlS1P_E_NS1_11comp_targetILNS1_3genE0ELNS1_11target_archE4294967295ELNS1_3gpuE0ELNS1_3repE0EEENS1_30default_config_static_selectorELNS0_4arch9wavefront6targetE1EEEvS12_.num_named_barrier, 0
	.set _ZN7rocprim17ROCPRIM_400000_NS6detail17trampoline_kernelINS0_13select_configILj256ELj13ELNS0_17block_load_methodE3ELS4_3ELS4_3ELNS0_20block_scan_algorithmE0ELj4294967295EEENS1_25partition_config_selectorILNS1_17partition_subalgoE4EjNS0_10empty_typeEbEEZZNS1_14partition_implILS8_4ELb0ES6_15HIP_vector_typeIjLj2EENS0_17counting_iteratorIjlEEPS9_SG_NS0_5tupleIJPjSI_NS0_16reverse_iteratorISI_EEEEENSH_IJSG_SG_SG_EEES9_SI_JZNS1_25segmented_radix_sort_implINS0_14default_configELb1EPKbPbPKlPlN2at6native12_GLOBAL__N_18offset_tEEE10hipError_tPvRmT1_PNSt15iterator_traitsIS12_E10value_typeET2_T3_PNS13_IS18_E10value_typeET4_jRbjT5_S1E_jjP12ihipStream_tbEUljE_ZNSN_ISO_Lb1ESQ_SR_ST_SU_SY_EESZ_S10_S11_S12_S16_S17_S18_S1B_S1C_jS1D_jS1E_S1E_jjS1G_bEUljE0_EEESZ_S10_S11_S18_S1C_S1E_T6_T7_T9_mT8_S1G_bDpT10_ENKUlT_T0_E_clISt17integral_constantIbLb0EES1T_IbLb1EEEEDaS1P_S1Q_EUlS1P_E_NS1_11comp_targetILNS1_3genE0ELNS1_11target_archE4294967295ELNS1_3gpuE0ELNS1_3repE0EEENS1_30default_config_static_selectorELNS0_4arch9wavefront6targetE1EEEvS12_.private_seg_size, 0
	.set _ZN7rocprim17ROCPRIM_400000_NS6detail17trampoline_kernelINS0_13select_configILj256ELj13ELNS0_17block_load_methodE3ELS4_3ELS4_3ELNS0_20block_scan_algorithmE0ELj4294967295EEENS1_25partition_config_selectorILNS1_17partition_subalgoE4EjNS0_10empty_typeEbEEZZNS1_14partition_implILS8_4ELb0ES6_15HIP_vector_typeIjLj2EENS0_17counting_iteratorIjlEEPS9_SG_NS0_5tupleIJPjSI_NS0_16reverse_iteratorISI_EEEEENSH_IJSG_SG_SG_EEES9_SI_JZNS1_25segmented_radix_sort_implINS0_14default_configELb1EPKbPbPKlPlN2at6native12_GLOBAL__N_18offset_tEEE10hipError_tPvRmT1_PNSt15iterator_traitsIS12_E10value_typeET2_T3_PNS13_IS18_E10value_typeET4_jRbjT5_S1E_jjP12ihipStream_tbEUljE_ZNSN_ISO_Lb1ESQ_SR_ST_SU_SY_EESZ_S10_S11_S12_S16_S17_S18_S1B_S1C_jS1D_jS1E_S1E_jjS1G_bEUljE0_EEESZ_S10_S11_S18_S1C_S1E_T6_T7_T9_mT8_S1G_bDpT10_ENKUlT_T0_E_clISt17integral_constantIbLb0EES1T_IbLb1EEEEDaS1P_S1Q_EUlS1P_E_NS1_11comp_targetILNS1_3genE0ELNS1_11target_archE4294967295ELNS1_3gpuE0ELNS1_3repE0EEENS1_30default_config_static_selectorELNS0_4arch9wavefront6targetE1EEEvS12_.uses_vcc, 0
	.set _ZN7rocprim17ROCPRIM_400000_NS6detail17trampoline_kernelINS0_13select_configILj256ELj13ELNS0_17block_load_methodE3ELS4_3ELS4_3ELNS0_20block_scan_algorithmE0ELj4294967295EEENS1_25partition_config_selectorILNS1_17partition_subalgoE4EjNS0_10empty_typeEbEEZZNS1_14partition_implILS8_4ELb0ES6_15HIP_vector_typeIjLj2EENS0_17counting_iteratorIjlEEPS9_SG_NS0_5tupleIJPjSI_NS0_16reverse_iteratorISI_EEEEENSH_IJSG_SG_SG_EEES9_SI_JZNS1_25segmented_radix_sort_implINS0_14default_configELb1EPKbPbPKlPlN2at6native12_GLOBAL__N_18offset_tEEE10hipError_tPvRmT1_PNSt15iterator_traitsIS12_E10value_typeET2_T3_PNS13_IS18_E10value_typeET4_jRbjT5_S1E_jjP12ihipStream_tbEUljE_ZNSN_ISO_Lb1ESQ_SR_ST_SU_SY_EESZ_S10_S11_S12_S16_S17_S18_S1B_S1C_jS1D_jS1E_S1E_jjS1G_bEUljE0_EEESZ_S10_S11_S18_S1C_S1E_T6_T7_T9_mT8_S1G_bDpT10_ENKUlT_T0_E_clISt17integral_constantIbLb0EES1T_IbLb1EEEEDaS1P_S1Q_EUlS1P_E_NS1_11comp_targetILNS1_3genE0ELNS1_11target_archE4294967295ELNS1_3gpuE0ELNS1_3repE0EEENS1_30default_config_static_selectorELNS0_4arch9wavefront6targetE1EEEvS12_.uses_flat_scratch, 0
	.set _ZN7rocprim17ROCPRIM_400000_NS6detail17trampoline_kernelINS0_13select_configILj256ELj13ELNS0_17block_load_methodE3ELS4_3ELS4_3ELNS0_20block_scan_algorithmE0ELj4294967295EEENS1_25partition_config_selectorILNS1_17partition_subalgoE4EjNS0_10empty_typeEbEEZZNS1_14partition_implILS8_4ELb0ES6_15HIP_vector_typeIjLj2EENS0_17counting_iteratorIjlEEPS9_SG_NS0_5tupleIJPjSI_NS0_16reverse_iteratorISI_EEEEENSH_IJSG_SG_SG_EEES9_SI_JZNS1_25segmented_radix_sort_implINS0_14default_configELb1EPKbPbPKlPlN2at6native12_GLOBAL__N_18offset_tEEE10hipError_tPvRmT1_PNSt15iterator_traitsIS12_E10value_typeET2_T3_PNS13_IS18_E10value_typeET4_jRbjT5_S1E_jjP12ihipStream_tbEUljE_ZNSN_ISO_Lb1ESQ_SR_ST_SU_SY_EESZ_S10_S11_S12_S16_S17_S18_S1B_S1C_jS1D_jS1E_S1E_jjS1G_bEUljE0_EEESZ_S10_S11_S18_S1C_S1E_T6_T7_T9_mT8_S1G_bDpT10_ENKUlT_T0_E_clISt17integral_constantIbLb0EES1T_IbLb1EEEEDaS1P_S1Q_EUlS1P_E_NS1_11comp_targetILNS1_3genE0ELNS1_11target_archE4294967295ELNS1_3gpuE0ELNS1_3repE0EEENS1_30default_config_static_selectorELNS0_4arch9wavefront6targetE1EEEvS12_.has_dyn_sized_stack, 0
	.set _ZN7rocprim17ROCPRIM_400000_NS6detail17trampoline_kernelINS0_13select_configILj256ELj13ELNS0_17block_load_methodE3ELS4_3ELS4_3ELNS0_20block_scan_algorithmE0ELj4294967295EEENS1_25partition_config_selectorILNS1_17partition_subalgoE4EjNS0_10empty_typeEbEEZZNS1_14partition_implILS8_4ELb0ES6_15HIP_vector_typeIjLj2EENS0_17counting_iteratorIjlEEPS9_SG_NS0_5tupleIJPjSI_NS0_16reverse_iteratorISI_EEEEENSH_IJSG_SG_SG_EEES9_SI_JZNS1_25segmented_radix_sort_implINS0_14default_configELb1EPKbPbPKlPlN2at6native12_GLOBAL__N_18offset_tEEE10hipError_tPvRmT1_PNSt15iterator_traitsIS12_E10value_typeET2_T3_PNS13_IS18_E10value_typeET4_jRbjT5_S1E_jjP12ihipStream_tbEUljE_ZNSN_ISO_Lb1ESQ_SR_ST_SU_SY_EESZ_S10_S11_S12_S16_S17_S18_S1B_S1C_jS1D_jS1E_S1E_jjS1G_bEUljE0_EEESZ_S10_S11_S18_S1C_S1E_T6_T7_T9_mT8_S1G_bDpT10_ENKUlT_T0_E_clISt17integral_constantIbLb0EES1T_IbLb1EEEEDaS1P_S1Q_EUlS1P_E_NS1_11comp_targetILNS1_3genE0ELNS1_11target_archE4294967295ELNS1_3gpuE0ELNS1_3repE0EEENS1_30default_config_static_selectorELNS0_4arch9wavefront6targetE1EEEvS12_.has_recursion, 0
	.set _ZN7rocprim17ROCPRIM_400000_NS6detail17trampoline_kernelINS0_13select_configILj256ELj13ELNS0_17block_load_methodE3ELS4_3ELS4_3ELNS0_20block_scan_algorithmE0ELj4294967295EEENS1_25partition_config_selectorILNS1_17partition_subalgoE4EjNS0_10empty_typeEbEEZZNS1_14partition_implILS8_4ELb0ES6_15HIP_vector_typeIjLj2EENS0_17counting_iteratorIjlEEPS9_SG_NS0_5tupleIJPjSI_NS0_16reverse_iteratorISI_EEEEENSH_IJSG_SG_SG_EEES9_SI_JZNS1_25segmented_radix_sort_implINS0_14default_configELb1EPKbPbPKlPlN2at6native12_GLOBAL__N_18offset_tEEE10hipError_tPvRmT1_PNSt15iterator_traitsIS12_E10value_typeET2_T3_PNS13_IS18_E10value_typeET4_jRbjT5_S1E_jjP12ihipStream_tbEUljE_ZNSN_ISO_Lb1ESQ_SR_ST_SU_SY_EESZ_S10_S11_S12_S16_S17_S18_S1B_S1C_jS1D_jS1E_S1E_jjS1G_bEUljE0_EEESZ_S10_S11_S18_S1C_S1E_T6_T7_T9_mT8_S1G_bDpT10_ENKUlT_T0_E_clISt17integral_constantIbLb0EES1T_IbLb1EEEEDaS1P_S1Q_EUlS1P_E_NS1_11comp_targetILNS1_3genE0ELNS1_11target_archE4294967295ELNS1_3gpuE0ELNS1_3repE0EEENS1_30default_config_static_selectorELNS0_4arch9wavefront6targetE1EEEvS12_.has_indirect_call, 0
	.section	.AMDGPU.csdata,"",@progbits
; Kernel info:
; codeLenInByte = 0
; TotalNumSgprs: 4
; NumVgprs: 0
; ScratchSize: 0
; MemoryBound: 0
; FloatMode: 240
; IeeeMode: 1
; LDSByteSize: 0 bytes/workgroup (compile time only)
; SGPRBlocks: 0
; VGPRBlocks: 0
; NumSGPRsForWavesPerEU: 4
; NumVGPRsForWavesPerEU: 1
; Occupancy: 10
; WaveLimiterHint : 0
; COMPUTE_PGM_RSRC2:SCRATCH_EN: 0
; COMPUTE_PGM_RSRC2:USER_SGPR: 6
; COMPUTE_PGM_RSRC2:TRAP_HANDLER: 0
; COMPUTE_PGM_RSRC2:TGID_X_EN: 1
; COMPUTE_PGM_RSRC2:TGID_Y_EN: 0
; COMPUTE_PGM_RSRC2:TGID_Z_EN: 0
; COMPUTE_PGM_RSRC2:TIDIG_COMP_CNT: 0
	.section	.text._ZN7rocprim17ROCPRIM_400000_NS6detail17trampoline_kernelINS0_13select_configILj256ELj13ELNS0_17block_load_methodE3ELS4_3ELS4_3ELNS0_20block_scan_algorithmE0ELj4294967295EEENS1_25partition_config_selectorILNS1_17partition_subalgoE4EjNS0_10empty_typeEbEEZZNS1_14partition_implILS8_4ELb0ES6_15HIP_vector_typeIjLj2EENS0_17counting_iteratorIjlEEPS9_SG_NS0_5tupleIJPjSI_NS0_16reverse_iteratorISI_EEEEENSH_IJSG_SG_SG_EEES9_SI_JZNS1_25segmented_radix_sort_implINS0_14default_configELb1EPKbPbPKlPlN2at6native12_GLOBAL__N_18offset_tEEE10hipError_tPvRmT1_PNSt15iterator_traitsIS12_E10value_typeET2_T3_PNS13_IS18_E10value_typeET4_jRbjT5_S1E_jjP12ihipStream_tbEUljE_ZNSN_ISO_Lb1ESQ_SR_ST_SU_SY_EESZ_S10_S11_S12_S16_S17_S18_S1B_S1C_jS1D_jS1E_S1E_jjS1G_bEUljE0_EEESZ_S10_S11_S18_S1C_S1E_T6_T7_T9_mT8_S1G_bDpT10_ENKUlT_T0_E_clISt17integral_constantIbLb0EES1T_IbLb1EEEEDaS1P_S1Q_EUlS1P_E_NS1_11comp_targetILNS1_3genE5ELNS1_11target_archE942ELNS1_3gpuE9ELNS1_3repE0EEENS1_30default_config_static_selectorELNS0_4arch9wavefront6targetE1EEEvS12_,"axG",@progbits,_ZN7rocprim17ROCPRIM_400000_NS6detail17trampoline_kernelINS0_13select_configILj256ELj13ELNS0_17block_load_methodE3ELS4_3ELS4_3ELNS0_20block_scan_algorithmE0ELj4294967295EEENS1_25partition_config_selectorILNS1_17partition_subalgoE4EjNS0_10empty_typeEbEEZZNS1_14partition_implILS8_4ELb0ES6_15HIP_vector_typeIjLj2EENS0_17counting_iteratorIjlEEPS9_SG_NS0_5tupleIJPjSI_NS0_16reverse_iteratorISI_EEEEENSH_IJSG_SG_SG_EEES9_SI_JZNS1_25segmented_radix_sort_implINS0_14default_configELb1EPKbPbPKlPlN2at6native12_GLOBAL__N_18offset_tEEE10hipError_tPvRmT1_PNSt15iterator_traitsIS12_E10value_typeET2_T3_PNS13_IS18_E10value_typeET4_jRbjT5_S1E_jjP12ihipStream_tbEUljE_ZNSN_ISO_Lb1ESQ_SR_ST_SU_SY_EESZ_S10_S11_S12_S16_S17_S18_S1B_S1C_jS1D_jS1E_S1E_jjS1G_bEUljE0_EEESZ_S10_S11_S18_S1C_S1E_T6_T7_T9_mT8_S1G_bDpT10_ENKUlT_T0_E_clISt17integral_constantIbLb0EES1T_IbLb1EEEEDaS1P_S1Q_EUlS1P_E_NS1_11comp_targetILNS1_3genE5ELNS1_11target_archE942ELNS1_3gpuE9ELNS1_3repE0EEENS1_30default_config_static_selectorELNS0_4arch9wavefront6targetE1EEEvS12_,comdat
	.globl	_ZN7rocprim17ROCPRIM_400000_NS6detail17trampoline_kernelINS0_13select_configILj256ELj13ELNS0_17block_load_methodE3ELS4_3ELS4_3ELNS0_20block_scan_algorithmE0ELj4294967295EEENS1_25partition_config_selectorILNS1_17partition_subalgoE4EjNS0_10empty_typeEbEEZZNS1_14partition_implILS8_4ELb0ES6_15HIP_vector_typeIjLj2EENS0_17counting_iteratorIjlEEPS9_SG_NS0_5tupleIJPjSI_NS0_16reverse_iteratorISI_EEEEENSH_IJSG_SG_SG_EEES9_SI_JZNS1_25segmented_radix_sort_implINS0_14default_configELb1EPKbPbPKlPlN2at6native12_GLOBAL__N_18offset_tEEE10hipError_tPvRmT1_PNSt15iterator_traitsIS12_E10value_typeET2_T3_PNS13_IS18_E10value_typeET4_jRbjT5_S1E_jjP12ihipStream_tbEUljE_ZNSN_ISO_Lb1ESQ_SR_ST_SU_SY_EESZ_S10_S11_S12_S16_S17_S18_S1B_S1C_jS1D_jS1E_S1E_jjS1G_bEUljE0_EEESZ_S10_S11_S18_S1C_S1E_T6_T7_T9_mT8_S1G_bDpT10_ENKUlT_T0_E_clISt17integral_constantIbLb0EES1T_IbLb1EEEEDaS1P_S1Q_EUlS1P_E_NS1_11comp_targetILNS1_3genE5ELNS1_11target_archE942ELNS1_3gpuE9ELNS1_3repE0EEENS1_30default_config_static_selectorELNS0_4arch9wavefront6targetE1EEEvS12_ ; -- Begin function _ZN7rocprim17ROCPRIM_400000_NS6detail17trampoline_kernelINS0_13select_configILj256ELj13ELNS0_17block_load_methodE3ELS4_3ELS4_3ELNS0_20block_scan_algorithmE0ELj4294967295EEENS1_25partition_config_selectorILNS1_17partition_subalgoE4EjNS0_10empty_typeEbEEZZNS1_14partition_implILS8_4ELb0ES6_15HIP_vector_typeIjLj2EENS0_17counting_iteratorIjlEEPS9_SG_NS0_5tupleIJPjSI_NS0_16reverse_iteratorISI_EEEEENSH_IJSG_SG_SG_EEES9_SI_JZNS1_25segmented_radix_sort_implINS0_14default_configELb1EPKbPbPKlPlN2at6native12_GLOBAL__N_18offset_tEEE10hipError_tPvRmT1_PNSt15iterator_traitsIS12_E10value_typeET2_T3_PNS13_IS18_E10value_typeET4_jRbjT5_S1E_jjP12ihipStream_tbEUljE_ZNSN_ISO_Lb1ESQ_SR_ST_SU_SY_EESZ_S10_S11_S12_S16_S17_S18_S1B_S1C_jS1D_jS1E_S1E_jjS1G_bEUljE0_EEESZ_S10_S11_S18_S1C_S1E_T6_T7_T9_mT8_S1G_bDpT10_ENKUlT_T0_E_clISt17integral_constantIbLb0EES1T_IbLb1EEEEDaS1P_S1Q_EUlS1P_E_NS1_11comp_targetILNS1_3genE5ELNS1_11target_archE942ELNS1_3gpuE9ELNS1_3repE0EEENS1_30default_config_static_selectorELNS0_4arch9wavefront6targetE1EEEvS12_
	.p2align	8
	.type	_ZN7rocprim17ROCPRIM_400000_NS6detail17trampoline_kernelINS0_13select_configILj256ELj13ELNS0_17block_load_methodE3ELS4_3ELS4_3ELNS0_20block_scan_algorithmE0ELj4294967295EEENS1_25partition_config_selectorILNS1_17partition_subalgoE4EjNS0_10empty_typeEbEEZZNS1_14partition_implILS8_4ELb0ES6_15HIP_vector_typeIjLj2EENS0_17counting_iteratorIjlEEPS9_SG_NS0_5tupleIJPjSI_NS0_16reverse_iteratorISI_EEEEENSH_IJSG_SG_SG_EEES9_SI_JZNS1_25segmented_radix_sort_implINS0_14default_configELb1EPKbPbPKlPlN2at6native12_GLOBAL__N_18offset_tEEE10hipError_tPvRmT1_PNSt15iterator_traitsIS12_E10value_typeET2_T3_PNS13_IS18_E10value_typeET4_jRbjT5_S1E_jjP12ihipStream_tbEUljE_ZNSN_ISO_Lb1ESQ_SR_ST_SU_SY_EESZ_S10_S11_S12_S16_S17_S18_S1B_S1C_jS1D_jS1E_S1E_jjS1G_bEUljE0_EEESZ_S10_S11_S18_S1C_S1E_T6_T7_T9_mT8_S1G_bDpT10_ENKUlT_T0_E_clISt17integral_constantIbLb0EES1T_IbLb1EEEEDaS1P_S1Q_EUlS1P_E_NS1_11comp_targetILNS1_3genE5ELNS1_11target_archE942ELNS1_3gpuE9ELNS1_3repE0EEENS1_30default_config_static_selectorELNS0_4arch9wavefront6targetE1EEEvS12_,@function
_ZN7rocprim17ROCPRIM_400000_NS6detail17trampoline_kernelINS0_13select_configILj256ELj13ELNS0_17block_load_methodE3ELS4_3ELS4_3ELNS0_20block_scan_algorithmE0ELj4294967295EEENS1_25partition_config_selectorILNS1_17partition_subalgoE4EjNS0_10empty_typeEbEEZZNS1_14partition_implILS8_4ELb0ES6_15HIP_vector_typeIjLj2EENS0_17counting_iteratorIjlEEPS9_SG_NS0_5tupleIJPjSI_NS0_16reverse_iteratorISI_EEEEENSH_IJSG_SG_SG_EEES9_SI_JZNS1_25segmented_radix_sort_implINS0_14default_configELb1EPKbPbPKlPlN2at6native12_GLOBAL__N_18offset_tEEE10hipError_tPvRmT1_PNSt15iterator_traitsIS12_E10value_typeET2_T3_PNS13_IS18_E10value_typeET4_jRbjT5_S1E_jjP12ihipStream_tbEUljE_ZNSN_ISO_Lb1ESQ_SR_ST_SU_SY_EESZ_S10_S11_S12_S16_S17_S18_S1B_S1C_jS1D_jS1E_S1E_jjS1G_bEUljE0_EEESZ_S10_S11_S18_S1C_S1E_T6_T7_T9_mT8_S1G_bDpT10_ENKUlT_T0_E_clISt17integral_constantIbLb0EES1T_IbLb1EEEEDaS1P_S1Q_EUlS1P_E_NS1_11comp_targetILNS1_3genE5ELNS1_11target_archE942ELNS1_3gpuE9ELNS1_3repE0EEENS1_30default_config_static_selectorELNS0_4arch9wavefront6targetE1EEEvS12_: ; @_ZN7rocprim17ROCPRIM_400000_NS6detail17trampoline_kernelINS0_13select_configILj256ELj13ELNS0_17block_load_methodE3ELS4_3ELS4_3ELNS0_20block_scan_algorithmE0ELj4294967295EEENS1_25partition_config_selectorILNS1_17partition_subalgoE4EjNS0_10empty_typeEbEEZZNS1_14partition_implILS8_4ELb0ES6_15HIP_vector_typeIjLj2EENS0_17counting_iteratorIjlEEPS9_SG_NS0_5tupleIJPjSI_NS0_16reverse_iteratorISI_EEEEENSH_IJSG_SG_SG_EEES9_SI_JZNS1_25segmented_radix_sort_implINS0_14default_configELb1EPKbPbPKlPlN2at6native12_GLOBAL__N_18offset_tEEE10hipError_tPvRmT1_PNSt15iterator_traitsIS12_E10value_typeET2_T3_PNS13_IS18_E10value_typeET4_jRbjT5_S1E_jjP12ihipStream_tbEUljE_ZNSN_ISO_Lb1ESQ_SR_ST_SU_SY_EESZ_S10_S11_S12_S16_S17_S18_S1B_S1C_jS1D_jS1E_S1E_jjS1G_bEUljE0_EEESZ_S10_S11_S18_S1C_S1E_T6_T7_T9_mT8_S1G_bDpT10_ENKUlT_T0_E_clISt17integral_constantIbLb0EES1T_IbLb1EEEEDaS1P_S1Q_EUlS1P_E_NS1_11comp_targetILNS1_3genE5ELNS1_11target_archE942ELNS1_3gpuE9ELNS1_3repE0EEENS1_30default_config_static_selectorELNS0_4arch9wavefront6targetE1EEEvS12_
; %bb.0:
	.section	.rodata,"a",@progbits
	.p2align	6, 0x0
	.amdhsa_kernel _ZN7rocprim17ROCPRIM_400000_NS6detail17trampoline_kernelINS0_13select_configILj256ELj13ELNS0_17block_load_methodE3ELS4_3ELS4_3ELNS0_20block_scan_algorithmE0ELj4294967295EEENS1_25partition_config_selectorILNS1_17partition_subalgoE4EjNS0_10empty_typeEbEEZZNS1_14partition_implILS8_4ELb0ES6_15HIP_vector_typeIjLj2EENS0_17counting_iteratorIjlEEPS9_SG_NS0_5tupleIJPjSI_NS0_16reverse_iteratorISI_EEEEENSH_IJSG_SG_SG_EEES9_SI_JZNS1_25segmented_radix_sort_implINS0_14default_configELb1EPKbPbPKlPlN2at6native12_GLOBAL__N_18offset_tEEE10hipError_tPvRmT1_PNSt15iterator_traitsIS12_E10value_typeET2_T3_PNS13_IS18_E10value_typeET4_jRbjT5_S1E_jjP12ihipStream_tbEUljE_ZNSN_ISO_Lb1ESQ_SR_ST_SU_SY_EESZ_S10_S11_S12_S16_S17_S18_S1B_S1C_jS1D_jS1E_S1E_jjS1G_bEUljE0_EEESZ_S10_S11_S18_S1C_S1E_T6_T7_T9_mT8_S1G_bDpT10_ENKUlT_T0_E_clISt17integral_constantIbLb0EES1T_IbLb1EEEEDaS1P_S1Q_EUlS1P_E_NS1_11comp_targetILNS1_3genE5ELNS1_11target_archE942ELNS1_3gpuE9ELNS1_3repE0EEENS1_30default_config_static_selectorELNS0_4arch9wavefront6targetE1EEEvS12_
		.amdhsa_group_segment_fixed_size 0
		.amdhsa_private_segment_fixed_size 0
		.amdhsa_kernarg_size 184
		.amdhsa_user_sgpr_count 6
		.amdhsa_user_sgpr_private_segment_buffer 1
		.amdhsa_user_sgpr_dispatch_ptr 0
		.amdhsa_user_sgpr_queue_ptr 0
		.amdhsa_user_sgpr_kernarg_segment_ptr 1
		.amdhsa_user_sgpr_dispatch_id 0
		.amdhsa_user_sgpr_flat_scratch_init 0
		.amdhsa_user_sgpr_private_segment_size 0
		.amdhsa_uses_dynamic_stack 0
		.amdhsa_system_sgpr_private_segment_wavefront_offset 0
		.amdhsa_system_sgpr_workgroup_id_x 1
		.amdhsa_system_sgpr_workgroup_id_y 0
		.amdhsa_system_sgpr_workgroup_id_z 0
		.amdhsa_system_sgpr_workgroup_info 0
		.amdhsa_system_vgpr_workitem_id 0
		.amdhsa_next_free_vgpr 1
		.amdhsa_next_free_sgpr 0
		.amdhsa_reserve_vcc 0
		.amdhsa_reserve_flat_scratch 0
		.amdhsa_float_round_mode_32 0
		.amdhsa_float_round_mode_16_64 0
		.amdhsa_float_denorm_mode_32 3
		.amdhsa_float_denorm_mode_16_64 3
		.amdhsa_dx10_clamp 1
		.amdhsa_ieee_mode 1
		.amdhsa_fp16_overflow 0
		.amdhsa_exception_fp_ieee_invalid_op 0
		.amdhsa_exception_fp_denorm_src 0
		.amdhsa_exception_fp_ieee_div_zero 0
		.amdhsa_exception_fp_ieee_overflow 0
		.amdhsa_exception_fp_ieee_underflow 0
		.amdhsa_exception_fp_ieee_inexact 0
		.amdhsa_exception_int_div_zero 0
	.end_amdhsa_kernel
	.section	.text._ZN7rocprim17ROCPRIM_400000_NS6detail17trampoline_kernelINS0_13select_configILj256ELj13ELNS0_17block_load_methodE3ELS4_3ELS4_3ELNS0_20block_scan_algorithmE0ELj4294967295EEENS1_25partition_config_selectorILNS1_17partition_subalgoE4EjNS0_10empty_typeEbEEZZNS1_14partition_implILS8_4ELb0ES6_15HIP_vector_typeIjLj2EENS0_17counting_iteratorIjlEEPS9_SG_NS0_5tupleIJPjSI_NS0_16reverse_iteratorISI_EEEEENSH_IJSG_SG_SG_EEES9_SI_JZNS1_25segmented_radix_sort_implINS0_14default_configELb1EPKbPbPKlPlN2at6native12_GLOBAL__N_18offset_tEEE10hipError_tPvRmT1_PNSt15iterator_traitsIS12_E10value_typeET2_T3_PNS13_IS18_E10value_typeET4_jRbjT5_S1E_jjP12ihipStream_tbEUljE_ZNSN_ISO_Lb1ESQ_SR_ST_SU_SY_EESZ_S10_S11_S12_S16_S17_S18_S1B_S1C_jS1D_jS1E_S1E_jjS1G_bEUljE0_EEESZ_S10_S11_S18_S1C_S1E_T6_T7_T9_mT8_S1G_bDpT10_ENKUlT_T0_E_clISt17integral_constantIbLb0EES1T_IbLb1EEEEDaS1P_S1Q_EUlS1P_E_NS1_11comp_targetILNS1_3genE5ELNS1_11target_archE942ELNS1_3gpuE9ELNS1_3repE0EEENS1_30default_config_static_selectorELNS0_4arch9wavefront6targetE1EEEvS12_,"axG",@progbits,_ZN7rocprim17ROCPRIM_400000_NS6detail17trampoline_kernelINS0_13select_configILj256ELj13ELNS0_17block_load_methodE3ELS4_3ELS4_3ELNS0_20block_scan_algorithmE0ELj4294967295EEENS1_25partition_config_selectorILNS1_17partition_subalgoE4EjNS0_10empty_typeEbEEZZNS1_14partition_implILS8_4ELb0ES6_15HIP_vector_typeIjLj2EENS0_17counting_iteratorIjlEEPS9_SG_NS0_5tupleIJPjSI_NS0_16reverse_iteratorISI_EEEEENSH_IJSG_SG_SG_EEES9_SI_JZNS1_25segmented_radix_sort_implINS0_14default_configELb1EPKbPbPKlPlN2at6native12_GLOBAL__N_18offset_tEEE10hipError_tPvRmT1_PNSt15iterator_traitsIS12_E10value_typeET2_T3_PNS13_IS18_E10value_typeET4_jRbjT5_S1E_jjP12ihipStream_tbEUljE_ZNSN_ISO_Lb1ESQ_SR_ST_SU_SY_EESZ_S10_S11_S12_S16_S17_S18_S1B_S1C_jS1D_jS1E_S1E_jjS1G_bEUljE0_EEESZ_S10_S11_S18_S1C_S1E_T6_T7_T9_mT8_S1G_bDpT10_ENKUlT_T0_E_clISt17integral_constantIbLb0EES1T_IbLb1EEEEDaS1P_S1Q_EUlS1P_E_NS1_11comp_targetILNS1_3genE5ELNS1_11target_archE942ELNS1_3gpuE9ELNS1_3repE0EEENS1_30default_config_static_selectorELNS0_4arch9wavefront6targetE1EEEvS12_,comdat
.Lfunc_end1493:
	.size	_ZN7rocprim17ROCPRIM_400000_NS6detail17trampoline_kernelINS0_13select_configILj256ELj13ELNS0_17block_load_methodE3ELS4_3ELS4_3ELNS0_20block_scan_algorithmE0ELj4294967295EEENS1_25partition_config_selectorILNS1_17partition_subalgoE4EjNS0_10empty_typeEbEEZZNS1_14partition_implILS8_4ELb0ES6_15HIP_vector_typeIjLj2EENS0_17counting_iteratorIjlEEPS9_SG_NS0_5tupleIJPjSI_NS0_16reverse_iteratorISI_EEEEENSH_IJSG_SG_SG_EEES9_SI_JZNS1_25segmented_radix_sort_implINS0_14default_configELb1EPKbPbPKlPlN2at6native12_GLOBAL__N_18offset_tEEE10hipError_tPvRmT1_PNSt15iterator_traitsIS12_E10value_typeET2_T3_PNS13_IS18_E10value_typeET4_jRbjT5_S1E_jjP12ihipStream_tbEUljE_ZNSN_ISO_Lb1ESQ_SR_ST_SU_SY_EESZ_S10_S11_S12_S16_S17_S18_S1B_S1C_jS1D_jS1E_S1E_jjS1G_bEUljE0_EEESZ_S10_S11_S18_S1C_S1E_T6_T7_T9_mT8_S1G_bDpT10_ENKUlT_T0_E_clISt17integral_constantIbLb0EES1T_IbLb1EEEEDaS1P_S1Q_EUlS1P_E_NS1_11comp_targetILNS1_3genE5ELNS1_11target_archE942ELNS1_3gpuE9ELNS1_3repE0EEENS1_30default_config_static_selectorELNS0_4arch9wavefront6targetE1EEEvS12_, .Lfunc_end1493-_ZN7rocprim17ROCPRIM_400000_NS6detail17trampoline_kernelINS0_13select_configILj256ELj13ELNS0_17block_load_methodE3ELS4_3ELS4_3ELNS0_20block_scan_algorithmE0ELj4294967295EEENS1_25partition_config_selectorILNS1_17partition_subalgoE4EjNS0_10empty_typeEbEEZZNS1_14partition_implILS8_4ELb0ES6_15HIP_vector_typeIjLj2EENS0_17counting_iteratorIjlEEPS9_SG_NS0_5tupleIJPjSI_NS0_16reverse_iteratorISI_EEEEENSH_IJSG_SG_SG_EEES9_SI_JZNS1_25segmented_radix_sort_implINS0_14default_configELb1EPKbPbPKlPlN2at6native12_GLOBAL__N_18offset_tEEE10hipError_tPvRmT1_PNSt15iterator_traitsIS12_E10value_typeET2_T3_PNS13_IS18_E10value_typeET4_jRbjT5_S1E_jjP12ihipStream_tbEUljE_ZNSN_ISO_Lb1ESQ_SR_ST_SU_SY_EESZ_S10_S11_S12_S16_S17_S18_S1B_S1C_jS1D_jS1E_S1E_jjS1G_bEUljE0_EEESZ_S10_S11_S18_S1C_S1E_T6_T7_T9_mT8_S1G_bDpT10_ENKUlT_T0_E_clISt17integral_constantIbLb0EES1T_IbLb1EEEEDaS1P_S1Q_EUlS1P_E_NS1_11comp_targetILNS1_3genE5ELNS1_11target_archE942ELNS1_3gpuE9ELNS1_3repE0EEENS1_30default_config_static_selectorELNS0_4arch9wavefront6targetE1EEEvS12_
                                        ; -- End function
	.set _ZN7rocprim17ROCPRIM_400000_NS6detail17trampoline_kernelINS0_13select_configILj256ELj13ELNS0_17block_load_methodE3ELS4_3ELS4_3ELNS0_20block_scan_algorithmE0ELj4294967295EEENS1_25partition_config_selectorILNS1_17partition_subalgoE4EjNS0_10empty_typeEbEEZZNS1_14partition_implILS8_4ELb0ES6_15HIP_vector_typeIjLj2EENS0_17counting_iteratorIjlEEPS9_SG_NS0_5tupleIJPjSI_NS0_16reverse_iteratorISI_EEEEENSH_IJSG_SG_SG_EEES9_SI_JZNS1_25segmented_radix_sort_implINS0_14default_configELb1EPKbPbPKlPlN2at6native12_GLOBAL__N_18offset_tEEE10hipError_tPvRmT1_PNSt15iterator_traitsIS12_E10value_typeET2_T3_PNS13_IS18_E10value_typeET4_jRbjT5_S1E_jjP12ihipStream_tbEUljE_ZNSN_ISO_Lb1ESQ_SR_ST_SU_SY_EESZ_S10_S11_S12_S16_S17_S18_S1B_S1C_jS1D_jS1E_S1E_jjS1G_bEUljE0_EEESZ_S10_S11_S18_S1C_S1E_T6_T7_T9_mT8_S1G_bDpT10_ENKUlT_T0_E_clISt17integral_constantIbLb0EES1T_IbLb1EEEEDaS1P_S1Q_EUlS1P_E_NS1_11comp_targetILNS1_3genE5ELNS1_11target_archE942ELNS1_3gpuE9ELNS1_3repE0EEENS1_30default_config_static_selectorELNS0_4arch9wavefront6targetE1EEEvS12_.num_vgpr, 0
	.set _ZN7rocprim17ROCPRIM_400000_NS6detail17trampoline_kernelINS0_13select_configILj256ELj13ELNS0_17block_load_methodE3ELS4_3ELS4_3ELNS0_20block_scan_algorithmE0ELj4294967295EEENS1_25partition_config_selectorILNS1_17partition_subalgoE4EjNS0_10empty_typeEbEEZZNS1_14partition_implILS8_4ELb0ES6_15HIP_vector_typeIjLj2EENS0_17counting_iteratorIjlEEPS9_SG_NS0_5tupleIJPjSI_NS0_16reverse_iteratorISI_EEEEENSH_IJSG_SG_SG_EEES9_SI_JZNS1_25segmented_radix_sort_implINS0_14default_configELb1EPKbPbPKlPlN2at6native12_GLOBAL__N_18offset_tEEE10hipError_tPvRmT1_PNSt15iterator_traitsIS12_E10value_typeET2_T3_PNS13_IS18_E10value_typeET4_jRbjT5_S1E_jjP12ihipStream_tbEUljE_ZNSN_ISO_Lb1ESQ_SR_ST_SU_SY_EESZ_S10_S11_S12_S16_S17_S18_S1B_S1C_jS1D_jS1E_S1E_jjS1G_bEUljE0_EEESZ_S10_S11_S18_S1C_S1E_T6_T7_T9_mT8_S1G_bDpT10_ENKUlT_T0_E_clISt17integral_constantIbLb0EES1T_IbLb1EEEEDaS1P_S1Q_EUlS1P_E_NS1_11comp_targetILNS1_3genE5ELNS1_11target_archE942ELNS1_3gpuE9ELNS1_3repE0EEENS1_30default_config_static_selectorELNS0_4arch9wavefront6targetE1EEEvS12_.num_agpr, 0
	.set _ZN7rocprim17ROCPRIM_400000_NS6detail17trampoline_kernelINS0_13select_configILj256ELj13ELNS0_17block_load_methodE3ELS4_3ELS4_3ELNS0_20block_scan_algorithmE0ELj4294967295EEENS1_25partition_config_selectorILNS1_17partition_subalgoE4EjNS0_10empty_typeEbEEZZNS1_14partition_implILS8_4ELb0ES6_15HIP_vector_typeIjLj2EENS0_17counting_iteratorIjlEEPS9_SG_NS0_5tupleIJPjSI_NS0_16reverse_iteratorISI_EEEEENSH_IJSG_SG_SG_EEES9_SI_JZNS1_25segmented_radix_sort_implINS0_14default_configELb1EPKbPbPKlPlN2at6native12_GLOBAL__N_18offset_tEEE10hipError_tPvRmT1_PNSt15iterator_traitsIS12_E10value_typeET2_T3_PNS13_IS18_E10value_typeET4_jRbjT5_S1E_jjP12ihipStream_tbEUljE_ZNSN_ISO_Lb1ESQ_SR_ST_SU_SY_EESZ_S10_S11_S12_S16_S17_S18_S1B_S1C_jS1D_jS1E_S1E_jjS1G_bEUljE0_EEESZ_S10_S11_S18_S1C_S1E_T6_T7_T9_mT8_S1G_bDpT10_ENKUlT_T0_E_clISt17integral_constantIbLb0EES1T_IbLb1EEEEDaS1P_S1Q_EUlS1P_E_NS1_11comp_targetILNS1_3genE5ELNS1_11target_archE942ELNS1_3gpuE9ELNS1_3repE0EEENS1_30default_config_static_selectorELNS0_4arch9wavefront6targetE1EEEvS12_.numbered_sgpr, 0
	.set _ZN7rocprim17ROCPRIM_400000_NS6detail17trampoline_kernelINS0_13select_configILj256ELj13ELNS0_17block_load_methodE3ELS4_3ELS4_3ELNS0_20block_scan_algorithmE0ELj4294967295EEENS1_25partition_config_selectorILNS1_17partition_subalgoE4EjNS0_10empty_typeEbEEZZNS1_14partition_implILS8_4ELb0ES6_15HIP_vector_typeIjLj2EENS0_17counting_iteratorIjlEEPS9_SG_NS0_5tupleIJPjSI_NS0_16reverse_iteratorISI_EEEEENSH_IJSG_SG_SG_EEES9_SI_JZNS1_25segmented_radix_sort_implINS0_14default_configELb1EPKbPbPKlPlN2at6native12_GLOBAL__N_18offset_tEEE10hipError_tPvRmT1_PNSt15iterator_traitsIS12_E10value_typeET2_T3_PNS13_IS18_E10value_typeET4_jRbjT5_S1E_jjP12ihipStream_tbEUljE_ZNSN_ISO_Lb1ESQ_SR_ST_SU_SY_EESZ_S10_S11_S12_S16_S17_S18_S1B_S1C_jS1D_jS1E_S1E_jjS1G_bEUljE0_EEESZ_S10_S11_S18_S1C_S1E_T6_T7_T9_mT8_S1G_bDpT10_ENKUlT_T0_E_clISt17integral_constantIbLb0EES1T_IbLb1EEEEDaS1P_S1Q_EUlS1P_E_NS1_11comp_targetILNS1_3genE5ELNS1_11target_archE942ELNS1_3gpuE9ELNS1_3repE0EEENS1_30default_config_static_selectorELNS0_4arch9wavefront6targetE1EEEvS12_.num_named_barrier, 0
	.set _ZN7rocprim17ROCPRIM_400000_NS6detail17trampoline_kernelINS0_13select_configILj256ELj13ELNS0_17block_load_methodE3ELS4_3ELS4_3ELNS0_20block_scan_algorithmE0ELj4294967295EEENS1_25partition_config_selectorILNS1_17partition_subalgoE4EjNS0_10empty_typeEbEEZZNS1_14partition_implILS8_4ELb0ES6_15HIP_vector_typeIjLj2EENS0_17counting_iteratorIjlEEPS9_SG_NS0_5tupleIJPjSI_NS0_16reverse_iteratorISI_EEEEENSH_IJSG_SG_SG_EEES9_SI_JZNS1_25segmented_radix_sort_implINS0_14default_configELb1EPKbPbPKlPlN2at6native12_GLOBAL__N_18offset_tEEE10hipError_tPvRmT1_PNSt15iterator_traitsIS12_E10value_typeET2_T3_PNS13_IS18_E10value_typeET4_jRbjT5_S1E_jjP12ihipStream_tbEUljE_ZNSN_ISO_Lb1ESQ_SR_ST_SU_SY_EESZ_S10_S11_S12_S16_S17_S18_S1B_S1C_jS1D_jS1E_S1E_jjS1G_bEUljE0_EEESZ_S10_S11_S18_S1C_S1E_T6_T7_T9_mT8_S1G_bDpT10_ENKUlT_T0_E_clISt17integral_constantIbLb0EES1T_IbLb1EEEEDaS1P_S1Q_EUlS1P_E_NS1_11comp_targetILNS1_3genE5ELNS1_11target_archE942ELNS1_3gpuE9ELNS1_3repE0EEENS1_30default_config_static_selectorELNS0_4arch9wavefront6targetE1EEEvS12_.private_seg_size, 0
	.set _ZN7rocprim17ROCPRIM_400000_NS6detail17trampoline_kernelINS0_13select_configILj256ELj13ELNS0_17block_load_methodE3ELS4_3ELS4_3ELNS0_20block_scan_algorithmE0ELj4294967295EEENS1_25partition_config_selectorILNS1_17partition_subalgoE4EjNS0_10empty_typeEbEEZZNS1_14partition_implILS8_4ELb0ES6_15HIP_vector_typeIjLj2EENS0_17counting_iteratorIjlEEPS9_SG_NS0_5tupleIJPjSI_NS0_16reverse_iteratorISI_EEEEENSH_IJSG_SG_SG_EEES9_SI_JZNS1_25segmented_radix_sort_implINS0_14default_configELb1EPKbPbPKlPlN2at6native12_GLOBAL__N_18offset_tEEE10hipError_tPvRmT1_PNSt15iterator_traitsIS12_E10value_typeET2_T3_PNS13_IS18_E10value_typeET4_jRbjT5_S1E_jjP12ihipStream_tbEUljE_ZNSN_ISO_Lb1ESQ_SR_ST_SU_SY_EESZ_S10_S11_S12_S16_S17_S18_S1B_S1C_jS1D_jS1E_S1E_jjS1G_bEUljE0_EEESZ_S10_S11_S18_S1C_S1E_T6_T7_T9_mT8_S1G_bDpT10_ENKUlT_T0_E_clISt17integral_constantIbLb0EES1T_IbLb1EEEEDaS1P_S1Q_EUlS1P_E_NS1_11comp_targetILNS1_3genE5ELNS1_11target_archE942ELNS1_3gpuE9ELNS1_3repE0EEENS1_30default_config_static_selectorELNS0_4arch9wavefront6targetE1EEEvS12_.uses_vcc, 0
	.set _ZN7rocprim17ROCPRIM_400000_NS6detail17trampoline_kernelINS0_13select_configILj256ELj13ELNS0_17block_load_methodE3ELS4_3ELS4_3ELNS0_20block_scan_algorithmE0ELj4294967295EEENS1_25partition_config_selectorILNS1_17partition_subalgoE4EjNS0_10empty_typeEbEEZZNS1_14partition_implILS8_4ELb0ES6_15HIP_vector_typeIjLj2EENS0_17counting_iteratorIjlEEPS9_SG_NS0_5tupleIJPjSI_NS0_16reverse_iteratorISI_EEEEENSH_IJSG_SG_SG_EEES9_SI_JZNS1_25segmented_radix_sort_implINS0_14default_configELb1EPKbPbPKlPlN2at6native12_GLOBAL__N_18offset_tEEE10hipError_tPvRmT1_PNSt15iterator_traitsIS12_E10value_typeET2_T3_PNS13_IS18_E10value_typeET4_jRbjT5_S1E_jjP12ihipStream_tbEUljE_ZNSN_ISO_Lb1ESQ_SR_ST_SU_SY_EESZ_S10_S11_S12_S16_S17_S18_S1B_S1C_jS1D_jS1E_S1E_jjS1G_bEUljE0_EEESZ_S10_S11_S18_S1C_S1E_T6_T7_T9_mT8_S1G_bDpT10_ENKUlT_T0_E_clISt17integral_constantIbLb0EES1T_IbLb1EEEEDaS1P_S1Q_EUlS1P_E_NS1_11comp_targetILNS1_3genE5ELNS1_11target_archE942ELNS1_3gpuE9ELNS1_3repE0EEENS1_30default_config_static_selectorELNS0_4arch9wavefront6targetE1EEEvS12_.uses_flat_scratch, 0
	.set _ZN7rocprim17ROCPRIM_400000_NS6detail17trampoline_kernelINS0_13select_configILj256ELj13ELNS0_17block_load_methodE3ELS4_3ELS4_3ELNS0_20block_scan_algorithmE0ELj4294967295EEENS1_25partition_config_selectorILNS1_17partition_subalgoE4EjNS0_10empty_typeEbEEZZNS1_14partition_implILS8_4ELb0ES6_15HIP_vector_typeIjLj2EENS0_17counting_iteratorIjlEEPS9_SG_NS0_5tupleIJPjSI_NS0_16reverse_iteratorISI_EEEEENSH_IJSG_SG_SG_EEES9_SI_JZNS1_25segmented_radix_sort_implINS0_14default_configELb1EPKbPbPKlPlN2at6native12_GLOBAL__N_18offset_tEEE10hipError_tPvRmT1_PNSt15iterator_traitsIS12_E10value_typeET2_T3_PNS13_IS18_E10value_typeET4_jRbjT5_S1E_jjP12ihipStream_tbEUljE_ZNSN_ISO_Lb1ESQ_SR_ST_SU_SY_EESZ_S10_S11_S12_S16_S17_S18_S1B_S1C_jS1D_jS1E_S1E_jjS1G_bEUljE0_EEESZ_S10_S11_S18_S1C_S1E_T6_T7_T9_mT8_S1G_bDpT10_ENKUlT_T0_E_clISt17integral_constantIbLb0EES1T_IbLb1EEEEDaS1P_S1Q_EUlS1P_E_NS1_11comp_targetILNS1_3genE5ELNS1_11target_archE942ELNS1_3gpuE9ELNS1_3repE0EEENS1_30default_config_static_selectorELNS0_4arch9wavefront6targetE1EEEvS12_.has_dyn_sized_stack, 0
	.set _ZN7rocprim17ROCPRIM_400000_NS6detail17trampoline_kernelINS0_13select_configILj256ELj13ELNS0_17block_load_methodE3ELS4_3ELS4_3ELNS0_20block_scan_algorithmE0ELj4294967295EEENS1_25partition_config_selectorILNS1_17partition_subalgoE4EjNS0_10empty_typeEbEEZZNS1_14partition_implILS8_4ELb0ES6_15HIP_vector_typeIjLj2EENS0_17counting_iteratorIjlEEPS9_SG_NS0_5tupleIJPjSI_NS0_16reverse_iteratorISI_EEEEENSH_IJSG_SG_SG_EEES9_SI_JZNS1_25segmented_radix_sort_implINS0_14default_configELb1EPKbPbPKlPlN2at6native12_GLOBAL__N_18offset_tEEE10hipError_tPvRmT1_PNSt15iterator_traitsIS12_E10value_typeET2_T3_PNS13_IS18_E10value_typeET4_jRbjT5_S1E_jjP12ihipStream_tbEUljE_ZNSN_ISO_Lb1ESQ_SR_ST_SU_SY_EESZ_S10_S11_S12_S16_S17_S18_S1B_S1C_jS1D_jS1E_S1E_jjS1G_bEUljE0_EEESZ_S10_S11_S18_S1C_S1E_T6_T7_T9_mT8_S1G_bDpT10_ENKUlT_T0_E_clISt17integral_constantIbLb0EES1T_IbLb1EEEEDaS1P_S1Q_EUlS1P_E_NS1_11comp_targetILNS1_3genE5ELNS1_11target_archE942ELNS1_3gpuE9ELNS1_3repE0EEENS1_30default_config_static_selectorELNS0_4arch9wavefront6targetE1EEEvS12_.has_recursion, 0
	.set _ZN7rocprim17ROCPRIM_400000_NS6detail17trampoline_kernelINS0_13select_configILj256ELj13ELNS0_17block_load_methodE3ELS4_3ELS4_3ELNS0_20block_scan_algorithmE0ELj4294967295EEENS1_25partition_config_selectorILNS1_17partition_subalgoE4EjNS0_10empty_typeEbEEZZNS1_14partition_implILS8_4ELb0ES6_15HIP_vector_typeIjLj2EENS0_17counting_iteratorIjlEEPS9_SG_NS0_5tupleIJPjSI_NS0_16reverse_iteratorISI_EEEEENSH_IJSG_SG_SG_EEES9_SI_JZNS1_25segmented_radix_sort_implINS0_14default_configELb1EPKbPbPKlPlN2at6native12_GLOBAL__N_18offset_tEEE10hipError_tPvRmT1_PNSt15iterator_traitsIS12_E10value_typeET2_T3_PNS13_IS18_E10value_typeET4_jRbjT5_S1E_jjP12ihipStream_tbEUljE_ZNSN_ISO_Lb1ESQ_SR_ST_SU_SY_EESZ_S10_S11_S12_S16_S17_S18_S1B_S1C_jS1D_jS1E_S1E_jjS1G_bEUljE0_EEESZ_S10_S11_S18_S1C_S1E_T6_T7_T9_mT8_S1G_bDpT10_ENKUlT_T0_E_clISt17integral_constantIbLb0EES1T_IbLb1EEEEDaS1P_S1Q_EUlS1P_E_NS1_11comp_targetILNS1_3genE5ELNS1_11target_archE942ELNS1_3gpuE9ELNS1_3repE0EEENS1_30default_config_static_selectorELNS0_4arch9wavefront6targetE1EEEvS12_.has_indirect_call, 0
	.section	.AMDGPU.csdata,"",@progbits
; Kernel info:
; codeLenInByte = 0
; TotalNumSgprs: 4
; NumVgprs: 0
; ScratchSize: 0
; MemoryBound: 0
; FloatMode: 240
; IeeeMode: 1
; LDSByteSize: 0 bytes/workgroup (compile time only)
; SGPRBlocks: 0
; VGPRBlocks: 0
; NumSGPRsForWavesPerEU: 4
; NumVGPRsForWavesPerEU: 1
; Occupancy: 10
; WaveLimiterHint : 0
; COMPUTE_PGM_RSRC2:SCRATCH_EN: 0
; COMPUTE_PGM_RSRC2:USER_SGPR: 6
; COMPUTE_PGM_RSRC2:TRAP_HANDLER: 0
; COMPUTE_PGM_RSRC2:TGID_X_EN: 1
; COMPUTE_PGM_RSRC2:TGID_Y_EN: 0
; COMPUTE_PGM_RSRC2:TGID_Z_EN: 0
; COMPUTE_PGM_RSRC2:TIDIG_COMP_CNT: 0
	.section	.text._ZN7rocprim17ROCPRIM_400000_NS6detail17trampoline_kernelINS0_13select_configILj256ELj13ELNS0_17block_load_methodE3ELS4_3ELS4_3ELNS0_20block_scan_algorithmE0ELj4294967295EEENS1_25partition_config_selectorILNS1_17partition_subalgoE4EjNS0_10empty_typeEbEEZZNS1_14partition_implILS8_4ELb0ES6_15HIP_vector_typeIjLj2EENS0_17counting_iteratorIjlEEPS9_SG_NS0_5tupleIJPjSI_NS0_16reverse_iteratorISI_EEEEENSH_IJSG_SG_SG_EEES9_SI_JZNS1_25segmented_radix_sort_implINS0_14default_configELb1EPKbPbPKlPlN2at6native12_GLOBAL__N_18offset_tEEE10hipError_tPvRmT1_PNSt15iterator_traitsIS12_E10value_typeET2_T3_PNS13_IS18_E10value_typeET4_jRbjT5_S1E_jjP12ihipStream_tbEUljE_ZNSN_ISO_Lb1ESQ_SR_ST_SU_SY_EESZ_S10_S11_S12_S16_S17_S18_S1B_S1C_jS1D_jS1E_S1E_jjS1G_bEUljE0_EEESZ_S10_S11_S18_S1C_S1E_T6_T7_T9_mT8_S1G_bDpT10_ENKUlT_T0_E_clISt17integral_constantIbLb0EES1T_IbLb1EEEEDaS1P_S1Q_EUlS1P_E_NS1_11comp_targetILNS1_3genE4ELNS1_11target_archE910ELNS1_3gpuE8ELNS1_3repE0EEENS1_30default_config_static_selectorELNS0_4arch9wavefront6targetE1EEEvS12_,"axG",@progbits,_ZN7rocprim17ROCPRIM_400000_NS6detail17trampoline_kernelINS0_13select_configILj256ELj13ELNS0_17block_load_methodE3ELS4_3ELS4_3ELNS0_20block_scan_algorithmE0ELj4294967295EEENS1_25partition_config_selectorILNS1_17partition_subalgoE4EjNS0_10empty_typeEbEEZZNS1_14partition_implILS8_4ELb0ES6_15HIP_vector_typeIjLj2EENS0_17counting_iteratorIjlEEPS9_SG_NS0_5tupleIJPjSI_NS0_16reverse_iteratorISI_EEEEENSH_IJSG_SG_SG_EEES9_SI_JZNS1_25segmented_radix_sort_implINS0_14default_configELb1EPKbPbPKlPlN2at6native12_GLOBAL__N_18offset_tEEE10hipError_tPvRmT1_PNSt15iterator_traitsIS12_E10value_typeET2_T3_PNS13_IS18_E10value_typeET4_jRbjT5_S1E_jjP12ihipStream_tbEUljE_ZNSN_ISO_Lb1ESQ_SR_ST_SU_SY_EESZ_S10_S11_S12_S16_S17_S18_S1B_S1C_jS1D_jS1E_S1E_jjS1G_bEUljE0_EEESZ_S10_S11_S18_S1C_S1E_T6_T7_T9_mT8_S1G_bDpT10_ENKUlT_T0_E_clISt17integral_constantIbLb0EES1T_IbLb1EEEEDaS1P_S1Q_EUlS1P_E_NS1_11comp_targetILNS1_3genE4ELNS1_11target_archE910ELNS1_3gpuE8ELNS1_3repE0EEENS1_30default_config_static_selectorELNS0_4arch9wavefront6targetE1EEEvS12_,comdat
	.globl	_ZN7rocprim17ROCPRIM_400000_NS6detail17trampoline_kernelINS0_13select_configILj256ELj13ELNS0_17block_load_methodE3ELS4_3ELS4_3ELNS0_20block_scan_algorithmE0ELj4294967295EEENS1_25partition_config_selectorILNS1_17partition_subalgoE4EjNS0_10empty_typeEbEEZZNS1_14partition_implILS8_4ELb0ES6_15HIP_vector_typeIjLj2EENS0_17counting_iteratorIjlEEPS9_SG_NS0_5tupleIJPjSI_NS0_16reverse_iteratorISI_EEEEENSH_IJSG_SG_SG_EEES9_SI_JZNS1_25segmented_radix_sort_implINS0_14default_configELb1EPKbPbPKlPlN2at6native12_GLOBAL__N_18offset_tEEE10hipError_tPvRmT1_PNSt15iterator_traitsIS12_E10value_typeET2_T3_PNS13_IS18_E10value_typeET4_jRbjT5_S1E_jjP12ihipStream_tbEUljE_ZNSN_ISO_Lb1ESQ_SR_ST_SU_SY_EESZ_S10_S11_S12_S16_S17_S18_S1B_S1C_jS1D_jS1E_S1E_jjS1G_bEUljE0_EEESZ_S10_S11_S18_S1C_S1E_T6_T7_T9_mT8_S1G_bDpT10_ENKUlT_T0_E_clISt17integral_constantIbLb0EES1T_IbLb1EEEEDaS1P_S1Q_EUlS1P_E_NS1_11comp_targetILNS1_3genE4ELNS1_11target_archE910ELNS1_3gpuE8ELNS1_3repE0EEENS1_30default_config_static_selectorELNS0_4arch9wavefront6targetE1EEEvS12_ ; -- Begin function _ZN7rocprim17ROCPRIM_400000_NS6detail17trampoline_kernelINS0_13select_configILj256ELj13ELNS0_17block_load_methodE3ELS4_3ELS4_3ELNS0_20block_scan_algorithmE0ELj4294967295EEENS1_25partition_config_selectorILNS1_17partition_subalgoE4EjNS0_10empty_typeEbEEZZNS1_14partition_implILS8_4ELb0ES6_15HIP_vector_typeIjLj2EENS0_17counting_iteratorIjlEEPS9_SG_NS0_5tupleIJPjSI_NS0_16reverse_iteratorISI_EEEEENSH_IJSG_SG_SG_EEES9_SI_JZNS1_25segmented_radix_sort_implINS0_14default_configELb1EPKbPbPKlPlN2at6native12_GLOBAL__N_18offset_tEEE10hipError_tPvRmT1_PNSt15iterator_traitsIS12_E10value_typeET2_T3_PNS13_IS18_E10value_typeET4_jRbjT5_S1E_jjP12ihipStream_tbEUljE_ZNSN_ISO_Lb1ESQ_SR_ST_SU_SY_EESZ_S10_S11_S12_S16_S17_S18_S1B_S1C_jS1D_jS1E_S1E_jjS1G_bEUljE0_EEESZ_S10_S11_S18_S1C_S1E_T6_T7_T9_mT8_S1G_bDpT10_ENKUlT_T0_E_clISt17integral_constantIbLb0EES1T_IbLb1EEEEDaS1P_S1Q_EUlS1P_E_NS1_11comp_targetILNS1_3genE4ELNS1_11target_archE910ELNS1_3gpuE8ELNS1_3repE0EEENS1_30default_config_static_selectorELNS0_4arch9wavefront6targetE1EEEvS12_
	.p2align	8
	.type	_ZN7rocprim17ROCPRIM_400000_NS6detail17trampoline_kernelINS0_13select_configILj256ELj13ELNS0_17block_load_methodE3ELS4_3ELS4_3ELNS0_20block_scan_algorithmE0ELj4294967295EEENS1_25partition_config_selectorILNS1_17partition_subalgoE4EjNS0_10empty_typeEbEEZZNS1_14partition_implILS8_4ELb0ES6_15HIP_vector_typeIjLj2EENS0_17counting_iteratorIjlEEPS9_SG_NS0_5tupleIJPjSI_NS0_16reverse_iteratorISI_EEEEENSH_IJSG_SG_SG_EEES9_SI_JZNS1_25segmented_radix_sort_implINS0_14default_configELb1EPKbPbPKlPlN2at6native12_GLOBAL__N_18offset_tEEE10hipError_tPvRmT1_PNSt15iterator_traitsIS12_E10value_typeET2_T3_PNS13_IS18_E10value_typeET4_jRbjT5_S1E_jjP12ihipStream_tbEUljE_ZNSN_ISO_Lb1ESQ_SR_ST_SU_SY_EESZ_S10_S11_S12_S16_S17_S18_S1B_S1C_jS1D_jS1E_S1E_jjS1G_bEUljE0_EEESZ_S10_S11_S18_S1C_S1E_T6_T7_T9_mT8_S1G_bDpT10_ENKUlT_T0_E_clISt17integral_constantIbLb0EES1T_IbLb1EEEEDaS1P_S1Q_EUlS1P_E_NS1_11comp_targetILNS1_3genE4ELNS1_11target_archE910ELNS1_3gpuE8ELNS1_3repE0EEENS1_30default_config_static_selectorELNS0_4arch9wavefront6targetE1EEEvS12_,@function
_ZN7rocprim17ROCPRIM_400000_NS6detail17trampoline_kernelINS0_13select_configILj256ELj13ELNS0_17block_load_methodE3ELS4_3ELS4_3ELNS0_20block_scan_algorithmE0ELj4294967295EEENS1_25partition_config_selectorILNS1_17partition_subalgoE4EjNS0_10empty_typeEbEEZZNS1_14partition_implILS8_4ELb0ES6_15HIP_vector_typeIjLj2EENS0_17counting_iteratorIjlEEPS9_SG_NS0_5tupleIJPjSI_NS0_16reverse_iteratorISI_EEEEENSH_IJSG_SG_SG_EEES9_SI_JZNS1_25segmented_radix_sort_implINS0_14default_configELb1EPKbPbPKlPlN2at6native12_GLOBAL__N_18offset_tEEE10hipError_tPvRmT1_PNSt15iterator_traitsIS12_E10value_typeET2_T3_PNS13_IS18_E10value_typeET4_jRbjT5_S1E_jjP12ihipStream_tbEUljE_ZNSN_ISO_Lb1ESQ_SR_ST_SU_SY_EESZ_S10_S11_S12_S16_S17_S18_S1B_S1C_jS1D_jS1E_S1E_jjS1G_bEUljE0_EEESZ_S10_S11_S18_S1C_S1E_T6_T7_T9_mT8_S1G_bDpT10_ENKUlT_T0_E_clISt17integral_constantIbLb0EES1T_IbLb1EEEEDaS1P_S1Q_EUlS1P_E_NS1_11comp_targetILNS1_3genE4ELNS1_11target_archE910ELNS1_3gpuE8ELNS1_3repE0EEENS1_30default_config_static_selectorELNS0_4arch9wavefront6targetE1EEEvS12_: ; @_ZN7rocprim17ROCPRIM_400000_NS6detail17trampoline_kernelINS0_13select_configILj256ELj13ELNS0_17block_load_methodE3ELS4_3ELS4_3ELNS0_20block_scan_algorithmE0ELj4294967295EEENS1_25partition_config_selectorILNS1_17partition_subalgoE4EjNS0_10empty_typeEbEEZZNS1_14partition_implILS8_4ELb0ES6_15HIP_vector_typeIjLj2EENS0_17counting_iteratorIjlEEPS9_SG_NS0_5tupleIJPjSI_NS0_16reverse_iteratorISI_EEEEENSH_IJSG_SG_SG_EEES9_SI_JZNS1_25segmented_radix_sort_implINS0_14default_configELb1EPKbPbPKlPlN2at6native12_GLOBAL__N_18offset_tEEE10hipError_tPvRmT1_PNSt15iterator_traitsIS12_E10value_typeET2_T3_PNS13_IS18_E10value_typeET4_jRbjT5_S1E_jjP12ihipStream_tbEUljE_ZNSN_ISO_Lb1ESQ_SR_ST_SU_SY_EESZ_S10_S11_S12_S16_S17_S18_S1B_S1C_jS1D_jS1E_S1E_jjS1G_bEUljE0_EEESZ_S10_S11_S18_S1C_S1E_T6_T7_T9_mT8_S1G_bDpT10_ENKUlT_T0_E_clISt17integral_constantIbLb0EES1T_IbLb1EEEEDaS1P_S1Q_EUlS1P_E_NS1_11comp_targetILNS1_3genE4ELNS1_11target_archE910ELNS1_3gpuE8ELNS1_3repE0EEENS1_30default_config_static_selectorELNS0_4arch9wavefront6targetE1EEEvS12_
; %bb.0:
	.section	.rodata,"a",@progbits
	.p2align	6, 0x0
	.amdhsa_kernel _ZN7rocprim17ROCPRIM_400000_NS6detail17trampoline_kernelINS0_13select_configILj256ELj13ELNS0_17block_load_methodE3ELS4_3ELS4_3ELNS0_20block_scan_algorithmE0ELj4294967295EEENS1_25partition_config_selectorILNS1_17partition_subalgoE4EjNS0_10empty_typeEbEEZZNS1_14partition_implILS8_4ELb0ES6_15HIP_vector_typeIjLj2EENS0_17counting_iteratorIjlEEPS9_SG_NS0_5tupleIJPjSI_NS0_16reverse_iteratorISI_EEEEENSH_IJSG_SG_SG_EEES9_SI_JZNS1_25segmented_radix_sort_implINS0_14default_configELb1EPKbPbPKlPlN2at6native12_GLOBAL__N_18offset_tEEE10hipError_tPvRmT1_PNSt15iterator_traitsIS12_E10value_typeET2_T3_PNS13_IS18_E10value_typeET4_jRbjT5_S1E_jjP12ihipStream_tbEUljE_ZNSN_ISO_Lb1ESQ_SR_ST_SU_SY_EESZ_S10_S11_S12_S16_S17_S18_S1B_S1C_jS1D_jS1E_S1E_jjS1G_bEUljE0_EEESZ_S10_S11_S18_S1C_S1E_T6_T7_T9_mT8_S1G_bDpT10_ENKUlT_T0_E_clISt17integral_constantIbLb0EES1T_IbLb1EEEEDaS1P_S1Q_EUlS1P_E_NS1_11comp_targetILNS1_3genE4ELNS1_11target_archE910ELNS1_3gpuE8ELNS1_3repE0EEENS1_30default_config_static_selectorELNS0_4arch9wavefront6targetE1EEEvS12_
		.amdhsa_group_segment_fixed_size 0
		.amdhsa_private_segment_fixed_size 0
		.amdhsa_kernarg_size 184
		.amdhsa_user_sgpr_count 6
		.amdhsa_user_sgpr_private_segment_buffer 1
		.amdhsa_user_sgpr_dispatch_ptr 0
		.amdhsa_user_sgpr_queue_ptr 0
		.amdhsa_user_sgpr_kernarg_segment_ptr 1
		.amdhsa_user_sgpr_dispatch_id 0
		.amdhsa_user_sgpr_flat_scratch_init 0
		.amdhsa_user_sgpr_private_segment_size 0
		.amdhsa_uses_dynamic_stack 0
		.amdhsa_system_sgpr_private_segment_wavefront_offset 0
		.amdhsa_system_sgpr_workgroup_id_x 1
		.amdhsa_system_sgpr_workgroup_id_y 0
		.amdhsa_system_sgpr_workgroup_id_z 0
		.amdhsa_system_sgpr_workgroup_info 0
		.amdhsa_system_vgpr_workitem_id 0
		.amdhsa_next_free_vgpr 1
		.amdhsa_next_free_sgpr 0
		.amdhsa_reserve_vcc 0
		.amdhsa_reserve_flat_scratch 0
		.amdhsa_float_round_mode_32 0
		.amdhsa_float_round_mode_16_64 0
		.amdhsa_float_denorm_mode_32 3
		.amdhsa_float_denorm_mode_16_64 3
		.amdhsa_dx10_clamp 1
		.amdhsa_ieee_mode 1
		.amdhsa_fp16_overflow 0
		.amdhsa_exception_fp_ieee_invalid_op 0
		.amdhsa_exception_fp_denorm_src 0
		.amdhsa_exception_fp_ieee_div_zero 0
		.amdhsa_exception_fp_ieee_overflow 0
		.amdhsa_exception_fp_ieee_underflow 0
		.amdhsa_exception_fp_ieee_inexact 0
		.amdhsa_exception_int_div_zero 0
	.end_amdhsa_kernel
	.section	.text._ZN7rocprim17ROCPRIM_400000_NS6detail17trampoline_kernelINS0_13select_configILj256ELj13ELNS0_17block_load_methodE3ELS4_3ELS4_3ELNS0_20block_scan_algorithmE0ELj4294967295EEENS1_25partition_config_selectorILNS1_17partition_subalgoE4EjNS0_10empty_typeEbEEZZNS1_14partition_implILS8_4ELb0ES6_15HIP_vector_typeIjLj2EENS0_17counting_iteratorIjlEEPS9_SG_NS0_5tupleIJPjSI_NS0_16reverse_iteratorISI_EEEEENSH_IJSG_SG_SG_EEES9_SI_JZNS1_25segmented_radix_sort_implINS0_14default_configELb1EPKbPbPKlPlN2at6native12_GLOBAL__N_18offset_tEEE10hipError_tPvRmT1_PNSt15iterator_traitsIS12_E10value_typeET2_T3_PNS13_IS18_E10value_typeET4_jRbjT5_S1E_jjP12ihipStream_tbEUljE_ZNSN_ISO_Lb1ESQ_SR_ST_SU_SY_EESZ_S10_S11_S12_S16_S17_S18_S1B_S1C_jS1D_jS1E_S1E_jjS1G_bEUljE0_EEESZ_S10_S11_S18_S1C_S1E_T6_T7_T9_mT8_S1G_bDpT10_ENKUlT_T0_E_clISt17integral_constantIbLb0EES1T_IbLb1EEEEDaS1P_S1Q_EUlS1P_E_NS1_11comp_targetILNS1_3genE4ELNS1_11target_archE910ELNS1_3gpuE8ELNS1_3repE0EEENS1_30default_config_static_selectorELNS0_4arch9wavefront6targetE1EEEvS12_,"axG",@progbits,_ZN7rocprim17ROCPRIM_400000_NS6detail17trampoline_kernelINS0_13select_configILj256ELj13ELNS0_17block_load_methodE3ELS4_3ELS4_3ELNS0_20block_scan_algorithmE0ELj4294967295EEENS1_25partition_config_selectorILNS1_17partition_subalgoE4EjNS0_10empty_typeEbEEZZNS1_14partition_implILS8_4ELb0ES6_15HIP_vector_typeIjLj2EENS0_17counting_iteratorIjlEEPS9_SG_NS0_5tupleIJPjSI_NS0_16reverse_iteratorISI_EEEEENSH_IJSG_SG_SG_EEES9_SI_JZNS1_25segmented_radix_sort_implINS0_14default_configELb1EPKbPbPKlPlN2at6native12_GLOBAL__N_18offset_tEEE10hipError_tPvRmT1_PNSt15iterator_traitsIS12_E10value_typeET2_T3_PNS13_IS18_E10value_typeET4_jRbjT5_S1E_jjP12ihipStream_tbEUljE_ZNSN_ISO_Lb1ESQ_SR_ST_SU_SY_EESZ_S10_S11_S12_S16_S17_S18_S1B_S1C_jS1D_jS1E_S1E_jjS1G_bEUljE0_EEESZ_S10_S11_S18_S1C_S1E_T6_T7_T9_mT8_S1G_bDpT10_ENKUlT_T0_E_clISt17integral_constantIbLb0EES1T_IbLb1EEEEDaS1P_S1Q_EUlS1P_E_NS1_11comp_targetILNS1_3genE4ELNS1_11target_archE910ELNS1_3gpuE8ELNS1_3repE0EEENS1_30default_config_static_selectorELNS0_4arch9wavefront6targetE1EEEvS12_,comdat
.Lfunc_end1494:
	.size	_ZN7rocprim17ROCPRIM_400000_NS6detail17trampoline_kernelINS0_13select_configILj256ELj13ELNS0_17block_load_methodE3ELS4_3ELS4_3ELNS0_20block_scan_algorithmE0ELj4294967295EEENS1_25partition_config_selectorILNS1_17partition_subalgoE4EjNS0_10empty_typeEbEEZZNS1_14partition_implILS8_4ELb0ES6_15HIP_vector_typeIjLj2EENS0_17counting_iteratorIjlEEPS9_SG_NS0_5tupleIJPjSI_NS0_16reverse_iteratorISI_EEEEENSH_IJSG_SG_SG_EEES9_SI_JZNS1_25segmented_radix_sort_implINS0_14default_configELb1EPKbPbPKlPlN2at6native12_GLOBAL__N_18offset_tEEE10hipError_tPvRmT1_PNSt15iterator_traitsIS12_E10value_typeET2_T3_PNS13_IS18_E10value_typeET4_jRbjT5_S1E_jjP12ihipStream_tbEUljE_ZNSN_ISO_Lb1ESQ_SR_ST_SU_SY_EESZ_S10_S11_S12_S16_S17_S18_S1B_S1C_jS1D_jS1E_S1E_jjS1G_bEUljE0_EEESZ_S10_S11_S18_S1C_S1E_T6_T7_T9_mT8_S1G_bDpT10_ENKUlT_T0_E_clISt17integral_constantIbLb0EES1T_IbLb1EEEEDaS1P_S1Q_EUlS1P_E_NS1_11comp_targetILNS1_3genE4ELNS1_11target_archE910ELNS1_3gpuE8ELNS1_3repE0EEENS1_30default_config_static_selectorELNS0_4arch9wavefront6targetE1EEEvS12_, .Lfunc_end1494-_ZN7rocprim17ROCPRIM_400000_NS6detail17trampoline_kernelINS0_13select_configILj256ELj13ELNS0_17block_load_methodE3ELS4_3ELS4_3ELNS0_20block_scan_algorithmE0ELj4294967295EEENS1_25partition_config_selectorILNS1_17partition_subalgoE4EjNS0_10empty_typeEbEEZZNS1_14partition_implILS8_4ELb0ES6_15HIP_vector_typeIjLj2EENS0_17counting_iteratorIjlEEPS9_SG_NS0_5tupleIJPjSI_NS0_16reverse_iteratorISI_EEEEENSH_IJSG_SG_SG_EEES9_SI_JZNS1_25segmented_radix_sort_implINS0_14default_configELb1EPKbPbPKlPlN2at6native12_GLOBAL__N_18offset_tEEE10hipError_tPvRmT1_PNSt15iterator_traitsIS12_E10value_typeET2_T3_PNS13_IS18_E10value_typeET4_jRbjT5_S1E_jjP12ihipStream_tbEUljE_ZNSN_ISO_Lb1ESQ_SR_ST_SU_SY_EESZ_S10_S11_S12_S16_S17_S18_S1B_S1C_jS1D_jS1E_S1E_jjS1G_bEUljE0_EEESZ_S10_S11_S18_S1C_S1E_T6_T7_T9_mT8_S1G_bDpT10_ENKUlT_T0_E_clISt17integral_constantIbLb0EES1T_IbLb1EEEEDaS1P_S1Q_EUlS1P_E_NS1_11comp_targetILNS1_3genE4ELNS1_11target_archE910ELNS1_3gpuE8ELNS1_3repE0EEENS1_30default_config_static_selectorELNS0_4arch9wavefront6targetE1EEEvS12_
                                        ; -- End function
	.set _ZN7rocprim17ROCPRIM_400000_NS6detail17trampoline_kernelINS0_13select_configILj256ELj13ELNS0_17block_load_methodE3ELS4_3ELS4_3ELNS0_20block_scan_algorithmE0ELj4294967295EEENS1_25partition_config_selectorILNS1_17partition_subalgoE4EjNS0_10empty_typeEbEEZZNS1_14partition_implILS8_4ELb0ES6_15HIP_vector_typeIjLj2EENS0_17counting_iteratorIjlEEPS9_SG_NS0_5tupleIJPjSI_NS0_16reverse_iteratorISI_EEEEENSH_IJSG_SG_SG_EEES9_SI_JZNS1_25segmented_radix_sort_implINS0_14default_configELb1EPKbPbPKlPlN2at6native12_GLOBAL__N_18offset_tEEE10hipError_tPvRmT1_PNSt15iterator_traitsIS12_E10value_typeET2_T3_PNS13_IS18_E10value_typeET4_jRbjT5_S1E_jjP12ihipStream_tbEUljE_ZNSN_ISO_Lb1ESQ_SR_ST_SU_SY_EESZ_S10_S11_S12_S16_S17_S18_S1B_S1C_jS1D_jS1E_S1E_jjS1G_bEUljE0_EEESZ_S10_S11_S18_S1C_S1E_T6_T7_T9_mT8_S1G_bDpT10_ENKUlT_T0_E_clISt17integral_constantIbLb0EES1T_IbLb1EEEEDaS1P_S1Q_EUlS1P_E_NS1_11comp_targetILNS1_3genE4ELNS1_11target_archE910ELNS1_3gpuE8ELNS1_3repE0EEENS1_30default_config_static_selectorELNS0_4arch9wavefront6targetE1EEEvS12_.num_vgpr, 0
	.set _ZN7rocprim17ROCPRIM_400000_NS6detail17trampoline_kernelINS0_13select_configILj256ELj13ELNS0_17block_load_methodE3ELS4_3ELS4_3ELNS0_20block_scan_algorithmE0ELj4294967295EEENS1_25partition_config_selectorILNS1_17partition_subalgoE4EjNS0_10empty_typeEbEEZZNS1_14partition_implILS8_4ELb0ES6_15HIP_vector_typeIjLj2EENS0_17counting_iteratorIjlEEPS9_SG_NS0_5tupleIJPjSI_NS0_16reverse_iteratorISI_EEEEENSH_IJSG_SG_SG_EEES9_SI_JZNS1_25segmented_radix_sort_implINS0_14default_configELb1EPKbPbPKlPlN2at6native12_GLOBAL__N_18offset_tEEE10hipError_tPvRmT1_PNSt15iterator_traitsIS12_E10value_typeET2_T3_PNS13_IS18_E10value_typeET4_jRbjT5_S1E_jjP12ihipStream_tbEUljE_ZNSN_ISO_Lb1ESQ_SR_ST_SU_SY_EESZ_S10_S11_S12_S16_S17_S18_S1B_S1C_jS1D_jS1E_S1E_jjS1G_bEUljE0_EEESZ_S10_S11_S18_S1C_S1E_T6_T7_T9_mT8_S1G_bDpT10_ENKUlT_T0_E_clISt17integral_constantIbLb0EES1T_IbLb1EEEEDaS1P_S1Q_EUlS1P_E_NS1_11comp_targetILNS1_3genE4ELNS1_11target_archE910ELNS1_3gpuE8ELNS1_3repE0EEENS1_30default_config_static_selectorELNS0_4arch9wavefront6targetE1EEEvS12_.num_agpr, 0
	.set _ZN7rocprim17ROCPRIM_400000_NS6detail17trampoline_kernelINS0_13select_configILj256ELj13ELNS0_17block_load_methodE3ELS4_3ELS4_3ELNS0_20block_scan_algorithmE0ELj4294967295EEENS1_25partition_config_selectorILNS1_17partition_subalgoE4EjNS0_10empty_typeEbEEZZNS1_14partition_implILS8_4ELb0ES6_15HIP_vector_typeIjLj2EENS0_17counting_iteratorIjlEEPS9_SG_NS0_5tupleIJPjSI_NS0_16reverse_iteratorISI_EEEEENSH_IJSG_SG_SG_EEES9_SI_JZNS1_25segmented_radix_sort_implINS0_14default_configELb1EPKbPbPKlPlN2at6native12_GLOBAL__N_18offset_tEEE10hipError_tPvRmT1_PNSt15iterator_traitsIS12_E10value_typeET2_T3_PNS13_IS18_E10value_typeET4_jRbjT5_S1E_jjP12ihipStream_tbEUljE_ZNSN_ISO_Lb1ESQ_SR_ST_SU_SY_EESZ_S10_S11_S12_S16_S17_S18_S1B_S1C_jS1D_jS1E_S1E_jjS1G_bEUljE0_EEESZ_S10_S11_S18_S1C_S1E_T6_T7_T9_mT8_S1G_bDpT10_ENKUlT_T0_E_clISt17integral_constantIbLb0EES1T_IbLb1EEEEDaS1P_S1Q_EUlS1P_E_NS1_11comp_targetILNS1_3genE4ELNS1_11target_archE910ELNS1_3gpuE8ELNS1_3repE0EEENS1_30default_config_static_selectorELNS0_4arch9wavefront6targetE1EEEvS12_.numbered_sgpr, 0
	.set _ZN7rocprim17ROCPRIM_400000_NS6detail17trampoline_kernelINS0_13select_configILj256ELj13ELNS0_17block_load_methodE3ELS4_3ELS4_3ELNS0_20block_scan_algorithmE0ELj4294967295EEENS1_25partition_config_selectorILNS1_17partition_subalgoE4EjNS0_10empty_typeEbEEZZNS1_14partition_implILS8_4ELb0ES6_15HIP_vector_typeIjLj2EENS0_17counting_iteratorIjlEEPS9_SG_NS0_5tupleIJPjSI_NS0_16reverse_iteratorISI_EEEEENSH_IJSG_SG_SG_EEES9_SI_JZNS1_25segmented_radix_sort_implINS0_14default_configELb1EPKbPbPKlPlN2at6native12_GLOBAL__N_18offset_tEEE10hipError_tPvRmT1_PNSt15iterator_traitsIS12_E10value_typeET2_T3_PNS13_IS18_E10value_typeET4_jRbjT5_S1E_jjP12ihipStream_tbEUljE_ZNSN_ISO_Lb1ESQ_SR_ST_SU_SY_EESZ_S10_S11_S12_S16_S17_S18_S1B_S1C_jS1D_jS1E_S1E_jjS1G_bEUljE0_EEESZ_S10_S11_S18_S1C_S1E_T6_T7_T9_mT8_S1G_bDpT10_ENKUlT_T0_E_clISt17integral_constantIbLb0EES1T_IbLb1EEEEDaS1P_S1Q_EUlS1P_E_NS1_11comp_targetILNS1_3genE4ELNS1_11target_archE910ELNS1_3gpuE8ELNS1_3repE0EEENS1_30default_config_static_selectorELNS0_4arch9wavefront6targetE1EEEvS12_.num_named_barrier, 0
	.set _ZN7rocprim17ROCPRIM_400000_NS6detail17trampoline_kernelINS0_13select_configILj256ELj13ELNS0_17block_load_methodE3ELS4_3ELS4_3ELNS0_20block_scan_algorithmE0ELj4294967295EEENS1_25partition_config_selectorILNS1_17partition_subalgoE4EjNS0_10empty_typeEbEEZZNS1_14partition_implILS8_4ELb0ES6_15HIP_vector_typeIjLj2EENS0_17counting_iteratorIjlEEPS9_SG_NS0_5tupleIJPjSI_NS0_16reverse_iteratorISI_EEEEENSH_IJSG_SG_SG_EEES9_SI_JZNS1_25segmented_radix_sort_implINS0_14default_configELb1EPKbPbPKlPlN2at6native12_GLOBAL__N_18offset_tEEE10hipError_tPvRmT1_PNSt15iterator_traitsIS12_E10value_typeET2_T3_PNS13_IS18_E10value_typeET4_jRbjT5_S1E_jjP12ihipStream_tbEUljE_ZNSN_ISO_Lb1ESQ_SR_ST_SU_SY_EESZ_S10_S11_S12_S16_S17_S18_S1B_S1C_jS1D_jS1E_S1E_jjS1G_bEUljE0_EEESZ_S10_S11_S18_S1C_S1E_T6_T7_T9_mT8_S1G_bDpT10_ENKUlT_T0_E_clISt17integral_constantIbLb0EES1T_IbLb1EEEEDaS1P_S1Q_EUlS1P_E_NS1_11comp_targetILNS1_3genE4ELNS1_11target_archE910ELNS1_3gpuE8ELNS1_3repE0EEENS1_30default_config_static_selectorELNS0_4arch9wavefront6targetE1EEEvS12_.private_seg_size, 0
	.set _ZN7rocprim17ROCPRIM_400000_NS6detail17trampoline_kernelINS0_13select_configILj256ELj13ELNS0_17block_load_methodE3ELS4_3ELS4_3ELNS0_20block_scan_algorithmE0ELj4294967295EEENS1_25partition_config_selectorILNS1_17partition_subalgoE4EjNS0_10empty_typeEbEEZZNS1_14partition_implILS8_4ELb0ES6_15HIP_vector_typeIjLj2EENS0_17counting_iteratorIjlEEPS9_SG_NS0_5tupleIJPjSI_NS0_16reverse_iteratorISI_EEEEENSH_IJSG_SG_SG_EEES9_SI_JZNS1_25segmented_radix_sort_implINS0_14default_configELb1EPKbPbPKlPlN2at6native12_GLOBAL__N_18offset_tEEE10hipError_tPvRmT1_PNSt15iterator_traitsIS12_E10value_typeET2_T3_PNS13_IS18_E10value_typeET4_jRbjT5_S1E_jjP12ihipStream_tbEUljE_ZNSN_ISO_Lb1ESQ_SR_ST_SU_SY_EESZ_S10_S11_S12_S16_S17_S18_S1B_S1C_jS1D_jS1E_S1E_jjS1G_bEUljE0_EEESZ_S10_S11_S18_S1C_S1E_T6_T7_T9_mT8_S1G_bDpT10_ENKUlT_T0_E_clISt17integral_constantIbLb0EES1T_IbLb1EEEEDaS1P_S1Q_EUlS1P_E_NS1_11comp_targetILNS1_3genE4ELNS1_11target_archE910ELNS1_3gpuE8ELNS1_3repE0EEENS1_30default_config_static_selectorELNS0_4arch9wavefront6targetE1EEEvS12_.uses_vcc, 0
	.set _ZN7rocprim17ROCPRIM_400000_NS6detail17trampoline_kernelINS0_13select_configILj256ELj13ELNS0_17block_load_methodE3ELS4_3ELS4_3ELNS0_20block_scan_algorithmE0ELj4294967295EEENS1_25partition_config_selectorILNS1_17partition_subalgoE4EjNS0_10empty_typeEbEEZZNS1_14partition_implILS8_4ELb0ES6_15HIP_vector_typeIjLj2EENS0_17counting_iteratorIjlEEPS9_SG_NS0_5tupleIJPjSI_NS0_16reverse_iteratorISI_EEEEENSH_IJSG_SG_SG_EEES9_SI_JZNS1_25segmented_radix_sort_implINS0_14default_configELb1EPKbPbPKlPlN2at6native12_GLOBAL__N_18offset_tEEE10hipError_tPvRmT1_PNSt15iterator_traitsIS12_E10value_typeET2_T3_PNS13_IS18_E10value_typeET4_jRbjT5_S1E_jjP12ihipStream_tbEUljE_ZNSN_ISO_Lb1ESQ_SR_ST_SU_SY_EESZ_S10_S11_S12_S16_S17_S18_S1B_S1C_jS1D_jS1E_S1E_jjS1G_bEUljE0_EEESZ_S10_S11_S18_S1C_S1E_T6_T7_T9_mT8_S1G_bDpT10_ENKUlT_T0_E_clISt17integral_constantIbLb0EES1T_IbLb1EEEEDaS1P_S1Q_EUlS1P_E_NS1_11comp_targetILNS1_3genE4ELNS1_11target_archE910ELNS1_3gpuE8ELNS1_3repE0EEENS1_30default_config_static_selectorELNS0_4arch9wavefront6targetE1EEEvS12_.uses_flat_scratch, 0
	.set _ZN7rocprim17ROCPRIM_400000_NS6detail17trampoline_kernelINS0_13select_configILj256ELj13ELNS0_17block_load_methodE3ELS4_3ELS4_3ELNS0_20block_scan_algorithmE0ELj4294967295EEENS1_25partition_config_selectorILNS1_17partition_subalgoE4EjNS0_10empty_typeEbEEZZNS1_14partition_implILS8_4ELb0ES6_15HIP_vector_typeIjLj2EENS0_17counting_iteratorIjlEEPS9_SG_NS0_5tupleIJPjSI_NS0_16reverse_iteratorISI_EEEEENSH_IJSG_SG_SG_EEES9_SI_JZNS1_25segmented_radix_sort_implINS0_14default_configELb1EPKbPbPKlPlN2at6native12_GLOBAL__N_18offset_tEEE10hipError_tPvRmT1_PNSt15iterator_traitsIS12_E10value_typeET2_T3_PNS13_IS18_E10value_typeET4_jRbjT5_S1E_jjP12ihipStream_tbEUljE_ZNSN_ISO_Lb1ESQ_SR_ST_SU_SY_EESZ_S10_S11_S12_S16_S17_S18_S1B_S1C_jS1D_jS1E_S1E_jjS1G_bEUljE0_EEESZ_S10_S11_S18_S1C_S1E_T6_T7_T9_mT8_S1G_bDpT10_ENKUlT_T0_E_clISt17integral_constantIbLb0EES1T_IbLb1EEEEDaS1P_S1Q_EUlS1P_E_NS1_11comp_targetILNS1_3genE4ELNS1_11target_archE910ELNS1_3gpuE8ELNS1_3repE0EEENS1_30default_config_static_selectorELNS0_4arch9wavefront6targetE1EEEvS12_.has_dyn_sized_stack, 0
	.set _ZN7rocprim17ROCPRIM_400000_NS6detail17trampoline_kernelINS0_13select_configILj256ELj13ELNS0_17block_load_methodE3ELS4_3ELS4_3ELNS0_20block_scan_algorithmE0ELj4294967295EEENS1_25partition_config_selectorILNS1_17partition_subalgoE4EjNS0_10empty_typeEbEEZZNS1_14partition_implILS8_4ELb0ES6_15HIP_vector_typeIjLj2EENS0_17counting_iteratorIjlEEPS9_SG_NS0_5tupleIJPjSI_NS0_16reverse_iteratorISI_EEEEENSH_IJSG_SG_SG_EEES9_SI_JZNS1_25segmented_radix_sort_implINS0_14default_configELb1EPKbPbPKlPlN2at6native12_GLOBAL__N_18offset_tEEE10hipError_tPvRmT1_PNSt15iterator_traitsIS12_E10value_typeET2_T3_PNS13_IS18_E10value_typeET4_jRbjT5_S1E_jjP12ihipStream_tbEUljE_ZNSN_ISO_Lb1ESQ_SR_ST_SU_SY_EESZ_S10_S11_S12_S16_S17_S18_S1B_S1C_jS1D_jS1E_S1E_jjS1G_bEUljE0_EEESZ_S10_S11_S18_S1C_S1E_T6_T7_T9_mT8_S1G_bDpT10_ENKUlT_T0_E_clISt17integral_constantIbLb0EES1T_IbLb1EEEEDaS1P_S1Q_EUlS1P_E_NS1_11comp_targetILNS1_3genE4ELNS1_11target_archE910ELNS1_3gpuE8ELNS1_3repE0EEENS1_30default_config_static_selectorELNS0_4arch9wavefront6targetE1EEEvS12_.has_recursion, 0
	.set _ZN7rocprim17ROCPRIM_400000_NS6detail17trampoline_kernelINS0_13select_configILj256ELj13ELNS0_17block_load_methodE3ELS4_3ELS4_3ELNS0_20block_scan_algorithmE0ELj4294967295EEENS1_25partition_config_selectorILNS1_17partition_subalgoE4EjNS0_10empty_typeEbEEZZNS1_14partition_implILS8_4ELb0ES6_15HIP_vector_typeIjLj2EENS0_17counting_iteratorIjlEEPS9_SG_NS0_5tupleIJPjSI_NS0_16reverse_iteratorISI_EEEEENSH_IJSG_SG_SG_EEES9_SI_JZNS1_25segmented_radix_sort_implINS0_14default_configELb1EPKbPbPKlPlN2at6native12_GLOBAL__N_18offset_tEEE10hipError_tPvRmT1_PNSt15iterator_traitsIS12_E10value_typeET2_T3_PNS13_IS18_E10value_typeET4_jRbjT5_S1E_jjP12ihipStream_tbEUljE_ZNSN_ISO_Lb1ESQ_SR_ST_SU_SY_EESZ_S10_S11_S12_S16_S17_S18_S1B_S1C_jS1D_jS1E_S1E_jjS1G_bEUljE0_EEESZ_S10_S11_S18_S1C_S1E_T6_T7_T9_mT8_S1G_bDpT10_ENKUlT_T0_E_clISt17integral_constantIbLb0EES1T_IbLb1EEEEDaS1P_S1Q_EUlS1P_E_NS1_11comp_targetILNS1_3genE4ELNS1_11target_archE910ELNS1_3gpuE8ELNS1_3repE0EEENS1_30default_config_static_selectorELNS0_4arch9wavefront6targetE1EEEvS12_.has_indirect_call, 0
	.section	.AMDGPU.csdata,"",@progbits
; Kernel info:
; codeLenInByte = 0
; TotalNumSgprs: 4
; NumVgprs: 0
; ScratchSize: 0
; MemoryBound: 0
; FloatMode: 240
; IeeeMode: 1
; LDSByteSize: 0 bytes/workgroup (compile time only)
; SGPRBlocks: 0
; VGPRBlocks: 0
; NumSGPRsForWavesPerEU: 4
; NumVGPRsForWavesPerEU: 1
; Occupancy: 10
; WaveLimiterHint : 0
; COMPUTE_PGM_RSRC2:SCRATCH_EN: 0
; COMPUTE_PGM_RSRC2:USER_SGPR: 6
; COMPUTE_PGM_RSRC2:TRAP_HANDLER: 0
; COMPUTE_PGM_RSRC2:TGID_X_EN: 1
; COMPUTE_PGM_RSRC2:TGID_Y_EN: 0
; COMPUTE_PGM_RSRC2:TGID_Z_EN: 0
; COMPUTE_PGM_RSRC2:TIDIG_COMP_CNT: 0
	.section	.text._ZN7rocprim17ROCPRIM_400000_NS6detail17trampoline_kernelINS0_13select_configILj256ELj13ELNS0_17block_load_methodE3ELS4_3ELS4_3ELNS0_20block_scan_algorithmE0ELj4294967295EEENS1_25partition_config_selectorILNS1_17partition_subalgoE4EjNS0_10empty_typeEbEEZZNS1_14partition_implILS8_4ELb0ES6_15HIP_vector_typeIjLj2EENS0_17counting_iteratorIjlEEPS9_SG_NS0_5tupleIJPjSI_NS0_16reverse_iteratorISI_EEEEENSH_IJSG_SG_SG_EEES9_SI_JZNS1_25segmented_radix_sort_implINS0_14default_configELb1EPKbPbPKlPlN2at6native12_GLOBAL__N_18offset_tEEE10hipError_tPvRmT1_PNSt15iterator_traitsIS12_E10value_typeET2_T3_PNS13_IS18_E10value_typeET4_jRbjT5_S1E_jjP12ihipStream_tbEUljE_ZNSN_ISO_Lb1ESQ_SR_ST_SU_SY_EESZ_S10_S11_S12_S16_S17_S18_S1B_S1C_jS1D_jS1E_S1E_jjS1G_bEUljE0_EEESZ_S10_S11_S18_S1C_S1E_T6_T7_T9_mT8_S1G_bDpT10_ENKUlT_T0_E_clISt17integral_constantIbLb0EES1T_IbLb1EEEEDaS1P_S1Q_EUlS1P_E_NS1_11comp_targetILNS1_3genE3ELNS1_11target_archE908ELNS1_3gpuE7ELNS1_3repE0EEENS1_30default_config_static_selectorELNS0_4arch9wavefront6targetE1EEEvS12_,"axG",@progbits,_ZN7rocprim17ROCPRIM_400000_NS6detail17trampoline_kernelINS0_13select_configILj256ELj13ELNS0_17block_load_methodE3ELS4_3ELS4_3ELNS0_20block_scan_algorithmE0ELj4294967295EEENS1_25partition_config_selectorILNS1_17partition_subalgoE4EjNS0_10empty_typeEbEEZZNS1_14partition_implILS8_4ELb0ES6_15HIP_vector_typeIjLj2EENS0_17counting_iteratorIjlEEPS9_SG_NS0_5tupleIJPjSI_NS0_16reverse_iteratorISI_EEEEENSH_IJSG_SG_SG_EEES9_SI_JZNS1_25segmented_radix_sort_implINS0_14default_configELb1EPKbPbPKlPlN2at6native12_GLOBAL__N_18offset_tEEE10hipError_tPvRmT1_PNSt15iterator_traitsIS12_E10value_typeET2_T3_PNS13_IS18_E10value_typeET4_jRbjT5_S1E_jjP12ihipStream_tbEUljE_ZNSN_ISO_Lb1ESQ_SR_ST_SU_SY_EESZ_S10_S11_S12_S16_S17_S18_S1B_S1C_jS1D_jS1E_S1E_jjS1G_bEUljE0_EEESZ_S10_S11_S18_S1C_S1E_T6_T7_T9_mT8_S1G_bDpT10_ENKUlT_T0_E_clISt17integral_constantIbLb0EES1T_IbLb1EEEEDaS1P_S1Q_EUlS1P_E_NS1_11comp_targetILNS1_3genE3ELNS1_11target_archE908ELNS1_3gpuE7ELNS1_3repE0EEENS1_30default_config_static_selectorELNS0_4arch9wavefront6targetE1EEEvS12_,comdat
	.globl	_ZN7rocprim17ROCPRIM_400000_NS6detail17trampoline_kernelINS0_13select_configILj256ELj13ELNS0_17block_load_methodE3ELS4_3ELS4_3ELNS0_20block_scan_algorithmE0ELj4294967295EEENS1_25partition_config_selectorILNS1_17partition_subalgoE4EjNS0_10empty_typeEbEEZZNS1_14partition_implILS8_4ELb0ES6_15HIP_vector_typeIjLj2EENS0_17counting_iteratorIjlEEPS9_SG_NS0_5tupleIJPjSI_NS0_16reverse_iteratorISI_EEEEENSH_IJSG_SG_SG_EEES9_SI_JZNS1_25segmented_radix_sort_implINS0_14default_configELb1EPKbPbPKlPlN2at6native12_GLOBAL__N_18offset_tEEE10hipError_tPvRmT1_PNSt15iterator_traitsIS12_E10value_typeET2_T3_PNS13_IS18_E10value_typeET4_jRbjT5_S1E_jjP12ihipStream_tbEUljE_ZNSN_ISO_Lb1ESQ_SR_ST_SU_SY_EESZ_S10_S11_S12_S16_S17_S18_S1B_S1C_jS1D_jS1E_S1E_jjS1G_bEUljE0_EEESZ_S10_S11_S18_S1C_S1E_T6_T7_T9_mT8_S1G_bDpT10_ENKUlT_T0_E_clISt17integral_constantIbLb0EES1T_IbLb1EEEEDaS1P_S1Q_EUlS1P_E_NS1_11comp_targetILNS1_3genE3ELNS1_11target_archE908ELNS1_3gpuE7ELNS1_3repE0EEENS1_30default_config_static_selectorELNS0_4arch9wavefront6targetE1EEEvS12_ ; -- Begin function _ZN7rocprim17ROCPRIM_400000_NS6detail17trampoline_kernelINS0_13select_configILj256ELj13ELNS0_17block_load_methodE3ELS4_3ELS4_3ELNS0_20block_scan_algorithmE0ELj4294967295EEENS1_25partition_config_selectorILNS1_17partition_subalgoE4EjNS0_10empty_typeEbEEZZNS1_14partition_implILS8_4ELb0ES6_15HIP_vector_typeIjLj2EENS0_17counting_iteratorIjlEEPS9_SG_NS0_5tupleIJPjSI_NS0_16reverse_iteratorISI_EEEEENSH_IJSG_SG_SG_EEES9_SI_JZNS1_25segmented_radix_sort_implINS0_14default_configELb1EPKbPbPKlPlN2at6native12_GLOBAL__N_18offset_tEEE10hipError_tPvRmT1_PNSt15iterator_traitsIS12_E10value_typeET2_T3_PNS13_IS18_E10value_typeET4_jRbjT5_S1E_jjP12ihipStream_tbEUljE_ZNSN_ISO_Lb1ESQ_SR_ST_SU_SY_EESZ_S10_S11_S12_S16_S17_S18_S1B_S1C_jS1D_jS1E_S1E_jjS1G_bEUljE0_EEESZ_S10_S11_S18_S1C_S1E_T6_T7_T9_mT8_S1G_bDpT10_ENKUlT_T0_E_clISt17integral_constantIbLb0EES1T_IbLb1EEEEDaS1P_S1Q_EUlS1P_E_NS1_11comp_targetILNS1_3genE3ELNS1_11target_archE908ELNS1_3gpuE7ELNS1_3repE0EEENS1_30default_config_static_selectorELNS0_4arch9wavefront6targetE1EEEvS12_
	.p2align	8
	.type	_ZN7rocprim17ROCPRIM_400000_NS6detail17trampoline_kernelINS0_13select_configILj256ELj13ELNS0_17block_load_methodE3ELS4_3ELS4_3ELNS0_20block_scan_algorithmE0ELj4294967295EEENS1_25partition_config_selectorILNS1_17partition_subalgoE4EjNS0_10empty_typeEbEEZZNS1_14partition_implILS8_4ELb0ES6_15HIP_vector_typeIjLj2EENS0_17counting_iteratorIjlEEPS9_SG_NS0_5tupleIJPjSI_NS0_16reverse_iteratorISI_EEEEENSH_IJSG_SG_SG_EEES9_SI_JZNS1_25segmented_radix_sort_implINS0_14default_configELb1EPKbPbPKlPlN2at6native12_GLOBAL__N_18offset_tEEE10hipError_tPvRmT1_PNSt15iterator_traitsIS12_E10value_typeET2_T3_PNS13_IS18_E10value_typeET4_jRbjT5_S1E_jjP12ihipStream_tbEUljE_ZNSN_ISO_Lb1ESQ_SR_ST_SU_SY_EESZ_S10_S11_S12_S16_S17_S18_S1B_S1C_jS1D_jS1E_S1E_jjS1G_bEUljE0_EEESZ_S10_S11_S18_S1C_S1E_T6_T7_T9_mT8_S1G_bDpT10_ENKUlT_T0_E_clISt17integral_constantIbLb0EES1T_IbLb1EEEEDaS1P_S1Q_EUlS1P_E_NS1_11comp_targetILNS1_3genE3ELNS1_11target_archE908ELNS1_3gpuE7ELNS1_3repE0EEENS1_30default_config_static_selectorELNS0_4arch9wavefront6targetE1EEEvS12_,@function
_ZN7rocprim17ROCPRIM_400000_NS6detail17trampoline_kernelINS0_13select_configILj256ELj13ELNS0_17block_load_methodE3ELS4_3ELS4_3ELNS0_20block_scan_algorithmE0ELj4294967295EEENS1_25partition_config_selectorILNS1_17partition_subalgoE4EjNS0_10empty_typeEbEEZZNS1_14partition_implILS8_4ELb0ES6_15HIP_vector_typeIjLj2EENS0_17counting_iteratorIjlEEPS9_SG_NS0_5tupleIJPjSI_NS0_16reverse_iteratorISI_EEEEENSH_IJSG_SG_SG_EEES9_SI_JZNS1_25segmented_radix_sort_implINS0_14default_configELb1EPKbPbPKlPlN2at6native12_GLOBAL__N_18offset_tEEE10hipError_tPvRmT1_PNSt15iterator_traitsIS12_E10value_typeET2_T3_PNS13_IS18_E10value_typeET4_jRbjT5_S1E_jjP12ihipStream_tbEUljE_ZNSN_ISO_Lb1ESQ_SR_ST_SU_SY_EESZ_S10_S11_S12_S16_S17_S18_S1B_S1C_jS1D_jS1E_S1E_jjS1G_bEUljE0_EEESZ_S10_S11_S18_S1C_S1E_T6_T7_T9_mT8_S1G_bDpT10_ENKUlT_T0_E_clISt17integral_constantIbLb0EES1T_IbLb1EEEEDaS1P_S1Q_EUlS1P_E_NS1_11comp_targetILNS1_3genE3ELNS1_11target_archE908ELNS1_3gpuE7ELNS1_3repE0EEENS1_30default_config_static_selectorELNS0_4arch9wavefront6targetE1EEEvS12_: ; @_ZN7rocprim17ROCPRIM_400000_NS6detail17trampoline_kernelINS0_13select_configILj256ELj13ELNS0_17block_load_methodE3ELS4_3ELS4_3ELNS0_20block_scan_algorithmE0ELj4294967295EEENS1_25partition_config_selectorILNS1_17partition_subalgoE4EjNS0_10empty_typeEbEEZZNS1_14partition_implILS8_4ELb0ES6_15HIP_vector_typeIjLj2EENS0_17counting_iteratorIjlEEPS9_SG_NS0_5tupleIJPjSI_NS0_16reverse_iteratorISI_EEEEENSH_IJSG_SG_SG_EEES9_SI_JZNS1_25segmented_radix_sort_implINS0_14default_configELb1EPKbPbPKlPlN2at6native12_GLOBAL__N_18offset_tEEE10hipError_tPvRmT1_PNSt15iterator_traitsIS12_E10value_typeET2_T3_PNS13_IS18_E10value_typeET4_jRbjT5_S1E_jjP12ihipStream_tbEUljE_ZNSN_ISO_Lb1ESQ_SR_ST_SU_SY_EESZ_S10_S11_S12_S16_S17_S18_S1B_S1C_jS1D_jS1E_S1E_jjS1G_bEUljE0_EEESZ_S10_S11_S18_S1C_S1E_T6_T7_T9_mT8_S1G_bDpT10_ENKUlT_T0_E_clISt17integral_constantIbLb0EES1T_IbLb1EEEEDaS1P_S1Q_EUlS1P_E_NS1_11comp_targetILNS1_3genE3ELNS1_11target_archE908ELNS1_3gpuE7ELNS1_3repE0EEENS1_30default_config_static_selectorELNS0_4arch9wavefront6targetE1EEEvS12_
; %bb.0:
	.section	.rodata,"a",@progbits
	.p2align	6, 0x0
	.amdhsa_kernel _ZN7rocprim17ROCPRIM_400000_NS6detail17trampoline_kernelINS0_13select_configILj256ELj13ELNS0_17block_load_methodE3ELS4_3ELS4_3ELNS0_20block_scan_algorithmE0ELj4294967295EEENS1_25partition_config_selectorILNS1_17partition_subalgoE4EjNS0_10empty_typeEbEEZZNS1_14partition_implILS8_4ELb0ES6_15HIP_vector_typeIjLj2EENS0_17counting_iteratorIjlEEPS9_SG_NS0_5tupleIJPjSI_NS0_16reverse_iteratorISI_EEEEENSH_IJSG_SG_SG_EEES9_SI_JZNS1_25segmented_radix_sort_implINS0_14default_configELb1EPKbPbPKlPlN2at6native12_GLOBAL__N_18offset_tEEE10hipError_tPvRmT1_PNSt15iterator_traitsIS12_E10value_typeET2_T3_PNS13_IS18_E10value_typeET4_jRbjT5_S1E_jjP12ihipStream_tbEUljE_ZNSN_ISO_Lb1ESQ_SR_ST_SU_SY_EESZ_S10_S11_S12_S16_S17_S18_S1B_S1C_jS1D_jS1E_S1E_jjS1G_bEUljE0_EEESZ_S10_S11_S18_S1C_S1E_T6_T7_T9_mT8_S1G_bDpT10_ENKUlT_T0_E_clISt17integral_constantIbLb0EES1T_IbLb1EEEEDaS1P_S1Q_EUlS1P_E_NS1_11comp_targetILNS1_3genE3ELNS1_11target_archE908ELNS1_3gpuE7ELNS1_3repE0EEENS1_30default_config_static_selectorELNS0_4arch9wavefront6targetE1EEEvS12_
		.amdhsa_group_segment_fixed_size 0
		.amdhsa_private_segment_fixed_size 0
		.amdhsa_kernarg_size 184
		.amdhsa_user_sgpr_count 6
		.amdhsa_user_sgpr_private_segment_buffer 1
		.amdhsa_user_sgpr_dispatch_ptr 0
		.amdhsa_user_sgpr_queue_ptr 0
		.amdhsa_user_sgpr_kernarg_segment_ptr 1
		.amdhsa_user_sgpr_dispatch_id 0
		.amdhsa_user_sgpr_flat_scratch_init 0
		.amdhsa_user_sgpr_private_segment_size 0
		.amdhsa_uses_dynamic_stack 0
		.amdhsa_system_sgpr_private_segment_wavefront_offset 0
		.amdhsa_system_sgpr_workgroup_id_x 1
		.amdhsa_system_sgpr_workgroup_id_y 0
		.amdhsa_system_sgpr_workgroup_id_z 0
		.amdhsa_system_sgpr_workgroup_info 0
		.amdhsa_system_vgpr_workitem_id 0
		.amdhsa_next_free_vgpr 1
		.amdhsa_next_free_sgpr 0
		.amdhsa_reserve_vcc 0
		.amdhsa_reserve_flat_scratch 0
		.amdhsa_float_round_mode_32 0
		.amdhsa_float_round_mode_16_64 0
		.amdhsa_float_denorm_mode_32 3
		.amdhsa_float_denorm_mode_16_64 3
		.amdhsa_dx10_clamp 1
		.amdhsa_ieee_mode 1
		.amdhsa_fp16_overflow 0
		.amdhsa_exception_fp_ieee_invalid_op 0
		.amdhsa_exception_fp_denorm_src 0
		.amdhsa_exception_fp_ieee_div_zero 0
		.amdhsa_exception_fp_ieee_overflow 0
		.amdhsa_exception_fp_ieee_underflow 0
		.amdhsa_exception_fp_ieee_inexact 0
		.amdhsa_exception_int_div_zero 0
	.end_amdhsa_kernel
	.section	.text._ZN7rocprim17ROCPRIM_400000_NS6detail17trampoline_kernelINS0_13select_configILj256ELj13ELNS0_17block_load_methodE3ELS4_3ELS4_3ELNS0_20block_scan_algorithmE0ELj4294967295EEENS1_25partition_config_selectorILNS1_17partition_subalgoE4EjNS0_10empty_typeEbEEZZNS1_14partition_implILS8_4ELb0ES6_15HIP_vector_typeIjLj2EENS0_17counting_iteratorIjlEEPS9_SG_NS0_5tupleIJPjSI_NS0_16reverse_iteratorISI_EEEEENSH_IJSG_SG_SG_EEES9_SI_JZNS1_25segmented_radix_sort_implINS0_14default_configELb1EPKbPbPKlPlN2at6native12_GLOBAL__N_18offset_tEEE10hipError_tPvRmT1_PNSt15iterator_traitsIS12_E10value_typeET2_T3_PNS13_IS18_E10value_typeET4_jRbjT5_S1E_jjP12ihipStream_tbEUljE_ZNSN_ISO_Lb1ESQ_SR_ST_SU_SY_EESZ_S10_S11_S12_S16_S17_S18_S1B_S1C_jS1D_jS1E_S1E_jjS1G_bEUljE0_EEESZ_S10_S11_S18_S1C_S1E_T6_T7_T9_mT8_S1G_bDpT10_ENKUlT_T0_E_clISt17integral_constantIbLb0EES1T_IbLb1EEEEDaS1P_S1Q_EUlS1P_E_NS1_11comp_targetILNS1_3genE3ELNS1_11target_archE908ELNS1_3gpuE7ELNS1_3repE0EEENS1_30default_config_static_selectorELNS0_4arch9wavefront6targetE1EEEvS12_,"axG",@progbits,_ZN7rocprim17ROCPRIM_400000_NS6detail17trampoline_kernelINS0_13select_configILj256ELj13ELNS0_17block_load_methodE3ELS4_3ELS4_3ELNS0_20block_scan_algorithmE0ELj4294967295EEENS1_25partition_config_selectorILNS1_17partition_subalgoE4EjNS0_10empty_typeEbEEZZNS1_14partition_implILS8_4ELb0ES6_15HIP_vector_typeIjLj2EENS0_17counting_iteratorIjlEEPS9_SG_NS0_5tupleIJPjSI_NS0_16reverse_iteratorISI_EEEEENSH_IJSG_SG_SG_EEES9_SI_JZNS1_25segmented_radix_sort_implINS0_14default_configELb1EPKbPbPKlPlN2at6native12_GLOBAL__N_18offset_tEEE10hipError_tPvRmT1_PNSt15iterator_traitsIS12_E10value_typeET2_T3_PNS13_IS18_E10value_typeET4_jRbjT5_S1E_jjP12ihipStream_tbEUljE_ZNSN_ISO_Lb1ESQ_SR_ST_SU_SY_EESZ_S10_S11_S12_S16_S17_S18_S1B_S1C_jS1D_jS1E_S1E_jjS1G_bEUljE0_EEESZ_S10_S11_S18_S1C_S1E_T6_T7_T9_mT8_S1G_bDpT10_ENKUlT_T0_E_clISt17integral_constantIbLb0EES1T_IbLb1EEEEDaS1P_S1Q_EUlS1P_E_NS1_11comp_targetILNS1_3genE3ELNS1_11target_archE908ELNS1_3gpuE7ELNS1_3repE0EEENS1_30default_config_static_selectorELNS0_4arch9wavefront6targetE1EEEvS12_,comdat
.Lfunc_end1495:
	.size	_ZN7rocprim17ROCPRIM_400000_NS6detail17trampoline_kernelINS0_13select_configILj256ELj13ELNS0_17block_load_methodE3ELS4_3ELS4_3ELNS0_20block_scan_algorithmE0ELj4294967295EEENS1_25partition_config_selectorILNS1_17partition_subalgoE4EjNS0_10empty_typeEbEEZZNS1_14partition_implILS8_4ELb0ES6_15HIP_vector_typeIjLj2EENS0_17counting_iteratorIjlEEPS9_SG_NS0_5tupleIJPjSI_NS0_16reverse_iteratorISI_EEEEENSH_IJSG_SG_SG_EEES9_SI_JZNS1_25segmented_radix_sort_implINS0_14default_configELb1EPKbPbPKlPlN2at6native12_GLOBAL__N_18offset_tEEE10hipError_tPvRmT1_PNSt15iterator_traitsIS12_E10value_typeET2_T3_PNS13_IS18_E10value_typeET4_jRbjT5_S1E_jjP12ihipStream_tbEUljE_ZNSN_ISO_Lb1ESQ_SR_ST_SU_SY_EESZ_S10_S11_S12_S16_S17_S18_S1B_S1C_jS1D_jS1E_S1E_jjS1G_bEUljE0_EEESZ_S10_S11_S18_S1C_S1E_T6_T7_T9_mT8_S1G_bDpT10_ENKUlT_T0_E_clISt17integral_constantIbLb0EES1T_IbLb1EEEEDaS1P_S1Q_EUlS1P_E_NS1_11comp_targetILNS1_3genE3ELNS1_11target_archE908ELNS1_3gpuE7ELNS1_3repE0EEENS1_30default_config_static_selectorELNS0_4arch9wavefront6targetE1EEEvS12_, .Lfunc_end1495-_ZN7rocprim17ROCPRIM_400000_NS6detail17trampoline_kernelINS0_13select_configILj256ELj13ELNS0_17block_load_methodE3ELS4_3ELS4_3ELNS0_20block_scan_algorithmE0ELj4294967295EEENS1_25partition_config_selectorILNS1_17partition_subalgoE4EjNS0_10empty_typeEbEEZZNS1_14partition_implILS8_4ELb0ES6_15HIP_vector_typeIjLj2EENS0_17counting_iteratorIjlEEPS9_SG_NS0_5tupleIJPjSI_NS0_16reverse_iteratorISI_EEEEENSH_IJSG_SG_SG_EEES9_SI_JZNS1_25segmented_radix_sort_implINS0_14default_configELb1EPKbPbPKlPlN2at6native12_GLOBAL__N_18offset_tEEE10hipError_tPvRmT1_PNSt15iterator_traitsIS12_E10value_typeET2_T3_PNS13_IS18_E10value_typeET4_jRbjT5_S1E_jjP12ihipStream_tbEUljE_ZNSN_ISO_Lb1ESQ_SR_ST_SU_SY_EESZ_S10_S11_S12_S16_S17_S18_S1B_S1C_jS1D_jS1E_S1E_jjS1G_bEUljE0_EEESZ_S10_S11_S18_S1C_S1E_T6_T7_T9_mT8_S1G_bDpT10_ENKUlT_T0_E_clISt17integral_constantIbLb0EES1T_IbLb1EEEEDaS1P_S1Q_EUlS1P_E_NS1_11comp_targetILNS1_3genE3ELNS1_11target_archE908ELNS1_3gpuE7ELNS1_3repE0EEENS1_30default_config_static_selectorELNS0_4arch9wavefront6targetE1EEEvS12_
                                        ; -- End function
	.set _ZN7rocprim17ROCPRIM_400000_NS6detail17trampoline_kernelINS0_13select_configILj256ELj13ELNS0_17block_load_methodE3ELS4_3ELS4_3ELNS0_20block_scan_algorithmE0ELj4294967295EEENS1_25partition_config_selectorILNS1_17partition_subalgoE4EjNS0_10empty_typeEbEEZZNS1_14partition_implILS8_4ELb0ES6_15HIP_vector_typeIjLj2EENS0_17counting_iteratorIjlEEPS9_SG_NS0_5tupleIJPjSI_NS0_16reverse_iteratorISI_EEEEENSH_IJSG_SG_SG_EEES9_SI_JZNS1_25segmented_radix_sort_implINS0_14default_configELb1EPKbPbPKlPlN2at6native12_GLOBAL__N_18offset_tEEE10hipError_tPvRmT1_PNSt15iterator_traitsIS12_E10value_typeET2_T3_PNS13_IS18_E10value_typeET4_jRbjT5_S1E_jjP12ihipStream_tbEUljE_ZNSN_ISO_Lb1ESQ_SR_ST_SU_SY_EESZ_S10_S11_S12_S16_S17_S18_S1B_S1C_jS1D_jS1E_S1E_jjS1G_bEUljE0_EEESZ_S10_S11_S18_S1C_S1E_T6_T7_T9_mT8_S1G_bDpT10_ENKUlT_T0_E_clISt17integral_constantIbLb0EES1T_IbLb1EEEEDaS1P_S1Q_EUlS1P_E_NS1_11comp_targetILNS1_3genE3ELNS1_11target_archE908ELNS1_3gpuE7ELNS1_3repE0EEENS1_30default_config_static_selectorELNS0_4arch9wavefront6targetE1EEEvS12_.num_vgpr, 0
	.set _ZN7rocprim17ROCPRIM_400000_NS6detail17trampoline_kernelINS0_13select_configILj256ELj13ELNS0_17block_load_methodE3ELS4_3ELS4_3ELNS0_20block_scan_algorithmE0ELj4294967295EEENS1_25partition_config_selectorILNS1_17partition_subalgoE4EjNS0_10empty_typeEbEEZZNS1_14partition_implILS8_4ELb0ES6_15HIP_vector_typeIjLj2EENS0_17counting_iteratorIjlEEPS9_SG_NS0_5tupleIJPjSI_NS0_16reverse_iteratorISI_EEEEENSH_IJSG_SG_SG_EEES9_SI_JZNS1_25segmented_radix_sort_implINS0_14default_configELb1EPKbPbPKlPlN2at6native12_GLOBAL__N_18offset_tEEE10hipError_tPvRmT1_PNSt15iterator_traitsIS12_E10value_typeET2_T3_PNS13_IS18_E10value_typeET4_jRbjT5_S1E_jjP12ihipStream_tbEUljE_ZNSN_ISO_Lb1ESQ_SR_ST_SU_SY_EESZ_S10_S11_S12_S16_S17_S18_S1B_S1C_jS1D_jS1E_S1E_jjS1G_bEUljE0_EEESZ_S10_S11_S18_S1C_S1E_T6_T7_T9_mT8_S1G_bDpT10_ENKUlT_T0_E_clISt17integral_constantIbLb0EES1T_IbLb1EEEEDaS1P_S1Q_EUlS1P_E_NS1_11comp_targetILNS1_3genE3ELNS1_11target_archE908ELNS1_3gpuE7ELNS1_3repE0EEENS1_30default_config_static_selectorELNS0_4arch9wavefront6targetE1EEEvS12_.num_agpr, 0
	.set _ZN7rocprim17ROCPRIM_400000_NS6detail17trampoline_kernelINS0_13select_configILj256ELj13ELNS0_17block_load_methodE3ELS4_3ELS4_3ELNS0_20block_scan_algorithmE0ELj4294967295EEENS1_25partition_config_selectorILNS1_17partition_subalgoE4EjNS0_10empty_typeEbEEZZNS1_14partition_implILS8_4ELb0ES6_15HIP_vector_typeIjLj2EENS0_17counting_iteratorIjlEEPS9_SG_NS0_5tupleIJPjSI_NS0_16reverse_iteratorISI_EEEEENSH_IJSG_SG_SG_EEES9_SI_JZNS1_25segmented_radix_sort_implINS0_14default_configELb1EPKbPbPKlPlN2at6native12_GLOBAL__N_18offset_tEEE10hipError_tPvRmT1_PNSt15iterator_traitsIS12_E10value_typeET2_T3_PNS13_IS18_E10value_typeET4_jRbjT5_S1E_jjP12ihipStream_tbEUljE_ZNSN_ISO_Lb1ESQ_SR_ST_SU_SY_EESZ_S10_S11_S12_S16_S17_S18_S1B_S1C_jS1D_jS1E_S1E_jjS1G_bEUljE0_EEESZ_S10_S11_S18_S1C_S1E_T6_T7_T9_mT8_S1G_bDpT10_ENKUlT_T0_E_clISt17integral_constantIbLb0EES1T_IbLb1EEEEDaS1P_S1Q_EUlS1P_E_NS1_11comp_targetILNS1_3genE3ELNS1_11target_archE908ELNS1_3gpuE7ELNS1_3repE0EEENS1_30default_config_static_selectorELNS0_4arch9wavefront6targetE1EEEvS12_.numbered_sgpr, 0
	.set _ZN7rocprim17ROCPRIM_400000_NS6detail17trampoline_kernelINS0_13select_configILj256ELj13ELNS0_17block_load_methodE3ELS4_3ELS4_3ELNS0_20block_scan_algorithmE0ELj4294967295EEENS1_25partition_config_selectorILNS1_17partition_subalgoE4EjNS0_10empty_typeEbEEZZNS1_14partition_implILS8_4ELb0ES6_15HIP_vector_typeIjLj2EENS0_17counting_iteratorIjlEEPS9_SG_NS0_5tupleIJPjSI_NS0_16reverse_iteratorISI_EEEEENSH_IJSG_SG_SG_EEES9_SI_JZNS1_25segmented_radix_sort_implINS0_14default_configELb1EPKbPbPKlPlN2at6native12_GLOBAL__N_18offset_tEEE10hipError_tPvRmT1_PNSt15iterator_traitsIS12_E10value_typeET2_T3_PNS13_IS18_E10value_typeET4_jRbjT5_S1E_jjP12ihipStream_tbEUljE_ZNSN_ISO_Lb1ESQ_SR_ST_SU_SY_EESZ_S10_S11_S12_S16_S17_S18_S1B_S1C_jS1D_jS1E_S1E_jjS1G_bEUljE0_EEESZ_S10_S11_S18_S1C_S1E_T6_T7_T9_mT8_S1G_bDpT10_ENKUlT_T0_E_clISt17integral_constantIbLb0EES1T_IbLb1EEEEDaS1P_S1Q_EUlS1P_E_NS1_11comp_targetILNS1_3genE3ELNS1_11target_archE908ELNS1_3gpuE7ELNS1_3repE0EEENS1_30default_config_static_selectorELNS0_4arch9wavefront6targetE1EEEvS12_.num_named_barrier, 0
	.set _ZN7rocprim17ROCPRIM_400000_NS6detail17trampoline_kernelINS0_13select_configILj256ELj13ELNS0_17block_load_methodE3ELS4_3ELS4_3ELNS0_20block_scan_algorithmE0ELj4294967295EEENS1_25partition_config_selectorILNS1_17partition_subalgoE4EjNS0_10empty_typeEbEEZZNS1_14partition_implILS8_4ELb0ES6_15HIP_vector_typeIjLj2EENS0_17counting_iteratorIjlEEPS9_SG_NS0_5tupleIJPjSI_NS0_16reverse_iteratorISI_EEEEENSH_IJSG_SG_SG_EEES9_SI_JZNS1_25segmented_radix_sort_implINS0_14default_configELb1EPKbPbPKlPlN2at6native12_GLOBAL__N_18offset_tEEE10hipError_tPvRmT1_PNSt15iterator_traitsIS12_E10value_typeET2_T3_PNS13_IS18_E10value_typeET4_jRbjT5_S1E_jjP12ihipStream_tbEUljE_ZNSN_ISO_Lb1ESQ_SR_ST_SU_SY_EESZ_S10_S11_S12_S16_S17_S18_S1B_S1C_jS1D_jS1E_S1E_jjS1G_bEUljE0_EEESZ_S10_S11_S18_S1C_S1E_T6_T7_T9_mT8_S1G_bDpT10_ENKUlT_T0_E_clISt17integral_constantIbLb0EES1T_IbLb1EEEEDaS1P_S1Q_EUlS1P_E_NS1_11comp_targetILNS1_3genE3ELNS1_11target_archE908ELNS1_3gpuE7ELNS1_3repE0EEENS1_30default_config_static_selectorELNS0_4arch9wavefront6targetE1EEEvS12_.private_seg_size, 0
	.set _ZN7rocprim17ROCPRIM_400000_NS6detail17trampoline_kernelINS0_13select_configILj256ELj13ELNS0_17block_load_methodE3ELS4_3ELS4_3ELNS0_20block_scan_algorithmE0ELj4294967295EEENS1_25partition_config_selectorILNS1_17partition_subalgoE4EjNS0_10empty_typeEbEEZZNS1_14partition_implILS8_4ELb0ES6_15HIP_vector_typeIjLj2EENS0_17counting_iteratorIjlEEPS9_SG_NS0_5tupleIJPjSI_NS0_16reverse_iteratorISI_EEEEENSH_IJSG_SG_SG_EEES9_SI_JZNS1_25segmented_radix_sort_implINS0_14default_configELb1EPKbPbPKlPlN2at6native12_GLOBAL__N_18offset_tEEE10hipError_tPvRmT1_PNSt15iterator_traitsIS12_E10value_typeET2_T3_PNS13_IS18_E10value_typeET4_jRbjT5_S1E_jjP12ihipStream_tbEUljE_ZNSN_ISO_Lb1ESQ_SR_ST_SU_SY_EESZ_S10_S11_S12_S16_S17_S18_S1B_S1C_jS1D_jS1E_S1E_jjS1G_bEUljE0_EEESZ_S10_S11_S18_S1C_S1E_T6_T7_T9_mT8_S1G_bDpT10_ENKUlT_T0_E_clISt17integral_constantIbLb0EES1T_IbLb1EEEEDaS1P_S1Q_EUlS1P_E_NS1_11comp_targetILNS1_3genE3ELNS1_11target_archE908ELNS1_3gpuE7ELNS1_3repE0EEENS1_30default_config_static_selectorELNS0_4arch9wavefront6targetE1EEEvS12_.uses_vcc, 0
	.set _ZN7rocprim17ROCPRIM_400000_NS6detail17trampoline_kernelINS0_13select_configILj256ELj13ELNS0_17block_load_methodE3ELS4_3ELS4_3ELNS0_20block_scan_algorithmE0ELj4294967295EEENS1_25partition_config_selectorILNS1_17partition_subalgoE4EjNS0_10empty_typeEbEEZZNS1_14partition_implILS8_4ELb0ES6_15HIP_vector_typeIjLj2EENS0_17counting_iteratorIjlEEPS9_SG_NS0_5tupleIJPjSI_NS0_16reverse_iteratorISI_EEEEENSH_IJSG_SG_SG_EEES9_SI_JZNS1_25segmented_radix_sort_implINS0_14default_configELb1EPKbPbPKlPlN2at6native12_GLOBAL__N_18offset_tEEE10hipError_tPvRmT1_PNSt15iterator_traitsIS12_E10value_typeET2_T3_PNS13_IS18_E10value_typeET4_jRbjT5_S1E_jjP12ihipStream_tbEUljE_ZNSN_ISO_Lb1ESQ_SR_ST_SU_SY_EESZ_S10_S11_S12_S16_S17_S18_S1B_S1C_jS1D_jS1E_S1E_jjS1G_bEUljE0_EEESZ_S10_S11_S18_S1C_S1E_T6_T7_T9_mT8_S1G_bDpT10_ENKUlT_T0_E_clISt17integral_constantIbLb0EES1T_IbLb1EEEEDaS1P_S1Q_EUlS1P_E_NS1_11comp_targetILNS1_3genE3ELNS1_11target_archE908ELNS1_3gpuE7ELNS1_3repE0EEENS1_30default_config_static_selectorELNS0_4arch9wavefront6targetE1EEEvS12_.uses_flat_scratch, 0
	.set _ZN7rocprim17ROCPRIM_400000_NS6detail17trampoline_kernelINS0_13select_configILj256ELj13ELNS0_17block_load_methodE3ELS4_3ELS4_3ELNS0_20block_scan_algorithmE0ELj4294967295EEENS1_25partition_config_selectorILNS1_17partition_subalgoE4EjNS0_10empty_typeEbEEZZNS1_14partition_implILS8_4ELb0ES6_15HIP_vector_typeIjLj2EENS0_17counting_iteratorIjlEEPS9_SG_NS0_5tupleIJPjSI_NS0_16reverse_iteratorISI_EEEEENSH_IJSG_SG_SG_EEES9_SI_JZNS1_25segmented_radix_sort_implINS0_14default_configELb1EPKbPbPKlPlN2at6native12_GLOBAL__N_18offset_tEEE10hipError_tPvRmT1_PNSt15iterator_traitsIS12_E10value_typeET2_T3_PNS13_IS18_E10value_typeET4_jRbjT5_S1E_jjP12ihipStream_tbEUljE_ZNSN_ISO_Lb1ESQ_SR_ST_SU_SY_EESZ_S10_S11_S12_S16_S17_S18_S1B_S1C_jS1D_jS1E_S1E_jjS1G_bEUljE0_EEESZ_S10_S11_S18_S1C_S1E_T6_T7_T9_mT8_S1G_bDpT10_ENKUlT_T0_E_clISt17integral_constantIbLb0EES1T_IbLb1EEEEDaS1P_S1Q_EUlS1P_E_NS1_11comp_targetILNS1_3genE3ELNS1_11target_archE908ELNS1_3gpuE7ELNS1_3repE0EEENS1_30default_config_static_selectorELNS0_4arch9wavefront6targetE1EEEvS12_.has_dyn_sized_stack, 0
	.set _ZN7rocprim17ROCPRIM_400000_NS6detail17trampoline_kernelINS0_13select_configILj256ELj13ELNS0_17block_load_methodE3ELS4_3ELS4_3ELNS0_20block_scan_algorithmE0ELj4294967295EEENS1_25partition_config_selectorILNS1_17partition_subalgoE4EjNS0_10empty_typeEbEEZZNS1_14partition_implILS8_4ELb0ES6_15HIP_vector_typeIjLj2EENS0_17counting_iteratorIjlEEPS9_SG_NS0_5tupleIJPjSI_NS0_16reverse_iteratorISI_EEEEENSH_IJSG_SG_SG_EEES9_SI_JZNS1_25segmented_radix_sort_implINS0_14default_configELb1EPKbPbPKlPlN2at6native12_GLOBAL__N_18offset_tEEE10hipError_tPvRmT1_PNSt15iterator_traitsIS12_E10value_typeET2_T3_PNS13_IS18_E10value_typeET4_jRbjT5_S1E_jjP12ihipStream_tbEUljE_ZNSN_ISO_Lb1ESQ_SR_ST_SU_SY_EESZ_S10_S11_S12_S16_S17_S18_S1B_S1C_jS1D_jS1E_S1E_jjS1G_bEUljE0_EEESZ_S10_S11_S18_S1C_S1E_T6_T7_T9_mT8_S1G_bDpT10_ENKUlT_T0_E_clISt17integral_constantIbLb0EES1T_IbLb1EEEEDaS1P_S1Q_EUlS1P_E_NS1_11comp_targetILNS1_3genE3ELNS1_11target_archE908ELNS1_3gpuE7ELNS1_3repE0EEENS1_30default_config_static_selectorELNS0_4arch9wavefront6targetE1EEEvS12_.has_recursion, 0
	.set _ZN7rocprim17ROCPRIM_400000_NS6detail17trampoline_kernelINS0_13select_configILj256ELj13ELNS0_17block_load_methodE3ELS4_3ELS4_3ELNS0_20block_scan_algorithmE0ELj4294967295EEENS1_25partition_config_selectorILNS1_17partition_subalgoE4EjNS0_10empty_typeEbEEZZNS1_14partition_implILS8_4ELb0ES6_15HIP_vector_typeIjLj2EENS0_17counting_iteratorIjlEEPS9_SG_NS0_5tupleIJPjSI_NS0_16reverse_iteratorISI_EEEEENSH_IJSG_SG_SG_EEES9_SI_JZNS1_25segmented_radix_sort_implINS0_14default_configELb1EPKbPbPKlPlN2at6native12_GLOBAL__N_18offset_tEEE10hipError_tPvRmT1_PNSt15iterator_traitsIS12_E10value_typeET2_T3_PNS13_IS18_E10value_typeET4_jRbjT5_S1E_jjP12ihipStream_tbEUljE_ZNSN_ISO_Lb1ESQ_SR_ST_SU_SY_EESZ_S10_S11_S12_S16_S17_S18_S1B_S1C_jS1D_jS1E_S1E_jjS1G_bEUljE0_EEESZ_S10_S11_S18_S1C_S1E_T6_T7_T9_mT8_S1G_bDpT10_ENKUlT_T0_E_clISt17integral_constantIbLb0EES1T_IbLb1EEEEDaS1P_S1Q_EUlS1P_E_NS1_11comp_targetILNS1_3genE3ELNS1_11target_archE908ELNS1_3gpuE7ELNS1_3repE0EEENS1_30default_config_static_selectorELNS0_4arch9wavefront6targetE1EEEvS12_.has_indirect_call, 0
	.section	.AMDGPU.csdata,"",@progbits
; Kernel info:
; codeLenInByte = 0
; TotalNumSgprs: 4
; NumVgprs: 0
; ScratchSize: 0
; MemoryBound: 0
; FloatMode: 240
; IeeeMode: 1
; LDSByteSize: 0 bytes/workgroup (compile time only)
; SGPRBlocks: 0
; VGPRBlocks: 0
; NumSGPRsForWavesPerEU: 4
; NumVGPRsForWavesPerEU: 1
; Occupancy: 10
; WaveLimiterHint : 0
; COMPUTE_PGM_RSRC2:SCRATCH_EN: 0
; COMPUTE_PGM_RSRC2:USER_SGPR: 6
; COMPUTE_PGM_RSRC2:TRAP_HANDLER: 0
; COMPUTE_PGM_RSRC2:TGID_X_EN: 1
; COMPUTE_PGM_RSRC2:TGID_Y_EN: 0
; COMPUTE_PGM_RSRC2:TGID_Z_EN: 0
; COMPUTE_PGM_RSRC2:TIDIG_COMP_CNT: 0
	.section	.text._ZN7rocprim17ROCPRIM_400000_NS6detail17trampoline_kernelINS0_13select_configILj256ELj13ELNS0_17block_load_methodE3ELS4_3ELS4_3ELNS0_20block_scan_algorithmE0ELj4294967295EEENS1_25partition_config_selectorILNS1_17partition_subalgoE4EjNS0_10empty_typeEbEEZZNS1_14partition_implILS8_4ELb0ES6_15HIP_vector_typeIjLj2EENS0_17counting_iteratorIjlEEPS9_SG_NS0_5tupleIJPjSI_NS0_16reverse_iteratorISI_EEEEENSH_IJSG_SG_SG_EEES9_SI_JZNS1_25segmented_radix_sort_implINS0_14default_configELb1EPKbPbPKlPlN2at6native12_GLOBAL__N_18offset_tEEE10hipError_tPvRmT1_PNSt15iterator_traitsIS12_E10value_typeET2_T3_PNS13_IS18_E10value_typeET4_jRbjT5_S1E_jjP12ihipStream_tbEUljE_ZNSN_ISO_Lb1ESQ_SR_ST_SU_SY_EESZ_S10_S11_S12_S16_S17_S18_S1B_S1C_jS1D_jS1E_S1E_jjS1G_bEUljE0_EEESZ_S10_S11_S18_S1C_S1E_T6_T7_T9_mT8_S1G_bDpT10_ENKUlT_T0_E_clISt17integral_constantIbLb0EES1T_IbLb1EEEEDaS1P_S1Q_EUlS1P_E_NS1_11comp_targetILNS1_3genE2ELNS1_11target_archE906ELNS1_3gpuE6ELNS1_3repE0EEENS1_30default_config_static_selectorELNS0_4arch9wavefront6targetE1EEEvS12_,"axG",@progbits,_ZN7rocprim17ROCPRIM_400000_NS6detail17trampoline_kernelINS0_13select_configILj256ELj13ELNS0_17block_load_methodE3ELS4_3ELS4_3ELNS0_20block_scan_algorithmE0ELj4294967295EEENS1_25partition_config_selectorILNS1_17partition_subalgoE4EjNS0_10empty_typeEbEEZZNS1_14partition_implILS8_4ELb0ES6_15HIP_vector_typeIjLj2EENS0_17counting_iteratorIjlEEPS9_SG_NS0_5tupleIJPjSI_NS0_16reverse_iteratorISI_EEEEENSH_IJSG_SG_SG_EEES9_SI_JZNS1_25segmented_radix_sort_implINS0_14default_configELb1EPKbPbPKlPlN2at6native12_GLOBAL__N_18offset_tEEE10hipError_tPvRmT1_PNSt15iterator_traitsIS12_E10value_typeET2_T3_PNS13_IS18_E10value_typeET4_jRbjT5_S1E_jjP12ihipStream_tbEUljE_ZNSN_ISO_Lb1ESQ_SR_ST_SU_SY_EESZ_S10_S11_S12_S16_S17_S18_S1B_S1C_jS1D_jS1E_S1E_jjS1G_bEUljE0_EEESZ_S10_S11_S18_S1C_S1E_T6_T7_T9_mT8_S1G_bDpT10_ENKUlT_T0_E_clISt17integral_constantIbLb0EES1T_IbLb1EEEEDaS1P_S1Q_EUlS1P_E_NS1_11comp_targetILNS1_3genE2ELNS1_11target_archE906ELNS1_3gpuE6ELNS1_3repE0EEENS1_30default_config_static_selectorELNS0_4arch9wavefront6targetE1EEEvS12_,comdat
	.globl	_ZN7rocprim17ROCPRIM_400000_NS6detail17trampoline_kernelINS0_13select_configILj256ELj13ELNS0_17block_load_methodE3ELS4_3ELS4_3ELNS0_20block_scan_algorithmE0ELj4294967295EEENS1_25partition_config_selectorILNS1_17partition_subalgoE4EjNS0_10empty_typeEbEEZZNS1_14partition_implILS8_4ELb0ES6_15HIP_vector_typeIjLj2EENS0_17counting_iteratorIjlEEPS9_SG_NS0_5tupleIJPjSI_NS0_16reverse_iteratorISI_EEEEENSH_IJSG_SG_SG_EEES9_SI_JZNS1_25segmented_radix_sort_implINS0_14default_configELb1EPKbPbPKlPlN2at6native12_GLOBAL__N_18offset_tEEE10hipError_tPvRmT1_PNSt15iterator_traitsIS12_E10value_typeET2_T3_PNS13_IS18_E10value_typeET4_jRbjT5_S1E_jjP12ihipStream_tbEUljE_ZNSN_ISO_Lb1ESQ_SR_ST_SU_SY_EESZ_S10_S11_S12_S16_S17_S18_S1B_S1C_jS1D_jS1E_S1E_jjS1G_bEUljE0_EEESZ_S10_S11_S18_S1C_S1E_T6_T7_T9_mT8_S1G_bDpT10_ENKUlT_T0_E_clISt17integral_constantIbLb0EES1T_IbLb1EEEEDaS1P_S1Q_EUlS1P_E_NS1_11comp_targetILNS1_3genE2ELNS1_11target_archE906ELNS1_3gpuE6ELNS1_3repE0EEENS1_30default_config_static_selectorELNS0_4arch9wavefront6targetE1EEEvS12_ ; -- Begin function _ZN7rocprim17ROCPRIM_400000_NS6detail17trampoline_kernelINS0_13select_configILj256ELj13ELNS0_17block_load_methodE3ELS4_3ELS4_3ELNS0_20block_scan_algorithmE0ELj4294967295EEENS1_25partition_config_selectorILNS1_17partition_subalgoE4EjNS0_10empty_typeEbEEZZNS1_14partition_implILS8_4ELb0ES6_15HIP_vector_typeIjLj2EENS0_17counting_iteratorIjlEEPS9_SG_NS0_5tupleIJPjSI_NS0_16reverse_iteratorISI_EEEEENSH_IJSG_SG_SG_EEES9_SI_JZNS1_25segmented_radix_sort_implINS0_14default_configELb1EPKbPbPKlPlN2at6native12_GLOBAL__N_18offset_tEEE10hipError_tPvRmT1_PNSt15iterator_traitsIS12_E10value_typeET2_T3_PNS13_IS18_E10value_typeET4_jRbjT5_S1E_jjP12ihipStream_tbEUljE_ZNSN_ISO_Lb1ESQ_SR_ST_SU_SY_EESZ_S10_S11_S12_S16_S17_S18_S1B_S1C_jS1D_jS1E_S1E_jjS1G_bEUljE0_EEESZ_S10_S11_S18_S1C_S1E_T6_T7_T9_mT8_S1G_bDpT10_ENKUlT_T0_E_clISt17integral_constantIbLb0EES1T_IbLb1EEEEDaS1P_S1Q_EUlS1P_E_NS1_11comp_targetILNS1_3genE2ELNS1_11target_archE906ELNS1_3gpuE6ELNS1_3repE0EEENS1_30default_config_static_selectorELNS0_4arch9wavefront6targetE1EEEvS12_
	.p2align	8
	.type	_ZN7rocprim17ROCPRIM_400000_NS6detail17trampoline_kernelINS0_13select_configILj256ELj13ELNS0_17block_load_methodE3ELS4_3ELS4_3ELNS0_20block_scan_algorithmE0ELj4294967295EEENS1_25partition_config_selectorILNS1_17partition_subalgoE4EjNS0_10empty_typeEbEEZZNS1_14partition_implILS8_4ELb0ES6_15HIP_vector_typeIjLj2EENS0_17counting_iteratorIjlEEPS9_SG_NS0_5tupleIJPjSI_NS0_16reverse_iteratorISI_EEEEENSH_IJSG_SG_SG_EEES9_SI_JZNS1_25segmented_radix_sort_implINS0_14default_configELb1EPKbPbPKlPlN2at6native12_GLOBAL__N_18offset_tEEE10hipError_tPvRmT1_PNSt15iterator_traitsIS12_E10value_typeET2_T3_PNS13_IS18_E10value_typeET4_jRbjT5_S1E_jjP12ihipStream_tbEUljE_ZNSN_ISO_Lb1ESQ_SR_ST_SU_SY_EESZ_S10_S11_S12_S16_S17_S18_S1B_S1C_jS1D_jS1E_S1E_jjS1G_bEUljE0_EEESZ_S10_S11_S18_S1C_S1E_T6_T7_T9_mT8_S1G_bDpT10_ENKUlT_T0_E_clISt17integral_constantIbLb0EES1T_IbLb1EEEEDaS1P_S1Q_EUlS1P_E_NS1_11comp_targetILNS1_3genE2ELNS1_11target_archE906ELNS1_3gpuE6ELNS1_3repE0EEENS1_30default_config_static_selectorELNS0_4arch9wavefront6targetE1EEEvS12_,@function
_ZN7rocprim17ROCPRIM_400000_NS6detail17trampoline_kernelINS0_13select_configILj256ELj13ELNS0_17block_load_methodE3ELS4_3ELS4_3ELNS0_20block_scan_algorithmE0ELj4294967295EEENS1_25partition_config_selectorILNS1_17partition_subalgoE4EjNS0_10empty_typeEbEEZZNS1_14partition_implILS8_4ELb0ES6_15HIP_vector_typeIjLj2EENS0_17counting_iteratorIjlEEPS9_SG_NS0_5tupleIJPjSI_NS0_16reverse_iteratorISI_EEEEENSH_IJSG_SG_SG_EEES9_SI_JZNS1_25segmented_radix_sort_implINS0_14default_configELb1EPKbPbPKlPlN2at6native12_GLOBAL__N_18offset_tEEE10hipError_tPvRmT1_PNSt15iterator_traitsIS12_E10value_typeET2_T3_PNS13_IS18_E10value_typeET4_jRbjT5_S1E_jjP12ihipStream_tbEUljE_ZNSN_ISO_Lb1ESQ_SR_ST_SU_SY_EESZ_S10_S11_S12_S16_S17_S18_S1B_S1C_jS1D_jS1E_S1E_jjS1G_bEUljE0_EEESZ_S10_S11_S18_S1C_S1E_T6_T7_T9_mT8_S1G_bDpT10_ENKUlT_T0_E_clISt17integral_constantIbLb0EES1T_IbLb1EEEEDaS1P_S1Q_EUlS1P_E_NS1_11comp_targetILNS1_3genE2ELNS1_11target_archE906ELNS1_3gpuE6ELNS1_3repE0EEENS1_30default_config_static_selectorELNS0_4arch9wavefront6targetE1EEEvS12_: ; @_ZN7rocprim17ROCPRIM_400000_NS6detail17trampoline_kernelINS0_13select_configILj256ELj13ELNS0_17block_load_methodE3ELS4_3ELS4_3ELNS0_20block_scan_algorithmE0ELj4294967295EEENS1_25partition_config_selectorILNS1_17partition_subalgoE4EjNS0_10empty_typeEbEEZZNS1_14partition_implILS8_4ELb0ES6_15HIP_vector_typeIjLj2EENS0_17counting_iteratorIjlEEPS9_SG_NS0_5tupleIJPjSI_NS0_16reverse_iteratorISI_EEEEENSH_IJSG_SG_SG_EEES9_SI_JZNS1_25segmented_radix_sort_implINS0_14default_configELb1EPKbPbPKlPlN2at6native12_GLOBAL__N_18offset_tEEE10hipError_tPvRmT1_PNSt15iterator_traitsIS12_E10value_typeET2_T3_PNS13_IS18_E10value_typeET4_jRbjT5_S1E_jjP12ihipStream_tbEUljE_ZNSN_ISO_Lb1ESQ_SR_ST_SU_SY_EESZ_S10_S11_S12_S16_S17_S18_S1B_S1C_jS1D_jS1E_S1E_jjS1G_bEUljE0_EEESZ_S10_S11_S18_S1C_S1E_T6_T7_T9_mT8_S1G_bDpT10_ENKUlT_T0_E_clISt17integral_constantIbLb0EES1T_IbLb1EEEEDaS1P_S1Q_EUlS1P_E_NS1_11comp_targetILNS1_3genE2ELNS1_11target_archE906ELNS1_3gpuE6ELNS1_3repE0EEENS1_30default_config_static_selectorELNS0_4arch9wavefront6targetE1EEEvS12_
; %bb.0:
	s_load_dwordx2 s[52:53], s[4:5], 0x10
	s_load_dwordx4 s[48:51], s[4:5], 0x28
	s_load_dwordx2 s[30:31], s[4:5], 0x38
	s_load_dwordx4 s[44:47], s[4:5], 0x58
	s_load_dwordx2 s[6:7], s[4:5], 0x68
	s_load_dwordx2 s[54:55], s[4:5], 0x78
	;; [unrolled: 1-line block ×3, first 2 shown]
	s_load_dwordx8 s[36:43], s[4:5], 0x90
	v_cmp_eq_u32_e64 s[0:1], 0, v0
	s_and_saveexec_b64 s[2:3], s[0:1]
	s_cbranch_execz .LBB1496_4
; %bb.1:
	s_mov_b64 s[10:11], exec
	v_mbcnt_lo_u32_b32 v1, s10, 0
	v_mbcnt_hi_u32_b32 v1, s11, v1
	v_cmp_eq_u32_e32 vcc, 0, v1
                                        ; implicit-def: $vgpr2
	s_and_saveexec_b64 s[8:9], vcc
	s_cbranch_execz .LBB1496_3
; %bb.2:
	s_load_dwordx2 s[12:13], s[4:5], 0x88
	s_bcnt1_i32_b64 s10, s[10:11]
	v_mov_b32_e32 v2, 0
	v_mov_b32_e32 v3, s10
	s_waitcnt lgkmcnt(0)
	global_atomic_add v2, v2, v3, s[12:13] glc
.LBB1496_3:
	s_or_b64 exec, exec, s[8:9]
	s_waitcnt vmcnt(0)
	v_readfirstlane_b32 s8, v2
	v_add_u32_e32 v1, s8, v1
	v_mov_b32_e32 v2, 0
	ds_write_b32 v2, v1
.LBB1496_4:
	s_or_b64 exec, exec, s[2:3]
	v_mov_b32_e32 v1, 0
	s_load_dword s2, s[4:5], 0x8
	s_load_dword s8, s[4:5], 0x80
	s_waitcnt lgkmcnt(0)
	s_barrier
	ds_read_b32 v7, v1
	s_waitcnt lgkmcnt(0)
	s_barrier
	global_load_dwordx4 v[1:4], v1, s[46:47]
	s_add_i32 s9, s2, s52
	s_movk_i32 s2, 0xd00
	s_add_i32 s4, s8, -1
	s_mulk_i32 s8, 0xd00
	v_mul_lo_u32 v33, v7, s2
	s_add_u32 s2, s52, s8
	s_addc_u32 s3, s53, 0
	v_mov_b32_e32 v6, s3
	v_mov_b32_e32 v5, s2
	v_readfirstlane_b32 s33, v7
	v_cmp_gt_u64_e32 vcc, s[6:7], v[5:6]
	s_cmp_eq_u32 s33, s4
	v_cmp_ne_u32_e64 s[2:3], s4, v7
	s_cselect_b64 s[34:35], -1, 0
	s_or_b64 s[4:5], vcc, s[2:3]
	v_add_u32_e32 v5, s9, v33
	s_mov_b64 s[2:3], -1
	s_and_b64 vcc, exec, s[4:5]
	v_add_u32_e32 v5, v5, v0
	s_cbranch_vccz .LBB1496_6
; %bb.5:
	v_add_u32_e32 v6, 0x100, v5
	v_lshlrev_b32_e32 v18, 2, v0
	v_add_u32_e32 v7, 0x200, v5
	v_add_u32_e32 v8, 0x300, v5
	;; [unrolled: 1-line block ×11, first 2 shown]
	ds_write2st64_b32 v18, v5, v6 offset1:4
	ds_write2st64_b32 v18, v7, v8 offset0:8 offset1:12
	ds_write2st64_b32 v18, v9, v10 offset0:16 offset1:20
	;; [unrolled: 1-line block ×5, first 2 shown]
	ds_write_b32 v18, v17 offset:12288
	s_waitcnt vmcnt(0) lgkmcnt(0)
	s_barrier
	s_mov_b64 s[2:3], 0
.LBB1496_6:
	s_andn2_b64 vcc, exec, s[2:3]
	s_add_i32 s8, s8, s52
	s_cbranch_vccnz .LBB1496_8
; %bb.7:
	v_add_u32_e32 v6, 0x100, v5
	v_lshlrev_b32_e32 v18, 2, v0
	v_add_u32_e32 v7, 0x200, v5
	v_add_u32_e32 v8, 0x300, v5
	v_add_u32_e32 v9, 0x400, v5
	v_add_u32_e32 v10, 0x500, v5
	v_add_u32_e32 v11, 0x600, v5
	v_add_u32_e32 v12, 0x700, v5
	v_add_u32_e32 v13, 0x800, v5
	v_add_u32_e32 v14, 0x900, v5
	v_add_u32_e32 v15, 0xa00, v5
	v_add_u32_e32 v16, 0xb00, v5
	v_add_u32_e32 v17, 0xc00, v5
	ds_write2st64_b32 v18, v5, v6 offset1:4
	ds_write2st64_b32 v18, v7, v8 offset0:8 offset1:12
	ds_write2st64_b32 v18, v9, v10 offset0:16 offset1:20
	;; [unrolled: 1-line block ×5, first 2 shown]
	ds_write_b32 v18, v17 offset:12288
	s_waitcnt vmcnt(0) lgkmcnt(0)
	s_barrier
.LBB1496_8:
	v_mul_u32_u24_e32 v35, 13, v0
	v_lshlrev_b32_e32 v5, 2, v35
	ds_read_b32 v34, v5 offset:48
	ds_read2_b32 v[13:14], v5 offset0:10 offset1:11
	ds_read2_b32 v[15:16], v5 offset0:8 offset1:9
	;; [unrolled: 1-line block ×4, first 2 shown]
	ds_read2_b32 v[23:24], v5 offset1:1
	ds_read2_b32 v[21:22], v5 offset0:2 offset1:3
	v_cndmask_b32_e64 v5, 0, 1, s[4:5]
	s_sub_i32 s86, s6, s8
	v_cmp_ne_u32_e64 s[2:3], 1, v5
	s_andn2_b64 vcc, exec, s[4:5]
	s_waitcnt vmcnt(0) lgkmcnt(0)
	s_barrier
	s_cbranch_vccnz .LBB1496_36
; %bb.9:
	v_add_u32_e32 v5, s37, v23
	v_add_u32_e32 v6, s39, v23
	v_mul_lo_u32 v5, v5, s36
	v_mul_lo_u32 v6, v6, s38
	s_mov_b64 s[58:59], 0
	s_mov_b64 s[46:47], 0
	v_sub_u32_e32 v5, v5, v6
	v_cmp_lt_u32_e32 vcc, s40, v5
	v_cmp_ge_u32_e64 s[4:5], s40, v5
	s_and_saveexec_b64 s[6:7], s[4:5]
	s_cbranch_execz .LBB1496_11
; %bb.10:
	v_add_u32_e32 v5, s42, v23
	v_add_u32_e32 v6, s56, v23
	v_mul_lo_u32 v5, v5, s41
	v_mul_lo_u32 v6, v6, s43
	v_sub_u32_e32 v5, v5, v6
	v_cmp_lt_u32_e64 s[4:5], s57, v5
	s_and_b64 s[46:47], s[4:5], exec
.LBB1496_11:
	s_or_b64 exec, exec, s[6:7]
	v_add_u32_e32 v5, s37, v24
	v_add_u32_e32 v6, s39, v24
	v_mul_lo_u32 v5, v5, s36
	v_mul_lo_u32 v6, v6, s38
	v_sub_u32_e32 v5, v5, v6
	v_cmp_lt_u32_e64 s[4:5], s40, v5
	v_cmp_ge_u32_e64 s[6:7], s40, v5
	s_and_saveexec_b64 s[8:9], s[6:7]
	s_cbranch_execz .LBB1496_13
; %bb.12:
	v_add_u32_e32 v5, s42, v24
	v_add_u32_e32 v6, s56, v24
	v_mul_lo_u32 v5, v5, s41
	v_mul_lo_u32 v6, v6, s43
	v_sub_u32_e32 v5, v5, v6
	v_cmp_lt_u32_e64 s[6:7], s57, v5
	s_and_b64 s[58:59], s[6:7], exec
.LBB1496_13:
	s_or_b64 exec, exec, s[8:9]
	v_add_u32_e32 v5, s37, v21
	v_add_u32_e32 v6, s39, v21
	v_mul_lo_u32 v5, v5, s36
	v_mul_lo_u32 v6, v6, s38
	s_mov_b64 s[62:63], 0
	s_mov_b64 s[60:61], 0
	v_sub_u32_e32 v5, v5, v6
	v_cmp_lt_u32_e64 s[6:7], s40, v5
	v_cmp_ge_u32_e64 s[8:9], s40, v5
	s_and_saveexec_b64 s[10:11], s[8:9]
	s_cbranch_execz .LBB1496_15
; %bb.14:
	v_add_u32_e32 v5, s42, v21
	v_add_u32_e32 v6, s56, v21
	v_mul_lo_u32 v5, v5, s41
	v_mul_lo_u32 v6, v6, s43
	v_sub_u32_e32 v5, v5, v6
	v_cmp_lt_u32_e64 s[8:9], s57, v5
	s_and_b64 s[60:61], s[8:9], exec
.LBB1496_15:
	s_or_b64 exec, exec, s[10:11]
	v_add_u32_e32 v5, s37, v22
	v_add_u32_e32 v6, s39, v22
	v_mul_lo_u32 v5, v5, s36
	v_mul_lo_u32 v6, v6, s38
	v_sub_u32_e32 v5, v5, v6
	v_cmp_lt_u32_e64 s[8:9], s40, v5
	v_cmp_ge_u32_e64 s[10:11], s40, v5
	s_and_saveexec_b64 s[12:13], s[10:11]
	s_cbranch_execz .LBB1496_17
; %bb.16:
	v_add_u32_e32 v5, s42, v22
	v_add_u32_e32 v6, s56, v22
	v_mul_lo_u32 v5, v5, s41
	v_mul_lo_u32 v6, v6, s43
	v_sub_u32_e32 v5, v5, v6
	v_cmp_lt_u32_e64 s[10:11], s57, v5
	s_and_b64 s[62:63], s[10:11], exec
.LBB1496_17:
	s_or_b64 exec, exec, s[12:13]
	v_add_u32_e32 v5, s37, v19
	v_add_u32_e32 v6, s39, v19
	v_mul_lo_u32 v5, v5, s36
	v_mul_lo_u32 v6, v6, s38
	s_mov_b64 s[66:67], 0
	s_mov_b64 s[64:65], 0
	v_sub_u32_e32 v5, v5, v6
	v_cmp_lt_u32_e64 s[10:11], s40, v5
	;; [unrolled: 40-line block ×6, first 2 shown]
	v_cmp_ge_u32_e64 s[28:29], s40, v5
	s_and_saveexec_b64 s[84:85], s[28:29]
	s_cbranch_execz .LBB1496_35
; %bb.34:
	v_add_u32_e32 v5, s42, v34
	v_add_u32_e32 v6, s56, v34
	v_mul_lo_u32 v5, v5, s41
	v_mul_lo_u32 v6, v6, s43
	v_sub_u32_e32 v5, v5, v6
	v_cmp_lt_u32_e64 s[28:29], s57, v5
	s_and_b64 s[82:83], s[28:29], exec
.LBB1496_35:
	s_or_b64 exec, exec, s[84:85]
	v_cndmask_b32_e64 v6, 0, 1, s[4:5]
	v_cndmask_b32_e64 v5, 0, 1, vcc
	v_cndmask_b32_e64 v8, 0, 1, s[8:9]
	v_lshlrev_b16_e32 v6, 8, v6
	v_cndmask_b32_e64 v7, 0, 1, s[6:7]
	v_or_b32_e32 v5, v5, v6
	v_lshlrev_b16_e32 v6, 8, v8
	v_cndmask_b32_e64 v10, 0, 1, s[12:13]
	v_cndmask_b32_e64 v12, 0, 1, s[16:17]
	v_or_b32_sdwa v6, v7, v6 dst_sel:WORD_1 dst_unused:UNUSED_PAD src0_sel:DWORD src1_sel:DWORD
	v_cndmask_b32_e64 v9, 0, 1, s[10:11]
	v_cndmask_b32_e64 v11, 0, 1, s[14:15]
	v_or_b32_sdwa v36, v5, v6 dst_sel:DWORD dst_unused:UNUSED_PAD src0_sel:WORD_0 src1_sel:DWORD
	v_lshlrev_b16_e32 v5, 8, v10
	v_lshlrev_b16_e32 v6, 8, v12
	v_cndmask_b32_e64 v26, 0, 1, s[20:21]
	v_cndmask_b32_e64 v29, 0, 1, s[24:25]
	v_or_b32_e32 v5, v9, v5
	v_or_b32_sdwa v6, v11, v6 dst_sel:WORD_1 dst_unused:UNUSED_PAD src0_sel:DWORD src1_sel:DWORD
	v_cndmask_b32_e64 v25, 0, 1, s[18:19]
	v_cndmask_b32_e64 v27, 0, 1, s[22:23]
	v_or_b32_sdwa v38, v5, v6 dst_sel:DWORD dst_unused:UNUSED_PAD src0_sel:WORD_0 src1_sel:DWORD
	v_lshlrev_b16_e32 v5, 8, v26
	v_lshlrev_b16_e32 v6, 8, v29
	v_cndmask_b32_e64 v42, 0, 1, s[60:61]
	v_cndmask_b32_e64 v47, 0, 1, s[46:47]
	v_or_b32_e32 v5, v25, v5
	v_or_b32_sdwa v6, v27, v6 dst_sel:WORD_1 dst_unused:UNUSED_PAD src0_sel:DWORD src1_sel:DWORD
	v_cndmask_b32_e64 v46, 0, 1, s[58:59]
	v_cndmask_b32_e64 v48, 0, 1, s[26:27]
	v_or_b32_sdwa v41, v5, v6 dst_sel:DWORD dst_unused:UNUSED_PAD src0_sel:WORD_0 src1_sel:DWORD
	v_lshlrev_b16_e32 v5, 8, v47
	v_lshlrev_b16_e32 v6, 8, v42
	v_cndmask_b32_e64 v37, 0, 1, s[68:69]
	v_cndmask_b32_e64 v44, 0, 1, s[64:65]
	v_or_b32_e32 v5, v48, v5
	v_or_b32_sdwa v6, v46, v6 dst_sel:WORD_1 dst_unused:UNUSED_PAD src0_sel:DWORD src1_sel:DWORD
	v_cndmask_b32_e64 v39, 0, 1, s[66:67]
	v_cndmask_b32_e64 v45, 0, 1, s[62:63]
	v_or_b32_sdwa v42, v5, v6 dst_sel:DWORD dst_unused:UNUSED_PAD src0_sel:WORD_0 src1_sel:DWORD
	v_lshlrev_b16_e32 v5, 8, v44
	v_lshlrev_b16_e32 v6, 8, v37
	v_cndmask_b32_e64 v28, 0, 1, s[80:81]
	v_cndmask_b32_e64 v31, 0, 1, s[72:73]
	v_or_b32_e32 v5, v45, v5
	v_or_b32_sdwa v6, v39, v6 dst_sel:WORD_1 dst_unused:UNUSED_PAD src0_sel:DWORD src1_sel:DWORD
	v_cndmask_b32_e64 v30, 0, 1, s[74:75]
	v_cndmask_b32_e64 v32, 0, 1, s[70:71]
	v_or_b32_sdwa v37, v5, v6 dst_sel:DWORD dst_unused:UNUSED_PAD src0_sel:WORD_0 src1_sel:DWORD
	v_lshlrev_b16_e32 v5, 8, v31
	v_lshlrev_b16_e32 v6, 8, v28
	v_or_b32_e32 v5, v32, v5
	v_or_b32_sdwa v6, v30, v6 dst_sel:WORD_1 dst_unused:UNUSED_PAD src0_sel:DWORD src1_sel:DWORD
	v_cndmask_b32_e64 v40, 0, 1, s[78:79]
	v_cndmask_b32_e64 v43, 0, 1, s[82:83]
	v_or_b32_sdwa v39, v5, v6 dst_sel:DWORD dst_unused:UNUSED_PAD src0_sel:WORD_0 src1_sel:DWORD
	s_add_i32 s16, s86, 0xd00
	s_and_b64 vcc, exec, s[76:77]
	s_cbranch_vccnz .LBB1496_37
	s_branch .LBB1496_114
.LBB1496_36:
                                        ; implicit-def: $vgpr43
                                        ; implicit-def: $vgpr40
                                        ; implicit-def: $vgpr39
                                        ; implicit-def: $vgpr37
                                        ; implicit-def: $vgpr42
                                        ; implicit-def: $vgpr41
                                        ; implicit-def: $vgpr38
                                        ; implicit-def: $vgpr36
	s_add_i32 s16, s86, 0xd00
	s_cbranch_execz .LBB1496_114
.LBB1496_37:
	v_cmp_gt_u32_e32 vcc, s16, v35
	v_mov_b32_e32 v6, 0
	v_mov_b32_e32 v5, 0
	s_and_saveexec_b64 s[6:7], vcc
	s_cbranch_execz .LBB1496_41
; %bb.38:
	v_add_u32_e32 v5, s37, v23
	v_add_u32_e32 v6, s39, v23
	v_mul_lo_u32 v5, v5, s36
	v_mul_lo_u32 v6, v6, s38
	s_mov_b64 s[10:11], 0
	v_sub_u32_e32 v5, v5, v6
	v_cmp_lt_u32_e32 vcc, s40, v5
	v_cmp_ge_u32_e64 s[4:5], s40, v5
	s_and_saveexec_b64 s[8:9], s[4:5]
	s_cbranch_execz .LBB1496_40
; %bb.39:
	v_add_u32_e32 v5, s42, v23
	v_add_u32_e32 v6, s56, v23
	v_mul_lo_u32 v5, v5, s41
	v_mul_lo_u32 v6, v6, s43
	v_sub_u32_e32 v5, v5, v6
	v_cmp_lt_u32_e64 s[4:5], s57, v5
	s_and_b64 s[10:11], s[4:5], exec
.LBB1496_40:
	s_or_b64 exec, exec, s[8:9]
	v_cndmask_b32_e64 v6, 0, 1, s[10:11]
	v_cndmask_b32_e64 v5, 0, 1, vcc
.LBB1496_41:
	s_or_b64 exec, exec, s[6:7]
	v_lshlrev_b16_e32 v11, 8, v6
	v_add_u32_e32 v6, 1, v35
	v_cmp_le_u32_e32 vcc, s16, v6
	v_lshlrev_b16_e64 v8, 8, 0
                                        ; implicit-def: $vgpr7
                                        ; implicit-def: $vgpr9
                                        ; implicit-def: $vgpr10
                                        ; implicit-def: $vgpr6
                                        ; implicit-def: $vgpr12
	s_and_saveexec_b64 s[4:5], vcc
	s_xor_b64 s[4:5], exec, s[4:5]
; %bb.42:
	v_mov_b32_e32 v6, 8
	v_lshrrev_b32_sdwa v7, v6, v11 dst_sel:BYTE_1 dst_unused:UNUSED_PAD src0_sel:DWORD src1_sel:DWORD
	v_and_b32_e32 v12, 0xff, v5
	v_or_b32_sdwa v5, v11, v7 dst_sel:DWORD dst_unused:UNUSED_PAD src0_sel:BYTE_0 src1_sel:DWORD
	v_mov_b32_e32 v9, 0
	v_lshlrev_b16_e64 v8, 8, 0
	v_lshlrev_b16_e64 v6, 8, 0
	v_and_b32_e32 v10, 0xffff, v5
	v_lshlrev_b16_e64 v7, 8, 0
                                        ; implicit-def: $vgpr5
                                        ; implicit-def: $vgpr11
; %bb.43:
	s_andn2_saveexec_b64 s[6:7], s[4:5]
	s_cbranch_execz .LBB1496_47
; %bb.44:
	v_add_u32_e32 v6, s37, v24
	v_add_u32_e32 v7, s39, v24
	v_mul_lo_u32 v6, v6, s36
	v_mul_lo_u32 v7, v7, s38
	s_mov_b64 s[8:9], 0
	v_sub_u32_e32 v6, v6, v7
	v_cmp_lt_u32_e32 vcc, s40, v6
	v_cmp_ge_u32_e64 s[4:5], s40, v6
	s_and_saveexec_b64 s[10:11], s[4:5]
	s_cbranch_execz .LBB1496_46
; %bb.45:
	v_add_u32_e32 v6, s42, v24
	v_add_u32_e32 v7, s56, v24
	v_mul_lo_u32 v6, v6, s41
	v_mul_lo_u32 v7, v7, s43
	v_sub_u32_e32 v6, v6, v7
	v_cmp_lt_u32_e64 s[4:5], s57, v6
	s_and_b64 s[8:9], s[4:5], exec
.LBB1496_46:
	s_or_b64 exec, exec, s[10:11]
	v_cndmask_b32_e64 v7, 0, 1, vcc
	v_lshlrev_b16_e32 v7, 8, v7
	v_or_b32_sdwa v5, v5, v7 dst_sel:DWORD dst_unused:UNUSED_PAD src0_sel:BYTE_0 src1_sel:DWORD
	v_and_b32_e32 v12, 0xffff, v5
	v_mov_b32_e32 v5, 8
	v_lshrrev_b32_sdwa v5, v5, v11 dst_sel:BYTE_1 dst_unused:UNUSED_PAD src0_sel:DWORD src1_sel:DWORD
	v_or_b32_sdwa v5, v11, v5 dst_sel:DWORD dst_unused:UNUSED_PAD src0_sel:BYTE_0 src1_sel:DWORD
	v_and_b32_e32 v5, 0xffff, v5
	v_cndmask_b32_e64 v7, 0, 1, s[8:9]
	v_mov_b32_e32 v6, 0
	v_mov_b32_e32 v9, 0
	v_lshl_or_b32 v10, v7, 16, v5
	v_lshlrev_b16_e64 v7, 8, 0
.LBB1496_47:
	s_or_b64 exec, exec, s[6:7]
	v_add_u32_e32 v5, 2, v35
	v_cmp_le_u32_e32 vcc, s16, v5
	v_lshrrev_b32_e32 v25, 24, v12
                                        ; implicit-def: $vgpr5
                                        ; implicit-def: $vgpr11
	s_and_saveexec_b64 s[4:5], vcc
	s_xor_b64 s[4:5], exec, s[4:5]
	s_cbranch_execz .LBB1496_49
; %bb.48:
	s_mov_b32 s6, 0x40c0100
	v_perm_b32 v11, v25, v12, s6
	v_mov_b32_e32 v12, 8
	v_lshrrev_b32_sdwa v12, v12, v11 dst_sel:BYTE_1 dst_unused:UNUSED_PAD src0_sel:DWORD src1_sel:DWORD
	v_or_b32_sdwa v12, v11, v12 dst_sel:DWORD dst_unused:UNUSED_PAD src0_sel:BYTE_0 src1_sel:DWORD
	v_and_b32_e32 v12, 0xffff, v12
	s_mov_b32 s6, 0xff000000
	v_and_or_b32 v11, v11, s6, v12
	s_mov_b32 s6, 0x3060504
	v_and_b32_e32 v5, 0xff0000, v10
	v_perm_b32 v8, v8, v8, s6
	s_mov_b32 s6, 0x3020504
	v_perm_b32 v5, v10, v5, s6
                                        ; implicit-def: $vgpr12
                                        ; implicit-def: $vgpr25
                                        ; implicit-def: $vgpr10
.LBB1496_49:
	s_andn2_saveexec_b64 s[6:7], s[4:5]
	s_cbranch_execz .LBB1496_53
; %bb.50:
	v_add_u32_e32 v5, s37, v21
	v_add_u32_e32 v11, s39, v21
	v_mul_lo_u32 v5, v5, s36
	v_mul_lo_u32 v11, v11, s38
	s_mov_b64 s[8:9], 0
	v_sub_u32_e32 v5, v5, v11
	v_cmp_lt_u32_e32 vcc, s40, v5
	v_cmp_ge_u32_e64 s[4:5], s40, v5
	s_and_saveexec_b64 s[10:11], s[4:5]
	s_cbranch_execz .LBB1496_52
; %bb.51:
	v_add_u32_e32 v5, s42, v21
	v_add_u32_e32 v11, s56, v21
	v_mul_lo_u32 v5, v5, s41
	v_mul_lo_u32 v11, v11, s43
	v_sub_u32_e32 v5, v5, v11
	v_cmp_lt_u32_e64 s[4:5], s57, v5
	s_and_b64 s[8:9], s[4:5], exec
.LBB1496_52:
	s_or_b64 exec, exec, s[10:11]
	v_mov_b32_e32 v27, 8
	v_lshrrev_b32_sdwa v11, v27, v12 dst_sel:BYTE_1 dst_unused:UNUSED_PAD src0_sel:DWORD src1_sel:DWORD
	v_cndmask_b32_e64 v5, 0, 1, vcc
	v_or_b32_sdwa v11, v12, v11 dst_sel:DWORD dst_unused:UNUSED_PAD src0_sel:BYTE_0 src1_sel:DWORD
	v_lshlrev_b16_e32 v12, 8, v25
	v_or_b32_sdwa v5, v5, v12 dst_sel:WORD_1 dst_unused:UNUSED_PAD src0_sel:DWORD src1_sel:DWORD
	v_cndmask_b32_e64 v26, 0, 1, s[8:9]
	s_movk_i32 s4, 0xff
	v_or_b32_sdwa v11, v11, v5 dst_sel:DWORD dst_unused:UNUSED_PAD src0_sel:WORD_0 src1_sel:DWORD
	v_lshrrev_b32_sdwa v5, v27, v10 dst_sel:BYTE_1 dst_unused:UNUSED_PAD src0_sel:DWORD src1_sel:DWORD
	v_or_b32_sdwa v5, v10, v5 dst_sel:DWORD dst_unused:UNUSED_PAD src0_sel:BYTE_0 src1_sel:DWORD
	v_lshlrev_b16_e32 v12, 8, v26
	v_and_b32_sdwa v10, v10, s4 dst_sel:DWORD dst_unused:UNUSED_PAD src0_sel:WORD_1 src1_sel:DWORD
	v_or_b32_sdwa v10, v10, v12 dst_sel:WORD_1 dst_unused:UNUSED_PAD src0_sel:DWORD src1_sel:DWORD
	v_or_b32_sdwa v5, v5, v10 dst_sel:DWORD dst_unused:UNUSED_PAD src0_sel:WORD_0 src1_sel:DWORD
.LBB1496_53:
	s_or_b64 exec, exec, s[6:7]
	v_add_u32_e32 v10, 3, v35
	v_cmp_le_u32_e32 vcc, s16, v10
	v_lshrrev_b32_e32 v12, 24, v9
                                        ; implicit-def: $vgpr10
                                        ; implicit-def: $vgpr36
	s_and_saveexec_b64 s[4:5], vcc
	s_xor_b64 s[4:5], exec, s[4:5]
	s_cbranch_execz .LBB1496_55
; %bb.54:
	v_and_b32_e32 v10, 0xff0000, v11
	s_mov_b32 s6, 0x3020504
	s_movk_i32 s7, 0xff
	v_perm_b32 v36, v11, v10, s6
	v_lshlrev_b16_e32 v10, 8, v12
	v_and_b32_sdwa v11, v9, s7 dst_sel:DWORD dst_unused:UNUSED_PAD src0_sel:WORD_1 src1_sel:DWORD
	s_mov_b32 s6, 0x3060504
	v_or_b32_sdwa v10, v11, v10 dst_sel:WORD_1 dst_unused:UNUSED_PAD src0_sel:DWORD src1_sel:DWORD
	v_mov_b32_e32 v11, 8
	v_perm_b32 v8, v8, v8, s6
	v_lshrrev_b32_sdwa v10, v11, v9 dst_sel:BYTE_1 dst_unused:UNUSED_PRESERVE src0_sel:DWORD src1_sel:DWORD
	v_perm_b32 v7, v7, v7, s6
                                        ; implicit-def: $vgpr11
                                        ; implicit-def: $vgpr12
                                        ; implicit-def: $vgpr9
.LBB1496_55:
	s_andn2_saveexec_b64 s[6:7], s[4:5]
	s_cbranch_execz .LBB1496_59
; %bb.56:
	v_add_u32_e32 v10, s37, v22
	v_add_u32_e32 v25, s39, v22
	v_mul_lo_u32 v10, v10, s36
	v_mul_lo_u32 v25, v25, s38
	s_mov_b64 s[8:9], 0
	v_sub_u32_e32 v10, v10, v25
	v_cmp_lt_u32_e32 vcc, s40, v10
	v_cmp_ge_u32_e64 s[4:5], s40, v10
	s_and_saveexec_b64 s[10:11], s[4:5]
	s_cbranch_execz .LBB1496_58
; %bb.57:
	v_add_u32_e32 v10, s42, v22
	v_add_u32_e32 v25, s56, v22
	v_mul_lo_u32 v10, v10, s41
	v_mul_lo_u32 v25, v25, s43
	v_sub_u32_e32 v10, v10, v25
	v_cmp_lt_u32_e64 s[4:5], s57, v10
	s_and_b64 s[8:9], s[4:5], exec
.LBB1496_58:
	s_or_b64 exec, exec, s[10:11]
	v_mov_b32_e32 v26, 8
	v_cndmask_b32_e64 v10, 0, 1, vcc
	s_movk_i32 s4, 0xff
	v_lshrrev_b32_sdwa v27, v26, v11 dst_sel:BYTE_1 dst_unused:UNUSED_PAD src0_sel:DWORD src1_sel:DWORD
	v_or_b32_sdwa v27, v11, v27 dst_sel:DWORD dst_unused:UNUSED_PAD src0_sel:BYTE_0 src1_sel:DWORD
	v_lshlrev_b16_e32 v10, 8, v10
	v_and_b32_sdwa v11, v11, s4 dst_sel:DWORD dst_unused:UNUSED_PAD src0_sel:WORD_1 src1_sel:DWORD
	v_or_b32_sdwa v10, v11, v10 dst_sel:WORD_1 dst_unused:UNUSED_PAD src0_sel:DWORD src1_sel:DWORD
	v_cndmask_b32_e64 v25, 0, 1, s[8:9]
	v_or_b32_sdwa v36, v27, v10 dst_sel:DWORD dst_unused:UNUSED_PAD src0_sel:WORD_0 src1_sel:DWORD
	v_lshlrev_b16_e32 v10, 8, v12
	v_and_b32_sdwa v11, v9, s4 dst_sel:DWORD dst_unused:UNUSED_PAD src0_sel:WORD_1 src1_sel:DWORD
	v_lshrrev_b32_sdwa v9, v26, v9 dst_sel:BYTE_1 dst_unused:UNUSED_PAD src0_sel:DWORD src1_sel:DWORD
	v_or_b32_sdwa v10, v11, v10 dst_sel:WORD_1 dst_unused:UNUSED_PAD src0_sel:DWORD src1_sel:DWORD
	v_or_b32_e32 v9, v25, v9
	v_or_b32_sdwa v10, v9, v10 dst_sel:DWORD dst_unused:UNUSED_PAD src0_sel:WORD_0 src1_sel:DWORD
.LBB1496_59:
	s_or_b64 exec, exec, s[6:7]
	v_add_u32_e32 v9, 4, v35
	v_cmp_le_u32_e32 vcc, s16, v9
	v_lshrrev_b32_e32 v25, 24, v8
	v_lshrrev_b32_e32 v12, 24, v10
                                        ; implicit-def: $vgpr11
                                        ; implicit-def: $vgpr9
	s_and_saveexec_b64 s[4:5], vcc
	s_xor_b64 s[4:5], exec, s[4:5]
	s_cbranch_execz .LBB1496_61
; %bb.60:
	s_movk_i32 s6, 0xff
	v_lshlrev_b16_e32 v9, 8, v25
	v_and_b32_sdwa v25, v8, s6 dst_sel:DWORD dst_unused:UNUSED_PAD src0_sel:WORD_1 src1_sel:DWORD
	v_mov_b32_e32 v11, 8
	v_or_b32_sdwa v9, v25, v9 dst_sel:WORD_1 dst_unused:UNUSED_PAD src0_sel:DWORD src1_sel:DWORD
	v_lshrrev_b32_sdwa v9, v11, v8 dst_sel:BYTE_1 dst_unused:UNUSED_PRESERVE src0_sel:DWORD src1_sel:DWORD
	v_lshlrev_b16_e32 v8, 8, v12
	v_and_b32_sdwa v11, v10, s6 dst_sel:DWORD dst_unused:UNUSED_PAD src0_sel:WORD_1 src1_sel:DWORD
	v_or_b32_e32 v8, v11, v8
	s_mov_b32 s6, 0x5040c00
	v_perm_b32 v11, v8, v10, s6
	s_mov_b32 s6, 0x3060504
	v_perm_b32 v7, v7, v7, s6
                                        ; implicit-def: $vgpr25
                                        ; implicit-def: $vgpr8
                                        ; implicit-def: $vgpr10
                                        ; implicit-def: $vgpr12
.LBB1496_61:
	s_andn2_saveexec_b64 s[6:7], s[4:5]
	s_cbranch_execz .LBB1496_65
; %bb.62:
	v_add_u32_e32 v9, s37, v19
	v_add_u32_e32 v11, s39, v19
	v_mul_lo_u32 v9, v9, s36
	v_mul_lo_u32 v11, v11, s38
	s_mov_b64 s[8:9], 0
	v_sub_u32_e32 v9, v9, v11
	v_cmp_lt_u32_e32 vcc, s40, v9
	v_cmp_ge_u32_e64 s[4:5], s40, v9
	s_and_saveexec_b64 s[10:11], s[4:5]
	s_cbranch_execz .LBB1496_64
; %bb.63:
	v_add_u32_e32 v9, s42, v19
	v_add_u32_e32 v11, s56, v19
	v_mul_lo_u32 v9, v9, s41
	v_mul_lo_u32 v11, v11, s43
	v_sub_u32_e32 v9, v9, v11
	v_cmp_lt_u32_e64 s[4:5], s57, v9
	s_and_b64 s[8:9], s[4:5], exec
.LBB1496_64:
	s_or_b64 exec, exec, s[10:11]
	s_movk_i32 s4, 0xff
	v_lshlrev_b16_e32 v25, 8, v25
	v_and_b32_sdwa v26, v8, s4 dst_sel:DWORD dst_unused:UNUSED_PAD src0_sel:WORD_1 src1_sel:DWORD
	v_or_b32_sdwa v25, v26, v25 dst_sel:WORD_1 dst_unused:UNUSED_PAD src0_sel:DWORD src1_sel:DWORD
	v_mov_b32_e32 v26, 8
	v_cndmask_b32_e64 v9, 0, 1, vcc
	v_lshrrev_b32_sdwa v8, v26, v8 dst_sel:BYTE_1 dst_unused:UNUSED_PAD src0_sel:DWORD src1_sel:DWORD
	v_cndmask_b32_e64 v11, 0, 1, s[8:9]
	v_or_b32_e32 v8, v9, v8
	v_or_b32_sdwa v9, v8, v25 dst_sel:DWORD dst_unused:UNUSED_PAD src0_sel:WORD_0 src1_sel:DWORD
	v_lshlrev_b16_e32 v8, 8, v11
	v_or_b32_sdwa v8, v10, v8 dst_sel:DWORD dst_unused:UNUSED_PAD src0_sel:BYTE_0 src1_sel:DWORD
	v_lshlrev_b16_e32 v11, 8, v12
	v_and_b32_sdwa v10, v10, s4 dst_sel:DWORD dst_unused:UNUSED_PAD src0_sel:WORD_1 src1_sel:DWORD
	v_or_b32_sdwa v10, v10, v11 dst_sel:WORD_1 dst_unused:UNUSED_PAD src0_sel:DWORD src1_sel:DWORD
	v_or_b32_sdwa v11, v8, v10 dst_sel:DWORD dst_unused:UNUSED_PAD src0_sel:WORD_0 src1_sel:DWORD
.LBB1496_65:
	s_or_b64 exec, exec, s[6:7]
	v_add_u32_e32 v8, 5, v35
	v_cmp_le_u32_e32 vcc, s16, v8
	v_lshrrev_b32_e32 v12, 24, v11
	v_lshrrev_b32_e32 v25, 24, v9
                                        ; implicit-def: $vgpr8
                                        ; implicit-def: $vgpr10
	s_and_saveexec_b64 s[4:5], vcc
	s_xor_b64 s[4:5], exec, s[4:5]
	s_cbranch_execz .LBB1496_67
; %bb.66:
	s_mov_b32 s6, 0x40c0100
	v_perm_b32 v8, v12, v11, s6
	s_movk_i32 s6, 0xff
	v_lshlrev_b16_e32 v10, 8, v25
	v_and_b32_sdwa v11, v9, s6 dst_sel:DWORD dst_unused:UNUSED_PAD src0_sel:WORD_1 src1_sel:DWORD
	v_or_b32_e32 v10, v11, v10
	s_mov_b32 s6, 0x5040c00
	v_perm_b32 v10, v10, v9, s6
	v_mov_b32_e32 v9, 8
	v_lshrrev_b32_sdwa v9, v9, v8 dst_sel:BYTE_1 dst_unused:UNUSED_PAD src0_sel:DWORD src1_sel:DWORD
	v_or_b32_sdwa v9, v8, v9 dst_sel:DWORD dst_unused:UNUSED_PAD src0_sel:BYTE_0 src1_sel:DWORD
	v_and_b32_e32 v9, 0xffff, v9
	s_mov_b32 s6, 0xff000000
	v_and_or_b32 v8, v8, s6, v9
	s_mov_b32 s6, 0x3060504
	v_perm_b32 v7, v7, v7, s6
                                        ; implicit-def: $vgpr9
                                        ; implicit-def: $vgpr25
                                        ; implicit-def: $vgpr11
                                        ; implicit-def: $vgpr12
.LBB1496_67:
	s_andn2_saveexec_b64 s[6:7], s[4:5]
	s_cbranch_execz .LBB1496_71
; %bb.68:
	v_add_u32_e32 v8, s37, v20
	v_add_u32_e32 v10, s39, v20
	v_mul_lo_u32 v8, v8, s36
	v_mul_lo_u32 v10, v10, s38
	s_mov_b64 s[8:9], 0
	v_sub_u32_e32 v8, v8, v10
	v_cmp_lt_u32_e32 vcc, s40, v8
	v_cmp_ge_u32_e64 s[4:5], s40, v8
	s_and_saveexec_b64 s[10:11], s[4:5]
	s_cbranch_execz .LBB1496_70
; %bb.69:
	v_add_u32_e32 v8, s42, v20
	v_add_u32_e32 v10, s56, v20
	v_mul_lo_u32 v8, v8, s41
	v_mul_lo_u32 v10, v10, s43
	v_sub_u32_e32 v8, v8, v10
	v_cmp_lt_u32_e64 s[4:5], s57, v8
	s_and_b64 s[8:9], s[4:5], exec
.LBB1496_70:
	s_or_b64 exec, exec, s[10:11]
	v_cndmask_b32_e64 v8, 0, 1, vcc
	v_lshlrev_b16_e32 v8, 8, v8
	s_movk_i32 s4, 0xff
	v_or_b32_sdwa v8, v9, v8 dst_sel:DWORD dst_unused:UNUSED_PAD src0_sel:BYTE_0 src1_sel:DWORD
	v_lshlrev_b16_e32 v10, 8, v25
	v_and_b32_sdwa v9, v9, s4 dst_sel:DWORD dst_unused:UNUSED_PAD src0_sel:WORD_1 src1_sel:DWORD
	v_or_b32_sdwa v9, v9, v10 dst_sel:WORD_1 dst_unused:UNUSED_PAD src0_sel:DWORD src1_sel:DWORD
	v_or_b32_sdwa v10, v8, v9 dst_sel:DWORD dst_unused:UNUSED_PAD src0_sel:WORD_0 src1_sel:DWORD
	v_mov_b32_e32 v8, 8
	v_cndmask_b32_e64 v26, 0, 1, s[8:9]
	v_lshrrev_b32_sdwa v8, v8, v11 dst_sel:BYTE_1 dst_unused:UNUSED_PAD src0_sel:DWORD src1_sel:DWORD
	v_lshlrev_b16_e32 v9, 8, v12
	v_or_b32_sdwa v8, v11, v8 dst_sel:DWORD dst_unused:UNUSED_PAD src0_sel:BYTE_0 src1_sel:DWORD
	v_or_b32_sdwa v9, v26, v9 dst_sel:WORD_1 dst_unused:UNUSED_PAD src0_sel:DWORD src1_sel:DWORD
	v_or_b32_sdwa v8, v8, v9 dst_sel:DWORD dst_unused:UNUSED_PAD src0_sel:WORD_0 src1_sel:DWORD
.LBB1496_71:
	s_or_b64 exec, exec, s[6:7]
	v_add_u32_e32 v9, 6, v35
	v_cmp_le_u32_e32 vcc, s16, v9
	v_lshrrev_b32_e32 v11, 24, v10
                                        ; implicit-def: $vgpr37
                                        ; implicit-def: $vgpr9
	s_and_saveexec_b64 s[4:5], vcc
	s_xor_b64 s[4:5], exec, s[4:5]
	s_cbranch_execz .LBB1496_73
; %bb.72:
	s_mov_b32 s6, 0x40c0100
	v_perm_b32 v9, v11, v10, s6
	v_mov_b32_e32 v10, 8
	v_lshrrev_b32_sdwa v10, v10, v9 dst_sel:BYTE_1 dst_unused:UNUSED_PAD src0_sel:DWORD src1_sel:DWORD
	v_or_b32_sdwa v10, v9, v10 dst_sel:DWORD dst_unused:UNUSED_PAD src0_sel:BYTE_0 src1_sel:DWORD
	v_and_b32_e32 v10, 0xffff, v10
	s_mov_b32 s6, 0xff000000
	v_and_b32_e32 v12, 0xff0000, v8
	v_and_or_b32 v9, v9, s6, v10
	s_mov_b32 s6, 0x3020504
	v_perm_b32 v37, v8, v12, s6
	s_mov_b32 s6, 0x3060504
	v_perm_b32 v7, v7, v7, s6
                                        ; implicit-def: $vgpr10
                                        ; implicit-def: $vgpr11
                                        ; implicit-def: $vgpr8
.LBB1496_73:
	s_andn2_saveexec_b64 s[6:7], s[4:5]
	s_cbranch_execz .LBB1496_77
; %bb.74:
	v_add_u32_e32 v9, s37, v17
	v_add_u32_e32 v12, s39, v17
	v_mul_lo_u32 v9, v9, s36
	v_mul_lo_u32 v12, v12, s38
	s_mov_b64 s[8:9], 0
	v_sub_u32_e32 v9, v9, v12
	v_cmp_lt_u32_e32 vcc, s40, v9
	v_cmp_ge_u32_e64 s[4:5], s40, v9
	s_and_saveexec_b64 s[10:11], s[4:5]
	s_cbranch_execz .LBB1496_76
; %bb.75:
	v_add_u32_e32 v9, s42, v17
	v_add_u32_e32 v12, s56, v17
	v_mul_lo_u32 v9, v9, s41
	v_mul_lo_u32 v12, v12, s43
	v_sub_u32_e32 v9, v9, v12
	v_cmp_lt_u32_e64 s[4:5], s57, v9
	s_and_b64 s[8:9], s[4:5], exec
.LBB1496_76:
	s_or_b64 exec, exec, s[10:11]
	v_mov_b32_e32 v25, 8
	v_cndmask_b32_e64 v9, 0, 1, vcc
	v_lshrrev_b32_sdwa v26, v25, v10 dst_sel:BYTE_1 dst_unused:UNUSED_PAD src0_sel:DWORD src1_sel:DWORD
	v_lshlrev_b16_e32 v11, 8, v11
	v_or_b32_sdwa v10, v10, v26 dst_sel:DWORD dst_unused:UNUSED_PAD src0_sel:BYTE_0 src1_sel:DWORD
	v_or_b32_sdwa v9, v9, v11 dst_sel:WORD_1 dst_unused:UNUSED_PAD src0_sel:DWORD src1_sel:DWORD
	v_cndmask_b32_e64 v12, 0, 1, s[8:9]
	s_movk_i32 s4, 0xff
	v_or_b32_sdwa v9, v10, v9 dst_sel:DWORD dst_unused:UNUSED_PAD src0_sel:WORD_0 src1_sel:DWORD
	v_lshrrev_b32_sdwa v10, v25, v8 dst_sel:BYTE_1 dst_unused:UNUSED_PAD src0_sel:DWORD src1_sel:DWORD
	v_or_b32_sdwa v10, v8, v10 dst_sel:DWORD dst_unused:UNUSED_PAD src0_sel:BYTE_0 src1_sel:DWORD
	v_lshlrev_b16_e32 v11, 8, v12
	v_and_b32_sdwa v8, v8, s4 dst_sel:DWORD dst_unused:UNUSED_PAD src0_sel:WORD_1 src1_sel:DWORD
	v_or_b32_sdwa v8, v8, v11 dst_sel:WORD_1 dst_unused:UNUSED_PAD src0_sel:DWORD src1_sel:DWORD
	v_or_b32_sdwa v37, v10, v8 dst_sel:DWORD dst_unused:UNUSED_PAD src0_sel:WORD_0 src1_sel:DWORD
.LBB1496_77:
	s_or_b64 exec, exec, s[6:7]
	v_add_u32_e32 v8, 7, v35
	v_cmp_le_u32_e32 vcc, s16, v8
	v_lshrrev_b32_e32 v10, 24, v7
                                        ; implicit-def: $vgpr8
                                        ; implicit-def: $vgpr38
	s_and_saveexec_b64 s[4:5], vcc
	s_xor_b64 s[4:5], exec, s[4:5]
; %bb.78:
	v_and_b32_e32 v8, 0xff0000, v9
	s_mov_b32 s6, 0x3020504
	v_perm_b32 v38, v9, v8, s6
	s_movk_i32 s6, 0xff
	v_lshlrev_b16_e32 v8, 8, v10
	v_and_b32_sdwa v9, v7, s6 dst_sel:DWORD dst_unused:UNUSED_PAD src0_sel:WORD_1 src1_sel:DWORD
	v_mov_b32_e32 v11, 8
	v_or_b32_sdwa v8, v9, v8 dst_sel:WORD_1 dst_unused:UNUSED_PAD src0_sel:DWORD src1_sel:DWORD
	v_lshrrev_b32_sdwa v8, v11, v7 dst_sel:BYTE_1 dst_unused:UNUSED_PRESERVE src0_sel:DWORD src1_sel:DWORD
                                        ; implicit-def: $vgpr9
                                        ; implicit-def: $vgpr10
                                        ; implicit-def: $vgpr7
; %bb.79:
	s_andn2_saveexec_b64 s[6:7], s[4:5]
	s_cbranch_execz .LBB1496_83
; %bb.80:
	v_add_u32_e32 v8, s37, v18
	v_add_u32_e32 v11, s39, v18
	v_mul_lo_u32 v8, v8, s36
	v_mul_lo_u32 v11, v11, s38
	s_mov_b64 s[8:9], 0
	v_sub_u32_e32 v8, v8, v11
	v_cmp_lt_u32_e32 vcc, s40, v8
	v_cmp_ge_u32_e64 s[4:5], s40, v8
	s_and_saveexec_b64 s[10:11], s[4:5]
	s_cbranch_execz .LBB1496_82
; %bb.81:
	v_add_u32_e32 v8, s42, v18
	v_add_u32_e32 v11, s56, v18
	v_mul_lo_u32 v8, v8, s41
	v_mul_lo_u32 v11, v11, s43
	v_sub_u32_e32 v8, v8, v11
	v_cmp_lt_u32_e64 s[4:5], s57, v8
	s_and_b64 s[8:9], s[4:5], exec
.LBB1496_82:
	s_or_b64 exec, exec, s[10:11]
	v_mov_b32_e32 v12, 8
	v_cndmask_b32_e64 v8, 0, 1, vcc
	s_movk_i32 s4, 0xff
	v_lshrrev_b32_sdwa v25, v12, v9 dst_sel:BYTE_1 dst_unused:UNUSED_PAD src0_sel:DWORD src1_sel:DWORD
	v_or_b32_sdwa v25, v9, v25 dst_sel:DWORD dst_unused:UNUSED_PAD src0_sel:BYTE_0 src1_sel:DWORD
	v_lshlrev_b16_e32 v8, 8, v8
	v_and_b32_sdwa v9, v9, s4 dst_sel:DWORD dst_unused:UNUSED_PAD src0_sel:WORD_1 src1_sel:DWORD
	v_or_b32_sdwa v8, v9, v8 dst_sel:WORD_1 dst_unused:UNUSED_PAD src0_sel:DWORD src1_sel:DWORD
	v_cndmask_b32_e64 v11, 0, 1, s[8:9]
	v_or_b32_sdwa v38, v25, v8 dst_sel:DWORD dst_unused:UNUSED_PAD src0_sel:WORD_0 src1_sel:DWORD
	v_lshlrev_b16_e32 v8, 8, v10
	v_and_b32_sdwa v9, v7, s4 dst_sel:DWORD dst_unused:UNUSED_PAD src0_sel:WORD_1 src1_sel:DWORD
	v_lshrrev_b32_sdwa v7, v12, v7 dst_sel:BYTE_1 dst_unused:UNUSED_PAD src0_sel:DWORD src1_sel:DWORD
	v_or_b32_sdwa v8, v9, v8 dst_sel:WORD_1 dst_unused:UNUSED_PAD src0_sel:DWORD src1_sel:DWORD
	v_or_b32_e32 v7, v11, v7
	v_or_b32_sdwa v8, v7, v8 dst_sel:DWORD dst_unused:UNUSED_PAD src0_sel:WORD_0 src1_sel:DWORD
.LBB1496_83:
	s_or_b64 exec, exec, s[6:7]
	v_add_u32_e32 v7, 8, v35
	v_cmp_le_u32_e32 vcc, s16, v7
	v_lshrrev_b32_e32 v10, 24, v8
	v_lshrrev_b32_e32 v11, 24, v6
                                        ; implicit-def: $vgpr9
                                        ; implicit-def: $vgpr7
	s_and_saveexec_b64 s[4:5], vcc
	s_xor_b64 s[4:5], exec, s[4:5]
	s_cbranch_execz .LBB1496_85
; %bb.84:
	s_movk_i32 s6, 0xff
	v_lshlrev_b16_e32 v7, 8, v11
	v_and_b32_sdwa v9, v6, s6 dst_sel:DWORD dst_unused:UNUSED_PAD src0_sel:WORD_1 src1_sel:DWORD
	v_or_b32_sdwa v7, v9, v7 dst_sel:WORD_1 dst_unused:UNUSED_PAD src0_sel:DWORD src1_sel:DWORD
	v_mov_b32_e32 v9, 8
	v_lshrrev_b32_sdwa v7, v9, v6 dst_sel:BYTE_1 dst_unused:UNUSED_PRESERVE src0_sel:DWORD src1_sel:DWORD
	v_lshlrev_b16_e32 v6, 8, v10
	v_and_b32_sdwa v9, v8, s6 dst_sel:DWORD dst_unused:UNUSED_PAD src0_sel:WORD_1 src1_sel:DWORD
	s_mov_b32 s7, 0x3060504
	v_or_b32_e32 v6, v9, v6
	s_mov_b32 s6, 0x5040c00
	v_perm_b32 v5, v5, v5, s7
	v_perm_b32 v9, v6, v8, s6
                                        ; implicit-def: $vgpr11
                                        ; implicit-def: $vgpr6
                                        ; implicit-def: $vgpr8
                                        ; implicit-def: $vgpr10
.LBB1496_85:
	s_andn2_saveexec_b64 s[6:7], s[4:5]
	s_cbranch_execz .LBB1496_89
; %bb.86:
	v_add_u32_e32 v7, s37, v15
	v_add_u32_e32 v9, s39, v15
	v_mul_lo_u32 v7, v7, s36
	v_mul_lo_u32 v9, v9, s38
	s_mov_b64 s[8:9], 0
	v_sub_u32_e32 v7, v7, v9
	v_cmp_lt_u32_e32 vcc, s40, v7
	v_cmp_ge_u32_e64 s[4:5], s40, v7
	s_and_saveexec_b64 s[10:11], s[4:5]
	s_cbranch_execz .LBB1496_88
; %bb.87:
	v_add_u32_e32 v7, s42, v15
	v_add_u32_e32 v9, s56, v15
	v_mul_lo_u32 v7, v7, s41
	v_mul_lo_u32 v9, v9, s43
	v_sub_u32_e32 v7, v7, v9
	v_cmp_lt_u32_e64 s[4:5], s57, v7
	s_and_b64 s[8:9], s[4:5], exec
.LBB1496_88:
	s_or_b64 exec, exec, s[10:11]
	s_movk_i32 s4, 0xff
	v_lshlrev_b16_e32 v11, 8, v11
	v_and_b32_sdwa v12, v6, s4 dst_sel:DWORD dst_unused:UNUSED_PAD src0_sel:WORD_1 src1_sel:DWORD
	v_or_b32_sdwa v11, v12, v11 dst_sel:WORD_1 dst_unused:UNUSED_PAD src0_sel:DWORD src1_sel:DWORD
	v_mov_b32_e32 v12, 8
	v_cndmask_b32_e64 v7, 0, 1, vcc
	v_lshrrev_b32_sdwa v6, v12, v6 dst_sel:BYTE_1 dst_unused:UNUSED_PAD src0_sel:DWORD src1_sel:DWORD
	v_cndmask_b32_e64 v9, 0, 1, s[8:9]
	v_or_b32_e32 v6, v7, v6
	v_or_b32_sdwa v7, v6, v11 dst_sel:DWORD dst_unused:UNUSED_PAD src0_sel:WORD_0 src1_sel:DWORD
	v_lshlrev_b16_e32 v6, 8, v9
	v_or_b32_sdwa v6, v8, v6 dst_sel:DWORD dst_unused:UNUSED_PAD src0_sel:BYTE_0 src1_sel:DWORD
	v_lshlrev_b16_e32 v9, 8, v10
	v_and_b32_sdwa v8, v8, s4 dst_sel:DWORD dst_unused:UNUSED_PAD src0_sel:WORD_1 src1_sel:DWORD
	v_or_b32_sdwa v8, v8, v9 dst_sel:WORD_1 dst_unused:UNUSED_PAD src0_sel:DWORD src1_sel:DWORD
	v_or_b32_sdwa v9, v6, v8 dst_sel:DWORD dst_unused:UNUSED_PAD src0_sel:WORD_0 src1_sel:DWORD
.LBB1496_89:
	s_or_b64 exec, exec, s[6:7]
	v_add_u32_e32 v6, 9, v35
	v_cmp_le_u32_e32 vcc, s16, v6
	v_lshrrev_b32_e32 v10, 24, v9
	v_lshrrev_b32_e32 v11, 24, v7
                                        ; implicit-def: $vgpr6
                                        ; implicit-def: $vgpr8
	s_and_saveexec_b64 s[4:5], vcc
	s_xor_b64 s[4:5], exec, s[4:5]
	s_cbranch_execz .LBB1496_91
; %bb.90:
	s_mov_b32 s6, 0x40c0100
	v_perm_b32 v6, v10, v9, s6
	v_mov_b32_e32 v8, 8
	s_movk_i32 s6, 0xff
	v_lshrrev_b32_sdwa v9, v8, v6 dst_sel:BYTE_1 dst_unused:UNUSED_PAD src0_sel:DWORD src1_sel:DWORD
	v_lshlrev_b16_e32 v8, 8, v11
	v_and_b32_sdwa v10, v7, s6 dst_sel:DWORD dst_unused:UNUSED_PAD src0_sel:WORD_1 src1_sel:DWORD
	v_or_b32_e32 v8, v10, v8
	s_mov_b32 s6, 0x5040c00
	v_perm_b32 v8, v8, v7, s6
	s_mov_b32 s6, 0x3060504
	v_or_b32_sdwa v7, v6, v9 dst_sel:DWORD dst_unused:UNUSED_PAD src0_sel:BYTE_0 src1_sel:DWORD
	v_perm_b32 v5, v5, v5, s6
	v_and_b32_e32 v7, 0xffff, v7
	s_mov_b32 s6, 0xff000000
	v_and_or_b32 v6, v6, s6, v7
                                        ; implicit-def: $vgpr7
                                        ; implicit-def: $vgpr11
                                        ; implicit-def: $vgpr9
                                        ; implicit-def: $vgpr10
.LBB1496_91:
	s_andn2_saveexec_b64 s[6:7], s[4:5]
	s_cbranch_execz .LBB1496_95
; %bb.92:
	v_add_u32_e32 v6, s37, v16
	v_add_u32_e32 v8, s39, v16
	v_mul_lo_u32 v6, v6, s36
	v_mul_lo_u32 v8, v8, s38
	s_mov_b64 s[8:9], 0
	v_sub_u32_e32 v6, v6, v8
	v_cmp_lt_u32_e32 vcc, s40, v6
	v_cmp_ge_u32_e64 s[4:5], s40, v6
	s_and_saveexec_b64 s[10:11], s[4:5]
	s_cbranch_execz .LBB1496_94
; %bb.93:
	v_add_u32_e32 v6, s42, v16
	v_add_u32_e32 v8, s56, v16
	v_mul_lo_u32 v6, v6, s41
	v_mul_lo_u32 v8, v8, s43
	v_sub_u32_e32 v6, v6, v8
	v_cmp_lt_u32_e64 s[4:5], s57, v6
	s_and_b64 s[8:9], s[4:5], exec
.LBB1496_94:
	s_or_b64 exec, exec, s[10:11]
	v_cndmask_b32_e64 v6, 0, 1, vcc
	v_lshlrev_b16_e32 v6, 8, v6
	s_movk_i32 s4, 0xff
	v_or_b32_sdwa v6, v7, v6 dst_sel:DWORD dst_unused:UNUSED_PAD src0_sel:BYTE_0 src1_sel:DWORD
	v_lshlrev_b16_e32 v8, 8, v11
	v_and_b32_sdwa v7, v7, s4 dst_sel:DWORD dst_unused:UNUSED_PAD src0_sel:WORD_1 src1_sel:DWORD
	v_or_b32_sdwa v7, v7, v8 dst_sel:WORD_1 dst_unused:UNUSED_PAD src0_sel:DWORD src1_sel:DWORD
	v_or_b32_sdwa v8, v6, v7 dst_sel:DWORD dst_unused:UNUSED_PAD src0_sel:WORD_0 src1_sel:DWORD
	v_mov_b32_e32 v6, 8
	v_cndmask_b32_e64 v12, 0, 1, s[8:9]
	v_lshrrev_b32_sdwa v6, v6, v9 dst_sel:BYTE_1 dst_unused:UNUSED_PAD src0_sel:DWORD src1_sel:DWORD
	v_lshlrev_b16_e32 v7, 8, v10
	v_or_b32_sdwa v6, v9, v6 dst_sel:DWORD dst_unused:UNUSED_PAD src0_sel:BYTE_0 src1_sel:DWORD
	v_or_b32_sdwa v7, v12, v7 dst_sel:WORD_1 dst_unused:UNUSED_PAD src0_sel:DWORD src1_sel:DWORD
	v_or_b32_sdwa v6, v6, v7 dst_sel:DWORD dst_unused:UNUSED_PAD src0_sel:WORD_0 src1_sel:DWORD
.LBB1496_95:
	s_or_b64 exec, exec, s[6:7]
	v_add_u32_e32 v7, 10, v35
	v_cmp_le_u32_e32 vcc, s16, v7
	v_lshrrev_b32_e32 v9, 24, v8
                                        ; implicit-def: $vgpr39
                                        ; implicit-def: $vgpr7
	s_and_saveexec_b64 s[4:5], vcc
	s_xor_b64 s[4:5], exec, s[4:5]
	s_cbranch_execz .LBB1496_97
; %bb.96:
	s_mov_b32 s6, 0x40c0100
	v_perm_b32 v7, v9, v8, s6
	v_mov_b32_e32 v8, 8
	v_lshrrev_b32_sdwa v8, v8, v7 dst_sel:BYTE_1 dst_unused:UNUSED_PAD src0_sel:DWORD src1_sel:DWORD
	v_or_b32_sdwa v8, v7, v8 dst_sel:DWORD dst_unused:UNUSED_PAD src0_sel:BYTE_0 src1_sel:DWORD
	v_and_b32_e32 v8, 0xffff, v8
	s_mov_b32 s6, 0xff000000
	v_and_or_b32 v7, v7, s6, v8
	s_mov_b32 s6, 0x3060504
	v_and_b32_e32 v10, 0xff0000, v6
	v_perm_b32 v5, v5, v5, s6
	s_mov_b32 s6, 0x3020504
	v_perm_b32 v39, v6, v10, s6
                                        ; implicit-def: $vgpr8
                                        ; implicit-def: $vgpr9
                                        ; implicit-def: $vgpr6
.LBB1496_97:
	s_andn2_saveexec_b64 s[6:7], s[4:5]
	s_cbranch_execz .LBB1496_101
; %bb.98:
	v_add_u32_e32 v7, s37, v13
	v_add_u32_e32 v10, s39, v13
	v_mul_lo_u32 v7, v7, s36
	v_mul_lo_u32 v10, v10, s38
	s_mov_b64 s[8:9], 0
	v_sub_u32_e32 v7, v7, v10
	v_cmp_lt_u32_e32 vcc, s40, v7
	v_cmp_ge_u32_e64 s[4:5], s40, v7
	s_and_saveexec_b64 s[10:11], s[4:5]
	s_cbranch_execz .LBB1496_100
; %bb.99:
	v_add_u32_e32 v7, s42, v13
	v_add_u32_e32 v10, s56, v13
	v_mul_lo_u32 v7, v7, s41
	v_mul_lo_u32 v10, v10, s43
	v_sub_u32_e32 v7, v7, v10
	v_cmp_lt_u32_e64 s[4:5], s57, v7
	s_and_b64 s[8:9], s[4:5], exec
.LBB1496_100:
	s_or_b64 exec, exec, s[10:11]
	v_mov_b32_e32 v11, 8
	v_cndmask_b32_e64 v7, 0, 1, vcc
	v_lshrrev_b32_sdwa v12, v11, v8 dst_sel:BYTE_1 dst_unused:UNUSED_PAD src0_sel:DWORD src1_sel:DWORD
	v_lshlrev_b16_e32 v9, 8, v9
	v_or_b32_sdwa v8, v8, v12 dst_sel:DWORD dst_unused:UNUSED_PAD src0_sel:BYTE_0 src1_sel:DWORD
	v_or_b32_sdwa v7, v7, v9 dst_sel:WORD_1 dst_unused:UNUSED_PAD src0_sel:DWORD src1_sel:DWORD
	v_cndmask_b32_e64 v10, 0, 1, s[8:9]
	s_movk_i32 s4, 0xff
	v_or_b32_sdwa v7, v8, v7 dst_sel:DWORD dst_unused:UNUSED_PAD src0_sel:WORD_0 src1_sel:DWORD
	v_lshrrev_b32_sdwa v8, v11, v6 dst_sel:BYTE_1 dst_unused:UNUSED_PAD src0_sel:DWORD src1_sel:DWORD
	v_or_b32_sdwa v8, v6, v8 dst_sel:DWORD dst_unused:UNUSED_PAD src0_sel:BYTE_0 src1_sel:DWORD
	v_lshlrev_b16_e32 v9, 8, v10
	v_and_b32_sdwa v6, v6, s4 dst_sel:DWORD dst_unused:UNUSED_PAD src0_sel:WORD_1 src1_sel:DWORD
	v_or_b32_sdwa v6, v6, v9 dst_sel:WORD_1 dst_unused:UNUSED_PAD src0_sel:DWORD src1_sel:DWORD
	v_or_b32_sdwa v39, v8, v6 dst_sel:DWORD dst_unused:UNUSED_PAD src0_sel:WORD_0 src1_sel:DWORD
.LBB1496_101:
	s_or_b64 exec, exec, s[6:7]
	v_add_u32_e32 v6, 11, v35
	v_mov_b32_e32 v40, 0
	v_cmp_le_u32_e32 vcc, s16, v6
                                        ; implicit-def: $vgpr41
	s_and_saveexec_b64 s[4:5], vcc
	s_xor_b64 s[4:5], exec, s[4:5]
; %bb.102:
	v_and_b32_e32 v6, 0xff0000, v7
	s_mov_b32 s6, 0x3020504
	v_perm_b32 v41, v7, v6, s6
	s_mov_b32 s6, 0x3060504
	v_perm_b32 v5, v5, v5, s6
                                        ; implicit-def: $vgpr7
; %bb.103:
	s_andn2_saveexec_b64 s[6:7], s[4:5]
	s_cbranch_execz .LBB1496_107
; %bb.104:
	v_add_u32_e32 v6, s37, v14
	v_add_u32_e32 v8, s39, v14
	v_mul_lo_u32 v6, v6, s36
	v_mul_lo_u32 v8, v8, s38
	s_mov_b64 s[8:9], 0
	v_sub_u32_e32 v6, v6, v8
	v_cmp_lt_u32_e32 vcc, s40, v6
	v_cmp_ge_u32_e64 s[4:5], s40, v6
	s_and_saveexec_b64 s[10:11], s[4:5]
	s_cbranch_execz .LBB1496_106
; %bb.105:
	v_add_u32_e32 v6, s42, v14
	v_add_u32_e32 v8, s56, v14
	v_mul_lo_u32 v6, v6, s41
	v_mul_lo_u32 v8, v8, s43
	v_sub_u32_e32 v6, v6, v8
	v_cmp_lt_u32_e64 s[4:5], s57, v6
	s_and_b64 s[8:9], s[4:5], exec
.LBB1496_106:
	s_or_b64 exec, exec, s[10:11]
	v_mov_b32_e32 v8, 8
	v_cndmask_b32_e64 v6, 0, 1, vcc
	s_movk_i32 s4, 0xff
	v_lshrrev_b32_sdwa v8, v8, v7 dst_sel:BYTE_1 dst_unused:UNUSED_PAD src0_sel:DWORD src1_sel:DWORD
	v_or_b32_sdwa v8, v7, v8 dst_sel:DWORD dst_unused:UNUSED_PAD src0_sel:BYTE_0 src1_sel:DWORD
	v_lshlrev_b16_e32 v6, 8, v6
	v_and_b32_sdwa v7, v7, s4 dst_sel:DWORD dst_unused:UNUSED_PAD src0_sel:WORD_1 src1_sel:DWORD
	v_or_b32_sdwa v6, v7, v6 dst_sel:WORD_1 dst_unused:UNUSED_PAD src0_sel:DWORD src1_sel:DWORD
	v_cndmask_b32_e64 v40, 0, 1, s[8:9]
	v_or_b32_sdwa v41, v8, v6 dst_sel:DWORD dst_unused:UNUSED_PAD src0_sel:WORD_0 src1_sel:DWORD
.LBB1496_107:
	s_or_b64 exec, exec, s[6:7]
	v_add_u32_e32 v6, 12, v35
	v_cmp_le_u32_e32 vcc, s16, v6
	v_lshrrev_b32_e32 v6, 24, v5
                                        ; implicit-def: $vgpr42
	s_and_saveexec_b64 s[4:5], vcc
	s_xor_b64 s[4:5], exec, s[4:5]
; %bb.108:
	s_movk_i32 s6, 0xff
	v_lshlrev_b16_e32 v6, 8, v6
	v_and_b32_sdwa v8, v5, s6 dst_sel:DWORD dst_unused:UNUSED_PAD src0_sel:WORD_1 src1_sel:DWORD
	v_mov_b32_e32 v7, 8
	v_or_b32_sdwa v42, v8, v6 dst_sel:WORD_1 dst_unused:UNUSED_PAD src0_sel:DWORD src1_sel:DWORD
	v_lshrrev_b32_sdwa v42, v7, v5 dst_sel:BYTE_1 dst_unused:UNUSED_PRESERVE src0_sel:DWORD src1_sel:DWORD
                                        ; implicit-def: $vgpr6
                                        ; implicit-def: $vgpr5
; %bb.109:
	s_or_saveexec_b64 s[6:7], s[4:5]
	v_mov_b32_e32 v43, 0
	s_xor_b64 exec, exec, s[6:7]
	s_cbranch_execz .LBB1496_113
; %bb.110:
	v_add_u32_e32 v7, s37, v34
	v_add_u32_e32 v8, s39, v34
	v_mul_lo_u32 v7, v7, s36
	v_mul_lo_u32 v8, v8, s38
	s_mov_b64 s[8:9], 0
	v_sub_u32_e32 v7, v7, v8
	v_cmp_lt_u32_e32 vcc, s40, v7
	v_cmp_ge_u32_e64 s[4:5], s40, v7
	s_and_saveexec_b64 s[10:11], s[4:5]
	s_cbranch_execz .LBB1496_112
; %bb.111:
	v_add_u32_e32 v7, s42, v34
	v_add_u32_e32 v8, s56, v34
	v_mul_lo_u32 v7, v7, s41
	v_mul_lo_u32 v8, v8, s43
	v_sub_u32_e32 v7, v7, v8
	v_cmp_lt_u32_e64 s[4:5], s57, v7
	s_and_b64 s[8:9], s[4:5], exec
.LBB1496_112:
	s_or_b64 exec, exec, s[10:11]
	s_movk_i32 s4, 0xff
	v_lshlrev_b16_e32 v6, 8, v6
	v_and_b32_sdwa v8, v5, s4 dst_sel:DWORD dst_unused:UNUSED_PAD src0_sel:WORD_1 src1_sel:DWORD
	v_or_b32_sdwa v6, v8, v6 dst_sel:WORD_1 dst_unused:UNUSED_PAD src0_sel:DWORD src1_sel:DWORD
	v_mov_b32_e32 v8, 8
	v_cndmask_b32_e64 v7, 0, 1, vcc
	v_lshrrev_b32_sdwa v5, v8, v5 dst_sel:BYTE_1 dst_unused:UNUSED_PAD src0_sel:DWORD src1_sel:DWORD
	v_or_b32_e32 v5, v7, v5
	v_cndmask_b32_e64 v43, 0, 1, s[8:9]
	v_or_b32_sdwa v42, v5, v6 dst_sel:DWORD dst_unused:UNUSED_PAD src0_sel:WORD_0 src1_sel:DWORD
.LBB1496_113:
	s_or_b64 exec, exec, s[6:7]
.LBB1496_114:
	v_and_b32_e32 v53, 0xff, v36
	v_bfe_u32 v50, v36, 8, 8
	v_bfe_u32 v55, v36, 16, 8
	v_lshrrev_b32_e32 v48, 24, v36
	v_and_b32_e32 v56, 0xff, v38
	v_add3_u32 v8, v50, v53, v55
	v_bfe_u32 v51, v38, 8, 8
	v_bfe_u32 v58, v38, 16, 8
	v_add3_u32 v8, v8, v48, v56
	v_bfe_u32 v54, v42, 8, 8
	v_bfe_u32 v62, v42, 16, 8
	v_lshrrev_b32_e32 v49, 24, v42
	v_lshrrev_b32_e32 v46, 24, v38
	v_and_b32_e32 v59, 0xff, v41
	v_add3_u32 v8, v8, v51, v58
	v_and_b32_e32 v63, 0xff, v37
	v_bfe_u32 v57, v37, 8, 8
	v_bfe_u32 v52, v41, 8, 8
	;; [unrolled: 1-line block ×3, first 2 shown]
	v_add3_u32 v7, v62, v54, v49
	v_add3_u32 v8, v8, v46, v59
	v_bfe_u32 v64, v37, 16, 8
	v_lshrrev_b32_e32 v47, 24, v37
	v_lshrrev_b32_e32 v44, 24, v41
	v_and_b32_e32 v5, 0xff, v42
	v_add3_u32 v7, v7, v63, v57
	v_add3_u32 v8, v8, v52, v61
	v_and_b32_e32 v65, 0xff, v39
	v_bfe_u32 v60, v39, 8, 8
	v_add3_u32 v7, v7, v64, v47
	v_add3_u32 v73, v8, v44, v5
	v_mbcnt_lo_u32_b32 v5, -1, 0
	v_bfe_u32 v66, v39, 16, 8
	v_lshrrev_b32_e32 v45, 24, v39
	v_add3_u32 v7, v7, v65, v60
	v_mbcnt_hi_u32_b32 v68, -1, v5
	v_and_b32_e32 v67, 0xff, v40
	v_and_b32_e32 v6, 0xff, v43
	v_add3_u32 v7, v7, v66, v45
	v_and_b32_e32 v72, 15, v68
	s_cmp_lg_u32 s33, 0
	v_add3_u32 v74, v7, v67, v6
	v_cmp_eq_u32_e64 s[6:7], 0, v72
	v_cmp_lt_u32_e64 s[4:5], 1, v72
	v_cmp_lt_u32_e64 s[10:11], 3, v72
	;; [unrolled: 1-line block ×3, first 2 shown]
	v_and_b32_e32 v71, 16, v68
	v_cmp_lt_u32_e32 vcc, 31, v68
	v_lshrrev_b32_e32 v69, 6, v0
	v_or_b32_e32 v70, 63, v0
	s_cbranch_scc0 .LBB1496_136
; %bb.115:
	v_mov_b32_dpp v5, v73 row_shr:1 row_mask:0xf bank_mask:0xf
	v_mov_b32_dpp v6, v74 row_shr:1 row_mask:0xf bank_mask:0xf
	v_add_u32_e32 v5, v5, v73
	v_add_u32_e32 v6, v6, v74
	v_cndmask_b32_e64 v6, v6, v74, s[6:7]
	v_cndmask_b32_e64 v5, v5, v73, s[6:7]
	s_nop 0
	v_mov_b32_dpp v8, v6 row_shr:2 row_mask:0xf bank_mask:0xf
	v_mov_b32_dpp v7, v5 row_shr:2 row_mask:0xf bank_mask:0xf
	v_add_u32_e32 v7, v5, v7
	v_add_u32_e32 v8, v6, v8
	v_cndmask_b32_e64 v6, v6, v8, s[4:5]
	v_cndmask_b32_e64 v5, v5, v7, s[4:5]
	s_nop 0
	v_mov_b32_dpp v8, v6 row_shr:4 row_mask:0xf bank_mask:0xf
	v_mov_b32_dpp v7, v5 row_shr:4 row_mask:0xf bank_mask:0xf
	v_add_u32_e32 v7, v5, v7
	v_add_u32_e32 v8, v6, v8
	v_cndmask_b32_e64 v6, v6, v8, s[10:11]
	v_cndmask_b32_e64 v5, v5, v7, s[10:11]
	s_nop 0
	v_mov_b32_dpp v8, v6 row_shr:8 row_mask:0xf bank_mask:0xf
	v_mov_b32_dpp v7, v5 row_shr:8 row_mask:0xf bank_mask:0xf
	v_add_u32_e32 v7, v5, v7
	v_add_u32_e32 v8, v6, v8
	v_cndmask_b32_e64 v6, v6, v8, s[8:9]
	v_cndmask_b32_e64 v7, v5, v7, s[8:9]
	v_cmp_eq_u32_e64 s[8:9], 0, v71
	v_mov_b32_dpp v8, v6 row_bcast:15 row_mask:0xf bank_mask:0xf
	v_mov_b32_dpp v5, v7 row_bcast:15 row_mask:0xf bank_mask:0xf
	v_add_u32_e32 v9, v7, v5
	v_add_u32_e32 v5, v6, v8
	v_cndmask_b32_e64 v5, v5, v6, s[8:9]
	v_cndmask_b32_e64 v6, v9, v7, s[8:9]
	v_cmp_eq_u32_e64 s[8:9], v0, v70
	v_mov_b32_dpp v7, v5 row_bcast:31 row_mask:0xf bank_mask:0xf
	v_mov_b32_dpp v8, v6 row_bcast:31 row_mask:0xf bank_mask:0xf
	v_add_u32_e32 v7, v5, v7
	v_add_u32_e32 v8, v6, v8
	s_and_saveexec_b64 s[10:11], s[8:9]
; %bb.116:
	v_lshlrev_b32_e32 v11, 3, v69
	v_cndmask_b32_e32 v10, v5, v7, vcc
	v_cndmask_b32_e32 v9, v6, v8, vcc
	ds_write_b64 v11, v[9:10]
; %bb.117:
	s_or_b64 exec, exec, s[10:11]
	v_cmp_gt_u32_e64 s[8:9], 4, v0
	s_waitcnt lgkmcnt(0)
	s_barrier
	s_and_saveexec_b64 s[10:11], s[8:9]
	s_cbranch_execz .LBB1496_119
; %bb.118:
	v_lshlrev_b32_e32 v11, 3, v0
	ds_read_b64 v[9:10], v11
	v_and_b32_e32 v12, 3, v68
	v_cmp_eq_u32_e64 s[8:9], 0, v12
	s_waitcnt lgkmcnt(0)
	v_mov_b32_dpp v25, v9 row_shr:1 row_mask:0xf bank_mask:0xf
	v_mov_b32_dpp v26, v10 row_shr:1 row_mask:0xf bank_mask:0xf
	v_add_u32_e32 v25, v25, v9
	v_add_u32_e32 v26, v26, v10
	v_cndmask_b32_e64 v10, v26, v10, s[8:9]
	v_cndmask_b32_e64 v9, v25, v9, s[8:9]
	v_cmp_lt_u32_e64 s[8:9], 1, v12
	v_mov_b32_dpp v26, v10 row_shr:2 row_mask:0xf bank_mask:0xf
	v_mov_b32_dpp v25, v9 row_shr:2 row_mask:0xf bank_mask:0xf
	v_cndmask_b32_e64 v12, 0, v25, s[8:9]
	v_cndmask_b32_e64 v25, 0, v26, s[8:9]
	v_add_u32_e32 v10, v25, v10
	v_add_u32_e32 v9, v12, v9
	ds_write_b64 v11, v[9:10]
.LBB1496_119:
	s_or_b64 exec, exec, s[10:11]
	v_cndmask_b32_e32 v5, v5, v7, vcc
	v_cndmask_b32_e32 v6, v6, v8, vcc
	v_cmp_gt_u32_e32 vcc, 64, v0
	v_cmp_lt_u32_e64 s[8:9], 63, v0
	s_waitcnt lgkmcnt(0)
	s_barrier
                                        ; implicit-def: $vgpr25
	s_and_saveexec_b64 s[10:11], s[8:9]
	s_cbranch_execz .LBB1496_121
; %bb.120:
	v_lshl_add_u32 v7, v69, 3, -8
	ds_read_b64 v[25:26], v7
	s_waitcnt lgkmcnt(0)
	v_add_u32_e32 v5, v26, v5
	v_add_u32_e32 v6, v25, v6
.LBB1496_121:
	s_or_b64 exec, exec, s[10:11]
	v_subrev_co_u32_e64 v7, s[8:9], 1, v68
	v_and_b32_e32 v8, 64, v68
	v_cmp_lt_i32_e64 s[10:11], v7, v8
	v_cndmask_b32_e64 v7, v7, v68, s[10:11]
	v_lshlrev_b32_e32 v7, 2, v7
	ds_bpermute_b32 v75, v7, v6
	ds_bpermute_b32 v76, v7, v5
	s_and_saveexec_b64 s[10:11], vcc
	s_cbranch_execz .LBB1496_141
; %bb.122:
	v_mov_b32_e32 v8, 0
	ds_read_b64 v[5:6], v8 offset:24
	s_and_saveexec_b64 s[12:13], s[8:9]
	s_cbranch_execz .LBB1496_124
; %bb.123:
	s_add_i32 s14, s33, 64
	s_mov_b32 s15, 0
	s_lshl_b64 s[14:15], s[14:15], 4
	s_add_u32 s14, s54, s14
	s_addc_u32 s15, s55, s15
	v_mov_b32_e32 v9, s14
	v_mov_b32_e32 v7, 1
	;; [unrolled: 1-line block ×3, first 2 shown]
	s_waitcnt lgkmcnt(0)
	;;#ASMSTART
	global_store_dwordx4 v[9:10], v[5:8] off	
s_waitcnt vmcnt(0)
	;;#ASMEND
.LBB1496_124:
	s_or_b64 exec, exec, s[12:13]
	v_xad_u32 v27, v68, -1, s33
	v_add_u32_e32 v7, 64, v27
	v_lshlrev_b64 v[9:10], 4, v[7:8]
	v_mov_b32_e32 v7, s55
	v_add_co_u32_e32 v28, vcc, s54, v9
	v_addc_co_u32_e32 v29, vcc, v7, v10, vcc
	;;#ASMSTART
	global_load_dwordx4 v[9:12], v[28:29] off glc	
s_waitcnt vmcnt(0)
	;;#ASMEND
	v_cmp_eq_u16_sdwa s[14:15], v11, v8 src0_sel:BYTE_0 src1_sel:DWORD
	s_and_saveexec_b64 s[12:13], s[14:15]
	s_cbranch_execz .LBB1496_128
; %bb.125:
	s_mov_b64 s[14:15], 0
	v_mov_b32_e32 v7, 0
.LBB1496_126:                           ; =>This Inner Loop Header: Depth=1
	;;#ASMSTART
	global_load_dwordx4 v[9:12], v[28:29] off glc	
s_waitcnt vmcnt(0)
	;;#ASMEND
	v_cmp_ne_u16_sdwa s[18:19], v11, v7 src0_sel:BYTE_0 src1_sel:DWORD
	s_or_b64 s[14:15], s[18:19], s[14:15]
	s_andn2_b64 exec, exec, s[14:15]
	s_cbranch_execnz .LBB1496_126
; %bb.127:
	s_or_b64 exec, exec, s[14:15]
.LBB1496_128:
	s_or_b64 exec, exec, s[12:13]
	v_and_b32_e32 v78, 63, v68
	v_cmp_ne_u32_e32 vcc, 63, v78
	v_mov_b32_e32 v77, 2
	v_lshlrev_b64 v[29:30], v68, -1
	v_addc_co_u32_e32 v12, vcc, 0, v68, vcc
	v_cmp_eq_u16_sdwa s[12:13], v11, v77 src0_sel:BYTE_0 src1_sel:DWORD
	v_lshlrev_b32_e32 v79, 2, v12
	v_and_b32_e32 v7, s13, v30
	ds_bpermute_b32 v12, v79, v9
	ds_bpermute_b32 v28, v79, v10
	v_or_b32_e32 v7, 0x80000000, v7
	v_and_b32_e32 v8, s12, v29
	v_ffbl_b32_e32 v7, v7
	v_add_u32_e32 v7, 32, v7
	v_ffbl_b32_e32 v8, v8
	v_min_u32_e32 v7, v8, v7
	s_waitcnt lgkmcnt(1)
	v_add_u32_e32 v8, v12, v9
	s_waitcnt lgkmcnt(0)
	v_add_u32_e32 v12, v28, v10
	v_cmp_lt_u32_e32 vcc, v78, v7
	v_cndmask_b32_e32 v10, v10, v12, vcc
	v_cndmask_b32_e32 v8, v9, v8, vcc
	v_cmp_gt_u32_e32 vcc, 62, v78
	v_cndmask_b32_e64 v9, 0, 2, vcc
	v_add_lshl_u32 v80, v9, v68, 2
	ds_bpermute_b32 v9, v80, v8
	ds_bpermute_b32 v12, v80, v10
	v_add_u32_e32 v81, 2, v78
	v_cmp_gt_u32_e32 vcc, v81, v7
	v_add_u32_e32 v83, 4, v78
	s_waitcnt lgkmcnt(1)
	v_add_u32_e32 v9, v8, v9
	s_waitcnt lgkmcnt(0)
	v_add_u32_e32 v12, v10, v12
	v_cndmask_b32_e32 v10, v12, v10, vcc
	v_cndmask_b32_e32 v8, v9, v8, vcc
	v_cmp_gt_u32_e32 vcc, 60, v78
	v_cndmask_b32_e64 v9, 0, 4, vcc
	v_add_lshl_u32 v82, v9, v68, 2
	ds_bpermute_b32 v9, v82, v8
	ds_bpermute_b32 v12, v82, v10
	v_cmp_gt_u32_e32 vcc, v83, v7
	v_add_u32_e32 v85, 8, v78
	v_add_u32_e32 v87, 16, v78
	s_waitcnt lgkmcnt(1)
	v_add_u32_e32 v9, v8, v9
	s_waitcnt lgkmcnt(0)
	v_add_u32_e32 v12, v10, v12
	v_cndmask_b32_e32 v10, v12, v10, vcc
	v_cndmask_b32_e32 v8, v9, v8, vcc
	v_cmp_gt_u32_e32 vcc, 56, v78
	v_cndmask_b32_e64 v9, 0, 8, vcc
	v_add_lshl_u32 v84, v9, v68, 2
	ds_bpermute_b32 v9, v84, v8
	ds_bpermute_b32 v12, v84, v10
	v_cmp_gt_u32_e32 vcc, v85, v7
	v_add_u32_e32 v89, 32, v78
	v_mov_b32_e32 v28, 0
	s_waitcnt lgkmcnt(1)
	v_add_u32_e32 v9, v8, v9
	s_waitcnt lgkmcnt(0)
	v_add_u32_e32 v12, v10, v12
	v_cndmask_b32_e32 v10, v12, v10, vcc
	v_cndmask_b32_e32 v8, v9, v8, vcc
	v_cmp_gt_u32_e32 vcc, 48, v78
	v_cndmask_b32_e64 v9, 0, 16, vcc
	v_add_lshl_u32 v86, v9, v68, 2
	ds_bpermute_b32 v9, v86, v8
	ds_bpermute_b32 v12, v86, v10
	v_cmp_gt_u32_e32 vcc, v87, v7
	s_waitcnt lgkmcnt(1)
	v_add_u32_e32 v9, v8, v9
	s_waitcnt lgkmcnt(0)
	v_add_u32_e32 v12, v10, v12
	v_cndmask_b32_e32 v8, v9, v8, vcc
	v_mov_b32_e32 v9, 0x80
	v_cndmask_b32_e32 v10, v12, v10, vcc
	v_lshl_or_b32 v88, v68, 2, v9
	ds_bpermute_b32 v9, v88, v8
	ds_bpermute_b32 v12, v88, v10
	v_cmp_le_u32_e32 vcc, v89, v7
	s_waitcnt lgkmcnt(1)
	v_cndmask_b32_e32 v7, 0, v9, vcc
	s_waitcnt lgkmcnt(0)
	v_cndmask_b32_e32 v9, 0, v12, vcc
	v_add_u32_e32 v10, v10, v9
	v_add_u32_e32 v9, v8, v7
	s_branch .LBB1496_132
.LBB1496_129:                           ;   in Loop: Header=BB1496_132 Depth=1
	s_or_b64 exec, exec, s[14:15]
.LBB1496_130:                           ;   in Loop: Header=BB1496_132 Depth=1
	s_or_b64 exec, exec, s[12:13]
	v_cmp_eq_u16_sdwa s[12:13], v11, v77 src0_sel:BYTE_0 src1_sel:DWORD
	v_and_b32_e32 v12, s13, v30
	ds_bpermute_b32 v32, v79, v9
	ds_bpermute_b32 v90, v79, v10
	v_or_b32_e32 v12, 0x80000000, v12
	v_and_b32_e32 v31, s12, v29
	v_ffbl_b32_e32 v12, v12
	v_add_u32_e32 v12, 32, v12
	v_ffbl_b32_e32 v31, v31
	v_min_u32_e32 v12, v31, v12
	s_waitcnt lgkmcnt(1)
	v_add_u32_e32 v31, v32, v9
	s_waitcnt lgkmcnt(0)
	v_add_u32_e32 v32, v90, v10
	v_cmp_lt_u32_e32 vcc, v78, v12
	v_cndmask_b32_e32 v10, v10, v32, vcc
	v_cndmask_b32_e32 v9, v9, v31, vcc
	ds_bpermute_b32 v31, v80, v9
	ds_bpermute_b32 v32, v80, v10
	v_cmp_gt_u32_e32 vcc, v81, v12
	v_subrev_u32_e32 v27, 64, v27
	s_mov_b64 s[12:13], 0
	s_waitcnt lgkmcnt(1)
	v_add_u32_e32 v31, v9, v31
	s_waitcnt lgkmcnt(0)
	v_add_u32_e32 v32, v10, v32
	v_cndmask_b32_e32 v10, v32, v10, vcc
	v_cndmask_b32_e32 v9, v31, v9, vcc
	ds_bpermute_b32 v31, v82, v9
	ds_bpermute_b32 v32, v82, v10
	v_cmp_gt_u32_e32 vcc, v83, v12
	s_waitcnt lgkmcnt(1)
	v_add_u32_e32 v31, v9, v31
	s_waitcnt lgkmcnt(0)
	v_add_u32_e32 v32, v10, v32
	v_cndmask_b32_e32 v10, v32, v10, vcc
	v_cndmask_b32_e32 v9, v31, v9, vcc
	ds_bpermute_b32 v31, v84, v9
	ds_bpermute_b32 v32, v84, v10
	v_cmp_gt_u32_e32 vcc, v85, v12
	;; [unrolled: 9-line block ×3, first 2 shown]
	s_waitcnt lgkmcnt(1)
	v_add_u32_e32 v31, v9, v31
	s_waitcnt lgkmcnt(0)
	v_add_u32_e32 v32, v10, v32
	v_cndmask_b32_e32 v10, v32, v10, vcc
	v_cndmask_b32_e32 v9, v31, v9, vcc
	ds_bpermute_b32 v31, v88, v9
	ds_bpermute_b32 v32, v88, v10
	v_cmp_le_u32_e32 vcc, v89, v12
	s_waitcnt lgkmcnt(1)
	v_cndmask_b32_e32 v12, 0, v31, vcc
	s_waitcnt lgkmcnt(0)
	v_cndmask_b32_e32 v31, 0, v32, vcc
	v_add3_u32 v10, v31, v8, v10
	v_add3_u32 v9, v12, v7, v9
.LBB1496_131:                           ;   in Loop: Header=BB1496_132 Depth=1
	s_and_b64 vcc, exec, s[12:13]
	s_cbranch_vccnz .LBB1496_137
.LBB1496_132:                           ; =>This Loop Header: Depth=1
                                        ;     Child Loop BB1496_135 Depth 2
	v_mov_b32_e32 v7, v9
	v_cmp_ne_u16_sdwa s[12:13], v11, v77 src0_sel:BYTE_0 src1_sel:DWORD
	v_mov_b32_e32 v8, v10
	s_cmp_lg_u64 s[12:13], exec
	s_mov_b64 s[12:13], -1
                                        ; implicit-def: $vgpr11
                                        ; implicit-def: $vgpr9_vgpr10
	s_cbranch_scc1 .LBB1496_131
; %bb.133:                              ;   in Loop: Header=BB1496_132 Depth=1
	v_lshlrev_b64 v[9:10], 4, v[27:28]
	v_mov_b32_e32 v11, s55
	v_add_co_u32_e32 v31, vcc, s54, v9
	v_addc_co_u32_e32 v32, vcc, v11, v10, vcc
	;;#ASMSTART
	global_load_dwordx4 v[9:12], v[31:32] off glc	
s_waitcnt vmcnt(0)
	;;#ASMEND
	v_cmp_eq_u16_sdwa s[14:15], v11, v28 src0_sel:BYTE_0 src1_sel:DWORD
	s_and_saveexec_b64 s[12:13], s[14:15]
	s_cbranch_execz .LBB1496_130
; %bb.134:                              ;   in Loop: Header=BB1496_132 Depth=1
	s_mov_b64 s[14:15], 0
.LBB1496_135:                           ;   Parent Loop BB1496_132 Depth=1
                                        ; =>  This Inner Loop Header: Depth=2
	;;#ASMSTART
	global_load_dwordx4 v[9:12], v[31:32] off glc	
s_waitcnt vmcnt(0)
	;;#ASMEND
	v_cmp_ne_u16_sdwa s[18:19], v11, v28 src0_sel:BYTE_0 src1_sel:DWORD
	s_or_b64 s[14:15], s[18:19], s[14:15]
	s_andn2_b64 exec, exec, s[14:15]
	s_cbranch_execnz .LBB1496_135
	s_branch .LBB1496_129
.LBB1496_136:
                                        ; implicit-def: $vgpr12
                                        ; implicit-def: $vgpr7
                                        ; implicit-def: $vgpr25
	s_cbranch_execnz .LBB1496_142
	s_branch .LBB1496_151
.LBB1496_137:
	s_and_saveexec_b64 s[12:13], s[8:9]
	s_cbranch_execnz .LBB1496_379
; %bb.138:
	s_or_b64 exec, exec, s[12:13]
	s_and_saveexec_b64 s[12:13], s[8:9]
	s_cbranch_execnz .LBB1496_380
.LBB1496_139:
	s_or_b64 exec, exec, s[12:13]
	s_and_b64 exec, exec, s[0:1]
.LBB1496_140:
	v_mov_b32_e32 v5, 0
	ds_write_b64 v5, v[7:8] offset:24
.LBB1496_141:
	s_or_b64 exec, exec, s[10:11]
	v_mov_b32_e32 v5, 0
	s_waitcnt lgkmcnt(0)
	s_barrier
	ds_read_b64 v[9:10], v5 offset:24
	v_cndmask_b32_e64 v6, v75, v25, s[8:9]
	s_waitcnt lgkmcnt(0)
	s_barrier
	v_add_u32_e32 v25, v9, v6
	ds_read_b128 v[5:8], v5 offset:13312
	v_cndmask_b32_e64 v11, v76, v26, s[8:9]
	v_add_u32_e32 v11, v10, v11
	v_cndmask_b32_e64 v12, v11, v10, s[0:1]
	v_cndmask_b32_e64 v25, v25, v9, s[0:1]
	s_branch .LBB1496_151
.LBB1496_142:
	s_waitcnt lgkmcnt(0)
	v_mov_b32_dpp v5, v73 row_shr:1 row_mask:0xf bank_mask:0xf
	v_mov_b32_dpp v6, v74 row_shr:1 row_mask:0xf bank_mask:0xf
	v_add_u32_e32 v5, v5, v73
	v_add_u32_e32 v6, v6, v74
	v_cndmask_b32_e64 v6, v6, v74, s[6:7]
	v_cndmask_b32_e64 v5, v5, v73, s[6:7]
	v_cmp_lt_u32_e32 vcc, 3, v72
	v_mov_b32_dpp v8, v6 row_shr:2 row_mask:0xf bank_mask:0xf
	v_mov_b32_dpp v7, v5 row_shr:2 row_mask:0xf bank_mask:0xf
	v_add_u32_e32 v7, v5, v7
	v_add_u32_e32 v8, v6, v8
	v_cndmask_b32_e64 v6, v6, v8, s[4:5]
	v_cndmask_b32_e64 v5, v5, v7, s[4:5]
	v_cmp_eq_u32_e64 s[4:5], v0, v70
	v_mov_b32_dpp v8, v6 row_shr:4 row_mask:0xf bank_mask:0xf
	v_mov_b32_dpp v7, v5 row_shr:4 row_mask:0xf bank_mask:0xf
	v_add_u32_e32 v7, v5, v7
	v_add_u32_e32 v8, v6, v8
	v_cndmask_b32_e32 v6, v6, v8, vcc
	v_cndmask_b32_e32 v5, v5, v7, vcc
	v_cmp_lt_u32_e32 vcc, 7, v72
	v_mov_b32_dpp v8, v6 row_shr:8 row_mask:0xf bank_mask:0xf
	v_mov_b32_dpp v7, v5 row_shr:8 row_mask:0xf bank_mask:0xf
	v_add_u32_e32 v7, v5, v7
	v_add_u32_e32 v8, v6, v8
	v_cndmask_b32_e32 v6, v6, v8, vcc
	v_cndmask_b32_e32 v7, v5, v7, vcc
	v_cmp_eq_u32_e32 vcc, 0, v71
	v_mov_b32_dpp v8, v6 row_bcast:15 row_mask:0xf bank_mask:0xf
	v_mov_b32_dpp v5, v7 row_bcast:15 row_mask:0xf bank_mask:0xf
	v_add_u32_e32 v9, v7, v5
	v_add_u32_e32 v5, v6, v8
	v_cndmask_b32_e32 v5, v5, v6, vcc
	v_cndmask_b32_e32 v6, v9, v7, vcc
	v_cmp_lt_u32_e32 vcc, 31, v68
	v_mov_b32_dpp v7, v5 row_bcast:31 row_mask:0xf bank_mask:0xf
	v_mov_b32_dpp v8, v6 row_bcast:31 row_mask:0xf bank_mask:0xf
	v_add_u32_e32 v7, v5, v7
	v_add_u32_e32 v8, v6, v8
	s_and_saveexec_b64 s[6:7], s[4:5]
; %bb.143:
	v_cndmask_b32_e32 v9, v6, v8, vcc
	v_cndmask_b32_e32 v10, v5, v7, vcc
	v_lshlrev_b32_e32 v11, 3, v69
	ds_write_b64 v11, v[9:10]
; %bb.144:
	s_or_b64 exec, exec, s[6:7]
	v_cmp_gt_u32_e64 s[4:5], 4, v0
	s_waitcnt lgkmcnt(0)
	s_barrier
	s_and_saveexec_b64 s[6:7], s[4:5]
	s_cbranch_execz .LBB1496_146
; %bb.145:
	v_lshlrev_b32_e32 v11, 3, v0
	ds_read_b64 v[9:10], v11
	v_and_b32_e32 v12, 3, v68
	v_cmp_eq_u32_e64 s[4:5], 0, v12
	s_waitcnt lgkmcnt(0)
	v_mov_b32_dpp v25, v9 row_shr:1 row_mask:0xf bank_mask:0xf
	v_mov_b32_dpp v26, v10 row_shr:1 row_mask:0xf bank_mask:0xf
	v_add_u32_e32 v25, v25, v9
	v_add_u32_e32 v26, v26, v10
	v_cndmask_b32_e64 v10, v26, v10, s[4:5]
	v_cndmask_b32_e64 v9, v25, v9, s[4:5]
	v_cmp_lt_u32_e64 s[4:5], 1, v12
	v_mov_b32_dpp v26, v10 row_shr:2 row_mask:0xf bank_mask:0xf
	v_mov_b32_dpp v25, v9 row_shr:2 row_mask:0xf bank_mask:0xf
	v_cndmask_b32_e64 v12, 0, v25, s[4:5]
	v_cndmask_b32_e64 v25, 0, v26, s[4:5]
	v_add_u32_e32 v10, v25, v10
	v_add_u32_e32 v9, v12, v9
	ds_write_b64 v11, v[9:10]
.LBB1496_146:
	s_or_b64 exec, exec, s[6:7]
	v_cmp_lt_u32_e64 s[4:5], 63, v0
	v_mov_b32_e32 v11, 0
	v_mov_b32_e32 v9, 0
	;; [unrolled: 1-line block ×3, first 2 shown]
	s_waitcnt lgkmcnt(0)
	s_barrier
	s_and_saveexec_b64 s[6:7], s[4:5]
; %bb.147:
	v_lshl_add_u32 v9, v69, 3, -8
	ds_read_b64 v[9:10], v9
; %bb.148:
	s_or_b64 exec, exec, s[6:7]
	v_cndmask_b32_e32 v6, v6, v8, vcc
	v_cndmask_b32_e32 v5, v5, v7, vcc
	v_subrev_co_u32_e32 v7, vcc, 1, v68
	v_and_b32_e32 v8, 64, v68
	v_cmp_lt_i32_e64 s[4:5], v7, v8
	v_cndmask_b32_e64 v7, v7, v68, s[4:5]
	s_waitcnt lgkmcnt(0)
	v_add_u32_e32 v5, v10, v5
	v_add_u32_e32 v6, v9, v6
	v_lshlrev_b32_e32 v7, 2, v7
	ds_bpermute_b32 v12, v7, v6
	ds_bpermute_b32 v25, v7, v5
	ds_read_b64 v[5:6], v11 offset:24
	s_and_saveexec_b64 s[4:5], s[0:1]
	s_cbranch_execz .LBB1496_150
; %bb.149:
	s_add_u32 s6, s54, 0x400
	s_addc_u32 s7, s55, 0
	v_mov_b32_e32 v27, s7
	v_mov_b32_e32 v7, 2
	;; [unrolled: 1-line block ×4, first 2 shown]
	s_waitcnt lgkmcnt(0)
	;;#ASMSTART
	global_store_dwordx4 v[26:27], v[5:8] off	
s_waitcnt vmcnt(0)
	;;#ASMEND
.LBB1496_150:
	s_or_b64 exec, exec, s[4:5]
	s_waitcnt lgkmcnt(2)
	v_cndmask_b32_e32 v7, v12, v9, vcc
	s_waitcnt lgkmcnt(1)
	v_cndmask_b32_e32 v8, v25, v10, vcc
	v_cndmask_b32_e64 v12, v8, 0, s[0:1]
	v_cndmask_b32_e64 v25, v7, 0, s[0:1]
	v_mov_b32_e32 v8, 0
	v_mov_b32_e32 v7, 0
	s_waitcnt lgkmcnt(0)
	s_barrier
.LBB1496_151:
	s_waitcnt lgkmcnt(0)
	v_add_co_u32_e32 v1, vcc, v1, v7
	v_addc_co_u32_e32 v2, vcc, 0, v2, vcc
	v_sub_co_u32_e32 v29, vcc, v3, v5
	v_add_u32_e32 v32, v12, v54
	v_subbrev_co_u32_e32 v30, vcc, 0, v4, vcc
	v_lshlrev_b32_e32 v72, 1, v5
	v_sub_u32_e32 v12, v12, v8
	v_lshrrev_b32_e32 v28, 8, v42
	v_add_u32_e32 v31, v25, v53
	v_add_co_u32_e32 v29, vcc, v29, v8
	v_add_u32_e32 v73, v72, v6
	v_sub_u32_e32 v25, v25, v7
	v_add_u32_e32 v12, v12, v5
	v_addc_co_u32_e32 v30, vcc, 0, v30, vcc
	v_add_u32_e32 v35, v73, v35
	v_and_b32_e32 v28, 1, v28
	v_add_u32_e32 v74, v25, v12
	v_and_b32_e32 v73, 1, v36
	v_sub_u32_e32 v74, v35, v74
	v_cmp_eq_u32_e32 vcc, 1, v28
	v_cndmask_b32_e32 v12, v74, v12, vcc
	v_cmp_eq_u32_e32 vcc, 1, v73
	v_cndmask_b32_e32 v12, v12, v25, vcc
	v_lshlrev_b32_e32 v12, 2, v12
	v_sub_u32_e32 v25, v32, v8
	v_lshrrev_b32_e32 v27, 8, v36
	ds_write_b32 v12, v23
	v_sub_u32_e32 v12, v31, v7
	v_add_u32_e32 v25, v25, v5
	v_add_u32_e32 v50, v31, v50
	v_and_b32_e32 v23, 1, v27
	v_mov_b32_e32 v27, 1
	v_add_u32_e32 v31, v25, v12
	v_and_b32_sdwa v28, v27, v42 dst_sel:DWORD dst_unused:UNUSED_PAD src0_sel:DWORD src1_sel:WORD_1
	v_sub_u32_e32 v31, v35, v31
	v_add_u32_e32 v31, 1, v31
	v_cmp_eq_u32_e32 vcc, 1, v28
	v_cndmask_b32_e32 v25, v31, v25, vcc
	v_cmp_eq_u32_e32 vcc, 1, v23
	v_cndmask_b32_e32 v12, v25, v12, vcc
	v_add_u32_e32 v53, v32, v62
	v_lshlrev_b32_e32 v12, 2, v12
	ds_write_b32 v12, v24
	v_sub_u32_e32 v24, v53, v8
	v_sub_u32_e32 v12, v50, v7
	v_add_u32_e32 v24, v24, v5
	v_add_u32_e32 v28, v24, v12
	v_and_b32_e32 v25, 1, v49
	v_sub_u32_e32 v28, v35, v28
	v_and_b32_sdwa v23, v27, v36 dst_sel:DWORD dst_unused:UNUSED_PAD src0_sel:DWORD src1_sel:WORD_1
	v_add_u32_e32 v28, 2, v28
	v_cmp_eq_u32_e32 vcc, 1, v25
	v_cndmask_b32_e32 v24, v28, v24, vcc
	v_cmp_eq_u32_e32 vcc, 1, v23
	v_add_u32_e32 v54, v50, v55
	v_add_u32_e32 v55, v53, v49
	v_cndmask_b32_e32 v12, v24, v12, vcc
	v_lshlrev_b32_e32 v12, 2, v12
	v_sub_u32_e32 v23, v55, v8
	ds_write_b32 v12, v21
	v_sub_u32_e32 v12, v54, v7
	v_add_u32_e32 v23, v23, v5
	v_add_u32_e32 v25, v12, v23
	v_and_b32_e32 v24, 1, v37
	v_sub_u32_e32 v25, v35, v25
	v_and_b32_e32 v21, 1, v48
	v_add_u32_e32 v25, 3, v25
	v_cmp_eq_u32_e32 vcc, 1, v24
	v_cndmask_b32_e32 v23, v25, v23, vcc
	v_cmp_eq_u32_e32 vcc, 1, v21
	v_cndmask_b32_e32 v12, v23, v12, vcc
	v_add_u32_e32 v62, v55, v63
	v_lshlrev_b32_e32 v12, 2, v12
	v_add_u32_e32 v63, v54, v48
	ds_write_b32 v12, v22
	v_sub_u32_e32 v22, v62, v8
	v_sub_u32_e32 v12, v63, v7
	v_add_u32_e32 v22, v22, v5
	v_lshrrev_b32_e32 v26, 8, v37
	v_add_u32_e32 v24, v12, v22
	v_and_b32_e32 v23, 1, v26
	v_sub_u32_e32 v24, v35, v24
	v_and_b32_e32 v21, 1, v38
	v_add_u32_e32 v24, 4, v24
	v_cmp_eq_u32_e32 vcc, 1, v23
	v_cndmask_b32_e32 v22, v24, v22, vcc
	v_cmp_eq_u32_e32 vcc, 1, v21
	v_cndmask_b32_e32 v12, v22, v12, vcc
	v_add_u32_e32 v57, v62, v57
	v_lshlrev_b32_e32 v12, 2, v12
	v_add_u32_e32 v56, v63, v56
	ds_write_b32 v12, v19
	v_sub_u32_e32 v19, v57, v8
	v_sub_u32_e32 v12, v56, v7
	v_add_u32_e32 v19, v19, v5
	v_add_u32_e32 v22, v12, v19
	v_lshrrev_b32_e32 v11, 8, v38
	v_and_b32_sdwa v21, v27, v37 dst_sel:DWORD dst_unused:UNUSED_PAD src0_sel:DWORD src1_sel:WORD_1
	v_sub_u32_e32 v22, v35, v22
	v_and_b32_e32 v11, 1, v11
	v_add_u32_e32 v22, 5, v22
	v_cmp_eq_u32_e32 vcc, 1, v21
	v_cndmask_b32_e32 v19, v22, v19, vcc
	v_cmp_eq_u32_e32 vcc, 1, v11
	v_add_u32_e32 v64, v57, v64
	v_cndmask_b32_e32 v11, v19, v12, vcc
	v_add_u32_e32 v51, v56, v51
	v_lshlrev_b32_e32 v11, 2, v11
	v_sub_u32_e32 v19, v64, v8
	ds_write_b32 v11, v20
	v_sub_u32_e32 v11, v51, v7
	v_add_u32_e32 v19, v19, v5
	v_add_u32_e32 v21, v11, v19
	v_and_b32_e32 v20, 1, v47
	v_sub_u32_e32 v21, v35, v21
	v_and_b32_sdwa v12, v27, v38 dst_sel:DWORD dst_unused:UNUSED_PAD src0_sel:DWORD src1_sel:WORD_1
	v_add_u32_e32 v21, 6, v21
	v_cmp_eq_u32_e32 vcc, 1, v20
	v_cndmask_b32_e32 v19, v21, v19, vcc
	v_cmp_eq_u32_e32 vcc, 1, v12
	v_cndmask_b32_e32 v11, v19, v11, vcc
	v_add_u32_e32 v68, v64, v47
	v_lshlrev_b32_e32 v11, 2, v11
	v_add_u32_e32 v58, v51, v58
	ds_write_b32 v11, v17
	v_sub_u32_e32 v17, v68, v8
	v_sub_u32_e32 v11, v58, v7
	v_add_u32_e32 v17, v17, v5
	v_add_u32_e32 v20, v11, v17
	v_and_b32_e32 v19, 1, v39
	v_sub_u32_e32 v20, v35, v20
	v_and_b32_e32 v12, 1, v46
	v_add_u32_e32 v20, 7, v20
	v_cmp_eq_u32_e32 vcc, 1, v19
	v_cndmask_b32_e32 v17, v20, v17, vcc
	v_cmp_eq_u32_e32 vcc, 1, v12
	v_add_u32_e32 v65, v68, v65
	v_cndmask_b32_e32 v11, v17, v11, vcc
	v_add_u32_e32 v69, v58, v46
	v_lshlrev_b32_e32 v11, 2, v11
	v_sub_u32_e32 v17, v65, v8
	ds_write_b32 v11, v18
	v_sub_u32_e32 v11, v69, v7
	v_add_u32_e32 v17, v17, v5
	v_lshrrev_b32_e32 v10, 8, v39
	v_add_u32_e32 v18, v11, v17
	v_and_b32_e32 v10, 1, v10
	v_sub_u32_e32 v18, v35, v18
	v_and_b32_e32 v12, 1, v41
	v_add_u32_e32 v18, 8, v18
	v_cmp_eq_u32_e32 vcc, 1, v10
	v_cndmask_b32_e32 v10, v18, v17, vcc
	v_cmp_eq_u32_e32 vcc, 1, v12
	v_add_u32_e32 v60, v65, v60
	v_cndmask_b32_e32 v10, v10, v11, vcc
	v_add_u32_e32 v59, v69, v59
	v_lshlrev_b32_e32 v10, 2, v10
	v_sub_u32_e32 v11, v60, v8
	ds_write_b32 v10, v15
	v_sub_u32_e32 v10, v59, v7
	v_add_u32_e32 v11, v11, v5
	v_add_u32_e32 v15, v10, v11
	v_lshrrev_b32_e32 v9, 8, v41
	v_and_b32_sdwa v12, v27, v39 dst_sel:DWORD dst_unused:UNUSED_PAD src0_sel:DWORD src1_sel:WORD_1
	v_sub_u32_e32 v15, v35, v15
	v_and_b32_e32 v9, 1, v9
	v_add_u32_e32 v15, 9, v15
	v_cmp_eq_u32_e32 vcc, 1, v12
	v_cndmask_b32_e32 v11, v15, v11, vcc
	v_cmp_eq_u32_e32 vcc, 1, v9
	v_add_u32_e32 v66, v60, v66
	v_cndmask_b32_e32 v9, v11, v10, vcc
	v_add_u32_e32 v52, v59, v52
	v_lshlrev_b32_e32 v9, 2, v9
	v_sub_u32_e32 v11, v66, v8
	ds_write_b32 v9, v16
	v_sub_u32_e32 v9, v52, v7
	v_add_u32_e32 v11, v11, v5
	v_add_u32_e32 v15, v9, v11
	v_and_b32_e32 v12, 1, v45
	v_sub_u32_e32 v15, v35, v15
	v_and_b32_sdwa v10, v27, v41 dst_sel:DWORD dst_unused:UNUSED_PAD src0_sel:DWORD src1_sel:WORD_1
	v_add_u32_e32 v15, 10, v15
	v_cmp_eq_u32_e32 vcc, 1, v12
	v_cndmask_b32_e32 v11, v15, v11, vcc
	v_cmp_eq_u32_e32 vcc, 1, v10
	v_add_u32_e32 v70, v66, v45
	v_cndmask_b32_e32 v9, v11, v9, vcc
	v_add_u32_e32 v61, v52, v61
	v_lshlrev_b32_e32 v9, 2, v9
	v_sub_u32_e32 v11, v70, v8
	ds_write_b32 v9, v13
	v_sub_u32_e32 v9, v61, v7
	v_add_u32_e32 v11, v11, v5
	v_add_u32_e32 v13, v9, v11
	v_and_b32_e32 v12, 1, v40
	v_sub_u32_e32 v13, v35, v13
	v_add_u32_e32 v67, v70, v67
	v_and_b32_e32 v10, 1, v44
	v_add_u32_e32 v13, 11, v13
	v_cmp_eq_u32_e32 vcc, 1, v12
	v_add_u32_e32 v71, v61, v44
	v_cndmask_b32_e32 v11, v13, v11, vcc
	v_cmp_eq_u32_e32 vcc, 1, v10
	v_sub_u32_e32 v10, v67, v8
	v_sub_u32_e32 v7, v71, v7
	v_add_u32_e32 v10, v10, v5
	v_cndmask_b32_e32 v9, v11, v9, vcc
	v_add_u32_e32 v12, v7, v10
	v_lshlrev_b32_e32 v9, 2, v9
	v_and_b32_e32 v11, 1, v43
	v_sub_u32_e32 v12, v35, v12
	ds_write_b32 v9, v14
	v_and_b32_e32 v9, 1, v42
	v_add_u32_e32 v12, 12, v12
	v_cmp_eq_u32_e32 vcc, 1, v11
	v_cndmask_b32_e32 v10, v12, v10, vcc
	v_cmp_eq_u32_e32 vcc, 1, v9
	v_cndmask_b32_e32 v7, v10, v7, vcc
	v_lshlrev_b32_e32 v7, 2, v7
	ds_write_b32 v7, v34
	v_mov_b32_e32 v7, s53
	v_add_co_u32_e32 v9, vcc, s52, v33
	v_addc_co_u32_e32 v10, vcc, 0, v7, vcc
	v_add_co_u32_e32 v7, vcc, v6, v72
	v_addc_co_u32_e64 v11, s[4:5], 0, 0, vcc
	v_add_co_u32_e32 v7, vcc, v7, v29
	v_addc_co_u32_e32 v11, vcc, v11, v30, vcc
	v_add_co_u32_e32 v7, vcc, v7, v1
	v_addc_co_u32_e32 v11, vcc, v11, v2, vcc
	v_sub_co_u32_e32 v7, vcc, v9, v7
	v_subb_co_u32_e32 v13, vcc, v10, v11, vcc
	v_lshlrev_b64 v[9:10], 2, v[29:30]
	v_mov_b32_e32 v11, s51
	v_add_co_u32_e32 v9, vcc, s50, v9
	v_addc_co_u32_e32 v10, vcc, v11, v10, vcc
	v_lshlrev_b64 v[11:12], 2, v[1:2]
	v_mov_b32_e32 v15, s49
	v_add_co_u32_e32 v11, vcc, s48, v11
	v_addc_co_u32_e32 v12, vcc, v15, v12, vcc
	v_add_u32_e32 v14, v5, v6
	s_and_b64 vcc, exec, s[2:3]
	s_mov_b64 s[2:3], -1
	s_waitcnt lgkmcnt(0)
	s_barrier
	s_cbranch_vccz .LBB1496_155
; %bb.152:
	s_and_b64 vcc, exec, s[2:3]
	s_cbranch_vccnz .LBB1496_260
.LBB1496_153:
	s_and_b64 s[0:1], s[0:1], s[34:35]
	s_and_saveexec_b64 s[2:3], s[0:1]
	s_cbranch_execnz .LBB1496_378
.LBB1496_154:
	s_endpgm
.LBB1496_155:
	v_cmp_ge_u32_e32 vcc, v0, v5
	s_and_saveexec_b64 s[2:3], vcc
	s_xor_b64 s[2:3], exec, s[2:3]
	s_cbranch_execz .LBB1496_161
; %bb.156:
	v_cmp_ge_u32_e32 vcc, v0, v14
	s_and_saveexec_b64 s[4:5], vcc
	s_xor_b64 s[4:5], exec, s[4:5]
	s_cbranch_execz .LBB1496_158
; %bb.157:
	v_add_co_u32_e32 v15, vcc, v7, v0
	v_lshlrev_b32_e32 v17, 2, v0
	v_addc_co_u32_e32 v16, vcc, 0, v13, vcc
	ds_read_b32 v17, v17
	v_lshlrev_b64 v[15:16], 2, v[15:16]
	v_mov_b32_e32 v18, s31
	v_sub_co_u32_e32 v15, vcc, s30, v15
	v_subb_co_u32_e32 v16, vcc, v18, v16, vcc
	s_waitcnt lgkmcnt(0)
	global_store_dword v[15:16], v17, off offset:-4
.LBB1496_158:
	s_andn2_saveexec_b64 s[4:5], s[4:5]
	s_cbranch_execz .LBB1496_160
; %bb.159:
	v_lshlrev_b32_e32 v15, 2, v0
	ds_read_b32 v16, v15
	v_readfirstlane_b32 s6, v9
	v_readfirstlane_b32 s7, v10
	s_waitcnt lgkmcnt(0)
	s_nop 3
	global_store_dword v15, v16, s[6:7]
.LBB1496_160:
	s_or_b64 exec, exec, s[4:5]
.LBB1496_161:
	s_andn2_saveexec_b64 s[2:3], s[2:3]
	s_cbranch_execz .LBB1496_163
; %bb.162:
	v_lshlrev_b32_e32 v15, 2, v0
	ds_read_b32 v16, v15
	v_readfirstlane_b32 s4, v11
	v_readfirstlane_b32 s5, v12
	s_waitcnt lgkmcnt(0)
	s_nop 3
	global_store_dword v15, v16, s[4:5]
.LBB1496_163:
	s_or_b64 exec, exec, s[2:3]
	v_or_b32_e32 v15, 0x100, v0
	v_cmp_ge_u32_e32 vcc, v15, v5
	s_and_saveexec_b64 s[2:3], vcc
	s_xor_b64 s[2:3], exec, s[2:3]
	s_cbranch_execz .LBB1496_169
; %bb.164:
	v_cmp_ge_u32_e32 vcc, v15, v14
	s_and_saveexec_b64 s[4:5], vcc
	s_xor_b64 s[4:5], exec, s[4:5]
	s_cbranch_execz .LBB1496_166
; %bb.165:
	v_lshlrev_b32_e32 v15, 2, v0
	ds_read_b32 v17, v15 offset:1024
	v_add_co_u32_e32 v15, vcc, v7, v0
	v_addc_co_u32_e32 v16, vcc, 0, v13, vcc
	v_lshlrev_b64 v[15:16], 2, v[15:16]
	v_mov_b32_e32 v18, s31
	v_sub_co_u32_e32 v15, vcc, s30, v15
	v_subb_co_u32_e32 v16, vcc, v18, v16, vcc
	s_waitcnt lgkmcnt(0)
	global_store_dword v[15:16], v17, off offset:-1028
.LBB1496_166:
	s_andn2_saveexec_b64 s[4:5], s[4:5]
	s_cbranch_execz .LBB1496_168
; %bb.167:
	v_lshlrev_b32_e32 v15, 2, v0
	ds_read_b32 v16, v15 offset:1024
	v_readfirstlane_b32 s6, v9
	v_readfirstlane_b32 s7, v10
	s_waitcnt lgkmcnt(0)
	s_nop 3
	global_store_dword v15, v16, s[6:7] offset:1024
.LBB1496_168:
	s_or_b64 exec, exec, s[4:5]
.LBB1496_169:
	s_andn2_saveexec_b64 s[2:3], s[2:3]
	s_cbranch_execz .LBB1496_171
; %bb.170:
	v_lshlrev_b32_e32 v15, 2, v0
	ds_read_b32 v16, v15 offset:1024
	v_readfirstlane_b32 s4, v11
	v_readfirstlane_b32 s5, v12
	s_waitcnt lgkmcnt(0)
	s_nop 3
	global_store_dword v15, v16, s[4:5] offset:1024
.LBB1496_171:
	s_or_b64 exec, exec, s[2:3]
	v_or_b32_e32 v15, 0x200, v0
	v_cmp_ge_u32_e32 vcc, v15, v5
	s_and_saveexec_b64 s[2:3], vcc
	s_xor_b64 s[2:3], exec, s[2:3]
	s_cbranch_execz .LBB1496_177
; %bb.172:
	v_cmp_ge_u32_e32 vcc, v15, v14
	s_and_saveexec_b64 s[4:5], vcc
	s_xor_b64 s[4:5], exec, s[4:5]
	s_cbranch_execz .LBB1496_174
; %bb.173:
	v_lshlrev_b32_e32 v15, 2, v0
	ds_read_b32 v17, v15 offset:2048
	v_add_co_u32_e32 v15, vcc, v7, v0
	v_addc_co_u32_e32 v16, vcc, 0, v13, vcc
	v_lshlrev_b64 v[15:16], 2, v[15:16]
	v_mov_b32_e32 v18, s31
	v_sub_co_u32_e32 v15, vcc, s30, v15
	v_subb_co_u32_e32 v16, vcc, v18, v16, vcc
	s_waitcnt lgkmcnt(0)
	global_store_dword v[15:16], v17, off offset:-2052
.LBB1496_174:
	s_andn2_saveexec_b64 s[4:5], s[4:5]
	s_cbranch_execz .LBB1496_176
; %bb.175:
	v_lshlrev_b32_e32 v15, 2, v0
	ds_read_b32 v16, v15 offset:2048
	v_readfirstlane_b32 s6, v9
	v_readfirstlane_b32 s7, v10
	s_waitcnt lgkmcnt(0)
	s_nop 3
	global_store_dword v15, v16, s[6:7] offset:2048
.LBB1496_176:
	s_or_b64 exec, exec, s[4:5]
.LBB1496_177:
	s_andn2_saveexec_b64 s[2:3], s[2:3]
	s_cbranch_execz .LBB1496_179
; %bb.178:
	v_lshlrev_b32_e32 v15, 2, v0
	ds_read_b32 v16, v15 offset:2048
	v_readfirstlane_b32 s4, v11
	v_readfirstlane_b32 s5, v12
	s_waitcnt lgkmcnt(0)
	s_nop 3
	global_store_dword v15, v16, s[4:5] offset:2048
.LBB1496_179:
	;; [unrolled: 47-line block ×3, first 2 shown]
	s_or_b64 exec, exec, s[2:3]
	v_or_b32_e32 v15, 0x400, v0
	v_cmp_ge_u32_e32 vcc, v15, v5
	s_and_saveexec_b64 s[2:3], vcc
	s_xor_b64 s[2:3], exec, s[2:3]
	s_cbranch_execz .LBB1496_193
; %bb.188:
	v_cmp_ge_u32_e32 vcc, v15, v14
	s_and_saveexec_b64 s[4:5], vcc
	s_xor_b64 s[4:5], exec, s[4:5]
	s_cbranch_execz .LBB1496_190
; %bb.189:
	v_lshlrev_b32_e32 v15, 2, v0
	ds_read_b32 v17, v15 offset:4096
	v_add_co_u32_e32 v15, vcc, v7, v0
	v_addc_co_u32_e32 v16, vcc, 0, v13, vcc
	v_lshlrev_b64 v[15:16], 2, v[15:16]
	v_mov_b32_e32 v18, s31
	v_sub_co_u32_e32 v15, vcc, s30, v15
	v_subb_co_u32_e32 v16, vcc, v18, v16, vcc
	v_add_co_u32_e32 v15, vcc, 0xfffff000, v15
	v_addc_co_u32_e32 v16, vcc, -1, v16, vcc
	s_waitcnt lgkmcnt(0)
	global_store_dword v[15:16], v17, off offset:-4
                                        ; implicit-def: $vgpr15
.LBB1496_190:
	s_andn2_saveexec_b64 s[4:5], s[4:5]
	s_cbranch_execz .LBB1496_192
; %bb.191:
	v_lshlrev_b32_e32 v16, 2, v0
	ds_read_b32 v16, v16 offset:4096
	v_lshlrev_b32_e32 v15, 2, v15
	v_readfirstlane_b32 s6, v9
	v_readfirstlane_b32 s7, v10
	s_waitcnt lgkmcnt(0)
	s_nop 3
	global_store_dword v15, v16, s[6:7]
.LBB1496_192:
	s_or_b64 exec, exec, s[4:5]
                                        ; implicit-def: $vgpr15
.LBB1496_193:
	s_andn2_saveexec_b64 s[2:3], s[2:3]
	s_cbranch_execz .LBB1496_195
; %bb.194:
	v_lshlrev_b32_e32 v16, 2, v0
	ds_read_b32 v16, v16 offset:4096
	v_lshlrev_b32_e32 v15, 2, v15
	v_readfirstlane_b32 s4, v11
	v_readfirstlane_b32 s5, v12
	s_waitcnt lgkmcnt(0)
	s_nop 3
	global_store_dword v15, v16, s[4:5]
.LBB1496_195:
	s_or_b64 exec, exec, s[2:3]
	v_or_b32_e32 v15, 0x500, v0
	v_cmp_ge_u32_e32 vcc, v15, v5
	s_and_saveexec_b64 s[2:3], vcc
	s_xor_b64 s[2:3], exec, s[2:3]
	s_cbranch_execz .LBB1496_201
; %bb.196:
	v_cmp_ge_u32_e32 vcc, v15, v14
	s_and_saveexec_b64 s[4:5], vcc
	s_xor_b64 s[4:5], exec, s[4:5]
	s_cbranch_execz .LBB1496_198
; %bb.197:
	v_add_co_u32_e32 v15, vcc, v7, v15
	v_lshlrev_b32_e32 v17, 2, v0
	v_addc_co_u32_e32 v16, vcc, 0, v13, vcc
	ds_read_b32 v17, v17 offset:5120
	v_lshlrev_b64 v[15:16], 2, v[15:16]
	v_mov_b32_e32 v18, s31
	v_sub_co_u32_e32 v15, vcc, s30, v15
	v_subb_co_u32_e32 v16, vcc, v18, v16, vcc
	s_waitcnt lgkmcnt(0)
	global_store_dword v[15:16], v17, off offset:-4
                                        ; implicit-def: $vgpr15
.LBB1496_198:
	s_andn2_saveexec_b64 s[4:5], s[4:5]
	s_cbranch_execz .LBB1496_200
; %bb.199:
	v_lshlrev_b32_e32 v16, 2, v0
	ds_read_b32 v16, v16 offset:5120
	v_lshlrev_b32_e32 v15, 2, v15
	v_readfirstlane_b32 s6, v9
	v_readfirstlane_b32 s7, v10
	s_waitcnt lgkmcnt(0)
	s_nop 3
	global_store_dword v15, v16, s[6:7]
.LBB1496_200:
	s_or_b64 exec, exec, s[4:5]
                                        ; implicit-def: $vgpr15
.LBB1496_201:
	s_andn2_saveexec_b64 s[2:3], s[2:3]
	s_cbranch_execz .LBB1496_203
; %bb.202:
	v_lshlrev_b32_e32 v16, 2, v0
	ds_read_b32 v16, v16 offset:5120
	v_lshlrev_b32_e32 v15, 2, v15
	v_readfirstlane_b32 s4, v11
	v_readfirstlane_b32 s5, v12
	s_waitcnt lgkmcnt(0)
	s_nop 3
	global_store_dword v15, v16, s[4:5]
.LBB1496_203:
	s_or_b64 exec, exec, s[2:3]
	v_or_b32_e32 v15, 0x600, v0
	v_cmp_ge_u32_e32 vcc, v15, v5
	s_and_saveexec_b64 s[2:3], vcc
	s_xor_b64 s[2:3], exec, s[2:3]
	s_cbranch_execz .LBB1496_209
; %bb.204:
	v_cmp_ge_u32_e32 vcc, v15, v14
	s_and_saveexec_b64 s[4:5], vcc
	s_xor_b64 s[4:5], exec, s[4:5]
	s_cbranch_execz .LBB1496_206
; %bb.205:
	v_add_co_u32_e32 v15, vcc, v7, v15
	v_lshlrev_b32_e32 v17, 2, v0
	v_addc_co_u32_e32 v16, vcc, 0, v13, vcc
	ds_read_b32 v17, v17 offset:6144
	v_lshlrev_b64 v[15:16], 2, v[15:16]
	v_mov_b32_e32 v18, s31
	v_sub_co_u32_e32 v15, vcc, s30, v15
	v_subb_co_u32_e32 v16, vcc, v18, v16, vcc
	s_waitcnt lgkmcnt(0)
	global_store_dword v[15:16], v17, off offset:-4
                                        ; implicit-def: $vgpr15
.LBB1496_206:
	s_andn2_saveexec_b64 s[4:5], s[4:5]
	s_cbranch_execz .LBB1496_208
; %bb.207:
	v_lshlrev_b32_e32 v16, 2, v0
	ds_read_b32 v16, v16 offset:6144
	v_lshlrev_b32_e32 v15, 2, v15
	v_readfirstlane_b32 s6, v9
	v_readfirstlane_b32 s7, v10
	s_waitcnt lgkmcnt(0)
	s_nop 3
	global_store_dword v15, v16, s[6:7]
.LBB1496_208:
	s_or_b64 exec, exec, s[4:5]
                                        ; implicit-def: $vgpr15
.LBB1496_209:
	;; [unrolled: 51-line block ×8, first 2 shown]
	s_andn2_saveexec_b64 s[2:3], s[2:3]
	s_cbranch_execz .LBB1496_259
; %bb.258:
	v_lshlrev_b32_e32 v16, 2, v0
	ds_read_b32 v16, v16 offset:12288
	v_lshlrev_b32_e32 v15, 2, v15
	v_readfirstlane_b32 s4, v11
	v_readfirstlane_b32 s5, v12
	s_waitcnt lgkmcnt(0)
	s_nop 3
	global_store_dword v15, v16, s[4:5]
.LBB1496_259:
	s_or_b64 exec, exec, s[2:3]
	s_branch .LBB1496_153
.LBB1496_260:
	v_cmp_gt_u32_e32 vcc, s16, v0
	s_and_saveexec_b64 s[2:3], vcc
	s_cbranch_execz .LBB1496_269
; %bb.261:
	v_cmp_ge_u32_e32 vcc, v0, v5
	s_and_saveexec_b64 s[4:5], vcc
	s_xor_b64 s[4:5], exec, s[4:5]
	s_cbranch_execz .LBB1496_267
; %bb.262:
	v_cmp_ge_u32_e32 vcc, v0, v14
	s_and_saveexec_b64 s[6:7], vcc
	s_xor_b64 s[6:7], exec, s[6:7]
	s_cbranch_execz .LBB1496_264
; %bb.263:
	v_add_co_u32_e32 v15, vcc, v7, v0
	v_lshlrev_b32_e32 v17, 2, v0
	v_addc_co_u32_e32 v16, vcc, 0, v13, vcc
	ds_read_b32 v17, v17
	v_lshlrev_b64 v[15:16], 2, v[15:16]
	v_mov_b32_e32 v18, s31
	v_sub_co_u32_e32 v15, vcc, s30, v15
	v_subb_co_u32_e32 v16, vcc, v18, v16, vcc
	s_waitcnt lgkmcnt(0)
	global_store_dword v[15:16], v17, off offset:-4
.LBB1496_264:
	s_andn2_saveexec_b64 s[6:7], s[6:7]
	s_cbranch_execz .LBB1496_266
; %bb.265:
	v_lshlrev_b32_e32 v15, 2, v0
	ds_read_b32 v16, v15
	v_readfirstlane_b32 s8, v9
	v_readfirstlane_b32 s9, v10
	s_waitcnt lgkmcnt(0)
	s_nop 3
	global_store_dword v15, v16, s[8:9]
.LBB1496_266:
	s_or_b64 exec, exec, s[6:7]
.LBB1496_267:
	s_andn2_saveexec_b64 s[4:5], s[4:5]
	s_cbranch_execz .LBB1496_269
; %bb.268:
	v_lshlrev_b32_e32 v15, 2, v0
	ds_read_b32 v16, v15
	v_readfirstlane_b32 s4, v11
	v_readfirstlane_b32 s5, v12
	s_waitcnt lgkmcnt(0)
	s_nop 3
	global_store_dword v15, v16, s[4:5]
.LBB1496_269:
	s_or_b64 exec, exec, s[2:3]
	v_or_b32_e32 v15, 0x100, v0
	v_cmp_gt_u32_e32 vcc, s16, v15
	s_and_saveexec_b64 s[2:3], vcc
	s_cbranch_execz .LBB1496_278
; %bb.270:
	v_cmp_ge_u32_e32 vcc, v15, v5
	s_and_saveexec_b64 s[4:5], vcc
	s_xor_b64 s[4:5], exec, s[4:5]
	s_cbranch_execz .LBB1496_276
; %bb.271:
	v_cmp_ge_u32_e32 vcc, v15, v14
	s_and_saveexec_b64 s[6:7], vcc
	s_xor_b64 s[6:7], exec, s[6:7]
	s_cbranch_execz .LBB1496_273
; %bb.272:
	v_lshlrev_b32_e32 v15, 2, v0
	ds_read_b32 v17, v15 offset:1024
	v_add_co_u32_e32 v15, vcc, v7, v0
	v_addc_co_u32_e32 v16, vcc, 0, v13, vcc
	v_lshlrev_b64 v[15:16], 2, v[15:16]
	v_mov_b32_e32 v18, s31
	v_sub_co_u32_e32 v15, vcc, s30, v15
	v_subb_co_u32_e32 v16, vcc, v18, v16, vcc
	s_waitcnt lgkmcnt(0)
	global_store_dword v[15:16], v17, off offset:-1028
.LBB1496_273:
	s_andn2_saveexec_b64 s[6:7], s[6:7]
	s_cbranch_execz .LBB1496_275
; %bb.274:
	v_lshlrev_b32_e32 v15, 2, v0
	ds_read_b32 v16, v15 offset:1024
	v_readfirstlane_b32 s8, v9
	v_readfirstlane_b32 s9, v10
	s_waitcnt lgkmcnt(0)
	s_nop 3
	global_store_dword v15, v16, s[8:9] offset:1024
.LBB1496_275:
	s_or_b64 exec, exec, s[6:7]
.LBB1496_276:
	s_andn2_saveexec_b64 s[4:5], s[4:5]
	s_cbranch_execz .LBB1496_278
; %bb.277:
	v_lshlrev_b32_e32 v15, 2, v0
	ds_read_b32 v16, v15 offset:1024
	v_readfirstlane_b32 s4, v11
	v_readfirstlane_b32 s5, v12
	s_waitcnt lgkmcnt(0)
	s_nop 3
	global_store_dword v15, v16, s[4:5] offset:1024
.LBB1496_278:
	s_or_b64 exec, exec, s[2:3]
	v_or_b32_e32 v15, 0x200, v0
	v_cmp_gt_u32_e32 vcc, s16, v15
	s_and_saveexec_b64 s[2:3], vcc
	s_cbranch_execz .LBB1496_287
; %bb.279:
	v_cmp_ge_u32_e32 vcc, v15, v5
	s_and_saveexec_b64 s[4:5], vcc
	s_xor_b64 s[4:5], exec, s[4:5]
	s_cbranch_execz .LBB1496_285
; %bb.280:
	v_cmp_ge_u32_e32 vcc, v15, v14
	s_and_saveexec_b64 s[6:7], vcc
	s_xor_b64 s[6:7], exec, s[6:7]
	s_cbranch_execz .LBB1496_282
; %bb.281:
	v_lshlrev_b32_e32 v15, 2, v0
	ds_read_b32 v17, v15 offset:2048
	v_add_co_u32_e32 v15, vcc, v7, v0
	v_addc_co_u32_e32 v16, vcc, 0, v13, vcc
	v_lshlrev_b64 v[15:16], 2, v[15:16]
	v_mov_b32_e32 v18, s31
	v_sub_co_u32_e32 v15, vcc, s30, v15
	v_subb_co_u32_e32 v16, vcc, v18, v16, vcc
	s_waitcnt lgkmcnt(0)
	global_store_dword v[15:16], v17, off offset:-2052
.LBB1496_282:
	s_andn2_saveexec_b64 s[6:7], s[6:7]
	s_cbranch_execz .LBB1496_284
; %bb.283:
	v_lshlrev_b32_e32 v15, 2, v0
	ds_read_b32 v16, v15 offset:2048
	v_readfirstlane_b32 s8, v9
	v_readfirstlane_b32 s9, v10
	s_waitcnt lgkmcnt(0)
	s_nop 3
	global_store_dword v15, v16, s[8:9] offset:2048
.LBB1496_284:
	s_or_b64 exec, exec, s[6:7]
.LBB1496_285:
	s_andn2_saveexec_b64 s[4:5], s[4:5]
	s_cbranch_execz .LBB1496_287
; %bb.286:
	v_lshlrev_b32_e32 v15, 2, v0
	ds_read_b32 v16, v15 offset:2048
	v_readfirstlane_b32 s4, v11
	v_readfirstlane_b32 s5, v12
	s_waitcnt lgkmcnt(0)
	s_nop 3
	global_store_dword v15, v16, s[4:5] offset:2048
.LBB1496_287:
	;; [unrolled: 51-line block ×3, first 2 shown]
	s_or_b64 exec, exec, s[2:3]
	v_or_b32_e32 v15, 0x400, v0
	v_cmp_gt_u32_e32 vcc, s16, v15
	s_and_saveexec_b64 s[2:3], vcc
	s_cbranch_execz .LBB1496_305
; %bb.297:
	v_cmp_ge_u32_e32 vcc, v15, v5
	s_and_saveexec_b64 s[4:5], vcc
	s_xor_b64 s[4:5], exec, s[4:5]
	s_cbranch_execz .LBB1496_303
; %bb.298:
	v_cmp_ge_u32_e32 vcc, v15, v14
	s_and_saveexec_b64 s[6:7], vcc
	s_xor_b64 s[6:7], exec, s[6:7]
	s_cbranch_execz .LBB1496_300
; %bb.299:
	v_lshlrev_b32_e32 v15, 2, v0
	ds_read_b32 v17, v15 offset:4096
	v_add_co_u32_e32 v15, vcc, v7, v0
	v_addc_co_u32_e32 v16, vcc, 0, v13, vcc
	v_lshlrev_b64 v[15:16], 2, v[15:16]
	v_mov_b32_e32 v18, s31
	v_sub_co_u32_e32 v15, vcc, s30, v15
	v_subb_co_u32_e32 v16, vcc, v18, v16, vcc
	v_add_co_u32_e32 v15, vcc, 0xfffff000, v15
	v_addc_co_u32_e32 v16, vcc, -1, v16, vcc
	s_waitcnt lgkmcnt(0)
	global_store_dword v[15:16], v17, off offset:-4
                                        ; implicit-def: $vgpr15
.LBB1496_300:
	s_andn2_saveexec_b64 s[6:7], s[6:7]
	s_cbranch_execz .LBB1496_302
; %bb.301:
	v_lshlrev_b32_e32 v16, 2, v0
	ds_read_b32 v16, v16 offset:4096
	v_lshlrev_b32_e32 v15, 2, v15
	v_readfirstlane_b32 s8, v9
	v_readfirstlane_b32 s9, v10
	s_waitcnt lgkmcnt(0)
	s_nop 3
	global_store_dword v15, v16, s[8:9]
.LBB1496_302:
	s_or_b64 exec, exec, s[6:7]
                                        ; implicit-def: $vgpr15
.LBB1496_303:
	s_andn2_saveexec_b64 s[4:5], s[4:5]
	s_cbranch_execz .LBB1496_305
; %bb.304:
	v_lshlrev_b32_e32 v16, 2, v0
	ds_read_b32 v16, v16 offset:4096
	v_lshlrev_b32_e32 v15, 2, v15
	v_readfirstlane_b32 s4, v11
	v_readfirstlane_b32 s5, v12
	s_waitcnt lgkmcnt(0)
	s_nop 3
	global_store_dword v15, v16, s[4:5]
.LBB1496_305:
	s_or_b64 exec, exec, s[2:3]
	v_or_b32_e32 v15, 0x500, v0
	v_cmp_gt_u32_e32 vcc, s16, v15
	s_and_saveexec_b64 s[2:3], vcc
	s_cbranch_execz .LBB1496_314
; %bb.306:
	v_cmp_ge_u32_e32 vcc, v15, v5
	s_and_saveexec_b64 s[4:5], vcc
	s_xor_b64 s[4:5], exec, s[4:5]
	s_cbranch_execz .LBB1496_312
; %bb.307:
	v_cmp_ge_u32_e32 vcc, v15, v14
	s_and_saveexec_b64 s[6:7], vcc
	s_xor_b64 s[6:7], exec, s[6:7]
	s_cbranch_execz .LBB1496_309
; %bb.308:
	v_add_co_u32_e32 v15, vcc, v7, v15
	v_lshlrev_b32_e32 v17, 2, v0
	v_addc_co_u32_e32 v16, vcc, 0, v13, vcc
	ds_read_b32 v17, v17 offset:5120
	v_lshlrev_b64 v[15:16], 2, v[15:16]
	v_mov_b32_e32 v18, s31
	v_sub_co_u32_e32 v15, vcc, s30, v15
	v_subb_co_u32_e32 v16, vcc, v18, v16, vcc
	s_waitcnt lgkmcnt(0)
	global_store_dword v[15:16], v17, off offset:-4
                                        ; implicit-def: $vgpr15
.LBB1496_309:
	s_andn2_saveexec_b64 s[6:7], s[6:7]
	s_cbranch_execz .LBB1496_311
; %bb.310:
	v_lshlrev_b32_e32 v16, 2, v0
	ds_read_b32 v16, v16 offset:5120
	v_lshlrev_b32_e32 v15, 2, v15
	v_readfirstlane_b32 s8, v9
	v_readfirstlane_b32 s9, v10
	s_waitcnt lgkmcnt(0)
	s_nop 3
	global_store_dword v15, v16, s[8:9]
.LBB1496_311:
	s_or_b64 exec, exec, s[6:7]
                                        ; implicit-def: $vgpr15
.LBB1496_312:
	s_andn2_saveexec_b64 s[4:5], s[4:5]
	s_cbranch_execz .LBB1496_314
; %bb.313:
	v_lshlrev_b32_e32 v16, 2, v0
	ds_read_b32 v16, v16 offset:5120
	v_lshlrev_b32_e32 v15, 2, v15
	v_readfirstlane_b32 s4, v11
	v_readfirstlane_b32 s5, v12
	s_waitcnt lgkmcnt(0)
	s_nop 3
	global_store_dword v15, v16, s[4:5]
.LBB1496_314:
	s_or_b64 exec, exec, s[2:3]
	v_or_b32_e32 v15, 0x600, v0
	v_cmp_gt_u32_e32 vcc, s16, v15
	s_and_saveexec_b64 s[2:3], vcc
	s_cbranch_execz .LBB1496_323
; %bb.315:
	v_cmp_ge_u32_e32 vcc, v15, v5
	s_and_saveexec_b64 s[4:5], vcc
	s_xor_b64 s[4:5], exec, s[4:5]
	s_cbranch_execz .LBB1496_321
; %bb.316:
	v_cmp_ge_u32_e32 vcc, v15, v14
	s_and_saveexec_b64 s[6:7], vcc
	s_xor_b64 s[6:7], exec, s[6:7]
	s_cbranch_execz .LBB1496_318
; %bb.317:
	v_add_co_u32_e32 v15, vcc, v7, v15
	v_lshlrev_b32_e32 v17, 2, v0
	v_addc_co_u32_e32 v16, vcc, 0, v13, vcc
	ds_read_b32 v17, v17 offset:6144
	v_lshlrev_b64 v[15:16], 2, v[15:16]
	v_mov_b32_e32 v18, s31
	v_sub_co_u32_e32 v15, vcc, s30, v15
	v_subb_co_u32_e32 v16, vcc, v18, v16, vcc
	s_waitcnt lgkmcnt(0)
	global_store_dword v[15:16], v17, off offset:-4
                                        ; implicit-def: $vgpr15
.LBB1496_318:
	s_andn2_saveexec_b64 s[6:7], s[6:7]
	s_cbranch_execz .LBB1496_320
; %bb.319:
	v_lshlrev_b32_e32 v16, 2, v0
	ds_read_b32 v16, v16 offset:6144
	v_lshlrev_b32_e32 v15, 2, v15
	v_readfirstlane_b32 s8, v9
	v_readfirstlane_b32 s9, v10
	s_waitcnt lgkmcnt(0)
	s_nop 3
	global_store_dword v15, v16, s[8:9]
.LBB1496_320:
	s_or_b64 exec, exec, s[6:7]
                                        ; implicit-def: $vgpr15
.LBB1496_321:
	s_andn2_saveexec_b64 s[4:5], s[4:5]
	s_cbranch_execz .LBB1496_323
; %bb.322:
	v_lshlrev_b32_e32 v16, 2, v0
	ds_read_b32 v16, v16 offset:6144
	v_lshlrev_b32_e32 v15, 2, v15
	v_readfirstlane_b32 s4, v11
	v_readfirstlane_b32 s5, v12
	s_waitcnt lgkmcnt(0)
	s_nop 3
	global_store_dword v15, v16, s[4:5]
.LBB1496_323:
	;; [unrolled: 55-line block ×7, first 2 shown]
	s_or_b64 exec, exec, s[2:3]
	v_or_b32_e32 v15, 0xc00, v0
	v_cmp_gt_u32_e32 vcc, s16, v15
	s_and_saveexec_b64 s[2:3], vcc
	s_cbranch_execz .LBB1496_377
; %bb.369:
	v_cmp_ge_u32_e32 vcc, v15, v5
	s_and_saveexec_b64 s[4:5], vcc
	s_xor_b64 s[4:5], exec, s[4:5]
	s_cbranch_execz .LBB1496_375
; %bb.370:
	v_cmp_ge_u32_e32 vcc, v15, v14
	s_and_saveexec_b64 s[6:7], vcc
	s_xor_b64 s[6:7], exec, s[6:7]
	s_cbranch_execz .LBB1496_372
; %bb.371:
	v_add_co_u32_e32 v9, vcc, v7, v15
	v_lshlrev_b32_e32 v0, 2, v0
	v_addc_co_u32_e32 v10, vcc, 0, v13, vcc
	ds_read_b32 v0, v0 offset:12288
	v_lshlrev_b64 v[9:10], 2, v[9:10]
	v_mov_b32_e32 v7, s31
	v_sub_co_u32_e32 v9, vcc, s30, v9
	v_subb_co_u32_e32 v10, vcc, v7, v10, vcc
	s_waitcnt lgkmcnt(0)
	global_store_dword v[9:10], v0, off offset:-4
                                        ; implicit-def: $vgpr0
                                        ; implicit-def: $vgpr15
                                        ; implicit-def: $vgpr9_vgpr10
.LBB1496_372:
	s_andn2_saveexec_b64 s[6:7], s[6:7]
	s_cbranch_execz .LBB1496_374
; %bb.373:
	v_lshlrev_b32_e32 v0, 2, v0
	ds_read_b32 v0, v0 offset:12288
	v_lshlrev_b32_e32 v7, 2, v15
	v_readfirstlane_b32 s8, v9
	v_readfirstlane_b32 s9, v10
	s_waitcnt lgkmcnt(0)
	s_nop 3
	global_store_dword v7, v0, s[8:9]
.LBB1496_374:
	s_or_b64 exec, exec, s[6:7]
                                        ; implicit-def: $vgpr0
                                        ; implicit-def: $vgpr15
                                        ; implicit-def: $vgpr11_vgpr12
.LBB1496_375:
	s_andn2_saveexec_b64 s[4:5], s[4:5]
	s_cbranch_execz .LBB1496_377
; %bb.376:
	v_lshlrev_b32_e32 v0, 2, v0
	ds_read_b32 v0, v0 offset:12288
	v_lshlrev_b32_e32 v7, 2, v15
	v_readfirstlane_b32 s4, v11
	v_readfirstlane_b32 s5, v12
	s_waitcnt lgkmcnt(0)
	s_nop 3
	global_store_dword v7, v0, s[4:5]
.LBB1496_377:
	s_or_b64 exec, exec, s[2:3]
	s_and_b64 s[0:1], s[0:1], s[34:35]
	s_and_saveexec_b64 s[2:3], s[0:1]
	s_cbranch_execz .LBB1496_154
.LBB1496_378:
	v_add_co_u32_e32 v3, vcc, v3, v6
	v_addc_co_u32_e32 v4, vcc, 0, v4, vcc
	v_add_co_u32_e32 v3, vcc, v3, v8
	v_addc_co_u32_e32 v4, vcc, 0, v4, vcc
	v_add_co_u32_e32 v1, vcc, v1, v5
	v_mov_b32_e32 v0, 0
	v_addc_co_u32_e32 v2, vcc, 0, v2, vcc
	global_store_dwordx4 v0, v[1:4], s[44:45]
	s_endpgm
.LBB1496_379:
	s_add_i32 s14, s33, 64
	s_mov_b32 s15, 0
	s_lshl_b64 s[14:15], s[14:15], 4
	s_add_u32 s14, s54, s14
	s_addc_u32 s15, s55, s15
	v_mov_b32_e32 v28, s15
	v_add_u32_e32 v10, v8, v6
	v_add_u32_e32 v9, v7, v5
	v_mov_b32_e32 v11, 2
	v_mov_b32_e32 v12, 0
	;; [unrolled: 1-line block ×3, first 2 shown]
	;;#ASMSTART
	global_store_dwordx4 v[27:28], v[9:12] off	
s_waitcnt vmcnt(0)
	;;#ASMEND
	s_or_b64 exec, exec, s[12:13]
	s_and_saveexec_b64 s[12:13], s[8:9]
	s_cbranch_execz .LBB1496_139
.LBB1496_380:
	v_mov_b32_e32 v9, 0
	ds_write_b128 v9, v[5:8] offset:13312
	s_or_b64 exec, exec, s[12:13]
	s_and_b64 exec, exec, s[0:1]
	s_cbranch_execnz .LBB1496_140
	s_branch .LBB1496_141
	.section	.rodata,"a",@progbits
	.p2align	6, 0x0
	.amdhsa_kernel _ZN7rocprim17ROCPRIM_400000_NS6detail17trampoline_kernelINS0_13select_configILj256ELj13ELNS0_17block_load_methodE3ELS4_3ELS4_3ELNS0_20block_scan_algorithmE0ELj4294967295EEENS1_25partition_config_selectorILNS1_17partition_subalgoE4EjNS0_10empty_typeEbEEZZNS1_14partition_implILS8_4ELb0ES6_15HIP_vector_typeIjLj2EENS0_17counting_iteratorIjlEEPS9_SG_NS0_5tupleIJPjSI_NS0_16reverse_iteratorISI_EEEEENSH_IJSG_SG_SG_EEES9_SI_JZNS1_25segmented_radix_sort_implINS0_14default_configELb1EPKbPbPKlPlN2at6native12_GLOBAL__N_18offset_tEEE10hipError_tPvRmT1_PNSt15iterator_traitsIS12_E10value_typeET2_T3_PNS13_IS18_E10value_typeET4_jRbjT5_S1E_jjP12ihipStream_tbEUljE_ZNSN_ISO_Lb1ESQ_SR_ST_SU_SY_EESZ_S10_S11_S12_S16_S17_S18_S1B_S1C_jS1D_jS1E_S1E_jjS1G_bEUljE0_EEESZ_S10_S11_S18_S1C_S1E_T6_T7_T9_mT8_S1G_bDpT10_ENKUlT_T0_E_clISt17integral_constantIbLb0EES1T_IbLb1EEEEDaS1P_S1Q_EUlS1P_E_NS1_11comp_targetILNS1_3genE2ELNS1_11target_archE906ELNS1_3gpuE6ELNS1_3repE0EEENS1_30default_config_static_selectorELNS0_4arch9wavefront6targetE1EEEvS12_
		.amdhsa_group_segment_fixed_size 13328
		.amdhsa_private_segment_fixed_size 0
		.amdhsa_kernarg_size 184
		.amdhsa_user_sgpr_count 6
		.amdhsa_user_sgpr_private_segment_buffer 1
		.amdhsa_user_sgpr_dispatch_ptr 0
		.amdhsa_user_sgpr_queue_ptr 0
		.amdhsa_user_sgpr_kernarg_segment_ptr 1
		.amdhsa_user_sgpr_dispatch_id 0
		.amdhsa_user_sgpr_flat_scratch_init 0
		.amdhsa_user_sgpr_private_segment_size 0
		.amdhsa_uses_dynamic_stack 0
		.amdhsa_system_sgpr_private_segment_wavefront_offset 0
		.amdhsa_system_sgpr_workgroup_id_x 1
		.amdhsa_system_sgpr_workgroup_id_y 0
		.amdhsa_system_sgpr_workgroup_id_z 0
		.amdhsa_system_sgpr_workgroup_info 0
		.amdhsa_system_vgpr_workitem_id 0
		.amdhsa_next_free_vgpr 91
		.amdhsa_next_free_sgpr 98
		.amdhsa_reserve_vcc 1
		.amdhsa_reserve_flat_scratch 0
		.amdhsa_float_round_mode_32 0
		.amdhsa_float_round_mode_16_64 0
		.amdhsa_float_denorm_mode_32 3
		.amdhsa_float_denorm_mode_16_64 3
		.amdhsa_dx10_clamp 1
		.amdhsa_ieee_mode 1
		.amdhsa_fp16_overflow 0
		.amdhsa_exception_fp_ieee_invalid_op 0
		.amdhsa_exception_fp_denorm_src 0
		.amdhsa_exception_fp_ieee_div_zero 0
		.amdhsa_exception_fp_ieee_overflow 0
		.amdhsa_exception_fp_ieee_underflow 0
		.amdhsa_exception_fp_ieee_inexact 0
		.amdhsa_exception_int_div_zero 0
	.end_amdhsa_kernel
	.section	.text._ZN7rocprim17ROCPRIM_400000_NS6detail17trampoline_kernelINS0_13select_configILj256ELj13ELNS0_17block_load_methodE3ELS4_3ELS4_3ELNS0_20block_scan_algorithmE0ELj4294967295EEENS1_25partition_config_selectorILNS1_17partition_subalgoE4EjNS0_10empty_typeEbEEZZNS1_14partition_implILS8_4ELb0ES6_15HIP_vector_typeIjLj2EENS0_17counting_iteratorIjlEEPS9_SG_NS0_5tupleIJPjSI_NS0_16reverse_iteratorISI_EEEEENSH_IJSG_SG_SG_EEES9_SI_JZNS1_25segmented_radix_sort_implINS0_14default_configELb1EPKbPbPKlPlN2at6native12_GLOBAL__N_18offset_tEEE10hipError_tPvRmT1_PNSt15iterator_traitsIS12_E10value_typeET2_T3_PNS13_IS18_E10value_typeET4_jRbjT5_S1E_jjP12ihipStream_tbEUljE_ZNSN_ISO_Lb1ESQ_SR_ST_SU_SY_EESZ_S10_S11_S12_S16_S17_S18_S1B_S1C_jS1D_jS1E_S1E_jjS1G_bEUljE0_EEESZ_S10_S11_S18_S1C_S1E_T6_T7_T9_mT8_S1G_bDpT10_ENKUlT_T0_E_clISt17integral_constantIbLb0EES1T_IbLb1EEEEDaS1P_S1Q_EUlS1P_E_NS1_11comp_targetILNS1_3genE2ELNS1_11target_archE906ELNS1_3gpuE6ELNS1_3repE0EEENS1_30default_config_static_selectorELNS0_4arch9wavefront6targetE1EEEvS12_,"axG",@progbits,_ZN7rocprim17ROCPRIM_400000_NS6detail17trampoline_kernelINS0_13select_configILj256ELj13ELNS0_17block_load_methodE3ELS4_3ELS4_3ELNS0_20block_scan_algorithmE0ELj4294967295EEENS1_25partition_config_selectorILNS1_17partition_subalgoE4EjNS0_10empty_typeEbEEZZNS1_14partition_implILS8_4ELb0ES6_15HIP_vector_typeIjLj2EENS0_17counting_iteratorIjlEEPS9_SG_NS0_5tupleIJPjSI_NS0_16reverse_iteratorISI_EEEEENSH_IJSG_SG_SG_EEES9_SI_JZNS1_25segmented_radix_sort_implINS0_14default_configELb1EPKbPbPKlPlN2at6native12_GLOBAL__N_18offset_tEEE10hipError_tPvRmT1_PNSt15iterator_traitsIS12_E10value_typeET2_T3_PNS13_IS18_E10value_typeET4_jRbjT5_S1E_jjP12ihipStream_tbEUljE_ZNSN_ISO_Lb1ESQ_SR_ST_SU_SY_EESZ_S10_S11_S12_S16_S17_S18_S1B_S1C_jS1D_jS1E_S1E_jjS1G_bEUljE0_EEESZ_S10_S11_S18_S1C_S1E_T6_T7_T9_mT8_S1G_bDpT10_ENKUlT_T0_E_clISt17integral_constantIbLb0EES1T_IbLb1EEEEDaS1P_S1Q_EUlS1P_E_NS1_11comp_targetILNS1_3genE2ELNS1_11target_archE906ELNS1_3gpuE6ELNS1_3repE0EEENS1_30default_config_static_selectorELNS0_4arch9wavefront6targetE1EEEvS12_,comdat
.Lfunc_end1496:
	.size	_ZN7rocprim17ROCPRIM_400000_NS6detail17trampoline_kernelINS0_13select_configILj256ELj13ELNS0_17block_load_methodE3ELS4_3ELS4_3ELNS0_20block_scan_algorithmE0ELj4294967295EEENS1_25partition_config_selectorILNS1_17partition_subalgoE4EjNS0_10empty_typeEbEEZZNS1_14partition_implILS8_4ELb0ES6_15HIP_vector_typeIjLj2EENS0_17counting_iteratorIjlEEPS9_SG_NS0_5tupleIJPjSI_NS0_16reverse_iteratorISI_EEEEENSH_IJSG_SG_SG_EEES9_SI_JZNS1_25segmented_radix_sort_implINS0_14default_configELb1EPKbPbPKlPlN2at6native12_GLOBAL__N_18offset_tEEE10hipError_tPvRmT1_PNSt15iterator_traitsIS12_E10value_typeET2_T3_PNS13_IS18_E10value_typeET4_jRbjT5_S1E_jjP12ihipStream_tbEUljE_ZNSN_ISO_Lb1ESQ_SR_ST_SU_SY_EESZ_S10_S11_S12_S16_S17_S18_S1B_S1C_jS1D_jS1E_S1E_jjS1G_bEUljE0_EEESZ_S10_S11_S18_S1C_S1E_T6_T7_T9_mT8_S1G_bDpT10_ENKUlT_T0_E_clISt17integral_constantIbLb0EES1T_IbLb1EEEEDaS1P_S1Q_EUlS1P_E_NS1_11comp_targetILNS1_3genE2ELNS1_11target_archE906ELNS1_3gpuE6ELNS1_3repE0EEENS1_30default_config_static_selectorELNS0_4arch9wavefront6targetE1EEEvS12_, .Lfunc_end1496-_ZN7rocprim17ROCPRIM_400000_NS6detail17trampoline_kernelINS0_13select_configILj256ELj13ELNS0_17block_load_methodE3ELS4_3ELS4_3ELNS0_20block_scan_algorithmE0ELj4294967295EEENS1_25partition_config_selectorILNS1_17partition_subalgoE4EjNS0_10empty_typeEbEEZZNS1_14partition_implILS8_4ELb0ES6_15HIP_vector_typeIjLj2EENS0_17counting_iteratorIjlEEPS9_SG_NS0_5tupleIJPjSI_NS0_16reverse_iteratorISI_EEEEENSH_IJSG_SG_SG_EEES9_SI_JZNS1_25segmented_radix_sort_implINS0_14default_configELb1EPKbPbPKlPlN2at6native12_GLOBAL__N_18offset_tEEE10hipError_tPvRmT1_PNSt15iterator_traitsIS12_E10value_typeET2_T3_PNS13_IS18_E10value_typeET4_jRbjT5_S1E_jjP12ihipStream_tbEUljE_ZNSN_ISO_Lb1ESQ_SR_ST_SU_SY_EESZ_S10_S11_S12_S16_S17_S18_S1B_S1C_jS1D_jS1E_S1E_jjS1G_bEUljE0_EEESZ_S10_S11_S18_S1C_S1E_T6_T7_T9_mT8_S1G_bDpT10_ENKUlT_T0_E_clISt17integral_constantIbLb0EES1T_IbLb1EEEEDaS1P_S1Q_EUlS1P_E_NS1_11comp_targetILNS1_3genE2ELNS1_11target_archE906ELNS1_3gpuE6ELNS1_3repE0EEENS1_30default_config_static_selectorELNS0_4arch9wavefront6targetE1EEEvS12_
                                        ; -- End function
	.set _ZN7rocprim17ROCPRIM_400000_NS6detail17trampoline_kernelINS0_13select_configILj256ELj13ELNS0_17block_load_methodE3ELS4_3ELS4_3ELNS0_20block_scan_algorithmE0ELj4294967295EEENS1_25partition_config_selectorILNS1_17partition_subalgoE4EjNS0_10empty_typeEbEEZZNS1_14partition_implILS8_4ELb0ES6_15HIP_vector_typeIjLj2EENS0_17counting_iteratorIjlEEPS9_SG_NS0_5tupleIJPjSI_NS0_16reverse_iteratorISI_EEEEENSH_IJSG_SG_SG_EEES9_SI_JZNS1_25segmented_radix_sort_implINS0_14default_configELb1EPKbPbPKlPlN2at6native12_GLOBAL__N_18offset_tEEE10hipError_tPvRmT1_PNSt15iterator_traitsIS12_E10value_typeET2_T3_PNS13_IS18_E10value_typeET4_jRbjT5_S1E_jjP12ihipStream_tbEUljE_ZNSN_ISO_Lb1ESQ_SR_ST_SU_SY_EESZ_S10_S11_S12_S16_S17_S18_S1B_S1C_jS1D_jS1E_S1E_jjS1G_bEUljE0_EEESZ_S10_S11_S18_S1C_S1E_T6_T7_T9_mT8_S1G_bDpT10_ENKUlT_T0_E_clISt17integral_constantIbLb0EES1T_IbLb1EEEEDaS1P_S1Q_EUlS1P_E_NS1_11comp_targetILNS1_3genE2ELNS1_11target_archE906ELNS1_3gpuE6ELNS1_3repE0EEENS1_30default_config_static_selectorELNS0_4arch9wavefront6targetE1EEEvS12_.num_vgpr, 91
	.set _ZN7rocprim17ROCPRIM_400000_NS6detail17trampoline_kernelINS0_13select_configILj256ELj13ELNS0_17block_load_methodE3ELS4_3ELS4_3ELNS0_20block_scan_algorithmE0ELj4294967295EEENS1_25partition_config_selectorILNS1_17partition_subalgoE4EjNS0_10empty_typeEbEEZZNS1_14partition_implILS8_4ELb0ES6_15HIP_vector_typeIjLj2EENS0_17counting_iteratorIjlEEPS9_SG_NS0_5tupleIJPjSI_NS0_16reverse_iteratorISI_EEEEENSH_IJSG_SG_SG_EEES9_SI_JZNS1_25segmented_radix_sort_implINS0_14default_configELb1EPKbPbPKlPlN2at6native12_GLOBAL__N_18offset_tEEE10hipError_tPvRmT1_PNSt15iterator_traitsIS12_E10value_typeET2_T3_PNS13_IS18_E10value_typeET4_jRbjT5_S1E_jjP12ihipStream_tbEUljE_ZNSN_ISO_Lb1ESQ_SR_ST_SU_SY_EESZ_S10_S11_S12_S16_S17_S18_S1B_S1C_jS1D_jS1E_S1E_jjS1G_bEUljE0_EEESZ_S10_S11_S18_S1C_S1E_T6_T7_T9_mT8_S1G_bDpT10_ENKUlT_T0_E_clISt17integral_constantIbLb0EES1T_IbLb1EEEEDaS1P_S1Q_EUlS1P_E_NS1_11comp_targetILNS1_3genE2ELNS1_11target_archE906ELNS1_3gpuE6ELNS1_3repE0EEENS1_30default_config_static_selectorELNS0_4arch9wavefront6targetE1EEEvS12_.num_agpr, 0
	.set _ZN7rocprim17ROCPRIM_400000_NS6detail17trampoline_kernelINS0_13select_configILj256ELj13ELNS0_17block_load_methodE3ELS4_3ELS4_3ELNS0_20block_scan_algorithmE0ELj4294967295EEENS1_25partition_config_selectorILNS1_17partition_subalgoE4EjNS0_10empty_typeEbEEZZNS1_14partition_implILS8_4ELb0ES6_15HIP_vector_typeIjLj2EENS0_17counting_iteratorIjlEEPS9_SG_NS0_5tupleIJPjSI_NS0_16reverse_iteratorISI_EEEEENSH_IJSG_SG_SG_EEES9_SI_JZNS1_25segmented_radix_sort_implINS0_14default_configELb1EPKbPbPKlPlN2at6native12_GLOBAL__N_18offset_tEEE10hipError_tPvRmT1_PNSt15iterator_traitsIS12_E10value_typeET2_T3_PNS13_IS18_E10value_typeET4_jRbjT5_S1E_jjP12ihipStream_tbEUljE_ZNSN_ISO_Lb1ESQ_SR_ST_SU_SY_EESZ_S10_S11_S12_S16_S17_S18_S1B_S1C_jS1D_jS1E_S1E_jjS1G_bEUljE0_EEESZ_S10_S11_S18_S1C_S1E_T6_T7_T9_mT8_S1G_bDpT10_ENKUlT_T0_E_clISt17integral_constantIbLb0EES1T_IbLb1EEEEDaS1P_S1Q_EUlS1P_E_NS1_11comp_targetILNS1_3genE2ELNS1_11target_archE906ELNS1_3gpuE6ELNS1_3repE0EEENS1_30default_config_static_selectorELNS0_4arch9wavefront6targetE1EEEvS12_.numbered_sgpr, 87
	.set _ZN7rocprim17ROCPRIM_400000_NS6detail17trampoline_kernelINS0_13select_configILj256ELj13ELNS0_17block_load_methodE3ELS4_3ELS4_3ELNS0_20block_scan_algorithmE0ELj4294967295EEENS1_25partition_config_selectorILNS1_17partition_subalgoE4EjNS0_10empty_typeEbEEZZNS1_14partition_implILS8_4ELb0ES6_15HIP_vector_typeIjLj2EENS0_17counting_iteratorIjlEEPS9_SG_NS0_5tupleIJPjSI_NS0_16reverse_iteratorISI_EEEEENSH_IJSG_SG_SG_EEES9_SI_JZNS1_25segmented_radix_sort_implINS0_14default_configELb1EPKbPbPKlPlN2at6native12_GLOBAL__N_18offset_tEEE10hipError_tPvRmT1_PNSt15iterator_traitsIS12_E10value_typeET2_T3_PNS13_IS18_E10value_typeET4_jRbjT5_S1E_jjP12ihipStream_tbEUljE_ZNSN_ISO_Lb1ESQ_SR_ST_SU_SY_EESZ_S10_S11_S12_S16_S17_S18_S1B_S1C_jS1D_jS1E_S1E_jjS1G_bEUljE0_EEESZ_S10_S11_S18_S1C_S1E_T6_T7_T9_mT8_S1G_bDpT10_ENKUlT_T0_E_clISt17integral_constantIbLb0EES1T_IbLb1EEEEDaS1P_S1Q_EUlS1P_E_NS1_11comp_targetILNS1_3genE2ELNS1_11target_archE906ELNS1_3gpuE6ELNS1_3repE0EEENS1_30default_config_static_selectorELNS0_4arch9wavefront6targetE1EEEvS12_.num_named_barrier, 0
	.set _ZN7rocprim17ROCPRIM_400000_NS6detail17trampoline_kernelINS0_13select_configILj256ELj13ELNS0_17block_load_methodE3ELS4_3ELS4_3ELNS0_20block_scan_algorithmE0ELj4294967295EEENS1_25partition_config_selectorILNS1_17partition_subalgoE4EjNS0_10empty_typeEbEEZZNS1_14partition_implILS8_4ELb0ES6_15HIP_vector_typeIjLj2EENS0_17counting_iteratorIjlEEPS9_SG_NS0_5tupleIJPjSI_NS0_16reverse_iteratorISI_EEEEENSH_IJSG_SG_SG_EEES9_SI_JZNS1_25segmented_radix_sort_implINS0_14default_configELb1EPKbPbPKlPlN2at6native12_GLOBAL__N_18offset_tEEE10hipError_tPvRmT1_PNSt15iterator_traitsIS12_E10value_typeET2_T3_PNS13_IS18_E10value_typeET4_jRbjT5_S1E_jjP12ihipStream_tbEUljE_ZNSN_ISO_Lb1ESQ_SR_ST_SU_SY_EESZ_S10_S11_S12_S16_S17_S18_S1B_S1C_jS1D_jS1E_S1E_jjS1G_bEUljE0_EEESZ_S10_S11_S18_S1C_S1E_T6_T7_T9_mT8_S1G_bDpT10_ENKUlT_T0_E_clISt17integral_constantIbLb0EES1T_IbLb1EEEEDaS1P_S1Q_EUlS1P_E_NS1_11comp_targetILNS1_3genE2ELNS1_11target_archE906ELNS1_3gpuE6ELNS1_3repE0EEENS1_30default_config_static_selectorELNS0_4arch9wavefront6targetE1EEEvS12_.private_seg_size, 0
	.set _ZN7rocprim17ROCPRIM_400000_NS6detail17trampoline_kernelINS0_13select_configILj256ELj13ELNS0_17block_load_methodE3ELS4_3ELS4_3ELNS0_20block_scan_algorithmE0ELj4294967295EEENS1_25partition_config_selectorILNS1_17partition_subalgoE4EjNS0_10empty_typeEbEEZZNS1_14partition_implILS8_4ELb0ES6_15HIP_vector_typeIjLj2EENS0_17counting_iteratorIjlEEPS9_SG_NS0_5tupleIJPjSI_NS0_16reverse_iteratorISI_EEEEENSH_IJSG_SG_SG_EEES9_SI_JZNS1_25segmented_radix_sort_implINS0_14default_configELb1EPKbPbPKlPlN2at6native12_GLOBAL__N_18offset_tEEE10hipError_tPvRmT1_PNSt15iterator_traitsIS12_E10value_typeET2_T3_PNS13_IS18_E10value_typeET4_jRbjT5_S1E_jjP12ihipStream_tbEUljE_ZNSN_ISO_Lb1ESQ_SR_ST_SU_SY_EESZ_S10_S11_S12_S16_S17_S18_S1B_S1C_jS1D_jS1E_S1E_jjS1G_bEUljE0_EEESZ_S10_S11_S18_S1C_S1E_T6_T7_T9_mT8_S1G_bDpT10_ENKUlT_T0_E_clISt17integral_constantIbLb0EES1T_IbLb1EEEEDaS1P_S1Q_EUlS1P_E_NS1_11comp_targetILNS1_3genE2ELNS1_11target_archE906ELNS1_3gpuE6ELNS1_3repE0EEENS1_30default_config_static_selectorELNS0_4arch9wavefront6targetE1EEEvS12_.uses_vcc, 1
	.set _ZN7rocprim17ROCPRIM_400000_NS6detail17trampoline_kernelINS0_13select_configILj256ELj13ELNS0_17block_load_methodE3ELS4_3ELS4_3ELNS0_20block_scan_algorithmE0ELj4294967295EEENS1_25partition_config_selectorILNS1_17partition_subalgoE4EjNS0_10empty_typeEbEEZZNS1_14partition_implILS8_4ELb0ES6_15HIP_vector_typeIjLj2EENS0_17counting_iteratorIjlEEPS9_SG_NS0_5tupleIJPjSI_NS0_16reverse_iteratorISI_EEEEENSH_IJSG_SG_SG_EEES9_SI_JZNS1_25segmented_radix_sort_implINS0_14default_configELb1EPKbPbPKlPlN2at6native12_GLOBAL__N_18offset_tEEE10hipError_tPvRmT1_PNSt15iterator_traitsIS12_E10value_typeET2_T3_PNS13_IS18_E10value_typeET4_jRbjT5_S1E_jjP12ihipStream_tbEUljE_ZNSN_ISO_Lb1ESQ_SR_ST_SU_SY_EESZ_S10_S11_S12_S16_S17_S18_S1B_S1C_jS1D_jS1E_S1E_jjS1G_bEUljE0_EEESZ_S10_S11_S18_S1C_S1E_T6_T7_T9_mT8_S1G_bDpT10_ENKUlT_T0_E_clISt17integral_constantIbLb0EES1T_IbLb1EEEEDaS1P_S1Q_EUlS1P_E_NS1_11comp_targetILNS1_3genE2ELNS1_11target_archE906ELNS1_3gpuE6ELNS1_3repE0EEENS1_30default_config_static_selectorELNS0_4arch9wavefront6targetE1EEEvS12_.uses_flat_scratch, 0
	.set _ZN7rocprim17ROCPRIM_400000_NS6detail17trampoline_kernelINS0_13select_configILj256ELj13ELNS0_17block_load_methodE3ELS4_3ELS4_3ELNS0_20block_scan_algorithmE0ELj4294967295EEENS1_25partition_config_selectorILNS1_17partition_subalgoE4EjNS0_10empty_typeEbEEZZNS1_14partition_implILS8_4ELb0ES6_15HIP_vector_typeIjLj2EENS0_17counting_iteratorIjlEEPS9_SG_NS0_5tupleIJPjSI_NS0_16reverse_iteratorISI_EEEEENSH_IJSG_SG_SG_EEES9_SI_JZNS1_25segmented_radix_sort_implINS0_14default_configELb1EPKbPbPKlPlN2at6native12_GLOBAL__N_18offset_tEEE10hipError_tPvRmT1_PNSt15iterator_traitsIS12_E10value_typeET2_T3_PNS13_IS18_E10value_typeET4_jRbjT5_S1E_jjP12ihipStream_tbEUljE_ZNSN_ISO_Lb1ESQ_SR_ST_SU_SY_EESZ_S10_S11_S12_S16_S17_S18_S1B_S1C_jS1D_jS1E_S1E_jjS1G_bEUljE0_EEESZ_S10_S11_S18_S1C_S1E_T6_T7_T9_mT8_S1G_bDpT10_ENKUlT_T0_E_clISt17integral_constantIbLb0EES1T_IbLb1EEEEDaS1P_S1Q_EUlS1P_E_NS1_11comp_targetILNS1_3genE2ELNS1_11target_archE906ELNS1_3gpuE6ELNS1_3repE0EEENS1_30default_config_static_selectorELNS0_4arch9wavefront6targetE1EEEvS12_.has_dyn_sized_stack, 0
	.set _ZN7rocprim17ROCPRIM_400000_NS6detail17trampoline_kernelINS0_13select_configILj256ELj13ELNS0_17block_load_methodE3ELS4_3ELS4_3ELNS0_20block_scan_algorithmE0ELj4294967295EEENS1_25partition_config_selectorILNS1_17partition_subalgoE4EjNS0_10empty_typeEbEEZZNS1_14partition_implILS8_4ELb0ES6_15HIP_vector_typeIjLj2EENS0_17counting_iteratorIjlEEPS9_SG_NS0_5tupleIJPjSI_NS0_16reverse_iteratorISI_EEEEENSH_IJSG_SG_SG_EEES9_SI_JZNS1_25segmented_radix_sort_implINS0_14default_configELb1EPKbPbPKlPlN2at6native12_GLOBAL__N_18offset_tEEE10hipError_tPvRmT1_PNSt15iterator_traitsIS12_E10value_typeET2_T3_PNS13_IS18_E10value_typeET4_jRbjT5_S1E_jjP12ihipStream_tbEUljE_ZNSN_ISO_Lb1ESQ_SR_ST_SU_SY_EESZ_S10_S11_S12_S16_S17_S18_S1B_S1C_jS1D_jS1E_S1E_jjS1G_bEUljE0_EEESZ_S10_S11_S18_S1C_S1E_T6_T7_T9_mT8_S1G_bDpT10_ENKUlT_T0_E_clISt17integral_constantIbLb0EES1T_IbLb1EEEEDaS1P_S1Q_EUlS1P_E_NS1_11comp_targetILNS1_3genE2ELNS1_11target_archE906ELNS1_3gpuE6ELNS1_3repE0EEENS1_30default_config_static_selectorELNS0_4arch9wavefront6targetE1EEEvS12_.has_recursion, 0
	.set _ZN7rocprim17ROCPRIM_400000_NS6detail17trampoline_kernelINS0_13select_configILj256ELj13ELNS0_17block_load_methodE3ELS4_3ELS4_3ELNS0_20block_scan_algorithmE0ELj4294967295EEENS1_25partition_config_selectorILNS1_17partition_subalgoE4EjNS0_10empty_typeEbEEZZNS1_14partition_implILS8_4ELb0ES6_15HIP_vector_typeIjLj2EENS0_17counting_iteratorIjlEEPS9_SG_NS0_5tupleIJPjSI_NS0_16reverse_iteratorISI_EEEEENSH_IJSG_SG_SG_EEES9_SI_JZNS1_25segmented_radix_sort_implINS0_14default_configELb1EPKbPbPKlPlN2at6native12_GLOBAL__N_18offset_tEEE10hipError_tPvRmT1_PNSt15iterator_traitsIS12_E10value_typeET2_T3_PNS13_IS18_E10value_typeET4_jRbjT5_S1E_jjP12ihipStream_tbEUljE_ZNSN_ISO_Lb1ESQ_SR_ST_SU_SY_EESZ_S10_S11_S12_S16_S17_S18_S1B_S1C_jS1D_jS1E_S1E_jjS1G_bEUljE0_EEESZ_S10_S11_S18_S1C_S1E_T6_T7_T9_mT8_S1G_bDpT10_ENKUlT_T0_E_clISt17integral_constantIbLb0EES1T_IbLb1EEEEDaS1P_S1Q_EUlS1P_E_NS1_11comp_targetILNS1_3genE2ELNS1_11target_archE906ELNS1_3gpuE6ELNS1_3repE0EEENS1_30default_config_static_selectorELNS0_4arch9wavefront6targetE1EEEvS12_.has_indirect_call, 0
	.section	.AMDGPU.csdata,"",@progbits
; Kernel info:
; codeLenInByte = 15580
; TotalNumSgprs: 91
; NumVgprs: 91
; ScratchSize: 0
; MemoryBound: 0
; FloatMode: 240
; IeeeMode: 1
; LDSByteSize: 13328 bytes/workgroup (compile time only)
; SGPRBlocks: 12
; VGPRBlocks: 22
; NumSGPRsForWavesPerEU: 102
; NumVGPRsForWavesPerEU: 91
; Occupancy: 2
; WaveLimiterHint : 1
; COMPUTE_PGM_RSRC2:SCRATCH_EN: 0
; COMPUTE_PGM_RSRC2:USER_SGPR: 6
; COMPUTE_PGM_RSRC2:TRAP_HANDLER: 0
; COMPUTE_PGM_RSRC2:TGID_X_EN: 1
; COMPUTE_PGM_RSRC2:TGID_Y_EN: 0
; COMPUTE_PGM_RSRC2:TGID_Z_EN: 0
; COMPUTE_PGM_RSRC2:TIDIG_COMP_CNT: 0
	.section	.text._ZN7rocprim17ROCPRIM_400000_NS6detail17trampoline_kernelINS0_13select_configILj256ELj13ELNS0_17block_load_methodE3ELS4_3ELS4_3ELNS0_20block_scan_algorithmE0ELj4294967295EEENS1_25partition_config_selectorILNS1_17partition_subalgoE4EjNS0_10empty_typeEbEEZZNS1_14partition_implILS8_4ELb0ES6_15HIP_vector_typeIjLj2EENS0_17counting_iteratorIjlEEPS9_SG_NS0_5tupleIJPjSI_NS0_16reverse_iteratorISI_EEEEENSH_IJSG_SG_SG_EEES9_SI_JZNS1_25segmented_radix_sort_implINS0_14default_configELb1EPKbPbPKlPlN2at6native12_GLOBAL__N_18offset_tEEE10hipError_tPvRmT1_PNSt15iterator_traitsIS12_E10value_typeET2_T3_PNS13_IS18_E10value_typeET4_jRbjT5_S1E_jjP12ihipStream_tbEUljE_ZNSN_ISO_Lb1ESQ_SR_ST_SU_SY_EESZ_S10_S11_S12_S16_S17_S18_S1B_S1C_jS1D_jS1E_S1E_jjS1G_bEUljE0_EEESZ_S10_S11_S18_S1C_S1E_T6_T7_T9_mT8_S1G_bDpT10_ENKUlT_T0_E_clISt17integral_constantIbLb0EES1T_IbLb1EEEEDaS1P_S1Q_EUlS1P_E_NS1_11comp_targetILNS1_3genE10ELNS1_11target_archE1200ELNS1_3gpuE4ELNS1_3repE0EEENS1_30default_config_static_selectorELNS0_4arch9wavefront6targetE1EEEvS12_,"axG",@progbits,_ZN7rocprim17ROCPRIM_400000_NS6detail17trampoline_kernelINS0_13select_configILj256ELj13ELNS0_17block_load_methodE3ELS4_3ELS4_3ELNS0_20block_scan_algorithmE0ELj4294967295EEENS1_25partition_config_selectorILNS1_17partition_subalgoE4EjNS0_10empty_typeEbEEZZNS1_14partition_implILS8_4ELb0ES6_15HIP_vector_typeIjLj2EENS0_17counting_iteratorIjlEEPS9_SG_NS0_5tupleIJPjSI_NS0_16reverse_iteratorISI_EEEEENSH_IJSG_SG_SG_EEES9_SI_JZNS1_25segmented_radix_sort_implINS0_14default_configELb1EPKbPbPKlPlN2at6native12_GLOBAL__N_18offset_tEEE10hipError_tPvRmT1_PNSt15iterator_traitsIS12_E10value_typeET2_T3_PNS13_IS18_E10value_typeET4_jRbjT5_S1E_jjP12ihipStream_tbEUljE_ZNSN_ISO_Lb1ESQ_SR_ST_SU_SY_EESZ_S10_S11_S12_S16_S17_S18_S1B_S1C_jS1D_jS1E_S1E_jjS1G_bEUljE0_EEESZ_S10_S11_S18_S1C_S1E_T6_T7_T9_mT8_S1G_bDpT10_ENKUlT_T0_E_clISt17integral_constantIbLb0EES1T_IbLb1EEEEDaS1P_S1Q_EUlS1P_E_NS1_11comp_targetILNS1_3genE10ELNS1_11target_archE1200ELNS1_3gpuE4ELNS1_3repE0EEENS1_30default_config_static_selectorELNS0_4arch9wavefront6targetE1EEEvS12_,comdat
	.globl	_ZN7rocprim17ROCPRIM_400000_NS6detail17trampoline_kernelINS0_13select_configILj256ELj13ELNS0_17block_load_methodE3ELS4_3ELS4_3ELNS0_20block_scan_algorithmE0ELj4294967295EEENS1_25partition_config_selectorILNS1_17partition_subalgoE4EjNS0_10empty_typeEbEEZZNS1_14partition_implILS8_4ELb0ES6_15HIP_vector_typeIjLj2EENS0_17counting_iteratorIjlEEPS9_SG_NS0_5tupleIJPjSI_NS0_16reverse_iteratorISI_EEEEENSH_IJSG_SG_SG_EEES9_SI_JZNS1_25segmented_radix_sort_implINS0_14default_configELb1EPKbPbPKlPlN2at6native12_GLOBAL__N_18offset_tEEE10hipError_tPvRmT1_PNSt15iterator_traitsIS12_E10value_typeET2_T3_PNS13_IS18_E10value_typeET4_jRbjT5_S1E_jjP12ihipStream_tbEUljE_ZNSN_ISO_Lb1ESQ_SR_ST_SU_SY_EESZ_S10_S11_S12_S16_S17_S18_S1B_S1C_jS1D_jS1E_S1E_jjS1G_bEUljE0_EEESZ_S10_S11_S18_S1C_S1E_T6_T7_T9_mT8_S1G_bDpT10_ENKUlT_T0_E_clISt17integral_constantIbLb0EES1T_IbLb1EEEEDaS1P_S1Q_EUlS1P_E_NS1_11comp_targetILNS1_3genE10ELNS1_11target_archE1200ELNS1_3gpuE4ELNS1_3repE0EEENS1_30default_config_static_selectorELNS0_4arch9wavefront6targetE1EEEvS12_ ; -- Begin function _ZN7rocprim17ROCPRIM_400000_NS6detail17trampoline_kernelINS0_13select_configILj256ELj13ELNS0_17block_load_methodE3ELS4_3ELS4_3ELNS0_20block_scan_algorithmE0ELj4294967295EEENS1_25partition_config_selectorILNS1_17partition_subalgoE4EjNS0_10empty_typeEbEEZZNS1_14partition_implILS8_4ELb0ES6_15HIP_vector_typeIjLj2EENS0_17counting_iteratorIjlEEPS9_SG_NS0_5tupleIJPjSI_NS0_16reverse_iteratorISI_EEEEENSH_IJSG_SG_SG_EEES9_SI_JZNS1_25segmented_radix_sort_implINS0_14default_configELb1EPKbPbPKlPlN2at6native12_GLOBAL__N_18offset_tEEE10hipError_tPvRmT1_PNSt15iterator_traitsIS12_E10value_typeET2_T3_PNS13_IS18_E10value_typeET4_jRbjT5_S1E_jjP12ihipStream_tbEUljE_ZNSN_ISO_Lb1ESQ_SR_ST_SU_SY_EESZ_S10_S11_S12_S16_S17_S18_S1B_S1C_jS1D_jS1E_S1E_jjS1G_bEUljE0_EEESZ_S10_S11_S18_S1C_S1E_T6_T7_T9_mT8_S1G_bDpT10_ENKUlT_T0_E_clISt17integral_constantIbLb0EES1T_IbLb1EEEEDaS1P_S1Q_EUlS1P_E_NS1_11comp_targetILNS1_3genE10ELNS1_11target_archE1200ELNS1_3gpuE4ELNS1_3repE0EEENS1_30default_config_static_selectorELNS0_4arch9wavefront6targetE1EEEvS12_
	.p2align	8
	.type	_ZN7rocprim17ROCPRIM_400000_NS6detail17trampoline_kernelINS0_13select_configILj256ELj13ELNS0_17block_load_methodE3ELS4_3ELS4_3ELNS0_20block_scan_algorithmE0ELj4294967295EEENS1_25partition_config_selectorILNS1_17partition_subalgoE4EjNS0_10empty_typeEbEEZZNS1_14partition_implILS8_4ELb0ES6_15HIP_vector_typeIjLj2EENS0_17counting_iteratorIjlEEPS9_SG_NS0_5tupleIJPjSI_NS0_16reverse_iteratorISI_EEEEENSH_IJSG_SG_SG_EEES9_SI_JZNS1_25segmented_radix_sort_implINS0_14default_configELb1EPKbPbPKlPlN2at6native12_GLOBAL__N_18offset_tEEE10hipError_tPvRmT1_PNSt15iterator_traitsIS12_E10value_typeET2_T3_PNS13_IS18_E10value_typeET4_jRbjT5_S1E_jjP12ihipStream_tbEUljE_ZNSN_ISO_Lb1ESQ_SR_ST_SU_SY_EESZ_S10_S11_S12_S16_S17_S18_S1B_S1C_jS1D_jS1E_S1E_jjS1G_bEUljE0_EEESZ_S10_S11_S18_S1C_S1E_T6_T7_T9_mT8_S1G_bDpT10_ENKUlT_T0_E_clISt17integral_constantIbLb0EES1T_IbLb1EEEEDaS1P_S1Q_EUlS1P_E_NS1_11comp_targetILNS1_3genE10ELNS1_11target_archE1200ELNS1_3gpuE4ELNS1_3repE0EEENS1_30default_config_static_selectorELNS0_4arch9wavefront6targetE1EEEvS12_,@function
_ZN7rocprim17ROCPRIM_400000_NS6detail17trampoline_kernelINS0_13select_configILj256ELj13ELNS0_17block_load_methodE3ELS4_3ELS4_3ELNS0_20block_scan_algorithmE0ELj4294967295EEENS1_25partition_config_selectorILNS1_17partition_subalgoE4EjNS0_10empty_typeEbEEZZNS1_14partition_implILS8_4ELb0ES6_15HIP_vector_typeIjLj2EENS0_17counting_iteratorIjlEEPS9_SG_NS0_5tupleIJPjSI_NS0_16reverse_iteratorISI_EEEEENSH_IJSG_SG_SG_EEES9_SI_JZNS1_25segmented_radix_sort_implINS0_14default_configELb1EPKbPbPKlPlN2at6native12_GLOBAL__N_18offset_tEEE10hipError_tPvRmT1_PNSt15iterator_traitsIS12_E10value_typeET2_T3_PNS13_IS18_E10value_typeET4_jRbjT5_S1E_jjP12ihipStream_tbEUljE_ZNSN_ISO_Lb1ESQ_SR_ST_SU_SY_EESZ_S10_S11_S12_S16_S17_S18_S1B_S1C_jS1D_jS1E_S1E_jjS1G_bEUljE0_EEESZ_S10_S11_S18_S1C_S1E_T6_T7_T9_mT8_S1G_bDpT10_ENKUlT_T0_E_clISt17integral_constantIbLb0EES1T_IbLb1EEEEDaS1P_S1Q_EUlS1P_E_NS1_11comp_targetILNS1_3genE10ELNS1_11target_archE1200ELNS1_3gpuE4ELNS1_3repE0EEENS1_30default_config_static_selectorELNS0_4arch9wavefront6targetE1EEEvS12_: ; @_ZN7rocprim17ROCPRIM_400000_NS6detail17trampoline_kernelINS0_13select_configILj256ELj13ELNS0_17block_load_methodE3ELS4_3ELS4_3ELNS0_20block_scan_algorithmE0ELj4294967295EEENS1_25partition_config_selectorILNS1_17partition_subalgoE4EjNS0_10empty_typeEbEEZZNS1_14partition_implILS8_4ELb0ES6_15HIP_vector_typeIjLj2EENS0_17counting_iteratorIjlEEPS9_SG_NS0_5tupleIJPjSI_NS0_16reverse_iteratorISI_EEEEENSH_IJSG_SG_SG_EEES9_SI_JZNS1_25segmented_radix_sort_implINS0_14default_configELb1EPKbPbPKlPlN2at6native12_GLOBAL__N_18offset_tEEE10hipError_tPvRmT1_PNSt15iterator_traitsIS12_E10value_typeET2_T3_PNS13_IS18_E10value_typeET4_jRbjT5_S1E_jjP12ihipStream_tbEUljE_ZNSN_ISO_Lb1ESQ_SR_ST_SU_SY_EESZ_S10_S11_S12_S16_S17_S18_S1B_S1C_jS1D_jS1E_S1E_jjS1G_bEUljE0_EEESZ_S10_S11_S18_S1C_S1E_T6_T7_T9_mT8_S1G_bDpT10_ENKUlT_T0_E_clISt17integral_constantIbLb0EES1T_IbLb1EEEEDaS1P_S1Q_EUlS1P_E_NS1_11comp_targetILNS1_3genE10ELNS1_11target_archE1200ELNS1_3gpuE4ELNS1_3repE0EEENS1_30default_config_static_selectorELNS0_4arch9wavefront6targetE1EEEvS12_
; %bb.0:
	.section	.rodata,"a",@progbits
	.p2align	6, 0x0
	.amdhsa_kernel _ZN7rocprim17ROCPRIM_400000_NS6detail17trampoline_kernelINS0_13select_configILj256ELj13ELNS0_17block_load_methodE3ELS4_3ELS4_3ELNS0_20block_scan_algorithmE0ELj4294967295EEENS1_25partition_config_selectorILNS1_17partition_subalgoE4EjNS0_10empty_typeEbEEZZNS1_14partition_implILS8_4ELb0ES6_15HIP_vector_typeIjLj2EENS0_17counting_iteratorIjlEEPS9_SG_NS0_5tupleIJPjSI_NS0_16reverse_iteratorISI_EEEEENSH_IJSG_SG_SG_EEES9_SI_JZNS1_25segmented_radix_sort_implINS0_14default_configELb1EPKbPbPKlPlN2at6native12_GLOBAL__N_18offset_tEEE10hipError_tPvRmT1_PNSt15iterator_traitsIS12_E10value_typeET2_T3_PNS13_IS18_E10value_typeET4_jRbjT5_S1E_jjP12ihipStream_tbEUljE_ZNSN_ISO_Lb1ESQ_SR_ST_SU_SY_EESZ_S10_S11_S12_S16_S17_S18_S1B_S1C_jS1D_jS1E_S1E_jjS1G_bEUljE0_EEESZ_S10_S11_S18_S1C_S1E_T6_T7_T9_mT8_S1G_bDpT10_ENKUlT_T0_E_clISt17integral_constantIbLb0EES1T_IbLb1EEEEDaS1P_S1Q_EUlS1P_E_NS1_11comp_targetILNS1_3genE10ELNS1_11target_archE1200ELNS1_3gpuE4ELNS1_3repE0EEENS1_30default_config_static_selectorELNS0_4arch9wavefront6targetE1EEEvS12_
		.amdhsa_group_segment_fixed_size 0
		.amdhsa_private_segment_fixed_size 0
		.amdhsa_kernarg_size 184
		.amdhsa_user_sgpr_count 6
		.amdhsa_user_sgpr_private_segment_buffer 1
		.amdhsa_user_sgpr_dispatch_ptr 0
		.amdhsa_user_sgpr_queue_ptr 0
		.amdhsa_user_sgpr_kernarg_segment_ptr 1
		.amdhsa_user_sgpr_dispatch_id 0
		.amdhsa_user_sgpr_flat_scratch_init 0
		.amdhsa_user_sgpr_private_segment_size 0
		.amdhsa_uses_dynamic_stack 0
		.amdhsa_system_sgpr_private_segment_wavefront_offset 0
		.amdhsa_system_sgpr_workgroup_id_x 1
		.amdhsa_system_sgpr_workgroup_id_y 0
		.amdhsa_system_sgpr_workgroup_id_z 0
		.amdhsa_system_sgpr_workgroup_info 0
		.amdhsa_system_vgpr_workitem_id 0
		.amdhsa_next_free_vgpr 1
		.amdhsa_next_free_sgpr 0
		.amdhsa_reserve_vcc 0
		.amdhsa_reserve_flat_scratch 0
		.amdhsa_float_round_mode_32 0
		.amdhsa_float_round_mode_16_64 0
		.amdhsa_float_denorm_mode_32 3
		.amdhsa_float_denorm_mode_16_64 3
		.amdhsa_dx10_clamp 1
		.amdhsa_ieee_mode 1
		.amdhsa_fp16_overflow 0
		.amdhsa_exception_fp_ieee_invalid_op 0
		.amdhsa_exception_fp_denorm_src 0
		.amdhsa_exception_fp_ieee_div_zero 0
		.amdhsa_exception_fp_ieee_overflow 0
		.amdhsa_exception_fp_ieee_underflow 0
		.amdhsa_exception_fp_ieee_inexact 0
		.amdhsa_exception_int_div_zero 0
	.end_amdhsa_kernel
	.section	.text._ZN7rocprim17ROCPRIM_400000_NS6detail17trampoline_kernelINS0_13select_configILj256ELj13ELNS0_17block_load_methodE3ELS4_3ELS4_3ELNS0_20block_scan_algorithmE0ELj4294967295EEENS1_25partition_config_selectorILNS1_17partition_subalgoE4EjNS0_10empty_typeEbEEZZNS1_14partition_implILS8_4ELb0ES6_15HIP_vector_typeIjLj2EENS0_17counting_iteratorIjlEEPS9_SG_NS0_5tupleIJPjSI_NS0_16reverse_iteratorISI_EEEEENSH_IJSG_SG_SG_EEES9_SI_JZNS1_25segmented_radix_sort_implINS0_14default_configELb1EPKbPbPKlPlN2at6native12_GLOBAL__N_18offset_tEEE10hipError_tPvRmT1_PNSt15iterator_traitsIS12_E10value_typeET2_T3_PNS13_IS18_E10value_typeET4_jRbjT5_S1E_jjP12ihipStream_tbEUljE_ZNSN_ISO_Lb1ESQ_SR_ST_SU_SY_EESZ_S10_S11_S12_S16_S17_S18_S1B_S1C_jS1D_jS1E_S1E_jjS1G_bEUljE0_EEESZ_S10_S11_S18_S1C_S1E_T6_T7_T9_mT8_S1G_bDpT10_ENKUlT_T0_E_clISt17integral_constantIbLb0EES1T_IbLb1EEEEDaS1P_S1Q_EUlS1P_E_NS1_11comp_targetILNS1_3genE10ELNS1_11target_archE1200ELNS1_3gpuE4ELNS1_3repE0EEENS1_30default_config_static_selectorELNS0_4arch9wavefront6targetE1EEEvS12_,"axG",@progbits,_ZN7rocprim17ROCPRIM_400000_NS6detail17trampoline_kernelINS0_13select_configILj256ELj13ELNS0_17block_load_methodE3ELS4_3ELS4_3ELNS0_20block_scan_algorithmE0ELj4294967295EEENS1_25partition_config_selectorILNS1_17partition_subalgoE4EjNS0_10empty_typeEbEEZZNS1_14partition_implILS8_4ELb0ES6_15HIP_vector_typeIjLj2EENS0_17counting_iteratorIjlEEPS9_SG_NS0_5tupleIJPjSI_NS0_16reverse_iteratorISI_EEEEENSH_IJSG_SG_SG_EEES9_SI_JZNS1_25segmented_radix_sort_implINS0_14default_configELb1EPKbPbPKlPlN2at6native12_GLOBAL__N_18offset_tEEE10hipError_tPvRmT1_PNSt15iterator_traitsIS12_E10value_typeET2_T3_PNS13_IS18_E10value_typeET4_jRbjT5_S1E_jjP12ihipStream_tbEUljE_ZNSN_ISO_Lb1ESQ_SR_ST_SU_SY_EESZ_S10_S11_S12_S16_S17_S18_S1B_S1C_jS1D_jS1E_S1E_jjS1G_bEUljE0_EEESZ_S10_S11_S18_S1C_S1E_T6_T7_T9_mT8_S1G_bDpT10_ENKUlT_T0_E_clISt17integral_constantIbLb0EES1T_IbLb1EEEEDaS1P_S1Q_EUlS1P_E_NS1_11comp_targetILNS1_3genE10ELNS1_11target_archE1200ELNS1_3gpuE4ELNS1_3repE0EEENS1_30default_config_static_selectorELNS0_4arch9wavefront6targetE1EEEvS12_,comdat
.Lfunc_end1497:
	.size	_ZN7rocprim17ROCPRIM_400000_NS6detail17trampoline_kernelINS0_13select_configILj256ELj13ELNS0_17block_load_methodE3ELS4_3ELS4_3ELNS0_20block_scan_algorithmE0ELj4294967295EEENS1_25partition_config_selectorILNS1_17partition_subalgoE4EjNS0_10empty_typeEbEEZZNS1_14partition_implILS8_4ELb0ES6_15HIP_vector_typeIjLj2EENS0_17counting_iteratorIjlEEPS9_SG_NS0_5tupleIJPjSI_NS0_16reverse_iteratorISI_EEEEENSH_IJSG_SG_SG_EEES9_SI_JZNS1_25segmented_radix_sort_implINS0_14default_configELb1EPKbPbPKlPlN2at6native12_GLOBAL__N_18offset_tEEE10hipError_tPvRmT1_PNSt15iterator_traitsIS12_E10value_typeET2_T3_PNS13_IS18_E10value_typeET4_jRbjT5_S1E_jjP12ihipStream_tbEUljE_ZNSN_ISO_Lb1ESQ_SR_ST_SU_SY_EESZ_S10_S11_S12_S16_S17_S18_S1B_S1C_jS1D_jS1E_S1E_jjS1G_bEUljE0_EEESZ_S10_S11_S18_S1C_S1E_T6_T7_T9_mT8_S1G_bDpT10_ENKUlT_T0_E_clISt17integral_constantIbLb0EES1T_IbLb1EEEEDaS1P_S1Q_EUlS1P_E_NS1_11comp_targetILNS1_3genE10ELNS1_11target_archE1200ELNS1_3gpuE4ELNS1_3repE0EEENS1_30default_config_static_selectorELNS0_4arch9wavefront6targetE1EEEvS12_, .Lfunc_end1497-_ZN7rocprim17ROCPRIM_400000_NS6detail17trampoline_kernelINS0_13select_configILj256ELj13ELNS0_17block_load_methodE3ELS4_3ELS4_3ELNS0_20block_scan_algorithmE0ELj4294967295EEENS1_25partition_config_selectorILNS1_17partition_subalgoE4EjNS0_10empty_typeEbEEZZNS1_14partition_implILS8_4ELb0ES6_15HIP_vector_typeIjLj2EENS0_17counting_iteratorIjlEEPS9_SG_NS0_5tupleIJPjSI_NS0_16reverse_iteratorISI_EEEEENSH_IJSG_SG_SG_EEES9_SI_JZNS1_25segmented_radix_sort_implINS0_14default_configELb1EPKbPbPKlPlN2at6native12_GLOBAL__N_18offset_tEEE10hipError_tPvRmT1_PNSt15iterator_traitsIS12_E10value_typeET2_T3_PNS13_IS18_E10value_typeET4_jRbjT5_S1E_jjP12ihipStream_tbEUljE_ZNSN_ISO_Lb1ESQ_SR_ST_SU_SY_EESZ_S10_S11_S12_S16_S17_S18_S1B_S1C_jS1D_jS1E_S1E_jjS1G_bEUljE0_EEESZ_S10_S11_S18_S1C_S1E_T6_T7_T9_mT8_S1G_bDpT10_ENKUlT_T0_E_clISt17integral_constantIbLb0EES1T_IbLb1EEEEDaS1P_S1Q_EUlS1P_E_NS1_11comp_targetILNS1_3genE10ELNS1_11target_archE1200ELNS1_3gpuE4ELNS1_3repE0EEENS1_30default_config_static_selectorELNS0_4arch9wavefront6targetE1EEEvS12_
                                        ; -- End function
	.set _ZN7rocprim17ROCPRIM_400000_NS6detail17trampoline_kernelINS0_13select_configILj256ELj13ELNS0_17block_load_methodE3ELS4_3ELS4_3ELNS0_20block_scan_algorithmE0ELj4294967295EEENS1_25partition_config_selectorILNS1_17partition_subalgoE4EjNS0_10empty_typeEbEEZZNS1_14partition_implILS8_4ELb0ES6_15HIP_vector_typeIjLj2EENS0_17counting_iteratorIjlEEPS9_SG_NS0_5tupleIJPjSI_NS0_16reverse_iteratorISI_EEEEENSH_IJSG_SG_SG_EEES9_SI_JZNS1_25segmented_radix_sort_implINS0_14default_configELb1EPKbPbPKlPlN2at6native12_GLOBAL__N_18offset_tEEE10hipError_tPvRmT1_PNSt15iterator_traitsIS12_E10value_typeET2_T3_PNS13_IS18_E10value_typeET4_jRbjT5_S1E_jjP12ihipStream_tbEUljE_ZNSN_ISO_Lb1ESQ_SR_ST_SU_SY_EESZ_S10_S11_S12_S16_S17_S18_S1B_S1C_jS1D_jS1E_S1E_jjS1G_bEUljE0_EEESZ_S10_S11_S18_S1C_S1E_T6_T7_T9_mT8_S1G_bDpT10_ENKUlT_T0_E_clISt17integral_constantIbLb0EES1T_IbLb1EEEEDaS1P_S1Q_EUlS1P_E_NS1_11comp_targetILNS1_3genE10ELNS1_11target_archE1200ELNS1_3gpuE4ELNS1_3repE0EEENS1_30default_config_static_selectorELNS0_4arch9wavefront6targetE1EEEvS12_.num_vgpr, 0
	.set _ZN7rocprim17ROCPRIM_400000_NS6detail17trampoline_kernelINS0_13select_configILj256ELj13ELNS0_17block_load_methodE3ELS4_3ELS4_3ELNS0_20block_scan_algorithmE0ELj4294967295EEENS1_25partition_config_selectorILNS1_17partition_subalgoE4EjNS0_10empty_typeEbEEZZNS1_14partition_implILS8_4ELb0ES6_15HIP_vector_typeIjLj2EENS0_17counting_iteratorIjlEEPS9_SG_NS0_5tupleIJPjSI_NS0_16reverse_iteratorISI_EEEEENSH_IJSG_SG_SG_EEES9_SI_JZNS1_25segmented_radix_sort_implINS0_14default_configELb1EPKbPbPKlPlN2at6native12_GLOBAL__N_18offset_tEEE10hipError_tPvRmT1_PNSt15iterator_traitsIS12_E10value_typeET2_T3_PNS13_IS18_E10value_typeET4_jRbjT5_S1E_jjP12ihipStream_tbEUljE_ZNSN_ISO_Lb1ESQ_SR_ST_SU_SY_EESZ_S10_S11_S12_S16_S17_S18_S1B_S1C_jS1D_jS1E_S1E_jjS1G_bEUljE0_EEESZ_S10_S11_S18_S1C_S1E_T6_T7_T9_mT8_S1G_bDpT10_ENKUlT_T0_E_clISt17integral_constantIbLb0EES1T_IbLb1EEEEDaS1P_S1Q_EUlS1P_E_NS1_11comp_targetILNS1_3genE10ELNS1_11target_archE1200ELNS1_3gpuE4ELNS1_3repE0EEENS1_30default_config_static_selectorELNS0_4arch9wavefront6targetE1EEEvS12_.num_agpr, 0
	.set _ZN7rocprim17ROCPRIM_400000_NS6detail17trampoline_kernelINS0_13select_configILj256ELj13ELNS0_17block_load_methodE3ELS4_3ELS4_3ELNS0_20block_scan_algorithmE0ELj4294967295EEENS1_25partition_config_selectorILNS1_17partition_subalgoE4EjNS0_10empty_typeEbEEZZNS1_14partition_implILS8_4ELb0ES6_15HIP_vector_typeIjLj2EENS0_17counting_iteratorIjlEEPS9_SG_NS0_5tupleIJPjSI_NS0_16reverse_iteratorISI_EEEEENSH_IJSG_SG_SG_EEES9_SI_JZNS1_25segmented_radix_sort_implINS0_14default_configELb1EPKbPbPKlPlN2at6native12_GLOBAL__N_18offset_tEEE10hipError_tPvRmT1_PNSt15iterator_traitsIS12_E10value_typeET2_T3_PNS13_IS18_E10value_typeET4_jRbjT5_S1E_jjP12ihipStream_tbEUljE_ZNSN_ISO_Lb1ESQ_SR_ST_SU_SY_EESZ_S10_S11_S12_S16_S17_S18_S1B_S1C_jS1D_jS1E_S1E_jjS1G_bEUljE0_EEESZ_S10_S11_S18_S1C_S1E_T6_T7_T9_mT8_S1G_bDpT10_ENKUlT_T0_E_clISt17integral_constantIbLb0EES1T_IbLb1EEEEDaS1P_S1Q_EUlS1P_E_NS1_11comp_targetILNS1_3genE10ELNS1_11target_archE1200ELNS1_3gpuE4ELNS1_3repE0EEENS1_30default_config_static_selectorELNS0_4arch9wavefront6targetE1EEEvS12_.numbered_sgpr, 0
	.set _ZN7rocprim17ROCPRIM_400000_NS6detail17trampoline_kernelINS0_13select_configILj256ELj13ELNS0_17block_load_methodE3ELS4_3ELS4_3ELNS0_20block_scan_algorithmE0ELj4294967295EEENS1_25partition_config_selectorILNS1_17partition_subalgoE4EjNS0_10empty_typeEbEEZZNS1_14partition_implILS8_4ELb0ES6_15HIP_vector_typeIjLj2EENS0_17counting_iteratorIjlEEPS9_SG_NS0_5tupleIJPjSI_NS0_16reverse_iteratorISI_EEEEENSH_IJSG_SG_SG_EEES9_SI_JZNS1_25segmented_radix_sort_implINS0_14default_configELb1EPKbPbPKlPlN2at6native12_GLOBAL__N_18offset_tEEE10hipError_tPvRmT1_PNSt15iterator_traitsIS12_E10value_typeET2_T3_PNS13_IS18_E10value_typeET4_jRbjT5_S1E_jjP12ihipStream_tbEUljE_ZNSN_ISO_Lb1ESQ_SR_ST_SU_SY_EESZ_S10_S11_S12_S16_S17_S18_S1B_S1C_jS1D_jS1E_S1E_jjS1G_bEUljE0_EEESZ_S10_S11_S18_S1C_S1E_T6_T7_T9_mT8_S1G_bDpT10_ENKUlT_T0_E_clISt17integral_constantIbLb0EES1T_IbLb1EEEEDaS1P_S1Q_EUlS1P_E_NS1_11comp_targetILNS1_3genE10ELNS1_11target_archE1200ELNS1_3gpuE4ELNS1_3repE0EEENS1_30default_config_static_selectorELNS0_4arch9wavefront6targetE1EEEvS12_.num_named_barrier, 0
	.set _ZN7rocprim17ROCPRIM_400000_NS6detail17trampoline_kernelINS0_13select_configILj256ELj13ELNS0_17block_load_methodE3ELS4_3ELS4_3ELNS0_20block_scan_algorithmE0ELj4294967295EEENS1_25partition_config_selectorILNS1_17partition_subalgoE4EjNS0_10empty_typeEbEEZZNS1_14partition_implILS8_4ELb0ES6_15HIP_vector_typeIjLj2EENS0_17counting_iteratorIjlEEPS9_SG_NS0_5tupleIJPjSI_NS0_16reverse_iteratorISI_EEEEENSH_IJSG_SG_SG_EEES9_SI_JZNS1_25segmented_radix_sort_implINS0_14default_configELb1EPKbPbPKlPlN2at6native12_GLOBAL__N_18offset_tEEE10hipError_tPvRmT1_PNSt15iterator_traitsIS12_E10value_typeET2_T3_PNS13_IS18_E10value_typeET4_jRbjT5_S1E_jjP12ihipStream_tbEUljE_ZNSN_ISO_Lb1ESQ_SR_ST_SU_SY_EESZ_S10_S11_S12_S16_S17_S18_S1B_S1C_jS1D_jS1E_S1E_jjS1G_bEUljE0_EEESZ_S10_S11_S18_S1C_S1E_T6_T7_T9_mT8_S1G_bDpT10_ENKUlT_T0_E_clISt17integral_constantIbLb0EES1T_IbLb1EEEEDaS1P_S1Q_EUlS1P_E_NS1_11comp_targetILNS1_3genE10ELNS1_11target_archE1200ELNS1_3gpuE4ELNS1_3repE0EEENS1_30default_config_static_selectorELNS0_4arch9wavefront6targetE1EEEvS12_.private_seg_size, 0
	.set _ZN7rocprim17ROCPRIM_400000_NS6detail17trampoline_kernelINS0_13select_configILj256ELj13ELNS0_17block_load_methodE3ELS4_3ELS4_3ELNS0_20block_scan_algorithmE0ELj4294967295EEENS1_25partition_config_selectorILNS1_17partition_subalgoE4EjNS0_10empty_typeEbEEZZNS1_14partition_implILS8_4ELb0ES6_15HIP_vector_typeIjLj2EENS0_17counting_iteratorIjlEEPS9_SG_NS0_5tupleIJPjSI_NS0_16reverse_iteratorISI_EEEEENSH_IJSG_SG_SG_EEES9_SI_JZNS1_25segmented_radix_sort_implINS0_14default_configELb1EPKbPbPKlPlN2at6native12_GLOBAL__N_18offset_tEEE10hipError_tPvRmT1_PNSt15iterator_traitsIS12_E10value_typeET2_T3_PNS13_IS18_E10value_typeET4_jRbjT5_S1E_jjP12ihipStream_tbEUljE_ZNSN_ISO_Lb1ESQ_SR_ST_SU_SY_EESZ_S10_S11_S12_S16_S17_S18_S1B_S1C_jS1D_jS1E_S1E_jjS1G_bEUljE0_EEESZ_S10_S11_S18_S1C_S1E_T6_T7_T9_mT8_S1G_bDpT10_ENKUlT_T0_E_clISt17integral_constantIbLb0EES1T_IbLb1EEEEDaS1P_S1Q_EUlS1P_E_NS1_11comp_targetILNS1_3genE10ELNS1_11target_archE1200ELNS1_3gpuE4ELNS1_3repE0EEENS1_30default_config_static_selectorELNS0_4arch9wavefront6targetE1EEEvS12_.uses_vcc, 0
	.set _ZN7rocprim17ROCPRIM_400000_NS6detail17trampoline_kernelINS0_13select_configILj256ELj13ELNS0_17block_load_methodE3ELS4_3ELS4_3ELNS0_20block_scan_algorithmE0ELj4294967295EEENS1_25partition_config_selectorILNS1_17partition_subalgoE4EjNS0_10empty_typeEbEEZZNS1_14partition_implILS8_4ELb0ES6_15HIP_vector_typeIjLj2EENS0_17counting_iteratorIjlEEPS9_SG_NS0_5tupleIJPjSI_NS0_16reverse_iteratorISI_EEEEENSH_IJSG_SG_SG_EEES9_SI_JZNS1_25segmented_radix_sort_implINS0_14default_configELb1EPKbPbPKlPlN2at6native12_GLOBAL__N_18offset_tEEE10hipError_tPvRmT1_PNSt15iterator_traitsIS12_E10value_typeET2_T3_PNS13_IS18_E10value_typeET4_jRbjT5_S1E_jjP12ihipStream_tbEUljE_ZNSN_ISO_Lb1ESQ_SR_ST_SU_SY_EESZ_S10_S11_S12_S16_S17_S18_S1B_S1C_jS1D_jS1E_S1E_jjS1G_bEUljE0_EEESZ_S10_S11_S18_S1C_S1E_T6_T7_T9_mT8_S1G_bDpT10_ENKUlT_T0_E_clISt17integral_constantIbLb0EES1T_IbLb1EEEEDaS1P_S1Q_EUlS1P_E_NS1_11comp_targetILNS1_3genE10ELNS1_11target_archE1200ELNS1_3gpuE4ELNS1_3repE0EEENS1_30default_config_static_selectorELNS0_4arch9wavefront6targetE1EEEvS12_.uses_flat_scratch, 0
	.set _ZN7rocprim17ROCPRIM_400000_NS6detail17trampoline_kernelINS0_13select_configILj256ELj13ELNS0_17block_load_methodE3ELS4_3ELS4_3ELNS0_20block_scan_algorithmE0ELj4294967295EEENS1_25partition_config_selectorILNS1_17partition_subalgoE4EjNS0_10empty_typeEbEEZZNS1_14partition_implILS8_4ELb0ES6_15HIP_vector_typeIjLj2EENS0_17counting_iteratorIjlEEPS9_SG_NS0_5tupleIJPjSI_NS0_16reverse_iteratorISI_EEEEENSH_IJSG_SG_SG_EEES9_SI_JZNS1_25segmented_radix_sort_implINS0_14default_configELb1EPKbPbPKlPlN2at6native12_GLOBAL__N_18offset_tEEE10hipError_tPvRmT1_PNSt15iterator_traitsIS12_E10value_typeET2_T3_PNS13_IS18_E10value_typeET4_jRbjT5_S1E_jjP12ihipStream_tbEUljE_ZNSN_ISO_Lb1ESQ_SR_ST_SU_SY_EESZ_S10_S11_S12_S16_S17_S18_S1B_S1C_jS1D_jS1E_S1E_jjS1G_bEUljE0_EEESZ_S10_S11_S18_S1C_S1E_T6_T7_T9_mT8_S1G_bDpT10_ENKUlT_T0_E_clISt17integral_constantIbLb0EES1T_IbLb1EEEEDaS1P_S1Q_EUlS1P_E_NS1_11comp_targetILNS1_3genE10ELNS1_11target_archE1200ELNS1_3gpuE4ELNS1_3repE0EEENS1_30default_config_static_selectorELNS0_4arch9wavefront6targetE1EEEvS12_.has_dyn_sized_stack, 0
	.set _ZN7rocprim17ROCPRIM_400000_NS6detail17trampoline_kernelINS0_13select_configILj256ELj13ELNS0_17block_load_methodE3ELS4_3ELS4_3ELNS0_20block_scan_algorithmE0ELj4294967295EEENS1_25partition_config_selectorILNS1_17partition_subalgoE4EjNS0_10empty_typeEbEEZZNS1_14partition_implILS8_4ELb0ES6_15HIP_vector_typeIjLj2EENS0_17counting_iteratorIjlEEPS9_SG_NS0_5tupleIJPjSI_NS0_16reverse_iteratorISI_EEEEENSH_IJSG_SG_SG_EEES9_SI_JZNS1_25segmented_radix_sort_implINS0_14default_configELb1EPKbPbPKlPlN2at6native12_GLOBAL__N_18offset_tEEE10hipError_tPvRmT1_PNSt15iterator_traitsIS12_E10value_typeET2_T3_PNS13_IS18_E10value_typeET4_jRbjT5_S1E_jjP12ihipStream_tbEUljE_ZNSN_ISO_Lb1ESQ_SR_ST_SU_SY_EESZ_S10_S11_S12_S16_S17_S18_S1B_S1C_jS1D_jS1E_S1E_jjS1G_bEUljE0_EEESZ_S10_S11_S18_S1C_S1E_T6_T7_T9_mT8_S1G_bDpT10_ENKUlT_T0_E_clISt17integral_constantIbLb0EES1T_IbLb1EEEEDaS1P_S1Q_EUlS1P_E_NS1_11comp_targetILNS1_3genE10ELNS1_11target_archE1200ELNS1_3gpuE4ELNS1_3repE0EEENS1_30default_config_static_selectorELNS0_4arch9wavefront6targetE1EEEvS12_.has_recursion, 0
	.set _ZN7rocprim17ROCPRIM_400000_NS6detail17trampoline_kernelINS0_13select_configILj256ELj13ELNS0_17block_load_methodE3ELS4_3ELS4_3ELNS0_20block_scan_algorithmE0ELj4294967295EEENS1_25partition_config_selectorILNS1_17partition_subalgoE4EjNS0_10empty_typeEbEEZZNS1_14partition_implILS8_4ELb0ES6_15HIP_vector_typeIjLj2EENS0_17counting_iteratorIjlEEPS9_SG_NS0_5tupleIJPjSI_NS0_16reverse_iteratorISI_EEEEENSH_IJSG_SG_SG_EEES9_SI_JZNS1_25segmented_radix_sort_implINS0_14default_configELb1EPKbPbPKlPlN2at6native12_GLOBAL__N_18offset_tEEE10hipError_tPvRmT1_PNSt15iterator_traitsIS12_E10value_typeET2_T3_PNS13_IS18_E10value_typeET4_jRbjT5_S1E_jjP12ihipStream_tbEUljE_ZNSN_ISO_Lb1ESQ_SR_ST_SU_SY_EESZ_S10_S11_S12_S16_S17_S18_S1B_S1C_jS1D_jS1E_S1E_jjS1G_bEUljE0_EEESZ_S10_S11_S18_S1C_S1E_T6_T7_T9_mT8_S1G_bDpT10_ENKUlT_T0_E_clISt17integral_constantIbLb0EES1T_IbLb1EEEEDaS1P_S1Q_EUlS1P_E_NS1_11comp_targetILNS1_3genE10ELNS1_11target_archE1200ELNS1_3gpuE4ELNS1_3repE0EEENS1_30default_config_static_selectorELNS0_4arch9wavefront6targetE1EEEvS12_.has_indirect_call, 0
	.section	.AMDGPU.csdata,"",@progbits
; Kernel info:
; codeLenInByte = 0
; TotalNumSgprs: 4
; NumVgprs: 0
; ScratchSize: 0
; MemoryBound: 0
; FloatMode: 240
; IeeeMode: 1
; LDSByteSize: 0 bytes/workgroup (compile time only)
; SGPRBlocks: 0
; VGPRBlocks: 0
; NumSGPRsForWavesPerEU: 4
; NumVGPRsForWavesPerEU: 1
; Occupancy: 10
; WaveLimiterHint : 0
; COMPUTE_PGM_RSRC2:SCRATCH_EN: 0
; COMPUTE_PGM_RSRC2:USER_SGPR: 6
; COMPUTE_PGM_RSRC2:TRAP_HANDLER: 0
; COMPUTE_PGM_RSRC2:TGID_X_EN: 1
; COMPUTE_PGM_RSRC2:TGID_Y_EN: 0
; COMPUTE_PGM_RSRC2:TGID_Z_EN: 0
; COMPUTE_PGM_RSRC2:TIDIG_COMP_CNT: 0
	.section	.text._ZN7rocprim17ROCPRIM_400000_NS6detail17trampoline_kernelINS0_13select_configILj256ELj13ELNS0_17block_load_methodE3ELS4_3ELS4_3ELNS0_20block_scan_algorithmE0ELj4294967295EEENS1_25partition_config_selectorILNS1_17partition_subalgoE4EjNS0_10empty_typeEbEEZZNS1_14partition_implILS8_4ELb0ES6_15HIP_vector_typeIjLj2EENS0_17counting_iteratorIjlEEPS9_SG_NS0_5tupleIJPjSI_NS0_16reverse_iteratorISI_EEEEENSH_IJSG_SG_SG_EEES9_SI_JZNS1_25segmented_radix_sort_implINS0_14default_configELb1EPKbPbPKlPlN2at6native12_GLOBAL__N_18offset_tEEE10hipError_tPvRmT1_PNSt15iterator_traitsIS12_E10value_typeET2_T3_PNS13_IS18_E10value_typeET4_jRbjT5_S1E_jjP12ihipStream_tbEUljE_ZNSN_ISO_Lb1ESQ_SR_ST_SU_SY_EESZ_S10_S11_S12_S16_S17_S18_S1B_S1C_jS1D_jS1E_S1E_jjS1G_bEUljE0_EEESZ_S10_S11_S18_S1C_S1E_T6_T7_T9_mT8_S1G_bDpT10_ENKUlT_T0_E_clISt17integral_constantIbLb0EES1T_IbLb1EEEEDaS1P_S1Q_EUlS1P_E_NS1_11comp_targetILNS1_3genE9ELNS1_11target_archE1100ELNS1_3gpuE3ELNS1_3repE0EEENS1_30default_config_static_selectorELNS0_4arch9wavefront6targetE1EEEvS12_,"axG",@progbits,_ZN7rocprim17ROCPRIM_400000_NS6detail17trampoline_kernelINS0_13select_configILj256ELj13ELNS0_17block_load_methodE3ELS4_3ELS4_3ELNS0_20block_scan_algorithmE0ELj4294967295EEENS1_25partition_config_selectorILNS1_17partition_subalgoE4EjNS0_10empty_typeEbEEZZNS1_14partition_implILS8_4ELb0ES6_15HIP_vector_typeIjLj2EENS0_17counting_iteratorIjlEEPS9_SG_NS0_5tupleIJPjSI_NS0_16reverse_iteratorISI_EEEEENSH_IJSG_SG_SG_EEES9_SI_JZNS1_25segmented_radix_sort_implINS0_14default_configELb1EPKbPbPKlPlN2at6native12_GLOBAL__N_18offset_tEEE10hipError_tPvRmT1_PNSt15iterator_traitsIS12_E10value_typeET2_T3_PNS13_IS18_E10value_typeET4_jRbjT5_S1E_jjP12ihipStream_tbEUljE_ZNSN_ISO_Lb1ESQ_SR_ST_SU_SY_EESZ_S10_S11_S12_S16_S17_S18_S1B_S1C_jS1D_jS1E_S1E_jjS1G_bEUljE0_EEESZ_S10_S11_S18_S1C_S1E_T6_T7_T9_mT8_S1G_bDpT10_ENKUlT_T0_E_clISt17integral_constantIbLb0EES1T_IbLb1EEEEDaS1P_S1Q_EUlS1P_E_NS1_11comp_targetILNS1_3genE9ELNS1_11target_archE1100ELNS1_3gpuE3ELNS1_3repE0EEENS1_30default_config_static_selectorELNS0_4arch9wavefront6targetE1EEEvS12_,comdat
	.globl	_ZN7rocprim17ROCPRIM_400000_NS6detail17trampoline_kernelINS0_13select_configILj256ELj13ELNS0_17block_load_methodE3ELS4_3ELS4_3ELNS0_20block_scan_algorithmE0ELj4294967295EEENS1_25partition_config_selectorILNS1_17partition_subalgoE4EjNS0_10empty_typeEbEEZZNS1_14partition_implILS8_4ELb0ES6_15HIP_vector_typeIjLj2EENS0_17counting_iteratorIjlEEPS9_SG_NS0_5tupleIJPjSI_NS0_16reverse_iteratorISI_EEEEENSH_IJSG_SG_SG_EEES9_SI_JZNS1_25segmented_radix_sort_implINS0_14default_configELb1EPKbPbPKlPlN2at6native12_GLOBAL__N_18offset_tEEE10hipError_tPvRmT1_PNSt15iterator_traitsIS12_E10value_typeET2_T3_PNS13_IS18_E10value_typeET4_jRbjT5_S1E_jjP12ihipStream_tbEUljE_ZNSN_ISO_Lb1ESQ_SR_ST_SU_SY_EESZ_S10_S11_S12_S16_S17_S18_S1B_S1C_jS1D_jS1E_S1E_jjS1G_bEUljE0_EEESZ_S10_S11_S18_S1C_S1E_T6_T7_T9_mT8_S1G_bDpT10_ENKUlT_T0_E_clISt17integral_constantIbLb0EES1T_IbLb1EEEEDaS1P_S1Q_EUlS1P_E_NS1_11comp_targetILNS1_3genE9ELNS1_11target_archE1100ELNS1_3gpuE3ELNS1_3repE0EEENS1_30default_config_static_selectorELNS0_4arch9wavefront6targetE1EEEvS12_ ; -- Begin function _ZN7rocprim17ROCPRIM_400000_NS6detail17trampoline_kernelINS0_13select_configILj256ELj13ELNS0_17block_load_methodE3ELS4_3ELS4_3ELNS0_20block_scan_algorithmE0ELj4294967295EEENS1_25partition_config_selectorILNS1_17partition_subalgoE4EjNS0_10empty_typeEbEEZZNS1_14partition_implILS8_4ELb0ES6_15HIP_vector_typeIjLj2EENS0_17counting_iteratorIjlEEPS9_SG_NS0_5tupleIJPjSI_NS0_16reverse_iteratorISI_EEEEENSH_IJSG_SG_SG_EEES9_SI_JZNS1_25segmented_radix_sort_implINS0_14default_configELb1EPKbPbPKlPlN2at6native12_GLOBAL__N_18offset_tEEE10hipError_tPvRmT1_PNSt15iterator_traitsIS12_E10value_typeET2_T3_PNS13_IS18_E10value_typeET4_jRbjT5_S1E_jjP12ihipStream_tbEUljE_ZNSN_ISO_Lb1ESQ_SR_ST_SU_SY_EESZ_S10_S11_S12_S16_S17_S18_S1B_S1C_jS1D_jS1E_S1E_jjS1G_bEUljE0_EEESZ_S10_S11_S18_S1C_S1E_T6_T7_T9_mT8_S1G_bDpT10_ENKUlT_T0_E_clISt17integral_constantIbLb0EES1T_IbLb1EEEEDaS1P_S1Q_EUlS1P_E_NS1_11comp_targetILNS1_3genE9ELNS1_11target_archE1100ELNS1_3gpuE3ELNS1_3repE0EEENS1_30default_config_static_selectorELNS0_4arch9wavefront6targetE1EEEvS12_
	.p2align	8
	.type	_ZN7rocprim17ROCPRIM_400000_NS6detail17trampoline_kernelINS0_13select_configILj256ELj13ELNS0_17block_load_methodE3ELS4_3ELS4_3ELNS0_20block_scan_algorithmE0ELj4294967295EEENS1_25partition_config_selectorILNS1_17partition_subalgoE4EjNS0_10empty_typeEbEEZZNS1_14partition_implILS8_4ELb0ES6_15HIP_vector_typeIjLj2EENS0_17counting_iteratorIjlEEPS9_SG_NS0_5tupleIJPjSI_NS0_16reverse_iteratorISI_EEEEENSH_IJSG_SG_SG_EEES9_SI_JZNS1_25segmented_radix_sort_implINS0_14default_configELb1EPKbPbPKlPlN2at6native12_GLOBAL__N_18offset_tEEE10hipError_tPvRmT1_PNSt15iterator_traitsIS12_E10value_typeET2_T3_PNS13_IS18_E10value_typeET4_jRbjT5_S1E_jjP12ihipStream_tbEUljE_ZNSN_ISO_Lb1ESQ_SR_ST_SU_SY_EESZ_S10_S11_S12_S16_S17_S18_S1B_S1C_jS1D_jS1E_S1E_jjS1G_bEUljE0_EEESZ_S10_S11_S18_S1C_S1E_T6_T7_T9_mT8_S1G_bDpT10_ENKUlT_T0_E_clISt17integral_constantIbLb0EES1T_IbLb1EEEEDaS1P_S1Q_EUlS1P_E_NS1_11comp_targetILNS1_3genE9ELNS1_11target_archE1100ELNS1_3gpuE3ELNS1_3repE0EEENS1_30default_config_static_selectorELNS0_4arch9wavefront6targetE1EEEvS12_,@function
_ZN7rocprim17ROCPRIM_400000_NS6detail17trampoline_kernelINS0_13select_configILj256ELj13ELNS0_17block_load_methodE3ELS4_3ELS4_3ELNS0_20block_scan_algorithmE0ELj4294967295EEENS1_25partition_config_selectorILNS1_17partition_subalgoE4EjNS0_10empty_typeEbEEZZNS1_14partition_implILS8_4ELb0ES6_15HIP_vector_typeIjLj2EENS0_17counting_iteratorIjlEEPS9_SG_NS0_5tupleIJPjSI_NS0_16reverse_iteratorISI_EEEEENSH_IJSG_SG_SG_EEES9_SI_JZNS1_25segmented_radix_sort_implINS0_14default_configELb1EPKbPbPKlPlN2at6native12_GLOBAL__N_18offset_tEEE10hipError_tPvRmT1_PNSt15iterator_traitsIS12_E10value_typeET2_T3_PNS13_IS18_E10value_typeET4_jRbjT5_S1E_jjP12ihipStream_tbEUljE_ZNSN_ISO_Lb1ESQ_SR_ST_SU_SY_EESZ_S10_S11_S12_S16_S17_S18_S1B_S1C_jS1D_jS1E_S1E_jjS1G_bEUljE0_EEESZ_S10_S11_S18_S1C_S1E_T6_T7_T9_mT8_S1G_bDpT10_ENKUlT_T0_E_clISt17integral_constantIbLb0EES1T_IbLb1EEEEDaS1P_S1Q_EUlS1P_E_NS1_11comp_targetILNS1_3genE9ELNS1_11target_archE1100ELNS1_3gpuE3ELNS1_3repE0EEENS1_30default_config_static_selectorELNS0_4arch9wavefront6targetE1EEEvS12_: ; @_ZN7rocprim17ROCPRIM_400000_NS6detail17trampoline_kernelINS0_13select_configILj256ELj13ELNS0_17block_load_methodE3ELS4_3ELS4_3ELNS0_20block_scan_algorithmE0ELj4294967295EEENS1_25partition_config_selectorILNS1_17partition_subalgoE4EjNS0_10empty_typeEbEEZZNS1_14partition_implILS8_4ELb0ES6_15HIP_vector_typeIjLj2EENS0_17counting_iteratorIjlEEPS9_SG_NS0_5tupleIJPjSI_NS0_16reverse_iteratorISI_EEEEENSH_IJSG_SG_SG_EEES9_SI_JZNS1_25segmented_radix_sort_implINS0_14default_configELb1EPKbPbPKlPlN2at6native12_GLOBAL__N_18offset_tEEE10hipError_tPvRmT1_PNSt15iterator_traitsIS12_E10value_typeET2_T3_PNS13_IS18_E10value_typeET4_jRbjT5_S1E_jjP12ihipStream_tbEUljE_ZNSN_ISO_Lb1ESQ_SR_ST_SU_SY_EESZ_S10_S11_S12_S16_S17_S18_S1B_S1C_jS1D_jS1E_S1E_jjS1G_bEUljE0_EEESZ_S10_S11_S18_S1C_S1E_T6_T7_T9_mT8_S1G_bDpT10_ENKUlT_T0_E_clISt17integral_constantIbLb0EES1T_IbLb1EEEEDaS1P_S1Q_EUlS1P_E_NS1_11comp_targetILNS1_3genE9ELNS1_11target_archE1100ELNS1_3gpuE3ELNS1_3repE0EEENS1_30default_config_static_selectorELNS0_4arch9wavefront6targetE1EEEvS12_
; %bb.0:
	.section	.rodata,"a",@progbits
	.p2align	6, 0x0
	.amdhsa_kernel _ZN7rocprim17ROCPRIM_400000_NS6detail17trampoline_kernelINS0_13select_configILj256ELj13ELNS0_17block_load_methodE3ELS4_3ELS4_3ELNS0_20block_scan_algorithmE0ELj4294967295EEENS1_25partition_config_selectorILNS1_17partition_subalgoE4EjNS0_10empty_typeEbEEZZNS1_14partition_implILS8_4ELb0ES6_15HIP_vector_typeIjLj2EENS0_17counting_iteratorIjlEEPS9_SG_NS0_5tupleIJPjSI_NS0_16reverse_iteratorISI_EEEEENSH_IJSG_SG_SG_EEES9_SI_JZNS1_25segmented_radix_sort_implINS0_14default_configELb1EPKbPbPKlPlN2at6native12_GLOBAL__N_18offset_tEEE10hipError_tPvRmT1_PNSt15iterator_traitsIS12_E10value_typeET2_T3_PNS13_IS18_E10value_typeET4_jRbjT5_S1E_jjP12ihipStream_tbEUljE_ZNSN_ISO_Lb1ESQ_SR_ST_SU_SY_EESZ_S10_S11_S12_S16_S17_S18_S1B_S1C_jS1D_jS1E_S1E_jjS1G_bEUljE0_EEESZ_S10_S11_S18_S1C_S1E_T6_T7_T9_mT8_S1G_bDpT10_ENKUlT_T0_E_clISt17integral_constantIbLb0EES1T_IbLb1EEEEDaS1P_S1Q_EUlS1P_E_NS1_11comp_targetILNS1_3genE9ELNS1_11target_archE1100ELNS1_3gpuE3ELNS1_3repE0EEENS1_30default_config_static_selectorELNS0_4arch9wavefront6targetE1EEEvS12_
		.amdhsa_group_segment_fixed_size 0
		.amdhsa_private_segment_fixed_size 0
		.amdhsa_kernarg_size 184
		.amdhsa_user_sgpr_count 6
		.amdhsa_user_sgpr_private_segment_buffer 1
		.amdhsa_user_sgpr_dispatch_ptr 0
		.amdhsa_user_sgpr_queue_ptr 0
		.amdhsa_user_sgpr_kernarg_segment_ptr 1
		.amdhsa_user_sgpr_dispatch_id 0
		.amdhsa_user_sgpr_flat_scratch_init 0
		.amdhsa_user_sgpr_private_segment_size 0
		.amdhsa_uses_dynamic_stack 0
		.amdhsa_system_sgpr_private_segment_wavefront_offset 0
		.amdhsa_system_sgpr_workgroup_id_x 1
		.amdhsa_system_sgpr_workgroup_id_y 0
		.amdhsa_system_sgpr_workgroup_id_z 0
		.amdhsa_system_sgpr_workgroup_info 0
		.amdhsa_system_vgpr_workitem_id 0
		.amdhsa_next_free_vgpr 1
		.amdhsa_next_free_sgpr 0
		.amdhsa_reserve_vcc 0
		.amdhsa_reserve_flat_scratch 0
		.amdhsa_float_round_mode_32 0
		.amdhsa_float_round_mode_16_64 0
		.amdhsa_float_denorm_mode_32 3
		.amdhsa_float_denorm_mode_16_64 3
		.amdhsa_dx10_clamp 1
		.amdhsa_ieee_mode 1
		.amdhsa_fp16_overflow 0
		.amdhsa_exception_fp_ieee_invalid_op 0
		.amdhsa_exception_fp_denorm_src 0
		.amdhsa_exception_fp_ieee_div_zero 0
		.amdhsa_exception_fp_ieee_overflow 0
		.amdhsa_exception_fp_ieee_underflow 0
		.amdhsa_exception_fp_ieee_inexact 0
		.amdhsa_exception_int_div_zero 0
	.end_amdhsa_kernel
	.section	.text._ZN7rocprim17ROCPRIM_400000_NS6detail17trampoline_kernelINS0_13select_configILj256ELj13ELNS0_17block_load_methodE3ELS4_3ELS4_3ELNS0_20block_scan_algorithmE0ELj4294967295EEENS1_25partition_config_selectorILNS1_17partition_subalgoE4EjNS0_10empty_typeEbEEZZNS1_14partition_implILS8_4ELb0ES6_15HIP_vector_typeIjLj2EENS0_17counting_iteratorIjlEEPS9_SG_NS0_5tupleIJPjSI_NS0_16reverse_iteratorISI_EEEEENSH_IJSG_SG_SG_EEES9_SI_JZNS1_25segmented_radix_sort_implINS0_14default_configELb1EPKbPbPKlPlN2at6native12_GLOBAL__N_18offset_tEEE10hipError_tPvRmT1_PNSt15iterator_traitsIS12_E10value_typeET2_T3_PNS13_IS18_E10value_typeET4_jRbjT5_S1E_jjP12ihipStream_tbEUljE_ZNSN_ISO_Lb1ESQ_SR_ST_SU_SY_EESZ_S10_S11_S12_S16_S17_S18_S1B_S1C_jS1D_jS1E_S1E_jjS1G_bEUljE0_EEESZ_S10_S11_S18_S1C_S1E_T6_T7_T9_mT8_S1G_bDpT10_ENKUlT_T0_E_clISt17integral_constantIbLb0EES1T_IbLb1EEEEDaS1P_S1Q_EUlS1P_E_NS1_11comp_targetILNS1_3genE9ELNS1_11target_archE1100ELNS1_3gpuE3ELNS1_3repE0EEENS1_30default_config_static_selectorELNS0_4arch9wavefront6targetE1EEEvS12_,"axG",@progbits,_ZN7rocprim17ROCPRIM_400000_NS6detail17trampoline_kernelINS0_13select_configILj256ELj13ELNS0_17block_load_methodE3ELS4_3ELS4_3ELNS0_20block_scan_algorithmE0ELj4294967295EEENS1_25partition_config_selectorILNS1_17partition_subalgoE4EjNS0_10empty_typeEbEEZZNS1_14partition_implILS8_4ELb0ES6_15HIP_vector_typeIjLj2EENS0_17counting_iteratorIjlEEPS9_SG_NS0_5tupleIJPjSI_NS0_16reverse_iteratorISI_EEEEENSH_IJSG_SG_SG_EEES9_SI_JZNS1_25segmented_radix_sort_implINS0_14default_configELb1EPKbPbPKlPlN2at6native12_GLOBAL__N_18offset_tEEE10hipError_tPvRmT1_PNSt15iterator_traitsIS12_E10value_typeET2_T3_PNS13_IS18_E10value_typeET4_jRbjT5_S1E_jjP12ihipStream_tbEUljE_ZNSN_ISO_Lb1ESQ_SR_ST_SU_SY_EESZ_S10_S11_S12_S16_S17_S18_S1B_S1C_jS1D_jS1E_S1E_jjS1G_bEUljE0_EEESZ_S10_S11_S18_S1C_S1E_T6_T7_T9_mT8_S1G_bDpT10_ENKUlT_T0_E_clISt17integral_constantIbLb0EES1T_IbLb1EEEEDaS1P_S1Q_EUlS1P_E_NS1_11comp_targetILNS1_3genE9ELNS1_11target_archE1100ELNS1_3gpuE3ELNS1_3repE0EEENS1_30default_config_static_selectorELNS0_4arch9wavefront6targetE1EEEvS12_,comdat
.Lfunc_end1498:
	.size	_ZN7rocprim17ROCPRIM_400000_NS6detail17trampoline_kernelINS0_13select_configILj256ELj13ELNS0_17block_load_methodE3ELS4_3ELS4_3ELNS0_20block_scan_algorithmE0ELj4294967295EEENS1_25partition_config_selectorILNS1_17partition_subalgoE4EjNS0_10empty_typeEbEEZZNS1_14partition_implILS8_4ELb0ES6_15HIP_vector_typeIjLj2EENS0_17counting_iteratorIjlEEPS9_SG_NS0_5tupleIJPjSI_NS0_16reverse_iteratorISI_EEEEENSH_IJSG_SG_SG_EEES9_SI_JZNS1_25segmented_radix_sort_implINS0_14default_configELb1EPKbPbPKlPlN2at6native12_GLOBAL__N_18offset_tEEE10hipError_tPvRmT1_PNSt15iterator_traitsIS12_E10value_typeET2_T3_PNS13_IS18_E10value_typeET4_jRbjT5_S1E_jjP12ihipStream_tbEUljE_ZNSN_ISO_Lb1ESQ_SR_ST_SU_SY_EESZ_S10_S11_S12_S16_S17_S18_S1B_S1C_jS1D_jS1E_S1E_jjS1G_bEUljE0_EEESZ_S10_S11_S18_S1C_S1E_T6_T7_T9_mT8_S1G_bDpT10_ENKUlT_T0_E_clISt17integral_constantIbLb0EES1T_IbLb1EEEEDaS1P_S1Q_EUlS1P_E_NS1_11comp_targetILNS1_3genE9ELNS1_11target_archE1100ELNS1_3gpuE3ELNS1_3repE0EEENS1_30default_config_static_selectorELNS0_4arch9wavefront6targetE1EEEvS12_, .Lfunc_end1498-_ZN7rocprim17ROCPRIM_400000_NS6detail17trampoline_kernelINS0_13select_configILj256ELj13ELNS0_17block_load_methodE3ELS4_3ELS4_3ELNS0_20block_scan_algorithmE0ELj4294967295EEENS1_25partition_config_selectorILNS1_17partition_subalgoE4EjNS0_10empty_typeEbEEZZNS1_14partition_implILS8_4ELb0ES6_15HIP_vector_typeIjLj2EENS0_17counting_iteratorIjlEEPS9_SG_NS0_5tupleIJPjSI_NS0_16reverse_iteratorISI_EEEEENSH_IJSG_SG_SG_EEES9_SI_JZNS1_25segmented_radix_sort_implINS0_14default_configELb1EPKbPbPKlPlN2at6native12_GLOBAL__N_18offset_tEEE10hipError_tPvRmT1_PNSt15iterator_traitsIS12_E10value_typeET2_T3_PNS13_IS18_E10value_typeET4_jRbjT5_S1E_jjP12ihipStream_tbEUljE_ZNSN_ISO_Lb1ESQ_SR_ST_SU_SY_EESZ_S10_S11_S12_S16_S17_S18_S1B_S1C_jS1D_jS1E_S1E_jjS1G_bEUljE0_EEESZ_S10_S11_S18_S1C_S1E_T6_T7_T9_mT8_S1G_bDpT10_ENKUlT_T0_E_clISt17integral_constantIbLb0EES1T_IbLb1EEEEDaS1P_S1Q_EUlS1P_E_NS1_11comp_targetILNS1_3genE9ELNS1_11target_archE1100ELNS1_3gpuE3ELNS1_3repE0EEENS1_30default_config_static_selectorELNS0_4arch9wavefront6targetE1EEEvS12_
                                        ; -- End function
	.set _ZN7rocprim17ROCPRIM_400000_NS6detail17trampoline_kernelINS0_13select_configILj256ELj13ELNS0_17block_load_methodE3ELS4_3ELS4_3ELNS0_20block_scan_algorithmE0ELj4294967295EEENS1_25partition_config_selectorILNS1_17partition_subalgoE4EjNS0_10empty_typeEbEEZZNS1_14partition_implILS8_4ELb0ES6_15HIP_vector_typeIjLj2EENS0_17counting_iteratorIjlEEPS9_SG_NS0_5tupleIJPjSI_NS0_16reverse_iteratorISI_EEEEENSH_IJSG_SG_SG_EEES9_SI_JZNS1_25segmented_radix_sort_implINS0_14default_configELb1EPKbPbPKlPlN2at6native12_GLOBAL__N_18offset_tEEE10hipError_tPvRmT1_PNSt15iterator_traitsIS12_E10value_typeET2_T3_PNS13_IS18_E10value_typeET4_jRbjT5_S1E_jjP12ihipStream_tbEUljE_ZNSN_ISO_Lb1ESQ_SR_ST_SU_SY_EESZ_S10_S11_S12_S16_S17_S18_S1B_S1C_jS1D_jS1E_S1E_jjS1G_bEUljE0_EEESZ_S10_S11_S18_S1C_S1E_T6_T7_T9_mT8_S1G_bDpT10_ENKUlT_T0_E_clISt17integral_constantIbLb0EES1T_IbLb1EEEEDaS1P_S1Q_EUlS1P_E_NS1_11comp_targetILNS1_3genE9ELNS1_11target_archE1100ELNS1_3gpuE3ELNS1_3repE0EEENS1_30default_config_static_selectorELNS0_4arch9wavefront6targetE1EEEvS12_.num_vgpr, 0
	.set _ZN7rocprim17ROCPRIM_400000_NS6detail17trampoline_kernelINS0_13select_configILj256ELj13ELNS0_17block_load_methodE3ELS4_3ELS4_3ELNS0_20block_scan_algorithmE0ELj4294967295EEENS1_25partition_config_selectorILNS1_17partition_subalgoE4EjNS0_10empty_typeEbEEZZNS1_14partition_implILS8_4ELb0ES6_15HIP_vector_typeIjLj2EENS0_17counting_iteratorIjlEEPS9_SG_NS0_5tupleIJPjSI_NS0_16reverse_iteratorISI_EEEEENSH_IJSG_SG_SG_EEES9_SI_JZNS1_25segmented_radix_sort_implINS0_14default_configELb1EPKbPbPKlPlN2at6native12_GLOBAL__N_18offset_tEEE10hipError_tPvRmT1_PNSt15iterator_traitsIS12_E10value_typeET2_T3_PNS13_IS18_E10value_typeET4_jRbjT5_S1E_jjP12ihipStream_tbEUljE_ZNSN_ISO_Lb1ESQ_SR_ST_SU_SY_EESZ_S10_S11_S12_S16_S17_S18_S1B_S1C_jS1D_jS1E_S1E_jjS1G_bEUljE0_EEESZ_S10_S11_S18_S1C_S1E_T6_T7_T9_mT8_S1G_bDpT10_ENKUlT_T0_E_clISt17integral_constantIbLb0EES1T_IbLb1EEEEDaS1P_S1Q_EUlS1P_E_NS1_11comp_targetILNS1_3genE9ELNS1_11target_archE1100ELNS1_3gpuE3ELNS1_3repE0EEENS1_30default_config_static_selectorELNS0_4arch9wavefront6targetE1EEEvS12_.num_agpr, 0
	.set _ZN7rocprim17ROCPRIM_400000_NS6detail17trampoline_kernelINS0_13select_configILj256ELj13ELNS0_17block_load_methodE3ELS4_3ELS4_3ELNS0_20block_scan_algorithmE0ELj4294967295EEENS1_25partition_config_selectorILNS1_17partition_subalgoE4EjNS0_10empty_typeEbEEZZNS1_14partition_implILS8_4ELb0ES6_15HIP_vector_typeIjLj2EENS0_17counting_iteratorIjlEEPS9_SG_NS0_5tupleIJPjSI_NS0_16reverse_iteratorISI_EEEEENSH_IJSG_SG_SG_EEES9_SI_JZNS1_25segmented_radix_sort_implINS0_14default_configELb1EPKbPbPKlPlN2at6native12_GLOBAL__N_18offset_tEEE10hipError_tPvRmT1_PNSt15iterator_traitsIS12_E10value_typeET2_T3_PNS13_IS18_E10value_typeET4_jRbjT5_S1E_jjP12ihipStream_tbEUljE_ZNSN_ISO_Lb1ESQ_SR_ST_SU_SY_EESZ_S10_S11_S12_S16_S17_S18_S1B_S1C_jS1D_jS1E_S1E_jjS1G_bEUljE0_EEESZ_S10_S11_S18_S1C_S1E_T6_T7_T9_mT8_S1G_bDpT10_ENKUlT_T0_E_clISt17integral_constantIbLb0EES1T_IbLb1EEEEDaS1P_S1Q_EUlS1P_E_NS1_11comp_targetILNS1_3genE9ELNS1_11target_archE1100ELNS1_3gpuE3ELNS1_3repE0EEENS1_30default_config_static_selectorELNS0_4arch9wavefront6targetE1EEEvS12_.numbered_sgpr, 0
	.set _ZN7rocprim17ROCPRIM_400000_NS6detail17trampoline_kernelINS0_13select_configILj256ELj13ELNS0_17block_load_methodE3ELS4_3ELS4_3ELNS0_20block_scan_algorithmE0ELj4294967295EEENS1_25partition_config_selectorILNS1_17partition_subalgoE4EjNS0_10empty_typeEbEEZZNS1_14partition_implILS8_4ELb0ES6_15HIP_vector_typeIjLj2EENS0_17counting_iteratorIjlEEPS9_SG_NS0_5tupleIJPjSI_NS0_16reverse_iteratorISI_EEEEENSH_IJSG_SG_SG_EEES9_SI_JZNS1_25segmented_radix_sort_implINS0_14default_configELb1EPKbPbPKlPlN2at6native12_GLOBAL__N_18offset_tEEE10hipError_tPvRmT1_PNSt15iterator_traitsIS12_E10value_typeET2_T3_PNS13_IS18_E10value_typeET4_jRbjT5_S1E_jjP12ihipStream_tbEUljE_ZNSN_ISO_Lb1ESQ_SR_ST_SU_SY_EESZ_S10_S11_S12_S16_S17_S18_S1B_S1C_jS1D_jS1E_S1E_jjS1G_bEUljE0_EEESZ_S10_S11_S18_S1C_S1E_T6_T7_T9_mT8_S1G_bDpT10_ENKUlT_T0_E_clISt17integral_constantIbLb0EES1T_IbLb1EEEEDaS1P_S1Q_EUlS1P_E_NS1_11comp_targetILNS1_3genE9ELNS1_11target_archE1100ELNS1_3gpuE3ELNS1_3repE0EEENS1_30default_config_static_selectorELNS0_4arch9wavefront6targetE1EEEvS12_.num_named_barrier, 0
	.set _ZN7rocprim17ROCPRIM_400000_NS6detail17trampoline_kernelINS0_13select_configILj256ELj13ELNS0_17block_load_methodE3ELS4_3ELS4_3ELNS0_20block_scan_algorithmE0ELj4294967295EEENS1_25partition_config_selectorILNS1_17partition_subalgoE4EjNS0_10empty_typeEbEEZZNS1_14partition_implILS8_4ELb0ES6_15HIP_vector_typeIjLj2EENS0_17counting_iteratorIjlEEPS9_SG_NS0_5tupleIJPjSI_NS0_16reverse_iteratorISI_EEEEENSH_IJSG_SG_SG_EEES9_SI_JZNS1_25segmented_radix_sort_implINS0_14default_configELb1EPKbPbPKlPlN2at6native12_GLOBAL__N_18offset_tEEE10hipError_tPvRmT1_PNSt15iterator_traitsIS12_E10value_typeET2_T3_PNS13_IS18_E10value_typeET4_jRbjT5_S1E_jjP12ihipStream_tbEUljE_ZNSN_ISO_Lb1ESQ_SR_ST_SU_SY_EESZ_S10_S11_S12_S16_S17_S18_S1B_S1C_jS1D_jS1E_S1E_jjS1G_bEUljE0_EEESZ_S10_S11_S18_S1C_S1E_T6_T7_T9_mT8_S1G_bDpT10_ENKUlT_T0_E_clISt17integral_constantIbLb0EES1T_IbLb1EEEEDaS1P_S1Q_EUlS1P_E_NS1_11comp_targetILNS1_3genE9ELNS1_11target_archE1100ELNS1_3gpuE3ELNS1_3repE0EEENS1_30default_config_static_selectorELNS0_4arch9wavefront6targetE1EEEvS12_.private_seg_size, 0
	.set _ZN7rocprim17ROCPRIM_400000_NS6detail17trampoline_kernelINS0_13select_configILj256ELj13ELNS0_17block_load_methodE3ELS4_3ELS4_3ELNS0_20block_scan_algorithmE0ELj4294967295EEENS1_25partition_config_selectorILNS1_17partition_subalgoE4EjNS0_10empty_typeEbEEZZNS1_14partition_implILS8_4ELb0ES6_15HIP_vector_typeIjLj2EENS0_17counting_iteratorIjlEEPS9_SG_NS0_5tupleIJPjSI_NS0_16reverse_iteratorISI_EEEEENSH_IJSG_SG_SG_EEES9_SI_JZNS1_25segmented_radix_sort_implINS0_14default_configELb1EPKbPbPKlPlN2at6native12_GLOBAL__N_18offset_tEEE10hipError_tPvRmT1_PNSt15iterator_traitsIS12_E10value_typeET2_T3_PNS13_IS18_E10value_typeET4_jRbjT5_S1E_jjP12ihipStream_tbEUljE_ZNSN_ISO_Lb1ESQ_SR_ST_SU_SY_EESZ_S10_S11_S12_S16_S17_S18_S1B_S1C_jS1D_jS1E_S1E_jjS1G_bEUljE0_EEESZ_S10_S11_S18_S1C_S1E_T6_T7_T9_mT8_S1G_bDpT10_ENKUlT_T0_E_clISt17integral_constantIbLb0EES1T_IbLb1EEEEDaS1P_S1Q_EUlS1P_E_NS1_11comp_targetILNS1_3genE9ELNS1_11target_archE1100ELNS1_3gpuE3ELNS1_3repE0EEENS1_30default_config_static_selectorELNS0_4arch9wavefront6targetE1EEEvS12_.uses_vcc, 0
	.set _ZN7rocprim17ROCPRIM_400000_NS6detail17trampoline_kernelINS0_13select_configILj256ELj13ELNS0_17block_load_methodE3ELS4_3ELS4_3ELNS0_20block_scan_algorithmE0ELj4294967295EEENS1_25partition_config_selectorILNS1_17partition_subalgoE4EjNS0_10empty_typeEbEEZZNS1_14partition_implILS8_4ELb0ES6_15HIP_vector_typeIjLj2EENS0_17counting_iteratorIjlEEPS9_SG_NS0_5tupleIJPjSI_NS0_16reverse_iteratorISI_EEEEENSH_IJSG_SG_SG_EEES9_SI_JZNS1_25segmented_radix_sort_implINS0_14default_configELb1EPKbPbPKlPlN2at6native12_GLOBAL__N_18offset_tEEE10hipError_tPvRmT1_PNSt15iterator_traitsIS12_E10value_typeET2_T3_PNS13_IS18_E10value_typeET4_jRbjT5_S1E_jjP12ihipStream_tbEUljE_ZNSN_ISO_Lb1ESQ_SR_ST_SU_SY_EESZ_S10_S11_S12_S16_S17_S18_S1B_S1C_jS1D_jS1E_S1E_jjS1G_bEUljE0_EEESZ_S10_S11_S18_S1C_S1E_T6_T7_T9_mT8_S1G_bDpT10_ENKUlT_T0_E_clISt17integral_constantIbLb0EES1T_IbLb1EEEEDaS1P_S1Q_EUlS1P_E_NS1_11comp_targetILNS1_3genE9ELNS1_11target_archE1100ELNS1_3gpuE3ELNS1_3repE0EEENS1_30default_config_static_selectorELNS0_4arch9wavefront6targetE1EEEvS12_.uses_flat_scratch, 0
	.set _ZN7rocprim17ROCPRIM_400000_NS6detail17trampoline_kernelINS0_13select_configILj256ELj13ELNS0_17block_load_methodE3ELS4_3ELS4_3ELNS0_20block_scan_algorithmE0ELj4294967295EEENS1_25partition_config_selectorILNS1_17partition_subalgoE4EjNS0_10empty_typeEbEEZZNS1_14partition_implILS8_4ELb0ES6_15HIP_vector_typeIjLj2EENS0_17counting_iteratorIjlEEPS9_SG_NS0_5tupleIJPjSI_NS0_16reverse_iteratorISI_EEEEENSH_IJSG_SG_SG_EEES9_SI_JZNS1_25segmented_radix_sort_implINS0_14default_configELb1EPKbPbPKlPlN2at6native12_GLOBAL__N_18offset_tEEE10hipError_tPvRmT1_PNSt15iterator_traitsIS12_E10value_typeET2_T3_PNS13_IS18_E10value_typeET4_jRbjT5_S1E_jjP12ihipStream_tbEUljE_ZNSN_ISO_Lb1ESQ_SR_ST_SU_SY_EESZ_S10_S11_S12_S16_S17_S18_S1B_S1C_jS1D_jS1E_S1E_jjS1G_bEUljE0_EEESZ_S10_S11_S18_S1C_S1E_T6_T7_T9_mT8_S1G_bDpT10_ENKUlT_T0_E_clISt17integral_constantIbLb0EES1T_IbLb1EEEEDaS1P_S1Q_EUlS1P_E_NS1_11comp_targetILNS1_3genE9ELNS1_11target_archE1100ELNS1_3gpuE3ELNS1_3repE0EEENS1_30default_config_static_selectorELNS0_4arch9wavefront6targetE1EEEvS12_.has_dyn_sized_stack, 0
	.set _ZN7rocprim17ROCPRIM_400000_NS6detail17trampoline_kernelINS0_13select_configILj256ELj13ELNS0_17block_load_methodE3ELS4_3ELS4_3ELNS0_20block_scan_algorithmE0ELj4294967295EEENS1_25partition_config_selectorILNS1_17partition_subalgoE4EjNS0_10empty_typeEbEEZZNS1_14partition_implILS8_4ELb0ES6_15HIP_vector_typeIjLj2EENS0_17counting_iteratorIjlEEPS9_SG_NS0_5tupleIJPjSI_NS0_16reverse_iteratorISI_EEEEENSH_IJSG_SG_SG_EEES9_SI_JZNS1_25segmented_radix_sort_implINS0_14default_configELb1EPKbPbPKlPlN2at6native12_GLOBAL__N_18offset_tEEE10hipError_tPvRmT1_PNSt15iterator_traitsIS12_E10value_typeET2_T3_PNS13_IS18_E10value_typeET4_jRbjT5_S1E_jjP12ihipStream_tbEUljE_ZNSN_ISO_Lb1ESQ_SR_ST_SU_SY_EESZ_S10_S11_S12_S16_S17_S18_S1B_S1C_jS1D_jS1E_S1E_jjS1G_bEUljE0_EEESZ_S10_S11_S18_S1C_S1E_T6_T7_T9_mT8_S1G_bDpT10_ENKUlT_T0_E_clISt17integral_constantIbLb0EES1T_IbLb1EEEEDaS1P_S1Q_EUlS1P_E_NS1_11comp_targetILNS1_3genE9ELNS1_11target_archE1100ELNS1_3gpuE3ELNS1_3repE0EEENS1_30default_config_static_selectorELNS0_4arch9wavefront6targetE1EEEvS12_.has_recursion, 0
	.set _ZN7rocprim17ROCPRIM_400000_NS6detail17trampoline_kernelINS0_13select_configILj256ELj13ELNS0_17block_load_methodE3ELS4_3ELS4_3ELNS0_20block_scan_algorithmE0ELj4294967295EEENS1_25partition_config_selectorILNS1_17partition_subalgoE4EjNS0_10empty_typeEbEEZZNS1_14partition_implILS8_4ELb0ES6_15HIP_vector_typeIjLj2EENS0_17counting_iteratorIjlEEPS9_SG_NS0_5tupleIJPjSI_NS0_16reverse_iteratorISI_EEEEENSH_IJSG_SG_SG_EEES9_SI_JZNS1_25segmented_radix_sort_implINS0_14default_configELb1EPKbPbPKlPlN2at6native12_GLOBAL__N_18offset_tEEE10hipError_tPvRmT1_PNSt15iterator_traitsIS12_E10value_typeET2_T3_PNS13_IS18_E10value_typeET4_jRbjT5_S1E_jjP12ihipStream_tbEUljE_ZNSN_ISO_Lb1ESQ_SR_ST_SU_SY_EESZ_S10_S11_S12_S16_S17_S18_S1B_S1C_jS1D_jS1E_S1E_jjS1G_bEUljE0_EEESZ_S10_S11_S18_S1C_S1E_T6_T7_T9_mT8_S1G_bDpT10_ENKUlT_T0_E_clISt17integral_constantIbLb0EES1T_IbLb1EEEEDaS1P_S1Q_EUlS1P_E_NS1_11comp_targetILNS1_3genE9ELNS1_11target_archE1100ELNS1_3gpuE3ELNS1_3repE0EEENS1_30default_config_static_selectorELNS0_4arch9wavefront6targetE1EEEvS12_.has_indirect_call, 0
	.section	.AMDGPU.csdata,"",@progbits
; Kernel info:
; codeLenInByte = 0
; TotalNumSgprs: 4
; NumVgprs: 0
; ScratchSize: 0
; MemoryBound: 0
; FloatMode: 240
; IeeeMode: 1
; LDSByteSize: 0 bytes/workgroup (compile time only)
; SGPRBlocks: 0
; VGPRBlocks: 0
; NumSGPRsForWavesPerEU: 4
; NumVGPRsForWavesPerEU: 1
; Occupancy: 10
; WaveLimiterHint : 0
; COMPUTE_PGM_RSRC2:SCRATCH_EN: 0
; COMPUTE_PGM_RSRC2:USER_SGPR: 6
; COMPUTE_PGM_RSRC2:TRAP_HANDLER: 0
; COMPUTE_PGM_RSRC2:TGID_X_EN: 1
; COMPUTE_PGM_RSRC2:TGID_Y_EN: 0
; COMPUTE_PGM_RSRC2:TGID_Z_EN: 0
; COMPUTE_PGM_RSRC2:TIDIG_COMP_CNT: 0
	.section	.text._ZN7rocprim17ROCPRIM_400000_NS6detail17trampoline_kernelINS0_13select_configILj256ELj13ELNS0_17block_load_methodE3ELS4_3ELS4_3ELNS0_20block_scan_algorithmE0ELj4294967295EEENS1_25partition_config_selectorILNS1_17partition_subalgoE4EjNS0_10empty_typeEbEEZZNS1_14partition_implILS8_4ELb0ES6_15HIP_vector_typeIjLj2EENS0_17counting_iteratorIjlEEPS9_SG_NS0_5tupleIJPjSI_NS0_16reverse_iteratorISI_EEEEENSH_IJSG_SG_SG_EEES9_SI_JZNS1_25segmented_radix_sort_implINS0_14default_configELb1EPKbPbPKlPlN2at6native12_GLOBAL__N_18offset_tEEE10hipError_tPvRmT1_PNSt15iterator_traitsIS12_E10value_typeET2_T3_PNS13_IS18_E10value_typeET4_jRbjT5_S1E_jjP12ihipStream_tbEUljE_ZNSN_ISO_Lb1ESQ_SR_ST_SU_SY_EESZ_S10_S11_S12_S16_S17_S18_S1B_S1C_jS1D_jS1E_S1E_jjS1G_bEUljE0_EEESZ_S10_S11_S18_S1C_S1E_T6_T7_T9_mT8_S1G_bDpT10_ENKUlT_T0_E_clISt17integral_constantIbLb0EES1T_IbLb1EEEEDaS1P_S1Q_EUlS1P_E_NS1_11comp_targetILNS1_3genE8ELNS1_11target_archE1030ELNS1_3gpuE2ELNS1_3repE0EEENS1_30default_config_static_selectorELNS0_4arch9wavefront6targetE1EEEvS12_,"axG",@progbits,_ZN7rocprim17ROCPRIM_400000_NS6detail17trampoline_kernelINS0_13select_configILj256ELj13ELNS0_17block_load_methodE3ELS4_3ELS4_3ELNS0_20block_scan_algorithmE0ELj4294967295EEENS1_25partition_config_selectorILNS1_17partition_subalgoE4EjNS0_10empty_typeEbEEZZNS1_14partition_implILS8_4ELb0ES6_15HIP_vector_typeIjLj2EENS0_17counting_iteratorIjlEEPS9_SG_NS0_5tupleIJPjSI_NS0_16reverse_iteratorISI_EEEEENSH_IJSG_SG_SG_EEES9_SI_JZNS1_25segmented_radix_sort_implINS0_14default_configELb1EPKbPbPKlPlN2at6native12_GLOBAL__N_18offset_tEEE10hipError_tPvRmT1_PNSt15iterator_traitsIS12_E10value_typeET2_T3_PNS13_IS18_E10value_typeET4_jRbjT5_S1E_jjP12ihipStream_tbEUljE_ZNSN_ISO_Lb1ESQ_SR_ST_SU_SY_EESZ_S10_S11_S12_S16_S17_S18_S1B_S1C_jS1D_jS1E_S1E_jjS1G_bEUljE0_EEESZ_S10_S11_S18_S1C_S1E_T6_T7_T9_mT8_S1G_bDpT10_ENKUlT_T0_E_clISt17integral_constantIbLb0EES1T_IbLb1EEEEDaS1P_S1Q_EUlS1P_E_NS1_11comp_targetILNS1_3genE8ELNS1_11target_archE1030ELNS1_3gpuE2ELNS1_3repE0EEENS1_30default_config_static_selectorELNS0_4arch9wavefront6targetE1EEEvS12_,comdat
	.globl	_ZN7rocprim17ROCPRIM_400000_NS6detail17trampoline_kernelINS0_13select_configILj256ELj13ELNS0_17block_load_methodE3ELS4_3ELS4_3ELNS0_20block_scan_algorithmE0ELj4294967295EEENS1_25partition_config_selectorILNS1_17partition_subalgoE4EjNS0_10empty_typeEbEEZZNS1_14partition_implILS8_4ELb0ES6_15HIP_vector_typeIjLj2EENS0_17counting_iteratorIjlEEPS9_SG_NS0_5tupleIJPjSI_NS0_16reverse_iteratorISI_EEEEENSH_IJSG_SG_SG_EEES9_SI_JZNS1_25segmented_radix_sort_implINS0_14default_configELb1EPKbPbPKlPlN2at6native12_GLOBAL__N_18offset_tEEE10hipError_tPvRmT1_PNSt15iterator_traitsIS12_E10value_typeET2_T3_PNS13_IS18_E10value_typeET4_jRbjT5_S1E_jjP12ihipStream_tbEUljE_ZNSN_ISO_Lb1ESQ_SR_ST_SU_SY_EESZ_S10_S11_S12_S16_S17_S18_S1B_S1C_jS1D_jS1E_S1E_jjS1G_bEUljE0_EEESZ_S10_S11_S18_S1C_S1E_T6_T7_T9_mT8_S1G_bDpT10_ENKUlT_T0_E_clISt17integral_constantIbLb0EES1T_IbLb1EEEEDaS1P_S1Q_EUlS1P_E_NS1_11comp_targetILNS1_3genE8ELNS1_11target_archE1030ELNS1_3gpuE2ELNS1_3repE0EEENS1_30default_config_static_selectorELNS0_4arch9wavefront6targetE1EEEvS12_ ; -- Begin function _ZN7rocprim17ROCPRIM_400000_NS6detail17trampoline_kernelINS0_13select_configILj256ELj13ELNS0_17block_load_methodE3ELS4_3ELS4_3ELNS0_20block_scan_algorithmE0ELj4294967295EEENS1_25partition_config_selectorILNS1_17partition_subalgoE4EjNS0_10empty_typeEbEEZZNS1_14partition_implILS8_4ELb0ES6_15HIP_vector_typeIjLj2EENS0_17counting_iteratorIjlEEPS9_SG_NS0_5tupleIJPjSI_NS0_16reverse_iteratorISI_EEEEENSH_IJSG_SG_SG_EEES9_SI_JZNS1_25segmented_radix_sort_implINS0_14default_configELb1EPKbPbPKlPlN2at6native12_GLOBAL__N_18offset_tEEE10hipError_tPvRmT1_PNSt15iterator_traitsIS12_E10value_typeET2_T3_PNS13_IS18_E10value_typeET4_jRbjT5_S1E_jjP12ihipStream_tbEUljE_ZNSN_ISO_Lb1ESQ_SR_ST_SU_SY_EESZ_S10_S11_S12_S16_S17_S18_S1B_S1C_jS1D_jS1E_S1E_jjS1G_bEUljE0_EEESZ_S10_S11_S18_S1C_S1E_T6_T7_T9_mT8_S1G_bDpT10_ENKUlT_T0_E_clISt17integral_constantIbLb0EES1T_IbLb1EEEEDaS1P_S1Q_EUlS1P_E_NS1_11comp_targetILNS1_3genE8ELNS1_11target_archE1030ELNS1_3gpuE2ELNS1_3repE0EEENS1_30default_config_static_selectorELNS0_4arch9wavefront6targetE1EEEvS12_
	.p2align	8
	.type	_ZN7rocprim17ROCPRIM_400000_NS6detail17trampoline_kernelINS0_13select_configILj256ELj13ELNS0_17block_load_methodE3ELS4_3ELS4_3ELNS0_20block_scan_algorithmE0ELj4294967295EEENS1_25partition_config_selectorILNS1_17partition_subalgoE4EjNS0_10empty_typeEbEEZZNS1_14partition_implILS8_4ELb0ES6_15HIP_vector_typeIjLj2EENS0_17counting_iteratorIjlEEPS9_SG_NS0_5tupleIJPjSI_NS0_16reverse_iteratorISI_EEEEENSH_IJSG_SG_SG_EEES9_SI_JZNS1_25segmented_radix_sort_implINS0_14default_configELb1EPKbPbPKlPlN2at6native12_GLOBAL__N_18offset_tEEE10hipError_tPvRmT1_PNSt15iterator_traitsIS12_E10value_typeET2_T3_PNS13_IS18_E10value_typeET4_jRbjT5_S1E_jjP12ihipStream_tbEUljE_ZNSN_ISO_Lb1ESQ_SR_ST_SU_SY_EESZ_S10_S11_S12_S16_S17_S18_S1B_S1C_jS1D_jS1E_S1E_jjS1G_bEUljE0_EEESZ_S10_S11_S18_S1C_S1E_T6_T7_T9_mT8_S1G_bDpT10_ENKUlT_T0_E_clISt17integral_constantIbLb0EES1T_IbLb1EEEEDaS1P_S1Q_EUlS1P_E_NS1_11comp_targetILNS1_3genE8ELNS1_11target_archE1030ELNS1_3gpuE2ELNS1_3repE0EEENS1_30default_config_static_selectorELNS0_4arch9wavefront6targetE1EEEvS12_,@function
_ZN7rocprim17ROCPRIM_400000_NS6detail17trampoline_kernelINS0_13select_configILj256ELj13ELNS0_17block_load_methodE3ELS4_3ELS4_3ELNS0_20block_scan_algorithmE0ELj4294967295EEENS1_25partition_config_selectorILNS1_17partition_subalgoE4EjNS0_10empty_typeEbEEZZNS1_14partition_implILS8_4ELb0ES6_15HIP_vector_typeIjLj2EENS0_17counting_iteratorIjlEEPS9_SG_NS0_5tupleIJPjSI_NS0_16reverse_iteratorISI_EEEEENSH_IJSG_SG_SG_EEES9_SI_JZNS1_25segmented_radix_sort_implINS0_14default_configELb1EPKbPbPKlPlN2at6native12_GLOBAL__N_18offset_tEEE10hipError_tPvRmT1_PNSt15iterator_traitsIS12_E10value_typeET2_T3_PNS13_IS18_E10value_typeET4_jRbjT5_S1E_jjP12ihipStream_tbEUljE_ZNSN_ISO_Lb1ESQ_SR_ST_SU_SY_EESZ_S10_S11_S12_S16_S17_S18_S1B_S1C_jS1D_jS1E_S1E_jjS1G_bEUljE0_EEESZ_S10_S11_S18_S1C_S1E_T6_T7_T9_mT8_S1G_bDpT10_ENKUlT_T0_E_clISt17integral_constantIbLb0EES1T_IbLb1EEEEDaS1P_S1Q_EUlS1P_E_NS1_11comp_targetILNS1_3genE8ELNS1_11target_archE1030ELNS1_3gpuE2ELNS1_3repE0EEENS1_30default_config_static_selectorELNS0_4arch9wavefront6targetE1EEEvS12_: ; @_ZN7rocprim17ROCPRIM_400000_NS6detail17trampoline_kernelINS0_13select_configILj256ELj13ELNS0_17block_load_methodE3ELS4_3ELS4_3ELNS0_20block_scan_algorithmE0ELj4294967295EEENS1_25partition_config_selectorILNS1_17partition_subalgoE4EjNS0_10empty_typeEbEEZZNS1_14partition_implILS8_4ELb0ES6_15HIP_vector_typeIjLj2EENS0_17counting_iteratorIjlEEPS9_SG_NS0_5tupleIJPjSI_NS0_16reverse_iteratorISI_EEEEENSH_IJSG_SG_SG_EEES9_SI_JZNS1_25segmented_radix_sort_implINS0_14default_configELb1EPKbPbPKlPlN2at6native12_GLOBAL__N_18offset_tEEE10hipError_tPvRmT1_PNSt15iterator_traitsIS12_E10value_typeET2_T3_PNS13_IS18_E10value_typeET4_jRbjT5_S1E_jjP12ihipStream_tbEUljE_ZNSN_ISO_Lb1ESQ_SR_ST_SU_SY_EESZ_S10_S11_S12_S16_S17_S18_S1B_S1C_jS1D_jS1E_S1E_jjS1G_bEUljE0_EEESZ_S10_S11_S18_S1C_S1E_T6_T7_T9_mT8_S1G_bDpT10_ENKUlT_T0_E_clISt17integral_constantIbLb0EES1T_IbLb1EEEEDaS1P_S1Q_EUlS1P_E_NS1_11comp_targetILNS1_3genE8ELNS1_11target_archE1030ELNS1_3gpuE2ELNS1_3repE0EEENS1_30default_config_static_selectorELNS0_4arch9wavefront6targetE1EEEvS12_
; %bb.0:
	.section	.rodata,"a",@progbits
	.p2align	6, 0x0
	.amdhsa_kernel _ZN7rocprim17ROCPRIM_400000_NS6detail17trampoline_kernelINS0_13select_configILj256ELj13ELNS0_17block_load_methodE3ELS4_3ELS4_3ELNS0_20block_scan_algorithmE0ELj4294967295EEENS1_25partition_config_selectorILNS1_17partition_subalgoE4EjNS0_10empty_typeEbEEZZNS1_14partition_implILS8_4ELb0ES6_15HIP_vector_typeIjLj2EENS0_17counting_iteratorIjlEEPS9_SG_NS0_5tupleIJPjSI_NS0_16reverse_iteratorISI_EEEEENSH_IJSG_SG_SG_EEES9_SI_JZNS1_25segmented_radix_sort_implINS0_14default_configELb1EPKbPbPKlPlN2at6native12_GLOBAL__N_18offset_tEEE10hipError_tPvRmT1_PNSt15iterator_traitsIS12_E10value_typeET2_T3_PNS13_IS18_E10value_typeET4_jRbjT5_S1E_jjP12ihipStream_tbEUljE_ZNSN_ISO_Lb1ESQ_SR_ST_SU_SY_EESZ_S10_S11_S12_S16_S17_S18_S1B_S1C_jS1D_jS1E_S1E_jjS1G_bEUljE0_EEESZ_S10_S11_S18_S1C_S1E_T6_T7_T9_mT8_S1G_bDpT10_ENKUlT_T0_E_clISt17integral_constantIbLb0EES1T_IbLb1EEEEDaS1P_S1Q_EUlS1P_E_NS1_11comp_targetILNS1_3genE8ELNS1_11target_archE1030ELNS1_3gpuE2ELNS1_3repE0EEENS1_30default_config_static_selectorELNS0_4arch9wavefront6targetE1EEEvS12_
		.amdhsa_group_segment_fixed_size 0
		.amdhsa_private_segment_fixed_size 0
		.amdhsa_kernarg_size 184
		.amdhsa_user_sgpr_count 6
		.amdhsa_user_sgpr_private_segment_buffer 1
		.amdhsa_user_sgpr_dispatch_ptr 0
		.amdhsa_user_sgpr_queue_ptr 0
		.amdhsa_user_sgpr_kernarg_segment_ptr 1
		.amdhsa_user_sgpr_dispatch_id 0
		.amdhsa_user_sgpr_flat_scratch_init 0
		.amdhsa_user_sgpr_private_segment_size 0
		.amdhsa_uses_dynamic_stack 0
		.amdhsa_system_sgpr_private_segment_wavefront_offset 0
		.amdhsa_system_sgpr_workgroup_id_x 1
		.amdhsa_system_sgpr_workgroup_id_y 0
		.amdhsa_system_sgpr_workgroup_id_z 0
		.amdhsa_system_sgpr_workgroup_info 0
		.amdhsa_system_vgpr_workitem_id 0
		.amdhsa_next_free_vgpr 1
		.amdhsa_next_free_sgpr 0
		.amdhsa_reserve_vcc 0
		.amdhsa_reserve_flat_scratch 0
		.amdhsa_float_round_mode_32 0
		.amdhsa_float_round_mode_16_64 0
		.amdhsa_float_denorm_mode_32 3
		.amdhsa_float_denorm_mode_16_64 3
		.amdhsa_dx10_clamp 1
		.amdhsa_ieee_mode 1
		.amdhsa_fp16_overflow 0
		.amdhsa_exception_fp_ieee_invalid_op 0
		.amdhsa_exception_fp_denorm_src 0
		.amdhsa_exception_fp_ieee_div_zero 0
		.amdhsa_exception_fp_ieee_overflow 0
		.amdhsa_exception_fp_ieee_underflow 0
		.amdhsa_exception_fp_ieee_inexact 0
		.amdhsa_exception_int_div_zero 0
	.end_amdhsa_kernel
	.section	.text._ZN7rocprim17ROCPRIM_400000_NS6detail17trampoline_kernelINS0_13select_configILj256ELj13ELNS0_17block_load_methodE3ELS4_3ELS4_3ELNS0_20block_scan_algorithmE0ELj4294967295EEENS1_25partition_config_selectorILNS1_17partition_subalgoE4EjNS0_10empty_typeEbEEZZNS1_14partition_implILS8_4ELb0ES6_15HIP_vector_typeIjLj2EENS0_17counting_iteratorIjlEEPS9_SG_NS0_5tupleIJPjSI_NS0_16reverse_iteratorISI_EEEEENSH_IJSG_SG_SG_EEES9_SI_JZNS1_25segmented_radix_sort_implINS0_14default_configELb1EPKbPbPKlPlN2at6native12_GLOBAL__N_18offset_tEEE10hipError_tPvRmT1_PNSt15iterator_traitsIS12_E10value_typeET2_T3_PNS13_IS18_E10value_typeET4_jRbjT5_S1E_jjP12ihipStream_tbEUljE_ZNSN_ISO_Lb1ESQ_SR_ST_SU_SY_EESZ_S10_S11_S12_S16_S17_S18_S1B_S1C_jS1D_jS1E_S1E_jjS1G_bEUljE0_EEESZ_S10_S11_S18_S1C_S1E_T6_T7_T9_mT8_S1G_bDpT10_ENKUlT_T0_E_clISt17integral_constantIbLb0EES1T_IbLb1EEEEDaS1P_S1Q_EUlS1P_E_NS1_11comp_targetILNS1_3genE8ELNS1_11target_archE1030ELNS1_3gpuE2ELNS1_3repE0EEENS1_30default_config_static_selectorELNS0_4arch9wavefront6targetE1EEEvS12_,"axG",@progbits,_ZN7rocprim17ROCPRIM_400000_NS6detail17trampoline_kernelINS0_13select_configILj256ELj13ELNS0_17block_load_methodE3ELS4_3ELS4_3ELNS0_20block_scan_algorithmE0ELj4294967295EEENS1_25partition_config_selectorILNS1_17partition_subalgoE4EjNS0_10empty_typeEbEEZZNS1_14partition_implILS8_4ELb0ES6_15HIP_vector_typeIjLj2EENS0_17counting_iteratorIjlEEPS9_SG_NS0_5tupleIJPjSI_NS0_16reverse_iteratorISI_EEEEENSH_IJSG_SG_SG_EEES9_SI_JZNS1_25segmented_radix_sort_implINS0_14default_configELb1EPKbPbPKlPlN2at6native12_GLOBAL__N_18offset_tEEE10hipError_tPvRmT1_PNSt15iterator_traitsIS12_E10value_typeET2_T3_PNS13_IS18_E10value_typeET4_jRbjT5_S1E_jjP12ihipStream_tbEUljE_ZNSN_ISO_Lb1ESQ_SR_ST_SU_SY_EESZ_S10_S11_S12_S16_S17_S18_S1B_S1C_jS1D_jS1E_S1E_jjS1G_bEUljE0_EEESZ_S10_S11_S18_S1C_S1E_T6_T7_T9_mT8_S1G_bDpT10_ENKUlT_T0_E_clISt17integral_constantIbLb0EES1T_IbLb1EEEEDaS1P_S1Q_EUlS1P_E_NS1_11comp_targetILNS1_3genE8ELNS1_11target_archE1030ELNS1_3gpuE2ELNS1_3repE0EEENS1_30default_config_static_selectorELNS0_4arch9wavefront6targetE1EEEvS12_,comdat
.Lfunc_end1499:
	.size	_ZN7rocprim17ROCPRIM_400000_NS6detail17trampoline_kernelINS0_13select_configILj256ELj13ELNS0_17block_load_methodE3ELS4_3ELS4_3ELNS0_20block_scan_algorithmE0ELj4294967295EEENS1_25partition_config_selectorILNS1_17partition_subalgoE4EjNS0_10empty_typeEbEEZZNS1_14partition_implILS8_4ELb0ES6_15HIP_vector_typeIjLj2EENS0_17counting_iteratorIjlEEPS9_SG_NS0_5tupleIJPjSI_NS0_16reverse_iteratorISI_EEEEENSH_IJSG_SG_SG_EEES9_SI_JZNS1_25segmented_radix_sort_implINS0_14default_configELb1EPKbPbPKlPlN2at6native12_GLOBAL__N_18offset_tEEE10hipError_tPvRmT1_PNSt15iterator_traitsIS12_E10value_typeET2_T3_PNS13_IS18_E10value_typeET4_jRbjT5_S1E_jjP12ihipStream_tbEUljE_ZNSN_ISO_Lb1ESQ_SR_ST_SU_SY_EESZ_S10_S11_S12_S16_S17_S18_S1B_S1C_jS1D_jS1E_S1E_jjS1G_bEUljE0_EEESZ_S10_S11_S18_S1C_S1E_T6_T7_T9_mT8_S1G_bDpT10_ENKUlT_T0_E_clISt17integral_constantIbLb0EES1T_IbLb1EEEEDaS1P_S1Q_EUlS1P_E_NS1_11comp_targetILNS1_3genE8ELNS1_11target_archE1030ELNS1_3gpuE2ELNS1_3repE0EEENS1_30default_config_static_selectorELNS0_4arch9wavefront6targetE1EEEvS12_, .Lfunc_end1499-_ZN7rocprim17ROCPRIM_400000_NS6detail17trampoline_kernelINS0_13select_configILj256ELj13ELNS0_17block_load_methodE3ELS4_3ELS4_3ELNS0_20block_scan_algorithmE0ELj4294967295EEENS1_25partition_config_selectorILNS1_17partition_subalgoE4EjNS0_10empty_typeEbEEZZNS1_14partition_implILS8_4ELb0ES6_15HIP_vector_typeIjLj2EENS0_17counting_iteratorIjlEEPS9_SG_NS0_5tupleIJPjSI_NS0_16reverse_iteratorISI_EEEEENSH_IJSG_SG_SG_EEES9_SI_JZNS1_25segmented_radix_sort_implINS0_14default_configELb1EPKbPbPKlPlN2at6native12_GLOBAL__N_18offset_tEEE10hipError_tPvRmT1_PNSt15iterator_traitsIS12_E10value_typeET2_T3_PNS13_IS18_E10value_typeET4_jRbjT5_S1E_jjP12ihipStream_tbEUljE_ZNSN_ISO_Lb1ESQ_SR_ST_SU_SY_EESZ_S10_S11_S12_S16_S17_S18_S1B_S1C_jS1D_jS1E_S1E_jjS1G_bEUljE0_EEESZ_S10_S11_S18_S1C_S1E_T6_T7_T9_mT8_S1G_bDpT10_ENKUlT_T0_E_clISt17integral_constantIbLb0EES1T_IbLb1EEEEDaS1P_S1Q_EUlS1P_E_NS1_11comp_targetILNS1_3genE8ELNS1_11target_archE1030ELNS1_3gpuE2ELNS1_3repE0EEENS1_30default_config_static_selectorELNS0_4arch9wavefront6targetE1EEEvS12_
                                        ; -- End function
	.set _ZN7rocprim17ROCPRIM_400000_NS6detail17trampoline_kernelINS0_13select_configILj256ELj13ELNS0_17block_load_methodE3ELS4_3ELS4_3ELNS0_20block_scan_algorithmE0ELj4294967295EEENS1_25partition_config_selectorILNS1_17partition_subalgoE4EjNS0_10empty_typeEbEEZZNS1_14partition_implILS8_4ELb0ES6_15HIP_vector_typeIjLj2EENS0_17counting_iteratorIjlEEPS9_SG_NS0_5tupleIJPjSI_NS0_16reverse_iteratorISI_EEEEENSH_IJSG_SG_SG_EEES9_SI_JZNS1_25segmented_radix_sort_implINS0_14default_configELb1EPKbPbPKlPlN2at6native12_GLOBAL__N_18offset_tEEE10hipError_tPvRmT1_PNSt15iterator_traitsIS12_E10value_typeET2_T3_PNS13_IS18_E10value_typeET4_jRbjT5_S1E_jjP12ihipStream_tbEUljE_ZNSN_ISO_Lb1ESQ_SR_ST_SU_SY_EESZ_S10_S11_S12_S16_S17_S18_S1B_S1C_jS1D_jS1E_S1E_jjS1G_bEUljE0_EEESZ_S10_S11_S18_S1C_S1E_T6_T7_T9_mT8_S1G_bDpT10_ENKUlT_T0_E_clISt17integral_constantIbLb0EES1T_IbLb1EEEEDaS1P_S1Q_EUlS1P_E_NS1_11comp_targetILNS1_3genE8ELNS1_11target_archE1030ELNS1_3gpuE2ELNS1_3repE0EEENS1_30default_config_static_selectorELNS0_4arch9wavefront6targetE1EEEvS12_.num_vgpr, 0
	.set _ZN7rocprim17ROCPRIM_400000_NS6detail17trampoline_kernelINS0_13select_configILj256ELj13ELNS0_17block_load_methodE3ELS4_3ELS4_3ELNS0_20block_scan_algorithmE0ELj4294967295EEENS1_25partition_config_selectorILNS1_17partition_subalgoE4EjNS0_10empty_typeEbEEZZNS1_14partition_implILS8_4ELb0ES6_15HIP_vector_typeIjLj2EENS0_17counting_iteratorIjlEEPS9_SG_NS0_5tupleIJPjSI_NS0_16reverse_iteratorISI_EEEEENSH_IJSG_SG_SG_EEES9_SI_JZNS1_25segmented_radix_sort_implINS0_14default_configELb1EPKbPbPKlPlN2at6native12_GLOBAL__N_18offset_tEEE10hipError_tPvRmT1_PNSt15iterator_traitsIS12_E10value_typeET2_T3_PNS13_IS18_E10value_typeET4_jRbjT5_S1E_jjP12ihipStream_tbEUljE_ZNSN_ISO_Lb1ESQ_SR_ST_SU_SY_EESZ_S10_S11_S12_S16_S17_S18_S1B_S1C_jS1D_jS1E_S1E_jjS1G_bEUljE0_EEESZ_S10_S11_S18_S1C_S1E_T6_T7_T9_mT8_S1G_bDpT10_ENKUlT_T0_E_clISt17integral_constantIbLb0EES1T_IbLb1EEEEDaS1P_S1Q_EUlS1P_E_NS1_11comp_targetILNS1_3genE8ELNS1_11target_archE1030ELNS1_3gpuE2ELNS1_3repE0EEENS1_30default_config_static_selectorELNS0_4arch9wavefront6targetE1EEEvS12_.num_agpr, 0
	.set _ZN7rocprim17ROCPRIM_400000_NS6detail17trampoline_kernelINS0_13select_configILj256ELj13ELNS0_17block_load_methodE3ELS4_3ELS4_3ELNS0_20block_scan_algorithmE0ELj4294967295EEENS1_25partition_config_selectorILNS1_17partition_subalgoE4EjNS0_10empty_typeEbEEZZNS1_14partition_implILS8_4ELb0ES6_15HIP_vector_typeIjLj2EENS0_17counting_iteratorIjlEEPS9_SG_NS0_5tupleIJPjSI_NS0_16reverse_iteratorISI_EEEEENSH_IJSG_SG_SG_EEES9_SI_JZNS1_25segmented_radix_sort_implINS0_14default_configELb1EPKbPbPKlPlN2at6native12_GLOBAL__N_18offset_tEEE10hipError_tPvRmT1_PNSt15iterator_traitsIS12_E10value_typeET2_T3_PNS13_IS18_E10value_typeET4_jRbjT5_S1E_jjP12ihipStream_tbEUljE_ZNSN_ISO_Lb1ESQ_SR_ST_SU_SY_EESZ_S10_S11_S12_S16_S17_S18_S1B_S1C_jS1D_jS1E_S1E_jjS1G_bEUljE0_EEESZ_S10_S11_S18_S1C_S1E_T6_T7_T9_mT8_S1G_bDpT10_ENKUlT_T0_E_clISt17integral_constantIbLb0EES1T_IbLb1EEEEDaS1P_S1Q_EUlS1P_E_NS1_11comp_targetILNS1_3genE8ELNS1_11target_archE1030ELNS1_3gpuE2ELNS1_3repE0EEENS1_30default_config_static_selectorELNS0_4arch9wavefront6targetE1EEEvS12_.numbered_sgpr, 0
	.set _ZN7rocprim17ROCPRIM_400000_NS6detail17trampoline_kernelINS0_13select_configILj256ELj13ELNS0_17block_load_methodE3ELS4_3ELS4_3ELNS0_20block_scan_algorithmE0ELj4294967295EEENS1_25partition_config_selectorILNS1_17partition_subalgoE4EjNS0_10empty_typeEbEEZZNS1_14partition_implILS8_4ELb0ES6_15HIP_vector_typeIjLj2EENS0_17counting_iteratorIjlEEPS9_SG_NS0_5tupleIJPjSI_NS0_16reverse_iteratorISI_EEEEENSH_IJSG_SG_SG_EEES9_SI_JZNS1_25segmented_radix_sort_implINS0_14default_configELb1EPKbPbPKlPlN2at6native12_GLOBAL__N_18offset_tEEE10hipError_tPvRmT1_PNSt15iterator_traitsIS12_E10value_typeET2_T3_PNS13_IS18_E10value_typeET4_jRbjT5_S1E_jjP12ihipStream_tbEUljE_ZNSN_ISO_Lb1ESQ_SR_ST_SU_SY_EESZ_S10_S11_S12_S16_S17_S18_S1B_S1C_jS1D_jS1E_S1E_jjS1G_bEUljE0_EEESZ_S10_S11_S18_S1C_S1E_T6_T7_T9_mT8_S1G_bDpT10_ENKUlT_T0_E_clISt17integral_constantIbLb0EES1T_IbLb1EEEEDaS1P_S1Q_EUlS1P_E_NS1_11comp_targetILNS1_3genE8ELNS1_11target_archE1030ELNS1_3gpuE2ELNS1_3repE0EEENS1_30default_config_static_selectorELNS0_4arch9wavefront6targetE1EEEvS12_.num_named_barrier, 0
	.set _ZN7rocprim17ROCPRIM_400000_NS6detail17trampoline_kernelINS0_13select_configILj256ELj13ELNS0_17block_load_methodE3ELS4_3ELS4_3ELNS0_20block_scan_algorithmE0ELj4294967295EEENS1_25partition_config_selectorILNS1_17partition_subalgoE4EjNS0_10empty_typeEbEEZZNS1_14partition_implILS8_4ELb0ES6_15HIP_vector_typeIjLj2EENS0_17counting_iteratorIjlEEPS9_SG_NS0_5tupleIJPjSI_NS0_16reverse_iteratorISI_EEEEENSH_IJSG_SG_SG_EEES9_SI_JZNS1_25segmented_radix_sort_implINS0_14default_configELb1EPKbPbPKlPlN2at6native12_GLOBAL__N_18offset_tEEE10hipError_tPvRmT1_PNSt15iterator_traitsIS12_E10value_typeET2_T3_PNS13_IS18_E10value_typeET4_jRbjT5_S1E_jjP12ihipStream_tbEUljE_ZNSN_ISO_Lb1ESQ_SR_ST_SU_SY_EESZ_S10_S11_S12_S16_S17_S18_S1B_S1C_jS1D_jS1E_S1E_jjS1G_bEUljE0_EEESZ_S10_S11_S18_S1C_S1E_T6_T7_T9_mT8_S1G_bDpT10_ENKUlT_T0_E_clISt17integral_constantIbLb0EES1T_IbLb1EEEEDaS1P_S1Q_EUlS1P_E_NS1_11comp_targetILNS1_3genE8ELNS1_11target_archE1030ELNS1_3gpuE2ELNS1_3repE0EEENS1_30default_config_static_selectorELNS0_4arch9wavefront6targetE1EEEvS12_.private_seg_size, 0
	.set _ZN7rocprim17ROCPRIM_400000_NS6detail17trampoline_kernelINS0_13select_configILj256ELj13ELNS0_17block_load_methodE3ELS4_3ELS4_3ELNS0_20block_scan_algorithmE0ELj4294967295EEENS1_25partition_config_selectorILNS1_17partition_subalgoE4EjNS0_10empty_typeEbEEZZNS1_14partition_implILS8_4ELb0ES6_15HIP_vector_typeIjLj2EENS0_17counting_iteratorIjlEEPS9_SG_NS0_5tupleIJPjSI_NS0_16reverse_iteratorISI_EEEEENSH_IJSG_SG_SG_EEES9_SI_JZNS1_25segmented_radix_sort_implINS0_14default_configELb1EPKbPbPKlPlN2at6native12_GLOBAL__N_18offset_tEEE10hipError_tPvRmT1_PNSt15iterator_traitsIS12_E10value_typeET2_T3_PNS13_IS18_E10value_typeET4_jRbjT5_S1E_jjP12ihipStream_tbEUljE_ZNSN_ISO_Lb1ESQ_SR_ST_SU_SY_EESZ_S10_S11_S12_S16_S17_S18_S1B_S1C_jS1D_jS1E_S1E_jjS1G_bEUljE0_EEESZ_S10_S11_S18_S1C_S1E_T6_T7_T9_mT8_S1G_bDpT10_ENKUlT_T0_E_clISt17integral_constantIbLb0EES1T_IbLb1EEEEDaS1P_S1Q_EUlS1P_E_NS1_11comp_targetILNS1_3genE8ELNS1_11target_archE1030ELNS1_3gpuE2ELNS1_3repE0EEENS1_30default_config_static_selectorELNS0_4arch9wavefront6targetE1EEEvS12_.uses_vcc, 0
	.set _ZN7rocprim17ROCPRIM_400000_NS6detail17trampoline_kernelINS0_13select_configILj256ELj13ELNS0_17block_load_methodE3ELS4_3ELS4_3ELNS0_20block_scan_algorithmE0ELj4294967295EEENS1_25partition_config_selectorILNS1_17partition_subalgoE4EjNS0_10empty_typeEbEEZZNS1_14partition_implILS8_4ELb0ES6_15HIP_vector_typeIjLj2EENS0_17counting_iteratorIjlEEPS9_SG_NS0_5tupleIJPjSI_NS0_16reverse_iteratorISI_EEEEENSH_IJSG_SG_SG_EEES9_SI_JZNS1_25segmented_radix_sort_implINS0_14default_configELb1EPKbPbPKlPlN2at6native12_GLOBAL__N_18offset_tEEE10hipError_tPvRmT1_PNSt15iterator_traitsIS12_E10value_typeET2_T3_PNS13_IS18_E10value_typeET4_jRbjT5_S1E_jjP12ihipStream_tbEUljE_ZNSN_ISO_Lb1ESQ_SR_ST_SU_SY_EESZ_S10_S11_S12_S16_S17_S18_S1B_S1C_jS1D_jS1E_S1E_jjS1G_bEUljE0_EEESZ_S10_S11_S18_S1C_S1E_T6_T7_T9_mT8_S1G_bDpT10_ENKUlT_T0_E_clISt17integral_constantIbLb0EES1T_IbLb1EEEEDaS1P_S1Q_EUlS1P_E_NS1_11comp_targetILNS1_3genE8ELNS1_11target_archE1030ELNS1_3gpuE2ELNS1_3repE0EEENS1_30default_config_static_selectorELNS0_4arch9wavefront6targetE1EEEvS12_.uses_flat_scratch, 0
	.set _ZN7rocprim17ROCPRIM_400000_NS6detail17trampoline_kernelINS0_13select_configILj256ELj13ELNS0_17block_load_methodE3ELS4_3ELS4_3ELNS0_20block_scan_algorithmE0ELj4294967295EEENS1_25partition_config_selectorILNS1_17partition_subalgoE4EjNS0_10empty_typeEbEEZZNS1_14partition_implILS8_4ELb0ES6_15HIP_vector_typeIjLj2EENS0_17counting_iteratorIjlEEPS9_SG_NS0_5tupleIJPjSI_NS0_16reverse_iteratorISI_EEEEENSH_IJSG_SG_SG_EEES9_SI_JZNS1_25segmented_radix_sort_implINS0_14default_configELb1EPKbPbPKlPlN2at6native12_GLOBAL__N_18offset_tEEE10hipError_tPvRmT1_PNSt15iterator_traitsIS12_E10value_typeET2_T3_PNS13_IS18_E10value_typeET4_jRbjT5_S1E_jjP12ihipStream_tbEUljE_ZNSN_ISO_Lb1ESQ_SR_ST_SU_SY_EESZ_S10_S11_S12_S16_S17_S18_S1B_S1C_jS1D_jS1E_S1E_jjS1G_bEUljE0_EEESZ_S10_S11_S18_S1C_S1E_T6_T7_T9_mT8_S1G_bDpT10_ENKUlT_T0_E_clISt17integral_constantIbLb0EES1T_IbLb1EEEEDaS1P_S1Q_EUlS1P_E_NS1_11comp_targetILNS1_3genE8ELNS1_11target_archE1030ELNS1_3gpuE2ELNS1_3repE0EEENS1_30default_config_static_selectorELNS0_4arch9wavefront6targetE1EEEvS12_.has_dyn_sized_stack, 0
	.set _ZN7rocprim17ROCPRIM_400000_NS6detail17trampoline_kernelINS0_13select_configILj256ELj13ELNS0_17block_load_methodE3ELS4_3ELS4_3ELNS0_20block_scan_algorithmE0ELj4294967295EEENS1_25partition_config_selectorILNS1_17partition_subalgoE4EjNS0_10empty_typeEbEEZZNS1_14partition_implILS8_4ELb0ES6_15HIP_vector_typeIjLj2EENS0_17counting_iteratorIjlEEPS9_SG_NS0_5tupleIJPjSI_NS0_16reverse_iteratorISI_EEEEENSH_IJSG_SG_SG_EEES9_SI_JZNS1_25segmented_radix_sort_implINS0_14default_configELb1EPKbPbPKlPlN2at6native12_GLOBAL__N_18offset_tEEE10hipError_tPvRmT1_PNSt15iterator_traitsIS12_E10value_typeET2_T3_PNS13_IS18_E10value_typeET4_jRbjT5_S1E_jjP12ihipStream_tbEUljE_ZNSN_ISO_Lb1ESQ_SR_ST_SU_SY_EESZ_S10_S11_S12_S16_S17_S18_S1B_S1C_jS1D_jS1E_S1E_jjS1G_bEUljE0_EEESZ_S10_S11_S18_S1C_S1E_T6_T7_T9_mT8_S1G_bDpT10_ENKUlT_T0_E_clISt17integral_constantIbLb0EES1T_IbLb1EEEEDaS1P_S1Q_EUlS1P_E_NS1_11comp_targetILNS1_3genE8ELNS1_11target_archE1030ELNS1_3gpuE2ELNS1_3repE0EEENS1_30default_config_static_selectorELNS0_4arch9wavefront6targetE1EEEvS12_.has_recursion, 0
	.set _ZN7rocprim17ROCPRIM_400000_NS6detail17trampoline_kernelINS0_13select_configILj256ELj13ELNS0_17block_load_methodE3ELS4_3ELS4_3ELNS0_20block_scan_algorithmE0ELj4294967295EEENS1_25partition_config_selectorILNS1_17partition_subalgoE4EjNS0_10empty_typeEbEEZZNS1_14partition_implILS8_4ELb0ES6_15HIP_vector_typeIjLj2EENS0_17counting_iteratorIjlEEPS9_SG_NS0_5tupleIJPjSI_NS0_16reverse_iteratorISI_EEEEENSH_IJSG_SG_SG_EEES9_SI_JZNS1_25segmented_radix_sort_implINS0_14default_configELb1EPKbPbPKlPlN2at6native12_GLOBAL__N_18offset_tEEE10hipError_tPvRmT1_PNSt15iterator_traitsIS12_E10value_typeET2_T3_PNS13_IS18_E10value_typeET4_jRbjT5_S1E_jjP12ihipStream_tbEUljE_ZNSN_ISO_Lb1ESQ_SR_ST_SU_SY_EESZ_S10_S11_S12_S16_S17_S18_S1B_S1C_jS1D_jS1E_S1E_jjS1G_bEUljE0_EEESZ_S10_S11_S18_S1C_S1E_T6_T7_T9_mT8_S1G_bDpT10_ENKUlT_T0_E_clISt17integral_constantIbLb0EES1T_IbLb1EEEEDaS1P_S1Q_EUlS1P_E_NS1_11comp_targetILNS1_3genE8ELNS1_11target_archE1030ELNS1_3gpuE2ELNS1_3repE0EEENS1_30default_config_static_selectorELNS0_4arch9wavefront6targetE1EEEvS12_.has_indirect_call, 0
	.section	.AMDGPU.csdata,"",@progbits
; Kernel info:
; codeLenInByte = 0
; TotalNumSgprs: 4
; NumVgprs: 0
; ScratchSize: 0
; MemoryBound: 0
; FloatMode: 240
; IeeeMode: 1
; LDSByteSize: 0 bytes/workgroup (compile time only)
; SGPRBlocks: 0
; VGPRBlocks: 0
; NumSGPRsForWavesPerEU: 4
; NumVGPRsForWavesPerEU: 1
; Occupancy: 10
; WaveLimiterHint : 0
; COMPUTE_PGM_RSRC2:SCRATCH_EN: 0
; COMPUTE_PGM_RSRC2:USER_SGPR: 6
; COMPUTE_PGM_RSRC2:TRAP_HANDLER: 0
; COMPUTE_PGM_RSRC2:TGID_X_EN: 1
; COMPUTE_PGM_RSRC2:TGID_Y_EN: 0
; COMPUTE_PGM_RSRC2:TGID_Z_EN: 0
; COMPUTE_PGM_RSRC2:TIDIG_COMP_CNT: 0
	.section	.text._ZN7rocprim17ROCPRIM_400000_NS6detail17trampoline_kernelINS0_13select_configILj256ELj13ELNS0_17block_load_methodE3ELS4_3ELS4_3ELNS0_20block_scan_algorithmE0ELj4294967295EEENS1_25partition_config_selectorILNS1_17partition_subalgoE3EjNS0_10empty_typeEbEEZZNS1_14partition_implILS8_3ELb0ES6_jNS0_17counting_iteratorIjlEEPS9_SE_NS0_5tupleIJPjSE_EEENSF_IJSE_SE_EEES9_SG_JZNS1_25segmented_radix_sort_implINS0_14default_configELb1EPKbPbPKlPlN2at6native12_GLOBAL__N_18offset_tEEE10hipError_tPvRmT1_PNSt15iterator_traitsISY_E10value_typeET2_T3_PNSZ_IS14_E10value_typeET4_jRbjT5_S1A_jjP12ihipStream_tbEUljE_EEESV_SW_SX_S14_S18_S1A_T6_T7_T9_mT8_S1C_bDpT10_ENKUlT_T0_E_clISt17integral_constantIbLb0EES1P_EEDaS1K_S1L_EUlS1K_E_NS1_11comp_targetILNS1_3genE0ELNS1_11target_archE4294967295ELNS1_3gpuE0ELNS1_3repE0EEENS1_30default_config_static_selectorELNS0_4arch9wavefront6targetE1EEEvSY_,"axG",@progbits,_ZN7rocprim17ROCPRIM_400000_NS6detail17trampoline_kernelINS0_13select_configILj256ELj13ELNS0_17block_load_methodE3ELS4_3ELS4_3ELNS0_20block_scan_algorithmE0ELj4294967295EEENS1_25partition_config_selectorILNS1_17partition_subalgoE3EjNS0_10empty_typeEbEEZZNS1_14partition_implILS8_3ELb0ES6_jNS0_17counting_iteratorIjlEEPS9_SE_NS0_5tupleIJPjSE_EEENSF_IJSE_SE_EEES9_SG_JZNS1_25segmented_radix_sort_implINS0_14default_configELb1EPKbPbPKlPlN2at6native12_GLOBAL__N_18offset_tEEE10hipError_tPvRmT1_PNSt15iterator_traitsISY_E10value_typeET2_T3_PNSZ_IS14_E10value_typeET4_jRbjT5_S1A_jjP12ihipStream_tbEUljE_EEESV_SW_SX_S14_S18_S1A_T6_T7_T9_mT8_S1C_bDpT10_ENKUlT_T0_E_clISt17integral_constantIbLb0EES1P_EEDaS1K_S1L_EUlS1K_E_NS1_11comp_targetILNS1_3genE0ELNS1_11target_archE4294967295ELNS1_3gpuE0ELNS1_3repE0EEENS1_30default_config_static_selectorELNS0_4arch9wavefront6targetE1EEEvSY_,comdat
	.globl	_ZN7rocprim17ROCPRIM_400000_NS6detail17trampoline_kernelINS0_13select_configILj256ELj13ELNS0_17block_load_methodE3ELS4_3ELS4_3ELNS0_20block_scan_algorithmE0ELj4294967295EEENS1_25partition_config_selectorILNS1_17partition_subalgoE3EjNS0_10empty_typeEbEEZZNS1_14partition_implILS8_3ELb0ES6_jNS0_17counting_iteratorIjlEEPS9_SE_NS0_5tupleIJPjSE_EEENSF_IJSE_SE_EEES9_SG_JZNS1_25segmented_radix_sort_implINS0_14default_configELb1EPKbPbPKlPlN2at6native12_GLOBAL__N_18offset_tEEE10hipError_tPvRmT1_PNSt15iterator_traitsISY_E10value_typeET2_T3_PNSZ_IS14_E10value_typeET4_jRbjT5_S1A_jjP12ihipStream_tbEUljE_EEESV_SW_SX_S14_S18_S1A_T6_T7_T9_mT8_S1C_bDpT10_ENKUlT_T0_E_clISt17integral_constantIbLb0EES1P_EEDaS1K_S1L_EUlS1K_E_NS1_11comp_targetILNS1_3genE0ELNS1_11target_archE4294967295ELNS1_3gpuE0ELNS1_3repE0EEENS1_30default_config_static_selectorELNS0_4arch9wavefront6targetE1EEEvSY_ ; -- Begin function _ZN7rocprim17ROCPRIM_400000_NS6detail17trampoline_kernelINS0_13select_configILj256ELj13ELNS0_17block_load_methodE3ELS4_3ELS4_3ELNS0_20block_scan_algorithmE0ELj4294967295EEENS1_25partition_config_selectorILNS1_17partition_subalgoE3EjNS0_10empty_typeEbEEZZNS1_14partition_implILS8_3ELb0ES6_jNS0_17counting_iteratorIjlEEPS9_SE_NS0_5tupleIJPjSE_EEENSF_IJSE_SE_EEES9_SG_JZNS1_25segmented_radix_sort_implINS0_14default_configELb1EPKbPbPKlPlN2at6native12_GLOBAL__N_18offset_tEEE10hipError_tPvRmT1_PNSt15iterator_traitsISY_E10value_typeET2_T3_PNSZ_IS14_E10value_typeET4_jRbjT5_S1A_jjP12ihipStream_tbEUljE_EEESV_SW_SX_S14_S18_S1A_T6_T7_T9_mT8_S1C_bDpT10_ENKUlT_T0_E_clISt17integral_constantIbLb0EES1P_EEDaS1K_S1L_EUlS1K_E_NS1_11comp_targetILNS1_3genE0ELNS1_11target_archE4294967295ELNS1_3gpuE0ELNS1_3repE0EEENS1_30default_config_static_selectorELNS0_4arch9wavefront6targetE1EEEvSY_
	.p2align	8
	.type	_ZN7rocprim17ROCPRIM_400000_NS6detail17trampoline_kernelINS0_13select_configILj256ELj13ELNS0_17block_load_methodE3ELS4_3ELS4_3ELNS0_20block_scan_algorithmE0ELj4294967295EEENS1_25partition_config_selectorILNS1_17partition_subalgoE3EjNS0_10empty_typeEbEEZZNS1_14partition_implILS8_3ELb0ES6_jNS0_17counting_iteratorIjlEEPS9_SE_NS0_5tupleIJPjSE_EEENSF_IJSE_SE_EEES9_SG_JZNS1_25segmented_radix_sort_implINS0_14default_configELb1EPKbPbPKlPlN2at6native12_GLOBAL__N_18offset_tEEE10hipError_tPvRmT1_PNSt15iterator_traitsISY_E10value_typeET2_T3_PNSZ_IS14_E10value_typeET4_jRbjT5_S1A_jjP12ihipStream_tbEUljE_EEESV_SW_SX_S14_S18_S1A_T6_T7_T9_mT8_S1C_bDpT10_ENKUlT_T0_E_clISt17integral_constantIbLb0EES1P_EEDaS1K_S1L_EUlS1K_E_NS1_11comp_targetILNS1_3genE0ELNS1_11target_archE4294967295ELNS1_3gpuE0ELNS1_3repE0EEENS1_30default_config_static_selectorELNS0_4arch9wavefront6targetE1EEEvSY_,@function
_ZN7rocprim17ROCPRIM_400000_NS6detail17trampoline_kernelINS0_13select_configILj256ELj13ELNS0_17block_load_methodE3ELS4_3ELS4_3ELNS0_20block_scan_algorithmE0ELj4294967295EEENS1_25partition_config_selectorILNS1_17partition_subalgoE3EjNS0_10empty_typeEbEEZZNS1_14partition_implILS8_3ELb0ES6_jNS0_17counting_iteratorIjlEEPS9_SE_NS0_5tupleIJPjSE_EEENSF_IJSE_SE_EEES9_SG_JZNS1_25segmented_radix_sort_implINS0_14default_configELb1EPKbPbPKlPlN2at6native12_GLOBAL__N_18offset_tEEE10hipError_tPvRmT1_PNSt15iterator_traitsISY_E10value_typeET2_T3_PNSZ_IS14_E10value_typeET4_jRbjT5_S1A_jjP12ihipStream_tbEUljE_EEESV_SW_SX_S14_S18_S1A_T6_T7_T9_mT8_S1C_bDpT10_ENKUlT_T0_E_clISt17integral_constantIbLb0EES1P_EEDaS1K_S1L_EUlS1K_E_NS1_11comp_targetILNS1_3genE0ELNS1_11target_archE4294967295ELNS1_3gpuE0ELNS1_3repE0EEENS1_30default_config_static_selectorELNS0_4arch9wavefront6targetE1EEEvSY_: ; @_ZN7rocprim17ROCPRIM_400000_NS6detail17trampoline_kernelINS0_13select_configILj256ELj13ELNS0_17block_load_methodE3ELS4_3ELS4_3ELNS0_20block_scan_algorithmE0ELj4294967295EEENS1_25partition_config_selectorILNS1_17partition_subalgoE3EjNS0_10empty_typeEbEEZZNS1_14partition_implILS8_3ELb0ES6_jNS0_17counting_iteratorIjlEEPS9_SE_NS0_5tupleIJPjSE_EEENSF_IJSE_SE_EEES9_SG_JZNS1_25segmented_radix_sort_implINS0_14default_configELb1EPKbPbPKlPlN2at6native12_GLOBAL__N_18offset_tEEE10hipError_tPvRmT1_PNSt15iterator_traitsISY_E10value_typeET2_T3_PNSZ_IS14_E10value_typeET4_jRbjT5_S1A_jjP12ihipStream_tbEUljE_EEESV_SW_SX_S14_S18_S1A_T6_T7_T9_mT8_S1C_bDpT10_ENKUlT_T0_E_clISt17integral_constantIbLb0EES1P_EEDaS1K_S1L_EUlS1K_E_NS1_11comp_targetILNS1_3genE0ELNS1_11target_archE4294967295ELNS1_3gpuE0ELNS1_3repE0EEENS1_30default_config_static_selectorELNS0_4arch9wavefront6targetE1EEEvSY_
; %bb.0:
	.section	.rodata,"a",@progbits
	.p2align	6, 0x0
	.amdhsa_kernel _ZN7rocprim17ROCPRIM_400000_NS6detail17trampoline_kernelINS0_13select_configILj256ELj13ELNS0_17block_load_methodE3ELS4_3ELS4_3ELNS0_20block_scan_algorithmE0ELj4294967295EEENS1_25partition_config_selectorILNS1_17partition_subalgoE3EjNS0_10empty_typeEbEEZZNS1_14partition_implILS8_3ELb0ES6_jNS0_17counting_iteratorIjlEEPS9_SE_NS0_5tupleIJPjSE_EEENSF_IJSE_SE_EEES9_SG_JZNS1_25segmented_radix_sort_implINS0_14default_configELb1EPKbPbPKlPlN2at6native12_GLOBAL__N_18offset_tEEE10hipError_tPvRmT1_PNSt15iterator_traitsISY_E10value_typeET2_T3_PNSZ_IS14_E10value_typeET4_jRbjT5_S1A_jjP12ihipStream_tbEUljE_EEESV_SW_SX_S14_S18_S1A_T6_T7_T9_mT8_S1C_bDpT10_ENKUlT_T0_E_clISt17integral_constantIbLb0EES1P_EEDaS1K_S1L_EUlS1K_E_NS1_11comp_targetILNS1_3genE0ELNS1_11target_archE4294967295ELNS1_3gpuE0ELNS1_3repE0EEENS1_30default_config_static_selectorELNS0_4arch9wavefront6targetE1EEEvSY_
		.amdhsa_group_segment_fixed_size 0
		.amdhsa_private_segment_fixed_size 0
		.amdhsa_kernarg_size 144
		.amdhsa_user_sgpr_count 6
		.amdhsa_user_sgpr_private_segment_buffer 1
		.amdhsa_user_sgpr_dispatch_ptr 0
		.amdhsa_user_sgpr_queue_ptr 0
		.amdhsa_user_sgpr_kernarg_segment_ptr 1
		.amdhsa_user_sgpr_dispatch_id 0
		.amdhsa_user_sgpr_flat_scratch_init 0
		.amdhsa_user_sgpr_private_segment_size 0
		.amdhsa_uses_dynamic_stack 0
		.amdhsa_system_sgpr_private_segment_wavefront_offset 0
		.amdhsa_system_sgpr_workgroup_id_x 1
		.amdhsa_system_sgpr_workgroup_id_y 0
		.amdhsa_system_sgpr_workgroup_id_z 0
		.amdhsa_system_sgpr_workgroup_info 0
		.amdhsa_system_vgpr_workitem_id 0
		.amdhsa_next_free_vgpr 1
		.amdhsa_next_free_sgpr 0
		.amdhsa_reserve_vcc 0
		.amdhsa_reserve_flat_scratch 0
		.amdhsa_float_round_mode_32 0
		.amdhsa_float_round_mode_16_64 0
		.amdhsa_float_denorm_mode_32 3
		.amdhsa_float_denorm_mode_16_64 3
		.amdhsa_dx10_clamp 1
		.amdhsa_ieee_mode 1
		.amdhsa_fp16_overflow 0
		.amdhsa_exception_fp_ieee_invalid_op 0
		.amdhsa_exception_fp_denorm_src 0
		.amdhsa_exception_fp_ieee_div_zero 0
		.amdhsa_exception_fp_ieee_overflow 0
		.amdhsa_exception_fp_ieee_underflow 0
		.amdhsa_exception_fp_ieee_inexact 0
		.amdhsa_exception_int_div_zero 0
	.end_amdhsa_kernel
	.section	.text._ZN7rocprim17ROCPRIM_400000_NS6detail17trampoline_kernelINS0_13select_configILj256ELj13ELNS0_17block_load_methodE3ELS4_3ELS4_3ELNS0_20block_scan_algorithmE0ELj4294967295EEENS1_25partition_config_selectorILNS1_17partition_subalgoE3EjNS0_10empty_typeEbEEZZNS1_14partition_implILS8_3ELb0ES6_jNS0_17counting_iteratorIjlEEPS9_SE_NS0_5tupleIJPjSE_EEENSF_IJSE_SE_EEES9_SG_JZNS1_25segmented_radix_sort_implINS0_14default_configELb1EPKbPbPKlPlN2at6native12_GLOBAL__N_18offset_tEEE10hipError_tPvRmT1_PNSt15iterator_traitsISY_E10value_typeET2_T3_PNSZ_IS14_E10value_typeET4_jRbjT5_S1A_jjP12ihipStream_tbEUljE_EEESV_SW_SX_S14_S18_S1A_T6_T7_T9_mT8_S1C_bDpT10_ENKUlT_T0_E_clISt17integral_constantIbLb0EES1P_EEDaS1K_S1L_EUlS1K_E_NS1_11comp_targetILNS1_3genE0ELNS1_11target_archE4294967295ELNS1_3gpuE0ELNS1_3repE0EEENS1_30default_config_static_selectorELNS0_4arch9wavefront6targetE1EEEvSY_,"axG",@progbits,_ZN7rocprim17ROCPRIM_400000_NS6detail17trampoline_kernelINS0_13select_configILj256ELj13ELNS0_17block_load_methodE3ELS4_3ELS4_3ELNS0_20block_scan_algorithmE0ELj4294967295EEENS1_25partition_config_selectorILNS1_17partition_subalgoE3EjNS0_10empty_typeEbEEZZNS1_14partition_implILS8_3ELb0ES6_jNS0_17counting_iteratorIjlEEPS9_SE_NS0_5tupleIJPjSE_EEENSF_IJSE_SE_EEES9_SG_JZNS1_25segmented_radix_sort_implINS0_14default_configELb1EPKbPbPKlPlN2at6native12_GLOBAL__N_18offset_tEEE10hipError_tPvRmT1_PNSt15iterator_traitsISY_E10value_typeET2_T3_PNSZ_IS14_E10value_typeET4_jRbjT5_S1A_jjP12ihipStream_tbEUljE_EEESV_SW_SX_S14_S18_S1A_T6_T7_T9_mT8_S1C_bDpT10_ENKUlT_T0_E_clISt17integral_constantIbLb0EES1P_EEDaS1K_S1L_EUlS1K_E_NS1_11comp_targetILNS1_3genE0ELNS1_11target_archE4294967295ELNS1_3gpuE0ELNS1_3repE0EEENS1_30default_config_static_selectorELNS0_4arch9wavefront6targetE1EEEvSY_,comdat
.Lfunc_end1500:
	.size	_ZN7rocprim17ROCPRIM_400000_NS6detail17trampoline_kernelINS0_13select_configILj256ELj13ELNS0_17block_load_methodE3ELS4_3ELS4_3ELNS0_20block_scan_algorithmE0ELj4294967295EEENS1_25partition_config_selectorILNS1_17partition_subalgoE3EjNS0_10empty_typeEbEEZZNS1_14partition_implILS8_3ELb0ES6_jNS0_17counting_iteratorIjlEEPS9_SE_NS0_5tupleIJPjSE_EEENSF_IJSE_SE_EEES9_SG_JZNS1_25segmented_radix_sort_implINS0_14default_configELb1EPKbPbPKlPlN2at6native12_GLOBAL__N_18offset_tEEE10hipError_tPvRmT1_PNSt15iterator_traitsISY_E10value_typeET2_T3_PNSZ_IS14_E10value_typeET4_jRbjT5_S1A_jjP12ihipStream_tbEUljE_EEESV_SW_SX_S14_S18_S1A_T6_T7_T9_mT8_S1C_bDpT10_ENKUlT_T0_E_clISt17integral_constantIbLb0EES1P_EEDaS1K_S1L_EUlS1K_E_NS1_11comp_targetILNS1_3genE0ELNS1_11target_archE4294967295ELNS1_3gpuE0ELNS1_3repE0EEENS1_30default_config_static_selectorELNS0_4arch9wavefront6targetE1EEEvSY_, .Lfunc_end1500-_ZN7rocprim17ROCPRIM_400000_NS6detail17trampoline_kernelINS0_13select_configILj256ELj13ELNS0_17block_load_methodE3ELS4_3ELS4_3ELNS0_20block_scan_algorithmE0ELj4294967295EEENS1_25partition_config_selectorILNS1_17partition_subalgoE3EjNS0_10empty_typeEbEEZZNS1_14partition_implILS8_3ELb0ES6_jNS0_17counting_iteratorIjlEEPS9_SE_NS0_5tupleIJPjSE_EEENSF_IJSE_SE_EEES9_SG_JZNS1_25segmented_radix_sort_implINS0_14default_configELb1EPKbPbPKlPlN2at6native12_GLOBAL__N_18offset_tEEE10hipError_tPvRmT1_PNSt15iterator_traitsISY_E10value_typeET2_T3_PNSZ_IS14_E10value_typeET4_jRbjT5_S1A_jjP12ihipStream_tbEUljE_EEESV_SW_SX_S14_S18_S1A_T6_T7_T9_mT8_S1C_bDpT10_ENKUlT_T0_E_clISt17integral_constantIbLb0EES1P_EEDaS1K_S1L_EUlS1K_E_NS1_11comp_targetILNS1_3genE0ELNS1_11target_archE4294967295ELNS1_3gpuE0ELNS1_3repE0EEENS1_30default_config_static_selectorELNS0_4arch9wavefront6targetE1EEEvSY_
                                        ; -- End function
	.set _ZN7rocprim17ROCPRIM_400000_NS6detail17trampoline_kernelINS0_13select_configILj256ELj13ELNS0_17block_load_methodE3ELS4_3ELS4_3ELNS0_20block_scan_algorithmE0ELj4294967295EEENS1_25partition_config_selectorILNS1_17partition_subalgoE3EjNS0_10empty_typeEbEEZZNS1_14partition_implILS8_3ELb0ES6_jNS0_17counting_iteratorIjlEEPS9_SE_NS0_5tupleIJPjSE_EEENSF_IJSE_SE_EEES9_SG_JZNS1_25segmented_radix_sort_implINS0_14default_configELb1EPKbPbPKlPlN2at6native12_GLOBAL__N_18offset_tEEE10hipError_tPvRmT1_PNSt15iterator_traitsISY_E10value_typeET2_T3_PNSZ_IS14_E10value_typeET4_jRbjT5_S1A_jjP12ihipStream_tbEUljE_EEESV_SW_SX_S14_S18_S1A_T6_T7_T9_mT8_S1C_bDpT10_ENKUlT_T0_E_clISt17integral_constantIbLb0EES1P_EEDaS1K_S1L_EUlS1K_E_NS1_11comp_targetILNS1_3genE0ELNS1_11target_archE4294967295ELNS1_3gpuE0ELNS1_3repE0EEENS1_30default_config_static_selectorELNS0_4arch9wavefront6targetE1EEEvSY_.num_vgpr, 0
	.set _ZN7rocprim17ROCPRIM_400000_NS6detail17trampoline_kernelINS0_13select_configILj256ELj13ELNS0_17block_load_methodE3ELS4_3ELS4_3ELNS0_20block_scan_algorithmE0ELj4294967295EEENS1_25partition_config_selectorILNS1_17partition_subalgoE3EjNS0_10empty_typeEbEEZZNS1_14partition_implILS8_3ELb0ES6_jNS0_17counting_iteratorIjlEEPS9_SE_NS0_5tupleIJPjSE_EEENSF_IJSE_SE_EEES9_SG_JZNS1_25segmented_radix_sort_implINS0_14default_configELb1EPKbPbPKlPlN2at6native12_GLOBAL__N_18offset_tEEE10hipError_tPvRmT1_PNSt15iterator_traitsISY_E10value_typeET2_T3_PNSZ_IS14_E10value_typeET4_jRbjT5_S1A_jjP12ihipStream_tbEUljE_EEESV_SW_SX_S14_S18_S1A_T6_T7_T9_mT8_S1C_bDpT10_ENKUlT_T0_E_clISt17integral_constantIbLb0EES1P_EEDaS1K_S1L_EUlS1K_E_NS1_11comp_targetILNS1_3genE0ELNS1_11target_archE4294967295ELNS1_3gpuE0ELNS1_3repE0EEENS1_30default_config_static_selectorELNS0_4arch9wavefront6targetE1EEEvSY_.num_agpr, 0
	.set _ZN7rocprim17ROCPRIM_400000_NS6detail17trampoline_kernelINS0_13select_configILj256ELj13ELNS0_17block_load_methodE3ELS4_3ELS4_3ELNS0_20block_scan_algorithmE0ELj4294967295EEENS1_25partition_config_selectorILNS1_17partition_subalgoE3EjNS0_10empty_typeEbEEZZNS1_14partition_implILS8_3ELb0ES6_jNS0_17counting_iteratorIjlEEPS9_SE_NS0_5tupleIJPjSE_EEENSF_IJSE_SE_EEES9_SG_JZNS1_25segmented_radix_sort_implINS0_14default_configELb1EPKbPbPKlPlN2at6native12_GLOBAL__N_18offset_tEEE10hipError_tPvRmT1_PNSt15iterator_traitsISY_E10value_typeET2_T3_PNSZ_IS14_E10value_typeET4_jRbjT5_S1A_jjP12ihipStream_tbEUljE_EEESV_SW_SX_S14_S18_S1A_T6_T7_T9_mT8_S1C_bDpT10_ENKUlT_T0_E_clISt17integral_constantIbLb0EES1P_EEDaS1K_S1L_EUlS1K_E_NS1_11comp_targetILNS1_3genE0ELNS1_11target_archE4294967295ELNS1_3gpuE0ELNS1_3repE0EEENS1_30default_config_static_selectorELNS0_4arch9wavefront6targetE1EEEvSY_.numbered_sgpr, 0
	.set _ZN7rocprim17ROCPRIM_400000_NS6detail17trampoline_kernelINS0_13select_configILj256ELj13ELNS0_17block_load_methodE3ELS4_3ELS4_3ELNS0_20block_scan_algorithmE0ELj4294967295EEENS1_25partition_config_selectorILNS1_17partition_subalgoE3EjNS0_10empty_typeEbEEZZNS1_14partition_implILS8_3ELb0ES6_jNS0_17counting_iteratorIjlEEPS9_SE_NS0_5tupleIJPjSE_EEENSF_IJSE_SE_EEES9_SG_JZNS1_25segmented_radix_sort_implINS0_14default_configELb1EPKbPbPKlPlN2at6native12_GLOBAL__N_18offset_tEEE10hipError_tPvRmT1_PNSt15iterator_traitsISY_E10value_typeET2_T3_PNSZ_IS14_E10value_typeET4_jRbjT5_S1A_jjP12ihipStream_tbEUljE_EEESV_SW_SX_S14_S18_S1A_T6_T7_T9_mT8_S1C_bDpT10_ENKUlT_T0_E_clISt17integral_constantIbLb0EES1P_EEDaS1K_S1L_EUlS1K_E_NS1_11comp_targetILNS1_3genE0ELNS1_11target_archE4294967295ELNS1_3gpuE0ELNS1_3repE0EEENS1_30default_config_static_selectorELNS0_4arch9wavefront6targetE1EEEvSY_.num_named_barrier, 0
	.set _ZN7rocprim17ROCPRIM_400000_NS6detail17trampoline_kernelINS0_13select_configILj256ELj13ELNS0_17block_load_methodE3ELS4_3ELS4_3ELNS0_20block_scan_algorithmE0ELj4294967295EEENS1_25partition_config_selectorILNS1_17partition_subalgoE3EjNS0_10empty_typeEbEEZZNS1_14partition_implILS8_3ELb0ES6_jNS0_17counting_iteratorIjlEEPS9_SE_NS0_5tupleIJPjSE_EEENSF_IJSE_SE_EEES9_SG_JZNS1_25segmented_radix_sort_implINS0_14default_configELb1EPKbPbPKlPlN2at6native12_GLOBAL__N_18offset_tEEE10hipError_tPvRmT1_PNSt15iterator_traitsISY_E10value_typeET2_T3_PNSZ_IS14_E10value_typeET4_jRbjT5_S1A_jjP12ihipStream_tbEUljE_EEESV_SW_SX_S14_S18_S1A_T6_T7_T9_mT8_S1C_bDpT10_ENKUlT_T0_E_clISt17integral_constantIbLb0EES1P_EEDaS1K_S1L_EUlS1K_E_NS1_11comp_targetILNS1_3genE0ELNS1_11target_archE4294967295ELNS1_3gpuE0ELNS1_3repE0EEENS1_30default_config_static_selectorELNS0_4arch9wavefront6targetE1EEEvSY_.private_seg_size, 0
	.set _ZN7rocprim17ROCPRIM_400000_NS6detail17trampoline_kernelINS0_13select_configILj256ELj13ELNS0_17block_load_methodE3ELS4_3ELS4_3ELNS0_20block_scan_algorithmE0ELj4294967295EEENS1_25partition_config_selectorILNS1_17partition_subalgoE3EjNS0_10empty_typeEbEEZZNS1_14partition_implILS8_3ELb0ES6_jNS0_17counting_iteratorIjlEEPS9_SE_NS0_5tupleIJPjSE_EEENSF_IJSE_SE_EEES9_SG_JZNS1_25segmented_radix_sort_implINS0_14default_configELb1EPKbPbPKlPlN2at6native12_GLOBAL__N_18offset_tEEE10hipError_tPvRmT1_PNSt15iterator_traitsISY_E10value_typeET2_T3_PNSZ_IS14_E10value_typeET4_jRbjT5_S1A_jjP12ihipStream_tbEUljE_EEESV_SW_SX_S14_S18_S1A_T6_T7_T9_mT8_S1C_bDpT10_ENKUlT_T0_E_clISt17integral_constantIbLb0EES1P_EEDaS1K_S1L_EUlS1K_E_NS1_11comp_targetILNS1_3genE0ELNS1_11target_archE4294967295ELNS1_3gpuE0ELNS1_3repE0EEENS1_30default_config_static_selectorELNS0_4arch9wavefront6targetE1EEEvSY_.uses_vcc, 0
	.set _ZN7rocprim17ROCPRIM_400000_NS6detail17trampoline_kernelINS0_13select_configILj256ELj13ELNS0_17block_load_methodE3ELS4_3ELS4_3ELNS0_20block_scan_algorithmE0ELj4294967295EEENS1_25partition_config_selectorILNS1_17partition_subalgoE3EjNS0_10empty_typeEbEEZZNS1_14partition_implILS8_3ELb0ES6_jNS0_17counting_iteratorIjlEEPS9_SE_NS0_5tupleIJPjSE_EEENSF_IJSE_SE_EEES9_SG_JZNS1_25segmented_radix_sort_implINS0_14default_configELb1EPKbPbPKlPlN2at6native12_GLOBAL__N_18offset_tEEE10hipError_tPvRmT1_PNSt15iterator_traitsISY_E10value_typeET2_T3_PNSZ_IS14_E10value_typeET4_jRbjT5_S1A_jjP12ihipStream_tbEUljE_EEESV_SW_SX_S14_S18_S1A_T6_T7_T9_mT8_S1C_bDpT10_ENKUlT_T0_E_clISt17integral_constantIbLb0EES1P_EEDaS1K_S1L_EUlS1K_E_NS1_11comp_targetILNS1_3genE0ELNS1_11target_archE4294967295ELNS1_3gpuE0ELNS1_3repE0EEENS1_30default_config_static_selectorELNS0_4arch9wavefront6targetE1EEEvSY_.uses_flat_scratch, 0
	.set _ZN7rocprim17ROCPRIM_400000_NS6detail17trampoline_kernelINS0_13select_configILj256ELj13ELNS0_17block_load_methodE3ELS4_3ELS4_3ELNS0_20block_scan_algorithmE0ELj4294967295EEENS1_25partition_config_selectorILNS1_17partition_subalgoE3EjNS0_10empty_typeEbEEZZNS1_14partition_implILS8_3ELb0ES6_jNS0_17counting_iteratorIjlEEPS9_SE_NS0_5tupleIJPjSE_EEENSF_IJSE_SE_EEES9_SG_JZNS1_25segmented_radix_sort_implINS0_14default_configELb1EPKbPbPKlPlN2at6native12_GLOBAL__N_18offset_tEEE10hipError_tPvRmT1_PNSt15iterator_traitsISY_E10value_typeET2_T3_PNSZ_IS14_E10value_typeET4_jRbjT5_S1A_jjP12ihipStream_tbEUljE_EEESV_SW_SX_S14_S18_S1A_T6_T7_T9_mT8_S1C_bDpT10_ENKUlT_T0_E_clISt17integral_constantIbLb0EES1P_EEDaS1K_S1L_EUlS1K_E_NS1_11comp_targetILNS1_3genE0ELNS1_11target_archE4294967295ELNS1_3gpuE0ELNS1_3repE0EEENS1_30default_config_static_selectorELNS0_4arch9wavefront6targetE1EEEvSY_.has_dyn_sized_stack, 0
	.set _ZN7rocprim17ROCPRIM_400000_NS6detail17trampoline_kernelINS0_13select_configILj256ELj13ELNS0_17block_load_methodE3ELS4_3ELS4_3ELNS0_20block_scan_algorithmE0ELj4294967295EEENS1_25partition_config_selectorILNS1_17partition_subalgoE3EjNS0_10empty_typeEbEEZZNS1_14partition_implILS8_3ELb0ES6_jNS0_17counting_iteratorIjlEEPS9_SE_NS0_5tupleIJPjSE_EEENSF_IJSE_SE_EEES9_SG_JZNS1_25segmented_radix_sort_implINS0_14default_configELb1EPKbPbPKlPlN2at6native12_GLOBAL__N_18offset_tEEE10hipError_tPvRmT1_PNSt15iterator_traitsISY_E10value_typeET2_T3_PNSZ_IS14_E10value_typeET4_jRbjT5_S1A_jjP12ihipStream_tbEUljE_EEESV_SW_SX_S14_S18_S1A_T6_T7_T9_mT8_S1C_bDpT10_ENKUlT_T0_E_clISt17integral_constantIbLb0EES1P_EEDaS1K_S1L_EUlS1K_E_NS1_11comp_targetILNS1_3genE0ELNS1_11target_archE4294967295ELNS1_3gpuE0ELNS1_3repE0EEENS1_30default_config_static_selectorELNS0_4arch9wavefront6targetE1EEEvSY_.has_recursion, 0
	.set _ZN7rocprim17ROCPRIM_400000_NS6detail17trampoline_kernelINS0_13select_configILj256ELj13ELNS0_17block_load_methodE3ELS4_3ELS4_3ELNS0_20block_scan_algorithmE0ELj4294967295EEENS1_25partition_config_selectorILNS1_17partition_subalgoE3EjNS0_10empty_typeEbEEZZNS1_14partition_implILS8_3ELb0ES6_jNS0_17counting_iteratorIjlEEPS9_SE_NS0_5tupleIJPjSE_EEENSF_IJSE_SE_EEES9_SG_JZNS1_25segmented_radix_sort_implINS0_14default_configELb1EPKbPbPKlPlN2at6native12_GLOBAL__N_18offset_tEEE10hipError_tPvRmT1_PNSt15iterator_traitsISY_E10value_typeET2_T3_PNSZ_IS14_E10value_typeET4_jRbjT5_S1A_jjP12ihipStream_tbEUljE_EEESV_SW_SX_S14_S18_S1A_T6_T7_T9_mT8_S1C_bDpT10_ENKUlT_T0_E_clISt17integral_constantIbLb0EES1P_EEDaS1K_S1L_EUlS1K_E_NS1_11comp_targetILNS1_3genE0ELNS1_11target_archE4294967295ELNS1_3gpuE0ELNS1_3repE0EEENS1_30default_config_static_selectorELNS0_4arch9wavefront6targetE1EEEvSY_.has_indirect_call, 0
	.section	.AMDGPU.csdata,"",@progbits
; Kernel info:
; codeLenInByte = 0
; TotalNumSgprs: 4
; NumVgprs: 0
; ScratchSize: 0
; MemoryBound: 0
; FloatMode: 240
; IeeeMode: 1
; LDSByteSize: 0 bytes/workgroup (compile time only)
; SGPRBlocks: 0
; VGPRBlocks: 0
; NumSGPRsForWavesPerEU: 4
; NumVGPRsForWavesPerEU: 1
; Occupancy: 10
; WaveLimiterHint : 0
; COMPUTE_PGM_RSRC2:SCRATCH_EN: 0
; COMPUTE_PGM_RSRC2:USER_SGPR: 6
; COMPUTE_PGM_RSRC2:TRAP_HANDLER: 0
; COMPUTE_PGM_RSRC2:TGID_X_EN: 1
; COMPUTE_PGM_RSRC2:TGID_Y_EN: 0
; COMPUTE_PGM_RSRC2:TGID_Z_EN: 0
; COMPUTE_PGM_RSRC2:TIDIG_COMP_CNT: 0
	.section	.text._ZN7rocprim17ROCPRIM_400000_NS6detail17trampoline_kernelINS0_13select_configILj256ELj13ELNS0_17block_load_methodE3ELS4_3ELS4_3ELNS0_20block_scan_algorithmE0ELj4294967295EEENS1_25partition_config_selectorILNS1_17partition_subalgoE3EjNS0_10empty_typeEbEEZZNS1_14partition_implILS8_3ELb0ES6_jNS0_17counting_iteratorIjlEEPS9_SE_NS0_5tupleIJPjSE_EEENSF_IJSE_SE_EEES9_SG_JZNS1_25segmented_radix_sort_implINS0_14default_configELb1EPKbPbPKlPlN2at6native12_GLOBAL__N_18offset_tEEE10hipError_tPvRmT1_PNSt15iterator_traitsISY_E10value_typeET2_T3_PNSZ_IS14_E10value_typeET4_jRbjT5_S1A_jjP12ihipStream_tbEUljE_EEESV_SW_SX_S14_S18_S1A_T6_T7_T9_mT8_S1C_bDpT10_ENKUlT_T0_E_clISt17integral_constantIbLb0EES1P_EEDaS1K_S1L_EUlS1K_E_NS1_11comp_targetILNS1_3genE5ELNS1_11target_archE942ELNS1_3gpuE9ELNS1_3repE0EEENS1_30default_config_static_selectorELNS0_4arch9wavefront6targetE1EEEvSY_,"axG",@progbits,_ZN7rocprim17ROCPRIM_400000_NS6detail17trampoline_kernelINS0_13select_configILj256ELj13ELNS0_17block_load_methodE3ELS4_3ELS4_3ELNS0_20block_scan_algorithmE0ELj4294967295EEENS1_25partition_config_selectorILNS1_17partition_subalgoE3EjNS0_10empty_typeEbEEZZNS1_14partition_implILS8_3ELb0ES6_jNS0_17counting_iteratorIjlEEPS9_SE_NS0_5tupleIJPjSE_EEENSF_IJSE_SE_EEES9_SG_JZNS1_25segmented_radix_sort_implINS0_14default_configELb1EPKbPbPKlPlN2at6native12_GLOBAL__N_18offset_tEEE10hipError_tPvRmT1_PNSt15iterator_traitsISY_E10value_typeET2_T3_PNSZ_IS14_E10value_typeET4_jRbjT5_S1A_jjP12ihipStream_tbEUljE_EEESV_SW_SX_S14_S18_S1A_T6_T7_T9_mT8_S1C_bDpT10_ENKUlT_T0_E_clISt17integral_constantIbLb0EES1P_EEDaS1K_S1L_EUlS1K_E_NS1_11comp_targetILNS1_3genE5ELNS1_11target_archE942ELNS1_3gpuE9ELNS1_3repE0EEENS1_30default_config_static_selectorELNS0_4arch9wavefront6targetE1EEEvSY_,comdat
	.globl	_ZN7rocprim17ROCPRIM_400000_NS6detail17trampoline_kernelINS0_13select_configILj256ELj13ELNS0_17block_load_methodE3ELS4_3ELS4_3ELNS0_20block_scan_algorithmE0ELj4294967295EEENS1_25partition_config_selectorILNS1_17partition_subalgoE3EjNS0_10empty_typeEbEEZZNS1_14partition_implILS8_3ELb0ES6_jNS0_17counting_iteratorIjlEEPS9_SE_NS0_5tupleIJPjSE_EEENSF_IJSE_SE_EEES9_SG_JZNS1_25segmented_radix_sort_implINS0_14default_configELb1EPKbPbPKlPlN2at6native12_GLOBAL__N_18offset_tEEE10hipError_tPvRmT1_PNSt15iterator_traitsISY_E10value_typeET2_T3_PNSZ_IS14_E10value_typeET4_jRbjT5_S1A_jjP12ihipStream_tbEUljE_EEESV_SW_SX_S14_S18_S1A_T6_T7_T9_mT8_S1C_bDpT10_ENKUlT_T0_E_clISt17integral_constantIbLb0EES1P_EEDaS1K_S1L_EUlS1K_E_NS1_11comp_targetILNS1_3genE5ELNS1_11target_archE942ELNS1_3gpuE9ELNS1_3repE0EEENS1_30default_config_static_selectorELNS0_4arch9wavefront6targetE1EEEvSY_ ; -- Begin function _ZN7rocprim17ROCPRIM_400000_NS6detail17trampoline_kernelINS0_13select_configILj256ELj13ELNS0_17block_load_methodE3ELS4_3ELS4_3ELNS0_20block_scan_algorithmE0ELj4294967295EEENS1_25partition_config_selectorILNS1_17partition_subalgoE3EjNS0_10empty_typeEbEEZZNS1_14partition_implILS8_3ELb0ES6_jNS0_17counting_iteratorIjlEEPS9_SE_NS0_5tupleIJPjSE_EEENSF_IJSE_SE_EEES9_SG_JZNS1_25segmented_radix_sort_implINS0_14default_configELb1EPKbPbPKlPlN2at6native12_GLOBAL__N_18offset_tEEE10hipError_tPvRmT1_PNSt15iterator_traitsISY_E10value_typeET2_T3_PNSZ_IS14_E10value_typeET4_jRbjT5_S1A_jjP12ihipStream_tbEUljE_EEESV_SW_SX_S14_S18_S1A_T6_T7_T9_mT8_S1C_bDpT10_ENKUlT_T0_E_clISt17integral_constantIbLb0EES1P_EEDaS1K_S1L_EUlS1K_E_NS1_11comp_targetILNS1_3genE5ELNS1_11target_archE942ELNS1_3gpuE9ELNS1_3repE0EEENS1_30default_config_static_selectorELNS0_4arch9wavefront6targetE1EEEvSY_
	.p2align	8
	.type	_ZN7rocprim17ROCPRIM_400000_NS6detail17trampoline_kernelINS0_13select_configILj256ELj13ELNS0_17block_load_methodE3ELS4_3ELS4_3ELNS0_20block_scan_algorithmE0ELj4294967295EEENS1_25partition_config_selectorILNS1_17partition_subalgoE3EjNS0_10empty_typeEbEEZZNS1_14partition_implILS8_3ELb0ES6_jNS0_17counting_iteratorIjlEEPS9_SE_NS0_5tupleIJPjSE_EEENSF_IJSE_SE_EEES9_SG_JZNS1_25segmented_radix_sort_implINS0_14default_configELb1EPKbPbPKlPlN2at6native12_GLOBAL__N_18offset_tEEE10hipError_tPvRmT1_PNSt15iterator_traitsISY_E10value_typeET2_T3_PNSZ_IS14_E10value_typeET4_jRbjT5_S1A_jjP12ihipStream_tbEUljE_EEESV_SW_SX_S14_S18_S1A_T6_T7_T9_mT8_S1C_bDpT10_ENKUlT_T0_E_clISt17integral_constantIbLb0EES1P_EEDaS1K_S1L_EUlS1K_E_NS1_11comp_targetILNS1_3genE5ELNS1_11target_archE942ELNS1_3gpuE9ELNS1_3repE0EEENS1_30default_config_static_selectorELNS0_4arch9wavefront6targetE1EEEvSY_,@function
_ZN7rocprim17ROCPRIM_400000_NS6detail17trampoline_kernelINS0_13select_configILj256ELj13ELNS0_17block_load_methodE3ELS4_3ELS4_3ELNS0_20block_scan_algorithmE0ELj4294967295EEENS1_25partition_config_selectorILNS1_17partition_subalgoE3EjNS0_10empty_typeEbEEZZNS1_14partition_implILS8_3ELb0ES6_jNS0_17counting_iteratorIjlEEPS9_SE_NS0_5tupleIJPjSE_EEENSF_IJSE_SE_EEES9_SG_JZNS1_25segmented_radix_sort_implINS0_14default_configELb1EPKbPbPKlPlN2at6native12_GLOBAL__N_18offset_tEEE10hipError_tPvRmT1_PNSt15iterator_traitsISY_E10value_typeET2_T3_PNSZ_IS14_E10value_typeET4_jRbjT5_S1A_jjP12ihipStream_tbEUljE_EEESV_SW_SX_S14_S18_S1A_T6_T7_T9_mT8_S1C_bDpT10_ENKUlT_T0_E_clISt17integral_constantIbLb0EES1P_EEDaS1K_S1L_EUlS1K_E_NS1_11comp_targetILNS1_3genE5ELNS1_11target_archE942ELNS1_3gpuE9ELNS1_3repE0EEENS1_30default_config_static_selectorELNS0_4arch9wavefront6targetE1EEEvSY_: ; @_ZN7rocprim17ROCPRIM_400000_NS6detail17trampoline_kernelINS0_13select_configILj256ELj13ELNS0_17block_load_methodE3ELS4_3ELS4_3ELNS0_20block_scan_algorithmE0ELj4294967295EEENS1_25partition_config_selectorILNS1_17partition_subalgoE3EjNS0_10empty_typeEbEEZZNS1_14partition_implILS8_3ELb0ES6_jNS0_17counting_iteratorIjlEEPS9_SE_NS0_5tupleIJPjSE_EEENSF_IJSE_SE_EEES9_SG_JZNS1_25segmented_radix_sort_implINS0_14default_configELb1EPKbPbPKlPlN2at6native12_GLOBAL__N_18offset_tEEE10hipError_tPvRmT1_PNSt15iterator_traitsISY_E10value_typeET2_T3_PNSZ_IS14_E10value_typeET4_jRbjT5_S1A_jjP12ihipStream_tbEUljE_EEESV_SW_SX_S14_S18_S1A_T6_T7_T9_mT8_S1C_bDpT10_ENKUlT_T0_E_clISt17integral_constantIbLb0EES1P_EEDaS1K_S1L_EUlS1K_E_NS1_11comp_targetILNS1_3genE5ELNS1_11target_archE942ELNS1_3gpuE9ELNS1_3repE0EEENS1_30default_config_static_selectorELNS0_4arch9wavefront6targetE1EEEvSY_
; %bb.0:
	.section	.rodata,"a",@progbits
	.p2align	6, 0x0
	.amdhsa_kernel _ZN7rocprim17ROCPRIM_400000_NS6detail17trampoline_kernelINS0_13select_configILj256ELj13ELNS0_17block_load_methodE3ELS4_3ELS4_3ELNS0_20block_scan_algorithmE0ELj4294967295EEENS1_25partition_config_selectorILNS1_17partition_subalgoE3EjNS0_10empty_typeEbEEZZNS1_14partition_implILS8_3ELb0ES6_jNS0_17counting_iteratorIjlEEPS9_SE_NS0_5tupleIJPjSE_EEENSF_IJSE_SE_EEES9_SG_JZNS1_25segmented_radix_sort_implINS0_14default_configELb1EPKbPbPKlPlN2at6native12_GLOBAL__N_18offset_tEEE10hipError_tPvRmT1_PNSt15iterator_traitsISY_E10value_typeET2_T3_PNSZ_IS14_E10value_typeET4_jRbjT5_S1A_jjP12ihipStream_tbEUljE_EEESV_SW_SX_S14_S18_S1A_T6_T7_T9_mT8_S1C_bDpT10_ENKUlT_T0_E_clISt17integral_constantIbLb0EES1P_EEDaS1K_S1L_EUlS1K_E_NS1_11comp_targetILNS1_3genE5ELNS1_11target_archE942ELNS1_3gpuE9ELNS1_3repE0EEENS1_30default_config_static_selectorELNS0_4arch9wavefront6targetE1EEEvSY_
		.amdhsa_group_segment_fixed_size 0
		.amdhsa_private_segment_fixed_size 0
		.amdhsa_kernarg_size 144
		.amdhsa_user_sgpr_count 6
		.amdhsa_user_sgpr_private_segment_buffer 1
		.amdhsa_user_sgpr_dispatch_ptr 0
		.amdhsa_user_sgpr_queue_ptr 0
		.amdhsa_user_sgpr_kernarg_segment_ptr 1
		.amdhsa_user_sgpr_dispatch_id 0
		.amdhsa_user_sgpr_flat_scratch_init 0
		.amdhsa_user_sgpr_private_segment_size 0
		.amdhsa_uses_dynamic_stack 0
		.amdhsa_system_sgpr_private_segment_wavefront_offset 0
		.amdhsa_system_sgpr_workgroup_id_x 1
		.amdhsa_system_sgpr_workgroup_id_y 0
		.amdhsa_system_sgpr_workgroup_id_z 0
		.amdhsa_system_sgpr_workgroup_info 0
		.amdhsa_system_vgpr_workitem_id 0
		.amdhsa_next_free_vgpr 1
		.amdhsa_next_free_sgpr 0
		.amdhsa_reserve_vcc 0
		.amdhsa_reserve_flat_scratch 0
		.amdhsa_float_round_mode_32 0
		.amdhsa_float_round_mode_16_64 0
		.amdhsa_float_denorm_mode_32 3
		.amdhsa_float_denorm_mode_16_64 3
		.amdhsa_dx10_clamp 1
		.amdhsa_ieee_mode 1
		.amdhsa_fp16_overflow 0
		.amdhsa_exception_fp_ieee_invalid_op 0
		.amdhsa_exception_fp_denorm_src 0
		.amdhsa_exception_fp_ieee_div_zero 0
		.amdhsa_exception_fp_ieee_overflow 0
		.amdhsa_exception_fp_ieee_underflow 0
		.amdhsa_exception_fp_ieee_inexact 0
		.amdhsa_exception_int_div_zero 0
	.end_amdhsa_kernel
	.section	.text._ZN7rocprim17ROCPRIM_400000_NS6detail17trampoline_kernelINS0_13select_configILj256ELj13ELNS0_17block_load_methodE3ELS4_3ELS4_3ELNS0_20block_scan_algorithmE0ELj4294967295EEENS1_25partition_config_selectorILNS1_17partition_subalgoE3EjNS0_10empty_typeEbEEZZNS1_14partition_implILS8_3ELb0ES6_jNS0_17counting_iteratorIjlEEPS9_SE_NS0_5tupleIJPjSE_EEENSF_IJSE_SE_EEES9_SG_JZNS1_25segmented_radix_sort_implINS0_14default_configELb1EPKbPbPKlPlN2at6native12_GLOBAL__N_18offset_tEEE10hipError_tPvRmT1_PNSt15iterator_traitsISY_E10value_typeET2_T3_PNSZ_IS14_E10value_typeET4_jRbjT5_S1A_jjP12ihipStream_tbEUljE_EEESV_SW_SX_S14_S18_S1A_T6_T7_T9_mT8_S1C_bDpT10_ENKUlT_T0_E_clISt17integral_constantIbLb0EES1P_EEDaS1K_S1L_EUlS1K_E_NS1_11comp_targetILNS1_3genE5ELNS1_11target_archE942ELNS1_3gpuE9ELNS1_3repE0EEENS1_30default_config_static_selectorELNS0_4arch9wavefront6targetE1EEEvSY_,"axG",@progbits,_ZN7rocprim17ROCPRIM_400000_NS6detail17trampoline_kernelINS0_13select_configILj256ELj13ELNS0_17block_load_methodE3ELS4_3ELS4_3ELNS0_20block_scan_algorithmE0ELj4294967295EEENS1_25partition_config_selectorILNS1_17partition_subalgoE3EjNS0_10empty_typeEbEEZZNS1_14partition_implILS8_3ELb0ES6_jNS0_17counting_iteratorIjlEEPS9_SE_NS0_5tupleIJPjSE_EEENSF_IJSE_SE_EEES9_SG_JZNS1_25segmented_radix_sort_implINS0_14default_configELb1EPKbPbPKlPlN2at6native12_GLOBAL__N_18offset_tEEE10hipError_tPvRmT1_PNSt15iterator_traitsISY_E10value_typeET2_T3_PNSZ_IS14_E10value_typeET4_jRbjT5_S1A_jjP12ihipStream_tbEUljE_EEESV_SW_SX_S14_S18_S1A_T6_T7_T9_mT8_S1C_bDpT10_ENKUlT_T0_E_clISt17integral_constantIbLb0EES1P_EEDaS1K_S1L_EUlS1K_E_NS1_11comp_targetILNS1_3genE5ELNS1_11target_archE942ELNS1_3gpuE9ELNS1_3repE0EEENS1_30default_config_static_selectorELNS0_4arch9wavefront6targetE1EEEvSY_,comdat
.Lfunc_end1501:
	.size	_ZN7rocprim17ROCPRIM_400000_NS6detail17trampoline_kernelINS0_13select_configILj256ELj13ELNS0_17block_load_methodE3ELS4_3ELS4_3ELNS0_20block_scan_algorithmE0ELj4294967295EEENS1_25partition_config_selectorILNS1_17partition_subalgoE3EjNS0_10empty_typeEbEEZZNS1_14partition_implILS8_3ELb0ES6_jNS0_17counting_iteratorIjlEEPS9_SE_NS0_5tupleIJPjSE_EEENSF_IJSE_SE_EEES9_SG_JZNS1_25segmented_radix_sort_implINS0_14default_configELb1EPKbPbPKlPlN2at6native12_GLOBAL__N_18offset_tEEE10hipError_tPvRmT1_PNSt15iterator_traitsISY_E10value_typeET2_T3_PNSZ_IS14_E10value_typeET4_jRbjT5_S1A_jjP12ihipStream_tbEUljE_EEESV_SW_SX_S14_S18_S1A_T6_T7_T9_mT8_S1C_bDpT10_ENKUlT_T0_E_clISt17integral_constantIbLb0EES1P_EEDaS1K_S1L_EUlS1K_E_NS1_11comp_targetILNS1_3genE5ELNS1_11target_archE942ELNS1_3gpuE9ELNS1_3repE0EEENS1_30default_config_static_selectorELNS0_4arch9wavefront6targetE1EEEvSY_, .Lfunc_end1501-_ZN7rocprim17ROCPRIM_400000_NS6detail17trampoline_kernelINS0_13select_configILj256ELj13ELNS0_17block_load_methodE3ELS4_3ELS4_3ELNS0_20block_scan_algorithmE0ELj4294967295EEENS1_25partition_config_selectorILNS1_17partition_subalgoE3EjNS0_10empty_typeEbEEZZNS1_14partition_implILS8_3ELb0ES6_jNS0_17counting_iteratorIjlEEPS9_SE_NS0_5tupleIJPjSE_EEENSF_IJSE_SE_EEES9_SG_JZNS1_25segmented_radix_sort_implINS0_14default_configELb1EPKbPbPKlPlN2at6native12_GLOBAL__N_18offset_tEEE10hipError_tPvRmT1_PNSt15iterator_traitsISY_E10value_typeET2_T3_PNSZ_IS14_E10value_typeET4_jRbjT5_S1A_jjP12ihipStream_tbEUljE_EEESV_SW_SX_S14_S18_S1A_T6_T7_T9_mT8_S1C_bDpT10_ENKUlT_T0_E_clISt17integral_constantIbLb0EES1P_EEDaS1K_S1L_EUlS1K_E_NS1_11comp_targetILNS1_3genE5ELNS1_11target_archE942ELNS1_3gpuE9ELNS1_3repE0EEENS1_30default_config_static_selectorELNS0_4arch9wavefront6targetE1EEEvSY_
                                        ; -- End function
	.set _ZN7rocprim17ROCPRIM_400000_NS6detail17trampoline_kernelINS0_13select_configILj256ELj13ELNS0_17block_load_methodE3ELS4_3ELS4_3ELNS0_20block_scan_algorithmE0ELj4294967295EEENS1_25partition_config_selectorILNS1_17partition_subalgoE3EjNS0_10empty_typeEbEEZZNS1_14partition_implILS8_3ELb0ES6_jNS0_17counting_iteratorIjlEEPS9_SE_NS0_5tupleIJPjSE_EEENSF_IJSE_SE_EEES9_SG_JZNS1_25segmented_radix_sort_implINS0_14default_configELb1EPKbPbPKlPlN2at6native12_GLOBAL__N_18offset_tEEE10hipError_tPvRmT1_PNSt15iterator_traitsISY_E10value_typeET2_T3_PNSZ_IS14_E10value_typeET4_jRbjT5_S1A_jjP12ihipStream_tbEUljE_EEESV_SW_SX_S14_S18_S1A_T6_T7_T9_mT8_S1C_bDpT10_ENKUlT_T0_E_clISt17integral_constantIbLb0EES1P_EEDaS1K_S1L_EUlS1K_E_NS1_11comp_targetILNS1_3genE5ELNS1_11target_archE942ELNS1_3gpuE9ELNS1_3repE0EEENS1_30default_config_static_selectorELNS0_4arch9wavefront6targetE1EEEvSY_.num_vgpr, 0
	.set _ZN7rocprim17ROCPRIM_400000_NS6detail17trampoline_kernelINS0_13select_configILj256ELj13ELNS0_17block_load_methodE3ELS4_3ELS4_3ELNS0_20block_scan_algorithmE0ELj4294967295EEENS1_25partition_config_selectorILNS1_17partition_subalgoE3EjNS0_10empty_typeEbEEZZNS1_14partition_implILS8_3ELb0ES6_jNS0_17counting_iteratorIjlEEPS9_SE_NS0_5tupleIJPjSE_EEENSF_IJSE_SE_EEES9_SG_JZNS1_25segmented_radix_sort_implINS0_14default_configELb1EPKbPbPKlPlN2at6native12_GLOBAL__N_18offset_tEEE10hipError_tPvRmT1_PNSt15iterator_traitsISY_E10value_typeET2_T3_PNSZ_IS14_E10value_typeET4_jRbjT5_S1A_jjP12ihipStream_tbEUljE_EEESV_SW_SX_S14_S18_S1A_T6_T7_T9_mT8_S1C_bDpT10_ENKUlT_T0_E_clISt17integral_constantIbLb0EES1P_EEDaS1K_S1L_EUlS1K_E_NS1_11comp_targetILNS1_3genE5ELNS1_11target_archE942ELNS1_3gpuE9ELNS1_3repE0EEENS1_30default_config_static_selectorELNS0_4arch9wavefront6targetE1EEEvSY_.num_agpr, 0
	.set _ZN7rocprim17ROCPRIM_400000_NS6detail17trampoline_kernelINS0_13select_configILj256ELj13ELNS0_17block_load_methodE3ELS4_3ELS4_3ELNS0_20block_scan_algorithmE0ELj4294967295EEENS1_25partition_config_selectorILNS1_17partition_subalgoE3EjNS0_10empty_typeEbEEZZNS1_14partition_implILS8_3ELb0ES6_jNS0_17counting_iteratorIjlEEPS9_SE_NS0_5tupleIJPjSE_EEENSF_IJSE_SE_EEES9_SG_JZNS1_25segmented_radix_sort_implINS0_14default_configELb1EPKbPbPKlPlN2at6native12_GLOBAL__N_18offset_tEEE10hipError_tPvRmT1_PNSt15iterator_traitsISY_E10value_typeET2_T3_PNSZ_IS14_E10value_typeET4_jRbjT5_S1A_jjP12ihipStream_tbEUljE_EEESV_SW_SX_S14_S18_S1A_T6_T7_T9_mT8_S1C_bDpT10_ENKUlT_T0_E_clISt17integral_constantIbLb0EES1P_EEDaS1K_S1L_EUlS1K_E_NS1_11comp_targetILNS1_3genE5ELNS1_11target_archE942ELNS1_3gpuE9ELNS1_3repE0EEENS1_30default_config_static_selectorELNS0_4arch9wavefront6targetE1EEEvSY_.numbered_sgpr, 0
	.set _ZN7rocprim17ROCPRIM_400000_NS6detail17trampoline_kernelINS0_13select_configILj256ELj13ELNS0_17block_load_methodE3ELS4_3ELS4_3ELNS0_20block_scan_algorithmE0ELj4294967295EEENS1_25partition_config_selectorILNS1_17partition_subalgoE3EjNS0_10empty_typeEbEEZZNS1_14partition_implILS8_3ELb0ES6_jNS0_17counting_iteratorIjlEEPS9_SE_NS0_5tupleIJPjSE_EEENSF_IJSE_SE_EEES9_SG_JZNS1_25segmented_radix_sort_implINS0_14default_configELb1EPKbPbPKlPlN2at6native12_GLOBAL__N_18offset_tEEE10hipError_tPvRmT1_PNSt15iterator_traitsISY_E10value_typeET2_T3_PNSZ_IS14_E10value_typeET4_jRbjT5_S1A_jjP12ihipStream_tbEUljE_EEESV_SW_SX_S14_S18_S1A_T6_T7_T9_mT8_S1C_bDpT10_ENKUlT_T0_E_clISt17integral_constantIbLb0EES1P_EEDaS1K_S1L_EUlS1K_E_NS1_11comp_targetILNS1_3genE5ELNS1_11target_archE942ELNS1_3gpuE9ELNS1_3repE0EEENS1_30default_config_static_selectorELNS0_4arch9wavefront6targetE1EEEvSY_.num_named_barrier, 0
	.set _ZN7rocprim17ROCPRIM_400000_NS6detail17trampoline_kernelINS0_13select_configILj256ELj13ELNS0_17block_load_methodE3ELS4_3ELS4_3ELNS0_20block_scan_algorithmE0ELj4294967295EEENS1_25partition_config_selectorILNS1_17partition_subalgoE3EjNS0_10empty_typeEbEEZZNS1_14partition_implILS8_3ELb0ES6_jNS0_17counting_iteratorIjlEEPS9_SE_NS0_5tupleIJPjSE_EEENSF_IJSE_SE_EEES9_SG_JZNS1_25segmented_radix_sort_implINS0_14default_configELb1EPKbPbPKlPlN2at6native12_GLOBAL__N_18offset_tEEE10hipError_tPvRmT1_PNSt15iterator_traitsISY_E10value_typeET2_T3_PNSZ_IS14_E10value_typeET4_jRbjT5_S1A_jjP12ihipStream_tbEUljE_EEESV_SW_SX_S14_S18_S1A_T6_T7_T9_mT8_S1C_bDpT10_ENKUlT_T0_E_clISt17integral_constantIbLb0EES1P_EEDaS1K_S1L_EUlS1K_E_NS1_11comp_targetILNS1_3genE5ELNS1_11target_archE942ELNS1_3gpuE9ELNS1_3repE0EEENS1_30default_config_static_selectorELNS0_4arch9wavefront6targetE1EEEvSY_.private_seg_size, 0
	.set _ZN7rocprim17ROCPRIM_400000_NS6detail17trampoline_kernelINS0_13select_configILj256ELj13ELNS0_17block_load_methodE3ELS4_3ELS4_3ELNS0_20block_scan_algorithmE0ELj4294967295EEENS1_25partition_config_selectorILNS1_17partition_subalgoE3EjNS0_10empty_typeEbEEZZNS1_14partition_implILS8_3ELb0ES6_jNS0_17counting_iteratorIjlEEPS9_SE_NS0_5tupleIJPjSE_EEENSF_IJSE_SE_EEES9_SG_JZNS1_25segmented_radix_sort_implINS0_14default_configELb1EPKbPbPKlPlN2at6native12_GLOBAL__N_18offset_tEEE10hipError_tPvRmT1_PNSt15iterator_traitsISY_E10value_typeET2_T3_PNSZ_IS14_E10value_typeET4_jRbjT5_S1A_jjP12ihipStream_tbEUljE_EEESV_SW_SX_S14_S18_S1A_T6_T7_T9_mT8_S1C_bDpT10_ENKUlT_T0_E_clISt17integral_constantIbLb0EES1P_EEDaS1K_S1L_EUlS1K_E_NS1_11comp_targetILNS1_3genE5ELNS1_11target_archE942ELNS1_3gpuE9ELNS1_3repE0EEENS1_30default_config_static_selectorELNS0_4arch9wavefront6targetE1EEEvSY_.uses_vcc, 0
	.set _ZN7rocprim17ROCPRIM_400000_NS6detail17trampoline_kernelINS0_13select_configILj256ELj13ELNS0_17block_load_methodE3ELS4_3ELS4_3ELNS0_20block_scan_algorithmE0ELj4294967295EEENS1_25partition_config_selectorILNS1_17partition_subalgoE3EjNS0_10empty_typeEbEEZZNS1_14partition_implILS8_3ELb0ES6_jNS0_17counting_iteratorIjlEEPS9_SE_NS0_5tupleIJPjSE_EEENSF_IJSE_SE_EEES9_SG_JZNS1_25segmented_radix_sort_implINS0_14default_configELb1EPKbPbPKlPlN2at6native12_GLOBAL__N_18offset_tEEE10hipError_tPvRmT1_PNSt15iterator_traitsISY_E10value_typeET2_T3_PNSZ_IS14_E10value_typeET4_jRbjT5_S1A_jjP12ihipStream_tbEUljE_EEESV_SW_SX_S14_S18_S1A_T6_T7_T9_mT8_S1C_bDpT10_ENKUlT_T0_E_clISt17integral_constantIbLb0EES1P_EEDaS1K_S1L_EUlS1K_E_NS1_11comp_targetILNS1_3genE5ELNS1_11target_archE942ELNS1_3gpuE9ELNS1_3repE0EEENS1_30default_config_static_selectorELNS0_4arch9wavefront6targetE1EEEvSY_.uses_flat_scratch, 0
	.set _ZN7rocprim17ROCPRIM_400000_NS6detail17trampoline_kernelINS0_13select_configILj256ELj13ELNS0_17block_load_methodE3ELS4_3ELS4_3ELNS0_20block_scan_algorithmE0ELj4294967295EEENS1_25partition_config_selectorILNS1_17partition_subalgoE3EjNS0_10empty_typeEbEEZZNS1_14partition_implILS8_3ELb0ES6_jNS0_17counting_iteratorIjlEEPS9_SE_NS0_5tupleIJPjSE_EEENSF_IJSE_SE_EEES9_SG_JZNS1_25segmented_radix_sort_implINS0_14default_configELb1EPKbPbPKlPlN2at6native12_GLOBAL__N_18offset_tEEE10hipError_tPvRmT1_PNSt15iterator_traitsISY_E10value_typeET2_T3_PNSZ_IS14_E10value_typeET4_jRbjT5_S1A_jjP12ihipStream_tbEUljE_EEESV_SW_SX_S14_S18_S1A_T6_T7_T9_mT8_S1C_bDpT10_ENKUlT_T0_E_clISt17integral_constantIbLb0EES1P_EEDaS1K_S1L_EUlS1K_E_NS1_11comp_targetILNS1_3genE5ELNS1_11target_archE942ELNS1_3gpuE9ELNS1_3repE0EEENS1_30default_config_static_selectorELNS0_4arch9wavefront6targetE1EEEvSY_.has_dyn_sized_stack, 0
	.set _ZN7rocprim17ROCPRIM_400000_NS6detail17trampoline_kernelINS0_13select_configILj256ELj13ELNS0_17block_load_methodE3ELS4_3ELS4_3ELNS0_20block_scan_algorithmE0ELj4294967295EEENS1_25partition_config_selectorILNS1_17partition_subalgoE3EjNS0_10empty_typeEbEEZZNS1_14partition_implILS8_3ELb0ES6_jNS0_17counting_iteratorIjlEEPS9_SE_NS0_5tupleIJPjSE_EEENSF_IJSE_SE_EEES9_SG_JZNS1_25segmented_radix_sort_implINS0_14default_configELb1EPKbPbPKlPlN2at6native12_GLOBAL__N_18offset_tEEE10hipError_tPvRmT1_PNSt15iterator_traitsISY_E10value_typeET2_T3_PNSZ_IS14_E10value_typeET4_jRbjT5_S1A_jjP12ihipStream_tbEUljE_EEESV_SW_SX_S14_S18_S1A_T6_T7_T9_mT8_S1C_bDpT10_ENKUlT_T0_E_clISt17integral_constantIbLb0EES1P_EEDaS1K_S1L_EUlS1K_E_NS1_11comp_targetILNS1_3genE5ELNS1_11target_archE942ELNS1_3gpuE9ELNS1_3repE0EEENS1_30default_config_static_selectorELNS0_4arch9wavefront6targetE1EEEvSY_.has_recursion, 0
	.set _ZN7rocprim17ROCPRIM_400000_NS6detail17trampoline_kernelINS0_13select_configILj256ELj13ELNS0_17block_load_methodE3ELS4_3ELS4_3ELNS0_20block_scan_algorithmE0ELj4294967295EEENS1_25partition_config_selectorILNS1_17partition_subalgoE3EjNS0_10empty_typeEbEEZZNS1_14partition_implILS8_3ELb0ES6_jNS0_17counting_iteratorIjlEEPS9_SE_NS0_5tupleIJPjSE_EEENSF_IJSE_SE_EEES9_SG_JZNS1_25segmented_radix_sort_implINS0_14default_configELb1EPKbPbPKlPlN2at6native12_GLOBAL__N_18offset_tEEE10hipError_tPvRmT1_PNSt15iterator_traitsISY_E10value_typeET2_T3_PNSZ_IS14_E10value_typeET4_jRbjT5_S1A_jjP12ihipStream_tbEUljE_EEESV_SW_SX_S14_S18_S1A_T6_T7_T9_mT8_S1C_bDpT10_ENKUlT_T0_E_clISt17integral_constantIbLb0EES1P_EEDaS1K_S1L_EUlS1K_E_NS1_11comp_targetILNS1_3genE5ELNS1_11target_archE942ELNS1_3gpuE9ELNS1_3repE0EEENS1_30default_config_static_selectorELNS0_4arch9wavefront6targetE1EEEvSY_.has_indirect_call, 0
	.section	.AMDGPU.csdata,"",@progbits
; Kernel info:
; codeLenInByte = 0
; TotalNumSgprs: 4
; NumVgprs: 0
; ScratchSize: 0
; MemoryBound: 0
; FloatMode: 240
; IeeeMode: 1
; LDSByteSize: 0 bytes/workgroup (compile time only)
; SGPRBlocks: 0
; VGPRBlocks: 0
; NumSGPRsForWavesPerEU: 4
; NumVGPRsForWavesPerEU: 1
; Occupancy: 10
; WaveLimiterHint : 0
; COMPUTE_PGM_RSRC2:SCRATCH_EN: 0
; COMPUTE_PGM_RSRC2:USER_SGPR: 6
; COMPUTE_PGM_RSRC2:TRAP_HANDLER: 0
; COMPUTE_PGM_RSRC2:TGID_X_EN: 1
; COMPUTE_PGM_RSRC2:TGID_Y_EN: 0
; COMPUTE_PGM_RSRC2:TGID_Z_EN: 0
; COMPUTE_PGM_RSRC2:TIDIG_COMP_CNT: 0
	.section	.text._ZN7rocprim17ROCPRIM_400000_NS6detail17trampoline_kernelINS0_13select_configILj256ELj13ELNS0_17block_load_methodE3ELS4_3ELS4_3ELNS0_20block_scan_algorithmE0ELj4294967295EEENS1_25partition_config_selectorILNS1_17partition_subalgoE3EjNS0_10empty_typeEbEEZZNS1_14partition_implILS8_3ELb0ES6_jNS0_17counting_iteratorIjlEEPS9_SE_NS0_5tupleIJPjSE_EEENSF_IJSE_SE_EEES9_SG_JZNS1_25segmented_radix_sort_implINS0_14default_configELb1EPKbPbPKlPlN2at6native12_GLOBAL__N_18offset_tEEE10hipError_tPvRmT1_PNSt15iterator_traitsISY_E10value_typeET2_T3_PNSZ_IS14_E10value_typeET4_jRbjT5_S1A_jjP12ihipStream_tbEUljE_EEESV_SW_SX_S14_S18_S1A_T6_T7_T9_mT8_S1C_bDpT10_ENKUlT_T0_E_clISt17integral_constantIbLb0EES1P_EEDaS1K_S1L_EUlS1K_E_NS1_11comp_targetILNS1_3genE4ELNS1_11target_archE910ELNS1_3gpuE8ELNS1_3repE0EEENS1_30default_config_static_selectorELNS0_4arch9wavefront6targetE1EEEvSY_,"axG",@progbits,_ZN7rocprim17ROCPRIM_400000_NS6detail17trampoline_kernelINS0_13select_configILj256ELj13ELNS0_17block_load_methodE3ELS4_3ELS4_3ELNS0_20block_scan_algorithmE0ELj4294967295EEENS1_25partition_config_selectorILNS1_17partition_subalgoE3EjNS0_10empty_typeEbEEZZNS1_14partition_implILS8_3ELb0ES6_jNS0_17counting_iteratorIjlEEPS9_SE_NS0_5tupleIJPjSE_EEENSF_IJSE_SE_EEES9_SG_JZNS1_25segmented_radix_sort_implINS0_14default_configELb1EPKbPbPKlPlN2at6native12_GLOBAL__N_18offset_tEEE10hipError_tPvRmT1_PNSt15iterator_traitsISY_E10value_typeET2_T3_PNSZ_IS14_E10value_typeET4_jRbjT5_S1A_jjP12ihipStream_tbEUljE_EEESV_SW_SX_S14_S18_S1A_T6_T7_T9_mT8_S1C_bDpT10_ENKUlT_T0_E_clISt17integral_constantIbLb0EES1P_EEDaS1K_S1L_EUlS1K_E_NS1_11comp_targetILNS1_3genE4ELNS1_11target_archE910ELNS1_3gpuE8ELNS1_3repE0EEENS1_30default_config_static_selectorELNS0_4arch9wavefront6targetE1EEEvSY_,comdat
	.globl	_ZN7rocprim17ROCPRIM_400000_NS6detail17trampoline_kernelINS0_13select_configILj256ELj13ELNS0_17block_load_methodE3ELS4_3ELS4_3ELNS0_20block_scan_algorithmE0ELj4294967295EEENS1_25partition_config_selectorILNS1_17partition_subalgoE3EjNS0_10empty_typeEbEEZZNS1_14partition_implILS8_3ELb0ES6_jNS0_17counting_iteratorIjlEEPS9_SE_NS0_5tupleIJPjSE_EEENSF_IJSE_SE_EEES9_SG_JZNS1_25segmented_radix_sort_implINS0_14default_configELb1EPKbPbPKlPlN2at6native12_GLOBAL__N_18offset_tEEE10hipError_tPvRmT1_PNSt15iterator_traitsISY_E10value_typeET2_T3_PNSZ_IS14_E10value_typeET4_jRbjT5_S1A_jjP12ihipStream_tbEUljE_EEESV_SW_SX_S14_S18_S1A_T6_T7_T9_mT8_S1C_bDpT10_ENKUlT_T0_E_clISt17integral_constantIbLb0EES1P_EEDaS1K_S1L_EUlS1K_E_NS1_11comp_targetILNS1_3genE4ELNS1_11target_archE910ELNS1_3gpuE8ELNS1_3repE0EEENS1_30default_config_static_selectorELNS0_4arch9wavefront6targetE1EEEvSY_ ; -- Begin function _ZN7rocprim17ROCPRIM_400000_NS6detail17trampoline_kernelINS0_13select_configILj256ELj13ELNS0_17block_load_methodE3ELS4_3ELS4_3ELNS0_20block_scan_algorithmE0ELj4294967295EEENS1_25partition_config_selectorILNS1_17partition_subalgoE3EjNS0_10empty_typeEbEEZZNS1_14partition_implILS8_3ELb0ES6_jNS0_17counting_iteratorIjlEEPS9_SE_NS0_5tupleIJPjSE_EEENSF_IJSE_SE_EEES9_SG_JZNS1_25segmented_radix_sort_implINS0_14default_configELb1EPKbPbPKlPlN2at6native12_GLOBAL__N_18offset_tEEE10hipError_tPvRmT1_PNSt15iterator_traitsISY_E10value_typeET2_T3_PNSZ_IS14_E10value_typeET4_jRbjT5_S1A_jjP12ihipStream_tbEUljE_EEESV_SW_SX_S14_S18_S1A_T6_T7_T9_mT8_S1C_bDpT10_ENKUlT_T0_E_clISt17integral_constantIbLb0EES1P_EEDaS1K_S1L_EUlS1K_E_NS1_11comp_targetILNS1_3genE4ELNS1_11target_archE910ELNS1_3gpuE8ELNS1_3repE0EEENS1_30default_config_static_selectorELNS0_4arch9wavefront6targetE1EEEvSY_
	.p2align	8
	.type	_ZN7rocprim17ROCPRIM_400000_NS6detail17trampoline_kernelINS0_13select_configILj256ELj13ELNS0_17block_load_methodE3ELS4_3ELS4_3ELNS0_20block_scan_algorithmE0ELj4294967295EEENS1_25partition_config_selectorILNS1_17partition_subalgoE3EjNS0_10empty_typeEbEEZZNS1_14partition_implILS8_3ELb0ES6_jNS0_17counting_iteratorIjlEEPS9_SE_NS0_5tupleIJPjSE_EEENSF_IJSE_SE_EEES9_SG_JZNS1_25segmented_radix_sort_implINS0_14default_configELb1EPKbPbPKlPlN2at6native12_GLOBAL__N_18offset_tEEE10hipError_tPvRmT1_PNSt15iterator_traitsISY_E10value_typeET2_T3_PNSZ_IS14_E10value_typeET4_jRbjT5_S1A_jjP12ihipStream_tbEUljE_EEESV_SW_SX_S14_S18_S1A_T6_T7_T9_mT8_S1C_bDpT10_ENKUlT_T0_E_clISt17integral_constantIbLb0EES1P_EEDaS1K_S1L_EUlS1K_E_NS1_11comp_targetILNS1_3genE4ELNS1_11target_archE910ELNS1_3gpuE8ELNS1_3repE0EEENS1_30default_config_static_selectorELNS0_4arch9wavefront6targetE1EEEvSY_,@function
_ZN7rocprim17ROCPRIM_400000_NS6detail17trampoline_kernelINS0_13select_configILj256ELj13ELNS0_17block_load_methodE3ELS4_3ELS4_3ELNS0_20block_scan_algorithmE0ELj4294967295EEENS1_25partition_config_selectorILNS1_17partition_subalgoE3EjNS0_10empty_typeEbEEZZNS1_14partition_implILS8_3ELb0ES6_jNS0_17counting_iteratorIjlEEPS9_SE_NS0_5tupleIJPjSE_EEENSF_IJSE_SE_EEES9_SG_JZNS1_25segmented_radix_sort_implINS0_14default_configELb1EPKbPbPKlPlN2at6native12_GLOBAL__N_18offset_tEEE10hipError_tPvRmT1_PNSt15iterator_traitsISY_E10value_typeET2_T3_PNSZ_IS14_E10value_typeET4_jRbjT5_S1A_jjP12ihipStream_tbEUljE_EEESV_SW_SX_S14_S18_S1A_T6_T7_T9_mT8_S1C_bDpT10_ENKUlT_T0_E_clISt17integral_constantIbLb0EES1P_EEDaS1K_S1L_EUlS1K_E_NS1_11comp_targetILNS1_3genE4ELNS1_11target_archE910ELNS1_3gpuE8ELNS1_3repE0EEENS1_30default_config_static_selectorELNS0_4arch9wavefront6targetE1EEEvSY_: ; @_ZN7rocprim17ROCPRIM_400000_NS6detail17trampoline_kernelINS0_13select_configILj256ELj13ELNS0_17block_load_methodE3ELS4_3ELS4_3ELNS0_20block_scan_algorithmE0ELj4294967295EEENS1_25partition_config_selectorILNS1_17partition_subalgoE3EjNS0_10empty_typeEbEEZZNS1_14partition_implILS8_3ELb0ES6_jNS0_17counting_iteratorIjlEEPS9_SE_NS0_5tupleIJPjSE_EEENSF_IJSE_SE_EEES9_SG_JZNS1_25segmented_radix_sort_implINS0_14default_configELb1EPKbPbPKlPlN2at6native12_GLOBAL__N_18offset_tEEE10hipError_tPvRmT1_PNSt15iterator_traitsISY_E10value_typeET2_T3_PNSZ_IS14_E10value_typeET4_jRbjT5_S1A_jjP12ihipStream_tbEUljE_EEESV_SW_SX_S14_S18_S1A_T6_T7_T9_mT8_S1C_bDpT10_ENKUlT_T0_E_clISt17integral_constantIbLb0EES1P_EEDaS1K_S1L_EUlS1K_E_NS1_11comp_targetILNS1_3genE4ELNS1_11target_archE910ELNS1_3gpuE8ELNS1_3repE0EEENS1_30default_config_static_selectorELNS0_4arch9wavefront6targetE1EEEvSY_
; %bb.0:
	.section	.rodata,"a",@progbits
	.p2align	6, 0x0
	.amdhsa_kernel _ZN7rocprim17ROCPRIM_400000_NS6detail17trampoline_kernelINS0_13select_configILj256ELj13ELNS0_17block_load_methodE3ELS4_3ELS4_3ELNS0_20block_scan_algorithmE0ELj4294967295EEENS1_25partition_config_selectorILNS1_17partition_subalgoE3EjNS0_10empty_typeEbEEZZNS1_14partition_implILS8_3ELb0ES6_jNS0_17counting_iteratorIjlEEPS9_SE_NS0_5tupleIJPjSE_EEENSF_IJSE_SE_EEES9_SG_JZNS1_25segmented_radix_sort_implINS0_14default_configELb1EPKbPbPKlPlN2at6native12_GLOBAL__N_18offset_tEEE10hipError_tPvRmT1_PNSt15iterator_traitsISY_E10value_typeET2_T3_PNSZ_IS14_E10value_typeET4_jRbjT5_S1A_jjP12ihipStream_tbEUljE_EEESV_SW_SX_S14_S18_S1A_T6_T7_T9_mT8_S1C_bDpT10_ENKUlT_T0_E_clISt17integral_constantIbLb0EES1P_EEDaS1K_S1L_EUlS1K_E_NS1_11comp_targetILNS1_3genE4ELNS1_11target_archE910ELNS1_3gpuE8ELNS1_3repE0EEENS1_30default_config_static_selectorELNS0_4arch9wavefront6targetE1EEEvSY_
		.amdhsa_group_segment_fixed_size 0
		.amdhsa_private_segment_fixed_size 0
		.amdhsa_kernarg_size 144
		.amdhsa_user_sgpr_count 6
		.amdhsa_user_sgpr_private_segment_buffer 1
		.amdhsa_user_sgpr_dispatch_ptr 0
		.amdhsa_user_sgpr_queue_ptr 0
		.amdhsa_user_sgpr_kernarg_segment_ptr 1
		.amdhsa_user_sgpr_dispatch_id 0
		.amdhsa_user_sgpr_flat_scratch_init 0
		.amdhsa_user_sgpr_private_segment_size 0
		.amdhsa_uses_dynamic_stack 0
		.amdhsa_system_sgpr_private_segment_wavefront_offset 0
		.amdhsa_system_sgpr_workgroup_id_x 1
		.amdhsa_system_sgpr_workgroup_id_y 0
		.amdhsa_system_sgpr_workgroup_id_z 0
		.amdhsa_system_sgpr_workgroup_info 0
		.amdhsa_system_vgpr_workitem_id 0
		.amdhsa_next_free_vgpr 1
		.amdhsa_next_free_sgpr 0
		.amdhsa_reserve_vcc 0
		.amdhsa_reserve_flat_scratch 0
		.amdhsa_float_round_mode_32 0
		.amdhsa_float_round_mode_16_64 0
		.amdhsa_float_denorm_mode_32 3
		.amdhsa_float_denorm_mode_16_64 3
		.amdhsa_dx10_clamp 1
		.amdhsa_ieee_mode 1
		.amdhsa_fp16_overflow 0
		.amdhsa_exception_fp_ieee_invalid_op 0
		.amdhsa_exception_fp_denorm_src 0
		.amdhsa_exception_fp_ieee_div_zero 0
		.amdhsa_exception_fp_ieee_overflow 0
		.amdhsa_exception_fp_ieee_underflow 0
		.amdhsa_exception_fp_ieee_inexact 0
		.amdhsa_exception_int_div_zero 0
	.end_amdhsa_kernel
	.section	.text._ZN7rocprim17ROCPRIM_400000_NS6detail17trampoline_kernelINS0_13select_configILj256ELj13ELNS0_17block_load_methodE3ELS4_3ELS4_3ELNS0_20block_scan_algorithmE0ELj4294967295EEENS1_25partition_config_selectorILNS1_17partition_subalgoE3EjNS0_10empty_typeEbEEZZNS1_14partition_implILS8_3ELb0ES6_jNS0_17counting_iteratorIjlEEPS9_SE_NS0_5tupleIJPjSE_EEENSF_IJSE_SE_EEES9_SG_JZNS1_25segmented_radix_sort_implINS0_14default_configELb1EPKbPbPKlPlN2at6native12_GLOBAL__N_18offset_tEEE10hipError_tPvRmT1_PNSt15iterator_traitsISY_E10value_typeET2_T3_PNSZ_IS14_E10value_typeET4_jRbjT5_S1A_jjP12ihipStream_tbEUljE_EEESV_SW_SX_S14_S18_S1A_T6_T7_T9_mT8_S1C_bDpT10_ENKUlT_T0_E_clISt17integral_constantIbLb0EES1P_EEDaS1K_S1L_EUlS1K_E_NS1_11comp_targetILNS1_3genE4ELNS1_11target_archE910ELNS1_3gpuE8ELNS1_3repE0EEENS1_30default_config_static_selectorELNS0_4arch9wavefront6targetE1EEEvSY_,"axG",@progbits,_ZN7rocprim17ROCPRIM_400000_NS6detail17trampoline_kernelINS0_13select_configILj256ELj13ELNS0_17block_load_methodE3ELS4_3ELS4_3ELNS0_20block_scan_algorithmE0ELj4294967295EEENS1_25partition_config_selectorILNS1_17partition_subalgoE3EjNS0_10empty_typeEbEEZZNS1_14partition_implILS8_3ELb0ES6_jNS0_17counting_iteratorIjlEEPS9_SE_NS0_5tupleIJPjSE_EEENSF_IJSE_SE_EEES9_SG_JZNS1_25segmented_radix_sort_implINS0_14default_configELb1EPKbPbPKlPlN2at6native12_GLOBAL__N_18offset_tEEE10hipError_tPvRmT1_PNSt15iterator_traitsISY_E10value_typeET2_T3_PNSZ_IS14_E10value_typeET4_jRbjT5_S1A_jjP12ihipStream_tbEUljE_EEESV_SW_SX_S14_S18_S1A_T6_T7_T9_mT8_S1C_bDpT10_ENKUlT_T0_E_clISt17integral_constantIbLb0EES1P_EEDaS1K_S1L_EUlS1K_E_NS1_11comp_targetILNS1_3genE4ELNS1_11target_archE910ELNS1_3gpuE8ELNS1_3repE0EEENS1_30default_config_static_selectorELNS0_4arch9wavefront6targetE1EEEvSY_,comdat
.Lfunc_end1502:
	.size	_ZN7rocprim17ROCPRIM_400000_NS6detail17trampoline_kernelINS0_13select_configILj256ELj13ELNS0_17block_load_methodE3ELS4_3ELS4_3ELNS0_20block_scan_algorithmE0ELj4294967295EEENS1_25partition_config_selectorILNS1_17partition_subalgoE3EjNS0_10empty_typeEbEEZZNS1_14partition_implILS8_3ELb0ES6_jNS0_17counting_iteratorIjlEEPS9_SE_NS0_5tupleIJPjSE_EEENSF_IJSE_SE_EEES9_SG_JZNS1_25segmented_radix_sort_implINS0_14default_configELb1EPKbPbPKlPlN2at6native12_GLOBAL__N_18offset_tEEE10hipError_tPvRmT1_PNSt15iterator_traitsISY_E10value_typeET2_T3_PNSZ_IS14_E10value_typeET4_jRbjT5_S1A_jjP12ihipStream_tbEUljE_EEESV_SW_SX_S14_S18_S1A_T6_T7_T9_mT8_S1C_bDpT10_ENKUlT_T0_E_clISt17integral_constantIbLb0EES1P_EEDaS1K_S1L_EUlS1K_E_NS1_11comp_targetILNS1_3genE4ELNS1_11target_archE910ELNS1_3gpuE8ELNS1_3repE0EEENS1_30default_config_static_selectorELNS0_4arch9wavefront6targetE1EEEvSY_, .Lfunc_end1502-_ZN7rocprim17ROCPRIM_400000_NS6detail17trampoline_kernelINS0_13select_configILj256ELj13ELNS0_17block_load_methodE3ELS4_3ELS4_3ELNS0_20block_scan_algorithmE0ELj4294967295EEENS1_25partition_config_selectorILNS1_17partition_subalgoE3EjNS0_10empty_typeEbEEZZNS1_14partition_implILS8_3ELb0ES6_jNS0_17counting_iteratorIjlEEPS9_SE_NS0_5tupleIJPjSE_EEENSF_IJSE_SE_EEES9_SG_JZNS1_25segmented_radix_sort_implINS0_14default_configELb1EPKbPbPKlPlN2at6native12_GLOBAL__N_18offset_tEEE10hipError_tPvRmT1_PNSt15iterator_traitsISY_E10value_typeET2_T3_PNSZ_IS14_E10value_typeET4_jRbjT5_S1A_jjP12ihipStream_tbEUljE_EEESV_SW_SX_S14_S18_S1A_T6_T7_T9_mT8_S1C_bDpT10_ENKUlT_T0_E_clISt17integral_constantIbLb0EES1P_EEDaS1K_S1L_EUlS1K_E_NS1_11comp_targetILNS1_3genE4ELNS1_11target_archE910ELNS1_3gpuE8ELNS1_3repE0EEENS1_30default_config_static_selectorELNS0_4arch9wavefront6targetE1EEEvSY_
                                        ; -- End function
	.set _ZN7rocprim17ROCPRIM_400000_NS6detail17trampoline_kernelINS0_13select_configILj256ELj13ELNS0_17block_load_methodE3ELS4_3ELS4_3ELNS0_20block_scan_algorithmE0ELj4294967295EEENS1_25partition_config_selectorILNS1_17partition_subalgoE3EjNS0_10empty_typeEbEEZZNS1_14partition_implILS8_3ELb0ES6_jNS0_17counting_iteratorIjlEEPS9_SE_NS0_5tupleIJPjSE_EEENSF_IJSE_SE_EEES9_SG_JZNS1_25segmented_radix_sort_implINS0_14default_configELb1EPKbPbPKlPlN2at6native12_GLOBAL__N_18offset_tEEE10hipError_tPvRmT1_PNSt15iterator_traitsISY_E10value_typeET2_T3_PNSZ_IS14_E10value_typeET4_jRbjT5_S1A_jjP12ihipStream_tbEUljE_EEESV_SW_SX_S14_S18_S1A_T6_T7_T9_mT8_S1C_bDpT10_ENKUlT_T0_E_clISt17integral_constantIbLb0EES1P_EEDaS1K_S1L_EUlS1K_E_NS1_11comp_targetILNS1_3genE4ELNS1_11target_archE910ELNS1_3gpuE8ELNS1_3repE0EEENS1_30default_config_static_selectorELNS0_4arch9wavefront6targetE1EEEvSY_.num_vgpr, 0
	.set _ZN7rocprim17ROCPRIM_400000_NS6detail17trampoline_kernelINS0_13select_configILj256ELj13ELNS0_17block_load_methodE3ELS4_3ELS4_3ELNS0_20block_scan_algorithmE0ELj4294967295EEENS1_25partition_config_selectorILNS1_17partition_subalgoE3EjNS0_10empty_typeEbEEZZNS1_14partition_implILS8_3ELb0ES6_jNS0_17counting_iteratorIjlEEPS9_SE_NS0_5tupleIJPjSE_EEENSF_IJSE_SE_EEES9_SG_JZNS1_25segmented_radix_sort_implINS0_14default_configELb1EPKbPbPKlPlN2at6native12_GLOBAL__N_18offset_tEEE10hipError_tPvRmT1_PNSt15iterator_traitsISY_E10value_typeET2_T3_PNSZ_IS14_E10value_typeET4_jRbjT5_S1A_jjP12ihipStream_tbEUljE_EEESV_SW_SX_S14_S18_S1A_T6_T7_T9_mT8_S1C_bDpT10_ENKUlT_T0_E_clISt17integral_constantIbLb0EES1P_EEDaS1K_S1L_EUlS1K_E_NS1_11comp_targetILNS1_3genE4ELNS1_11target_archE910ELNS1_3gpuE8ELNS1_3repE0EEENS1_30default_config_static_selectorELNS0_4arch9wavefront6targetE1EEEvSY_.num_agpr, 0
	.set _ZN7rocprim17ROCPRIM_400000_NS6detail17trampoline_kernelINS0_13select_configILj256ELj13ELNS0_17block_load_methodE3ELS4_3ELS4_3ELNS0_20block_scan_algorithmE0ELj4294967295EEENS1_25partition_config_selectorILNS1_17partition_subalgoE3EjNS0_10empty_typeEbEEZZNS1_14partition_implILS8_3ELb0ES6_jNS0_17counting_iteratorIjlEEPS9_SE_NS0_5tupleIJPjSE_EEENSF_IJSE_SE_EEES9_SG_JZNS1_25segmented_radix_sort_implINS0_14default_configELb1EPKbPbPKlPlN2at6native12_GLOBAL__N_18offset_tEEE10hipError_tPvRmT1_PNSt15iterator_traitsISY_E10value_typeET2_T3_PNSZ_IS14_E10value_typeET4_jRbjT5_S1A_jjP12ihipStream_tbEUljE_EEESV_SW_SX_S14_S18_S1A_T6_T7_T9_mT8_S1C_bDpT10_ENKUlT_T0_E_clISt17integral_constantIbLb0EES1P_EEDaS1K_S1L_EUlS1K_E_NS1_11comp_targetILNS1_3genE4ELNS1_11target_archE910ELNS1_3gpuE8ELNS1_3repE0EEENS1_30default_config_static_selectorELNS0_4arch9wavefront6targetE1EEEvSY_.numbered_sgpr, 0
	.set _ZN7rocprim17ROCPRIM_400000_NS6detail17trampoline_kernelINS0_13select_configILj256ELj13ELNS0_17block_load_methodE3ELS4_3ELS4_3ELNS0_20block_scan_algorithmE0ELj4294967295EEENS1_25partition_config_selectorILNS1_17partition_subalgoE3EjNS0_10empty_typeEbEEZZNS1_14partition_implILS8_3ELb0ES6_jNS0_17counting_iteratorIjlEEPS9_SE_NS0_5tupleIJPjSE_EEENSF_IJSE_SE_EEES9_SG_JZNS1_25segmented_radix_sort_implINS0_14default_configELb1EPKbPbPKlPlN2at6native12_GLOBAL__N_18offset_tEEE10hipError_tPvRmT1_PNSt15iterator_traitsISY_E10value_typeET2_T3_PNSZ_IS14_E10value_typeET4_jRbjT5_S1A_jjP12ihipStream_tbEUljE_EEESV_SW_SX_S14_S18_S1A_T6_T7_T9_mT8_S1C_bDpT10_ENKUlT_T0_E_clISt17integral_constantIbLb0EES1P_EEDaS1K_S1L_EUlS1K_E_NS1_11comp_targetILNS1_3genE4ELNS1_11target_archE910ELNS1_3gpuE8ELNS1_3repE0EEENS1_30default_config_static_selectorELNS0_4arch9wavefront6targetE1EEEvSY_.num_named_barrier, 0
	.set _ZN7rocprim17ROCPRIM_400000_NS6detail17trampoline_kernelINS0_13select_configILj256ELj13ELNS0_17block_load_methodE3ELS4_3ELS4_3ELNS0_20block_scan_algorithmE0ELj4294967295EEENS1_25partition_config_selectorILNS1_17partition_subalgoE3EjNS0_10empty_typeEbEEZZNS1_14partition_implILS8_3ELb0ES6_jNS0_17counting_iteratorIjlEEPS9_SE_NS0_5tupleIJPjSE_EEENSF_IJSE_SE_EEES9_SG_JZNS1_25segmented_radix_sort_implINS0_14default_configELb1EPKbPbPKlPlN2at6native12_GLOBAL__N_18offset_tEEE10hipError_tPvRmT1_PNSt15iterator_traitsISY_E10value_typeET2_T3_PNSZ_IS14_E10value_typeET4_jRbjT5_S1A_jjP12ihipStream_tbEUljE_EEESV_SW_SX_S14_S18_S1A_T6_T7_T9_mT8_S1C_bDpT10_ENKUlT_T0_E_clISt17integral_constantIbLb0EES1P_EEDaS1K_S1L_EUlS1K_E_NS1_11comp_targetILNS1_3genE4ELNS1_11target_archE910ELNS1_3gpuE8ELNS1_3repE0EEENS1_30default_config_static_selectorELNS0_4arch9wavefront6targetE1EEEvSY_.private_seg_size, 0
	.set _ZN7rocprim17ROCPRIM_400000_NS6detail17trampoline_kernelINS0_13select_configILj256ELj13ELNS0_17block_load_methodE3ELS4_3ELS4_3ELNS0_20block_scan_algorithmE0ELj4294967295EEENS1_25partition_config_selectorILNS1_17partition_subalgoE3EjNS0_10empty_typeEbEEZZNS1_14partition_implILS8_3ELb0ES6_jNS0_17counting_iteratorIjlEEPS9_SE_NS0_5tupleIJPjSE_EEENSF_IJSE_SE_EEES9_SG_JZNS1_25segmented_radix_sort_implINS0_14default_configELb1EPKbPbPKlPlN2at6native12_GLOBAL__N_18offset_tEEE10hipError_tPvRmT1_PNSt15iterator_traitsISY_E10value_typeET2_T3_PNSZ_IS14_E10value_typeET4_jRbjT5_S1A_jjP12ihipStream_tbEUljE_EEESV_SW_SX_S14_S18_S1A_T6_T7_T9_mT8_S1C_bDpT10_ENKUlT_T0_E_clISt17integral_constantIbLb0EES1P_EEDaS1K_S1L_EUlS1K_E_NS1_11comp_targetILNS1_3genE4ELNS1_11target_archE910ELNS1_3gpuE8ELNS1_3repE0EEENS1_30default_config_static_selectorELNS0_4arch9wavefront6targetE1EEEvSY_.uses_vcc, 0
	.set _ZN7rocprim17ROCPRIM_400000_NS6detail17trampoline_kernelINS0_13select_configILj256ELj13ELNS0_17block_load_methodE3ELS4_3ELS4_3ELNS0_20block_scan_algorithmE0ELj4294967295EEENS1_25partition_config_selectorILNS1_17partition_subalgoE3EjNS0_10empty_typeEbEEZZNS1_14partition_implILS8_3ELb0ES6_jNS0_17counting_iteratorIjlEEPS9_SE_NS0_5tupleIJPjSE_EEENSF_IJSE_SE_EEES9_SG_JZNS1_25segmented_radix_sort_implINS0_14default_configELb1EPKbPbPKlPlN2at6native12_GLOBAL__N_18offset_tEEE10hipError_tPvRmT1_PNSt15iterator_traitsISY_E10value_typeET2_T3_PNSZ_IS14_E10value_typeET4_jRbjT5_S1A_jjP12ihipStream_tbEUljE_EEESV_SW_SX_S14_S18_S1A_T6_T7_T9_mT8_S1C_bDpT10_ENKUlT_T0_E_clISt17integral_constantIbLb0EES1P_EEDaS1K_S1L_EUlS1K_E_NS1_11comp_targetILNS1_3genE4ELNS1_11target_archE910ELNS1_3gpuE8ELNS1_3repE0EEENS1_30default_config_static_selectorELNS0_4arch9wavefront6targetE1EEEvSY_.uses_flat_scratch, 0
	.set _ZN7rocprim17ROCPRIM_400000_NS6detail17trampoline_kernelINS0_13select_configILj256ELj13ELNS0_17block_load_methodE3ELS4_3ELS4_3ELNS0_20block_scan_algorithmE0ELj4294967295EEENS1_25partition_config_selectorILNS1_17partition_subalgoE3EjNS0_10empty_typeEbEEZZNS1_14partition_implILS8_3ELb0ES6_jNS0_17counting_iteratorIjlEEPS9_SE_NS0_5tupleIJPjSE_EEENSF_IJSE_SE_EEES9_SG_JZNS1_25segmented_radix_sort_implINS0_14default_configELb1EPKbPbPKlPlN2at6native12_GLOBAL__N_18offset_tEEE10hipError_tPvRmT1_PNSt15iterator_traitsISY_E10value_typeET2_T3_PNSZ_IS14_E10value_typeET4_jRbjT5_S1A_jjP12ihipStream_tbEUljE_EEESV_SW_SX_S14_S18_S1A_T6_T7_T9_mT8_S1C_bDpT10_ENKUlT_T0_E_clISt17integral_constantIbLb0EES1P_EEDaS1K_S1L_EUlS1K_E_NS1_11comp_targetILNS1_3genE4ELNS1_11target_archE910ELNS1_3gpuE8ELNS1_3repE0EEENS1_30default_config_static_selectorELNS0_4arch9wavefront6targetE1EEEvSY_.has_dyn_sized_stack, 0
	.set _ZN7rocprim17ROCPRIM_400000_NS6detail17trampoline_kernelINS0_13select_configILj256ELj13ELNS0_17block_load_methodE3ELS4_3ELS4_3ELNS0_20block_scan_algorithmE0ELj4294967295EEENS1_25partition_config_selectorILNS1_17partition_subalgoE3EjNS0_10empty_typeEbEEZZNS1_14partition_implILS8_3ELb0ES6_jNS0_17counting_iteratorIjlEEPS9_SE_NS0_5tupleIJPjSE_EEENSF_IJSE_SE_EEES9_SG_JZNS1_25segmented_radix_sort_implINS0_14default_configELb1EPKbPbPKlPlN2at6native12_GLOBAL__N_18offset_tEEE10hipError_tPvRmT1_PNSt15iterator_traitsISY_E10value_typeET2_T3_PNSZ_IS14_E10value_typeET4_jRbjT5_S1A_jjP12ihipStream_tbEUljE_EEESV_SW_SX_S14_S18_S1A_T6_T7_T9_mT8_S1C_bDpT10_ENKUlT_T0_E_clISt17integral_constantIbLb0EES1P_EEDaS1K_S1L_EUlS1K_E_NS1_11comp_targetILNS1_3genE4ELNS1_11target_archE910ELNS1_3gpuE8ELNS1_3repE0EEENS1_30default_config_static_selectorELNS0_4arch9wavefront6targetE1EEEvSY_.has_recursion, 0
	.set _ZN7rocprim17ROCPRIM_400000_NS6detail17trampoline_kernelINS0_13select_configILj256ELj13ELNS0_17block_load_methodE3ELS4_3ELS4_3ELNS0_20block_scan_algorithmE0ELj4294967295EEENS1_25partition_config_selectorILNS1_17partition_subalgoE3EjNS0_10empty_typeEbEEZZNS1_14partition_implILS8_3ELb0ES6_jNS0_17counting_iteratorIjlEEPS9_SE_NS0_5tupleIJPjSE_EEENSF_IJSE_SE_EEES9_SG_JZNS1_25segmented_radix_sort_implINS0_14default_configELb1EPKbPbPKlPlN2at6native12_GLOBAL__N_18offset_tEEE10hipError_tPvRmT1_PNSt15iterator_traitsISY_E10value_typeET2_T3_PNSZ_IS14_E10value_typeET4_jRbjT5_S1A_jjP12ihipStream_tbEUljE_EEESV_SW_SX_S14_S18_S1A_T6_T7_T9_mT8_S1C_bDpT10_ENKUlT_T0_E_clISt17integral_constantIbLb0EES1P_EEDaS1K_S1L_EUlS1K_E_NS1_11comp_targetILNS1_3genE4ELNS1_11target_archE910ELNS1_3gpuE8ELNS1_3repE0EEENS1_30default_config_static_selectorELNS0_4arch9wavefront6targetE1EEEvSY_.has_indirect_call, 0
	.section	.AMDGPU.csdata,"",@progbits
; Kernel info:
; codeLenInByte = 0
; TotalNumSgprs: 4
; NumVgprs: 0
; ScratchSize: 0
; MemoryBound: 0
; FloatMode: 240
; IeeeMode: 1
; LDSByteSize: 0 bytes/workgroup (compile time only)
; SGPRBlocks: 0
; VGPRBlocks: 0
; NumSGPRsForWavesPerEU: 4
; NumVGPRsForWavesPerEU: 1
; Occupancy: 10
; WaveLimiterHint : 0
; COMPUTE_PGM_RSRC2:SCRATCH_EN: 0
; COMPUTE_PGM_RSRC2:USER_SGPR: 6
; COMPUTE_PGM_RSRC2:TRAP_HANDLER: 0
; COMPUTE_PGM_RSRC2:TGID_X_EN: 1
; COMPUTE_PGM_RSRC2:TGID_Y_EN: 0
; COMPUTE_PGM_RSRC2:TGID_Z_EN: 0
; COMPUTE_PGM_RSRC2:TIDIG_COMP_CNT: 0
	.section	.text._ZN7rocprim17ROCPRIM_400000_NS6detail17trampoline_kernelINS0_13select_configILj256ELj13ELNS0_17block_load_methodE3ELS4_3ELS4_3ELNS0_20block_scan_algorithmE0ELj4294967295EEENS1_25partition_config_selectorILNS1_17partition_subalgoE3EjNS0_10empty_typeEbEEZZNS1_14partition_implILS8_3ELb0ES6_jNS0_17counting_iteratorIjlEEPS9_SE_NS0_5tupleIJPjSE_EEENSF_IJSE_SE_EEES9_SG_JZNS1_25segmented_radix_sort_implINS0_14default_configELb1EPKbPbPKlPlN2at6native12_GLOBAL__N_18offset_tEEE10hipError_tPvRmT1_PNSt15iterator_traitsISY_E10value_typeET2_T3_PNSZ_IS14_E10value_typeET4_jRbjT5_S1A_jjP12ihipStream_tbEUljE_EEESV_SW_SX_S14_S18_S1A_T6_T7_T9_mT8_S1C_bDpT10_ENKUlT_T0_E_clISt17integral_constantIbLb0EES1P_EEDaS1K_S1L_EUlS1K_E_NS1_11comp_targetILNS1_3genE3ELNS1_11target_archE908ELNS1_3gpuE7ELNS1_3repE0EEENS1_30default_config_static_selectorELNS0_4arch9wavefront6targetE1EEEvSY_,"axG",@progbits,_ZN7rocprim17ROCPRIM_400000_NS6detail17trampoline_kernelINS0_13select_configILj256ELj13ELNS0_17block_load_methodE3ELS4_3ELS4_3ELNS0_20block_scan_algorithmE0ELj4294967295EEENS1_25partition_config_selectorILNS1_17partition_subalgoE3EjNS0_10empty_typeEbEEZZNS1_14partition_implILS8_3ELb0ES6_jNS0_17counting_iteratorIjlEEPS9_SE_NS0_5tupleIJPjSE_EEENSF_IJSE_SE_EEES9_SG_JZNS1_25segmented_radix_sort_implINS0_14default_configELb1EPKbPbPKlPlN2at6native12_GLOBAL__N_18offset_tEEE10hipError_tPvRmT1_PNSt15iterator_traitsISY_E10value_typeET2_T3_PNSZ_IS14_E10value_typeET4_jRbjT5_S1A_jjP12ihipStream_tbEUljE_EEESV_SW_SX_S14_S18_S1A_T6_T7_T9_mT8_S1C_bDpT10_ENKUlT_T0_E_clISt17integral_constantIbLb0EES1P_EEDaS1K_S1L_EUlS1K_E_NS1_11comp_targetILNS1_3genE3ELNS1_11target_archE908ELNS1_3gpuE7ELNS1_3repE0EEENS1_30default_config_static_selectorELNS0_4arch9wavefront6targetE1EEEvSY_,comdat
	.globl	_ZN7rocprim17ROCPRIM_400000_NS6detail17trampoline_kernelINS0_13select_configILj256ELj13ELNS0_17block_load_methodE3ELS4_3ELS4_3ELNS0_20block_scan_algorithmE0ELj4294967295EEENS1_25partition_config_selectorILNS1_17partition_subalgoE3EjNS0_10empty_typeEbEEZZNS1_14partition_implILS8_3ELb0ES6_jNS0_17counting_iteratorIjlEEPS9_SE_NS0_5tupleIJPjSE_EEENSF_IJSE_SE_EEES9_SG_JZNS1_25segmented_radix_sort_implINS0_14default_configELb1EPKbPbPKlPlN2at6native12_GLOBAL__N_18offset_tEEE10hipError_tPvRmT1_PNSt15iterator_traitsISY_E10value_typeET2_T3_PNSZ_IS14_E10value_typeET4_jRbjT5_S1A_jjP12ihipStream_tbEUljE_EEESV_SW_SX_S14_S18_S1A_T6_T7_T9_mT8_S1C_bDpT10_ENKUlT_T0_E_clISt17integral_constantIbLb0EES1P_EEDaS1K_S1L_EUlS1K_E_NS1_11comp_targetILNS1_3genE3ELNS1_11target_archE908ELNS1_3gpuE7ELNS1_3repE0EEENS1_30default_config_static_selectorELNS0_4arch9wavefront6targetE1EEEvSY_ ; -- Begin function _ZN7rocprim17ROCPRIM_400000_NS6detail17trampoline_kernelINS0_13select_configILj256ELj13ELNS0_17block_load_methodE3ELS4_3ELS4_3ELNS0_20block_scan_algorithmE0ELj4294967295EEENS1_25partition_config_selectorILNS1_17partition_subalgoE3EjNS0_10empty_typeEbEEZZNS1_14partition_implILS8_3ELb0ES6_jNS0_17counting_iteratorIjlEEPS9_SE_NS0_5tupleIJPjSE_EEENSF_IJSE_SE_EEES9_SG_JZNS1_25segmented_radix_sort_implINS0_14default_configELb1EPKbPbPKlPlN2at6native12_GLOBAL__N_18offset_tEEE10hipError_tPvRmT1_PNSt15iterator_traitsISY_E10value_typeET2_T3_PNSZ_IS14_E10value_typeET4_jRbjT5_S1A_jjP12ihipStream_tbEUljE_EEESV_SW_SX_S14_S18_S1A_T6_T7_T9_mT8_S1C_bDpT10_ENKUlT_T0_E_clISt17integral_constantIbLb0EES1P_EEDaS1K_S1L_EUlS1K_E_NS1_11comp_targetILNS1_3genE3ELNS1_11target_archE908ELNS1_3gpuE7ELNS1_3repE0EEENS1_30default_config_static_selectorELNS0_4arch9wavefront6targetE1EEEvSY_
	.p2align	8
	.type	_ZN7rocprim17ROCPRIM_400000_NS6detail17trampoline_kernelINS0_13select_configILj256ELj13ELNS0_17block_load_methodE3ELS4_3ELS4_3ELNS0_20block_scan_algorithmE0ELj4294967295EEENS1_25partition_config_selectorILNS1_17partition_subalgoE3EjNS0_10empty_typeEbEEZZNS1_14partition_implILS8_3ELb0ES6_jNS0_17counting_iteratorIjlEEPS9_SE_NS0_5tupleIJPjSE_EEENSF_IJSE_SE_EEES9_SG_JZNS1_25segmented_radix_sort_implINS0_14default_configELb1EPKbPbPKlPlN2at6native12_GLOBAL__N_18offset_tEEE10hipError_tPvRmT1_PNSt15iterator_traitsISY_E10value_typeET2_T3_PNSZ_IS14_E10value_typeET4_jRbjT5_S1A_jjP12ihipStream_tbEUljE_EEESV_SW_SX_S14_S18_S1A_T6_T7_T9_mT8_S1C_bDpT10_ENKUlT_T0_E_clISt17integral_constantIbLb0EES1P_EEDaS1K_S1L_EUlS1K_E_NS1_11comp_targetILNS1_3genE3ELNS1_11target_archE908ELNS1_3gpuE7ELNS1_3repE0EEENS1_30default_config_static_selectorELNS0_4arch9wavefront6targetE1EEEvSY_,@function
_ZN7rocprim17ROCPRIM_400000_NS6detail17trampoline_kernelINS0_13select_configILj256ELj13ELNS0_17block_load_methodE3ELS4_3ELS4_3ELNS0_20block_scan_algorithmE0ELj4294967295EEENS1_25partition_config_selectorILNS1_17partition_subalgoE3EjNS0_10empty_typeEbEEZZNS1_14partition_implILS8_3ELb0ES6_jNS0_17counting_iteratorIjlEEPS9_SE_NS0_5tupleIJPjSE_EEENSF_IJSE_SE_EEES9_SG_JZNS1_25segmented_radix_sort_implINS0_14default_configELb1EPKbPbPKlPlN2at6native12_GLOBAL__N_18offset_tEEE10hipError_tPvRmT1_PNSt15iterator_traitsISY_E10value_typeET2_T3_PNSZ_IS14_E10value_typeET4_jRbjT5_S1A_jjP12ihipStream_tbEUljE_EEESV_SW_SX_S14_S18_S1A_T6_T7_T9_mT8_S1C_bDpT10_ENKUlT_T0_E_clISt17integral_constantIbLb0EES1P_EEDaS1K_S1L_EUlS1K_E_NS1_11comp_targetILNS1_3genE3ELNS1_11target_archE908ELNS1_3gpuE7ELNS1_3repE0EEENS1_30default_config_static_selectorELNS0_4arch9wavefront6targetE1EEEvSY_: ; @_ZN7rocprim17ROCPRIM_400000_NS6detail17trampoline_kernelINS0_13select_configILj256ELj13ELNS0_17block_load_methodE3ELS4_3ELS4_3ELNS0_20block_scan_algorithmE0ELj4294967295EEENS1_25partition_config_selectorILNS1_17partition_subalgoE3EjNS0_10empty_typeEbEEZZNS1_14partition_implILS8_3ELb0ES6_jNS0_17counting_iteratorIjlEEPS9_SE_NS0_5tupleIJPjSE_EEENSF_IJSE_SE_EEES9_SG_JZNS1_25segmented_radix_sort_implINS0_14default_configELb1EPKbPbPKlPlN2at6native12_GLOBAL__N_18offset_tEEE10hipError_tPvRmT1_PNSt15iterator_traitsISY_E10value_typeET2_T3_PNSZ_IS14_E10value_typeET4_jRbjT5_S1A_jjP12ihipStream_tbEUljE_EEESV_SW_SX_S14_S18_S1A_T6_T7_T9_mT8_S1C_bDpT10_ENKUlT_T0_E_clISt17integral_constantIbLb0EES1P_EEDaS1K_S1L_EUlS1K_E_NS1_11comp_targetILNS1_3genE3ELNS1_11target_archE908ELNS1_3gpuE7ELNS1_3repE0EEENS1_30default_config_static_selectorELNS0_4arch9wavefront6targetE1EEEvSY_
; %bb.0:
	.section	.rodata,"a",@progbits
	.p2align	6, 0x0
	.amdhsa_kernel _ZN7rocprim17ROCPRIM_400000_NS6detail17trampoline_kernelINS0_13select_configILj256ELj13ELNS0_17block_load_methodE3ELS4_3ELS4_3ELNS0_20block_scan_algorithmE0ELj4294967295EEENS1_25partition_config_selectorILNS1_17partition_subalgoE3EjNS0_10empty_typeEbEEZZNS1_14partition_implILS8_3ELb0ES6_jNS0_17counting_iteratorIjlEEPS9_SE_NS0_5tupleIJPjSE_EEENSF_IJSE_SE_EEES9_SG_JZNS1_25segmented_radix_sort_implINS0_14default_configELb1EPKbPbPKlPlN2at6native12_GLOBAL__N_18offset_tEEE10hipError_tPvRmT1_PNSt15iterator_traitsISY_E10value_typeET2_T3_PNSZ_IS14_E10value_typeET4_jRbjT5_S1A_jjP12ihipStream_tbEUljE_EEESV_SW_SX_S14_S18_S1A_T6_T7_T9_mT8_S1C_bDpT10_ENKUlT_T0_E_clISt17integral_constantIbLb0EES1P_EEDaS1K_S1L_EUlS1K_E_NS1_11comp_targetILNS1_3genE3ELNS1_11target_archE908ELNS1_3gpuE7ELNS1_3repE0EEENS1_30default_config_static_selectorELNS0_4arch9wavefront6targetE1EEEvSY_
		.amdhsa_group_segment_fixed_size 0
		.amdhsa_private_segment_fixed_size 0
		.amdhsa_kernarg_size 144
		.amdhsa_user_sgpr_count 6
		.amdhsa_user_sgpr_private_segment_buffer 1
		.amdhsa_user_sgpr_dispatch_ptr 0
		.amdhsa_user_sgpr_queue_ptr 0
		.amdhsa_user_sgpr_kernarg_segment_ptr 1
		.amdhsa_user_sgpr_dispatch_id 0
		.amdhsa_user_sgpr_flat_scratch_init 0
		.amdhsa_user_sgpr_private_segment_size 0
		.amdhsa_uses_dynamic_stack 0
		.amdhsa_system_sgpr_private_segment_wavefront_offset 0
		.amdhsa_system_sgpr_workgroup_id_x 1
		.amdhsa_system_sgpr_workgroup_id_y 0
		.amdhsa_system_sgpr_workgroup_id_z 0
		.amdhsa_system_sgpr_workgroup_info 0
		.amdhsa_system_vgpr_workitem_id 0
		.amdhsa_next_free_vgpr 1
		.amdhsa_next_free_sgpr 0
		.amdhsa_reserve_vcc 0
		.amdhsa_reserve_flat_scratch 0
		.amdhsa_float_round_mode_32 0
		.amdhsa_float_round_mode_16_64 0
		.amdhsa_float_denorm_mode_32 3
		.amdhsa_float_denorm_mode_16_64 3
		.amdhsa_dx10_clamp 1
		.amdhsa_ieee_mode 1
		.amdhsa_fp16_overflow 0
		.amdhsa_exception_fp_ieee_invalid_op 0
		.amdhsa_exception_fp_denorm_src 0
		.amdhsa_exception_fp_ieee_div_zero 0
		.amdhsa_exception_fp_ieee_overflow 0
		.amdhsa_exception_fp_ieee_underflow 0
		.amdhsa_exception_fp_ieee_inexact 0
		.amdhsa_exception_int_div_zero 0
	.end_amdhsa_kernel
	.section	.text._ZN7rocprim17ROCPRIM_400000_NS6detail17trampoline_kernelINS0_13select_configILj256ELj13ELNS0_17block_load_methodE3ELS4_3ELS4_3ELNS0_20block_scan_algorithmE0ELj4294967295EEENS1_25partition_config_selectorILNS1_17partition_subalgoE3EjNS0_10empty_typeEbEEZZNS1_14partition_implILS8_3ELb0ES6_jNS0_17counting_iteratorIjlEEPS9_SE_NS0_5tupleIJPjSE_EEENSF_IJSE_SE_EEES9_SG_JZNS1_25segmented_radix_sort_implINS0_14default_configELb1EPKbPbPKlPlN2at6native12_GLOBAL__N_18offset_tEEE10hipError_tPvRmT1_PNSt15iterator_traitsISY_E10value_typeET2_T3_PNSZ_IS14_E10value_typeET4_jRbjT5_S1A_jjP12ihipStream_tbEUljE_EEESV_SW_SX_S14_S18_S1A_T6_T7_T9_mT8_S1C_bDpT10_ENKUlT_T0_E_clISt17integral_constantIbLb0EES1P_EEDaS1K_S1L_EUlS1K_E_NS1_11comp_targetILNS1_3genE3ELNS1_11target_archE908ELNS1_3gpuE7ELNS1_3repE0EEENS1_30default_config_static_selectorELNS0_4arch9wavefront6targetE1EEEvSY_,"axG",@progbits,_ZN7rocprim17ROCPRIM_400000_NS6detail17trampoline_kernelINS0_13select_configILj256ELj13ELNS0_17block_load_methodE3ELS4_3ELS4_3ELNS0_20block_scan_algorithmE0ELj4294967295EEENS1_25partition_config_selectorILNS1_17partition_subalgoE3EjNS0_10empty_typeEbEEZZNS1_14partition_implILS8_3ELb0ES6_jNS0_17counting_iteratorIjlEEPS9_SE_NS0_5tupleIJPjSE_EEENSF_IJSE_SE_EEES9_SG_JZNS1_25segmented_radix_sort_implINS0_14default_configELb1EPKbPbPKlPlN2at6native12_GLOBAL__N_18offset_tEEE10hipError_tPvRmT1_PNSt15iterator_traitsISY_E10value_typeET2_T3_PNSZ_IS14_E10value_typeET4_jRbjT5_S1A_jjP12ihipStream_tbEUljE_EEESV_SW_SX_S14_S18_S1A_T6_T7_T9_mT8_S1C_bDpT10_ENKUlT_T0_E_clISt17integral_constantIbLb0EES1P_EEDaS1K_S1L_EUlS1K_E_NS1_11comp_targetILNS1_3genE3ELNS1_11target_archE908ELNS1_3gpuE7ELNS1_3repE0EEENS1_30default_config_static_selectorELNS0_4arch9wavefront6targetE1EEEvSY_,comdat
.Lfunc_end1503:
	.size	_ZN7rocprim17ROCPRIM_400000_NS6detail17trampoline_kernelINS0_13select_configILj256ELj13ELNS0_17block_load_methodE3ELS4_3ELS4_3ELNS0_20block_scan_algorithmE0ELj4294967295EEENS1_25partition_config_selectorILNS1_17partition_subalgoE3EjNS0_10empty_typeEbEEZZNS1_14partition_implILS8_3ELb0ES6_jNS0_17counting_iteratorIjlEEPS9_SE_NS0_5tupleIJPjSE_EEENSF_IJSE_SE_EEES9_SG_JZNS1_25segmented_radix_sort_implINS0_14default_configELb1EPKbPbPKlPlN2at6native12_GLOBAL__N_18offset_tEEE10hipError_tPvRmT1_PNSt15iterator_traitsISY_E10value_typeET2_T3_PNSZ_IS14_E10value_typeET4_jRbjT5_S1A_jjP12ihipStream_tbEUljE_EEESV_SW_SX_S14_S18_S1A_T6_T7_T9_mT8_S1C_bDpT10_ENKUlT_T0_E_clISt17integral_constantIbLb0EES1P_EEDaS1K_S1L_EUlS1K_E_NS1_11comp_targetILNS1_3genE3ELNS1_11target_archE908ELNS1_3gpuE7ELNS1_3repE0EEENS1_30default_config_static_selectorELNS0_4arch9wavefront6targetE1EEEvSY_, .Lfunc_end1503-_ZN7rocprim17ROCPRIM_400000_NS6detail17trampoline_kernelINS0_13select_configILj256ELj13ELNS0_17block_load_methodE3ELS4_3ELS4_3ELNS0_20block_scan_algorithmE0ELj4294967295EEENS1_25partition_config_selectorILNS1_17partition_subalgoE3EjNS0_10empty_typeEbEEZZNS1_14partition_implILS8_3ELb0ES6_jNS0_17counting_iteratorIjlEEPS9_SE_NS0_5tupleIJPjSE_EEENSF_IJSE_SE_EEES9_SG_JZNS1_25segmented_radix_sort_implINS0_14default_configELb1EPKbPbPKlPlN2at6native12_GLOBAL__N_18offset_tEEE10hipError_tPvRmT1_PNSt15iterator_traitsISY_E10value_typeET2_T3_PNSZ_IS14_E10value_typeET4_jRbjT5_S1A_jjP12ihipStream_tbEUljE_EEESV_SW_SX_S14_S18_S1A_T6_T7_T9_mT8_S1C_bDpT10_ENKUlT_T0_E_clISt17integral_constantIbLb0EES1P_EEDaS1K_S1L_EUlS1K_E_NS1_11comp_targetILNS1_3genE3ELNS1_11target_archE908ELNS1_3gpuE7ELNS1_3repE0EEENS1_30default_config_static_selectorELNS0_4arch9wavefront6targetE1EEEvSY_
                                        ; -- End function
	.set _ZN7rocprim17ROCPRIM_400000_NS6detail17trampoline_kernelINS0_13select_configILj256ELj13ELNS0_17block_load_methodE3ELS4_3ELS4_3ELNS0_20block_scan_algorithmE0ELj4294967295EEENS1_25partition_config_selectorILNS1_17partition_subalgoE3EjNS0_10empty_typeEbEEZZNS1_14partition_implILS8_3ELb0ES6_jNS0_17counting_iteratorIjlEEPS9_SE_NS0_5tupleIJPjSE_EEENSF_IJSE_SE_EEES9_SG_JZNS1_25segmented_radix_sort_implINS0_14default_configELb1EPKbPbPKlPlN2at6native12_GLOBAL__N_18offset_tEEE10hipError_tPvRmT1_PNSt15iterator_traitsISY_E10value_typeET2_T3_PNSZ_IS14_E10value_typeET4_jRbjT5_S1A_jjP12ihipStream_tbEUljE_EEESV_SW_SX_S14_S18_S1A_T6_T7_T9_mT8_S1C_bDpT10_ENKUlT_T0_E_clISt17integral_constantIbLb0EES1P_EEDaS1K_S1L_EUlS1K_E_NS1_11comp_targetILNS1_3genE3ELNS1_11target_archE908ELNS1_3gpuE7ELNS1_3repE0EEENS1_30default_config_static_selectorELNS0_4arch9wavefront6targetE1EEEvSY_.num_vgpr, 0
	.set _ZN7rocprim17ROCPRIM_400000_NS6detail17trampoline_kernelINS0_13select_configILj256ELj13ELNS0_17block_load_methodE3ELS4_3ELS4_3ELNS0_20block_scan_algorithmE0ELj4294967295EEENS1_25partition_config_selectorILNS1_17partition_subalgoE3EjNS0_10empty_typeEbEEZZNS1_14partition_implILS8_3ELb0ES6_jNS0_17counting_iteratorIjlEEPS9_SE_NS0_5tupleIJPjSE_EEENSF_IJSE_SE_EEES9_SG_JZNS1_25segmented_radix_sort_implINS0_14default_configELb1EPKbPbPKlPlN2at6native12_GLOBAL__N_18offset_tEEE10hipError_tPvRmT1_PNSt15iterator_traitsISY_E10value_typeET2_T3_PNSZ_IS14_E10value_typeET4_jRbjT5_S1A_jjP12ihipStream_tbEUljE_EEESV_SW_SX_S14_S18_S1A_T6_T7_T9_mT8_S1C_bDpT10_ENKUlT_T0_E_clISt17integral_constantIbLb0EES1P_EEDaS1K_S1L_EUlS1K_E_NS1_11comp_targetILNS1_3genE3ELNS1_11target_archE908ELNS1_3gpuE7ELNS1_3repE0EEENS1_30default_config_static_selectorELNS0_4arch9wavefront6targetE1EEEvSY_.num_agpr, 0
	.set _ZN7rocprim17ROCPRIM_400000_NS6detail17trampoline_kernelINS0_13select_configILj256ELj13ELNS0_17block_load_methodE3ELS4_3ELS4_3ELNS0_20block_scan_algorithmE0ELj4294967295EEENS1_25partition_config_selectorILNS1_17partition_subalgoE3EjNS0_10empty_typeEbEEZZNS1_14partition_implILS8_3ELb0ES6_jNS0_17counting_iteratorIjlEEPS9_SE_NS0_5tupleIJPjSE_EEENSF_IJSE_SE_EEES9_SG_JZNS1_25segmented_radix_sort_implINS0_14default_configELb1EPKbPbPKlPlN2at6native12_GLOBAL__N_18offset_tEEE10hipError_tPvRmT1_PNSt15iterator_traitsISY_E10value_typeET2_T3_PNSZ_IS14_E10value_typeET4_jRbjT5_S1A_jjP12ihipStream_tbEUljE_EEESV_SW_SX_S14_S18_S1A_T6_T7_T9_mT8_S1C_bDpT10_ENKUlT_T0_E_clISt17integral_constantIbLb0EES1P_EEDaS1K_S1L_EUlS1K_E_NS1_11comp_targetILNS1_3genE3ELNS1_11target_archE908ELNS1_3gpuE7ELNS1_3repE0EEENS1_30default_config_static_selectorELNS0_4arch9wavefront6targetE1EEEvSY_.numbered_sgpr, 0
	.set _ZN7rocprim17ROCPRIM_400000_NS6detail17trampoline_kernelINS0_13select_configILj256ELj13ELNS0_17block_load_methodE3ELS4_3ELS4_3ELNS0_20block_scan_algorithmE0ELj4294967295EEENS1_25partition_config_selectorILNS1_17partition_subalgoE3EjNS0_10empty_typeEbEEZZNS1_14partition_implILS8_3ELb0ES6_jNS0_17counting_iteratorIjlEEPS9_SE_NS0_5tupleIJPjSE_EEENSF_IJSE_SE_EEES9_SG_JZNS1_25segmented_radix_sort_implINS0_14default_configELb1EPKbPbPKlPlN2at6native12_GLOBAL__N_18offset_tEEE10hipError_tPvRmT1_PNSt15iterator_traitsISY_E10value_typeET2_T3_PNSZ_IS14_E10value_typeET4_jRbjT5_S1A_jjP12ihipStream_tbEUljE_EEESV_SW_SX_S14_S18_S1A_T6_T7_T9_mT8_S1C_bDpT10_ENKUlT_T0_E_clISt17integral_constantIbLb0EES1P_EEDaS1K_S1L_EUlS1K_E_NS1_11comp_targetILNS1_3genE3ELNS1_11target_archE908ELNS1_3gpuE7ELNS1_3repE0EEENS1_30default_config_static_selectorELNS0_4arch9wavefront6targetE1EEEvSY_.num_named_barrier, 0
	.set _ZN7rocprim17ROCPRIM_400000_NS6detail17trampoline_kernelINS0_13select_configILj256ELj13ELNS0_17block_load_methodE3ELS4_3ELS4_3ELNS0_20block_scan_algorithmE0ELj4294967295EEENS1_25partition_config_selectorILNS1_17partition_subalgoE3EjNS0_10empty_typeEbEEZZNS1_14partition_implILS8_3ELb0ES6_jNS0_17counting_iteratorIjlEEPS9_SE_NS0_5tupleIJPjSE_EEENSF_IJSE_SE_EEES9_SG_JZNS1_25segmented_radix_sort_implINS0_14default_configELb1EPKbPbPKlPlN2at6native12_GLOBAL__N_18offset_tEEE10hipError_tPvRmT1_PNSt15iterator_traitsISY_E10value_typeET2_T3_PNSZ_IS14_E10value_typeET4_jRbjT5_S1A_jjP12ihipStream_tbEUljE_EEESV_SW_SX_S14_S18_S1A_T6_T7_T9_mT8_S1C_bDpT10_ENKUlT_T0_E_clISt17integral_constantIbLb0EES1P_EEDaS1K_S1L_EUlS1K_E_NS1_11comp_targetILNS1_3genE3ELNS1_11target_archE908ELNS1_3gpuE7ELNS1_3repE0EEENS1_30default_config_static_selectorELNS0_4arch9wavefront6targetE1EEEvSY_.private_seg_size, 0
	.set _ZN7rocprim17ROCPRIM_400000_NS6detail17trampoline_kernelINS0_13select_configILj256ELj13ELNS0_17block_load_methodE3ELS4_3ELS4_3ELNS0_20block_scan_algorithmE0ELj4294967295EEENS1_25partition_config_selectorILNS1_17partition_subalgoE3EjNS0_10empty_typeEbEEZZNS1_14partition_implILS8_3ELb0ES6_jNS0_17counting_iteratorIjlEEPS9_SE_NS0_5tupleIJPjSE_EEENSF_IJSE_SE_EEES9_SG_JZNS1_25segmented_radix_sort_implINS0_14default_configELb1EPKbPbPKlPlN2at6native12_GLOBAL__N_18offset_tEEE10hipError_tPvRmT1_PNSt15iterator_traitsISY_E10value_typeET2_T3_PNSZ_IS14_E10value_typeET4_jRbjT5_S1A_jjP12ihipStream_tbEUljE_EEESV_SW_SX_S14_S18_S1A_T6_T7_T9_mT8_S1C_bDpT10_ENKUlT_T0_E_clISt17integral_constantIbLb0EES1P_EEDaS1K_S1L_EUlS1K_E_NS1_11comp_targetILNS1_3genE3ELNS1_11target_archE908ELNS1_3gpuE7ELNS1_3repE0EEENS1_30default_config_static_selectorELNS0_4arch9wavefront6targetE1EEEvSY_.uses_vcc, 0
	.set _ZN7rocprim17ROCPRIM_400000_NS6detail17trampoline_kernelINS0_13select_configILj256ELj13ELNS0_17block_load_methodE3ELS4_3ELS4_3ELNS0_20block_scan_algorithmE0ELj4294967295EEENS1_25partition_config_selectorILNS1_17partition_subalgoE3EjNS0_10empty_typeEbEEZZNS1_14partition_implILS8_3ELb0ES6_jNS0_17counting_iteratorIjlEEPS9_SE_NS0_5tupleIJPjSE_EEENSF_IJSE_SE_EEES9_SG_JZNS1_25segmented_radix_sort_implINS0_14default_configELb1EPKbPbPKlPlN2at6native12_GLOBAL__N_18offset_tEEE10hipError_tPvRmT1_PNSt15iterator_traitsISY_E10value_typeET2_T3_PNSZ_IS14_E10value_typeET4_jRbjT5_S1A_jjP12ihipStream_tbEUljE_EEESV_SW_SX_S14_S18_S1A_T6_T7_T9_mT8_S1C_bDpT10_ENKUlT_T0_E_clISt17integral_constantIbLb0EES1P_EEDaS1K_S1L_EUlS1K_E_NS1_11comp_targetILNS1_3genE3ELNS1_11target_archE908ELNS1_3gpuE7ELNS1_3repE0EEENS1_30default_config_static_selectorELNS0_4arch9wavefront6targetE1EEEvSY_.uses_flat_scratch, 0
	.set _ZN7rocprim17ROCPRIM_400000_NS6detail17trampoline_kernelINS0_13select_configILj256ELj13ELNS0_17block_load_methodE3ELS4_3ELS4_3ELNS0_20block_scan_algorithmE0ELj4294967295EEENS1_25partition_config_selectorILNS1_17partition_subalgoE3EjNS0_10empty_typeEbEEZZNS1_14partition_implILS8_3ELb0ES6_jNS0_17counting_iteratorIjlEEPS9_SE_NS0_5tupleIJPjSE_EEENSF_IJSE_SE_EEES9_SG_JZNS1_25segmented_radix_sort_implINS0_14default_configELb1EPKbPbPKlPlN2at6native12_GLOBAL__N_18offset_tEEE10hipError_tPvRmT1_PNSt15iterator_traitsISY_E10value_typeET2_T3_PNSZ_IS14_E10value_typeET4_jRbjT5_S1A_jjP12ihipStream_tbEUljE_EEESV_SW_SX_S14_S18_S1A_T6_T7_T9_mT8_S1C_bDpT10_ENKUlT_T0_E_clISt17integral_constantIbLb0EES1P_EEDaS1K_S1L_EUlS1K_E_NS1_11comp_targetILNS1_3genE3ELNS1_11target_archE908ELNS1_3gpuE7ELNS1_3repE0EEENS1_30default_config_static_selectorELNS0_4arch9wavefront6targetE1EEEvSY_.has_dyn_sized_stack, 0
	.set _ZN7rocprim17ROCPRIM_400000_NS6detail17trampoline_kernelINS0_13select_configILj256ELj13ELNS0_17block_load_methodE3ELS4_3ELS4_3ELNS0_20block_scan_algorithmE0ELj4294967295EEENS1_25partition_config_selectorILNS1_17partition_subalgoE3EjNS0_10empty_typeEbEEZZNS1_14partition_implILS8_3ELb0ES6_jNS0_17counting_iteratorIjlEEPS9_SE_NS0_5tupleIJPjSE_EEENSF_IJSE_SE_EEES9_SG_JZNS1_25segmented_radix_sort_implINS0_14default_configELb1EPKbPbPKlPlN2at6native12_GLOBAL__N_18offset_tEEE10hipError_tPvRmT1_PNSt15iterator_traitsISY_E10value_typeET2_T3_PNSZ_IS14_E10value_typeET4_jRbjT5_S1A_jjP12ihipStream_tbEUljE_EEESV_SW_SX_S14_S18_S1A_T6_T7_T9_mT8_S1C_bDpT10_ENKUlT_T0_E_clISt17integral_constantIbLb0EES1P_EEDaS1K_S1L_EUlS1K_E_NS1_11comp_targetILNS1_3genE3ELNS1_11target_archE908ELNS1_3gpuE7ELNS1_3repE0EEENS1_30default_config_static_selectorELNS0_4arch9wavefront6targetE1EEEvSY_.has_recursion, 0
	.set _ZN7rocprim17ROCPRIM_400000_NS6detail17trampoline_kernelINS0_13select_configILj256ELj13ELNS0_17block_load_methodE3ELS4_3ELS4_3ELNS0_20block_scan_algorithmE0ELj4294967295EEENS1_25partition_config_selectorILNS1_17partition_subalgoE3EjNS0_10empty_typeEbEEZZNS1_14partition_implILS8_3ELb0ES6_jNS0_17counting_iteratorIjlEEPS9_SE_NS0_5tupleIJPjSE_EEENSF_IJSE_SE_EEES9_SG_JZNS1_25segmented_radix_sort_implINS0_14default_configELb1EPKbPbPKlPlN2at6native12_GLOBAL__N_18offset_tEEE10hipError_tPvRmT1_PNSt15iterator_traitsISY_E10value_typeET2_T3_PNSZ_IS14_E10value_typeET4_jRbjT5_S1A_jjP12ihipStream_tbEUljE_EEESV_SW_SX_S14_S18_S1A_T6_T7_T9_mT8_S1C_bDpT10_ENKUlT_T0_E_clISt17integral_constantIbLb0EES1P_EEDaS1K_S1L_EUlS1K_E_NS1_11comp_targetILNS1_3genE3ELNS1_11target_archE908ELNS1_3gpuE7ELNS1_3repE0EEENS1_30default_config_static_selectorELNS0_4arch9wavefront6targetE1EEEvSY_.has_indirect_call, 0
	.section	.AMDGPU.csdata,"",@progbits
; Kernel info:
; codeLenInByte = 0
; TotalNumSgprs: 4
; NumVgprs: 0
; ScratchSize: 0
; MemoryBound: 0
; FloatMode: 240
; IeeeMode: 1
; LDSByteSize: 0 bytes/workgroup (compile time only)
; SGPRBlocks: 0
; VGPRBlocks: 0
; NumSGPRsForWavesPerEU: 4
; NumVGPRsForWavesPerEU: 1
; Occupancy: 10
; WaveLimiterHint : 0
; COMPUTE_PGM_RSRC2:SCRATCH_EN: 0
; COMPUTE_PGM_RSRC2:USER_SGPR: 6
; COMPUTE_PGM_RSRC2:TRAP_HANDLER: 0
; COMPUTE_PGM_RSRC2:TGID_X_EN: 1
; COMPUTE_PGM_RSRC2:TGID_Y_EN: 0
; COMPUTE_PGM_RSRC2:TGID_Z_EN: 0
; COMPUTE_PGM_RSRC2:TIDIG_COMP_CNT: 0
	.section	.text._ZN7rocprim17ROCPRIM_400000_NS6detail17trampoline_kernelINS0_13select_configILj256ELj13ELNS0_17block_load_methodE3ELS4_3ELS4_3ELNS0_20block_scan_algorithmE0ELj4294967295EEENS1_25partition_config_selectorILNS1_17partition_subalgoE3EjNS0_10empty_typeEbEEZZNS1_14partition_implILS8_3ELb0ES6_jNS0_17counting_iteratorIjlEEPS9_SE_NS0_5tupleIJPjSE_EEENSF_IJSE_SE_EEES9_SG_JZNS1_25segmented_radix_sort_implINS0_14default_configELb1EPKbPbPKlPlN2at6native12_GLOBAL__N_18offset_tEEE10hipError_tPvRmT1_PNSt15iterator_traitsISY_E10value_typeET2_T3_PNSZ_IS14_E10value_typeET4_jRbjT5_S1A_jjP12ihipStream_tbEUljE_EEESV_SW_SX_S14_S18_S1A_T6_T7_T9_mT8_S1C_bDpT10_ENKUlT_T0_E_clISt17integral_constantIbLb0EES1P_EEDaS1K_S1L_EUlS1K_E_NS1_11comp_targetILNS1_3genE2ELNS1_11target_archE906ELNS1_3gpuE6ELNS1_3repE0EEENS1_30default_config_static_selectorELNS0_4arch9wavefront6targetE1EEEvSY_,"axG",@progbits,_ZN7rocprim17ROCPRIM_400000_NS6detail17trampoline_kernelINS0_13select_configILj256ELj13ELNS0_17block_load_methodE3ELS4_3ELS4_3ELNS0_20block_scan_algorithmE0ELj4294967295EEENS1_25partition_config_selectorILNS1_17partition_subalgoE3EjNS0_10empty_typeEbEEZZNS1_14partition_implILS8_3ELb0ES6_jNS0_17counting_iteratorIjlEEPS9_SE_NS0_5tupleIJPjSE_EEENSF_IJSE_SE_EEES9_SG_JZNS1_25segmented_radix_sort_implINS0_14default_configELb1EPKbPbPKlPlN2at6native12_GLOBAL__N_18offset_tEEE10hipError_tPvRmT1_PNSt15iterator_traitsISY_E10value_typeET2_T3_PNSZ_IS14_E10value_typeET4_jRbjT5_S1A_jjP12ihipStream_tbEUljE_EEESV_SW_SX_S14_S18_S1A_T6_T7_T9_mT8_S1C_bDpT10_ENKUlT_T0_E_clISt17integral_constantIbLb0EES1P_EEDaS1K_S1L_EUlS1K_E_NS1_11comp_targetILNS1_3genE2ELNS1_11target_archE906ELNS1_3gpuE6ELNS1_3repE0EEENS1_30default_config_static_selectorELNS0_4arch9wavefront6targetE1EEEvSY_,comdat
	.globl	_ZN7rocprim17ROCPRIM_400000_NS6detail17trampoline_kernelINS0_13select_configILj256ELj13ELNS0_17block_load_methodE3ELS4_3ELS4_3ELNS0_20block_scan_algorithmE0ELj4294967295EEENS1_25partition_config_selectorILNS1_17partition_subalgoE3EjNS0_10empty_typeEbEEZZNS1_14partition_implILS8_3ELb0ES6_jNS0_17counting_iteratorIjlEEPS9_SE_NS0_5tupleIJPjSE_EEENSF_IJSE_SE_EEES9_SG_JZNS1_25segmented_radix_sort_implINS0_14default_configELb1EPKbPbPKlPlN2at6native12_GLOBAL__N_18offset_tEEE10hipError_tPvRmT1_PNSt15iterator_traitsISY_E10value_typeET2_T3_PNSZ_IS14_E10value_typeET4_jRbjT5_S1A_jjP12ihipStream_tbEUljE_EEESV_SW_SX_S14_S18_S1A_T6_T7_T9_mT8_S1C_bDpT10_ENKUlT_T0_E_clISt17integral_constantIbLb0EES1P_EEDaS1K_S1L_EUlS1K_E_NS1_11comp_targetILNS1_3genE2ELNS1_11target_archE906ELNS1_3gpuE6ELNS1_3repE0EEENS1_30default_config_static_selectorELNS0_4arch9wavefront6targetE1EEEvSY_ ; -- Begin function _ZN7rocprim17ROCPRIM_400000_NS6detail17trampoline_kernelINS0_13select_configILj256ELj13ELNS0_17block_load_methodE3ELS4_3ELS4_3ELNS0_20block_scan_algorithmE0ELj4294967295EEENS1_25partition_config_selectorILNS1_17partition_subalgoE3EjNS0_10empty_typeEbEEZZNS1_14partition_implILS8_3ELb0ES6_jNS0_17counting_iteratorIjlEEPS9_SE_NS0_5tupleIJPjSE_EEENSF_IJSE_SE_EEES9_SG_JZNS1_25segmented_radix_sort_implINS0_14default_configELb1EPKbPbPKlPlN2at6native12_GLOBAL__N_18offset_tEEE10hipError_tPvRmT1_PNSt15iterator_traitsISY_E10value_typeET2_T3_PNSZ_IS14_E10value_typeET4_jRbjT5_S1A_jjP12ihipStream_tbEUljE_EEESV_SW_SX_S14_S18_S1A_T6_T7_T9_mT8_S1C_bDpT10_ENKUlT_T0_E_clISt17integral_constantIbLb0EES1P_EEDaS1K_S1L_EUlS1K_E_NS1_11comp_targetILNS1_3genE2ELNS1_11target_archE906ELNS1_3gpuE6ELNS1_3repE0EEENS1_30default_config_static_selectorELNS0_4arch9wavefront6targetE1EEEvSY_
	.p2align	8
	.type	_ZN7rocprim17ROCPRIM_400000_NS6detail17trampoline_kernelINS0_13select_configILj256ELj13ELNS0_17block_load_methodE3ELS4_3ELS4_3ELNS0_20block_scan_algorithmE0ELj4294967295EEENS1_25partition_config_selectorILNS1_17partition_subalgoE3EjNS0_10empty_typeEbEEZZNS1_14partition_implILS8_3ELb0ES6_jNS0_17counting_iteratorIjlEEPS9_SE_NS0_5tupleIJPjSE_EEENSF_IJSE_SE_EEES9_SG_JZNS1_25segmented_radix_sort_implINS0_14default_configELb1EPKbPbPKlPlN2at6native12_GLOBAL__N_18offset_tEEE10hipError_tPvRmT1_PNSt15iterator_traitsISY_E10value_typeET2_T3_PNSZ_IS14_E10value_typeET4_jRbjT5_S1A_jjP12ihipStream_tbEUljE_EEESV_SW_SX_S14_S18_S1A_T6_T7_T9_mT8_S1C_bDpT10_ENKUlT_T0_E_clISt17integral_constantIbLb0EES1P_EEDaS1K_S1L_EUlS1K_E_NS1_11comp_targetILNS1_3genE2ELNS1_11target_archE906ELNS1_3gpuE6ELNS1_3repE0EEENS1_30default_config_static_selectorELNS0_4arch9wavefront6targetE1EEEvSY_,@function
_ZN7rocprim17ROCPRIM_400000_NS6detail17trampoline_kernelINS0_13select_configILj256ELj13ELNS0_17block_load_methodE3ELS4_3ELS4_3ELNS0_20block_scan_algorithmE0ELj4294967295EEENS1_25partition_config_selectorILNS1_17partition_subalgoE3EjNS0_10empty_typeEbEEZZNS1_14partition_implILS8_3ELb0ES6_jNS0_17counting_iteratorIjlEEPS9_SE_NS0_5tupleIJPjSE_EEENSF_IJSE_SE_EEES9_SG_JZNS1_25segmented_radix_sort_implINS0_14default_configELb1EPKbPbPKlPlN2at6native12_GLOBAL__N_18offset_tEEE10hipError_tPvRmT1_PNSt15iterator_traitsISY_E10value_typeET2_T3_PNSZ_IS14_E10value_typeET4_jRbjT5_S1A_jjP12ihipStream_tbEUljE_EEESV_SW_SX_S14_S18_S1A_T6_T7_T9_mT8_S1C_bDpT10_ENKUlT_T0_E_clISt17integral_constantIbLb0EES1P_EEDaS1K_S1L_EUlS1K_E_NS1_11comp_targetILNS1_3genE2ELNS1_11target_archE906ELNS1_3gpuE6ELNS1_3repE0EEENS1_30default_config_static_selectorELNS0_4arch9wavefront6targetE1EEEvSY_: ; @_ZN7rocprim17ROCPRIM_400000_NS6detail17trampoline_kernelINS0_13select_configILj256ELj13ELNS0_17block_load_methodE3ELS4_3ELS4_3ELNS0_20block_scan_algorithmE0ELj4294967295EEENS1_25partition_config_selectorILNS1_17partition_subalgoE3EjNS0_10empty_typeEbEEZZNS1_14partition_implILS8_3ELb0ES6_jNS0_17counting_iteratorIjlEEPS9_SE_NS0_5tupleIJPjSE_EEENSF_IJSE_SE_EEES9_SG_JZNS1_25segmented_radix_sort_implINS0_14default_configELb1EPKbPbPKlPlN2at6native12_GLOBAL__N_18offset_tEEE10hipError_tPvRmT1_PNSt15iterator_traitsISY_E10value_typeET2_T3_PNSZ_IS14_E10value_typeET4_jRbjT5_S1A_jjP12ihipStream_tbEUljE_EEESV_SW_SX_S14_S18_S1A_T6_T7_T9_mT8_S1C_bDpT10_ENKUlT_T0_E_clISt17integral_constantIbLb0EES1P_EEDaS1K_S1L_EUlS1K_E_NS1_11comp_targetILNS1_3genE2ELNS1_11target_archE906ELNS1_3gpuE6ELNS1_3repE0EEENS1_30default_config_static_selectorELNS0_4arch9wavefront6targetE1EEEvSY_
; %bb.0:
	s_load_dwordx2 s[28:29], s[4:5], 0x58
	s_load_dwordx4 s[24:27], s[4:5], 0x48
	s_load_dword s12, s[4:5], 0x8
	s_load_dwordx2 s[30:31], s[4:5], 0x10
	s_load_dword s0, s[4:5], 0x70
	s_load_dword s7, s[4:5], 0x88
	s_load_dwordx4 s[8:11], s[4:5], 0x78
	s_waitcnt lgkmcnt(0)
	s_load_dwordx2 s[34:35], s[26:27], 0x0
	s_mul_i32 s44, s6, 0xd00
	s_add_i32 s2, s0, -1
	s_mulk_i32 s0, 0xd00
	s_add_i32 s1, s0, s30
	s_sub_i32 s33, s28, s1
	s_addk_i32 s33, 0xd00
	s_add_u32 s0, s30, s0
	s_addc_u32 s1, s31, 0
	v_mov_b32_e32 v2, s1
	v_mov_b32_e32 v1, s0
	s_cmp_eq_u32 s6, s2
	v_cmp_gt_u64_e32 vcc, s[28:29], v[1:2]
	s_cselect_b64 s[22:23], -1, 0
	s_cmp_lg_u32 s6, s2
	s_cselect_b64 s[0:1], -1, 0
	s_add_i32 s12, s12, s44
	s_or_b64 s[2:3], s[0:1], vcc
	s_add_i32 s12, s12, s30
	s_mov_b64 s[0:1], -1
	s_and_b64 vcc, exec, s[2:3]
	v_add_u32_e32 v1, s12, v0
	v_lshlrev_b32_e32 v23, 2, v0
	s_cbranch_vccz .LBB1504_2
; %bb.1:
	v_add_u32_e32 v2, 0x100, v1
	v_add_u32_e32 v3, 0x200, v1
	;; [unrolled: 1-line block ×12, first 2 shown]
	ds_write2st64_b32 v23, v1, v2 offset1:4
	ds_write2st64_b32 v23, v3, v4 offset0:8 offset1:12
	ds_write2st64_b32 v23, v5, v6 offset0:16 offset1:20
	;; [unrolled: 1-line block ×5, first 2 shown]
	ds_write_b32 v23, v13 offset:12288
	s_waitcnt lgkmcnt(0)
	s_barrier
	s_mov_b64 s[0:1], 0
.LBB1504_2:
	s_andn2_b64 vcc, exec, s[0:1]
	v_cmp_gt_u32_e64 s[0:1], s33, v0
	s_cbranch_vccnz .LBB1504_4
; %bb.3:
	v_or_b32_e32 v2, 0x100, v0
	v_add_u32_e32 v3, s12, v2
	v_cmp_gt_u32_e32 vcc, s33, v2
	v_cndmask_b32_e32 v2, 0, v3, vcc
	v_or_b32_e32 v3, 0x200, v0
	v_add_u32_e32 v4, s12, v3
	v_cmp_gt_u32_e32 vcc, s33, v3
	v_cndmask_b32_e32 v3, 0, v4, vcc
	;; [unrolled: 4-line block ×11, first 2 shown]
	v_or_b32_e32 v13, 0xc00, v0
	v_cndmask_b32_e64 v1, 0, v1, s[0:1]
	v_add_u32_e32 v14, s12, v13
	v_cmp_gt_u32_e32 vcc, s33, v13
	v_cndmask_b32_e32 v13, 0, v14, vcc
	ds_write2st64_b32 v23, v1, v2 offset1:4
	ds_write2st64_b32 v23, v3, v4 offset0:8 offset1:12
	ds_write2st64_b32 v23, v5, v6 offset0:16 offset1:20
	;; [unrolled: 1-line block ×5, first 2 shown]
	ds_write_b32 v23, v13 offset:12288
	s_waitcnt lgkmcnt(0)
	s_barrier
.LBB1504_4:
	v_mul_u32_u24_e32 v25, 13, v0
	v_lshlrev_b32_e32 v1, 2, v25
	s_waitcnt lgkmcnt(0)
	ds_read2_b32 v[13:14], v1 offset1:1
	ds_read2_b32 v[11:12], v1 offset0:2 offset1:3
	ds_read2_b32 v[9:10], v1 offset0:4 offset1:5
	;; [unrolled: 1-line block ×5, first 2 shown]
	ds_read_b32 v24, v1 offset:48
	v_cndmask_b32_e64 v1, 0, 1, s[2:3]
	v_cmp_ne_u32_e64 s[0:1], 1, v1
	s_andn2_b64 vcc, exec, s[2:3]
	s_waitcnt lgkmcnt(0)
	s_barrier
	s_cbranch_vccnz .LBB1504_6
; %bb.5:
	v_add_u32_e32 v1, s9, v13
	v_add_u32_e32 v2, s11, v13
	v_mul_lo_u32 v1, v1, s8
	v_mul_lo_u32 v2, v2, s10
	v_add_u32_e32 v15, s9, v11
	v_add_u32_e32 v16, s11, v11
	v_mul_lo_u32 v15, v15, s8
	v_sub_u32_e32 v1, v1, v2
	v_cmp_lt_u32_e32 vcc, s7, v1
	v_add_u32_e32 v1, s9, v14
	v_add_u32_e32 v2, s11, v14
	v_mul_lo_u32 v1, v1, s8
	v_mul_lo_u32 v2, v2, s10
	;; [unrolled: 1-line block ×3, first 2 shown]
	v_cndmask_b32_e64 v26, 0, 1, vcc
	v_sub_u32_e32 v1, v1, v2
	v_cmp_lt_u32_e32 vcc, s7, v1
	v_sub_u32_e32 v1, v15, v16
	v_cndmask_b32_e64 v27, 0, 1, vcc
	v_cmp_lt_u32_e32 vcc, s7, v1
	v_add_u32_e32 v1, s9, v12
	v_add_u32_e32 v2, s11, v12
	v_mul_lo_u32 v1, v1, s8
	v_mul_lo_u32 v2, v2, s10
	v_add_u32_e32 v15, s9, v9
	v_add_u32_e32 v16, s11, v9
	v_mul_lo_u32 v15, v15, s8
	v_mul_lo_u32 v16, v16, s10
	v_sub_u32_e32 v1, v1, v2
	v_cndmask_b32_e64 v28, 0, 1, vcc
	v_cmp_lt_u32_e32 vcc, s7, v1
	v_sub_u32_e32 v1, v15, v16
	v_cndmask_b32_e64 v29, 0, 1, vcc
	v_cmp_lt_u32_e32 vcc, s7, v1
	v_add_u32_e32 v1, s9, v10
	v_add_u32_e32 v2, s11, v10
	v_mul_lo_u32 v1, v1, s8
	v_mul_lo_u32 v2, v2, s10
	v_add_u32_e32 v15, s9, v7
	v_add_u32_e32 v16, s11, v7
	v_mul_lo_u32 v15, v15, s8
	v_mul_lo_u32 v16, v16, s10
	v_sub_u32_e32 v1, v1, v2
	v_cndmask_b32_e64 v30, 0, 1, vcc
	;; [unrolled: 14-line block ×5, first 2 shown]
	v_cmp_lt_u32_e32 vcc, s7, v1
	v_sub_u32_e32 v1, v15, v16
	v_cndmask_b32_e64 v37, 0, 1, vcc
	v_cmp_lt_u32_e64 s[38:39], s7, v1
	s_load_dwordx2 s[26:27], s[4:5], 0x28
	s_load_dwordx2 s[36:37], s[4:5], 0x68
	s_cbranch_execz .LBB1504_7
	s_branch .LBB1504_34
.LBB1504_6:
                                        ; implicit-def: $sgpr38_sgpr39
                                        ; implicit-def: $vgpr37
                                        ; implicit-def: $vgpr36
                                        ; implicit-def: $vgpr35
                                        ; implicit-def: $vgpr34
                                        ; implicit-def: $vgpr33
                                        ; implicit-def: $vgpr32
                                        ; implicit-def: $vgpr31
                                        ; implicit-def: $vgpr30
                                        ; implicit-def: $vgpr26
                                        ; implicit-def: $vgpr27
                                        ; implicit-def: $vgpr28
                                        ; implicit-def: $vgpr29
	s_load_dwordx2 s[26:27], s[4:5], 0x28
	s_load_dwordx2 s[36:37], s[4:5], 0x68
.LBB1504_7:
	v_cmp_gt_u32_e32 vcc, s33, v25
	v_mov_b32_e32 v27, 0
	v_mov_b32_e32 v26, 0
	s_and_saveexec_b64 s[2:3], vcc
	s_cbranch_execz .LBB1504_9
; %bb.8:
	v_add_u32_e32 v1, s9, v13
	v_add_u32_e32 v2, s11, v13
	v_mul_lo_u32 v1, v1, s8
	v_mul_lo_u32 v2, v2, s10
	v_sub_u32_e32 v1, v1, v2
	v_cmp_lt_u32_e32 vcc, s7, v1
	v_cndmask_b32_e64 v26, 0, 1, vcc
.LBB1504_9:
	s_or_b64 exec, exec, s[2:3]
	v_add_u32_e32 v1, 1, v25
	v_cmp_gt_u32_e32 vcc, s33, v1
	s_and_saveexec_b64 s[2:3], vcc
	s_cbranch_execz .LBB1504_11
; %bb.10:
	v_add_u32_e32 v1, s9, v14
	v_add_u32_e32 v2, s11, v14
	v_mul_lo_u32 v1, v1, s8
	v_mul_lo_u32 v2, v2, s10
	v_sub_u32_e32 v1, v1, v2
	v_cmp_lt_u32_e32 vcc, s7, v1
	v_cndmask_b32_e64 v27, 0, 1, vcc
.LBB1504_11:
	s_or_b64 exec, exec, s[2:3]
	v_add_u32_e32 v1, 2, v25
	v_cmp_gt_u32_e32 vcc, s33, v1
	v_mov_b32_e32 v29, 0
	v_mov_b32_e32 v28, 0
	s_and_saveexec_b64 s[2:3], vcc
	s_cbranch_execz .LBB1504_13
; %bb.12:
	v_add_u32_e32 v1, s9, v11
	v_add_u32_e32 v2, s11, v11
	v_mul_lo_u32 v1, v1, s8
	v_mul_lo_u32 v2, v2, s10
	v_sub_u32_e32 v1, v1, v2
	v_cmp_lt_u32_e32 vcc, s7, v1
	v_cndmask_b32_e64 v28, 0, 1, vcc
.LBB1504_13:
	s_or_b64 exec, exec, s[2:3]
	v_add_u32_e32 v1, 3, v25
	v_cmp_gt_u32_e32 vcc, s33, v1
	s_and_saveexec_b64 s[2:3], vcc
	s_cbranch_execz .LBB1504_15
; %bb.14:
	v_add_u32_e32 v1, s9, v12
	v_add_u32_e32 v2, s11, v12
	v_mul_lo_u32 v1, v1, s8
	v_mul_lo_u32 v2, v2, s10
	v_sub_u32_e32 v1, v1, v2
	v_cmp_lt_u32_e32 vcc, s7, v1
	v_cndmask_b32_e64 v29, 0, 1, vcc
.LBB1504_15:
	s_or_b64 exec, exec, s[2:3]
	v_add_u32_e32 v1, 4, v25
	;; [unrolled: 30-line block ×6, first 2 shown]
	v_cmp_gt_u32_e32 vcc, s33, v1
	s_mov_b64 s[38:39], 0
	s_and_saveexec_b64 s[2:3], vcc
	s_cbranch_execz .LBB1504_33
; %bb.32:
	v_add_u32_e32 v1, s9, v24
	v_add_u32_e32 v2, s11, v24
	v_mul_lo_u32 v1, v1, s8
	v_mul_lo_u32 v2, v2, s10
	v_sub_u32_e32 v1, v1, v2
	v_cmp_lt_u32_e32 vcc, s7, v1
	s_and_b64 s[38:39], vcc, exec
.LBB1504_33:
	s_or_b64 exec, exec, s[2:3]
.LBB1504_34:
	v_and_b32_e32 v40, 0xff, v27
	v_and_b32_e32 v41, 0xff, v28
	v_and_b32_e32 v42, 0xff, v29
	v_and_b32_e32 v39, 0xff, v26
	v_and_b32_e32 v43, 0xff, v30
	v_add3_u32 v2, v41, v42, v40
	v_and_b32_e32 v44, 0xff, v31
	v_and_b32_e32 v45, 0xff, v32
	v_add3_u32 v2, v2, v39, v43
	v_and_b32_e32 v46, 0xff, v33
	v_and_b32_e32 v47, 0xff, v34
	v_add3_u32 v2, v2, v44, v45
	v_and_b32_e32 v48, 0xff, v35
	v_and_b32_e32 v49, 0xff, v36
	v_add3_u32 v2, v2, v46, v47
	v_and_b32_e32 v38, 0xff, v37
	v_cndmask_b32_e64 v1, 0, 1, s[38:39]
	v_add3_u32 v2, v2, v48, v49
	v_add3_u32 v52, v2, v38, v1
	v_mbcnt_lo_u32_b32 v1, -1, 0
	v_mbcnt_hi_u32_b32 v50, -1, v1
	v_and_b32_e32 v1, 15, v50
	v_cmp_eq_u32_e64 s[14:15], 0, v1
	v_cmp_lt_u32_e64 s[12:13], 1, v1
	v_cmp_lt_u32_e64 s[10:11], 3, v1
	;; [unrolled: 1-line block ×3, first 2 shown]
	v_and_b32_e32 v1, 16, v50
	v_cmp_eq_u32_e64 s[18:19], 0, v1
	v_or_b32_e32 v1, 63, v0
	s_cmp_lg_u32 s6, 0
	v_cmp_lt_u32_e64 s[2:3], 31, v50
	v_lshrrev_b32_e32 v51, 6, v0
	v_cmp_eq_u32_e64 s[4:5], v0, v1
	s_cbranch_scc0 .LBB1504_56
; %bb.35:
	v_mov_b32_dpp v1, v52 row_shr:1 row_mask:0xf bank_mask:0xf
	v_cndmask_b32_e64 v1, v1, 0, s[14:15]
	v_add_u32_e32 v1, v1, v52
	s_nop 1
	v_mov_b32_dpp v2, v1 row_shr:2 row_mask:0xf bank_mask:0xf
	v_cndmask_b32_e64 v2, 0, v2, s[12:13]
	v_add_u32_e32 v1, v1, v2
	s_nop 1
	;; [unrolled: 4-line block ×4, first 2 shown]
	v_mov_b32_dpp v2, v1 row_bcast:15 row_mask:0xf bank_mask:0xf
	v_cndmask_b32_e64 v2, v2, 0, s[18:19]
	v_add_u32_e32 v1, v1, v2
	s_nop 1
	v_mov_b32_dpp v2, v1 row_bcast:31 row_mask:0xf bank_mask:0xf
	v_cndmask_b32_e64 v2, 0, v2, s[2:3]
	v_add_u32_e32 v1, v1, v2
	s_and_saveexec_b64 s[16:17], s[4:5]
; %bb.36:
	v_lshlrev_b32_e32 v2, 2, v51
	ds_write_b32 v2, v1
; %bb.37:
	s_or_b64 exec, exec, s[16:17]
	v_cmp_gt_u32_e32 vcc, 4, v0
	s_waitcnt lgkmcnt(0)
	s_barrier
	s_and_saveexec_b64 s[16:17], vcc
	s_cbranch_execz .LBB1504_39
; %bb.38:
	ds_read_b32 v2, v23
	v_and_b32_e32 v15, 3, v50
	v_cmp_ne_u32_e32 vcc, 0, v15
	s_waitcnt lgkmcnt(0)
	v_mov_b32_dpp v16, v2 row_shr:1 row_mask:0xf bank_mask:0xf
	v_cndmask_b32_e32 v16, 0, v16, vcc
	v_add_u32_e32 v2, v16, v2
	v_cmp_lt_u32_e32 vcc, 1, v15
	s_nop 0
	v_mov_b32_dpp v16, v2 row_shr:2 row_mask:0xf bank_mask:0xf
	v_cndmask_b32_e32 v15, 0, v16, vcc
	v_add_u32_e32 v2, v2, v15
	ds_write_b32 v23, v2
.LBB1504_39:
	s_or_b64 exec, exec, s[16:17]
	v_cmp_gt_u32_e32 vcc, 64, v0
	v_cmp_lt_u32_e64 s[16:17], 63, v0
	s_waitcnt lgkmcnt(0)
	s_barrier
                                        ; implicit-def: $vgpr53
	s_and_saveexec_b64 s[20:21], s[16:17]
	s_cbranch_execz .LBB1504_41
; %bb.40:
	v_lshl_add_u32 v2, v51, 2, -4
	ds_read_b32 v53, v2
	s_waitcnt lgkmcnt(0)
	v_add_u32_e32 v1, v53, v1
.LBB1504_41:
	s_or_b64 exec, exec, s[20:21]
	v_subrev_co_u32_e64 v2, s[16:17], 1, v50
	v_and_b32_e32 v15, 64, v50
	v_cmp_lt_i32_e64 s[20:21], v2, v15
	v_cndmask_b32_e64 v2, v2, v50, s[20:21]
	v_lshlrev_b32_e32 v2, 2, v2
	ds_bpermute_b32 v54, v2, v1
	s_and_saveexec_b64 s[20:21], vcc
	s_cbranch_execz .LBB1504_61
; %bb.42:
	v_mov_b32_e32 v19, 0
	ds_read_b32 v1, v19 offset:12
	s_and_saveexec_b64 s[40:41], s[16:17]
	s_cbranch_execz .LBB1504_44
; %bb.43:
	s_add_i32 s42, s6, 64
	s_mov_b32 s43, 0
	s_lshl_b64 s[42:43], s[42:43], 3
	s_add_u32 s42, s36, s42
	v_mov_b32_e32 v2, 1
	s_addc_u32 s43, s37, s43
	s_waitcnt lgkmcnt(0)
	global_store_dwordx2 v19, v[1:2], s[42:43]
.LBB1504_44:
	s_or_b64 exec, exec, s[40:41]
	v_xad_u32 v15, v50, -1, s6
	v_add_u32_e32 v18, 64, v15
	v_lshlrev_b64 v[16:17], 3, v[18:19]
	v_mov_b32_e32 v2, s37
	v_add_co_u32_e32 v20, vcc, s36, v16
	v_addc_co_u32_e32 v21, vcc, v2, v17, vcc
	global_load_dwordx2 v[17:18], v[20:21], off glc
	s_waitcnt vmcnt(0)
	v_cmp_eq_u16_sdwa s[42:43], v18, v19 src0_sel:BYTE_0 src1_sel:DWORD
	s_and_saveexec_b64 s[40:41], s[42:43]
	s_cbranch_execz .LBB1504_48
; %bb.45:
	s_mov_b64 s[42:43], 0
	v_mov_b32_e32 v2, 0
.LBB1504_46:                            ; =>This Inner Loop Header: Depth=1
	global_load_dwordx2 v[17:18], v[20:21], off glc
	s_waitcnt vmcnt(0)
	v_cmp_ne_u16_sdwa s[46:47], v18, v2 src0_sel:BYTE_0 src1_sel:DWORD
	s_or_b64 s[42:43], s[46:47], s[42:43]
	s_andn2_b64 exec, exec, s[42:43]
	s_cbranch_execnz .LBB1504_46
; %bb.47:
	s_or_b64 exec, exec, s[42:43]
.LBB1504_48:
	s_or_b64 exec, exec, s[40:41]
	v_and_b32_e32 v56, 63, v50
	v_mov_b32_e32 v55, 2
	v_lshlrev_b64 v[19:20], v50, -1
	v_cmp_ne_u32_e32 vcc, 63, v56
	v_cmp_eq_u16_sdwa s[40:41], v18, v55 src0_sel:BYTE_0 src1_sel:DWORD
	v_addc_co_u32_e32 v21, vcc, 0, v50, vcc
	v_and_b32_e32 v2, s41, v20
	v_lshlrev_b32_e32 v57, 2, v21
	v_or_b32_e32 v2, 0x80000000, v2
	ds_bpermute_b32 v21, v57, v17
	v_and_b32_e32 v16, s40, v19
	v_ffbl_b32_e32 v2, v2
	v_add_u32_e32 v2, 32, v2
	v_ffbl_b32_e32 v16, v16
	v_min_u32_e32 v2, v16, v2
	v_cmp_lt_u32_e32 vcc, v56, v2
	s_waitcnt lgkmcnt(0)
	v_cndmask_b32_e32 v16, 0, v21, vcc
	v_cmp_gt_u32_e32 vcc, 62, v56
	v_add_u32_e32 v16, v16, v17
	v_cndmask_b32_e64 v17, 0, 2, vcc
	v_add_lshl_u32 v58, v17, v50, 2
	ds_bpermute_b32 v17, v58, v16
	v_add_u32_e32 v59, 2, v56
	v_cmp_le_u32_e32 vcc, v59, v2
	v_add_u32_e32 v61, 4, v56
	v_add_u32_e32 v63, 8, v56
	s_waitcnt lgkmcnt(0)
	v_cndmask_b32_e32 v17, 0, v17, vcc
	v_cmp_gt_u32_e32 vcc, 60, v56
	v_add_u32_e32 v16, v16, v17
	v_cndmask_b32_e64 v17, 0, 4, vcc
	v_add_lshl_u32 v60, v17, v50, 2
	ds_bpermute_b32 v17, v60, v16
	v_cmp_le_u32_e32 vcc, v61, v2
	v_add_u32_e32 v65, 16, v56
	v_add_u32_e32 v67, 32, v56
	s_waitcnt lgkmcnt(0)
	v_cndmask_b32_e32 v17, 0, v17, vcc
	v_cmp_gt_u32_e32 vcc, 56, v56
	v_add_u32_e32 v16, v16, v17
	v_cndmask_b32_e64 v17, 0, 8, vcc
	v_add_lshl_u32 v62, v17, v50, 2
	ds_bpermute_b32 v17, v62, v16
	v_cmp_le_u32_e32 vcc, v63, v2
	s_waitcnt lgkmcnt(0)
	v_cndmask_b32_e32 v17, 0, v17, vcc
	v_cmp_gt_u32_e32 vcc, 48, v56
	v_add_u32_e32 v16, v16, v17
	v_cndmask_b32_e64 v17, 0, 16, vcc
	v_add_lshl_u32 v64, v17, v50, 2
	ds_bpermute_b32 v17, v64, v16
	v_cmp_le_u32_e32 vcc, v65, v2
	s_waitcnt lgkmcnt(0)
	v_cndmask_b32_e32 v17, 0, v17, vcc
	v_add_u32_e32 v16, v16, v17
	v_mov_b32_e32 v17, 0x80
	v_lshl_or_b32 v66, v50, 2, v17
	ds_bpermute_b32 v17, v66, v16
	v_cmp_le_u32_e32 vcc, v67, v2
	s_waitcnt lgkmcnt(0)
	v_cndmask_b32_e32 v2, 0, v17, vcc
	v_add_u32_e32 v17, v16, v2
	v_mov_b32_e32 v16, 0
	s_branch .LBB1504_52
.LBB1504_49:                            ;   in Loop: Header=BB1504_52 Depth=1
	s_or_b64 exec, exec, s[42:43]
.LBB1504_50:                            ;   in Loop: Header=BB1504_52 Depth=1
	s_or_b64 exec, exec, s[40:41]
	v_cmp_eq_u16_sdwa s[40:41], v18, v55 src0_sel:BYTE_0 src1_sel:DWORD
	v_and_b32_e32 v21, s41, v20
	v_or_b32_e32 v21, 0x80000000, v21
	ds_bpermute_b32 v68, v57, v17
	v_and_b32_e32 v22, s40, v19
	v_ffbl_b32_e32 v21, v21
	v_add_u32_e32 v21, 32, v21
	v_ffbl_b32_e32 v22, v22
	v_min_u32_e32 v21, v22, v21
	v_cmp_lt_u32_e32 vcc, v56, v21
	s_waitcnt lgkmcnt(0)
	v_cndmask_b32_e32 v22, 0, v68, vcc
	v_add_u32_e32 v17, v22, v17
	ds_bpermute_b32 v22, v58, v17
	v_cmp_le_u32_e32 vcc, v59, v21
	v_subrev_u32_e32 v15, 64, v15
	s_mov_b64 s[40:41], 0
	s_waitcnt lgkmcnt(0)
	v_cndmask_b32_e32 v22, 0, v22, vcc
	v_add_u32_e32 v17, v17, v22
	ds_bpermute_b32 v22, v60, v17
	v_cmp_le_u32_e32 vcc, v61, v21
	s_waitcnt lgkmcnt(0)
	v_cndmask_b32_e32 v22, 0, v22, vcc
	v_add_u32_e32 v17, v17, v22
	ds_bpermute_b32 v22, v62, v17
	v_cmp_le_u32_e32 vcc, v63, v21
	;; [unrolled: 5-line block ×4, first 2 shown]
	s_waitcnt lgkmcnt(0)
	v_cndmask_b32_e32 v21, 0, v22, vcc
	v_add3_u32 v17, v21, v2, v17
.LBB1504_51:                            ;   in Loop: Header=BB1504_52 Depth=1
	s_and_b64 vcc, exec, s[40:41]
	s_cbranch_vccnz .LBB1504_57
.LBB1504_52:                            ; =>This Loop Header: Depth=1
                                        ;     Child Loop BB1504_55 Depth 2
	v_cmp_ne_u16_sdwa s[40:41], v18, v55 src0_sel:BYTE_0 src1_sel:DWORD
	v_mov_b32_e32 v2, v17
	s_cmp_lg_u64 s[40:41], exec
	s_mov_b64 s[40:41], -1
                                        ; implicit-def: $vgpr17
                                        ; implicit-def: $vgpr18
	s_cbranch_scc1 .LBB1504_51
; %bb.53:                               ;   in Loop: Header=BB1504_52 Depth=1
	v_lshlrev_b64 v[17:18], 3, v[15:16]
	v_mov_b32_e32 v22, s37
	v_add_co_u32_e32 v21, vcc, s36, v17
	v_addc_co_u32_e32 v22, vcc, v22, v18, vcc
	global_load_dwordx2 v[17:18], v[21:22], off glc
	s_waitcnt vmcnt(0)
	v_cmp_eq_u16_sdwa s[42:43], v18, v16 src0_sel:BYTE_0 src1_sel:DWORD
	s_and_saveexec_b64 s[40:41], s[42:43]
	s_cbranch_execz .LBB1504_50
; %bb.54:                               ;   in Loop: Header=BB1504_52 Depth=1
	s_mov_b64 s[42:43], 0
.LBB1504_55:                            ;   Parent Loop BB1504_52 Depth=1
                                        ; =>  This Inner Loop Header: Depth=2
	global_load_dwordx2 v[17:18], v[21:22], off glc
	s_waitcnt vmcnt(0)
	v_cmp_ne_u16_sdwa s[46:47], v18, v16 src0_sel:BYTE_0 src1_sel:DWORD
	s_or_b64 s[42:43], s[46:47], s[42:43]
	s_andn2_b64 exec, exec, s[42:43]
	s_cbranch_execnz .LBB1504_55
	s_branch .LBB1504_49
.LBB1504_56:
                                        ; implicit-def: $vgpr2
                                        ; implicit-def: $vgpr15
	s_cbranch_execnz .LBB1504_62
	s_branch .LBB1504_71
.LBB1504_57:
	s_and_saveexec_b64 s[40:41], s[16:17]
	s_cbranch_execz .LBB1504_59
; %bb.58:
	s_add_i32 s6, s6, 64
	s_mov_b32 s7, 0
	s_lshl_b64 s[6:7], s[6:7], 3
	s_add_u32 s6, s36, s6
	v_add_u32_e32 v15, v2, v1
	v_mov_b32_e32 v16, 2
	s_addc_u32 s7, s37, s7
	v_mov_b32_e32 v17, 0
	global_store_dwordx2 v17, v[15:16], s[6:7]
	ds_write_b64 v17, v[1:2] offset:13312
.LBB1504_59:
	s_or_b64 exec, exec, s[40:41]
	v_cmp_eq_u32_e32 vcc, 0, v0
	s_and_b64 exec, exec, vcc
; %bb.60:
	v_mov_b32_e32 v1, 0
	ds_write_b32 v1, v2 offset:12
.LBB1504_61:
	s_or_b64 exec, exec, s[20:21]
	v_mov_b32_e32 v1, 0
	s_waitcnt vmcnt(0) lgkmcnt(0)
	s_barrier
	ds_read_b32 v16, v1 offset:12
	s_waitcnt lgkmcnt(0)
	s_barrier
	ds_read_b64 v[1:2], v1 offset:13312
	v_cndmask_b32_e64 v15, v54, v53, s[16:17]
	v_cmp_ne_u32_e32 vcc, 0, v0
	v_cndmask_b32_e32 v15, 0, v15, vcc
	v_add_u32_e32 v15, v16, v15
	s_branch .LBB1504_71
.LBB1504_62:
	s_waitcnt lgkmcnt(0)
	v_mov_b32_dpp v1, v52 row_shr:1 row_mask:0xf bank_mask:0xf
	v_cndmask_b32_e64 v1, v1, 0, s[14:15]
	v_add_u32_e32 v1, v1, v52
	s_nop 1
	v_mov_b32_dpp v2, v1 row_shr:2 row_mask:0xf bank_mask:0xf
	v_cndmask_b32_e64 v2, 0, v2, s[12:13]
	v_add_u32_e32 v1, v1, v2
	s_nop 1
	;; [unrolled: 4-line block ×4, first 2 shown]
	v_mov_b32_dpp v2, v1 row_bcast:15 row_mask:0xf bank_mask:0xf
	v_cndmask_b32_e64 v2, v2, 0, s[18:19]
	v_add_u32_e32 v1, v1, v2
	s_nop 1
	v_mov_b32_dpp v2, v1 row_bcast:31 row_mask:0xf bank_mask:0xf
	v_cndmask_b32_e64 v2, 0, v2, s[2:3]
	v_add_u32_e32 v1, v1, v2
	s_and_saveexec_b64 s[2:3], s[4:5]
; %bb.63:
	v_lshlrev_b32_e32 v2, 2, v51
	ds_write_b32 v2, v1
; %bb.64:
	s_or_b64 exec, exec, s[2:3]
	v_cmp_gt_u32_e32 vcc, 4, v0
	s_waitcnt lgkmcnt(0)
	s_barrier
	s_and_saveexec_b64 s[2:3], vcc
	s_cbranch_execz .LBB1504_66
; %bb.65:
	ds_read_b32 v2, v23
	v_and_b32_e32 v15, 3, v50
	v_cmp_ne_u32_e32 vcc, 0, v15
	s_waitcnt lgkmcnt(0)
	v_mov_b32_dpp v16, v2 row_shr:1 row_mask:0xf bank_mask:0xf
	v_cndmask_b32_e32 v16, 0, v16, vcc
	v_add_u32_e32 v2, v16, v2
	v_cmp_lt_u32_e32 vcc, 1, v15
	s_nop 0
	v_mov_b32_dpp v16, v2 row_shr:2 row_mask:0xf bank_mask:0xf
	v_cndmask_b32_e32 v15, 0, v16, vcc
	v_add_u32_e32 v2, v2, v15
	ds_write_b32 v23, v2
.LBB1504_66:
	s_or_b64 exec, exec, s[2:3]
	v_cmp_lt_u32_e32 vcc, 63, v0
	v_mov_b32_e32 v2, 0
	v_mov_b32_e32 v15, 0
	s_waitcnt lgkmcnt(0)
	s_barrier
	s_and_saveexec_b64 s[2:3], vcc
; %bb.67:
	v_lshl_add_u32 v15, v51, 2, -4
	ds_read_b32 v15, v15
; %bb.68:
	s_or_b64 exec, exec, s[2:3]
	v_subrev_co_u32_e32 v16, vcc, 1, v50
	v_and_b32_e32 v17, 64, v50
	v_cmp_lt_i32_e64 s[2:3], v16, v17
	v_cndmask_b32_e64 v16, v16, v50, s[2:3]
	s_waitcnt lgkmcnt(0)
	v_add_u32_e32 v1, v15, v1
	v_lshlrev_b32_e32 v16, 2, v16
	ds_bpermute_b32 v16, v16, v1
	ds_read_b32 v1, v2 offset:12
	v_cmp_eq_u32_e64 s[2:3], 0, v0
	s_and_saveexec_b64 s[4:5], s[2:3]
	s_cbranch_execz .LBB1504_70
; %bb.69:
	v_mov_b32_e32 v17, 0
	v_mov_b32_e32 v2, 2
	s_waitcnt lgkmcnt(0)
	global_store_dwordx2 v17, v[1:2], s[36:37] offset:512
.LBB1504_70:
	s_or_b64 exec, exec, s[4:5]
	s_waitcnt lgkmcnt(1)
	v_cndmask_b32_e32 v2, v16, v15, vcc
	v_cndmask_b32_e64 v15, v2, 0, s[2:3]
	s_waitcnt vmcnt(0) lgkmcnt(0)
	s_barrier
	v_mov_b32_e32 v2, 0
.LBB1504_71:
	v_add_u32_e32 v16, v15, v39
	v_add_u32_e32 v17, v16, v40
	;; [unrolled: 1-line block ×4, first 2 shown]
	s_waitcnt lgkmcnt(0)
	v_add_u32_e32 v25, v1, v25
	v_sub_u32_e32 v15, v15, v2
	v_and_b32_e32 v26, 1, v26
	v_add_u32_e32 v20, v19, v43
	v_sub_u32_e32 v43, v25, v15
	v_cmp_eq_u32_e32 vcc, 1, v26
	v_cndmask_b32_e32 v15, v43, v15, vcc
	v_lshlrev_b32_e32 v15, 2, v15
	ds_write_b32 v15, v13
	v_sub_u32_e32 v13, v16, v2
	v_sub_u32_e32 v15, v25, v13
	v_and_b32_e32 v16, 1, v27
	v_add_u32_e32 v15, 1, v15
	v_cmp_eq_u32_e32 vcc, 1, v16
	v_cndmask_b32_e32 v13, v15, v13, vcc
	v_lshlrev_b32_e32 v13, 2, v13
	ds_write_b32 v13, v14
	v_sub_u32_e32 v13, v17, v2
	v_sub_u32_e32 v14, v25, v13
	v_and_b32_e32 v15, 1, v28
	v_add_u32_e32 v14, 2, v14
	v_cmp_eq_u32_e32 vcc, 1, v15
	v_cndmask_b32_e32 v13, v14, v13, vcc
	v_lshlrev_b32_e32 v13, 2, v13
	ds_write_b32 v13, v11
	v_sub_u32_e32 v11, v18, v2
	v_sub_u32_e32 v13, v25, v11
	v_and_b32_e32 v14, 1, v29
	v_add_u32_e32 v13, 3, v13
	v_cmp_eq_u32_e32 vcc, 1, v14
	v_cndmask_b32_e32 v11, v13, v11, vcc
	v_lshlrev_b32_e32 v11, 2, v11
	ds_write_b32 v11, v12
	v_sub_u32_e32 v11, v19, v2
	v_sub_u32_e32 v12, v25, v11
	v_and_b32_e32 v13, 1, v30
	v_add_u32_e32 v12, 4, v12
	v_cmp_eq_u32_e32 vcc, 1, v13
	v_cndmask_b32_e32 v11, v12, v11, vcc
	v_lshlrev_b32_e32 v11, 2, v11
	ds_write_b32 v11, v9
	v_sub_u32_e32 v9, v20, v2
	v_sub_u32_e32 v11, v25, v9
	v_and_b32_e32 v12, 1, v31
	v_add_u32_e32 v11, 5, v11
	v_cmp_eq_u32_e32 vcc, 1, v12
	v_cndmask_b32_e32 v9, v11, v9, vcc
	v_add_u32_e32 v21, v20, v44
	v_lshlrev_b32_e32 v9, 2, v9
	ds_write_b32 v9, v10
	v_sub_u32_e32 v9, v21, v2
	v_sub_u32_e32 v10, v25, v9
	v_and_b32_e32 v11, 1, v32
	v_add_u32_e32 v10, 6, v10
	v_cmp_eq_u32_e32 vcc, 1, v11
	v_cndmask_b32_e32 v9, v10, v9, vcc
	v_add_u32_e32 v22, v21, v45
	v_lshlrev_b32_e32 v9, 2, v9
	ds_write_b32 v9, v7
	v_sub_u32_e32 v7, v22, v2
	v_sub_u32_e32 v9, v25, v7
	v_and_b32_e32 v10, 1, v33
	v_add_u32_e32 v9, 7, v9
	;; [unrolled: 9-line block ×6, first 2 shown]
	v_cmp_eq_u32_e32 vcc, 1, v6
	v_cndmask_b32_e32 v3, v5, v3, vcc
	v_lshlrev_b32_e32 v3, 2, v3
	ds_write_b32 v3, v4
	v_sub_u32_e32 v3, v38, v2
	v_add_u32_e32 v3, v42, v3
	v_sub_u32_e32 v4, v25, v3
	v_add_u32_e32 v4, 12, v4
	v_cndmask_b32_e64 v3, v4, v3, s[38:39]
	v_lshlrev_b32_e32 v3, 2, v3
	ds_write_b32 v3, v24
	s_waitcnt lgkmcnt(0)
	s_barrier
	ds_read2st64_b32 v[13:14], v23 offset1:4
	ds_read2st64_b32 v[11:12], v23 offset0:8 offset1:12
	ds_read2st64_b32 v[9:10], v23 offset0:16 offset1:20
	;; [unrolled: 1-line block ×5, first 2 shown]
	ds_read_b32 v19, v23 offset:12288
	v_mov_b32_e32 v15, s35
	s_and_b64 vcc, exec, s[0:1]
	v_add_co_u32_e64 v17, s[0:1], s34, v2
	v_or_b32_e32 v33, 0x100, v0
	v_or_b32_e32 v31, 0x200, v0
	;; [unrolled: 1-line block ×12, first 2 shown]
	v_addc_co_u32_e64 v18, s[0:1], 0, v15, s[0:1]
	s_cbranch_vccnz .LBB1504_125
; %bb.72:
	v_mov_b32_e32 v2, s31
	v_subrev_co_u32_e32 v15, vcc, s30, v17
	s_sub_u32 s0, s28, s44
	v_subb_co_u32_e32 v16, vcc, v18, v2, vcc
	s_subb_u32 s1, s29, 0
	v_mov_b32_e32 v2, s1
	v_add_co_u32_e32 v23, vcc, s0, v1
	v_addc_co_u32_e32 v32, vcc, 0, v2, vcc
	v_add_co_u32_e32 v2, vcc, v23, v15
	v_addc_co_u32_e32 v23, vcc, v32, v16, vcc
	v_cmp_ge_u32_e32 vcc, v0, v1
                                        ; implicit-def: $vgpr15_vgpr16
	s_and_saveexec_b64 s[0:1], vcc
	s_xor_b64 s[0:1], exec, s[0:1]
; %bb.73:
	v_not_b32_e32 v15, v0
	v_ashrrev_i32_e32 v16, 31, v15
	v_add_co_u32_e32 v15, vcc, v2, v15
	v_addc_co_u32_e32 v16, vcc, v23, v16, vcc
; %bb.74:
	s_andn2_saveexec_b64 s[0:1], s[0:1]
; %bb.75:
	v_add_co_u32_e32 v15, vcc, v17, v0
	v_addc_co_u32_e32 v16, vcc, 0, v18, vcc
; %bb.76:
	s_or_b64 exec, exec, s[0:1]
	v_lshlrev_b64 v[15:16], 2, v[15:16]
	v_mov_b32_e32 v32, s27
	v_add_co_u32_e32 v15, vcc, s26, v15
	v_addc_co_u32_e32 v16, vcc, v32, v16, vcc
	v_cmp_ge_u32_e32 vcc, v33, v1
	s_waitcnt lgkmcnt(6)
	global_store_dword v[15:16], v13, off
                                        ; implicit-def: $vgpr15_vgpr16
	s_and_saveexec_b64 s[0:1], vcc
	s_xor_b64 s[0:1], exec, s[0:1]
; %bb.77:
	v_xor_b32_e32 v15, 0xfffffeff, v0
	v_ashrrev_i32_e32 v16, 31, v15
	v_add_co_u32_e32 v15, vcc, v2, v15
	v_addc_co_u32_e32 v16, vcc, v23, v16, vcc
; %bb.78:
	s_andn2_saveexec_b64 s[0:1], s[0:1]
; %bb.79:
	v_add_co_u32_e32 v15, vcc, v17, v33
	v_addc_co_u32_e32 v16, vcc, 0, v18, vcc
; %bb.80:
	s_or_b64 exec, exec, s[0:1]
	v_lshlrev_b64 v[15:16], 2, v[15:16]
	v_mov_b32_e32 v32, s27
	v_add_co_u32_e32 v15, vcc, s26, v15
	v_addc_co_u32_e32 v16, vcc, v32, v16, vcc
	v_cmp_ge_u32_e32 vcc, v31, v1
	global_store_dword v[15:16], v14, off
                                        ; implicit-def: $vgpr15_vgpr16
	s_and_saveexec_b64 s[0:1], vcc
	s_xor_b64 s[0:1], exec, s[0:1]
; %bb.81:
	v_xor_b32_e32 v15, 0xfffffdff, v0
	v_ashrrev_i32_e32 v16, 31, v15
	v_add_co_u32_e32 v15, vcc, v2, v15
	v_addc_co_u32_e32 v16, vcc, v23, v16, vcc
; %bb.82:
	s_andn2_saveexec_b64 s[0:1], s[0:1]
; %bb.83:
	v_add_co_u32_e32 v15, vcc, v17, v31
	v_addc_co_u32_e32 v16, vcc, 0, v18, vcc
; %bb.84:
	s_or_b64 exec, exec, s[0:1]
	v_lshlrev_b64 v[15:16], 2, v[15:16]
	v_mov_b32_e32 v32, s27
	v_add_co_u32_e32 v15, vcc, s26, v15
	v_addc_co_u32_e32 v16, vcc, v32, v16, vcc
	v_cmp_ge_u32_e32 vcc, v30, v1
	s_waitcnt lgkmcnt(5)
	global_store_dword v[15:16], v11, off
                                        ; implicit-def: $vgpr15_vgpr16
	s_and_saveexec_b64 s[0:1], vcc
	s_xor_b64 s[0:1], exec, s[0:1]
; %bb.85:
	v_xor_b32_e32 v15, 0xfffffcff, v0
	v_ashrrev_i32_e32 v16, 31, v15
	v_add_co_u32_e32 v15, vcc, v2, v15
	v_addc_co_u32_e32 v16, vcc, v23, v16, vcc
; %bb.86:
	s_andn2_saveexec_b64 s[0:1], s[0:1]
; %bb.87:
	v_add_co_u32_e32 v15, vcc, v17, v30
	v_addc_co_u32_e32 v16, vcc, 0, v18, vcc
; %bb.88:
	s_or_b64 exec, exec, s[0:1]
	v_lshlrev_b64 v[15:16], 2, v[15:16]
	v_mov_b32_e32 v32, s27
	v_add_co_u32_e32 v15, vcc, s26, v15
	v_addc_co_u32_e32 v16, vcc, v32, v16, vcc
	v_cmp_ge_u32_e32 vcc, v29, v1
	global_store_dword v[15:16], v12, off
                                        ; implicit-def: $vgpr15_vgpr16
	s_and_saveexec_b64 s[0:1], vcc
	s_xor_b64 s[0:1], exec, s[0:1]
; %bb.89:
	v_xor_b32_e32 v15, 0xfffffbff, v0
	;; [unrolled: 43-line block ×6, first 2 shown]
	v_ashrrev_i32_e32 v16, 31, v15
	v_add_co_u32_e32 v15, vcc, v2, v15
	v_addc_co_u32_e32 v16, vcc, v23, v16, vcc
; %bb.122:
	s_andn2_saveexec_b64 s[0:1], s[0:1]
; %bb.123:
	v_add_co_u32_e32 v15, vcc, v17, v20
	v_addc_co_u32_e32 v16, vcc, 0, v18, vcc
; %bb.124:
	s_or_b64 exec, exec, s[0:1]
	s_mov_b64 s[0:1], -1
	s_branch .LBB1504_205
.LBB1504_125:
	s_mov_b64 s[0:1], 0
                                        ; implicit-def: $vgpr15_vgpr16
	s_cbranch_execz .LBB1504_205
; %bb.126:
	s_add_u32 s2, s30, s44
	s_addc_u32 s3, s31, 0
	s_sub_u32 s2, s28, s2
	s_subb_u32 s3, s29, s3
	v_mov_b32_e32 v2, s3
	v_add_co_u32_e32 v15, vcc, s2, v1
	v_addc_co_u32_e32 v2, vcc, 0, v2, vcc
	v_add_co_u32_e32 v23, vcc, v15, v17
	v_addc_co_u32_e32 v32, vcc, v2, v18, vcc
	v_cmp_gt_u32_e32 vcc, s33, v0
	s_and_saveexec_b64 s[2:3], vcc
	s_cbranch_execz .LBB1504_162
; %bb.127:
	v_cmp_ge_u32_e32 vcc, v0, v1
                                        ; implicit-def: $vgpr15_vgpr16
	s_and_saveexec_b64 s[4:5], vcc
	s_xor_b64 s[4:5], exec, s[4:5]
; %bb.128:
	v_not_b32_e32 v2, v0
	v_ashrrev_i32_e32 v16, 31, v2
	v_add_co_u32_e32 v15, vcc, v23, v2
	v_addc_co_u32_e32 v16, vcc, v32, v16, vcc
; %bb.129:
	s_andn2_saveexec_b64 s[4:5], s[4:5]
; %bb.130:
	v_add_co_u32_e32 v15, vcc, v17, v0
	v_addc_co_u32_e32 v16, vcc, 0, v18, vcc
; %bb.131:
	s_or_b64 exec, exec, s[4:5]
	v_lshlrev_b64 v[15:16], 2, v[15:16]
	v_mov_b32_e32 v2, s27
	v_add_co_u32_e32 v15, vcc, s26, v15
	v_addc_co_u32_e32 v16, vcc, v2, v16, vcc
	s_waitcnt lgkmcnt(6)
	global_store_dword v[15:16], v13, off
	s_or_b64 exec, exec, s[2:3]
	v_cmp_gt_u32_e32 vcc, s33, v33
	s_and_saveexec_b64 s[2:3], vcc
	s_cbranch_execnz .LBB1504_163
.LBB1504_132:
	s_or_b64 exec, exec, s[2:3]
	v_cmp_gt_u32_e32 vcc, s33, v31
	s_and_saveexec_b64 s[2:3], vcc
	s_cbranch_execz .LBB1504_168
.LBB1504_133:
	v_cmp_ge_u32_e32 vcc, v31, v1
                                        ; implicit-def: $vgpr13_vgpr14
	s_and_saveexec_b64 s[4:5], vcc
	s_xor_b64 s[4:5], exec, s[4:5]
	s_cbranch_execz .LBB1504_135
; %bb.134:
	v_xor_b32_e32 v2, 0xfffffdff, v0
	s_waitcnt lgkmcnt(6)
	v_ashrrev_i32_e32 v14, 31, v2
	v_add_co_u32_e32 v13, vcc, v23, v2
	v_addc_co_u32_e32 v14, vcc, v32, v14, vcc
                                        ; implicit-def: $vgpr31
.LBB1504_135:
	s_andn2_saveexec_b64 s[4:5], s[4:5]
	s_cbranch_execz .LBB1504_137
; %bb.136:
	s_waitcnt lgkmcnt(6)
	v_add_co_u32_e32 v13, vcc, v17, v31
	v_addc_co_u32_e32 v14, vcc, 0, v18, vcc
.LBB1504_137:
	s_or_b64 exec, exec, s[4:5]
	s_waitcnt lgkmcnt(6)
	v_lshlrev_b64 v[13:14], 2, v[13:14]
	v_mov_b32_e32 v2, s27
	v_add_co_u32_e32 v13, vcc, s26, v13
	v_addc_co_u32_e32 v14, vcc, v2, v14, vcc
	s_waitcnt lgkmcnt(5)
	global_store_dword v[13:14], v11, off
	s_or_b64 exec, exec, s[2:3]
	v_cmp_gt_u32_e32 vcc, s33, v30
	s_and_saveexec_b64 s[2:3], vcc
	s_cbranch_execnz .LBB1504_169
.LBB1504_138:
	s_or_b64 exec, exec, s[2:3]
	v_cmp_gt_u32_e32 vcc, s33, v29
	s_and_saveexec_b64 s[2:3], vcc
	s_cbranch_execz .LBB1504_174
.LBB1504_139:
	v_cmp_ge_u32_e32 vcc, v29, v1
                                        ; implicit-def: $vgpr11_vgpr12
	s_and_saveexec_b64 s[4:5], vcc
	s_xor_b64 s[4:5], exec, s[4:5]
	s_cbranch_execz .LBB1504_141
; %bb.140:
	v_xor_b32_e32 v2, 0xfffffbff, v0
	s_waitcnt lgkmcnt(5)
	v_ashrrev_i32_e32 v12, 31, v2
	v_add_co_u32_e32 v11, vcc, v23, v2
	v_addc_co_u32_e32 v12, vcc, v32, v12, vcc
                                        ; implicit-def: $vgpr29
.LBB1504_141:
	s_andn2_saveexec_b64 s[4:5], s[4:5]
	s_cbranch_execz .LBB1504_143
; %bb.142:
	s_waitcnt lgkmcnt(5)
	v_add_co_u32_e32 v11, vcc, v17, v29
	v_addc_co_u32_e32 v12, vcc, 0, v18, vcc
.LBB1504_143:
	s_or_b64 exec, exec, s[4:5]
	s_waitcnt lgkmcnt(5)
	v_lshlrev_b64 v[11:12], 2, v[11:12]
	v_mov_b32_e32 v2, s27
	v_add_co_u32_e32 v11, vcc, s26, v11
	v_addc_co_u32_e32 v12, vcc, v2, v12, vcc
	s_waitcnt lgkmcnt(4)
	global_store_dword v[11:12], v9, off
	s_or_b64 exec, exec, s[2:3]
	v_cmp_gt_u32_e32 vcc, s33, v28
	s_and_saveexec_b64 s[2:3], vcc
	s_cbranch_execnz .LBB1504_175
.LBB1504_144:
	s_or_b64 exec, exec, s[2:3]
	v_cmp_gt_u32_e32 vcc, s33, v27
	s_and_saveexec_b64 s[2:3], vcc
	s_cbranch_execz .LBB1504_180
.LBB1504_145:
	v_cmp_ge_u32_e32 vcc, v27, v1
                                        ; implicit-def: $vgpr9_vgpr10
	s_and_saveexec_b64 s[4:5], vcc
	s_xor_b64 s[4:5], exec, s[4:5]
	s_cbranch_execz .LBB1504_147
; %bb.146:
	v_xor_b32_e32 v2, 0xfffff9ff, v0
	s_waitcnt lgkmcnt(4)
	v_ashrrev_i32_e32 v10, 31, v2
	v_add_co_u32_e32 v9, vcc, v23, v2
	v_addc_co_u32_e32 v10, vcc, v32, v10, vcc
                                        ; implicit-def: $vgpr27
.LBB1504_147:
	s_andn2_saveexec_b64 s[4:5], s[4:5]
	s_cbranch_execz .LBB1504_149
; %bb.148:
	s_waitcnt lgkmcnt(4)
	v_add_co_u32_e32 v9, vcc, v17, v27
	v_addc_co_u32_e32 v10, vcc, 0, v18, vcc
.LBB1504_149:
	s_or_b64 exec, exec, s[4:5]
	s_waitcnt lgkmcnt(4)
	v_lshlrev_b64 v[9:10], 2, v[9:10]
	v_mov_b32_e32 v2, s27
	v_add_co_u32_e32 v9, vcc, s26, v9
	v_addc_co_u32_e32 v10, vcc, v2, v10, vcc
	s_waitcnt lgkmcnt(3)
	global_store_dword v[9:10], v7, off
	s_or_b64 exec, exec, s[2:3]
	v_cmp_gt_u32_e32 vcc, s33, v26
	s_and_saveexec_b64 s[2:3], vcc
	s_cbranch_execnz .LBB1504_181
.LBB1504_150:
	s_or_b64 exec, exec, s[2:3]
	v_cmp_gt_u32_e32 vcc, s33, v25
	s_and_saveexec_b64 s[2:3], vcc
	s_cbranch_execz .LBB1504_186
.LBB1504_151:
	v_cmp_ge_u32_e32 vcc, v25, v1
                                        ; implicit-def: $vgpr7_vgpr8
	s_and_saveexec_b64 s[4:5], vcc
	s_xor_b64 s[4:5], exec, s[4:5]
	s_cbranch_execz .LBB1504_153
; %bb.152:
	v_xor_b32_e32 v2, 0xfffff7ff, v0
	s_waitcnt lgkmcnt(3)
	v_ashrrev_i32_e32 v8, 31, v2
	v_add_co_u32_e32 v7, vcc, v23, v2
	v_addc_co_u32_e32 v8, vcc, v32, v8, vcc
                                        ; implicit-def: $vgpr25
.LBB1504_153:
	s_andn2_saveexec_b64 s[4:5], s[4:5]
	s_cbranch_execz .LBB1504_155
; %bb.154:
	s_waitcnt lgkmcnt(3)
	v_add_co_u32_e32 v7, vcc, v17, v25
	v_addc_co_u32_e32 v8, vcc, 0, v18, vcc
.LBB1504_155:
	s_or_b64 exec, exec, s[4:5]
	s_waitcnt lgkmcnt(3)
	v_lshlrev_b64 v[7:8], 2, v[7:8]
	v_mov_b32_e32 v2, s27
	v_add_co_u32_e32 v7, vcc, s26, v7
	v_addc_co_u32_e32 v8, vcc, v2, v8, vcc
	s_waitcnt lgkmcnt(2)
	global_store_dword v[7:8], v5, off
	s_or_b64 exec, exec, s[2:3]
	v_cmp_gt_u32_e32 vcc, s33, v24
	s_and_saveexec_b64 s[2:3], vcc
	s_cbranch_execnz .LBB1504_187
.LBB1504_156:
	s_or_b64 exec, exec, s[2:3]
	v_cmp_gt_u32_e32 vcc, s33, v22
	s_and_saveexec_b64 s[2:3], vcc
	s_cbranch_execz .LBB1504_192
.LBB1504_157:
	v_cmp_ge_u32_e32 vcc, v22, v1
                                        ; implicit-def: $vgpr5_vgpr6
	s_and_saveexec_b64 s[4:5], vcc
	s_xor_b64 s[4:5], exec, s[4:5]
	s_cbranch_execz .LBB1504_159
; %bb.158:
	v_xor_b32_e32 v2, 0xfffff5ff, v0
	s_waitcnt lgkmcnt(2)
	v_ashrrev_i32_e32 v6, 31, v2
	v_add_co_u32_e32 v5, vcc, v23, v2
	v_addc_co_u32_e32 v6, vcc, v32, v6, vcc
                                        ; implicit-def: $vgpr22
.LBB1504_159:
	s_andn2_saveexec_b64 s[4:5], s[4:5]
	s_cbranch_execz .LBB1504_161
; %bb.160:
	s_waitcnt lgkmcnt(2)
	v_add_co_u32_e32 v5, vcc, v17, v22
	v_addc_co_u32_e32 v6, vcc, 0, v18, vcc
.LBB1504_161:
	s_or_b64 exec, exec, s[4:5]
	s_waitcnt lgkmcnt(2)
	v_lshlrev_b64 v[5:6], 2, v[5:6]
	v_mov_b32_e32 v2, s27
	v_add_co_u32_e32 v5, vcc, s26, v5
	v_addc_co_u32_e32 v6, vcc, v2, v6, vcc
	s_waitcnt lgkmcnt(1)
	global_store_dword v[5:6], v3, off
	s_or_b64 exec, exec, s[2:3]
	v_cmp_gt_u32_e32 vcc, s33, v21
	s_and_saveexec_b64 s[2:3], vcc
	s_cbranch_execz .LBB1504_198
	s_branch .LBB1504_193
.LBB1504_162:
	s_or_b64 exec, exec, s[2:3]
	v_cmp_gt_u32_e32 vcc, s33, v33
	s_and_saveexec_b64 s[2:3], vcc
	s_cbranch_execz .LBB1504_132
.LBB1504_163:
	v_cmp_ge_u32_e32 vcc, v33, v1
                                        ; implicit-def: $vgpr15_vgpr16
	s_and_saveexec_b64 s[4:5], vcc
	s_xor_b64 s[4:5], exec, s[4:5]
	s_cbranch_execz .LBB1504_165
; %bb.164:
	v_xor_b32_e32 v2, 0xfffffeff, v0
	s_waitcnt lgkmcnt(6)
	v_ashrrev_i32_e32 v13, 31, v2
	v_add_co_u32_e32 v15, vcc, v23, v2
	v_addc_co_u32_e32 v16, vcc, v32, v13, vcc
                                        ; implicit-def: $vgpr33
.LBB1504_165:
	s_andn2_saveexec_b64 s[4:5], s[4:5]
; %bb.166:
	v_add_co_u32_e32 v15, vcc, v17, v33
	v_addc_co_u32_e32 v16, vcc, 0, v18, vcc
; %bb.167:
	s_or_b64 exec, exec, s[4:5]
	v_lshlrev_b64 v[15:16], 2, v[15:16]
	v_mov_b32_e32 v2, s27
	v_add_co_u32_e32 v15, vcc, s26, v15
	v_addc_co_u32_e32 v16, vcc, v2, v16, vcc
	s_waitcnt lgkmcnt(6)
	global_store_dword v[15:16], v14, off
	s_or_b64 exec, exec, s[2:3]
	v_cmp_gt_u32_e32 vcc, s33, v31
	s_and_saveexec_b64 s[2:3], vcc
	s_cbranch_execnz .LBB1504_133
.LBB1504_168:
	s_or_b64 exec, exec, s[2:3]
	v_cmp_gt_u32_e32 vcc, s33, v30
	s_and_saveexec_b64 s[2:3], vcc
	s_cbranch_execz .LBB1504_138
.LBB1504_169:
	v_cmp_ge_u32_e32 vcc, v30, v1
                                        ; implicit-def: $vgpr13_vgpr14
	s_and_saveexec_b64 s[4:5], vcc
	s_xor_b64 s[4:5], exec, s[4:5]
	s_cbranch_execz .LBB1504_171
; %bb.170:
	v_xor_b32_e32 v2, 0xfffffcff, v0
	s_waitcnt lgkmcnt(5)
	v_ashrrev_i32_e32 v11, 31, v2
	v_add_co_u32_e32 v13, vcc, v23, v2
	v_addc_co_u32_e32 v14, vcc, v32, v11, vcc
                                        ; implicit-def: $vgpr30
.LBB1504_171:
	s_andn2_saveexec_b64 s[4:5], s[4:5]
	s_cbranch_execz .LBB1504_173
; %bb.172:
	s_waitcnt lgkmcnt(6)
	v_add_co_u32_e32 v13, vcc, v17, v30
	v_addc_co_u32_e32 v14, vcc, 0, v18, vcc
.LBB1504_173:
	s_or_b64 exec, exec, s[4:5]
	s_waitcnt lgkmcnt(6)
	v_lshlrev_b64 v[13:14], 2, v[13:14]
	v_mov_b32_e32 v2, s27
	v_add_co_u32_e32 v13, vcc, s26, v13
	v_addc_co_u32_e32 v14, vcc, v2, v14, vcc
	s_waitcnt lgkmcnt(5)
	global_store_dword v[13:14], v12, off
	s_or_b64 exec, exec, s[2:3]
	v_cmp_gt_u32_e32 vcc, s33, v29
	s_and_saveexec_b64 s[2:3], vcc
	s_cbranch_execnz .LBB1504_139
.LBB1504_174:
	s_or_b64 exec, exec, s[2:3]
	v_cmp_gt_u32_e32 vcc, s33, v28
	s_and_saveexec_b64 s[2:3], vcc
	s_cbranch_execz .LBB1504_144
.LBB1504_175:
	v_cmp_ge_u32_e32 vcc, v28, v1
                                        ; implicit-def: $vgpr11_vgpr12
	s_and_saveexec_b64 s[4:5], vcc
	s_xor_b64 s[4:5], exec, s[4:5]
	s_cbranch_execz .LBB1504_177
; %bb.176:
	v_xor_b32_e32 v2, 0xfffffaff, v0
	s_waitcnt lgkmcnt(4)
	v_ashrrev_i32_e32 v9, 31, v2
	v_add_co_u32_e32 v11, vcc, v23, v2
	v_addc_co_u32_e32 v12, vcc, v32, v9, vcc
                                        ; implicit-def: $vgpr28
.LBB1504_177:
	s_andn2_saveexec_b64 s[4:5], s[4:5]
	s_cbranch_execz .LBB1504_179
; %bb.178:
	s_waitcnt lgkmcnt(5)
	v_add_co_u32_e32 v11, vcc, v17, v28
	v_addc_co_u32_e32 v12, vcc, 0, v18, vcc
.LBB1504_179:
	s_or_b64 exec, exec, s[4:5]
	s_waitcnt lgkmcnt(5)
	v_lshlrev_b64 v[11:12], 2, v[11:12]
	v_mov_b32_e32 v2, s27
	v_add_co_u32_e32 v11, vcc, s26, v11
	v_addc_co_u32_e32 v12, vcc, v2, v12, vcc
	s_waitcnt lgkmcnt(4)
	global_store_dword v[11:12], v10, off
	s_or_b64 exec, exec, s[2:3]
	v_cmp_gt_u32_e32 vcc, s33, v27
	s_and_saveexec_b64 s[2:3], vcc
	s_cbranch_execnz .LBB1504_145
.LBB1504_180:
	s_or_b64 exec, exec, s[2:3]
	v_cmp_gt_u32_e32 vcc, s33, v26
	s_and_saveexec_b64 s[2:3], vcc
	s_cbranch_execz .LBB1504_150
.LBB1504_181:
	v_cmp_ge_u32_e32 vcc, v26, v1
                                        ; implicit-def: $vgpr9_vgpr10
	s_and_saveexec_b64 s[4:5], vcc
	s_xor_b64 s[4:5], exec, s[4:5]
	s_cbranch_execz .LBB1504_183
; %bb.182:
	v_xor_b32_e32 v2, 0xfffff8ff, v0
	s_waitcnt lgkmcnt(3)
	v_ashrrev_i32_e32 v7, 31, v2
	v_add_co_u32_e32 v9, vcc, v23, v2
	v_addc_co_u32_e32 v10, vcc, v32, v7, vcc
                                        ; implicit-def: $vgpr26
.LBB1504_183:
	s_andn2_saveexec_b64 s[4:5], s[4:5]
	s_cbranch_execz .LBB1504_185
; %bb.184:
	s_waitcnt lgkmcnt(4)
	v_add_co_u32_e32 v9, vcc, v17, v26
	v_addc_co_u32_e32 v10, vcc, 0, v18, vcc
.LBB1504_185:
	s_or_b64 exec, exec, s[4:5]
	s_waitcnt lgkmcnt(4)
	v_lshlrev_b64 v[9:10], 2, v[9:10]
	v_mov_b32_e32 v2, s27
	v_add_co_u32_e32 v9, vcc, s26, v9
	v_addc_co_u32_e32 v10, vcc, v2, v10, vcc
	s_waitcnt lgkmcnt(3)
	global_store_dword v[9:10], v8, off
	s_or_b64 exec, exec, s[2:3]
	v_cmp_gt_u32_e32 vcc, s33, v25
	s_and_saveexec_b64 s[2:3], vcc
	s_cbranch_execnz .LBB1504_151
.LBB1504_186:
	s_or_b64 exec, exec, s[2:3]
	v_cmp_gt_u32_e32 vcc, s33, v24
	s_and_saveexec_b64 s[2:3], vcc
	s_cbranch_execz .LBB1504_156
.LBB1504_187:
	v_cmp_ge_u32_e32 vcc, v24, v1
                                        ; implicit-def: $vgpr7_vgpr8
	s_and_saveexec_b64 s[4:5], vcc
	s_xor_b64 s[4:5], exec, s[4:5]
	s_cbranch_execz .LBB1504_189
; %bb.188:
	v_xor_b32_e32 v2, 0xfffff6ff, v0
	s_waitcnt lgkmcnt(2)
	v_ashrrev_i32_e32 v5, 31, v2
	v_add_co_u32_e32 v7, vcc, v23, v2
	v_addc_co_u32_e32 v8, vcc, v32, v5, vcc
                                        ; implicit-def: $vgpr24
.LBB1504_189:
	s_andn2_saveexec_b64 s[4:5], s[4:5]
	s_cbranch_execz .LBB1504_191
; %bb.190:
	s_waitcnt lgkmcnt(3)
	v_add_co_u32_e32 v7, vcc, v17, v24
	v_addc_co_u32_e32 v8, vcc, 0, v18, vcc
.LBB1504_191:
	s_or_b64 exec, exec, s[4:5]
	s_waitcnt lgkmcnt(3)
	v_lshlrev_b64 v[7:8], 2, v[7:8]
	v_mov_b32_e32 v2, s27
	v_add_co_u32_e32 v7, vcc, s26, v7
	v_addc_co_u32_e32 v8, vcc, v2, v8, vcc
	s_waitcnt lgkmcnt(2)
	global_store_dword v[7:8], v6, off
	s_or_b64 exec, exec, s[2:3]
	v_cmp_gt_u32_e32 vcc, s33, v22
	s_and_saveexec_b64 s[2:3], vcc
	s_cbranch_execnz .LBB1504_157
.LBB1504_192:
	s_or_b64 exec, exec, s[2:3]
	v_cmp_gt_u32_e32 vcc, s33, v21
	s_and_saveexec_b64 s[2:3], vcc
	s_cbranch_execz .LBB1504_198
.LBB1504_193:
	v_cmp_ge_u32_e32 vcc, v21, v1
                                        ; implicit-def: $vgpr2_vgpr3
	s_and_saveexec_b64 s[4:5], vcc
	s_xor_b64 s[4:5], exec, s[4:5]
	s_cbranch_execz .LBB1504_195
; %bb.194:
	v_xor_b32_e32 v2, 0xfffff4ff, v0
	s_waitcnt lgkmcnt(1)
	v_ashrrev_i32_e32 v3, 31, v2
	v_add_co_u32_e32 v2, vcc, v23, v2
	v_addc_co_u32_e32 v3, vcc, v32, v3, vcc
                                        ; implicit-def: $vgpr21
.LBB1504_195:
	s_andn2_saveexec_b64 s[4:5], s[4:5]
	s_cbranch_execz .LBB1504_197
; %bb.196:
	v_add_co_u32_e32 v2, vcc, v17, v21
	s_waitcnt lgkmcnt(1)
	v_addc_co_u32_e32 v3, vcc, 0, v18, vcc
.LBB1504_197:
	s_or_b64 exec, exec, s[4:5]
	s_waitcnt lgkmcnt(1)
	v_lshlrev_b64 v[2:3], 2, v[2:3]
	v_mov_b32_e32 v5, s27
	v_add_co_u32_e32 v2, vcc, s26, v2
	v_addc_co_u32_e32 v3, vcc, v5, v3, vcc
	global_store_dword v[2:3], v4, off
.LBB1504_198:
	s_or_b64 exec, exec, s[2:3]
	v_cmp_gt_u32_e32 vcc, s33, v20
                                        ; implicit-def: $vgpr15_vgpr16
	s_and_saveexec_b64 s[2:3], vcc
	s_cbranch_execz .LBB1504_204
; %bb.199:
	v_cmp_ge_u32_e32 vcc, v20, v1
                                        ; implicit-def: $vgpr15_vgpr16
	s_and_saveexec_b64 s[4:5], vcc
	s_xor_b64 s[4:5], exec, s[4:5]
	s_cbranch_execz .LBB1504_201
; %bb.200:
	v_xor_b32_e32 v2, 0xfffff3ff, v0
	s_waitcnt lgkmcnt(1)
	v_ashrrev_i32_e32 v3, 31, v2
	v_add_co_u32_e32 v15, vcc, v23, v2
	v_addc_co_u32_e32 v16, vcc, v32, v3, vcc
                                        ; implicit-def: $vgpr20
.LBB1504_201:
	s_andn2_saveexec_b64 s[4:5], s[4:5]
; %bb.202:
	v_add_co_u32_e32 v15, vcc, v17, v20
	v_addc_co_u32_e32 v16, vcc, 0, v18, vcc
; %bb.203:
	s_or_b64 exec, exec, s[4:5]
	s_or_b64 s[0:1], s[0:1], exec
.LBB1504_204:
	s_or_b64 exec, exec, s[2:3]
.LBB1504_205:
	s_and_saveexec_b64 s[2:3], s[0:1]
	s_cbranch_execz .LBB1504_207
; %bb.206:
	s_waitcnt lgkmcnt(1)
	v_lshlrev_b64 v[2:3], 2, v[15:16]
	v_mov_b32_e32 v4, s27
	v_add_co_u32_e32 v2, vcc, s26, v2
	v_addc_co_u32_e32 v3, vcc, v4, v3, vcc
	s_waitcnt lgkmcnt(0)
	global_store_dword v[2:3], v19, off
.LBB1504_207:
	s_or_b64 exec, exec, s[2:3]
	v_cmp_eq_u32_e32 vcc, 0, v0
	s_and_b64 s[0:1], vcc, s[22:23]
	s_and_saveexec_b64 s[2:3], s[0:1]
	s_cbranch_execz .LBB1504_209
; %bb.208:
	v_add_co_u32_e32 v0, vcc, v17, v1
	v_mov_b32_e32 v2, 0
	v_addc_co_u32_e32 v1, vcc, 0, v18, vcc
	global_store_dwordx2 v2, v[0:1], s[24:25]
.LBB1504_209:
	s_endpgm
	.section	.rodata,"a",@progbits
	.p2align	6, 0x0
	.amdhsa_kernel _ZN7rocprim17ROCPRIM_400000_NS6detail17trampoline_kernelINS0_13select_configILj256ELj13ELNS0_17block_load_methodE3ELS4_3ELS4_3ELNS0_20block_scan_algorithmE0ELj4294967295EEENS1_25partition_config_selectorILNS1_17partition_subalgoE3EjNS0_10empty_typeEbEEZZNS1_14partition_implILS8_3ELb0ES6_jNS0_17counting_iteratorIjlEEPS9_SE_NS0_5tupleIJPjSE_EEENSF_IJSE_SE_EEES9_SG_JZNS1_25segmented_radix_sort_implINS0_14default_configELb1EPKbPbPKlPlN2at6native12_GLOBAL__N_18offset_tEEE10hipError_tPvRmT1_PNSt15iterator_traitsISY_E10value_typeET2_T3_PNSZ_IS14_E10value_typeET4_jRbjT5_S1A_jjP12ihipStream_tbEUljE_EEESV_SW_SX_S14_S18_S1A_T6_T7_T9_mT8_S1C_bDpT10_ENKUlT_T0_E_clISt17integral_constantIbLb0EES1P_EEDaS1K_S1L_EUlS1K_E_NS1_11comp_targetILNS1_3genE2ELNS1_11target_archE906ELNS1_3gpuE6ELNS1_3repE0EEENS1_30default_config_static_selectorELNS0_4arch9wavefront6targetE1EEEvSY_
		.amdhsa_group_segment_fixed_size 13320
		.amdhsa_private_segment_fixed_size 0
		.amdhsa_kernarg_size 144
		.amdhsa_user_sgpr_count 6
		.amdhsa_user_sgpr_private_segment_buffer 1
		.amdhsa_user_sgpr_dispatch_ptr 0
		.amdhsa_user_sgpr_queue_ptr 0
		.amdhsa_user_sgpr_kernarg_segment_ptr 1
		.amdhsa_user_sgpr_dispatch_id 0
		.amdhsa_user_sgpr_flat_scratch_init 0
		.amdhsa_user_sgpr_private_segment_size 0
		.amdhsa_uses_dynamic_stack 0
		.amdhsa_system_sgpr_private_segment_wavefront_offset 0
		.amdhsa_system_sgpr_workgroup_id_x 1
		.amdhsa_system_sgpr_workgroup_id_y 0
		.amdhsa_system_sgpr_workgroup_id_z 0
		.amdhsa_system_sgpr_workgroup_info 0
		.amdhsa_system_vgpr_workitem_id 0
		.amdhsa_next_free_vgpr 69
		.amdhsa_next_free_sgpr 98
		.amdhsa_reserve_vcc 1
		.amdhsa_reserve_flat_scratch 0
		.amdhsa_float_round_mode_32 0
		.amdhsa_float_round_mode_16_64 0
		.amdhsa_float_denorm_mode_32 3
		.amdhsa_float_denorm_mode_16_64 3
		.amdhsa_dx10_clamp 1
		.amdhsa_ieee_mode 1
		.amdhsa_fp16_overflow 0
		.amdhsa_exception_fp_ieee_invalid_op 0
		.amdhsa_exception_fp_denorm_src 0
		.amdhsa_exception_fp_ieee_div_zero 0
		.amdhsa_exception_fp_ieee_overflow 0
		.amdhsa_exception_fp_ieee_underflow 0
		.amdhsa_exception_fp_ieee_inexact 0
		.amdhsa_exception_int_div_zero 0
	.end_amdhsa_kernel
	.section	.text._ZN7rocprim17ROCPRIM_400000_NS6detail17trampoline_kernelINS0_13select_configILj256ELj13ELNS0_17block_load_methodE3ELS4_3ELS4_3ELNS0_20block_scan_algorithmE0ELj4294967295EEENS1_25partition_config_selectorILNS1_17partition_subalgoE3EjNS0_10empty_typeEbEEZZNS1_14partition_implILS8_3ELb0ES6_jNS0_17counting_iteratorIjlEEPS9_SE_NS0_5tupleIJPjSE_EEENSF_IJSE_SE_EEES9_SG_JZNS1_25segmented_radix_sort_implINS0_14default_configELb1EPKbPbPKlPlN2at6native12_GLOBAL__N_18offset_tEEE10hipError_tPvRmT1_PNSt15iterator_traitsISY_E10value_typeET2_T3_PNSZ_IS14_E10value_typeET4_jRbjT5_S1A_jjP12ihipStream_tbEUljE_EEESV_SW_SX_S14_S18_S1A_T6_T7_T9_mT8_S1C_bDpT10_ENKUlT_T0_E_clISt17integral_constantIbLb0EES1P_EEDaS1K_S1L_EUlS1K_E_NS1_11comp_targetILNS1_3genE2ELNS1_11target_archE906ELNS1_3gpuE6ELNS1_3repE0EEENS1_30default_config_static_selectorELNS0_4arch9wavefront6targetE1EEEvSY_,"axG",@progbits,_ZN7rocprim17ROCPRIM_400000_NS6detail17trampoline_kernelINS0_13select_configILj256ELj13ELNS0_17block_load_methodE3ELS4_3ELS4_3ELNS0_20block_scan_algorithmE0ELj4294967295EEENS1_25partition_config_selectorILNS1_17partition_subalgoE3EjNS0_10empty_typeEbEEZZNS1_14partition_implILS8_3ELb0ES6_jNS0_17counting_iteratorIjlEEPS9_SE_NS0_5tupleIJPjSE_EEENSF_IJSE_SE_EEES9_SG_JZNS1_25segmented_radix_sort_implINS0_14default_configELb1EPKbPbPKlPlN2at6native12_GLOBAL__N_18offset_tEEE10hipError_tPvRmT1_PNSt15iterator_traitsISY_E10value_typeET2_T3_PNSZ_IS14_E10value_typeET4_jRbjT5_S1A_jjP12ihipStream_tbEUljE_EEESV_SW_SX_S14_S18_S1A_T6_T7_T9_mT8_S1C_bDpT10_ENKUlT_T0_E_clISt17integral_constantIbLb0EES1P_EEDaS1K_S1L_EUlS1K_E_NS1_11comp_targetILNS1_3genE2ELNS1_11target_archE906ELNS1_3gpuE6ELNS1_3repE0EEENS1_30default_config_static_selectorELNS0_4arch9wavefront6targetE1EEEvSY_,comdat
.Lfunc_end1504:
	.size	_ZN7rocprim17ROCPRIM_400000_NS6detail17trampoline_kernelINS0_13select_configILj256ELj13ELNS0_17block_load_methodE3ELS4_3ELS4_3ELNS0_20block_scan_algorithmE0ELj4294967295EEENS1_25partition_config_selectorILNS1_17partition_subalgoE3EjNS0_10empty_typeEbEEZZNS1_14partition_implILS8_3ELb0ES6_jNS0_17counting_iteratorIjlEEPS9_SE_NS0_5tupleIJPjSE_EEENSF_IJSE_SE_EEES9_SG_JZNS1_25segmented_radix_sort_implINS0_14default_configELb1EPKbPbPKlPlN2at6native12_GLOBAL__N_18offset_tEEE10hipError_tPvRmT1_PNSt15iterator_traitsISY_E10value_typeET2_T3_PNSZ_IS14_E10value_typeET4_jRbjT5_S1A_jjP12ihipStream_tbEUljE_EEESV_SW_SX_S14_S18_S1A_T6_T7_T9_mT8_S1C_bDpT10_ENKUlT_T0_E_clISt17integral_constantIbLb0EES1P_EEDaS1K_S1L_EUlS1K_E_NS1_11comp_targetILNS1_3genE2ELNS1_11target_archE906ELNS1_3gpuE6ELNS1_3repE0EEENS1_30default_config_static_selectorELNS0_4arch9wavefront6targetE1EEEvSY_, .Lfunc_end1504-_ZN7rocprim17ROCPRIM_400000_NS6detail17trampoline_kernelINS0_13select_configILj256ELj13ELNS0_17block_load_methodE3ELS4_3ELS4_3ELNS0_20block_scan_algorithmE0ELj4294967295EEENS1_25partition_config_selectorILNS1_17partition_subalgoE3EjNS0_10empty_typeEbEEZZNS1_14partition_implILS8_3ELb0ES6_jNS0_17counting_iteratorIjlEEPS9_SE_NS0_5tupleIJPjSE_EEENSF_IJSE_SE_EEES9_SG_JZNS1_25segmented_radix_sort_implINS0_14default_configELb1EPKbPbPKlPlN2at6native12_GLOBAL__N_18offset_tEEE10hipError_tPvRmT1_PNSt15iterator_traitsISY_E10value_typeET2_T3_PNSZ_IS14_E10value_typeET4_jRbjT5_S1A_jjP12ihipStream_tbEUljE_EEESV_SW_SX_S14_S18_S1A_T6_T7_T9_mT8_S1C_bDpT10_ENKUlT_T0_E_clISt17integral_constantIbLb0EES1P_EEDaS1K_S1L_EUlS1K_E_NS1_11comp_targetILNS1_3genE2ELNS1_11target_archE906ELNS1_3gpuE6ELNS1_3repE0EEENS1_30default_config_static_selectorELNS0_4arch9wavefront6targetE1EEEvSY_
                                        ; -- End function
	.set _ZN7rocprim17ROCPRIM_400000_NS6detail17trampoline_kernelINS0_13select_configILj256ELj13ELNS0_17block_load_methodE3ELS4_3ELS4_3ELNS0_20block_scan_algorithmE0ELj4294967295EEENS1_25partition_config_selectorILNS1_17partition_subalgoE3EjNS0_10empty_typeEbEEZZNS1_14partition_implILS8_3ELb0ES6_jNS0_17counting_iteratorIjlEEPS9_SE_NS0_5tupleIJPjSE_EEENSF_IJSE_SE_EEES9_SG_JZNS1_25segmented_radix_sort_implINS0_14default_configELb1EPKbPbPKlPlN2at6native12_GLOBAL__N_18offset_tEEE10hipError_tPvRmT1_PNSt15iterator_traitsISY_E10value_typeET2_T3_PNSZ_IS14_E10value_typeET4_jRbjT5_S1A_jjP12ihipStream_tbEUljE_EEESV_SW_SX_S14_S18_S1A_T6_T7_T9_mT8_S1C_bDpT10_ENKUlT_T0_E_clISt17integral_constantIbLb0EES1P_EEDaS1K_S1L_EUlS1K_E_NS1_11comp_targetILNS1_3genE2ELNS1_11target_archE906ELNS1_3gpuE6ELNS1_3repE0EEENS1_30default_config_static_selectorELNS0_4arch9wavefront6targetE1EEEvSY_.num_vgpr, 69
	.set _ZN7rocprim17ROCPRIM_400000_NS6detail17trampoline_kernelINS0_13select_configILj256ELj13ELNS0_17block_load_methodE3ELS4_3ELS4_3ELNS0_20block_scan_algorithmE0ELj4294967295EEENS1_25partition_config_selectorILNS1_17partition_subalgoE3EjNS0_10empty_typeEbEEZZNS1_14partition_implILS8_3ELb0ES6_jNS0_17counting_iteratorIjlEEPS9_SE_NS0_5tupleIJPjSE_EEENSF_IJSE_SE_EEES9_SG_JZNS1_25segmented_radix_sort_implINS0_14default_configELb1EPKbPbPKlPlN2at6native12_GLOBAL__N_18offset_tEEE10hipError_tPvRmT1_PNSt15iterator_traitsISY_E10value_typeET2_T3_PNSZ_IS14_E10value_typeET4_jRbjT5_S1A_jjP12ihipStream_tbEUljE_EEESV_SW_SX_S14_S18_S1A_T6_T7_T9_mT8_S1C_bDpT10_ENKUlT_T0_E_clISt17integral_constantIbLb0EES1P_EEDaS1K_S1L_EUlS1K_E_NS1_11comp_targetILNS1_3genE2ELNS1_11target_archE906ELNS1_3gpuE6ELNS1_3repE0EEENS1_30default_config_static_selectorELNS0_4arch9wavefront6targetE1EEEvSY_.num_agpr, 0
	.set _ZN7rocprim17ROCPRIM_400000_NS6detail17trampoline_kernelINS0_13select_configILj256ELj13ELNS0_17block_load_methodE3ELS4_3ELS4_3ELNS0_20block_scan_algorithmE0ELj4294967295EEENS1_25partition_config_selectorILNS1_17partition_subalgoE3EjNS0_10empty_typeEbEEZZNS1_14partition_implILS8_3ELb0ES6_jNS0_17counting_iteratorIjlEEPS9_SE_NS0_5tupleIJPjSE_EEENSF_IJSE_SE_EEES9_SG_JZNS1_25segmented_radix_sort_implINS0_14default_configELb1EPKbPbPKlPlN2at6native12_GLOBAL__N_18offset_tEEE10hipError_tPvRmT1_PNSt15iterator_traitsISY_E10value_typeET2_T3_PNSZ_IS14_E10value_typeET4_jRbjT5_S1A_jjP12ihipStream_tbEUljE_EEESV_SW_SX_S14_S18_S1A_T6_T7_T9_mT8_S1C_bDpT10_ENKUlT_T0_E_clISt17integral_constantIbLb0EES1P_EEDaS1K_S1L_EUlS1K_E_NS1_11comp_targetILNS1_3genE2ELNS1_11target_archE906ELNS1_3gpuE6ELNS1_3repE0EEENS1_30default_config_static_selectorELNS0_4arch9wavefront6targetE1EEEvSY_.numbered_sgpr, 48
	.set _ZN7rocprim17ROCPRIM_400000_NS6detail17trampoline_kernelINS0_13select_configILj256ELj13ELNS0_17block_load_methodE3ELS4_3ELS4_3ELNS0_20block_scan_algorithmE0ELj4294967295EEENS1_25partition_config_selectorILNS1_17partition_subalgoE3EjNS0_10empty_typeEbEEZZNS1_14partition_implILS8_3ELb0ES6_jNS0_17counting_iteratorIjlEEPS9_SE_NS0_5tupleIJPjSE_EEENSF_IJSE_SE_EEES9_SG_JZNS1_25segmented_radix_sort_implINS0_14default_configELb1EPKbPbPKlPlN2at6native12_GLOBAL__N_18offset_tEEE10hipError_tPvRmT1_PNSt15iterator_traitsISY_E10value_typeET2_T3_PNSZ_IS14_E10value_typeET4_jRbjT5_S1A_jjP12ihipStream_tbEUljE_EEESV_SW_SX_S14_S18_S1A_T6_T7_T9_mT8_S1C_bDpT10_ENKUlT_T0_E_clISt17integral_constantIbLb0EES1P_EEDaS1K_S1L_EUlS1K_E_NS1_11comp_targetILNS1_3genE2ELNS1_11target_archE906ELNS1_3gpuE6ELNS1_3repE0EEENS1_30default_config_static_selectorELNS0_4arch9wavefront6targetE1EEEvSY_.num_named_barrier, 0
	.set _ZN7rocprim17ROCPRIM_400000_NS6detail17trampoline_kernelINS0_13select_configILj256ELj13ELNS0_17block_load_methodE3ELS4_3ELS4_3ELNS0_20block_scan_algorithmE0ELj4294967295EEENS1_25partition_config_selectorILNS1_17partition_subalgoE3EjNS0_10empty_typeEbEEZZNS1_14partition_implILS8_3ELb0ES6_jNS0_17counting_iteratorIjlEEPS9_SE_NS0_5tupleIJPjSE_EEENSF_IJSE_SE_EEES9_SG_JZNS1_25segmented_radix_sort_implINS0_14default_configELb1EPKbPbPKlPlN2at6native12_GLOBAL__N_18offset_tEEE10hipError_tPvRmT1_PNSt15iterator_traitsISY_E10value_typeET2_T3_PNSZ_IS14_E10value_typeET4_jRbjT5_S1A_jjP12ihipStream_tbEUljE_EEESV_SW_SX_S14_S18_S1A_T6_T7_T9_mT8_S1C_bDpT10_ENKUlT_T0_E_clISt17integral_constantIbLb0EES1P_EEDaS1K_S1L_EUlS1K_E_NS1_11comp_targetILNS1_3genE2ELNS1_11target_archE906ELNS1_3gpuE6ELNS1_3repE0EEENS1_30default_config_static_selectorELNS0_4arch9wavefront6targetE1EEEvSY_.private_seg_size, 0
	.set _ZN7rocprim17ROCPRIM_400000_NS6detail17trampoline_kernelINS0_13select_configILj256ELj13ELNS0_17block_load_methodE3ELS4_3ELS4_3ELNS0_20block_scan_algorithmE0ELj4294967295EEENS1_25partition_config_selectorILNS1_17partition_subalgoE3EjNS0_10empty_typeEbEEZZNS1_14partition_implILS8_3ELb0ES6_jNS0_17counting_iteratorIjlEEPS9_SE_NS0_5tupleIJPjSE_EEENSF_IJSE_SE_EEES9_SG_JZNS1_25segmented_radix_sort_implINS0_14default_configELb1EPKbPbPKlPlN2at6native12_GLOBAL__N_18offset_tEEE10hipError_tPvRmT1_PNSt15iterator_traitsISY_E10value_typeET2_T3_PNSZ_IS14_E10value_typeET4_jRbjT5_S1A_jjP12ihipStream_tbEUljE_EEESV_SW_SX_S14_S18_S1A_T6_T7_T9_mT8_S1C_bDpT10_ENKUlT_T0_E_clISt17integral_constantIbLb0EES1P_EEDaS1K_S1L_EUlS1K_E_NS1_11comp_targetILNS1_3genE2ELNS1_11target_archE906ELNS1_3gpuE6ELNS1_3repE0EEENS1_30default_config_static_selectorELNS0_4arch9wavefront6targetE1EEEvSY_.uses_vcc, 1
	.set _ZN7rocprim17ROCPRIM_400000_NS6detail17trampoline_kernelINS0_13select_configILj256ELj13ELNS0_17block_load_methodE3ELS4_3ELS4_3ELNS0_20block_scan_algorithmE0ELj4294967295EEENS1_25partition_config_selectorILNS1_17partition_subalgoE3EjNS0_10empty_typeEbEEZZNS1_14partition_implILS8_3ELb0ES6_jNS0_17counting_iteratorIjlEEPS9_SE_NS0_5tupleIJPjSE_EEENSF_IJSE_SE_EEES9_SG_JZNS1_25segmented_radix_sort_implINS0_14default_configELb1EPKbPbPKlPlN2at6native12_GLOBAL__N_18offset_tEEE10hipError_tPvRmT1_PNSt15iterator_traitsISY_E10value_typeET2_T3_PNSZ_IS14_E10value_typeET4_jRbjT5_S1A_jjP12ihipStream_tbEUljE_EEESV_SW_SX_S14_S18_S1A_T6_T7_T9_mT8_S1C_bDpT10_ENKUlT_T0_E_clISt17integral_constantIbLb0EES1P_EEDaS1K_S1L_EUlS1K_E_NS1_11comp_targetILNS1_3genE2ELNS1_11target_archE906ELNS1_3gpuE6ELNS1_3repE0EEENS1_30default_config_static_selectorELNS0_4arch9wavefront6targetE1EEEvSY_.uses_flat_scratch, 0
	.set _ZN7rocprim17ROCPRIM_400000_NS6detail17trampoline_kernelINS0_13select_configILj256ELj13ELNS0_17block_load_methodE3ELS4_3ELS4_3ELNS0_20block_scan_algorithmE0ELj4294967295EEENS1_25partition_config_selectorILNS1_17partition_subalgoE3EjNS0_10empty_typeEbEEZZNS1_14partition_implILS8_3ELb0ES6_jNS0_17counting_iteratorIjlEEPS9_SE_NS0_5tupleIJPjSE_EEENSF_IJSE_SE_EEES9_SG_JZNS1_25segmented_radix_sort_implINS0_14default_configELb1EPKbPbPKlPlN2at6native12_GLOBAL__N_18offset_tEEE10hipError_tPvRmT1_PNSt15iterator_traitsISY_E10value_typeET2_T3_PNSZ_IS14_E10value_typeET4_jRbjT5_S1A_jjP12ihipStream_tbEUljE_EEESV_SW_SX_S14_S18_S1A_T6_T7_T9_mT8_S1C_bDpT10_ENKUlT_T0_E_clISt17integral_constantIbLb0EES1P_EEDaS1K_S1L_EUlS1K_E_NS1_11comp_targetILNS1_3genE2ELNS1_11target_archE906ELNS1_3gpuE6ELNS1_3repE0EEENS1_30default_config_static_selectorELNS0_4arch9wavefront6targetE1EEEvSY_.has_dyn_sized_stack, 0
	.set _ZN7rocprim17ROCPRIM_400000_NS6detail17trampoline_kernelINS0_13select_configILj256ELj13ELNS0_17block_load_methodE3ELS4_3ELS4_3ELNS0_20block_scan_algorithmE0ELj4294967295EEENS1_25partition_config_selectorILNS1_17partition_subalgoE3EjNS0_10empty_typeEbEEZZNS1_14partition_implILS8_3ELb0ES6_jNS0_17counting_iteratorIjlEEPS9_SE_NS0_5tupleIJPjSE_EEENSF_IJSE_SE_EEES9_SG_JZNS1_25segmented_radix_sort_implINS0_14default_configELb1EPKbPbPKlPlN2at6native12_GLOBAL__N_18offset_tEEE10hipError_tPvRmT1_PNSt15iterator_traitsISY_E10value_typeET2_T3_PNSZ_IS14_E10value_typeET4_jRbjT5_S1A_jjP12ihipStream_tbEUljE_EEESV_SW_SX_S14_S18_S1A_T6_T7_T9_mT8_S1C_bDpT10_ENKUlT_T0_E_clISt17integral_constantIbLb0EES1P_EEDaS1K_S1L_EUlS1K_E_NS1_11comp_targetILNS1_3genE2ELNS1_11target_archE906ELNS1_3gpuE6ELNS1_3repE0EEENS1_30default_config_static_selectorELNS0_4arch9wavefront6targetE1EEEvSY_.has_recursion, 0
	.set _ZN7rocprim17ROCPRIM_400000_NS6detail17trampoline_kernelINS0_13select_configILj256ELj13ELNS0_17block_load_methodE3ELS4_3ELS4_3ELNS0_20block_scan_algorithmE0ELj4294967295EEENS1_25partition_config_selectorILNS1_17partition_subalgoE3EjNS0_10empty_typeEbEEZZNS1_14partition_implILS8_3ELb0ES6_jNS0_17counting_iteratorIjlEEPS9_SE_NS0_5tupleIJPjSE_EEENSF_IJSE_SE_EEES9_SG_JZNS1_25segmented_radix_sort_implINS0_14default_configELb1EPKbPbPKlPlN2at6native12_GLOBAL__N_18offset_tEEE10hipError_tPvRmT1_PNSt15iterator_traitsISY_E10value_typeET2_T3_PNSZ_IS14_E10value_typeET4_jRbjT5_S1A_jjP12ihipStream_tbEUljE_EEESV_SW_SX_S14_S18_S1A_T6_T7_T9_mT8_S1C_bDpT10_ENKUlT_T0_E_clISt17integral_constantIbLb0EES1P_EEDaS1K_S1L_EUlS1K_E_NS1_11comp_targetILNS1_3genE2ELNS1_11target_archE906ELNS1_3gpuE6ELNS1_3repE0EEENS1_30default_config_static_selectorELNS0_4arch9wavefront6targetE1EEEvSY_.has_indirect_call, 0
	.section	.AMDGPU.csdata,"",@progbits
; Kernel info:
; codeLenInByte = 7612
; TotalNumSgprs: 52
; NumVgprs: 69
; ScratchSize: 0
; MemoryBound: 0
; FloatMode: 240
; IeeeMode: 1
; LDSByteSize: 13320 bytes/workgroup (compile time only)
; SGPRBlocks: 12
; VGPRBlocks: 17
; NumSGPRsForWavesPerEU: 102
; NumVGPRsForWavesPerEU: 69
; Occupancy: 3
; WaveLimiterHint : 0
; COMPUTE_PGM_RSRC2:SCRATCH_EN: 0
; COMPUTE_PGM_RSRC2:USER_SGPR: 6
; COMPUTE_PGM_RSRC2:TRAP_HANDLER: 0
; COMPUTE_PGM_RSRC2:TGID_X_EN: 1
; COMPUTE_PGM_RSRC2:TGID_Y_EN: 0
; COMPUTE_PGM_RSRC2:TGID_Z_EN: 0
; COMPUTE_PGM_RSRC2:TIDIG_COMP_CNT: 0
	.section	.text._ZN7rocprim17ROCPRIM_400000_NS6detail17trampoline_kernelINS0_13select_configILj256ELj13ELNS0_17block_load_methodE3ELS4_3ELS4_3ELNS0_20block_scan_algorithmE0ELj4294967295EEENS1_25partition_config_selectorILNS1_17partition_subalgoE3EjNS0_10empty_typeEbEEZZNS1_14partition_implILS8_3ELb0ES6_jNS0_17counting_iteratorIjlEEPS9_SE_NS0_5tupleIJPjSE_EEENSF_IJSE_SE_EEES9_SG_JZNS1_25segmented_radix_sort_implINS0_14default_configELb1EPKbPbPKlPlN2at6native12_GLOBAL__N_18offset_tEEE10hipError_tPvRmT1_PNSt15iterator_traitsISY_E10value_typeET2_T3_PNSZ_IS14_E10value_typeET4_jRbjT5_S1A_jjP12ihipStream_tbEUljE_EEESV_SW_SX_S14_S18_S1A_T6_T7_T9_mT8_S1C_bDpT10_ENKUlT_T0_E_clISt17integral_constantIbLb0EES1P_EEDaS1K_S1L_EUlS1K_E_NS1_11comp_targetILNS1_3genE10ELNS1_11target_archE1200ELNS1_3gpuE4ELNS1_3repE0EEENS1_30default_config_static_selectorELNS0_4arch9wavefront6targetE1EEEvSY_,"axG",@progbits,_ZN7rocprim17ROCPRIM_400000_NS6detail17trampoline_kernelINS0_13select_configILj256ELj13ELNS0_17block_load_methodE3ELS4_3ELS4_3ELNS0_20block_scan_algorithmE0ELj4294967295EEENS1_25partition_config_selectorILNS1_17partition_subalgoE3EjNS0_10empty_typeEbEEZZNS1_14partition_implILS8_3ELb0ES6_jNS0_17counting_iteratorIjlEEPS9_SE_NS0_5tupleIJPjSE_EEENSF_IJSE_SE_EEES9_SG_JZNS1_25segmented_radix_sort_implINS0_14default_configELb1EPKbPbPKlPlN2at6native12_GLOBAL__N_18offset_tEEE10hipError_tPvRmT1_PNSt15iterator_traitsISY_E10value_typeET2_T3_PNSZ_IS14_E10value_typeET4_jRbjT5_S1A_jjP12ihipStream_tbEUljE_EEESV_SW_SX_S14_S18_S1A_T6_T7_T9_mT8_S1C_bDpT10_ENKUlT_T0_E_clISt17integral_constantIbLb0EES1P_EEDaS1K_S1L_EUlS1K_E_NS1_11comp_targetILNS1_3genE10ELNS1_11target_archE1200ELNS1_3gpuE4ELNS1_3repE0EEENS1_30default_config_static_selectorELNS0_4arch9wavefront6targetE1EEEvSY_,comdat
	.globl	_ZN7rocprim17ROCPRIM_400000_NS6detail17trampoline_kernelINS0_13select_configILj256ELj13ELNS0_17block_load_methodE3ELS4_3ELS4_3ELNS0_20block_scan_algorithmE0ELj4294967295EEENS1_25partition_config_selectorILNS1_17partition_subalgoE3EjNS0_10empty_typeEbEEZZNS1_14partition_implILS8_3ELb0ES6_jNS0_17counting_iteratorIjlEEPS9_SE_NS0_5tupleIJPjSE_EEENSF_IJSE_SE_EEES9_SG_JZNS1_25segmented_radix_sort_implINS0_14default_configELb1EPKbPbPKlPlN2at6native12_GLOBAL__N_18offset_tEEE10hipError_tPvRmT1_PNSt15iterator_traitsISY_E10value_typeET2_T3_PNSZ_IS14_E10value_typeET4_jRbjT5_S1A_jjP12ihipStream_tbEUljE_EEESV_SW_SX_S14_S18_S1A_T6_T7_T9_mT8_S1C_bDpT10_ENKUlT_T0_E_clISt17integral_constantIbLb0EES1P_EEDaS1K_S1L_EUlS1K_E_NS1_11comp_targetILNS1_3genE10ELNS1_11target_archE1200ELNS1_3gpuE4ELNS1_3repE0EEENS1_30default_config_static_selectorELNS0_4arch9wavefront6targetE1EEEvSY_ ; -- Begin function _ZN7rocprim17ROCPRIM_400000_NS6detail17trampoline_kernelINS0_13select_configILj256ELj13ELNS0_17block_load_methodE3ELS4_3ELS4_3ELNS0_20block_scan_algorithmE0ELj4294967295EEENS1_25partition_config_selectorILNS1_17partition_subalgoE3EjNS0_10empty_typeEbEEZZNS1_14partition_implILS8_3ELb0ES6_jNS0_17counting_iteratorIjlEEPS9_SE_NS0_5tupleIJPjSE_EEENSF_IJSE_SE_EEES9_SG_JZNS1_25segmented_radix_sort_implINS0_14default_configELb1EPKbPbPKlPlN2at6native12_GLOBAL__N_18offset_tEEE10hipError_tPvRmT1_PNSt15iterator_traitsISY_E10value_typeET2_T3_PNSZ_IS14_E10value_typeET4_jRbjT5_S1A_jjP12ihipStream_tbEUljE_EEESV_SW_SX_S14_S18_S1A_T6_T7_T9_mT8_S1C_bDpT10_ENKUlT_T0_E_clISt17integral_constantIbLb0EES1P_EEDaS1K_S1L_EUlS1K_E_NS1_11comp_targetILNS1_3genE10ELNS1_11target_archE1200ELNS1_3gpuE4ELNS1_3repE0EEENS1_30default_config_static_selectorELNS0_4arch9wavefront6targetE1EEEvSY_
	.p2align	8
	.type	_ZN7rocprim17ROCPRIM_400000_NS6detail17trampoline_kernelINS0_13select_configILj256ELj13ELNS0_17block_load_methodE3ELS4_3ELS4_3ELNS0_20block_scan_algorithmE0ELj4294967295EEENS1_25partition_config_selectorILNS1_17partition_subalgoE3EjNS0_10empty_typeEbEEZZNS1_14partition_implILS8_3ELb0ES6_jNS0_17counting_iteratorIjlEEPS9_SE_NS0_5tupleIJPjSE_EEENSF_IJSE_SE_EEES9_SG_JZNS1_25segmented_radix_sort_implINS0_14default_configELb1EPKbPbPKlPlN2at6native12_GLOBAL__N_18offset_tEEE10hipError_tPvRmT1_PNSt15iterator_traitsISY_E10value_typeET2_T3_PNSZ_IS14_E10value_typeET4_jRbjT5_S1A_jjP12ihipStream_tbEUljE_EEESV_SW_SX_S14_S18_S1A_T6_T7_T9_mT8_S1C_bDpT10_ENKUlT_T0_E_clISt17integral_constantIbLb0EES1P_EEDaS1K_S1L_EUlS1K_E_NS1_11comp_targetILNS1_3genE10ELNS1_11target_archE1200ELNS1_3gpuE4ELNS1_3repE0EEENS1_30default_config_static_selectorELNS0_4arch9wavefront6targetE1EEEvSY_,@function
_ZN7rocprim17ROCPRIM_400000_NS6detail17trampoline_kernelINS0_13select_configILj256ELj13ELNS0_17block_load_methodE3ELS4_3ELS4_3ELNS0_20block_scan_algorithmE0ELj4294967295EEENS1_25partition_config_selectorILNS1_17partition_subalgoE3EjNS0_10empty_typeEbEEZZNS1_14partition_implILS8_3ELb0ES6_jNS0_17counting_iteratorIjlEEPS9_SE_NS0_5tupleIJPjSE_EEENSF_IJSE_SE_EEES9_SG_JZNS1_25segmented_radix_sort_implINS0_14default_configELb1EPKbPbPKlPlN2at6native12_GLOBAL__N_18offset_tEEE10hipError_tPvRmT1_PNSt15iterator_traitsISY_E10value_typeET2_T3_PNSZ_IS14_E10value_typeET4_jRbjT5_S1A_jjP12ihipStream_tbEUljE_EEESV_SW_SX_S14_S18_S1A_T6_T7_T9_mT8_S1C_bDpT10_ENKUlT_T0_E_clISt17integral_constantIbLb0EES1P_EEDaS1K_S1L_EUlS1K_E_NS1_11comp_targetILNS1_3genE10ELNS1_11target_archE1200ELNS1_3gpuE4ELNS1_3repE0EEENS1_30default_config_static_selectorELNS0_4arch9wavefront6targetE1EEEvSY_: ; @_ZN7rocprim17ROCPRIM_400000_NS6detail17trampoline_kernelINS0_13select_configILj256ELj13ELNS0_17block_load_methodE3ELS4_3ELS4_3ELNS0_20block_scan_algorithmE0ELj4294967295EEENS1_25partition_config_selectorILNS1_17partition_subalgoE3EjNS0_10empty_typeEbEEZZNS1_14partition_implILS8_3ELb0ES6_jNS0_17counting_iteratorIjlEEPS9_SE_NS0_5tupleIJPjSE_EEENSF_IJSE_SE_EEES9_SG_JZNS1_25segmented_radix_sort_implINS0_14default_configELb1EPKbPbPKlPlN2at6native12_GLOBAL__N_18offset_tEEE10hipError_tPvRmT1_PNSt15iterator_traitsISY_E10value_typeET2_T3_PNSZ_IS14_E10value_typeET4_jRbjT5_S1A_jjP12ihipStream_tbEUljE_EEESV_SW_SX_S14_S18_S1A_T6_T7_T9_mT8_S1C_bDpT10_ENKUlT_T0_E_clISt17integral_constantIbLb0EES1P_EEDaS1K_S1L_EUlS1K_E_NS1_11comp_targetILNS1_3genE10ELNS1_11target_archE1200ELNS1_3gpuE4ELNS1_3repE0EEENS1_30default_config_static_selectorELNS0_4arch9wavefront6targetE1EEEvSY_
; %bb.0:
	.section	.rodata,"a",@progbits
	.p2align	6, 0x0
	.amdhsa_kernel _ZN7rocprim17ROCPRIM_400000_NS6detail17trampoline_kernelINS0_13select_configILj256ELj13ELNS0_17block_load_methodE3ELS4_3ELS4_3ELNS0_20block_scan_algorithmE0ELj4294967295EEENS1_25partition_config_selectorILNS1_17partition_subalgoE3EjNS0_10empty_typeEbEEZZNS1_14partition_implILS8_3ELb0ES6_jNS0_17counting_iteratorIjlEEPS9_SE_NS0_5tupleIJPjSE_EEENSF_IJSE_SE_EEES9_SG_JZNS1_25segmented_radix_sort_implINS0_14default_configELb1EPKbPbPKlPlN2at6native12_GLOBAL__N_18offset_tEEE10hipError_tPvRmT1_PNSt15iterator_traitsISY_E10value_typeET2_T3_PNSZ_IS14_E10value_typeET4_jRbjT5_S1A_jjP12ihipStream_tbEUljE_EEESV_SW_SX_S14_S18_S1A_T6_T7_T9_mT8_S1C_bDpT10_ENKUlT_T0_E_clISt17integral_constantIbLb0EES1P_EEDaS1K_S1L_EUlS1K_E_NS1_11comp_targetILNS1_3genE10ELNS1_11target_archE1200ELNS1_3gpuE4ELNS1_3repE0EEENS1_30default_config_static_selectorELNS0_4arch9wavefront6targetE1EEEvSY_
		.amdhsa_group_segment_fixed_size 0
		.amdhsa_private_segment_fixed_size 0
		.amdhsa_kernarg_size 144
		.amdhsa_user_sgpr_count 6
		.amdhsa_user_sgpr_private_segment_buffer 1
		.amdhsa_user_sgpr_dispatch_ptr 0
		.amdhsa_user_sgpr_queue_ptr 0
		.amdhsa_user_sgpr_kernarg_segment_ptr 1
		.amdhsa_user_sgpr_dispatch_id 0
		.amdhsa_user_sgpr_flat_scratch_init 0
		.amdhsa_user_sgpr_private_segment_size 0
		.amdhsa_uses_dynamic_stack 0
		.amdhsa_system_sgpr_private_segment_wavefront_offset 0
		.amdhsa_system_sgpr_workgroup_id_x 1
		.amdhsa_system_sgpr_workgroup_id_y 0
		.amdhsa_system_sgpr_workgroup_id_z 0
		.amdhsa_system_sgpr_workgroup_info 0
		.amdhsa_system_vgpr_workitem_id 0
		.amdhsa_next_free_vgpr 1
		.amdhsa_next_free_sgpr 0
		.amdhsa_reserve_vcc 0
		.amdhsa_reserve_flat_scratch 0
		.amdhsa_float_round_mode_32 0
		.amdhsa_float_round_mode_16_64 0
		.amdhsa_float_denorm_mode_32 3
		.amdhsa_float_denorm_mode_16_64 3
		.amdhsa_dx10_clamp 1
		.amdhsa_ieee_mode 1
		.amdhsa_fp16_overflow 0
		.amdhsa_exception_fp_ieee_invalid_op 0
		.amdhsa_exception_fp_denorm_src 0
		.amdhsa_exception_fp_ieee_div_zero 0
		.amdhsa_exception_fp_ieee_overflow 0
		.amdhsa_exception_fp_ieee_underflow 0
		.amdhsa_exception_fp_ieee_inexact 0
		.amdhsa_exception_int_div_zero 0
	.end_amdhsa_kernel
	.section	.text._ZN7rocprim17ROCPRIM_400000_NS6detail17trampoline_kernelINS0_13select_configILj256ELj13ELNS0_17block_load_methodE3ELS4_3ELS4_3ELNS0_20block_scan_algorithmE0ELj4294967295EEENS1_25partition_config_selectorILNS1_17partition_subalgoE3EjNS0_10empty_typeEbEEZZNS1_14partition_implILS8_3ELb0ES6_jNS0_17counting_iteratorIjlEEPS9_SE_NS0_5tupleIJPjSE_EEENSF_IJSE_SE_EEES9_SG_JZNS1_25segmented_radix_sort_implINS0_14default_configELb1EPKbPbPKlPlN2at6native12_GLOBAL__N_18offset_tEEE10hipError_tPvRmT1_PNSt15iterator_traitsISY_E10value_typeET2_T3_PNSZ_IS14_E10value_typeET4_jRbjT5_S1A_jjP12ihipStream_tbEUljE_EEESV_SW_SX_S14_S18_S1A_T6_T7_T9_mT8_S1C_bDpT10_ENKUlT_T0_E_clISt17integral_constantIbLb0EES1P_EEDaS1K_S1L_EUlS1K_E_NS1_11comp_targetILNS1_3genE10ELNS1_11target_archE1200ELNS1_3gpuE4ELNS1_3repE0EEENS1_30default_config_static_selectorELNS0_4arch9wavefront6targetE1EEEvSY_,"axG",@progbits,_ZN7rocprim17ROCPRIM_400000_NS6detail17trampoline_kernelINS0_13select_configILj256ELj13ELNS0_17block_load_methodE3ELS4_3ELS4_3ELNS0_20block_scan_algorithmE0ELj4294967295EEENS1_25partition_config_selectorILNS1_17partition_subalgoE3EjNS0_10empty_typeEbEEZZNS1_14partition_implILS8_3ELb0ES6_jNS0_17counting_iteratorIjlEEPS9_SE_NS0_5tupleIJPjSE_EEENSF_IJSE_SE_EEES9_SG_JZNS1_25segmented_radix_sort_implINS0_14default_configELb1EPKbPbPKlPlN2at6native12_GLOBAL__N_18offset_tEEE10hipError_tPvRmT1_PNSt15iterator_traitsISY_E10value_typeET2_T3_PNSZ_IS14_E10value_typeET4_jRbjT5_S1A_jjP12ihipStream_tbEUljE_EEESV_SW_SX_S14_S18_S1A_T6_T7_T9_mT8_S1C_bDpT10_ENKUlT_T0_E_clISt17integral_constantIbLb0EES1P_EEDaS1K_S1L_EUlS1K_E_NS1_11comp_targetILNS1_3genE10ELNS1_11target_archE1200ELNS1_3gpuE4ELNS1_3repE0EEENS1_30default_config_static_selectorELNS0_4arch9wavefront6targetE1EEEvSY_,comdat
.Lfunc_end1505:
	.size	_ZN7rocprim17ROCPRIM_400000_NS6detail17trampoline_kernelINS0_13select_configILj256ELj13ELNS0_17block_load_methodE3ELS4_3ELS4_3ELNS0_20block_scan_algorithmE0ELj4294967295EEENS1_25partition_config_selectorILNS1_17partition_subalgoE3EjNS0_10empty_typeEbEEZZNS1_14partition_implILS8_3ELb0ES6_jNS0_17counting_iteratorIjlEEPS9_SE_NS0_5tupleIJPjSE_EEENSF_IJSE_SE_EEES9_SG_JZNS1_25segmented_radix_sort_implINS0_14default_configELb1EPKbPbPKlPlN2at6native12_GLOBAL__N_18offset_tEEE10hipError_tPvRmT1_PNSt15iterator_traitsISY_E10value_typeET2_T3_PNSZ_IS14_E10value_typeET4_jRbjT5_S1A_jjP12ihipStream_tbEUljE_EEESV_SW_SX_S14_S18_S1A_T6_T7_T9_mT8_S1C_bDpT10_ENKUlT_T0_E_clISt17integral_constantIbLb0EES1P_EEDaS1K_S1L_EUlS1K_E_NS1_11comp_targetILNS1_3genE10ELNS1_11target_archE1200ELNS1_3gpuE4ELNS1_3repE0EEENS1_30default_config_static_selectorELNS0_4arch9wavefront6targetE1EEEvSY_, .Lfunc_end1505-_ZN7rocprim17ROCPRIM_400000_NS6detail17trampoline_kernelINS0_13select_configILj256ELj13ELNS0_17block_load_methodE3ELS4_3ELS4_3ELNS0_20block_scan_algorithmE0ELj4294967295EEENS1_25partition_config_selectorILNS1_17partition_subalgoE3EjNS0_10empty_typeEbEEZZNS1_14partition_implILS8_3ELb0ES6_jNS0_17counting_iteratorIjlEEPS9_SE_NS0_5tupleIJPjSE_EEENSF_IJSE_SE_EEES9_SG_JZNS1_25segmented_radix_sort_implINS0_14default_configELb1EPKbPbPKlPlN2at6native12_GLOBAL__N_18offset_tEEE10hipError_tPvRmT1_PNSt15iterator_traitsISY_E10value_typeET2_T3_PNSZ_IS14_E10value_typeET4_jRbjT5_S1A_jjP12ihipStream_tbEUljE_EEESV_SW_SX_S14_S18_S1A_T6_T7_T9_mT8_S1C_bDpT10_ENKUlT_T0_E_clISt17integral_constantIbLb0EES1P_EEDaS1K_S1L_EUlS1K_E_NS1_11comp_targetILNS1_3genE10ELNS1_11target_archE1200ELNS1_3gpuE4ELNS1_3repE0EEENS1_30default_config_static_selectorELNS0_4arch9wavefront6targetE1EEEvSY_
                                        ; -- End function
	.set _ZN7rocprim17ROCPRIM_400000_NS6detail17trampoline_kernelINS0_13select_configILj256ELj13ELNS0_17block_load_methodE3ELS4_3ELS4_3ELNS0_20block_scan_algorithmE0ELj4294967295EEENS1_25partition_config_selectorILNS1_17partition_subalgoE3EjNS0_10empty_typeEbEEZZNS1_14partition_implILS8_3ELb0ES6_jNS0_17counting_iteratorIjlEEPS9_SE_NS0_5tupleIJPjSE_EEENSF_IJSE_SE_EEES9_SG_JZNS1_25segmented_radix_sort_implINS0_14default_configELb1EPKbPbPKlPlN2at6native12_GLOBAL__N_18offset_tEEE10hipError_tPvRmT1_PNSt15iterator_traitsISY_E10value_typeET2_T3_PNSZ_IS14_E10value_typeET4_jRbjT5_S1A_jjP12ihipStream_tbEUljE_EEESV_SW_SX_S14_S18_S1A_T6_T7_T9_mT8_S1C_bDpT10_ENKUlT_T0_E_clISt17integral_constantIbLb0EES1P_EEDaS1K_S1L_EUlS1K_E_NS1_11comp_targetILNS1_3genE10ELNS1_11target_archE1200ELNS1_3gpuE4ELNS1_3repE0EEENS1_30default_config_static_selectorELNS0_4arch9wavefront6targetE1EEEvSY_.num_vgpr, 0
	.set _ZN7rocprim17ROCPRIM_400000_NS6detail17trampoline_kernelINS0_13select_configILj256ELj13ELNS0_17block_load_methodE3ELS4_3ELS4_3ELNS0_20block_scan_algorithmE0ELj4294967295EEENS1_25partition_config_selectorILNS1_17partition_subalgoE3EjNS0_10empty_typeEbEEZZNS1_14partition_implILS8_3ELb0ES6_jNS0_17counting_iteratorIjlEEPS9_SE_NS0_5tupleIJPjSE_EEENSF_IJSE_SE_EEES9_SG_JZNS1_25segmented_radix_sort_implINS0_14default_configELb1EPKbPbPKlPlN2at6native12_GLOBAL__N_18offset_tEEE10hipError_tPvRmT1_PNSt15iterator_traitsISY_E10value_typeET2_T3_PNSZ_IS14_E10value_typeET4_jRbjT5_S1A_jjP12ihipStream_tbEUljE_EEESV_SW_SX_S14_S18_S1A_T6_T7_T9_mT8_S1C_bDpT10_ENKUlT_T0_E_clISt17integral_constantIbLb0EES1P_EEDaS1K_S1L_EUlS1K_E_NS1_11comp_targetILNS1_3genE10ELNS1_11target_archE1200ELNS1_3gpuE4ELNS1_3repE0EEENS1_30default_config_static_selectorELNS0_4arch9wavefront6targetE1EEEvSY_.num_agpr, 0
	.set _ZN7rocprim17ROCPRIM_400000_NS6detail17trampoline_kernelINS0_13select_configILj256ELj13ELNS0_17block_load_methodE3ELS4_3ELS4_3ELNS0_20block_scan_algorithmE0ELj4294967295EEENS1_25partition_config_selectorILNS1_17partition_subalgoE3EjNS0_10empty_typeEbEEZZNS1_14partition_implILS8_3ELb0ES6_jNS0_17counting_iteratorIjlEEPS9_SE_NS0_5tupleIJPjSE_EEENSF_IJSE_SE_EEES9_SG_JZNS1_25segmented_radix_sort_implINS0_14default_configELb1EPKbPbPKlPlN2at6native12_GLOBAL__N_18offset_tEEE10hipError_tPvRmT1_PNSt15iterator_traitsISY_E10value_typeET2_T3_PNSZ_IS14_E10value_typeET4_jRbjT5_S1A_jjP12ihipStream_tbEUljE_EEESV_SW_SX_S14_S18_S1A_T6_T7_T9_mT8_S1C_bDpT10_ENKUlT_T0_E_clISt17integral_constantIbLb0EES1P_EEDaS1K_S1L_EUlS1K_E_NS1_11comp_targetILNS1_3genE10ELNS1_11target_archE1200ELNS1_3gpuE4ELNS1_3repE0EEENS1_30default_config_static_selectorELNS0_4arch9wavefront6targetE1EEEvSY_.numbered_sgpr, 0
	.set _ZN7rocprim17ROCPRIM_400000_NS6detail17trampoline_kernelINS0_13select_configILj256ELj13ELNS0_17block_load_methodE3ELS4_3ELS4_3ELNS0_20block_scan_algorithmE0ELj4294967295EEENS1_25partition_config_selectorILNS1_17partition_subalgoE3EjNS0_10empty_typeEbEEZZNS1_14partition_implILS8_3ELb0ES6_jNS0_17counting_iteratorIjlEEPS9_SE_NS0_5tupleIJPjSE_EEENSF_IJSE_SE_EEES9_SG_JZNS1_25segmented_radix_sort_implINS0_14default_configELb1EPKbPbPKlPlN2at6native12_GLOBAL__N_18offset_tEEE10hipError_tPvRmT1_PNSt15iterator_traitsISY_E10value_typeET2_T3_PNSZ_IS14_E10value_typeET4_jRbjT5_S1A_jjP12ihipStream_tbEUljE_EEESV_SW_SX_S14_S18_S1A_T6_T7_T9_mT8_S1C_bDpT10_ENKUlT_T0_E_clISt17integral_constantIbLb0EES1P_EEDaS1K_S1L_EUlS1K_E_NS1_11comp_targetILNS1_3genE10ELNS1_11target_archE1200ELNS1_3gpuE4ELNS1_3repE0EEENS1_30default_config_static_selectorELNS0_4arch9wavefront6targetE1EEEvSY_.num_named_barrier, 0
	.set _ZN7rocprim17ROCPRIM_400000_NS6detail17trampoline_kernelINS0_13select_configILj256ELj13ELNS0_17block_load_methodE3ELS4_3ELS4_3ELNS0_20block_scan_algorithmE0ELj4294967295EEENS1_25partition_config_selectorILNS1_17partition_subalgoE3EjNS0_10empty_typeEbEEZZNS1_14partition_implILS8_3ELb0ES6_jNS0_17counting_iteratorIjlEEPS9_SE_NS0_5tupleIJPjSE_EEENSF_IJSE_SE_EEES9_SG_JZNS1_25segmented_radix_sort_implINS0_14default_configELb1EPKbPbPKlPlN2at6native12_GLOBAL__N_18offset_tEEE10hipError_tPvRmT1_PNSt15iterator_traitsISY_E10value_typeET2_T3_PNSZ_IS14_E10value_typeET4_jRbjT5_S1A_jjP12ihipStream_tbEUljE_EEESV_SW_SX_S14_S18_S1A_T6_T7_T9_mT8_S1C_bDpT10_ENKUlT_T0_E_clISt17integral_constantIbLb0EES1P_EEDaS1K_S1L_EUlS1K_E_NS1_11comp_targetILNS1_3genE10ELNS1_11target_archE1200ELNS1_3gpuE4ELNS1_3repE0EEENS1_30default_config_static_selectorELNS0_4arch9wavefront6targetE1EEEvSY_.private_seg_size, 0
	.set _ZN7rocprim17ROCPRIM_400000_NS6detail17trampoline_kernelINS0_13select_configILj256ELj13ELNS0_17block_load_methodE3ELS4_3ELS4_3ELNS0_20block_scan_algorithmE0ELj4294967295EEENS1_25partition_config_selectorILNS1_17partition_subalgoE3EjNS0_10empty_typeEbEEZZNS1_14partition_implILS8_3ELb0ES6_jNS0_17counting_iteratorIjlEEPS9_SE_NS0_5tupleIJPjSE_EEENSF_IJSE_SE_EEES9_SG_JZNS1_25segmented_radix_sort_implINS0_14default_configELb1EPKbPbPKlPlN2at6native12_GLOBAL__N_18offset_tEEE10hipError_tPvRmT1_PNSt15iterator_traitsISY_E10value_typeET2_T3_PNSZ_IS14_E10value_typeET4_jRbjT5_S1A_jjP12ihipStream_tbEUljE_EEESV_SW_SX_S14_S18_S1A_T6_T7_T9_mT8_S1C_bDpT10_ENKUlT_T0_E_clISt17integral_constantIbLb0EES1P_EEDaS1K_S1L_EUlS1K_E_NS1_11comp_targetILNS1_3genE10ELNS1_11target_archE1200ELNS1_3gpuE4ELNS1_3repE0EEENS1_30default_config_static_selectorELNS0_4arch9wavefront6targetE1EEEvSY_.uses_vcc, 0
	.set _ZN7rocprim17ROCPRIM_400000_NS6detail17trampoline_kernelINS0_13select_configILj256ELj13ELNS0_17block_load_methodE3ELS4_3ELS4_3ELNS0_20block_scan_algorithmE0ELj4294967295EEENS1_25partition_config_selectorILNS1_17partition_subalgoE3EjNS0_10empty_typeEbEEZZNS1_14partition_implILS8_3ELb0ES6_jNS0_17counting_iteratorIjlEEPS9_SE_NS0_5tupleIJPjSE_EEENSF_IJSE_SE_EEES9_SG_JZNS1_25segmented_radix_sort_implINS0_14default_configELb1EPKbPbPKlPlN2at6native12_GLOBAL__N_18offset_tEEE10hipError_tPvRmT1_PNSt15iterator_traitsISY_E10value_typeET2_T3_PNSZ_IS14_E10value_typeET4_jRbjT5_S1A_jjP12ihipStream_tbEUljE_EEESV_SW_SX_S14_S18_S1A_T6_T7_T9_mT8_S1C_bDpT10_ENKUlT_T0_E_clISt17integral_constantIbLb0EES1P_EEDaS1K_S1L_EUlS1K_E_NS1_11comp_targetILNS1_3genE10ELNS1_11target_archE1200ELNS1_3gpuE4ELNS1_3repE0EEENS1_30default_config_static_selectorELNS0_4arch9wavefront6targetE1EEEvSY_.uses_flat_scratch, 0
	.set _ZN7rocprim17ROCPRIM_400000_NS6detail17trampoline_kernelINS0_13select_configILj256ELj13ELNS0_17block_load_methodE3ELS4_3ELS4_3ELNS0_20block_scan_algorithmE0ELj4294967295EEENS1_25partition_config_selectorILNS1_17partition_subalgoE3EjNS0_10empty_typeEbEEZZNS1_14partition_implILS8_3ELb0ES6_jNS0_17counting_iteratorIjlEEPS9_SE_NS0_5tupleIJPjSE_EEENSF_IJSE_SE_EEES9_SG_JZNS1_25segmented_radix_sort_implINS0_14default_configELb1EPKbPbPKlPlN2at6native12_GLOBAL__N_18offset_tEEE10hipError_tPvRmT1_PNSt15iterator_traitsISY_E10value_typeET2_T3_PNSZ_IS14_E10value_typeET4_jRbjT5_S1A_jjP12ihipStream_tbEUljE_EEESV_SW_SX_S14_S18_S1A_T6_T7_T9_mT8_S1C_bDpT10_ENKUlT_T0_E_clISt17integral_constantIbLb0EES1P_EEDaS1K_S1L_EUlS1K_E_NS1_11comp_targetILNS1_3genE10ELNS1_11target_archE1200ELNS1_3gpuE4ELNS1_3repE0EEENS1_30default_config_static_selectorELNS0_4arch9wavefront6targetE1EEEvSY_.has_dyn_sized_stack, 0
	.set _ZN7rocprim17ROCPRIM_400000_NS6detail17trampoline_kernelINS0_13select_configILj256ELj13ELNS0_17block_load_methodE3ELS4_3ELS4_3ELNS0_20block_scan_algorithmE0ELj4294967295EEENS1_25partition_config_selectorILNS1_17partition_subalgoE3EjNS0_10empty_typeEbEEZZNS1_14partition_implILS8_3ELb0ES6_jNS0_17counting_iteratorIjlEEPS9_SE_NS0_5tupleIJPjSE_EEENSF_IJSE_SE_EEES9_SG_JZNS1_25segmented_radix_sort_implINS0_14default_configELb1EPKbPbPKlPlN2at6native12_GLOBAL__N_18offset_tEEE10hipError_tPvRmT1_PNSt15iterator_traitsISY_E10value_typeET2_T3_PNSZ_IS14_E10value_typeET4_jRbjT5_S1A_jjP12ihipStream_tbEUljE_EEESV_SW_SX_S14_S18_S1A_T6_T7_T9_mT8_S1C_bDpT10_ENKUlT_T0_E_clISt17integral_constantIbLb0EES1P_EEDaS1K_S1L_EUlS1K_E_NS1_11comp_targetILNS1_3genE10ELNS1_11target_archE1200ELNS1_3gpuE4ELNS1_3repE0EEENS1_30default_config_static_selectorELNS0_4arch9wavefront6targetE1EEEvSY_.has_recursion, 0
	.set _ZN7rocprim17ROCPRIM_400000_NS6detail17trampoline_kernelINS0_13select_configILj256ELj13ELNS0_17block_load_methodE3ELS4_3ELS4_3ELNS0_20block_scan_algorithmE0ELj4294967295EEENS1_25partition_config_selectorILNS1_17partition_subalgoE3EjNS0_10empty_typeEbEEZZNS1_14partition_implILS8_3ELb0ES6_jNS0_17counting_iteratorIjlEEPS9_SE_NS0_5tupleIJPjSE_EEENSF_IJSE_SE_EEES9_SG_JZNS1_25segmented_radix_sort_implINS0_14default_configELb1EPKbPbPKlPlN2at6native12_GLOBAL__N_18offset_tEEE10hipError_tPvRmT1_PNSt15iterator_traitsISY_E10value_typeET2_T3_PNSZ_IS14_E10value_typeET4_jRbjT5_S1A_jjP12ihipStream_tbEUljE_EEESV_SW_SX_S14_S18_S1A_T6_T7_T9_mT8_S1C_bDpT10_ENKUlT_T0_E_clISt17integral_constantIbLb0EES1P_EEDaS1K_S1L_EUlS1K_E_NS1_11comp_targetILNS1_3genE10ELNS1_11target_archE1200ELNS1_3gpuE4ELNS1_3repE0EEENS1_30default_config_static_selectorELNS0_4arch9wavefront6targetE1EEEvSY_.has_indirect_call, 0
	.section	.AMDGPU.csdata,"",@progbits
; Kernel info:
; codeLenInByte = 0
; TotalNumSgprs: 4
; NumVgprs: 0
; ScratchSize: 0
; MemoryBound: 0
; FloatMode: 240
; IeeeMode: 1
; LDSByteSize: 0 bytes/workgroup (compile time only)
; SGPRBlocks: 0
; VGPRBlocks: 0
; NumSGPRsForWavesPerEU: 4
; NumVGPRsForWavesPerEU: 1
; Occupancy: 10
; WaveLimiterHint : 0
; COMPUTE_PGM_RSRC2:SCRATCH_EN: 0
; COMPUTE_PGM_RSRC2:USER_SGPR: 6
; COMPUTE_PGM_RSRC2:TRAP_HANDLER: 0
; COMPUTE_PGM_RSRC2:TGID_X_EN: 1
; COMPUTE_PGM_RSRC2:TGID_Y_EN: 0
; COMPUTE_PGM_RSRC2:TGID_Z_EN: 0
; COMPUTE_PGM_RSRC2:TIDIG_COMP_CNT: 0
	.section	.text._ZN7rocprim17ROCPRIM_400000_NS6detail17trampoline_kernelINS0_13select_configILj256ELj13ELNS0_17block_load_methodE3ELS4_3ELS4_3ELNS0_20block_scan_algorithmE0ELj4294967295EEENS1_25partition_config_selectorILNS1_17partition_subalgoE3EjNS0_10empty_typeEbEEZZNS1_14partition_implILS8_3ELb0ES6_jNS0_17counting_iteratorIjlEEPS9_SE_NS0_5tupleIJPjSE_EEENSF_IJSE_SE_EEES9_SG_JZNS1_25segmented_radix_sort_implINS0_14default_configELb1EPKbPbPKlPlN2at6native12_GLOBAL__N_18offset_tEEE10hipError_tPvRmT1_PNSt15iterator_traitsISY_E10value_typeET2_T3_PNSZ_IS14_E10value_typeET4_jRbjT5_S1A_jjP12ihipStream_tbEUljE_EEESV_SW_SX_S14_S18_S1A_T6_T7_T9_mT8_S1C_bDpT10_ENKUlT_T0_E_clISt17integral_constantIbLb0EES1P_EEDaS1K_S1L_EUlS1K_E_NS1_11comp_targetILNS1_3genE9ELNS1_11target_archE1100ELNS1_3gpuE3ELNS1_3repE0EEENS1_30default_config_static_selectorELNS0_4arch9wavefront6targetE1EEEvSY_,"axG",@progbits,_ZN7rocprim17ROCPRIM_400000_NS6detail17trampoline_kernelINS0_13select_configILj256ELj13ELNS0_17block_load_methodE3ELS4_3ELS4_3ELNS0_20block_scan_algorithmE0ELj4294967295EEENS1_25partition_config_selectorILNS1_17partition_subalgoE3EjNS0_10empty_typeEbEEZZNS1_14partition_implILS8_3ELb0ES6_jNS0_17counting_iteratorIjlEEPS9_SE_NS0_5tupleIJPjSE_EEENSF_IJSE_SE_EEES9_SG_JZNS1_25segmented_radix_sort_implINS0_14default_configELb1EPKbPbPKlPlN2at6native12_GLOBAL__N_18offset_tEEE10hipError_tPvRmT1_PNSt15iterator_traitsISY_E10value_typeET2_T3_PNSZ_IS14_E10value_typeET4_jRbjT5_S1A_jjP12ihipStream_tbEUljE_EEESV_SW_SX_S14_S18_S1A_T6_T7_T9_mT8_S1C_bDpT10_ENKUlT_T0_E_clISt17integral_constantIbLb0EES1P_EEDaS1K_S1L_EUlS1K_E_NS1_11comp_targetILNS1_3genE9ELNS1_11target_archE1100ELNS1_3gpuE3ELNS1_3repE0EEENS1_30default_config_static_selectorELNS0_4arch9wavefront6targetE1EEEvSY_,comdat
	.globl	_ZN7rocprim17ROCPRIM_400000_NS6detail17trampoline_kernelINS0_13select_configILj256ELj13ELNS0_17block_load_methodE3ELS4_3ELS4_3ELNS0_20block_scan_algorithmE0ELj4294967295EEENS1_25partition_config_selectorILNS1_17partition_subalgoE3EjNS0_10empty_typeEbEEZZNS1_14partition_implILS8_3ELb0ES6_jNS0_17counting_iteratorIjlEEPS9_SE_NS0_5tupleIJPjSE_EEENSF_IJSE_SE_EEES9_SG_JZNS1_25segmented_radix_sort_implINS0_14default_configELb1EPKbPbPKlPlN2at6native12_GLOBAL__N_18offset_tEEE10hipError_tPvRmT1_PNSt15iterator_traitsISY_E10value_typeET2_T3_PNSZ_IS14_E10value_typeET4_jRbjT5_S1A_jjP12ihipStream_tbEUljE_EEESV_SW_SX_S14_S18_S1A_T6_T7_T9_mT8_S1C_bDpT10_ENKUlT_T0_E_clISt17integral_constantIbLb0EES1P_EEDaS1K_S1L_EUlS1K_E_NS1_11comp_targetILNS1_3genE9ELNS1_11target_archE1100ELNS1_3gpuE3ELNS1_3repE0EEENS1_30default_config_static_selectorELNS0_4arch9wavefront6targetE1EEEvSY_ ; -- Begin function _ZN7rocprim17ROCPRIM_400000_NS6detail17trampoline_kernelINS0_13select_configILj256ELj13ELNS0_17block_load_methodE3ELS4_3ELS4_3ELNS0_20block_scan_algorithmE0ELj4294967295EEENS1_25partition_config_selectorILNS1_17partition_subalgoE3EjNS0_10empty_typeEbEEZZNS1_14partition_implILS8_3ELb0ES6_jNS0_17counting_iteratorIjlEEPS9_SE_NS0_5tupleIJPjSE_EEENSF_IJSE_SE_EEES9_SG_JZNS1_25segmented_radix_sort_implINS0_14default_configELb1EPKbPbPKlPlN2at6native12_GLOBAL__N_18offset_tEEE10hipError_tPvRmT1_PNSt15iterator_traitsISY_E10value_typeET2_T3_PNSZ_IS14_E10value_typeET4_jRbjT5_S1A_jjP12ihipStream_tbEUljE_EEESV_SW_SX_S14_S18_S1A_T6_T7_T9_mT8_S1C_bDpT10_ENKUlT_T0_E_clISt17integral_constantIbLb0EES1P_EEDaS1K_S1L_EUlS1K_E_NS1_11comp_targetILNS1_3genE9ELNS1_11target_archE1100ELNS1_3gpuE3ELNS1_3repE0EEENS1_30default_config_static_selectorELNS0_4arch9wavefront6targetE1EEEvSY_
	.p2align	8
	.type	_ZN7rocprim17ROCPRIM_400000_NS6detail17trampoline_kernelINS0_13select_configILj256ELj13ELNS0_17block_load_methodE3ELS4_3ELS4_3ELNS0_20block_scan_algorithmE0ELj4294967295EEENS1_25partition_config_selectorILNS1_17partition_subalgoE3EjNS0_10empty_typeEbEEZZNS1_14partition_implILS8_3ELb0ES6_jNS0_17counting_iteratorIjlEEPS9_SE_NS0_5tupleIJPjSE_EEENSF_IJSE_SE_EEES9_SG_JZNS1_25segmented_radix_sort_implINS0_14default_configELb1EPKbPbPKlPlN2at6native12_GLOBAL__N_18offset_tEEE10hipError_tPvRmT1_PNSt15iterator_traitsISY_E10value_typeET2_T3_PNSZ_IS14_E10value_typeET4_jRbjT5_S1A_jjP12ihipStream_tbEUljE_EEESV_SW_SX_S14_S18_S1A_T6_T7_T9_mT8_S1C_bDpT10_ENKUlT_T0_E_clISt17integral_constantIbLb0EES1P_EEDaS1K_S1L_EUlS1K_E_NS1_11comp_targetILNS1_3genE9ELNS1_11target_archE1100ELNS1_3gpuE3ELNS1_3repE0EEENS1_30default_config_static_selectorELNS0_4arch9wavefront6targetE1EEEvSY_,@function
_ZN7rocprim17ROCPRIM_400000_NS6detail17trampoline_kernelINS0_13select_configILj256ELj13ELNS0_17block_load_methodE3ELS4_3ELS4_3ELNS0_20block_scan_algorithmE0ELj4294967295EEENS1_25partition_config_selectorILNS1_17partition_subalgoE3EjNS0_10empty_typeEbEEZZNS1_14partition_implILS8_3ELb0ES6_jNS0_17counting_iteratorIjlEEPS9_SE_NS0_5tupleIJPjSE_EEENSF_IJSE_SE_EEES9_SG_JZNS1_25segmented_radix_sort_implINS0_14default_configELb1EPKbPbPKlPlN2at6native12_GLOBAL__N_18offset_tEEE10hipError_tPvRmT1_PNSt15iterator_traitsISY_E10value_typeET2_T3_PNSZ_IS14_E10value_typeET4_jRbjT5_S1A_jjP12ihipStream_tbEUljE_EEESV_SW_SX_S14_S18_S1A_T6_T7_T9_mT8_S1C_bDpT10_ENKUlT_T0_E_clISt17integral_constantIbLb0EES1P_EEDaS1K_S1L_EUlS1K_E_NS1_11comp_targetILNS1_3genE9ELNS1_11target_archE1100ELNS1_3gpuE3ELNS1_3repE0EEENS1_30default_config_static_selectorELNS0_4arch9wavefront6targetE1EEEvSY_: ; @_ZN7rocprim17ROCPRIM_400000_NS6detail17trampoline_kernelINS0_13select_configILj256ELj13ELNS0_17block_load_methodE3ELS4_3ELS4_3ELNS0_20block_scan_algorithmE0ELj4294967295EEENS1_25partition_config_selectorILNS1_17partition_subalgoE3EjNS0_10empty_typeEbEEZZNS1_14partition_implILS8_3ELb0ES6_jNS0_17counting_iteratorIjlEEPS9_SE_NS0_5tupleIJPjSE_EEENSF_IJSE_SE_EEES9_SG_JZNS1_25segmented_radix_sort_implINS0_14default_configELb1EPKbPbPKlPlN2at6native12_GLOBAL__N_18offset_tEEE10hipError_tPvRmT1_PNSt15iterator_traitsISY_E10value_typeET2_T3_PNSZ_IS14_E10value_typeET4_jRbjT5_S1A_jjP12ihipStream_tbEUljE_EEESV_SW_SX_S14_S18_S1A_T6_T7_T9_mT8_S1C_bDpT10_ENKUlT_T0_E_clISt17integral_constantIbLb0EES1P_EEDaS1K_S1L_EUlS1K_E_NS1_11comp_targetILNS1_3genE9ELNS1_11target_archE1100ELNS1_3gpuE3ELNS1_3repE0EEENS1_30default_config_static_selectorELNS0_4arch9wavefront6targetE1EEEvSY_
; %bb.0:
	.section	.rodata,"a",@progbits
	.p2align	6, 0x0
	.amdhsa_kernel _ZN7rocprim17ROCPRIM_400000_NS6detail17trampoline_kernelINS0_13select_configILj256ELj13ELNS0_17block_load_methodE3ELS4_3ELS4_3ELNS0_20block_scan_algorithmE0ELj4294967295EEENS1_25partition_config_selectorILNS1_17partition_subalgoE3EjNS0_10empty_typeEbEEZZNS1_14partition_implILS8_3ELb0ES6_jNS0_17counting_iteratorIjlEEPS9_SE_NS0_5tupleIJPjSE_EEENSF_IJSE_SE_EEES9_SG_JZNS1_25segmented_radix_sort_implINS0_14default_configELb1EPKbPbPKlPlN2at6native12_GLOBAL__N_18offset_tEEE10hipError_tPvRmT1_PNSt15iterator_traitsISY_E10value_typeET2_T3_PNSZ_IS14_E10value_typeET4_jRbjT5_S1A_jjP12ihipStream_tbEUljE_EEESV_SW_SX_S14_S18_S1A_T6_T7_T9_mT8_S1C_bDpT10_ENKUlT_T0_E_clISt17integral_constantIbLb0EES1P_EEDaS1K_S1L_EUlS1K_E_NS1_11comp_targetILNS1_3genE9ELNS1_11target_archE1100ELNS1_3gpuE3ELNS1_3repE0EEENS1_30default_config_static_selectorELNS0_4arch9wavefront6targetE1EEEvSY_
		.amdhsa_group_segment_fixed_size 0
		.amdhsa_private_segment_fixed_size 0
		.amdhsa_kernarg_size 144
		.amdhsa_user_sgpr_count 6
		.amdhsa_user_sgpr_private_segment_buffer 1
		.amdhsa_user_sgpr_dispatch_ptr 0
		.amdhsa_user_sgpr_queue_ptr 0
		.amdhsa_user_sgpr_kernarg_segment_ptr 1
		.amdhsa_user_sgpr_dispatch_id 0
		.amdhsa_user_sgpr_flat_scratch_init 0
		.amdhsa_user_sgpr_private_segment_size 0
		.amdhsa_uses_dynamic_stack 0
		.amdhsa_system_sgpr_private_segment_wavefront_offset 0
		.amdhsa_system_sgpr_workgroup_id_x 1
		.amdhsa_system_sgpr_workgroup_id_y 0
		.amdhsa_system_sgpr_workgroup_id_z 0
		.amdhsa_system_sgpr_workgroup_info 0
		.amdhsa_system_vgpr_workitem_id 0
		.amdhsa_next_free_vgpr 1
		.amdhsa_next_free_sgpr 0
		.amdhsa_reserve_vcc 0
		.amdhsa_reserve_flat_scratch 0
		.amdhsa_float_round_mode_32 0
		.amdhsa_float_round_mode_16_64 0
		.amdhsa_float_denorm_mode_32 3
		.amdhsa_float_denorm_mode_16_64 3
		.amdhsa_dx10_clamp 1
		.amdhsa_ieee_mode 1
		.amdhsa_fp16_overflow 0
		.amdhsa_exception_fp_ieee_invalid_op 0
		.amdhsa_exception_fp_denorm_src 0
		.amdhsa_exception_fp_ieee_div_zero 0
		.amdhsa_exception_fp_ieee_overflow 0
		.amdhsa_exception_fp_ieee_underflow 0
		.amdhsa_exception_fp_ieee_inexact 0
		.amdhsa_exception_int_div_zero 0
	.end_amdhsa_kernel
	.section	.text._ZN7rocprim17ROCPRIM_400000_NS6detail17trampoline_kernelINS0_13select_configILj256ELj13ELNS0_17block_load_methodE3ELS4_3ELS4_3ELNS0_20block_scan_algorithmE0ELj4294967295EEENS1_25partition_config_selectorILNS1_17partition_subalgoE3EjNS0_10empty_typeEbEEZZNS1_14partition_implILS8_3ELb0ES6_jNS0_17counting_iteratorIjlEEPS9_SE_NS0_5tupleIJPjSE_EEENSF_IJSE_SE_EEES9_SG_JZNS1_25segmented_radix_sort_implINS0_14default_configELb1EPKbPbPKlPlN2at6native12_GLOBAL__N_18offset_tEEE10hipError_tPvRmT1_PNSt15iterator_traitsISY_E10value_typeET2_T3_PNSZ_IS14_E10value_typeET4_jRbjT5_S1A_jjP12ihipStream_tbEUljE_EEESV_SW_SX_S14_S18_S1A_T6_T7_T9_mT8_S1C_bDpT10_ENKUlT_T0_E_clISt17integral_constantIbLb0EES1P_EEDaS1K_S1L_EUlS1K_E_NS1_11comp_targetILNS1_3genE9ELNS1_11target_archE1100ELNS1_3gpuE3ELNS1_3repE0EEENS1_30default_config_static_selectorELNS0_4arch9wavefront6targetE1EEEvSY_,"axG",@progbits,_ZN7rocprim17ROCPRIM_400000_NS6detail17trampoline_kernelINS0_13select_configILj256ELj13ELNS0_17block_load_methodE3ELS4_3ELS4_3ELNS0_20block_scan_algorithmE0ELj4294967295EEENS1_25partition_config_selectorILNS1_17partition_subalgoE3EjNS0_10empty_typeEbEEZZNS1_14partition_implILS8_3ELb0ES6_jNS0_17counting_iteratorIjlEEPS9_SE_NS0_5tupleIJPjSE_EEENSF_IJSE_SE_EEES9_SG_JZNS1_25segmented_radix_sort_implINS0_14default_configELb1EPKbPbPKlPlN2at6native12_GLOBAL__N_18offset_tEEE10hipError_tPvRmT1_PNSt15iterator_traitsISY_E10value_typeET2_T3_PNSZ_IS14_E10value_typeET4_jRbjT5_S1A_jjP12ihipStream_tbEUljE_EEESV_SW_SX_S14_S18_S1A_T6_T7_T9_mT8_S1C_bDpT10_ENKUlT_T0_E_clISt17integral_constantIbLb0EES1P_EEDaS1K_S1L_EUlS1K_E_NS1_11comp_targetILNS1_3genE9ELNS1_11target_archE1100ELNS1_3gpuE3ELNS1_3repE0EEENS1_30default_config_static_selectorELNS0_4arch9wavefront6targetE1EEEvSY_,comdat
.Lfunc_end1506:
	.size	_ZN7rocprim17ROCPRIM_400000_NS6detail17trampoline_kernelINS0_13select_configILj256ELj13ELNS0_17block_load_methodE3ELS4_3ELS4_3ELNS0_20block_scan_algorithmE0ELj4294967295EEENS1_25partition_config_selectorILNS1_17partition_subalgoE3EjNS0_10empty_typeEbEEZZNS1_14partition_implILS8_3ELb0ES6_jNS0_17counting_iteratorIjlEEPS9_SE_NS0_5tupleIJPjSE_EEENSF_IJSE_SE_EEES9_SG_JZNS1_25segmented_radix_sort_implINS0_14default_configELb1EPKbPbPKlPlN2at6native12_GLOBAL__N_18offset_tEEE10hipError_tPvRmT1_PNSt15iterator_traitsISY_E10value_typeET2_T3_PNSZ_IS14_E10value_typeET4_jRbjT5_S1A_jjP12ihipStream_tbEUljE_EEESV_SW_SX_S14_S18_S1A_T6_T7_T9_mT8_S1C_bDpT10_ENKUlT_T0_E_clISt17integral_constantIbLb0EES1P_EEDaS1K_S1L_EUlS1K_E_NS1_11comp_targetILNS1_3genE9ELNS1_11target_archE1100ELNS1_3gpuE3ELNS1_3repE0EEENS1_30default_config_static_selectorELNS0_4arch9wavefront6targetE1EEEvSY_, .Lfunc_end1506-_ZN7rocprim17ROCPRIM_400000_NS6detail17trampoline_kernelINS0_13select_configILj256ELj13ELNS0_17block_load_methodE3ELS4_3ELS4_3ELNS0_20block_scan_algorithmE0ELj4294967295EEENS1_25partition_config_selectorILNS1_17partition_subalgoE3EjNS0_10empty_typeEbEEZZNS1_14partition_implILS8_3ELb0ES6_jNS0_17counting_iteratorIjlEEPS9_SE_NS0_5tupleIJPjSE_EEENSF_IJSE_SE_EEES9_SG_JZNS1_25segmented_radix_sort_implINS0_14default_configELb1EPKbPbPKlPlN2at6native12_GLOBAL__N_18offset_tEEE10hipError_tPvRmT1_PNSt15iterator_traitsISY_E10value_typeET2_T3_PNSZ_IS14_E10value_typeET4_jRbjT5_S1A_jjP12ihipStream_tbEUljE_EEESV_SW_SX_S14_S18_S1A_T6_T7_T9_mT8_S1C_bDpT10_ENKUlT_T0_E_clISt17integral_constantIbLb0EES1P_EEDaS1K_S1L_EUlS1K_E_NS1_11comp_targetILNS1_3genE9ELNS1_11target_archE1100ELNS1_3gpuE3ELNS1_3repE0EEENS1_30default_config_static_selectorELNS0_4arch9wavefront6targetE1EEEvSY_
                                        ; -- End function
	.set _ZN7rocprim17ROCPRIM_400000_NS6detail17trampoline_kernelINS0_13select_configILj256ELj13ELNS0_17block_load_methodE3ELS4_3ELS4_3ELNS0_20block_scan_algorithmE0ELj4294967295EEENS1_25partition_config_selectorILNS1_17partition_subalgoE3EjNS0_10empty_typeEbEEZZNS1_14partition_implILS8_3ELb0ES6_jNS0_17counting_iteratorIjlEEPS9_SE_NS0_5tupleIJPjSE_EEENSF_IJSE_SE_EEES9_SG_JZNS1_25segmented_radix_sort_implINS0_14default_configELb1EPKbPbPKlPlN2at6native12_GLOBAL__N_18offset_tEEE10hipError_tPvRmT1_PNSt15iterator_traitsISY_E10value_typeET2_T3_PNSZ_IS14_E10value_typeET4_jRbjT5_S1A_jjP12ihipStream_tbEUljE_EEESV_SW_SX_S14_S18_S1A_T6_T7_T9_mT8_S1C_bDpT10_ENKUlT_T0_E_clISt17integral_constantIbLb0EES1P_EEDaS1K_S1L_EUlS1K_E_NS1_11comp_targetILNS1_3genE9ELNS1_11target_archE1100ELNS1_3gpuE3ELNS1_3repE0EEENS1_30default_config_static_selectorELNS0_4arch9wavefront6targetE1EEEvSY_.num_vgpr, 0
	.set _ZN7rocprim17ROCPRIM_400000_NS6detail17trampoline_kernelINS0_13select_configILj256ELj13ELNS0_17block_load_methodE3ELS4_3ELS4_3ELNS0_20block_scan_algorithmE0ELj4294967295EEENS1_25partition_config_selectorILNS1_17partition_subalgoE3EjNS0_10empty_typeEbEEZZNS1_14partition_implILS8_3ELb0ES6_jNS0_17counting_iteratorIjlEEPS9_SE_NS0_5tupleIJPjSE_EEENSF_IJSE_SE_EEES9_SG_JZNS1_25segmented_radix_sort_implINS0_14default_configELb1EPKbPbPKlPlN2at6native12_GLOBAL__N_18offset_tEEE10hipError_tPvRmT1_PNSt15iterator_traitsISY_E10value_typeET2_T3_PNSZ_IS14_E10value_typeET4_jRbjT5_S1A_jjP12ihipStream_tbEUljE_EEESV_SW_SX_S14_S18_S1A_T6_T7_T9_mT8_S1C_bDpT10_ENKUlT_T0_E_clISt17integral_constantIbLb0EES1P_EEDaS1K_S1L_EUlS1K_E_NS1_11comp_targetILNS1_3genE9ELNS1_11target_archE1100ELNS1_3gpuE3ELNS1_3repE0EEENS1_30default_config_static_selectorELNS0_4arch9wavefront6targetE1EEEvSY_.num_agpr, 0
	.set _ZN7rocprim17ROCPRIM_400000_NS6detail17trampoline_kernelINS0_13select_configILj256ELj13ELNS0_17block_load_methodE3ELS4_3ELS4_3ELNS0_20block_scan_algorithmE0ELj4294967295EEENS1_25partition_config_selectorILNS1_17partition_subalgoE3EjNS0_10empty_typeEbEEZZNS1_14partition_implILS8_3ELb0ES6_jNS0_17counting_iteratorIjlEEPS9_SE_NS0_5tupleIJPjSE_EEENSF_IJSE_SE_EEES9_SG_JZNS1_25segmented_radix_sort_implINS0_14default_configELb1EPKbPbPKlPlN2at6native12_GLOBAL__N_18offset_tEEE10hipError_tPvRmT1_PNSt15iterator_traitsISY_E10value_typeET2_T3_PNSZ_IS14_E10value_typeET4_jRbjT5_S1A_jjP12ihipStream_tbEUljE_EEESV_SW_SX_S14_S18_S1A_T6_T7_T9_mT8_S1C_bDpT10_ENKUlT_T0_E_clISt17integral_constantIbLb0EES1P_EEDaS1K_S1L_EUlS1K_E_NS1_11comp_targetILNS1_3genE9ELNS1_11target_archE1100ELNS1_3gpuE3ELNS1_3repE0EEENS1_30default_config_static_selectorELNS0_4arch9wavefront6targetE1EEEvSY_.numbered_sgpr, 0
	.set _ZN7rocprim17ROCPRIM_400000_NS6detail17trampoline_kernelINS0_13select_configILj256ELj13ELNS0_17block_load_methodE3ELS4_3ELS4_3ELNS0_20block_scan_algorithmE0ELj4294967295EEENS1_25partition_config_selectorILNS1_17partition_subalgoE3EjNS0_10empty_typeEbEEZZNS1_14partition_implILS8_3ELb0ES6_jNS0_17counting_iteratorIjlEEPS9_SE_NS0_5tupleIJPjSE_EEENSF_IJSE_SE_EEES9_SG_JZNS1_25segmented_radix_sort_implINS0_14default_configELb1EPKbPbPKlPlN2at6native12_GLOBAL__N_18offset_tEEE10hipError_tPvRmT1_PNSt15iterator_traitsISY_E10value_typeET2_T3_PNSZ_IS14_E10value_typeET4_jRbjT5_S1A_jjP12ihipStream_tbEUljE_EEESV_SW_SX_S14_S18_S1A_T6_T7_T9_mT8_S1C_bDpT10_ENKUlT_T0_E_clISt17integral_constantIbLb0EES1P_EEDaS1K_S1L_EUlS1K_E_NS1_11comp_targetILNS1_3genE9ELNS1_11target_archE1100ELNS1_3gpuE3ELNS1_3repE0EEENS1_30default_config_static_selectorELNS0_4arch9wavefront6targetE1EEEvSY_.num_named_barrier, 0
	.set _ZN7rocprim17ROCPRIM_400000_NS6detail17trampoline_kernelINS0_13select_configILj256ELj13ELNS0_17block_load_methodE3ELS4_3ELS4_3ELNS0_20block_scan_algorithmE0ELj4294967295EEENS1_25partition_config_selectorILNS1_17partition_subalgoE3EjNS0_10empty_typeEbEEZZNS1_14partition_implILS8_3ELb0ES6_jNS0_17counting_iteratorIjlEEPS9_SE_NS0_5tupleIJPjSE_EEENSF_IJSE_SE_EEES9_SG_JZNS1_25segmented_radix_sort_implINS0_14default_configELb1EPKbPbPKlPlN2at6native12_GLOBAL__N_18offset_tEEE10hipError_tPvRmT1_PNSt15iterator_traitsISY_E10value_typeET2_T3_PNSZ_IS14_E10value_typeET4_jRbjT5_S1A_jjP12ihipStream_tbEUljE_EEESV_SW_SX_S14_S18_S1A_T6_T7_T9_mT8_S1C_bDpT10_ENKUlT_T0_E_clISt17integral_constantIbLb0EES1P_EEDaS1K_S1L_EUlS1K_E_NS1_11comp_targetILNS1_3genE9ELNS1_11target_archE1100ELNS1_3gpuE3ELNS1_3repE0EEENS1_30default_config_static_selectorELNS0_4arch9wavefront6targetE1EEEvSY_.private_seg_size, 0
	.set _ZN7rocprim17ROCPRIM_400000_NS6detail17trampoline_kernelINS0_13select_configILj256ELj13ELNS0_17block_load_methodE3ELS4_3ELS4_3ELNS0_20block_scan_algorithmE0ELj4294967295EEENS1_25partition_config_selectorILNS1_17partition_subalgoE3EjNS0_10empty_typeEbEEZZNS1_14partition_implILS8_3ELb0ES6_jNS0_17counting_iteratorIjlEEPS9_SE_NS0_5tupleIJPjSE_EEENSF_IJSE_SE_EEES9_SG_JZNS1_25segmented_radix_sort_implINS0_14default_configELb1EPKbPbPKlPlN2at6native12_GLOBAL__N_18offset_tEEE10hipError_tPvRmT1_PNSt15iterator_traitsISY_E10value_typeET2_T3_PNSZ_IS14_E10value_typeET4_jRbjT5_S1A_jjP12ihipStream_tbEUljE_EEESV_SW_SX_S14_S18_S1A_T6_T7_T9_mT8_S1C_bDpT10_ENKUlT_T0_E_clISt17integral_constantIbLb0EES1P_EEDaS1K_S1L_EUlS1K_E_NS1_11comp_targetILNS1_3genE9ELNS1_11target_archE1100ELNS1_3gpuE3ELNS1_3repE0EEENS1_30default_config_static_selectorELNS0_4arch9wavefront6targetE1EEEvSY_.uses_vcc, 0
	.set _ZN7rocprim17ROCPRIM_400000_NS6detail17trampoline_kernelINS0_13select_configILj256ELj13ELNS0_17block_load_methodE3ELS4_3ELS4_3ELNS0_20block_scan_algorithmE0ELj4294967295EEENS1_25partition_config_selectorILNS1_17partition_subalgoE3EjNS0_10empty_typeEbEEZZNS1_14partition_implILS8_3ELb0ES6_jNS0_17counting_iteratorIjlEEPS9_SE_NS0_5tupleIJPjSE_EEENSF_IJSE_SE_EEES9_SG_JZNS1_25segmented_radix_sort_implINS0_14default_configELb1EPKbPbPKlPlN2at6native12_GLOBAL__N_18offset_tEEE10hipError_tPvRmT1_PNSt15iterator_traitsISY_E10value_typeET2_T3_PNSZ_IS14_E10value_typeET4_jRbjT5_S1A_jjP12ihipStream_tbEUljE_EEESV_SW_SX_S14_S18_S1A_T6_T7_T9_mT8_S1C_bDpT10_ENKUlT_T0_E_clISt17integral_constantIbLb0EES1P_EEDaS1K_S1L_EUlS1K_E_NS1_11comp_targetILNS1_3genE9ELNS1_11target_archE1100ELNS1_3gpuE3ELNS1_3repE0EEENS1_30default_config_static_selectorELNS0_4arch9wavefront6targetE1EEEvSY_.uses_flat_scratch, 0
	.set _ZN7rocprim17ROCPRIM_400000_NS6detail17trampoline_kernelINS0_13select_configILj256ELj13ELNS0_17block_load_methodE3ELS4_3ELS4_3ELNS0_20block_scan_algorithmE0ELj4294967295EEENS1_25partition_config_selectorILNS1_17partition_subalgoE3EjNS0_10empty_typeEbEEZZNS1_14partition_implILS8_3ELb0ES6_jNS0_17counting_iteratorIjlEEPS9_SE_NS0_5tupleIJPjSE_EEENSF_IJSE_SE_EEES9_SG_JZNS1_25segmented_radix_sort_implINS0_14default_configELb1EPKbPbPKlPlN2at6native12_GLOBAL__N_18offset_tEEE10hipError_tPvRmT1_PNSt15iterator_traitsISY_E10value_typeET2_T3_PNSZ_IS14_E10value_typeET4_jRbjT5_S1A_jjP12ihipStream_tbEUljE_EEESV_SW_SX_S14_S18_S1A_T6_T7_T9_mT8_S1C_bDpT10_ENKUlT_T0_E_clISt17integral_constantIbLb0EES1P_EEDaS1K_S1L_EUlS1K_E_NS1_11comp_targetILNS1_3genE9ELNS1_11target_archE1100ELNS1_3gpuE3ELNS1_3repE0EEENS1_30default_config_static_selectorELNS0_4arch9wavefront6targetE1EEEvSY_.has_dyn_sized_stack, 0
	.set _ZN7rocprim17ROCPRIM_400000_NS6detail17trampoline_kernelINS0_13select_configILj256ELj13ELNS0_17block_load_methodE3ELS4_3ELS4_3ELNS0_20block_scan_algorithmE0ELj4294967295EEENS1_25partition_config_selectorILNS1_17partition_subalgoE3EjNS0_10empty_typeEbEEZZNS1_14partition_implILS8_3ELb0ES6_jNS0_17counting_iteratorIjlEEPS9_SE_NS0_5tupleIJPjSE_EEENSF_IJSE_SE_EEES9_SG_JZNS1_25segmented_radix_sort_implINS0_14default_configELb1EPKbPbPKlPlN2at6native12_GLOBAL__N_18offset_tEEE10hipError_tPvRmT1_PNSt15iterator_traitsISY_E10value_typeET2_T3_PNSZ_IS14_E10value_typeET4_jRbjT5_S1A_jjP12ihipStream_tbEUljE_EEESV_SW_SX_S14_S18_S1A_T6_T7_T9_mT8_S1C_bDpT10_ENKUlT_T0_E_clISt17integral_constantIbLb0EES1P_EEDaS1K_S1L_EUlS1K_E_NS1_11comp_targetILNS1_3genE9ELNS1_11target_archE1100ELNS1_3gpuE3ELNS1_3repE0EEENS1_30default_config_static_selectorELNS0_4arch9wavefront6targetE1EEEvSY_.has_recursion, 0
	.set _ZN7rocprim17ROCPRIM_400000_NS6detail17trampoline_kernelINS0_13select_configILj256ELj13ELNS0_17block_load_methodE3ELS4_3ELS4_3ELNS0_20block_scan_algorithmE0ELj4294967295EEENS1_25partition_config_selectorILNS1_17partition_subalgoE3EjNS0_10empty_typeEbEEZZNS1_14partition_implILS8_3ELb0ES6_jNS0_17counting_iteratorIjlEEPS9_SE_NS0_5tupleIJPjSE_EEENSF_IJSE_SE_EEES9_SG_JZNS1_25segmented_radix_sort_implINS0_14default_configELb1EPKbPbPKlPlN2at6native12_GLOBAL__N_18offset_tEEE10hipError_tPvRmT1_PNSt15iterator_traitsISY_E10value_typeET2_T3_PNSZ_IS14_E10value_typeET4_jRbjT5_S1A_jjP12ihipStream_tbEUljE_EEESV_SW_SX_S14_S18_S1A_T6_T7_T9_mT8_S1C_bDpT10_ENKUlT_T0_E_clISt17integral_constantIbLb0EES1P_EEDaS1K_S1L_EUlS1K_E_NS1_11comp_targetILNS1_3genE9ELNS1_11target_archE1100ELNS1_3gpuE3ELNS1_3repE0EEENS1_30default_config_static_selectorELNS0_4arch9wavefront6targetE1EEEvSY_.has_indirect_call, 0
	.section	.AMDGPU.csdata,"",@progbits
; Kernel info:
; codeLenInByte = 0
; TotalNumSgprs: 4
; NumVgprs: 0
; ScratchSize: 0
; MemoryBound: 0
; FloatMode: 240
; IeeeMode: 1
; LDSByteSize: 0 bytes/workgroup (compile time only)
; SGPRBlocks: 0
; VGPRBlocks: 0
; NumSGPRsForWavesPerEU: 4
; NumVGPRsForWavesPerEU: 1
; Occupancy: 10
; WaveLimiterHint : 0
; COMPUTE_PGM_RSRC2:SCRATCH_EN: 0
; COMPUTE_PGM_RSRC2:USER_SGPR: 6
; COMPUTE_PGM_RSRC2:TRAP_HANDLER: 0
; COMPUTE_PGM_RSRC2:TGID_X_EN: 1
; COMPUTE_PGM_RSRC2:TGID_Y_EN: 0
; COMPUTE_PGM_RSRC2:TGID_Z_EN: 0
; COMPUTE_PGM_RSRC2:TIDIG_COMP_CNT: 0
	.section	.text._ZN7rocprim17ROCPRIM_400000_NS6detail17trampoline_kernelINS0_13select_configILj256ELj13ELNS0_17block_load_methodE3ELS4_3ELS4_3ELNS0_20block_scan_algorithmE0ELj4294967295EEENS1_25partition_config_selectorILNS1_17partition_subalgoE3EjNS0_10empty_typeEbEEZZNS1_14partition_implILS8_3ELb0ES6_jNS0_17counting_iteratorIjlEEPS9_SE_NS0_5tupleIJPjSE_EEENSF_IJSE_SE_EEES9_SG_JZNS1_25segmented_radix_sort_implINS0_14default_configELb1EPKbPbPKlPlN2at6native12_GLOBAL__N_18offset_tEEE10hipError_tPvRmT1_PNSt15iterator_traitsISY_E10value_typeET2_T3_PNSZ_IS14_E10value_typeET4_jRbjT5_S1A_jjP12ihipStream_tbEUljE_EEESV_SW_SX_S14_S18_S1A_T6_T7_T9_mT8_S1C_bDpT10_ENKUlT_T0_E_clISt17integral_constantIbLb0EES1P_EEDaS1K_S1L_EUlS1K_E_NS1_11comp_targetILNS1_3genE8ELNS1_11target_archE1030ELNS1_3gpuE2ELNS1_3repE0EEENS1_30default_config_static_selectorELNS0_4arch9wavefront6targetE1EEEvSY_,"axG",@progbits,_ZN7rocprim17ROCPRIM_400000_NS6detail17trampoline_kernelINS0_13select_configILj256ELj13ELNS0_17block_load_methodE3ELS4_3ELS4_3ELNS0_20block_scan_algorithmE0ELj4294967295EEENS1_25partition_config_selectorILNS1_17partition_subalgoE3EjNS0_10empty_typeEbEEZZNS1_14partition_implILS8_3ELb0ES6_jNS0_17counting_iteratorIjlEEPS9_SE_NS0_5tupleIJPjSE_EEENSF_IJSE_SE_EEES9_SG_JZNS1_25segmented_radix_sort_implINS0_14default_configELb1EPKbPbPKlPlN2at6native12_GLOBAL__N_18offset_tEEE10hipError_tPvRmT1_PNSt15iterator_traitsISY_E10value_typeET2_T3_PNSZ_IS14_E10value_typeET4_jRbjT5_S1A_jjP12ihipStream_tbEUljE_EEESV_SW_SX_S14_S18_S1A_T6_T7_T9_mT8_S1C_bDpT10_ENKUlT_T0_E_clISt17integral_constantIbLb0EES1P_EEDaS1K_S1L_EUlS1K_E_NS1_11comp_targetILNS1_3genE8ELNS1_11target_archE1030ELNS1_3gpuE2ELNS1_3repE0EEENS1_30default_config_static_selectorELNS0_4arch9wavefront6targetE1EEEvSY_,comdat
	.globl	_ZN7rocprim17ROCPRIM_400000_NS6detail17trampoline_kernelINS0_13select_configILj256ELj13ELNS0_17block_load_methodE3ELS4_3ELS4_3ELNS0_20block_scan_algorithmE0ELj4294967295EEENS1_25partition_config_selectorILNS1_17partition_subalgoE3EjNS0_10empty_typeEbEEZZNS1_14partition_implILS8_3ELb0ES6_jNS0_17counting_iteratorIjlEEPS9_SE_NS0_5tupleIJPjSE_EEENSF_IJSE_SE_EEES9_SG_JZNS1_25segmented_radix_sort_implINS0_14default_configELb1EPKbPbPKlPlN2at6native12_GLOBAL__N_18offset_tEEE10hipError_tPvRmT1_PNSt15iterator_traitsISY_E10value_typeET2_T3_PNSZ_IS14_E10value_typeET4_jRbjT5_S1A_jjP12ihipStream_tbEUljE_EEESV_SW_SX_S14_S18_S1A_T6_T7_T9_mT8_S1C_bDpT10_ENKUlT_T0_E_clISt17integral_constantIbLb0EES1P_EEDaS1K_S1L_EUlS1K_E_NS1_11comp_targetILNS1_3genE8ELNS1_11target_archE1030ELNS1_3gpuE2ELNS1_3repE0EEENS1_30default_config_static_selectorELNS0_4arch9wavefront6targetE1EEEvSY_ ; -- Begin function _ZN7rocprim17ROCPRIM_400000_NS6detail17trampoline_kernelINS0_13select_configILj256ELj13ELNS0_17block_load_methodE3ELS4_3ELS4_3ELNS0_20block_scan_algorithmE0ELj4294967295EEENS1_25partition_config_selectorILNS1_17partition_subalgoE3EjNS0_10empty_typeEbEEZZNS1_14partition_implILS8_3ELb0ES6_jNS0_17counting_iteratorIjlEEPS9_SE_NS0_5tupleIJPjSE_EEENSF_IJSE_SE_EEES9_SG_JZNS1_25segmented_radix_sort_implINS0_14default_configELb1EPKbPbPKlPlN2at6native12_GLOBAL__N_18offset_tEEE10hipError_tPvRmT1_PNSt15iterator_traitsISY_E10value_typeET2_T3_PNSZ_IS14_E10value_typeET4_jRbjT5_S1A_jjP12ihipStream_tbEUljE_EEESV_SW_SX_S14_S18_S1A_T6_T7_T9_mT8_S1C_bDpT10_ENKUlT_T0_E_clISt17integral_constantIbLb0EES1P_EEDaS1K_S1L_EUlS1K_E_NS1_11comp_targetILNS1_3genE8ELNS1_11target_archE1030ELNS1_3gpuE2ELNS1_3repE0EEENS1_30default_config_static_selectorELNS0_4arch9wavefront6targetE1EEEvSY_
	.p2align	8
	.type	_ZN7rocprim17ROCPRIM_400000_NS6detail17trampoline_kernelINS0_13select_configILj256ELj13ELNS0_17block_load_methodE3ELS4_3ELS4_3ELNS0_20block_scan_algorithmE0ELj4294967295EEENS1_25partition_config_selectorILNS1_17partition_subalgoE3EjNS0_10empty_typeEbEEZZNS1_14partition_implILS8_3ELb0ES6_jNS0_17counting_iteratorIjlEEPS9_SE_NS0_5tupleIJPjSE_EEENSF_IJSE_SE_EEES9_SG_JZNS1_25segmented_radix_sort_implINS0_14default_configELb1EPKbPbPKlPlN2at6native12_GLOBAL__N_18offset_tEEE10hipError_tPvRmT1_PNSt15iterator_traitsISY_E10value_typeET2_T3_PNSZ_IS14_E10value_typeET4_jRbjT5_S1A_jjP12ihipStream_tbEUljE_EEESV_SW_SX_S14_S18_S1A_T6_T7_T9_mT8_S1C_bDpT10_ENKUlT_T0_E_clISt17integral_constantIbLb0EES1P_EEDaS1K_S1L_EUlS1K_E_NS1_11comp_targetILNS1_3genE8ELNS1_11target_archE1030ELNS1_3gpuE2ELNS1_3repE0EEENS1_30default_config_static_selectorELNS0_4arch9wavefront6targetE1EEEvSY_,@function
_ZN7rocprim17ROCPRIM_400000_NS6detail17trampoline_kernelINS0_13select_configILj256ELj13ELNS0_17block_load_methodE3ELS4_3ELS4_3ELNS0_20block_scan_algorithmE0ELj4294967295EEENS1_25partition_config_selectorILNS1_17partition_subalgoE3EjNS0_10empty_typeEbEEZZNS1_14partition_implILS8_3ELb0ES6_jNS0_17counting_iteratorIjlEEPS9_SE_NS0_5tupleIJPjSE_EEENSF_IJSE_SE_EEES9_SG_JZNS1_25segmented_radix_sort_implINS0_14default_configELb1EPKbPbPKlPlN2at6native12_GLOBAL__N_18offset_tEEE10hipError_tPvRmT1_PNSt15iterator_traitsISY_E10value_typeET2_T3_PNSZ_IS14_E10value_typeET4_jRbjT5_S1A_jjP12ihipStream_tbEUljE_EEESV_SW_SX_S14_S18_S1A_T6_T7_T9_mT8_S1C_bDpT10_ENKUlT_T0_E_clISt17integral_constantIbLb0EES1P_EEDaS1K_S1L_EUlS1K_E_NS1_11comp_targetILNS1_3genE8ELNS1_11target_archE1030ELNS1_3gpuE2ELNS1_3repE0EEENS1_30default_config_static_selectorELNS0_4arch9wavefront6targetE1EEEvSY_: ; @_ZN7rocprim17ROCPRIM_400000_NS6detail17trampoline_kernelINS0_13select_configILj256ELj13ELNS0_17block_load_methodE3ELS4_3ELS4_3ELNS0_20block_scan_algorithmE0ELj4294967295EEENS1_25partition_config_selectorILNS1_17partition_subalgoE3EjNS0_10empty_typeEbEEZZNS1_14partition_implILS8_3ELb0ES6_jNS0_17counting_iteratorIjlEEPS9_SE_NS0_5tupleIJPjSE_EEENSF_IJSE_SE_EEES9_SG_JZNS1_25segmented_radix_sort_implINS0_14default_configELb1EPKbPbPKlPlN2at6native12_GLOBAL__N_18offset_tEEE10hipError_tPvRmT1_PNSt15iterator_traitsISY_E10value_typeET2_T3_PNSZ_IS14_E10value_typeET4_jRbjT5_S1A_jjP12ihipStream_tbEUljE_EEESV_SW_SX_S14_S18_S1A_T6_T7_T9_mT8_S1C_bDpT10_ENKUlT_T0_E_clISt17integral_constantIbLb0EES1P_EEDaS1K_S1L_EUlS1K_E_NS1_11comp_targetILNS1_3genE8ELNS1_11target_archE1030ELNS1_3gpuE2ELNS1_3repE0EEENS1_30default_config_static_selectorELNS0_4arch9wavefront6targetE1EEEvSY_
; %bb.0:
	.section	.rodata,"a",@progbits
	.p2align	6, 0x0
	.amdhsa_kernel _ZN7rocprim17ROCPRIM_400000_NS6detail17trampoline_kernelINS0_13select_configILj256ELj13ELNS0_17block_load_methodE3ELS4_3ELS4_3ELNS0_20block_scan_algorithmE0ELj4294967295EEENS1_25partition_config_selectorILNS1_17partition_subalgoE3EjNS0_10empty_typeEbEEZZNS1_14partition_implILS8_3ELb0ES6_jNS0_17counting_iteratorIjlEEPS9_SE_NS0_5tupleIJPjSE_EEENSF_IJSE_SE_EEES9_SG_JZNS1_25segmented_radix_sort_implINS0_14default_configELb1EPKbPbPKlPlN2at6native12_GLOBAL__N_18offset_tEEE10hipError_tPvRmT1_PNSt15iterator_traitsISY_E10value_typeET2_T3_PNSZ_IS14_E10value_typeET4_jRbjT5_S1A_jjP12ihipStream_tbEUljE_EEESV_SW_SX_S14_S18_S1A_T6_T7_T9_mT8_S1C_bDpT10_ENKUlT_T0_E_clISt17integral_constantIbLb0EES1P_EEDaS1K_S1L_EUlS1K_E_NS1_11comp_targetILNS1_3genE8ELNS1_11target_archE1030ELNS1_3gpuE2ELNS1_3repE0EEENS1_30default_config_static_selectorELNS0_4arch9wavefront6targetE1EEEvSY_
		.amdhsa_group_segment_fixed_size 0
		.amdhsa_private_segment_fixed_size 0
		.amdhsa_kernarg_size 144
		.amdhsa_user_sgpr_count 6
		.amdhsa_user_sgpr_private_segment_buffer 1
		.amdhsa_user_sgpr_dispatch_ptr 0
		.amdhsa_user_sgpr_queue_ptr 0
		.amdhsa_user_sgpr_kernarg_segment_ptr 1
		.amdhsa_user_sgpr_dispatch_id 0
		.amdhsa_user_sgpr_flat_scratch_init 0
		.amdhsa_user_sgpr_private_segment_size 0
		.amdhsa_uses_dynamic_stack 0
		.amdhsa_system_sgpr_private_segment_wavefront_offset 0
		.amdhsa_system_sgpr_workgroup_id_x 1
		.amdhsa_system_sgpr_workgroup_id_y 0
		.amdhsa_system_sgpr_workgroup_id_z 0
		.amdhsa_system_sgpr_workgroup_info 0
		.amdhsa_system_vgpr_workitem_id 0
		.amdhsa_next_free_vgpr 1
		.amdhsa_next_free_sgpr 0
		.amdhsa_reserve_vcc 0
		.amdhsa_reserve_flat_scratch 0
		.amdhsa_float_round_mode_32 0
		.amdhsa_float_round_mode_16_64 0
		.amdhsa_float_denorm_mode_32 3
		.amdhsa_float_denorm_mode_16_64 3
		.amdhsa_dx10_clamp 1
		.amdhsa_ieee_mode 1
		.amdhsa_fp16_overflow 0
		.amdhsa_exception_fp_ieee_invalid_op 0
		.amdhsa_exception_fp_denorm_src 0
		.amdhsa_exception_fp_ieee_div_zero 0
		.amdhsa_exception_fp_ieee_overflow 0
		.amdhsa_exception_fp_ieee_underflow 0
		.amdhsa_exception_fp_ieee_inexact 0
		.amdhsa_exception_int_div_zero 0
	.end_amdhsa_kernel
	.section	.text._ZN7rocprim17ROCPRIM_400000_NS6detail17trampoline_kernelINS0_13select_configILj256ELj13ELNS0_17block_load_methodE3ELS4_3ELS4_3ELNS0_20block_scan_algorithmE0ELj4294967295EEENS1_25partition_config_selectorILNS1_17partition_subalgoE3EjNS0_10empty_typeEbEEZZNS1_14partition_implILS8_3ELb0ES6_jNS0_17counting_iteratorIjlEEPS9_SE_NS0_5tupleIJPjSE_EEENSF_IJSE_SE_EEES9_SG_JZNS1_25segmented_radix_sort_implINS0_14default_configELb1EPKbPbPKlPlN2at6native12_GLOBAL__N_18offset_tEEE10hipError_tPvRmT1_PNSt15iterator_traitsISY_E10value_typeET2_T3_PNSZ_IS14_E10value_typeET4_jRbjT5_S1A_jjP12ihipStream_tbEUljE_EEESV_SW_SX_S14_S18_S1A_T6_T7_T9_mT8_S1C_bDpT10_ENKUlT_T0_E_clISt17integral_constantIbLb0EES1P_EEDaS1K_S1L_EUlS1K_E_NS1_11comp_targetILNS1_3genE8ELNS1_11target_archE1030ELNS1_3gpuE2ELNS1_3repE0EEENS1_30default_config_static_selectorELNS0_4arch9wavefront6targetE1EEEvSY_,"axG",@progbits,_ZN7rocprim17ROCPRIM_400000_NS6detail17trampoline_kernelINS0_13select_configILj256ELj13ELNS0_17block_load_methodE3ELS4_3ELS4_3ELNS0_20block_scan_algorithmE0ELj4294967295EEENS1_25partition_config_selectorILNS1_17partition_subalgoE3EjNS0_10empty_typeEbEEZZNS1_14partition_implILS8_3ELb0ES6_jNS0_17counting_iteratorIjlEEPS9_SE_NS0_5tupleIJPjSE_EEENSF_IJSE_SE_EEES9_SG_JZNS1_25segmented_radix_sort_implINS0_14default_configELb1EPKbPbPKlPlN2at6native12_GLOBAL__N_18offset_tEEE10hipError_tPvRmT1_PNSt15iterator_traitsISY_E10value_typeET2_T3_PNSZ_IS14_E10value_typeET4_jRbjT5_S1A_jjP12ihipStream_tbEUljE_EEESV_SW_SX_S14_S18_S1A_T6_T7_T9_mT8_S1C_bDpT10_ENKUlT_T0_E_clISt17integral_constantIbLb0EES1P_EEDaS1K_S1L_EUlS1K_E_NS1_11comp_targetILNS1_3genE8ELNS1_11target_archE1030ELNS1_3gpuE2ELNS1_3repE0EEENS1_30default_config_static_selectorELNS0_4arch9wavefront6targetE1EEEvSY_,comdat
.Lfunc_end1507:
	.size	_ZN7rocprim17ROCPRIM_400000_NS6detail17trampoline_kernelINS0_13select_configILj256ELj13ELNS0_17block_load_methodE3ELS4_3ELS4_3ELNS0_20block_scan_algorithmE0ELj4294967295EEENS1_25partition_config_selectorILNS1_17partition_subalgoE3EjNS0_10empty_typeEbEEZZNS1_14partition_implILS8_3ELb0ES6_jNS0_17counting_iteratorIjlEEPS9_SE_NS0_5tupleIJPjSE_EEENSF_IJSE_SE_EEES9_SG_JZNS1_25segmented_radix_sort_implINS0_14default_configELb1EPKbPbPKlPlN2at6native12_GLOBAL__N_18offset_tEEE10hipError_tPvRmT1_PNSt15iterator_traitsISY_E10value_typeET2_T3_PNSZ_IS14_E10value_typeET4_jRbjT5_S1A_jjP12ihipStream_tbEUljE_EEESV_SW_SX_S14_S18_S1A_T6_T7_T9_mT8_S1C_bDpT10_ENKUlT_T0_E_clISt17integral_constantIbLb0EES1P_EEDaS1K_S1L_EUlS1K_E_NS1_11comp_targetILNS1_3genE8ELNS1_11target_archE1030ELNS1_3gpuE2ELNS1_3repE0EEENS1_30default_config_static_selectorELNS0_4arch9wavefront6targetE1EEEvSY_, .Lfunc_end1507-_ZN7rocprim17ROCPRIM_400000_NS6detail17trampoline_kernelINS0_13select_configILj256ELj13ELNS0_17block_load_methodE3ELS4_3ELS4_3ELNS0_20block_scan_algorithmE0ELj4294967295EEENS1_25partition_config_selectorILNS1_17partition_subalgoE3EjNS0_10empty_typeEbEEZZNS1_14partition_implILS8_3ELb0ES6_jNS0_17counting_iteratorIjlEEPS9_SE_NS0_5tupleIJPjSE_EEENSF_IJSE_SE_EEES9_SG_JZNS1_25segmented_radix_sort_implINS0_14default_configELb1EPKbPbPKlPlN2at6native12_GLOBAL__N_18offset_tEEE10hipError_tPvRmT1_PNSt15iterator_traitsISY_E10value_typeET2_T3_PNSZ_IS14_E10value_typeET4_jRbjT5_S1A_jjP12ihipStream_tbEUljE_EEESV_SW_SX_S14_S18_S1A_T6_T7_T9_mT8_S1C_bDpT10_ENKUlT_T0_E_clISt17integral_constantIbLb0EES1P_EEDaS1K_S1L_EUlS1K_E_NS1_11comp_targetILNS1_3genE8ELNS1_11target_archE1030ELNS1_3gpuE2ELNS1_3repE0EEENS1_30default_config_static_selectorELNS0_4arch9wavefront6targetE1EEEvSY_
                                        ; -- End function
	.set _ZN7rocprim17ROCPRIM_400000_NS6detail17trampoline_kernelINS0_13select_configILj256ELj13ELNS0_17block_load_methodE3ELS4_3ELS4_3ELNS0_20block_scan_algorithmE0ELj4294967295EEENS1_25partition_config_selectorILNS1_17partition_subalgoE3EjNS0_10empty_typeEbEEZZNS1_14partition_implILS8_3ELb0ES6_jNS0_17counting_iteratorIjlEEPS9_SE_NS0_5tupleIJPjSE_EEENSF_IJSE_SE_EEES9_SG_JZNS1_25segmented_radix_sort_implINS0_14default_configELb1EPKbPbPKlPlN2at6native12_GLOBAL__N_18offset_tEEE10hipError_tPvRmT1_PNSt15iterator_traitsISY_E10value_typeET2_T3_PNSZ_IS14_E10value_typeET4_jRbjT5_S1A_jjP12ihipStream_tbEUljE_EEESV_SW_SX_S14_S18_S1A_T6_T7_T9_mT8_S1C_bDpT10_ENKUlT_T0_E_clISt17integral_constantIbLb0EES1P_EEDaS1K_S1L_EUlS1K_E_NS1_11comp_targetILNS1_3genE8ELNS1_11target_archE1030ELNS1_3gpuE2ELNS1_3repE0EEENS1_30default_config_static_selectorELNS0_4arch9wavefront6targetE1EEEvSY_.num_vgpr, 0
	.set _ZN7rocprim17ROCPRIM_400000_NS6detail17trampoline_kernelINS0_13select_configILj256ELj13ELNS0_17block_load_methodE3ELS4_3ELS4_3ELNS0_20block_scan_algorithmE0ELj4294967295EEENS1_25partition_config_selectorILNS1_17partition_subalgoE3EjNS0_10empty_typeEbEEZZNS1_14partition_implILS8_3ELb0ES6_jNS0_17counting_iteratorIjlEEPS9_SE_NS0_5tupleIJPjSE_EEENSF_IJSE_SE_EEES9_SG_JZNS1_25segmented_radix_sort_implINS0_14default_configELb1EPKbPbPKlPlN2at6native12_GLOBAL__N_18offset_tEEE10hipError_tPvRmT1_PNSt15iterator_traitsISY_E10value_typeET2_T3_PNSZ_IS14_E10value_typeET4_jRbjT5_S1A_jjP12ihipStream_tbEUljE_EEESV_SW_SX_S14_S18_S1A_T6_T7_T9_mT8_S1C_bDpT10_ENKUlT_T0_E_clISt17integral_constantIbLb0EES1P_EEDaS1K_S1L_EUlS1K_E_NS1_11comp_targetILNS1_3genE8ELNS1_11target_archE1030ELNS1_3gpuE2ELNS1_3repE0EEENS1_30default_config_static_selectorELNS0_4arch9wavefront6targetE1EEEvSY_.num_agpr, 0
	.set _ZN7rocprim17ROCPRIM_400000_NS6detail17trampoline_kernelINS0_13select_configILj256ELj13ELNS0_17block_load_methodE3ELS4_3ELS4_3ELNS0_20block_scan_algorithmE0ELj4294967295EEENS1_25partition_config_selectorILNS1_17partition_subalgoE3EjNS0_10empty_typeEbEEZZNS1_14partition_implILS8_3ELb0ES6_jNS0_17counting_iteratorIjlEEPS9_SE_NS0_5tupleIJPjSE_EEENSF_IJSE_SE_EEES9_SG_JZNS1_25segmented_radix_sort_implINS0_14default_configELb1EPKbPbPKlPlN2at6native12_GLOBAL__N_18offset_tEEE10hipError_tPvRmT1_PNSt15iterator_traitsISY_E10value_typeET2_T3_PNSZ_IS14_E10value_typeET4_jRbjT5_S1A_jjP12ihipStream_tbEUljE_EEESV_SW_SX_S14_S18_S1A_T6_T7_T9_mT8_S1C_bDpT10_ENKUlT_T0_E_clISt17integral_constantIbLb0EES1P_EEDaS1K_S1L_EUlS1K_E_NS1_11comp_targetILNS1_3genE8ELNS1_11target_archE1030ELNS1_3gpuE2ELNS1_3repE0EEENS1_30default_config_static_selectorELNS0_4arch9wavefront6targetE1EEEvSY_.numbered_sgpr, 0
	.set _ZN7rocprim17ROCPRIM_400000_NS6detail17trampoline_kernelINS0_13select_configILj256ELj13ELNS0_17block_load_methodE3ELS4_3ELS4_3ELNS0_20block_scan_algorithmE0ELj4294967295EEENS1_25partition_config_selectorILNS1_17partition_subalgoE3EjNS0_10empty_typeEbEEZZNS1_14partition_implILS8_3ELb0ES6_jNS0_17counting_iteratorIjlEEPS9_SE_NS0_5tupleIJPjSE_EEENSF_IJSE_SE_EEES9_SG_JZNS1_25segmented_radix_sort_implINS0_14default_configELb1EPKbPbPKlPlN2at6native12_GLOBAL__N_18offset_tEEE10hipError_tPvRmT1_PNSt15iterator_traitsISY_E10value_typeET2_T3_PNSZ_IS14_E10value_typeET4_jRbjT5_S1A_jjP12ihipStream_tbEUljE_EEESV_SW_SX_S14_S18_S1A_T6_T7_T9_mT8_S1C_bDpT10_ENKUlT_T0_E_clISt17integral_constantIbLb0EES1P_EEDaS1K_S1L_EUlS1K_E_NS1_11comp_targetILNS1_3genE8ELNS1_11target_archE1030ELNS1_3gpuE2ELNS1_3repE0EEENS1_30default_config_static_selectorELNS0_4arch9wavefront6targetE1EEEvSY_.num_named_barrier, 0
	.set _ZN7rocprim17ROCPRIM_400000_NS6detail17trampoline_kernelINS0_13select_configILj256ELj13ELNS0_17block_load_methodE3ELS4_3ELS4_3ELNS0_20block_scan_algorithmE0ELj4294967295EEENS1_25partition_config_selectorILNS1_17partition_subalgoE3EjNS0_10empty_typeEbEEZZNS1_14partition_implILS8_3ELb0ES6_jNS0_17counting_iteratorIjlEEPS9_SE_NS0_5tupleIJPjSE_EEENSF_IJSE_SE_EEES9_SG_JZNS1_25segmented_radix_sort_implINS0_14default_configELb1EPKbPbPKlPlN2at6native12_GLOBAL__N_18offset_tEEE10hipError_tPvRmT1_PNSt15iterator_traitsISY_E10value_typeET2_T3_PNSZ_IS14_E10value_typeET4_jRbjT5_S1A_jjP12ihipStream_tbEUljE_EEESV_SW_SX_S14_S18_S1A_T6_T7_T9_mT8_S1C_bDpT10_ENKUlT_T0_E_clISt17integral_constantIbLb0EES1P_EEDaS1K_S1L_EUlS1K_E_NS1_11comp_targetILNS1_3genE8ELNS1_11target_archE1030ELNS1_3gpuE2ELNS1_3repE0EEENS1_30default_config_static_selectorELNS0_4arch9wavefront6targetE1EEEvSY_.private_seg_size, 0
	.set _ZN7rocprim17ROCPRIM_400000_NS6detail17trampoline_kernelINS0_13select_configILj256ELj13ELNS0_17block_load_methodE3ELS4_3ELS4_3ELNS0_20block_scan_algorithmE0ELj4294967295EEENS1_25partition_config_selectorILNS1_17partition_subalgoE3EjNS0_10empty_typeEbEEZZNS1_14partition_implILS8_3ELb0ES6_jNS0_17counting_iteratorIjlEEPS9_SE_NS0_5tupleIJPjSE_EEENSF_IJSE_SE_EEES9_SG_JZNS1_25segmented_radix_sort_implINS0_14default_configELb1EPKbPbPKlPlN2at6native12_GLOBAL__N_18offset_tEEE10hipError_tPvRmT1_PNSt15iterator_traitsISY_E10value_typeET2_T3_PNSZ_IS14_E10value_typeET4_jRbjT5_S1A_jjP12ihipStream_tbEUljE_EEESV_SW_SX_S14_S18_S1A_T6_T7_T9_mT8_S1C_bDpT10_ENKUlT_T0_E_clISt17integral_constantIbLb0EES1P_EEDaS1K_S1L_EUlS1K_E_NS1_11comp_targetILNS1_3genE8ELNS1_11target_archE1030ELNS1_3gpuE2ELNS1_3repE0EEENS1_30default_config_static_selectorELNS0_4arch9wavefront6targetE1EEEvSY_.uses_vcc, 0
	.set _ZN7rocprim17ROCPRIM_400000_NS6detail17trampoline_kernelINS0_13select_configILj256ELj13ELNS0_17block_load_methodE3ELS4_3ELS4_3ELNS0_20block_scan_algorithmE0ELj4294967295EEENS1_25partition_config_selectorILNS1_17partition_subalgoE3EjNS0_10empty_typeEbEEZZNS1_14partition_implILS8_3ELb0ES6_jNS0_17counting_iteratorIjlEEPS9_SE_NS0_5tupleIJPjSE_EEENSF_IJSE_SE_EEES9_SG_JZNS1_25segmented_radix_sort_implINS0_14default_configELb1EPKbPbPKlPlN2at6native12_GLOBAL__N_18offset_tEEE10hipError_tPvRmT1_PNSt15iterator_traitsISY_E10value_typeET2_T3_PNSZ_IS14_E10value_typeET4_jRbjT5_S1A_jjP12ihipStream_tbEUljE_EEESV_SW_SX_S14_S18_S1A_T6_T7_T9_mT8_S1C_bDpT10_ENKUlT_T0_E_clISt17integral_constantIbLb0EES1P_EEDaS1K_S1L_EUlS1K_E_NS1_11comp_targetILNS1_3genE8ELNS1_11target_archE1030ELNS1_3gpuE2ELNS1_3repE0EEENS1_30default_config_static_selectorELNS0_4arch9wavefront6targetE1EEEvSY_.uses_flat_scratch, 0
	.set _ZN7rocprim17ROCPRIM_400000_NS6detail17trampoline_kernelINS0_13select_configILj256ELj13ELNS0_17block_load_methodE3ELS4_3ELS4_3ELNS0_20block_scan_algorithmE0ELj4294967295EEENS1_25partition_config_selectorILNS1_17partition_subalgoE3EjNS0_10empty_typeEbEEZZNS1_14partition_implILS8_3ELb0ES6_jNS0_17counting_iteratorIjlEEPS9_SE_NS0_5tupleIJPjSE_EEENSF_IJSE_SE_EEES9_SG_JZNS1_25segmented_radix_sort_implINS0_14default_configELb1EPKbPbPKlPlN2at6native12_GLOBAL__N_18offset_tEEE10hipError_tPvRmT1_PNSt15iterator_traitsISY_E10value_typeET2_T3_PNSZ_IS14_E10value_typeET4_jRbjT5_S1A_jjP12ihipStream_tbEUljE_EEESV_SW_SX_S14_S18_S1A_T6_T7_T9_mT8_S1C_bDpT10_ENKUlT_T0_E_clISt17integral_constantIbLb0EES1P_EEDaS1K_S1L_EUlS1K_E_NS1_11comp_targetILNS1_3genE8ELNS1_11target_archE1030ELNS1_3gpuE2ELNS1_3repE0EEENS1_30default_config_static_selectorELNS0_4arch9wavefront6targetE1EEEvSY_.has_dyn_sized_stack, 0
	.set _ZN7rocprim17ROCPRIM_400000_NS6detail17trampoline_kernelINS0_13select_configILj256ELj13ELNS0_17block_load_methodE3ELS4_3ELS4_3ELNS0_20block_scan_algorithmE0ELj4294967295EEENS1_25partition_config_selectorILNS1_17partition_subalgoE3EjNS0_10empty_typeEbEEZZNS1_14partition_implILS8_3ELb0ES6_jNS0_17counting_iteratorIjlEEPS9_SE_NS0_5tupleIJPjSE_EEENSF_IJSE_SE_EEES9_SG_JZNS1_25segmented_radix_sort_implINS0_14default_configELb1EPKbPbPKlPlN2at6native12_GLOBAL__N_18offset_tEEE10hipError_tPvRmT1_PNSt15iterator_traitsISY_E10value_typeET2_T3_PNSZ_IS14_E10value_typeET4_jRbjT5_S1A_jjP12ihipStream_tbEUljE_EEESV_SW_SX_S14_S18_S1A_T6_T7_T9_mT8_S1C_bDpT10_ENKUlT_T0_E_clISt17integral_constantIbLb0EES1P_EEDaS1K_S1L_EUlS1K_E_NS1_11comp_targetILNS1_3genE8ELNS1_11target_archE1030ELNS1_3gpuE2ELNS1_3repE0EEENS1_30default_config_static_selectorELNS0_4arch9wavefront6targetE1EEEvSY_.has_recursion, 0
	.set _ZN7rocprim17ROCPRIM_400000_NS6detail17trampoline_kernelINS0_13select_configILj256ELj13ELNS0_17block_load_methodE3ELS4_3ELS4_3ELNS0_20block_scan_algorithmE0ELj4294967295EEENS1_25partition_config_selectorILNS1_17partition_subalgoE3EjNS0_10empty_typeEbEEZZNS1_14partition_implILS8_3ELb0ES6_jNS0_17counting_iteratorIjlEEPS9_SE_NS0_5tupleIJPjSE_EEENSF_IJSE_SE_EEES9_SG_JZNS1_25segmented_radix_sort_implINS0_14default_configELb1EPKbPbPKlPlN2at6native12_GLOBAL__N_18offset_tEEE10hipError_tPvRmT1_PNSt15iterator_traitsISY_E10value_typeET2_T3_PNSZ_IS14_E10value_typeET4_jRbjT5_S1A_jjP12ihipStream_tbEUljE_EEESV_SW_SX_S14_S18_S1A_T6_T7_T9_mT8_S1C_bDpT10_ENKUlT_T0_E_clISt17integral_constantIbLb0EES1P_EEDaS1K_S1L_EUlS1K_E_NS1_11comp_targetILNS1_3genE8ELNS1_11target_archE1030ELNS1_3gpuE2ELNS1_3repE0EEENS1_30default_config_static_selectorELNS0_4arch9wavefront6targetE1EEEvSY_.has_indirect_call, 0
	.section	.AMDGPU.csdata,"",@progbits
; Kernel info:
; codeLenInByte = 0
; TotalNumSgprs: 4
; NumVgprs: 0
; ScratchSize: 0
; MemoryBound: 0
; FloatMode: 240
; IeeeMode: 1
; LDSByteSize: 0 bytes/workgroup (compile time only)
; SGPRBlocks: 0
; VGPRBlocks: 0
; NumSGPRsForWavesPerEU: 4
; NumVGPRsForWavesPerEU: 1
; Occupancy: 10
; WaveLimiterHint : 0
; COMPUTE_PGM_RSRC2:SCRATCH_EN: 0
; COMPUTE_PGM_RSRC2:USER_SGPR: 6
; COMPUTE_PGM_RSRC2:TRAP_HANDLER: 0
; COMPUTE_PGM_RSRC2:TGID_X_EN: 1
; COMPUTE_PGM_RSRC2:TGID_Y_EN: 0
; COMPUTE_PGM_RSRC2:TGID_Z_EN: 0
; COMPUTE_PGM_RSRC2:TIDIG_COMP_CNT: 0
	.section	.text._ZN7rocprim17ROCPRIM_400000_NS6detail17trampoline_kernelINS0_13select_configILj256ELj13ELNS0_17block_load_methodE3ELS4_3ELS4_3ELNS0_20block_scan_algorithmE0ELj4294967295EEENS1_25partition_config_selectorILNS1_17partition_subalgoE3EjNS0_10empty_typeEbEEZZNS1_14partition_implILS8_3ELb0ES6_jNS0_17counting_iteratorIjlEEPS9_SE_NS0_5tupleIJPjSE_EEENSF_IJSE_SE_EEES9_SG_JZNS1_25segmented_radix_sort_implINS0_14default_configELb1EPKbPbPKlPlN2at6native12_GLOBAL__N_18offset_tEEE10hipError_tPvRmT1_PNSt15iterator_traitsISY_E10value_typeET2_T3_PNSZ_IS14_E10value_typeET4_jRbjT5_S1A_jjP12ihipStream_tbEUljE_EEESV_SW_SX_S14_S18_S1A_T6_T7_T9_mT8_S1C_bDpT10_ENKUlT_T0_E_clISt17integral_constantIbLb1EES1P_EEDaS1K_S1L_EUlS1K_E_NS1_11comp_targetILNS1_3genE0ELNS1_11target_archE4294967295ELNS1_3gpuE0ELNS1_3repE0EEENS1_30default_config_static_selectorELNS0_4arch9wavefront6targetE1EEEvSY_,"axG",@progbits,_ZN7rocprim17ROCPRIM_400000_NS6detail17trampoline_kernelINS0_13select_configILj256ELj13ELNS0_17block_load_methodE3ELS4_3ELS4_3ELNS0_20block_scan_algorithmE0ELj4294967295EEENS1_25partition_config_selectorILNS1_17partition_subalgoE3EjNS0_10empty_typeEbEEZZNS1_14partition_implILS8_3ELb0ES6_jNS0_17counting_iteratorIjlEEPS9_SE_NS0_5tupleIJPjSE_EEENSF_IJSE_SE_EEES9_SG_JZNS1_25segmented_radix_sort_implINS0_14default_configELb1EPKbPbPKlPlN2at6native12_GLOBAL__N_18offset_tEEE10hipError_tPvRmT1_PNSt15iterator_traitsISY_E10value_typeET2_T3_PNSZ_IS14_E10value_typeET4_jRbjT5_S1A_jjP12ihipStream_tbEUljE_EEESV_SW_SX_S14_S18_S1A_T6_T7_T9_mT8_S1C_bDpT10_ENKUlT_T0_E_clISt17integral_constantIbLb1EES1P_EEDaS1K_S1L_EUlS1K_E_NS1_11comp_targetILNS1_3genE0ELNS1_11target_archE4294967295ELNS1_3gpuE0ELNS1_3repE0EEENS1_30default_config_static_selectorELNS0_4arch9wavefront6targetE1EEEvSY_,comdat
	.globl	_ZN7rocprim17ROCPRIM_400000_NS6detail17trampoline_kernelINS0_13select_configILj256ELj13ELNS0_17block_load_methodE3ELS4_3ELS4_3ELNS0_20block_scan_algorithmE0ELj4294967295EEENS1_25partition_config_selectorILNS1_17partition_subalgoE3EjNS0_10empty_typeEbEEZZNS1_14partition_implILS8_3ELb0ES6_jNS0_17counting_iteratorIjlEEPS9_SE_NS0_5tupleIJPjSE_EEENSF_IJSE_SE_EEES9_SG_JZNS1_25segmented_radix_sort_implINS0_14default_configELb1EPKbPbPKlPlN2at6native12_GLOBAL__N_18offset_tEEE10hipError_tPvRmT1_PNSt15iterator_traitsISY_E10value_typeET2_T3_PNSZ_IS14_E10value_typeET4_jRbjT5_S1A_jjP12ihipStream_tbEUljE_EEESV_SW_SX_S14_S18_S1A_T6_T7_T9_mT8_S1C_bDpT10_ENKUlT_T0_E_clISt17integral_constantIbLb1EES1P_EEDaS1K_S1L_EUlS1K_E_NS1_11comp_targetILNS1_3genE0ELNS1_11target_archE4294967295ELNS1_3gpuE0ELNS1_3repE0EEENS1_30default_config_static_selectorELNS0_4arch9wavefront6targetE1EEEvSY_ ; -- Begin function _ZN7rocprim17ROCPRIM_400000_NS6detail17trampoline_kernelINS0_13select_configILj256ELj13ELNS0_17block_load_methodE3ELS4_3ELS4_3ELNS0_20block_scan_algorithmE0ELj4294967295EEENS1_25partition_config_selectorILNS1_17partition_subalgoE3EjNS0_10empty_typeEbEEZZNS1_14partition_implILS8_3ELb0ES6_jNS0_17counting_iteratorIjlEEPS9_SE_NS0_5tupleIJPjSE_EEENSF_IJSE_SE_EEES9_SG_JZNS1_25segmented_radix_sort_implINS0_14default_configELb1EPKbPbPKlPlN2at6native12_GLOBAL__N_18offset_tEEE10hipError_tPvRmT1_PNSt15iterator_traitsISY_E10value_typeET2_T3_PNSZ_IS14_E10value_typeET4_jRbjT5_S1A_jjP12ihipStream_tbEUljE_EEESV_SW_SX_S14_S18_S1A_T6_T7_T9_mT8_S1C_bDpT10_ENKUlT_T0_E_clISt17integral_constantIbLb1EES1P_EEDaS1K_S1L_EUlS1K_E_NS1_11comp_targetILNS1_3genE0ELNS1_11target_archE4294967295ELNS1_3gpuE0ELNS1_3repE0EEENS1_30default_config_static_selectorELNS0_4arch9wavefront6targetE1EEEvSY_
	.p2align	8
	.type	_ZN7rocprim17ROCPRIM_400000_NS6detail17trampoline_kernelINS0_13select_configILj256ELj13ELNS0_17block_load_methodE3ELS4_3ELS4_3ELNS0_20block_scan_algorithmE0ELj4294967295EEENS1_25partition_config_selectorILNS1_17partition_subalgoE3EjNS0_10empty_typeEbEEZZNS1_14partition_implILS8_3ELb0ES6_jNS0_17counting_iteratorIjlEEPS9_SE_NS0_5tupleIJPjSE_EEENSF_IJSE_SE_EEES9_SG_JZNS1_25segmented_radix_sort_implINS0_14default_configELb1EPKbPbPKlPlN2at6native12_GLOBAL__N_18offset_tEEE10hipError_tPvRmT1_PNSt15iterator_traitsISY_E10value_typeET2_T3_PNSZ_IS14_E10value_typeET4_jRbjT5_S1A_jjP12ihipStream_tbEUljE_EEESV_SW_SX_S14_S18_S1A_T6_T7_T9_mT8_S1C_bDpT10_ENKUlT_T0_E_clISt17integral_constantIbLb1EES1P_EEDaS1K_S1L_EUlS1K_E_NS1_11comp_targetILNS1_3genE0ELNS1_11target_archE4294967295ELNS1_3gpuE0ELNS1_3repE0EEENS1_30default_config_static_selectorELNS0_4arch9wavefront6targetE1EEEvSY_,@function
_ZN7rocprim17ROCPRIM_400000_NS6detail17trampoline_kernelINS0_13select_configILj256ELj13ELNS0_17block_load_methodE3ELS4_3ELS4_3ELNS0_20block_scan_algorithmE0ELj4294967295EEENS1_25partition_config_selectorILNS1_17partition_subalgoE3EjNS0_10empty_typeEbEEZZNS1_14partition_implILS8_3ELb0ES6_jNS0_17counting_iteratorIjlEEPS9_SE_NS0_5tupleIJPjSE_EEENSF_IJSE_SE_EEES9_SG_JZNS1_25segmented_radix_sort_implINS0_14default_configELb1EPKbPbPKlPlN2at6native12_GLOBAL__N_18offset_tEEE10hipError_tPvRmT1_PNSt15iterator_traitsISY_E10value_typeET2_T3_PNSZ_IS14_E10value_typeET4_jRbjT5_S1A_jjP12ihipStream_tbEUljE_EEESV_SW_SX_S14_S18_S1A_T6_T7_T9_mT8_S1C_bDpT10_ENKUlT_T0_E_clISt17integral_constantIbLb1EES1P_EEDaS1K_S1L_EUlS1K_E_NS1_11comp_targetILNS1_3genE0ELNS1_11target_archE4294967295ELNS1_3gpuE0ELNS1_3repE0EEENS1_30default_config_static_selectorELNS0_4arch9wavefront6targetE1EEEvSY_: ; @_ZN7rocprim17ROCPRIM_400000_NS6detail17trampoline_kernelINS0_13select_configILj256ELj13ELNS0_17block_load_methodE3ELS4_3ELS4_3ELNS0_20block_scan_algorithmE0ELj4294967295EEENS1_25partition_config_selectorILNS1_17partition_subalgoE3EjNS0_10empty_typeEbEEZZNS1_14partition_implILS8_3ELb0ES6_jNS0_17counting_iteratorIjlEEPS9_SE_NS0_5tupleIJPjSE_EEENSF_IJSE_SE_EEES9_SG_JZNS1_25segmented_radix_sort_implINS0_14default_configELb1EPKbPbPKlPlN2at6native12_GLOBAL__N_18offset_tEEE10hipError_tPvRmT1_PNSt15iterator_traitsISY_E10value_typeET2_T3_PNSZ_IS14_E10value_typeET4_jRbjT5_S1A_jjP12ihipStream_tbEUljE_EEESV_SW_SX_S14_S18_S1A_T6_T7_T9_mT8_S1C_bDpT10_ENKUlT_T0_E_clISt17integral_constantIbLb1EES1P_EEDaS1K_S1L_EUlS1K_E_NS1_11comp_targetILNS1_3genE0ELNS1_11target_archE4294967295ELNS1_3gpuE0ELNS1_3repE0EEENS1_30default_config_static_selectorELNS0_4arch9wavefront6targetE1EEEvSY_
; %bb.0:
	.section	.rodata,"a",@progbits
	.p2align	6, 0x0
	.amdhsa_kernel _ZN7rocprim17ROCPRIM_400000_NS6detail17trampoline_kernelINS0_13select_configILj256ELj13ELNS0_17block_load_methodE3ELS4_3ELS4_3ELNS0_20block_scan_algorithmE0ELj4294967295EEENS1_25partition_config_selectorILNS1_17partition_subalgoE3EjNS0_10empty_typeEbEEZZNS1_14partition_implILS8_3ELb0ES6_jNS0_17counting_iteratorIjlEEPS9_SE_NS0_5tupleIJPjSE_EEENSF_IJSE_SE_EEES9_SG_JZNS1_25segmented_radix_sort_implINS0_14default_configELb1EPKbPbPKlPlN2at6native12_GLOBAL__N_18offset_tEEE10hipError_tPvRmT1_PNSt15iterator_traitsISY_E10value_typeET2_T3_PNSZ_IS14_E10value_typeET4_jRbjT5_S1A_jjP12ihipStream_tbEUljE_EEESV_SW_SX_S14_S18_S1A_T6_T7_T9_mT8_S1C_bDpT10_ENKUlT_T0_E_clISt17integral_constantIbLb1EES1P_EEDaS1K_S1L_EUlS1K_E_NS1_11comp_targetILNS1_3genE0ELNS1_11target_archE4294967295ELNS1_3gpuE0ELNS1_3repE0EEENS1_30default_config_static_selectorELNS0_4arch9wavefront6targetE1EEEvSY_
		.amdhsa_group_segment_fixed_size 0
		.amdhsa_private_segment_fixed_size 0
		.amdhsa_kernarg_size 152
		.amdhsa_user_sgpr_count 6
		.amdhsa_user_sgpr_private_segment_buffer 1
		.amdhsa_user_sgpr_dispatch_ptr 0
		.amdhsa_user_sgpr_queue_ptr 0
		.amdhsa_user_sgpr_kernarg_segment_ptr 1
		.amdhsa_user_sgpr_dispatch_id 0
		.amdhsa_user_sgpr_flat_scratch_init 0
		.amdhsa_user_sgpr_private_segment_size 0
		.amdhsa_uses_dynamic_stack 0
		.amdhsa_system_sgpr_private_segment_wavefront_offset 0
		.amdhsa_system_sgpr_workgroup_id_x 1
		.amdhsa_system_sgpr_workgroup_id_y 0
		.amdhsa_system_sgpr_workgroup_id_z 0
		.amdhsa_system_sgpr_workgroup_info 0
		.amdhsa_system_vgpr_workitem_id 0
		.amdhsa_next_free_vgpr 1
		.amdhsa_next_free_sgpr 0
		.amdhsa_reserve_vcc 0
		.amdhsa_reserve_flat_scratch 0
		.amdhsa_float_round_mode_32 0
		.amdhsa_float_round_mode_16_64 0
		.amdhsa_float_denorm_mode_32 3
		.amdhsa_float_denorm_mode_16_64 3
		.amdhsa_dx10_clamp 1
		.amdhsa_ieee_mode 1
		.amdhsa_fp16_overflow 0
		.amdhsa_exception_fp_ieee_invalid_op 0
		.amdhsa_exception_fp_denorm_src 0
		.amdhsa_exception_fp_ieee_div_zero 0
		.amdhsa_exception_fp_ieee_overflow 0
		.amdhsa_exception_fp_ieee_underflow 0
		.amdhsa_exception_fp_ieee_inexact 0
		.amdhsa_exception_int_div_zero 0
	.end_amdhsa_kernel
	.section	.text._ZN7rocprim17ROCPRIM_400000_NS6detail17trampoline_kernelINS0_13select_configILj256ELj13ELNS0_17block_load_methodE3ELS4_3ELS4_3ELNS0_20block_scan_algorithmE0ELj4294967295EEENS1_25partition_config_selectorILNS1_17partition_subalgoE3EjNS0_10empty_typeEbEEZZNS1_14partition_implILS8_3ELb0ES6_jNS0_17counting_iteratorIjlEEPS9_SE_NS0_5tupleIJPjSE_EEENSF_IJSE_SE_EEES9_SG_JZNS1_25segmented_radix_sort_implINS0_14default_configELb1EPKbPbPKlPlN2at6native12_GLOBAL__N_18offset_tEEE10hipError_tPvRmT1_PNSt15iterator_traitsISY_E10value_typeET2_T3_PNSZ_IS14_E10value_typeET4_jRbjT5_S1A_jjP12ihipStream_tbEUljE_EEESV_SW_SX_S14_S18_S1A_T6_T7_T9_mT8_S1C_bDpT10_ENKUlT_T0_E_clISt17integral_constantIbLb1EES1P_EEDaS1K_S1L_EUlS1K_E_NS1_11comp_targetILNS1_3genE0ELNS1_11target_archE4294967295ELNS1_3gpuE0ELNS1_3repE0EEENS1_30default_config_static_selectorELNS0_4arch9wavefront6targetE1EEEvSY_,"axG",@progbits,_ZN7rocprim17ROCPRIM_400000_NS6detail17trampoline_kernelINS0_13select_configILj256ELj13ELNS0_17block_load_methodE3ELS4_3ELS4_3ELNS0_20block_scan_algorithmE0ELj4294967295EEENS1_25partition_config_selectorILNS1_17partition_subalgoE3EjNS0_10empty_typeEbEEZZNS1_14partition_implILS8_3ELb0ES6_jNS0_17counting_iteratorIjlEEPS9_SE_NS0_5tupleIJPjSE_EEENSF_IJSE_SE_EEES9_SG_JZNS1_25segmented_radix_sort_implINS0_14default_configELb1EPKbPbPKlPlN2at6native12_GLOBAL__N_18offset_tEEE10hipError_tPvRmT1_PNSt15iterator_traitsISY_E10value_typeET2_T3_PNSZ_IS14_E10value_typeET4_jRbjT5_S1A_jjP12ihipStream_tbEUljE_EEESV_SW_SX_S14_S18_S1A_T6_T7_T9_mT8_S1C_bDpT10_ENKUlT_T0_E_clISt17integral_constantIbLb1EES1P_EEDaS1K_S1L_EUlS1K_E_NS1_11comp_targetILNS1_3genE0ELNS1_11target_archE4294967295ELNS1_3gpuE0ELNS1_3repE0EEENS1_30default_config_static_selectorELNS0_4arch9wavefront6targetE1EEEvSY_,comdat
.Lfunc_end1508:
	.size	_ZN7rocprim17ROCPRIM_400000_NS6detail17trampoline_kernelINS0_13select_configILj256ELj13ELNS0_17block_load_methodE3ELS4_3ELS4_3ELNS0_20block_scan_algorithmE0ELj4294967295EEENS1_25partition_config_selectorILNS1_17partition_subalgoE3EjNS0_10empty_typeEbEEZZNS1_14partition_implILS8_3ELb0ES6_jNS0_17counting_iteratorIjlEEPS9_SE_NS0_5tupleIJPjSE_EEENSF_IJSE_SE_EEES9_SG_JZNS1_25segmented_radix_sort_implINS0_14default_configELb1EPKbPbPKlPlN2at6native12_GLOBAL__N_18offset_tEEE10hipError_tPvRmT1_PNSt15iterator_traitsISY_E10value_typeET2_T3_PNSZ_IS14_E10value_typeET4_jRbjT5_S1A_jjP12ihipStream_tbEUljE_EEESV_SW_SX_S14_S18_S1A_T6_T7_T9_mT8_S1C_bDpT10_ENKUlT_T0_E_clISt17integral_constantIbLb1EES1P_EEDaS1K_S1L_EUlS1K_E_NS1_11comp_targetILNS1_3genE0ELNS1_11target_archE4294967295ELNS1_3gpuE0ELNS1_3repE0EEENS1_30default_config_static_selectorELNS0_4arch9wavefront6targetE1EEEvSY_, .Lfunc_end1508-_ZN7rocprim17ROCPRIM_400000_NS6detail17trampoline_kernelINS0_13select_configILj256ELj13ELNS0_17block_load_methodE3ELS4_3ELS4_3ELNS0_20block_scan_algorithmE0ELj4294967295EEENS1_25partition_config_selectorILNS1_17partition_subalgoE3EjNS0_10empty_typeEbEEZZNS1_14partition_implILS8_3ELb0ES6_jNS0_17counting_iteratorIjlEEPS9_SE_NS0_5tupleIJPjSE_EEENSF_IJSE_SE_EEES9_SG_JZNS1_25segmented_radix_sort_implINS0_14default_configELb1EPKbPbPKlPlN2at6native12_GLOBAL__N_18offset_tEEE10hipError_tPvRmT1_PNSt15iterator_traitsISY_E10value_typeET2_T3_PNSZ_IS14_E10value_typeET4_jRbjT5_S1A_jjP12ihipStream_tbEUljE_EEESV_SW_SX_S14_S18_S1A_T6_T7_T9_mT8_S1C_bDpT10_ENKUlT_T0_E_clISt17integral_constantIbLb1EES1P_EEDaS1K_S1L_EUlS1K_E_NS1_11comp_targetILNS1_3genE0ELNS1_11target_archE4294967295ELNS1_3gpuE0ELNS1_3repE0EEENS1_30default_config_static_selectorELNS0_4arch9wavefront6targetE1EEEvSY_
                                        ; -- End function
	.set _ZN7rocprim17ROCPRIM_400000_NS6detail17trampoline_kernelINS0_13select_configILj256ELj13ELNS0_17block_load_methodE3ELS4_3ELS4_3ELNS0_20block_scan_algorithmE0ELj4294967295EEENS1_25partition_config_selectorILNS1_17partition_subalgoE3EjNS0_10empty_typeEbEEZZNS1_14partition_implILS8_3ELb0ES6_jNS0_17counting_iteratorIjlEEPS9_SE_NS0_5tupleIJPjSE_EEENSF_IJSE_SE_EEES9_SG_JZNS1_25segmented_radix_sort_implINS0_14default_configELb1EPKbPbPKlPlN2at6native12_GLOBAL__N_18offset_tEEE10hipError_tPvRmT1_PNSt15iterator_traitsISY_E10value_typeET2_T3_PNSZ_IS14_E10value_typeET4_jRbjT5_S1A_jjP12ihipStream_tbEUljE_EEESV_SW_SX_S14_S18_S1A_T6_T7_T9_mT8_S1C_bDpT10_ENKUlT_T0_E_clISt17integral_constantIbLb1EES1P_EEDaS1K_S1L_EUlS1K_E_NS1_11comp_targetILNS1_3genE0ELNS1_11target_archE4294967295ELNS1_3gpuE0ELNS1_3repE0EEENS1_30default_config_static_selectorELNS0_4arch9wavefront6targetE1EEEvSY_.num_vgpr, 0
	.set _ZN7rocprim17ROCPRIM_400000_NS6detail17trampoline_kernelINS0_13select_configILj256ELj13ELNS0_17block_load_methodE3ELS4_3ELS4_3ELNS0_20block_scan_algorithmE0ELj4294967295EEENS1_25partition_config_selectorILNS1_17partition_subalgoE3EjNS0_10empty_typeEbEEZZNS1_14partition_implILS8_3ELb0ES6_jNS0_17counting_iteratorIjlEEPS9_SE_NS0_5tupleIJPjSE_EEENSF_IJSE_SE_EEES9_SG_JZNS1_25segmented_radix_sort_implINS0_14default_configELb1EPKbPbPKlPlN2at6native12_GLOBAL__N_18offset_tEEE10hipError_tPvRmT1_PNSt15iterator_traitsISY_E10value_typeET2_T3_PNSZ_IS14_E10value_typeET4_jRbjT5_S1A_jjP12ihipStream_tbEUljE_EEESV_SW_SX_S14_S18_S1A_T6_T7_T9_mT8_S1C_bDpT10_ENKUlT_T0_E_clISt17integral_constantIbLb1EES1P_EEDaS1K_S1L_EUlS1K_E_NS1_11comp_targetILNS1_3genE0ELNS1_11target_archE4294967295ELNS1_3gpuE0ELNS1_3repE0EEENS1_30default_config_static_selectorELNS0_4arch9wavefront6targetE1EEEvSY_.num_agpr, 0
	.set _ZN7rocprim17ROCPRIM_400000_NS6detail17trampoline_kernelINS0_13select_configILj256ELj13ELNS0_17block_load_methodE3ELS4_3ELS4_3ELNS0_20block_scan_algorithmE0ELj4294967295EEENS1_25partition_config_selectorILNS1_17partition_subalgoE3EjNS0_10empty_typeEbEEZZNS1_14partition_implILS8_3ELb0ES6_jNS0_17counting_iteratorIjlEEPS9_SE_NS0_5tupleIJPjSE_EEENSF_IJSE_SE_EEES9_SG_JZNS1_25segmented_radix_sort_implINS0_14default_configELb1EPKbPbPKlPlN2at6native12_GLOBAL__N_18offset_tEEE10hipError_tPvRmT1_PNSt15iterator_traitsISY_E10value_typeET2_T3_PNSZ_IS14_E10value_typeET4_jRbjT5_S1A_jjP12ihipStream_tbEUljE_EEESV_SW_SX_S14_S18_S1A_T6_T7_T9_mT8_S1C_bDpT10_ENKUlT_T0_E_clISt17integral_constantIbLb1EES1P_EEDaS1K_S1L_EUlS1K_E_NS1_11comp_targetILNS1_3genE0ELNS1_11target_archE4294967295ELNS1_3gpuE0ELNS1_3repE0EEENS1_30default_config_static_selectorELNS0_4arch9wavefront6targetE1EEEvSY_.numbered_sgpr, 0
	.set _ZN7rocprim17ROCPRIM_400000_NS6detail17trampoline_kernelINS0_13select_configILj256ELj13ELNS0_17block_load_methodE3ELS4_3ELS4_3ELNS0_20block_scan_algorithmE0ELj4294967295EEENS1_25partition_config_selectorILNS1_17partition_subalgoE3EjNS0_10empty_typeEbEEZZNS1_14partition_implILS8_3ELb0ES6_jNS0_17counting_iteratorIjlEEPS9_SE_NS0_5tupleIJPjSE_EEENSF_IJSE_SE_EEES9_SG_JZNS1_25segmented_radix_sort_implINS0_14default_configELb1EPKbPbPKlPlN2at6native12_GLOBAL__N_18offset_tEEE10hipError_tPvRmT1_PNSt15iterator_traitsISY_E10value_typeET2_T3_PNSZ_IS14_E10value_typeET4_jRbjT5_S1A_jjP12ihipStream_tbEUljE_EEESV_SW_SX_S14_S18_S1A_T6_T7_T9_mT8_S1C_bDpT10_ENKUlT_T0_E_clISt17integral_constantIbLb1EES1P_EEDaS1K_S1L_EUlS1K_E_NS1_11comp_targetILNS1_3genE0ELNS1_11target_archE4294967295ELNS1_3gpuE0ELNS1_3repE0EEENS1_30default_config_static_selectorELNS0_4arch9wavefront6targetE1EEEvSY_.num_named_barrier, 0
	.set _ZN7rocprim17ROCPRIM_400000_NS6detail17trampoline_kernelINS0_13select_configILj256ELj13ELNS0_17block_load_methodE3ELS4_3ELS4_3ELNS0_20block_scan_algorithmE0ELj4294967295EEENS1_25partition_config_selectorILNS1_17partition_subalgoE3EjNS0_10empty_typeEbEEZZNS1_14partition_implILS8_3ELb0ES6_jNS0_17counting_iteratorIjlEEPS9_SE_NS0_5tupleIJPjSE_EEENSF_IJSE_SE_EEES9_SG_JZNS1_25segmented_radix_sort_implINS0_14default_configELb1EPKbPbPKlPlN2at6native12_GLOBAL__N_18offset_tEEE10hipError_tPvRmT1_PNSt15iterator_traitsISY_E10value_typeET2_T3_PNSZ_IS14_E10value_typeET4_jRbjT5_S1A_jjP12ihipStream_tbEUljE_EEESV_SW_SX_S14_S18_S1A_T6_T7_T9_mT8_S1C_bDpT10_ENKUlT_T0_E_clISt17integral_constantIbLb1EES1P_EEDaS1K_S1L_EUlS1K_E_NS1_11comp_targetILNS1_3genE0ELNS1_11target_archE4294967295ELNS1_3gpuE0ELNS1_3repE0EEENS1_30default_config_static_selectorELNS0_4arch9wavefront6targetE1EEEvSY_.private_seg_size, 0
	.set _ZN7rocprim17ROCPRIM_400000_NS6detail17trampoline_kernelINS0_13select_configILj256ELj13ELNS0_17block_load_methodE3ELS4_3ELS4_3ELNS0_20block_scan_algorithmE0ELj4294967295EEENS1_25partition_config_selectorILNS1_17partition_subalgoE3EjNS0_10empty_typeEbEEZZNS1_14partition_implILS8_3ELb0ES6_jNS0_17counting_iteratorIjlEEPS9_SE_NS0_5tupleIJPjSE_EEENSF_IJSE_SE_EEES9_SG_JZNS1_25segmented_radix_sort_implINS0_14default_configELb1EPKbPbPKlPlN2at6native12_GLOBAL__N_18offset_tEEE10hipError_tPvRmT1_PNSt15iterator_traitsISY_E10value_typeET2_T3_PNSZ_IS14_E10value_typeET4_jRbjT5_S1A_jjP12ihipStream_tbEUljE_EEESV_SW_SX_S14_S18_S1A_T6_T7_T9_mT8_S1C_bDpT10_ENKUlT_T0_E_clISt17integral_constantIbLb1EES1P_EEDaS1K_S1L_EUlS1K_E_NS1_11comp_targetILNS1_3genE0ELNS1_11target_archE4294967295ELNS1_3gpuE0ELNS1_3repE0EEENS1_30default_config_static_selectorELNS0_4arch9wavefront6targetE1EEEvSY_.uses_vcc, 0
	.set _ZN7rocprim17ROCPRIM_400000_NS6detail17trampoline_kernelINS0_13select_configILj256ELj13ELNS0_17block_load_methodE3ELS4_3ELS4_3ELNS0_20block_scan_algorithmE0ELj4294967295EEENS1_25partition_config_selectorILNS1_17partition_subalgoE3EjNS0_10empty_typeEbEEZZNS1_14partition_implILS8_3ELb0ES6_jNS0_17counting_iteratorIjlEEPS9_SE_NS0_5tupleIJPjSE_EEENSF_IJSE_SE_EEES9_SG_JZNS1_25segmented_radix_sort_implINS0_14default_configELb1EPKbPbPKlPlN2at6native12_GLOBAL__N_18offset_tEEE10hipError_tPvRmT1_PNSt15iterator_traitsISY_E10value_typeET2_T3_PNSZ_IS14_E10value_typeET4_jRbjT5_S1A_jjP12ihipStream_tbEUljE_EEESV_SW_SX_S14_S18_S1A_T6_T7_T9_mT8_S1C_bDpT10_ENKUlT_T0_E_clISt17integral_constantIbLb1EES1P_EEDaS1K_S1L_EUlS1K_E_NS1_11comp_targetILNS1_3genE0ELNS1_11target_archE4294967295ELNS1_3gpuE0ELNS1_3repE0EEENS1_30default_config_static_selectorELNS0_4arch9wavefront6targetE1EEEvSY_.uses_flat_scratch, 0
	.set _ZN7rocprim17ROCPRIM_400000_NS6detail17trampoline_kernelINS0_13select_configILj256ELj13ELNS0_17block_load_methodE3ELS4_3ELS4_3ELNS0_20block_scan_algorithmE0ELj4294967295EEENS1_25partition_config_selectorILNS1_17partition_subalgoE3EjNS0_10empty_typeEbEEZZNS1_14partition_implILS8_3ELb0ES6_jNS0_17counting_iteratorIjlEEPS9_SE_NS0_5tupleIJPjSE_EEENSF_IJSE_SE_EEES9_SG_JZNS1_25segmented_radix_sort_implINS0_14default_configELb1EPKbPbPKlPlN2at6native12_GLOBAL__N_18offset_tEEE10hipError_tPvRmT1_PNSt15iterator_traitsISY_E10value_typeET2_T3_PNSZ_IS14_E10value_typeET4_jRbjT5_S1A_jjP12ihipStream_tbEUljE_EEESV_SW_SX_S14_S18_S1A_T6_T7_T9_mT8_S1C_bDpT10_ENKUlT_T0_E_clISt17integral_constantIbLb1EES1P_EEDaS1K_S1L_EUlS1K_E_NS1_11comp_targetILNS1_3genE0ELNS1_11target_archE4294967295ELNS1_3gpuE0ELNS1_3repE0EEENS1_30default_config_static_selectorELNS0_4arch9wavefront6targetE1EEEvSY_.has_dyn_sized_stack, 0
	.set _ZN7rocprim17ROCPRIM_400000_NS6detail17trampoline_kernelINS0_13select_configILj256ELj13ELNS0_17block_load_methodE3ELS4_3ELS4_3ELNS0_20block_scan_algorithmE0ELj4294967295EEENS1_25partition_config_selectorILNS1_17partition_subalgoE3EjNS0_10empty_typeEbEEZZNS1_14partition_implILS8_3ELb0ES6_jNS0_17counting_iteratorIjlEEPS9_SE_NS0_5tupleIJPjSE_EEENSF_IJSE_SE_EEES9_SG_JZNS1_25segmented_radix_sort_implINS0_14default_configELb1EPKbPbPKlPlN2at6native12_GLOBAL__N_18offset_tEEE10hipError_tPvRmT1_PNSt15iterator_traitsISY_E10value_typeET2_T3_PNSZ_IS14_E10value_typeET4_jRbjT5_S1A_jjP12ihipStream_tbEUljE_EEESV_SW_SX_S14_S18_S1A_T6_T7_T9_mT8_S1C_bDpT10_ENKUlT_T0_E_clISt17integral_constantIbLb1EES1P_EEDaS1K_S1L_EUlS1K_E_NS1_11comp_targetILNS1_3genE0ELNS1_11target_archE4294967295ELNS1_3gpuE0ELNS1_3repE0EEENS1_30default_config_static_selectorELNS0_4arch9wavefront6targetE1EEEvSY_.has_recursion, 0
	.set _ZN7rocprim17ROCPRIM_400000_NS6detail17trampoline_kernelINS0_13select_configILj256ELj13ELNS0_17block_load_methodE3ELS4_3ELS4_3ELNS0_20block_scan_algorithmE0ELj4294967295EEENS1_25partition_config_selectorILNS1_17partition_subalgoE3EjNS0_10empty_typeEbEEZZNS1_14partition_implILS8_3ELb0ES6_jNS0_17counting_iteratorIjlEEPS9_SE_NS0_5tupleIJPjSE_EEENSF_IJSE_SE_EEES9_SG_JZNS1_25segmented_radix_sort_implINS0_14default_configELb1EPKbPbPKlPlN2at6native12_GLOBAL__N_18offset_tEEE10hipError_tPvRmT1_PNSt15iterator_traitsISY_E10value_typeET2_T3_PNSZ_IS14_E10value_typeET4_jRbjT5_S1A_jjP12ihipStream_tbEUljE_EEESV_SW_SX_S14_S18_S1A_T6_T7_T9_mT8_S1C_bDpT10_ENKUlT_T0_E_clISt17integral_constantIbLb1EES1P_EEDaS1K_S1L_EUlS1K_E_NS1_11comp_targetILNS1_3genE0ELNS1_11target_archE4294967295ELNS1_3gpuE0ELNS1_3repE0EEENS1_30default_config_static_selectorELNS0_4arch9wavefront6targetE1EEEvSY_.has_indirect_call, 0
	.section	.AMDGPU.csdata,"",@progbits
; Kernel info:
; codeLenInByte = 0
; TotalNumSgprs: 4
; NumVgprs: 0
; ScratchSize: 0
; MemoryBound: 0
; FloatMode: 240
; IeeeMode: 1
; LDSByteSize: 0 bytes/workgroup (compile time only)
; SGPRBlocks: 0
; VGPRBlocks: 0
; NumSGPRsForWavesPerEU: 4
; NumVGPRsForWavesPerEU: 1
; Occupancy: 10
; WaveLimiterHint : 0
; COMPUTE_PGM_RSRC2:SCRATCH_EN: 0
; COMPUTE_PGM_RSRC2:USER_SGPR: 6
; COMPUTE_PGM_RSRC2:TRAP_HANDLER: 0
; COMPUTE_PGM_RSRC2:TGID_X_EN: 1
; COMPUTE_PGM_RSRC2:TGID_Y_EN: 0
; COMPUTE_PGM_RSRC2:TGID_Z_EN: 0
; COMPUTE_PGM_RSRC2:TIDIG_COMP_CNT: 0
	.section	.text._ZN7rocprim17ROCPRIM_400000_NS6detail17trampoline_kernelINS0_13select_configILj256ELj13ELNS0_17block_load_methodE3ELS4_3ELS4_3ELNS0_20block_scan_algorithmE0ELj4294967295EEENS1_25partition_config_selectorILNS1_17partition_subalgoE3EjNS0_10empty_typeEbEEZZNS1_14partition_implILS8_3ELb0ES6_jNS0_17counting_iteratorIjlEEPS9_SE_NS0_5tupleIJPjSE_EEENSF_IJSE_SE_EEES9_SG_JZNS1_25segmented_radix_sort_implINS0_14default_configELb1EPKbPbPKlPlN2at6native12_GLOBAL__N_18offset_tEEE10hipError_tPvRmT1_PNSt15iterator_traitsISY_E10value_typeET2_T3_PNSZ_IS14_E10value_typeET4_jRbjT5_S1A_jjP12ihipStream_tbEUljE_EEESV_SW_SX_S14_S18_S1A_T6_T7_T9_mT8_S1C_bDpT10_ENKUlT_T0_E_clISt17integral_constantIbLb1EES1P_EEDaS1K_S1L_EUlS1K_E_NS1_11comp_targetILNS1_3genE5ELNS1_11target_archE942ELNS1_3gpuE9ELNS1_3repE0EEENS1_30default_config_static_selectorELNS0_4arch9wavefront6targetE1EEEvSY_,"axG",@progbits,_ZN7rocprim17ROCPRIM_400000_NS6detail17trampoline_kernelINS0_13select_configILj256ELj13ELNS0_17block_load_methodE3ELS4_3ELS4_3ELNS0_20block_scan_algorithmE0ELj4294967295EEENS1_25partition_config_selectorILNS1_17partition_subalgoE3EjNS0_10empty_typeEbEEZZNS1_14partition_implILS8_3ELb0ES6_jNS0_17counting_iteratorIjlEEPS9_SE_NS0_5tupleIJPjSE_EEENSF_IJSE_SE_EEES9_SG_JZNS1_25segmented_radix_sort_implINS0_14default_configELb1EPKbPbPKlPlN2at6native12_GLOBAL__N_18offset_tEEE10hipError_tPvRmT1_PNSt15iterator_traitsISY_E10value_typeET2_T3_PNSZ_IS14_E10value_typeET4_jRbjT5_S1A_jjP12ihipStream_tbEUljE_EEESV_SW_SX_S14_S18_S1A_T6_T7_T9_mT8_S1C_bDpT10_ENKUlT_T0_E_clISt17integral_constantIbLb1EES1P_EEDaS1K_S1L_EUlS1K_E_NS1_11comp_targetILNS1_3genE5ELNS1_11target_archE942ELNS1_3gpuE9ELNS1_3repE0EEENS1_30default_config_static_selectorELNS0_4arch9wavefront6targetE1EEEvSY_,comdat
	.globl	_ZN7rocprim17ROCPRIM_400000_NS6detail17trampoline_kernelINS0_13select_configILj256ELj13ELNS0_17block_load_methodE3ELS4_3ELS4_3ELNS0_20block_scan_algorithmE0ELj4294967295EEENS1_25partition_config_selectorILNS1_17partition_subalgoE3EjNS0_10empty_typeEbEEZZNS1_14partition_implILS8_3ELb0ES6_jNS0_17counting_iteratorIjlEEPS9_SE_NS0_5tupleIJPjSE_EEENSF_IJSE_SE_EEES9_SG_JZNS1_25segmented_radix_sort_implINS0_14default_configELb1EPKbPbPKlPlN2at6native12_GLOBAL__N_18offset_tEEE10hipError_tPvRmT1_PNSt15iterator_traitsISY_E10value_typeET2_T3_PNSZ_IS14_E10value_typeET4_jRbjT5_S1A_jjP12ihipStream_tbEUljE_EEESV_SW_SX_S14_S18_S1A_T6_T7_T9_mT8_S1C_bDpT10_ENKUlT_T0_E_clISt17integral_constantIbLb1EES1P_EEDaS1K_S1L_EUlS1K_E_NS1_11comp_targetILNS1_3genE5ELNS1_11target_archE942ELNS1_3gpuE9ELNS1_3repE0EEENS1_30default_config_static_selectorELNS0_4arch9wavefront6targetE1EEEvSY_ ; -- Begin function _ZN7rocprim17ROCPRIM_400000_NS6detail17trampoline_kernelINS0_13select_configILj256ELj13ELNS0_17block_load_methodE3ELS4_3ELS4_3ELNS0_20block_scan_algorithmE0ELj4294967295EEENS1_25partition_config_selectorILNS1_17partition_subalgoE3EjNS0_10empty_typeEbEEZZNS1_14partition_implILS8_3ELb0ES6_jNS0_17counting_iteratorIjlEEPS9_SE_NS0_5tupleIJPjSE_EEENSF_IJSE_SE_EEES9_SG_JZNS1_25segmented_radix_sort_implINS0_14default_configELb1EPKbPbPKlPlN2at6native12_GLOBAL__N_18offset_tEEE10hipError_tPvRmT1_PNSt15iterator_traitsISY_E10value_typeET2_T3_PNSZ_IS14_E10value_typeET4_jRbjT5_S1A_jjP12ihipStream_tbEUljE_EEESV_SW_SX_S14_S18_S1A_T6_T7_T9_mT8_S1C_bDpT10_ENKUlT_T0_E_clISt17integral_constantIbLb1EES1P_EEDaS1K_S1L_EUlS1K_E_NS1_11comp_targetILNS1_3genE5ELNS1_11target_archE942ELNS1_3gpuE9ELNS1_3repE0EEENS1_30default_config_static_selectorELNS0_4arch9wavefront6targetE1EEEvSY_
	.p2align	8
	.type	_ZN7rocprim17ROCPRIM_400000_NS6detail17trampoline_kernelINS0_13select_configILj256ELj13ELNS0_17block_load_methodE3ELS4_3ELS4_3ELNS0_20block_scan_algorithmE0ELj4294967295EEENS1_25partition_config_selectorILNS1_17partition_subalgoE3EjNS0_10empty_typeEbEEZZNS1_14partition_implILS8_3ELb0ES6_jNS0_17counting_iteratorIjlEEPS9_SE_NS0_5tupleIJPjSE_EEENSF_IJSE_SE_EEES9_SG_JZNS1_25segmented_radix_sort_implINS0_14default_configELb1EPKbPbPKlPlN2at6native12_GLOBAL__N_18offset_tEEE10hipError_tPvRmT1_PNSt15iterator_traitsISY_E10value_typeET2_T3_PNSZ_IS14_E10value_typeET4_jRbjT5_S1A_jjP12ihipStream_tbEUljE_EEESV_SW_SX_S14_S18_S1A_T6_T7_T9_mT8_S1C_bDpT10_ENKUlT_T0_E_clISt17integral_constantIbLb1EES1P_EEDaS1K_S1L_EUlS1K_E_NS1_11comp_targetILNS1_3genE5ELNS1_11target_archE942ELNS1_3gpuE9ELNS1_3repE0EEENS1_30default_config_static_selectorELNS0_4arch9wavefront6targetE1EEEvSY_,@function
_ZN7rocprim17ROCPRIM_400000_NS6detail17trampoline_kernelINS0_13select_configILj256ELj13ELNS0_17block_load_methodE3ELS4_3ELS4_3ELNS0_20block_scan_algorithmE0ELj4294967295EEENS1_25partition_config_selectorILNS1_17partition_subalgoE3EjNS0_10empty_typeEbEEZZNS1_14partition_implILS8_3ELb0ES6_jNS0_17counting_iteratorIjlEEPS9_SE_NS0_5tupleIJPjSE_EEENSF_IJSE_SE_EEES9_SG_JZNS1_25segmented_radix_sort_implINS0_14default_configELb1EPKbPbPKlPlN2at6native12_GLOBAL__N_18offset_tEEE10hipError_tPvRmT1_PNSt15iterator_traitsISY_E10value_typeET2_T3_PNSZ_IS14_E10value_typeET4_jRbjT5_S1A_jjP12ihipStream_tbEUljE_EEESV_SW_SX_S14_S18_S1A_T6_T7_T9_mT8_S1C_bDpT10_ENKUlT_T0_E_clISt17integral_constantIbLb1EES1P_EEDaS1K_S1L_EUlS1K_E_NS1_11comp_targetILNS1_3genE5ELNS1_11target_archE942ELNS1_3gpuE9ELNS1_3repE0EEENS1_30default_config_static_selectorELNS0_4arch9wavefront6targetE1EEEvSY_: ; @_ZN7rocprim17ROCPRIM_400000_NS6detail17trampoline_kernelINS0_13select_configILj256ELj13ELNS0_17block_load_methodE3ELS4_3ELS4_3ELNS0_20block_scan_algorithmE0ELj4294967295EEENS1_25partition_config_selectorILNS1_17partition_subalgoE3EjNS0_10empty_typeEbEEZZNS1_14partition_implILS8_3ELb0ES6_jNS0_17counting_iteratorIjlEEPS9_SE_NS0_5tupleIJPjSE_EEENSF_IJSE_SE_EEES9_SG_JZNS1_25segmented_radix_sort_implINS0_14default_configELb1EPKbPbPKlPlN2at6native12_GLOBAL__N_18offset_tEEE10hipError_tPvRmT1_PNSt15iterator_traitsISY_E10value_typeET2_T3_PNSZ_IS14_E10value_typeET4_jRbjT5_S1A_jjP12ihipStream_tbEUljE_EEESV_SW_SX_S14_S18_S1A_T6_T7_T9_mT8_S1C_bDpT10_ENKUlT_T0_E_clISt17integral_constantIbLb1EES1P_EEDaS1K_S1L_EUlS1K_E_NS1_11comp_targetILNS1_3genE5ELNS1_11target_archE942ELNS1_3gpuE9ELNS1_3repE0EEENS1_30default_config_static_selectorELNS0_4arch9wavefront6targetE1EEEvSY_
; %bb.0:
	.section	.rodata,"a",@progbits
	.p2align	6, 0x0
	.amdhsa_kernel _ZN7rocprim17ROCPRIM_400000_NS6detail17trampoline_kernelINS0_13select_configILj256ELj13ELNS0_17block_load_methodE3ELS4_3ELS4_3ELNS0_20block_scan_algorithmE0ELj4294967295EEENS1_25partition_config_selectorILNS1_17partition_subalgoE3EjNS0_10empty_typeEbEEZZNS1_14partition_implILS8_3ELb0ES6_jNS0_17counting_iteratorIjlEEPS9_SE_NS0_5tupleIJPjSE_EEENSF_IJSE_SE_EEES9_SG_JZNS1_25segmented_radix_sort_implINS0_14default_configELb1EPKbPbPKlPlN2at6native12_GLOBAL__N_18offset_tEEE10hipError_tPvRmT1_PNSt15iterator_traitsISY_E10value_typeET2_T3_PNSZ_IS14_E10value_typeET4_jRbjT5_S1A_jjP12ihipStream_tbEUljE_EEESV_SW_SX_S14_S18_S1A_T6_T7_T9_mT8_S1C_bDpT10_ENKUlT_T0_E_clISt17integral_constantIbLb1EES1P_EEDaS1K_S1L_EUlS1K_E_NS1_11comp_targetILNS1_3genE5ELNS1_11target_archE942ELNS1_3gpuE9ELNS1_3repE0EEENS1_30default_config_static_selectorELNS0_4arch9wavefront6targetE1EEEvSY_
		.amdhsa_group_segment_fixed_size 0
		.amdhsa_private_segment_fixed_size 0
		.amdhsa_kernarg_size 152
		.amdhsa_user_sgpr_count 6
		.amdhsa_user_sgpr_private_segment_buffer 1
		.amdhsa_user_sgpr_dispatch_ptr 0
		.amdhsa_user_sgpr_queue_ptr 0
		.amdhsa_user_sgpr_kernarg_segment_ptr 1
		.amdhsa_user_sgpr_dispatch_id 0
		.amdhsa_user_sgpr_flat_scratch_init 0
		.amdhsa_user_sgpr_private_segment_size 0
		.amdhsa_uses_dynamic_stack 0
		.amdhsa_system_sgpr_private_segment_wavefront_offset 0
		.amdhsa_system_sgpr_workgroup_id_x 1
		.amdhsa_system_sgpr_workgroup_id_y 0
		.amdhsa_system_sgpr_workgroup_id_z 0
		.amdhsa_system_sgpr_workgroup_info 0
		.amdhsa_system_vgpr_workitem_id 0
		.amdhsa_next_free_vgpr 1
		.amdhsa_next_free_sgpr 0
		.amdhsa_reserve_vcc 0
		.amdhsa_reserve_flat_scratch 0
		.amdhsa_float_round_mode_32 0
		.amdhsa_float_round_mode_16_64 0
		.amdhsa_float_denorm_mode_32 3
		.amdhsa_float_denorm_mode_16_64 3
		.amdhsa_dx10_clamp 1
		.amdhsa_ieee_mode 1
		.amdhsa_fp16_overflow 0
		.amdhsa_exception_fp_ieee_invalid_op 0
		.amdhsa_exception_fp_denorm_src 0
		.amdhsa_exception_fp_ieee_div_zero 0
		.amdhsa_exception_fp_ieee_overflow 0
		.amdhsa_exception_fp_ieee_underflow 0
		.amdhsa_exception_fp_ieee_inexact 0
		.amdhsa_exception_int_div_zero 0
	.end_amdhsa_kernel
	.section	.text._ZN7rocprim17ROCPRIM_400000_NS6detail17trampoline_kernelINS0_13select_configILj256ELj13ELNS0_17block_load_methodE3ELS4_3ELS4_3ELNS0_20block_scan_algorithmE0ELj4294967295EEENS1_25partition_config_selectorILNS1_17partition_subalgoE3EjNS0_10empty_typeEbEEZZNS1_14partition_implILS8_3ELb0ES6_jNS0_17counting_iteratorIjlEEPS9_SE_NS0_5tupleIJPjSE_EEENSF_IJSE_SE_EEES9_SG_JZNS1_25segmented_radix_sort_implINS0_14default_configELb1EPKbPbPKlPlN2at6native12_GLOBAL__N_18offset_tEEE10hipError_tPvRmT1_PNSt15iterator_traitsISY_E10value_typeET2_T3_PNSZ_IS14_E10value_typeET4_jRbjT5_S1A_jjP12ihipStream_tbEUljE_EEESV_SW_SX_S14_S18_S1A_T6_T7_T9_mT8_S1C_bDpT10_ENKUlT_T0_E_clISt17integral_constantIbLb1EES1P_EEDaS1K_S1L_EUlS1K_E_NS1_11comp_targetILNS1_3genE5ELNS1_11target_archE942ELNS1_3gpuE9ELNS1_3repE0EEENS1_30default_config_static_selectorELNS0_4arch9wavefront6targetE1EEEvSY_,"axG",@progbits,_ZN7rocprim17ROCPRIM_400000_NS6detail17trampoline_kernelINS0_13select_configILj256ELj13ELNS0_17block_load_methodE3ELS4_3ELS4_3ELNS0_20block_scan_algorithmE0ELj4294967295EEENS1_25partition_config_selectorILNS1_17partition_subalgoE3EjNS0_10empty_typeEbEEZZNS1_14partition_implILS8_3ELb0ES6_jNS0_17counting_iteratorIjlEEPS9_SE_NS0_5tupleIJPjSE_EEENSF_IJSE_SE_EEES9_SG_JZNS1_25segmented_radix_sort_implINS0_14default_configELb1EPKbPbPKlPlN2at6native12_GLOBAL__N_18offset_tEEE10hipError_tPvRmT1_PNSt15iterator_traitsISY_E10value_typeET2_T3_PNSZ_IS14_E10value_typeET4_jRbjT5_S1A_jjP12ihipStream_tbEUljE_EEESV_SW_SX_S14_S18_S1A_T6_T7_T9_mT8_S1C_bDpT10_ENKUlT_T0_E_clISt17integral_constantIbLb1EES1P_EEDaS1K_S1L_EUlS1K_E_NS1_11comp_targetILNS1_3genE5ELNS1_11target_archE942ELNS1_3gpuE9ELNS1_3repE0EEENS1_30default_config_static_selectorELNS0_4arch9wavefront6targetE1EEEvSY_,comdat
.Lfunc_end1509:
	.size	_ZN7rocprim17ROCPRIM_400000_NS6detail17trampoline_kernelINS0_13select_configILj256ELj13ELNS0_17block_load_methodE3ELS4_3ELS4_3ELNS0_20block_scan_algorithmE0ELj4294967295EEENS1_25partition_config_selectorILNS1_17partition_subalgoE3EjNS0_10empty_typeEbEEZZNS1_14partition_implILS8_3ELb0ES6_jNS0_17counting_iteratorIjlEEPS9_SE_NS0_5tupleIJPjSE_EEENSF_IJSE_SE_EEES9_SG_JZNS1_25segmented_radix_sort_implINS0_14default_configELb1EPKbPbPKlPlN2at6native12_GLOBAL__N_18offset_tEEE10hipError_tPvRmT1_PNSt15iterator_traitsISY_E10value_typeET2_T3_PNSZ_IS14_E10value_typeET4_jRbjT5_S1A_jjP12ihipStream_tbEUljE_EEESV_SW_SX_S14_S18_S1A_T6_T7_T9_mT8_S1C_bDpT10_ENKUlT_T0_E_clISt17integral_constantIbLb1EES1P_EEDaS1K_S1L_EUlS1K_E_NS1_11comp_targetILNS1_3genE5ELNS1_11target_archE942ELNS1_3gpuE9ELNS1_3repE0EEENS1_30default_config_static_selectorELNS0_4arch9wavefront6targetE1EEEvSY_, .Lfunc_end1509-_ZN7rocprim17ROCPRIM_400000_NS6detail17trampoline_kernelINS0_13select_configILj256ELj13ELNS0_17block_load_methodE3ELS4_3ELS4_3ELNS0_20block_scan_algorithmE0ELj4294967295EEENS1_25partition_config_selectorILNS1_17partition_subalgoE3EjNS0_10empty_typeEbEEZZNS1_14partition_implILS8_3ELb0ES6_jNS0_17counting_iteratorIjlEEPS9_SE_NS0_5tupleIJPjSE_EEENSF_IJSE_SE_EEES9_SG_JZNS1_25segmented_radix_sort_implINS0_14default_configELb1EPKbPbPKlPlN2at6native12_GLOBAL__N_18offset_tEEE10hipError_tPvRmT1_PNSt15iterator_traitsISY_E10value_typeET2_T3_PNSZ_IS14_E10value_typeET4_jRbjT5_S1A_jjP12ihipStream_tbEUljE_EEESV_SW_SX_S14_S18_S1A_T6_T7_T9_mT8_S1C_bDpT10_ENKUlT_T0_E_clISt17integral_constantIbLb1EES1P_EEDaS1K_S1L_EUlS1K_E_NS1_11comp_targetILNS1_3genE5ELNS1_11target_archE942ELNS1_3gpuE9ELNS1_3repE0EEENS1_30default_config_static_selectorELNS0_4arch9wavefront6targetE1EEEvSY_
                                        ; -- End function
	.set _ZN7rocprim17ROCPRIM_400000_NS6detail17trampoline_kernelINS0_13select_configILj256ELj13ELNS0_17block_load_methodE3ELS4_3ELS4_3ELNS0_20block_scan_algorithmE0ELj4294967295EEENS1_25partition_config_selectorILNS1_17partition_subalgoE3EjNS0_10empty_typeEbEEZZNS1_14partition_implILS8_3ELb0ES6_jNS0_17counting_iteratorIjlEEPS9_SE_NS0_5tupleIJPjSE_EEENSF_IJSE_SE_EEES9_SG_JZNS1_25segmented_radix_sort_implINS0_14default_configELb1EPKbPbPKlPlN2at6native12_GLOBAL__N_18offset_tEEE10hipError_tPvRmT1_PNSt15iterator_traitsISY_E10value_typeET2_T3_PNSZ_IS14_E10value_typeET4_jRbjT5_S1A_jjP12ihipStream_tbEUljE_EEESV_SW_SX_S14_S18_S1A_T6_T7_T9_mT8_S1C_bDpT10_ENKUlT_T0_E_clISt17integral_constantIbLb1EES1P_EEDaS1K_S1L_EUlS1K_E_NS1_11comp_targetILNS1_3genE5ELNS1_11target_archE942ELNS1_3gpuE9ELNS1_3repE0EEENS1_30default_config_static_selectorELNS0_4arch9wavefront6targetE1EEEvSY_.num_vgpr, 0
	.set _ZN7rocprim17ROCPRIM_400000_NS6detail17trampoline_kernelINS0_13select_configILj256ELj13ELNS0_17block_load_methodE3ELS4_3ELS4_3ELNS0_20block_scan_algorithmE0ELj4294967295EEENS1_25partition_config_selectorILNS1_17partition_subalgoE3EjNS0_10empty_typeEbEEZZNS1_14partition_implILS8_3ELb0ES6_jNS0_17counting_iteratorIjlEEPS9_SE_NS0_5tupleIJPjSE_EEENSF_IJSE_SE_EEES9_SG_JZNS1_25segmented_radix_sort_implINS0_14default_configELb1EPKbPbPKlPlN2at6native12_GLOBAL__N_18offset_tEEE10hipError_tPvRmT1_PNSt15iterator_traitsISY_E10value_typeET2_T3_PNSZ_IS14_E10value_typeET4_jRbjT5_S1A_jjP12ihipStream_tbEUljE_EEESV_SW_SX_S14_S18_S1A_T6_T7_T9_mT8_S1C_bDpT10_ENKUlT_T0_E_clISt17integral_constantIbLb1EES1P_EEDaS1K_S1L_EUlS1K_E_NS1_11comp_targetILNS1_3genE5ELNS1_11target_archE942ELNS1_3gpuE9ELNS1_3repE0EEENS1_30default_config_static_selectorELNS0_4arch9wavefront6targetE1EEEvSY_.num_agpr, 0
	.set _ZN7rocprim17ROCPRIM_400000_NS6detail17trampoline_kernelINS0_13select_configILj256ELj13ELNS0_17block_load_methodE3ELS4_3ELS4_3ELNS0_20block_scan_algorithmE0ELj4294967295EEENS1_25partition_config_selectorILNS1_17partition_subalgoE3EjNS0_10empty_typeEbEEZZNS1_14partition_implILS8_3ELb0ES6_jNS0_17counting_iteratorIjlEEPS9_SE_NS0_5tupleIJPjSE_EEENSF_IJSE_SE_EEES9_SG_JZNS1_25segmented_radix_sort_implINS0_14default_configELb1EPKbPbPKlPlN2at6native12_GLOBAL__N_18offset_tEEE10hipError_tPvRmT1_PNSt15iterator_traitsISY_E10value_typeET2_T3_PNSZ_IS14_E10value_typeET4_jRbjT5_S1A_jjP12ihipStream_tbEUljE_EEESV_SW_SX_S14_S18_S1A_T6_T7_T9_mT8_S1C_bDpT10_ENKUlT_T0_E_clISt17integral_constantIbLb1EES1P_EEDaS1K_S1L_EUlS1K_E_NS1_11comp_targetILNS1_3genE5ELNS1_11target_archE942ELNS1_3gpuE9ELNS1_3repE0EEENS1_30default_config_static_selectorELNS0_4arch9wavefront6targetE1EEEvSY_.numbered_sgpr, 0
	.set _ZN7rocprim17ROCPRIM_400000_NS6detail17trampoline_kernelINS0_13select_configILj256ELj13ELNS0_17block_load_methodE3ELS4_3ELS4_3ELNS0_20block_scan_algorithmE0ELj4294967295EEENS1_25partition_config_selectorILNS1_17partition_subalgoE3EjNS0_10empty_typeEbEEZZNS1_14partition_implILS8_3ELb0ES6_jNS0_17counting_iteratorIjlEEPS9_SE_NS0_5tupleIJPjSE_EEENSF_IJSE_SE_EEES9_SG_JZNS1_25segmented_radix_sort_implINS0_14default_configELb1EPKbPbPKlPlN2at6native12_GLOBAL__N_18offset_tEEE10hipError_tPvRmT1_PNSt15iterator_traitsISY_E10value_typeET2_T3_PNSZ_IS14_E10value_typeET4_jRbjT5_S1A_jjP12ihipStream_tbEUljE_EEESV_SW_SX_S14_S18_S1A_T6_T7_T9_mT8_S1C_bDpT10_ENKUlT_T0_E_clISt17integral_constantIbLb1EES1P_EEDaS1K_S1L_EUlS1K_E_NS1_11comp_targetILNS1_3genE5ELNS1_11target_archE942ELNS1_3gpuE9ELNS1_3repE0EEENS1_30default_config_static_selectorELNS0_4arch9wavefront6targetE1EEEvSY_.num_named_barrier, 0
	.set _ZN7rocprim17ROCPRIM_400000_NS6detail17trampoline_kernelINS0_13select_configILj256ELj13ELNS0_17block_load_methodE3ELS4_3ELS4_3ELNS0_20block_scan_algorithmE0ELj4294967295EEENS1_25partition_config_selectorILNS1_17partition_subalgoE3EjNS0_10empty_typeEbEEZZNS1_14partition_implILS8_3ELb0ES6_jNS0_17counting_iteratorIjlEEPS9_SE_NS0_5tupleIJPjSE_EEENSF_IJSE_SE_EEES9_SG_JZNS1_25segmented_radix_sort_implINS0_14default_configELb1EPKbPbPKlPlN2at6native12_GLOBAL__N_18offset_tEEE10hipError_tPvRmT1_PNSt15iterator_traitsISY_E10value_typeET2_T3_PNSZ_IS14_E10value_typeET4_jRbjT5_S1A_jjP12ihipStream_tbEUljE_EEESV_SW_SX_S14_S18_S1A_T6_T7_T9_mT8_S1C_bDpT10_ENKUlT_T0_E_clISt17integral_constantIbLb1EES1P_EEDaS1K_S1L_EUlS1K_E_NS1_11comp_targetILNS1_3genE5ELNS1_11target_archE942ELNS1_3gpuE9ELNS1_3repE0EEENS1_30default_config_static_selectorELNS0_4arch9wavefront6targetE1EEEvSY_.private_seg_size, 0
	.set _ZN7rocprim17ROCPRIM_400000_NS6detail17trampoline_kernelINS0_13select_configILj256ELj13ELNS0_17block_load_methodE3ELS4_3ELS4_3ELNS0_20block_scan_algorithmE0ELj4294967295EEENS1_25partition_config_selectorILNS1_17partition_subalgoE3EjNS0_10empty_typeEbEEZZNS1_14partition_implILS8_3ELb0ES6_jNS0_17counting_iteratorIjlEEPS9_SE_NS0_5tupleIJPjSE_EEENSF_IJSE_SE_EEES9_SG_JZNS1_25segmented_radix_sort_implINS0_14default_configELb1EPKbPbPKlPlN2at6native12_GLOBAL__N_18offset_tEEE10hipError_tPvRmT1_PNSt15iterator_traitsISY_E10value_typeET2_T3_PNSZ_IS14_E10value_typeET4_jRbjT5_S1A_jjP12ihipStream_tbEUljE_EEESV_SW_SX_S14_S18_S1A_T6_T7_T9_mT8_S1C_bDpT10_ENKUlT_T0_E_clISt17integral_constantIbLb1EES1P_EEDaS1K_S1L_EUlS1K_E_NS1_11comp_targetILNS1_3genE5ELNS1_11target_archE942ELNS1_3gpuE9ELNS1_3repE0EEENS1_30default_config_static_selectorELNS0_4arch9wavefront6targetE1EEEvSY_.uses_vcc, 0
	.set _ZN7rocprim17ROCPRIM_400000_NS6detail17trampoline_kernelINS0_13select_configILj256ELj13ELNS0_17block_load_methodE3ELS4_3ELS4_3ELNS0_20block_scan_algorithmE0ELj4294967295EEENS1_25partition_config_selectorILNS1_17partition_subalgoE3EjNS0_10empty_typeEbEEZZNS1_14partition_implILS8_3ELb0ES6_jNS0_17counting_iteratorIjlEEPS9_SE_NS0_5tupleIJPjSE_EEENSF_IJSE_SE_EEES9_SG_JZNS1_25segmented_radix_sort_implINS0_14default_configELb1EPKbPbPKlPlN2at6native12_GLOBAL__N_18offset_tEEE10hipError_tPvRmT1_PNSt15iterator_traitsISY_E10value_typeET2_T3_PNSZ_IS14_E10value_typeET4_jRbjT5_S1A_jjP12ihipStream_tbEUljE_EEESV_SW_SX_S14_S18_S1A_T6_T7_T9_mT8_S1C_bDpT10_ENKUlT_T0_E_clISt17integral_constantIbLb1EES1P_EEDaS1K_S1L_EUlS1K_E_NS1_11comp_targetILNS1_3genE5ELNS1_11target_archE942ELNS1_3gpuE9ELNS1_3repE0EEENS1_30default_config_static_selectorELNS0_4arch9wavefront6targetE1EEEvSY_.uses_flat_scratch, 0
	.set _ZN7rocprim17ROCPRIM_400000_NS6detail17trampoline_kernelINS0_13select_configILj256ELj13ELNS0_17block_load_methodE3ELS4_3ELS4_3ELNS0_20block_scan_algorithmE0ELj4294967295EEENS1_25partition_config_selectorILNS1_17partition_subalgoE3EjNS0_10empty_typeEbEEZZNS1_14partition_implILS8_3ELb0ES6_jNS0_17counting_iteratorIjlEEPS9_SE_NS0_5tupleIJPjSE_EEENSF_IJSE_SE_EEES9_SG_JZNS1_25segmented_radix_sort_implINS0_14default_configELb1EPKbPbPKlPlN2at6native12_GLOBAL__N_18offset_tEEE10hipError_tPvRmT1_PNSt15iterator_traitsISY_E10value_typeET2_T3_PNSZ_IS14_E10value_typeET4_jRbjT5_S1A_jjP12ihipStream_tbEUljE_EEESV_SW_SX_S14_S18_S1A_T6_T7_T9_mT8_S1C_bDpT10_ENKUlT_T0_E_clISt17integral_constantIbLb1EES1P_EEDaS1K_S1L_EUlS1K_E_NS1_11comp_targetILNS1_3genE5ELNS1_11target_archE942ELNS1_3gpuE9ELNS1_3repE0EEENS1_30default_config_static_selectorELNS0_4arch9wavefront6targetE1EEEvSY_.has_dyn_sized_stack, 0
	.set _ZN7rocprim17ROCPRIM_400000_NS6detail17trampoline_kernelINS0_13select_configILj256ELj13ELNS0_17block_load_methodE3ELS4_3ELS4_3ELNS0_20block_scan_algorithmE0ELj4294967295EEENS1_25partition_config_selectorILNS1_17partition_subalgoE3EjNS0_10empty_typeEbEEZZNS1_14partition_implILS8_3ELb0ES6_jNS0_17counting_iteratorIjlEEPS9_SE_NS0_5tupleIJPjSE_EEENSF_IJSE_SE_EEES9_SG_JZNS1_25segmented_radix_sort_implINS0_14default_configELb1EPKbPbPKlPlN2at6native12_GLOBAL__N_18offset_tEEE10hipError_tPvRmT1_PNSt15iterator_traitsISY_E10value_typeET2_T3_PNSZ_IS14_E10value_typeET4_jRbjT5_S1A_jjP12ihipStream_tbEUljE_EEESV_SW_SX_S14_S18_S1A_T6_T7_T9_mT8_S1C_bDpT10_ENKUlT_T0_E_clISt17integral_constantIbLb1EES1P_EEDaS1K_S1L_EUlS1K_E_NS1_11comp_targetILNS1_3genE5ELNS1_11target_archE942ELNS1_3gpuE9ELNS1_3repE0EEENS1_30default_config_static_selectorELNS0_4arch9wavefront6targetE1EEEvSY_.has_recursion, 0
	.set _ZN7rocprim17ROCPRIM_400000_NS6detail17trampoline_kernelINS0_13select_configILj256ELj13ELNS0_17block_load_methodE3ELS4_3ELS4_3ELNS0_20block_scan_algorithmE0ELj4294967295EEENS1_25partition_config_selectorILNS1_17partition_subalgoE3EjNS0_10empty_typeEbEEZZNS1_14partition_implILS8_3ELb0ES6_jNS0_17counting_iteratorIjlEEPS9_SE_NS0_5tupleIJPjSE_EEENSF_IJSE_SE_EEES9_SG_JZNS1_25segmented_radix_sort_implINS0_14default_configELb1EPKbPbPKlPlN2at6native12_GLOBAL__N_18offset_tEEE10hipError_tPvRmT1_PNSt15iterator_traitsISY_E10value_typeET2_T3_PNSZ_IS14_E10value_typeET4_jRbjT5_S1A_jjP12ihipStream_tbEUljE_EEESV_SW_SX_S14_S18_S1A_T6_T7_T9_mT8_S1C_bDpT10_ENKUlT_T0_E_clISt17integral_constantIbLb1EES1P_EEDaS1K_S1L_EUlS1K_E_NS1_11comp_targetILNS1_3genE5ELNS1_11target_archE942ELNS1_3gpuE9ELNS1_3repE0EEENS1_30default_config_static_selectorELNS0_4arch9wavefront6targetE1EEEvSY_.has_indirect_call, 0
	.section	.AMDGPU.csdata,"",@progbits
; Kernel info:
; codeLenInByte = 0
; TotalNumSgprs: 4
; NumVgprs: 0
; ScratchSize: 0
; MemoryBound: 0
; FloatMode: 240
; IeeeMode: 1
; LDSByteSize: 0 bytes/workgroup (compile time only)
; SGPRBlocks: 0
; VGPRBlocks: 0
; NumSGPRsForWavesPerEU: 4
; NumVGPRsForWavesPerEU: 1
; Occupancy: 10
; WaveLimiterHint : 0
; COMPUTE_PGM_RSRC2:SCRATCH_EN: 0
; COMPUTE_PGM_RSRC2:USER_SGPR: 6
; COMPUTE_PGM_RSRC2:TRAP_HANDLER: 0
; COMPUTE_PGM_RSRC2:TGID_X_EN: 1
; COMPUTE_PGM_RSRC2:TGID_Y_EN: 0
; COMPUTE_PGM_RSRC2:TGID_Z_EN: 0
; COMPUTE_PGM_RSRC2:TIDIG_COMP_CNT: 0
	.section	.text._ZN7rocprim17ROCPRIM_400000_NS6detail17trampoline_kernelINS0_13select_configILj256ELj13ELNS0_17block_load_methodE3ELS4_3ELS4_3ELNS0_20block_scan_algorithmE0ELj4294967295EEENS1_25partition_config_selectorILNS1_17partition_subalgoE3EjNS0_10empty_typeEbEEZZNS1_14partition_implILS8_3ELb0ES6_jNS0_17counting_iteratorIjlEEPS9_SE_NS0_5tupleIJPjSE_EEENSF_IJSE_SE_EEES9_SG_JZNS1_25segmented_radix_sort_implINS0_14default_configELb1EPKbPbPKlPlN2at6native12_GLOBAL__N_18offset_tEEE10hipError_tPvRmT1_PNSt15iterator_traitsISY_E10value_typeET2_T3_PNSZ_IS14_E10value_typeET4_jRbjT5_S1A_jjP12ihipStream_tbEUljE_EEESV_SW_SX_S14_S18_S1A_T6_T7_T9_mT8_S1C_bDpT10_ENKUlT_T0_E_clISt17integral_constantIbLb1EES1P_EEDaS1K_S1L_EUlS1K_E_NS1_11comp_targetILNS1_3genE4ELNS1_11target_archE910ELNS1_3gpuE8ELNS1_3repE0EEENS1_30default_config_static_selectorELNS0_4arch9wavefront6targetE1EEEvSY_,"axG",@progbits,_ZN7rocprim17ROCPRIM_400000_NS6detail17trampoline_kernelINS0_13select_configILj256ELj13ELNS0_17block_load_methodE3ELS4_3ELS4_3ELNS0_20block_scan_algorithmE0ELj4294967295EEENS1_25partition_config_selectorILNS1_17partition_subalgoE3EjNS0_10empty_typeEbEEZZNS1_14partition_implILS8_3ELb0ES6_jNS0_17counting_iteratorIjlEEPS9_SE_NS0_5tupleIJPjSE_EEENSF_IJSE_SE_EEES9_SG_JZNS1_25segmented_radix_sort_implINS0_14default_configELb1EPKbPbPKlPlN2at6native12_GLOBAL__N_18offset_tEEE10hipError_tPvRmT1_PNSt15iterator_traitsISY_E10value_typeET2_T3_PNSZ_IS14_E10value_typeET4_jRbjT5_S1A_jjP12ihipStream_tbEUljE_EEESV_SW_SX_S14_S18_S1A_T6_T7_T9_mT8_S1C_bDpT10_ENKUlT_T0_E_clISt17integral_constantIbLb1EES1P_EEDaS1K_S1L_EUlS1K_E_NS1_11comp_targetILNS1_3genE4ELNS1_11target_archE910ELNS1_3gpuE8ELNS1_3repE0EEENS1_30default_config_static_selectorELNS0_4arch9wavefront6targetE1EEEvSY_,comdat
	.globl	_ZN7rocprim17ROCPRIM_400000_NS6detail17trampoline_kernelINS0_13select_configILj256ELj13ELNS0_17block_load_methodE3ELS4_3ELS4_3ELNS0_20block_scan_algorithmE0ELj4294967295EEENS1_25partition_config_selectorILNS1_17partition_subalgoE3EjNS0_10empty_typeEbEEZZNS1_14partition_implILS8_3ELb0ES6_jNS0_17counting_iteratorIjlEEPS9_SE_NS0_5tupleIJPjSE_EEENSF_IJSE_SE_EEES9_SG_JZNS1_25segmented_radix_sort_implINS0_14default_configELb1EPKbPbPKlPlN2at6native12_GLOBAL__N_18offset_tEEE10hipError_tPvRmT1_PNSt15iterator_traitsISY_E10value_typeET2_T3_PNSZ_IS14_E10value_typeET4_jRbjT5_S1A_jjP12ihipStream_tbEUljE_EEESV_SW_SX_S14_S18_S1A_T6_T7_T9_mT8_S1C_bDpT10_ENKUlT_T0_E_clISt17integral_constantIbLb1EES1P_EEDaS1K_S1L_EUlS1K_E_NS1_11comp_targetILNS1_3genE4ELNS1_11target_archE910ELNS1_3gpuE8ELNS1_3repE0EEENS1_30default_config_static_selectorELNS0_4arch9wavefront6targetE1EEEvSY_ ; -- Begin function _ZN7rocprim17ROCPRIM_400000_NS6detail17trampoline_kernelINS0_13select_configILj256ELj13ELNS0_17block_load_methodE3ELS4_3ELS4_3ELNS0_20block_scan_algorithmE0ELj4294967295EEENS1_25partition_config_selectorILNS1_17partition_subalgoE3EjNS0_10empty_typeEbEEZZNS1_14partition_implILS8_3ELb0ES6_jNS0_17counting_iteratorIjlEEPS9_SE_NS0_5tupleIJPjSE_EEENSF_IJSE_SE_EEES9_SG_JZNS1_25segmented_radix_sort_implINS0_14default_configELb1EPKbPbPKlPlN2at6native12_GLOBAL__N_18offset_tEEE10hipError_tPvRmT1_PNSt15iterator_traitsISY_E10value_typeET2_T3_PNSZ_IS14_E10value_typeET4_jRbjT5_S1A_jjP12ihipStream_tbEUljE_EEESV_SW_SX_S14_S18_S1A_T6_T7_T9_mT8_S1C_bDpT10_ENKUlT_T0_E_clISt17integral_constantIbLb1EES1P_EEDaS1K_S1L_EUlS1K_E_NS1_11comp_targetILNS1_3genE4ELNS1_11target_archE910ELNS1_3gpuE8ELNS1_3repE0EEENS1_30default_config_static_selectorELNS0_4arch9wavefront6targetE1EEEvSY_
	.p2align	8
	.type	_ZN7rocprim17ROCPRIM_400000_NS6detail17trampoline_kernelINS0_13select_configILj256ELj13ELNS0_17block_load_methodE3ELS4_3ELS4_3ELNS0_20block_scan_algorithmE0ELj4294967295EEENS1_25partition_config_selectorILNS1_17partition_subalgoE3EjNS0_10empty_typeEbEEZZNS1_14partition_implILS8_3ELb0ES6_jNS0_17counting_iteratorIjlEEPS9_SE_NS0_5tupleIJPjSE_EEENSF_IJSE_SE_EEES9_SG_JZNS1_25segmented_radix_sort_implINS0_14default_configELb1EPKbPbPKlPlN2at6native12_GLOBAL__N_18offset_tEEE10hipError_tPvRmT1_PNSt15iterator_traitsISY_E10value_typeET2_T3_PNSZ_IS14_E10value_typeET4_jRbjT5_S1A_jjP12ihipStream_tbEUljE_EEESV_SW_SX_S14_S18_S1A_T6_T7_T9_mT8_S1C_bDpT10_ENKUlT_T0_E_clISt17integral_constantIbLb1EES1P_EEDaS1K_S1L_EUlS1K_E_NS1_11comp_targetILNS1_3genE4ELNS1_11target_archE910ELNS1_3gpuE8ELNS1_3repE0EEENS1_30default_config_static_selectorELNS0_4arch9wavefront6targetE1EEEvSY_,@function
_ZN7rocprim17ROCPRIM_400000_NS6detail17trampoline_kernelINS0_13select_configILj256ELj13ELNS0_17block_load_methodE3ELS4_3ELS4_3ELNS0_20block_scan_algorithmE0ELj4294967295EEENS1_25partition_config_selectorILNS1_17partition_subalgoE3EjNS0_10empty_typeEbEEZZNS1_14partition_implILS8_3ELb0ES6_jNS0_17counting_iteratorIjlEEPS9_SE_NS0_5tupleIJPjSE_EEENSF_IJSE_SE_EEES9_SG_JZNS1_25segmented_radix_sort_implINS0_14default_configELb1EPKbPbPKlPlN2at6native12_GLOBAL__N_18offset_tEEE10hipError_tPvRmT1_PNSt15iterator_traitsISY_E10value_typeET2_T3_PNSZ_IS14_E10value_typeET4_jRbjT5_S1A_jjP12ihipStream_tbEUljE_EEESV_SW_SX_S14_S18_S1A_T6_T7_T9_mT8_S1C_bDpT10_ENKUlT_T0_E_clISt17integral_constantIbLb1EES1P_EEDaS1K_S1L_EUlS1K_E_NS1_11comp_targetILNS1_3genE4ELNS1_11target_archE910ELNS1_3gpuE8ELNS1_3repE0EEENS1_30default_config_static_selectorELNS0_4arch9wavefront6targetE1EEEvSY_: ; @_ZN7rocprim17ROCPRIM_400000_NS6detail17trampoline_kernelINS0_13select_configILj256ELj13ELNS0_17block_load_methodE3ELS4_3ELS4_3ELNS0_20block_scan_algorithmE0ELj4294967295EEENS1_25partition_config_selectorILNS1_17partition_subalgoE3EjNS0_10empty_typeEbEEZZNS1_14partition_implILS8_3ELb0ES6_jNS0_17counting_iteratorIjlEEPS9_SE_NS0_5tupleIJPjSE_EEENSF_IJSE_SE_EEES9_SG_JZNS1_25segmented_radix_sort_implINS0_14default_configELb1EPKbPbPKlPlN2at6native12_GLOBAL__N_18offset_tEEE10hipError_tPvRmT1_PNSt15iterator_traitsISY_E10value_typeET2_T3_PNSZ_IS14_E10value_typeET4_jRbjT5_S1A_jjP12ihipStream_tbEUljE_EEESV_SW_SX_S14_S18_S1A_T6_T7_T9_mT8_S1C_bDpT10_ENKUlT_T0_E_clISt17integral_constantIbLb1EES1P_EEDaS1K_S1L_EUlS1K_E_NS1_11comp_targetILNS1_3genE4ELNS1_11target_archE910ELNS1_3gpuE8ELNS1_3repE0EEENS1_30default_config_static_selectorELNS0_4arch9wavefront6targetE1EEEvSY_
; %bb.0:
	.section	.rodata,"a",@progbits
	.p2align	6, 0x0
	.amdhsa_kernel _ZN7rocprim17ROCPRIM_400000_NS6detail17trampoline_kernelINS0_13select_configILj256ELj13ELNS0_17block_load_methodE3ELS4_3ELS4_3ELNS0_20block_scan_algorithmE0ELj4294967295EEENS1_25partition_config_selectorILNS1_17partition_subalgoE3EjNS0_10empty_typeEbEEZZNS1_14partition_implILS8_3ELb0ES6_jNS0_17counting_iteratorIjlEEPS9_SE_NS0_5tupleIJPjSE_EEENSF_IJSE_SE_EEES9_SG_JZNS1_25segmented_radix_sort_implINS0_14default_configELb1EPKbPbPKlPlN2at6native12_GLOBAL__N_18offset_tEEE10hipError_tPvRmT1_PNSt15iterator_traitsISY_E10value_typeET2_T3_PNSZ_IS14_E10value_typeET4_jRbjT5_S1A_jjP12ihipStream_tbEUljE_EEESV_SW_SX_S14_S18_S1A_T6_T7_T9_mT8_S1C_bDpT10_ENKUlT_T0_E_clISt17integral_constantIbLb1EES1P_EEDaS1K_S1L_EUlS1K_E_NS1_11comp_targetILNS1_3genE4ELNS1_11target_archE910ELNS1_3gpuE8ELNS1_3repE0EEENS1_30default_config_static_selectorELNS0_4arch9wavefront6targetE1EEEvSY_
		.amdhsa_group_segment_fixed_size 0
		.amdhsa_private_segment_fixed_size 0
		.amdhsa_kernarg_size 152
		.amdhsa_user_sgpr_count 6
		.amdhsa_user_sgpr_private_segment_buffer 1
		.amdhsa_user_sgpr_dispatch_ptr 0
		.amdhsa_user_sgpr_queue_ptr 0
		.amdhsa_user_sgpr_kernarg_segment_ptr 1
		.amdhsa_user_sgpr_dispatch_id 0
		.amdhsa_user_sgpr_flat_scratch_init 0
		.amdhsa_user_sgpr_private_segment_size 0
		.amdhsa_uses_dynamic_stack 0
		.amdhsa_system_sgpr_private_segment_wavefront_offset 0
		.amdhsa_system_sgpr_workgroup_id_x 1
		.amdhsa_system_sgpr_workgroup_id_y 0
		.amdhsa_system_sgpr_workgroup_id_z 0
		.amdhsa_system_sgpr_workgroup_info 0
		.amdhsa_system_vgpr_workitem_id 0
		.amdhsa_next_free_vgpr 1
		.amdhsa_next_free_sgpr 0
		.amdhsa_reserve_vcc 0
		.amdhsa_reserve_flat_scratch 0
		.amdhsa_float_round_mode_32 0
		.amdhsa_float_round_mode_16_64 0
		.amdhsa_float_denorm_mode_32 3
		.amdhsa_float_denorm_mode_16_64 3
		.amdhsa_dx10_clamp 1
		.amdhsa_ieee_mode 1
		.amdhsa_fp16_overflow 0
		.amdhsa_exception_fp_ieee_invalid_op 0
		.amdhsa_exception_fp_denorm_src 0
		.amdhsa_exception_fp_ieee_div_zero 0
		.amdhsa_exception_fp_ieee_overflow 0
		.amdhsa_exception_fp_ieee_underflow 0
		.amdhsa_exception_fp_ieee_inexact 0
		.amdhsa_exception_int_div_zero 0
	.end_amdhsa_kernel
	.section	.text._ZN7rocprim17ROCPRIM_400000_NS6detail17trampoline_kernelINS0_13select_configILj256ELj13ELNS0_17block_load_methodE3ELS4_3ELS4_3ELNS0_20block_scan_algorithmE0ELj4294967295EEENS1_25partition_config_selectorILNS1_17partition_subalgoE3EjNS0_10empty_typeEbEEZZNS1_14partition_implILS8_3ELb0ES6_jNS0_17counting_iteratorIjlEEPS9_SE_NS0_5tupleIJPjSE_EEENSF_IJSE_SE_EEES9_SG_JZNS1_25segmented_radix_sort_implINS0_14default_configELb1EPKbPbPKlPlN2at6native12_GLOBAL__N_18offset_tEEE10hipError_tPvRmT1_PNSt15iterator_traitsISY_E10value_typeET2_T3_PNSZ_IS14_E10value_typeET4_jRbjT5_S1A_jjP12ihipStream_tbEUljE_EEESV_SW_SX_S14_S18_S1A_T6_T7_T9_mT8_S1C_bDpT10_ENKUlT_T0_E_clISt17integral_constantIbLb1EES1P_EEDaS1K_S1L_EUlS1K_E_NS1_11comp_targetILNS1_3genE4ELNS1_11target_archE910ELNS1_3gpuE8ELNS1_3repE0EEENS1_30default_config_static_selectorELNS0_4arch9wavefront6targetE1EEEvSY_,"axG",@progbits,_ZN7rocprim17ROCPRIM_400000_NS6detail17trampoline_kernelINS0_13select_configILj256ELj13ELNS0_17block_load_methodE3ELS4_3ELS4_3ELNS0_20block_scan_algorithmE0ELj4294967295EEENS1_25partition_config_selectorILNS1_17partition_subalgoE3EjNS0_10empty_typeEbEEZZNS1_14partition_implILS8_3ELb0ES6_jNS0_17counting_iteratorIjlEEPS9_SE_NS0_5tupleIJPjSE_EEENSF_IJSE_SE_EEES9_SG_JZNS1_25segmented_radix_sort_implINS0_14default_configELb1EPKbPbPKlPlN2at6native12_GLOBAL__N_18offset_tEEE10hipError_tPvRmT1_PNSt15iterator_traitsISY_E10value_typeET2_T3_PNSZ_IS14_E10value_typeET4_jRbjT5_S1A_jjP12ihipStream_tbEUljE_EEESV_SW_SX_S14_S18_S1A_T6_T7_T9_mT8_S1C_bDpT10_ENKUlT_T0_E_clISt17integral_constantIbLb1EES1P_EEDaS1K_S1L_EUlS1K_E_NS1_11comp_targetILNS1_3genE4ELNS1_11target_archE910ELNS1_3gpuE8ELNS1_3repE0EEENS1_30default_config_static_selectorELNS0_4arch9wavefront6targetE1EEEvSY_,comdat
.Lfunc_end1510:
	.size	_ZN7rocprim17ROCPRIM_400000_NS6detail17trampoline_kernelINS0_13select_configILj256ELj13ELNS0_17block_load_methodE3ELS4_3ELS4_3ELNS0_20block_scan_algorithmE0ELj4294967295EEENS1_25partition_config_selectorILNS1_17partition_subalgoE3EjNS0_10empty_typeEbEEZZNS1_14partition_implILS8_3ELb0ES6_jNS0_17counting_iteratorIjlEEPS9_SE_NS0_5tupleIJPjSE_EEENSF_IJSE_SE_EEES9_SG_JZNS1_25segmented_radix_sort_implINS0_14default_configELb1EPKbPbPKlPlN2at6native12_GLOBAL__N_18offset_tEEE10hipError_tPvRmT1_PNSt15iterator_traitsISY_E10value_typeET2_T3_PNSZ_IS14_E10value_typeET4_jRbjT5_S1A_jjP12ihipStream_tbEUljE_EEESV_SW_SX_S14_S18_S1A_T6_T7_T9_mT8_S1C_bDpT10_ENKUlT_T0_E_clISt17integral_constantIbLb1EES1P_EEDaS1K_S1L_EUlS1K_E_NS1_11comp_targetILNS1_3genE4ELNS1_11target_archE910ELNS1_3gpuE8ELNS1_3repE0EEENS1_30default_config_static_selectorELNS0_4arch9wavefront6targetE1EEEvSY_, .Lfunc_end1510-_ZN7rocprim17ROCPRIM_400000_NS6detail17trampoline_kernelINS0_13select_configILj256ELj13ELNS0_17block_load_methodE3ELS4_3ELS4_3ELNS0_20block_scan_algorithmE0ELj4294967295EEENS1_25partition_config_selectorILNS1_17partition_subalgoE3EjNS0_10empty_typeEbEEZZNS1_14partition_implILS8_3ELb0ES6_jNS0_17counting_iteratorIjlEEPS9_SE_NS0_5tupleIJPjSE_EEENSF_IJSE_SE_EEES9_SG_JZNS1_25segmented_radix_sort_implINS0_14default_configELb1EPKbPbPKlPlN2at6native12_GLOBAL__N_18offset_tEEE10hipError_tPvRmT1_PNSt15iterator_traitsISY_E10value_typeET2_T3_PNSZ_IS14_E10value_typeET4_jRbjT5_S1A_jjP12ihipStream_tbEUljE_EEESV_SW_SX_S14_S18_S1A_T6_T7_T9_mT8_S1C_bDpT10_ENKUlT_T0_E_clISt17integral_constantIbLb1EES1P_EEDaS1K_S1L_EUlS1K_E_NS1_11comp_targetILNS1_3genE4ELNS1_11target_archE910ELNS1_3gpuE8ELNS1_3repE0EEENS1_30default_config_static_selectorELNS0_4arch9wavefront6targetE1EEEvSY_
                                        ; -- End function
	.set _ZN7rocprim17ROCPRIM_400000_NS6detail17trampoline_kernelINS0_13select_configILj256ELj13ELNS0_17block_load_methodE3ELS4_3ELS4_3ELNS0_20block_scan_algorithmE0ELj4294967295EEENS1_25partition_config_selectorILNS1_17partition_subalgoE3EjNS0_10empty_typeEbEEZZNS1_14partition_implILS8_3ELb0ES6_jNS0_17counting_iteratorIjlEEPS9_SE_NS0_5tupleIJPjSE_EEENSF_IJSE_SE_EEES9_SG_JZNS1_25segmented_radix_sort_implINS0_14default_configELb1EPKbPbPKlPlN2at6native12_GLOBAL__N_18offset_tEEE10hipError_tPvRmT1_PNSt15iterator_traitsISY_E10value_typeET2_T3_PNSZ_IS14_E10value_typeET4_jRbjT5_S1A_jjP12ihipStream_tbEUljE_EEESV_SW_SX_S14_S18_S1A_T6_T7_T9_mT8_S1C_bDpT10_ENKUlT_T0_E_clISt17integral_constantIbLb1EES1P_EEDaS1K_S1L_EUlS1K_E_NS1_11comp_targetILNS1_3genE4ELNS1_11target_archE910ELNS1_3gpuE8ELNS1_3repE0EEENS1_30default_config_static_selectorELNS0_4arch9wavefront6targetE1EEEvSY_.num_vgpr, 0
	.set _ZN7rocprim17ROCPRIM_400000_NS6detail17trampoline_kernelINS0_13select_configILj256ELj13ELNS0_17block_load_methodE3ELS4_3ELS4_3ELNS0_20block_scan_algorithmE0ELj4294967295EEENS1_25partition_config_selectorILNS1_17partition_subalgoE3EjNS0_10empty_typeEbEEZZNS1_14partition_implILS8_3ELb0ES6_jNS0_17counting_iteratorIjlEEPS9_SE_NS0_5tupleIJPjSE_EEENSF_IJSE_SE_EEES9_SG_JZNS1_25segmented_radix_sort_implINS0_14default_configELb1EPKbPbPKlPlN2at6native12_GLOBAL__N_18offset_tEEE10hipError_tPvRmT1_PNSt15iterator_traitsISY_E10value_typeET2_T3_PNSZ_IS14_E10value_typeET4_jRbjT5_S1A_jjP12ihipStream_tbEUljE_EEESV_SW_SX_S14_S18_S1A_T6_T7_T9_mT8_S1C_bDpT10_ENKUlT_T0_E_clISt17integral_constantIbLb1EES1P_EEDaS1K_S1L_EUlS1K_E_NS1_11comp_targetILNS1_3genE4ELNS1_11target_archE910ELNS1_3gpuE8ELNS1_3repE0EEENS1_30default_config_static_selectorELNS0_4arch9wavefront6targetE1EEEvSY_.num_agpr, 0
	.set _ZN7rocprim17ROCPRIM_400000_NS6detail17trampoline_kernelINS0_13select_configILj256ELj13ELNS0_17block_load_methodE3ELS4_3ELS4_3ELNS0_20block_scan_algorithmE0ELj4294967295EEENS1_25partition_config_selectorILNS1_17partition_subalgoE3EjNS0_10empty_typeEbEEZZNS1_14partition_implILS8_3ELb0ES6_jNS0_17counting_iteratorIjlEEPS9_SE_NS0_5tupleIJPjSE_EEENSF_IJSE_SE_EEES9_SG_JZNS1_25segmented_radix_sort_implINS0_14default_configELb1EPKbPbPKlPlN2at6native12_GLOBAL__N_18offset_tEEE10hipError_tPvRmT1_PNSt15iterator_traitsISY_E10value_typeET2_T3_PNSZ_IS14_E10value_typeET4_jRbjT5_S1A_jjP12ihipStream_tbEUljE_EEESV_SW_SX_S14_S18_S1A_T6_T7_T9_mT8_S1C_bDpT10_ENKUlT_T0_E_clISt17integral_constantIbLb1EES1P_EEDaS1K_S1L_EUlS1K_E_NS1_11comp_targetILNS1_3genE4ELNS1_11target_archE910ELNS1_3gpuE8ELNS1_3repE0EEENS1_30default_config_static_selectorELNS0_4arch9wavefront6targetE1EEEvSY_.numbered_sgpr, 0
	.set _ZN7rocprim17ROCPRIM_400000_NS6detail17trampoline_kernelINS0_13select_configILj256ELj13ELNS0_17block_load_methodE3ELS4_3ELS4_3ELNS0_20block_scan_algorithmE0ELj4294967295EEENS1_25partition_config_selectorILNS1_17partition_subalgoE3EjNS0_10empty_typeEbEEZZNS1_14partition_implILS8_3ELb0ES6_jNS0_17counting_iteratorIjlEEPS9_SE_NS0_5tupleIJPjSE_EEENSF_IJSE_SE_EEES9_SG_JZNS1_25segmented_radix_sort_implINS0_14default_configELb1EPKbPbPKlPlN2at6native12_GLOBAL__N_18offset_tEEE10hipError_tPvRmT1_PNSt15iterator_traitsISY_E10value_typeET2_T3_PNSZ_IS14_E10value_typeET4_jRbjT5_S1A_jjP12ihipStream_tbEUljE_EEESV_SW_SX_S14_S18_S1A_T6_T7_T9_mT8_S1C_bDpT10_ENKUlT_T0_E_clISt17integral_constantIbLb1EES1P_EEDaS1K_S1L_EUlS1K_E_NS1_11comp_targetILNS1_3genE4ELNS1_11target_archE910ELNS1_3gpuE8ELNS1_3repE0EEENS1_30default_config_static_selectorELNS0_4arch9wavefront6targetE1EEEvSY_.num_named_barrier, 0
	.set _ZN7rocprim17ROCPRIM_400000_NS6detail17trampoline_kernelINS0_13select_configILj256ELj13ELNS0_17block_load_methodE3ELS4_3ELS4_3ELNS0_20block_scan_algorithmE0ELj4294967295EEENS1_25partition_config_selectorILNS1_17partition_subalgoE3EjNS0_10empty_typeEbEEZZNS1_14partition_implILS8_3ELb0ES6_jNS0_17counting_iteratorIjlEEPS9_SE_NS0_5tupleIJPjSE_EEENSF_IJSE_SE_EEES9_SG_JZNS1_25segmented_radix_sort_implINS0_14default_configELb1EPKbPbPKlPlN2at6native12_GLOBAL__N_18offset_tEEE10hipError_tPvRmT1_PNSt15iterator_traitsISY_E10value_typeET2_T3_PNSZ_IS14_E10value_typeET4_jRbjT5_S1A_jjP12ihipStream_tbEUljE_EEESV_SW_SX_S14_S18_S1A_T6_T7_T9_mT8_S1C_bDpT10_ENKUlT_T0_E_clISt17integral_constantIbLb1EES1P_EEDaS1K_S1L_EUlS1K_E_NS1_11comp_targetILNS1_3genE4ELNS1_11target_archE910ELNS1_3gpuE8ELNS1_3repE0EEENS1_30default_config_static_selectorELNS0_4arch9wavefront6targetE1EEEvSY_.private_seg_size, 0
	.set _ZN7rocprim17ROCPRIM_400000_NS6detail17trampoline_kernelINS0_13select_configILj256ELj13ELNS0_17block_load_methodE3ELS4_3ELS4_3ELNS0_20block_scan_algorithmE0ELj4294967295EEENS1_25partition_config_selectorILNS1_17partition_subalgoE3EjNS0_10empty_typeEbEEZZNS1_14partition_implILS8_3ELb0ES6_jNS0_17counting_iteratorIjlEEPS9_SE_NS0_5tupleIJPjSE_EEENSF_IJSE_SE_EEES9_SG_JZNS1_25segmented_radix_sort_implINS0_14default_configELb1EPKbPbPKlPlN2at6native12_GLOBAL__N_18offset_tEEE10hipError_tPvRmT1_PNSt15iterator_traitsISY_E10value_typeET2_T3_PNSZ_IS14_E10value_typeET4_jRbjT5_S1A_jjP12ihipStream_tbEUljE_EEESV_SW_SX_S14_S18_S1A_T6_T7_T9_mT8_S1C_bDpT10_ENKUlT_T0_E_clISt17integral_constantIbLb1EES1P_EEDaS1K_S1L_EUlS1K_E_NS1_11comp_targetILNS1_3genE4ELNS1_11target_archE910ELNS1_3gpuE8ELNS1_3repE0EEENS1_30default_config_static_selectorELNS0_4arch9wavefront6targetE1EEEvSY_.uses_vcc, 0
	.set _ZN7rocprim17ROCPRIM_400000_NS6detail17trampoline_kernelINS0_13select_configILj256ELj13ELNS0_17block_load_methodE3ELS4_3ELS4_3ELNS0_20block_scan_algorithmE0ELj4294967295EEENS1_25partition_config_selectorILNS1_17partition_subalgoE3EjNS0_10empty_typeEbEEZZNS1_14partition_implILS8_3ELb0ES6_jNS0_17counting_iteratorIjlEEPS9_SE_NS0_5tupleIJPjSE_EEENSF_IJSE_SE_EEES9_SG_JZNS1_25segmented_radix_sort_implINS0_14default_configELb1EPKbPbPKlPlN2at6native12_GLOBAL__N_18offset_tEEE10hipError_tPvRmT1_PNSt15iterator_traitsISY_E10value_typeET2_T3_PNSZ_IS14_E10value_typeET4_jRbjT5_S1A_jjP12ihipStream_tbEUljE_EEESV_SW_SX_S14_S18_S1A_T6_T7_T9_mT8_S1C_bDpT10_ENKUlT_T0_E_clISt17integral_constantIbLb1EES1P_EEDaS1K_S1L_EUlS1K_E_NS1_11comp_targetILNS1_3genE4ELNS1_11target_archE910ELNS1_3gpuE8ELNS1_3repE0EEENS1_30default_config_static_selectorELNS0_4arch9wavefront6targetE1EEEvSY_.uses_flat_scratch, 0
	.set _ZN7rocprim17ROCPRIM_400000_NS6detail17trampoline_kernelINS0_13select_configILj256ELj13ELNS0_17block_load_methodE3ELS4_3ELS4_3ELNS0_20block_scan_algorithmE0ELj4294967295EEENS1_25partition_config_selectorILNS1_17partition_subalgoE3EjNS0_10empty_typeEbEEZZNS1_14partition_implILS8_3ELb0ES6_jNS0_17counting_iteratorIjlEEPS9_SE_NS0_5tupleIJPjSE_EEENSF_IJSE_SE_EEES9_SG_JZNS1_25segmented_radix_sort_implINS0_14default_configELb1EPKbPbPKlPlN2at6native12_GLOBAL__N_18offset_tEEE10hipError_tPvRmT1_PNSt15iterator_traitsISY_E10value_typeET2_T3_PNSZ_IS14_E10value_typeET4_jRbjT5_S1A_jjP12ihipStream_tbEUljE_EEESV_SW_SX_S14_S18_S1A_T6_T7_T9_mT8_S1C_bDpT10_ENKUlT_T0_E_clISt17integral_constantIbLb1EES1P_EEDaS1K_S1L_EUlS1K_E_NS1_11comp_targetILNS1_3genE4ELNS1_11target_archE910ELNS1_3gpuE8ELNS1_3repE0EEENS1_30default_config_static_selectorELNS0_4arch9wavefront6targetE1EEEvSY_.has_dyn_sized_stack, 0
	.set _ZN7rocprim17ROCPRIM_400000_NS6detail17trampoline_kernelINS0_13select_configILj256ELj13ELNS0_17block_load_methodE3ELS4_3ELS4_3ELNS0_20block_scan_algorithmE0ELj4294967295EEENS1_25partition_config_selectorILNS1_17partition_subalgoE3EjNS0_10empty_typeEbEEZZNS1_14partition_implILS8_3ELb0ES6_jNS0_17counting_iteratorIjlEEPS9_SE_NS0_5tupleIJPjSE_EEENSF_IJSE_SE_EEES9_SG_JZNS1_25segmented_radix_sort_implINS0_14default_configELb1EPKbPbPKlPlN2at6native12_GLOBAL__N_18offset_tEEE10hipError_tPvRmT1_PNSt15iterator_traitsISY_E10value_typeET2_T3_PNSZ_IS14_E10value_typeET4_jRbjT5_S1A_jjP12ihipStream_tbEUljE_EEESV_SW_SX_S14_S18_S1A_T6_T7_T9_mT8_S1C_bDpT10_ENKUlT_T0_E_clISt17integral_constantIbLb1EES1P_EEDaS1K_S1L_EUlS1K_E_NS1_11comp_targetILNS1_3genE4ELNS1_11target_archE910ELNS1_3gpuE8ELNS1_3repE0EEENS1_30default_config_static_selectorELNS0_4arch9wavefront6targetE1EEEvSY_.has_recursion, 0
	.set _ZN7rocprim17ROCPRIM_400000_NS6detail17trampoline_kernelINS0_13select_configILj256ELj13ELNS0_17block_load_methodE3ELS4_3ELS4_3ELNS0_20block_scan_algorithmE0ELj4294967295EEENS1_25partition_config_selectorILNS1_17partition_subalgoE3EjNS0_10empty_typeEbEEZZNS1_14partition_implILS8_3ELb0ES6_jNS0_17counting_iteratorIjlEEPS9_SE_NS0_5tupleIJPjSE_EEENSF_IJSE_SE_EEES9_SG_JZNS1_25segmented_radix_sort_implINS0_14default_configELb1EPKbPbPKlPlN2at6native12_GLOBAL__N_18offset_tEEE10hipError_tPvRmT1_PNSt15iterator_traitsISY_E10value_typeET2_T3_PNSZ_IS14_E10value_typeET4_jRbjT5_S1A_jjP12ihipStream_tbEUljE_EEESV_SW_SX_S14_S18_S1A_T6_T7_T9_mT8_S1C_bDpT10_ENKUlT_T0_E_clISt17integral_constantIbLb1EES1P_EEDaS1K_S1L_EUlS1K_E_NS1_11comp_targetILNS1_3genE4ELNS1_11target_archE910ELNS1_3gpuE8ELNS1_3repE0EEENS1_30default_config_static_selectorELNS0_4arch9wavefront6targetE1EEEvSY_.has_indirect_call, 0
	.section	.AMDGPU.csdata,"",@progbits
; Kernel info:
; codeLenInByte = 0
; TotalNumSgprs: 4
; NumVgprs: 0
; ScratchSize: 0
; MemoryBound: 0
; FloatMode: 240
; IeeeMode: 1
; LDSByteSize: 0 bytes/workgroup (compile time only)
; SGPRBlocks: 0
; VGPRBlocks: 0
; NumSGPRsForWavesPerEU: 4
; NumVGPRsForWavesPerEU: 1
; Occupancy: 10
; WaveLimiterHint : 0
; COMPUTE_PGM_RSRC2:SCRATCH_EN: 0
; COMPUTE_PGM_RSRC2:USER_SGPR: 6
; COMPUTE_PGM_RSRC2:TRAP_HANDLER: 0
; COMPUTE_PGM_RSRC2:TGID_X_EN: 1
; COMPUTE_PGM_RSRC2:TGID_Y_EN: 0
; COMPUTE_PGM_RSRC2:TGID_Z_EN: 0
; COMPUTE_PGM_RSRC2:TIDIG_COMP_CNT: 0
	.section	.text._ZN7rocprim17ROCPRIM_400000_NS6detail17trampoline_kernelINS0_13select_configILj256ELj13ELNS0_17block_load_methodE3ELS4_3ELS4_3ELNS0_20block_scan_algorithmE0ELj4294967295EEENS1_25partition_config_selectorILNS1_17partition_subalgoE3EjNS0_10empty_typeEbEEZZNS1_14partition_implILS8_3ELb0ES6_jNS0_17counting_iteratorIjlEEPS9_SE_NS0_5tupleIJPjSE_EEENSF_IJSE_SE_EEES9_SG_JZNS1_25segmented_radix_sort_implINS0_14default_configELb1EPKbPbPKlPlN2at6native12_GLOBAL__N_18offset_tEEE10hipError_tPvRmT1_PNSt15iterator_traitsISY_E10value_typeET2_T3_PNSZ_IS14_E10value_typeET4_jRbjT5_S1A_jjP12ihipStream_tbEUljE_EEESV_SW_SX_S14_S18_S1A_T6_T7_T9_mT8_S1C_bDpT10_ENKUlT_T0_E_clISt17integral_constantIbLb1EES1P_EEDaS1K_S1L_EUlS1K_E_NS1_11comp_targetILNS1_3genE3ELNS1_11target_archE908ELNS1_3gpuE7ELNS1_3repE0EEENS1_30default_config_static_selectorELNS0_4arch9wavefront6targetE1EEEvSY_,"axG",@progbits,_ZN7rocprim17ROCPRIM_400000_NS6detail17trampoline_kernelINS0_13select_configILj256ELj13ELNS0_17block_load_methodE3ELS4_3ELS4_3ELNS0_20block_scan_algorithmE0ELj4294967295EEENS1_25partition_config_selectorILNS1_17partition_subalgoE3EjNS0_10empty_typeEbEEZZNS1_14partition_implILS8_3ELb0ES6_jNS0_17counting_iteratorIjlEEPS9_SE_NS0_5tupleIJPjSE_EEENSF_IJSE_SE_EEES9_SG_JZNS1_25segmented_radix_sort_implINS0_14default_configELb1EPKbPbPKlPlN2at6native12_GLOBAL__N_18offset_tEEE10hipError_tPvRmT1_PNSt15iterator_traitsISY_E10value_typeET2_T3_PNSZ_IS14_E10value_typeET4_jRbjT5_S1A_jjP12ihipStream_tbEUljE_EEESV_SW_SX_S14_S18_S1A_T6_T7_T9_mT8_S1C_bDpT10_ENKUlT_T0_E_clISt17integral_constantIbLb1EES1P_EEDaS1K_S1L_EUlS1K_E_NS1_11comp_targetILNS1_3genE3ELNS1_11target_archE908ELNS1_3gpuE7ELNS1_3repE0EEENS1_30default_config_static_selectorELNS0_4arch9wavefront6targetE1EEEvSY_,comdat
	.globl	_ZN7rocprim17ROCPRIM_400000_NS6detail17trampoline_kernelINS0_13select_configILj256ELj13ELNS0_17block_load_methodE3ELS4_3ELS4_3ELNS0_20block_scan_algorithmE0ELj4294967295EEENS1_25partition_config_selectorILNS1_17partition_subalgoE3EjNS0_10empty_typeEbEEZZNS1_14partition_implILS8_3ELb0ES6_jNS0_17counting_iteratorIjlEEPS9_SE_NS0_5tupleIJPjSE_EEENSF_IJSE_SE_EEES9_SG_JZNS1_25segmented_radix_sort_implINS0_14default_configELb1EPKbPbPKlPlN2at6native12_GLOBAL__N_18offset_tEEE10hipError_tPvRmT1_PNSt15iterator_traitsISY_E10value_typeET2_T3_PNSZ_IS14_E10value_typeET4_jRbjT5_S1A_jjP12ihipStream_tbEUljE_EEESV_SW_SX_S14_S18_S1A_T6_T7_T9_mT8_S1C_bDpT10_ENKUlT_T0_E_clISt17integral_constantIbLb1EES1P_EEDaS1K_S1L_EUlS1K_E_NS1_11comp_targetILNS1_3genE3ELNS1_11target_archE908ELNS1_3gpuE7ELNS1_3repE0EEENS1_30default_config_static_selectorELNS0_4arch9wavefront6targetE1EEEvSY_ ; -- Begin function _ZN7rocprim17ROCPRIM_400000_NS6detail17trampoline_kernelINS0_13select_configILj256ELj13ELNS0_17block_load_methodE3ELS4_3ELS4_3ELNS0_20block_scan_algorithmE0ELj4294967295EEENS1_25partition_config_selectorILNS1_17partition_subalgoE3EjNS0_10empty_typeEbEEZZNS1_14partition_implILS8_3ELb0ES6_jNS0_17counting_iteratorIjlEEPS9_SE_NS0_5tupleIJPjSE_EEENSF_IJSE_SE_EEES9_SG_JZNS1_25segmented_radix_sort_implINS0_14default_configELb1EPKbPbPKlPlN2at6native12_GLOBAL__N_18offset_tEEE10hipError_tPvRmT1_PNSt15iterator_traitsISY_E10value_typeET2_T3_PNSZ_IS14_E10value_typeET4_jRbjT5_S1A_jjP12ihipStream_tbEUljE_EEESV_SW_SX_S14_S18_S1A_T6_T7_T9_mT8_S1C_bDpT10_ENKUlT_T0_E_clISt17integral_constantIbLb1EES1P_EEDaS1K_S1L_EUlS1K_E_NS1_11comp_targetILNS1_3genE3ELNS1_11target_archE908ELNS1_3gpuE7ELNS1_3repE0EEENS1_30default_config_static_selectorELNS0_4arch9wavefront6targetE1EEEvSY_
	.p2align	8
	.type	_ZN7rocprim17ROCPRIM_400000_NS6detail17trampoline_kernelINS0_13select_configILj256ELj13ELNS0_17block_load_methodE3ELS4_3ELS4_3ELNS0_20block_scan_algorithmE0ELj4294967295EEENS1_25partition_config_selectorILNS1_17partition_subalgoE3EjNS0_10empty_typeEbEEZZNS1_14partition_implILS8_3ELb0ES6_jNS0_17counting_iteratorIjlEEPS9_SE_NS0_5tupleIJPjSE_EEENSF_IJSE_SE_EEES9_SG_JZNS1_25segmented_radix_sort_implINS0_14default_configELb1EPKbPbPKlPlN2at6native12_GLOBAL__N_18offset_tEEE10hipError_tPvRmT1_PNSt15iterator_traitsISY_E10value_typeET2_T3_PNSZ_IS14_E10value_typeET4_jRbjT5_S1A_jjP12ihipStream_tbEUljE_EEESV_SW_SX_S14_S18_S1A_T6_T7_T9_mT8_S1C_bDpT10_ENKUlT_T0_E_clISt17integral_constantIbLb1EES1P_EEDaS1K_S1L_EUlS1K_E_NS1_11comp_targetILNS1_3genE3ELNS1_11target_archE908ELNS1_3gpuE7ELNS1_3repE0EEENS1_30default_config_static_selectorELNS0_4arch9wavefront6targetE1EEEvSY_,@function
_ZN7rocprim17ROCPRIM_400000_NS6detail17trampoline_kernelINS0_13select_configILj256ELj13ELNS0_17block_load_methodE3ELS4_3ELS4_3ELNS0_20block_scan_algorithmE0ELj4294967295EEENS1_25partition_config_selectorILNS1_17partition_subalgoE3EjNS0_10empty_typeEbEEZZNS1_14partition_implILS8_3ELb0ES6_jNS0_17counting_iteratorIjlEEPS9_SE_NS0_5tupleIJPjSE_EEENSF_IJSE_SE_EEES9_SG_JZNS1_25segmented_radix_sort_implINS0_14default_configELb1EPKbPbPKlPlN2at6native12_GLOBAL__N_18offset_tEEE10hipError_tPvRmT1_PNSt15iterator_traitsISY_E10value_typeET2_T3_PNSZ_IS14_E10value_typeET4_jRbjT5_S1A_jjP12ihipStream_tbEUljE_EEESV_SW_SX_S14_S18_S1A_T6_T7_T9_mT8_S1C_bDpT10_ENKUlT_T0_E_clISt17integral_constantIbLb1EES1P_EEDaS1K_S1L_EUlS1K_E_NS1_11comp_targetILNS1_3genE3ELNS1_11target_archE908ELNS1_3gpuE7ELNS1_3repE0EEENS1_30default_config_static_selectorELNS0_4arch9wavefront6targetE1EEEvSY_: ; @_ZN7rocprim17ROCPRIM_400000_NS6detail17trampoline_kernelINS0_13select_configILj256ELj13ELNS0_17block_load_methodE3ELS4_3ELS4_3ELNS0_20block_scan_algorithmE0ELj4294967295EEENS1_25partition_config_selectorILNS1_17partition_subalgoE3EjNS0_10empty_typeEbEEZZNS1_14partition_implILS8_3ELb0ES6_jNS0_17counting_iteratorIjlEEPS9_SE_NS0_5tupleIJPjSE_EEENSF_IJSE_SE_EEES9_SG_JZNS1_25segmented_radix_sort_implINS0_14default_configELb1EPKbPbPKlPlN2at6native12_GLOBAL__N_18offset_tEEE10hipError_tPvRmT1_PNSt15iterator_traitsISY_E10value_typeET2_T3_PNSZ_IS14_E10value_typeET4_jRbjT5_S1A_jjP12ihipStream_tbEUljE_EEESV_SW_SX_S14_S18_S1A_T6_T7_T9_mT8_S1C_bDpT10_ENKUlT_T0_E_clISt17integral_constantIbLb1EES1P_EEDaS1K_S1L_EUlS1K_E_NS1_11comp_targetILNS1_3genE3ELNS1_11target_archE908ELNS1_3gpuE7ELNS1_3repE0EEENS1_30default_config_static_selectorELNS0_4arch9wavefront6targetE1EEEvSY_
; %bb.0:
	.section	.rodata,"a",@progbits
	.p2align	6, 0x0
	.amdhsa_kernel _ZN7rocprim17ROCPRIM_400000_NS6detail17trampoline_kernelINS0_13select_configILj256ELj13ELNS0_17block_load_methodE3ELS4_3ELS4_3ELNS0_20block_scan_algorithmE0ELj4294967295EEENS1_25partition_config_selectorILNS1_17partition_subalgoE3EjNS0_10empty_typeEbEEZZNS1_14partition_implILS8_3ELb0ES6_jNS0_17counting_iteratorIjlEEPS9_SE_NS0_5tupleIJPjSE_EEENSF_IJSE_SE_EEES9_SG_JZNS1_25segmented_radix_sort_implINS0_14default_configELb1EPKbPbPKlPlN2at6native12_GLOBAL__N_18offset_tEEE10hipError_tPvRmT1_PNSt15iterator_traitsISY_E10value_typeET2_T3_PNSZ_IS14_E10value_typeET4_jRbjT5_S1A_jjP12ihipStream_tbEUljE_EEESV_SW_SX_S14_S18_S1A_T6_T7_T9_mT8_S1C_bDpT10_ENKUlT_T0_E_clISt17integral_constantIbLb1EES1P_EEDaS1K_S1L_EUlS1K_E_NS1_11comp_targetILNS1_3genE3ELNS1_11target_archE908ELNS1_3gpuE7ELNS1_3repE0EEENS1_30default_config_static_selectorELNS0_4arch9wavefront6targetE1EEEvSY_
		.amdhsa_group_segment_fixed_size 0
		.amdhsa_private_segment_fixed_size 0
		.amdhsa_kernarg_size 152
		.amdhsa_user_sgpr_count 6
		.amdhsa_user_sgpr_private_segment_buffer 1
		.amdhsa_user_sgpr_dispatch_ptr 0
		.amdhsa_user_sgpr_queue_ptr 0
		.amdhsa_user_sgpr_kernarg_segment_ptr 1
		.amdhsa_user_sgpr_dispatch_id 0
		.amdhsa_user_sgpr_flat_scratch_init 0
		.amdhsa_user_sgpr_private_segment_size 0
		.amdhsa_uses_dynamic_stack 0
		.amdhsa_system_sgpr_private_segment_wavefront_offset 0
		.amdhsa_system_sgpr_workgroup_id_x 1
		.amdhsa_system_sgpr_workgroup_id_y 0
		.amdhsa_system_sgpr_workgroup_id_z 0
		.amdhsa_system_sgpr_workgroup_info 0
		.amdhsa_system_vgpr_workitem_id 0
		.amdhsa_next_free_vgpr 1
		.amdhsa_next_free_sgpr 0
		.amdhsa_reserve_vcc 0
		.amdhsa_reserve_flat_scratch 0
		.amdhsa_float_round_mode_32 0
		.amdhsa_float_round_mode_16_64 0
		.amdhsa_float_denorm_mode_32 3
		.amdhsa_float_denorm_mode_16_64 3
		.amdhsa_dx10_clamp 1
		.amdhsa_ieee_mode 1
		.amdhsa_fp16_overflow 0
		.amdhsa_exception_fp_ieee_invalid_op 0
		.amdhsa_exception_fp_denorm_src 0
		.amdhsa_exception_fp_ieee_div_zero 0
		.amdhsa_exception_fp_ieee_overflow 0
		.amdhsa_exception_fp_ieee_underflow 0
		.amdhsa_exception_fp_ieee_inexact 0
		.amdhsa_exception_int_div_zero 0
	.end_amdhsa_kernel
	.section	.text._ZN7rocprim17ROCPRIM_400000_NS6detail17trampoline_kernelINS0_13select_configILj256ELj13ELNS0_17block_load_methodE3ELS4_3ELS4_3ELNS0_20block_scan_algorithmE0ELj4294967295EEENS1_25partition_config_selectorILNS1_17partition_subalgoE3EjNS0_10empty_typeEbEEZZNS1_14partition_implILS8_3ELb0ES6_jNS0_17counting_iteratorIjlEEPS9_SE_NS0_5tupleIJPjSE_EEENSF_IJSE_SE_EEES9_SG_JZNS1_25segmented_radix_sort_implINS0_14default_configELb1EPKbPbPKlPlN2at6native12_GLOBAL__N_18offset_tEEE10hipError_tPvRmT1_PNSt15iterator_traitsISY_E10value_typeET2_T3_PNSZ_IS14_E10value_typeET4_jRbjT5_S1A_jjP12ihipStream_tbEUljE_EEESV_SW_SX_S14_S18_S1A_T6_T7_T9_mT8_S1C_bDpT10_ENKUlT_T0_E_clISt17integral_constantIbLb1EES1P_EEDaS1K_S1L_EUlS1K_E_NS1_11comp_targetILNS1_3genE3ELNS1_11target_archE908ELNS1_3gpuE7ELNS1_3repE0EEENS1_30default_config_static_selectorELNS0_4arch9wavefront6targetE1EEEvSY_,"axG",@progbits,_ZN7rocprim17ROCPRIM_400000_NS6detail17trampoline_kernelINS0_13select_configILj256ELj13ELNS0_17block_load_methodE3ELS4_3ELS4_3ELNS0_20block_scan_algorithmE0ELj4294967295EEENS1_25partition_config_selectorILNS1_17partition_subalgoE3EjNS0_10empty_typeEbEEZZNS1_14partition_implILS8_3ELb0ES6_jNS0_17counting_iteratorIjlEEPS9_SE_NS0_5tupleIJPjSE_EEENSF_IJSE_SE_EEES9_SG_JZNS1_25segmented_radix_sort_implINS0_14default_configELb1EPKbPbPKlPlN2at6native12_GLOBAL__N_18offset_tEEE10hipError_tPvRmT1_PNSt15iterator_traitsISY_E10value_typeET2_T3_PNSZ_IS14_E10value_typeET4_jRbjT5_S1A_jjP12ihipStream_tbEUljE_EEESV_SW_SX_S14_S18_S1A_T6_T7_T9_mT8_S1C_bDpT10_ENKUlT_T0_E_clISt17integral_constantIbLb1EES1P_EEDaS1K_S1L_EUlS1K_E_NS1_11comp_targetILNS1_3genE3ELNS1_11target_archE908ELNS1_3gpuE7ELNS1_3repE0EEENS1_30default_config_static_selectorELNS0_4arch9wavefront6targetE1EEEvSY_,comdat
.Lfunc_end1511:
	.size	_ZN7rocprim17ROCPRIM_400000_NS6detail17trampoline_kernelINS0_13select_configILj256ELj13ELNS0_17block_load_methodE3ELS4_3ELS4_3ELNS0_20block_scan_algorithmE0ELj4294967295EEENS1_25partition_config_selectorILNS1_17partition_subalgoE3EjNS0_10empty_typeEbEEZZNS1_14partition_implILS8_3ELb0ES6_jNS0_17counting_iteratorIjlEEPS9_SE_NS0_5tupleIJPjSE_EEENSF_IJSE_SE_EEES9_SG_JZNS1_25segmented_radix_sort_implINS0_14default_configELb1EPKbPbPKlPlN2at6native12_GLOBAL__N_18offset_tEEE10hipError_tPvRmT1_PNSt15iterator_traitsISY_E10value_typeET2_T3_PNSZ_IS14_E10value_typeET4_jRbjT5_S1A_jjP12ihipStream_tbEUljE_EEESV_SW_SX_S14_S18_S1A_T6_T7_T9_mT8_S1C_bDpT10_ENKUlT_T0_E_clISt17integral_constantIbLb1EES1P_EEDaS1K_S1L_EUlS1K_E_NS1_11comp_targetILNS1_3genE3ELNS1_11target_archE908ELNS1_3gpuE7ELNS1_3repE0EEENS1_30default_config_static_selectorELNS0_4arch9wavefront6targetE1EEEvSY_, .Lfunc_end1511-_ZN7rocprim17ROCPRIM_400000_NS6detail17trampoline_kernelINS0_13select_configILj256ELj13ELNS0_17block_load_methodE3ELS4_3ELS4_3ELNS0_20block_scan_algorithmE0ELj4294967295EEENS1_25partition_config_selectorILNS1_17partition_subalgoE3EjNS0_10empty_typeEbEEZZNS1_14partition_implILS8_3ELb0ES6_jNS0_17counting_iteratorIjlEEPS9_SE_NS0_5tupleIJPjSE_EEENSF_IJSE_SE_EEES9_SG_JZNS1_25segmented_radix_sort_implINS0_14default_configELb1EPKbPbPKlPlN2at6native12_GLOBAL__N_18offset_tEEE10hipError_tPvRmT1_PNSt15iterator_traitsISY_E10value_typeET2_T3_PNSZ_IS14_E10value_typeET4_jRbjT5_S1A_jjP12ihipStream_tbEUljE_EEESV_SW_SX_S14_S18_S1A_T6_T7_T9_mT8_S1C_bDpT10_ENKUlT_T0_E_clISt17integral_constantIbLb1EES1P_EEDaS1K_S1L_EUlS1K_E_NS1_11comp_targetILNS1_3genE3ELNS1_11target_archE908ELNS1_3gpuE7ELNS1_3repE0EEENS1_30default_config_static_selectorELNS0_4arch9wavefront6targetE1EEEvSY_
                                        ; -- End function
	.set _ZN7rocprim17ROCPRIM_400000_NS6detail17trampoline_kernelINS0_13select_configILj256ELj13ELNS0_17block_load_methodE3ELS4_3ELS4_3ELNS0_20block_scan_algorithmE0ELj4294967295EEENS1_25partition_config_selectorILNS1_17partition_subalgoE3EjNS0_10empty_typeEbEEZZNS1_14partition_implILS8_3ELb0ES6_jNS0_17counting_iteratorIjlEEPS9_SE_NS0_5tupleIJPjSE_EEENSF_IJSE_SE_EEES9_SG_JZNS1_25segmented_radix_sort_implINS0_14default_configELb1EPKbPbPKlPlN2at6native12_GLOBAL__N_18offset_tEEE10hipError_tPvRmT1_PNSt15iterator_traitsISY_E10value_typeET2_T3_PNSZ_IS14_E10value_typeET4_jRbjT5_S1A_jjP12ihipStream_tbEUljE_EEESV_SW_SX_S14_S18_S1A_T6_T7_T9_mT8_S1C_bDpT10_ENKUlT_T0_E_clISt17integral_constantIbLb1EES1P_EEDaS1K_S1L_EUlS1K_E_NS1_11comp_targetILNS1_3genE3ELNS1_11target_archE908ELNS1_3gpuE7ELNS1_3repE0EEENS1_30default_config_static_selectorELNS0_4arch9wavefront6targetE1EEEvSY_.num_vgpr, 0
	.set _ZN7rocprim17ROCPRIM_400000_NS6detail17trampoline_kernelINS0_13select_configILj256ELj13ELNS0_17block_load_methodE3ELS4_3ELS4_3ELNS0_20block_scan_algorithmE0ELj4294967295EEENS1_25partition_config_selectorILNS1_17partition_subalgoE3EjNS0_10empty_typeEbEEZZNS1_14partition_implILS8_3ELb0ES6_jNS0_17counting_iteratorIjlEEPS9_SE_NS0_5tupleIJPjSE_EEENSF_IJSE_SE_EEES9_SG_JZNS1_25segmented_radix_sort_implINS0_14default_configELb1EPKbPbPKlPlN2at6native12_GLOBAL__N_18offset_tEEE10hipError_tPvRmT1_PNSt15iterator_traitsISY_E10value_typeET2_T3_PNSZ_IS14_E10value_typeET4_jRbjT5_S1A_jjP12ihipStream_tbEUljE_EEESV_SW_SX_S14_S18_S1A_T6_T7_T9_mT8_S1C_bDpT10_ENKUlT_T0_E_clISt17integral_constantIbLb1EES1P_EEDaS1K_S1L_EUlS1K_E_NS1_11comp_targetILNS1_3genE3ELNS1_11target_archE908ELNS1_3gpuE7ELNS1_3repE0EEENS1_30default_config_static_selectorELNS0_4arch9wavefront6targetE1EEEvSY_.num_agpr, 0
	.set _ZN7rocprim17ROCPRIM_400000_NS6detail17trampoline_kernelINS0_13select_configILj256ELj13ELNS0_17block_load_methodE3ELS4_3ELS4_3ELNS0_20block_scan_algorithmE0ELj4294967295EEENS1_25partition_config_selectorILNS1_17partition_subalgoE3EjNS0_10empty_typeEbEEZZNS1_14partition_implILS8_3ELb0ES6_jNS0_17counting_iteratorIjlEEPS9_SE_NS0_5tupleIJPjSE_EEENSF_IJSE_SE_EEES9_SG_JZNS1_25segmented_radix_sort_implINS0_14default_configELb1EPKbPbPKlPlN2at6native12_GLOBAL__N_18offset_tEEE10hipError_tPvRmT1_PNSt15iterator_traitsISY_E10value_typeET2_T3_PNSZ_IS14_E10value_typeET4_jRbjT5_S1A_jjP12ihipStream_tbEUljE_EEESV_SW_SX_S14_S18_S1A_T6_T7_T9_mT8_S1C_bDpT10_ENKUlT_T0_E_clISt17integral_constantIbLb1EES1P_EEDaS1K_S1L_EUlS1K_E_NS1_11comp_targetILNS1_3genE3ELNS1_11target_archE908ELNS1_3gpuE7ELNS1_3repE0EEENS1_30default_config_static_selectorELNS0_4arch9wavefront6targetE1EEEvSY_.numbered_sgpr, 0
	.set _ZN7rocprim17ROCPRIM_400000_NS6detail17trampoline_kernelINS0_13select_configILj256ELj13ELNS0_17block_load_methodE3ELS4_3ELS4_3ELNS0_20block_scan_algorithmE0ELj4294967295EEENS1_25partition_config_selectorILNS1_17partition_subalgoE3EjNS0_10empty_typeEbEEZZNS1_14partition_implILS8_3ELb0ES6_jNS0_17counting_iteratorIjlEEPS9_SE_NS0_5tupleIJPjSE_EEENSF_IJSE_SE_EEES9_SG_JZNS1_25segmented_radix_sort_implINS0_14default_configELb1EPKbPbPKlPlN2at6native12_GLOBAL__N_18offset_tEEE10hipError_tPvRmT1_PNSt15iterator_traitsISY_E10value_typeET2_T3_PNSZ_IS14_E10value_typeET4_jRbjT5_S1A_jjP12ihipStream_tbEUljE_EEESV_SW_SX_S14_S18_S1A_T6_T7_T9_mT8_S1C_bDpT10_ENKUlT_T0_E_clISt17integral_constantIbLb1EES1P_EEDaS1K_S1L_EUlS1K_E_NS1_11comp_targetILNS1_3genE3ELNS1_11target_archE908ELNS1_3gpuE7ELNS1_3repE0EEENS1_30default_config_static_selectorELNS0_4arch9wavefront6targetE1EEEvSY_.num_named_barrier, 0
	.set _ZN7rocprim17ROCPRIM_400000_NS6detail17trampoline_kernelINS0_13select_configILj256ELj13ELNS0_17block_load_methodE3ELS4_3ELS4_3ELNS0_20block_scan_algorithmE0ELj4294967295EEENS1_25partition_config_selectorILNS1_17partition_subalgoE3EjNS0_10empty_typeEbEEZZNS1_14partition_implILS8_3ELb0ES6_jNS0_17counting_iteratorIjlEEPS9_SE_NS0_5tupleIJPjSE_EEENSF_IJSE_SE_EEES9_SG_JZNS1_25segmented_radix_sort_implINS0_14default_configELb1EPKbPbPKlPlN2at6native12_GLOBAL__N_18offset_tEEE10hipError_tPvRmT1_PNSt15iterator_traitsISY_E10value_typeET2_T3_PNSZ_IS14_E10value_typeET4_jRbjT5_S1A_jjP12ihipStream_tbEUljE_EEESV_SW_SX_S14_S18_S1A_T6_T7_T9_mT8_S1C_bDpT10_ENKUlT_T0_E_clISt17integral_constantIbLb1EES1P_EEDaS1K_S1L_EUlS1K_E_NS1_11comp_targetILNS1_3genE3ELNS1_11target_archE908ELNS1_3gpuE7ELNS1_3repE0EEENS1_30default_config_static_selectorELNS0_4arch9wavefront6targetE1EEEvSY_.private_seg_size, 0
	.set _ZN7rocprim17ROCPRIM_400000_NS6detail17trampoline_kernelINS0_13select_configILj256ELj13ELNS0_17block_load_methodE3ELS4_3ELS4_3ELNS0_20block_scan_algorithmE0ELj4294967295EEENS1_25partition_config_selectorILNS1_17partition_subalgoE3EjNS0_10empty_typeEbEEZZNS1_14partition_implILS8_3ELb0ES6_jNS0_17counting_iteratorIjlEEPS9_SE_NS0_5tupleIJPjSE_EEENSF_IJSE_SE_EEES9_SG_JZNS1_25segmented_radix_sort_implINS0_14default_configELb1EPKbPbPKlPlN2at6native12_GLOBAL__N_18offset_tEEE10hipError_tPvRmT1_PNSt15iterator_traitsISY_E10value_typeET2_T3_PNSZ_IS14_E10value_typeET4_jRbjT5_S1A_jjP12ihipStream_tbEUljE_EEESV_SW_SX_S14_S18_S1A_T6_T7_T9_mT8_S1C_bDpT10_ENKUlT_T0_E_clISt17integral_constantIbLb1EES1P_EEDaS1K_S1L_EUlS1K_E_NS1_11comp_targetILNS1_3genE3ELNS1_11target_archE908ELNS1_3gpuE7ELNS1_3repE0EEENS1_30default_config_static_selectorELNS0_4arch9wavefront6targetE1EEEvSY_.uses_vcc, 0
	.set _ZN7rocprim17ROCPRIM_400000_NS6detail17trampoline_kernelINS0_13select_configILj256ELj13ELNS0_17block_load_methodE3ELS4_3ELS4_3ELNS0_20block_scan_algorithmE0ELj4294967295EEENS1_25partition_config_selectorILNS1_17partition_subalgoE3EjNS0_10empty_typeEbEEZZNS1_14partition_implILS8_3ELb0ES6_jNS0_17counting_iteratorIjlEEPS9_SE_NS0_5tupleIJPjSE_EEENSF_IJSE_SE_EEES9_SG_JZNS1_25segmented_radix_sort_implINS0_14default_configELb1EPKbPbPKlPlN2at6native12_GLOBAL__N_18offset_tEEE10hipError_tPvRmT1_PNSt15iterator_traitsISY_E10value_typeET2_T3_PNSZ_IS14_E10value_typeET4_jRbjT5_S1A_jjP12ihipStream_tbEUljE_EEESV_SW_SX_S14_S18_S1A_T6_T7_T9_mT8_S1C_bDpT10_ENKUlT_T0_E_clISt17integral_constantIbLb1EES1P_EEDaS1K_S1L_EUlS1K_E_NS1_11comp_targetILNS1_3genE3ELNS1_11target_archE908ELNS1_3gpuE7ELNS1_3repE0EEENS1_30default_config_static_selectorELNS0_4arch9wavefront6targetE1EEEvSY_.uses_flat_scratch, 0
	.set _ZN7rocprim17ROCPRIM_400000_NS6detail17trampoline_kernelINS0_13select_configILj256ELj13ELNS0_17block_load_methodE3ELS4_3ELS4_3ELNS0_20block_scan_algorithmE0ELj4294967295EEENS1_25partition_config_selectorILNS1_17partition_subalgoE3EjNS0_10empty_typeEbEEZZNS1_14partition_implILS8_3ELb0ES6_jNS0_17counting_iteratorIjlEEPS9_SE_NS0_5tupleIJPjSE_EEENSF_IJSE_SE_EEES9_SG_JZNS1_25segmented_radix_sort_implINS0_14default_configELb1EPKbPbPKlPlN2at6native12_GLOBAL__N_18offset_tEEE10hipError_tPvRmT1_PNSt15iterator_traitsISY_E10value_typeET2_T3_PNSZ_IS14_E10value_typeET4_jRbjT5_S1A_jjP12ihipStream_tbEUljE_EEESV_SW_SX_S14_S18_S1A_T6_T7_T9_mT8_S1C_bDpT10_ENKUlT_T0_E_clISt17integral_constantIbLb1EES1P_EEDaS1K_S1L_EUlS1K_E_NS1_11comp_targetILNS1_3genE3ELNS1_11target_archE908ELNS1_3gpuE7ELNS1_3repE0EEENS1_30default_config_static_selectorELNS0_4arch9wavefront6targetE1EEEvSY_.has_dyn_sized_stack, 0
	.set _ZN7rocprim17ROCPRIM_400000_NS6detail17trampoline_kernelINS0_13select_configILj256ELj13ELNS0_17block_load_methodE3ELS4_3ELS4_3ELNS0_20block_scan_algorithmE0ELj4294967295EEENS1_25partition_config_selectorILNS1_17partition_subalgoE3EjNS0_10empty_typeEbEEZZNS1_14partition_implILS8_3ELb0ES6_jNS0_17counting_iteratorIjlEEPS9_SE_NS0_5tupleIJPjSE_EEENSF_IJSE_SE_EEES9_SG_JZNS1_25segmented_radix_sort_implINS0_14default_configELb1EPKbPbPKlPlN2at6native12_GLOBAL__N_18offset_tEEE10hipError_tPvRmT1_PNSt15iterator_traitsISY_E10value_typeET2_T3_PNSZ_IS14_E10value_typeET4_jRbjT5_S1A_jjP12ihipStream_tbEUljE_EEESV_SW_SX_S14_S18_S1A_T6_T7_T9_mT8_S1C_bDpT10_ENKUlT_T0_E_clISt17integral_constantIbLb1EES1P_EEDaS1K_S1L_EUlS1K_E_NS1_11comp_targetILNS1_3genE3ELNS1_11target_archE908ELNS1_3gpuE7ELNS1_3repE0EEENS1_30default_config_static_selectorELNS0_4arch9wavefront6targetE1EEEvSY_.has_recursion, 0
	.set _ZN7rocprim17ROCPRIM_400000_NS6detail17trampoline_kernelINS0_13select_configILj256ELj13ELNS0_17block_load_methodE3ELS4_3ELS4_3ELNS0_20block_scan_algorithmE0ELj4294967295EEENS1_25partition_config_selectorILNS1_17partition_subalgoE3EjNS0_10empty_typeEbEEZZNS1_14partition_implILS8_3ELb0ES6_jNS0_17counting_iteratorIjlEEPS9_SE_NS0_5tupleIJPjSE_EEENSF_IJSE_SE_EEES9_SG_JZNS1_25segmented_radix_sort_implINS0_14default_configELb1EPKbPbPKlPlN2at6native12_GLOBAL__N_18offset_tEEE10hipError_tPvRmT1_PNSt15iterator_traitsISY_E10value_typeET2_T3_PNSZ_IS14_E10value_typeET4_jRbjT5_S1A_jjP12ihipStream_tbEUljE_EEESV_SW_SX_S14_S18_S1A_T6_T7_T9_mT8_S1C_bDpT10_ENKUlT_T0_E_clISt17integral_constantIbLb1EES1P_EEDaS1K_S1L_EUlS1K_E_NS1_11comp_targetILNS1_3genE3ELNS1_11target_archE908ELNS1_3gpuE7ELNS1_3repE0EEENS1_30default_config_static_selectorELNS0_4arch9wavefront6targetE1EEEvSY_.has_indirect_call, 0
	.section	.AMDGPU.csdata,"",@progbits
; Kernel info:
; codeLenInByte = 0
; TotalNumSgprs: 4
; NumVgprs: 0
; ScratchSize: 0
; MemoryBound: 0
; FloatMode: 240
; IeeeMode: 1
; LDSByteSize: 0 bytes/workgroup (compile time only)
; SGPRBlocks: 0
; VGPRBlocks: 0
; NumSGPRsForWavesPerEU: 4
; NumVGPRsForWavesPerEU: 1
; Occupancy: 10
; WaveLimiterHint : 0
; COMPUTE_PGM_RSRC2:SCRATCH_EN: 0
; COMPUTE_PGM_RSRC2:USER_SGPR: 6
; COMPUTE_PGM_RSRC2:TRAP_HANDLER: 0
; COMPUTE_PGM_RSRC2:TGID_X_EN: 1
; COMPUTE_PGM_RSRC2:TGID_Y_EN: 0
; COMPUTE_PGM_RSRC2:TGID_Z_EN: 0
; COMPUTE_PGM_RSRC2:TIDIG_COMP_CNT: 0
	.section	.text._ZN7rocprim17ROCPRIM_400000_NS6detail17trampoline_kernelINS0_13select_configILj256ELj13ELNS0_17block_load_methodE3ELS4_3ELS4_3ELNS0_20block_scan_algorithmE0ELj4294967295EEENS1_25partition_config_selectorILNS1_17partition_subalgoE3EjNS0_10empty_typeEbEEZZNS1_14partition_implILS8_3ELb0ES6_jNS0_17counting_iteratorIjlEEPS9_SE_NS0_5tupleIJPjSE_EEENSF_IJSE_SE_EEES9_SG_JZNS1_25segmented_radix_sort_implINS0_14default_configELb1EPKbPbPKlPlN2at6native12_GLOBAL__N_18offset_tEEE10hipError_tPvRmT1_PNSt15iterator_traitsISY_E10value_typeET2_T3_PNSZ_IS14_E10value_typeET4_jRbjT5_S1A_jjP12ihipStream_tbEUljE_EEESV_SW_SX_S14_S18_S1A_T6_T7_T9_mT8_S1C_bDpT10_ENKUlT_T0_E_clISt17integral_constantIbLb1EES1P_EEDaS1K_S1L_EUlS1K_E_NS1_11comp_targetILNS1_3genE2ELNS1_11target_archE906ELNS1_3gpuE6ELNS1_3repE0EEENS1_30default_config_static_selectorELNS0_4arch9wavefront6targetE1EEEvSY_,"axG",@progbits,_ZN7rocprim17ROCPRIM_400000_NS6detail17trampoline_kernelINS0_13select_configILj256ELj13ELNS0_17block_load_methodE3ELS4_3ELS4_3ELNS0_20block_scan_algorithmE0ELj4294967295EEENS1_25partition_config_selectorILNS1_17partition_subalgoE3EjNS0_10empty_typeEbEEZZNS1_14partition_implILS8_3ELb0ES6_jNS0_17counting_iteratorIjlEEPS9_SE_NS0_5tupleIJPjSE_EEENSF_IJSE_SE_EEES9_SG_JZNS1_25segmented_radix_sort_implINS0_14default_configELb1EPKbPbPKlPlN2at6native12_GLOBAL__N_18offset_tEEE10hipError_tPvRmT1_PNSt15iterator_traitsISY_E10value_typeET2_T3_PNSZ_IS14_E10value_typeET4_jRbjT5_S1A_jjP12ihipStream_tbEUljE_EEESV_SW_SX_S14_S18_S1A_T6_T7_T9_mT8_S1C_bDpT10_ENKUlT_T0_E_clISt17integral_constantIbLb1EES1P_EEDaS1K_S1L_EUlS1K_E_NS1_11comp_targetILNS1_3genE2ELNS1_11target_archE906ELNS1_3gpuE6ELNS1_3repE0EEENS1_30default_config_static_selectorELNS0_4arch9wavefront6targetE1EEEvSY_,comdat
	.globl	_ZN7rocprim17ROCPRIM_400000_NS6detail17trampoline_kernelINS0_13select_configILj256ELj13ELNS0_17block_load_methodE3ELS4_3ELS4_3ELNS0_20block_scan_algorithmE0ELj4294967295EEENS1_25partition_config_selectorILNS1_17partition_subalgoE3EjNS0_10empty_typeEbEEZZNS1_14partition_implILS8_3ELb0ES6_jNS0_17counting_iteratorIjlEEPS9_SE_NS0_5tupleIJPjSE_EEENSF_IJSE_SE_EEES9_SG_JZNS1_25segmented_radix_sort_implINS0_14default_configELb1EPKbPbPKlPlN2at6native12_GLOBAL__N_18offset_tEEE10hipError_tPvRmT1_PNSt15iterator_traitsISY_E10value_typeET2_T3_PNSZ_IS14_E10value_typeET4_jRbjT5_S1A_jjP12ihipStream_tbEUljE_EEESV_SW_SX_S14_S18_S1A_T6_T7_T9_mT8_S1C_bDpT10_ENKUlT_T0_E_clISt17integral_constantIbLb1EES1P_EEDaS1K_S1L_EUlS1K_E_NS1_11comp_targetILNS1_3genE2ELNS1_11target_archE906ELNS1_3gpuE6ELNS1_3repE0EEENS1_30default_config_static_selectorELNS0_4arch9wavefront6targetE1EEEvSY_ ; -- Begin function _ZN7rocprim17ROCPRIM_400000_NS6detail17trampoline_kernelINS0_13select_configILj256ELj13ELNS0_17block_load_methodE3ELS4_3ELS4_3ELNS0_20block_scan_algorithmE0ELj4294967295EEENS1_25partition_config_selectorILNS1_17partition_subalgoE3EjNS0_10empty_typeEbEEZZNS1_14partition_implILS8_3ELb0ES6_jNS0_17counting_iteratorIjlEEPS9_SE_NS0_5tupleIJPjSE_EEENSF_IJSE_SE_EEES9_SG_JZNS1_25segmented_radix_sort_implINS0_14default_configELb1EPKbPbPKlPlN2at6native12_GLOBAL__N_18offset_tEEE10hipError_tPvRmT1_PNSt15iterator_traitsISY_E10value_typeET2_T3_PNSZ_IS14_E10value_typeET4_jRbjT5_S1A_jjP12ihipStream_tbEUljE_EEESV_SW_SX_S14_S18_S1A_T6_T7_T9_mT8_S1C_bDpT10_ENKUlT_T0_E_clISt17integral_constantIbLb1EES1P_EEDaS1K_S1L_EUlS1K_E_NS1_11comp_targetILNS1_3genE2ELNS1_11target_archE906ELNS1_3gpuE6ELNS1_3repE0EEENS1_30default_config_static_selectorELNS0_4arch9wavefront6targetE1EEEvSY_
	.p2align	8
	.type	_ZN7rocprim17ROCPRIM_400000_NS6detail17trampoline_kernelINS0_13select_configILj256ELj13ELNS0_17block_load_methodE3ELS4_3ELS4_3ELNS0_20block_scan_algorithmE0ELj4294967295EEENS1_25partition_config_selectorILNS1_17partition_subalgoE3EjNS0_10empty_typeEbEEZZNS1_14partition_implILS8_3ELb0ES6_jNS0_17counting_iteratorIjlEEPS9_SE_NS0_5tupleIJPjSE_EEENSF_IJSE_SE_EEES9_SG_JZNS1_25segmented_radix_sort_implINS0_14default_configELb1EPKbPbPKlPlN2at6native12_GLOBAL__N_18offset_tEEE10hipError_tPvRmT1_PNSt15iterator_traitsISY_E10value_typeET2_T3_PNSZ_IS14_E10value_typeET4_jRbjT5_S1A_jjP12ihipStream_tbEUljE_EEESV_SW_SX_S14_S18_S1A_T6_T7_T9_mT8_S1C_bDpT10_ENKUlT_T0_E_clISt17integral_constantIbLb1EES1P_EEDaS1K_S1L_EUlS1K_E_NS1_11comp_targetILNS1_3genE2ELNS1_11target_archE906ELNS1_3gpuE6ELNS1_3repE0EEENS1_30default_config_static_selectorELNS0_4arch9wavefront6targetE1EEEvSY_,@function
_ZN7rocprim17ROCPRIM_400000_NS6detail17trampoline_kernelINS0_13select_configILj256ELj13ELNS0_17block_load_methodE3ELS4_3ELS4_3ELNS0_20block_scan_algorithmE0ELj4294967295EEENS1_25partition_config_selectorILNS1_17partition_subalgoE3EjNS0_10empty_typeEbEEZZNS1_14partition_implILS8_3ELb0ES6_jNS0_17counting_iteratorIjlEEPS9_SE_NS0_5tupleIJPjSE_EEENSF_IJSE_SE_EEES9_SG_JZNS1_25segmented_radix_sort_implINS0_14default_configELb1EPKbPbPKlPlN2at6native12_GLOBAL__N_18offset_tEEE10hipError_tPvRmT1_PNSt15iterator_traitsISY_E10value_typeET2_T3_PNSZ_IS14_E10value_typeET4_jRbjT5_S1A_jjP12ihipStream_tbEUljE_EEESV_SW_SX_S14_S18_S1A_T6_T7_T9_mT8_S1C_bDpT10_ENKUlT_T0_E_clISt17integral_constantIbLb1EES1P_EEDaS1K_S1L_EUlS1K_E_NS1_11comp_targetILNS1_3genE2ELNS1_11target_archE906ELNS1_3gpuE6ELNS1_3repE0EEENS1_30default_config_static_selectorELNS0_4arch9wavefront6targetE1EEEvSY_: ; @_ZN7rocprim17ROCPRIM_400000_NS6detail17trampoline_kernelINS0_13select_configILj256ELj13ELNS0_17block_load_methodE3ELS4_3ELS4_3ELNS0_20block_scan_algorithmE0ELj4294967295EEENS1_25partition_config_selectorILNS1_17partition_subalgoE3EjNS0_10empty_typeEbEEZZNS1_14partition_implILS8_3ELb0ES6_jNS0_17counting_iteratorIjlEEPS9_SE_NS0_5tupleIJPjSE_EEENSF_IJSE_SE_EEES9_SG_JZNS1_25segmented_radix_sort_implINS0_14default_configELb1EPKbPbPKlPlN2at6native12_GLOBAL__N_18offset_tEEE10hipError_tPvRmT1_PNSt15iterator_traitsISY_E10value_typeET2_T3_PNSZ_IS14_E10value_typeET4_jRbjT5_S1A_jjP12ihipStream_tbEUljE_EEESV_SW_SX_S14_S18_S1A_T6_T7_T9_mT8_S1C_bDpT10_ENKUlT_T0_E_clISt17integral_constantIbLb1EES1P_EEDaS1K_S1L_EUlS1K_E_NS1_11comp_targetILNS1_3genE2ELNS1_11target_archE906ELNS1_3gpuE6ELNS1_3repE0EEENS1_30default_config_static_selectorELNS0_4arch9wavefront6targetE1EEEvSY_
; %bb.0:
	s_endpgm
	.section	.rodata,"a",@progbits
	.p2align	6, 0x0
	.amdhsa_kernel _ZN7rocprim17ROCPRIM_400000_NS6detail17trampoline_kernelINS0_13select_configILj256ELj13ELNS0_17block_load_methodE3ELS4_3ELS4_3ELNS0_20block_scan_algorithmE0ELj4294967295EEENS1_25partition_config_selectorILNS1_17partition_subalgoE3EjNS0_10empty_typeEbEEZZNS1_14partition_implILS8_3ELb0ES6_jNS0_17counting_iteratorIjlEEPS9_SE_NS0_5tupleIJPjSE_EEENSF_IJSE_SE_EEES9_SG_JZNS1_25segmented_radix_sort_implINS0_14default_configELb1EPKbPbPKlPlN2at6native12_GLOBAL__N_18offset_tEEE10hipError_tPvRmT1_PNSt15iterator_traitsISY_E10value_typeET2_T3_PNSZ_IS14_E10value_typeET4_jRbjT5_S1A_jjP12ihipStream_tbEUljE_EEESV_SW_SX_S14_S18_S1A_T6_T7_T9_mT8_S1C_bDpT10_ENKUlT_T0_E_clISt17integral_constantIbLb1EES1P_EEDaS1K_S1L_EUlS1K_E_NS1_11comp_targetILNS1_3genE2ELNS1_11target_archE906ELNS1_3gpuE6ELNS1_3repE0EEENS1_30default_config_static_selectorELNS0_4arch9wavefront6targetE1EEEvSY_
		.amdhsa_group_segment_fixed_size 0
		.amdhsa_private_segment_fixed_size 0
		.amdhsa_kernarg_size 152
		.amdhsa_user_sgpr_count 6
		.amdhsa_user_sgpr_private_segment_buffer 1
		.amdhsa_user_sgpr_dispatch_ptr 0
		.amdhsa_user_sgpr_queue_ptr 0
		.amdhsa_user_sgpr_kernarg_segment_ptr 1
		.amdhsa_user_sgpr_dispatch_id 0
		.amdhsa_user_sgpr_flat_scratch_init 0
		.amdhsa_user_sgpr_private_segment_size 0
		.amdhsa_uses_dynamic_stack 0
		.amdhsa_system_sgpr_private_segment_wavefront_offset 0
		.amdhsa_system_sgpr_workgroup_id_x 1
		.amdhsa_system_sgpr_workgroup_id_y 0
		.amdhsa_system_sgpr_workgroup_id_z 0
		.amdhsa_system_sgpr_workgroup_info 0
		.amdhsa_system_vgpr_workitem_id 0
		.amdhsa_next_free_vgpr 1
		.amdhsa_next_free_sgpr 0
		.amdhsa_reserve_vcc 0
		.amdhsa_reserve_flat_scratch 0
		.amdhsa_float_round_mode_32 0
		.amdhsa_float_round_mode_16_64 0
		.amdhsa_float_denorm_mode_32 3
		.amdhsa_float_denorm_mode_16_64 3
		.amdhsa_dx10_clamp 1
		.amdhsa_ieee_mode 1
		.amdhsa_fp16_overflow 0
		.amdhsa_exception_fp_ieee_invalid_op 0
		.amdhsa_exception_fp_denorm_src 0
		.amdhsa_exception_fp_ieee_div_zero 0
		.amdhsa_exception_fp_ieee_overflow 0
		.amdhsa_exception_fp_ieee_underflow 0
		.amdhsa_exception_fp_ieee_inexact 0
		.amdhsa_exception_int_div_zero 0
	.end_amdhsa_kernel
	.section	.text._ZN7rocprim17ROCPRIM_400000_NS6detail17trampoline_kernelINS0_13select_configILj256ELj13ELNS0_17block_load_methodE3ELS4_3ELS4_3ELNS0_20block_scan_algorithmE0ELj4294967295EEENS1_25partition_config_selectorILNS1_17partition_subalgoE3EjNS0_10empty_typeEbEEZZNS1_14partition_implILS8_3ELb0ES6_jNS0_17counting_iteratorIjlEEPS9_SE_NS0_5tupleIJPjSE_EEENSF_IJSE_SE_EEES9_SG_JZNS1_25segmented_radix_sort_implINS0_14default_configELb1EPKbPbPKlPlN2at6native12_GLOBAL__N_18offset_tEEE10hipError_tPvRmT1_PNSt15iterator_traitsISY_E10value_typeET2_T3_PNSZ_IS14_E10value_typeET4_jRbjT5_S1A_jjP12ihipStream_tbEUljE_EEESV_SW_SX_S14_S18_S1A_T6_T7_T9_mT8_S1C_bDpT10_ENKUlT_T0_E_clISt17integral_constantIbLb1EES1P_EEDaS1K_S1L_EUlS1K_E_NS1_11comp_targetILNS1_3genE2ELNS1_11target_archE906ELNS1_3gpuE6ELNS1_3repE0EEENS1_30default_config_static_selectorELNS0_4arch9wavefront6targetE1EEEvSY_,"axG",@progbits,_ZN7rocprim17ROCPRIM_400000_NS6detail17trampoline_kernelINS0_13select_configILj256ELj13ELNS0_17block_load_methodE3ELS4_3ELS4_3ELNS0_20block_scan_algorithmE0ELj4294967295EEENS1_25partition_config_selectorILNS1_17partition_subalgoE3EjNS0_10empty_typeEbEEZZNS1_14partition_implILS8_3ELb0ES6_jNS0_17counting_iteratorIjlEEPS9_SE_NS0_5tupleIJPjSE_EEENSF_IJSE_SE_EEES9_SG_JZNS1_25segmented_radix_sort_implINS0_14default_configELb1EPKbPbPKlPlN2at6native12_GLOBAL__N_18offset_tEEE10hipError_tPvRmT1_PNSt15iterator_traitsISY_E10value_typeET2_T3_PNSZ_IS14_E10value_typeET4_jRbjT5_S1A_jjP12ihipStream_tbEUljE_EEESV_SW_SX_S14_S18_S1A_T6_T7_T9_mT8_S1C_bDpT10_ENKUlT_T0_E_clISt17integral_constantIbLb1EES1P_EEDaS1K_S1L_EUlS1K_E_NS1_11comp_targetILNS1_3genE2ELNS1_11target_archE906ELNS1_3gpuE6ELNS1_3repE0EEENS1_30default_config_static_selectorELNS0_4arch9wavefront6targetE1EEEvSY_,comdat
.Lfunc_end1512:
	.size	_ZN7rocprim17ROCPRIM_400000_NS6detail17trampoline_kernelINS0_13select_configILj256ELj13ELNS0_17block_load_methodE3ELS4_3ELS4_3ELNS0_20block_scan_algorithmE0ELj4294967295EEENS1_25partition_config_selectorILNS1_17partition_subalgoE3EjNS0_10empty_typeEbEEZZNS1_14partition_implILS8_3ELb0ES6_jNS0_17counting_iteratorIjlEEPS9_SE_NS0_5tupleIJPjSE_EEENSF_IJSE_SE_EEES9_SG_JZNS1_25segmented_radix_sort_implINS0_14default_configELb1EPKbPbPKlPlN2at6native12_GLOBAL__N_18offset_tEEE10hipError_tPvRmT1_PNSt15iterator_traitsISY_E10value_typeET2_T3_PNSZ_IS14_E10value_typeET4_jRbjT5_S1A_jjP12ihipStream_tbEUljE_EEESV_SW_SX_S14_S18_S1A_T6_T7_T9_mT8_S1C_bDpT10_ENKUlT_T0_E_clISt17integral_constantIbLb1EES1P_EEDaS1K_S1L_EUlS1K_E_NS1_11comp_targetILNS1_3genE2ELNS1_11target_archE906ELNS1_3gpuE6ELNS1_3repE0EEENS1_30default_config_static_selectorELNS0_4arch9wavefront6targetE1EEEvSY_, .Lfunc_end1512-_ZN7rocprim17ROCPRIM_400000_NS6detail17trampoline_kernelINS0_13select_configILj256ELj13ELNS0_17block_load_methodE3ELS4_3ELS4_3ELNS0_20block_scan_algorithmE0ELj4294967295EEENS1_25partition_config_selectorILNS1_17partition_subalgoE3EjNS0_10empty_typeEbEEZZNS1_14partition_implILS8_3ELb0ES6_jNS0_17counting_iteratorIjlEEPS9_SE_NS0_5tupleIJPjSE_EEENSF_IJSE_SE_EEES9_SG_JZNS1_25segmented_radix_sort_implINS0_14default_configELb1EPKbPbPKlPlN2at6native12_GLOBAL__N_18offset_tEEE10hipError_tPvRmT1_PNSt15iterator_traitsISY_E10value_typeET2_T3_PNSZ_IS14_E10value_typeET4_jRbjT5_S1A_jjP12ihipStream_tbEUljE_EEESV_SW_SX_S14_S18_S1A_T6_T7_T9_mT8_S1C_bDpT10_ENKUlT_T0_E_clISt17integral_constantIbLb1EES1P_EEDaS1K_S1L_EUlS1K_E_NS1_11comp_targetILNS1_3genE2ELNS1_11target_archE906ELNS1_3gpuE6ELNS1_3repE0EEENS1_30default_config_static_selectorELNS0_4arch9wavefront6targetE1EEEvSY_
                                        ; -- End function
	.set _ZN7rocprim17ROCPRIM_400000_NS6detail17trampoline_kernelINS0_13select_configILj256ELj13ELNS0_17block_load_methodE3ELS4_3ELS4_3ELNS0_20block_scan_algorithmE0ELj4294967295EEENS1_25partition_config_selectorILNS1_17partition_subalgoE3EjNS0_10empty_typeEbEEZZNS1_14partition_implILS8_3ELb0ES6_jNS0_17counting_iteratorIjlEEPS9_SE_NS0_5tupleIJPjSE_EEENSF_IJSE_SE_EEES9_SG_JZNS1_25segmented_radix_sort_implINS0_14default_configELb1EPKbPbPKlPlN2at6native12_GLOBAL__N_18offset_tEEE10hipError_tPvRmT1_PNSt15iterator_traitsISY_E10value_typeET2_T3_PNSZ_IS14_E10value_typeET4_jRbjT5_S1A_jjP12ihipStream_tbEUljE_EEESV_SW_SX_S14_S18_S1A_T6_T7_T9_mT8_S1C_bDpT10_ENKUlT_T0_E_clISt17integral_constantIbLb1EES1P_EEDaS1K_S1L_EUlS1K_E_NS1_11comp_targetILNS1_3genE2ELNS1_11target_archE906ELNS1_3gpuE6ELNS1_3repE0EEENS1_30default_config_static_selectorELNS0_4arch9wavefront6targetE1EEEvSY_.num_vgpr, 0
	.set _ZN7rocprim17ROCPRIM_400000_NS6detail17trampoline_kernelINS0_13select_configILj256ELj13ELNS0_17block_load_methodE3ELS4_3ELS4_3ELNS0_20block_scan_algorithmE0ELj4294967295EEENS1_25partition_config_selectorILNS1_17partition_subalgoE3EjNS0_10empty_typeEbEEZZNS1_14partition_implILS8_3ELb0ES6_jNS0_17counting_iteratorIjlEEPS9_SE_NS0_5tupleIJPjSE_EEENSF_IJSE_SE_EEES9_SG_JZNS1_25segmented_radix_sort_implINS0_14default_configELb1EPKbPbPKlPlN2at6native12_GLOBAL__N_18offset_tEEE10hipError_tPvRmT1_PNSt15iterator_traitsISY_E10value_typeET2_T3_PNSZ_IS14_E10value_typeET4_jRbjT5_S1A_jjP12ihipStream_tbEUljE_EEESV_SW_SX_S14_S18_S1A_T6_T7_T9_mT8_S1C_bDpT10_ENKUlT_T0_E_clISt17integral_constantIbLb1EES1P_EEDaS1K_S1L_EUlS1K_E_NS1_11comp_targetILNS1_3genE2ELNS1_11target_archE906ELNS1_3gpuE6ELNS1_3repE0EEENS1_30default_config_static_selectorELNS0_4arch9wavefront6targetE1EEEvSY_.num_agpr, 0
	.set _ZN7rocprim17ROCPRIM_400000_NS6detail17trampoline_kernelINS0_13select_configILj256ELj13ELNS0_17block_load_methodE3ELS4_3ELS4_3ELNS0_20block_scan_algorithmE0ELj4294967295EEENS1_25partition_config_selectorILNS1_17partition_subalgoE3EjNS0_10empty_typeEbEEZZNS1_14partition_implILS8_3ELb0ES6_jNS0_17counting_iteratorIjlEEPS9_SE_NS0_5tupleIJPjSE_EEENSF_IJSE_SE_EEES9_SG_JZNS1_25segmented_radix_sort_implINS0_14default_configELb1EPKbPbPKlPlN2at6native12_GLOBAL__N_18offset_tEEE10hipError_tPvRmT1_PNSt15iterator_traitsISY_E10value_typeET2_T3_PNSZ_IS14_E10value_typeET4_jRbjT5_S1A_jjP12ihipStream_tbEUljE_EEESV_SW_SX_S14_S18_S1A_T6_T7_T9_mT8_S1C_bDpT10_ENKUlT_T0_E_clISt17integral_constantIbLb1EES1P_EEDaS1K_S1L_EUlS1K_E_NS1_11comp_targetILNS1_3genE2ELNS1_11target_archE906ELNS1_3gpuE6ELNS1_3repE0EEENS1_30default_config_static_selectorELNS0_4arch9wavefront6targetE1EEEvSY_.numbered_sgpr, 0
	.set _ZN7rocprim17ROCPRIM_400000_NS6detail17trampoline_kernelINS0_13select_configILj256ELj13ELNS0_17block_load_methodE3ELS4_3ELS4_3ELNS0_20block_scan_algorithmE0ELj4294967295EEENS1_25partition_config_selectorILNS1_17partition_subalgoE3EjNS0_10empty_typeEbEEZZNS1_14partition_implILS8_3ELb0ES6_jNS0_17counting_iteratorIjlEEPS9_SE_NS0_5tupleIJPjSE_EEENSF_IJSE_SE_EEES9_SG_JZNS1_25segmented_radix_sort_implINS0_14default_configELb1EPKbPbPKlPlN2at6native12_GLOBAL__N_18offset_tEEE10hipError_tPvRmT1_PNSt15iterator_traitsISY_E10value_typeET2_T3_PNSZ_IS14_E10value_typeET4_jRbjT5_S1A_jjP12ihipStream_tbEUljE_EEESV_SW_SX_S14_S18_S1A_T6_T7_T9_mT8_S1C_bDpT10_ENKUlT_T0_E_clISt17integral_constantIbLb1EES1P_EEDaS1K_S1L_EUlS1K_E_NS1_11comp_targetILNS1_3genE2ELNS1_11target_archE906ELNS1_3gpuE6ELNS1_3repE0EEENS1_30default_config_static_selectorELNS0_4arch9wavefront6targetE1EEEvSY_.num_named_barrier, 0
	.set _ZN7rocprim17ROCPRIM_400000_NS6detail17trampoline_kernelINS0_13select_configILj256ELj13ELNS0_17block_load_methodE3ELS4_3ELS4_3ELNS0_20block_scan_algorithmE0ELj4294967295EEENS1_25partition_config_selectorILNS1_17partition_subalgoE3EjNS0_10empty_typeEbEEZZNS1_14partition_implILS8_3ELb0ES6_jNS0_17counting_iteratorIjlEEPS9_SE_NS0_5tupleIJPjSE_EEENSF_IJSE_SE_EEES9_SG_JZNS1_25segmented_radix_sort_implINS0_14default_configELb1EPKbPbPKlPlN2at6native12_GLOBAL__N_18offset_tEEE10hipError_tPvRmT1_PNSt15iterator_traitsISY_E10value_typeET2_T3_PNSZ_IS14_E10value_typeET4_jRbjT5_S1A_jjP12ihipStream_tbEUljE_EEESV_SW_SX_S14_S18_S1A_T6_T7_T9_mT8_S1C_bDpT10_ENKUlT_T0_E_clISt17integral_constantIbLb1EES1P_EEDaS1K_S1L_EUlS1K_E_NS1_11comp_targetILNS1_3genE2ELNS1_11target_archE906ELNS1_3gpuE6ELNS1_3repE0EEENS1_30default_config_static_selectorELNS0_4arch9wavefront6targetE1EEEvSY_.private_seg_size, 0
	.set _ZN7rocprim17ROCPRIM_400000_NS6detail17trampoline_kernelINS0_13select_configILj256ELj13ELNS0_17block_load_methodE3ELS4_3ELS4_3ELNS0_20block_scan_algorithmE0ELj4294967295EEENS1_25partition_config_selectorILNS1_17partition_subalgoE3EjNS0_10empty_typeEbEEZZNS1_14partition_implILS8_3ELb0ES6_jNS0_17counting_iteratorIjlEEPS9_SE_NS0_5tupleIJPjSE_EEENSF_IJSE_SE_EEES9_SG_JZNS1_25segmented_radix_sort_implINS0_14default_configELb1EPKbPbPKlPlN2at6native12_GLOBAL__N_18offset_tEEE10hipError_tPvRmT1_PNSt15iterator_traitsISY_E10value_typeET2_T3_PNSZ_IS14_E10value_typeET4_jRbjT5_S1A_jjP12ihipStream_tbEUljE_EEESV_SW_SX_S14_S18_S1A_T6_T7_T9_mT8_S1C_bDpT10_ENKUlT_T0_E_clISt17integral_constantIbLb1EES1P_EEDaS1K_S1L_EUlS1K_E_NS1_11comp_targetILNS1_3genE2ELNS1_11target_archE906ELNS1_3gpuE6ELNS1_3repE0EEENS1_30default_config_static_selectorELNS0_4arch9wavefront6targetE1EEEvSY_.uses_vcc, 0
	.set _ZN7rocprim17ROCPRIM_400000_NS6detail17trampoline_kernelINS0_13select_configILj256ELj13ELNS0_17block_load_methodE3ELS4_3ELS4_3ELNS0_20block_scan_algorithmE0ELj4294967295EEENS1_25partition_config_selectorILNS1_17partition_subalgoE3EjNS0_10empty_typeEbEEZZNS1_14partition_implILS8_3ELb0ES6_jNS0_17counting_iteratorIjlEEPS9_SE_NS0_5tupleIJPjSE_EEENSF_IJSE_SE_EEES9_SG_JZNS1_25segmented_radix_sort_implINS0_14default_configELb1EPKbPbPKlPlN2at6native12_GLOBAL__N_18offset_tEEE10hipError_tPvRmT1_PNSt15iterator_traitsISY_E10value_typeET2_T3_PNSZ_IS14_E10value_typeET4_jRbjT5_S1A_jjP12ihipStream_tbEUljE_EEESV_SW_SX_S14_S18_S1A_T6_T7_T9_mT8_S1C_bDpT10_ENKUlT_T0_E_clISt17integral_constantIbLb1EES1P_EEDaS1K_S1L_EUlS1K_E_NS1_11comp_targetILNS1_3genE2ELNS1_11target_archE906ELNS1_3gpuE6ELNS1_3repE0EEENS1_30default_config_static_selectorELNS0_4arch9wavefront6targetE1EEEvSY_.uses_flat_scratch, 0
	.set _ZN7rocprim17ROCPRIM_400000_NS6detail17trampoline_kernelINS0_13select_configILj256ELj13ELNS0_17block_load_methodE3ELS4_3ELS4_3ELNS0_20block_scan_algorithmE0ELj4294967295EEENS1_25partition_config_selectorILNS1_17partition_subalgoE3EjNS0_10empty_typeEbEEZZNS1_14partition_implILS8_3ELb0ES6_jNS0_17counting_iteratorIjlEEPS9_SE_NS0_5tupleIJPjSE_EEENSF_IJSE_SE_EEES9_SG_JZNS1_25segmented_radix_sort_implINS0_14default_configELb1EPKbPbPKlPlN2at6native12_GLOBAL__N_18offset_tEEE10hipError_tPvRmT1_PNSt15iterator_traitsISY_E10value_typeET2_T3_PNSZ_IS14_E10value_typeET4_jRbjT5_S1A_jjP12ihipStream_tbEUljE_EEESV_SW_SX_S14_S18_S1A_T6_T7_T9_mT8_S1C_bDpT10_ENKUlT_T0_E_clISt17integral_constantIbLb1EES1P_EEDaS1K_S1L_EUlS1K_E_NS1_11comp_targetILNS1_3genE2ELNS1_11target_archE906ELNS1_3gpuE6ELNS1_3repE0EEENS1_30default_config_static_selectorELNS0_4arch9wavefront6targetE1EEEvSY_.has_dyn_sized_stack, 0
	.set _ZN7rocprim17ROCPRIM_400000_NS6detail17trampoline_kernelINS0_13select_configILj256ELj13ELNS0_17block_load_methodE3ELS4_3ELS4_3ELNS0_20block_scan_algorithmE0ELj4294967295EEENS1_25partition_config_selectorILNS1_17partition_subalgoE3EjNS0_10empty_typeEbEEZZNS1_14partition_implILS8_3ELb0ES6_jNS0_17counting_iteratorIjlEEPS9_SE_NS0_5tupleIJPjSE_EEENSF_IJSE_SE_EEES9_SG_JZNS1_25segmented_radix_sort_implINS0_14default_configELb1EPKbPbPKlPlN2at6native12_GLOBAL__N_18offset_tEEE10hipError_tPvRmT1_PNSt15iterator_traitsISY_E10value_typeET2_T3_PNSZ_IS14_E10value_typeET4_jRbjT5_S1A_jjP12ihipStream_tbEUljE_EEESV_SW_SX_S14_S18_S1A_T6_T7_T9_mT8_S1C_bDpT10_ENKUlT_T0_E_clISt17integral_constantIbLb1EES1P_EEDaS1K_S1L_EUlS1K_E_NS1_11comp_targetILNS1_3genE2ELNS1_11target_archE906ELNS1_3gpuE6ELNS1_3repE0EEENS1_30default_config_static_selectorELNS0_4arch9wavefront6targetE1EEEvSY_.has_recursion, 0
	.set _ZN7rocprim17ROCPRIM_400000_NS6detail17trampoline_kernelINS0_13select_configILj256ELj13ELNS0_17block_load_methodE3ELS4_3ELS4_3ELNS0_20block_scan_algorithmE0ELj4294967295EEENS1_25partition_config_selectorILNS1_17partition_subalgoE3EjNS0_10empty_typeEbEEZZNS1_14partition_implILS8_3ELb0ES6_jNS0_17counting_iteratorIjlEEPS9_SE_NS0_5tupleIJPjSE_EEENSF_IJSE_SE_EEES9_SG_JZNS1_25segmented_radix_sort_implINS0_14default_configELb1EPKbPbPKlPlN2at6native12_GLOBAL__N_18offset_tEEE10hipError_tPvRmT1_PNSt15iterator_traitsISY_E10value_typeET2_T3_PNSZ_IS14_E10value_typeET4_jRbjT5_S1A_jjP12ihipStream_tbEUljE_EEESV_SW_SX_S14_S18_S1A_T6_T7_T9_mT8_S1C_bDpT10_ENKUlT_T0_E_clISt17integral_constantIbLb1EES1P_EEDaS1K_S1L_EUlS1K_E_NS1_11comp_targetILNS1_3genE2ELNS1_11target_archE906ELNS1_3gpuE6ELNS1_3repE0EEENS1_30default_config_static_selectorELNS0_4arch9wavefront6targetE1EEEvSY_.has_indirect_call, 0
	.section	.AMDGPU.csdata,"",@progbits
; Kernel info:
; codeLenInByte = 4
; TotalNumSgprs: 4
; NumVgprs: 0
; ScratchSize: 0
; MemoryBound: 0
; FloatMode: 240
; IeeeMode: 1
; LDSByteSize: 0 bytes/workgroup (compile time only)
; SGPRBlocks: 0
; VGPRBlocks: 0
; NumSGPRsForWavesPerEU: 4
; NumVGPRsForWavesPerEU: 1
; Occupancy: 10
; WaveLimiterHint : 0
; COMPUTE_PGM_RSRC2:SCRATCH_EN: 0
; COMPUTE_PGM_RSRC2:USER_SGPR: 6
; COMPUTE_PGM_RSRC2:TRAP_HANDLER: 0
; COMPUTE_PGM_RSRC2:TGID_X_EN: 1
; COMPUTE_PGM_RSRC2:TGID_Y_EN: 0
; COMPUTE_PGM_RSRC2:TGID_Z_EN: 0
; COMPUTE_PGM_RSRC2:TIDIG_COMP_CNT: 0
	.section	.text._ZN7rocprim17ROCPRIM_400000_NS6detail17trampoline_kernelINS0_13select_configILj256ELj13ELNS0_17block_load_methodE3ELS4_3ELS4_3ELNS0_20block_scan_algorithmE0ELj4294967295EEENS1_25partition_config_selectorILNS1_17partition_subalgoE3EjNS0_10empty_typeEbEEZZNS1_14partition_implILS8_3ELb0ES6_jNS0_17counting_iteratorIjlEEPS9_SE_NS0_5tupleIJPjSE_EEENSF_IJSE_SE_EEES9_SG_JZNS1_25segmented_radix_sort_implINS0_14default_configELb1EPKbPbPKlPlN2at6native12_GLOBAL__N_18offset_tEEE10hipError_tPvRmT1_PNSt15iterator_traitsISY_E10value_typeET2_T3_PNSZ_IS14_E10value_typeET4_jRbjT5_S1A_jjP12ihipStream_tbEUljE_EEESV_SW_SX_S14_S18_S1A_T6_T7_T9_mT8_S1C_bDpT10_ENKUlT_T0_E_clISt17integral_constantIbLb1EES1P_EEDaS1K_S1L_EUlS1K_E_NS1_11comp_targetILNS1_3genE10ELNS1_11target_archE1200ELNS1_3gpuE4ELNS1_3repE0EEENS1_30default_config_static_selectorELNS0_4arch9wavefront6targetE1EEEvSY_,"axG",@progbits,_ZN7rocprim17ROCPRIM_400000_NS6detail17trampoline_kernelINS0_13select_configILj256ELj13ELNS0_17block_load_methodE3ELS4_3ELS4_3ELNS0_20block_scan_algorithmE0ELj4294967295EEENS1_25partition_config_selectorILNS1_17partition_subalgoE3EjNS0_10empty_typeEbEEZZNS1_14partition_implILS8_3ELb0ES6_jNS0_17counting_iteratorIjlEEPS9_SE_NS0_5tupleIJPjSE_EEENSF_IJSE_SE_EEES9_SG_JZNS1_25segmented_radix_sort_implINS0_14default_configELb1EPKbPbPKlPlN2at6native12_GLOBAL__N_18offset_tEEE10hipError_tPvRmT1_PNSt15iterator_traitsISY_E10value_typeET2_T3_PNSZ_IS14_E10value_typeET4_jRbjT5_S1A_jjP12ihipStream_tbEUljE_EEESV_SW_SX_S14_S18_S1A_T6_T7_T9_mT8_S1C_bDpT10_ENKUlT_T0_E_clISt17integral_constantIbLb1EES1P_EEDaS1K_S1L_EUlS1K_E_NS1_11comp_targetILNS1_3genE10ELNS1_11target_archE1200ELNS1_3gpuE4ELNS1_3repE0EEENS1_30default_config_static_selectorELNS0_4arch9wavefront6targetE1EEEvSY_,comdat
	.globl	_ZN7rocprim17ROCPRIM_400000_NS6detail17trampoline_kernelINS0_13select_configILj256ELj13ELNS0_17block_load_methodE3ELS4_3ELS4_3ELNS0_20block_scan_algorithmE0ELj4294967295EEENS1_25partition_config_selectorILNS1_17partition_subalgoE3EjNS0_10empty_typeEbEEZZNS1_14partition_implILS8_3ELb0ES6_jNS0_17counting_iteratorIjlEEPS9_SE_NS0_5tupleIJPjSE_EEENSF_IJSE_SE_EEES9_SG_JZNS1_25segmented_radix_sort_implINS0_14default_configELb1EPKbPbPKlPlN2at6native12_GLOBAL__N_18offset_tEEE10hipError_tPvRmT1_PNSt15iterator_traitsISY_E10value_typeET2_T3_PNSZ_IS14_E10value_typeET4_jRbjT5_S1A_jjP12ihipStream_tbEUljE_EEESV_SW_SX_S14_S18_S1A_T6_T7_T9_mT8_S1C_bDpT10_ENKUlT_T0_E_clISt17integral_constantIbLb1EES1P_EEDaS1K_S1L_EUlS1K_E_NS1_11comp_targetILNS1_3genE10ELNS1_11target_archE1200ELNS1_3gpuE4ELNS1_3repE0EEENS1_30default_config_static_selectorELNS0_4arch9wavefront6targetE1EEEvSY_ ; -- Begin function _ZN7rocprim17ROCPRIM_400000_NS6detail17trampoline_kernelINS0_13select_configILj256ELj13ELNS0_17block_load_methodE3ELS4_3ELS4_3ELNS0_20block_scan_algorithmE0ELj4294967295EEENS1_25partition_config_selectorILNS1_17partition_subalgoE3EjNS0_10empty_typeEbEEZZNS1_14partition_implILS8_3ELb0ES6_jNS0_17counting_iteratorIjlEEPS9_SE_NS0_5tupleIJPjSE_EEENSF_IJSE_SE_EEES9_SG_JZNS1_25segmented_radix_sort_implINS0_14default_configELb1EPKbPbPKlPlN2at6native12_GLOBAL__N_18offset_tEEE10hipError_tPvRmT1_PNSt15iterator_traitsISY_E10value_typeET2_T3_PNSZ_IS14_E10value_typeET4_jRbjT5_S1A_jjP12ihipStream_tbEUljE_EEESV_SW_SX_S14_S18_S1A_T6_T7_T9_mT8_S1C_bDpT10_ENKUlT_T0_E_clISt17integral_constantIbLb1EES1P_EEDaS1K_S1L_EUlS1K_E_NS1_11comp_targetILNS1_3genE10ELNS1_11target_archE1200ELNS1_3gpuE4ELNS1_3repE0EEENS1_30default_config_static_selectorELNS0_4arch9wavefront6targetE1EEEvSY_
	.p2align	8
	.type	_ZN7rocprim17ROCPRIM_400000_NS6detail17trampoline_kernelINS0_13select_configILj256ELj13ELNS0_17block_load_methodE3ELS4_3ELS4_3ELNS0_20block_scan_algorithmE0ELj4294967295EEENS1_25partition_config_selectorILNS1_17partition_subalgoE3EjNS0_10empty_typeEbEEZZNS1_14partition_implILS8_3ELb0ES6_jNS0_17counting_iteratorIjlEEPS9_SE_NS0_5tupleIJPjSE_EEENSF_IJSE_SE_EEES9_SG_JZNS1_25segmented_radix_sort_implINS0_14default_configELb1EPKbPbPKlPlN2at6native12_GLOBAL__N_18offset_tEEE10hipError_tPvRmT1_PNSt15iterator_traitsISY_E10value_typeET2_T3_PNSZ_IS14_E10value_typeET4_jRbjT5_S1A_jjP12ihipStream_tbEUljE_EEESV_SW_SX_S14_S18_S1A_T6_T7_T9_mT8_S1C_bDpT10_ENKUlT_T0_E_clISt17integral_constantIbLb1EES1P_EEDaS1K_S1L_EUlS1K_E_NS1_11comp_targetILNS1_3genE10ELNS1_11target_archE1200ELNS1_3gpuE4ELNS1_3repE0EEENS1_30default_config_static_selectorELNS0_4arch9wavefront6targetE1EEEvSY_,@function
_ZN7rocprim17ROCPRIM_400000_NS6detail17trampoline_kernelINS0_13select_configILj256ELj13ELNS0_17block_load_methodE3ELS4_3ELS4_3ELNS0_20block_scan_algorithmE0ELj4294967295EEENS1_25partition_config_selectorILNS1_17partition_subalgoE3EjNS0_10empty_typeEbEEZZNS1_14partition_implILS8_3ELb0ES6_jNS0_17counting_iteratorIjlEEPS9_SE_NS0_5tupleIJPjSE_EEENSF_IJSE_SE_EEES9_SG_JZNS1_25segmented_radix_sort_implINS0_14default_configELb1EPKbPbPKlPlN2at6native12_GLOBAL__N_18offset_tEEE10hipError_tPvRmT1_PNSt15iterator_traitsISY_E10value_typeET2_T3_PNSZ_IS14_E10value_typeET4_jRbjT5_S1A_jjP12ihipStream_tbEUljE_EEESV_SW_SX_S14_S18_S1A_T6_T7_T9_mT8_S1C_bDpT10_ENKUlT_T0_E_clISt17integral_constantIbLb1EES1P_EEDaS1K_S1L_EUlS1K_E_NS1_11comp_targetILNS1_3genE10ELNS1_11target_archE1200ELNS1_3gpuE4ELNS1_3repE0EEENS1_30default_config_static_selectorELNS0_4arch9wavefront6targetE1EEEvSY_: ; @_ZN7rocprim17ROCPRIM_400000_NS6detail17trampoline_kernelINS0_13select_configILj256ELj13ELNS0_17block_load_methodE3ELS4_3ELS4_3ELNS0_20block_scan_algorithmE0ELj4294967295EEENS1_25partition_config_selectorILNS1_17partition_subalgoE3EjNS0_10empty_typeEbEEZZNS1_14partition_implILS8_3ELb0ES6_jNS0_17counting_iteratorIjlEEPS9_SE_NS0_5tupleIJPjSE_EEENSF_IJSE_SE_EEES9_SG_JZNS1_25segmented_radix_sort_implINS0_14default_configELb1EPKbPbPKlPlN2at6native12_GLOBAL__N_18offset_tEEE10hipError_tPvRmT1_PNSt15iterator_traitsISY_E10value_typeET2_T3_PNSZ_IS14_E10value_typeET4_jRbjT5_S1A_jjP12ihipStream_tbEUljE_EEESV_SW_SX_S14_S18_S1A_T6_T7_T9_mT8_S1C_bDpT10_ENKUlT_T0_E_clISt17integral_constantIbLb1EES1P_EEDaS1K_S1L_EUlS1K_E_NS1_11comp_targetILNS1_3genE10ELNS1_11target_archE1200ELNS1_3gpuE4ELNS1_3repE0EEENS1_30default_config_static_selectorELNS0_4arch9wavefront6targetE1EEEvSY_
; %bb.0:
	.section	.rodata,"a",@progbits
	.p2align	6, 0x0
	.amdhsa_kernel _ZN7rocprim17ROCPRIM_400000_NS6detail17trampoline_kernelINS0_13select_configILj256ELj13ELNS0_17block_load_methodE3ELS4_3ELS4_3ELNS0_20block_scan_algorithmE0ELj4294967295EEENS1_25partition_config_selectorILNS1_17partition_subalgoE3EjNS0_10empty_typeEbEEZZNS1_14partition_implILS8_3ELb0ES6_jNS0_17counting_iteratorIjlEEPS9_SE_NS0_5tupleIJPjSE_EEENSF_IJSE_SE_EEES9_SG_JZNS1_25segmented_radix_sort_implINS0_14default_configELb1EPKbPbPKlPlN2at6native12_GLOBAL__N_18offset_tEEE10hipError_tPvRmT1_PNSt15iterator_traitsISY_E10value_typeET2_T3_PNSZ_IS14_E10value_typeET4_jRbjT5_S1A_jjP12ihipStream_tbEUljE_EEESV_SW_SX_S14_S18_S1A_T6_T7_T9_mT8_S1C_bDpT10_ENKUlT_T0_E_clISt17integral_constantIbLb1EES1P_EEDaS1K_S1L_EUlS1K_E_NS1_11comp_targetILNS1_3genE10ELNS1_11target_archE1200ELNS1_3gpuE4ELNS1_3repE0EEENS1_30default_config_static_selectorELNS0_4arch9wavefront6targetE1EEEvSY_
		.amdhsa_group_segment_fixed_size 0
		.amdhsa_private_segment_fixed_size 0
		.amdhsa_kernarg_size 152
		.amdhsa_user_sgpr_count 6
		.amdhsa_user_sgpr_private_segment_buffer 1
		.amdhsa_user_sgpr_dispatch_ptr 0
		.amdhsa_user_sgpr_queue_ptr 0
		.amdhsa_user_sgpr_kernarg_segment_ptr 1
		.amdhsa_user_sgpr_dispatch_id 0
		.amdhsa_user_sgpr_flat_scratch_init 0
		.amdhsa_user_sgpr_private_segment_size 0
		.amdhsa_uses_dynamic_stack 0
		.amdhsa_system_sgpr_private_segment_wavefront_offset 0
		.amdhsa_system_sgpr_workgroup_id_x 1
		.amdhsa_system_sgpr_workgroup_id_y 0
		.amdhsa_system_sgpr_workgroup_id_z 0
		.amdhsa_system_sgpr_workgroup_info 0
		.amdhsa_system_vgpr_workitem_id 0
		.amdhsa_next_free_vgpr 1
		.amdhsa_next_free_sgpr 0
		.amdhsa_reserve_vcc 0
		.amdhsa_reserve_flat_scratch 0
		.amdhsa_float_round_mode_32 0
		.amdhsa_float_round_mode_16_64 0
		.amdhsa_float_denorm_mode_32 3
		.amdhsa_float_denorm_mode_16_64 3
		.amdhsa_dx10_clamp 1
		.amdhsa_ieee_mode 1
		.amdhsa_fp16_overflow 0
		.amdhsa_exception_fp_ieee_invalid_op 0
		.amdhsa_exception_fp_denorm_src 0
		.amdhsa_exception_fp_ieee_div_zero 0
		.amdhsa_exception_fp_ieee_overflow 0
		.amdhsa_exception_fp_ieee_underflow 0
		.amdhsa_exception_fp_ieee_inexact 0
		.amdhsa_exception_int_div_zero 0
	.end_amdhsa_kernel
	.section	.text._ZN7rocprim17ROCPRIM_400000_NS6detail17trampoline_kernelINS0_13select_configILj256ELj13ELNS0_17block_load_methodE3ELS4_3ELS4_3ELNS0_20block_scan_algorithmE0ELj4294967295EEENS1_25partition_config_selectorILNS1_17partition_subalgoE3EjNS0_10empty_typeEbEEZZNS1_14partition_implILS8_3ELb0ES6_jNS0_17counting_iteratorIjlEEPS9_SE_NS0_5tupleIJPjSE_EEENSF_IJSE_SE_EEES9_SG_JZNS1_25segmented_radix_sort_implINS0_14default_configELb1EPKbPbPKlPlN2at6native12_GLOBAL__N_18offset_tEEE10hipError_tPvRmT1_PNSt15iterator_traitsISY_E10value_typeET2_T3_PNSZ_IS14_E10value_typeET4_jRbjT5_S1A_jjP12ihipStream_tbEUljE_EEESV_SW_SX_S14_S18_S1A_T6_T7_T9_mT8_S1C_bDpT10_ENKUlT_T0_E_clISt17integral_constantIbLb1EES1P_EEDaS1K_S1L_EUlS1K_E_NS1_11comp_targetILNS1_3genE10ELNS1_11target_archE1200ELNS1_3gpuE4ELNS1_3repE0EEENS1_30default_config_static_selectorELNS0_4arch9wavefront6targetE1EEEvSY_,"axG",@progbits,_ZN7rocprim17ROCPRIM_400000_NS6detail17trampoline_kernelINS0_13select_configILj256ELj13ELNS0_17block_load_methodE3ELS4_3ELS4_3ELNS0_20block_scan_algorithmE0ELj4294967295EEENS1_25partition_config_selectorILNS1_17partition_subalgoE3EjNS0_10empty_typeEbEEZZNS1_14partition_implILS8_3ELb0ES6_jNS0_17counting_iteratorIjlEEPS9_SE_NS0_5tupleIJPjSE_EEENSF_IJSE_SE_EEES9_SG_JZNS1_25segmented_radix_sort_implINS0_14default_configELb1EPKbPbPKlPlN2at6native12_GLOBAL__N_18offset_tEEE10hipError_tPvRmT1_PNSt15iterator_traitsISY_E10value_typeET2_T3_PNSZ_IS14_E10value_typeET4_jRbjT5_S1A_jjP12ihipStream_tbEUljE_EEESV_SW_SX_S14_S18_S1A_T6_T7_T9_mT8_S1C_bDpT10_ENKUlT_T0_E_clISt17integral_constantIbLb1EES1P_EEDaS1K_S1L_EUlS1K_E_NS1_11comp_targetILNS1_3genE10ELNS1_11target_archE1200ELNS1_3gpuE4ELNS1_3repE0EEENS1_30default_config_static_selectorELNS0_4arch9wavefront6targetE1EEEvSY_,comdat
.Lfunc_end1513:
	.size	_ZN7rocprim17ROCPRIM_400000_NS6detail17trampoline_kernelINS0_13select_configILj256ELj13ELNS0_17block_load_methodE3ELS4_3ELS4_3ELNS0_20block_scan_algorithmE0ELj4294967295EEENS1_25partition_config_selectorILNS1_17partition_subalgoE3EjNS0_10empty_typeEbEEZZNS1_14partition_implILS8_3ELb0ES6_jNS0_17counting_iteratorIjlEEPS9_SE_NS0_5tupleIJPjSE_EEENSF_IJSE_SE_EEES9_SG_JZNS1_25segmented_radix_sort_implINS0_14default_configELb1EPKbPbPKlPlN2at6native12_GLOBAL__N_18offset_tEEE10hipError_tPvRmT1_PNSt15iterator_traitsISY_E10value_typeET2_T3_PNSZ_IS14_E10value_typeET4_jRbjT5_S1A_jjP12ihipStream_tbEUljE_EEESV_SW_SX_S14_S18_S1A_T6_T7_T9_mT8_S1C_bDpT10_ENKUlT_T0_E_clISt17integral_constantIbLb1EES1P_EEDaS1K_S1L_EUlS1K_E_NS1_11comp_targetILNS1_3genE10ELNS1_11target_archE1200ELNS1_3gpuE4ELNS1_3repE0EEENS1_30default_config_static_selectorELNS0_4arch9wavefront6targetE1EEEvSY_, .Lfunc_end1513-_ZN7rocprim17ROCPRIM_400000_NS6detail17trampoline_kernelINS0_13select_configILj256ELj13ELNS0_17block_load_methodE3ELS4_3ELS4_3ELNS0_20block_scan_algorithmE0ELj4294967295EEENS1_25partition_config_selectorILNS1_17partition_subalgoE3EjNS0_10empty_typeEbEEZZNS1_14partition_implILS8_3ELb0ES6_jNS0_17counting_iteratorIjlEEPS9_SE_NS0_5tupleIJPjSE_EEENSF_IJSE_SE_EEES9_SG_JZNS1_25segmented_radix_sort_implINS0_14default_configELb1EPKbPbPKlPlN2at6native12_GLOBAL__N_18offset_tEEE10hipError_tPvRmT1_PNSt15iterator_traitsISY_E10value_typeET2_T3_PNSZ_IS14_E10value_typeET4_jRbjT5_S1A_jjP12ihipStream_tbEUljE_EEESV_SW_SX_S14_S18_S1A_T6_T7_T9_mT8_S1C_bDpT10_ENKUlT_T0_E_clISt17integral_constantIbLb1EES1P_EEDaS1K_S1L_EUlS1K_E_NS1_11comp_targetILNS1_3genE10ELNS1_11target_archE1200ELNS1_3gpuE4ELNS1_3repE0EEENS1_30default_config_static_selectorELNS0_4arch9wavefront6targetE1EEEvSY_
                                        ; -- End function
	.set _ZN7rocprim17ROCPRIM_400000_NS6detail17trampoline_kernelINS0_13select_configILj256ELj13ELNS0_17block_load_methodE3ELS4_3ELS4_3ELNS0_20block_scan_algorithmE0ELj4294967295EEENS1_25partition_config_selectorILNS1_17partition_subalgoE3EjNS0_10empty_typeEbEEZZNS1_14partition_implILS8_3ELb0ES6_jNS0_17counting_iteratorIjlEEPS9_SE_NS0_5tupleIJPjSE_EEENSF_IJSE_SE_EEES9_SG_JZNS1_25segmented_radix_sort_implINS0_14default_configELb1EPKbPbPKlPlN2at6native12_GLOBAL__N_18offset_tEEE10hipError_tPvRmT1_PNSt15iterator_traitsISY_E10value_typeET2_T3_PNSZ_IS14_E10value_typeET4_jRbjT5_S1A_jjP12ihipStream_tbEUljE_EEESV_SW_SX_S14_S18_S1A_T6_T7_T9_mT8_S1C_bDpT10_ENKUlT_T0_E_clISt17integral_constantIbLb1EES1P_EEDaS1K_S1L_EUlS1K_E_NS1_11comp_targetILNS1_3genE10ELNS1_11target_archE1200ELNS1_3gpuE4ELNS1_3repE0EEENS1_30default_config_static_selectorELNS0_4arch9wavefront6targetE1EEEvSY_.num_vgpr, 0
	.set _ZN7rocprim17ROCPRIM_400000_NS6detail17trampoline_kernelINS0_13select_configILj256ELj13ELNS0_17block_load_methodE3ELS4_3ELS4_3ELNS0_20block_scan_algorithmE0ELj4294967295EEENS1_25partition_config_selectorILNS1_17partition_subalgoE3EjNS0_10empty_typeEbEEZZNS1_14partition_implILS8_3ELb0ES6_jNS0_17counting_iteratorIjlEEPS9_SE_NS0_5tupleIJPjSE_EEENSF_IJSE_SE_EEES9_SG_JZNS1_25segmented_radix_sort_implINS0_14default_configELb1EPKbPbPKlPlN2at6native12_GLOBAL__N_18offset_tEEE10hipError_tPvRmT1_PNSt15iterator_traitsISY_E10value_typeET2_T3_PNSZ_IS14_E10value_typeET4_jRbjT5_S1A_jjP12ihipStream_tbEUljE_EEESV_SW_SX_S14_S18_S1A_T6_T7_T9_mT8_S1C_bDpT10_ENKUlT_T0_E_clISt17integral_constantIbLb1EES1P_EEDaS1K_S1L_EUlS1K_E_NS1_11comp_targetILNS1_3genE10ELNS1_11target_archE1200ELNS1_3gpuE4ELNS1_3repE0EEENS1_30default_config_static_selectorELNS0_4arch9wavefront6targetE1EEEvSY_.num_agpr, 0
	.set _ZN7rocprim17ROCPRIM_400000_NS6detail17trampoline_kernelINS0_13select_configILj256ELj13ELNS0_17block_load_methodE3ELS4_3ELS4_3ELNS0_20block_scan_algorithmE0ELj4294967295EEENS1_25partition_config_selectorILNS1_17partition_subalgoE3EjNS0_10empty_typeEbEEZZNS1_14partition_implILS8_3ELb0ES6_jNS0_17counting_iteratorIjlEEPS9_SE_NS0_5tupleIJPjSE_EEENSF_IJSE_SE_EEES9_SG_JZNS1_25segmented_radix_sort_implINS0_14default_configELb1EPKbPbPKlPlN2at6native12_GLOBAL__N_18offset_tEEE10hipError_tPvRmT1_PNSt15iterator_traitsISY_E10value_typeET2_T3_PNSZ_IS14_E10value_typeET4_jRbjT5_S1A_jjP12ihipStream_tbEUljE_EEESV_SW_SX_S14_S18_S1A_T6_T7_T9_mT8_S1C_bDpT10_ENKUlT_T0_E_clISt17integral_constantIbLb1EES1P_EEDaS1K_S1L_EUlS1K_E_NS1_11comp_targetILNS1_3genE10ELNS1_11target_archE1200ELNS1_3gpuE4ELNS1_3repE0EEENS1_30default_config_static_selectorELNS0_4arch9wavefront6targetE1EEEvSY_.numbered_sgpr, 0
	.set _ZN7rocprim17ROCPRIM_400000_NS6detail17trampoline_kernelINS0_13select_configILj256ELj13ELNS0_17block_load_methodE3ELS4_3ELS4_3ELNS0_20block_scan_algorithmE0ELj4294967295EEENS1_25partition_config_selectorILNS1_17partition_subalgoE3EjNS0_10empty_typeEbEEZZNS1_14partition_implILS8_3ELb0ES6_jNS0_17counting_iteratorIjlEEPS9_SE_NS0_5tupleIJPjSE_EEENSF_IJSE_SE_EEES9_SG_JZNS1_25segmented_radix_sort_implINS0_14default_configELb1EPKbPbPKlPlN2at6native12_GLOBAL__N_18offset_tEEE10hipError_tPvRmT1_PNSt15iterator_traitsISY_E10value_typeET2_T3_PNSZ_IS14_E10value_typeET4_jRbjT5_S1A_jjP12ihipStream_tbEUljE_EEESV_SW_SX_S14_S18_S1A_T6_T7_T9_mT8_S1C_bDpT10_ENKUlT_T0_E_clISt17integral_constantIbLb1EES1P_EEDaS1K_S1L_EUlS1K_E_NS1_11comp_targetILNS1_3genE10ELNS1_11target_archE1200ELNS1_3gpuE4ELNS1_3repE0EEENS1_30default_config_static_selectorELNS0_4arch9wavefront6targetE1EEEvSY_.num_named_barrier, 0
	.set _ZN7rocprim17ROCPRIM_400000_NS6detail17trampoline_kernelINS0_13select_configILj256ELj13ELNS0_17block_load_methodE3ELS4_3ELS4_3ELNS0_20block_scan_algorithmE0ELj4294967295EEENS1_25partition_config_selectorILNS1_17partition_subalgoE3EjNS0_10empty_typeEbEEZZNS1_14partition_implILS8_3ELb0ES6_jNS0_17counting_iteratorIjlEEPS9_SE_NS0_5tupleIJPjSE_EEENSF_IJSE_SE_EEES9_SG_JZNS1_25segmented_radix_sort_implINS0_14default_configELb1EPKbPbPKlPlN2at6native12_GLOBAL__N_18offset_tEEE10hipError_tPvRmT1_PNSt15iterator_traitsISY_E10value_typeET2_T3_PNSZ_IS14_E10value_typeET4_jRbjT5_S1A_jjP12ihipStream_tbEUljE_EEESV_SW_SX_S14_S18_S1A_T6_T7_T9_mT8_S1C_bDpT10_ENKUlT_T0_E_clISt17integral_constantIbLb1EES1P_EEDaS1K_S1L_EUlS1K_E_NS1_11comp_targetILNS1_3genE10ELNS1_11target_archE1200ELNS1_3gpuE4ELNS1_3repE0EEENS1_30default_config_static_selectorELNS0_4arch9wavefront6targetE1EEEvSY_.private_seg_size, 0
	.set _ZN7rocprim17ROCPRIM_400000_NS6detail17trampoline_kernelINS0_13select_configILj256ELj13ELNS0_17block_load_methodE3ELS4_3ELS4_3ELNS0_20block_scan_algorithmE0ELj4294967295EEENS1_25partition_config_selectorILNS1_17partition_subalgoE3EjNS0_10empty_typeEbEEZZNS1_14partition_implILS8_3ELb0ES6_jNS0_17counting_iteratorIjlEEPS9_SE_NS0_5tupleIJPjSE_EEENSF_IJSE_SE_EEES9_SG_JZNS1_25segmented_radix_sort_implINS0_14default_configELb1EPKbPbPKlPlN2at6native12_GLOBAL__N_18offset_tEEE10hipError_tPvRmT1_PNSt15iterator_traitsISY_E10value_typeET2_T3_PNSZ_IS14_E10value_typeET4_jRbjT5_S1A_jjP12ihipStream_tbEUljE_EEESV_SW_SX_S14_S18_S1A_T6_T7_T9_mT8_S1C_bDpT10_ENKUlT_T0_E_clISt17integral_constantIbLb1EES1P_EEDaS1K_S1L_EUlS1K_E_NS1_11comp_targetILNS1_3genE10ELNS1_11target_archE1200ELNS1_3gpuE4ELNS1_3repE0EEENS1_30default_config_static_selectorELNS0_4arch9wavefront6targetE1EEEvSY_.uses_vcc, 0
	.set _ZN7rocprim17ROCPRIM_400000_NS6detail17trampoline_kernelINS0_13select_configILj256ELj13ELNS0_17block_load_methodE3ELS4_3ELS4_3ELNS0_20block_scan_algorithmE0ELj4294967295EEENS1_25partition_config_selectorILNS1_17partition_subalgoE3EjNS0_10empty_typeEbEEZZNS1_14partition_implILS8_3ELb0ES6_jNS0_17counting_iteratorIjlEEPS9_SE_NS0_5tupleIJPjSE_EEENSF_IJSE_SE_EEES9_SG_JZNS1_25segmented_radix_sort_implINS0_14default_configELb1EPKbPbPKlPlN2at6native12_GLOBAL__N_18offset_tEEE10hipError_tPvRmT1_PNSt15iterator_traitsISY_E10value_typeET2_T3_PNSZ_IS14_E10value_typeET4_jRbjT5_S1A_jjP12ihipStream_tbEUljE_EEESV_SW_SX_S14_S18_S1A_T6_T7_T9_mT8_S1C_bDpT10_ENKUlT_T0_E_clISt17integral_constantIbLb1EES1P_EEDaS1K_S1L_EUlS1K_E_NS1_11comp_targetILNS1_3genE10ELNS1_11target_archE1200ELNS1_3gpuE4ELNS1_3repE0EEENS1_30default_config_static_selectorELNS0_4arch9wavefront6targetE1EEEvSY_.uses_flat_scratch, 0
	.set _ZN7rocprim17ROCPRIM_400000_NS6detail17trampoline_kernelINS0_13select_configILj256ELj13ELNS0_17block_load_methodE3ELS4_3ELS4_3ELNS0_20block_scan_algorithmE0ELj4294967295EEENS1_25partition_config_selectorILNS1_17partition_subalgoE3EjNS0_10empty_typeEbEEZZNS1_14partition_implILS8_3ELb0ES6_jNS0_17counting_iteratorIjlEEPS9_SE_NS0_5tupleIJPjSE_EEENSF_IJSE_SE_EEES9_SG_JZNS1_25segmented_radix_sort_implINS0_14default_configELb1EPKbPbPKlPlN2at6native12_GLOBAL__N_18offset_tEEE10hipError_tPvRmT1_PNSt15iterator_traitsISY_E10value_typeET2_T3_PNSZ_IS14_E10value_typeET4_jRbjT5_S1A_jjP12ihipStream_tbEUljE_EEESV_SW_SX_S14_S18_S1A_T6_T7_T9_mT8_S1C_bDpT10_ENKUlT_T0_E_clISt17integral_constantIbLb1EES1P_EEDaS1K_S1L_EUlS1K_E_NS1_11comp_targetILNS1_3genE10ELNS1_11target_archE1200ELNS1_3gpuE4ELNS1_3repE0EEENS1_30default_config_static_selectorELNS0_4arch9wavefront6targetE1EEEvSY_.has_dyn_sized_stack, 0
	.set _ZN7rocprim17ROCPRIM_400000_NS6detail17trampoline_kernelINS0_13select_configILj256ELj13ELNS0_17block_load_methodE3ELS4_3ELS4_3ELNS0_20block_scan_algorithmE0ELj4294967295EEENS1_25partition_config_selectorILNS1_17partition_subalgoE3EjNS0_10empty_typeEbEEZZNS1_14partition_implILS8_3ELb0ES6_jNS0_17counting_iteratorIjlEEPS9_SE_NS0_5tupleIJPjSE_EEENSF_IJSE_SE_EEES9_SG_JZNS1_25segmented_radix_sort_implINS0_14default_configELb1EPKbPbPKlPlN2at6native12_GLOBAL__N_18offset_tEEE10hipError_tPvRmT1_PNSt15iterator_traitsISY_E10value_typeET2_T3_PNSZ_IS14_E10value_typeET4_jRbjT5_S1A_jjP12ihipStream_tbEUljE_EEESV_SW_SX_S14_S18_S1A_T6_T7_T9_mT8_S1C_bDpT10_ENKUlT_T0_E_clISt17integral_constantIbLb1EES1P_EEDaS1K_S1L_EUlS1K_E_NS1_11comp_targetILNS1_3genE10ELNS1_11target_archE1200ELNS1_3gpuE4ELNS1_3repE0EEENS1_30default_config_static_selectorELNS0_4arch9wavefront6targetE1EEEvSY_.has_recursion, 0
	.set _ZN7rocprim17ROCPRIM_400000_NS6detail17trampoline_kernelINS0_13select_configILj256ELj13ELNS0_17block_load_methodE3ELS4_3ELS4_3ELNS0_20block_scan_algorithmE0ELj4294967295EEENS1_25partition_config_selectorILNS1_17partition_subalgoE3EjNS0_10empty_typeEbEEZZNS1_14partition_implILS8_3ELb0ES6_jNS0_17counting_iteratorIjlEEPS9_SE_NS0_5tupleIJPjSE_EEENSF_IJSE_SE_EEES9_SG_JZNS1_25segmented_radix_sort_implINS0_14default_configELb1EPKbPbPKlPlN2at6native12_GLOBAL__N_18offset_tEEE10hipError_tPvRmT1_PNSt15iterator_traitsISY_E10value_typeET2_T3_PNSZ_IS14_E10value_typeET4_jRbjT5_S1A_jjP12ihipStream_tbEUljE_EEESV_SW_SX_S14_S18_S1A_T6_T7_T9_mT8_S1C_bDpT10_ENKUlT_T0_E_clISt17integral_constantIbLb1EES1P_EEDaS1K_S1L_EUlS1K_E_NS1_11comp_targetILNS1_3genE10ELNS1_11target_archE1200ELNS1_3gpuE4ELNS1_3repE0EEENS1_30default_config_static_selectorELNS0_4arch9wavefront6targetE1EEEvSY_.has_indirect_call, 0
	.section	.AMDGPU.csdata,"",@progbits
; Kernel info:
; codeLenInByte = 0
; TotalNumSgprs: 4
; NumVgprs: 0
; ScratchSize: 0
; MemoryBound: 0
; FloatMode: 240
; IeeeMode: 1
; LDSByteSize: 0 bytes/workgroup (compile time only)
; SGPRBlocks: 0
; VGPRBlocks: 0
; NumSGPRsForWavesPerEU: 4
; NumVGPRsForWavesPerEU: 1
; Occupancy: 10
; WaveLimiterHint : 0
; COMPUTE_PGM_RSRC2:SCRATCH_EN: 0
; COMPUTE_PGM_RSRC2:USER_SGPR: 6
; COMPUTE_PGM_RSRC2:TRAP_HANDLER: 0
; COMPUTE_PGM_RSRC2:TGID_X_EN: 1
; COMPUTE_PGM_RSRC2:TGID_Y_EN: 0
; COMPUTE_PGM_RSRC2:TGID_Z_EN: 0
; COMPUTE_PGM_RSRC2:TIDIG_COMP_CNT: 0
	.section	.text._ZN7rocprim17ROCPRIM_400000_NS6detail17trampoline_kernelINS0_13select_configILj256ELj13ELNS0_17block_load_methodE3ELS4_3ELS4_3ELNS0_20block_scan_algorithmE0ELj4294967295EEENS1_25partition_config_selectorILNS1_17partition_subalgoE3EjNS0_10empty_typeEbEEZZNS1_14partition_implILS8_3ELb0ES6_jNS0_17counting_iteratorIjlEEPS9_SE_NS0_5tupleIJPjSE_EEENSF_IJSE_SE_EEES9_SG_JZNS1_25segmented_radix_sort_implINS0_14default_configELb1EPKbPbPKlPlN2at6native12_GLOBAL__N_18offset_tEEE10hipError_tPvRmT1_PNSt15iterator_traitsISY_E10value_typeET2_T3_PNSZ_IS14_E10value_typeET4_jRbjT5_S1A_jjP12ihipStream_tbEUljE_EEESV_SW_SX_S14_S18_S1A_T6_T7_T9_mT8_S1C_bDpT10_ENKUlT_T0_E_clISt17integral_constantIbLb1EES1P_EEDaS1K_S1L_EUlS1K_E_NS1_11comp_targetILNS1_3genE9ELNS1_11target_archE1100ELNS1_3gpuE3ELNS1_3repE0EEENS1_30default_config_static_selectorELNS0_4arch9wavefront6targetE1EEEvSY_,"axG",@progbits,_ZN7rocprim17ROCPRIM_400000_NS6detail17trampoline_kernelINS0_13select_configILj256ELj13ELNS0_17block_load_methodE3ELS4_3ELS4_3ELNS0_20block_scan_algorithmE0ELj4294967295EEENS1_25partition_config_selectorILNS1_17partition_subalgoE3EjNS0_10empty_typeEbEEZZNS1_14partition_implILS8_3ELb0ES6_jNS0_17counting_iteratorIjlEEPS9_SE_NS0_5tupleIJPjSE_EEENSF_IJSE_SE_EEES9_SG_JZNS1_25segmented_radix_sort_implINS0_14default_configELb1EPKbPbPKlPlN2at6native12_GLOBAL__N_18offset_tEEE10hipError_tPvRmT1_PNSt15iterator_traitsISY_E10value_typeET2_T3_PNSZ_IS14_E10value_typeET4_jRbjT5_S1A_jjP12ihipStream_tbEUljE_EEESV_SW_SX_S14_S18_S1A_T6_T7_T9_mT8_S1C_bDpT10_ENKUlT_T0_E_clISt17integral_constantIbLb1EES1P_EEDaS1K_S1L_EUlS1K_E_NS1_11comp_targetILNS1_3genE9ELNS1_11target_archE1100ELNS1_3gpuE3ELNS1_3repE0EEENS1_30default_config_static_selectorELNS0_4arch9wavefront6targetE1EEEvSY_,comdat
	.globl	_ZN7rocprim17ROCPRIM_400000_NS6detail17trampoline_kernelINS0_13select_configILj256ELj13ELNS0_17block_load_methodE3ELS4_3ELS4_3ELNS0_20block_scan_algorithmE0ELj4294967295EEENS1_25partition_config_selectorILNS1_17partition_subalgoE3EjNS0_10empty_typeEbEEZZNS1_14partition_implILS8_3ELb0ES6_jNS0_17counting_iteratorIjlEEPS9_SE_NS0_5tupleIJPjSE_EEENSF_IJSE_SE_EEES9_SG_JZNS1_25segmented_radix_sort_implINS0_14default_configELb1EPKbPbPKlPlN2at6native12_GLOBAL__N_18offset_tEEE10hipError_tPvRmT1_PNSt15iterator_traitsISY_E10value_typeET2_T3_PNSZ_IS14_E10value_typeET4_jRbjT5_S1A_jjP12ihipStream_tbEUljE_EEESV_SW_SX_S14_S18_S1A_T6_T7_T9_mT8_S1C_bDpT10_ENKUlT_T0_E_clISt17integral_constantIbLb1EES1P_EEDaS1K_S1L_EUlS1K_E_NS1_11comp_targetILNS1_3genE9ELNS1_11target_archE1100ELNS1_3gpuE3ELNS1_3repE0EEENS1_30default_config_static_selectorELNS0_4arch9wavefront6targetE1EEEvSY_ ; -- Begin function _ZN7rocprim17ROCPRIM_400000_NS6detail17trampoline_kernelINS0_13select_configILj256ELj13ELNS0_17block_load_methodE3ELS4_3ELS4_3ELNS0_20block_scan_algorithmE0ELj4294967295EEENS1_25partition_config_selectorILNS1_17partition_subalgoE3EjNS0_10empty_typeEbEEZZNS1_14partition_implILS8_3ELb0ES6_jNS0_17counting_iteratorIjlEEPS9_SE_NS0_5tupleIJPjSE_EEENSF_IJSE_SE_EEES9_SG_JZNS1_25segmented_radix_sort_implINS0_14default_configELb1EPKbPbPKlPlN2at6native12_GLOBAL__N_18offset_tEEE10hipError_tPvRmT1_PNSt15iterator_traitsISY_E10value_typeET2_T3_PNSZ_IS14_E10value_typeET4_jRbjT5_S1A_jjP12ihipStream_tbEUljE_EEESV_SW_SX_S14_S18_S1A_T6_T7_T9_mT8_S1C_bDpT10_ENKUlT_T0_E_clISt17integral_constantIbLb1EES1P_EEDaS1K_S1L_EUlS1K_E_NS1_11comp_targetILNS1_3genE9ELNS1_11target_archE1100ELNS1_3gpuE3ELNS1_3repE0EEENS1_30default_config_static_selectorELNS0_4arch9wavefront6targetE1EEEvSY_
	.p2align	8
	.type	_ZN7rocprim17ROCPRIM_400000_NS6detail17trampoline_kernelINS0_13select_configILj256ELj13ELNS0_17block_load_methodE3ELS4_3ELS4_3ELNS0_20block_scan_algorithmE0ELj4294967295EEENS1_25partition_config_selectorILNS1_17partition_subalgoE3EjNS0_10empty_typeEbEEZZNS1_14partition_implILS8_3ELb0ES6_jNS0_17counting_iteratorIjlEEPS9_SE_NS0_5tupleIJPjSE_EEENSF_IJSE_SE_EEES9_SG_JZNS1_25segmented_radix_sort_implINS0_14default_configELb1EPKbPbPKlPlN2at6native12_GLOBAL__N_18offset_tEEE10hipError_tPvRmT1_PNSt15iterator_traitsISY_E10value_typeET2_T3_PNSZ_IS14_E10value_typeET4_jRbjT5_S1A_jjP12ihipStream_tbEUljE_EEESV_SW_SX_S14_S18_S1A_T6_T7_T9_mT8_S1C_bDpT10_ENKUlT_T0_E_clISt17integral_constantIbLb1EES1P_EEDaS1K_S1L_EUlS1K_E_NS1_11comp_targetILNS1_3genE9ELNS1_11target_archE1100ELNS1_3gpuE3ELNS1_3repE0EEENS1_30default_config_static_selectorELNS0_4arch9wavefront6targetE1EEEvSY_,@function
_ZN7rocprim17ROCPRIM_400000_NS6detail17trampoline_kernelINS0_13select_configILj256ELj13ELNS0_17block_load_methodE3ELS4_3ELS4_3ELNS0_20block_scan_algorithmE0ELj4294967295EEENS1_25partition_config_selectorILNS1_17partition_subalgoE3EjNS0_10empty_typeEbEEZZNS1_14partition_implILS8_3ELb0ES6_jNS0_17counting_iteratorIjlEEPS9_SE_NS0_5tupleIJPjSE_EEENSF_IJSE_SE_EEES9_SG_JZNS1_25segmented_radix_sort_implINS0_14default_configELb1EPKbPbPKlPlN2at6native12_GLOBAL__N_18offset_tEEE10hipError_tPvRmT1_PNSt15iterator_traitsISY_E10value_typeET2_T3_PNSZ_IS14_E10value_typeET4_jRbjT5_S1A_jjP12ihipStream_tbEUljE_EEESV_SW_SX_S14_S18_S1A_T6_T7_T9_mT8_S1C_bDpT10_ENKUlT_T0_E_clISt17integral_constantIbLb1EES1P_EEDaS1K_S1L_EUlS1K_E_NS1_11comp_targetILNS1_3genE9ELNS1_11target_archE1100ELNS1_3gpuE3ELNS1_3repE0EEENS1_30default_config_static_selectorELNS0_4arch9wavefront6targetE1EEEvSY_: ; @_ZN7rocprim17ROCPRIM_400000_NS6detail17trampoline_kernelINS0_13select_configILj256ELj13ELNS0_17block_load_methodE3ELS4_3ELS4_3ELNS0_20block_scan_algorithmE0ELj4294967295EEENS1_25partition_config_selectorILNS1_17partition_subalgoE3EjNS0_10empty_typeEbEEZZNS1_14partition_implILS8_3ELb0ES6_jNS0_17counting_iteratorIjlEEPS9_SE_NS0_5tupleIJPjSE_EEENSF_IJSE_SE_EEES9_SG_JZNS1_25segmented_radix_sort_implINS0_14default_configELb1EPKbPbPKlPlN2at6native12_GLOBAL__N_18offset_tEEE10hipError_tPvRmT1_PNSt15iterator_traitsISY_E10value_typeET2_T3_PNSZ_IS14_E10value_typeET4_jRbjT5_S1A_jjP12ihipStream_tbEUljE_EEESV_SW_SX_S14_S18_S1A_T6_T7_T9_mT8_S1C_bDpT10_ENKUlT_T0_E_clISt17integral_constantIbLb1EES1P_EEDaS1K_S1L_EUlS1K_E_NS1_11comp_targetILNS1_3genE9ELNS1_11target_archE1100ELNS1_3gpuE3ELNS1_3repE0EEENS1_30default_config_static_selectorELNS0_4arch9wavefront6targetE1EEEvSY_
; %bb.0:
	.section	.rodata,"a",@progbits
	.p2align	6, 0x0
	.amdhsa_kernel _ZN7rocprim17ROCPRIM_400000_NS6detail17trampoline_kernelINS0_13select_configILj256ELj13ELNS0_17block_load_methodE3ELS4_3ELS4_3ELNS0_20block_scan_algorithmE0ELj4294967295EEENS1_25partition_config_selectorILNS1_17partition_subalgoE3EjNS0_10empty_typeEbEEZZNS1_14partition_implILS8_3ELb0ES6_jNS0_17counting_iteratorIjlEEPS9_SE_NS0_5tupleIJPjSE_EEENSF_IJSE_SE_EEES9_SG_JZNS1_25segmented_radix_sort_implINS0_14default_configELb1EPKbPbPKlPlN2at6native12_GLOBAL__N_18offset_tEEE10hipError_tPvRmT1_PNSt15iterator_traitsISY_E10value_typeET2_T3_PNSZ_IS14_E10value_typeET4_jRbjT5_S1A_jjP12ihipStream_tbEUljE_EEESV_SW_SX_S14_S18_S1A_T6_T7_T9_mT8_S1C_bDpT10_ENKUlT_T0_E_clISt17integral_constantIbLb1EES1P_EEDaS1K_S1L_EUlS1K_E_NS1_11comp_targetILNS1_3genE9ELNS1_11target_archE1100ELNS1_3gpuE3ELNS1_3repE0EEENS1_30default_config_static_selectorELNS0_4arch9wavefront6targetE1EEEvSY_
		.amdhsa_group_segment_fixed_size 0
		.amdhsa_private_segment_fixed_size 0
		.amdhsa_kernarg_size 152
		.amdhsa_user_sgpr_count 6
		.amdhsa_user_sgpr_private_segment_buffer 1
		.amdhsa_user_sgpr_dispatch_ptr 0
		.amdhsa_user_sgpr_queue_ptr 0
		.amdhsa_user_sgpr_kernarg_segment_ptr 1
		.amdhsa_user_sgpr_dispatch_id 0
		.amdhsa_user_sgpr_flat_scratch_init 0
		.amdhsa_user_sgpr_private_segment_size 0
		.amdhsa_uses_dynamic_stack 0
		.amdhsa_system_sgpr_private_segment_wavefront_offset 0
		.amdhsa_system_sgpr_workgroup_id_x 1
		.amdhsa_system_sgpr_workgroup_id_y 0
		.amdhsa_system_sgpr_workgroup_id_z 0
		.amdhsa_system_sgpr_workgroup_info 0
		.amdhsa_system_vgpr_workitem_id 0
		.amdhsa_next_free_vgpr 1
		.amdhsa_next_free_sgpr 0
		.amdhsa_reserve_vcc 0
		.amdhsa_reserve_flat_scratch 0
		.amdhsa_float_round_mode_32 0
		.amdhsa_float_round_mode_16_64 0
		.amdhsa_float_denorm_mode_32 3
		.amdhsa_float_denorm_mode_16_64 3
		.amdhsa_dx10_clamp 1
		.amdhsa_ieee_mode 1
		.amdhsa_fp16_overflow 0
		.amdhsa_exception_fp_ieee_invalid_op 0
		.amdhsa_exception_fp_denorm_src 0
		.amdhsa_exception_fp_ieee_div_zero 0
		.amdhsa_exception_fp_ieee_overflow 0
		.amdhsa_exception_fp_ieee_underflow 0
		.amdhsa_exception_fp_ieee_inexact 0
		.amdhsa_exception_int_div_zero 0
	.end_amdhsa_kernel
	.section	.text._ZN7rocprim17ROCPRIM_400000_NS6detail17trampoline_kernelINS0_13select_configILj256ELj13ELNS0_17block_load_methodE3ELS4_3ELS4_3ELNS0_20block_scan_algorithmE0ELj4294967295EEENS1_25partition_config_selectorILNS1_17partition_subalgoE3EjNS0_10empty_typeEbEEZZNS1_14partition_implILS8_3ELb0ES6_jNS0_17counting_iteratorIjlEEPS9_SE_NS0_5tupleIJPjSE_EEENSF_IJSE_SE_EEES9_SG_JZNS1_25segmented_radix_sort_implINS0_14default_configELb1EPKbPbPKlPlN2at6native12_GLOBAL__N_18offset_tEEE10hipError_tPvRmT1_PNSt15iterator_traitsISY_E10value_typeET2_T3_PNSZ_IS14_E10value_typeET4_jRbjT5_S1A_jjP12ihipStream_tbEUljE_EEESV_SW_SX_S14_S18_S1A_T6_T7_T9_mT8_S1C_bDpT10_ENKUlT_T0_E_clISt17integral_constantIbLb1EES1P_EEDaS1K_S1L_EUlS1K_E_NS1_11comp_targetILNS1_3genE9ELNS1_11target_archE1100ELNS1_3gpuE3ELNS1_3repE0EEENS1_30default_config_static_selectorELNS0_4arch9wavefront6targetE1EEEvSY_,"axG",@progbits,_ZN7rocprim17ROCPRIM_400000_NS6detail17trampoline_kernelINS0_13select_configILj256ELj13ELNS0_17block_load_methodE3ELS4_3ELS4_3ELNS0_20block_scan_algorithmE0ELj4294967295EEENS1_25partition_config_selectorILNS1_17partition_subalgoE3EjNS0_10empty_typeEbEEZZNS1_14partition_implILS8_3ELb0ES6_jNS0_17counting_iteratorIjlEEPS9_SE_NS0_5tupleIJPjSE_EEENSF_IJSE_SE_EEES9_SG_JZNS1_25segmented_radix_sort_implINS0_14default_configELb1EPKbPbPKlPlN2at6native12_GLOBAL__N_18offset_tEEE10hipError_tPvRmT1_PNSt15iterator_traitsISY_E10value_typeET2_T3_PNSZ_IS14_E10value_typeET4_jRbjT5_S1A_jjP12ihipStream_tbEUljE_EEESV_SW_SX_S14_S18_S1A_T6_T7_T9_mT8_S1C_bDpT10_ENKUlT_T0_E_clISt17integral_constantIbLb1EES1P_EEDaS1K_S1L_EUlS1K_E_NS1_11comp_targetILNS1_3genE9ELNS1_11target_archE1100ELNS1_3gpuE3ELNS1_3repE0EEENS1_30default_config_static_selectorELNS0_4arch9wavefront6targetE1EEEvSY_,comdat
.Lfunc_end1514:
	.size	_ZN7rocprim17ROCPRIM_400000_NS6detail17trampoline_kernelINS0_13select_configILj256ELj13ELNS0_17block_load_methodE3ELS4_3ELS4_3ELNS0_20block_scan_algorithmE0ELj4294967295EEENS1_25partition_config_selectorILNS1_17partition_subalgoE3EjNS0_10empty_typeEbEEZZNS1_14partition_implILS8_3ELb0ES6_jNS0_17counting_iteratorIjlEEPS9_SE_NS0_5tupleIJPjSE_EEENSF_IJSE_SE_EEES9_SG_JZNS1_25segmented_radix_sort_implINS0_14default_configELb1EPKbPbPKlPlN2at6native12_GLOBAL__N_18offset_tEEE10hipError_tPvRmT1_PNSt15iterator_traitsISY_E10value_typeET2_T3_PNSZ_IS14_E10value_typeET4_jRbjT5_S1A_jjP12ihipStream_tbEUljE_EEESV_SW_SX_S14_S18_S1A_T6_T7_T9_mT8_S1C_bDpT10_ENKUlT_T0_E_clISt17integral_constantIbLb1EES1P_EEDaS1K_S1L_EUlS1K_E_NS1_11comp_targetILNS1_3genE9ELNS1_11target_archE1100ELNS1_3gpuE3ELNS1_3repE0EEENS1_30default_config_static_selectorELNS0_4arch9wavefront6targetE1EEEvSY_, .Lfunc_end1514-_ZN7rocprim17ROCPRIM_400000_NS6detail17trampoline_kernelINS0_13select_configILj256ELj13ELNS0_17block_load_methodE3ELS4_3ELS4_3ELNS0_20block_scan_algorithmE0ELj4294967295EEENS1_25partition_config_selectorILNS1_17partition_subalgoE3EjNS0_10empty_typeEbEEZZNS1_14partition_implILS8_3ELb0ES6_jNS0_17counting_iteratorIjlEEPS9_SE_NS0_5tupleIJPjSE_EEENSF_IJSE_SE_EEES9_SG_JZNS1_25segmented_radix_sort_implINS0_14default_configELb1EPKbPbPKlPlN2at6native12_GLOBAL__N_18offset_tEEE10hipError_tPvRmT1_PNSt15iterator_traitsISY_E10value_typeET2_T3_PNSZ_IS14_E10value_typeET4_jRbjT5_S1A_jjP12ihipStream_tbEUljE_EEESV_SW_SX_S14_S18_S1A_T6_T7_T9_mT8_S1C_bDpT10_ENKUlT_T0_E_clISt17integral_constantIbLb1EES1P_EEDaS1K_S1L_EUlS1K_E_NS1_11comp_targetILNS1_3genE9ELNS1_11target_archE1100ELNS1_3gpuE3ELNS1_3repE0EEENS1_30default_config_static_selectorELNS0_4arch9wavefront6targetE1EEEvSY_
                                        ; -- End function
	.set _ZN7rocprim17ROCPRIM_400000_NS6detail17trampoline_kernelINS0_13select_configILj256ELj13ELNS0_17block_load_methodE3ELS4_3ELS4_3ELNS0_20block_scan_algorithmE0ELj4294967295EEENS1_25partition_config_selectorILNS1_17partition_subalgoE3EjNS0_10empty_typeEbEEZZNS1_14partition_implILS8_3ELb0ES6_jNS0_17counting_iteratorIjlEEPS9_SE_NS0_5tupleIJPjSE_EEENSF_IJSE_SE_EEES9_SG_JZNS1_25segmented_radix_sort_implINS0_14default_configELb1EPKbPbPKlPlN2at6native12_GLOBAL__N_18offset_tEEE10hipError_tPvRmT1_PNSt15iterator_traitsISY_E10value_typeET2_T3_PNSZ_IS14_E10value_typeET4_jRbjT5_S1A_jjP12ihipStream_tbEUljE_EEESV_SW_SX_S14_S18_S1A_T6_T7_T9_mT8_S1C_bDpT10_ENKUlT_T0_E_clISt17integral_constantIbLb1EES1P_EEDaS1K_S1L_EUlS1K_E_NS1_11comp_targetILNS1_3genE9ELNS1_11target_archE1100ELNS1_3gpuE3ELNS1_3repE0EEENS1_30default_config_static_selectorELNS0_4arch9wavefront6targetE1EEEvSY_.num_vgpr, 0
	.set _ZN7rocprim17ROCPRIM_400000_NS6detail17trampoline_kernelINS0_13select_configILj256ELj13ELNS0_17block_load_methodE3ELS4_3ELS4_3ELNS0_20block_scan_algorithmE0ELj4294967295EEENS1_25partition_config_selectorILNS1_17partition_subalgoE3EjNS0_10empty_typeEbEEZZNS1_14partition_implILS8_3ELb0ES6_jNS0_17counting_iteratorIjlEEPS9_SE_NS0_5tupleIJPjSE_EEENSF_IJSE_SE_EEES9_SG_JZNS1_25segmented_radix_sort_implINS0_14default_configELb1EPKbPbPKlPlN2at6native12_GLOBAL__N_18offset_tEEE10hipError_tPvRmT1_PNSt15iterator_traitsISY_E10value_typeET2_T3_PNSZ_IS14_E10value_typeET4_jRbjT5_S1A_jjP12ihipStream_tbEUljE_EEESV_SW_SX_S14_S18_S1A_T6_T7_T9_mT8_S1C_bDpT10_ENKUlT_T0_E_clISt17integral_constantIbLb1EES1P_EEDaS1K_S1L_EUlS1K_E_NS1_11comp_targetILNS1_3genE9ELNS1_11target_archE1100ELNS1_3gpuE3ELNS1_3repE0EEENS1_30default_config_static_selectorELNS0_4arch9wavefront6targetE1EEEvSY_.num_agpr, 0
	.set _ZN7rocprim17ROCPRIM_400000_NS6detail17trampoline_kernelINS0_13select_configILj256ELj13ELNS0_17block_load_methodE3ELS4_3ELS4_3ELNS0_20block_scan_algorithmE0ELj4294967295EEENS1_25partition_config_selectorILNS1_17partition_subalgoE3EjNS0_10empty_typeEbEEZZNS1_14partition_implILS8_3ELb0ES6_jNS0_17counting_iteratorIjlEEPS9_SE_NS0_5tupleIJPjSE_EEENSF_IJSE_SE_EEES9_SG_JZNS1_25segmented_radix_sort_implINS0_14default_configELb1EPKbPbPKlPlN2at6native12_GLOBAL__N_18offset_tEEE10hipError_tPvRmT1_PNSt15iterator_traitsISY_E10value_typeET2_T3_PNSZ_IS14_E10value_typeET4_jRbjT5_S1A_jjP12ihipStream_tbEUljE_EEESV_SW_SX_S14_S18_S1A_T6_T7_T9_mT8_S1C_bDpT10_ENKUlT_T0_E_clISt17integral_constantIbLb1EES1P_EEDaS1K_S1L_EUlS1K_E_NS1_11comp_targetILNS1_3genE9ELNS1_11target_archE1100ELNS1_3gpuE3ELNS1_3repE0EEENS1_30default_config_static_selectorELNS0_4arch9wavefront6targetE1EEEvSY_.numbered_sgpr, 0
	.set _ZN7rocprim17ROCPRIM_400000_NS6detail17trampoline_kernelINS0_13select_configILj256ELj13ELNS0_17block_load_methodE3ELS4_3ELS4_3ELNS0_20block_scan_algorithmE0ELj4294967295EEENS1_25partition_config_selectorILNS1_17partition_subalgoE3EjNS0_10empty_typeEbEEZZNS1_14partition_implILS8_3ELb0ES6_jNS0_17counting_iteratorIjlEEPS9_SE_NS0_5tupleIJPjSE_EEENSF_IJSE_SE_EEES9_SG_JZNS1_25segmented_radix_sort_implINS0_14default_configELb1EPKbPbPKlPlN2at6native12_GLOBAL__N_18offset_tEEE10hipError_tPvRmT1_PNSt15iterator_traitsISY_E10value_typeET2_T3_PNSZ_IS14_E10value_typeET4_jRbjT5_S1A_jjP12ihipStream_tbEUljE_EEESV_SW_SX_S14_S18_S1A_T6_T7_T9_mT8_S1C_bDpT10_ENKUlT_T0_E_clISt17integral_constantIbLb1EES1P_EEDaS1K_S1L_EUlS1K_E_NS1_11comp_targetILNS1_3genE9ELNS1_11target_archE1100ELNS1_3gpuE3ELNS1_3repE0EEENS1_30default_config_static_selectorELNS0_4arch9wavefront6targetE1EEEvSY_.num_named_barrier, 0
	.set _ZN7rocprim17ROCPRIM_400000_NS6detail17trampoline_kernelINS0_13select_configILj256ELj13ELNS0_17block_load_methodE3ELS4_3ELS4_3ELNS0_20block_scan_algorithmE0ELj4294967295EEENS1_25partition_config_selectorILNS1_17partition_subalgoE3EjNS0_10empty_typeEbEEZZNS1_14partition_implILS8_3ELb0ES6_jNS0_17counting_iteratorIjlEEPS9_SE_NS0_5tupleIJPjSE_EEENSF_IJSE_SE_EEES9_SG_JZNS1_25segmented_radix_sort_implINS0_14default_configELb1EPKbPbPKlPlN2at6native12_GLOBAL__N_18offset_tEEE10hipError_tPvRmT1_PNSt15iterator_traitsISY_E10value_typeET2_T3_PNSZ_IS14_E10value_typeET4_jRbjT5_S1A_jjP12ihipStream_tbEUljE_EEESV_SW_SX_S14_S18_S1A_T6_T7_T9_mT8_S1C_bDpT10_ENKUlT_T0_E_clISt17integral_constantIbLb1EES1P_EEDaS1K_S1L_EUlS1K_E_NS1_11comp_targetILNS1_3genE9ELNS1_11target_archE1100ELNS1_3gpuE3ELNS1_3repE0EEENS1_30default_config_static_selectorELNS0_4arch9wavefront6targetE1EEEvSY_.private_seg_size, 0
	.set _ZN7rocprim17ROCPRIM_400000_NS6detail17trampoline_kernelINS0_13select_configILj256ELj13ELNS0_17block_load_methodE3ELS4_3ELS4_3ELNS0_20block_scan_algorithmE0ELj4294967295EEENS1_25partition_config_selectorILNS1_17partition_subalgoE3EjNS0_10empty_typeEbEEZZNS1_14partition_implILS8_3ELb0ES6_jNS0_17counting_iteratorIjlEEPS9_SE_NS0_5tupleIJPjSE_EEENSF_IJSE_SE_EEES9_SG_JZNS1_25segmented_radix_sort_implINS0_14default_configELb1EPKbPbPKlPlN2at6native12_GLOBAL__N_18offset_tEEE10hipError_tPvRmT1_PNSt15iterator_traitsISY_E10value_typeET2_T3_PNSZ_IS14_E10value_typeET4_jRbjT5_S1A_jjP12ihipStream_tbEUljE_EEESV_SW_SX_S14_S18_S1A_T6_T7_T9_mT8_S1C_bDpT10_ENKUlT_T0_E_clISt17integral_constantIbLb1EES1P_EEDaS1K_S1L_EUlS1K_E_NS1_11comp_targetILNS1_3genE9ELNS1_11target_archE1100ELNS1_3gpuE3ELNS1_3repE0EEENS1_30default_config_static_selectorELNS0_4arch9wavefront6targetE1EEEvSY_.uses_vcc, 0
	.set _ZN7rocprim17ROCPRIM_400000_NS6detail17trampoline_kernelINS0_13select_configILj256ELj13ELNS0_17block_load_methodE3ELS4_3ELS4_3ELNS0_20block_scan_algorithmE0ELj4294967295EEENS1_25partition_config_selectorILNS1_17partition_subalgoE3EjNS0_10empty_typeEbEEZZNS1_14partition_implILS8_3ELb0ES6_jNS0_17counting_iteratorIjlEEPS9_SE_NS0_5tupleIJPjSE_EEENSF_IJSE_SE_EEES9_SG_JZNS1_25segmented_radix_sort_implINS0_14default_configELb1EPKbPbPKlPlN2at6native12_GLOBAL__N_18offset_tEEE10hipError_tPvRmT1_PNSt15iterator_traitsISY_E10value_typeET2_T3_PNSZ_IS14_E10value_typeET4_jRbjT5_S1A_jjP12ihipStream_tbEUljE_EEESV_SW_SX_S14_S18_S1A_T6_T7_T9_mT8_S1C_bDpT10_ENKUlT_T0_E_clISt17integral_constantIbLb1EES1P_EEDaS1K_S1L_EUlS1K_E_NS1_11comp_targetILNS1_3genE9ELNS1_11target_archE1100ELNS1_3gpuE3ELNS1_3repE0EEENS1_30default_config_static_selectorELNS0_4arch9wavefront6targetE1EEEvSY_.uses_flat_scratch, 0
	.set _ZN7rocprim17ROCPRIM_400000_NS6detail17trampoline_kernelINS0_13select_configILj256ELj13ELNS0_17block_load_methodE3ELS4_3ELS4_3ELNS0_20block_scan_algorithmE0ELj4294967295EEENS1_25partition_config_selectorILNS1_17partition_subalgoE3EjNS0_10empty_typeEbEEZZNS1_14partition_implILS8_3ELb0ES6_jNS0_17counting_iteratorIjlEEPS9_SE_NS0_5tupleIJPjSE_EEENSF_IJSE_SE_EEES9_SG_JZNS1_25segmented_radix_sort_implINS0_14default_configELb1EPKbPbPKlPlN2at6native12_GLOBAL__N_18offset_tEEE10hipError_tPvRmT1_PNSt15iterator_traitsISY_E10value_typeET2_T3_PNSZ_IS14_E10value_typeET4_jRbjT5_S1A_jjP12ihipStream_tbEUljE_EEESV_SW_SX_S14_S18_S1A_T6_T7_T9_mT8_S1C_bDpT10_ENKUlT_T0_E_clISt17integral_constantIbLb1EES1P_EEDaS1K_S1L_EUlS1K_E_NS1_11comp_targetILNS1_3genE9ELNS1_11target_archE1100ELNS1_3gpuE3ELNS1_3repE0EEENS1_30default_config_static_selectorELNS0_4arch9wavefront6targetE1EEEvSY_.has_dyn_sized_stack, 0
	.set _ZN7rocprim17ROCPRIM_400000_NS6detail17trampoline_kernelINS0_13select_configILj256ELj13ELNS0_17block_load_methodE3ELS4_3ELS4_3ELNS0_20block_scan_algorithmE0ELj4294967295EEENS1_25partition_config_selectorILNS1_17partition_subalgoE3EjNS0_10empty_typeEbEEZZNS1_14partition_implILS8_3ELb0ES6_jNS0_17counting_iteratorIjlEEPS9_SE_NS0_5tupleIJPjSE_EEENSF_IJSE_SE_EEES9_SG_JZNS1_25segmented_radix_sort_implINS0_14default_configELb1EPKbPbPKlPlN2at6native12_GLOBAL__N_18offset_tEEE10hipError_tPvRmT1_PNSt15iterator_traitsISY_E10value_typeET2_T3_PNSZ_IS14_E10value_typeET4_jRbjT5_S1A_jjP12ihipStream_tbEUljE_EEESV_SW_SX_S14_S18_S1A_T6_T7_T9_mT8_S1C_bDpT10_ENKUlT_T0_E_clISt17integral_constantIbLb1EES1P_EEDaS1K_S1L_EUlS1K_E_NS1_11comp_targetILNS1_3genE9ELNS1_11target_archE1100ELNS1_3gpuE3ELNS1_3repE0EEENS1_30default_config_static_selectorELNS0_4arch9wavefront6targetE1EEEvSY_.has_recursion, 0
	.set _ZN7rocprim17ROCPRIM_400000_NS6detail17trampoline_kernelINS0_13select_configILj256ELj13ELNS0_17block_load_methodE3ELS4_3ELS4_3ELNS0_20block_scan_algorithmE0ELj4294967295EEENS1_25partition_config_selectorILNS1_17partition_subalgoE3EjNS0_10empty_typeEbEEZZNS1_14partition_implILS8_3ELb0ES6_jNS0_17counting_iteratorIjlEEPS9_SE_NS0_5tupleIJPjSE_EEENSF_IJSE_SE_EEES9_SG_JZNS1_25segmented_radix_sort_implINS0_14default_configELb1EPKbPbPKlPlN2at6native12_GLOBAL__N_18offset_tEEE10hipError_tPvRmT1_PNSt15iterator_traitsISY_E10value_typeET2_T3_PNSZ_IS14_E10value_typeET4_jRbjT5_S1A_jjP12ihipStream_tbEUljE_EEESV_SW_SX_S14_S18_S1A_T6_T7_T9_mT8_S1C_bDpT10_ENKUlT_T0_E_clISt17integral_constantIbLb1EES1P_EEDaS1K_S1L_EUlS1K_E_NS1_11comp_targetILNS1_3genE9ELNS1_11target_archE1100ELNS1_3gpuE3ELNS1_3repE0EEENS1_30default_config_static_selectorELNS0_4arch9wavefront6targetE1EEEvSY_.has_indirect_call, 0
	.section	.AMDGPU.csdata,"",@progbits
; Kernel info:
; codeLenInByte = 0
; TotalNumSgprs: 4
; NumVgprs: 0
; ScratchSize: 0
; MemoryBound: 0
; FloatMode: 240
; IeeeMode: 1
; LDSByteSize: 0 bytes/workgroup (compile time only)
; SGPRBlocks: 0
; VGPRBlocks: 0
; NumSGPRsForWavesPerEU: 4
; NumVGPRsForWavesPerEU: 1
; Occupancy: 10
; WaveLimiterHint : 0
; COMPUTE_PGM_RSRC2:SCRATCH_EN: 0
; COMPUTE_PGM_RSRC2:USER_SGPR: 6
; COMPUTE_PGM_RSRC2:TRAP_HANDLER: 0
; COMPUTE_PGM_RSRC2:TGID_X_EN: 1
; COMPUTE_PGM_RSRC2:TGID_Y_EN: 0
; COMPUTE_PGM_RSRC2:TGID_Z_EN: 0
; COMPUTE_PGM_RSRC2:TIDIG_COMP_CNT: 0
	.section	.text._ZN7rocprim17ROCPRIM_400000_NS6detail17trampoline_kernelINS0_13select_configILj256ELj13ELNS0_17block_load_methodE3ELS4_3ELS4_3ELNS0_20block_scan_algorithmE0ELj4294967295EEENS1_25partition_config_selectorILNS1_17partition_subalgoE3EjNS0_10empty_typeEbEEZZNS1_14partition_implILS8_3ELb0ES6_jNS0_17counting_iteratorIjlEEPS9_SE_NS0_5tupleIJPjSE_EEENSF_IJSE_SE_EEES9_SG_JZNS1_25segmented_radix_sort_implINS0_14default_configELb1EPKbPbPKlPlN2at6native12_GLOBAL__N_18offset_tEEE10hipError_tPvRmT1_PNSt15iterator_traitsISY_E10value_typeET2_T3_PNSZ_IS14_E10value_typeET4_jRbjT5_S1A_jjP12ihipStream_tbEUljE_EEESV_SW_SX_S14_S18_S1A_T6_T7_T9_mT8_S1C_bDpT10_ENKUlT_T0_E_clISt17integral_constantIbLb1EES1P_EEDaS1K_S1L_EUlS1K_E_NS1_11comp_targetILNS1_3genE8ELNS1_11target_archE1030ELNS1_3gpuE2ELNS1_3repE0EEENS1_30default_config_static_selectorELNS0_4arch9wavefront6targetE1EEEvSY_,"axG",@progbits,_ZN7rocprim17ROCPRIM_400000_NS6detail17trampoline_kernelINS0_13select_configILj256ELj13ELNS0_17block_load_methodE3ELS4_3ELS4_3ELNS0_20block_scan_algorithmE0ELj4294967295EEENS1_25partition_config_selectorILNS1_17partition_subalgoE3EjNS0_10empty_typeEbEEZZNS1_14partition_implILS8_3ELb0ES6_jNS0_17counting_iteratorIjlEEPS9_SE_NS0_5tupleIJPjSE_EEENSF_IJSE_SE_EEES9_SG_JZNS1_25segmented_radix_sort_implINS0_14default_configELb1EPKbPbPKlPlN2at6native12_GLOBAL__N_18offset_tEEE10hipError_tPvRmT1_PNSt15iterator_traitsISY_E10value_typeET2_T3_PNSZ_IS14_E10value_typeET4_jRbjT5_S1A_jjP12ihipStream_tbEUljE_EEESV_SW_SX_S14_S18_S1A_T6_T7_T9_mT8_S1C_bDpT10_ENKUlT_T0_E_clISt17integral_constantIbLb1EES1P_EEDaS1K_S1L_EUlS1K_E_NS1_11comp_targetILNS1_3genE8ELNS1_11target_archE1030ELNS1_3gpuE2ELNS1_3repE0EEENS1_30default_config_static_selectorELNS0_4arch9wavefront6targetE1EEEvSY_,comdat
	.globl	_ZN7rocprim17ROCPRIM_400000_NS6detail17trampoline_kernelINS0_13select_configILj256ELj13ELNS0_17block_load_methodE3ELS4_3ELS4_3ELNS0_20block_scan_algorithmE0ELj4294967295EEENS1_25partition_config_selectorILNS1_17partition_subalgoE3EjNS0_10empty_typeEbEEZZNS1_14partition_implILS8_3ELb0ES6_jNS0_17counting_iteratorIjlEEPS9_SE_NS0_5tupleIJPjSE_EEENSF_IJSE_SE_EEES9_SG_JZNS1_25segmented_radix_sort_implINS0_14default_configELb1EPKbPbPKlPlN2at6native12_GLOBAL__N_18offset_tEEE10hipError_tPvRmT1_PNSt15iterator_traitsISY_E10value_typeET2_T3_PNSZ_IS14_E10value_typeET4_jRbjT5_S1A_jjP12ihipStream_tbEUljE_EEESV_SW_SX_S14_S18_S1A_T6_T7_T9_mT8_S1C_bDpT10_ENKUlT_T0_E_clISt17integral_constantIbLb1EES1P_EEDaS1K_S1L_EUlS1K_E_NS1_11comp_targetILNS1_3genE8ELNS1_11target_archE1030ELNS1_3gpuE2ELNS1_3repE0EEENS1_30default_config_static_selectorELNS0_4arch9wavefront6targetE1EEEvSY_ ; -- Begin function _ZN7rocprim17ROCPRIM_400000_NS6detail17trampoline_kernelINS0_13select_configILj256ELj13ELNS0_17block_load_methodE3ELS4_3ELS4_3ELNS0_20block_scan_algorithmE0ELj4294967295EEENS1_25partition_config_selectorILNS1_17partition_subalgoE3EjNS0_10empty_typeEbEEZZNS1_14partition_implILS8_3ELb0ES6_jNS0_17counting_iteratorIjlEEPS9_SE_NS0_5tupleIJPjSE_EEENSF_IJSE_SE_EEES9_SG_JZNS1_25segmented_radix_sort_implINS0_14default_configELb1EPKbPbPKlPlN2at6native12_GLOBAL__N_18offset_tEEE10hipError_tPvRmT1_PNSt15iterator_traitsISY_E10value_typeET2_T3_PNSZ_IS14_E10value_typeET4_jRbjT5_S1A_jjP12ihipStream_tbEUljE_EEESV_SW_SX_S14_S18_S1A_T6_T7_T9_mT8_S1C_bDpT10_ENKUlT_T0_E_clISt17integral_constantIbLb1EES1P_EEDaS1K_S1L_EUlS1K_E_NS1_11comp_targetILNS1_3genE8ELNS1_11target_archE1030ELNS1_3gpuE2ELNS1_3repE0EEENS1_30default_config_static_selectorELNS0_4arch9wavefront6targetE1EEEvSY_
	.p2align	8
	.type	_ZN7rocprim17ROCPRIM_400000_NS6detail17trampoline_kernelINS0_13select_configILj256ELj13ELNS0_17block_load_methodE3ELS4_3ELS4_3ELNS0_20block_scan_algorithmE0ELj4294967295EEENS1_25partition_config_selectorILNS1_17partition_subalgoE3EjNS0_10empty_typeEbEEZZNS1_14partition_implILS8_3ELb0ES6_jNS0_17counting_iteratorIjlEEPS9_SE_NS0_5tupleIJPjSE_EEENSF_IJSE_SE_EEES9_SG_JZNS1_25segmented_radix_sort_implINS0_14default_configELb1EPKbPbPKlPlN2at6native12_GLOBAL__N_18offset_tEEE10hipError_tPvRmT1_PNSt15iterator_traitsISY_E10value_typeET2_T3_PNSZ_IS14_E10value_typeET4_jRbjT5_S1A_jjP12ihipStream_tbEUljE_EEESV_SW_SX_S14_S18_S1A_T6_T7_T9_mT8_S1C_bDpT10_ENKUlT_T0_E_clISt17integral_constantIbLb1EES1P_EEDaS1K_S1L_EUlS1K_E_NS1_11comp_targetILNS1_3genE8ELNS1_11target_archE1030ELNS1_3gpuE2ELNS1_3repE0EEENS1_30default_config_static_selectorELNS0_4arch9wavefront6targetE1EEEvSY_,@function
_ZN7rocprim17ROCPRIM_400000_NS6detail17trampoline_kernelINS0_13select_configILj256ELj13ELNS0_17block_load_methodE3ELS4_3ELS4_3ELNS0_20block_scan_algorithmE0ELj4294967295EEENS1_25partition_config_selectorILNS1_17partition_subalgoE3EjNS0_10empty_typeEbEEZZNS1_14partition_implILS8_3ELb0ES6_jNS0_17counting_iteratorIjlEEPS9_SE_NS0_5tupleIJPjSE_EEENSF_IJSE_SE_EEES9_SG_JZNS1_25segmented_radix_sort_implINS0_14default_configELb1EPKbPbPKlPlN2at6native12_GLOBAL__N_18offset_tEEE10hipError_tPvRmT1_PNSt15iterator_traitsISY_E10value_typeET2_T3_PNSZ_IS14_E10value_typeET4_jRbjT5_S1A_jjP12ihipStream_tbEUljE_EEESV_SW_SX_S14_S18_S1A_T6_T7_T9_mT8_S1C_bDpT10_ENKUlT_T0_E_clISt17integral_constantIbLb1EES1P_EEDaS1K_S1L_EUlS1K_E_NS1_11comp_targetILNS1_3genE8ELNS1_11target_archE1030ELNS1_3gpuE2ELNS1_3repE0EEENS1_30default_config_static_selectorELNS0_4arch9wavefront6targetE1EEEvSY_: ; @_ZN7rocprim17ROCPRIM_400000_NS6detail17trampoline_kernelINS0_13select_configILj256ELj13ELNS0_17block_load_methodE3ELS4_3ELS4_3ELNS0_20block_scan_algorithmE0ELj4294967295EEENS1_25partition_config_selectorILNS1_17partition_subalgoE3EjNS0_10empty_typeEbEEZZNS1_14partition_implILS8_3ELb0ES6_jNS0_17counting_iteratorIjlEEPS9_SE_NS0_5tupleIJPjSE_EEENSF_IJSE_SE_EEES9_SG_JZNS1_25segmented_radix_sort_implINS0_14default_configELb1EPKbPbPKlPlN2at6native12_GLOBAL__N_18offset_tEEE10hipError_tPvRmT1_PNSt15iterator_traitsISY_E10value_typeET2_T3_PNSZ_IS14_E10value_typeET4_jRbjT5_S1A_jjP12ihipStream_tbEUljE_EEESV_SW_SX_S14_S18_S1A_T6_T7_T9_mT8_S1C_bDpT10_ENKUlT_T0_E_clISt17integral_constantIbLb1EES1P_EEDaS1K_S1L_EUlS1K_E_NS1_11comp_targetILNS1_3genE8ELNS1_11target_archE1030ELNS1_3gpuE2ELNS1_3repE0EEENS1_30default_config_static_selectorELNS0_4arch9wavefront6targetE1EEEvSY_
; %bb.0:
	.section	.rodata,"a",@progbits
	.p2align	6, 0x0
	.amdhsa_kernel _ZN7rocprim17ROCPRIM_400000_NS6detail17trampoline_kernelINS0_13select_configILj256ELj13ELNS0_17block_load_methodE3ELS4_3ELS4_3ELNS0_20block_scan_algorithmE0ELj4294967295EEENS1_25partition_config_selectorILNS1_17partition_subalgoE3EjNS0_10empty_typeEbEEZZNS1_14partition_implILS8_3ELb0ES6_jNS0_17counting_iteratorIjlEEPS9_SE_NS0_5tupleIJPjSE_EEENSF_IJSE_SE_EEES9_SG_JZNS1_25segmented_radix_sort_implINS0_14default_configELb1EPKbPbPKlPlN2at6native12_GLOBAL__N_18offset_tEEE10hipError_tPvRmT1_PNSt15iterator_traitsISY_E10value_typeET2_T3_PNSZ_IS14_E10value_typeET4_jRbjT5_S1A_jjP12ihipStream_tbEUljE_EEESV_SW_SX_S14_S18_S1A_T6_T7_T9_mT8_S1C_bDpT10_ENKUlT_T0_E_clISt17integral_constantIbLb1EES1P_EEDaS1K_S1L_EUlS1K_E_NS1_11comp_targetILNS1_3genE8ELNS1_11target_archE1030ELNS1_3gpuE2ELNS1_3repE0EEENS1_30default_config_static_selectorELNS0_4arch9wavefront6targetE1EEEvSY_
		.amdhsa_group_segment_fixed_size 0
		.amdhsa_private_segment_fixed_size 0
		.amdhsa_kernarg_size 152
		.amdhsa_user_sgpr_count 6
		.amdhsa_user_sgpr_private_segment_buffer 1
		.amdhsa_user_sgpr_dispatch_ptr 0
		.amdhsa_user_sgpr_queue_ptr 0
		.amdhsa_user_sgpr_kernarg_segment_ptr 1
		.amdhsa_user_sgpr_dispatch_id 0
		.amdhsa_user_sgpr_flat_scratch_init 0
		.amdhsa_user_sgpr_private_segment_size 0
		.amdhsa_uses_dynamic_stack 0
		.amdhsa_system_sgpr_private_segment_wavefront_offset 0
		.amdhsa_system_sgpr_workgroup_id_x 1
		.amdhsa_system_sgpr_workgroup_id_y 0
		.amdhsa_system_sgpr_workgroup_id_z 0
		.amdhsa_system_sgpr_workgroup_info 0
		.amdhsa_system_vgpr_workitem_id 0
		.amdhsa_next_free_vgpr 1
		.amdhsa_next_free_sgpr 0
		.amdhsa_reserve_vcc 0
		.amdhsa_reserve_flat_scratch 0
		.amdhsa_float_round_mode_32 0
		.amdhsa_float_round_mode_16_64 0
		.amdhsa_float_denorm_mode_32 3
		.amdhsa_float_denorm_mode_16_64 3
		.amdhsa_dx10_clamp 1
		.amdhsa_ieee_mode 1
		.amdhsa_fp16_overflow 0
		.amdhsa_exception_fp_ieee_invalid_op 0
		.amdhsa_exception_fp_denorm_src 0
		.amdhsa_exception_fp_ieee_div_zero 0
		.amdhsa_exception_fp_ieee_overflow 0
		.amdhsa_exception_fp_ieee_underflow 0
		.amdhsa_exception_fp_ieee_inexact 0
		.amdhsa_exception_int_div_zero 0
	.end_amdhsa_kernel
	.section	.text._ZN7rocprim17ROCPRIM_400000_NS6detail17trampoline_kernelINS0_13select_configILj256ELj13ELNS0_17block_load_methodE3ELS4_3ELS4_3ELNS0_20block_scan_algorithmE0ELj4294967295EEENS1_25partition_config_selectorILNS1_17partition_subalgoE3EjNS0_10empty_typeEbEEZZNS1_14partition_implILS8_3ELb0ES6_jNS0_17counting_iteratorIjlEEPS9_SE_NS0_5tupleIJPjSE_EEENSF_IJSE_SE_EEES9_SG_JZNS1_25segmented_radix_sort_implINS0_14default_configELb1EPKbPbPKlPlN2at6native12_GLOBAL__N_18offset_tEEE10hipError_tPvRmT1_PNSt15iterator_traitsISY_E10value_typeET2_T3_PNSZ_IS14_E10value_typeET4_jRbjT5_S1A_jjP12ihipStream_tbEUljE_EEESV_SW_SX_S14_S18_S1A_T6_T7_T9_mT8_S1C_bDpT10_ENKUlT_T0_E_clISt17integral_constantIbLb1EES1P_EEDaS1K_S1L_EUlS1K_E_NS1_11comp_targetILNS1_3genE8ELNS1_11target_archE1030ELNS1_3gpuE2ELNS1_3repE0EEENS1_30default_config_static_selectorELNS0_4arch9wavefront6targetE1EEEvSY_,"axG",@progbits,_ZN7rocprim17ROCPRIM_400000_NS6detail17trampoline_kernelINS0_13select_configILj256ELj13ELNS0_17block_load_methodE3ELS4_3ELS4_3ELNS0_20block_scan_algorithmE0ELj4294967295EEENS1_25partition_config_selectorILNS1_17partition_subalgoE3EjNS0_10empty_typeEbEEZZNS1_14partition_implILS8_3ELb0ES6_jNS0_17counting_iteratorIjlEEPS9_SE_NS0_5tupleIJPjSE_EEENSF_IJSE_SE_EEES9_SG_JZNS1_25segmented_radix_sort_implINS0_14default_configELb1EPKbPbPKlPlN2at6native12_GLOBAL__N_18offset_tEEE10hipError_tPvRmT1_PNSt15iterator_traitsISY_E10value_typeET2_T3_PNSZ_IS14_E10value_typeET4_jRbjT5_S1A_jjP12ihipStream_tbEUljE_EEESV_SW_SX_S14_S18_S1A_T6_T7_T9_mT8_S1C_bDpT10_ENKUlT_T0_E_clISt17integral_constantIbLb1EES1P_EEDaS1K_S1L_EUlS1K_E_NS1_11comp_targetILNS1_3genE8ELNS1_11target_archE1030ELNS1_3gpuE2ELNS1_3repE0EEENS1_30default_config_static_selectorELNS0_4arch9wavefront6targetE1EEEvSY_,comdat
.Lfunc_end1515:
	.size	_ZN7rocprim17ROCPRIM_400000_NS6detail17trampoline_kernelINS0_13select_configILj256ELj13ELNS0_17block_load_methodE3ELS4_3ELS4_3ELNS0_20block_scan_algorithmE0ELj4294967295EEENS1_25partition_config_selectorILNS1_17partition_subalgoE3EjNS0_10empty_typeEbEEZZNS1_14partition_implILS8_3ELb0ES6_jNS0_17counting_iteratorIjlEEPS9_SE_NS0_5tupleIJPjSE_EEENSF_IJSE_SE_EEES9_SG_JZNS1_25segmented_radix_sort_implINS0_14default_configELb1EPKbPbPKlPlN2at6native12_GLOBAL__N_18offset_tEEE10hipError_tPvRmT1_PNSt15iterator_traitsISY_E10value_typeET2_T3_PNSZ_IS14_E10value_typeET4_jRbjT5_S1A_jjP12ihipStream_tbEUljE_EEESV_SW_SX_S14_S18_S1A_T6_T7_T9_mT8_S1C_bDpT10_ENKUlT_T0_E_clISt17integral_constantIbLb1EES1P_EEDaS1K_S1L_EUlS1K_E_NS1_11comp_targetILNS1_3genE8ELNS1_11target_archE1030ELNS1_3gpuE2ELNS1_3repE0EEENS1_30default_config_static_selectorELNS0_4arch9wavefront6targetE1EEEvSY_, .Lfunc_end1515-_ZN7rocprim17ROCPRIM_400000_NS6detail17trampoline_kernelINS0_13select_configILj256ELj13ELNS0_17block_load_methodE3ELS4_3ELS4_3ELNS0_20block_scan_algorithmE0ELj4294967295EEENS1_25partition_config_selectorILNS1_17partition_subalgoE3EjNS0_10empty_typeEbEEZZNS1_14partition_implILS8_3ELb0ES6_jNS0_17counting_iteratorIjlEEPS9_SE_NS0_5tupleIJPjSE_EEENSF_IJSE_SE_EEES9_SG_JZNS1_25segmented_radix_sort_implINS0_14default_configELb1EPKbPbPKlPlN2at6native12_GLOBAL__N_18offset_tEEE10hipError_tPvRmT1_PNSt15iterator_traitsISY_E10value_typeET2_T3_PNSZ_IS14_E10value_typeET4_jRbjT5_S1A_jjP12ihipStream_tbEUljE_EEESV_SW_SX_S14_S18_S1A_T6_T7_T9_mT8_S1C_bDpT10_ENKUlT_T0_E_clISt17integral_constantIbLb1EES1P_EEDaS1K_S1L_EUlS1K_E_NS1_11comp_targetILNS1_3genE8ELNS1_11target_archE1030ELNS1_3gpuE2ELNS1_3repE0EEENS1_30default_config_static_selectorELNS0_4arch9wavefront6targetE1EEEvSY_
                                        ; -- End function
	.set _ZN7rocprim17ROCPRIM_400000_NS6detail17trampoline_kernelINS0_13select_configILj256ELj13ELNS0_17block_load_methodE3ELS4_3ELS4_3ELNS0_20block_scan_algorithmE0ELj4294967295EEENS1_25partition_config_selectorILNS1_17partition_subalgoE3EjNS0_10empty_typeEbEEZZNS1_14partition_implILS8_3ELb0ES6_jNS0_17counting_iteratorIjlEEPS9_SE_NS0_5tupleIJPjSE_EEENSF_IJSE_SE_EEES9_SG_JZNS1_25segmented_radix_sort_implINS0_14default_configELb1EPKbPbPKlPlN2at6native12_GLOBAL__N_18offset_tEEE10hipError_tPvRmT1_PNSt15iterator_traitsISY_E10value_typeET2_T3_PNSZ_IS14_E10value_typeET4_jRbjT5_S1A_jjP12ihipStream_tbEUljE_EEESV_SW_SX_S14_S18_S1A_T6_T7_T9_mT8_S1C_bDpT10_ENKUlT_T0_E_clISt17integral_constantIbLb1EES1P_EEDaS1K_S1L_EUlS1K_E_NS1_11comp_targetILNS1_3genE8ELNS1_11target_archE1030ELNS1_3gpuE2ELNS1_3repE0EEENS1_30default_config_static_selectorELNS0_4arch9wavefront6targetE1EEEvSY_.num_vgpr, 0
	.set _ZN7rocprim17ROCPRIM_400000_NS6detail17trampoline_kernelINS0_13select_configILj256ELj13ELNS0_17block_load_methodE3ELS4_3ELS4_3ELNS0_20block_scan_algorithmE0ELj4294967295EEENS1_25partition_config_selectorILNS1_17partition_subalgoE3EjNS0_10empty_typeEbEEZZNS1_14partition_implILS8_3ELb0ES6_jNS0_17counting_iteratorIjlEEPS9_SE_NS0_5tupleIJPjSE_EEENSF_IJSE_SE_EEES9_SG_JZNS1_25segmented_radix_sort_implINS0_14default_configELb1EPKbPbPKlPlN2at6native12_GLOBAL__N_18offset_tEEE10hipError_tPvRmT1_PNSt15iterator_traitsISY_E10value_typeET2_T3_PNSZ_IS14_E10value_typeET4_jRbjT5_S1A_jjP12ihipStream_tbEUljE_EEESV_SW_SX_S14_S18_S1A_T6_T7_T9_mT8_S1C_bDpT10_ENKUlT_T0_E_clISt17integral_constantIbLb1EES1P_EEDaS1K_S1L_EUlS1K_E_NS1_11comp_targetILNS1_3genE8ELNS1_11target_archE1030ELNS1_3gpuE2ELNS1_3repE0EEENS1_30default_config_static_selectorELNS0_4arch9wavefront6targetE1EEEvSY_.num_agpr, 0
	.set _ZN7rocprim17ROCPRIM_400000_NS6detail17trampoline_kernelINS0_13select_configILj256ELj13ELNS0_17block_load_methodE3ELS4_3ELS4_3ELNS0_20block_scan_algorithmE0ELj4294967295EEENS1_25partition_config_selectorILNS1_17partition_subalgoE3EjNS0_10empty_typeEbEEZZNS1_14partition_implILS8_3ELb0ES6_jNS0_17counting_iteratorIjlEEPS9_SE_NS0_5tupleIJPjSE_EEENSF_IJSE_SE_EEES9_SG_JZNS1_25segmented_radix_sort_implINS0_14default_configELb1EPKbPbPKlPlN2at6native12_GLOBAL__N_18offset_tEEE10hipError_tPvRmT1_PNSt15iterator_traitsISY_E10value_typeET2_T3_PNSZ_IS14_E10value_typeET4_jRbjT5_S1A_jjP12ihipStream_tbEUljE_EEESV_SW_SX_S14_S18_S1A_T6_T7_T9_mT8_S1C_bDpT10_ENKUlT_T0_E_clISt17integral_constantIbLb1EES1P_EEDaS1K_S1L_EUlS1K_E_NS1_11comp_targetILNS1_3genE8ELNS1_11target_archE1030ELNS1_3gpuE2ELNS1_3repE0EEENS1_30default_config_static_selectorELNS0_4arch9wavefront6targetE1EEEvSY_.numbered_sgpr, 0
	.set _ZN7rocprim17ROCPRIM_400000_NS6detail17trampoline_kernelINS0_13select_configILj256ELj13ELNS0_17block_load_methodE3ELS4_3ELS4_3ELNS0_20block_scan_algorithmE0ELj4294967295EEENS1_25partition_config_selectorILNS1_17partition_subalgoE3EjNS0_10empty_typeEbEEZZNS1_14partition_implILS8_3ELb0ES6_jNS0_17counting_iteratorIjlEEPS9_SE_NS0_5tupleIJPjSE_EEENSF_IJSE_SE_EEES9_SG_JZNS1_25segmented_radix_sort_implINS0_14default_configELb1EPKbPbPKlPlN2at6native12_GLOBAL__N_18offset_tEEE10hipError_tPvRmT1_PNSt15iterator_traitsISY_E10value_typeET2_T3_PNSZ_IS14_E10value_typeET4_jRbjT5_S1A_jjP12ihipStream_tbEUljE_EEESV_SW_SX_S14_S18_S1A_T6_T7_T9_mT8_S1C_bDpT10_ENKUlT_T0_E_clISt17integral_constantIbLb1EES1P_EEDaS1K_S1L_EUlS1K_E_NS1_11comp_targetILNS1_3genE8ELNS1_11target_archE1030ELNS1_3gpuE2ELNS1_3repE0EEENS1_30default_config_static_selectorELNS0_4arch9wavefront6targetE1EEEvSY_.num_named_barrier, 0
	.set _ZN7rocprim17ROCPRIM_400000_NS6detail17trampoline_kernelINS0_13select_configILj256ELj13ELNS0_17block_load_methodE3ELS4_3ELS4_3ELNS0_20block_scan_algorithmE0ELj4294967295EEENS1_25partition_config_selectorILNS1_17partition_subalgoE3EjNS0_10empty_typeEbEEZZNS1_14partition_implILS8_3ELb0ES6_jNS0_17counting_iteratorIjlEEPS9_SE_NS0_5tupleIJPjSE_EEENSF_IJSE_SE_EEES9_SG_JZNS1_25segmented_radix_sort_implINS0_14default_configELb1EPKbPbPKlPlN2at6native12_GLOBAL__N_18offset_tEEE10hipError_tPvRmT1_PNSt15iterator_traitsISY_E10value_typeET2_T3_PNSZ_IS14_E10value_typeET4_jRbjT5_S1A_jjP12ihipStream_tbEUljE_EEESV_SW_SX_S14_S18_S1A_T6_T7_T9_mT8_S1C_bDpT10_ENKUlT_T0_E_clISt17integral_constantIbLb1EES1P_EEDaS1K_S1L_EUlS1K_E_NS1_11comp_targetILNS1_3genE8ELNS1_11target_archE1030ELNS1_3gpuE2ELNS1_3repE0EEENS1_30default_config_static_selectorELNS0_4arch9wavefront6targetE1EEEvSY_.private_seg_size, 0
	.set _ZN7rocprim17ROCPRIM_400000_NS6detail17trampoline_kernelINS0_13select_configILj256ELj13ELNS0_17block_load_methodE3ELS4_3ELS4_3ELNS0_20block_scan_algorithmE0ELj4294967295EEENS1_25partition_config_selectorILNS1_17partition_subalgoE3EjNS0_10empty_typeEbEEZZNS1_14partition_implILS8_3ELb0ES6_jNS0_17counting_iteratorIjlEEPS9_SE_NS0_5tupleIJPjSE_EEENSF_IJSE_SE_EEES9_SG_JZNS1_25segmented_radix_sort_implINS0_14default_configELb1EPKbPbPKlPlN2at6native12_GLOBAL__N_18offset_tEEE10hipError_tPvRmT1_PNSt15iterator_traitsISY_E10value_typeET2_T3_PNSZ_IS14_E10value_typeET4_jRbjT5_S1A_jjP12ihipStream_tbEUljE_EEESV_SW_SX_S14_S18_S1A_T6_T7_T9_mT8_S1C_bDpT10_ENKUlT_T0_E_clISt17integral_constantIbLb1EES1P_EEDaS1K_S1L_EUlS1K_E_NS1_11comp_targetILNS1_3genE8ELNS1_11target_archE1030ELNS1_3gpuE2ELNS1_3repE0EEENS1_30default_config_static_selectorELNS0_4arch9wavefront6targetE1EEEvSY_.uses_vcc, 0
	.set _ZN7rocprim17ROCPRIM_400000_NS6detail17trampoline_kernelINS0_13select_configILj256ELj13ELNS0_17block_load_methodE3ELS4_3ELS4_3ELNS0_20block_scan_algorithmE0ELj4294967295EEENS1_25partition_config_selectorILNS1_17partition_subalgoE3EjNS0_10empty_typeEbEEZZNS1_14partition_implILS8_3ELb0ES6_jNS0_17counting_iteratorIjlEEPS9_SE_NS0_5tupleIJPjSE_EEENSF_IJSE_SE_EEES9_SG_JZNS1_25segmented_radix_sort_implINS0_14default_configELb1EPKbPbPKlPlN2at6native12_GLOBAL__N_18offset_tEEE10hipError_tPvRmT1_PNSt15iterator_traitsISY_E10value_typeET2_T3_PNSZ_IS14_E10value_typeET4_jRbjT5_S1A_jjP12ihipStream_tbEUljE_EEESV_SW_SX_S14_S18_S1A_T6_T7_T9_mT8_S1C_bDpT10_ENKUlT_T0_E_clISt17integral_constantIbLb1EES1P_EEDaS1K_S1L_EUlS1K_E_NS1_11comp_targetILNS1_3genE8ELNS1_11target_archE1030ELNS1_3gpuE2ELNS1_3repE0EEENS1_30default_config_static_selectorELNS0_4arch9wavefront6targetE1EEEvSY_.uses_flat_scratch, 0
	.set _ZN7rocprim17ROCPRIM_400000_NS6detail17trampoline_kernelINS0_13select_configILj256ELj13ELNS0_17block_load_methodE3ELS4_3ELS4_3ELNS0_20block_scan_algorithmE0ELj4294967295EEENS1_25partition_config_selectorILNS1_17partition_subalgoE3EjNS0_10empty_typeEbEEZZNS1_14partition_implILS8_3ELb0ES6_jNS0_17counting_iteratorIjlEEPS9_SE_NS0_5tupleIJPjSE_EEENSF_IJSE_SE_EEES9_SG_JZNS1_25segmented_radix_sort_implINS0_14default_configELb1EPKbPbPKlPlN2at6native12_GLOBAL__N_18offset_tEEE10hipError_tPvRmT1_PNSt15iterator_traitsISY_E10value_typeET2_T3_PNSZ_IS14_E10value_typeET4_jRbjT5_S1A_jjP12ihipStream_tbEUljE_EEESV_SW_SX_S14_S18_S1A_T6_T7_T9_mT8_S1C_bDpT10_ENKUlT_T0_E_clISt17integral_constantIbLb1EES1P_EEDaS1K_S1L_EUlS1K_E_NS1_11comp_targetILNS1_3genE8ELNS1_11target_archE1030ELNS1_3gpuE2ELNS1_3repE0EEENS1_30default_config_static_selectorELNS0_4arch9wavefront6targetE1EEEvSY_.has_dyn_sized_stack, 0
	.set _ZN7rocprim17ROCPRIM_400000_NS6detail17trampoline_kernelINS0_13select_configILj256ELj13ELNS0_17block_load_methodE3ELS4_3ELS4_3ELNS0_20block_scan_algorithmE0ELj4294967295EEENS1_25partition_config_selectorILNS1_17partition_subalgoE3EjNS0_10empty_typeEbEEZZNS1_14partition_implILS8_3ELb0ES6_jNS0_17counting_iteratorIjlEEPS9_SE_NS0_5tupleIJPjSE_EEENSF_IJSE_SE_EEES9_SG_JZNS1_25segmented_radix_sort_implINS0_14default_configELb1EPKbPbPKlPlN2at6native12_GLOBAL__N_18offset_tEEE10hipError_tPvRmT1_PNSt15iterator_traitsISY_E10value_typeET2_T3_PNSZ_IS14_E10value_typeET4_jRbjT5_S1A_jjP12ihipStream_tbEUljE_EEESV_SW_SX_S14_S18_S1A_T6_T7_T9_mT8_S1C_bDpT10_ENKUlT_T0_E_clISt17integral_constantIbLb1EES1P_EEDaS1K_S1L_EUlS1K_E_NS1_11comp_targetILNS1_3genE8ELNS1_11target_archE1030ELNS1_3gpuE2ELNS1_3repE0EEENS1_30default_config_static_selectorELNS0_4arch9wavefront6targetE1EEEvSY_.has_recursion, 0
	.set _ZN7rocprim17ROCPRIM_400000_NS6detail17trampoline_kernelINS0_13select_configILj256ELj13ELNS0_17block_load_methodE3ELS4_3ELS4_3ELNS0_20block_scan_algorithmE0ELj4294967295EEENS1_25partition_config_selectorILNS1_17partition_subalgoE3EjNS0_10empty_typeEbEEZZNS1_14partition_implILS8_3ELb0ES6_jNS0_17counting_iteratorIjlEEPS9_SE_NS0_5tupleIJPjSE_EEENSF_IJSE_SE_EEES9_SG_JZNS1_25segmented_radix_sort_implINS0_14default_configELb1EPKbPbPKlPlN2at6native12_GLOBAL__N_18offset_tEEE10hipError_tPvRmT1_PNSt15iterator_traitsISY_E10value_typeET2_T3_PNSZ_IS14_E10value_typeET4_jRbjT5_S1A_jjP12ihipStream_tbEUljE_EEESV_SW_SX_S14_S18_S1A_T6_T7_T9_mT8_S1C_bDpT10_ENKUlT_T0_E_clISt17integral_constantIbLb1EES1P_EEDaS1K_S1L_EUlS1K_E_NS1_11comp_targetILNS1_3genE8ELNS1_11target_archE1030ELNS1_3gpuE2ELNS1_3repE0EEENS1_30default_config_static_selectorELNS0_4arch9wavefront6targetE1EEEvSY_.has_indirect_call, 0
	.section	.AMDGPU.csdata,"",@progbits
; Kernel info:
; codeLenInByte = 0
; TotalNumSgprs: 4
; NumVgprs: 0
; ScratchSize: 0
; MemoryBound: 0
; FloatMode: 240
; IeeeMode: 1
; LDSByteSize: 0 bytes/workgroup (compile time only)
; SGPRBlocks: 0
; VGPRBlocks: 0
; NumSGPRsForWavesPerEU: 4
; NumVGPRsForWavesPerEU: 1
; Occupancy: 10
; WaveLimiterHint : 0
; COMPUTE_PGM_RSRC2:SCRATCH_EN: 0
; COMPUTE_PGM_RSRC2:USER_SGPR: 6
; COMPUTE_PGM_RSRC2:TRAP_HANDLER: 0
; COMPUTE_PGM_RSRC2:TGID_X_EN: 1
; COMPUTE_PGM_RSRC2:TGID_Y_EN: 0
; COMPUTE_PGM_RSRC2:TGID_Z_EN: 0
; COMPUTE_PGM_RSRC2:TIDIG_COMP_CNT: 0
	.section	.text._ZN7rocprim17ROCPRIM_400000_NS6detail17trampoline_kernelINS0_13select_configILj256ELj13ELNS0_17block_load_methodE3ELS4_3ELS4_3ELNS0_20block_scan_algorithmE0ELj4294967295EEENS1_25partition_config_selectorILNS1_17partition_subalgoE3EjNS0_10empty_typeEbEEZZNS1_14partition_implILS8_3ELb0ES6_jNS0_17counting_iteratorIjlEEPS9_SE_NS0_5tupleIJPjSE_EEENSF_IJSE_SE_EEES9_SG_JZNS1_25segmented_radix_sort_implINS0_14default_configELb1EPKbPbPKlPlN2at6native12_GLOBAL__N_18offset_tEEE10hipError_tPvRmT1_PNSt15iterator_traitsISY_E10value_typeET2_T3_PNSZ_IS14_E10value_typeET4_jRbjT5_S1A_jjP12ihipStream_tbEUljE_EEESV_SW_SX_S14_S18_S1A_T6_T7_T9_mT8_S1C_bDpT10_ENKUlT_T0_E_clISt17integral_constantIbLb1EES1O_IbLb0EEEEDaS1K_S1L_EUlS1K_E_NS1_11comp_targetILNS1_3genE0ELNS1_11target_archE4294967295ELNS1_3gpuE0ELNS1_3repE0EEENS1_30default_config_static_selectorELNS0_4arch9wavefront6targetE1EEEvSY_,"axG",@progbits,_ZN7rocprim17ROCPRIM_400000_NS6detail17trampoline_kernelINS0_13select_configILj256ELj13ELNS0_17block_load_methodE3ELS4_3ELS4_3ELNS0_20block_scan_algorithmE0ELj4294967295EEENS1_25partition_config_selectorILNS1_17partition_subalgoE3EjNS0_10empty_typeEbEEZZNS1_14partition_implILS8_3ELb0ES6_jNS0_17counting_iteratorIjlEEPS9_SE_NS0_5tupleIJPjSE_EEENSF_IJSE_SE_EEES9_SG_JZNS1_25segmented_radix_sort_implINS0_14default_configELb1EPKbPbPKlPlN2at6native12_GLOBAL__N_18offset_tEEE10hipError_tPvRmT1_PNSt15iterator_traitsISY_E10value_typeET2_T3_PNSZ_IS14_E10value_typeET4_jRbjT5_S1A_jjP12ihipStream_tbEUljE_EEESV_SW_SX_S14_S18_S1A_T6_T7_T9_mT8_S1C_bDpT10_ENKUlT_T0_E_clISt17integral_constantIbLb1EES1O_IbLb0EEEEDaS1K_S1L_EUlS1K_E_NS1_11comp_targetILNS1_3genE0ELNS1_11target_archE4294967295ELNS1_3gpuE0ELNS1_3repE0EEENS1_30default_config_static_selectorELNS0_4arch9wavefront6targetE1EEEvSY_,comdat
	.globl	_ZN7rocprim17ROCPRIM_400000_NS6detail17trampoline_kernelINS0_13select_configILj256ELj13ELNS0_17block_load_methodE3ELS4_3ELS4_3ELNS0_20block_scan_algorithmE0ELj4294967295EEENS1_25partition_config_selectorILNS1_17partition_subalgoE3EjNS0_10empty_typeEbEEZZNS1_14partition_implILS8_3ELb0ES6_jNS0_17counting_iteratorIjlEEPS9_SE_NS0_5tupleIJPjSE_EEENSF_IJSE_SE_EEES9_SG_JZNS1_25segmented_radix_sort_implINS0_14default_configELb1EPKbPbPKlPlN2at6native12_GLOBAL__N_18offset_tEEE10hipError_tPvRmT1_PNSt15iterator_traitsISY_E10value_typeET2_T3_PNSZ_IS14_E10value_typeET4_jRbjT5_S1A_jjP12ihipStream_tbEUljE_EEESV_SW_SX_S14_S18_S1A_T6_T7_T9_mT8_S1C_bDpT10_ENKUlT_T0_E_clISt17integral_constantIbLb1EES1O_IbLb0EEEEDaS1K_S1L_EUlS1K_E_NS1_11comp_targetILNS1_3genE0ELNS1_11target_archE4294967295ELNS1_3gpuE0ELNS1_3repE0EEENS1_30default_config_static_selectorELNS0_4arch9wavefront6targetE1EEEvSY_ ; -- Begin function _ZN7rocprim17ROCPRIM_400000_NS6detail17trampoline_kernelINS0_13select_configILj256ELj13ELNS0_17block_load_methodE3ELS4_3ELS4_3ELNS0_20block_scan_algorithmE0ELj4294967295EEENS1_25partition_config_selectorILNS1_17partition_subalgoE3EjNS0_10empty_typeEbEEZZNS1_14partition_implILS8_3ELb0ES6_jNS0_17counting_iteratorIjlEEPS9_SE_NS0_5tupleIJPjSE_EEENSF_IJSE_SE_EEES9_SG_JZNS1_25segmented_radix_sort_implINS0_14default_configELb1EPKbPbPKlPlN2at6native12_GLOBAL__N_18offset_tEEE10hipError_tPvRmT1_PNSt15iterator_traitsISY_E10value_typeET2_T3_PNSZ_IS14_E10value_typeET4_jRbjT5_S1A_jjP12ihipStream_tbEUljE_EEESV_SW_SX_S14_S18_S1A_T6_T7_T9_mT8_S1C_bDpT10_ENKUlT_T0_E_clISt17integral_constantIbLb1EES1O_IbLb0EEEEDaS1K_S1L_EUlS1K_E_NS1_11comp_targetILNS1_3genE0ELNS1_11target_archE4294967295ELNS1_3gpuE0ELNS1_3repE0EEENS1_30default_config_static_selectorELNS0_4arch9wavefront6targetE1EEEvSY_
	.p2align	8
	.type	_ZN7rocprim17ROCPRIM_400000_NS6detail17trampoline_kernelINS0_13select_configILj256ELj13ELNS0_17block_load_methodE3ELS4_3ELS4_3ELNS0_20block_scan_algorithmE0ELj4294967295EEENS1_25partition_config_selectorILNS1_17partition_subalgoE3EjNS0_10empty_typeEbEEZZNS1_14partition_implILS8_3ELb0ES6_jNS0_17counting_iteratorIjlEEPS9_SE_NS0_5tupleIJPjSE_EEENSF_IJSE_SE_EEES9_SG_JZNS1_25segmented_radix_sort_implINS0_14default_configELb1EPKbPbPKlPlN2at6native12_GLOBAL__N_18offset_tEEE10hipError_tPvRmT1_PNSt15iterator_traitsISY_E10value_typeET2_T3_PNSZ_IS14_E10value_typeET4_jRbjT5_S1A_jjP12ihipStream_tbEUljE_EEESV_SW_SX_S14_S18_S1A_T6_T7_T9_mT8_S1C_bDpT10_ENKUlT_T0_E_clISt17integral_constantIbLb1EES1O_IbLb0EEEEDaS1K_S1L_EUlS1K_E_NS1_11comp_targetILNS1_3genE0ELNS1_11target_archE4294967295ELNS1_3gpuE0ELNS1_3repE0EEENS1_30default_config_static_selectorELNS0_4arch9wavefront6targetE1EEEvSY_,@function
_ZN7rocprim17ROCPRIM_400000_NS6detail17trampoline_kernelINS0_13select_configILj256ELj13ELNS0_17block_load_methodE3ELS4_3ELS4_3ELNS0_20block_scan_algorithmE0ELj4294967295EEENS1_25partition_config_selectorILNS1_17partition_subalgoE3EjNS0_10empty_typeEbEEZZNS1_14partition_implILS8_3ELb0ES6_jNS0_17counting_iteratorIjlEEPS9_SE_NS0_5tupleIJPjSE_EEENSF_IJSE_SE_EEES9_SG_JZNS1_25segmented_radix_sort_implINS0_14default_configELb1EPKbPbPKlPlN2at6native12_GLOBAL__N_18offset_tEEE10hipError_tPvRmT1_PNSt15iterator_traitsISY_E10value_typeET2_T3_PNSZ_IS14_E10value_typeET4_jRbjT5_S1A_jjP12ihipStream_tbEUljE_EEESV_SW_SX_S14_S18_S1A_T6_T7_T9_mT8_S1C_bDpT10_ENKUlT_T0_E_clISt17integral_constantIbLb1EES1O_IbLb0EEEEDaS1K_S1L_EUlS1K_E_NS1_11comp_targetILNS1_3genE0ELNS1_11target_archE4294967295ELNS1_3gpuE0ELNS1_3repE0EEENS1_30default_config_static_selectorELNS0_4arch9wavefront6targetE1EEEvSY_: ; @_ZN7rocprim17ROCPRIM_400000_NS6detail17trampoline_kernelINS0_13select_configILj256ELj13ELNS0_17block_load_methodE3ELS4_3ELS4_3ELNS0_20block_scan_algorithmE0ELj4294967295EEENS1_25partition_config_selectorILNS1_17partition_subalgoE3EjNS0_10empty_typeEbEEZZNS1_14partition_implILS8_3ELb0ES6_jNS0_17counting_iteratorIjlEEPS9_SE_NS0_5tupleIJPjSE_EEENSF_IJSE_SE_EEES9_SG_JZNS1_25segmented_radix_sort_implINS0_14default_configELb1EPKbPbPKlPlN2at6native12_GLOBAL__N_18offset_tEEE10hipError_tPvRmT1_PNSt15iterator_traitsISY_E10value_typeET2_T3_PNSZ_IS14_E10value_typeET4_jRbjT5_S1A_jjP12ihipStream_tbEUljE_EEESV_SW_SX_S14_S18_S1A_T6_T7_T9_mT8_S1C_bDpT10_ENKUlT_T0_E_clISt17integral_constantIbLb1EES1O_IbLb0EEEEDaS1K_S1L_EUlS1K_E_NS1_11comp_targetILNS1_3genE0ELNS1_11target_archE4294967295ELNS1_3gpuE0ELNS1_3repE0EEENS1_30default_config_static_selectorELNS0_4arch9wavefront6targetE1EEEvSY_
; %bb.0:
	.section	.rodata,"a",@progbits
	.p2align	6, 0x0
	.amdhsa_kernel _ZN7rocprim17ROCPRIM_400000_NS6detail17trampoline_kernelINS0_13select_configILj256ELj13ELNS0_17block_load_methodE3ELS4_3ELS4_3ELNS0_20block_scan_algorithmE0ELj4294967295EEENS1_25partition_config_selectorILNS1_17partition_subalgoE3EjNS0_10empty_typeEbEEZZNS1_14partition_implILS8_3ELb0ES6_jNS0_17counting_iteratorIjlEEPS9_SE_NS0_5tupleIJPjSE_EEENSF_IJSE_SE_EEES9_SG_JZNS1_25segmented_radix_sort_implINS0_14default_configELb1EPKbPbPKlPlN2at6native12_GLOBAL__N_18offset_tEEE10hipError_tPvRmT1_PNSt15iterator_traitsISY_E10value_typeET2_T3_PNSZ_IS14_E10value_typeET4_jRbjT5_S1A_jjP12ihipStream_tbEUljE_EEESV_SW_SX_S14_S18_S1A_T6_T7_T9_mT8_S1C_bDpT10_ENKUlT_T0_E_clISt17integral_constantIbLb1EES1O_IbLb0EEEEDaS1K_S1L_EUlS1K_E_NS1_11comp_targetILNS1_3genE0ELNS1_11target_archE4294967295ELNS1_3gpuE0ELNS1_3repE0EEENS1_30default_config_static_selectorELNS0_4arch9wavefront6targetE1EEEvSY_
		.amdhsa_group_segment_fixed_size 0
		.amdhsa_private_segment_fixed_size 0
		.amdhsa_kernarg_size 144
		.amdhsa_user_sgpr_count 6
		.amdhsa_user_sgpr_private_segment_buffer 1
		.amdhsa_user_sgpr_dispatch_ptr 0
		.amdhsa_user_sgpr_queue_ptr 0
		.amdhsa_user_sgpr_kernarg_segment_ptr 1
		.amdhsa_user_sgpr_dispatch_id 0
		.amdhsa_user_sgpr_flat_scratch_init 0
		.amdhsa_user_sgpr_private_segment_size 0
		.amdhsa_uses_dynamic_stack 0
		.amdhsa_system_sgpr_private_segment_wavefront_offset 0
		.amdhsa_system_sgpr_workgroup_id_x 1
		.amdhsa_system_sgpr_workgroup_id_y 0
		.amdhsa_system_sgpr_workgroup_id_z 0
		.amdhsa_system_sgpr_workgroup_info 0
		.amdhsa_system_vgpr_workitem_id 0
		.amdhsa_next_free_vgpr 1
		.amdhsa_next_free_sgpr 0
		.amdhsa_reserve_vcc 0
		.amdhsa_reserve_flat_scratch 0
		.amdhsa_float_round_mode_32 0
		.amdhsa_float_round_mode_16_64 0
		.amdhsa_float_denorm_mode_32 3
		.amdhsa_float_denorm_mode_16_64 3
		.amdhsa_dx10_clamp 1
		.amdhsa_ieee_mode 1
		.amdhsa_fp16_overflow 0
		.amdhsa_exception_fp_ieee_invalid_op 0
		.amdhsa_exception_fp_denorm_src 0
		.amdhsa_exception_fp_ieee_div_zero 0
		.amdhsa_exception_fp_ieee_overflow 0
		.amdhsa_exception_fp_ieee_underflow 0
		.amdhsa_exception_fp_ieee_inexact 0
		.amdhsa_exception_int_div_zero 0
	.end_amdhsa_kernel
	.section	.text._ZN7rocprim17ROCPRIM_400000_NS6detail17trampoline_kernelINS0_13select_configILj256ELj13ELNS0_17block_load_methodE3ELS4_3ELS4_3ELNS0_20block_scan_algorithmE0ELj4294967295EEENS1_25partition_config_selectorILNS1_17partition_subalgoE3EjNS0_10empty_typeEbEEZZNS1_14partition_implILS8_3ELb0ES6_jNS0_17counting_iteratorIjlEEPS9_SE_NS0_5tupleIJPjSE_EEENSF_IJSE_SE_EEES9_SG_JZNS1_25segmented_radix_sort_implINS0_14default_configELb1EPKbPbPKlPlN2at6native12_GLOBAL__N_18offset_tEEE10hipError_tPvRmT1_PNSt15iterator_traitsISY_E10value_typeET2_T3_PNSZ_IS14_E10value_typeET4_jRbjT5_S1A_jjP12ihipStream_tbEUljE_EEESV_SW_SX_S14_S18_S1A_T6_T7_T9_mT8_S1C_bDpT10_ENKUlT_T0_E_clISt17integral_constantIbLb1EES1O_IbLb0EEEEDaS1K_S1L_EUlS1K_E_NS1_11comp_targetILNS1_3genE0ELNS1_11target_archE4294967295ELNS1_3gpuE0ELNS1_3repE0EEENS1_30default_config_static_selectorELNS0_4arch9wavefront6targetE1EEEvSY_,"axG",@progbits,_ZN7rocprim17ROCPRIM_400000_NS6detail17trampoline_kernelINS0_13select_configILj256ELj13ELNS0_17block_load_methodE3ELS4_3ELS4_3ELNS0_20block_scan_algorithmE0ELj4294967295EEENS1_25partition_config_selectorILNS1_17partition_subalgoE3EjNS0_10empty_typeEbEEZZNS1_14partition_implILS8_3ELb0ES6_jNS0_17counting_iteratorIjlEEPS9_SE_NS0_5tupleIJPjSE_EEENSF_IJSE_SE_EEES9_SG_JZNS1_25segmented_radix_sort_implINS0_14default_configELb1EPKbPbPKlPlN2at6native12_GLOBAL__N_18offset_tEEE10hipError_tPvRmT1_PNSt15iterator_traitsISY_E10value_typeET2_T3_PNSZ_IS14_E10value_typeET4_jRbjT5_S1A_jjP12ihipStream_tbEUljE_EEESV_SW_SX_S14_S18_S1A_T6_T7_T9_mT8_S1C_bDpT10_ENKUlT_T0_E_clISt17integral_constantIbLb1EES1O_IbLb0EEEEDaS1K_S1L_EUlS1K_E_NS1_11comp_targetILNS1_3genE0ELNS1_11target_archE4294967295ELNS1_3gpuE0ELNS1_3repE0EEENS1_30default_config_static_selectorELNS0_4arch9wavefront6targetE1EEEvSY_,comdat
.Lfunc_end1516:
	.size	_ZN7rocprim17ROCPRIM_400000_NS6detail17trampoline_kernelINS0_13select_configILj256ELj13ELNS0_17block_load_methodE3ELS4_3ELS4_3ELNS0_20block_scan_algorithmE0ELj4294967295EEENS1_25partition_config_selectorILNS1_17partition_subalgoE3EjNS0_10empty_typeEbEEZZNS1_14partition_implILS8_3ELb0ES6_jNS0_17counting_iteratorIjlEEPS9_SE_NS0_5tupleIJPjSE_EEENSF_IJSE_SE_EEES9_SG_JZNS1_25segmented_radix_sort_implINS0_14default_configELb1EPKbPbPKlPlN2at6native12_GLOBAL__N_18offset_tEEE10hipError_tPvRmT1_PNSt15iterator_traitsISY_E10value_typeET2_T3_PNSZ_IS14_E10value_typeET4_jRbjT5_S1A_jjP12ihipStream_tbEUljE_EEESV_SW_SX_S14_S18_S1A_T6_T7_T9_mT8_S1C_bDpT10_ENKUlT_T0_E_clISt17integral_constantIbLb1EES1O_IbLb0EEEEDaS1K_S1L_EUlS1K_E_NS1_11comp_targetILNS1_3genE0ELNS1_11target_archE4294967295ELNS1_3gpuE0ELNS1_3repE0EEENS1_30default_config_static_selectorELNS0_4arch9wavefront6targetE1EEEvSY_, .Lfunc_end1516-_ZN7rocprim17ROCPRIM_400000_NS6detail17trampoline_kernelINS0_13select_configILj256ELj13ELNS0_17block_load_methodE3ELS4_3ELS4_3ELNS0_20block_scan_algorithmE0ELj4294967295EEENS1_25partition_config_selectorILNS1_17partition_subalgoE3EjNS0_10empty_typeEbEEZZNS1_14partition_implILS8_3ELb0ES6_jNS0_17counting_iteratorIjlEEPS9_SE_NS0_5tupleIJPjSE_EEENSF_IJSE_SE_EEES9_SG_JZNS1_25segmented_radix_sort_implINS0_14default_configELb1EPKbPbPKlPlN2at6native12_GLOBAL__N_18offset_tEEE10hipError_tPvRmT1_PNSt15iterator_traitsISY_E10value_typeET2_T3_PNSZ_IS14_E10value_typeET4_jRbjT5_S1A_jjP12ihipStream_tbEUljE_EEESV_SW_SX_S14_S18_S1A_T6_T7_T9_mT8_S1C_bDpT10_ENKUlT_T0_E_clISt17integral_constantIbLb1EES1O_IbLb0EEEEDaS1K_S1L_EUlS1K_E_NS1_11comp_targetILNS1_3genE0ELNS1_11target_archE4294967295ELNS1_3gpuE0ELNS1_3repE0EEENS1_30default_config_static_selectorELNS0_4arch9wavefront6targetE1EEEvSY_
                                        ; -- End function
	.set _ZN7rocprim17ROCPRIM_400000_NS6detail17trampoline_kernelINS0_13select_configILj256ELj13ELNS0_17block_load_methodE3ELS4_3ELS4_3ELNS0_20block_scan_algorithmE0ELj4294967295EEENS1_25partition_config_selectorILNS1_17partition_subalgoE3EjNS0_10empty_typeEbEEZZNS1_14partition_implILS8_3ELb0ES6_jNS0_17counting_iteratorIjlEEPS9_SE_NS0_5tupleIJPjSE_EEENSF_IJSE_SE_EEES9_SG_JZNS1_25segmented_radix_sort_implINS0_14default_configELb1EPKbPbPKlPlN2at6native12_GLOBAL__N_18offset_tEEE10hipError_tPvRmT1_PNSt15iterator_traitsISY_E10value_typeET2_T3_PNSZ_IS14_E10value_typeET4_jRbjT5_S1A_jjP12ihipStream_tbEUljE_EEESV_SW_SX_S14_S18_S1A_T6_T7_T9_mT8_S1C_bDpT10_ENKUlT_T0_E_clISt17integral_constantIbLb1EES1O_IbLb0EEEEDaS1K_S1L_EUlS1K_E_NS1_11comp_targetILNS1_3genE0ELNS1_11target_archE4294967295ELNS1_3gpuE0ELNS1_3repE0EEENS1_30default_config_static_selectorELNS0_4arch9wavefront6targetE1EEEvSY_.num_vgpr, 0
	.set _ZN7rocprim17ROCPRIM_400000_NS6detail17trampoline_kernelINS0_13select_configILj256ELj13ELNS0_17block_load_methodE3ELS4_3ELS4_3ELNS0_20block_scan_algorithmE0ELj4294967295EEENS1_25partition_config_selectorILNS1_17partition_subalgoE3EjNS0_10empty_typeEbEEZZNS1_14partition_implILS8_3ELb0ES6_jNS0_17counting_iteratorIjlEEPS9_SE_NS0_5tupleIJPjSE_EEENSF_IJSE_SE_EEES9_SG_JZNS1_25segmented_radix_sort_implINS0_14default_configELb1EPKbPbPKlPlN2at6native12_GLOBAL__N_18offset_tEEE10hipError_tPvRmT1_PNSt15iterator_traitsISY_E10value_typeET2_T3_PNSZ_IS14_E10value_typeET4_jRbjT5_S1A_jjP12ihipStream_tbEUljE_EEESV_SW_SX_S14_S18_S1A_T6_T7_T9_mT8_S1C_bDpT10_ENKUlT_T0_E_clISt17integral_constantIbLb1EES1O_IbLb0EEEEDaS1K_S1L_EUlS1K_E_NS1_11comp_targetILNS1_3genE0ELNS1_11target_archE4294967295ELNS1_3gpuE0ELNS1_3repE0EEENS1_30default_config_static_selectorELNS0_4arch9wavefront6targetE1EEEvSY_.num_agpr, 0
	.set _ZN7rocprim17ROCPRIM_400000_NS6detail17trampoline_kernelINS0_13select_configILj256ELj13ELNS0_17block_load_methodE3ELS4_3ELS4_3ELNS0_20block_scan_algorithmE0ELj4294967295EEENS1_25partition_config_selectorILNS1_17partition_subalgoE3EjNS0_10empty_typeEbEEZZNS1_14partition_implILS8_3ELb0ES6_jNS0_17counting_iteratorIjlEEPS9_SE_NS0_5tupleIJPjSE_EEENSF_IJSE_SE_EEES9_SG_JZNS1_25segmented_radix_sort_implINS0_14default_configELb1EPKbPbPKlPlN2at6native12_GLOBAL__N_18offset_tEEE10hipError_tPvRmT1_PNSt15iterator_traitsISY_E10value_typeET2_T3_PNSZ_IS14_E10value_typeET4_jRbjT5_S1A_jjP12ihipStream_tbEUljE_EEESV_SW_SX_S14_S18_S1A_T6_T7_T9_mT8_S1C_bDpT10_ENKUlT_T0_E_clISt17integral_constantIbLb1EES1O_IbLb0EEEEDaS1K_S1L_EUlS1K_E_NS1_11comp_targetILNS1_3genE0ELNS1_11target_archE4294967295ELNS1_3gpuE0ELNS1_3repE0EEENS1_30default_config_static_selectorELNS0_4arch9wavefront6targetE1EEEvSY_.numbered_sgpr, 0
	.set _ZN7rocprim17ROCPRIM_400000_NS6detail17trampoline_kernelINS0_13select_configILj256ELj13ELNS0_17block_load_methodE3ELS4_3ELS4_3ELNS0_20block_scan_algorithmE0ELj4294967295EEENS1_25partition_config_selectorILNS1_17partition_subalgoE3EjNS0_10empty_typeEbEEZZNS1_14partition_implILS8_3ELb0ES6_jNS0_17counting_iteratorIjlEEPS9_SE_NS0_5tupleIJPjSE_EEENSF_IJSE_SE_EEES9_SG_JZNS1_25segmented_radix_sort_implINS0_14default_configELb1EPKbPbPKlPlN2at6native12_GLOBAL__N_18offset_tEEE10hipError_tPvRmT1_PNSt15iterator_traitsISY_E10value_typeET2_T3_PNSZ_IS14_E10value_typeET4_jRbjT5_S1A_jjP12ihipStream_tbEUljE_EEESV_SW_SX_S14_S18_S1A_T6_T7_T9_mT8_S1C_bDpT10_ENKUlT_T0_E_clISt17integral_constantIbLb1EES1O_IbLb0EEEEDaS1K_S1L_EUlS1K_E_NS1_11comp_targetILNS1_3genE0ELNS1_11target_archE4294967295ELNS1_3gpuE0ELNS1_3repE0EEENS1_30default_config_static_selectorELNS0_4arch9wavefront6targetE1EEEvSY_.num_named_barrier, 0
	.set _ZN7rocprim17ROCPRIM_400000_NS6detail17trampoline_kernelINS0_13select_configILj256ELj13ELNS0_17block_load_methodE3ELS4_3ELS4_3ELNS0_20block_scan_algorithmE0ELj4294967295EEENS1_25partition_config_selectorILNS1_17partition_subalgoE3EjNS0_10empty_typeEbEEZZNS1_14partition_implILS8_3ELb0ES6_jNS0_17counting_iteratorIjlEEPS9_SE_NS0_5tupleIJPjSE_EEENSF_IJSE_SE_EEES9_SG_JZNS1_25segmented_radix_sort_implINS0_14default_configELb1EPKbPbPKlPlN2at6native12_GLOBAL__N_18offset_tEEE10hipError_tPvRmT1_PNSt15iterator_traitsISY_E10value_typeET2_T3_PNSZ_IS14_E10value_typeET4_jRbjT5_S1A_jjP12ihipStream_tbEUljE_EEESV_SW_SX_S14_S18_S1A_T6_T7_T9_mT8_S1C_bDpT10_ENKUlT_T0_E_clISt17integral_constantIbLb1EES1O_IbLb0EEEEDaS1K_S1L_EUlS1K_E_NS1_11comp_targetILNS1_3genE0ELNS1_11target_archE4294967295ELNS1_3gpuE0ELNS1_3repE0EEENS1_30default_config_static_selectorELNS0_4arch9wavefront6targetE1EEEvSY_.private_seg_size, 0
	.set _ZN7rocprim17ROCPRIM_400000_NS6detail17trampoline_kernelINS0_13select_configILj256ELj13ELNS0_17block_load_methodE3ELS4_3ELS4_3ELNS0_20block_scan_algorithmE0ELj4294967295EEENS1_25partition_config_selectorILNS1_17partition_subalgoE3EjNS0_10empty_typeEbEEZZNS1_14partition_implILS8_3ELb0ES6_jNS0_17counting_iteratorIjlEEPS9_SE_NS0_5tupleIJPjSE_EEENSF_IJSE_SE_EEES9_SG_JZNS1_25segmented_radix_sort_implINS0_14default_configELb1EPKbPbPKlPlN2at6native12_GLOBAL__N_18offset_tEEE10hipError_tPvRmT1_PNSt15iterator_traitsISY_E10value_typeET2_T3_PNSZ_IS14_E10value_typeET4_jRbjT5_S1A_jjP12ihipStream_tbEUljE_EEESV_SW_SX_S14_S18_S1A_T6_T7_T9_mT8_S1C_bDpT10_ENKUlT_T0_E_clISt17integral_constantIbLb1EES1O_IbLb0EEEEDaS1K_S1L_EUlS1K_E_NS1_11comp_targetILNS1_3genE0ELNS1_11target_archE4294967295ELNS1_3gpuE0ELNS1_3repE0EEENS1_30default_config_static_selectorELNS0_4arch9wavefront6targetE1EEEvSY_.uses_vcc, 0
	.set _ZN7rocprim17ROCPRIM_400000_NS6detail17trampoline_kernelINS0_13select_configILj256ELj13ELNS0_17block_load_methodE3ELS4_3ELS4_3ELNS0_20block_scan_algorithmE0ELj4294967295EEENS1_25partition_config_selectorILNS1_17partition_subalgoE3EjNS0_10empty_typeEbEEZZNS1_14partition_implILS8_3ELb0ES6_jNS0_17counting_iteratorIjlEEPS9_SE_NS0_5tupleIJPjSE_EEENSF_IJSE_SE_EEES9_SG_JZNS1_25segmented_radix_sort_implINS0_14default_configELb1EPKbPbPKlPlN2at6native12_GLOBAL__N_18offset_tEEE10hipError_tPvRmT1_PNSt15iterator_traitsISY_E10value_typeET2_T3_PNSZ_IS14_E10value_typeET4_jRbjT5_S1A_jjP12ihipStream_tbEUljE_EEESV_SW_SX_S14_S18_S1A_T6_T7_T9_mT8_S1C_bDpT10_ENKUlT_T0_E_clISt17integral_constantIbLb1EES1O_IbLb0EEEEDaS1K_S1L_EUlS1K_E_NS1_11comp_targetILNS1_3genE0ELNS1_11target_archE4294967295ELNS1_3gpuE0ELNS1_3repE0EEENS1_30default_config_static_selectorELNS0_4arch9wavefront6targetE1EEEvSY_.uses_flat_scratch, 0
	.set _ZN7rocprim17ROCPRIM_400000_NS6detail17trampoline_kernelINS0_13select_configILj256ELj13ELNS0_17block_load_methodE3ELS4_3ELS4_3ELNS0_20block_scan_algorithmE0ELj4294967295EEENS1_25partition_config_selectorILNS1_17partition_subalgoE3EjNS0_10empty_typeEbEEZZNS1_14partition_implILS8_3ELb0ES6_jNS0_17counting_iteratorIjlEEPS9_SE_NS0_5tupleIJPjSE_EEENSF_IJSE_SE_EEES9_SG_JZNS1_25segmented_radix_sort_implINS0_14default_configELb1EPKbPbPKlPlN2at6native12_GLOBAL__N_18offset_tEEE10hipError_tPvRmT1_PNSt15iterator_traitsISY_E10value_typeET2_T3_PNSZ_IS14_E10value_typeET4_jRbjT5_S1A_jjP12ihipStream_tbEUljE_EEESV_SW_SX_S14_S18_S1A_T6_T7_T9_mT8_S1C_bDpT10_ENKUlT_T0_E_clISt17integral_constantIbLb1EES1O_IbLb0EEEEDaS1K_S1L_EUlS1K_E_NS1_11comp_targetILNS1_3genE0ELNS1_11target_archE4294967295ELNS1_3gpuE0ELNS1_3repE0EEENS1_30default_config_static_selectorELNS0_4arch9wavefront6targetE1EEEvSY_.has_dyn_sized_stack, 0
	.set _ZN7rocprim17ROCPRIM_400000_NS6detail17trampoline_kernelINS0_13select_configILj256ELj13ELNS0_17block_load_methodE3ELS4_3ELS4_3ELNS0_20block_scan_algorithmE0ELj4294967295EEENS1_25partition_config_selectorILNS1_17partition_subalgoE3EjNS0_10empty_typeEbEEZZNS1_14partition_implILS8_3ELb0ES6_jNS0_17counting_iteratorIjlEEPS9_SE_NS0_5tupleIJPjSE_EEENSF_IJSE_SE_EEES9_SG_JZNS1_25segmented_radix_sort_implINS0_14default_configELb1EPKbPbPKlPlN2at6native12_GLOBAL__N_18offset_tEEE10hipError_tPvRmT1_PNSt15iterator_traitsISY_E10value_typeET2_T3_PNSZ_IS14_E10value_typeET4_jRbjT5_S1A_jjP12ihipStream_tbEUljE_EEESV_SW_SX_S14_S18_S1A_T6_T7_T9_mT8_S1C_bDpT10_ENKUlT_T0_E_clISt17integral_constantIbLb1EES1O_IbLb0EEEEDaS1K_S1L_EUlS1K_E_NS1_11comp_targetILNS1_3genE0ELNS1_11target_archE4294967295ELNS1_3gpuE0ELNS1_3repE0EEENS1_30default_config_static_selectorELNS0_4arch9wavefront6targetE1EEEvSY_.has_recursion, 0
	.set _ZN7rocprim17ROCPRIM_400000_NS6detail17trampoline_kernelINS0_13select_configILj256ELj13ELNS0_17block_load_methodE3ELS4_3ELS4_3ELNS0_20block_scan_algorithmE0ELj4294967295EEENS1_25partition_config_selectorILNS1_17partition_subalgoE3EjNS0_10empty_typeEbEEZZNS1_14partition_implILS8_3ELb0ES6_jNS0_17counting_iteratorIjlEEPS9_SE_NS0_5tupleIJPjSE_EEENSF_IJSE_SE_EEES9_SG_JZNS1_25segmented_radix_sort_implINS0_14default_configELb1EPKbPbPKlPlN2at6native12_GLOBAL__N_18offset_tEEE10hipError_tPvRmT1_PNSt15iterator_traitsISY_E10value_typeET2_T3_PNSZ_IS14_E10value_typeET4_jRbjT5_S1A_jjP12ihipStream_tbEUljE_EEESV_SW_SX_S14_S18_S1A_T6_T7_T9_mT8_S1C_bDpT10_ENKUlT_T0_E_clISt17integral_constantIbLb1EES1O_IbLb0EEEEDaS1K_S1L_EUlS1K_E_NS1_11comp_targetILNS1_3genE0ELNS1_11target_archE4294967295ELNS1_3gpuE0ELNS1_3repE0EEENS1_30default_config_static_selectorELNS0_4arch9wavefront6targetE1EEEvSY_.has_indirect_call, 0
	.section	.AMDGPU.csdata,"",@progbits
; Kernel info:
; codeLenInByte = 0
; TotalNumSgprs: 4
; NumVgprs: 0
; ScratchSize: 0
; MemoryBound: 0
; FloatMode: 240
; IeeeMode: 1
; LDSByteSize: 0 bytes/workgroup (compile time only)
; SGPRBlocks: 0
; VGPRBlocks: 0
; NumSGPRsForWavesPerEU: 4
; NumVGPRsForWavesPerEU: 1
; Occupancy: 10
; WaveLimiterHint : 0
; COMPUTE_PGM_RSRC2:SCRATCH_EN: 0
; COMPUTE_PGM_RSRC2:USER_SGPR: 6
; COMPUTE_PGM_RSRC2:TRAP_HANDLER: 0
; COMPUTE_PGM_RSRC2:TGID_X_EN: 1
; COMPUTE_PGM_RSRC2:TGID_Y_EN: 0
; COMPUTE_PGM_RSRC2:TGID_Z_EN: 0
; COMPUTE_PGM_RSRC2:TIDIG_COMP_CNT: 0
	.section	.text._ZN7rocprim17ROCPRIM_400000_NS6detail17trampoline_kernelINS0_13select_configILj256ELj13ELNS0_17block_load_methodE3ELS4_3ELS4_3ELNS0_20block_scan_algorithmE0ELj4294967295EEENS1_25partition_config_selectorILNS1_17partition_subalgoE3EjNS0_10empty_typeEbEEZZNS1_14partition_implILS8_3ELb0ES6_jNS0_17counting_iteratorIjlEEPS9_SE_NS0_5tupleIJPjSE_EEENSF_IJSE_SE_EEES9_SG_JZNS1_25segmented_radix_sort_implINS0_14default_configELb1EPKbPbPKlPlN2at6native12_GLOBAL__N_18offset_tEEE10hipError_tPvRmT1_PNSt15iterator_traitsISY_E10value_typeET2_T3_PNSZ_IS14_E10value_typeET4_jRbjT5_S1A_jjP12ihipStream_tbEUljE_EEESV_SW_SX_S14_S18_S1A_T6_T7_T9_mT8_S1C_bDpT10_ENKUlT_T0_E_clISt17integral_constantIbLb1EES1O_IbLb0EEEEDaS1K_S1L_EUlS1K_E_NS1_11comp_targetILNS1_3genE5ELNS1_11target_archE942ELNS1_3gpuE9ELNS1_3repE0EEENS1_30default_config_static_selectorELNS0_4arch9wavefront6targetE1EEEvSY_,"axG",@progbits,_ZN7rocprim17ROCPRIM_400000_NS6detail17trampoline_kernelINS0_13select_configILj256ELj13ELNS0_17block_load_methodE3ELS4_3ELS4_3ELNS0_20block_scan_algorithmE0ELj4294967295EEENS1_25partition_config_selectorILNS1_17partition_subalgoE3EjNS0_10empty_typeEbEEZZNS1_14partition_implILS8_3ELb0ES6_jNS0_17counting_iteratorIjlEEPS9_SE_NS0_5tupleIJPjSE_EEENSF_IJSE_SE_EEES9_SG_JZNS1_25segmented_radix_sort_implINS0_14default_configELb1EPKbPbPKlPlN2at6native12_GLOBAL__N_18offset_tEEE10hipError_tPvRmT1_PNSt15iterator_traitsISY_E10value_typeET2_T3_PNSZ_IS14_E10value_typeET4_jRbjT5_S1A_jjP12ihipStream_tbEUljE_EEESV_SW_SX_S14_S18_S1A_T6_T7_T9_mT8_S1C_bDpT10_ENKUlT_T0_E_clISt17integral_constantIbLb1EES1O_IbLb0EEEEDaS1K_S1L_EUlS1K_E_NS1_11comp_targetILNS1_3genE5ELNS1_11target_archE942ELNS1_3gpuE9ELNS1_3repE0EEENS1_30default_config_static_selectorELNS0_4arch9wavefront6targetE1EEEvSY_,comdat
	.globl	_ZN7rocprim17ROCPRIM_400000_NS6detail17trampoline_kernelINS0_13select_configILj256ELj13ELNS0_17block_load_methodE3ELS4_3ELS4_3ELNS0_20block_scan_algorithmE0ELj4294967295EEENS1_25partition_config_selectorILNS1_17partition_subalgoE3EjNS0_10empty_typeEbEEZZNS1_14partition_implILS8_3ELb0ES6_jNS0_17counting_iteratorIjlEEPS9_SE_NS0_5tupleIJPjSE_EEENSF_IJSE_SE_EEES9_SG_JZNS1_25segmented_radix_sort_implINS0_14default_configELb1EPKbPbPKlPlN2at6native12_GLOBAL__N_18offset_tEEE10hipError_tPvRmT1_PNSt15iterator_traitsISY_E10value_typeET2_T3_PNSZ_IS14_E10value_typeET4_jRbjT5_S1A_jjP12ihipStream_tbEUljE_EEESV_SW_SX_S14_S18_S1A_T6_T7_T9_mT8_S1C_bDpT10_ENKUlT_T0_E_clISt17integral_constantIbLb1EES1O_IbLb0EEEEDaS1K_S1L_EUlS1K_E_NS1_11comp_targetILNS1_3genE5ELNS1_11target_archE942ELNS1_3gpuE9ELNS1_3repE0EEENS1_30default_config_static_selectorELNS0_4arch9wavefront6targetE1EEEvSY_ ; -- Begin function _ZN7rocprim17ROCPRIM_400000_NS6detail17trampoline_kernelINS0_13select_configILj256ELj13ELNS0_17block_load_methodE3ELS4_3ELS4_3ELNS0_20block_scan_algorithmE0ELj4294967295EEENS1_25partition_config_selectorILNS1_17partition_subalgoE3EjNS0_10empty_typeEbEEZZNS1_14partition_implILS8_3ELb0ES6_jNS0_17counting_iteratorIjlEEPS9_SE_NS0_5tupleIJPjSE_EEENSF_IJSE_SE_EEES9_SG_JZNS1_25segmented_radix_sort_implINS0_14default_configELb1EPKbPbPKlPlN2at6native12_GLOBAL__N_18offset_tEEE10hipError_tPvRmT1_PNSt15iterator_traitsISY_E10value_typeET2_T3_PNSZ_IS14_E10value_typeET4_jRbjT5_S1A_jjP12ihipStream_tbEUljE_EEESV_SW_SX_S14_S18_S1A_T6_T7_T9_mT8_S1C_bDpT10_ENKUlT_T0_E_clISt17integral_constantIbLb1EES1O_IbLb0EEEEDaS1K_S1L_EUlS1K_E_NS1_11comp_targetILNS1_3genE5ELNS1_11target_archE942ELNS1_3gpuE9ELNS1_3repE0EEENS1_30default_config_static_selectorELNS0_4arch9wavefront6targetE1EEEvSY_
	.p2align	8
	.type	_ZN7rocprim17ROCPRIM_400000_NS6detail17trampoline_kernelINS0_13select_configILj256ELj13ELNS0_17block_load_methodE3ELS4_3ELS4_3ELNS0_20block_scan_algorithmE0ELj4294967295EEENS1_25partition_config_selectorILNS1_17partition_subalgoE3EjNS0_10empty_typeEbEEZZNS1_14partition_implILS8_3ELb0ES6_jNS0_17counting_iteratorIjlEEPS9_SE_NS0_5tupleIJPjSE_EEENSF_IJSE_SE_EEES9_SG_JZNS1_25segmented_radix_sort_implINS0_14default_configELb1EPKbPbPKlPlN2at6native12_GLOBAL__N_18offset_tEEE10hipError_tPvRmT1_PNSt15iterator_traitsISY_E10value_typeET2_T3_PNSZ_IS14_E10value_typeET4_jRbjT5_S1A_jjP12ihipStream_tbEUljE_EEESV_SW_SX_S14_S18_S1A_T6_T7_T9_mT8_S1C_bDpT10_ENKUlT_T0_E_clISt17integral_constantIbLb1EES1O_IbLb0EEEEDaS1K_S1L_EUlS1K_E_NS1_11comp_targetILNS1_3genE5ELNS1_11target_archE942ELNS1_3gpuE9ELNS1_3repE0EEENS1_30default_config_static_selectorELNS0_4arch9wavefront6targetE1EEEvSY_,@function
_ZN7rocprim17ROCPRIM_400000_NS6detail17trampoline_kernelINS0_13select_configILj256ELj13ELNS0_17block_load_methodE3ELS4_3ELS4_3ELNS0_20block_scan_algorithmE0ELj4294967295EEENS1_25partition_config_selectorILNS1_17partition_subalgoE3EjNS0_10empty_typeEbEEZZNS1_14partition_implILS8_3ELb0ES6_jNS0_17counting_iteratorIjlEEPS9_SE_NS0_5tupleIJPjSE_EEENSF_IJSE_SE_EEES9_SG_JZNS1_25segmented_radix_sort_implINS0_14default_configELb1EPKbPbPKlPlN2at6native12_GLOBAL__N_18offset_tEEE10hipError_tPvRmT1_PNSt15iterator_traitsISY_E10value_typeET2_T3_PNSZ_IS14_E10value_typeET4_jRbjT5_S1A_jjP12ihipStream_tbEUljE_EEESV_SW_SX_S14_S18_S1A_T6_T7_T9_mT8_S1C_bDpT10_ENKUlT_T0_E_clISt17integral_constantIbLb1EES1O_IbLb0EEEEDaS1K_S1L_EUlS1K_E_NS1_11comp_targetILNS1_3genE5ELNS1_11target_archE942ELNS1_3gpuE9ELNS1_3repE0EEENS1_30default_config_static_selectorELNS0_4arch9wavefront6targetE1EEEvSY_: ; @_ZN7rocprim17ROCPRIM_400000_NS6detail17trampoline_kernelINS0_13select_configILj256ELj13ELNS0_17block_load_methodE3ELS4_3ELS4_3ELNS0_20block_scan_algorithmE0ELj4294967295EEENS1_25partition_config_selectorILNS1_17partition_subalgoE3EjNS0_10empty_typeEbEEZZNS1_14partition_implILS8_3ELb0ES6_jNS0_17counting_iteratorIjlEEPS9_SE_NS0_5tupleIJPjSE_EEENSF_IJSE_SE_EEES9_SG_JZNS1_25segmented_radix_sort_implINS0_14default_configELb1EPKbPbPKlPlN2at6native12_GLOBAL__N_18offset_tEEE10hipError_tPvRmT1_PNSt15iterator_traitsISY_E10value_typeET2_T3_PNSZ_IS14_E10value_typeET4_jRbjT5_S1A_jjP12ihipStream_tbEUljE_EEESV_SW_SX_S14_S18_S1A_T6_T7_T9_mT8_S1C_bDpT10_ENKUlT_T0_E_clISt17integral_constantIbLb1EES1O_IbLb0EEEEDaS1K_S1L_EUlS1K_E_NS1_11comp_targetILNS1_3genE5ELNS1_11target_archE942ELNS1_3gpuE9ELNS1_3repE0EEENS1_30default_config_static_selectorELNS0_4arch9wavefront6targetE1EEEvSY_
; %bb.0:
	.section	.rodata,"a",@progbits
	.p2align	6, 0x0
	.amdhsa_kernel _ZN7rocprim17ROCPRIM_400000_NS6detail17trampoline_kernelINS0_13select_configILj256ELj13ELNS0_17block_load_methodE3ELS4_3ELS4_3ELNS0_20block_scan_algorithmE0ELj4294967295EEENS1_25partition_config_selectorILNS1_17partition_subalgoE3EjNS0_10empty_typeEbEEZZNS1_14partition_implILS8_3ELb0ES6_jNS0_17counting_iteratorIjlEEPS9_SE_NS0_5tupleIJPjSE_EEENSF_IJSE_SE_EEES9_SG_JZNS1_25segmented_radix_sort_implINS0_14default_configELb1EPKbPbPKlPlN2at6native12_GLOBAL__N_18offset_tEEE10hipError_tPvRmT1_PNSt15iterator_traitsISY_E10value_typeET2_T3_PNSZ_IS14_E10value_typeET4_jRbjT5_S1A_jjP12ihipStream_tbEUljE_EEESV_SW_SX_S14_S18_S1A_T6_T7_T9_mT8_S1C_bDpT10_ENKUlT_T0_E_clISt17integral_constantIbLb1EES1O_IbLb0EEEEDaS1K_S1L_EUlS1K_E_NS1_11comp_targetILNS1_3genE5ELNS1_11target_archE942ELNS1_3gpuE9ELNS1_3repE0EEENS1_30default_config_static_selectorELNS0_4arch9wavefront6targetE1EEEvSY_
		.amdhsa_group_segment_fixed_size 0
		.amdhsa_private_segment_fixed_size 0
		.amdhsa_kernarg_size 144
		.amdhsa_user_sgpr_count 6
		.amdhsa_user_sgpr_private_segment_buffer 1
		.amdhsa_user_sgpr_dispatch_ptr 0
		.amdhsa_user_sgpr_queue_ptr 0
		.amdhsa_user_sgpr_kernarg_segment_ptr 1
		.amdhsa_user_sgpr_dispatch_id 0
		.amdhsa_user_sgpr_flat_scratch_init 0
		.amdhsa_user_sgpr_private_segment_size 0
		.amdhsa_uses_dynamic_stack 0
		.amdhsa_system_sgpr_private_segment_wavefront_offset 0
		.amdhsa_system_sgpr_workgroup_id_x 1
		.amdhsa_system_sgpr_workgroup_id_y 0
		.amdhsa_system_sgpr_workgroup_id_z 0
		.amdhsa_system_sgpr_workgroup_info 0
		.amdhsa_system_vgpr_workitem_id 0
		.amdhsa_next_free_vgpr 1
		.amdhsa_next_free_sgpr 0
		.amdhsa_reserve_vcc 0
		.amdhsa_reserve_flat_scratch 0
		.amdhsa_float_round_mode_32 0
		.amdhsa_float_round_mode_16_64 0
		.amdhsa_float_denorm_mode_32 3
		.amdhsa_float_denorm_mode_16_64 3
		.amdhsa_dx10_clamp 1
		.amdhsa_ieee_mode 1
		.amdhsa_fp16_overflow 0
		.amdhsa_exception_fp_ieee_invalid_op 0
		.amdhsa_exception_fp_denorm_src 0
		.amdhsa_exception_fp_ieee_div_zero 0
		.amdhsa_exception_fp_ieee_overflow 0
		.amdhsa_exception_fp_ieee_underflow 0
		.amdhsa_exception_fp_ieee_inexact 0
		.amdhsa_exception_int_div_zero 0
	.end_amdhsa_kernel
	.section	.text._ZN7rocprim17ROCPRIM_400000_NS6detail17trampoline_kernelINS0_13select_configILj256ELj13ELNS0_17block_load_methodE3ELS4_3ELS4_3ELNS0_20block_scan_algorithmE0ELj4294967295EEENS1_25partition_config_selectorILNS1_17partition_subalgoE3EjNS0_10empty_typeEbEEZZNS1_14partition_implILS8_3ELb0ES6_jNS0_17counting_iteratorIjlEEPS9_SE_NS0_5tupleIJPjSE_EEENSF_IJSE_SE_EEES9_SG_JZNS1_25segmented_radix_sort_implINS0_14default_configELb1EPKbPbPKlPlN2at6native12_GLOBAL__N_18offset_tEEE10hipError_tPvRmT1_PNSt15iterator_traitsISY_E10value_typeET2_T3_PNSZ_IS14_E10value_typeET4_jRbjT5_S1A_jjP12ihipStream_tbEUljE_EEESV_SW_SX_S14_S18_S1A_T6_T7_T9_mT8_S1C_bDpT10_ENKUlT_T0_E_clISt17integral_constantIbLb1EES1O_IbLb0EEEEDaS1K_S1L_EUlS1K_E_NS1_11comp_targetILNS1_3genE5ELNS1_11target_archE942ELNS1_3gpuE9ELNS1_3repE0EEENS1_30default_config_static_selectorELNS0_4arch9wavefront6targetE1EEEvSY_,"axG",@progbits,_ZN7rocprim17ROCPRIM_400000_NS6detail17trampoline_kernelINS0_13select_configILj256ELj13ELNS0_17block_load_methodE3ELS4_3ELS4_3ELNS0_20block_scan_algorithmE0ELj4294967295EEENS1_25partition_config_selectorILNS1_17partition_subalgoE3EjNS0_10empty_typeEbEEZZNS1_14partition_implILS8_3ELb0ES6_jNS0_17counting_iteratorIjlEEPS9_SE_NS0_5tupleIJPjSE_EEENSF_IJSE_SE_EEES9_SG_JZNS1_25segmented_radix_sort_implINS0_14default_configELb1EPKbPbPKlPlN2at6native12_GLOBAL__N_18offset_tEEE10hipError_tPvRmT1_PNSt15iterator_traitsISY_E10value_typeET2_T3_PNSZ_IS14_E10value_typeET4_jRbjT5_S1A_jjP12ihipStream_tbEUljE_EEESV_SW_SX_S14_S18_S1A_T6_T7_T9_mT8_S1C_bDpT10_ENKUlT_T0_E_clISt17integral_constantIbLb1EES1O_IbLb0EEEEDaS1K_S1L_EUlS1K_E_NS1_11comp_targetILNS1_3genE5ELNS1_11target_archE942ELNS1_3gpuE9ELNS1_3repE0EEENS1_30default_config_static_selectorELNS0_4arch9wavefront6targetE1EEEvSY_,comdat
.Lfunc_end1517:
	.size	_ZN7rocprim17ROCPRIM_400000_NS6detail17trampoline_kernelINS0_13select_configILj256ELj13ELNS0_17block_load_methodE3ELS4_3ELS4_3ELNS0_20block_scan_algorithmE0ELj4294967295EEENS1_25partition_config_selectorILNS1_17partition_subalgoE3EjNS0_10empty_typeEbEEZZNS1_14partition_implILS8_3ELb0ES6_jNS0_17counting_iteratorIjlEEPS9_SE_NS0_5tupleIJPjSE_EEENSF_IJSE_SE_EEES9_SG_JZNS1_25segmented_radix_sort_implINS0_14default_configELb1EPKbPbPKlPlN2at6native12_GLOBAL__N_18offset_tEEE10hipError_tPvRmT1_PNSt15iterator_traitsISY_E10value_typeET2_T3_PNSZ_IS14_E10value_typeET4_jRbjT5_S1A_jjP12ihipStream_tbEUljE_EEESV_SW_SX_S14_S18_S1A_T6_T7_T9_mT8_S1C_bDpT10_ENKUlT_T0_E_clISt17integral_constantIbLb1EES1O_IbLb0EEEEDaS1K_S1L_EUlS1K_E_NS1_11comp_targetILNS1_3genE5ELNS1_11target_archE942ELNS1_3gpuE9ELNS1_3repE0EEENS1_30default_config_static_selectorELNS0_4arch9wavefront6targetE1EEEvSY_, .Lfunc_end1517-_ZN7rocprim17ROCPRIM_400000_NS6detail17trampoline_kernelINS0_13select_configILj256ELj13ELNS0_17block_load_methodE3ELS4_3ELS4_3ELNS0_20block_scan_algorithmE0ELj4294967295EEENS1_25partition_config_selectorILNS1_17partition_subalgoE3EjNS0_10empty_typeEbEEZZNS1_14partition_implILS8_3ELb0ES6_jNS0_17counting_iteratorIjlEEPS9_SE_NS0_5tupleIJPjSE_EEENSF_IJSE_SE_EEES9_SG_JZNS1_25segmented_radix_sort_implINS0_14default_configELb1EPKbPbPKlPlN2at6native12_GLOBAL__N_18offset_tEEE10hipError_tPvRmT1_PNSt15iterator_traitsISY_E10value_typeET2_T3_PNSZ_IS14_E10value_typeET4_jRbjT5_S1A_jjP12ihipStream_tbEUljE_EEESV_SW_SX_S14_S18_S1A_T6_T7_T9_mT8_S1C_bDpT10_ENKUlT_T0_E_clISt17integral_constantIbLb1EES1O_IbLb0EEEEDaS1K_S1L_EUlS1K_E_NS1_11comp_targetILNS1_3genE5ELNS1_11target_archE942ELNS1_3gpuE9ELNS1_3repE0EEENS1_30default_config_static_selectorELNS0_4arch9wavefront6targetE1EEEvSY_
                                        ; -- End function
	.set _ZN7rocprim17ROCPRIM_400000_NS6detail17trampoline_kernelINS0_13select_configILj256ELj13ELNS0_17block_load_methodE3ELS4_3ELS4_3ELNS0_20block_scan_algorithmE0ELj4294967295EEENS1_25partition_config_selectorILNS1_17partition_subalgoE3EjNS0_10empty_typeEbEEZZNS1_14partition_implILS8_3ELb0ES6_jNS0_17counting_iteratorIjlEEPS9_SE_NS0_5tupleIJPjSE_EEENSF_IJSE_SE_EEES9_SG_JZNS1_25segmented_radix_sort_implINS0_14default_configELb1EPKbPbPKlPlN2at6native12_GLOBAL__N_18offset_tEEE10hipError_tPvRmT1_PNSt15iterator_traitsISY_E10value_typeET2_T3_PNSZ_IS14_E10value_typeET4_jRbjT5_S1A_jjP12ihipStream_tbEUljE_EEESV_SW_SX_S14_S18_S1A_T6_T7_T9_mT8_S1C_bDpT10_ENKUlT_T0_E_clISt17integral_constantIbLb1EES1O_IbLb0EEEEDaS1K_S1L_EUlS1K_E_NS1_11comp_targetILNS1_3genE5ELNS1_11target_archE942ELNS1_3gpuE9ELNS1_3repE0EEENS1_30default_config_static_selectorELNS0_4arch9wavefront6targetE1EEEvSY_.num_vgpr, 0
	.set _ZN7rocprim17ROCPRIM_400000_NS6detail17trampoline_kernelINS0_13select_configILj256ELj13ELNS0_17block_load_methodE3ELS4_3ELS4_3ELNS0_20block_scan_algorithmE0ELj4294967295EEENS1_25partition_config_selectorILNS1_17partition_subalgoE3EjNS0_10empty_typeEbEEZZNS1_14partition_implILS8_3ELb0ES6_jNS0_17counting_iteratorIjlEEPS9_SE_NS0_5tupleIJPjSE_EEENSF_IJSE_SE_EEES9_SG_JZNS1_25segmented_radix_sort_implINS0_14default_configELb1EPKbPbPKlPlN2at6native12_GLOBAL__N_18offset_tEEE10hipError_tPvRmT1_PNSt15iterator_traitsISY_E10value_typeET2_T3_PNSZ_IS14_E10value_typeET4_jRbjT5_S1A_jjP12ihipStream_tbEUljE_EEESV_SW_SX_S14_S18_S1A_T6_T7_T9_mT8_S1C_bDpT10_ENKUlT_T0_E_clISt17integral_constantIbLb1EES1O_IbLb0EEEEDaS1K_S1L_EUlS1K_E_NS1_11comp_targetILNS1_3genE5ELNS1_11target_archE942ELNS1_3gpuE9ELNS1_3repE0EEENS1_30default_config_static_selectorELNS0_4arch9wavefront6targetE1EEEvSY_.num_agpr, 0
	.set _ZN7rocprim17ROCPRIM_400000_NS6detail17trampoline_kernelINS0_13select_configILj256ELj13ELNS0_17block_load_methodE3ELS4_3ELS4_3ELNS0_20block_scan_algorithmE0ELj4294967295EEENS1_25partition_config_selectorILNS1_17partition_subalgoE3EjNS0_10empty_typeEbEEZZNS1_14partition_implILS8_3ELb0ES6_jNS0_17counting_iteratorIjlEEPS9_SE_NS0_5tupleIJPjSE_EEENSF_IJSE_SE_EEES9_SG_JZNS1_25segmented_radix_sort_implINS0_14default_configELb1EPKbPbPKlPlN2at6native12_GLOBAL__N_18offset_tEEE10hipError_tPvRmT1_PNSt15iterator_traitsISY_E10value_typeET2_T3_PNSZ_IS14_E10value_typeET4_jRbjT5_S1A_jjP12ihipStream_tbEUljE_EEESV_SW_SX_S14_S18_S1A_T6_T7_T9_mT8_S1C_bDpT10_ENKUlT_T0_E_clISt17integral_constantIbLb1EES1O_IbLb0EEEEDaS1K_S1L_EUlS1K_E_NS1_11comp_targetILNS1_3genE5ELNS1_11target_archE942ELNS1_3gpuE9ELNS1_3repE0EEENS1_30default_config_static_selectorELNS0_4arch9wavefront6targetE1EEEvSY_.numbered_sgpr, 0
	.set _ZN7rocprim17ROCPRIM_400000_NS6detail17trampoline_kernelINS0_13select_configILj256ELj13ELNS0_17block_load_methodE3ELS4_3ELS4_3ELNS0_20block_scan_algorithmE0ELj4294967295EEENS1_25partition_config_selectorILNS1_17partition_subalgoE3EjNS0_10empty_typeEbEEZZNS1_14partition_implILS8_3ELb0ES6_jNS0_17counting_iteratorIjlEEPS9_SE_NS0_5tupleIJPjSE_EEENSF_IJSE_SE_EEES9_SG_JZNS1_25segmented_radix_sort_implINS0_14default_configELb1EPKbPbPKlPlN2at6native12_GLOBAL__N_18offset_tEEE10hipError_tPvRmT1_PNSt15iterator_traitsISY_E10value_typeET2_T3_PNSZ_IS14_E10value_typeET4_jRbjT5_S1A_jjP12ihipStream_tbEUljE_EEESV_SW_SX_S14_S18_S1A_T6_T7_T9_mT8_S1C_bDpT10_ENKUlT_T0_E_clISt17integral_constantIbLb1EES1O_IbLb0EEEEDaS1K_S1L_EUlS1K_E_NS1_11comp_targetILNS1_3genE5ELNS1_11target_archE942ELNS1_3gpuE9ELNS1_3repE0EEENS1_30default_config_static_selectorELNS0_4arch9wavefront6targetE1EEEvSY_.num_named_barrier, 0
	.set _ZN7rocprim17ROCPRIM_400000_NS6detail17trampoline_kernelINS0_13select_configILj256ELj13ELNS0_17block_load_methodE3ELS4_3ELS4_3ELNS0_20block_scan_algorithmE0ELj4294967295EEENS1_25partition_config_selectorILNS1_17partition_subalgoE3EjNS0_10empty_typeEbEEZZNS1_14partition_implILS8_3ELb0ES6_jNS0_17counting_iteratorIjlEEPS9_SE_NS0_5tupleIJPjSE_EEENSF_IJSE_SE_EEES9_SG_JZNS1_25segmented_radix_sort_implINS0_14default_configELb1EPKbPbPKlPlN2at6native12_GLOBAL__N_18offset_tEEE10hipError_tPvRmT1_PNSt15iterator_traitsISY_E10value_typeET2_T3_PNSZ_IS14_E10value_typeET4_jRbjT5_S1A_jjP12ihipStream_tbEUljE_EEESV_SW_SX_S14_S18_S1A_T6_T7_T9_mT8_S1C_bDpT10_ENKUlT_T0_E_clISt17integral_constantIbLb1EES1O_IbLb0EEEEDaS1K_S1L_EUlS1K_E_NS1_11comp_targetILNS1_3genE5ELNS1_11target_archE942ELNS1_3gpuE9ELNS1_3repE0EEENS1_30default_config_static_selectorELNS0_4arch9wavefront6targetE1EEEvSY_.private_seg_size, 0
	.set _ZN7rocprim17ROCPRIM_400000_NS6detail17trampoline_kernelINS0_13select_configILj256ELj13ELNS0_17block_load_methodE3ELS4_3ELS4_3ELNS0_20block_scan_algorithmE0ELj4294967295EEENS1_25partition_config_selectorILNS1_17partition_subalgoE3EjNS0_10empty_typeEbEEZZNS1_14partition_implILS8_3ELb0ES6_jNS0_17counting_iteratorIjlEEPS9_SE_NS0_5tupleIJPjSE_EEENSF_IJSE_SE_EEES9_SG_JZNS1_25segmented_radix_sort_implINS0_14default_configELb1EPKbPbPKlPlN2at6native12_GLOBAL__N_18offset_tEEE10hipError_tPvRmT1_PNSt15iterator_traitsISY_E10value_typeET2_T3_PNSZ_IS14_E10value_typeET4_jRbjT5_S1A_jjP12ihipStream_tbEUljE_EEESV_SW_SX_S14_S18_S1A_T6_T7_T9_mT8_S1C_bDpT10_ENKUlT_T0_E_clISt17integral_constantIbLb1EES1O_IbLb0EEEEDaS1K_S1L_EUlS1K_E_NS1_11comp_targetILNS1_3genE5ELNS1_11target_archE942ELNS1_3gpuE9ELNS1_3repE0EEENS1_30default_config_static_selectorELNS0_4arch9wavefront6targetE1EEEvSY_.uses_vcc, 0
	.set _ZN7rocprim17ROCPRIM_400000_NS6detail17trampoline_kernelINS0_13select_configILj256ELj13ELNS0_17block_load_methodE3ELS4_3ELS4_3ELNS0_20block_scan_algorithmE0ELj4294967295EEENS1_25partition_config_selectorILNS1_17partition_subalgoE3EjNS0_10empty_typeEbEEZZNS1_14partition_implILS8_3ELb0ES6_jNS0_17counting_iteratorIjlEEPS9_SE_NS0_5tupleIJPjSE_EEENSF_IJSE_SE_EEES9_SG_JZNS1_25segmented_radix_sort_implINS0_14default_configELb1EPKbPbPKlPlN2at6native12_GLOBAL__N_18offset_tEEE10hipError_tPvRmT1_PNSt15iterator_traitsISY_E10value_typeET2_T3_PNSZ_IS14_E10value_typeET4_jRbjT5_S1A_jjP12ihipStream_tbEUljE_EEESV_SW_SX_S14_S18_S1A_T6_T7_T9_mT8_S1C_bDpT10_ENKUlT_T0_E_clISt17integral_constantIbLb1EES1O_IbLb0EEEEDaS1K_S1L_EUlS1K_E_NS1_11comp_targetILNS1_3genE5ELNS1_11target_archE942ELNS1_3gpuE9ELNS1_3repE0EEENS1_30default_config_static_selectorELNS0_4arch9wavefront6targetE1EEEvSY_.uses_flat_scratch, 0
	.set _ZN7rocprim17ROCPRIM_400000_NS6detail17trampoline_kernelINS0_13select_configILj256ELj13ELNS0_17block_load_methodE3ELS4_3ELS4_3ELNS0_20block_scan_algorithmE0ELj4294967295EEENS1_25partition_config_selectorILNS1_17partition_subalgoE3EjNS0_10empty_typeEbEEZZNS1_14partition_implILS8_3ELb0ES6_jNS0_17counting_iteratorIjlEEPS9_SE_NS0_5tupleIJPjSE_EEENSF_IJSE_SE_EEES9_SG_JZNS1_25segmented_radix_sort_implINS0_14default_configELb1EPKbPbPKlPlN2at6native12_GLOBAL__N_18offset_tEEE10hipError_tPvRmT1_PNSt15iterator_traitsISY_E10value_typeET2_T3_PNSZ_IS14_E10value_typeET4_jRbjT5_S1A_jjP12ihipStream_tbEUljE_EEESV_SW_SX_S14_S18_S1A_T6_T7_T9_mT8_S1C_bDpT10_ENKUlT_T0_E_clISt17integral_constantIbLb1EES1O_IbLb0EEEEDaS1K_S1L_EUlS1K_E_NS1_11comp_targetILNS1_3genE5ELNS1_11target_archE942ELNS1_3gpuE9ELNS1_3repE0EEENS1_30default_config_static_selectorELNS0_4arch9wavefront6targetE1EEEvSY_.has_dyn_sized_stack, 0
	.set _ZN7rocprim17ROCPRIM_400000_NS6detail17trampoline_kernelINS0_13select_configILj256ELj13ELNS0_17block_load_methodE3ELS4_3ELS4_3ELNS0_20block_scan_algorithmE0ELj4294967295EEENS1_25partition_config_selectorILNS1_17partition_subalgoE3EjNS0_10empty_typeEbEEZZNS1_14partition_implILS8_3ELb0ES6_jNS0_17counting_iteratorIjlEEPS9_SE_NS0_5tupleIJPjSE_EEENSF_IJSE_SE_EEES9_SG_JZNS1_25segmented_radix_sort_implINS0_14default_configELb1EPKbPbPKlPlN2at6native12_GLOBAL__N_18offset_tEEE10hipError_tPvRmT1_PNSt15iterator_traitsISY_E10value_typeET2_T3_PNSZ_IS14_E10value_typeET4_jRbjT5_S1A_jjP12ihipStream_tbEUljE_EEESV_SW_SX_S14_S18_S1A_T6_T7_T9_mT8_S1C_bDpT10_ENKUlT_T0_E_clISt17integral_constantIbLb1EES1O_IbLb0EEEEDaS1K_S1L_EUlS1K_E_NS1_11comp_targetILNS1_3genE5ELNS1_11target_archE942ELNS1_3gpuE9ELNS1_3repE0EEENS1_30default_config_static_selectorELNS0_4arch9wavefront6targetE1EEEvSY_.has_recursion, 0
	.set _ZN7rocprim17ROCPRIM_400000_NS6detail17trampoline_kernelINS0_13select_configILj256ELj13ELNS0_17block_load_methodE3ELS4_3ELS4_3ELNS0_20block_scan_algorithmE0ELj4294967295EEENS1_25partition_config_selectorILNS1_17partition_subalgoE3EjNS0_10empty_typeEbEEZZNS1_14partition_implILS8_3ELb0ES6_jNS0_17counting_iteratorIjlEEPS9_SE_NS0_5tupleIJPjSE_EEENSF_IJSE_SE_EEES9_SG_JZNS1_25segmented_radix_sort_implINS0_14default_configELb1EPKbPbPKlPlN2at6native12_GLOBAL__N_18offset_tEEE10hipError_tPvRmT1_PNSt15iterator_traitsISY_E10value_typeET2_T3_PNSZ_IS14_E10value_typeET4_jRbjT5_S1A_jjP12ihipStream_tbEUljE_EEESV_SW_SX_S14_S18_S1A_T6_T7_T9_mT8_S1C_bDpT10_ENKUlT_T0_E_clISt17integral_constantIbLb1EES1O_IbLb0EEEEDaS1K_S1L_EUlS1K_E_NS1_11comp_targetILNS1_3genE5ELNS1_11target_archE942ELNS1_3gpuE9ELNS1_3repE0EEENS1_30default_config_static_selectorELNS0_4arch9wavefront6targetE1EEEvSY_.has_indirect_call, 0
	.section	.AMDGPU.csdata,"",@progbits
; Kernel info:
; codeLenInByte = 0
; TotalNumSgprs: 4
; NumVgprs: 0
; ScratchSize: 0
; MemoryBound: 0
; FloatMode: 240
; IeeeMode: 1
; LDSByteSize: 0 bytes/workgroup (compile time only)
; SGPRBlocks: 0
; VGPRBlocks: 0
; NumSGPRsForWavesPerEU: 4
; NumVGPRsForWavesPerEU: 1
; Occupancy: 10
; WaveLimiterHint : 0
; COMPUTE_PGM_RSRC2:SCRATCH_EN: 0
; COMPUTE_PGM_RSRC2:USER_SGPR: 6
; COMPUTE_PGM_RSRC2:TRAP_HANDLER: 0
; COMPUTE_PGM_RSRC2:TGID_X_EN: 1
; COMPUTE_PGM_RSRC2:TGID_Y_EN: 0
; COMPUTE_PGM_RSRC2:TGID_Z_EN: 0
; COMPUTE_PGM_RSRC2:TIDIG_COMP_CNT: 0
	.section	.text._ZN7rocprim17ROCPRIM_400000_NS6detail17trampoline_kernelINS0_13select_configILj256ELj13ELNS0_17block_load_methodE3ELS4_3ELS4_3ELNS0_20block_scan_algorithmE0ELj4294967295EEENS1_25partition_config_selectorILNS1_17partition_subalgoE3EjNS0_10empty_typeEbEEZZNS1_14partition_implILS8_3ELb0ES6_jNS0_17counting_iteratorIjlEEPS9_SE_NS0_5tupleIJPjSE_EEENSF_IJSE_SE_EEES9_SG_JZNS1_25segmented_radix_sort_implINS0_14default_configELb1EPKbPbPKlPlN2at6native12_GLOBAL__N_18offset_tEEE10hipError_tPvRmT1_PNSt15iterator_traitsISY_E10value_typeET2_T3_PNSZ_IS14_E10value_typeET4_jRbjT5_S1A_jjP12ihipStream_tbEUljE_EEESV_SW_SX_S14_S18_S1A_T6_T7_T9_mT8_S1C_bDpT10_ENKUlT_T0_E_clISt17integral_constantIbLb1EES1O_IbLb0EEEEDaS1K_S1L_EUlS1K_E_NS1_11comp_targetILNS1_3genE4ELNS1_11target_archE910ELNS1_3gpuE8ELNS1_3repE0EEENS1_30default_config_static_selectorELNS0_4arch9wavefront6targetE1EEEvSY_,"axG",@progbits,_ZN7rocprim17ROCPRIM_400000_NS6detail17trampoline_kernelINS0_13select_configILj256ELj13ELNS0_17block_load_methodE3ELS4_3ELS4_3ELNS0_20block_scan_algorithmE0ELj4294967295EEENS1_25partition_config_selectorILNS1_17partition_subalgoE3EjNS0_10empty_typeEbEEZZNS1_14partition_implILS8_3ELb0ES6_jNS0_17counting_iteratorIjlEEPS9_SE_NS0_5tupleIJPjSE_EEENSF_IJSE_SE_EEES9_SG_JZNS1_25segmented_radix_sort_implINS0_14default_configELb1EPKbPbPKlPlN2at6native12_GLOBAL__N_18offset_tEEE10hipError_tPvRmT1_PNSt15iterator_traitsISY_E10value_typeET2_T3_PNSZ_IS14_E10value_typeET4_jRbjT5_S1A_jjP12ihipStream_tbEUljE_EEESV_SW_SX_S14_S18_S1A_T6_T7_T9_mT8_S1C_bDpT10_ENKUlT_T0_E_clISt17integral_constantIbLb1EES1O_IbLb0EEEEDaS1K_S1L_EUlS1K_E_NS1_11comp_targetILNS1_3genE4ELNS1_11target_archE910ELNS1_3gpuE8ELNS1_3repE0EEENS1_30default_config_static_selectorELNS0_4arch9wavefront6targetE1EEEvSY_,comdat
	.globl	_ZN7rocprim17ROCPRIM_400000_NS6detail17trampoline_kernelINS0_13select_configILj256ELj13ELNS0_17block_load_methodE3ELS4_3ELS4_3ELNS0_20block_scan_algorithmE0ELj4294967295EEENS1_25partition_config_selectorILNS1_17partition_subalgoE3EjNS0_10empty_typeEbEEZZNS1_14partition_implILS8_3ELb0ES6_jNS0_17counting_iteratorIjlEEPS9_SE_NS0_5tupleIJPjSE_EEENSF_IJSE_SE_EEES9_SG_JZNS1_25segmented_radix_sort_implINS0_14default_configELb1EPKbPbPKlPlN2at6native12_GLOBAL__N_18offset_tEEE10hipError_tPvRmT1_PNSt15iterator_traitsISY_E10value_typeET2_T3_PNSZ_IS14_E10value_typeET4_jRbjT5_S1A_jjP12ihipStream_tbEUljE_EEESV_SW_SX_S14_S18_S1A_T6_T7_T9_mT8_S1C_bDpT10_ENKUlT_T0_E_clISt17integral_constantIbLb1EES1O_IbLb0EEEEDaS1K_S1L_EUlS1K_E_NS1_11comp_targetILNS1_3genE4ELNS1_11target_archE910ELNS1_3gpuE8ELNS1_3repE0EEENS1_30default_config_static_selectorELNS0_4arch9wavefront6targetE1EEEvSY_ ; -- Begin function _ZN7rocprim17ROCPRIM_400000_NS6detail17trampoline_kernelINS0_13select_configILj256ELj13ELNS0_17block_load_methodE3ELS4_3ELS4_3ELNS0_20block_scan_algorithmE0ELj4294967295EEENS1_25partition_config_selectorILNS1_17partition_subalgoE3EjNS0_10empty_typeEbEEZZNS1_14partition_implILS8_3ELb0ES6_jNS0_17counting_iteratorIjlEEPS9_SE_NS0_5tupleIJPjSE_EEENSF_IJSE_SE_EEES9_SG_JZNS1_25segmented_radix_sort_implINS0_14default_configELb1EPKbPbPKlPlN2at6native12_GLOBAL__N_18offset_tEEE10hipError_tPvRmT1_PNSt15iterator_traitsISY_E10value_typeET2_T3_PNSZ_IS14_E10value_typeET4_jRbjT5_S1A_jjP12ihipStream_tbEUljE_EEESV_SW_SX_S14_S18_S1A_T6_T7_T9_mT8_S1C_bDpT10_ENKUlT_T0_E_clISt17integral_constantIbLb1EES1O_IbLb0EEEEDaS1K_S1L_EUlS1K_E_NS1_11comp_targetILNS1_3genE4ELNS1_11target_archE910ELNS1_3gpuE8ELNS1_3repE0EEENS1_30default_config_static_selectorELNS0_4arch9wavefront6targetE1EEEvSY_
	.p2align	8
	.type	_ZN7rocprim17ROCPRIM_400000_NS6detail17trampoline_kernelINS0_13select_configILj256ELj13ELNS0_17block_load_methodE3ELS4_3ELS4_3ELNS0_20block_scan_algorithmE0ELj4294967295EEENS1_25partition_config_selectorILNS1_17partition_subalgoE3EjNS0_10empty_typeEbEEZZNS1_14partition_implILS8_3ELb0ES6_jNS0_17counting_iteratorIjlEEPS9_SE_NS0_5tupleIJPjSE_EEENSF_IJSE_SE_EEES9_SG_JZNS1_25segmented_radix_sort_implINS0_14default_configELb1EPKbPbPKlPlN2at6native12_GLOBAL__N_18offset_tEEE10hipError_tPvRmT1_PNSt15iterator_traitsISY_E10value_typeET2_T3_PNSZ_IS14_E10value_typeET4_jRbjT5_S1A_jjP12ihipStream_tbEUljE_EEESV_SW_SX_S14_S18_S1A_T6_T7_T9_mT8_S1C_bDpT10_ENKUlT_T0_E_clISt17integral_constantIbLb1EES1O_IbLb0EEEEDaS1K_S1L_EUlS1K_E_NS1_11comp_targetILNS1_3genE4ELNS1_11target_archE910ELNS1_3gpuE8ELNS1_3repE0EEENS1_30default_config_static_selectorELNS0_4arch9wavefront6targetE1EEEvSY_,@function
_ZN7rocprim17ROCPRIM_400000_NS6detail17trampoline_kernelINS0_13select_configILj256ELj13ELNS0_17block_load_methodE3ELS4_3ELS4_3ELNS0_20block_scan_algorithmE0ELj4294967295EEENS1_25partition_config_selectorILNS1_17partition_subalgoE3EjNS0_10empty_typeEbEEZZNS1_14partition_implILS8_3ELb0ES6_jNS0_17counting_iteratorIjlEEPS9_SE_NS0_5tupleIJPjSE_EEENSF_IJSE_SE_EEES9_SG_JZNS1_25segmented_radix_sort_implINS0_14default_configELb1EPKbPbPKlPlN2at6native12_GLOBAL__N_18offset_tEEE10hipError_tPvRmT1_PNSt15iterator_traitsISY_E10value_typeET2_T3_PNSZ_IS14_E10value_typeET4_jRbjT5_S1A_jjP12ihipStream_tbEUljE_EEESV_SW_SX_S14_S18_S1A_T6_T7_T9_mT8_S1C_bDpT10_ENKUlT_T0_E_clISt17integral_constantIbLb1EES1O_IbLb0EEEEDaS1K_S1L_EUlS1K_E_NS1_11comp_targetILNS1_3genE4ELNS1_11target_archE910ELNS1_3gpuE8ELNS1_3repE0EEENS1_30default_config_static_selectorELNS0_4arch9wavefront6targetE1EEEvSY_: ; @_ZN7rocprim17ROCPRIM_400000_NS6detail17trampoline_kernelINS0_13select_configILj256ELj13ELNS0_17block_load_methodE3ELS4_3ELS4_3ELNS0_20block_scan_algorithmE0ELj4294967295EEENS1_25partition_config_selectorILNS1_17partition_subalgoE3EjNS0_10empty_typeEbEEZZNS1_14partition_implILS8_3ELb0ES6_jNS0_17counting_iteratorIjlEEPS9_SE_NS0_5tupleIJPjSE_EEENSF_IJSE_SE_EEES9_SG_JZNS1_25segmented_radix_sort_implINS0_14default_configELb1EPKbPbPKlPlN2at6native12_GLOBAL__N_18offset_tEEE10hipError_tPvRmT1_PNSt15iterator_traitsISY_E10value_typeET2_T3_PNSZ_IS14_E10value_typeET4_jRbjT5_S1A_jjP12ihipStream_tbEUljE_EEESV_SW_SX_S14_S18_S1A_T6_T7_T9_mT8_S1C_bDpT10_ENKUlT_T0_E_clISt17integral_constantIbLb1EES1O_IbLb0EEEEDaS1K_S1L_EUlS1K_E_NS1_11comp_targetILNS1_3genE4ELNS1_11target_archE910ELNS1_3gpuE8ELNS1_3repE0EEENS1_30default_config_static_selectorELNS0_4arch9wavefront6targetE1EEEvSY_
; %bb.0:
	.section	.rodata,"a",@progbits
	.p2align	6, 0x0
	.amdhsa_kernel _ZN7rocprim17ROCPRIM_400000_NS6detail17trampoline_kernelINS0_13select_configILj256ELj13ELNS0_17block_load_methodE3ELS4_3ELS4_3ELNS0_20block_scan_algorithmE0ELj4294967295EEENS1_25partition_config_selectorILNS1_17partition_subalgoE3EjNS0_10empty_typeEbEEZZNS1_14partition_implILS8_3ELb0ES6_jNS0_17counting_iteratorIjlEEPS9_SE_NS0_5tupleIJPjSE_EEENSF_IJSE_SE_EEES9_SG_JZNS1_25segmented_radix_sort_implINS0_14default_configELb1EPKbPbPKlPlN2at6native12_GLOBAL__N_18offset_tEEE10hipError_tPvRmT1_PNSt15iterator_traitsISY_E10value_typeET2_T3_PNSZ_IS14_E10value_typeET4_jRbjT5_S1A_jjP12ihipStream_tbEUljE_EEESV_SW_SX_S14_S18_S1A_T6_T7_T9_mT8_S1C_bDpT10_ENKUlT_T0_E_clISt17integral_constantIbLb1EES1O_IbLb0EEEEDaS1K_S1L_EUlS1K_E_NS1_11comp_targetILNS1_3genE4ELNS1_11target_archE910ELNS1_3gpuE8ELNS1_3repE0EEENS1_30default_config_static_selectorELNS0_4arch9wavefront6targetE1EEEvSY_
		.amdhsa_group_segment_fixed_size 0
		.amdhsa_private_segment_fixed_size 0
		.amdhsa_kernarg_size 144
		.amdhsa_user_sgpr_count 6
		.amdhsa_user_sgpr_private_segment_buffer 1
		.amdhsa_user_sgpr_dispatch_ptr 0
		.amdhsa_user_sgpr_queue_ptr 0
		.amdhsa_user_sgpr_kernarg_segment_ptr 1
		.amdhsa_user_sgpr_dispatch_id 0
		.amdhsa_user_sgpr_flat_scratch_init 0
		.amdhsa_user_sgpr_private_segment_size 0
		.amdhsa_uses_dynamic_stack 0
		.amdhsa_system_sgpr_private_segment_wavefront_offset 0
		.amdhsa_system_sgpr_workgroup_id_x 1
		.amdhsa_system_sgpr_workgroup_id_y 0
		.amdhsa_system_sgpr_workgroup_id_z 0
		.amdhsa_system_sgpr_workgroup_info 0
		.amdhsa_system_vgpr_workitem_id 0
		.amdhsa_next_free_vgpr 1
		.amdhsa_next_free_sgpr 0
		.amdhsa_reserve_vcc 0
		.amdhsa_reserve_flat_scratch 0
		.amdhsa_float_round_mode_32 0
		.amdhsa_float_round_mode_16_64 0
		.amdhsa_float_denorm_mode_32 3
		.amdhsa_float_denorm_mode_16_64 3
		.amdhsa_dx10_clamp 1
		.amdhsa_ieee_mode 1
		.amdhsa_fp16_overflow 0
		.amdhsa_exception_fp_ieee_invalid_op 0
		.amdhsa_exception_fp_denorm_src 0
		.amdhsa_exception_fp_ieee_div_zero 0
		.amdhsa_exception_fp_ieee_overflow 0
		.amdhsa_exception_fp_ieee_underflow 0
		.amdhsa_exception_fp_ieee_inexact 0
		.amdhsa_exception_int_div_zero 0
	.end_amdhsa_kernel
	.section	.text._ZN7rocprim17ROCPRIM_400000_NS6detail17trampoline_kernelINS0_13select_configILj256ELj13ELNS0_17block_load_methodE3ELS4_3ELS4_3ELNS0_20block_scan_algorithmE0ELj4294967295EEENS1_25partition_config_selectorILNS1_17partition_subalgoE3EjNS0_10empty_typeEbEEZZNS1_14partition_implILS8_3ELb0ES6_jNS0_17counting_iteratorIjlEEPS9_SE_NS0_5tupleIJPjSE_EEENSF_IJSE_SE_EEES9_SG_JZNS1_25segmented_radix_sort_implINS0_14default_configELb1EPKbPbPKlPlN2at6native12_GLOBAL__N_18offset_tEEE10hipError_tPvRmT1_PNSt15iterator_traitsISY_E10value_typeET2_T3_PNSZ_IS14_E10value_typeET4_jRbjT5_S1A_jjP12ihipStream_tbEUljE_EEESV_SW_SX_S14_S18_S1A_T6_T7_T9_mT8_S1C_bDpT10_ENKUlT_T0_E_clISt17integral_constantIbLb1EES1O_IbLb0EEEEDaS1K_S1L_EUlS1K_E_NS1_11comp_targetILNS1_3genE4ELNS1_11target_archE910ELNS1_3gpuE8ELNS1_3repE0EEENS1_30default_config_static_selectorELNS0_4arch9wavefront6targetE1EEEvSY_,"axG",@progbits,_ZN7rocprim17ROCPRIM_400000_NS6detail17trampoline_kernelINS0_13select_configILj256ELj13ELNS0_17block_load_methodE3ELS4_3ELS4_3ELNS0_20block_scan_algorithmE0ELj4294967295EEENS1_25partition_config_selectorILNS1_17partition_subalgoE3EjNS0_10empty_typeEbEEZZNS1_14partition_implILS8_3ELb0ES6_jNS0_17counting_iteratorIjlEEPS9_SE_NS0_5tupleIJPjSE_EEENSF_IJSE_SE_EEES9_SG_JZNS1_25segmented_radix_sort_implINS0_14default_configELb1EPKbPbPKlPlN2at6native12_GLOBAL__N_18offset_tEEE10hipError_tPvRmT1_PNSt15iterator_traitsISY_E10value_typeET2_T3_PNSZ_IS14_E10value_typeET4_jRbjT5_S1A_jjP12ihipStream_tbEUljE_EEESV_SW_SX_S14_S18_S1A_T6_T7_T9_mT8_S1C_bDpT10_ENKUlT_T0_E_clISt17integral_constantIbLb1EES1O_IbLb0EEEEDaS1K_S1L_EUlS1K_E_NS1_11comp_targetILNS1_3genE4ELNS1_11target_archE910ELNS1_3gpuE8ELNS1_3repE0EEENS1_30default_config_static_selectorELNS0_4arch9wavefront6targetE1EEEvSY_,comdat
.Lfunc_end1518:
	.size	_ZN7rocprim17ROCPRIM_400000_NS6detail17trampoline_kernelINS0_13select_configILj256ELj13ELNS0_17block_load_methodE3ELS4_3ELS4_3ELNS0_20block_scan_algorithmE0ELj4294967295EEENS1_25partition_config_selectorILNS1_17partition_subalgoE3EjNS0_10empty_typeEbEEZZNS1_14partition_implILS8_3ELb0ES6_jNS0_17counting_iteratorIjlEEPS9_SE_NS0_5tupleIJPjSE_EEENSF_IJSE_SE_EEES9_SG_JZNS1_25segmented_radix_sort_implINS0_14default_configELb1EPKbPbPKlPlN2at6native12_GLOBAL__N_18offset_tEEE10hipError_tPvRmT1_PNSt15iterator_traitsISY_E10value_typeET2_T3_PNSZ_IS14_E10value_typeET4_jRbjT5_S1A_jjP12ihipStream_tbEUljE_EEESV_SW_SX_S14_S18_S1A_T6_T7_T9_mT8_S1C_bDpT10_ENKUlT_T0_E_clISt17integral_constantIbLb1EES1O_IbLb0EEEEDaS1K_S1L_EUlS1K_E_NS1_11comp_targetILNS1_3genE4ELNS1_11target_archE910ELNS1_3gpuE8ELNS1_3repE0EEENS1_30default_config_static_selectorELNS0_4arch9wavefront6targetE1EEEvSY_, .Lfunc_end1518-_ZN7rocprim17ROCPRIM_400000_NS6detail17trampoline_kernelINS0_13select_configILj256ELj13ELNS0_17block_load_methodE3ELS4_3ELS4_3ELNS0_20block_scan_algorithmE0ELj4294967295EEENS1_25partition_config_selectorILNS1_17partition_subalgoE3EjNS0_10empty_typeEbEEZZNS1_14partition_implILS8_3ELb0ES6_jNS0_17counting_iteratorIjlEEPS9_SE_NS0_5tupleIJPjSE_EEENSF_IJSE_SE_EEES9_SG_JZNS1_25segmented_radix_sort_implINS0_14default_configELb1EPKbPbPKlPlN2at6native12_GLOBAL__N_18offset_tEEE10hipError_tPvRmT1_PNSt15iterator_traitsISY_E10value_typeET2_T3_PNSZ_IS14_E10value_typeET4_jRbjT5_S1A_jjP12ihipStream_tbEUljE_EEESV_SW_SX_S14_S18_S1A_T6_T7_T9_mT8_S1C_bDpT10_ENKUlT_T0_E_clISt17integral_constantIbLb1EES1O_IbLb0EEEEDaS1K_S1L_EUlS1K_E_NS1_11comp_targetILNS1_3genE4ELNS1_11target_archE910ELNS1_3gpuE8ELNS1_3repE0EEENS1_30default_config_static_selectorELNS0_4arch9wavefront6targetE1EEEvSY_
                                        ; -- End function
	.set _ZN7rocprim17ROCPRIM_400000_NS6detail17trampoline_kernelINS0_13select_configILj256ELj13ELNS0_17block_load_methodE3ELS4_3ELS4_3ELNS0_20block_scan_algorithmE0ELj4294967295EEENS1_25partition_config_selectorILNS1_17partition_subalgoE3EjNS0_10empty_typeEbEEZZNS1_14partition_implILS8_3ELb0ES6_jNS0_17counting_iteratorIjlEEPS9_SE_NS0_5tupleIJPjSE_EEENSF_IJSE_SE_EEES9_SG_JZNS1_25segmented_radix_sort_implINS0_14default_configELb1EPKbPbPKlPlN2at6native12_GLOBAL__N_18offset_tEEE10hipError_tPvRmT1_PNSt15iterator_traitsISY_E10value_typeET2_T3_PNSZ_IS14_E10value_typeET4_jRbjT5_S1A_jjP12ihipStream_tbEUljE_EEESV_SW_SX_S14_S18_S1A_T6_T7_T9_mT8_S1C_bDpT10_ENKUlT_T0_E_clISt17integral_constantIbLb1EES1O_IbLb0EEEEDaS1K_S1L_EUlS1K_E_NS1_11comp_targetILNS1_3genE4ELNS1_11target_archE910ELNS1_3gpuE8ELNS1_3repE0EEENS1_30default_config_static_selectorELNS0_4arch9wavefront6targetE1EEEvSY_.num_vgpr, 0
	.set _ZN7rocprim17ROCPRIM_400000_NS6detail17trampoline_kernelINS0_13select_configILj256ELj13ELNS0_17block_load_methodE3ELS4_3ELS4_3ELNS0_20block_scan_algorithmE0ELj4294967295EEENS1_25partition_config_selectorILNS1_17partition_subalgoE3EjNS0_10empty_typeEbEEZZNS1_14partition_implILS8_3ELb0ES6_jNS0_17counting_iteratorIjlEEPS9_SE_NS0_5tupleIJPjSE_EEENSF_IJSE_SE_EEES9_SG_JZNS1_25segmented_radix_sort_implINS0_14default_configELb1EPKbPbPKlPlN2at6native12_GLOBAL__N_18offset_tEEE10hipError_tPvRmT1_PNSt15iterator_traitsISY_E10value_typeET2_T3_PNSZ_IS14_E10value_typeET4_jRbjT5_S1A_jjP12ihipStream_tbEUljE_EEESV_SW_SX_S14_S18_S1A_T6_T7_T9_mT8_S1C_bDpT10_ENKUlT_T0_E_clISt17integral_constantIbLb1EES1O_IbLb0EEEEDaS1K_S1L_EUlS1K_E_NS1_11comp_targetILNS1_3genE4ELNS1_11target_archE910ELNS1_3gpuE8ELNS1_3repE0EEENS1_30default_config_static_selectorELNS0_4arch9wavefront6targetE1EEEvSY_.num_agpr, 0
	.set _ZN7rocprim17ROCPRIM_400000_NS6detail17trampoline_kernelINS0_13select_configILj256ELj13ELNS0_17block_load_methodE3ELS4_3ELS4_3ELNS0_20block_scan_algorithmE0ELj4294967295EEENS1_25partition_config_selectorILNS1_17partition_subalgoE3EjNS0_10empty_typeEbEEZZNS1_14partition_implILS8_3ELb0ES6_jNS0_17counting_iteratorIjlEEPS9_SE_NS0_5tupleIJPjSE_EEENSF_IJSE_SE_EEES9_SG_JZNS1_25segmented_radix_sort_implINS0_14default_configELb1EPKbPbPKlPlN2at6native12_GLOBAL__N_18offset_tEEE10hipError_tPvRmT1_PNSt15iterator_traitsISY_E10value_typeET2_T3_PNSZ_IS14_E10value_typeET4_jRbjT5_S1A_jjP12ihipStream_tbEUljE_EEESV_SW_SX_S14_S18_S1A_T6_T7_T9_mT8_S1C_bDpT10_ENKUlT_T0_E_clISt17integral_constantIbLb1EES1O_IbLb0EEEEDaS1K_S1L_EUlS1K_E_NS1_11comp_targetILNS1_3genE4ELNS1_11target_archE910ELNS1_3gpuE8ELNS1_3repE0EEENS1_30default_config_static_selectorELNS0_4arch9wavefront6targetE1EEEvSY_.numbered_sgpr, 0
	.set _ZN7rocprim17ROCPRIM_400000_NS6detail17trampoline_kernelINS0_13select_configILj256ELj13ELNS0_17block_load_methodE3ELS4_3ELS4_3ELNS0_20block_scan_algorithmE0ELj4294967295EEENS1_25partition_config_selectorILNS1_17partition_subalgoE3EjNS0_10empty_typeEbEEZZNS1_14partition_implILS8_3ELb0ES6_jNS0_17counting_iteratorIjlEEPS9_SE_NS0_5tupleIJPjSE_EEENSF_IJSE_SE_EEES9_SG_JZNS1_25segmented_radix_sort_implINS0_14default_configELb1EPKbPbPKlPlN2at6native12_GLOBAL__N_18offset_tEEE10hipError_tPvRmT1_PNSt15iterator_traitsISY_E10value_typeET2_T3_PNSZ_IS14_E10value_typeET4_jRbjT5_S1A_jjP12ihipStream_tbEUljE_EEESV_SW_SX_S14_S18_S1A_T6_T7_T9_mT8_S1C_bDpT10_ENKUlT_T0_E_clISt17integral_constantIbLb1EES1O_IbLb0EEEEDaS1K_S1L_EUlS1K_E_NS1_11comp_targetILNS1_3genE4ELNS1_11target_archE910ELNS1_3gpuE8ELNS1_3repE0EEENS1_30default_config_static_selectorELNS0_4arch9wavefront6targetE1EEEvSY_.num_named_barrier, 0
	.set _ZN7rocprim17ROCPRIM_400000_NS6detail17trampoline_kernelINS0_13select_configILj256ELj13ELNS0_17block_load_methodE3ELS4_3ELS4_3ELNS0_20block_scan_algorithmE0ELj4294967295EEENS1_25partition_config_selectorILNS1_17partition_subalgoE3EjNS0_10empty_typeEbEEZZNS1_14partition_implILS8_3ELb0ES6_jNS0_17counting_iteratorIjlEEPS9_SE_NS0_5tupleIJPjSE_EEENSF_IJSE_SE_EEES9_SG_JZNS1_25segmented_radix_sort_implINS0_14default_configELb1EPKbPbPKlPlN2at6native12_GLOBAL__N_18offset_tEEE10hipError_tPvRmT1_PNSt15iterator_traitsISY_E10value_typeET2_T3_PNSZ_IS14_E10value_typeET4_jRbjT5_S1A_jjP12ihipStream_tbEUljE_EEESV_SW_SX_S14_S18_S1A_T6_T7_T9_mT8_S1C_bDpT10_ENKUlT_T0_E_clISt17integral_constantIbLb1EES1O_IbLb0EEEEDaS1K_S1L_EUlS1K_E_NS1_11comp_targetILNS1_3genE4ELNS1_11target_archE910ELNS1_3gpuE8ELNS1_3repE0EEENS1_30default_config_static_selectorELNS0_4arch9wavefront6targetE1EEEvSY_.private_seg_size, 0
	.set _ZN7rocprim17ROCPRIM_400000_NS6detail17trampoline_kernelINS0_13select_configILj256ELj13ELNS0_17block_load_methodE3ELS4_3ELS4_3ELNS0_20block_scan_algorithmE0ELj4294967295EEENS1_25partition_config_selectorILNS1_17partition_subalgoE3EjNS0_10empty_typeEbEEZZNS1_14partition_implILS8_3ELb0ES6_jNS0_17counting_iteratorIjlEEPS9_SE_NS0_5tupleIJPjSE_EEENSF_IJSE_SE_EEES9_SG_JZNS1_25segmented_radix_sort_implINS0_14default_configELb1EPKbPbPKlPlN2at6native12_GLOBAL__N_18offset_tEEE10hipError_tPvRmT1_PNSt15iterator_traitsISY_E10value_typeET2_T3_PNSZ_IS14_E10value_typeET4_jRbjT5_S1A_jjP12ihipStream_tbEUljE_EEESV_SW_SX_S14_S18_S1A_T6_T7_T9_mT8_S1C_bDpT10_ENKUlT_T0_E_clISt17integral_constantIbLb1EES1O_IbLb0EEEEDaS1K_S1L_EUlS1K_E_NS1_11comp_targetILNS1_3genE4ELNS1_11target_archE910ELNS1_3gpuE8ELNS1_3repE0EEENS1_30default_config_static_selectorELNS0_4arch9wavefront6targetE1EEEvSY_.uses_vcc, 0
	.set _ZN7rocprim17ROCPRIM_400000_NS6detail17trampoline_kernelINS0_13select_configILj256ELj13ELNS0_17block_load_methodE3ELS4_3ELS4_3ELNS0_20block_scan_algorithmE0ELj4294967295EEENS1_25partition_config_selectorILNS1_17partition_subalgoE3EjNS0_10empty_typeEbEEZZNS1_14partition_implILS8_3ELb0ES6_jNS0_17counting_iteratorIjlEEPS9_SE_NS0_5tupleIJPjSE_EEENSF_IJSE_SE_EEES9_SG_JZNS1_25segmented_radix_sort_implINS0_14default_configELb1EPKbPbPKlPlN2at6native12_GLOBAL__N_18offset_tEEE10hipError_tPvRmT1_PNSt15iterator_traitsISY_E10value_typeET2_T3_PNSZ_IS14_E10value_typeET4_jRbjT5_S1A_jjP12ihipStream_tbEUljE_EEESV_SW_SX_S14_S18_S1A_T6_T7_T9_mT8_S1C_bDpT10_ENKUlT_T0_E_clISt17integral_constantIbLb1EES1O_IbLb0EEEEDaS1K_S1L_EUlS1K_E_NS1_11comp_targetILNS1_3genE4ELNS1_11target_archE910ELNS1_3gpuE8ELNS1_3repE0EEENS1_30default_config_static_selectorELNS0_4arch9wavefront6targetE1EEEvSY_.uses_flat_scratch, 0
	.set _ZN7rocprim17ROCPRIM_400000_NS6detail17trampoline_kernelINS0_13select_configILj256ELj13ELNS0_17block_load_methodE3ELS4_3ELS4_3ELNS0_20block_scan_algorithmE0ELj4294967295EEENS1_25partition_config_selectorILNS1_17partition_subalgoE3EjNS0_10empty_typeEbEEZZNS1_14partition_implILS8_3ELb0ES6_jNS0_17counting_iteratorIjlEEPS9_SE_NS0_5tupleIJPjSE_EEENSF_IJSE_SE_EEES9_SG_JZNS1_25segmented_radix_sort_implINS0_14default_configELb1EPKbPbPKlPlN2at6native12_GLOBAL__N_18offset_tEEE10hipError_tPvRmT1_PNSt15iterator_traitsISY_E10value_typeET2_T3_PNSZ_IS14_E10value_typeET4_jRbjT5_S1A_jjP12ihipStream_tbEUljE_EEESV_SW_SX_S14_S18_S1A_T6_T7_T9_mT8_S1C_bDpT10_ENKUlT_T0_E_clISt17integral_constantIbLb1EES1O_IbLb0EEEEDaS1K_S1L_EUlS1K_E_NS1_11comp_targetILNS1_3genE4ELNS1_11target_archE910ELNS1_3gpuE8ELNS1_3repE0EEENS1_30default_config_static_selectorELNS0_4arch9wavefront6targetE1EEEvSY_.has_dyn_sized_stack, 0
	.set _ZN7rocprim17ROCPRIM_400000_NS6detail17trampoline_kernelINS0_13select_configILj256ELj13ELNS0_17block_load_methodE3ELS4_3ELS4_3ELNS0_20block_scan_algorithmE0ELj4294967295EEENS1_25partition_config_selectorILNS1_17partition_subalgoE3EjNS0_10empty_typeEbEEZZNS1_14partition_implILS8_3ELb0ES6_jNS0_17counting_iteratorIjlEEPS9_SE_NS0_5tupleIJPjSE_EEENSF_IJSE_SE_EEES9_SG_JZNS1_25segmented_radix_sort_implINS0_14default_configELb1EPKbPbPKlPlN2at6native12_GLOBAL__N_18offset_tEEE10hipError_tPvRmT1_PNSt15iterator_traitsISY_E10value_typeET2_T3_PNSZ_IS14_E10value_typeET4_jRbjT5_S1A_jjP12ihipStream_tbEUljE_EEESV_SW_SX_S14_S18_S1A_T6_T7_T9_mT8_S1C_bDpT10_ENKUlT_T0_E_clISt17integral_constantIbLb1EES1O_IbLb0EEEEDaS1K_S1L_EUlS1K_E_NS1_11comp_targetILNS1_3genE4ELNS1_11target_archE910ELNS1_3gpuE8ELNS1_3repE0EEENS1_30default_config_static_selectorELNS0_4arch9wavefront6targetE1EEEvSY_.has_recursion, 0
	.set _ZN7rocprim17ROCPRIM_400000_NS6detail17trampoline_kernelINS0_13select_configILj256ELj13ELNS0_17block_load_methodE3ELS4_3ELS4_3ELNS0_20block_scan_algorithmE0ELj4294967295EEENS1_25partition_config_selectorILNS1_17partition_subalgoE3EjNS0_10empty_typeEbEEZZNS1_14partition_implILS8_3ELb0ES6_jNS0_17counting_iteratorIjlEEPS9_SE_NS0_5tupleIJPjSE_EEENSF_IJSE_SE_EEES9_SG_JZNS1_25segmented_radix_sort_implINS0_14default_configELb1EPKbPbPKlPlN2at6native12_GLOBAL__N_18offset_tEEE10hipError_tPvRmT1_PNSt15iterator_traitsISY_E10value_typeET2_T3_PNSZ_IS14_E10value_typeET4_jRbjT5_S1A_jjP12ihipStream_tbEUljE_EEESV_SW_SX_S14_S18_S1A_T6_T7_T9_mT8_S1C_bDpT10_ENKUlT_T0_E_clISt17integral_constantIbLb1EES1O_IbLb0EEEEDaS1K_S1L_EUlS1K_E_NS1_11comp_targetILNS1_3genE4ELNS1_11target_archE910ELNS1_3gpuE8ELNS1_3repE0EEENS1_30default_config_static_selectorELNS0_4arch9wavefront6targetE1EEEvSY_.has_indirect_call, 0
	.section	.AMDGPU.csdata,"",@progbits
; Kernel info:
; codeLenInByte = 0
; TotalNumSgprs: 4
; NumVgprs: 0
; ScratchSize: 0
; MemoryBound: 0
; FloatMode: 240
; IeeeMode: 1
; LDSByteSize: 0 bytes/workgroup (compile time only)
; SGPRBlocks: 0
; VGPRBlocks: 0
; NumSGPRsForWavesPerEU: 4
; NumVGPRsForWavesPerEU: 1
; Occupancy: 10
; WaveLimiterHint : 0
; COMPUTE_PGM_RSRC2:SCRATCH_EN: 0
; COMPUTE_PGM_RSRC2:USER_SGPR: 6
; COMPUTE_PGM_RSRC2:TRAP_HANDLER: 0
; COMPUTE_PGM_RSRC2:TGID_X_EN: 1
; COMPUTE_PGM_RSRC2:TGID_Y_EN: 0
; COMPUTE_PGM_RSRC2:TGID_Z_EN: 0
; COMPUTE_PGM_RSRC2:TIDIG_COMP_CNT: 0
	.section	.text._ZN7rocprim17ROCPRIM_400000_NS6detail17trampoline_kernelINS0_13select_configILj256ELj13ELNS0_17block_load_methodE3ELS4_3ELS4_3ELNS0_20block_scan_algorithmE0ELj4294967295EEENS1_25partition_config_selectorILNS1_17partition_subalgoE3EjNS0_10empty_typeEbEEZZNS1_14partition_implILS8_3ELb0ES6_jNS0_17counting_iteratorIjlEEPS9_SE_NS0_5tupleIJPjSE_EEENSF_IJSE_SE_EEES9_SG_JZNS1_25segmented_radix_sort_implINS0_14default_configELb1EPKbPbPKlPlN2at6native12_GLOBAL__N_18offset_tEEE10hipError_tPvRmT1_PNSt15iterator_traitsISY_E10value_typeET2_T3_PNSZ_IS14_E10value_typeET4_jRbjT5_S1A_jjP12ihipStream_tbEUljE_EEESV_SW_SX_S14_S18_S1A_T6_T7_T9_mT8_S1C_bDpT10_ENKUlT_T0_E_clISt17integral_constantIbLb1EES1O_IbLb0EEEEDaS1K_S1L_EUlS1K_E_NS1_11comp_targetILNS1_3genE3ELNS1_11target_archE908ELNS1_3gpuE7ELNS1_3repE0EEENS1_30default_config_static_selectorELNS0_4arch9wavefront6targetE1EEEvSY_,"axG",@progbits,_ZN7rocprim17ROCPRIM_400000_NS6detail17trampoline_kernelINS0_13select_configILj256ELj13ELNS0_17block_load_methodE3ELS4_3ELS4_3ELNS0_20block_scan_algorithmE0ELj4294967295EEENS1_25partition_config_selectorILNS1_17partition_subalgoE3EjNS0_10empty_typeEbEEZZNS1_14partition_implILS8_3ELb0ES6_jNS0_17counting_iteratorIjlEEPS9_SE_NS0_5tupleIJPjSE_EEENSF_IJSE_SE_EEES9_SG_JZNS1_25segmented_radix_sort_implINS0_14default_configELb1EPKbPbPKlPlN2at6native12_GLOBAL__N_18offset_tEEE10hipError_tPvRmT1_PNSt15iterator_traitsISY_E10value_typeET2_T3_PNSZ_IS14_E10value_typeET4_jRbjT5_S1A_jjP12ihipStream_tbEUljE_EEESV_SW_SX_S14_S18_S1A_T6_T7_T9_mT8_S1C_bDpT10_ENKUlT_T0_E_clISt17integral_constantIbLb1EES1O_IbLb0EEEEDaS1K_S1L_EUlS1K_E_NS1_11comp_targetILNS1_3genE3ELNS1_11target_archE908ELNS1_3gpuE7ELNS1_3repE0EEENS1_30default_config_static_selectorELNS0_4arch9wavefront6targetE1EEEvSY_,comdat
	.globl	_ZN7rocprim17ROCPRIM_400000_NS6detail17trampoline_kernelINS0_13select_configILj256ELj13ELNS0_17block_load_methodE3ELS4_3ELS4_3ELNS0_20block_scan_algorithmE0ELj4294967295EEENS1_25partition_config_selectorILNS1_17partition_subalgoE3EjNS0_10empty_typeEbEEZZNS1_14partition_implILS8_3ELb0ES6_jNS0_17counting_iteratorIjlEEPS9_SE_NS0_5tupleIJPjSE_EEENSF_IJSE_SE_EEES9_SG_JZNS1_25segmented_radix_sort_implINS0_14default_configELb1EPKbPbPKlPlN2at6native12_GLOBAL__N_18offset_tEEE10hipError_tPvRmT1_PNSt15iterator_traitsISY_E10value_typeET2_T3_PNSZ_IS14_E10value_typeET4_jRbjT5_S1A_jjP12ihipStream_tbEUljE_EEESV_SW_SX_S14_S18_S1A_T6_T7_T9_mT8_S1C_bDpT10_ENKUlT_T0_E_clISt17integral_constantIbLb1EES1O_IbLb0EEEEDaS1K_S1L_EUlS1K_E_NS1_11comp_targetILNS1_3genE3ELNS1_11target_archE908ELNS1_3gpuE7ELNS1_3repE0EEENS1_30default_config_static_selectorELNS0_4arch9wavefront6targetE1EEEvSY_ ; -- Begin function _ZN7rocprim17ROCPRIM_400000_NS6detail17trampoline_kernelINS0_13select_configILj256ELj13ELNS0_17block_load_methodE3ELS4_3ELS4_3ELNS0_20block_scan_algorithmE0ELj4294967295EEENS1_25partition_config_selectorILNS1_17partition_subalgoE3EjNS0_10empty_typeEbEEZZNS1_14partition_implILS8_3ELb0ES6_jNS0_17counting_iteratorIjlEEPS9_SE_NS0_5tupleIJPjSE_EEENSF_IJSE_SE_EEES9_SG_JZNS1_25segmented_radix_sort_implINS0_14default_configELb1EPKbPbPKlPlN2at6native12_GLOBAL__N_18offset_tEEE10hipError_tPvRmT1_PNSt15iterator_traitsISY_E10value_typeET2_T3_PNSZ_IS14_E10value_typeET4_jRbjT5_S1A_jjP12ihipStream_tbEUljE_EEESV_SW_SX_S14_S18_S1A_T6_T7_T9_mT8_S1C_bDpT10_ENKUlT_T0_E_clISt17integral_constantIbLb1EES1O_IbLb0EEEEDaS1K_S1L_EUlS1K_E_NS1_11comp_targetILNS1_3genE3ELNS1_11target_archE908ELNS1_3gpuE7ELNS1_3repE0EEENS1_30default_config_static_selectorELNS0_4arch9wavefront6targetE1EEEvSY_
	.p2align	8
	.type	_ZN7rocprim17ROCPRIM_400000_NS6detail17trampoline_kernelINS0_13select_configILj256ELj13ELNS0_17block_load_methodE3ELS4_3ELS4_3ELNS0_20block_scan_algorithmE0ELj4294967295EEENS1_25partition_config_selectorILNS1_17partition_subalgoE3EjNS0_10empty_typeEbEEZZNS1_14partition_implILS8_3ELb0ES6_jNS0_17counting_iteratorIjlEEPS9_SE_NS0_5tupleIJPjSE_EEENSF_IJSE_SE_EEES9_SG_JZNS1_25segmented_radix_sort_implINS0_14default_configELb1EPKbPbPKlPlN2at6native12_GLOBAL__N_18offset_tEEE10hipError_tPvRmT1_PNSt15iterator_traitsISY_E10value_typeET2_T3_PNSZ_IS14_E10value_typeET4_jRbjT5_S1A_jjP12ihipStream_tbEUljE_EEESV_SW_SX_S14_S18_S1A_T6_T7_T9_mT8_S1C_bDpT10_ENKUlT_T0_E_clISt17integral_constantIbLb1EES1O_IbLb0EEEEDaS1K_S1L_EUlS1K_E_NS1_11comp_targetILNS1_3genE3ELNS1_11target_archE908ELNS1_3gpuE7ELNS1_3repE0EEENS1_30default_config_static_selectorELNS0_4arch9wavefront6targetE1EEEvSY_,@function
_ZN7rocprim17ROCPRIM_400000_NS6detail17trampoline_kernelINS0_13select_configILj256ELj13ELNS0_17block_load_methodE3ELS4_3ELS4_3ELNS0_20block_scan_algorithmE0ELj4294967295EEENS1_25partition_config_selectorILNS1_17partition_subalgoE3EjNS0_10empty_typeEbEEZZNS1_14partition_implILS8_3ELb0ES6_jNS0_17counting_iteratorIjlEEPS9_SE_NS0_5tupleIJPjSE_EEENSF_IJSE_SE_EEES9_SG_JZNS1_25segmented_radix_sort_implINS0_14default_configELb1EPKbPbPKlPlN2at6native12_GLOBAL__N_18offset_tEEE10hipError_tPvRmT1_PNSt15iterator_traitsISY_E10value_typeET2_T3_PNSZ_IS14_E10value_typeET4_jRbjT5_S1A_jjP12ihipStream_tbEUljE_EEESV_SW_SX_S14_S18_S1A_T6_T7_T9_mT8_S1C_bDpT10_ENKUlT_T0_E_clISt17integral_constantIbLb1EES1O_IbLb0EEEEDaS1K_S1L_EUlS1K_E_NS1_11comp_targetILNS1_3genE3ELNS1_11target_archE908ELNS1_3gpuE7ELNS1_3repE0EEENS1_30default_config_static_selectorELNS0_4arch9wavefront6targetE1EEEvSY_: ; @_ZN7rocprim17ROCPRIM_400000_NS6detail17trampoline_kernelINS0_13select_configILj256ELj13ELNS0_17block_load_methodE3ELS4_3ELS4_3ELNS0_20block_scan_algorithmE0ELj4294967295EEENS1_25partition_config_selectorILNS1_17partition_subalgoE3EjNS0_10empty_typeEbEEZZNS1_14partition_implILS8_3ELb0ES6_jNS0_17counting_iteratorIjlEEPS9_SE_NS0_5tupleIJPjSE_EEENSF_IJSE_SE_EEES9_SG_JZNS1_25segmented_radix_sort_implINS0_14default_configELb1EPKbPbPKlPlN2at6native12_GLOBAL__N_18offset_tEEE10hipError_tPvRmT1_PNSt15iterator_traitsISY_E10value_typeET2_T3_PNSZ_IS14_E10value_typeET4_jRbjT5_S1A_jjP12ihipStream_tbEUljE_EEESV_SW_SX_S14_S18_S1A_T6_T7_T9_mT8_S1C_bDpT10_ENKUlT_T0_E_clISt17integral_constantIbLb1EES1O_IbLb0EEEEDaS1K_S1L_EUlS1K_E_NS1_11comp_targetILNS1_3genE3ELNS1_11target_archE908ELNS1_3gpuE7ELNS1_3repE0EEENS1_30default_config_static_selectorELNS0_4arch9wavefront6targetE1EEEvSY_
; %bb.0:
	.section	.rodata,"a",@progbits
	.p2align	6, 0x0
	.amdhsa_kernel _ZN7rocprim17ROCPRIM_400000_NS6detail17trampoline_kernelINS0_13select_configILj256ELj13ELNS0_17block_load_methodE3ELS4_3ELS4_3ELNS0_20block_scan_algorithmE0ELj4294967295EEENS1_25partition_config_selectorILNS1_17partition_subalgoE3EjNS0_10empty_typeEbEEZZNS1_14partition_implILS8_3ELb0ES6_jNS0_17counting_iteratorIjlEEPS9_SE_NS0_5tupleIJPjSE_EEENSF_IJSE_SE_EEES9_SG_JZNS1_25segmented_radix_sort_implINS0_14default_configELb1EPKbPbPKlPlN2at6native12_GLOBAL__N_18offset_tEEE10hipError_tPvRmT1_PNSt15iterator_traitsISY_E10value_typeET2_T3_PNSZ_IS14_E10value_typeET4_jRbjT5_S1A_jjP12ihipStream_tbEUljE_EEESV_SW_SX_S14_S18_S1A_T6_T7_T9_mT8_S1C_bDpT10_ENKUlT_T0_E_clISt17integral_constantIbLb1EES1O_IbLb0EEEEDaS1K_S1L_EUlS1K_E_NS1_11comp_targetILNS1_3genE3ELNS1_11target_archE908ELNS1_3gpuE7ELNS1_3repE0EEENS1_30default_config_static_selectorELNS0_4arch9wavefront6targetE1EEEvSY_
		.amdhsa_group_segment_fixed_size 0
		.amdhsa_private_segment_fixed_size 0
		.amdhsa_kernarg_size 144
		.amdhsa_user_sgpr_count 6
		.amdhsa_user_sgpr_private_segment_buffer 1
		.amdhsa_user_sgpr_dispatch_ptr 0
		.amdhsa_user_sgpr_queue_ptr 0
		.amdhsa_user_sgpr_kernarg_segment_ptr 1
		.amdhsa_user_sgpr_dispatch_id 0
		.amdhsa_user_sgpr_flat_scratch_init 0
		.amdhsa_user_sgpr_private_segment_size 0
		.amdhsa_uses_dynamic_stack 0
		.amdhsa_system_sgpr_private_segment_wavefront_offset 0
		.amdhsa_system_sgpr_workgroup_id_x 1
		.amdhsa_system_sgpr_workgroup_id_y 0
		.amdhsa_system_sgpr_workgroup_id_z 0
		.amdhsa_system_sgpr_workgroup_info 0
		.amdhsa_system_vgpr_workitem_id 0
		.amdhsa_next_free_vgpr 1
		.amdhsa_next_free_sgpr 0
		.amdhsa_reserve_vcc 0
		.amdhsa_reserve_flat_scratch 0
		.amdhsa_float_round_mode_32 0
		.amdhsa_float_round_mode_16_64 0
		.amdhsa_float_denorm_mode_32 3
		.amdhsa_float_denorm_mode_16_64 3
		.amdhsa_dx10_clamp 1
		.amdhsa_ieee_mode 1
		.amdhsa_fp16_overflow 0
		.amdhsa_exception_fp_ieee_invalid_op 0
		.amdhsa_exception_fp_denorm_src 0
		.amdhsa_exception_fp_ieee_div_zero 0
		.amdhsa_exception_fp_ieee_overflow 0
		.amdhsa_exception_fp_ieee_underflow 0
		.amdhsa_exception_fp_ieee_inexact 0
		.amdhsa_exception_int_div_zero 0
	.end_amdhsa_kernel
	.section	.text._ZN7rocprim17ROCPRIM_400000_NS6detail17trampoline_kernelINS0_13select_configILj256ELj13ELNS0_17block_load_methodE3ELS4_3ELS4_3ELNS0_20block_scan_algorithmE0ELj4294967295EEENS1_25partition_config_selectorILNS1_17partition_subalgoE3EjNS0_10empty_typeEbEEZZNS1_14partition_implILS8_3ELb0ES6_jNS0_17counting_iteratorIjlEEPS9_SE_NS0_5tupleIJPjSE_EEENSF_IJSE_SE_EEES9_SG_JZNS1_25segmented_radix_sort_implINS0_14default_configELb1EPKbPbPKlPlN2at6native12_GLOBAL__N_18offset_tEEE10hipError_tPvRmT1_PNSt15iterator_traitsISY_E10value_typeET2_T3_PNSZ_IS14_E10value_typeET4_jRbjT5_S1A_jjP12ihipStream_tbEUljE_EEESV_SW_SX_S14_S18_S1A_T6_T7_T9_mT8_S1C_bDpT10_ENKUlT_T0_E_clISt17integral_constantIbLb1EES1O_IbLb0EEEEDaS1K_S1L_EUlS1K_E_NS1_11comp_targetILNS1_3genE3ELNS1_11target_archE908ELNS1_3gpuE7ELNS1_3repE0EEENS1_30default_config_static_selectorELNS0_4arch9wavefront6targetE1EEEvSY_,"axG",@progbits,_ZN7rocprim17ROCPRIM_400000_NS6detail17trampoline_kernelINS0_13select_configILj256ELj13ELNS0_17block_load_methodE3ELS4_3ELS4_3ELNS0_20block_scan_algorithmE0ELj4294967295EEENS1_25partition_config_selectorILNS1_17partition_subalgoE3EjNS0_10empty_typeEbEEZZNS1_14partition_implILS8_3ELb0ES6_jNS0_17counting_iteratorIjlEEPS9_SE_NS0_5tupleIJPjSE_EEENSF_IJSE_SE_EEES9_SG_JZNS1_25segmented_radix_sort_implINS0_14default_configELb1EPKbPbPKlPlN2at6native12_GLOBAL__N_18offset_tEEE10hipError_tPvRmT1_PNSt15iterator_traitsISY_E10value_typeET2_T3_PNSZ_IS14_E10value_typeET4_jRbjT5_S1A_jjP12ihipStream_tbEUljE_EEESV_SW_SX_S14_S18_S1A_T6_T7_T9_mT8_S1C_bDpT10_ENKUlT_T0_E_clISt17integral_constantIbLb1EES1O_IbLb0EEEEDaS1K_S1L_EUlS1K_E_NS1_11comp_targetILNS1_3genE3ELNS1_11target_archE908ELNS1_3gpuE7ELNS1_3repE0EEENS1_30default_config_static_selectorELNS0_4arch9wavefront6targetE1EEEvSY_,comdat
.Lfunc_end1519:
	.size	_ZN7rocprim17ROCPRIM_400000_NS6detail17trampoline_kernelINS0_13select_configILj256ELj13ELNS0_17block_load_methodE3ELS4_3ELS4_3ELNS0_20block_scan_algorithmE0ELj4294967295EEENS1_25partition_config_selectorILNS1_17partition_subalgoE3EjNS0_10empty_typeEbEEZZNS1_14partition_implILS8_3ELb0ES6_jNS0_17counting_iteratorIjlEEPS9_SE_NS0_5tupleIJPjSE_EEENSF_IJSE_SE_EEES9_SG_JZNS1_25segmented_radix_sort_implINS0_14default_configELb1EPKbPbPKlPlN2at6native12_GLOBAL__N_18offset_tEEE10hipError_tPvRmT1_PNSt15iterator_traitsISY_E10value_typeET2_T3_PNSZ_IS14_E10value_typeET4_jRbjT5_S1A_jjP12ihipStream_tbEUljE_EEESV_SW_SX_S14_S18_S1A_T6_T7_T9_mT8_S1C_bDpT10_ENKUlT_T0_E_clISt17integral_constantIbLb1EES1O_IbLb0EEEEDaS1K_S1L_EUlS1K_E_NS1_11comp_targetILNS1_3genE3ELNS1_11target_archE908ELNS1_3gpuE7ELNS1_3repE0EEENS1_30default_config_static_selectorELNS0_4arch9wavefront6targetE1EEEvSY_, .Lfunc_end1519-_ZN7rocprim17ROCPRIM_400000_NS6detail17trampoline_kernelINS0_13select_configILj256ELj13ELNS0_17block_load_methodE3ELS4_3ELS4_3ELNS0_20block_scan_algorithmE0ELj4294967295EEENS1_25partition_config_selectorILNS1_17partition_subalgoE3EjNS0_10empty_typeEbEEZZNS1_14partition_implILS8_3ELb0ES6_jNS0_17counting_iteratorIjlEEPS9_SE_NS0_5tupleIJPjSE_EEENSF_IJSE_SE_EEES9_SG_JZNS1_25segmented_radix_sort_implINS0_14default_configELb1EPKbPbPKlPlN2at6native12_GLOBAL__N_18offset_tEEE10hipError_tPvRmT1_PNSt15iterator_traitsISY_E10value_typeET2_T3_PNSZ_IS14_E10value_typeET4_jRbjT5_S1A_jjP12ihipStream_tbEUljE_EEESV_SW_SX_S14_S18_S1A_T6_T7_T9_mT8_S1C_bDpT10_ENKUlT_T0_E_clISt17integral_constantIbLb1EES1O_IbLb0EEEEDaS1K_S1L_EUlS1K_E_NS1_11comp_targetILNS1_3genE3ELNS1_11target_archE908ELNS1_3gpuE7ELNS1_3repE0EEENS1_30default_config_static_selectorELNS0_4arch9wavefront6targetE1EEEvSY_
                                        ; -- End function
	.set _ZN7rocprim17ROCPRIM_400000_NS6detail17trampoline_kernelINS0_13select_configILj256ELj13ELNS0_17block_load_methodE3ELS4_3ELS4_3ELNS0_20block_scan_algorithmE0ELj4294967295EEENS1_25partition_config_selectorILNS1_17partition_subalgoE3EjNS0_10empty_typeEbEEZZNS1_14partition_implILS8_3ELb0ES6_jNS0_17counting_iteratorIjlEEPS9_SE_NS0_5tupleIJPjSE_EEENSF_IJSE_SE_EEES9_SG_JZNS1_25segmented_radix_sort_implINS0_14default_configELb1EPKbPbPKlPlN2at6native12_GLOBAL__N_18offset_tEEE10hipError_tPvRmT1_PNSt15iterator_traitsISY_E10value_typeET2_T3_PNSZ_IS14_E10value_typeET4_jRbjT5_S1A_jjP12ihipStream_tbEUljE_EEESV_SW_SX_S14_S18_S1A_T6_T7_T9_mT8_S1C_bDpT10_ENKUlT_T0_E_clISt17integral_constantIbLb1EES1O_IbLb0EEEEDaS1K_S1L_EUlS1K_E_NS1_11comp_targetILNS1_3genE3ELNS1_11target_archE908ELNS1_3gpuE7ELNS1_3repE0EEENS1_30default_config_static_selectorELNS0_4arch9wavefront6targetE1EEEvSY_.num_vgpr, 0
	.set _ZN7rocprim17ROCPRIM_400000_NS6detail17trampoline_kernelINS0_13select_configILj256ELj13ELNS0_17block_load_methodE3ELS4_3ELS4_3ELNS0_20block_scan_algorithmE0ELj4294967295EEENS1_25partition_config_selectorILNS1_17partition_subalgoE3EjNS0_10empty_typeEbEEZZNS1_14partition_implILS8_3ELb0ES6_jNS0_17counting_iteratorIjlEEPS9_SE_NS0_5tupleIJPjSE_EEENSF_IJSE_SE_EEES9_SG_JZNS1_25segmented_radix_sort_implINS0_14default_configELb1EPKbPbPKlPlN2at6native12_GLOBAL__N_18offset_tEEE10hipError_tPvRmT1_PNSt15iterator_traitsISY_E10value_typeET2_T3_PNSZ_IS14_E10value_typeET4_jRbjT5_S1A_jjP12ihipStream_tbEUljE_EEESV_SW_SX_S14_S18_S1A_T6_T7_T9_mT8_S1C_bDpT10_ENKUlT_T0_E_clISt17integral_constantIbLb1EES1O_IbLb0EEEEDaS1K_S1L_EUlS1K_E_NS1_11comp_targetILNS1_3genE3ELNS1_11target_archE908ELNS1_3gpuE7ELNS1_3repE0EEENS1_30default_config_static_selectorELNS0_4arch9wavefront6targetE1EEEvSY_.num_agpr, 0
	.set _ZN7rocprim17ROCPRIM_400000_NS6detail17trampoline_kernelINS0_13select_configILj256ELj13ELNS0_17block_load_methodE3ELS4_3ELS4_3ELNS0_20block_scan_algorithmE0ELj4294967295EEENS1_25partition_config_selectorILNS1_17partition_subalgoE3EjNS0_10empty_typeEbEEZZNS1_14partition_implILS8_3ELb0ES6_jNS0_17counting_iteratorIjlEEPS9_SE_NS0_5tupleIJPjSE_EEENSF_IJSE_SE_EEES9_SG_JZNS1_25segmented_radix_sort_implINS0_14default_configELb1EPKbPbPKlPlN2at6native12_GLOBAL__N_18offset_tEEE10hipError_tPvRmT1_PNSt15iterator_traitsISY_E10value_typeET2_T3_PNSZ_IS14_E10value_typeET4_jRbjT5_S1A_jjP12ihipStream_tbEUljE_EEESV_SW_SX_S14_S18_S1A_T6_T7_T9_mT8_S1C_bDpT10_ENKUlT_T0_E_clISt17integral_constantIbLb1EES1O_IbLb0EEEEDaS1K_S1L_EUlS1K_E_NS1_11comp_targetILNS1_3genE3ELNS1_11target_archE908ELNS1_3gpuE7ELNS1_3repE0EEENS1_30default_config_static_selectorELNS0_4arch9wavefront6targetE1EEEvSY_.numbered_sgpr, 0
	.set _ZN7rocprim17ROCPRIM_400000_NS6detail17trampoline_kernelINS0_13select_configILj256ELj13ELNS0_17block_load_methodE3ELS4_3ELS4_3ELNS0_20block_scan_algorithmE0ELj4294967295EEENS1_25partition_config_selectorILNS1_17partition_subalgoE3EjNS0_10empty_typeEbEEZZNS1_14partition_implILS8_3ELb0ES6_jNS0_17counting_iteratorIjlEEPS9_SE_NS0_5tupleIJPjSE_EEENSF_IJSE_SE_EEES9_SG_JZNS1_25segmented_radix_sort_implINS0_14default_configELb1EPKbPbPKlPlN2at6native12_GLOBAL__N_18offset_tEEE10hipError_tPvRmT1_PNSt15iterator_traitsISY_E10value_typeET2_T3_PNSZ_IS14_E10value_typeET4_jRbjT5_S1A_jjP12ihipStream_tbEUljE_EEESV_SW_SX_S14_S18_S1A_T6_T7_T9_mT8_S1C_bDpT10_ENKUlT_T0_E_clISt17integral_constantIbLb1EES1O_IbLb0EEEEDaS1K_S1L_EUlS1K_E_NS1_11comp_targetILNS1_3genE3ELNS1_11target_archE908ELNS1_3gpuE7ELNS1_3repE0EEENS1_30default_config_static_selectorELNS0_4arch9wavefront6targetE1EEEvSY_.num_named_barrier, 0
	.set _ZN7rocprim17ROCPRIM_400000_NS6detail17trampoline_kernelINS0_13select_configILj256ELj13ELNS0_17block_load_methodE3ELS4_3ELS4_3ELNS0_20block_scan_algorithmE0ELj4294967295EEENS1_25partition_config_selectorILNS1_17partition_subalgoE3EjNS0_10empty_typeEbEEZZNS1_14partition_implILS8_3ELb0ES6_jNS0_17counting_iteratorIjlEEPS9_SE_NS0_5tupleIJPjSE_EEENSF_IJSE_SE_EEES9_SG_JZNS1_25segmented_radix_sort_implINS0_14default_configELb1EPKbPbPKlPlN2at6native12_GLOBAL__N_18offset_tEEE10hipError_tPvRmT1_PNSt15iterator_traitsISY_E10value_typeET2_T3_PNSZ_IS14_E10value_typeET4_jRbjT5_S1A_jjP12ihipStream_tbEUljE_EEESV_SW_SX_S14_S18_S1A_T6_T7_T9_mT8_S1C_bDpT10_ENKUlT_T0_E_clISt17integral_constantIbLb1EES1O_IbLb0EEEEDaS1K_S1L_EUlS1K_E_NS1_11comp_targetILNS1_3genE3ELNS1_11target_archE908ELNS1_3gpuE7ELNS1_3repE0EEENS1_30default_config_static_selectorELNS0_4arch9wavefront6targetE1EEEvSY_.private_seg_size, 0
	.set _ZN7rocprim17ROCPRIM_400000_NS6detail17trampoline_kernelINS0_13select_configILj256ELj13ELNS0_17block_load_methodE3ELS4_3ELS4_3ELNS0_20block_scan_algorithmE0ELj4294967295EEENS1_25partition_config_selectorILNS1_17partition_subalgoE3EjNS0_10empty_typeEbEEZZNS1_14partition_implILS8_3ELb0ES6_jNS0_17counting_iteratorIjlEEPS9_SE_NS0_5tupleIJPjSE_EEENSF_IJSE_SE_EEES9_SG_JZNS1_25segmented_radix_sort_implINS0_14default_configELb1EPKbPbPKlPlN2at6native12_GLOBAL__N_18offset_tEEE10hipError_tPvRmT1_PNSt15iterator_traitsISY_E10value_typeET2_T3_PNSZ_IS14_E10value_typeET4_jRbjT5_S1A_jjP12ihipStream_tbEUljE_EEESV_SW_SX_S14_S18_S1A_T6_T7_T9_mT8_S1C_bDpT10_ENKUlT_T0_E_clISt17integral_constantIbLb1EES1O_IbLb0EEEEDaS1K_S1L_EUlS1K_E_NS1_11comp_targetILNS1_3genE3ELNS1_11target_archE908ELNS1_3gpuE7ELNS1_3repE0EEENS1_30default_config_static_selectorELNS0_4arch9wavefront6targetE1EEEvSY_.uses_vcc, 0
	.set _ZN7rocprim17ROCPRIM_400000_NS6detail17trampoline_kernelINS0_13select_configILj256ELj13ELNS0_17block_load_methodE3ELS4_3ELS4_3ELNS0_20block_scan_algorithmE0ELj4294967295EEENS1_25partition_config_selectorILNS1_17partition_subalgoE3EjNS0_10empty_typeEbEEZZNS1_14partition_implILS8_3ELb0ES6_jNS0_17counting_iteratorIjlEEPS9_SE_NS0_5tupleIJPjSE_EEENSF_IJSE_SE_EEES9_SG_JZNS1_25segmented_radix_sort_implINS0_14default_configELb1EPKbPbPKlPlN2at6native12_GLOBAL__N_18offset_tEEE10hipError_tPvRmT1_PNSt15iterator_traitsISY_E10value_typeET2_T3_PNSZ_IS14_E10value_typeET4_jRbjT5_S1A_jjP12ihipStream_tbEUljE_EEESV_SW_SX_S14_S18_S1A_T6_T7_T9_mT8_S1C_bDpT10_ENKUlT_T0_E_clISt17integral_constantIbLb1EES1O_IbLb0EEEEDaS1K_S1L_EUlS1K_E_NS1_11comp_targetILNS1_3genE3ELNS1_11target_archE908ELNS1_3gpuE7ELNS1_3repE0EEENS1_30default_config_static_selectorELNS0_4arch9wavefront6targetE1EEEvSY_.uses_flat_scratch, 0
	.set _ZN7rocprim17ROCPRIM_400000_NS6detail17trampoline_kernelINS0_13select_configILj256ELj13ELNS0_17block_load_methodE3ELS4_3ELS4_3ELNS0_20block_scan_algorithmE0ELj4294967295EEENS1_25partition_config_selectorILNS1_17partition_subalgoE3EjNS0_10empty_typeEbEEZZNS1_14partition_implILS8_3ELb0ES6_jNS0_17counting_iteratorIjlEEPS9_SE_NS0_5tupleIJPjSE_EEENSF_IJSE_SE_EEES9_SG_JZNS1_25segmented_radix_sort_implINS0_14default_configELb1EPKbPbPKlPlN2at6native12_GLOBAL__N_18offset_tEEE10hipError_tPvRmT1_PNSt15iterator_traitsISY_E10value_typeET2_T3_PNSZ_IS14_E10value_typeET4_jRbjT5_S1A_jjP12ihipStream_tbEUljE_EEESV_SW_SX_S14_S18_S1A_T6_T7_T9_mT8_S1C_bDpT10_ENKUlT_T0_E_clISt17integral_constantIbLb1EES1O_IbLb0EEEEDaS1K_S1L_EUlS1K_E_NS1_11comp_targetILNS1_3genE3ELNS1_11target_archE908ELNS1_3gpuE7ELNS1_3repE0EEENS1_30default_config_static_selectorELNS0_4arch9wavefront6targetE1EEEvSY_.has_dyn_sized_stack, 0
	.set _ZN7rocprim17ROCPRIM_400000_NS6detail17trampoline_kernelINS0_13select_configILj256ELj13ELNS0_17block_load_methodE3ELS4_3ELS4_3ELNS0_20block_scan_algorithmE0ELj4294967295EEENS1_25partition_config_selectorILNS1_17partition_subalgoE3EjNS0_10empty_typeEbEEZZNS1_14partition_implILS8_3ELb0ES6_jNS0_17counting_iteratorIjlEEPS9_SE_NS0_5tupleIJPjSE_EEENSF_IJSE_SE_EEES9_SG_JZNS1_25segmented_radix_sort_implINS0_14default_configELb1EPKbPbPKlPlN2at6native12_GLOBAL__N_18offset_tEEE10hipError_tPvRmT1_PNSt15iterator_traitsISY_E10value_typeET2_T3_PNSZ_IS14_E10value_typeET4_jRbjT5_S1A_jjP12ihipStream_tbEUljE_EEESV_SW_SX_S14_S18_S1A_T6_T7_T9_mT8_S1C_bDpT10_ENKUlT_T0_E_clISt17integral_constantIbLb1EES1O_IbLb0EEEEDaS1K_S1L_EUlS1K_E_NS1_11comp_targetILNS1_3genE3ELNS1_11target_archE908ELNS1_3gpuE7ELNS1_3repE0EEENS1_30default_config_static_selectorELNS0_4arch9wavefront6targetE1EEEvSY_.has_recursion, 0
	.set _ZN7rocprim17ROCPRIM_400000_NS6detail17trampoline_kernelINS0_13select_configILj256ELj13ELNS0_17block_load_methodE3ELS4_3ELS4_3ELNS0_20block_scan_algorithmE0ELj4294967295EEENS1_25partition_config_selectorILNS1_17partition_subalgoE3EjNS0_10empty_typeEbEEZZNS1_14partition_implILS8_3ELb0ES6_jNS0_17counting_iteratorIjlEEPS9_SE_NS0_5tupleIJPjSE_EEENSF_IJSE_SE_EEES9_SG_JZNS1_25segmented_radix_sort_implINS0_14default_configELb1EPKbPbPKlPlN2at6native12_GLOBAL__N_18offset_tEEE10hipError_tPvRmT1_PNSt15iterator_traitsISY_E10value_typeET2_T3_PNSZ_IS14_E10value_typeET4_jRbjT5_S1A_jjP12ihipStream_tbEUljE_EEESV_SW_SX_S14_S18_S1A_T6_T7_T9_mT8_S1C_bDpT10_ENKUlT_T0_E_clISt17integral_constantIbLb1EES1O_IbLb0EEEEDaS1K_S1L_EUlS1K_E_NS1_11comp_targetILNS1_3genE3ELNS1_11target_archE908ELNS1_3gpuE7ELNS1_3repE0EEENS1_30default_config_static_selectorELNS0_4arch9wavefront6targetE1EEEvSY_.has_indirect_call, 0
	.section	.AMDGPU.csdata,"",@progbits
; Kernel info:
; codeLenInByte = 0
; TotalNumSgprs: 4
; NumVgprs: 0
; ScratchSize: 0
; MemoryBound: 0
; FloatMode: 240
; IeeeMode: 1
; LDSByteSize: 0 bytes/workgroup (compile time only)
; SGPRBlocks: 0
; VGPRBlocks: 0
; NumSGPRsForWavesPerEU: 4
; NumVGPRsForWavesPerEU: 1
; Occupancy: 10
; WaveLimiterHint : 0
; COMPUTE_PGM_RSRC2:SCRATCH_EN: 0
; COMPUTE_PGM_RSRC2:USER_SGPR: 6
; COMPUTE_PGM_RSRC2:TRAP_HANDLER: 0
; COMPUTE_PGM_RSRC2:TGID_X_EN: 1
; COMPUTE_PGM_RSRC2:TGID_Y_EN: 0
; COMPUTE_PGM_RSRC2:TGID_Z_EN: 0
; COMPUTE_PGM_RSRC2:TIDIG_COMP_CNT: 0
	.section	.text._ZN7rocprim17ROCPRIM_400000_NS6detail17trampoline_kernelINS0_13select_configILj256ELj13ELNS0_17block_load_methodE3ELS4_3ELS4_3ELNS0_20block_scan_algorithmE0ELj4294967295EEENS1_25partition_config_selectorILNS1_17partition_subalgoE3EjNS0_10empty_typeEbEEZZNS1_14partition_implILS8_3ELb0ES6_jNS0_17counting_iteratorIjlEEPS9_SE_NS0_5tupleIJPjSE_EEENSF_IJSE_SE_EEES9_SG_JZNS1_25segmented_radix_sort_implINS0_14default_configELb1EPKbPbPKlPlN2at6native12_GLOBAL__N_18offset_tEEE10hipError_tPvRmT1_PNSt15iterator_traitsISY_E10value_typeET2_T3_PNSZ_IS14_E10value_typeET4_jRbjT5_S1A_jjP12ihipStream_tbEUljE_EEESV_SW_SX_S14_S18_S1A_T6_T7_T9_mT8_S1C_bDpT10_ENKUlT_T0_E_clISt17integral_constantIbLb1EES1O_IbLb0EEEEDaS1K_S1L_EUlS1K_E_NS1_11comp_targetILNS1_3genE2ELNS1_11target_archE906ELNS1_3gpuE6ELNS1_3repE0EEENS1_30default_config_static_selectorELNS0_4arch9wavefront6targetE1EEEvSY_,"axG",@progbits,_ZN7rocprim17ROCPRIM_400000_NS6detail17trampoline_kernelINS0_13select_configILj256ELj13ELNS0_17block_load_methodE3ELS4_3ELS4_3ELNS0_20block_scan_algorithmE0ELj4294967295EEENS1_25partition_config_selectorILNS1_17partition_subalgoE3EjNS0_10empty_typeEbEEZZNS1_14partition_implILS8_3ELb0ES6_jNS0_17counting_iteratorIjlEEPS9_SE_NS0_5tupleIJPjSE_EEENSF_IJSE_SE_EEES9_SG_JZNS1_25segmented_radix_sort_implINS0_14default_configELb1EPKbPbPKlPlN2at6native12_GLOBAL__N_18offset_tEEE10hipError_tPvRmT1_PNSt15iterator_traitsISY_E10value_typeET2_T3_PNSZ_IS14_E10value_typeET4_jRbjT5_S1A_jjP12ihipStream_tbEUljE_EEESV_SW_SX_S14_S18_S1A_T6_T7_T9_mT8_S1C_bDpT10_ENKUlT_T0_E_clISt17integral_constantIbLb1EES1O_IbLb0EEEEDaS1K_S1L_EUlS1K_E_NS1_11comp_targetILNS1_3genE2ELNS1_11target_archE906ELNS1_3gpuE6ELNS1_3repE0EEENS1_30default_config_static_selectorELNS0_4arch9wavefront6targetE1EEEvSY_,comdat
	.globl	_ZN7rocprim17ROCPRIM_400000_NS6detail17trampoline_kernelINS0_13select_configILj256ELj13ELNS0_17block_load_methodE3ELS4_3ELS4_3ELNS0_20block_scan_algorithmE0ELj4294967295EEENS1_25partition_config_selectorILNS1_17partition_subalgoE3EjNS0_10empty_typeEbEEZZNS1_14partition_implILS8_3ELb0ES6_jNS0_17counting_iteratorIjlEEPS9_SE_NS0_5tupleIJPjSE_EEENSF_IJSE_SE_EEES9_SG_JZNS1_25segmented_radix_sort_implINS0_14default_configELb1EPKbPbPKlPlN2at6native12_GLOBAL__N_18offset_tEEE10hipError_tPvRmT1_PNSt15iterator_traitsISY_E10value_typeET2_T3_PNSZ_IS14_E10value_typeET4_jRbjT5_S1A_jjP12ihipStream_tbEUljE_EEESV_SW_SX_S14_S18_S1A_T6_T7_T9_mT8_S1C_bDpT10_ENKUlT_T0_E_clISt17integral_constantIbLb1EES1O_IbLb0EEEEDaS1K_S1L_EUlS1K_E_NS1_11comp_targetILNS1_3genE2ELNS1_11target_archE906ELNS1_3gpuE6ELNS1_3repE0EEENS1_30default_config_static_selectorELNS0_4arch9wavefront6targetE1EEEvSY_ ; -- Begin function _ZN7rocprim17ROCPRIM_400000_NS6detail17trampoline_kernelINS0_13select_configILj256ELj13ELNS0_17block_load_methodE3ELS4_3ELS4_3ELNS0_20block_scan_algorithmE0ELj4294967295EEENS1_25partition_config_selectorILNS1_17partition_subalgoE3EjNS0_10empty_typeEbEEZZNS1_14partition_implILS8_3ELb0ES6_jNS0_17counting_iteratorIjlEEPS9_SE_NS0_5tupleIJPjSE_EEENSF_IJSE_SE_EEES9_SG_JZNS1_25segmented_radix_sort_implINS0_14default_configELb1EPKbPbPKlPlN2at6native12_GLOBAL__N_18offset_tEEE10hipError_tPvRmT1_PNSt15iterator_traitsISY_E10value_typeET2_T3_PNSZ_IS14_E10value_typeET4_jRbjT5_S1A_jjP12ihipStream_tbEUljE_EEESV_SW_SX_S14_S18_S1A_T6_T7_T9_mT8_S1C_bDpT10_ENKUlT_T0_E_clISt17integral_constantIbLb1EES1O_IbLb0EEEEDaS1K_S1L_EUlS1K_E_NS1_11comp_targetILNS1_3genE2ELNS1_11target_archE906ELNS1_3gpuE6ELNS1_3repE0EEENS1_30default_config_static_selectorELNS0_4arch9wavefront6targetE1EEEvSY_
	.p2align	8
	.type	_ZN7rocprim17ROCPRIM_400000_NS6detail17trampoline_kernelINS0_13select_configILj256ELj13ELNS0_17block_load_methodE3ELS4_3ELS4_3ELNS0_20block_scan_algorithmE0ELj4294967295EEENS1_25partition_config_selectorILNS1_17partition_subalgoE3EjNS0_10empty_typeEbEEZZNS1_14partition_implILS8_3ELb0ES6_jNS0_17counting_iteratorIjlEEPS9_SE_NS0_5tupleIJPjSE_EEENSF_IJSE_SE_EEES9_SG_JZNS1_25segmented_radix_sort_implINS0_14default_configELb1EPKbPbPKlPlN2at6native12_GLOBAL__N_18offset_tEEE10hipError_tPvRmT1_PNSt15iterator_traitsISY_E10value_typeET2_T3_PNSZ_IS14_E10value_typeET4_jRbjT5_S1A_jjP12ihipStream_tbEUljE_EEESV_SW_SX_S14_S18_S1A_T6_T7_T9_mT8_S1C_bDpT10_ENKUlT_T0_E_clISt17integral_constantIbLb1EES1O_IbLb0EEEEDaS1K_S1L_EUlS1K_E_NS1_11comp_targetILNS1_3genE2ELNS1_11target_archE906ELNS1_3gpuE6ELNS1_3repE0EEENS1_30default_config_static_selectorELNS0_4arch9wavefront6targetE1EEEvSY_,@function
_ZN7rocprim17ROCPRIM_400000_NS6detail17trampoline_kernelINS0_13select_configILj256ELj13ELNS0_17block_load_methodE3ELS4_3ELS4_3ELNS0_20block_scan_algorithmE0ELj4294967295EEENS1_25partition_config_selectorILNS1_17partition_subalgoE3EjNS0_10empty_typeEbEEZZNS1_14partition_implILS8_3ELb0ES6_jNS0_17counting_iteratorIjlEEPS9_SE_NS0_5tupleIJPjSE_EEENSF_IJSE_SE_EEES9_SG_JZNS1_25segmented_radix_sort_implINS0_14default_configELb1EPKbPbPKlPlN2at6native12_GLOBAL__N_18offset_tEEE10hipError_tPvRmT1_PNSt15iterator_traitsISY_E10value_typeET2_T3_PNSZ_IS14_E10value_typeET4_jRbjT5_S1A_jjP12ihipStream_tbEUljE_EEESV_SW_SX_S14_S18_S1A_T6_T7_T9_mT8_S1C_bDpT10_ENKUlT_T0_E_clISt17integral_constantIbLb1EES1O_IbLb0EEEEDaS1K_S1L_EUlS1K_E_NS1_11comp_targetILNS1_3genE2ELNS1_11target_archE906ELNS1_3gpuE6ELNS1_3repE0EEENS1_30default_config_static_selectorELNS0_4arch9wavefront6targetE1EEEvSY_: ; @_ZN7rocprim17ROCPRIM_400000_NS6detail17trampoline_kernelINS0_13select_configILj256ELj13ELNS0_17block_load_methodE3ELS4_3ELS4_3ELNS0_20block_scan_algorithmE0ELj4294967295EEENS1_25partition_config_selectorILNS1_17partition_subalgoE3EjNS0_10empty_typeEbEEZZNS1_14partition_implILS8_3ELb0ES6_jNS0_17counting_iteratorIjlEEPS9_SE_NS0_5tupleIJPjSE_EEENSF_IJSE_SE_EEES9_SG_JZNS1_25segmented_radix_sort_implINS0_14default_configELb1EPKbPbPKlPlN2at6native12_GLOBAL__N_18offset_tEEE10hipError_tPvRmT1_PNSt15iterator_traitsISY_E10value_typeET2_T3_PNSZ_IS14_E10value_typeET4_jRbjT5_S1A_jjP12ihipStream_tbEUljE_EEESV_SW_SX_S14_S18_S1A_T6_T7_T9_mT8_S1C_bDpT10_ENKUlT_T0_E_clISt17integral_constantIbLb1EES1O_IbLb0EEEEDaS1K_S1L_EUlS1K_E_NS1_11comp_targetILNS1_3genE2ELNS1_11target_archE906ELNS1_3gpuE6ELNS1_3repE0EEENS1_30default_config_static_selectorELNS0_4arch9wavefront6targetE1EEEvSY_
; %bb.0:
	s_endpgm
	.section	.rodata,"a",@progbits
	.p2align	6, 0x0
	.amdhsa_kernel _ZN7rocprim17ROCPRIM_400000_NS6detail17trampoline_kernelINS0_13select_configILj256ELj13ELNS0_17block_load_methodE3ELS4_3ELS4_3ELNS0_20block_scan_algorithmE0ELj4294967295EEENS1_25partition_config_selectorILNS1_17partition_subalgoE3EjNS0_10empty_typeEbEEZZNS1_14partition_implILS8_3ELb0ES6_jNS0_17counting_iteratorIjlEEPS9_SE_NS0_5tupleIJPjSE_EEENSF_IJSE_SE_EEES9_SG_JZNS1_25segmented_radix_sort_implINS0_14default_configELb1EPKbPbPKlPlN2at6native12_GLOBAL__N_18offset_tEEE10hipError_tPvRmT1_PNSt15iterator_traitsISY_E10value_typeET2_T3_PNSZ_IS14_E10value_typeET4_jRbjT5_S1A_jjP12ihipStream_tbEUljE_EEESV_SW_SX_S14_S18_S1A_T6_T7_T9_mT8_S1C_bDpT10_ENKUlT_T0_E_clISt17integral_constantIbLb1EES1O_IbLb0EEEEDaS1K_S1L_EUlS1K_E_NS1_11comp_targetILNS1_3genE2ELNS1_11target_archE906ELNS1_3gpuE6ELNS1_3repE0EEENS1_30default_config_static_selectorELNS0_4arch9wavefront6targetE1EEEvSY_
		.amdhsa_group_segment_fixed_size 0
		.amdhsa_private_segment_fixed_size 0
		.amdhsa_kernarg_size 144
		.amdhsa_user_sgpr_count 6
		.amdhsa_user_sgpr_private_segment_buffer 1
		.amdhsa_user_sgpr_dispatch_ptr 0
		.amdhsa_user_sgpr_queue_ptr 0
		.amdhsa_user_sgpr_kernarg_segment_ptr 1
		.amdhsa_user_sgpr_dispatch_id 0
		.amdhsa_user_sgpr_flat_scratch_init 0
		.amdhsa_user_sgpr_private_segment_size 0
		.amdhsa_uses_dynamic_stack 0
		.amdhsa_system_sgpr_private_segment_wavefront_offset 0
		.amdhsa_system_sgpr_workgroup_id_x 1
		.amdhsa_system_sgpr_workgroup_id_y 0
		.amdhsa_system_sgpr_workgroup_id_z 0
		.amdhsa_system_sgpr_workgroup_info 0
		.amdhsa_system_vgpr_workitem_id 0
		.amdhsa_next_free_vgpr 1
		.amdhsa_next_free_sgpr 0
		.amdhsa_reserve_vcc 0
		.amdhsa_reserve_flat_scratch 0
		.amdhsa_float_round_mode_32 0
		.amdhsa_float_round_mode_16_64 0
		.amdhsa_float_denorm_mode_32 3
		.amdhsa_float_denorm_mode_16_64 3
		.amdhsa_dx10_clamp 1
		.amdhsa_ieee_mode 1
		.amdhsa_fp16_overflow 0
		.amdhsa_exception_fp_ieee_invalid_op 0
		.amdhsa_exception_fp_denorm_src 0
		.amdhsa_exception_fp_ieee_div_zero 0
		.amdhsa_exception_fp_ieee_overflow 0
		.amdhsa_exception_fp_ieee_underflow 0
		.amdhsa_exception_fp_ieee_inexact 0
		.amdhsa_exception_int_div_zero 0
	.end_amdhsa_kernel
	.section	.text._ZN7rocprim17ROCPRIM_400000_NS6detail17trampoline_kernelINS0_13select_configILj256ELj13ELNS0_17block_load_methodE3ELS4_3ELS4_3ELNS0_20block_scan_algorithmE0ELj4294967295EEENS1_25partition_config_selectorILNS1_17partition_subalgoE3EjNS0_10empty_typeEbEEZZNS1_14partition_implILS8_3ELb0ES6_jNS0_17counting_iteratorIjlEEPS9_SE_NS0_5tupleIJPjSE_EEENSF_IJSE_SE_EEES9_SG_JZNS1_25segmented_radix_sort_implINS0_14default_configELb1EPKbPbPKlPlN2at6native12_GLOBAL__N_18offset_tEEE10hipError_tPvRmT1_PNSt15iterator_traitsISY_E10value_typeET2_T3_PNSZ_IS14_E10value_typeET4_jRbjT5_S1A_jjP12ihipStream_tbEUljE_EEESV_SW_SX_S14_S18_S1A_T6_T7_T9_mT8_S1C_bDpT10_ENKUlT_T0_E_clISt17integral_constantIbLb1EES1O_IbLb0EEEEDaS1K_S1L_EUlS1K_E_NS1_11comp_targetILNS1_3genE2ELNS1_11target_archE906ELNS1_3gpuE6ELNS1_3repE0EEENS1_30default_config_static_selectorELNS0_4arch9wavefront6targetE1EEEvSY_,"axG",@progbits,_ZN7rocprim17ROCPRIM_400000_NS6detail17trampoline_kernelINS0_13select_configILj256ELj13ELNS0_17block_load_methodE3ELS4_3ELS4_3ELNS0_20block_scan_algorithmE0ELj4294967295EEENS1_25partition_config_selectorILNS1_17partition_subalgoE3EjNS0_10empty_typeEbEEZZNS1_14partition_implILS8_3ELb0ES6_jNS0_17counting_iteratorIjlEEPS9_SE_NS0_5tupleIJPjSE_EEENSF_IJSE_SE_EEES9_SG_JZNS1_25segmented_radix_sort_implINS0_14default_configELb1EPKbPbPKlPlN2at6native12_GLOBAL__N_18offset_tEEE10hipError_tPvRmT1_PNSt15iterator_traitsISY_E10value_typeET2_T3_PNSZ_IS14_E10value_typeET4_jRbjT5_S1A_jjP12ihipStream_tbEUljE_EEESV_SW_SX_S14_S18_S1A_T6_T7_T9_mT8_S1C_bDpT10_ENKUlT_T0_E_clISt17integral_constantIbLb1EES1O_IbLb0EEEEDaS1K_S1L_EUlS1K_E_NS1_11comp_targetILNS1_3genE2ELNS1_11target_archE906ELNS1_3gpuE6ELNS1_3repE0EEENS1_30default_config_static_selectorELNS0_4arch9wavefront6targetE1EEEvSY_,comdat
.Lfunc_end1520:
	.size	_ZN7rocprim17ROCPRIM_400000_NS6detail17trampoline_kernelINS0_13select_configILj256ELj13ELNS0_17block_load_methodE3ELS4_3ELS4_3ELNS0_20block_scan_algorithmE0ELj4294967295EEENS1_25partition_config_selectorILNS1_17partition_subalgoE3EjNS0_10empty_typeEbEEZZNS1_14partition_implILS8_3ELb0ES6_jNS0_17counting_iteratorIjlEEPS9_SE_NS0_5tupleIJPjSE_EEENSF_IJSE_SE_EEES9_SG_JZNS1_25segmented_radix_sort_implINS0_14default_configELb1EPKbPbPKlPlN2at6native12_GLOBAL__N_18offset_tEEE10hipError_tPvRmT1_PNSt15iterator_traitsISY_E10value_typeET2_T3_PNSZ_IS14_E10value_typeET4_jRbjT5_S1A_jjP12ihipStream_tbEUljE_EEESV_SW_SX_S14_S18_S1A_T6_T7_T9_mT8_S1C_bDpT10_ENKUlT_T0_E_clISt17integral_constantIbLb1EES1O_IbLb0EEEEDaS1K_S1L_EUlS1K_E_NS1_11comp_targetILNS1_3genE2ELNS1_11target_archE906ELNS1_3gpuE6ELNS1_3repE0EEENS1_30default_config_static_selectorELNS0_4arch9wavefront6targetE1EEEvSY_, .Lfunc_end1520-_ZN7rocprim17ROCPRIM_400000_NS6detail17trampoline_kernelINS0_13select_configILj256ELj13ELNS0_17block_load_methodE3ELS4_3ELS4_3ELNS0_20block_scan_algorithmE0ELj4294967295EEENS1_25partition_config_selectorILNS1_17partition_subalgoE3EjNS0_10empty_typeEbEEZZNS1_14partition_implILS8_3ELb0ES6_jNS0_17counting_iteratorIjlEEPS9_SE_NS0_5tupleIJPjSE_EEENSF_IJSE_SE_EEES9_SG_JZNS1_25segmented_radix_sort_implINS0_14default_configELb1EPKbPbPKlPlN2at6native12_GLOBAL__N_18offset_tEEE10hipError_tPvRmT1_PNSt15iterator_traitsISY_E10value_typeET2_T3_PNSZ_IS14_E10value_typeET4_jRbjT5_S1A_jjP12ihipStream_tbEUljE_EEESV_SW_SX_S14_S18_S1A_T6_T7_T9_mT8_S1C_bDpT10_ENKUlT_T0_E_clISt17integral_constantIbLb1EES1O_IbLb0EEEEDaS1K_S1L_EUlS1K_E_NS1_11comp_targetILNS1_3genE2ELNS1_11target_archE906ELNS1_3gpuE6ELNS1_3repE0EEENS1_30default_config_static_selectorELNS0_4arch9wavefront6targetE1EEEvSY_
                                        ; -- End function
	.set _ZN7rocprim17ROCPRIM_400000_NS6detail17trampoline_kernelINS0_13select_configILj256ELj13ELNS0_17block_load_methodE3ELS4_3ELS4_3ELNS0_20block_scan_algorithmE0ELj4294967295EEENS1_25partition_config_selectorILNS1_17partition_subalgoE3EjNS0_10empty_typeEbEEZZNS1_14partition_implILS8_3ELb0ES6_jNS0_17counting_iteratorIjlEEPS9_SE_NS0_5tupleIJPjSE_EEENSF_IJSE_SE_EEES9_SG_JZNS1_25segmented_radix_sort_implINS0_14default_configELb1EPKbPbPKlPlN2at6native12_GLOBAL__N_18offset_tEEE10hipError_tPvRmT1_PNSt15iterator_traitsISY_E10value_typeET2_T3_PNSZ_IS14_E10value_typeET4_jRbjT5_S1A_jjP12ihipStream_tbEUljE_EEESV_SW_SX_S14_S18_S1A_T6_T7_T9_mT8_S1C_bDpT10_ENKUlT_T0_E_clISt17integral_constantIbLb1EES1O_IbLb0EEEEDaS1K_S1L_EUlS1K_E_NS1_11comp_targetILNS1_3genE2ELNS1_11target_archE906ELNS1_3gpuE6ELNS1_3repE0EEENS1_30default_config_static_selectorELNS0_4arch9wavefront6targetE1EEEvSY_.num_vgpr, 0
	.set _ZN7rocprim17ROCPRIM_400000_NS6detail17trampoline_kernelINS0_13select_configILj256ELj13ELNS0_17block_load_methodE3ELS4_3ELS4_3ELNS0_20block_scan_algorithmE0ELj4294967295EEENS1_25partition_config_selectorILNS1_17partition_subalgoE3EjNS0_10empty_typeEbEEZZNS1_14partition_implILS8_3ELb0ES6_jNS0_17counting_iteratorIjlEEPS9_SE_NS0_5tupleIJPjSE_EEENSF_IJSE_SE_EEES9_SG_JZNS1_25segmented_radix_sort_implINS0_14default_configELb1EPKbPbPKlPlN2at6native12_GLOBAL__N_18offset_tEEE10hipError_tPvRmT1_PNSt15iterator_traitsISY_E10value_typeET2_T3_PNSZ_IS14_E10value_typeET4_jRbjT5_S1A_jjP12ihipStream_tbEUljE_EEESV_SW_SX_S14_S18_S1A_T6_T7_T9_mT8_S1C_bDpT10_ENKUlT_T0_E_clISt17integral_constantIbLb1EES1O_IbLb0EEEEDaS1K_S1L_EUlS1K_E_NS1_11comp_targetILNS1_3genE2ELNS1_11target_archE906ELNS1_3gpuE6ELNS1_3repE0EEENS1_30default_config_static_selectorELNS0_4arch9wavefront6targetE1EEEvSY_.num_agpr, 0
	.set _ZN7rocprim17ROCPRIM_400000_NS6detail17trampoline_kernelINS0_13select_configILj256ELj13ELNS0_17block_load_methodE3ELS4_3ELS4_3ELNS0_20block_scan_algorithmE0ELj4294967295EEENS1_25partition_config_selectorILNS1_17partition_subalgoE3EjNS0_10empty_typeEbEEZZNS1_14partition_implILS8_3ELb0ES6_jNS0_17counting_iteratorIjlEEPS9_SE_NS0_5tupleIJPjSE_EEENSF_IJSE_SE_EEES9_SG_JZNS1_25segmented_radix_sort_implINS0_14default_configELb1EPKbPbPKlPlN2at6native12_GLOBAL__N_18offset_tEEE10hipError_tPvRmT1_PNSt15iterator_traitsISY_E10value_typeET2_T3_PNSZ_IS14_E10value_typeET4_jRbjT5_S1A_jjP12ihipStream_tbEUljE_EEESV_SW_SX_S14_S18_S1A_T6_T7_T9_mT8_S1C_bDpT10_ENKUlT_T0_E_clISt17integral_constantIbLb1EES1O_IbLb0EEEEDaS1K_S1L_EUlS1K_E_NS1_11comp_targetILNS1_3genE2ELNS1_11target_archE906ELNS1_3gpuE6ELNS1_3repE0EEENS1_30default_config_static_selectorELNS0_4arch9wavefront6targetE1EEEvSY_.numbered_sgpr, 0
	.set _ZN7rocprim17ROCPRIM_400000_NS6detail17trampoline_kernelINS0_13select_configILj256ELj13ELNS0_17block_load_methodE3ELS4_3ELS4_3ELNS0_20block_scan_algorithmE0ELj4294967295EEENS1_25partition_config_selectorILNS1_17partition_subalgoE3EjNS0_10empty_typeEbEEZZNS1_14partition_implILS8_3ELb0ES6_jNS0_17counting_iteratorIjlEEPS9_SE_NS0_5tupleIJPjSE_EEENSF_IJSE_SE_EEES9_SG_JZNS1_25segmented_radix_sort_implINS0_14default_configELb1EPKbPbPKlPlN2at6native12_GLOBAL__N_18offset_tEEE10hipError_tPvRmT1_PNSt15iterator_traitsISY_E10value_typeET2_T3_PNSZ_IS14_E10value_typeET4_jRbjT5_S1A_jjP12ihipStream_tbEUljE_EEESV_SW_SX_S14_S18_S1A_T6_T7_T9_mT8_S1C_bDpT10_ENKUlT_T0_E_clISt17integral_constantIbLb1EES1O_IbLb0EEEEDaS1K_S1L_EUlS1K_E_NS1_11comp_targetILNS1_3genE2ELNS1_11target_archE906ELNS1_3gpuE6ELNS1_3repE0EEENS1_30default_config_static_selectorELNS0_4arch9wavefront6targetE1EEEvSY_.num_named_barrier, 0
	.set _ZN7rocprim17ROCPRIM_400000_NS6detail17trampoline_kernelINS0_13select_configILj256ELj13ELNS0_17block_load_methodE3ELS4_3ELS4_3ELNS0_20block_scan_algorithmE0ELj4294967295EEENS1_25partition_config_selectorILNS1_17partition_subalgoE3EjNS0_10empty_typeEbEEZZNS1_14partition_implILS8_3ELb0ES6_jNS0_17counting_iteratorIjlEEPS9_SE_NS0_5tupleIJPjSE_EEENSF_IJSE_SE_EEES9_SG_JZNS1_25segmented_radix_sort_implINS0_14default_configELb1EPKbPbPKlPlN2at6native12_GLOBAL__N_18offset_tEEE10hipError_tPvRmT1_PNSt15iterator_traitsISY_E10value_typeET2_T3_PNSZ_IS14_E10value_typeET4_jRbjT5_S1A_jjP12ihipStream_tbEUljE_EEESV_SW_SX_S14_S18_S1A_T6_T7_T9_mT8_S1C_bDpT10_ENKUlT_T0_E_clISt17integral_constantIbLb1EES1O_IbLb0EEEEDaS1K_S1L_EUlS1K_E_NS1_11comp_targetILNS1_3genE2ELNS1_11target_archE906ELNS1_3gpuE6ELNS1_3repE0EEENS1_30default_config_static_selectorELNS0_4arch9wavefront6targetE1EEEvSY_.private_seg_size, 0
	.set _ZN7rocprim17ROCPRIM_400000_NS6detail17trampoline_kernelINS0_13select_configILj256ELj13ELNS0_17block_load_methodE3ELS4_3ELS4_3ELNS0_20block_scan_algorithmE0ELj4294967295EEENS1_25partition_config_selectorILNS1_17partition_subalgoE3EjNS0_10empty_typeEbEEZZNS1_14partition_implILS8_3ELb0ES6_jNS0_17counting_iteratorIjlEEPS9_SE_NS0_5tupleIJPjSE_EEENSF_IJSE_SE_EEES9_SG_JZNS1_25segmented_radix_sort_implINS0_14default_configELb1EPKbPbPKlPlN2at6native12_GLOBAL__N_18offset_tEEE10hipError_tPvRmT1_PNSt15iterator_traitsISY_E10value_typeET2_T3_PNSZ_IS14_E10value_typeET4_jRbjT5_S1A_jjP12ihipStream_tbEUljE_EEESV_SW_SX_S14_S18_S1A_T6_T7_T9_mT8_S1C_bDpT10_ENKUlT_T0_E_clISt17integral_constantIbLb1EES1O_IbLb0EEEEDaS1K_S1L_EUlS1K_E_NS1_11comp_targetILNS1_3genE2ELNS1_11target_archE906ELNS1_3gpuE6ELNS1_3repE0EEENS1_30default_config_static_selectorELNS0_4arch9wavefront6targetE1EEEvSY_.uses_vcc, 0
	.set _ZN7rocprim17ROCPRIM_400000_NS6detail17trampoline_kernelINS0_13select_configILj256ELj13ELNS0_17block_load_methodE3ELS4_3ELS4_3ELNS0_20block_scan_algorithmE0ELj4294967295EEENS1_25partition_config_selectorILNS1_17partition_subalgoE3EjNS0_10empty_typeEbEEZZNS1_14partition_implILS8_3ELb0ES6_jNS0_17counting_iteratorIjlEEPS9_SE_NS0_5tupleIJPjSE_EEENSF_IJSE_SE_EEES9_SG_JZNS1_25segmented_radix_sort_implINS0_14default_configELb1EPKbPbPKlPlN2at6native12_GLOBAL__N_18offset_tEEE10hipError_tPvRmT1_PNSt15iterator_traitsISY_E10value_typeET2_T3_PNSZ_IS14_E10value_typeET4_jRbjT5_S1A_jjP12ihipStream_tbEUljE_EEESV_SW_SX_S14_S18_S1A_T6_T7_T9_mT8_S1C_bDpT10_ENKUlT_T0_E_clISt17integral_constantIbLb1EES1O_IbLb0EEEEDaS1K_S1L_EUlS1K_E_NS1_11comp_targetILNS1_3genE2ELNS1_11target_archE906ELNS1_3gpuE6ELNS1_3repE0EEENS1_30default_config_static_selectorELNS0_4arch9wavefront6targetE1EEEvSY_.uses_flat_scratch, 0
	.set _ZN7rocprim17ROCPRIM_400000_NS6detail17trampoline_kernelINS0_13select_configILj256ELj13ELNS0_17block_load_methodE3ELS4_3ELS4_3ELNS0_20block_scan_algorithmE0ELj4294967295EEENS1_25partition_config_selectorILNS1_17partition_subalgoE3EjNS0_10empty_typeEbEEZZNS1_14partition_implILS8_3ELb0ES6_jNS0_17counting_iteratorIjlEEPS9_SE_NS0_5tupleIJPjSE_EEENSF_IJSE_SE_EEES9_SG_JZNS1_25segmented_radix_sort_implINS0_14default_configELb1EPKbPbPKlPlN2at6native12_GLOBAL__N_18offset_tEEE10hipError_tPvRmT1_PNSt15iterator_traitsISY_E10value_typeET2_T3_PNSZ_IS14_E10value_typeET4_jRbjT5_S1A_jjP12ihipStream_tbEUljE_EEESV_SW_SX_S14_S18_S1A_T6_T7_T9_mT8_S1C_bDpT10_ENKUlT_T0_E_clISt17integral_constantIbLb1EES1O_IbLb0EEEEDaS1K_S1L_EUlS1K_E_NS1_11comp_targetILNS1_3genE2ELNS1_11target_archE906ELNS1_3gpuE6ELNS1_3repE0EEENS1_30default_config_static_selectorELNS0_4arch9wavefront6targetE1EEEvSY_.has_dyn_sized_stack, 0
	.set _ZN7rocprim17ROCPRIM_400000_NS6detail17trampoline_kernelINS0_13select_configILj256ELj13ELNS0_17block_load_methodE3ELS4_3ELS4_3ELNS0_20block_scan_algorithmE0ELj4294967295EEENS1_25partition_config_selectorILNS1_17partition_subalgoE3EjNS0_10empty_typeEbEEZZNS1_14partition_implILS8_3ELb0ES6_jNS0_17counting_iteratorIjlEEPS9_SE_NS0_5tupleIJPjSE_EEENSF_IJSE_SE_EEES9_SG_JZNS1_25segmented_radix_sort_implINS0_14default_configELb1EPKbPbPKlPlN2at6native12_GLOBAL__N_18offset_tEEE10hipError_tPvRmT1_PNSt15iterator_traitsISY_E10value_typeET2_T3_PNSZ_IS14_E10value_typeET4_jRbjT5_S1A_jjP12ihipStream_tbEUljE_EEESV_SW_SX_S14_S18_S1A_T6_T7_T9_mT8_S1C_bDpT10_ENKUlT_T0_E_clISt17integral_constantIbLb1EES1O_IbLb0EEEEDaS1K_S1L_EUlS1K_E_NS1_11comp_targetILNS1_3genE2ELNS1_11target_archE906ELNS1_3gpuE6ELNS1_3repE0EEENS1_30default_config_static_selectorELNS0_4arch9wavefront6targetE1EEEvSY_.has_recursion, 0
	.set _ZN7rocprim17ROCPRIM_400000_NS6detail17trampoline_kernelINS0_13select_configILj256ELj13ELNS0_17block_load_methodE3ELS4_3ELS4_3ELNS0_20block_scan_algorithmE0ELj4294967295EEENS1_25partition_config_selectorILNS1_17partition_subalgoE3EjNS0_10empty_typeEbEEZZNS1_14partition_implILS8_3ELb0ES6_jNS0_17counting_iteratorIjlEEPS9_SE_NS0_5tupleIJPjSE_EEENSF_IJSE_SE_EEES9_SG_JZNS1_25segmented_radix_sort_implINS0_14default_configELb1EPKbPbPKlPlN2at6native12_GLOBAL__N_18offset_tEEE10hipError_tPvRmT1_PNSt15iterator_traitsISY_E10value_typeET2_T3_PNSZ_IS14_E10value_typeET4_jRbjT5_S1A_jjP12ihipStream_tbEUljE_EEESV_SW_SX_S14_S18_S1A_T6_T7_T9_mT8_S1C_bDpT10_ENKUlT_T0_E_clISt17integral_constantIbLb1EES1O_IbLb0EEEEDaS1K_S1L_EUlS1K_E_NS1_11comp_targetILNS1_3genE2ELNS1_11target_archE906ELNS1_3gpuE6ELNS1_3repE0EEENS1_30default_config_static_selectorELNS0_4arch9wavefront6targetE1EEEvSY_.has_indirect_call, 0
	.section	.AMDGPU.csdata,"",@progbits
; Kernel info:
; codeLenInByte = 4
; TotalNumSgprs: 4
; NumVgprs: 0
; ScratchSize: 0
; MemoryBound: 0
; FloatMode: 240
; IeeeMode: 1
; LDSByteSize: 0 bytes/workgroup (compile time only)
; SGPRBlocks: 0
; VGPRBlocks: 0
; NumSGPRsForWavesPerEU: 4
; NumVGPRsForWavesPerEU: 1
; Occupancy: 10
; WaveLimiterHint : 0
; COMPUTE_PGM_RSRC2:SCRATCH_EN: 0
; COMPUTE_PGM_RSRC2:USER_SGPR: 6
; COMPUTE_PGM_RSRC2:TRAP_HANDLER: 0
; COMPUTE_PGM_RSRC2:TGID_X_EN: 1
; COMPUTE_PGM_RSRC2:TGID_Y_EN: 0
; COMPUTE_PGM_RSRC2:TGID_Z_EN: 0
; COMPUTE_PGM_RSRC2:TIDIG_COMP_CNT: 0
	.section	.text._ZN7rocprim17ROCPRIM_400000_NS6detail17trampoline_kernelINS0_13select_configILj256ELj13ELNS0_17block_load_methodE3ELS4_3ELS4_3ELNS0_20block_scan_algorithmE0ELj4294967295EEENS1_25partition_config_selectorILNS1_17partition_subalgoE3EjNS0_10empty_typeEbEEZZNS1_14partition_implILS8_3ELb0ES6_jNS0_17counting_iteratorIjlEEPS9_SE_NS0_5tupleIJPjSE_EEENSF_IJSE_SE_EEES9_SG_JZNS1_25segmented_radix_sort_implINS0_14default_configELb1EPKbPbPKlPlN2at6native12_GLOBAL__N_18offset_tEEE10hipError_tPvRmT1_PNSt15iterator_traitsISY_E10value_typeET2_T3_PNSZ_IS14_E10value_typeET4_jRbjT5_S1A_jjP12ihipStream_tbEUljE_EEESV_SW_SX_S14_S18_S1A_T6_T7_T9_mT8_S1C_bDpT10_ENKUlT_T0_E_clISt17integral_constantIbLb1EES1O_IbLb0EEEEDaS1K_S1L_EUlS1K_E_NS1_11comp_targetILNS1_3genE10ELNS1_11target_archE1200ELNS1_3gpuE4ELNS1_3repE0EEENS1_30default_config_static_selectorELNS0_4arch9wavefront6targetE1EEEvSY_,"axG",@progbits,_ZN7rocprim17ROCPRIM_400000_NS6detail17trampoline_kernelINS0_13select_configILj256ELj13ELNS0_17block_load_methodE3ELS4_3ELS4_3ELNS0_20block_scan_algorithmE0ELj4294967295EEENS1_25partition_config_selectorILNS1_17partition_subalgoE3EjNS0_10empty_typeEbEEZZNS1_14partition_implILS8_3ELb0ES6_jNS0_17counting_iteratorIjlEEPS9_SE_NS0_5tupleIJPjSE_EEENSF_IJSE_SE_EEES9_SG_JZNS1_25segmented_radix_sort_implINS0_14default_configELb1EPKbPbPKlPlN2at6native12_GLOBAL__N_18offset_tEEE10hipError_tPvRmT1_PNSt15iterator_traitsISY_E10value_typeET2_T3_PNSZ_IS14_E10value_typeET4_jRbjT5_S1A_jjP12ihipStream_tbEUljE_EEESV_SW_SX_S14_S18_S1A_T6_T7_T9_mT8_S1C_bDpT10_ENKUlT_T0_E_clISt17integral_constantIbLb1EES1O_IbLb0EEEEDaS1K_S1L_EUlS1K_E_NS1_11comp_targetILNS1_3genE10ELNS1_11target_archE1200ELNS1_3gpuE4ELNS1_3repE0EEENS1_30default_config_static_selectorELNS0_4arch9wavefront6targetE1EEEvSY_,comdat
	.globl	_ZN7rocprim17ROCPRIM_400000_NS6detail17trampoline_kernelINS0_13select_configILj256ELj13ELNS0_17block_load_methodE3ELS4_3ELS4_3ELNS0_20block_scan_algorithmE0ELj4294967295EEENS1_25partition_config_selectorILNS1_17partition_subalgoE3EjNS0_10empty_typeEbEEZZNS1_14partition_implILS8_3ELb0ES6_jNS0_17counting_iteratorIjlEEPS9_SE_NS0_5tupleIJPjSE_EEENSF_IJSE_SE_EEES9_SG_JZNS1_25segmented_radix_sort_implINS0_14default_configELb1EPKbPbPKlPlN2at6native12_GLOBAL__N_18offset_tEEE10hipError_tPvRmT1_PNSt15iterator_traitsISY_E10value_typeET2_T3_PNSZ_IS14_E10value_typeET4_jRbjT5_S1A_jjP12ihipStream_tbEUljE_EEESV_SW_SX_S14_S18_S1A_T6_T7_T9_mT8_S1C_bDpT10_ENKUlT_T0_E_clISt17integral_constantIbLb1EES1O_IbLb0EEEEDaS1K_S1L_EUlS1K_E_NS1_11comp_targetILNS1_3genE10ELNS1_11target_archE1200ELNS1_3gpuE4ELNS1_3repE0EEENS1_30default_config_static_selectorELNS0_4arch9wavefront6targetE1EEEvSY_ ; -- Begin function _ZN7rocprim17ROCPRIM_400000_NS6detail17trampoline_kernelINS0_13select_configILj256ELj13ELNS0_17block_load_methodE3ELS4_3ELS4_3ELNS0_20block_scan_algorithmE0ELj4294967295EEENS1_25partition_config_selectorILNS1_17partition_subalgoE3EjNS0_10empty_typeEbEEZZNS1_14partition_implILS8_3ELb0ES6_jNS0_17counting_iteratorIjlEEPS9_SE_NS0_5tupleIJPjSE_EEENSF_IJSE_SE_EEES9_SG_JZNS1_25segmented_radix_sort_implINS0_14default_configELb1EPKbPbPKlPlN2at6native12_GLOBAL__N_18offset_tEEE10hipError_tPvRmT1_PNSt15iterator_traitsISY_E10value_typeET2_T3_PNSZ_IS14_E10value_typeET4_jRbjT5_S1A_jjP12ihipStream_tbEUljE_EEESV_SW_SX_S14_S18_S1A_T6_T7_T9_mT8_S1C_bDpT10_ENKUlT_T0_E_clISt17integral_constantIbLb1EES1O_IbLb0EEEEDaS1K_S1L_EUlS1K_E_NS1_11comp_targetILNS1_3genE10ELNS1_11target_archE1200ELNS1_3gpuE4ELNS1_3repE0EEENS1_30default_config_static_selectorELNS0_4arch9wavefront6targetE1EEEvSY_
	.p2align	8
	.type	_ZN7rocprim17ROCPRIM_400000_NS6detail17trampoline_kernelINS0_13select_configILj256ELj13ELNS0_17block_load_methodE3ELS4_3ELS4_3ELNS0_20block_scan_algorithmE0ELj4294967295EEENS1_25partition_config_selectorILNS1_17partition_subalgoE3EjNS0_10empty_typeEbEEZZNS1_14partition_implILS8_3ELb0ES6_jNS0_17counting_iteratorIjlEEPS9_SE_NS0_5tupleIJPjSE_EEENSF_IJSE_SE_EEES9_SG_JZNS1_25segmented_radix_sort_implINS0_14default_configELb1EPKbPbPKlPlN2at6native12_GLOBAL__N_18offset_tEEE10hipError_tPvRmT1_PNSt15iterator_traitsISY_E10value_typeET2_T3_PNSZ_IS14_E10value_typeET4_jRbjT5_S1A_jjP12ihipStream_tbEUljE_EEESV_SW_SX_S14_S18_S1A_T6_T7_T9_mT8_S1C_bDpT10_ENKUlT_T0_E_clISt17integral_constantIbLb1EES1O_IbLb0EEEEDaS1K_S1L_EUlS1K_E_NS1_11comp_targetILNS1_3genE10ELNS1_11target_archE1200ELNS1_3gpuE4ELNS1_3repE0EEENS1_30default_config_static_selectorELNS0_4arch9wavefront6targetE1EEEvSY_,@function
_ZN7rocprim17ROCPRIM_400000_NS6detail17trampoline_kernelINS0_13select_configILj256ELj13ELNS0_17block_load_methodE3ELS4_3ELS4_3ELNS0_20block_scan_algorithmE0ELj4294967295EEENS1_25partition_config_selectorILNS1_17partition_subalgoE3EjNS0_10empty_typeEbEEZZNS1_14partition_implILS8_3ELb0ES6_jNS0_17counting_iteratorIjlEEPS9_SE_NS0_5tupleIJPjSE_EEENSF_IJSE_SE_EEES9_SG_JZNS1_25segmented_radix_sort_implINS0_14default_configELb1EPKbPbPKlPlN2at6native12_GLOBAL__N_18offset_tEEE10hipError_tPvRmT1_PNSt15iterator_traitsISY_E10value_typeET2_T3_PNSZ_IS14_E10value_typeET4_jRbjT5_S1A_jjP12ihipStream_tbEUljE_EEESV_SW_SX_S14_S18_S1A_T6_T7_T9_mT8_S1C_bDpT10_ENKUlT_T0_E_clISt17integral_constantIbLb1EES1O_IbLb0EEEEDaS1K_S1L_EUlS1K_E_NS1_11comp_targetILNS1_3genE10ELNS1_11target_archE1200ELNS1_3gpuE4ELNS1_3repE0EEENS1_30default_config_static_selectorELNS0_4arch9wavefront6targetE1EEEvSY_: ; @_ZN7rocprim17ROCPRIM_400000_NS6detail17trampoline_kernelINS0_13select_configILj256ELj13ELNS0_17block_load_methodE3ELS4_3ELS4_3ELNS0_20block_scan_algorithmE0ELj4294967295EEENS1_25partition_config_selectorILNS1_17partition_subalgoE3EjNS0_10empty_typeEbEEZZNS1_14partition_implILS8_3ELb0ES6_jNS0_17counting_iteratorIjlEEPS9_SE_NS0_5tupleIJPjSE_EEENSF_IJSE_SE_EEES9_SG_JZNS1_25segmented_radix_sort_implINS0_14default_configELb1EPKbPbPKlPlN2at6native12_GLOBAL__N_18offset_tEEE10hipError_tPvRmT1_PNSt15iterator_traitsISY_E10value_typeET2_T3_PNSZ_IS14_E10value_typeET4_jRbjT5_S1A_jjP12ihipStream_tbEUljE_EEESV_SW_SX_S14_S18_S1A_T6_T7_T9_mT8_S1C_bDpT10_ENKUlT_T0_E_clISt17integral_constantIbLb1EES1O_IbLb0EEEEDaS1K_S1L_EUlS1K_E_NS1_11comp_targetILNS1_3genE10ELNS1_11target_archE1200ELNS1_3gpuE4ELNS1_3repE0EEENS1_30default_config_static_selectorELNS0_4arch9wavefront6targetE1EEEvSY_
; %bb.0:
	.section	.rodata,"a",@progbits
	.p2align	6, 0x0
	.amdhsa_kernel _ZN7rocprim17ROCPRIM_400000_NS6detail17trampoline_kernelINS0_13select_configILj256ELj13ELNS0_17block_load_methodE3ELS4_3ELS4_3ELNS0_20block_scan_algorithmE0ELj4294967295EEENS1_25partition_config_selectorILNS1_17partition_subalgoE3EjNS0_10empty_typeEbEEZZNS1_14partition_implILS8_3ELb0ES6_jNS0_17counting_iteratorIjlEEPS9_SE_NS0_5tupleIJPjSE_EEENSF_IJSE_SE_EEES9_SG_JZNS1_25segmented_radix_sort_implINS0_14default_configELb1EPKbPbPKlPlN2at6native12_GLOBAL__N_18offset_tEEE10hipError_tPvRmT1_PNSt15iterator_traitsISY_E10value_typeET2_T3_PNSZ_IS14_E10value_typeET4_jRbjT5_S1A_jjP12ihipStream_tbEUljE_EEESV_SW_SX_S14_S18_S1A_T6_T7_T9_mT8_S1C_bDpT10_ENKUlT_T0_E_clISt17integral_constantIbLb1EES1O_IbLb0EEEEDaS1K_S1L_EUlS1K_E_NS1_11comp_targetILNS1_3genE10ELNS1_11target_archE1200ELNS1_3gpuE4ELNS1_3repE0EEENS1_30default_config_static_selectorELNS0_4arch9wavefront6targetE1EEEvSY_
		.amdhsa_group_segment_fixed_size 0
		.amdhsa_private_segment_fixed_size 0
		.amdhsa_kernarg_size 144
		.amdhsa_user_sgpr_count 6
		.amdhsa_user_sgpr_private_segment_buffer 1
		.amdhsa_user_sgpr_dispatch_ptr 0
		.amdhsa_user_sgpr_queue_ptr 0
		.amdhsa_user_sgpr_kernarg_segment_ptr 1
		.amdhsa_user_sgpr_dispatch_id 0
		.amdhsa_user_sgpr_flat_scratch_init 0
		.amdhsa_user_sgpr_private_segment_size 0
		.amdhsa_uses_dynamic_stack 0
		.amdhsa_system_sgpr_private_segment_wavefront_offset 0
		.amdhsa_system_sgpr_workgroup_id_x 1
		.amdhsa_system_sgpr_workgroup_id_y 0
		.amdhsa_system_sgpr_workgroup_id_z 0
		.amdhsa_system_sgpr_workgroup_info 0
		.amdhsa_system_vgpr_workitem_id 0
		.amdhsa_next_free_vgpr 1
		.amdhsa_next_free_sgpr 0
		.amdhsa_reserve_vcc 0
		.amdhsa_reserve_flat_scratch 0
		.amdhsa_float_round_mode_32 0
		.amdhsa_float_round_mode_16_64 0
		.amdhsa_float_denorm_mode_32 3
		.amdhsa_float_denorm_mode_16_64 3
		.amdhsa_dx10_clamp 1
		.amdhsa_ieee_mode 1
		.amdhsa_fp16_overflow 0
		.amdhsa_exception_fp_ieee_invalid_op 0
		.amdhsa_exception_fp_denorm_src 0
		.amdhsa_exception_fp_ieee_div_zero 0
		.amdhsa_exception_fp_ieee_overflow 0
		.amdhsa_exception_fp_ieee_underflow 0
		.amdhsa_exception_fp_ieee_inexact 0
		.amdhsa_exception_int_div_zero 0
	.end_amdhsa_kernel
	.section	.text._ZN7rocprim17ROCPRIM_400000_NS6detail17trampoline_kernelINS0_13select_configILj256ELj13ELNS0_17block_load_methodE3ELS4_3ELS4_3ELNS0_20block_scan_algorithmE0ELj4294967295EEENS1_25partition_config_selectorILNS1_17partition_subalgoE3EjNS0_10empty_typeEbEEZZNS1_14partition_implILS8_3ELb0ES6_jNS0_17counting_iteratorIjlEEPS9_SE_NS0_5tupleIJPjSE_EEENSF_IJSE_SE_EEES9_SG_JZNS1_25segmented_radix_sort_implINS0_14default_configELb1EPKbPbPKlPlN2at6native12_GLOBAL__N_18offset_tEEE10hipError_tPvRmT1_PNSt15iterator_traitsISY_E10value_typeET2_T3_PNSZ_IS14_E10value_typeET4_jRbjT5_S1A_jjP12ihipStream_tbEUljE_EEESV_SW_SX_S14_S18_S1A_T6_T7_T9_mT8_S1C_bDpT10_ENKUlT_T0_E_clISt17integral_constantIbLb1EES1O_IbLb0EEEEDaS1K_S1L_EUlS1K_E_NS1_11comp_targetILNS1_3genE10ELNS1_11target_archE1200ELNS1_3gpuE4ELNS1_3repE0EEENS1_30default_config_static_selectorELNS0_4arch9wavefront6targetE1EEEvSY_,"axG",@progbits,_ZN7rocprim17ROCPRIM_400000_NS6detail17trampoline_kernelINS0_13select_configILj256ELj13ELNS0_17block_load_methodE3ELS4_3ELS4_3ELNS0_20block_scan_algorithmE0ELj4294967295EEENS1_25partition_config_selectorILNS1_17partition_subalgoE3EjNS0_10empty_typeEbEEZZNS1_14partition_implILS8_3ELb0ES6_jNS0_17counting_iteratorIjlEEPS9_SE_NS0_5tupleIJPjSE_EEENSF_IJSE_SE_EEES9_SG_JZNS1_25segmented_radix_sort_implINS0_14default_configELb1EPKbPbPKlPlN2at6native12_GLOBAL__N_18offset_tEEE10hipError_tPvRmT1_PNSt15iterator_traitsISY_E10value_typeET2_T3_PNSZ_IS14_E10value_typeET4_jRbjT5_S1A_jjP12ihipStream_tbEUljE_EEESV_SW_SX_S14_S18_S1A_T6_T7_T9_mT8_S1C_bDpT10_ENKUlT_T0_E_clISt17integral_constantIbLb1EES1O_IbLb0EEEEDaS1K_S1L_EUlS1K_E_NS1_11comp_targetILNS1_3genE10ELNS1_11target_archE1200ELNS1_3gpuE4ELNS1_3repE0EEENS1_30default_config_static_selectorELNS0_4arch9wavefront6targetE1EEEvSY_,comdat
.Lfunc_end1521:
	.size	_ZN7rocprim17ROCPRIM_400000_NS6detail17trampoline_kernelINS0_13select_configILj256ELj13ELNS0_17block_load_methodE3ELS4_3ELS4_3ELNS0_20block_scan_algorithmE0ELj4294967295EEENS1_25partition_config_selectorILNS1_17partition_subalgoE3EjNS0_10empty_typeEbEEZZNS1_14partition_implILS8_3ELb0ES6_jNS0_17counting_iteratorIjlEEPS9_SE_NS0_5tupleIJPjSE_EEENSF_IJSE_SE_EEES9_SG_JZNS1_25segmented_radix_sort_implINS0_14default_configELb1EPKbPbPKlPlN2at6native12_GLOBAL__N_18offset_tEEE10hipError_tPvRmT1_PNSt15iterator_traitsISY_E10value_typeET2_T3_PNSZ_IS14_E10value_typeET4_jRbjT5_S1A_jjP12ihipStream_tbEUljE_EEESV_SW_SX_S14_S18_S1A_T6_T7_T9_mT8_S1C_bDpT10_ENKUlT_T0_E_clISt17integral_constantIbLb1EES1O_IbLb0EEEEDaS1K_S1L_EUlS1K_E_NS1_11comp_targetILNS1_3genE10ELNS1_11target_archE1200ELNS1_3gpuE4ELNS1_3repE0EEENS1_30default_config_static_selectorELNS0_4arch9wavefront6targetE1EEEvSY_, .Lfunc_end1521-_ZN7rocprim17ROCPRIM_400000_NS6detail17trampoline_kernelINS0_13select_configILj256ELj13ELNS0_17block_load_methodE3ELS4_3ELS4_3ELNS0_20block_scan_algorithmE0ELj4294967295EEENS1_25partition_config_selectorILNS1_17partition_subalgoE3EjNS0_10empty_typeEbEEZZNS1_14partition_implILS8_3ELb0ES6_jNS0_17counting_iteratorIjlEEPS9_SE_NS0_5tupleIJPjSE_EEENSF_IJSE_SE_EEES9_SG_JZNS1_25segmented_radix_sort_implINS0_14default_configELb1EPKbPbPKlPlN2at6native12_GLOBAL__N_18offset_tEEE10hipError_tPvRmT1_PNSt15iterator_traitsISY_E10value_typeET2_T3_PNSZ_IS14_E10value_typeET4_jRbjT5_S1A_jjP12ihipStream_tbEUljE_EEESV_SW_SX_S14_S18_S1A_T6_T7_T9_mT8_S1C_bDpT10_ENKUlT_T0_E_clISt17integral_constantIbLb1EES1O_IbLb0EEEEDaS1K_S1L_EUlS1K_E_NS1_11comp_targetILNS1_3genE10ELNS1_11target_archE1200ELNS1_3gpuE4ELNS1_3repE0EEENS1_30default_config_static_selectorELNS0_4arch9wavefront6targetE1EEEvSY_
                                        ; -- End function
	.set _ZN7rocprim17ROCPRIM_400000_NS6detail17trampoline_kernelINS0_13select_configILj256ELj13ELNS0_17block_load_methodE3ELS4_3ELS4_3ELNS0_20block_scan_algorithmE0ELj4294967295EEENS1_25partition_config_selectorILNS1_17partition_subalgoE3EjNS0_10empty_typeEbEEZZNS1_14partition_implILS8_3ELb0ES6_jNS0_17counting_iteratorIjlEEPS9_SE_NS0_5tupleIJPjSE_EEENSF_IJSE_SE_EEES9_SG_JZNS1_25segmented_radix_sort_implINS0_14default_configELb1EPKbPbPKlPlN2at6native12_GLOBAL__N_18offset_tEEE10hipError_tPvRmT1_PNSt15iterator_traitsISY_E10value_typeET2_T3_PNSZ_IS14_E10value_typeET4_jRbjT5_S1A_jjP12ihipStream_tbEUljE_EEESV_SW_SX_S14_S18_S1A_T6_T7_T9_mT8_S1C_bDpT10_ENKUlT_T0_E_clISt17integral_constantIbLb1EES1O_IbLb0EEEEDaS1K_S1L_EUlS1K_E_NS1_11comp_targetILNS1_3genE10ELNS1_11target_archE1200ELNS1_3gpuE4ELNS1_3repE0EEENS1_30default_config_static_selectorELNS0_4arch9wavefront6targetE1EEEvSY_.num_vgpr, 0
	.set _ZN7rocprim17ROCPRIM_400000_NS6detail17trampoline_kernelINS0_13select_configILj256ELj13ELNS0_17block_load_methodE3ELS4_3ELS4_3ELNS0_20block_scan_algorithmE0ELj4294967295EEENS1_25partition_config_selectorILNS1_17partition_subalgoE3EjNS0_10empty_typeEbEEZZNS1_14partition_implILS8_3ELb0ES6_jNS0_17counting_iteratorIjlEEPS9_SE_NS0_5tupleIJPjSE_EEENSF_IJSE_SE_EEES9_SG_JZNS1_25segmented_radix_sort_implINS0_14default_configELb1EPKbPbPKlPlN2at6native12_GLOBAL__N_18offset_tEEE10hipError_tPvRmT1_PNSt15iterator_traitsISY_E10value_typeET2_T3_PNSZ_IS14_E10value_typeET4_jRbjT5_S1A_jjP12ihipStream_tbEUljE_EEESV_SW_SX_S14_S18_S1A_T6_T7_T9_mT8_S1C_bDpT10_ENKUlT_T0_E_clISt17integral_constantIbLb1EES1O_IbLb0EEEEDaS1K_S1L_EUlS1K_E_NS1_11comp_targetILNS1_3genE10ELNS1_11target_archE1200ELNS1_3gpuE4ELNS1_3repE0EEENS1_30default_config_static_selectorELNS0_4arch9wavefront6targetE1EEEvSY_.num_agpr, 0
	.set _ZN7rocprim17ROCPRIM_400000_NS6detail17trampoline_kernelINS0_13select_configILj256ELj13ELNS0_17block_load_methodE3ELS4_3ELS4_3ELNS0_20block_scan_algorithmE0ELj4294967295EEENS1_25partition_config_selectorILNS1_17partition_subalgoE3EjNS0_10empty_typeEbEEZZNS1_14partition_implILS8_3ELb0ES6_jNS0_17counting_iteratorIjlEEPS9_SE_NS0_5tupleIJPjSE_EEENSF_IJSE_SE_EEES9_SG_JZNS1_25segmented_radix_sort_implINS0_14default_configELb1EPKbPbPKlPlN2at6native12_GLOBAL__N_18offset_tEEE10hipError_tPvRmT1_PNSt15iterator_traitsISY_E10value_typeET2_T3_PNSZ_IS14_E10value_typeET4_jRbjT5_S1A_jjP12ihipStream_tbEUljE_EEESV_SW_SX_S14_S18_S1A_T6_T7_T9_mT8_S1C_bDpT10_ENKUlT_T0_E_clISt17integral_constantIbLb1EES1O_IbLb0EEEEDaS1K_S1L_EUlS1K_E_NS1_11comp_targetILNS1_3genE10ELNS1_11target_archE1200ELNS1_3gpuE4ELNS1_3repE0EEENS1_30default_config_static_selectorELNS0_4arch9wavefront6targetE1EEEvSY_.numbered_sgpr, 0
	.set _ZN7rocprim17ROCPRIM_400000_NS6detail17trampoline_kernelINS0_13select_configILj256ELj13ELNS0_17block_load_methodE3ELS4_3ELS4_3ELNS0_20block_scan_algorithmE0ELj4294967295EEENS1_25partition_config_selectorILNS1_17partition_subalgoE3EjNS0_10empty_typeEbEEZZNS1_14partition_implILS8_3ELb0ES6_jNS0_17counting_iteratorIjlEEPS9_SE_NS0_5tupleIJPjSE_EEENSF_IJSE_SE_EEES9_SG_JZNS1_25segmented_radix_sort_implINS0_14default_configELb1EPKbPbPKlPlN2at6native12_GLOBAL__N_18offset_tEEE10hipError_tPvRmT1_PNSt15iterator_traitsISY_E10value_typeET2_T3_PNSZ_IS14_E10value_typeET4_jRbjT5_S1A_jjP12ihipStream_tbEUljE_EEESV_SW_SX_S14_S18_S1A_T6_T7_T9_mT8_S1C_bDpT10_ENKUlT_T0_E_clISt17integral_constantIbLb1EES1O_IbLb0EEEEDaS1K_S1L_EUlS1K_E_NS1_11comp_targetILNS1_3genE10ELNS1_11target_archE1200ELNS1_3gpuE4ELNS1_3repE0EEENS1_30default_config_static_selectorELNS0_4arch9wavefront6targetE1EEEvSY_.num_named_barrier, 0
	.set _ZN7rocprim17ROCPRIM_400000_NS6detail17trampoline_kernelINS0_13select_configILj256ELj13ELNS0_17block_load_methodE3ELS4_3ELS4_3ELNS0_20block_scan_algorithmE0ELj4294967295EEENS1_25partition_config_selectorILNS1_17partition_subalgoE3EjNS0_10empty_typeEbEEZZNS1_14partition_implILS8_3ELb0ES6_jNS0_17counting_iteratorIjlEEPS9_SE_NS0_5tupleIJPjSE_EEENSF_IJSE_SE_EEES9_SG_JZNS1_25segmented_radix_sort_implINS0_14default_configELb1EPKbPbPKlPlN2at6native12_GLOBAL__N_18offset_tEEE10hipError_tPvRmT1_PNSt15iterator_traitsISY_E10value_typeET2_T3_PNSZ_IS14_E10value_typeET4_jRbjT5_S1A_jjP12ihipStream_tbEUljE_EEESV_SW_SX_S14_S18_S1A_T6_T7_T9_mT8_S1C_bDpT10_ENKUlT_T0_E_clISt17integral_constantIbLb1EES1O_IbLb0EEEEDaS1K_S1L_EUlS1K_E_NS1_11comp_targetILNS1_3genE10ELNS1_11target_archE1200ELNS1_3gpuE4ELNS1_3repE0EEENS1_30default_config_static_selectorELNS0_4arch9wavefront6targetE1EEEvSY_.private_seg_size, 0
	.set _ZN7rocprim17ROCPRIM_400000_NS6detail17trampoline_kernelINS0_13select_configILj256ELj13ELNS0_17block_load_methodE3ELS4_3ELS4_3ELNS0_20block_scan_algorithmE0ELj4294967295EEENS1_25partition_config_selectorILNS1_17partition_subalgoE3EjNS0_10empty_typeEbEEZZNS1_14partition_implILS8_3ELb0ES6_jNS0_17counting_iteratorIjlEEPS9_SE_NS0_5tupleIJPjSE_EEENSF_IJSE_SE_EEES9_SG_JZNS1_25segmented_radix_sort_implINS0_14default_configELb1EPKbPbPKlPlN2at6native12_GLOBAL__N_18offset_tEEE10hipError_tPvRmT1_PNSt15iterator_traitsISY_E10value_typeET2_T3_PNSZ_IS14_E10value_typeET4_jRbjT5_S1A_jjP12ihipStream_tbEUljE_EEESV_SW_SX_S14_S18_S1A_T6_T7_T9_mT8_S1C_bDpT10_ENKUlT_T0_E_clISt17integral_constantIbLb1EES1O_IbLb0EEEEDaS1K_S1L_EUlS1K_E_NS1_11comp_targetILNS1_3genE10ELNS1_11target_archE1200ELNS1_3gpuE4ELNS1_3repE0EEENS1_30default_config_static_selectorELNS0_4arch9wavefront6targetE1EEEvSY_.uses_vcc, 0
	.set _ZN7rocprim17ROCPRIM_400000_NS6detail17trampoline_kernelINS0_13select_configILj256ELj13ELNS0_17block_load_methodE3ELS4_3ELS4_3ELNS0_20block_scan_algorithmE0ELj4294967295EEENS1_25partition_config_selectorILNS1_17partition_subalgoE3EjNS0_10empty_typeEbEEZZNS1_14partition_implILS8_3ELb0ES6_jNS0_17counting_iteratorIjlEEPS9_SE_NS0_5tupleIJPjSE_EEENSF_IJSE_SE_EEES9_SG_JZNS1_25segmented_radix_sort_implINS0_14default_configELb1EPKbPbPKlPlN2at6native12_GLOBAL__N_18offset_tEEE10hipError_tPvRmT1_PNSt15iterator_traitsISY_E10value_typeET2_T3_PNSZ_IS14_E10value_typeET4_jRbjT5_S1A_jjP12ihipStream_tbEUljE_EEESV_SW_SX_S14_S18_S1A_T6_T7_T9_mT8_S1C_bDpT10_ENKUlT_T0_E_clISt17integral_constantIbLb1EES1O_IbLb0EEEEDaS1K_S1L_EUlS1K_E_NS1_11comp_targetILNS1_3genE10ELNS1_11target_archE1200ELNS1_3gpuE4ELNS1_3repE0EEENS1_30default_config_static_selectorELNS0_4arch9wavefront6targetE1EEEvSY_.uses_flat_scratch, 0
	.set _ZN7rocprim17ROCPRIM_400000_NS6detail17trampoline_kernelINS0_13select_configILj256ELj13ELNS0_17block_load_methodE3ELS4_3ELS4_3ELNS0_20block_scan_algorithmE0ELj4294967295EEENS1_25partition_config_selectorILNS1_17partition_subalgoE3EjNS0_10empty_typeEbEEZZNS1_14partition_implILS8_3ELb0ES6_jNS0_17counting_iteratorIjlEEPS9_SE_NS0_5tupleIJPjSE_EEENSF_IJSE_SE_EEES9_SG_JZNS1_25segmented_radix_sort_implINS0_14default_configELb1EPKbPbPKlPlN2at6native12_GLOBAL__N_18offset_tEEE10hipError_tPvRmT1_PNSt15iterator_traitsISY_E10value_typeET2_T3_PNSZ_IS14_E10value_typeET4_jRbjT5_S1A_jjP12ihipStream_tbEUljE_EEESV_SW_SX_S14_S18_S1A_T6_T7_T9_mT8_S1C_bDpT10_ENKUlT_T0_E_clISt17integral_constantIbLb1EES1O_IbLb0EEEEDaS1K_S1L_EUlS1K_E_NS1_11comp_targetILNS1_3genE10ELNS1_11target_archE1200ELNS1_3gpuE4ELNS1_3repE0EEENS1_30default_config_static_selectorELNS0_4arch9wavefront6targetE1EEEvSY_.has_dyn_sized_stack, 0
	.set _ZN7rocprim17ROCPRIM_400000_NS6detail17trampoline_kernelINS0_13select_configILj256ELj13ELNS0_17block_load_methodE3ELS4_3ELS4_3ELNS0_20block_scan_algorithmE0ELj4294967295EEENS1_25partition_config_selectorILNS1_17partition_subalgoE3EjNS0_10empty_typeEbEEZZNS1_14partition_implILS8_3ELb0ES6_jNS0_17counting_iteratorIjlEEPS9_SE_NS0_5tupleIJPjSE_EEENSF_IJSE_SE_EEES9_SG_JZNS1_25segmented_radix_sort_implINS0_14default_configELb1EPKbPbPKlPlN2at6native12_GLOBAL__N_18offset_tEEE10hipError_tPvRmT1_PNSt15iterator_traitsISY_E10value_typeET2_T3_PNSZ_IS14_E10value_typeET4_jRbjT5_S1A_jjP12ihipStream_tbEUljE_EEESV_SW_SX_S14_S18_S1A_T6_T7_T9_mT8_S1C_bDpT10_ENKUlT_T0_E_clISt17integral_constantIbLb1EES1O_IbLb0EEEEDaS1K_S1L_EUlS1K_E_NS1_11comp_targetILNS1_3genE10ELNS1_11target_archE1200ELNS1_3gpuE4ELNS1_3repE0EEENS1_30default_config_static_selectorELNS0_4arch9wavefront6targetE1EEEvSY_.has_recursion, 0
	.set _ZN7rocprim17ROCPRIM_400000_NS6detail17trampoline_kernelINS0_13select_configILj256ELj13ELNS0_17block_load_methodE3ELS4_3ELS4_3ELNS0_20block_scan_algorithmE0ELj4294967295EEENS1_25partition_config_selectorILNS1_17partition_subalgoE3EjNS0_10empty_typeEbEEZZNS1_14partition_implILS8_3ELb0ES6_jNS0_17counting_iteratorIjlEEPS9_SE_NS0_5tupleIJPjSE_EEENSF_IJSE_SE_EEES9_SG_JZNS1_25segmented_radix_sort_implINS0_14default_configELb1EPKbPbPKlPlN2at6native12_GLOBAL__N_18offset_tEEE10hipError_tPvRmT1_PNSt15iterator_traitsISY_E10value_typeET2_T3_PNSZ_IS14_E10value_typeET4_jRbjT5_S1A_jjP12ihipStream_tbEUljE_EEESV_SW_SX_S14_S18_S1A_T6_T7_T9_mT8_S1C_bDpT10_ENKUlT_T0_E_clISt17integral_constantIbLb1EES1O_IbLb0EEEEDaS1K_S1L_EUlS1K_E_NS1_11comp_targetILNS1_3genE10ELNS1_11target_archE1200ELNS1_3gpuE4ELNS1_3repE0EEENS1_30default_config_static_selectorELNS0_4arch9wavefront6targetE1EEEvSY_.has_indirect_call, 0
	.section	.AMDGPU.csdata,"",@progbits
; Kernel info:
; codeLenInByte = 0
; TotalNumSgprs: 4
; NumVgprs: 0
; ScratchSize: 0
; MemoryBound: 0
; FloatMode: 240
; IeeeMode: 1
; LDSByteSize: 0 bytes/workgroup (compile time only)
; SGPRBlocks: 0
; VGPRBlocks: 0
; NumSGPRsForWavesPerEU: 4
; NumVGPRsForWavesPerEU: 1
; Occupancy: 10
; WaveLimiterHint : 0
; COMPUTE_PGM_RSRC2:SCRATCH_EN: 0
; COMPUTE_PGM_RSRC2:USER_SGPR: 6
; COMPUTE_PGM_RSRC2:TRAP_HANDLER: 0
; COMPUTE_PGM_RSRC2:TGID_X_EN: 1
; COMPUTE_PGM_RSRC2:TGID_Y_EN: 0
; COMPUTE_PGM_RSRC2:TGID_Z_EN: 0
; COMPUTE_PGM_RSRC2:TIDIG_COMP_CNT: 0
	.section	.text._ZN7rocprim17ROCPRIM_400000_NS6detail17trampoline_kernelINS0_13select_configILj256ELj13ELNS0_17block_load_methodE3ELS4_3ELS4_3ELNS0_20block_scan_algorithmE0ELj4294967295EEENS1_25partition_config_selectorILNS1_17partition_subalgoE3EjNS0_10empty_typeEbEEZZNS1_14partition_implILS8_3ELb0ES6_jNS0_17counting_iteratorIjlEEPS9_SE_NS0_5tupleIJPjSE_EEENSF_IJSE_SE_EEES9_SG_JZNS1_25segmented_radix_sort_implINS0_14default_configELb1EPKbPbPKlPlN2at6native12_GLOBAL__N_18offset_tEEE10hipError_tPvRmT1_PNSt15iterator_traitsISY_E10value_typeET2_T3_PNSZ_IS14_E10value_typeET4_jRbjT5_S1A_jjP12ihipStream_tbEUljE_EEESV_SW_SX_S14_S18_S1A_T6_T7_T9_mT8_S1C_bDpT10_ENKUlT_T0_E_clISt17integral_constantIbLb1EES1O_IbLb0EEEEDaS1K_S1L_EUlS1K_E_NS1_11comp_targetILNS1_3genE9ELNS1_11target_archE1100ELNS1_3gpuE3ELNS1_3repE0EEENS1_30default_config_static_selectorELNS0_4arch9wavefront6targetE1EEEvSY_,"axG",@progbits,_ZN7rocprim17ROCPRIM_400000_NS6detail17trampoline_kernelINS0_13select_configILj256ELj13ELNS0_17block_load_methodE3ELS4_3ELS4_3ELNS0_20block_scan_algorithmE0ELj4294967295EEENS1_25partition_config_selectorILNS1_17partition_subalgoE3EjNS0_10empty_typeEbEEZZNS1_14partition_implILS8_3ELb0ES6_jNS0_17counting_iteratorIjlEEPS9_SE_NS0_5tupleIJPjSE_EEENSF_IJSE_SE_EEES9_SG_JZNS1_25segmented_radix_sort_implINS0_14default_configELb1EPKbPbPKlPlN2at6native12_GLOBAL__N_18offset_tEEE10hipError_tPvRmT1_PNSt15iterator_traitsISY_E10value_typeET2_T3_PNSZ_IS14_E10value_typeET4_jRbjT5_S1A_jjP12ihipStream_tbEUljE_EEESV_SW_SX_S14_S18_S1A_T6_T7_T9_mT8_S1C_bDpT10_ENKUlT_T0_E_clISt17integral_constantIbLb1EES1O_IbLb0EEEEDaS1K_S1L_EUlS1K_E_NS1_11comp_targetILNS1_3genE9ELNS1_11target_archE1100ELNS1_3gpuE3ELNS1_3repE0EEENS1_30default_config_static_selectorELNS0_4arch9wavefront6targetE1EEEvSY_,comdat
	.globl	_ZN7rocprim17ROCPRIM_400000_NS6detail17trampoline_kernelINS0_13select_configILj256ELj13ELNS0_17block_load_methodE3ELS4_3ELS4_3ELNS0_20block_scan_algorithmE0ELj4294967295EEENS1_25partition_config_selectorILNS1_17partition_subalgoE3EjNS0_10empty_typeEbEEZZNS1_14partition_implILS8_3ELb0ES6_jNS0_17counting_iteratorIjlEEPS9_SE_NS0_5tupleIJPjSE_EEENSF_IJSE_SE_EEES9_SG_JZNS1_25segmented_radix_sort_implINS0_14default_configELb1EPKbPbPKlPlN2at6native12_GLOBAL__N_18offset_tEEE10hipError_tPvRmT1_PNSt15iterator_traitsISY_E10value_typeET2_T3_PNSZ_IS14_E10value_typeET4_jRbjT5_S1A_jjP12ihipStream_tbEUljE_EEESV_SW_SX_S14_S18_S1A_T6_T7_T9_mT8_S1C_bDpT10_ENKUlT_T0_E_clISt17integral_constantIbLb1EES1O_IbLb0EEEEDaS1K_S1L_EUlS1K_E_NS1_11comp_targetILNS1_3genE9ELNS1_11target_archE1100ELNS1_3gpuE3ELNS1_3repE0EEENS1_30default_config_static_selectorELNS0_4arch9wavefront6targetE1EEEvSY_ ; -- Begin function _ZN7rocprim17ROCPRIM_400000_NS6detail17trampoline_kernelINS0_13select_configILj256ELj13ELNS0_17block_load_methodE3ELS4_3ELS4_3ELNS0_20block_scan_algorithmE0ELj4294967295EEENS1_25partition_config_selectorILNS1_17partition_subalgoE3EjNS0_10empty_typeEbEEZZNS1_14partition_implILS8_3ELb0ES6_jNS0_17counting_iteratorIjlEEPS9_SE_NS0_5tupleIJPjSE_EEENSF_IJSE_SE_EEES9_SG_JZNS1_25segmented_radix_sort_implINS0_14default_configELb1EPKbPbPKlPlN2at6native12_GLOBAL__N_18offset_tEEE10hipError_tPvRmT1_PNSt15iterator_traitsISY_E10value_typeET2_T3_PNSZ_IS14_E10value_typeET4_jRbjT5_S1A_jjP12ihipStream_tbEUljE_EEESV_SW_SX_S14_S18_S1A_T6_T7_T9_mT8_S1C_bDpT10_ENKUlT_T0_E_clISt17integral_constantIbLb1EES1O_IbLb0EEEEDaS1K_S1L_EUlS1K_E_NS1_11comp_targetILNS1_3genE9ELNS1_11target_archE1100ELNS1_3gpuE3ELNS1_3repE0EEENS1_30default_config_static_selectorELNS0_4arch9wavefront6targetE1EEEvSY_
	.p2align	8
	.type	_ZN7rocprim17ROCPRIM_400000_NS6detail17trampoline_kernelINS0_13select_configILj256ELj13ELNS0_17block_load_methodE3ELS4_3ELS4_3ELNS0_20block_scan_algorithmE0ELj4294967295EEENS1_25partition_config_selectorILNS1_17partition_subalgoE3EjNS0_10empty_typeEbEEZZNS1_14partition_implILS8_3ELb0ES6_jNS0_17counting_iteratorIjlEEPS9_SE_NS0_5tupleIJPjSE_EEENSF_IJSE_SE_EEES9_SG_JZNS1_25segmented_radix_sort_implINS0_14default_configELb1EPKbPbPKlPlN2at6native12_GLOBAL__N_18offset_tEEE10hipError_tPvRmT1_PNSt15iterator_traitsISY_E10value_typeET2_T3_PNSZ_IS14_E10value_typeET4_jRbjT5_S1A_jjP12ihipStream_tbEUljE_EEESV_SW_SX_S14_S18_S1A_T6_T7_T9_mT8_S1C_bDpT10_ENKUlT_T0_E_clISt17integral_constantIbLb1EES1O_IbLb0EEEEDaS1K_S1L_EUlS1K_E_NS1_11comp_targetILNS1_3genE9ELNS1_11target_archE1100ELNS1_3gpuE3ELNS1_3repE0EEENS1_30default_config_static_selectorELNS0_4arch9wavefront6targetE1EEEvSY_,@function
_ZN7rocprim17ROCPRIM_400000_NS6detail17trampoline_kernelINS0_13select_configILj256ELj13ELNS0_17block_load_methodE3ELS4_3ELS4_3ELNS0_20block_scan_algorithmE0ELj4294967295EEENS1_25partition_config_selectorILNS1_17partition_subalgoE3EjNS0_10empty_typeEbEEZZNS1_14partition_implILS8_3ELb0ES6_jNS0_17counting_iteratorIjlEEPS9_SE_NS0_5tupleIJPjSE_EEENSF_IJSE_SE_EEES9_SG_JZNS1_25segmented_radix_sort_implINS0_14default_configELb1EPKbPbPKlPlN2at6native12_GLOBAL__N_18offset_tEEE10hipError_tPvRmT1_PNSt15iterator_traitsISY_E10value_typeET2_T3_PNSZ_IS14_E10value_typeET4_jRbjT5_S1A_jjP12ihipStream_tbEUljE_EEESV_SW_SX_S14_S18_S1A_T6_T7_T9_mT8_S1C_bDpT10_ENKUlT_T0_E_clISt17integral_constantIbLb1EES1O_IbLb0EEEEDaS1K_S1L_EUlS1K_E_NS1_11comp_targetILNS1_3genE9ELNS1_11target_archE1100ELNS1_3gpuE3ELNS1_3repE0EEENS1_30default_config_static_selectorELNS0_4arch9wavefront6targetE1EEEvSY_: ; @_ZN7rocprim17ROCPRIM_400000_NS6detail17trampoline_kernelINS0_13select_configILj256ELj13ELNS0_17block_load_methodE3ELS4_3ELS4_3ELNS0_20block_scan_algorithmE0ELj4294967295EEENS1_25partition_config_selectorILNS1_17partition_subalgoE3EjNS0_10empty_typeEbEEZZNS1_14partition_implILS8_3ELb0ES6_jNS0_17counting_iteratorIjlEEPS9_SE_NS0_5tupleIJPjSE_EEENSF_IJSE_SE_EEES9_SG_JZNS1_25segmented_radix_sort_implINS0_14default_configELb1EPKbPbPKlPlN2at6native12_GLOBAL__N_18offset_tEEE10hipError_tPvRmT1_PNSt15iterator_traitsISY_E10value_typeET2_T3_PNSZ_IS14_E10value_typeET4_jRbjT5_S1A_jjP12ihipStream_tbEUljE_EEESV_SW_SX_S14_S18_S1A_T6_T7_T9_mT8_S1C_bDpT10_ENKUlT_T0_E_clISt17integral_constantIbLb1EES1O_IbLb0EEEEDaS1K_S1L_EUlS1K_E_NS1_11comp_targetILNS1_3genE9ELNS1_11target_archE1100ELNS1_3gpuE3ELNS1_3repE0EEENS1_30default_config_static_selectorELNS0_4arch9wavefront6targetE1EEEvSY_
; %bb.0:
	.section	.rodata,"a",@progbits
	.p2align	6, 0x0
	.amdhsa_kernel _ZN7rocprim17ROCPRIM_400000_NS6detail17trampoline_kernelINS0_13select_configILj256ELj13ELNS0_17block_load_methodE3ELS4_3ELS4_3ELNS0_20block_scan_algorithmE0ELj4294967295EEENS1_25partition_config_selectorILNS1_17partition_subalgoE3EjNS0_10empty_typeEbEEZZNS1_14partition_implILS8_3ELb0ES6_jNS0_17counting_iteratorIjlEEPS9_SE_NS0_5tupleIJPjSE_EEENSF_IJSE_SE_EEES9_SG_JZNS1_25segmented_radix_sort_implINS0_14default_configELb1EPKbPbPKlPlN2at6native12_GLOBAL__N_18offset_tEEE10hipError_tPvRmT1_PNSt15iterator_traitsISY_E10value_typeET2_T3_PNSZ_IS14_E10value_typeET4_jRbjT5_S1A_jjP12ihipStream_tbEUljE_EEESV_SW_SX_S14_S18_S1A_T6_T7_T9_mT8_S1C_bDpT10_ENKUlT_T0_E_clISt17integral_constantIbLb1EES1O_IbLb0EEEEDaS1K_S1L_EUlS1K_E_NS1_11comp_targetILNS1_3genE9ELNS1_11target_archE1100ELNS1_3gpuE3ELNS1_3repE0EEENS1_30default_config_static_selectorELNS0_4arch9wavefront6targetE1EEEvSY_
		.amdhsa_group_segment_fixed_size 0
		.amdhsa_private_segment_fixed_size 0
		.amdhsa_kernarg_size 144
		.amdhsa_user_sgpr_count 6
		.amdhsa_user_sgpr_private_segment_buffer 1
		.amdhsa_user_sgpr_dispatch_ptr 0
		.amdhsa_user_sgpr_queue_ptr 0
		.amdhsa_user_sgpr_kernarg_segment_ptr 1
		.amdhsa_user_sgpr_dispatch_id 0
		.amdhsa_user_sgpr_flat_scratch_init 0
		.amdhsa_user_sgpr_private_segment_size 0
		.amdhsa_uses_dynamic_stack 0
		.amdhsa_system_sgpr_private_segment_wavefront_offset 0
		.amdhsa_system_sgpr_workgroup_id_x 1
		.amdhsa_system_sgpr_workgroup_id_y 0
		.amdhsa_system_sgpr_workgroup_id_z 0
		.amdhsa_system_sgpr_workgroup_info 0
		.amdhsa_system_vgpr_workitem_id 0
		.amdhsa_next_free_vgpr 1
		.amdhsa_next_free_sgpr 0
		.amdhsa_reserve_vcc 0
		.amdhsa_reserve_flat_scratch 0
		.amdhsa_float_round_mode_32 0
		.amdhsa_float_round_mode_16_64 0
		.amdhsa_float_denorm_mode_32 3
		.amdhsa_float_denorm_mode_16_64 3
		.amdhsa_dx10_clamp 1
		.amdhsa_ieee_mode 1
		.amdhsa_fp16_overflow 0
		.amdhsa_exception_fp_ieee_invalid_op 0
		.amdhsa_exception_fp_denorm_src 0
		.amdhsa_exception_fp_ieee_div_zero 0
		.amdhsa_exception_fp_ieee_overflow 0
		.amdhsa_exception_fp_ieee_underflow 0
		.amdhsa_exception_fp_ieee_inexact 0
		.amdhsa_exception_int_div_zero 0
	.end_amdhsa_kernel
	.section	.text._ZN7rocprim17ROCPRIM_400000_NS6detail17trampoline_kernelINS0_13select_configILj256ELj13ELNS0_17block_load_methodE3ELS4_3ELS4_3ELNS0_20block_scan_algorithmE0ELj4294967295EEENS1_25partition_config_selectorILNS1_17partition_subalgoE3EjNS0_10empty_typeEbEEZZNS1_14partition_implILS8_3ELb0ES6_jNS0_17counting_iteratorIjlEEPS9_SE_NS0_5tupleIJPjSE_EEENSF_IJSE_SE_EEES9_SG_JZNS1_25segmented_radix_sort_implINS0_14default_configELb1EPKbPbPKlPlN2at6native12_GLOBAL__N_18offset_tEEE10hipError_tPvRmT1_PNSt15iterator_traitsISY_E10value_typeET2_T3_PNSZ_IS14_E10value_typeET4_jRbjT5_S1A_jjP12ihipStream_tbEUljE_EEESV_SW_SX_S14_S18_S1A_T6_T7_T9_mT8_S1C_bDpT10_ENKUlT_T0_E_clISt17integral_constantIbLb1EES1O_IbLb0EEEEDaS1K_S1L_EUlS1K_E_NS1_11comp_targetILNS1_3genE9ELNS1_11target_archE1100ELNS1_3gpuE3ELNS1_3repE0EEENS1_30default_config_static_selectorELNS0_4arch9wavefront6targetE1EEEvSY_,"axG",@progbits,_ZN7rocprim17ROCPRIM_400000_NS6detail17trampoline_kernelINS0_13select_configILj256ELj13ELNS0_17block_load_methodE3ELS4_3ELS4_3ELNS0_20block_scan_algorithmE0ELj4294967295EEENS1_25partition_config_selectorILNS1_17partition_subalgoE3EjNS0_10empty_typeEbEEZZNS1_14partition_implILS8_3ELb0ES6_jNS0_17counting_iteratorIjlEEPS9_SE_NS0_5tupleIJPjSE_EEENSF_IJSE_SE_EEES9_SG_JZNS1_25segmented_radix_sort_implINS0_14default_configELb1EPKbPbPKlPlN2at6native12_GLOBAL__N_18offset_tEEE10hipError_tPvRmT1_PNSt15iterator_traitsISY_E10value_typeET2_T3_PNSZ_IS14_E10value_typeET4_jRbjT5_S1A_jjP12ihipStream_tbEUljE_EEESV_SW_SX_S14_S18_S1A_T6_T7_T9_mT8_S1C_bDpT10_ENKUlT_T0_E_clISt17integral_constantIbLb1EES1O_IbLb0EEEEDaS1K_S1L_EUlS1K_E_NS1_11comp_targetILNS1_3genE9ELNS1_11target_archE1100ELNS1_3gpuE3ELNS1_3repE0EEENS1_30default_config_static_selectorELNS0_4arch9wavefront6targetE1EEEvSY_,comdat
.Lfunc_end1522:
	.size	_ZN7rocprim17ROCPRIM_400000_NS6detail17trampoline_kernelINS0_13select_configILj256ELj13ELNS0_17block_load_methodE3ELS4_3ELS4_3ELNS0_20block_scan_algorithmE0ELj4294967295EEENS1_25partition_config_selectorILNS1_17partition_subalgoE3EjNS0_10empty_typeEbEEZZNS1_14partition_implILS8_3ELb0ES6_jNS0_17counting_iteratorIjlEEPS9_SE_NS0_5tupleIJPjSE_EEENSF_IJSE_SE_EEES9_SG_JZNS1_25segmented_radix_sort_implINS0_14default_configELb1EPKbPbPKlPlN2at6native12_GLOBAL__N_18offset_tEEE10hipError_tPvRmT1_PNSt15iterator_traitsISY_E10value_typeET2_T3_PNSZ_IS14_E10value_typeET4_jRbjT5_S1A_jjP12ihipStream_tbEUljE_EEESV_SW_SX_S14_S18_S1A_T6_T7_T9_mT8_S1C_bDpT10_ENKUlT_T0_E_clISt17integral_constantIbLb1EES1O_IbLb0EEEEDaS1K_S1L_EUlS1K_E_NS1_11comp_targetILNS1_3genE9ELNS1_11target_archE1100ELNS1_3gpuE3ELNS1_3repE0EEENS1_30default_config_static_selectorELNS0_4arch9wavefront6targetE1EEEvSY_, .Lfunc_end1522-_ZN7rocprim17ROCPRIM_400000_NS6detail17trampoline_kernelINS0_13select_configILj256ELj13ELNS0_17block_load_methodE3ELS4_3ELS4_3ELNS0_20block_scan_algorithmE0ELj4294967295EEENS1_25partition_config_selectorILNS1_17partition_subalgoE3EjNS0_10empty_typeEbEEZZNS1_14partition_implILS8_3ELb0ES6_jNS0_17counting_iteratorIjlEEPS9_SE_NS0_5tupleIJPjSE_EEENSF_IJSE_SE_EEES9_SG_JZNS1_25segmented_radix_sort_implINS0_14default_configELb1EPKbPbPKlPlN2at6native12_GLOBAL__N_18offset_tEEE10hipError_tPvRmT1_PNSt15iterator_traitsISY_E10value_typeET2_T3_PNSZ_IS14_E10value_typeET4_jRbjT5_S1A_jjP12ihipStream_tbEUljE_EEESV_SW_SX_S14_S18_S1A_T6_T7_T9_mT8_S1C_bDpT10_ENKUlT_T0_E_clISt17integral_constantIbLb1EES1O_IbLb0EEEEDaS1K_S1L_EUlS1K_E_NS1_11comp_targetILNS1_3genE9ELNS1_11target_archE1100ELNS1_3gpuE3ELNS1_3repE0EEENS1_30default_config_static_selectorELNS0_4arch9wavefront6targetE1EEEvSY_
                                        ; -- End function
	.set _ZN7rocprim17ROCPRIM_400000_NS6detail17trampoline_kernelINS0_13select_configILj256ELj13ELNS0_17block_load_methodE3ELS4_3ELS4_3ELNS0_20block_scan_algorithmE0ELj4294967295EEENS1_25partition_config_selectorILNS1_17partition_subalgoE3EjNS0_10empty_typeEbEEZZNS1_14partition_implILS8_3ELb0ES6_jNS0_17counting_iteratorIjlEEPS9_SE_NS0_5tupleIJPjSE_EEENSF_IJSE_SE_EEES9_SG_JZNS1_25segmented_radix_sort_implINS0_14default_configELb1EPKbPbPKlPlN2at6native12_GLOBAL__N_18offset_tEEE10hipError_tPvRmT1_PNSt15iterator_traitsISY_E10value_typeET2_T3_PNSZ_IS14_E10value_typeET4_jRbjT5_S1A_jjP12ihipStream_tbEUljE_EEESV_SW_SX_S14_S18_S1A_T6_T7_T9_mT8_S1C_bDpT10_ENKUlT_T0_E_clISt17integral_constantIbLb1EES1O_IbLb0EEEEDaS1K_S1L_EUlS1K_E_NS1_11comp_targetILNS1_3genE9ELNS1_11target_archE1100ELNS1_3gpuE3ELNS1_3repE0EEENS1_30default_config_static_selectorELNS0_4arch9wavefront6targetE1EEEvSY_.num_vgpr, 0
	.set _ZN7rocprim17ROCPRIM_400000_NS6detail17trampoline_kernelINS0_13select_configILj256ELj13ELNS0_17block_load_methodE3ELS4_3ELS4_3ELNS0_20block_scan_algorithmE0ELj4294967295EEENS1_25partition_config_selectorILNS1_17partition_subalgoE3EjNS0_10empty_typeEbEEZZNS1_14partition_implILS8_3ELb0ES6_jNS0_17counting_iteratorIjlEEPS9_SE_NS0_5tupleIJPjSE_EEENSF_IJSE_SE_EEES9_SG_JZNS1_25segmented_radix_sort_implINS0_14default_configELb1EPKbPbPKlPlN2at6native12_GLOBAL__N_18offset_tEEE10hipError_tPvRmT1_PNSt15iterator_traitsISY_E10value_typeET2_T3_PNSZ_IS14_E10value_typeET4_jRbjT5_S1A_jjP12ihipStream_tbEUljE_EEESV_SW_SX_S14_S18_S1A_T6_T7_T9_mT8_S1C_bDpT10_ENKUlT_T0_E_clISt17integral_constantIbLb1EES1O_IbLb0EEEEDaS1K_S1L_EUlS1K_E_NS1_11comp_targetILNS1_3genE9ELNS1_11target_archE1100ELNS1_3gpuE3ELNS1_3repE0EEENS1_30default_config_static_selectorELNS0_4arch9wavefront6targetE1EEEvSY_.num_agpr, 0
	.set _ZN7rocprim17ROCPRIM_400000_NS6detail17trampoline_kernelINS0_13select_configILj256ELj13ELNS0_17block_load_methodE3ELS4_3ELS4_3ELNS0_20block_scan_algorithmE0ELj4294967295EEENS1_25partition_config_selectorILNS1_17partition_subalgoE3EjNS0_10empty_typeEbEEZZNS1_14partition_implILS8_3ELb0ES6_jNS0_17counting_iteratorIjlEEPS9_SE_NS0_5tupleIJPjSE_EEENSF_IJSE_SE_EEES9_SG_JZNS1_25segmented_radix_sort_implINS0_14default_configELb1EPKbPbPKlPlN2at6native12_GLOBAL__N_18offset_tEEE10hipError_tPvRmT1_PNSt15iterator_traitsISY_E10value_typeET2_T3_PNSZ_IS14_E10value_typeET4_jRbjT5_S1A_jjP12ihipStream_tbEUljE_EEESV_SW_SX_S14_S18_S1A_T6_T7_T9_mT8_S1C_bDpT10_ENKUlT_T0_E_clISt17integral_constantIbLb1EES1O_IbLb0EEEEDaS1K_S1L_EUlS1K_E_NS1_11comp_targetILNS1_3genE9ELNS1_11target_archE1100ELNS1_3gpuE3ELNS1_3repE0EEENS1_30default_config_static_selectorELNS0_4arch9wavefront6targetE1EEEvSY_.numbered_sgpr, 0
	.set _ZN7rocprim17ROCPRIM_400000_NS6detail17trampoline_kernelINS0_13select_configILj256ELj13ELNS0_17block_load_methodE3ELS4_3ELS4_3ELNS0_20block_scan_algorithmE0ELj4294967295EEENS1_25partition_config_selectorILNS1_17partition_subalgoE3EjNS0_10empty_typeEbEEZZNS1_14partition_implILS8_3ELb0ES6_jNS0_17counting_iteratorIjlEEPS9_SE_NS0_5tupleIJPjSE_EEENSF_IJSE_SE_EEES9_SG_JZNS1_25segmented_radix_sort_implINS0_14default_configELb1EPKbPbPKlPlN2at6native12_GLOBAL__N_18offset_tEEE10hipError_tPvRmT1_PNSt15iterator_traitsISY_E10value_typeET2_T3_PNSZ_IS14_E10value_typeET4_jRbjT5_S1A_jjP12ihipStream_tbEUljE_EEESV_SW_SX_S14_S18_S1A_T6_T7_T9_mT8_S1C_bDpT10_ENKUlT_T0_E_clISt17integral_constantIbLb1EES1O_IbLb0EEEEDaS1K_S1L_EUlS1K_E_NS1_11comp_targetILNS1_3genE9ELNS1_11target_archE1100ELNS1_3gpuE3ELNS1_3repE0EEENS1_30default_config_static_selectorELNS0_4arch9wavefront6targetE1EEEvSY_.num_named_barrier, 0
	.set _ZN7rocprim17ROCPRIM_400000_NS6detail17trampoline_kernelINS0_13select_configILj256ELj13ELNS0_17block_load_methodE3ELS4_3ELS4_3ELNS0_20block_scan_algorithmE0ELj4294967295EEENS1_25partition_config_selectorILNS1_17partition_subalgoE3EjNS0_10empty_typeEbEEZZNS1_14partition_implILS8_3ELb0ES6_jNS0_17counting_iteratorIjlEEPS9_SE_NS0_5tupleIJPjSE_EEENSF_IJSE_SE_EEES9_SG_JZNS1_25segmented_radix_sort_implINS0_14default_configELb1EPKbPbPKlPlN2at6native12_GLOBAL__N_18offset_tEEE10hipError_tPvRmT1_PNSt15iterator_traitsISY_E10value_typeET2_T3_PNSZ_IS14_E10value_typeET4_jRbjT5_S1A_jjP12ihipStream_tbEUljE_EEESV_SW_SX_S14_S18_S1A_T6_T7_T9_mT8_S1C_bDpT10_ENKUlT_T0_E_clISt17integral_constantIbLb1EES1O_IbLb0EEEEDaS1K_S1L_EUlS1K_E_NS1_11comp_targetILNS1_3genE9ELNS1_11target_archE1100ELNS1_3gpuE3ELNS1_3repE0EEENS1_30default_config_static_selectorELNS0_4arch9wavefront6targetE1EEEvSY_.private_seg_size, 0
	.set _ZN7rocprim17ROCPRIM_400000_NS6detail17trampoline_kernelINS0_13select_configILj256ELj13ELNS0_17block_load_methodE3ELS4_3ELS4_3ELNS0_20block_scan_algorithmE0ELj4294967295EEENS1_25partition_config_selectorILNS1_17partition_subalgoE3EjNS0_10empty_typeEbEEZZNS1_14partition_implILS8_3ELb0ES6_jNS0_17counting_iteratorIjlEEPS9_SE_NS0_5tupleIJPjSE_EEENSF_IJSE_SE_EEES9_SG_JZNS1_25segmented_radix_sort_implINS0_14default_configELb1EPKbPbPKlPlN2at6native12_GLOBAL__N_18offset_tEEE10hipError_tPvRmT1_PNSt15iterator_traitsISY_E10value_typeET2_T3_PNSZ_IS14_E10value_typeET4_jRbjT5_S1A_jjP12ihipStream_tbEUljE_EEESV_SW_SX_S14_S18_S1A_T6_T7_T9_mT8_S1C_bDpT10_ENKUlT_T0_E_clISt17integral_constantIbLb1EES1O_IbLb0EEEEDaS1K_S1L_EUlS1K_E_NS1_11comp_targetILNS1_3genE9ELNS1_11target_archE1100ELNS1_3gpuE3ELNS1_3repE0EEENS1_30default_config_static_selectorELNS0_4arch9wavefront6targetE1EEEvSY_.uses_vcc, 0
	.set _ZN7rocprim17ROCPRIM_400000_NS6detail17trampoline_kernelINS0_13select_configILj256ELj13ELNS0_17block_load_methodE3ELS4_3ELS4_3ELNS0_20block_scan_algorithmE0ELj4294967295EEENS1_25partition_config_selectorILNS1_17partition_subalgoE3EjNS0_10empty_typeEbEEZZNS1_14partition_implILS8_3ELb0ES6_jNS0_17counting_iteratorIjlEEPS9_SE_NS0_5tupleIJPjSE_EEENSF_IJSE_SE_EEES9_SG_JZNS1_25segmented_radix_sort_implINS0_14default_configELb1EPKbPbPKlPlN2at6native12_GLOBAL__N_18offset_tEEE10hipError_tPvRmT1_PNSt15iterator_traitsISY_E10value_typeET2_T3_PNSZ_IS14_E10value_typeET4_jRbjT5_S1A_jjP12ihipStream_tbEUljE_EEESV_SW_SX_S14_S18_S1A_T6_T7_T9_mT8_S1C_bDpT10_ENKUlT_T0_E_clISt17integral_constantIbLb1EES1O_IbLb0EEEEDaS1K_S1L_EUlS1K_E_NS1_11comp_targetILNS1_3genE9ELNS1_11target_archE1100ELNS1_3gpuE3ELNS1_3repE0EEENS1_30default_config_static_selectorELNS0_4arch9wavefront6targetE1EEEvSY_.uses_flat_scratch, 0
	.set _ZN7rocprim17ROCPRIM_400000_NS6detail17trampoline_kernelINS0_13select_configILj256ELj13ELNS0_17block_load_methodE3ELS4_3ELS4_3ELNS0_20block_scan_algorithmE0ELj4294967295EEENS1_25partition_config_selectorILNS1_17partition_subalgoE3EjNS0_10empty_typeEbEEZZNS1_14partition_implILS8_3ELb0ES6_jNS0_17counting_iteratorIjlEEPS9_SE_NS0_5tupleIJPjSE_EEENSF_IJSE_SE_EEES9_SG_JZNS1_25segmented_radix_sort_implINS0_14default_configELb1EPKbPbPKlPlN2at6native12_GLOBAL__N_18offset_tEEE10hipError_tPvRmT1_PNSt15iterator_traitsISY_E10value_typeET2_T3_PNSZ_IS14_E10value_typeET4_jRbjT5_S1A_jjP12ihipStream_tbEUljE_EEESV_SW_SX_S14_S18_S1A_T6_T7_T9_mT8_S1C_bDpT10_ENKUlT_T0_E_clISt17integral_constantIbLb1EES1O_IbLb0EEEEDaS1K_S1L_EUlS1K_E_NS1_11comp_targetILNS1_3genE9ELNS1_11target_archE1100ELNS1_3gpuE3ELNS1_3repE0EEENS1_30default_config_static_selectorELNS0_4arch9wavefront6targetE1EEEvSY_.has_dyn_sized_stack, 0
	.set _ZN7rocprim17ROCPRIM_400000_NS6detail17trampoline_kernelINS0_13select_configILj256ELj13ELNS0_17block_load_methodE3ELS4_3ELS4_3ELNS0_20block_scan_algorithmE0ELj4294967295EEENS1_25partition_config_selectorILNS1_17partition_subalgoE3EjNS0_10empty_typeEbEEZZNS1_14partition_implILS8_3ELb0ES6_jNS0_17counting_iteratorIjlEEPS9_SE_NS0_5tupleIJPjSE_EEENSF_IJSE_SE_EEES9_SG_JZNS1_25segmented_radix_sort_implINS0_14default_configELb1EPKbPbPKlPlN2at6native12_GLOBAL__N_18offset_tEEE10hipError_tPvRmT1_PNSt15iterator_traitsISY_E10value_typeET2_T3_PNSZ_IS14_E10value_typeET4_jRbjT5_S1A_jjP12ihipStream_tbEUljE_EEESV_SW_SX_S14_S18_S1A_T6_T7_T9_mT8_S1C_bDpT10_ENKUlT_T0_E_clISt17integral_constantIbLb1EES1O_IbLb0EEEEDaS1K_S1L_EUlS1K_E_NS1_11comp_targetILNS1_3genE9ELNS1_11target_archE1100ELNS1_3gpuE3ELNS1_3repE0EEENS1_30default_config_static_selectorELNS0_4arch9wavefront6targetE1EEEvSY_.has_recursion, 0
	.set _ZN7rocprim17ROCPRIM_400000_NS6detail17trampoline_kernelINS0_13select_configILj256ELj13ELNS0_17block_load_methodE3ELS4_3ELS4_3ELNS0_20block_scan_algorithmE0ELj4294967295EEENS1_25partition_config_selectorILNS1_17partition_subalgoE3EjNS0_10empty_typeEbEEZZNS1_14partition_implILS8_3ELb0ES6_jNS0_17counting_iteratorIjlEEPS9_SE_NS0_5tupleIJPjSE_EEENSF_IJSE_SE_EEES9_SG_JZNS1_25segmented_radix_sort_implINS0_14default_configELb1EPKbPbPKlPlN2at6native12_GLOBAL__N_18offset_tEEE10hipError_tPvRmT1_PNSt15iterator_traitsISY_E10value_typeET2_T3_PNSZ_IS14_E10value_typeET4_jRbjT5_S1A_jjP12ihipStream_tbEUljE_EEESV_SW_SX_S14_S18_S1A_T6_T7_T9_mT8_S1C_bDpT10_ENKUlT_T0_E_clISt17integral_constantIbLb1EES1O_IbLb0EEEEDaS1K_S1L_EUlS1K_E_NS1_11comp_targetILNS1_3genE9ELNS1_11target_archE1100ELNS1_3gpuE3ELNS1_3repE0EEENS1_30default_config_static_selectorELNS0_4arch9wavefront6targetE1EEEvSY_.has_indirect_call, 0
	.section	.AMDGPU.csdata,"",@progbits
; Kernel info:
; codeLenInByte = 0
; TotalNumSgprs: 4
; NumVgprs: 0
; ScratchSize: 0
; MemoryBound: 0
; FloatMode: 240
; IeeeMode: 1
; LDSByteSize: 0 bytes/workgroup (compile time only)
; SGPRBlocks: 0
; VGPRBlocks: 0
; NumSGPRsForWavesPerEU: 4
; NumVGPRsForWavesPerEU: 1
; Occupancy: 10
; WaveLimiterHint : 0
; COMPUTE_PGM_RSRC2:SCRATCH_EN: 0
; COMPUTE_PGM_RSRC2:USER_SGPR: 6
; COMPUTE_PGM_RSRC2:TRAP_HANDLER: 0
; COMPUTE_PGM_RSRC2:TGID_X_EN: 1
; COMPUTE_PGM_RSRC2:TGID_Y_EN: 0
; COMPUTE_PGM_RSRC2:TGID_Z_EN: 0
; COMPUTE_PGM_RSRC2:TIDIG_COMP_CNT: 0
	.section	.text._ZN7rocprim17ROCPRIM_400000_NS6detail17trampoline_kernelINS0_13select_configILj256ELj13ELNS0_17block_load_methodE3ELS4_3ELS4_3ELNS0_20block_scan_algorithmE0ELj4294967295EEENS1_25partition_config_selectorILNS1_17partition_subalgoE3EjNS0_10empty_typeEbEEZZNS1_14partition_implILS8_3ELb0ES6_jNS0_17counting_iteratorIjlEEPS9_SE_NS0_5tupleIJPjSE_EEENSF_IJSE_SE_EEES9_SG_JZNS1_25segmented_radix_sort_implINS0_14default_configELb1EPKbPbPKlPlN2at6native12_GLOBAL__N_18offset_tEEE10hipError_tPvRmT1_PNSt15iterator_traitsISY_E10value_typeET2_T3_PNSZ_IS14_E10value_typeET4_jRbjT5_S1A_jjP12ihipStream_tbEUljE_EEESV_SW_SX_S14_S18_S1A_T6_T7_T9_mT8_S1C_bDpT10_ENKUlT_T0_E_clISt17integral_constantIbLb1EES1O_IbLb0EEEEDaS1K_S1L_EUlS1K_E_NS1_11comp_targetILNS1_3genE8ELNS1_11target_archE1030ELNS1_3gpuE2ELNS1_3repE0EEENS1_30default_config_static_selectorELNS0_4arch9wavefront6targetE1EEEvSY_,"axG",@progbits,_ZN7rocprim17ROCPRIM_400000_NS6detail17trampoline_kernelINS0_13select_configILj256ELj13ELNS0_17block_load_methodE3ELS4_3ELS4_3ELNS0_20block_scan_algorithmE0ELj4294967295EEENS1_25partition_config_selectorILNS1_17partition_subalgoE3EjNS0_10empty_typeEbEEZZNS1_14partition_implILS8_3ELb0ES6_jNS0_17counting_iteratorIjlEEPS9_SE_NS0_5tupleIJPjSE_EEENSF_IJSE_SE_EEES9_SG_JZNS1_25segmented_radix_sort_implINS0_14default_configELb1EPKbPbPKlPlN2at6native12_GLOBAL__N_18offset_tEEE10hipError_tPvRmT1_PNSt15iterator_traitsISY_E10value_typeET2_T3_PNSZ_IS14_E10value_typeET4_jRbjT5_S1A_jjP12ihipStream_tbEUljE_EEESV_SW_SX_S14_S18_S1A_T6_T7_T9_mT8_S1C_bDpT10_ENKUlT_T0_E_clISt17integral_constantIbLb1EES1O_IbLb0EEEEDaS1K_S1L_EUlS1K_E_NS1_11comp_targetILNS1_3genE8ELNS1_11target_archE1030ELNS1_3gpuE2ELNS1_3repE0EEENS1_30default_config_static_selectorELNS0_4arch9wavefront6targetE1EEEvSY_,comdat
	.globl	_ZN7rocprim17ROCPRIM_400000_NS6detail17trampoline_kernelINS0_13select_configILj256ELj13ELNS0_17block_load_methodE3ELS4_3ELS4_3ELNS0_20block_scan_algorithmE0ELj4294967295EEENS1_25partition_config_selectorILNS1_17partition_subalgoE3EjNS0_10empty_typeEbEEZZNS1_14partition_implILS8_3ELb0ES6_jNS0_17counting_iteratorIjlEEPS9_SE_NS0_5tupleIJPjSE_EEENSF_IJSE_SE_EEES9_SG_JZNS1_25segmented_radix_sort_implINS0_14default_configELb1EPKbPbPKlPlN2at6native12_GLOBAL__N_18offset_tEEE10hipError_tPvRmT1_PNSt15iterator_traitsISY_E10value_typeET2_T3_PNSZ_IS14_E10value_typeET4_jRbjT5_S1A_jjP12ihipStream_tbEUljE_EEESV_SW_SX_S14_S18_S1A_T6_T7_T9_mT8_S1C_bDpT10_ENKUlT_T0_E_clISt17integral_constantIbLb1EES1O_IbLb0EEEEDaS1K_S1L_EUlS1K_E_NS1_11comp_targetILNS1_3genE8ELNS1_11target_archE1030ELNS1_3gpuE2ELNS1_3repE0EEENS1_30default_config_static_selectorELNS0_4arch9wavefront6targetE1EEEvSY_ ; -- Begin function _ZN7rocprim17ROCPRIM_400000_NS6detail17trampoline_kernelINS0_13select_configILj256ELj13ELNS0_17block_load_methodE3ELS4_3ELS4_3ELNS0_20block_scan_algorithmE0ELj4294967295EEENS1_25partition_config_selectorILNS1_17partition_subalgoE3EjNS0_10empty_typeEbEEZZNS1_14partition_implILS8_3ELb0ES6_jNS0_17counting_iteratorIjlEEPS9_SE_NS0_5tupleIJPjSE_EEENSF_IJSE_SE_EEES9_SG_JZNS1_25segmented_radix_sort_implINS0_14default_configELb1EPKbPbPKlPlN2at6native12_GLOBAL__N_18offset_tEEE10hipError_tPvRmT1_PNSt15iterator_traitsISY_E10value_typeET2_T3_PNSZ_IS14_E10value_typeET4_jRbjT5_S1A_jjP12ihipStream_tbEUljE_EEESV_SW_SX_S14_S18_S1A_T6_T7_T9_mT8_S1C_bDpT10_ENKUlT_T0_E_clISt17integral_constantIbLb1EES1O_IbLb0EEEEDaS1K_S1L_EUlS1K_E_NS1_11comp_targetILNS1_3genE8ELNS1_11target_archE1030ELNS1_3gpuE2ELNS1_3repE0EEENS1_30default_config_static_selectorELNS0_4arch9wavefront6targetE1EEEvSY_
	.p2align	8
	.type	_ZN7rocprim17ROCPRIM_400000_NS6detail17trampoline_kernelINS0_13select_configILj256ELj13ELNS0_17block_load_methodE3ELS4_3ELS4_3ELNS0_20block_scan_algorithmE0ELj4294967295EEENS1_25partition_config_selectorILNS1_17partition_subalgoE3EjNS0_10empty_typeEbEEZZNS1_14partition_implILS8_3ELb0ES6_jNS0_17counting_iteratorIjlEEPS9_SE_NS0_5tupleIJPjSE_EEENSF_IJSE_SE_EEES9_SG_JZNS1_25segmented_radix_sort_implINS0_14default_configELb1EPKbPbPKlPlN2at6native12_GLOBAL__N_18offset_tEEE10hipError_tPvRmT1_PNSt15iterator_traitsISY_E10value_typeET2_T3_PNSZ_IS14_E10value_typeET4_jRbjT5_S1A_jjP12ihipStream_tbEUljE_EEESV_SW_SX_S14_S18_S1A_T6_T7_T9_mT8_S1C_bDpT10_ENKUlT_T0_E_clISt17integral_constantIbLb1EES1O_IbLb0EEEEDaS1K_S1L_EUlS1K_E_NS1_11comp_targetILNS1_3genE8ELNS1_11target_archE1030ELNS1_3gpuE2ELNS1_3repE0EEENS1_30default_config_static_selectorELNS0_4arch9wavefront6targetE1EEEvSY_,@function
_ZN7rocprim17ROCPRIM_400000_NS6detail17trampoline_kernelINS0_13select_configILj256ELj13ELNS0_17block_load_methodE3ELS4_3ELS4_3ELNS0_20block_scan_algorithmE0ELj4294967295EEENS1_25partition_config_selectorILNS1_17partition_subalgoE3EjNS0_10empty_typeEbEEZZNS1_14partition_implILS8_3ELb0ES6_jNS0_17counting_iteratorIjlEEPS9_SE_NS0_5tupleIJPjSE_EEENSF_IJSE_SE_EEES9_SG_JZNS1_25segmented_radix_sort_implINS0_14default_configELb1EPKbPbPKlPlN2at6native12_GLOBAL__N_18offset_tEEE10hipError_tPvRmT1_PNSt15iterator_traitsISY_E10value_typeET2_T3_PNSZ_IS14_E10value_typeET4_jRbjT5_S1A_jjP12ihipStream_tbEUljE_EEESV_SW_SX_S14_S18_S1A_T6_T7_T9_mT8_S1C_bDpT10_ENKUlT_T0_E_clISt17integral_constantIbLb1EES1O_IbLb0EEEEDaS1K_S1L_EUlS1K_E_NS1_11comp_targetILNS1_3genE8ELNS1_11target_archE1030ELNS1_3gpuE2ELNS1_3repE0EEENS1_30default_config_static_selectorELNS0_4arch9wavefront6targetE1EEEvSY_: ; @_ZN7rocprim17ROCPRIM_400000_NS6detail17trampoline_kernelINS0_13select_configILj256ELj13ELNS0_17block_load_methodE3ELS4_3ELS4_3ELNS0_20block_scan_algorithmE0ELj4294967295EEENS1_25partition_config_selectorILNS1_17partition_subalgoE3EjNS0_10empty_typeEbEEZZNS1_14partition_implILS8_3ELb0ES6_jNS0_17counting_iteratorIjlEEPS9_SE_NS0_5tupleIJPjSE_EEENSF_IJSE_SE_EEES9_SG_JZNS1_25segmented_radix_sort_implINS0_14default_configELb1EPKbPbPKlPlN2at6native12_GLOBAL__N_18offset_tEEE10hipError_tPvRmT1_PNSt15iterator_traitsISY_E10value_typeET2_T3_PNSZ_IS14_E10value_typeET4_jRbjT5_S1A_jjP12ihipStream_tbEUljE_EEESV_SW_SX_S14_S18_S1A_T6_T7_T9_mT8_S1C_bDpT10_ENKUlT_T0_E_clISt17integral_constantIbLb1EES1O_IbLb0EEEEDaS1K_S1L_EUlS1K_E_NS1_11comp_targetILNS1_3genE8ELNS1_11target_archE1030ELNS1_3gpuE2ELNS1_3repE0EEENS1_30default_config_static_selectorELNS0_4arch9wavefront6targetE1EEEvSY_
; %bb.0:
	.section	.rodata,"a",@progbits
	.p2align	6, 0x0
	.amdhsa_kernel _ZN7rocprim17ROCPRIM_400000_NS6detail17trampoline_kernelINS0_13select_configILj256ELj13ELNS0_17block_load_methodE3ELS4_3ELS4_3ELNS0_20block_scan_algorithmE0ELj4294967295EEENS1_25partition_config_selectorILNS1_17partition_subalgoE3EjNS0_10empty_typeEbEEZZNS1_14partition_implILS8_3ELb0ES6_jNS0_17counting_iteratorIjlEEPS9_SE_NS0_5tupleIJPjSE_EEENSF_IJSE_SE_EEES9_SG_JZNS1_25segmented_radix_sort_implINS0_14default_configELb1EPKbPbPKlPlN2at6native12_GLOBAL__N_18offset_tEEE10hipError_tPvRmT1_PNSt15iterator_traitsISY_E10value_typeET2_T3_PNSZ_IS14_E10value_typeET4_jRbjT5_S1A_jjP12ihipStream_tbEUljE_EEESV_SW_SX_S14_S18_S1A_T6_T7_T9_mT8_S1C_bDpT10_ENKUlT_T0_E_clISt17integral_constantIbLb1EES1O_IbLb0EEEEDaS1K_S1L_EUlS1K_E_NS1_11comp_targetILNS1_3genE8ELNS1_11target_archE1030ELNS1_3gpuE2ELNS1_3repE0EEENS1_30default_config_static_selectorELNS0_4arch9wavefront6targetE1EEEvSY_
		.amdhsa_group_segment_fixed_size 0
		.amdhsa_private_segment_fixed_size 0
		.amdhsa_kernarg_size 144
		.amdhsa_user_sgpr_count 6
		.amdhsa_user_sgpr_private_segment_buffer 1
		.amdhsa_user_sgpr_dispatch_ptr 0
		.amdhsa_user_sgpr_queue_ptr 0
		.amdhsa_user_sgpr_kernarg_segment_ptr 1
		.amdhsa_user_sgpr_dispatch_id 0
		.amdhsa_user_sgpr_flat_scratch_init 0
		.amdhsa_user_sgpr_private_segment_size 0
		.amdhsa_uses_dynamic_stack 0
		.amdhsa_system_sgpr_private_segment_wavefront_offset 0
		.amdhsa_system_sgpr_workgroup_id_x 1
		.amdhsa_system_sgpr_workgroup_id_y 0
		.amdhsa_system_sgpr_workgroup_id_z 0
		.amdhsa_system_sgpr_workgroup_info 0
		.amdhsa_system_vgpr_workitem_id 0
		.amdhsa_next_free_vgpr 1
		.amdhsa_next_free_sgpr 0
		.amdhsa_reserve_vcc 0
		.amdhsa_reserve_flat_scratch 0
		.amdhsa_float_round_mode_32 0
		.amdhsa_float_round_mode_16_64 0
		.amdhsa_float_denorm_mode_32 3
		.amdhsa_float_denorm_mode_16_64 3
		.amdhsa_dx10_clamp 1
		.amdhsa_ieee_mode 1
		.amdhsa_fp16_overflow 0
		.amdhsa_exception_fp_ieee_invalid_op 0
		.amdhsa_exception_fp_denorm_src 0
		.amdhsa_exception_fp_ieee_div_zero 0
		.amdhsa_exception_fp_ieee_overflow 0
		.amdhsa_exception_fp_ieee_underflow 0
		.amdhsa_exception_fp_ieee_inexact 0
		.amdhsa_exception_int_div_zero 0
	.end_amdhsa_kernel
	.section	.text._ZN7rocprim17ROCPRIM_400000_NS6detail17trampoline_kernelINS0_13select_configILj256ELj13ELNS0_17block_load_methodE3ELS4_3ELS4_3ELNS0_20block_scan_algorithmE0ELj4294967295EEENS1_25partition_config_selectorILNS1_17partition_subalgoE3EjNS0_10empty_typeEbEEZZNS1_14partition_implILS8_3ELb0ES6_jNS0_17counting_iteratorIjlEEPS9_SE_NS0_5tupleIJPjSE_EEENSF_IJSE_SE_EEES9_SG_JZNS1_25segmented_radix_sort_implINS0_14default_configELb1EPKbPbPKlPlN2at6native12_GLOBAL__N_18offset_tEEE10hipError_tPvRmT1_PNSt15iterator_traitsISY_E10value_typeET2_T3_PNSZ_IS14_E10value_typeET4_jRbjT5_S1A_jjP12ihipStream_tbEUljE_EEESV_SW_SX_S14_S18_S1A_T6_T7_T9_mT8_S1C_bDpT10_ENKUlT_T0_E_clISt17integral_constantIbLb1EES1O_IbLb0EEEEDaS1K_S1L_EUlS1K_E_NS1_11comp_targetILNS1_3genE8ELNS1_11target_archE1030ELNS1_3gpuE2ELNS1_3repE0EEENS1_30default_config_static_selectorELNS0_4arch9wavefront6targetE1EEEvSY_,"axG",@progbits,_ZN7rocprim17ROCPRIM_400000_NS6detail17trampoline_kernelINS0_13select_configILj256ELj13ELNS0_17block_load_methodE3ELS4_3ELS4_3ELNS0_20block_scan_algorithmE0ELj4294967295EEENS1_25partition_config_selectorILNS1_17partition_subalgoE3EjNS0_10empty_typeEbEEZZNS1_14partition_implILS8_3ELb0ES6_jNS0_17counting_iteratorIjlEEPS9_SE_NS0_5tupleIJPjSE_EEENSF_IJSE_SE_EEES9_SG_JZNS1_25segmented_radix_sort_implINS0_14default_configELb1EPKbPbPKlPlN2at6native12_GLOBAL__N_18offset_tEEE10hipError_tPvRmT1_PNSt15iterator_traitsISY_E10value_typeET2_T3_PNSZ_IS14_E10value_typeET4_jRbjT5_S1A_jjP12ihipStream_tbEUljE_EEESV_SW_SX_S14_S18_S1A_T6_T7_T9_mT8_S1C_bDpT10_ENKUlT_T0_E_clISt17integral_constantIbLb1EES1O_IbLb0EEEEDaS1K_S1L_EUlS1K_E_NS1_11comp_targetILNS1_3genE8ELNS1_11target_archE1030ELNS1_3gpuE2ELNS1_3repE0EEENS1_30default_config_static_selectorELNS0_4arch9wavefront6targetE1EEEvSY_,comdat
.Lfunc_end1523:
	.size	_ZN7rocprim17ROCPRIM_400000_NS6detail17trampoline_kernelINS0_13select_configILj256ELj13ELNS0_17block_load_methodE3ELS4_3ELS4_3ELNS0_20block_scan_algorithmE0ELj4294967295EEENS1_25partition_config_selectorILNS1_17partition_subalgoE3EjNS0_10empty_typeEbEEZZNS1_14partition_implILS8_3ELb0ES6_jNS0_17counting_iteratorIjlEEPS9_SE_NS0_5tupleIJPjSE_EEENSF_IJSE_SE_EEES9_SG_JZNS1_25segmented_radix_sort_implINS0_14default_configELb1EPKbPbPKlPlN2at6native12_GLOBAL__N_18offset_tEEE10hipError_tPvRmT1_PNSt15iterator_traitsISY_E10value_typeET2_T3_PNSZ_IS14_E10value_typeET4_jRbjT5_S1A_jjP12ihipStream_tbEUljE_EEESV_SW_SX_S14_S18_S1A_T6_T7_T9_mT8_S1C_bDpT10_ENKUlT_T0_E_clISt17integral_constantIbLb1EES1O_IbLb0EEEEDaS1K_S1L_EUlS1K_E_NS1_11comp_targetILNS1_3genE8ELNS1_11target_archE1030ELNS1_3gpuE2ELNS1_3repE0EEENS1_30default_config_static_selectorELNS0_4arch9wavefront6targetE1EEEvSY_, .Lfunc_end1523-_ZN7rocprim17ROCPRIM_400000_NS6detail17trampoline_kernelINS0_13select_configILj256ELj13ELNS0_17block_load_methodE3ELS4_3ELS4_3ELNS0_20block_scan_algorithmE0ELj4294967295EEENS1_25partition_config_selectorILNS1_17partition_subalgoE3EjNS0_10empty_typeEbEEZZNS1_14partition_implILS8_3ELb0ES6_jNS0_17counting_iteratorIjlEEPS9_SE_NS0_5tupleIJPjSE_EEENSF_IJSE_SE_EEES9_SG_JZNS1_25segmented_radix_sort_implINS0_14default_configELb1EPKbPbPKlPlN2at6native12_GLOBAL__N_18offset_tEEE10hipError_tPvRmT1_PNSt15iterator_traitsISY_E10value_typeET2_T3_PNSZ_IS14_E10value_typeET4_jRbjT5_S1A_jjP12ihipStream_tbEUljE_EEESV_SW_SX_S14_S18_S1A_T6_T7_T9_mT8_S1C_bDpT10_ENKUlT_T0_E_clISt17integral_constantIbLb1EES1O_IbLb0EEEEDaS1K_S1L_EUlS1K_E_NS1_11comp_targetILNS1_3genE8ELNS1_11target_archE1030ELNS1_3gpuE2ELNS1_3repE0EEENS1_30default_config_static_selectorELNS0_4arch9wavefront6targetE1EEEvSY_
                                        ; -- End function
	.set _ZN7rocprim17ROCPRIM_400000_NS6detail17trampoline_kernelINS0_13select_configILj256ELj13ELNS0_17block_load_methodE3ELS4_3ELS4_3ELNS0_20block_scan_algorithmE0ELj4294967295EEENS1_25partition_config_selectorILNS1_17partition_subalgoE3EjNS0_10empty_typeEbEEZZNS1_14partition_implILS8_3ELb0ES6_jNS0_17counting_iteratorIjlEEPS9_SE_NS0_5tupleIJPjSE_EEENSF_IJSE_SE_EEES9_SG_JZNS1_25segmented_radix_sort_implINS0_14default_configELb1EPKbPbPKlPlN2at6native12_GLOBAL__N_18offset_tEEE10hipError_tPvRmT1_PNSt15iterator_traitsISY_E10value_typeET2_T3_PNSZ_IS14_E10value_typeET4_jRbjT5_S1A_jjP12ihipStream_tbEUljE_EEESV_SW_SX_S14_S18_S1A_T6_T7_T9_mT8_S1C_bDpT10_ENKUlT_T0_E_clISt17integral_constantIbLb1EES1O_IbLb0EEEEDaS1K_S1L_EUlS1K_E_NS1_11comp_targetILNS1_3genE8ELNS1_11target_archE1030ELNS1_3gpuE2ELNS1_3repE0EEENS1_30default_config_static_selectorELNS0_4arch9wavefront6targetE1EEEvSY_.num_vgpr, 0
	.set _ZN7rocprim17ROCPRIM_400000_NS6detail17trampoline_kernelINS0_13select_configILj256ELj13ELNS0_17block_load_methodE3ELS4_3ELS4_3ELNS0_20block_scan_algorithmE0ELj4294967295EEENS1_25partition_config_selectorILNS1_17partition_subalgoE3EjNS0_10empty_typeEbEEZZNS1_14partition_implILS8_3ELb0ES6_jNS0_17counting_iteratorIjlEEPS9_SE_NS0_5tupleIJPjSE_EEENSF_IJSE_SE_EEES9_SG_JZNS1_25segmented_radix_sort_implINS0_14default_configELb1EPKbPbPKlPlN2at6native12_GLOBAL__N_18offset_tEEE10hipError_tPvRmT1_PNSt15iterator_traitsISY_E10value_typeET2_T3_PNSZ_IS14_E10value_typeET4_jRbjT5_S1A_jjP12ihipStream_tbEUljE_EEESV_SW_SX_S14_S18_S1A_T6_T7_T9_mT8_S1C_bDpT10_ENKUlT_T0_E_clISt17integral_constantIbLb1EES1O_IbLb0EEEEDaS1K_S1L_EUlS1K_E_NS1_11comp_targetILNS1_3genE8ELNS1_11target_archE1030ELNS1_3gpuE2ELNS1_3repE0EEENS1_30default_config_static_selectorELNS0_4arch9wavefront6targetE1EEEvSY_.num_agpr, 0
	.set _ZN7rocprim17ROCPRIM_400000_NS6detail17trampoline_kernelINS0_13select_configILj256ELj13ELNS0_17block_load_methodE3ELS4_3ELS4_3ELNS0_20block_scan_algorithmE0ELj4294967295EEENS1_25partition_config_selectorILNS1_17partition_subalgoE3EjNS0_10empty_typeEbEEZZNS1_14partition_implILS8_3ELb0ES6_jNS0_17counting_iteratorIjlEEPS9_SE_NS0_5tupleIJPjSE_EEENSF_IJSE_SE_EEES9_SG_JZNS1_25segmented_radix_sort_implINS0_14default_configELb1EPKbPbPKlPlN2at6native12_GLOBAL__N_18offset_tEEE10hipError_tPvRmT1_PNSt15iterator_traitsISY_E10value_typeET2_T3_PNSZ_IS14_E10value_typeET4_jRbjT5_S1A_jjP12ihipStream_tbEUljE_EEESV_SW_SX_S14_S18_S1A_T6_T7_T9_mT8_S1C_bDpT10_ENKUlT_T0_E_clISt17integral_constantIbLb1EES1O_IbLb0EEEEDaS1K_S1L_EUlS1K_E_NS1_11comp_targetILNS1_3genE8ELNS1_11target_archE1030ELNS1_3gpuE2ELNS1_3repE0EEENS1_30default_config_static_selectorELNS0_4arch9wavefront6targetE1EEEvSY_.numbered_sgpr, 0
	.set _ZN7rocprim17ROCPRIM_400000_NS6detail17trampoline_kernelINS0_13select_configILj256ELj13ELNS0_17block_load_methodE3ELS4_3ELS4_3ELNS0_20block_scan_algorithmE0ELj4294967295EEENS1_25partition_config_selectorILNS1_17partition_subalgoE3EjNS0_10empty_typeEbEEZZNS1_14partition_implILS8_3ELb0ES6_jNS0_17counting_iteratorIjlEEPS9_SE_NS0_5tupleIJPjSE_EEENSF_IJSE_SE_EEES9_SG_JZNS1_25segmented_radix_sort_implINS0_14default_configELb1EPKbPbPKlPlN2at6native12_GLOBAL__N_18offset_tEEE10hipError_tPvRmT1_PNSt15iterator_traitsISY_E10value_typeET2_T3_PNSZ_IS14_E10value_typeET4_jRbjT5_S1A_jjP12ihipStream_tbEUljE_EEESV_SW_SX_S14_S18_S1A_T6_T7_T9_mT8_S1C_bDpT10_ENKUlT_T0_E_clISt17integral_constantIbLb1EES1O_IbLb0EEEEDaS1K_S1L_EUlS1K_E_NS1_11comp_targetILNS1_3genE8ELNS1_11target_archE1030ELNS1_3gpuE2ELNS1_3repE0EEENS1_30default_config_static_selectorELNS0_4arch9wavefront6targetE1EEEvSY_.num_named_barrier, 0
	.set _ZN7rocprim17ROCPRIM_400000_NS6detail17trampoline_kernelINS0_13select_configILj256ELj13ELNS0_17block_load_methodE3ELS4_3ELS4_3ELNS0_20block_scan_algorithmE0ELj4294967295EEENS1_25partition_config_selectorILNS1_17partition_subalgoE3EjNS0_10empty_typeEbEEZZNS1_14partition_implILS8_3ELb0ES6_jNS0_17counting_iteratorIjlEEPS9_SE_NS0_5tupleIJPjSE_EEENSF_IJSE_SE_EEES9_SG_JZNS1_25segmented_radix_sort_implINS0_14default_configELb1EPKbPbPKlPlN2at6native12_GLOBAL__N_18offset_tEEE10hipError_tPvRmT1_PNSt15iterator_traitsISY_E10value_typeET2_T3_PNSZ_IS14_E10value_typeET4_jRbjT5_S1A_jjP12ihipStream_tbEUljE_EEESV_SW_SX_S14_S18_S1A_T6_T7_T9_mT8_S1C_bDpT10_ENKUlT_T0_E_clISt17integral_constantIbLb1EES1O_IbLb0EEEEDaS1K_S1L_EUlS1K_E_NS1_11comp_targetILNS1_3genE8ELNS1_11target_archE1030ELNS1_3gpuE2ELNS1_3repE0EEENS1_30default_config_static_selectorELNS0_4arch9wavefront6targetE1EEEvSY_.private_seg_size, 0
	.set _ZN7rocprim17ROCPRIM_400000_NS6detail17trampoline_kernelINS0_13select_configILj256ELj13ELNS0_17block_load_methodE3ELS4_3ELS4_3ELNS0_20block_scan_algorithmE0ELj4294967295EEENS1_25partition_config_selectorILNS1_17partition_subalgoE3EjNS0_10empty_typeEbEEZZNS1_14partition_implILS8_3ELb0ES6_jNS0_17counting_iteratorIjlEEPS9_SE_NS0_5tupleIJPjSE_EEENSF_IJSE_SE_EEES9_SG_JZNS1_25segmented_radix_sort_implINS0_14default_configELb1EPKbPbPKlPlN2at6native12_GLOBAL__N_18offset_tEEE10hipError_tPvRmT1_PNSt15iterator_traitsISY_E10value_typeET2_T3_PNSZ_IS14_E10value_typeET4_jRbjT5_S1A_jjP12ihipStream_tbEUljE_EEESV_SW_SX_S14_S18_S1A_T6_T7_T9_mT8_S1C_bDpT10_ENKUlT_T0_E_clISt17integral_constantIbLb1EES1O_IbLb0EEEEDaS1K_S1L_EUlS1K_E_NS1_11comp_targetILNS1_3genE8ELNS1_11target_archE1030ELNS1_3gpuE2ELNS1_3repE0EEENS1_30default_config_static_selectorELNS0_4arch9wavefront6targetE1EEEvSY_.uses_vcc, 0
	.set _ZN7rocprim17ROCPRIM_400000_NS6detail17trampoline_kernelINS0_13select_configILj256ELj13ELNS0_17block_load_methodE3ELS4_3ELS4_3ELNS0_20block_scan_algorithmE0ELj4294967295EEENS1_25partition_config_selectorILNS1_17partition_subalgoE3EjNS0_10empty_typeEbEEZZNS1_14partition_implILS8_3ELb0ES6_jNS0_17counting_iteratorIjlEEPS9_SE_NS0_5tupleIJPjSE_EEENSF_IJSE_SE_EEES9_SG_JZNS1_25segmented_radix_sort_implINS0_14default_configELb1EPKbPbPKlPlN2at6native12_GLOBAL__N_18offset_tEEE10hipError_tPvRmT1_PNSt15iterator_traitsISY_E10value_typeET2_T3_PNSZ_IS14_E10value_typeET4_jRbjT5_S1A_jjP12ihipStream_tbEUljE_EEESV_SW_SX_S14_S18_S1A_T6_T7_T9_mT8_S1C_bDpT10_ENKUlT_T0_E_clISt17integral_constantIbLb1EES1O_IbLb0EEEEDaS1K_S1L_EUlS1K_E_NS1_11comp_targetILNS1_3genE8ELNS1_11target_archE1030ELNS1_3gpuE2ELNS1_3repE0EEENS1_30default_config_static_selectorELNS0_4arch9wavefront6targetE1EEEvSY_.uses_flat_scratch, 0
	.set _ZN7rocprim17ROCPRIM_400000_NS6detail17trampoline_kernelINS0_13select_configILj256ELj13ELNS0_17block_load_methodE3ELS4_3ELS4_3ELNS0_20block_scan_algorithmE0ELj4294967295EEENS1_25partition_config_selectorILNS1_17partition_subalgoE3EjNS0_10empty_typeEbEEZZNS1_14partition_implILS8_3ELb0ES6_jNS0_17counting_iteratorIjlEEPS9_SE_NS0_5tupleIJPjSE_EEENSF_IJSE_SE_EEES9_SG_JZNS1_25segmented_radix_sort_implINS0_14default_configELb1EPKbPbPKlPlN2at6native12_GLOBAL__N_18offset_tEEE10hipError_tPvRmT1_PNSt15iterator_traitsISY_E10value_typeET2_T3_PNSZ_IS14_E10value_typeET4_jRbjT5_S1A_jjP12ihipStream_tbEUljE_EEESV_SW_SX_S14_S18_S1A_T6_T7_T9_mT8_S1C_bDpT10_ENKUlT_T0_E_clISt17integral_constantIbLb1EES1O_IbLb0EEEEDaS1K_S1L_EUlS1K_E_NS1_11comp_targetILNS1_3genE8ELNS1_11target_archE1030ELNS1_3gpuE2ELNS1_3repE0EEENS1_30default_config_static_selectorELNS0_4arch9wavefront6targetE1EEEvSY_.has_dyn_sized_stack, 0
	.set _ZN7rocprim17ROCPRIM_400000_NS6detail17trampoline_kernelINS0_13select_configILj256ELj13ELNS0_17block_load_methodE3ELS4_3ELS4_3ELNS0_20block_scan_algorithmE0ELj4294967295EEENS1_25partition_config_selectorILNS1_17partition_subalgoE3EjNS0_10empty_typeEbEEZZNS1_14partition_implILS8_3ELb0ES6_jNS0_17counting_iteratorIjlEEPS9_SE_NS0_5tupleIJPjSE_EEENSF_IJSE_SE_EEES9_SG_JZNS1_25segmented_radix_sort_implINS0_14default_configELb1EPKbPbPKlPlN2at6native12_GLOBAL__N_18offset_tEEE10hipError_tPvRmT1_PNSt15iterator_traitsISY_E10value_typeET2_T3_PNSZ_IS14_E10value_typeET4_jRbjT5_S1A_jjP12ihipStream_tbEUljE_EEESV_SW_SX_S14_S18_S1A_T6_T7_T9_mT8_S1C_bDpT10_ENKUlT_T0_E_clISt17integral_constantIbLb1EES1O_IbLb0EEEEDaS1K_S1L_EUlS1K_E_NS1_11comp_targetILNS1_3genE8ELNS1_11target_archE1030ELNS1_3gpuE2ELNS1_3repE0EEENS1_30default_config_static_selectorELNS0_4arch9wavefront6targetE1EEEvSY_.has_recursion, 0
	.set _ZN7rocprim17ROCPRIM_400000_NS6detail17trampoline_kernelINS0_13select_configILj256ELj13ELNS0_17block_load_methodE3ELS4_3ELS4_3ELNS0_20block_scan_algorithmE0ELj4294967295EEENS1_25partition_config_selectorILNS1_17partition_subalgoE3EjNS0_10empty_typeEbEEZZNS1_14partition_implILS8_3ELb0ES6_jNS0_17counting_iteratorIjlEEPS9_SE_NS0_5tupleIJPjSE_EEENSF_IJSE_SE_EEES9_SG_JZNS1_25segmented_radix_sort_implINS0_14default_configELb1EPKbPbPKlPlN2at6native12_GLOBAL__N_18offset_tEEE10hipError_tPvRmT1_PNSt15iterator_traitsISY_E10value_typeET2_T3_PNSZ_IS14_E10value_typeET4_jRbjT5_S1A_jjP12ihipStream_tbEUljE_EEESV_SW_SX_S14_S18_S1A_T6_T7_T9_mT8_S1C_bDpT10_ENKUlT_T0_E_clISt17integral_constantIbLb1EES1O_IbLb0EEEEDaS1K_S1L_EUlS1K_E_NS1_11comp_targetILNS1_3genE8ELNS1_11target_archE1030ELNS1_3gpuE2ELNS1_3repE0EEENS1_30default_config_static_selectorELNS0_4arch9wavefront6targetE1EEEvSY_.has_indirect_call, 0
	.section	.AMDGPU.csdata,"",@progbits
; Kernel info:
; codeLenInByte = 0
; TotalNumSgprs: 4
; NumVgprs: 0
; ScratchSize: 0
; MemoryBound: 0
; FloatMode: 240
; IeeeMode: 1
; LDSByteSize: 0 bytes/workgroup (compile time only)
; SGPRBlocks: 0
; VGPRBlocks: 0
; NumSGPRsForWavesPerEU: 4
; NumVGPRsForWavesPerEU: 1
; Occupancy: 10
; WaveLimiterHint : 0
; COMPUTE_PGM_RSRC2:SCRATCH_EN: 0
; COMPUTE_PGM_RSRC2:USER_SGPR: 6
; COMPUTE_PGM_RSRC2:TRAP_HANDLER: 0
; COMPUTE_PGM_RSRC2:TGID_X_EN: 1
; COMPUTE_PGM_RSRC2:TGID_Y_EN: 0
; COMPUTE_PGM_RSRC2:TGID_Z_EN: 0
; COMPUTE_PGM_RSRC2:TIDIG_COMP_CNT: 0
	.section	.text._ZN7rocprim17ROCPRIM_400000_NS6detail17trampoline_kernelINS0_13select_configILj256ELj13ELNS0_17block_load_methodE3ELS4_3ELS4_3ELNS0_20block_scan_algorithmE0ELj4294967295EEENS1_25partition_config_selectorILNS1_17partition_subalgoE3EjNS0_10empty_typeEbEEZZNS1_14partition_implILS8_3ELb0ES6_jNS0_17counting_iteratorIjlEEPS9_SE_NS0_5tupleIJPjSE_EEENSF_IJSE_SE_EEES9_SG_JZNS1_25segmented_radix_sort_implINS0_14default_configELb1EPKbPbPKlPlN2at6native12_GLOBAL__N_18offset_tEEE10hipError_tPvRmT1_PNSt15iterator_traitsISY_E10value_typeET2_T3_PNSZ_IS14_E10value_typeET4_jRbjT5_S1A_jjP12ihipStream_tbEUljE_EEESV_SW_SX_S14_S18_S1A_T6_T7_T9_mT8_S1C_bDpT10_ENKUlT_T0_E_clISt17integral_constantIbLb0EES1O_IbLb1EEEEDaS1K_S1L_EUlS1K_E_NS1_11comp_targetILNS1_3genE0ELNS1_11target_archE4294967295ELNS1_3gpuE0ELNS1_3repE0EEENS1_30default_config_static_selectorELNS0_4arch9wavefront6targetE1EEEvSY_,"axG",@progbits,_ZN7rocprim17ROCPRIM_400000_NS6detail17trampoline_kernelINS0_13select_configILj256ELj13ELNS0_17block_load_methodE3ELS4_3ELS4_3ELNS0_20block_scan_algorithmE0ELj4294967295EEENS1_25partition_config_selectorILNS1_17partition_subalgoE3EjNS0_10empty_typeEbEEZZNS1_14partition_implILS8_3ELb0ES6_jNS0_17counting_iteratorIjlEEPS9_SE_NS0_5tupleIJPjSE_EEENSF_IJSE_SE_EEES9_SG_JZNS1_25segmented_radix_sort_implINS0_14default_configELb1EPKbPbPKlPlN2at6native12_GLOBAL__N_18offset_tEEE10hipError_tPvRmT1_PNSt15iterator_traitsISY_E10value_typeET2_T3_PNSZ_IS14_E10value_typeET4_jRbjT5_S1A_jjP12ihipStream_tbEUljE_EEESV_SW_SX_S14_S18_S1A_T6_T7_T9_mT8_S1C_bDpT10_ENKUlT_T0_E_clISt17integral_constantIbLb0EES1O_IbLb1EEEEDaS1K_S1L_EUlS1K_E_NS1_11comp_targetILNS1_3genE0ELNS1_11target_archE4294967295ELNS1_3gpuE0ELNS1_3repE0EEENS1_30default_config_static_selectorELNS0_4arch9wavefront6targetE1EEEvSY_,comdat
	.globl	_ZN7rocprim17ROCPRIM_400000_NS6detail17trampoline_kernelINS0_13select_configILj256ELj13ELNS0_17block_load_methodE3ELS4_3ELS4_3ELNS0_20block_scan_algorithmE0ELj4294967295EEENS1_25partition_config_selectorILNS1_17partition_subalgoE3EjNS0_10empty_typeEbEEZZNS1_14partition_implILS8_3ELb0ES6_jNS0_17counting_iteratorIjlEEPS9_SE_NS0_5tupleIJPjSE_EEENSF_IJSE_SE_EEES9_SG_JZNS1_25segmented_radix_sort_implINS0_14default_configELb1EPKbPbPKlPlN2at6native12_GLOBAL__N_18offset_tEEE10hipError_tPvRmT1_PNSt15iterator_traitsISY_E10value_typeET2_T3_PNSZ_IS14_E10value_typeET4_jRbjT5_S1A_jjP12ihipStream_tbEUljE_EEESV_SW_SX_S14_S18_S1A_T6_T7_T9_mT8_S1C_bDpT10_ENKUlT_T0_E_clISt17integral_constantIbLb0EES1O_IbLb1EEEEDaS1K_S1L_EUlS1K_E_NS1_11comp_targetILNS1_3genE0ELNS1_11target_archE4294967295ELNS1_3gpuE0ELNS1_3repE0EEENS1_30default_config_static_selectorELNS0_4arch9wavefront6targetE1EEEvSY_ ; -- Begin function _ZN7rocprim17ROCPRIM_400000_NS6detail17trampoline_kernelINS0_13select_configILj256ELj13ELNS0_17block_load_methodE3ELS4_3ELS4_3ELNS0_20block_scan_algorithmE0ELj4294967295EEENS1_25partition_config_selectorILNS1_17partition_subalgoE3EjNS0_10empty_typeEbEEZZNS1_14partition_implILS8_3ELb0ES6_jNS0_17counting_iteratorIjlEEPS9_SE_NS0_5tupleIJPjSE_EEENSF_IJSE_SE_EEES9_SG_JZNS1_25segmented_radix_sort_implINS0_14default_configELb1EPKbPbPKlPlN2at6native12_GLOBAL__N_18offset_tEEE10hipError_tPvRmT1_PNSt15iterator_traitsISY_E10value_typeET2_T3_PNSZ_IS14_E10value_typeET4_jRbjT5_S1A_jjP12ihipStream_tbEUljE_EEESV_SW_SX_S14_S18_S1A_T6_T7_T9_mT8_S1C_bDpT10_ENKUlT_T0_E_clISt17integral_constantIbLb0EES1O_IbLb1EEEEDaS1K_S1L_EUlS1K_E_NS1_11comp_targetILNS1_3genE0ELNS1_11target_archE4294967295ELNS1_3gpuE0ELNS1_3repE0EEENS1_30default_config_static_selectorELNS0_4arch9wavefront6targetE1EEEvSY_
	.p2align	8
	.type	_ZN7rocprim17ROCPRIM_400000_NS6detail17trampoline_kernelINS0_13select_configILj256ELj13ELNS0_17block_load_methodE3ELS4_3ELS4_3ELNS0_20block_scan_algorithmE0ELj4294967295EEENS1_25partition_config_selectorILNS1_17partition_subalgoE3EjNS0_10empty_typeEbEEZZNS1_14partition_implILS8_3ELb0ES6_jNS0_17counting_iteratorIjlEEPS9_SE_NS0_5tupleIJPjSE_EEENSF_IJSE_SE_EEES9_SG_JZNS1_25segmented_radix_sort_implINS0_14default_configELb1EPKbPbPKlPlN2at6native12_GLOBAL__N_18offset_tEEE10hipError_tPvRmT1_PNSt15iterator_traitsISY_E10value_typeET2_T3_PNSZ_IS14_E10value_typeET4_jRbjT5_S1A_jjP12ihipStream_tbEUljE_EEESV_SW_SX_S14_S18_S1A_T6_T7_T9_mT8_S1C_bDpT10_ENKUlT_T0_E_clISt17integral_constantIbLb0EES1O_IbLb1EEEEDaS1K_S1L_EUlS1K_E_NS1_11comp_targetILNS1_3genE0ELNS1_11target_archE4294967295ELNS1_3gpuE0ELNS1_3repE0EEENS1_30default_config_static_selectorELNS0_4arch9wavefront6targetE1EEEvSY_,@function
_ZN7rocprim17ROCPRIM_400000_NS6detail17trampoline_kernelINS0_13select_configILj256ELj13ELNS0_17block_load_methodE3ELS4_3ELS4_3ELNS0_20block_scan_algorithmE0ELj4294967295EEENS1_25partition_config_selectorILNS1_17partition_subalgoE3EjNS0_10empty_typeEbEEZZNS1_14partition_implILS8_3ELb0ES6_jNS0_17counting_iteratorIjlEEPS9_SE_NS0_5tupleIJPjSE_EEENSF_IJSE_SE_EEES9_SG_JZNS1_25segmented_radix_sort_implINS0_14default_configELb1EPKbPbPKlPlN2at6native12_GLOBAL__N_18offset_tEEE10hipError_tPvRmT1_PNSt15iterator_traitsISY_E10value_typeET2_T3_PNSZ_IS14_E10value_typeET4_jRbjT5_S1A_jjP12ihipStream_tbEUljE_EEESV_SW_SX_S14_S18_S1A_T6_T7_T9_mT8_S1C_bDpT10_ENKUlT_T0_E_clISt17integral_constantIbLb0EES1O_IbLb1EEEEDaS1K_S1L_EUlS1K_E_NS1_11comp_targetILNS1_3genE0ELNS1_11target_archE4294967295ELNS1_3gpuE0ELNS1_3repE0EEENS1_30default_config_static_selectorELNS0_4arch9wavefront6targetE1EEEvSY_: ; @_ZN7rocprim17ROCPRIM_400000_NS6detail17trampoline_kernelINS0_13select_configILj256ELj13ELNS0_17block_load_methodE3ELS4_3ELS4_3ELNS0_20block_scan_algorithmE0ELj4294967295EEENS1_25partition_config_selectorILNS1_17partition_subalgoE3EjNS0_10empty_typeEbEEZZNS1_14partition_implILS8_3ELb0ES6_jNS0_17counting_iteratorIjlEEPS9_SE_NS0_5tupleIJPjSE_EEENSF_IJSE_SE_EEES9_SG_JZNS1_25segmented_radix_sort_implINS0_14default_configELb1EPKbPbPKlPlN2at6native12_GLOBAL__N_18offset_tEEE10hipError_tPvRmT1_PNSt15iterator_traitsISY_E10value_typeET2_T3_PNSZ_IS14_E10value_typeET4_jRbjT5_S1A_jjP12ihipStream_tbEUljE_EEESV_SW_SX_S14_S18_S1A_T6_T7_T9_mT8_S1C_bDpT10_ENKUlT_T0_E_clISt17integral_constantIbLb0EES1O_IbLb1EEEEDaS1K_S1L_EUlS1K_E_NS1_11comp_targetILNS1_3genE0ELNS1_11target_archE4294967295ELNS1_3gpuE0ELNS1_3repE0EEENS1_30default_config_static_selectorELNS0_4arch9wavefront6targetE1EEEvSY_
; %bb.0:
	.section	.rodata,"a",@progbits
	.p2align	6, 0x0
	.amdhsa_kernel _ZN7rocprim17ROCPRIM_400000_NS6detail17trampoline_kernelINS0_13select_configILj256ELj13ELNS0_17block_load_methodE3ELS4_3ELS4_3ELNS0_20block_scan_algorithmE0ELj4294967295EEENS1_25partition_config_selectorILNS1_17partition_subalgoE3EjNS0_10empty_typeEbEEZZNS1_14partition_implILS8_3ELb0ES6_jNS0_17counting_iteratorIjlEEPS9_SE_NS0_5tupleIJPjSE_EEENSF_IJSE_SE_EEES9_SG_JZNS1_25segmented_radix_sort_implINS0_14default_configELb1EPKbPbPKlPlN2at6native12_GLOBAL__N_18offset_tEEE10hipError_tPvRmT1_PNSt15iterator_traitsISY_E10value_typeET2_T3_PNSZ_IS14_E10value_typeET4_jRbjT5_S1A_jjP12ihipStream_tbEUljE_EEESV_SW_SX_S14_S18_S1A_T6_T7_T9_mT8_S1C_bDpT10_ENKUlT_T0_E_clISt17integral_constantIbLb0EES1O_IbLb1EEEEDaS1K_S1L_EUlS1K_E_NS1_11comp_targetILNS1_3genE0ELNS1_11target_archE4294967295ELNS1_3gpuE0ELNS1_3repE0EEENS1_30default_config_static_selectorELNS0_4arch9wavefront6targetE1EEEvSY_
		.amdhsa_group_segment_fixed_size 0
		.amdhsa_private_segment_fixed_size 0
		.amdhsa_kernarg_size 152
		.amdhsa_user_sgpr_count 6
		.amdhsa_user_sgpr_private_segment_buffer 1
		.amdhsa_user_sgpr_dispatch_ptr 0
		.amdhsa_user_sgpr_queue_ptr 0
		.amdhsa_user_sgpr_kernarg_segment_ptr 1
		.amdhsa_user_sgpr_dispatch_id 0
		.amdhsa_user_sgpr_flat_scratch_init 0
		.amdhsa_user_sgpr_private_segment_size 0
		.amdhsa_uses_dynamic_stack 0
		.amdhsa_system_sgpr_private_segment_wavefront_offset 0
		.amdhsa_system_sgpr_workgroup_id_x 1
		.amdhsa_system_sgpr_workgroup_id_y 0
		.amdhsa_system_sgpr_workgroup_id_z 0
		.amdhsa_system_sgpr_workgroup_info 0
		.amdhsa_system_vgpr_workitem_id 0
		.amdhsa_next_free_vgpr 1
		.amdhsa_next_free_sgpr 0
		.amdhsa_reserve_vcc 0
		.amdhsa_reserve_flat_scratch 0
		.amdhsa_float_round_mode_32 0
		.amdhsa_float_round_mode_16_64 0
		.amdhsa_float_denorm_mode_32 3
		.amdhsa_float_denorm_mode_16_64 3
		.amdhsa_dx10_clamp 1
		.amdhsa_ieee_mode 1
		.amdhsa_fp16_overflow 0
		.amdhsa_exception_fp_ieee_invalid_op 0
		.amdhsa_exception_fp_denorm_src 0
		.amdhsa_exception_fp_ieee_div_zero 0
		.amdhsa_exception_fp_ieee_overflow 0
		.amdhsa_exception_fp_ieee_underflow 0
		.amdhsa_exception_fp_ieee_inexact 0
		.amdhsa_exception_int_div_zero 0
	.end_amdhsa_kernel
	.section	.text._ZN7rocprim17ROCPRIM_400000_NS6detail17trampoline_kernelINS0_13select_configILj256ELj13ELNS0_17block_load_methodE3ELS4_3ELS4_3ELNS0_20block_scan_algorithmE0ELj4294967295EEENS1_25partition_config_selectorILNS1_17partition_subalgoE3EjNS0_10empty_typeEbEEZZNS1_14partition_implILS8_3ELb0ES6_jNS0_17counting_iteratorIjlEEPS9_SE_NS0_5tupleIJPjSE_EEENSF_IJSE_SE_EEES9_SG_JZNS1_25segmented_radix_sort_implINS0_14default_configELb1EPKbPbPKlPlN2at6native12_GLOBAL__N_18offset_tEEE10hipError_tPvRmT1_PNSt15iterator_traitsISY_E10value_typeET2_T3_PNSZ_IS14_E10value_typeET4_jRbjT5_S1A_jjP12ihipStream_tbEUljE_EEESV_SW_SX_S14_S18_S1A_T6_T7_T9_mT8_S1C_bDpT10_ENKUlT_T0_E_clISt17integral_constantIbLb0EES1O_IbLb1EEEEDaS1K_S1L_EUlS1K_E_NS1_11comp_targetILNS1_3genE0ELNS1_11target_archE4294967295ELNS1_3gpuE0ELNS1_3repE0EEENS1_30default_config_static_selectorELNS0_4arch9wavefront6targetE1EEEvSY_,"axG",@progbits,_ZN7rocprim17ROCPRIM_400000_NS6detail17trampoline_kernelINS0_13select_configILj256ELj13ELNS0_17block_load_methodE3ELS4_3ELS4_3ELNS0_20block_scan_algorithmE0ELj4294967295EEENS1_25partition_config_selectorILNS1_17partition_subalgoE3EjNS0_10empty_typeEbEEZZNS1_14partition_implILS8_3ELb0ES6_jNS0_17counting_iteratorIjlEEPS9_SE_NS0_5tupleIJPjSE_EEENSF_IJSE_SE_EEES9_SG_JZNS1_25segmented_radix_sort_implINS0_14default_configELb1EPKbPbPKlPlN2at6native12_GLOBAL__N_18offset_tEEE10hipError_tPvRmT1_PNSt15iterator_traitsISY_E10value_typeET2_T3_PNSZ_IS14_E10value_typeET4_jRbjT5_S1A_jjP12ihipStream_tbEUljE_EEESV_SW_SX_S14_S18_S1A_T6_T7_T9_mT8_S1C_bDpT10_ENKUlT_T0_E_clISt17integral_constantIbLb0EES1O_IbLb1EEEEDaS1K_S1L_EUlS1K_E_NS1_11comp_targetILNS1_3genE0ELNS1_11target_archE4294967295ELNS1_3gpuE0ELNS1_3repE0EEENS1_30default_config_static_selectorELNS0_4arch9wavefront6targetE1EEEvSY_,comdat
.Lfunc_end1524:
	.size	_ZN7rocprim17ROCPRIM_400000_NS6detail17trampoline_kernelINS0_13select_configILj256ELj13ELNS0_17block_load_methodE3ELS4_3ELS4_3ELNS0_20block_scan_algorithmE0ELj4294967295EEENS1_25partition_config_selectorILNS1_17partition_subalgoE3EjNS0_10empty_typeEbEEZZNS1_14partition_implILS8_3ELb0ES6_jNS0_17counting_iteratorIjlEEPS9_SE_NS0_5tupleIJPjSE_EEENSF_IJSE_SE_EEES9_SG_JZNS1_25segmented_radix_sort_implINS0_14default_configELb1EPKbPbPKlPlN2at6native12_GLOBAL__N_18offset_tEEE10hipError_tPvRmT1_PNSt15iterator_traitsISY_E10value_typeET2_T3_PNSZ_IS14_E10value_typeET4_jRbjT5_S1A_jjP12ihipStream_tbEUljE_EEESV_SW_SX_S14_S18_S1A_T6_T7_T9_mT8_S1C_bDpT10_ENKUlT_T0_E_clISt17integral_constantIbLb0EES1O_IbLb1EEEEDaS1K_S1L_EUlS1K_E_NS1_11comp_targetILNS1_3genE0ELNS1_11target_archE4294967295ELNS1_3gpuE0ELNS1_3repE0EEENS1_30default_config_static_selectorELNS0_4arch9wavefront6targetE1EEEvSY_, .Lfunc_end1524-_ZN7rocprim17ROCPRIM_400000_NS6detail17trampoline_kernelINS0_13select_configILj256ELj13ELNS0_17block_load_methodE3ELS4_3ELS4_3ELNS0_20block_scan_algorithmE0ELj4294967295EEENS1_25partition_config_selectorILNS1_17partition_subalgoE3EjNS0_10empty_typeEbEEZZNS1_14partition_implILS8_3ELb0ES6_jNS0_17counting_iteratorIjlEEPS9_SE_NS0_5tupleIJPjSE_EEENSF_IJSE_SE_EEES9_SG_JZNS1_25segmented_radix_sort_implINS0_14default_configELb1EPKbPbPKlPlN2at6native12_GLOBAL__N_18offset_tEEE10hipError_tPvRmT1_PNSt15iterator_traitsISY_E10value_typeET2_T3_PNSZ_IS14_E10value_typeET4_jRbjT5_S1A_jjP12ihipStream_tbEUljE_EEESV_SW_SX_S14_S18_S1A_T6_T7_T9_mT8_S1C_bDpT10_ENKUlT_T0_E_clISt17integral_constantIbLb0EES1O_IbLb1EEEEDaS1K_S1L_EUlS1K_E_NS1_11comp_targetILNS1_3genE0ELNS1_11target_archE4294967295ELNS1_3gpuE0ELNS1_3repE0EEENS1_30default_config_static_selectorELNS0_4arch9wavefront6targetE1EEEvSY_
                                        ; -- End function
	.set _ZN7rocprim17ROCPRIM_400000_NS6detail17trampoline_kernelINS0_13select_configILj256ELj13ELNS0_17block_load_methodE3ELS4_3ELS4_3ELNS0_20block_scan_algorithmE0ELj4294967295EEENS1_25partition_config_selectorILNS1_17partition_subalgoE3EjNS0_10empty_typeEbEEZZNS1_14partition_implILS8_3ELb0ES6_jNS0_17counting_iteratorIjlEEPS9_SE_NS0_5tupleIJPjSE_EEENSF_IJSE_SE_EEES9_SG_JZNS1_25segmented_radix_sort_implINS0_14default_configELb1EPKbPbPKlPlN2at6native12_GLOBAL__N_18offset_tEEE10hipError_tPvRmT1_PNSt15iterator_traitsISY_E10value_typeET2_T3_PNSZ_IS14_E10value_typeET4_jRbjT5_S1A_jjP12ihipStream_tbEUljE_EEESV_SW_SX_S14_S18_S1A_T6_T7_T9_mT8_S1C_bDpT10_ENKUlT_T0_E_clISt17integral_constantIbLb0EES1O_IbLb1EEEEDaS1K_S1L_EUlS1K_E_NS1_11comp_targetILNS1_3genE0ELNS1_11target_archE4294967295ELNS1_3gpuE0ELNS1_3repE0EEENS1_30default_config_static_selectorELNS0_4arch9wavefront6targetE1EEEvSY_.num_vgpr, 0
	.set _ZN7rocprim17ROCPRIM_400000_NS6detail17trampoline_kernelINS0_13select_configILj256ELj13ELNS0_17block_load_methodE3ELS4_3ELS4_3ELNS0_20block_scan_algorithmE0ELj4294967295EEENS1_25partition_config_selectorILNS1_17partition_subalgoE3EjNS0_10empty_typeEbEEZZNS1_14partition_implILS8_3ELb0ES6_jNS0_17counting_iteratorIjlEEPS9_SE_NS0_5tupleIJPjSE_EEENSF_IJSE_SE_EEES9_SG_JZNS1_25segmented_radix_sort_implINS0_14default_configELb1EPKbPbPKlPlN2at6native12_GLOBAL__N_18offset_tEEE10hipError_tPvRmT1_PNSt15iterator_traitsISY_E10value_typeET2_T3_PNSZ_IS14_E10value_typeET4_jRbjT5_S1A_jjP12ihipStream_tbEUljE_EEESV_SW_SX_S14_S18_S1A_T6_T7_T9_mT8_S1C_bDpT10_ENKUlT_T0_E_clISt17integral_constantIbLb0EES1O_IbLb1EEEEDaS1K_S1L_EUlS1K_E_NS1_11comp_targetILNS1_3genE0ELNS1_11target_archE4294967295ELNS1_3gpuE0ELNS1_3repE0EEENS1_30default_config_static_selectorELNS0_4arch9wavefront6targetE1EEEvSY_.num_agpr, 0
	.set _ZN7rocprim17ROCPRIM_400000_NS6detail17trampoline_kernelINS0_13select_configILj256ELj13ELNS0_17block_load_methodE3ELS4_3ELS4_3ELNS0_20block_scan_algorithmE0ELj4294967295EEENS1_25partition_config_selectorILNS1_17partition_subalgoE3EjNS0_10empty_typeEbEEZZNS1_14partition_implILS8_3ELb0ES6_jNS0_17counting_iteratorIjlEEPS9_SE_NS0_5tupleIJPjSE_EEENSF_IJSE_SE_EEES9_SG_JZNS1_25segmented_radix_sort_implINS0_14default_configELb1EPKbPbPKlPlN2at6native12_GLOBAL__N_18offset_tEEE10hipError_tPvRmT1_PNSt15iterator_traitsISY_E10value_typeET2_T3_PNSZ_IS14_E10value_typeET4_jRbjT5_S1A_jjP12ihipStream_tbEUljE_EEESV_SW_SX_S14_S18_S1A_T6_T7_T9_mT8_S1C_bDpT10_ENKUlT_T0_E_clISt17integral_constantIbLb0EES1O_IbLb1EEEEDaS1K_S1L_EUlS1K_E_NS1_11comp_targetILNS1_3genE0ELNS1_11target_archE4294967295ELNS1_3gpuE0ELNS1_3repE0EEENS1_30default_config_static_selectorELNS0_4arch9wavefront6targetE1EEEvSY_.numbered_sgpr, 0
	.set _ZN7rocprim17ROCPRIM_400000_NS6detail17trampoline_kernelINS0_13select_configILj256ELj13ELNS0_17block_load_methodE3ELS4_3ELS4_3ELNS0_20block_scan_algorithmE0ELj4294967295EEENS1_25partition_config_selectorILNS1_17partition_subalgoE3EjNS0_10empty_typeEbEEZZNS1_14partition_implILS8_3ELb0ES6_jNS0_17counting_iteratorIjlEEPS9_SE_NS0_5tupleIJPjSE_EEENSF_IJSE_SE_EEES9_SG_JZNS1_25segmented_radix_sort_implINS0_14default_configELb1EPKbPbPKlPlN2at6native12_GLOBAL__N_18offset_tEEE10hipError_tPvRmT1_PNSt15iterator_traitsISY_E10value_typeET2_T3_PNSZ_IS14_E10value_typeET4_jRbjT5_S1A_jjP12ihipStream_tbEUljE_EEESV_SW_SX_S14_S18_S1A_T6_T7_T9_mT8_S1C_bDpT10_ENKUlT_T0_E_clISt17integral_constantIbLb0EES1O_IbLb1EEEEDaS1K_S1L_EUlS1K_E_NS1_11comp_targetILNS1_3genE0ELNS1_11target_archE4294967295ELNS1_3gpuE0ELNS1_3repE0EEENS1_30default_config_static_selectorELNS0_4arch9wavefront6targetE1EEEvSY_.num_named_barrier, 0
	.set _ZN7rocprim17ROCPRIM_400000_NS6detail17trampoline_kernelINS0_13select_configILj256ELj13ELNS0_17block_load_methodE3ELS4_3ELS4_3ELNS0_20block_scan_algorithmE0ELj4294967295EEENS1_25partition_config_selectorILNS1_17partition_subalgoE3EjNS0_10empty_typeEbEEZZNS1_14partition_implILS8_3ELb0ES6_jNS0_17counting_iteratorIjlEEPS9_SE_NS0_5tupleIJPjSE_EEENSF_IJSE_SE_EEES9_SG_JZNS1_25segmented_radix_sort_implINS0_14default_configELb1EPKbPbPKlPlN2at6native12_GLOBAL__N_18offset_tEEE10hipError_tPvRmT1_PNSt15iterator_traitsISY_E10value_typeET2_T3_PNSZ_IS14_E10value_typeET4_jRbjT5_S1A_jjP12ihipStream_tbEUljE_EEESV_SW_SX_S14_S18_S1A_T6_T7_T9_mT8_S1C_bDpT10_ENKUlT_T0_E_clISt17integral_constantIbLb0EES1O_IbLb1EEEEDaS1K_S1L_EUlS1K_E_NS1_11comp_targetILNS1_3genE0ELNS1_11target_archE4294967295ELNS1_3gpuE0ELNS1_3repE0EEENS1_30default_config_static_selectorELNS0_4arch9wavefront6targetE1EEEvSY_.private_seg_size, 0
	.set _ZN7rocprim17ROCPRIM_400000_NS6detail17trampoline_kernelINS0_13select_configILj256ELj13ELNS0_17block_load_methodE3ELS4_3ELS4_3ELNS0_20block_scan_algorithmE0ELj4294967295EEENS1_25partition_config_selectorILNS1_17partition_subalgoE3EjNS0_10empty_typeEbEEZZNS1_14partition_implILS8_3ELb0ES6_jNS0_17counting_iteratorIjlEEPS9_SE_NS0_5tupleIJPjSE_EEENSF_IJSE_SE_EEES9_SG_JZNS1_25segmented_radix_sort_implINS0_14default_configELb1EPKbPbPKlPlN2at6native12_GLOBAL__N_18offset_tEEE10hipError_tPvRmT1_PNSt15iterator_traitsISY_E10value_typeET2_T3_PNSZ_IS14_E10value_typeET4_jRbjT5_S1A_jjP12ihipStream_tbEUljE_EEESV_SW_SX_S14_S18_S1A_T6_T7_T9_mT8_S1C_bDpT10_ENKUlT_T0_E_clISt17integral_constantIbLb0EES1O_IbLb1EEEEDaS1K_S1L_EUlS1K_E_NS1_11comp_targetILNS1_3genE0ELNS1_11target_archE4294967295ELNS1_3gpuE0ELNS1_3repE0EEENS1_30default_config_static_selectorELNS0_4arch9wavefront6targetE1EEEvSY_.uses_vcc, 0
	.set _ZN7rocprim17ROCPRIM_400000_NS6detail17trampoline_kernelINS0_13select_configILj256ELj13ELNS0_17block_load_methodE3ELS4_3ELS4_3ELNS0_20block_scan_algorithmE0ELj4294967295EEENS1_25partition_config_selectorILNS1_17partition_subalgoE3EjNS0_10empty_typeEbEEZZNS1_14partition_implILS8_3ELb0ES6_jNS0_17counting_iteratorIjlEEPS9_SE_NS0_5tupleIJPjSE_EEENSF_IJSE_SE_EEES9_SG_JZNS1_25segmented_radix_sort_implINS0_14default_configELb1EPKbPbPKlPlN2at6native12_GLOBAL__N_18offset_tEEE10hipError_tPvRmT1_PNSt15iterator_traitsISY_E10value_typeET2_T3_PNSZ_IS14_E10value_typeET4_jRbjT5_S1A_jjP12ihipStream_tbEUljE_EEESV_SW_SX_S14_S18_S1A_T6_T7_T9_mT8_S1C_bDpT10_ENKUlT_T0_E_clISt17integral_constantIbLb0EES1O_IbLb1EEEEDaS1K_S1L_EUlS1K_E_NS1_11comp_targetILNS1_3genE0ELNS1_11target_archE4294967295ELNS1_3gpuE0ELNS1_3repE0EEENS1_30default_config_static_selectorELNS0_4arch9wavefront6targetE1EEEvSY_.uses_flat_scratch, 0
	.set _ZN7rocprim17ROCPRIM_400000_NS6detail17trampoline_kernelINS0_13select_configILj256ELj13ELNS0_17block_load_methodE3ELS4_3ELS4_3ELNS0_20block_scan_algorithmE0ELj4294967295EEENS1_25partition_config_selectorILNS1_17partition_subalgoE3EjNS0_10empty_typeEbEEZZNS1_14partition_implILS8_3ELb0ES6_jNS0_17counting_iteratorIjlEEPS9_SE_NS0_5tupleIJPjSE_EEENSF_IJSE_SE_EEES9_SG_JZNS1_25segmented_radix_sort_implINS0_14default_configELb1EPKbPbPKlPlN2at6native12_GLOBAL__N_18offset_tEEE10hipError_tPvRmT1_PNSt15iterator_traitsISY_E10value_typeET2_T3_PNSZ_IS14_E10value_typeET4_jRbjT5_S1A_jjP12ihipStream_tbEUljE_EEESV_SW_SX_S14_S18_S1A_T6_T7_T9_mT8_S1C_bDpT10_ENKUlT_T0_E_clISt17integral_constantIbLb0EES1O_IbLb1EEEEDaS1K_S1L_EUlS1K_E_NS1_11comp_targetILNS1_3genE0ELNS1_11target_archE4294967295ELNS1_3gpuE0ELNS1_3repE0EEENS1_30default_config_static_selectorELNS0_4arch9wavefront6targetE1EEEvSY_.has_dyn_sized_stack, 0
	.set _ZN7rocprim17ROCPRIM_400000_NS6detail17trampoline_kernelINS0_13select_configILj256ELj13ELNS0_17block_load_methodE3ELS4_3ELS4_3ELNS0_20block_scan_algorithmE0ELj4294967295EEENS1_25partition_config_selectorILNS1_17partition_subalgoE3EjNS0_10empty_typeEbEEZZNS1_14partition_implILS8_3ELb0ES6_jNS0_17counting_iteratorIjlEEPS9_SE_NS0_5tupleIJPjSE_EEENSF_IJSE_SE_EEES9_SG_JZNS1_25segmented_radix_sort_implINS0_14default_configELb1EPKbPbPKlPlN2at6native12_GLOBAL__N_18offset_tEEE10hipError_tPvRmT1_PNSt15iterator_traitsISY_E10value_typeET2_T3_PNSZ_IS14_E10value_typeET4_jRbjT5_S1A_jjP12ihipStream_tbEUljE_EEESV_SW_SX_S14_S18_S1A_T6_T7_T9_mT8_S1C_bDpT10_ENKUlT_T0_E_clISt17integral_constantIbLb0EES1O_IbLb1EEEEDaS1K_S1L_EUlS1K_E_NS1_11comp_targetILNS1_3genE0ELNS1_11target_archE4294967295ELNS1_3gpuE0ELNS1_3repE0EEENS1_30default_config_static_selectorELNS0_4arch9wavefront6targetE1EEEvSY_.has_recursion, 0
	.set _ZN7rocprim17ROCPRIM_400000_NS6detail17trampoline_kernelINS0_13select_configILj256ELj13ELNS0_17block_load_methodE3ELS4_3ELS4_3ELNS0_20block_scan_algorithmE0ELj4294967295EEENS1_25partition_config_selectorILNS1_17partition_subalgoE3EjNS0_10empty_typeEbEEZZNS1_14partition_implILS8_3ELb0ES6_jNS0_17counting_iteratorIjlEEPS9_SE_NS0_5tupleIJPjSE_EEENSF_IJSE_SE_EEES9_SG_JZNS1_25segmented_radix_sort_implINS0_14default_configELb1EPKbPbPKlPlN2at6native12_GLOBAL__N_18offset_tEEE10hipError_tPvRmT1_PNSt15iterator_traitsISY_E10value_typeET2_T3_PNSZ_IS14_E10value_typeET4_jRbjT5_S1A_jjP12ihipStream_tbEUljE_EEESV_SW_SX_S14_S18_S1A_T6_T7_T9_mT8_S1C_bDpT10_ENKUlT_T0_E_clISt17integral_constantIbLb0EES1O_IbLb1EEEEDaS1K_S1L_EUlS1K_E_NS1_11comp_targetILNS1_3genE0ELNS1_11target_archE4294967295ELNS1_3gpuE0ELNS1_3repE0EEENS1_30default_config_static_selectorELNS0_4arch9wavefront6targetE1EEEvSY_.has_indirect_call, 0
	.section	.AMDGPU.csdata,"",@progbits
; Kernel info:
; codeLenInByte = 0
; TotalNumSgprs: 4
; NumVgprs: 0
; ScratchSize: 0
; MemoryBound: 0
; FloatMode: 240
; IeeeMode: 1
; LDSByteSize: 0 bytes/workgroup (compile time only)
; SGPRBlocks: 0
; VGPRBlocks: 0
; NumSGPRsForWavesPerEU: 4
; NumVGPRsForWavesPerEU: 1
; Occupancy: 10
; WaveLimiterHint : 0
; COMPUTE_PGM_RSRC2:SCRATCH_EN: 0
; COMPUTE_PGM_RSRC2:USER_SGPR: 6
; COMPUTE_PGM_RSRC2:TRAP_HANDLER: 0
; COMPUTE_PGM_RSRC2:TGID_X_EN: 1
; COMPUTE_PGM_RSRC2:TGID_Y_EN: 0
; COMPUTE_PGM_RSRC2:TGID_Z_EN: 0
; COMPUTE_PGM_RSRC2:TIDIG_COMP_CNT: 0
	.section	.text._ZN7rocprim17ROCPRIM_400000_NS6detail17trampoline_kernelINS0_13select_configILj256ELj13ELNS0_17block_load_methodE3ELS4_3ELS4_3ELNS0_20block_scan_algorithmE0ELj4294967295EEENS1_25partition_config_selectorILNS1_17partition_subalgoE3EjNS0_10empty_typeEbEEZZNS1_14partition_implILS8_3ELb0ES6_jNS0_17counting_iteratorIjlEEPS9_SE_NS0_5tupleIJPjSE_EEENSF_IJSE_SE_EEES9_SG_JZNS1_25segmented_radix_sort_implINS0_14default_configELb1EPKbPbPKlPlN2at6native12_GLOBAL__N_18offset_tEEE10hipError_tPvRmT1_PNSt15iterator_traitsISY_E10value_typeET2_T3_PNSZ_IS14_E10value_typeET4_jRbjT5_S1A_jjP12ihipStream_tbEUljE_EEESV_SW_SX_S14_S18_S1A_T6_T7_T9_mT8_S1C_bDpT10_ENKUlT_T0_E_clISt17integral_constantIbLb0EES1O_IbLb1EEEEDaS1K_S1L_EUlS1K_E_NS1_11comp_targetILNS1_3genE5ELNS1_11target_archE942ELNS1_3gpuE9ELNS1_3repE0EEENS1_30default_config_static_selectorELNS0_4arch9wavefront6targetE1EEEvSY_,"axG",@progbits,_ZN7rocprim17ROCPRIM_400000_NS6detail17trampoline_kernelINS0_13select_configILj256ELj13ELNS0_17block_load_methodE3ELS4_3ELS4_3ELNS0_20block_scan_algorithmE0ELj4294967295EEENS1_25partition_config_selectorILNS1_17partition_subalgoE3EjNS0_10empty_typeEbEEZZNS1_14partition_implILS8_3ELb0ES6_jNS0_17counting_iteratorIjlEEPS9_SE_NS0_5tupleIJPjSE_EEENSF_IJSE_SE_EEES9_SG_JZNS1_25segmented_radix_sort_implINS0_14default_configELb1EPKbPbPKlPlN2at6native12_GLOBAL__N_18offset_tEEE10hipError_tPvRmT1_PNSt15iterator_traitsISY_E10value_typeET2_T3_PNSZ_IS14_E10value_typeET4_jRbjT5_S1A_jjP12ihipStream_tbEUljE_EEESV_SW_SX_S14_S18_S1A_T6_T7_T9_mT8_S1C_bDpT10_ENKUlT_T0_E_clISt17integral_constantIbLb0EES1O_IbLb1EEEEDaS1K_S1L_EUlS1K_E_NS1_11comp_targetILNS1_3genE5ELNS1_11target_archE942ELNS1_3gpuE9ELNS1_3repE0EEENS1_30default_config_static_selectorELNS0_4arch9wavefront6targetE1EEEvSY_,comdat
	.globl	_ZN7rocprim17ROCPRIM_400000_NS6detail17trampoline_kernelINS0_13select_configILj256ELj13ELNS0_17block_load_methodE3ELS4_3ELS4_3ELNS0_20block_scan_algorithmE0ELj4294967295EEENS1_25partition_config_selectorILNS1_17partition_subalgoE3EjNS0_10empty_typeEbEEZZNS1_14partition_implILS8_3ELb0ES6_jNS0_17counting_iteratorIjlEEPS9_SE_NS0_5tupleIJPjSE_EEENSF_IJSE_SE_EEES9_SG_JZNS1_25segmented_radix_sort_implINS0_14default_configELb1EPKbPbPKlPlN2at6native12_GLOBAL__N_18offset_tEEE10hipError_tPvRmT1_PNSt15iterator_traitsISY_E10value_typeET2_T3_PNSZ_IS14_E10value_typeET4_jRbjT5_S1A_jjP12ihipStream_tbEUljE_EEESV_SW_SX_S14_S18_S1A_T6_T7_T9_mT8_S1C_bDpT10_ENKUlT_T0_E_clISt17integral_constantIbLb0EES1O_IbLb1EEEEDaS1K_S1L_EUlS1K_E_NS1_11comp_targetILNS1_3genE5ELNS1_11target_archE942ELNS1_3gpuE9ELNS1_3repE0EEENS1_30default_config_static_selectorELNS0_4arch9wavefront6targetE1EEEvSY_ ; -- Begin function _ZN7rocprim17ROCPRIM_400000_NS6detail17trampoline_kernelINS0_13select_configILj256ELj13ELNS0_17block_load_methodE3ELS4_3ELS4_3ELNS0_20block_scan_algorithmE0ELj4294967295EEENS1_25partition_config_selectorILNS1_17partition_subalgoE3EjNS0_10empty_typeEbEEZZNS1_14partition_implILS8_3ELb0ES6_jNS0_17counting_iteratorIjlEEPS9_SE_NS0_5tupleIJPjSE_EEENSF_IJSE_SE_EEES9_SG_JZNS1_25segmented_radix_sort_implINS0_14default_configELb1EPKbPbPKlPlN2at6native12_GLOBAL__N_18offset_tEEE10hipError_tPvRmT1_PNSt15iterator_traitsISY_E10value_typeET2_T3_PNSZ_IS14_E10value_typeET4_jRbjT5_S1A_jjP12ihipStream_tbEUljE_EEESV_SW_SX_S14_S18_S1A_T6_T7_T9_mT8_S1C_bDpT10_ENKUlT_T0_E_clISt17integral_constantIbLb0EES1O_IbLb1EEEEDaS1K_S1L_EUlS1K_E_NS1_11comp_targetILNS1_3genE5ELNS1_11target_archE942ELNS1_3gpuE9ELNS1_3repE0EEENS1_30default_config_static_selectorELNS0_4arch9wavefront6targetE1EEEvSY_
	.p2align	8
	.type	_ZN7rocprim17ROCPRIM_400000_NS6detail17trampoline_kernelINS0_13select_configILj256ELj13ELNS0_17block_load_methodE3ELS4_3ELS4_3ELNS0_20block_scan_algorithmE0ELj4294967295EEENS1_25partition_config_selectorILNS1_17partition_subalgoE3EjNS0_10empty_typeEbEEZZNS1_14partition_implILS8_3ELb0ES6_jNS0_17counting_iteratorIjlEEPS9_SE_NS0_5tupleIJPjSE_EEENSF_IJSE_SE_EEES9_SG_JZNS1_25segmented_radix_sort_implINS0_14default_configELb1EPKbPbPKlPlN2at6native12_GLOBAL__N_18offset_tEEE10hipError_tPvRmT1_PNSt15iterator_traitsISY_E10value_typeET2_T3_PNSZ_IS14_E10value_typeET4_jRbjT5_S1A_jjP12ihipStream_tbEUljE_EEESV_SW_SX_S14_S18_S1A_T6_T7_T9_mT8_S1C_bDpT10_ENKUlT_T0_E_clISt17integral_constantIbLb0EES1O_IbLb1EEEEDaS1K_S1L_EUlS1K_E_NS1_11comp_targetILNS1_3genE5ELNS1_11target_archE942ELNS1_3gpuE9ELNS1_3repE0EEENS1_30default_config_static_selectorELNS0_4arch9wavefront6targetE1EEEvSY_,@function
_ZN7rocprim17ROCPRIM_400000_NS6detail17trampoline_kernelINS0_13select_configILj256ELj13ELNS0_17block_load_methodE3ELS4_3ELS4_3ELNS0_20block_scan_algorithmE0ELj4294967295EEENS1_25partition_config_selectorILNS1_17partition_subalgoE3EjNS0_10empty_typeEbEEZZNS1_14partition_implILS8_3ELb0ES6_jNS0_17counting_iteratorIjlEEPS9_SE_NS0_5tupleIJPjSE_EEENSF_IJSE_SE_EEES9_SG_JZNS1_25segmented_radix_sort_implINS0_14default_configELb1EPKbPbPKlPlN2at6native12_GLOBAL__N_18offset_tEEE10hipError_tPvRmT1_PNSt15iterator_traitsISY_E10value_typeET2_T3_PNSZ_IS14_E10value_typeET4_jRbjT5_S1A_jjP12ihipStream_tbEUljE_EEESV_SW_SX_S14_S18_S1A_T6_T7_T9_mT8_S1C_bDpT10_ENKUlT_T0_E_clISt17integral_constantIbLb0EES1O_IbLb1EEEEDaS1K_S1L_EUlS1K_E_NS1_11comp_targetILNS1_3genE5ELNS1_11target_archE942ELNS1_3gpuE9ELNS1_3repE0EEENS1_30default_config_static_selectorELNS0_4arch9wavefront6targetE1EEEvSY_: ; @_ZN7rocprim17ROCPRIM_400000_NS6detail17trampoline_kernelINS0_13select_configILj256ELj13ELNS0_17block_load_methodE3ELS4_3ELS4_3ELNS0_20block_scan_algorithmE0ELj4294967295EEENS1_25partition_config_selectorILNS1_17partition_subalgoE3EjNS0_10empty_typeEbEEZZNS1_14partition_implILS8_3ELb0ES6_jNS0_17counting_iteratorIjlEEPS9_SE_NS0_5tupleIJPjSE_EEENSF_IJSE_SE_EEES9_SG_JZNS1_25segmented_radix_sort_implINS0_14default_configELb1EPKbPbPKlPlN2at6native12_GLOBAL__N_18offset_tEEE10hipError_tPvRmT1_PNSt15iterator_traitsISY_E10value_typeET2_T3_PNSZ_IS14_E10value_typeET4_jRbjT5_S1A_jjP12ihipStream_tbEUljE_EEESV_SW_SX_S14_S18_S1A_T6_T7_T9_mT8_S1C_bDpT10_ENKUlT_T0_E_clISt17integral_constantIbLb0EES1O_IbLb1EEEEDaS1K_S1L_EUlS1K_E_NS1_11comp_targetILNS1_3genE5ELNS1_11target_archE942ELNS1_3gpuE9ELNS1_3repE0EEENS1_30default_config_static_selectorELNS0_4arch9wavefront6targetE1EEEvSY_
; %bb.0:
	.section	.rodata,"a",@progbits
	.p2align	6, 0x0
	.amdhsa_kernel _ZN7rocprim17ROCPRIM_400000_NS6detail17trampoline_kernelINS0_13select_configILj256ELj13ELNS0_17block_load_methodE3ELS4_3ELS4_3ELNS0_20block_scan_algorithmE0ELj4294967295EEENS1_25partition_config_selectorILNS1_17partition_subalgoE3EjNS0_10empty_typeEbEEZZNS1_14partition_implILS8_3ELb0ES6_jNS0_17counting_iteratorIjlEEPS9_SE_NS0_5tupleIJPjSE_EEENSF_IJSE_SE_EEES9_SG_JZNS1_25segmented_radix_sort_implINS0_14default_configELb1EPKbPbPKlPlN2at6native12_GLOBAL__N_18offset_tEEE10hipError_tPvRmT1_PNSt15iterator_traitsISY_E10value_typeET2_T3_PNSZ_IS14_E10value_typeET4_jRbjT5_S1A_jjP12ihipStream_tbEUljE_EEESV_SW_SX_S14_S18_S1A_T6_T7_T9_mT8_S1C_bDpT10_ENKUlT_T0_E_clISt17integral_constantIbLb0EES1O_IbLb1EEEEDaS1K_S1L_EUlS1K_E_NS1_11comp_targetILNS1_3genE5ELNS1_11target_archE942ELNS1_3gpuE9ELNS1_3repE0EEENS1_30default_config_static_selectorELNS0_4arch9wavefront6targetE1EEEvSY_
		.amdhsa_group_segment_fixed_size 0
		.amdhsa_private_segment_fixed_size 0
		.amdhsa_kernarg_size 152
		.amdhsa_user_sgpr_count 6
		.amdhsa_user_sgpr_private_segment_buffer 1
		.amdhsa_user_sgpr_dispatch_ptr 0
		.amdhsa_user_sgpr_queue_ptr 0
		.amdhsa_user_sgpr_kernarg_segment_ptr 1
		.amdhsa_user_sgpr_dispatch_id 0
		.amdhsa_user_sgpr_flat_scratch_init 0
		.amdhsa_user_sgpr_private_segment_size 0
		.amdhsa_uses_dynamic_stack 0
		.amdhsa_system_sgpr_private_segment_wavefront_offset 0
		.amdhsa_system_sgpr_workgroup_id_x 1
		.amdhsa_system_sgpr_workgroup_id_y 0
		.amdhsa_system_sgpr_workgroup_id_z 0
		.amdhsa_system_sgpr_workgroup_info 0
		.amdhsa_system_vgpr_workitem_id 0
		.amdhsa_next_free_vgpr 1
		.amdhsa_next_free_sgpr 0
		.amdhsa_reserve_vcc 0
		.amdhsa_reserve_flat_scratch 0
		.amdhsa_float_round_mode_32 0
		.amdhsa_float_round_mode_16_64 0
		.amdhsa_float_denorm_mode_32 3
		.amdhsa_float_denorm_mode_16_64 3
		.amdhsa_dx10_clamp 1
		.amdhsa_ieee_mode 1
		.amdhsa_fp16_overflow 0
		.amdhsa_exception_fp_ieee_invalid_op 0
		.amdhsa_exception_fp_denorm_src 0
		.amdhsa_exception_fp_ieee_div_zero 0
		.amdhsa_exception_fp_ieee_overflow 0
		.amdhsa_exception_fp_ieee_underflow 0
		.amdhsa_exception_fp_ieee_inexact 0
		.amdhsa_exception_int_div_zero 0
	.end_amdhsa_kernel
	.section	.text._ZN7rocprim17ROCPRIM_400000_NS6detail17trampoline_kernelINS0_13select_configILj256ELj13ELNS0_17block_load_methodE3ELS4_3ELS4_3ELNS0_20block_scan_algorithmE0ELj4294967295EEENS1_25partition_config_selectorILNS1_17partition_subalgoE3EjNS0_10empty_typeEbEEZZNS1_14partition_implILS8_3ELb0ES6_jNS0_17counting_iteratorIjlEEPS9_SE_NS0_5tupleIJPjSE_EEENSF_IJSE_SE_EEES9_SG_JZNS1_25segmented_radix_sort_implINS0_14default_configELb1EPKbPbPKlPlN2at6native12_GLOBAL__N_18offset_tEEE10hipError_tPvRmT1_PNSt15iterator_traitsISY_E10value_typeET2_T3_PNSZ_IS14_E10value_typeET4_jRbjT5_S1A_jjP12ihipStream_tbEUljE_EEESV_SW_SX_S14_S18_S1A_T6_T7_T9_mT8_S1C_bDpT10_ENKUlT_T0_E_clISt17integral_constantIbLb0EES1O_IbLb1EEEEDaS1K_S1L_EUlS1K_E_NS1_11comp_targetILNS1_3genE5ELNS1_11target_archE942ELNS1_3gpuE9ELNS1_3repE0EEENS1_30default_config_static_selectorELNS0_4arch9wavefront6targetE1EEEvSY_,"axG",@progbits,_ZN7rocprim17ROCPRIM_400000_NS6detail17trampoline_kernelINS0_13select_configILj256ELj13ELNS0_17block_load_methodE3ELS4_3ELS4_3ELNS0_20block_scan_algorithmE0ELj4294967295EEENS1_25partition_config_selectorILNS1_17partition_subalgoE3EjNS0_10empty_typeEbEEZZNS1_14partition_implILS8_3ELb0ES6_jNS0_17counting_iteratorIjlEEPS9_SE_NS0_5tupleIJPjSE_EEENSF_IJSE_SE_EEES9_SG_JZNS1_25segmented_radix_sort_implINS0_14default_configELb1EPKbPbPKlPlN2at6native12_GLOBAL__N_18offset_tEEE10hipError_tPvRmT1_PNSt15iterator_traitsISY_E10value_typeET2_T3_PNSZ_IS14_E10value_typeET4_jRbjT5_S1A_jjP12ihipStream_tbEUljE_EEESV_SW_SX_S14_S18_S1A_T6_T7_T9_mT8_S1C_bDpT10_ENKUlT_T0_E_clISt17integral_constantIbLb0EES1O_IbLb1EEEEDaS1K_S1L_EUlS1K_E_NS1_11comp_targetILNS1_3genE5ELNS1_11target_archE942ELNS1_3gpuE9ELNS1_3repE0EEENS1_30default_config_static_selectorELNS0_4arch9wavefront6targetE1EEEvSY_,comdat
.Lfunc_end1525:
	.size	_ZN7rocprim17ROCPRIM_400000_NS6detail17trampoline_kernelINS0_13select_configILj256ELj13ELNS0_17block_load_methodE3ELS4_3ELS4_3ELNS0_20block_scan_algorithmE0ELj4294967295EEENS1_25partition_config_selectorILNS1_17partition_subalgoE3EjNS0_10empty_typeEbEEZZNS1_14partition_implILS8_3ELb0ES6_jNS0_17counting_iteratorIjlEEPS9_SE_NS0_5tupleIJPjSE_EEENSF_IJSE_SE_EEES9_SG_JZNS1_25segmented_radix_sort_implINS0_14default_configELb1EPKbPbPKlPlN2at6native12_GLOBAL__N_18offset_tEEE10hipError_tPvRmT1_PNSt15iterator_traitsISY_E10value_typeET2_T3_PNSZ_IS14_E10value_typeET4_jRbjT5_S1A_jjP12ihipStream_tbEUljE_EEESV_SW_SX_S14_S18_S1A_T6_T7_T9_mT8_S1C_bDpT10_ENKUlT_T0_E_clISt17integral_constantIbLb0EES1O_IbLb1EEEEDaS1K_S1L_EUlS1K_E_NS1_11comp_targetILNS1_3genE5ELNS1_11target_archE942ELNS1_3gpuE9ELNS1_3repE0EEENS1_30default_config_static_selectorELNS0_4arch9wavefront6targetE1EEEvSY_, .Lfunc_end1525-_ZN7rocprim17ROCPRIM_400000_NS6detail17trampoline_kernelINS0_13select_configILj256ELj13ELNS0_17block_load_methodE3ELS4_3ELS4_3ELNS0_20block_scan_algorithmE0ELj4294967295EEENS1_25partition_config_selectorILNS1_17partition_subalgoE3EjNS0_10empty_typeEbEEZZNS1_14partition_implILS8_3ELb0ES6_jNS0_17counting_iteratorIjlEEPS9_SE_NS0_5tupleIJPjSE_EEENSF_IJSE_SE_EEES9_SG_JZNS1_25segmented_radix_sort_implINS0_14default_configELb1EPKbPbPKlPlN2at6native12_GLOBAL__N_18offset_tEEE10hipError_tPvRmT1_PNSt15iterator_traitsISY_E10value_typeET2_T3_PNSZ_IS14_E10value_typeET4_jRbjT5_S1A_jjP12ihipStream_tbEUljE_EEESV_SW_SX_S14_S18_S1A_T6_T7_T9_mT8_S1C_bDpT10_ENKUlT_T0_E_clISt17integral_constantIbLb0EES1O_IbLb1EEEEDaS1K_S1L_EUlS1K_E_NS1_11comp_targetILNS1_3genE5ELNS1_11target_archE942ELNS1_3gpuE9ELNS1_3repE0EEENS1_30default_config_static_selectorELNS0_4arch9wavefront6targetE1EEEvSY_
                                        ; -- End function
	.set _ZN7rocprim17ROCPRIM_400000_NS6detail17trampoline_kernelINS0_13select_configILj256ELj13ELNS0_17block_load_methodE3ELS4_3ELS4_3ELNS0_20block_scan_algorithmE0ELj4294967295EEENS1_25partition_config_selectorILNS1_17partition_subalgoE3EjNS0_10empty_typeEbEEZZNS1_14partition_implILS8_3ELb0ES6_jNS0_17counting_iteratorIjlEEPS9_SE_NS0_5tupleIJPjSE_EEENSF_IJSE_SE_EEES9_SG_JZNS1_25segmented_radix_sort_implINS0_14default_configELb1EPKbPbPKlPlN2at6native12_GLOBAL__N_18offset_tEEE10hipError_tPvRmT1_PNSt15iterator_traitsISY_E10value_typeET2_T3_PNSZ_IS14_E10value_typeET4_jRbjT5_S1A_jjP12ihipStream_tbEUljE_EEESV_SW_SX_S14_S18_S1A_T6_T7_T9_mT8_S1C_bDpT10_ENKUlT_T0_E_clISt17integral_constantIbLb0EES1O_IbLb1EEEEDaS1K_S1L_EUlS1K_E_NS1_11comp_targetILNS1_3genE5ELNS1_11target_archE942ELNS1_3gpuE9ELNS1_3repE0EEENS1_30default_config_static_selectorELNS0_4arch9wavefront6targetE1EEEvSY_.num_vgpr, 0
	.set _ZN7rocprim17ROCPRIM_400000_NS6detail17trampoline_kernelINS0_13select_configILj256ELj13ELNS0_17block_load_methodE3ELS4_3ELS4_3ELNS0_20block_scan_algorithmE0ELj4294967295EEENS1_25partition_config_selectorILNS1_17partition_subalgoE3EjNS0_10empty_typeEbEEZZNS1_14partition_implILS8_3ELb0ES6_jNS0_17counting_iteratorIjlEEPS9_SE_NS0_5tupleIJPjSE_EEENSF_IJSE_SE_EEES9_SG_JZNS1_25segmented_radix_sort_implINS0_14default_configELb1EPKbPbPKlPlN2at6native12_GLOBAL__N_18offset_tEEE10hipError_tPvRmT1_PNSt15iterator_traitsISY_E10value_typeET2_T3_PNSZ_IS14_E10value_typeET4_jRbjT5_S1A_jjP12ihipStream_tbEUljE_EEESV_SW_SX_S14_S18_S1A_T6_T7_T9_mT8_S1C_bDpT10_ENKUlT_T0_E_clISt17integral_constantIbLb0EES1O_IbLb1EEEEDaS1K_S1L_EUlS1K_E_NS1_11comp_targetILNS1_3genE5ELNS1_11target_archE942ELNS1_3gpuE9ELNS1_3repE0EEENS1_30default_config_static_selectorELNS0_4arch9wavefront6targetE1EEEvSY_.num_agpr, 0
	.set _ZN7rocprim17ROCPRIM_400000_NS6detail17trampoline_kernelINS0_13select_configILj256ELj13ELNS0_17block_load_methodE3ELS4_3ELS4_3ELNS0_20block_scan_algorithmE0ELj4294967295EEENS1_25partition_config_selectorILNS1_17partition_subalgoE3EjNS0_10empty_typeEbEEZZNS1_14partition_implILS8_3ELb0ES6_jNS0_17counting_iteratorIjlEEPS9_SE_NS0_5tupleIJPjSE_EEENSF_IJSE_SE_EEES9_SG_JZNS1_25segmented_radix_sort_implINS0_14default_configELb1EPKbPbPKlPlN2at6native12_GLOBAL__N_18offset_tEEE10hipError_tPvRmT1_PNSt15iterator_traitsISY_E10value_typeET2_T3_PNSZ_IS14_E10value_typeET4_jRbjT5_S1A_jjP12ihipStream_tbEUljE_EEESV_SW_SX_S14_S18_S1A_T6_T7_T9_mT8_S1C_bDpT10_ENKUlT_T0_E_clISt17integral_constantIbLb0EES1O_IbLb1EEEEDaS1K_S1L_EUlS1K_E_NS1_11comp_targetILNS1_3genE5ELNS1_11target_archE942ELNS1_3gpuE9ELNS1_3repE0EEENS1_30default_config_static_selectorELNS0_4arch9wavefront6targetE1EEEvSY_.numbered_sgpr, 0
	.set _ZN7rocprim17ROCPRIM_400000_NS6detail17trampoline_kernelINS0_13select_configILj256ELj13ELNS0_17block_load_methodE3ELS4_3ELS4_3ELNS0_20block_scan_algorithmE0ELj4294967295EEENS1_25partition_config_selectorILNS1_17partition_subalgoE3EjNS0_10empty_typeEbEEZZNS1_14partition_implILS8_3ELb0ES6_jNS0_17counting_iteratorIjlEEPS9_SE_NS0_5tupleIJPjSE_EEENSF_IJSE_SE_EEES9_SG_JZNS1_25segmented_radix_sort_implINS0_14default_configELb1EPKbPbPKlPlN2at6native12_GLOBAL__N_18offset_tEEE10hipError_tPvRmT1_PNSt15iterator_traitsISY_E10value_typeET2_T3_PNSZ_IS14_E10value_typeET4_jRbjT5_S1A_jjP12ihipStream_tbEUljE_EEESV_SW_SX_S14_S18_S1A_T6_T7_T9_mT8_S1C_bDpT10_ENKUlT_T0_E_clISt17integral_constantIbLb0EES1O_IbLb1EEEEDaS1K_S1L_EUlS1K_E_NS1_11comp_targetILNS1_3genE5ELNS1_11target_archE942ELNS1_3gpuE9ELNS1_3repE0EEENS1_30default_config_static_selectorELNS0_4arch9wavefront6targetE1EEEvSY_.num_named_barrier, 0
	.set _ZN7rocprim17ROCPRIM_400000_NS6detail17trampoline_kernelINS0_13select_configILj256ELj13ELNS0_17block_load_methodE3ELS4_3ELS4_3ELNS0_20block_scan_algorithmE0ELj4294967295EEENS1_25partition_config_selectorILNS1_17partition_subalgoE3EjNS0_10empty_typeEbEEZZNS1_14partition_implILS8_3ELb0ES6_jNS0_17counting_iteratorIjlEEPS9_SE_NS0_5tupleIJPjSE_EEENSF_IJSE_SE_EEES9_SG_JZNS1_25segmented_radix_sort_implINS0_14default_configELb1EPKbPbPKlPlN2at6native12_GLOBAL__N_18offset_tEEE10hipError_tPvRmT1_PNSt15iterator_traitsISY_E10value_typeET2_T3_PNSZ_IS14_E10value_typeET4_jRbjT5_S1A_jjP12ihipStream_tbEUljE_EEESV_SW_SX_S14_S18_S1A_T6_T7_T9_mT8_S1C_bDpT10_ENKUlT_T0_E_clISt17integral_constantIbLb0EES1O_IbLb1EEEEDaS1K_S1L_EUlS1K_E_NS1_11comp_targetILNS1_3genE5ELNS1_11target_archE942ELNS1_3gpuE9ELNS1_3repE0EEENS1_30default_config_static_selectorELNS0_4arch9wavefront6targetE1EEEvSY_.private_seg_size, 0
	.set _ZN7rocprim17ROCPRIM_400000_NS6detail17trampoline_kernelINS0_13select_configILj256ELj13ELNS0_17block_load_methodE3ELS4_3ELS4_3ELNS0_20block_scan_algorithmE0ELj4294967295EEENS1_25partition_config_selectorILNS1_17partition_subalgoE3EjNS0_10empty_typeEbEEZZNS1_14partition_implILS8_3ELb0ES6_jNS0_17counting_iteratorIjlEEPS9_SE_NS0_5tupleIJPjSE_EEENSF_IJSE_SE_EEES9_SG_JZNS1_25segmented_radix_sort_implINS0_14default_configELb1EPKbPbPKlPlN2at6native12_GLOBAL__N_18offset_tEEE10hipError_tPvRmT1_PNSt15iterator_traitsISY_E10value_typeET2_T3_PNSZ_IS14_E10value_typeET4_jRbjT5_S1A_jjP12ihipStream_tbEUljE_EEESV_SW_SX_S14_S18_S1A_T6_T7_T9_mT8_S1C_bDpT10_ENKUlT_T0_E_clISt17integral_constantIbLb0EES1O_IbLb1EEEEDaS1K_S1L_EUlS1K_E_NS1_11comp_targetILNS1_3genE5ELNS1_11target_archE942ELNS1_3gpuE9ELNS1_3repE0EEENS1_30default_config_static_selectorELNS0_4arch9wavefront6targetE1EEEvSY_.uses_vcc, 0
	.set _ZN7rocprim17ROCPRIM_400000_NS6detail17trampoline_kernelINS0_13select_configILj256ELj13ELNS0_17block_load_methodE3ELS4_3ELS4_3ELNS0_20block_scan_algorithmE0ELj4294967295EEENS1_25partition_config_selectorILNS1_17partition_subalgoE3EjNS0_10empty_typeEbEEZZNS1_14partition_implILS8_3ELb0ES6_jNS0_17counting_iteratorIjlEEPS9_SE_NS0_5tupleIJPjSE_EEENSF_IJSE_SE_EEES9_SG_JZNS1_25segmented_radix_sort_implINS0_14default_configELb1EPKbPbPKlPlN2at6native12_GLOBAL__N_18offset_tEEE10hipError_tPvRmT1_PNSt15iterator_traitsISY_E10value_typeET2_T3_PNSZ_IS14_E10value_typeET4_jRbjT5_S1A_jjP12ihipStream_tbEUljE_EEESV_SW_SX_S14_S18_S1A_T6_T7_T9_mT8_S1C_bDpT10_ENKUlT_T0_E_clISt17integral_constantIbLb0EES1O_IbLb1EEEEDaS1K_S1L_EUlS1K_E_NS1_11comp_targetILNS1_3genE5ELNS1_11target_archE942ELNS1_3gpuE9ELNS1_3repE0EEENS1_30default_config_static_selectorELNS0_4arch9wavefront6targetE1EEEvSY_.uses_flat_scratch, 0
	.set _ZN7rocprim17ROCPRIM_400000_NS6detail17trampoline_kernelINS0_13select_configILj256ELj13ELNS0_17block_load_methodE3ELS4_3ELS4_3ELNS0_20block_scan_algorithmE0ELj4294967295EEENS1_25partition_config_selectorILNS1_17partition_subalgoE3EjNS0_10empty_typeEbEEZZNS1_14partition_implILS8_3ELb0ES6_jNS0_17counting_iteratorIjlEEPS9_SE_NS0_5tupleIJPjSE_EEENSF_IJSE_SE_EEES9_SG_JZNS1_25segmented_radix_sort_implINS0_14default_configELb1EPKbPbPKlPlN2at6native12_GLOBAL__N_18offset_tEEE10hipError_tPvRmT1_PNSt15iterator_traitsISY_E10value_typeET2_T3_PNSZ_IS14_E10value_typeET4_jRbjT5_S1A_jjP12ihipStream_tbEUljE_EEESV_SW_SX_S14_S18_S1A_T6_T7_T9_mT8_S1C_bDpT10_ENKUlT_T0_E_clISt17integral_constantIbLb0EES1O_IbLb1EEEEDaS1K_S1L_EUlS1K_E_NS1_11comp_targetILNS1_3genE5ELNS1_11target_archE942ELNS1_3gpuE9ELNS1_3repE0EEENS1_30default_config_static_selectorELNS0_4arch9wavefront6targetE1EEEvSY_.has_dyn_sized_stack, 0
	.set _ZN7rocprim17ROCPRIM_400000_NS6detail17trampoline_kernelINS0_13select_configILj256ELj13ELNS0_17block_load_methodE3ELS4_3ELS4_3ELNS0_20block_scan_algorithmE0ELj4294967295EEENS1_25partition_config_selectorILNS1_17partition_subalgoE3EjNS0_10empty_typeEbEEZZNS1_14partition_implILS8_3ELb0ES6_jNS0_17counting_iteratorIjlEEPS9_SE_NS0_5tupleIJPjSE_EEENSF_IJSE_SE_EEES9_SG_JZNS1_25segmented_radix_sort_implINS0_14default_configELb1EPKbPbPKlPlN2at6native12_GLOBAL__N_18offset_tEEE10hipError_tPvRmT1_PNSt15iterator_traitsISY_E10value_typeET2_T3_PNSZ_IS14_E10value_typeET4_jRbjT5_S1A_jjP12ihipStream_tbEUljE_EEESV_SW_SX_S14_S18_S1A_T6_T7_T9_mT8_S1C_bDpT10_ENKUlT_T0_E_clISt17integral_constantIbLb0EES1O_IbLb1EEEEDaS1K_S1L_EUlS1K_E_NS1_11comp_targetILNS1_3genE5ELNS1_11target_archE942ELNS1_3gpuE9ELNS1_3repE0EEENS1_30default_config_static_selectorELNS0_4arch9wavefront6targetE1EEEvSY_.has_recursion, 0
	.set _ZN7rocprim17ROCPRIM_400000_NS6detail17trampoline_kernelINS0_13select_configILj256ELj13ELNS0_17block_load_methodE3ELS4_3ELS4_3ELNS0_20block_scan_algorithmE0ELj4294967295EEENS1_25partition_config_selectorILNS1_17partition_subalgoE3EjNS0_10empty_typeEbEEZZNS1_14partition_implILS8_3ELb0ES6_jNS0_17counting_iteratorIjlEEPS9_SE_NS0_5tupleIJPjSE_EEENSF_IJSE_SE_EEES9_SG_JZNS1_25segmented_radix_sort_implINS0_14default_configELb1EPKbPbPKlPlN2at6native12_GLOBAL__N_18offset_tEEE10hipError_tPvRmT1_PNSt15iterator_traitsISY_E10value_typeET2_T3_PNSZ_IS14_E10value_typeET4_jRbjT5_S1A_jjP12ihipStream_tbEUljE_EEESV_SW_SX_S14_S18_S1A_T6_T7_T9_mT8_S1C_bDpT10_ENKUlT_T0_E_clISt17integral_constantIbLb0EES1O_IbLb1EEEEDaS1K_S1L_EUlS1K_E_NS1_11comp_targetILNS1_3genE5ELNS1_11target_archE942ELNS1_3gpuE9ELNS1_3repE0EEENS1_30default_config_static_selectorELNS0_4arch9wavefront6targetE1EEEvSY_.has_indirect_call, 0
	.section	.AMDGPU.csdata,"",@progbits
; Kernel info:
; codeLenInByte = 0
; TotalNumSgprs: 4
; NumVgprs: 0
; ScratchSize: 0
; MemoryBound: 0
; FloatMode: 240
; IeeeMode: 1
; LDSByteSize: 0 bytes/workgroup (compile time only)
; SGPRBlocks: 0
; VGPRBlocks: 0
; NumSGPRsForWavesPerEU: 4
; NumVGPRsForWavesPerEU: 1
; Occupancy: 10
; WaveLimiterHint : 0
; COMPUTE_PGM_RSRC2:SCRATCH_EN: 0
; COMPUTE_PGM_RSRC2:USER_SGPR: 6
; COMPUTE_PGM_RSRC2:TRAP_HANDLER: 0
; COMPUTE_PGM_RSRC2:TGID_X_EN: 1
; COMPUTE_PGM_RSRC2:TGID_Y_EN: 0
; COMPUTE_PGM_RSRC2:TGID_Z_EN: 0
; COMPUTE_PGM_RSRC2:TIDIG_COMP_CNT: 0
	.section	.text._ZN7rocprim17ROCPRIM_400000_NS6detail17trampoline_kernelINS0_13select_configILj256ELj13ELNS0_17block_load_methodE3ELS4_3ELS4_3ELNS0_20block_scan_algorithmE0ELj4294967295EEENS1_25partition_config_selectorILNS1_17partition_subalgoE3EjNS0_10empty_typeEbEEZZNS1_14partition_implILS8_3ELb0ES6_jNS0_17counting_iteratorIjlEEPS9_SE_NS0_5tupleIJPjSE_EEENSF_IJSE_SE_EEES9_SG_JZNS1_25segmented_radix_sort_implINS0_14default_configELb1EPKbPbPKlPlN2at6native12_GLOBAL__N_18offset_tEEE10hipError_tPvRmT1_PNSt15iterator_traitsISY_E10value_typeET2_T3_PNSZ_IS14_E10value_typeET4_jRbjT5_S1A_jjP12ihipStream_tbEUljE_EEESV_SW_SX_S14_S18_S1A_T6_T7_T9_mT8_S1C_bDpT10_ENKUlT_T0_E_clISt17integral_constantIbLb0EES1O_IbLb1EEEEDaS1K_S1L_EUlS1K_E_NS1_11comp_targetILNS1_3genE4ELNS1_11target_archE910ELNS1_3gpuE8ELNS1_3repE0EEENS1_30default_config_static_selectorELNS0_4arch9wavefront6targetE1EEEvSY_,"axG",@progbits,_ZN7rocprim17ROCPRIM_400000_NS6detail17trampoline_kernelINS0_13select_configILj256ELj13ELNS0_17block_load_methodE3ELS4_3ELS4_3ELNS0_20block_scan_algorithmE0ELj4294967295EEENS1_25partition_config_selectorILNS1_17partition_subalgoE3EjNS0_10empty_typeEbEEZZNS1_14partition_implILS8_3ELb0ES6_jNS0_17counting_iteratorIjlEEPS9_SE_NS0_5tupleIJPjSE_EEENSF_IJSE_SE_EEES9_SG_JZNS1_25segmented_radix_sort_implINS0_14default_configELb1EPKbPbPKlPlN2at6native12_GLOBAL__N_18offset_tEEE10hipError_tPvRmT1_PNSt15iterator_traitsISY_E10value_typeET2_T3_PNSZ_IS14_E10value_typeET4_jRbjT5_S1A_jjP12ihipStream_tbEUljE_EEESV_SW_SX_S14_S18_S1A_T6_T7_T9_mT8_S1C_bDpT10_ENKUlT_T0_E_clISt17integral_constantIbLb0EES1O_IbLb1EEEEDaS1K_S1L_EUlS1K_E_NS1_11comp_targetILNS1_3genE4ELNS1_11target_archE910ELNS1_3gpuE8ELNS1_3repE0EEENS1_30default_config_static_selectorELNS0_4arch9wavefront6targetE1EEEvSY_,comdat
	.globl	_ZN7rocprim17ROCPRIM_400000_NS6detail17trampoline_kernelINS0_13select_configILj256ELj13ELNS0_17block_load_methodE3ELS4_3ELS4_3ELNS0_20block_scan_algorithmE0ELj4294967295EEENS1_25partition_config_selectorILNS1_17partition_subalgoE3EjNS0_10empty_typeEbEEZZNS1_14partition_implILS8_3ELb0ES6_jNS0_17counting_iteratorIjlEEPS9_SE_NS0_5tupleIJPjSE_EEENSF_IJSE_SE_EEES9_SG_JZNS1_25segmented_radix_sort_implINS0_14default_configELb1EPKbPbPKlPlN2at6native12_GLOBAL__N_18offset_tEEE10hipError_tPvRmT1_PNSt15iterator_traitsISY_E10value_typeET2_T3_PNSZ_IS14_E10value_typeET4_jRbjT5_S1A_jjP12ihipStream_tbEUljE_EEESV_SW_SX_S14_S18_S1A_T6_T7_T9_mT8_S1C_bDpT10_ENKUlT_T0_E_clISt17integral_constantIbLb0EES1O_IbLb1EEEEDaS1K_S1L_EUlS1K_E_NS1_11comp_targetILNS1_3genE4ELNS1_11target_archE910ELNS1_3gpuE8ELNS1_3repE0EEENS1_30default_config_static_selectorELNS0_4arch9wavefront6targetE1EEEvSY_ ; -- Begin function _ZN7rocprim17ROCPRIM_400000_NS6detail17trampoline_kernelINS0_13select_configILj256ELj13ELNS0_17block_load_methodE3ELS4_3ELS4_3ELNS0_20block_scan_algorithmE0ELj4294967295EEENS1_25partition_config_selectorILNS1_17partition_subalgoE3EjNS0_10empty_typeEbEEZZNS1_14partition_implILS8_3ELb0ES6_jNS0_17counting_iteratorIjlEEPS9_SE_NS0_5tupleIJPjSE_EEENSF_IJSE_SE_EEES9_SG_JZNS1_25segmented_radix_sort_implINS0_14default_configELb1EPKbPbPKlPlN2at6native12_GLOBAL__N_18offset_tEEE10hipError_tPvRmT1_PNSt15iterator_traitsISY_E10value_typeET2_T3_PNSZ_IS14_E10value_typeET4_jRbjT5_S1A_jjP12ihipStream_tbEUljE_EEESV_SW_SX_S14_S18_S1A_T6_T7_T9_mT8_S1C_bDpT10_ENKUlT_T0_E_clISt17integral_constantIbLb0EES1O_IbLb1EEEEDaS1K_S1L_EUlS1K_E_NS1_11comp_targetILNS1_3genE4ELNS1_11target_archE910ELNS1_3gpuE8ELNS1_3repE0EEENS1_30default_config_static_selectorELNS0_4arch9wavefront6targetE1EEEvSY_
	.p2align	8
	.type	_ZN7rocprim17ROCPRIM_400000_NS6detail17trampoline_kernelINS0_13select_configILj256ELj13ELNS0_17block_load_methodE3ELS4_3ELS4_3ELNS0_20block_scan_algorithmE0ELj4294967295EEENS1_25partition_config_selectorILNS1_17partition_subalgoE3EjNS0_10empty_typeEbEEZZNS1_14partition_implILS8_3ELb0ES6_jNS0_17counting_iteratorIjlEEPS9_SE_NS0_5tupleIJPjSE_EEENSF_IJSE_SE_EEES9_SG_JZNS1_25segmented_radix_sort_implINS0_14default_configELb1EPKbPbPKlPlN2at6native12_GLOBAL__N_18offset_tEEE10hipError_tPvRmT1_PNSt15iterator_traitsISY_E10value_typeET2_T3_PNSZ_IS14_E10value_typeET4_jRbjT5_S1A_jjP12ihipStream_tbEUljE_EEESV_SW_SX_S14_S18_S1A_T6_T7_T9_mT8_S1C_bDpT10_ENKUlT_T0_E_clISt17integral_constantIbLb0EES1O_IbLb1EEEEDaS1K_S1L_EUlS1K_E_NS1_11comp_targetILNS1_3genE4ELNS1_11target_archE910ELNS1_3gpuE8ELNS1_3repE0EEENS1_30default_config_static_selectorELNS0_4arch9wavefront6targetE1EEEvSY_,@function
_ZN7rocprim17ROCPRIM_400000_NS6detail17trampoline_kernelINS0_13select_configILj256ELj13ELNS0_17block_load_methodE3ELS4_3ELS4_3ELNS0_20block_scan_algorithmE0ELj4294967295EEENS1_25partition_config_selectorILNS1_17partition_subalgoE3EjNS0_10empty_typeEbEEZZNS1_14partition_implILS8_3ELb0ES6_jNS0_17counting_iteratorIjlEEPS9_SE_NS0_5tupleIJPjSE_EEENSF_IJSE_SE_EEES9_SG_JZNS1_25segmented_radix_sort_implINS0_14default_configELb1EPKbPbPKlPlN2at6native12_GLOBAL__N_18offset_tEEE10hipError_tPvRmT1_PNSt15iterator_traitsISY_E10value_typeET2_T3_PNSZ_IS14_E10value_typeET4_jRbjT5_S1A_jjP12ihipStream_tbEUljE_EEESV_SW_SX_S14_S18_S1A_T6_T7_T9_mT8_S1C_bDpT10_ENKUlT_T0_E_clISt17integral_constantIbLb0EES1O_IbLb1EEEEDaS1K_S1L_EUlS1K_E_NS1_11comp_targetILNS1_3genE4ELNS1_11target_archE910ELNS1_3gpuE8ELNS1_3repE0EEENS1_30default_config_static_selectorELNS0_4arch9wavefront6targetE1EEEvSY_: ; @_ZN7rocprim17ROCPRIM_400000_NS6detail17trampoline_kernelINS0_13select_configILj256ELj13ELNS0_17block_load_methodE3ELS4_3ELS4_3ELNS0_20block_scan_algorithmE0ELj4294967295EEENS1_25partition_config_selectorILNS1_17partition_subalgoE3EjNS0_10empty_typeEbEEZZNS1_14partition_implILS8_3ELb0ES6_jNS0_17counting_iteratorIjlEEPS9_SE_NS0_5tupleIJPjSE_EEENSF_IJSE_SE_EEES9_SG_JZNS1_25segmented_radix_sort_implINS0_14default_configELb1EPKbPbPKlPlN2at6native12_GLOBAL__N_18offset_tEEE10hipError_tPvRmT1_PNSt15iterator_traitsISY_E10value_typeET2_T3_PNSZ_IS14_E10value_typeET4_jRbjT5_S1A_jjP12ihipStream_tbEUljE_EEESV_SW_SX_S14_S18_S1A_T6_T7_T9_mT8_S1C_bDpT10_ENKUlT_T0_E_clISt17integral_constantIbLb0EES1O_IbLb1EEEEDaS1K_S1L_EUlS1K_E_NS1_11comp_targetILNS1_3genE4ELNS1_11target_archE910ELNS1_3gpuE8ELNS1_3repE0EEENS1_30default_config_static_selectorELNS0_4arch9wavefront6targetE1EEEvSY_
; %bb.0:
	.section	.rodata,"a",@progbits
	.p2align	6, 0x0
	.amdhsa_kernel _ZN7rocprim17ROCPRIM_400000_NS6detail17trampoline_kernelINS0_13select_configILj256ELj13ELNS0_17block_load_methodE3ELS4_3ELS4_3ELNS0_20block_scan_algorithmE0ELj4294967295EEENS1_25partition_config_selectorILNS1_17partition_subalgoE3EjNS0_10empty_typeEbEEZZNS1_14partition_implILS8_3ELb0ES6_jNS0_17counting_iteratorIjlEEPS9_SE_NS0_5tupleIJPjSE_EEENSF_IJSE_SE_EEES9_SG_JZNS1_25segmented_radix_sort_implINS0_14default_configELb1EPKbPbPKlPlN2at6native12_GLOBAL__N_18offset_tEEE10hipError_tPvRmT1_PNSt15iterator_traitsISY_E10value_typeET2_T3_PNSZ_IS14_E10value_typeET4_jRbjT5_S1A_jjP12ihipStream_tbEUljE_EEESV_SW_SX_S14_S18_S1A_T6_T7_T9_mT8_S1C_bDpT10_ENKUlT_T0_E_clISt17integral_constantIbLb0EES1O_IbLb1EEEEDaS1K_S1L_EUlS1K_E_NS1_11comp_targetILNS1_3genE4ELNS1_11target_archE910ELNS1_3gpuE8ELNS1_3repE0EEENS1_30default_config_static_selectorELNS0_4arch9wavefront6targetE1EEEvSY_
		.amdhsa_group_segment_fixed_size 0
		.amdhsa_private_segment_fixed_size 0
		.amdhsa_kernarg_size 152
		.amdhsa_user_sgpr_count 6
		.amdhsa_user_sgpr_private_segment_buffer 1
		.amdhsa_user_sgpr_dispatch_ptr 0
		.amdhsa_user_sgpr_queue_ptr 0
		.amdhsa_user_sgpr_kernarg_segment_ptr 1
		.amdhsa_user_sgpr_dispatch_id 0
		.amdhsa_user_sgpr_flat_scratch_init 0
		.amdhsa_user_sgpr_private_segment_size 0
		.amdhsa_uses_dynamic_stack 0
		.amdhsa_system_sgpr_private_segment_wavefront_offset 0
		.amdhsa_system_sgpr_workgroup_id_x 1
		.amdhsa_system_sgpr_workgroup_id_y 0
		.amdhsa_system_sgpr_workgroup_id_z 0
		.amdhsa_system_sgpr_workgroup_info 0
		.amdhsa_system_vgpr_workitem_id 0
		.amdhsa_next_free_vgpr 1
		.amdhsa_next_free_sgpr 0
		.amdhsa_reserve_vcc 0
		.amdhsa_reserve_flat_scratch 0
		.amdhsa_float_round_mode_32 0
		.amdhsa_float_round_mode_16_64 0
		.amdhsa_float_denorm_mode_32 3
		.amdhsa_float_denorm_mode_16_64 3
		.amdhsa_dx10_clamp 1
		.amdhsa_ieee_mode 1
		.amdhsa_fp16_overflow 0
		.amdhsa_exception_fp_ieee_invalid_op 0
		.amdhsa_exception_fp_denorm_src 0
		.amdhsa_exception_fp_ieee_div_zero 0
		.amdhsa_exception_fp_ieee_overflow 0
		.amdhsa_exception_fp_ieee_underflow 0
		.amdhsa_exception_fp_ieee_inexact 0
		.amdhsa_exception_int_div_zero 0
	.end_amdhsa_kernel
	.section	.text._ZN7rocprim17ROCPRIM_400000_NS6detail17trampoline_kernelINS0_13select_configILj256ELj13ELNS0_17block_load_methodE3ELS4_3ELS4_3ELNS0_20block_scan_algorithmE0ELj4294967295EEENS1_25partition_config_selectorILNS1_17partition_subalgoE3EjNS0_10empty_typeEbEEZZNS1_14partition_implILS8_3ELb0ES6_jNS0_17counting_iteratorIjlEEPS9_SE_NS0_5tupleIJPjSE_EEENSF_IJSE_SE_EEES9_SG_JZNS1_25segmented_radix_sort_implINS0_14default_configELb1EPKbPbPKlPlN2at6native12_GLOBAL__N_18offset_tEEE10hipError_tPvRmT1_PNSt15iterator_traitsISY_E10value_typeET2_T3_PNSZ_IS14_E10value_typeET4_jRbjT5_S1A_jjP12ihipStream_tbEUljE_EEESV_SW_SX_S14_S18_S1A_T6_T7_T9_mT8_S1C_bDpT10_ENKUlT_T0_E_clISt17integral_constantIbLb0EES1O_IbLb1EEEEDaS1K_S1L_EUlS1K_E_NS1_11comp_targetILNS1_3genE4ELNS1_11target_archE910ELNS1_3gpuE8ELNS1_3repE0EEENS1_30default_config_static_selectorELNS0_4arch9wavefront6targetE1EEEvSY_,"axG",@progbits,_ZN7rocprim17ROCPRIM_400000_NS6detail17trampoline_kernelINS0_13select_configILj256ELj13ELNS0_17block_load_methodE3ELS4_3ELS4_3ELNS0_20block_scan_algorithmE0ELj4294967295EEENS1_25partition_config_selectorILNS1_17partition_subalgoE3EjNS0_10empty_typeEbEEZZNS1_14partition_implILS8_3ELb0ES6_jNS0_17counting_iteratorIjlEEPS9_SE_NS0_5tupleIJPjSE_EEENSF_IJSE_SE_EEES9_SG_JZNS1_25segmented_radix_sort_implINS0_14default_configELb1EPKbPbPKlPlN2at6native12_GLOBAL__N_18offset_tEEE10hipError_tPvRmT1_PNSt15iterator_traitsISY_E10value_typeET2_T3_PNSZ_IS14_E10value_typeET4_jRbjT5_S1A_jjP12ihipStream_tbEUljE_EEESV_SW_SX_S14_S18_S1A_T6_T7_T9_mT8_S1C_bDpT10_ENKUlT_T0_E_clISt17integral_constantIbLb0EES1O_IbLb1EEEEDaS1K_S1L_EUlS1K_E_NS1_11comp_targetILNS1_3genE4ELNS1_11target_archE910ELNS1_3gpuE8ELNS1_3repE0EEENS1_30default_config_static_selectorELNS0_4arch9wavefront6targetE1EEEvSY_,comdat
.Lfunc_end1526:
	.size	_ZN7rocprim17ROCPRIM_400000_NS6detail17trampoline_kernelINS0_13select_configILj256ELj13ELNS0_17block_load_methodE3ELS4_3ELS4_3ELNS0_20block_scan_algorithmE0ELj4294967295EEENS1_25partition_config_selectorILNS1_17partition_subalgoE3EjNS0_10empty_typeEbEEZZNS1_14partition_implILS8_3ELb0ES6_jNS0_17counting_iteratorIjlEEPS9_SE_NS0_5tupleIJPjSE_EEENSF_IJSE_SE_EEES9_SG_JZNS1_25segmented_radix_sort_implINS0_14default_configELb1EPKbPbPKlPlN2at6native12_GLOBAL__N_18offset_tEEE10hipError_tPvRmT1_PNSt15iterator_traitsISY_E10value_typeET2_T3_PNSZ_IS14_E10value_typeET4_jRbjT5_S1A_jjP12ihipStream_tbEUljE_EEESV_SW_SX_S14_S18_S1A_T6_T7_T9_mT8_S1C_bDpT10_ENKUlT_T0_E_clISt17integral_constantIbLb0EES1O_IbLb1EEEEDaS1K_S1L_EUlS1K_E_NS1_11comp_targetILNS1_3genE4ELNS1_11target_archE910ELNS1_3gpuE8ELNS1_3repE0EEENS1_30default_config_static_selectorELNS0_4arch9wavefront6targetE1EEEvSY_, .Lfunc_end1526-_ZN7rocprim17ROCPRIM_400000_NS6detail17trampoline_kernelINS0_13select_configILj256ELj13ELNS0_17block_load_methodE3ELS4_3ELS4_3ELNS0_20block_scan_algorithmE0ELj4294967295EEENS1_25partition_config_selectorILNS1_17partition_subalgoE3EjNS0_10empty_typeEbEEZZNS1_14partition_implILS8_3ELb0ES6_jNS0_17counting_iteratorIjlEEPS9_SE_NS0_5tupleIJPjSE_EEENSF_IJSE_SE_EEES9_SG_JZNS1_25segmented_radix_sort_implINS0_14default_configELb1EPKbPbPKlPlN2at6native12_GLOBAL__N_18offset_tEEE10hipError_tPvRmT1_PNSt15iterator_traitsISY_E10value_typeET2_T3_PNSZ_IS14_E10value_typeET4_jRbjT5_S1A_jjP12ihipStream_tbEUljE_EEESV_SW_SX_S14_S18_S1A_T6_T7_T9_mT8_S1C_bDpT10_ENKUlT_T0_E_clISt17integral_constantIbLb0EES1O_IbLb1EEEEDaS1K_S1L_EUlS1K_E_NS1_11comp_targetILNS1_3genE4ELNS1_11target_archE910ELNS1_3gpuE8ELNS1_3repE0EEENS1_30default_config_static_selectorELNS0_4arch9wavefront6targetE1EEEvSY_
                                        ; -- End function
	.set _ZN7rocprim17ROCPRIM_400000_NS6detail17trampoline_kernelINS0_13select_configILj256ELj13ELNS0_17block_load_methodE3ELS4_3ELS4_3ELNS0_20block_scan_algorithmE0ELj4294967295EEENS1_25partition_config_selectorILNS1_17partition_subalgoE3EjNS0_10empty_typeEbEEZZNS1_14partition_implILS8_3ELb0ES6_jNS0_17counting_iteratorIjlEEPS9_SE_NS0_5tupleIJPjSE_EEENSF_IJSE_SE_EEES9_SG_JZNS1_25segmented_radix_sort_implINS0_14default_configELb1EPKbPbPKlPlN2at6native12_GLOBAL__N_18offset_tEEE10hipError_tPvRmT1_PNSt15iterator_traitsISY_E10value_typeET2_T3_PNSZ_IS14_E10value_typeET4_jRbjT5_S1A_jjP12ihipStream_tbEUljE_EEESV_SW_SX_S14_S18_S1A_T6_T7_T9_mT8_S1C_bDpT10_ENKUlT_T0_E_clISt17integral_constantIbLb0EES1O_IbLb1EEEEDaS1K_S1L_EUlS1K_E_NS1_11comp_targetILNS1_3genE4ELNS1_11target_archE910ELNS1_3gpuE8ELNS1_3repE0EEENS1_30default_config_static_selectorELNS0_4arch9wavefront6targetE1EEEvSY_.num_vgpr, 0
	.set _ZN7rocprim17ROCPRIM_400000_NS6detail17trampoline_kernelINS0_13select_configILj256ELj13ELNS0_17block_load_methodE3ELS4_3ELS4_3ELNS0_20block_scan_algorithmE0ELj4294967295EEENS1_25partition_config_selectorILNS1_17partition_subalgoE3EjNS0_10empty_typeEbEEZZNS1_14partition_implILS8_3ELb0ES6_jNS0_17counting_iteratorIjlEEPS9_SE_NS0_5tupleIJPjSE_EEENSF_IJSE_SE_EEES9_SG_JZNS1_25segmented_radix_sort_implINS0_14default_configELb1EPKbPbPKlPlN2at6native12_GLOBAL__N_18offset_tEEE10hipError_tPvRmT1_PNSt15iterator_traitsISY_E10value_typeET2_T3_PNSZ_IS14_E10value_typeET4_jRbjT5_S1A_jjP12ihipStream_tbEUljE_EEESV_SW_SX_S14_S18_S1A_T6_T7_T9_mT8_S1C_bDpT10_ENKUlT_T0_E_clISt17integral_constantIbLb0EES1O_IbLb1EEEEDaS1K_S1L_EUlS1K_E_NS1_11comp_targetILNS1_3genE4ELNS1_11target_archE910ELNS1_3gpuE8ELNS1_3repE0EEENS1_30default_config_static_selectorELNS0_4arch9wavefront6targetE1EEEvSY_.num_agpr, 0
	.set _ZN7rocprim17ROCPRIM_400000_NS6detail17trampoline_kernelINS0_13select_configILj256ELj13ELNS0_17block_load_methodE3ELS4_3ELS4_3ELNS0_20block_scan_algorithmE0ELj4294967295EEENS1_25partition_config_selectorILNS1_17partition_subalgoE3EjNS0_10empty_typeEbEEZZNS1_14partition_implILS8_3ELb0ES6_jNS0_17counting_iteratorIjlEEPS9_SE_NS0_5tupleIJPjSE_EEENSF_IJSE_SE_EEES9_SG_JZNS1_25segmented_radix_sort_implINS0_14default_configELb1EPKbPbPKlPlN2at6native12_GLOBAL__N_18offset_tEEE10hipError_tPvRmT1_PNSt15iterator_traitsISY_E10value_typeET2_T3_PNSZ_IS14_E10value_typeET4_jRbjT5_S1A_jjP12ihipStream_tbEUljE_EEESV_SW_SX_S14_S18_S1A_T6_T7_T9_mT8_S1C_bDpT10_ENKUlT_T0_E_clISt17integral_constantIbLb0EES1O_IbLb1EEEEDaS1K_S1L_EUlS1K_E_NS1_11comp_targetILNS1_3genE4ELNS1_11target_archE910ELNS1_3gpuE8ELNS1_3repE0EEENS1_30default_config_static_selectorELNS0_4arch9wavefront6targetE1EEEvSY_.numbered_sgpr, 0
	.set _ZN7rocprim17ROCPRIM_400000_NS6detail17trampoline_kernelINS0_13select_configILj256ELj13ELNS0_17block_load_methodE3ELS4_3ELS4_3ELNS0_20block_scan_algorithmE0ELj4294967295EEENS1_25partition_config_selectorILNS1_17partition_subalgoE3EjNS0_10empty_typeEbEEZZNS1_14partition_implILS8_3ELb0ES6_jNS0_17counting_iteratorIjlEEPS9_SE_NS0_5tupleIJPjSE_EEENSF_IJSE_SE_EEES9_SG_JZNS1_25segmented_radix_sort_implINS0_14default_configELb1EPKbPbPKlPlN2at6native12_GLOBAL__N_18offset_tEEE10hipError_tPvRmT1_PNSt15iterator_traitsISY_E10value_typeET2_T3_PNSZ_IS14_E10value_typeET4_jRbjT5_S1A_jjP12ihipStream_tbEUljE_EEESV_SW_SX_S14_S18_S1A_T6_T7_T9_mT8_S1C_bDpT10_ENKUlT_T0_E_clISt17integral_constantIbLb0EES1O_IbLb1EEEEDaS1K_S1L_EUlS1K_E_NS1_11comp_targetILNS1_3genE4ELNS1_11target_archE910ELNS1_3gpuE8ELNS1_3repE0EEENS1_30default_config_static_selectorELNS0_4arch9wavefront6targetE1EEEvSY_.num_named_barrier, 0
	.set _ZN7rocprim17ROCPRIM_400000_NS6detail17trampoline_kernelINS0_13select_configILj256ELj13ELNS0_17block_load_methodE3ELS4_3ELS4_3ELNS0_20block_scan_algorithmE0ELj4294967295EEENS1_25partition_config_selectorILNS1_17partition_subalgoE3EjNS0_10empty_typeEbEEZZNS1_14partition_implILS8_3ELb0ES6_jNS0_17counting_iteratorIjlEEPS9_SE_NS0_5tupleIJPjSE_EEENSF_IJSE_SE_EEES9_SG_JZNS1_25segmented_radix_sort_implINS0_14default_configELb1EPKbPbPKlPlN2at6native12_GLOBAL__N_18offset_tEEE10hipError_tPvRmT1_PNSt15iterator_traitsISY_E10value_typeET2_T3_PNSZ_IS14_E10value_typeET4_jRbjT5_S1A_jjP12ihipStream_tbEUljE_EEESV_SW_SX_S14_S18_S1A_T6_T7_T9_mT8_S1C_bDpT10_ENKUlT_T0_E_clISt17integral_constantIbLb0EES1O_IbLb1EEEEDaS1K_S1L_EUlS1K_E_NS1_11comp_targetILNS1_3genE4ELNS1_11target_archE910ELNS1_3gpuE8ELNS1_3repE0EEENS1_30default_config_static_selectorELNS0_4arch9wavefront6targetE1EEEvSY_.private_seg_size, 0
	.set _ZN7rocprim17ROCPRIM_400000_NS6detail17trampoline_kernelINS0_13select_configILj256ELj13ELNS0_17block_load_methodE3ELS4_3ELS4_3ELNS0_20block_scan_algorithmE0ELj4294967295EEENS1_25partition_config_selectorILNS1_17partition_subalgoE3EjNS0_10empty_typeEbEEZZNS1_14partition_implILS8_3ELb0ES6_jNS0_17counting_iteratorIjlEEPS9_SE_NS0_5tupleIJPjSE_EEENSF_IJSE_SE_EEES9_SG_JZNS1_25segmented_radix_sort_implINS0_14default_configELb1EPKbPbPKlPlN2at6native12_GLOBAL__N_18offset_tEEE10hipError_tPvRmT1_PNSt15iterator_traitsISY_E10value_typeET2_T3_PNSZ_IS14_E10value_typeET4_jRbjT5_S1A_jjP12ihipStream_tbEUljE_EEESV_SW_SX_S14_S18_S1A_T6_T7_T9_mT8_S1C_bDpT10_ENKUlT_T0_E_clISt17integral_constantIbLb0EES1O_IbLb1EEEEDaS1K_S1L_EUlS1K_E_NS1_11comp_targetILNS1_3genE4ELNS1_11target_archE910ELNS1_3gpuE8ELNS1_3repE0EEENS1_30default_config_static_selectorELNS0_4arch9wavefront6targetE1EEEvSY_.uses_vcc, 0
	.set _ZN7rocprim17ROCPRIM_400000_NS6detail17trampoline_kernelINS0_13select_configILj256ELj13ELNS0_17block_load_methodE3ELS4_3ELS4_3ELNS0_20block_scan_algorithmE0ELj4294967295EEENS1_25partition_config_selectorILNS1_17partition_subalgoE3EjNS0_10empty_typeEbEEZZNS1_14partition_implILS8_3ELb0ES6_jNS0_17counting_iteratorIjlEEPS9_SE_NS0_5tupleIJPjSE_EEENSF_IJSE_SE_EEES9_SG_JZNS1_25segmented_radix_sort_implINS0_14default_configELb1EPKbPbPKlPlN2at6native12_GLOBAL__N_18offset_tEEE10hipError_tPvRmT1_PNSt15iterator_traitsISY_E10value_typeET2_T3_PNSZ_IS14_E10value_typeET4_jRbjT5_S1A_jjP12ihipStream_tbEUljE_EEESV_SW_SX_S14_S18_S1A_T6_T7_T9_mT8_S1C_bDpT10_ENKUlT_T0_E_clISt17integral_constantIbLb0EES1O_IbLb1EEEEDaS1K_S1L_EUlS1K_E_NS1_11comp_targetILNS1_3genE4ELNS1_11target_archE910ELNS1_3gpuE8ELNS1_3repE0EEENS1_30default_config_static_selectorELNS0_4arch9wavefront6targetE1EEEvSY_.uses_flat_scratch, 0
	.set _ZN7rocprim17ROCPRIM_400000_NS6detail17trampoline_kernelINS0_13select_configILj256ELj13ELNS0_17block_load_methodE3ELS4_3ELS4_3ELNS0_20block_scan_algorithmE0ELj4294967295EEENS1_25partition_config_selectorILNS1_17partition_subalgoE3EjNS0_10empty_typeEbEEZZNS1_14partition_implILS8_3ELb0ES6_jNS0_17counting_iteratorIjlEEPS9_SE_NS0_5tupleIJPjSE_EEENSF_IJSE_SE_EEES9_SG_JZNS1_25segmented_radix_sort_implINS0_14default_configELb1EPKbPbPKlPlN2at6native12_GLOBAL__N_18offset_tEEE10hipError_tPvRmT1_PNSt15iterator_traitsISY_E10value_typeET2_T3_PNSZ_IS14_E10value_typeET4_jRbjT5_S1A_jjP12ihipStream_tbEUljE_EEESV_SW_SX_S14_S18_S1A_T6_T7_T9_mT8_S1C_bDpT10_ENKUlT_T0_E_clISt17integral_constantIbLb0EES1O_IbLb1EEEEDaS1K_S1L_EUlS1K_E_NS1_11comp_targetILNS1_3genE4ELNS1_11target_archE910ELNS1_3gpuE8ELNS1_3repE0EEENS1_30default_config_static_selectorELNS0_4arch9wavefront6targetE1EEEvSY_.has_dyn_sized_stack, 0
	.set _ZN7rocprim17ROCPRIM_400000_NS6detail17trampoline_kernelINS0_13select_configILj256ELj13ELNS0_17block_load_methodE3ELS4_3ELS4_3ELNS0_20block_scan_algorithmE0ELj4294967295EEENS1_25partition_config_selectorILNS1_17partition_subalgoE3EjNS0_10empty_typeEbEEZZNS1_14partition_implILS8_3ELb0ES6_jNS0_17counting_iteratorIjlEEPS9_SE_NS0_5tupleIJPjSE_EEENSF_IJSE_SE_EEES9_SG_JZNS1_25segmented_radix_sort_implINS0_14default_configELb1EPKbPbPKlPlN2at6native12_GLOBAL__N_18offset_tEEE10hipError_tPvRmT1_PNSt15iterator_traitsISY_E10value_typeET2_T3_PNSZ_IS14_E10value_typeET4_jRbjT5_S1A_jjP12ihipStream_tbEUljE_EEESV_SW_SX_S14_S18_S1A_T6_T7_T9_mT8_S1C_bDpT10_ENKUlT_T0_E_clISt17integral_constantIbLb0EES1O_IbLb1EEEEDaS1K_S1L_EUlS1K_E_NS1_11comp_targetILNS1_3genE4ELNS1_11target_archE910ELNS1_3gpuE8ELNS1_3repE0EEENS1_30default_config_static_selectorELNS0_4arch9wavefront6targetE1EEEvSY_.has_recursion, 0
	.set _ZN7rocprim17ROCPRIM_400000_NS6detail17trampoline_kernelINS0_13select_configILj256ELj13ELNS0_17block_load_methodE3ELS4_3ELS4_3ELNS0_20block_scan_algorithmE0ELj4294967295EEENS1_25partition_config_selectorILNS1_17partition_subalgoE3EjNS0_10empty_typeEbEEZZNS1_14partition_implILS8_3ELb0ES6_jNS0_17counting_iteratorIjlEEPS9_SE_NS0_5tupleIJPjSE_EEENSF_IJSE_SE_EEES9_SG_JZNS1_25segmented_radix_sort_implINS0_14default_configELb1EPKbPbPKlPlN2at6native12_GLOBAL__N_18offset_tEEE10hipError_tPvRmT1_PNSt15iterator_traitsISY_E10value_typeET2_T3_PNSZ_IS14_E10value_typeET4_jRbjT5_S1A_jjP12ihipStream_tbEUljE_EEESV_SW_SX_S14_S18_S1A_T6_T7_T9_mT8_S1C_bDpT10_ENKUlT_T0_E_clISt17integral_constantIbLb0EES1O_IbLb1EEEEDaS1K_S1L_EUlS1K_E_NS1_11comp_targetILNS1_3genE4ELNS1_11target_archE910ELNS1_3gpuE8ELNS1_3repE0EEENS1_30default_config_static_selectorELNS0_4arch9wavefront6targetE1EEEvSY_.has_indirect_call, 0
	.section	.AMDGPU.csdata,"",@progbits
; Kernel info:
; codeLenInByte = 0
; TotalNumSgprs: 4
; NumVgprs: 0
; ScratchSize: 0
; MemoryBound: 0
; FloatMode: 240
; IeeeMode: 1
; LDSByteSize: 0 bytes/workgroup (compile time only)
; SGPRBlocks: 0
; VGPRBlocks: 0
; NumSGPRsForWavesPerEU: 4
; NumVGPRsForWavesPerEU: 1
; Occupancy: 10
; WaveLimiterHint : 0
; COMPUTE_PGM_RSRC2:SCRATCH_EN: 0
; COMPUTE_PGM_RSRC2:USER_SGPR: 6
; COMPUTE_PGM_RSRC2:TRAP_HANDLER: 0
; COMPUTE_PGM_RSRC2:TGID_X_EN: 1
; COMPUTE_PGM_RSRC2:TGID_Y_EN: 0
; COMPUTE_PGM_RSRC2:TGID_Z_EN: 0
; COMPUTE_PGM_RSRC2:TIDIG_COMP_CNT: 0
	.section	.text._ZN7rocprim17ROCPRIM_400000_NS6detail17trampoline_kernelINS0_13select_configILj256ELj13ELNS0_17block_load_methodE3ELS4_3ELS4_3ELNS0_20block_scan_algorithmE0ELj4294967295EEENS1_25partition_config_selectorILNS1_17partition_subalgoE3EjNS0_10empty_typeEbEEZZNS1_14partition_implILS8_3ELb0ES6_jNS0_17counting_iteratorIjlEEPS9_SE_NS0_5tupleIJPjSE_EEENSF_IJSE_SE_EEES9_SG_JZNS1_25segmented_radix_sort_implINS0_14default_configELb1EPKbPbPKlPlN2at6native12_GLOBAL__N_18offset_tEEE10hipError_tPvRmT1_PNSt15iterator_traitsISY_E10value_typeET2_T3_PNSZ_IS14_E10value_typeET4_jRbjT5_S1A_jjP12ihipStream_tbEUljE_EEESV_SW_SX_S14_S18_S1A_T6_T7_T9_mT8_S1C_bDpT10_ENKUlT_T0_E_clISt17integral_constantIbLb0EES1O_IbLb1EEEEDaS1K_S1L_EUlS1K_E_NS1_11comp_targetILNS1_3genE3ELNS1_11target_archE908ELNS1_3gpuE7ELNS1_3repE0EEENS1_30default_config_static_selectorELNS0_4arch9wavefront6targetE1EEEvSY_,"axG",@progbits,_ZN7rocprim17ROCPRIM_400000_NS6detail17trampoline_kernelINS0_13select_configILj256ELj13ELNS0_17block_load_methodE3ELS4_3ELS4_3ELNS0_20block_scan_algorithmE0ELj4294967295EEENS1_25partition_config_selectorILNS1_17partition_subalgoE3EjNS0_10empty_typeEbEEZZNS1_14partition_implILS8_3ELb0ES6_jNS0_17counting_iteratorIjlEEPS9_SE_NS0_5tupleIJPjSE_EEENSF_IJSE_SE_EEES9_SG_JZNS1_25segmented_radix_sort_implINS0_14default_configELb1EPKbPbPKlPlN2at6native12_GLOBAL__N_18offset_tEEE10hipError_tPvRmT1_PNSt15iterator_traitsISY_E10value_typeET2_T3_PNSZ_IS14_E10value_typeET4_jRbjT5_S1A_jjP12ihipStream_tbEUljE_EEESV_SW_SX_S14_S18_S1A_T6_T7_T9_mT8_S1C_bDpT10_ENKUlT_T0_E_clISt17integral_constantIbLb0EES1O_IbLb1EEEEDaS1K_S1L_EUlS1K_E_NS1_11comp_targetILNS1_3genE3ELNS1_11target_archE908ELNS1_3gpuE7ELNS1_3repE0EEENS1_30default_config_static_selectorELNS0_4arch9wavefront6targetE1EEEvSY_,comdat
	.globl	_ZN7rocprim17ROCPRIM_400000_NS6detail17trampoline_kernelINS0_13select_configILj256ELj13ELNS0_17block_load_methodE3ELS4_3ELS4_3ELNS0_20block_scan_algorithmE0ELj4294967295EEENS1_25partition_config_selectorILNS1_17partition_subalgoE3EjNS0_10empty_typeEbEEZZNS1_14partition_implILS8_3ELb0ES6_jNS0_17counting_iteratorIjlEEPS9_SE_NS0_5tupleIJPjSE_EEENSF_IJSE_SE_EEES9_SG_JZNS1_25segmented_radix_sort_implINS0_14default_configELb1EPKbPbPKlPlN2at6native12_GLOBAL__N_18offset_tEEE10hipError_tPvRmT1_PNSt15iterator_traitsISY_E10value_typeET2_T3_PNSZ_IS14_E10value_typeET4_jRbjT5_S1A_jjP12ihipStream_tbEUljE_EEESV_SW_SX_S14_S18_S1A_T6_T7_T9_mT8_S1C_bDpT10_ENKUlT_T0_E_clISt17integral_constantIbLb0EES1O_IbLb1EEEEDaS1K_S1L_EUlS1K_E_NS1_11comp_targetILNS1_3genE3ELNS1_11target_archE908ELNS1_3gpuE7ELNS1_3repE0EEENS1_30default_config_static_selectorELNS0_4arch9wavefront6targetE1EEEvSY_ ; -- Begin function _ZN7rocprim17ROCPRIM_400000_NS6detail17trampoline_kernelINS0_13select_configILj256ELj13ELNS0_17block_load_methodE3ELS4_3ELS4_3ELNS0_20block_scan_algorithmE0ELj4294967295EEENS1_25partition_config_selectorILNS1_17partition_subalgoE3EjNS0_10empty_typeEbEEZZNS1_14partition_implILS8_3ELb0ES6_jNS0_17counting_iteratorIjlEEPS9_SE_NS0_5tupleIJPjSE_EEENSF_IJSE_SE_EEES9_SG_JZNS1_25segmented_radix_sort_implINS0_14default_configELb1EPKbPbPKlPlN2at6native12_GLOBAL__N_18offset_tEEE10hipError_tPvRmT1_PNSt15iterator_traitsISY_E10value_typeET2_T3_PNSZ_IS14_E10value_typeET4_jRbjT5_S1A_jjP12ihipStream_tbEUljE_EEESV_SW_SX_S14_S18_S1A_T6_T7_T9_mT8_S1C_bDpT10_ENKUlT_T0_E_clISt17integral_constantIbLb0EES1O_IbLb1EEEEDaS1K_S1L_EUlS1K_E_NS1_11comp_targetILNS1_3genE3ELNS1_11target_archE908ELNS1_3gpuE7ELNS1_3repE0EEENS1_30default_config_static_selectorELNS0_4arch9wavefront6targetE1EEEvSY_
	.p2align	8
	.type	_ZN7rocprim17ROCPRIM_400000_NS6detail17trampoline_kernelINS0_13select_configILj256ELj13ELNS0_17block_load_methodE3ELS4_3ELS4_3ELNS0_20block_scan_algorithmE0ELj4294967295EEENS1_25partition_config_selectorILNS1_17partition_subalgoE3EjNS0_10empty_typeEbEEZZNS1_14partition_implILS8_3ELb0ES6_jNS0_17counting_iteratorIjlEEPS9_SE_NS0_5tupleIJPjSE_EEENSF_IJSE_SE_EEES9_SG_JZNS1_25segmented_radix_sort_implINS0_14default_configELb1EPKbPbPKlPlN2at6native12_GLOBAL__N_18offset_tEEE10hipError_tPvRmT1_PNSt15iterator_traitsISY_E10value_typeET2_T3_PNSZ_IS14_E10value_typeET4_jRbjT5_S1A_jjP12ihipStream_tbEUljE_EEESV_SW_SX_S14_S18_S1A_T6_T7_T9_mT8_S1C_bDpT10_ENKUlT_T0_E_clISt17integral_constantIbLb0EES1O_IbLb1EEEEDaS1K_S1L_EUlS1K_E_NS1_11comp_targetILNS1_3genE3ELNS1_11target_archE908ELNS1_3gpuE7ELNS1_3repE0EEENS1_30default_config_static_selectorELNS0_4arch9wavefront6targetE1EEEvSY_,@function
_ZN7rocprim17ROCPRIM_400000_NS6detail17trampoline_kernelINS0_13select_configILj256ELj13ELNS0_17block_load_methodE3ELS4_3ELS4_3ELNS0_20block_scan_algorithmE0ELj4294967295EEENS1_25partition_config_selectorILNS1_17partition_subalgoE3EjNS0_10empty_typeEbEEZZNS1_14partition_implILS8_3ELb0ES6_jNS0_17counting_iteratorIjlEEPS9_SE_NS0_5tupleIJPjSE_EEENSF_IJSE_SE_EEES9_SG_JZNS1_25segmented_radix_sort_implINS0_14default_configELb1EPKbPbPKlPlN2at6native12_GLOBAL__N_18offset_tEEE10hipError_tPvRmT1_PNSt15iterator_traitsISY_E10value_typeET2_T3_PNSZ_IS14_E10value_typeET4_jRbjT5_S1A_jjP12ihipStream_tbEUljE_EEESV_SW_SX_S14_S18_S1A_T6_T7_T9_mT8_S1C_bDpT10_ENKUlT_T0_E_clISt17integral_constantIbLb0EES1O_IbLb1EEEEDaS1K_S1L_EUlS1K_E_NS1_11comp_targetILNS1_3genE3ELNS1_11target_archE908ELNS1_3gpuE7ELNS1_3repE0EEENS1_30default_config_static_selectorELNS0_4arch9wavefront6targetE1EEEvSY_: ; @_ZN7rocprim17ROCPRIM_400000_NS6detail17trampoline_kernelINS0_13select_configILj256ELj13ELNS0_17block_load_methodE3ELS4_3ELS4_3ELNS0_20block_scan_algorithmE0ELj4294967295EEENS1_25partition_config_selectorILNS1_17partition_subalgoE3EjNS0_10empty_typeEbEEZZNS1_14partition_implILS8_3ELb0ES6_jNS0_17counting_iteratorIjlEEPS9_SE_NS0_5tupleIJPjSE_EEENSF_IJSE_SE_EEES9_SG_JZNS1_25segmented_radix_sort_implINS0_14default_configELb1EPKbPbPKlPlN2at6native12_GLOBAL__N_18offset_tEEE10hipError_tPvRmT1_PNSt15iterator_traitsISY_E10value_typeET2_T3_PNSZ_IS14_E10value_typeET4_jRbjT5_S1A_jjP12ihipStream_tbEUljE_EEESV_SW_SX_S14_S18_S1A_T6_T7_T9_mT8_S1C_bDpT10_ENKUlT_T0_E_clISt17integral_constantIbLb0EES1O_IbLb1EEEEDaS1K_S1L_EUlS1K_E_NS1_11comp_targetILNS1_3genE3ELNS1_11target_archE908ELNS1_3gpuE7ELNS1_3repE0EEENS1_30default_config_static_selectorELNS0_4arch9wavefront6targetE1EEEvSY_
; %bb.0:
	.section	.rodata,"a",@progbits
	.p2align	6, 0x0
	.amdhsa_kernel _ZN7rocprim17ROCPRIM_400000_NS6detail17trampoline_kernelINS0_13select_configILj256ELj13ELNS0_17block_load_methodE3ELS4_3ELS4_3ELNS0_20block_scan_algorithmE0ELj4294967295EEENS1_25partition_config_selectorILNS1_17partition_subalgoE3EjNS0_10empty_typeEbEEZZNS1_14partition_implILS8_3ELb0ES6_jNS0_17counting_iteratorIjlEEPS9_SE_NS0_5tupleIJPjSE_EEENSF_IJSE_SE_EEES9_SG_JZNS1_25segmented_radix_sort_implINS0_14default_configELb1EPKbPbPKlPlN2at6native12_GLOBAL__N_18offset_tEEE10hipError_tPvRmT1_PNSt15iterator_traitsISY_E10value_typeET2_T3_PNSZ_IS14_E10value_typeET4_jRbjT5_S1A_jjP12ihipStream_tbEUljE_EEESV_SW_SX_S14_S18_S1A_T6_T7_T9_mT8_S1C_bDpT10_ENKUlT_T0_E_clISt17integral_constantIbLb0EES1O_IbLb1EEEEDaS1K_S1L_EUlS1K_E_NS1_11comp_targetILNS1_3genE3ELNS1_11target_archE908ELNS1_3gpuE7ELNS1_3repE0EEENS1_30default_config_static_selectorELNS0_4arch9wavefront6targetE1EEEvSY_
		.amdhsa_group_segment_fixed_size 0
		.amdhsa_private_segment_fixed_size 0
		.amdhsa_kernarg_size 152
		.amdhsa_user_sgpr_count 6
		.amdhsa_user_sgpr_private_segment_buffer 1
		.amdhsa_user_sgpr_dispatch_ptr 0
		.amdhsa_user_sgpr_queue_ptr 0
		.amdhsa_user_sgpr_kernarg_segment_ptr 1
		.amdhsa_user_sgpr_dispatch_id 0
		.amdhsa_user_sgpr_flat_scratch_init 0
		.amdhsa_user_sgpr_private_segment_size 0
		.amdhsa_uses_dynamic_stack 0
		.amdhsa_system_sgpr_private_segment_wavefront_offset 0
		.amdhsa_system_sgpr_workgroup_id_x 1
		.amdhsa_system_sgpr_workgroup_id_y 0
		.amdhsa_system_sgpr_workgroup_id_z 0
		.amdhsa_system_sgpr_workgroup_info 0
		.amdhsa_system_vgpr_workitem_id 0
		.amdhsa_next_free_vgpr 1
		.amdhsa_next_free_sgpr 0
		.amdhsa_reserve_vcc 0
		.amdhsa_reserve_flat_scratch 0
		.amdhsa_float_round_mode_32 0
		.amdhsa_float_round_mode_16_64 0
		.amdhsa_float_denorm_mode_32 3
		.amdhsa_float_denorm_mode_16_64 3
		.amdhsa_dx10_clamp 1
		.amdhsa_ieee_mode 1
		.amdhsa_fp16_overflow 0
		.amdhsa_exception_fp_ieee_invalid_op 0
		.amdhsa_exception_fp_denorm_src 0
		.amdhsa_exception_fp_ieee_div_zero 0
		.amdhsa_exception_fp_ieee_overflow 0
		.amdhsa_exception_fp_ieee_underflow 0
		.amdhsa_exception_fp_ieee_inexact 0
		.amdhsa_exception_int_div_zero 0
	.end_amdhsa_kernel
	.section	.text._ZN7rocprim17ROCPRIM_400000_NS6detail17trampoline_kernelINS0_13select_configILj256ELj13ELNS0_17block_load_methodE3ELS4_3ELS4_3ELNS0_20block_scan_algorithmE0ELj4294967295EEENS1_25partition_config_selectorILNS1_17partition_subalgoE3EjNS0_10empty_typeEbEEZZNS1_14partition_implILS8_3ELb0ES6_jNS0_17counting_iteratorIjlEEPS9_SE_NS0_5tupleIJPjSE_EEENSF_IJSE_SE_EEES9_SG_JZNS1_25segmented_radix_sort_implINS0_14default_configELb1EPKbPbPKlPlN2at6native12_GLOBAL__N_18offset_tEEE10hipError_tPvRmT1_PNSt15iterator_traitsISY_E10value_typeET2_T3_PNSZ_IS14_E10value_typeET4_jRbjT5_S1A_jjP12ihipStream_tbEUljE_EEESV_SW_SX_S14_S18_S1A_T6_T7_T9_mT8_S1C_bDpT10_ENKUlT_T0_E_clISt17integral_constantIbLb0EES1O_IbLb1EEEEDaS1K_S1L_EUlS1K_E_NS1_11comp_targetILNS1_3genE3ELNS1_11target_archE908ELNS1_3gpuE7ELNS1_3repE0EEENS1_30default_config_static_selectorELNS0_4arch9wavefront6targetE1EEEvSY_,"axG",@progbits,_ZN7rocprim17ROCPRIM_400000_NS6detail17trampoline_kernelINS0_13select_configILj256ELj13ELNS0_17block_load_methodE3ELS4_3ELS4_3ELNS0_20block_scan_algorithmE0ELj4294967295EEENS1_25partition_config_selectorILNS1_17partition_subalgoE3EjNS0_10empty_typeEbEEZZNS1_14partition_implILS8_3ELb0ES6_jNS0_17counting_iteratorIjlEEPS9_SE_NS0_5tupleIJPjSE_EEENSF_IJSE_SE_EEES9_SG_JZNS1_25segmented_radix_sort_implINS0_14default_configELb1EPKbPbPKlPlN2at6native12_GLOBAL__N_18offset_tEEE10hipError_tPvRmT1_PNSt15iterator_traitsISY_E10value_typeET2_T3_PNSZ_IS14_E10value_typeET4_jRbjT5_S1A_jjP12ihipStream_tbEUljE_EEESV_SW_SX_S14_S18_S1A_T6_T7_T9_mT8_S1C_bDpT10_ENKUlT_T0_E_clISt17integral_constantIbLb0EES1O_IbLb1EEEEDaS1K_S1L_EUlS1K_E_NS1_11comp_targetILNS1_3genE3ELNS1_11target_archE908ELNS1_3gpuE7ELNS1_3repE0EEENS1_30default_config_static_selectorELNS0_4arch9wavefront6targetE1EEEvSY_,comdat
.Lfunc_end1527:
	.size	_ZN7rocprim17ROCPRIM_400000_NS6detail17trampoline_kernelINS0_13select_configILj256ELj13ELNS0_17block_load_methodE3ELS4_3ELS4_3ELNS0_20block_scan_algorithmE0ELj4294967295EEENS1_25partition_config_selectorILNS1_17partition_subalgoE3EjNS0_10empty_typeEbEEZZNS1_14partition_implILS8_3ELb0ES6_jNS0_17counting_iteratorIjlEEPS9_SE_NS0_5tupleIJPjSE_EEENSF_IJSE_SE_EEES9_SG_JZNS1_25segmented_radix_sort_implINS0_14default_configELb1EPKbPbPKlPlN2at6native12_GLOBAL__N_18offset_tEEE10hipError_tPvRmT1_PNSt15iterator_traitsISY_E10value_typeET2_T3_PNSZ_IS14_E10value_typeET4_jRbjT5_S1A_jjP12ihipStream_tbEUljE_EEESV_SW_SX_S14_S18_S1A_T6_T7_T9_mT8_S1C_bDpT10_ENKUlT_T0_E_clISt17integral_constantIbLb0EES1O_IbLb1EEEEDaS1K_S1L_EUlS1K_E_NS1_11comp_targetILNS1_3genE3ELNS1_11target_archE908ELNS1_3gpuE7ELNS1_3repE0EEENS1_30default_config_static_selectorELNS0_4arch9wavefront6targetE1EEEvSY_, .Lfunc_end1527-_ZN7rocprim17ROCPRIM_400000_NS6detail17trampoline_kernelINS0_13select_configILj256ELj13ELNS0_17block_load_methodE3ELS4_3ELS4_3ELNS0_20block_scan_algorithmE0ELj4294967295EEENS1_25partition_config_selectorILNS1_17partition_subalgoE3EjNS0_10empty_typeEbEEZZNS1_14partition_implILS8_3ELb0ES6_jNS0_17counting_iteratorIjlEEPS9_SE_NS0_5tupleIJPjSE_EEENSF_IJSE_SE_EEES9_SG_JZNS1_25segmented_radix_sort_implINS0_14default_configELb1EPKbPbPKlPlN2at6native12_GLOBAL__N_18offset_tEEE10hipError_tPvRmT1_PNSt15iterator_traitsISY_E10value_typeET2_T3_PNSZ_IS14_E10value_typeET4_jRbjT5_S1A_jjP12ihipStream_tbEUljE_EEESV_SW_SX_S14_S18_S1A_T6_T7_T9_mT8_S1C_bDpT10_ENKUlT_T0_E_clISt17integral_constantIbLb0EES1O_IbLb1EEEEDaS1K_S1L_EUlS1K_E_NS1_11comp_targetILNS1_3genE3ELNS1_11target_archE908ELNS1_3gpuE7ELNS1_3repE0EEENS1_30default_config_static_selectorELNS0_4arch9wavefront6targetE1EEEvSY_
                                        ; -- End function
	.set _ZN7rocprim17ROCPRIM_400000_NS6detail17trampoline_kernelINS0_13select_configILj256ELj13ELNS0_17block_load_methodE3ELS4_3ELS4_3ELNS0_20block_scan_algorithmE0ELj4294967295EEENS1_25partition_config_selectorILNS1_17partition_subalgoE3EjNS0_10empty_typeEbEEZZNS1_14partition_implILS8_3ELb0ES6_jNS0_17counting_iteratorIjlEEPS9_SE_NS0_5tupleIJPjSE_EEENSF_IJSE_SE_EEES9_SG_JZNS1_25segmented_radix_sort_implINS0_14default_configELb1EPKbPbPKlPlN2at6native12_GLOBAL__N_18offset_tEEE10hipError_tPvRmT1_PNSt15iterator_traitsISY_E10value_typeET2_T3_PNSZ_IS14_E10value_typeET4_jRbjT5_S1A_jjP12ihipStream_tbEUljE_EEESV_SW_SX_S14_S18_S1A_T6_T7_T9_mT8_S1C_bDpT10_ENKUlT_T0_E_clISt17integral_constantIbLb0EES1O_IbLb1EEEEDaS1K_S1L_EUlS1K_E_NS1_11comp_targetILNS1_3genE3ELNS1_11target_archE908ELNS1_3gpuE7ELNS1_3repE0EEENS1_30default_config_static_selectorELNS0_4arch9wavefront6targetE1EEEvSY_.num_vgpr, 0
	.set _ZN7rocprim17ROCPRIM_400000_NS6detail17trampoline_kernelINS0_13select_configILj256ELj13ELNS0_17block_load_methodE3ELS4_3ELS4_3ELNS0_20block_scan_algorithmE0ELj4294967295EEENS1_25partition_config_selectorILNS1_17partition_subalgoE3EjNS0_10empty_typeEbEEZZNS1_14partition_implILS8_3ELb0ES6_jNS0_17counting_iteratorIjlEEPS9_SE_NS0_5tupleIJPjSE_EEENSF_IJSE_SE_EEES9_SG_JZNS1_25segmented_radix_sort_implINS0_14default_configELb1EPKbPbPKlPlN2at6native12_GLOBAL__N_18offset_tEEE10hipError_tPvRmT1_PNSt15iterator_traitsISY_E10value_typeET2_T3_PNSZ_IS14_E10value_typeET4_jRbjT5_S1A_jjP12ihipStream_tbEUljE_EEESV_SW_SX_S14_S18_S1A_T6_T7_T9_mT8_S1C_bDpT10_ENKUlT_T0_E_clISt17integral_constantIbLb0EES1O_IbLb1EEEEDaS1K_S1L_EUlS1K_E_NS1_11comp_targetILNS1_3genE3ELNS1_11target_archE908ELNS1_3gpuE7ELNS1_3repE0EEENS1_30default_config_static_selectorELNS0_4arch9wavefront6targetE1EEEvSY_.num_agpr, 0
	.set _ZN7rocprim17ROCPRIM_400000_NS6detail17trampoline_kernelINS0_13select_configILj256ELj13ELNS0_17block_load_methodE3ELS4_3ELS4_3ELNS0_20block_scan_algorithmE0ELj4294967295EEENS1_25partition_config_selectorILNS1_17partition_subalgoE3EjNS0_10empty_typeEbEEZZNS1_14partition_implILS8_3ELb0ES6_jNS0_17counting_iteratorIjlEEPS9_SE_NS0_5tupleIJPjSE_EEENSF_IJSE_SE_EEES9_SG_JZNS1_25segmented_radix_sort_implINS0_14default_configELb1EPKbPbPKlPlN2at6native12_GLOBAL__N_18offset_tEEE10hipError_tPvRmT1_PNSt15iterator_traitsISY_E10value_typeET2_T3_PNSZ_IS14_E10value_typeET4_jRbjT5_S1A_jjP12ihipStream_tbEUljE_EEESV_SW_SX_S14_S18_S1A_T6_T7_T9_mT8_S1C_bDpT10_ENKUlT_T0_E_clISt17integral_constantIbLb0EES1O_IbLb1EEEEDaS1K_S1L_EUlS1K_E_NS1_11comp_targetILNS1_3genE3ELNS1_11target_archE908ELNS1_3gpuE7ELNS1_3repE0EEENS1_30default_config_static_selectorELNS0_4arch9wavefront6targetE1EEEvSY_.numbered_sgpr, 0
	.set _ZN7rocprim17ROCPRIM_400000_NS6detail17trampoline_kernelINS0_13select_configILj256ELj13ELNS0_17block_load_methodE3ELS4_3ELS4_3ELNS0_20block_scan_algorithmE0ELj4294967295EEENS1_25partition_config_selectorILNS1_17partition_subalgoE3EjNS0_10empty_typeEbEEZZNS1_14partition_implILS8_3ELb0ES6_jNS0_17counting_iteratorIjlEEPS9_SE_NS0_5tupleIJPjSE_EEENSF_IJSE_SE_EEES9_SG_JZNS1_25segmented_radix_sort_implINS0_14default_configELb1EPKbPbPKlPlN2at6native12_GLOBAL__N_18offset_tEEE10hipError_tPvRmT1_PNSt15iterator_traitsISY_E10value_typeET2_T3_PNSZ_IS14_E10value_typeET4_jRbjT5_S1A_jjP12ihipStream_tbEUljE_EEESV_SW_SX_S14_S18_S1A_T6_T7_T9_mT8_S1C_bDpT10_ENKUlT_T0_E_clISt17integral_constantIbLb0EES1O_IbLb1EEEEDaS1K_S1L_EUlS1K_E_NS1_11comp_targetILNS1_3genE3ELNS1_11target_archE908ELNS1_3gpuE7ELNS1_3repE0EEENS1_30default_config_static_selectorELNS0_4arch9wavefront6targetE1EEEvSY_.num_named_barrier, 0
	.set _ZN7rocprim17ROCPRIM_400000_NS6detail17trampoline_kernelINS0_13select_configILj256ELj13ELNS0_17block_load_methodE3ELS4_3ELS4_3ELNS0_20block_scan_algorithmE0ELj4294967295EEENS1_25partition_config_selectorILNS1_17partition_subalgoE3EjNS0_10empty_typeEbEEZZNS1_14partition_implILS8_3ELb0ES6_jNS0_17counting_iteratorIjlEEPS9_SE_NS0_5tupleIJPjSE_EEENSF_IJSE_SE_EEES9_SG_JZNS1_25segmented_radix_sort_implINS0_14default_configELb1EPKbPbPKlPlN2at6native12_GLOBAL__N_18offset_tEEE10hipError_tPvRmT1_PNSt15iterator_traitsISY_E10value_typeET2_T3_PNSZ_IS14_E10value_typeET4_jRbjT5_S1A_jjP12ihipStream_tbEUljE_EEESV_SW_SX_S14_S18_S1A_T6_T7_T9_mT8_S1C_bDpT10_ENKUlT_T0_E_clISt17integral_constantIbLb0EES1O_IbLb1EEEEDaS1K_S1L_EUlS1K_E_NS1_11comp_targetILNS1_3genE3ELNS1_11target_archE908ELNS1_3gpuE7ELNS1_3repE0EEENS1_30default_config_static_selectorELNS0_4arch9wavefront6targetE1EEEvSY_.private_seg_size, 0
	.set _ZN7rocprim17ROCPRIM_400000_NS6detail17trampoline_kernelINS0_13select_configILj256ELj13ELNS0_17block_load_methodE3ELS4_3ELS4_3ELNS0_20block_scan_algorithmE0ELj4294967295EEENS1_25partition_config_selectorILNS1_17partition_subalgoE3EjNS0_10empty_typeEbEEZZNS1_14partition_implILS8_3ELb0ES6_jNS0_17counting_iteratorIjlEEPS9_SE_NS0_5tupleIJPjSE_EEENSF_IJSE_SE_EEES9_SG_JZNS1_25segmented_radix_sort_implINS0_14default_configELb1EPKbPbPKlPlN2at6native12_GLOBAL__N_18offset_tEEE10hipError_tPvRmT1_PNSt15iterator_traitsISY_E10value_typeET2_T3_PNSZ_IS14_E10value_typeET4_jRbjT5_S1A_jjP12ihipStream_tbEUljE_EEESV_SW_SX_S14_S18_S1A_T6_T7_T9_mT8_S1C_bDpT10_ENKUlT_T0_E_clISt17integral_constantIbLb0EES1O_IbLb1EEEEDaS1K_S1L_EUlS1K_E_NS1_11comp_targetILNS1_3genE3ELNS1_11target_archE908ELNS1_3gpuE7ELNS1_3repE0EEENS1_30default_config_static_selectorELNS0_4arch9wavefront6targetE1EEEvSY_.uses_vcc, 0
	.set _ZN7rocprim17ROCPRIM_400000_NS6detail17trampoline_kernelINS0_13select_configILj256ELj13ELNS0_17block_load_methodE3ELS4_3ELS4_3ELNS0_20block_scan_algorithmE0ELj4294967295EEENS1_25partition_config_selectorILNS1_17partition_subalgoE3EjNS0_10empty_typeEbEEZZNS1_14partition_implILS8_3ELb0ES6_jNS0_17counting_iteratorIjlEEPS9_SE_NS0_5tupleIJPjSE_EEENSF_IJSE_SE_EEES9_SG_JZNS1_25segmented_radix_sort_implINS0_14default_configELb1EPKbPbPKlPlN2at6native12_GLOBAL__N_18offset_tEEE10hipError_tPvRmT1_PNSt15iterator_traitsISY_E10value_typeET2_T3_PNSZ_IS14_E10value_typeET4_jRbjT5_S1A_jjP12ihipStream_tbEUljE_EEESV_SW_SX_S14_S18_S1A_T6_T7_T9_mT8_S1C_bDpT10_ENKUlT_T0_E_clISt17integral_constantIbLb0EES1O_IbLb1EEEEDaS1K_S1L_EUlS1K_E_NS1_11comp_targetILNS1_3genE3ELNS1_11target_archE908ELNS1_3gpuE7ELNS1_3repE0EEENS1_30default_config_static_selectorELNS0_4arch9wavefront6targetE1EEEvSY_.uses_flat_scratch, 0
	.set _ZN7rocprim17ROCPRIM_400000_NS6detail17trampoline_kernelINS0_13select_configILj256ELj13ELNS0_17block_load_methodE3ELS4_3ELS4_3ELNS0_20block_scan_algorithmE0ELj4294967295EEENS1_25partition_config_selectorILNS1_17partition_subalgoE3EjNS0_10empty_typeEbEEZZNS1_14partition_implILS8_3ELb0ES6_jNS0_17counting_iteratorIjlEEPS9_SE_NS0_5tupleIJPjSE_EEENSF_IJSE_SE_EEES9_SG_JZNS1_25segmented_radix_sort_implINS0_14default_configELb1EPKbPbPKlPlN2at6native12_GLOBAL__N_18offset_tEEE10hipError_tPvRmT1_PNSt15iterator_traitsISY_E10value_typeET2_T3_PNSZ_IS14_E10value_typeET4_jRbjT5_S1A_jjP12ihipStream_tbEUljE_EEESV_SW_SX_S14_S18_S1A_T6_T7_T9_mT8_S1C_bDpT10_ENKUlT_T0_E_clISt17integral_constantIbLb0EES1O_IbLb1EEEEDaS1K_S1L_EUlS1K_E_NS1_11comp_targetILNS1_3genE3ELNS1_11target_archE908ELNS1_3gpuE7ELNS1_3repE0EEENS1_30default_config_static_selectorELNS0_4arch9wavefront6targetE1EEEvSY_.has_dyn_sized_stack, 0
	.set _ZN7rocprim17ROCPRIM_400000_NS6detail17trampoline_kernelINS0_13select_configILj256ELj13ELNS0_17block_load_methodE3ELS4_3ELS4_3ELNS0_20block_scan_algorithmE0ELj4294967295EEENS1_25partition_config_selectorILNS1_17partition_subalgoE3EjNS0_10empty_typeEbEEZZNS1_14partition_implILS8_3ELb0ES6_jNS0_17counting_iteratorIjlEEPS9_SE_NS0_5tupleIJPjSE_EEENSF_IJSE_SE_EEES9_SG_JZNS1_25segmented_radix_sort_implINS0_14default_configELb1EPKbPbPKlPlN2at6native12_GLOBAL__N_18offset_tEEE10hipError_tPvRmT1_PNSt15iterator_traitsISY_E10value_typeET2_T3_PNSZ_IS14_E10value_typeET4_jRbjT5_S1A_jjP12ihipStream_tbEUljE_EEESV_SW_SX_S14_S18_S1A_T6_T7_T9_mT8_S1C_bDpT10_ENKUlT_T0_E_clISt17integral_constantIbLb0EES1O_IbLb1EEEEDaS1K_S1L_EUlS1K_E_NS1_11comp_targetILNS1_3genE3ELNS1_11target_archE908ELNS1_3gpuE7ELNS1_3repE0EEENS1_30default_config_static_selectorELNS0_4arch9wavefront6targetE1EEEvSY_.has_recursion, 0
	.set _ZN7rocprim17ROCPRIM_400000_NS6detail17trampoline_kernelINS0_13select_configILj256ELj13ELNS0_17block_load_methodE3ELS4_3ELS4_3ELNS0_20block_scan_algorithmE0ELj4294967295EEENS1_25partition_config_selectorILNS1_17partition_subalgoE3EjNS0_10empty_typeEbEEZZNS1_14partition_implILS8_3ELb0ES6_jNS0_17counting_iteratorIjlEEPS9_SE_NS0_5tupleIJPjSE_EEENSF_IJSE_SE_EEES9_SG_JZNS1_25segmented_radix_sort_implINS0_14default_configELb1EPKbPbPKlPlN2at6native12_GLOBAL__N_18offset_tEEE10hipError_tPvRmT1_PNSt15iterator_traitsISY_E10value_typeET2_T3_PNSZ_IS14_E10value_typeET4_jRbjT5_S1A_jjP12ihipStream_tbEUljE_EEESV_SW_SX_S14_S18_S1A_T6_T7_T9_mT8_S1C_bDpT10_ENKUlT_T0_E_clISt17integral_constantIbLb0EES1O_IbLb1EEEEDaS1K_S1L_EUlS1K_E_NS1_11comp_targetILNS1_3genE3ELNS1_11target_archE908ELNS1_3gpuE7ELNS1_3repE0EEENS1_30default_config_static_selectorELNS0_4arch9wavefront6targetE1EEEvSY_.has_indirect_call, 0
	.section	.AMDGPU.csdata,"",@progbits
; Kernel info:
; codeLenInByte = 0
; TotalNumSgprs: 4
; NumVgprs: 0
; ScratchSize: 0
; MemoryBound: 0
; FloatMode: 240
; IeeeMode: 1
; LDSByteSize: 0 bytes/workgroup (compile time only)
; SGPRBlocks: 0
; VGPRBlocks: 0
; NumSGPRsForWavesPerEU: 4
; NumVGPRsForWavesPerEU: 1
; Occupancy: 10
; WaveLimiterHint : 0
; COMPUTE_PGM_RSRC2:SCRATCH_EN: 0
; COMPUTE_PGM_RSRC2:USER_SGPR: 6
; COMPUTE_PGM_RSRC2:TRAP_HANDLER: 0
; COMPUTE_PGM_RSRC2:TGID_X_EN: 1
; COMPUTE_PGM_RSRC2:TGID_Y_EN: 0
; COMPUTE_PGM_RSRC2:TGID_Z_EN: 0
; COMPUTE_PGM_RSRC2:TIDIG_COMP_CNT: 0
	.section	.text._ZN7rocprim17ROCPRIM_400000_NS6detail17trampoline_kernelINS0_13select_configILj256ELj13ELNS0_17block_load_methodE3ELS4_3ELS4_3ELNS0_20block_scan_algorithmE0ELj4294967295EEENS1_25partition_config_selectorILNS1_17partition_subalgoE3EjNS0_10empty_typeEbEEZZNS1_14partition_implILS8_3ELb0ES6_jNS0_17counting_iteratorIjlEEPS9_SE_NS0_5tupleIJPjSE_EEENSF_IJSE_SE_EEES9_SG_JZNS1_25segmented_radix_sort_implINS0_14default_configELb1EPKbPbPKlPlN2at6native12_GLOBAL__N_18offset_tEEE10hipError_tPvRmT1_PNSt15iterator_traitsISY_E10value_typeET2_T3_PNSZ_IS14_E10value_typeET4_jRbjT5_S1A_jjP12ihipStream_tbEUljE_EEESV_SW_SX_S14_S18_S1A_T6_T7_T9_mT8_S1C_bDpT10_ENKUlT_T0_E_clISt17integral_constantIbLb0EES1O_IbLb1EEEEDaS1K_S1L_EUlS1K_E_NS1_11comp_targetILNS1_3genE2ELNS1_11target_archE906ELNS1_3gpuE6ELNS1_3repE0EEENS1_30default_config_static_selectorELNS0_4arch9wavefront6targetE1EEEvSY_,"axG",@progbits,_ZN7rocprim17ROCPRIM_400000_NS6detail17trampoline_kernelINS0_13select_configILj256ELj13ELNS0_17block_load_methodE3ELS4_3ELS4_3ELNS0_20block_scan_algorithmE0ELj4294967295EEENS1_25partition_config_selectorILNS1_17partition_subalgoE3EjNS0_10empty_typeEbEEZZNS1_14partition_implILS8_3ELb0ES6_jNS0_17counting_iteratorIjlEEPS9_SE_NS0_5tupleIJPjSE_EEENSF_IJSE_SE_EEES9_SG_JZNS1_25segmented_radix_sort_implINS0_14default_configELb1EPKbPbPKlPlN2at6native12_GLOBAL__N_18offset_tEEE10hipError_tPvRmT1_PNSt15iterator_traitsISY_E10value_typeET2_T3_PNSZ_IS14_E10value_typeET4_jRbjT5_S1A_jjP12ihipStream_tbEUljE_EEESV_SW_SX_S14_S18_S1A_T6_T7_T9_mT8_S1C_bDpT10_ENKUlT_T0_E_clISt17integral_constantIbLb0EES1O_IbLb1EEEEDaS1K_S1L_EUlS1K_E_NS1_11comp_targetILNS1_3genE2ELNS1_11target_archE906ELNS1_3gpuE6ELNS1_3repE0EEENS1_30default_config_static_selectorELNS0_4arch9wavefront6targetE1EEEvSY_,comdat
	.globl	_ZN7rocprim17ROCPRIM_400000_NS6detail17trampoline_kernelINS0_13select_configILj256ELj13ELNS0_17block_load_methodE3ELS4_3ELS4_3ELNS0_20block_scan_algorithmE0ELj4294967295EEENS1_25partition_config_selectorILNS1_17partition_subalgoE3EjNS0_10empty_typeEbEEZZNS1_14partition_implILS8_3ELb0ES6_jNS0_17counting_iteratorIjlEEPS9_SE_NS0_5tupleIJPjSE_EEENSF_IJSE_SE_EEES9_SG_JZNS1_25segmented_radix_sort_implINS0_14default_configELb1EPKbPbPKlPlN2at6native12_GLOBAL__N_18offset_tEEE10hipError_tPvRmT1_PNSt15iterator_traitsISY_E10value_typeET2_T3_PNSZ_IS14_E10value_typeET4_jRbjT5_S1A_jjP12ihipStream_tbEUljE_EEESV_SW_SX_S14_S18_S1A_T6_T7_T9_mT8_S1C_bDpT10_ENKUlT_T0_E_clISt17integral_constantIbLb0EES1O_IbLb1EEEEDaS1K_S1L_EUlS1K_E_NS1_11comp_targetILNS1_3genE2ELNS1_11target_archE906ELNS1_3gpuE6ELNS1_3repE0EEENS1_30default_config_static_selectorELNS0_4arch9wavefront6targetE1EEEvSY_ ; -- Begin function _ZN7rocprim17ROCPRIM_400000_NS6detail17trampoline_kernelINS0_13select_configILj256ELj13ELNS0_17block_load_methodE3ELS4_3ELS4_3ELNS0_20block_scan_algorithmE0ELj4294967295EEENS1_25partition_config_selectorILNS1_17partition_subalgoE3EjNS0_10empty_typeEbEEZZNS1_14partition_implILS8_3ELb0ES6_jNS0_17counting_iteratorIjlEEPS9_SE_NS0_5tupleIJPjSE_EEENSF_IJSE_SE_EEES9_SG_JZNS1_25segmented_radix_sort_implINS0_14default_configELb1EPKbPbPKlPlN2at6native12_GLOBAL__N_18offset_tEEE10hipError_tPvRmT1_PNSt15iterator_traitsISY_E10value_typeET2_T3_PNSZ_IS14_E10value_typeET4_jRbjT5_S1A_jjP12ihipStream_tbEUljE_EEESV_SW_SX_S14_S18_S1A_T6_T7_T9_mT8_S1C_bDpT10_ENKUlT_T0_E_clISt17integral_constantIbLb0EES1O_IbLb1EEEEDaS1K_S1L_EUlS1K_E_NS1_11comp_targetILNS1_3genE2ELNS1_11target_archE906ELNS1_3gpuE6ELNS1_3repE0EEENS1_30default_config_static_selectorELNS0_4arch9wavefront6targetE1EEEvSY_
	.p2align	8
	.type	_ZN7rocprim17ROCPRIM_400000_NS6detail17trampoline_kernelINS0_13select_configILj256ELj13ELNS0_17block_load_methodE3ELS4_3ELS4_3ELNS0_20block_scan_algorithmE0ELj4294967295EEENS1_25partition_config_selectorILNS1_17partition_subalgoE3EjNS0_10empty_typeEbEEZZNS1_14partition_implILS8_3ELb0ES6_jNS0_17counting_iteratorIjlEEPS9_SE_NS0_5tupleIJPjSE_EEENSF_IJSE_SE_EEES9_SG_JZNS1_25segmented_radix_sort_implINS0_14default_configELb1EPKbPbPKlPlN2at6native12_GLOBAL__N_18offset_tEEE10hipError_tPvRmT1_PNSt15iterator_traitsISY_E10value_typeET2_T3_PNSZ_IS14_E10value_typeET4_jRbjT5_S1A_jjP12ihipStream_tbEUljE_EEESV_SW_SX_S14_S18_S1A_T6_T7_T9_mT8_S1C_bDpT10_ENKUlT_T0_E_clISt17integral_constantIbLb0EES1O_IbLb1EEEEDaS1K_S1L_EUlS1K_E_NS1_11comp_targetILNS1_3genE2ELNS1_11target_archE906ELNS1_3gpuE6ELNS1_3repE0EEENS1_30default_config_static_selectorELNS0_4arch9wavefront6targetE1EEEvSY_,@function
_ZN7rocprim17ROCPRIM_400000_NS6detail17trampoline_kernelINS0_13select_configILj256ELj13ELNS0_17block_load_methodE3ELS4_3ELS4_3ELNS0_20block_scan_algorithmE0ELj4294967295EEENS1_25partition_config_selectorILNS1_17partition_subalgoE3EjNS0_10empty_typeEbEEZZNS1_14partition_implILS8_3ELb0ES6_jNS0_17counting_iteratorIjlEEPS9_SE_NS0_5tupleIJPjSE_EEENSF_IJSE_SE_EEES9_SG_JZNS1_25segmented_radix_sort_implINS0_14default_configELb1EPKbPbPKlPlN2at6native12_GLOBAL__N_18offset_tEEE10hipError_tPvRmT1_PNSt15iterator_traitsISY_E10value_typeET2_T3_PNSZ_IS14_E10value_typeET4_jRbjT5_S1A_jjP12ihipStream_tbEUljE_EEESV_SW_SX_S14_S18_S1A_T6_T7_T9_mT8_S1C_bDpT10_ENKUlT_T0_E_clISt17integral_constantIbLb0EES1O_IbLb1EEEEDaS1K_S1L_EUlS1K_E_NS1_11comp_targetILNS1_3genE2ELNS1_11target_archE906ELNS1_3gpuE6ELNS1_3repE0EEENS1_30default_config_static_selectorELNS0_4arch9wavefront6targetE1EEEvSY_: ; @_ZN7rocprim17ROCPRIM_400000_NS6detail17trampoline_kernelINS0_13select_configILj256ELj13ELNS0_17block_load_methodE3ELS4_3ELS4_3ELNS0_20block_scan_algorithmE0ELj4294967295EEENS1_25partition_config_selectorILNS1_17partition_subalgoE3EjNS0_10empty_typeEbEEZZNS1_14partition_implILS8_3ELb0ES6_jNS0_17counting_iteratorIjlEEPS9_SE_NS0_5tupleIJPjSE_EEENSF_IJSE_SE_EEES9_SG_JZNS1_25segmented_radix_sort_implINS0_14default_configELb1EPKbPbPKlPlN2at6native12_GLOBAL__N_18offset_tEEE10hipError_tPvRmT1_PNSt15iterator_traitsISY_E10value_typeET2_T3_PNSZ_IS14_E10value_typeET4_jRbjT5_S1A_jjP12ihipStream_tbEUljE_EEESV_SW_SX_S14_S18_S1A_T6_T7_T9_mT8_S1C_bDpT10_ENKUlT_T0_E_clISt17integral_constantIbLb0EES1O_IbLb1EEEEDaS1K_S1L_EUlS1K_E_NS1_11comp_targetILNS1_3genE2ELNS1_11target_archE906ELNS1_3gpuE6ELNS1_3repE0EEENS1_30default_config_static_selectorELNS0_4arch9wavefront6targetE1EEEvSY_
; %bb.0:
	s_load_dwordx2 s[28:29], s[4:5], 0x10
	s_load_dwordx2 s[22:23], s[4:5], 0x28
	;; [unrolled: 1-line block ×3, first 2 shown]
	s_load_dwordx4 s[24:27], s[4:5], 0x48
	s_load_dword s14, s[4:5], 0x90
	s_load_dwordx2 s[34:35], s[4:5], 0x68
	s_load_dwordx4 s[8:11], s[4:5], 0x80
	v_cmp_eq_u32_e64 s[0:1], 0, v0
	s_and_saveexec_b64 s[2:3], s[0:1]
	s_cbranch_execz .LBB1528_4
; %bb.1:
	s_mov_b64 s[12:13], exec
	v_mbcnt_lo_u32_b32 v1, s12, 0
	v_mbcnt_hi_u32_b32 v1, s13, v1
	v_cmp_eq_u32_e32 vcc, 0, v1
                                        ; implicit-def: $vgpr2
	s_and_saveexec_b64 s[6:7], vcc
	s_cbranch_execz .LBB1528_3
; %bb.2:
	s_load_dwordx2 s[16:17], s[4:5], 0x78
	s_bcnt1_i32_b64 s12, s[12:13]
	v_mov_b32_e32 v2, 0
	v_mov_b32_e32 v3, s12
	s_waitcnt lgkmcnt(0)
	global_atomic_add v2, v2, v3, s[16:17] glc
.LBB1528_3:
	s_or_b64 exec, exec, s[6:7]
	s_waitcnt vmcnt(0)
	v_readfirstlane_b32 s6, v2
	v_add_u32_e32 v1, s6, v1
	v_mov_b32_e32 v2, 0
	ds_write_b32 v2, v1
.LBB1528_4:
	s_or_b64 exec, exec, s[2:3]
	v_mov_b32_e32 v1, 0
	s_load_dword s6, s[4:5], 0x8
	s_load_dword s2, s[4:5], 0x70
	s_waitcnt lgkmcnt(0)
	s_barrier
	ds_read_b32 v5, v1
	s_waitcnt lgkmcnt(0)
	s_barrier
	global_load_dwordx2 v[3:4], v1, s[26:27]
	s_add_i32 s4, s2, -1
	s_mulk_i32 s2, 0xd00
	s_add_i32 s3, s2, s28
	s_sub_i32 s33, s30, s3
	s_add_i32 s6, s6, s28
	s_addk_i32 s33, 0xd00
	s_add_u32 s2, s28, s2
	s_addc_u32 s3, s29, 0
	v_mov_b32_e32 v1, s2
	v_mov_b32_e32 v2, s3
	v_readfirstlane_b32 s43, v5
	v_cmp_gt_u64_e32 vcc, s[30:31], v[1:2]
	s_cmp_eq_u32 s43, s4
	v_cmp_ne_u32_e64 s[2:3], s4, v5
	s_cselect_b64 s[26:27], -1, 0
	s_or_b64 s[4:5], vcc, s[2:3]
	s_mul_i32 s42, s43, 0xd00
	s_mov_b64 s[2:3], -1
	s_and_b64 vcc, exec, s[4:5]
	v_lshlrev_b32_e32 v25, 2, v0
	s_cbranch_vccz .LBB1528_6
; %bb.5:
	s_add_i32 s2, s42, s6
	v_add_u32_e32 v1, s2, v0
	v_add_u32_e32 v2, 0x100, v1
	v_add_u32_e32 v5, 0x200, v1
	v_add_u32_e32 v6, 0x300, v1
	v_add_u32_e32 v7, 0x400, v1
	v_add_u32_e32 v8, 0x500, v1
	v_add_u32_e32 v9, 0x600, v1
	v_add_u32_e32 v10, 0x700, v1
	v_add_u32_e32 v11, 0x800, v1
	v_add_u32_e32 v12, 0x900, v1
	v_add_u32_e32 v13, 0xa00, v1
	v_add_u32_e32 v14, 0xb00, v1
	v_add_u32_e32 v15, 0xc00, v1
	ds_write2st64_b32 v25, v1, v2 offset1:4
	ds_write2st64_b32 v25, v5, v6 offset0:8 offset1:12
	ds_write2st64_b32 v25, v7, v8 offset0:16 offset1:20
	;; [unrolled: 1-line block ×5, first 2 shown]
	ds_write_b32 v25, v15 offset:12288
	s_waitcnt vmcnt(0) lgkmcnt(0)
	s_barrier
	s_mov_b64 s[2:3], 0
.LBB1528_6:
	s_andn2_b64 vcc, exec, s[2:3]
	v_cmp_gt_u32_e64 s[2:3], s33, v0
	s_cbranch_vccnz .LBB1528_8
; %bb.7:
	s_add_i32 s6, s42, s6
	v_or_b32_e32 v2, 0x100, v0
	v_add_u32_e32 v5, s6, v2
	v_cmp_gt_u32_e32 vcc, s33, v2
	v_cndmask_b32_e32 v2, 0, v5, vcc
	v_or_b32_e32 v5, 0x200, v0
	v_add_u32_e32 v6, s6, v5
	v_cmp_gt_u32_e32 vcc, s33, v5
	v_cndmask_b32_e32 v5, 0, v6, vcc
	;; [unrolled: 4-line block ×10, first 2 shown]
	v_or_b32_e32 v14, 0xb00, v0
	v_add_u32_e32 v15, s6, v14
	v_cmp_gt_u32_e32 vcc, s33, v14
	v_add_u32_e32 v1, s6, v0
	v_cndmask_b32_e32 v14, 0, v15, vcc
	v_or_b32_e32 v15, 0xc00, v0
	v_cndmask_b32_e64 v1, 0, v1, s[2:3]
	v_add_u32_e32 v16, s6, v15
	v_cmp_gt_u32_e32 vcc, s33, v15
	v_cndmask_b32_e32 v15, 0, v16, vcc
	ds_write2st64_b32 v25, v1, v2 offset1:4
	ds_write2st64_b32 v25, v5, v6 offset0:8 offset1:12
	ds_write2st64_b32 v25, v7, v8 offset0:16 offset1:20
	;; [unrolled: 1-line block ×5, first 2 shown]
	ds_write_b32 v25, v15 offset:12288
	s_waitcnt vmcnt(0) lgkmcnt(0)
	s_barrier
.LBB1528_8:
	v_mul_u32_u24_e32 v27, 13, v0
	v_lshlrev_b32_e32 v1, 2, v27
	ds_read2_b32 v[15:16], v1 offset1:1
	ds_read2_b32 v[13:14], v1 offset0:2 offset1:3
	ds_read2_b32 v[11:12], v1 offset0:4 offset1:5
	;; [unrolled: 1-line block ×5, first 2 shown]
	ds_read_b32 v26, v1 offset:48
	v_cndmask_b32_e64 v1, 0, 1, s[4:5]
	v_cmp_ne_u32_e64 s[2:3], 1, v1
	s_andn2_b64 vcc, exec, s[4:5]
	s_waitcnt vmcnt(0) lgkmcnt(0)
	s_barrier
	s_cbranch_vccnz .LBB1528_10
; %bb.9:
	v_add_u32_e32 v1, s9, v15
	v_add_u32_e32 v2, s11, v15
	v_mul_lo_u32 v1, v1, s8
	v_mul_lo_u32 v2, v2, s10
	v_add_u32_e32 v17, s9, v13
	v_add_u32_e32 v18, s11, v13
	v_mul_lo_u32 v17, v17, s8
	v_sub_u32_e32 v1, v1, v2
	v_cmp_lt_u32_e32 vcc, s14, v1
	v_add_u32_e32 v1, s9, v16
	v_add_u32_e32 v2, s11, v16
	v_mul_lo_u32 v1, v1, s8
	v_mul_lo_u32 v2, v2, s10
	;; [unrolled: 1-line block ×3, first 2 shown]
	v_cndmask_b32_e64 v28, 0, 1, vcc
	v_sub_u32_e32 v1, v1, v2
	v_cmp_lt_u32_e32 vcc, s14, v1
	v_sub_u32_e32 v1, v17, v18
	v_cndmask_b32_e64 v29, 0, 1, vcc
	v_cmp_lt_u32_e32 vcc, s14, v1
	v_add_u32_e32 v1, s9, v14
	v_add_u32_e32 v2, s11, v14
	v_mul_lo_u32 v1, v1, s8
	v_mul_lo_u32 v2, v2, s10
	v_add_u32_e32 v17, s9, v11
	v_add_u32_e32 v18, s11, v11
	v_mul_lo_u32 v17, v17, s8
	v_mul_lo_u32 v18, v18, s10
	v_sub_u32_e32 v1, v1, v2
	v_cndmask_b32_e64 v30, 0, 1, vcc
	v_cmp_lt_u32_e32 vcc, s14, v1
	v_sub_u32_e32 v1, v17, v18
	v_cndmask_b32_e64 v31, 0, 1, vcc
	v_cmp_lt_u32_e32 vcc, s14, v1
	v_add_u32_e32 v1, s9, v12
	v_add_u32_e32 v2, s11, v12
	v_mul_lo_u32 v1, v1, s8
	v_mul_lo_u32 v2, v2, s10
	v_add_u32_e32 v17, s9, v9
	v_add_u32_e32 v18, s11, v9
	v_mul_lo_u32 v17, v17, s8
	v_mul_lo_u32 v18, v18, s10
	v_sub_u32_e32 v1, v1, v2
	v_cndmask_b32_e64 v32, 0, 1, vcc
	v_cmp_lt_u32_e32 vcc, s14, v1
	v_sub_u32_e32 v1, v17, v18
	v_cndmask_b32_e64 v33, 0, 1, vcc
	v_cmp_lt_u32_e32 vcc, s14, v1
	v_add_u32_e32 v1, s9, v10
	v_add_u32_e32 v2, s11, v10
	v_mul_lo_u32 v1, v1, s8
	v_mul_lo_u32 v2, v2, s10
	v_add_u32_e32 v17, s9, v7
	v_add_u32_e32 v18, s11, v7
	v_mul_lo_u32 v17, v17, s8
	v_mul_lo_u32 v18, v18, s10
	v_sub_u32_e32 v1, v1, v2
	v_cndmask_b32_e64 v34, 0, 1, vcc
	v_cmp_lt_u32_e32 vcc, s14, v1
	v_sub_u32_e32 v1, v17, v18
	v_cndmask_b32_e64 v35, 0, 1, vcc
	v_cmp_lt_u32_e32 vcc, s14, v1
	v_add_u32_e32 v1, s9, v8
	v_add_u32_e32 v2, s11, v8
	v_mul_lo_u32 v1, v1, s8
	v_mul_lo_u32 v2, v2, s10
	v_add_u32_e32 v17, s9, v5
	v_add_u32_e32 v18, s11, v5
	v_mul_lo_u32 v17, v17, s8
	v_mul_lo_u32 v18, v18, s10
	v_sub_u32_e32 v1, v1, v2
	v_cndmask_b32_e64 v36, 0, 1, vcc
	v_cmp_lt_u32_e32 vcc, s14, v1
	v_sub_u32_e32 v1, v17, v18
	v_cndmask_b32_e64 v37, 0, 1, vcc
	v_cmp_lt_u32_e32 vcc, s14, v1
	v_add_u32_e32 v1, s9, v6
	v_add_u32_e32 v2, s11, v6
	v_mul_lo_u32 v1, v1, s8
	v_mul_lo_u32 v2, v2, s10
	v_add_u32_e32 v17, s9, v26
	v_add_u32_e32 v18, s11, v26
	v_mul_lo_u32 v17, v17, s8
	v_mul_lo_u32 v18, v18, s10
	v_sub_u32_e32 v1, v1, v2
	v_cndmask_b32_e64 v38, 0, 1, vcc
	v_cmp_lt_u32_e32 vcc, s14, v1
	v_sub_u32_e32 v1, v17, v18
	v_cndmask_b32_e64 v39, 0, 1, vcc
	v_cmp_lt_u32_e64 s[36:37], s14, v1
	s_cbranch_execz .LBB1528_11
	s_branch .LBB1528_38
.LBB1528_10:
                                        ; implicit-def: $sgpr36_sgpr37
                                        ; implicit-def: $vgpr39
                                        ; implicit-def: $vgpr38
                                        ; implicit-def: $vgpr37
                                        ; implicit-def: $vgpr36
                                        ; implicit-def: $vgpr35
                                        ; implicit-def: $vgpr34
                                        ; implicit-def: $vgpr33
                                        ; implicit-def: $vgpr32
                                        ; implicit-def: $vgpr28
                                        ; implicit-def: $vgpr29
                                        ; implicit-def: $vgpr30
                                        ; implicit-def: $vgpr31
.LBB1528_11:
	v_cmp_gt_u32_e32 vcc, s33, v27
	v_mov_b32_e32 v29, 0
	v_mov_b32_e32 v28, 0
	s_and_saveexec_b64 s[4:5], vcc
	s_cbranch_execz .LBB1528_13
; %bb.12:
	v_add_u32_e32 v1, s9, v15
	v_add_u32_e32 v2, s11, v15
	v_mul_lo_u32 v1, v1, s8
	v_mul_lo_u32 v2, v2, s10
	v_sub_u32_e32 v1, v1, v2
	v_cmp_lt_u32_e32 vcc, s14, v1
	v_cndmask_b32_e64 v28, 0, 1, vcc
.LBB1528_13:
	s_or_b64 exec, exec, s[4:5]
	v_add_u32_e32 v1, 1, v27
	v_cmp_gt_u32_e32 vcc, s33, v1
	s_and_saveexec_b64 s[4:5], vcc
	s_cbranch_execz .LBB1528_15
; %bb.14:
	v_add_u32_e32 v1, s9, v16
	v_add_u32_e32 v2, s11, v16
	v_mul_lo_u32 v1, v1, s8
	v_mul_lo_u32 v2, v2, s10
	v_sub_u32_e32 v1, v1, v2
	v_cmp_lt_u32_e32 vcc, s14, v1
	v_cndmask_b32_e64 v29, 0, 1, vcc
.LBB1528_15:
	s_or_b64 exec, exec, s[4:5]
	v_add_u32_e32 v1, 2, v27
	v_cmp_gt_u32_e32 vcc, s33, v1
	v_mov_b32_e32 v31, 0
	v_mov_b32_e32 v30, 0
	s_and_saveexec_b64 s[4:5], vcc
	s_cbranch_execz .LBB1528_17
; %bb.16:
	v_add_u32_e32 v1, s9, v13
	v_add_u32_e32 v2, s11, v13
	v_mul_lo_u32 v1, v1, s8
	v_mul_lo_u32 v2, v2, s10
	v_sub_u32_e32 v1, v1, v2
	v_cmp_lt_u32_e32 vcc, s14, v1
	v_cndmask_b32_e64 v30, 0, 1, vcc
.LBB1528_17:
	s_or_b64 exec, exec, s[4:5]
	v_add_u32_e32 v1, 3, v27
	v_cmp_gt_u32_e32 vcc, s33, v1
	s_and_saveexec_b64 s[4:5], vcc
	s_cbranch_execz .LBB1528_19
; %bb.18:
	v_add_u32_e32 v1, s9, v14
	v_add_u32_e32 v2, s11, v14
	v_mul_lo_u32 v1, v1, s8
	v_mul_lo_u32 v2, v2, s10
	v_sub_u32_e32 v1, v1, v2
	v_cmp_lt_u32_e32 vcc, s14, v1
	v_cndmask_b32_e64 v31, 0, 1, vcc
.LBB1528_19:
	s_or_b64 exec, exec, s[4:5]
	v_add_u32_e32 v1, 4, v27
	;; [unrolled: 30-line block ×6, first 2 shown]
	v_cmp_gt_u32_e32 vcc, s33, v1
	s_mov_b64 s[36:37], 0
	s_and_saveexec_b64 s[4:5], vcc
	s_cbranch_execz .LBB1528_37
; %bb.36:
	v_add_u32_e32 v1, s9, v26
	v_add_u32_e32 v2, s11, v26
	v_mul_lo_u32 v1, v1, s8
	v_mul_lo_u32 v2, v2, s10
	v_sub_u32_e32 v1, v1, v2
	v_cmp_lt_u32_e32 vcc, s14, v1
	s_and_b64 s[36:37], vcc, exec
.LBB1528_37:
	s_or_b64 exec, exec, s[4:5]
.LBB1528_38:
	v_and_b32_e32 v42, 0xff, v29
	v_and_b32_e32 v43, 0xff, v30
	;; [unrolled: 1-line block ×5, first 2 shown]
	v_add3_u32 v2, v43, v44, v42
	v_and_b32_e32 v46, 0xff, v33
	v_and_b32_e32 v47, 0xff, v34
	v_add3_u32 v2, v2, v41, v45
	v_and_b32_e32 v48, 0xff, v35
	v_and_b32_e32 v49, 0xff, v36
	;; [unrolled: 3-line block ×3, first 2 shown]
	v_add3_u32 v2, v2, v48, v49
	v_and_b32_e32 v40, 0xff, v39
	v_cndmask_b32_e64 v1, 0, 1, s[36:37]
	v_add3_u32 v2, v2, v50, v51
	v_add3_u32 v54, v2, v40, v1
	v_mbcnt_lo_u32_b32 v1, -1, 0
	v_mbcnt_hi_u32_b32 v52, -1, v1
	v_and_b32_e32 v1, 15, v52
	v_cmp_eq_u32_e64 s[16:17], 0, v1
	v_cmp_lt_u32_e64 s[14:15], 1, v1
	v_cmp_lt_u32_e64 s[12:13], 3, v1
	;; [unrolled: 1-line block ×3, first 2 shown]
	v_and_b32_e32 v1, 16, v52
	v_cmp_eq_u32_e64 s[8:9], 0, v1
	v_or_b32_e32 v1, 63, v0
	s_cmp_lg_u32 s43, 0
	v_cmp_lt_u32_e64 s[4:5], 31, v52
	v_lshrrev_b32_e32 v53, 6, v0
	v_cmp_eq_u32_e64 s[6:7], v0, v1
	s_cbranch_scc0 .LBB1528_60
; %bb.39:
	v_mov_b32_dpp v1, v54 row_shr:1 row_mask:0xf bank_mask:0xf
	v_cndmask_b32_e64 v1, v1, 0, s[16:17]
	v_add_u32_e32 v1, v1, v54
	s_nop 1
	v_mov_b32_dpp v2, v1 row_shr:2 row_mask:0xf bank_mask:0xf
	v_cndmask_b32_e64 v2, 0, v2, s[14:15]
	v_add_u32_e32 v1, v1, v2
	s_nop 1
	;; [unrolled: 4-line block ×4, first 2 shown]
	v_mov_b32_dpp v2, v1 row_bcast:15 row_mask:0xf bank_mask:0xf
	v_cndmask_b32_e64 v2, v2, 0, s[8:9]
	v_add_u32_e32 v1, v1, v2
	s_nop 1
	v_mov_b32_dpp v2, v1 row_bcast:31 row_mask:0xf bank_mask:0xf
	v_cndmask_b32_e64 v2, 0, v2, s[4:5]
	v_add_u32_e32 v1, v1, v2
	s_and_saveexec_b64 s[18:19], s[6:7]
; %bb.40:
	v_lshlrev_b32_e32 v2, 2, v53
	ds_write_b32 v2, v1
; %bb.41:
	s_or_b64 exec, exec, s[18:19]
	v_cmp_gt_u32_e32 vcc, 4, v0
	s_waitcnt lgkmcnt(0)
	s_barrier
	s_and_saveexec_b64 s[18:19], vcc
	s_cbranch_execz .LBB1528_43
; %bb.42:
	ds_read_b32 v2, v25
	v_and_b32_e32 v17, 3, v52
	v_cmp_ne_u32_e32 vcc, 0, v17
	s_waitcnt lgkmcnt(0)
	v_mov_b32_dpp v18, v2 row_shr:1 row_mask:0xf bank_mask:0xf
	v_cndmask_b32_e32 v18, 0, v18, vcc
	v_add_u32_e32 v2, v18, v2
	v_cmp_lt_u32_e32 vcc, 1, v17
	s_nop 0
	v_mov_b32_dpp v18, v2 row_shr:2 row_mask:0xf bank_mask:0xf
	v_cndmask_b32_e32 v17, 0, v18, vcc
	v_add_u32_e32 v2, v2, v17
	ds_write_b32 v25, v2
.LBB1528_43:
	s_or_b64 exec, exec, s[18:19]
	v_cmp_gt_u32_e32 vcc, 64, v0
	v_cmp_lt_u32_e64 s[18:19], 63, v0
	s_waitcnt lgkmcnt(0)
	s_barrier
                                        ; implicit-def: $vgpr55
	s_and_saveexec_b64 s[20:21], s[18:19]
	s_cbranch_execz .LBB1528_45
; %bb.44:
	v_lshl_add_u32 v2, v53, 2, -4
	ds_read_b32 v55, v2
	s_waitcnt lgkmcnt(0)
	v_add_u32_e32 v1, v55, v1
.LBB1528_45:
	s_or_b64 exec, exec, s[20:21]
	v_subrev_co_u32_e64 v2, s[18:19], 1, v52
	v_and_b32_e32 v17, 64, v52
	v_cmp_lt_i32_e64 s[20:21], v2, v17
	v_cndmask_b32_e64 v2, v2, v52, s[20:21]
	v_lshlrev_b32_e32 v2, 2, v2
	ds_bpermute_b32 v56, v2, v1
	s_and_saveexec_b64 s[20:21], vcc
	s_cbranch_execz .LBB1528_65
; %bb.46:
	v_mov_b32_e32 v21, 0
	ds_read_b32 v1, v21 offset:12
	s_and_saveexec_b64 s[38:39], s[18:19]
	s_cbranch_execz .LBB1528_48
; %bb.47:
	s_add_i32 s40, s43, 64
	s_mov_b32 s41, 0
	s_lshl_b64 s[40:41], s[40:41], 3
	s_add_u32 s40, s34, s40
	v_mov_b32_e32 v2, 1
	s_addc_u32 s41, s35, s41
	s_waitcnt lgkmcnt(0)
	global_store_dwordx2 v21, v[1:2], s[40:41]
.LBB1528_48:
	s_or_b64 exec, exec, s[38:39]
	v_xad_u32 v17, v52, -1, s43
	v_add_u32_e32 v20, 64, v17
	v_lshlrev_b64 v[18:19], 3, v[20:21]
	v_mov_b32_e32 v2, s35
	v_add_co_u32_e32 v22, vcc, s34, v18
	v_addc_co_u32_e32 v23, vcc, v2, v19, vcc
	global_load_dwordx2 v[19:20], v[22:23], off glc
	s_waitcnt vmcnt(0)
	v_cmp_eq_u16_sdwa s[40:41], v20, v21 src0_sel:BYTE_0 src1_sel:DWORD
	s_and_saveexec_b64 s[38:39], s[40:41]
	s_cbranch_execz .LBB1528_52
; %bb.49:
	s_mov_b64 s[40:41], 0
	v_mov_b32_e32 v2, 0
.LBB1528_50:                            ; =>This Inner Loop Header: Depth=1
	global_load_dwordx2 v[19:20], v[22:23], off glc
	s_waitcnt vmcnt(0)
	v_cmp_ne_u16_sdwa s[44:45], v20, v2 src0_sel:BYTE_0 src1_sel:DWORD
	s_or_b64 s[40:41], s[44:45], s[40:41]
	s_andn2_b64 exec, exec, s[40:41]
	s_cbranch_execnz .LBB1528_50
; %bb.51:
	s_or_b64 exec, exec, s[40:41]
.LBB1528_52:
	s_or_b64 exec, exec, s[38:39]
	v_and_b32_e32 v58, 63, v52
	v_mov_b32_e32 v57, 2
	v_lshlrev_b64 v[21:22], v52, -1
	v_cmp_ne_u32_e32 vcc, 63, v58
	v_cmp_eq_u16_sdwa s[38:39], v20, v57 src0_sel:BYTE_0 src1_sel:DWORD
	v_addc_co_u32_e32 v23, vcc, 0, v52, vcc
	v_and_b32_e32 v2, s39, v22
	v_lshlrev_b32_e32 v59, 2, v23
	v_or_b32_e32 v2, 0x80000000, v2
	ds_bpermute_b32 v23, v59, v19
	v_and_b32_e32 v18, s38, v21
	v_ffbl_b32_e32 v2, v2
	v_add_u32_e32 v2, 32, v2
	v_ffbl_b32_e32 v18, v18
	v_min_u32_e32 v2, v18, v2
	v_cmp_lt_u32_e32 vcc, v58, v2
	s_waitcnt lgkmcnt(0)
	v_cndmask_b32_e32 v18, 0, v23, vcc
	v_cmp_gt_u32_e32 vcc, 62, v58
	v_add_u32_e32 v18, v18, v19
	v_cndmask_b32_e64 v19, 0, 2, vcc
	v_add_lshl_u32 v60, v19, v52, 2
	ds_bpermute_b32 v19, v60, v18
	v_add_u32_e32 v61, 2, v58
	v_cmp_le_u32_e32 vcc, v61, v2
	v_add_u32_e32 v63, 4, v58
	v_add_u32_e32 v65, 8, v58
	s_waitcnt lgkmcnt(0)
	v_cndmask_b32_e32 v19, 0, v19, vcc
	v_cmp_gt_u32_e32 vcc, 60, v58
	v_add_u32_e32 v18, v18, v19
	v_cndmask_b32_e64 v19, 0, 4, vcc
	v_add_lshl_u32 v62, v19, v52, 2
	ds_bpermute_b32 v19, v62, v18
	v_cmp_le_u32_e32 vcc, v63, v2
	v_add_u32_e32 v67, 16, v58
	v_add_u32_e32 v69, 32, v58
	s_waitcnt lgkmcnt(0)
	v_cndmask_b32_e32 v19, 0, v19, vcc
	v_cmp_gt_u32_e32 vcc, 56, v58
	v_add_u32_e32 v18, v18, v19
	v_cndmask_b32_e64 v19, 0, 8, vcc
	v_add_lshl_u32 v64, v19, v52, 2
	ds_bpermute_b32 v19, v64, v18
	v_cmp_le_u32_e32 vcc, v65, v2
	s_waitcnt lgkmcnt(0)
	v_cndmask_b32_e32 v19, 0, v19, vcc
	v_cmp_gt_u32_e32 vcc, 48, v58
	v_add_u32_e32 v18, v18, v19
	v_cndmask_b32_e64 v19, 0, 16, vcc
	v_add_lshl_u32 v66, v19, v52, 2
	ds_bpermute_b32 v19, v66, v18
	v_cmp_le_u32_e32 vcc, v67, v2
	s_waitcnt lgkmcnt(0)
	v_cndmask_b32_e32 v19, 0, v19, vcc
	v_add_u32_e32 v18, v18, v19
	v_mov_b32_e32 v19, 0x80
	v_lshl_or_b32 v68, v52, 2, v19
	ds_bpermute_b32 v19, v68, v18
	v_cmp_le_u32_e32 vcc, v69, v2
	s_waitcnt lgkmcnt(0)
	v_cndmask_b32_e32 v2, 0, v19, vcc
	v_add_u32_e32 v19, v18, v2
	v_mov_b32_e32 v18, 0
	s_branch .LBB1528_56
.LBB1528_53:                            ;   in Loop: Header=BB1528_56 Depth=1
	s_or_b64 exec, exec, s[40:41]
.LBB1528_54:                            ;   in Loop: Header=BB1528_56 Depth=1
	s_or_b64 exec, exec, s[38:39]
	v_cmp_eq_u16_sdwa s[38:39], v20, v57 src0_sel:BYTE_0 src1_sel:DWORD
	v_and_b32_e32 v23, s39, v22
	v_or_b32_e32 v23, 0x80000000, v23
	ds_bpermute_b32 v70, v59, v19
	v_and_b32_e32 v24, s38, v21
	v_ffbl_b32_e32 v23, v23
	v_add_u32_e32 v23, 32, v23
	v_ffbl_b32_e32 v24, v24
	v_min_u32_e32 v23, v24, v23
	v_cmp_lt_u32_e32 vcc, v58, v23
	s_waitcnt lgkmcnt(0)
	v_cndmask_b32_e32 v24, 0, v70, vcc
	v_add_u32_e32 v19, v24, v19
	ds_bpermute_b32 v24, v60, v19
	v_cmp_le_u32_e32 vcc, v61, v23
	v_subrev_u32_e32 v17, 64, v17
	s_mov_b64 s[38:39], 0
	s_waitcnt lgkmcnt(0)
	v_cndmask_b32_e32 v24, 0, v24, vcc
	v_add_u32_e32 v19, v19, v24
	ds_bpermute_b32 v24, v62, v19
	v_cmp_le_u32_e32 vcc, v63, v23
	s_waitcnt lgkmcnt(0)
	v_cndmask_b32_e32 v24, 0, v24, vcc
	v_add_u32_e32 v19, v19, v24
	ds_bpermute_b32 v24, v64, v19
	v_cmp_le_u32_e32 vcc, v65, v23
	;; [unrolled: 5-line block ×4, first 2 shown]
	s_waitcnt lgkmcnt(0)
	v_cndmask_b32_e32 v23, 0, v24, vcc
	v_add3_u32 v19, v23, v2, v19
.LBB1528_55:                            ;   in Loop: Header=BB1528_56 Depth=1
	s_and_b64 vcc, exec, s[38:39]
	s_cbranch_vccnz .LBB1528_61
.LBB1528_56:                            ; =>This Loop Header: Depth=1
                                        ;     Child Loop BB1528_59 Depth 2
	v_cmp_ne_u16_sdwa s[38:39], v20, v57 src0_sel:BYTE_0 src1_sel:DWORD
	v_mov_b32_e32 v2, v19
	s_cmp_lg_u64 s[38:39], exec
	s_mov_b64 s[38:39], -1
                                        ; implicit-def: $vgpr19
                                        ; implicit-def: $vgpr20
	s_cbranch_scc1 .LBB1528_55
; %bb.57:                               ;   in Loop: Header=BB1528_56 Depth=1
	v_lshlrev_b64 v[19:20], 3, v[17:18]
	v_mov_b32_e32 v24, s35
	v_add_co_u32_e32 v23, vcc, s34, v19
	v_addc_co_u32_e32 v24, vcc, v24, v20, vcc
	global_load_dwordx2 v[19:20], v[23:24], off glc
	s_waitcnt vmcnt(0)
	v_cmp_eq_u16_sdwa s[40:41], v20, v18 src0_sel:BYTE_0 src1_sel:DWORD
	s_and_saveexec_b64 s[38:39], s[40:41]
	s_cbranch_execz .LBB1528_54
; %bb.58:                               ;   in Loop: Header=BB1528_56 Depth=1
	s_mov_b64 s[40:41], 0
.LBB1528_59:                            ;   Parent Loop BB1528_56 Depth=1
                                        ; =>  This Inner Loop Header: Depth=2
	global_load_dwordx2 v[19:20], v[23:24], off glc
	s_waitcnt vmcnt(0)
	v_cmp_ne_u16_sdwa s[44:45], v20, v18 src0_sel:BYTE_0 src1_sel:DWORD
	s_or_b64 s[40:41], s[44:45], s[40:41]
	s_andn2_b64 exec, exec, s[40:41]
	s_cbranch_execnz .LBB1528_59
	s_branch .LBB1528_53
.LBB1528_60:
                                        ; implicit-def: $vgpr2
                                        ; implicit-def: $vgpr17
	s_cbranch_execnz .LBB1528_66
	s_branch .LBB1528_75
.LBB1528_61:
	s_and_saveexec_b64 s[38:39], s[18:19]
	s_cbranch_execz .LBB1528_63
; %bb.62:
	s_add_i32 s40, s43, 64
	s_mov_b32 s41, 0
	s_lshl_b64 s[40:41], s[40:41], 3
	s_add_u32 s40, s34, s40
	v_add_u32_e32 v17, v2, v1
	v_mov_b32_e32 v18, 2
	s_addc_u32 s41, s35, s41
	v_mov_b32_e32 v19, 0
	global_store_dwordx2 v19, v[17:18], s[40:41]
	ds_write_b64 v19, v[1:2] offset:13312
.LBB1528_63:
	s_or_b64 exec, exec, s[38:39]
	s_and_b64 exec, exec, s[0:1]
; %bb.64:
	v_mov_b32_e32 v1, 0
	ds_write_b32 v1, v2 offset:12
.LBB1528_65:
	s_or_b64 exec, exec, s[20:21]
	v_mov_b32_e32 v1, 0
	s_waitcnt vmcnt(0) lgkmcnt(0)
	s_barrier
	ds_read_b32 v17, v1 offset:12
	s_waitcnt lgkmcnt(0)
	s_barrier
	ds_read_b64 v[1:2], v1 offset:13312
	v_cndmask_b32_e64 v18, v56, v55, s[18:19]
	v_cndmask_b32_e64 v18, v18, 0, s[0:1]
	v_add_u32_e32 v17, v17, v18
	s_branch .LBB1528_75
.LBB1528_66:
	s_waitcnt lgkmcnt(0)
	v_mov_b32_dpp v1, v54 row_shr:1 row_mask:0xf bank_mask:0xf
	v_cndmask_b32_e64 v1, v1, 0, s[16:17]
	v_add_u32_e32 v1, v1, v54
	s_nop 1
	v_mov_b32_dpp v2, v1 row_shr:2 row_mask:0xf bank_mask:0xf
	v_cndmask_b32_e64 v2, 0, v2, s[14:15]
	v_add_u32_e32 v1, v1, v2
	s_nop 1
	;; [unrolled: 4-line block ×4, first 2 shown]
	v_mov_b32_dpp v2, v1 row_bcast:15 row_mask:0xf bank_mask:0xf
	v_cndmask_b32_e64 v2, v2, 0, s[8:9]
	v_add_u32_e32 v1, v1, v2
	s_nop 1
	v_mov_b32_dpp v2, v1 row_bcast:31 row_mask:0xf bank_mask:0xf
	v_cndmask_b32_e64 v2, 0, v2, s[4:5]
	v_add_u32_e32 v1, v1, v2
	s_and_saveexec_b64 s[4:5], s[6:7]
; %bb.67:
	v_lshlrev_b32_e32 v2, 2, v53
	ds_write_b32 v2, v1
; %bb.68:
	s_or_b64 exec, exec, s[4:5]
	v_cmp_gt_u32_e32 vcc, 4, v0
	s_waitcnt lgkmcnt(0)
	s_barrier
	s_and_saveexec_b64 s[4:5], vcc
	s_cbranch_execz .LBB1528_70
; %bb.69:
	ds_read_b32 v2, v25
	v_and_b32_e32 v17, 3, v52
	v_cmp_ne_u32_e32 vcc, 0, v17
	s_waitcnt lgkmcnt(0)
	v_mov_b32_dpp v18, v2 row_shr:1 row_mask:0xf bank_mask:0xf
	v_cndmask_b32_e32 v18, 0, v18, vcc
	v_add_u32_e32 v2, v18, v2
	v_cmp_lt_u32_e32 vcc, 1, v17
	s_nop 0
	v_mov_b32_dpp v18, v2 row_shr:2 row_mask:0xf bank_mask:0xf
	v_cndmask_b32_e32 v17, 0, v18, vcc
	v_add_u32_e32 v2, v2, v17
	ds_write_b32 v25, v2
.LBB1528_70:
	s_or_b64 exec, exec, s[4:5]
	v_cmp_lt_u32_e32 vcc, 63, v0
	v_mov_b32_e32 v2, 0
	v_mov_b32_e32 v17, 0
	s_waitcnt lgkmcnt(0)
	s_barrier
	s_and_saveexec_b64 s[4:5], vcc
; %bb.71:
	v_lshl_add_u32 v17, v53, 2, -4
	ds_read_b32 v17, v17
; %bb.72:
	s_or_b64 exec, exec, s[4:5]
	v_subrev_co_u32_e32 v18, vcc, 1, v52
	v_and_b32_e32 v19, 64, v52
	v_cmp_lt_i32_e64 s[4:5], v18, v19
	v_cndmask_b32_e64 v18, v18, v52, s[4:5]
	s_waitcnt lgkmcnt(0)
	v_add_u32_e32 v1, v17, v1
	v_lshlrev_b32_e32 v18, 2, v18
	ds_bpermute_b32 v18, v18, v1
	ds_read_b32 v1, v2 offset:12
	s_and_saveexec_b64 s[4:5], s[0:1]
	s_cbranch_execz .LBB1528_74
; %bb.73:
	v_mov_b32_e32 v19, 0
	v_mov_b32_e32 v2, 2
	s_waitcnt lgkmcnt(0)
	global_store_dwordx2 v19, v[1:2], s[34:35] offset:512
.LBB1528_74:
	s_or_b64 exec, exec, s[4:5]
	s_waitcnt lgkmcnt(1)
	v_cndmask_b32_e32 v2, v18, v17, vcc
	v_cndmask_b32_e64 v17, v2, 0, s[0:1]
	s_waitcnt vmcnt(0) lgkmcnt(0)
	s_barrier
	v_mov_b32_e32 v2, 0
.LBB1528_75:
	v_add_u32_e32 v18, v17, v41
	v_add_u32_e32 v19, v18, v42
	;; [unrolled: 1-line block ×4, first 2 shown]
	s_waitcnt lgkmcnt(0)
	v_add_u32_e32 v27, v1, v27
	v_sub_u32_e32 v17, v17, v2
	v_and_b32_e32 v28, 1, v28
	v_add_u32_e32 v22, v21, v45
	v_sub_u32_e32 v45, v27, v17
	v_cmp_eq_u32_e32 vcc, 1, v28
	v_cndmask_b32_e32 v17, v45, v17, vcc
	v_lshlrev_b32_e32 v17, 2, v17
	ds_write_b32 v17, v15
	v_sub_u32_e32 v15, v18, v2
	v_sub_u32_e32 v17, v27, v15
	v_and_b32_e32 v18, 1, v29
	v_add_u32_e32 v17, 1, v17
	v_cmp_eq_u32_e32 vcc, 1, v18
	v_cndmask_b32_e32 v15, v17, v15, vcc
	v_lshlrev_b32_e32 v15, 2, v15
	ds_write_b32 v15, v16
	v_sub_u32_e32 v15, v19, v2
	v_sub_u32_e32 v16, v27, v15
	v_and_b32_e32 v17, 1, v30
	v_add_u32_e32 v16, 2, v16
	v_cmp_eq_u32_e32 vcc, 1, v17
	v_cndmask_b32_e32 v15, v16, v15, vcc
	v_lshlrev_b32_e32 v15, 2, v15
	ds_write_b32 v15, v13
	v_sub_u32_e32 v13, v20, v2
	v_sub_u32_e32 v15, v27, v13
	v_and_b32_e32 v16, 1, v31
	v_add_u32_e32 v15, 3, v15
	v_cmp_eq_u32_e32 vcc, 1, v16
	v_cndmask_b32_e32 v13, v15, v13, vcc
	v_lshlrev_b32_e32 v13, 2, v13
	ds_write_b32 v13, v14
	v_sub_u32_e32 v13, v21, v2
	v_sub_u32_e32 v14, v27, v13
	v_and_b32_e32 v15, 1, v32
	v_add_u32_e32 v14, 4, v14
	v_cmp_eq_u32_e32 vcc, 1, v15
	v_cndmask_b32_e32 v13, v14, v13, vcc
	v_lshlrev_b32_e32 v13, 2, v13
	ds_write_b32 v13, v11
	v_sub_u32_e32 v11, v22, v2
	v_sub_u32_e32 v13, v27, v11
	v_and_b32_e32 v14, 1, v33
	v_add_u32_e32 v13, 5, v13
	v_cmp_eq_u32_e32 vcc, 1, v14
	v_cndmask_b32_e32 v11, v13, v11, vcc
	v_add_u32_e32 v23, v22, v46
	v_lshlrev_b32_e32 v11, 2, v11
	ds_write_b32 v11, v12
	v_sub_u32_e32 v11, v23, v2
	v_sub_u32_e32 v12, v27, v11
	v_and_b32_e32 v13, 1, v34
	v_add_u32_e32 v12, 6, v12
	v_cmp_eq_u32_e32 vcc, 1, v13
	v_cndmask_b32_e32 v11, v12, v11, vcc
	v_add_u32_e32 v24, v23, v47
	v_lshlrev_b32_e32 v11, 2, v11
	ds_write_b32 v11, v9
	v_sub_u32_e32 v9, v24, v2
	v_sub_u32_e32 v11, v27, v9
	v_and_b32_e32 v12, 1, v35
	v_add_u32_e32 v11, 7, v11
	;; [unrolled: 9-line block ×6, first 2 shown]
	v_cmp_eq_u32_e32 vcc, 1, v8
	v_cndmask_b32_e32 v5, v7, v5, vcc
	v_lshlrev_b32_e32 v5, 2, v5
	ds_write_b32 v5, v6
	v_sub_u32_e32 v5, v40, v2
	v_add_u32_e32 v5, v44, v5
	v_sub_u32_e32 v6, v27, v5
	v_add_u32_e32 v6, 12, v6
	v_cndmask_b32_e64 v5, v6, v5, s[36:37]
	v_lshlrev_b32_e32 v5, 2, v5
	ds_write_b32 v5, v26
	s_waitcnt lgkmcnt(0)
	s_barrier
	ds_read2st64_b32 v[15:16], v25 offset1:4
	ds_read2st64_b32 v[13:14], v25 offset0:8 offset1:12
	ds_read2st64_b32 v[11:12], v25 offset0:16 offset1:20
	;; [unrolled: 1-line block ×5, first 2 shown]
	ds_read_b32 v18, v25 offset:12288
	s_and_b64 vcc, exec, s[2:3]
	v_add_co_u32_e64 v17, s[2:3], v3, v2
	v_or_b32_e32 v32, 0x100, v0
	v_or_b32_e32 v30, 0x200, v0
	v_or_b32_e32 v29, 0x300, v0
	v_or_b32_e32 v28, 0x400, v0
	v_or_b32_e32 v27, 0x500, v0
	v_or_b32_e32 v26, 0x600, v0
	v_or_b32_e32 v24, 0x700, v0
	v_or_b32_e32 v23, 0x800, v0
	v_or_b32_e32 v22, 0x900, v0
	v_or_b32_e32 v21, 0xa00, v0
	v_or_b32_e32 v20, 0xb00, v0
	v_or_b32_e32 v19, 0xc00, v0
	v_addc_co_u32_e64 v4, s[2:3], 0, v4, s[2:3]
	s_cbranch_vccnz .LBB1528_132
; %bb.76:
	v_mov_b32_e32 v2, s29
	v_subrev_co_u32_e32 v3, vcc, s28, v17
	s_sub_u32 s2, s30, s42
	v_subb_co_u32_e32 v2, vcc, v4, v2, vcc
	s_subb_u32 s3, s31, 0
	v_mov_b32_e32 v25, s3
	v_add_co_u32_e32 v31, vcc, s2, v1
	v_addc_co_u32_e32 v33, vcc, 0, v25, vcc
	v_add_co_u32_e32 v25, vcc, v31, v3
	v_addc_co_u32_e32 v31, vcc, v33, v2, vcc
	v_cmp_ge_u32_e32 vcc, v0, v1
                                        ; implicit-def: $vgpr2_vgpr3
	s_and_saveexec_b64 s[2:3], vcc
	s_xor_b64 s[2:3], exec, s[2:3]
; %bb.77:
	v_not_b32_e32 v2, v0
	v_ashrrev_i32_e32 v3, 31, v2
	v_add_co_u32_e32 v2, vcc, v25, v2
	v_addc_co_u32_e32 v3, vcc, v31, v3, vcc
; %bb.78:
	s_andn2_saveexec_b64 s[2:3], s[2:3]
; %bb.79:
	v_add_co_u32_e32 v2, vcc, v17, v0
	v_addc_co_u32_e32 v3, vcc, 0, v4, vcc
; %bb.80:
	s_or_b64 exec, exec, s[2:3]
	v_lshlrev_b64 v[2:3], 2, v[2:3]
	v_mov_b32_e32 v33, s23
	v_add_co_u32_e32 v2, vcc, s22, v2
	v_addc_co_u32_e32 v3, vcc, v33, v3, vcc
	v_cmp_ge_u32_e32 vcc, v32, v1
	s_waitcnt lgkmcnt(6)
	global_store_dword v[2:3], v15, off
                                        ; implicit-def: $vgpr2_vgpr3
	s_and_saveexec_b64 s[2:3], vcc
	s_xor_b64 s[2:3], exec, s[2:3]
; %bb.81:
	v_xor_b32_e32 v2, 0xfffffeff, v0
	v_ashrrev_i32_e32 v3, 31, v2
	v_add_co_u32_e32 v2, vcc, v25, v2
	v_addc_co_u32_e32 v3, vcc, v31, v3, vcc
; %bb.82:
	s_andn2_saveexec_b64 s[2:3], s[2:3]
; %bb.83:
	v_add_co_u32_e32 v2, vcc, v17, v32
	v_addc_co_u32_e32 v3, vcc, 0, v4, vcc
; %bb.84:
	s_or_b64 exec, exec, s[2:3]
	v_lshlrev_b64 v[2:3], 2, v[2:3]
	v_mov_b32_e32 v33, s23
	v_add_co_u32_e32 v2, vcc, s22, v2
	v_addc_co_u32_e32 v3, vcc, v33, v3, vcc
	v_cmp_ge_u32_e32 vcc, v30, v1
	global_store_dword v[2:3], v16, off
                                        ; implicit-def: $vgpr2_vgpr3
	s_and_saveexec_b64 s[2:3], vcc
	s_xor_b64 s[2:3], exec, s[2:3]
; %bb.85:
	v_xor_b32_e32 v2, 0xfffffdff, v0
	v_ashrrev_i32_e32 v3, 31, v2
	v_add_co_u32_e32 v2, vcc, v25, v2
	v_addc_co_u32_e32 v3, vcc, v31, v3, vcc
; %bb.86:
	s_andn2_saveexec_b64 s[2:3], s[2:3]
; %bb.87:
	v_add_co_u32_e32 v2, vcc, v17, v30
	v_addc_co_u32_e32 v3, vcc, 0, v4, vcc
; %bb.88:
	s_or_b64 exec, exec, s[2:3]
	v_lshlrev_b64 v[2:3], 2, v[2:3]
	v_mov_b32_e32 v33, s23
	v_add_co_u32_e32 v2, vcc, s22, v2
	v_addc_co_u32_e32 v3, vcc, v33, v3, vcc
	v_cmp_ge_u32_e32 vcc, v29, v1
	s_waitcnt lgkmcnt(5)
	global_store_dword v[2:3], v13, off
                                        ; implicit-def: $vgpr2_vgpr3
	s_and_saveexec_b64 s[2:3], vcc
	s_xor_b64 s[2:3], exec, s[2:3]
; %bb.89:
	v_xor_b32_e32 v2, 0xfffffcff, v0
	v_ashrrev_i32_e32 v3, 31, v2
	v_add_co_u32_e32 v2, vcc, v25, v2
	v_addc_co_u32_e32 v3, vcc, v31, v3, vcc
; %bb.90:
	s_andn2_saveexec_b64 s[2:3], s[2:3]
; %bb.91:
	v_add_co_u32_e32 v2, vcc, v17, v29
	v_addc_co_u32_e32 v3, vcc, 0, v4, vcc
; %bb.92:
	s_or_b64 exec, exec, s[2:3]
	v_lshlrev_b64 v[2:3], 2, v[2:3]
	v_mov_b32_e32 v33, s23
	v_add_co_u32_e32 v2, vcc, s22, v2
	v_addc_co_u32_e32 v3, vcc, v33, v3, vcc
	v_cmp_ge_u32_e32 vcc, v28, v1
	global_store_dword v[2:3], v14, off
                                        ; implicit-def: $vgpr2_vgpr3
	s_and_saveexec_b64 s[2:3], vcc
	s_xor_b64 s[2:3], exec, s[2:3]
; %bb.93:
	v_xor_b32_e32 v2, 0xfffffbff, v0
	;; [unrolled: 43-line block ×6, first 2 shown]
	v_ashrrev_i32_e32 v3, 31, v2
	v_add_co_u32_e32 v2, vcc, v25, v2
	v_addc_co_u32_e32 v3, vcc, v31, v3, vcc
; %bb.126:
	s_andn2_saveexec_b64 s[2:3], s[2:3]
; %bb.127:
	v_add_co_u32_e32 v2, vcc, v17, v19
	v_addc_co_u32_e32 v3, vcc, 0, v4, vcc
; %bb.128:
	s_or_b64 exec, exec, s[2:3]
	s_mov_b64 s[2:3], -1
.LBB1528_129:
	s_and_saveexec_b64 s[4:5], s[2:3]
	s_cbranch_execz .LBB1528_212
.LBB1528_130:
	v_lshlrev_b64 v[2:3], 2, v[2:3]
	v_mov_b32_e32 v0, s23
	v_add_co_u32_e32 v2, vcc, s22, v2
	v_addc_co_u32_e32 v3, vcc, v0, v3, vcc
	s_waitcnt lgkmcnt(0)
	global_store_dword v[2:3], v18, off
	s_or_b64 exec, exec, s[4:5]
	s_and_b64 s[0:1], s[0:1], s[26:27]
	s_and_saveexec_b64 s[2:3], s[0:1]
	s_cbranch_execnz .LBB1528_213
.LBB1528_131:
	s_endpgm
.LBB1528_132:
	s_mov_b64 s[2:3], 0
                                        ; implicit-def: $vgpr2_vgpr3
	s_cbranch_execz .LBB1528_129
; %bb.133:
	s_add_u32 s4, s28, s42
	s_addc_u32 s5, s29, 0
	s_sub_u32 s4, s30, s4
	s_subb_u32 s5, s31, s5
	v_mov_b32_e32 v2, s5
	v_add_co_u32_e32 v3, vcc, s4, v1
	v_addc_co_u32_e32 v2, vcc, 0, v2, vcc
	v_add_co_u32_e32 v25, vcc, v3, v17
	v_addc_co_u32_e32 v31, vcc, v2, v4, vcc
	v_cmp_gt_u32_e32 vcc, s33, v0
	s_and_saveexec_b64 s[4:5], vcc
	s_cbranch_execz .LBB1528_169
; %bb.134:
	v_cmp_ge_u32_e32 vcc, v0, v1
                                        ; implicit-def: $vgpr2_vgpr3
	s_and_saveexec_b64 s[6:7], vcc
	s_xor_b64 s[6:7], exec, s[6:7]
; %bb.135:
	v_not_b32_e32 v2, v0
	v_ashrrev_i32_e32 v3, 31, v2
	v_add_co_u32_e32 v2, vcc, v25, v2
	v_addc_co_u32_e32 v3, vcc, v31, v3, vcc
; %bb.136:
	s_andn2_saveexec_b64 s[6:7], s[6:7]
; %bb.137:
	v_add_co_u32_e32 v2, vcc, v17, v0
	v_addc_co_u32_e32 v3, vcc, 0, v4, vcc
; %bb.138:
	s_or_b64 exec, exec, s[6:7]
	v_lshlrev_b64 v[2:3], 2, v[2:3]
	v_mov_b32_e32 v33, s23
	v_add_co_u32_e32 v2, vcc, s22, v2
	v_addc_co_u32_e32 v3, vcc, v33, v3, vcc
	s_waitcnt lgkmcnt(6)
	global_store_dword v[2:3], v15, off
	s_or_b64 exec, exec, s[4:5]
	v_cmp_gt_u32_e32 vcc, s33, v32
	s_and_saveexec_b64 s[4:5], vcc
	s_cbranch_execnz .LBB1528_170
.LBB1528_139:
	s_or_b64 exec, exec, s[4:5]
	v_cmp_gt_u32_e32 vcc, s33, v30
	s_and_saveexec_b64 s[4:5], vcc
	s_cbranch_execz .LBB1528_175
.LBB1528_140:
	v_cmp_ge_u32_e32 vcc, v30, v1
                                        ; implicit-def: $vgpr2_vgpr3
	s_and_saveexec_b64 s[6:7], vcc
	s_xor_b64 s[6:7], exec, s[6:7]
; %bb.141:
	v_xor_b32_e32 v2, 0xfffffdff, v0
	v_ashrrev_i32_e32 v3, 31, v2
	v_add_co_u32_e32 v2, vcc, v25, v2
	v_addc_co_u32_e32 v3, vcc, v31, v3, vcc
                                        ; implicit-def: $vgpr30
; %bb.142:
	s_andn2_saveexec_b64 s[6:7], s[6:7]
; %bb.143:
	v_add_co_u32_e32 v2, vcc, v17, v30
	v_addc_co_u32_e32 v3, vcc, 0, v4, vcc
; %bb.144:
	s_or_b64 exec, exec, s[6:7]
	v_lshlrev_b64 v[2:3], 2, v[2:3]
	s_waitcnt lgkmcnt(6)
	v_mov_b32_e32 v15, s23
	v_add_co_u32_e32 v2, vcc, s22, v2
	v_addc_co_u32_e32 v3, vcc, v15, v3, vcc
	s_waitcnt lgkmcnt(5)
	global_store_dword v[2:3], v13, off
	s_or_b64 exec, exec, s[4:5]
	v_cmp_gt_u32_e32 vcc, s33, v29
	s_and_saveexec_b64 s[4:5], vcc
	s_cbranch_execnz .LBB1528_176
.LBB1528_145:
	s_or_b64 exec, exec, s[4:5]
	v_cmp_gt_u32_e32 vcc, s33, v28
	s_and_saveexec_b64 s[4:5], vcc
	s_cbranch_execz .LBB1528_181
.LBB1528_146:
	v_cmp_ge_u32_e32 vcc, v28, v1
                                        ; implicit-def: $vgpr2_vgpr3
	s_and_saveexec_b64 s[6:7], vcc
	s_xor_b64 s[6:7], exec, s[6:7]
; %bb.147:
	v_xor_b32_e32 v2, 0xfffffbff, v0
	v_ashrrev_i32_e32 v3, 31, v2
	v_add_co_u32_e32 v2, vcc, v25, v2
	v_addc_co_u32_e32 v3, vcc, v31, v3, vcc
                                        ; implicit-def: $vgpr28
; %bb.148:
	s_andn2_saveexec_b64 s[6:7], s[6:7]
; %bb.149:
	v_add_co_u32_e32 v2, vcc, v17, v28
	v_addc_co_u32_e32 v3, vcc, 0, v4, vcc
; %bb.150:
	s_or_b64 exec, exec, s[6:7]
	v_lshlrev_b64 v[2:3], 2, v[2:3]
	s_waitcnt lgkmcnt(5)
	v_mov_b32_e32 v13, s23
	v_add_co_u32_e32 v2, vcc, s22, v2
	v_addc_co_u32_e32 v3, vcc, v13, v3, vcc
	s_waitcnt lgkmcnt(4)
	global_store_dword v[2:3], v11, off
	s_or_b64 exec, exec, s[4:5]
	v_cmp_gt_u32_e32 vcc, s33, v27
	s_and_saveexec_b64 s[4:5], vcc
	s_cbranch_execnz .LBB1528_182
.LBB1528_151:
	s_or_b64 exec, exec, s[4:5]
	v_cmp_gt_u32_e32 vcc, s33, v26
	s_and_saveexec_b64 s[4:5], vcc
	s_cbranch_execz .LBB1528_187
.LBB1528_152:
	v_cmp_ge_u32_e32 vcc, v26, v1
                                        ; implicit-def: $vgpr2_vgpr3
	s_and_saveexec_b64 s[6:7], vcc
	s_xor_b64 s[6:7], exec, s[6:7]
; %bb.153:
	v_xor_b32_e32 v2, 0xfffff9ff, v0
	v_ashrrev_i32_e32 v3, 31, v2
	v_add_co_u32_e32 v2, vcc, v25, v2
	v_addc_co_u32_e32 v3, vcc, v31, v3, vcc
                                        ; implicit-def: $vgpr26
; %bb.154:
	s_andn2_saveexec_b64 s[6:7], s[6:7]
; %bb.155:
	v_add_co_u32_e32 v2, vcc, v17, v26
	v_addc_co_u32_e32 v3, vcc, 0, v4, vcc
; %bb.156:
	s_or_b64 exec, exec, s[6:7]
	v_lshlrev_b64 v[2:3], 2, v[2:3]
	s_waitcnt lgkmcnt(4)
	v_mov_b32_e32 v11, s23
	v_add_co_u32_e32 v2, vcc, s22, v2
	v_addc_co_u32_e32 v3, vcc, v11, v3, vcc
	s_waitcnt lgkmcnt(3)
	global_store_dword v[2:3], v9, off
	s_or_b64 exec, exec, s[4:5]
	v_cmp_gt_u32_e32 vcc, s33, v24
	s_and_saveexec_b64 s[4:5], vcc
	s_cbranch_execnz .LBB1528_188
.LBB1528_157:
	s_or_b64 exec, exec, s[4:5]
	v_cmp_gt_u32_e32 vcc, s33, v23
	s_and_saveexec_b64 s[4:5], vcc
	s_cbranch_execz .LBB1528_193
.LBB1528_158:
	v_cmp_ge_u32_e32 vcc, v23, v1
                                        ; implicit-def: $vgpr2_vgpr3
	s_and_saveexec_b64 s[6:7], vcc
	s_xor_b64 s[6:7], exec, s[6:7]
; %bb.159:
	v_xor_b32_e32 v2, 0xfffff7ff, v0
	v_ashrrev_i32_e32 v3, 31, v2
	v_add_co_u32_e32 v2, vcc, v25, v2
	v_addc_co_u32_e32 v3, vcc, v31, v3, vcc
                                        ; implicit-def: $vgpr23
; %bb.160:
	s_andn2_saveexec_b64 s[6:7], s[6:7]
; %bb.161:
	v_add_co_u32_e32 v2, vcc, v17, v23
	v_addc_co_u32_e32 v3, vcc, 0, v4, vcc
; %bb.162:
	s_or_b64 exec, exec, s[6:7]
	v_lshlrev_b64 v[2:3], 2, v[2:3]
	s_waitcnt lgkmcnt(3)
	v_mov_b32_e32 v9, s23
	v_add_co_u32_e32 v2, vcc, s22, v2
	v_addc_co_u32_e32 v3, vcc, v9, v3, vcc
	s_waitcnt lgkmcnt(2)
	global_store_dword v[2:3], v7, off
	s_or_b64 exec, exec, s[4:5]
	v_cmp_gt_u32_e32 vcc, s33, v22
	s_and_saveexec_b64 s[4:5], vcc
	s_cbranch_execnz .LBB1528_194
.LBB1528_163:
	s_or_b64 exec, exec, s[4:5]
	v_cmp_gt_u32_e32 vcc, s33, v21
	s_and_saveexec_b64 s[4:5], vcc
	s_cbranch_execz .LBB1528_199
.LBB1528_164:
	v_cmp_ge_u32_e32 vcc, v21, v1
                                        ; implicit-def: $vgpr2_vgpr3
	s_and_saveexec_b64 s[6:7], vcc
	s_xor_b64 s[6:7], exec, s[6:7]
; %bb.165:
	v_xor_b32_e32 v2, 0xfffff5ff, v0
	v_ashrrev_i32_e32 v3, 31, v2
	v_add_co_u32_e32 v2, vcc, v25, v2
	v_addc_co_u32_e32 v3, vcc, v31, v3, vcc
                                        ; implicit-def: $vgpr21
; %bb.166:
	s_andn2_saveexec_b64 s[6:7], s[6:7]
; %bb.167:
	v_add_co_u32_e32 v2, vcc, v17, v21
	v_addc_co_u32_e32 v3, vcc, 0, v4, vcc
; %bb.168:
	s_or_b64 exec, exec, s[6:7]
	v_lshlrev_b64 v[2:3], 2, v[2:3]
	s_waitcnt lgkmcnt(2)
	v_mov_b32_e32 v7, s23
	v_add_co_u32_e32 v2, vcc, s22, v2
	v_addc_co_u32_e32 v3, vcc, v7, v3, vcc
	s_waitcnt lgkmcnt(1)
	global_store_dword v[2:3], v5, off
	s_or_b64 exec, exec, s[4:5]
	v_cmp_gt_u32_e32 vcc, s33, v20
	s_and_saveexec_b64 s[4:5], vcc
	s_cbranch_execz .LBB1528_205
	s_branch .LBB1528_200
.LBB1528_169:
	s_or_b64 exec, exec, s[4:5]
	v_cmp_gt_u32_e32 vcc, s33, v32
	s_and_saveexec_b64 s[4:5], vcc
	s_cbranch_execz .LBB1528_139
.LBB1528_170:
	v_cmp_ge_u32_e32 vcc, v32, v1
                                        ; implicit-def: $vgpr2_vgpr3
	s_and_saveexec_b64 s[6:7], vcc
	s_xor_b64 s[6:7], exec, s[6:7]
; %bb.171:
	v_xor_b32_e32 v2, 0xfffffeff, v0
	v_ashrrev_i32_e32 v3, 31, v2
	v_add_co_u32_e32 v2, vcc, v25, v2
	v_addc_co_u32_e32 v3, vcc, v31, v3, vcc
                                        ; implicit-def: $vgpr32
; %bb.172:
	s_andn2_saveexec_b64 s[6:7], s[6:7]
; %bb.173:
	v_add_co_u32_e32 v2, vcc, v17, v32
	v_addc_co_u32_e32 v3, vcc, 0, v4, vcc
; %bb.174:
	s_or_b64 exec, exec, s[6:7]
	v_lshlrev_b64 v[2:3], 2, v[2:3]
	s_waitcnt lgkmcnt(6)
	v_mov_b32_e32 v15, s23
	v_add_co_u32_e32 v2, vcc, s22, v2
	v_addc_co_u32_e32 v3, vcc, v15, v3, vcc
	global_store_dword v[2:3], v16, off
	s_or_b64 exec, exec, s[4:5]
	v_cmp_gt_u32_e32 vcc, s33, v30
	s_and_saveexec_b64 s[4:5], vcc
	s_cbranch_execnz .LBB1528_140
.LBB1528_175:
	s_or_b64 exec, exec, s[4:5]
	v_cmp_gt_u32_e32 vcc, s33, v29
	s_and_saveexec_b64 s[4:5], vcc
	s_cbranch_execz .LBB1528_145
.LBB1528_176:
	v_cmp_ge_u32_e32 vcc, v29, v1
                                        ; implicit-def: $vgpr2_vgpr3
	s_and_saveexec_b64 s[6:7], vcc
	s_xor_b64 s[6:7], exec, s[6:7]
; %bb.177:
	v_xor_b32_e32 v2, 0xfffffcff, v0
	v_ashrrev_i32_e32 v3, 31, v2
	v_add_co_u32_e32 v2, vcc, v25, v2
	v_addc_co_u32_e32 v3, vcc, v31, v3, vcc
                                        ; implicit-def: $vgpr29
; %bb.178:
	s_andn2_saveexec_b64 s[6:7], s[6:7]
; %bb.179:
	v_add_co_u32_e32 v2, vcc, v17, v29
	v_addc_co_u32_e32 v3, vcc, 0, v4, vcc
; %bb.180:
	s_or_b64 exec, exec, s[6:7]
	v_lshlrev_b64 v[2:3], 2, v[2:3]
	s_waitcnt lgkmcnt(5)
	v_mov_b32_e32 v13, s23
	v_add_co_u32_e32 v2, vcc, s22, v2
	v_addc_co_u32_e32 v3, vcc, v13, v3, vcc
	global_store_dword v[2:3], v14, off
	s_or_b64 exec, exec, s[4:5]
	v_cmp_gt_u32_e32 vcc, s33, v28
	s_and_saveexec_b64 s[4:5], vcc
	s_cbranch_execnz .LBB1528_146
.LBB1528_181:
	s_or_b64 exec, exec, s[4:5]
	v_cmp_gt_u32_e32 vcc, s33, v27
	s_and_saveexec_b64 s[4:5], vcc
	s_cbranch_execz .LBB1528_151
.LBB1528_182:
	v_cmp_ge_u32_e32 vcc, v27, v1
                                        ; implicit-def: $vgpr2_vgpr3
	s_and_saveexec_b64 s[6:7], vcc
	s_xor_b64 s[6:7], exec, s[6:7]
; %bb.183:
	v_xor_b32_e32 v2, 0xfffffaff, v0
	v_ashrrev_i32_e32 v3, 31, v2
	v_add_co_u32_e32 v2, vcc, v25, v2
	v_addc_co_u32_e32 v3, vcc, v31, v3, vcc
                                        ; implicit-def: $vgpr27
; %bb.184:
	s_andn2_saveexec_b64 s[6:7], s[6:7]
; %bb.185:
	v_add_co_u32_e32 v2, vcc, v17, v27
	v_addc_co_u32_e32 v3, vcc, 0, v4, vcc
; %bb.186:
	s_or_b64 exec, exec, s[6:7]
	v_lshlrev_b64 v[2:3], 2, v[2:3]
	s_waitcnt lgkmcnt(4)
	v_mov_b32_e32 v11, s23
	v_add_co_u32_e32 v2, vcc, s22, v2
	v_addc_co_u32_e32 v3, vcc, v11, v3, vcc
	global_store_dword v[2:3], v12, off
	s_or_b64 exec, exec, s[4:5]
	v_cmp_gt_u32_e32 vcc, s33, v26
	s_and_saveexec_b64 s[4:5], vcc
	s_cbranch_execnz .LBB1528_152
.LBB1528_187:
	s_or_b64 exec, exec, s[4:5]
	v_cmp_gt_u32_e32 vcc, s33, v24
	s_and_saveexec_b64 s[4:5], vcc
	s_cbranch_execz .LBB1528_157
.LBB1528_188:
	v_cmp_ge_u32_e32 vcc, v24, v1
                                        ; implicit-def: $vgpr2_vgpr3
	s_and_saveexec_b64 s[6:7], vcc
	s_xor_b64 s[6:7], exec, s[6:7]
; %bb.189:
	v_xor_b32_e32 v2, 0xfffff8ff, v0
	v_ashrrev_i32_e32 v3, 31, v2
	v_add_co_u32_e32 v2, vcc, v25, v2
	v_addc_co_u32_e32 v3, vcc, v31, v3, vcc
                                        ; implicit-def: $vgpr24
; %bb.190:
	s_andn2_saveexec_b64 s[6:7], s[6:7]
; %bb.191:
	v_add_co_u32_e32 v2, vcc, v17, v24
	v_addc_co_u32_e32 v3, vcc, 0, v4, vcc
; %bb.192:
	s_or_b64 exec, exec, s[6:7]
	v_lshlrev_b64 v[2:3], 2, v[2:3]
	s_waitcnt lgkmcnt(3)
	v_mov_b32_e32 v9, s23
	v_add_co_u32_e32 v2, vcc, s22, v2
	v_addc_co_u32_e32 v3, vcc, v9, v3, vcc
	global_store_dword v[2:3], v10, off
	s_or_b64 exec, exec, s[4:5]
	v_cmp_gt_u32_e32 vcc, s33, v23
	s_and_saveexec_b64 s[4:5], vcc
	s_cbranch_execnz .LBB1528_158
.LBB1528_193:
	s_or_b64 exec, exec, s[4:5]
	v_cmp_gt_u32_e32 vcc, s33, v22
	s_and_saveexec_b64 s[4:5], vcc
	s_cbranch_execz .LBB1528_163
.LBB1528_194:
	v_cmp_ge_u32_e32 vcc, v22, v1
                                        ; implicit-def: $vgpr2_vgpr3
	s_and_saveexec_b64 s[6:7], vcc
	s_xor_b64 s[6:7], exec, s[6:7]
; %bb.195:
	v_xor_b32_e32 v2, 0xfffff6ff, v0
	v_ashrrev_i32_e32 v3, 31, v2
	v_add_co_u32_e32 v2, vcc, v25, v2
	v_addc_co_u32_e32 v3, vcc, v31, v3, vcc
                                        ; implicit-def: $vgpr22
; %bb.196:
	s_andn2_saveexec_b64 s[6:7], s[6:7]
; %bb.197:
	v_add_co_u32_e32 v2, vcc, v17, v22
	v_addc_co_u32_e32 v3, vcc, 0, v4, vcc
; %bb.198:
	s_or_b64 exec, exec, s[6:7]
	v_lshlrev_b64 v[2:3], 2, v[2:3]
	s_waitcnt lgkmcnt(2)
	v_mov_b32_e32 v7, s23
	v_add_co_u32_e32 v2, vcc, s22, v2
	v_addc_co_u32_e32 v3, vcc, v7, v3, vcc
	global_store_dword v[2:3], v8, off
	s_or_b64 exec, exec, s[4:5]
	v_cmp_gt_u32_e32 vcc, s33, v21
	s_and_saveexec_b64 s[4:5], vcc
	s_cbranch_execnz .LBB1528_164
.LBB1528_199:
	s_or_b64 exec, exec, s[4:5]
	v_cmp_gt_u32_e32 vcc, s33, v20
	s_and_saveexec_b64 s[4:5], vcc
	s_cbranch_execz .LBB1528_205
.LBB1528_200:
	v_cmp_ge_u32_e32 vcc, v20, v1
                                        ; implicit-def: $vgpr2_vgpr3
	s_and_saveexec_b64 s[6:7], vcc
	s_xor_b64 s[6:7], exec, s[6:7]
; %bb.201:
	v_xor_b32_e32 v2, 0xfffff4ff, v0
	v_ashrrev_i32_e32 v3, 31, v2
	v_add_co_u32_e32 v2, vcc, v25, v2
	v_addc_co_u32_e32 v3, vcc, v31, v3, vcc
                                        ; implicit-def: $vgpr20
; %bb.202:
	s_andn2_saveexec_b64 s[6:7], s[6:7]
; %bb.203:
	v_add_co_u32_e32 v2, vcc, v17, v20
	v_addc_co_u32_e32 v3, vcc, 0, v4, vcc
; %bb.204:
	s_or_b64 exec, exec, s[6:7]
	v_lshlrev_b64 v[2:3], 2, v[2:3]
	s_waitcnt lgkmcnt(1)
	v_mov_b32_e32 v5, s23
	v_add_co_u32_e32 v2, vcc, s22, v2
	v_addc_co_u32_e32 v3, vcc, v5, v3, vcc
	global_store_dword v[2:3], v6, off
.LBB1528_205:
	s_or_b64 exec, exec, s[4:5]
	v_cmp_gt_u32_e32 vcc, s33, v19
                                        ; implicit-def: $vgpr2_vgpr3
	s_and_saveexec_b64 s[4:5], vcc
	s_cbranch_execz .LBB1528_211
; %bb.206:
	v_cmp_ge_u32_e32 vcc, v19, v1
                                        ; implicit-def: $vgpr2_vgpr3
	s_and_saveexec_b64 s[6:7], vcc
	s_xor_b64 s[6:7], exec, s[6:7]
; %bb.207:
	v_xor_b32_e32 v0, 0xfffff3ff, v0
	v_ashrrev_i32_e32 v3, 31, v0
	v_add_co_u32_e32 v2, vcc, v25, v0
	v_addc_co_u32_e32 v3, vcc, v31, v3, vcc
                                        ; implicit-def: $vgpr19
; %bb.208:
	s_andn2_saveexec_b64 s[6:7], s[6:7]
; %bb.209:
	v_add_co_u32_e32 v2, vcc, v17, v19
	v_addc_co_u32_e32 v3, vcc, 0, v4, vcc
; %bb.210:
	s_or_b64 exec, exec, s[6:7]
	s_or_b64 s[2:3], s[2:3], exec
.LBB1528_211:
	s_or_b64 exec, exec, s[4:5]
	s_and_saveexec_b64 s[4:5], s[2:3]
	s_cbranch_execnz .LBB1528_130
.LBB1528_212:
	s_or_b64 exec, exec, s[4:5]
	s_and_b64 s[0:1], s[0:1], s[26:27]
	s_and_saveexec_b64 s[2:3], s[0:1]
	s_cbranch_execz .LBB1528_131
.LBB1528_213:
	v_add_co_u32_e32 v0, vcc, v17, v1
	v_mov_b32_e32 v2, 0
	v_addc_co_u32_e32 v1, vcc, 0, v4, vcc
	global_store_dwordx2 v2, v[0:1], s[24:25]
	s_endpgm
	.section	.rodata,"a",@progbits
	.p2align	6, 0x0
	.amdhsa_kernel _ZN7rocprim17ROCPRIM_400000_NS6detail17trampoline_kernelINS0_13select_configILj256ELj13ELNS0_17block_load_methodE3ELS4_3ELS4_3ELNS0_20block_scan_algorithmE0ELj4294967295EEENS1_25partition_config_selectorILNS1_17partition_subalgoE3EjNS0_10empty_typeEbEEZZNS1_14partition_implILS8_3ELb0ES6_jNS0_17counting_iteratorIjlEEPS9_SE_NS0_5tupleIJPjSE_EEENSF_IJSE_SE_EEES9_SG_JZNS1_25segmented_radix_sort_implINS0_14default_configELb1EPKbPbPKlPlN2at6native12_GLOBAL__N_18offset_tEEE10hipError_tPvRmT1_PNSt15iterator_traitsISY_E10value_typeET2_T3_PNSZ_IS14_E10value_typeET4_jRbjT5_S1A_jjP12ihipStream_tbEUljE_EEESV_SW_SX_S14_S18_S1A_T6_T7_T9_mT8_S1C_bDpT10_ENKUlT_T0_E_clISt17integral_constantIbLb0EES1O_IbLb1EEEEDaS1K_S1L_EUlS1K_E_NS1_11comp_targetILNS1_3genE2ELNS1_11target_archE906ELNS1_3gpuE6ELNS1_3repE0EEENS1_30default_config_static_selectorELNS0_4arch9wavefront6targetE1EEEvSY_
		.amdhsa_group_segment_fixed_size 13320
		.amdhsa_private_segment_fixed_size 0
		.amdhsa_kernarg_size 152
		.amdhsa_user_sgpr_count 6
		.amdhsa_user_sgpr_private_segment_buffer 1
		.amdhsa_user_sgpr_dispatch_ptr 0
		.amdhsa_user_sgpr_queue_ptr 0
		.amdhsa_user_sgpr_kernarg_segment_ptr 1
		.amdhsa_user_sgpr_dispatch_id 0
		.amdhsa_user_sgpr_flat_scratch_init 0
		.amdhsa_user_sgpr_private_segment_size 0
		.amdhsa_uses_dynamic_stack 0
		.amdhsa_system_sgpr_private_segment_wavefront_offset 0
		.amdhsa_system_sgpr_workgroup_id_x 1
		.amdhsa_system_sgpr_workgroup_id_y 0
		.amdhsa_system_sgpr_workgroup_id_z 0
		.amdhsa_system_sgpr_workgroup_info 0
		.amdhsa_system_vgpr_workitem_id 0
		.amdhsa_next_free_vgpr 71
		.amdhsa_next_free_sgpr 98
		.amdhsa_reserve_vcc 1
		.amdhsa_reserve_flat_scratch 0
		.amdhsa_float_round_mode_32 0
		.amdhsa_float_round_mode_16_64 0
		.amdhsa_float_denorm_mode_32 3
		.amdhsa_float_denorm_mode_16_64 3
		.amdhsa_dx10_clamp 1
		.amdhsa_ieee_mode 1
		.amdhsa_fp16_overflow 0
		.amdhsa_exception_fp_ieee_invalid_op 0
		.amdhsa_exception_fp_denorm_src 0
		.amdhsa_exception_fp_ieee_div_zero 0
		.amdhsa_exception_fp_ieee_overflow 0
		.amdhsa_exception_fp_ieee_underflow 0
		.amdhsa_exception_fp_ieee_inexact 0
		.amdhsa_exception_int_div_zero 0
	.end_amdhsa_kernel
	.section	.text._ZN7rocprim17ROCPRIM_400000_NS6detail17trampoline_kernelINS0_13select_configILj256ELj13ELNS0_17block_load_methodE3ELS4_3ELS4_3ELNS0_20block_scan_algorithmE0ELj4294967295EEENS1_25partition_config_selectorILNS1_17partition_subalgoE3EjNS0_10empty_typeEbEEZZNS1_14partition_implILS8_3ELb0ES6_jNS0_17counting_iteratorIjlEEPS9_SE_NS0_5tupleIJPjSE_EEENSF_IJSE_SE_EEES9_SG_JZNS1_25segmented_radix_sort_implINS0_14default_configELb1EPKbPbPKlPlN2at6native12_GLOBAL__N_18offset_tEEE10hipError_tPvRmT1_PNSt15iterator_traitsISY_E10value_typeET2_T3_PNSZ_IS14_E10value_typeET4_jRbjT5_S1A_jjP12ihipStream_tbEUljE_EEESV_SW_SX_S14_S18_S1A_T6_T7_T9_mT8_S1C_bDpT10_ENKUlT_T0_E_clISt17integral_constantIbLb0EES1O_IbLb1EEEEDaS1K_S1L_EUlS1K_E_NS1_11comp_targetILNS1_3genE2ELNS1_11target_archE906ELNS1_3gpuE6ELNS1_3repE0EEENS1_30default_config_static_selectorELNS0_4arch9wavefront6targetE1EEEvSY_,"axG",@progbits,_ZN7rocprim17ROCPRIM_400000_NS6detail17trampoline_kernelINS0_13select_configILj256ELj13ELNS0_17block_load_methodE3ELS4_3ELS4_3ELNS0_20block_scan_algorithmE0ELj4294967295EEENS1_25partition_config_selectorILNS1_17partition_subalgoE3EjNS0_10empty_typeEbEEZZNS1_14partition_implILS8_3ELb0ES6_jNS0_17counting_iteratorIjlEEPS9_SE_NS0_5tupleIJPjSE_EEENSF_IJSE_SE_EEES9_SG_JZNS1_25segmented_radix_sort_implINS0_14default_configELb1EPKbPbPKlPlN2at6native12_GLOBAL__N_18offset_tEEE10hipError_tPvRmT1_PNSt15iterator_traitsISY_E10value_typeET2_T3_PNSZ_IS14_E10value_typeET4_jRbjT5_S1A_jjP12ihipStream_tbEUljE_EEESV_SW_SX_S14_S18_S1A_T6_T7_T9_mT8_S1C_bDpT10_ENKUlT_T0_E_clISt17integral_constantIbLb0EES1O_IbLb1EEEEDaS1K_S1L_EUlS1K_E_NS1_11comp_targetILNS1_3genE2ELNS1_11target_archE906ELNS1_3gpuE6ELNS1_3repE0EEENS1_30default_config_static_selectorELNS0_4arch9wavefront6targetE1EEEvSY_,comdat
.Lfunc_end1528:
	.size	_ZN7rocprim17ROCPRIM_400000_NS6detail17trampoline_kernelINS0_13select_configILj256ELj13ELNS0_17block_load_methodE3ELS4_3ELS4_3ELNS0_20block_scan_algorithmE0ELj4294967295EEENS1_25partition_config_selectorILNS1_17partition_subalgoE3EjNS0_10empty_typeEbEEZZNS1_14partition_implILS8_3ELb0ES6_jNS0_17counting_iteratorIjlEEPS9_SE_NS0_5tupleIJPjSE_EEENSF_IJSE_SE_EEES9_SG_JZNS1_25segmented_radix_sort_implINS0_14default_configELb1EPKbPbPKlPlN2at6native12_GLOBAL__N_18offset_tEEE10hipError_tPvRmT1_PNSt15iterator_traitsISY_E10value_typeET2_T3_PNSZ_IS14_E10value_typeET4_jRbjT5_S1A_jjP12ihipStream_tbEUljE_EEESV_SW_SX_S14_S18_S1A_T6_T7_T9_mT8_S1C_bDpT10_ENKUlT_T0_E_clISt17integral_constantIbLb0EES1O_IbLb1EEEEDaS1K_S1L_EUlS1K_E_NS1_11comp_targetILNS1_3genE2ELNS1_11target_archE906ELNS1_3gpuE6ELNS1_3repE0EEENS1_30default_config_static_selectorELNS0_4arch9wavefront6targetE1EEEvSY_, .Lfunc_end1528-_ZN7rocprim17ROCPRIM_400000_NS6detail17trampoline_kernelINS0_13select_configILj256ELj13ELNS0_17block_load_methodE3ELS4_3ELS4_3ELNS0_20block_scan_algorithmE0ELj4294967295EEENS1_25partition_config_selectorILNS1_17partition_subalgoE3EjNS0_10empty_typeEbEEZZNS1_14partition_implILS8_3ELb0ES6_jNS0_17counting_iteratorIjlEEPS9_SE_NS0_5tupleIJPjSE_EEENSF_IJSE_SE_EEES9_SG_JZNS1_25segmented_radix_sort_implINS0_14default_configELb1EPKbPbPKlPlN2at6native12_GLOBAL__N_18offset_tEEE10hipError_tPvRmT1_PNSt15iterator_traitsISY_E10value_typeET2_T3_PNSZ_IS14_E10value_typeET4_jRbjT5_S1A_jjP12ihipStream_tbEUljE_EEESV_SW_SX_S14_S18_S1A_T6_T7_T9_mT8_S1C_bDpT10_ENKUlT_T0_E_clISt17integral_constantIbLb0EES1O_IbLb1EEEEDaS1K_S1L_EUlS1K_E_NS1_11comp_targetILNS1_3genE2ELNS1_11target_archE906ELNS1_3gpuE6ELNS1_3repE0EEENS1_30default_config_static_selectorELNS0_4arch9wavefront6targetE1EEEvSY_
                                        ; -- End function
	.set _ZN7rocprim17ROCPRIM_400000_NS6detail17trampoline_kernelINS0_13select_configILj256ELj13ELNS0_17block_load_methodE3ELS4_3ELS4_3ELNS0_20block_scan_algorithmE0ELj4294967295EEENS1_25partition_config_selectorILNS1_17partition_subalgoE3EjNS0_10empty_typeEbEEZZNS1_14partition_implILS8_3ELb0ES6_jNS0_17counting_iteratorIjlEEPS9_SE_NS0_5tupleIJPjSE_EEENSF_IJSE_SE_EEES9_SG_JZNS1_25segmented_radix_sort_implINS0_14default_configELb1EPKbPbPKlPlN2at6native12_GLOBAL__N_18offset_tEEE10hipError_tPvRmT1_PNSt15iterator_traitsISY_E10value_typeET2_T3_PNSZ_IS14_E10value_typeET4_jRbjT5_S1A_jjP12ihipStream_tbEUljE_EEESV_SW_SX_S14_S18_S1A_T6_T7_T9_mT8_S1C_bDpT10_ENKUlT_T0_E_clISt17integral_constantIbLb0EES1O_IbLb1EEEEDaS1K_S1L_EUlS1K_E_NS1_11comp_targetILNS1_3genE2ELNS1_11target_archE906ELNS1_3gpuE6ELNS1_3repE0EEENS1_30default_config_static_selectorELNS0_4arch9wavefront6targetE1EEEvSY_.num_vgpr, 71
	.set _ZN7rocprim17ROCPRIM_400000_NS6detail17trampoline_kernelINS0_13select_configILj256ELj13ELNS0_17block_load_methodE3ELS4_3ELS4_3ELNS0_20block_scan_algorithmE0ELj4294967295EEENS1_25partition_config_selectorILNS1_17partition_subalgoE3EjNS0_10empty_typeEbEEZZNS1_14partition_implILS8_3ELb0ES6_jNS0_17counting_iteratorIjlEEPS9_SE_NS0_5tupleIJPjSE_EEENSF_IJSE_SE_EEES9_SG_JZNS1_25segmented_radix_sort_implINS0_14default_configELb1EPKbPbPKlPlN2at6native12_GLOBAL__N_18offset_tEEE10hipError_tPvRmT1_PNSt15iterator_traitsISY_E10value_typeET2_T3_PNSZ_IS14_E10value_typeET4_jRbjT5_S1A_jjP12ihipStream_tbEUljE_EEESV_SW_SX_S14_S18_S1A_T6_T7_T9_mT8_S1C_bDpT10_ENKUlT_T0_E_clISt17integral_constantIbLb0EES1O_IbLb1EEEEDaS1K_S1L_EUlS1K_E_NS1_11comp_targetILNS1_3genE2ELNS1_11target_archE906ELNS1_3gpuE6ELNS1_3repE0EEENS1_30default_config_static_selectorELNS0_4arch9wavefront6targetE1EEEvSY_.num_agpr, 0
	.set _ZN7rocprim17ROCPRIM_400000_NS6detail17trampoline_kernelINS0_13select_configILj256ELj13ELNS0_17block_load_methodE3ELS4_3ELS4_3ELNS0_20block_scan_algorithmE0ELj4294967295EEENS1_25partition_config_selectorILNS1_17partition_subalgoE3EjNS0_10empty_typeEbEEZZNS1_14partition_implILS8_3ELb0ES6_jNS0_17counting_iteratorIjlEEPS9_SE_NS0_5tupleIJPjSE_EEENSF_IJSE_SE_EEES9_SG_JZNS1_25segmented_radix_sort_implINS0_14default_configELb1EPKbPbPKlPlN2at6native12_GLOBAL__N_18offset_tEEE10hipError_tPvRmT1_PNSt15iterator_traitsISY_E10value_typeET2_T3_PNSZ_IS14_E10value_typeET4_jRbjT5_S1A_jjP12ihipStream_tbEUljE_EEESV_SW_SX_S14_S18_S1A_T6_T7_T9_mT8_S1C_bDpT10_ENKUlT_T0_E_clISt17integral_constantIbLb0EES1O_IbLb1EEEEDaS1K_S1L_EUlS1K_E_NS1_11comp_targetILNS1_3genE2ELNS1_11target_archE906ELNS1_3gpuE6ELNS1_3repE0EEENS1_30default_config_static_selectorELNS0_4arch9wavefront6targetE1EEEvSY_.numbered_sgpr, 46
	.set _ZN7rocprim17ROCPRIM_400000_NS6detail17trampoline_kernelINS0_13select_configILj256ELj13ELNS0_17block_load_methodE3ELS4_3ELS4_3ELNS0_20block_scan_algorithmE0ELj4294967295EEENS1_25partition_config_selectorILNS1_17partition_subalgoE3EjNS0_10empty_typeEbEEZZNS1_14partition_implILS8_3ELb0ES6_jNS0_17counting_iteratorIjlEEPS9_SE_NS0_5tupleIJPjSE_EEENSF_IJSE_SE_EEES9_SG_JZNS1_25segmented_radix_sort_implINS0_14default_configELb1EPKbPbPKlPlN2at6native12_GLOBAL__N_18offset_tEEE10hipError_tPvRmT1_PNSt15iterator_traitsISY_E10value_typeET2_T3_PNSZ_IS14_E10value_typeET4_jRbjT5_S1A_jjP12ihipStream_tbEUljE_EEESV_SW_SX_S14_S18_S1A_T6_T7_T9_mT8_S1C_bDpT10_ENKUlT_T0_E_clISt17integral_constantIbLb0EES1O_IbLb1EEEEDaS1K_S1L_EUlS1K_E_NS1_11comp_targetILNS1_3genE2ELNS1_11target_archE906ELNS1_3gpuE6ELNS1_3repE0EEENS1_30default_config_static_selectorELNS0_4arch9wavefront6targetE1EEEvSY_.num_named_barrier, 0
	.set _ZN7rocprim17ROCPRIM_400000_NS6detail17trampoline_kernelINS0_13select_configILj256ELj13ELNS0_17block_load_methodE3ELS4_3ELS4_3ELNS0_20block_scan_algorithmE0ELj4294967295EEENS1_25partition_config_selectorILNS1_17partition_subalgoE3EjNS0_10empty_typeEbEEZZNS1_14partition_implILS8_3ELb0ES6_jNS0_17counting_iteratorIjlEEPS9_SE_NS0_5tupleIJPjSE_EEENSF_IJSE_SE_EEES9_SG_JZNS1_25segmented_radix_sort_implINS0_14default_configELb1EPKbPbPKlPlN2at6native12_GLOBAL__N_18offset_tEEE10hipError_tPvRmT1_PNSt15iterator_traitsISY_E10value_typeET2_T3_PNSZ_IS14_E10value_typeET4_jRbjT5_S1A_jjP12ihipStream_tbEUljE_EEESV_SW_SX_S14_S18_S1A_T6_T7_T9_mT8_S1C_bDpT10_ENKUlT_T0_E_clISt17integral_constantIbLb0EES1O_IbLb1EEEEDaS1K_S1L_EUlS1K_E_NS1_11comp_targetILNS1_3genE2ELNS1_11target_archE906ELNS1_3gpuE6ELNS1_3repE0EEENS1_30default_config_static_selectorELNS0_4arch9wavefront6targetE1EEEvSY_.private_seg_size, 0
	.set _ZN7rocprim17ROCPRIM_400000_NS6detail17trampoline_kernelINS0_13select_configILj256ELj13ELNS0_17block_load_methodE3ELS4_3ELS4_3ELNS0_20block_scan_algorithmE0ELj4294967295EEENS1_25partition_config_selectorILNS1_17partition_subalgoE3EjNS0_10empty_typeEbEEZZNS1_14partition_implILS8_3ELb0ES6_jNS0_17counting_iteratorIjlEEPS9_SE_NS0_5tupleIJPjSE_EEENSF_IJSE_SE_EEES9_SG_JZNS1_25segmented_radix_sort_implINS0_14default_configELb1EPKbPbPKlPlN2at6native12_GLOBAL__N_18offset_tEEE10hipError_tPvRmT1_PNSt15iterator_traitsISY_E10value_typeET2_T3_PNSZ_IS14_E10value_typeET4_jRbjT5_S1A_jjP12ihipStream_tbEUljE_EEESV_SW_SX_S14_S18_S1A_T6_T7_T9_mT8_S1C_bDpT10_ENKUlT_T0_E_clISt17integral_constantIbLb0EES1O_IbLb1EEEEDaS1K_S1L_EUlS1K_E_NS1_11comp_targetILNS1_3genE2ELNS1_11target_archE906ELNS1_3gpuE6ELNS1_3repE0EEENS1_30default_config_static_selectorELNS0_4arch9wavefront6targetE1EEEvSY_.uses_vcc, 1
	.set _ZN7rocprim17ROCPRIM_400000_NS6detail17trampoline_kernelINS0_13select_configILj256ELj13ELNS0_17block_load_methodE3ELS4_3ELS4_3ELNS0_20block_scan_algorithmE0ELj4294967295EEENS1_25partition_config_selectorILNS1_17partition_subalgoE3EjNS0_10empty_typeEbEEZZNS1_14partition_implILS8_3ELb0ES6_jNS0_17counting_iteratorIjlEEPS9_SE_NS0_5tupleIJPjSE_EEENSF_IJSE_SE_EEES9_SG_JZNS1_25segmented_radix_sort_implINS0_14default_configELb1EPKbPbPKlPlN2at6native12_GLOBAL__N_18offset_tEEE10hipError_tPvRmT1_PNSt15iterator_traitsISY_E10value_typeET2_T3_PNSZ_IS14_E10value_typeET4_jRbjT5_S1A_jjP12ihipStream_tbEUljE_EEESV_SW_SX_S14_S18_S1A_T6_T7_T9_mT8_S1C_bDpT10_ENKUlT_T0_E_clISt17integral_constantIbLb0EES1O_IbLb1EEEEDaS1K_S1L_EUlS1K_E_NS1_11comp_targetILNS1_3genE2ELNS1_11target_archE906ELNS1_3gpuE6ELNS1_3repE0EEENS1_30default_config_static_selectorELNS0_4arch9wavefront6targetE1EEEvSY_.uses_flat_scratch, 0
	.set _ZN7rocprim17ROCPRIM_400000_NS6detail17trampoline_kernelINS0_13select_configILj256ELj13ELNS0_17block_load_methodE3ELS4_3ELS4_3ELNS0_20block_scan_algorithmE0ELj4294967295EEENS1_25partition_config_selectorILNS1_17partition_subalgoE3EjNS0_10empty_typeEbEEZZNS1_14partition_implILS8_3ELb0ES6_jNS0_17counting_iteratorIjlEEPS9_SE_NS0_5tupleIJPjSE_EEENSF_IJSE_SE_EEES9_SG_JZNS1_25segmented_radix_sort_implINS0_14default_configELb1EPKbPbPKlPlN2at6native12_GLOBAL__N_18offset_tEEE10hipError_tPvRmT1_PNSt15iterator_traitsISY_E10value_typeET2_T3_PNSZ_IS14_E10value_typeET4_jRbjT5_S1A_jjP12ihipStream_tbEUljE_EEESV_SW_SX_S14_S18_S1A_T6_T7_T9_mT8_S1C_bDpT10_ENKUlT_T0_E_clISt17integral_constantIbLb0EES1O_IbLb1EEEEDaS1K_S1L_EUlS1K_E_NS1_11comp_targetILNS1_3genE2ELNS1_11target_archE906ELNS1_3gpuE6ELNS1_3repE0EEENS1_30default_config_static_selectorELNS0_4arch9wavefront6targetE1EEEvSY_.has_dyn_sized_stack, 0
	.set _ZN7rocprim17ROCPRIM_400000_NS6detail17trampoline_kernelINS0_13select_configILj256ELj13ELNS0_17block_load_methodE3ELS4_3ELS4_3ELNS0_20block_scan_algorithmE0ELj4294967295EEENS1_25partition_config_selectorILNS1_17partition_subalgoE3EjNS0_10empty_typeEbEEZZNS1_14partition_implILS8_3ELb0ES6_jNS0_17counting_iteratorIjlEEPS9_SE_NS0_5tupleIJPjSE_EEENSF_IJSE_SE_EEES9_SG_JZNS1_25segmented_radix_sort_implINS0_14default_configELb1EPKbPbPKlPlN2at6native12_GLOBAL__N_18offset_tEEE10hipError_tPvRmT1_PNSt15iterator_traitsISY_E10value_typeET2_T3_PNSZ_IS14_E10value_typeET4_jRbjT5_S1A_jjP12ihipStream_tbEUljE_EEESV_SW_SX_S14_S18_S1A_T6_T7_T9_mT8_S1C_bDpT10_ENKUlT_T0_E_clISt17integral_constantIbLb0EES1O_IbLb1EEEEDaS1K_S1L_EUlS1K_E_NS1_11comp_targetILNS1_3genE2ELNS1_11target_archE906ELNS1_3gpuE6ELNS1_3repE0EEENS1_30default_config_static_selectorELNS0_4arch9wavefront6targetE1EEEvSY_.has_recursion, 0
	.set _ZN7rocprim17ROCPRIM_400000_NS6detail17trampoline_kernelINS0_13select_configILj256ELj13ELNS0_17block_load_methodE3ELS4_3ELS4_3ELNS0_20block_scan_algorithmE0ELj4294967295EEENS1_25partition_config_selectorILNS1_17partition_subalgoE3EjNS0_10empty_typeEbEEZZNS1_14partition_implILS8_3ELb0ES6_jNS0_17counting_iteratorIjlEEPS9_SE_NS0_5tupleIJPjSE_EEENSF_IJSE_SE_EEES9_SG_JZNS1_25segmented_radix_sort_implINS0_14default_configELb1EPKbPbPKlPlN2at6native12_GLOBAL__N_18offset_tEEE10hipError_tPvRmT1_PNSt15iterator_traitsISY_E10value_typeET2_T3_PNSZ_IS14_E10value_typeET4_jRbjT5_S1A_jjP12ihipStream_tbEUljE_EEESV_SW_SX_S14_S18_S1A_T6_T7_T9_mT8_S1C_bDpT10_ENKUlT_T0_E_clISt17integral_constantIbLb0EES1O_IbLb1EEEEDaS1K_S1L_EUlS1K_E_NS1_11comp_targetILNS1_3genE2ELNS1_11target_archE906ELNS1_3gpuE6ELNS1_3repE0EEENS1_30default_config_static_selectorELNS0_4arch9wavefront6targetE1EEEvSY_.has_indirect_call, 0
	.section	.AMDGPU.csdata,"",@progbits
; Kernel info:
; codeLenInByte = 7548
; TotalNumSgprs: 50
; NumVgprs: 71
; ScratchSize: 0
; MemoryBound: 0
; FloatMode: 240
; IeeeMode: 1
; LDSByteSize: 13320 bytes/workgroup (compile time only)
; SGPRBlocks: 12
; VGPRBlocks: 17
; NumSGPRsForWavesPerEU: 102
; NumVGPRsForWavesPerEU: 71
; Occupancy: 3
; WaveLimiterHint : 0
; COMPUTE_PGM_RSRC2:SCRATCH_EN: 0
; COMPUTE_PGM_RSRC2:USER_SGPR: 6
; COMPUTE_PGM_RSRC2:TRAP_HANDLER: 0
; COMPUTE_PGM_RSRC2:TGID_X_EN: 1
; COMPUTE_PGM_RSRC2:TGID_Y_EN: 0
; COMPUTE_PGM_RSRC2:TGID_Z_EN: 0
; COMPUTE_PGM_RSRC2:TIDIG_COMP_CNT: 0
	.section	.text._ZN7rocprim17ROCPRIM_400000_NS6detail17trampoline_kernelINS0_13select_configILj256ELj13ELNS0_17block_load_methodE3ELS4_3ELS4_3ELNS0_20block_scan_algorithmE0ELj4294967295EEENS1_25partition_config_selectorILNS1_17partition_subalgoE3EjNS0_10empty_typeEbEEZZNS1_14partition_implILS8_3ELb0ES6_jNS0_17counting_iteratorIjlEEPS9_SE_NS0_5tupleIJPjSE_EEENSF_IJSE_SE_EEES9_SG_JZNS1_25segmented_radix_sort_implINS0_14default_configELb1EPKbPbPKlPlN2at6native12_GLOBAL__N_18offset_tEEE10hipError_tPvRmT1_PNSt15iterator_traitsISY_E10value_typeET2_T3_PNSZ_IS14_E10value_typeET4_jRbjT5_S1A_jjP12ihipStream_tbEUljE_EEESV_SW_SX_S14_S18_S1A_T6_T7_T9_mT8_S1C_bDpT10_ENKUlT_T0_E_clISt17integral_constantIbLb0EES1O_IbLb1EEEEDaS1K_S1L_EUlS1K_E_NS1_11comp_targetILNS1_3genE10ELNS1_11target_archE1200ELNS1_3gpuE4ELNS1_3repE0EEENS1_30default_config_static_selectorELNS0_4arch9wavefront6targetE1EEEvSY_,"axG",@progbits,_ZN7rocprim17ROCPRIM_400000_NS6detail17trampoline_kernelINS0_13select_configILj256ELj13ELNS0_17block_load_methodE3ELS4_3ELS4_3ELNS0_20block_scan_algorithmE0ELj4294967295EEENS1_25partition_config_selectorILNS1_17partition_subalgoE3EjNS0_10empty_typeEbEEZZNS1_14partition_implILS8_3ELb0ES6_jNS0_17counting_iteratorIjlEEPS9_SE_NS0_5tupleIJPjSE_EEENSF_IJSE_SE_EEES9_SG_JZNS1_25segmented_radix_sort_implINS0_14default_configELb1EPKbPbPKlPlN2at6native12_GLOBAL__N_18offset_tEEE10hipError_tPvRmT1_PNSt15iterator_traitsISY_E10value_typeET2_T3_PNSZ_IS14_E10value_typeET4_jRbjT5_S1A_jjP12ihipStream_tbEUljE_EEESV_SW_SX_S14_S18_S1A_T6_T7_T9_mT8_S1C_bDpT10_ENKUlT_T0_E_clISt17integral_constantIbLb0EES1O_IbLb1EEEEDaS1K_S1L_EUlS1K_E_NS1_11comp_targetILNS1_3genE10ELNS1_11target_archE1200ELNS1_3gpuE4ELNS1_3repE0EEENS1_30default_config_static_selectorELNS0_4arch9wavefront6targetE1EEEvSY_,comdat
	.globl	_ZN7rocprim17ROCPRIM_400000_NS6detail17trampoline_kernelINS0_13select_configILj256ELj13ELNS0_17block_load_methodE3ELS4_3ELS4_3ELNS0_20block_scan_algorithmE0ELj4294967295EEENS1_25partition_config_selectorILNS1_17partition_subalgoE3EjNS0_10empty_typeEbEEZZNS1_14partition_implILS8_3ELb0ES6_jNS0_17counting_iteratorIjlEEPS9_SE_NS0_5tupleIJPjSE_EEENSF_IJSE_SE_EEES9_SG_JZNS1_25segmented_radix_sort_implINS0_14default_configELb1EPKbPbPKlPlN2at6native12_GLOBAL__N_18offset_tEEE10hipError_tPvRmT1_PNSt15iterator_traitsISY_E10value_typeET2_T3_PNSZ_IS14_E10value_typeET4_jRbjT5_S1A_jjP12ihipStream_tbEUljE_EEESV_SW_SX_S14_S18_S1A_T6_T7_T9_mT8_S1C_bDpT10_ENKUlT_T0_E_clISt17integral_constantIbLb0EES1O_IbLb1EEEEDaS1K_S1L_EUlS1K_E_NS1_11comp_targetILNS1_3genE10ELNS1_11target_archE1200ELNS1_3gpuE4ELNS1_3repE0EEENS1_30default_config_static_selectorELNS0_4arch9wavefront6targetE1EEEvSY_ ; -- Begin function _ZN7rocprim17ROCPRIM_400000_NS6detail17trampoline_kernelINS0_13select_configILj256ELj13ELNS0_17block_load_methodE3ELS4_3ELS4_3ELNS0_20block_scan_algorithmE0ELj4294967295EEENS1_25partition_config_selectorILNS1_17partition_subalgoE3EjNS0_10empty_typeEbEEZZNS1_14partition_implILS8_3ELb0ES6_jNS0_17counting_iteratorIjlEEPS9_SE_NS0_5tupleIJPjSE_EEENSF_IJSE_SE_EEES9_SG_JZNS1_25segmented_radix_sort_implINS0_14default_configELb1EPKbPbPKlPlN2at6native12_GLOBAL__N_18offset_tEEE10hipError_tPvRmT1_PNSt15iterator_traitsISY_E10value_typeET2_T3_PNSZ_IS14_E10value_typeET4_jRbjT5_S1A_jjP12ihipStream_tbEUljE_EEESV_SW_SX_S14_S18_S1A_T6_T7_T9_mT8_S1C_bDpT10_ENKUlT_T0_E_clISt17integral_constantIbLb0EES1O_IbLb1EEEEDaS1K_S1L_EUlS1K_E_NS1_11comp_targetILNS1_3genE10ELNS1_11target_archE1200ELNS1_3gpuE4ELNS1_3repE0EEENS1_30default_config_static_selectorELNS0_4arch9wavefront6targetE1EEEvSY_
	.p2align	8
	.type	_ZN7rocprim17ROCPRIM_400000_NS6detail17trampoline_kernelINS0_13select_configILj256ELj13ELNS0_17block_load_methodE3ELS4_3ELS4_3ELNS0_20block_scan_algorithmE0ELj4294967295EEENS1_25partition_config_selectorILNS1_17partition_subalgoE3EjNS0_10empty_typeEbEEZZNS1_14partition_implILS8_3ELb0ES6_jNS0_17counting_iteratorIjlEEPS9_SE_NS0_5tupleIJPjSE_EEENSF_IJSE_SE_EEES9_SG_JZNS1_25segmented_radix_sort_implINS0_14default_configELb1EPKbPbPKlPlN2at6native12_GLOBAL__N_18offset_tEEE10hipError_tPvRmT1_PNSt15iterator_traitsISY_E10value_typeET2_T3_PNSZ_IS14_E10value_typeET4_jRbjT5_S1A_jjP12ihipStream_tbEUljE_EEESV_SW_SX_S14_S18_S1A_T6_T7_T9_mT8_S1C_bDpT10_ENKUlT_T0_E_clISt17integral_constantIbLb0EES1O_IbLb1EEEEDaS1K_S1L_EUlS1K_E_NS1_11comp_targetILNS1_3genE10ELNS1_11target_archE1200ELNS1_3gpuE4ELNS1_3repE0EEENS1_30default_config_static_selectorELNS0_4arch9wavefront6targetE1EEEvSY_,@function
_ZN7rocprim17ROCPRIM_400000_NS6detail17trampoline_kernelINS0_13select_configILj256ELj13ELNS0_17block_load_methodE3ELS4_3ELS4_3ELNS0_20block_scan_algorithmE0ELj4294967295EEENS1_25partition_config_selectorILNS1_17partition_subalgoE3EjNS0_10empty_typeEbEEZZNS1_14partition_implILS8_3ELb0ES6_jNS0_17counting_iteratorIjlEEPS9_SE_NS0_5tupleIJPjSE_EEENSF_IJSE_SE_EEES9_SG_JZNS1_25segmented_radix_sort_implINS0_14default_configELb1EPKbPbPKlPlN2at6native12_GLOBAL__N_18offset_tEEE10hipError_tPvRmT1_PNSt15iterator_traitsISY_E10value_typeET2_T3_PNSZ_IS14_E10value_typeET4_jRbjT5_S1A_jjP12ihipStream_tbEUljE_EEESV_SW_SX_S14_S18_S1A_T6_T7_T9_mT8_S1C_bDpT10_ENKUlT_T0_E_clISt17integral_constantIbLb0EES1O_IbLb1EEEEDaS1K_S1L_EUlS1K_E_NS1_11comp_targetILNS1_3genE10ELNS1_11target_archE1200ELNS1_3gpuE4ELNS1_3repE0EEENS1_30default_config_static_selectorELNS0_4arch9wavefront6targetE1EEEvSY_: ; @_ZN7rocprim17ROCPRIM_400000_NS6detail17trampoline_kernelINS0_13select_configILj256ELj13ELNS0_17block_load_methodE3ELS4_3ELS4_3ELNS0_20block_scan_algorithmE0ELj4294967295EEENS1_25partition_config_selectorILNS1_17partition_subalgoE3EjNS0_10empty_typeEbEEZZNS1_14partition_implILS8_3ELb0ES6_jNS0_17counting_iteratorIjlEEPS9_SE_NS0_5tupleIJPjSE_EEENSF_IJSE_SE_EEES9_SG_JZNS1_25segmented_radix_sort_implINS0_14default_configELb1EPKbPbPKlPlN2at6native12_GLOBAL__N_18offset_tEEE10hipError_tPvRmT1_PNSt15iterator_traitsISY_E10value_typeET2_T3_PNSZ_IS14_E10value_typeET4_jRbjT5_S1A_jjP12ihipStream_tbEUljE_EEESV_SW_SX_S14_S18_S1A_T6_T7_T9_mT8_S1C_bDpT10_ENKUlT_T0_E_clISt17integral_constantIbLb0EES1O_IbLb1EEEEDaS1K_S1L_EUlS1K_E_NS1_11comp_targetILNS1_3genE10ELNS1_11target_archE1200ELNS1_3gpuE4ELNS1_3repE0EEENS1_30default_config_static_selectorELNS0_4arch9wavefront6targetE1EEEvSY_
; %bb.0:
	.section	.rodata,"a",@progbits
	.p2align	6, 0x0
	.amdhsa_kernel _ZN7rocprim17ROCPRIM_400000_NS6detail17trampoline_kernelINS0_13select_configILj256ELj13ELNS0_17block_load_methodE3ELS4_3ELS4_3ELNS0_20block_scan_algorithmE0ELj4294967295EEENS1_25partition_config_selectorILNS1_17partition_subalgoE3EjNS0_10empty_typeEbEEZZNS1_14partition_implILS8_3ELb0ES6_jNS0_17counting_iteratorIjlEEPS9_SE_NS0_5tupleIJPjSE_EEENSF_IJSE_SE_EEES9_SG_JZNS1_25segmented_radix_sort_implINS0_14default_configELb1EPKbPbPKlPlN2at6native12_GLOBAL__N_18offset_tEEE10hipError_tPvRmT1_PNSt15iterator_traitsISY_E10value_typeET2_T3_PNSZ_IS14_E10value_typeET4_jRbjT5_S1A_jjP12ihipStream_tbEUljE_EEESV_SW_SX_S14_S18_S1A_T6_T7_T9_mT8_S1C_bDpT10_ENKUlT_T0_E_clISt17integral_constantIbLb0EES1O_IbLb1EEEEDaS1K_S1L_EUlS1K_E_NS1_11comp_targetILNS1_3genE10ELNS1_11target_archE1200ELNS1_3gpuE4ELNS1_3repE0EEENS1_30default_config_static_selectorELNS0_4arch9wavefront6targetE1EEEvSY_
		.amdhsa_group_segment_fixed_size 0
		.amdhsa_private_segment_fixed_size 0
		.amdhsa_kernarg_size 152
		.amdhsa_user_sgpr_count 6
		.amdhsa_user_sgpr_private_segment_buffer 1
		.amdhsa_user_sgpr_dispatch_ptr 0
		.amdhsa_user_sgpr_queue_ptr 0
		.amdhsa_user_sgpr_kernarg_segment_ptr 1
		.amdhsa_user_sgpr_dispatch_id 0
		.amdhsa_user_sgpr_flat_scratch_init 0
		.amdhsa_user_sgpr_private_segment_size 0
		.amdhsa_uses_dynamic_stack 0
		.amdhsa_system_sgpr_private_segment_wavefront_offset 0
		.amdhsa_system_sgpr_workgroup_id_x 1
		.amdhsa_system_sgpr_workgroup_id_y 0
		.amdhsa_system_sgpr_workgroup_id_z 0
		.amdhsa_system_sgpr_workgroup_info 0
		.amdhsa_system_vgpr_workitem_id 0
		.amdhsa_next_free_vgpr 1
		.amdhsa_next_free_sgpr 0
		.amdhsa_reserve_vcc 0
		.amdhsa_reserve_flat_scratch 0
		.amdhsa_float_round_mode_32 0
		.amdhsa_float_round_mode_16_64 0
		.amdhsa_float_denorm_mode_32 3
		.amdhsa_float_denorm_mode_16_64 3
		.amdhsa_dx10_clamp 1
		.amdhsa_ieee_mode 1
		.amdhsa_fp16_overflow 0
		.amdhsa_exception_fp_ieee_invalid_op 0
		.amdhsa_exception_fp_denorm_src 0
		.amdhsa_exception_fp_ieee_div_zero 0
		.amdhsa_exception_fp_ieee_overflow 0
		.amdhsa_exception_fp_ieee_underflow 0
		.amdhsa_exception_fp_ieee_inexact 0
		.amdhsa_exception_int_div_zero 0
	.end_amdhsa_kernel
	.section	.text._ZN7rocprim17ROCPRIM_400000_NS6detail17trampoline_kernelINS0_13select_configILj256ELj13ELNS0_17block_load_methodE3ELS4_3ELS4_3ELNS0_20block_scan_algorithmE0ELj4294967295EEENS1_25partition_config_selectorILNS1_17partition_subalgoE3EjNS0_10empty_typeEbEEZZNS1_14partition_implILS8_3ELb0ES6_jNS0_17counting_iteratorIjlEEPS9_SE_NS0_5tupleIJPjSE_EEENSF_IJSE_SE_EEES9_SG_JZNS1_25segmented_radix_sort_implINS0_14default_configELb1EPKbPbPKlPlN2at6native12_GLOBAL__N_18offset_tEEE10hipError_tPvRmT1_PNSt15iterator_traitsISY_E10value_typeET2_T3_PNSZ_IS14_E10value_typeET4_jRbjT5_S1A_jjP12ihipStream_tbEUljE_EEESV_SW_SX_S14_S18_S1A_T6_T7_T9_mT8_S1C_bDpT10_ENKUlT_T0_E_clISt17integral_constantIbLb0EES1O_IbLb1EEEEDaS1K_S1L_EUlS1K_E_NS1_11comp_targetILNS1_3genE10ELNS1_11target_archE1200ELNS1_3gpuE4ELNS1_3repE0EEENS1_30default_config_static_selectorELNS0_4arch9wavefront6targetE1EEEvSY_,"axG",@progbits,_ZN7rocprim17ROCPRIM_400000_NS6detail17trampoline_kernelINS0_13select_configILj256ELj13ELNS0_17block_load_methodE3ELS4_3ELS4_3ELNS0_20block_scan_algorithmE0ELj4294967295EEENS1_25partition_config_selectorILNS1_17partition_subalgoE3EjNS0_10empty_typeEbEEZZNS1_14partition_implILS8_3ELb0ES6_jNS0_17counting_iteratorIjlEEPS9_SE_NS0_5tupleIJPjSE_EEENSF_IJSE_SE_EEES9_SG_JZNS1_25segmented_radix_sort_implINS0_14default_configELb1EPKbPbPKlPlN2at6native12_GLOBAL__N_18offset_tEEE10hipError_tPvRmT1_PNSt15iterator_traitsISY_E10value_typeET2_T3_PNSZ_IS14_E10value_typeET4_jRbjT5_S1A_jjP12ihipStream_tbEUljE_EEESV_SW_SX_S14_S18_S1A_T6_T7_T9_mT8_S1C_bDpT10_ENKUlT_T0_E_clISt17integral_constantIbLb0EES1O_IbLb1EEEEDaS1K_S1L_EUlS1K_E_NS1_11comp_targetILNS1_3genE10ELNS1_11target_archE1200ELNS1_3gpuE4ELNS1_3repE0EEENS1_30default_config_static_selectorELNS0_4arch9wavefront6targetE1EEEvSY_,comdat
.Lfunc_end1529:
	.size	_ZN7rocprim17ROCPRIM_400000_NS6detail17trampoline_kernelINS0_13select_configILj256ELj13ELNS0_17block_load_methodE3ELS4_3ELS4_3ELNS0_20block_scan_algorithmE0ELj4294967295EEENS1_25partition_config_selectorILNS1_17partition_subalgoE3EjNS0_10empty_typeEbEEZZNS1_14partition_implILS8_3ELb0ES6_jNS0_17counting_iteratorIjlEEPS9_SE_NS0_5tupleIJPjSE_EEENSF_IJSE_SE_EEES9_SG_JZNS1_25segmented_radix_sort_implINS0_14default_configELb1EPKbPbPKlPlN2at6native12_GLOBAL__N_18offset_tEEE10hipError_tPvRmT1_PNSt15iterator_traitsISY_E10value_typeET2_T3_PNSZ_IS14_E10value_typeET4_jRbjT5_S1A_jjP12ihipStream_tbEUljE_EEESV_SW_SX_S14_S18_S1A_T6_T7_T9_mT8_S1C_bDpT10_ENKUlT_T0_E_clISt17integral_constantIbLb0EES1O_IbLb1EEEEDaS1K_S1L_EUlS1K_E_NS1_11comp_targetILNS1_3genE10ELNS1_11target_archE1200ELNS1_3gpuE4ELNS1_3repE0EEENS1_30default_config_static_selectorELNS0_4arch9wavefront6targetE1EEEvSY_, .Lfunc_end1529-_ZN7rocprim17ROCPRIM_400000_NS6detail17trampoline_kernelINS0_13select_configILj256ELj13ELNS0_17block_load_methodE3ELS4_3ELS4_3ELNS0_20block_scan_algorithmE0ELj4294967295EEENS1_25partition_config_selectorILNS1_17partition_subalgoE3EjNS0_10empty_typeEbEEZZNS1_14partition_implILS8_3ELb0ES6_jNS0_17counting_iteratorIjlEEPS9_SE_NS0_5tupleIJPjSE_EEENSF_IJSE_SE_EEES9_SG_JZNS1_25segmented_radix_sort_implINS0_14default_configELb1EPKbPbPKlPlN2at6native12_GLOBAL__N_18offset_tEEE10hipError_tPvRmT1_PNSt15iterator_traitsISY_E10value_typeET2_T3_PNSZ_IS14_E10value_typeET4_jRbjT5_S1A_jjP12ihipStream_tbEUljE_EEESV_SW_SX_S14_S18_S1A_T6_T7_T9_mT8_S1C_bDpT10_ENKUlT_T0_E_clISt17integral_constantIbLb0EES1O_IbLb1EEEEDaS1K_S1L_EUlS1K_E_NS1_11comp_targetILNS1_3genE10ELNS1_11target_archE1200ELNS1_3gpuE4ELNS1_3repE0EEENS1_30default_config_static_selectorELNS0_4arch9wavefront6targetE1EEEvSY_
                                        ; -- End function
	.set _ZN7rocprim17ROCPRIM_400000_NS6detail17trampoline_kernelINS0_13select_configILj256ELj13ELNS0_17block_load_methodE3ELS4_3ELS4_3ELNS0_20block_scan_algorithmE0ELj4294967295EEENS1_25partition_config_selectorILNS1_17partition_subalgoE3EjNS0_10empty_typeEbEEZZNS1_14partition_implILS8_3ELb0ES6_jNS0_17counting_iteratorIjlEEPS9_SE_NS0_5tupleIJPjSE_EEENSF_IJSE_SE_EEES9_SG_JZNS1_25segmented_radix_sort_implINS0_14default_configELb1EPKbPbPKlPlN2at6native12_GLOBAL__N_18offset_tEEE10hipError_tPvRmT1_PNSt15iterator_traitsISY_E10value_typeET2_T3_PNSZ_IS14_E10value_typeET4_jRbjT5_S1A_jjP12ihipStream_tbEUljE_EEESV_SW_SX_S14_S18_S1A_T6_T7_T9_mT8_S1C_bDpT10_ENKUlT_T0_E_clISt17integral_constantIbLb0EES1O_IbLb1EEEEDaS1K_S1L_EUlS1K_E_NS1_11comp_targetILNS1_3genE10ELNS1_11target_archE1200ELNS1_3gpuE4ELNS1_3repE0EEENS1_30default_config_static_selectorELNS0_4arch9wavefront6targetE1EEEvSY_.num_vgpr, 0
	.set _ZN7rocprim17ROCPRIM_400000_NS6detail17trampoline_kernelINS0_13select_configILj256ELj13ELNS0_17block_load_methodE3ELS4_3ELS4_3ELNS0_20block_scan_algorithmE0ELj4294967295EEENS1_25partition_config_selectorILNS1_17partition_subalgoE3EjNS0_10empty_typeEbEEZZNS1_14partition_implILS8_3ELb0ES6_jNS0_17counting_iteratorIjlEEPS9_SE_NS0_5tupleIJPjSE_EEENSF_IJSE_SE_EEES9_SG_JZNS1_25segmented_radix_sort_implINS0_14default_configELb1EPKbPbPKlPlN2at6native12_GLOBAL__N_18offset_tEEE10hipError_tPvRmT1_PNSt15iterator_traitsISY_E10value_typeET2_T3_PNSZ_IS14_E10value_typeET4_jRbjT5_S1A_jjP12ihipStream_tbEUljE_EEESV_SW_SX_S14_S18_S1A_T6_T7_T9_mT8_S1C_bDpT10_ENKUlT_T0_E_clISt17integral_constantIbLb0EES1O_IbLb1EEEEDaS1K_S1L_EUlS1K_E_NS1_11comp_targetILNS1_3genE10ELNS1_11target_archE1200ELNS1_3gpuE4ELNS1_3repE0EEENS1_30default_config_static_selectorELNS0_4arch9wavefront6targetE1EEEvSY_.num_agpr, 0
	.set _ZN7rocprim17ROCPRIM_400000_NS6detail17trampoline_kernelINS0_13select_configILj256ELj13ELNS0_17block_load_methodE3ELS4_3ELS4_3ELNS0_20block_scan_algorithmE0ELj4294967295EEENS1_25partition_config_selectorILNS1_17partition_subalgoE3EjNS0_10empty_typeEbEEZZNS1_14partition_implILS8_3ELb0ES6_jNS0_17counting_iteratorIjlEEPS9_SE_NS0_5tupleIJPjSE_EEENSF_IJSE_SE_EEES9_SG_JZNS1_25segmented_radix_sort_implINS0_14default_configELb1EPKbPbPKlPlN2at6native12_GLOBAL__N_18offset_tEEE10hipError_tPvRmT1_PNSt15iterator_traitsISY_E10value_typeET2_T3_PNSZ_IS14_E10value_typeET4_jRbjT5_S1A_jjP12ihipStream_tbEUljE_EEESV_SW_SX_S14_S18_S1A_T6_T7_T9_mT8_S1C_bDpT10_ENKUlT_T0_E_clISt17integral_constantIbLb0EES1O_IbLb1EEEEDaS1K_S1L_EUlS1K_E_NS1_11comp_targetILNS1_3genE10ELNS1_11target_archE1200ELNS1_3gpuE4ELNS1_3repE0EEENS1_30default_config_static_selectorELNS0_4arch9wavefront6targetE1EEEvSY_.numbered_sgpr, 0
	.set _ZN7rocprim17ROCPRIM_400000_NS6detail17trampoline_kernelINS0_13select_configILj256ELj13ELNS0_17block_load_methodE3ELS4_3ELS4_3ELNS0_20block_scan_algorithmE0ELj4294967295EEENS1_25partition_config_selectorILNS1_17partition_subalgoE3EjNS0_10empty_typeEbEEZZNS1_14partition_implILS8_3ELb0ES6_jNS0_17counting_iteratorIjlEEPS9_SE_NS0_5tupleIJPjSE_EEENSF_IJSE_SE_EEES9_SG_JZNS1_25segmented_radix_sort_implINS0_14default_configELb1EPKbPbPKlPlN2at6native12_GLOBAL__N_18offset_tEEE10hipError_tPvRmT1_PNSt15iterator_traitsISY_E10value_typeET2_T3_PNSZ_IS14_E10value_typeET4_jRbjT5_S1A_jjP12ihipStream_tbEUljE_EEESV_SW_SX_S14_S18_S1A_T6_T7_T9_mT8_S1C_bDpT10_ENKUlT_T0_E_clISt17integral_constantIbLb0EES1O_IbLb1EEEEDaS1K_S1L_EUlS1K_E_NS1_11comp_targetILNS1_3genE10ELNS1_11target_archE1200ELNS1_3gpuE4ELNS1_3repE0EEENS1_30default_config_static_selectorELNS0_4arch9wavefront6targetE1EEEvSY_.num_named_barrier, 0
	.set _ZN7rocprim17ROCPRIM_400000_NS6detail17trampoline_kernelINS0_13select_configILj256ELj13ELNS0_17block_load_methodE3ELS4_3ELS4_3ELNS0_20block_scan_algorithmE0ELj4294967295EEENS1_25partition_config_selectorILNS1_17partition_subalgoE3EjNS0_10empty_typeEbEEZZNS1_14partition_implILS8_3ELb0ES6_jNS0_17counting_iteratorIjlEEPS9_SE_NS0_5tupleIJPjSE_EEENSF_IJSE_SE_EEES9_SG_JZNS1_25segmented_radix_sort_implINS0_14default_configELb1EPKbPbPKlPlN2at6native12_GLOBAL__N_18offset_tEEE10hipError_tPvRmT1_PNSt15iterator_traitsISY_E10value_typeET2_T3_PNSZ_IS14_E10value_typeET4_jRbjT5_S1A_jjP12ihipStream_tbEUljE_EEESV_SW_SX_S14_S18_S1A_T6_T7_T9_mT8_S1C_bDpT10_ENKUlT_T0_E_clISt17integral_constantIbLb0EES1O_IbLb1EEEEDaS1K_S1L_EUlS1K_E_NS1_11comp_targetILNS1_3genE10ELNS1_11target_archE1200ELNS1_3gpuE4ELNS1_3repE0EEENS1_30default_config_static_selectorELNS0_4arch9wavefront6targetE1EEEvSY_.private_seg_size, 0
	.set _ZN7rocprim17ROCPRIM_400000_NS6detail17trampoline_kernelINS0_13select_configILj256ELj13ELNS0_17block_load_methodE3ELS4_3ELS4_3ELNS0_20block_scan_algorithmE0ELj4294967295EEENS1_25partition_config_selectorILNS1_17partition_subalgoE3EjNS0_10empty_typeEbEEZZNS1_14partition_implILS8_3ELb0ES6_jNS0_17counting_iteratorIjlEEPS9_SE_NS0_5tupleIJPjSE_EEENSF_IJSE_SE_EEES9_SG_JZNS1_25segmented_radix_sort_implINS0_14default_configELb1EPKbPbPKlPlN2at6native12_GLOBAL__N_18offset_tEEE10hipError_tPvRmT1_PNSt15iterator_traitsISY_E10value_typeET2_T3_PNSZ_IS14_E10value_typeET4_jRbjT5_S1A_jjP12ihipStream_tbEUljE_EEESV_SW_SX_S14_S18_S1A_T6_T7_T9_mT8_S1C_bDpT10_ENKUlT_T0_E_clISt17integral_constantIbLb0EES1O_IbLb1EEEEDaS1K_S1L_EUlS1K_E_NS1_11comp_targetILNS1_3genE10ELNS1_11target_archE1200ELNS1_3gpuE4ELNS1_3repE0EEENS1_30default_config_static_selectorELNS0_4arch9wavefront6targetE1EEEvSY_.uses_vcc, 0
	.set _ZN7rocprim17ROCPRIM_400000_NS6detail17trampoline_kernelINS0_13select_configILj256ELj13ELNS0_17block_load_methodE3ELS4_3ELS4_3ELNS0_20block_scan_algorithmE0ELj4294967295EEENS1_25partition_config_selectorILNS1_17partition_subalgoE3EjNS0_10empty_typeEbEEZZNS1_14partition_implILS8_3ELb0ES6_jNS0_17counting_iteratorIjlEEPS9_SE_NS0_5tupleIJPjSE_EEENSF_IJSE_SE_EEES9_SG_JZNS1_25segmented_radix_sort_implINS0_14default_configELb1EPKbPbPKlPlN2at6native12_GLOBAL__N_18offset_tEEE10hipError_tPvRmT1_PNSt15iterator_traitsISY_E10value_typeET2_T3_PNSZ_IS14_E10value_typeET4_jRbjT5_S1A_jjP12ihipStream_tbEUljE_EEESV_SW_SX_S14_S18_S1A_T6_T7_T9_mT8_S1C_bDpT10_ENKUlT_T0_E_clISt17integral_constantIbLb0EES1O_IbLb1EEEEDaS1K_S1L_EUlS1K_E_NS1_11comp_targetILNS1_3genE10ELNS1_11target_archE1200ELNS1_3gpuE4ELNS1_3repE0EEENS1_30default_config_static_selectorELNS0_4arch9wavefront6targetE1EEEvSY_.uses_flat_scratch, 0
	.set _ZN7rocprim17ROCPRIM_400000_NS6detail17trampoline_kernelINS0_13select_configILj256ELj13ELNS0_17block_load_methodE3ELS4_3ELS4_3ELNS0_20block_scan_algorithmE0ELj4294967295EEENS1_25partition_config_selectorILNS1_17partition_subalgoE3EjNS0_10empty_typeEbEEZZNS1_14partition_implILS8_3ELb0ES6_jNS0_17counting_iteratorIjlEEPS9_SE_NS0_5tupleIJPjSE_EEENSF_IJSE_SE_EEES9_SG_JZNS1_25segmented_radix_sort_implINS0_14default_configELb1EPKbPbPKlPlN2at6native12_GLOBAL__N_18offset_tEEE10hipError_tPvRmT1_PNSt15iterator_traitsISY_E10value_typeET2_T3_PNSZ_IS14_E10value_typeET4_jRbjT5_S1A_jjP12ihipStream_tbEUljE_EEESV_SW_SX_S14_S18_S1A_T6_T7_T9_mT8_S1C_bDpT10_ENKUlT_T0_E_clISt17integral_constantIbLb0EES1O_IbLb1EEEEDaS1K_S1L_EUlS1K_E_NS1_11comp_targetILNS1_3genE10ELNS1_11target_archE1200ELNS1_3gpuE4ELNS1_3repE0EEENS1_30default_config_static_selectorELNS0_4arch9wavefront6targetE1EEEvSY_.has_dyn_sized_stack, 0
	.set _ZN7rocprim17ROCPRIM_400000_NS6detail17trampoline_kernelINS0_13select_configILj256ELj13ELNS0_17block_load_methodE3ELS4_3ELS4_3ELNS0_20block_scan_algorithmE0ELj4294967295EEENS1_25partition_config_selectorILNS1_17partition_subalgoE3EjNS0_10empty_typeEbEEZZNS1_14partition_implILS8_3ELb0ES6_jNS0_17counting_iteratorIjlEEPS9_SE_NS0_5tupleIJPjSE_EEENSF_IJSE_SE_EEES9_SG_JZNS1_25segmented_radix_sort_implINS0_14default_configELb1EPKbPbPKlPlN2at6native12_GLOBAL__N_18offset_tEEE10hipError_tPvRmT1_PNSt15iterator_traitsISY_E10value_typeET2_T3_PNSZ_IS14_E10value_typeET4_jRbjT5_S1A_jjP12ihipStream_tbEUljE_EEESV_SW_SX_S14_S18_S1A_T6_T7_T9_mT8_S1C_bDpT10_ENKUlT_T0_E_clISt17integral_constantIbLb0EES1O_IbLb1EEEEDaS1K_S1L_EUlS1K_E_NS1_11comp_targetILNS1_3genE10ELNS1_11target_archE1200ELNS1_3gpuE4ELNS1_3repE0EEENS1_30default_config_static_selectorELNS0_4arch9wavefront6targetE1EEEvSY_.has_recursion, 0
	.set _ZN7rocprim17ROCPRIM_400000_NS6detail17trampoline_kernelINS0_13select_configILj256ELj13ELNS0_17block_load_methodE3ELS4_3ELS4_3ELNS0_20block_scan_algorithmE0ELj4294967295EEENS1_25partition_config_selectorILNS1_17partition_subalgoE3EjNS0_10empty_typeEbEEZZNS1_14partition_implILS8_3ELb0ES6_jNS0_17counting_iteratorIjlEEPS9_SE_NS0_5tupleIJPjSE_EEENSF_IJSE_SE_EEES9_SG_JZNS1_25segmented_radix_sort_implINS0_14default_configELb1EPKbPbPKlPlN2at6native12_GLOBAL__N_18offset_tEEE10hipError_tPvRmT1_PNSt15iterator_traitsISY_E10value_typeET2_T3_PNSZ_IS14_E10value_typeET4_jRbjT5_S1A_jjP12ihipStream_tbEUljE_EEESV_SW_SX_S14_S18_S1A_T6_T7_T9_mT8_S1C_bDpT10_ENKUlT_T0_E_clISt17integral_constantIbLb0EES1O_IbLb1EEEEDaS1K_S1L_EUlS1K_E_NS1_11comp_targetILNS1_3genE10ELNS1_11target_archE1200ELNS1_3gpuE4ELNS1_3repE0EEENS1_30default_config_static_selectorELNS0_4arch9wavefront6targetE1EEEvSY_.has_indirect_call, 0
	.section	.AMDGPU.csdata,"",@progbits
; Kernel info:
; codeLenInByte = 0
; TotalNumSgprs: 4
; NumVgprs: 0
; ScratchSize: 0
; MemoryBound: 0
; FloatMode: 240
; IeeeMode: 1
; LDSByteSize: 0 bytes/workgroup (compile time only)
; SGPRBlocks: 0
; VGPRBlocks: 0
; NumSGPRsForWavesPerEU: 4
; NumVGPRsForWavesPerEU: 1
; Occupancy: 10
; WaveLimiterHint : 0
; COMPUTE_PGM_RSRC2:SCRATCH_EN: 0
; COMPUTE_PGM_RSRC2:USER_SGPR: 6
; COMPUTE_PGM_RSRC2:TRAP_HANDLER: 0
; COMPUTE_PGM_RSRC2:TGID_X_EN: 1
; COMPUTE_PGM_RSRC2:TGID_Y_EN: 0
; COMPUTE_PGM_RSRC2:TGID_Z_EN: 0
; COMPUTE_PGM_RSRC2:TIDIG_COMP_CNT: 0
	.section	.text._ZN7rocprim17ROCPRIM_400000_NS6detail17trampoline_kernelINS0_13select_configILj256ELj13ELNS0_17block_load_methodE3ELS4_3ELS4_3ELNS0_20block_scan_algorithmE0ELj4294967295EEENS1_25partition_config_selectorILNS1_17partition_subalgoE3EjNS0_10empty_typeEbEEZZNS1_14partition_implILS8_3ELb0ES6_jNS0_17counting_iteratorIjlEEPS9_SE_NS0_5tupleIJPjSE_EEENSF_IJSE_SE_EEES9_SG_JZNS1_25segmented_radix_sort_implINS0_14default_configELb1EPKbPbPKlPlN2at6native12_GLOBAL__N_18offset_tEEE10hipError_tPvRmT1_PNSt15iterator_traitsISY_E10value_typeET2_T3_PNSZ_IS14_E10value_typeET4_jRbjT5_S1A_jjP12ihipStream_tbEUljE_EEESV_SW_SX_S14_S18_S1A_T6_T7_T9_mT8_S1C_bDpT10_ENKUlT_T0_E_clISt17integral_constantIbLb0EES1O_IbLb1EEEEDaS1K_S1L_EUlS1K_E_NS1_11comp_targetILNS1_3genE9ELNS1_11target_archE1100ELNS1_3gpuE3ELNS1_3repE0EEENS1_30default_config_static_selectorELNS0_4arch9wavefront6targetE1EEEvSY_,"axG",@progbits,_ZN7rocprim17ROCPRIM_400000_NS6detail17trampoline_kernelINS0_13select_configILj256ELj13ELNS0_17block_load_methodE3ELS4_3ELS4_3ELNS0_20block_scan_algorithmE0ELj4294967295EEENS1_25partition_config_selectorILNS1_17partition_subalgoE3EjNS0_10empty_typeEbEEZZNS1_14partition_implILS8_3ELb0ES6_jNS0_17counting_iteratorIjlEEPS9_SE_NS0_5tupleIJPjSE_EEENSF_IJSE_SE_EEES9_SG_JZNS1_25segmented_radix_sort_implINS0_14default_configELb1EPKbPbPKlPlN2at6native12_GLOBAL__N_18offset_tEEE10hipError_tPvRmT1_PNSt15iterator_traitsISY_E10value_typeET2_T3_PNSZ_IS14_E10value_typeET4_jRbjT5_S1A_jjP12ihipStream_tbEUljE_EEESV_SW_SX_S14_S18_S1A_T6_T7_T9_mT8_S1C_bDpT10_ENKUlT_T0_E_clISt17integral_constantIbLb0EES1O_IbLb1EEEEDaS1K_S1L_EUlS1K_E_NS1_11comp_targetILNS1_3genE9ELNS1_11target_archE1100ELNS1_3gpuE3ELNS1_3repE0EEENS1_30default_config_static_selectorELNS0_4arch9wavefront6targetE1EEEvSY_,comdat
	.globl	_ZN7rocprim17ROCPRIM_400000_NS6detail17trampoline_kernelINS0_13select_configILj256ELj13ELNS0_17block_load_methodE3ELS4_3ELS4_3ELNS0_20block_scan_algorithmE0ELj4294967295EEENS1_25partition_config_selectorILNS1_17partition_subalgoE3EjNS0_10empty_typeEbEEZZNS1_14partition_implILS8_3ELb0ES6_jNS0_17counting_iteratorIjlEEPS9_SE_NS0_5tupleIJPjSE_EEENSF_IJSE_SE_EEES9_SG_JZNS1_25segmented_radix_sort_implINS0_14default_configELb1EPKbPbPKlPlN2at6native12_GLOBAL__N_18offset_tEEE10hipError_tPvRmT1_PNSt15iterator_traitsISY_E10value_typeET2_T3_PNSZ_IS14_E10value_typeET4_jRbjT5_S1A_jjP12ihipStream_tbEUljE_EEESV_SW_SX_S14_S18_S1A_T6_T7_T9_mT8_S1C_bDpT10_ENKUlT_T0_E_clISt17integral_constantIbLb0EES1O_IbLb1EEEEDaS1K_S1L_EUlS1K_E_NS1_11comp_targetILNS1_3genE9ELNS1_11target_archE1100ELNS1_3gpuE3ELNS1_3repE0EEENS1_30default_config_static_selectorELNS0_4arch9wavefront6targetE1EEEvSY_ ; -- Begin function _ZN7rocprim17ROCPRIM_400000_NS6detail17trampoline_kernelINS0_13select_configILj256ELj13ELNS0_17block_load_methodE3ELS4_3ELS4_3ELNS0_20block_scan_algorithmE0ELj4294967295EEENS1_25partition_config_selectorILNS1_17partition_subalgoE3EjNS0_10empty_typeEbEEZZNS1_14partition_implILS8_3ELb0ES6_jNS0_17counting_iteratorIjlEEPS9_SE_NS0_5tupleIJPjSE_EEENSF_IJSE_SE_EEES9_SG_JZNS1_25segmented_radix_sort_implINS0_14default_configELb1EPKbPbPKlPlN2at6native12_GLOBAL__N_18offset_tEEE10hipError_tPvRmT1_PNSt15iterator_traitsISY_E10value_typeET2_T3_PNSZ_IS14_E10value_typeET4_jRbjT5_S1A_jjP12ihipStream_tbEUljE_EEESV_SW_SX_S14_S18_S1A_T6_T7_T9_mT8_S1C_bDpT10_ENKUlT_T0_E_clISt17integral_constantIbLb0EES1O_IbLb1EEEEDaS1K_S1L_EUlS1K_E_NS1_11comp_targetILNS1_3genE9ELNS1_11target_archE1100ELNS1_3gpuE3ELNS1_3repE0EEENS1_30default_config_static_selectorELNS0_4arch9wavefront6targetE1EEEvSY_
	.p2align	8
	.type	_ZN7rocprim17ROCPRIM_400000_NS6detail17trampoline_kernelINS0_13select_configILj256ELj13ELNS0_17block_load_methodE3ELS4_3ELS4_3ELNS0_20block_scan_algorithmE0ELj4294967295EEENS1_25partition_config_selectorILNS1_17partition_subalgoE3EjNS0_10empty_typeEbEEZZNS1_14partition_implILS8_3ELb0ES6_jNS0_17counting_iteratorIjlEEPS9_SE_NS0_5tupleIJPjSE_EEENSF_IJSE_SE_EEES9_SG_JZNS1_25segmented_radix_sort_implINS0_14default_configELb1EPKbPbPKlPlN2at6native12_GLOBAL__N_18offset_tEEE10hipError_tPvRmT1_PNSt15iterator_traitsISY_E10value_typeET2_T3_PNSZ_IS14_E10value_typeET4_jRbjT5_S1A_jjP12ihipStream_tbEUljE_EEESV_SW_SX_S14_S18_S1A_T6_T7_T9_mT8_S1C_bDpT10_ENKUlT_T0_E_clISt17integral_constantIbLb0EES1O_IbLb1EEEEDaS1K_S1L_EUlS1K_E_NS1_11comp_targetILNS1_3genE9ELNS1_11target_archE1100ELNS1_3gpuE3ELNS1_3repE0EEENS1_30default_config_static_selectorELNS0_4arch9wavefront6targetE1EEEvSY_,@function
_ZN7rocprim17ROCPRIM_400000_NS6detail17trampoline_kernelINS0_13select_configILj256ELj13ELNS0_17block_load_methodE3ELS4_3ELS4_3ELNS0_20block_scan_algorithmE0ELj4294967295EEENS1_25partition_config_selectorILNS1_17partition_subalgoE3EjNS0_10empty_typeEbEEZZNS1_14partition_implILS8_3ELb0ES6_jNS0_17counting_iteratorIjlEEPS9_SE_NS0_5tupleIJPjSE_EEENSF_IJSE_SE_EEES9_SG_JZNS1_25segmented_radix_sort_implINS0_14default_configELb1EPKbPbPKlPlN2at6native12_GLOBAL__N_18offset_tEEE10hipError_tPvRmT1_PNSt15iterator_traitsISY_E10value_typeET2_T3_PNSZ_IS14_E10value_typeET4_jRbjT5_S1A_jjP12ihipStream_tbEUljE_EEESV_SW_SX_S14_S18_S1A_T6_T7_T9_mT8_S1C_bDpT10_ENKUlT_T0_E_clISt17integral_constantIbLb0EES1O_IbLb1EEEEDaS1K_S1L_EUlS1K_E_NS1_11comp_targetILNS1_3genE9ELNS1_11target_archE1100ELNS1_3gpuE3ELNS1_3repE0EEENS1_30default_config_static_selectorELNS0_4arch9wavefront6targetE1EEEvSY_: ; @_ZN7rocprim17ROCPRIM_400000_NS6detail17trampoline_kernelINS0_13select_configILj256ELj13ELNS0_17block_load_methodE3ELS4_3ELS4_3ELNS0_20block_scan_algorithmE0ELj4294967295EEENS1_25partition_config_selectorILNS1_17partition_subalgoE3EjNS0_10empty_typeEbEEZZNS1_14partition_implILS8_3ELb0ES6_jNS0_17counting_iteratorIjlEEPS9_SE_NS0_5tupleIJPjSE_EEENSF_IJSE_SE_EEES9_SG_JZNS1_25segmented_radix_sort_implINS0_14default_configELb1EPKbPbPKlPlN2at6native12_GLOBAL__N_18offset_tEEE10hipError_tPvRmT1_PNSt15iterator_traitsISY_E10value_typeET2_T3_PNSZ_IS14_E10value_typeET4_jRbjT5_S1A_jjP12ihipStream_tbEUljE_EEESV_SW_SX_S14_S18_S1A_T6_T7_T9_mT8_S1C_bDpT10_ENKUlT_T0_E_clISt17integral_constantIbLb0EES1O_IbLb1EEEEDaS1K_S1L_EUlS1K_E_NS1_11comp_targetILNS1_3genE9ELNS1_11target_archE1100ELNS1_3gpuE3ELNS1_3repE0EEENS1_30default_config_static_selectorELNS0_4arch9wavefront6targetE1EEEvSY_
; %bb.0:
	.section	.rodata,"a",@progbits
	.p2align	6, 0x0
	.amdhsa_kernel _ZN7rocprim17ROCPRIM_400000_NS6detail17trampoline_kernelINS0_13select_configILj256ELj13ELNS0_17block_load_methodE3ELS4_3ELS4_3ELNS0_20block_scan_algorithmE0ELj4294967295EEENS1_25partition_config_selectorILNS1_17partition_subalgoE3EjNS0_10empty_typeEbEEZZNS1_14partition_implILS8_3ELb0ES6_jNS0_17counting_iteratorIjlEEPS9_SE_NS0_5tupleIJPjSE_EEENSF_IJSE_SE_EEES9_SG_JZNS1_25segmented_radix_sort_implINS0_14default_configELb1EPKbPbPKlPlN2at6native12_GLOBAL__N_18offset_tEEE10hipError_tPvRmT1_PNSt15iterator_traitsISY_E10value_typeET2_T3_PNSZ_IS14_E10value_typeET4_jRbjT5_S1A_jjP12ihipStream_tbEUljE_EEESV_SW_SX_S14_S18_S1A_T6_T7_T9_mT8_S1C_bDpT10_ENKUlT_T0_E_clISt17integral_constantIbLb0EES1O_IbLb1EEEEDaS1K_S1L_EUlS1K_E_NS1_11comp_targetILNS1_3genE9ELNS1_11target_archE1100ELNS1_3gpuE3ELNS1_3repE0EEENS1_30default_config_static_selectorELNS0_4arch9wavefront6targetE1EEEvSY_
		.amdhsa_group_segment_fixed_size 0
		.amdhsa_private_segment_fixed_size 0
		.amdhsa_kernarg_size 152
		.amdhsa_user_sgpr_count 6
		.amdhsa_user_sgpr_private_segment_buffer 1
		.amdhsa_user_sgpr_dispatch_ptr 0
		.amdhsa_user_sgpr_queue_ptr 0
		.amdhsa_user_sgpr_kernarg_segment_ptr 1
		.amdhsa_user_sgpr_dispatch_id 0
		.amdhsa_user_sgpr_flat_scratch_init 0
		.amdhsa_user_sgpr_private_segment_size 0
		.amdhsa_uses_dynamic_stack 0
		.amdhsa_system_sgpr_private_segment_wavefront_offset 0
		.amdhsa_system_sgpr_workgroup_id_x 1
		.amdhsa_system_sgpr_workgroup_id_y 0
		.amdhsa_system_sgpr_workgroup_id_z 0
		.amdhsa_system_sgpr_workgroup_info 0
		.amdhsa_system_vgpr_workitem_id 0
		.amdhsa_next_free_vgpr 1
		.amdhsa_next_free_sgpr 0
		.amdhsa_reserve_vcc 0
		.amdhsa_reserve_flat_scratch 0
		.amdhsa_float_round_mode_32 0
		.amdhsa_float_round_mode_16_64 0
		.amdhsa_float_denorm_mode_32 3
		.amdhsa_float_denorm_mode_16_64 3
		.amdhsa_dx10_clamp 1
		.amdhsa_ieee_mode 1
		.amdhsa_fp16_overflow 0
		.amdhsa_exception_fp_ieee_invalid_op 0
		.amdhsa_exception_fp_denorm_src 0
		.amdhsa_exception_fp_ieee_div_zero 0
		.amdhsa_exception_fp_ieee_overflow 0
		.amdhsa_exception_fp_ieee_underflow 0
		.amdhsa_exception_fp_ieee_inexact 0
		.amdhsa_exception_int_div_zero 0
	.end_amdhsa_kernel
	.section	.text._ZN7rocprim17ROCPRIM_400000_NS6detail17trampoline_kernelINS0_13select_configILj256ELj13ELNS0_17block_load_methodE3ELS4_3ELS4_3ELNS0_20block_scan_algorithmE0ELj4294967295EEENS1_25partition_config_selectorILNS1_17partition_subalgoE3EjNS0_10empty_typeEbEEZZNS1_14partition_implILS8_3ELb0ES6_jNS0_17counting_iteratorIjlEEPS9_SE_NS0_5tupleIJPjSE_EEENSF_IJSE_SE_EEES9_SG_JZNS1_25segmented_radix_sort_implINS0_14default_configELb1EPKbPbPKlPlN2at6native12_GLOBAL__N_18offset_tEEE10hipError_tPvRmT1_PNSt15iterator_traitsISY_E10value_typeET2_T3_PNSZ_IS14_E10value_typeET4_jRbjT5_S1A_jjP12ihipStream_tbEUljE_EEESV_SW_SX_S14_S18_S1A_T6_T7_T9_mT8_S1C_bDpT10_ENKUlT_T0_E_clISt17integral_constantIbLb0EES1O_IbLb1EEEEDaS1K_S1L_EUlS1K_E_NS1_11comp_targetILNS1_3genE9ELNS1_11target_archE1100ELNS1_3gpuE3ELNS1_3repE0EEENS1_30default_config_static_selectorELNS0_4arch9wavefront6targetE1EEEvSY_,"axG",@progbits,_ZN7rocprim17ROCPRIM_400000_NS6detail17trampoline_kernelINS0_13select_configILj256ELj13ELNS0_17block_load_methodE3ELS4_3ELS4_3ELNS0_20block_scan_algorithmE0ELj4294967295EEENS1_25partition_config_selectorILNS1_17partition_subalgoE3EjNS0_10empty_typeEbEEZZNS1_14partition_implILS8_3ELb0ES6_jNS0_17counting_iteratorIjlEEPS9_SE_NS0_5tupleIJPjSE_EEENSF_IJSE_SE_EEES9_SG_JZNS1_25segmented_radix_sort_implINS0_14default_configELb1EPKbPbPKlPlN2at6native12_GLOBAL__N_18offset_tEEE10hipError_tPvRmT1_PNSt15iterator_traitsISY_E10value_typeET2_T3_PNSZ_IS14_E10value_typeET4_jRbjT5_S1A_jjP12ihipStream_tbEUljE_EEESV_SW_SX_S14_S18_S1A_T6_T7_T9_mT8_S1C_bDpT10_ENKUlT_T0_E_clISt17integral_constantIbLb0EES1O_IbLb1EEEEDaS1K_S1L_EUlS1K_E_NS1_11comp_targetILNS1_3genE9ELNS1_11target_archE1100ELNS1_3gpuE3ELNS1_3repE0EEENS1_30default_config_static_selectorELNS0_4arch9wavefront6targetE1EEEvSY_,comdat
.Lfunc_end1530:
	.size	_ZN7rocprim17ROCPRIM_400000_NS6detail17trampoline_kernelINS0_13select_configILj256ELj13ELNS0_17block_load_methodE3ELS4_3ELS4_3ELNS0_20block_scan_algorithmE0ELj4294967295EEENS1_25partition_config_selectorILNS1_17partition_subalgoE3EjNS0_10empty_typeEbEEZZNS1_14partition_implILS8_3ELb0ES6_jNS0_17counting_iteratorIjlEEPS9_SE_NS0_5tupleIJPjSE_EEENSF_IJSE_SE_EEES9_SG_JZNS1_25segmented_radix_sort_implINS0_14default_configELb1EPKbPbPKlPlN2at6native12_GLOBAL__N_18offset_tEEE10hipError_tPvRmT1_PNSt15iterator_traitsISY_E10value_typeET2_T3_PNSZ_IS14_E10value_typeET4_jRbjT5_S1A_jjP12ihipStream_tbEUljE_EEESV_SW_SX_S14_S18_S1A_T6_T7_T9_mT8_S1C_bDpT10_ENKUlT_T0_E_clISt17integral_constantIbLb0EES1O_IbLb1EEEEDaS1K_S1L_EUlS1K_E_NS1_11comp_targetILNS1_3genE9ELNS1_11target_archE1100ELNS1_3gpuE3ELNS1_3repE0EEENS1_30default_config_static_selectorELNS0_4arch9wavefront6targetE1EEEvSY_, .Lfunc_end1530-_ZN7rocprim17ROCPRIM_400000_NS6detail17trampoline_kernelINS0_13select_configILj256ELj13ELNS0_17block_load_methodE3ELS4_3ELS4_3ELNS0_20block_scan_algorithmE0ELj4294967295EEENS1_25partition_config_selectorILNS1_17partition_subalgoE3EjNS0_10empty_typeEbEEZZNS1_14partition_implILS8_3ELb0ES6_jNS0_17counting_iteratorIjlEEPS9_SE_NS0_5tupleIJPjSE_EEENSF_IJSE_SE_EEES9_SG_JZNS1_25segmented_radix_sort_implINS0_14default_configELb1EPKbPbPKlPlN2at6native12_GLOBAL__N_18offset_tEEE10hipError_tPvRmT1_PNSt15iterator_traitsISY_E10value_typeET2_T3_PNSZ_IS14_E10value_typeET4_jRbjT5_S1A_jjP12ihipStream_tbEUljE_EEESV_SW_SX_S14_S18_S1A_T6_T7_T9_mT8_S1C_bDpT10_ENKUlT_T0_E_clISt17integral_constantIbLb0EES1O_IbLb1EEEEDaS1K_S1L_EUlS1K_E_NS1_11comp_targetILNS1_3genE9ELNS1_11target_archE1100ELNS1_3gpuE3ELNS1_3repE0EEENS1_30default_config_static_selectorELNS0_4arch9wavefront6targetE1EEEvSY_
                                        ; -- End function
	.set _ZN7rocprim17ROCPRIM_400000_NS6detail17trampoline_kernelINS0_13select_configILj256ELj13ELNS0_17block_load_methodE3ELS4_3ELS4_3ELNS0_20block_scan_algorithmE0ELj4294967295EEENS1_25partition_config_selectorILNS1_17partition_subalgoE3EjNS0_10empty_typeEbEEZZNS1_14partition_implILS8_3ELb0ES6_jNS0_17counting_iteratorIjlEEPS9_SE_NS0_5tupleIJPjSE_EEENSF_IJSE_SE_EEES9_SG_JZNS1_25segmented_radix_sort_implINS0_14default_configELb1EPKbPbPKlPlN2at6native12_GLOBAL__N_18offset_tEEE10hipError_tPvRmT1_PNSt15iterator_traitsISY_E10value_typeET2_T3_PNSZ_IS14_E10value_typeET4_jRbjT5_S1A_jjP12ihipStream_tbEUljE_EEESV_SW_SX_S14_S18_S1A_T6_T7_T9_mT8_S1C_bDpT10_ENKUlT_T0_E_clISt17integral_constantIbLb0EES1O_IbLb1EEEEDaS1K_S1L_EUlS1K_E_NS1_11comp_targetILNS1_3genE9ELNS1_11target_archE1100ELNS1_3gpuE3ELNS1_3repE0EEENS1_30default_config_static_selectorELNS0_4arch9wavefront6targetE1EEEvSY_.num_vgpr, 0
	.set _ZN7rocprim17ROCPRIM_400000_NS6detail17trampoline_kernelINS0_13select_configILj256ELj13ELNS0_17block_load_methodE3ELS4_3ELS4_3ELNS0_20block_scan_algorithmE0ELj4294967295EEENS1_25partition_config_selectorILNS1_17partition_subalgoE3EjNS0_10empty_typeEbEEZZNS1_14partition_implILS8_3ELb0ES6_jNS0_17counting_iteratorIjlEEPS9_SE_NS0_5tupleIJPjSE_EEENSF_IJSE_SE_EEES9_SG_JZNS1_25segmented_radix_sort_implINS0_14default_configELb1EPKbPbPKlPlN2at6native12_GLOBAL__N_18offset_tEEE10hipError_tPvRmT1_PNSt15iterator_traitsISY_E10value_typeET2_T3_PNSZ_IS14_E10value_typeET4_jRbjT5_S1A_jjP12ihipStream_tbEUljE_EEESV_SW_SX_S14_S18_S1A_T6_T7_T9_mT8_S1C_bDpT10_ENKUlT_T0_E_clISt17integral_constantIbLb0EES1O_IbLb1EEEEDaS1K_S1L_EUlS1K_E_NS1_11comp_targetILNS1_3genE9ELNS1_11target_archE1100ELNS1_3gpuE3ELNS1_3repE0EEENS1_30default_config_static_selectorELNS0_4arch9wavefront6targetE1EEEvSY_.num_agpr, 0
	.set _ZN7rocprim17ROCPRIM_400000_NS6detail17trampoline_kernelINS0_13select_configILj256ELj13ELNS0_17block_load_methodE3ELS4_3ELS4_3ELNS0_20block_scan_algorithmE0ELj4294967295EEENS1_25partition_config_selectorILNS1_17partition_subalgoE3EjNS0_10empty_typeEbEEZZNS1_14partition_implILS8_3ELb0ES6_jNS0_17counting_iteratorIjlEEPS9_SE_NS0_5tupleIJPjSE_EEENSF_IJSE_SE_EEES9_SG_JZNS1_25segmented_radix_sort_implINS0_14default_configELb1EPKbPbPKlPlN2at6native12_GLOBAL__N_18offset_tEEE10hipError_tPvRmT1_PNSt15iterator_traitsISY_E10value_typeET2_T3_PNSZ_IS14_E10value_typeET4_jRbjT5_S1A_jjP12ihipStream_tbEUljE_EEESV_SW_SX_S14_S18_S1A_T6_T7_T9_mT8_S1C_bDpT10_ENKUlT_T0_E_clISt17integral_constantIbLb0EES1O_IbLb1EEEEDaS1K_S1L_EUlS1K_E_NS1_11comp_targetILNS1_3genE9ELNS1_11target_archE1100ELNS1_3gpuE3ELNS1_3repE0EEENS1_30default_config_static_selectorELNS0_4arch9wavefront6targetE1EEEvSY_.numbered_sgpr, 0
	.set _ZN7rocprim17ROCPRIM_400000_NS6detail17trampoline_kernelINS0_13select_configILj256ELj13ELNS0_17block_load_methodE3ELS4_3ELS4_3ELNS0_20block_scan_algorithmE0ELj4294967295EEENS1_25partition_config_selectorILNS1_17partition_subalgoE3EjNS0_10empty_typeEbEEZZNS1_14partition_implILS8_3ELb0ES6_jNS0_17counting_iteratorIjlEEPS9_SE_NS0_5tupleIJPjSE_EEENSF_IJSE_SE_EEES9_SG_JZNS1_25segmented_radix_sort_implINS0_14default_configELb1EPKbPbPKlPlN2at6native12_GLOBAL__N_18offset_tEEE10hipError_tPvRmT1_PNSt15iterator_traitsISY_E10value_typeET2_T3_PNSZ_IS14_E10value_typeET4_jRbjT5_S1A_jjP12ihipStream_tbEUljE_EEESV_SW_SX_S14_S18_S1A_T6_T7_T9_mT8_S1C_bDpT10_ENKUlT_T0_E_clISt17integral_constantIbLb0EES1O_IbLb1EEEEDaS1K_S1L_EUlS1K_E_NS1_11comp_targetILNS1_3genE9ELNS1_11target_archE1100ELNS1_3gpuE3ELNS1_3repE0EEENS1_30default_config_static_selectorELNS0_4arch9wavefront6targetE1EEEvSY_.num_named_barrier, 0
	.set _ZN7rocprim17ROCPRIM_400000_NS6detail17trampoline_kernelINS0_13select_configILj256ELj13ELNS0_17block_load_methodE3ELS4_3ELS4_3ELNS0_20block_scan_algorithmE0ELj4294967295EEENS1_25partition_config_selectorILNS1_17partition_subalgoE3EjNS0_10empty_typeEbEEZZNS1_14partition_implILS8_3ELb0ES6_jNS0_17counting_iteratorIjlEEPS9_SE_NS0_5tupleIJPjSE_EEENSF_IJSE_SE_EEES9_SG_JZNS1_25segmented_radix_sort_implINS0_14default_configELb1EPKbPbPKlPlN2at6native12_GLOBAL__N_18offset_tEEE10hipError_tPvRmT1_PNSt15iterator_traitsISY_E10value_typeET2_T3_PNSZ_IS14_E10value_typeET4_jRbjT5_S1A_jjP12ihipStream_tbEUljE_EEESV_SW_SX_S14_S18_S1A_T6_T7_T9_mT8_S1C_bDpT10_ENKUlT_T0_E_clISt17integral_constantIbLb0EES1O_IbLb1EEEEDaS1K_S1L_EUlS1K_E_NS1_11comp_targetILNS1_3genE9ELNS1_11target_archE1100ELNS1_3gpuE3ELNS1_3repE0EEENS1_30default_config_static_selectorELNS0_4arch9wavefront6targetE1EEEvSY_.private_seg_size, 0
	.set _ZN7rocprim17ROCPRIM_400000_NS6detail17trampoline_kernelINS0_13select_configILj256ELj13ELNS0_17block_load_methodE3ELS4_3ELS4_3ELNS0_20block_scan_algorithmE0ELj4294967295EEENS1_25partition_config_selectorILNS1_17partition_subalgoE3EjNS0_10empty_typeEbEEZZNS1_14partition_implILS8_3ELb0ES6_jNS0_17counting_iteratorIjlEEPS9_SE_NS0_5tupleIJPjSE_EEENSF_IJSE_SE_EEES9_SG_JZNS1_25segmented_radix_sort_implINS0_14default_configELb1EPKbPbPKlPlN2at6native12_GLOBAL__N_18offset_tEEE10hipError_tPvRmT1_PNSt15iterator_traitsISY_E10value_typeET2_T3_PNSZ_IS14_E10value_typeET4_jRbjT5_S1A_jjP12ihipStream_tbEUljE_EEESV_SW_SX_S14_S18_S1A_T6_T7_T9_mT8_S1C_bDpT10_ENKUlT_T0_E_clISt17integral_constantIbLb0EES1O_IbLb1EEEEDaS1K_S1L_EUlS1K_E_NS1_11comp_targetILNS1_3genE9ELNS1_11target_archE1100ELNS1_3gpuE3ELNS1_3repE0EEENS1_30default_config_static_selectorELNS0_4arch9wavefront6targetE1EEEvSY_.uses_vcc, 0
	.set _ZN7rocprim17ROCPRIM_400000_NS6detail17trampoline_kernelINS0_13select_configILj256ELj13ELNS0_17block_load_methodE3ELS4_3ELS4_3ELNS0_20block_scan_algorithmE0ELj4294967295EEENS1_25partition_config_selectorILNS1_17partition_subalgoE3EjNS0_10empty_typeEbEEZZNS1_14partition_implILS8_3ELb0ES6_jNS0_17counting_iteratorIjlEEPS9_SE_NS0_5tupleIJPjSE_EEENSF_IJSE_SE_EEES9_SG_JZNS1_25segmented_radix_sort_implINS0_14default_configELb1EPKbPbPKlPlN2at6native12_GLOBAL__N_18offset_tEEE10hipError_tPvRmT1_PNSt15iterator_traitsISY_E10value_typeET2_T3_PNSZ_IS14_E10value_typeET4_jRbjT5_S1A_jjP12ihipStream_tbEUljE_EEESV_SW_SX_S14_S18_S1A_T6_T7_T9_mT8_S1C_bDpT10_ENKUlT_T0_E_clISt17integral_constantIbLb0EES1O_IbLb1EEEEDaS1K_S1L_EUlS1K_E_NS1_11comp_targetILNS1_3genE9ELNS1_11target_archE1100ELNS1_3gpuE3ELNS1_3repE0EEENS1_30default_config_static_selectorELNS0_4arch9wavefront6targetE1EEEvSY_.uses_flat_scratch, 0
	.set _ZN7rocprim17ROCPRIM_400000_NS6detail17trampoline_kernelINS0_13select_configILj256ELj13ELNS0_17block_load_methodE3ELS4_3ELS4_3ELNS0_20block_scan_algorithmE0ELj4294967295EEENS1_25partition_config_selectorILNS1_17partition_subalgoE3EjNS0_10empty_typeEbEEZZNS1_14partition_implILS8_3ELb0ES6_jNS0_17counting_iteratorIjlEEPS9_SE_NS0_5tupleIJPjSE_EEENSF_IJSE_SE_EEES9_SG_JZNS1_25segmented_radix_sort_implINS0_14default_configELb1EPKbPbPKlPlN2at6native12_GLOBAL__N_18offset_tEEE10hipError_tPvRmT1_PNSt15iterator_traitsISY_E10value_typeET2_T3_PNSZ_IS14_E10value_typeET4_jRbjT5_S1A_jjP12ihipStream_tbEUljE_EEESV_SW_SX_S14_S18_S1A_T6_T7_T9_mT8_S1C_bDpT10_ENKUlT_T0_E_clISt17integral_constantIbLb0EES1O_IbLb1EEEEDaS1K_S1L_EUlS1K_E_NS1_11comp_targetILNS1_3genE9ELNS1_11target_archE1100ELNS1_3gpuE3ELNS1_3repE0EEENS1_30default_config_static_selectorELNS0_4arch9wavefront6targetE1EEEvSY_.has_dyn_sized_stack, 0
	.set _ZN7rocprim17ROCPRIM_400000_NS6detail17trampoline_kernelINS0_13select_configILj256ELj13ELNS0_17block_load_methodE3ELS4_3ELS4_3ELNS0_20block_scan_algorithmE0ELj4294967295EEENS1_25partition_config_selectorILNS1_17partition_subalgoE3EjNS0_10empty_typeEbEEZZNS1_14partition_implILS8_3ELb0ES6_jNS0_17counting_iteratorIjlEEPS9_SE_NS0_5tupleIJPjSE_EEENSF_IJSE_SE_EEES9_SG_JZNS1_25segmented_radix_sort_implINS0_14default_configELb1EPKbPbPKlPlN2at6native12_GLOBAL__N_18offset_tEEE10hipError_tPvRmT1_PNSt15iterator_traitsISY_E10value_typeET2_T3_PNSZ_IS14_E10value_typeET4_jRbjT5_S1A_jjP12ihipStream_tbEUljE_EEESV_SW_SX_S14_S18_S1A_T6_T7_T9_mT8_S1C_bDpT10_ENKUlT_T0_E_clISt17integral_constantIbLb0EES1O_IbLb1EEEEDaS1K_S1L_EUlS1K_E_NS1_11comp_targetILNS1_3genE9ELNS1_11target_archE1100ELNS1_3gpuE3ELNS1_3repE0EEENS1_30default_config_static_selectorELNS0_4arch9wavefront6targetE1EEEvSY_.has_recursion, 0
	.set _ZN7rocprim17ROCPRIM_400000_NS6detail17trampoline_kernelINS0_13select_configILj256ELj13ELNS0_17block_load_methodE3ELS4_3ELS4_3ELNS0_20block_scan_algorithmE0ELj4294967295EEENS1_25partition_config_selectorILNS1_17partition_subalgoE3EjNS0_10empty_typeEbEEZZNS1_14partition_implILS8_3ELb0ES6_jNS0_17counting_iteratorIjlEEPS9_SE_NS0_5tupleIJPjSE_EEENSF_IJSE_SE_EEES9_SG_JZNS1_25segmented_radix_sort_implINS0_14default_configELb1EPKbPbPKlPlN2at6native12_GLOBAL__N_18offset_tEEE10hipError_tPvRmT1_PNSt15iterator_traitsISY_E10value_typeET2_T3_PNSZ_IS14_E10value_typeET4_jRbjT5_S1A_jjP12ihipStream_tbEUljE_EEESV_SW_SX_S14_S18_S1A_T6_T7_T9_mT8_S1C_bDpT10_ENKUlT_T0_E_clISt17integral_constantIbLb0EES1O_IbLb1EEEEDaS1K_S1L_EUlS1K_E_NS1_11comp_targetILNS1_3genE9ELNS1_11target_archE1100ELNS1_3gpuE3ELNS1_3repE0EEENS1_30default_config_static_selectorELNS0_4arch9wavefront6targetE1EEEvSY_.has_indirect_call, 0
	.section	.AMDGPU.csdata,"",@progbits
; Kernel info:
; codeLenInByte = 0
; TotalNumSgprs: 4
; NumVgprs: 0
; ScratchSize: 0
; MemoryBound: 0
; FloatMode: 240
; IeeeMode: 1
; LDSByteSize: 0 bytes/workgroup (compile time only)
; SGPRBlocks: 0
; VGPRBlocks: 0
; NumSGPRsForWavesPerEU: 4
; NumVGPRsForWavesPerEU: 1
; Occupancy: 10
; WaveLimiterHint : 0
; COMPUTE_PGM_RSRC2:SCRATCH_EN: 0
; COMPUTE_PGM_RSRC2:USER_SGPR: 6
; COMPUTE_PGM_RSRC2:TRAP_HANDLER: 0
; COMPUTE_PGM_RSRC2:TGID_X_EN: 1
; COMPUTE_PGM_RSRC2:TGID_Y_EN: 0
; COMPUTE_PGM_RSRC2:TGID_Z_EN: 0
; COMPUTE_PGM_RSRC2:TIDIG_COMP_CNT: 0
	.section	.text._ZN7rocprim17ROCPRIM_400000_NS6detail17trampoline_kernelINS0_13select_configILj256ELj13ELNS0_17block_load_methodE3ELS4_3ELS4_3ELNS0_20block_scan_algorithmE0ELj4294967295EEENS1_25partition_config_selectorILNS1_17partition_subalgoE3EjNS0_10empty_typeEbEEZZNS1_14partition_implILS8_3ELb0ES6_jNS0_17counting_iteratorIjlEEPS9_SE_NS0_5tupleIJPjSE_EEENSF_IJSE_SE_EEES9_SG_JZNS1_25segmented_radix_sort_implINS0_14default_configELb1EPKbPbPKlPlN2at6native12_GLOBAL__N_18offset_tEEE10hipError_tPvRmT1_PNSt15iterator_traitsISY_E10value_typeET2_T3_PNSZ_IS14_E10value_typeET4_jRbjT5_S1A_jjP12ihipStream_tbEUljE_EEESV_SW_SX_S14_S18_S1A_T6_T7_T9_mT8_S1C_bDpT10_ENKUlT_T0_E_clISt17integral_constantIbLb0EES1O_IbLb1EEEEDaS1K_S1L_EUlS1K_E_NS1_11comp_targetILNS1_3genE8ELNS1_11target_archE1030ELNS1_3gpuE2ELNS1_3repE0EEENS1_30default_config_static_selectorELNS0_4arch9wavefront6targetE1EEEvSY_,"axG",@progbits,_ZN7rocprim17ROCPRIM_400000_NS6detail17trampoline_kernelINS0_13select_configILj256ELj13ELNS0_17block_load_methodE3ELS4_3ELS4_3ELNS0_20block_scan_algorithmE0ELj4294967295EEENS1_25partition_config_selectorILNS1_17partition_subalgoE3EjNS0_10empty_typeEbEEZZNS1_14partition_implILS8_3ELb0ES6_jNS0_17counting_iteratorIjlEEPS9_SE_NS0_5tupleIJPjSE_EEENSF_IJSE_SE_EEES9_SG_JZNS1_25segmented_radix_sort_implINS0_14default_configELb1EPKbPbPKlPlN2at6native12_GLOBAL__N_18offset_tEEE10hipError_tPvRmT1_PNSt15iterator_traitsISY_E10value_typeET2_T3_PNSZ_IS14_E10value_typeET4_jRbjT5_S1A_jjP12ihipStream_tbEUljE_EEESV_SW_SX_S14_S18_S1A_T6_T7_T9_mT8_S1C_bDpT10_ENKUlT_T0_E_clISt17integral_constantIbLb0EES1O_IbLb1EEEEDaS1K_S1L_EUlS1K_E_NS1_11comp_targetILNS1_3genE8ELNS1_11target_archE1030ELNS1_3gpuE2ELNS1_3repE0EEENS1_30default_config_static_selectorELNS0_4arch9wavefront6targetE1EEEvSY_,comdat
	.globl	_ZN7rocprim17ROCPRIM_400000_NS6detail17trampoline_kernelINS0_13select_configILj256ELj13ELNS0_17block_load_methodE3ELS4_3ELS4_3ELNS0_20block_scan_algorithmE0ELj4294967295EEENS1_25partition_config_selectorILNS1_17partition_subalgoE3EjNS0_10empty_typeEbEEZZNS1_14partition_implILS8_3ELb0ES6_jNS0_17counting_iteratorIjlEEPS9_SE_NS0_5tupleIJPjSE_EEENSF_IJSE_SE_EEES9_SG_JZNS1_25segmented_radix_sort_implINS0_14default_configELb1EPKbPbPKlPlN2at6native12_GLOBAL__N_18offset_tEEE10hipError_tPvRmT1_PNSt15iterator_traitsISY_E10value_typeET2_T3_PNSZ_IS14_E10value_typeET4_jRbjT5_S1A_jjP12ihipStream_tbEUljE_EEESV_SW_SX_S14_S18_S1A_T6_T7_T9_mT8_S1C_bDpT10_ENKUlT_T0_E_clISt17integral_constantIbLb0EES1O_IbLb1EEEEDaS1K_S1L_EUlS1K_E_NS1_11comp_targetILNS1_3genE8ELNS1_11target_archE1030ELNS1_3gpuE2ELNS1_3repE0EEENS1_30default_config_static_selectorELNS0_4arch9wavefront6targetE1EEEvSY_ ; -- Begin function _ZN7rocprim17ROCPRIM_400000_NS6detail17trampoline_kernelINS0_13select_configILj256ELj13ELNS0_17block_load_methodE3ELS4_3ELS4_3ELNS0_20block_scan_algorithmE0ELj4294967295EEENS1_25partition_config_selectorILNS1_17partition_subalgoE3EjNS0_10empty_typeEbEEZZNS1_14partition_implILS8_3ELb0ES6_jNS0_17counting_iteratorIjlEEPS9_SE_NS0_5tupleIJPjSE_EEENSF_IJSE_SE_EEES9_SG_JZNS1_25segmented_radix_sort_implINS0_14default_configELb1EPKbPbPKlPlN2at6native12_GLOBAL__N_18offset_tEEE10hipError_tPvRmT1_PNSt15iterator_traitsISY_E10value_typeET2_T3_PNSZ_IS14_E10value_typeET4_jRbjT5_S1A_jjP12ihipStream_tbEUljE_EEESV_SW_SX_S14_S18_S1A_T6_T7_T9_mT8_S1C_bDpT10_ENKUlT_T0_E_clISt17integral_constantIbLb0EES1O_IbLb1EEEEDaS1K_S1L_EUlS1K_E_NS1_11comp_targetILNS1_3genE8ELNS1_11target_archE1030ELNS1_3gpuE2ELNS1_3repE0EEENS1_30default_config_static_selectorELNS0_4arch9wavefront6targetE1EEEvSY_
	.p2align	8
	.type	_ZN7rocprim17ROCPRIM_400000_NS6detail17trampoline_kernelINS0_13select_configILj256ELj13ELNS0_17block_load_methodE3ELS4_3ELS4_3ELNS0_20block_scan_algorithmE0ELj4294967295EEENS1_25partition_config_selectorILNS1_17partition_subalgoE3EjNS0_10empty_typeEbEEZZNS1_14partition_implILS8_3ELb0ES6_jNS0_17counting_iteratorIjlEEPS9_SE_NS0_5tupleIJPjSE_EEENSF_IJSE_SE_EEES9_SG_JZNS1_25segmented_radix_sort_implINS0_14default_configELb1EPKbPbPKlPlN2at6native12_GLOBAL__N_18offset_tEEE10hipError_tPvRmT1_PNSt15iterator_traitsISY_E10value_typeET2_T3_PNSZ_IS14_E10value_typeET4_jRbjT5_S1A_jjP12ihipStream_tbEUljE_EEESV_SW_SX_S14_S18_S1A_T6_T7_T9_mT8_S1C_bDpT10_ENKUlT_T0_E_clISt17integral_constantIbLb0EES1O_IbLb1EEEEDaS1K_S1L_EUlS1K_E_NS1_11comp_targetILNS1_3genE8ELNS1_11target_archE1030ELNS1_3gpuE2ELNS1_3repE0EEENS1_30default_config_static_selectorELNS0_4arch9wavefront6targetE1EEEvSY_,@function
_ZN7rocprim17ROCPRIM_400000_NS6detail17trampoline_kernelINS0_13select_configILj256ELj13ELNS0_17block_load_methodE3ELS4_3ELS4_3ELNS0_20block_scan_algorithmE0ELj4294967295EEENS1_25partition_config_selectorILNS1_17partition_subalgoE3EjNS0_10empty_typeEbEEZZNS1_14partition_implILS8_3ELb0ES6_jNS0_17counting_iteratorIjlEEPS9_SE_NS0_5tupleIJPjSE_EEENSF_IJSE_SE_EEES9_SG_JZNS1_25segmented_radix_sort_implINS0_14default_configELb1EPKbPbPKlPlN2at6native12_GLOBAL__N_18offset_tEEE10hipError_tPvRmT1_PNSt15iterator_traitsISY_E10value_typeET2_T3_PNSZ_IS14_E10value_typeET4_jRbjT5_S1A_jjP12ihipStream_tbEUljE_EEESV_SW_SX_S14_S18_S1A_T6_T7_T9_mT8_S1C_bDpT10_ENKUlT_T0_E_clISt17integral_constantIbLb0EES1O_IbLb1EEEEDaS1K_S1L_EUlS1K_E_NS1_11comp_targetILNS1_3genE8ELNS1_11target_archE1030ELNS1_3gpuE2ELNS1_3repE0EEENS1_30default_config_static_selectorELNS0_4arch9wavefront6targetE1EEEvSY_: ; @_ZN7rocprim17ROCPRIM_400000_NS6detail17trampoline_kernelINS0_13select_configILj256ELj13ELNS0_17block_load_methodE3ELS4_3ELS4_3ELNS0_20block_scan_algorithmE0ELj4294967295EEENS1_25partition_config_selectorILNS1_17partition_subalgoE3EjNS0_10empty_typeEbEEZZNS1_14partition_implILS8_3ELb0ES6_jNS0_17counting_iteratorIjlEEPS9_SE_NS0_5tupleIJPjSE_EEENSF_IJSE_SE_EEES9_SG_JZNS1_25segmented_radix_sort_implINS0_14default_configELb1EPKbPbPKlPlN2at6native12_GLOBAL__N_18offset_tEEE10hipError_tPvRmT1_PNSt15iterator_traitsISY_E10value_typeET2_T3_PNSZ_IS14_E10value_typeET4_jRbjT5_S1A_jjP12ihipStream_tbEUljE_EEESV_SW_SX_S14_S18_S1A_T6_T7_T9_mT8_S1C_bDpT10_ENKUlT_T0_E_clISt17integral_constantIbLb0EES1O_IbLb1EEEEDaS1K_S1L_EUlS1K_E_NS1_11comp_targetILNS1_3genE8ELNS1_11target_archE1030ELNS1_3gpuE2ELNS1_3repE0EEENS1_30default_config_static_selectorELNS0_4arch9wavefront6targetE1EEEvSY_
; %bb.0:
	.section	.rodata,"a",@progbits
	.p2align	6, 0x0
	.amdhsa_kernel _ZN7rocprim17ROCPRIM_400000_NS6detail17trampoline_kernelINS0_13select_configILj256ELj13ELNS0_17block_load_methodE3ELS4_3ELS4_3ELNS0_20block_scan_algorithmE0ELj4294967295EEENS1_25partition_config_selectorILNS1_17partition_subalgoE3EjNS0_10empty_typeEbEEZZNS1_14partition_implILS8_3ELb0ES6_jNS0_17counting_iteratorIjlEEPS9_SE_NS0_5tupleIJPjSE_EEENSF_IJSE_SE_EEES9_SG_JZNS1_25segmented_radix_sort_implINS0_14default_configELb1EPKbPbPKlPlN2at6native12_GLOBAL__N_18offset_tEEE10hipError_tPvRmT1_PNSt15iterator_traitsISY_E10value_typeET2_T3_PNSZ_IS14_E10value_typeET4_jRbjT5_S1A_jjP12ihipStream_tbEUljE_EEESV_SW_SX_S14_S18_S1A_T6_T7_T9_mT8_S1C_bDpT10_ENKUlT_T0_E_clISt17integral_constantIbLb0EES1O_IbLb1EEEEDaS1K_S1L_EUlS1K_E_NS1_11comp_targetILNS1_3genE8ELNS1_11target_archE1030ELNS1_3gpuE2ELNS1_3repE0EEENS1_30default_config_static_selectorELNS0_4arch9wavefront6targetE1EEEvSY_
		.amdhsa_group_segment_fixed_size 0
		.amdhsa_private_segment_fixed_size 0
		.amdhsa_kernarg_size 152
		.amdhsa_user_sgpr_count 6
		.amdhsa_user_sgpr_private_segment_buffer 1
		.amdhsa_user_sgpr_dispatch_ptr 0
		.amdhsa_user_sgpr_queue_ptr 0
		.amdhsa_user_sgpr_kernarg_segment_ptr 1
		.amdhsa_user_sgpr_dispatch_id 0
		.amdhsa_user_sgpr_flat_scratch_init 0
		.amdhsa_user_sgpr_private_segment_size 0
		.amdhsa_uses_dynamic_stack 0
		.amdhsa_system_sgpr_private_segment_wavefront_offset 0
		.amdhsa_system_sgpr_workgroup_id_x 1
		.amdhsa_system_sgpr_workgroup_id_y 0
		.amdhsa_system_sgpr_workgroup_id_z 0
		.amdhsa_system_sgpr_workgroup_info 0
		.amdhsa_system_vgpr_workitem_id 0
		.amdhsa_next_free_vgpr 1
		.amdhsa_next_free_sgpr 0
		.amdhsa_reserve_vcc 0
		.amdhsa_reserve_flat_scratch 0
		.amdhsa_float_round_mode_32 0
		.amdhsa_float_round_mode_16_64 0
		.amdhsa_float_denorm_mode_32 3
		.amdhsa_float_denorm_mode_16_64 3
		.amdhsa_dx10_clamp 1
		.amdhsa_ieee_mode 1
		.amdhsa_fp16_overflow 0
		.amdhsa_exception_fp_ieee_invalid_op 0
		.amdhsa_exception_fp_denorm_src 0
		.amdhsa_exception_fp_ieee_div_zero 0
		.amdhsa_exception_fp_ieee_overflow 0
		.amdhsa_exception_fp_ieee_underflow 0
		.amdhsa_exception_fp_ieee_inexact 0
		.amdhsa_exception_int_div_zero 0
	.end_amdhsa_kernel
	.section	.text._ZN7rocprim17ROCPRIM_400000_NS6detail17trampoline_kernelINS0_13select_configILj256ELj13ELNS0_17block_load_methodE3ELS4_3ELS4_3ELNS0_20block_scan_algorithmE0ELj4294967295EEENS1_25partition_config_selectorILNS1_17partition_subalgoE3EjNS0_10empty_typeEbEEZZNS1_14partition_implILS8_3ELb0ES6_jNS0_17counting_iteratorIjlEEPS9_SE_NS0_5tupleIJPjSE_EEENSF_IJSE_SE_EEES9_SG_JZNS1_25segmented_radix_sort_implINS0_14default_configELb1EPKbPbPKlPlN2at6native12_GLOBAL__N_18offset_tEEE10hipError_tPvRmT1_PNSt15iterator_traitsISY_E10value_typeET2_T3_PNSZ_IS14_E10value_typeET4_jRbjT5_S1A_jjP12ihipStream_tbEUljE_EEESV_SW_SX_S14_S18_S1A_T6_T7_T9_mT8_S1C_bDpT10_ENKUlT_T0_E_clISt17integral_constantIbLb0EES1O_IbLb1EEEEDaS1K_S1L_EUlS1K_E_NS1_11comp_targetILNS1_3genE8ELNS1_11target_archE1030ELNS1_3gpuE2ELNS1_3repE0EEENS1_30default_config_static_selectorELNS0_4arch9wavefront6targetE1EEEvSY_,"axG",@progbits,_ZN7rocprim17ROCPRIM_400000_NS6detail17trampoline_kernelINS0_13select_configILj256ELj13ELNS0_17block_load_methodE3ELS4_3ELS4_3ELNS0_20block_scan_algorithmE0ELj4294967295EEENS1_25partition_config_selectorILNS1_17partition_subalgoE3EjNS0_10empty_typeEbEEZZNS1_14partition_implILS8_3ELb0ES6_jNS0_17counting_iteratorIjlEEPS9_SE_NS0_5tupleIJPjSE_EEENSF_IJSE_SE_EEES9_SG_JZNS1_25segmented_radix_sort_implINS0_14default_configELb1EPKbPbPKlPlN2at6native12_GLOBAL__N_18offset_tEEE10hipError_tPvRmT1_PNSt15iterator_traitsISY_E10value_typeET2_T3_PNSZ_IS14_E10value_typeET4_jRbjT5_S1A_jjP12ihipStream_tbEUljE_EEESV_SW_SX_S14_S18_S1A_T6_T7_T9_mT8_S1C_bDpT10_ENKUlT_T0_E_clISt17integral_constantIbLb0EES1O_IbLb1EEEEDaS1K_S1L_EUlS1K_E_NS1_11comp_targetILNS1_3genE8ELNS1_11target_archE1030ELNS1_3gpuE2ELNS1_3repE0EEENS1_30default_config_static_selectorELNS0_4arch9wavefront6targetE1EEEvSY_,comdat
.Lfunc_end1531:
	.size	_ZN7rocprim17ROCPRIM_400000_NS6detail17trampoline_kernelINS0_13select_configILj256ELj13ELNS0_17block_load_methodE3ELS4_3ELS4_3ELNS0_20block_scan_algorithmE0ELj4294967295EEENS1_25partition_config_selectorILNS1_17partition_subalgoE3EjNS0_10empty_typeEbEEZZNS1_14partition_implILS8_3ELb0ES6_jNS0_17counting_iteratorIjlEEPS9_SE_NS0_5tupleIJPjSE_EEENSF_IJSE_SE_EEES9_SG_JZNS1_25segmented_radix_sort_implINS0_14default_configELb1EPKbPbPKlPlN2at6native12_GLOBAL__N_18offset_tEEE10hipError_tPvRmT1_PNSt15iterator_traitsISY_E10value_typeET2_T3_PNSZ_IS14_E10value_typeET4_jRbjT5_S1A_jjP12ihipStream_tbEUljE_EEESV_SW_SX_S14_S18_S1A_T6_T7_T9_mT8_S1C_bDpT10_ENKUlT_T0_E_clISt17integral_constantIbLb0EES1O_IbLb1EEEEDaS1K_S1L_EUlS1K_E_NS1_11comp_targetILNS1_3genE8ELNS1_11target_archE1030ELNS1_3gpuE2ELNS1_3repE0EEENS1_30default_config_static_selectorELNS0_4arch9wavefront6targetE1EEEvSY_, .Lfunc_end1531-_ZN7rocprim17ROCPRIM_400000_NS6detail17trampoline_kernelINS0_13select_configILj256ELj13ELNS0_17block_load_methodE3ELS4_3ELS4_3ELNS0_20block_scan_algorithmE0ELj4294967295EEENS1_25partition_config_selectorILNS1_17partition_subalgoE3EjNS0_10empty_typeEbEEZZNS1_14partition_implILS8_3ELb0ES6_jNS0_17counting_iteratorIjlEEPS9_SE_NS0_5tupleIJPjSE_EEENSF_IJSE_SE_EEES9_SG_JZNS1_25segmented_radix_sort_implINS0_14default_configELb1EPKbPbPKlPlN2at6native12_GLOBAL__N_18offset_tEEE10hipError_tPvRmT1_PNSt15iterator_traitsISY_E10value_typeET2_T3_PNSZ_IS14_E10value_typeET4_jRbjT5_S1A_jjP12ihipStream_tbEUljE_EEESV_SW_SX_S14_S18_S1A_T6_T7_T9_mT8_S1C_bDpT10_ENKUlT_T0_E_clISt17integral_constantIbLb0EES1O_IbLb1EEEEDaS1K_S1L_EUlS1K_E_NS1_11comp_targetILNS1_3genE8ELNS1_11target_archE1030ELNS1_3gpuE2ELNS1_3repE0EEENS1_30default_config_static_selectorELNS0_4arch9wavefront6targetE1EEEvSY_
                                        ; -- End function
	.set _ZN7rocprim17ROCPRIM_400000_NS6detail17trampoline_kernelINS0_13select_configILj256ELj13ELNS0_17block_load_methodE3ELS4_3ELS4_3ELNS0_20block_scan_algorithmE0ELj4294967295EEENS1_25partition_config_selectorILNS1_17partition_subalgoE3EjNS0_10empty_typeEbEEZZNS1_14partition_implILS8_3ELb0ES6_jNS0_17counting_iteratorIjlEEPS9_SE_NS0_5tupleIJPjSE_EEENSF_IJSE_SE_EEES9_SG_JZNS1_25segmented_radix_sort_implINS0_14default_configELb1EPKbPbPKlPlN2at6native12_GLOBAL__N_18offset_tEEE10hipError_tPvRmT1_PNSt15iterator_traitsISY_E10value_typeET2_T3_PNSZ_IS14_E10value_typeET4_jRbjT5_S1A_jjP12ihipStream_tbEUljE_EEESV_SW_SX_S14_S18_S1A_T6_T7_T9_mT8_S1C_bDpT10_ENKUlT_T0_E_clISt17integral_constantIbLb0EES1O_IbLb1EEEEDaS1K_S1L_EUlS1K_E_NS1_11comp_targetILNS1_3genE8ELNS1_11target_archE1030ELNS1_3gpuE2ELNS1_3repE0EEENS1_30default_config_static_selectorELNS0_4arch9wavefront6targetE1EEEvSY_.num_vgpr, 0
	.set _ZN7rocprim17ROCPRIM_400000_NS6detail17trampoline_kernelINS0_13select_configILj256ELj13ELNS0_17block_load_methodE3ELS4_3ELS4_3ELNS0_20block_scan_algorithmE0ELj4294967295EEENS1_25partition_config_selectorILNS1_17partition_subalgoE3EjNS0_10empty_typeEbEEZZNS1_14partition_implILS8_3ELb0ES6_jNS0_17counting_iteratorIjlEEPS9_SE_NS0_5tupleIJPjSE_EEENSF_IJSE_SE_EEES9_SG_JZNS1_25segmented_radix_sort_implINS0_14default_configELb1EPKbPbPKlPlN2at6native12_GLOBAL__N_18offset_tEEE10hipError_tPvRmT1_PNSt15iterator_traitsISY_E10value_typeET2_T3_PNSZ_IS14_E10value_typeET4_jRbjT5_S1A_jjP12ihipStream_tbEUljE_EEESV_SW_SX_S14_S18_S1A_T6_T7_T9_mT8_S1C_bDpT10_ENKUlT_T0_E_clISt17integral_constantIbLb0EES1O_IbLb1EEEEDaS1K_S1L_EUlS1K_E_NS1_11comp_targetILNS1_3genE8ELNS1_11target_archE1030ELNS1_3gpuE2ELNS1_3repE0EEENS1_30default_config_static_selectorELNS0_4arch9wavefront6targetE1EEEvSY_.num_agpr, 0
	.set _ZN7rocprim17ROCPRIM_400000_NS6detail17trampoline_kernelINS0_13select_configILj256ELj13ELNS0_17block_load_methodE3ELS4_3ELS4_3ELNS0_20block_scan_algorithmE0ELj4294967295EEENS1_25partition_config_selectorILNS1_17partition_subalgoE3EjNS0_10empty_typeEbEEZZNS1_14partition_implILS8_3ELb0ES6_jNS0_17counting_iteratorIjlEEPS9_SE_NS0_5tupleIJPjSE_EEENSF_IJSE_SE_EEES9_SG_JZNS1_25segmented_radix_sort_implINS0_14default_configELb1EPKbPbPKlPlN2at6native12_GLOBAL__N_18offset_tEEE10hipError_tPvRmT1_PNSt15iterator_traitsISY_E10value_typeET2_T3_PNSZ_IS14_E10value_typeET4_jRbjT5_S1A_jjP12ihipStream_tbEUljE_EEESV_SW_SX_S14_S18_S1A_T6_T7_T9_mT8_S1C_bDpT10_ENKUlT_T0_E_clISt17integral_constantIbLb0EES1O_IbLb1EEEEDaS1K_S1L_EUlS1K_E_NS1_11comp_targetILNS1_3genE8ELNS1_11target_archE1030ELNS1_3gpuE2ELNS1_3repE0EEENS1_30default_config_static_selectorELNS0_4arch9wavefront6targetE1EEEvSY_.numbered_sgpr, 0
	.set _ZN7rocprim17ROCPRIM_400000_NS6detail17trampoline_kernelINS0_13select_configILj256ELj13ELNS0_17block_load_methodE3ELS4_3ELS4_3ELNS0_20block_scan_algorithmE0ELj4294967295EEENS1_25partition_config_selectorILNS1_17partition_subalgoE3EjNS0_10empty_typeEbEEZZNS1_14partition_implILS8_3ELb0ES6_jNS0_17counting_iteratorIjlEEPS9_SE_NS0_5tupleIJPjSE_EEENSF_IJSE_SE_EEES9_SG_JZNS1_25segmented_radix_sort_implINS0_14default_configELb1EPKbPbPKlPlN2at6native12_GLOBAL__N_18offset_tEEE10hipError_tPvRmT1_PNSt15iterator_traitsISY_E10value_typeET2_T3_PNSZ_IS14_E10value_typeET4_jRbjT5_S1A_jjP12ihipStream_tbEUljE_EEESV_SW_SX_S14_S18_S1A_T6_T7_T9_mT8_S1C_bDpT10_ENKUlT_T0_E_clISt17integral_constantIbLb0EES1O_IbLb1EEEEDaS1K_S1L_EUlS1K_E_NS1_11comp_targetILNS1_3genE8ELNS1_11target_archE1030ELNS1_3gpuE2ELNS1_3repE0EEENS1_30default_config_static_selectorELNS0_4arch9wavefront6targetE1EEEvSY_.num_named_barrier, 0
	.set _ZN7rocprim17ROCPRIM_400000_NS6detail17trampoline_kernelINS0_13select_configILj256ELj13ELNS0_17block_load_methodE3ELS4_3ELS4_3ELNS0_20block_scan_algorithmE0ELj4294967295EEENS1_25partition_config_selectorILNS1_17partition_subalgoE3EjNS0_10empty_typeEbEEZZNS1_14partition_implILS8_3ELb0ES6_jNS0_17counting_iteratorIjlEEPS9_SE_NS0_5tupleIJPjSE_EEENSF_IJSE_SE_EEES9_SG_JZNS1_25segmented_radix_sort_implINS0_14default_configELb1EPKbPbPKlPlN2at6native12_GLOBAL__N_18offset_tEEE10hipError_tPvRmT1_PNSt15iterator_traitsISY_E10value_typeET2_T3_PNSZ_IS14_E10value_typeET4_jRbjT5_S1A_jjP12ihipStream_tbEUljE_EEESV_SW_SX_S14_S18_S1A_T6_T7_T9_mT8_S1C_bDpT10_ENKUlT_T0_E_clISt17integral_constantIbLb0EES1O_IbLb1EEEEDaS1K_S1L_EUlS1K_E_NS1_11comp_targetILNS1_3genE8ELNS1_11target_archE1030ELNS1_3gpuE2ELNS1_3repE0EEENS1_30default_config_static_selectorELNS0_4arch9wavefront6targetE1EEEvSY_.private_seg_size, 0
	.set _ZN7rocprim17ROCPRIM_400000_NS6detail17trampoline_kernelINS0_13select_configILj256ELj13ELNS0_17block_load_methodE3ELS4_3ELS4_3ELNS0_20block_scan_algorithmE0ELj4294967295EEENS1_25partition_config_selectorILNS1_17partition_subalgoE3EjNS0_10empty_typeEbEEZZNS1_14partition_implILS8_3ELb0ES6_jNS0_17counting_iteratorIjlEEPS9_SE_NS0_5tupleIJPjSE_EEENSF_IJSE_SE_EEES9_SG_JZNS1_25segmented_radix_sort_implINS0_14default_configELb1EPKbPbPKlPlN2at6native12_GLOBAL__N_18offset_tEEE10hipError_tPvRmT1_PNSt15iterator_traitsISY_E10value_typeET2_T3_PNSZ_IS14_E10value_typeET4_jRbjT5_S1A_jjP12ihipStream_tbEUljE_EEESV_SW_SX_S14_S18_S1A_T6_T7_T9_mT8_S1C_bDpT10_ENKUlT_T0_E_clISt17integral_constantIbLb0EES1O_IbLb1EEEEDaS1K_S1L_EUlS1K_E_NS1_11comp_targetILNS1_3genE8ELNS1_11target_archE1030ELNS1_3gpuE2ELNS1_3repE0EEENS1_30default_config_static_selectorELNS0_4arch9wavefront6targetE1EEEvSY_.uses_vcc, 0
	.set _ZN7rocprim17ROCPRIM_400000_NS6detail17trampoline_kernelINS0_13select_configILj256ELj13ELNS0_17block_load_methodE3ELS4_3ELS4_3ELNS0_20block_scan_algorithmE0ELj4294967295EEENS1_25partition_config_selectorILNS1_17partition_subalgoE3EjNS0_10empty_typeEbEEZZNS1_14partition_implILS8_3ELb0ES6_jNS0_17counting_iteratorIjlEEPS9_SE_NS0_5tupleIJPjSE_EEENSF_IJSE_SE_EEES9_SG_JZNS1_25segmented_radix_sort_implINS0_14default_configELb1EPKbPbPKlPlN2at6native12_GLOBAL__N_18offset_tEEE10hipError_tPvRmT1_PNSt15iterator_traitsISY_E10value_typeET2_T3_PNSZ_IS14_E10value_typeET4_jRbjT5_S1A_jjP12ihipStream_tbEUljE_EEESV_SW_SX_S14_S18_S1A_T6_T7_T9_mT8_S1C_bDpT10_ENKUlT_T0_E_clISt17integral_constantIbLb0EES1O_IbLb1EEEEDaS1K_S1L_EUlS1K_E_NS1_11comp_targetILNS1_3genE8ELNS1_11target_archE1030ELNS1_3gpuE2ELNS1_3repE0EEENS1_30default_config_static_selectorELNS0_4arch9wavefront6targetE1EEEvSY_.uses_flat_scratch, 0
	.set _ZN7rocprim17ROCPRIM_400000_NS6detail17trampoline_kernelINS0_13select_configILj256ELj13ELNS0_17block_load_methodE3ELS4_3ELS4_3ELNS0_20block_scan_algorithmE0ELj4294967295EEENS1_25partition_config_selectorILNS1_17partition_subalgoE3EjNS0_10empty_typeEbEEZZNS1_14partition_implILS8_3ELb0ES6_jNS0_17counting_iteratorIjlEEPS9_SE_NS0_5tupleIJPjSE_EEENSF_IJSE_SE_EEES9_SG_JZNS1_25segmented_radix_sort_implINS0_14default_configELb1EPKbPbPKlPlN2at6native12_GLOBAL__N_18offset_tEEE10hipError_tPvRmT1_PNSt15iterator_traitsISY_E10value_typeET2_T3_PNSZ_IS14_E10value_typeET4_jRbjT5_S1A_jjP12ihipStream_tbEUljE_EEESV_SW_SX_S14_S18_S1A_T6_T7_T9_mT8_S1C_bDpT10_ENKUlT_T0_E_clISt17integral_constantIbLb0EES1O_IbLb1EEEEDaS1K_S1L_EUlS1K_E_NS1_11comp_targetILNS1_3genE8ELNS1_11target_archE1030ELNS1_3gpuE2ELNS1_3repE0EEENS1_30default_config_static_selectorELNS0_4arch9wavefront6targetE1EEEvSY_.has_dyn_sized_stack, 0
	.set _ZN7rocprim17ROCPRIM_400000_NS6detail17trampoline_kernelINS0_13select_configILj256ELj13ELNS0_17block_load_methodE3ELS4_3ELS4_3ELNS0_20block_scan_algorithmE0ELj4294967295EEENS1_25partition_config_selectorILNS1_17partition_subalgoE3EjNS0_10empty_typeEbEEZZNS1_14partition_implILS8_3ELb0ES6_jNS0_17counting_iteratorIjlEEPS9_SE_NS0_5tupleIJPjSE_EEENSF_IJSE_SE_EEES9_SG_JZNS1_25segmented_radix_sort_implINS0_14default_configELb1EPKbPbPKlPlN2at6native12_GLOBAL__N_18offset_tEEE10hipError_tPvRmT1_PNSt15iterator_traitsISY_E10value_typeET2_T3_PNSZ_IS14_E10value_typeET4_jRbjT5_S1A_jjP12ihipStream_tbEUljE_EEESV_SW_SX_S14_S18_S1A_T6_T7_T9_mT8_S1C_bDpT10_ENKUlT_T0_E_clISt17integral_constantIbLb0EES1O_IbLb1EEEEDaS1K_S1L_EUlS1K_E_NS1_11comp_targetILNS1_3genE8ELNS1_11target_archE1030ELNS1_3gpuE2ELNS1_3repE0EEENS1_30default_config_static_selectorELNS0_4arch9wavefront6targetE1EEEvSY_.has_recursion, 0
	.set _ZN7rocprim17ROCPRIM_400000_NS6detail17trampoline_kernelINS0_13select_configILj256ELj13ELNS0_17block_load_methodE3ELS4_3ELS4_3ELNS0_20block_scan_algorithmE0ELj4294967295EEENS1_25partition_config_selectorILNS1_17partition_subalgoE3EjNS0_10empty_typeEbEEZZNS1_14partition_implILS8_3ELb0ES6_jNS0_17counting_iteratorIjlEEPS9_SE_NS0_5tupleIJPjSE_EEENSF_IJSE_SE_EEES9_SG_JZNS1_25segmented_radix_sort_implINS0_14default_configELb1EPKbPbPKlPlN2at6native12_GLOBAL__N_18offset_tEEE10hipError_tPvRmT1_PNSt15iterator_traitsISY_E10value_typeET2_T3_PNSZ_IS14_E10value_typeET4_jRbjT5_S1A_jjP12ihipStream_tbEUljE_EEESV_SW_SX_S14_S18_S1A_T6_T7_T9_mT8_S1C_bDpT10_ENKUlT_T0_E_clISt17integral_constantIbLb0EES1O_IbLb1EEEEDaS1K_S1L_EUlS1K_E_NS1_11comp_targetILNS1_3genE8ELNS1_11target_archE1030ELNS1_3gpuE2ELNS1_3repE0EEENS1_30default_config_static_selectorELNS0_4arch9wavefront6targetE1EEEvSY_.has_indirect_call, 0
	.section	.AMDGPU.csdata,"",@progbits
; Kernel info:
; codeLenInByte = 0
; TotalNumSgprs: 4
; NumVgprs: 0
; ScratchSize: 0
; MemoryBound: 0
; FloatMode: 240
; IeeeMode: 1
; LDSByteSize: 0 bytes/workgroup (compile time only)
; SGPRBlocks: 0
; VGPRBlocks: 0
; NumSGPRsForWavesPerEU: 4
; NumVGPRsForWavesPerEU: 1
; Occupancy: 10
; WaveLimiterHint : 0
; COMPUTE_PGM_RSRC2:SCRATCH_EN: 0
; COMPUTE_PGM_RSRC2:USER_SGPR: 6
; COMPUTE_PGM_RSRC2:TRAP_HANDLER: 0
; COMPUTE_PGM_RSRC2:TGID_X_EN: 1
; COMPUTE_PGM_RSRC2:TGID_Y_EN: 0
; COMPUTE_PGM_RSRC2:TGID_Z_EN: 0
; COMPUTE_PGM_RSRC2:TIDIG_COMP_CNT: 0
	.section	.text._ZN7rocprim17ROCPRIM_400000_NS6detail17trampoline_kernelINS0_14default_configENS1_36segmented_radix_sort_config_selectorIblEEZNS1_25segmented_radix_sort_implIS3_Lb1EPKbPbPKlPlN2at6native12_GLOBAL__N_18offset_tEEE10hipError_tPvRmT1_PNSt15iterator_traitsISK_E10value_typeET2_T3_PNSL_ISQ_E10value_typeET4_jRbjT5_SW_jjP12ihipStream_tbEUlT_E_NS1_11comp_targetILNS1_3genE0ELNS1_11target_archE4294967295ELNS1_3gpuE0ELNS1_3repE0EEENS1_30default_config_static_selectorELNS0_4arch9wavefront6targetE1EEEvSK_,"axG",@progbits,_ZN7rocprim17ROCPRIM_400000_NS6detail17trampoline_kernelINS0_14default_configENS1_36segmented_radix_sort_config_selectorIblEEZNS1_25segmented_radix_sort_implIS3_Lb1EPKbPbPKlPlN2at6native12_GLOBAL__N_18offset_tEEE10hipError_tPvRmT1_PNSt15iterator_traitsISK_E10value_typeET2_T3_PNSL_ISQ_E10value_typeET4_jRbjT5_SW_jjP12ihipStream_tbEUlT_E_NS1_11comp_targetILNS1_3genE0ELNS1_11target_archE4294967295ELNS1_3gpuE0ELNS1_3repE0EEENS1_30default_config_static_selectorELNS0_4arch9wavefront6targetE1EEEvSK_,comdat
	.globl	_ZN7rocprim17ROCPRIM_400000_NS6detail17trampoline_kernelINS0_14default_configENS1_36segmented_radix_sort_config_selectorIblEEZNS1_25segmented_radix_sort_implIS3_Lb1EPKbPbPKlPlN2at6native12_GLOBAL__N_18offset_tEEE10hipError_tPvRmT1_PNSt15iterator_traitsISK_E10value_typeET2_T3_PNSL_ISQ_E10value_typeET4_jRbjT5_SW_jjP12ihipStream_tbEUlT_E_NS1_11comp_targetILNS1_3genE0ELNS1_11target_archE4294967295ELNS1_3gpuE0ELNS1_3repE0EEENS1_30default_config_static_selectorELNS0_4arch9wavefront6targetE1EEEvSK_ ; -- Begin function _ZN7rocprim17ROCPRIM_400000_NS6detail17trampoline_kernelINS0_14default_configENS1_36segmented_radix_sort_config_selectorIblEEZNS1_25segmented_radix_sort_implIS3_Lb1EPKbPbPKlPlN2at6native12_GLOBAL__N_18offset_tEEE10hipError_tPvRmT1_PNSt15iterator_traitsISK_E10value_typeET2_T3_PNSL_ISQ_E10value_typeET4_jRbjT5_SW_jjP12ihipStream_tbEUlT_E_NS1_11comp_targetILNS1_3genE0ELNS1_11target_archE4294967295ELNS1_3gpuE0ELNS1_3repE0EEENS1_30default_config_static_selectorELNS0_4arch9wavefront6targetE1EEEvSK_
	.p2align	8
	.type	_ZN7rocprim17ROCPRIM_400000_NS6detail17trampoline_kernelINS0_14default_configENS1_36segmented_radix_sort_config_selectorIblEEZNS1_25segmented_radix_sort_implIS3_Lb1EPKbPbPKlPlN2at6native12_GLOBAL__N_18offset_tEEE10hipError_tPvRmT1_PNSt15iterator_traitsISK_E10value_typeET2_T3_PNSL_ISQ_E10value_typeET4_jRbjT5_SW_jjP12ihipStream_tbEUlT_E_NS1_11comp_targetILNS1_3genE0ELNS1_11target_archE4294967295ELNS1_3gpuE0ELNS1_3repE0EEENS1_30default_config_static_selectorELNS0_4arch9wavefront6targetE1EEEvSK_,@function
_ZN7rocprim17ROCPRIM_400000_NS6detail17trampoline_kernelINS0_14default_configENS1_36segmented_radix_sort_config_selectorIblEEZNS1_25segmented_radix_sort_implIS3_Lb1EPKbPbPKlPlN2at6native12_GLOBAL__N_18offset_tEEE10hipError_tPvRmT1_PNSt15iterator_traitsISK_E10value_typeET2_T3_PNSL_ISQ_E10value_typeET4_jRbjT5_SW_jjP12ihipStream_tbEUlT_E_NS1_11comp_targetILNS1_3genE0ELNS1_11target_archE4294967295ELNS1_3gpuE0ELNS1_3repE0EEENS1_30default_config_static_selectorELNS0_4arch9wavefront6targetE1EEEvSK_: ; @_ZN7rocprim17ROCPRIM_400000_NS6detail17trampoline_kernelINS0_14default_configENS1_36segmented_radix_sort_config_selectorIblEEZNS1_25segmented_radix_sort_implIS3_Lb1EPKbPbPKlPlN2at6native12_GLOBAL__N_18offset_tEEE10hipError_tPvRmT1_PNSt15iterator_traitsISK_E10value_typeET2_T3_PNSL_ISQ_E10value_typeET4_jRbjT5_SW_jjP12ihipStream_tbEUlT_E_NS1_11comp_targetILNS1_3genE0ELNS1_11target_archE4294967295ELNS1_3gpuE0ELNS1_3repE0EEENS1_30default_config_static_selectorELNS0_4arch9wavefront6targetE1EEEvSK_
; %bb.0:
	.section	.rodata,"a",@progbits
	.p2align	6, 0x0
	.amdhsa_kernel _ZN7rocprim17ROCPRIM_400000_NS6detail17trampoline_kernelINS0_14default_configENS1_36segmented_radix_sort_config_selectorIblEEZNS1_25segmented_radix_sort_implIS3_Lb1EPKbPbPKlPlN2at6native12_GLOBAL__N_18offset_tEEE10hipError_tPvRmT1_PNSt15iterator_traitsISK_E10value_typeET2_T3_PNSL_ISQ_E10value_typeET4_jRbjT5_SW_jjP12ihipStream_tbEUlT_E_NS1_11comp_targetILNS1_3genE0ELNS1_11target_archE4294967295ELNS1_3gpuE0ELNS1_3repE0EEENS1_30default_config_static_selectorELNS0_4arch9wavefront6targetE1EEEvSK_
		.amdhsa_group_segment_fixed_size 0
		.amdhsa_private_segment_fixed_size 0
		.amdhsa_kernarg_size 96
		.amdhsa_user_sgpr_count 6
		.amdhsa_user_sgpr_private_segment_buffer 1
		.amdhsa_user_sgpr_dispatch_ptr 0
		.amdhsa_user_sgpr_queue_ptr 0
		.amdhsa_user_sgpr_kernarg_segment_ptr 1
		.amdhsa_user_sgpr_dispatch_id 0
		.amdhsa_user_sgpr_flat_scratch_init 0
		.amdhsa_user_sgpr_private_segment_size 0
		.amdhsa_uses_dynamic_stack 0
		.amdhsa_system_sgpr_private_segment_wavefront_offset 0
		.amdhsa_system_sgpr_workgroup_id_x 1
		.amdhsa_system_sgpr_workgroup_id_y 0
		.amdhsa_system_sgpr_workgroup_id_z 0
		.amdhsa_system_sgpr_workgroup_info 0
		.amdhsa_system_vgpr_workitem_id 0
		.amdhsa_next_free_vgpr 1
		.amdhsa_next_free_sgpr 0
		.amdhsa_reserve_vcc 0
		.amdhsa_reserve_flat_scratch 0
		.amdhsa_float_round_mode_32 0
		.amdhsa_float_round_mode_16_64 0
		.amdhsa_float_denorm_mode_32 3
		.amdhsa_float_denorm_mode_16_64 3
		.amdhsa_dx10_clamp 1
		.amdhsa_ieee_mode 1
		.amdhsa_fp16_overflow 0
		.amdhsa_exception_fp_ieee_invalid_op 0
		.amdhsa_exception_fp_denorm_src 0
		.amdhsa_exception_fp_ieee_div_zero 0
		.amdhsa_exception_fp_ieee_overflow 0
		.amdhsa_exception_fp_ieee_underflow 0
		.amdhsa_exception_fp_ieee_inexact 0
		.amdhsa_exception_int_div_zero 0
	.end_amdhsa_kernel
	.section	.text._ZN7rocprim17ROCPRIM_400000_NS6detail17trampoline_kernelINS0_14default_configENS1_36segmented_radix_sort_config_selectorIblEEZNS1_25segmented_radix_sort_implIS3_Lb1EPKbPbPKlPlN2at6native12_GLOBAL__N_18offset_tEEE10hipError_tPvRmT1_PNSt15iterator_traitsISK_E10value_typeET2_T3_PNSL_ISQ_E10value_typeET4_jRbjT5_SW_jjP12ihipStream_tbEUlT_E_NS1_11comp_targetILNS1_3genE0ELNS1_11target_archE4294967295ELNS1_3gpuE0ELNS1_3repE0EEENS1_30default_config_static_selectorELNS0_4arch9wavefront6targetE1EEEvSK_,"axG",@progbits,_ZN7rocprim17ROCPRIM_400000_NS6detail17trampoline_kernelINS0_14default_configENS1_36segmented_radix_sort_config_selectorIblEEZNS1_25segmented_radix_sort_implIS3_Lb1EPKbPbPKlPlN2at6native12_GLOBAL__N_18offset_tEEE10hipError_tPvRmT1_PNSt15iterator_traitsISK_E10value_typeET2_T3_PNSL_ISQ_E10value_typeET4_jRbjT5_SW_jjP12ihipStream_tbEUlT_E_NS1_11comp_targetILNS1_3genE0ELNS1_11target_archE4294967295ELNS1_3gpuE0ELNS1_3repE0EEENS1_30default_config_static_selectorELNS0_4arch9wavefront6targetE1EEEvSK_,comdat
.Lfunc_end1532:
	.size	_ZN7rocprim17ROCPRIM_400000_NS6detail17trampoline_kernelINS0_14default_configENS1_36segmented_radix_sort_config_selectorIblEEZNS1_25segmented_radix_sort_implIS3_Lb1EPKbPbPKlPlN2at6native12_GLOBAL__N_18offset_tEEE10hipError_tPvRmT1_PNSt15iterator_traitsISK_E10value_typeET2_T3_PNSL_ISQ_E10value_typeET4_jRbjT5_SW_jjP12ihipStream_tbEUlT_E_NS1_11comp_targetILNS1_3genE0ELNS1_11target_archE4294967295ELNS1_3gpuE0ELNS1_3repE0EEENS1_30default_config_static_selectorELNS0_4arch9wavefront6targetE1EEEvSK_, .Lfunc_end1532-_ZN7rocprim17ROCPRIM_400000_NS6detail17trampoline_kernelINS0_14default_configENS1_36segmented_radix_sort_config_selectorIblEEZNS1_25segmented_radix_sort_implIS3_Lb1EPKbPbPKlPlN2at6native12_GLOBAL__N_18offset_tEEE10hipError_tPvRmT1_PNSt15iterator_traitsISK_E10value_typeET2_T3_PNSL_ISQ_E10value_typeET4_jRbjT5_SW_jjP12ihipStream_tbEUlT_E_NS1_11comp_targetILNS1_3genE0ELNS1_11target_archE4294967295ELNS1_3gpuE0ELNS1_3repE0EEENS1_30default_config_static_selectorELNS0_4arch9wavefront6targetE1EEEvSK_
                                        ; -- End function
	.set _ZN7rocprim17ROCPRIM_400000_NS6detail17trampoline_kernelINS0_14default_configENS1_36segmented_radix_sort_config_selectorIblEEZNS1_25segmented_radix_sort_implIS3_Lb1EPKbPbPKlPlN2at6native12_GLOBAL__N_18offset_tEEE10hipError_tPvRmT1_PNSt15iterator_traitsISK_E10value_typeET2_T3_PNSL_ISQ_E10value_typeET4_jRbjT5_SW_jjP12ihipStream_tbEUlT_E_NS1_11comp_targetILNS1_3genE0ELNS1_11target_archE4294967295ELNS1_3gpuE0ELNS1_3repE0EEENS1_30default_config_static_selectorELNS0_4arch9wavefront6targetE1EEEvSK_.num_vgpr, 0
	.set _ZN7rocprim17ROCPRIM_400000_NS6detail17trampoline_kernelINS0_14default_configENS1_36segmented_radix_sort_config_selectorIblEEZNS1_25segmented_radix_sort_implIS3_Lb1EPKbPbPKlPlN2at6native12_GLOBAL__N_18offset_tEEE10hipError_tPvRmT1_PNSt15iterator_traitsISK_E10value_typeET2_T3_PNSL_ISQ_E10value_typeET4_jRbjT5_SW_jjP12ihipStream_tbEUlT_E_NS1_11comp_targetILNS1_3genE0ELNS1_11target_archE4294967295ELNS1_3gpuE0ELNS1_3repE0EEENS1_30default_config_static_selectorELNS0_4arch9wavefront6targetE1EEEvSK_.num_agpr, 0
	.set _ZN7rocprim17ROCPRIM_400000_NS6detail17trampoline_kernelINS0_14default_configENS1_36segmented_radix_sort_config_selectorIblEEZNS1_25segmented_radix_sort_implIS3_Lb1EPKbPbPKlPlN2at6native12_GLOBAL__N_18offset_tEEE10hipError_tPvRmT1_PNSt15iterator_traitsISK_E10value_typeET2_T3_PNSL_ISQ_E10value_typeET4_jRbjT5_SW_jjP12ihipStream_tbEUlT_E_NS1_11comp_targetILNS1_3genE0ELNS1_11target_archE4294967295ELNS1_3gpuE0ELNS1_3repE0EEENS1_30default_config_static_selectorELNS0_4arch9wavefront6targetE1EEEvSK_.numbered_sgpr, 0
	.set _ZN7rocprim17ROCPRIM_400000_NS6detail17trampoline_kernelINS0_14default_configENS1_36segmented_radix_sort_config_selectorIblEEZNS1_25segmented_radix_sort_implIS3_Lb1EPKbPbPKlPlN2at6native12_GLOBAL__N_18offset_tEEE10hipError_tPvRmT1_PNSt15iterator_traitsISK_E10value_typeET2_T3_PNSL_ISQ_E10value_typeET4_jRbjT5_SW_jjP12ihipStream_tbEUlT_E_NS1_11comp_targetILNS1_3genE0ELNS1_11target_archE4294967295ELNS1_3gpuE0ELNS1_3repE0EEENS1_30default_config_static_selectorELNS0_4arch9wavefront6targetE1EEEvSK_.num_named_barrier, 0
	.set _ZN7rocprim17ROCPRIM_400000_NS6detail17trampoline_kernelINS0_14default_configENS1_36segmented_radix_sort_config_selectorIblEEZNS1_25segmented_radix_sort_implIS3_Lb1EPKbPbPKlPlN2at6native12_GLOBAL__N_18offset_tEEE10hipError_tPvRmT1_PNSt15iterator_traitsISK_E10value_typeET2_T3_PNSL_ISQ_E10value_typeET4_jRbjT5_SW_jjP12ihipStream_tbEUlT_E_NS1_11comp_targetILNS1_3genE0ELNS1_11target_archE4294967295ELNS1_3gpuE0ELNS1_3repE0EEENS1_30default_config_static_selectorELNS0_4arch9wavefront6targetE1EEEvSK_.private_seg_size, 0
	.set _ZN7rocprim17ROCPRIM_400000_NS6detail17trampoline_kernelINS0_14default_configENS1_36segmented_radix_sort_config_selectorIblEEZNS1_25segmented_radix_sort_implIS3_Lb1EPKbPbPKlPlN2at6native12_GLOBAL__N_18offset_tEEE10hipError_tPvRmT1_PNSt15iterator_traitsISK_E10value_typeET2_T3_PNSL_ISQ_E10value_typeET4_jRbjT5_SW_jjP12ihipStream_tbEUlT_E_NS1_11comp_targetILNS1_3genE0ELNS1_11target_archE4294967295ELNS1_3gpuE0ELNS1_3repE0EEENS1_30default_config_static_selectorELNS0_4arch9wavefront6targetE1EEEvSK_.uses_vcc, 0
	.set _ZN7rocprim17ROCPRIM_400000_NS6detail17trampoline_kernelINS0_14default_configENS1_36segmented_radix_sort_config_selectorIblEEZNS1_25segmented_radix_sort_implIS3_Lb1EPKbPbPKlPlN2at6native12_GLOBAL__N_18offset_tEEE10hipError_tPvRmT1_PNSt15iterator_traitsISK_E10value_typeET2_T3_PNSL_ISQ_E10value_typeET4_jRbjT5_SW_jjP12ihipStream_tbEUlT_E_NS1_11comp_targetILNS1_3genE0ELNS1_11target_archE4294967295ELNS1_3gpuE0ELNS1_3repE0EEENS1_30default_config_static_selectorELNS0_4arch9wavefront6targetE1EEEvSK_.uses_flat_scratch, 0
	.set _ZN7rocprim17ROCPRIM_400000_NS6detail17trampoline_kernelINS0_14default_configENS1_36segmented_radix_sort_config_selectorIblEEZNS1_25segmented_radix_sort_implIS3_Lb1EPKbPbPKlPlN2at6native12_GLOBAL__N_18offset_tEEE10hipError_tPvRmT1_PNSt15iterator_traitsISK_E10value_typeET2_T3_PNSL_ISQ_E10value_typeET4_jRbjT5_SW_jjP12ihipStream_tbEUlT_E_NS1_11comp_targetILNS1_3genE0ELNS1_11target_archE4294967295ELNS1_3gpuE0ELNS1_3repE0EEENS1_30default_config_static_selectorELNS0_4arch9wavefront6targetE1EEEvSK_.has_dyn_sized_stack, 0
	.set _ZN7rocprim17ROCPRIM_400000_NS6detail17trampoline_kernelINS0_14default_configENS1_36segmented_radix_sort_config_selectorIblEEZNS1_25segmented_radix_sort_implIS3_Lb1EPKbPbPKlPlN2at6native12_GLOBAL__N_18offset_tEEE10hipError_tPvRmT1_PNSt15iterator_traitsISK_E10value_typeET2_T3_PNSL_ISQ_E10value_typeET4_jRbjT5_SW_jjP12ihipStream_tbEUlT_E_NS1_11comp_targetILNS1_3genE0ELNS1_11target_archE4294967295ELNS1_3gpuE0ELNS1_3repE0EEENS1_30default_config_static_selectorELNS0_4arch9wavefront6targetE1EEEvSK_.has_recursion, 0
	.set _ZN7rocprim17ROCPRIM_400000_NS6detail17trampoline_kernelINS0_14default_configENS1_36segmented_radix_sort_config_selectorIblEEZNS1_25segmented_radix_sort_implIS3_Lb1EPKbPbPKlPlN2at6native12_GLOBAL__N_18offset_tEEE10hipError_tPvRmT1_PNSt15iterator_traitsISK_E10value_typeET2_T3_PNSL_ISQ_E10value_typeET4_jRbjT5_SW_jjP12ihipStream_tbEUlT_E_NS1_11comp_targetILNS1_3genE0ELNS1_11target_archE4294967295ELNS1_3gpuE0ELNS1_3repE0EEENS1_30default_config_static_selectorELNS0_4arch9wavefront6targetE1EEEvSK_.has_indirect_call, 0
	.section	.AMDGPU.csdata,"",@progbits
; Kernel info:
; codeLenInByte = 0
; TotalNumSgprs: 4
; NumVgprs: 0
; ScratchSize: 0
; MemoryBound: 0
; FloatMode: 240
; IeeeMode: 1
; LDSByteSize: 0 bytes/workgroup (compile time only)
; SGPRBlocks: 0
; VGPRBlocks: 0
; NumSGPRsForWavesPerEU: 4
; NumVGPRsForWavesPerEU: 1
; Occupancy: 10
; WaveLimiterHint : 0
; COMPUTE_PGM_RSRC2:SCRATCH_EN: 0
; COMPUTE_PGM_RSRC2:USER_SGPR: 6
; COMPUTE_PGM_RSRC2:TRAP_HANDLER: 0
; COMPUTE_PGM_RSRC2:TGID_X_EN: 1
; COMPUTE_PGM_RSRC2:TGID_Y_EN: 0
; COMPUTE_PGM_RSRC2:TGID_Z_EN: 0
; COMPUTE_PGM_RSRC2:TIDIG_COMP_CNT: 0
	.section	.text._ZN7rocprim17ROCPRIM_400000_NS6detail17trampoline_kernelINS0_14default_configENS1_36segmented_radix_sort_config_selectorIblEEZNS1_25segmented_radix_sort_implIS3_Lb1EPKbPbPKlPlN2at6native12_GLOBAL__N_18offset_tEEE10hipError_tPvRmT1_PNSt15iterator_traitsISK_E10value_typeET2_T3_PNSL_ISQ_E10value_typeET4_jRbjT5_SW_jjP12ihipStream_tbEUlT_E_NS1_11comp_targetILNS1_3genE5ELNS1_11target_archE942ELNS1_3gpuE9ELNS1_3repE0EEENS1_30default_config_static_selectorELNS0_4arch9wavefront6targetE1EEEvSK_,"axG",@progbits,_ZN7rocprim17ROCPRIM_400000_NS6detail17trampoline_kernelINS0_14default_configENS1_36segmented_radix_sort_config_selectorIblEEZNS1_25segmented_radix_sort_implIS3_Lb1EPKbPbPKlPlN2at6native12_GLOBAL__N_18offset_tEEE10hipError_tPvRmT1_PNSt15iterator_traitsISK_E10value_typeET2_T3_PNSL_ISQ_E10value_typeET4_jRbjT5_SW_jjP12ihipStream_tbEUlT_E_NS1_11comp_targetILNS1_3genE5ELNS1_11target_archE942ELNS1_3gpuE9ELNS1_3repE0EEENS1_30default_config_static_selectorELNS0_4arch9wavefront6targetE1EEEvSK_,comdat
	.globl	_ZN7rocprim17ROCPRIM_400000_NS6detail17trampoline_kernelINS0_14default_configENS1_36segmented_radix_sort_config_selectorIblEEZNS1_25segmented_radix_sort_implIS3_Lb1EPKbPbPKlPlN2at6native12_GLOBAL__N_18offset_tEEE10hipError_tPvRmT1_PNSt15iterator_traitsISK_E10value_typeET2_T3_PNSL_ISQ_E10value_typeET4_jRbjT5_SW_jjP12ihipStream_tbEUlT_E_NS1_11comp_targetILNS1_3genE5ELNS1_11target_archE942ELNS1_3gpuE9ELNS1_3repE0EEENS1_30default_config_static_selectorELNS0_4arch9wavefront6targetE1EEEvSK_ ; -- Begin function _ZN7rocprim17ROCPRIM_400000_NS6detail17trampoline_kernelINS0_14default_configENS1_36segmented_radix_sort_config_selectorIblEEZNS1_25segmented_radix_sort_implIS3_Lb1EPKbPbPKlPlN2at6native12_GLOBAL__N_18offset_tEEE10hipError_tPvRmT1_PNSt15iterator_traitsISK_E10value_typeET2_T3_PNSL_ISQ_E10value_typeET4_jRbjT5_SW_jjP12ihipStream_tbEUlT_E_NS1_11comp_targetILNS1_3genE5ELNS1_11target_archE942ELNS1_3gpuE9ELNS1_3repE0EEENS1_30default_config_static_selectorELNS0_4arch9wavefront6targetE1EEEvSK_
	.p2align	8
	.type	_ZN7rocprim17ROCPRIM_400000_NS6detail17trampoline_kernelINS0_14default_configENS1_36segmented_radix_sort_config_selectorIblEEZNS1_25segmented_radix_sort_implIS3_Lb1EPKbPbPKlPlN2at6native12_GLOBAL__N_18offset_tEEE10hipError_tPvRmT1_PNSt15iterator_traitsISK_E10value_typeET2_T3_PNSL_ISQ_E10value_typeET4_jRbjT5_SW_jjP12ihipStream_tbEUlT_E_NS1_11comp_targetILNS1_3genE5ELNS1_11target_archE942ELNS1_3gpuE9ELNS1_3repE0EEENS1_30default_config_static_selectorELNS0_4arch9wavefront6targetE1EEEvSK_,@function
_ZN7rocprim17ROCPRIM_400000_NS6detail17trampoline_kernelINS0_14default_configENS1_36segmented_radix_sort_config_selectorIblEEZNS1_25segmented_radix_sort_implIS3_Lb1EPKbPbPKlPlN2at6native12_GLOBAL__N_18offset_tEEE10hipError_tPvRmT1_PNSt15iterator_traitsISK_E10value_typeET2_T3_PNSL_ISQ_E10value_typeET4_jRbjT5_SW_jjP12ihipStream_tbEUlT_E_NS1_11comp_targetILNS1_3genE5ELNS1_11target_archE942ELNS1_3gpuE9ELNS1_3repE0EEENS1_30default_config_static_selectorELNS0_4arch9wavefront6targetE1EEEvSK_: ; @_ZN7rocprim17ROCPRIM_400000_NS6detail17trampoline_kernelINS0_14default_configENS1_36segmented_radix_sort_config_selectorIblEEZNS1_25segmented_radix_sort_implIS3_Lb1EPKbPbPKlPlN2at6native12_GLOBAL__N_18offset_tEEE10hipError_tPvRmT1_PNSt15iterator_traitsISK_E10value_typeET2_T3_PNSL_ISQ_E10value_typeET4_jRbjT5_SW_jjP12ihipStream_tbEUlT_E_NS1_11comp_targetILNS1_3genE5ELNS1_11target_archE942ELNS1_3gpuE9ELNS1_3repE0EEENS1_30default_config_static_selectorELNS0_4arch9wavefront6targetE1EEEvSK_
; %bb.0:
	.section	.rodata,"a",@progbits
	.p2align	6, 0x0
	.amdhsa_kernel _ZN7rocprim17ROCPRIM_400000_NS6detail17trampoline_kernelINS0_14default_configENS1_36segmented_radix_sort_config_selectorIblEEZNS1_25segmented_radix_sort_implIS3_Lb1EPKbPbPKlPlN2at6native12_GLOBAL__N_18offset_tEEE10hipError_tPvRmT1_PNSt15iterator_traitsISK_E10value_typeET2_T3_PNSL_ISQ_E10value_typeET4_jRbjT5_SW_jjP12ihipStream_tbEUlT_E_NS1_11comp_targetILNS1_3genE5ELNS1_11target_archE942ELNS1_3gpuE9ELNS1_3repE0EEENS1_30default_config_static_selectorELNS0_4arch9wavefront6targetE1EEEvSK_
		.amdhsa_group_segment_fixed_size 0
		.amdhsa_private_segment_fixed_size 0
		.amdhsa_kernarg_size 96
		.amdhsa_user_sgpr_count 6
		.amdhsa_user_sgpr_private_segment_buffer 1
		.amdhsa_user_sgpr_dispatch_ptr 0
		.amdhsa_user_sgpr_queue_ptr 0
		.amdhsa_user_sgpr_kernarg_segment_ptr 1
		.amdhsa_user_sgpr_dispatch_id 0
		.amdhsa_user_sgpr_flat_scratch_init 0
		.amdhsa_user_sgpr_private_segment_size 0
		.amdhsa_uses_dynamic_stack 0
		.amdhsa_system_sgpr_private_segment_wavefront_offset 0
		.amdhsa_system_sgpr_workgroup_id_x 1
		.amdhsa_system_sgpr_workgroup_id_y 0
		.amdhsa_system_sgpr_workgroup_id_z 0
		.amdhsa_system_sgpr_workgroup_info 0
		.amdhsa_system_vgpr_workitem_id 0
		.amdhsa_next_free_vgpr 1
		.amdhsa_next_free_sgpr 0
		.amdhsa_reserve_vcc 0
		.amdhsa_reserve_flat_scratch 0
		.amdhsa_float_round_mode_32 0
		.amdhsa_float_round_mode_16_64 0
		.amdhsa_float_denorm_mode_32 3
		.amdhsa_float_denorm_mode_16_64 3
		.amdhsa_dx10_clamp 1
		.amdhsa_ieee_mode 1
		.amdhsa_fp16_overflow 0
		.amdhsa_exception_fp_ieee_invalid_op 0
		.amdhsa_exception_fp_denorm_src 0
		.amdhsa_exception_fp_ieee_div_zero 0
		.amdhsa_exception_fp_ieee_overflow 0
		.amdhsa_exception_fp_ieee_underflow 0
		.amdhsa_exception_fp_ieee_inexact 0
		.amdhsa_exception_int_div_zero 0
	.end_amdhsa_kernel
	.section	.text._ZN7rocprim17ROCPRIM_400000_NS6detail17trampoline_kernelINS0_14default_configENS1_36segmented_radix_sort_config_selectorIblEEZNS1_25segmented_radix_sort_implIS3_Lb1EPKbPbPKlPlN2at6native12_GLOBAL__N_18offset_tEEE10hipError_tPvRmT1_PNSt15iterator_traitsISK_E10value_typeET2_T3_PNSL_ISQ_E10value_typeET4_jRbjT5_SW_jjP12ihipStream_tbEUlT_E_NS1_11comp_targetILNS1_3genE5ELNS1_11target_archE942ELNS1_3gpuE9ELNS1_3repE0EEENS1_30default_config_static_selectorELNS0_4arch9wavefront6targetE1EEEvSK_,"axG",@progbits,_ZN7rocprim17ROCPRIM_400000_NS6detail17trampoline_kernelINS0_14default_configENS1_36segmented_radix_sort_config_selectorIblEEZNS1_25segmented_radix_sort_implIS3_Lb1EPKbPbPKlPlN2at6native12_GLOBAL__N_18offset_tEEE10hipError_tPvRmT1_PNSt15iterator_traitsISK_E10value_typeET2_T3_PNSL_ISQ_E10value_typeET4_jRbjT5_SW_jjP12ihipStream_tbEUlT_E_NS1_11comp_targetILNS1_3genE5ELNS1_11target_archE942ELNS1_3gpuE9ELNS1_3repE0EEENS1_30default_config_static_selectorELNS0_4arch9wavefront6targetE1EEEvSK_,comdat
.Lfunc_end1533:
	.size	_ZN7rocprim17ROCPRIM_400000_NS6detail17trampoline_kernelINS0_14default_configENS1_36segmented_radix_sort_config_selectorIblEEZNS1_25segmented_radix_sort_implIS3_Lb1EPKbPbPKlPlN2at6native12_GLOBAL__N_18offset_tEEE10hipError_tPvRmT1_PNSt15iterator_traitsISK_E10value_typeET2_T3_PNSL_ISQ_E10value_typeET4_jRbjT5_SW_jjP12ihipStream_tbEUlT_E_NS1_11comp_targetILNS1_3genE5ELNS1_11target_archE942ELNS1_3gpuE9ELNS1_3repE0EEENS1_30default_config_static_selectorELNS0_4arch9wavefront6targetE1EEEvSK_, .Lfunc_end1533-_ZN7rocprim17ROCPRIM_400000_NS6detail17trampoline_kernelINS0_14default_configENS1_36segmented_radix_sort_config_selectorIblEEZNS1_25segmented_radix_sort_implIS3_Lb1EPKbPbPKlPlN2at6native12_GLOBAL__N_18offset_tEEE10hipError_tPvRmT1_PNSt15iterator_traitsISK_E10value_typeET2_T3_PNSL_ISQ_E10value_typeET4_jRbjT5_SW_jjP12ihipStream_tbEUlT_E_NS1_11comp_targetILNS1_3genE5ELNS1_11target_archE942ELNS1_3gpuE9ELNS1_3repE0EEENS1_30default_config_static_selectorELNS0_4arch9wavefront6targetE1EEEvSK_
                                        ; -- End function
	.set _ZN7rocprim17ROCPRIM_400000_NS6detail17trampoline_kernelINS0_14default_configENS1_36segmented_radix_sort_config_selectorIblEEZNS1_25segmented_radix_sort_implIS3_Lb1EPKbPbPKlPlN2at6native12_GLOBAL__N_18offset_tEEE10hipError_tPvRmT1_PNSt15iterator_traitsISK_E10value_typeET2_T3_PNSL_ISQ_E10value_typeET4_jRbjT5_SW_jjP12ihipStream_tbEUlT_E_NS1_11comp_targetILNS1_3genE5ELNS1_11target_archE942ELNS1_3gpuE9ELNS1_3repE0EEENS1_30default_config_static_selectorELNS0_4arch9wavefront6targetE1EEEvSK_.num_vgpr, 0
	.set _ZN7rocprim17ROCPRIM_400000_NS6detail17trampoline_kernelINS0_14default_configENS1_36segmented_radix_sort_config_selectorIblEEZNS1_25segmented_radix_sort_implIS3_Lb1EPKbPbPKlPlN2at6native12_GLOBAL__N_18offset_tEEE10hipError_tPvRmT1_PNSt15iterator_traitsISK_E10value_typeET2_T3_PNSL_ISQ_E10value_typeET4_jRbjT5_SW_jjP12ihipStream_tbEUlT_E_NS1_11comp_targetILNS1_3genE5ELNS1_11target_archE942ELNS1_3gpuE9ELNS1_3repE0EEENS1_30default_config_static_selectorELNS0_4arch9wavefront6targetE1EEEvSK_.num_agpr, 0
	.set _ZN7rocprim17ROCPRIM_400000_NS6detail17trampoline_kernelINS0_14default_configENS1_36segmented_radix_sort_config_selectorIblEEZNS1_25segmented_radix_sort_implIS3_Lb1EPKbPbPKlPlN2at6native12_GLOBAL__N_18offset_tEEE10hipError_tPvRmT1_PNSt15iterator_traitsISK_E10value_typeET2_T3_PNSL_ISQ_E10value_typeET4_jRbjT5_SW_jjP12ihipStream_tbEUlT_E_NS1_11comp_targetILNS1_3genE5ELNS1_11target_archE942ELNS1_3gpuE9ELNS1_3repE0EEENS1_30default_config_static_selectorELNS0_4arch9wavefront6targetE1EEEvSK_.numbered_sgpr, 0
	.set _ZN7rocprim17ROCPRIM_400000_NS6detail17trampoline_kernelINS0_14default_configENS1_36segmented_radix_sort_config_selectorIblEEZNS1_25segmented_radix_sort_implIS3_Lb1EPKbPbPKlPlN2at6native12_GLOBAL__N_18offset_tEEE10hipError_tPvRmT1_PNSt15iterator_traitsISK_E10value_typeET2_T3_PNSL_ISQ_E10value_typeET4_jRbjT5_SW_jjP12ihipStream_tbEUlT_E_NS1_11comp_targetILNS1_3genE5ELNS1_11target_archE942ELNS1_3gpuE9ELNS1_3repE0EEENS1_30default_config_static_selectorELNS0_4arch9wavefront6targetE1EEEvSK_.num_named_barrier, 0
	.set _ZN7rocprim17ROCPRIM_400000_NS6detail17trampoline_kernelINS0_14default_configENS1_36segmented_radix_sort_config_selectorIblEEZNS1_25segmented_radix_sort_implIS3_Lb1EPKbPbPKlPlN2at6native12_GLOBAL__N_18offset_tEEE10hipError_tPvRmT1_PNSt15iterator_traitsISK_E10value_typeET2_T3_PNSL_ISQ_E10value_typeET4_jRbjT5_SW_jjP12ihipStream_tbEUlT_E_NS1_11comp_targetILNS1_3genE5ELNS1_11target_archE942ELNS1_3gpuE9ELNS1_3repE0EEENS1_30default_config_static_selectorELNS0_4arch9wavefront6targetE1EEEvSK_.private_seg_size, 0
	.set _ZN7rocprim17ROCPRIM_400000_NS6detail17trampoline_kernelINS0_14default_configENS1_36segmented_radix_sort_config_selectorIblEEZNS1_25segmented_radix_sort_implIS3_Lb1EPKbPbPKlPlN2at6native12_GLOBAL__N_18offset_tEEE10hipError_tPvRmT1_PNSt15iterator_traitsISK_E10value_typeET2_T3_PNSL_ISQ_E10value_typeET4_jRbjT5_SW_jjP12ihipStream_tbEUlT_E_NS1_11comp_targetILNS1_3genE5ELNS1_11target_archE942ELNS1_3gpuE9ELNS1_3repE0EEENS1_30default_config_static_selectorELNS0_4arch9wavefront6targetE1EEEvSK_.uses_vcc, 0
	.set _ZN7rocprim17ROCPRIM_400000_NS6detail17trampoline_kernelINS0_14default_configENS1_36segmented_radix_sort_config_selectorIblEEZNS1_25segmented_radix_sort_implIS3_Lb1EPKbPbPKlPlN2at6native12_GLOBAL__N_18offset_tEEE10hipError_tPvRmT1_PNSt15iterator_traitsISK_E10value_typeET2_T3_PNSL_ISQ_E10value_typeET4_jRbjT5_SW_jjP12ihipStream_tbEUlT_E_NS1_11comp_targetILNS1_3genE5ELNS1_11target_archE942ELNS1_3gpuE9ELNS1_3repE0EEENS1_30default_config_static_selectorELNS0_4arch9wavefront6targetE1EEEvSK_.uses_flat_scratch, 0
	.set _ZN7rocprim17ROCPRIM_400000_NS6detail17trampoline_kernelINS0_14default_configENS1_36segmented_radix_sort_config_selectorIblEEZNS1_25segmented_radix_sort_implIS3_Lb1EPKbPbPKlPlN2at6native12_GLOBAL__N_18offset_tEEE10hipError_tPvRmT1_PNSt15iterator_traitsISK_E10value_typeET2_T3_PNSL_ISQ_E10value_typeET4_jRbjT5_SW_jjP12ihipStream_tbEUlT_E_NS1_11comp_targetILNS1_3genE5ELNS1_11target_archE942ELNS1_3gpuE9ELNS1_3repE0EEENS1_30default_config_static_selectorELNS0_4arch9wavefront6targetE1EEEvSK_.has_dyn_sized_stack, 0
	.set _ZN7rocprim17ROCPRIM_400000_NS6detail17trampoline_kernelINS0_14default_configENS1_36segmented_radix_sort_config_selectorIblEEZNS1_25segmented_radix_sort_implIS3_Lb1EPKbPbPKlPlN2at6native12_GLOBAL__N_18offset_tEEE10hipError_tPvRmT1_PNSt15iterator_traitsISK_E10value_typeET2_T3_PNSL_ISQ_E10value_typeET4_jRbjT5_SW_jjP12ihipStream_tbEUlT_E_NS1_11comp_targetILNS1_3genE5ELNS1_11target_archE942ELNS1_3gpuE9ELNS1_3repE0EEENS1_30default_config_static_selectorELNS0_4arch9wavefront6targetE1EEEvSK_.has_recursion, 0
	.set _ZN7rocprim17ROCPRIM_400000_NS6detail17trampoline_kernelINS0_14default_configENS1_36segmented_radix_sort_config_selectorIblEEZNS1_25segmented_radix_sort_implIS3_Lb1EPKbPbPKlPlN2at6native12_GLOBAL__N_18offset_tEEE10hipError_tPvRmT1_PNSt15iterator_traitsISK_E10value_typeET2_T3_PNSL_ISQ_E10value_typeET4_jRbjT5_SW_jjP12ihipStream_tbEUlT_E_NS1_11comp_targetILNS1_3genE5ELNS1_11target_archE942ELNS1_3gpuE9ELNS1_3repE0EEENS1_30default_config_static_selectorELNS0_4arch9wavefront6targetE1EEEvSK_.has_indirect_call, 0
	.section	.AMDGPU.csdata,"",@progbits
; Kernel info:
; codeLenInByte = 0
; TotalNumSgprs: 4
; NumVgprs: 0
; ScratchSize: 0
; MemoryBound: 0
; FloatMode: 240
; IeeeMode: 1
; LDSByteSize: 0 bytes/workgroup (compile time only)
; SGPRBlocks: 0
; VGPRBlocks: 0
; NumSGPRsForWavesPerEU: 4
; NumVGPRsForWavesPerEU: 1
; Occupancy: 10
; WaveLimiterHint : 0
; COMPUTE_PGM_RSRC2:SCRATCH_EN: 0
; COMPUTE_PGM_RSRC2:USER_SGPR: 6
; COMPUTE_PGM_RSRC2:TRAP_HANDLER: 0
; COMPUTE_PGM_RSRC2:TGID_X_EN: 1
; COMPUTE_PGM_RSRC2:TGID_Y_EN: 0
; COMPUTE_PGM_RSRC2:TGID_Z_EN: 0
; COMPUTE_PGM_RSRC2:TIDIG_COMP_CNT: 0
	.section	.text._ZN7rocprim17ROCPRIM_400000_NS6detail17trampoline_kernelINS0_14default_configENS1_36segmented_radix_sort_config_selectorIblEEZNS1_25segmented_radix_sort_implIS3_Lb1EPKbPbPKlPlN2at6native12_GLOBAL__N_18offset_tEEE10hipError_tPvRmT1_PNSt15iterator_traitsISK_E10value_typeET2_T3_PNSL_ISQ_E10value_typeET4_jRbjT5_SW_jjP12ihipStream_tbEUlT_E_NS1_11comp_targetILNS1_3genE4ELNS1_11target_archE910ELNS1_3gpuE8ELNS1_3repE0EEENS1_30default_config_static_selectorELNS0_4arch9wavefront6targetE1EEEvSK_,"axG",@progbits,_ZN7rocprim17ROCPRIM_400000_NS6detail17trampoline_kernelINS0_14default_configENS1_36segmented_radix_sort_config_selectorIblEEZNS1_25segmented_radix_sort_implIS3_Lb1EPKbPbPKlPlN2at6native12_GLOBAL__N_18offset_tEEE10hipError_tPvRmT1_PNSt15iterator_traitsISK_E10value_typeET2_T3_PNSL_ISQ_E10value_typeET4_jRbjT5_SW_jjP12ihipStream_tbEUlT_E_NS1_11comp_targetILNS1_3genE4ELNS1_11target_archE910ELNS1_3gpuE8ELNS1_3repE0EEENS1_30default_config_static_selectorELNS0_4arch9wavefront6targetE1EEEvSK_,comdat
	.globl	_ZN7rocprim17ROCPRIM_400000_NS6detail17trampoline_kernelINS0_14default_configENS1_36segmented_radix_sort_config_selectorIblEEZNS1_25segmented_radix_sort_implIS3_Lb1EPKbPbPKlPlN2at6native12_GLOBAL__N_18offset_tEEE10hipError_tPvRmT1_PNSt15iterator_traitsISK_E10value_typeET2_T3_PNSL_ISQ_E10value_typeET4_jRbjT5_SW_jjP12ihipStream_tbEUlT_E_NS1_11comp_targetILNS1_3genE4ELNS1_11target_archE910ELNS1_3gpuE8ELNS1_3repE0EEENS1_30default_config_static_selectorELNS0_4arch9wavefront6targetE1EEEvSK_ ; -- Begin function _ZN7rocprim17ROCPRIM_400000_NS6detail17trampoline_kernelINS0_14default_configENS1_36segmented_radix_sort_config_selectorIblEEZNS1_25segmented_radix_sort_implIS3_Lb1EPKbPbPKlPlN2at6native12_GLOBAL__N_18offset_tEEE10hipError_tPvRmT1_PNSt15iterator_traitsISK_E10value_typeET2_T3_PNSL_ISQ_E10value_typeET4_jRbjT5_SW_jjP12ihipStream_tbEUlT_E_NS1_11comp_targetILNS1_3genE4ELNS1_11target_archE910ELNS1_3gpuE8ELNS1_3repE0EEENS1_30default_config_static_selectorELNS0_4arch9wavefront6targetE1EEEvSK_
	.p2align	8
	.type	_ZN7rocprim17ROCPRIM_400000_NS6detail17trampoline_kernelINS0_14default_configENS1_36segmented_radix_sort_config_selectorIblEEZNS1_25segmented_radix_sort_implIS3_Lb1EPKbPbPKlPlN2at6native12_GLOBAL__N_18offset_tEEE10hipError_tPvRmT1_PNSt15iterator_traitsISK_E10value_typeET2_T3_PNSL_ISQ_E10value_typeET4_jRbjT5_SW_jjP12ihipStream_tbEUlT_E_NS1_11comp_targetILNS1_3genE4ELNS1_11target_archE910ELNS1_3gpuE8ELNS1_3repE0EEENS1_30default_config_static_selectorELNS0_4arch9wavefront6targetE1EEEvSK_,@function
_ZN7rocprim17ROCPRIM_400000_NS6detail17trampoline_kernelINS0_14default_configENS1_36segmented_radix_sort_config_selectorIblEEZNS1_25segmented_radix_sort_implIS3_Lb1EPKbPbPKlPlN2at6native12_GLOBAL__N_18offset_tEEE10hipError_tPvRmT1_PNSt15iterator_traitsISK_E10value_typeET2_T3_PNSL_ISQ_E10value_typeET4_jRbjT5_SW_jjP12ihipStream_tbEUlT_E_NS1_11comp_targetILNS1_3genE4ELNS1_11target_archE910ELNS1_3gpuE8ELNS1_3repE0EEENS1_30default_config_static_selectorELNS0_4arch9wavefront6targetE1EEEvSK_: ; @_ZN7rocprim17ROCPRIM_400000_NS6detail17trampoline_kernelINS0_14default_configENS1_36segmented_radix_sort_config_selectorIblEEZNS1_25segmented_radix_sort_implIS3_Lb1EPKbPbPKlPlN2at6native12_GLOBAL__N_18offset_tEEE10hipError_tPvRmT1_PNSt15iterator_traitsISK_E10value_typeET2_T3_PNSL_ISQ_E10value_typeET4_jRbjT5_SW_jjP12ihipStream_tbEUlT_E_NS1_11comp_targetILNS1_3genE4ELNS1_11target_archE910ELNS1_3gpuE8ELNS1_3repE0EEENS1_30default_config_static_selectorELNS0_4arch9wavefront6targetE1EEEvSK_
; %bb.0:
	.section	.rodata,"a",@progbits
	.p2align	6, 0x0
	.amdhsa_kernel _ZN7rocprim17ROCPRIM_400000_NS6detail17trampoline_kernelINS0_14default_configENS1_36segmented_radix_sort_config_selectorIblEEZNS1_25segmented_radix_sort_implIS3_Lb1EPKbPbPKlPlN2at6native12_GLOBAL__N_18offset_tEEE10hipError_tPvRmT1_PNSt15iterator_traitsISK_E10value_typeET2_T3_PNSL_ISQ_E10value_typeET4_jRbjT5_SW_jjP12ihipStream_tbEUlT_E_NS1_11comp_targetILNS1_3genE4ELNS1_11target_archE910ELNS1_3gpuE8ELNS1_3repE0EEENS1_30default_config_static_selectorELNS0_4arch9wavefront6targetE1EEEvSK_
		.amdhsa_group_segment_fixed_size 0
		.amdhsa_private_segment_fixed_size 0
		.amdhsa_kernarg_size 96
		.amdhsa_user_sgpr_count 6
		.amdhsa_user_sgpr_private_segment_buffer 1
		.amdhsa_user_sgpr_dispatch_ptr 0
		.amdhsa_user_sgpr_queue_ptr 0
		.amdhsa_user_sgpr_kernarg_segment_ptr 1
		.amdhsa_user_sgpr_dispatch_id 0
		.amdhsa_user_sgpr_flat_scratch_init 0
		.amdhsa_user_sgpr_private_segment_size 0
		.amdhsa_uses_dynamic_stack 0
		.amdhsa_system_sgpr_private_segment_wavefront_offset 0
		.amdhsa_system_sgpr_workgroup_id_x 1
		.amdhsa_system_sgpr_workgroup_id_y 0
		.amdhsa_system_sgpr_workgroup_id_z 0
		.amdhsa_system_sgpr_workgroup_info 0
		.amdhsa_system_vgpr_workitem_id 0
		.amdhsa_next_free_vgpr 1
		.amdhsa_next_free_sgpr 0
		.amdhsa_reserve_vcc 0
		.amdhsa_reserve_flat_scratch 0
		.amdhsa_float_round_mode_32 0
		.amdhsa_float_round_mode_16_64 0
		.amdhsa_float_denorm_mode_32 3
		.amdhsa_float_denorm_mode_16_64 3
		.amdhsa_dx10_clamp 1
		.amdhsa_ieee_mode 1
		.amdhsa_fp16_overflow 0
		.amdhsa_exception_fp_ieee_invalid_op 0
		.amdhsa_exception_fp_denorm_src 0
		.amdhsa_exception_fp_ieee_div_zero 0
		.amdhsa_exception_fp_ieee_overflow 0
		.amdhsa_exception_fp_ieee_underflow 0
		.amdhsa_exception_fp_ieee_inexact 0
		.amdhsa_exception_int_div_zero 0
	.end_amdhsa_kernel
	.section	.text._ZN7rocprim17ROCPRIM_400000_NS6detail17trampoline_kernelINS0_14default_configENS1_36segmented_radix_sort_config_selectorIblEEZNS1_25segmented_radix_sort_implIS3_Lb1EPKbPbPKlPlN2at6native12_GLOBAL__N_18offset_tEEE10hipError_tPvRmT1_PNSt15iterator_traitsISK_E10value_typeET2_T3_PNSL_ISQ_E10value_typeET4_jRbjT5_SW_jjP12ihipStream_tbEUlT_E_NS1_11comp_targetILNS1_3genE4ELNS1_11target_archE910ELNS1_3gpuE8ELNS1_3repE0EEENS1_30default_config_static_selectorELNS0_4arch9wavefront6targetE1EEEvSK_,"axG",@progbits,_ZN7rocprim17ROCPRIM_400000_NS6detail17trampoline_kernelINS0_14default_configENS1_36segmented_radix_sort_config_selectorIblEEZNS1_25segmented_radix_sort_implIS3_Lb1EPKbPbPKlPlN2at6native12_GLOBAL__N_18offset_tEEE10hipError_tPvRmT1_PNSt15iterator_traitsISK_E10value_typeET2_T3_PNSL_ISQ_E10value_typeET4_jRbjT5_SW_jjP12ihipStream_tbEUlT_E_NS1_11comp_targetILNS1_3genE4ELNS1_11target_archE910ELNS1_3gpuE8ELNS1_3repE0EEENS1_30default_config_static_selectorELNS0_4arch9wavefront6targetE1EEEvSK_,comdat
.Lfunc_end1534:
	.size	_ZN7rocprim17ROCPRIM_400000_NS6detail17trampoline_kernelINS0_14default_configENS1_36segmented_radix_sort_config_selectorIblEEZNS1_25segmented_radix_sort_implIS3_Lb1EPKbPbPKlPlN2at6native12_GLOBAL__N_18offset_tEEE10hipError_tPvRmT1_PNSt15iterator_traitsISK_E10value_typeET2_T3_PNSL_ISQ_E10value_typeET4_jRbjT5_SW_jjP12ihipStream_tbEUlT_E_NS1_11comp_targetILNS1_3genE4ELNS1_11target_archE910ELNS1_3gpuE8ELNS1_3repE0EEENS1_30default_config_static_selectorELNS0_4arch9wavefront6targetE1EEEvSK_, .Lfunc_end1534-_ZN7rocprim17ROCPRIM_400000_NS6detail17trampoline_kernelINS0_14default_configENS1_36segmented_radix_sort_config_selectorIblEEZNS1_25segmented_radix_sort_implIS3_Lb1EPKbPbPKlPlN2at6native12_GLOBAL__N_18offset_tEEE10hipError_tPvRmT1_PNSt15iterator_traitsISK_E10value_typeET2_T3_PNSL_ISQ_E10value_typeET4_jRbjT5_SW_jjP12ihipStream_tbEUlT_E_NS1_11comp_targetILNS1_3genE4ELNS1_11target_archE910ELNS1_3gpuE8ELNS1_3repE0EEENS1_30default_config_static_selectorELNS0_4arch9wavefront6targetE1EEEvSK_
                                        ; -- End function
	.set _ZN7rocprim17ROCPRIM_400000_NS6detail17trampoline_kernelINS0_14default_configENS1_36segmented_radix_sort_config_selectorIblEEZNS1_25segmented_radix_sort_implIS3_Lb1EPKbPbPKlPlN2at6native12_GLOBAL__N_18offset_tEEE10hipError_tPvRmT1_PNSt15iterator_traitsISK_E10value_typeET2_T3_PNSL_ISQ_E10value_typeET4_jRbjT5_SW_jjP12ihipStream_tbEUlT_E_NS1_11comp_targetILNS1_3genE4ELNS1_11target_archE910ELNS1_3gpuE8ELNS1_3repE0EEENS1_30default_config_static_selectorELNS0_4arch9wavefront6targetE1EEEvSK_.num_vgpr, 0
	.set _ZN7rocprim17ROCPRIM_400000_NS6detail17trampoline_kernelINS0_14default_configENS1_36segmented_radix_sort_config_selectorIblEEZNS1_25segmented_radix_sort_implIS3_Lb1EPKbPbPKlPlN2at6native12_GLOBAL__N_18offset_tEEE10hipError_tPvRmT1_PNSt15iterator_traitsISK_E10value_typeET2_T3_PNSL_ISQ_E10value_typeET4_jRbjT5_SW_jjP12ihipStream_tbEUlT_E_NS1_11comp_targetILNS1_3genE4ELNS1_11target_archE910ELNS1_3gpuE8ELNS1_3repE0EEENS1_30default_config_static_selectorELNS0_4arch9wavefront6targetE1EEEvSK_.num_agpr, 0
	.set _ZN7rocprim17ROCPRIM_400000_NS6detail17trampoline_kernelINS0_14default_configENS1_36segmented_radix_sort_config_selectorIblEEZNS1_25segmented_radix_sort_implIS3_Lb1EPKbPbPKlPlN2at6native12_GLOBAL__N_18offset_tEEE10hipError_tPvRmT1_PNSt15iterator_traitsISK_E10value_typeET2_T3_PNSL_ISQ_E10value_typeET4_jRbjT5_SW_jjP12ihipStream_tbEUlT_E_NS1_11comp_targetILNS1_3genE4ELNS1_11target_archE910ELNS1_3gpuE8ELNS1_3repE0EEENS1_30default_config_static_selectorELNS0_4arch9wavefront6targetE1EEEvSK_.numbered_sgpr, 0
	.set _ZN7rocprim17ROCPRIM_400000_NS6detail17trampoline_kernelINS0_14default_configENS1_36segmented_radix_sort_config_selectorIblEEZNS1_25segmented_radix_sort_implIS3_Lb1EPKbPbPKlPlN2at6native12_GLOBAL__N_18offset_tEEE10hipError_tPvRmT1_PNSt15iterator_traitsISK_E10value_typeET2_T3_PNSL_ISQ_E10value_typeET4_jRbjT5_SW_jjP12ihipStream_tbEUlT_E_NS1_11comp_targetILNS1_3genE4ELNS1_11target_archE910ELNS1_3gpuE8ELNS1_3repE0EEENS1_30default_config_static_selectorELNS0_4arch9wavefront6targetE1EEEvSK_.num_named_barrier, 0
	.set _ZN7rocprim17ROCPRIM_400000_NS6detail17trampoline_kernelINS0_14default_configENS1_36segmented_radix_sort_config_selectorIblEEZNS1_25segmented_radix_sort_implIS3_Lb1EPKbPbPKlPlN2at6native12_GLOBAL__N_18offset_tEEE10hipError_tPvRmT1_PNSt15iterator_traitsISK_E10value_typeET2_T3_PNSL_ISQ_E10value_typeET4_jRbjT5_SW_jjP12ihipStream_tbEUlT_E_NS1_11comp_targetILNS1_3genE4ELNS1_11target_archE910ELNS1_3gpuE8ELNS1_3repE0EEENS1_30default_config_static_selectorELNS0_4arch9wavefront6targetE1EEEvSK_.private_seg_size, 0
	.set _ZN7rocprim17ROCPRIM_400000_NS6detail17trampoline_kernelINS0_14default_configENS1_36segmented_radix_sort_config_selectorIblEEZNS1_25segmented_radix_sort_implIS3_Lb1EPKbPbPKlPlN2at6native12_GLOBAL__N_18offset_tEEE10hipError_tPvRmT1_PNSt15iterator_traitsISK_E10value_typeET2_T3_PNSL_ISQ_E10value_typeET4_jRbjT5_SW_jjP12ihipStream_tbEUlT_E_NS1_11comp_targetILNS1_3genE4ELNS1_11target_archE910ELNS1_3gpuE8ELNS1_3repE0EEENS1_30default_config_static_selectorELNS0_4arch9wavefront6targetE1EEEvSK_.uses_vcc, 0
	.set _ZN7rocprim17ROCPRIM_400000_NS6detail17trampoline_kernelINS0_14default_configENS1_36segmented_radix_sort_config_selectorIblEEZNS1_25segmented_radix_sort_implIS3_Lb1EPKbPbPKlPlN2at6native12_GLOBAL__N_18offset_tEEE10hipError_tPvRmT1_PNSt15iterator_traitsISK_E10value_typeET2_T3_PNSL_ISQ_E10value_typeET4_jRbjT5_SW_jjP12ihipStream_tbEUlT_E_NS1_11comp_targetILNS1_3genE4ELNS1_11target_archE910ELNS1_3gpuE8ELNS1_3repE0EEENS1_30default_config_static_selectorELNS0_4arch9wavefront6targetE1EEEvSK_.uses_flat_scratch, 0
	.set _ZN7rocprim17ROCPRIM_400000_NS6detail17trampoline_kernelINS0_14default_configENS1_36segmented_radix_sort_config_selectorIblEEZNS1_25segmented_radix_sort_implIS3_Lb1EPKbPbPKlPlN2at6native12_GLOBAL__N_18offset_tEEE10hipError_tPvRmT1_PNSt15iterator_traitsISK_E10value_typeET2_T3_PNSL_ISQ_E10value_typeET4_jRbjT5_SW_jjP12ihipStream_tbEUlT_E_NS1_11comp_targetILNS1_3genE4ELNS1_11target_archE910ELNS1_3gpuE8ELNS1_3repE0EEENS1_30default_config_static_selectorELNS0_4arch9wavefront6targetE1EEEvSK_.has_dyn_sized_stack, 0
	.set _ZN7rocprim17ROCPRIM_400000_NS6detail17trampoline_kernelINS0_14default_configENS1_36segmented_radix_sort_config_selectorIblEEZNS1_25segmented_radix_sort_implIS3_Lb1EPKbPbPKlPlN2at6native12_GLOBAL__N_18offset_tEEE10hipError_tPvRmT1_PNSt15iterator_traitsISK_E10value_typeET2_T3_PNSL_ISQ_E10value_typeET4_jRbjT5_SW_jjP12ihipStream_tbEUlT_E_NS1_11comp_targetILNS1_3genE4ELNS1_11target_archE910ELNS1_3gpuE8ELNS1_3repE0EEENS1_30default_config_static_selectorELNS0_4arch9wavefront6targetE1EEEvSK_.has_recursion, 0
	.set _ZN7rocprim17ROCPRIM_400000_NS6detail17trampoline_kernelINS0_14default_configENS1_36segmented_radix_sort_config_selectorIblEEZNS1_25segmented_radix_sort_implIS3_Lb1EPKbPbPKlPlN2at6native12_GLOBAL__N_18offset_tEEE10hipError_tPvRmT1_PNSt15iterator_traitsISK_E10value_typeET2_T3_PNSL_ISQ_E10value_typeET4_jRbjT5_SW_jjP12ihipStream_tbEUlT_E_NS1_11comp_targetILNS1_3genE4ELNS1_11target_archE910ELNS1_3gpuE8ELNS1_3repE0EEENS1_30default_config_static_selectorELNS0_4arch9wavefront6targetE1EEEvSK_.has_indirect_call, 0
	.section	.AMDGPU.csdata,"",@progbits
; Kernel info:
; codeLenInByte = 0
; TotalNumSgprs: 4
; NumVgprs: 0
; ScratchSize: 0
; MemoryBound: 0
; FloatMode: 240
; IeeeMode: 1
; LDSByteSize: 0 bytes/workgroup (compile time only)
; SGPRBlocks: 0
; VGPRBlocks: 0
; NumSGPRsForWavesPerEU: 4
; NumVGPRsForWavesPerEU: 1
; Occupancy: 10
; WaveLimiterHint : 0
; COMPUTE_PGM_RSRC2:SCRATCH_EN: 0
; COMPUTE_PGM_RSRC2:USER_SGPR: 6
; COMPUTE_PGM_RSRC2:TRAP_HANDLER: 0
; COMPUTE_PGM_RSRC2:TGID_X_EN: 1
; COMPUTE_PGM_RSRC2:TGID_Y_EN: 0
; COMPUTE_PGM_RSRC2:TGID_Z_EN: 0
; COMPUTE_PGM_RSRC2:TIDIG_COMP_CNT: 0
	.section	.text._ZN7rocprim17ROCPRIM_400000_NS6detail17trampoline_kernelINS0_14default_configENS1_36segmented_radix_sort_config_selectorIblEEZNS1_25segmented_radix_sort_implIS3_Lb1EPKbPbPKlPlN2at6native12_GLOBAL__N_18offset_tEEE10hipError_tPvRmT1_PNSt15iterator_traitsISK_E10value_typeET2_T3_PNSL_ISQ_E10value_typeET4_jRbjT5_SW_jjP12ihipStream_tbEUlT_E_NS1_11comp_targetILNS1_3genE3ELNS1_11target_archE908ELNS1_3gpuE7ELNS1_3repE0EEENS1_30default_config_static_selectorELNS0_4arch9wavefront6targetE1EEEvSK_,"axG",@progbits,_ZN7rocprim17ROCPRIM_400000_NS6detail17trampoline_kernelINS0_14default_configENS1_36segmented_radix_sort_config_selectorIblEEZNS1_25segmented_radix_sort_implIS3_Lb1EPKbPbPKlPlN2at6native12_GLOBAL__N_18offset_tEEE10hipError_tPvRmT1_PNSt15iterator_traitsISK_E10value_typeET2_T3_PNSL_ISQ_E10value_typeET4_jRbjT5_SW_jjP12ihipStream_tbEUlT_E_NS1_11comp_targetILNS1_3genE3ELNS1_11target_archE908ELNS1_3gpuE7ELNS1_3repE0EEENS1_30default_config_static_selectorELNS0_4arch9wavefront6targetE1EEEvSK_,comdat
	.globl	_ZN7rocprim17ROCPRIM_400000_NS6detail17trampoline_kernelINS0_14default_configENS1_36segmented_radix_sort_config_selectorIblEEZNS1_25segmented_radix_sort_implIS3_Lb1EPKbPbPKlPlN2at6native12_GLOBAL__N_18offset_tEEE10hipError_tPvRmT1_PNSt15iterator_traitsISK_E10value_typeET2_T3_PNSL_ISQ_E10value_typeET4_jRbjT5_SW_jjP12ihipStream_tbEUlT_E_NS1_11comp_targetILNS1_3genE3ELNS1_11target_archE908ELNS1_3gpuE7ELNS1_3repE0EEENS1_30default_config_static_selectorELNS0_4arch9wavefront6targetE1EEEvSK_ ; -- Begin function _ZN7rocprim17ROCPRIM_400000_NS6detail17trampoline_kernelINS0_14default_configENS1_36segmented_radix_sort_config_selectorIblEEZNS1_25segmented_radix_sort_implIS3_Lb1EPKbPbPKlPlN2at6native12_GLOBAL__N_18offset_tEEE10hipError_tPvRmT1_PNSt15iterator_traitsISK_E10value_typeET2_T3_PNSL_ISQ_E10value_typeET4_jRbjT5_SW_jjP12ihipStream_tbEUlT_E_NS1_11comp_targetILNS1_3genE3ELNS1_11target_archE908ELNS1_3gpuE7ELNS1_3repE0EEENS1_30default_config_static_selectorELNS0_4arch9wavefront6targetE1EEEvSK_
	.p2align	8
	.type	_ZN7rocprim17ROCPRIM_400000_NS6detail17trampoline_kernelINS0_14default_configENS1_36segmented_radix_sort_config_selectorIblEEZNS1_25segmented_radix_sort_implIS3_Lb1EPKbPbPKlPlN2at6native12_GLOBAL__N_18offset_tEEE10hipError_tPvRmT1_PNSt15iterator_traitsISK_E10value_typeET2_T3_PNSL_ISQ_E10value_typeET4_jRbjT5_SW_jjP12ihipStream_tbEUlT_E_NS1_11comp_targetILNS1_3genE3ELNS1_11target_archE908ELNS1_3gpuE7ELNS1_3repE0EEENS1_30default_config_static_selectorELNS0_4arch9wavefront6targetE1EEEvSK_,@function
_ZN7rocprim17ROCPRIM_400000_NS6detail17trampoline_kernelINS0_14default_configENS1_36segmented_radix_sort_config_selectorIblEEZNS1_25segmented_radix_sort_implIS3_Lb1EPKbPbPKlPlN2at6native12_GLOBAL__N_18offset_tEEE10hipError_tPvRmT1_PNSt15iterator_traitsISK_E10value_typeET2_T3_PNSL_ISQ_E10value_typeET4_jRbjT5_SW_jjP12ihipStream_tbEUlT_E_NS1_11comp_targetILNS1_3genE3ELNS1_11target_archE908ELNS1_3gpuE7ELNS1_3repE0EEENS1_30default_config_static_selectorELNS0_4arch9wavefront6targetE1EEEvSK_: ; @_ZN7rocprim17ROCPRIM_400000_NS6detail17trampoline_kernelINS0_14default_configENS1_36segmented_radix_sort_config_selectorIblEEZNS1_25segmented_radix_sort_implIS3_Lb1EPKbPbPKlPlN2at6native12_GLOBAL__N_18offset_tEEE10hipError_tPvRmT1_PNSt15iterator_traitsISK_E10value_typeET2_T3_PNSL_ISQ_E10value_typeET4_jRbjT5_SW_jjP12ihipStream_tbEUlT_E_NS1_11comp_targetILNS1_3genE3ELNS1_11target_archE908ELNS1_3gpuE7ELNS1_3repE0EEENS1_30default_config_static_selectorELNS0_4arch9wavefront6targetE1EEEvSK_
; %bb.0:
	.section	.rodata,"a",@progbits
	.p2align	6, 0x0
	.amdhsa_kernel _ZN7rocprim17ROCPRIM_400000_NS6detail17trampoline_kernelINS0_14default_configENS1_36segmented_radix_sort_config_selectorIblEEZNS1_25segmented_radix_sort_implIS3_Lb1EPKbPbPKlPlN2at6native12_GLOBAL__N_18offset_tEEE10hipError_tPvRmT1_PNSt15iterator_traitsISK_E10value_typeET2_T3_PNSL_ISQ_E10value_typeET4_jRbjT5_SW_jjP12ihipStream_tbEUlT_E_NS1_11comp_targetILNS1_3genE3ELNS1_11target_archE908ELNS1_3gpuE7ELNS1_3repE0EEENS1_30default_config_static_selectorELNS0_4arch9wavefront6targetE1EEEvSK_
		.amdhsa_group_segment_fixed_size 0
		.amdhsa_private_segment_fixed_size 0
		.amdhsa_kernarg_size 96
		.amdhsa_user_sgpr_count 6
		.amdhsa_user_sgpr_private_segment_buffer 1
		.amdhsa_user_sgpr_dispatch_ptr 0
		.amdhsa_user_sgpr_queue_ptr 0
		.amdhsa_user_sgpr_kernarg_segment_ptr 1
		.amdhsa_user_sgpr_dispatch_id 0
		.amdhsa_user_sgpr_flat_scratch_init 0
		.amdhsa_user_sgpr_private_segment_size 0
		.amdhsa_uses_dynamic_stack 0
		.amdhsa_system_sgpr_private_segment_wavefront_offset 0
		.amdhsa_system_sgpr_workgroup_id_x 1
		.amdhsa_system_sgpr_workgroup_id_y 0
		.amdhsa_system_sgpr_workgroup_id_z 0
		.amdhsa_system_sgpr_workgroup_info 0
		.amdhsa_system_vgpr_workitem_id 0
		.amdhsa_next_free_vgpr 1
		.amdhsa_next_free_sgpr 0
		.amdhsa_reserve_vcc 0
		.amdhsa_reserve_flat_scratch 0
		.amdhsa_float_round_mode_32 0
		.amdhsa_float_round_mode_16_64 0
		.amdhsa_float_denorm_mode_32 3
		.amdhsa_float_denorm_mode_16_64 3
		.amdhsa_dx10_clamp 1
		.amdhsa_ieee_mode 1
		.amdhsa_fp16_overflow 0
		.amdhsa_exception_fp_ieee_invalid_op 0
		.amdhsa_exception_fp_denorm_src 0
		.amdhsa_exception_fp_ieee_div_zero 0
		.amdhsa_exception_fp_ieee_overflow 0
		.amdhsa_exception_fp_ieee_underflow 0
		.amdhsa_exception_fp_ieee_inexact 0
		.amdhsa_exception_int_div_zero 0
	.end_amdhsa_kernel
	.section	.text._ZN7rocprim17ROCPRIM_400000_NS6detail17trampoline_kernelINS0_14default_configENS1_36segmented_radix_sort_config_selectorIblEEZNS1_25segmented_radix_sort_implIS3_Lb1EPKbPbPKlPlN2at6native12_GLOBAL__N_18offset_tEEE10hipError_tPvRmT1_PNSt15iterator_traitsISK_E10value_typeET2_T3_PNSL_ISQ_E10value_typeET4_jRbjT5_SW_jjP12ihipStream_tbEUlT_E_NS1_11comp_targetILNS1_3genE3ELNS1_11target_archE908ELNS1_3gpuE7ELNS1_3repE0EEENS1_30default_config_static_selectorELNS0_4arch9wavefront6targetE1EEEvSK_,"axG",@progbits,_ZN7rocprim17ROCPRIM_400000_NS6detail17trampoline_kernelINS0_14default_configENS1_36segmented_radix_sort_config_selectorIblEEZNS1_25segmented_radix_sort_implIS3_Lb1EPKbPbPKlPlN2at6native12_GLOBAL__N_18offset_tEEE10hipError_tPvRmT1_PNSt15iterator_traitsISK_E10value_typeET2_T3_PNSL_ISQ_E10value_typeET4_jRbjT5_SW_jjP12ihipStream_tbEUlT_E_NS1_11comp_targetILNS1_3genE3ELNS1_11target_archE908ELNS1_3gpuE7ELNS1_3repE0EEENS1_30default_config_static_selectorELNS0_4arch9wavefront6targetE1EEEvSK_,comdat
.Lfunc_end1535:
	.size	_ZN7rocprim17ROCPRIM_400000_NS6detail17trampoline_kernelINS0_14default_configENS1_36segmented_radix_sort_config_selectorIblEEZNS1_25segmented_radix_sort_implIS3_Lb1EPKbPbPKlPlN2at6native12_GLOBAL__N_18offset_tEEE10hipError_tPvRmT1_PNSt15iterator_traitsISK_E10value_typeET2_T3_PNSL_ISQ_E10value_typeET4_jRbjT5_SW_jjP12ihipStream_tbEUlT_E_NS1_11comp_targetILNS1_3genE3ELNS1_11target_archE908ELNS1_3gpuE7ELNS1_3repE0EEENS1_30default_config_static_selectorELNS0_4arch9wavefront6targetE1EEEvSK_, .Lfunc_end1535-_ZN7rocprim17ROCPRIM_400000_NS6detail17trampoline_kernelINS0_14default_configENS1_36segmented_radix_sort_config_selectorIblEEZNS1_25segmented_radix_sort_implIS3_Lb1EPKbPbPKlPlN2at6native12_GLOBAL__N_18offset_tEEE10hipError_tPvRmT1_PNSt15iterator_traitsISK_E10value_typeET2_T3_PNSL_ISQ_E10value_typeET4_jRbjT5_SW_jjP12ihipStream_tbEUlT_E_NS1_11comp_targetILNS1_3genE3ELNS1_11target_archE908ELNS1_3gpuE7ELNS1_3repE0EEENS1_30default_config_static_selectorELNS0_4arch9wavefront6targetE1EEEvSK_
                                        ; -- End function
	.set _ZN7rocprim17ROCPRIM_400000_NS6detail17trampoline_kernelINS0_14default_configENS1_36segmented_radix_sort_config_selectorIblEEZNS1_25segmented_radix_sort_implIS3_Lb1EPKbPbPKlPlN2at6native12_GLOBAL__N_18offset_tEEE10hipError_tPvRmT1_PNSt15iterator_traitsISK_E10value_typeET2_T3_PNSL_ISQ_E10value_typeET4_jRbjT5_SW_jjP12ihipStream_tbEUlT_E_NS1_11comp_targetILNS1_3genE3ELNS1_11target_archE908ELNS1_3gpuE7ELNS1_3repE0EEENS1_30default_config_static_selectorELNS0_4arch9wavefront6targetE1EEEvSK_.num_vgpr, 0
	.set _ZN7rocprim17ROCPRIM_400000_NS6detail17trampoline_kernelINS0_14default_configENS1_36segmented_radix_sort_config_selectorIblEEZNS1_25segmented_radix_sort_implIS3_Lb1EPKbPbPKlPlN2at6native12_GLOBAL__N_18offset_tEEE10hipError_tPvRmT1_PNSt15iterator_traitsISK_E10value_typeET2_T3_PNSL_ISQ_E10value_typeET4_jRbjT5_SW_jjP12ihipStream_tbEUlT_E_NS1_11comp_targetILNS1_3genE3ELNS1_11target_archE908ELNS1_3gpuE7ELNS1_3repE0EEENS1_30default_config_static_selectorELNS0_4arch9wavefront6targetE1EEEvSK_.num_agpr, 0
	.set _ZN7rocprim17ROCPRIM_400000_NS6detail17trampoline_kernelINS0_14default_configENS1_36segmented_radix_sort_config_selectorIblEEZNS1_25segmented_radix_sort_implIS3_Lb1EPKbPbPKlPlN2at6native12_GLOBAL__N_18offset_tEEE10hipError_tPvRmT1_PNSt15iterator_traitsISK_E10value_typeET2_T3_PNSL_ISQ_E10value_typeET4_jRbjT5_SW_jjP12ihipStream_tbEUlT_E_NS1_11comp_targetILNS1_3genE3ELNS1_11target_archE908ELNS1_3gpuE7ELNS1_3repE0EEENS1_30default_config_static_selectorELNS0_4arch9wavefront6targetE1EEEvSK_.numbered_sgpr, 0
	.set _ZN7rocprim17ROCPRIM_400000_NS6detail17trampoline_kernelINS0_14default_configENS1_36segmented_radix_sort_config_selectorIblEEZNS1_25segmented_radix_sort_implIS3_Lb1EPKbPbPKlPlN2at6native12_GLOBAL__N_18offset_tEEE10hipError_tPvRmT1_PNSt15iterator_traitsISK_E10value_typeET2_T3_PNSL_ISQ_E10value_typeET4_jRbjT5_SW_jjP12ihipStream_tbEUlT_E_NS1_11comp_targetILNS1_3genE3ELNS1_11target_archE908ELNS1_3gpuE7ELNS1_3repE0EEENS1_30default_config_static_selectorELNS0_4arch9wavefront6targetE1EEEvSK_.num_named_barrier, 0
	.set _ZN7rocprim17ROCPRIM_400000_NS6detail17trampoline_kernelINS0_14default_configENS1_36segmented_radix_sort_config_selectorIblEEZNS1_25segmented_radix_sort_implIS3_Lb1EPKbPbPKlPlN2at6native12_GLOBAL__N_18offset_tEEE10hipError_tPvRmT1_PNSt15iterator_traitsISK_E10value_typeET2_T3_PNSL_ISQ_E10value_typeET4_jRbjT5_SW_jjP12ihipStream_tbEUlT_E_NS1_11comp_targetILNS1_3genE3ELNS1_11target_archE908ELNS1_3gpuE7ELNS1_3repE0EEENS1_30default_config_static_selectorELNS0_4arch9wavefront6targetE1EEEvSK_.private_seg_size, 0
	.set _ZN7rocprim17ROCPRIM_400000_NS6detail17trampoline_kernelINS0_14default_configENS1_36segmented_radix_sort_config_selectorIblEEZNS1_25segmented_radix_sort_implIS3_Lb1EPKbPbPKlPlN2at6native12_GLOBAL__N_18offset_tEEE10hipError_tPvRmT1_PNSt15iterator_traitsISK_E10value_typeET2_T3_PNSL_ISQ_E10value_typeET4_jRbjT5_SW_jjP12ihipStream_tbEUlT_E_NS1_11comp_targetILNS1_3genE3ELNS1_11target_archE908ELNS1_3gpuE7ELNS1_3repE0EEENS1_30default_config_static_selectorELNS0_4arch9wavefront6targetE1EEEvSK_.uses_vcc, 0
	.set _ZN7rocprim17ROCPRIM_400000_NS6detail17trampoline_kernelINS0_14default_configENS1_36segmented_radix_sort_config_selectorIblEEZNS1_25segmented_radix_sort_implIS3_Lb1EPKbPbPKlPlN2at6native12_GLOBAL__N_18offset_tEEE10hipError_tPvRmT1_PNSt15iterator_traitsISK_E10value_typeET2_T3_PNSL_ISQ_E10value_typeET4_jRbjT5_SW_jjP12ihipStream_tbEUlT_E_NS1_11comp_targetILNS1_3genE3ELNS1_11target_archE908ELNS1_3gpuE7ELNS1_3repE0EEENS1_30default_config_static_selectorELNS0_4arch9wavefront6targetE1EEEvSK_.uses_flat_scratch, 0
	.set _ZN7rocprim17ROCPRIM_400000_NS6detail17trampoline_kernelINS0_14default_configENS1_36segmented_radix_sort_config_selectorIblEEZNS1_25segmented_radix_sort_implIS3_Lb1EPKbPbPKlPlN2at6native12_GLOBAL__N_18offset_tEEE10hipError_tPvRmT1_PNSt15iterator_traitsISK_E10value_typeET2_T3_PNSL_ISQ_E10value_typeET4_jRbjT5_SW_jjP12ihipStream_tbEUlT_E_NS1_11comp_targetILNS1_3genE3ELNS1_11target_archE908ELNS1_3gpuE7ELNS1_3repE0EEENS1_30default_config_static_selectorELNS0_4arch9wavefront6targetE1EEEvSK_.has_dyn_sized_stack, 0
	.set _ZN7rocprim17ROCPRIM_400000_NS6detail17trampoline_kernelINS0_14default_configENS1_36segmented_radix_sort_config_selectorIblEEZNS1_25segmented_radix_sort_implIS3_Lb1EPKbPbPKlPlN2at6native12_GLOBAL__N_18offset_tEEE10hipError_tPvRmT1_PNSt15iterator_traitsISK_E10value_typeET2_T3_PNSL_ISQ_E10value_typeET4_jRbjT5_SW_jjP12ihipStream_tbEUlT_E_NS1_11comp_targetILNS1_3genE3ELNS1_11target_archE908ELNS1_3gpuE7ELNS1_3repE0EEENS1_30default_config_static_selectorELNS0_4arch9wavefront6targetE1EEEvSK_.has_recursion, 0
	.set _ZN7rocprim17ROCPRIM_400000_NS6detail17trampoline_kernelINS0_14default_configENS1_36segmented_radix_sort_config_selectorIblEEZNS1_25segmented_radix_sort_implIS3_Lb1EPKbPbPKlPlN2at6native12_GLOBAL__N_18offset_tEEE10hipError_tPvRmT1_PNSt15iterator_traitsISK_E10value_typeET2_T3_PNSL_ISQ_E10value_typeET4_jRbjT5_SW_jjP12ihipStream_tbEUlT_E_NS1_11comp_targetILNS1_3genE3ELNS1_11target_archE908ELNS1_3gpuE7ELNS1_3repE0EEENS1_30default_config_static_selectorELNS0_4arch9wavefront6targetE1EEEvSK_.has_indirect_call, 0
	.section	.AMDGPU.csdata,"",@progbits
; Kernel info:
; codeLenInByte = 0
; TotalNumSgprs: 4
; NumVgprs: 0
; ScratchSize: 0
; MemoryBound: 0
; FloatMode: 240
; IeeeMode: 1
; LDSByteSize: 0 bytes/workgroup (compile time only)
; SGPRBlocks: 0
; VGPRBlocks: 0
; NumSGPRsForWavesPerEU: 4
; NumVGPRsForWavesPerEU: 1
; Occupancy: 10
; WaveLimiterHint : 0
; COMPUTE_PGM_RSRC2:SCRATCH_EN: 0
; COMPUTE_PGM_RSRC2:USER_SGPR: 6
; COMPUTE_PGM_RSRC2:TRAP_HANDLER: 0
; COMPUTE_PGM_RSRC2:TGID_X_EN: 1
; COMPUTE_PGM_RSRC2:TGID_Y_EN: 0
; COMPUTE_PGM_RSRC2:TGID_Z_EN: 0
; COMPUTE_PGM_RSRC2:TIDIG_COMP_CNT: 0
	.text
	.p2align	2                               ; -- Begin function _ZN7rocprim17ROCPRIM_400000_NS6detail40segmented_radix_sort_single_block_helperIblLj256ELj4ELb1EE4sortIPKbPbPKlPlEEbT_T0_T1_T2_jjjjRNS3_12storage_typeE
	.type	_ZN7rocprim17ROCPRIM_400000_NS6detail40segmented_radix_sort_single_block_helperIblLj256ELj4ELb1EE4sortIPKbPbPKlPlEEbT_T0_T1_T2_jjjjRNS3_12storage_typeE,@function
_ZN7rocprim17ROCPRIM_400000_NS6detail40segmented_radix_sort_single_block_helperIblLj256ELj4ELb1EE4sortIPKbPbPKlPlEEbT_T0_T1_T2_jjjjRNS3_12storage_typeE: ; @_ZN7rocprim17ROCPRIM_400000_NS6detail40segmented_radix_sort_single_block_helperIblLj256ELj4ELb1EE4sortIPKbPbPKlPlEEbT_T0_T1_T2_jjjjRNS3_12storage_typeE
; %bb.0:
	s_waitcnt vmcnt(0) expcnt(0) lgkmcnt(0)
	v_sub_u32_e32 v48, v9, v8
	s_movk_i32 s4, 0x401
	v_cmp_gt_u32_e32 vcc, s4, v48
	s_and_saveexec_b64 s[46:47], vcc
	s_cbranch_execz .LBB1536_106
; %bb.1:
	s_movk_i32 s4, 0x200
	v_cmp_lt_u32_e32 vcc, s4, v48
	v_bfe_u32 v15, v31, 10, 10
	v_bfe_u32 v18, v31, 20, 10
	v_mbcnt_lo_u32_b32 v17, -1, 0
	s_and_saveexec_b64 s[4:5], vcc
	s_xor_b64 s[56:57], exec, s[4:5]
	s_cbranch_execz .LBB1536_47
; %bb.2:
	s_load_dwordx2 s[4:5], s[8:9], 0x0
	v_mov_b32_e32 v9, 0
	v_and_b32_e32 v14, 0x3ff, v31
	v_add_co_u32_e32 v25, vcc, v0, v8
	s_waitcnt lgkmcnt(0)
	s_cmp_lt_u32 s13, s5
	s_cselect_b32 s5, 14, 20
	s_add_u32 s6, s8, s5
	s_addc_u32 s7, s9, 0
	s_cmp_lt_u32 s12, s4
	s_cselect_b32 s4, 12, 18
	s_add_u32 s4, s8, s4
	global_load_ushort v23, v9, s[6:7]
	s_addc_u32 s5, s9, 0
	global_load_ushort v24, v9, s[4:5]
	v_addc_co_u32_e32 v26, vcc, 0, v1, vcc
	v_mbcnt_hi_u32_b32 v20, -1, v17
	v_and_b32_e32 v19, 63, v20
	v_mov_b32_e32 v16, v9
	v_mov_b32_e32 v21, v9
	;; [unrolled: 1-line block ×3, first 2 shown]
	s_waitcnt vmcnt(1)
	v_mad_u32_u24 v0, v18, v23, v15
	s_waitcnt vmcnt(0)
	v_mad_u64_u32 v[0:1], s[4:5], v0, v24, v[14:15]
	v_add_co_u32_e32 v1, vcc, v25, v19
	v_lshlrev_b32_e32 v15, 2, v0
	v_addc_co_u32_e32 v18, vcc, 0, v26, vcc
	v_and_b32_e32 v15, 0xffffff00, v15
	v_add_co_u32_e32 v17, vcc, v1, v15
	v_addc_co_u32_e32 v18, vcc, 0, v18, vcc
	v_or_b32_e32 v23, v15, v19
	v_cmp_lt_u32_e32 vcc, v23, v48
	v_mov_b32_e32 v1, v9
	s_and_saveexec_b64 s[4:5], vcc
	s_cbranch_execz .LBB1536_4
; %bb.3:
	flat_load_ubyte v21, v[17:18]
	v_mov_b32_e32 v22, v9
	v_mov_b32_e32 v1, v9
.LBB1536_4:
	s_or_b64 exec, exec, s[4:5]
	v_or_b32_e32 v24, 64, v23
	v_cmp_lt_u32_e64 s[4:5], v24, v48
	v_mov_b32_e32 v31, v9
	s_and_saveexec_b64 s[6:7], s[4:5]
	s_cbranch_execz .LBB1536_6
; %bb.5:
	flat_load_ubyte v31, v[17:18] offset:64
.LBB1536_6:
	s_or_b64 exec, exec, s[6:7]
	v_or_b32_e32 v24, 0x80, v23
	v_cmp_lt_u32_e64 s[6:7], v24, v48
	s_and_saveexec_b64 s[10:11], s[6:7]
	s_cbranch_execz .LBB1536_8
; %bb.7:
	flat_load_ubyte v22, v[17:18] offset:128
.LBB1536_8:
	s_or_b64 exec, exec, s[10:11]
	v_or_b32_e32 v23, 0xc0, v23
	v_cmp_lt_u32_e64 s[10:11], v23, v48
	s_and_saveexec_b64 s[14:15], s[10:11]
	s_cbranch_execz .LBB1536_10
; %bb.9:
	flat_load_ubyte v1, v[17:18] offset:192
.LBB1536_10:
	s_or_b64 exec, exec, s[14:15]
	v_lshlrev_b64 v[17:18], 3, v[8:9]
	v_lshlrev_b32_e32 v9, 3, v19
	v_add_co_u32_e64 v4, s[14:15], v4, v17
	v_addc_co_u32_e64 v5, s[14:15], v5, v18, s[14:15]
	v_add_co_u32_e64 v9, s[14:15], v4, v9
	v_addc_co_u32_e64 v23, s[14:15], 0, v5, s[14:15]
	v_lshlrev_b64 v[4:5], 3, v[15:16]
	v_add_co_u32_e64 v4, s[14:15], v9, v4
	v_addc_co_u32_e64 v5, s[14:15], v23, v5, s[14:15]
                                        ; implicit-def: $vgpr23_vgpr24
	s_and_saveexec_b64 s[14:15], vcc
	s_cbranch_execnz .LBB1536_71
; %bb.11:
	s_or_b64 exec, exec, s[14:15]
                                        ; implicit-def: $vgpr25_vgpr26
	s_and_saveexec_b64 s[14:15], s[4:5]
	s_cbranch_execnz .LBB1536_72
.LBB1536_12:
	s_or_b64 exec, exec, s[14:15]
                                        ; implicit-def: $vgpr27_vgpr28
	s_and_saveexec_b64 s[4:5], s[6:7]
	s_cbranch_execnz .LBB1536_73
.LBB1536_13:
	s_or_b64 exec, exec, s[4:5]
                                        ; implicit-def: $vgpr29_vgpr30
	s_and_saveexec_b64 s[4:5], s[10:11]
	s_cbranch_execz .LBB1536_15
.LBB1536_14:
	flat_load_dwordx2 v[29:30], v[4:5] offset:1536
.LBB1536_15:
	s_or_b64 exec, exec, s[4:5]
	s_waitcnt vmcnt(0) lgkmcnt(0)
	v_and_b32_e32 v1, 1, v1
	v_cmp_eq_u32_e32 vcc, 1, v1
	v_and_b32_e32 v1, 1, v22
	v_cmp_eq_u32_e64 s[4:5], 1, v1
	v_and_b32_e32 v1, 1, v31
	v_cmp_eq_u32_e64 s[6:7], 1, v1
	;; [unrolled: 2-line block ×3, first 2 shown]
	s_xor_b64 s[6:7], s[6:7], -1
	s_xor_b64 s[4:5], s[4:5], -1
	;; [unrolled: 1-line block ×3, first 2 shown]
	v_cndmask_b32_e64 v4, 0, 1, s[6:7]
	v_cndmask_b32_e64 v5, 0, 1, s[4:5]
	s_xor_b64 s[4:5], vcc, -1
	v_cndmask_b32_e64 v1, 0, 1, s[10:11]
	v_cndmask_b32_e64 v9, 0, 1, s[4:5]
	v_lshlrev_b16_e32 v4, 8, v4
	v_or_b32_e32 v1, v1, v4
	v_lshlrev_b16_e32 v4, 8, v9
	v_or_b32_sdwa v4, v5, v4 dst_sel:WORD_1 dst_unused:UNUSED_PAD src0_sel:DWORD src1_sel:DWORD
	v_lshl_add_u32 v5, v14, 4, v12
	v_or_b32_sdwa v52, v1, v4 dst_sel:DWORD dst_unused:UNUSED_PAD src0_sel:WORD_0 src1_sel:DWORD
	s_getpc_b64 s[4:5]
	s_add_u32 s4, s4, _ZN7rocprim17ROCPRIM_400000_NS16block_radix_sortIbLj256ELj4ElLj1ELj1ELj8ELNS0_26block_radix_rank_algorithmE2ELNS0_18block_padding_hintE2ELNS0_4arch9wavefront6targetE1EE19radix_bits_per_passE@rel32@lo+4
	s_addc_u32 s5, s5, _ZN7rocprim17ROCPRIM_400000_NS16block_radix_sortIbLj256ELj4ElLj1ELj1ELj8ELNS0_26block_radix_rank_algorithmE2ELNS0_18block_padding_hintE2ELNS0_4arch9wavefront6targetE1EE19radix_bits_per_passE@rel32@hi+12
	v_add_u32_e32 v1, 16, v5
	v_add_u32_e32 v9, 20, v5
	;; [unrolled: 1-line block ×4, first 2 shown]
	v_and_b32_e32 v5, 15, v20
	s_load_dword s62, s[4:5], 0x0
	v_cmp_eq_u32_e32 vcc, 0, v5
	v_cmp_lt_u32_e64 s[4:5], 1, v5
	v_cmp_lt_u32_e64 s[6:7], 3, v5
	;; [unrolled: 1-line block ×3, first 2 shown]
	v_and_b32_e32 v5, 16, v20
	v_cmp_eq_u32_e64 s[40:41], 0, v5
	v_and_b32_e32 v5, 0x3c0, v14
	v_min_u32_e32 v5, 0xc0, v5
	v_or_b32_e32 v5, 63, v5
	v_cmp_eq_u32_e64 s[16:17], v14, v5
	v_subrev_co_u32_e64 v5, s[22:23], 1, v20
	v_and_b32_e32 v15, 64, v20
	v_cmp_lt_i32_e64 s[24:25], v5, v15
	v_lshlrev_b32_e32 v4, 2, v14
	v_cndmask_b32_e64 v5, v5, v20, s[24:25]
	s_movk_i32 s42, 0xf00
	v_lshlrev_b32_e32 v53, 2, v5
	v_lshrrev_b32_e32 v5, 4, v14
	v_add_u32_e32 v64, v12, v4
	v_and_or_b32 v4, v4, s42, v19
	v_and_b32_e32 v5, 60, v5
	v_add_u32_e32 v65, v12, v4
	v_mul_u32_u24_e32 v4, 7, v4
	v_add_u32_e32 v54, v12, v5
	v_and_b32_e32 v5, 3, v20
	v_add_u32_e32 v69, v65, v4
	v_lshrrev_b32_e32 v51, 6, v0
	v_cmp_lt_u32_e64 s[14:15], 31, v20
	v_cmp_gt_u32_e64 s[18:19], 4, v14
	v_cmp_lt_u32_e64 s[20:21], 63, v14
	v_cmp_eq_u32_e64 s[24:25], 0, v14
	v_mov_b32_e32 v55, 0
	v_cmp_eq_u32_e64 s[26:27], 0, v5
	v_cmp_lt_u32_e64 s[28:29], 1, v5
	v_add_u32_e32 v66, 64, v65
	v_add_u32_e32 v67, 0x80, v65
	;; [unrolled: 1-line block ×6, first 2 shown]
	v_sub_u32_e32 v81, v11, v10
	s_mov_b64 s[58:59], 0
	s_mov_b32 s63, 0xc0c0004
	s_waitcnt lgkmcnt(0)
	s_barrier
	s_branch .LBB1536_17
.LBB1536_16:                            ;   in Loop: Header=BB1536_17 Depth=1
	s_or_b64 exec, exec, s[44:45]
	s_and_b64 s[42:43], exec, s[60:61]
	s_or_b64 s[58:59], s[42:43], s[58:59]
	s_andn2_b64 exec, exec, s[58:59]
	s_cbranch_execz .LBB1536_33
.LBB1536_17:                            ; =>This Inner Loop Header: Depth=1
	v_mov_b32_e32 v21, v23
	v_mov_b32_e32 v22, v24
	v_min_u32_e32 v23, s62, v81
	v_lshlrev_b32_e64 v23, v23, -1
	v_not_b32_e32 v33, v23
	v_lshrrev_b32_sdwa v23, v10, v52 dst_sel:DWORD dst_unused:UNUSED_PAD src0_sel:DWORD src1_sel:BYTE_0
	v_and_b32_e32 v23, v23, v33
	v_lshlrev_b32_e32 v24, 2, v23
	v_add_lshl_u32 v24, v24, v51, 2
	v_mov_b32_e32 v19, v25
	v_add_co_u32_e64 v24, s[42:43], v12, v24
	v_mov_b32_e32 v20, v26
	v_add_co_u32_e64 v25, s[42:43], 16, v24
	v_cmp_ne_u32_e64 s[42:43], 0, v23
	v_add_co_u32_e64 v23, s[44:45], -1, v23
	v_addc_co_u32_e64 v24, s[44:45], 0, -1, s[44:45]
	v_xor_b32_e32 v23, s42, v23
	v_xor_b32_e32 v24, s43, v24
	v_and_b32_e32 v23, exec_lo, v23
	v_and_b32_e32 v24, exec_hi, v24
	v_mbcnt_lo_u32_b32 v26, v23, 0
	v_mbcnt_hi_u32_b32 v26, v24, v26
	v_cmp_ne_u64_e64 s[42:43], 0, v[23:24]
	v_mov_b32_e32 v15, v27
	v_mov_b32_e32 v4, v29
	v_cmp_eq_u32_e64 s[44:45], 0, v26
	v_mov_b32_e32 v16, v28
	v_mov_b32_e32 v5, v30
	s_and_b64 s[44:45], s[42:43], s[44:45]
	ds_write_b32 v1, v55
	ds_write_b32 v9, v55
	;; [unrolled: 1-line block ×4, first 2 shown]
	s_waitcnt lgkmcnt(0)
	s_barrier
	; wave barrier
	s_and_saveexec_b64 s[42:43], s[44:45]
; %bb.18:                               ;   in Loop: Header=BB1536_17 Depth=1
	v_bcnt_u32_b32 v23, v23, 0
	v_bcnt_u32_b32 v23, v24, v23
	ds_write_b32 v25, v23
; %bb.19:                               ;   in Loop: Header=BB1536_17 Depth=1
	s_or_b64 exec, exec, s[42:43]
	v_lshrrev_b32_sdwa v23, v10, v52 dst_sel:DWORD dst_unused:UNUSED_PAD src0_sel:DWORD src1_sel:BYTE_1
	v_and_b32_e32 v23, v23, v33
	v_lshl_add_u32 v24, v23, 2, v51
	v_lshl_add_u32 v24, v24, 2, v12
	v_cmp_ne_u32_e64 s[42:43], 0, v23
	v_add_co_u32_e64 v23, s[44:45], -1, v23
	; wave barrier
	v_add_u32_e32 v28, 16, v24
	ds_read_b32 v27, v24 offset:16
	v_addc_co_u32_e64 v24, s[44:45], 0, -1, s[44:45]
	v_xor_b32_e32 v23, s42, v23
	v_xor_b32_e32 v24, s43, v24
	v_and_b32_e32 v23, exec_lo, v23
	v_and_b32_e32 v24, exec_hi, v24
	v_mbcnt_lo_u32_b32 v29, v23, 0
	v_mbcnt_hi_u32_b32 v29, v24, v29
	v_cmp_ne_u64_e64 s[42:43], 0, v[23:24]
	v_cmp_eq_u32_e64 s[44:45], 0, v29
	s_and_b64 s[44:45], s[42:43], s[44:45]
	; wave barrier
	s_and_saveexec_b64 s[42:43], s[44:45]
	s_cbranch_execz .LBB1536_21
; %bb.20:                               ;   in Loop: Header=BB1536_17 Depth=1
	v_bcnt_u32_b32 v23, v23, 0
	v_bcnt_u32_b32 v23, v24, v23
	s_waitcnt lgkmcnt(0)
	v_add_u32_e32 v23, v27, v23
	ds_write_b32 v28, v23
.LBB1536_21:                            ;   in Loop: Header=BB1536_17 Depth=1
	s_or_b64 exec, exec, s[42:43]
	v_lshrrev_b32_sdwa v23, v10, v52 dst_sel:DWORD dst_unused:UNUSED_PAD src0_sel:DWORD src1_sel:BYTE_2
	v_and_b32_e32 v23, v23, v33
	v_lshl_add_u32 v24, v23, 2, v51
	v_lshl_add_u32 v24, v24, 2, v12
	v_cmp_ne_u32_e64 s[42:43], 0, v23
	v_add_co_u32_e64 v23, s[44:45], -1, v23
	; wave barrier
	v_add_u32_e32 v31, 16, v24
	ds_read_b32 v30, v24 offset:16
	v_addc_co_u32_e64 v24, s[44:45], 0, -1, s[44:45]
	v_xor_b32_e32 v23, s42, v23
	v_xor_b32_e32 v24, s43, v24
	v_and_b32_e32 v23, exec_lo, v23
	v_and_b32_e32 v24, exec_hi, v24
	v_mbcnt_lo_u32_b32 v32, v23, 0
	v_mbcnt_hi_u32_b32 v32, v24, v32
	v_cmp_ne_u64_e64 s[42:43], 0, v[23:24]
	v_cmp_eq_u32_e64 s[44:45], 0, v32
	s_and_b64 s[44:45], s[42:43], s[44:45]
	; wave barrier
	s_and_saveexec_b64 s[42:43], s[44:45]
	s_cbranch_execz .LBB1536_23
; %bb.22:                               ;   in Loop: Header=BB1536_17 Depth=1
	v_bcnt_u32_b32 v23, v23, 0
	v_bcnt_u32_b32 v23, v24, v23
	s_waitcnt lgkmcnt(0)
	v_add_u32_e32 v23, v30, v23
	ds_write_b32 v31, v23
.LBB1536_23:                            ;   in Loop: Header=BB1536_17 Depth=1
	s_or_b64 exec, exec, s[42:43]
	v_lshrrev_b32_e32 v82, 24, v52
	v_lshrrev_b32_e32 v23, v10, v82
	v_and_b32_e32 v23, v23, v33
	v_lshl_add_u32 v24, v23, 2, v51
	v_lshl_add_u32 v24, v24, 2, v12
	v_cmp_ne_u32_e64 s[42:43], 0, v23
	v_add_co_u32_e64 v23, s[44:45], -1, v23
	; wave barrier
	v_add_u32_e32 v34, 16, v24
	ds_read_b32 v33, v24 offset:16
	v_addc_co_u32_e64 v24, s[44:45], 0, -1, s[44:45]
	v_xor_b32_e32 v23, s42, v23
	v_xor_b32_e32 v24, s43, v24
	v_and_b32_e32 v23, exec_lo, v23
	v_and_b32_e32 v24, exec_hi, v24
	v_mbcnt_lo_u32_b32 v35, v23, 0
	v_mbcnt_hi_u32_b32 v35, v24, v35
	v_cmp_ne_u64_e64 s[42:43], 0, v[23:24]
	v_cmp_eq_u32_e64 s[44:45], 0, v35
	s_and_b64 s[44:45], s[42:43], s[44:45]
	; wave barrier
	s_and_saveexec_b64 s[42:43], s[44:45]
	s_cbranch_execz .LBB1536_25
; %bb.24:                               ;   in Loop: Header=BB1536_17 Depth=1
	v_bcnt_u32_b32 v23, v23, 0
	v_bcnt_u32_b32 v23, v24, v23
	s_waitcnt lgkmcnt(0)
	v_add_u32_e32 v23, v33, v23
	ds_write_b32 v34, v23
.LBB1536_25:                            ;   in Loop: Header=BB1536_17 Depth=1
	s_or_b64 exec, exec, s[42:43]
	; wave barrier
	s_waitcnt lgkmcnt(0)
	s_barrier
	ds_read_b32 v36, v1
	ds_read_b32 v24, v9
	;; [unrolled: 1-line block ×4, first 2 shown]
	s_waitcnt lgkmcnt(2)
	v_add_u32_e32 v38, v24, v36
	s_waitcnt lgkmcnt(0)
	v_add3_u32 v37, v38, v23, v37
	s_nop 1
	v_mov_b32_dpp v38, v37 row_shr:1 row_mask:0xf bank_mask:0xf
	v_cndmask_b32_e64 v38, v38, 0, vcc
	v_add_u32_e32 v37, v38, v37
	s_nop 1
	v_mov_b32_dpp v38, v37 row_shr:2 row_mask:0xf bank_mask:0xf
	v_cndmask_b32_e64 v38, 0, v38, s[4:5]
	v_add_u32_e32 v37, v37, v38
	s_nop 1
	v_mov_b32_dpp v38, v37 row_shr:4 row_mask:0xf bank_mask:0xf
	v_cndmask_b32_e64 v38, 0, v38, s[6:7]
	;; [unrolled: 4-line block ×3, first 2 shown]
	v_add_u32_e32 v37, v37, v38
	s_nop 1
	v_mov_b32_dpp v38, v37 row_bcast:15 row_mask:0xf bank_mask:0xf
	v_cndmask_b32_e64 v38, v38, 0, s[40:41]
	v_add_u32_e32 v37, v37, v38
	s_nop 1
	v_mov_b32_dpp v38, v37 row_bcast:31 row_mask:0xf bank_mask:0xf
	v_cndmask_b32_e64 v38, 0, v38, s[14:15]
	v_add_u32_e32 v37, v37, v38
	s_and_saveexec_b64 s[42:43], s[16:17]
; %bb.26:                               ;   in Loop: Header=BB1536_17 Depth=1
	ds_write_b32 v54, v37
; %bb.27:                               ;   in Loop: Header=BB1536_17 Depth=1
	s_or_b64 exec, exec, s[42:43]
	s_waitcnt lgkmcnt(0)
	s_barrier
	s_and_saveexec_b64 s[42:43], s[18:19]
	s_cbranch_execz .LBB1536_29
; %bb.28:                               ;   in Loop: Header=BB1536_17 Depth=1
	ds_read_b32 v38, v64
	s_waitcnt lgkmcnt(0)
	s_nop 0
	v_mov_b32_dpp v39, v38 row_shr:1 row_mask:0xf bank_mask:0xf
	v_cndmask_b32_e64 v39, v39, 0, s[26:27]
	v_add_u32_e32 v38, v39, v38
	s_nop 1
	v_mov_b32_dpp v39, v38 row_shr:2 row_mask:0xf bank_mask:0xf
	v_cndmask_b32_e64 v39, 0, v39, s[28:29]
	v_add_u32_e32 v38, v38, v39
	ds_write_b32 v64, v38
.LBB1536_29:                            ;   in Loop: Header=BB1536_17 Depth=1
	s_or_b64 exec, exec, s[42:43]
	v_mov_b32_e32 v38, 0
	s_waitcnt lgkmcnt(0)
	s_barrier
	s_and_saveexec_b64 s[42:43], s[20:21]
; %bb.30:                               ;   in Loop: Header=BB1536_17 Depth=1
	v_add_u32_e32 v38, -4, v54
	ds_read_b32 v38, v38
; %bb.31:                               ;   in Loop: Header=BB1536_17 Depth=1
	s_or_b64 exec, exec, s[42:43]
	s_waitcnt lgkmcnt(0)
	v_add_u32_e32 v37, v38, v37
	ds_bpermute_b32 v37, v53, v37
	v_add_u32_e32 v10, 8, v10
	v_mov_b32_e32 v83, v52
	v_lshrrev_b32_e32 v84, 8, v52
	v_lshrrev_b32_e32 v96, 16, v52
	s_waitcnt lgkmcnt(0)
	v_cndmask_b32_e64 v37, v37, v38, s[22:23]
	v_cndmask_b32_e64 v37, v37, 0, s[24:25]
	v_add_u32_e32 v36, v37, v36
	v_add_u32_e32 v24, v36, v24
	;; [unrolled: 1-line block ×3, first 2 shown]
	ds_write_b32 v1, v37
	ds_write_b32 v9, v36
	;; [unrolled: 1-line block ×4, first 2 shown]
	s_waitcnt lgkmcnt(0)
	s_barrier
	ds_read_b32 v23, v25
	ds_read_b32 v24, v28
	ds_read_b32 v25, v31
	ds_read_b32 v28, v34
	v_cmp_lt_u32_e64 s[42:43], v10, v11
	s_waitcnt lgkmcnt(3)
	v_add_u32_e32 v23, v23, v26
	v_add_co_u32_e64 v37, s[44:45], v12, v23
	s_waitcnt lgkmcnt(2)
	v_add3_u32 v87, v29, v27, v24
	v_addc_co_u32_e64 v38, s[44:45], 0, v13, s[44:45]
	v_add_co_u32_e64 v31, s[44:45], v12, v87
	s_waitcnt lgkmcnt(1)
	v_add3_u32 v86, v32, v30, v25
	v_addc_co_u32_e64 v32, s[44:45], 0, v13, s[44:45]
	s_waitcnt lgkmcnt(0)
	v_add3_u32 v85, v35, v33, v28
	v_add_co_u32_e64 v33, s[44:45], v12, v86
	v_addc_co_u32_e64 v34, s[44:45], 0, v13, s[44:45]
	v_mad_u64_u32 v[35:36], s[44:45], v23, 7, v[37:38]
	v_add_co_u32_e64 v38, s[44:45], v12, v85
	v_addc_co_u32_e64 v39, s[44:45], 0, v13, s[44:45]
	s_mov_b64 s[60:61], -1
                                        ; implicit-def: $vgpr23_vgpr24
                                        ; implicit-def: $vgpr25_vgpr26
                                        ; implicit-def: $vgpr27_vgpr28
                                        ; implicit-def: $vgpr29_vgpr30
	s_and_saveexec_b64 s[44:45], s[42:43]
	s_cbranch_execz .LBB1536_16
; %bb.32:                               ;   in Loop: Header=BB1536_17 Depth=1
	s_barrier
	ds_write_b8 v37, v52
	ds_write_b8 v31, v84
	;; [unrolled: 1-line block ×4, first 2 shown]
	s_waitcnt lgkmcnt(0)
	s_barrier
	ds_read_u8 v23, v66
	ds_read_u8 v24, v65
	;; [unrolled: 1-line block ×4, first 2 shown]
	s_waitcnt lgkmcnt(0)
	s_barrier
	v_perm_b32 v23, v24, v23, s63
	v_perm_b32 v24, v26, v25, s63
	v_lshl_or_b32 v52, v24, 16, v23
	v_mad_u64_u32 v[23:24], s[42:43], v87, 7, v[31:32]
	v_mad_u64_u32 v[24:25], s[42:43], v86, 7, v[33:34]
	;; [unrolled: 1-line block ×3, first 2 shown]
	ds_write_b64 v35, v[21:22]
	ds_write_b64 v23, v[19:20]
	;; [unrolled: 1-line block ×4, first 2 shown]
	s_waitcnt lgkmcnt(0)
	s_barrier
	ds_read_b64 v[23:24], v69
	ds_read_b64 v[25:26], v70
	;; [unrolled: 1-line block ×4, first 2 shown]
	v_add_u32_e32 v81, -8, v81
	s_xor_b64 s[60:61], exec, -1
	s_waitcnt lgkmcnt(0)
	s_barrier
	s_branch .LBB1536_16
.LBB1536_33:
	s_or_b64 exec, exec, s[58:59]
	v_mad_u64_u32 v[9:10], s[4:5], v87, 7, v[31:32]
	v_mad_u64_u32 v[10:11], s[4:5], v86, 7, v[33:34]
	v_add_u32_e32 v1, v12, v14
	v_mad_u64_u32 v[11:12], s[4:5], v85, 7, v[38:39]
	s_barrier
	ds_write_b8 v37, v83
	ds_write_b8 v31, v84
	;; [unrolled: 1-line block ×4, first 2 shown]
	s_waitcnt lgkmcnt(0)
	s_barrier
	ds_read_u8 v26, v1
	ds_read_u8 v25, v1 offset:256
	ds_read_u8 v24, v1 offset:512
	;; [unrolled: 1-line block ×3, first 2 shown]
	s_waitcnt lgkmcnt(0)
	s_barrier
	ds_write_b64 v35, v[21:22]
	ds_write_b64 v9, v[19:20]
	;; [unrolled: 1-line block ×4, first 2 shown]
	v_mul_u32_u24_e32 v4, 7, v14
	v_add_u32_e32 v1, v1, v4
	s_waitcnt lgkmcnt(0)
	s_barrier
	ds_read2st64_b64 v[13:16], v1 offset1:4
	ds_read2st64_b64 v[9:12], v1 offset0:8 offset1:12
	v_add_co_u32_e32 v2, vcc, v2, v8
	v_addc_co_u32_e32 v3, vcc, 0, v3, vcc
	v_add_co_u32_e32 v2, vcc, v2, v0
	v_addc_co_u32_e32 v3, vcc, 0, v3, vcc
	v_mov_b32_e32 v1, 0
	v_cmp_lt_u32_e32 vcc, v0, v48
	s_waitcnt lgkmcnt(0)
	s_barrier
	s_and_saveexec_b64 s[4:5], vcc
	s_cbranch_execz .LBB1536_35
; %bb.34:
	v_xor_b32_e32 v4, 1, v26
	flat_store_byte v[2:3], v4
.LBB1536_35:
	s_or_b64 exec, exec, s[4:5]
	v_add_u32_e32 v4, 0x100, v0
	v_cmp_lt_u32_e64 s[4:5], v4, v48
	s_and_saveexec_b64 s[6:7], s[4:5]
	s_cbranch_execz .LBB1536_37
; %bb.36:
	v_xor_b32_e32 v4, 1, v25
	flat_store_byte v[2:3], v4 offset:256
.LBB1536_37:
	s_or_b64 exec, exec, s[6:7]
	v_add_u32_e32 v4, 0x200, v0
	v_cmp_lt_u32_e64 s[10:11], v4, v48
	s_and_saveexec_b64 s[6:7], s[10:11]
	s_cbranch_execz .LBB1536_39
; %bb.38:
	v_xor_b32_e32 v4, 1, v24
	flat_store_byte v[2:3], v4 offset:512
.LBB1536_39:
	;; [unrolled: 9-line block ×3, first 2 shown]
	s_or_b64 exec, exec, s[14:15]
	v_add_co_u32_e64 v2, s[14:15], v6, v17
	v_lshlrev_b64 v[0:1], 3, v[0:1]
	v_addc_co_u32_e64 v3, s[14:15], v7, v18, s[14:15]
	v_add_co_u32_e64 v0, s[14:15], v2, v0
	v_addc_co_u32_e64 v1, s[14:15], v3, v1, s[14:15]
	s_and_saveexec_b64 s[14:15], vcc
	s_cbranch_execnz .LBB1536_74
; %bb.42:
	s_or_b64 exec, exec, s[14:15]
	s_and_saveexec_b64 s[14:15], s[4:5]
	s_cbranch_execnz .LBB1536_75
.LBB1536_43:
	s_or_b64 exec, exec, s[14:15]
	s_and_saveexec_b64 s[4:5], s[10:11]
	s_cbranch_execnz .LBB1536_76
.LBB1536_44:
	s_or_b64 exec, exec, s[4:5]
	s_and_saveexec_b64 s[4:5], s[6:7]
	s_cbranch_execz .LBB1536_46
.LBB1536_45:
	v_add_co_u32_e32 v0, vcc, 0x1000, v0
	v_addc_co_u32_e32 v1, vcc, 0, v1, vcc
	flat_store_dwordx2 v[0:1], v[11:12] offset:2048
.LBB1536_46:
	s_or_b64 exec, exec, s[4:5]
                                        ; implicit-def: $vgpr48
                                        ; implicit-def: $vgpr0
                                        ; implicit-def: $vgpr1
                                        ; implicit-def: $vgpr2
                                        ; implicit-def: $vgpr3
                                        ; implicit-def: $vgpr4
                                        ; implicit-def: $vgpr5
                                        ; implicit-def: $vgpr6
                                        ; implicit-def: $vgpr7
                                        ; implicit-def: $vgpr8
                                        ; implicit-def: $vgpr10
                                        ; implicit-def: $vgpr11
                                        ; implicit-def: $vgpr12
                                        ; implicit-def: $vgpr13
                                        ; implicit-def: $vgpr31
                                        ; implicit-def: $vgpr15
                                        ; implicit-def: $vgpr18
                                        ; implicit-def: $vgpr17
.LBB1536_47:
	s_andn2_saveexec_b64 s[4:5], s[56:57]
	s_cbranch_execz .LBB1536_106
; %bb.48:
	s_load_dwordx2 s[4:5], s[8:9], 0x0
	v_mov_b32_e32 v9, 0
	v_and_b32_e32 v16, 0x3ff, v31
	s_waitcnt lgkmcnt(0)
	s_cmp_lt_u32 s13, s5
	s_cselect_b32 s5, 14, 20
	s_add_u32 s6, s8, s5
	s_addc_u32 s7, s9, 0
	s_cmp_lt_u32 s12, s4
	s_cselect_b32 s4, 12, 18
	s_add_u32 s4, s8, s4
	global_load_ushort v14, v9, s[6:7]
	s_addc_u32 s5, s9, 0
	global_load_ushort v19, v9, s[4:5]
	s_waitcnt vmcnt(0)
	v_mad_u32_u24 v14, v18, v14, v15
	v_mad_u64_u32 v[14:15], s[4:5], v14, v19, v[16:17]
	s_movk_i32 s4, 0x100
	v_cmp_lt_u32_e32 vcc, s4, v48
	s_and_saveexec_b64 s[4:5], vcc
	s_xor_b64 s[42:43], exec, s[4:5]
	s_cbranch_execz .LBB1536_86
; %bb.49:
	v_add_co_u32_e32 v0, vcc, v0, v8
	v_mbcnt_hi_u32_b32 v24, -1, v17
	v_addc_co_u32_e32 v1, vcc, 0, v1, vcc
	v_and_b32_e32 v23, 63, v24
	v_lshlrev_b32_e32 v15, 1, v14
	v_add_co_u32_e32 v0, vcc, v0, v23
	v_and_b32_e32 v17, 0xffffff80, v15
	v_addc_co_u32_e32 v1, vcc, 0, v1, vcc
	v_add_co_u32_e32 v0, vcc, v0, v17
	v_addc_co_u32_e32 v1, vcc, 0, v1, vcc
	v_or_b32_e32 v19, v23, v17
	v_mov_b32_e32 v18, v9
	v_cmp_lt_u32_e32 vcc, v19, v48
	v_mov_b32_e32 v15, v9
	s_and_saveexec_b64 s[4:5], vcc
	s_cbranch_execz .LBB1536_51
; %bb.50:
	flat_load_ubyte v15, v[0:1]
.LBB1536_51:
	s_or_b64 exec, exec, s[4:5]
	v_or_b32_e32 v19, 64, v19
	v_cmp_lt_u32_e64 s[4:5], v19, v48
	v_mov_b32_e32 v25, v9
	s_and_saveexec_b64 s[6:7], s[4:5]
	s_cbranch_execz .LBB1536_53
; %bb.52:
	flat_load_ubyte v25, v[0:1] offset:64
.LBB1536_53:
	s_or_b64 exec, exec, s[6:7]
	v_lshlrev_b64 v[0:1], 3, v[8:9]
	v_lshlrev_b32_e32 v9, 3, v23
	v_add_co_u32_e64 v4, s[6:7], v4, v0
	v_addc_co_u32_e64 v5, s[6:7], v5, v1, s[6:7]
	v_add_co_u32_e64 v9, s[6:7], v4, v9
	v_addc_co_u32_e64 v26, s[6:7], 0, v5, s[6:7]
	v_lshlrev_b64 v[4:5], 3, v[17:18]
	v_mov_b32_e32 v21, 0
	v_mov_b32_e32 v19, 0
	v_add_co_u32_e64 v4, s[6:7], v9, v4
	v_mov_b32_e32 v22, 0
	v_mov_b32_e32 v20, 0
	v_addc_co_u32_e64 v5, s[6:7], v26, v5, s[6:7]
	s_and_saveexec_b64 s[6:7], vcc
	s_cbranch_execz .LBB1536_55
; %bb.54:
	flat_load_dwordx2 v[19:20], v[4:5]
.LBB1536_55:
	s_or_b64 exec, exec, s[6:7]
	s_and_saveexec_b64 s[6:7], s[4:5]
	s_cbranch_execz .LBB1536_57
; %bb.56:
	flat_load_dwordx2 v[21:22], v[4:5] offset:512
.LBB1536_57:
	s_or_b64 exec, exec, s[6:7]
	s_waitcnt vmcnt(0) lgkmcnt(0)
	v_and_b32_e32 v4, 1, v25
	v_cmp_eq_u32_e32 vcc, 1, v4
	v_and_b32_e32 v4, 1, v15
	v_cmp_eq_u32_e64 s[4:5], 1, v4
	s_xor_b64 s[4:5], s[4:5], -1
	v_cndmask_b32_e64 v4, 0, 1, s[4:5]
	s_xor_b64 s[4:5], vcc, -1
	v_cndmask_b32_e64 v5, 0, 1, s[4:5]
	v_lshlrev_b16_e32 v5, 8, v5
	v_or_b32_e32 v4, v4, v5
	v_and_b32_e32 v32, 0xffff, v4
	v_lshl_add_u32 v4, v16, 4, v12
	s_getpc_b64 s[4:5]
	s_add_u32 s4, s4, _ZN7rocprim17ROCPRIM_400000_NS16block_radix_sortIbLj256ELj2ElLj1ELj1ELj8ELNS0_26block_radix_rank_algorithmE2ELNS0_18block_padding_hintE2ELNS0_4arch9wavefront6targetE1EE19radix_bits_per_passE@rel32@lo+4
	s_addc_u32 s5, s5, _ZN7rocprim17ROCPRIM_400000_NS16block_radix_sortIbLj256ELj2ElLj1ELj1ELj8ELNS0_26block_radix_rank_algorithmE2ELNS0_18block_padding_hintE2ELNS0_4arch9wavefront6targetE1EE19radix_bits_per_passE@rel32@hi+12
	v_add_u32_e32 v9, 16, v4
	v_add_u32_e32 v15, 20, v4
	;; [unrolled: 1-line block ×4, first 2 shown]
	v_and_b32_e32 v4, 15, v24
	s_load_dword s58, s[4:5], 0x0
	v_cmp_eq_u32_e32 vcc, 0, v4
	v_cmp_lt_u32_e64 s[4:5], 1, v4
	v_cmp_lt_u32_e64 s[6:7], 3, v4
	;; [unrolled: 1-line block ×3, first 2 shown]
	v_and_b32_e32 v4, 16, v24
	v_cmp_eq_u32_e64 s[10:11], 0, v4
	v_and_b32_e32 v4, 0x3c0, v16
	v_min_u32_e32 v4, 0xc0, v4
	v_or_b32_e32 v4, 63, v4
	v_cmp_eq_u32_e64 s[14:15], v16, v4
	v_subrev_co_u32_e64 v4, s[20:21], 1, v24
	v_and_b32_e32 v5, 64, v24
	v_cmp_lt_i32_e64 s[22:23], v4, v5
	v_cndmask_b32_e64 v4, v4, v24, s[22:23]
	v_lshlrev_b32_e32 v34, 2, v4
	v_lshrrev_b32_e32 v4, 4, v16
	v_and_b32_e32 v4, 60, v4
	v_add_u32_e32 v35, v12, v4
	v_and_b32_e32 v4, 3, v24
	v_cmp_eq_u32_e64 s[24:25], 0, v4
	v_cmp_lt_u32_e64 s[26:27], 1, v4
	v_lshlrev_b32_e32 v4, 1, v16
	s_movk_i32 s28, 0x780
	v_and_or_b32 v4, v4, s28, v23
	v_add_u32_e32 v39, v12, v4
	v_mul_u32_u24_e32 v4, 7, v4
	v_add_u32_e32 v50, v39, v4
	v_lshrrev_b32_e32 v33, 6, v14
	v_cmp_lt_u32_e64 s[12:13], 31, v24
	v_cmp_gt_u32_e64 s[16:17], 4, v16
	v_cmp_lt_u32_e64 s[18:19], 63, v16
	v_cmp_eq_u32_e64 s[22:23], 0, v16
	v_mov_b32_e32 v36, 0
	v_lshl_add_u32 v37, v16, 2, v12
	v_add_u32_e32 v38, -4, v35
	v_add_u32_e32 v49, 64, v39
	v_add_u32_e32 v51, 0x200, v50
	v_sub_u32_e32 v52, v11, v10
	s_mov_b64 s[44:45], 0
	s_mov_b32 s59, 0xc0c0004
	s_waitcnt lgkmcnt(0)
	s_barrier
	s_branch .LBB1536_59
.LBB1536_58:                            ;   in Loop: Header=BB1536_59 Depth=1
	s_or_b64 exec, exec, s[40:41]
	s_and_b64 s[28:29], exec, s[56:57]
	s_or_b64 s[44:45], s[28:29], s[44:45]
	s_andn2_b64 exec, exec, s[44:45]
	s_cbranch_execz .LBB1536_77
.LBB1536_59:                            ; =>This Inner Loop Header: Depth=1
	v_mov_b32_e32 v17, v19
	v_mov_b32_e32 v18, v20
	v_min_u32_e32 v19, s58, v52
	v_lshlrev_b32_e64 v19, v19, -1
	v_not_b32_e32 v23, v19
	v_lshrrev_b32_sdwa v19, v10, v32 dst_sel:DWORD dst_unused:UNUSED_PAD src0_sel:DWORD src1_sel:BYTE_0
	v_and_b32_e32 v19, v19, v23
	v_lshlrev_b32_e32 v20, 2, v19
	v_add_lshl_u32 v20, v20, v33, 2
	v_mov_b32_e32 v4, v21
	v_add_co_u32_e64 v20, s[28:29], v12, v20
	v_mov_b32_e32 v5, v22
	v_add_co_u32_e64 v21, s[28:29], 16, v20
	v_cmp_ne_u32_e64 s[28:29], 0, v19
	v_add_co_u32_e64 v19, s[40:41], -1, v19
	v_addc_co_u32_e64 v20, s[40:41], 0, -1, s[40:41]
	v_xor_b32_e32 v19, s28, v19
	v_xor_b32_e32 v20, s29, v20
	v_and_b32_e32 v19, exec_lo, v19
	v_and_b32_e32 v20, exec_hi, v20
	v_mbcnt_lo_u32_b32 v22, v19, 0
	v_mbcnt_hi_u32_b32 v22, v20, v22
	v_cmp_ne_u64_e64 s[28:29], 0, v[19:20]
	v_cmp_eq_u32_e64 s[40:41], 0, v22
	s_and_b64 s[40:41], s[28:29], s[40:41]
	ds_write_b32 v9, v36
	ds_write_b32 v15, v36
	;; [unrolled: 1-line block ×4, first 2 shown]
	s_waitcnt lgkmcnt(0)
	s_barrier
	; wave barrier
	s_and_saveexec_b64 s[28:29], s[40:41]
; %bb.60:                               ;   in Loop: Header=BB1536_59 Depth=1
	v_bcnt_u32_b32 v19, v19, 0
	v_bcnt_u32_b32 v19, v20, v19
	ds_write_b32 v21, v19
; %bb.61:                               ;   in Loop: Header=BB1536_59 Depth=1
	s_or_b64 exec, exec, s[28:29]
	v_lshrrev_b16_e32 v53, 8, v32
	v_lshrrev_b32_e32 v19, v10, v53
	v_and_b32_e32 v19, v19, v23
	v_lshl_add_u32 v20, v19, 2, v33
	v_lshl_add_u32 v20, v20, 2, v12
	v_cmp_ne_u32_e64 s[28:29], 0, v19
	v_add_co_u32_e64 v19, s[40:41], -1, v19
	; wave barrier
	v_add_u32_e32 v24, 16, v20
	ds_read_b32 v23, v20 offset:16
	v_addc_co_u32_e64 v20, s[40:41], 0, -1, s[40:41]
	v_xor_b32_e32 v19, s28, v19
	v_xor_b32_e32 v20, s29, v20
	v_and_b32_e32 v19, exec_lo, v19
	v_and_b32_e32 v20, exec_hi, v20
	v_mbcnt_lo_u32_b32 v25, v19, 0
	v_mbcnt_hi_u32_b32 v25, v20, v25
	v_cmp_ne_u64_e64 s[28:29], 0, v[19:20]
	v_cmp_eq_u32_e64 s[40:41], 0, v25
	s_and_b64 s[40:41], s[28:29], s[40:41]
	; wave barrier
	s_and_saveexec_b64 s[28:29], s[40:41]
	s_cbranch_execz .LBB1536_63
; %bb.62:                               ;   in Loop: Header=BB1536_59 Depth=1
	v_bcnt_u32_b32 v19, v19, 0
	v_bcnt_u32_b32 v19, v20, v19
	s_waitcnt lgkmcnt(0)
	v_add_u32_e32 v19, v23, v19
	ds_write_b32 v24, v19
.LBB1536_63:                            ;   in Loop: Header=BB1536_59 Depth=1
	s_or_b64 exec, exec, s[28:29]
	; wave barrier
	s_waitcnt lgkmcnt(0)
	s_barrier
	ds_read_b32 v26, v9
	ds_read_b32 v20, v15
	;; [unrolled: 1-line block ×4, first 2 shown]
	s_waitcnt lgkmcnt(2)
	v_add_u32_e32 v28, v20, v26
	s_waitcnt lgkmcnt(0)
	v_add3_u32 v27, v28, v19, v27
	s_nop 1
	v_mov_b32_dpp v28, v27 row_shr:1 row_mask:0xf bank_mask:0xf
	v_cndmask_b32_e64 v28, v28, 0, vcc
	v_add_u32_e32 v27, v28, v27
	s_nop 1
	v_mov_b32_dpp v28, v27 row_shr:2 row_mask:0xf bank_mask:0xf
	v_cndmask_b32_e64 v28, 0, v28, s[4:5]
	v_add_u32_e32 v27, v27, v28
	s_nop 1
	v_mov_b32_dpp v28, v27 row_shr:4 row_mask:0xf bank_mask:0xf
	v_cndmask_b32_e64 v28, 0, v28, s[6:7]
	v_add_u32_e32 v27, v27, v28
	s_nop 1
	v_mov_b32_dpp v28, v27 row_shr:8 row_mask:0xf bank_mask:0xf
	v_cndmask_b32_e64 v28, 0, v28, s[8:9]
	v_add_u32_e32 v27, v27, v28
	s_nop 1
	v_mov_b32_dpp v28, v27 row_bcast:15 row_mask:0xf bank_mask:0xf
	v_cndmask_b32_e64 v28, v28, 0, s[10:11]
	v_add_u32_e32 v27, v27, v28
	s_nop 1
	v_mov_b32_dpp v28, v27 row_bcast:31 row_mask:0xf bank_mask:0xf
	v_cndmask_b32_e64 v28, 0, v28, s[12:13]
	v_add_u32_e32 v27, v27, v28
	s_and_saveexec_b64 s[28:29], s[14:15]
; %bb.64:                               ;   in Loop: Header=BB1536_59 Depth=1
	ds_write_b32 v35, v27
; %bb.65:                               ;   in Loop: Header=BB1536_59 Depth=1
	s_or_b64 exec, exec, s[28:29]
	s_waitcnt lgkmcnt(0)
	s_barrier
	s_and_saveexec_b64 s[28:29], s[16:17]
	s_cbranch_execz .LBB1536_67
; %bb.66:                               ;   in Loop: Header=BB1536_59 Depth=1
	ds_read_b32 v28, v37
	s_waitcnt lgkmcnt(0)
	s_nop 0
	v_mov_b32_dpp v29, v28 row_shr:1 row_mask:0xf bank_mask:0xf
	v_cndmask_b32_e64 v29, v29, 0, s[24:25]
	v_add_u32_e32 v28, v29, v28
	s_nop 1
	v_mov_b32_dpp v29, v28 row_shr:2 row_mask:0xf bank_mask:0xf
	v_cndmask_b32_e64 v29, 0, v29, s[26:27]
	v_add_u32_e32 v28, v28, v29
	ds_write_b32 v37, v28
.LBB1536_67:                            ;   in Loop: Header=BB1536_59 Depth=1
	s_or_b64 exec, exec, s[28:29]
	v_mov_b32_e32 v28, 0
	s_waitcnt lgkmcnt(0)
	s_barrier
	s_and_saveexec_b64 s[28:29], s[18:19]
; %bb.68:                               ;   in Loop: Header=BB1536_59 Depth=1
	ds_read_b32 v28, v38
; %bb.69:                               ;   in Loop: Header=BB1536_59 Depth=1
	s_or_b64 exec, exec, s[28:29]
	s_waitcnt lgkmcnt(0)
	v_add_u32_e32 v27, v28, v27
	ds_bpermute_b32 v27, v34, v27
	v_add_u32_e32 v10, 8, v10
	v_mov_b32_e32 v54, v32
	s_mov_b64 s[56:57], -1
	s_waitcnt lgkmcnt(0)
	v_cndmask_b32_e64 v27, v27, v28, s[20:21]
	v_cndmask_b32_e64 v27, v27, 0, s[22:23]
	v_add_u32_e32 v26, v27, v26
	v_add_u32_e32 v20, v26, v20
	;; [unrolled: 1-line block ×3, first 2 shown]
	ds_write_b32 v9, v27
	ds_write_b32 v15, v26
	;; [unrolled: 1-line block ×4, first 2 shown]
	s_waitcnt lgkmcnt(0)
	s_barrier
	ds_read_b32 v19, v21
	ds_read_b32 v20, v24
	s_waitcnt lgkmcnt(0)
	v_add_u32_e32 v19, v19, v22
	v_add_co_u32_e64 v26, s[28:29], v12, v19
	v_add3_u32 v20, v25, v23, v20
	v_addc_co_u32_e64 v27, s[28:29], 0, v13, s[28:29]
	v_add_co_u32_e64 v28, s[28:29], v12, v20
	v_addc_co_u32_e64 v29, s[28:29], 0, v13, s[28:29]
	v_mad_u64_u32 v[23:24], s[28:29], v19, 7, v[26:27]
	v_mad_u64_u32 v[24:25], s[28:29], v20, 7, v[28:29]
	v_cmp_lt_u32_e64 s[28:29], v10, v11
                                        ; implicit-def: $vgpr21_vgpr22
                                        ; implicit-def: $vgpr19_vgpr20
	s_and_saveexec_b64 s[40:41], s[28:29]
	s_cbranch_execz .LBB1536_58
; %bb.70:                               ;   in Loop: Header=BB1536_59 Depth=1
	s_barrier
	ds_write_b8 v26, v32
	ds_write_b8 v28, v53
	s_waitcnt lgkmcnt(0)
	s_barrier
	ds_read_u8 v19, v49
	ds_read_u8 v20, v39
	s_waitcnt lgkmcnt(0)
	s_barrier
	ds_write_b64 v23, v[17:18]
	ds_write_b64 v24, v[4:5]
	v_perm_b32 v32, v20, v19, s59
	s_waitcnt lgkmcnt(0)
	s_barrier
	ds_read_b64 v[19:20], v50
	ds_read_b64 v[21:22], v51
	v_add_u32_e32 v52, -8, v52
	s_xor_b64 s[56:57], exec, -1
	s_waitcnt lgkmcnt(0)
	s_barrier
	s_branch .LBB1536_58
.LBB1536_71:
	flat_load_dwordx2 v[23:24], v[4:5]
	s_or_b64 exec, exec, s[14:15]
                                        ; implicit-def: $vgpr25_vgpr26
	s_and_saveexec_b64 s[14:15], s[4:5]
	s_cbranch_execz .LBB1536_12
.LBB1536_72:
	flat_load_dwordx2 v[25:26], v[4:5] offset:512
	s_or_b64 exec, exec, s[14:15]
                                        ; implicit-def: $vgpr27_vgpr28
	s_and_saveexec_b64 s[4:5], s[6:7]
	s_cbranch_execz .LBB1536_13
.LBB1536_73:
	flat_load_dwordx2 v[27:28], v[4:5] offset:1024
	s_or_b64 exec, exec, s[4:5]
                                        ; implicit-def: $vgpr29_vgpr30
	s_and_saveexec_b64 s[4:5], s[10:11]
	s_cbranch_execnz .LBB1536_14
	s_branch .LBB1536_15
.LBB1536_74:
	flat_store_dwordx2 v[0:1], v[13:14]
	s_or_b64 exec, exec, s[14:15]
	s_and_saveexec_b64 s[14:15], s[4:5]
	s_cbranch_execz .LBB1536_43
.LBB1536_75:
	flat_store_dwordx2 v[0:1], v[15:16] offset:2048
	s_or_b64 exec, exec, s[14:15]
	s_and_saveexec_b64 s[4:5], s[10:11]
	s_cbranch_execz .LBB1536_44
.LBB1536_76:
	v_add_co_u32_e32 v2, vcc, 0x1000, v0
	v_addc_co_u32_e32 v3, vcc, 0, v1, vcc
	flat_store_dwordx2 v[2:3], v[9:10]
	s_or_b64 exec, exec, s[4:5]
	s_and_saveexec_b64 s[4:5], s[6:7]
	s_cbranch_execnz .LBB1536_45
	s_branch .LBB1536_46
.LBB1536_77:
	s_or_b64 exec, exec, s[44:45]
	v_add_u32_e32 v9, v12, v16
	s_barrier
	ds_write_b8 v26, v54
	ds_write_b8 v28, v53
	s_waitcnt lgkmcnt(0)
	s_barrier
	ds_read_u8 v19, v9
	ds_read_u8 v13, v9 offset:256
	s_waitcnt lgkmcnt(0)
	s_barrier
	ds_write_b64 v23, v[17:18]
	ds_write_b64 v24, v[4:5]
	v_mul_u32_u24_e32 v4, 7, v16
	v_add_u32_e32 v4, v9, v4
	s_waitcnt lgkmcnt(0)
	s_barrier
	ds_read2st64_b64 v[9:12], v4 offset1:4
	v_add_co_u32_e32 v2, vcc, v2, v8
	v_addc_co_u32_e32 v3, vcc, 0, v3, vcc
	v_add_co_u32_e32 v2, vcc, v2, v14
	v_addc_co_u32_e32 v3, vcc, 0, v3, vcc
	v_mov_b32_e32 v15, 0
	v_cmp_lt_u32_e32 vcc, v14, v48
	s_waitcnt lgkmcnt(0)
	s_barrier
	s_and_saveexec_b64 s[4:5], vcc
	s_cbranch_execz .LBB1536_79
; %bb.78:
	v_xor_b32_e32 v4, 1, v19
	flat_store_byte v[2:3], v4
.LBB1536_79:
	s_or_b64 exec, exec, s[4:5]
	v_add_u32_e32 v4, 0x100, v14
	v_cmp_lt_u32_e64 s[4:5], v4, v48
	s_and_saveexec_b64 s[6:7], s[4:5]
	s_cbranch_execz .LBB1536_81
; %bb.80:
	v_xor_b32_e32 v4, 1, v13
	flat_store_byte v[2:3], v4 offset:256
.LBB1536_81:
	s_or_b64 exec, exec, s[6:7]
	v_add_co_u32_e64 v2, s[6:7], v6, v0
	v_addc_co_u32_e64 v3, s[6:7], v7, v1, s[6:7]
	v_lshlrev_b64 v[0:1], 3, v[14:15]
	v_add_co_u32_e64 v0, s[6:7], v2, v0
	v_addc_co_u32_e64 v1, s[6:7], v3, v1, s[6:7]
	s_and_saveexec_b64 s[6:7], vcc
	s_cbranch_execz .LBB1536_83
; %bb.82:
	flat_store_dwordx2 v[0:1], v[9:10]
.LBB1536_83:
	s_or_b64 exec, exec, s[6:7]
	s_and_saveexec_b64 s[6:7], s[4:5]
	s_cbranch_execz .LBB1536_85
; %bb.84:
	flat_store_dwordx2 v[0:1], v[11:12] offset:2048
.LBB1536_85:
	s_or_b64 exec, exec, s[6:7]
                                        ; implicit-def: $vgpr16
                                        ; implicit-def: $vgpr14_vgpr15
                                        ; implicit-def: $vgpr8_vgpr9
                                        ; implicit-def: $vgpr48
                                        ; implicit-def: $vgpr0
                                        ; implicit-def: $vgpr1
                                        ; implicit-def: $vgpr2
                                        ; implicit-def: $vgpr3
                                        ; implicit-def: $vgpr4
                                        ; implicit-def: $vgpr5
                                        ; implicit-def: $vgpr6
                                        ; implicit-def: $vgpr7
                                        ; implicit-def: $vgpr10
                                        ; implicit-def: $vgpr11
                                        ; implicit-def: $vgpr12
                                        ; implicit-def: $vgpr13
                                        ; implicit-def: $vgpr17
.LBB1536_86:
	s_andn2_saveexec_b64 s[4:5], s[42:43]
	s_cbranch_execz .LBB1536_106
; %bb.87:
	v_mbcnt_hi_u32_b32 v28, -1, v17
	v_bfi_b32 v15, 63, v28, v14
	v_and_b32_e32 v29, 63, v28
	v_and_b32_e32 v19, 0xffffffc0, v14
	v_cmp_lt_u32_e32 vcc, v15, v48
	s_mov_b64 s[4:5], -1
	s_and_saveexec_b64 s[6:7], vcc
	s_cbranch_execz .LBB1536_89
; %bb.88:
	v_add_co_u32_e64 v0, s[4:5], v0, v8
	v_addc_co_u32_e64 v1, s[4:5], 0, v1, s[4:5]
	v_add_co_u32_e64 v0, s[4:5], v0, v29
	v_addc_co_u32_e64 v1, s[4:5], 0, v1, s[4:5]
	v_add_co_u32_e64 v0, s[4:5], v0, v19
	v_addc_co_u32_e64 v1, s[4:5], 0, v1, s[4:5]
	flat_load_ubyte v0, v[0:1]
	s_waitcnt vmcnt(0) lgkmcnt(0)
	v_and_b32_e32 v0, 1, v0
	v_cmp_eq_u32_e64 s[4:5], 1, v0
	s_xor_b64 s[4:5], s[4:5], -1
	s_orn2_b64 s[4:5], s[4:5], exec
.LBB1536_89:
	s_or_b64 exec, exec, s[6:7]
	v_lshlrev_b64 v[0:1], 3, v[8:9]
                                        ; implicit-def: $vgpr17_vgpr18
	s_and_saveexec_b64 s[6:7], vcc
	s_cbranch_execz .LBB1536_91
; %bb.90:
	v_add_co_u32_e32 v4, vcc, v4, v0
	v_addc_co_u32_e32 v5, vcc, v5, v1, vcc
	v_lshlrev_b32_e32 v9, 3, v29
	v_mov_b32_e32 v20, 0
	v_add_co_u32_e32 v9, vcc, v4, v9
	v_addc_co_u32_e32 v15, vcc, 0, v5, vcc
	v_lshlrev_b64 v[4:5], 3, v[19:20]
	v_add_co_u32_e32 v4, vcc, v9, v4
	v_addc_co_u32_e32 v5, vcc, v15, v5, vcc
	flat_load_dwordx2 v[17:18], v[4:5]
.LBB1536_91:
	s_or_b64 exec, exec, s[6:7]
	v_lshl_add_u32 v4, v16, 4, v12
	v_cndmask_b32_e64 v33, 0, 1, s[4:5]
	s_getpc_b64 s[4:5]
	s_add_u32 s4, s4, _ZN7rocprim17ROCPRIM_400000_NS16block_radix_sortIbLj256ELj1ElLj1ELj1ELj8ELNS0_26block_radix_rank_algorithmE2ELNS0_18block_padding_hintE2ELNS0_4arch9wavefront6targetE1EE19radix_bits_per_passE@rel32@lo+4
	s_addc_u32 s5, s5, _ZN7rocprim17ROCPRIM_400000_NS16block_radix_sortIbLj256ELj1ElLj1ELj1ELj8ELNS0_26block_radix_rank_algorithmE2ELNS0_18block_padding_hintE2ELNS0_4arch9wavefront6targetE1EE19radix_bits_per_passE@rel32@hi+12
	v_add_u32_e32 v9, 16, v4
	v_add_u32_e32 v15, 20, v4
	;; [unrolled: 1-line block ×4, first 2 shown]
	v_and_b32_e32 v4, 15, v28
	s_load_dword s56, s[4:5], 0x0
	v_cmp_eq_u32_e32 vcc, 0, v4
	v_cmp_lt_u32_e64 s[4:5], 1, v4
	v_cmp_lt_u32_e64 s[6:7], 3, v4
	;; [unrolled: 1-line block ×3, first 2 shown]
	v_and_b32_e32 v4, 16, v28
	v_cmp_eq_u32_e64 s[10:11], 0, v4
	v_and_b32_e32 v4, 0x3c0, v16
	v_min_u32_e32 v5, 0xc0, v4
	v_or_b32_e32 v5, 63, v5
	v_cmp_eq_u32_e64 s[14:15], v16, v5
	v_subrev_co_u32_e64 v5, s[20:21], 1, v28
	v_and_b32_e32 v19, 64, v28
	v_cmp_lt_i32_e64 s[22:23], v5, v19
	v_cndmask_b32_e64 v5, v5, v28, s[22:23]
	v_lshlrev_b32_e32 v24, 2, v5
	v_lshrrev_b32_e32 v5, 4, v16
	v_and_b32_e32 v5, 60, v5
	v_or_b32_e32 v4, v29, v4
	v_add_u32_e32 v25, v12, v5
	v_and_b32_e32 v5, 3, v28
	v_add_u32_e32 v29, v12, v4
	v_mul_u32_u24_e32 v4, 7, v4
	v_lshrrev_b32_e32 v23, 6, v14
	v_cmp_lt_u32_e64 s[12:13], 31, v28
	v_cmp_gt_u32_e64 s[16:17], 4, v16
	v_cmp_lt_u32_e64 s[18:19], 63, v16
	v_cmp_eq_u32_e64 s[22:23], 0, v16
	v_mov_b32_e32 v26, 0
	v_lshl_add_u32 v27, v16, 2, v12
	v_cmp_eq_u32_e64 s[24:25], 0, v5
	v_cmp_lt_u32_e64 s[26:27], 1, v5
	v_add_u32_e32 v28, -4, v25
	v_add_u32_e32 v30, v29, v4
	s_mov_b64 s[42:43], 0
	v_sub_u32_e32 v31, v11, v10
	s_waitcnt vmcnt(0) lgkmcnt(0)
	s_barrier
	s_branch .LBB1536_93
.LBB1536_92:                            ;   in Loop: Header=BB1536_93 Depth=1
	s_or_b64 exec, exec, s[40:41]
	s_and_b64 s[28:29], exec, s[44:45]
	s_or_b64 s[42:43], s[28:29], s[42:43]
	s_andn2_b64 exec, exec, s[42:43]
	s_cbranch_execz .LBB1536_103
.LBB1536_93:                            ; =>This Inner Loop Header: Depth=1
	v_mov_b32_e32 v4, v17
	v_mov_b32_e32 v32, v33
	;; [unrolled: 1-line block ×3, first 2 shown]
	v_min_u32_e32 v17, s56, v31
	v_lshrrev_b32_sdwa v18, v10, v32 dst_sel:DWORD dst_unused:UNUSED_PAD src0_sel:DWORD src1_sel:BYTE_0
	v_bfe_u32 v17, v18, 0, v17
	v_lshlrev_b32_e32 v18, 2, v17
	v_add_lshl_u32 v18, v18, v23, 2
	v_add_co_u32_e64 v18, s[28:29], v12, v18
	v_add_co_u32_e64 v19, s[28:29], 16, v18
	v_cmp_ne_u32_e64 s[28:29], 0, v17
	v_add_co_u32_e64 v17, s[40:41], -1, v17
	v_addc_co_u32_e64 v18, s[40:41], 0, -1, s[40:41]
	v_xor_b32_e32 v17, s28, v17
	v_xor_b32_e32 v18, s29, v18
	v_and_b32_e32 v17, exec_lo, v17
	v_and_b32_e32 v18, exec_hi, v18
	v_mbcnt_lo_u32_b32 v20, v17, 0
	v_mbcnt_hi_u32_b32 v20, v18, v20
	v_cmp_ne_u64_e64 s[28:29], 0, v[17:18]
	v_cmp_eq_u32_e64 s[40:41], 0, v20
	s_and_b64 s[40:41], s[28:29], s[40:41]
	ds_write_b32 v9, v26
	ds_write_b32 v15, v26
	ds_write_b32 v21, v26
	ds_write_b32 v22, v26
	s_waitcnt lgkmcnt(0)
	s_barrier
	; wave barrier
	s_and_saveexec_b64 s[28:29], s[40:41]
; %bb.94:                               ;   in Loop: Header=BB1536_93 Depth=1
	v_bcnt_u32_b32 v17, v17, 0
	v_bcnt_u32_b32 v17, v18, v17
	ds_write_b32 v19, v17
; %bb.95:                               ;   in Loop: Header=BB1536_93 Depth=1
	s_or_b64 exec, exec, s[28:29]
	; wave barrier
	s_waitcnt lgkmcnt(0)
	s_barrier
	ds_read_b32 v33, v9
	ds_read_b32 v18, v15
	;; [unrolled: 1-line block ×4, first 2 shown]
	s_waitcnt lgkmcnt(2)
	v_add_u32_e32 v35, v18, v33
	s_waitcnt lgkmcnt(0)
	v_add3_u32 v34, v35, v17, v34
	s_nop 1
	v_mov_b32_dpp v35, v34 row_shr:1 row_mask:0xf bank_mask:0xf
	v_cndmask_b32_e64 v35, v35, 0, vcc
	v_add_u32_e32 v34, v35, v34
	s_nop 1
	v_mov_b32_dpp v35, v34 row_shr:2 row_mask:0xf bank_mask:0xf
	v_cndmask_b32_e64 v35, 0, v35, s[4:5]
	v_add_u32_e32 v34, v34, v35
	s_nop 1
	v_mov_b32_dpp v35, v34 row_shr:4 row_mask:0xf bank_mask:0xf
	v_cndmask_b32_e64 v35, 0, v35, s[6:7]
	;; [unrolled: 4-line block ×3, first 2 shown]
	v_add_u32_e32 v34, v34, v35
	s_nop 1
	v_mov_b32_dpp v35, v34 row_bcast:15 row_mask:0xf bank_mask:0xf
	v_cndmask_b32_e64 v35, v35, 0, s[10:11]
	v_add_u32_e32 v34, v34, v35
	s_nop 1
	v_mov_b32_dpp v35, v34 row_bcast:31 row_mask:0xf bank_mask:0xf
	v_cndmask_b32_e64 v35, 0, v35, s[12:13]
	v_add_u32_e32 v34, v34, v35
	s_and_saveexec_b64 s[28:29], s[14:15]
; %bb.96:                               ;   in Loop: Header=BB1536_93 Depth=1
	ds_write_b32 v25, v34
; %bb.97:                               ;   in Loop: Header=BB1536_93 Depth=1
	s_or_b64 exec, exec, s[28:29]
	s_waitcnt lgkmcnt(0)
	s_barrier
	s_and_saveexec_b64 s[28:29], s[16:17]
	s_cbranch_execz .LBB1536_99
; %bb.98:                               ;   in Loop: Header=BB1536_93 Depth=1
	ds_read_b32 v35, v27
	s_waitcnt lgkmcnt(0)
	s_nop 0
	v_mov_b32_dpp v36, v35 row_shr:1 row_mask:0xf bank_mask:0xf
	v_cndmask_b32_e64 v36, v36, 0, s[24:25]
	v_add_u32_e32 v35, v36, v35
	s_nop 1
	v_mov_b32_dpp v36, v35 row_shr:2 row_mask:0xf bank_mask:0xf
	v_cndmask_b32_e64 v36, 0, v36, s[26:27]
	v_add_u32_e32 v35, v35, v36
	ds_write_b32 v27, v35
.LBB1536_99:                            ;   in Loop: Header=BB1536_93 Depth=1
	s_or_b64 exec, exec, s[28:29]
	v_mov_b32_e32 v35, 0
	s_waitcnt lgkmcnt(0)
	s_barrier
	s_and_saveexec_b64 s[28:29], s[18:19]
; %bb.100:                              ;   in Loop: Header=BB1536_93 Depth=1
	ds_read_b32 v35, v28
; %bb.101:                              ;   in Loop: Header=BB1536_93 Depth=1
	s_or_b64 exec, exec, s[28:29]
	s_waitcnt lgkmcnt(0)
	v_add_u32_e32 v34, v35, v34
	ds_bpermute_b32 v34, v24, v34
	v_add_u32_e32 v10, 8, v10
	v_cmp_lt_u32_e64 s[28:29], v10, v11
	s_mov_b64 s[44:45], -1
	s_waitcnt lgkmcnt(0)
	v_cndmask_b32_e64 v34, v34, v35, s[20:21]
	v_cndmask_b32_e64 v34, v34, 0, s[22:23]
	v_add_u32_e32 v33, v34, v33
	v_add_u32_e32 v18, v33, v18
	;; [unrolled: 1-line block ×3, first 2 shown]
	ds_write_b32 v9, v34
	ds_write_b32 v15, v33
	;; [unrolled: 1-line block ×4, first 2 shown]
	s_waitcnt lgkmcnt(0)
	s_barrier
	ds_read_b32 v17, v19
	s_waitcnt lgkmcnt(0)
                                        ; implicit-def: $vgpr33
	v_add_u32_e32 v34, v17, v20
	v_add_co_u32_e64 v19, s[40:41], v12, v34
	v_addc_co_u32_e64 v20, s[40:41], 0, v13, s[40:41]
                                        ; implicit-def: $vgpr17_vgpr18
	s_and_saveexec_b64 s[40:41], s[28:29]
	s_cbranch_execz .LBB1536_92
; %bb.102:                              ;   in Loop: Header=BB1536_93 Depth=1
	v_mad_u64_u32 v[17:18], s[28:29], v34, 7, v[19:20]
	s_barrier
	ds_write_b8 v19, v32
	s_waitcnt lgkmcnt(0)
	s_barrier
	ds_read_u8 v33, v29
	s_waitcnt lgkmcnt(0)
	s_barrier
	ds_write_b64 v17, v[4:5]
	s_waitcnt lgkmcnt(0)
	s_barrier
	ds_read_b64 v[17:18], v30
	v_add_u32_e32 v31, -8, v31
	s_xor_b64 s[44:45], exec, -1
	s_waitcnt lgkmcnt(0)
	s_barrier
	s_branch .LBB1536_92
.LBB1536_103:
	s_or_b64 exec, exec, s[42:43]
	v_mad_u64_u32 v[10:11], s[4:5], v34, 7, v[19:20]
	v_add_u32_e32 v12, v12, v16
	s_barrier
	ds_write_b8 v19, v32
	s_waitcnt lgkmcnt(0)
	s_barrier
	ds_read_u8 v9, v12
	s_waitcnt lgkmcnt(0)
	s_barrier
	ds_write_b64 v10, v[4:5]
	v_mul_u32_u24_e32 v4, 7, v16
	v_add_u32_e32 v4, v12, v4
	s_waitcnt lgkmcnt(0)
	s_barrier
	ds_read_b64 v[4:5], v4
	v_cmp_lt_u32_e32 vcc, v14, v48
	s_waitcnt lgkmcnt(0)
	s_barrier
	s_and_saveexec_b64 s[4:5], vcc
	s_cbranch_execz .LBB1536_105
; %bb.104:
	v_add_co_u32_e32 v2, vcc, v2, v8
	v_addc_co_u32_e32 v3, vcc, 0, v3, vcc
	v_add_co_u32_e32 v2, vcc, v2, v14
	v_addc_co_u32_e32 v3, vcc, 0, v3, vcc
	v_mov_b32_e32 v15, 0
	v_add_co_u32_e32 v6, vcc, v6, v0
	v_addc_co_u32_e32 v7, vcc, v7, v1, vcc
	v_lshlrev_b64 v[0:1], 3, v[14:15]
	v_xor_b32_e32 v8, 1, v9
	v_add_co_u32_e32 v0, vcc, v6, v0
	v_addc_co_u32_e32 v1, vcc, v7, v1, vcc
	flat_store_byte v[2:3], v8
	flat_store_dwordx2 v[0:1], v[4:5]
.LBB1536_105:
	s_or_b64 exec, exec, s[4:5]
.LBB1536_106:
	s_or_b64 exec, exec, s[46:47]
	s_waitcnt vmcnt(0) lgkmcnt(0)
	s_setpc_b64 s[30:31]
.Lfunc_end1536:
	.size	_ZN7rocprim17ROCPRIM_400000_NS6detail40segmented_radix_sort_single_block_helperIblLj256ELj4ELb1EE4sortIPKbPbPKlPlEEbT_T0_T1_T2_jjjjRNS3_12storage_typeE, .Lfunc_end1536-_ZN7rocprim17ROCPRIM_400000_NS6detail40segmented_radix_sort_single_block_helperIblLj256ELj4ELb1EE4sortIPKbPbPKlPlEEbT_T0_T1_T2_jjjjRNS3_12storage_typeE
                                        ; -- End function
	.set .L_ZN7rocprim17ROCPRIM_400000_NS6detail40segmented_radix_sort_single_block_helperIblLj256ELj4ELb1EE4sortIPKbPbPKlPlEEbT_T0_T1_T2_jjjjRNS3_12storage_typeE.num_vgpr, 97
	.set .L_ZN7rocprim17ROCPRIM_400000_NS6detail40segmented_radix_sort_single_block_helperIblLj256ELj4ELb1EE4sortIPKbPbPKlPlEEbT_T0_T1_T2_jjjjRNS3_12storage_typeE.num_agpr, 0
	.set .L_ZN7rocprim17ROCPRIM_400000_NS6detail40segmented_radix_sort_single_block_helperIblLj256ELj4ELb1EE4sortIPKbPbPKlPlEEbT_T0_T1_T2_jjjjRNS3_12storage_typeE.numbered_sgpr, 64
	.set .L_ZN7rocprim17ROCPRIM_400000_NS6detail40segmented_radix_sort_single_block_helperIblLj256ELj4ELb1EE4sortIPKbPbPKlPlEEbT_T0_T1_T2_jjjjRNS3_12storage_typeE.num_named_barrier, 0
	.set .L_ZN7rocprim17ROCPRIM_400000_NS6detail40segmented_radix_sort_single_block_helperIblLj256ELj4ELb1EE4sortIPKbPbPKlPlEEbT_T0_T1_T2_jjjjRNS3_12storage_typeE.private_seg_size, 0
	.set .L_ZN7rocprim17ROCPRIM_400000_NS6detail40segmented_radix_sort_single_block_helperIblLj256ELj4ELb1EE4sortIPKbPbPKlPlEEbT_T0_T1_T2_jjjjRNS3_12storage_typeE.uses_vcc, 1
	.set .L_ZN7rocprim17ROCPRIM_400000_NS6detail40segmented_radix_sort_single_block_helperIblLj256ELj4ELb1EE4sortIPKbPbPKlPlEEbT_T0_T1_T2_jjjjRNS3_12storage_typeE.uses_flat_scratch, 0
	.set .L_ZN7rocprim17ROCPRIM_400000_NS6detail40segmented_radix_sort_single_block_helperIblLj256ELj4ELb1EE4sortIPKbPbPKlPlEEbT_T0_T1_T2_jjjjRNS3_12storage_typeE.has_dyn_sized_stack, 0
	.set .L_ZN7rocprim17ROCPRIM_400000_NS6detail40segmented_radix_sort_single_block_helperIblLj256ELj4ELb1EE4sortIPKbPbPKlPlEEbT_T0_T1_T2_jjjjRNS3_12storage_typeE.has_recursion, 0
	.set .L_ZN7rocprim17ROCPRIM_400000_NS6detail40segmented_radix_sort_single_block_helperIblLj256ELj4ELb1EE4sortIPKbPbPKlPlEEbT_T0_T1_T2_jjjjRNS3_12storage_typeE.has_indirect_call, 0
	.section	.AMDGPU.csdata,"",@progbits
; Function info:
; codeLenInByte = 6660
; TotalNumSgprs: 68
; NumVgprs: 97
; ScratchSize: 0
; MemoryBound: 1
	.section	.text._ZN7rocprim17ROCPRIM_400000_NS6detail17trampoline_kernelINS0_14default_configENS1_36segmented_radix_sort_config_selectorIblEEZNS1_25segmented_radix_sort_implIS3_Lb1EPKbPbPKlPlN2at6native12_GLOBAL__N_18offset_tEEE10hipError_tPvRmT1_PNSt15iterator_traitsISK_E10value_typeET2_T3_PNSL_ISQ_E10value_typeET4_jRbjT5_SW_jjP12ihipStream_tbEUlT_E_NS1_11comp_targetILNS1_3genE2ELNS1_11target_archE906ELNS1_3gpuE6ELNS1_3repE0EEENS1_30default_config_static_selectorELNS0_4arch9wavefront6targetE1EEEvSK_,"axG",@progbits,_ZN7rocprim17ROCPRIM_400000_NS6detail17trampoline_kernelINS0_14default_configENS1_36segmented_radix_sort_config_selectorIblEEZNS1_25segmented_radix_sort_implIS3_Lb1EPKbPbPKlPlN2at6native12_GLOBAL__N_18offset_tEEE10hipError_tPvRmT1_PNSt15iterator_traitsISK_E10value_typeET2_T3_PNSL_ISQ_E10value_typeET4_jRbjT5_SW_jjP12ihipStream_tbEUlT_E_NS1_11comp_targetILNS1_3genE2ELNS1_11target_archE906ELNS1_3gpuE6ELNS1_3repE0EEENS1_30default_config_static_selectorELNS0_4arch9wavefront6targetE1EEEvSK_,comdat
	.globl	_ZN7rocprim17ROCPRIM_400000_NS6detail17trampoline_kernelINS0_14default_configENS1_36segmented_radix_sort_config_selectorIblEEZNS1_25segmented_radix_sort_implIS3_Lb1EPKbPbPKlPlN2at6native12_GLOBAL__N_18offset_tEEE10hipError_tPvRmT1_PNSt15iterator_traitsISK_E10value_typeET2_T3_PNSL_ISQ_E10value_typeET4_jRbjT5_SW_jjP12ihipStream_tbEUlT_E_NS1_11comp_targetILNS1_3genE2ELNS1_11target_archE906ELNS1_3gpuE6ELNS1_3repE0EEENS1_30default_config_static_selectorELNS0_4arch9wavefront6targetE1EEEvSK_ ; -- Begin function _ZN7rocprim17ROCPRIM_400000_NS6detail17trampoline_kernelINS0_14default_configENS1_36segmented_radix_sort_config_selectorIblEEZNS1_25segmented_radix_sort_implIS3_Lb1EPKbPbPKlPlN2at6native12_GLOBAL__N_18offset_tEEE10hipError_tPvRmT1_PNSt15iterator_traitsISK_E10value_typeET2_T3_PNSL_ISQ_E10value_typeET4_jRbjT5_SW_jjP12ihipStream_tbEUlT_E_NS1_11comp_targetILNS1_3genE2ELNS1_11target_archE906ELNS1_3gpuE6ELNS1_3repE0EEENS1_30default_config_static_selectorELNS0_4arch9wavefront6targetE1EEEvSK_
	.p2align	8
	.type	_ZN7rocprim17ROCPRIM_400000_NS6detail17trampoline_kernelINS0_14default_configENS1_36segmented_radix_sort_config_selectorIblEEZNS1_25segmented_radix_sort_implIS3_Lb1EPKbPbPKlPlN2at6native12_GLOBAL__N_18offset_tEEE10hipError_tPvRmT1_PNSt15iterator_traitsISK_E10value_typeET2_T3_PNSL_ISQ_E10value_typeET4_jRbjT5_SW_jjP12ihipStream_tbEUlT_E_NS1_11comp_targetILNS1_3genE2ELNS1_11target_archE906ELNS1_3gpuE6ELNS1_3repE0EEENS1_30default_config_static_selectorELNS0_4arch9wavefront6targetE1EEEvSK_,@function
_ZN7rocprim17ROCPRIM_400000_NS6detail17trampoline_kernelINS0_14default_configENS1_36segmented_radix_sort_config_selectorIblEEZNS1_25segmented_radix_sort_implIS3_Lb1EPKbPbPKlPlN2at6native12_GLOBAL__N_18offset_tEEE10hipError_tPvRmT1_PNSt15iterator_traitsISK_E10value_typeET2_T3_PNSL_ISQ_E10value_typeET4_jRbjT5_SW_jjP12ihipStream_tbEUlT_E_NS1_11comp_targetILNS1_3genE2ELNS1_11target_archE906ELNS1_3gpuE6ELNS1_3repE0EEENS1_30default_config_static_selectorELNS0_4arch9wavefront6targetE1EEEvSK_: ; @_ZN7rocprim17ROCPRIM_400000_NS6detail17trampoline_kernelINS0_14default_configENS1_36segmented_radix_sort_config_selectorIblEEZNS1_25segmented_radix_sort_implIS3_Lb1EPKbPbPKlPlN2at6native12_GLOBAL__N_18offset_tEEE10hipError_tPvRmT1_PNSt15iterator_traitsISK_E10value_typeET2_T3_PNSL_ISQ_E10value_typeET4_jRbjT5_SW_jjP12ihipStream_tbEUlT_E_NS1_11comp_targetILNS1_3genE2ELNS1_11target_archE906ELNS1_3gpuE6ELNS1_3repE0EEENS1_30default_config_static_selectorELNS0_4arch9wavefront6targetE1EEEvSK_
; %bb.0:
	s_add_u32 s0, s0, s8
	s_mov_b64 s[34:35], s[4:5]
	s_load_dwordx2 s[4:5], s[4:5], 0x38
	s_nop 0
	s_load_dwordx4 s[8:11], s[34:35], 0x40
	s_mov_b32 s33, s7
	s_mov_b32 s7, 0
	s_addc_u32 s1, s1, 0
	s_lshl_b64 s[12:13], s[6:7], 2
	s_waitcnt lgkmcnt(0)
	s_add_u32 s4, s4, s12
	s_addc_u32 s5, s5, s13
	s_load_dword s4, s[4:5], 0x0
	s_mov_b32 s32, 0
	s_waitcnt lgkmcnt(0)
	s_add_i32 s74, s4, s9
	s_add_i32 s75, s4, s11
	s_mul_i32 s74, s74, s8
	s_mul_i32 s75, s75, s10
	s_cmp_le_u32 s75, s74
	s_cbranch_scc1 .LBB1537_414
; %bb.1:
	s_load_dword s4, s[34:35], 0x30
	s_load_dwordx4 s[64:67], s[34:35], 0x20
	s_load_dwordx4 s[68:71], s[34:35], 0x50
	s_load_dwordx8 s[48:55], s[34:35], 0x0
	s_waitcnt lgkmcnt(0)
	s_bitcmp1_b32 s4, 0
	s_cselect_b64 s[72:73], -1, 0
	s_sub_i32 s71, s75, s74
	s_cmpk_lt_u32 s71, 0x401
	s_mov_b64 s[4:5], -1
	s_cbranch_scc0 .LBB1537_7
; %bb.2:
	s_and_b32 s4, s68, 1
	v_cndmask_b32_e64 v3, 0, 1, s[72:73]
	v_cmp_ne_u32_e32 vcc, s4, v3
	s_mov_b64 s[4:5], -1
	v_lshlrev_b32_e32 v41, 20, v2
	v_lshlrev_b32_e32 v42, 10, v1
	s_cbranch_vccnz .LBB1537_4
; %bb.3:
	s_add_u32 s8, s34, 0x60
	s_mov_b64 s[4:5], src_shared_base
	s_addc_u32 s9, s35, 0
	s_getpc_b64 s[10:11]
	s_add_u32 s10, s10, _ZN7rocprim17ROCPRIM_400000_NS6detail40segmented_radix_sort_single_block_helperIblLj256ELj4ELb1EE4sortIPKbPbPKlPlEEbT_T0_T1_T2_jjjjRNS3_12storage_typeE@rel32@lo+4
	s_addc_u32 s11, s11, _ZN7rocprim17ROCPRIM_400000_NS6detail40segmented_radix_sort_single_block_helperIblLj256ELj4ELb1EE4sortIPKbPbPKlPlEEbT_T0_T1_T2_jjjjRNS3_12storage_typeE@rel32@hi+12
	v_or3_b32 v31, v0, v42, v41
	s_mov_b32 s12, s6
	s_mov_b32 s13, s33
	v_mov_b32_e32 v40, v0
	v_mov_b32_e32 v0, s48
	;; [unrolled: 1-line block ×17, first 2 shown]
	s_mov_b32 s36, s6
	s_swappc_b64 s[30:31], s[10:11]
	v_mov_b32_e32 v1, v43
	v_mov_b32_e32 v2, v44
	v_mov_b32_e32 v0, v40
	s_mov_b32 s6, s36
	s_mov_b64 s[4:5], 0
.LBB1537_4:
	s_andn2_b64 vcc, exec, s[4:5]
	s_cbranch_vccnz .LBB1537_6
; %bb.5:
	s_add_u32 s8, s34, 0x60
	s_mov_b64 s[4:5], src_shared_base
	s_addc_u32 s9, s35, 0
	s_getpc_b64 s[10:11]
	s_add_u32 s10, s10, _ZN7rocprim17ROCPRIM_400000_NS6detail40segmented_radix_sort_single_block_helperIblLj256ELj4ELb1EE4sortIPKbPbPKlPlEEbT_T0_T1_T2_jjjjRNS3_12storage_typeE@rel32@lo+4
	s_addc_u32 s11, s11, _ZN7rocprim17ROCPRIM_400000_NS6detail40segmented_radix_sort_single_block_helperIblLj256ELj4ELb1EE4sortIPKbPbPKlPlEEbT_T0_T1_T2_jjjjRNS3_12storage_typeE@rel32@hi+12
	v_or3_b32 v31, v0, v42, v41
	s_mov_b32 s12, s6
	s_mov_b32 s13, s33
	v_mov_b32_e32 v40, v0
	v_mov_b32_e32 v0, s48
	;; [unrolled: 1-line block ×17, first 2 shown]
	s_mov_b32 s36, s6
	s_swappc_b64 s[30:31], s[10:11]
	v_mov_b32_e32 v1, v41
	v_mov_b32_e32 v2, v42
	;; [unrolled: 1-line block ×3, first 2 shown]
	s_mov_b32 s6, s36
.LBB1537_6:
	s_mov_b64 s[4:5], 0
.LBB1537_7:
	s_andn2_b64 vcc, exec, s[4:5]
	s_cbranch_vccnz .LBB1537_414
; %bb.8:
	s_cmp_ge_u32 s69, s70
	s_cbranch_scc1 .LBB1537_414
; %bb.9:
	v_and_b32_e32 v3, 3, v0
	v_lshlrev_b32_e32 v24, 2, v3
	v_or_b32_e32 v3, 63, v0
	v_lshlrev_b32_e32 v18, 2, v0
	v_cmp_eq_u32_e64 s[8:9], v0, v3
	v_lshrrev_b32_e32 v3, 4, v0
	v_mov_b32_e32 v4, s53
	v_add_co_u32_e32 v22, vcc, s52, v0
	v_and_b32_e32 v26, 12, v3
	v_and_b32_e32 v3, 0x300, v18
	v_addc_co_u32_e32 v23, vcc, 0, v4, vcc
	v_lshlrev_b32_e32 v5, 3, v3
	v_mov_b32_e32 v6, s67
	v_add_co_u32_e32 v28, vcc, s66, v5
	v_addc_co_u32_e32 v29, vcc, 0, v6, vcc
	v_mov_b32_e32 v6, s53
	v_add_co_u32_e32 v30, vcc, s52, v3
	v_addc_co_u32_e32 v31, vcc, 0, v6, vcc
	v_mov_b32_e32 v6, s51
	v_add_co_u32_e32 v32, vcc, s50, v0
	v_addc_co_u32_e32 v33, vcc, 0, v6, vcc
	v_mov_b32_e32 v6, s65
	v_add_co_u32_e32 v34, vcc, s64, v5
	v_addc_co_u32_e32 v35, vcc, 0, v6, vcc
	v_mov_b32_e32 v6, s51
	v_add_co_u32_e32 v36, vcc, s50, v3
	v_addc_co_u32_e32 v37, vcc, 0, v6, vcc
	v_mov_b32_e32 v6, s49
	v_add_co_u32_e32 v38, vcc, s48, v0
	v_addc_co_u32_e32 v39, vcc, 0, v6, vcc
	v_mov_b32_e32 v6, s55
	v_add_co_u32_e32 v40, vcc, s54, v5
	v_addc_co_u32_e32 v41, vcc, 0, v6, vcc
	v_mov_b32_e32 v5, s49
	v_add_co_u32_e32 v42, vcc, s48, v3
	v_addc_co_u32_e32 v43, vcc, 0, v5, vcc
	v_mbcnt_lo_u32_b32 v5, -1, 0
	v_mbcnt_hi_u32_b32 v44, -1, v5
	v_mad_u32_u24 v25, v0, 12, v18
	v_lshlrev_b32_e32 v4, 4, v0
	v_and_b32_e32 v45, 63, v44
	s_movk_i32 s4, 0x100
	s_add_u32 s46, s34, 0x60
	v_add_u32_e32 v27, v25, v18
	v_sub_u32_e32 v4, 0, v4
	s_movk_i32 s7, 0xff
	v_or_b32_e32 v46, v45, v3
	v_or_b32_e32 v19, 0x100, v0
	;; [unrolled: 1-line block ×4, first 2 shown]
	v_cmp_gt_u32_e64 s[4:5], s4, v0
	v_cmp_gt_u32_e64 s[10:11], 4, v0
	v_cmp_lt_u32_e64 s[12:13], 63, v0
	s_addc_u32 s47, s35, 0
	s_mov_b32 s57, 0
	v_cmp_eq_u32_e64 s[14:15], 0, v0
	v_cmp_ne_u32_e64 s[16:17], s7, v0
	v_add_u32_e32 v47, v27, v4
	s_mov_b32 s7, s69
	v_or_b32_e32 v48, 0x2400, v26
	v_or_b32_e32 v49, 0x2400, v18
	v_add_u32_e32 v50, 0x23fc, v26
	v_mul_u32_u24_e32 v51, 7, v0
	v_mov_b32_e32 v52, 1
	v_add_u32_e32 v53, 0x410, v27
	v_add_u32_e32 v54, 0x418, v27
	v_and_b32_e32 v55, 15, v44
	v_bfe_i32 v56, v44, 4, 1
	v_and_b32_e32 v57, 16, v44
	v_and_b32_e32 v58, 3, v44
	;; [unrolled: 1-line block ×3, first 2 shown]
	v_lshlrev_b32_e32 v60, 3, v45
	v_or_b32_e32 v61, 64, v46
	v_or_b32_e32 v62, 0x80, v46
	v_or_b32_e32 v63, 0xc0, v46
	v_mov_b32_e32 v4, 0
	s_branch .LBB1537_12
.LBB1537_10:                            ;   in Loop: Header=BB1537_12 Depth=1
	s_waitcnt lgkmcnt(0)
	s_barrier
.LBB1537_11:                            ;   in Loop: Header=BB1537_12 Depth=1
	s_add_i32 s7, s7, 8
	s_cmp_ge_u32 s7, s70
	s_cbranch_scc1 .LBB1537_414
.LBB1537_12:                            ; =>This Loop Header: Depth=1
                                        ;     Child Loop BB1537_16 Depth 2
                                        ;     Child Loop BB1537_48 Depth 2
	;; [unrolled: 1-line block ×8, first 2 shown]
	s_sub_i32 s18, s70, s7
	s_min_u32 s18, s18, 8
	s_lshl_b32 s18, -1, s18
	s_xor_b64 s[72:73], s[72:73], -1
	s_not_b32 s58, s18
	s_cmp_lg_u32 s7, s69
	s_mov_b64 s[18:19], -1
	ds_write2st64_b32 v18, v4, v4 offset1:4
	ds_write2st64_b32 v18, v4, v4 offset0:8 offset1:12
	s_waitcnt lgkmcnt(0)
	s_cbranch_scc0 .LBB1537_214
; %bb.13:                               ;   in Loop: Header=BB1537_12 Depth=1
	s_and_b64 vcc, exec, s[72:73]
	s_cbranch_vccz .LBB1537_113
; %bb.14:                               ;   in Loop: Header=BB1537_12 Depth=1
	v_mov_b32_e32 v3, 0
	s_mov_b32 s20, s71
	s_mov_b32 s23, s74
	v_mov_b32_e32 v7, 0
	v_mov_b32_e32 v6, 0
	;; [unrolled: 1-line block ×3, first 2 shown]
	s_barrier
	s_branch .LBB1537_16
.LBB1537_15:                            ;   in Loop: Header=BB1537_16 Depth=2
	s_or_b64 exec, exec, s[18:19]
	s_addk_i32 s20, 0xfc00
	s_cmp_ge_u32 s21, s75
	s_mov_b32 s23, s21
	s_cbranch_scc1 .LBB1537_36
.LBB1537_16:                            ;   Parent Loop BB1537_12 Depth=1
                                        ; =>  This Inner Loop Header: Depth=2
	s_add_i32 s21, s23, 0x400
	s_cmp_gt_u32 s21, s75
	s_mov_b64 s[18:19], -1
                                        ; implicit-def: $vgpr8
                                        ; implicit-def: $vgpr9
                                        ; implicit-def: $vgpr10
                                        ; implicit-def: $vgpr11
	s_cbranch_scc1 .LBB1537_18
; %bb.17:                               ;   in Loop: Header=BB1537_16 Depth=2
	v_add_co_u32_e32 v12, vcc, s23, v22
	v_addc_co_u32_e32 v13, vcc, 0, v23, vcc
	global_load_ubyte v11, v[12:13], off offset:768
	global_load_ubyte v10, v[12:13], off offset:512
	global_load_ubyte v9, v[12:13], off offset:256
	global_load_ubyte v8, v[12:13], off
	s_mov_b64 s[18:19], 0
.LBB1537_18:                            ;   in Loop: Header=BB1537_16 Depth=2
	s_andn2_b64 vcc, exec, s[18:19]
	s_movk_i32 s22, 0x400
	s_cbranch_vccnz .LBB1537_25
; %bb.19:                               ;   in Loop: Header=BB1537_16 Depth=2
	s_add_u32 s22, s52, s23
	s_addc_u32 s23, s53, 0
	v_cmp_gt_u32_e32 vcc, s20, v0
	s_and_saveexec_b64 s[18:19], vcc
	s_cbranch_execnz .LBB1537_33
; %bb.20:                               ;   in Loop: Header=BB1537_16 Depth=2
	s_or_b64 exec, exec, s[18:19]
	v_cmp_gt_u32_e32 vcc, s20, v19
	s_and_saveexec_b64 s[18:19], vcc
	s_cbranch_execnz .LBB1537_34
.LBB1537_21:                            ;   in Loop: Header=BB1537_16 Depth=2
	s_or_b64 exec, exec, s[18:19]
	v_cmp_gt_u32_e32 vcc, s20, v20
	s_and_saveexec_b64 s[18:19], vcc
	s_cbranch_execnz .LBB1537_35
.LBB1537_22:                            ;   in Loop: Header=BB1537_16 Depth=2
	s_or_b64 exec, exec, s[18:19]
	v_cmp_gt_u32_e32 vcc, s20, v21
	s_and_saveexec_b64 s[18:19], vcc
	s_cbranch_execz .LBB1537_24
.LBB1537_23:                            ;   in Loop: Header=BB1537_16 Depth=2
	v_mov_b32_e32 v5, s23
	s_waitcnt vmcnt(0)
	v_add_co_u32_e32 v8, vcc, s22, v0
	v_addc_co_u32_e32 v9, vcc, 0, v5, vcc
	global_load_ubyte v5, v[8:9], off offset:768
.LBB1537_24:                            ;   in Loop: Header=BB1537_16 Depth=2
	s_or_b64 exec, exec, s[18:19]
	s_mov_b32 s22, s20
	s_waitcnt vmcnt(0)
	v_mov_b32_e32 v8, v3
	v_mov_b32_e32 v9, v7
	;; [unrolled: 1-line block ×4, first 2 shown]
.LBB1537_25:                            ;   in Loop: Header=BB1537_16 Depth=2
	s_waitcnt vmcnt(3)
	v_mov_b32_e32 v5, v11
	s_waitcnt vmcnt(2)
	v_mov_b32_e32 v6, v10
	;; [unrolled: 2-line block ×4, first 2 shown]
	v_cmp_gt_u32_e32 vcc, s22, v0
	s_and_saveexec_b64 s[18:19], vcc
	s_cbranch_execnz .LBB1537_29
; %bb.26:                               ;   in Loop: Header=BB1537_16 Depth=2
	s_or_b64 exec, exec, s[18:19]
	v_cmp_gt_u32_e32 vcc, s22, v19
	s_and_saveexec_b64 s[18:19], vcc
	s_cbranch_execnz .LBB1537_30
.LBB1537_27:                            ;   in Loop: Header=BB1537_16 Depth=2
	s_or_b64 exec, exec, s[18:19]
	v_cmp_gt_u32_e32 vcc, s22, v20
	s_and_saveexec_b64 s[18:19], vcc
	s_cbranch_execnz .LBB1537_31
.LBB1537_28:                            ;   in Loop: Header=BB1537_16 Depth=2
	s_or_b64 exec, exec, s[18:19]
	v_cmp_gt_u32_e32 vcc, s22, v21
	s_and_saveexec_b64 s[18:19], vcc
	s_cbranch_execz .LBB1537_15
	s_branch .LBB1537_32
.LBB1537_29:                            ;   in Loop: Header=BB1537_16 Depth=2
	v_xor_b32_e32 v8, -1, v3
	v_and_b32_e32 v8, 1, v8
	v_lshrrev_b32_sdwa v8, s7, v8 dst_sel:DWORD dst_unused:UNUSED_PAD src0_sel:DWORD src1_sel:WORD_0
	v_and_b32_e32 v8, s58, v8
	v_lshl_or_b32 v8, v8, 4, v24
	ds_add_u32 v8, v52
	s_or_b64 exec, exec, s[18:19]
	v_cmp_gt_u32_e32 vcc, s22, v19
	s_and_saveexec_b64 s[18:19], vcc
	s_cbranch_execz .LBB1537_27
.LBB1537_30:                            ;   in Loop: Header=BB1537_16 Depth=2
	v_xor_b32_e32 v8, -1, v7
	v_and_b32_e32 v8, 1, v8
	v_lshrrev_b32_sdwa v8, s7, v8 dst_sel:DWORD dst_unused:UNUSED_PAD src0_sel:DWORD src1_sel:WORD_0
	v_and_b32_e32 v8, s58, v8
	v_lshl_or_b32 v8, v8, 4, v24
	ds_add_u32 v8, v52
	s_or_b64 exec, exec, s[18:19]
	v_cmp_gt_u32_e32 vcc, s22, v20
	s_and_saveexec_b64 s[18:19], vcc
	s_cbranch_execz .LBB1537_28
.LBB1537_31:                            ;   in Loop: Header=BB1537_16 Depth=2
	v_xor_b32_e32 v8, -1, v6
	v_and_b32_e32 v8, 1, v8
	v_lshrrev_b32_sdwa v8, s7, v8 dst_sel:DWORD dst_unused:UNUSED_PAD src0_sel:DWORD src1_sel:WORD_0
	v_and_b32_e32 v8, s58, v8
	v_lshl_or_b32 v8, v8, 4, v24
	ds_add_u32 v8, v52
	s_or_b64 exec, exec, s[18:19]
	v_cmp_gt_u32_e32 vcc, s22, v21
	s_and_saveexec_b64 s[18:19], vcc
	s_cbranch_execz .LBB1537_15
.LBB1537_32:                            ;   in Loop: Header=BB1537_16 Depth=2
	v_xor_b32_e32 v8, -1, v5
	v_and_b32_e32 v8, 1, v8
	v_lshrrev_b32_sdwa v8, s7, v8 dst_sel:DWORD dst_unused:UNUSED_PAD src0_sel:DWORD src1_sel:WORD_0
	v_and_b32_e32 v8, s58, v8
	v_lshl_or_b32 v8, v8, 4, v24
	ds_add_u32 v8, v52
	s_branch .LBB1537_15
.LBB1537_33:                            ;   in Loop: Header=BB1537_16 Depth=2
	v_mov_b32_e32 v3, s23
	s_waitcnt vmcnt(0)
	v_add_co_u32_e32 v8, vcc, s22, v0
	v_addc_co_u32_e32 v9, vcc, 0, v3, vcc
	global_load_ubyte v3, v[8:9], off
	s_or_b64 exec, exec, s[18:19]
	v_cmp_gt_u32_e32 vcc, s20, v19
	s_and_saveexec_b64 s[18:19], vcc
	s_cbranch_execz .LBB1537_21
.LBB1537_34:                            ;   in Loop: Header=BB1537_16 Depth=2
	s_waitcnt vmcnt(0)
	v_mov_b32_e32 v8, s23
	v_add_co_u32_e32 v7, vcc, s22, v0
	v_addc_co_u32_e32 v8, vcc, 0, v8, vcc
	global_load_ubyte v7, v[7:8], off offset:256
	s_or_b64 exec, exec, s[18:19]
	v_cmp_gt_u32_e32 vcc, s20, v20
	s_and_saveexec_b64 s[18:19], vcc
	s_cbranch_execz .LBB1537_22
.LBB1537_35:                            ;   in Loop: Header=BB1537_16 Depth=2
	v_mov_b32_e32 v6, s23
	s_waitcnt vmcnt(0)
	v_add_co_u32_e32 v8, vcc, s22, v0
	v_addc_co_u32_e32 v9, vcc, 0, v6, vcc
	global_load_ubyte v6, v[8:9], off offset:512
	s_or_b64 exec, exec, s[18:19]
	v_cmp_gt_u32_e32 vcc, s20, v21
	s_and_saveexec_b64 s[18:19], vcc
	s_cbranch_execnz .LBB1537_23
	s_branch .LBB1537_24
.LBB1537_36:                            ;   in Loop: Header=BB1537_12 Depth=1
	v_mov_b32_e32 v3, 0
	s_waitcnt lgkmcnt(0)
	s_barrier
	s_and_saveexec_b64 s[18:19], s[4:5]
	s_cbranch_execz .LBB1537_38
; %bb.37:                               ;   in Loop: Header=BB1537_12 Depth=1
	ds_read2_b64 v[5:8], v25 offset1:1
	s_waitcnt lgkmcnt(0)
	v_add_u32_e32 v3, v6, v5
	v_add3_u32 v3, v3, v7, v8
.LBB1537_38:                            ;   in Loop: Header=BB1537_12 Depth=1
	s_or_b64 exec, exec, s[18:19]
	s_nop 0
	v_mov_b32_dpp v5, v3 row_shr:1 row_mask:0xf bank_mask:0xf
	v_cmp_eq_u32_e64 s[18:19], 0, v55
	v_cndmask_b32_e64 v5, v5, 0, s[18:19]
	v_add_u32_e32 v3, v5, v3
	v_cmp_lt_u32_e64 s[20:21], 1, v55
	v_cmp_lt_u32_e64 s[22:23], 3, v55
	v_mov_b32_dpp v5, v3 row_shr:2 row_mask:0xf bank_mask:0xf
	v_cndmask_b32_e64 v5, 0, v5, s[20:21]
	v_add_u32_e32 v3, v3, v5
	v_cmp_lt_u32_e64 s[24:25], 7, v55
	v_cmp_lt_u32_e64 s[28:29], 31, v44
	v_mov_b32_dpp v5, v3 row_shr:4 row_mask:0xf bank_mask:0xf
	v_cndmask_b32_e64 v5, 0, v5, s[22:23]
	v_add_u32_e32 v3, v3, v5
	v_cmp_eq_u32_e64 s[26:27], 0, v57
	s_nop 0
	v_mov_b32_dpp v5, v3 row_shr:8 row_mask:0xf bank_mask:0xf
	v_cndmask_b32_e64 v5, 0, v5, s[24:25]
	v_add_u32_e32 v3, v3, v5
	s_nop 1
	v_mov_b32_dpp v5, v3 row_bcast:15 row_mask:0xf bank_mask:0xf
	v_and_b32_e32 v5, v56, v5
	v_add_u32_e32 v3, v3, v5
	s_nop 1
	v_mov_b32_dpp v5, v3 row_bcast:31 row_mask:0xf bank_mask:0xf
	v_cndmask_b32_e64 v5, 0, v5, s[28:29]
	v_add_u32_e32 v3, v3, v5
	s_and_saveexec_b64 s[30:31], s[8:9]
; %bb.39:                               ;   in Loop: Header=BB1537_12 Depth=1
	ds_write_b32 v48, v3
; %bb.40:                               ;   in Loop: Header=BB1537_12 Depth=1
	s_or_b64 exec, exec, s[30:31]
	s_waitcnt lgkmcnt(0)
	s_barrier
	s_and_saveexec_b64 s[30:31], s[10:11]
	s_cbranch_execz .LBB1537_42
; %bb.41:                               ;   in Loop: Header=BB1537_12 Depth=1
	ds_read_b32 v5, v49
	v_cmp_ne_u32_e32 vcc, 0, v58
	s_waitcnt lgkmcnt(0)
	v_mov_b32_dpp v6, v5 row_shr:1 row_mask:0xf bank_mask:0xf
	v_cndmask_b32_e32 v6, 0, v6, vcc
	v_add_u32_e32 v5, v6, v5
	v_cmp_lt_u32_e32 vcc, 1, v58
	s_nop 0
	v_mov_b32_dpp v6, v5 row_shr:2 row_mask:0xf bank_mask:0xf
	v_cndmask_b32_e32 v6, 0, v6, vcc
	v_add_u32_e32 v5, v5, v6
	ds_write_b32 v49, v5
.LBB1537_42:                            ;   in Loop: Header=BB1537_12 Depth=1
	s_or_b64 exec, exec, s[30:31]
	v_mov_b32_e32 v5, 0
	s_waitcnt lgkmcnt(0)
	s_barrier
	s_and_saveexec_b64 s[30:31], s[12:13]
; %bb.43:                               ;   in Loop: Header=BB1537_12 Depth=1
	ds_read_b32 v5, v50
; %bb.44:                               ;   in Loop: Header=BB1537_12 Depth=1
	s_or_b64 exec, exec, s[30:31]
	v_subrev_co_u32_e64 v6, s[30:31], 1, v44
	v_cmp_lt_i32_e32 vcc, v6, v59
	v_cndmask_b32_e32 v6, v6, v44, vcc
	s_waitcnt lgkmcnt(0)
	v_add_u32_e32 v3, v5, v3
	v_lshlrev_b32_e32 v64, 2, v6
	ds_bpermute_b32 v3, v64, v3
	s_waitcnt lgkmcnt(0)
	s_barrier
	s_and_saveexec_b64 s[34:35], s[4:5]
; %bb.45:                               ;   in Loop: Header=BB1537_12 Depth=1
	v_cndmask_b32_e64 v3, v3, v5, s[30:31]
	v_add_u32_e32 v3, s74, v3
	ds_write_b32 v18, v3
; %bb.46:                               ;   in Loop: Header=BB1537_12 Depth=1
	s_or_b64 exec, exec, s[34:35]
	s_load_dword s34, s[46:47], 0x4
	s_load_dword s38, s[46:47], 0xc
	v_add_co_u32_e32 v65, vcc, v28, v60
	v_addc_co_u32_e32 v66, vcc, 0, v29, vcc
	s_waitcnt lgkmcnt(0)
	s_cmp_lt_u32 s33, s34
	s_cselect_b32 s34, 14, 20
	s_add_u32 s34, s46, s34
	s_addc_u32 s35, s47, 0
	global_load_ushort v3, v4, s[34:35]
	s_and_b32 s38, s38, 0xffff
	v_add_co_u32_e32 v67, vcc, v30, v45
	v_cmp_eq_u32_e64 s[34:35], 0, v58
	v_cmp_lt_u32_e64 s[36:37], 1, v58
	v_addc_co_u32_e32 v68, vcc, 0, v31, vcc
	s_mov_b32 s59, s71
	s_mov_b32 s56, s74
                                        ; implicit-def: $vgpr5_vgpr6
                                        ; implicit-def: $vgpr7_vgpr8
                                        ; implicit-def: $vgpr9_vgpr10
                                        ; implicit-def: $vgpr11_vgpr12
                                        ; implicit-def: $vgpr69
                                        ; implicit-def: $vgpr70
                                        ; implicit-def: $vgpr72
                                        ; implicit-def: $vgpr73
	s_waitcnt vmcnt(0)
	v_mad_u32_u24 v3, v2, v3, v1
	v_mad_u64_u32 v[13:14], s[38:39], v3, s38, v[0:1]
	v_lshrrev_b32_e32 v3, 4, v13
	v_and_b32_e32 v71, 0xffffffc, v3
	s_branch .LBB1537_48
.LBB1537_47:                            ;   in Loop: Header=BB1537_48 Depth=2
	s_or_b64 exec, exec, s[38:39]
	s_addk_i32 s59, 0xfc00
	s_cmp_lt_u32 s60, s75
	s_mov_b32 s56, s60
	s_cbranch_scc0 .LBB1537_112
.LBB1537_48:                            ;   Parent Loop BB1537_12 Depth=1
                                        ; =>  This Inner Loop Header: Depth=2
	s_add_i32 s60, s56, 0x400
	s_cmp_gt_u32 s60, s75
	s_cbranch_scc1 .LBB1537_50
; %bb.49:                               ;   in Loop: Header=BB1537_48 Depth=2
	v_add_co_u32_e32 v13, vcc, s56, v67
	v_addc_co_u32_e32 v14, vcc, 0, v68, vcc
	global_load_ubyte v15, v[13:14], off offset:128
	global_load_ubyte v16, v[13:14], off offset:64
	global_load_ubyte v3, v[13:14], off
	s_mov_b64 s[38:39], -1
	s_movk_i32 s42, 0x400
                                        ; implicit-def: $vgpr17
	s_cbranch_execz .LBB1537_51
	s_branch .LBB1537_58
.LBB1537_50:                            ;   in Loop: Header=BB1537_48 Depth=2
	s_mov_b64 s[38:39], 0
                                        ; implicit-def: $vgpr3
                                        ; implicit-def: $vgpr16
                                        ; implicit-def: $vgpr15
	s_movk_i32 s42, 0x400
                                        ; implicit-def: $vgpr17
.LBB1537_51:                            ;   in Loop: Header=BB1537_48 Depth=2
	v_add_co_u32_e32 v13, vcc, s56, v67
	v_addc_co_u32_e32 v14, vcc, 0, v68, vcc
	v_cmp_gt_u32_e32 vcc, s59, v46
	s_waitcnt vmcnt(2)
	v_mov_b32_e32 v15, 0
	s_waitcnt vmcnt(0)
	v_mov_b32_e32 v3, 0
	v_mov_b32_e32 v17, 0
	s_and_saveexec_b64 s[38:39], vcc
	s_cbranch_execz .LBB1537_53
; %bb.52:                               ;   in Loop: Header=BB1537_48 Depth=2
	global_load_ubyte v3, v[13:14], off
	v_mov_b32_e32 v17, 0
.LBB1537_53:                            ;   in Loop: Header=BB1537_48 Depth=2
	s_or_b64 exec, exec, s[38:39]
	v_cmp_gt_u32_e32 vcc, s59, v61
	v_mov_b32_e32 v16, v15
	s_and_saveexec_b64 s[38:39], vcc
	s_cbranch_execz .LBB1537_55
; %bb.54:                               ;   in Loop: Header=BB1537_48 Depth=2
	global_load_ubyte v16, v[13:14], off offset:64
.LBB1537_55:                            ;   in Loop: Header=BB1537_48 Depth=2
	s_or_b64 exec, exec, s[38:39]
	v_cmp_gt_u32_e32 vcc, s59, v62
	s_and_saveexec_b64 s[38:39], vcc
	s_cbranch_execz .LBB1537_57
; %bb.56:                               ;   in Loop: Header=BB1537_48 Depth=2
	global_load_ubyte v15, v[13:14], off offset:128
.LBB1537_57:                            ;   in Loop: Header=BB1537_48 Depth=2
	s_or_b64 exec, exec, s[38:39]
	s_sub_i32 s42, s75, s56
	v_cmp_gt_u32_e64 s[38:39], s59, v63
.LBB1537_58:                            ;   in Loop: Header=BB1537_48 Depth=2
	v_mov_b32_e32 v74, s59
	s_and_saveexec_b64 s[40:41], s[38:39]
	s_cbranch_execz .LBB1537_60
; %bb.59:                               ;   in Loop: Header=BB1537_48 Depth=2
	v_mov_b32_e32 v14, s57
	v_add_co_u32_e32 v13, vcc, s56, v67
	v_addc_co_u32_e32 v14, vcc, v68, v14, vcc
	global_load_ubyte v17, v[13:14], off offset:192
	v_mov_b32_e32 v74, s42
.LBB1537_60:                            ;   in Loop: Header=BB1537_48 Depth=2
	s_or_b64 exec, exec, s[40:41]
	s_waitcnt vmcnt(0)
	v_and_b32_e32 v3, 1, v3
	v_and_b32_e32 v13, 1, v16
	v_cmp_eq_u32_e64 s[42:43], 1, v3
	v_cmp_eq_u32_e64 s[40:41], 1, v13
	v_and_b32_e32 v13, 1, v15
	s_xor_b64 s[42:43], s[42:43], -1
	v_cmp_eq_u32_e64 s[38:39], 1, v13
	v_and_b32_e32 v13, 1, v17
	v_cndmask_b32_e64 v17, 0, 1, s[42:43]
	v_lshrrev_b32_e32 v3, s7, v17
	v_and_b32_e32 v3, s58, v3
	v_mul_u32_u24_e32 v15, 20, v3
	v_cmp_ne_u32_e64 s[42:43], 0, v3
	v_add_co_u32_e64 v3, s[44:45], -1, v3
	v_cmp_eq_u32_e32 vcc, 1, v13
	v_addc_co_u32_e64 v13, s[44:45], 0, -1, s[44:45]
	v_xor_b32_e32 v13, s43, v13
	v_xor_b32_e32 v3, s42, v3
	v_and_b32_e32 v14, exec_hi, v13
	v_and_b32_e32 v13, exec_lo, v3
	v_mbcnt_lo_u32_b32 v3, v13, 0
	v_mbcnt_hi_u32_b32 v3, v14, v3
	v_cmp_ne_u64_e64 s[42:43], 0, v[13:14]
	v_cmp_eq_u32_e64 s[44:45], 0, v3
	s_and_b64 s[44:45], s[42:43], s[44:45]
	v_add_u32_e32 v75, v71, v15
	ds_write2_b32 v53, v4, v4 offset1:1
	ds_write2_b32 v54, v4, v4 offset1:1
	ds_write_b32 v27, v4 offset:1056
	s_waitcnt lgkmcnt(0)
	s_barrier
	; wave barrier
	s_and_saveexec_b64 s[42:43], s[44:45]
; %bb.61:                               ;   in Loop: Header=BB1537_48 Depth=2
	v_bcnt_u32_b32 v13, v13, 0
	v_bcnt_u32_b32 v13, v14, v13
	ds_write_b32 v75, v13 offset:1040
; %bb.62:                               ;   in Loop: Header=BB1537_48 Depth=2
	s_or_b64 exec, exec, s[42:43]
	s_xor_b64 s[40:41], s[40:41], -1
	v_cndmask_b32_e64 v76, 0, 1, s[40:41]
	v_lshrrev_b32_e32 v13, s7, v76
	v_and_b32_e32 v13, s58, v13
	v_mul_u32_u24_e32 v15, 20, v13
	v_mad_u32_u24 v14, v13, 20, v71
	v_cmp_ne_u32_e64 s[40:41], 0, v13
	v_add_co_u32_e64 v13, s[42:43], -1, v13
	; wave barrier
	ds_read_b32 v77, v14 offset:1040
	v_addc_co_u32_e64 v14, s[42:43], 0, -1, s[42:43]
	v_xor_b32_e32 v13, s40, v13
	v_xor_b32_e32 v14, s41, v14
	v_and_b32_e32 v13, exec_lo, v13
	v_and_b32_e32 v14, exec_hi, v14
	v_mbcnt_lo_u32_b32 v16, v13, 0
	v_mbcnt_hi_u32_b32 v78, v14, v16
	v_cmp_ne_u64_e64 s[40:41], 0, v[13:14]
	v_cmp_eq_u32_e64 s[42:43], 0, v78
	s_and_b64 s[42:43], s[40:41], s[42:43]
	v_add_u32_e32 v81, v71, v15
	; wave barrier
	s_and_saveexec_b64 s[40:41], s[42:43]
	s_cbranch_execz .LBB1537_64
; %bb.63:                               ;   in Loop: Header=BB1537_48 Depth=2
	v_bcnt_u32_b32 v13, v13, 0
	v_bcnt_u32_b32 v13, v14, v13
	s_waitcnt lgkmcnt(0)
	v_add_u32_e32 v13, v77, v13
	ds_write_b32 v81, v13 offset:1040
.LBB1537_64:                            ;   in Loop: Header=BB1537_48 Depth=2
	s_or_b64 exec, exec, s[40:41]
	s_xor_b64 s[38:39], s[38:39], -1
	v_cndmask_b32_e64 v79, 0, 1, s[38:39]
	v_lshrrev_b32_e32 v13, s7, v79
	v_and_b32_e32 v13, s58, v13
	v_mul_u32_u24_e32 v15, 20, v13
	v_mad_u32_u24 v14, v13, 20, v71
	v_cmp_ne_u32_e64 s[38:39], 0, v13
	v_add_co_u32_e64 v13, s[40:41], -1, v13
	; wave barrier
	ds_read_b32 v80, v14 offset:1040
	v_addc_co_u32_e64 v14, s[40:41], 0, -1, s[40:41]
	v_xor_b32_e32 v13, s38, v13
	v_xor_b32_e32 v14, s39, v14
	v_and_b32_e32 v13, exec_lo, v13
	v_and_b32_e32 v14, exec_hi, v14
	v_mbcnt_lo_u32_b32 v16, v13, 0
	v_mbcnt_hi_u32_b32 v82, v14, v16
	v_cmp_ne_u64_e64 s[38:39], 0, v[13:14]
	v_cmp_eq_u32_e64 s[40:41], 0, v82
	s_and_b64 s[40:41], s[38:39], s[40:41]
	v_add_u32_e32 v85, v71, v15
	; wave barrier
	s_and_saveexec_b64 s[38:39], s[40:41]
	s_cbranch_execz .LBB1537_66
; %bb.65:                               ;   in Loop: Header=BB1537_48 Depth=2
	v_bcnt_u32_b32 v13, v13, 0
	v_bcnt_u32_b32 v13, v14, v13
	s_waitcnt lgkmcnt(0)
	v_add_u32_e32 v13, v80, v13
	ds_write_b32 v85, v13 offset:1040
.LBB1537_66:                            ;   in Loop: Header=BB1537_48 Depth=2
	s_or_b64 exec, exec, s[38:39]
	s_xor_b64 s[38:39], vcc, -1
	v_cndmask_b32_e64 v83, 0, 1, s[38:39]
	v_lshrrev_b32_e32 v13, s7, v83
	v_and_b32_e32 v13, s58, v13
	v_mul_u32_u24_e32 v15, 20, v13
	v_mad_u32_u24 v14, v13, 20, v71
	v_cmp_ne_u32_e32 vcc, 0, v13
	v_add_co_u32_e64 v13, s[38:39], -1, v13
	; wave barrier
	ds_read_b32 v84, v14 offset:1040
	v_addc_co_u32_e64 v14, s[38:39], 0, -1, s[38:39]
	v_xor_b32_e32 v13, vcc_lo, v13
	v_xor_b32_e32 v14, vcc_hi, v14
	v_and_b32_e32 v13, exec_lo, v13
	v_and_b32_e32 v14, exec_hi, v14
	v_mbcnt_lo_u32_b32 v16, v13, 0
	v_mbcnt_hi_u32_b32 v86, v14, v16
	v_cmp_ne_u64_e32 vcc, 0, v[13:14]
	v_cmp_eq_u32_e64 s[38:39], 0, v86
	s_and_b64 s[40:41], vcc, s[38:39]
	v_add_u32_e32 v87, v71, v15
	; wave barrier
	s_and_saveexec_b64 s[38:39], s[40:41]
	s_cbranch_execz .LBB1537_68
; %bb.67:                               ;   in Loop: Header=BB1537_48 Depth=2
	v_bcnt_u32_b32 v13, v13, 0
	v_bcnt_u32_b32 v13, v14, v13
	s_waitcnt lgkmcnt(0)
	v_add_u32_e32 v13, v84, v13
	ds_write_b32 v87, v13 offset:1040
.LBB1537_68:                            ;   in Loop: Header=BB1537_48 Depth=2
	s_or_b64 exec, exec, s[38:39]
	; wave barrier
	s_waitcnt lgkmcnt(0)
	s_barrier
	ds_read2_b32 v[15:16], v53 offset1:1
	ds_read2_b32 v[13:14], v54 offset1:1
	ds_read_b32 v88, v27 offset:1056
	s_waitcnt lgkmcnt(1)
	v_add3_u32 v89, v16, v15, v13
	s_waitcnt lgkmcnt(0)
	v_add3_u32 v88, v89, v14, v88
	s_nop 1
	v_mov_b32_dpp v89, v88 row_shr:1 row_mask:0xf bank_mask:0xf
	v_cndmask_b32_e64 v89, v89, 0, s[18:19]
	v_add_u32_e32 v88, v89, v88
	s_nop 1
	v_mov_b32_dpp v89, v88 row_shr:2 row_mask:0xf bank_mask:0xf
	v_cndmask_b32_e64 v89, 0, v89, s[20:21]
	v_add_u32_e32 v88, v88, v89
	;; [unrolled: 4-line block ×4, first 2 shown]
	s_nop 1
	v_mov_b32_dpp v89, v88 row_bcast:15 row_mask:0xf bank_mask:0xf
	v_cndmask_b32_e64 v89, v89, 0, s[26:27]
	v_add_u32_e32 v88, v88, v89
	s_nop 1
	v_mov_b32_dpp v89, v88 row_bcast:31 row_mask:0xf bank_mask:0xf
	v_cndmask_b32_e64 v89, 0, v89, s[28:29]
	v_add_u32_e32 v88, v88, v89
	s_and_saveexec_b64 s[38:39], s[8:9]
; %bb.69:                               ;   in Loop: Header=BB1537_48 Depth=2
	ds_write_b32 v26, v88 offset:1024
; %bb.70:                               ;   in Loop: Header=BB1537_48 Depth=2
	s_or_b64 exec, exec, s[38:39]
	s_waitcnt lgkmcnt(0)
	s_barrier
	s_and_saveexec_b64 s[38:39], s[10:11]
	s_cbranch_execz .LBB1537_72
; %bb.71:                               ;   in Loop: Header=BB1537_48 Depth=2
	ds_read_b32 v89, v47 offset:1024
	s_waitcnt lgkmcnt(0)
	s_nop 0
	v_mov_b32_dpp v90, v89 row_shr:1 row_mask:0xf bank_mask:0xf
	v_cndmask_b32_e64 v90, v90, 0, s[34:35]
	v_add_u32_e32 v89, v90, v89
	s_nop 1
	v_mov_b32_dpp v90, v89 row_shr:2 row_mask:0xf bank_mask:0xf
	v_cndmask_b32_e64 v90, 0, v90, s[36:37]
	v_add_u32_e32 v89, v89, v90
	ds_write_b32 v47, v89 offset:1024
.LBB1537_72:                            ;   in Loop: Header=BB1537_48 Depth=2
	s_or_b64 exec, exec, s[38:39]
	v_mov_b32_e32 v89, 0
	s_waitcnt lgkmcnt(0)
	s_barrier
	s_and_saveexec_b64 s[38:39], s[12:13]
; %bb.73:                               ;   in Loop: Header=BB1537_48 Depth=2
	ds_read_b32 v89, v26 offset:1020
; %bb.74:                               ;   in Loop: Header=BB1537_48 Depth=2
	s_or_b64 exec, exec, s[38:39]
	s_waitcnt lgkmcnt(0)
	v_add_u32_e32 v88, v89, v88
	ds_bpermute_b32 v88, v64, v88
	s_waitcnt lgkmcnt(0)
	v_cndmask_b32_e64 v88, v88, v89, s[30:31]
	v_cndmask_b32_e64 v88, v88, 0, s[14:15]
	v_add_u32_e32 v15, v88, v15
	v_add_u32_e32 v16, v15, v16
	;; [unrolled: 1-line block ×4, first 2 shown]
	ds_write2_b32 v53, v88, v15 offset1:1
	ds_write2_b32 v54, v16, v13 offset1:1
	ds_write_b32 v27, v14 offset:1056
	s_waitcnt lgkmcnt(0)
	s_barrier
	ds_read_b32 v13, v75 offset:1040
	ds_read_b32 v14, v81 offset:1040
	;; [unrolled: 1-line block ×5, first 2 shown]
	v_mov_b32_e32 v75, 0x400
	s_and_saveexec_b64 s[38:39], s[16:17]
; %bb.75:                               ;   in Loop: Header=BB1537_48 Depth=2
	ds_read_b32 v75, v27 offset:1060
; %bb.76:                               ;   in Loop: Header=BB1537_48 Depth=2
	s_or_b64 exec, exec, s[38:39]
	s_waitcnt lgkmcnt(0)
	s_barrier
	s_and_saveexec_b64 s[38:39], s[4:5]
	s_cbranch_execz .LBB1537_78
; %bb.77:                               ;   in Loop: Header=BB1537_48 Depth=2
	ds_read_b32 v85, v18
	s_waitcnt lgkmcnt(0)
	v_sub_u32_e32 v15, v85, v15
	ds_write_b32 v18, v15
.LBB1537_78:                            ;   in Loop: Header=BB1537_48 Depth=2
	s_or_b64 exec, exec, s[38:39]
	v_add_u32_e32 v15, v13, v3
	v_add3_u32 v14, v78, v77, v14
	v_add3_u32 v13, v82, v80, v16
	;; [unrolled: 1-line block ×3, first 2 shown]
	v_cmp_lt_u32_e64 s[42:43], v0, v74
	ds_write_b8 v15, v17 offset:1024
	ds_write_b8 v14, v76 offset:1024
	;; [unrolled: 1-line block ×4, first 2 shown]
	s_waitcnt lgkmcnt(0)
	s_barrier
	s_and_saveexec_b64 s[38:39], s[42:43]
	s_cbranch_execnz .LBB1537_99
; %bb.79:                               ;   in Loop: Header=BB1537_48 Depth=2
	s_or_b64 exec, exec, s[38:39]
	v_cmp_lt_u32_e64 s[40:41], v19, v74
	s_and_saveexec_b64 s[38:39], s[40:41]
	s_cbranch_execnz .LBB1537_100
.LBB1537_80:                            ;   in Loop: Header=BB1537_48 Depth=2
	s_or_b64 exec, exec, s[38:39]
	v_cmp_lt_u32_e64 s[38:39], v20, v74
	s_and_saveexec_b64 s[44:45], s[38:39]
	s_cbranch_execnz .LBB1537_101
.LBB1537_81:                            ;   in Loop: Header=BB1537_48 Depth=2
	s_or_b64 exec, exec, s[44:45]
	v_cmp_lt_u32_e32 vcc, v21, v74
	s_and_saveexec_b64 s[44:45], vcc
	s_cbranch_execz .LBB1537_83
.LBB1537_82:                            ;   in Loop: Header=BB1537_48 Depth=2
	ds_read_u8 v16, v0 offset:1792
	s_waitcnt lgkmcnt(0)
	v_and_b32_e32 v17, 1, v16
	v_lshrrev_b32_e32 v17, s7, v17
	v_and_b32_e32 v17, s58, v17
	v_lshlrev_b32_e32 v17, 2, v17
	ds_read_b32 v17, v17
	v_xor_b32_e32 v16, 1, v16
	s_waitcnt lgkmcnt(0)
	v_add_u32_e32 v17, v17, v21
	global_store_byte v17, v16, s[50:51]
.LBB1537_83:                            ;   in Loop: Header=BB1537_48 Depth=2
	s_or_b64 exec, exec, s[44:45]
	s_lshl_b64 s[44:45], s[56:57], 3
	v_mov_b32_e32 v17, s45
	v_add_co_u32_e64 v16, s[44:45], s44, v65
	v_addc_co_u32_e64 v17, s[44:45], v66, v17, s[44:45]
	v_cmp_lt_u32_e64 s[44:45], v46, v74
	s_and_saveexec_b64 s[54:55], s[44:45]
	s_xor_b64 s[44:45], exec, s[54:55]
	s_cbranch_execnz .LBB1537_102
; %bb.84:                               ;   in Loop: Header=BB1537_48 Depth=2
	s_or_b64 exec, exec, s[44:45]
	v_cmp_lt_u32_e64 s[44:45], v61, v74
	s_and_saveexec_b64 s[54:55], s[44:45]
	s_cbranch_execnz .LBB1537_103
.LBB1537_85:                            ;   in Loop: Header=BB1537_48 Depth=2
	s_or_b64 exec, exec, s[54:55]
	v_cmp_lt_u32_e64 s[44:45], v62, v74
	s_and_saveexec_b64 s[54:55], s[44:45]
	s_cbranch_execnz .LBB1537_104
.LBB1537_86:                            ;   in Loop: Header=BB1537_48 Depth=2
	s_or_b64 exec, exec, s[54:55]
	v_cmp_lt_u32_e64 s[44:45], v63, v74
	s_and_saveexec_b64 s[54:55], s[44:45]
	s_cbranch_execnz .LBB1537_105
.LBB1537_87:                            ;   in Loop: Header=BB1537_48 Depth=2
	s_or_b64 exec, exec, s[54:55]
	s_and_saveexec_b64 s[44:45], s[42:43]
	s_cbranch_execnz .LBB1537_106
.LBB1537_88:                            ;   in Loop: Header=BB1537_48 Depth=2
	s_or_b64 exec, exec, s[44:45]
	s_and_saveexec_b64 s[44:45], s[40:41]
	s_cbranch_execnz .LBB1537_107
.LBB1537_89:                            ;   in Loop: Header=BB1537_48 Depth=2
	s_or_b64 exec, exec, s[44:45]
	s_and_saveexec_b64 s[44:45], s[38:39]
	s_cbranch_execnz .LBB1537_108
.LBB1537_90:                            ;   in Loop: Header=BB1537_48 Depth=2
	s_or_b64 exec, exec, s[44:45]
	s_and_saveexec_b64 s[44:45], vcc
	s_cbranch_execz .LBB1537_92
.LBB1537_91:                            ;   in Loop: Header=BB1537_48 Depth=2
	ds_read_u8 v16, v0 offset:1792
	s_waitcnt lgkmcnt(0)
	v_lshrrev_b32_e32 v16, s7, v16
	v_and_b32_e32 v69, s58, v16
.LBB1537_92:                            ;   in Loop: Header=BB1537_48 Depth=2
	s_or_b64 exec, exec, s[44:45]
	v_mad_u64_u32 v[15:16], s[44:45], v15, 7, v[15:16]
	v_mad_u64_u32 v[76:77], s[44:45], v3, 7, v[3:4]
	;; [unrolled: 1-line block ×4, first 2 shown]
	s_waitcnt vmcnt(0)
	s_barrier
	ds_write_b64 v15, v[11:12] offset:1024
	ds_write_b64 v16, v[9:10] offset:1024
	;; [unrolled: 1-line block ×4, first 2 shown]
	s_waitcnt lgkmcnt(0)
	s_barrier
	s_and_saveexec_b64 s[44:45], s[42:43]
	s_cbranch_execnz .LBB1537_109
; %bb.93:                               ;   in Loop: Header=BB1537_48 Depth=2
	s_or_b64 exec, exec, s[44:45]
	s_and_saveexec_b64 s[42:43], s[40:41]
	s_cbranch_execnz .LBB1537_110
.LBB1537_94:                            ;   in Loop: Header=BB1537_48 Depth=2
	s_or_b64 exec, exec, s[42:43]
	s_and_saveexec_b64 s[40:41], s[38:39]
	s_cbranch_execnz .LBB1537_111
.LBB1537_95:                            ;   in Loop: Header=BB1537_48 Depth=2
	s_or_b64 exec, exec, s[40:41]
	s_and_saveexec_b64 s[38:39], vcc
	s_cbranch_execz .LBB1537_97
.LBB1537_96:                            ;   in Loop: Header=BB1537_48 Depth=2
	v_lshlrev_b32_e32 v3, 2, v69
	ds_read_b32 v3, v3
	v_add_u32_e32 v13, v0, v51
	ds_read_b64 v[13:14], v13 offset:7168
	v_mov_b32_e32 v17, s65
	s_waitcnt lgkmcnt(1)
	v_add_u32_e32 v3, v3, v21
	v_lshlrev_b64 v[15:16], 3, v[3:4]
	v_add_co_u32_e32 v15, vcc, s64, v15
	v_addc_co_u32_e32 v16, vcc, v17, v16, vcc
	s_waitcnt lgkmcnt(0)
	global_store_dwordx2 v[15:16], v[13:14], off
.LBB1537_97:                            ;   in Loop: Header=BB1537_48 Depth=2
	s_or_b64 exec, exec, s[38:39]
	s_waitcnt vmcnt(0)
	s_barrier
	s_and_saveexec_b64 s[38:39], s[4:5]
	s_cbranch_execz .LBB1537_47
; %bb.98:                               ;   in Loop: Header=BB1537_48 Depth=2
	ds_read_b32 v3, v18
	s_waitcnt lgkmcnt(0)
	v_add_u32_e32 v3, v3, v75
	ds_write_b32 v18, v3
	s_branch .LBB1537_47
.LBB1537_99:                            ;   in Loop: Header=BB1537_48 Depth=2
	ds_read_u8 v16, v0 offset:1024
	s_waitcnt lgkmcnt(0)
	v_and_b32_e32 v17, 1, v16
	v_lshrrev_b32_e32 v17, s7, v17
	v_and_b32_e32 v17, s58, v17
	v_lshlrev_b32_e32 v17, 2, v17
	ds_read_b32 v17, v17
	v_xor_b32_e32 v16, 1, v16
	s_waitcnt lgkmcnt(0)
	v_add_u32_e32 v17, v17, v0
	global_store_byte v17, v16, s[50:51]
	s_or_b64 exec, exec, s[38:39]
	v_cmp_lt_u32_e64 s[40:41], v19, v74
	s_and_saveexec_b64 s[38:39], s[40:41]
	s_cbranch_execz .LBB1537_80
.LBB1537_100:                           ;   in Loop: Header=BB1537_48 Depth=2
	ds_read_u8 v16, v0 offset:1280
	s_waitcnt lgkmcnt(0)
	v_and_b32_e32 v17, 1, v16
	v_lshrrev_b32_e32 v17, s7, v17
	v_and_b32_e32 v17, s58, v17
	v_lshlrev_b32_e32 v17, 2, v17
	ds_read_b32 v17, v17
	v_xor_b32_e32 v16, 1, v16
	s_waitcnt lgkmcnt(0)
	v_add_u32_e32 v17, v17, v19
	global_store_byte v17, v16, s[50:51]
	s_or_b64 exec, exec, s[38:39]
	v_cmp_lt_u32_e64 s[38:39], v20, v74
	s_and_saveexec_b64 s[44:45], s[38:39]
	s_cbranch_execz .LBB1537_81
.LBB1537_101:                           ;   in Loop: Header=BB1537_48 Depth=2
	ds_read_u8 v16, v0 offset:1536
	s_waitcnt lgkmcnt(0)
	v_and_b32_e32 v17, 1, v16
	v_lshrrev_b32_e32 v17, s7, v17
	v_and_b32_e32 v17, s58, v17
	v_lshlrev_b32_e32 v17, 2, v17
	ds_read_b32 v17, v17
	v_xor_b32_e32 v16, 1, v16
	s_waitcnt lgkmcnt(0)
	v_add_u32_e32 v17, v17, v20
	global_store_byte v17, v16, s[50:51]
	s_or_b64 exec, exec, s[44:45]
	v_cmp_lt_u32_e32 vcc, v21, v74
	s_and_saveexec_b64 s[44:45], vcc
	s_cbranch_execnz .LBB1537_82
	s_branch .LBB1537_83
.LBB1537_102:                           ;   in Loop: Header=BB1537_48 Depth=2
	global_load_dwordx2 v[11:12], v[16:17], off
	s_or_b64 exec, exec, s[44:45]
	v_cmp_lt_u32_e64 s[44:45], v61, v74
	s_and_saveexec_b64 s[54:55], s[44:45]
	s_cbranch_execz .LBB1537_85
.LBB1537_103:                           ;   in Loop: Header=BB1537_48 Depth=2
	global_load_dwordx2 v[9:10], v[16:17], off offset:512
	s_or_b64 exec, exec, s[54:55]
	v_cmp_lt_u32_e64 s[44:45], v62, v74
	s_and_saveexec_b64 s[54:55], s[44:45]
	s_cbranch_execz .LBB1537_86
.LBB1537_104:                           ;   in Loop: Header=BB1537_48 Depth=2
	global_load_dwordx2 v[7:8], v[16:17], off offset:1024
	s_or_b64 exec, exec, s[54:55]
	v_cmp_lt_u32_e64 s[44:45], v63, v74
	s_and_saveexec_b64 s[54:55], s[44:45]
	s_cbranch_execz .LBB1537_87
.LBB1537_105:                           ;   in Loop: Header=BB1537_48 Depth=2
	global_load_dwordx2 v[5:6], v[16:17], off offset:1536
	s_or_b64 exec, exec, s[54:55]
	s_and_saveexec_b64 s[44:45], s[42:43]
	s_cbranch_execz .LBB1537_88
.LBB1537_106:                           ;   in Loop: Header=BB1537_48 Depth=2
	ds_read_u8 v16, v0 offset:1024
	s_waitcnt lgkmcnt(0)
	v_lshrrev_b32_e32 v16, s7, v16
	v_and_b32_e32 v73, s58, v16
	s_or_b64 exec, exec, s[44:45]
	s_and_saveexec_b64 s[44:45], s[40:41]
	s_cbranch_execz .LBB1537_89
.LBB1537_107:                           ;   in Loop: Header=BB1537_48 Depth=2
	ds_read_u8 v16, v0 offset:1280
	s_waitcnt lgkmcnt(0)
	v_lshrrev_b32_e32 v16, s7, v16
	v_and_b32_e32 v72, s58, v16
	s_or_b64 exec, exec, s[44:45]
	s_and_saveexec_b64 s[44:45], s[38:39]
	s_cbranch_execz .LBB1537_90
.LBB1537_108:                           ;   in Loop: Header=BB1537_48 Depth=2
	ds_read_u8 v16, v0 offset:1536
	s_waitcnt lgkmcnt(0)
	v_lshrrev_b32_e32 v16, s7, v16
	v_and_b32_e32 v70, s58, v16
	s_or_b64 exec, exec, s[44:45]
	s_and_saveexec_b64 s[44:45], vcc
	s_cbranch_execnz .LBB1537_91
	s_branch .LBB1537_92
.LBB1537_109:                           ;   in Loop: Header=BB1537_48 Depth=2
	v_lshlrev_b32_e32 v3, 2, v73
	ds_read_b32 v3, v3
	v_add_u32_e32 v13, v0, v51
	ds_read_b64 v[13:14], v13 offset:1024
	v_mov_b32_e32 v17, s65
	s_waitcnt lgkmcnt(1)
	v_add_u32_e32 v3, v3, v0
	v_lshlrev_b64 v[15:16], 3, v[3:4]
	v_add_co_u32_e64 v15, s[42:43], s64, v15
	v_addc_co_u32_e64 v16, s[42:43], v17, v16, s[42:43]
	s_waitcnt lgkmcnt(0)
	global_store_dwordx2 v[15:16], v[13:14], off
	s_or_b64 exec, exec, s[44:45]
	s_and_saveexec_b64 s[42:43], s[40:41]
	s_cbranch_execz .LBB1537_94
.LBB1537_110:                           ;   in Loop: Header=BB1537_48 Depth=2
	v_lshlrev_b32_e32 v3, 2, v72
	ds_read_b32 v3, v3
	v_add_u32_e32 v13, v0, v51
	ds_read_b64 v[13:14], v13 offset:3072
	v_mov_b32_e32 v17, s65
	s_waitcnt lgkmcnt(1)
	v_add_u32_e32 v3, v3, v19
	v_lshlrev_b64 v[15:16], 3, v[3:4]
	v_add_co_u32_e64 v15, s[40:41], s64, v15
	v_addc_co_u32_e64 v16, s[40:41], v17, v16, s[40:41]
	s_waitcnt lgkmcnt(0)
	global_store_dwordx2 v[15:16], v[13:14], off
	s_or_b64 exec, exec, s[42:43]
	s_and_saveexec_b64 s[40:41], s[38:39]
	s_cbranch_execz .LBB1537_95
.LBB1537_111:                           ;   in Loop: Header=BB1537_48 Depth=2
	v_lshlrev_b32_e32 v3, 2, v70
	ds_read_b32 v3, v3
	v_add_u32_e32 v13, v0, v51
	ds_read_b64 v[13:14], v13 offset:5120
	v_mov_b32_e32 v17, s65
	s_waitcnt lgkmcnt(1)
	v_add_u32_e32 v3, v3, v20
	v_lshlrev_b64 v[15:16], 3, v[3:4]
	v_add_co_u32_e64 v15, s[38:39], s64, v15
	v_addc_co_u32_e64 v16, s[38:39], v17, v16, s[38:39]
	s_waitcnt lgkmcnt(0)
	global_store_dwordx2 v[15:16], v[13:14], off
	s_or_b64 exec, exec, s[40:41]
	s_and_saveexec_b64 s[38:39], vcc
	s_cbranch_execnz .LBB1537_96
	s_branch .LBB1537_97
.LBB1537_112:                           ;   in Loop: Header=BB1537_12 Depth=1
	s_waitcnt lgkmcnt(0)
	s_barrier
	s_mov_b64 s[18:19], 0
.LBB1537_113:                           ;   in Loop: Header=BB1537_12 Depth=1
	s_and_b64 vcc, exec, s[18:19]
	s_cbranch_vccz .LBB1537_213
; %bb.114:                              ;   in Loop: Header=BB1537_12 Depth=1
	v_mov_b32_e32 v3, 0
	s_mov_b32 s20, s71
	s_mov_b32 s23, s74
	v_mov_b32_e32 v7, 0
	v_mov_b32_e32 v6, 0
	;; [unrolled: 1-line block ×3, first 2 shown]
	s_barrier
	s_branch .LBB1537_116
.LBB1537_115:                           ;   in Loop: Header=BB1537_116 Depth=2
	s_or_b64 exec, exec, s[18:19]
	s_addk_i32 s20, 0xfc00
	s_cmp_ge_u32 s21, s75
	s_mov_b32 s23, s21
	s_cbranch_scc1 .LBB1537_136
.LBB1537_116:                           ;   Parent Loop BB1537_12 Depth=1
                                        ; =>  This Inner Loop Header: Depth=2
	s_add_i32 s21, s23, 0x400
	s_cmp_gt_u32 s21, s75
	s_mov_b64 s[18:19], -1
                                        ; implicit-def: $vgpr8
                                        ; implicit-def: $vgpr9
                                        ; implicit-def: $vgpr10
                                        ; implicit-def: $vgpr11
	s_cbranch_scc1 .LBB1537_118
; %bb.117:                              ;   in Loop: Header=BB1537_116 Depth=2
	v_add_co_u32_e32 v12, vcc, s23, v32
	v_addc_co_u32_e32 v13, vcc, 0, v33, vcc
	global_load_ubyte v11, v[12:13], off offset:768
	global_load_ubyte v10, v[12:13], off offset:512
	;; [unrolled: 1-line block ×3, first 2 shown]
	global_load_ubyte v8, v[12:13], off
	s_mov_b64 s[18:19], 0
.LBB1537_118:                           ;   in Loop: Header=BB1537_116 Depth=2
	s_andn2_b64 vcc, exec, s[18:19]
	s_movk_i32 s22, 0x400
	s_cbranch_vccnz .LBB1537_125
; %bb.119:                              ;   in Loop: Header=BB1537_116 Depth=2
	s_add_u32 s22, s50, s23
	s_addc_u32 s23, s51, 0
	v_cmp_gt_u32_e32 vcc, s20, v0
	s_and_saveexec_b64 s[18:19], vcc
	s_cbranch_execnz .LBB1537_133
; %bb.120:                              ;   in Loop: Header=BB1537_116 Depth=2
	s_or_b64 exec, exec, s[18:19]
	v_cmp_gt_u32_e32 vcc, s20, v19
	s_and_saveexec_b64 s[18:19], vcc
	s_cbranch_execnz .LBB1537_134
.LBB1537_121:                           ;   in Loop: Header=BB1537_116 Depth=2
	s_or_b64 exec, exec, s[18:19]
	v_cmp_gt_u32_e32 vcc, s20, v20
	s_and_saveexec_b64 s[18:19], vcc
	s_cbranch_execnz .LBB1537_135
.LBB1537_122:                           ;   in Loop: Header=BB1537_116 Depth=2
	s_or_b64 exec, exec, s[18:19]
	v_cmp_gt_u32_e32 vcc, s20, v21
	s_and_saveexec_b64 s[18:19], vcc
	s_cbranch_execz .LBB1537_124
.LBB1537_123:                           ;   in Loop: Header=BB1537_116 Depth=2
	v_mov_b32_e32 v5, s23
	s_waitcnt vmcnt(0)
	v_add_co_u32_e32 v8, vcc, s22, v0
	v_addc_co_u32_e32 v9, vcc, 0, v5, vcc
	global_load_ubyte v5, v[8:9], off offset:768
.LBB1537_124:                           ;   in Loop: Header=BB1537_116 Depth=2
	s_or_b64 exec, exec, s[18:19]
	s_mov_b32 s22, s20
	s_waitcnt vmcnt(0)
	v_mov_b32_e32 v8, v3
	v_mov_b32_e32 v9, v7
	;; [unrolled: 1-line block ×4, first 2 shown]
.LBB1537_125:                           ;   in Loop: Header=BB1537_116 Depth=2
	s_waitcnt vmcnt(3)
	v_mov_b32_e32 v5, v11
	s_waitcnt vmcnt(2)
	v_mov_b32_e32 v6, v10
	s_waitcnt vmcnt(1)
	v_mov_b32_e32 v7, v9
	s_waitcnt vmcnt(0)
	v_mov_b32_e32 v3, v8
	v_cmp_gt_u32_e32 vcc, s22, v0
	s_and_saveexec_b64 s[18:19], vcc
	s_cbranch_execnz .LBB1537_129
; %bb.126:                              ;   in Loop: Header=BB1537_116 Depth=2
	s_or_b64 exec, exec, s[18:19]
	v_cmp_gt_u32_e32 vcc, s22, v19
	s_and_saveexec_b64 s[18:19], vcc
	s_cbranch_execnz .LBB1537_130
.LBB1537_127:                           ;   in Loop: Header=BB1537_116 Depth=2
	s_or_b64 exec, exec, s[18:19]
	v_cmp_gt_u32_e32 vcc, s22, v20
	s_and_saveexec_b64 s[18:19], vcc
	s_cbranch_execnz .LBB1537_131
.LBB1537_128:                           ;   in Loop: Header=BB1537_116 Depth=2
	s_or_b64 exec, exec, s[18:19]
	v_cmp_gt_u32_e32 vcc, s22, v21
	s_and_saveexec_b64 s[18:19], vcc
	s_cbranch_execz .LBB1537_115
	s_branch .LBB1537_132
.LBB1537_129:                           ;   in Loop: Header=BB1537_116 Depth=2
	v_xor_b32_e32 v8, -1, v3
	v_and_b32_e32 v8, 1, v8
	v_lshrrev_b32_sdwa v8, s7, v8 dst_sel:DWORD dst_unused:UNUSED_PAD src0_sel:DWORD src1_sel:WORD_0
	v_and_b32_e32 v8, s58, v8
	v_lshl_or_b32 v8, v8, 4, v24
	ds_add_u32 v8, v52
	s_or_b64 exec, exec, s[18:19]
	v_cmp_gt_u32_e32 vcc, s22, v19
	s_and_saveexec_b64 s[18:19], vcc
	s_cbranch_execz .LBB1537_127
.LBB1537_130:                           ;   in Loop: Header=BB1537_116 Depth=2
	v_xor_b32_e32 v8, -1, v7
	v_and_b32_e32 v8, 1, v8
	v_lshrrev_b32_sdwa v8, s7, v8 dst_sel:DWORD dst_unused:UNUSED_PAD src0_sel:DWORD src1_sel:WORD_0
	v_and_b32_e32 v8, s58, v8
	v_lshl_or_b32 v8, v8, 4, v24
	ds_add_u32 v8, v52
	s_or_b64 exec, exec, s[18:19]
	v_cmp_gt_u32_e32 vcc, s22, v20
	s_and_saveexec_b64 s[18:19], vcc
	s_cbranch_execz .LBB1537_128
.LBB1537_131:                           ;   in Loop: Header=BB1537_116 Depth=2
	v_xor_b32_e32 v8, -1, v6
	v_and_b32_e32 v8, 1, v8
	v_lshrrev_b32_sdwa v8, s7, v8 dst_sel:DWORD dst_unused:UNUSED_PAD src0_sel:DWORD src1_sel:WORD_0
	v_and_b32_e32 v8, s58, v8
	v_lshl_or_b32 v8, v8, 4, v24
	ds_add_u32 v8, v52
	s_or_b64 exec, exec, s[18:19]
	v_cmp_gt_u32_e32 vcc, s22, v21
	s_and_saveexec_b64 s[18:19], vcc
	s_cbranch_execz .LBB1537_115
.LBB1537_132:                           ;   in Loop: Header=BB1537_116 Depth=2
	v_xor_b32_e32 v8, -1, v5
	v_and_b32_e32 v8, 1, v8
	v_lshrrev_b32_sdwa v8, s7, v8 dst_sel:DWORD dst_unused:UNUSED_PAD src0_sel:DWORD src1_sel:WORD_0
	v_and_b32_e32 v8, s58, v8
	v_lshl_or_b32 v8, v8, 4, v24
	ds_add_u32 v8, v52
	s_branch .LBB1537_115
.LBB1537_133:                           ;   in Loop: Header=BB1537_116 Depth=2
	v_mov_b32_e32 v3, s23
	s_waitcnt vmcnt(0)
	v_add_co_u32_e32 v8, vcc, s22, v0
	v_addc_co_u32_e32 v9, vcc, 0, v3, vcc
	global_load_ubyte v3, v[8:9], off
	s_or_b64 exec, exec, s[18:19]
	v_cmp_gt_u32_e32 vcc, s20, v19
	s_and_saveexec_b64 s[18:19], vcc
	s_cbranch_execz .LBB1537_121
.LBB1537_134:                           ;   in Loop: Header=BB1537_116 Depth=2
	s_waitcnt vmcnt(0)
	v_mov_b32_e32 v8, s23
	v_add_co_u32_e32 v7, vcc, s22, v0
	v_addc_co_u32_e32 v8, vcc, 0, v8, vcc
	global_load_ubyte v7, v[7:8], off offset:256
	s_or_b64 exec, exec, s[18:19]
	v_cmp_gt_u32_e32 vcc, s20, v20
	s_and_saveexec_b64 s[18:19], vcc
	s_cbranch_execz .LBB1537_122
.LBB1537_135:                           ;   in Loop: Header=BB1537_116 Depth=2
	v_mov_b32_e32 v6, s23
	s_waitcnt vmcnt(0)
	v_add_co_u32_e32 v8, vcc, s22, v0
	v_addc_co_u32_e32 v9, vcc, 0, v6, vcc
	global_load_ubyte v6, v[8:9], off offset:512
	s_or_b64 exec, exec, s[18:19]
	v_cmp_gt_u32_e32 vcc, s20, v21
	s_and_saveexec_b64 s[18:19], vcc
	s_cbranch_execnz .LBB1537_123
	s_branch .LBB1537_124
.LBB1537_136:                           ;   in Loop: Header=BB1537_12 Depth=1
	v_mov_b32_e32 v3, 0
	s_waitcnt lgkmcnt(0)
	s_barrier
	s_and_saveexec_b64 s[18:19], s[4:5]
	s_cbranch_execz .LBB1537_138
; %bb.137:                              ;   in Loop: Header=BB1537_12 Depth=1
	ds_read2_b64 v[5:8], v25 offset1:1
	s_waitcnt lgkmcnt(0)
	v_add_u32_e32 v3, v6, v5
	v_add3_u32 v3, v3, v7, v8
.LBB1537_138:                           ;   in Loop: Header=BB1537_12 Depth=1
	s_or_b64 exec, exec, s[18:19]
	s_nop 0
	v_mov_b32_dpp v5, v3 row_shr:1 row_mask:0xf bank_mask:0xf
	v_cmp_eq_u32_e64 s[18:19], 0, v55
	v_cndmask_b32_e64 v5, v5, 0, s[18:19]
	v_add_u32_e32 v3, v5, v3
	v_cmp_lt_u32_e64 s[20:21], 1, v55
	v_cmp_lt_u32_e64 s[22:23], 3, v55
	v_mov_b32_dpp v5, v3 row_shr:2 row_mask:0xf bank_mask:0xf
	v_cndmask_b32_e64 v5, 0, v5, s[20:21]
	v_add_u32_e32 v3, v3, v5
	v_cmp_lt_u32_e64 s[24:25], 7, v55
	v_cmp_lt_u32_e64 s[28:29], 31, v44
	v_mov_b32_dpp v5, v3 row_shr:4 row_mask:0xf bank_mask:0xf
	v_cndmask_b32_e64 v5, 0, v5, s[22:23]
	v_add_u32_e32 v3, v3, v5
	v_cmp_eq_u32_e64 s[26:27], 0, v57
	s_nop 0
	v_mov_b32_dpp v5, v3 row_shr:8 row_mask:0xf bank_mask:0xf
	v_cndmask_b32_e64 v5, 0, v5, s[24:25]
	v_add_u32_e32 v3, v3, v5
	s_nop 1
	v_mov_b32_dpp v5, v3 row_bcast:15 row_mask:0xf bank_mask:0xf
	v_and_b32_e32 v5, v56, v5
	v_add_u32_e32 v3, v3, v5
	s_nop 1
	v_mov_b32_dpp v5, v3 row_bcast:31 row_mask:0xf bank_mask:0xf
	v_cndmask_b32_e64 v5, 0, v5, s[28:29]
	v_add_u32_e32 v3, v3, v5
	s_and_saveexec_b64 s[30:31], s[8:9]
; %bb.139:                              ;   in Loop: Header=BB1537_12 Depth=1
	ds_write_b32 v48, v3
; %bb.140:                              ;   in Loop: Header=BB1537_12 Depth=1
	s_or_b64 exec, exec, s[30:31]
	s_waitcnt lgkmcnt(0)
	s_barrier
	s_and_saveexec_b64 s[30:31], s[10:11]
	s_cbranch_execz .LBB1537_142
; %bb.141:                              ;   in Loop: Header=BB1537_12 Depth=1
	ds_read_b32 v5, v49
	v_cmp_ne_u32_e32 vcc, 0, v58
	s_waitcnt lgkmcnt(0)
	v_mov_b32_dpp v6, v5 row_shr:1 row_mask:0xf bank_mask:0xf
	v_cndmask_b32_e32 v6, 0, v6, vcc
	v_add_u32_e32 v5, v6, v5
	v_cmp_lt_u32_e32 vcc, 1, v58
	s_nop 0
	v_mov_b32_dpp v6, v5 row_shr:2 row_mask:0xf bank_mask:0xf
	v_cndmask_b32_e32 v6, 0, v6, vcc
	v_add_u32_e32 v5, v5, v6
	ds_write_b32 v49, v5
.LBB1537_142:                           ;   in Loop: Header=BB1537_12 Depth=1
	s_or_b64 exec, exec, s[30:31]
	v_mov_b32_e32 v5, 0
	s_waitcnt lgkmcnt(0)
	s_barrier
	s_and_saveexec_b64 s[30:31], s[12:13]
; %bb.143:                              ;   in Loop: Header=BB1537_12 Depth=1
	ds_read_b32 v5, v50
; %bb.144:                              ;   in Loop: Header=BB1537_12 Depth=1
	s_or_b64 exec, exec, s[30:31]
	v_subrev_co_u32_e64 v6, s[30:31], 1, v44
	v_cmp_lt_i32_e32 vcc, v6, v59
	v_cndmask_b32_e32 v6, v6, v44, vcc
	s_waitcnt lgkmcnt(0)
	v_add_u32_e32 v3, v5, v3
	v_lshlrev_b32_e32 v64, 2, v6
	ds_bpermute_b32 v3, v64, v3
	s_waitcnt lgkmcnt(0)
	s_barrier
	s_and_saveexec_b64 s[34:35], s[4:5]
; %bb.145:                              ;   in Loop: Header=BB1537_12 Depth=1
	v_cndmask_b32_e64 v3, v3, v5, s[30:31]
	v_add_u32_e32 v3, s74, v3
	ds_write_b32 v18, v3
; %bb.146:                              ;   in Loop: Header=BB1537_12 Depth=1
	s_or_b64 exec, exec, s[34:35]
	s_load_dwordx2 s[34:35], s[46:47], 0x0
	v_add_co_u32_e32 v65, vcc, v34, v60
	v_addc_co_u32_e32 v66, vcc, 0, v35, vcc
	s_waitcnt lgkmcnt(0)
	s_cmp_lt_u32 s33, s35
	s_cselect_b32 s35, 14, 20
	s_add_u32 s36, s46, s35
	s_addc_u32 s37, s47, 0
	s_cmp_lt_u32 s6, s34
	s_cselect_b32 s34, 12, 18
	s_add_u32 s34, s46, s34
	global_load_ushort v3, v4, s[36:37]
	s_addc_u32 s35, s47, 0
	global_load_ushort v5, v4, s[34:35]
	v_add_co_u32_e32 v67, vcc, v36, v45
	v_cmp_eq_u32_e64 s[34:35], 0, v58
	v_cmp_lt_u32_e64 s[36:37], 1, v58
	v_addc_co_u32_e32 v68, vcc, 0, v37, vcc
	s_mov_b32 s59, s71
	s_mov_b32 s56, s74
                                        ; implicit-def: $vgpr7_vgpr8
                                        ; implicit-def: $vgpr9_vgpr10
                                        ; implicit-def: $vgpr11_vgpr12
                                        ; implicit-def: $vgpr69
                                        ; implicit-def: $vgpr70
                                        ; implicit-def: $vgpr72
                                        ; implicit-def: $vgpr73
	s_waitcnt vmcnt(1)
	v_mad_u32_u24 v3, v2, v3, v1
	s_waitcnt vmcnt(0)
	v_mad_u64_u32 v[13:14], s[38:39], v3, v5, v[0:1]
                                        ; implicit-def: $vgpr5_vgpr6
	v_lshrrev_b32_e32 v3, 4, v13
	v_and_b32_e32 v71, 0xffffffc, v3
	s_branch .LBB1537_148
.LBB1537_147:                           ;   in Loop: Header=BB1537_148 Depth=2
	s_or_b64 exec, exec, s[38:39]
	s_addk_i32 s59, 0xfc00
	s_cmp_lt_u32 s60, s75
	s_mov_b32 s56, s60
	s_cbranch_scc0 .LBB1537_212
.LBB1537_148:                           ;   Parent Loop BB1537_12 Depth=1
                                        ; =>  This Inner Loop Header: Depth=2
	s_add_i32 s60, s56, 0x400
	s_cmp_gt_u32 s60, s75
	s_cbranch_scc1 .LBB1537_150
; %bb.149:                              ;   in Loop: Header=BB1537_148 Depth=2
	v_add_co_u32_e32 v13, vcc, s56, v67
	v_addc_co_u32_e32 v14, vcc, 0, v68, vcc
	global_load_ubyte v15, v[13:14], off offset:128
	global_load_ubyte v16, v[13:14], off offset:64
	global_load_ubyte v3, v[13:14], off
	s_mov_b64 s[38:39], -1
	s_movk_i32 s42, 0x400
                                        ; implicit-def: $vgpr17
	s_cbranch_execz .LBB1537_151
	s_branch .LBB1537_158
.LBB1537_150:                           ;   in Loop: Header=BB1537_148 Depth=2
	s_mov_b64 s[38:39], 0
                                        ; implicit-def: $vgpr3
                                        ; implicit-def: $vgpr16
                                        ; implicit-def: $vgpr15
	s_movk_i32 s42, 0x400
                                        ; implicit-def: $vgpr17
.LBB1537_151:                           ;   in Loop: Header=BB1537_148 Depth=2
	v_add_co_u32_e32 v13, vcc, s56, v67
	v_addc_co_u32_e32 v14, vcc, 0, v68, vcc
	v_cmp_gt_u32_e32 vcc, s59, v46
	s_waitcnt vmcnt(2)
	v_mov_b32_e32 v15, 0
	s_waitcnt vmcnt(0)
	v_mov_b32_e32 v3, 0
	v_mov_b32_e32 v17, 0
	s_and_saveexec_b64 s[38:39], vcc
	s_cbranch_execz .LBB1537_153
; %bb.152:                              ;   in Loop: Header=BB1537_148 Depth=2
	global_load_ubyte v3, v[13:14], off
	v_mov_b32_e32 v17, 0
.LBB1537_153:                           ;   in Loop: Header=BB1537_148 Depth=2
	s_or_b64 exec, exec, s[38:39]
	v_cmp_gt_u32_e32 vcc, s59, v61
	v_mov_b32_e32 v16, v15
	s_and_saveexec_b64 s[38:39], vcc
	s_cbranch_execz .LBB1537_155
; %bb.154:                              ;   in Loop: Header=BB1537_148 Depth=2
	global_load_ubyte v16, v[13:14], off offset:64
.LBB1537_155:                           ;   in Loop: Header=BB1537_148 Depth=2
	s_or_b64 exec, exec, s[38:39]
	v_cmp_gt_u32_e32 vcc, s59, v62
	s_and_saveexec_b64 s[38:39], vcc
	s_cbranch_execz .LBB1537_157
; %bb.156:                              ;   in Loop: Header=BB1537_148 Depth=2
	global_load_ubyte v15, v[13:14], off offset:128
.LBB1537_157:                           ;   in Loop: Header=BB1537_148 Depth=2
	s_or_b64 exec, exec, s[38:39]
	s_sub_i32 s42, s75, s56
	v_cmp_gt_u32_e64 s[38:39], s59, v63
.LBB1537_158:                           ;   in Loop: Header=BB1537_148 Depth=2
	v_mov_b32_e32 v74, s59
	s_and_saveexec_b64 s[40:41], s[38:39]
	s_cbranch_execz .LBB1537_160
; %bb.159:                              ;   in Loop: Header=BB1537_148 Depth=2
	v_mov_b32_e32 v14, s57
	v_add_co_u32_e32 v13, vcc, s56, v67
	v_addc_co_u32_e32 v14, vcc, v68, v14, vcc
	global_load_ubyte v17, v[13:14], off offset:192
	v_mov_b32_e32 v74, s42
.LBB1537_160:                           ;   in Loop: Header=BB1537_148 Depth=2
	s_or_b64 exec, exec, s[40:41]
	s_waitcnt vmcnt(0)
	v_and_b32_e32 v3, 1, v3
	v_and_b32_e32 v13, 1, v16
	v_cmp_eq_u32_e64 s[42:43], 1, v3
	v_cmp_eq_u32_e64 s[40:41], 1, v13
	v_and_b32_e32 v13, 1, v15
	s_xor_b64 s[42:43], s[42:43], -1
	v_cmp_eq_u32_e64 s[38:39], 1, v13
	v_and_b32_e32 v13, 1, v17
	v_cndmask_b32_e64 v17, 0, 1, s[42:43]
	v_lshrrev_b32_e32 v3, s7, v17
	v_and_b32_e32 v3, s58, v3
	v_mul_u32_u24_e32 v15, 20, v3
	v_cmp_ne_u32_e64 s[42:43], 0, v3
	v_add_co_u32_e64 v3, s[44:45], -1, v3
	v_cmp_eq_u32_e32 vcc, 1, v13
	v_addc_co_u32_e64 v13, s[44:45], 0, -1, s[44:45]
	v_xor_b32_e32 v13, s43, v13
	v_xor_b32_e32 v3, s42, v3
	v_and_b32_e32 v14, exec_hi, v13
	v_and_b32_e32 v13, exec_lo, v3
	v_mbcnt_lo_u32_b32 v3, v13, 0
	v_mbcnt_hi_u32_b32 v3, v14, v3
	v_cmp_ne_u64_e64 s[42:43], 0, v[13:14]
	v_cmp_eq_u32_e64 s[44:45], 0, v3
	s_and_b64 s[44:45], s[42:43], s[44:45]
	v_add_u32_e32 v75, v71, v15
	ds_write2_b32 v53, v4, v4 offset1:1
	ds_write2_b32 v54, v4, v4 offset1:1
	ds_write_b32 v27, v4 offset:1056
	s_waitcnt lgkmcnt(0)
	s_barrier
	; wave barrier
	s_and_saveexec_b64 s[42:43], s[44:45]
; %bb.161:                              ;   in Loop: Header=BB1537_148 Depth=2
	v_bcnt_u32_b32 v13, v13, 0
	v_bcnt_u32_b32 v13, v14, v13
	ds_write_b32 v75, v13 offset:1040
; %bb.162:                              ;   in Loop: Header=BB1537_148 Depth=2
	s_or_b64 exec, exec, s[42:43]
	s_xor_b64 s[40:41], s[40:41], -1
	v_cndmask_b32_e64 v76, 0, 1, s[40:41]
	v_lshrrev_b32_e32 v13, s7, v76
	v_and_b32_e32 v13, s58, v13
	v_mul_u32_u24_e32 v15, 20, v13
	v_mad_u32_u24 v14, v13, 20, v71
	v_cmp_ne_u32_e64 s[40:41], 0, v13
	v_add_co_u32_e64 v13, s[42:43], -1, v13
	; wave barrier
	ds_read_b32 v77, v14 offset:1040
	v_addc_co_u32_e64 v14, s[42:43], 0, -1, s[42:43]
	v_xor_b32_e32 v13, s40, v13
	v_xor_b32_e32 v14, s41, v14
	v_and_b32_e32 v13, exec_lo, v13
	v_and_b32_e32 v14, exec_hi, v14
	v_mbcnt_lo_u32_b32 v16, v13, 0
	v_mbcnt_hi_u32_b32 v78, v14, v16
	v_cmp_ne_u64_e64 s[40:41], 0, v[13:14]
	v_cmp_eq_u32_e64 s[42:43], 0, v78
	s_and_b64 s[42:43], s[40:41], s[42:43]
	v_add_u32_e32 v81, v71, v15
	; wave barrier
	s_and_saveexec_b64 s[40:41], s[42:43]
	s_cbranch_execz .LBB1537_164
; %bb.163:                              ;   in Loop: Header=BB1537_148 Depth=2
	v_bcnt_u32_b32 v13, v13, 0
	v_bcnt_u32_b32 v13, v14, v13
	s_waitcnt lgkmcnt(0)
	v_add_u32_e32 v13, v77, v13
	ds_write_b32 v81, v13 offset:1040
.LBB1537_164:                           ;   in Loop: Header=BB1537_148 Depth=2
	s_or_b64 exec, exec, s[40:41]
	s_xor_b64 s[38:39], s[38:39], -1
	v_cndmask_b32_e64 v79, 0, 1, s[38:39]
	v_lshrrev_b32_e32 v13, s7, v79
	v_and_b32_e32 v13, s58, v13
	v_mul_u32_u24_e32 v15, 20, v13
	v_mad_u32_u24 v14, v13, 20, v71
	v_cmp_ne_u32_e64 s[38:39], 0, v13
	v_add_co_u32_e64 v13, s[40:41], -1, v13
	; wave barrier
	ds_read_b32 v80, v14 offset:1040
	v_addc_co_u32_e64 v14, s[40:41], 0, -1, s[40:41]
	v_xor_b32_e32 v13, s38, v13
	v_xor_b32_e32 v14, s39, v14
	v_and_b32_e32 v13, exec_lo, v13
	v_and_b32_e32 v14, exec_hi, v14
	v_mbcnt_lo_u32_b32 v16, v13, 0
	v_mbcnt_hi_u32_b32 v82, v14, v16
	v_cmp_ne_u64_e64 s[38:39], 0, v[13:14]
	v_cmp_eq_u32_e64 s[40:41], 0, v82
	s_and_b64 s[40:41], s[38:39], s[40:41]
	v_add_u32_e32 v85, v71, v15
	; wave barrier
	s_and_saveexec_b64 s[38:39], s[40:41]
	s_cbranch_execz .LBB1537_166
; %bb.165:                              ;   in Loop: Header=BB1537_148 Depth=2
	v_bcnt_u32_b32 v13, v13, 0
	v_bcnt_u32_b32 v13, v14, v13
	s_waitcnt lgkmcnt(0)
	v_add_u32_e32 v13, v80, v13
	ds_write_b32 v85, v13 offset:1040
.LBB1537_166:                           ;   in Loop: Header=BB1537_148 Depth=2
	s_or_b64 exec, exec, s[38:39]
	s_xor_b64 s[38:39], vcc, -1
	v_cndmask_b32_e64 v83, 0, 1, s[38:39]
	v_lshrrev_b32_e32 v13, s7, v83
	v_and_b32_e32 v13, s58, v13
	v_mul_u32_u24_e32 v15, 20, v13
	v_mad_u32_u24 v14, v13, 20, v71
	v_cmp_ne_u32_e32 vcc, 0, v13
	v_add_co_u32_e64 v13, s[38:39], -1, v13
	; wave barrier
	ds_read_b32 v84, v14 offset:1040
	v_addc_co_u32_e64 v14, s[38:39], 0, -1, s[38:39]
	v_xor_b32_e32 v13, vcc_lo, v13
	v_xor_b32_e32 v14, vcc_hi, v14
	v_and_b32_e32 v13, exec_lo, v13
	v_and_b32_e32 v14, exec_hi, v14
	v_mbcnt_lo_u32_b32 v16, v13, 0
	v_mbcnt_hi_u32_b32 v86, v14, v16
	v_cmp_ne_u64_e32 vcc, 0, v[13:14]
	v_cmp_eq_u32_e64 s[38:39], 0, v86
	s_and_b64 s[40:41], vcc, s[38:39]
	v_add_u32_e32 v87, v71, v15
	; wave barrier
	s_and_saveexec_b64 s[38:39], s[40:41]
	s_cbranch_execz .LBB1537_168
; %bb.167:                              ;   in Loop: Header=BB1537_148 Depth=2
	v_bcnt_u32_b32 v13, v13, 0
	v_bcnt_u32_b32 v13, v14, v13
	s_waitcnt lgkmcnt(0)
	v_add_u32_e32 v13, v84, v13
	ds_write_b32 v87, v13 offset:1040
.LBB1537_168:                           ;   in Loop: Header=BB1537_148 Depth=2
	s_or_b64 exec, exec, s[38:39]
	; wave barrier
	s_waitcnt lgkmcnt(0)
	s_barrier
	ds_read2_b32 v[15:16], v53 offset1:1
	ds_read2_b32 v[13:14], v54 offset1:1
	ds_read_b32 v88, v27 offset:1056
	s_waitcnt lgkmcnt(1)
	v_add3_u32 v89, v16, v15, v13
	s_waitcnt lgkmcnt(0)
	v_add3_u32 v88, v89, v14, v88
	s_nop 1
	v_mov_b32_dpp v89, v88 row_shr:1 row_mask:0xf bank_mask:0xf
	v_cndmask_b32_e64 v89, v89, 0, s[18:19]
	v_add_u32_e32 v88, v89, v88
	s_nop 1
	v_mov_b32_dpp v89, v88 row_shr:2 row_mask:0xf bank_mask:0xf
	v_cndmask_b32_e64 v89, 0, v89, s[20:21]
	v_add_u32_e32 v88, v88, v89
	;; [unrolled: 4-line block ×4, first 2 shown]
	s_nop 1
	v_mov_b32_dpp v89, v88 row_bcast:15 row_mask:0xf bank_mask:0xf
	v_cndmask_b32_e64 v89, v89, 0, s[26:27]
	v_add_u32_e32 v88, v88, v89
	s_nop 1
	v_mov_b32_dpp v89, v88 row_bcast:31 row_mask:0xf bank_mask:0xf
	v_cndmask_b32_e64 v89, 0, v89, s[28:29]
	v_add_u32_e32 v88, v88, v89
	s_and_saveexec_b64 s[38:39], s[8:9]
; %bb.169:                              ;   in Loop: Header=BB1537_148 Depth=2
	ds_write_b32 v26, v88 offset:1024
; %bb.170:                              ;   in Loop: Header=BB1537_148 Depth=2
	s_or_b64 exec, exec, s[38:39]
	s_waitcnt lgkmcnt(0)
	s_barrier
	s_and_saveexec_b64 s[38:39], s[10:11]
	s_cbranch_execz .LBB1537_172
; %bb.171:                              ;   in Loop: Header=BB1537_148 Depth=2
	ds_read_b32 v89, v47 offset:1024
	s_waitcnt lgkmcnt(0)
	s_nop 0
	v_mov_b32_dpp v90, v89 row_shr:1 row_mask:0xf bank_mask:0xf
	v_cndmask_b32_e64 v90, v90, 0, s[34:35]
	v_add_u32_e32 v89, v90, v89
	s_nop 1
	v_mov_b32_dpp v90, v89 row_shr:2 row_mask:0xf bank_mask:0xf
	v_cndmask_b32_e64 v90, 0, v90, s[36:37]
	v_add_u32_e32 v89, v89, v90
	ds_write_b32 v47, v89 offset:1024
.LBB1537_172:                           ;   in Loop: Header=BB1537_148 Depth=2
	s_or_b64 exec, exec, s[38:39]
	v_mov_b32_e32 v89, 0
	s_waitcnt lgkmcnt(0)
	s_barrier
	s_and_saveexec_b64 s[38:39], s[12:13]
; %bb.173:                              ;   in Loop: Header=BB1537_148 Depth=2
	ds_read_b32 v89, v26 offset:1020
; %bb.174:                              ;   in Loop: Header=BB1537_148 Depth=2
	s_or_b64 exec, exec, s[38:39]
	s_waitcnt lgkmcnt(0)
	v_add_u32_e32 v88, v89, v88
	ds_bpermute_b32 v88, v64, v88
	s_waitcnt lgkmcnt(0)
	v_cndmask_b32_e64 v88, v88, v89, s[30:31]
	v_cndmask_b32_e64 v88, v88, 0, s[14:15]
	v_add_u32_e32 v15, v88, v15
	v_add_u32_e32 v16, v15, v16
	;; [unrolled: 1-line block ×4, first 2 shown]
	ds_write2_b32 v53, v88, v15 offset1:1
	ds_write2_b32 v54, v16, v13 offset1:1
	ds_write_b32 v27, v14 offset:1056
	s_waitcnt lgkmcnt(0)
	s_barrier
	ds_read_b32 v13, v75 offset:1040
	ds_read_b32 v14, v81 offset:1040
	;; [unrolled: 1-line block ×5, first 2 shown]
	v_mov_b32_e32 v75, 0x400
	s_and_saveexec_b64 s[38:39], s[16:17]
; %bb.175:                              ;   in Loop: Header=BB1537_148 Depth=2
	ds_read_b32 v75, v27 offset:1060
; %bb.176:                              ;   in Loop: Header=BB1537_148 Depth=2
	s_or_b64 exec, exec, s[38:39]
	s_waitcnt lgkmcnt(0)
	s_barrier
	s_and_saveexec_b64 s[38:39], s[4:5]
	s_cbranch_execz .LBB1537_178
; %bb.177:                              ;   in Loop: Header=BB1537_148 Depth=2
	ds_read_b32 v85, v18
	s_waitcnt lgkmcnt(0)
	v_sub_u32_e32 v15, v85, v15
	ds_write_b32 v18, v15
.LBB1537_178:                           ;   in Loop: Header=BB1537_148 Depth=2
	s_or_b64 exec, exec, s[38:39]
	v_add_u32_e32 v15, v13, v3
	v_add3_u32 v14, v78, v77, v14
	v_add3_u32 v13, v82, v80, v16
	;; [unrolled: 1-line block ×3, first 2 shown]
	v_cmp_lt_u32_e64 s[42:43], v0, v74
	ds_write_b8 v15, v17 offset:1024
	ds_write_b8 v14, v76 offset:1024
	;; [unrolled: 1-line block ×4, first 2 shown]
	s_waitcnt lgkmcnt(0)
	s_barrier
	s_and_saveexec_b64 s[38:39], s[42:43]
	s_cbranch_execnz .LBB1537_199
; %bb.179:                              ;   in Loop: Header=BB1537_148 Depth=2
	s_or_b64 exec, exec, s[38:39]
	v_cmp_lt_u32_e64 s[40:41], v19, v74
	s_and_saveexec_b64 s[38:39], s[40:41]
	s_cbranch_execnz .LBB1537_200
.LBB1537_180:                           ;   in Loop: Header=BB1537_148 Depth=2
	s_or_b64 exec, exec, s[38:39]
	v_cmp_lt_u32_e64 s[38:39], v20, v74
	s_and_saveexec_b64 s[44:45], s[38:39]
	s_cbranch_execnz .LBB1537_201
.LBB1537_181:                           ;   in Loop: Header=BB1537_148 Depth=2
	s_or_b64 exec, exec, s[44:45]
	v_cmp_lt_u32_e32 vcc, v21, v74
	s_and_saveexec_b64 s[44:45], vcc
	s_cbranch_execz .LBB1537_183
.LBB1537_182:                           ;   in Loop: Header=BB1537_148 Depth=2
	ds_read_u8 v16, v0 offset:1792
	s_waitcnt lgkmcnt(0)
	v_and_b32_e32 v17, 1, v16
	v_lshrrev_b32_e32 v17, s7, v17
	v_and_b32_e32 v17, s58, v17
	v_lshlrev_b32_e32 v17, 2, v17
	ds_read_b32 v17, v17
	v_xor_b32_e32 v16, 1, v16
	s_waitcnt lgkmcnt(0)
	v_add_u32_e32 v17, v17, v21
	global_store_byte v17, v16, s[52:53]
.LBB1537_183:                           ;   in Loop: Header=BB1537_148 Depth=2
	s_or_b64 exec, exec, s[44:45]
	s_lshl_b64 s[44:45], s[56:57], 3
	v_mov_b32_e32 v17, s45
	v_add_co_u32_e64 v16, s[44:45], s44, v65
	v_addc_co_u32_e64 v17, s[44:45], v66, v17, s[44:45]
	v_cmp_lt_u32_e64 s[44:45], v46, v74
	s_and_saveexec_b64 s[54:55], s[44:45]
	s_xor_b64 s[44:45], exec, s[54:55]
	s_cbranch_execnz .LBB1537_202
; %bb.184:                              ;   in Loop: Header=BB1537_148 Depth=2
	s_or_b64 exec, exec, s[44:45]
	v_cmp_lt_u32_e64 s[44:45], v61, v74
	s_and_saveexec_b64 s[54:55], s[44:45]
	s_cbranch_execnz .LBB1537_203
.LBB1537_185:                           ;   in Loop: Header=BB1537_148 Depth=2
	s_or_b64 exec, exec, s[54:55]
	v_cmp_lt_u32_e64 s[44:45], v62, v74
	s_and_saveexec_b64 s[54:55], s[44:45]
	s_cbranch_execnz .LBB1537_204
.LBB1537_186:                           ;   in Loop: Header=BB1537_148 Depth=2
	s_or_b64 exec, exec, s[54:55]
	v_cmp_lt_u32_e64 s[44:45], v63, v74
	s_and_saveexec_b64 s[54:55], s[44:45]
	s_cbranch_execnz .LBB1537_205
.LBB1537_187:                           ;   in Loop: Header=BB1537_148 Depth=2
	s_or_b64 exec, exec, s[54:55]
	s_and_saveexec_b64 s[44:45], s[42:43]
	s_cbranch_execnz .LBB1537_206
.LBB1537_188:                           ;   in Loop: Header=BB1537_148 Depth=2
	s_or_b64 exec, exec, s[44:45]
	s_and_saveexec_b64 s[44:45], s[40:41]
	s_cbranch_execnz .LBB1537_207
.LBB1537_189:                           ;   in Loop: Header=BB1537_148 Depth=2
	s_or_b64 exec, exec, s[44:45]
	s_and_saveexec_b64 s[44:45], s[38:39]
	s_cbranch_execnz .LBB1537_208
.LBB1537_190:                           ;   in Loop: Header=BB1537_148 Depth=2
	s_or_b64 exec, exec, s[44:45]
	s_and_saveexec_b64 s[44:45], vcc
	s_cbranch_execz .LBB1537_192
.LBB1537_191:                           ;   in Loop: Header=BB1537_148 Depth=2
	ds_read_u8 v16, v0 offset:1792
	s_waitcnt lgkmcnt(0)
	v_lshrrev_b32_e32 v16, s7, v16
	v_and_b32_e32 v69, s58, v16
.LBB1537_192:                           ;   in Loop: Header=BB1537_148 Depth=2
	s_or_b64 exec, exec, s[44:45]
	v_mad_u64_u32 v[15:16], s[44:45], v15, 7, v[15:16]
	v_mad_u64_u32 v[76:77], s[44:45], v3, 7, v[3:4]
	;; [unrolled: 1-line block ×4, first 2 shown]
	s_waitcnt vmcnt(0)
	s_barrier
	ds_write_b64 v15, v[11:12] offset:1024
	ds_write_b64 v16, v[9:10] offset:1024
	;; [unrolled: 1-line block ×4, first 2 shown]
	s_waitcnt lgkmcnt(0)
	s_barrier
	s_and_saveexec_b64 s[44:45], s[42:43]
	s_cbranch_execnz .LBB1537_209
; %bb.193:                              ;   in Loop: Header=BB1537_148 Depth=2
	s_or_b64 exec, exec, s[44:45]
	s_and_saveexec_b64 s[42:43], s[40:41]
	s_cbranch_execnz .LBB1537_210
.LBB1537_194:                           ;   in Loop: Header=BB1537_148 Depth=2
	s_or_b64 exec, exec, s[42:43]
	s_and_saveexec_b64 s[40:41], s[38:39]
	s_cbranch_execnz .LBB1537_211
.LBB1537_195:                           ;   in Loop: Header=BB1537_148 Depth=2
	s_or_b64 exec, exec, s[40:41]
	s_and_saveexec_b64 s[38:39], vcc
	s_cbranch_execz .LBB1537_197
.LBB1537_196:                           ;   in Loop: Header=BB1537_148 Depth=2
	v_lshlrev_b32_e32 v3, 2, v69
	ds_read_b32 v3, v3
	v_add_u32_e32 v13, v0, v51
	ds_read_b64 v[13:14], v13 offset:7168
	v_mov_b32_e32 v17, s67
	s_waitcnt lgkmcnt(1)
	v_add_u32_e32 v3, v3, v21
	v_lshlrev_b64 v[15:16], 3, v[3:4]
	v_add_co_u32_e32 v15, vcc, s66, v15
	v_addc_co_u32_e32 v16, vcc, v17, v16, vcc
	s_waitcnt lgkmcnt(0)
	global_store_dwordx2 v[15:16], v[13:14], off
.LBB1537_197:                           ;   in Loop: Header=BB1537_148 Depth=2
	s_or_b64 exec, exec, s[38:39]
	s_waitcnt vmcnt(0)
	s_barrier
	s_and_saveexec_b64 s[38:39], s[4:5]
	s_cbranch_execz .LBB1537_147
; %bb.198:                              ;   in Loop: Header=BB1537_148 Depth=2
	ds_read_b32 v3, v18
	s_waitcnt lgkmcnt(0)
	v_add_u32_e32 v3, v3, v75
	ds_write_b32 v18, v3
	s_branch .LBB1537_147
.LBB1537_199:                           ;   in Loop: Header=BB1537_148 Depth=2
	ds_read_u8 v16, v0 offset:1024
	s_waitcnt lgkmcnt(0)
	v_and_b32_e32 v17, 1, v16
	v_lshrrev_b32_e32 v17, s7, v17
	v_and_b32_e32 v17, s58, v17
	v_lshlrev_b32_e32 v17, 2, v17
	ds_read_b32 v17, v17
	v_xor_b32_e32 v16, 1, v16
	s_waitcnt lgkmcnt(0)
	v_add_u32_e32 v17, v17, v0
	global_store_byte v17, v16, s[52:53]
	s_or_b64 exec, exec, s[38:39]
	v_cmp_lt_u32_e64 s[40:41], v19, v74
	s_and_saveexec_b64 s[38:39], s[40:41]
	s_cbranch_execz .LBB1537_180
.LBB1537_200:                           ;   in Loop: Header=BB1537_148 Depth=2
	ds_read_u8 v16, v0 offset:1280
	s_waitcnt lgkmcnt(0)
	v_and_b32_e32 v17, 1, v16
	v_lshrrev_b32_e32 v17, s7, v17
	v_and_b32_e32 v17, s58, v17
	v_lshlrev_b32_e32 v17, 2, v17
	ds_read_b32 v17, v17
	v_xor_b32_e32 v16, 1, v16
	s_waitcnt lgkmcnt(0)
	v_add_u32_e32 v17, v17, v19
	global_store_byte v17, v16, s[52:53]
	s_or_b64 exec, exec, s[38:39]
	v_cmp_lt_u32_e64 s[38:39], v20, v74
	s_and_saveexec_b64 s[44:45], s[38:39]
	s_cbranch_execz .LBB1537_181
.LBB1537_201:                           ;   in Loop: Header=BB1537_148 Depth=2
	ds_read_u8 v16, v0 offset:1536
	s_waitcnt lgkmcnt(0)
	v_and_b32_e32 v17, 1, v16
	v_lshrrev_b32_e32 v17, s7, v17
	v_and_b32_e32 v17, s58, v17
	v_lshlrev_b32_e32 v17, 2, v17
	ds_read_b32 v17, v17
	v_xor_b32_e32 v16, 1, v16
	s_waitcnt lgkmcnt(0)
	v_add_u32_e32 v17, v17, v20
	global_store_byte v17, v16, s[52:53]
	s_or_b64 exec, exec, s[44:45]
	v_cmp_lt_u32_e32 vcc, v21, v74
	s_and_saveexec_b64 s[44:45], vcc
	s_cbranch_execnz .LBB1537_182
	s_branch .LBB1537_183
.LBB1537_202:                           ;   in Loop: Header=BB1537_148 Depth=2
	global_load_dwordx2 v[11:12], v[16:17], off
	s_or_b64 exec, exec, s[44:45]
	v_cmp_lt_u32_e64 s[44:45], v61, v74
	s_and_saveexec_b64 s[54:55], s[44:45]
	s_cbranch_execz .LBB1537_185
.LBB1537_203:                           ;   in Loop: Header=BB1537_148 Depth=2
	global_load_dwordx2 v[9:10], v[16:17], off offset:512
	s_or_b64 exec, exec, s[54:55]
	v_cmp_lt_u32_e64 s[44:45], v62, v74
	s_and_saveexec_b64 s[54:55], s[44:45]
	s_cbranch_execz .LBB1537_186
.LBB1537_204:                           ;   in Loop: Header=BB1537_148 Depth=2
	global_load_dwordx2 v[7:8], v[16:17], off offset:1024
	s_or_b64 exec, exec, s[54:55]
	v_cmp_lt_u32_e64 s[44:45], v63, v74
	s_and_saveexec_b64 s[54:55], s[44:45]
	s_cbranch_execz .LBB1537_187
.LBB1537_205:                           ;   in Loop: Header=BB1537_148 Depth=2
	global_load_dwordx2 v[5:6], v[16:17], off offset:1536
	s_or_b64 exec, exec, s[54:55]
	s_and_saveexec_b64 s[44:45], s[42:43]
	s_cbranch_execz .LBB1537_188
.LBB1537_206:                           ;   in Loop: Header=BB1537_148 Depth=2
	ds_read_u8 v16, v0 offset:1024
	s_waitcnt lgkmcnt(0)
	v_lshrrev_b32_e32 v16, s7, v16
	v_and_b32_e32 v73, s58, v16
	s_or_b64 exec, exec, s[44:45]
	s_and_saveexec_b64 s[44:45], s[40:41]
	s_cbranch_execz .LBB1537_189
.LBB1537_207:                           ;   in Loop: Header=BB1537_148 Depth=2
	ds_read_u8 v16, v0 offset:1280
	s_waitcnt lgkmcnt(0)
	v_lshrrev_b32_e32 v16, s7, v16
	v_and_b32_e32 v72, s58, v16
	s_or_b64 exec, exec, s[44:45]
	s_and_saveexec_b64 s[44:45], s[38:39]
	s_cbranch_execz .LBB1537_190
.LBB1537_208:                           ;   in Loop: Header=BB1537_148 Depth=2
	ds_read_u8 v16, v0 offset:1536
	s_waitcnt lgkmcnt(0)
	v_lshrrev_b32_e32 v16, s7, v16
	v_and_b32_e32 v70, s58, v16
	s_or_b64 exec, exec, s[44:45]
	s_and_saveexec_b64 s[44:45], vcc
	s_cbranch_execnz .LBB1537_191
	s_branch .LBB1537_192
.LBB1537_209:                           ;   in Loop: Header=BB1537_148 Depth=2
	v_lshlrev_b32_e32 v3, 2, v73
	ds_read_b32 v3, v3
	v_add_u32_e32 v13, v0, v51
	ds_read_b64 v[13:14], v13 offset:1024
	v_mov_b32_e32 v17, s67
	s_waitcnt lgkmcnt(1)
	v_add_u32_e32 v3, v3, v0
	v_lshlrev_b64 v[15:16], 3, v[3:4]
	v_add_co_u32_e64 v15, s[42:43], s66, v15
	v_addc_co_u32_e64 v16, s[42:43], v17, v16, s[42:43]
	s_waitcnt lgkmcnt(0)
	global_store_dwordx2 v[15:16], v[13:14], off
	s_or_b64 exec, exec, s[44:45]
	s_and_saveexec_b64 s[42:43], s[40:41]
	s_cbranch_execz .LBB1537_194
.LBB1537_210:                           ;   in Loop: Header=BB1537_148 Depth=2
	v_lshlrev_b32_e32 v3, 2, v72
	ds_read_b32 v3, v3
	v_add_u32_e32 v13, v0, v51
	ds_read_b64 v[13:14], v13 offset:3072
	v_mov_b32_e32 v17, s67
	s_waitcnt lgkmcnt(1)
	v_add_u32_e32 v3, v3, v19
	v_lshlrev_b64 v[15:16], 3, v[3:4]
	v_add_co_u32_e64 v15, s[40:41], s66, v15
	v_addc_co_u32_e64 v16, s[40:41], v17, v16, s[40:41]
	s_waitcnt lgkmcnt(0)
	global_store_dwordx2 v[15:16], v[13:14], off
	s_or_b64 exec, exec, s[42:43]
	s_and_saveexec_b64 s[40:41], s[38:39]
	s_cbranch_execz .LBB1537_195
.LBB1537_211:                           ;   in Loop: Header=BB1537_148 Depth=2
	v_lshlrev_b32_e32 v3, 2, v70
	ds_read_b32 v3, v3
	v_add_u32_e32 v13, v0, v51
	ds_read_b64 v[13:14], v13 offset:5120
	v_mov_b32_e32 v17, s67
	s_waitcnt lgkmcnt(1)
	v_add_u32_e32 v3, v3, v20
	v_lshlrev_b64 v[15:16], 3, v[3:4]
	v_add_co_u32_e64 v15, s[38:39], s66, v15
	v_addc_co_u32_e64 v16, s[38:39], v17, v16, s[38:39]
	s_waitcnt lgkmcnt(0)
	global_store_dwordx2 v[15:16], v[13:14], off
	s_or_b64 exec, exec, s[40:41]
	s_and_saveexec_b64 s[38:39], vcc
	s_cbranch_execnz .LBB1537_196
	s_branch .LBB1537_197
.LBB1537_212:                           ;   in Loop: Header=BB1537_12 Depth=1
	s_waitcnt lgkmcnt(0)
	s_barrier
.LBB1537_213:                           ;   in Loop: Header=BB1537_12 Depth=1
	s_mov_b64 s[18:19], 0
.LBB1537_214:                           ;   in Loop: Header=BB1537_12 Depth=1
	s_andn2_b64 vcc, exec, s[18:19]
	s_cbranch_vccnz .LBB1537_11
; %bb.215:                              ;   in Loop: Header=BB1537_12 Depth=1
	s_mov_b64 s[18:19], -1
	s_and_b64 vcc, exec, s[72:73]
	s_cbranch_vccz .LBB1537_315
; %bb.216:                              ;   in Loop: Header=BB1537_12 Depth=1
	v_mov_b32_e32 v3, 0
	s_mov_b32 s20, s71
	s_mov_b32 s23, s74
	v_mov_b32_e32 v7, 0
	v_mov_b32_e32 v6, 0
	;; [unrolled: 1-line block ×3, first 2 shown]
	s_barrier
	s_branch .LBB1537_218
.LBB1537_217:                           ;   in Loop: Header=BB1537_218 Depth=2
	s_or_b64 exec, exec, s[18:19]
	s_addk_i32 s20, 0xfc00
	s_cmp_ge_u32 s21, s75
	s_mov_b32 s23, s21
	s_cbranch_scc1 .LBB1537_238
.LBB1537_218:                           ;   Parent Loop BB1537_12 Depth=1
                                        ; =>  This Inner Loop Header: Depth=2
	s_add_i32 s21, s23, 0x400
	s_cmp_gt_u32 s21, s75
	s_mov_b64 s[18:19], -1
                                        ; implicit-def: $vgpr8
                                        ; implicit-def: $vgpr9
                                        ; implicit-def: $vgpr10
                                        ; implicit-def: $vgpr11
	s_cbranch_scc1 .LBB1537_220
; %bb.219:                              ;   in Loop: Header=BB1537_218 Depth=2
	v_add_co_u32_e32 v12, vcc, s23, v38
	v_addc_co_u32_e32 v13, vcc, 0, v39, vcc
	global_load_ubyte v11, v[12:13], off offset:768
	global_load_ubyte v10, v[12:13], off offset:512
	;; [unrolled: 1-line block ×3, first 2 shown]
	global_load_ubyte v8, v[12:13], off
	s_mov_b64 s[18:19], 0
.LBB1537_220:                           ;   in Loop: Header=BB1537_218 Depth=2
	s_andn2_b64 vcc, exec, s[18:19]
	s_movk_i32 s22, 0x400
	s_cbranch_vccnz .LBB1537_227
; %bb.221:                              ;   in Loop: Header=BB1537_218 Depth=2
	s_add_u32 s22, s48, s23
	s_addc_u32 s23, s49, 0
	v_cmp_gt_u32_e32 vcc, s20, v0
	s_and_saveexec_b64 s[18:19], vcc
	s_cbranch_execnz .LBB1537_235
; %bb.222:                              ;   in Loop: Header=BB1537_218 Depth=2
	s_or_b64 exec, exec, s[18:19]
	v_cmp_gt_u32_e32 vcc, s20, v19
	s_and_saveexec_b64 s[18:19], vcc
	s_cbranch_execnz .LBB1537_236
.LBB1537_223:                           ;   in Loop: Header=BB1537_218 Depth=2
	s_or_b64 exec, exec, s[18:19]
	v_cmp_gt_u32_e32 vcc, s20, v20
	s_and_saveexec_b64 s[18:19], vcc
	s_cbranch_execnz .LBB1537_237
.LBB1537_224:                           ;   in Loop: Header=BB1537_218 Depth=2
	s_or_b64 exec, exec, s[18:19]
	v_cmp_gt_u32_e32 vcc, s20, v21
	s_and_saveexec_b64 s[18:19], vcc
	s_cbranch_execz .LBB1537_226
.LBB1537_225:                           ;   in Loop: Header=BB1537_218 Depth=2
	v_mov_b32_e32 v5, s23
	s_waitcnt vmcnt(0)
	v_add_co_u32_e32 v8, vcc, s22, v0
	v_addc_co_u32_e32 v9, vcc, 0, v5, vcc
	global_load_ubyte v5, v[8:9], off offset:768
.LBB1537_226:                           ;   in Loop: Header=BB1537_218 Depth=2
	s_or_b64 exec, exec, s[18:19]
	s_mov_b32 s22, s20
	s_waitcnt vmcnt(0)
	v_mov_b32_e32 v8, v3
	v_mov_b32_e32 v9, v7
	;; [unrolled: 1-line block ×4, first 2 shown]
.LBB1537_227:                           ;   in Loop: Header=BB1537_218 Depth=2
	s_waitcnt vmcnt(3)
	v_mov_b32_e32 v5, v11
	s_waitcnt vmcnt(2)
	v_mov_b32_e32 v6, v10
	;; [unrolled: 2-line block ×4, first 2 shown]
	v_cmp_gt_u32_e32 vcc, s22, v0
	s_and_saveexec_b64 s[18:19], vcc
	s_cbranch_execnz .LBB1537_231
; %bb.228:                              ;   in Loop: Header=BB1537_218 Depth=2
	s_or_b64 exec, exec, s[18:19]
	v_cmp_gt_u32_e32 vcc, s22, v19
	s_and_saveexec_b64 s[18:19], vcc
	s_cbranch_execnz .LBB1537_232
.LBB1537_229:                           ;   in Loop: Header=BB1537_218 Depth=2
	s_or_b64 exec, exec, s[18:19]
	v_cmp_gt_u32_e32 vcc, s22, v20
	s_and_saveexec_b64 s[18:19], vcc
	s_cbranch_execnz .LBB1537_233
.LBB1537_230:                           ;   in Loop: Header=BB1537_218 Depth=2
	s_or_b64 exec, exec, s[18:19]
	v_cmp_gt_u32_e32 vcc, s22, v21
	s_and_saveexec_b64 s[18:19], vcc
	s_cbranch_execz .LBB1537_217
	s_branch .LBB1537_234
.LBB1537_231:                           ;   in Loop: Header=BB1537_218 Depth=2
	v_xor_b32_e32 v8, -1, v3
	v_and_b32_e32 v8, 1, v8
	v_lshrrev_b32_sdwa v8, s69, v8 dst_sel:DWORD dst_unused:UNUSED_PAD src0_sel:DWORD src1_sel:WORD_0
	v_and_b32_e32 v8, s58, v8
	v_lshl_or_b32 v8, v8, 4, v24
	ds_add_u32 v8, v52
	s_or_b64 exec, exec, s[18:19]
	v_cmp_gt_u32_e32 vcc, s22, v19
	s_and_saveexec_b64 s[18:19], vcc
	s_cbranch_execz .LBB1537_229
.LBB1537_232:                           ;   in Loop: Header=BB1537_218 Depth=2
	v_xor_b32_e32 v8, -1, v7
	v_and_b32_e32 v8, 1, v8
	v_lshrrev_b32_sdwa v8, s69, v8 dst_sel:DWORD dst_unused:UNUSED_PAD src0_sel:DWORD src1_sel:WORD_0
	v_and_b32_e32 v8, s58, v8
	v_lshl_or_b32 v8, v8, 4, v24
	ds_add_u32 v8, v52
	s_or_b64 exec, exec, s[18:19]
	v_cmp_gt_u32_e32 vcc, s22, v20
	s_and_saveexec_b64 s[18:19], vcc
	s_cbranch_execz .LBB1537_230
.LBB1537_233:                           ;   in Loop: Header=BB1537_218 Depth=2
	v_xor_b32_e32 v8, -1, v6
	v_and_b32_e32 v8, 1, v8
	v_lshrrev_b32_sdwa v8, s69, v8 dst_sel:DWORD dst_unused:UNUSED_PAD src0_sel:DWORD src1_sel:WORD_0
	v_and_b32_e32 v8, s58, v8
	v_lshl_or_b32 v8, v8, 4, v24
	ds_add_u32 v8, v52
	s_or_b64 exec, exec, s[18:19]
	v_cmp_gt_u32_e32 vcc, s22, v21
	s_and_saveexec_b64 s[18:19], vcc
	s_cbranch_execz .LBB1537_217
.LBB1537_234:                           ;   in Loop: Header=BB1537_218 Depth=2
	v_xor_b32_e32 v8, -1, v5
	v_and_b32_e32 v8, 1, v8
	v_lshrrev_b32_sdwa v8, s69, v8 dst_sel:DWORD dst_unused:UNUSED_PAD src0_sel:DWORD src1_sel:WORD_0
	v_and_b32_e32 v8, s58, v8
	v_lshl_or_b32 v8, v8, 4, v24
	ds_add_u32 v8, v52
	s_branch .LBB1537_217
.LBB1537_235:                           ;   in Loop: Header=BB1537_218 Depth=2
	v_mov_b32_e32 v3, s23
	s_waitcnt vmcnt(0)
	v_add_co_u32_e32 v8, vcc, s22, v0
	v_addc_co_u32_e32 v9, vcc, 0, v3, vcc
	global_load_ubyte v3, v[8:9], off
	s_or_b64 exec, exec, s[18:19]
	v_cmp_gt_u32_e32 vcc, s20, v19
	s_and_saveexec_b64 s[18:19], vcc
	s_cbranch_execz .LBB1537_223
.LBB1537_236:                           ;   in Loop: Header=BB1537_218 Depth=2
	s_waitcnt vmcnt(0)
	v_mov_b32_e32 v8, s23
	v_add_co_u32_e32 v7, vcc, s22, v0
	v_addc_co_u32_e32 v8, vcc, 0, v8, vcc
	global_load_ubyte v7, v[7:8], off offset:256
	s_or_b64 exec, exec, s[18:19]
	v_cmp_gt_u32_e32 vcc, s20, v20
	s_and_saveexec_b64 s[18:19], vcc
	s_cbranch_execz .LBB1537_224
.LBB1537_237:                           ;   in Loop: Header=BB1537_218 Depth=2
	v_mov_b32_e32 v6, s23
	s_waitcnt vmcnt(0)
	v_add_co_u32_e32 v8, vcc, s22, v0
	v_addc_co_u32_e32 v9, vcc, 0, v6, vcc
	global_load_ubyte v6, v[8:9], off offset:512
	s_or_b64 exec, exec, s[18:19]
	v_cmp_gt_u32_e32 vcc, s20, v21
	s_and_saveexec_b64 s[18:19], vcc
	s_cbranch_execnz .LBB1537_225
	s_branch .LBB1537_226
.LBB1537_238:                           ;   in Loop: Header=BB1537_12 Depth=1
	v_mov_b32_e32 v3, 0
	s_waitcnt lgkmcnt(0)
	s_barrier
	s_and_saveexec_b64 s[18:19], s[4:5]
	s_cbranch_execz .LBB1537_240
; %bb.239:                              ;   in Loop: Header=BB1537_12 Depth=1
	ds_read2_b64 v[5:8], v25 offset1:1
	s_waitcnt lgkmcnt(0)
	v_add_u32_e32 v3, v6, v5
	v_add3_u32 v3, v3, v7, v8
.LBB1537_240:                           ;   in Loop: Header=BB1537_12 Depth=1
	s_or_b64 exec, exec, s[18:19]
	s_nop 0
	v_mov_b32_dpp v5, v3 row_shr:1 row_mask:0xf bank_mask:0xf
	v_cmp_eq_u32_e64 s[18:19], 0, v55
	v_cndmask_b32_e64 v5, v5, 0, s[18:19]
	v_add_u32_e32 v3, v5, v3
	v_cmp_lt_u32_e64 s[20:21], 1, v55
	v_cmp_lt_u32_e64 s[22:23], 3, v55
	v_mov_b32_dpp v5, v3 row_shr:2 row_mask:0xf bank_mask:0xf
	v_cndmask_b32_e64 v5, 0, v5, s[20:21]
	v_add_u32_e32 v3, v3, v5
	v_cmp_lt_u32_e64 s[24:25], 7, v55
	v_cmp_lt_u32_e64 s[28:29], 31, v44
	v_mov_b32_dpp v5, v3 row_shr:4 row_mask:0xf bank_mask:0xf
	v_cndmask_b32_e64 v5, 0, v5, s[22:23]
	v_add_u32_e32 v3, v3, v5
	v_cmp_eq_u32_e64 s[26:27], 0, v57
	s_nop 0
	v_mov_b32_dpp v5, v3 row_shr:8 row_mask:0xf bank_mask:0xf
	v_cndmask_b32_e64 v5, 0, v5, s[24:25]
	v_add_u32_e32 v3, v3, v5
	s_nop 1
	v_mov_b32_dpp v5, v3 row_bcast:15 row_mask:0xf bank_mask:0xf
	v_and_b32_e32 v5, v56, v5
	v_add_u32_e32 v3, v3, v5
	s_nop 1
	v_mov_b32_dpp v5, v3 row_bcast:31 row_mask:0xf bank_mask:0xf
	v_cndmask_b32_e64 v5, 0, v5, s[28:29]
	v_add_u32_e32 v3, v3, v5
	s_and_saveexec_b64 s[30:31], s[8:9]
; %bb.241:                              ;   in Loop: Header=BB1537_12 Depth=1
	ds_write_b32 v48, v3
; %bb.242:                              ;   in Loop: Header=BB1537_12 Depth=1
	s_or_b64 exec, exec, s[30:31]
	s_waitcnt lgkmcnt(0)
	s_barrier
	s_and_saveexec_b64 s[30:31], s[10:11]
	s_cbranch_execz .LBB1537_244
; %bb.243:                              ;   in Loop: Header=BB1537_12 Depth=1
	ds_read_b32 v5, v49
	v_cmp_ne_u32_e32 vcc, 0, v58
	s_waitcnt lgkmcnt(0)
	v_mov_b32_dpp v6, v5 row_shr:1 row_mask:0xf bank_mask:0xf
	v_cndmask_b32_e32 v6, 0, v6, vcc
	v_add_u32_e32 v5, v6, v5
	v_cmp_lt_u32_e32 vcc, 1, v58
	s_nop 0
	v_mov_b32_dpp v6, v5 row_shr:2 row_mask:0xf bank_mask:0xf
	v_cndmask_b32_e32 v6, 0, v6, vcc
	v_add_u32_e32 v5, v5, v6
	ds_write_b32 v49, v5
.LBB1537_244:                           ;   in Loop: Header=BB1537_12 Depth=1
	s_or_b64 exec, exec, s[30:31]
	v_mov_b32_e32 v5, 0
	s_waitcnt lgkmcnt(0)
	s_barrier
	s_and_saveexec_b64 s[30:31], s[12:13]
; %bb.245:                              ;   in Loop: Header=BB1537_12 Depth=1
	ds_read_b32 v5, v50
; %bb.246:                              ;   in Loop: Header=BB1537_12 Depth=1
	s_or_b64 exec, exec, s[30:31]
	v_subrev_co_u32_e64 v6, s[30:31], 1, v44
	v_cmp_lt_i32_e32 vcc, v6, v59
	v_cndmask_b32_e32 v6, v6, v44, vcc
	s_waitcnt lgkmcnt(0)
	v_add_u32_e32 v3, v5, v3
	v_lshlrev_b32_e32 v64, 2, v6
	ds_bpermute_b32 v3, v64, v3
	s_waitcnt lgkmcnt(0)
	s_barrier
	s_and_saveexec_b64 s[34:35], s[4:5]
; %bb.247:                              ;   in Loop: Header=BB1537_12 Depth=1
	v_cndmask_b32_e64 v3, v3, v5, s[30:31]
	v_add_u32_e32 v3, s74, v3
	ds_write_b32 v18, v3
; %bb.248:                              ;   in Loop: Header=BB1537_12 Depth=1
	s_or_b64 exec, exec, s[34:35]
	s_load_dwordx2 s[34:35], s[46:47], 0x0
	v_add_co_u32_e32 v65, vcc, v40, v60
	v_addc_co_u32_e32 v66, vcc, 0, v41, vcc
	s_waitcnt lgkmcnt(0)
	s_cmp_lt_u32 s33, s35
	s_cselect_b32 s35, 14, 20
	s_add_u32 s36, s46, s35
	s_addc_u32 s37, s47, 0
	s_cmp_lt_u32 s6, s34
	s_cselect_b32 s34, 12, 18
	s_add_u32 s34, s46, s34
	global_load_ushort v3, v4, s[36:37]
	s_addc_u32 s35, s47, 0
	global_load_ushort v5, v4, s[34:35]
	v_add_co_u32_e32 v67, vcc, v42, v45
	v_cmp_eq_u32_e64 s[34:35], 0, v58
	v_cmp_lt_u32_e64 s[36:37], 1, v58
	v_addc_co_u32_e32 v68, vcc, 0, v43, vcc
	s_mov_b32 s59, s71
	s_mov_b32 s56, s74
                                        ; implicit-def: $vgpr7_vgpr8
                                        ; implicit-def: $vgpr9_vgpr10
                                        ; implicit-def: $vgpr11_vgpr12
                                        ; implicit-def: $vgpr69
                                        ; implicit-def: $vgpr70
                                        ; implicit-def: $vgpr72
                                        ; implicit-def: $vgpr73
	s_waitcnt vmcnt(1)
	v_mad_u32_u24 v3, v2, v3, v1
	s_waitcnt vmcnt(0)
	v_mad_u64_u32 v[13:14], s[38:39], v3, v5, v[0:1]
                                        ; implicit-def: $vgpr5_vgpr6
	v_lshrrev_b32_e32 v3, 4, v13
	v_and_b32_e32 v71, 0xffffffc, v3
	s_branch .LBB1537_250
.LBB1537_249:                           ;   in Loop: Header=BB1537_250 Depth=2
	s_or_b64 exec, exec, s[38:39]
	s_addk_i32 s59, 0xfc00
	s_cmp_lt_u32 s60, s75
	s_mov_b32 s56, s60
	s_cbranch_scc0 .LBB1537_314
.LBB1537_250:                           ;   Parent Loop BB1537_12 Depth=1
                                        ; =>  This Inner Loop Header: Depth=2
	s_add_i32 s60, s56, 0x400
	s_cmp_gt_u32 s60, s75
	s_cbranch_scc1 .LBB1537_252
; %bb.251:                              ;   in Loop: Header=BB1537_250 Depth=2
	v_add_co_u32_e32 v13, vcc, s56, v67
	v_addc_co_u32_e32 v14, vcc, 0, v68, vcc
	global_load_ubyte v15, v[13:14], off offset:128
	global_load_ubyte v16, v[13:14], off offset:64
	global_load_ubyte v3, v[13:14], off
	s_mov_b64 s[38:39], -1
	s_movk_i32 s42, 0x400
                                        ; implicit-def: $vgpr17
	s_cbranch_execz .LBB1537_253
	s_branch .LBB1537_260
.LBB1537_252:                           ;   in Loop: Header=BB1537_250 Depth=2
	s_mov_b64 s[38:39], 0
                                        ; implicit-def: $vgpr3
                                        ; implicit-def: $vgpr16
                                        ; implicit-def: $vgpr15
	s_movk_i32 s42, 0x400
                                        ; implicit-def: $vgpr17
.LBB1537_253:                           ;   in Loop: Header=BB1537_250 Depth=2
	v_add_co_u32_e32 v13, vcc, s56, v67
	v_addc_co_u32_e32 v14, vcc, 0, v68, vcc
	v_cmp_gt_u32_e32 vcc, s59, v46
	s_waitcnt vmcnt(2)
	v_mov_b32_e32 v15, 0
	s_waitcnt vmcnt(0)
	v_mov_b32_e32 v3, 0
	v_mov_b32_e32 v17, 0
	s_and_saveexec_b64 s[38:39], vcc
	s_cbranch_execz .LBB1537_255
; %bb.254:                              ;   in Loop: Header=BB1537_250 Depth=2
	global_load_ubyte v3, v[13:14], off
	v_mov_b32_e32 v17, 0
.LBB1537_255:                           ;   in Loop: Header=BB1537_250 Depth=2
	s_or_b64 exec, exec, s[38:39]
	v_cmp_gt_u32_e32 vcc, s59, v61
	v_mov_b32_e32 v16, v15
	s_and_saveexec_b64 s[38:39], vcc
	s_cbranch_execz .LBB1537_257
; %bb.256:                              ;   in Loop: Header=BB1537_250 Depth=2
	global_load_ubyte v16, v[13:14], off offset:64
.LBB1537_257:                           ;   in Loop: Header=BB1537_250 Depth=2
	s_or_b64 exec, exec, s[38:39]
	v_cmp_gt_u32_e32 vcc, s59, v62
	s_and_saveexec_b64 s[38:39], vcc
	s_cbranch_execz .LBB1537_259
; %bb.258:                              ;   in Loop: Header=BB1537_250 Depth=2
	global_load_ubyte v15, v[13:14], off offset:128
.LBB1537_259:                           ;   in Loop: Header=BB1537_250 Depth=2
	s_or_b64 exec, exec, s[38:39]
	s_sub_i32 s42, s75, s56
	v_cmp_gt_u32_e64 s[38:39], s59, v63
.LBB1537_260:                           ;   in Loop: Header=BB1537_250 Depth=2
	v_mov_b32_e32 v74, s59
	s_and_saveexec_b64 s[40:41], s[38:39]
	s_cbranch_execz .LBB1537_262
; %bb.261:                              ;   in Loop: Header=BB1537_250 Depth=2
	v_mov_b32_e32 v14, s57
	v_add_co_u32_e32 v13, vcc, s56, v67
	v_addc_co_u32_e32 v14, vcc, v68, v14, vcc
	global_load_ubyte v17, v[13:14], off offset:192
	v_mov_b32_e32 v74, s42
.LBB1537_262:                           ;   in Loop: Header=BB1537_250 Depth=2
	s_or_b64 exec, exec, s[40:41]
	s_waitcnt vmcnt(0)
	v_and_b32_e32 v3, 1, v3
	v_and_b32_e32 v13, 1, v16
	v_cmp_eq_u32_e64 s[42:43], 1, v3
	v_cmp_eq_u32_e64 s[40:41], 1, v13
	v_and_b32_e32 v13, 1, v15
	s_xor_b64 s[42:43], s[42:43], -1
	v_cmp_eq_u32_e64 s[38:39], 1, v13
	v_and_b32_e32 v13, 1, v17
	v_cndmask_b32_e64 v17, 0, 1, s[42:43]
	v_lshrrev_b32_e32 v3, s69, v17
	v_and_b32_e32 v3, s58, v3
	v_mul_u32_u24_e32 v15, 20, v3
	v_cmp_ne_u32_e64 s[42:43], 0, v3
	v_add_co_u32_e64 v3, s[44:45], -1, v3
	v_cmp_eq_u32_e32 vcc, 1, v13
	v_addc_co_u32_e64 v13, s[44:45], 0, -1, s[44:45]
	v_xor_b32_e32 v13, s43, v13
	v_xor_b32_e32 v3, s42, v3
	v_and_b32_e32 v14, exec_hi, v13
	v_and_b32_e32 v13, exec_lo, v3
	v_mbcnt_lo_u32_b32 v3, v13, 0
	v_mbcnt_hi_u32_b32 v3, v14, v3
	v_cmp_ne_u64_e64 s[42:43], 0, v[13:14]
	v_cmp_eq_u32_e64 s[44:45], 0, v3
	s_and_b64 s[44:45], s[42:43], s[44:45]
	v_add_u32_e32 v75, v71, v15
	ds_write2_b32 v53, v4, v4 offset1:1
	ds_write2_b32 v54, v4, v4 offset1:1
	ds_write_b32 v27, v4 offset:1056
	s_waitcnt lgkmcnt(0)
	s_barrier
	; wave barrier
	s_and_saveexec_b64 s[42:43], s[44:45]
; %bb.263:                              ;   in Loop: Header=BB1537_250 Depth=2
	v_bcnt_u32_b32 v13, v13, 0
	v_bcnt_u32_b32 v13, v14, v13
	ds_write_b32 v75, v13 offset:1040
; %bb.264:                              ;   in Loop: Header=BB1537_250 Depth=2
	s_or_b64 exec, exec, s[42:43]
	s_xor_b64 s[40:41], s[40:41], -1
	v_cndmask_b32_e64 v76, 0, 1, s[40:41]
	v_lshrrev_b32_e32 v13, s69, v76
	v_and_b32_e32 v13, s58, v13
	v_mul_u32_u24_e32 v15, 20, v13
	v_mad_u32_u24 v14, v13, 20, v71
	v_cmp_ne_u32_e64 s[40:41], 0, v13
	v_add_co_u32_e64 v13, s[42:43], -1, v13
	; wave barrier
	ds_read_b32 v77, v14 offset:1040
	v_addc_co_u32_e64 v14, s[42:43], 0, -1, s[42:43]
	v_xor_b32_e32 v13, s40, v13
	v_xor_b32_e32 v14, s41, v14
	v_and_b32_e32 v13, exec_lo, v13
	v_and_b32_e32 v14, exec_hi, v14
	v_mbcnt_lo_u32_b32 v16, v13, 0
	v_mbcnt_hi_u32_b32 v78, v14, v16
	v_cmp_ne_u64_e64 s[40:41], 0, v[13:14]
	v_cmp_eq_u32_e64 s[42:43], 0, v78
	s_and_b64 s[42:43], s[40:41], s[42:43]
	v_add_u32_e32 v81, v71, v15
	; wave barrier
	s_and_saveexec_b64 s[40:41], s[42:43]
	s_cbranch_execz .LBB1537_266
; %bb.265:                              ;   in Loop: Header=BB1537_250 Depth=2
	v_bcnt_u32_b32 v13, v13, 0
	v_bcnt_u32_b32 v13, v14, v13
	s_waitcnt lgkmcnt(0)
	v_add_u32_e32 v13, v77, v13
	ds_write_b32 v81, v13 offset:1040
.LBB1537_266:                           ;   in Loop: Header=BB1537_250 Depth=2
	s_or_b64 exec, exec, s[40:41]
	s_xor_b64 s[38:39], s[38:39], -1
	v_cndmask_b32_e64 v79, 0, 1, s[38:39]
	v_lshrrev_b32_e32 v13, s69, v79
	v_and_b32_e32 v13, s58, v13
	v_mul_u32_u24_e32 v15, 20, v13
	v_mad_u32_u24 v14, v13, 20, v71
	v_cmp_ne_u32_e64 s[38:39], 0, v13
	v_add_co_u32_e64 v13, s[40:41], -1, v13
	; wave barrier
	ds_read_b32 v80, v14 offset:1040
	v_addc_co_u32_e64 v14, s[40:41], 0, -1, s[40:41]
	v_xor_b32_e32 v13, s38, v13
	v_xor_b32_e32 v14, s39, v14
	v_and_b32_e32 v13, exec_lo, v13
	v_and_b32_e32 v14, exec_hi, v14
	v_mbcnt_lo_u32_b32 v16, v13, 0
	v_mbcnt_hi_u32_b32 v82, v14, v16
	v_cmp_ne_u64_e64 s[38:39], 0, v[13:14]
	v_cmp_eq_u32_e64 s[40:41], 0, v82
	s_and_b64 s[40:41], s[38:39], s[40:41]
	v_add_u32_e32 v85, v71, v15
	; wave barrier
	s_and_saveexec_b64 s[38:39], s[40:41]
	s_cbranch_execz .LBB1537_268
; %bb.267:                              ;   in Loop: Header=BB1537_250 Depth=2
	v_bcnt_u32_b32 v13, v13, 0
	v_bcnt_u32_b32 v13, v14, v13
	s_waitcnt lgkmcnt(0)
	v_add_u32_e32 v13, v80, v13
	ds_write_b32 v85, v13 offset:1040
.LBB1537_268:                           ;   in Loop: Header=BB1537_250 Depth=2
	s_or_b64 exec, exec, s[38:39]
	s_xor_b64 s[38:39], vcc, -1
	v_cndmask_b32_e64 v83, 0, 1, s[38:39]
	v_lshrrev_b32_e32 v13, s69, v83
	v_and_b32_e32 v13, s58, v13
	v_mul_u32_u24_e32 v15, 20, v13
	v_mad_u32_u24 v14, v13, 20, v71
	v_cmp_ne_u32_e32 vcc, 0, v13
	v_add_co_u32_e64 v13, s[38:39], -1, v13
	; wave barrier
	ds_read_b32 v84, v14 offset:1040
	v_addc_co_u32_e64 v14, s[38:39], 0, -1, s[38:39]
	v_xor_b32_e32 v13, vcc_lo, v13
	v_xor_b32_e32 v14, vcc_hi, v14
	v_and_b32_e32 v13, exec_lo, v13
	v_and_b32_e32 v14, exec_hi, v14
	v_mbcnt_lo_u32_b32 v16, v13, 0
	v_mbcnt_hi_u32_b32 v86, v14, v16
	v_cmp_ne_u64_e32 vcc, 0, v[13:14]
	v_cmp_eq_u32_e64 s[38:39], 0, v86
	s_and_b64 s[40:41], vcc, s[38:39]
	v_add_u32_e32 v87, v71, v15
	; wave barrier
	s_and_saveexec_b64 s[38:39], s[40:41]
	s_cbranch_execz .LBB1537_270
; %bb.269:                              ;   in Loop: Header=BB1537_250 Depth=2
	v_bcnt_u32_b32 v13, v13, 0
	v_bcnt_u32_b32 v13, v14, v13
	s_waitcnt lgkmcnt(0)
	v_add_u32_e32 v13, v84, v13
	ds_write_b32 v87, v13 offset:1040
.LBB1537_270:                           ;   in Loop: Header=BB1537_250 Depth=2
	s_or_b64 exec, exec, s[38:39]
	; wave barrier
	s_waitcnt lgkmcnt(0)
	s_barrier
	ds_read2_b32 v[15:16], v53 offset1:1
	ds_read2_b32 v[13:14], v54 offset1:1
	ds_read_b32 v88, v27 offset:1056
	s_waitcnt lgkmcnt(1)
	v_add3_u32 v89, v16, v15, v13
	s_waitcnt lgkmcnt(0)
	v_add3_u32 v88, v89, v14, v88
	s_nop 1
	v_mov_b32_dpp v89, v88 row_shr:1 row_mask:0xf bank_mask:0xf
	v_cndmask_b32_e64 v89, v89, 0, s[18:19]
	v_add_u32_e32 v88, v89, v88
	s_nop 1
	v_mov_b32_dpp v89, v88 row_shr:2 row_mask:0xf bank_mask:0xf
	v_cndmask_b32_e64 v89, 0, v89, s[20:21]
	v_add_u32_e32 v88, v88, v89
	s_nop 1
	v_mov_b32_dpp v89, v88 row_shr:4 row_mask:0xf bank_mask:0xf
	v_cndmask_b32_e64 v89, 0, v89, s[22:23]
	v_add_u32_e32 v88, v88, v89
	s_nop 1
	v_mov_b32_dpp v89, v88 row_shr:8 row_mask:0xf bank_mask:0xf
	v_cndmask_b32_e64 v89, 0, v89, s[24:25]
	v_add_u32_e32 v88, v88, v89
	s_nop 1
	v_mov_b32_dpp v89, v88 row_bcast:15 row_mask:0xf bank_mask:0xf
	v_cndmask_b32_e64 v89, v89, 0, s[26:27]
	v_add_u32_e32 v88, v88, v89
	s_nop 1
	v_mov_b32_dpp v89, v88 row_bcast:31 row_mask:0xf bank_mask:0xf
	v_cndmask_b32_e64 v89, 0, v89, s[28:29]
	v_add_u32_e32 v88, v88, v89
	s_and_saveexec_b64 s[38:39], s[8:9]
; %bb.271:                              ;   in Loop: Header=BB1537_250 Depth=2
	ds_write_b32 v26, v88 offset:1024
; %bb.272:                              ;   in Loop: Header=BB1537_250 Depth=2
	s_or_b64 exec, exec, s[38:39]
	s_waitcnt lgkmcnt(0)
	s_barrier
	s_and_saveexec_b64 s[38:39], s[10:11]
	s_cbranch_execz .LBB1537_274
; %bb.273:                              ;   in Loop: Header=BB1537_250 Depth=2
	ds_read_b32 v89, v47 offset:1024
	s_waitcnt lgkmcnt(0)
	s_nop 0
	v_mov_b32_dpp v90, v89 row_shr:1 row_mask:0xf bank_mask:0xf
	v_cndmask_b32_e64 v90, v90, 0, s[34:35]
	v_add_u32_e32 v89, v90, v89
	s_nop 1
	v_mov_b32_dpp v90, v89 row_shr:2 row_mask:0xf bank_mask:0xf
	v_cndmask_b32_e64 v90, 0, v90, s[36:37]
	v_add_u32_e32 v89, v89, v90
	ds_write_b32 v47, v89 offset:1024
.LBB1537_274:                           ;   in Loop: Header=BB1537_250 Depth=2
	s_or_b64 exec, exec, s[38:39]
	v_mov_b32_e32 v89, 0
	s_waitcnt lgkmcnt(0)
	s_barrier
	s_and_saveexec_b64 s[38:39], s[12:13]
; %bb.275:                              ;   in Loop: Header=BB1537_250 Depth=2
	ds_read_b32 v89, v26 offset:1020
; %bb.276:                              ;   in Loop: Header=BB1537_250 Depth=2
	s_or_b64 exec, exec, s[38:39]
	s_waitcnt lgkmcnt(0)
	v_add_u32_e32 v88, v89, v88
	ds_bpermute_b32 v88, v64, v88
	s_waitcnt lgkmcnt(0)
	v_cndmask_b32_e64 v88, v88, v89, s[30:31]
	v_cndmask_b32_e64 v88, v88, 0, s[14:15]
	v_add_u32_e32 v15, v88, v15
	v_add_u32_e32 v16, v15, v16
	;; [unrolled: 1-line block ×4, first 2 shown]
	ds_write2_b32 v53, v88, v15 offset1:1
	ds_write2_b32 v54, v16, v13 offset1:1
	ds_write_b32 v27, v14 offset:1056
	s_waitcnt lgkmcnt(0)
	s_barrier
	ds_read_b32 v13, v75 offset:1040
	ds_read_b32 v14, v81 offset:1040
	ds_read_b32 v16, v85 offset:1040
	ds_read_b32 v81, v87 offset:1040
	ds_read_b32 v15, v27 offset:1040
	v_mov_b32_e32 v75, 0x400
	s_and_saveexec_b64 s[38:39], s[16:17]
; %bb.277:                              ;   in Loop: Header=BB1537_250 Depth=2
	ds_read_b32 v75, v27 offset:1060
; %bb.278:                              ;   in Loop: Header=BB1537_250 Depth=2
	s_or_b64 exec, exec, s[38:39]
	s_waitcnt lgkmcnt(0)
	s_barrier
	s_and_saveexec_b64 s[38:39], s[4:5]
	s_cbranch_execz .LBB1537_280
; %bb.279:                              ;   in Loop: Header=BB1537_250 Depth=2
	ds_read_b32 v85, v18
	s_waitcnt lgkmcnt(0)
	v_sub_u32_e32 v15, v85, v15
	ds_write_b32 v18, v15
.LBB1537_280:                           ;   in Loop: Header=BB1537_250 Depth=2
	s_or_b64 exec, exec, s[38:39]
	v_add_u32_e32 v15, v13, v3
	v_add3_u32 v14, v78, v77, v14
	v_add3_u32 v13, v82, v80, v16
	;; [unrolled: 1-line block ×3, first 2 shown]
	v_cmp_lt_u32_e64 s[42:43], v0, v74
	ds_write_b8 v15, v17 offset:1024
	ds_write_b8 v14, v76 offset:1024
	;; [unrolled: 1-line block ×4, first 2 shown]
	s_waitcnt lgkmcnt(0)
	s_barrier
	s_and_saveexec_b64 s[38:39], s[42:43]
	s_cbranch_execnz .LBB1537_301
; %bb.281:                              ;   in Loop: Header=BB1537_250 Depth=2
	s_or_b64 exec, exec, s[38:39]
	v_cmp_lt_u32_e64 s[40:41], v19, v74
	s_and_saveexec_b64 s[38:39], s[40:41]
	s_cbranch_execnz .LBB1537_302
.LBB1537_282:                           ;   in Loop: Header=BB1537_250 Depth=2
	s_or_b64 exec, exec, s[38:39]
	v_cmp_lt_u32_e64 s[38:39], v20, v74
	s_and_saveexec_b64 s[44:45], s[38:39]
	s_cbranch_execnz .LBB1537_303
.LBB1537_283:                           ;   in Loop: Header=BB1537_250 Depth=2
	s_or_b64 exec, exec, s[44:45]
	v_cmp_lt_u32_e32 vcc, v21, v74
	s_and_saveexec_b64 s[44:45], vcc
	s_cbranch_execz .LBB1537_285
.LBB1537_284:                           ;   in Loop: Header=BB1537_250 Depth=2
	ds_read_u8 v16, v0 offset:1792
	s_waitcnt lgkmcnt(0)
	v_and_b32_e32 v17, 1, v16
	v_lshrrev_b32_e32 v17, s69, v17
	v_and_b32_e32 v17, s58, v17
	v_lshlrev_b32_e32 v17, 2, v17
	ds_read_b32 v17, v17
	v_xor_b32_e32 v16, 1, v16
	s_waitcnt lgkmcnt(0)
	v_add_u32_e32 v17, v17, v21
	global_store_byte v17, v16, s[50:51]
.LBB1537_285:                           ;   in Loop: Header=BB1537_250 Depth=2
	s_or_b64 exec, exec, s[44:45]
	s_lshl_b64 s[44:45], s[56:57], 3
	v_mov_b32_e32 v17, s45
	v_add_co_u32_e64 v16, s[44:45], s44, v65
	v_addc_co_u32_e64 v17, s[44:45], v66, v17, s[44:45]
	v_cmp_lt_u32_e64 s[44:45], v46, v74
	s_and_saveexec_b64 s[54:55], s[44:45]
	s_xor_b64 s[44:45], exec, s[54:55]
	s_cbranch_execnz .LBB1537_304
; %bb.286:                              ;   in Loop: Header=BB1537_250 Depth=2
	s_or_b64 exec, exec, s[44:45]
	v_cmp_lt_u32_e64 s[44:45], v61, v74
	s_and_saveexec_b64 s[54:55], s[44:45]
	s_cbranch_execnz .LBB1537_305
.LBB1537_287:                           ;   in Loop: Header=BB1537_250 Depth=2
	s_or_b64 exec, exec, s[54:55]
	v_cmp_lt_u32_e64 s[44:45], v62, v74
	s_and_saveexec_b64 s[54:55], s[44:45]
	s_cbranch_execnz .LBB1537_306
.LBB1537_288:                           ;   in Loop: Header=BB1537_250 Depth=2
	s_or_b64 exec, exec, s[54:55]
	v_cmp_lt_u32_e64 s[44:45], v63, v74
	s_and_saveexec_b64 s[54:55], s[44:45]
	s_cbranch_execnz .LBB1537_307
.LBB1537_289:                           ;   in Loop: Header=BB1537_250 Depth=2
	s_or_b64 exec, exec, s[54:55]
	s_and_saveexec_b64 s[44:45], s[42:43]
	s_cbranch_execnz .LBB1537_308
.LBB1537_290:                           ;   in Loop: Header=BB1537_250 Depth=2
	s_or_b64 exec, exec, s[44:45]
	s_and_saveexec_b64 s[44:45], s[40:41]
	s_cbranch_execnz .LBB1537_309
.LBB1537_291:                           ;   in Loop: Header=BB1537_250 Depth=2
	s_or_b64 exec, exec, s[44:45]
	s_and_saveexec_b64 s[44:45], s[38:39]
	s_cbranch_execnz .LBB1537_310
.LBB1537_292:                           ;   in Loop: Header=BB1537_250 Depth=2
	s_or_b64 exec, exec, s[44:45]
	s_and_saveexec_b64 s[44:45], vcc
	s_cbranch_execz .LBB1537_294
.LBB1537_293:                           ;   in Loop: Header=BB1537_250 Depth=2
	ds_read_u8 v16, v0 offset:1792
	s_waitcnt lgkmcnt(0)
	v_lshrrev_b32_e32 v16, s69, v16
	v_and_b32_e32 v69, s58, v16
.LBB1537_294:                           ;   in Loop: Header=BB1537_250 Depth=2
	s_or_b64 exec, exec, s[44:45]
	v_mad_u64_u32 v[15:16], s[44:45], v15, 7, v[15:16]
	v_mad_u64_u32 v[76:77], s[44:45], v3, 7, v[3:4]
	;; [unrolled: 1-line block ×4, first 2 shown]
	s_waitcnt vmcnt(0)
	s_barrier
	ds_write_b64 v15, v[11:12] offset:1024
	ds_write_b64 v16, v[9:10] offset:1024
	;; [unrolled: 1-line block ×4, first 2 shown]
	s_waitcnt lgkmcnt(0)
	s_barrier
	s_and_saveexec_b64 s[44:45], s[42:43]
	s_cbranch_execnz .LBB1537_311
; %bb.295:                              ;   in Loop: Header=BB1537_250 Depth=2
	s_or_b64 exec, exec, s[44:45]
	s_and_saveexec_b64 s[42:43], s[40:41]
	s_cbranch_execnz .LBB1537_312
.LBB1537_296:                           ;   in Loop: Header=BB1537_250 Depth=2
	s_or_b64 exec, exec, s[42:43]
	s_and_saveexec_b64 s[40:41], s[38:39]
	s_cbranch_execnz .LBB1537_313
.LBB1537_297:                           ;   in Loop: Header=BB1537_250 Depth=2
	s_or_b64 exec, exec, s[40:41]
	s_and_saveexec_b64 s[38:39], vcc
	s_cbranch_execz .LBB1537_299
.LBB1537_298:                           ;   in Loop: Header=BB1537_250 Depth=2
	v_lshlrev_b32_e32 v3, 2, v69
	ds_read_b32 v3, v3
	v_add_u32_e32 v13, v0, v51
	ds_read_b64 v[13:14], v13 offset:7168
	v_mov_b32_e32 v17, s65
	s_waitcnt lgkmcnt(1)
	v_add_u32_e32 v3, v3, v21
	v_lshlrev_b64 v[15:16], 3, v[3:4]
	v_add_co_u32_e32 v15, vcc, s64, v15
	v_addc_co_u32_e32 v16, vcc, v17, v16, vcc
	s_waitcnt lgkmcnt(0)
	global_store_dwordx2 v[15:16], v[13:14], off
.LBB1537_299:                           ;   in Loop: Header=BB1537_250 Depth=2
	s_or_b64 exec, exec, s[38:39]
	s_waitcnt vmcnt(0)
	s_barrier
	s_and_saveexec_b64 s[38:39], s[4:5]
	s_cbranch_execz .LBB1537_249
; %bb.300:                              ;   in Loop: Header=BB1537_250 Depth=2
	ds_read_b32 v3, v18
	s_waitcnt lgkmcnt(0)
	v_add_u32_e32 v3, v3, v75
	ds_write_b32 v18, v3
	s_branch .LBB1537_249
.LBB1537_301:                           ;   in Loop: Header=BB1537_250 Depth=2
	ds_read_u8 v16, v0 offset:1024
	s_waitcnt lgkmcnt(0)
	v_and_b32_e32 v17, 1, v16
	v_lshrrev_b32_e32 v17, s69, v17
	v_and_b32_e32 v17, s58, v17
	v_lshlrev_b32_e32 v17, 2, v17
	ds_read_b32 v17, v17
	v_xor_b32_e32 v16, 1, v16
	s_waitcnt lgkmcnt(0)
	v_add_u32_e32 v17, v17, v0
	global_store_byte v17, v16, s[50:51]
	s_or_b64 exec, exec, s[38:39]
	v_cmp_lt_u32_e64 s[40:41], v19, v74
	s_and_saveexec_b64 s[38:39], s[40:41]
	s_cbranch_execz .LBB1537_282
.LBB1537_302:                           ;   in Loop: Header=BB1537_250 Depth=2
	ds_read_u8 v16, v0 offset:1280
	s_waitcnt lgkmcnt(0)
	v_and_b32_e32 v17, 1, v16
	v_lshrrev_b32_e32 v17, s69, v17
	v_and_b32_e32 v17, s58, v17
	v_lshlrev_b32_e32 v17, 2, v17
	ds_read_b32 v17, v17
	v_xor_b32_e32 v16, 1, v16
	s_waitcnt lgkmcnt(0)
	v_add_u32_e32 v17, v17, v19
	global_store_byte v17, v16, s[50:51]
	s_or_b64 exec, exec, s[38:39]
	v_cmp_lt_u32_e64 s[38:39], v20, v74
	s_and_saveexec_b64 s[44:45], s[38:39]
	s_cbranch_execz .LBB1537_283
.LBB1537_303:                           ;   in Loop: Header=BB1537_250 Depth=2
	ds_read_u8 v16, v0 offset:1536
	s_waitcnt lgkmcnt(0)
	v_and_b32_e32 v17, 1, v16
	v_lshrrev_b32_e32 v17, s69, v17
	v_and_b32_e32 v17, s58, v17
	v_lshlrev_b32_e32 v17, 2, v17
	ds_read_b32 v17, v17
	v_xor_b32_e32 v16, 1, v16
	s_waitcnt lgkmcnt(0)
	v_add_u32_e32 v17, v17, v20
	global_store_byte v17, v16, s[50:51]
	s_or_b64 exec, exec, s[44:45]
	v_cmp_lt_u32_e32 vcc, v21, v74
	s_and_saveexec_b64 s[44:45], vcc
	s_cbranch_execnz .LBB1537_284
	s_branch .LBB1537_285
.LBB1537_304:                           ;   in Loop: Header=BB1537_250 Depth=2
	global_load_dwordx2 v[11:12], v[16:17], off
	s_or_b64 exec, exec, s[44:45]
	v_cmp_lt_u32_e64 s[44:45], v61, v74
	s_and_saveexec_b64 s[54:55], s[44:45]
	s_cbranch_execz .LBB1537_287
.LBB1537_305:                           ;   in Loop: Header=BB1537_250 Depth=2
	global_load_dwordx2 v[9:10], v[16:17], off offset:512
	s_or_b64 exec, exec, s[54:55]
	v_cmp_lt_u32_e64 s[44:45], v62, v74
	s_and_saveexec_b64 s[54:55], s[44:45]
	s_cbranch_execz .LBB1537_288
.LBB1537_306:                           ;   in Loop: Header=BB1537_250 Depth=2
	global_load_dwordx2 v[7:8], v[16:17], off offset:1024
	s_or_b64 exec, exec, s[54:55]
	v_cmp_lt_u32_e64 s[44:45], v63, v74
	s_and_saveexec_b64 s[54:55], s[44:45]
	s_cbranch_execz .LBB1537_289
.LBB1537_307:                           ;   in Loop: Header=BB1537_250 Depth=2
	global_load_dwordx2 v[5:6], v[16:17], off offset:1536
	s_or_b64 exec, exec, s[54:55]
	s_and_saveexec_b64 s[44:45], s[42:43]
	s_cbranch_execz .LBB1537_290
.LBB1537_308:                           ;   in Loop: Header=BB1537_250 Depth=2
	ds_read_u8 v16, v0 offset:1024
	s_waitcnt lgkmcnt(0)
	v_lshrrev_b32_e32 v16, s69, v16
	v_and_b32_e32 v73, s58, v16
	s_or_b64 exec, exec, s[44:45]
	s_and_saveexec_b64 s[44:45], s[40:41]
	s_cbranch_execz .LBB1537_291
.LBB1537_309:                           ;   in Loop: Header=BB1537_250 Depth=2
	ds_read_u8 v16, v0 offset:1280
	s_waitcnt lgkmcnt(0)
	v_lshrrev_b32_e32 v16, s69, v16
	v_and_b32_e32 v72, s58, v16
	s_or_b64 exec, exec, s[44:45]
	s_and_saveexec_b64 s[44:45], s[38:39]
	s_cbranch_execz .LBB1537_292
.LBB1537_310:                           ;   in Loop: Header=BB1537_250 Depth=2
	ds_read_u8 v16, v0 offset:1536
	s_waitcnt lgkmcnt(0)
	v_lshrrev_b32_e32 v16, s69, v16
	v_and_b32_e32 v70, s58, v16
	s_or_b64 exec, exec, s[44:45]
	s_and_saveexec_b64 s[44:45], vcc
	s_cbranch_execnz .LBB1537_293
	s_branch .LBB1537_294
.LBB1537_311:                           ;   in Loop: Header=BB1537_250 Depth=2
	v_lshlrev_b32_e32 v3, 2, v73
	ds_read_b32 v3, v3
	v_add_u32_e32 v13, v0, v51
	ds_read_b64 v[13:14], v13 offset:1024
	v_mov_b32_e32 v17, s65
	s_waitcnt lgkmcnt(1)
	v_add_u32_e32 v3, v3, v0
	v_lshlrev_b64 v[15:16], 3, v[3:4]
	v_add_co_u32_e64 v15, s[42:43], s64, v15
	v_addc_co_u32_e64 v16, s[42:43], v17, v16, s[42:43]
	s_waitcnt lgkmcnt(0)
	global_store_dwordx2 v[15:16], v[13:14], off
	s_or_b64 exec, exec, s[44:45]
	s_and_saveexec_b64 s[42:43], s[40:41]
	s_cbranch_execz .LBB1537_296
.LBB1537_312:                           ;   in Loop: Header=BB1537_250 Depth=2
	v_lshlrev_b32_e32 v3, 2, v72
	ds_read_b32 v3, v3
	v_add_u32_e32 v13, v0, v51
	ds_read_b64 v[13:14], v13 offset:3072
	v_mov_b32_e32 v17, s65
	s_waitcnt lgkmcnt(1)
	v_add_u32_e32 v3, v3, v19
	v_lshlrev_b64 v[15:16], 3, v[3:4]
	v_add_co_u32_e64 v15, s[40:41], s64, v15
	v_addc_co_u32_e64 v16, s[40:41], v17, v16, s[40:41]
	s_waitcnt lgkmcnt(0)
	global_store_dwordx2 v[15:16], v[13:14], off
	s_or_b64 exec, exec, s[42:43]
	s_and_saveexec_b64 s[40:41], s[38:39]
	s_cbranch_execz .LBB1537_297
.LBB1537_313:                           ;   in Loop: Header=BB1537_250 Depth=2
	v_lshlrev_b32_e32 v3, 2, v70
	ds_read_b32 v3, v3
	v_add_u32_e32 v13, v0, v51
	ds_read_b64 v[13:14], v13 offset:5120
	v_mov_b32_e32 v17, s65
	s_waitcnt lgkmcnt(1)
	v_add_u32_e32 v3, v3, v20
	v_lshlrev_b64 v[15:16], 3, v[3:4]
	v_add_co_u32_e64 v15, s[38:39], s64, v15
	v_addc_co_u32_e64 v16, s[38:39], v17, v16, s[38:39]
	s_waitcnt lgkmcnt(0)
	global_store_dwordx2 v[15:16], v[13:14], off
	s_or_b64 exec, exec, s[40:41]
	s_and_saveexec_b64 s[38:39], vcc
	s_cbranch_execnz .LBB1537_298
	s_branch .LBB1537_299
.LBB1537_314:                           ;   in Loop: Header=BB1537_12 Depth=1
	s_waitcnt lgkmcnt(0)
	s_barrier
	s_mov_b64 s[18:19], 0
.LBB1537_315:                           ;   in Loop: Header=BB1537_12 Depth=1
	s_and_b64 vcc, exec, s[18:19]
	s_cbranch_vccz .LBB1537_11
; %bb.316:                              ;   in Loop: Header=BB1537_12 Depth=1
	v_mov_b32_e32 v3, 0
	s_mov_b32 s20, s71
	s_mov_b32 s23, s74
	v_mov_b32_e32 v7, 0
	v_mov_b32_e32 v6, 0
	;; [unrolled: 1-line block ×3, first 2 shown]
	s_barrier
	s_branch .LBB1537_318
.LBB1537_317:                           ;   in Loop: Header=BB1537_318 Depth=2
	s_or_b64 exec, exec, s[18:19]
	s_addk_i32 s20, 0xfc00
	s_cmp_ge_u32 s21, s75
	s_mov_b32 s23, s21
	s_cbranch_scc1 .LBB1537_338
.LBB1537_318:                           ;   Parent Loop BB1537_12 Depth=1
                                        ; =>  This Inner Loop Header: Depth=2
	s_add_i32 s21, s23, 0x400
	s_cmp_gt_u32 s21, s75
	s_mov_b64 s[18:19], -1
                                        ; implicit-def: $vgpr8
                                        ; implicit-def: $vgpr9
                                        ; implicit-def: $vgpr10
                                        ; implicit-def: $vgpr11
	s_cbranch_scc1 .LBB1537_320
; %bb.319:                              ;   in Loop: Header=BB1537_318 Depth=2
	v_add_co_u32_e32 v12, vcc, s23, v38
	v_addc_co_u32_e32 v13, vcc, 0, v39, vcc
	global_load_ubyte v11, v[12:13], off offset:768
	global_load_ubyte v10, v[12:13], off offset:512
	global_load_ubyte v9, v[12:13], off offset:256
	global_load_ubyte v8, v[12:13], off
	s_mov_b64 s[18:19], 0
.LBB1537_320:                           ;   in Loop: Header=BB1537_318 Depth=2
	s_andn2_b64 vcc, exec, s[18:19]
	s_movk_i32 s22, 0x400
	s_cbranch_vccnz .LBB1537_327
; %bb.321:                              ;   in Loop: Header=BB1537_318 Depth=2
	s_add_u32 s22, s48, s23
	s_addc_u32 s23, s49, 0
	v_cmp_gt_u32_e32 vcc, s20, v0
	s_and_saveexec_b64 s[18:19], vcc
	s_cbranch_execnz .LBB1537_335
; %bb.322:                              ;   in Loop: Header=BB1537_318 Depth=2
	s_or_b64 exec, exec, s[18:19]
	v_cmp_gt_u32_e32 vcc, s20, v19
	s_and_saveexec_b64 s[18:19], vcc
	s_cbranch_execnz .LBB1537_336
.LBB1537_323:                           ;   in Loop: Header=BB1537_318 Depth=2
	s_or_b64 exec, exec, s[18:19]
	v_cmp_gt_u32_e32 vcc, s20, v20
	s_and_saveexec_b64 s[18:19], vcc
	s_cbranch_execnz .LBB1537_337
.LBB1537_324:                           ;   in Loop: Header=BB1537_318 Depth=2
	s_or_b64 exec, exec, s[18:19]
	v_cmp_gt_u32_e32 vcc, s20, v21
	s_and_saveexec_b64 s[18:19], vcc
	s_cbranch_execz .LBB1537_326
.LBB1537_325:                           ;   in Loop: Header=BB1537_318 Depth=2
	v_mov_b32_e32 v5, s23
	s_waitcnt vmcnt(0)
	v_add_co_u32_e32 v8, vcc, s22, v0
	v_addc_co_u32_e32 v9, vcc, 0, v5, vcc
	global_load_ubyte v5, v[8:9], off offset:768
.LBB1537_326:                           ;   in Loop: Header=BB1537_318 Depth=2
	s_or_b64 exec, exec, s[18:19]
	s_mov_b32 s22, s20
	s_waitcnt vmcnt(0)
	v_mov_b32_e32 v8, v3
	v_mov_b32_e32 v9, v7
	;; [unrolled: 1-line block ×4, first 2 shown]
.LBB1537_327:                           ;   in Loop: Header=BB1537_318 Depth=2
	s_waitcnt vmcnt(3)
	v_mov_b32_e32 v5, v11
	s_waitcnt vmcnt(2)
	v_mov_b32_e32 v6, v10
	;; [unrolled: 2-line block ×4, first 2 shown]
	v_cmp_gt_u32_e32 vcc, s22, v0
	s_and_saveexec_b64 s[18:19], vcc
	s_cbranch_execnz .LBB1537_331
; %bb.328:                              ;   in Loop: Header=BB1537_318 Depth=2
	s_or_b64 exec, exec, s[18:19]
	v_cmp_gt_u32_e32 vcc, s22, v19
	s_and_saveexec_b64 s[18:19], vcc
	s_cbranch_execnz .LBB1537_332
.LBB1537_329:                           ;   in Loop: Header=BB1537_318 Depth=2
	s_or_b64 exec, exec, s[18:19]
	v_cmp_gt_u32_e32 vcc, s22, v20
	s_and_saveexec_b64 s[18:19], vcc
	s_cbranch_execnz .LBB1537_333
.LBB1537_330:                           ;   in Loop: Header=BB1537_318 Depth=2
	s_or_b64 exec, exec, s[18:19]
	v_cmp_gt_u32_e32 vcc, s22, v21
	s_and_saveexec_b64 s[18:19], vcc
	s_cbranch_execz .LBB1537_317
	s_branch .LBB1537_334
.LBB1537_331:                           ;   in Loop: Header=BB1537_318 Depth=2
	v_xor_b32_e32 v8, -1, v3
	v_and_b32_e32 v8, 1, v8
	v_lshrrev_b32_sdwa v8, s69, v8 dst_sel:DWORD dst_unused:UNUSED_PAD src0_sel:DWORD src1_sel:WORD_0
	v_and_b32_e32 v8, s58, v8
	v_lshl_or_b32 v8, v8, 4, v24
	ds_add_u32 v8, v52
	s_or_b64 exec, exec, s[18:19]
	v_cmp_gt_u32_e32 vcc, s22, v19
	s_and_saveexec_b64 s[18:19], vcc
	s_cbranch_execz .LBB1537_329
.LBB1537_332:                           ;   in Loop: Header=BB1537_318 Depth=2
	v_xor_b32_e32 v8, -1, v7
	v_and_b32_e32 v8, 1, v8
	v_lshrrev_b32_sdwa v8, s69, v8 dst_sel:DWORD dst_unused:UNUSED_PAD src0_sel:DWORD src1_sel:WORD_0
	v_and_b32_e32 v8, s58, v8
	v_lshl_or_b32 v8, v8, 4, v24
	ds_add_u32 v8, v52
	s_or_b64 exec, exec, s[18:19]
	v_cmp_gt_u32_e32 vcc, s22, v20
	s_and_saveexec_b64 s[18:19], vcc
	s_cbranch_execz .LBB1537_330
.LBB1537_333:                           ;   in Loop: Header=BB1537_318 Depth=2
	v_xor_b32_e32 v8, -1, v6
	v_and_b32_e32 v8, 1, v8
	v_lshrrev_b32_sdwa v8, s69, v8 dst_sel:DWORD dst_unused:UNUSED_PAD src0_sel:DWORD src1_sel:WORD_0
	v_and_b32_e32 v8, s58, v8
	v_lshl_or_b32 v8, v8, 4, v24
	ds_add_u32 v8, v52
	s_or_b64 exec, exec, s[18:19]
	v_cmp_gt_u32_e32 vcc, s22, v21
	s_and_saveexec_b64 s[18:19], vcc
	s_cbranch_execz .LBB1537_317
.LBB1537_334:                           ;   in Loop: Header=BB1537_318 Depth=2
	v_xor_b32_e32 v8, -1, v5
	v_and_b32_e32 v8, 1, v8
	v_lshrrev_b32_sdwa v8, s69, v8 dst_sel:DWORD dst_unused:UNUSED_PAD src0_sel:DWORD src1_sel:WORD_0
	v_and_b32_e32 v8, s58, v8
	v_lshl_or_b32 v8, v8, 4, v24
	ds_add_u32 v8, v52
	s_branch .LBB1537_317
.LBB1537_335:                           ;   in Loop: Header=BB1537_318 Depth=2
	v_mov_b32_e32 v3, s23
	s_waitcnt vmcnt(0)
	v_add_co_u32_e32 v8, vcc, s22, v0
	v_addc_co_u32_e32 v9, vcc, 0, v3, vcc
	global_load_ubyte v3, v[8:9], off
	s_or_b64 exec, exec, s[18:19]
	v_cmp_gt_u32_e32 vcc, s20, v19
	s_and_saveexec_b64 s[18:19], vcc
	s_cbranch_execz .LBB1537_323
.LBB1537_336:                           ;   in Loop: Header=BB1537_318 Depth=2
	s_waitcnt vmcnt(0)
	v_mov_b32_e32 v8, s23
	v_add_co_u32_e32 v7, vcc, s22, v0
	v_addc_co_u32_e32 v8, vcc, 0, v8, vcc
	global_load_ubyte v7, v[7:8], off offset:256
	s_or_b64 exec, exec, s[18:19]
	v_cmp_gt_u32_e32 vcc, s20, v20
	s_and_saveexec_b64 s[18:19], vcc
	s_cbranch_execz .LBB1537_324
.LBB1537_337:                           ;   in Loop: Header=BB1537_318 Depth=2
	v_mov_b32_e32 v6, s23
	s_waitcnt vmcnt(0)
	v_add_co_u32_e32 v8, vcc, s22, v0
	v_addc_co_u32_e32 v9, vcc, 0, v6, vcc
	global_load_ubyte v6, v[8:9], off offset:512
	s_or_b64 exec, exec, s[18:19]
	v_cmp_gt_u32_e32 vcc, s20, v21
	s_and_saveexec_b64 s[18:19], vcc
	s_cbranch_execnz .LBB1537_325
	s_branch .LBB1537_326
.LBB1537_338:                           ;   in Loop: Header=BB1537_12 Depth=1
	v_mov_b32_e32 v3, 0
	s_waitcnt lgkmcnt(0)
	s_barrier
	s_and_saveexec_b64 s[18:19], s[4:5]
	s_cbranch_execz .LBB1537_340
; %bb.339:                              ;   in Loop: Header=BB1537_12 Depth=1
	ds_read2_b64 v[5:8], v25 offset1:1
	s_waitcnt lgkmcnt(0)
	v_add_u32_e32 v3, v6, v5
	v_add3_u32 v3, v3, v7, v8
.LBB1537_340:                           ;   in Loop: Header=BB1537_12 Depth=1
	s_or_b64 exec, exec, s[18:19]
	s_nop 0
	v_mov_b32_dpp v5, v3 row_shr:1 row_mask:0xf bank_mask:0xf
	v_cmp_eq_u32_e64 s[18:19], 0, v55
	v_cndmask_b32_e64 v5, v5, 0, s[18:19]
	v_add_u32_e32 v3, v5, v3
	v_cmp_lt_u32_e64 s[20:21], 1, v55
	v_cmp_lt_u32_e64 s[22:23], 3, v55
	v_mov_b32_dpp v5, v3 row_shr:2 row_mask:0xf bank_mask:0xf
	v_cndmask_b32_e64 v5, 0, v5, s[20:21]
	v_add_u32_e32 v3, v3, v5
	v_cmp_lt_u32_e64 s[24:25], 7, v55
	v_cmp_lt_u32_e64 s[28:29], 31, v44
	v_mov_b32_dpp v5, v3 row_shr:4 row_mask:0xf bank_mask:0xf
	v_cndmask_b32_e64 v5, 0, v5, s[22:23]
	v_add_u32_e32 v3, v3, v5
	v_cmp_eq_u32_e64 s[26:27], 0, v57
	s_nop 0
	v_mov_b32_dpp v5, v3 row_shr:8 row_mask:0xf bank_mask:0xf
	v_cndmask_b32_e64 v5, 0, v5, s[24:25]
	v_add_u32_e32 v3, v3, v5
	s_nop 1
	v_mov_b32_dpp v5, v3 row_bcast:15 row_mask:0xf bank_mask:0xf
	v_and_b32_e32 v5, v56, v5
	v_add_u32_e32 v3, v3, v5
	s_nop 1
	v_mov_b32_dpp v5, v3 row_bcast:31 row_mask:0xf bank_mask:0xf
	v_cndmask_b32_e64 v5, 0, v5, s[28:29]
	v_add_u32_e32 v3, v3, v5
	s_and_saveexec_b64 s[30:31], s[8:9]
; %bb.341:                              ;   in Loop: Header=BB1537_12 Depth=1
	ds_write_b32 v48, v3
; %bb.342:                              ;   in Loop: Header=BB1537_12 Depth=1
	s_or_b64 exec, exec, s[30:31]
	s_waitcnt lgkmcnt(0)
	s_barrier
	s_and_saveexec_b64 s[30:31], s[10:11]
	s_cbranch_execz .LBB1537_344
; %bb.343:                              ;   in Loop: Header=BB1537_12 Depth=1
	ds_read_b32 v5, v49
	v_cmp_ne_u32_e32 vcc, 0, v58
	s_waitcnt lgkmcnt(0)
	v_mov_b32_dpp v6, v5 row_shr:1 row_mask:0xf bank_mask:0xf
	v_cndmask_b32_e32 v6, 0, v6, vcc
	v_add_u32_e32 v5, v6, v5
	v_cmp_lt_u32_e32 vcc, 1, v58
	s_nop 0
	v_mov_b32_dpp v6, v5 row_shr:2 row_mask:0xf bank_mask:0xf
	v_cndmask_b32_e32 v6, 0, v6, vcc
	v_add_u32_e32 v5, v5, v6
	ds_write_b32 v49, v5
.LBB1537_344:                           ;   in Loop: Header=BB1537_12 Depth=1
	s_or_b64 exec, exec, s[30:31]
	v_mov_b32_e32 v5, 0
	s_waitcnt lgkmcnt(0)
	s_barrier
	s_and_saveexec_b64 s[30:31], s[12:13]
; %bb.345:                              ;   in Loop: Header=BB1537_12 Depth=1
	ds_read_b32 v5, v50
; %bb.346:                              ;   in Loop: Header=BB1537_12 Depth=1
	s_or_b64 exec, exec, s[30:31]
	v_subrev_co_u32_e64 v6, s[30:31], 1, v44
	v_cmp_lt_i32_e32 vcc, v6, v59
	v_cndmask_b32_e32 v6, v6, v44, vcc
	s_waitcnt lgkmcnt(0)
	v_add_u32_e32 v3, v5, v3
	v_lshlrev_b32_e32 v64, 2, v6
	ds_bpermute_b32 v3, v64, v3
	s_waitcnt lgkmcnt(0)
	s_barrier
	s_and_saveexec_b64 s[34:35], s[4:5]
; %bb.347:                              ;   in Loop: Header=BB1537_12 Depth=1
	v_cndmask_b32_e64 v3, v3, v5, s[30:31]
	v_add_u32_e32 v3, s74, v3
	ds_write_b32 v18, v3
; %bb.348:                              ;   in Loop: Header=BB1537_12 Depth=1
	s_or_b64 exec, exec, s[34:35]
	s_load_dwordx2 s[34:35], s[46:47], 0x0
	v_add_co_u32_e32 v65, vcc, v40, v60
	v_addc_co_u32_e32 v66, vcc, 0, v41, vcc
	s_waitcnt lgkmcnt(0)
	s_cmp_lt_u32 s33, s35
	s_cselect_b32 s35, 14, 20
	s_add_u32 s36, s46, s35
	s_addc_u32 s37, s47, 0
	s_cmp_lt_u32 s6, s34
	s_cselect_b32 s34, 12, 18
	s_add_u32 s34, s46, s34
	global_load_ushort v3, v4, s[36:37]
	s_addc_u32 s35, s47, 0
	global_load_ushort v5, v4, s[34:35]
	v_add_co_u32_e32 v67, vcc, v42, v45
	v_cmp_eq_u32_e64 s[34:35], 0, v58
	v_cmp_lt_u32_e64 s[36:37], 1, v58
	v_addc_co_u32_e32 v68, vcc, 0, v43, vcc
	s_mov_b32 s59, s71
	s_mov_b32 s56, s74
                                        ; implicit-def: $vgpr7_vgpr8
                                        ; implicit-def: $vgpr9_vgpr10
                                        ; implicit-def: $vgpr11_vgpr12
                                        ; implicit-def: $vgpr69
                                        ; implicit-def: $vgpr70
                                        ; implicit-def: $vgpr72
                                        ; implicit-def: $vgpr73
	s_waitcnt vmcnt(1)
	v_mad_u32_u24 v3, v2, v3, v1
	s_waitcnt vmcnt(0)
	v_mad_u64_u32 v[13:14], s[38:39], v3, v5, v[0:1]
                                        ; implicit-def: $vgpr5_vgpr6
	v_lshrrev_b32_e32 v3, 4, v13
	v_and_b32_e32 v71, 0xffffffc, v3
	s_branch .LBB1537_350
.LBB1537_349:                           ;   in Loop: Header=BB1537_350 Depth=2
	s_or_b64 exec, exec, s[38:39]
	s_addk_i32 s59, 0xfc00
	s_cmp_lt_u32 s60, s75
	s_mov_b32 s56, s60
	s_cbranch_scc0 .LBB1537_10
.LBB1537_350:                           ;   Parent Loop BB1537_12 Depth=1
                                        ; =>  This Inner Loop Header: Depth=2
	s_add_i32 s60, s56, 0x400
	s_cmp_gt_u32 s60, s75
	s_cbranch_scc1 .LBB1537_352
; %bb.351:                              ;   in Loop: Header=BB1537_350 Depth=2
	v_add_co_u32_e32 v13, vcc, s56, v67
	v_addc_co_u32_e32 v14, vcc, 0, v68, vcc
	global_load_ubyte v15, v[13:14], off offset:128
	global_load_ubyte v16, v[13:14], off offset:64
	global_load_ubyte v3, v[13:14], off
	s_mov_b64 s[38:39], -1
	s_movk_i32 s42, 0x400
                                        ; implicit-def: $vgpr17
	s_cbranch_execz .LBB1537_353
	s_branch .LBB1537_360
.LBB1537_352:                           ;   in Loop: Header=BB1537_350 Depth=2
	s_mov_b64 s[38:39], 0
                                        ; implicit-def: $vgpr3
                                        ; implicit-def: $vgpr16
                                        ; implicit-def: $vgpr15
	s_movk_i32 s42, 0x400
                                        ; implicit-def: $vgpr17
.LBB1537_353:                           ;   in Loop: Header=BB1537_350 Depth=2
	v_add_co_u32_e32 v13, vcc, s56, v67
	v_addc_co_u32_e32 v14, vcc, 0, v68, vcc
	v_cmp_gt_u32_e32 vcc, s59, v46
	s_waitcnt vmcnt(2)
	v_mov_b32_e32 v15, 0
	s_waitcnt vmcnt(0)
	v_mov_b32_e32 v3, 0
	v_mov_b32_e32 v17, 0
	s_and_saveexec_b64 s[38:39], vcc
	s_cbranch_execz .LBB1537_355
; %bb.354:                              ;   in Loop: Header=BB1537_350 Depth=2
	global_load_ubyte v3, v[13:14], off
	v_mov_b32_e32 v17, 0
.LBB1537_355:                           ;   in Loop: Header=BB1537_350 Depth=2
	s_or_b64 exec, exec, s[38:39]
	v_cmp_gt_u32_e32 vcc, s59, v61
	v_mov_b32_e32 v16, v15
	s_and_saveexec_b64 s[38:39], vcc
	s_cbranch_execz .LBB1537_357
; %bb.356:                              ;   in Loop: Header=BB1537_350 Depth=2
	global_load_ubyte v16, v[13:14], off offset:64
.LBB1537_357:                           ;   in Loop: Header=BB1537_350 Depth=2
	s_or_b64 exec, exec, s[38:39]
	v_cmp_gt_u32_e32 vcc, s59, v62
	s_and_saveexec_b64 s[38:39], vcc
	s_cbranch_execz .LBB1537_359
; %bb.358:                              ;   in Loop: Header=BB1537_350 Depth=2
	global_load_ubyte v15, v[13:14], off offset:128
.LBB1537_359:                           ;   in Loop: Header=BB1537_350 Depth=2
	s_or_b64 exec, exec, s[38:39]
	s_sub_i32 s42, s75, s56
	v_cmp_gt_u32_e64 s[38:39], s59, v63
.LBB1537_360:                           ;   in Loop: Header=BB1537_350 Depth=2
	v_mov_b32_e32 v74, s59
	s_and_saveexec_b64 s[40:41], s[38:39]
	s_cbranch_execz .LBB1537_362
; %bb.361:                              ;   in Loop: Header=BB1537_350 Depth=2
	v_mov_b32_e32 v14, s57
	v_add_co_u32_e32 v13, vcc, s56, v67
	v_addc_co_u32_e32 v14, vcc, v68, v14, vcc
	global_load_ubyte v17, v[13:14], off offset:192
	v_mov_b32_e32 v74, s42
.LBB1537_362:                           ;   in Loop: Header=BB1537_350 Depth=2
	s_or_b64 exec, exec, s[40:41]
	s_waitcnt vmcnt(0)
	v_and_b32_e32 v3, 1, v3
	v_and_b32_e32 v13, 1, v16
	v_cmp_eq_u32_e64 s[42:43], 1, v3
	v_cmp_eq_u32_e64 s[40:41], 1, v13
	v_and_b32_e32 v13, 1, v15
	s_xor_b64 s[42:43], s[42:43], -1
	v_cmp_eq_u32_e64 s[38:39], 1, v13
	v_and_b32_e32 v13, 1, v17
	v_cndmask_b32_e64 v17, 0, 1, s[42:43]
	v_lshrrev_b32_e32 v3, s69, v17
	v_and_b32_e32 v3, s58, v3
	v_mul_u32_u24_e32 v15, 20, v3
	v_cmp_ne_u32_e64 s[42:43], 0, v3
	v_add_co_u32_e64 v3, s[44:45], -1, v3
	v_cmp_eq_u32_e32 vcc, 1, v13
	v_addc_co_u32_e64 v13, s[44:45], 0, -1, s[44:45]
	v_xor_b32_e32 v13, s43, v13
	v_xor_b32_e32 v3, s42, v3
	v_and_b32_e32 v14, exec_hi, v13
	v_and_b32_e32 v13, exec_lo, v3
	v_mbcnt_lo_u32_b32 v3, v13, 0
	v_mbcnt_hi_u32_b32 v3, v14, v3
	v_cmp_ne_u64_e64 s[42:43], 0, v[13:14]
	v_cmp_eq_u32_e64 s[44:45], 0, v3
	s_and_b64 s[44:45], s[42:43], s[44:45]
	v_add_u32_e32 v75, v71, v15
	ds_write2_b32 v53, v4, v4 offset1:1
	ds_write2_b32 v54, v4, v4 offset1:1
	ds_write_b32 v27, v4 offset:1056
	s_waitcnt lgkmcnt(0)
	s_barrier
	; wave barrier
	s_and_saveexec_b64 s[42:43], s[44:45]
; %bb.363:                              ;   in Loop: Header=BB1537_350 Depth=2
	v_bcnt_u32_b32 v13, v13, 0
	v_bcnt_u32_b32 v13, v14, v13
	ds_write_b32 v75, v13 offset:1040
; %bb.364:                              ;   in Loop: Header=BB1537_350 Depth=2
	s_or_b64 exec, exec, s[42:43]
	s_xor_b64 s[40:41], s[40:41], -1
	v_cndmask_b32_e64 v76, 0, 1, s[40:41]
	v_lshrrev_b32_e32 v13, s69, v76
	v_and_b32_e32 v13, s58, v13
	v_mul_u32_u24_e32 v15, 20, v13
	v_mad_u32_u24 v14, v13, 20, v71
	v_cmp_ne_u32_e64 s[40:41], 0, v13
	v_add_co_u32_e64 v13, s[42:43], -1, v13
	; wave barrier
	ds_read_b32 v77, v14 offset:1040
	v_addc_co_u32_e64 v14, s[42:43], 0, -1, s[42:43]
	v_xor_b32_e32 v13, s40, v13
	v_xor_b32_e32 v14, s41, v14
	v_and_b32_e32 v13, exec_lo, v13
	v_and_b32_e32 v14, exec_hi, v14
	v_mbcnt_lo_u32_b32 v16, v13, 0
	v_mbcnt_hi_u32_b32 v78, v14, v16
	v_cmp_ne_u64_e64 s[40:41], 0, v[13:14]
	v_cmp_eq_u32_e64 s[42:43], 0, v78
	s_and_b64 s[42:43], s[40:41], s[42:43]
	v_add_u32_e32 v81, v71, v15
	; wave barrier
	s_and_saveexec_b64 s[40:41], s[42:43]
	s_cbranch_execz .LBB1537_366
; %bb.365:                              ;   in Loop: Header=BB1537_350 Depth=2
	v_bcnt_u32_b32 v13, v13, 0
	v_bcnt_u32_b32 v13, v14, v13
	s_waitcnt lgkmcnt(0)
	v_add_u32_e32 v13, v77, v13
	ds_write_b32 v81, v13 offset:1040
.LBB1537_366:                           ;   in Loop: Header=BB1537_350 Depth=2
	s_or_b64 exec, exec, s[40:41]
	s_xor_b64 s[38:39], s[38:39], -1
	v_cndmask_b32_e64 v79, 0, 1, s[38:39]
	v_lshrrev_b32_e32 v13, s69, v79
	v_and_b32_e32 v13, s58, v13
	v_mul_u32_u24_e32 v15, 20, v13
	v_mad_u32_u24 v14, v13, 20, v71
	v_cmp_ne_u32_e64 s[38:39], 0, v13
	v_add_co_u32_e64 v13, s[40:41], -1, v13
	; wave barrier
	ds_read_b32 v80, v14 offset:1040
	v_addc_co_u32_e64 v14, s[40:41], 0, -1, s[40:41]
	v_xor_b32_e32 v13, s38, v13
	v_xor_b32_e32 v14, s39, v14
	v_and_b32_e32 v13, exec_lo, v13
	v_and_b32_e32 v14, exec_hi, v14
	v_mbcnt_lo_u32_b32 v16, v13, 0
	v_mbcnt_hi_u32_b32 v82, v14, v16
	v_cmp_ne_u64_e64 s[38:39], 0, v[13:14]
	v_cmp_eq_u32_e64 s[40:41], 0, v82
	s_and_b64 s[40:41], s[38:39], s[40:41]
	v_add_u32_e32 v85, v71, v15
	; wave barrier
	s_and_saveexec_b64 s[38:39], s[40:41]
	s_cbranch_execz .LBB1537_368
; %bb.367:                              ;   in Loop: Header=BB1537_350 Depth=2
	v_bcnt_u32_b32 v13, v13, 0
	v_bcnt_u32_b32 v13, v14, v13
	s_waitcnt lgkmcnt(0)
	v_add_u32_e32 v13, v80, v13
	ds_write_b32 v85, v13 offset:1040
.LBB1537_368:                           ;   in Loop: Header=BB1537_350 Depth=2
	s_or_b64 exec, exec, s[38:39]
	s_xor_b64 s[38:39], vcc, -1
	v_cndmask_b32_e64 v83, 0, 1, s[38:39]
	v_lshrrev_b32_e32 v13, s69, v83
	v_and_b32_e32 v13, s58, v13
	v_mul_u32_u24_e32 v15, 20, v13
	v_mad_u32_u24 v14, v13, 20, v71
	v_cmp_ne_u32_e32 vcc, 0, v13
	v_add_co_u32_e64 v13, s[38:39], -1, v13
	; wave barrier
	ds_read_b32 v84, v14 offset:1040
	v_addc_co_u32_e64 v14, s[38:39], 0, -1, s[38:39]
	v_xor_b32_e32 v13, vcc_lo, v13
	v_xor_b32_e32 v14, vcc_hi, v14
	v_and_b32_e32 v13, exec_lo, v13
	v_and_b32_e32 v14, exec_hi, v14
	v_mbcnt_lo_u32_b32 v16, v13, 0
	v_mbcnt_hi_u32_b32 v86, v14, v16
	v_cmp_ne_u64_e32 vcc, 0, v[13:14]
	v_cmp_eq_u32_e64 s[38:39], 0, v86
	s_and_b64 s[40:41], vcc, s[38:39]
	v_add_u32_e32 v87, v71, v15
	; wave barrier
	s_and_saveexec_b64 s[38:39], s[40:41]
	s_cbranch_execz .LBB1537_370
; %bb.369:                              ;   in Loop: Header=BB1537_350 Depth=2
	v_bcnt_u32_b32 v13, v13, 0
	v_bcnt_u32_b32 v13, v14, v13
	s_waitcnt lgkmcnt(0)
	v_add_u32_e32 v13, v84, v13
	ds_write_b32 v87, v13 offset:1040
.LBB1537_370:                           ;   in Loop: Header=BB1537_350 Depth=2
	s_or_b64 exec, exec, s[38:39]
	; wave barrier
	s_waitcnt lgkmcnt(0)
	s_barrier
	ds_read2_b32 v[15:16], v53 offset1:1
	ds_read2_b32 v[13:14], v54 offset1:1
	ds_read_b32 v88, v27 offset:1056
	s_waitcnt lgkmcnt(1)
	v_add3_u32 v89, v16, v15, v13
	s_waitcnt lgkmcnt(0)
	v_add3_u32 v88, v89, v14, v88
	s_nop 1
	v_mov_b32_dpp v89, v88 row_shr:1 row_mask:0xf bank_mask:0xf
	v_cndmask_b32_e64 v89, v89, 0, s[18:19]
	v_add_u32_e32 v88, v89, v88
	s_nop 1
	v_mov_b32_dpp v89, v88 row_shr:2 row_mask:0xf bank_mask:0xf
	v_cndmask_b32_e64 v89, 0, v89, s[20:21]
	v_add_u32_e32 v88, v88, v89
	;; [unrolled: 4-line block ×4, first 2 shown]
	s_nop 1
	v_mov_b32_dpp v89, v88 row_bcast:15 row_mask:0xf bank_mask:0xf
	v_cndmask_b32_e64 v89, v89, 0, s[26:27]
	v_add_u32_e32 v88, v88, v89
	s_nop 1
	v_mov_b32_dpp v89, v88 row_bcast:31 row_mask:0xf bank_mask:0xf
	v_cndmask_b32_e64 v89, 0, v89, s[28:29]
	v_add_u32_e32 v88, v88, v89
	s_and_saveexec_b64 s[38:39], s[8:9]
; %bb.371:                              ;   in Loop: Header=BB1537_350 Depth=2
	ds_write_b32 v26, v88 offset:1024
; %bb.372:                              ;   in Loop: Header=BB1537_350 Depth=2
	s_or_b64 exec, exec, s[38:39]
	s_waitcnt lgkmcnt(0)
	s_barrier
	s_and_saveexec_b64 s[38:39], s[10:11]
	s_cbranch_execz .LBB1537_374
; %bb.373:                              ;   in Loop: Header=BB1537_350 Depth=2
	ds_read_b32 v89, v47 offset:1024
	s_waitcnt lgkmcnt(0)
	s_nop 0
	v_mov_b32_dpp v90, v89 row_shr:1 row_mask:0xf bank_mask:0xf
	v_cndmask_b32_e64 v90, v90, 0, s[34:35]
	v_add_u32_e32 v89, v90, v89
	s_nop 1
	v_mov_b32_dpp v90, v89 row_shr:2 row_mask:0xf bank_mask:0xf
	v_cndmask_b32_e64 v90, 0, v90, s[36:37]
	v_add_u32_e32 v89, v89, v90
	ds_write_b32 v47, v89 offset:1024
.LBB1537_374:                           ;   in Loop: Header=BB1537_350 Depth=2
	s_or_b64 exec, exec, s[38:39]
	v_mov_b32_e32 v89, 0
	s_waitcnt lgkmcnt(0)
	s_barrier
	s_and_saveexec_b64 s[38:39], s[12:13]
; %bb.375:                              ;   in Loop: Header=BB1537_350 Depth=2
	ds_read_b32 v89, v26 offset:1020
; %bb.376:                              ;   in Loop: Header=BB1537_350 Depth=2
	s_or_b64 exec, exec, s[38:39]
	s_waitcnt lgkmcnt(0)
	v_add_u32_e32 v88, v89, v88
	ds_bpermute_b32 v88, v64, v88
	s_waitcnt lgkmcnt(0)
	v_cndmask_b32_e64 v88, v88, v89, s[30:31]
	v_cndmask_b32_e64 v88, v88, 0, s[14:15]
	v_add_u32_e32 v15, v88, v15
	v_add_u32_e32 v16, v15, v16
	;; [unrolled: 1-line block ×4, first 2 shown]
	ds_write2_b32 v53, v88, v15 offset1:1
	ds_write2_b32 v54, v16, v13 offset1:1
	ds_write_b32 v27, v14 offset:1056
	s_waitcnt lgkmcnt(0)
	s_barrier
	ds_read_b32 v13, v75 offset:1040
	ds_read_b32 v14, v81 offset:1040
	;; [unrolled: 1-line block ×5, first 2 shown]
	v_mov_b32_e32 v75, 0x400
	s_and_saveexec_b64 s[38:39], s[16:17]
; %bb.377:                              ;   in Loop: Header=BB1537_350 Depth=2
	ds_read_b32 v75, v27 offset:1060
; %bb.378:                              ;   in Loop: Header=BB1537_350 Depth=2
	s_or_b64 exec, exec, s[38:39]
	s_waitcnt lgkmcnt(0)
	s_barrier
	s_and_saveexec_b64 s[38:39], s[4:5]
	s_cbranch_execz .LBB1537_380
; %bb.379:                              ;   in Loop: Header=BB1537_350 Depth=2
	ds_read_b32 v85, v18
	s_waitcnt lgkmcnt(0)
	v_sub_u32_e32 v15, v85, v15
	ds_write_b32 v18, v15
.LBB1537_380:                           ;   in Loop: Header=BB1537_350 Depth=2
	s_or_b64 exec, exec, s[38:39]
	v_add_u32_e32 v15, v13, v3
	v_add3_u32 v14, v78, v77, v14
	v_add3_u32 v13, v82, v80, v16
	;; [unrolled: 1-line block ×3, first 2 shown]
	v_cmp_lt_u32_e64 s[42:43], v0, v74
	ds_write_b8 v15, v17 offset:1024
	ds_write_b8 v14, v76 offset:1024
	;; [unrolled: 1-line block ×4, first 2 shown]
	s_waitcnt lgkmcnt(0)
	s_barrier
	s_and_saveexec_b64 s[38:39], s[42:43]
	s_cbranch_execnz .LBB1537_401
; %bb.381:                              ;   in Loop: Header=BB1537_350 Depth=2
	s_or_b64 exec, exec, s[38:39]
	v_cmp_lt_u32_e64 s[40:41], v19, v74
	s_and_saveexec_b64 s[38:39], s[40:41]
	s_cbranch_execnz .LBB1537_402
.LBB1537_382:                           ;   in Loop: Header=BB1537_350 Depth=2
	s_or_b64 exec, exec, s[38:39]
	v_cmp_lt_u32_e64 s[38:39], v20, v74
	s_and_saveexec_b64 s[44:45], s[38:39]
	s_cbranch_execnz .LBB1537_403
.LBB1537_383:                           ;   in Loop: Header=BB1537_350 Depth=2
	s_or_b64 exec, exec, s[44:45]
	v_cmp_lt_u32_e32 vcc, v21, v74
	s_and_saveexec_b64 s[44:45], vcc
	s_cbranch_execz .LBB1537_385
.LBB1537_384:                           ;   in Loop: Header=BB1537_350 Depth=2
	ds_read_u8 v16, v0 offset:1792
	s_waitcnt lgkmcnt(0)
	v_and_b32_e32 v17, 1, v16
	v_lshrrev_b32_e32 v17, s69, v17
	v_and_b32_e32 v17, s58, v17
	v_lshlrev_b32_e32 v17, 2, v17
	ds_read_b32 v17, v17
	v_xor_b32_e32 v16, 1, v16
	s_waitcnt lgkmcnt(0)
	v_add_u32_e32 v17, v17, v21
	global_store_byte v17, v16, s[52:53]
.LBB1537_385:                           ;   in Loop: Header=BB1537_350 Depth=2
	s_or_b64 exec, exec, s[44:45]
	s_lshl_b64 s[44:45], s[56:57], 3
	v_mov_b32_e32 v17, s45
	v_add_co_u32_e64 v16, s[44:45], s44, v65
	v_addc_co_u32_e64 v17, s[44:45], v66, v17, s[44:45]
	v_cmp_lt_u32_e64 s[44:45], v46, v74
	s_and_saveexec_b64 s[54:55], s[44:45]
	s_xor_b64 s[44:45], exec, s[54:55]
	s_cbranch_execnz .LBB1537_404
; %bb.386:                              ;   in Loop: Header=BB1537_350 Depth=2
	s_or_b64 exec, exec, s[44:45]
	v_cmp_lt_u32_e64 s[44:45], v61, v74
	s_and_saveexec_b64 s[54:55], s[44:45]
	s_cbranch_execnz .LBB1537_405
.LBB1537_387:                           ;   in Loop: Header=BB1537_350 Depth=2
	s_or_b64 exec, exec, s[54:55]
	v_cmp_lt_u32_e64 s[44:45], v62, v74
	s_and_saveexec_b64 s[54:55], s[44:45]
	s_cbranch_execnz .LBB1537_406
.LBB1537_388:                           ;   in Loop: Header=BB1537_350 Depth=2
	s_or_b64 exec, exec, s[54:55]
	v_cmp_lt_u32_e64 s[44:45], v63, v74
	s_and_saveexec_b64 s[54:55], s[44:45]
	s_cbranch_execnz .LBB1537_407
.LBB1537_389:                           ;   in Loop: Header=BB1537_350 Depth=2
	s_or_b64 exec, exec, s[54:55]
	s_and_saveexec_b64 s[44:45], s[42:43]
	s_cbranch_execnz .LBB1537_408
.LBB1537_390:                           ;   in Loop: Header=BB1537_350 Depth=2
	s_or_b64 exec, exec, s[44:45]
	s_and_saveexec_b64 s[44:45], s[40:41]
	s_cbranch_execnz .LBB1537_409
.LBB1537_391:                           ;   in Loop: Header=BB1537_350 Depth=2
	s_or_b64 exec, exec, s[44:45]
	s_and_saveexec_b64 s[44:45], s[38:39]
	s_cbranch_execnz .LBB1537_410
.LBB1537_392:                           ;   in Loop: Header=BB1537_350 Depth=2
	s_or_b64 exec, exec, s[44:45]
	s_and_saveexec_b64 s[44:45], vcc
	s_cbranch_execz .LBB1537_394
.LBB1537_393:                           ;   in Loop: Header=BB1537_350 Depth=2
	ds_read_u8 v16, v0 offset:1792
	s_waitcnt lgkmcnt(0)
	v_lshrrev_b32_e32 v16, s69, v16
	v_and_b32_e32 v69, s58, v16
.LBB1537_394:                           ;   in Loop: Header=BB1537_350 Depth=2
	s_or_b64 exec, exec, s[44:45]
	v_mad_u64_u32 v[15:16], s[44:45], v15, 7, v[15:16]
	v_mad_u64_u32 v[76:77], s[44:45], v3, 7, v[3:4]
	v_mad_u64_u32 v[16:17], s[44:45], v14, 7, v[14:15]
	v_mad_u64_u32 v[13:14], s[44:45], v13, 7, v[13:14]
	s_waitcnt vmcnt(0)
	s_barrier
	ds_write_b64 v15, v[11:12] offset:1024
	ds_write_b64 v16, v[9:10] offset:1024
	;; [unrolled: 1-line block ×4, first 2 shown]
	v_add_u32_e32 v13, v0, v51
	s_waitcnt lgkmcnt(0)
	s_barrier
	s_and_saveexec_b64 s[44:45], s[42:43]
	s_cbranch_execnz .LBB1537_411
; %bb.395:                              ;   in Loop: Header=BB1537_350 Depth=2
	s_or_b64 exec, exec, s[44:45]
	s_and_saveexec_b64 s[42:43], s[40:41]
	s_cbranch_execnz .LBB1537_412
.LBB1537_396:                           ;   in Loop: Header=BB1537_350 Depth=2
	s_or_b64 exec, exec, s[42:43]
	s_and_saveexec_b64 s[40:41], s[38:39]
	s_cbranch_execnz .LBB1537_413
.LBB1537_397:                           ;   in Loop: Header=BB1537_350 Depth=2
	s_or_b64 exec, exec, s[40:41]
	s_and_saveexec_b64 s[38:39], vcc
	s_cbranch_execz .LBB1537_399
.LBB1537_398:                           ;   in Loop: Header=BB1537_350 Depth=2
	v_lshlrev_b32_e32 v3, 2, v69
	ds_read_b32 v3, v3
	ds_read_b64 v[13:14], v13 offset:7168
	v_mov_b32_e32 v17, s67
	s_waitcnt lgkmcnt(1)
	v_add_u32_e32 v3, v3, v21
	v_lshlrev_b64 v[15:16], 3, v[3:4]
	v_add_co_u32_e32 v15, vcc, s66, v15
	v_addc_co_u32_e32 v16, vcc, v17, v16, vcc
	s_waitcnt lgkmcnt(0)
	global_store_dwordx2 v[15:16], v[13:14], off
.LBB1537_399:                           ;   in Loop: Header=BB1537_350 Depth=2
	s_or_b64 exec, exec, s[38:39]
	s_waitcnt vmcnt(0)
	s_barrier
	s_and_saveexec_b64 s[38:39], s[4:5]
	s_cbranch_execz .LBB1537_349
; %bb.400:                              ;   in Loop: Header=BB1537_350 Depth=2
	ds_read_b32 v3, v18
	s_waitcnt lgkmcnt(0)
	v_add_u32_e32 v3, v3, v75
	ds_write_b32 v18, v3
	s_branch .LBB1537_349
.LBB1537_401:                           ;   in Loop: Header=BB1537_350 Depth=2
	ds_read_u8 v16, v0 offset:1024
	s_waitcnt lgkmcnt(0)
	v_and_b32_e32 v17, 1, v16
	v_lshrrev_b32_e32 v17, s69, v17
	v_and_b32_e32 v17, s58, v17
	v_lshlrev_b32_e32 v17, 2, v17
	ds_read_b32 v17, v17
	v_xor_b32_e32 v16, 1, v16
	s_waitcnt lgkmcnt(0)
	v_add_u32_e32 v17, v17, v0
	global_store_byte v17, v16, s[52:53]
	s_or_b64 exec, exec, s[38:39]
	v_cmp_lt_u32_e64 s[40:41], v19, v74
	s_and_saveexec_b64 s[38:39], s[40:41]
	s_cbranch_execz .LBB1537_382
.LBB1537_402:                           ;   in Loop: Header=BB1537_350 Depth=2
	ds_read_u8 v16, v0 offset:1280
	s_waitcnt lgkmcnt(0)
	v_and_b32_e32 v17, 1, v16
	v_lshrrev_b32_e32 v17, s69, v17
	v_and_b32_e32 v17, s58, v17
	v_lshlrev_b32_e32 v17, 2, v17
	ds_read_b32 v17, v17
	v_xor_b32_e32 v16, 1, v16
	s_waitcnt lgkmcnt(0)
	v_add_u32_e32 v17, v17, v19
	global_store_byte v17, v16, s[52:53]
	s_or_b64 exec, exec, s[38:39]
	v_cmp_lt_u32_e64 s[38:39], v20, v74
	s_and_saveexec_b64 s[44:45], s[38:39]
	s_cbranch_execz .LBB1537_383
.LBB1537_403:                           ;   in Loop: Header=BB1537_350 Depth=2
	ds_read_u8 v16, v0 offset:1536
	s_waitcnt lgkmcnt(0)
	v_and_b32_e32 v17, 1, v16
	v_lshrrev_b32_e32 v17, s69, v17
	v_and_b32_e32 v17, s58, v17
	v_lshlrev_b32_e32 v17, 2, v17
	ds_read_b32 v17, v17
	v_xor_b32_e32 v16, 1, v16
	s_waitcnt lgkmcnt(0)
	v_add_u32_e32 v17, v17, v20
	global_store_byte v17, v16, s[52:53]
	s_or_b64 exec, exec, s[44:45]
	v_cmp_lt_u32_e32 vcc, v21, v74
	s_and_saveexec_b64 s[44:45], vcc
	s_cbranch_execnz .LBB1537_384
	s_branch .LBB1537_385
.LBB1537_404:                           ;   in Loop: Header=BB1537_350 Depth=2
	global_load_dwordx2 v[11:12], v[16:17], off
	s_or_b64 exec, exec, s[44:45]
	v_cmp_lt_u32_e64 s[44:45], v61, v74
	s_and_saveexec_b64 s[54:55], s[44:45]
	s_cbranch_execz .LBB1537_387
.LBB1537_405:                           ;   in Loop: Header=BB1537_350 Depth=2
	global_load_dwordx2 v[9:10], v[16:17], off offset:512
	s_or_b64 exec, exec, s[54:55]
	v_cmp_lt_u32_e64 s[44:45], v62, v74
	s_and_saveexec_b64 s[54:55], s[44:45]
	s_cbranch_execz .LBB1537_388
.LBB1537_406:                           ;   in Loop: Header=BB1537_350 Depth=2
	global_load_dwordx2 v[7:8], v[16:17], off offset:1024
	s_or_b64 exec, exec, s[54:55]
	v_cmp_lt_u32_e64 s[44:45], v63, v74
	s_and_saveexec_b64 s[54:55], s[44:45]
	s_cbranch_execz .LBB1537_389
.LBB1537_407:                           ;   in Loop: Header=BB1537_350 Depth=2
	global_load_dwordx2 v[5:6], v[16:17], off offset:1536
	s_or_b64 exec, exec, s[54:55]
	s_and_saveexec_b64 s[44:45], s[42:43]
	s_cbranch_execz .LBB1537_390
.LBB1537_408:                           ;   in Loop: Header=BB1537_350 Depth=2
	ds_read_u8 v16, v0 offset:1024
	s_waitcnt lgkmcnt(0)
	v_lshrrev_b32_e32 v16, s69, v16
	v_and_b32_e32 v73, s58, v16
	s_or_b64 exec, exec, s[44:45]
	s_and_saveexec_b64 s[44:45], s[40:41]
	s_cbranch_execz .LBB1537_391
.LBB1537_409:                           ;   in Loop: Header=BB1537_350 Depth=2
	ds_read_u8 v16, v0 offset:1280
	s_waitcnt lgkmcnt(0)
	v_lshrrev_b32_e32 v16, s69, v16
	v_and_b32_e32 v72, s58, v16
	s_or_b64 exec, exec, s[44:45]
	s_and_saveexec_b64 s[44:45], s[38:39]
	s_cbranch_execz .LBB1537_392
.LBB1537_410:                           ;   in Loop: Header=BB1537_350 Depth=2
	ds_read_u8 v16, v0 offset:1536
	s_waitcnt lgkmcnt(0)
	v_lshrrev_b32_e32 v16, s69, v16
	v_and_b32_e32 v70, s58, v16
	s_or_b64 exec, exec, s[44:45]
	s_and_saveexec_b64 s[44:45], vcc
	s_cbranch_execnz .LBB1537_393
	s_branch .LBB1537_394
.LBB1537_411:                           ;   in Loop: Header=BB1537_350 Depth=2
	v_lshlrev_b32_e32 v3, 2, v73
	ds_read_b32 v3, v3
	ds_read_b64 v[14:15], v13 offset:1024
	v_mov_b32_e32 v74, s67
	s_waitcnt lgkmcnt(1)
	v_add_u32_e32 v3, v3, v0
	v_lshlrev_b64 v[16:17], 3, v[3:4]
	v_add_co_u32_e64 v16, s[42:43], s66, v16
	v_addc_co_u32_e64 v17, s[42:43], v74, v17, s[42:43]
	s_waitcnt lgkmcnt(0)
	global_store_dwordx2 v[16:17], v[14:15], off
	s_or_b64 exec, exec, s[44:45]
	s_and_saveexec_b64 s[42:43], s[40:41]
	s_cbranch_execz .LBB1537_396
.LBB1537_412:                           ;   in Loop: Header=BB1537_350 Depth=2
	v_lshlrev_b32_e32 v3, 2, v72
	ds_read_b32 v3, v3
	ds_read_b64 v[14:15], v13 offset:3072
	v_mov_b32_e32 v74, s67
	s_waitcnt lgkmcnt(1)
	v_add_u32_e32 v3, v3, v19
	v_lshlrev_b64 v[16:17], 3, v[3:4]
	v_add_co_u32_e64 v16, s[40:41], s66, v16
	v_addc_co_u32_e64 v17, s[40:41], v74, v17, s[40:41]
	s_waitcnt lgkmcnt(0)
	global_store_dwordx2 v[16:17], v[14:15], off
	s_or_b64 exec, exec, s[42:43]
	s_and_saveexec_b64 s[40:41], s[38:39]
	s_cbranch_execz .LBB1537_397
.LBB1537_413:                           ;   in Loop: Header=BB1537_350 Depth=2
	v_lshlrev_b32_e32 v3, 2, v70
	ds_read_b32 v3, v3
	ds_read_b64 v[14:15], v13 offset:5120
	v_mov_b32_e32 v74, s67
	s_waitcnt lgkmcnt(1)
	v_add_u32_e32 v3, v3, v20
	v_lshlrev_b64 v[16:17], 3, v[3:4]
	v_add_co_u32_e64 v16, s[38:39], s66, v16
	v_addc_co_u32_e64 v17, s[38:39], v74, v17, s[38:39]
	s_waitcnt lgkmcnt(0)
	global_store_dwordx2 v[16:17], v[14:15], off
	s_or_b64 exec, exec, s[40:41]
	s_and_saveexec_b64 s[38:39], vcc
	s_cbranch_execnz .LBB1537_398
	s_branch .LBB1537_399
.LBB1537_414:
	s_endpgm
	.section	.rodata,"a",@progbits
	.p2align	6, 0x0
	.amdhsa_kernel _ZN7rocprim17ROCPRIM_400000_NS6detail17trampoline_kernelINS0_14default_configENS1_36segmented_radix_sort_config_selectorIblEEZNS1_25segmented_radix_sort_implIS3_Lb1EPKbPbPKlPlN2at6native12_GLOBAL__N_18offset_tEEE10hipError_tPvRmT1_PNSt15iterator_traitsISK_E10value_typeET2_T3_PNSL_ISQ_E10value_typeET4_jRbjT5_SW_jjP12ihipStream_tbEUlT_E_NS1_11comp_targetILNS1_3genE2ELNS1_11target_archE906ELNS1_3gpuE6ELNS1_3repE0EEENS1_30default_config_static_selectorELNS0_4arch9wavefront6targetE1EEEvSK_
		.amdhsa_group_segment_fixed_size 9232
		.amdhsa_private_segment_fixed_size 0
		.amdhsa_kernarg_size 352
		.amdhsa_user_sgpr_count 6
		.amdhsa_user_sgpr_private_segment_buffer 1
		.amdhsa_user_sgpr_dispatch_ptr 0
		.amdhsa_user_sgpr_queue_ptr 0
		.amdhsa_user_sgpr_kernarg_segment_ptr 1
		.amdhsa_user_sgpr_dispatch_id 0
		.amdhsa_user_sgpr_flat_scratch_init 0
		.amdhsa_user_sgpr_private_segment_size 0
		.amdhsa_uses_dynamic_stack 0
		.amdhsa_system_sgpr_private_segment_wavefront_offset 0
		.amdhsa_system_sgpr_workgroup_id_x 1
		.amdhsa_system_sgpr_workgroup_id_y 1
		.amdhsa_system_sgpr_workgroup_id_z 0
		.amdhsa_system_sgpr_workgroup_info 0
		.amdhsa_system_vgpr_workitem_id 2
		.amdhsa_next_free_vgpr 97
		.amdhsa_next_free_sgpr 77
		.amdhsa_reserve_vcc 1
		.amdhsa_reserve_flat_scratch 0
		.amdhsa_float_round_mode_32 0
		.amdhsa_float_round_mode_16_64 0
		.amdhsa_float_denorm_mode_32 3
		.amdhsa_float_denorm_mode_16_64 3
		.amdhsa_dx10_clamp 1
		.amdhsa_ieee_mode 1
		.amdhsa_fp16_overflow 0
		.amdhsa_exception_fp_ieee_invalid_op 0
		.amdhsa_exception_fp_denorm_src 0
		.amdhsa_exception_fp_ieee_div_zero 0
		.amdhsa_exception_fp_ieee_overflow 0
		.amdhsa_exception_fp_ieee_underflow 0
		.amdhsa_exception_fp_ieee_inexact 0
		.amdhsa_exception_int_div_zero 0
	.end_amdhsa_kernel
	.section	.text._ZN7rocprim17ROCPRIM_400000_NS6detail17trampoline_kernelINS0_14default_configENS1_36segmented_radix_sort_config_selectorIblEEZNS1_25segmented_radix_sort_implIS3_Lb1EPKbPbPKlPlN2at6native12_GLOBAL__N_18offset_tEEE10hipError_tPvRmT1_PNSt15iterator_traitsISK_E10value_typeET2_T3_PNSL_ISQ_E10value_typeET4_jRbjT5_SW_jjP12ihipStream_tbEUlT_E_NS1_11comp_targetILNS1_3genE2ELNS1_11target_archE906ELNS1_3gpuE6ELNS1_3repE0EEENS1_30default_config_static_selectorELNS0_4arch9wavefront6targetE1EEEvSK_,"axG",@progbits,_ZN7rocprim17ROCPRIM_400000_NS6detail17trampoline_kernelINS0_14default_configENS1_36segmented_radix_sort_config_selectorIblEEZNS1_25segmented_radix_sort_implIS3_Lb1EPKbPbPKlPlN2at6native12_GLOBAL__N_18offset_tEEE10hipError_tPvRmT1_PNSt15iterator_traitsISK_E10value_typeET2_T3_PNSL_ISQ_E10value_typeET4_jRbjT5_SW_jjP12ihipStream_tbEUlT_E_NS1_11comp_targetILNS1_3genE2ELNS1_11target_archE906ELNS1_3gpuE6ELNS1_3repE0EEENS1_30default_config_static_selectorELNS0_4arch9wavefront6targetE1EEEvSK_,comdat
.Lfunc_end1537:
	.size	_ZN7rocprim17ROCPRIM_400000_NS6detail17trampoline_kernelINS0_14default_configENS1_36segmented_radix_sort_config_selectorIblEEZNS1_25segmented_radix_sort_implIS3_Lb1EPKbPbPKlPlN2at6native12_GLOBAL__N_18offset_tEEE10hipError_tPvRmT1_PNSt15iterator_traitsISK_E10value_typeET2_T3_PNSL_ISQ_E10value_typeET4_jRbjT5_SW_jjP12ihipStream_tbEUlT_E_NS1_11comp_targetILNS1_3genE2ELNS1_11target_archE906ELNS1_3gpuE6ELNS1_3repE0EEENS1_30default_config_static_selectorELNS0_4arch9wavefront6targetE1EEEvSK_, .Lfunc_end1537-_ZN7rocprim17ROCPRIM_400000_NS6detail17trampoline_kernelINS0_14default_configENS1_36segmented_radix_sort_config_selectorIblEEZNS1_25segmented_radix_sort_implIS3_Lb1EPKbPbPKlPlN2at6native12_GLOBAL__N_18offset_tEEE10hipError_tPvRmT1_PNSt15iterator_traitsISK_E10value_typeET2_T3_PNSL_ISQ_E10value_typeET4_jRbjT5_SW_jjP12ihipStream_tbEUlT_E_NS1_11comp_targetILNS1_3genE2ELNS1_11target_archE906ELNS1_3gpuE6ELNS1_3repE0EEENS1_30default_config_static_selectorELNS0_4arch9wavefront6targetE1EEEvSK_
                                        ; -- End function
	.set _ZN7rocprim17ROCPRIM_400000_NS6detail17trampoline_kernelINS0_14default_configENS1_36segmented_radix_sort_config_selectorIblEEZNS1_25segmented_radix_sort_implIS3_Lb1EPKbPbPKlPlN2at6native12_GLOBAL__N_18offset_tEEE10hipError_tPvRmT1_PNSt15iterator_traitsISK_E10value_typeET2_T3_PNSL_ISQ_E10value_typeET4_jRbjT5_SW_jjP12ihipStream_tbEUlT_E_NS1_11comp_targetILNS1_3genE2ELNS1_11target_archE906ELNS1_3gpuE6ELNS1_3repE0EEENS1_30default_config_static_selectorELNS0_4arch9wavefront6targetE1EEEvSK_.num_vgpr, max(91, .L_ZN7rocprim17ROCPRIM_400000_NS6detail40segmented_radix_sort_single_block_helperIblLj256ELj4ELb1EE4sortIPKbPbPKlPlEEbT_T0_T1_T2_jjjjRNS3_12storage_typeE.num_vgpr)
	.set _ZN7rocprim17ROCPRIM_400000_NS6detail17trampoline_kernelINS0_14default_configENS1_36segmented_radix_sort_config_selectorIblEEZNS1_25segmented_radix_sort_implIS3_Lb1EPKbPbPKlPlN2at6native12_GLOBAL__N_18offset_tEEE10hipError_tPvRmT1_PNSt15iterator_traitsISK_E10value_typeET2_T3_PNSL_ISQ_E10value_typeET4_jRbjT5_SW_jjP12ihipStream_tbEUlT_E_NS1_11comp_targetILNS1_3genE2ELNS1_11target_archE906ELNS1_3gpuE6ELNS1_3repE0EEENS1_30default_config_static_selectorELNS0_4arch9wavefront6targetE1EEEvSK_.num_agpr, max(0, .L_ZN7rocprim17ROCPRIM_400000_NS6detail40segmented_radix_sort_single_block_helperIblLj256ELj4ELb1EE4sortIPKbPbPKlPlEEbT_T0_T1_T2_jjjjRNS3_12storage_typeE.num_agpr)
	.set _ZN7rocprim17ROCPRIM_400000_NS6detail17trampoline_kernelINS0_14default_configENS1_36segmented_radix_sort_config_selectorIblEEZNS1_25segmented_radix_sort_implIS3_Lb1EPKbPbPKlPlN2at6native12_GLOBAL__N_18offset_tEEE10hipError_tPvRmT1_PNSt15iterator_traitsISK_E10value_typeET2_T3_PNSL_ISQ_E10value_typeET4_jRbjT5_SW_jjP12ihipStream_tbEUlT_E_NS1_11comp_targetILNS1_3genE2ELNS1_11target_archE906ELNS1_3gpuE6ELNS1_3repE0EEENS1_30default_config_static_selectorELNS0_4arch9wavefront6targetE1EEEvSK_.numbered_sgpr, max(76, .L_ZN7rocprim17ROCPRIM_400000_NS6detail40segmented_radix_sort_single_block_helperIblLj256ELj4ELb1EE4sortIPKbPbPKlPlEEbT_T0_T1_T2_jjjjRNS3_12storage_typeE.numbered_sgpr)
	.set _ZN7rocprim17ROCPRIM_400000_NS6detail17trampoline_kernelINS0_14default_configENS1_36segmented_radix_sort_config_selectorIblEEZNS1_25segmented_radix_sort_implIS3_Lb1EPKbPbPKlPlN2at6native12_GLOBAL__N_18offset_tEEE10hipError_tPvRmT1_PNSt15iterator_traitsISK_E10value_typeET2_T3_PNSL_ISQ_E10value_typeET4_jRbjT5_SW_jjP12ihipStream_tbEUlT_E_NS1_11comp_targetILNS1_3genE2ELNS1_11target_archE906ELNS1_3gpuE6ELNS1_3repE0EEENS1_30default_config_static_selectorELNS0_4arch9wavefront6targetE1EEEvSK_.num_named_barrier, max(0, .L_ZN7rocprim17ROCPRIM_400000_NS6detail40segmented_radix_sort_single_block_helperIblLj256ELj4ELb1EE4sortIPKbPbPKlPlEEbT_T0_T1_T2_jjjjRNS3_12storage_typeE.num_named_barrier)
	.set _ZN7rocprim17ROCPRIM_400000_NS6detail17trampoline_kernelINS0_14default_configENS1_36segmented_radix_sort_config_selectorIblEEZNS1_25segmented_radix_sort_implIS3_Lb1EPKbPbPKlPlN2at6native12_GLOBAL__N_18offset_tEEE10hipError_tPvRmT1_PNSt15iterator_traitsISK_E10value_typeET2_T3_PNSL_ISQ_E10value_typeET4_jRbjT5_SW_jjP12ihipStream_tbEUlT_E_NS1_11comp_targetILNS1_3genE2ELNS1_11target_archE906ELNS1_3gpuE6ELNS1_3repE0EEENS1_30default_config_static_selectorELNS0_4arch9wavefront6targetE1EEEvSK_.private_seg_size, 0+max(.L_ZN7rocprim17ROCPRIM_400000_NS6detail40segmented_radix_sort_single_block_helperIblLj256ELj4ELb1EE4sortIPKbPbPKlPlEEbT_T0_T1_T2_jjjjRNS3_12storage_typeE.private_seg_size)
	.set _ZN7rocprim17ROCPRIM_400000_NS6detail17trampoline_kernelINS0_14default_configENS1_36segmented_radix_sort_config_selectorIblEEZNS1_25segmented_radix_sort_implIS3_Lb1EPKbPbPKlPlN2at6native12_GLOBAL__N_18offset_tEEE10hipError_tPvRmT1_PNSt15iterator_traitsISK_E10value_typeET2_T3_PNSL_ISQ_E10value_typeET4_jRbjT5_SW_jjP12ihipStream_tbEUlT_E_NS1_11comp_targetILNS1_3genE2ELNS1_11target_archE906ELNS1_3gpuE6ELNS1_3repE0EEENS1_30default_config_static_selectorELNS0_4arch9wavefront6targetE1EEEvSK_.uses_vcc, or(1, .L_ZN7rocprim17ROCPRIM_400000_NS6detail40segmented_radix_sort_single_block_helperIblLj256ELj4ELb1EE4sortIPKbPbPKlPlEEbT_T0_T1_T2_jjjjRNS3_12storage_typeE.uses_vcc)
	.set _ZN7rocprim17ROCPRIM_400000_NS6detail17trampoline_kernelINS0_14default_configENS1_36segmented_radix_sort_config_selectorIblEEZNS1_25segmented_radix_sort_implIS3_Lb1EPKbPbPKlPlN2at6native12_GLOBAL__N_18offset_tEEE10hipError_tPvRmT1_PNSt15iterator_traitsISK_E10value_typeET2_T3_PNSL_ISQ_E10value_typeET4_jRbjT5_SW_jjP12ihipStream_tbEUlT_E_NS1_11comp_targetILNS1_3genE2ELNS1_11target_archE906ELNS1_3gpuE6ELNS1_3repE0EEENS1_30default_config_static_selectorELNS0_4arch9wavefront6targetE1EEEvSK_.uses_flat_scratch, or(0, .L_ZN7rocprim17ROCPRIM_400000_NS6detail40segmented_radix_sort_single_block_helperIblLj256ELj4ELb1EE4sortIPKbPbPKlPlEEbT_T0_T1_T2_jjjjRNS3_12storage_typeE.uses_flat_scratch)
	.set _ZN7rocprim17ROCPRIM_400000_NS6detail17trampoline_kernelINS0_14default_configENS1_36segmented_radix_sort_config_selectorIblEEZNS1_25segmented_radix_sort_implIS3_Lb1EPKbPbPKlPlN2at6native12_GLOBAL__N_18offset_tEEE10hipError_tPvRmT1_PNSt15iterator_traitsISK_E10value_typeET2_T3_PNSL_ISQ_E10value_typeET4_jRbjT5_SW_jjP12ihipStream_tbEUlT_E_NS1_11comp_targetILNS1_3genE2ELNS1_11target_archE906ELNS1_3gpuE6ELNS1_3repE0EEENS1_30default_config_static_selectorELNS0_4arch9wavefront6targetE1EEEvSK_.has_dyn_sized_stack, or(0, .L_ZN7rocprim17ROCPRIM_400000_NS6detail40segmented_radix_sort_single_block_helperIblLj256ELj4ELb1EE4sortIPKbPbPKlPlEEbT_T0_T1_T2_jjjjRNS3_12storage_typeE.has_dyn_sized_stack)
	.set _ZN7rocprim17ROCPRIM_400000_NS6detail17trampoline_kernelINS0_14default_configENS1_36segmented_radix_sort_config_selectorIblEEZNS1_25segmented_radix_sort_implIS3_Lb1EPKbPbPKlPlN2at6native12_GLOBAL__N_18offset_tEEE10hipError_tPvRmT1_PNSt15iterator_traitsISK_E10value_typeET2_T3_PNSL_ISQ_E10value_typeET4_jRbjT5_SW_jjP12ihipStream_tbEUlT_E_NS1_11comp_targetILNS1_3genE2ELNS1_11target_archE906ELNS1_3gpuE6ELNS1_3repE0EEENS1_30default_config_static_selectorELNS0_4arch9wavefront6targetE1EEEvSK_.has_recursion, or(0, .L_ZN7rocprim17ROCPRIM_400000_NS6detail40segmented_radix_sort_single_block_helperIblLj256ELj4ELb1EE4sortIPKbPbPKlPlEEbT_T0_T1_T2_jjjjRNS3_12storage_typeE.has_recursion)
	.set _ZN7rocprim17ROCPRIM_400000_NS6detail17trampoline_kernelINS0_14default_configENS1_36segmented_radix_sort_config_selectorIblEEZNS1_25segmented_radix_sort_implIS3_Lb1EPKbPbPKlPlN2at6native12_GLOBAL__N_18offset_tEEE10hipError_tPvRmT1_PNSt15iterator_traitsISK_E10value_typeET2_T3_PNSL_ISQ_E10value_typeET4_jRbjT5_SW_jjP12ihipStream_tbEUlT_E_NS1_11comp_targetILNS1_3genE2ELNS1_11target_archE906ELNS1_3gpuE6ELNS1_3repE0EEENS1_30default_config_static_selectorELNS0_4arch9wavefront6targetE1EEEvSK_.has_indirect_call, or(0, .L_ZN7rocprim17ROCPRIM_400000_NS6detail40segmented_radix_sort_single_block_helperIblLj256ELj4ELb1EE4sortIPKbPbPKlPlEEbT_T0_T1_T2_jjjjRNS3_12storage_typeE.has_indirect_call)
	.section	.AMDGPU.csdata,"",@progbits
; Kernel info:
; codeLenInByte = 17068
; TotalNumSgprs: 80
; NumVgprs: 97
; ScratchSize: 0
; MemoryBound: 0
; FloatMode: 240
; IeeeMode: 1
; LDSByteSize: 9232 bytes/workgroup (compile time only)
; SGPRBlocks: 10
; VGPRBlocks: 24
; NumSGPRsForWavesPerEU: 81
; NumVGPRsForWavesPerEU: 97
; Occupancy: 2
; WaveLimiterHint : 1
; COMPUTE_PGM_RSRC2:SCRATCH_EN: 0
; COMPUTE_PGM_RSRC2:USER_SGPR: 6
; COMPUTE_PGM_RSRC2:TRAP_HANDLER: 0
; COMPUTE_PGM_RSRC2:TGID_X_EN: 1
; COMPUTE_PGM_RSRC2:TGID_Y_EN: 1
; COMPUTE_PGM_RSRC2:TGID_Z_EN: 0
; COMPUTE_PGM_RSRC2:TIDIG_COMP_CNT: 2
	.section	.text._ZN7rocprim17ROCPRIM_400000_NS6detail17trampoline_kernelINS0_14default_configENS1_36segmented_radix_sort_config_selectorIblEEZNS1_25segmented_radix_sort_implIS3_Lb1EPKbPbPKlPlN2at6native12_GLOBAL__N_18offset_tEEE10hipError_tPvRmT1_PNSt15iterator_traitsISK_E10value_typeET2_T3_PNSL_ISQ_E10value_typeET4_jRbjT5_SW_jjP12ihipStream_tbEUlT_E_NS1_11comp_targetILNS1_3genE10ELNS1_11target_archE1201ELNS1_3gpuE5ELNS1_3repE0EEENS1_30default_config_static_selectorELNS0_4arch9wavefront6targetE1EEEvSK_,"axG",@progbits,_ZN7rocprim17ROCPRIM_400000_NS6detail17trampoline_kernelINS0_14default_configENS1_36segmented_radix_sort_config_selectorIblEEZNS1_25segmented_radix_sort_implIS3_Lb1EPKbPbPKlPlN2at6native12_GLOBAL__N_18offset_tEEE10hipError_tPvRmT1_PNSt15iterator_traitsISK_E10value_typeET2_T3_PNSL_ISQ_E10value_typeET4_jRbjT5_SW_jjP12ihipStream_tbEUlT_E_NS1_11comp_targetILNS1_3genE10ELNS1_11target_archE1201ELNS1_3gpuE5ELNS1_3repE0EEENS1_30default_config_static_selectorELNS0_4arch9wavefront6targetE1EEEvSK_,comdat
	.globl	_ZN7rocprim17ROCPRIM_400000_NS6detail17trampoline_kernelINS0_14default_configENS1_36segmented_radix_sort_config_selectorIblEEZNS1_25segmented_radix_sort_implIS3_Lb1EPKbPbPKlPlN2at6native12_GLOBAL__N_18offset_tEEE10hipError_tPvRmT1_PNSt15iterator_traitsISK_E10value_typeET2_T3_PNSL_ISQ_E10value_typeET4_jRbjT5_SW_jjP12ihipStream_tbEUlT_E_NS1_11comp_targetILNS1_3genE10ELNS1_11target_archE1201ELNS1_3gpuE5ELNS1_3repE0EEENS1_30default_config_static_selectorELNS0_4arch9wavefront6targetE1EEEvSK_ ; -- Begin function _ZN7rocprim17ROCPRIM_400000_NS6detail17trampoline_kernelINS0_14default_configENS1_36segmented_radix_sort_config_selectorIblEEZNS1_25segmented_radix_sort_implIS3_Lb1EPKbPbPKlPlN2at6native12_GLOBAL__N_18offset_tEEE10hipError_tPvRmT1_PNSt15iterator_traitsISK_E10value_typeET2_T3_PNSL_ISQ_E10value_typeET4_jRbjT5_SW_jjP12ihipStream_tbEUlT_E_NS1_11comp_targetILNS1_3genE10ELNS1_11target_archE1201ELNS1_3gpuE5ELNS1_3repE0EEENS1_30default_config_static_selectorELNS0_4arch9wavefront6targetE1EEEvSK_
	.p2align	8
	.type	_ZN7rocprim17ROCPRIM_400000_NS6detail17trampoline_kernelINS0_14default_configENS1_36segmented_radix_sort_config_selectorIblEEZNS1_25segmented_radix_sort_implIS3_Lb1EPKbPbPKlPlN2at6native12_GLOBAL__N_18offset_tEEE10hipError_tPvRmT1_PNSt15iterator_traitsISK_E10value_typeET2_T3_PNSL_ISQ_E10value_typeET4_jRbjT5_SW_jjP12ihipStream_tbEUlT_E_NS1_11comp_targetILNS1_3genE10ELNS1_11target_archE1201ELNS1_3gpuE5ELNS1_3repE0EEENS1_30default_config_static_selectorELNS0_4arch9wavefront6targetE1EEEvSK_,@function
_ZN7rocprim17ROCPRIM_400000_NS6detail17trampoline_kernelINS0_14default_configENS1_36segmented_radix_sort_config_selectorIblEEZNS1_25segmented_radix_sort_implIS3_Lb1EPKbPbPKlPlN2at6native12_GLOBAL__N_18offset_tEEE10hipError_tPvRmT1_PNSt15iterator_traitsISK_E10value_typeET2_T3_PNSL_ISQ_E10value_typeET4_jRbjT5_SW_jjP12ihipStream_tbEUlT_E_NS1_11comp_targetILNS1_3genE10ELNS1_11target_archE1201ELNS1_3gpuE5ELNS1_3repE0EEENS1_30default_config_static_selectorELNS0_4arch9wavefront6targetE1EEEvSK_: ; @_ZN7rocprim17ROCPRIM_400000_NS6detail17trampoline_kernelINS0_14default_configENS1_36segmented_radix_sort_config_selectorIblEEZNS1_25segmented_radix_sort_implIS3_Lb1EPKbPbPKlPlN2at6native12_GLOBAL__N_18offset_tEEE10hipError_tPvRmT1_PNSt15iterator_traitsISK_E10value_typeET2_T3_PNSL_ISQ_E10value_typeET4_jRbjT5_SW_jjP12ihipStream_tbEUlT_E_NS1_11comp_targetILNS1_3genE10ELNS1_11target_archE1201ELNS1_3gpuE5ELNS1_3repE0EEENS1_30default_config_static_selectorELNS0_4arch9wavefront6targetE1EEEvSK_
; %bb.0:
	.section	.rodata,"a",@progbits
	.p2align	6, 0x0
	.amdhsa_kernel _ZN7rocprim17ROCPRIM_400000_NS6detail17trampoline_kernelINS0_14default_configENS1_36segmented_radix_sort_config_selectorIblEEZNS1_25segmented_radix_sort_implIS3_Lb1EPKbPbPKlPlN2at6native12_GLOBAL__N_18offset_tEEE10hipError_tPvRmT1_PNSt15iterator_traitsISK_E10value_typeET2_T3_PNSL_ISQ_E10value_typeET4_jRbjT5_SW_jjP12ihipStream_tbEUlT_E_NS1_11comp_targetILNS1_3genE10ELNS1_11target_archE1201ELNS1_3gpuE5ELNS1_3repE0EEENS1_30default_config_static_selectorELNS0_4arch9wavefront6targetE1EEEvSK_
		.amdhsa_group_segment_fixed_size 0
		.amdhsa_private_segment_fixed_size 0
		.amdhsa_kernarg_size 96
		.amdhsa_user_sgpr_count 6
		.amdhsa_user_sgpr_private_segment_buffer 1
		.amdhsa_user_sgpr_dispatch_ptr 0
		.amdhsa_user_sgpr_queue_ptr 0
		.amdhsa_user_sgpr_kernarg_segment_ptr 1
		.amdhsa_user_sgpr_dispatch_id 0
		.amdhsa_user_sgpr_flat_scratch_init 0
		.amdhsa_user_sgpr_private_segment_size 0
		.amdhsa_uses_dynamic_stack 0
		.amdhsa_system_sgpr_private_segment_wavefront_offset 0
		.amdhsa_system_sgpr_workgroup_id_x 1
		.amdhsa_system_sgpr_workgroup_id_y 0
		.amdhsa_system_sgpr_workgroup_id_z 0
		.amdhsa_system_sgpr_workgroup_info 0
		.amdhsa_system_vgpr_workitem_id 0
		.amdhsa_next_free_vgpr 1
		.amdhsa_next_free_sgpr 0
		.amdhsa_reserve_vcc 0
		.amdhsa_reserve_flat_scratch 0
		.amdhsa_float_round_mode_32 0
		.amdhsa_float_round_mode_16_64 0
		.amdhsa_float_denorm_mode_32 3
		.amdhsa_float_denorm_mode_16_64 3
		.amdhsa_dx10_clamp 1
		.amdhsa_ieee_mode 1
		.amdhsa_fp16_overflow 0
		.amdhsa_exception_fp_ieee_invalid_op 0
		.amdhsa_exception_fp_denorm_src 0
		.amdhsa_exception_fp_ieee_div_zero 0
		.amdhsa_exception_fp_ieee_overflow 0
		.amdhsa_exception_fp_ieee_underflow 0
		.amdhsa_exception_fp_ieee_inexact 0
		.amdhsa_exception_int_div_zero 0
	.end_amdhsa_kernel
	.section	.text._ZN7rocprim17ROCPRIM_400000_NS6detail17trampoline_kernelINS0_14default_configENS1_36segmented_radix_sort_config_selectorIblEEZNS1_25segmented_radix_sort_implIS3_Lb1EPKbPbPKlPlN2at6native12_GLOBAL__N_18offset_tEEE10hipError_tPvRmT1_PNSt15iterator_traitsISK_E10value_typeET2_T3_PNSL_ISQ_E10value_typeET4_jRbjT5_SW_jjP12ihipStream_tbEUlT_E_NS1_11comp_targetILNS1_3genE10ELNS1_11target_archE1201ELNS1_3gpuE5ELNS1_3repE0EEENS1_30default_config_static_selectorELNS0_4arch9wavefront6targetE1EEEvSK_,"axG",@progbits,_ZN7rocprim17ROCPRIM_400000_NS6detail17trampoline_kernelINS0_14default_configENS1_36segmented_radix_sort_config_selectorIblEEZNS1_25segmented_radix_sort_implIS3_Lb1EPKbPbPKlPlN2at6native12_GLOBAL__N_18offset_tEEE10hipError_tPvRmT1_PNSt15iterator_traitsISK_E10value_typeET2_T3_PNSL_ISQ_E10value_typeET4_jRbjT5_SW_jjP12ihipStream_tbEUlT_E_NS1_11comp_targetILNS1_3genE10ELNS1_11target_archE1201ELNS1_3gpuE5ELNS1_3repE0EEENS1_30default_config_static_selectorELNS0_4arch9wavefront6targetE1EEEvSK_,comdat
.Lfunc_end1538:
	.size	_ZN7rocprim17ROCPRIM_400000_NS6detail17trampoline_kernelINS0_14default_configENS1_36segmented_radix_sort_config_selectorIblEEZNS1_25segmented_radix_sort_implIS3_Lb1EPKbPbPKlPlN2at6native12_GLOBAL__N_18offset_tEEE10hipError_tPvRmT1_PNSt15iterator_traitsISK_E10value_typeET2_T3_PNSL_ISQ_E10value_typeET4_jRbjT5_SW_jjP12ihipStream_tbEUlT_E_NS1_11comp_targetILNS1_3genE10ELNS1_11target_archE1201ELNS1_3gpuE5ELNS1_3repE0EEENS1_30default_config_static_selectorELNS0_4arch9wavefront6targetE1EEEvSK_, .Lfunc_end1538-_ZN7rocprim17ROCPRIM_400000_NS6detail17trampoline_kernelINS0_14default_configENS1_36segmented_radix_sort_config_selectorIblEEZNS1_25segmented_radix_sort_implIS3_Lb1EPKbPbPKlPlN2at6native12_GLOBAL__N_18offset_tEEE10hipError_tPvRmT1_PNSt15iterator_traitsISK_E10value_typeET2_T3_PNSL_ISQ_E10value_typeET4_jRbjT5_SW_jjP12ihipStream_tbEUlT_E_NS1_11comp_targetILNS1_3genE10ELNS1_11target_archE1201ELNS1_3gpuE5ELNS1_3repE0EEENS1_30default_config_static_selectorELNS0_4arch9wavefront6targetE1EEEvSK_
                                        ; -- End function
	.set _ZN7rocprim17ROCPRIM_400000_NS6detail17trampoline_kernelINS0_14default_configENS1_36segmented_radix_sort_config_selectorIblEEZNS1_25segmented_radix_sort_implIS3_Lb1EPKbPbPKlPlN2at6native12_GLOBAL__N_18offset_tEEE10hipError_tPvRmT1_PNSt15iterator_traitsISK_E10value_typeET2_T3_PNSL_ISQ_E10value_typeET4_jRbjT5_SW_jjP12ihipStream_tbEUlT_E_NS1_11comp_targetILNS1_3genE10ELNS1_11target_archE1201ELNS1_3gpuE5ELNS1_3repE0EEENS1_30default_config_static_selectorELNS0_4arch9wavefront6targetE1EEEvSK_.num_vgpr, 0
	.set _ZN7rocprim17ROCPRIM_400000_NS6detail17trampoline_kernelINS0_14default_configENS1_36segmented_radix_sort_config_selectorIblEEZNS1_25segmented_radix_sort_implIS3_Lb1EPKbPbPKlPlN2at6native12_GLOBAL__N_18offset_tEEE10hipError_tPvRmT1_PNSt15iterator_traitsISK_E10value_typeET2_T3_PNSL_ISQ_E10value_typeET4_jRbjT5_SW_jjP12ihipStream_tbEUlT_E_NS1_11comp_targetILNS1_3genE10ELNS1_11target_archE1201ELNS1_3gpuE5ELNS1_3repE0EEENS1_30default_config_static_selectorELNS0_4arch9wavefront6targetE1EEEvSK_.num_agpr, 0
	.set _ZN7rocprim17ROCPRIM_400000_NS6detail17trampoline_kernelINS0_14default_configENS1_36segmented_radix_sort_config_selectorIblEEZNS1_25segmented_radix_sort_implIS3_Lb1EPKbPbPKlPlN2at6native12_GLOBAL__N_18offset_tEEE10hipError_tPvRmT1_PNSt15iterator_traitsISK_E10value_typeET2_T3_PNSL_ISQ_E10value_typeET4_jRbjT5_SW_jjP12ihipStream_tbEUlT_E_NS1_11comp_targetILNS1_3genE10ELNS1_11target_archE1201ELNS1_3gpuE5ELNS1_3repE0EEENS1_30default_config_static_selectorELNS0_4arch9wavefront6targetE1EEEvSK_.numbered_sgpr, 0
	.set _ZN7rocprim17ROCPRIM_400000_NS6detail17trampoline_kernelINS0_14default_configENS1_36segmented_radix_sort_config_selectorIblEEZNS1_25segmented_radix_sort_implIS3_Lb1EPKbPbPKlPlN2at6native12_GLOBAL__N_18offset_tEEE10hipError_tPvRmT1_PNSt15iterator_traitsISK_E10value_typeET2_T3_PNSL_ISQ_E10value_typeET4_jRbjT5_SW_jjP12ihipStream_tbEUlT_E_NS1_11comp_targetILNS1_3genE10ELNS1_11target_archE1201ELNS1_3gpuE5ELNS1_3repE0EEENS1_30default_config_static_selectorELNS0_4arch9wavefront6targetE1EEEvSK_.num_named_barrier, 0
	.set _ZN7rocprim17ROCPRIM_400000_NS6detail17trampoline_kernelINS0_14default_configENS1_36segmented_radix_sort_config_selectorIblEEZNS1_25segmented_radix_sort_implIS3_Lb1EPKbPbPKlPlN2at6native12_GLOBAL__N_18offset_tEEE10hipError_tPvRmT1_PNSt15iterator_traitsISK_E10value_typeET2_T3_PNSL_ISQ_E10value_typeET4_jRbjT5_SW_jjP12ihipStream_tbEUlT_E_NS1_11comp_targetILNS1_3genE10ELNS1_11target_archE1201ELNS1_3gpuE5ELNS1_3repE0EEENS1_30default_config_static_selectorELNS0_4arch9wavefront6targetE1EEEvSK_.private_seg_size, 0
	.set _ZN7rocprim17ROCPRIM_400000_NS6detail17trampoline_kernelINS0_14default_configENS1_36segmented_radix_sort_config_selectorIblEEZNS1_25segmented_radix_sort_implIS3_Lb1EPKbPbPKlPlN2at6native12_GLOBAL__N_18offset_tEEE10hipError_tPvRmT1_PNSt15iterator_traitsISK_E10value_typeET2_T3_PNSL_ISQ_E10value_typeET4_jRbjT5_SW_jjP12ihipStream_tbEUlT_E_NS1_11comp_targetILNS1_3genE10ELNS1_11target_archE1201ELNS1_3gpuE5ELNS1_3repE0EEENS1_30default_config_static_selectorELNS0_4arch9wavefront6targetE1EEEvSK_.uses_vcc, 0
	.set _ZN7rocprim17ROCPRIM_400000_NS6detail17trampoline_kernelINS0_14default_configENS1_36segmented_radix_sort_config_selectorIblEEZNS1_25segmented_radix_sort_implIS3_Lb1EPKbPbPKlPlN2at6native12_GLOBAL__N_18offset_tEEE10hipError_tPvRmT1_PNSt15iterator_traitsISK_E10value_typeET2_T3_PNSL_ISQ_E10value_typeET4_jRbjT5_SW_jjP12ihipStream_tbEUlT_E_NS1_11comp_targetILNS1_3genE10ELNS1_11target_archE1201ELNS1_3gpuE5ELNS1_3repE0EEENS1_30default_config_static_selectorELNS0_4arch9wavefront6targetE1EEEvSK_.uses_flat_scratch, 0
	.set _ZN7rocprim17ROCPRIM_400000_NS6detail17trampoline_kernelINS0_14default_configENS1_36segmented_radix_sort_config_selectorIblEEZNS1_25segmented_radix_sort_implIS3_Lb1EPKbPbPKlPlN2at6native12_GLOBAL__N_18offset_tEEE10hipError_tPvRmT1_PNSt15iterator_traitsISK_E10value_typeET2_T3_PNSL_ISQ_E10value_typeET4_jRbjT5_SW_jjP12ihipStream_tbEUlT_E_NS1_11comp_targetILNS1_3genE10ELNS1_11target_archE1201ELNS1_3gpuE5ELNS1_3repE0EEENS1_30default_config_static_selectorELNS0_4arch9wavefront6targetE1EEEvSK_.has_dyn_sized_stack, 0
	.set _ZN7rocprim17ROCPRIM_400000_NS6detail17trampoline_kernelINS0_14default_configENS1_36segmented_radix_sort_config_selectorIblEEZNS1_25segmented_radix_sort_implIS3_Lb1EPKbPbPKlPlN2at6native12_GLOBAL__N_18offset_tEEE10hipError_tPvRmT1_PNSt15iterator_traitsISK_E10value_typeET2_T3_PNSL_ISQ_E10value_typeET4_jRbjT5_SW_jjP12ihipStream_tbEUlT_E_NS1_11comp_targetILNS1_3genE10ELNS1_11target_archE1201ELNS1_3gpuE5ELNS1_3repE0EEENS1_30default_config_static_selectorELNS0_4arch9wavefront6targetE1EEEvSK_.has_recursion, 0
	.set _ZN7rocprim17ROCPRIM_400000_NS6detail17trampoline_kernelINS0_14default_configENS1_36segmented_radix_sort_config_selectorIblEEZNS1_25segmented_radix_sort_implIS3_Lb1EPKbPbPKlPlN2at6native12_GLOBAL__N_18offset_tEEE10hipError_tPvRmT1_PNSt15iterator_traitsISK_E10value_typeET2_T3_PNSL_ISQ_E10value_typeET4_jRbjT5_SW_jjP12ihipStream_tbEUlT_E_NS1_11comp_targetILNS1_3genE10ELNS1_11target_archE1201ELNS1_3gpuE5ELNS1_3repE0EEENS1_30default_config_static_selectorELNS0_4arch9wavefront6targetE1EEEvSK_.has_indirect_call, 0
	.section	.AMDGPU.csdata,"",@progbits
; Kernel info:
; codeLenInByte = 0
; TotalNumSgprs: 4
; NumVgprs: 0
; ScratchSize: 0
; MemoryBound: 0
; FloatMode: 240
; IeeeMode: 1
; LDSByteSize: 0 bytes/workgroup (compile time only)
; SGPRBlocks: 0
; VGPRBlocks: 0
; NumSGPRsForWavesPerEU: 4
; NumVGPRsForWavesPerEU: 1
; Occupancy: 10
; WaveLimiterHint : 0
; COMPUTE_PGM_RSRC2:SCRATCH_EN: 0
; COMPUTE_PGM_RSRC2:USER_SGPR: 6
; COMPUTE_PGM_RSRC2:TRAP_HANDLER: 0
; COMPUTE_PGM_RSRC2:TGID_X_EN: 1
; COMPUTE_PGM_RSRC2:TGID_Y_EN: 0
; COMPUTE_PGM_RSRC2:TGID_Z_EN: 0
; COMPUTE_PGM_RSRC2:TIDIG_COMP_CNT: 0
	.section	.text._ZN7rocprim17ROCPRIM_400000_NS6detail17trampoline_kernelINS0_14default_configENS1_36segmented_radix_sort_config_selectorIblEEZNS1_25segmented_radix_sort_implIS3_Lb1EPKbPbPKlPlN2at6native12_GLOBAL__N_18offset_tEEE10hipError_tPvRmT1_PNSt15iterator_traitsISK_E10value_typeET2_T3_PNSL_ISQ_E10value_typeET4_jRbjT5_SW_jjP12ihipStream_tbEUlT_E_NS1_11comp_targetILNS1_3genE10ELNS1_11target_archE1200ELNS1_3gpuE4ELNS1_3repE0EEENS1_30default_config_static_selectorELNS0_4arch9wavefront6targetE1EEEvSK_,"axG",@progbits,_ZN7rocprim17ROCPRIM_400000_NS6detail17trampoline_kernelINS0_14default_configENS1_36segmented_radix_sort_config_selectorIblEEZNS1_25segmented_radix_sort_implIS3_Lb1EPKbPbPKlPlN2at6native12_GLOBAL__N_18offset_tEEE10hipError_tPvRmT1_PNSt15iterator_traitsISK_E10value_typeET2_T3_PNSL_ISQ_E10value_typeET4_jRbjT5_SW_jjP12ihipStream_tbEUlT_E_NS1_11comp_targetILNS1_3genE10ELNS1_11target_archE1200ELNS1_3gpuE4ELNS1_3repE0EEENS1_30default_config_static_selectorELNS0_4arch9wavefront6targetE1EEEvSK_,comdat
	.globl	_ZN7rocprim17ROCPRIM_400000_NS6detail17trampoline_kernelINS0_14default_configENS1_36segmented_radix_sort_config_selectorIblEEZNS1_25segmented_radix_sort_implIS3_Lb1EPKbPbPKlPlN2at6native12_GLOBAL__N_18offset_tEEE10hipError_tPvRmT1_PNSt15iterator_traitsISK_E10value_typeET2_T3_PNSL_ISQ_E10value_typeET4_jRbjT5_SW_jjP12ihipStream_tbEUlT_E_NS1_11comp_targetILNS1_3genE10ELNS1_11target_archE1200ELNS1_3gpuE4ELNS1_3repE0EEENS1_30default_config_static_selectorELNS0_4arch9wavefront6targetE1EEEvSK_ ; -- Begin function _ZN7rocprim17ROCPRIM_400000_NS6detail17trampoline_kernelINS0_14default_configENS1_36segmented_radix_sort_config_selectorIblEEZNS1_25segmented_radix_sort_implIS3_Lb1EPKbPbPKlPlN2at6native12_GLOBAL__N_18offset_tEEE10hipError_tPvRmT1_PNSt15iterator_traitsISK_E10value_typeET2_T3_PNSL_ISQ_E10value_typeET4_jRbjT5_SW_jjP12ihipStream_tbEUlT_E_NS1_11comp_targetILNS1_3genE10ELNS1_11target_archE1200ELNS1_3gpuE4ELNS1_3repE0EEENS1_30default_config_static_selectorELNS0_4arch9wavefront6targetE1EEEvSK_
	.p2align	8
	.type	_ZN7rocprim17ROCPRIM_400000_NS6detail17trampoline_kernelINS0_14default_configENS1_36segmented_radix_sort_config_selectorIblEEZNS1_25segmented_radix_sort_implIS3_Lb1EPKbPbPKlPlN2at6native12_GLOBAL__N_18offset_tEEE10hipError_tPvRmT1_PNSt15iterator_traitsISK_E10value_typeET2_T3_PNSL_ISQ_E10value_typeET4_jRbjT5_SW_jjP12ihipStream_tbEUlT_E_NS1_11comp_targetILNS1_3genE10ELNS1_11target_archE1200ELNS1_3gpuE4ELNS1_3repE0EEENS1_30default_config_static_selectorELNS0_4arch9wavefront6targetE1EEEvSK_,@function
_ZN7rocprim17ROCPRIM_400000_NS6detail17trampoline_kernelINS0_14default_configENS1_36segmented_radix_sort_config_selectorIblEEZNS1_25segmented_radix_sort_implIS3_Lb1EPKbPbPKlPlN2at6native12_GLOBAL__N_18offset_tEEE10hipError_tPvRmT1_PNSt15iterator_traitsISK_E10value_typeET2_T3_PNSL_ISQ_E10value_typeET4_jRbjT5_SW_jjP12ihipStream_tbEUlT_E_NS1_11comp_targetILNS1_3genE10ELNS1_11target_archE1200ELNS1_3gpuE4ELNS1_3repE0EEENS1_30default_config_static_selectorELNS0_4arch9wavefront6targetE1EEEvSK_: ; @_ZN7rocprim17ROCPRIM_400000_NS6detail17trampoline_kernelINS0_14default_configENS1_36segmented_radix_sort_config_selectorIblEEZNS1_25segmented_radix_sort_implIS3_Lb1EPKbPbPKlPlN2at6native12_GLOBAL__N_18offset_tEEE10hipError_tPvRmT1_PNSt15iterator_traitsISK_E10value_typeET2_T3_PNSL_ISQ_E10value_typeET4_jRbjT5_SW_jjP12ihipStream_tbEUlT_E_NS1_11comp_targetILNS1_3genE10ELNS1_11target_archE1200ELNS1_3gpuE4ELNS1_3repE0EEENS1_30default_config_static_selectorELNS0_4arch9wavefront6targetE1EEEvSK_
; %bb.0:
	.section	.rodata,"a",@progbits
	.p2align	6, 0x0
	.amdhsa_kernel _ZN7rocprim17ROCPRIM_400000_NS6detail17trampoline_kernelINS0_14default_configENS1_36segmented_radix_sort_config_selectorIblEEZNS1_25segmented_radix_sort_implIS3_Lb1EPKbPbPKlPlN2at6native12_GLOBAL__N_18offset_tEEE10hipError_tPvRmT1_PNSt15iterator_traitsISK_E10value_typeET2_T3_PNSL_ISQ_E10value_typeET4_jRbjT5_SW_jjP12ihipStream_tbEUlT_E_NS1_11comp_targetILNS1_3genE10ELNS1_11target_archE1200ELNS1_3gpuE4ELNS1_3repE0EEENS1_30default_config_static_selectorELNS0_4arch9wavefront6targetE1EEEvSK_
		.amdhsa_group_segment_fixed_size 0
		.amdhsa_private_segment_fixed_size 0
		.amdhsa_kernarg_size 96
		.amdhsa_user_sgpr_count 6
		.amdhsa_user_sgpr_private_segment_buffer 1
		.amdhsa_user_sgpr_dispatch_ptr 0
		.amdhsa_user_sgpr_queue_ptr 0
		.amdhsa_user_sgpr_kernarg_segment_ptr 1
		.amdhsa_user_sgpr_dispatch_id 0
		.amdhsa_user_sgpr_flat_scratch_init 0
		.amdhsa_user_sgpr_private_segment_size 0
		.amdhsa_uses_dynamic_stack 0
		.amdhsa_system_sgpr_private_segment_wavefront_offset 0
		.amdhsa_system_sgpr_workgroup_id_x 1
		.amdhsa_system_sgpr_workgroup_id_y 0
		.amdhsa_system_sgpr_workgroup_id_z 0
		.amdhsa_system_sgpr_workgroup_info 0
		.amdhsa_system_vgpr_workitem_id 0
		.amdhsa_next_free_vgpr 1
		.amdhsa_next_free_sgpr 0
		.amdhsa_reserve_vcc 0
		.amdhsa_reserve_flat_scratch 0
		.amdhsa_float_round_mode_32 0
		.amdhsa_float_round_mode_16_64 0
		.amdhsa_float_denorm_mode_32 3
		.amdhsa_float_denorm_mode_16_64 3
		.amdhsa_dx10_clamp 1
		.amdhsa_ieee_mode 1
		.amdhsa_fp16_overflow 0
		.amdhsa_exception_fp_ieee_invalid_op 0
		.amdhsa_exception_fp_denorm_src 0
		.amdhsa_exception_fp_ieee_div_zero 0
		.amdhsa_exception_fp_ieee_overflow 0
		.amdhsa_exception_fp_ieee_underflow 0
		.amdhsa_exception_fp_ieee_inexact 0
		.amdhsa_exception_int_div_zero 0
	.end_amdhsa_kernel
	.section	.text._ZN7rocprim17ROCPRIM_400000_NS6detail17trampoline_kernelINS0_14default_configENS1_36segmented_radix_sort_config_selectorIblEEZNS1_25segmented_radix_sort_implIS3_Lb1EPKbPbPKlPlN2at6native12_GLOBAL__N_18offset_tEEE10hipError_tPvRmT1_PNSt15iterator_traitsISK_E10value_typeET2_T3_PNSL_ISQ_E10value_typeET4_jRbjT5_SW_jjP12ihipStream_tbEUlT_E_NS1_11comp_targetILNS1_3genE10ELNS1_11target_archE1200ELNS1_3gpuE4ELNS1_3repE0EEENS1_30default_config_static_selectorELNS0_4arch9wavefront6targetE1EEEvSK_,"axG",@progbits,_ZN7rocprim17ROCPRIM_400000_NS6detail17trampoline_kernelINS0_14default_configENS1_36segmented_radix_sort_config_selectorIblEEZNS1_25segmented_radix_sort_implIS3_Lb1EPKbPbPKlPlN2at6native12_GLOBAL__N_18offset_tEEE10hipError_tPvRmT1_PNSt15iterator_traitsISK_E10value_typeET2_T3_PNSL_ISQ_E10value_typeET4_jRbjT5_SW_jjP12ihipStream_tbEUlT_E_NS1_11comp_targetILNS1_3genE10ELNS1_11target_archE1200ELNS1_3gpuE4ELNS1_3repE0EEENS1_30default_config_static_selectorELNS0_4arch9wavefront6targetE1EEEvSK_,comdat
.Lfunc_end1539:
	.size	_ZN7rocprim17ROCPRIM_400000_NS6detail17trampoline_kernelINS0_14default_configENS1_36segmented_radix_sort_config_selectorIblEEZNS1_25segmented_radix_sort_implIS3_Lb1EPKbPbPKlPlN2at6native12_GLOBAL__N_18offset_tEEE10hipError_tPvRmT1_PNSt15iterator_traitsISK_E10value_typeET2_T3_PNSL_ISQ_E10value_typeET4_jRbjT5_SW_jjP12ihipStream_tbEUlT_E_NS1_11comp_targetILNS1_3genE10ELNS1_11target_archE1200ELNS1_3gpuE4ELNS1_3repE0EEENS1_30default_config_static_selectorELNS0_4arch9wavefront6targetE1EEEvSK_, .Lfunc_end1539-_ZN7rocprim17ROCPRIM_400000_NS6detail17trampoline_kernelINS0_14default_configENS1_36segmented_radix_sort_config_selectorIblEEZNS1_25segmented_radix_sort_implIS3_Lb1EPKbPbPKlPlN2at6native12_GLOBAL__N_18offset_tEEE10hipError_tPvRmT1_PNSt15iterator_traitsISK_E10value_typeET2_T3_PNSL_ISQ_E10value_typeET4_jRbjT5_SW_jjP12ihipStream_tbEUlT_E_NS1_11comp_targetILNS1_3genE10ELNS1_11target_archE1200ELNS1_3gpuE4ELNS1_3repE0EEENS1_30default_config_static_selectorELNS0_4arch9wavefront6targetE1EEEvSK_
                                        ; -- End function
	.set _ZN7rocprim17ROCPRIM_400000_NS6detail17trampoline_kernelINS0_14default_configENS1_36segmented_radix_sort_config_selectorIblEEZNS1_25segmented_radix_sort_implIS3_Lb1EPKbPbPKlPlN2at6native12_GLOBAL__N_18offset_tEEE10hipError_tPvRmT1_PNSt15iterator_traitsISK_E10value_typeET2_T3_PNSL_ISQ_E10value_typeET4_jRbjT5_SW_jjP12ihipStream_tbEUlT_E_NS1_11comp_targetILNS1_3genE10ELNS1_11target_archE1200ELNS1_3gpuE4ELNS1_3repE0EEENS1_30default_config_static_selectorELNS0_4arch9wavefront6targetE1EEEvSK_.num_vgpr, 0
	.set _ZN7rocprim17ROCPRIM_400000_NS6detail17trampoline_kernelINS0_14default_configENS1_36segmented_radix_sort_config_selectorIblEEZNS1_25segmented_radix_sort_implIS3_Lb1EPKbPbPKlPlN2at6native12_GLOBAL__N_18offset_tEEE10hipError_tPvRmT1_PNSt15iterator_traitsISK_E10value_typeET2_T3_PNSL_ISQ_E10value_typeET4_jRbjT5_SW_jjP12ihipStream_tbEUlT_E_NS1_11comp_targetILNS1_3genE10ELNS1_11target_archE1200ELNS1_3gpuE4ELNS1_3repE0EEENS1_30default_config_static_selectorELNS0_4arch9wavefront6targetE1EEEvSK_.num_agpr, 0
	.set _ZN7rocprim17ROCPRIM_400000_NS6detail17trampoline_kernelINS0_14default_configENS1_36segmented_radix_sort_config_selectorIblEEZNS1_25segmented_radix_sort_implIS3_Lb1EPKbPbPKlPlN2at6native12_GLOBAL__N_18offset_tEEE10hipError_tPvRmT1_PNSt15iterator_traitsISK_E10value_typeET2_T3_PNSL_ISQ_E10value_typeET4_jRbjT5_SW_jjP12ihipStream_tbEUlT_E_NS1_11comp_targetILNS1_3genE10ELNS1_11target_archE1200ELNS1_3gpuE4ELNS1_3repE0EEENS1_30default_config_static_selectorELNS0_4arch9wavefront6targetE1EEEvSK_.numbered_sgpr, 0
	.set _ZN7rocprim17ROCPRIM_400000_NS6detail17trampoline_kernelINS0_14default_configENS1_36segmented_radix_sort_config_selectorIblEEZNS1_25segmented_radix_sort_implIS3_Lb1EPKbPbPKlPlN2at6native12_GLOBAL__N_18offset_tEEE10hipError_tPvRmT1_PNSt15iterator_traitsISK_E10value_typeET2_T3_PNSL_ISQ_E10value_typeET4_jRbjT5_SW_jjP12ihipStream_tbEUlT_E_NS1_11comp_targetILNS1_3genE10ELNS1_11target_archE1200ELNS1_3gpuE4ELNS1_3repE0EEENS1_30default_config_static_selectorELNS0_4arch9wavefront6targetE1EEEvSK_.num_named_barrier, 0
	.set _ZN7rocprim17ROCPRIM_400000_NS6detail17trampoline_kernelINS0_14default_configENS1_36segmented_radix_sort_config_selectorIblEEZNS1_25segmented_radix_sort_implIS3_Lb1EPKbPbPKlPlN2at6native12_GLOBAL__N_18offset_tEEE10hipError_tPvRmT1_PNSt15iterator_traitsISK_E10value_typeET2_T3_PNSL_ISQ_E10value_typeET4_jRbjT5_SW_jjP12ihipStream_tbEUlT_E_NS1_11comp_targetILNS1_3genE10ELNS1_11target_archE1200ELNS1_3gpuE4ELNS1_3repE0EEENS1_30default_config_static_selectorELNS0_4arch9wavefront6targetE1EEEvSK_.private_seg_size, 0
	.set _ZN7rocprim17ROCPRIM_400000_NS6detail17trampoline_kernelINS0_14default_configENS1_36segmented_radix_sort_config_selectorIblEEZNS1_25segmented_radix_sort_implIS3_Lb1EPKbPbPKlPlN2at6native12_GLOBAL__N_18offset_tEEE10hipError_tPvRmT1_PNSt15iterator_traitsISK_E10value_typeET2_T3_PNSL_ISQ_E10value_typeET4_jRbjT5_SW_jjP12ihipStream_tbEUlT_E_NS1_11comp_targetILNS1_3genE10ELNS1_11target_archE1200ELNS1_3gpuE4ELNS1_3repE0EEENS1_30default_config_static_selectorELNS0_4arch9wavefront6targetE1EEEvSK_.uses_vcc, 0
	.set _ZN7rocprim17ROCPRIM_400000_NS6detail17trampoline_kernelINS0_14default_configENS1_36segmented_radix_sort_config_selectorIblEEZNS1_25segmented_radix_sort_implIS3_Lb1EPKbPbPKlPlN2at6native12_GLOBAL__N_18offset_tEEE10hipError_tPvRmT1_PNSt15iterator_traitsISK_E10value_typeET2_T3_PNSL_ISQ_E10value_typeET4_jRbjT5_SW_jjP12ihipStream_tbEUlT_E_NS1_11comp_targetILNS1_3genE10ELNS1_11target_archE1200ELNS1_3gpuE4ELNS1_3repE0EEENS1_30default_config_static_selectorELNS0_4arch9wavefront6targetE1EEEvSK_.uses_flat_scratch, 0
	.set _ZN7rocprim17ROCPRIM_400000_NS6detail17trampoline_kernelINS0_14default_configENS1_36segmented_radix_sort_config_selectorIblEEZNS1_25segmented_radix_sort_implIS3_Lb1EPKbPbPKlPlN2at6native12_GLOBAL__N_18offset_tEEE10hipError_tPvRmT1_PNSt15iterator_traitsISK_E10value_typeET2_T3_PNSL_ISQ_E10value_typeET4_jRbjT5_SW_jjP12ihipStream_tbEUlT_E_NS1_11comp_targetILNS1_3genE10ELNS1_11target_archE1200ELNS1_3gpuE4ELNS1_3repE0EEENS1_30default_config_static_selectorELNS0_4arch9wavefront6targetE1EEEvSK_.has_dyn_sized_stack, 0
	.set _ZN7rocprim17ROCPRIM_400000_NS6detail17trampoline_kernelINS0_14default_configENS1_36segmented_radix_sort_config_selectorIblEEZNS1_25segmented_radix_sort_implIS3_Lb1EPKbPbPKlPlN2at6native12_GLOBAL__N_18offset_tEEE10hipError_tPvRmT1_PNSt15iterator_traitsISK_E10value_typeET2_T3_PNSL_ISQ_E10value_typeET4_jRbjT5_SW_jjP12ihipStream_tbEUlT_E_NS1_11comp_targetILNS1_3genE10ELNS1_11target_archE1200ELNS1_3gpuE4ELNS1_3repE0EEENS1_30default_config_static_selectorELNS0_4arch9wavefront6targetE1EEEvSK_.has_recursion, 0
	.set _ZN7rocprim17ROCPRIM_400000_NS6detail17trampoline_kernelINS0_14default_configENS1_36segmented_radix_sort_config_selectorIblEEZNS1_25segmented_radix_sort_implIS3_Lb1EPKbPbPKlPlN2at6native12_GLOBAL__N_18offset_tEEE10hipError_tPvRmT1_PNSt15iterator_traitsISK_E10value_typeET2_T3_PNSL_ISQ_E10value_typeET4_jRbjT5_SW_jjP12ihipStream_tbEUlT_E_NS1_11comp_targetILNS1_3genE10ELNS1_11target_archE1200ELNS1_3gpuE4ELNS1_3repE0EEENS1_30default_config_static_selectorELNS0_4arch9wavefront6targetE1EEEvSK_.has_indirect_call, 0
	.section	.AMDGPU.csdata,"",@progbits
; Kernel info:
; codeLenInByte = 0
; TotalNumSgprs: 4
; NumVgprs: 0
; ScratchSize: 0
; MemoryBound: 0
; FloatMode: 240
; IeeeMode: 1
; LDSByteSize: 0 bytes/workgroup (compile time only)
; SGPRBlocks: 0
; VGPRBlocks: 0
; NumSGPRsForWavesPerEU: 4
; NumVGPRsForWavesPerEU: 1
; Occupancy: 10
; WaveLimiterHint : 0
; COMPUTE_PGM_RSRC2:SCRATCH_EN: 0
; COMPUTE_PGM_RSRC2:USER_SGPR: 6
; COMPUTE_PGM_RSRC2:TRAP_HANDLER: 0
; COMPUTE_PGM_RSRC2:TGID_X_EN: 1
; COMPUTE_PGM_RSRC2:TGID_Y_EN: 0
; COMPUTE_PGM_RSRC2:TGID_Z_EN: 0
; COMPUTE_PGM_RSRC2:TIDIG_COMP_CNT: 0
	.section	.text._ZN7rocprim17ROCPRIM_400000_NS6detail17trampoline_kernelINS0_14default_configENS1_36segmented_radix_sort_config_selectorIblEEZNS1_25segmented_radix_sort_implIS3_Lb1EPKbPbPKlPlN2at6native12_GLOBAL__N_18offset_tEEE10hipError_tPvRmT1_PNSt15iterator_traitsISK_E10value_typeET2_T3_PNSL_ISQ_E10value_typeET4_jRbjT5_SW_jjP12ihipStream_tbEUlT_E_NS1_11comp_targetILNS1_3genE9ELNS1_11target_archE1100ELNS1_3gpuE3ELNS1_3repE0EEENS1_30default_config_static_selectorELNS0_4arch9wavefront6targetE1EEEvSK_,"axG",@progbits,_ZN7rocprim17ROCPRIM_400000_NS6detail17trampoline_kernelINS0_14default_configENS1_36segmented_radix_sort_config_selectorIblEEZNS1_25segmented_radix_sort_implIS3_Lb1EPKbPbPKlPlN2at6native12_GLOBAL__N_18offset_tEEE10hipError_tPvRmT1_PNSt15iterator_traitsISK_E10value_typeET2_T3_PNSL_ISQ_E10value_typeET4_jRbjT5_SW_jjP12ihipStream_tbEUlT_E_NS1_11comp_targetILNS1_3genE9ELNS1_11target_archE1100ELNS1_3gpuE3ELNS1_3repE0EEENS1_30default_config_static_selectorELNS0_4arch9wavefront6targetE1EEEvSK_,comdat
	.globl	_ZN7rocprim17ROCPRIM_400000_NS6detail17trampoline_kernelINS0_14default_configENS1_36segmented_radix_sort_config_selectorIblEEZNS1_25segmented_radix_sort_implIS3_Lb1EPKbPbPKlPlN2at6native12_GLOBAL__N_18offset_tEEE10hipError_tPvRmT1_PNSt15iterator_traitsISK_E10value_typeET2_T3_PNSL_ISQ_E10value_typeET4_jRbjT5_SW_jjP12ihipStream_tbEUlT_E_NS1_11comp_targetILNS1_3genE9ELNS1_11target_archE1100ELNS1_3gpuE3ELNS1_3repE0EEENS1_30default_config_static_selectorELNS0_4arch9wavefront6targetE1EEEvSK_ ; -- Begin function _ZN7rocprim17ROCPRIM_400000_NS6detail17trampoline_kernelINS0_14default_configENS1_36segmented_radix_sort_config_selectorIblEEZNS1_25segmented_radix_sort_implIS3_Lb1EPKbPbPKlPlN2at6native12_GLOBAL__N_18offset_tEEE10hipError_tPvRmT1_PNSt15iterator_traitsISK_E10value_typeET2_T3_PNSL_ISQ_E10value_typeET4_jRbjT5_SW_jjP12ihipStream_tbEUlT_E_NS1_11comp_targetILNS1_3genE9ELNS1_11target_archE1100ELNS1_3gpuE3ELNS1_3repE0EEENS1_30default_config_static_selectorELNS0_4arch9wavefront6targetE1EEEvSK_
	.p2align	8
	.type	_ZN7rocprim17ROCPRIM_400000_NS6detail17trampoline_kernelINS0_14default_configENS1_36segmented_radix_sort_config_selectorIblEEZNS1_25segmented_radix_sort_implIS3_Lb1EPKbPbPKlPlN2at6native12_GLOBAL__N_18offset_tEEE10hipError_tPvRmT1_PNSt15iterator_traitsISK_E10value_typeET2_T3_PNSL_ISQ_E10value_typeET4_jRbjT5_SW_jjP12ihipStream_tbEUlT_E_NS1_11comp_targetILNS1_3genE9ELNS1_11target_archE1100ELNS1_3gpuE3ELNS1_3repE0EEENS1_30default_config_static_selectorELNS0_4arch9wavefront6targetE1EEEvSK_,@function
_ZN7rocprim17ROCPRIM_400000_NS6detail17trampoline_kernelINS0_14default_configENS1_36segmented_radix_sort_config_selectorIblEEZNS1_25segmented_radix_sort_implIS3_Lb1EPKbPbPKlPlN2at6native12_GLOBAL__N_18offset_tEEE10hipError_tPvRmT1_PNSt15iterator_traitsISK_E10value_typeET2_T3_PNSL_ISQ_E10value_typeET4_jRbjT5_SW_jjP12ihipStream_tbEUlT_E_NS1_11comp_targetILNS1_3genE9ELNS1_11target_archE1100ELNS1_3gpuE3ELNS1_3repE0EEENS1_30default_config_static_selectorELNS0_4arch9wavefront6targetE1EEEvSK_: ; @_ZN7rocprim17ROCPRIM_400000_NS6detail17trampoline_kernelINS0_14default_configENS1_36segmented_radix_sort_config_selectorIblEEZNS1_25segmented_radix_sort_implIS3_Lb1EPKbPbPKlPlN2at6native12_GLOBAL__N_18offset_tEEE10hipError_tPvRmT1_PNSt15iterator_traitsISK_E10value_typeET2_T3_PNSL_ISQ_E10value_typeET4_jRbjT5_SW_jjP12ihipStream_tbEUlT_E_NS1_11comp_targetILNS1_3genE9ELNS1_11target_archE1100ELNS1_3gpuE3ELNS1_3repE0EEENS1_30default_config_static_selectorELNS0_4arch9wavefront6targetE1EEEvSK_
; %bb.0:
	.section	.rodata,"a",@progbits
	.p2align	6, 0x0
	.amdhsa_kernel _ZN7rocprim17ROCPRIM_400000_NS6detail17trampoline_kernelINS0_14default_configENS1_36segmented_radix_sort_config_selectorIblEEZNS1_25segmented_radix_sort_implIS3_Lb1EPKbPbPKlPlN2at6native12_GLOBAL__N_18offset_tEEE10hipError_tPvRmT1_PNSt15iterator_traitsISK_E10value_typeET2_T3_PNSL_ISQ_E10value_typeET4_jRbjT5_SW_jjP12ihipStream_tbEUlT_E_NS1_11comp_targetILNS1_3genE9ELNS1_11target_archE1100ELNS1_3gpuE3ELNS1_3repE0EEENS1_30default_config_static_selectorELNS0_4arch9wavefront6targetE1EEEvSK_
		.amdhsa_group_segment_fixed_size 0
		.amdhsa_private_segment_fixed_size 0
		.amdhsa_kernarg_size 96
		.amdhsa_user_sgpr_count 6
		.amdhsa_user_sgpr_private_segment_buffer 1
		.amdhsa_user_sgpr_dispatch_ptr 0
		.amdhsa_user_sgpr_queue_ptr 0
		.amdhsa_user_sgpr_kernarg_segment_ptr 1
		.amdhsa_user_sgpr_dispatch_id 0
		.amdhsa_user_sgpr_flat_scratch_init 0
		.amdhsa_user_sgpr_private_segment_size 0
		.amdhsa_uses_dynamic_stack 0
		.amdhsa_system_sgpr_private_segment_wavefront_offset 0
		.amdhsa_system_sgpr_workgroup_id_x 1
		.amdhsa_system_sgpr_workgroup_id_y 0
		.amdhsa_system_sgpr_workgroup_id_z 0
		.amdhsa_system_sgpr_workgroup_info 0
		.amdhsa_system_vgpr_workitem_id 0
		.amdhsa_next_free_vgpr 1
		.amdhsa_next_free_sgpr 0
		.amdhsa_reserve_vcc 0
		.amdhsa_reserve_flat_scratch 0
		.amdhsa_float_round_mode_32 0
		.amdhsa_float_round_mode_16_64 0
		.amdhsa_float_denorm_mode_32 3
		.amdhsa_float_denorm_mode_16_64 3
		.amdhsa_dx10_clamp 1
		.amdhsa_ieee_mode 1
		.amdhsa_fp16_overflow 0
		.amdhsa_exception_fp_ieee_invalid_op 0
		.amdhsa_exception_fp_denorm_src 0
		.amdhsa_exception_fp_ieee_div_zero 0
		.amdhsa_exception_fp_ieee_overflow 0
		.amdhsa_exception_fp_ieee_underflow 0
		.amdhsa_exception_fp_ieee_inexact 0
		.amdhsa_exception_int_div_zero 0
	.end_amdhsa_kernel
	.section	.text._ZN7rocprim17ROCPRIM_400000_NS6detail17trampoline_kernelINS0_14default_configENS1_36segmented_radix_sort_config_selectorIblEEZNS1_25segmented_radix_sort_implIS3_Lb1EPKbPbPKlPlN2at6native12_GLOBAL__N_18offset_tEEE10hipError_tPvRmT1_PNSt15iterator_traitsISK_E10value_typeET2_T3_PNSL_ISQ_E10value_typeET4_jRbjT5_SW_jjP12ihipStream_tbEUlT_E_NS1_11comp_targetILNS1_3genE9ELNS1_11target_archE1100ELNS1_3gpuE3ELNS1_3repE0EEENS1_30default_config_static_selectorELNS0_4arch9wavefront6targetE1EEEvSK_,"axG",@progbits,_ZN7rocprim17ROCPRIM_400000_NS6detail17trampoline_kernelINS0_14default_configENS1_36segmented_radix_sort_config_selectorIblEEZNS1_25segmented_radix_sort_implIS3_Lb1EPKbPbPKlPlN2at6native12_GLOBAL__N_18offset_tEEE10hipError_tPvRmT1_PNSt15iterator_traitsISK_E10value_typeET2_T3_PNSL_ISQ_E10value_typeET4_jRbjT5_SW_jjP12ihipStream_tbEUlT_E_NS1_11comp_targetILNS1_3genE9ELNS1_11target_archE1100ELNS1_3gpuE3ELNS1_3repE0EEENS1_30default_config_static_selectorELNS0_4arch9wavefront6targetE1EEEvSK_,comdat
.Lfunc_end1540:
	.size	_ZN7rocprim17ROCPRIM_400000_NS6detail17trampoline_kernelINS0_14default_configENS1_36segmented_radix_sort_config_selectorIblEEZNS1_25segmented_radix_sort_implIS3_Lb1EPKbPbPKlPlN2at6native12_GLOBAL__N_18offset_tEEE10hipError_tPvRmT1_PNSt15iterator_traitsISK_E10value_typeET2_T3_PNSL_ISQ_E10value_typeET4_jRbjT5_SW_jjP12ihipStream_tbEUlT_E_NS1_11comp_targetILNS1_3genE9ELNS1_11target_archE1100ELNS1_3gpuE3ELNS1_3repE0EEENS1_30default_config_static_selectorELNS0_4arch9wavefront6targetE1EEEvSK_, .Lfunc_end1540-_ZN7rocprim17ROCPRIM_400000_NS6detail17trampoline_kernelINS0_14default_configENS1_36segmented_radix_sort_config_selectorIblEEZNS1_25segmented_radix_sort_implIS3_Lb1EPKbPbPKlPlN2at6native12_GLOBAL__N_18offset_tEEE10hipError_tPvRmT1_PNSt15iterator_traitsISK_E10value_typeET2_T3_PNSL_ISQ_E10value_typeET4_jRbjT5_SW_jjP12ihipStream_tbEUlT_E_NS1_11comp_targetILNS1_3genE9ELNS1_11target_archE1100ELNS1_3gpuE3ELNS1_3repE0EEENS1_30default_config_static_selectorELNS0_4arch9wavefront6targetE1EEEvSK_
                                        ; -- End function
	.set _ZN7rocprim17ROCPRIM_400000_NS6detail17trampoline_kernelINS0_14default_configENS1_36segmented_radix_sort_config_selectorIblEEZNS1_25segmented_radix_sort_implIS3_Lb1EPKbPbPKlPlN2at6native12_GLOBAL__N_18offset_tEEE10hipError_tPvRmT1_PNSt15iterator_traitsISK_E10value_typeET2_T3_PNSL_ISQ_E10value_typeET4_jRbjT5_SW_jjP12ihipStream_tbEUlT_E_NS1_11comp_targetILNS1_3genE9ELNS1_11target_archE1100ELNS1_3gpuE3ELNS1_3repE0EEENS1_30default_config_static_selectorELNS0_4arch9wavefront6targetE1EEEvSK_.num_vgpr, 0
	.set _ZN7rocprim17ROCPRIM_400000_NS6detail17trampoline_kernelINS0_14default_configENS1_36segmented_radix_sort_config_selectorIblEEZNS1_25segmented_radix_sort_implIS3_Lb1EPKbPbPKlPlN2at6native12_GLOBAL__N_18offset_tEEE10hipError_tPvRmT1_PNSt15iterator_traitsISK_E10value_typeET2_T3_PNSL_ISQ_E10value_typeET4_jRbjT5_SW_jjP12ihipStream_tbEUlT_E_NS1_11comp_targetILNS1_3genE9ELNS1_11target_archE1100ELNS1_3gpuE3ELNS1_3repE0EEENS1_30default_config_static_selectorELNS0_4arch9wavefront6targetE1EEEvSK_.num_agpr, 0
	.set _ZN7rocprim17ROCPRIM_400000_NS6detail17trampoline_kernelINS0_14default_configENS1_36segmented_radix_sort_config_selectorIblEEZNS1_25segmented_radix_sort_implIS3_Lb1EPKbPbPKlPlN2at6native12_GLOBAL__N_18offset_tEEE10hipError_tPvRmT1_PNSt15iterator_traitsISK_E10value_typeET2_T3_PNSL_ISQ_E10value_typeET4_jRbjT5_SW_jjP12ihipStream_tbEUlT_E_NS1_11comp_targetILNS1_3genE9ELNS1_11target_archE1100ELNS1_3gpuE3ELNS1_3repE0EEENS1_30default_config_static_selectorELNS0_4arch9wavefront6targetE1EEEvSK_.numbered_sgpr, 0
	.set _ZN7rocprim17ROCPRIM_400000_NS6detail17trampoline_kernelINS0_14default_configENS1_36segmented_radix_sort_config_selectorIblEEZNS1_25segmented_radix_sort_implIS3_Lb1EPKbPbPKlPlN2at6native12_GLOBAL__N_18offset_tEEE10hipError_tPvRmT1_PNSt15iterator_traitsISK_E10value_typeET2_T3_PNSL_ISQ_E10value_typeET4_jRbjT5_SW_jjP12ihipStream_tbEUlT_E_NS1_11comp_targetILNS1_3genE9ELNS1_11target_archE1100ELNS1_3gpuE3ELNS1_3repE0EEENS1_30default_config_static_selectorELNS0_4arch9wavefront6targetE1EEEvSK_.num_named_barrier, 0
	.set _ZN7rocprim17ROCPRIM_400000_NS6detail17trampoline_kernelINS0_14default_configENS1_36segmented_radix_sort_config_selectorIblEEZNS1_25segmented_radix_sort_implIS3_Lb1EPKbPbPKlPlN2at6native12_GLOBAL__N_18offset_tEEE10hipError_tPvRmT1_PNSt15iterator_traitsISK_E10value_typeET2_T3_PNSL_ISQ_E10value_typeET4_jRbjT5_SW_jjP12ihipStream_tbEUlT_E_NS1_11comp_targetILNS1_3genE9ELNS1_11target_archE1100ELNS1_3gpuE3ELNS1_3repE0EEENS1_30default_config_static_selectorELNS0_4arch9wavefront6targetE1EEEvSK_.private_seg_size, 0
	.set _ZN7rocprim17ROCPRIM_400000_NS6detail17trampoline_kernelINS0_14default_configENS1_36segmented_radix_sort_config_selectorIblEEZNS1_25segmented_radix_sort_implIS3_Lb1EPKbPbPKlPlN2at6native12_GLOBAL__N_18offset_tEEE10hipError_tPvRmT1_PNSt15iterator_traitsISK_E10value_typeET2_T3_PNSL_ISQ_E10value_typeET4_jRbjT5_SW_jjP12ihipStream_tbEUlT_E_NS1_11comp_targetILNS1_3genE9ELNS1_11target_archE1100ELNS1_3gpuE3ELNS1_3repE0EEENS1_30default_config_static_selectorELNS0_4arch9wavefront6targetE1EEEvSK_.uses_vcc, 0
	.set _ZN7rocprim17ROCPRIM_400000_NS6detail17trampoline_kernelINS0_14default_configENS1_36segmented_radix_sort_config_selectorIblEEZNS1_25segmented_radix_sort_implIS3_Lb1EPKbPbPKlPlN2at6native12_GLOBAL__N_18offset_tEEE10hipError_tPvRmT1_PNSt15iterator_traitsISK_E10value_typeET2_T3_PNSL_ISQ_E10value_typeET4_jRbjT5_SW_jjP12ihipStream_tbEUlT_E_NS1_11comp_targetILNS1_3genE9ELNS1_11target_archE1100ELNS1_3gpuE3ELNS1_3repE0EEENS1_30default_config_static_selectorELNS0_4arch9wavefront6targetE1EEEvSK_.uses_flat_scratch, 0
	.set _ZN7rocprim17ROCPRIM_400000_NS6detail17trampoline_kernelINS0_14default_configENS1_36segmented_radix_sort_config_selectorIblEEZNS1_25segmented_radix_sort_implIS3_Lb1EPKbPbPKlPlN2at6native12_GLOBAL__N_18offset_tEEE10hipError_tPvRmT1_PNSt15iterator_traitsISK_E10value_typeET2_T3_PNSL_ISQ_E10value_typeET4_jRbjT5_SW_jjP12ihipStream_tbEUlT_E_NS1_11comp_targetILNS1_3genE9ELNS1_11target_archE1100ELNS1_3gpuE3ELNS1_3repE0EEENS1_30default_config_static_selectorELNS0_4arch9wavefront6targetE1EEEvSK_.has_dyn_sized_stack, 0
	.set _ZN7rocprim17ROCPRIM_400000_NS6detail17trampoline_kernelINS0_14default_configENS1_36segmented_radix_sort_config_selectorIblEEZNS1_25segmented_radix_sort_implIS3_Lb1EPKbPbPKlPlN2at6native12_GLOBAL__N_18offset_tEEE10hipError_tPvRmT1_PNSt15iterator_traitsISK_E10value_typeET2_T3_PNSL_ISQ_E10value_typeET4_jRbjT5_SW_jjP12ihipStream_tbEUlT_E_NS1_11comp_targetILNS1_3genE9ELNS1_11target_archE1100ELNS1_3gpuE3ELNS1_3repE0EEENS1_30default_config_static_selectorELNS0_4arch9wavefront6targetE1EEEvSK_.has_recursion, 0
	.set _ZN7rocprim17ROCPRIM_400000_NS6detail17trampoline_kernelINS0_14default_configENS1_36segmented_radix_sort_config_selectorIblEEZNS1_25segmented_radix_sort_implIS3_Lb1EPKbPbPKlPlN2at6native12_GLOBAL__N_18offset_tEEE10hipError_tPvRmT1_PNSt15iterator_traitsISK_E10value_typeET2_T3_PNSL_ISQ_E10value_typeET4_jRbjT5_SW_jjP12ihipStream_tbEUlT_E_NS1_11comp_targetILNS1_3genE9ELNS1_11target_archE1100ELNS1_3gpuE3ELNS1_3repE0EEENS1_30default_config_static_selectorELNS0_4arch9wavefront6targetE1EEEvSK_.has_indirect_call, 0
	.section	.AMDGPU.csdata,"",@progbits
; Kernel info:
; codeLenInByte = 0
; TotalNumSgprs: 4
; NumVgprs: 0
; ScratchSize: 0
; MemoryBound: 0
; FloatMode: 240
; IeeeMode: 1
; LDSByteSize: 0 bytes/workgroup (compile time only)
; SGPRBlocks: 0
; VGPRBlocks: 0
; NumSGPRsForWavesPerEU: 4
; NumVGPRsForWavesPerEU: 1
; Occupancy: 10
; WaveLimiterHint : 0
; COMPUTE_PGM_RSRC2:SCRATCH_EN: 0
; COMPUTE_PGM_RSRC2:USER_SGPR: 6
; COMPUTE_PGM_RSRC2:TRAP_HANDLER: 0
; COMPUTE_PGM_RSRC2:TGID_X_EN: 1
; COMPUTE_PGM_RSRC2:TGID_Y_EN: 0
; COMPUTE_PGM_RSRC2:TGID_Z_EN: 0
; COMPUTE_PGM_RSRC2:TIDIG_COMP_CNT: 0
	.section	.text._ZN7rocprim17ROCPRIM_400000_NS6detail17trampoline_kernelINS0_14default_configENS1_36segmented_radix_sort_config_selectorIblEEZNS1_25segmented_radix_sort_implIS3_Lb1EPKbPbPKlPlN2at6native12_GLOBAL__N_18offset_tEEE10hipError_tPvRmT1_PNSt15iterator_traitsISK_E10value_typeET2_T3_PNSL_ISQ_E10value_typeET4_jRbjT5_SW_jjP12ihipStream_tbEUlT_E_NS1_11comp_targetILNS1_3genE8ELNS1_11target_archE1030ELNS1_3gpuE2ELNS1_3repE0EEENS1_30default_config_static_selectorELNS0_4arch9wavefront6targetE1EEEvSK_,"axG",@progbits,_ZN7rocprim17ROCPRIM_400000_NS6detail17trampoline_kernelINS0_14default_configENS1_36segmented_radix_sort_config_selectorIblEEZNS1_25segmented_radix_sort_implIS3_Lb1EPKbPbPKlPlN2at6native12_GLOBAL__N_18offset_tEEE10hipError_tPvRmT1_PNSt15iterator_traitsISK_E10value_typeET2_T3_PNSL_ISQ_E10value_typeET4_jRbjT5_SW_jjP12ihipStream_tbEUlT_E_NS1_11comp_targetILNS1_3genE8ELNS1_11target_archE1030ELNS1_3gpuE2ELNS1_3repE0EEENS1_30default_config_static_selectorELNS0_4arch9wavefront6targetE1EEEvSK_,comdat
	.globl	_ZN7rocprim17ROCPRIM_400000_NS6detail17trampoline_kernelINS0_14default_configENS1_36segmented_radix_sort_config_selectorIblEEZNS1_25segmented_radix_sort_implIS3_Lb1EPKbPbPKlPlN2at6native12_GLOBAL__N_18offset_tEEE10hipError_tPvRmT1_PNSt15iterator_traitsISK_E10value_typeET2_T3_PNSL_ISQ_E10value_typeET4_jRbjT5_SW_jjP12ihipStream_tbEUlT_E_NS1_11comp_targetILNS1_3genE8ELNS1_11target_archE1030ELNS1_3gpuE2ELNS1_3repE0EEENS1_30default_config_static_selectorELNS0_4arch9wavefront6targetE1EEEvSK_ ; -- Begin function _ZN7rocprim17ROCPRIM_400000_NS6detail17trampoline_kernelINS0_14default_configENS1_36segmented_radix_sort_config_selectorIblEEZNS1_25segmented_radix_sort_implIS3_Lb1EPKbPbPKlPlN2at6native12_GLOBAL__N_18offset_tEEE10hipError_tPvRmT1_PNSt15iterator_traitsISK_E10value_typeET2_T3_PNSL_ISQ_E10value_typeET4_jRbjT5_SW_jjP12ihipStream_tbEUlT_E_NS1_11comp_targetILNS1_3genE8ELNS1_11target_archE1030ELNS1_3gpuE2ELNS1_3repE0EEENS1_30default_config_static_selectorELNS0_4arch9wavefront6targetE1EEEvSK_
	.p2align	8
	.type	_ZN7rocprim17ROCPRIM_400000_NS6detail17trampoline_kernelINS0_14default_configENS1_36segmented_radix_sort_config_selectorIblEEZNS1_25segmented_radix_sort_implIS3_Lb1EPKbPbPKlPlN2at6native12_GLOBAL__N_18offset_tEEE10hipError_tPvRmT1_PNSt15iterator_traitsISK_E10value_typeET2_T3_PNSL_ISQ_E10value_typeET4_jRbjT5_SW_jjP12ihipStream_tbEUlT_E_NS1_11comp_targetILNS1_3genE8ELNS1_11target_archE1030ELNS1_3gpuE2ELNS1_3repE0EEENS1_30default_config_static_selectorELNS0_4arch9wavefront6targetE1EEEvSK_,@function
_ZN7rocprim17ROCPRIM_400000_NS6detail17trampoline_kernelINS0_14default_configENS1_36segmented_radix_sort_config_selectorIblEEZNS1_25segmented_radix_sort_implIS3_Lb1EPKbPbPKlPlN2at6native12_GLOBAL__N_18offset_tEEE10hipError_tPvRmT1_PNSt15iterator_traitsISK_E10value_typeET2_T3_PNSL_ISQ_E10value_typeET4_jRbjT5_SW_jjP12ihipStream_tbEUlT_E_NS1_11comp_targetILNS1_3genE8ELNS1_11target_archE1030ELNS1_3gpuE2ELNS1_3repE0EEENS1_30default_config_static_selectorELNS0_4arch9wavefront6targetE1EEEvSK_: ; @_ZN7rocprim17ROCPRIM_400000_NS6detail17trampoline_kernelINS0_14default_configENS1_36segmented_radix_sort_config_selectorIblEEZNS1_25segmented_radix_sort_implIS3_Lb1EPKbPbPKlPlN2at6native12_GLOBAL__N_18offset_tEEE10hipError_tPvRmT1_PNSt15iterator_traitsISK_E10value_typeET2_T3_PNSL_ISQ_E10value_typeET4_jRbjT5_SW_jjP12ihipStream_tbEUlT_E_NS1_11comp_targetILNS1_3genE8ELNS1_11target_archE1030ELNS1_3gpuE2ELNS1_3repE0EEENS1_30default_config_static_selectorELNS0_4arch9wavefront6targetE1EEEvSK_
; %bb.0:
	.section	.rodata,"a",@progbits
	.p2align	6, 0x0
	.amdhsa_kernel _ZN7rocprim17ROCPRIM_400000_NS6detail17trampoline_kernelINS0_14default_configENS1_36segmented_radix_sort_config_selectorIblEEZNS1_25segmented_radix_sort_implIS3_Lb1EPKbPbPKlPlN2at6native12_GLOBAL__N_18offset_tEEE10hipError_tPvRmT1_PNSt15iterator_traitsISK_E10value_typeET2_T3_PNSL_ISQ_E10value_typeET4_jRbjT5_SW_jjP12ihipStream_tbEUlT_E_NS1_11comp_targetILNS1_3genE8ELNS1_11target_archE1030ELNS1_3gpuE2ELNS1_3repE0EEENS1_30default_config_static_selectorELNS0_4arch9wavefront6targetE1EEEvSK_
		.amdhsa_group_segment_fixed_size 0
		.amdhsa_private_segment_fixed_size 0
		.amdhsa_kernarg_size 96
		.amdhsa_user_sgpr_count 6
		.amdhsa_user_sgpr_private_segment_buffer 1
		.amdhsa_user_sgpr_dispatch_ptr 0
		.amdhsa_user_sgpr_queue_ptr 0
		.amdhsa_user_sgpr_kernarg_segment_ptr 1
		.amdhsa_user_sgpr_dispatch_id 0
		.amdhsa_user_sgpr_flat_scratch_init 0
		.amdhsa_user_sgpr_private_segment_size 0
		.amdhsa_uses_dynamic_stack 0
		.amdhsa_system_sgpr_private_segment_wavefront_offset 0
		.amdhsa_system_sgpr_workgroup_id_x 1
		.amdhsa_system_sgpr_workgroup_id_y 0
		.amdhsa_system_sgpr_workgroup_id_z 0
		.amdhsa_system_sgpr_workgroup_info 0
		.amdhsa_system_vgpr_workitem_id 0
		.amdhsa_next_free_vgpr 1
		.amdhsa_next_free_sgpr 0
		.amdhsa_reserve_vcc 0
		.amdhsa_reserve_flat_scratch 0
		.amdhsa_float_round_mode_32 0
		.amdhsa_float_round_mode_16_64 0
		.amdhsa_float_denorm_mode_32 3
		.amdhsa_float_denorm_mode_16_64 3
		.amdhsa_dx10_clamp 1
		.amdhsa_ieee_mode 1
		.amdhsa_fp16_overflow 0
		.amdhsa_exception_fp_ieee_invalid_op 0
		.amdhsa_exception_fp_denorm_src 0
		.amdhsa_exception_fp_ieee_div_zero 0
		.amdhsa_exception_fp_ieee_overflow 0
		.amdhsa_exception_fp_ieee_underflow 0
		.amdhsa_exception_fp_ieee_inexact 0
		.amdhsa_exception_int_div_zero 0
	.end_amdhsa_kernel
	.section	.text._ZN7rocprim17ROCPRIM_400000_NS6detail17trampoline_kernelINS0_14default_configENS1_36segmented_radix_sort_config_selectorIblEEZNS1_25segmented_radix_sort_implIS3_Lb1EPKbPbPKlPlN2at6native12_GLOBAL__N_18offset_tEEE10hipError_tPvRmT1_PNSt15iterator_traitsISK_E10value_typeET2_T3_PNSL_ISQ_E10value_typeET4_jRbjT5_SW_jjP12ihipStream_tbEUlT_E_NS1_11comp_targetILNS1_3genE8ELNS1_11target_archE1030ELNS1_3gpuE2ELNS1_3repE0EEENS1_30default_config_static_selectorELNS0_4arch9wavefront6targetE1EEEvSK_,"axG",@progbits,_ZN7rocprim17ROCPRIM_400000_NS6detail17trampoline_kernelINS0_14default_configENS1_36segmented_radix_sort_config_selectorIblEEZNS1_25segmented_radix_sort_implIS3_Lb1EPKbPbPKlPlN2at6native12_GLOBAL__N_18offset_tEEE10hipError_tPvRmT1_PNSt15iterator_traitsISK_E10value_typeET2_T3_PNSL_ISQ_E10value_typeET4_jRbjT5_SW_jjP12ihipStream_tbEUlT_E_NS1_11comp_targetILNS1_3genE8ELNS1_11target_archE1030ELNS1_3gpuE2ELNS1_3repE0EEENS1_30default_config_static_selectorELNS0_4arch9wavefront6targetE1EEEvSK_,comdat
.Lfunc_end1541:
	.size	_ZN7rocprim17ROCPRIM_400000_NS6detail17trampoline_kernelINS0_14default_configENS1_36segmented_radix_sort_config_selectorIblEEZNS1_25segmented_radix_sort_implIS3_Lb1EPKbPbPKlPlN2at6native12_GLOBAL__N_18offset_tEEE10hipError_tPvRmT1_PNSt15iterator_traitsISK_E10value_typeET2_T3_PNSL_ISQ_E10value_typeET4_jRbjT5_SW_jjP12ihipStream_tbEUlT_E_NS1_11comp_targetILNS1_3genE8ELNS1_11target_archE1030ELNS1_3gpuE2ELNS1_3repE0EEENS1_30default_config_static_selectorELNS0_4arch9wavefront6targetE1EEEvSK_, .Lfunc_end1541-_ZN7rocprim17ROCPRIM_400000_NS6detail17trampoline_kernelINS0_14default_configENS1_36segmented_radix_sort_config_selectorIblEEZNS1_25segmented_radix_sort_implIS3_Lb1EPKbPbPKlPlN2at6native12_GLOBAL__N_18offset_tEEE10hipError_tPvRmT1_PNSt15iterator_traitsISK_E10value_typeET2_T3_PNSL_ISQ_E10value_typeET4_jRbjT5_SW_jjP12ihipStream_tbEUlT_E_NS1_11comp_targetILNS1_3genE8ELNS1_11target_archE1030ELNS1_3gpuE2ELNS1_3repE0EEENS1_30default_config_static_selectorELNS0_4arch9wavefront6targetE1EEEvSK_
                                        ; -- End function
	.set _ZN7rocprim17ROCPRIM_400000_NS6detail17trampoline_kernelINS0_14default_configENS1_36segmented_radix_sort_config_selectorIblEEZNS1_25segmented_radix_sort_implIS3_Lb1EPKbPbPKlPlN2at6native12_GLOBAL__N_18offset_tEEE10hipError_tPvRmT1_PNSt15iterator_traitsISK_E10value_typeET2_T3_PNSL_ISQ_E10value_typeET4_jRbjT5_SW_jjP12ihipStream_tbEUlT_E_NS1_11comp_targetILNS1_3genE8ELNS1_11target_archE1030ELNS1_3gpuE2ELNS1_3repE0EEENS1_30default_config_static_selectorELNS0_4arch9wavefront6targetE1EEEvSK_.num_vgpr, 0
	.set _ZN7rocprim17ROCPRIM_400000_NS6detail17trampoline_kernelINS0_14default_configENS1_36segmented_radix_sort_config_selectorIblEEZNS1_25segmented_radix_sort_implIS3_Lb1EPKbPbPKlPlN2at6native12_GLOBAL__N_18offset_tEEE10hipError_tPvRmT1_PNSt15iterator_traitsISK_E10value_typeET2_T3_PNSL_ISQ_E10value_typeET4_jRbjT5_SW_jjP12ihipStream_tbEUlT_E_NS1_11comp_targetILNS1_3genE8ELNS1_11target_archE1030ELNS1_3gpuE2ELNS1_3repE0EEENS1_30default_config_static_selectorELNS0_4arch9wavefront6targetE1EEEvSK_.num_agpr, 0
	.set _ZN7rocprim17ROCPRIM_400000_NS6detail17trampoline_kernelINS0_14default_configENS1_36segmented_radix_sort_config_selectorIblEEZNS1_25segmented_radix_sort_implIS3_Lb1EPKbPbPKlPlN2at6native12_GLOBAL__N_18offset_tEEE10hipError_tPvRmT1_PNSt15iterator_traitsISK_E10value_typeET2_T3_PNSL_ISQ_E10value_typeET4_jRbjT5_SW_jjP12ihipStream_tbEUlT_E_NS1_11comp_targetILNS1_3genE8ELNS1_11target_archE1030ELNS1_3gpuE2ELNS1_3repE0EEENS1_30default_config_static_selectorELNS0_4arch9wavefront6targetE1EEEvSK_.numbered_sgpr, 0
	.set _ZN7rocprim17ROCPRIM_400000_NS6detail17trampoline_kernelINS0_14default_configENS1_36segmented_radix_sort_config_selectorIblEEZNS1_25segmented_radix_sort_implIS3_Lb1EPKbPbPKlPlN2at6native12_GLOBAL__N_18offset_tEEE10hipError_tPvRmT1_PNSt15iterator_traitsISK_E10value_typeET2_T3_PNSL_ISQ_E10value_typeET4_jRbjT5_SW_jjP12ihipStream_tbEUlT_E_NS1_11comp_targetILNS1_3genE8ELNS1_11target_archE1030ELNS1_3gpuE2ELNS1_3repE0EEENS1_30default_config_static_selectorELNS0_4arch9wavefront6targetE1EEEvSK_.num_named_barrier, 0
	.set _ZN7rocprim17ROCPRIM_400000_NS6detail17trampoline_kernelINS0_14default_configENS1_36segmented_radix_sort_config_selectorIblEEZNS1_25segmented_radix_sort_implIS3_Lb1EPKbPbPKlPlN2at6native12_GLOBAL__N_18offset_tEEE10hipError_tPvRmT1_PNSt15iterator_traitsISK_E10value_typeET2_T3_PNSL_ISQ_E10value_typeET4_jRbjT5_SW_jjP12ihipStream_tbEUlT_E_NS1_11comp_targetILNS1_3genE8ELNS1_11target_archE1030ELNS1_3gpuE2ELNS1_3repE0EEENS1_30default_config_static_selectorELNS0_4arch9wavefront6targetE1EEEvSK_.private_seg_size, 0
	.set _ZN7rocprim17ROCPRIM_400000_NS6detail17trampoline_kernelINS0_14default_configENS1_36segmented_radix_sort_config_selectorIblEEZNS1_25segmented_radix_sort_implIS3_Lb1EPKbPbPKlPlN2at6native12_GLOBAL__N_18offset_tEEE10hipError_tPvRmT1_PNSt15iterator_traitsISK_E10value_typeET2_T3_PNSL_ISQ_E10value_typeET4_jRbjT5_SW_jjP12ihipStream_tbEUlT_E_NS1_11comp_targetILNS1_3genE8ELNS1_11target_archE1030ELNS1_3gpuE2ELNS1_3repE0EEENS1_30default_config_static_selectorELNS0_4arch9wavefront6targetE1EEEvSK_.uses_vcc, 0
	.set _ZN7rocprim17ROCPRIM_400000_NS6detail17trampoline_kernelINS0_14default_configENS1_36segmented_radix_sort_config_selectorIblEEZNS1_25segmented_radix_sort_implIS3_Lb1EPKbPbPKlPlN2at6native12_GLOBAL__N_18offset_tEEE10hipError_tPvRmT1_PNSt15iterator_traitsISK_E10value_typeET2_T3_PNSL_ISQ_E10value_typeET4_jRbjT5_SW_jjP12ihipStream_tbEUlT_E_NS1_11comp_targetILNS1_3genE8ELNS1_11target_archE1030ELNS1_3gpuE2ELNS1_3repE0EEENS1_30default_config_static_selectorELNS0_4arch9wavefront6targetE1EEEvSK_.uses_flat_scratch, 0
	.set _ZN7rocprim17ROCPRIM_400000_NS6detail17trampoline_kernelINS0_14default_configENS1_36segmented_radix_sort_config_selectorIblEEZNS1_25segmented_radix_sort_implIS3_Lb1EPKbPbPKlPlN2at6native12_GLOBAL__N_18offset_tEEE10hipError_tPvRmT1_PNSt15iterator_traitsISK_E10value_typeET2_T3_PNSL_ISQ_E10value_typeET4_jRbjT5_SW_jjP12ihipStream_tbEUlT_E_NS1_11comp_targetILNS1_3genE8ELNS1_11target_archE1030ELNS1_3gpuE2ELNS1_3repE0EEENS1_30default_config_static_selectorELNS0_4arch9wavefront6targetE1EEEvSK_.has_dyn_sized_stack, 0
	.set _ZN7rocprim17ROCPRIM_400000_NS6detail17trampoline_kernelINS0_14default_configENS1_36segmented_radix_sort_config_selectorIblEEZNS1_25segmented_radix_sort_implIS3_Lb1EPKbPbPKlPlN2at6native12_GLOBAL__N_18offset_tEEE10hipError_tPvRmT1_PNSt15iterator_traitsISK_E10value_typeET2_T3_PNSL_ISQ_E10value_typeET4_jRbjT5_SW_jjP12ihipStream_tbEUlT_E_NS1_11comp_targetILNS1_3genE8ELNS1_11target_archE1030ELNS1_3gpuE2ELNS1_3repE0EEENS1_30default_config_static_selectorELNS0_4arch9wavefront6targetE1EEEvSK_.has_recursion, 0
	.set _ZN7rocprim17ROCPRIM_400000_NS6detail17trampoline_kernelINS0_14default_configENS1_36segmented_radix_sort_config_selectorIblEEZNS1_25segmented_radix_sort_implIS3_Lb1EPKbPbPKlPlN2at6native12_GLOBAL__N_18offset_tEEE10hipError_tPvRmT1_PNSt15iterator_traitsISK_E10value_typeET2_T3_PNSL_ISQ_E10value_typeET4_jRbjT5_SW_jjP12ihipStream_tbEUlT_E_NS1_11comp_targetILNS1_3genE8ELNS1_11target_archE1030ELNS1_3gpuE2ELNS1_3repE0EEENS1_30default_config_static_selectorELNS0_4arch9wavefront6targetE1EEEvSK_.has_indirect_call, 0
	.section	.AMDGPU.csdata,"",@progbits
; Kernel info:
; codeLenInByte = 0
; TotalNumSgprs: 4
; NumVgprs: 0
; ScratchSize: 0
; MemoryBound: 0
; FloatMode: 240
; IeeeMode: 1
; LDSByteSize: 0 bytes/workgroup (compile time only)
; SGPRBlocks: 0
; VGPRBlocks: 0
; NumSGPRsForWavesPerEU: 4
; NumVGPRsForWavesPerEU: 1
; Occupancy: 10
; WaveLimiterHint : 0
; COMPUTE_PGM_RSRC2:SCRATCH_EN: 0
; COMPUTE_PGM_RSRC2:USER_SGPR: 6
; COMPUTE_PGM_RSRC2:TRAP_HANDLER: 0
; COMPUTE_PGM_RSRC2:TGID_X_EN: 1
; COMPUTE_PGM_RSRC2:TGID_Y_EN: 0
; COMPUTE_PGM_RSRC2:TGID_Z_EN: 0
; COMPUTE_PGM_RSRC2:TIDIG_COMP_CNT: 0
	.section	.text._ZN7rocprim17ROCPRIM_400000_NS6detail17trampoline_kernelINS0_14default_configENS1_36segmented_radix_sort_config_selectorIblEEZNS1_25segmented_radix_sort_implIS3_Lb1EPKbPbPKlPlN2at6native12_GLOBAL__N_18offset_tEEE10hipError_tPvRmT1_PNSt15iterator_traitsISK_E10value_typeET2_T3_PNSL_ISQ_E10value_typeET4_jRbjT5_SW_jjP12ihipStream_tbEUlT_E0_NS1_11comp_targetILNS1_3genE0ELNS1_11target_archE4294967295ELNS1_3gpuE0ELNS1_3repE0EEENS1_60segmented_radix_sort_warp_sort_medium_config_static_selectorELNS0_4arch9wavefront6targetE1EEEvSK_,"axG",@progbits,_ZN7rocprim17ROCPRIM_400000_NS6detail17trampoline_kernelINS0_14default_configENS1_36segmented_radix_sort_config_selectorIblEEZNS1_25segmented_radix_sort_implIS3_Lb1EPKbPbPKlPlN2at6native12_GLOBAL__N_18offset_tEEE10hipError_tPvRmT1_PNSt15iterator_traitsISK_E10value_typeET2_T3_PNSL_ISQ_E10value_typeET4_jRbjT5_SW_jjP12ihipStream_tbEUlT_E0_NS1_11comp_targetILNS1_3genE0ELNS1_11target_archE4294967295ELNS1_3gpuE0ELNS1_3repE0EEENS1_60segmented_radix_sort_warp_sort_medium_config_static_selectorELNS0_4arch9wavefront6targetE1EEEvSK_,comdat
	.globl	_ZN7rocprim17ROCPRIM_400000_NS6detail17trampoline_kernelINS0_14default_configENS1_36segmented_radix_sort_config_selectorIblEEZNS1_25segmented_radix_sort_implIS3_Lb1EPKbPbPKlPlN2at6native12_GLOBAL__N_18offset_tEEE10hipError_tPvRmT1_PNSt15iterator_traitsISK_E10value_typeET2_T3_PNSL_ISQ_E10value_typeET4_jRbjT5_SW_jjP12ihipStream_tbEUlT_E0_NS1_11comp_targetILNS1_3genE0ELNS1_11target_archE4294967295ELNS1_3gpuE0ELNS1_3repE0EEENS1_60segmented_radix_sort_warp_sort_medium_config_static_selectorELNS0_4arch9wavefront6targetE1EEEvSK_ ; -- Begin function _ZN7rocprim17ROCPRIM_400000_NS6detail17trampoline_kernelINS0_14default_configENS1_36segmented_radix_sort_config_selectorIblEEZNS1_25segmented_radix_sort_implIS3_Lb1EPKbPbPKlPlN2at6native12_GLOBAL__N_18offset_tEEE10hipError_tPvRmT1_PNSt15iterator_traitsISK_E10value_typeET2_T3_PNSL_ISQ_E10value_typeET4_jRbjT5_SW_jjP12ihipStream_tbEUlT_E0_NS1_11comp_targetILNS1_3genE0ELNS1_11target_archE4294967295ELNS1_3gpuE0ELNS1_3repE0EEENS1_60segmented_radix_sort_warp_sort_medium_config_static_selectorELNS0_4arch9wavefront6targetE1EEEvSK_
	.p2align	8
	.type	_ZN7rocprim17ROCPRIM_400000_NS6detail17trampoline_kernelINS0_14default_configENS1_36segmented_radix_sort_config_selectorIblEEZNS1_25segmented_radix_sort_implIS3_Lb1EPKbPbPKlPlN2at6native12_GLOBAL__N_18offset_tEEE10hipError_tPvRmT1_PNSt15iterator_traitsISK_E10value_typeET2_T3_PNSL_ISQ_E10value_typeET4_jRbjT5_SW_jjP12ihipStream_tbEUlT_E0_NS1_11comp_targetILNS1_3genE0ELNS1_11target_archE4294967295ELNS1_3gpuE0ELNS1_3repE0EEENS1_60segmented_radix_sort_warp_sort_medium_config_static_selectorELNS0_4arch9wavefront6targetE1EEEvSK_,@function
_ZN7rocprim17ROCPRIM_400000_NS6detail17trampoline_kernelINS0_14default_configENS1_36segmented_radix_sort_config_selectorIblEEZNS1_25segmented_radix_sort_implIS3_Lb1EPKbPbPKlPlN2at6native12_GLOBAL__N_18offset_tEEE10hipError_tPvRmT1_PNSt15iterator_traitsISK_E10value_typeET2_T3_PNSL_ISQ_E10value_typeET4_jRbjT5_SW_jjP12ihipStream_tbEUlT_E0_NS1_11comp_targetILNS1_3genE0ELNS1_11target_archE4294967295ELNS1_3gpuE0ELNS1_3repE0EEENS1_60segmented_radix_sort_warp_sort_medium_config_static_selectorELNS0_4arch9wavefront6targetE1EEEvSK_: ; @_ZN7rocprim17ROCPRIM_400000_NS6detail17trampoline_kernelINS0_14default_configENS1_36segmented_radix_sort_config_selectorIblEEZNS1_25segmented_radix_sort_implIS3_Lb1EPKbPbPKlPlN2at6native12_GLOBAL__N_18offset_tEEE10hipError_tPvRmT1_PNSt15iterator_traitsISK_E10value_typeET2_T3_PNSL_ISQ_E10value_typeET4_jRbjT5_SW_jjP12ihipStream_tbEUlT_E0_NS1_11comp_targetILNS1_3genE0ELNS1_11target_archE4294967295ELNS1_3gpuE0ELNS1_3repE0EEENS1_60segmented_radix_sort_warp_sort_medium_config_static_selectorELNS0_4arch9wavefront6targetE1EEEvSK_
; %bb.0:
	.section	.rodata,"a",@progbits
	.p2align	6, 0x0
	.amdhsa_kernel _ZN7rocprim17ROCPRIM_400000_NS6detail17trampoline_kernelINS0_14default_configENS1_36segmented_radix_sort_config_selectorIblEEZNS1_25segmented_radix_sort_implIS3_Lb1EPKbPbPKlPlN2at6native12_GLOBAL__N_18offset_tEEE10hipError_tPvRmT1_PNSt15iterator_traitsISK_E10value_typeET2_T3_PNSL_ISQ_E10value_typeET4_jRbjT5_SW_jjP12ihipStream_tbEUlT_E0_NS1_11comp_targetILNS1_3genE0ELNS1_11target_archE4294967295ELNS1_3gpuE0ELNS1_3repE0EEENS1_60segmented_radix_sort_warp_sort_medium_config_static_selectorELNS0_4arch9wavefront6targetE1EEEvSK_
		.amdhsa_group_segment_fixed_size 0
		.amdhsa_private_segment_fixed_size 0
		.amdhsa_kernarg_size 88
		.amdhsa_user_sgpr_count 6
		.amdhsa_user_sgpr_private_segment_buffer 1
		.amdhsa_user_sgpr_dispatch_ptr 0
		.amdhsa_user_sgpr_queue_ptr 0
		.amdhsa_user_sgpr_kernarg_segment_ptr 1
		.amdhsa_user_sgpr_dispatch_id 0
		.amdhsa_user_sgpr_flat_scratch_init 0
		.amdhsa_user_sgpr_private_segment_size 0
		.amdhsa_uses_dynamic_stack 0
		.amdhsa_system_sgpr_private_segment_wavefront_offset 0
		.amdhsa_system_sgpr_workgroup_id_x 1
		.amdhsa_system_sgpr_workgroup_id_y 0
		.amdhsa_system_sgpr_workgroup_id_z 0
		.amdhsa_system_sgpr_workgroup_info 0
		.amdhsa_system_vgpr_workitem_id 0
		.amdhsa_next_free_vgpr 1
		.amdhsa_next_free_sgpr 0
		.amdhsa_reserve_vcc 0
		.amdhsa_reserve_flat_scratch 0
		.amdhsa_float_round_mode_32 0
		.amdhsa_float_round_mode_16_64 0
		.amdhsa_float_denorm_mode_32 3
		.amdhsa_float_denorm_mode_16_64 3
		.amdhsa_dx10_clamp 1
		.amdhsa_ieee_mode 1
		.amdhsa_fp16_overflow 0
		.amdhsa_exception_fp_ieee_invalid_op 0
		.amdhsa_exception_fp_denorm_src 0
		.amdhsa_exception_fp_ieee_div_zero 0
		.amdhsa_exception_fp_ieee_overflow 0
		.amdhsa_exception_fp_ieee_underflow 0
		.amdhsa_exception_fp_ieee_inexact 0
		.amdhsa_exception_int_div_zero 0
	.end_amdhsa_kernel
	.section	.text._ZN7rocprim17ROCPRIM_400000_NS6detail17trampoline_kernelINS0_14default_configENS1_36segmented_radix_sort_config_selectorIblEEZNS1_25segmented_radix_sort_implIS3_Lb1EPKbPbPKlPlN2at6native12_GLOBAL__N_18offset_tEEE10hipError_tPvRmT1_PNSt15iterator_traitsISK_E10value_typeET2_T3_PNSL_ISQ_E10value_typeET4_jRbjT5_SW_jjP12ihipStream_tbEUlT_E0_NS1_11comp_targetILNS1_3genE0ELNS1_11target_archE4294967295ELNS1_3gpuE0ELNS1_3repE0EEENS1_60segmented_radix_sort_warp_sort_medium_config_static_selectorELNS0_4arch9wavefront6targetE1EEEvSK_,"axG",@progbits,_ZN7rocprim17ROCPRIM_400000_NS6detail17trampoline_kernelINS0_14default_configENS1_36segmented_radix_sort_config_selectorIblEEZNS1_25segmented_radix_sort_implIS3_Lb1EPKbPbPKlPlN2at6native12_GLOBAL__N_18offset_tEEE10hipError_tPvRmT1_PNSt15iterator_traitsISK_E10value_typeET2_T3_PNSL_ISQ_E10value_typeET4_jRbjT5_SW_jjP12ihipStream_tbEUlT_E0_NS1_11comp_targetILNS1_3genE0ELNS1_11target_archE4294967295ELNS1_3gpuE0ELNS1_3repE0EEENS1_60segmented_radix_sort_warp_sort_medium_config_static_selectorELNS0_4arch9wavefront6targetE1EEEvSK_,comdat
.Lfunc_end1542:
	.size	_ZN7rocprim17ROCPRIM_400000_NS6detail17trampoline_kernelINS0_14default_configENS1_36segmented_radix_sort_config_selectorIblEEZNS1_25segmented_radix_sort_implIS3_Lb1EPKbPbPKlPlN2at6native12_GLOBAL__N_18offset_tEEE10hipError_tPvRmT1_PNSt15iterator_traitsISK_E10value_typeET2_T3_PNSL_ISQ_E10value_typeET4_jRbjT5_SW_jjP12ihipStream_tbEUlT_E0_NS1_11comp_targetILNS1_3genE0ELNS1_11target_archE4294967295ELNS1_3gpuE0ELNS1_3repE0EEENS1_60segmented_radix_sort_warp_sort_medium_config_static_selectorELNS0_4arch9wavefront6targetE1EEEvSK_, .Lfunc_end1542-_ZN7rocprim17ROCPRIM_400000_NS6detail17trampoline_kernelINS0_14default_configENS1_36segmented_radix_sort_config_selectorIblEEZNS1_25segmented_radix_sort_implIS3_Lb1EPKbPbPKlPlN2at6native12_GLOBAL__N_18offset_tEEE10hipError_tPvRmT1_PNSt15iterator_traitsISK_E10value_typeET2_T3_PNSL_ISQ_E10value_typeET4_jRbjT5_SW_jjP12ihipStream_tbEUlT_E0_NS1_11comp_targetILNS1_3genE0ELNS1_11target_archE4294967295ELNS1_3gpuE0ELNS1_3repE0EEENS1_60segmented_radix_sort_warp_sort_medium_config_static_selectorELNS0_4arch9wavefront6targetE1EEEvSK_
                                        ; -- End function
	.set _ZN7rocprim17ROCPRIM_400000_NS6detail17trampoline_kernelINS0_14default_configENS1_36segmented_radix_sort_config_selectorIblEEZNS1_25segmented_radix_sort_implIS3_Lb1EPKbPbPKlPlN2at6native12_GLOBAL__N_18offset_tEEE10hipError_tPvRmT1_PNSt15iterator_traitsISK_E10value_typeET2_T3_PNSL_ISQ_E10value_typeET4_jRbjT5_SW_jjP12ihipStream_tbEUlT_E0_NS1_11comp_targetILNS1_3genE0ELNS1_11target_archE4294967295ELNS1_3gpuE0ELNS1_3repE0EEENS1_60segmented_radix_sort_warp_sort_medium_config_static_selectorELNS0_4arch9wavefront6targetE1EEEvSK_.num_vgpr, 0
	.set _ZN7rocprim17ROCPRIM_400000_NS6detail17trampoline_kernelINS0_14default_configENS1_36segmented_radix_sort_config_selectorIblEEZNS1_25segmented_radix_sort_implIS3_Lb1EPKbPbPKlPlN2at6native12_GLOBAL__N_18offset_tEEE10hipError_tPvRmT1_PNSt15iterator_traitsISK_E10value_typeET2_T3_PNSL_ISQ_E10value_typeET4_jRbjT5_SW_jjP12ihipStream_tbEUlT_E0_NS1_11comp_targetILNS1_3genE0ELNS1_11target_archE4294967295ELNS1_3gpuE0ELNS1_3repE0EEENS1_60segmented_radix_sort_warp_sort_medium_config_static_selectorELNS0_4arch9wavefront6targetE1EEEvSK_.num_agpr, 0
	.set _ZN7rocprim17ROCPRIM_400000_NS6detail17trampoline_kernelINS0_14default_configENS1_36segmented_radix_sort_config_selectorIblEEZNS1_25segmented_radix_sort_implIS3_Lb1EPKbPbPKlPlN2at6native12_GLOBAL__N_18offset_tEEE10hipError_tPvRmT1_PNSt15iterator_traitsISK_E10value_typeET2_T3_PNSL_ISQ_E10value_typeET4_jRbjT5_SW_jjP12ihipStream_tbEUlT_E0_NS1_11comp_targetILNS1_3genE0ELNS1_11target_archE4294967295ELNS1_3gpuE0ELNS1_3repE0EEENS1_60segmented_radix_sort_warp_sort_medium_config_static_selectorELNS0_4arch9wavefront6targetE1EEEvSK_.numbered_sgpr, 0
	.set _ZN7rocprim17ROCPRIM_400000_NS6detail17trampoline_kernelINS0_14default_configENS1_36segmented_radix_sort_config_selectorIblEEZNS1_25segmented_radix_sort_implIS3_Lb1EPKbPbPKlPlN2at6native12_GLOBAL__N_18offset_tEEE10hipError_tPvRmT1_PNSt15iterator_traitsISK_E10value_typeET2_T3_PNSL_ISQ_E10value_typeET4_jRbjT5_SW_jjP12ihipStream_tbEUlT_E0_NS1_11comp_targetILNS1_3genE0ELNS1_11target_archE4294967295ELNS1_3gpuE0ELNS1_3repE0EEENS1_60segmented_radix_sort_warp_sort_medium_config_static_selectorELNS0_4arch9wavefront6targetE1EEEvSK_.num_named_barrier, 0
	.set _ZN7rocprim17ROCPRIM_400000_NS6detail17trampoline_kernelINS0_14default_configENS1_36segmented_radix_sort_config_selectorIblEEZNS1_25segmented_radix_sort_implIS3_Lb1EPKbPbPKlPlN2at6native12_GLOBAL__N_18offset_tEEE10hipError_tPvRmT1_PNSt15iterator_traitsISK_E10value_typeET2_T3_PNSL_ISQ_E10value_typeET4_jRbjT5_SW_jjP12ihipStream_tbEUlT_E0_NS1_11comp_targetILNS1_3genE0ELNS1_11target_archE4294967295ELNS1_3gpuE0ELNS1_3repE0EEENS1_60segmented_radix_sort_warp_sort_medium_config_static_selectorELNS0_4arch9wavefront6targetE1EEEvSK_.private_seg_size, 0
	.set _ZN7rocprim17ROCPRIM_400000_NS6detail17trampoline_kernelINS0_14default_configENS1_36segmented_radix_sort_config_selectorIblEEZNS1_25segmented_radix_sort_implIS3_Lb1EPKbPbPKlPlN2at6native12_GLOBAL__N_18offset_tEEE10hipError_tPvRmT1_PNSt15iterator_traitsISK_E10value_typeET2_T3_PNSL_ISQ_E10value_typeET4_jRbjT5_SW_jjP12ihipStream_tbEUlT_E0_NS1_11comp_targetILNS1_3genE0ELNS1_11target_archE4294967295ELNS1_3gpuE0ELNS1_3repE0EEENS1_60segmented_radix_sort_warp_sort_medium_config_static_selectorELNS0_4arch9wavefront6targetE1EEEvSK_.uses_vcc, 0
	.set _ZN7rocprim17ROCPRIM_400000_NS6detail17trampoline_kernelINS0_14default_configENS1_36segmented_radix_sort_config_selectorIblEEZNS1_25segmented_radix_sort_implIS3_Lb1EPKbPbPKlPlN2at6native12_GLOBAL__N_18offset_tEEE10hipError_tPvRmT1_PNSt15iterator_traitsISK_E10value_typeET2_T3_PNSL_ISQ_E10value_typeET4_jRbjT5_SW_jjP12ihipStream_tbEUlT_E0_NS1_11comp_targetILNS1_3genE0ELNS1_11target_archE4294967295ELNS1_3gpuE0ELNS1_3repE0EEENS1_60segmented_radix_sort_warp_sort_medium_config_static_selectorELNS0_4arch9wavefront6targetE1EEEvSK_.uses_flat_scratch, 0
	.set _ZN7rocprim17ROCPRIM_400000_NS6detail17trampoline_kernelINS0_14default_configENS1_36segmented_radix_sort_config_selectorIblEEZNS1_25segmented_radix_sort_implIS3_Lb1EPKbPbPKlPlN2at6native12_GLOBAL__N_18offset_tEEE10hipError_tPvRmT1_PNSt15iterator_traitsISK_E10value_typeET2_T3_PNSL_ISQ_E10value_typeET4_jRbjT5_SW_jjP12ihipStream_tbEUlT_E0_NS1_11comp_targetILNS1_3genE0ELNS1_11target_archE4294967295ELNS1_3gpuE0ELNS1_3repE0EEENS1_60segmented_radix_sort_warp_sort_medium_config_static_selectorELNS0_4arch9wavefront6targetE1EEEvSK_.has_dyn_sized_stack, 0
	.set _ZN7rocprim17ROCPRIM_400000_NS6detail17trampoline_kernelINS0_14default_configENS1_36segmented_radix_sort_config_selectorIblEEZNS1_25segmented_radix_sort_implIS3_Lb1EPKbPbPKlPlN2at6native12_GLOBAL__N_18offset_tEEE10hipError_tPvRmT1_PNSt15iterator_traitsISK_E10value_typeET2_T3_PNSL_ISQ_E10value_typeET4_jRbjT5_SW_jjP12ihipStream_tbEUlT_E0_NS1_11comp_targetILNS1_3genE0ELNS1_11target_archE4294967295ELNS1_3gpuE0ELNS1_3repE0EEENS1_60segmented_radix_sort_warp_sort_medium_config_static_selectorELNS0_4arch9wavefront6targetE1EEEvSK_.has_recursion, 0
	.set _ZN7rocprim17ROCPRIM_400000_NS6detail17trampoline_kernelINS0_14default_configENS1_36segmented_radix_sort_config_selectorIblEEZNS1_25segmented_radix_sort_implIS3_Lb1EPKbPbPKlPlN2at6native12_GLOBAL__N_18offset_tEEE10hipError_tPvRmT1_PNSt15iterator_traitsISK_E10value_typeET2_T3_PNSL_ISQ_E10value_typeET4_jRbjT5_SW_jjP12ihipStream_tbEUlT_E0_NS1_11comp_targetILNS1_3genE0ELNS1_11target_archE4294967295ELNS1_3gpuE0ELNS1_3repE0EEENS1_60segmented_radix_sort_warp_sort_medium_config_static_selectorELNS0_4arch9wavefront6targetE1EEEvSK_.has_indirect_call, 0
	.section	.AMDGPU.csdata,"",@progbits
; Kernel info:
; codeLenInByte = 0
; TotalNumSgprs: 4
; NumVgprs: 0
; ScratchSize: 0
; MemoryBound: 0
; FloatMode: 240
; IeeeMode: 1
; LDSByteSize: 0 bytes/workgroup (compile time only)
; SGPRBlocks: 0
; VGPRBlocks: 0
; NumSGPRsForWavesPerEU: 4
; NumVGPRsForWavesPerEU: 1
; Occupancy: 10
; WaveLimiterHint : 0
; COMPUTE_PGM_RSRC2:SCRATCH_EN: 0
; COMPUTE_PGM_RSRC2:USER_SGPR: 6
; COMPUTE_PGM_RSRC2:TRAP_HANDLER: 0
; COMPUTE_PGM_RSRC2:TGID_X_EN: 1
; COMPUTE_PGM_RSRC2:TGID_Y_EN: 0
; COMPUTE_PGM_RSRC2:TGID_Z_EN: 0
; COMPUTE_PGM_RSRC2:TIDIG_COMP_CNT: 0
	.section	.text._ZN7rocprim17ROCPRIM_400000_NS6detail17trampoline_kernelINS0_14default_configENS1_36segmented_radix_sort_config_selectorIblEEZNS1_25segmented_radix_sort_implIS3_Lb1EPKbPbPKlPlN2at6native12_GLOBAL__N_18offset_tEEE10hipError_tPvRmT1_PNSt15iterator_traitsISK_E10value_typeET2_T3_PNSL_ISQ_E10value_typeET4_jRbjT5_SW_jjP12ihipStream_tbEUlT_E0_NS1_11comp_targetILNS1_3genE5ELNS1_11target_archE942ELNS1_3gpuE9ELNS1_3repE0EEENS1_60segmented_radix_sort_warp_sort_medium_config_static_selectorELNS0_4arch9wavefront6targetE1EEEvSK_,"axG",@progbits,_ZN7rocprim17ROCPRIM_400000_NS6detail17trampoline_kernelINS0_14default_configENS1_36segmented_radix_sort_config_selectorIblEEZNS1_25segmented_radix_sort_implIS3_Lb1EPKbPbPKlPlN2at6native12_GLOBAL__N_18offset_tEEE10hipError_tPvRmT1_PNSt15iterator_traitsISK_E10value_typeET2_T3_PNSL_ISQ_E10value_typeET4_jRbjT5_SW_jjP12ihipStream_tbEUlT_E0_NS1_11comp_targetILNS1_3genE5ELNS1_11target_archE942ELNS1_3gpuE9ELNS1_3repE0EEENS1_60segmented_radix_sort_warp_sort_medium_config_static_selectorELNS0_4arch9wavefront6targetE1EEEvSK_,comdat
	.globl	_ZN7rocprim17ROCPRIM_400000_NS6detail17trampoline_kernelINS0_14default_configENS1_36segmented_radix_sort_config_selectorIblEEZNS1_25segmented_radix_sort_implIS3_Lb1EPKbPbPKlPlN2at6native12_GLOBAL__N_18offset_tEEE10hipError_tPvRmT1_PNSt15iterator_traitsISK_E10value_typeET2_T3_PNSL_ISQ_E10value_typeET4_jRbjT5_SW_jjP12ihipStream_tbEUlT_E0_NS1_11comp_targetILNS1_3genE5ELNS1_11target_archE942ELNS1_3gpuE9ELNS1_3repE0EEENS1_60segmented_radix_sort_warp_sort_medium_config_static_selectorELNS0_4arch9wavefront6targetE1EEEvSK_ ; -- Begin function _ZN7rocprim17ROCPRIM_400000_NS6detail17trampoline_kernelINS0_14default_configENS1_36segmented_radix_sort_config_selectorIblEEZNS1_25segmented_radix_sort_implIS3_Lb1EPKbPbPKlPlN2at6native12_GLOBAL__N_18offset_tEEE10hipError_tPvRmT1_PNSt15iterator_traitsISK_E10value_typeET2_T3_PNSL_ISQ_E10value_typeET4_jRbjT5_SW_jjP12ihipStream_tbEUlT_E0_NS1_11comp_targetILNS1_3genE5ELNS1_11target_archE942ELNS1_3gpuE9ELNS1_3repE0EEENS1_60segmented_radix_sort_warp_sort_medium_config_static_selectorELNS0_4arch9wavefront6targetE1EEEvSK_
	.p2align	8
	.type	_ZN7rocprim17ROCPRIM_400000_NS6detail17trampoline_kernelINS0_14default_configENS1_36segmented_radix_sort_config_selectorIblEEZNS1_25segmented_radix_sort_implIS3_Lb1EPKbPbPKlPlN2at6native12_GLOBAL__N_18offset_tEEE10hipError_tPvRmT1_PNSt15iterator_traitsISK_E10value_typeET2_T3_PNSL_ISQ_E10value_typeET4_jRbjT5_SW_jjP12ihipStream_tbEUlT_E0_NS1_11comp_targetILNS1_3genE5ELNS1_11target_archE942ELNS1_3gpuE9ELNS1_3repE0EEENS1_60segmented_radix_sort_warp_sort_medium_config_static_selectorELNS0_4arch9wavefront6targetE1EEEvSK_,@function
_ZN7rocprim17ROCPRIM_400000_NS6detail17trampoline_kernelINS0_14default_configENS1_36segmented_radix_sort_config_selectorIblEEZNS1_25segmented_radix_sort_implIS3_Lb1EPKbPbPKlPlN2at6native12_GLOBAL__N_18offset_tEEE10hipError_tPvRmT1_PNSt15iterator_traitsISK_E10value_typeET2_T3_PNSL_ISQ_E10value_typeET4_jRbjT5_SW_jjP12ihipStream_tbEUlT_E0_NS1_11comp_targetILNS1_3genE5ELNS1_11target_archE942ELNS1_3gpuE9ELNS1_3repE0EEENS1_60segmented_radix_sort_warp_sort_medium_config_static_selectorELNS0_4arch9wavefront6targetE1EEEvSK_: ; @_ZN7rocprim17ROCPRIM_400000_NS6detail17trampoline_kernelINS0_14default_configENS1_36segmented_radix_sort_config_selectorIblEEZNS1_25segmented_radix_sort_implIS3_Lb1EPKbPbPKlPlN2at6native12_GLOBAL__N_18offset_tEEE10hipError_tPvRmT1_PNSt15iterator_traitsISK_E10value_typeET2_T3_PNSL_ISQ_E10value_typeET4_jRbjT5_SW_jjP12ihipStream_tbEUlT_E0_NS1_11comp_targetILNS1_3genE5ELNS1_11target_archE942ELNS1_3gpuE9ELNS1_3repE0EEENS1_60segmented_radix_sort_warp_sort_medium_config_static_selectorELNS0_4arch9wavefront6targetE1EEEvSK_
; %bb.0:
	.section	.rodata,"a",@progbits
	.p2align	6, 0x0
	.amdhsa_kernel _ZN7rocprim17ROCPRIM_400000_NS6detail17trampoline_kernelINS0_14default_configENS1_36segmented_radix_sort_config_selectorIblEEZNS1_25segmented_radix_sort_implIS3_Lb1EPKbPbPKlPlN2at6native12_GLOBAL__N_18offset_tEEE10hipError_tPvRmT1_PNSt15iterator_traitsISK_E10value_typeET2_T3_PNSL_ISQ_E10value_typeET4_jRbjT5_SW_jjP12ihipStream_tbEUlT_E0_NS1_11comp_targetILNS1_3genE5ELNS1_11target_archE942ELNS1_3gpuE9ELNS1_3repE0EEENS1_60segmented_radix_sort_warp_sort_medium_config_static_selectorELNS0_4arch9wavefront6targetE1EEEvSK_
		.amdhsa_group_segment_fixed_size 0
		.amdhsa_private_segment_fixed_size 0
		.amdhsa_kernarg_size 88
		.amdhsa_user_sgpr_count 6
		.amdhsa_user_sgpr_private_segment_buffer 1
		.amdhsa_user_sgpr_dispatch_ptr 0
		.amdhsa_user_sgpr_queue_ptr 0
		.amdhsa_user_sgpr_kernarg_segment_ptr 1
		.amdhsa_user_sgpr_dispatch_id 0
		.amdhsa_user_sgpr_flat_scratch_init 0
		.amdhsa_user_sgpr_private_segment_size 0
		.amdhsa_uses_dynamic_stack 0
		.amdhsa_system_sgpr_private_segment_wavefront_offset 0
		.amdhsa_system_sgpr_workgroup_id_x 1
		.amdhsa_system_sgpr_workgroup_id_y 0
		.amdhsa_system_sgpr_workgroup_id_z 0
		.amdhsa_system_sgpr_workgroup_info 0
		.amdhsa_system_vgpr_workitem_id 0
		.amdhsa_next_free_vgpr 1
		.amdhsa_next_free_sgpr 0
		.amdhsa_reserve_vcc 0
		.amdhsa_reserve_flat_scratch 0
		.amdhsa_float_round_mode_32 0
		.amdhsa_float_round_mode_16_64 0
		.amdhsa_float_denorm_mode_32 3
		.amdhsa_float_denorm_mode_16_64 3
		.amdhsa_dx10_clamp 1
		.amdhsa_ieee_mode 1
		.amdhsa_fp16_overflow 0
		.amdhsa_exception_fp_ieee_invalid_op 0
		.amdhsa_exception_fp_denorm_src 0
		.amdhsa_exception_fp_ieee_div_zero 0
		.amdhsa_exception_fp_ieee_overflow 0
		.amdhsa_exception_fp_ieee_underflow 0
		.amdhsa_exception_fp_ieee_inexact 0
		.amdhsa_exception_int_div_zero 0
	.end_amdhsa_kernel
	.section	.text._ZN7rocprim17ROCPRIM_400000_NS6detail17trampoline_kernelINS0_14default_configENS1_36segmented_radix_sort_config_selectorIblEEZNS1_25segmented_radix_sort_implIS3_Lb1EPKbPbPKlPlN2at6native12_GLOBAL__N_18offset_tEEE10hipError_tPvRmT1_PNSt15iterator_traitsISK_E10value_typeET2_T3_PNSL_ISQ_E10value_typeET4_jRbjT5_SW_jjP12ihipStream_tbEUlT_E0_NS1_11comp_targetILNS1_3genE5ELNS1_11target_archE942ELNS1_3gpuE9ELNS1_3repE0EEENS1_60segmented_radix_sort_warp_sort_medium_config_static_selectorELNS0_4arch9wavefront6targetE1EEEvSK_,"axG",@progbits,_ZN7rocprim17ROCPRIM_400000_NS6detail17trampoline_kernelINS0_14default_configENS1_36segmented_radix_sort_config_selectorIblEEZNS1_25segmented_radix_sort_implIS3_Lb1EPKbPbPKlPlN2at6native12_GLOBAL__N_18offset_tEEE10hipError_tPvRmT1_PNSt15iterator_traitsISK_E10value_typeET2_T3_PNSL_ISQ_E10value_typeET4_jRbjT5_SW_jjP12ihipStream_tbEUlT_E0_NS1_11comp_targetILNS1_3genE5ELNS1_11target_archE942ELNS1_3gpuE9ELNS1_3repE0EEENS1_60segmented_radix_sort_warp_sort_medium_config_static_selectorELNS0_4arch9wavefront6targetE1EEEvSK_,comdat
.Lfunc_end1543:
	.size	_ZN7rocprim17ROCPRIM_400000_NS6detail17trampoline_kernelINS0_14default_configENS1_36segmented_radix_sort_config_selectorIblEEZNS1_25segmented_radix_sort_implIS3_Lb1EPKbPbPKlPlN2at6native12_GLOBAL__N_18offset_tEEE10hipError_tPvRmT1_PNSt15iterator_traitsISK_E10value_typeET2_T3_PNSL_ISQ_E10value_typeET4_jRbjT5_SW_jjP12ihipStream_tbEUlT_E0_NS1_11comp_targetILNS1_3genE5ELNS1_11target_archE942ELNS1_3gpuE9ELNS1_3repE0EEENS1_60segmented_radix_sort_warp_sort_medium_config_static_selectorELNS0_4arch9wavefront6targetE1EEEvSK_, .Lfunc_end1543-_ZN7rocprim17ROCPRIM_400000_NS6detail17trampoline_kernelINS0_14default_configENS1_36segmented_radix_sort_config_selectorIblEEZNS1_25segmented_radix_sort_implIS3_Lb1EPKbPbPKlPlN2at6native12_GLOBAL__N_18offset_tEEE10hipError_tPvRmT1_PNSt15iterator_traitsISK_E10value_typeET2_T3_PNSL_ISQ_E10value_typeET4_jRbjT5_SW_jjP12ihipStream_tbEUlT_E0_NS1_11comp_targetILNS1_3genE5ELNS1_11target_archE942ELNS1_3gpuE9ELNS1_3repE0EEENS1_60segmented_radix_sort_warp_sort_medium_config_static_selectorELNS0_4arch9wavefront6targetE1EEEvSK_
                                        ; -- End function
	.set _ZN7rocprim17ROCPRIM_400000_NS6detail17trampoline_kernelINS0_14default_configENS1_36segmented_radix_sort_config_selectorIblEEZNS1_25segmented_radix_sort_implIS3_Lb1EPKbPbPKlPlN2at6native12_GLOBAL__N_18offset_tEEE10hipError_tPvRmT1_PNSt15iterator_traitsISK_E10value_typeET2_T3_PNSL_ISQ_E10value_typeET4_jRbjT5_SW_jjP12ihipStream_tbEUlT_E0_NS1_11comp_targetILNS1_3genE5ELNS1_11target_archE942ELNS1_3gpuE9ELNS1_3repE0EEENS1_60segmented_radix_sort_warp_sort_medium_config_static_selectorELNS0_4arch9wavefront6targetE1EEEvSK_.num_vgpr, 0
	.set _ZN7rocprim17ROCPRIM_400000_NS6detail17trampoline_kernelINS0_14default_configENS1_36segmented_radix_sort_config_selectorIblEEZNS1_25segmented_radix_sort_implIS3_Lb1EPKbPbPKlPlN2at6native12_GLOBAL__N_18offset_tEEE10hipError_tPvRmT1_PNSt15iterator_traitsISK_E10value_typeET2_T3_PNSL_ISQ_E10value_typeET4_jRbjT5_SW_jjP12ihipStream_tbEUlT_E0_NS1_11comp_targetILNS1_3genE5ELNS1_11target_archE942ELNS1_3gpuE9ELNS1_3repE0EEENS1_60segmented_radix_sort_warp_sort_medium_config_static_selectorELNS0_4arch9wavefront6targetE1EEEvSK_.num_agpr, 0
	.set _ZN7rocprim17ROCPRIM_400000_NS6detail17trampoline_kernelINS0_14default_configENS1_36segmented_radix_sort_config_selectorIblEEZNS1_25segmented_radix_sort_implIS3_Lb1EPKbPbPKlPlN2at6native12_GLOBAL__N_18offset_tEEE10hipError_tPvRmT1_PNSt15iterator_traitsISK_E10value_typeET2_T3_PNSL_ISQ_E10value_typeET4_jRbjT5_SW_jjP12ihipStream_tbEUlT_E0_NS1_11comp_targetILNS1_3genE5ELNS1_11target_archE942ELNS1_3gpuE9ELNS1_3repE0EEENS1_60segmented_radix_sort_warp_sort_medium_config_static_selectorELNS0_4arch9wavefront6targetE1EEEvSK_.numbered_sgpr, 0
	.set _ZN7rocprim17ROCPRIM_400000_NS6detail17trampoline_kernelINS0_14default_configENS1_36segmented_radix_sort_config_selectorIblEEZNS1_25segmented_radix_sort_implIS3_Lb1EPKbPbPKlPlN2at6native12_GLOBAL__N_18offset_tEEE10hipError_tPvRmT1_PNSt15iterator_traitsISK_E10value_typeET2_T3_PNSL_ISQ_E10value_typeET4_jRbjT5_SW_jjP12ihipStream_tbEUlT_E0_NS1_11comp_targetILNS1_3genE5ELNS1_11target_archE942ELNS1_3gpuE9ELNS1_3repE0EEENS1_60segmented_radix_sort_warp_sort_medium_config_static_selectorELNS0_4arch9wavefront6targetE1EEEvSK_.num_named_barrier, 0
	.set _ZN7rocprim17ROCPRIM_400000_NS6detail17trampoline_kernelINS0_14default_configENS1_36segmented_radix_sort_config_selectorIblEEZNS1_25segmented_radix_sort_implIS3_Lb1EPKbPbPKlPlN2at6native12_GLOBAL__N_18offset_tEEE10hipError_tPvRmT1_PNSt15iterator_traitsISK_E10value_typeET2_T3_PNSL_ISQ_E10value_typeET4_jRbjT5_SW_jjP12ihipStream_tbEUlT_E0_NS1_11comp_targetILNS1_3genE5ELNS1_11target_archE942ELNS1_3gpuE9ELNS1_3repE0EEENS1_60segmented_radix_sort_warp_sort_medium_config_static_selectorELNS0_4arch9wavefront6targetE1EEEvSK_.private_seg_size, 0
	.set _ZN7rocprim17ROCPRIM_400000_NS6detail17trampoline_kernelINS0_14default_configENS1_36segmented_radix_sort_config_selectorIblEEZNS1_25segmented_radix_sort_implIS3_Lb1EPKbPbPKlPlN2at6native12_GLOBAL__N_18offset_tEEE10hipError_tPvRmT1_PNSt15iterator_traitsISK_E10value_typeET2_T3_PNSL_ISQ_E10value_typeET4_jRbjT5_SW_jjP12ihipStream_tbEUlT_E0_NS1_11comp_targetILNS1_3genE5ELNS1_11target_archE942ELNS1_3gpuE9ELNS1_3repE0EEENS1_60segmented_radix_sort_warp_sort_medium_config_static_selectorELNS0_4arch9wavefront6targetE1EEEvSK_.uses_vcc, 0
	.set _ZN7rocprim17ROCPRIM_400000_NS6detail17trampoline_kernelINS0_14default_configENS1_36segmented_radix_sort_config_selectorIblEEZNS1_25segmented_radix_sort_implIS3_Lb1EPKbPbPKlPlN2at6native12_GLOBAL__N_18offset_tEEE10hipError_tPvRmT1_PNSt15iterator_traitsISK_E10value_typeET2_T3_PNSL_ISQ_E10value_typeET4_jRbjT5_SW_jjP12ihipStream_tbEUlT_E0_NS1_11comp_targetILNS1_3genE5ELNS1_11target_archE942ELNS1_3gpuE9ELNS1_3repE0EEENS1_60segmented_radix_sort_warp_sort_medium_config_static_selectorELNS0_4arch9wavefront6targetE1EEEvSK_.uses_flat_scratch, 0
	.set _ZN7rocprim17ROCPRIM_400000_NS6detail17trampoline_kernelINS0_14default_configENS1_36segmented_radix_sort_config_selectorIblEEZNS1_25segmented_radix_sort_implIS3_Lb1EPKbPbPKlPlN2at6native12_GLOBAL__N_18offset_tEEE10hipError_tPvRmT1_PNSt15iterator_traitsISK_E10value_typeET2_T3_PNSL_ISQ_E10value_typeET4_jRbjT5_SW_jjP12ihipStream_tbEUlT_E0_NS1_11comp_targetILNS1_3genE5ELNS1_11target_archE942ELNS1_3gpuE9ELNS1_3repE0EEENS1_60segmented_radix_sort_warp_sort_medium_config_static_selectorELNS0_4arch9wavefront6targetE1EEEvSK_.has_dyn_sized_stack, 0
	.set _ZN7rocprim17ROCPRIM_400000_NS6detail17trampoline_kernelINS0_14default_configENS1_36segmented_radix_sort_config_selectorIblEEZNS1_25segmented_radix_sort_implIS3_Lb1EPKbPbPKlPlN2at6native12_GLOBAL__N_18offset_tEEE10hipError_tPvRmT1_PNSt15iterator_traitsISK_E10value_typeET2_T3_PNSL_ISQ_E10value_typeET4_jRbjT5_SW_jjP12ihipStream_tbEUlT_E0_NS1_11comp_targetILNS1_3genE5ELNS1_11target_archE942ELNS1_3gpuE9ELNS1_3repE0EEENS1_60segmented_radix_sort_warp_sort_medium_config_static_selectorELNS0_4arch9wavefront6targetE1EEEvSK_.has_recursion, 0
	.set _ZN7rocprim17ROCPRIM_400000_NS6detail17trampoline_kernelINS0_14default_configENS1_36segmented_radix_sort_config_selectorIblEEZNS1_25segmented_radix_sort_implIS3_Lb1EPKbPbPKlPlN2at6native12_GLOBAL__N_18offset_tEEE10hipError_tPvRmT1_PNSt15iterator_traitsISK_E10value_typeET2_T3_PNSL_ISQ_E10value_typeET4_jRbjT5_SW_jjP12ihipStream_tbEUlT_E0_NS1_11comp_targetILNS1_3genE5ELNS1_11target_archE942ELNS1_3gpuE9ELNS1_3repE0EEENS1_60segmented_radix_sort_warp_sort_medium_config_static_selectorELNS0_4arch9wavefront6targetE1EEEvSK_.has_indirect_call, 0
	.section	.AMDGPU.csdata,"",@progbits
; Kernel info:
; codeLenInByte = 0
; TotalNumSgprs: 4
; NumVgprs: 0
; ScratchSize: 0
; MemoryBound: 0
; FloatMode: 240
; IeeeMode: 1
; LDSByteSize: 0 bytes/workgroup (compile time only)
; SGPRBlocks: 0
; VGPRBlocks: 0
; NumSGPRsForWavesPerEU: 4
; NumVGPRsForWavesPerEU: 1
; Occupancy: 10
; WaveLimiterHint : 0
; COMPUTE_PGM_RSRC2:SCRATCH_EN: 0
; COMPUTE_PGM_RSRC2:USER_SGPR: 6
; COMPUTE_PGM_RSRC2:TRAP_HANDLER: 0
; COMPUTE_PGM_RSRC2:TGID_X_EN: 1
; COMPUTE_PGM_RSRC2:TGID_Y_EN: 0
; COMPUTE_PGM_RSRC2:TGID_Z_EN: 0
; COMPUTE_PGM_RSRC2:TIDIG_COMP_CNT: 0
	.section	.text._ZN7rocprim17ROCPRIM_400000_NS6detail17trampoline_kernelINS0_14default_configENS1_36segmented_radix_sort_config_selectorIblEEZNS1_25segmented_radix_sort_implIS3_Lb1EPKbPbPKlPlN2at6native12_GLOBAL__N_18offset_tEEE10hipError_tPvRmT1_PNSt15iterator_traitsISK_E10value_typeET2_T3_PNSL_ISQ_E10value_typeET4_jRbjT5_SW_jjP12ihipStream_tbEUlT_E0_NS1_11comp_targetILNS1_3genE4ELNS1_11target_archE910ELNS1_3gpuE8ELNS1_3repE0EEENS1_60segmented_radix_sort_warp_sort_medium_config_static_selectorELNS0_4arch9wavefront6targetE1EEEvSK_,"axG",@progbits,_ZN7rocprim17ROCPRIM_400000_NS6detail17trampoline_kernelINS0_14default_configENS1_36segmented_radix_sort_config_selectorIblEEZNS1_25segmented_radix_sort_implIS3_Lb1EPKbPbPKlPlN2at6native12_GLOBAL__N_18offset_tEEE10hipError_tPvRmT1_PNSt15iterator_traitsISK_E10value_typeET2_T3_PNSL_ISQ_E10value_typeET4_jRbjT5_SW_jjP12ihipStream_tbEUlT_E0_NS1_11comp_targetILNS1_3genE4ELNS1_11target_archE910ELNS1_3gpuE8ELNS1_3repE0EEENS1_60segmented_radix_sort_warp_sort_medium_config_static_selectorELNS0_4arch9wavefront6targetE1EEEvSK_,comdat
	.globl	_ZN7rocprim17ROCPRIM_400000_NS6detail17trampoline_kernelINS0_14default_configENS1_36segmented_radix_sort_config_selectorIblEEZNS1_25segmented_radix_sort_implIS3_Lb1EPKbPbPKlPlN2at6native12_GLOBAL__N_18offset_tEEE10hipError_tPvRmT1_PNSt15iterator_traitsISK_E10value_typeET2_T3_PNSL_ISQ_E10value_typeET4_jRbjT5_SW_jjP12ihipStream_tbEUlT_E0_NS1_11comp_targetILNS1_3genE4ELNS1_11target_archE910ELNS1_3gpuE8ELNS1_3repE0EEENS1_60segmented_radix_sort_warp_sort_medium_config_static_selectorELNS0_4arch9wavefront6targetE1EEEvSK_ ; -- Begin function _ZN7rocprim17ROCPRIM_400000_NS6detail17trampoline_kernelINS0_14default_configENS1_36segmented_radix_sort_config_selectorIblEEZNS1_25segmented_radix_sort_implIS3_Lb1EPKbPbPKlPlN2at6native12_GLOBAL__N_18offset_tEEE10hipError_tPvRmT1_PNSt15iterator_traitsISK_E10value_typeET2_T3_PNSL_ISQ_E10value_typeET4_jRbjT5_SW_jjP12ihipStream_tbEUlT_E0_NS1_11comp_targetILNS1_3genE4ELNS1_11target_archE910ELNS1_3gpuE8ELNS1_3repE0EEENS1_60segmented_radix_sort_warp_sort_medium_config_static_selectorELNS0_4arch9wavefront6targetE1EEEvSK_
	.p2align	8
	.type	_ZN7rocprim17ROCPRIM_400000_NS6detail17trampoline_kernelINS0_14default_configENS1_36segmented_radix_sort_config_selectorIblEEZNS1_25segmented_radix_sort_implIS3_Lb1EPKbPbPKlPlN2at6native12_GLOBAL__N_18offset_tEEE10hipError_tPvRmT1_PNSt15iterator_traitsISK_E10value_typeET2_T3_PNSL_ISQ_E10value_typeET4_jRbjT5_SW_jjP12ihipStream_tbEUlT_E0_NS1_11comp_targetILNS1_3genE4ELNS1_11target_archE910ELNS1_3gpuE8ELNS1_3repE0EEENS1_60segmented_radix_sort_warp_sort_medium_config_static_selectorELNS0_4arch9wavefront6targetE1EEEvSK_,@function
_ZN7rocprim17ROCPRIM_400000_NS6detail17trampoline_kernelINS0_14default_configENS1_36segmented_radix_sort_config_selectorIblEEZNS1_25segmented_radix_sort_implIS3_Lb1EPKbPbPKlPlN2at6native12_GLOBAL__N_18offset_tEEE10hipError_tPvRmT1_PNSt15iterator_traitsISK_E10value_typeET2_T3_PNSL_ISQ_E10value_typeET4_jRbjT5_SW_jjP12ihipStream_tbEUlT_E0_NS1_11comp_targetILNS1_3genE4ELNS1_11target_archE910ELNS1_3gpuE8ELNS1_3repE0EEENS1_60segmented_radix_sort_warp_sort_medium_config_static_selectorELNS0_4arch9wavefront6targetE1EEEvSK_: ; @_ZN7rocprim17ROCPRIM_400000_NS6detail17trampoline_kernelINS0_14default_configENS1_36segmented_radix_sort_config_selectorIblEEZNS1_25segmented_radix_sort_implIS3_Lb1EPKbPbPKlPlN2at6native12_GLOBAL__N_18offset_tEEE10hipError_tPvRmT1_PNSt15iterator_traitsISK_E10value_typeET2_T3_PNSL_ISQ_E10value_typeET4_jRbjT5_SW_jjP12ihipStream_tbEUlT_E0_NS1_11comp_targetILNS1_3genE4ELNS1_11target_archE910ELNS1_3gpuE8ELNS1_3repE0EEENS1_60segmented_radix_sort_warp_sort_medium_config_static_selectorELNS0_4arch9wavefront6targetE1EEEvSK_
; %bb.0:
	.section	.rodata,"a",@progbits
	.p2align	6, 0x0
	.amdhsa_kernel _ZN7rocprim17ROCPRIM_400000_NS6detail17trampoline_kernelINS0_14default_configENS1_36segmented_radix_sort_config_selectorIblEEZNS1_25segmented_radix_sort_implIS3_Lb1EPKbPbPKlPlN2at6native12_GLOBAL__N_18offset_tEEE10hipError_tPvRmT1_PNSt15iterator_traitsISK_E10value_typeET2_T3_PNSL_ISQ_E10value_typeET4_jRbjT5_SW_jjP12ihipStream_tbEUlT_E0_NS1_11comp_targetILNS1_3genE4ELNS1_11target_archE910ELNS1_3gpuE8ELNS1_3repE0EEENS1_60segmented_radix_sort_warp_sort_medium_config_static_selectorELNS0_4arch9wavefront6targetE1EEEvSK_
		.amdhsa_group_segment_fixed_size 0
		.amdhsa_private_segment_fixed_size 0
		.amdhsa_kernarg_size 88
		.amdhsa_user_sgpr_count 6
		.amdhsa_user_sgpr_private_segment_buffer 1
		.amdhsa_user_sgpr_dispatch_ptr 0
		.amdhsa_user_sgpr_queue_ptr 0
		.amdhsa_user_sgpr_kernarg_segment_ptr 1
		.amdhsa_user_sgpr_dispatch_id 0
		.amdhsa_user_sgpr_flat_scratch_init 0
		.amdhsa_user_sgpr_private_segment_size 0
		.amdhsa_uses_dynamic_stack 0
		.amdhsa_system_sgpr_private_segment_wavefront_offset 0
		.amdhsa_system_sgpr_workgroup_id_x 1
		.amdhsa_system_sgpr_workgroup_id_y 0
		.amdhsa_system_sgpr_workgroup_id_z 0
		.amdhsa_system_sgpr_workgroup_info 0
		.amdhsa_system_vgpr_workitem_id 0
		.amdhsa_next_free_vgpr 1
		.amdhsa_next_free_sgpr 0
		.amdhsa_reserve_vcc 0
		.amdhsa_reserve_flat_scratch 0
		.amdhsa_float_round_mode_32 0
		.amdhsa_float_round_mode_16_64 0
		.amdhsa_float_denorm_mode_32 3
		.amdhsa_float_denorm_mode_16_64 3
		.amdhsa_dx10_clamp 1
		.amdhsa_ieee_mode 1
		.amdhsa_fp16_overflow 0
		.amdhsa_exception_fp_ieee_invalid_op 0
		.amdhsa_exception_fp_denorm_src 0
		.amdhsa_exception_fp_ieee_div_zero 0
		.amdhsa_exception_fp_ieee_overflow 0
		.amdhsa_exception_fp_ieee_underflow 0
		.amdhsa_exception_fp_ieee_inexact 0
		.amdhsa_exception_int_div_zero 0
	.end_amdhsa_kernel
	.section	.text._ZN7rocprim17ROCPRIM_400000_NS6detail17trampoline_kernelINS0_14default_configENS1_36segmented_radix_sort_config_selectorIblEEZNS1_25segmented_radix_sort_implIS3_Lb1EPKbPbPKlPlN2at6native12_GLOBAL__N_18offset_tEEE10hipError_tPvRmT1_PNSt15iterator_traitsISK_E10value_typeET2_T3_PNSL_ISQ_E10value_typeET4_jRbjT5_SW_jjP12ihipStream_tbEUlT_E0_NS1_11comp_targetILNS1_3genE4ELNS1_11target_archE910ELNS1_3gpuE8ELNS1_3repE0EEENS1_60segmented_radix_sort_warp_sort_medium_config_static_selectorELNS0_4arch9wavefront6targetE1EEEvSK_,"axG",@progbits,_ZN7rocprim17ROCPRIM_400000_NS6detail17trampoline_kernelINS0_14default_configENS1_36segmented_radix_sort_config_selectorIblEEZNS1_25segmented_radix_sort_implIS3_Lb1EPKbPbPKlPlN2at6native12_GLOBAL__N_18offset_tEEE10hipError_tPvRmT1_PNSt15iterator_traitsISK_E10value_typeET2_T3_PNSL_ISQ_E10value_typeET4_jRbjT5_SW_jjP12ihipStream_tbEUlT_E0_NS1_11comp_targetILNS1_3genE4ELNS1_11target_archE910ELNS1_3gpuE8ELNS1_3repE0EEENS1_60segmented_radix_sort_warp_sort_medium_config_static_selectorELNS0_4arch9wavefront6targetE1EEEvSK_,comdat
.Lfunc_end1544:
	.size	_ZN7rocprim17ROCPRIM_400000_NS6detail17trampoline_kernelINS0_14default_configENS1_36segmented_radix_sort_config_selectorIblEEZNS1_25segmented_radix_sort_implIS3_Lb1EPKbPbPKlPlN2at6native12_GLOBAL__N_18offset_tEEE10hipError_tPvRmT1_PNSt15iterator_traitsISK_E10value_typeET2_T3_PNSL_ISQ_E10value_typeET4_jRbjT5_SW_jjP12ihipStream_tbEUlT_E0_NS1_11comp_targetILNS1_3genE4ELNS1_11target_archE910ELNS1_3gpuE8ELNS1_3repE0EEENS1_60segmented_radix_sort_warp_sort_medium_config_static_selectorELNS0_4arch9wavefront6targetE1EEEvSK_, .Lfunc_end1544-_ZN7rocprim17ROCPRIM_400000_NS6detail17trampoline_kernelINS0_14default_configENS1_36segmented_radix_sort_config_selectorIblEEZNS1_25segmented_radix_sort_implIS3_Lb1EPKbPbPKlPlN2at6native12_GLOBAL__N_18offset_tEEE10hipError_tPvRmT1_PNSt15iterator_traitsISK_E10value_typeET2_T3_PNSL_ISQ_E10value_typeET4_jRbjT5_SW_jjP12ihipStream_tbEUlT_E0_NS1_11comp_targetILNS1_3genE4ELNS1_11target_archE910ELNS1_3gpuE8ELNS1_3repE0EEENS1_60segmented_radix_sort_warp_sort_medium_config_static_selectorELNS0_4arch9wavefront6targetE1EEEvSK_
                                        ; -- End function
	.set _ZN7rocprim17ROCPRIM_400000_NS6detail17trampoline_kernelINS0_14default_configENS1_36segmented_radix_sort_config_selectorIblEEZNS1_25segmented_radix_sort_implIS3_Lb1EPKbPbPKlPlN2at6native12_GLOBAL__N_18offset_tEEE10hipError_tPvRmT1_PNSt15iterator_traitsISK_E10value_typeET2_T3_PNSL_ISQ_E10value_typeET4_jRbjT5_SW_jjP12ihipStream_tbEUlT_E0_NS1_11comp_targetILNS1_3genE4ELNS1_11target_archE910ELNS1_3gpuE8ELNS1_3repE0EEENS1_60segmented_radix_sort_warp_sort_medium_config_static_selectorELNS0_4arch9wavefront6targetE1EEEvSK_.num_vgpr, 0
	.set _ZN7rocprim17ROCPRIM_400000_NS6detail17trampoline_kernelINS0_14default_configENS1_36segmented_radix_sort_config_selectorIblEEZNS1_25segmented_radix_sort_implIS3_Lb1EPKbPbPKlPlN2at6native12_GLOBAL__N_18offset_tEEE10hipError_tPvRmT1_PNSt15iterator_traitsISK_E10value_typeET2_T3_PNSL_ISQ_E10value_typeET4_jRbjT5_SW_jjP12ihipStream_tbEUlT_E0_NS1_11comp_targetILNS1_3genE4ELNS1_11target_archE910ELNS1_3gpuE8ELNS1_3repE0EEENS1_60segmented_radix_sort_warp_sort_medium_config_static_selectorELNS0_4arch9wavefront6targetE1EEEvSK_.num_agpr, 0
	.set _ZN7rocprim17ROCPRIM_400000_NS6detail17trampoline_kernelINS0_14default_configENS1_36segmented_radix_sort_config_selectorIblEEZNS1_25segmented_radix_sort_implIS3_Lb1EPKbPbPKlPlN2at6native12_GLOBAL__N_18offset_tEEE10hipError_tPvRmT1_PNSt15iterator_traitsISK_E10value_typeET2_T3_PNSL_ISQ_E10value_typeET4_jRbjT5_SW_jjP12ihipStream_tbEUlT_E0_NS1_11comp_targetILNS1_3genE4ELNS1_11target_archE910ELNS1_3gpuE8ELNS1_3repE0EEENS1_60segmented_radix_sort_warp_sort_medium_config_static_selectorELNS0_4arch9wavefront6targetE1EEEvSK_.numbered_sgpr, 0
	.set _ZN7rocprim17ROCPRIM_400000_NS6detail17trampoline_kernelINS0_14default_configENS1_36segmented_radix_sort_config_selectorIblEEZNS1_25segmented_radix_sort_implIS3_Lb1EPKbPbPKlPlN2at6native12_GLOBAL__N_18offset_tEEE10hipError_tPvRmT1_PNSt15iterator_traitsISK_E10value_typeET2_T3_PNSL_ISQ_E10value_typeET4_jRbjT5_SW_jjP12ihipStream_tbEUlT_E0_NS1_11comp_targetILNS1_3genE4ELNS1_11target_archE910ELNS1_3gpuE8ELNS1_3repE0EEENS1_60segmented_radix_sort_warp_sort_medium_config_static_selectorELNS0_4arch9wavefront6targetE1EEEvSK_.num_named_barrier, 0
	.set _ZN7rocprim17ROCPRIM_400000_NS6detail17trampoline_kernelINS0_14default_configENS1_36segmented_radix_sort_config_selectorIblEEZNS1_25segmented_radix_sort_implIS3_Lb1EPKbPbPKlPlN2at6native12_GLOBAL__N_18offset_tEEE10hipError_tPvRmT1_PNSt15iterator_traitsISK_E10value_typeET2_T3_PNSL_ISQ_E10value_typeET4_jRbjT5_SW_jjP12ihipStream_tbEUlT_E0_NS1_11comp_targetILNS1_3genE4ELNS1_11target_archE910ELNS1_3gpuE8ELNS1_3repE0EEENS1_60segmented_radix_sort_warp_sort_medium_config_static_selectorELNS0_4arch9wavefront6targetE1EEEvSK_.private_seg_size, 0
	.set _ZN7rocprim17ROCPRIM_400000_NS6detail17trampoline_kernelINS0_14default_configENS1_36segmented_radix_sort_config_selectorIblEEZNS1_25segmented_radix_sort_implIS3_Lb1EPKbPbPKlPlN2at6native12_GLOBAL__N_18offset_tEEE10hipError_tPvRmT1_PNSt15iterator_traitsISK_E10value_typeET2_T3_PNSL_ISQ_E10value_typeET4_jRbjT5_SW_jjP12ihipStream_tbEUlT_E0_NS1_11comp_targetILNS1_3genE4ELNS1_11target_archE910ELNS1_3gpuE8ELNS1_3repE0EEENS1_60segmented_radix_sort_warp_sort_medium_config_static_selectorELNS0_4arch9wavefront6targetE1EEEvSK_.uses_vcc, 0
	.set _ZN7rocprim17ROCPRIM_400000_NS6detail17trampoline_kernelINS0_14default_configENS1_36segmented_radix_sort_config_selectorIblEEZNS1_25segmented_radix_sort_implIS3_Lb1EPKbPbPKlPlN2at6native12_GLOBAL__N_18offset_tEEE10hipError_tPvRmT1_PNSt15iterator_traitsISK_E10value_typeET2_T3_PNSL_ISQ_E10value_typeET4_jRbjT5_SW_jjP12ihipStream_tbEUlT_E0_NS1_11comp_targetILNS1_3genE4ELNS1_11target_archE910ELNS1_3gpuE8ELNS1_3repE0EEENS1_60segmented_radix_sort_warp_sort_medium_config_static_selectorELNS0_4arch9wavefront6targetE1EEEvSK_.uses_flat_scratch, 0
	.set _ZN7rocprim17ROCPRIM_400000_NS6detail17trampoline_kernelINS0_14default_configENS1_36segmented_radix_sort_config_selectorIblEEZNS1_25segmented_radix_sort_implIS3_Lb1EPKbPbPKlPlN2at6native12_GLOBAL__N_18offset_tEEE10hipError_tPvRmT1_PNSt15iterator_traitsISK_E10value_typeET2_T3_PNSL_ISQ_E10value_typeET4_jRbjT5_SW_jjP12ihipStream_tbEUlT_E0_NS1_11comp_targetILNS1_3genE4ELNS1_11target_archE910ELNS1_3gpuE8ELNS1_3repE0EEENS1_60segmented_radix_sort_warp_sort_medium_config_static_selectorELNS0_4arch9wavefront6targetE1EEEvSK_.has_dyn_sized_stack, 0
	.set _ZN7rocprim17ROCPRIM_400000_NS6detail17trampoline_kernelINS0_14default_configENS1_36segmented_radix_sort_config_selectorIblEEZNS1_25segmented_radix_sort_implIS3_Lb1EPKbPbPKlPlN2at6native12_GLOBAL__N_18offset_tEEE10hipError_tPvRmT1_PNSt15iterator_traitsISK_E10value_typeET2_T3_PNSL_ISQ_E10value_typeET4_jRbjT5_SW_jjP12ihipStream_tbEUlT_E0_NS1_11comp_targetILNS1_3genE4ELNS1_11target_archE910ELNS1_3gpuE8ELNS1_3repE0EEENS1_60segmented_radix_sort_warp_sort_medium_config_static_selectorELNS0_4arch9wavefront6targetE1EEEvSK_.has_recursion, 0
	.set _ZN7rocprim17ROCPRIM_400000_NS6detail17trampoline_kernelINS0_14default_configENS1_36segmented_radix_sort_config_selectorIblEEZNS1_25segmented_radix_sort_implIS3_Lb1EPKbPbPKlPlN2at6native12_GLOBAL__N_18offset_tEEE10hipError_tPvRmT1_PNSt15iterator_traitsISK_E10value_typeET2_T3_PNSL_ISQ_E10value_typeET4_jRbjT5_SW_jjP12ihipStream_tbEUlT_E0_NS1_11comp_targetILNS1_3genE4ELNS1_11target_archE910ELNS1_3gpuE8ELNS1_3repE0EEENS1_60segmented_radix_sort_warp_sort_medium_config_static_selectorELNS0_4arch9wavefront6targetE1EEEvSK_.has_indirect_call, 0
	.section	.AMDGPU.csdata,"",@progbits
; Kernel info:
; codeLenInByte = 0
; TotalNumSgprs: 4
; NumVgprs: 0
; ScratchSize: 0
; MemoryBound: 0
; FloatMode: 240
; IeeeMode: 1
; LDSByteSize: 0 bytes/workgroup (compile time only)
; SGPRBlocks: 0
; VGPRBlocks: 0
; NumSGPRsForWavesPerEU: 4
; NumVGPRsForWavesPerEU: 1
; Occupancy: 10
; WaveLimiterHint : 0
; COMPUTE_PGM_RSRC2:SCRATCH_EN: 0
; COMPUTE_PGM_RSRC2:USER_SGPR: 6
; COMPUTE_PGM_RSRC2:TRAP_HANDLER: 0
; COMPUTE_PGM_RSRC2:TGID_X_EN: 1
; COMPUTE_PGM_RSRC2:TGID_Y_EN: 0
; COMPUTE_PGM_RSRC2:TGID_Z_EN: 0
; COMPUTE_PGM_RSRC2:TIDIG_COMP_CNT: 0
	.section	.text._ZN7rocprim17ROCPRIM_400000_NS6detail17trampoline_kernelINS0_14default_configENS1_36segmented_radix_sort_config_selectorIblEEZNS1_25segmented_radix_sort_implIS3_Lb1EPKbPbPKlPlN2at6native12_GLOBAL__N_18offset_tEEE10hipError_tPvRmT1_PNSt15iterator_traitsISK_E10value_typeET2_T3_PNSL_ISQ_E10value_typeET4_jRbjT5_SW_jjP12ihipStream_tbEUlT_E0_NS1_11comp_targetILNS1_3genE3ELNS1_11target_archE908ELNS1_3gpuE7ELNS1_3repE0EEENS1_60segmented_radix_sort_warp_sort_medium_config_static_selectorELNS0_4arch9wavefront6targetE1EEEvSK_,"axG",@progbits,_ZN7rocprim17ROCPRIM_400000_NS6detail17trampoline_kernelINS0_14default_configENS1_36segmented_radix_sort_config_selectorIblEEZNS1_25segmented_radix_sort_implIS3_Lb1EPKbPbPKlPlN2at6native12_GLOBAL__N_18offset_tEEE10hipError_tPvRmT1_PNSt15iterator_traitsISK_E10value_typeET2_T3_PNSL_ISQ_E10value_typeET4_jRbjT5_SW_jjP12ihipStream_tbEUlT_E0_NS1_11comp_targetILNS1_3genE3ELNS1_11target_archE908ELNS1_3gpuE7ELNS1_3repE0EEENS1_60segmented_radix_sort_warp_sort_medium_config_static_selectorELNS0_4arch9wavefront6targetE1EEEvSK_,comdat
	.globl	_ZN7rocprim17ROCPRIM_400000_NS6detail17trampoline_kernelINS0_14default_configENS1_36segmented_radix_sort_config_selectorIblEEZNS1_25segmented_radix_sort_implIS3_Lb1EPKbPbPKlPlN2at6native12_GLOBAL__N_18offset_tEEE10hipError_tPvRmT1_PNSt15iterator_traitsISK_E10value_typeET2_T3_PNSL_ISQ_E10value_typeET4_jRbjT5_SW_jjP12ihipStream_tbEUlT_E0_NS1_11comp_targetILNS1_3genE3ELNS1_11target_archE908ELNS1_3gpuE7ELNS1_3repE0EEENS1_60segmented_radix_sort_warp_sort_medium_config_static_selectorELNS0_4arch9wavefront6targetE1EEEvSK_ ; -- Begin function _ZN7rocprim17ROCPRIM_400000_NS6detail17trampoline_kernelINS0_14default_configENS1_36segmented_radix_sort_config_selectorIblEEZNS1_25segmented_radix_sort_implIS3_Lb1EPKbPbPKlPlN2at6native12_GLOBAL__N_18offset_tEEE10hipError_tPvRmT1_PNSt15iterator_traitsISK_E10value_typeET2_T3_PNSL_ISQ_E10value_typeET4_jRbjT5_SW_jjP12ihipStream_tbEUlT_E0_NS1_11comp_targetILNS1_3genE3ELNS1_11target_archE908ELNS1_3gpuE7ELNS1_3repE0EEENS1_60segmented_radix_sort_warp_sort_medium_config_static_selectorELNS0_4arch9wavefront6targetE1EEEvSK_
	.p2align	8
	.type	_ZN7rocprim17ROCPRIM_400000_NS6detail17trampoline_kernelINS0_14default_configENS1_36segmented_radix_sort_config_selectorIblEEZNS1_25segmented_radix_sort_implIS3_Lb1EPKbPbPKlPlN2at6native12_GLOBAL__N_18offset_tEEE10hipError_tPvRmT1_PNSt15iterator_traitsISK_E10value_typeET2_T3_PNSL_ISQ_E10value_typeET4_jRbjT5_SW_jjP12ihipStream_tbEUlT_E0_NS1_11comp_targetILNS1_3genE3ELNS1_11target_archE908ELNS1_3gpuE7ELNS1_3repE0EEENS1_60segmented_radix_sort_warp_sort_medium_config_static_selectorELNS0_4arch9wavefront6targetE1EEEvSK_,@function
_ZN7rocprim17ROCPRIM_400000_NS6detail17trampoline_kernelINS0_14default_configENS1_36segmented_radix_sort_config_selectorIblEEZNS1_25segmented_radix_sort_implIS3_Lb1EPKbPbPKlPlN2at6native12_GLOBAL__N_18offset_tEEE10hipError_tPvRmT1_PNSt15iterator_traitsISK_E10value_typeET2_T3_PNSL_ISQ_E10value_typeET4_jRbjT5_SW_jjP12ihipStream_tbEUlT_E0_NS1_11comp_targetILNS1_3genE3ELNS1_11target_archE908ELNS1_3gpuE7ELNS1_3repE0EEENS1_60segmented_radix_sort_warp_sort_medium_config_static_selectorELNS0_4arch9wavefront6targetE1EEEvSK_: ; @_ZN7rocprim17ROCPRIM_400000_NS6detail17trampoline_kernelINS0_14default_configENS1_36segmented_radix_sort_config_selectorIblEEZNS1_25segmented_radix_sort_implIS3_Lb1EPKbPbPKlPlN2at6native12_GLOBAL__N_18offset_tEEE10hipError_tPvRmT1_PNSt15iterator_traitsISK_E10value_typeET2_T3_PNSL_ISQ_E10value_typeET4_jRbjT5_SW_jjP12ihipStream_tbEUlT_E0_NS1_11comp_targetILNS1_3genE3ELNS1_11target_archE908ELNS1_3gpuE7ELNS1_3repE0EEENS1_60segmented_radix_sort_warp_sort_medium_config_static_selectorELNS0_4arch9wavefront6targetE1EEEvSK_
; %bb.0:
	.section	.rodata,"a",@progbits
	.p2align	6, 0x0
	.amdhsa_kernel _ZN7rocprim17ROCPRIM_400000_NS6detail17trampoline_kernelINS0_14default_configENS1_36segmented_radix_sort_config_selectorIblEEZNS1_25segmented_radix_sort_implIS3_Lb1EPKbPbPKlPlN2at6native12_GLOBAL__N_18offset_tEEE10hipError_tPvRmT1_PNSt15iterator_traitsISK_E10value_typeET2_T3_PNSL_ISQ_E10value_typeET4_jRbjT5_SW_jjP12ihipStream_tbEUlT_E0_NS1_11comp_targetILNS1_3genE3ELNS1_11target_archE908ELNS1_3gpuE7ELNS1_3repE0EEENS1_60segmented_radix_sort_warp_sort_medium_config_static_selectorELNS0_4arch9wavefront6targetE1EEEvSK_
		.amdhsa_group_segment_fixed_size 0
		.amdhsa_private_segment_fixed_size 0
		.amdhsa_kernarg_size 88
		.amdhsa_user_sgpr_count 6
		.amdhsa_user_sgpr_private_segment_buffer 1
		.amdhsa_user_sgpr_dispatch_ptr 0
		.amdhsa_user_sgpr_queue_ptr 0
		.amdhsa_user_sgpr_kernarg_segment_ptr 1
		.amdhsa_user_sgpr_dispatch_id 0
		.amdhsa_user_sgpr_flat_scratch_init 0
		.amdhsa_user_sgpr_private_segment_size 0
		.amdhsa_uses_dynamic_stack 0
		.amdhsa_system_sgpr_private_segment_wavefront_offset 0
		.amdhsa_system_sgpr_workgroup_id_x 1
		.amdhsa_system_sgpr_workgroup_id_y 0
		.amdhsa_system_sgpr_workgroup_id_z 0
		.amdhsa_system_sgpr_workgroup_info 0
		.amdhsa_system_vgpr_workitem_id 0
		.amdhsa_next_free_vgpr 1
		.amdhsa_next_free_sgpr 0
		.amdhsa_reserve_vcc 0
		.amdhsa_reserve_flat_scratch 0
		.amdhsa_float_round_mode_32 0
		.amdhsa_float_round_mode_16_64 0
		.amdhsa_float_denorm_mode_32 3
		.amdhsa_float_denorm_mode_16_64 3
		.amdhsa_dx10_clamp 1
		.amdhsa_ieee_mode 1
		.amdhsa_fp16_overflow 0
		.amdhsa_exception_fp_ieee_invalid_op 0
		.amdhsa_exception_fp_denorm_src 0
		.amdhsa_exception_fp_ieee_div_zero 0
		.amdhsa_exception_fp_ieee_overflow 0
		.amdhsa_exception_fp_ieee_underflow 0
		.amdhsa_exception_fp_ieee_inexact 0
		.amdhsa_exception_int_div_zero 0
	.end_amdhsa_kernel
	.section	.text._ZN7rocprim17ROCPRIM_400000_NS6detail17trampoline_kernelINS0_14default_configENS1_36segmented_radix_sort_config_selectorIblEEZNS1_25segmented_radix_sort_implIS3_Lb1EPKbPbPKlPlN2at6native12_GLOBAL__N_18offset_tEEE10hipError_tPvRmT1_PNSt15iterator_traitsISK_E10value_typeET2_T3_PNSL_ISQ_E10value_typeET4_jRbjT5_SW_jjP12ihipStream_tbEUlT_E0_NS1_11comp_targetILNS1_3genE3ELNS1_11target_archE908ELNS1_3gpuE7ELNS1_3repE0EEENS1_60segmented_radix_sort_warp_sort_medium_config_static_selectorELNS0_4arch9wavefront6targetE1EEEvSK_,"axG",@progbits,_ZN7rocprim17ROCPRIM_400000_NS6detail17trampoline_kernelINS0_14default_configENS1_36segmented_radix_sort_config_selectorIblEEZNS1_25segmented_radix_sort_implIS3_Lb1EPKbPbPKlPlN2at6native12_GLOBAL__N_18offset_tEEE10hipError_tPvRmT1_PNSt15iterator_traitsISK_E10value_typeET2_T3_PNSL_ISQ_E10value_typeET4_jRbjT5_SW_jjP12ihipStream_tbEUlT_E0_NS1_11comp_targetILNS1_3genE3ELNS1_11target_archE908ELNS1_3gpuE7ELNS1_3repE0EEENS1_60segmented_radix_sort_warp_sort_medium_config_static_selectorELNS0_4arch9wavefront6targetE1EEEvSK_,comdat
.Lfunc_end1545:
	.size	_ZN7rocprim17ROCPRIM_400000_NS6detail17trampoline_kernelINS0_14default_configENS1_36segmented_radix_sort_config_selectorIblEEZNS1_25segmented_radix_sort_implIS3_Lb1EPKbPbPKlPlN2at6native12_GLOBAL__N_18offset_tEEE10hipError_tPvRmT1_PNSt15iterator_traitsISK_E10value_typeET2_T3_PNSL_ISQ_E10value_typeET4_jRbjT5_SW_jjP12ihipStream_tbEUlT_E0_NS1_11comp_targetILNS1_3genE3ELNS1_11target_archE908ELNS1_3gpuE7ELNS1_3repE0EEENS1_60segmented_radix_sort_warp_sort_medium_config_static_selectorELNS0_4arch9wavefront6targetE1EEEvSK_, .Lfunc_end1545-_ZN7rocprim17ROCPRIM_400000_NS6detail17trampoline_kernelINS0_14default_configENS1_36segmented_radix_sort_config_selectorIblEEZNS1_25segmented_radix_sort_implIS3_Lb1EPKbPbPKlPlN2at6native12_GLOBAL__N_18offset_tEEE10hipError_tPvRmT1_PNSt15iterator_traitsISK_E10value_typeET2_T3_PNSL_ISQ_E10value_typeET4_jRbjT5_SW_jjP12ihipStream_tbEUlT_E0_NS1_11comp_targetILNS1_3genE3ELNS1_11target_archE908ELNS1_3gpuE7ELNS1_3repE0EEENS1_60segmented_radix_sort_warp_sort_medium_config_static_selectorELNS0_4arch9wavefront6targetE1EEEvSK_
                                        ; -- End function
	.set _ZN7rocprim17ROCPRIM_400000_NS6detail17trampoline_kernelINS0_14default_configENS1_36segmented_radix_sort_config_selectorIblEEZNS1_25segmented_radix_sort_implIS3_Lb1EPKbPbPKlPlN2at6native12_GLOBAL__N_18offset_tEEE10hipError_tPvRmT1_PNSt15iterator_traitsISK_E10value_typeET2_T3_PNSL_ISQ_E10value_typeET4_jRbjT5_SW_jjP12ihipStream_tbEUlT_E0_NS1_11comp_targetILNS1_3genE3ELNS1_11target_archE908ELNS1_3gpuE7ELNS1_3repE0EEENS1_60segmented_radix_sort_warp_sort_medium_config_static_selectorELNS0_4arch9wavefront6targetE1EEEvSK_.num_vgpr, 0
	.set _ZN7rocprim17ROCPRIM_400000_NS6detail17trampoline_kernelINS0_14default_configENS1_36segmented_radix_sort_config_selectorIblEEZNS1_25segmented_radix_sort_implIS3_Lb1EPKbPbPKlPlN2at6native12_GLOBAL__N_18offset_tEEE10hipError_tPvRmT1_PNSt15iterator_traitsISK_E10value_typeET2_T3_PNSL_ISQ_E10value_typeET4_jRbjT5_SW_jjP12ihipStream_tbEUlT_E0_NS1_11comp_targetILNS1_3genE3ELNS1_11target_archE908ELNS1_3gpuE7ELNS1_3repE0EEENS1_60segmented_radix_sort_warp_sort_medium_config_static_selectorELNS0_4arch9wavefront6targetE1EEEvSK_.num_agpr, 0
	.set _ZN7rocprim17ROCPRIM_400000_NS6detail17trampoline_kernelINS0_14default_configENS1_36segmented_radix_sort_config_selectorIblEEZNS1_25segmented_radix_sort_implIS3_Lb1EPKbPbPKlPlN2at6native12_GLOBAL__N_18offset_tEEE10hipError_tPvRmT1_PNSt15iterator_traitsISK_E10value_typeET2_T3_PNSL_ISQ_E10value_typeET4_jRbjT5_SW_jjP12ihipStream_tbEUlT_E0_NS1_11comp_targetILNS1_3genE3ELNS1_11target_archE908ELNS1_3gpuE7ELNS1_3repE0EEENS1_60segmented_radix_sort_warp_sort_medium_config_static_selectorELNS0_4arch9wavefront6targetE1EEEvSK_.numbered_sgpr, 0
	.set _ZN7rocprim17ROCPRIM_400000_NS6detail17trampoline_kernelINS0_14default_configENS1_36segmented_radix_sort_config_selectorIblEEZNS1_25segmented_radix_sort_implIS3_Lb1EPKbPbPKlPlN2at6native12_GLOBAL__N_18offset_tEEE10hipError_tPvRmT1_PNSt15iterator_traitsISK_E10value_typeET2_T3_PNSL_ISQ_E10value_typeET4_jRbjT5_SW_jjP12ihipStream_tbEUlT_E0_NS1_11comp_targetILNS1_3genE3ELNS1_11target_archE908ELNS1_3gpuE7ELNS1_3repE0EEENS1_60segmented_radix_sort_warp_sort_medium_config_static_selectorELNS0_4arch9wavefront6targetE1EEEvSK_.num_named_barrier, 0
	.set _ZN7rocprim17ROCPRIM_400000_NS6detail17trampoline_kernelINS0_14default_configENS1_36segmented_radix_sort_config_selectorIblEEZNS1_25segmented_radix_sort_implIS3_Lb1EPKbPbPKlPlN2at6native12_GLOBAL__N_18offset_tEEE10hipError_tPvRmT1_PNSt15iterator_traitsISK_E10value_typeET2_T3_PNSL_ISQ_E10value_typeET4_jRbjT5_SW_jjP12ihipStream_tbEUlT_E0_NS1_11comp_targetILNS1_3genE3ELNS1_11target_archE908ELNS1_3gpuE7ELNS1_3repE0EEENS1_60segmented_radix_sort_warp_sort_medium_config_static_selectorELNS0_4arch9wavefront6targetE1EEEvSK_.private_seg_size, 0
	.set _ZN7rocprim17ROCPRIM_400000_NS6detail17trampoline_kernelINS0_14default_configENS1_36segmented_radix_sort_config_selectorIblEEZNS1_25segmented_radix_sort_implIS3_Lb1EPKbPbPKlPlN2at6native12_GLOBAL__N_18offset_tEEE10hipError_tPvRmT1_PNSt15iterator_traitsISK_E10value_typeET2_T3_PNSL_ISQ_E10value_typeET4_jRbjT5_SW_jjP12ihipStream_tbEUlT_E0_NS1_11comp_targetILNS1_3genE3ELNS1_11target_archE908ELNS1_3gpuE7ELNS1_3repE0EEENS1_60segmented_radix_sort_warp_sort_medium_config_static_selectorELNS0_4arch9wavefront6targetE1EEEvSK_.uses_vcc, 0
	.set _ZN7rocprim17ROCPRIM_400000_NS6detail17trampoline_kernelINS0_14default_configENS1_36segmented_radix_sort_config_selectorIblEEZNS1_25segmented_radix_sort_implIS3_Lb1EPKbPbPKlPlN2at6native12_GLOBAL__N_18offset_tEEE10hipError_tPvRmT1_PNSt15iterator_traitsISK_E10value_typeET2_T3_PNSL_ISQ_E10value_typeET4_jRbjT5_SW_jjP12ihipStream_tbEUlT_E0_NS1_11comp_targetILNS1_3genE3ELNS1_11target_archE908ELNS1_3gpuE7ELNS1_3repE0EEENS1_60segmented_radix_sort_warp_sort_medium_config_static_selectorELNS0_4arch9wavefront6targetE1EEEvSK_.uses_flat_scratch, 0
	.set _ZN7rocprim17ROCPRIM_400000_NS6detail17trampoline_kernelINS0_14default_configENS1_36segmented_radix_sort_config_selectorIblEEZNS1_25segmented_radix_sort_implIS3_Lb1EPKbPbPKlPlN2at6native12_GLOBAL__N_18offset_tEEE10hipError_tPvRmT1_PNSt15iterator_traitsISK_E10value_typeET2_T3_PNSL_ISQ_E10value_typeET4_jRbjT5_SW_jjP12ihipStream_tbEUlT_E0_NS1_11comp_targetILNS1_3genE3ELNS1_11target_archE908ELNS1_3gpuE7ELNS1_3repE0EEENS1_60segmented_radix_sort_warp_sort_medium_config_static_selectorELNS0_4arch9wavefront6targetE1EEEvSK_.has_dyn_sized_stack, 0
	.set _ZN7rocprim17ROCPRIM_400000_NS6detail17trampoline_kernelINS0_14default_configENS1_36segmented_radix_sort_config_selectorIblEEZNS1_25segmented_radix_sort_implIS3_Lb1EPKbPbPKlPlN2at6native12_GLOBAL__N_18offset_tEEE10hipError_tPvRmT1_PNSt15iterator_traitsISK_E10value_typeET2_T3_PNSL_ISQ_E10value_typeET4_jRbjT5_SW_jjP12ihipStream_tbEUlT_E0_NS1_11comp_targetILNS1_3genE3ELNS1_11target_archE908ELNS1_3gpuE7ELNS1_3repE0EEENS1_60segmented_radix_sort_warp_sort_medium_config_static_selectorELNS0_4arch9wavefront6targetE1EEEvSK_.has_recursion, 0
	.set _ZN7rocprim17ROCPRIM_400000_NS6detail17trampoline_kernelINS0_14default_configENS1_36segmented_radix_sort_config_selectorIblEEZNS1_25segmented_radix_sort_implIS3_Lb1EPKbPbPKlPlN2at6native12_GLOBAL__N_18offset_tEEE10hipError_tPvRmT1_PNSt15iterator_traitsISK_E10value_typeET2_T3_PNSL_ISQ_E10value_typeET4_jRbjT5_SW_jjP12ihipStream_tbEUlT_E0_NS1_11comp_targetILNS1_3genE3ELNS1_11target_archE908ELNS1_3gpuE7ELNS1_3repE0EEENS1_60segmented_radix_sort_warp_sort_medium_config_static_selectorELNS0_4arch9wavefront6targetE1EEEvSK_.has_indirect_call, 0
	.section	.AMDGPU.csdata,"",@progbits
; Kernel info:
; codeLenInByte = 0
; TotalNumSgprs: 4
; NumVgprs: 0
; ScratchSize: 0
; MemoryBound: 0
; FloatMode: 240
; IeeeMode: 1
; LDSByteSize: 0 bytes/workgroup (compile time only)
; SGPRBlocks: 0
; VGPRBlocks: 0
; NumSGPRsForWavesPerEU: 4
; NumVGPRsForWavesPerEU: 1
; Occupancy: 10
; WaveLimiterHint : 0
; COMPUTE_PGM_RSRC2:SCRATCH_EN: 0
; COMPUTE_PGM_RSRC2:USER_SGPR: 6
; COMPUTE_PGM_RSRC2:TRAP_HANDLER: 0
; COMPUTE_PGM_RSRC2:TGID_X_EN: 1
; COMPUTE_PGM_RSRC2:TGID_Y_EN: 0
; COMPUTE_PGM_RSRC2:TGID_Z_EN: 0
; COMPUTE_PGM_RSRC2:TIDIG_COMP_CNT: 0
	.text
	.p2align	2                               ; -- Begin function _ZN7rocprim17ROCPRIM_400000_NS6detail26segmented_warp_sort_helperINS1_20WarpSortHelperConfigILj16ELj8ELj256EEEblLi256ELb1EvE4sortIPKbPbPKlPlEEvT_T0_T1_T2_jjjjRNS5_12storage_typeE
	.type	_ZN7rocprim17ROCPRIM_400000_NS6detail26segmented_warp_sort_helperINS1_20WarpSortHelperConfigILj16ELj8ELj256EEEblLi256ELb1EvE4sortIPKbPbPKlPlEEvT_T0_T1_T2_jjjjRNS5_12storage_typeE,@function
_ZN7rocprim17ROCPRIM_400000_NS6detail26segmented_warp_sort_helperINS1_20WarpSortHelperConfigILj16ELj8ELj256EEEblLi256ELb1EvE4sortIPKbPbPKlPlEEvT_T0_T1_T2_jjjjRNS5_12storage_typeE: ; @_ZN7rocprim17ROCPRIM_400000_NS6detail26segmented_warp_sort_helperINS1_20WarpSortHelperConfigILj16ELj8ELj256EEEblLi256ELb1EvE4sortIPKbPbPKlPlEEvT_T0_T1_T2_jjjjRNS5_12storage_typeE
; %bb.0:
	s_waitcnt vmcnt(0) expcnt(0) lgkmcnt(0)
	v_mbcnt_lo_u32_b32 v13, -1, 0
	v_mbcnt_hi_u32_b32 v13, -1, v13
	v_add_co_u32_e32 v0, vcc, v0, v8
	v_lshlrev_b32_e32 v36, 3, v13
	v_addc_co_u32_e32 v1, vcc, 0, v1, vcc
	v_and_b32_e32 v34, 0x78, v36
	v_add_co_u32_e32 v0, vcc, v0, v34
	v_sub_u32_e32 v12, v9, v8
	v_mov_b32_e32 v38, 0
	v_addc_co_u32_e32 v1, vcc, 0, v1, vcc
	v_mov_b32_e32 v9, v38
	v_cmp_lt_u32_e32 vcc, v34, v12
	v_mov_b32_e32 v37, 0
	s_and_saveexec_b64 s[4:5], vcc
	s_cbranch_execz .LBB1546_2
; %bb.1:
	flat_load_ubyte v37, v[0:1]
.LBB1546_2:
	s_or_b64 exec, exec, s[4:5]
	v_or_b32_e32 v13, 1, v34
	v_cmp_lt_u32_e64 s[4:5], v13, v12
	s_and_saveexec_b64 s[6:7], s[4:5]
	s_cbranch_execz .LBB1546_4
; %bb.3:
	flat_load_ubyte v38, v[0:1] offset:1
.LBB1546_4:
	s_or_b64 exec, exec, s[6:7]
	v_or_b32_e32 v13, 2, v34
	v_cmp_lt_u32_e64 s[6:7], v13, v12
	v_mov_b32_e32 v48, 0
	v_mov_b32_e32 v39, 0
	s_and_saveexec_b64 s[10:11], s[6:7]
	s_cbranch_execz .LBB1546_6
; %bb.5:
	flat_load_ubyte v39, v[0:1] offset:2
.LBB1546_6:
	s_or_b64 exec, exec, s[10:11]
	v_or_b32_e32 v13, 3, v34
	v_cmp_lt_u32_e64 s[18:19], v13, v12
	s_and_saveexec_b64 s[10:11], s[18:19]
	s_cbranch_execz .LBB1546_8
; %bb.7:
	flat_load_ubyte v48, v[0:1] offset:3
.LBB1546_8:
	s_or_b64 exec, exec, s[10:11]
	v_or_b32_e32 v13, 4, v34
	v_cmp_lt_u32_e64 s[10:11], v13, v12
	v_mov_b32_e32 v50, 0
	v_mov_b32_e32 v51, 0
	s_and_saveexec_b64 s[14:15], s[10:11]
	s_cbranch_execz .LBB1546_10
; %bb.9:
	flat_load_ubyte v51, v[0:1] offset:4
.LBB1546_10:
	;; [unrolled: 18-line block ×3, first 2 shown]
	s_or_b64 exec, exec, s[16:17]
	v_or_b32_e32 v13, 7, v34
	v_cmp_lt_u32_e64 s[16:17], v13, v12
	s_and_saveexec_b64 s[20:21], s[16:17]
	s_cbranch_execz .LBB1546_16
; %bb.15:
	flat_load_ubyte v49, v[0:1] offset:7
.LBB1546_16:
	s_or_b64 exec, exec, s[20:21]
	v_lshlrev_b64 v[0:1], 3, v[8:9]
	v_lshlrev_b32_e32 v35, 3, v34
	v_add_co_u32_e64 v4, s[20:21], v4, v0
	v_addc_co_u32_e64 v5, s[20:21], v5, v1, s[20:21]
	v_add_co_u32_e64 v26, s[20:21], v4, v35
	v_addc_co_u32_e64 v27, s[20:21], 0, v5, s[20:21]
	; wave barrier
                                        ; implicit-def: $vgpr4_vgpr5
	s_and_saveexec_b64 s[20:21], vcc
	s_cbranch_execnz .LBB1546_243
; %bb.17:
	s_or_b64 exec, exec, s[20:21]
	s_and_saveexec_b64 s[20:21], s[4:5]
                                        ; implicit-def: $vgpr12_vgpr13
	s_cbranch_execnz .LBB1546_244
.LBB1546_18:
	s_or_b64 exec, exec, s[20:21]
                                        ; implicit-def: $vgpr14_vgpr15
	s_and_saveexec_b64 s[20:21], s[6:7]
	s_cbranch_execnz .LBB1546_245
.LBB1546_19:
	s_or_b64 exec, exec, s[20:21]
	s_and_saveexec_b64 s[20:21], s[18:19]
                                        ; implicit-def: $vgpr16_vgpr17
	s_cbranch_execnz .LBB1546_246
.LBB1546_20:
	s_or_b64 exec, exec, s[20:21]
                                        ; implicit-def: $vgpr20_vgpr21
	s_and_saveexec_b64 s[20:21], s[10:11]
	s_cbranch_execnz .LBB1546_247
.LBB1546_21:
	s_or_b64 exec, exec, s[20:21]
	s_and_saveexec_b64 s[20:21], s[24:25]
                                        ; implicit-def: $vgpr22_vgpr23
	s_cbranch_execnz .LBB1546_248
.LBB1546_22:
	s_or_b64 exec, exec, s[20:21]
                                        ; implicit-def: $vgpr18_vgpr19
	s_and_saveexec_b64 s[20:21], s[14:15]
	s_cbranch_execnz .LBB1546_249
.LBB1546_23:
	s_or_b64 exec, exec, s[20:21]
	s_and_saveexec_b64 s[20:21], s[16:17]
                                        ; implicit-def: $vgpr24_vgpr25
	s_cbranch_execz .LBB1546_25
.LBB1546_24:
	flat_load_dwordx2 v[24:25], v[26:27] offset:56
.LBB1546_25:
	s_or_b64 exec, exec, s[20:21]
	v_cmp_ne_u32_e64 s[20:21], 0, v10
	v_cmp_ne_u32_e64 s[22:23], 8, v11
	s_or_b64 s[20:21], s[20:21], s[22:23]
	v_bfe_u32 v9, v31, 10, 10
	v_bfe_u32 v26, v31, 20, 10
	; wave barrier
	s_and_saveexec_b64 s[22:23], s[20:21]
	s_xor_b64 s[42:43], exec, s[22:23]
	s_cbranch_execz .LBB1546_125
; %bb.26:
	s_load_dwordx2 s[26:27], s[8:9], 0x0
	v_cmp_ne_u32_e64 s[20:21], 0, v11
	v_cmp_ne_u32_e64 s[22:23], 0, v10
	s_xor_b64 s[20:21], s[22:23], s[20:21]
	v_cndmask_b32_e64 v10, 0, 1, s[20:21]
	s_waitcnt lgkmcnt(0)
	s_cmp_lt_u32 s13, s27
	s_cselect_b32 s20, 14, 20
	s_add_u32 s20, s8, s20
	s_addc_u32 s21, s9, 0
	s_cmp_lt_u32 s12, s26
	s_cselect_b32 s22, 12, 18
	buffer_store_byte v10, off, s[0:3], s32 offset:6
	v_mov_b32_e32 v11, 0
	s_add_u32 s22, s8, s22
	buffer_load_ubyte v10, off, s[0:3], s32 offset:6
	s_addc_u32 s23, s9, 0
	global_load_ushort v27, v11, s[20:21]
	global_load_ushort v28, v11, s[22:23]
	v_and_b32_e32 v11, 0x3ff, v31
	s_movk_i32 s22, 0x800
	s_waitcnt vmcnt(0)
	v_and_b32_e32 v10, 1, v10
	v_mad_u32_u24 v9, v26, v27, v9
	v_mul_lo_u32 v9, v9, v28
	buffer_store_byte v10, off, s[0:3], s32 offset:5
	v_cmp_eq_u32_e64 s[20:21], 1, v10
	v_and_b32_e32 v10, 1, v10
	v_add_lshl_u32 v53, v9, v11, 3
	v_cmp_gt_u32_e64 s[22:23], s22, v53
	buffer_store_byte v10, off, s[0:3], s32 offset:4
	s_and_saveexec_b64 s[26:27], s[22:23]
	s_cbranch_execz .LBB1546_84
; %bb.27:
	buffer_load_ubyte v54, off, s[0:3], s32 offset:4
	v_mov_b32_e32 v27, v13
	v_mov_b32_e32 v26, v12
	s_waitcnt vmcnt(0)
	v_and_b32_e32 v9, v54, v38
	v_and_b32_e32 v10, v54, v37
	v_and_b32_e32 v9, 1, v9
	v_and_b32_e32 v10, 1, v10
	v_cmp_gt_u16_e64 s[22:23], v9, v10
	s_and_saveexec_b64 s[28:29], s[22:23]
; %bb.28:
	v_mov_b32_e32 v27, v5
	v_mov_b32_e32 v26, v4
	;; [unrolled: 1-line block ×6, first 2 shown]
; %bb.29:
	s_or_b64 exec, exec, s[28:29]
	v_and_b32_e32 v9, v54, v48
	v_and_b32_e32 v10, v54, v39
	v_mov_b32_e32 v29, v17
	v_cmp_gt_u16_sdwa s[28:29], v9, v10 src0_sel:BYTE_0 src1_sel:BYTE_0
	v_mov_b32_e32 v28, v16
	s_and_saveexec_b64 s[22:23], s[28:29]
; %bb.30:
	v_mov_b32_e32 v29, v15
	v_mov_b32_e32 v28, v14
	;; [unrolled: 1-line block ×6, first 2 shown]
; %bb.31:
	s_or_b64 exec, exec, s[22:23]
	v_and_b32_e32 v9, v54, v50
	v_and_b32_e32 v10, v54, v51
	v_mov_b32_e32 v11, v22
	v_cmp_gt_u16_sdwa s[28:29], v9, v10 src0_sel:BYTE_0 src1_sel:BYTE_0
	v_mov_b32_e32 v12, v23
	v_mov_b32_e32 v17, v51
	s_and_saveexec_b64 s[22:23], s[28:29]
; %bb.32:
	v_mov_b32_e32 v11, v20
	v_mov_b32_e32 v12, v21
	;; [unrolled: 1-line block ×6, first 2 shown]
; %bb.33:
	s_or_b64 exec, exec, s[22:23]
	v_and_b32_e32 v9, v54, v49
	v_and_b32_e32 v10, v54, v52
	v_cmp_gt_u16_sdwa s[28:29], v9, v10 src0_sel:BYTE_0 src1_sel:BYTE_0
	v_mov_b32_e32 v9, v24
	v_mov_b32_e32 v10, v25
	;; [unrolled: 1-line block ×3, first 2 shown]
	s_and_saveexec_b64 s[22:23], s[28:29]
; %bb.34:
	v_mov_b32_e32 v9, v18
	v_mov_b32_e32 v10, v19
	;; [unrolled: 1-line block ×6, first 2 shown]
; %bb.35:
	s_or_b64 exec, exec, s[22:23]
	v_and_b32_e32 v13, v39, v54
	v_and_b32_e32 v16, v38, v54
	v_mov_b32_e32 v23, v15
	v_cmp_gt_u16_sdwa s[22:23], v13, v16 src0_sel:BYTE_0 src1_sel:BYTE_0
	v_mov_b32_e32 v22, v14
	s_and_saveexec_b64 s[28:29], s[22:23]
	s_xor_b64 s[22:23], exec, s[28:29]
; %bb.36:
	v_mov_b32_e32 v22, v26
	v_mov_b32_e32 v23, v27
	;; [unrolled: 1-line block ×6, first 2 shown]
; %bb.37:
	s_or_b64 exec, exec, s[22:23]
	v_and_b32_e32 v13, v17, v54
	v_and_b32_e32 v14, v48, v54
	v_mov_b32_e32 v25, v21
	v_cmp_gt_u16_sdwa s[28:29], v13, v14 src0_sel:BYTE_0 src1_sel:BYTE_0
	v_mov_b32_e32 v32, v48
	v_mov_b32_e32 v24, v20
	s_and_saveexec_b64 s[22:23], s[28:29]
; %bb.38:
	v_mov_b32_e32 v24, v28
	v_mov_b32_e32 v25, v29
	;; [unrolled: 1-line block ×6, first 2 shown]
; %bb.39:
	s_or_b64 exec, exec, s[22:23]
	v_and_b32_e32 v13, v33, v54
	v_and_b32_e32 v14, v50, v54
	v_cmp_gt_u16_sdwa s[28:29], v13, v14 src0_sel:BYTE_0 src1_sel:BYTE_0
	v_mov_b32_e32 v13, v18
	v_mov_b32_e32 v14, v19
	;; [unrolled: 1-line block ×3, first 2 shown]
	s_and_saveexec_b64 s[22:23], s[28:29]
; %bb.40:
	v_mov_b32_e32 v14, v12
	v_mov_b32_e32 v13, v11
	;; [unrolled: 1-line block ×6, first 2 shown]
; %bb.41:
	s_or_b64 exec, exec, s[22:23]
	v_and_b32_e32 v15, v38, v54
	v_and_b32_e32 v16, v37, v54
	v_mov_b32_e32 v31, v27
	v_cmp_gt_u16_sdwa s[28:29], v15, v16 src0_sel:BYTE_0 src1_sel:BYTE_0
	v_mov_b32_e32 v30, v26
	s_and_saveexec_b64 s[22:23], s[28:29]
; %bb.42:
	v_mov_b32_e32 v31, v5
	v_mov_b32_e32 v30, v4
	;; [unrolled: 1-line block ×6, first 2 shown]
; %bb.43:
	s_or_b64 exec, exec, s[22:23]
	v_and_b32_e32 v15, v32, v54
	v_and_b32_e32 v16, v39, v54
	v_mov_b32_e32 v26, v28
	v_cmp_gt_u16_sdwa s[28:29], v15, v16 src0_sel:BYTE_0 src1_sel:BYTE_0
	v_mov_b32_e32 v27, v29
	s_and_saveexec_b64 s[22:23], s[28:29]
; %bb.44:
	v_mov_b32_e32 v27, v23
	v_mov_b32_e32 v26, v22
	;; [unrolled: 1-line block ×6, first 2 shown]
; %bb.45:
	s_or_b64 exec, exec, s[22:23]
	v_and_b32_e32 v15, v48, v54
	v_and_b32_e32 v16, v17, v54
	v_cmp_gt_u16_sdwa s[28:29], v15, v16 src0_sel:BYTE_0 src1_sel:BYTE_0
	v_mov_b32_e32 v16, v12
	v_mov_b32_e32 v15, v11
	;; [unrolled: 1-line block ×3, first 2 shown]
	s_and_saveexec_b64 s[22:23], s[28:29]
; %bb.46:
	v_mov_b32_e32 v15, v24
	v_mov_b32_e32 v16, v25
	;; [unrolled: 1-line block ×6, first 2 shown]
; %bb.47:
	s_or_b64 exec, exec, s[22:23]
	v_and_b32_e32 v11, v49, v54
	v_and_b32_e32 v12, v33, v54
	v_cmp_gt_u16_sdwa s[28:29], v11, v12 src0_sel:BYTE_0 src1_sel:BYTE_0
	v_mov_b32_e32 v12, v10
	v_mov_b32_e32 v11, v9
	;; [unrolled: 1-line block ×3, first 2 shown]
	s_and_saveexec_b64 s[22:23], s[28:29]
; %bb.48:
	v_mov_b32_e32 v11, v13
	v_mov_b32_e32 v12, v14
	;; [unrolled: 1-line block ×6, first 2 shown]
; %bb.49:
	s_or_b64 exec, exec, s[22:23]
	v_and_b32_e32 v9, v39, v54
	v_and_b32_e32 v10, v38, v54
	v_mov_b32_e32 v29, v23
	v_cmp_gt_u16_sdwa s[28:29], v9, v10 src0_sel:BYTE_0 src1_sel:BYTE_0
	v_mov_b32_e32 v28, v22
	s_and_saveexec_b64 s[22:23], s[28:29]
; %bb.50:
	v_mov_b32_e32 v28, v30
	v_mov_b32_e32 v29, v31
	v_mov_b32_e32 v31, v23
	v_mov_b32_e32 v39, v38
	v_mov_b32_e32 v38, 1
	v_mov_b32_e32 v30, v22
; %bb.51:
	s_or_b64 exec, exec, s[22:23]
	v_and_b32_e32 v9, v50, v54
	v_and_b32_e32 v10, v32, v54
	v_mov_b32_e32 v17, v24
	v_cmp_gt_u16_sdwa s[28:29], v9, v10 src0_sel:BYTE_0 src1_sel:BYTE_0
	v_mov_b32_e32 v19, v32
	v_mov_b32_e32 v18, v25
	s_and_saveexec_b64 s[22:23], s[28:29]
; %bb.52:
	v_mov_b32_e32 v17, v26
	v_mov_b32_e32 v18, v27
	v_mov_b32_e32 v27, v25
	v_mov_b32_e32 v19, 1
	v_mov_b32_e32 v26, v24
	v_mov_b32_e32 v50, v32
; %bb.53:
	s_or_b64 exec, exec, s[22:23]
	v_and_b32_e32 v9, v51, v54
	v_and_b32_e32 v10, v48, v54
	v_mov_b32_e32 v21, v14
	v_cmp_gt_u16_sdwa s[28:29], v9, v10 src0_sel:BYTE_0 src1_sel:BYTE_0
	v_mov_b32_e32 v20, v13
	;; [unrolled: 16-line block ×3, first 2 shown]
	s_and_saveexec_b64 s[22:23], s[28:29]
; %bb.56:
	v_mov_b32_e32 v25, v5
	v_mov_b32_e32 v24, v4
	;; [unrolled: 1-line block ×6, first 2 shown]
; %bb.57:
	s_or_b64 exec, exec, s[22:23]
	v_and_b32_e32 v9, v19, v54
	v_and_b32_e32 v10, v39, v54
	v_mov_b32_e32 v31, v27
	v_cmp_gt_u16_sdwa s[28:29], v9, v10 src0_sel:BYTE_0 src1_sel:BYTE_0
	v_mov_b32_e32 v30, v26
	s_and_saveexec_b64 s[22:23], s[28:29]
; %bb.58:
	v_mov_b32_e32 v31, v29
	v_mov_b32_e32 v30, v28
	;; [unrolled: 1-line block ×6, first 2 shown]
; %bb.59:
	s_or_b64 exec, exec, s[22:23]
	v_and_b32_e32 v9, v52, v54
	v_and_b32_e32 v10, v50, v54
	v_mov_b32_e32 v23, v16
	v_cmp_gt_u16_sdwa s[28:29], v9, v10 src0_sel:BYTE_0 src1_sel:BYTE_0
	v_mov_b32_e32 v22, v15
	v_mov_b32_e32 v14, v50
	s_and_saveexec_b64 s[22:23], s[28:29]
; %bb.60:
	v_mov_b32_e32 v23, v18
	v_mov_b32_e32 v22, v17
	;; [unrolled: 1-line block ×6, first 2 shown]
; %bb.61:
	s_or_b64 exec, exec, s[22:23]
	v_and_b32_e32 v9, v49, v54
	v_and_b32_e32 v10, v51, v54
	v_cmp_gt_u16_sdwa s[28:29], v9, v10 src0_sel:BYTE_0 src1_sel:BYTE_0
	v_mov_b32_e32 v9, v11
	v_mov_b32_e32 v10, v12
	v_mov_b32_e32 v15, v51
	s_and_saveexec_b64 s[22:23], s[28:29]
; %bb.62:
	v_mov_b32_e32 v9, v20
	v_mov_b32_e32 v10, v21
	;; [unrolled: 1-line block ×6, first 2 shown]
; %bb.63:
	s_or_b64 exec, exec, s[22:23]
	v_and_b32_e32 v11, v39, v54
	v_and_b32_e32 v12, v38, v54
	v_mov_b32_e32 v33, v29
	v_cmp_gt_u16_sdwa s[28:29], v11, v12 src0_sel:BYTE_0 src1_sel:BYTE_0
	v_mov_b32_e32 v32, v28
	s_and_saveexec_b64 s[22:23], s[28:29]
; %bb.64:
	v_mov_b32_e32 v33, v25
	v_mov_b32_e32 v32, v24
	;; [unrolled: 1-line block ×6, first 2 shown]
; %bb.65:
	s_or_b64 exec, exec, s[22:23]
	v_and_b32_e32 v11, v14, v54
	v_and_b32_e32 v12, v19, v54
	v_mov_b32_e32 v27, v18
	v_cmp_gt_u16_sdwa s[28:29], v11, v12 src0_sel:BYTE_0 src1_sel:BYTE_0
	v_mov_b32_e32 v11, v19
	v_mov_b32_e32 v26, v17
	s_and_saveexec_b64 s[22:23], s[28:29]
; %bb.66:
	v_mov_b32_e32 v26, v30
	v_mov_b32_e32 v27, v31
	;; [unrolled: 1-line block ×6, first 2 shown]
; %bb.67:
	s_or_b64 exec, exec, s[22:23]
	v_and_b32_e32 v12, v15, v54
	v_and_b32_e32 v13, v52, v54
	v_mov_b32_e32 v18, v20
	v_cmp_gt_u16_sdwa s[28:29], v12, v13 src0_sel:BYTE_0 src1_sel:BYTE_0
	v_mov_b32_e32 v19, v21
	v_mov_b32_e32 v50, v52
	s_and_saveexec_b64 s[22:23], s[28:29]
; %bb.68:
	v_mov_b32_e32 v18, v22
	v_mov_b32_e32 v19, v23
	v_mov_b32_e32 v23, v21
	v_mov_b32_e32 v50, 1
	v_mov_b32_e32 v22, v20
	v_mov_b32_e32 v15, v52
; %bb.69:
	s_or_b64 exec, exec, s[22:23]
	v_and_b32_e32 v12, v38, v54
	v_and_b32_e32 v13, v37, v54
	v_cmp_gt_u16_sdwa s[28:29], v12, v13 src0_sel:BYTE_0 src1_sel:BYTE_0
	v_mov_b32_e32 v12, v24
	v_mov_b32_e32 v13, v25
	s_and_saveexec_b64 s[22:23], s[28:29]
; %bb.70:
	v_mov_b32_e32 v13, v5
	v_mov_b32_e32 v12, v4
	v_mov_b32_e32 v4, v24
	v_mov_b32_e32 v38, v37
	v_mov_b32_e32 v37, 1
	v_mov_b32_e32 v5, v25
; %bb.71:
	s_or_b64 exec, exec, s[22:23]
	v_and_b32_e32 v16, v11, v54
	v_and_b32_e32 v17, v39, v54
	;; [unrolled: 15-line block ×3, first 2 shown]
	v_mov_b32_e32 v29, v23
	v_cmp_gt_u16_sdwa s[28:29], v20, v21 src0_sel:BYTE_0 src1_sel:BYTE_0
	v_mov_b32_e32 v28, v22
	v_mov_b32_e32 v51, v14
	s_and_saveexec_b64 s[22:23], s[28:29]
; %bb.74:
	v_mov_b32_e32 v29, v27
	v_mov_b32_e32 v28, v26
	;; [unrolled: 1-line block ×6, first 2 shown]
; %bb.75:
	s_or_b64 exec, exec, s[22:23]
	v_and_b32_e32 v14, v49, v54
	v_and_b32_e32 v20, v15, v54
	v_mov_b32_e32 v25, v10
	v_cmp_gt_u16_sdwa s[28:29], v14, v20 src0_sel:BYTE_0 src1_sel:BYTE_0
	v_mov_b32_e32 v24, v9
	v_mov_b32_e32 v52, v15
	s_and_saveexec_b64 s[22:23], s[28:29]
; %bb.76:
	v_mov_b32_e32 v25, v19
	v_mov_b32_e32 v24, v18
	;; [unrolled: 1-line block ×6, first 2 shown]
; %bb.77:
	s_or_b64 exec, exec, s[22:23]
	v_and_b32_e32 v9, v39, v54
	v_and_b32_e32 v10, v38, v54
	v_mov_b32_e32 v14, v32
	v_cmp_gt_u16_sdwa s[28:29], v9, v10 src0_sel:BYTE_0 src1_sel:BYTE_0
	v_mov_b32_e32 v15, v33
	s_and_saveexec_b64 s[22:23], s[28:29]
; %bb.78:
	v_mov_b32_e32 v15, v13
	v_mov_b32_e32 v14, v12
	;; [unrolled: 1-line block ×6, first 2 shown]
; %bb.79:
	s_or_b64 exec, exec, s[22:23]
	v_and_b32_e32 v9, v51, v54
	v_and_b32_e32 v10, v11, v54
	v_mov_b32_e32 v20, v26
	v_cmp_gt_u16_sdwa s[28:29], v9, v10 src0_sel:BYTE_0 src1_sel:BYTE_0
	v_mov_b32_e32 v48, v11
	v_mov_b32_e32 v21, v27
	s_and_saveexec_b64 s[22:23], s[28:29]
; %bb.80:
	v_mov_b32_e32 v21, v17
	v_mov_b32_e32 v20, v16
	v_mov_b32_e32 v16, v26
	v_mov_b32_e32 v48, 1
	v_mov_b32_e32 v17, v27
	v_mov_b32_e32 v51, v11
; %bb.81:
	s_or_b64 exec, exec, s[22:23]
	v_and_b32_e32 v9, v52, v54
	v_and_b32_e32 v10, v50, v54
	v_mov_b32_e32 v22, v28
	v_cmp_gt_u16_sdwa s[28:29], v9, v10 src0_sel:BYTE_0 src1_sel:BYTE_0
	v_mov_b32_e32 v23, v29
	s_and_saveexec_b64 s[22:23], s[28:29]
; %bb.82:
	v_mov_b32_e32 v23, v19
	v_mov_b32_e32 v22, v18
	;; [unrolled: 1-line block ×6, first 2 shown]
; %bb.83:
	s_or_b64 exec, exec, s[22:23]
.LBB1546_84:
	s_or_b64 exec, exec, s[26:27]
	v_cndmask_b32_e64 v9, 0, 1, s[20:21]
	v_and_b32_e32 v10, 0xfffffe00, v53
	buffer_store_byte v9, off, s[0:3], s32 offset:3
	v_lshlrev_b32_e32 v9, 3, v10
	v_lshl_add_u32 v26, v36, 3, v9
	v_add_u32_e32 v27, 0x800, v26
	ds_write2_b64 v27, v[4:5], v[12:13] offset1:1
	v_add_u32_e32 v27, 0x810, v26
	ds_write2_b64 v27, v[14:15], v[16:17] offset1:1
	v_add_u32_e32 v27, 0x820, v26
	s_mov_b32 s20, 0xc0c0004
	ds_write2_b64 v27, v[20:21], v[22:23] offset1:1
	v_perm_b32 v27, v51, v50, s20
	v_perm_b32 v28, v52, v49, s20
	v_lshl_or_b32 v28, v28, 16, v27
	v_perm_b32 v27, v37, v38, s20
	v_perm_b32 v30, v39, v48, s20
	v_add_u32_e32 v11, v10, v36
	v_lshl_or_b32 v27, v30, 16, v27
	v_add_u32_e32 v29, 0x830, v26
	ds_write_b64 v11, v[27:28]
	ds_write2_b64 v29, v[18:19], v[24:25] offset1:1
	; wave barrier
	buffer_load_ubyte v53, off, s[0:3], s32 offset:3
	s_movk_i32 s20, 0x800
	v_or_b32_e32 v28, 8, v36
	v_sub_u32_e64 v27, s20, v10 clamp
	v_and_b32_e32 v29, 8, v36
	v_min_u32_e32 v28, v27, v28
	v_and_b32_e32 v30, 0x3f0, v36
	v_min_u32_e32 v31, v27, v29
	v_add_u32_e32 v29, 8, v28
	v_sub_u32_e32 v32, v28, v30
	v_min_u32_e32 v29, v27, v29
	v_min_u32_e32 v33, v31, v32
	v_sub_u32_e32 v32, v29, v28
	v_sub_u32_e64 v32, v31, v32 clamp
	v_cmp_lt_u32_e64 s[22:23], v32, v33
	s_waitcnt vmcnt(0)
	v_and_b32_e32 v53, 1, v53
	v_cmp_eq_u32_e64 s[20:21], 1, v53
	buffer_store_byte v53, off, s[0:3], s32 offset:2
	s_and_saveexec_b64 s[26:27], s[22:23]
	s_cbranch_execz .LBB1546_88
; %bb.85:
	buffer_load_ubyte v53, off, s[0:3], s32 offset:2
	v_add_u32_e32 v54, v10, v30
	v_add3_u32 v55, v10, v28, v31
	s_mov_b64 s[28:29], 0
.LBB1546_86:                            ; =>This Inner Loop Header: Depth=1
	v_add_u32_e32 v64, v33, v32
	v_lshrrev_b32_e32 v64, 1, v64
	v_add_u32_e32 v65, v54, v64
	v_xad_u32 v66, v64, -1, v55
	ds_read_u8 v66, v66
	ds_read_u8 v65, v65
	v_add_u32_e32 v67, 1, v64
	s_waitcnt vmcnt(0) lgkmcnt(1)
	v_and_b32_e32 v66, v66, v53
	s_waitcnt lgkmcnt(0)
	v_and_b32_e32 v65, v65, v53
	v_and_b32_e32 v66, 1, v66
	v_and_b32_e32 v65, 1, v65
	v_cmp_gt_u16_e64 s[22:23], v66, v65
	v_cndmask_b32_e64 v33, v33, v64, s[22:23]
	v_cndmask_b32_e64 v32, v67, v32, s[22:23]
	v_cmp_ge_u32_e64 s[22:23], v32, v33
	s_or_b64 s[28:29], s[22:23], s[28:29]
	s_andn2_b64 exec, exec, s[28:29]
	s_cbranch_execnz .LBB1546_86
; %bb.87:
	s_or_b64 exec, exec, s[28:29]
.LBB1546_88:
	s_or_b64 exec, exec, s[26:27]
	v_cndmask_b32_e64 v33, 0, 1, s[20:21]
	buffer_store_byte v33, off, s[0:3], s32 offset:1
	buffer_load_ubyte v33, off, s[0:3], s32 offset:1
	v_add_u32_e32 v31, v28, v31
	v_add_u32_e32 v30, v32, v30
	v_sub_u32_e32 v31, v31, v32
	v_cmp_le_u32_e64 s[20:21], v30, v28
	v_cmp_le_u32_e64 s[22:23], v31, v29
	s_or_b64 s[20:21], s[20:21], s[22:23]
	s_waitcnt vmcnt(0)
	v_and_b32_e32 v32, 1, v33
	buffer_store_byte v32, off, s[0:3], s32
	s_and_saveexec_b64 s[44:45], s[20:21]
	s_cbranch_execz .LBB1546_94
; %bb.89:
	v_cmp_ge_u32_e64 s[20:21], v30, v28
	v_cmp_lt_u32_e64 s[22:23], v30, v28
                                        ; implicit-def: $vgpr12
	s_and_saveexec_b64 s[26:27], s[22:23]
; %bb.90:
	v_add_u32_e32 v4, v10, v30
	ds_read_u8 v12, v4
; %bb.91:
	s_or_b64 exec, exec, s[26:27]
	v_cmp_ge_u32_e64 s[22:23], v31, v29
	v_cmp_lt_u32_e64 s[26:27], v31, v29
                                        ; implicit-def: $vgpr13
	s_and_saveexec_b64 s[28:29], s[26:27]
; %bb.92:
	v_add_u32_e32 v4, v10, v31
	ds_read_u8 v13, v4
; %bb.93:
	s_or_b64 exec, exec, s[28:29]
	buffer_load_ubyte v24, off, s[0:3], s32
	v_cndmask_b32_e64 v4, 0, 1, s[22:23]
	s_or_b64 s[20:21], s[20:21], s[22:23]
	s_waitcnt vmcnt(0) lgkmcnt(0)
	v_and_b32_e32 v5, v24, v13
	v_and_b32_e32 v14, v24, v12
	;; [unrolled: 1-line block ×4, first 2 shown]
	v_cmp_le_u16_e64 s[26:27], v5, v14
	v_cndmask_b32_e64 v5, 0, 1, s[26:27]
	v_cndmask_b32_e64 v4, v5, v4, s[20:21]
	v_and_b32_e32 v4, 1, v4
	v_cmp_eq_u32_e64 s[20:21], 1, v4
	v_cndmask_b32_e64 v4, v31, v30, s[20:21]
	v_cndmask_b32_e64 v5, v29, v28, s[20:21]
	v_lshl_add_u32 v14, v4, 3, v9
	v_add_u32_e32 v15, 1, v4
	v_add_u32_e32 v4, -1, v5
	v_min_u32_e32 v4, v15, v4
	v_add_u32_e32 v16, v10, v4
	ds_read_b64 v[4:5], v14 offset:2048
	ds_read_u8 v14, v16
	v_cndmask_b32_e64 v37, v13, v12, s[20:21]
	v_cndmask_b32_e64 v16, v15, v31, s[20:21]
	v_cndmask_b32_e64 v15, v30, v15, s[20:21]
	v_cmp_lt_u32_e64 s[26:27], v15, v28
	s_waitcnt lgkmcnt(0)
	v_cndmask_b32_e64 v17, v14, v13, s[20:21]
	v_cndmask_b32_e64 v14, v12, v14, s[20:21]
	v_and_b32_e32 v12, v17, v24
	v_and_b32_e32 v13, v14, v24
	v_cmp_le_u16_sdwa s[20:21], v12, v13 src0_sel:BYTE_0 src1_sel:BYTE_0
	v_cmp_ge_u32_e64 s[22:23], v16, v29
	s_and_b64 s[20:21], s[26:27], s[20:21]
	s_or_b64 s[20:21], s[22:23], s[20:21]
	v_cndmask_b32_e64 v12, v16, v15, s[20:21]
	v_cndmask_b32_e64 v13, v29, v28, s[20:21]
	v_lshl_add_u32 v18, v12, 3, v9
	v_add_u32_e32 v19, 1, v12
	v_add_u32_e32 v12, -1, v13
	v_min_u32_e32 v12, v19, v12
	v_add_u32_e32 v20, v10, v12
	ds_read_b64 v[12:13], v18 offset:2048
	ds_read_u8 v18, v20
	v_cndmask_b32_e64 v38, v17, v14, s[20:21]
	v_cndmask_b32_e64 v16, v19, v16, s[20:21]
	v_cndmask_b32_e64 v19, v15, v19, s[20:21]
	v_cmp_lt_u32_e64 s[26:27], v19, v28
	s_waitcnt lgkmcnt(0)
	v_cndmask_b32_e64 v17, v18, v17, s[20:21]
	v_cndmask_b32_e64 v18, v14, v18, s[20:21]
	v_and_b32_e32 v14, v17, v24
	v_and_b32_e32 v15, v18, v24
	v_cmp_le_u16_sdwa s[20:21], v14, v15 src0_sel:BYTE_0 src1_sel:BYTE_0
	v_cmp_ge_u32_e64 s[22:23], v16, v29
	s_and_b64 s[20:21], s[26:27], s[20:21]
	s_or_b64 s[20:21], s[22:23], s[20:21]
	;; [unrolled: 22-line block ×4, first 2 shown]
	v_cndmask_b32_e64 v18, v22, v19, s[20:21]
	v_cndmask_b32_e64 v20, v29, v28, s[20:21]
	v_lshl_add_u32 v21, v18, 3, v9
	v_add_u32_e32 v18, 1, v18
	v_add_u32_e32 v20, -1, v20
	v_min_u32_e32 v20, v18, v20
	v_add_u32_e32 v23, v10, v20
	ds_read_b64 v[20:21], v21 offset:2048
	ds_read_u8 v23, v23
	v_cndmask_b32_e64 v25, v18, v22, s[20:21]
	v_cndmask_b32_e64 v18, v19, v18, s[20:21]
	v_cmp_lt_u32_e64 s[26:27], v18, v28
	v_cmp_ge_u32_e64 s[22:23], v25, v29
	s_waitcnt lgkmcnt(0)
	v_cndmask_b32_e64 v32, v23, v30, s[20:21]
	v_cndmask_b32_e64 v33, v31, v23, s[20:21]
	v_and_b32_e32 v19, v32, v24
	v_and_b32_e32 v22, v33, v24
	v_cmp_le_u16_sdwa s[28:29], v19, v22 src0_sel:BYTE_0 src1_sel:BYTE_0
	s_and_b64 s[26:27], s[26:27], s[28:29]
	s_or_b64 s[22:23], s[22:23], s[26:27]
	v_cndmask_b32_e64 v19, v25, v18, s[22:23]
	v_cndmask_b32_e64 v22, v29, v28, s[22:23]
	v_lshl_add_u32 v23, v19, 3, v9
	v_add_u32_e32 v19, 1, v19
	v_add_u32_e32 v22, -1, v22
	v_min_u32_e32 v22, v19, v22
	v_add_u32_e32 v49, v10, v22
	ds_read_b64 v[22:23], v23 offset:2048
	ds_read_u8 v49, v49
	v_cndmask_b32_e64 v25, v19, v25, s[22:23]
	v_cndmask_b32_e64 v50, v18, v19, s[22:23]
	v_cmp_lt_u32_e64 s[28:29], v50, v28
	v_cmp_ge_u32_e64 s[26:27], v25, v29
	s_waitcnt lgkmcnt(0)
	v_cndmask_b32_e64 v52, v49, v32, s[22:23]
	v_cndmask_b32_e64 v49, v33, v49, s[22:23]
	v_and_b32_e32 v18, v52, v24
	v_and_b32_e32 v19, v49, v24
	v_cmp_le_u16_sdwa s[40:41], v18, v19 src0_sel:BYTE_0 src1_sel:BYTE_0
	s_and_b64 s[28:29], s[28:29], s[40:41]
	s_or_b64 s[26:27], s[26:27], s[28:29]
	v_cndmask_b32_e64 v18, v25, v50, s[26:27]
	v_cndmask_b32_e64 v19, v29, v28, s[26:27]
	v_lshl_add_u32 v51, v18, 3, v9
	v_add_u32_e32 v53, 1, v18
	v_add_u32_e32 v18, -1, v19
	v_min_u32_e32 v18, v53, v18
	v_add_u32_e32 v54, v10, v18
	ds_read_b64 v[18:19], v51 offset:2048
	ds_read_u8 v51, v54
	v_cndmask_b32_e64 v25, v53, v25, s[26:27]
	v_cndmask_b32_e64 v50, v50, v53, s[26:27]
	v_cmp_ge_u32_e64 s[28:29], v25, v29
	v_cmp_lt_u32_e64 s[40:41], v50, v28
	s_waitcnt lgkmcnt(0)
	v_cndmask_b32_e64 v28, v51, v52, s[26:27]
	v_cndmask_b32_e64 v29, v49, v51, s[26:27]
	v_and_b32_e32 v51, v28, v24
	v_and_b32_e32 v24, v29, v24
	v_cmp_le_u16_sdwa s[46:47], v51, v24 src0_sel:BYTE_0 src1_sel:BYTE_0
	s_and_b64 s[40:41], s[40:41], s[46:47]
	s_or_b64 s[28:29], s[28:29], s[40:41]
	v_cndmask_b32_e64 v24, v25, v50, s[28:29]
	v_lshl_add_u32 v24, v24, 3, v9
	ds_read_b64 v[24:25], v24 offset:2048
	v_cndmask_b32_e64 v51, v30, v31, s[20:21]
	v_cndmask_b32_e64 v50, v32, v33, s[22:23]
	;; [unrolled: 1-line block ×4, first 2 shown]
.LBB1546_94:
	s_or_b64 exec, exec, s[44:45]
	v_add_u32_e32 v28, 0x800, v26
	; wave barrier
	ds_write2_b64 v28, v[4:5], v[12:13] offset1:1
	v_add_u32_e32 v28, 0x810, v26
	ds_write2_b64 v28, v[14:15], v[16:17] offset1:1
	v_add_u32_e32 v28, 0x820, v26
	s_mov_b32 s20, 0xc0c0004
	ds_write2_b64 v28, v[20:21], v[22:23] offset1:1
	v_perm_b32 v28, v51, v50, s20
	v_perm_b32 v29, v52, v49, s20
	v_lshl_or_b32 v29, v29, 16, v28
	v_perm_b32 v28, v37, v38, s20
	v_perm_b32 v31, v39, v48, s20
	v_lshl_or_b32 v28, v31, 16, v28
	v_add_u32_e32 v30, 0x830, v26
	ds_write_b64 v11, v[28:29]
	s_waitcnt lgkmcnt(4)
	ds_write2_b64 v30, v[18:19], v[24:25] offset1:1
	; wave barrier
	buffer_load_ubyte v53, off, s[0:3], s32 offset:3
	v_and_b32_e32 v30, 0x3e0, v36
	v_and_b32_e32 v28, 24, v36
	v_or_b32_e32 v29, 16, v30
	v_min_u32_e32 v31, v27, v28
	v_min_u32_e32 v28, v27, v29
	v_add_u32_e32 v29, 16, v28
	v_sub_u32_e32 v32, v28, v30
	v_min_u32_e32 v29, v27, v29
	v_min_u32_e32 v33, v31, v32
	v_sub_u32_e32 v32, v29, v28
	v_sub_u32_e64 v32, v31, v32 clamp
	v_cmp_lt_u32_e64 s[22:23], v32, v33
	s_waitcnt vmcnt(0)
	v_and_b32_e32 v53, 1, v53
	v_cmp_eq_u32_e64 s[20:21], 1, v53
	buffer_store_byte v53, off, s[0:3], s32 offset:2
	s_and_saveexec_b64 s[26:27], s[22:23]
	s_cbranch_execz .LBB1546_98
; %bb.95:
	buffer_load_ubyte v53, off, s[0:3], s32 offset:2
	v_add_u32_e32 v54, v10, v30
	v_add3_u32 v55, v10, v28, v31
	s_mov_b64 s[28:29], 0
.LBB1546_96:                            ; =>This Inner Loop Header: Depth=1
	v_add_u32_e32 v64, v33, v32
	v_lshrrev_b32_e32 v64, 1, v64
	v_add_u32_e32 v65, v54, v64
	v_xad_u32 v66, v64, -1, v55
	ds_read_u8 v66, v66
	ds_read_u8 v65, v65
	v_add_u32_e32 v67, 1, v64
	s_waitcnt vmcnt(0) lgkmcnt(1)
	v_and_b32_e32 v66, v66, v53
	s_waitcnt lgkmcnt(0)
	v_and_b32_e32 v65, v65, v53
	v_and_b32_e32 v66, 1, v66
	;; [unrolled: 1-line block ×3, first 2 shown]
	v_cmp_gt_u16_e64 s[22:23], v66, v65
	v_cndmask_b32_e64 v33, v33, v64, s[22:23]
	v_cndmask_b32_e64 v32, v67, v32, s[22:23]
	v_cmp_ge_u32_e64 s[22:23], v32, v33
	s_or_b64 s[28:29], s[22:23], s[28:29]
	s_andn2_b64 exec, exec, s[28:29]
	s_cbranch_execnz .LBB1546_96
; %bb.97:
	s_or_b64 exec, exec, s[28:29]
.LBB1546_98:
	s_or_b64 exec, exec, s[26:27]
	v_cndmask_b32_e64 v33, 0, 1, s[20:21]
	buffer_store_byte v33, off, s[0:3], s32 offset:1
	buffer_load_ubyte v33, off, s[0:3], s32 offset:1
	v_add_u32_e32 v31, v28, v31
	v_add_u32_e32 v30, v32, v30
	v_sub_u32_e32 v31, v31, v32
	v_cmp_le_u32_e64 s[20:21], v30, v28
	v_cmp_le_u32_e64 s[22:23], v31, v29
	s_or_b64 s[20:21], s[20:21], s[22:23]
	s_waitcnt vmcnt(0)
	v_and_b32_e32 v32, 1, v33
	buffer_store_byte v32, off, s[0:3], s32
	s_and_saveexec_b64 s[44:45], s[20:21]
	s_cbranch_execz .LBB1546_104
; %bb.99:
	v_cmp_ge_u32_e64 s[20:21], v30, v28
	v_cmp_lt_u32_e64 s[22:23], v30, v28
                                        ; implicit-def: $vgpr12
	s_and_saveexec_b64 s[26:27], s[22:23]
; %bb.100:
	v_add_u32_e32 v4, v10, v30
	ds_read_u8 v12, v4
; %bb.101:
	s_or_b64 exec, exec, s[26:27]
	v_cmp_ge_u32_e64 s[22:23], v31, v29
	v_cmp_lt_u32_e64 s[26:27], v31, v29
                                        ; implicit-def: $vgpr13
	s_and_saveexec_b64 s[28:29], s[26:27]
; %bb.102:
	v_add_u32_e32 v4, v10, v31
	ds_read_u8 v13, v4
; %bb.103:
	s_or_b64 exec, exec, s[28:29]
	buffer_load_ubyte v24, off, s[0:3], s32
	v_cndmask_b32_e64 v4, 0, 1, s[22:23]
	s_or_b64 s[20:21], s[20:21], s[22:23]
	s_waitcnt vmcnt(0) lgkmcnt(0)
	v_and_b32_e32 v5, v24, v13
	v_and_b32_e32 v14, v24, v12
	;; [unrolled: 1-line block ×4, first 2 shown]
	v_cmp_le_u16_e64 s[26:27], v5, v14
	v_cndmask_b32_e64 v5, 0, 1, s[26:27]
	v_cndmask_b32_e64 v4, v5, v4, s[20:21]
	v_and_b32_e32 v4, 1, v4
	v_cmp_eq_u32_e64 s[20:21], 1, v4
	v_cndmask_b32_e64 v4, v31, v30, s[20:21]
	v_cndmask_b32_e64 v5, v29, v28, s[20:21]
	v_lshl_add_u32 v14, v4, 3, v9
	v_add_u32_e32 v15, 1, v4
	v_add_u32_e32 v4, -1, v5
	v_min_u32_e32 v4, v15, v4
	v_add_u32_e32 v16, v10, v4
	ds_read_b64 v[4:5], v14 offset:2048
	ds_read_u8 v14, v16
	v_cndmask_b32_e64 v37, v13, v12, s[20:21]
	v_cndmask_b32_e64 v16, v15, v31, s[20:21]
	v_cndmask_b32_e64 v15, v30, v15, s[20:21]
	v_cmp_lt_u32_e64 s[26:27], v15, v28
	s_waitcnt lgkmcnt(0)
	v_cndmask_b32_e64 v17, v14, v13, s[20:21]
	v_cndmask_b32_e64 v14, v12, v14, s[20:21]
	v_and_b32_e32 v12, v17, v24
	v_and_b32_e32 v13, v14, v24
	v_cmp_le_u16_sdwa s[20:21], v12, v13 src0_sel:BYTE_0 src1_sel:BYTE_0
	v_cmp_ge_u32_e64 s[22:23], v16, v29
	s_and_b64 s[20:21], s[26:27], s[20:21]
	s_or_b64 s[20:21], s[22:23], s[20:21]
	v_cndmask_b32_e64 v12, v16, v15, s[20:21]
	v_cndmask_b32_e64 v13, v29, v28, s[20:21]
	v_lshl_add_u32 v18, v12, 3, v9
	v_add_u32_e32 v19, 1, v12
	v_add_u32_e32 v12, -1, v13
	v_min_u32_e32 v12, v19, v12
	v_add_u32_e32 v20, v10, v12
	ds_read_b64 v[12:13], v18 offset:2048
	ds_read_u8 v18, v20
	v_cndmask_b32_e64 v38, v17, v14, s[20:21]
	v_cndmask_b32_e64 v16, v19, v16, s[20:21]
	v_cndmask_b32_e64 v19, v15, v19, s[20:21]
	v_cmp_lt_u32_e64 s[26:27], v19, v28
	s_waitcnt lgkmcnt(0)
	v_cndmask_b32_e64 v17, v18, v17, s[20:21]
	v_cndmask_b32_e64 v18, v14, v18, s[20:21]
	v_and_b32_e32 v14, v17, v24
	v_and_b32_e32 v15, v18, v24
	v_cmp_le_u16_sdwa s[20:21], v14, v15 src0_sel:BYTE_0 src1_sel:BYTE_0
	v_cmp_ge_u32_e64 s[22:23], v16, v29
	s_and_b64 s[20:21], s[26:27], s[20:21]
	s_or_b64 s[20:21], s[22:23], s[20:21]
	;; [unrolled: 22-line block ×4, first 2 shown]
	v_cndmask_b32_e64 v18, v22, v19, s[20:21]
	v_cndmask_b32_e64 v20, v29, v28, s[20:21]
	v_lshl_add_u32 v21, v18, 3, v9
	v_add_u32_e32 v18, 1, v18
	v_add_u32_e32 v20, -1, v20
	v_min_u32_e32 v20, v18, v20
	v_add_u32_e32 v23, v10, v20
	ds_read_b64 v[20:21], v21 offset:2048
	ds_read_u8 v23, v23
	v_cndmask_b32_e64 v25, v18, v22, s[20:21]
	v_cndmask_b32_e64 v18, v19, v18, s[20:21]
	v_cmp_lt_u32_e64 s[26:27], v18, v28
	v_cmp_ge_u32_e64 s[22:23], v25, v29
	s_waitcnt lgkmcnt(0)
	v_cndmask_b32_e64 v32, v23, v30, s[20:21]
	v_cndmask_b32_e64 v33, v31, v23, s[20:21]
	v_and_b32_e32 v19, v32, v24
	v_and_b32_e32 v22, v33, v24
	v_cmp_le_u16_sdwa s[28:29], v19, v22 src0_sel:BYTE_0 src1_sel:BYTE_0
	s_and_b64 s[26:27], s[26:27], s[28:29]
	s_or_b64 s[22:23], s[22:23], s[26:27]
	v_cndmask_b32_e64 v19, v25, v18, s[22:23]
	v_cndmask_b32_e64 v22, v29, v28, s[22:23]
	v_lshl_add_u32 v23, v19, 3, v9
	v_add_u32_e32 v19, 1, v19
	v_add_u32_e32 v22, -1, v22
	v_min_u32_e32 v22, v19, v22
	v_add_u32_e32 v49, v10, v22
	ds_read_b64 v[22:23], v23 offset:2048
	ds_read_u8 v49, v49
	v_cndmask_b32_e64 v25, v19, v25, s[22:23]
	v_cndmask_b32_e64 v50, v18, v19, s[22:23]
	v_cmp_lt_u32_e64 s[28:29], v50, v28
	v_cmp_ge_u32_e64 s[26:27], v25, v29
	s_waitcnt lgkmcnt(0)
	v_cndmask_b32_e64 v52, v49, v32, s[22:23]
	v_cndmask_b32_e64 v49, v33, v49, s[22:23]
	v_and_b32_e32 v18, v52, v24
	v_and_b32_e32 v19, v49, v24
	v_cmp_le_u16_sdwa s[40:41], v18, v19 src0_sel:BYTE_0 src1_sel:BYTE_0
	s_and_b64 s[28:29], s[28:29], s[40:41]
	s_or_b64 s[26:27], s[26:27], s[28:29]
	v_cndmask_b32_e64 v18, v25, v50, s[26:27]
	v_cndmask_b32_e64 v19, v29, v28, s[26:27]
	v_lshl_add_u32 v51, v18, 3, v9
	v_add_u32_e32 v53, 1, v18
	v_add_u32_e32 v18, -1, v19
	v_min_u32_e32 v18, v53, v18
	v_add_u32_e32 v54, v10, v18
	ds_read_b64 v[18:19], v51 offset:2048
	ds_read_u8 v51, v54
	v_cndmask_b32_e64 v25, v53, v25, s[26:27]
	v_cndmask_b32_e64 v50, v50, v53, s[26:27]
	v_cmp_ge_u32_e64 s[28:29], v25, v29
	v_cmp_lt_u32_e64 s[40:41], v50, v28
	s_waitcnt lgkmcnt(0)
	v_cndmask_b32_e64 v28, v51, v52, s[26:27]
	v_cndmask_b32_e64 v29, v49, v51, s[26:27]
	v_and_b32_e32 v51, v28, v24
	v_and_b32_e32 v24, v29, v24
	v_cmp_le_u16_sdwa s[46:47], v51, v24 src0_sel:BYTE_0 src1_sel:BYTE_0
	s_and_b64 s[40:41], s[40:41], s[46:47]
	s_or_b64 s[28:29], s[28:29], s[40:41]
	v_cndmask_b32_e64 v24, v25, v50, s[28:29]
	v_lshl_add_u32 v24, v24, 3, v9
	ds_read_b64 v[24:25], v24 offset:2048
	v_cndmask_b32_e64 v51, v30, v31, s[20:21]
	v_cndmask_b32_e64 v50, v32, v33, s[22:23]
	;; [unrolled: 1-line block ×4, first 2 shown]
.LBB1546_104:
	s_or_b64 exec, exec, s[44:45]
	v_add_u32_e32 v28, 0x800, v26
	; wave barrier
	ds_write2_b64 v28, v[4:5], v[12:13] offset1:1
	v_add_u32_e32 v28, 0x810, v26
	ds_write2_b64 v28, v[14:15], v[16:17] offset1:1
	v_add_u32_e32 v28, 0x820, v26
	s_mov_b32 s20, 0xc0c0004
	ds_write2_b64 v28, v[20:21], v[22:23] offset1:1
	v_perm_b32 v28, v51, v50, s20
	v_perm_b32 v29, v52, v49, s20
	v_lshl_or_b32 v29, v29, 16, v28
	v_perm_b32 v28, v37, v38, s20
	v_perm_b32 v31, v39, v48, s20
	v_lshl_or_b32 v28, v31, 16, v28
	v_add_u32_e32 v30, 0x830, v26
	ds_write_b64 v11, v[28:29]
	s_waitcnt lgkmcnt(4)
	ds_write2_b64 v30, v[18:19], v[24:25] offset1:1
	; wave barrier
	buffer_load_ubyte v53, off, s[0:3], s32 offset:3
	v_and_b32_e32 v30, 0x3c0, v36
	v_and_b32_e32 v28, 56, v36
	v_or_b32_e32 v29, 32, v30
	v_min_u32_e32 v31, v27, v28
	v_min_u32_e32 v28, v27, v29
	v_add_u32_e32 v29, 32, v28
	v_sub_u32_e32 v32, v28, v30
	v_min_u32_e32 v29, v27, v29
	v_min_u32_e32 v33, v31, v32
	v_sub_u32_e32 v32, v29, v28
	v_sub_u32_e64 v32, v31, v32 clamp
	v_cmp_lt_u32_e64 s[22:23], v32, v33
	s_waitcnt vmcnt(0)
	v_and_b32_e32 v53, 1, v53
	v_cmp_eq_u32_e64 s[20:21], 1, v53
	buffer_store_byte v53, off, s[0:3], s32 offset:2
	s_and_saveexec_b64 s[26:27], s[22:23]
	s_cbranch_execz .LBB1546_108
; %bb.105:
	buffer_load_ubyte v53, off, s[0:3], s32 offset:2
	v_add_u32_e32 v54, v10, v30
	v_add3_u32 v55, v10, v28, v31
	s_mov_b64 s[28:29], 0
.LBB1546_106:                           ; =>This Inner Loop Header: Depth=1
	v_add_u32_e32 v64, v33, v32
	v_lshrrev_b32_e32 v64, 1, v64
	v_add_u32_e32 v65, v54, v64
	v_xad_u32 v66, v64, -1, v55
	ds_read_u8 v66, v66
	ds_read_u8 v65, v65
	v_add_u32_e32 v67, 1, v64
	s_waitcnt vmcnt(0) lgkmcnt(1)
	v_and_b32_e32 v66, v66, v53
	s_waitcnt lgkmcnt(0)
	v_and_b32_e32 v65, v65, v53
	v_and_b32_e32 v66, 1, v66
	;; [unrolled: 1-line block ×3, first 2 shown]
	v_cmp_gt_u16_e64 s[22:23], v66, v65
	v_cndmask_b32_e64 v33, v33, v64, s[22:23]
	v_cndmask_b32_e64 v32, v67, v32, s[22:23]
	v_cmp_ge_u32_e64 s[22:23], v32, v33
	s_or_b64 s[28:29], s[22:23], s[28:29]
	s_andn2_b64 exec, exec, s[28:29]
	s_cbranch_execnz .LBB1546_106
; %bb.107:
	s_or_b64 exec, exec, s[28:29]
.LBB1546_108:
	s_or_b64 exec, exec, s[26:27]
	v_cndmask_b32_e64 v33, 0, 1, s[20:21]
	buffer_store_byte v33, off, s[0:3], s32 offset:1
	buffer_load_ubyte v33, off, s[0:3], s32 offset:1
	v_add_u32_e32 v31, v28, v31
	v_add_u32_e32 v30, v32, v30
	v_sub_u32_e32 v31, v31, v32
	v_cmp_le_u32_e64 s[20:21], v30, v28
	v_cmp_le_u32_e64 s[22:23], v31, v29
	s_or_b64 s[20:21], s[20:21], s[22:23]
	s_waitcnt vmcnt(0)
	v_and_b32_e32 v32, 1, v33
	buffer_store_byte v32, off, s[0:3], s32
	s_and_saveexec_b64 s[44:45], s[20:21]
	s_cbranch_execz .LBB1546_114
; %bb.109:
	v_cmp_ge_u32_e64 s[20:21], v30, v28
	v_cmp_lt_u32_e64 s[22:23], v30, v28
                                        ; implicit-def: $vgpr12
	s_and_saveexec_b64 s[26:27], s[22:23]
; %bb.110:
	v_add_u32_e32 v4, v10, v30
	ds_read_u8 v12, v4
; %bb.111:
	s_or_b64 exec, exec, s[26:27]
	v_cmp_ge_u32_e64 s[22:23], v31, v29
	v_cmp_lt_u32_e64 s[26:27], v31, v29
                                        ; implicit-def: $vgpr13
	s_and_saveexec_b64 s[28:29], s[26:27]
; %bb.112:
	v_add_u32_e32 v4, v10, v31
	ds_read_u8 v13, v4
; %bb.113:
	s_or_b64 exec, exec, s[28:29]
	buffer_load_ubyte v24, off, s[0:3], s32
	v_cndmask_b32_e64 v4, 0, 1, s[22:23]
	s_or_b64 s[20:21], s[20:21], s[22:23]
	s_waitcnt vmcnt(0) lgkmcnt(0)
	v_and_b32_e32 v5, v24, v13
	v_and_b32_e32 v14, v24, v12
	;; [unrolled: 1-line block ×4, first 2 shown]
	v_cmp_le_u16_e64 s[26:27], v5, v14
	v_cndmask_b32_e64 v5, 0, 1, s[26:27]
	v_cndmask_b32_e64 v4, v5, v4, s[20:21]
	v_and_b32_e32 v4, 1, v4
	v_cmp_eq_u32_e64 s[20:21], 1, v4
	v_cndmask_b32_e64 v4, v31, v30, s[20:21]
	v_cndmask_b32_e64 v5, v29, v28, s[20:21]
	v_lshl_add_u32 v14, v4, 3, v9
	v_add_u32_e32 v15, 1, v4
	v_add_u32_e32 v4, -1, v5
	v_min_u32_e32 v4, v15, v4
	v_add_u32_e32 v16, v10, v4
	ds_read_b64 v[4:5], v14 offset:2048
	ds_read_u8 v14, v16
	v_cndmask_b32_e64 v37, v13, v12, s[20:21]
	v_cndmask_b32_e64 v16, v15, v31, s[20:21]
	v_cndmask_b32_e64 v15, v30, v15, s[20:21]
	v_cmp_lt_u32_e64 s[26:27], v15, v28
	s_waitcnt lgkmcnt(0)
	v_cndmask_b32_e64 v17, v14, v13, s[20:21]
	v_cndmask_b32_e64 v14, v12, v14, s[20:21]
	v_and_b32_e32 v12, v17, v24
	v_and_b32_e32 v13, v14, v24
	v_cmp_le_u16_sdwa s[20:21], v12, v13 src0_sel:BYTE_0 src1_sel:BYTE_0
	v_cmp_ge_u32_e64 s[22:23], v16, v29
	s_and_b64 s[20:21], s[26:27], s[20:21]
	s_or_b64 s[20:21], s[22:23], s[20:21]
	v_cndmask_b32_e64 v12, v16, v15, s[20:21]
	v_cndmask_b32_e64 v13, v29, v28, s[20:21]
	v_lshl_add_u32 v18, v12, 3, v9
	v_add_u32_e32 v19, 1, v12
	v_add_u32_e32 v12, -1, v13
	v_min_u32_e32 v12, v19, v12
	v_add_u32_e32 v20, v10, v12
	ds_read_b64 v[12:13], v18 offset:2048
	ds_read_u8 v18, v20
	v_cndmask_b32_e64 v38, v17, v14, s[20:21]
	v_cndmask_b32_e64 v16, v19, v16, s[20:21]
	v_cndmask_b32_e64 v19, v15, v19, s[20:21]
	v_cmp_lt_u32_e64 s[26:27], v19, v28
	s_waitcnt lgkmcnt(0)
	v_cndmask_b32_e64 v17, v18, v17, s[20:21]
	v_cndmask_b32_e64 v18, v14, v18, s[20:21]
	v_and_b32_e32 v14, v17, v24
	v_and_b32_e32 v15, v18, v24
	v_cmp_le_u16_sdwa s[20:21], v14, v15 src0_sel:BYTE_0 src1_sel:BYTE_0
	v_cmp_ge_u32_e64 s[22:23], v16, v29
	s_and_b64 s[20:21], s[26:27], s[20:21]
	s_or_b64 s[20:21], s[22:23], s[20:21]
	;; [unrolled: 22-line block ×4, first 2 shown]
	v_cndmask_b32_e64 v18, v22, v19, s[20:21]
	v_cndmask_b32_e64 v20, v29, v28, s[20:21]
	v_lshl_add_u32 v21, v18, 3, v9
	v_add_u32_e32 v18, 1, v18
	v_add_u32_e32 v20, -1, v20
	v_min_u32_e32 v20, v18, v20
	v_add_u32_e32 v23, v10, v20
	ds_read_b64 v[20:21], v21 offset:2048
	ds_read_u8 v23, v23
	v_cndmask_b32_e64 v25, v18, v22, s[20:21]
	v_cndmask_b32_e64 v18, v19, v18, s[20:21]
	v_cmp_lt_u32_e64 s[26:27], v18, v28
	v_cmp_ge_u32_e64 s[22:23], v25, v29
	s_waitcnt lgkmcnt(0)
	v_cndmask_b32_e64 v32, v23, v30, s[20:21]
	v_cndmask_b32_e64 v33, v31, v23, s[20:21]
	v_and_b32_e32 v19, v32, v24
	v_and_b32_e32 v22, v33, v24
	v_cmp_le_u16_sdwa s[28:29], v19, v22 src0_sel:BYTE_0 src1_sel:BYTE_0
	s_and_b64 s[26:27], s[26:27], s[28:29]
	s_or_b64 s[22:23], s[22:23], s[26:27]
	v_cndmask_b32_e64 v19, v25, v18, s[22:23]
	v_cndmask_b32_e64 v22, v29, v28, s[22:23]
	v_lshl_add_u32 v23, v19, 3, v9
	v_add_u32_e32 v19, 1, v19
	v_add_u32_e32 v22, -1, v22
	v_min_u32_e32 v22, v19, v22
	v_add_u32_e32 v49, v10, v22
	ds_read_b64 v[22:23], v23 offset:2048
	ds_read_u8 v49, v49
	v_cndmask_b32_e64 v25, v19, v25, s[22:23]
	v_cndmask_b32_e64 v50, v18, v19, s[22:23]
	v_cmp_lt_u32_e64 s[28:29], v50, v28
	v_cmp_ge_u32_e64 s[26:27], v25, v29
	s_waitcnt lgkmcnt(0)
	v_cndmask_b32_e64 v52, v49, v32, s[22:23]
	v_cndmask_b32_e64 v49, v33, v49, s[22:23]
	v_and_b32_e32 v18, v52, v24
	v_and_b32_e32 v19, v49, v24
	v_cmp_le_u16_sdwa s[40:41], v18, v19 src0_sel:BYTE_0 src1_sel:BYTE_0
	s_and_b64 s[28:29], s[28:29], s[40:41]
	s_or_b64 s[26:27], s[26:27], s[28:29]
	v_cndmask_b32_e64 v18, v25, v50, s[26:27]
	v_cndmask_b32_e64 v19, v29, v28, s[26:27]
	v_lshl_add_u32 v51, v18, 3, v9
	v_add_u32_e32 v53, 1, v18
	v_add_u32_e32 v18, -1, v19
	v_min_u32_e32 v18, v53, v18
	v_add_u32_e32 v54, v10, v18
	ds_read_b64 v[18:19], v51 offset:2048
	ds_read_u8 v51, v54
	v_cndmask_b32_e64 v25, v53, v25, s[26:27]
	v_cndmask_b32_e64 v50, v50, v53, s[26:27]
	v_cmp_ge_u32_e64 s[28:29], v25, v29
	v_cmp_lt_u32_e64 s[40:41], v50, v28
	s_waitcnt lgkmcnt(0)
	v_cndmask_b32_e64 v28, v51, v52, s[26:27]
	v_cndmask_b32_e64 v29, v49, v51, s[26:27]
	v_and_b32_e32 v51, v28, v24
	v_and_b32_e32 v24, v29, v24
	v_cmp_le_u16_sdwa s[46:47], v51, v24 src0_sel:BYTE_0 src1_sel:BYTE_0
	s_and_b64 s[40:41], s[40:41], s[46:47]
	s_or_b64 s[28:29], s[28:29], s[40:41]
	v_cndmask_b32_e64 v24, v25, v50, s[28:29]
	v_lshl_add_u32 v24, v24, 3, v9
	ds_read_b64 v[24:25], v24 offset:2048
	v_cndmask_b32_e64 v51, v30, v31, s[20:21]
	v_cndmask_b32_e64 v50, v32, v33, s[22:23]
	;; [unrolled: 1-line block ×4, first 2 shown]
.LBB1546_114:
	s_or_b64 exec, exec, s[44:45]
	v_add_u32_e32 v28, 0x800, v26
	; wave barrier
	ds_write2_b64 v28, v[4:5], v[12:13] offset1:1
	v_add_u32_e32 v28, 0x810, v26
	ds_write2_b64 v28, v[14:15], v[16:17] offset1:1
	v_add_u32_e32 v28, 0x820, v26
	s_mov_b32 s20, 0xc0c0004
	ds_write2_b64 v28, v[20:21], v[22:23] offset1:1
	v_perm_b32 v28, v51, v50, s20
	v_perm_b32 v29, v52, v49, s20
	v_lshl_or_b32 v29, v29, 16, v28
	v_perm_b32 v28, v37, v38, s20
	v_perm_b32 v30, v39, v48, s20
	v_lshl_or_b32 v28, v30, 16, v28
	v_add_u32_e32 v26, 0x830, v26
	ds_write_b64 v11, v[28:29]
	s_waitcnt lgkmcnt(4)
	ds_write2_b64 v26, v[18:19], v[24:25] offset1:1
	; wave barrier
	buffer_load_ubyte v31, off, s[0:3], s32 offset:3
	v_and_b32_e32 v28, 0x380, v36
	v_or_b32_e32 v11, 64, v28
	v_min_u32_e32 v11, v27, v11
	v_add_u32_e32 v26, 64, v11
	v_min_u32_e32 v29, v27, v34
	v_sub_u32_e32 v30, v11, v28
	v_min_u32_e32 v26, v27, v26
	v_min_u32_e32 v27, v29, v30
	v_sub_u32_e32 v30, v26, v11
	v_sub_u32_e64 v30, v29, v30 clamp
	v_cmp_lt_u32_e64 s[22:23], v30, v27
	s_waitcnt vmcnt(0)
	v_and_b32_e32 v31, 1, v31
	v_cmp_eq_u32_e64 s[20:21], 1, v31
	buffer_store_byte v31, off, s[0:3], s32 offset:2
	s_and_saveexec_b64 s[26:27], s[22:23]
	s_cbranch_execz .LBB1546_118
; %bb.115:
	buffer_load_ubyte v31, off, s[0:3], s32 offset:2
	v_add_u32_e32 v32, v10, v28
	v_add3_u32 v33, v10, v11, v29
	s_mov_b64 s[28:29], 0
.LBB1546_116:                           ; =>This Inner Loop Header: Depth=1
	v_add_u32_e32 v36, v27, v30
	v_lshrrev_b32_e32 v36, 1, v36
	v_add_u32_e32 v53, v32, v36
	v_xad_u32 v54, v36, -1, v33
	ds_read_u8 v54, v54
	ds_read_u8 v53, v53
	v_add_u32_e32 v55, 1, v36
	s_waitcnt vmcnt(0) lgkmcnt(1)
	v_and_b32_e32 v54, v54, v31
	s_waitcnt lgkmcnt(0)
	v_and_b32_e32 v53, v53, v31
	v_and_b32_e32 v54, 1, v54
	;; [unrolled: 1-line block ×3, first 2 shown]
	v_cmp_gt_u16_e64 s[22:23], v54, v53
	v_cndmask_b32_e64 v27, v27, v36, s[22:23]
	v_cndmask_b32_e64 v30, v55, v30, s[22:23]
	v_cmp_ge_u32_e64 s[22:23], v30, v27
	s_or_b64 s[28:29], s[22:23], s[28:29]
	s_andn2_b64 exec, exec, s[28:29]
	s_cbranch_execnz .LBB1546_116
; %bb.117:
	s_or_b64 exec, exec, s[28:29]
.LBB1546_118:
	s_or_b64 exec, exec, s[26:27]
	v_cndmask_b32_e64 v27, 0, 1, s[20:21]
	buffer_store_byte v27, off, s[0:3], s32 offset:1
	buffer_load_ubyte v31, off, s[0:3], s32 offset:1
	v_add_u32_e32 v27, v30, v28
	v_add_u32_e32 v28, v11, v29
	v_sub_u32_e32 v28, v28, v30
	v_cmp_le_u32_e64 s[20:21], v27, v11
	v_cmp_le_u32_e64 s[22:23], v28, v26
	s_or_b64 s[20:21], s[20:21], s[22:23]
	s_waitcnt vmcnt(0)
	v_and_b32_e32 v29, 1, v31
	buffer_store_byte v29, off, s[0:3], s32
	s_and_saveexec_b64 s[44:45], s[20:21]
	s_cbranch_execz .LBB1546_124
; %bb.119:
	v_cmp_ge_u32_e64 s[20:21], v27, v11
	v_cmp_lt_u32_e64 s[22:23], v27, v11
                                        ; implicit-def: $vgpr12
	s_and_saveexec_b64 s[26:27], s[22:23]
; %bb.120:
	v_add_u32_e32 v4, v10, v27
	ds_read_u8 v12, v4
; %bb.121:
	s_or_b64 exec, exec, s[26:27]
	v_cmp_ge_u32_e64 s[22:23], v28, v26
	v_cmp_lt_u32_e64 s[26:27], v28, v26
                                        ; implicit-def: $vgpr13
	s_and_saveexec_b64 s[28:29], s[26:27]
; %bb.122:
	v_add_u32_e32 v4, v10, v28
	ds_read_u8 v13, v4
; %bb.123:
	s_or_b64 exec, exec, s[28:29]
	buffer_load_ubyte v24, off, s[0:3], s32
	v_cndmask_b32_e64 v4, 0, 1, s[22:23]
	s_or_b64 s[20:21], s[20:21], s[22:23]
	s_waitcnt vmcnt(0) lgkmcnt(0)
	v_and_b32_e32 v5, v24, v13
	v_and_b32_e32 v14, v24, v12
	v_and_b32_e32 v5, 1, v5
	v_and_b32_e32 v14, 1, v14
	v_cmp_le_u16_e64 s[26:27], v5, v14
	v_cndmask_b32_e64 v5, 0, 1, s[26:27]
	v_cndmask_b32_e64 v4, v5, v4, s[20:21]
	v_and_b32_e32 v4, 1, v4
	v_cmp_eq_u32_e64 s[20:21], 1, v4
	v_cndmask_b32_e64 v4, v28, v27, s[20:21]
	v_cndmask_b32_e64 v5, v26, v11, s[20:21]
	v_lshl_add_u32 v14, v4, 3, v9
	v_add_u32_e32 v15, 1, v4
	v_add_u32_e32 v4, -1, v5
	v_min_u32_e32 v4, v15, v4
	v_add_u32_e32 v16, v10, v4
	ds_read_b64 v[4:5], v14 offset:2048
	ds_read_u8 v14, v16
	v_cndmask_b32_e64 v37, v13, v12, s[20:21]
	v_cndmask_b32_e64 v16, v15, v28, s[20:21]
	v_cndmask_b32_e64 v15, v27, v15, s[20:21]
	v_cmp_lt_u32_e64 s[26:27], v15, v11
	s_waitcnt lgkmcnt(0)
	v_cndmask_b32_e64 v17, v14, v13, s[20:21]
	v_cndmask_b32_e64 v14, v12, v14, s[20:21]
	v_and_b32_e32 v12, v17, v24
	v_and_b32_e32 v13, v14, v24
	v_cmp_le_u16_sdwa s[20:21], v12, v13 src0_sel:BYTE_0 src1_sel:BYTE_0
	v_cmp_ge_u32_e64 s[22:23], v16, v26
	s_and_b64 s[20:21], s[26:27], s[20:21]
	s_or_b64 s[20:21], s[22:23], s[20:21]
	v_cndmask_b32_e64 v12, v16, v15, s[20:21]
	v_cndmask_b32_e64 v13, v26, v11, s[20:21]
	v_lshl_add_u32 v18, v12, 3, v9
	v_add_u32_e32 v19, 1, v12
	v_add_u32_e32 v12, -1, v13
	v_min_u32_e32 v12, v19, v12
	v_add_u32_e32 v20, v10, v12
	ds_read_b64 v[12:13], v18 offset:2048
	ds_read_u8 v18, v20
	v_cndmask_b32_e64 v38, v17, v14, s[20:21]
	v_cndmask_b32_e64 v16, v19, v16, s[20:21]
	v_cndmask_b32_e64 v19, v15, v19, s[20:21]
	v_cmp_lt_u32_e64 s[26:27], v19, v11
	s_waitcnt lgkmcnt(0)
	v_cndmask_b32_e64 v17, v18, v17, s[20:21]
	v_cndmask_b32_e64 v18, v14, v18, s[20:21]
	v_and_b32_e32 v14, v17, v24
	v_and_b32_e32 v15, v18, v24
	v_cmp_le_u16_sdwa s[20:21], v14, v15 src0_sel:BYTE_0 src1_sel:BYTE_0
	v_cmp_ge_u32_e64 s[22:23], v16, v26
	s_and_b64 s[20:21], s[26:27], s[20:21]
	s_or_b64 s[20:21], s[22:23], s[20:21]
	;; [unrolled: 22-line block ×4, first 2 shown]
	v_cndmask_b32_e64 v18, v22, v19, s[20:21]
	v_cndmask_b32_e64 v20, v26, v11, s[20:21]
	v_lshl_add_u32 v21, v18, 3, v9
	v_add_u32_e32 v18, 1, v18
	v_add_u32_e32 v20, -1, v20
	v_min_u32_e32 v20, v18, v20
	v_add_u32_e32 v23, v10, v20
	ds_read_b64 v[20:21], v21 offset:2048
	ds_read_u8 v23, v23
	v_cndmask_b32_e64 v25, v18, v22, s[20:21]
	v_cndmask_b32_e64 v18, v19, v18, s[20:21]
	v_cmp_lt_u32_e64 s[26:27], v18, v11
	v_cmp_ge_u32_e64 s[22:23], v25, v26
	s_waitcnt lgkmcnt(0)
	v_cndmask_b32_e64 v29, v23, v27, s[20:21]
	v_cndmask_b32_e64 v30, v28, v23, s[20:21]
	v_and_b32_e32 v19, v29, v24
	v_and_b32_e32 v22, v30, v24
	v_cmp_le_u16_sdwa s[28:29], v19, v22 src0_sel:BYTE_0 src1_sel:BYTE_0
	s_and_b64 s[26:27], s[26:27], s[28:29]
	s_or_b64 s[22:23], s[22:23], s[26:27]
	v_cndmask_b32_e64 v19, v25, v18, s[22:23]
	v_cndmask_b32_e64 v22, v26, v11, s[22:23]
	v_lshl_add_u32 v23, v19, 3, v9
	v_add_u32_e32 v19, 1, v19
	v_add_u32_e32 v22, -1, v22
	v_min_u32_e32 v22, v19, v22
	v_add_u32_e32 v31, v10, v22
	ds_read_b64 v[22:23], v23 offset:2048
	ds_read_u8 v31, v31
	v_cndmask_b32_e64 v25, v19, v25, s[22:23]
	v_cndmask_b32_e64 v32, v18, v19, s[22:23]
	v_cmp_lt_u32_e64 s[28:29], v32, v11
	v_cmp_ge_u32_e64 s[26:27], v25, v26
	s_waitcnt lgkmcnt(0)
	v_cndmask_b32_e64 v33, v31, v29, s[22:23]
	v_cndmask_b32_e64 v31, v30, v31, s[22:23]
	v_and_b32_e32 v18, v33, v24
	v_and_b32_e32 v19, v31, v24
	v_cmp_le_u16_sdwa s[40:41], v18, v19 src0_sel:BYTE_0 src1_sel:BYTE_0
	s_and_b64 s[28:29], s[28:29], s[40:41]
	s_or_b64 s[26:27], s[26:27], s[28:29]
	;; [unrolled: 21-line block ×3, first 2 shown]
	v_cndmask_b32_e64 v24, v25, v32, s[28:29]
	v_lshl_add_u32 v9, v24, 3, v9
	ds_read_b64 v[24:25], v9 offset:2048
	v_cndmask_b32_e64 v51, v27, v28, s[20:21]
	v_cndmask_b32_e64 v50, v29, v30, s[22:23]
	;; [unrolled: 1-line block ×4, first 2 shown]
.LBB1546_124:
	s_or_b64 exec, exec, s[44:45]
	; wave barrier
	s_waitcnt vmcnt(0) lgkmcnt(0)
	s_barrier
                                        ; implicit-def: $vgpr36
                                        ; implicit-def: $vgpr31
                                        ; implicit-def: $vgpr9
                                        ; implicit-def: $vgpr26
.LBB1546_125:
	s_andn2_saveexec_b64 s[44:45], s[42:43]
	s_cbranch_execz .LBB1546_225
; %bb.126:
	s_load_dwordx2 s[20:21], s[8:9], 0x0
	v_mov_b32_e32 v10, 0
	s_waitcnt lgkmcnt(0)
	s_cmp_lt_u32 s13, s21
	s_cselect_b32 s13, 14, 20
	s_add_u32 s22, s8, s13
	s_addc_u32 s23, s9, 0
	s_cmp_lt_u32 s12, s20
	s_cselect_b32 s12, 12, 18
	s_add_u32 s8, s8, s12
	s_addc_u32 s9, s9, 0
	global_load_ushort v11, v10, s[22:23]
	global_load_ushort v27, v10, s[8:9]
	v_and_b32_e32 v10, 0x3ff, v31
	s_movk_i32 s8, 0x800
	s_waitcnt vmcnt(0)
	v_mad_u32_u24 v9, v26, v11, v9
	v_mul_lo_u32 v9, v9, v27
	v_add_lshl_u32 v53, v9, v10, 3
	v_cmp_gt_u32_e64 s[8:9], s8, v53
	s_and_saveexec_b64 s[12:13], s[8:9]
	s_cbranch_execz .LBB1546_184
; %bb.127:
	v_mov_b32_e32 v27, v13
	v_cmp_gt_u16_sdwa s[20:21], v38, v37 src0_sel:BYTE_0 src1_sel:BYTE_0
	v_mov_b32_e32 v26, v12
	s_and_saveexec_b64 s[8:9], s[20:21]
; %bb.128:
	v_mov_b32_e32 v27, v5
	v_mov_b32_e32 v26, v4
	v_mov_b32_e32 v4, v12
	v_mov_b32_e32 v37, 1
	v_mov_b32_e32 v38, 0
	v_mov_b32_e32 v5, v13
; %bb.129:
	s_or_b64 exec, exec, s[8:9]
	v_mov_b32_e32 v29, v17
	v_cmp_gt_u16_sdwa s[20:21], v48, v39 src0_sel:BYTE_0 src1_sel:BYTE_0
	v_mov_b32_e32 v28, v16
	s_and_saveexec_b64 s[8:9], s[20:21]
; %bb.130:
	v_mov_b32_e32 v29, v15
	v_mov_b32_e32 v28, v14
	v_mov_b32_e32 v14, v16
	v_mov_b32_e32 v39, 1
	v_mov_b32_e32 v48, 0
	v_mov_b32_e32 v15, v17
; %bb.131:
	s_or_b64 exec, exec, s[8:9]
	;; [unrolled: 13-line block ×4, first 2 shown]
	v_mov_b32_e32 v23, v15
	v_cmp_gt_u16_sdwa s[8:9], v39, v38 src0_sel:BYTE_0 src1_sel:BYTE_0
	v_mov_b32_e32 v22, v14
	s_and_saveexec_b64 s[20:21], s[8:9]
	s_xor_b64 s[8:9], exec, s[20:21]
; %bb.136:
	v_mov_b32_e32 v22, v26
	v_mov_b32_e32 v23, v27
	v_mov_b32_e32 v27, v15
	v_mov_b32_e32 v38, 1
	v_mov_b32_e32 v39, 0
	v_mov_b32_e32 v26, v14
; %bb.137:
	s_or_b64 exec, exec, s[8:9]
	v_mov_b32_e32 v25, v21
	v_cmp_gt_u16_sdwa s[20:21], v51, v48 src0_sel:BYTE_0 src1_sel:BYTE_0
	v_mov_b32_e32 v24, v20
	s_and_saveexec_b64 s[8:9], s[20:21]
; %bb.138:
	v_mov_b32_e32 v24, v28
	v_mov_b32_e32 v25, v29
	v_mov_b32_e32 v29, v21
	v_mov_b32_e32 v51, 0
	v_mov_b32_e32 v48, 1
	v_mov_b32_e32 v28, v20
; %bb.139:
	s_or_b64 exec, exec, s[8:9]
	v_mov_b32_e32 v13, v18
	v_cmp_gt_u16_sdwa s[20:21], v52, v50 src0_sel:BYTE_0 src1_sel:BYTE_0
	v_mov_b32_e32 v14, v19
	s_and_saveexec_b64 s[8:9], s[20:21]
	;; [unrolled: 13-line block ×23, first 2 shown]
; %bb.182:
	v_mov_b32_e32 v23, v19
	v_mov_b32_e32 v22, v18
	;; [unrolled: 1-line block ×6, first 2 shown]
; %bb.183:
	s_or_b64 exec, exec, s[8:9]
.LBB1546_184:
	s_or_b64 exec, exec, s[12:13]
	v_and_b32_e32 v10, 0xfffffe00, v53
	v_lshlrev_b32_e32 v9, 3, v10
	v_lshl_add_u32 v27, v36, 3, v9
	v_add_u32_e32 v28, 0x800, v27
	s_movk_i32 s8, 0x800
	ds_write2_b64 v28, v[4:5], v[12:13] offset1:1
	v_add_u32_e32 v28, 0x810, v27
	v_sub_u32_e64 v11, s8, v10 clamp
	ds_write2_b64 v28, v[14:15], v[16:17] offset1:1
	v_add_u32_e32 v28, 0x820, v27
	s_mov_b32 s8, 0xc0c0004
	ds_write2_b64 v28, v[20:21], v[22:23] offset1:1
	v_perm_b32 v28, v51, v50, s8
	v_perm_b32 v29, v52, v49, s8
	v_lshl_or_b32 v29, v29, 16, v28
	v_perm_b32 v28, v37, v38, s8
	v_perm_b32 v31, v39, v48, s8
	v_add_u32_e32 v26, v10, v36
	v_lshl_or_b32 v28, v31, 16, v28
	v_add_u32_e32 v30, 0x830, v27
	ds_write_b64 v26, v[28:29]
	ds_write2_b64 v30, v[18:19], v[24:25] offset1:1
	v_or_b32_e32 v28, 8, v36
	v_min_u32_e32 v28, v11, v28
	v_add_u32_e32 v29, 8, v28
	v_and_b32_e32 v30, 0x3f0, v36
	v_min_u32_e32 v29, v11, v29
	v_and_b32_e32 v31, 8, v36
	v_min_u32_e32 v31, v11, v31
	v_sub_u32_e32 v33, v28, v30
	v_sub_u32_e32 v32, v29, v28
	v_sub_u32_e64 v32, v31, v32 clamp
	v_min_u32_e32 v33, v31, v33
	v_cmp_lt_u32_e64 s[8:9], v32, v33
	; wave barrier
	s_and_saveexec_b64 s[12:13], s[8:9]
	s_cbranch_execz .LBB1546_188
; %bb.185:
	v_add_u32_e32 v53, v10, v30
	v_add3_u32 v54, v10, v28, v31
	s_mov_b64 s[20:21], 0
.LBB1546_186:                           ; =>This Inner Loop Header: Depth=1
	v_add_u32_e32 v55, v33, v32
	v_lshrrev_b32_e32 v55, 1, v55
	v_add_u32_e32 v64, v53, v55
	v_xad_u32 v65, v55, -1, v54
	ds_read_u8 v64, v64
	ds_read_u8 v65, v65
	v_add_u32_e32 v66, 1, v55
	s_waitcnt lgkmcnt(0)
	v_cmp_gt_u16_e64 s[8:9], v65, v64
	v_cndmask_b32_e64 v33, v33, v55, s[8:9]
	v_cndmask_b32_e64 v32, v66, v32, s[8:9]
	v_cmp_ge_u32_e64 s[8:9], v32, v33
	s_or_b64 s[20:21], s[8:9], s[20:21]
	s_andn2_b64 exec, exec, s[20:21]
	s_cbranch_execnz .LBB1546_186
; %bb.187:
	s_or_b64 exec, exec, s[20:21]
.LBB1546_188:
	s_or_b64 exec, exec, s[12:13]
	v_add_u32_e32 v31, v28, v31
	v_add_u32_e32 v30, v32, v30
	v_sub_u32_e32 v31, v31, v32
	v_cmp_le_u32_e64 s[8:9], v30, v28
	v_cmp_le_u32_e64 s[12:13], v31, v29
	s_or_b64 s[8:9], s[8:9], s[12:13]
	s_and_saveexec_b64 s[46:47], s[8:9]
	s_cbranch_execz .LBB1546_194
; %bb.189:
	v_cmp_lt_u32_e64 s[8:9], v30, v28
                                        ; implicit-def: $vgpr24
	s_and_saveexec_b64 s[12:13], s[8:9]
; %bb.190:
	v_add_u32_e32 v4, v10, v30
	ds_read_u8 v24, v4
; %bb.191:
	s_or_b64 exec, exec, s[12:13]
	v_cmp_ge_u32_e64 s[20:21], v31, v29
	v_cmp_lt_u32_e64 s[12:13], v31, v29
                                        ; implicit-def: $vgpr25
	s_and_saveexec_b64 s[22:23], s[12:13]
; %bb.192:
	v_add_u32_e32 v4, v10, v31
	ds_read_u8 v25, v4
; %bb.193:
	s_or_b64 exec, exec, s[22:23]
	s_waitcnt lgkmcnt(0)
	v_cmp_le_u16_sdwa s[12:13], v25, v24 src0_sel:BYTE_0 src1_sel:BYTE_0
	s_and_b64 s[8:9], s[8:9], s[12:13]
	s_or_b64 s[8:9], s[20:21], s[8:9]
	v_cndmask_b32_e64 v4, v31, v30, s[8:9]
	v_cndmask_b32_e64 v5, v29, v28, s[8:9]
	v_add_u32_e32 v12, 1, v4
	v_add_u32_e32 v5, -1, v5
	v_min_u32_e32 v5, v12, v5
	v_add_u32_e32 v5, v10, v5
	ds_read_u8 v5, v5
	v_cndmask_b32_e64 v13, v12, v31, s[8:9]
	v_cmp_ge_u32_e64 s[12:13], v13, v29
	v_lshl_add_u32 v4, v4, 3, v9
	s_waitcnt lgkmcnt(0)
	v_cndmask_b32_e64 v31, v5, v25, s[8:9]
	v_cndmask_b32_e64 v32, v24, v5, s[8:9]
	;; [unrolled: 1-line block ×3, first 2 shown]
	v_cmp_lt_u32_e64 s[20:21], v5, v28
	v_cmp_le_u16_sdwa s[22:23], v31, v32 src0_sel:BYTE_0 src1_sel:BYTE_0
	s_and_b64 s[20:21], s[20:21], s[22:23]
	s_or_b64 s[20:21], s[12:13], s[20:21]
	v_cndmask_b32_e64 v12, v13, v5, s[20:21]
	v_cndmask_b32_e64 v14, v29, v28, s[20:21]
	v_add_u32_e32 v15, 1, v12
	v_add_u32_e32 v14, -1, v14
	v_min_u32_e32 v14, v15, v14
	v_add_u32_e32 v14, v10, v14
	ds_read_u8 v14, v14
	v_cndmask_b32_e64 v5, v5, v15, s[20:21]
	v_cndmask_b32_e64 v13, v15, v13, s[20:21]
	v_cmp_lt_u32_e64 s[22:23], v5, v28
	v_cmp_ge_u32_e64 s[12:13], v13, v29
	s_waitcnt lgkmcnt(0)
	v_cndmask_b32_e64 v30, v14, v31, s[20:21]
	v_cndmask_b32_e64 v33, v32, v14, s[20:21]
	v_cmp_le_u16_sdwa s[26:27], v30, v33 src0_sel:BYTE_0 src1_sel:BYTE_0
	s_and_b64 s[22:23], s[22:23], s[26:27]
	s_or_b64 s[22:23], s[12:13], s[22:23]
	v_cndmask_b32_e64 v14, v13, v5, s[22:23]
	v_cndmask_b32_e64 v15, v29, v28, s[22:23]
	v_add_u32_e32 v16, 1, v14
	v_add_u32_e32 v15, -1, v15
	v_min_u32_e32 v15, v16, v15
	v_add_u32_e32 v15, v10, v15
	ds_read_u8 v15, v15
	v_lshl_add_u32 v12, v12, 3, v9
	v_lshl_add_u32 v14, v14, 3, v9
	v_cndmask_b32_e64 v39, v30, v33, s[22:23]
	s_waitcnt lgkmcnt(0)
	v_cndmask_b32_e64 v48, v15, v30, s[22:23]
	v_cndmask_b32_e64 v49, v33, v15, s[22:23]
	;; [unrolled: 1-line block ×4, first 2 shown]
	v_cmp_lt_u32_e64 s[26:27], v16, v28
	v_cmp_le_u16_sdwa s[28:29], v48, v49 src0_sel:BYTE_0 src1_sel:BYTE_0
	v_cmp_ge_u32_e64 s[12:13], v15, v29
	s_and_b64 s[26:27], s[26:27], s[28:29]
	s_or_b64 s[12:13], s[12:13], s[26:27]
	v_cndmask_b32_e64 v17, v15, v16, s[12:13]
	v_cndmask_b32_e64 v5, v29, v28, s[12:13]
	v_add_u32_e32 v18, 1, v17
	v_add_u32_e32 v5, -1, v5
	v_min_u32_e32 v5, v18, v5
	v_add_u32_e32 v5, v10, v5
	ds_read_u8 v19, v5
	ds_read_b64 v[4:5], v4 offset:2048
	ds_read_b64 v[12:13], v12 offset:2048
	s_waitcnt lgkmcnt(2)
	v_cndmask_b32_e64 v50, v19, v48, s[12:13]
	v_cndmask_b32_e64 v51, v49, v19, s[12:13]
	;; [unrolled: 1-line block ×4, first 2 shown]
	v_cmp_lt_u32_e64 s[28:29], v18, v28
	v_cmp_le_u16_sdwa s[40:41], v50, v51 src0_sel:BYTE_0 src1_sel:BYTE_0
	v_cmp_ge_u32_e64 s[26:27], v19, v29
	s_and_b64 s[28:29], s[28:29], s[40:41]
	s_or_b64 s[26:27], s[26:27], s[28:29]
	v_cndmask_b32_e64 v20, v19, v18, s[26:27]
	v_cndmask_b32_e64 v15, v29, v28, s[26:27]
	v_add_u32_e32 v21, 1, v20
	v_add_u32_e32 v15, -1, v15
	v_min_u32_e32 v15, v21, v15
	v_add_u32_e32 v15, v10, v15
	ds_read_u8 v22, v15
	v_cndmask_b32_e64 v18, v18, v21, s[26:27]
	v_cndmask_b32_e64 v19, v21, v19, s[26:27]
	v_cmp_lt_u32_e64 s[40:41], v18, v28
	v_cmp_ge_u32_e64 s[28:29], v19, v29
	s_waitcnt lgkmcnt(0)
	v_cndmask_b32_e64 v52, v22, v50, s[26:27]
	v_cndmask_b32_e64 v53, v51, v22, s[26:27]
	v_cmp_le_u16_sdwa s[42:43], v52, v53 src0_sel:BYTE_0 src1_sel:BYTE_0
	s_and_b64 s[40:41], s[40:41], s[42:43]
	s_or_b64 s[28:29], s[28:29], s[40:41]
	v_cndmask_b32_e64 v22, v19, v18, s[28:29]
	v_cndmask_b32_e64 v21, v29, v28, s[28:29]
	v_add_u32_e32 v37, 1, v22
	v_add_u32_e32 v21, -1, v21
	v_min_u32_e32 v21, v37, v21
	v_add_u32_e32 v21, v10, v21
	ds_read_u8 v38, v21
	v_cndmask_b32_e64 v65, v18, v37, s[28:29]
	v_cndmask_b32_e64 v64, v37, v19, s[28:29]
	v_cmp_lt_u32_e64 s[42:43], v65, v28
	v_cmp_ge_u32_e64 s[40:41], v64, v29
	s_waitcnt lgkmcnt(0)
	v_cndmask_b32_e64 v54, v38, v52, s[28:29]
	v_cndmask_b32_e64 v55, v53, v38, s[28:29]
	v_cmp_le_u16_sdwa s[56:57], v54, v55 src0_sel:BYTE_0 src1_sel:BYTE_0
	s_and_b64 s[42:43], s[42:43], s[56:57]
	s_or_b64 s[40:41], s[40:41], s[42:43]
	v_cndmask_b32_e64 v18, v64, v65, s[40:41]
	v_cndmask_b32_e64 v19, v29, v28, s[40:41]
	v_lshl_add_u32 v37, v18, 3, v9
	v_add_u32_e32 v66, 1, v18
	v_add_u32_e32 v18, -1, v19
	v_lshl_add_u32 v16, v17, 3, v9
	v_lshl_add_u32 v20, v20, 3, v9
	;; [unrolled: 1-line block ×3, first 2 shown]
	v_min_u32_e32 v18, v66, v18
	ds_read_b64 v[14:15], v14 offset:2048
	ds_read_b64 v[16:17], v16 offset:2048
	;; [unrolled: 1-line block ×4, first 2 shown]
	v_add_u32_e32 v38, v10, v18
	ds_read_b64 v[18:19], v37 offset:2048
	ds_read_u8 v67, v38
	v_cndmask_b32_e64 v37, v25, v24, s[8:9]
	v_cndmask_b32_e64 v38, v31, v32, s[20:21]
	;; [unrolled: 1-line block ×4, first 2 shown]
	s_waitcnt lgkmcnt(0)
	v_cndmask_b32_e64 v30, v67, v54, s[40:41]
	v_cndmask_b32_e64 v31, v55, v67, s[40:41]
	;; [unrolled: 1-line block ×3, first 2 shown]
	v_cmp_lt_u32_e64 s[12:13], v25, v28
	v_cmp_le_u16_sdwa s[20:21], v30, v31 src0_sel:BYTE_0 src1_sel:BYTE_0
	v_cmp_ge_u32_e64 s[8:9], v24, v29
	s_and_b64 s[12:13], s[12:13], s[20:21]
	s_or_b64 s[8:9], s[8:9], s[12:13]
	v_cndmask_b32_e64 v24, v24, v25, s[8:9]
	v_lshl_add_u32 v24, v24, 3, v9
	ds_read_b64 v[24:25], v24 offset:2048
	v_cndmask_b32_e64 v51, v50, v51, s[26:27]
	v_cndmask_b32_e64 v50, v52, v53, s[28:29]
	;; [unrolled: 1-line block ×4, first 2 shown]
.LBB1546_194:
	s_or_b64 exec, exec, s[46:47]
	v_add_u32_e32 v28, 0x800, v27
	; wave barrier
	ds_write2_b64 v28, v[4:5], v[12:13] offset1:1
	v_add_u32_e32 v28, 0x810, v27
	ds_write2_b64 v28, v[14:15], v[16:17] offset1:1
	v_add_u32_e32 v28, 0x820, v27
	s_mov_b32 s8, 0xc0c0004
	ds_write2_b64 v28, v[20:21], v[22:23] offset1:1
	v_perm_b32 v28, v51, v50, s8
	v_perm_b32 v29, v52, v49, s8
	v_lshl_or_b32 v29, v29, 16, v28
	v_perm_b32 v28, v37, v38, s8
	v_perm_b32 v31, v39, v48, s8
	v_add_u32_e32 v30, 0x830, v27
	v_lshl_or_b32 v28, v31, 16, v28
	ds_write_b64 v26, v[28:29]
	s_waitcnt lgkmcnt(4)
	ds_write2_b64 v30, v[18:19], v[24:25] offset1:1
	v_and_b32_e32 v30, 0x3e0, v36
	v_or_b32_e32 v28, 16, v30
	v_min_u32_e32 v28, v11, v28
	v_add_u32_e32 v29, 16, v28
	v_min_u32_e32 v29, v11, v29
	v_and_b32_e32 v31, 24, v36
	v_min_u32_e32 v31, v11, v31
	v_sub_u32_e32 v33, v28, v30
	v_sub_u32_e32 v32, v29, v28
	v_sub_u32_e64 v32, v31, v32 clamp
	v_min_u32_e32 v33, v31, v33
	v_cmp_lt_u32_e64 s[8:9], v32, v33
	; wave barrier
	s_and_saveexec_b64 s[12:13], s[8:9]
	s_cbranch_execz .LBB1546_198
; %bb.195:
	v_add_u32_e32 v53, v10, v30
	v_add3_u32 v54, v10, v28, v31
	s_mov_b64 s[20:21], 0
.LBB1546_196:                           ; =>This Inner Loop Header: Depth=1
	v_add_u32_e32 v55, v33, v32
	v_lshrrev_b32_e32 v55, 1, v55
	v_add_u32_e32 v64, v53, v55
	v_xad_u32 v65, v55, -1, v54
	ds_read_u8 v64, v64
	ds_read_u8 v65, v65
	v_add_u32_e32 v66, 1, v55
	s_waitcnt lgkmcnt(0)
	v_cmp_gt_u16_e64 s[8:9], v65, v64
	v_cndmask_b32_e64 v33, v33, v55, s[8:9]
	v_cndmask_b32_e64 v32, v66, v32, s[8:9]
	v_cmp_ge_u32_e64 s[8:9], v32, v33
	s_or_b64 s[20:21], s[8:9], s[20:21]
	s_andn2_b64 exec, exec, s[20:21]
	s_cbranch_execnz .LBB1546_196
; %bb.197:
	s_or_b64 exec, exec, s[20:21]
.LBB1546_198:
	s_or_b64 exec, exec, s[12:13]
	v_add_u32_e32 v31, v28, v31
	v_add_u32_e32 v30, v32, v30
	v_sub_u32_e32 v31, v31, v32
	v_cmp_le_u32_e64 s[8:9], v30, v28
	v_cmp_le_u32_e64 s[12:13], v31, v29
	s_or_b64 s[8:9], s[8:9], s[12:13]
	s_and_saveexec_b64 s[46:47], s[8:9]
	s_cbranch_execz .LBB1546_204
; %bb.199:
	v_cmp_lt_u32_e64 s[8:9], v30, v28
                                        ; implicit-def: $vgpr24
	s_and_saveexec_b64 s[12:13], s[8:9]
; %bb.200:
	v_add_u32_e32 v4, v10, v30
	ds_read_u8 v24, v4
; %bb.201:
	s_or_b64 exec, exec, s[12:13]
	v_cmp_ge_u32_e64 s[20:21], v31, v29
	v_cmp_lt_u32_e64 s[12:13], v31, v29
                                        ; implicit-def: $vgpr25
	s_and_saveexec_b64 s[22:23], s[12:13]
; %bb.202:
	v_add_u32_e32 v4, v10, v31
	ds_read_u8 v25, v4
; %bb.203:
	s_or_b64 exec, exec, s[22:23]
	s_waitcnt lgkmcnt(0)
	v_cmp_le_u16_sdwa s[12:13], v25, v24 src0_sel:BYTE_0 src1_sel:BYTE_0
	s_and_b64 s[8:9], s[8:9], s[12:13]
	s_or_b64 s[8:9], s[20:21], s[8:9]
	v_cndmask_b32_e64 v4, v31, v30, s[8:9]
	v_cndmask_b32_e64 v5, v29, v28, s[8:9]
	v_add_u32_e32 v12, 1, v4
	v_add_u32_e32 v5, -1, v5
	v_min_u32_e32 v5, v12, v5
	v_add_u32_e32 v5, v10, v5
	ds_read_u8 v5, v5
	v_cndmask_b32_e64 v13, v12, v31, s[8:9]
	v_cmp_ge_u32_e64 s[12:13], v13, v29
	v_lshl_add_u32 v4, v4, 3, v9
	s_waitcnt lgkmcnt(0)
	v_cndmask_b32_e64 v31, v5, v25, s[8:9]
	v_cndmask_b32_e64 v32, v24, v5, s[8:9]
	;; [unrolled: 1-line block ×3, first 2 shown]
	v_cmp_lt_u32_e64 s[20:21], v5, v28
	v_cmp_le_u16_sdwa s[22:23], v31, v32 src0_sel:BYTE_0 src1_sel:BYTE_0
	s_and_b64 s[20:21], s[20:21], s[22:23]
	s_or_b64 s[20:21], s[12:13], s[20:21]
	v_cndmask_b32_e64 v12, v13, v5, s[20:21]
	v_cndmask_b32_e64 v14, v29, v28, s[20:21]
	v_add_u32_e32 v15, 1, v12
	v_add_u32_e32 v14, -1, v14
	v_min_u32_e32 v14, v15, v14
	v_add_u32_e32 v14, v10, v14
	ds_read_u8 v14, v14
	v_cndmask_b32_e64 v5, v5, v15, s[20:21]
	v_cndmask_b32_e64 v13, v15, v13, s[20:21]
	v_cmp_lt_u32_e64 s[22:23], v5, v28
	v_cmp_ge_u32_e64 s[12:13], v13, v29
	s_waitcnt lgkmcnt(0)
	v_cndmask_b32_e64 v30, v14, v31, s[20:21]
	v_cndmask_b32_e64 v33, v32, v14, s[20:21]
	v_cmp_le_u16_sdwa s[26:27], v30, v33 src0_sel:BYTE_0 src1_sel:BYTE_0
	s_and_b64 s[22:23], s[22:23], s[26:27]
	s_or_b64 s[22:23], s[12:13], s[22:23]
	v_cndmask_b32_e64 v14, v13, v5, s[22:23]
	v_cndmask_b32_e64 v15, v29, v28, s[22:23]
	v_add_u32_e32 v16, 1, v14
	v_add_u32_e32 v15, -1, v15
	v_min_u32_e32 v15, v16, v15
	v_add_u32_e32 v15, v10, v15
	ds_read_u8 v15, v15
	v_lshl_add_u32 v12, v12, 3, v9
	v_lshl_add_u32 v14, v14, 3, v9
	v_cndmask_b32_e64 v39, v30, v33, s[22:23]
	s_waitcnt lgkmcnt(0)
	v_cndmask_b32_e64 v48, v15, v30, s[22:23]
	v_cndmask_b32_e64 v49, v33, v15, s[22:23]
	;; [unrolled: 1-line block ×4, first 2 shown]
	v_cmp_lt_u32_e64 s[26:27], v16, v28
	v_cmp_le_u16_sdwa s[28:29], v48, v49 src0_sel:BYTE_0 src1_sel:BYTE_0
	v_cmp_ge_u32_e64 s[12:13], v15, v29
	s_and_b64 s[26:27], s[26:27], s[28:29]
	s_or_b64 s[12:13], s[12:13], s[26:27]
	v_cndmask_b32_e64 v17, v15, v16, s[12:13]
	v_cndmask_b32_e64 v5, v29, v28, s[12:13]
	v_add_u32_e32 v18, 1, v17
	v_add_u32_e32 v5, -1, v5
	v_min_u32_e32 v5, v18, v5
	v_add_u32_e32 v5, v10, v5
	ds_read_u8 v19, v5
	ds_read_b64 v[4:5], v4 offset:2048
	ds_read_b64 v[12:13], v12 offset:2048
	s_waitcnt lgkmcnt(2)
	v_cndmask_b32_e64 v50, v19, v48, s[12:13]
	v_cndmask_b32_e64 v51, v49, v19, s[12:13]
	v_cndmask_b32_e64 v19, v18, v15, s[12:13]
	v_cndmask_b32_e64 v18, v16, v18, s[12:13]
	v_cmp_lt_u32_e64 s[28:29], v18, v28
	v_cmp_le_u16_sdwa s[40:41], v50, v51 src0_sel:BYTE_0 src1_sel:BYTE_0
	v_cmp_ge_u32_e64 s[26:27], v19, v29
	s_and_b64 s[28:29], s[28:29], s[40:41]
	s_or_b64 s[26:27], s[26:27], s[28:29]
	v_cndmask_b32_e64 v20, v19, v18, s[26:27]
	v_cndmask_b32_e64 v15, v29, v28, s[26:27]
	v_add_u32_e32 v21, 1, v20
	v_add_u32_e32 v15, -1, v15
	v_min_u32_e32 v15, v21, v15
	v_add_u32_e32 v15, v10, v15
	ds_read_u8 v22, v15
	v_cndmask_b32_e64 v18, v18, v21, s[26:27]
	v_cndmask_b32_e64 v19, v21, v19, s[26:27]
	v_cmp_lt_u32_e64 s[40:41], v18, v28
	v_cmp_ge_u32_e64 s[28:29], v19, v29
	s_waitcnt lgkmcnt(0)
	v_cndmask_b32_e64 v52, v22, v50, s[26:27]
	v_cndmask_b32_e64 v53, v51, v22, s[26:27]
	v_cmp_le_u16_sdwa s[42:43], v52, v53 src0_sel:BYTE_0 src1_sel:BYTE_0
	s_and_b64 s[40:41], s[40:41], s[42:43]
	s_or_b64 s[28:29], s[28:29], s[40:41]
	v_cndmask_b32_e64 v22, v19, v18, s[28:29]
	v_cndmask_b32_e64 v21, v29, v28, s[28:29]
	v_add_u32_e32 v37, 1, v22
	v_add_u32_e32 v21, -1, v21
	v_min_u32_e32 v21, v37, v21
	v_add_u32_e32 v21, v10, v21
	ds_read_u8 v38, v21
	v_cndmask_b32_e64 v65, v18, v37, s[28:29]
	v_cndmask_b32_e64 v64, v37, v19, s[28:29]
	v_cmp_lt_u32_e64 s[42:43], v65, v28
	v_cmp_ge_u32_e64 s[40:41], v64, v29
	s_waitcnt lgkmcnt(0)
	v_cndmask_b32_e64 v54, v38, v52, s[28:29]
	v_cndmask_b32_e64 v55, v53, v38, s[28:29]
	v_cmp_le_u16_sdwa s[56:57], v54, v55 src0_sel:BYTE_0 src1_sel:BYTE_0
	s_and_b64 s[42:43], s[42:43], s[56:57]
	s_or_b64 s[40:41], s[40:41], s[42:43]
	v_cndmask_b32_e64 v18, v64, v65, s[40:41]
	v_cndmask_b32_e64 v19, v29, v28, s[40:41]
	v_lshl_add_u32 v37, v18, 3, v9
	v_add_u32_e32 v66, 1, v18
	v_add_u32_e32 v18, -1, v19
	v_lshl_add_u32 v16, v17, 3, v9
	v_lshl_add_u32 v20, v20, 3, v9
	;; [unrolled: 1-line block ×3, first 2 shown]
	v_min_u32_e32 v18, v66, v18
	ds_read_b64 v[14:15], v14 offset:2048
	ds_read_b64 v[16:17], v16 offset:2048
	;; [unrolled: 1-line block ×4, first 2 shown]
	v_add_u32_e32 v38, v10, v18
	ds_read_b64 v[18:19], v37 offset:2048
	ds_read_u8 v67, v38
	v_cndmask_b32_e64 v37, v25, v24, s[8:9]
	v_cndmask_b32_e64 v38, v31, v32, s[20:21]
	;; [unrolled: 1-line block ×4, first 2 shown]
	s_waitcnt lgkmcnt(0)
	v_cndmask_b32_e64 v30, v67, v54, s[40:41]
	v_cndmask_b32_e64 v31, v55, v67, s[40:41]
	;; [unrolled: 1-line block ×3, first 2 shown]
	v_cmp_lt_u32_e64 s[12:13], v25, v28
	v_cmp_le_u16_sdwa s[20:21], v30, v31 src0_sel:BYTE_0 src1_sel:BYTE_0
	v_cmp_ge_u32_e64 s[8:9], v24, v29
	s_and_b64 s[12:13], s[12:13], s[20:21]
	s_or_b64 s[8:9], s[8:9], s[12:13]
	v_cndmask_b32_e64 v24, v24, v25, s[8:9]
	v_lshl_add_u32 v24, v24, 3, v9
	ds_read_b64 v[24:25], v24 offset:2048
	v_cndmask_b32_e64 v51, v50, v51, s[26:27]
	v_cndmask_b32_e64 v50, v52, v53, s[28:29]
	;; [unrolled: 1-line block ×4, first 2 shown]
.LBB1546_204:
	s_or_b64 exec, exec, s[46:47]
	v_add_u32_e32 v28, 0x800, v27
	; wave barrier
	ds_write2_b64 v28, v[4:5], v[12:13] offset1:1
	v_add_u32_e32 v28, 0x810, v27
	ds_write2_b64 v28, v[14:15], v[16:17] offset1:1
	v_add_u32_e32 v28, 0x820, v27
	s_mov_b32 s8, 0xc0c0004
	ds_write2_b64 v28, v[20:21], v[22:23] offset1:1
	v_perm_b32 v28, v51, v50, s8
	v_perm_b32 v29, v52, v49, s8
	v_lshl_or_b32 v29, v29, 16, v28
	v_perm_b32 v28, v37, v38, s8
	v_perm_b32 v31, v39, v48, s8
	v_add_u32_e32 v30, 0x830, v27
	v_lshl_or_b32 v28, v31, 16, v28
	ds_write_b64 v26, v[28:29]
	s_waitcnt lgkmcnt(4)
	ds_write2_b64 v30, v[18:19], v[24:25] offset1:1
	v_and_b32_e32 v30, 0x3c0, v36
	v_or_b32_e32 v28, 32, v30
	v_min_u32_e32 v28, v11, v28
	v_add_u32_e32 v29, 32, v28
	v_min_u32_e32 v29, v11, v29
	v_and_b32_e32 v31, 56, v36
	v_min_u32_e32 v31, v11, v31
	v_sub_u32_e32 v33, v28, v30
	v_sub_u32_e32 v32, v29, v28
	v_sub_u32_e64 v32, v31, v32 clamp
	v_min_u32_e32 v33, v31, v33
	v_cmp_lt_u32_e64 s[8:9], v32, v33
	; wave barrier
	s_and_saveexec_b64 s[12:13], s[8:9]
	s_cbranch_execz .LBB1546_208
; %bb.205:
	v_add_u32_e32 v53, v10, v30
	v_add3_u32 v54, v10, v28, v31
	s_mov_b64 s[20:21], 0
.LBB1546_206:                           ; =>This Inner Loop Header: Depth=1
	v_add_u32_e32 v55, v33, v32
	v_lshrrev_b32_e32 v55, 1, v55
	v_add_u32_e32 v64, v53, v55
	v_xad_u32 v65, v55, -1, v54
	ds_read_u8 v64, v64
	ds_read_u8 v65, v65
	v_add_u32_e32 v66, 1, v55
	s_waitcnt lgkmcnt(0)
	v_cmp_gt_u16_e64 s[8:9], v65, v64
	v_cndmask_b32_e64 v33, v33, v55, s[8:9]
	v_cndmask_b32_e64 v32, v66, v32, s[8:9]
	v_cmp_ge_u32_e64 s[8:9], v32, v33
	s_or_b64 s[20:21], s[8:9], s[20:21]
	s_andn2_b64 exec, exec, s[20:21]
	s_cbranch_execnz .LBB1546_206
; %bb.207:
	s_or_b64 exec, exec, s[20:21]
.LBB1546_208:
	s_or_b64 exec, exec, s[12:13]
	v_add_u32_e32 v31, v28, v31
	v_add_u32_e32 v30, v32, v30
	v_sub_u32_e32 v31, v31, v32
	v_cmp_le_u32_e64 s[8:9], v30, v28
	v_cmp_le_u32_e64 s[12:13], v31, v29
	s_or_b64 s[8:9], s[8:9], s[12:13]
	s_and_saveexec_b64 s[46:47], s[8:9]
	s_cbranch_execz .LBB1546_214
; %bb.209:
	v_cmp_lt_u32_e64 s[8:9], v30, v28
                                        ; implicit-def: $vgpr24
	s_and_saveexec_b64 s[12:13], s[8:9]
; %bb.210:
	v_add_u32_e32 v4, v10, v30
	ds_read_u8 v24, v4
; %bb.211:
	s_or_b64 exec, exec, s[12:13]
	v_cmp_ge_u32_e64 s[20:21], v31, v29
	v_cmp_lt_u32_e64 s[12:13], v31, v29
                                        ; implicit-def: $vgpr25
	s_and_saveexec_b64 s[22:23], s[12:13]
; %bb.212:
	v_add_u32_e32 v4, v10, v31
	ds_read_u8 v25, v4
; %bb.213:
	s_or_b64 exec, exec, s[22:23]
	s_waitcnt lgkmcnt(0)
	v_cmp_le_u16_sdwa s[12:13], v25, v24 src0_sel:BYTE_0 src1_sel:BYTE_0
	s_and_b64 s[8:9], s[8:9], s[12:13]
	s_or_b64 s[8:9], s[20:21], s[8:9]
	v_cndmask_b32_e64 v4, v31, v30, s[8:9]
	v_cndmask_b32_e64 v5, v29, v28, s[8:9]
	v_add_u32_e32 v12, 1, v4
	v_add_u32_e32 v5, -1, v5
	v_min_u32_e32 v5, v12, v5
	v_add_u32_e32 v5, v10, v5
	ds_read_u8 v5, v5
	v_cndmask_b32_e64 v13, v12, v31, s[8:9]
	v_cmp_ge_u32_e64 s[12:13], v13, v29
	v_lshl_add_u32 v4, v4, 3, v9
	s_waitcnt lgkmcnt(0)
	v_cndmask_b32_e64 v31, v5, v25, s[8:9]
	v_cndmask_b32_e64 v32, v24, v5, s[8:9]
	;; [unrolled: 1-line block ×3, first 2 shown]
	v_cmp_lt_u32_e64 s[20:21], v5, v28
	v_cmp_le_u16_sdwa s[22:23], v31, v32 src0_sel:BYTE_0 src1_sel:BYTE_0
	s_and_b64 s[20:21], s[20:21], s[22:23]
	s_or_b64 s[20:21], s[12:13], s[20:21]
	v_cndmask_b32_e64 v12, v13, v5, s[20:21]
	v_cndmask_b32_e64 v14, v29, v28, s[20:21]
	v_add_u32_e32 v15, 1, v12
	v_add_u32_e32 v14, -1, v14
	v_min_u32_e32 v14, v15, v14
	v_add_u32_e32 v14, v10, v14
	ds_read_u8 v14, v14
	v_cndmask_b32_e64 v5, v5, v15, s[20:21]
	v_cndmask_b32_e64 v13, v15, v13, s[20:21]
	v_cmp_lt_u32_e64 s[22:23], v5, v28
	v_cmp_ge_u32_e64 s[12:13], v13, v29
	s_waitcnt lgkmcnt(0)
	v_cndmask_b32_e64 v30, v14, v31, s[20:21]
	v_cndmask_b32_e64 v33, v32, v14, s[20:21]
	v_cmp_le_u16_sdwa s[26:27], v30, v33 src0_sel:BYTE_0 src1_sel:BYTE_0
	s_and_b64 s[22:23], s[22:23], s[26:27]
	s_or_b64 s[22:23], s[12:13], s[22:23]
	v_cndmask_b32_e64 v14, v13, v5, s[22:23]
	v_cndmask_b32_e64 v15, v29, v28, s[22:23]
	v_add_u32_e32 v16, 1, v14
	v_add_u32_e32 v15, -1, v15
	v_min_u32_e32 v15, v16, v15
	v_add_u32_e32 v15, v10, v15
	ds_read_u8 v15, v15
	v_lshl_add_u32 v12, v12, 3, v9
	v_lshl_add_u32 v14, v14, 3, v9
	v_cndmask_b32_e64 v39, v30, v33, s[22:23]
	s_waitcnt lgkmcnt(0)
	v_cndmask_b32_e64 v48, v15, v30, s[22:23]
	v_cndmask_b32_e64 v49, v33, v15, s[22:23]
	;; [unrolled: 1-line block ×4, first 2 shown]
	v_cmp_lt_u32_e64 s[26:27], v16, v28
	v_cmp_le_u16_sdwa s[28:29], v48, v49 src0_sel:BYTE_0 src1_sel:BYTE_0
	v_cmp_ge_u32_e64 s[12:13], v15, v29
	s_and_b64 s[26:27], s[26:27], s[28:29]
	s_or_b64 s[12:13], s[12:13], s[26:27]
	v_cndmask_b32_e64 v17, v15, v16, s[12:13]
	v_cndmask_b32_e64 v5, v29, v28, s[12:13]
	v_add_u32_e32 v18, 1, v17
	v_add_u32_e32 v5, -1, v5
	v_min_u32_e32 v5, v18, v5
	v_add_u32_e32 v5, v10, v5
	ds_read_u8 v19, v5
	ds_read_b64 v[4:5], v4 offset:2048
	ds_read_b64 v[12:13], v12 offset:2048
	s_waitcnt lgkmcnt(2)
	v_cndmask_b32_e64 v50, v19, v48, s[12:13]
	v_cndmask_b32_e64 v51, v49, v19, s[12:13]
	;; [unrolled: 1-line block ×4, first 2 shown]
	v_cmp_lt_u32_e64 s[28:29], v18, v28
	v_cmp_le_u16_sdwa s[40:41], v50, v51 src0_sel:BYTE_0 src1_sel:BYTE_0
	v_cmp_ge_u32_e64 s[26:27], v19, v29
	s_and_b64 s[28:29], s[28:29], s[40:41]
	s_or_b64 s[26:27], s[26:27], s[28:29]
	v_cndmask_b32_e64 v20, v19, v18, s[26:27]
	v_cndmask_b32_e64 v15, v29, v28, s[26:27]
	v_add_u32_e32 v21, 1, v20
	v_add_u32_e32 v15, -1, v15
	v_min_u32_e32 v15, v21, v15
	v_add_u32_e32 v15, v10, v15
	ds_read_u8 v22, v15
	v_cndmask_b32_e64 v18, v18, v21, s[26:27]
	v_cndmask_b32_e64 v19, v21, v19, s[26:27]
	v_cmp_lt_u32_e64 s[40:41], v18, v28
	v_cmp_ge_u32_e64 s[28:29], v19, v29
	s_waitcnt lgkmcnt(0)
	v_cndmask_b32_e64 v52, v22, v50, s[26:27]
	v_cndmask_b32_e64 v53, v51, v22, s[26:27]
	v_cmp_le_u16_sdwa s[42:43], v52, v53 src0_sel:BYTE_0 src1_sel:BYTE_0
	s_and_b64 s[40:41], s[40:41], s[42:43]
	s_or_b64 s[28:29], s[28:29], s[40:41]
	v_cndmask_b32_e64 v22, v19, v18, s[28:29]
	v_cndmask_b32_e64 v21, v29, v28, s[28:29]
	v_add_u32_e32 v37, 1, v22
	v_add_u32_e32 v21, -1, v21
	v_min_u32_e32 v21, v37, v21
	v_add_u32_e32 v21, v10, v21
	ds_read_u8 v38, v21
	v_cndmask_b32_e64 v65, v18, v37, s[28:29]
	v_cndmask_b32_e64 v64, v37, v19, s[28:29]
	v_cmp_lt_u32_e64 s[42:43], v65, v28
	v_cmp_ge_u32_e64 s[40:41], v64, v29
	s_waitcnt lgkmcnt(0)
	v_cndmask_b32_e64 v54, v38, v52, s[28:29]
	v_cndmask_b32_e64 v55, v53, v38, s[28:29]
	v_cmp_le_u16_sdwa s[56:57], v54, v55 src0_sel:BYTE_0 src1_sel:BYTE_0
	s_and_b64 s[42:43], s[42:43], s[56:57]
	s_or_b64 s[40:41], s[40:41], s[42:43]
	v_cndmask_b32_e64 v18, v64, v65, s[40:41]
	v_cndmask_b32_e64 v19, v29, v28, s[40:41]
	v_lshl_add_u32 v37, v18, 3, v9
	v_add_u32_e32 v66, 1, v18
	v_add_u32_e32 v18, -1, v19
	v_lshl_add_u32 v16, v17, 3, v9
	v_lshl_add_u32 v20, v20, 3, v9
	;; [unrolled: 1-line block ×3, first 2 shown]
	v_min_u32_e32 v18, v66, v18
	ds_read_b64 v[14:15], v14 offset:2048
	ds_read_b64 v[16:17], v16 offset:2048
	;; [unrolled: 1-line block ×4, first 2 shown]
	v_add_u32_e32 v38, v10, v18
	ds_read_b64 v[18:19], v37 offset:2048
	ds_read_u8 v67, v38
	v_cndmask_b32_e64 v37, v25, v24, s[8:9]
	v_cndmask_b32_e64 v38, v31, v32, s[20:21]
	;; [unrolled: 1-line block ×4, first 2 shown]
	s_waitcnt lgkmcnt(0)
	v_cndmask_b32_e64 v30, v67, v54, s[40:41]
	v_cndmask_b32_e64 v31, v55, v67, s[40:41]
	;; [unrolled: 1-line block ×3, first 2 shown]
	v_cmp_lt_u32_e64 s[12:13], v25, v28
	v_cmp_le_u16_sdwa s[20:21], v30, v31 src0_sel:BYTE_0 src1_sel:BYTE_0
	v_cmp_ge_u32_e64 s[8:9], v24, v29
	s_and_b64 s[12:13], s[12:13], s[20:21]
	s_or_b64 s[8:9], s[8:9], s[12:13]
	v_cndmask_b32_e64 v24, v24, v25, s[8:9]
	v_lshl_add_u32 v24, v24, 3, v9
	ds_read_b64 v[24:25], v24 offset:2048
	v_cndmask_b32_e64 v51, v50, v51, s[26:27]
	v_cndmask_b32_e64 v50, v52, v53, s[28:29]
	;; [unrolled: 1-line block ×4, first 2 shown]
.LBB1546_214:
	s_or_b64 exec, exec, s[46:47]
	v_add_u32_e32 v28, 0x800, v27
	; wave barrier
	ds_write2_b64 v28, v[4:5], v[12:13] offset1:1
	v_add_u32_e32 v28, 0x810, v27
	ds_write2_b64 v28, v[14:15], v[16:17] offset1:1
	v_add_u32_e32 v28, 0x820, v27
	s_mov_b32 s8, 0xc0c0004
	ds_write2_b64 v28, v[20:21], v[22:23] offset1:1
	v_add_u32_e32 v29, 0x830, v27
	v_perm_b32 v27, v51, v50, s8
	v_perm_b32 v28, v52, v49, s8
	v_lshl_or_b32 v28, v28, 16, v27
	v_perm_b32 v27, v37, v38, s8
	v_perm_b32 v30, v39, v48, s8
	v_lshl_or_b32 v27, v30, 16, v27
	ds_write_b64 v26, v[27:28]
	s_waitcnt lgkmcnt(4)
	ds_write2_b64 v29, v[18:19], v[24:25] offset1:1
	v_and_b32_e32 v28, 0x380, v36
	v_or_b32_e32 v26, 64, v28
	v_min_u32_e32 v26, v11, v26
	v_add_u32_e32 v27, 64, v26
	v_min_u32_e32 v27, v11, v27
	v_min_u32_e32 v11, v11, v34
	v_sub_u32_e32 v30, v26, v28
	v_sub_u32_e32 v29, v27, v26
	v_sub_u32_e64 v29, v11, v29 clamp
	v_min_u32_e32 v30, v11, v30
	v_cmp_lt_u32_e64 s[8:9], v29, v30
	; wave barrier
	s_and_saveexec_b64 s[12:13], s[8:9]
	s_cbranch_execz .LBB1546_218
; %bb.215:
	v_add_u32_e32 v31, v10, v28
	v_add3_u32 v32, v10, v26, v11
	s_mov_b64 s[20:21], 0
.LBB1546_216:                           ; =>This Inner Loop Header: Depth=1
	v_add_u32_e32 v33, v30, v29
	v_lshrrev_b32_e32 v33, 1, v33
	v_add_u32_e32 v36, v31, v33
	v_xad_u32 v53, v33, -1, v32
	ds_read_u8 v36, v36
	ds_read_u8 v53, v53
	v_add_u32_e32 v54, 1, v33
	s_waitcnt lgkmcnt(0)
	v_cmp_gt_u16_e64 s[8:9], v53, v36
	v_cndmask_b32_e64 v30, v30, v33, s[8:9]
	v_cndmask_b32_e64 v29, v54, v29, s[8:9]
	v_cmp_ge_u32_e64 s[8:9], v29, v30
	s_or_b64 s[20:21], s[8:9], s[20:21]
	s_andn2_b64 exec, exec, s[20:21]
	s_cbranch_execnz .LBB1546_216
; %bb.217:
	s_or_b64 exec, exec, s[20:21]
.LBB1546_218:
	s_or_b64 exec, exec, s[12:13]
	v_add_u32_e32 v11, v26, v11
	v_add_u32_e32 v28, v29, v28
	v_sub_u32_e32 v29, v11, v29
	v_cmp_le_u32_e64 s[8:9], v28, v26
	v_cmp_le_u32_e64 s[12:13], v29, v27
	s_or_b64 s[8:9], s[8:9], s[12:13]
	s_and_saveexec_b64 s[46:47], s[8:9]
	s_cbranch_execz .LBB1546_224
; %bb.219:
	v_cmp_lt_u32_e64 s[8:9], v28, v26
                                        ; implicit-def: $vgpr11
	s_and_saveexec_b64 s[12:13], s[8:9]
; %bb.220:
	v_add_u32_e32 v4, v10, v28
	ds_read_u8 v11, v4
; %bb.221:
	s_or_b64 exec, exec, s[12:13]
	v_cmp_ge_u32_e64 s[20:21], v29, v27
	v_cmp_lt_u32_e64 s[12:13], v29, v27
                                        ; implicit-def: $vgpr24
	s_and_saveexec_b64 s[22:23], s[12:13]
; %bb.222:
	v_add_u32_e32 v4, v10, v29
	ds_read_u8 v24, v4
; %bb.223:
	s_or_b64 exec, exec, s[22:23]
	s_waitcnt lgkmcnt(0)
	v_cmp_le_u16_sdwa s[12:13], v24, v11 src0_sel:BYTE_0 src1_sel:BYTE_0
	s_and_b64 s[8:9], s[8:9], s[12:13]
	s_or_b64 s[8:9], s[20:21], s[8:9]
	v_cndmask_b32_e64 v4, v29, v28, s[8:9]
	v_cndmask_b32_e64 v5, v27, v26, s[8:9]
	v_add_u32_e32 v12, 1, v4
	v_add_u32_e32 v5, -1, v5
	v_min_u32_e32 v5, v12, v5
	v_add_u32_e32 v5, v10, v5
	ds_read_u8 v5, v5
	v_cndmask_b32_e64 v13, v12, v29, s[8:9]
	v_cmp_ge_u32_e64 s[12:13], v13, v27
	v_lshl_add_u32 v4, v4, 3, v9
	s_waitcnt lgkmcnt(0)
	v_cndmask_b32_e64 v25, v5, v24, s[8:9]
	v_cndmask_b32_e64 v29, v11, v5, s[8:9]
	;; [unrolled: 1-line block ×3, first 2 shown]
	v_cmp_lt_u32_e64 s[20:21], v5, v26
	v_cmp_le_u16_sdwa s[22:23], v25, v29 src0_sel:BYTE_0 src1_sel:BYTE_0
	s_and_b64 s[20:21], s[20:21], s[22:23]
	s_or_b64 s[20:21], s[12:13], s[20:21]
	v_cndmask_b32_e64 v12, v13, v5, s[20:21]
	v_cndmask_b32_e64 v14, v27, v26, s[20:21]
	v_add_u32_e32 v15, 1, v12
	v_add_u32_e32 v14, -1, v14
	v_min_u32_e32 v14, v15, v14
	v_add_u32_e32 v14, v10, v14
	ds_read_u8 v14, v14
	v_cndmask_b32_e64 v5, v5, v15, s[20:21]
	v_cndmask_b32_e64 v13, v15, v13, s[20:21]
	v_cmp_lt_u32_e64 s[22:23], v5, v26
	v_cmp_ge_u32_e64 s[12:13], v13, v27
	s_waitcnt lgkmcnt(0)
	v_cndmask_b32_e64 v28, v14, v25, s[20:21]
	v_cndmask_b32_e64 v30, v29, v14, s[20:21]
	v_cmp_le_u16_sdwa s[26:27], v28, v30 src0_sel:BYTE_0 src1_sel:BYTE_0
	s_and_b64 s[22:23], s[22:23], s[26:27]
	s_or_b64 s[22:23], s[12:13], s[22:23]
	v_cndmask_b32_e64 v14, v13, v5, s[22:23]
	v_cndmask_b32_e64 v15, v27, v26, s[22:23]
	v_add_u32_e32 v16, 1, v14
	v_add_u32_e32 v15, -1, v15
	v_min_u32_e32 v15, v16, v15
	v_add_u32_e32 v15, v10, v15
	ds_read_u8 v15, v15
	v_lshl_add_u32 v12, v12, 3, v9
	v_lshl_add_u32 v14, v14, 3, v9
	v_cndmask_b32_e64 v39, v28, v30, s[22:23]
	s_waitcnt lgkmcnt(0)
	v_cndmask_b32_e64 v31, v15, v28, s[22:23]
	v_cndmask_b32_e64 v32, v30, v15, s[22:23]
	;; [unrolled: 1-line block ×4, first 2 shown]
	v_cmp_lt_u32_e64 s[26:27], v16, v26
	v_cmp_le_u16_sdwa s[28:29], v31, v32 src0_sel:BYTE_0 src1_sel:BYTE_0
	v_cmp_ge_u32_e64 s[12:13], v15, v27
	s_and_b64 s[26:27], s[26:27], s[28:29]
	s_or_b64 s[12:13], s[12:13], s[26:27]
	v_cndmask_b32_e64 v17, v15, v16, s[12:13]
	v_cndmask_b32_e64 v5, v27, v26, s[12:13]
	v_add_u32_e32 v18, 1, v17
	v_add_u32_e32 v5, -1, v5
	v_min_u32_e32 v5, v18, v5
	v_add_u32_e32 v5, v10, v5
	ds_read_u8 v19, v5
	ds_read_b64 v[4:5], v4 offset:2048
	ds_read_b64 v[12:13], v12 offset:2048
	v_cndmask_b32_e64 v48, v31, v32, s[12:13]
	s_waitcnt lgkmcnt(2)
	v_cndmask_b32_e64 v33, v19, v31, s[12:13]
	v_cndmask_b32_e64 v36, v32, v19, s[12:13]
	;; [unrolled: 1-line block ×4, first 2 shown]
	v_cmp_lt_u32_e64 s[28:29], v18, v26
	v_cmp_le_u16_sdwa s[40:41], v33, v36 src0_sel:BYTE_0 src1_sel:BYTE_0
	v_cmp_ge_u32_e64 s[26:27], v19, v27
	s_and_b64 s[28:29], s[28:29], s[40:41]
	s_or_b64 s[26:27], s[26:27], s[28:29]
	v_cndmask_b32_e64 v20, v19, v18, s[26:27]
	v_cndmask_b32_e64 v15, v27, v26, s[26:27]
	v_add_u32_e32 v21, 1, v20
	v_add_u32_e32 v15, -1, v15
	v_min_u32_e32 v15, v21, v15
	v_add_u32_e32 v15, v10, v15
	ds_read_u8 v22, v15
	v_cndmask_b32_e64 v18, v18, v21, s[26:27]
	v_cndmask_b32_e64 v19, v21, v19, s[26:27]
	v_cmp_lt_u32_e64 s[40:41], v18, v26
	v_cmp_ge_u32_e64 s[28:29], v19, v27
	s_waitcnt lgkmcnt(0)
	v_cndmask_b32_e64 v49, v22, v33, s[26:27]
	v_cndmask_b32_e64 v50, v36, v22, s[26:27]
	v_cmp_le_u16_sdwa s[42:43], v49, v50 src0_sel:BYTE_0 src1_sel:BYTE_0
	s_and_b64 s[40:41], s[40:41], s[42:43]
	s_or_b64 s[28:29], s[28:29], s[40:41]
	v_cndmask_b32_e64 v22, v19, v18, s[28:29]
	v_cndmask_b32_e64 v21, v27, v26, s[28:29]
	v_add_u32_e32 v37, 1, v22
	v_add_u32_e32 v21, -1, v21
	v_min_u32_e32 v21, v37, v21
	v_add_u32_e32 v21, v10, v21
	ds_read_u8 v38, v21
	v_cndmask_b32_e64 v54, v18, v37, s[28:29]
	v_cndmask_b32_e64 v51, v37, v19, s[28:29]
	v_cmp_lt_u32_e64 s[42:43], v54, v26
	v_cmp_ge_u32_e64 s[40:41], v51, v27
	s_waitcnt lgkmcnt(0)
	v_cndmask_b32_e64 v52, v38, v49, s[28:29]
	v_cndmask_b32_e64 v53, v50, v38, s[28:29]
	v_cmp_le_u16_sdwa s[56:57], v52, v53 src0_sel:BYTE_0 src1_sel:BYTE_0
	s_and_b64 s[42:43], s[42:43], s[56:57]
	s_or_b64 s[40:41], s[40:41], s[42:43]
	v_cndmask_b32_e64 v18, v51, v54, s[40:41]
	v_cndmask_b32_e64 v19, v27, v26, s[40:41]
	v_lshl_add_u32 v37, v18, 3, v9
	v_add_u32_e32 v55, 1, v18
	v_add_u32_e32 v18, -1, v19
	v_min_u32_e32 v18, v55, v18
	v_lshl_add_u32 v16, v17, 3, v9
	v_lshl_add_u32 v20, v20, 3, v9
	;; [unrolled: 1-line block ×3, first 2 shown]
	v_add_u32_e32 v10, v10, v18
	ds_read_b64 v[14:15], v14 offset:2048
	ds_read_b64 v[16:17], v16 offset:2048
	ds_read_b64 v[20:21], v20 offset:2048
	ds_read_b64 v[22:23], v22 offset:2048
	ds_read_b64 v[18:19], v37 offset:2048
	ds_read_u8 v10, v10
	v_cndmask_b32_e64 v37, v24, v11, s[8:9]
	v_cndmask_b32_e64 v38, v25, v29, s[20:21]
	;; [unrolled: 1-line block ×4, first 2 shown]
	s_waitcnt lgkmcnt(0)
	v_cndmask_b32_e64 v11, v10, v52, s[40:41]
	v_cndmask_b32_e64 v10, v53, v10, s[40:41]
	v_cmp_lt_u32_e64 s[12:13], v25, v26
	v_cmp_le_u16_sdwa s[20:21], v11, v10 src0_sel:BYTE_0 src1_sel:BYTE_0
	v_cmp_ge_u32_e64 s[8:9], v24, v27
	s_and_b64 s[12:13], s[12:13], s[20:21]
	s_or_b64 s[8:9], s[8:9], s[12:13]
	v_cndmask_b32_e64 v24, v24, v25, s[8:9]
	v_lshl_add_u32 v9, v24, 3, v9
	ds_read_b64 v[24:25], v9 offset:2048
	v_cndmask_b32_e64 v51, v33, v36, s[26:27]
	v_cndmask_b32_e64 v50, v49, v50, s[28:29]
	;; [unrolled: 1-line block ×4, first 2 shown]
.LBB1546_224:
	s_or_b64 exec, exec, s[46:47]
	; wave barrier
	s_waitcnt lgkmcnt(0)
	s_barrier
.LBB1546_225:
	s_or_b64 exec, exec, s[44:45]
	v_add_co_u32_e64 v2, s[8:9], v2, v8
	v_addc_co_u32_e64 v3, s[8:9], 0, v3, s[8:9]
	v_add_co_u32_e64 v2, s[8:9], v2, v34
	v_addc_co_u32_e64 v3, s[8:9], 0, v3, s[8:9]
	; wave barrier
	s_and_saveexec_b64 s[8:9], vcc
	s_cbranch_execnz .LBB1546_250
; %bb.226:
	s_or_b64 exec, exec, s[8:9]
	s_and_saveexec_b64 s[8:9], s[4:5]
	s_cbranch_execnz .LBB1546_251
.LBB1546_227:
	s_or_b64 exec, exec, s[8:9]
	s_and_saveexec_b64 s[8:9], s[6:7]
	s_cbranch_execnz .LBB1546_252
.LBB1546_228:
	s_or_b64 exec, exec, s[8:9]
	s_and_saveexec_b64 s[8:9], s[18:19]
	s_cbranch_execnz .LBB1546_253
.LBB1546_229:
	s_or_b64 exec, exec, s[8:9]
	s_and_saveexec_b64 s[8:9], s[10:11]
	s_cbranch_execnz .LBB1546_254
.LBB1546_230:
	s_or_b64 exec, exec, s[8:9]
	s_and_saveexec_b64 s[8:9], s[24:25]
	s_cbranch_execnz .LBB1546_255
.LBB1546_231:
	s_or_b64 exec, exec, s[8:9]
	s_and_saveexec_b64 s[8:9], s[14:15]
	s_cbranch_execnz .LBB1546_256
.LBB1546_232:
	s_or_b64 exec, exec, s[8:9]
	s_and_saveexec_b64 s[8:9], s[16:17]
	s_cbranch_execz .LBB1546_234
.LBB1546_233:
	s_waitcnt vmcnt(0) lgkmcnt(0)
	flat_store_byte v[2:3], v49 offset:7
.LBB1546_234:
	s_or_b64 exec, exec, s[8:9]
	v_add_co_u32_e64 v0, s[8:9], v6, v0
	v_addc_co_u32_e64 v1, s[8:9], v7, v1, s[8:9]
	v_add_co_u32_e64 v0, s[8:9], v0, v35
	v_addc_co_u32_e64 v1, s[8:9], 0, v1, s[8:9]
	; wave barrier
	s_and_saveexec_b64 s[8:9], vcc
	s_cbranch_execnz .LBB1546_257
; %bb.235:
	s_or_b64 exec, exec, s[8:9]
	s_and_saveexec_b64 s[8:9], s[4:5]
	s_cbranch_execnz .LBB1546_258
.LBB1546_236:
	s_or_b64 exec, exec, s[8:9]
	s_and_saveexec_b64 s[4:5], s[6:7]
	s_cbranch_execnz .LBB1546_259
.LBB1546_237:
	s_or_b64 exec, exec, s[4:5]
	s_and_saveexec_b64 s[4:5], s[18:19]
	s_cbranch_execnz .LBB1546_260
.LBB1546_238:
	s_or_b64 exec, exec, s[4:5]
	s_and_saveexec_b64 s[4:5], s[10:11]
	s_cbranch_execnz .LBB1546_261
.LBB1546_239:
	s_or_b64 exec, exec, s[4:5]
	s_and_saveexec_b64 s[4:5], s[24:25]
	s_cbranch_execnz .LBB1546_262
.LBB1546_240:
	s_or_b64 exec, exec, s[4:5]
	s_and_saveexec_b64 s[4:5], s[14:15]
	s_cbranch_execnz .LBB1546_263
.LBB1546_241:
	s_or_b64 exec, exec, s[4:5]
	s_and_saveexec_b64 s[4:5], s[16:17]
	s_cbranch_execnz .LBB1546_264
.LBB1546_242:
	s_or_b64 exec, exec, s[4:5]
	s_waitcnt vmcnt(0) lgkmcnt(0)
	s_setpc_b64 s[30:31]
.LBB1546_243:
	flat_load_dwordx2 v[4:5], v[26:27]
	s_or_b64 exec, exec, s[20:21]
	s_and_saveexec_b64 s[20:21], s[4:5]
                                        ; implicit-def: $vgpr12_vgpr13
	s_cbranch_execz .LBB1546_18
.LBB1546_244:
	flat_load_dwordx2 v[12:13], v[26:27] offset:8
	s_or_b64 exec, exec, s[20:21]
                                        ; implicit-def: $vgpr14_vgpr15
	s_and_saveexec_b64 s[20:21], s[6:7]
	s_cbranch_execz .LBB1546_19
.LBB1546_245:
	flat_load_dwordx2 v[14:15], v[26:27] offset:16
	s_or_b64 exec, exec, s[20:21]
	s_and_saveexec_b64 s[20:21], s[18:19]
                                        ; implicit-def: $vgpr16_vgpr17
	s_cbranch_execz .LBB1546_20
.LBB1546_246:
	flat_load_dwordx2 v[16:17], v[26:27] offset:24
	s_or_b64 exec, exec, s[20:21]
                                        ; implicit-def: $vgpr20_vgpr21
	s_and_saveexec_b64 s[20:21], s[10:11]
	s_cbranch_execz .LBB1546_21
.LBB1546_247:
	flat_load_dwordx2 v[20:21], v[26:27] offset:32
	s_or_b64 exec, exec, s[20:21]
	s_and_saveexec_b64 s[20:21], s[24:25]
                                        ; implicit-def: $vgpr22_vgpr23
	s_cbranch_execz .LBB1546_22
.LBB1546_248:
	flat_load_dwordx2 v[22:23], v[26:27] offset:40
	s_or_b64 exec, exec, s[20:21]
                                        ; implicit-def: $vgpr18_vgpr19
	s_and_saveexec_b64 s[20:21], s[14:15]
	s_cbranch_execz .LBB1546_23
.LBB1546_249:
	flat_load_dwordx2 v[18:19], v[26:27] offset:48
	s_or_b64 exec, exec, s[20:21]
	s_and_saveexec_b64 s[20:21], s[16:17]
                                        ; implicit-def: $vgpr24_vgpr25
	s_cbranch_execnz .LBB1546_24
	s_branch .LBB1546_25
.LBB1546_250:
	s_waitcnt vmcnt(0) lgkmcnt(0)
	flat_store_byte v[2:3], v37
	s_or_b64 exec, exec, s[8:9]
	s_and_saveexec_b64 s[8:9], s[4:5]
	s_cbranch_execz .LBB1546_227
.LBB1546_251:
	s_waitcnt vmcnt(0) lgkmcnt(0)
	flat_store_byte v[2:3], v38 offset:1
	s_or_b64 exec, exec, s[8:9]
	s_and_saveexec_b64 s[8:9], s[6:7]
	s_cbranch_execz .LBB1546_228
.LBB1546_252:
	s_waitcnt vmcnt(0) lgkmcnt(0)
	flat_store_byte v[2:3], v39 offset:2
	s_or_b64 exec, exec, s[8:9]
	s_and_saveexec_b64 s[8:9], s[18:19]
	s_cbranch_execz .LBB1546_229
.LBB1546_253:
	s_waitcnt vmcnt(0) lgkmcnt(0)
	flat_store_byte v[2:3], v48 offset:3
	s_or_b64 exec, exec, s[8:9]
	s_and_saveexec_b64 s[8:9], s[10:11]
	s_cbranch_execz .LBB1546_230
.LBB1546_254:
	s_waitcnt vmcnt(0) lgkmcnt(0)
	flat_store_byte v[2:3], v51 offset:4
	s_or_b64 exec, exec, s[8:9]
	s_and_saveexec_b64 s[8:9], s[24:25]
	s_cbranch_execz .LBB1546_231
.LBB1546_255:
	s_waitcnt vmcnt(0) lgkmcnt(0)
	flat_store_byte v[2:3], v50 offset:5
	s_or_b64 exec, exec, s[8:9]
	s_and_saveexec_b64 s[8:9], s[14:15]
	s_cbranch_execz .LBB1546_232
.LBB1546_256:
	s_waitcnt vmcnt(0) lgkmcnt(0)
	flat_store_byte v[2:3], v52 offset:6
	s_or_b64 exec, exec, s[8:9]
	s_and_saveexec_b64 s[8:9], s[16:17]
	s_cbranch_execnz .LBB1546_233
	s_branch .LBB1546_234
.LBB1546_257:
	s_waitcnt vmcnt(0) lgkmcnt(0)
	flat_store_dwordx2 v[0:1], v[4:5]
	s_or_b64 exec, exec, s[8:9]
	s_and_saveexec_b64 s[8:9], s[4:5]
	s_cbranch_execz .LBB1546_236
.LBB1546_258:
	s_waitcnt vmcnt(0) lgkmcnt(0)
	flat_store_dwordx2 v[0:1], v[12:13] offset:8
	s_or_b64 exec, exec, s[8:9]
	s_and_saveexec_b64 s[4:5], s[6:7]
	s_cbranch_execz .LBB1546_237
.LBB1546_259:
	s_waitcnt vmcnt(0) lgkmcnt(0)
	flat_store_dwordx2 v[0:1], v[14:15] offset:16
	s_or_b64 exec, exec, s[4:5]
	s_and_saveexec_b64 s[4:5], s[18:19]
	s_cbranch_execz .LBB1546_238
.LBB1546_260:
	s_waitcnt vmcnt(0) lgkmcnt(0)
	flat_store_dwordx2 v[0:1], v[16:17] offset:24
	s_or_b64 exec, exec, s[4:5]
	s_and_saveexec_b64 s[4:5], s[10:11]
	s_cbranch_execz .LBB1546_239
.LBB1546_261:
	s_waitcnt vmcnt(0) lgkmcnt(0)
	flat_store_dwordx2 v[0:1], v[20:21] offset:32
	s_or_b64 exec, exec, s[4:5]
	s_and_saveexec_b64 s[4:5], s[24:25]
	s_cbranch_execz .LBB1546_240
.LBB1546_262:
	s_waitcnt vmcnt(0) lgkmcnt(0)
	flat_store_dwordx2 v[0:1], v[22:23] offset:40
	s_or_b64 exec, exec, s[4:5]
	s_and_saveexec_b64 s[4:5], s[14:15]
	s_cbranch_execz .LBB1546_241
.LBB1546_263:
	s_waitcnt vmcnt(0) lgkmcnt(0)
	flat_store_dwordx2 v[0:1], v[18:19] offset:48
	s_or_b64 exec, exec, s[4:5]
	s_and_saveexec_b64 s[4:5], s[16:17]
	s_cbranch_execz .LBB1546_242
.LBB1546_264:
	s_waitcnt vmcnt(0) lgkmcnt(0)
	flat_store_dwordx2 v[0:1], v[24:25] offset:56
	s_or_b64 exec, exec, s[4:5]
	s_waitcnt vmcnt(0) lgkmcnt(0)
	s_setpc_b64 s[30:31]
.Lfunc_end1546:
	.size	_ZN7rocprim17ROCPRIM_400000_NS6detail26segmented_warp_sort_helperINS1_20WarpSortHelperConfigILj16ELj8ELj256EEEblLi256ELb1EvE4sortIPKbPbPKlPlEEvT_T0_T1_T2_jjjjRNS5_12storage_typeE, .Lfunc_end1546-_ZN7rocprim17ROCPRIM_400000_NS6detail26segmented_warp_sort_helperINS1_20WarpSortHelperConfigILj16ELj8ELj256EEEblLi256ELb1EvE4sortIPKbPbPKlPlEEvT_T0_T1_T2_jjjjRNS5_12storage_typeE
                                        ; -- End function
	.set .L_ZN7rocprim17ROCPRIM_400000_NS6detail26segmented_warp_sort_helperINS1_20WarpSortHelperConfigILj16ELj8ELj256EEEblLi256ELb1EvE4sortIPKbPbPKlPlEEvT_T0_T1_T2_jjjjRNS5_12storage_typeE.num_vgpr, 68
	.set .L_ZN7rocprim17ROCPRIM_400000_NS6detail26segmented_warp_sort_helperINS1_20WarpSortHelperConfigILj16ELj8ELj256EEEblLi256ELb1EvE4sortIPKbPbPKlPlEEvT_T0_T1_T2_jjjjRNS5_12storage_typeE.num_agpr, 0
	.set .L_ZN7rocprim17ROCPRIM_400000_NS6detail26segmented_warp_sort_helperINS1_20WarpSortHelperConfigILj16ELj8ELj256EEEblLi256ELb1EvE4sortIPKbPbPKlPlEEvT_T0_T1_T2_jjjjRNS5_12storage_typeE.numbered_sgpr, 58
	.set .L_ZN7rocprim17ROCPRIM_400000_NS6detail26segmented_warp_sort_helperINS1_20WarpSortHelperConfigILj16ELj8ELj256EEEblLi256ELb1EvE4sortIPKbPbPKlPlEEvT_T0_T1_T2_jjjjRNS5_12storage_typeE.num_named_barrier, 0
	.set .L_ZN7rocprim17ROCPRIM_400000_NS6detail26segmented_warp_sort_helperINS1_20WarpSortHelperConfigILj16ELj8ELj256EEEblLi256ELb1EvE4sortIPKbPbPKlPlEEvT_T0_T1_T2_jjjjRNS5_12storage_typeE.private_seg_size, 12
	.set .L_ZN7rocprim17ROCPRIM_400000_NS6detail26segmented_warp_sort_helperINS1_20WarpSortHelperConfigILj16ELj8ELj256EEEblLi256ELb1EvE4sortIPKbPbPKlPlEEvT_T0_T1_T2_jjjjRNS5_12storage_typeE.uses_vcc, 1
	.set .L_ZN7rocprim17ROCPRIM_400000_NS6detail26segmented_warp_sort_helperINS1_20WarpSortHelperConfigILj16ELj8ELj256EEEblLi256ELb1EvE4sortIPKbPbPKlPlEEvT_T0_T1_T2_jjjjRNS5_12storage_typeE.uses_flat_scratch, 0
	.set .L_ZN7rocprim17ROCPRIM_400000_NS6detail26segmented_warp_sort_helperINS1_20WarpSortHelperConfigILj16ELj8ELj256EEEblLi256ELb1EvE4sortIPKbPbPKlPlEEvT_T0_T1_T2_jjjjRNS5_12storage_typeE.has_dyn_sized_stack, 0
	.set .L_ZN7rocprim17ROCPRIM_400000_NS6detail26segmented_warp_sort_helperINS1_20WarpSortHelperConfigILj16ELj8ELj256EEEblLi256ELb1EvE4sortIPKbPbPKlPlEEvT_T0_T1_T2_jjjjRNS5_12storage_typeE.has_recursion, 0
	.set .L_ZN7rocprim17ROCPRIM_400000_NS6detail26segmented_warp_sort_helperINS1_20WarpSortHelperConfigILj16ELj8ELj256EEEblLi256ELb1EvE4sortIPKbPbPKlPlEEvT_T0_T1_T2_jjjjRNS5_12storage_typeE.has_indirect_call, 0
	.section	.AMDGPU.csdata,"",@progbits
; Function info:
; codeLenInByte = 16788
; TotalNumSgprs: 62
; NumVgprs: 68
; ScratchSize: 12
; MemoryBound: 0
	.section	.text._ZN7rocprim17ROCPRIM_400000_NS6detail17trampoline_kernelINS0_14default_configENS1_36segmented_radix_sort_config_selectorIblEEZNS1_25segmented_radix_sort_implIS3_Lb1EPKbPbPKlPlN2at6native12_GLOBAL__N_18offset_tEEE10hipError_tPvRmT1_PNSt15iterator_traitsISK_E10value_typeET2_T3_PNSL_ISQ_E10value_typeET4_jRbjT5_SW_jjP12ihipStream_tbEUlT_E0_NS1_11comp_targetILNS1_3genE2ELNS1_11target_archE906ELNS1_3gpuE6ELNS1_3repE0EEENS1_60segmented_radix_sort_warp_sort_medium_config_static_selectorELNS0_4arch9wavefront6targetE1EEEvSK_,"axG",@progbits,_ZN7rocprim17ROCPRIM_400000_NS6detail17trampoline_kernelINS0_14default_configENS1_36segmented_radix_sort_config_selectorIblEEZNS1_25segmented_radix_sort_implIS3_Lb1EPKbPbPKlPlN2at6native12_GLOBAL__N_18offset_tEEE10hipError_tPvRmT1_PNSt15iterator_traitsISK_E10value_typeET2_T3_PNSL_ISQ_E10value_typeET4_jRbjT5_SW_jjP12ihipStream_tbEUlT_E0_NS1_11comp_targetILNS1_3genE2ELNS1_11target_archE906ELNS1_3gpuE6ELNS1_3repE0EEENS1_60segmented_radix_sort_warp_sort_medium_config_static_selectorELNS0_4arch9wavefront6targetE1EEEvSK_,comdat
	.globl	_ZN7rocprim17ROCPRIM_400000_NS6detail17trampoline_kernelINS0_14default_configENS1_36segmented_radix_sort_config_selectorIblEEZNS1_25segmented_radix_sort_implIS3_Lb1EPKbPbPKlPlN2at6native12_GLOBAL__N_18offset_tEEE10hipError_tPvRmT1_PNSt15iterator_traitsISK_E10value_typeET2_T3_PNSL_ISQ_E10value_typeET4_jRbjT5_SW_jjP12ihipStream_tbEUlT_E0_NS1_11comp_targetILNS1_3genE2ELNS1_11target_archE906ELNS1_3gpuE6ELNS1_3repE0EEENS1_60segmented_radix_sort_warp_sort_medium_config_static_selectorELNS0_4arch9wavefront6targetE1EEEvSK_ ; -- Begin function _ZN7rocprim17ROCPRIM_400000_NS6detail17trampoline_kernelINS0_14default_configENS1_36segmented_radix_sort_config_selectorIblEEZNS1_25segmented_radix_sort_implIS3_Lb1EPKbPbPKlPlN2at6native12_GLOBAL__N_18offset_tEEE10hipError_tPvRmT1_PNSt15iterator_traitsISK_E10value_typeET2_T3_PNSL_ISQ_E10value_typeET4_jRbjT5_SW_jjP12ihipStream_tbEUlT_E0_NS1_11comp_targetILNS1_3genE2ELNS1_11target_archE906ELNS1_3gpuE6ELNS1_3repE0EEENS1_60segmented_radix_sort_warp_sort_medium_config_static_selectorELNS0_4arch9wavefront6targetE1EEEvSK_
	.p2align	8
	.type	_ZN7rocprim17ROCPRIM_400000_NS6detail17trampoline_kernelINS0_14default_configENS1_36segmented_radix_sort_config_selectorIblEEZNS1_25segmented_radix_sort_implIS3_Lb1EPKbPbPKlPlN2at6native12_GLOBAL__N_18offset_tEEE10hipError_tPvRmT1_PNSt15iterator_traitsISK_E10value_typeET2_T3_PNSL_ISQ_E10value_typeET4_jRbjT5_SW_jjP12ihipStream_tbEUlT_E0_NS1_11comp_targetILNS1_3genE2ELNS1_11target_archE906ELNS1_3gpuE6ELNS1_3repE0EEENS1_60segmented_radix_sort_warp_sort_medium_config_static_selectorELNS0_4arch9wavefront6targetE1EEEvSK_,@function
_ZN7rocprim17ROCPRIM_400000_NS6detail17trampoline_kernelINS0_14default_configENS1_36segmented_radix_sort_config_selectorIblEEZNS1_25segmented_radix_sort_implIS3_Lb1EPKbPbPKlPlN2at6native12_GLOBAL__N_18offset_tEEE10hipError_tPvRmT1_PNSt15iterator_traitsISK_E10value_typeET2_T3_PNSL_ISQ_E10value_typeET4_jRbjT5_SW_jjP12ihipStream_tbEUlT_E0_NS1_11comp_targetILNS1_3genE2ELNS1_11target_archE906ELNS1_3gpuE6ELNS1_3repE0EEENS1_60segmented_radix_sort_warp_sort_medium_config_static_selectorELNS0_4arch9wavefront6targetE1EEEvSK_: ; @_ZN7rocprim17ROCPRIM_400000_NS6detail17trampoline_kernelINS0_14default_configENS1_36segmented_radix_sort_config_selectorIblEEZNS1_25segmented_radix_sort_implIS3_Lb1EPKbPbPKlPlN2at6native12_GLOBAL__N_18offset_tEEE10hipError_tPvRmT1_PNSt15iterator_traitsISK_E10value_typeET2_T3_PNSL_ISQ_E10value_typeET4_jRbjT5_SW_jjP12ihipStream_tbEUlT_E0_NS1_11comp_targetILNS1_3genE2ELNS1_11target_archE906ELNS1_3gpuE6ELNS1_3repE0EEENS1_60segmented_radix_sort_warp_sort_medium_config_static_selectorELNS0_4arch9wavefront6targetE1EEEvSK_
; %bb.0:
	s_add_u32 s0, s0, s8
	s_load_dword s8, s[4:5], 0x64
	s_addc_u32 s1, s1, 0
	s_mov_b32 s32, 0
	s_waitcnt lgkmcnt(0)
	s_lshr_b32 s9, s8, 16
	s_and_b32 s8, s8, 0xffff
	v_mad_u32_u24 v3, v2, s9, v1
	v_mad_u64_u32 v[3:4], s[8:9], v3, s8, v[0:1]
	s_load_dword s8, s[4:5], 0x34
	v_lshrrev_b32_e32 v3, 4, v3
	v_lshl_add_u32 v3, s6, 4, v3
	s_waitcnt lgkmcnt(0)
	v_cmp_gt_u32_e32 vcc, s8, v3
	s_and_saveexec_b64 s[8:9], vcc
	s_cbranch_execz .LBB1547_6
; %bb.1:
	s_load_dwordx2 s[12:13], s[4:5], 0x38
	s_load_dwordx4 s[8:11], s[4:5], 0x40
	v_mov_b32_e32 v4, 0
	v_lshlrev_b64 v[3:4], 2, v[3:4]
	s_waitcnt lgkmcnt(0)
	v_mov_b32_e32 v5, s13
	v_add_co_u32_e32 v3, vcc, s12, v3
	v_addc_co_u32_e32 v4, vcc, v5, v4, vcc
	global_load_dword v3, v[3:4], off
	s_waitcnt vmcnt(0)
	v_add_u32_e32 v4, s9, v3
	v_add_u32_e32 v3, s11, v3
	v_mul_lo_u32 v8, v4, s8
	v_mul_lo_u32 v40, v3, s10
	v_cmp_gt_u32_e32 vcc, v40, v8
	s_and_b64 exec, exec, vcc
	s_cbranch_execz .LBB1547_6
; %bb.2:
	s_load_dword s10, s[4:5], 0x30
	s_load_dwordx4 s[36:39], s[4:5], 0x20
	s_load_dwordx8 s[48:55], s[4:5], 0x0
	s_load_dwordx2 s[34:35], s[4:5], 0x50
	s_mov_b64 s[8:9], -1
	s_waitcnt lgkmcnt(0)
	s_bitcmp0_b32 s10, 0
	v_lshlrev_b32_e32 v42, 20, v2
	v_lshlrev_b32_e32 v43, 10, v1
	s_cbranch_scc0 .LBB1547_4
; %bb.3:
	s_add_u32 s8, s4, 0x58
	s_addc_u32 s9, s5, 0
	s_getpc_b64 s[10:11]
	s_add_u32 s10, s10, _ZN7rocprim17ROCPRIM_400000_NS6detail26segmented_warp_sort_helperINS1_20WarpSortHelperConfigILj16ELj8ELj256EEEblLi256ELb1EvE4sortIPKbPbPKlPlEEvT_T0_T1_T2_jjjjRNS5_12storage_typeE@rel32@lo+4
	s_addc_u32 s11, s11, _ZN7rocprim17ROCPRIM_400000_NS6detail26segmented_warp_sort_helperINS1_20WarpSortHelperConfigILj16ELj8ELj256EEEblLi256ELb1EvE4sortIPKbPbPKlPlEEvT_T0_T1_T2_jjjjRNS5_12storage_typeE@rel32@hi+12
	v_or3_b32 v31, v0, v43, v42
	s_mov_b32 s12, s6
	s_mov_b32 s13, s7
	v_mov_b32_e32 v41, v0
	v_mov_b32_e32 v0, s48
	;; [unrolled: 1-line block ×12, first 2 shown]
	s_mov_b64 s[36:37], s[4:5]
	s_mov_b32 s50, s7
	s_mov_b32 s33, s6
	s_swappc_b64 s[30:31], s[10:11]
	v_mov_b32_e32 v0, v41
	s_mov_b32 s6, s33
	s_mov_b32 s7, s50
	s_mov_b64 s[4:5], s[36:37]
	s_mov_b64 s[8:9], 0
.LBB1547_4:
	s_andn2_b64 vcc, exec, s[8:9]
	s_cbranch_vccnz .LBB1547_6
; %bb.5:
	s_add_u32 s8, s4, 0x58
	s_addc_u32 s9, s5, 0
	s_getpc_b64 s[4:5]
	s_add_u32 s4, s4, _ZN7rocprim17ROCPRIM_400000_NS6detail26segmented_warp_sort_helperINS1_20WarpSortHelperConfigILj16ELj8ELj256EEEblLi256ELb1EvE4sortIPKbPbPKlPlEEvT_T0_T1_T2_jjjjRNS5_12storage_typeE@rel32@lo+4
	s_addc_u32 s5, s5, _ZN7rocprim17ROCPRIM_400000_NS6detail26segmented_warp_sort_helperINS1_20WarpSortHelperConfigILj16ELj8ELj256EEEblLi256ELb1EvE4sortIPKbPbPKlPlEEvT_T0_T1_T2_jjjjRNS5_12storage_typeE@rel32@hi+12
	v_or3_b32 v31, v0, v43, v42
	s_mov_b32 s12, s6
	s_mov_b32 s13, s7
	v_mov_b32_e32 v0, s48
	v_mov_b32_e32 v1, s49
	;; [unrolled: 1-line block ×11, first 2 shown]
	s_swappc_b64 s[30:31], s[4:5]
.LBB1547_6:
	s_endpgm
	.section	.rodata,"a",@progbits
	.p2align	6, 0x0
	.amdhsa_kernel _ZN7rocprim17ROCPRIM_400000_NS6detail17trampoline_kernelINS0_14default_configENS1_36segmented_radix_sort_config_selectorIblEEZNS1_25segmented_radix_sort_implIS3_Lb1EPKbPbPKlPlN2at6native12_GLOBAL__N_18offset_tEEE10hipError_tPvRmT1_PNSt15iterator_traitsISK_E10value_typeET2_T3_PNSL_ISQ_E10value_typeET4_jRbjT5_SW_jjP12ihipStream_tbEUlT_E0_NS1_11comp_targetILNS1_3genE2ELNS1_11target_archE906ELNS1_3gpuE6ELNS1_3repE0EEENS1_60segmented_radix_sort_warp_sort_medium_config_static_selectorELNS0_4arch9wavefront6targetE1EEEvSK_
		.amdhsa_group_segment_fixed_size 18432
		.amdhsa_private_segment_fixed_size 12
		.amdhsa_kernarg_size 344
		.amdhsa_user_sgpr_count 6
		.amdhsa_user_sgpr_private_segment_buffer 1
		.amdhsa_user_sgpr_dispatch_ptr 0
		.amdhsa_user_sgpr_queue_ptr 0
		.amdhsa_user_sgpr_kernarg_segment_ptr 1
		.amdhsa_user_sgpr_dispatch_id 0
		.amdhsa_user_sgpr_flat_scratch_init 0
		.amdhsa_user_sgpr_private_segment_size 0
		.amdhsa_uses_dynamic_stack 0
		.amdhsa_system_sgpr_private_segment_wavefront_offset 1
		.amdhsa_system_sgpr_workgroup_id_x 1
		.amdhsa_system_sgpr_workgroup_id_y 1
		.amdhsa_system_sgpr_workgroup_id_z 0
		.amdhsa_system_sgpr_workgroup_info 0
		.amdhsa_system_vgpr_workitem_id 2
		.amdhsa_next_free_vgpr 68
		.amdhsa_next_free_sgpr 98
		.amdhsa_reserve_vcc 1
		.amdhsa_reserve_flat_scratch 0
		.amdhsa_float_round_mode_32 0
		.amdhsa_float_round_mode_16_64 0
		.amdhsa_float_denorm_mode_32 3
		.amdhsa_float_denorm_mode_16_64 3
		.amdhsa_dx10_clamp 1
		.amdhsa_ieee_mode 1
		.amdhsa_fp16_overflow 0
		.amdhsa_exception_fp_ieee_invalid_op 0
		.amdhsa_exception_fp_denorm_src 0
		.amdhsa_exception_fp_ieee_div_zero 0
		.amdhsa_exception_fp_ieee_overflow 0
		.amdhsa_exception_fp_ieee_underflow 0
		.amdhsa_exception_fp_ieee_inexact 0
		.amdhsa_exception_int_div_zero 0
	.end_amdhsa_kernel
	.section	.text._ZN7rocprim17ROCPRIM_400000_NS6detail17trampoline_kernelINS0_14default_configENS1_36segmented_radix_sort_config_selectorIblEEZNS1_25segmented_radix_sort_implIS3_Lb1EPKbPbPKlPlN2at6native12_GLOBAL__N_18offset_tEEE10hipError_tPvRmT1_PNSt15iterator_traitsISK_E10value_typeET2_T3_PNSL_ISQ_E10value_typeET4_jRbjT5_SW_jjP12ihipStream_tbEUlT_E0_NS1_11comp_targetILNS1_3genE2ELNS1_11target_archE906ELNS1_3gpuE6ELNS1_3repE0EEENS1_60segmented_radix_sort_warp_sort_medium_config_static_selectorELNS0_4arch9wavefront6targetE1EEEvSK_,"axG",@progbits,_ZN7rocprim17ROCPRIM_400000_NS6detail17trampoline_kernelINS0_14default_configENS1_36segmented_radix_sort_config_selectorIblEEZNS1_25segmented_radix_sort_implIS3_Lb1EPKbPbPKlPlN2at6native12_GLOBAL__N_18offset_tEEE10hipError_tPvRmT1_PNSt15iterator_traitsISK_E10value_typeET2_T3_PNSL_ISQ_E10value_typeET4_jRbjT5_SW_jjP12ihipStream_tbEUlT_E0_NS1_11comp_targetILNS1_3genE2ELNS1_11target_archE906ELNS1_3gpuE6ELNS1_3repE0EEENS1_60segmented_radix_sort_warp_sort_medium_config_static_selectorELNS0_4arch9wavefront6targetE1EEEvSK_,comdat
.Lfunc_end1547:
	.size	_ZN7rocprim17ROCPRIM_400000_NS6detail17trampoline_kernelINS0_14default_configENS1_36segmented_radix_sort_config_selectorIblEEZNS1_25segmented_radix_sort_implIS3_Lb1EPKbPbPKlPlN2at6native12_GLOBAL__N_18offset_tEEE10hipError_tPvRmT1_PNSt15iterator_traitsISK_E10value_typeET2_T3_PNSL_ISQ_E10value_typeET4_jRbjT5_SW_jjP12ihipStream_tbEUlT_E0_NS1_11comp_targetILNS1_3genE2ELNS1_11target_archE906ELNS1_3gpuE6ELNS1_3repE0EEENS1_60segmented_radix_sort_warp_sort_medium_config_static_selectorELNS0_4arch9wavefront6targetE1EEEvSK_, .Lfunc_end1547-_ZN7rocprim17ROCPRIM_400000_NS6detail17trampoline_kernelINS0_14default_configENS1_36segmented_radix_sort_config_selectorIblEEZNS1_25segmented_radix_sort_implIS3_Lb1EPKbPbPKlPlN2at6native12_GLOBAL__N_18offset_tEEE10hipError_tPvRmT1_PNSt15iterator_traitsISK_E10value_typeET2_T3_PNSL_ISQ_E10value_typeET4_jRbjT5_SW_jjP12ihipStream_tbEUlT_E0_NS1_11comp_targetILNS1_3genE2ELNS1_11target_archE906ELNS1_3gpuE6ELNS1_3repE0EEENS1_60segmented_radix_sort_warp_sort_medium_config_static_selectorELNS0_4arch9wavefront6targetE1EEEvSK_
                                        ; -- End function
	.set _ZN7rocprim17ROCPRIM_400000_NS6detail17trampoline_kernelINS0_14default_configENS1_36segmented_radix_sort_config_selectorIblEEZNS1_25segmented_radix_sort_implIS3_Lb1EPKbPbPKlPlN2at6native12_GLOBAL__N_18offset_tEEE10hipError_tPvRmT1_PNSt15iterator_traitsISK_E10value_typeET2_T3_PNSL_ISQ_E10value_typeET4_jRbjT5_SW_jjP12ihipStream_tbEUlT_E0_NS1_11comp_targetILNS1_3genE2ELNS1_11target_archE906ELNS1_3gpuE6ELNS1_3repE0EEENS1_60segmented_radix_sort_warp_sort_medium_config_static_selectorELNS0_4arch9wavefront6targetE1EEEvSK_.num_vgpr, max(44, .L_ZN7rocprim17ROCPRIM_400000_NS6detail26segmented_warp_sort_helperINS1_20WarpSortHelperConfigILj16ELj8ELj256EEEblLi256ELb1EvE4sortIPKbPbPKlPlEEvT_T0_T1_T2_jjjjRNS5_12storage_typeE.num_vgpr)
	.set _ZN7rocprim17ROCPRIM_400000_NS6detail17trampoline_kernelINS0_14default_configENS1_36segmented_radix_sort_config_selectorIblEEZNS1_25segmented_radix_sort_implIS3_Lb1EPKbPbPKlPlN2at6native12_GLOBAL__N_18offset_tEEE10hipError_tPvRmT1_PNSt15iterator_traitsISK_E10value_typeET2_T3_PNSL_ISQ_E10value_typeET4_jRbjT5_SW_jjP12ihipStream_tbEUlT_E0_NS1_11comp_targetILNS1_3genE2ELNS1_11target_archE906ELNS1_3gpuE6ELNS1_3repE0EEENS1_60segmented_radix_sort_warp_sort_medium_config_static_selectorELNS0_4arch9wavefront6targetE1EEEvSK_.num_agpr, max(0, .L_ZN7rocprim17ROCPRIM_400000_NS6detail26segmented_warp_sort_helperINS1_20WarpSortHelperConfigILj16ELj8ELj256EEEblLi256ELb1EvE4sortIPKbPbPKlPlEEvT_T0_T1_T2_jjjjRNS5_12storage_typeE.num_agpr)
	.set _ZN7rocprim17ROCPRIM_400000_NS6detail17trampoline_kernelINS0_14default_configENS1_36segmented_radix_sort_config_selectorIblEEZNS1_25segmented_radix_sort_implIS3_Lb1EPKbPbPKlPlN2at6native12_GLOBAL__N_18offset_tEEE10hipError_tPvRmT1_PNSt15iterator_traitsISK_E10value_typeET2_T3_PNSL_ISQ_E10value_typeET4_jRbjT5_SW_jjP12ihipStream_tbEUlT_E0_NS1_11comp_targetILNS1_3genE2ELNS1_11target_archE906ELNS1_3gpuE6ELNS1_3repE0EEENS1_60segmented_radix_sort_warp_sort_medium_config_static_selectorELNS0_4arch9wavefront6targetE1EEEvSK_.numbered_sgpr, max(56, .L_ZN7rocprim17ROCPRIM_400000_NS6detail26segmented_warp_sort_helperINS1_20WarpSortHelperConfigILj16ELj8ELj256EEEblLi256ELb1EvE4sortIPKbPbPKlPlEEvT_T0_T1_T2_jjjjRNS5_12storage_typeE.numbered_sgpr)
	.set _ZN7rocprim17ROCPRIM_400000_NS6detail17trampoline_kernelINS0_14default_configENS1_36segmented_radix_sort_config_selectorIblEEZNS1_25segmented_radix_sort_implIS3_Lb1EPKbPbPKlPlN2at6native12_GLOBAL__N_18offset_tEEE10hipError_tPvRmT1_PNSt15iterator_traitsISK_E10value_typeET2_T3_PNSL_ISQ_E10value_typeET4_jRbjT5_SW_jjP12ihipStream_tbEUlT_E0_NS1_11comp_targetILNS1_3genE2ELNS1_11target_archE906ELNS1_3gpuE6ELNS1_3repE0EEENS1_60segmented_radix_sort_warp_sort_medium_config_static_selectorELNS0_4arch9wavefront6targetE1EEEvSK_.num_named_barrier, max(0, .L_ZN7rocprim17ROCPRIM_400000_NS6detail26segmented_warp_sort_helperINS1_20WarpSortHelperConfigILj16ELj8ELj256EEEblLi256ELb1EvE4sortIPKbPbPKlPlEEvT_T0_T1_T2_jjjjRNS5_12storage_typeE.num_named_barrier)
	.set _ZN7rocprim17ROCPRIM_400000_NS6detail17trampoline_kernelINS0_14default_configENS1_36segmented_radix_sort_config_selectorIblEEZNS1_25segmented_radix_sort_implIS3_Lb1EPKbPbPKlPlN2at6native12_GLOBAL__N_18offset_tEEE10hipError_tPvRmT1_PNSt15iterator_traitsISK_E10value_typeET2_T3_PNSL_ISQ_E10value_typeET4_jRbjT5_SW_jjP12ihipStream_tbEUlT_E0_NS1_11comp_targetILNS1_3genE2ELNS1_11target_archE906ELNS1_3gpuE6ELNS1_3repE0EEENS1_60segmented_radix_sort_warp_sort_medium_config_static_selectorELNS0_4arch9wavefront6targetE1EEEvSK_.private_seg_size, 0+max(.L_ZN7rocprim17ROCPRIM_400000_NS6detail26segmented_warp_sort_helperINS1_20WarpSortHelperConfigILj16ELj8ELj256EEEblLi256ELb1EvE4sortIPKbPbPKlPlEEvT_T0_T1_T2_jjjjRNS5_12storage_typeE.private_seg_size)
	.set _ZN7rocprim17ROCPRIM_400000_NS6detail17trampoline_kernelINS0_14default_configENS1_36segmented_radix_sort_config_selectorIblEEZNS1_25segmented_radix_sort_implIS3_Lb1EPKbPbPKlPlN2at6native12_GLOBAL__N_18offset_tEEE10hipError_tPvRmT1_PNSt15iterator_traitsISK_E10value_typeET2_T3_PNSL_ISQ_E10value_typeET4_jRbjT5_SW_jjP12ihipStream_tbEUlT_E0_NS1_11comp_targetILNS1_3genE2ELNS1_11target_archE906ELNS1_3gpuE6ELNS1_3repE0EEENS1_60segmented_radix_sort_warp_sort_medium_config_static_selectorELNS0_4arch9wavefront6targetE1EEEvSK_.uses_vcc, or(1, .L_ZN7rocprim17ROCPRIM_400000_NS6detail26segmented_warp_sort_helperINS1_20WarpSortHelperConfigILj16ELj8ELj256EEEblLi256ELb1EvE4sortIPKbPbPKlPlEEvT_T0_T1_T2_jjjjRNS5_12storage_typeE.uses_vcc)
	.set _ZN7rocprim17ROCPRIM_400000_NS6detail17trampoline_kernelINS0_14default_configENS1_36segmented_radix_sort_config_selectorIblEEZNS1_25segmented_radix_sort_implIS3_Lb1EPKbPbPKlPlN2at6native12_GLOBAL__N_18offset_tEEE10hipError_tPvRmT1_PNSt15iterator_traitsISK_E10value_typeET2_T3_PNSL_ISQ_E10value_typeET4_jRbjT5_SW_jjP12ihipStream_tbEUlT_E0_NS1_11comp_targetILNS1_3genE2ELNS1_11target_archE906ELNS1_3gpuE6ELNS1_3repE0EEENS1_60segmented_radix_sort_warp_sort_medium_config_static_selectorELNS0_4arch9wavefront6targetE1EEEvSK_.uses_flat_scratch, or(0, .L_ZN7rocprim17ROCPRIM_400000_NS6detail26segmented_warp_sort_helperINS1_20WarpSortHelperConfigILj16ELj8ELj256EEEblLi256ELb1EvE4sortIPKbPbPKlPlEEvT_T0_T1_T2_jjjjRNS5_12storage_typeE.uses_flat_scratch)
	.set _ZN7rocprim17ROCPRIM_400000_NS6detail17trampoline_kernelINS0_14default_configENS1_36segmented_radix_sort_config_selectorIblEEZNS1_25segmented_radix_sort_implIS3_Lb1EPKbPbPKlPlN2at6native12_GLOBAL__N_18offset_tEEE10hipError_tPvRmT1_PNSt15iterator_traitsISK_E10value_typeET2_T3_PNSL_ISQ_E10value_typeET4_jRbjT5_SW_jjP12ihipStream_tbEUlT_E0_NS1_11comp_targetILNS1_3genE2ELNS1_11target_archE906ELNS1_3gpuE6ELNS1_3repE0EEENS1_60segmented_radix_sort_warp_sort_medium_config_static_selectorELNS0_4arch9wavefront6targetE1EEEvSK_.has_dyn_sized_stack, or(0, .L_ZN7rocprim17ROCPRIM_400000_NS6detail26segmented_warp_sort_helperINS1_20WarpSortHelperConfigILj16ELj8ELj256EEEblLi256ELb1EvE4sortIPKbPbPKlPlEEvT_T0_T1_T2_jjjjRNS5_12storage_typeE.has_dyn_sized_stack)
	.set _ZN7rocprim17ROCPRIM_400000_NS6detail17trampoline_kernelINS0_14default_configENS1_36segmented_radix_sort_config_selectorIblEEZNS1_25segmented_radix_sort_implIS3_Lb1EPKbPbPKlPlN2at6native12_GLOBAL__N_18offset_tEEE10hipError_tPvRmT1_PNSt15iterator_traitsISK_E10value_typeET2_T3_PNSL_ISQ_E10value_typeET4_jRbjT5_SW_jjP12ihipStream_tbEUlT_E0_NS1_11comp_targetILNS1_3genE2ELNS1_11target_archE906ELNS1_3gpuE6ELNS1_3repE0EEENS1_60segmented_radix_sort_warp_sort_medium_config_static_selectorELNS0_4arch9wavefront6targetE1EEEvSK_.has_recursion, or(0, .L_ZN7rocprim17ROCPRIM_400000_NS6detail26segmented_warp_sort_helperINS1_20WarpSortHelperConfigILj16ELj8ELj256EEEblLi256ELb1EvE4sortIPKbPbPKlPlEEvT_T0_T1_T2_jjjjRNS5_12storage_typeE.has_recursion)
	.set _ZN7rocprim17ROCPRIM_400000_NS6detail17trampoline_kernelINS0_14default_configENS1_36segmented_radix_sort_config_selectorIblEEZNS1_25segmented_radix_sort_implIS3_Lb1EPKbPbPKlPlN2at6native12_GLOBAL__N_18offset_tEEE10hipError_tPvRmT1_PNSt15iterator_traitsISK_E10value_typeET2_T3_PNSL_ISQ_E10value_typeET4_jRbjT5_SW_jjP12ihipStream_tbEUlT_E0_NS1_11comp_targetILNS1_3genE2ELNS1_11target_archE906ELNS1_3gpuE6ELNS1_3repE0EEENS1_60segmented_radix_sort_warp_sort_medium_config_static_selectorELNS0_4arch9wavefront6targetE1EEEvSK_.has_indirect_call, or(0, .L_ZN7rocprim17ROCPRIM_400000_NS6detail26segmented_warp_sort_helperINS1_20WarpSortHelperConfigILj16ELj8ELj256EEEblLi256ELb1EvE4sortIPKbPbPKlPlEEvT_T0_T1_T2_jjjjRNS5_12storage_typeE.has_indirect_call)
	.section	.AMDGPU.csdata,"",@progbits
; Kernel info:
; codeLenInByte = 476
; TotalNumSgprs: 62
; NumVgprs: 68
; ScratchSize: 12
; MemoryBound: 0
; FloatMode: 240
; IeeeMode: 1
; LDSByteSize: 18432 bytes/workgroup (compile time only)
; SGPRBlocks: 12
; VGPRBlocks: 16
; NumSGPRsForWavesPerEU: 102
; NumVGPRsForWavesPerEU: 68
; Occupancy: 3
; WaveLimiterHint : 0
; COMPUTE_PGM_RSRC2:SCRATCH_EN: 1
; COMPUTE_PGM_RSRC2:USER_SGPR: 6
; COMPUTE_PGM_RSRC2:TRAP_HANDLER: 0
; COMPUTE_PGM_RSRC2:TGID_X_EN: 1
; COMPUTE_PGM_RSRC2:TGID_Y_EN: 1
; COMPUTE_PGM_RSRC2:TGID_Z_EN: 0
; COMPUTE_PGM_RSRC2:TIDIG_COMP_CNT: 2
	.section	.text._ZN7rocprim17ROCPRIM_400000_NS6detail17trampoline_kernelINS0_14default_configENS1_36segmented_radix_sort_config_selectorIblEEZNS1_25segmented_radix_sort_implIS3_Lb1EPKbPbPKlPlN2at6native12_GLOBAL__N_18offset_tEEE10hipError_tPvRmT1_PNSt15iterator_traitsISK_E10value_typeET2_T3_PNSL_ISQ_E10value_typeET4_jRbjT5_SW_jjP12ihipStream_tbEUlT_E0_NS1_11comp_targetILNS1_3genE10ELNS1_11target_archE1201ELNS1_3gpuE5ELNS1_3repE0EEENS1_60segmented_radix_sort_warp_sort_medium_config_static_selectorELNS0_4arch9wavefront6targetE1EEEvSK_,"axG",@progbits,_ZN7rocprim17ROCPRIM_400000_NS6detail17trampoline_kernelINS0_14default_configENS1_36segmented_radix_sort_config_selectorIblEEZNS1_25segmented_radix_sort_implIS3_Lb1EPKbPbPKlPlN2at6native12_GLOBAL__N_18offset_tEEE10hipError_tPvRmT1_PNSt15iterator_traitsISK_E10value_typeET2_T3_PNSL_ISQ_E10value_typeET4_jRbjT5_SW_jjP12ihipStream_tbEUlT_E0_NS1_11comp_targetILNS1_3genE10ELNS1_11target_archE1201ELNS1_3gpuE5ELNS1_3repE0EEENS1_60segmented_radix_sort_warp_sort_medium_config_static_selectorELNS0_4arch9wavefront6targetE1EEEvSK_,comdat
	.globl	_ZN7rocprim17ROCPRIM_400000_NS6detail17trampoline_kernelINS0_14default_configENS1_36segmented_radix_sort_config_selectorIblEEZNS1_25segmented_radix_sort_implIS3_Lb1EPKbPbPKlPlN2at6native12_GLOBAL__N_18offset_tEEE10hipError_tPvRmT1_PNSt15iterator_traitsISK_E10value_typeET2_T3_PNSL_ISQ_E10value_typeET4_jRbjT5_SW_jjP12ihipStream_tbEUlT_E0_NS1_11comp_targetILNS1_3genE10ELNS1_11target_archE1201ELNS1_3gpuE5ELNS1_3repE0EEENS1_60segmented_radix_sort_warp_sort_medium_config_static_selectorELNS0_4arch9wavefront6targetE1EEEvSK_ ; -- Begin function _ZN7rocprim17ROCPRIM_400000_NS6detail17trampoline_kernelINS0_14default_configENS1_36segmented_radix_sort_config_selectorIblEEZNS1_25segmented_radix_sort_implIS3_Lb1EPKbPbPKlPlN2at6native12_GLOBAL__N_18offset_tEEE10hipError_tPvRmT1_PNSt15iterator_traitsISK_E10value_typeET2_T3_PNSL_ISQ_E10value_typeET4_jRbjT5_SW_jjP12ihipStream_tbEUlT_E0_NS1_11comp_targetILNS1_3genE10ELNS1_11target_archE1201ELNS1_3gpuE5ELNS1_3repE0EEENS1_60segmented_radix_sort_warp_sort_medium_config_static_selectorELNS0_4arch9wavefront6targetE1EEEvSK_
	.p2align	8
	.type	_ZN7rocprim17ROCPRIM_400000_NS6detail17trampoline_kernelINS0_14default_configENS1_36segmented_radix_sort_config_selectorIblEEZNS1_25segmented_radix_sort_implIS3_Lb1EPKbPbPKlPlN2at6native12_GLOBAL__N_18offset_tEEE10hipError_tPvRmT1_PNSt15iterator_traitsISK_E10value_typeET2_T3_PNSL_ISQ_E10value_typeET4_jRbjT5_SW_jjP12ihipStream_tbEUlT_E0_NS1_11comp_targetILNS1_3genE10ELNS1_11target_archE1201ELNS1_3gpuE5ELNS1_3repE0EEENS1_60segmented_radix_sort_warp_sort_medium_config_static_selectorELNS0_4arch9wavefront6targetE1EEEvSK_,@function
_ZN7rocprim17ROCPRIM_400000_NS6detail17trampoline_kernelINS0_14default_configENS1_36segmented_radix_sort_config_selectorIblEEZNS1_25segmented_radix_sort_implIS3_Lb1EPKbPbPKlPlN2at6native12_GLOBAL__N_18offset_tEEE10hipError_tPvRmT1_PNSt15iterator_traitsISK_E10value_typeET2_T3_PNSL_ISQ_E10value_typeET4_jRbjT5_SW_jjP12ihipStream_tbEUlT_E0_NS1_11comp_targetILNS1_3genE10ELNS1_11target_archE1201ELNS1_3gpuE5ELNS1_3repE0EEENS1_60segmented_radix_sort_warp_sort_medium_config_static_selectorELNS0_4arch9wavefront6targetE1EEEvSK_: ; @_ZN7rocprim17ROCPRIM_400000_NS6detail17trampoline_kernelINS0_14default_configENS1_36segmented_radix_sort_config_selectorIblEEZNS1_25segmented_radix_sort_implIS3_Lb1EPKbPbPKlPlN2at6native12_GLOBAL__N_18offset_tEEE10hipError_tPvRmT1_PNSt15iterator_traitsISK_E10value_typeET2_T3_PNSL_ISQ_E10value_typeET4_jRbjT5_SW_jjP12ihipStream_tbEUlT_E0_NS1_11comp_targetILNS1_3genE10ELNS1_11target_archE1201ELNS1_3gpuE5ELNS1_3repE0EEENS1_60segmented_radix_sort_warp_sort_medium_config_static_selectorELNS0_4arch9wavefront6targetE1EEEvSK_
; %bb.0:
	.section	.rodata,"a",@progbits
	.p2align	6, 0x0
	.amdhsa_kernel _ZN7rocprim17ROCPRIM_400000_NS6detail17trampoline_kernelINS0_14default_configENS1_36segmented_radix_sort_config_selectorIblEEZNS1_25segmented_radix_sort_implIS3_Lb1EPKbPbPKlPlN2at6native12_GLOBAL__N_18offset_tEEE10hipError_tPvRmT1_PNSt15iterator_traitsISK_E10value_typeET2_T3_PNSL_ISQ_E10value_typeET4_jRbjT5_SW_jjP12ihipStream_tbEUlT_E0_NS1_11comp_targetILNS1_3genE10ELNS1_11target_archE1201ELNS1_3gpuE5ELNS1_3repE0EEENS1_60segmented_radix_sort_warp_sort_medium_config_static_selectorELNS0_4arch9wavefront6targetE1EEEvSK_
		.amdhsa_group_segment_fixed_size 0
		.amdhsa_private_segment_fixed_size 0
		.amdhsa_kernarg_size 88
		.amdhsa_user_sgpr_count 6
		.amdhsa_user_sgpr_private_segment_buffer 1
		.amdhsa_user_sgpr_dispatch_ptr 0
		.amdhsa_user_sgpr_queue_ptr 0
		.amdhsa_user_sgpr_kernarg_segment_ptr 1
		.amdhsa_user_sgpr_dispatch_id 0
		.amdhsa_user_sgpr_flat_scratch_init 0
		.amdhsa_user_sgpr_private_segment_size 0
		.amdhsa_uses_dynamic_stack 0
		.amdhsa_system_sgpr_private_segment_wavefront_offset 0
		.amdhsa_system_sgpr_workgroup_id_x 1
		.amdhsa_system_sgpr_workgroup_id_y 0
		.amdhsa_system_sgpr_workgroup_id_z 0
		.amdhsa_system_sgpr_workgroup_info 0
		.amdhsa_system_vgpr_workitem_id 0
		.amdhsa_next_free_vgpr 1
		.amdhsa_next_free_sgpr 0
		.amdhsa_reserve_vcc 0
		.amdhsa_reserve_flat_scratch 0
		.amdhsa_float_round_mode_32 0
		.amdhsa_float_round_mode_16_64 0
		.amdhsa_float_denorm_mode_32 3
		.amdhsa_float_denorm_mode_16_64 3
		.amdhsa_dx10_clamp 1
		.amdhsa_ieee_mode 1
		.amdhsa_fp16_overflow 0
		.amdhsa_exception_fp_ieee_invalid_op 0
		.amdhsa_exception_fp_denorm_src 0
		.amdhsa_exception_fp_ieee_div_zero 0
		.amdhsa_exception_fp_ieee_overflow 0
		.amdhsa_exception_fp_ieee_underflow 0
		.amdhsa_exception_fp_ieee_inexact 0
		.amdhsa_exception_int_div_zero 0
	.end_amdhsa_kernel
	.section	.text._ZN7rocprim17ROCPRIM_400000_NS6detail17trampoline_kernelINS0_14default_configENS1_36segmented_radix_sort_config_selectorIblEEZNS1_25segmented_radix_sort_implIS3_Lb1EPKbPbPKlPlN2at6native12_GLOBAL__N_18offset_tEEE10hipError_tPvRmT1_PNSt15iterator_traitsISK_E10value_typeET2_T3_PNSL_ISQ_E10value_typeET4_jRbjT5_SW_jjP12ihipStream_tbEUlT_E0_NS1_11comp_targetILNS1_3genE10ELNS1_11target_archE1201ELNS1_3gpuE5ELNS1_3repE0EEENS1_60segmented_radix_sort_warp_sort_medium_config_static_selectorELNS0_4arch9wavefront6targetE1EEEvSK_,"axG",@progbits,_ZN7rocprim17ROCPRIM_400000_NS6detail17trampoline_kernelINS0_14default_configENS1_36segmented_radix_sort_config_selectorIblEEZNS1_25segmented_radix_sort_implIS3_Lb1EPKbPbPKlPlN2at6native12_GLOBAL__N_18offset_tEEE10hipError_tPvRmT1_PNSt15iterator_traitsISK_E10value_typeET2_T3_PNSL_ISQ_E10value_typeET4_jRbjT5_SW_jjP12ihipStream_tbEUlT_E0_NS1_11comp_targetILNS1_3genE10ELNS1_11target_archE1201ELNS1_3gpuE5ELNS1_3repE0EEENS1_60segmented_radix_sort_warp_sort_medium_config_static_selectorELNS0_4arch9wavefront6targetE1EEEvSK_,comdat
.Lfunc_end1548:
	.size	_ZN7rocprim17ROCPRIM_400000_NS6detail17trampoline_kernelINS0_14default_configENS1_36segmented_radix_sort_config_selectorIblEEZNS1_25segmented_radix_sort_implIS3_Lb1EPKbPbPKlPlN2at6native12_GLOBAL__N_18offset_tEEE10hipError_tPvRmT1_PNSt15iterator_traitsISK_E10value_typeET2_T3_PNSL_ISQ_E10value_typeET4_jRbjT5_SW_jjP12ihipStream_tbEUlT_E0_NS1_11comp_targetILNS1_3genE10ELNS1_11target_archE1201ELNS1_3gpuE5ELNS1_3repE0EEENS1_60segmented_radix_sort_warp_sort_medium_config_static_selectorELNS0_4arch9wavefront6targetE1EEEvSK_, .Lfunc_end1548-_ZN7rocprim17ROCPRIM_400000_NS6detail17trampoline_kernelINS0_14default_configENS1_36segmented_radix_sort_config_selectorIblEEZNS1_25segmented_radix_sort_implIS3_Lb1EPKbPbPKlPlN2at6native12_GLOBAL__N_18offset_tEEE10hipError_tPvRmT1_PNSt15iterator_traitsISK_E10value_typeET2_T3_PNSL_ISQ_E10value_typeET4_jRbjT5_SW_jjP12ihipStream_tbEUlT_E0_NS1_11comp_targetILNS1_3genE10ELNS1_11target_archE1201ELNS1_3gpuE5ELNS1_3repE0EEENS1_60segmented_radix_sort_warp_sort_medium_config_static_selectorELNS0_4arch9wavefront6targetE1EEEvSK_
                                        ; -- End function
	.set _ZN7rocprim17ROCPRIM_400000_NS6detail17trampoline_kernelINS0_14default_configENS1_36segmented_radix_sort_config_selectorIblEEZNS1_25segmented_radix_sort_implIS3_Lb1EPKbPbPKlPlN2at6native12_GLOBAL__N_18offset_tEEE10hipError_tPvRmT1_PNSt15iterator_traitsISK_E10value_typeET2_T3_PNSL_ISQ_E10value_typeET4_jRbjT5_SW_jjP12ihipStream_tbEUlT_E0_NS1_11comp_targetILNS1_3genE10ELNS1_11target_archE1201ELNS1_3gpuE5ELNS1_3repE0EEENS1_60segmented_radix_sort_warp_sort_medium_config_static_selectorELNS0_4arch9wavefront6targetE1EEEvSK_.num_vgpr, 0
	.set _ZN7rocprim17ROCPRIM_400000_NS6detail17trampoline_kernelINS0_14default_configENS1_36segmented_radix_sort_config_selectorIblEEZNS1_25segmented_radix_sort_implIS3_Lb1EPKbPbPKlPlN2at6native12_GLOBAL__N_18offset_tEEE10hipError_tPvRmT1_PNSt15iterator_traitsISK_E10value_typeET2_T3_PNSL_ISQ_E10value_typeET4_jRbjT5_SW_jjP12ihipStream_tbEUlT_E0_NS1_11comp_targetILNS1_3genE10ELNS1_11target_archE1201ELNS1_3gpuE5ELNS1_3repE0EEENS1_60segmented_radix_sort_warp_sort_medium_config_static_selectorELNS0_4arch9wavefront6targetE1EEEvSK_.num_agpr, 0
	.set _ZN7rocprim17ROCPRIM_400000_NS6detail17trampoline_kernelINS0_14default_configENS1_36segmented_radix_sort_config_selectorIblEEZNS1_25segmented_radix_sort_implIS3_Lb1EPKbPbPKlPlN2at6native12_GLOBAL__N_18offset_tEEE10hipError_tPvRmT1_PNSt15iterator_traitsISK_E10value_typeET2_T3_PNSL_ISQ_E10value_typeET4_jRbjT5_SW_jjP12ihipStream_tbEUlT_E0_NS1_11comp_targetILNS1_3genE10ELNS1_11target_archE1201ELNS1_3gpuE5ELNS1_3repE0EEENS1_60segmented_radix_sort_warp_sort_medium_config_static_selectorELNS0_4arch9wavefront6targetE1EEEvSK_.numbered_sgpr, 0
	.set _ZN7rocprim17ROCPRIM_400000_NS6detail17trampoline_kernelINS0_14default_configENS1_36segmented_radix_sort_config_selectorIblEEZNS1_25segmented_radix_sort_implIS3_Lb1EPKbPbPKlPlN2at6native12_GLOBAL__N_18offset_tEEE10hipError_tPvRmT1_PNSt15iterator_traitsISK_E10value_typeET2_T3_PNSL_ISQ_E10value_typeET4_jRbjT5_SW_jjP12ihipStream_tbEUlT_E0_NS1_11comp_targetILNS1_3genE10ELNS1_11target_archE1201ELNS1_3gpuE5ELNS1_3repE0EEENS1_60segmented_radix_sort_warp_sort_medium_config_static_selectorELNS0_4arch9wavefront6targetE1EEEvSK_.num_named_barrier, 0
	.set _ZN7rocprim17ROCPRIM_400000_NS6detail17trampoline_kernelINS0_14default_configENS1_36segmented_radix_sort_config_selectorIblEEZNS1_25segmented_radix_sort_implIS3_Lb1EPKbPbPKlPlN2at6native12_GLOBAL__N_18offset_tEEE10hipError_tPvRmT1_PNSt15iterator_traitsISK_E10value_typeET2_T3_PNSL_ISQ_E10value_typeET4_jRbjT5_SW_jjP12ihipStream_tbEUlT_E0_NS1_11comp_targetILNS1_3genE10ELNS1_11target_archE1201ELNS1_3gpuE5ELNS1_3repE0EEENS1_60segmented_radix_sort_warp_sort_medium_config_static_selectorELNS0_4arch9wavefront6targetE1EEEvSK_.private_seg_size, 0
	.set _ZN7rocprim17ROCPRIM_400000_NS6detail17trampoline_kernelINS0_14default_configENS1_36segmented_radix_sort_config_selectorIblEEZNS1_25segmented_radix_sort_implIS3_Lb1EPKbPbPKlPlN2at6native12_GLOBAL__N_18offset_tEEE10hipError_tPvRmT1_PNSt15iterator_traitsISK_E10value_typeET2_T3_PNSL_ISQ_E10value_typeET4_jRbjT5_SW_jjP12ihipStream_tbEUlT_E0_NS1_11comp_targetILNS1_3genE10ELNS1_11target_archE1201ELNS1_3gpuE5ELNS1_3repE0EEENS1_60segmented_radix_sort_warp_sort_medium_config_static_selectorELNS0_4arch9wavefront6targetE1EEEvSK_.uses_vcc, 0
	.set _ZN7rocprim17ROCPRIM_400000_NS6detail17trampoline_kernelINS0_14default_configENS1_36segmented_radix_sort_config_selectorIblEEZNS1_25segmented_radix_sort_implIS3_Lb1EPKbPbPKlPlN2at6native12_GLOBAL__N_18offset_tEEE10hipError_tPvRmT1_PNSt15iterator_traitsISK_E10value_typeET2_T3_PNSL_ISQ_E10value_typeET4_jRbjT5_SW_jjP12ihipStream_tbEUlT_E0_NS1_11comp_targetILNS1_3genE10ELNS1_11target_archE1201ELNS1_3gpuE5ELNS1_3repE0EEENS1_60segmented_radix_sort_warp_sort_medium_config_static_selectorELNS0_4arch9wavefront6targetE1EEEvSK_.uses_flat_scratch, 0
	.set _ZN7rocprim17ROCPRIM_400000_NS6detail17trampoline_kernelINS0_14default_configENS1_36segmented_radix_sort_config_selectorIblEEZNS1_25segmented_radix_sort_implIS3_Lb1EPKbPbPKlPlN2at6native12_GLOBAL__N_18offset_tEEE10hipError_tPvRmT1_PNSt15iterator_traitsISK_E10value_typeET2_T3_PNSL_ISQ_E10value_typeET4_jRbjT5_SW_jjP12ihipStream_tbEUlT_E0_NS1_11comp_targetILNS1_3genE10ELNS1_11target_archE1201ELNS1_3gpuE5ELNS1_3repE0EEENS1_60segmented_radix_sort_warp_sort_medium_config_static_selectorELNS0_4arch9wavefront6targetE1EEEvSK_.has_dyn_sized_stack, 0
	.set _ZN7rocprim17ROCPRIM_400000_NS6detail17trampoline_kernelINS0_14default_configENS1_36segmented_radix_sort_config_selectorIblEEZNS1_25segmented_radix_sort_implIS3_Lb1EPKbPbPKlPlN2at6native12_GLOBAL__N_18offset_tEEE10hipError_tPvRmT1_PNSt15iterator_traitsISK_E10value_typeET2_T3_PNSL_ISQ_E10value_typeET4_jRbjT5_SW_jjP12ihipStream_tbEUlT_E0_NS1_11comp_targetILNS1_3genE10ELNS1_11target_archE1201ELNS1_3gpuE5ELNS1_3repE0EEENS1_60segmented_radix_sort_warp_sort_medium_config_static_selectorELNS0_4arch9wavefront6targetE1EEEvSK_.has_recursion, 0
	.set _ZN7rocprim17ROCPRIM_400000_NS6detail17trampoline_kernelINS0_14default_configENS1_36segmented_radix_sort_config_selectorIblEEZNS1_25segmented_radix_sort_implIS3_Lb1EPKbPbPKlPlN2at6native12_GLOBAL__N_18offset_tEEE10hipError_tPvRmT1_PNSt15iterator_traitsISK_E10value_typeET2_T3_PNSL_ISQ_E10value_typeET4_jRbjT5_SW_jjP12ihipStream_tbEUlT_E0_NS1_11comp_targetILNS1_3genE10ELNS1_11target_archE1201ELNS1_3gpuE5ELNS1_3repE0EEENS1_60segmented_radix_sort_warp_sort_medium_config_static_selectorELNS0_4arch9wavefront6targetE1EEEvSK_.has_indirect_call, 0
	.section	.AMDGPU.csdata,"",@progbits
; Kernel info:
; codeLenInByte = 0
; TotalNumSgprs: 4
; NumVgprs: 0
; ScratchSize: 0
; MemoryBound: 0
; FloatMode: 240
; IeeeMode: 1
; LDSByteSize: 0 bytes/workgroup (compile time only)
; SGPRBlocks: 0
; VGPRBlocks: 0
; NumSGPRsForWavesPerEU: 4
; NumVGPRsForWavesPerEU: 1
; Occupancy: 10
; WaveLimiterHint : 0
; COMPUTE_PGM_RSRC2:SCRATCH_EN: 0
; COMPUTE_PGM_RSRC2:USER_SGPR: 6
; COMPUTE_PGM_RSRC2:TRAP_HANDLER: 0
; COMPUTE_PGM_RSRC2:TGID_X_EN: 1
; COMPUTE_PGM_RSRC2:TGID_Y_EN: 0
; COMPUTE_PGM_RSRC2:TGID_Z_EN: 0
; COMPUTE_PGM_RSRC2:TIDIG_COMP_CNT: 0
	.section	.text._ZN7rocprim17ROCPRIM_400000_NS6detail17trampoline_kernelINS0_14default_configENS1_36segmented_radix_sort_config_selectorIblEEZNS1_25segmented_radix_sort_implIS3_Lb1EPKbPbPKlPlN2at6native12_GLOBAL__N_18offset_tEEE10hipError_tPvRmT1_PNSt15iterator_traitsISK_E10value_typeET2_T3_PNSL_ISQ_E10value_typeET4_jRbjT5_SW_jjP12ihipStream_tbEUlT_E0_NS1_11comp_targetILNS1_3genE10ELNS1_11target_archE1200ELNS1_3gpuE4ELNS1_3repE0EEENS1_60segmented_radix_sort_warp_sort_medium_config_static_selectorELNS0_4arch9wavefront6targetE1EEEvSK_,"axG",@progbits,_ZN7rocprim17ROCPRIM_400000_NS6detail17trampoline_kernelINS0_14default_configENS1_36segmented_radix_sort_config_selectorIblEEZNS1_25segmented_radix_sort_implIS3_Lb1EPKbPbPKlPlN2at6native12_GLOBAL__N_18offset_tEEE10hipError_tPvRmT1_PNSt15iterator_traitsISK_E10value_typeET2_T3_PNSL_ISQ_E10value_typeET4_jRbjT5_SW_jjP12ihipStream_tbEUlT_E0_NS1_11comp_targetILNS1_3genE10ELNS1_11target_archE1200ELNS1_3gpuE4ELNS1_3repE0EEENS1_60segmented_radix_sort_warp_sort_medium_config_static_selectorELNS0_4arch9wavefront6targetE1EEEvSK_,comdat
	.globl	_ZN7rocprim17ROCPRIM_400000_NS6detail17trampoline_kernelINS0_14default_configENS1_36segmented_radix_sort_config_selectorIblEEZNS1_25segmented_radix_sort_implIS3_Lb1EPKbPbPKlPlN2at6native12_GLOBAL__N_18offset_tEEE10hipError_tPvRmT1_PNSt15iterator_traitsISK_E10value_typeET2_T3_PNSL_ISQ_E10value_typeET4_jRbjT5_SW_jjP12ihipStream_tbEUlT_E0_NS1_11comp_targetILNS1_3genE10ELNS1_11target_archE1200ELNS1_3gpuE4ELNS1_3repE0EEENS1_60segmented_radix_sort_warp_sort_medium_config_static_selectorELNS0_4arch9wavefront6targetE1EEEvSK_ ; -- Begin function _ZN7rocprim17ROCPRIM_400000_NS6detail17trampoline_kernelINS0_14default_configENS1_36segmented_radix_sort_config_selectorIblEEZNS1_25segmented_radix_sort_implIS3_Lb1EPKbPbPKlPlN2at6native12_GLOBAL__N_18offset_tEEE10hipError_tPvRmT1_PNSt15iterator_traitsISK_E10value_typeET2_T3_PNSL_ISQ_E10value_typeET4_jRbjT5_SW_jjP12ihipStream_tbEUlT_E0_NS1_11comp_targetILNS1_3genE10ELNS1_11target_archE1200ELNS1_3gpuE4ELNS1_3repE0EEENS1_60segmented_radix_sort_warp_sort_medium_config_static_selectorELNS0_4arch9wavefront6targetE1EEEvSK_
	.p2align	8
	.type	_ZN7rocprim17ROCPRIM_400000_NS6detail17trampoline_kernelINS0_14default_configENS1_36segmented_radix_sort_config_selectorIblEEZNS1_25segmented_radix_sort_implIS3_Lb1EPKbPbPKlPlN2at6native12_GLOBAL__N_18offset_tEEE10hipError_tPvRmT1_PNSt15iterator_traitsISK_E10value_typeET2_T3_PNSL_ISQ_E10value_typeET4_jRbjT5_SW_jjP12ihipStream_tbEUlT_E0_NS1_11comp_targetILNS1_3genE10ELNS1_11target_archE1200ELNS1_3gpuE4ELNS1_3repE0EEENS1_60segmented_radix_sort_warp_sort_medium_config_static_selectorELNS0_4arch9wavefront6targetE1EEEvSK_,@function
_ZN7rocprim17ROCPRIM_400000_NS6detail17trampoline_kernelINS0_14default_configENS1_36segmented_radix_sort_config_selectorIblEEZNS1_25segmented_radix_sort_implIS3_Lb1EPKbPbPKlPlN2at6native12_GLOBAL__N_18offset_tEEE10hipError_tPvRmT1_PNSt15iterator_traitsISK_E10value_typeET2_T3_PNSL_ISQ_E10value_typeET4_jRbjT5_SW_jjP12ihipStream_tbEUlT_E0_NS1_11comp_targetILNS1_3genE10ELNS1_11target_archE1200ELNS1_3gpuE4ELNS1_3repE0EEENS1_60segmented_radix_sort_warp_sort_medium_config_static_selectorELNS0_4arch9wavefront6targetE1EEEvSK_: ; @_ZN7rocprim17ROCPRIM_400000_NS6detail17trampoline_kernelINS0_14default_configENS1_36segmented_radix_sort_config_selectorIblEEZNS1_25segmented_radix_sort_implIS3_Lb1EPKbPbPKlPlN2at6native12_GLOBAL__N_18offset_tEEE10hipError_tPvRmT1_PNSt15iterator_traitsISK_E10value_typeET2_T3_PNSL_ISQ_E10value_typeET4_jRbjT5_SW_jjP12ihipStream_tbEUlT_E0_NS1_11comp_targetILNS1_3genE10ELNS1_11target_archE1200ELNS1_3gpuE4ELNS1_3repE0EEENS1_60segmented_radix_sort_warp_sort_medium_config_static_selectorELNS0_4arch9wavefront6targetE1EEEvSK_
; %bb.0:
	.section	.rodata,"a",@progbits
	.p2align	6, 0x0
	.amdhsa_kernel _ZN7rocprim17ROCPRIM_400000_NS6detail17trampoline_kernelINS0_14default_configENS1_36segmented_radix_sort_config_selectorIblEEZNS1_25segmented_radix_sort_implIS3_Lb1EPKbPbPKlPlN2at6native12_GLOBAL__N_18offset_tEEE10hipError_tPvRmT1_PNSt15iterator_traitsISK_E10value_typeET2_T3_PNSL_ISQ_E10value_typeET4_jRbjT5_SW_jjP12ihipStream_tbEUlT_E0_NS1_11comp_targetILNS1_3genE10ELNS1_11target_archE1200ELNS1_3gpuE4ELNS1_3repE0EEENS1_60segmented_radix_sort_warp_sort_medium_config_static_selectorELNS0_4arch9wavefront6targetE1EEEvSK_
		.amdhsa_group_segment_fixed_size 0
		.amdhsa_private_segment_fixed_size 0
		.amdhsa_kernarg_size 88
		.amdhsa_user_sgpr_count 6
		.amdhsa_user_sgpr_private_segment_buffer 1
		.amdhsa_user_sgpr_dispatch_ptr 0
		.amdhsa_user_sgpr_queue_ptr 0
		.amdhsa_user_sgpr_kernarg_segment_ptr 1
		.amdhsa_user_sgpr_dispatch_id 0
		.amdhsa_user_sgpr_flat_scratch_init 0
		.amdhsa_user_sgpr_private_segment_size 0
		.amdhsa_uses_dynamic_stack 0
		.amdhsa_system_sgpr_private_segment_wavefront_offset 0
		.amdhsa_system_sgpr_workgroup_id_x 1
		.amdhsa_system_sgpr_workgroup_id_y 0
		.amdhsa_system_sgpr_workgroup_id_z 0
		.amdhsa_system_sgpr_workgroup_info 0
		.amdhsa_system_vgpr_workitem_id 0
		.amdhsa_next_free_vgpr 1
		.amdhsa_next_free_sgpr 0
		.amdhsa_reserve_vcc 0
		.amdhsa_reserve_flat_scratch 0
		.amdhsa_float_round_mode_32 0
		.amdhsa_float_round_mode_16_64 0
		.amdhsa_float_denorm_mode_32 3
		.amdhsa_float_denorm_mode_16_64 3
		.amdhsa_dx10_clamp 1
		.amdhsa_ieee_mode 1
		.amdhsa_fp16_overflow 0
		.amdhsa_exception_fp_ieee_invalid_op 0
		.amdhsa_exception_fp_denorm_src 0
		.amdhsa_exception_fp_ieee_div_zero 0
		.amdhsa_exception_fp_ieee_overflow 0
		.amdhsa_exception_fp_ieee_underflow 0
		.amdhsa_exception_fp_ieee_inexact 0
		.amdhsa_exception_int_div_zero 0
	.end_amdhsa_kernel
	.section	.text._ZN7rocprim17ROCPRIM_400000_NS6detail17trampoline_kernelINS0_14default_configENS1_36segmented_radix_sort_config_selectorIblEEZNS1_25segmented_radix_sort_implIS3_Lb1EPKbPbPKlPlN2at6native12_GLOBAL__N_18offset_tEEE10hipError_tPvRmT1_PNSt15iterator_traitsISK_E10value_typeET2_T3_PNSL_ISQ_E10value_typeET4_jRbjT5_SW_jjP12ihipStream_tbEUlT_E0_NS1_11comp_targetILNS1_3genE10ELNS1_11target_archE1200ELNS1_3gpuE4ELNS1_3repE0EEENS1_60segmented_radix_sort_warp_sort_medium_config_static_selectorELNS0_4arch9wavefront6targetE1EEEvSK_,"axG",@progbits,_ZN7rocprim17ROCPRIM_400000_NS6detail17trampoline_kernelINS0_14default_configENS1_36segmented_radix_sort_config_selectorIblEEZNS1_25segmented_radix_sort_implIS3_Lb1EPKbPbPKlPlN2at6native12_GLOBAL__N_18offset_tEEE10hipError_tPvRmT1_PNSt15iterator_traitsISK_E10value_typeET2_T3_PNSL_ISQ_E10value_typeET4_jRbjT5_SW_jjP12ihipStream_tbEUlT_E0_NS1_11comp_targetILNS1_3genE10ELNS1_11target_archE1200ELNS1_3gpuE4ELNS1_3repE0EEENS1_60segmented_radix_sort_warp_sort_medium_config_static_selectorELNS0_4arch9wavefront6targetE1EEEvSK_,comdat
.Lfunc_end1549:
	.size	_ZN7rocprim17ROCPRIM_400000_NS6detail17trampoline_kernelINS0_14default_configENS1_36segmented_radix_sort_config_selectorIblEEZNS1_25segmented_radix_sort_implIS3_Lb1EPKbPbPKlPlN2at6native12_GLOBAL__N_18offset_tEEE10hipError_tPvRmT1_PNSt15iterator_traitsISK_E10value_typeET2_T3_PNSL_ISQ_E10value_typeET4_jRbjT5_SW_jjP12ihipStream_tbEUlT_E0_NS1_11comp_targetILNS1_3genE10ELNS1_11target_archE1200ELNS1_3gpuE4ELNS1_3repE0EEENS1_60segmented_radix_sort_warp_sort_medium_config_static_selectorELNS0_4arch9wavefront6targetE1EEEvSK_, .Lfunc_end1549-_ZN7rocprim17ROCPRIM_400000_NS6detail17trampoline_kernelINS0_14default_configENS1_36segmented_radix_sort_config_selectorIblEEZNS1_25segmented_radix_sort_implIS3_Lb1EPKbPbPKlPlN2at6native12_GLOBAL__N_18offset_tEEE10hipError_tPvRmT1_PNSt15iterator_traitsISK_E10value_typeET2_T3_PNSL_ISQ_E10value_typeET4_jRbjT5_SW_jjP12ihipStream_tbEUlT_E0_NS1_11comp_targetILNS1_3genE10ELNS1_11target_archE1200ELNS1_3gpuE4ELNS1_3repE0EEENS1_60segmented_radix_sort_warp_sort_medium_config_static_selectorELNS0_4arch9wavefront6targetE1EEEvSK_
                                        ; -- End function
	.set _ZN7rocprim17ROCPRIM_400000_NS6detail17trampoline_kernelINS0_14default_configENS1_36segmented_radix_sort_config_selectorIblEEZNS1_25segmented_radix_sort_implIS3_Lb1EPKbPbPKlPlN2at6native12_GLOBAL__N_18offset_tEEE10hipError_tPvRmT1_PNSt15iterator_traitsISK_E10value_typeET2_T3_PNSL_ISQ_E10value_typeET4_jRbjT5_SW_jjP12ihipStream_tbEUlT_E0_NS1_11comp_targetILNS1_3genE10ELNS1_11target_archE1200ELNS1_3gpuE4ELNS1_3repE0EEENS1_60segmented_radix_sort_warp_sort_medium_config_static_selectorELNS0_4arch9wavefront6targetE1EEEvSK_.num_vgpr, 0
	.set _ZN7rocprim17ROCPRIM_400000_NS6detail17trampoline_kernelINS0_14default_configENS1_36segmented_radix_sort_config_selectorIblEEZNS1_25segmented_radix_sort_implIS3_Lb1EPKbPbPKlPlN2at6native12_GLOBAL__N_18offset_tEEE10hipError_tPvRmT1_PNSt15iterator_traitsISK_E10value_typeET2_T3_PNSL_ISQ_E10value_typeET4_jRbjT5_SW_jjP12ihipStream_tbEUlT_E0_NS1_11comp_targetILNS1_3genE10ELNS1_11target_archE1200ELNS1_3gpuE4ELNS1_3repE0EEENS1_60segmented_radix_sort_warp_sort_medium_config_static_selectorELNS0_4arch9wavefront6targetE1EEEvSK_.num_agpr, 0
	.set _ZN7rocprim17ROCPRIM_400000_NS6detail17trampoline_kernelINS0_14default_configENS1_36segmented_radix_sort_config_selectorIblEEZNS1_25segmented_radix_sort_implIS3_Lb1EPKbPbPKlPlN2at6native12_GLOBAL__N_18offset_tEEE10hipError_tPvRmT1_PNSt15iterator_traitsISK_E10value_typeET2_T3_PNSL_ISQ_E10value_typeET4_jRbjT5_SW_jjP12ihipStream_tbEUlT_E0_NS1_11comp_targetILNS1_3genE10ELNS1_11target_archE1200ELNS1_3gpuE4ELNS1_3repE0EEENS1_60segmented_radix_sort_warp_sort_medium_config_static_selectorELNS0_4arch9wavefront6targetE1EEEvSK_.numbered_sgpr, 0
	.set _ZN7rocprim17ROCPRIM_400000_NS6detail17trampoline_kernelINS0_14default_configENS1_36segmented_radix_sort_config_selectorIblEEZNS1_25segmented_radix_sort_implIS3_Lb1EPKbPbPKlPlN2at6native12_GLOBAL__N_18offset_tEEE10hipError_tPvRmT1_PNSt15iterator_traitsISK_E10value_typeET2_T3_PNSL_ISQ_E10value_typeET4_jRbjT5_SW_jjP12ihipStream_tbEUlT_E0_NS1_11comp_targetILNS1_3genE10ELNS1_11target_archE1200ELNS1_3gpuE4ELNS1_3repE0EEENS1_60segmented_radix_sort_warp_sort_medium_config_static_selectorELNS0_4arch9wavefront6targetE1EEEvSK_.num_named_barrier, 0
	.set _ZN7rocprim17ROCPRIM_400000_NS6detail17trampoline_kernelINS0_14default_configENS1_36segmented_radix_sort_config_selectorIblEEZNS1_25segmented_radix_sort_implIS3_Lb1EPKbPbPKlPlN2at6native12_GLOBAL__N_18offset_tEEE10hipError_tPvRmT1_PNSt15iterator_traitsISK_E10value_typeET2_T3_PNSL_ISQ_E10value_typeET4_jRbjT5_SW_jjP12ihipStream_tbEUlT_E0_NS1_11comp_targetILNS1_3genE10ELNS1_11target_archE1200ELNS1_3gpuE4ELNS1_3repE0EEENS1_60segmented_radix_sort_warp_sort_medium_config_static_selectorELNS0_4arch9wavefront6targetE1EEEvSK_.private_seg_size, 0
	.set _ZN7rocprim17ROCPRIM_400000_NS6detail17trampoline_kernelINS0_14default_configENS1_36segmented_radix_sort_config_selectorIblEEZNS1_25segmented_radix_sort_implIS3_Lb1EPKbPbPKlPlN2at6native12_GLOBAL__N_18offset_tEEE10hipError_tPvRmT1_PNSt15iterator_traitsISK_E10value_typeET2_T3_PNSL_ISQ_E10value_typeET4_jRbjT5_SW_jjP12ihipStream_tbEUlT_E0_NS1_11comp_targetILNS1_3genE10ELNS1_11target_archE1200ELNS1_3gpuE4ELNS1_3repE0EEENS1_60segmented_radix_sort_warp_sort_medium_config_static_selectorELNS0_4arch9wavefront6targetE1EEEvSK_.uses_vcc, 0
	.set _ZN7rocprim17ROCPRIM_400000_NS6detail17trampoline_kernelINS0_14default_configENS1_36segmented_radix_sort_config_selectorIblEEZNS1_25segmented_radix_sort_implIS3_Lb1EPKbPbPKlPlN2at6native12_GLOBAL__N_18offset_tEEE10hipError_tPvRmT1_PNSt15iterator_traitsISK_E10value_typeET2_T3_PNSL_ISQ_E10value_typeET4_jRbjT5_SW_jjP12ihipStream_tbEUlT_E0_NS1_11comp_targetILNS1_3genE10ELNS1_11target_archE1200ELNS1_3gpuE4ELNS1_3repE0EEENS1_60segmented_radix_sort_warp_sort_medium_config_static_selectorELNS0_4arch9wavefront6targetE1EEEvSK_.uses_flat_scratch, 0
	.set _ZN7rocprim17ROCPRIM_400000_NS6detail17trampoline_kernelINS0_14default_configENS1_36segmented_radix_sort_config_selectorIblEEZNS1_25segmented_radix_sort_implIS3_Lb1EPKbPbPKlPlN2at6native12_GLOBAL__N_18offset_tEEE10hipError_tPvRmT1_PNSt15iterator_traitsISK_E10value_typeET2_T3_PNSL_ISQ_E10value_typeET4_jRbjT5_SW_jjP12ihipStream_tbEUlT_E0_NS1_11comp_targetILNS1_3genE10ELNS1_11target_archE1200ELNS1_3gpuE4ELNS1_3repE0EEENS1_60segmented_radix_sort_warp_sort_medium_config_static_selectorELNS0_4arch9wavefront6targetE1EEEvSK_.has_dyn_sized_stack, 0
	.set _ZN7rocprim17ROCPRIM_400000_NS6detail17trampoline_kernelINS0_14default_configENS1_36segmented_radix_sort_config_selectorIblEEZNS1_25segmented_radix_sort_implIS3_Lb1EPKbPbPKlPlN2at6native12_GLOBAL__N_18offset_tEEE10hipError_tPvRmT1_PNSt15iterator_traitsISK_E10value_typeET2_T3_PNSL_ISQ_E10value_typeET4_jRbjT5_SW_jjP12ihipStream_tbEUlT_E0_NS1_11comp_targetILNS1_3genE10ELNS1_11target_archE1200ELNS1_3gpuE4ELNS1_3repE0EEENS1_60segmented_radix_sort_warp_sort_medium_config_static_selectorELNS0_4arch9wavefront6targetE1EEEvSK_.has_recursion, 0
	.set _ZN7rocprim17ROCPRIM_400000_NS6detail17trampoline_kernelINS0_14default_configENS1_36segmented_radix_sort_config_selectorIblEEZNS1_25segmented_radix_sort_implIS3_Lb1EPKbPbPKlPlN2at6native12_GLOBAL__N_18offset_tEEE10hipError_tPvRmT1_PNSt15iterator_traitsISK_E10value_typeET2_T3_PNSL_ISQ_E10value_typeET4_jRbjT5_SW_jjP12ihipStream_tbEUlT_E0_NS1_11comp_targetILNS1_3genE10ELNS1_11target_archE1200ELNS1_3gpuE4ELNS1_3repE0EEENS1_60segmented_radix_sort_warp_sort_medium_config_static_selectorELNS0_4arch9wavefront6targetE1EEEvSK_.has_indirect_call, 0
	.section	.AMDGPU.csdata,"",@progbits
; Kernel info:
; codeLenInByte = 0
; TotalNumSgprs: 4
; NumVgprs: 0
; ScratchSize: 0
; MemoryBound: 0
; FloatMode: 240
; IeeeMode: 1
; LDSByteSize: 0 bytes/workgroup (compile time only)
; SGPRBlocks: 0
; VGPRBlocks: 0
; NumSGPRsForWavesPerEU: 4
; NumVGPRsForWavesPerEU: 1
; Occupancy: 10
; WaveLimiterHint : 0
; COMPUTE_PGM_RSRC2:SCRATCH_EN: 0
; COMPUTE_PGM_RSRC2:USER_SGPR: 6
; COMPUTE_PGM_RSRC2:TRAP_HANDLER: 0
; COMPUTE_PGM_RSRC2:TGID_X_EN: 1
; COMPUTE_PGM_RSRC2:TGID_Y_EN: 0
; COMPUTE_PGM_RSRC2:TGID_Z_EN: 0
; COMPUTE_PGM_RSRC2:TIDIG_COMP_CNT: 0
	.section	.text._ZN7rocprim17ROCPRIM_400000_NS6detail17trampoline_kernelINS0_14default_configENS1_36segmented_radix_sort_config_selectorIblEEZNS1_25segmented_radix_sort_implIS3_Lb1EPKbPbPKlPlN2at6native12_GLOBAL__N_18offset_tEEE10hipError_tPvRmT1_PNSt15iterator_traitsISK_E10value_typeET2_T3_PNSL_ISQ_E10value_typeET4_jRbjT5_SW_jjP12ihipStream_tbEUlT_E0_NS1_11comp_targetILNS1_3genE9ELNS1_11target_archE1100ELNS1_3gpuE3ELNS1_3repE0EEENS1_60segmented_radix_sort_warp_sort_medium_config_static_selectorELNS0_4arch9wavefront6targetE1EEEvSK_,"axG",@progbits,_ZN7rocprim17ROCPRIM_400000_NS6detail17trampoline_kernelINS0_14default_configENS1_36segmented_radix_sort_config_selectorIblEEZNS1_25segmented_radix_sort_implIS3_Lb1EPKbPbPKlPlN2at6native12_GLOBAL__N_18offset_tEEE10hipError_tPvRmT1_PNSt15iterator_traitsISK_E10value_typeET2_T3_PNSL_ISQ_E10value_typeET4_jRbjT5_SW_jjP12ihipStream_tbEUlT_E0_NS1_11comp_targetILNS1_3genE9ELNS1_11target_archE1100ELNS1_3gpuE3ELNS1_3repE0EEENS1_60segmented_radix_sort_warp_sort_medium_config_static_selectorELNS0_4arch9wavefront6targetE1EEEvSK_,comdat
	.globl	_ZN7rocprim17ROCPRIM_400000_NS6detail17trampoline_kernelINS0_14default_configENS1_36segmented_radix_sort_config_selectorIblEEZNS1_25segmented_radix_sort_implIS3_Lb1EPKbPbPKlPlN2at6native12_GLOBAL__N_18offset_tEEE10hipError_tPvRmT1_PNSt15iterator_traitsISK_E10value_typeET2_T3_PNSL_ISQ_E10value_typeET4_jRbjT5_SW_jjP12ihipStream_tbEUlT_E0_NS1_11comp_targetILNS1_3genE9ELNS1_11target_archE1100ELNS1_3gpuE3ELNS1_3repE0EEENS1_60segmented_radix_sort_warp_sort_medium_config_static_selectorELNS0_4arch9wavefront6targetE1EEEvSK_ ; -- Begin function _ZN7rocprim17ROCPRIM_400000_NS6detail17trampoline_kernelINS0_14default_configENS1_36segmented_radix_sort_config_selectorIblEEZNS1_25segmented_radix_sort_implIS3_Lb1EPKbPbPKlPlN2at6native12_GLOBAL__N_18offset_tEEE10hipError_tPvRmT1_PNSt15iterator_traitsISK_E10value_typeET2_T3_PNSL_ISQ_E10value_typeET4_jRbjT5_SW_jjP12ihipStream_tbEUlT_E0_NS1_11comp_targetILNS1_3genE9ELNS1_11target_archE1100ELNS1_3gpuE3ELNS1_3repE0EEENS1_60segmented_radix_sort_warp_sort_medium_config_static_selectorELNS0_4arch9wavefront6targetE1EEEvSK_
	.p2align	8
	.type	_ZN7rocprim17ROCPRIM_400000_NS6detail17trampoline_kernelINS0_14default_configENS1_36segmented_radix_sort_config_selectorIblEEZNS1_25segmented_radix_sort_implIS3_Lb1EPKbPbPKlPlN2at6native12_GLOBAL__N_18offset_tEEE10hipError_tPvRmT1_PNSt15iterator_traitsISK_E10value_typeET2_T3_PNSL_ISQ_E10value_typeET4_jRbjT5_SW_jjP12ihipStream_tbEUlT_E0_NS1_11comp_targetILNS1_3genE9ELNS1_11target_archE1100ELNS1_3gpuE3ELNS1_3repE0EEENS1_60segmented_radix_sort_warp_sort_medium_config_static_selectorELNS0_4arch9wavefront6targetE1EEEvSK_,@function
_ZN7rocprim17ROCPRIM_400000_NS6detail17trampoline_kernelINS0_14default_configENS1_36segmented_radix_sort_config_selectorIblEEZNS1_25segmented_radix_sort_implIS3_Lb1EPKbPbPKlPlN2at6native12_GLOBAL__N_18offset_tEEE10hipError_tPvRmT1_PNSt15iterator_traitsISK_E10value_typeET2_T3_PNSL_ISQ_E10value_typeET4_jRbjT5_SW_jjP12ihipStream_tbEUlT_E0_NS1_11comp_targetILNS1_3genE9ELNS1_11target_archE1100ELNS1_3gpuE3ELNS1_3repE0EEENS1_60segmented_radix_sort_warp_sort_medium_config_static_selectorELNS0_4arch9wavefront6targetE1EEEvSK_: ; @_ZN7rocprim17ROCPRIM_400000_NS6detail17trampoline_kernelINS0_14default_configENS1_36segmented_radix_sort_config_selectorIblEEZNS1_25segmented_radix_sort_implIS3_Lb1EPKbPbPKlPlN2at6native12_GLOBAL__N_18offset_tEEE10hipError_tPvRmT1_PNSt15iterator_traitsISK_E10value_typeET2_T3_PNSL_ISQ_E10value_typeET4_jRbjT5_SW_jjP12ihipStream_tbEUlT_E0_NS1_11comp_targetILNS1_3genE9ELNS1_11target_archE1100ELNS1_3gpuE3ELNS1_3repE0EEENS1_60segmented_radix_sort_warp_sort_medium_config_static_selectorELNS0_4arch9wavefront6targetE1EEEvSK_
; %bb.0:
	.section	.rodata,"a",@progbits
	.p2align	6, 0x0
	.amdhsa_kernel _ZN7rocprim17ROCPRIM_400000_NS6detail17trampoline_kernelINS0_14default_configENS1_36segmented_radix_sort_config_selectorIblEEZNS1_25segmented_radix_sort_implIS3_Lb1EPKbPbPKlPlN2at6native12_GLOBAL__N_18offset_tEEE10hipError_tPvRmT1_PNSt15iterator_traitsISK_E10value_typeET2_T3_PNSL_ISQ_E10value_typeET4_jRbjT5_SW_jjP12ihipStream_tbEUlT_E0_NS1_11comp_targetILNS1_3genE9ELNS1_11target_archE1100ELNS1_3gpuE3ELNS1_3repE0EEENS1_60segmented_radix_sort_warp_sort_medium_config_static_selectorELNS0_4arch9wavefront6targetE1EEEvSK_
		.amdhsa_group_segment_fixed_size 0
		.amdhsa_private_segment_fixed_size 0
		.amdhsa_kernarg_size 88
		.amdhsa_user_sgpr_count 6
		.amdhsa_user_sgpr_private_segment_buffer 1
		.amdhsa_user_sgpr_dispatch_ptr 0
		.amdhsa_user_sgpr_queue_ptr 0
		.amdhsa_user_sgpr_kernarg_segment_ptr 1
		.amdhsa_user_sgpr_dispatch_id 0
		.amdhsa_user_sgpr_flat_scratch_init 0
		.amdhsa_user_sgpr_private_segment_size 0
		.amdhsa_uses_dynamic_stack 0
		.amdhsa_system_sgpr_private_segment_wavefront_offset 0
		.amdhsa_system_sgpr_workgroup_id_x 1
		.amdhsa_system_sgpr_workgroup_id_y 0
		.amdhsa_system_sgpr_workgroup_id_z 0
		.amdhsa_system_sgpr_workgroup_info 0
		.amdhsa_system_vgpr_workitem_id 0
		.amdhsa_next_free_vgpr 1
		.amdhsa_next_free_sgpr 0
		.amdhsa_reserve_vcc 0
		.amdhsa_reserve_flat_scratch 0
		.amdhsa_float_round_mode_32 0
		.amdhsa_float_round_mode_16_64 0
		.amdhsa_float_denorm_mode_32 3
		.amdhsa_float_denorm_mode_16_64 3
		.amdhsa_dx10_clamp 1
		.amdhsa_ieee_mode 1
		.amdhsa_fp16_overflow 0
		.amdhsa_exception_fp_ieee_invalid_op 0
		.amdhsa_exception_fp_denorm_src 0
		.amdhsa_exception_fp_ieee_div_zero 0
		.amdhsa_exception_fp_ieee_overflow 0
		.amdhsa_exception_fp_ieee_underflow 0
		.amdhsa_exception_fp_ieee_inexact 0
		.amdhsa_exception_int_div_zero 0
	.end_amdhsa_kernel
	.section	.text._ZN7rocprim17ROCPRIM_400000_NS6detail17trampoline_kernelINS0_14default_configENS1_36segmented_radix_sort_config_selectorIblEEZNS1_25segmented_radix_sort_implIS3_Lb1EPKbPbPKlPlN2at6native12_GLOBAL__N_18offset_tEEE10hipError_tPvRmT1_PNSt15iterator_traitsISK_E10value_typeET2_T3_PNSL_ISQ_E10value_typeET4_jRbjT5_SW_jjP12ihipStream_tbEUlT_E0_NS1_11comp_targetILNS1_3genE9ELNS1_11target_archE1100ELNS1_3gpuE3ELNS1_3repE0EEENS1_60segmented_radix_sort_warp_sort_medium_config_static_selectorELNS0_4arch9wavefront6targetE1EEEvSK_,"axG",@progbits,_ZN7rocprim17ROCPRIM_400000_NS6detail17trampoline_kernelINS0_14default_configENS1_36segmented_radix_sort_config_selectorIblEEZNS1_25segmented_radix_sort_implIS3_Lb1EPKbPbPKlPlN2at6native12_GLOBAL__N_18offset_tEEE10hipError_tPvRmT1_PNSt15iterator_traitsISK_E10value_typeET2_T3_PNSL_ISQ_E10value_typeET4_jRbjT5_SW_jjP12ihipStream_tbEUlT_E0_NS1_11comp_targetILNS1_3genE9ELNS1_11target_archE1100ELNS1_3gpuE3ELNS1_3repE0EEENS1_60segmented_radix_sort_warp_sort_medium_config_static_selectorELNS0_4arch9wavefront6targetE1EEEvSK_,comdat
.Lfunc_end1550:
	.size	_ZN7rocprim17ROCPRIM_400000_NS6detail17trampoline_kernelINS0_14default_configENS1_36segmented_radix_sort_config_selectorIblEEZNS1_25segmented_radix_sort_implIS3_Lb1EPKbPbPKlPlN2at6native12_GLOBAL__N_18offset_tEEE10hipError_tPvRmT1_PNSt15iterator_traitsISK_E10value_typeET2_T3_PNSL_ISQ_E10value_typeET4_jRbjT5_SW_jjP12ihipStream_tbEUlT_E0_NS1_11comp_targetILNS1_3genE9ELNS1_11target_archE1100ELNS1_3gpuE3ELNS1_3repE0EEENS1_60segmented_radix_sort_warp_sort_medium_config_static_selectorELNS0_4arch9wavefront6targetE1EEEvSK_, .Lfunc_end1550-_ZN7rocprim17ROCPRIM_400000_NS6detail17trampoline_kernelINS0_14default_configENS1_36segmented_radix_sort_config_selectorIblEEZNS1_25segmented_radix_sort_implIS3_Lb1EPKbPbPKlPlN2at6native12_GLOBAL__N_18offset_tEEE10hipError_tPvRmT1_PNSt15iterator_traitsISK_E10value_typeET2_T3_PNSL_ISQ_E10value_typeET4_jRbjT5_SW_jjP12ihipStream_tbEUlT_E0_NS1_11comp_targetILNS1_3genE9ELNS1_11target_archE1100ELNS1_3gpuE3ELNS1_3repE0EEENS1_60segmented_radix_sort_warp_sort_medium_config_static_selectorELNS0_4arch9wavefront6targetE1EEEvSK_
                                        ; -- End function
	.set _ZN7rocprim17ROCPRIM_400000_NS6detail17trampoline_kernelINS0_14default_configENS1_36segmented_radix_sort_config_selectorIblEEZNS1_25segmented_radix_sort_implIS3_Lb1EPKbPbPKlPlN2at6native12_GLOBAL__N_18offset_tEEE10hipError_tPvRmT1_PNSt15iterator_traitsISK_E10value_typeET2_T3_PNSL_ISQ_E10value_typeET4_jRbjT5_SW_jjP12ihipStream_tbEUlT_E0_NS1_11comp_targetILNS1_3genE9ELNS1_11target_archE1100ELNS1_3gpuE3ELNS1_3repE0EEENS1_60segmented_radix_sort_warp_sort_medium_config_static_selectorELNS0_4arch9wavefront6targetE1EEEvSK_.num_vgpr, 0
	.set _ZN7rocprim17ROCPRIM_400000_NS6detail17trampoline_kernelINS0_14default_configENS1_36segmented_radix_sort_config_selectorIblEEZNS1_25segmented_radix_sort_implIS3_Lb1EPKbPbPKlPlN2at6native12_GLOBAL__N_18offset_tEEE10hipError_tPvRmT1_PNSt15iterator_traitsISK_E10value_typeET2_T3_PNSL_ISQ_E10value_typeET4_jRbjT5_SW_jjP12ihipStream_tbEUlT_E0_NS1_11comp_targetILNS1_3genE9ELNS1_11target_archE1100ELNS1_3gpuE3ELNS1_3repE0EEENS1_60segmented_radix_sort_warp_sort_medium_config_static_selectorELNS0_4arch9wavefront6targetE1EEEvSK_.num_agpr, 0
	.set _ZN7rocprim17ROCPRIM_400000_NS6detail17trampoline_kernelINS0_14default_configENS1_36segmented_radix_sort_config_selectorIblEEZNS1_25segmented_radix_sort_implIS3_Lb1EPKbPbPKlPlN2at6native12_GLOBAL__N_18offset_tEEE10hipError_tPvRmT1_PNSt15iterator_traitsISK_E10value_typeET2_T3_PNSL_ISQ_E10value_typeET4_jRbjT5_SW_jjP12ihipStream_tbEUlT_E0_NS1_11comp_targetILNS1_3genE9ELNS1_11target_archE1100ELNS1_3gpuE3ELNS1_3repE0EEENS1_60segmented_radix_sort_warp_sort_medium_config_static_selectorELNS0_4arch9wavefront6targetE1EEEvSK_.numbered_sgpr, 0
	.set _ZN7rocprim17ROCPRIM_400000_NS6detail17trampoline_kernelINS0_14default_configENS1_36segmented_radix_sort_config_selectorIblEEZNS1_25segmented_radix_sort_implIS3_Lb1EPKbPbPKlPlN2at6native12_GLOBAL__N_18offset_tEEE10hipError_tPvRmT1_PNSt15iterator_traitsISK_E10value_typeET2_T3_PNSL_ISQ_E10value_typeET4_jRbjT5_SW_jjP12ihipStream_tbEUlT_E0_NS1_11comp_targetILNS1_3genE9ELNS1_11target_archE1100ELNS1_3gpuE3ELNS1_3repE0EEENS1_60segmented_radix_sort_warp_sort_medium_config_static_selectorELNS0_4arch9wavefront6targetE1EEEvSK_.num_named_barrier, 0
	.set _ZN7rocprim17ROCPRIM_400000_NS6detail17trampoline_kernelINS0_14default_configENS1_36segmented_radix_sort_config_selectorIblEEZNS1_25segmented_radix_sort_implIS3_Lb1EPKbPbPKlPlN2at6native12_GLOBAL__N_18offset_tEEE10hipError_tPvRmT1_PNSt15iterator_traitsISK_E10value_typeET2_T3_PNSL_ISQ_E10value_typeET4_jRbjT5_SW_jjP12ihipStream_tbEUlT_E0_NS1_11comp_targetILNS1_3genE9ELNS1_11target_archE1100ELNS1_3gpuE3ELNS1_3repE0EEENS1_60segmented_radix_sort_warp_sort_medium_config_static_selectorELNS0_4arch9wavefront6targetE1EEEvSK_.private_seg_size, 0
	.set _ZN7rocprim17ROCPRIM_400000_NS6detail17trampoline_kernelINS0_14default_configENS1_36segmented_radix_sort_config_selectorIblEEZNS1_25segmented_radix_sort_implIS3_Lb1EPKbPbPKlPlN2at6native12_GLOBAL__N_18offset_tEEE10hipError_tPvRmT1_PNSt15iterator_traitsISK_E10value_typeET2_T3_PNSL_ISQ_E10value_typeET4_jRbjT5_SW_jjP12ihipStream_tbEUlT_E0_NS1_11comp_targetILNS1_3genE9ELNS1_11target_archE1100ELNS1_3gpuE3ELNS1_3repE0EEENS1_60segmented_radix_sort_warp_sort_medium_config_static_selectorELNS0_4arch9wavefront6targetE1EEEvSK_.uses_vcc, 0
	.set _ZN7rocprim17ROCPRIM_400000_NS6detail17trampoline_kernelINS0_14default_configENS1_36segmented_radix_sort_config_selectorIblEEZNS1_25segmented_radix_sort_implIS3_Lb1EPKbPbPKlPlN2at6native12_GLOBAL__N_18offset_tEEE10hipError_tPvRmT1_PNSt15iterator_traitsISK_E10value_typeET2_T3_PNSL_ISQ_E10value_typeET4_jRbjT5_SW_jjP12ihipStream_tbEUlT_E0_NS1_11comp_targetILNS1_3genE9ELNS1_11target_archE1100ELNS1_3gpuE3ELNS1_3repE0EEENS1_60segmented_radix_sort_warp_sort_medium_config_static_selectorELNS0_4arch9wavefront6targetE1EEEvSK_.uses_flat_scratch, 0
	.set _ZN7rocprim17ROCPRIM_400000_NS6detail17trampoline_kernelINS0_14default_configENS1_36segmented_radix_sort_config_selectorIblEEZNS1_25segmented_radix_sort_implIS3_Lb1EPKbPbPKlPlN2at6native12_GLOBAL__N_18offset_tEEE10hipError_tPvRmT1_PNSt15iterator_traitsISK_E10value_typeET2_T3_PNSL_ISQ_E10value_typeET4_jRbjT5_SW_jjP12ihipStream_tbEUlT_E0_NS1_11comp_targetILNS1_3genE9ELNS1_11target_archE1100ELNS1_3gpuE3ELNS1_3repE0EEENS1_60segmented_radix_sort_warp_sort_medium_config_static_selectorELNS0_4arch9wavefront6targetE1EEEvSK_.has_dyn_sized_stack, 0
	.set _ZN7rocprim17ROCPRIM_400000_NS6detail17trampoline_kernelINS0_14default_configENS1_36segmented_radix_sort_config_selectorIblEEZNS1_25segmented_radix_sort_implIS3_Lb1EPKbPbPKlPlN2at6native12_GLOBAL__N_18offset_tEEE10hipError_tPvRmT1_PNSt15iterator_traitsISK_E10value_typeET2_T3_PNSL_ISQ_E10value_typeET4_jRbjT5_SW_jjP12ihipStream_tbEUlT_E0_NS1_11comp_targetILNS1_3genE9ELNS1_11target_archE1100ELNS1_3gpuE3ELNS1_3repE0EEENS1_60segmented_radix_sort_warp_sort_medium_config_static_selectorELNS0_4arch9wavefront6targetE1EEEvSK_.has_recursion, 0
	.set _ZN7rocprim17ROCPRIM_400000_NS6detail17trampoline_kernelINS0_14default_configENS1_36segmented_radix_sort_config_selectorIblEEZNS1_25segmented_radix_sort_implIS3_Lb1EPKbPbPKlPlN2at6native12_GLOBAL__N_18offset_tEEE10hipError_tPvRmT1_PNSt15iterator_traitsISK_E10value_typeET2_T3_PNSL_ISQ_E10value_typeET4_jRbjT5_SW_jjP12ihipStream_tbEUlT_E0_NS1_11comp_targetILNS1_3genE9ELNS1_11target_archE1100ELNS1_3gpuE3ELNS1_3repE0EEENS1_60segmented_radix_sort_warp_sort_medium_config_static_selectorELNS0_4arch9wavefront6targetE1EEEvSK_.has_indirect_call, 0
	.section	.AMDGPU.csdata,"",@progbits
; Kernel info:
; codeLenInByte = 0
; TotalNumSgprs: 4
; NumVgprs: 0
; ScratchSize: 0
; MemoryBound: 0
; FloatMode: 240
; IeeeMode: 1
; LDSByteSize: 0 bytes/workgroup (compile time only)
; SGPRBlocks: 0
; VGPRBlocks: 0
; NumSGPRsForWavesPerEU: 4
; NumVGPRsForWavesPerEU: 1
; Occupancy: 10
; WaveLimiterHint : 0
; COMPUTE_PGM_RSRC2:SCRATCH_EN: 0
; COMPUTE_PGM_RSRC2:USER_SGPR: 6
; COMPUTE_PGM_RSRC2:TRAP_HANDLER: 0
; COMPUTE_PGM_RSRC2:TGID_X_EN: 1
; COMPUTE_PGM_RSRC2:TGID_Y_EN: 0
; COMPUTE_PGM_RSRC2:TGID_Z_EN: 0
; COMPUTE_PGM_RSRC2:TIDIG_COMP_CNT: 0
	.section	.text._ZN7rocprim17ROCPRIM_400000_NS6detail17trampoline_kernelINS0_14default_configENS1_36segmented_radix_sort_config_selectorIblEEZNS1_25segmented_radix_sort_implIS3_Lb1EPKbPbPKlPlN2at6native12_GLOBAL__N_18offset_tEEE10hipError_tPvRmT1_PNSt15iterator_traitsISK_E10value_typeET2_T3_PNSL_ISQ_E10value_typeET4_jRbjT5_SW_jjP12ihipStream_tbEUlT_E0_NS1_11comp_targetILNS1_3genE8ELNS1_11target_archE1030ELNS1_3gpuE2ELNS1_3repE0EEENS1_60segmented_radix_sort_warp_sort_medium_config_static_selectorELNS0_4arch9wavefront6targetE1EEEvSK_,"axG",@progbits,_ZN7rocprim17ROCPRIM_400000_NS6detail17trampoline_kernelINS0_14default_configENS1_36segmented_radix_sort_config_selectorIblEEZNS1_25segmented_radix_sort_implIS3_Lb1EPKbPbPKlPlN2at6native12_GLOBAL__N_18offset_tEEE10hipError_tPvRmT1_PNSt15iterator_traitsISK_E10value_typeET2_T3_PNSL_ISQ_E10value_typeET4_jRbjT5_SW_jjP12ihipStream_tbEUlT_E0_NS1_11comp_targetILNS1_3genE8ELNS1_11target_archE1030ELNS1_3gpuE2ELNS1_3repE0EEENS1_60segmented_radix_sort_warp_sort_medium_config_static_selectorELNS0_4arch9wavefront6targetE1EEEvSK_,comdat
	.globl	_ZN7rocprim17ROCPRIM_400000_NS6detail17trampoline_kernelINS0_14default_configENS1_36segmented_radix_sort_config_selectorIblEEZNS1_25segmented_radix_sort_implIS3_Lb1EPKbPbPKlPlN2at6native12_GLOBAL__N_18offset_tEEE10hipError_tPvRmT1_PNSt15iterator_traitsISK_E10value_typeET2_T3_PNSL_ISQ_E10value_typeET4_jRbjT5_SW_jjP12ihipStream_tbEUlT_E0_NS1_11comp_targetILNS1_3genE8ELNS1_11target_archE1030ELNS1_3gpuE2ELNS1_3repE0EEENS1_60segmented_radix_sort_warp_sort_medium_config_static_selectorELNS0_4arch9wavefront6targetE1EEEvSK_ ; -- Begin function _ZN7rocprim17ROCPRIM_400000_NS6detail17trampoline_kernelINS0_14default_configENS1_36segmented_radix_sort_config_selectorIblEEZNS1_25segmented_radix_sort_implIS3_Lb1EPKbPbPKlPlN2at6native12_GLOBAL__N_18offset_tEEE10hipError_tPvRmT1_PNSt15iterator_traitsISK_E10value_typeET2_T3_PNSL_ISQ_E10value_typeET4_jRbjT5_SW_jjP12ihipStream_tbEUlT_E0_NS1_11comp_targetILNS1_3genE8ELNS1_11target_archE1030ELNS1_3gpuE2ELNS1_3repE0EEENS1_60segmented_radix_sort_warp_sort_medium_config_static_selectorELNS0_4arch9wavefront6targetE1EEEvSK_
	.p2align	8
	.type	_ZN7rocprim17ROCPRIM_400000_NS6detail17trampoline_kernelINS0_14default_configENS1_36segmented_radix_sort_config_selectorIblEEZNS1_25segmented_radix_sort_implIS3_Lb1EPKbPbPKlPlN2at6native12_GLOBAL__N_18offset_tEEE10hipError_tPvRmT1_PNSt15iterator_traitsISK_E10value_typeET2_T3_PNSL_ISQ_E10value_typeET4_jRbjT5_SW_jjP12ihipStream_tbEUlT_E0_NS1_11comp_targetILNS1_3genE8ELNS1_11target_archE1030ELNS1_3gpuE2ELNS1_3repE0EEENS1_60segmented_radix_sort_warp_sort_medium_config_static_selectorELNS0_4arch9wavefront6targetE1EEEvSK_,@function
_ZN7rocprim17ROCPRIM_400000_NS6detail17trampoline_kernelINS0_14default_configENS1_36segmented_radix_sort_config_selectorIblEEZNS1_25segmented_radix_sort_implIS3_Lb1EPKbPbPKlPlN2at6native12_GLOBAL__N_18offset_tEEE10hipError_tPvRmT1_PNSt15iterator_traitsISK_E10value_typeET2_T3_PNSL_ISQ_E10value_typeET4_jRbjT5_SW_jjP12ihipStream_tbEUlT_E0_NS1_11comp_targetILNS1_3genE8ELNS1_11target_archE1030ELNS1_3gpuE2ELNS1_3repE0EEENS1_60segmented_radix_sort_warp_sort_medium_config_static_selectorELNS0_4arch9wavefront6targetE1EEEvSK_: ; @_ZN7rocprim17ROCPRIM_400000_NS6detail17trampoline_kernelINS0_14default_configENS1_36segmented_radix_sort_config_selectorIblEEZNS1_25segmented_radix_sort_implIS3_Lb1EPKbPbPKlPlN2at6native12_GLOBAL__N_18offset_tEEE10hipError_tPvRmT1_PNSt15iterator_traitsISK_E10value_typeET2_T3_PNSL_ISQ_E10value_typeET4_jRbjT5_SW_jjP12ihipStream_tbEUlT_E0_NS1_11comp_targetILNS1_3genE8ELNS1_11target_archE1030ELNS1_3gpuE2ELNS1_3repE0EEENS1_60segmented_radix_sort_warp_sort_medium_config_static_selectorELNS0_4arch9wavefront6targetE1EEEvSK_
; %bb.0:
	.section	.rodata,"a",@progbits
	.p2align	6, 0x0
	.amdhsa_kernel _ZN7rocprim17ROCPRIM_400000_NS6detail17trampoline_kernelINS0_14default_configENS1_36segmented_radix_sort_config_selectorIblEEZNS1_25segmented_radix_sort_implIS3_Lb1EPKbPbPKlPlN2at6native12_GLOBAL__N_18offset_tEEE10hipError_tPvRmT1_PNSt15iterator_traitsISK_E10value_typeET2_T3_PNSL_ISQ_E10value_typeET4_jRbjT5_SW_jjP12ihipStream_tbEUlT_E0_NS1_11comp_targetILNS1_3genE8ELNS1_11target_archE1030ELNS1_3gpuE2ELNS1_3repE0EEENS1_60segmented_radix_sort_warp_sort_medium_config_static_selectorELNS0_4arch9wavefront6targetE1EEEvSK_
		.amdhsa_group_segment_fixed_size 0
		.amdhsa_private_segment_fixed_size 0
		.amdhsa_kernarg_size 88
		.amdhsa_user_sgpr_count 6
		.amdhsa_user_sgpr_private_segment_buffer 1
		.amdhsa_user_sgpr_dispatch_ptr 0
		.amdhsa_user_sgpr_queue_ptr 0
		.amdhsa_user_sgpr_kernarg_segment_ptr 1
		.amdhsa_user_sgpr_dispatch_id 0
		.amdhsa_user_sgpr_flat_scratch_init 0
		.amdhsa_user_sgpr_private_segment_size 0
		.amdhsa_uses_dynamic_stack 0
		.amdhsa_system_sgpr_private_segment_wavefront_offset 0
		.amdhsa_system_sgpr_workgroup_id_x 1
		.amdhsa_system_sgpr_workgroup_id_y 0
		.amdhsa_system_sgpr_workgroup_id_z 0
		.amdhsa_system_sgpr_workgroup_info 0
		.amdhsa_system_vgpr_workitem_id 0
		.amdhsa_next_free_vgpr 1
		.amdhsa_next_free_sgpr 0
		.amdhsa_reserve_vcc 0
		.amdhsa_reserve_flat_scratch 0
		.amdhsa_float_round_mode_32 0
		.amdhsa_float_round_mode_16_64 0
		.amdhsa_float_denorm_mode_32 3
		.amdhsa_float_denorm_mode_16_64 3
		.amdhsa_dx10_clamp 1
		.amdhsa_ieee_mode 1
		.amdhsa_fp16_overflow 0
		.amdhsa_exception_fp_ieee_invalid_op 0
		.amdhsa_exception_fp_denorm_src 0
		.amdhsa_exception_fp_ieee_div_zero 0
		.amdhsa_exception_fp_ieee_overflow 0
		.amdhsa_exception_fp_ieee_underflow 0
		.amdhsa_exception_fp_ieee_inexact 0
		.amdhsa_exception_int_div_zero 0
	.end_amdhsa_kernel
	.section	.text._ZN7rocprim17ROCPRIM_400000_NS6detail17trampoline_kernelINS0_14default_configENS1_36segmented_radix_sort_config_selectorIblEEZNS1_25segmented_radix_sort_implIS3_Lb1EPKbPbPKlPlN2at6native12_GLOBAL__N_18offset_tEEE10hipError_tPvRmT1_PNSt15iterator_traitsISK_E10value_typeET2_T3_PNSL_ISQ_E10value_typeET4_jRbjT5_SW_jjP12ihipStream_tbEUlT_E0_NS1_11comp_targetILNS1_3genE8ELNS1_11target_archE1030ELNS1_3gpuE2ELNS1_3repE0EEENS1_60segmented_radix_sort_warp_sort_medium_config_static_selectorELNS0_4arch9wavefront6targetE1EEEvSK_,"axG",@progbits,_ZN7rocprim17ROCPRIM_400000_NS6detail17trampoline_kernelINS0_14default_configENS1_36segmented_radix_sort_config_selectorIblEEZNS1_25segmented_radix_sort_implIS3_Lb1EPKbPbPKlPlN2at6native12_GLOBAL__N_18offset_tEEE10hipError_tPvRmT1_PNSt15iterator_traitsISK_E10value_typeET2_T3_PNSL_ISQ_E10value_typeET4_jRbjT5_SW_jjP12ihipStream_tbEUlT_E0_NS1_11comp_targetILNS1_3genE8ELNS1_11target_archE1030ELNS1_3gpuE2ELNS1_3repE0EEENS1_60segmented_radix_sort_warp_sort_medium_config_static_selectorELNS0_4arch9wavefront6targetE1EEEvSK_,comdat
.Lfunc_end1551:
	.size	_ZN7rocprim17ROCPRIM_400000_NS6detail17trampoline_kernelINS0_14default_configENS1_36segmented_radix_sort_config_selectorIblEEZNS1_25segmented_radix_sort_implIS3_Lb1EPKbPbPKlPlN2at6native12_GLOBAL__N_18offset_tEEE10hipError_tPvRmT1_PNSt15iterator_traitsISK_E10value_typeET2_T3_PNSL_ISQ_E10value_typeET4_jRbjT5_SW_jjP12ihipStream_tbEUlT_E0_NS1_11comp_targetILNS1_3genE8ELNS1_11target_archE1030ELNS1_3gpuE2ELNS1_3repE0EEENS1_60segmented_radix_sort_warp_sort_medium_config_static_selectorELNS0_4arch9wavefront6targetE1EEEvSK_, .Lfunc_end1551-_ZN7rocprim17ROCPRIM_400000_NS6detail17trampoline_kernelINS0_14default_configENS1_36segmented_radix_sort_config_selectorIblEEZNS1_25segmented_radix_sort_implIS3_Lb1EPKbPbPKlPlN2at6native12_GLOBAL__N_18offset_tEEE10hipError_tPvRmT1_PNSt15iterator_traitsISK_E10value_typeET2_T3_PNSL_ISQ_E10value_typeET4_jRbjT5_SW_jjP12ihipStream_tbEUlT_E0_NS1_11comp_targetILNS1_3genE8ELNS1_11target_archE1030ELNS1_3gpuE2ELNS1_3repE0EEENS1_60segmented_radix_sort_warp_sort_medium_config_static_selectorELNS0_4arch9wavefront6targetE1EEEvSK_
                                        ; -- End function
	.set _ZN7rocprim17ROCPRIM_400000_NS6detail17trampoline_kernelINS0_14default_configENS1_36segmented_radix_sort_config_selectorIblEEZNS1_25segmented_radix_sort_implIS3_Lb1EPKbPbPKlPlN2at6native12_GLOBAL__N_18offset_tEEE10hipError_tPvRmT1_PNSt15iterator_traitsISK_E10value_typeET2_T3_PNSL_ISQ_E10value_typeET4_jRbjT5_SW_jjP12ihipStream_tbEUlT_E0_NS1_11comp_targetILNS1_3genE8ELNS1_11target_archE1030ELNS1_3gpuE2ELNS1_3repE0EEENS1_60segmented_radix_sort_warp_sort_medium_config_static_selectorELNS0_4arch9wavefront6targetE1EEEvSK_.num_vgpr, 0
	.set _ZN7rocprim17ROCPRIM_400000_NS6detail17trampoline_kernelINS0_14default_configENS1_36segmented_radix_sort_config_selectorIblEEZNS1_25segmented_radix_sort_implIS3_Lb1EPKbPbPKlPlN2at6native12_GLOBAL__N_18offset_tEEE10hipError_tPvRmT1_PNSt15iterator_traitsISK_E10value_typeET2_T3_PNSL_ISQ_E10value_typeET4_jRbjT5_SW_jjP12ihipStream_tbEUlT_E0_NS1_11comp_targetILNS1_3genE8ELNS1_11target_archE1030ELNS1_3gpuE2ELNS1_3repE0EEENS1_60segmented_radix_sort_warp_sort_medium_config_static_selectorELNS0_4arch9wavefront6targetE1EEEvSK_.num_agpr, 0
	.set _ZN7rocprim17ROCPRIM_400000_NS6detail17trampoline_kernelINS0_14default_configENS1_36segmented_radix_sort_config_selectorIblEEZNS1_25segmented_radix_sort_implIS3_Lb1EPKbPbPKlPlN2at6native12_GLOBAL__N_18offset_tEEE10hipError_tPvRmT1_PNSt15iterator_traitsISK_E10value_typeET2_T3_PNSL_ISQ_E10value_typeET4_jRbjT5_SW_jjP12ihipStream_tbEUlT_E0_NS1_11comp_targetILNS1_3genE8ELNS1_11target_archE1030ELNS1_3gpuE2ELNS1_3repE0EEENS1_60segmented_radix_sort_warp_sort_medium_config_static_selectorELNS0_4arch9wavefront6targetE1EEEvSK_.numbered_sgpr, 0
	.set _ZN7rocprim17ROCPRIM_400000_NS6detail17trampoline_kernelINS0_14default_configENS1_36segmented_radix_sort_config_selectorIblEEZNS1_25segmented_radix_sort_implIS3_Lb1EPKbPbPKlPlN2at6native12_GLOBAL__N_18offset_tEEE10hipError_tPvRmT1_PNSt15iterator_traitsISK_E10value_typeET2_T3_PNSL_ISQ_E10value_typeET4_jRbjT5_SW_jjP12ihipStream_tbEUlT_E0_NS1_11comp_targetILNS1_3genE8ELNS1_11target_archE1030ELNS1_3gpuE2ELNS1_3repE0EEENS1_60segmented_radix_sort_warp_sort_medium_config_static_selectorELNS0_4arch9wavefront6targetE1EEEvSK_.num_named_barrier, 0
	.set _ZN7rocprim17ROCPRIM_400000_NS6detail17trampoline_kernelINS0_14default_configENS1_36segmented_radix_sort_config_selectorIblEEZNS1_25segmented_radix_sort_implIS3_Lb1EPKbPbPKlPlN2at6native12_GLOBAL__N_18offset_tEEE10hipError_tPvRmT1_PNSt15iterator_traitsISK_E10value_typeET2_T3_PNSL_ISQ_E10value_typeET4_jRbjT5_SW_jjP12ihipStream_tbEUlT_E0_NS1_11comp_targetILNS1_3genE8ELNS1_11target_archE1030ELNS1_3gpuE2ELNS1_3repE0EEENS1_60segmented_radix_sort_warp_sort_medium_config_static_selectorELNS0_4arch9wavefront6targetE1EEEvSK_.private_seg_size, 0
	.set _ZN7rocprim17ROCPRIM_400000_NS6detail17trampoline_kernelINS0_14default_configENS1_36segmented_radix_sort_config_selectorIblEEZNS1_25segmented_radix_sort_implIS3_Lb1EPKbPbPKlPlN2at6native12_GLOBAL__N_18offset_tEEE10hipError_tPvRmT1_PNSt15iterator_traitsISK_E10value_typeET2_T3_PNSL_ISQ_E10value_typeET4_jRbjT5_SW_jjP12ihipStream_tbEUlT_E0_NS1_11comp_targetILNS1_3genE8ELNS1_11target_archE1030ELNS1_3gpuE2ELNS1_3repE0EEENS1_60segmented_radix_sort_warp_sort_medium_config_static_selectorELNS0_4arch9wavefront6targetE1EEEvSK_.uses_vcc, 0
	.set _ZN7rocprim17ROCPRIM_400000_NS6detail17trampoline_kernelINS0_14default_configENS1_36segmented_radix_sort_config_selectorIblEEZNS1_25segmented_radix_sort_implIS3_Lb1EPKbPbPKlPlN2at6native12_GLOBAL__N_18offset_tEEE10hipError_tPvRmT1_PNSt15iterator_traitsISK_E10value_typeET2_T3_PNSL_ISQ_E10value_typeET4_jRbjT5_SW_jjP12ihipStream_tbEUlT_E0_NS1_11comp_targetILNS1_3genE8ELNS1_11target_archE1030ELNS1_3gpuE2ELNS1_3repE0EEENS1_60segmented_radix_sort_warp_sort_medium_config_static_selectorELNS0_4arch9wavefront6targetE1EEEvSK_.uses_flat_scratch, 0
	.set _ZN7rocprim17ROCPRIM_400000_NS6detail17trampoline_kernelINS0_14default_configENS1_36segmented_radix_sort_config_selectorIblEEZNS1_25segmented_radix_sort_implIS3_Lb1EPKbPbPKlPlN2at6native12_GLOBAL__N_18offset_tEEE10hipError_tPvRmT1_PNSt15iterator_traitsISK_E10value_typeET2_T3_PNSL_ISQ_E10value_typeET4_jRbjT5_SW_jjP12ihipStream_tbEUlT_E0_NS1_11comp_targetILNS1_3genE8ELNS1_11target_archE1030ELNS1_3gpuE2ELNS1_3repE0EEENS1_60segmented_radix_sort_warp_sort_medium_config_static_selectorELNS0_4arch9wavefront6targetE1EEEvSK_.has_dyn_sized_stack, 0
	.set _ZN7rocprim17ROCPRIM_400000_NS6detail17trampoline_kernelINS0_14default_configENS1_36segmented_radix_sort_config_selectorIblEEZNS1_25segmented_radix_sort_implIS3_Lb1EPKbPbPKlPlN2at6native12_GLOBAL__N_18offset_tEEE10hipError_tPvRmT1_PNSt15iterator_traitsISK_E10value_typeET2_T3_PNSL_ISQ_E10value_typeET4_jRbjT5_SW_jjP12ihipStream_tbEUlT_E0_NS1_11comp_targetILNS1_3genE8ELNS1_11target_archE1030ELNS1_3gpuE2ELNS1_3repE0EEENS1_60segmented_radix_sort_warp_sort_medium_config_static_selectorELNS0_4arch9wavefront6targetE1EEEvSK_.has_recursion, 0
	.set _ZN7rocprim17ROCPRIM_400000_NS6detail17trampoline_kernelINS0_14default_configENS1_36segmented_radix_sort_config_selectorIblEEZNS1_25segmented_radix_sort_implIS3_Lb1EPKbPbPKlPlN2at6native12_GLOBAL__N_18offset_tEEE10hipError_tPvRmT1_PNSt15iterator_traitsISK_E10value_typeET2_T3_PNSL_ISQ_E10value_typeET4_jRbjT5_SW_jjP12ihipStream_tbEUlT_E0_NS1_11comp_targetILNS1_3genE8ELNS1_11target_archE1030ELNS1_3gpuE2ELNS1_3repE0EEENS1_60segmented_radix_sort_warp_sort_medium_config_static_selectorELNS0_4arch9wavefront6targetE1EEEvSK_.has_indirect_call, 0
	.section	.AMDGPU.csdata,"",@progbits
; Kernel info:
; codeLenInByte = 0
; TotalNumSgprs: 4
; NumVgprs: 0
; ScratchSize: 0
; MemoryBound: 0
; FloatMode: 240
; IeeeMode: 1
; LDSByteSize: 0 bytes/workgroup (compile time only)
; SGPRBlocks: 0
; VGPRBlocks: 0
; NumSGPRsForWavesPerEU: 4
; NumVGPRsForWavesPerEU: 1
; Occupancy: 10
; WaveLimiterHint : 0
; COMPUTE_PGM_RSRC2:SCRATCH_EN: 0
; COMPUTE_PGM_RSRC2:USER_SGPR: 6
; COMPUTE_PGM_RSRC2:TRAP_HANDLER: 0
; COMPUTE_PGM_RSRC2:TGID_X_EN: 1
; COMPUTE_PGM_RSRC2:TGID_Y_EN: 0
; COMPUTE_PGM_RSRC2:TGID_Z_EN: 0
; COMPUTE_PGM_RSRC2:TIDIG_COMP_CNT: 0
	.section	.text._ZN7rocprim17ROCPRIM_400000_NS6detail17trampoline_kernelINS0_14default_configENS1_36segmented_radix_sort_config_selectorIblEEZNS1_25segmented_radix_sort_implIS3_Lb1EPKbPbPKlPlN2at6native12_GLOBAL__N_18offset_tEEE10hipError_tPvRmT1_PNSt15iterator_traitsISK_E10value_typeET2_T3_PNSL_ISQ_E10value_typeET4_jRbjT5_SW_jjP12ihipStream_tbEUlT_E1_NS1_11comp_targetILNS1_3genE0ELNS1_11target_archE4294967295ELNS1_3gpuE0ELNS1_3repE0EEENS1_59segmented_radix_sort_warp_sort_small_config_static_selectorELNS0_4arch9wavefront6targetE1EEEvSK_,"axG",@progbits,_ZN7rocprim17ROCPRIM_400000_NS6detail17trampoline_kernelINS0_14default_configENS1_36segmented_radix_sort_config_selectorIblEEZNS1_25segmented_radix_sort_implIS3_Lb1EPKbPbPKlPlN2at6native12_GLOBAL__N_18offset_tEEE10hipError_tPvRmT1_PNSt15iterator_traitsISK_E10value_typeET2_T3_PNSL_ISQ_E10value_typeET4_jRbjT5_SW_jjP12ihipStream_tbEUlT_E1_NS1_11comp_targetILNS1_3genE0ELNS1_11target_archE4294967295ELNS1_3gpuE0ELNS1_3repE0EEENS1_59segmented_radix_sort_warp_sort_small_config_static_selectorELNS0_4arch9wavefront6targetE1EEEvSK_,comdat
	.globl	_ZN7rocprim17ROCPRIM_400000_NS6detail17trampoline_kernelINS0_14default_configENS1_36segmented_radix_sort_config_selectorIblEEZNS1_25segmented_radix_sort_implIS3_Lb1EPKbPbPKlPlN2at6native12_GLOBAL__N_18offset_tEEE10hipError_tPvRmT1_PNSt15iterator_traitsISK_E10value_typeET2_T3_PNSL_ISQ_E10value_typeET4_jRbjT5_SW_jjP12ihipStream_tbEUlT_E1_NS1_11comp_targetILNS1_3genE0ELNS1_11target_archE4294967295ELNS1_3gpuE0ELNS1_3repE0EEENS1_59segmented_radix_sort_warp_sort_small_config_static_selectorELNS0_4arch9wavefront6targetE1EEEvSK_ ; -- Begin function _ZN7rocprim17ROCPRIM_400000_NS6detail17trampoline_kernelINS0_14default_configENS1_36segmented_radix_sort_config_selectorIblEEZNS1_25segmented_radix_sort_implIS3_Lb1EPKbPbPKlPlN2at6native12_GLOBAL__N_18offset_tEEE10hipError_tPvRmT1_PNSt15iterator_traitsISK_E10value_typeET2_T3_PNSL_ISQ_E10value_typeET4_jRbjT5_SW_jjP12ihipStream_tbEUlT_E1_NS1_11comp_targetILNS1_3genE0ELNS1_11target_archE4294967295ELNS1_3gpuE0ELNS1_3repE0EEENS1_59segmented_radix_sort_warp_sort_small_config_static_selectorELNS0_4arch9wavefront6targetE1EEEvSK_
	.p2align	8
	.type	_ZN7rocprim17ROCPRIM_400000_NS6detail17trampoline_kernelINS0_14default_configENS1_36segmented_radix_sort_config_selectorIblEEZNS1_25segmented_radix_sort_implIS3_Lb1EPKbPbPKlPlN2at6native12_GLOBAL__N_18offset_tEEE10hipError_tPvRmT1_PNSt15iterator_traitsISK_E10value_typeET2_T3_PNSL_ISQ_E10value_typeET4_jRbjT5_SW_jjP12ihipStream_tbEUlT_E1_NS1_11comp_targetILNS1_3genE0ELNS1_11target_archE4294967295ELNS1_3gpuE0ELNS1_3repE0EEENS1_59segmented_radix_sort_warp_sort_small_config_static_selectorELNS0_4arch9wavefront6targetE1EEEvSK_,@function
_ZN7rocprim17ROCPRIM_400000_NS6detail17trampoline_kernelINS0_14default_configENS1_36segmented_radix_sort_config_selectorIblEEZNS1_25segmented_radix_sort_implIS3_Lb1EPKbPbPKlPlN2at6native12_GLOBAL__N_18offset_tEEE10hipError_tPvRmT1_PNSt15iterator_traitsISK_E10value_typeET2_T3_PNSL_ISQ_E10value_typeET4_jRbjT5_SW_jjP12ihipStream_tbEUlT_E1_NS1_11comp_targetILNS1_3genE0ELNS1_11target_archE4294967295ELNS1_3gpuE0ELNS1_3repE0EEENS1_59segmented_radix_sort_warp_sort_small_config_static_selectorELNS0_4arch9wavefront6targetE1EEEvSK_: ; @_ZN7rocprim17ROCPRIM_400000_NS6detail17trampoline_kernelINS0_14default_configENS1_36segmented_radix_sort_config_selectorIblEEZNS1_25segmented_radix_sort_implIS3_Lb1EPKbPbPKlPlN2at6native12_GLOBAL__N_18offset_tEEE10hipError_tPvRmT1_PNSt15iterator_traitsISK_E10value_typeET2_T3_PNSL_ISQ_E10value_typeET4_jRbjT5_SW_jjP12ihipStream_tbEUlT_E1_NS1_11comp_targetILNS1_3genE0ELNS1_11target_archE4294967295ELNS1_3gpuE0ELNS1_3repE0EEENS1_59segmented_radix_sort_warp_sort_small_config_static_selectorELNS0_4arch9wavefront6targetE1EEEvSK_
; %bb.0:
	.section	.rodata,"a",@progbits
	.p2align	6, 0x0
	.amdhsa_kernel _ZN7rocprim17ROCPRIM_400000_NS6detail17trampoline_kernelINS0_14default_configENS1_36segmented_radix_sort_config_selectorIblEEZNS1_25segmented_radix_sort_implIS3_Lb1EPKbPbPKlPlN2at6native12_GLOBAL__N_18offset_tEEE10hipError_tPvRmT1_PNSt15iterator_traitsISK_E10value_typeET2_T3_PNSL_ISQ_E10value_typeET4_jRbjT5_SW_jjP12ihipStream_tbEUlT_E1_NS1_11comp_targetILNS1_3genE0ELNS1_11target_archE4294967295ELNS1_3gpuE0ELNS1_3repE0EEENS1_59segmented_radix_sort_warp_sort_small_config_static_selectorELNS0_4arch9wavefront6targetE1EEEvSK_
		.amdhsa_group_segment_fixed_size 0
		.amdhsa_private_segment_fixed_size 0
		.amdhsa_kernarg_size 88
		.amdhsa_user_sgpr_count 6
		.amdhsa_user_sgpr_private_segment_buffer 1
		.amdhsa_user_sgpr_dispatch_ptr 0
		.amdhsa_user_sgpr_queue_ptr 0
		.amdhsa_user_sgpr_kernarg_segment_ptr 1
		.amdhsa_user_sgpr_dispatch_id 0
		.amdhsa_user_sgpr_flat_scratch_init 0
		.amdhsa_user_sgpr_private_segment_size 0
		.amdhsa_uses_dynamic_stack 0
		.amdhsa_system_sgpr_private_segment_wavefront_offset 0
		.amdhsa_system_sgpr_workgroup_id_x 1
		.amdhsa_system_sgpr_workgroup_id_y 0
		.amdhsa_system_sgpr_workgroup_id_z 0
		.amdhsa_system_sgpr_workgroup_info 0
		.amdhsa_system_vgpr_workitem_id 0
		.amdhsa_next_free_vgpr 1
		.amdhsa_next_free_sgpr 0
		.amdhsa_reserve_vcc 0
		.amdhsa_reserve_flat_scratch 0
		.amdhsa_float_round_mode_32 0
		.amdhsa_float_round_mode_16_64 0
		.amdhsa_float_denorm_mode_32 3
		.amdhsa_float_denorm_mode_16_64 3
		.amdhsa_dx10_clamp 1
		.amdhsa_ieee_mode 1
		.amdhsa_fp16_overflow 0
		.amdhsa_exception_fp_ieee_invalid_op 0
		.amdhsa_exception_fp_denorm_src 0
		.amdhsa_exception_fp_ieee_div_zero 0
		.amdhsa_exception_fp_ieee_overflow 0
		.amdhsa_exception_fp_ieee_underflow 0
		.amdhsa_exception_fp_ieee_inexact 0
		.amdhsa_exception_int_div_zero 0
	.end_amdhsa_kernel
	.section	.text._ZN7rocprim17ROCPRIM_400000_NS6detail17trampoline_kernelINS0_14default_configENS1_36segmented_radix_sort_config_selectorIblEEZNS1_25segmented_radix_sort_implIS3_Lb1EPKbPbPKlPlN2at6native12_GLOBAL__N_18offset_tEEE10hipError_tPvRmT1_PNSt15iterator_traitsISK_E10value_typeET2_T3_PNSL_ISQ_E10value_typeET4_jRbjT5_SW_jjP12ihipStream_tbEUlT_E1_NS1_11comp_targetILNS1_3genE0ELNS1_11target_archE4294967295ELNS1_3gpuE0ELNS1_3repE0EEENS1_59segmented_radix_sort_warp_sort_small_config_static_selectorELNS0_4arch9wavefront6targetE1EEEvSK_,"axG",@progbits,_ZN7rocprim17ROCPRIM_400000_NS6detail17trampoline_kernelINS0_14default_configENS1_36segmented_radix_sort_config_selectorIblEEZNS1_25segmented_radix_sort_implIS3_Lb1EPKbPbPKlPlN2at6native12_GLOBAL__N_18offset_tEEE10hipError_tPvRmT1_PNSt15iterator_traitsISK_E10value_typeET2_T3_PNSL_ISQ_E10value_typeET4_jRbjT5_SW_jjP12ihipStream_tbEUlT_E1_NS1_11comp_targetILNS1_3genE0ELNS1_11target_archE4294967295ELNS1_3gpuE0ELNS1_3repE0EEENS1_59segmented_radix_sort_warp_sort_small_config_static_selectorELNS0_4arch9wavefront6targetE1EEEvSK_,comdat
.Lfunc_end1552:
	.size	_ZN7rocprim17ROCPRIM_400000_NS6detail17trampoline_kernelINS0_14default_configENS1_36segmented_radix_sort_config_selectorIblEEZNS1_25segmented_radix_sort_implIS3_Lb1EPKbPbPKlPlN2at6native12_GLOBAL__N_18offset_tEEE10hipError_tPvRmT1_PNSt15iterator_traitsISK_E10value_typeET2_T3_PNSL_ISQ_E10value_typeET4_jRbjT5_SW_jjP12ihipStream_tbEUlT_E1_NS1_11comp_targetILNS1_3genE0ELNS1_11target_archE4294967295ELNS1_3gpuE0ELNS1_3repE0EEENS1_59segmented_radix_sort_warp_sort_small_config_static_selectorELNS0_4arch9wavefront6targetE1EEEvSK_, .Lfunc_end1552-_ZN7rocprim17ROCPRIM_400000_NS6detail17trampoline_kernelINS0_14default_configENS1_36segmented_radix_sort_config_selectorIblEEZNS1_25segmented_radix_sort_implIS3_Lb1EPKbPbPKlPlN2at6native12_GLOBAL__N_18offset_tEEE10hipError_tPvRmT1_PNSt15iterator_traitsISK_E10value_typeET2_T3_PNSL_ISQ_E10value_typeET4_jRbjT5_SW_jjP12ihipStream_tbEUlT_E1_NS1_11comp_targetILNS1_3genE0ELNS1_11target_archE4294967295ELNS1_3gpuE0ELNS1_3repE0EEENS1_59segmented_radix_sort_warp_sort_small_config_static_selectorELNS0_4arch9wavefront6targetE1EEEvSK_
                                        ; -- End function
	.set _ZN7rocprim17ROCPRIM_400000_NS6detail17trampoline_kernelINS0_14default_configENS1_36segmented_radix_sort_config_selectorIblEEZNS1_25segmented_radix_sort_implIS3_Lb1EPKbPbPKlPlN2at6native12_GLOBAL__N_18offset_tEEE10hipError_tPvRmT1_PNSt15iterator_traitsISK_E10value_typeET2_T3_PNSL_ISQ_E10value_typeET4_jRbjT5_SW_jjP12ihipStream_tbEUlT_E1_NS1_11comp_targetILNS1_3genE0ELNS1_11target_archE4294967295ELNS1_3gpuE0ELNS1_3repE0EEENS1_59segmented_radix_sort_warp_sort_small_config_static_selectorELNS0_4arch9wavefront6targetE1EEEvSK_.num_vgpr, 0
	.set _ZN7rocprim17ROCPRIM_400000_NS6detail17trampoline_kernelINS0_14default_configENS1_36segmented_radix_sort_config_selectorIblEEZNS1_25segmented_radix_sort_implIS3_Lb1EPKbPbPKlPlN2at6native12_GLOBAL__N_18offset_tEEE10hipError_tPvRmT1_PNSt15iterator_traitsISK_E10value_typeET2_T3_PNSL_ISQ_E10value_typeET4_jRbjT5_SW_jjP12ihipStream_tbEUlT_E1_NS1_11comp_targetILNS1_3genE0ELNS1_11target_archE4294967295ELNS1_3gpuE0ELNS1_3repE0EEENS1_59segmented_radix_sort_warp_sort_small_config_static_selectorELNS0_4arch9wavefront6targetE1EEEvSK_.num_agpr, 0
	.set _ZN7rocprim17ROCPRIM_400000_NS6detail17trampoline_kernelINS0_14default_configENS1_36segmented_radix_sort_config_selectorIblEEZNS1_25segmented_radix_sort_implIS3_Lb1EPKbPbPKlPlN2at6native12_GLOBAL__N_18offset_tEEE10hipError_tPvRmT1_PNSt15iterator_traitsISK_E10value_typeET2_T3_PNSL_ISQ_E10value_typeET4_jRbjT5_SW_jjP12ihipStream_tbEUlT_E1_NS1_11comp_targetILNS1_3genE0ELNS1_11target_archE4294967295ELNS1_3gpuE0ELNS1_3repE0EEENS1_59segmented_radix_sort_warp_sort_small_config_static_selectorELNS0_4arch9wavefront6targetE1EEEvSK_.numbered_sgpr, 0
	.set _ZN7rocprim17ROCPRIM_400000_NS6detail17trampoline_kernelINS0_14default_configENS1_36segmented_radix_sort_config_selectorIblEEZNS1_25segmented_radix_sort_implIS3_Lb1EPKbPbPKlPlN2at6native12_GLOBAL__N_18offset_tEEE10hipError_tPvRmT1_PNSt15iterator_traitsISK_E10value_typeET2_T3_PNSL_ISQ_E10value_typeET4_jRbjT5_SW_jjP12ihipStream_tbEUlT_E1_NS1_11comp_targetILNS1_3genE0ELNS1_11target_archE4294967295ELNS1_3gpuE0ELNS1_3repE0EEENS1_59segmented_radix_sort_warp_sort_small_config_static_selectorELNS0_4arch9wavefront6targetE1EEEvSK_.num_named_barrier, 0
	.set _ZN7rocprim17ROCPRIM_400000_NS6detail17trampoline_kernelINS0_14default_configENS1_36segmented_radix_sort_config_selectorIblEEZNS1_25segmented_radix_sort_implIS3_Lb1EPKbPbPKlPlN2at6native12_GLOBAL__N_18offset_tEEE10hipError_tPvRmT1_PNSt15iterator_traitsISK_E10value_typeET2_T3_PNSL_ISQ_E10value_typeET4_jRbjT5_SW_jjP12ihipStream_tbEUlT_E1_NS1_11comp_targetILNS1_3genE0ELNS1_11target_archE4294967295ELNS1_3gpuE0ELNS1_3repE0EEENS1_59segmented_radix_sort_warp_sort_small_config_static_selectorELNS0_4arch9wavefront6targetE1EEEvSK_.private_seg_size, 0
	.set _ZN7rocprim17ROCPRIM_400000_NS6detail17trampoline_kernelINS0_14default_configENS1_36segmented_radix_sort_config_selectorIblEEZNS1_25segmented_radix_sort_implIS3_Lb1EPKbPbPKlPlN2at6native12_GLOBAL__N_18offset_tEEE10hipError_tPvRmT1_PNSt15iterator_traitsISK_E10value_typeET2_T3_PNSL_ISQ_E10value_typeET4_jRbjT5_SW_jjP12ihipStream_tbEUlT_E1_NS1_11comp_targetILNS1_3genE0ELNS1_11target_archE4294967295ELNS1_3gpuE0ELNS1_3repE0EEENS1_59segmented_radix_sort_warp_sort_small_config_static_selectorELNS0_4arch9wavefront6targetE1EEEvSK_.uses_vcc, 0
	.set _ZN7rocprim17ROCPRIM_400000_NS6detail17trampoline_kernelINS0_14default_configENS1_36segmented_radix_sort_config_selectorIblEEZNS1_25segmented_radix_sort_implIS3_Lb1EPKbPbPKlPlN2at6native12_GLOBAL__N_18offset_tEEE10hipError_tPvRmT1_PNSt15iterator_traitsISK_E10value_typeET2_T3_PNSL_ISQ_E10value_typeET4_jRbjT5_SW_jjP12ihipStream_tbEUlT_E1_NS1_11comp_targetILNS1_3genE0ELNS1_11target_archE4294967295ELNS1_3gpuE0ELNS1_3repE0EEENS1_59segmented_radix_sort_warp_sort_small_config_static_selectorELNS0_4arch9wavefront6targetE1EEEvSK_.uses_flat_scratch, 0
	.set _ZN7rocprim17ROCPRIM_400000_NS6detail17trampoline_kernelINS0_14default_configENS1_36segmented_radix_sort_config_selectorIblEEZNS1_25segmented_radix_sort_implIS3_Lb1EPKbPbPKlPlN2at6native12_GLOBAL__N_18offset_tEEE10hipError_tPvRmT1_PNSt15iterator_traitsISK_E10value_typeET2_T3_PNSL_ISQ_E10value_typeET4_jRbjT5_SW_jjP12ihipStream_tbEUlT_E1_NS1_11comp_targetILNS1_3genE0ELNS1_11target_archE4294967295ELNS1_3gpuE0ELNS1_3repE0EEENS1_59segmented_radix_sort_warp_sort_small_config_static_selectorELNS0_4arch9wavefront6targetE1EEEvSK_.has_dyn_sized_stack, 0
	.set _ZN7rocprim17ROCPRIM_400000_NS6detail17trampoline_kernelINS0_14default_configENS1_36segmented_radix_sort_config_selectorIblEEZNS1_25segmented_radix_sort_implIS3_Lb1EPKbPbPKlPlN2at6native12_GLOBAL__N_18offset_tEEE10hipError_tPvRmT1_PNSt15iterator_traitsISK_E10value_typeET2_T3_PNSL_ISQ_E10value_typeET4_jRbjT5_SW_jjP12ihipStream_tbEUlT_E1_NS1_11comp_targetILNS1_3genE0ELNS1_11target_archE4294967295ELNS1_3gpuE0ELNS1_3repE0EEENS1_59segmented_radix_sort_warp_sort_small_config_static_selectorELNS0_4arch9wavefront6targetE1EEEvSK_.has_recursion, 0
	.set _ZN7rocprim17ROCPRIM_400000_NS6detail17trampoline_kernelINS0_14default_configENS1_36segmented_radix_sort_config_selectorIblEEZNS1_25segmented_radix_sort_implIS3_Lb1EPKbPbPKlPlN2at6native12_GLOBAL__N_18offset_tEEE10hipError_tPvRmT1_PNSt15iterator_traitsISK_E10value_typeET2_T3_PNSL_ISQ_E10value_typeET4_jRbjT5_SW_jjP12ihipStream_tbEUlT_E1_NS1_11comp_targetILNS1_3genE0ELNS1_11target_archE4294967295ELNS1_3gpuE0ELNS1_3repE0EEENS1_59segmented_radix_sort_warp_sort_small_config_static_selectorELNS0_4arch9wavefront6targetE1EEEvSK_.has_indirect_call, 0
	.section	.AMDGPU.csdata,"",@progbits
; Kernel info:
; codeLenInByte = 0
; TotalNumSgprs: 4
; NumVgprs: 0
; ScratchSize: 0
; MemoryBound: 0
; FloatMode: 240
; IeeeMode: 1
; LDSByteSize: 0 bytes/workgroup (compile time only)
; SGPRBlocks: 0
; VGPRBlocks: 0
; NumSGPRsForWavesPerEU: 4
; NumVGPRsForWavesPerEU: 1
; Occupancy: 10
; WaveLimiterHint : 0
; COMPUTE_PGM_RSRC2:SCRATCH_EN: 0
; COMPUTE_PGM_RSRC2:USER_SGPR: 6
; COMPUTE_PGM_RSRC2:TRAP_HANDLER: 0
; COMPUTE_PGM_RSRC2:TGID_X_EN: 1
; COMPUTE_PGM_RSRC2:TGID_Y_EN: 0
; COMPUTE_PGM_RSRC2:TGID_Z_EN: 0
; COMPUTE_PGM_RSRC2:TIDIG_COMP_CNT: 0
	.section	.text._ZN7rocprim17ROCPRIM_400000_NS6detail17trampoline_kernelINS0_14default_configENS1_36segmented_radix_sort_config_selectorIblEEZNS1_25segmented_radix_sort_implIS3_Lb1EPKbPbPKlPlN2at6native12_GLOBAL__N_18offset_tEEE10hipError_tPvRmT1_PNSt15iterator_traitsISK_E10value_typeET2_T3_PNSL_ISQ_E10value_typeET4_jRbjT5_SW_jjP12ihipStream_tbEUlT_E1_NS1_11comp_targetILNS1_3genE5ELNS1_11target_archE942ELNS1_3gpuE9ELNS1_3repE0EEENS1_59segmented_radix_sort_warp_sort_small_config_static_selectorELNS0_4arch9wavefront6targetE1EEEvSK_,"axG",@progbits,_ZN7rocprim17ROCPRIM_400000_NS6detail17trampoline_kernelINS0_14default_configENS1_36segmented_radix_sort_config_selectorIblEEZNS1_25segmented_radix_sort_implIS3_Lb1EPKbPbPKlPlN2at6native12_GLOBAL__N_18offset_tEEE10hipError_tPvRmT1_PNSt15iterator_traitsISK_E10value_typeET2_T3_PNSL_ISQ_E10value_typeET4_jRbjT5_SW_jjP12ihipStream_tbEUlT_E1_NS1_11comp_targetILNS1_3genE5ELNS1_11target_archE942ELNS1_3gpuE9ELNS1_3repE0EEENS1_59segmented_radix_sort_warp_sort_small_config_static_selectorELNS0_4arch9wavefront6targetE1EEEvSK_,comdat
	.globl	_ZN7rocprim17ROCPRIM_400000_NS6detail17trampoline_kernelINS0_14default_configENS1_36segmented_radix_sort_config_selectorIblEEZNS1_25segmented_radix_sort_implIS3_Lb1EPKbPbPKlPlN2at6native12_GLOBAL__N_18offset_tEEE10hipError_tPvRmT1_PNSt15iterator_traitsISK_E10value_typeET2_T3_PNSL_ISQ_E10value_typeET4_jRbjT5_SW_jjP12ihipStream_tbEUlT_E1_NS1_11comp_targetILNS1_3genE5ELNS1_11target_archE942ELNS1_3gpuE9ELNS1_3repE0EEENS1_59segmented_radix_sort_warp_sort_small_config_static_selectorELNS0_4arch9wavefront6targetE1EEEvSK_ ; -- Begin function _ZN7rocprim17ROCPRIM_400000_NS6detail17trampoline_kernelINS0_14default_configENS1_36segmented_radix_sort_config_selectorIblEEZNS1_25segmented_radix_sort_implIS3_Lb1EPKbPbPKlPlN2at6native12_GLOBAL__N_18offset_tEEE10hipError_tPvRmT1_PNSt15iterator_traitsISK_E10value_typeET2_T3_PNSL_ISQ_E10value_typeET4_jRbjT5_SW_jjP12ihipStream_tbEUlT_E1_NS1_11comp_targetILNS1_3genE5ELNS1_11target_archE942ELNS1_3gpuE9ELNS1_3repE0EEENS1_59segmented_radix_sort_warp_sort_small_config_static_selectorELNS0_4arch9wavefront6targetE1EEEvSK_
	.p2align	8
	.type	_ZN7rocprim17ROCPRIM_400000_NS6detail17trampoline_kernelINS0_14default_configENS1_36segmented_radix_sort_config_selectorIblEEZNS1_25segmented_radix_sort_implIS3_Lb1EPKbPbPKlPlN2at6native12_GLOBAL__N_18offset_tEEE10hipError_tPvRmT1_PNSt15iterator_traitsISK_E10value_typeET2_T3_PNSL_ISQ_E10value_typeET4_jRbjT5_SW_jjP12ihipStream_tbEUlT_E1_NS1_11comp_targetILNS1_3genE5ELNS1_11target_archE942ELNS1_3gpuE9ELNS1_3repE0EEENS1_59segmented_radix_sort_warp_sort_small_config_static_selectorELNS0_4arch9wavefront6targetE1EEEvSK_,@function
_ZN7rocprim17ROCPRIM_400000_NS6detail17trampoline_kernelINS0_14default_configENS1_36segmented_radix_sort_config_selectorIblEEZNS1_25segmented_radix_sort_implIS3_Lb1EPKbPbPKlPlN2at6native12_GLOBAL__N_18offset_tEEE10hipError_tPvRmT1_PNSt15iterator_traitsISK_E10value_typeET2_T3_PNSL_ISQ_E10value_typeET4_jRbjT5_SW_jjP12ihipStream_tbEUlT_E1_NS1_11comp_targetILNS1_3genE5ELNS1_11target_archE942ELNS1_3gpuE9ELNS1_3repE0EEENS1_59segmented_radix_sort_warp_sort_small_config_static_selectorELNS0_4arch9wavefront6targetE1EEEvSK_: ; @_ZN7rocprim17ROCPRIM_400000_NS6detail17trampoline_kernelINS0_14default_configENS1_36segmented_radix_sort_config_selectorIblEEZNS1_25segmented_radix_sort_implIS3_Lb1EPKbPbPKlPlN2at6native12_GLOBAL__N_18offset_tEEE10hipError_tPvRmT1_PNSt15iterator_traitsISK_E10value_typeET2_T3_PNSL_ISQ_E10value_typeET4_jRbjT5_SW_jjP12ihipStream_tbEUlT_E1_NS1_11comp_targetILNS1_3genE5ELNS1_11target_archE942ELNS1_3gpuE9ELNS1_3repE0EEENS1_59segmented_radix_sort_warp_sort_small_config_static_selectorELNS0_4arch9wavefront6targetE1EEEvSK_
; %bb.0:
	.section	.rodata,"a",@progbits
	.p2align	6, 0x0
	.amdhsa_kernel _ZN7rocprim17ROCPRIM_400000_NS6detail17trampoline_kernelINS0_14default_configENS1_36segmented_radix_sort_config_selectorIblEEZNS1_25segmented_radix_sort_implIS3_Lb1EPKbPbPKlPlN2at6native12_GLOBAL__N_18offset_tEEE10hipError_tPvRmT1_PNSt15iterator_traitsISK_E10value_typeET2_T3_PNSL_ISQ_E10value_typeET4_jRbjT5_SW_jjP12ihipStream_tbEUlT_E1_NS1_11comp_targetILNS1_3genE5ELNS1_11target_archE942ELNS1_3gpuE9ELNS1_3repE0EEENS1_59segmented_radix_sort_warp_sort_small_config_static_selectorELNS0_4arch9wavefront6targetE1EEEvSK_
		.amdhsa_group_segment_fixed_size 0
		.amdhsa_private_segment_fixed_size 0
		.amdhsa_kernarg_size 88
		.amdhsa_user_sgpr_count 6
		.amdhsa_user_sgpr_private_segment_buffer 1
		.amdhsa_user_sgpr_dispatch_ptr 0
		.amdhsa_user_sgpr_queue_ptr 0
		.amdhsa_user_sgpr_kernarg_segment_ptr 1
		.amdhsa_user_sgpr_dispatch_id 0
		.amdhsa_user_sgpr_flat_scratch_init 0
		.amdhsa_user_sgpr_private_segment_size 0
		.amdhsa_uses_dynamic_stack 0
		.amdhsa_system_sgpr_private_segment_wavefront_offset 0
		.amdhsa_system_sgpr_workgroup_id_x 1
		.amdhsa_system_sgpr_workgroup_id_y 0
		.amdhsa_system_sgpr_workgroup_id_z 0
		.amdhsa_system_sgpr_workgroup_info 0
		.amdhsa_system_vgpr_workitem_id 0
		.amdhsa_next_free_vgpr 1
		.amdhsa_next_free_sgpr 0
		.amdhsa_reserve_vcc 0
		.amdhsa_reserve_flat_scratch 0
		.amdhsa_float_round_mode_32 0
		.amdhsa_float_round_mode_16_64 0
		.amdhsa_float_denorm_mode_32 3
		.amdhsa_float_denorm_mode_16_64 3
		.amdhsa_dx10_clamp 1
		.amdhsa_ieee_mode 1
		.amdhsa_fp16_overflow 0
		.amdhsa_exception_fp_ieee_invalid_op 0
		.amdhsa_exception_fp_denorm_src 0
		.amdhsa_exception_fp_ieee_div_zero 0
		.amdhsa_exception_fp_ieee_overflow 0
		.amdhsa_exception_fp_ieee_underflow 0
		.amdhsa_exception_fp_ieee_inexact 0
		.amdhsa_exception_int_div_zero 0
	.end_amdhsa_kernel
	.section	.text._ZN7rocprim17ROCPRIM_400000_NS6detail17trampoline_kernelINS0_14default_configENS1_36segmented_radix_sort_config_selectorIblEEZNS1_25segmented_radix_sort_implIS3_Lb1EPKbPbPKlPlN2at6native12_GLOBAL__N_18offset_tEEE10hipError_tPvRmT1_PNSt15iterator_traitsISK_E10value_typeET2_T3_PNSL_ISQ_E10value_typeET4_jRbjT5_SW_jjP12ihipStream_tbEUlT_E1_NS1_11comp_targetILNS1_3genE5ELNS1_11target_archE942ELNS1_3gpuE9ELNS1_3repE0EEENS1_59segmented_radix_sort_warp_sort_small_config_static_selectorELNS0_4arch9wavefront6targetE1EEEvSK_,"axG",@progbits,_ZN7rocprim17ROCPRIM_400000_NS6detail17trampoline_kernelINS0_14default_configENS1_36segmented_radix_sort_config_selectorIblEEZNS1_25segmented_radix_sort_implIS3_Lb1EPKbPbPKlPlN2at6native12_GLOBAL__N_18offset_tEEE10hipError_tPvRmT1_PNSt15iterator_traitsISK_E10value_typeET2_T3_PNSL_ISQ_E10value_typeET4_jRbjT5_SW_jjP12ihipStream_tbEUlT_E1_NS1_11comp_targetILNS1_3genE5ELNS1_11target_archE942ELNS1_3gpuE9ELNS1_3repE0EEENS1_59segmented_radix_sort_warp_sort_small_config_static_selectorELNS0_4arch9wavefront6targetE1EEEvSK_,comdat
.Lfunc_end1553:
	.size	_ZN7rocprim17ROCPRIM_400000_NS6detail17trampoline_kernelINS0_14default_configENS1_36segmented_radix_sort_config_selectorIblEEZNS1_25segmented_radix_sort_implIS3_Lb1EPKbPbPKlPlN2at6native12_GLOBAL__N_18offset_tEEE10hipError_tPvRmT1_PNSt15iterator_traitsISK_E10value_typeET2_T3_PNSL_ISQ_E10value_typeET4_jRbjT5_SW_jjP12ihipStream_tbEUlT_E1_NS1_11comp_targetILNS1_3genE5ELNS1_11target_archE942ELNS1_3gpuE9ELNS1_3repE0EEENS1_59segmented_radix_sort_warp_sort_small_config_static_selectorELNS0_4arch9wavefront6targetE1EEEvSK_, .Lfunc_end1553-_ZN7rocprim17ROCPRIM_400000_NS6detail17trampoline_kernelINS0_14default_configENS1_36segmented_radix_sort_config_selectorIblEEZNS1_25segmented_radix_sort_implIS3_Lb1EPKbPbPKlPlN2at6native12_GLOBAL__N_18offset_tEEE10hipError_tPvRmT1_PNSt15iterator_traitsISK_E10value_typeET2_T3_PNSL_ISQ_E10value_typeET4_jRbjT5_SW_jjP12ihipStream_tbEUlT_E1_NS1_11comp_targetILNS1_3genE5ELNS1_11target_archE942ELNS1_3gpuE9ELNS1_3repE0EEENS1_59segmented_radix_sort_warp_sort_small_config_static_selectorELNS0_4arch9wavefront6targetE1EEEvSK_
                                        ; -- End function
	.set _ZN7rocprim17ROCPRIM_400000_NS6detail17trampoline_kernelINS0_14default_configENS1_36segmented_radix_sort_config_selectorIblEEZNS1_25segmented_radix_sort_implIS3_Lb1EPKbPbPKlPlN2at6native12_GLOBAL__N_18offset_tEEE10hipError_tPvRmT1_PNSt15iterator_traitsISK_E10value_typeET2_T3_PNSL_ISQ_E10value_typeET4_jRbjT5_SW_jjP12ihipStream_tbEUlT_E1_NS1_11comp_targetILNS1_3genE5ELNS1_11target_archE942ELNS1_3gpuE9ELNS1_3repE0EEENS1_59segmented_radix_sort_warp_sort_small_config_static_selectorELNS0_4arch9wavefront6targetE1EEEvSK_.num_vgpr, 0
	.set _ZN7rocprim17ROCPRIM_400000_NS6detail17trampoline_kernelINS0_14default_configENS1_36segmented_radix_sort_config_selectorIblEEZNS1_25segmented_radix_sort_implIS3_Lb1EPKbPbPKlPlN2at6native12_GLOBAL__N_18offset_tEEE10hipError_tPvRmT1_PNSt15iterator_traitsISK_E10value_typeET2_T3_PNSL_ISQ_E10value_typeET4_jRbjT5_SW_jjP12ihipStream_tbEUlT_E1_NS1_11comp_targetILNS1_3genE5ELNS1_11target_archE942ELNS1_3gpuE9ELNS1_3repE0EEENS1_59segmented_radix_sort_warp_sort_small_config_static_selectorELNS0_4arch9wavefront6targetE1EEEvSK_.num_agpr, 0
	.set _ZN7rocprim17ROCPRIM_400000_NS6detail17trampoline_kernelINS0_14default_configENS1_36segmented_radix_sort_config_selectorIblEEZNS1_25segmented_radix_sort_implIS3_Lb1EPKbPbPKlPlN2at6native12_GLOBAL__N_18offset_tEEE10hipError_tPvRmT1_PNSt15iterator_traitsISK_E10value_typeET2_T3_PNSL_ISQ_E10value_typeET4_jRbjT5_SW_jjP12ihipStream_tbEUlT_E1_NS1_11comp_targetILNS1_3genE5ELNS1_11target_archE942ELNS1_3gpuE9ELNS1_3repE0EEENS1_59segmented_radix_sort_warp_sort_small_config_static_selectorELNS0_4arch9wavefront6targetE1EEEvSK_.numbered_sgpr, 0
	.set _ZN7rocprim17ROCPRIM_400000_NS6detail17trampoline_kernelINS0_14default_configENS1_36segmented_radix_sort_config_selectorIblEEZNS1_25segmented_radix_sort_implIS3_Lb1EPKbPbPKlPlN2at6native12_GLOBAL__N_18offset_tEEE10hipError_tPvRmT1_PNSt15iterator_traitsISK_E10value_typeET2_T3_PNSL_ISQ_E10value_typeET4_jRbjT5_SW_jjP12ihipStream_tbEUlT_E1_NS1_11comp_targetILNS1_3genE5ELNS1_11target_archE942ELNS1_3gpuE9ELNS1_3repE0EEENS1_59segmented_radix_sort_warp_sort_small_config_static_selectorELNS0_4arch9wavefront6targetE1EEEvSK_.num_named_barrier, 0
	.set _ZN7rocprim17ROCPRIM_400000_NS6detail17trampoline_kernelINS0_14default_configENS1_36segmented_radix_sort_config_selectorIblEEZNS1_25segmented_radix_sort_implIS3_Lb1EPKbPbPKlPlN2at6native12_GLOBAL__N_18offset_tEEE10hipError_tPvRmT1_PNSt15iterator_traitsISK_E10value_typeET2_T3_PNSL_ISQ_E10value_typeET4_jRbjT5_SW_jjP12ihipStream_tbEUlT_E1_NS1_11comp_targetILNS1_3genE5ELNS1_11target_archE942ELNS1_3gpuE9ELNS1_3repE0EEENS1_59segmented_radix_sort_warp_sort_small_config_static_selectorELNS0_4arch9wavefront6targetE1EEEvSK_.private_seg_size, 0
	.set _ZN7rocprim17ROCPRIM_400000_NS6detail17trampoline_kernelINS0_14default_configENS1_36segmented_radix_sort_config_selectorIblEEZNS1_25segmented_radix_sort_implIS3_Lb1EPKbPbPKlPlN2at6native12_GLOBAL__N_18offset_tEEE10hipError_tPvRmT1_PNSt15iterator_traitsISK_E10value_typeET2_T3_PNSL_ISQ_E10value_typeET4_jRbjT5_SW_jjP12ihipStream_tbEUlT_E1_NS1_11comp_targetILNS1_3genE5ELNS1_11target_archE942ELNS1_3gpuE9ELNS1_3repE0EEENS1_59segmented_radix_sort_warp_sort_small_config_static_selectorELNS0_4arch9wavefront6targetE1EEEvSK_.uses_vcc, 0
	.set _ZN7rocprim17ROCPRIM_400000_NS6detail17trampoline_kernelINS0_14default_configENS1_36segmented_radix_sort_config_selectorIblEEZNS1_25segmented_radix_sort_implIS3_Lb1EPKbPbPKlPlN2at6native12_GLOBAL__N_18offset_tEEE10hipError_tPvRmT1_PNSt15iterator_traitsISK_E10value_typeET2_T3_PNSL_ISQ_E10value_typeET4_jRbjT5_SW_jjP12ihipStream_tbEUlT_E1_NS1_11comp_targetILNS1_3genE5ELNS1_11target_archE942ELNS1_3gpuE9ELNS1_3repE0EEENS1_59segmented_radix_sort_warp_sort_small_config_static_selectorELNS0_4arch9wavefront6targetE1EEEvSK_.uses_flat_scratch, 0
	.set _ZN7rocprim17ROCPRIM_400000_NS6detail17trampoline_kernelINS0_14default_configENS1_36segmented_radix_sort_config_selectorIblEEZNS1_25segmented_radix_sort_implIS3_Lb1EPKbPbPKlPlN2at6native12_GLOBAL__N_18offset_tEEE10hipError_tPvRmT1_PNSt15iterator_traitsISK_E10value_typeET2_T3_PNSL_ISQ_E10value_typeET4_jRbjT5_SW_jjP12ihipStream_tbEUlT_E1_NS1_11comp_targetILNS1_3genE5ELNS1_11target_archE942ELNS1_3gpuE9ELNS1_3repE0EEENS1_59segmented_radix_sort_warp_sort_small_config_static_selectorELNS0_4arch9wavefront6targetE1EEEvSK_.has_dyn_sized_stack, 0
	.set _ZN7rocprim17ROCPRIM_400000_NS6detail17trampoline_kernelINS0_14default_configENS1_36segmented_radix_sort_config_selectorIblEEZNS1_25segmented_radix_sort_implIS3_Lb1EPKbPbPKlPlN2at6native12_GLOBAL__N_18offset_tEEE10hipError_tPvRmT1_PNSt15iterator_traitsISK_E10value_typeET2_T3_PNSL_ISQ_E10value_typeET4_jRbjT5_SW_jjP12ihipStream_tbEUlT_E1_NS1_11comp_targetILNS1_3genE5ELNS1_11target_archE942ELNS1_3gpuE9ELNS1_3repE0EEENS1_59segmented_radix_sort_warp_sort_small_config_static_selectorELNS0_4arch9wavefront6targetE1EEEvSK_.has_recursion, 0
	.set _ZN7rocprim17ROCPRIM_400000_NS6detail17trampoline_kernelINS0_14default_configENS1_36segmented_radix_sort_config_selectorIblEEZNS1_25segmented_radix_sort_implIS3_Lb1EPKbPbPKlPlN2at6native12_GLOBAL__N_18offset_tEEE10hipError_tPvRmT1_PNSt15iterator_traitsISK_E10value_typeET2_T3_PNSL_ISQ_E10value_typeET4_jRbjT5_SW_jjP12ihipStream_tbEUlT_E1_NS1_11comp_targetILNS1_3genE5ELNS1_11target_archE942ELNS1_3gpuE9ELNS1_3repE0EEENS1_59segmented_radix_sort_warp_sort_small_config_static_selectorELNS0_4arch9wavefront6targetE1EEEvSK_.has_indirect_call, 0
	.section	.AMDGPU.csdata,"",@progbits
; Kernel info:
; codeLenInByte = 0
; TotalNumSgprs: 4
; NumVgprs: 0
; ScratchSize: 0
; MemoryBound: 0
; FloatMode: 240
; IeeeMode: 1
; LDSByteSize: 0 bytes/workgroup (compile time only)
; SGPRBlocks: 0
; VGPRBlocks: 0
; NumSGPRsForWavesPerEU: 4
; NumVGPRsForWavesPerEU: 1
; Occupancy: 10
; WaveLimiterHint : 0
; COMPUTE_PGM_RSRC2:SCRATCH_EN: 0
; COMPUTE_PGM_RSRC2:USER_SGPR: 6
; COMPUTE_PGM_RSRC2:TRAP_HANDLER: 0
; COMPUTE_PGM_RSRC2:TGID_X_EN: 1
; COMPUTE_PGM_RSRC2:TGID_Y_EN: 0
; COMPUTE_PGM_RSRC2:TGID_Z_EN: 0
; COMPUTE_PGM_RSRC2:TIDIG_COMP_CNT: 0
	.section	.text._ZN7rocprim17ROCPRIM_400000_NS6detail17trampoline_kernelINS0_14default_configENS1_36segmented_radix_sort_config_selectorIblEEZNS1_25segmented_radix_sort_implIS3_Lb1EPKbPbPKlPlN2at6native12_GLOBAL__N_18offset_tEEE10hipError_tPvRmT1_PNSt15iterator_traitsISK_E10value_typeET2_T3_PNSL_ISQ_E10value_typeET4_jRbjT5_SW_jjP12ihipStream_tbEUlT_E1_NS1_11comp_targetILNS1_3genE4ELNS1_11target_archE910ELNS1_3gpuE8ELNS1_3repE0EEENS1_59segmented_radix_sort_warp_sort_small_config_static_selectorELNS0_4arch9wavefront6targetE1EEEvSK_,"axG",@progbits,_ZN7rocprim17ROCPRIM_400000_NS6detail17trampoline_kernelINS0_14default_configENS1_36segmented_radix_sort_config_selectorIblEEZNS1_25segmented_radix_sort_implIS3_Lb1EPKbPbPKlPlN2at6native12_GLOBAL__N_18offset_tEEE10hipError_tPvRmT1_PNSt15iterator_traitsISK_E10value_typeET2_T3_PNSL_ISQ_E10value_typeET4_jRbjT5_SW_jjP12ihipStream_tbEUlT_E1_NS1_11comp_targetILNS1_3genE4ELNS1_11target_archE910ELNS1_3gpuE8ELNS1_3repE0EEENS1_59segmented_radix_sort_warp_sort_small_config_static_selectorELNS0_4arch9wavefront6targetE1EEEvSK_,comdat
	.globl	_ZN7rocprim17ROCPRIM_400000_NS6detail17trampoline_kernelINS0_14default_configENS1_36segmented_radix_sort_config_selectorIblEEZNS1_25segmented_radix_sort_implIS3_Lb1EPKbPbPKlPlN2at6native12_GLOBAL__N_18offset_tEEE10hipError_tPvRmT1_PNSt15iterator_traitsISK_E10value_typeET2_T3_PNSL_ISQ_E10value_typeET4_jRbjT5_SW_jjP12ihipStream_tbEUlT_E1_NS1_11comp_targetILNS1_3genE4ELNS1_11target_archE910ELNS1_3gpuE8ELNS1_3repE0EEENS1_59segmented_radix_sort_warp_sort_small_config_static_selectorELNS0_4arch9wavefront6targetE1EEEvSK_ ; -- Begin function _ZN7rocprim17ROCPRIM_400000_NS6detail17trampoline_kernelINS0_14default_configENS1_36segmented_radix_sort_config_selectorIblEEZNS1_25segmented_radix_sort_implIS3_Lb1EPKbPbPKlPlN2at6native12_GLOBAL__N_18offset_tEEE10hipError_tPvRmT1_PNSt15iterator_traitsISK_E10value_typeET2_T3_PNSL_ISQ_E10value_typeET4_jRbjT5_SW_jjP12ihipStream_tbEUlT_E1_NS1_11comp_targetILNS1_3genE4ELNS1_11target_archE910ELNS1_3gpuE8ELNS1_3repE0EEENS1_59segmented_radix_sort_warp_sort_small_config_static_selectorELNS0_4arch9wavefront6targetE1EEEvSK_
	.p2align	8
	.type	_ZN7rocprim17ROCPRIM_400000_NS6detail17trampoline_kernelINS0_14default_configENS1_36segmented_radix_sort_config_selectorIblEEZNS1_25segmented_radix_sort_implIS3_Lb1EPKbPbPKlPlN2at6native12_GLOBAL__N_18offset_tEEE10hipError_tPvRmT1_PNSt15iterator_traitsISK_E10value_typeET2_T3_PNSL_ISQ_E10value_typeET4_jRbjT5_SW_jjP12ihipStream_tbEUlT_E1_NS1_11comp_targetILNS1_3genE4ELNS1_11target_archE910ELNS1_3gpuE8ELNS1_3repE0EEENS1_59segmented_radix_sort_warp_sort_small_config_static_selectorELNS0_4arch9wavefront6targetE1EEEvSK_,@function
_ZN7rocprim17ROCPRIM_400000_NS6detail17trampoline_kernelINS0_14default_configENS1_36segmented_radix_sort_config_selectorIblEEZNS1_25segmented_radix_sort_implIS3_Lb1EPKbPbPKlPlN2at6native12_GLOBAL__N_18offset_tEEE10hipError_tPvRmT1_PNSt15iterator_traitsISK_E10value_typeET2_T3_PNSL_ISQ_E10value_typeET4_jRbjT5_SW_jjP12ihipStream_tbEUlT_E1_NS1_11comp_targetILNS1_3genE4ELNS1_11target_archE910ELNS1_3gpuE8ELNS1_3repE0EEENS1_59segmented_radix_sort_warp_sort_small_config_static_selectorELNS0_4arch9wavefront6targetE1EEEvSK_: ; @_ZN7rocprim17ROCPRIM_400000_NS6detail17trampoline_kernelINS0_14default_configENS1_36segmented_radix_sort_config_selectorIblEEZNS1_25segmented_radix_sort_implIS3_Lb1EPKbPbPKlPlN2at6native12_GLOBAL__N_18offset_tEEE10hipError_tPvRmT1_PNSt15iterator_traitsISK_E10value_typeET2_T3_PNSL_ISQ_E10value_typeET4_jRbjT5_SW_jjP12ihipStream_tbEUlT_E1_NS1_11comp_targetILNS1_3genE4ELNS1_11target_archE910ELNS1_3gpuE8ELNS1_3repE0EEENS1_59segmented_radix_sort_warp_sort_small_config_static_selectorELNS0_4arch9wavefront6targetE1EEEvSK_
; %bb.0:
	.section	.rodata,"a",@progbits
	.p2align	6, 0x0
	.amdhsa_kernel _ZN7rocprim17ROCPRIM_400000_NS6detail17trampoline_kernelINS0_14default_configENS1_36segmented_radix_sort_config_selectorIblEEZNS1_25segmented_radix_sort_implIS3_Lb1EPKbPbPKlPlN2at6native12_GLOBAL__N_18offset_tEEE10hipError_tPvRmT1_PNSt15iterator_traitsISK_E10value_typeET2_T3_PNSL_ISQ_E10value_typeET4_jRbjT5_SW_jjP12ihipStream_tbEUlT_E1_NS1_11comp_targetILNS1_3genE4ELNS1_11target_archE910ELNS1_3gpuE8ELNS1_3repE0EEENS1_59segmented_radix_sort_warp_sort_small_config_static_selectorELNS0_4arch9wavefront6targetE1EEEvSK_
		.amdhsa_group_segment_fixed_size 0
		.amdhsa_private_segment_fixed_size 0
		.amdhsa_kernarg_size 88
		.amdhsa_user_sgpr_count 6
		.amdhsa_user_sgpr_private_segment_buffer 1
		.amdhsa_user_sgpr_dispatch_ptr 0
		.amdhsa_user_sgpr_queue_ptr 0
		.amdhsa_user_sgpr_kernarg_segment_ptr 1
		.amdhsa_user_sgpr_dispatch_id 0
		.amdhsa_user_sgpr_flat_scratch_init 0
		.amdhsa_user_sgpr_private_segment_size 0
		.amdhsa_uses_dynamic_stack 0
		.amdhsa_system_sgpr_private_segment_wavefront_offset 0
		.amdhsa_system_sgpr_workgroup_id_x 1
		.amdhsa_system_sgpr_workgroup_id_y 0
		.amdhsa_system_sgpr_workgroup_id_z 0
		.amdhsa_system_sgpr_workgroup_info 0
		.amdhsa_system_vgpr_workitem_id 0
		.amdhsa_next_free_vgpr 1
		.amdhsa_next_free_sgpr 0
		.amdhsa_reserve_vcc 0
		.amdhsa_reserve_flat_scratch 0
		.amdhsa_float_round_mode_32 0
		.amdhsa_float_round_mode_16_64 0
		.amdhsa_float_denorm_mode_32 3
		.amdhsa_float_denorm_mode_16_64 3
		.amdhsa_dx10_clamp 1
		.amdhsa_ieee_mode 1
		.amdhsa_fp16_overflow 0
		.amdhsa_exception_fp_ieee_invalid_op 0
		.amdhsa_exception_fp_denorm_src 0
		.amdhsa_exception_fp_ieee_div_zero 0
		.amdhsa_exception_fp_ieee_overflow 0
		.amdhsa_exception_fp_ieee_underflow 0
		.amdhsa_exception_fp_ieee_inexact 0
		.amdhsa_exception_int_div_zero 0
	.end_amdhsa_kernel
	.section	.text._ZN7rocprim17ROCPRIM_400000_NS6detail17trampoline_kernelINS0_14default_configENS1_36segmented_radix_sort_config_selectorIblEEZNS1_25segmented_radix_sort_implIS3_Lb1EPKbPbPKlPlN2at6native12_GLOBAL__N_18offset_tEEE10hipError_tPvRmT1_PNSt15iterator_traitsISK_E10value_typeET2_T3_PNSL_ISQ_E10value_typeET4_jRbjT5_SW_jjP12ihipStream_tbEUlT_E1_NS1_11comp_targetILNS1_3genE4ELNS1_11target_archE910ELNS1_3gpuE8ELNS1_3repE0EEENS1_59segmented_radix_sort_warp_sort_small_config_static_selectorELNS0_4arch9wavefront6targetE1EEEvSK_,"axG",@progbits,_ZN7rocprim17ROCPRIM_400000_NS6detail17trampoline_kernelINS0_14default_configENS1_36segmented_radix_sort_config_selectorIblEEZNS1_25segmented_radix_sort_implIS3_Lb1EPKbPbPKlPlN2at6native12_GLOBAL__N_18offset_tEEE10hipError_tPvRmT1_PNSt15iterator_traitsISK_E10value_typeET2_T3_PNSL_ISQ_E10value_typeET4_jRbjT5_SW_jjP12ihipStream_tbEUlT_E1_NS1_11comp_targetILNS1_3genE4ELNS1_11target_archE910ELNS1_3gpuE8ELNS1_3repE0EEENS1_59segmented_radix_sort_warp_sort_small_config_static_selectorELNS0_4arch9wavefront6targetE1EEEvSK_,comdat
.Lfunc_end1554:
	.size	_ZN7rocprim17ROCPRIM_400000_NS6detail17trampoline_kernelINS0_14default_configENS1_36segmented_radix_sort_config_selectorIblEEZNS1_25segmented_radix_sort_implIS3_Lb1EPKbPbPKlPlN2at6native12_GLOBAL__N_18offset_tEEE10hipError_tPvRmT1_PNSt15iterator_traitsISK_E10value_typeET2_T3_PNSL_ISQ_E10value_typeET4_jRbjT5_SW_jjP12ihipStream_tbEUlT_E1_NS1_11comp_targetILNS1_3genE4ELNS1_11target_archE910ELNS1_3gpuE8ELNS1_3repE0EEENS1_59segmented_radix_sort_warp_sort_small_config_static_selectorELNS0_4arch9wavefront6targetE1EEEvSK_, .Lfunc_end1554-_ZN7rocprim17ROCPRIM_400000_NS6detail17trampoline_kernelINS0_14default_configENS1_36segmented_radix_sort_config_selectorIblEEZNS1_25segmented_radix_sort_implIS3_Lb1EPKbPbPKlPlN2at6native12_GLOBAL__N_18offset_tEEE10hipError_tPvRmT1_PNSt15iterator_traitsISK_E10value_typeET2_T3_PNSL_ISQ_E10value_typeET4_jRbjT5_SW_jjP12ihipStream_tbEUlT_E1_NS1_11comp_targetILNS1_3genE4ELNS1_11target_archE910ELNS1_3gpuE8ELNS1_3repE0EEENS1_59segmented_radix_sort_warp_sort_small_config_static_selectorELNS0_4arch9wavefront6targetE1EEEvSK_
                                        ; -- End function
	.set _ZN7rocprim17ROCPRIM_400000_NS6detail17trampoline_kernelINS0_14default_configENS1_36segmented_radix_sort_config_selectorIblEEZNS1_25segmented_radix_sort_implIS3_Lb1EPKbPbPKlPlN2at6native12_GLOBAL__N_18offset_tEEE10hipError_tPvRmT1_PNSt15iterator_traitsISK_E10value_typeET2_T3_PNSL_ISQ_E10value_typeET4_jRbjT5_SW_jjP12ihipStream_tbEUlT_E1_NS1_11comp_targetILNS1_3genE4ELNS1_11target_archE910ELNS1_3gpuE8ELNS1_3repE0EEENS1_59segmented_radix_sort_warp_sort_small_config_static_selectorELNS0_4arch9wavefront6targetE1EEEvSK_.num_vgpr, 0
	.set _ZN7rocprim17ROCPRIM_400000_NS6detail17trampoline_kernelINS0_14default_configENS1_36segmented_radix_sort_config_selectorIblEEZNS1_25segmented_radix_sort_implIS3_Lb1EPKbPbPKlPlN2at6native12_GLOBAL__N_18offset_tEEE10hipError_tPvRmT1_PNSt15iterator_traitsISK_E10value_typeET2_T3_PNSL_ISQ_E10value_typeET4_jRbjT5_SW_jjP12ihipStream_tbEUlT_E1_NS1_11comp_targetILNS1_3genE4ELNS1_11target_archE910ELNS1_3gpuE8ELNS1_3repE0EEENS1_59segmented_radix_sort_warp_sort_small_config_static_selectorELNS0_4arch9wavefront6targetE1EEEvSK_.num_agpr, 0
	.set _ZN7rocprim17ROCPRIM_400000_NS6detail17trampoline_kernelINS0_14default_configENS1_36segmented_radix_sort_config_selectorIblEEZNS1_25segmented_radix_sort_implIS3_Lb1EPKbPbPKlPlN2at6native12_GLOBAL__N_18offset_tEEE10hipError_tPvRmT1_PNSt15iterator_traitsISK_E10value_typeET2_T3_PNSL_ISQ_E10value_typeET4_jRbjT5_SW_jjP12ihipStream_tbEUlT_E1_NS1_11comp_targetILNS1_3genE4ELNS1_11target_archE910ELNS1_3gpuE8ELNS1_3repE0EEENS1_59segmented_radix_sort_warp_sort_small_config_static_selectorELNS0_4arch9wavefront6targetE1EEEvSK_.numbered_sgpr, 0
	.set _ZN7rocprim17ROCPRIM_400000_NS6detail17trampoline_kernelINS0_14default_configENS1_36segmented_radix_sort_config_selectorIblEEZNS1_25segmented_radix_sort_implIS3_Lb1EPKbPbPKlPlN2at6native12_GLOBAL__N_18offset_tEEE10hipError_tPvRmT1_PNSt15iterator_traitsISK_E10value_typeET2_T3_PNSL_ISQ_E10value_typeET4_jRbjT5_SW_jjP12ihipStream_tbEUlT_E1_NS1_11comp_targetILNS1_3genE4ELNS1_11target_archE910ELNS1_3gpuE8ELNS1_3repE0EEENS1_59segmented_radix_sort_warp_sort_small_config_static_selectorELNS0_4arch9wavefront6targetE1EEEvSK_.num_named_barrier, 0
	.set _ZN7rocprim17ROCPRIM_400000_NS6detail17trampoline_kernelINS0_14default_configENS1_36segmented_radix_sort_config_selectorIblEEZNS1_25segmented_radix_sort_implIS3_Lb1EPKbPbPKlPlN2at6native12_GLOBAL__N_18offset_tEEE10hipError_tPvRmT1_PNSt15iterator_traitsISK_E10value_typeET2_T3_PNSL_ISQ_E10value_typeET4_jRbjT5_SW_jjP12ihipStream_tbEUlT_E1_NS1_11comp_targetILNS1_3genE4ELNS1_11target_archE910ELNS1_3gpuE8ELNS1_3repE0EEENS1_59segmented_radix_sort_warp_sort_small_config_static_selectorELNS0_4arch9wavefront6targetE1EEEvSK_.private_seg_size, 0
	.set _ZN7rocprim17ROCPRIM_400000_NS6detail17trampoline_kernelINS0_14default_configENS1_36segmented_radix_sort_config_selectorIblEEZNS1_25segmented_radix_sort_implIS3_Lb1EPKbPbPKlPlN2at6native12_GLOBAL__N_18offset_tEEE10hipError_tPvRmT1_PNSt15iterator_traitsISK_E10value_typeET2_T3_PNSL_ISQ_E10value_typeET4_jRbjT5_SW_jjP12ihipStream_tbEUlT_E1_NS1_11comp_targetILNS1_3genE4ELNS1_11target_archE910ELNS1_3gpuE8ELNS1_3repE0EEENS1_59segmented_radix_sort_warp_sort_small_config_static_selectorELNS0_4arch9wavefront6targetE1EEEvSK_.uses_vcc, 0
	.set _ZN7rocprim17ROCPRIM_400000_NS6detail17trampoline_kernelINS0_14default_configENS1_36segmented_radix_sort_config_selectorIblEEZNS1_25segmented_radix_sort_implIS3_Lb1EPKbPbPKlPlN2at6native12_GLOBAL__N_18offset_tEEE10hipError_tPvRmT1_PNSt15iterator_traitsISK_E10value_typeET2_T3_PNSL_ISQ_E10value_typeET4_jRbjT5_SW_jjP12ihipStream_tbEUlT_E1_NS1_11comp_targetILNS1_3genE4ELNS1_11target_archE910ELNS1_3gpuE8ELNS1_3repE0EEENS1_59segmented_radix_sort_warp_sort_small_config_static_selectorELNS0_4arch9wavefront6targetE1EEEvSK_.uses_flat_scratch, 0
	.set _ZN7rocprim17ROCPRIM_400000_NS6detail17trampoline_kernelINS0_14default_configENS1_36segmented_radix_sort_config_selectorIblEEZNS1_25segmented_radix_sort_implIS3_Lb1EPKbPbPKlPlN2at6native12_GLOBAL__N_18offset_tEEE10hipError_tPvRmT1_PNSt15iterator_traitsISK_E10value_typeET2_T3_PNSL_ISQ_E10value_typeET4_jRbjT5_SW_jjP12ihipStream_tbEUlT_E1_NS1_11comp_targetILNS1_3genE4ELNS1_11target_archE910ELNS1_3gpuE8ELNS1_3repE0EEENS1_59segmented_radix_sort_warp_sort_small_config_static_selectorELNS0_4arch9wavefront6targetE1EEEvSK_.has_dyn_sized_stack, 0
	.set _ZN7rocprim17ROCPRIM_400000_NS6detail17trampoline_kernelINS0_14default_configENS1_36segmented_radix_sort_config_selectorIblEEZNS1_25segmented_radix_sort_implIS3_Lb1EPKbPbPKlPlN2at6native12_GLOBAL__N_18offset_tEEE10hipError_tPvRmT1_PNSt15iterator_traitsISK_E10value_typeET2_T3_PNSL_ISQ_E10value_typeET4_jRbjT5_SW_jjP12ihipStream_tbEUlT_E1_NS1_11comp_targetILNS1_3genE4ELNS1_11target_archE910ELNS1_3gpuE8ELNS1_3repE0EEENS1_59segmented_radix_sort_warp_sort_small_config_static_selectorELNS0_4arch9wavefront6targetE1EEEvSK_.has_recursion, 0
	.set _ZN7rocprim17ROCPRIM_400000_NS6detail17trampoline_kernelINS0_14default_configENS1_36segmented_radix_sort_config_selectorIblEEZNS1_25segmented_radix_sort_implIS3_Lb1EPKbPbPKlPlN2at6native12_GLOBAL__N_18offset_tEEE10hipError_tPvRmT1_PNSt15iterator_traitsISK_E10value_typeET2_T3_PNSL_ISQ_E10value_typeET4_jRbjT5_SW_jjP12ihipStream_tbEUlT_E1_NS1_11comp_targetILNS1_3genE4ELNS1_11target_archE910ELNS1_3gpuE8ELNS1_3repE0EEENS1_59segmented_radix_sort_warp_sort_small_config_static_selectorELNS0_4arch9wavefront6targetE1EEEvSK_.has_indirect_call, 0
	.section	.AMDGPU.csdata,"",@progbits
; Kernel info:
; codeLenInByte = 0
; TotalNumSgprs: 4
; NumVgprs: 0
; ScratchSize: 0
; MemoryBound: 0
; FloatMode: 240
; IeeeMode: 1
; LDSByteSize: 0 bytes/workgroup (compile time only)
; SGPRBlocks: 0
; VGPRBlocks: 0
; NumSGPRsForWavesPerEU: 4
; NumVGPRsForWavesPerEU: 1
; Occupancy: 10
; WaveLimiterHint : 0
; COMPUTE_PGM_RSRC2:SCRATCH_EN: 0
; COMPUTE_PGM_RSRC2:USER_SGPR: 6
; COMPUTE_PGM_RSRC2:TRAP_HANDLER: 0
; COMPUTE_PGM_RSRC2:TGID_X_EN: 1
; COMPUTE_PGM_RSRC2:TGID_Y_EN: 0
; COMPUTE_PGM_RSRC2:TGID_Z_EN: 0
; COMPUTE_PGM_RSRC2:TIDIG_COMP_CNT: 0
	.section	.text._ZN7rocprim17ROCPRIM_400000_NS6detail17trampoline_kernelINS0_14default_configENS1_36segmented_radix_sort_config_selectorIblEEZNS1_25segmented_radix_sort_implIS3_Lb1EPKbPbPKlPlN2at6native12_GLOBAL__N_18offset_tEEE10hipError_tPvRmT1_PNSt15iterator_traitsISK_E10value_typeET2_T3_PNSL_ISQ_E10value_typeET4_jRbjT5_SW_jjP12ihipStream_tbEUlT_E1_NS1_11comp_targetILNS1_3genE3ELNS1_11target_archE908ELNS1_3gpuE7ELNS1_3repE0EEENS1_59segmented_radix_sort_warp_sort_small_config_static_selectorELNS0_4arch9wavefront6targetE1EEEvSK_,"axG",@progbits,_ZN7rocprim17ROCPRIM_400000_NS6detail17trampoline_kernelINS0_14default_configENS1_36segmented_radix_sort_config_selectorIblEEZNS1_25segmented_radix_sort_implIS3_Lb1EPKbPbPKlPlN2at6native12_GLOBAL__N_18offset_tEEE10hipError_tPvRmT1_PNSt15iterator_traitsISK_E10value_typeET2_T3_PNSL_ISQ_E10value_typeET4_jRbjT5_SW_jjP12ihipStream_tbEUlT_E1_NS1_11comp_targetILNS1_3genE3ELNS1_11target_archE908ELNS1_3gpuE7ELNS1_3repE0EEENS1_59segmented_radix_sort_warp_sort_small_config_static_selectorELNS0_4arch9wavefront6targetE1EEEvSK_,comdat
	.globl	_ZN7rocprim17ROCPRIM_400000_NS6detail17trampoline_kernelINS0_14default_configENS1_36segmented_radix_sort_config_selectorIblEEZNS1_25segmented_radix_sort_implIS3_Lb1EPKbPbPKlPlN2at6native12_GLOBAL__N_18offset_tEEE10hipError_tPvRmT1_PNSt15iterator_traitsISK_E10value_typeET2_T3_PNSL_ISQ_E10value_typeET4_jRbjT5_SW_jjP12ihipStream_tbEUlT_E1_NS1_11comp_targetILNS1_3genE3ELNS1_11target_archE908ELNS1_3gpuE7ELNS1_3repE0EEENS1_59segmented_radix_sort_warp_sort_small_config_static_selectorELNS0_4arch9wavefront6targetE1EEEvSK_ ; -- Begin function _ZN7rocprim17ROCPRIM_400000_NS6detail17trampoline_kernelINS0_14default_configENS1_36segmented_radix_sort_config_selectorIblEEZNS1_25segmented_radix_sort_implIS3_Lb1EPKbPbPKlPlN2at6native12_GLOBAL__N_18offset_tEEE10hipError_tPvRmT1_PNSt15iterator_traitsISK_E10value_typeET2_T3_PNSL_ISQ_E10value_typeET4_jRbjT5_SW_jjP12ihipStream_tbEUlT_E1_NS1_11comp_targetILNS1_3genE3ELNS1_11target_archE908ELNS1_3gpuE7ELNS1_3repE0EEENS1_59segmented_radix_sort_warp_sort_small_config_static_selectorELNS0_4arch9wavefront6targetE1EEEvSK_
	.p2align	8
	.type	_ZN7rocprim17ROCPRIM_400000_NS6detail17trampoline_kernelINS0_14default_configENS1_36segmented_radix_sort_config_selectorIblEEZNS1_25segmented_radix_sort_implIS3_Lb1EPKbPbPKlPlN2at6native12_GLOBAL__N_18offset_tEEE10hipError_tPvRmT1_PNSt15iterator_traitsISK_E10value_typeET2_T3_PNSL_ISQ_E10value_typeET4_jRbjT5_SW_jjP12ihipStream_tbEUlT_E1_NS1_11comp_targetILNS1_3genE3ELNS1_11target_archE908ELNS1_3gpuE7ELNS1_3repE0EEENS1_59segmented_radix_sort_warp_sort_small_config_static_selectorELNS0_4arch9wavefront6targetE1EEEvSK_,@function
_ZN7rocprim17ROCPRIM_400000_NS6detail17trampoline_kernelINS0_14default_configENS1_36segmented_radix_sort_config_selectorIblEEZNS1_25segmented_radix_sort_implIS3_Lb1EPKbPbPKlPlN2at6native12_GLOBAL__N_18offset_tEEE10hipError_tPvRmT1_PNSt15iterator_traitsISK_E10value_typeET2_T3_PNSL_ISQ_E10value_typeET4_jRbjT5_SW_jjP12ihipStream_tbEUlT_E1_NS1_11comp_targetILNS1_3genE3ELNS1_11target_archE908ELNS1_3gpuE7ELNS1_3repE0EEENS1_59segmented_radix_sort_warp_sort_small_config_static_selectorELNS0_4arch9wavefront6targetE1EEEvSK_: ; @_ZN7rocprim17ROCPRIM_400000_NS6detail17trampoline_kernelINS0_14default_configENS1_36segmented_radix_sort_config_selectorIblEEZNS1_25segmented_radix_sort_implIS3_Lb1EPKbPbPKlPlN2at6native12_GLOBAL__N_18offset_tEEE10hipError_tPvRmT1_PNSt15iterator_traitsISK_E10value_typeET2_T3_PNSL_ISQ_E10value_typeET4_jRbjT5_SW_jjP12ihipStream_tbEUlT_E1_NS1_11comp_targetILNS1_3genE3ELNS1_11target_archE908ELNS1_3gpuE7ELNS1_3repE0EEENS1_59segmented_radix_sort_warp_sort_small_config_static_selectorELNS0_4arch9wavefront6targetE1EEEvSK_
; %bb.0:
	.section	.rodata,"a",@progbits
	.p2align	6, 0x0
	.amdhsa_kernel _ZN7rocprim17ROCPRIM_400000_NS6detail17trampoline_kernelINS0_14default_configENS1_36segmented_radix_sort_config_selectorIblEEZNS1_25segmented_radix_sort_implIS3_Lb1EPKbPbPKlPlN2at6native12_GLOBAL__N_18offset_tEEE10hipError_tPvRmT1_PNSt15iterator_traitsISK_E10value_typeET2_T3_PNSL_ISQ_E10value_typeET4_jRbjT5_SW_jjP12ihipStream_tbEUlT_E1_NS1_11comp_targetILNS1_3genE3ELNS1_11target_archE908ELNS1_3gpuE7ELNS1_3repE0EEENS1_59segmented_radix_sort_warp_sort_small_config_static_selectorELNS0_4arch9wavefront6targetE1EEEvSK_
		.amdhsa_group_segment_fixed_size 0
		.amdhsa_private_segment_fixed_size 0
		.amdhsa_kernarg_size 88
		.amdhsa_user_sgpr_count 6
		.amdhsa_user_sgpr_private_segment_buffer 1
		.amdhsa_user_sgpr_dispatch_ptr 0
		.amdhsa_user_sgpr_queue_ptr 0
		.amdhsa_user_sgpr_kernarg_segment_ptr 1
		.amdhsa_user_sgpr_dispatch_id 0
		.amdhsa_user_sgpr_flat_scratch_init 0
		.amdhsa_user_sgpr_private_segment_size 0
		.amdhsa_uses_dynamic_stack 0
		.amdhsa_system_sgpr_private_segment_wavefront_offset 0
		.amdhsa_system_sgpr_workgroup_id_x 1
		.amdhsa_system_sgpr_workgroup_id_y 0
		.amdhsa_system_sgpr_workgroup_id_z 0
		.amdhsa_system_sgpr_workgroup_info 0
		.amdhsa_system_vgpr_workitem_id 0
		.amdhsa_next_free_vgpr 1
		.amdhsa_next_free_sgpr 0
		.amdhsa_reserve_vcc 0
		.amdhsa_reserve_flat_scratch 0
		.amdhsa_float_round_mode_32 0
		.amdhsa_float_round_mode_16_64 0
		.amdhsa_float_denorm_mode_32 3
		.amdhsa_float_denorm_mode_16_64 3
		.amdhsa_dx10_clamp 1
		.amdhsa_ieee_mode 1
		.amdhsa_fp16_overflow 0
		.amdhsa_exception_fp_ieee_invalid_op 0
		.amdhsa_exception_fp_denorm_src 0
		.amdhsa_exception_fp_ieee_div_zero 0
		.amdhsa_exception_fp_ieee_overflow 0
		.amdhsa_exception_fp_ieee_underflow 0
		.amdhsa_exception_fp_ieee_inexact 0
		.amdhsa_exception_int_div_zero 0
	.end_amdhsa_kernel
	.section	.text._ZN7rocprim17ROCPRIM_400000_NS6detail17trampoline_kernelINS0_14default_configENS1_36segmented_radix_sort_config_selectorIblEEZNS1_25segmented_radix_sort_implIS3_Lb1EPKbPbPKlPlN2at6native12_GLOBAL__N_18offset_tEEE10hipError_tPvRmT1_PNSt15iterator_traitsISK_E10value_typeET2_T3_PNSL_ISQ_E10value_typeET4_jRbjT5_SW_jjP12ihipStream_tbEUlT_E1_NS1_11comp_targetILNS1_3genE3ELNS1_11target_archE908ELNS1_3gpuE7ELNS1_3repE0EEENS1_59segmented_radix_sort_warp_sort_small_config_static_selectorELNS0_4arch9wavefront6targetE1EEEvSK_,"axG",@progbits,_ZN7rocprim17ROCPRIM_400000_NS6detail17trampoline_kernelINS0_14default_configENS1_36segmented_radix_sort_config_selectorIblEEZNS1_25segmented_radix_sort_implIS3_Lb1EPKbPbPKlPlN2at6native12_GLOBAL__N_18offset_tEEE10hipError_tPvRmT1_PNSt15iterator_traitsISK_E10value_typeET2_T3_PNSL_ISQ_E10value_typeET4_jRbjT5_SW_jjP12ihipStream_tbEUlT_E1_NS1_11comp_targetILNS1_3genE3ELNS1_11target_archE908ELNS1_3gpuE7ELNS1_3repE0EEENS1_59segmented_radix_sort_warp_sort_small_config_static_selectorELNS0_4arch9wavefront6targetE1EEEvSK_,comdat
.Lfunc_end1555:
	.size	_ZN7rocprim17ROCPRIM_400000_NS6detail17trampoline_kernelINS0_14default_configENS1_36segmented_radix_sort_config_selectorIblEEZNS1_25segmented_radix_sort_implIS3_Lb1EPKbPbPKlPlN2at6native12_GLOBAL__N_18offset_tEEE10hipError_tPvRmT1_PNSt15iterator_traitsISK_E10value_typeET2_T3_PNSL_ISQ_E10value_typeET4_jRbjT5_SW_jjP12ihipStream_tbEUlT_E1_NS1_11comp_targetILNS1_3genE3ELNS1_11target_archE908ELNS1_3gpuE7ELNS1_3repE0EEENS1_59segmented_radix_sort_warp_sort_small_config_static_selectorELNS0_4arch9wavefront6targetE1EEEvSK_, .Lfunc_end1555-_ZN7rocprim17ROCPRIM_400000_NS6detail17trampoline_kernelINS0_14default_configENS1_36segmented_radix_sort_config_selectorIblEEZNS1_25segmented_radix_sort_implIS3_Lb1EPKbPbPKlPlN2at6native12_GLOBAL__N_18offset_tEEE10hipError_tPvRmT1_PNSt15iterator_traitsISK_E10value_typeET2_T3_PNSL_ISQ_E10value_typeET4_jRbjT5_SW_jjP12ihipStream_tbEUlT_E1_NS1_11comp_targetILNS1_3genE3ELNS1_11target_archE908ELNS1_3gpuE7ELNS1_3repE0EEENS1_59segmented_radix_sort_warp_sort_small_config_static_selectorELNS0_4arch9wavefront6targetE1EEEvSK_
                                        ; -- End function
	.set _ZN7rocprim17ROCPRIM_400000_NS6detail17trampoline_kernelINS0_14default_configENS1_36segmented_radix_sort_config_selectorIblEEZNS1_25segmented_radix_sort_implIS3_Lb1EPKbPbPKlPlN2at6native12_GLOBAL__N_18offset_tEEE10hipError_tPvRmT1_PNSt15iterator_traitsISK_E10value_typeET2_T3_PNSL_ISQ_E10value_typeET4_jRbjT5_SW_jjP12ihipStream_tbEUlT_E1_NS1_11comp_targetILNS1_3genE3ELNS1_11target_archE908ELNS1_3gpuE7ELNS1_3repE0EEENS1_59segmented_radix_sort_warp_sort_small_config_static_selectorELNS0_4arch9wavefront6targetE1EEEvSK_.num_vgpr, 0
	.set _ZN7rocprim17ROCPRIM_400000_NS6detail17trampoline_kernelINS0_14default_configENS1_36segmented_radix_sort_config_selectorIblEEZNS1_25segmented_radix_sort_implIS3_Lb1EPKbPbPKlPlN2at6native12_GLOBAL__N_18offset_tEEE10hipError_tPvRmT1_PNSt15iterator_traitsISK_E10value_typeET2_T3_PNSL_ISQ_E10value_typeET4_jRbjT5_SW_jjP12ihipStream_tbEUlT_E1_NS1_11comp_targetILNS1_3genE3ELNS1_11target_archE908ELNS1_3gpuE7ELNS1_3repE0EEENS1_59segmented_radix_sort_warp_sort_small_config_static_selectorELNS0_4arch9wavefront6targetE1EEEvSK_.num_agpr, 0
	.set _ZN7rocprim17ROCPRIM_400000_NS6detail17trampoline_kernelINS0_14default_configENS1_36segmented_radix_sort_config_selectorIblEEZNS1_25segmented_radix_sort_implIS3_Lb1EPKbPbPKlPlN2at6native12_GLOBAL__N_18offset_tEEE10hipError_tPvRmT1_PNSt15iterator_traitsISK_E10value_typeET2_T3_PNSL_ISQ_E10value_typeET4_jRbjT5_SW_jjP12ihipStream_tbEUlT_E1_NS1_11comp_targetILNS1_3genE3ELNS1_11target_archE908ELNS1_3gpuE7ELNS1_3repE0EEENS1_59segmented_radix_sort_warp_sort_small_config_static_selectorELNS0_4arch9wavefront6targetE1EEEvSK_.numbered_sgpr, 0
	.set _ZN7rocprim17ROCPRIM_400000_NS6detail17trampoline_kernelINS0_14default_configENS1_36segmented_radix_sort_config_selectorIblEEZNS1_25segmented_radix_sort_implIS3_Lb1EPKbPbPKlPlN2at6native12_GLOBAL__N_18offset_tEEE10hipError_tPvRmT1_PNSt15iterator_traitsISK_E10value_typeET2_T3_PNSL_ISQ_E10value_typeET4_jRbjT5_SW_jjP12ihipStream_tbEUlT_E1_NS1_11comp_targetILNS1_3genE3ELNS1_11target_archE908ELNS1_3gpuE7ELNS1_3repE0EEENS1_59segmented_radix_sort_warp_sort_small_config_static_selectorELNS0_4arch9wavefront6targetE1EEEvSK_.num_named_barrier, 0
	.set _ZN7rocprim17ROCPRIM_400000_NS6detail17trampoline_kernelINS0_14default_configENS1_36segmented_radix_sort_config_selectorIblEEZNS1_25segmented_radix_sort_implIS3_Lb1EPKbPbPKlPlN2at6native12_GLOBAL__N_18offset_tEEE10hipError_tPvRmT1_PNSt15iterator_traitsISK_E10value_typeET2_T3_PNSL_ISQ_E10value_typeET4_jRbjT5_SW_jjP12ihipStream_tbEUlT_E1_NS1_11comp_targetILNS1_3genE3ELNS1_11target_archE908ELNS1_3gpuE7ELNS1_3repE0EEENS1_59segmented_radix_sort_warp_sort_small_config_static_selectorELNS0_4arch9wavefront6targetE1EEEvSK_.private_seg_size, 0
	.set _ZN7rocprim17ROCPRIM_400000_NS6detail17trampoline_kernelINS0_14default_configENS1_36segmented_radix_sort_config_selectorIblEEZNS1_25segmented_radix_sort_implIS3_Lb1EPKbPbPKlPlN2at6native12_GLOBAL__N_18offset_tEEE10hipError_tPvRmT1_PNSt15iterator_traitsISK_E10value_typeET2_T3_PNSL_ISQ_E10value_typeET4_jRbjT5_SW_jjP12ihipStream_tbEUlT_E1_NS1_11comp_targetILNS1_3genE3ELNS1_11target_archE908ELNS1_3gpuE7ELNS1_3repE0EEENS1_59segmented_radix_sort_warp_sort_small_config_static_selectorELNS0_4arch9wavefront6targetE1EEEvSK_.uses_vcc, 0
	.set _ZN7rocprim17ROCPRIM_400000_NS6detail17trampoline_kernelINS0_14default_configENS1_36segmented_radix_sort_config_selectorIblEEZNS1_25segmented_radix_sort_implIS3_Lb1EPKbPbPKlPlN2at6native12_GLOBAL__N_18offset_tEEE10hipError_tPvRmT1_PNSt15iterator_traitsISK_E10value_typeET2_T3_PNSL_ISQ_E10value_typeET4_jRbjT5_SW_jjP12ihipStream_tbEUlT_E1_NS1_11comp_targetILNS1_3genE3ELNS1_11target_archE908ELNS1_3gpuE7ELNS1_3repE0EEENS1_59segmented_radix_sort_warp_sort_small_config_static_selectorELNS0_4arch9wavefront6targetE1EEEvSK_.uses_flat_scratch, 0
	.set _ZN7rocprim17ROCPRIM_400000_NS6detail17trampoline_kernelINS0_14default_configENS1_36segmented_radix_sort_config_selectorIblEEZNS1_25segmented_radix_sort_implIS3_Lb1EPKbPbPKlPlN2at6native12_GLOBAL__N_18offset_tEEE10hipError_tPvRmT1_PNSt15iterator_traitsISK_E10value_typeET2_T3_PNSL_ISQ_E10value_typeET4_jRbjT5_SW_jjP12ihipStream_tbEUlT_E1_NS1_11comp_targetILNS1_3genE3ELNS1_11target_archE908ELNS1_3gpuE7ELNS1_3repE0EEENS1_59segmented_radix_sort_warp_sort_small_config_static_selectorELNS0_4arch9wavefront6targetE1EEEvSK_.has_dyn_sized_stack, 0
	.set _ZN7rocprim17ROCPRIM_400000_NS6detail17trampoline_kernelINS0_14default_configENS1_36segmented_radix_sort_config_selectorIblEEZNS1_25segmented_radix_sort_implIS3_Lb1EPKbPbPKlPlN2at6native12_GLOBAL__N_18offset_tEEE10hipError_tPvRmT1_PNSt15iterator_traitsISK_E10value_typeET2_T3_PNSL_ISQ_E10value_typeET4_jRbjT5_SW_jjP12ihipStream_tbEUlT_E1_NS1_11comp_targetILNS1_3genE3ELNS1_11target_archE908ELNS1_3gpuE7ELNS1_3repE0EEENS1_59segmented_radix_sort_warp_sort_small_config_static_selectorELNS0_4arch9wavefront6targetE1EEEvSK_.has_recursion, 0
	.set _ZN7rocprim17ROCPRIM_400000_NS6detail17trampoline_kernelINS0_14default_configENS1_36segmented_radix_sort_config_selectorIblEEZNS1_25segmented_radix_sort_implIS3_Lb1EPKbPbPKlPlN2at6native12_GLOBAL__N_18offset_tEEE10hipError_tPvRmT1_PNSt15iterator_traitsISK_E10value_typeET2_T3_PNSL_ISQ_E10value_typeET4_jRbjT5_SW_jjP12ihipStream_tbEUlT_E1_NS1_11comp_targetILNS1_3genE3ELNS1_11target_archE908ELNS1_3gpuE7ELNS1_3repE0EEENS1_59segmented_radix_sort_warp_sort_small_config_static_selectorELNS0_4arch9wavefront6targetE1EEEvSK_.has_indirect_call, 0
	.section	.AMDGPU.csdata,"",@progbits
; Kernel info:
; codeLenInByte = 0
; TotalNumSgprs: 4
; NumVgprs: 0
; ScratchSize: 0
; MemoryBound: 0
; FloatMode: 240
; IeeeMode: 1
; LDSByteSize: 0 bytes/workgroup (compile time only)
; SGPRBlocks: 0
; VGPRBlocks: 0
; NumSGPRsForWavesPerEU: 4
; NumVGPRsForWavesPerEU: 1
; Occupancy: 10
; WaveLimiterHint : 0
; COMPUTE_PGM_RSRC2:SCRATCH_EN: 0
; COMPUTE_PGM_RSRC2:USER_SGPR: 6
; COMPUTE_PGM_RSRC2:TRAP_HANDLER: 0
; COMPUTE_PGM_RSRC2:TGID_X_EN: 1
; COMPUTE_PGM_RSRC2:TGID_Y_EN: 0
; COMPUTE_PGM_RSRC2:TGID_Z_EN: 0
; COMPUTE_PGM_RSRC2:TIDIG_COMP_CNT: 0
	.text
	.p2align	2                               ; -- Begin function _ZN7rocprim17ROCPRIM_400000_NS6detail26segmented_warp_sort_helperINS1_20WarpSortHelperConfigILj8ELj4ELj256EEEblLi256ELb1EvE4sortIPKbPbPKlPlEEvT_T0_T1_T2_jjjjRNS5_12storage_typeE
	.type	_ZN7rocprim17ROCPRIM_400000_NS6detail26segmented_warp_sort_helperINS1_20WarpSortHelperConfigILj8ELj4ELj256EEEblLi256ELb1EvE4sortIPKbPbPKlPlEEvT_T0_T1_T2_jjjjRNS5_12storage_typeE,@function
_ZN7rocprim17ROCPRIM_400000_NS6detail26segmented_warp_sort_helperINS1_20WarpSortHelperConfigILj8ELj4ELj256EEEblLi256ELb1EvE4sortIPKbPbPKlPlEEvT_T0_T1_T2_jjjjRNS5_12storage_typeE: ; @_ZN7rocprim17ROCPRIM_400000_NS6detail26segmented_warp_sort_helperINS1_20WarpSortHelperConfigILj8ELj4ELj256EEEblLi256ELb1EvE4sortIPKbPbPKlPlEEvT_T0_T1_T2_jjjjRNS5_12storage_typeE
; %bb.0:
	s_waitcnt vmcnt(0) expcnt(0) lgkmcnt(0)
	v_mbcnt_lo_u32_b32 v15, -1, 0
	v_mbcnt_hi_u32_b32 v15, -1, v15
	v_add_co_u32_e32 v0, vcc, v0, v8
	v_lshlrev_b32_e32 v35, 2, v15
	v_addc_co_u32_e32 v1, vcc, 0, v1, vcc
	v_and_b32_e32 v30, 28, v35
	v_add_co_u32_e32 v0, vcc, v0, v30
	v_sub_u32_e32 v14, v9, v8
	v_mov_b32_e32 v26, 0
	v_addc_co_u32_e32 v1, vcc, 0, v1, vcc
	v_mov_b32_e32 v9, v26
	v_cmp_lt_u32_e32 vcc, v30, v14
	v_mov_b32_e32 v37, 0
	s_and_saveexec_b64 s[4:5], vcc
	s_cbranch_execz .LBB1556_2
; %bb.1:
	flat_load_ubyte v37, v[0:1]
.LBB1556_2:
	s_or_b64 exec, exec, s[4:5]
	v_or_b32_e32 v15, 1, v30
	v_cmp_lt_u32_e64 s[4:5], v15, v14
	s_and_saveexec_b64 s[6:7], s[4:5]
	s_cbranch_execz .LBB1556_4
; %bb.3:
	flat_load_ubyte v26, v[0:1] offset:1
.LBB1556_4:
	s_or_b64 exec, exec, s[6:7]
	v_or_b32_e32 v15, 2, v30
	v_cmp_lt_u32_e64 s[6:7], v15, v14
	v_mov_b32_e32 v36, 0
	v_mov_b32_e32 v27, 0
	s_and_saveexec_b64 s[10:11], s[6:7]
	s_cbranch_execz .LBB1556_6
; %bb.5:
	flat_load_ubyte v27, v[0:1] offset:2
.LBB1556_6:
	s_or_b64 exec, exec, s[10:11]
	v_or_b32_e32 v15, 3, v30
	v_cmp_lt_u32_e64 s[10:11], v15, v14
	s_and_saveexec_b64 s[14:15], s[10:11]
	s_cbranch_execz .LBB1556_8
; %bb.7:
	flat_load_ubyte v36, v[0:1] offset:3
.LBB1556_8:
	s_or_b64 exec, exec, s[14:15]
	v_lshlrev_b64 v[0:1], 3, v[8:9]
	v_lshlrev_b32_e32 v34, 3, v30
	v_add_co_u32_e64 v9, s[14:15], v4, v0
	v_addc_co_u32_e64 v14, s[14:15], v5, v1, s[14:15]
	v_mov_b32_e32 v22, 0
	v_mov_b32_e32 v4, 0
	v_add_co_u32_e64 v16, s[14:15], v9, v34
	v_mov_b32_e32 v23, 0
	v_mov_b32_e32 v5, 0
	v_addc_co_u32_e64 v17, s[14:15], 0, v14, s[14:15]
	; wave barrier
	s_and_saveexec_b64 s[14:15], vcc
	s_cbranch_execz .LBB1556_10
; %bb.9:
	flat_load_dwordx2 v[4:5], v[16:17]
.LBB1556_10:
	s_or_b64 exec, exec, s[14:15]
	s_mov_b32 s16, 0
	v_mov_b32_e32 v18, s16
	v_mov_b32_e32 v19, s16
	;; [unrolled: 1-line block ×6, first 2 shown]
	s_and_saveexec_b64 s[14:15], s[4:5]
	s_cbranch_execz .LBB1556_12
; %bb.11:
	flat_load_dwordx2 v[18:19], v[16:17] offset:8
	v_mov_b32_e32 v24, s16
	v_mov_b32_e32 v25, s16
	;; [unrolled: 1-line block ×4, first 2 shown]
	s_waitcnt vmcnt(0) lgkmcnt(0)
	v_mov_b32_e32 v23, v19
	v_mov_b32_e32 v22, v18
.LBB1556_12:
	s_or_b64 exec, exec, s[14:15]
	v_mov_b32_e32 v20, 0
	v_mov_b32_e32 v14, 0
	;; [unrolled: 1-line block ×4, first 2 shown]
	s_and_saveexec_b64 s[14:15], s[6:7]
	s_cbranch_execz .LBB1556_14
; %bb.13:
	flat_load_dwordx2 v[24:25], v[16:17] offset:16
	v_mov_b32_e32 v32, s16
	v_mov_b32_e32 v33, s16
	s_waitcnt vmcnt(0) lgkmcnt(0)
	v_mov_b32_e32 v14, v24
	v_mov_b32_e32 v15, v25
.LBB1556_14:
	s_or_b64 exec, exec, s[14:15]
	s_and_saveexec_b64 s[14:15], s[10:11]
	s_cbranch_execz .LBB1556_16
; %bb.15:
	flat_load_dwordx2 v[32:33], v[16:17] offset:24
	s_waitcnt vmcnt(0) lgkmcnt(0)
	v_mov_b32_e32 v20, v32
	v_mov_b32_e32 v21, v33
.LBB1556_16:
	s_or_b64 exec, exec, s[14:15]
	v_cmp_ne_u32_e64 s[14:15], 0, v10
	v_cmp_ne_u32_e64 s[16:17], 8, v11
	s_or_b64 s[14:15], s[14:15], s[16:17]
	v_bfe_u32 v9, v31, 10, 10
	v_bfe_u32 v16, v31, 20, 10
	; wave barrier
	s_and_saveexec_b64 s[16:17], s[14:15]
	s_xor_b64 s[24:25], exec, s[16:17]
	s_cbranch_execz .LBB1556_60
; %bb.17:
	s_load_dwordx2 s[18:19], s[8:9], 0x0
	v_cmp_ne_u32_e64 s[14:15], 0, v11
	v_cmp_ne_u32_e64 s[16:17], 0, v10
	s_xor_b64 s[14:15], s[16:17], s[14:15]
	v_cndmask_b32_e64 v10, 0, 1, s[14:15]
	s_waitcnt lgkmcnt(0)
	s_cmp_lt_u32 s13, s19
	s_cselect_b32 s14, 14, 20
	s_add_u32 s14, s8, s14
	s_addc_u32 s15, s9, 0
	s_cmp_lt_u32 s12, s18
	s_cselect_b32 s16, 12, 18
	buffer_store_byte v10, off, s[0:3], s32 offset:6
	v_mov_b32_e32 v11, 0
	s_add_u32 s16, s8, s16
	buffer_load_ubyte v10, off, s[0:3], s32 offset:6
	s_addc_u32 s17, s9, 0
	global_load_ushort v17, v11, s[14:15]
	global_load_ushort v28, v11, s[16:17]
	v_and_b32_e32 v11, 0x3ff, v31
	s_movk_i32 s14, 0x400
	s_waitcnt vmcnt(0)
	v_and_b32_e32 v10, 1, v10
	v_mad_u32_u24 v9, v16, v17, v9
	v_mul_lo_u32 v9, v9, v28
	buffer_store_byte v10, off, s[0:3], s32 offset:5
	v_cmp_eq_u32_e64 s[16:17], 1, v10
	v_and_b32_e32 v10, 1, v10
	v_add_lshl_u32 v9, v9, v11, 2
	v_cmp_gt_u32_e64 s[14:15], s14, v9
	buffer_store_byte v10, off, s[0:3], s32 offset:4
	s_and_saveexec_b64 s[20:21], s[14:15]
	s_cbranch_execz .LBB1556_29
; %bb.18:
	buffer_load_ubyte v10, off, s[0:3], s32 offset:4
	v_mov_b32_e32 v11, v27
	s_waitcnt vmcnt(0)
	v_and_b32_e32 v14, v10, v26
	v_and_b32_e32 v15, v10, v37
	;; [unrolled: 1-line block ×8, first 2 shown]
	v_cmp_gt_u16_e64 s[14:15], v14, v15
	v_cndmask_b32_e64 v17, v19, v5, s[14:15]
	v_cmp_gt_u16_e64 s[18:19], v16, v20
	v_cndmask_b32_e64 v16, v18, v4, s[14:15]
	v_cndmask_b32_e64 v15, v5, v19, s[14:15]
	;; [unrolled: 1-line block ×3, first 2 shown]
	v_mov_b32_e32 v18, v24
	v_mov_b32_e32 v19, v25
	s_and_saveexec_b64 s[22:23], s[18:19]
; %bb.19:
	v_mov_b32_e32 v18, v32
	v_mov_b32_e32 v19, v33
	;; [unrolled: 1-line block ×7, first 2 shown]
; %bb.20:
	s_or_b64 exec, exec, s[22:23]
	v_cndmask_b32_e64 v4, v26, v37, s[14:15]
	v_mov_b32_e32 v20, v32
	v_and_b32_e32 v5, v4, v10
	v_mov_b32_e32 v29, v21
	v_cmp_le_u16_sdwa s[18:19], v21, v5 src0_sel:BYTE_0 src1_sel:BYTE_0
	v_mov_b32_e32 v23, v15
	v_mov_b32_e32 v22, v14
                                        ; implicit-def: $vgpr31
	v_mov_b32_e32 v28, v20
	v_mov_b32_e32 v27, v19
	;; [unrolled: 1-line block ×5, first 2 shown]
	s_and_saveexec_b64 s[22:23], s[18:19]
	s_xor_b64 s[18:19], exec, s[22:23]
; %bb.21:
	v_and_b32_e32 v31, v11, v10
                                        ; implicit-def: $vgpr22_vgpr23_vgpr24_vgpr25_vgpr26_vgpr27_vgpr28_vgpr29
; %bb.22:
	s_or_saveexec_b64 s[18:19], s[18:19]
	v_mov_b32_e32 v21, v33
	v_mov_b32_e32 v24, v4
	s_xor_b64 exec, exec, s[18:19]
	s_cbranch_execz .LBB1556_24
; %bb.23:
	v_mov_b32_e32 v24, v18
	v_mov_b32_e32 v25, v19
	;; [unrolled: 1-line block ×18, first 2 shown]
.LBB1556_24:
	s_or_b64 exec, exec, s[18:19]
	v_cndmask_b32_e64 v25, v37, 1, s[14:15]
	v_and_b32_e32 v4, v25, v10
	v_cmp_gt_u16_sdwa s[14:15], v5, v4 src0_sel:BYTE_0 src1_sel:BYTE_0
	v_cndmask_b32_e64 v22, v16, v14, s[14:15]
	v_cndmask_b32_e64 v4, v14, v16, s[14:15]
	v_and_b32_e32 v14, v36, v10
	v_cndmask_b32_e64 v23, v17, v15, s[14:15]
	v_cndmask_b32_e64 v5, v15, v17, s[14:15]
	v_cmp_gt_u16_sdwa s[22:23], v14, v31 src0_sel:BYTE_0 src1_sel:BYTE_0
	v_mov_b32_e32 v16, v11
	s_and_saveexec_b64 s[18:19], s[22:23]
; %bb.25:
	v_mov_b32_e32 v14, v18
	v_mov_b32_e32 v15, v19
	;; [unrolled: 1-line block ×9, first 2 shown]
; %bb.26:
	s_or_b64 exec, exec, s[18:19]
	v_cndmask_b32_e64 v26, v24, v25, s[14:15]
	v_and_b32_e32 v10, v26, v10
	v_mov_b32_e32 v14, v18
	v_cmp_gt_u16_sdwa s[22:23], v31, v10 src0_sel:BYTE_0 src1_sel:BYTE_0
	v_mov_b32_e32 v15, v19
	v_mov_b32_e32 v27, v16
	s_and_saveexec_b64 s[18:19], s[22:23]
; %bb.27:
	v_mov_b32_e32 v14, v22
	v_mov_b32_e32 v15, v23
	;; [unrolled: 1-line block ×6, first 2 shown]
; %bb.28:
	s_or_b64 exec, exec, s[18:19]
	v_cndmask_b32_e64 v37, v25, v24, s[14:15]
.LBB1556_29:
	s_or_b64 exec, exec, s[20:21]
	v_and_b32_e32 v17, 0xffffff00, v9
	v_add_co_u32_e64 v11, s[14:15], v12, v17
	v_addc_co_u32_e64 v12, s[14:15], 0, v13, s[14:15]
	v_mad_u64_u32 v[9:10], s[14:15], v17, 7, v[11:12]
	v_cndmask_b32_e64 v16, 0, 1, s[16:17]
	v_add_u32_e32 v12, v11, v35
	buffer_store_byte v16, off, s[0:3], s32 offset:3
	ds_write_b8 v12, v37
	v_lshl_add_u32 v25, v35, 3, v9
	ds_write_b8 v12, v26 offset:1
	ds_write2_b64 v25, v[4:5], v[22:23] offset0:128 offset1:129
	ds_write_b8 v12, v27 offset:2
	ds_write_b8 v12, v36 offset:3
	ds_write2_b64 v25, v[14:15], v[20:21] offset0:130 offset1:131
	; wave barrier
	buffer_load_ubyte v16, off, s[0:3], s32 offset:3
	s_movk_i32 s14, 0x400
	v_or_b32_e32 v13, 4, v35
	v_sub_u32_e64 v10, s14, v17 clamp
	v_min_u32_e32 v28, v10, v13
	v_and_b32_e32 v31, 0x1f8, v35
	v_and_b32_e32 v18, 4, v35
	v_add_u32_e32 v13, 4, v28
	v_min_u32_e32 v32, v10, v18
	v_sub_u32_e32 v17, v28, v31
	v_min_u32_e32 v29, v10, v13
	v_min_u32_e32 v13, v32, v17
	v_sub_u32_e32 v17, v29, v28
	v_sub_u32_e64 v33, v32, v17 clamp
	v_cmp_lt_u32_e64 s[16:17], v33, v13
	s_waitcnt vmcnt(0)
	v_and_b32_e32 v16, 1, v16
	v_cmp_eq_u32_e64 s[14:15], 1, v16
	buffer_store_byte v16, off, s[0:3], s32 offset:2
	s_and_saveexec_b64 s[18:19], s[16:17]
	s_cbranch_execz .LBB1556_33
; %bb.30:
	buffer_load_ubyte v16, off, s[0:3], s32 offset:2
	v_add_co_u32_e64 v17, s[16:17], v11, v31
	v_add_co_u32_e64 v18, s[16:17], v11, v28
	s_mov_b64 s[20:21], 0
.LBB1556_31:                            ; =>This Inner Loop Header: Depth=1
	v_add_u32_e32 v19, v13, v33
	v_lshrrev_b32_e32 v19, 1, v19
	v_not_b32_e32 v24, v19
	v_add_u32_e32 v38, v17, v19
	v_add3_u32 v24, v32, v24, v18
	ds_read_u8 v38, v38
	ds_read_u8 v24, v24
	v_add_u32_e32 v39, 1, v19
	s_waitcnt vmcnt(0) lgkmcnt(1)
	v_and_b32_e32 v38, v38, v16
	s_waitcnt lgkmcnt(0)
	v_and_b32_e32 v24, v24, v16
	v_and_b32_e32 v38, 1, v38
	;; [unrolled: 1-line block ×3, first 2 shown]
	v_cmp_gt_u16_e64 s[16:17], v24, v38
	v_cndmask_b32_e64 v13, v13, v19, s[16:17]
	v_cndmask_b32_e64 v33, v39, v33, s[16:17]
	v_cmp_ge_u32_e64 s[16:17], v33, v13
	s_or_b64 s[20:21], s[16:17], s[20:21]
	s_andn2_b64 exec, exec, s[20:21]
	s_cbranch_execnz .LBB1556_31
; %bb.32:
	s_or_b64 exec, exec, s[20:21]
.LBB1556_33:
	s_or_b64 exec, exec, s[18:19]
	v_cndmask_b32_e64 v38, 0, 1, s[14:15]
	buffer_store_byte v38, off, s[0:3], s32 offset:1
	buffer_load_ubyte v38, off, s[0:3], s32 offset:1
	v_add_u32_e32 v32, v28, v32
	v_add_u32_e32 v31, v33, v31
	v_sub_u32_e32 v32, v32, v33
	v_cmp_le_u32_e64 s[14:15], v31, v28
	v_cmp_le_u32_e64 s[16:17], v32, v29
	v_add_u32_e32 v13, 0x400, v25
	v_add_u32_e32 v16, 1, v12
	v_add_u32_e32 v17, 0x408, v25
	v_add_u32_e32 v18, 2, v12
	v_add_u32_e32 v19, 0x410, v25
	v_add_u32_e32 v24, 3, v12
	v_add_u32_e32 v25, 0x418, v25
	s_or_b64 s[14:15], s[14:15], s[16:17]
	s_waitcnt vmcnt(0)
	v_and_b32_e32 v33, 1, v38
	buffer_store_byte v33, off, s[0:3], s32
	s_and_saveexec_b64 s[26:27], s[14:15]
	s_cbranch_execz .LBB1556_39
; %bb.34:
	v_cmp_ge_u32_e64 s[16:17], v31, v28
	v_cmp_lt_u32_e64 s[14:15], v31, v28
                                        ; implicit-def: $vgpr26
	s_and_saveexec_b64 s[18:19], s[14:15]
; %bb.35:
	v_add_u32_e32 v4, v11, v31
	ds_read_u8 v26, v4
; %bb.36:
	s_or_b64 exec, exec, s[18:19]
	v_cmp_ge_u32_e64 s[14:15], v32, v29
	v_cmp_lt_u32_e64 s[18:19], v32, v29
                                        ; implicit-def: $vgpr27
	s_and_saveexec_b64 s[20:21], s[18:19]
; %bb.37:
	v_add_u32_e32 v4, v11, v32
	ds_read_u8 v27, v4
; %bb.38:
	s_or_b64 exec, exec, s[20:21]
	buffer_load_ubyte v20, off, s[0:3], s32
	v_cndmask_b32_e64 v4, 0, 1, s[14:15]
	s_or_b64 s[14:15], s[16:17], s[14:15]
	s_waitcnt vmcnt(0) lgkmcnt(0)
	v_and_b32_e32 v5, v20, v27
	v_and_b32_e32 v14, v20, v26
	;; [unrolled: 1-line block ×4, first 2 shown]
	v_cmp_le_u16_e64 s[18:19], v5, v14
	v_cndmask_b32_e64 v5, 0, 1, s[18:19]
	v_cndmask_b32_e64 v4, v5, v4, s[14:15]
	v_and_b32_e32 v4, 1, v4
	v_cmp_eq_u32_e64 s[14:15], 1, v4
	v_cndmask_b32_e64 v4, v32, v31, s[14:15]
	v_cndmask_b32_e64 v14, v29, v28, s[14:15]
	v_add_u32_e32 v15, 1, v4
	v_add_u32_e32 v14, -1, v14
	v_min_u32_e32 v14, v15, v14
	v_add_u32_e32 v14, v11, v14
	ds_read_u8 v14, v14
	v_cndmask_b32_e64 v21, v15, v32, s[14:15]
	v_cndmask_b32_e64 v15, v31, v15, s[14:15]
	v_cmp_lt_u32_e64 s[18:19], v15, v28
	v_cmp_ge_u32_e64 s[16:17], v21, v29
	s_waitcnt lgkmcnt(0)
	v_cndmask_b32_e64 v31, v14, v27, s[14:15]
	v_cndmask_b32_e64 v32, v26, v14, s[14:15]
	v_and_b32_e32 v14, v31, v20
	v_and_b32_e32 v22, v32, v20
	v_cmp_le_u16_sdwa s[20:21], v14, v22 src0_sel:BYTE_0 src1_sel:BYTE_0
	s_and_b64 s[18:19], s[18:19], s[20:21]
	s_or_b64 s[16:17], s[16:17], s[18:19]
	v_cndmask_b32_e64 v14, v21, v15, s[16:17]
	v_cndmask_b32_e64 v33, v29, v28, s[16:17]
	v_lshl_add_u32 v22, v14, 3, v9
	v_add_u32_e32 v14, 1, v14
	v_add_u32_e32 v33, -1, v33
	v_min_u32_e32 v33, v14, v33
	v_add_u32_e32 v33, v11, v33
	ds_read_u8 v33, v33
	v_cndmask_b32_e64 v21, v14, v21, s[16:17]
	v_cndmask_b32_e64 v36, v15, v14, s[16:17]
	v_cmp_lt_u32_e64 s[20:21], v36, v28
	v_cmp_ge_u32_e64 s[18:19], v21, v29
	s_waitcnt lgkmcnt(0)
	v_cndmask_b32_e64 v38, v33, v31, s[16:17]
	v_cndmask_b32_e64 v33, v32, v33, s[16:17]
	v_and_b32_e32 v14, v38, v20
	v_and_b32_e32 v15, v33, v20
	v_cmp_le_u16_sdwa s[22:23], v14, v15 src0_sel:BYTE_0 src1_sel:BYTE_0
	s_and_b64 s[20:21], s[20:21], s[22:23]
	s_or_b64 s[18:19], s[18:19], s[20:21]
	v_cndmask_b32_e64 v14, v21, v36, s[18:19]
	v_cndmask_b32_e64 v37, v29, v28, s[18:19]
	v_add_u32_e32 v39, 1, v14
	v_add_u32_e32 v37, -1, v37
	v_min_u32_e32 v37, v39, v37
	v_add_u32_e32 v37, v11, v37
	ds_read_u8 v37, v37
	v_cndmask_b32_e64 v21, v39, v21, s[18:19]
	v_cndmask_b32_e64 v36, v36, v39, s[18:19]
	v_cmp_ge_u32_e64 s[20:21], v21, v29
	v_cmp_lt_u32_e64 s[22:23], v36, v28
	s_waitcnt lgkmcnt(0)
	v_cndmask_b32_e64 v28, v37, v38, s[18:19]
	v_cndmask_b32_e64 v29, v33, v37, s[18:19]
	v_and_b32_e32 v37, v28, v20
	v_and_b32_e32 v20, v29, v20
	v_cmp_le_u16_sdwa s[28:29], v37, v20 src0_sel:BYTE_0 src1_sel:BYTE_0
	s_and_b64 s[22:23], s[22:23], s[28:29]
	s_or_b64 s[20:21], s[20:21], s[22:23]
	v_cndmask_b32_e64 v20, v21, v36, s[20:21]
	v_lshl_add_u32 v5, v4, 3, v9
	v_lshl_add_u32 v15, v14, 3, v9
	v_lshl_add_u32 v20, v20, 3, v9
	ds_read_b64 v[4:5], v5 offset:1024
	ds_read_b64 v[22:23], v22 offset:1024
	;; [unrolled: 1-line block ×4, first 2 shown]
	v_cndmask_b32_e64 v37, v27, v26, s[14:15]
	v_cndmask_b32_e64 v26, v31, v32, s[16:17]
	;; [unrolled: 1-line block ×4, first 2 shown]
.LBB1556_39:
	s_or_b64 exec, exec, s[26:27]
	; wave barrier
	ds_write_b8 v12, v37
	s_waitcnt lgkmcnt(4)
	ds_write_b64 v13, v[4:5]
	ds_write_b8 v16, v26
	s_waitcnt lgkmcnt(5)
	ds_write_b64 v17, v[22:23]
	;; [unrolled: 3-line block ×4, first 2 shown]
	; wave barrier
	buffer_load_ubyte v39, off, s[0:3], s32 offset:3
	v_and_b32_e32 v31, 0x1f0, v35
	v_and_b32_e32 v28, 12, v35
	v_or_b32_e32 v29, 8, v31
	v_min_u32_e32 v32, v10, v28
	v_min_u32_e32 v28, v10, v29
	v_add_u32_e32 v29, 8, v28
	v_sub_u32_e32 v33, v28, v31
	v_min_u32_e32 v29, v10, v29
	v_min_u32_e32 v38, v32, v33
	v_sub_u32_e32 v33, v29, v28
	v_sub_u32_e64 v33, v32, v33 clamp
	v_cmp_lt_u32_e64 s[16:17], v33, v38
	s_waitcnt vmcnt(0)
	v_and_b32_e32 v39, 1, v39
	v_cmp_eq_u32_e64 s[14:15], 1, v39
	buffer_store_byte v39, off, s[0:3], s32 offset:2
	s_and_saveexec_b64 s[18:19], s[16:17]
	s_cbranch_execz .LBB1556_43
; %bb.40:
	buffer_load_ubyte v39, off, s[0:3], s32 offset:2
	v_add_co_u32_e64 v48, s[16:17], v11, v31
	v_add_co_u32_e64 v49, s[16:17], v11, v28
	s_mov_b64 s[20:21], 0
.LBB1556_41:                            ; =>This Inner Loop Header: Depth=1
	v_add_u32_e32 v50, v38, v33
	v_lshrrev_b32_e32 v50, 1, v50
	v_not_b32_e32 v51, v50
	v_add_u32_e32 v52, v48, v50
	v_add3_u32 v51, v32, v51, v49
	ds_read_u8 v52, v52
	ds_read_u8 v51, v51
	v_add_u32_e32 v53, 1, v50
	s_waitcnt vmcnt(0) lgkmcnt(1)
	v_and_b32_e32 v52, v52, v39
	s_waitcnt lgkmcnt(0)
	v_and_b32_e32 v51, v51, v39
	v_and_b32_e32 v52, 1, v52
	v_and_b32_e32 v51, 1, v51
	v_cmp_gt_u16_e64 s[16:17], v51, v52
	v_cndmask_b32_e64 v38, v38, v50, s[16:17]
	v_cndmask_b32_e64 v33, v53, v33, s[16:17]
	v_cmp_ge_u32_e64 s[16:17], v33, v38
	s_or_b64 s[20:21], s[16:17], s[20:21]
	s_andn2_b64 exec, exec, s[20:21]
	s_cbranch_execnz .LBB1556_41
; %bb.42:
	s_or_b64 exec, exec, s[20:21]
.LBB1556_43:
	s_or_b64 exec, exec, s[18:19]
	v_cndmask_b32_e64 v38, 0, 1, s[14:15]
	buffer_store_byte v38, off, s[0:3], s32 offset:1
	buffer_load_ubyte v38, off, s[0:3], s32 offset:1
	v_add_u32_e32 v32, v28, v32
	v_add_u32_e32 v31, v33, v31
	v_sub_u32_e32 v32, v32, v33
	v_cmp_le_u32_e64 s[14:15], v31, v28
	v_cmp_le_u32_e64 s[16:17], v32, v29
	s_or_b64 s[14:15], s[14:15], s[16:17]
	s_waitcnt vmcnt(0)
	v_and_b32_e32 v33, 1, v38
	buffer_store_byte v33, off, s[0:3], s32
	s_and_saveexec_b64 s[26:27], s[14:15]
	s_cbranch_execz .LBB1556_49
; %bb.44:
	v_cmp_ge_u32_e64 s[16:17], v31, v28
	v_cmp_lt_u32_e64 s[14:15], v31, v28
                                        ; implicit-def: $vgpr26
	s_and_saveexec_b64 s[18:19], s[14:15]
; %bb.45:
	v_add_u32_e32 v4, v11, v31
	ds_read_u8 v26, v4
; %bb.46:
	s_or_b64 exec, exec, s[18:19]
	v_cmp_ge_u32_e64 s[14:15], v32, v29
	v_cmp_lt_u32_e64 s[18:19], v32, v29
                                        ; implicit-def: $vgpr27
	s_and_saveexec_b64 s[20:21], s[18:19]
; %bb.47:
	v_add_u32_e32 v4, v11, v32
	ds_read_u8 v27, v4
; %bb.48:
	s_or_b64 exec, exec, s[20:21]
	buffer_load_ubyte v20, off, s[0:3], s32
	v_cndmask_b32_e64 v4, 0, 1, s[14:15]
	s_or_b64 s[14:15], s[16:17], s[14:15]
	s_waitcnt vmcnt(0) lgkmcnt(0)
	v_and_b32_e32 v5, v20, v27
	v_and_b32_e32 v14, v20, v26
	;; [unrolled: 1-line block ×4, first 2 shown]
	v_cmp_le_u16_e64 s[18:19], v5, v14
	v_cndmask_b32_e64 v5, 0, 1, s[18:19]
	v_cndmask_b32_e64 v4, v5, v4, s[14:15]
	v_and_b32_e32 v4, 1, v4
	v_cmp_eq_u32_e64 s[14:15], 1, v4
	v_cndmask_b32_e64 v4, v32, v31, s[14:15]
	v_cndmask_b32_e64 v14, v29, v28, s[14:15]
	v_add_u32_e32 v15, 1, v4
	v_add_u32_e32 v14, -1, v14
	v_min_u32_e32 v14, v15, v14
	v_add_u32_e32 v14, v11, v14
	ds_read_u8 v14, v14
	v_cndmask_b32_e64 v21, v15, v32, s[14:15]
	v_cndmask_b32_e64 v15, v31, v15, s[14:15]
	v_cmp_lt_u32_e64 s[18:19], v15, v28
	v_cmp_ge_u32_e64 s[16:17], v21, v29
	s_waitcnt lgkmcnt(0)
	v_cndmask_b32_e64 v31, v14, v27, s[14:15]
	v_cndmask_b32_e64 v32, v26, v14, s[14:15]
	v_and_b32_e32 v14, v31, v20
	v_and_b32_e32 v22, v32, v20
	v_cmp_le_u16_sdwa s[20:21], v14, v22 src0_sel:BYTE_0 src1_sel:BYTE_0
	s_and_b64 s[18:19], s[18:19], s[20:21]
	s_or_b64 s[16:17], s[16:17], s[18:19]
	v_cndmask_b32_e64 v14, v21, v15, s[16:17]
	v_cndmask_b32_e64 v33, v29, v28, s[16:17]
	v_lshl_add_u32 v22, v14, 3, v9
	v_add_u32_e32 v14, 1, v14
	v_add_u32_e32 v33, -1, v33
	v_min_u32_e32 v33, v14, v33
	v_add_u32_e32 v33, v11, v33
	ds_read_u8 v33, v33
	v_cndmask_b32_e64 v21, v14, v21, s[16:17]
	v_cndmask_b32_e64 v36, v15, v14, s[16:17]
	v_cmp_lt_u32_e64 s[20:21], v36, v28
	v_cmp_ge_u32_e64 s[18:19], v21, v29
	s_waitcnt lgkmcnt(0)
	v_cndmask_b32_e64 v38, v33, v31, s[16:17]
	v_cndmask_b32_e64 v33, v32, v33, s[16:17]
	v_and_b32_e32 v14, v38, v20
	v_and_b32_e32 v15, v33, v20
	v_cmp_le_u16_sdwa s[22:23], v14, v15 src0_sel:BYTE_0 src1_sel:BYTE_0
	s_and_b64 s[20:21], s[20:21], s[22:23]
	s_or_b64 s[18:19], s[18:19], s[20:21]
	v_cndmask_b32_e64 v14, v21, v36, s[18:19]
	v_cndmask_b32_e64 v37, v29, v28, s[18:19]
	v_add_u32_e32 v39, 1, v14
	v_add_u32_e32 v37, -1, v37
	v_min_u32_e32 v37, v39, v37
	v_add_u32_e32 v37, v11, v37
	ds_read_u8 v37, v37
	v_cndmask_b32_e64 v21, v39, v21, s[18:19]
	v_cndmask_b32_e64 v36, v36, v39, s[18:19]
	v_cmp_ge_u32_e64 s[20:21], v21, v29
	v_cmp_lt_u32_e64 s[22:23], v36, v28
	s_waitcnt lgkmcnt(0)
	v_cndmask_b32_e64 v28, v37, v38, s[18:19]
	v_cndmask_b32_e64 v29, v33, v37, s[18:19]
	v_and_b32_e32 v37, v28, v20
	v_and_b32_e32 v20, v29, v20
	v_cmp_le_u16_sdwa s[28:29], v37, v20 src0_sel:BYTE_0 src1_sel:BYTE_0
	s_and_b64 s[22:23], s[22:23], s[28:29]
	s_or_b64 s[20:21], s[20:21], s[22:23]
	v_cndmask_b32_e64 v20, v21, v36, s[20:21]
	v_lshl_add_u32 v5, v4, 3, v9
	v_lshl_add_u32 v15, v14, 3, v9
	;; [unrolled: 1-line block ×3, first 2 shown]
	ds_read_b64 v[4:5], v5 offset:1024
	ds_read_b64 v[22:23], v22 offset:1024
	;; [unrolled: 1-line block ×4, first 2 shown]
	v_cndmask_b32_e64 v37, v27, v26, s[14:15]
	v_cndmask_b32_e64 v26, v31, v32, s[16:17]
	;; [unrolled: 1-line block ×4, first 2 shown]
.LBB1556_49:
	s_or_b64 exec, exec, s[26:27]
	; wave barrier
	ds_write_b8 v12, v37
	s_waitcnt lgkmcnt(4)
	ds_write_b64 v13, v[4:5]
	ds_write_b8 v16, v26
	s_waitcnt lgkmcnt(5)
	ds_write_b64 v17, v[22:23]
	;; [unrolled: 3-line block ×4, first 2 shown]
	; wave barrier
	buffer_load_ubyte v19, off, s[0:3], s32 offset:3
	v_and_b32_e32 v13, 0x1e0, v35
	v_or_b32_e32 v12, 16, v13
	v_min_u32_e32 v12, v10, v12
	v_add_u32_e32 v17, 16, v12
	v_min_u32_e32 v16, v10, v30
	v_sub_u32_e32 v18, v12, v13
	v_min_u32_e32 v10, v10, v17
	v_min_u32_e32 v17, v16, v18
	v_sub_u32_e32 v18, v10, v12
	v_sub_u32_e64 v18, v16, v18 clamp
	v_cmp_lt_u32_e64 s[16:17], v18, v17
	s_waitcnt vmcnt(0)
	v_and_b32_e32 v19, 1, v19
	v_cmp_eq_u32_e64 s[14:15], 1, v19
	buffer_store_byte v19, off, s[0:3], s32 offset:2
	s_and_saveexec_b64 s[18:19], s[16:17]
	s_cbranch_execz .LBB1556_53
; %bb.50:
	buffer_load_ubyte v19, off, s[0:3], s32 offset:2
	v_add_co_u32_e64 v24, s[16:17], v11, v13
	v_add_co_u32_e64 v25, s[16:17], v11, v12
	s_mov_b64 s[20:21], 0
.LBB1556_51:                            ; =>This Inner Loop Header: Depth=1
	v_add_u32_e32 v28, v17, v18
	v_lshrrev_b32_e32 v28, 1, v28
	v_not_b32_e32 v29, v28
	v_add_u32_e32 v31, v24, v28
	v_add3_u32 v29, v16, v29, v25
	ds_read_u8 v31, v31
	ds_read_u8 v29, v29
	v_add_u32_e32 v32, 1, v28
	s_waitcnt vmcnt(0) lgkmcnt(1)
	v_and_b32_e32 v31, v31, v19
	s_waitcnt lgkmcnt(0)
	v_and_b32_e32 v29, v29, v19
	v_and_b32_e32 v31, 1, v31
	;; [unrolled: 1-line block ×3, first 2 shown]
	v_cmp_gt_u16_e64 s[16:17], v29, v31
	v_cndmask_b32_e64 v17, v17, v28, s[16:17]
	v_cndmask_b32_e64 v18, v32, v18, s[16:17]
	v_cmp_ge_u32_e64 s[16:17], v18, v17
	s_or_b64 s[20:21], s[16:17], s[20:21]
	s_andn2_b64 exec, exec, s[20:21]
	s_cbranch_execnz .LBB1556_51
; %bb.52:
	s_or_b64 exec, exec, s[20:21]
.LBB1556_53:
	s_or_b64 exec, exec, s[18:19]
	v_cndmask_b32_e64 v17, 0, 1, s[14:15]
	buffer_store_byte v17, off, s[0:3], s32 offset:1
	buffer_load_ubyte v19, off, s[0:3], s32 offset:1
	v_add_u32_e32 v17, v18, v13
	v_add_u32_e32 v13, v12, v16
	v_sub_u32_e32 v18, v13, v18
	v_cmp_le_u32_e64 s[14:15], v17, v12
	v_cmp_le_u32_e64 s[16:17], v18, v10
	s_or_b64 s[14:15], s[14:15], s[16:17]
	s_waitcnt vmcnt(0)
	v_and_b32_e32 v13, 1, v19
	buffer_store_byte v13, off, s[0:3], s32
	s_and_saveexec_b64 s[26:27], s[14:15]
	s_cbranch_execz .LBB1556_59
; %bb.54:
	v_cmp_ge_u32_e64 s[16:17], v17, v12
	v_cmp_lt_u32_e64 s[14:15], v17, v12
                                        ; implicit-def: $vgpr13
	s_and_saveexec_b64 s[18:19], s[14:15]
; %bb.55:
	v_add_u32_e32 v4, v11, v17
	ds_read_u8 v13, v4
; %bb.56:
	s_or_b64 exec, exec, s[18:19]
	v_cmp_ge_u32_e64 s[14:15], v18, v10
	v_cmp_lt_u32_e64 s[18:19], v18, v10
                                        ; implicit-def: $vgpr16
	s_and_saveexec_b64 s[20:21], s[18:19]
; %bb.57:
	v_add_u32_e32 v4, v11, v18
	ds_read_u8 v16, v4
; %bb.58:
	s_or_b64 exec, exec, s[20:21]
	buffer_load_ubyte v19, off, s[0:3], s32
	v_cndmask_b32_e64 v4, 0, 1, s[14:15]
	s_or_b64 s[14:15], s[16:17], s[14:15]
	s_waitcnt vmcnt(0) lgkmcnt(0)
	v_and_b32_e32 v5, v19, v16
	v_and_b32_e32 v14, v19, v13
	;; [unrolled: 1-line block ×4, first 2 shown]
	v_cmp_le_u16_e64 s[18:19], v5, v14
	v_cndmask_b32_e64 v5, 0, 1, s[18:19]
	v_cndmask_b32_e64 v4, v5, v4, s[14:15]
	v_and_b32_e32 v4, 1, v4
	v_cmp_eq_u32_e64 s[14:15], 1, v4
	v_cndmask_b32_e64 v4, v18, v17, s[14:15]
	v_cndmask_b32_e64 v14, v10, v12, s[14:15]
	v_add_u32_e32 v15, 1, v4
	v_add_u32_e32 v14, -1, v14
	v_min_u32_e32 v14, v15, v14
	v_add_u32_e32 v14, v11, v14
	ds_read_u8 v14, v14
	v_cndmask_b32_e64 v18, v15, v18, s[14:15]
	v_cndmask_b32_e64 v15, v17, v15, s[14:15]
	v_cmp_lt_u32_e64 s[18:19], v15, v12
	v_cmp_ge_u32_e64 s[16:17], v18, v10
	s_waitcnt lgkmcnt(0)
	v_cndmask_b32_e64 v17, v14, v16, s[14:15]
	v_cndmask_b32_e64 v24, v13, v14, s[14:15]
	v_and_b32_e32 v14, v17, v19
	v_and_b32_e32 v20, v24, v19
	v_cmp_le_u16_sdwa s[20:21], v14, v20 src0_sel:BYTE_0 src1_sel:BYTE_0
	s_and_b64 s[18:19], s[18:19], s[20:21]
	s_or_b64 s[16:17], s[16:17], s[18:19]
	v_cndmask_b32_e64 v14, v18, v15, s[16:17]
	v_cndmask_b32_e64 v20, v10, v12, s[16:17]
	v_lshl_add_u32 v21, v14, 3, v9
	v_add_u32_e32 v14, 1, v14
	v_add_u32_e32 v20, -1, v20
	v_min_u32_e32 v20, v14, v20
	v_add_u32_e32 v20, v11, v20
	ds_read_u8 v20, v20
	ds_read_b64 v[22:23], v21 offset:1024
	v_cndmask_b32_e64 v18, v14, v18, s[16:17]
	v_cndmask_b32_e64 v21, v15, v14, s[16:17]
	v_cmp_lt_u32_e64 s[20:21], v21, v12
	s_waitcnt lgkmcnt(1)
	v_cndmask_b32_e64 v25, v20, v17, s[16:17]
	v_cndmask_b32_e64 v27, v24, v20, s[16:17]
	v_and_b32_e32 v14, v25, v19
	v_and_b32_e32 v15, v27, v19
	v_cmp_le_u16_sdwa s[22:23], v14, v15 src0_sel:BYTE_0 src1_sel:BYTE_0
	v_cmp_ge_u32_e64 s[18:19], v18, v10
	s_and_b64 s[20:21], s[20:21], s[22:23]
	s_or_b64 s[18:19], s[18:19], s[20:21]
	v_cndmask_b32_e64 v14, v18, v21, s[18:19]
	v_cndmask_b32_e64 v20, v10, v12, s[18:19]
	v_add_u32_e32 v26, 1, v14
	v_add_u32_e32 v20, -1, v20
	v_min_u32_e32 v20, v26, v20
	v_add_u32_e32 v11, v11, v20
	ds_read_u8 v11, v11
	v_cndmask_b32_e64 v18, v26, v18, s[18:19]
	v_cndmask_b32_e64 v20, v21, v26, s[18:19]
	v_cmp_ge_u32_e64 s[20:21], v18, v10
	v_cmp_lt_u32_e64 s[22:23], v20, v12
	s_waitcnt lgkmcnt(0)
	v_cndmask_b32_e64 v10, v11, v25, s[18:19]
	v_cndmask_b32_e64 v11, v27, v11, s[18:19]
	v_and_b32_e32 v12, v10, v19
	v_and_b32_e32 v19, v11, v19
	v_cmp_le_u16_sdwa s[28:29], v12, v19 src0_sel:BYTE_0 src1_sel:BYTE_0
	s_and_b64 s[22:23], s[22:23], s[28:29]
	s_or_b64 s[20:21], s[20:21], s[22:23]
	v_cndmask_b32_e64 v12, v18, v20, s[20:21]
	v_lshl_add_u32 v5, v4, 3, v9
	v_lshl_add_u32 v15, v14, 3, v9
	;; [unrolled: 1-line block ×3, first 2 shown]
	ds_read_b64 v[4:5], v5 offset:1024
	ds_read_b64 v[14:15], v15 offset:1024
	;; [unrolled: 1-line block ×3, first 2 shown]
	v_cndmask_b32_e64 v37, v16, v13, s[14:15]
	v_cndmask_b32_e64 v26, v17, v24, s[16:17]
	;; [unrolled: 1-line block ×4, first 2 shown]
.LBB1556_59:
	s_or_b64 exec, exec, s[26:27]
	; wave barrier
	s_waitcnt vmcnt(0) lgkmcnt(0)
	s_barrier
                                        ; implicit-def: $vgpr35
                                        ; implicit-def: $vgpr12
                                        ; implicit-def: $vgpr13
                                        ; implicit-def: $vgpr31
                                        ; implicit-def: $vgpr9
                                        ; implicit-def: $vgpr16
                                        ; implicit-def: $vgpr32_vgpr33
                                        ; implicit-def: $vgpr24_vgpr25
                                        ; implicit-def: $vgpr18_vgpr19
.LBB1556_60:
	s_andn2_saveexec_b64 s[20:21], s[24:25]
	s_cbranch_execz .LBB1556_96
; %bb.61:
	s_load_dwordx2 s[14:15], s[8:9], 0x0
	v_mov_b32_e32 v10, 0
	s_movk_i32 s18, 0x400
	s_waitcnt lgkmcnt(0)
	s_cmp_lt_u32 s13, s15
	s_cselect_b32 s13, 14, 20
	s_add_u32 s16, s8, s13
	s_addc_u32 s17, s9, 0
	s_cmp_lt_u32 s12, s14
	s_cselect_b32 s12, 12, 18
	s_add_u32 s8, s8, s12
	s_addc_u32 s9, s9, 0
	global_load_ushort v11, v10, s[16:17]
	global_load_ushort v17, v10, s[8:9]
	v_and_b32_e32 v10, 0x3ff, v31
	s_waitcnt vmcnt(0)
	v_mad_u32_u24 v9, v16, v11, v9
	v_mul_lo_u32 v9, v9, v17
	v_add_lshl_u32 v9, v9, v10, 2
	v_cmp_gt_u32_e64 s[8:9], s18, v9
	s_and_saveexec_b64 s[14:15], s[8:9]
	s_cbranch_execz .LBB1556_65
; %bb.62:
	v_cmp_gt_u16_sdwa s[8:9], v26, v37 src0_sel:BYTE_0 src1_sel:BYTE_0
	v_cndmask_b32_e64 v10, v37, 1, s[8:9]
	v_cndmask_b32_e64 v14, v26, 0, s[8:9]
	v_cndmask_b32_e64 v15, v4, v18, s[8:9]
	v_cndmask_b32_e64 v16, v5, v19, s[8:9]
	v_cndmask_b32_e64 v5, v19, v5, s[8:9]
	v_cndmask_b32_e64 v4, v18, v4, s[8:9]
	v_cmp_gt_u16_sdwa s[8:9], v36, v27 src0_sel:BYTE_0 src1_sel:BYTE_0
	v_cndmask_b32_e64 v17, v27, 1, s[8:9]
	v_cndmask_b32_e64 v11, v36, 0, s[8:9]
	v_cndmask_b32_e64 v18, v32, v24, s[8:9]
	v_cndmask_b32_e64 v19, v33, v25, s[8:9]
	v_cndmask_b32_e64 v20, v25, v33, s[8:9]
	v_cndmask_b32_e64 v21, v24, v32, s[8:9]
	;; [unrolled: 7-line block ×3, first 2 shown]
	v_cmp_gt_u16_sdwa s[8:9], v14, v10 src0_sel:BYTE_0 src1_sel:BYTE_0
	v_cmp_gt_u16_sdwa s[12:13], v11, v17 src0_sel:BYTE_0 src1_sel:BYTE_0
	v_cndmask_b32_e64 v26, v14, 0, s[8:9]
	v_cndmask_b32_e64 v27, v17, 1, s[12:13]
	v_cndmask_b32_e64 v5, v16, v20, s[8:9]
	v_cndmask_b32_e64 v4, v15, v21, s[8:9]
	v_cndmask_b32_e64 v23, v20, v16, s[8:9]
	v_cndmask_b32_e64 v22, v21, v15, s[8:9]
	v_cndmask_b32_e64 v21, v19, v25, s[12:13]
	v_cndmask_b32_e64 v20, v18, v24, s[12:13]
	v_cndmask_b32_e64 v15, v25, v19, s[12:13]
	v_cndmask_b32_e64 v14, v24, v18, s[12:13]
	v_cmp_gt_u16_sdwa s[22:23], v27, v26 src0_sel:BYTE_0 src1_sel:BYTE_0
	s_and_saveexec_b64 s[16:17], s[22:23]
; %bb.63:
	v_mov_b32_e32 v17, v15
	v_mov_b32_e32 v16, v14
	;; [unrolled: 1-line block ×8, first 2 shown]
; %bb.64:
	s_or_b64 exec, exec, s[16:17]
	v_cndmask_b32_e64 v37, v10, 1, s[8:9]
	v_cndmask_b32_e64 v36, v11, 0, s[12:13]
.LBB1556_65:
	s_or_b64 exec, exec, s[14:15]
	v_and_b32_e32 v16, 0xffffff00, v9
	v_add_co_u32_e64 v11, s[8:9], v12, v16
	v_addc_co_u32_e64 v12, s[8:9], 0, v13, s[8:9]
	v_mad_u64_u32 v[9:10], s[8:9], v16, 7, v[11:12]
	v_sub_u32_e64 v10, s18, v16 clamp
	v_or_b32_e32 v13, 4, v35
	v_min_u32_e32 v28, v10, v13
	v_add_u32_e32 v13, 4, v28
	v_and_b32_e32 v31, 0x1f8, v35
	v_min_u32_e32 v29, v10, v13
	v_and_b32_e32 v13, 4, v35
	v_min_u32_e32 v32, v10, v13
	v_sub_u32_e32 v13, v28, v31
	v_sub_u32_e32 v16, v29, v28
	v_sub_u32_e64 v33, v32, v16 clamp
	v_min_u32_e32 v13, v32, v13
	v_add_u32_e32 v12, v11, v35
	v_lshl_add_u32 v25, v35, 3, v9
	v_cmp_lt_u32_e64 s[8:9], v33, v13
	ds_write_b8 v12, v37
	ds_write_b8 v12, v26 offset:1
	ds_write2_b64 v25, v[4:5], v[22:23] offset0:128 offset1:129
	ds_write_b8 v12, v27 offset:2
	ds_write_b8 v12, v36 offset:3
	ds_write2_b64 v25, v[14:15], v[20:21] offset0:130 offset1:131
	; wave barrier
	s_and_saveexec_b64 s[12:13], s[8:9]
	s_cbranch_execz .LBB1556_69
; %bb.66:
	v_add_co_u32_e64 v16, s[8:9], v11, v31
	v_add_co_u32_e64 v17, s[8:9], v11, v28
	s_mov_b64 s[14:15], 0
.LBB1556_67:                            ; =>This Inner Loop Header: Depth=1
	v_add_u32_e32 v18, v13, v33
	v_lshrrev_b32_e32 v18, 1, v18
	v_not_b32_e32 v19, v18
	v_add_u32_e32 v24, v16, v18
	v_add3_u32 v19, v32, v19, v17
	ds_read_u8 v24, v24
	ds_read_u8 v19, v19
	v_add_u32_e32 v38, 1, v18
	s_waitcnt lgkmcnt(0)
	v_cmp_gt_u16_e64 s[8:9], v19, v24
	v_cndmask_b32_e64 v13, v13, v18, s[8:9]
	v_cndmask_b32_e64 v33, v38, v33, s[8:9]
	v_cmp_ge_u32_e64 s[8:9], v33, v13
	s_or_b64 s[14:15], s[8:9], s[14:15]
	s_andn2_b64 exec, exec, s[14:15]
	s_cbranch_execnz .LBB1556_67
; %bb.68:
	s_or_b64 exec, exec, s[14:15]
.LBB1556_69:
	s_or_b64 exec, exec, s[12:13]
	v_add_u32_e32 v32, v28, v32
	v_add_u32_e32 v31, v33, v31
	v_sub_u32_e32 v32, v32, v33
	v_cmp_le_u32_e64 s[8:9], v31, v28
	v_cmp_le_u32_e64 s[12:13], v32, v29
	v_add_u32_e32 v13, 0x400, v25
	v_add_u32_e32 v16, 1, v12
	;; [unrolled: 1-line block ×7, first 2 shown]
	s_or_b64 s[8:9], s[8:9], s[12:13]
	s_and_saveexec_b64 s[22:23], s[8:9]
	s_cbranch_execz .LBB1556_75
; %bb.70:
	v_cmp_lt_u32_e64 s[8:9], v31, v28
                                        ; implicit-def: $vgpr26
	s_and_saveexec_b64 s[12:13], s[8:9]
; %bb.71:
	v_add_u32_e32 v4, v11, v31
	ds_read_u8 v26, v4
; %bb.72:
	s_or_b64 exec, exec, s[12:13]
	v_cmp_ge_u32_e64 s[12:13], v32, v29
	v_cmp_lt_u32_e64 s[14:15], v32, v29
                                        ; implicit-def: $vgpr27
	s_and_saveexec_b64 s[16:17], s[14:15]
; %bb.73:
	v_add_u32_e32 v4, v11, v32
	ds_read_u8 v27, v4
; %bb.74:
	s_or_b64 exec, exec, s[16:17]
	s_waitcnt lgkmcnt(0)
	v_cmp_le_u16_sdwa s[14:15], v27, v26 src0_sel:BYTE_0 src1_sel:BYTE_0
	s_and_b64 s[8:9], s[8:9], s[14:15]
	s_or_b64 s[8:9], s[12:13], s[8:9]
	v_cndmask_b32_e64 v4, v32, v31, s[8:9]
	v_cndmask_b32_e64 v5, v29, v28, s[8:9]
	v_add_u32_e32 v14, 1, v4
	v_add_u32_e32 v5, -1, v5
	v_min_u32_e32 v5, v14, v5
	v_add_u32_e32 v5, v11, v5
	ds_read_u8 v5, v5
	v_cndmask_b32_e64 v15, v14, v32, s[8:9]
	v_cndmask_b32_e64 v14, v31, v14, s[8:9]
	v_cmp_lt_u32_e64 s[14:15], v14, v28
	v_cmp_ge_u32_e64 s[12:13], v15, v29
	s_waitcnt lgkmcnt(0)
	v_cndmask_b32_e64 v32, v5, v27, s[8:9]
	v_cndmask_b32_e64 v33, v26, v5, s[8:9]
	v_cmp_le_u16_sdwa s[16:17], v32, v33 src0_sel:BYTE_0 src1_sel:BYTE_0
	s_and_b64 s[14:15], s[14:15], s[16:17]
	s_or_b64 s[12:13], s[12:13], s[14:15]
	v_cndmask_b32_e64 v20, v15, v14, s[12:13]
	v_cndmask_b32_e64 v5, v29, v28, s[12:13]
	v_add_u32_e32 v21, 1, v20
	v_add_u32_e32 v5, -1, v5
	v_min_u32_e32 v5, v21, v5
	v_add_u32_e32 v5, v11, v5
	ds_read_u8 v22, v5
	v_cndmask_b32_e64 v37, v21, v15, s[12:13]
	v_cndmask_b32_e64 v21, v14, v21, s[12:13]
	v_cmp_lt_u32_e64 s[16:17], v21, v28
	v_cmp_ge_u32_e64 s[14:15], v37, v29
	s_waitcnt lgkmcnt(0)
	v_cndmask_b32_e64 v31, v22, v32, s[12:13]
	v_cndmask_b32_e64 v36, v33, v22, s[12:13]
	v_cmp_le_u16_sdwa s[18:19], v31, v36 src0_sel:BYTE_0 src1_sel:BYTE_0
	s_and_b64 s[16:17], s[16:17], s[18:19]
	s_or_b64 s[14:15], s[14:15], s[16:17]
	v_cndmask_b32_e64 v14, v37, v21, s[14:15]
	v_cndmask_b32_e64 v15, v29, v28, s[14:15]
	v_add_u32_e32 v38, 1, v14
	v_add_u32_e32 v15, -1, v15
	v_min_u32_e32 v15, v38, v15
	v_add_u32_e32 v15, v11, v15
	ds_read_u8 v39, v15
	v_cndmask_b32_e64 v21, v21, v38, s[14:15]
	v_lshl_add_u32 v15, v20, 3, v9
	v_cndmask_b32_e64 v20, v38, v37, s[14:15]
	v_cmp_lt_u32_e64 s[18:19], v21, v28
	s_waitcnt lgkmcnt(0)
	v_cndmask_b32_e64 v48, v39, v31, s[14:15]
	v_cndmask_b32_e64 v39, v36, v39, s[14:15]
	v_cmp_le_u16_sdwa s[24:25], v48, v39 src0_sel:BYTE_0 src1_sel:BYTE_0
	v_cmp_ge_u32_e64 s[16:17], v20, v29
	s_and_b64 s[18:19], s[18:19], s[24:25]
	s_or_b64 s[16:17], s[16:17], s[18:19]
	v_cndmask_b32_e64 v20, v20, v21, s[16:17]
	v_lshl_add_u32 v4, v4, 3, v9
	v_lshl_add_u32 v14, v14, 3, v9
	;; [unrolled: 1-line block ×3, first 2 shown]
	ds_read_b64 v[4:5], v4 offset:1024
	ds_read_b64 v[22:23], v15 offset:1024
	;; [unrolled: 1-line block ×4, first 2 shown]
	v_cndmask_b32_e64 v37, v27, v26, s[8:9]
	v_cndmask_b32_e64 v26, v32, v33, s[12:13]
	;; [unrolled: 1-line block ×4, first 2 shown]
.LBB1556_75:
	s_or_b64 exec, exec, s[22:23]
	v_and_b32_e32 v31, 0x1f0, v35
	v_or_b32_e32 v28, 8, v31
	v_min_u32_e32 v28, v10, v28
	v_add_u32_e32 v29, 8, v28
	v_min_u32_e32 v29, v10, v29
	v_and_b32_e32 v32, 12, v35
	v_min_u32_e32 v32, v10, v32
	v_sub_u32_e32 v38, v28, v31
	v_sub_u32_e32 v33, v29, v28
	v_sub_u32_e64 v33, v32, v33 clamp
	v_min_u32_e32 v38, v32, v38
	v_cmp_lt_u32_e64 s[8:9], v33, v38
	; wave barrier
	ds_write_b8 v12, v37
	s_waitcnt lgkmcnt(4)
	ds_write_b64 v13, v[4:5]
	ds_write_b8 v16, v26
	s_waitcnt lgkmcnt(5)
	ds_write_b64 v17, v[22:23]
	;; [unrolled: 3-line block ×4, first 2 shown]
	; wave barrier
	s_and_saveexec_b64 s[12:13], s[8:9]
	s_cbranch_execz .LBB1556_79
; %bb.76:
	v_add_co_u32_e64 v39, s[8:9], v11, v31
	v_add_co_u32_e64 v48, s[8:9], v11, v28
	s_mov_b64 s[14:15], 0
.LBB1556_77:                            ; =>This Inner Loop Header: Depth=1
	v_add_u32_e32 v49, v38, v33
	v_lshrrev_b32_e32 v49, 1, v49
	v_not_b32_e32 v50, v49
	v_add_u32_e32 v51, v39, v49
	v_add3_u32 v50, v32, v50, v48
	ds_read_u8 v51, v51
	ds_read_u8 v50, v50
	v_add_u32_e32 v52, 1, v49
	s_waitcnt lgkmcnt(0)
	v_cmp_gt_u16_e64 s[8:9], v50, v51
	v_cndmask_b32_e64 v38, v38, v49, s[8:9]
	v_cndmask_b32_e64 v33, v52, v33, s[8:9]
	v_cmp_ge_u32_e64 s[8:9], v33, v38
	s_or_b64 s[14:15], s[8:9], s[14:15]
	s_andn2_b64 exec, exec, s[14:15]
	s_cbranch_execnz .LBB1556_77
; %bb.78:
	s_or_b64 exec, exec, s[14:15]
.LBB1556_79:
	s_or_b64 exec, exec, s[12:13]
	v_add_u32_e32 v32, v28, v32
	v_add_u32_e32 v31, v33, v31
	v_sub_u32_e32 v32, v32, v33
	v_cmp_le_u32_e64 s[8:9], v31, v28
	v_cmp_le_u32_e64 s[12:13], v32, v29
	s_or_b64 s[8:9], s[8:9], s[12:13]
	s_and_saveexec_b64 s[22:23], s[8:9]
	s_cbranch_execz .LBB1556_85
; %bb.80:
	v_cmp_lt_u32_e64 s[8:9], v31, v28
                                        ; implicit-def: $vgpr26
	s_and_saveexec_b64 s[12:13], s[8:9]
; %bb.81:
	v_add_u32_e32 v4, v11, v31
	ds_read_u8 v26, v4
; %bb.82:
	s_or_b64 exec, exec, s[12:13]
	v_cmp_ge_u32_e64 s[12:13], v32, v29
	v_cmp_lt_u32_e64 s[14:15], v32, v29
                                        ; implicit-def: $vgpr27
	s_and_saveexec_b64 s[16:17], s[14:15]
; %bb.83:
	v_add_u32_e32 v4, v11, v32
	ds_read_u8 v27, v4
; %bb.84:
	s_or_b64 exec, exec, s[16:17]
	s_waitcnt lgkmcnt(0)
	v_cmp_le_u16_sdwa s[14:15], v27, v26 src0_sel:BYTE_0 src1_sel:BYTE_0
	s_and_b64 s[8:9], s[8:9], s[14:15]
	s_or_b64 s[8:9], s[12:13], s[8:9]
	v_cndmask_b32_e64 v4, v32, v31, s[8:9]
	v_cndmask_b32_e64 v5, v29, v28, s[8:9]
	v_add_u32_e32 v14, 1, v4
	v_add_u32_e32 v5, -1, v5
	v_min_u32_e32 v5, v14, v5
	v_add_u32_e32 v5, v11, v5
	ds_read_u8 v5, v5
	v_cndmask_b32_e64 v15, v14, v32, s[8:9]
	v_cndmask_b32_e64 v14, v31, v14, s[8:9]
	v_cmp_lt_u32_e64 s[14:15], v14, v28
	v_cmp_ge_u32_e64 s[12:13], v15, v29
	s_waitcnt lgkmcnt(0)
	v_cndmask_b32_e64 v32, v5, v27, s[8:9]
	v_cndmask_b32_e64 v33, v26, v5, s[8:9]
	v_cmp_le_u16_sdwa s[16:17], v32, v33 src0_sel:BYTE_0 src1_sel:BYTE_0
	s_and_b64 s[14:15], s[14:15], s[16:17]
	s_or_b64 s[12:13], s[12:13], s[14:15]
	v_cndmask_b32_e64 v20, v15, v14, s[12:13]
	v_cndmask_b32_e64 v5, v29, v28, s[12:13]
	v_add_u32_e32 v21, 1, v20
	v_add_u32_e32 v5, -1, v5
	v_min_u32_e32 v5, v21, v5
	v_add_u32_e32 v5, v11, v5
	ds_read_u8 v22, v5
	v_cndmask_b32_e64 v37, v21, v15, s[12:13]
	v_cndmask_b32_e64 v21, v14, v21, s[12:13]
	v_cmp_lt_u32_e64 s[16:17], v21, v28
	v_cmp_ge_u32_e64 s[14:15], v37, v29
	s_waitcnt lgkmcnt(0)
	v_cndmask_b32_e64 v31, v22, v32, s[12:13]
	v_cndmask_b32_e64 v36, v33, v22, s[12:13]
	v_cmp_le_u16_sdwa s[18:19], v31, v36 src0_sel:BYTE_0 src1_sel:BYTE_0
	s_and_b64 s[16:17], s[16:17], s[18:19]
	s_or_b64 s[14:15], s[14:15], s[16:17]
	v_cndmask_b32_e64 v14, v37, v21, s[14:15]
	v_cndmask_b32_e64 v15, v29, v28, s[14:15]
	v_add_u32_e32 v38, 1, v14
	v_add_u32_e32 v15, -1, v15
	v_min_u32_e32 v15, v38, v15
	v_add_u32_e32 v15, v11, v15
	ds_read_u8 v39, v15
	v_cndmask_b32_e64 v21, v21, v38, s[14:15]
	v_lshl_add_u32 v15, v20, 3, v9
	v_cndmask_b32_e64 v20, v38, v37, s[14:15]
	v_cmp_lt_u32_e64 s[18:19], v21, v28
	s_waitcnt lgkmcnt(0)
	v_cndmask_b32_e64 v48, v39, v31, s[14:15]
	v_cndmask_b32_e64 v39, v36, v39, s[14:15]
	v_cmp_le_u16_sdwa s[24:25], v48, v39 src0_sel:BYTE_0 src1_sel:BYTE_0
	v_cmp_ge_u32_e64 s[16:17], v20, v29
	s_and_b64 s[18:19], s[18:19], s[24:25]
	s_or_b64 s[16:17], s[16:17], s[18:19]
	v_cndmask_b32_e64 v20, v20, v21, s[16:17]
	v_lshl_add_u32 v4, v4, 3, v9
	v_lshl_add_u32 v14, v14, 3, v9
	;; [unrolled: 1-line block ×3, first 2 shown]
	ds_read_b64 v[4:5], v4 offset:1024
	ds_read_b64 v[22:23], v15 offset:1024
	;; [unrolled: 1-line block ×4, first 2 shown]
	v_cndmask_b32_e64 v37, v27, v26, s[8:9]
	v_cndmask_b32_e64 v26, v32, v33, s[12:13]
	;; [unrolled: 1-line block ×4, first 2 shown]
.LBB1556_85:
	s_or_b64 exec, exec, s[22:23]
	; wave barrier
	ds_write_b8 v12, v37
	s_waitcnt lgkmcnt(4)
	ds_write_b64 v13, v[4:5]
	ds_write_b8 v16, v26
	s_waitcnt lgkmcnt(5)
	ds_write_b64 v17, v[22:23]
	;; [unrolled: 3-line block ×4, first 2 shown]
	v_and_b32_e32 v16, 0x1e0, v35
	v_or_b32_e32 v12, 16, v16
	v_min_u32_e32 v12, v10, v12
	v_add_u32_e32 v13, 16, v12
	v_min_u32_e32 v13, v10, v13
	v_min_u32_e32 v10, v10, v30
	v_sub_u32_e32 v17, v12, v16
	v_sub_u32_e32 v18, v13, v12
	v_sub_u32_e64 v18, v10, v18 clamp
	v_min_u32_e32 v17, v10, v17
	v_cmp_lt_u32_e64 s[8:9], v18, v17
	; wave barrier
	s_and_saveexec_b64 s[12:13], s[8:9]
	s_cbranch_execz .LBB1556_89
; %bb.86:
	v_add_co_u32_e64 v19, s[8:9], v11, v16
	v_add_co_u32_e64 v24, s[8:9], v11, v12
	s_mov_b64 s[14:15], 0
.LBB1556_87:                            ; =>This Inner Loop Header: Depth=1
	v_add_u32_e32 v25, v17, v18
	v_lshrrev_b32_e32 v25, 1, v25
	v_not_b32_e32 v28, v25
	v_add_u32_e32 v29, v19, v25
	v_add3_u32 v28, v10, v28, v24
	ds_read_u8 v29, v29
	ds_read_u8 v28, v28
	v_add_u32_e32 v31, 1, v25
	s_waitcnt lgkmcnt(0)
	v_cmp_gt_u16_e64 s[8:9], v28, v29
	v_cndmask_b32_e64 v17, v17, v25, s[8:9]
	v_cndmask_b32_e64 v18, v31, v18, s[8:9]
	v_cmp_ge_u32_e64 s[8:9], v18, v17
	s_or_b64 s[14:15], s[8:9], s[14:15]
	s_andn2_b64 exec, exec, s[14:15]
	s_cbranch_execnz .LBB1556_87
; %bb.88:
	s_or_b64 exec, exec, s[14:15]
.LBB1556_89:
	s_or_b64 exec, exec, s[12:13]
	v_add_u32_e32 v10, v12, v10
	v_add_u32_e32 v17, v18, v16
	v_sub_u32_e32 v18, v10, v18
	v_cmp_le_u32_e64 s[8:9], v17, v12
	v_cmp_le_u32_e64 s[12:13], v18, v13
	s_or_b64 s[8:9], s[8:9], s[12:13]
	s_and_saveexec_b64 s[22:23], s[8:9]
	s_cbranch_execz .LBB1556_95
; %bb.90:
	v_cmp_lt_u32_e64 s[8:9], v17, v12
                                        ; implicit-def: $vgpr10
	s_and_saveexec_b64 s[12:13], s[8:9]
; %bb.91:
	v_add_u32_e32 v4, v11, v17
	ds_read_u8 v10, v4
; %bb.92:
	s_or_b64 exec, exec, s[12:13]
	v_cmp_ge_u32_e64 s[12:13], v18, v13
	v_cmp_lt_u32_e64 s[14:15], v18, v13
                                        ; implicit-def: $vgpr16
	s_and_saveexec_b64 s[16:17], s[14:15]
; %bb.93:
	v_add_u32_e32 v4, v11, v18
	ds_read_u8 v16, v4
; %bb.94:
	s_or_b64 exec, exec, s[16:17]
	s_waitcnt lgkmcnt(0)
	v_cmp_le_u16_sdwa s[14:15], v16, v10 src0_sel:BYTE_0 src1_sel:BYTE_0
	s_and_b64 s[8:9], s[8:9], s[14:15]
	s_or_b64 s[8:9], s[12:13], s[8:9]
	v_cndmask_b32_e64 v4, v18, v17, s[8:9]
	v_cndmask_b32_e64 v5, v13, v12, s[8:9]
	v_add_u32_e32 v14, 1, v4
	v_add_u32_e32 v5, -1, v5
	v_min_u32_e32 v5, v14, v5
	v_add_u32_e32 v5, v11, v5
	ds_read_u8 v5, v5
	v_cndmask_b32_e64 v15, v14, v18, s[8:9]
	v_cndmask_b32_e64 v14, v17, v14, s[8:9]
	v_cmp_lt_u32_e64 s[14:15], v14, v12
	v_cmp_ge_u32_e64 s[12:13], v15, v13
	s_waitcnt lgkmcnt(0)
	v_cndmask_b32_e64 v18, v5, v16, s[8:9]
	v_cndmask_b32_e64 v19, v10, v5, s[8:9]
	v_cmp_le_u16_sdwa s[16:17], v18, v19 src0_sel:BYTE_0 src1_sel:BYTE_0
	s_and_b64 s[14:15], s[14:15], s[16:17]
	s_or_b64 s[12:13], s[12:13], s[14:15]
	v_cndmask_b32_e64 v17, v15, v14, s[12:13]
	v_cndmask_b32_e64 v5, v13, v12, s[12:13]
	v_add_u32_e32 v20, 1, v17
	v_add_u32_e32 v5, -1, v5
	v_min_u32_e32 v5, v20, v5
	v_add_u32_e32 v5, v11, v5
	ds_read_u8 v21, v5
	v_lshl_add_u32 v4, v4, 3, v9
	ds_read_b64 v[4:5], v4 offset:1024
	v_cndmask_b32_e64 v37, v16, v10, s[8:9]
	s_waitcnt lgkmcnt(1)
	v_cndmask_b32_e64 v24, v21, v18, s[12:13]
	v_cndmask_b32_e64 v25, v19, v21, s[12:13]
	;; [unrolled: 1-line block ×4, first 2 shown]
	v_cmp_lt_u32_e64 s[16:17], v20, v12
	v_cmp_le_u16_sdwa s[18:19], v24, v25 src0_sel:BYTE_0 src1_sel:BYTE_0
	v_cmp_ge_u32_e64 s[14:15], v21, v13
	s_and_b64 s[16:17], s[16:17], s[18:19]
	s_or_b64 s[14:15], s[14:15], s[16:17]
	v_cndmask_b32_e64 v14, v21, v20, s[14:15]
	v_cndmask_b32_e64 v15, v13, v12, s[14:15]
	v_add_u32_e32 v26, 1, v14
	v_add_u32_e32 v15, -1, v15
	v_min_u32_e32 v15, v26, v15
	v_add_u32_e32 v11, v11, v15
	ds_read_u8 v11, v11
	v_lshl_add_u32 v15, v17, 3, v9
	v_cndmask_b32_e64 v20, v20, v26, s[14:15]
	v_cndmask_b32_e64 v21, v26, v21, s[14:15]
	v_cmp_lt_u32_e64 s[18:19], v20, v12
	s_waitcnt lgkmcnt(0)
	v_cndmask_b32_e64 v17, v11, v24, s[14:15]
	v_cndmask_b32_e64 v11, v25, v11, s[14:15]
	v_cmp_le_u16_sdwa s[24:25], v17, v11 src0_sel:BYTE_0 src1_sel:BYTE_0
	v_cmp_ge_u32_e64 s[16:17], v21, v13
	s_and_b64 s[18:19], s[18:19], s[24:25]
	s_or_b64 s[16:17], s[16:17], s[18:19]
	v_cndmask_b32_e64 v12, v21, v20, s[16:17]
	v_lshl_add_u32 v14, v14, 3, v9
	v_lshl_add_u32 v9, v12, 3, v9
	ds_read_b64 v[22:23], v15 offset:1024
	ds_read_b64 v[14:15], v14 offset:1024
	;; [unrolled: 1-line block ×3, first 2 shown]
	v_cndmask_b32_e64 v26, v18, v19, s[12:13]
	v_cndmask_b32_e64 v27, v24, v25, s[14:15]
	;; [unrolled: 1-line block ×3, first 2 shown]
.LBB1556_95:
	s_or_b64 exec, exec, s[22:23]
	; wave barrier
	s_waitcnt lgkmcnt(0)
	s_barrier
.LBB1556_96:
	s_or_b64 exec, exec, s[20:21]
	v_add_co_u32_e64 v2, s[8:9], v2, v8
	v_addc_co_u32_e64 v3, s[8:9], 0, v3, s[8:9]
	v_add_co_u32_e64 v2, s[8:9], v2, v30
	v_addc_co_u32_e64 v3, s[8:9], 0, v3, s[8:9]
	; wave barrier
	s_and_saveexec_b64 s[8:9], vcc
	s_cbranch_execnz .LBB1556_106
; %bb.97:
	s_or_b64 exec, exec, s[8:9]
	s_and_saveexec_b64 s[8:9], s[4:5]
	s_cbranch_execnz .LBB1556_107
.LBB1556_98:
	s_or_b64 exec, exec, s[8:9]
	s_and_saveexec_b64 s[8:9], s[6:7]
	s_cbranch_execnz .LBB1556_108
.LBB1556_99:
	s_or_b64 exec, exec, s[8:9]
	s_and_saveexec_b64 s[8:9], s[10:11]
	s_cbranch_execz .LBB1556_101
.LBB1556_100:
	s_waitcnt vmcnt(0) lgkmcnt(0)
	flat_store_byte v[2:3], v36 offset:3
.LBB1556_101:
	s_or_b64 exec, exec, s[8:9]
	v_add_co_u32_e64 v0, s[8:9], v6, v0
	v_addc_co_u32_e64 v1, s[8:9], v7, v1, s[8:9]
	v_add_co_u32_e64 v0, s[8:9], v0, v34
	v_addc_co_u32_e64 v1, s[8:9], 0, v1, s[8:9]
	; wave barrier
	s_and_saveexec_b64 s[8:9], vcc
	s_cbranch_execnz .LBB1556_109
; %bb.102:
	s_or_b64 exec, exec, s[8:9]
	s_and_saveexec_b64 s[8:9], s[4:5]
	s_cbranch_execnz .LBB1556_110
.LBB1556_103:
	s_or_b64 exec, exec, s[8:9]
	s_and_saveexec_b64 s[4:5], s[6:7]
	s_cbranch_execnz .LBB1556_111
.LBB1556_104:
	s_or_b64 exec, exec, s[4:5]
	s_and_saveexec_b64 s[4:5], s[10:11]
	s_cbranch_execnz .LBB1556_112
.LBB1556_105:
	s_or_b64 exec, exec, s[4:5]
	s_waitcnt vmcnt(0) lgkmcnt(0)
	s_setpc_b64 s[30:31]
.LBB1556_106:
	s_waitcnt vmcnt(0) lgkmcnt(0)
	flat_store_byte v[2:3], v37
	s_or_b64 exec, exec, s[8:9]
	s_and_saveexec_b64 s[8:9], s[4:5]
	s_cbranch_execz .LBB1556_98
.LBB1556_107:
	s_waitcnt vmcnt(0) lgkmcnt(0)
	flat_store_byte v[2:3], v26 offset:1
	s_or_b64 exec, exec, s[8:9]
	s_and_saveexec_b64 s[8:9], s[6:7]
	s_cbranch_execz .LBB1556_99
.LBB1556_108:
	s_waitcnt vmcnt(0) lgkmcnt(0)
	flat_store_byte v[2:3], v27 offset:2
	s_or_b64 exec, exec, s[8:9]
	s_and_saveexec_b64 s[8:9], s[10:11]
	s_cbranch_execnz .LBB1556_100
	s_branch .LBB1556_101
.LBB1556_109:
	s_waitcnt vmcnt(0) lgkmcnt(0)
	flat_store_dwordx2 v[0:1], v[4:5]
	s_or_b64 exec, exec, s[8:9]
	s_and_saveexec_b64 s[8:9], s[4:5]
	s_cbranch_execz .LBB1556_103
.LBB1556_110:
	flat_store_dwordx2 v[0:1], v[22:23] offset:8
	s_or_b64 exec, exec, s[8:9]
	s_and_saveexec_b64 s[4:5], s[6:7]
	s_cbranch_execz .LBB1556_104
.LBB1556_111:
	flat_store_dwordx2 v[0:1], v[14:15] offset:16
	s_or_b64 exec, exec, s[4:5]
	s_and_saveexec_b64 s[4:5], s[10:11]
	s_cbranch_execz .LBB1556_105
.LBB1556_112:
	flat_store_dwordx2 v[0:1], v[20:21] offset:24
	s_or_b64 exec, exec, s[4:5]
	s_waitcnt vmcnt(0) lgkmcnt(0)
	s_setpc_b64 s[30:31]
.Lfunc_end1556:
	.size	_ZN7rocprim17ROCPRIM_400000_NS6detail26segmented_warp_sort_helperINS1_20WarpSortHelperConfigILj8ELj4ELj256EEEblLi256ELb1EvE4sortIPKbPbPKlPlEEvT_T0_T1_T2_jjjjRNS5_12storage_typeE, .Lfunc_end1556-_ZN7rocprim17ROCPRIM_400000_NS6detail26segmented_warp_sort_helperINS1_20WarpSortHelperConfigILj8ELj4ELj256EEEblLi256ELb1EvE4sortIPKbPbPKlPlEEvT_T0_T1_T2_jjjjRNS5_12storage_typeE
                                        ; -- End function
	.set .L_ZN7rocprim17ROCPRIM_400000_NS6detail26segmented_warp_sort_helperINS1_20WarpSortHelperConfigILj8ELj4ELj256EEEblLi256ELb1EvE4sortIPKbPbPKlPlEEvT_T0_T1_T2_jjjjRNS5_12storage_typeE.num_vgpr, 54
	.set .L_ZN7rocprim17ROCPRIM_400000_NS6detail26segmented_warp_sort_helperINS1_20WarpSortHelperConfigILj8ELj4ELj256EEEblLi256ELb1EvE4sortIPKbPbPKlPlEEvT_T0_T1_T2_jjjjRNS5_12storage_typeE.num_agpr, 0
	.set .L_ZN7rocprim17ROCPRIM_400000_NS6detail26segmented_warp_sort_helperINS1_20WarpSortHelperConfigILj8ELj4ELj256EEEblLi256ELb1EvE4sortIPKbPbPKlPlEEvT_T0_T1_T2_jjjjRNS5_12storage_typeE.numbered_sgpr, 33
	.set .L_ZN7rocprim17ROCPRIM_400000_NS6detail26segmented_warp_sort_helperINS1_20WarpSortHelperConfigILj8ELj4ELj256EEEblLi256ELb1EvE4sortIPKbPbPKlPlEEvT_T0_T1_T2_jjjjRNS5_12storage_typeE.num_named_barrier, 0
	.set .L_ZN7rocprim17ROCPRIM_400000_NS6detail26segmented_warp_sort_helperINS1_20WarpSortHelperConfigILj8ELj4ELj256EEEblLi256ELb1EvE4sortIPKbPbPKlPlEEvT_T0_T1_T2_jjjjRNS5_12storage_typeE.private_seg_size, 12
	.set .L_ZN7rocprim17ROCPRIM_400000_NS6detail26segmented_warp_sort_helperINS1_20WarpSortHelperConfigILj8ELj4ELj256EEEblLi256ELb1EvE4sortIPKbPbPKlPlEEvT_T0_T1_T2_jjjjRNS5_12storage_typeE.uses_vcc, 1
	.set .L_ZN7rocprim17ROCPRIM_400000_NS6detail26segmented_warp_sort_helperINS1_20WarpSortHelperConfigILj8ELj4ELj256EEEblLi256ELb1EvE4sortIPKbPbPKlPlEEvT_T0_T1_T2_jjjjRNS5_12storage_typeE.uses_flat_scratch, 0
	.set .L_ZN7rocprim17ROCPRIM_400000_NS6detail26segmented_warp_sort_helperINS1_20WarpSortHelperConfigILj8ELj4ELj256EEEblLi256ELb1EvE4sortIPKbPbPKlPlEEvT_T0_T1_T2_jjjjRNS5_12storage_typeE.has_dyn_sized_stack, 0
	.set .L_ZN7rocprim17ROCPRIM_400000_NS6detail26segmented_warp_sort_helperINS1_20WarpSortHelperConfigILj8ELj4ELj256EEEblLi256ELb1EvE4sortIPKbPbPKlPlEEvT_T0_T1_T2_jjjjRNS5_12storage_typeE.has_recursion, 0
	.set .L_ZN7rocprim17ROCPRIM_400000_NS6detail26segmented_warp_sort_helperINS1_20WarpSortHelperConfigILj8ELj4ELj256EEEblLi256ELb1EvE4sortIPKbPbPKlPlEEvT_T0_T1_T2_jjjjRNS5_12storage_typeE.has_indirect_call, 0
	.section	.AMDGPU.csdata,"",@progbits
; Function info:
; codeLenInByte = 7636
; TotalNumSgprs: 37
; NumVgprs: 54
; ScratchSize: 12
; MemoryBound: 1
	.section	.text._ZN7rocprim17ROCPRIM_400000_NS6detail17trampoline_kernelINS0_14default_configENS1_36segmented_radix_sort_config_selectorIblEEZNS1_25segmented_radix_sort_implIS3_Lb1EPKbPbPKlPlN2at6native12_GLOBAL__N_18offset_tEEE10hipError_tPvRmT1_PNSt15iterator_traitsISK_E10value_typeET2_T3_PNSL_ISQ_E10value_typeET4_jRbjT5_SW_jjP12ihipStream_tbEUlT_E1_NS1_11comp_targetILNS1_3genE2ELNS1_11target_archE906ELNS1_3gpuE6ELNS1_3repE0EEENS1_59segmented_radix_sort_warp_sort_small_config_static_selectorELNS0_4arch9wavefront6targetE1EEEvSK_,"axG",@progbits,_ZN7rocprim17ROCPRIM_400000_NS6detail17trampoline_kernelINS0_14default_configENS1_36segmented_radix_sort_config_selectorIblEEZNS1_25segmented_radix_sort_implIS3_Lb1EPKbPbPKlPlN2at6native12_GLOBAL__N_18offset_tEEE10hipError_tPvRmT1_PNSt15iterator_traitsISK_E10value_typeET2_T3_PNSL_ISQ_E10value_typeET4_jRbjT5_SW_jjP12ihipStream_tbEUlT_E1_NS1_11comp_targetILNS1_3genE2ELNS1_11target_archE906ELNS1_3gpuE6ELNS1_3repE0EEENS1_59segmented_radix_sort_warp_sort_small_config_static_selectorELNS0_4arch9wavefront6targetE1EEEvSK_,comdat
	.globl	_ZN7rocprim17ROCPRIM_400000_NS6detail17trampoline_kernelINS0_14default_configENS1_36segmented_radix_sort_config_selectorIblEEZNS1_25segmented_radix_sort_implIS3_Lb1EPKbPbPKlPlN2at6native12_GLOBAL__N_18offset_tEEE10hipError_tPvRmT1_PNSt15iterator_traitsISK_E10value_typeET2_T3_PNSL_ISQ_E10value_typeET4_jRbjT5_SW_jjP12ihipStream_tbEUlT_E1_NS1_11comp_targetILNS1_3genE2ELNS1_11target_archE906ELNS1_3gpuE6ELNS1_3repE0EEENS1_59segmented_radix_sort_warp_sort_small_config_static_selectorELNS0_4arch9wavefront6targetE1EEEvSK_ ; -- Begin function _ZN7rocprim17ROCPRIM_400000_NS6detail17trampoline_kernelINS0_14default_configENS1_36segmented_radix_sort_config_selectorIblEEZNS1_25segmented_radix_sort_implIS3_Lb1EPKbPbPKlPlN2at6native12_GLOBAL__N_18offset_tEEE10hipError_tPvRmT1_PNSt15iterator_traitsISK_E10value_typeET2_T3_PNSL_ISQ_E10value_typeET4_jRbjT5_SW_jjP12ihipStream_tbEUlT_E1_NS1_11comp_targetILNS1_3genE2ELNS1_11target_archE906ELNS1_3gpuE6ELNS1_3repE0EEENS1_59segmented_radix_sort_warp_sort_small_config_static_selectorELNS0_4arch9wavefront6targetE1EEEvSK_
	.p2align	8
	.type	_ZN7rocprim17ROCPRIM_400000_NS6detail17trampoline_kernelINS0_14default_configENS1_36segmented_radix_sort_config_selectorIblEEZNS1_25segmented_radix_sort_implIS3_Lb1EPKbPbPKlPlN2at6native12_GLOBAL__N_18offset_tEEE10hipError_tPvRmT1_PNSt15iterator_traitsISK_E10value_typeET2_T3_PNSL_ISQ_E10value_typeET4_jRbjT5_SW_jjP12ihipStream_tbEUlT_E1_NS1_11comp_targetILNS1_3genE2ELNS1_11target_archE906ELNS1_3gpuE6ELNS1_3repE0EEENS1_59segmented_radix_sort_warp_sort_small_config_static_selectorELNS0_4arch9wavefront6targetE1EEEvSK_,@function
_ZN7rocprim17ROCPRIM_400000_NS6detail17trampoline_kernelINS0_14default_configENS1_36segmented_radix_sort_config_selectorIblEEZNS1_25segmented_radix_sort_implIS3_Lb1EPKbPbPKlPlN2at6native12_GLOBAL__N_18offset_tEEE10hipError_tPvRmT1_PNSt15iterator_traitsISK_E10value_typeET2_T3_PNSL_ISQ_E10value_typeET4_jRbjT5_SW_jjP12ihipStream_tbEUlT_E1_NS1_11comp_targetILNS1_3genE2ELNS1_11target_archE906ELNS1_3gpuE6ELNS1_3repE0EEENS1_59segmented_radix_sort_warp_sort_small_config_static_selectorELNS0_4arch9wavefront6targetE1EEEvSK_: ; @_ZN7rocprim17ROCPRIM_400000_NS6detail17trampoline_kernelINS0_14default_configENS1_36segmented_radix_sort_config_selectorIblEEZNS1_25segmented_radix_sort_implIS3_Lb1EPKbPbPKlPlN2at6native12_GLOBAL__N_18offset_tEEE10hipError_tPvRmT1_PNSt15iterator_traitsISK_E10value_typeET2_T3_PNSL_ISQ_E10value_typeET4_jRbjT5_SW_jjP12ihipStream_tbEUlT_E1_NS1_11comp_targetILNS1_3genE2ELNS1_11target_archE906ELNS1_3gpuE6ELNS1_3repE0EEENS1_59segmented_radix_sort_warp_sort_small_config_static_selectorELNS0_4arch9wavefront6targetE1EEEvSK_
; %bb.0:
	s_add_u32 s0, s0, s8
	s_load_dword s8, s[4:5], 0x64
	s_addc_u32 s1, s1, 0
	s_mov_b32 s32, 0
	s_waitcnt lgkmcnt(0)
	s_lshr_b32 s9, s8, 16
	s_and_b32 s8, s8, 0xffff
	v_mad_u32_u24 v3, v2, s9, v1
	v_mad_u64_u32 v[3:4], s[8:9], v3, s8, v[0:1]
	s_load_dword s8, s[4:5], 0x34
	v_lshrrev_b32_e32 v3, 3, v3
	v_lshl_add_u32 v3, s6, 5, v3
	s_waitcnt lgkmcnt(0)
	v_cmp_gt_u32_e32 vcc, s8, v3
	s_and_saveexec_b64 s[8:9], vcc
	s_cbranch_execz .LBB1557_6
; %bb.1:
	s_load_dwordx2 s[12:13], s[4:5], 0x38
	s_load_dwordx4 s[8:11], s[4:5], 0x40
	v_mov_b32_e32 v4, 0
	v_lshlrev_b64 v[3:4], 2, v[3:4]
	s_waitcnt lgkmcnt(0)
	v_mov_b32_e32 v5, s13
	v_sub_co_u32_e32 v3, vcc, s12, v3
	v_subb_co_u32_e32 v4, vcc, v5, v4, vcc
	global_load_dword v3, v[3:4], off offset:-4
	s_waitcnt vmcnt(0)
	v_add_u32_e32 v4, s9, v3
	v_add_u32_e32 v3, s11, v3
	v_mul_lo_u32 v8, v4, s8
	v_mul_lo_u32 v40, v3, s10
	v_cmp_gt_u32_e32 vcc, v40, v8
	s_and_b64 exec, exec, vcc
	s_cbranch_execz .LBB1557_6
; %bb.2:
	s_load_dword s10, s[4:5], 0x30
	s_load_dwordx4 s[44:47], s[4:5], 0x20
	s_load_dwordx8 s[36:43], s[4:5], 0x0
	s_load_dwordx2 s[34:35], s[4:5], 0x50
	s_mov_b64 s[8:9], -1
	s_waitcnt lgkmcnt(0)
	s_bitcmp0_b32 s10, 0
	v_lshlrev_b32_e32 v42, 20, v2
	v_lshlrev_b32_e32 v43, 10, v1
	s_cbranch_scc0 .LBB1557_4
; %bb.3:
	s_add_u32 s8, s4, 0x58
	s_mov_b64 s[10:11], src_shared_base
	s_addc_u32 s9, s5, 0
	s_getpc_b64 s[14:15]
	s_add_u32 s14, s14, _ZN7rocprim17ROCPRIM_400000_NS6detail26segmented_warp_sort_helperINS1_20WarpSortHelperConfigILj8ELj4ELj256EEEblLi256ELb1EvE4sortIPKbPbPKlPlEEvT_T0_T1_T2_jjjjRNS5_12storage_typeE@rel32@lo+4
	s_addc_u32 s15, s15, _ZN7rocprim17ROCPRIM_400000_NS6detail26segmented_warp_sort_helperINS1_20WarpSortHelperConfigILj8ELj4ELj256EEEblLi256ELb1EvE4sortIPKbPbPKlPlEEvT_T0_T1_T2_jjjjRNS5_12storage_typeE@rel32@hi+12
	v_or3_b32 v31, v0, v43, v42
	s_mov_b32 s12, s6
	s_mov_b32 s13, s7
	v_mov_b32_e32 v41, v0
	v_mov_b32_e32 v0, s36
	;; [unrolled: 1-line block ×14, first 2 shown]
	s_mov_b64 s[38:39], s[4:5]
	s_mov_b32 s44, s7
	s_mov_b32 s33, s6
	s_swappc_b64 s[30:31], s[14:15]
	v_mov_b32_e32 v0, v41
	s_mov_b32 s6, s33
	s_mov_b32 s7, s44
	s_mov_b64 s[4:5], s[38:39]
	s_mov_b64 s[8:9], 0
.LBB1557_4:
	s_andn2_b64 vcc, exec, s[8:9]
	s_cbranch_vccnz .LBB1557_6
; %bb.5:
	s_add_u32 s8, s4, 0x58
	s_mov_b64 s[10:11], src_shared_base
	s_addc_u32 s9, s5, 0
	s_getpc_b64 s[4:5]
	s_add_u32 s4, s4, _ZN7rocprim17ROCPRIM_400000_NS6detail26segmented_warp_sort_helperINS1_20WarpSortHelperConfigILj8ELj4ELj256EEEblLi256ELb1EvE4sortIPKbPbPKlPlEEvT_T0_T1_T2_jjjjRNS5_12storage_typeE@rel32@lo+4
	s_addc_u32 s5, s5, _ZN7rocprim17ROCPRIM_400000_NS6detail26segmented_warp_sort_helperINS1_20WarpSortHelperConfigILj8ELj4ELj256EEEblLi256ELb1EvE4sortIPKbPbPKlPlEEvT_T0_T1_T2_jjjjRNS5_12storage_typeE@rel32@hi+12
	v_or3_b32 v31, v0, v43, v42
	s_mov_b32 s12, s6
	s_mov_b32 s13, s7
	v_mov_b32_e32 v0, s36
	v_mov_b32_e32 v1, s37
	;; [unrolled: 1-line block ×13, first 2 shown]
	s_swappc_b64 s[30:31], s[4:5]
.LBB1557_6:
	s_endpgm
	.section	.rodata,"a",@progbits
	.p2align	6, 0x0
	.amdhsa_kernel _ZN7rocprim17ROCPRIM_400000_NS6detail17trampoline_kernelINS0_14default_configENS1_36segmented_radix_sort_config_selectorIblEEZNS1_25segmented_radix_sort_implIS3_Lb1EPKbPbPKlPlN2at6native12_GLOBAL__N_18offset_tEEE10hipError_tPvRmT1_PNSt15iterator_traitsISK_E10value_typeET2_T3_PNSL_ISQ_E10value_typeET4_jRbjT5_SW_jjP12ihipStream_tbEUlT_E1_NS1_11comp_targetILNS1_3genE2ELNS1_11target_archE906ELNS1_3gpuE6ELNS1_3repE0EEENS1_59segmented_radix_sort_warp_sort_small_config_static_selectorELNS0_4arch9wavefront6targetE1EEEvSK_
		.amdhsa_group_segment_fixed_size 9216
		.amdhsa_private_segment_fixed_size 12
		.amdhsa_kernarg_size 344
		.amdhsa_user_sgpr_count 6
		.amdhsa_user_sgpr_private_segment_buffer 1
		.amdhsa_user_sgpr_dispatch_ptr 0
		.amdhsa_user_sgpr_queue_ptr 0
		.amdhsa_user_sgpr_kernarg_segment_ptr 1
		.amdhsa_user_sgpr_dispatch_id 0
		.amdhsa_user_sgpr_flat_scratch_init 0
		.amdhsa_user_sgpr_private_segment_size 0
		.amdhsa_uses_dynamic_stack 0
		.amdhsa_system_sgpr_private_segment_wavefront_offset 1
		.amdhsa_system_sgpr_workgroup_id_x 1
		.amdhsa_system_sgpr_workgroup_id_y 1
		.amdhsa_system_sgpr_workgroup_id_z 0
		.amdhsa_system_sgpr_workgroup_info 0
		.amdhsa_system_vgpr_workitem_id 2
		.amdhsa_next_free_vgpr 54
		.amdhsa_next_free_sgpr 77
		.amdhsa_reserve_vcc 1
		.amdhsa_reserve_flat_scratch 0
		.amdhsa_float_round_mode_32 0
		.amdhsa_float_round_mode_16_64 0
		.amdhsa_float_denorm_mode_32 3
		.amdhsa_float_denorm_mode_16_64 3
		.amdhsa_dx10_clamp 1
		.amdhsa_ieee_mode 1
		.amdhsa_fp16_overflow 0
		.amdhsa_exception_fp_ieee_invalid_op 0
		.amdhsa_exception_fp_denorm_src 0
		.amdhsa_exception_fp_ieee_div_zero 0
		.amdhsa_exception_fp_ieee_overflow 0
		.amdhsa_exception_fp_ieee_underflow 0
		.amdhsa_exception_fp_ieee_inexact 0
		.amdhsa_exception_int_div_zero 0
	.end_amdhsa_kernel
	.section	.text._ZN7rocprim17ROCPRIM_400000_NS6detail17trampoline_kernelINS0_14default_configENS1_36segmented_radix_sort_config_selectorIblEEZNS1_25segmented_radix_sort_implIS3_Lb1EPKbPbPKlPlN2at6native12_GLOBAL__N_18offset_tEEE10hipError_tPvRmT1_PNSt15iterator_traitsISK_E10value_typeET2_T3_PNSL_ISQ_E10value_typeET4_jRbjT5_SW_jjP12ihipStream_tbEUlT_E1_NS1_11comp_targetILNS1_3genE2ELNS1_11target_archE906ELNS1_3gpuE6ELNS1_3repE0EEENS1_59segmented_radix_sort_warp_sort_small_config_static_selectorELNS0_4arch9wavefront6targetE1EEEvSK_,"axG",@progbits,_ZN7rocprim17ROCPRIM_400000_NS6detail17trampoline_kernelINS0_14default_configENS1_36segmented_radix_sort_config_selectorIblEEZNS1_25segmented_radix_sort_implIS3_Lb1EPKbPbPKlPlN2at6native12_GLOBAL__N_18offset_tEEE10hipError_tPvRmT1_PNSt15iterator_traitsISK_E10value_typeET2_T3_PNSL_ISQ_E10value_typeET4_jRbjT5_SW_jjP12ihipStream_tbEUlT_E1_NS1_11comp_targetILNS1_3genE2ELNS1_11target_archE906ELNS1_3gpuE6ELNS1_3repE0EEENS1_59segmented_radix_sort_warp_sort_small_config_static_selectorELNS0_4arch9wavefront6targetE1EEEvSK_,comdat
.Lfunc_end1557:
	.size	_ZN7rocprim17ROCPRIM_400000_NS6detail17trampoline_kernelINS0_14default_configENS1_36segmented_radix_sort_config_selectorIblEEZNS1_25segmented_radix_sort_implIS3_Lb1EPKbPbPKlPlN2at6native12_GLOBAL__N_18offset_tEEE10hipError_tPvRmT1_PNSt15iterator_traitsISK_E10value_typeET2_T3_PNSL_ISQ_E10value_typeET4_jRbjT5_SW_jjP12ihipStream_tbEUlT_E1_NS1_11comp_targetILNS1_3genE2ELNS1_11target_archE906ELNS1_3gpuE6ELNS1_3repE0EEENS1_59segmented_radix_sort_warp_sort_small_config_static_selectorELNS0_4arch9wavefront6targetE1EEEvSK_, .Lfunc_end1557-_ZN7rocprim17ROCPRIM_400000_NS6detail17trampoline_kernelINS0_14default_configENS1_36segmented_radix_sort_config_selectorIblEEZNS1_25segmented_radix_sort_implIS3_Lb1EPKbPbPKlPlN2at6native12_GLOBAL__N_18offset_tEEE10hipError_tPvRmT1_PNSt15iterator_traitsISK_E10value_typeET2_T3_PNSL_ISQ_E10value_typeET4_jRbjT5_SW_jjP12ihipStream_tbEUlT_E1_NS1_11comp_targetILNS1_3genE2ELNS1_11target_archE906ELNS1_3gpuE6ELNS1_3repE0EEENS1_59segmented_radix_sort_warp_sort_small_config_static_selectorELNS0_4arch9wavefront6targetE1EEEvSK_
                                        ; -- End function
	.set _ZN7rocprim17ROCPRIM_400000_NS6detail17trampoline_kernelINS0_14default_configENS1_36segmented_radix_sort_config_selectorIblEEZNS1_25segmented_radix_sort_implIS3_Lb1EPKbPbPKlPlN2at6native12_GLOBAL__N_18offset_tEEE10hipError_tPvRmT1_PNSt15iterator_traitsISK_E10value_typeET2_T3_PNSL_ISQ_E10value_typeET4_jRbjT5_SW_jjP12ihipStream_tbEUlT_E1_NS1_11comp_targetILNS1_3genE2ELNS1_11target_archE906ELNS1_3gpuE6ELNS1_3repE0EEENS1_59segmented_radix_sort_warp_sort_small_config_static_selectorELNS0_4arch9wavefront6targetE1EEEvSK_.num_vgpr, max(44, .L_ZN7rocprim17ROCPRIM_400000_NS6detail26segmented_warp_sort_helperINS1_20WarpSortHelperConfigILj8ELj4ELj256EEEblLi256ELb1EvE4sortIPKbPbPKlPlEEvT_T0_T1_T2_jjjjRNS5_12storage_typeE.num_vgpr)
	.set _ZN7rocprim17ROCPRIM_400000_NS6detail17trampoline_kernelINS0_14default_configENS1_36segmented_radix_sort_config_selectorIblEEZNS1_25segmented_radix_sort_implIS3_Lb1EPKbPbPKlPlN2at6native12_GLOBAL__N_18offset_tEEE10hipError_tPvRmT1_PNSt15iterator_traitsISK_E10value_typeET2_T3_PNSL_ISQ_E10value_typeET4_jRbjT5_SW_jjP12ihipStream_tbEUlT_E1_NS1_11comp_targetILNS1_3genE2ELNS1_11target_archE906ELNS1_3gpuE6ELNS1_3repE0EEENS1_59segmented_radix_sort_warp_sort_small_config_static_selectorELNS0_4arch9wavefront6targetE1EEEvSK_.num_agpr, max(0, .L_ZN7rocprim17ROCPRIM_400000_NS6detail26segmented_warp_sort_helperINS1_20WarpSortHelperConfigILj8ELj4ELj256EEEblLi256ELb1EvE4sortIPKbPbPKlPlEEvT_T0_T1_T2_jjjjRNS5_12storage_typeE.num_agpr)
	.set _ZN7rocprim17ROCPRIM_400000_NS6detail17trampoline_kernelINS0_14default_configENS1_36segmented_radix_sort_config_selectorIblEEZNS1_25segmented_radix_sort_implIS3_Lb1EPKbPbPKlPlN2at6native12_GLOBAL__N_18offset_tEEE10hipError_tPvRmT1_PNSt15iterator_traitsISK_E10value_typeET2_T3_PNSL_ISQ_E10value_typeET4_jRbjT5_SW_jjP12ihipStream_tbEUlT_E1_NS1_11comp_targetILNS1_3genE2ELNS1_11target_archE906ELNS1_3gpuE6ELNS1_3repE0EEENS1_59segmented_radix_sort_warp_sort_small_config_static_selectorELNS0_4arch9wavefront6targetE1EEEvSK_.numbered_sgpr, max(48, .L_ZN7rocprim17ROCPRIM_400000_NS6detail26segmented_warp_sort_helperINS1_20WarpSortHelperConfigILj8ELj4ELj256EEEblLi256ELb1EvE4sortIPKbPbPKlPlEEvT_T0_T1_T2_jjjjRNS5_12storage_typeE.numbered_sgpr)
	.set _ZN7rocprim17ROCPRIM_400000_NS6detail17trampoline_kernelINS0_14default_configENS1_36segmented_radix_sort_config_selectorIblEEZNS1_25segmented_radix_sort_implIS3_Lb1EPKbPbPKlPlN2at6native12_GLOBAL__N_18offset_tEEE10hipError_tPvRmT1_PNSt15iterator_traitsISK_E10value_typeET2_T3_PNSL_ISQ_E10value_typeET4_jRbjT5_SW_jjP12ihipStream_tbEUlT_E1_NS1_11comp_targetILNS1_3genE2ELNS1_11target_archE906ELNS1_3gpuE6ELNS1_3repE0EEENS1_59segmented_radix_sort_warp_sort_small_config_static_selectorELNS0_4arch9wavefront6targetE1EEEvSK_.num_named_barrier, max(0, .L_ZN7rocprim17ROCPRIM_400000_NS6detail26segmented_warp_sort_helperINS1_20WarpSortHelperConfigILj8ELj4ELj256EEEblLi256ELb1EvE4sortIPKbPbPKlPlEEvT_T0_T1_T2_jjjjRNS5_12storage_typeE.num_named_barrier)
	.set _ZN7rocprim17ROCPRIM_400000_NS6detail17trampoline_kernelINS0_14default_configENS1_36segmented_radix_sort_config_selectorIblEEZNS1_25segmented_radix_sort_implIS3_Lb1EPKbPbPKlPlN2at6native12_GLOBAL__N_18offset_tEEE10hipError_tPvRmT1_PNSt15iterator_traitsISK_E10value_typeET2_T3_PNSL_ISQ_E10value_typeET4_jRbjT5_SW_jjP12ihipStream_tbEUlT_E1_NS1_11comp_targetILNS1_3genE2ELNS1_11target_archE906ELNS1_3gpuE6ELNS1_3repE0EEENS1_59segmented_radix_sort_warp_sort_small_config_static_selectorELNS0_4arch9wavefront6targetE1EEEvSK_.private_seg_size, 0+max(.L_ZN7rocprim17ROCPRIM_400000_NS6detail26segmented_warp_sort_helperINS1_20WarpSortHelperConfigILj8ELj4ELj256EEEblLi256ELb1EvE4sortIPKbPbPKlPlEEvT_T0_T1_T2_jjjjRNS5_12storage_typeE.private_seg_size)
	.set _ZN7rocprim17ROCPRIM_400000_NS6detail17trampoline_kernelINS0_14default_configENS1_36segmented_radix_sort_config_selectorIblEEZNS1_25segmented_radix_sort_implIS3_Lb1EPKbPbPKlPlN2at6native12_GLOBAL__N_18offset_tEEE10hipError_tPvRmT1_PNSt15iterator_traitsISK_E10value_typeET2_T3_PNSL_ISQ_E10value_typeET4_jRbjT5_SW_jjP12ihipStream_tbEUlT_E1_NS1_11comp_targetILNS1_3genE2ELNS1_11target_archE906ELNS1_3gpuE6ELNS1_3repE0EEENS1_59segmented_radix_sort_warp_sort_small_config_static_selectorELNS0_4arch9wavefront6targetE1EEEvSK_.uses_vcc, or(1, .L_ZN7rocprim17ROCPRIM_400000_NS6detail26segmented_warp_sort_helperINS1_20WarpSortHelperConfigILj8ELj4ELj256EEEblLi256ELb1EvE4sortIPKbPbPKlPlEEvT_T0_T1_T2_jjjjRNS5_12storage_typeE.uses_vcc)
	.set _ZN7rocprim17ROCPRIM_400000_NS6detail17trampoline_kernelINS0_14default_configENS1_36segmented_radix_sort_config_selectorIblEEZNS1_25segmented_radix_sort_implIS3_Lb1EPKbPbPKlPlN2at6native12_GLOBAL__N_18offset_tEEE10hipError_tPvRmT1_PNSt15iterator_traitsISK_E10value_typeET2_T3_PNSL_ISQ_E10value_typeET4_jRbjT5_SW_jjP12ihipStream_tbEUlT_E1_NS1_11comp_targetILNS1_3genE2ELNS1_11target_archE906ELNS1_3gpuE6ELNS1_3repE0EEENS1_59segmented_radix_sort_warp_sort_small_config_static_selectorELNS0_4arch9wavefront6targetE1EEEvSK_.uses_flat_scratch, or(0, .L_ZN7rocprim17ROCPRIM_400000_NS6detail26segmented_warp_sort_helperINS1_20WarpSortHelperConfigILj8ELj4ELj256EEEblLi256ELb1EvE4sortIPKbPbPKlPlEEvT_T0_T1_T2_jjjjRNS5_12storage_typeE.uses_flat_scratch)
	.set _ZN7rocprim17ROCPRIM_400000_NS6detail17trampoline_kernelINS0_14default_configENS1_36segmented_radix_sort_config_selectorIblEEZNS1_25segmented_radix_sort_implIS3_Lb1EPKbPbPKlPlN2at6native12_GLOBAL__N_18offset_tEEE10hipError_tPvRmT1_PNSt15iterator_traitsISK_E10value_typeET2_T3_PNSL_ISQ_E10value_typeET4_jRbjT5_SW_jjP12ihipStream_tbEUlT_E1_NS1_11comp_targetILNS1_3genE2ELNS1_11target_archE906ELNS1_3gpuE6ELNS1_3repE0EEENS1_59segmented_radix_sort_warp_sort_small_config_static_selectorELNS0_4arch9wavefront6targetE1EEEvSK_.has_dyn_sized_stack, or(0, .L_ZN7rocprim17ROCPRIM_400000_NS6detail26segmented_warp_sort_helperINS1_20WarpSortHelperConfigILj8ELj4ELj256EEEblLi256ELb1EvE4sortIPKbPbPKlPlEEvT_T0_T1_T2_jjjjRNS5_12storage_typeE.has_dyn_sized_stack)
	.set _ZN7rocprim17ROCPRIM_400000_NS6detail17trampoline_kernelINS0_14default_configENS1_36segmented_radix_sort_config_selectorIblEEZNS1_25segmented_radix_sort_implIS3_Lb1EPKbPbPKlPlN2at6native12_GLOBAL__N_18offset_tEEE10hipError_tPvRmT1_PNSt15iterator_traitsISK_E10value_typeET2_T3_PNSL_ISQ_E10value_typeET4_jRbjT5_SW_jjP12ihipStream_tbEUlT_E1_NS1_11comp_targetILNS1_3genE2ELNS1_11target_archE906ELNS1_3gpuE6ELNS1_3repE0EEENS1_59segmented_radix_sort_warp_sort_small_config_static_selectorELNS0_4arch9wavefront6targetE1EEEvSK_.has_recursion, or(0, .L_ZN7rocprim17ROCPRIM_400000_NS6detail26segmented_warp_sort_helperINS1_20WarpSortHelperConfigILj8ELj4ELj256EEEblLi256ELb1EvE4sortIPKbPbPKlPlEEvT_T0_T1_T2_jjjjRNS5_12storage_typeE.has_recursion)
	.set _ZN7rocprim17ROCPRIM_400000_NS6detail17trampoline_kernelINS0_14default_configENS1_36segmented_radix_sort_config_selectorIblEEZNS1_25segmented_radix_sort_implIS3_Lb1EPKbPbPKlPlN2at6native12_GLOBAL__N_18offset_tEEE10hipError_tPvRmT1_PNSt15iterator_traitsISK_E10value_typeET2_T3_PNSL_ISQ_E10value_typeET4_jRbjT5_SW_jjP12ihipStream_tbEUlT_E1_NS1_11comp_targetILNS1_3genE2ELNS1_11target_archE906ELNS1_3gpuE6ELNS1_3repE0EEENS1_59segmented_radix_sort_warp_sort_small_config_static_selectorELNS0_4arch9wavefront6targetE1EEEvSK_.has_indirect_call, or(0, .L_ZN7rocprim17ROCPRIM_400000_NS6detail26segmented_warp_sort_helperINS1_20WarpSortHelperConfigILj8ELj4ELj256EEEblLi256ELb1EvE4sortIPKbPbPKlPlEEvT_T0_T1_T2_jjjjRNS5_12storage_typeE.has_indirect_call)
	.section	.AMDGPU.csdata,"",@progbits
; Kernel info:
; codeLenInByte = 500
; TotalNumSgprs: 52
; NumVgprs: 54
; ScratchSize: 12
; MemoryBound: 0
; FloatMode: 240
; IeeeMode: 1
; LDSByteSize: 9216 bytes/workgroup (compile time only)
; SGPRBlocks: 10
; VGPRBlocks: 13
; NumSGPRsForWavesPerEU: 81
; NumVGPRsForWavesPerEU: 54
; Occupancy: 4
; WaveLimiterHint : 0
; COMPUTE_PGM_RSRC2:SCRATCH_EN: 1
; COMPUTE_PGM_RSRC2:USER_SGPR: 6
; COMPUTE_PGM_RSRC2:TRAP_HANDLER: 0
; COMPUTE_PGM_RSRC2:TGID_X_EN: 1
; COMPUTE_PGM_RSRC2:TGID_Y_EN: 1
; COMPUTE_PGM_RSRC2:TGID_Z_EN: 0
; COMPUTE_PGM_RSRC2:TIDIG_COMP_CNT: 2
	.section	.text._ZN7rocprim17ROCPRIM_400000_NS6detail17trampoline_kernelINS0_14default_configENS1_36segmented_radix_sort_config_selectorIblEEZNS1_25segmented_radix_sort_implIS3_Lb1EPKbPbPKlPlN2at6native12_GLOBAL__N_18offset_tEEE10hipError_tPvRmT1_PNSt15iterator_traitsISK_E10value_typeET2_T3_PNSL_ISQ_E10value_typeET4_jRbjT5_SW_jjP12ihipStream_tbEUlT_E1_NS1_11comp_targetILNS1_3genE10ELNS1_11target_archE1201ELNS1_3gpuE5ELNS1_3repE0EEENS1_59segmented_radix_sort_warp_sort_small_config_static_selectorELNS0_4arch9wavefront6targetE1EEEvSK_,"axG",@progbits,_ZN7rocprim17ROCPRIM_400000_NS6detail17trampoline_kernelINS0_14default_configENS1_36segmented_radix_sort_config_selectorIblEEZNS1_25segmented_radix_sort_implIS3_Lb1EPKbPbPKlPlN2at6native12_GLOBAL__N_18offset_tEEE10hipError_tPvRmT1_PNSt15iterator_traitsISK_E10value_typeET2_T3_PNSL_ISQ_E10value_typeET4_jRbjT5_SW_jjP12ihipStream_tbEUlT_E1_NS1_11comp_targetILNS1_3genE10ELNS1_11target_archE1201ELNS1_3gpuE5ELNS1_3repE0EEENS1_59segmented_radix_sort_warp_sort_small_config_static_selectorELNS0_4arch9wavefront6targetE1EEEvSK_,comdat
	.globl	_ZN7rocprim17ROCPRIM_400000_NS6detail17trampoline_kernelINS0_14default_configENS1_36segmented_radix_sort_config_selectorIblEEZNS1_25segmented_radix_sort_implIS3_Lb1EPKbPbPKlPlN2at6native12_GLOBAL__N_18offset_tEEE10hipError_tPvRmT1_PNSt15iterator_traitsISK_E10value_typeET2_T3_PNSL_ISQ_E10value_typeET4_jRbjT5_SW_jjP12ihipStream_tbEUlT_E1_NS1_11comp_targetILNS1_3genE10ELNS1_11target_archE1201ELNS1_3gpuE5ELNS1_3repE0EEENS1_59segmented_radix_sort_warp_sort_small_config_static_selectorELNS0_4arch9wavefront6targetE1EEEvSK_ ; -- Begin function _ZN7rocprim17ROCPRIM_400000_NS6detail17trampoline_kernelINS0_14default_configENS1_36segmented_radix_sort_config_selectorIblEEZNS1_25segmented_radix_sort_implIS3_Lb1EPKbPbPKlPlN2at6native12_GLOBAL__N_18offset_tEEE10hipError_tPvRmT1_PNSt15iterator_traitsISK_E10value_typeET2_T3_PNSL_ISQ_E10value_typeET4_jRbjT5_SW_jjP12ihipStream_tbEUlT_E1_NS1_11comp_targetILNS1_3genE10ELNS1_11target_archE1201ELNS1_3gpuE5ELNS1_3repE0EEENS1_59segmented_radix_sort_warp_sort_small_config_static_selectorELNS0_4arch9wavefront6targetE1EEEvSK_
	.p2align	8
	.type	_ZN7rocprim17ROCPRIM_400000_NS6detail17trampoline_kernelINS0_14default_configENS1_36segmented_radix_sort_config_selectorIblEEZNS1_25segmented_radix_sort_implIS3_Lb1EPKbPbPKlPlN2at6native12_GLOBAL__N_18offset_tEEE10hipError_tPvRmT1_PNSt15iterator_traitsISK_E10value_typeET2_T3_PNSL_ISQ_E10value_typeET4_jRbjT5_SW_jjP12ihipStream_tbEUlT_E1_NS1_11comp_targetILNS1_3genE10ELNS1_11target_archE1201ELNS1_3gpuE5ELNS1_3repE0EEENS1_59segmented_radix_sort_warp_sort_small_config_static_selectorELNS0_4arch9wavefront6targetE1EEEvSK_,@function
_ZN7rocprim17ROCPRIM_400000_NS6detail17trampoline_kernelINS0_14default_configENS1_36segmented_radix_sort_config_selectorIblEEZNS1_25segmented_radix_sort_implIS3_Lb1EPKbPbPKlPlN2at6native12_GLOBAL__N_18offset_tEEE10hipError_tPvRmT1_PNSt15iterator_traitsISK_E10value_typeET2_T3_PNSL_ISQ_E10value_typeET4_jRbjT5_SW_jjP12ihipStream_tbEUlT_E1_NS1_11comp_targetILNS1_3genE10ELNS1_11target_archE1201ELNS1_3gpuE5ELNS1_3repE0EEENS1_59segmented_radix_sort_warp_sort_small_config_static_selectorELNS0_4arch9wavefront6targetE1EEEvSK_: ; @_ZN7rocprim17ROCPRIM_400000_NS6detail17trampoline_kernelINS0_14default_configENS1_36segmented_radix_sort_config_selectorIblEEZNS1_25segmented_radix_sort_implIS3_Lb1EPKbPbPKlPlN2at6native12_GLOBAL__N_18offset_tEEE10hipError_tPvRmT1_PNSt15iterator_traitsISK_E10value_typeET2_T3_PNSL_ISQ_E10value_typeET4_jRbjT5_SW_jjP12ihipStream_tbEUlT_E1_NS1_11comp_targetILNS1_3genE10ELNS1_11target_archE1201ELNS1_3gpuE5ELNS1_3repE0EEENS1_59segmented_radix_sort_warp_sort_small_config_static_selectorELNS0_4arch9wavefront6targetE1EEEvSK_
; %bb.0:
	.section	.rodata,"a",@progbits
	.p2align	6, 0x0
	.amdhsa_kernel _ZN7rocprim17ROCPRIM_400000_NS6detail17trampoline_kernelINS0_14default_configENS1_36segmented_radix_sort_config_selectorIblEEZNS1_25segmented_radix_sort_implIS3_Lb1EPKbPbPKlPlN2at6native12_GLOBAL__N_18offset_tEEE10hipError_tPvRmT1_PNSt15iterator_traitsISK_E10value_typeET2_T3_PNSL_ISQ_E10value_typeET4_jRbjT5_SW_jjP12ihipStream_tbEUlT_E1_NS1_11comp_targetILNS1_3genE10ELNS1_11target_archE1201ELNS1_3gpuE5ELNS1_3repE0EEENS1_59segmented_radix_sort_warp_sort_small_config_static_selectorELNS0_4arch9wavefront6targetE1EEEvSK_
		.amdhsa_group_segment_fixed_size 0
		.amdhsa_private_segment_fixed_size 0
		.amdhsa_kernarg_size 88
		.amdhsa_user_sgpr_count 6
		.amdhsa_user_sgpr_private_segment_buffer 1
		.amdhsa_user_sgpr_dispatch_ptr 0
		.amdhsa_user_sgpr_queue_ptr 0
		.amdhsa_user_sgpr_kernarg_segment_ptr 1
		.amdhsa_user_sgpr_dispatch_id 0
		.amdhsa_user_sgpr_flat_scratch_init 0
		.amdhsa_user_sgpr_private_segment_size 0
		.amdhsa_uses_dynamic_stack 0
		.amdhsa_system_sgpr_private_segment_wavefront_offset 0
		.amdhsa_system_sgpr_workgroup_id_x 1
		.amdhsa_system_sgpr_workgroup_id_y 0
		.amdhsa_system_sgpr_workgroup_id_z 0
		.amdhsa_system_sgpr_workgroup_info 0
		.amdhsa_system_vgpr_workitem_id 0
		.amdhsa_next_free_vgpr 1
		.amdhsa_next_free_sgpr 0
		.amdhsa_reserve_vcc 0
		.amdhsa_reserve_flat_scratch 0
		.amdhsa_float_round_mode_32 0
		.amdhsa_float_round_mode_16_64 0
		.amdhsa_float_denorm_mode_32 3
		.amdhsa_float_denorm_mode_16_64 3
		.amdhsa_dx10_clamp 1
		.amdhsa_ieee_mode 1
		.amdhsa_fp16_overflow 0
		.amdhsa_exception_fp_ieee_invalid_op 0
		.amdhsa_exception_fp_denorm_src 0
		.amdhsa_exception_fp_ieee_div_zero 0
		.amdhsa_exception_fp_ieee_overflow 0
		.amdhsa_exception_fp_ieee_underflow 0
		.amdhsa_exception_fp_ieee_inexact 0
		.amdhsa_exception_int_div_zero 0
	.end_amdhsa_kernel
	.section	.text._ZN7rocprim17ROCPRIM_400000_NS6detail17trampoline_kernelINS0_14default_configENS1_36segmented_radix_sort_config_selectorIblEEZNS1_25segmented_radix_sort_implIS3_Lb1EPKbPbPKlPlN2at6native12_GLOBAL__N_18offset_tEEE10hipError_tPvRmT1_PNSt15iterator_traitsISK_E10value_typeET2_T3_PNSL_ISQ_E10value_typeET4_jRbjT5_SW_jjP12ihipStream_tbEUlT_E1_NS1_11comp_targetILNS1_3genE10ELNS1_11target_archE1201ELNS1_3gpuE5ELNS1_3repE0EEENS1_59segmented_radix_sort_warp_sort_small_config_static_selectorELNS0_4arch9wavefront6targetE1EEEvSK_,"axG",@progbits,_ZN7rocprim17ROCPRIM_400000_NS6detail17trampoline_kernelINS0_14default_configENS1_36segmented_radix_sort_config_selectorIblEEZNS1_25segmented_radix_sort_implIS3_Lb1EPKbPbPKlPlN2at6native12_GLOBAL__N_18offset_tEEE10hipError_tPvRmT1_PNSt15iterator_traitsISK_E10value_typeET2_T3_PNSL_ISQ_E10value_typeET4_jRbjT5_SW_jjP12ihipStream_tbEUlT_E1_NS1_11comp_targetILNS1_3genE10ELNS1_11target_archE1201ELNS1_3gpuE5ELNS1_3repE0EEENS1_59segmented_radix_sort_warp_sort_small_config_static_selectorELNS0_4arch9wavefront6targetE1EEEvSK_,comdat
.Lfunc_end1558:
	.size	_ZN7rocprim17ROCPRIM_400000_NS6detail17trampoline_kernelINS0_14default_configENS1_36segmented_radix_sort_config_selectorIblEEZNS1_25segmented_radix_sort_implIS3_Lb1EPKbPbPKlPlN2at6native12_GLOBAL__N_18offset_tEEE10hipError_tPvRmT1_PNSt15iterator_traitsISK_E10value_typeET2_T3_PNSL_ISQ_E10value_typeET4_jRbjT5_SW_jjP12ihipStream_tbEUlT_E1_NS1_11comp_targetILNS1_3genE10ELNS1_11target_archE1201ELNS1_3gpuE5ELNS1_3repE0EEENS1_59segmented_radix_sort_warp_sort_small_config_static_selectorELNS0_4arch9wavefront6targetE1EEEvSK_, .Lfunc_end1558-_ZN7rocprim17ROCPRIM_400000_NS6detail17trampoline_kernelINS0_14default_configENS1_36segmented_radix_sort_config_selectorIblEEZNS1_25segmented_radix_sort_implIS3_Lb1EPKbPbPKlPlN2at6native12_GLOBAL__N_18offset_tEEE10hipError_tPvRmT1_PNSt15iterator_traitsISK_E10value_typeET2_T3_PNSL_ISQ_E10value_typeET4_jRbjT5_SW_jjP12ihipStream_tbEUlT_E1_NS1_11comp_targetILNS1_3genE10ELNS1_11target_archE1201ELNS1_3gpuE5ELNS1_3repE0EEENS1_59segmented_radix_sort_warp_sort_small_config_static_selectorELNS0_4arch9wavefront6targetE1EEEvSK_
                                        ; -- End function
	.set _ZN7rocprim17ROCPRIM_400000_NS6detail17trampoline_kernelINS0_14default_configENS1_36segmented_radix_sort_config_selectorIblEEZNS1_25segmented_radix_sort_implIS3_Lb1EPKbPbPKlPlN2at6native12_GLOBAL__N_18offset_tEEE10hipError_tPvRmT1_PNSt15iterator_traitsISK_E10value_typeET2_T3_PNSL_ISQ_E10value_typeET4_jRbjT5_SW_jjP12ihipStream_tbEUlT_E1_NS1_11comp_targetILNS1_3genE10ELNS1_11target_archE1201ELNS1_3gpuE5ELNS1_3repE0EEENS1_59segmented_radix_sort_warp_sort_small_config_static_selectorELNS0_4arch9wavefront6targetE1EEEvSK_.num_vgpr, 0
	.set _ZN7rocprim17ROCPRIM_400000_NS6detail17trampoline_kernelINS0_14default_configENS1_36segmented_radix_sort_config_selectorIblEEZNS1_25segmented_radix_sort_implIS3_Lb1EPKbPbPKlPlN2at6native12_GLOBAL__N_18offset_tEEE10hipError_tPvRmT1_PNSt15iterator_traitsISK_E10value_typeET2_T3_PNSL_ISQ_E10value_typeET4_jRbjT5_SW_jjP12ihipStream_tbEUlT_E1_NS1_11comp_targetILNS1_3genE10ELNS1_11target_archE1201ELNS1_3gpuE5ELNS1_3repE0EEENS1_59segmented_radix_sort_warp_sort_small_config_static_selectorELNS0_4arch9wavefront6targetE1EEEvSK_.num_agpr, 0
	.set _ZN7rocprim17ROCPRIM_400000_NS6detail17trampoline_kernelINS0_14default_configENS1_36segmented_radix_sort_config_selectorIblEEZNS1_25segmented_radix_sort_implIS3_Lb1EPKbPbPKlPlN2at6native12_GLOBAL__N_18offset_tEEE10hipError_tPvRmT1_PNSt15iterator_traitsISK_E10value_typeET2_T3_PNSL_ISQ_E10value_typeET4_jRbjT5_SW_jjP12ihipStream_tbEUlT_E1_NS1_11comp_targetILNS1_3genE10ELNS1_11target_archE1201ELNS1_3gpuE5ELNS1_3repE0EEENS1_59segmented_radix_sort_warp_sort_small_config_static_selectorELNS0_4arch9wavefront6targetE1EEEvSK_.numbered_sgpr, 0
	.set _ZN7rocprim17ROCPRIM_400000_NS6detail17trampoline_kernelINS0_14default_configENS1_36segmented_radix_sort_config_selectorIblEEZNS1_25segmented_radix_sort_implIS3_Lb1EPKbPbPKlPlN2at6native12_GLOBAL__N_18offset_tEEE10hipError_tPvRmT1_PNSt15iterator_traitsISK_E10value_typeET2_T3_PNSL_ISQ_E10value_typeET4_jRbjT5_SW_jjP12ihipStream_tbEUlT_E1_NS1_11comp_targetILNS1_3genE10ELNS1_11target_archE1201ELNS1_3gpuE5ELNS1_3repE0EEENS1_59segmented_radix_sort_warp_sort_small_config_static_selectorELNS0_4arch9wavefront6targetE1EEEvSK_.num_named_barrier, 0
	.set _ZN7rocprim17ROCPRIM_400000_NS6detail17trampoline_kernelINS0_14default_configENS1_36segmented_radix_sort_config_selectorIblEEZNS1_25segmented_radix_sort_implIS3_Lb1EPKbPbPKlPlN2at6native12_GLOBAL__N_18offset_tEEE10hipError_tPvRmT1_PNSt15iterator_traitsISK_E10value_typeET2_T3_PNSL_ISQ_E10value_typeET4_jRbjT5_SW_jjP12ihipStream_tbEUlT_E1_NS1_11comp_targetILNS1_3genE10ELNS1_11target_archE1201ELNS1_3gpuE5ELNS1_3repE0EEENS1_59segmented_radix_sort_warp_sort_small_config_static_selectorELNS0_4arch9wavefront6targetE1EEEvSK_.private_seg_size, 0
	.set _ZN7rocprim17ROCPRIM_400000_NS6detail17trampoline_kernelINS0_14default_configENS1_36segmented_radix_sort_config_selectorIblEEZNS1_25segmented_radix_sort_implIS3_Lb1EPKbPbPKlPlN2at6native12_GLOBAL__N_18offset_tEEE10hipError_tPvRmT1_PNSt15iterator_traitsISK_E10value_typeET2_T3_PNSL_ISQ_E10value_typeET4_jRbjT5_SW_jjP12ihipStream_tbEUlT_E1_NS1_11comp_targetILNS1_3genE10ELNS1_11target_archE1201ELNS1_3gpuE5ELNS1_3repE0EEENS1_59segmented_radix_sort_warp_sort_small_config_static_selectorELNS0_4arch9wavefront6targetE1EEEvSK_.uses_vcc, 0
	.set _ZN7rocprim17ROCPRIM_400000_NS6detail17trampoline_kernelINS0_14default_configENS1_36segmented_radix_sort_config_selectorIblEEZNS1_25segmented_radix_sort_implIS3_Lb1EPKbPbPKlPlN2at6native12_GLOBAL__N_18offset_tEEE10hipError_tPvRmT1_PNSt15iterator_traitsISK_E10value_typeET2_T3_PNSL_ISQ_E10value_typeET4_jRbjT5_SW_jjP12ihipStream_tbEUlT_E1_NS1_11comp_targetILNS1_3genE10ELNS1_11target_archE1201ELNS1_3gpuE5ELNS1_3repE0EEENS1_59segmented_radix_sort_warp_sort_small_config_static_selectorELNS0_4arch9wavefront6targetE1EEEvSK_.uses_flat_scratch, 0
	.set _ZN7rocprim17ROCPRIM_400000_NS6detail17trampoline_kernelINS0_14default_configENS1_36segmented_radix_sort_config_selectorIblEEZNS1_25segmented_radix_sort_implIS3_Lb1EPKbPbPKlPlN2at6native12_GLOBAL__N_18offset_tEEE10hipError_tPvRmT1_PNSt15iterator_traitsISK_E10value_typeET2_T3_PNSL_ISQ_E10value_typeET4_jRbjT5_SW_jjP12ihipStream_tbEUlT_E1_NS1_11comp_targetILNS1_3genE10ELNS1_11target_archE1201ELNS1_3gpuE5ELNS1_3repE0EEENS1_59segmented_radix_sort_warp_sort_small_config_static_selectorELNS0_4arch9wavefront6targetE1EEEvSK_.has_dyn_sized_stack, 0
	.set _ZN7rocprim17ROCPRIM_400000_NS6detail17trampoline_kernelINS0_14default_configENS1_36segmented_radix_sort_config_selectorIblEEZNS1_25segmented_radix_sort_implIS3_Lb1EPKbPbPKlPlN2at6native12_GLOBAL__N_18offset_tEEE10hipError_tPvRmT1_PNSt15iterator_traitsISK_E10value_typeET2_T3_PNSL_ISQ_E10value_typeET4_jRbjT5_SW_jjP12ihipStream_tbEUlT_E1_NS1_11comp_targetILNS1_3genE10ELNS1_11target_archE1201ELNS1_3gpuE5ELNS1_3repE0EEENS1_59segmented_radix_sort_warp_sort_small_config_static_selectorELNS0_4arch9wavefront6targetE1EEEvSK_.has_recursion, 0
	.set _ZN7rocprim17ROCPRIM_400000_NS6detail17trampoline_kernelINS0_14default_configENS1_36segmented_radix_sort_config_selectorIblEEZNS1_25segmented_radix_sort_implIS3_Lb1EPKbPbPKlPlN2at6native12_GLOBAL__N_18offset_tEEE10hipError_tPvRmT1_PNSt15iterator_traitsISK_E10value_typeET2_T3_PNSL_ISQ_E10value_typeET4_jRbjT5_SW_jjP12ihipStream_tbEUlT_E1_NS1_11comp_targetILNS1_3genE10ELNS1_11target_archE1201ELNS1_3gpuE5ELNS1_3repE0EEENS1_59segmented_radix_sort_warp_sort_small_config_static_selectorELNS0_4arch9wavefront6targetE1EEEvSK_.has_indirect_call, 0
	.section	.AMDGPU.csdata,"",@progbits
; Kernel info:
; codeLenInByte = 0
; TotalNumSgprs: 4
; NumVgprs: 0
; ScratchSize: 0
; MemoryBound: 0
; FloatMode: 240
; IeeeMode: 1
; LDSByteSize: 0 bytes/workgroup (compile time only)
; SGPRBlocks: 0
; VGPRBlocks: 0
; NumSGPRsForWavesPerEU: 4
; NumVGPRsForWavesPerEU: 1
; Occupancy: 10
; WaveLimiterHint : 0
; COMPUTE_PGM_RSRC2:SCRATCH_EN: 0
; COMPUTE_PGM_RSRC2:USER_SGPR: 6
; COMPUTE_PGM_RSRC2:TRAP_HANDLER: 0
; COMPUTE_PGM_RSRC2:TGID_X_EN: 1
; COMPUTE_PGM_RSRC2:TGID_Y_EN: 0
; COMPUTE_PGM_RSRC2:TGID_Z_EN: 0
; COMPUTE_PGM_RSRC2:TIDIG_COMP_CNT: 0
	.section	.text._ZN7rocprim17ROCPRIM_400000_NS6detail17trampoline_kernelINS0_14default_configENS1_36segmented_radix_sort_config_selectorIblEEZNS1_25segmented_radix_sort_implIS3_Lb1EPKbPbPKlPlN2at6native12_GLOBAL__N_18offset_tEEE10hipError_tPvRmT1_PNSt15iterator_traitsISK_E10value_typeET2_T3_PNSL_ISQ_E10value_typeET4_jRbjT5_SW_jjP12ihipStream_tbEUlT_E1_NS1_11comp_targetILNS1_3genE10ELNS1_11target_archE1200ELNS1_3gpuE4ELNS1_3repE0EEENS1_59segmented_radix_sort_warp_sort_small_config_static_selectorELNS0_4arch9wavefront6targetE1EEEvSK_,"axG",@progbits,_ZN7rocprim17ROCPRIM_400000_NS6detail17trampoline_kernelINS0_14default_configENS1_36segmented_radix_sort_config_selectorIblEEZNS1_25segmented_radix_sort_implIS3_Lb1EPKbPbPKlPlN2at6native12_GLOBAL__N_18offset_tEEE10hipError_tPvRmT1_PNSt15iterator_traitsISK_E10value_typeET2_T3_PNSL_ISQ_E10value_typeET4_jRbjT5_SW_jjP12ihipStream_tbEUlT_E1_NS1_11comp_targetILNS1_3genE10ELNS1_11target_archE1200ELNS1_3gpuE4ELNS1_3repE0EEENS1_59segmented_radix_sort_warp_sort_small_config_static_selectorELNS0_4arch9wavefront6targetE1EEEvSK_,comdat
	.globl	_ZN7rocprim17ROCPRIM_400000_NS6detail17trampoline_kernelINS0_14default_configENS1_36segmented_radix_sort_config_selectorIblEEZNS1_25segmented_radix_sort_implIS3_Lb1EPKbPbPKlPlN2at6native12_GLOBAL__N_18offset_tEEE10hipError_tPvRmT1_PNSt15iterator_traitsISK_E10value_typeET2_T3_PNSL_ISQ_E10value_typeET4_jRbjT5_SW_jjP12ihipStream_tbEUlT_E1_NS1_11comp_targetILNS1_3genE10ELNS1_11target_archE1200ELNS1_3gpuE4ELNS1_3repE0EEENS1_59segmented_radix_sort_warp_sort_small_config_static_selectorELNS0_4arch9wavefront6targetE1EEEvSK_ ; -- Begin function _ZN7rocprim17ROCPRIM_400000_NS6detail17trampoline_kernelINS0_14default_configENS1_36segmented_radix_sort_config_selectorIblEEZNS1_25segmented_radix_sort_implIS3_Lb1EPKbPbPKlPlN2at6native12_GLOBAL__N_18offset_tEEE10hipError_tPvRmT1_PNSt15iterator_traitsISK_E10value_typeET2_T3_PNSL_ISQ_E10value_typeET4_jRbjT5_SW_jjP12ihipStream_tbEUlT_E1_NS1_11comp_targetILNS1_3genE10ELNS1_11target_archE1200ELNS1_3gpuE4ELNS1_3repE0EEENS1_59segmented_radix_sort_warp_sort_small_config_static_selectorELNS0_4arch9wavefront6targetE1EEEvSK_
	.p2align	8
	.type	_ZN7rocprim17ROCPRIM_400000_NS6detail17trampoline_kernelINS0_14default_configENS1_36segmented_radix_sort_config_selectorIblEEZNS1_25segmented_radix_sort_implIS3_Lb1EPKbPbPKlPlN2at6native12_GLOBAL__N_18offset_tEEE10hipError_tPvRmT1_PNSt15iterator_traitsISK_E10value_typeET2_T3_PNSL_ISQ_E10value_typeET4_jRbjT5_SW_jjP12ihipStream_tbEUlT_E1_NS1_11comp_targetILNS1_3genE10ELNS1_11target_archE1200ELNS1_3gpuE4ELNS1_3repE0EEENS1_59segmented_radix_sort_warp_sort_small_config_static_selectorELNS0_4arch9wavefront6targetE1EEEvSK_,@function
_ZN7rocprim17ROCPRIM_400000_NS6detail17trampoline_kernelINS0_14default_configENS1_36segmented_radix_sort_config_selectorIblEEZNS1_25segmented_radix_sort_implIS3_Lb1EPKbPbPKlPlN2at6native12_GLOBAL__N_18offset_tEEE10hipError_tPvRmT1_PNSt15iterator_traitsISK_E10value_typeET2_T3_PNSL_ISQ_E10value_typeET4_jRbjT5_SW_jjP12ihipStream_tbEUlT_E1_NS1_11comp_targetILNS1_3genE10ELNS1_11target_archE1200ELNS1_3gpuE4ELNS1_3repE0EEENS1_59segmented_radix_sort_warp_sort_small_config_static_selectorELNS0_4arch9wavefront6targetE1EEEvSK_: ; @_ZN7rocprim17ROCPRIM_400000_NS6detail17trampoline_kernelINS0_14default_configENS1_36segmented_radix_sort_config_selectorIblEEZNS1_25segmented_radix_sort_implIS3_Lb1EPKbPbPKlPlN2at6native12_GLOBAL__N_18offset_tEEE10hipError_tPvRmT1_PNSt15iterator_traitsISK_E10value_typeET2_T3_PNSL_ISQ_E10value_typeET4_jRbjT5_SW_jjP12ihipStream_tbEUlT_E1_NS1_11comp_targetILNS1_3genE10ELNS1_11target_archE1200ELNS1_3gpuE4ELNS1_3repE0EEENS1_59segmented_radix_sort_warp_sort_small_config_static_selectorELNS0_4arch9wavefront6targetE1EEEvSK_
; %bb.0:
	.section	.rodata,"a",@progbits
	.p2align	6, 0x0
	.amdhsa_kernel _ZN7rocprim17ROCPRIM_400000_NS6detail17trampoline_kernelINS0_14default_configENS1_36segmented_radix_sort_config_selectorIblEEZNS1_25segmented_radix_sort_implIS3_Lb1EPKbPbPKlPlN2at6native12_GLOBAL__N_18offset_tEEE10hipError_tPvRmT1_PNSt15iterator_traitsISK_E10value_typeET2_T3_PNSL_ISQ_E10value_typeET4_jRbjT5_SW_jjP12ihipStream_tbEUlT_E1_NS1_11comp_targetILNS1_3genE10ELNS1_11target_archE1200ELNS1_3gpuE4ELNS1_3repE0EEENS1_59segmented_radix_sort_warp_sort_small_config_static_selectorELNS0_4arch9wavefront6targetE1EEEvSK_
		.amdhsa_group_segment_fixed_size 0
		.amdhsa_private_segment_fixed_size 0
		.amdhsa_kernarg_size 88
		.amdhsa_user_sgpr_count 6
		.amdhsa_user_sgpr_private_segment_buffer 1
		.amdhsa_user_sgpr_dispatch_ptr 0
		.amdhsa_user_sgpr_queue_ptr 0
		.amdhsa_user_sgpr_kernarg_segment_ptr 1
		.amdhsa_user_sgpr_dispatch_id 0
		.amdhsa_user_sgpr_flat_scratch_init 0
		.amdhsa_user_sgpr_private_segment_size 0
		.amdhsa_uses_dynamic_stack 0
		.amdhsa_system_sgpr_private_segment_wavefront_offset 0
		.amdhsa_system_sgpr_workgroup_id_x 1
		.amdhsa_system_sgpr_workgroup_id_y 0
		.amdhsa_system_sgpr_workgroup_id_z 0
		.amdhsa_system_sgpr_workgroup_info 0
		.amdhsa_system_vgpr_workitem_id 0
		.amdhsa_next_free_vgpr 1
		.amdhsa_next_free_sgpr 0
		.amdhsa_reserve_vcc 0
		.amdhsa_reserve_flat_scratch 0
		.amdhsa_float_round_mode_32 0
		.amdhsa_float_round_mode_16_64 0
		.amdhsa_float_denorm_mode_32 3
		.amdhsa_float_denorm_mode_16_64 3
		.amdhsa_dx10_clamp 1
		.amdhsa_ieee_mode 1
		.amdhsa_fp16_overflow 0
		.amdhsa_exception_fp_ieee_invalid_op 0
		.amdhsa_exception_fp_denorm_src 0
		.amdhsa_exception_fp_ieee_div_zero 0
		.amdhsa_exception_fp_ieee_overflow 0
		.amdhsa_exception_fp_ieee_underflow 0
		.amdhsa_exception_fp_ieee_inexact 0
		.amdhsa_exception_int_div_zero 0
	.end_amdhsa_kernel
	.section	.text._ZN7rocprim17ROCPRIM_400000_NS6detail17trampoline_kernelINS0_14default_configENS1_36segmented_radix_sort_config_selectorIblEEZNS1_25segmented_radix_sort_implIS3_Lb1EPKbPbPKlPlN2at6native12_GLOBAL__N_18offset_tEEE10hipError_tPvRmT1_PNSt15iterator_traitsISK_E10value_typeET2_T3_PNSL_ISQ_E10value_typeET4_jRbjT5_SW_jjP12ihipStream_tbEUlT_E1_NS1_11comp_targetILNS1_3genE10ELNS1_11target_archE1200ELNS1_3gpuE4ELNS1_3repE0EEENS1_59segmented_radix_sort_warp_sort_small_config_static_selectorELNS0_4arch9wavefront6targetE1EEEvSK_,"axG",@progbits,_ZN7rocprim17ROCPRIM_400000_NS6detail17trampoline_kernelINS0_14default_configENS1_36segmented_radix_sort_config_selectorIblEEZNS1_25segmented_radix_sort_implIS3_Lb1EPKbPbPKlPlN2at6native12_GLOBAL__N_18offset_tEEE10hipError_tPvRmT1_PNSt15iterator_traitsISK_E10value_typeET2_T3_PNSL_ISQ_E10value_typeET4_jRbjT5_SW_jjP12ihipStream_tbEUlT_E1_NS1_11comp_targetILNS1_3genE10ELNS1_11target_archE1200ELNS1_3gpuE4ELNS1_3repE0EEENS1_59segmented_radix_sort_warp_sort_small_config_static_selectorELNS0_4arch9wavefront6targetE1EEEvSK_,comdat
.Lfunc_end1559:
	.size	_ZN7rocprim17ROCPRIM_400000_NS6detail17trampoline_kernelINS0_14default_configENS1_36segmented_radix_sort_config_selectorIblEEZNS1_25segmented_radix_sort_implIS3_Lb1EPKbPbPKlPlN2at6native12_GLOBAL__N_18offset_tEEE10hipError_tPvRmT1_PNSt15iterator_traitsISK_E10value_typeET2_T3_PNSL_ISQ_E10value_typeET4_jRbjT5_SW_jjP12ihipStream_tbEUlT_E1_NS1_11comp_targetILNS1_3genE10ELNS1_11target_archE1200ELNS1_3gpuE4ELNS1_3repE0EEENS1_59segmented_radix_sort_warp_sort_small_config_static_selectorELNS0_4arch9wavefront6targetE1EEEvSK_, .Lfunc_end1559-_ZN7rocprim17ROCPRIM_400000_NS6detail17trampoline_kernelINS0_14default_configENS1_36segmented_radix_sort_config_selectorIblEEZNS1_25segmented_radix_sort_implIS3_Lb1EPKbPbPKlPlN2at6native12_GLOBAL__N_18offset_tEEE10hipError_tPvRmT1_PNSt15iterator_traitsISK_E10value_typeET2_T3_PNSL_ISQ_E10value_typeET4_jRbjT5_SW_jjP12ihipStream_tbEUlT_E1_NS1_11comp_targetILNS1_3genE10ELNS1_11target_archE1200ELNS1_3gpuE4ELNS1_3repE0EEENS1_59segmented_radix_sort_warp_sort_small_config_static_selectorELNS0_4arch9wavefront6targetE1EEEvSK_
                                        ; -- End function
	.set _ZN7rocprim17ROCPRIM_400000_NS6detail17trampoline_kernelINS0_14default_configENS1_36segmented_radix_sort_config_selectorIblEEZNS1_25segmented_radix_sort_implIS3_Lb1EPKbPbPKlPlN2at6native12_GLOBAL__N_18offset_tEEE10hipError_tPvRmT1_PNSt15iterator_traitsISK_E10value_typeET2_T3_PNSL_ISQ_E10value_typeET4_jRbjT5_SW_jjP12ihipStream_tbEUlT_E1_NS1_11comp_targetILNS1_3genE10ELNS1_11target_archE1200ELNS1_3gpuE4ELNS1_3repE0EEENS1_59segmented_radix_sort_warp_sort_small_config_static_selectorELNS0_4arch9wavefront6targetE1EEEvSK_.num_vgpr, 0
	.set _ZN7rocprim17ROCPRIM_400000_NS6detail17trampoline_kernelINS0_14default_configENS1_36segmented_radix_sort_config_selectorIblEEZNS1_25segmented_radix_sort_implIS3_Lb1EPKbPbPKlPlN2at6native12_GLOBAL__N_18offset_tEEE10hipError_tPvRmT1_PNSt15iterator_traitsISK_E10value_typeET2_T3_PNSL_ISQ_E10value_typeET4_jRbjT5_SW_jjP12ihipStream_tbEUlT_E1_NS1_11comp_targetILNS1_3genE10ELNS1_11target_archE1200ELNS1_3gpuE4ELNS1_3repE0EEENS1_59segmented_radix_sort_warp_sort_small_config_static_selectorELNS0_4arch9wavefront6targetE1EEEvSK_.num_agpr, 0
	.set _ZN7rocprim17ROCPRIM_400000_NS6detail17trampoline_kernelINS0_14default_configENS1_36segmented_radix_sort_config_selectorIblEEZNS1_25segmented_radix_sort_implIS3_Lb1EPKbPbPKlPlN2at6native12_GLOBAL__N_18offset_tEEE10hipError_tPvRmT1_PNSt15iterator_traitsISK_E10value_typeET2_T3_PNSL_ISQ_E10value_typeET4_jRbjT5_SW_jjP12ihipStream_tbEUlT_E1_NS1_11comp_targetILNS1_3genE10ELNS1_11target_archE1200ELNS1_3gpuE4ELNS1_3repE0EEENS1_59segmented_radix_sort_warp_sort_small_config_static_selectorELNS0_4arch9wavefront6targetE1EEEvSK_.numbered_sgpr, 0
	.set _ZN7rocprim17ROCPRIM_400000_NS6detail17trampoline_kernelINS0_14default_configENS1_36segmented_radix_sort_config_selectorIblEEZNS1_25segmented_radix_sort_implIS3_Lb1EPKbPbPKlPlN2at6native12_GLOBAL__N_18offset_tEEE10hipError_tPvRmT1_PNSt15iterator_traitsISK_E10value_typeET2_T3_PNSL_ISQ_E10value_typeET4_jRbjT5_SW_jjP12ihipStream_tbEUlT_E1_NS1_11comp_targetILNS1_3genE10ELNS1_11target_archE1200ELNS1_3gpuE4ELNS1_3repE0EEENS1_59segmented_radix_sort_warp_sort_small_config_static_selectorELNS0_4arch9wavefront6targetE1EEEvSK_.num_named_barrier, 0
	.set _ZN7rocprim17ROCPRIM_400000_NS6detail17trampoline_kernelINS0_14default_configENS1_36segmented_radix_sort_config_selectorIblEEZNS1_25segmented_radix_sort_implIS3_Lb1EPKbPbPKlPlN2at6native12_GLOBAL__N_18offset_tEEE10hipError_tPvRmT1_PNSt15iterator_traitsISK_E10value_typeET2_T3_PNSL_ISQ_E10value_typeET4_jRbjT5_SW_jjP12ihipStream_tbEUlT_E1_NS1_11comp_targetILNS1_3genE10ELNS1_11target_archE1200ELNS1_3gpuE4ELNS1_3repE0EEENS1_59segmented_radix_sort_warp_sort_small_config_static_selectorELNS0_4arch9wavefront6targetE1EEEvSK_.private_seg_size, 0
	.set _ZN7rocprim17ROCPRIM_400000_NS6detail17trampoline_kernelINS0_14default_configENS1_36segmented_radix_sort_config_selectorIblEEZNS1_25segmented_radix_sort_implIS3_Lb1EPKbPbPKlPlN2at6native12_GLOBAL__N_18offset_tEEE10hipError_tPvRmT1_PNSt15iterator_traitsISK_E10value_typeET2_T3_PNSL_ISQ_E10value_typeET4_jRbjT5_SW_jjP12ihipStream_tbEUlT_E1_NS1_11comp_targetILNS1_3genE10ELNS1_11target_archE1200ELNS1_3gpuE4ELNS1_3repE0EEENS1_59segmented_radix_sort_warp_sort_small_config_static_selectorELNS0_4arch9wavefront6targetE1EEEvSK_.uses_vcc, 0
	.set _ZN7rocprim17ROCPRIM_400000_NS6detail17trampoline_kernelINS0_14default_configENS1_36segmented_radix_sort_config_selectorIblEEZNS1_25segmented_radix_sort_implIS3_Lb1EPKbPbPKlPlN2at6native12_GLOBAL__N_18offset_tEEE10hipError_tPvRmT1_PNSt15iterator_traitsISK_E10value_typeET2_T3_PNSL_ISQ_E10value_typeET4_jRbjT5_SW_jjP12ihipStream_tbEUlT_E1_NS1_11comp_targetILNS1_3genE10ELNS1_11target_archE1200ELNS1_3gpuE4ELNS1_3repE0EEENS1_59segmented_radix_sort_warp_sort_small_config_static_selectorELNS0_4arch9wavefront6targetE1EEEvSK_.uses_flat_scratch, 0
	.set _ZN7rocprim17ROCPRIM_400000_NS6detail17trampoline_kernelINS0_14default_configENS1_36segmented_radix_sort_config_selectorIblEEZNS1_25segmented_radix_sort_implIS3_Lb1EPKbPbPKlPlN2at6native12_GLOBAL__N_18offset_tEEE10hipError_tPvRmT1_PNSt15iterator_traitsISK_E10value_typeET2_T3_PNSL_ISQ_E10value_typeET4_jRbjT5_SW_jjP12ihipStream_tbEUlT_E1_NS1_11comp_targetILNS1_3genE10ELNS1_11target_archE1200ELNS1_3gpuE4ELNS1_3repE0EEENS1_59segmented_radix_sort_warp_sort_small_config_static_selectorELNS0_4arch9wavefront6targetE1EEEvSK_.has_dyn_sized_stack, 0
	.set _ZN7rocprim17ROCPRIM_400000_NS6detail17trampoline_kernelINS0_14default_configENS1_36segmented_radix_sort_config_selectorIblEEZNS1_25segmented_radix_sort_implIS3_Lb1EPKbPbPKlPlN2at6native12_GLOBAL__N_18offset_tEEE10hipError_tPvRmT1_PNSt15iterator_traitsISK_E10value_typeET2_T3_PNSL_ISQ_E10value_typeET4_jRbjT5_SW_jjP12ihipStream_tbEUlT_E1_NS1_11comp_targetILNS1_3genE10ELNS1_11target_archE1200ELNS1_3gpuE4ELNS1_3repE0EEENS1_59segmented_radix_sort_warp_sort_small_config_static_selectorELNS0_4arch9wavefront6targetE1EEEvSK_.has_recursion, 0
	.set _ZN7rocprim17ROCPRIM_400000_NS6detail17trampoline_kernelINS0_14default_configENS1_36segmented_radix_sort_config_selectorIblEEZNS1_25segmented_radix_sort_implIS3_Lb1EPKbPbPKlPlN2at6native12_GLOBAL__N_18offset_tEEE10hipError_tPvRmT1_PNSt15iterator_traitsISK_E10value_typeET2_T3_PNSL_ISQ_E10value_typeET4_jRbjT5_SW_jjP12ihipStream_tbEUlT_E1_NS1_11comp_targetILNS1_3genE10ELNS1_11target_archE1200ELNS1_3gpuE4ELNS1_3repE0EEENS1_59segmented_radix_sort_warp_sort_small_config_static_selectorELNS0_4arch9wavefront6targetE1EEEvSK_.has_indirect_call, 0
	.section	.AMDGPU.csdata,"",@progbits
; Kernel info:
; codeLenInByte = 0
; TotalNumSgprs: 4
; NumVgprs: 0
; ScratchSize: 0
; MemoryBound: 0
; FloatMode: 240
; IeeeMode: 1
; LDSByteSize: 0 bytes/workgroup (compile time only)
; SGPRBlocks: 0
; VGPRBlocks: 0
; NumSGPRsForWavesPerEU: 4
; NumVGPRsForWavesPerEU: 1
; Occupancy: 10
; WaveLimiterHint : 0
; COMPUTE_PGM_RSRC2:SCRATCH_EN: 0
; COMPUTE_PGM_RSRC2:USER_SGPR: 6
; COMPUTE_PGM_RSRC2:TRAP_HANDLER: 0
; COMPUTE_PGM_RSRC2:TGID_X_EN: 1
; COMPUTE_PGM_RSRC2:TGID_Y_EN: 0
; COMPUTE_PGM_RSRC2:TGID_Z_EN: 0
; COMPUTE_PGM_RSRC2:TIDIG_COMP_CNT: 0
	.section	.text._ZN7rocprim17ROCPRIM_400000_NS6detail17trampoline_kernelINS0_14default_configENS1_36segmented_radix_sort_config_selectorIblEEZNS1_25segmented_radix_sort_implIS3_Lb1EPKbPbPKlPlN2at6native12_GLOBAL__N_18offset_tEEE10hipError_tPvRmT1_PNSt15iterator_traitsISK_E10value_typeET2_T3_PNSL_ISQ_E10value_typeET4_jRbjT5_SW_jjP12ihipStream_tbEUlT_E1_NS1_11comp_targetILNS1_3genE9ELNS1_11target_archE1100ELNS1_3gpuE3ELNS1_3repE0EEENS1_59segmented_radix_sort_warp_sort_small_config_static_selectorELNS0_4arch9wavefront6targetE1EEEvSK_,"axG",@progbits,_ZN7rocprim17ROCPRIM_400000_NS6detail17trampoline_kernelINS0_14default_configENS1_36segmented_radix_sort_config_selectorIblEEZNS1_25segmented_radix_sort_implIS3_Lb1EPKbPbPKlPlN2at6native12_GLOBAL__N_18offset_tEEE10hipError_tPvRmT1_PNSt15iterator_traitsISK_E10value_typeET2_T3_PNSL_ISQ_E10value_typeET4_jRbjT5_SW_jjP12ihipStream_tbEUlT_E1_NS1_11comp_targetILNS1_3genE9ELNS1_11target_archE1100ELNS1_3gpuE3ELNS1_3repE0EEENS1_59segmented_radix_sort_warp_sort_small_config_static_selectorELNS0_4arch9wavefront6targetE1EEEvSK_,comdat
	.globl	_ZN7rocprim17ROCPRIM_400000_NS6detail17trampoline_kernelINS0_14default_configENS1_36segmented_radix_sort_config_selectorIblEEZNS1_25segmented_radix_sort_implIS3_Lb1EPKbPbPKlPlN2at6native12_GLOBAL__N_18offset_tEEE10hipError_tPvRmT1_PNSt15iterator_traitsISK_E10value_typeET2_T3_PNSL_ISQ_E10value_typeET4_jRbjT5_SW_jjP12ihipStream_tbEUlT_E1_NS1_11comp_targetILNS1_3genE9ELNS1_11target_archE1100ELNS1_3gpuE3ELNS1_3repE0EEENS1_59segmented_radix_sort_warp_sort_small_config_static_selectorELNS0_4arch9wavefront6targetE1EEEvSK_ ; -- Begin function _ZN7rocprim17ROCPRIM_400000_NS6detail17trampoline_kernelINS0_14default_configENS1_36segmented_radix_sort_config_selectorIblEEZNS1_25segmented_radix_sort_implIS3_Lb1EPKbPbPKlPlN2at6native12_GLOBAL__N_18offset_tEEE10hipError_tPvRmT1_PNSt15iterator_traitsISK_E10value_typeET2_T3_PNSL_ISQ_E10value_typeET4_jRbjT5_SW_jjP12ihipStream_tbEUlT_E1_NS1_11comp_targetILNS1_3genE9ELNS1_11target_archE1100ELNS1_3gpuE3ELNS1_3repE0EEENS1_59segmented_radix_sort_warp_sort_small_config_static_selectorELNS0_4arch9wavefront6targetE1EEEvSK_
	.p2align	8
	.type	_ZN7rocprim17ROCPRIM_400000_NS6detail17trampoline_kernelINS0_14default_configENS1_36segmented_radix_sort_config_selectorIblEEZNS1_25segmented_radix_sort_implIS3_Lb1EPKbPbPKlPlN2at6native12_GLOBAL__N_18offset_tEEE10hipError_tPvRmT1_PNSt15iterator_traitsISK_E10value_typeET2_T3_PNSL_ISQ_E10value_typeET4_jRbjT5_SW_jjP12ihipStream_tbEUlT_E1_NS1_11comp_targetILNS1_3genE9ELNS1_11target_archE1100ELNS1_3gpuE3ELNS1_3repE0EEENS1_59segmented_radix_sort_warp_sort_small_config_static_selectorELNS0_4arch9wavefront6targetE1EEEvSK_,@function
_ZN7rocprim17ROCPRIM_400000_NS6detail17trampoline_kernelINS0_14default_configENS1_36segmented_radix_sort_config_selectorIblEEZNS1_25segmented_radix_sort_implIS3_Lb1EPKbPbPKlPlN2at6native12_GLOBAL__N_18offset_tEEE10hipError_tPvRmT1_PNSt15iterator_traitsISK_E10value_typeET2_T3_PNSL_ISQ_E10value_typeET4_jRbjT5_SW_jjP12ihipStream_tbEUlT_E1_NS1_11comp_targetILNS1_3genE9ELNS1_11target_archE1100ELNS1_3gpuE3ELNS1_3repE0EEENS1_59segmented_radix_sort_warp_sort_small_config_static_selectorELNS0_4arch9wavefront6targetE1EEEvSK_: ; @_ZN7rocprim17ROCPRIM_400000_NS6detail17trampoline_kernelINS0_14default_configENS1_36segmented_radix_sort_config_selectorIblEEZNS1_25segmented_radix_sort_implIS3_Lb1EPKbPbPKlPlN2at6native12_GLOBAL__N_18offset_tEEE10hipError_tPvRmT1_PNSt15iterator_traitsISK_E10value_typeET2_T3_PNSL_ISQ_E10value_typeET4_jRbjT5_SW_jjP12ihipStream_tbEUlT_E1_NS1_11comp_targetILNS1_3genE9ELNS1_11target_archE1100ELNS1_3gpuE3ELNS1_3repE0EEENS1_59segmented_radix_sort_warp_sort_small_config_static_selectorELNS0_4arch9wavefront6targetE1EEEvSK_
; %bb.0:
	.section	.rodata,"a",@progbits
	.p2align	6, 0x0
	.amdhsa_kernel _ZN7rocprim17ROCPRIM_400000_NS6detail17trampoline_kernelINS0_14default_configENS1_36segmented_radix_sort_config_selectorIblEEZNS1_25segmented_radix_sort_implIS3_Lb1EPKbPbPKlPlN2at6native12_GLOBAL__N_18offset_tEEE10hipError_tPvRmT1_PNSt15iterator_traitsISK_E10value_typeET2_T3_PNSL_ISQ_E10value_typeET4_jRbjT5_SW_jjP12ihipStream_tbEUlT_E1_NS1_11comp_targetILNS1_3genE9ELNS1_11target_archE1100ELNS1_3gpuE3ELNS1_3repE0EEENS1_59segmented_radix_sort_warp_sort_small_config_static_selectorELNS0_4arch9wavefront6targetE1EEEvSK_
		.amdhsa_group_segment_fixed_size 0
		.amdhsa_private_segment_fixed_size 0
		.amdhsa_kernarg_size 88
		.amdhsa_user_sgpr_count 6
		.amdhsa_user_sgpr_private_segment_buffer 1
		.amdhsa_user_sgpr_dispatch_ptr 0
		.amdhsa_user_sgpr_queue_ptr 0
		.amdhsa_user_sgpr_kernarg_segment_ptr 1
		.amdhsa_user_sgpr_dispatch_id 0
		.amdhsa_user_sgpr_flat_scratch_init 0
		.amdhsa_user_sgpr_private_segment_size 0
		.amdhsa_uses_dynamic_stack 0
		.amdhsa_system_sgpr_private_segment_wavefront_offset 0
		.amdhsa_system_sgpr_workgroup_id_x 1
		.amdhsa_system_sgpr_workgroup_id_y 0
		.amdhsa_system_sgpr_workgroup_id_z 0
		.amdhsa_system_sgpr_workgroup_info 0
		.amdhsa_system_vgpr_workitem_id 0
		.amdhsa_next_free_vgpr 1
		.amdhsa_next_free_sgpr 0
		.amdhsa_reserve_vcc 0
		.amdhsa_reserve_flat_scratch 0
		.amdhsa_float_round_mode_32 0
		.amdhsa_float_round_mode_16_64 0
		.amdhsa_float_denorm_mode_32 3
		.amdhsa_float_denorm_mode_16_64 3
		.amdhsa_dx10_clamp 1
		.amdhsa_ieee_mode 1
		.amdhsa_fp16_overflow 0
		.amdhsa_exception_fp_ieee_invalid_op 0
		.amdhsa_exception_fp_denorm_src 0
		.amdhsa_exception_fp_ieee_div_zero 0
		.amdhsa_exception_fp_ieee_overflow 0
		.amdhsa_exception_fp_ieee_underflow 0
		.amdhsa_exception_fp_ieee_inexact 0
		.amdhsa_exception_int_div_zero 0
	.end_amdhsa_kernel
	.section	.text._ZN7rocprim17ROCPRIM_400000_NS6detail17trampoline_kernelINS0_14default_configENS1_36segmented_radix_sort_config_selectorIblEEZNS1_25segmented_radix_sort_implIS3_Lb1EPKbPbPKlPlN2at6native12_GLOBAL__N_18offset_tEEE10hipError_tPvRmT1_PNSt15iterator_traitsISK_E10value_typeET2_T3_PNSL_ISQ_E10value_typeET4_jRbjT5_SW_jjP12ihipStream_tbEUlT_E1_NS1_11comp_targetILNS1_3genE9ELNS1_11target_archE1100ELNS1_3gpuE3ELNS1_3repE0EEENS1_59segmented_radix_sort_warp_sort_small_config_static_selectorELNS0_4arch9wavefront6targetE1EEEvSK_,"axG",@progbits,_ZN7rocprim17ROCPRIM_400000_NS6detail17trampoline_kernelINS0_14default_configENS1_36segmented_radix_sort_config_selectorIblEEZNS1_25segmented_radix_sort_implIS3_Lb1EPKbPbPKlPlN2at6native12_GLOBAL__N_18offset_tEEE10hipError_tPvRmT1_PNSt15iterator_traitsISK_E10value_typeET2_T3_PNSL_ISQ_E10value_typeET4_jRbjT5_SW_jjP12ihipStream_tbEUlT_E1_NS1_11comp_targetILNS1_3genE9ELNS1_11target_archE1100ELNS1_3gpuE3ELNS1_3repE0EEENS1_59segmented_radix_sort_warp_sort_small_config_static_selectorELNS0_4arch9wavefront6targetE1EEEvSK_,comdat
.Lfunc_end1560:
	.size	_ZN7rocprim17ROCPRIM_400000_NS6detail17trampoline_kernelINS0_14default_configENS1_36segmented_radix_sort_config_selectorIblEEZNS1_25segmented_radix_sort_implIS3_Lb1EPKbPbPKlPlN2at6native12_GLOBAL__N_18offset_tEEE10hipError_tPvRmT1_PNSt15iterator_traitsISK_E10value_typeET2_T3_PNSL_ISQ_E10value_typeET4_jRbjT5_SW_jjP12ihipStream_tbEUlT_E1_NS1_11comp_targetILNS1_3genE9ELNS1_11target_archE1100ELNS1_3gpuE3ELNS1_3repE0EEENS1_59segmented_radix_sort_warp_sort_small_config_static_selectorELNS0_4arch9wavefront6targetE1EEEvSK_, .Lfunc_end1560-_ZN7rocprim17ROCPRIM_400000_NS6detail17trampoline_kernelINS0_14default_configENS1_36segmented_radix_sort_config_selectorIblEEZNS1_25segmented_radix_sort_implIS3_Lb1EPKbPbPKlPlN2at6native12_GLOBAL__N_18offset_tEEE10hipError_tPvRmT1_PNSt15iterator_traitsISK_E10value_typeET2_T3_PNSL_ISQ_E10value_typeET4_jRbjT5_SW_jjP12ihipStream_tbEUlT_E1_NS1_11comp_targetILNS1_3genE9ELNS1_11target_archE1100ELNS1_3gpuE3ELNS1_3repE0EEENS1_59segmented_radix_sort_warp_sort_small_config_static_selectorELNS0_4arch9wavefront6targetE1EEEvSK_
                                        ; -- End function
	.set _ZN7rocprim17ROCPRIM_400000_NS6detail17trampoline_kernelINS0_14default_configENS1_36segmented_radix_sort_config_selectorIblEEZNS1_25segmented_radix_sort_implIS3_Lb1EPKbPbPKlPlN2at6native12_GLOBAL__N_18offset_tEEE10hipError_tPvRmT1_PNSt15iterator_traitsISK_E10value_typeET2_T3_PNSL_ISQ_E10value_typeET4_jRbjT5_SW_jjP12ihipStream_tbEUlT_E1_NS1_11comp_targetILNS1_3genE9ELNS1_11target_archE1100ELNS1_3gpuE3ELNS1_3repE0EEENS1_59segmented_radix_sort_warp_sort_small_config_static_selectorELNS0_4arch9wavefront6targetE1EEEvSK_.num_vgpr, 0
	.set _ZN7rocprim17ROCPRIM_400000_NS6detail17trampoline_kernelINS0_14default_configENS1_36segmented_radix_sort_config_selectorIblEEZNS1_25segmented_radix_sort_implIS3_Lb1EPKbPbPKlPlN2at6native12_GLOBAL__N_18offset_tEEE10hipError_tPvRmT1_PNSt15iterator_traitsISK_E10value_typeET2_T3_PNSL_ISQ_E10value_typeET4_jRbjT5_SW_jjP12ihipStream_tbEUlT_E1_NS1_11comp_targetILNS1_3genE9ELNS1_11target_archE1100ELNS1_3gpuE3ELNS1_3repE0EEENS1_59segmented_radix_sort_warp_sort_small_config_static_selectorELNS0_4arch9wavefront6targetE1EEEvSK_.num_agpr, 0
	.set _ZN7rocprim17ROCPRIM_400000_NS6detail17trampoline_kernelINS0_14default_configENS1_36segmented_radix_sort_config_selectorIblEEZNS1_25segmented_radix_sort_implIS3_Lb1EPKbPbPKlPlN2at6native12_GLOBAL__N_18offset_tEEE10hipError_tPvRmT1_PNSt15iterator_traitsISK_E10value_typeET2_T3_PNSL_ISQ_E10value_typeET4_jRbjT5_SW_jjP12ihipStream_tbEUlT_E1_NS1_11comp_targetILNS1_3genE9ELNS1_11target_archE1100ELNS1_3gpuE3ELNS1_3repE0EEENS1_59segmented_radix_sort_warp_sort_small_config_static_selectorELNS0_4arch9wavefront6targetE1EEEvSK_.numbered_sgpr, 0
	.set _ZN7rocprim17ROCPRIM_400000_NS6detail17trampoline_kernelINS0_14default_configENS1_36segmented_radix_sort_config_selectorIblEEZNS1_25segmented_radix_sort_implIS3_Lb1EPKbPbPKlPlN2at6native12_GLOBAL__N_18offset_tEEE10hipError_tPvRmT1_PNSt15iterator_traitsISK_E10value_typeET2_T3_PNSL_ISQ_E10value_typeET4_jRbjT5_SW_jjP12ihipStream_tbEUlT_E1_NS1_11comp_targetILNS1_3genE9ELNS1_11target_archE1100ELNS1_3gpuE3ELNS1_3repE0EEENS1_59segmented_radix_sort_warp_sort_small_config_static_selectorELNS0_4arch9wavefront6targetE1EEEvSK_.num_named_barrier, 0
	.set _ZN7rocprim17ROCPRIM_400000_NS6detail17trampoline_kernelINS0_14default_configENS1_36segmented_radix_sort_config_selectorIblEEZNS1_25segmented_radix_sort_implIS3_Lb1EPKbPbPKlPlN2at6native12_GLOBAL__N_18offset_tEEE10hipError_tPvRmT1_PNSt15iterator_traitsISK_E10value_typeET2_T3_PNSL_ISQ_E10value_typeET4_jRbjT5_SW_jjP12ihipStream_tbEUlT_E1_NS1_11comp_targetILNS1_3genE9ELNS1_11target_archE1100ELNS1_3gpuE3ELNS1_3repE0EEENS1_59segmented_radix_sort_warp_sort_small_config_static_selectorELNS0_4arch9wavefront6targetE1EEEvSK_.private_seg_size, 0
	.set _ZN7rocprim17ROCPRIM_400000_NS6detail17trampoline_kernelINS0_14default_configENS1_36segmented_radix_sort_config_selectorIblEEZNS1_25segmented_radix_sort_implIS3_Lb1EPKbPbPKlPlN2at6native12_GLOBAL__N_18offset_tEEE10hipError_tPvRmT1_PNSt15iterator_traitsISK_E10value_typeET2_T3_PNSL_ISQ_E10value_typeET4_jRbjT5_SW_jjP12ihipStream_tbEUlT_E1_NS1_11comp_targetILNS1_3genE9ELNS1_11target_archE1100ELNS1_3gpuE3ELNS1_3repE0EEENS1_59segmented_radix_sort_warp_sort_small_config_static_selectorELNS0_4arch9wavefront6targetE1EEEvSK_.uses_vcc, 0
	.set _ZN7rocprim17ROCPRIM_400000_NS6detail17trampoline_kernelINS0_14default_configENS1_36segmented_radix_sort_config_selectorIblEEZNS1_25segmented_radix_sort_implIS3_Lb1EPKbPbPKlPlN2at6native12_GLOBAL__N_18offset_tEEE10hipError_tPvRmT1_PNSt15iterator_traitsISK_E10value_typeET2_T3_PNSL_ISQ_E10value_typeET4_jRbjT5_SW_jjP12ihipStream_tbEUlT_E1_NS1_11comp_targetILNS1_3genE9ELNS1_11target_archE1100ELNS1_3gpuE3ELNS1_3repE0EEENS1_59segmented_radix_sort_warp_sort_small_config_static_selectorELNS0_4arch9wavefront6targetE1EEEvSK_.uses_flat_scratch, 0
	.set _ZN7rocprim17ROCPRIM_400000_NS6detail17trampoline_kernelINS0_14default_configENS1_36segmented_radix_sort_config_selectorIblEEZNS1_25segmented_radix_sort_implIS3_Lb1EPKbPbPKlPlN2at6native12_GLOBAL__N_18offset_tEEE10hipError_tPvRmT1_PNSt15iterator_traitsISK_E10value_typeET2_T3_PNSL_ISQ_E10value_typeET4_jRbjT5_SW_jjP12ihipStream_tbEUlT_E1_NS1_11comp_targetILNS1_3genE9ELNS1_11target_archE1100ELNS1_3gpuE3ELNS1_3repE0EEENS1_59segmented_radix_sort_warp_sort_small_config_static_selectorELNS0_4arch9wavefront6targetE1EEEvSK_.has_dyn_sized_stack, 0
	.set _ZN7rocprim17ROCPRIM_400000_NS6detail17trampoline_kernelINS0_14default_configENS1_36segmented_radix_sort_config_selectorIblEEZNS1_25segmented_radix_sort_implIS3_Lb1EPKbPbPKlPlN2at6native12_GLOBAL__N_18offset_tEEE10hipError_tPvRmT1_PNSt15iterator_traitsISK_E10value_typeET2_T3_PNSL_ISQ_E10value_typeET4_jRbjT5_SW_jjP12ihipStream_tbEUlT_E1_NS1_11comp_targetILNS1_3genE9ELNS1_11target_archE1100ELNS1_3gpuE3ELNS1_3repE0EEENS1_59segmented_radix_sort_warp_sort_small_config_static_selectorELNS0_4arch9wavefront6targetE1EEEvSK_.has_recursion, 0
	.set _ZN7rocprim17ROCPRIM_400000_NS6detail17trampoline_kernelINS0_14default_configENS1_36segmented_radix_sort_config_selectorIblEEZNS1_25segmented_radix_sort_implIS3_Lb1EPKbPbPKlPlN2at6native12_GLOBAL__N_18offset_tEEE10hipError_tPvRmT1_PNSt15iterator_traitsISK_E10value_typeET2_T3_PNSL_ISQ_E10value_typeET4_jRbjT5_SW_jjP12ihipStream_tbEUlT_E1_NS1_11comp_targetILNS1_3genE9ELNS1_11target_archE1100ELNS1_3gpuE3ELNS1_3repE0EEENS1_59segmented_radix_sort_warp_sort_small_config_static_selectorELNS0_4arch9wavefront6targetE1EEEvSK_.has_indirect_call, 0
	.section	.AMDGPU.csdata,"",@progbits
; Kernel info:
; codeLenInByte = 0
; TotalNumSgprs: 4
; NumVgprs: 0
; ScratchSize: 0
; MemoryBound: 0
; FloatMode: 240
; IeeeMode: 1
; LDSByteSize: 0 bytes/workgroup (compile time only)
; SGPRBlocks: 0
; VGPRBlocks: 0
; NumSGPRsForWavesPerEU: 4
; NumVGPRsForWavesPerEU: 1
; Occupancy: 10
; WaveLimiterHint : 0
; COMPUTE_PGM_RSRC2:SCRATCH_EN: 0
; COMPUTE_PGM_RSRC2:USER_SGPR: 6
; COMPUTE_PGM_RSRC2:TRAP_HANDLER: 0
; COMPUTE_PGM_RSRC2:TGID_X_EN: 1
; COMPUTE_PGM_RSRC2:TGID_Y_EN: 0
; COMPUTE_PGM_RSRC2:TGID_Z_EN: 0
; COMPUTE_PGM_RSRC2:TIDIG_COMP_CNT: 0
	.section	.text._ZN7rocprim17ROCPRIM_400000_NS6detail17trampoline_kernelINS0_14default_configENS1_36segmented_radix_sort_config_selectorIblEEZNS1_25segmented_radix_sort_implIS3_Lb1EPKbPbPKlPlN2at6native12_GLOBAL__N_18offset_tEEE10hipError_tPvRmT1_PNSt15iterator_traitsISK_E10value_typeET2_T3_PNSL_ISQ_E10value_typeET4_jRbjT5_SW_jjP12ihipStream_tbEUlT_E1_NS1_11comp_targetILNS1_3genE8ELNS1_11target_archE1030ELNS1_3gpuE2ELNS1_3repE0EEENS1_59segmented_radix_sort_warp_sort_small_config_static_selectorELNS0_4arch9wavefront6targetE1EEEvSK_,"axG",@progbits,_ZN7rocprim17ROCPRIM_400000_NS6detail17trampoline_kernelINS0_14default_configENS1_36segmented_radix_sort_config_selectorIblEEZNS1_25segmented_radix_sort_implIS3_Lb1EPKbPbPKlPlN2at6native12_GLOBAL__N_18offset_tEEE10hipError_tPvRmT1_PNSt15iterator_traitsISK_E10value_typeET2_T3_PNSL_ISQ_E10value_typeET4_jRbjT5_SW_jjP12ihipStream_tbEUlT_E1_NS1_11comp_targetILNS1_3genE8ELNS1_11target_archE1030ELNS1_3gpuE2ELNS1_3repE0EEENS1_59segmented_radix_sort_warp_sort_small_config_static_selectorELNS0_4arch9wavefront6targetE1EEEvSK_,comdat
	.globl	_ZN7rocprim17ROCPRIM_400000_NS6detail17trampoline_kernelINS0_14default_configENS1_36segmented_radix_sort_config_selectorIblEEZNS1_25segmented_radix_sort_implIS3_Lb1EPKbPbPKlPlN2at6native12_GLOBAL__N_18offset_tEEE10hipError_tPvRmT1_PNSt15iterator_traitsISK_E10value_typeET2_T3_PNSL_ISQ_E10value_typeET4_jRbjT5_SW_jjP12ihipStream_tbEUlT_E1_NS1_11comp_targetILNS1_3genE8ELNS1_11target_archE1030ELNS1_3gpuE2ELNS1_3repE0EEENS1_59segmented_radix_sort_warp_sort_small_config_static_selectorELNS0_4arch9wavefront6targetE1EEEvSK_ ; -- Begin function _ZN7rocprim17ROCPRIM_400000_NS6detail17trampoline_kernelINS0_14default_configENS1_36segmented_radix_sort_config_selectorIblEEZNS1_25segmented_radix_sort_implIS3_Lb1EPKbPbPKlPlN2at6native12_GLOBAL__N_18offset_tEEE10hipError_tPvRmT1_PNSt15iterator_traitsISK_E10value_typeET2_T3_PNSL_ISQ_E10value_typeET4_jRbjT5_SW_jjP12ihipStream_tbEUlT_E1_NS1_11comp_targetILNS1_3genE8ELNS1_11target_archE1030ELNS1_3gpuE2ELNS1_3repE0EEENS1_59segmented_radix_sort_warp_sort_small_config_static_selectorELNS0_4arch9wavefront6targetE1EEEvSK_
	.p2align	8
	.type	_ZN7rocprim17ROCPRIM_400000_NS6detail17trampoline_kernelINS0_14default_configENS1_36segmented_radix_sort_config_selectorIblEEZNS1_25segmented_radix_sort_implIS3_Lb1EPKbPbPKlPlN2at6native12_GLOBAL__N_18offset_tEEE10hipError_tPvRmT1_PNSt15iterator_traitsISK_E10value_typeET2_T3_PNSL_ISQ_E10value_typeET4_jRbjT5_SW_jjP12ihipStream_tbEUlT_E1_NS1_11comp_targetILNS1_3genE8ELNS1_11target_archE1030ELNS1_3gpuE2ELNS1_3repE0EEENS1_59segmented_radix_sort_warp_sort_small_config_static_selectorELNS0_4arch9wavefront6targetE1EEEvSK_,@function
_ZN7rocprim17ROCPRIM_400000_NS6detail17trampoline_kernelINS0_14default_configENS1_36segmented_radix_sort_config_selectorIblEEZNS1_25segmented_radix_sort_implIS3_Lb1EPKbPbPKlPlN2at6native12_GLOBAL__N_18offset_tEEE10hipError_tPvRmT1_PNSt15iterator_traitsISK_E10value_typeET2_T3_PNSL_ISQ_E10value_typeET4_jRbjT5_SW_jjP12ihipStream_tbEUlT_E1_NS1_11comp_targetILNS1_3genE8ELNS1_11target_archE1030ELNS1_3gpuE2ELNS1_3repE0EEENS1_59segmented_radix_sort_warp_sort_small_config_static_selectorELNS0_4arch9wavefront6targetE1EEEvSK_: ; @_ZN7rocprim17ROCPRIM_400000_NS6detail17trampoline_kernelINS0_14default_configENS1_36segmented_radix_sort_config_selectorIblEEZNS1_25segmented_radix_sort_implIS3_Lb1EPKbPbPKlPlN2at6native12_GLOBAL__N_18offset_tEEE10hipError_tPvRmT1_PNSt15iterator_traitsISK_E10value_typeET2_T3_PNSL_ISQ_E10value_typeET4_jRbjT5_SW_jjP12ihipStream_tbEUlT_E1_NS1_11comp_targetILNS1_3genE8ELNS1_11target_archE1030ELNS1_3gpuE2ELNS1_3repE0EEENS1_59segmented_radix_sort_warp_sort_small_config_static_selectorELNS0_4arch9wavefront6targetE1EEEvSK_
; %bb.0:
	.section	.rodata,"a",@progbits
	.p2align	6, 0x0
	.amdhsa_kernel _ZN7rocprim17ROCPRIM_400000_NS6detail17trampoline_kernelINS0_14default_configENS1_36segmented_radix_sort_config_selectorIblEEZNS1_25segmented_radix_sort_implIS3_Lb1EPKbPbPKlPlN2at6native12_GLOBAL__N_18offset_tEEE10hipError_tPvRmT1_PNSt15iterator_traitsISK_E10value_typeET2_T3_PNSL_ISQ_E10value_typeET4_jRbjT5_SW_jjP12ihipStream_tbEUlT_E1_NS1_11comp_targetILNS1_3genE8ELNS1_11target_archE1030ELNS1_3gpuE2ELNS1_3repE0EEENS1_59segmented_radix_sort_warp_sort_small_config_static_selectorELNS0_4arch9wavefront6targetE1EEEvSK_
		.amdhsa_group_segment_fixed_size 0
		.amdhsa_private_segment_fixed_size 0
		.amdhsa_kernarg_size 88
		.amdhsa_user_sgpr_count 6
		.amdhsa_user_sgpr_private_segment_buffer 1
		.amdhsa_user_sgpr_dispatch_ptr 0
		.amdhsa_user_sgpr_queue_ptr 0
		.amdhsa_user_sgpr_kernarg_segment_ptr 1
		.amdhsa_user_sgpr_dispatch_id 0
		.amdhsa_user_sgpr_flat_scratch_init 0
		.amdhsa_user_sgpr_private_segment_size 0
		.amdhsa_uses_dynamic_stack 0
		.amdhsa_system_sgpr_private_segment_wavefront_offset 0
		.amdhsa_system_sgpr_workgroup_id_x 1
		.amdhsa_system_sgpr_workgroup_id_y 0
		.amdhsa_system_sgpr_workgroup_id_z 0
		.amdhsa_system_sgpr_workgroup_info 0
		.amdhsa_system_vgpr_workitem_id 0
		.amdhsa_next_free_vgpr 1
		.amdhsa_next_free_sgpr 0
		.amdhsa_reserve_vcc 0
		.amdhsa_reserve_flat_scratch 0
		.amdhsa_float_round_mode_32 0
		.amdhsa_float_round_mode_16_64 0
		.amdhsa_float_denorm_mode_32 3
		.amdhsa_float_denorm_mode_16_64 3
		.amdhsa_dx10_clamp 1
		.amdhsa_ieee_mode 1
		.amdhsa_fp16_overflow 0
		.amdhsa_exception_fp_ieee_invalid_op 0
		.amdhsa_exception_fp_denorm_src 0
		.amdhsa_exception_fp_ieee_div_zero 0
		.amdhsa_exception_fp_ieee_overflow 0
		.amdhsa_exception_fp_ieee_underflow 0
		.amdhsa_exception_fp_ieee_inexact 0
		.amdhsa_exception_int_div_zero 0
	.end_amdhsa_kernel
	.section	.text._ZN7rocprim17ROCPRIM_400000_NS6detail17trampoline_kernelINS0_14default_configENS1_36segmented_radix_sort_config_selectorIblEEZNS1_25segmented_radix_sort_implIS3_Lb1EPKbPbPKlPlN2at6native12_GLOBAL__N_18offset_tEEE10hipError_tPvRmT1_PNSt15iterator_traitsISK_E10value_typeET2_T3_PNSL_ISQ_E10value_typeET4_jRbjT5_SW_jjP12ihipStream_tbEUlT_E1_NS1_11comp_targetILNS1_3genE8ELNS1_11target_archE1030ELNS1_3gpuE2ELNS1_3repE0EEENS1_59segmented_radix_sort_warp_sort_small_config_static_selectorELNS0_4arch9wavefront6targetE1EEEvSK_,"axG",@progbits,_ZN7rocprim17ROCPRIM_400000_NS6detail17trampoline_kernelINS0_14default_configENS1_36segmented_radix_sort_config_selectorIblEEZNS1_25segmented_radix_sort_implIS3_Lb1EPKbPbPKlPlN2at6native12_GLOBAL__N_18offset_tEEE10hipError_tPvRmT1_PNSt15iterator_traitsISK_E10value_typeET2_T3_PNSL_ISQ_E10value_typeET4_jRbjT5_SW_jjP12ihipStream_tbEUlT_E1_NS1_11comp_targetILNS1_3genE8ELNS1_11target_archE1030ELNS1_3gpuE2ELNS1_3repE0EEENS1_59segmented_radix_sort_warp_sort_small_config_static_selectorELNS0_4arch9wavefront6targetE1EEEvSK_,comdat
.Lfunc_end1561:
	.size	_ZN7rocprim17ROCPRIM_400000_NS6detail17trampoline_kernelINS0_14default_configENS1_36segmented_radix_sort_config_selectorIblEEZNS1_25segmented_radix_sort_implIS3_Lb1EPKbPbPKlPlN2at6native12_GLOBAL__N_18offset_tEEE10hipError_tPvRmT1_PNSt15iterator_traitsISK_E10value_typeET2_T3_PNSL_ISQ_E10value_typeET4_jRbjT5_SW_jjP12ihipStream_tbEUlT_E1_NS1_11comp_targetILNS1_3genE8ELNS1_11target_archE1030ELNS1_3gpuE2ELNS1_3repE0EEENS1_59segmented_radix_sort_warp_sort_small_config_static_selectorELNS0_4arch9wavefront6targetE1EEEvSK_, .Lfunc_end1561-_ZN7rocprim17ROCPRIM_400000_NS6detail17trampoline_kernelINS0_14default_configENS1_36segmented_radix_sort_config_selectorIblEEZNS1_25segmented_radix_sort_implIS3_Lb1EPKbPbPKlPlN2at6native12_GLOBAL__N_18offset_tEEE10hipError_tPvRmT1_PNSt15iterator_traitsISK_E10value_typeET2_T3_PNSL_ISQ_E10value_typeET4_jRbjT5_SW_jjP12ihipStream_tbEUlT_E1_NS1_11comp_targetILNS1_3genE8ELNS1_11target_archE1030ELNS1_3gpuE2ELNS1_3repE0EEENS1_59segmented_radix_sort_warp_sort_small_config_static_selectorELNS0_4arch9wavefront6targetE1EEEvSK_
                                        ; -- End function
	.set _ZN7rocprim17ROCPRIM_400000_NS6detail17trampoline_kernelINS0_14default_configENS1_36segmented_radix_sort_config_selectorIblEEZNS1_25segmented_radix_sort_implIS3_Lb1EPKbPbPKlPlN2at6native12_GLOBAL__N_18offset_tEEE10hipError_tPvRmT1_PNSt15iterator_traitsISK_E10value_typeET2_T3_PNSL_ISQ_E10value_typeET4_jRbjT5_SW_jjP12ihipStream_tbEUlT_E1_NS1_11comp_targetILNS1_3genE8ELNS1_11target_archE1030ELNS1_3gpuE2ELNS1_3repE0EEENS1_59segmented_radix_sort_warp_sort_small_config_static_selectorELNS0_4arch9wavefront6targetE1EEEvSK_.num_vgpr, 0
	.set _ZN7rocprim17ROCPRIM_400000_NS6detail17trampoline_kernelINS0_14default_configENS1_36segmented_radix_sort_config_selectorIblEEZNS1_25segmented_radix_sort_implIS3_Lb1EPKbPbPKlPlN2at6native12_GLOBAL__N_18offset_tEEE10hipError_tPvRmT1_PNSt15iterator_traitsISK_E10value_typeET2_T3_PNSL_ISQ_E10value_typeET4_jRbjT5_SW_jjP12ihipStream_tbEUlT_E1_NS1_11comp_targetILNS1_3genE8ELNS1_11target_archE1030ELNS1_3gpuE2ELNS1_3repE0EEENS1_59segmented_radix_sort_warp_sort_small_config_static_selectorELNS0_4arch9wavefront6targetE1EEEvSK_.num_agpr, 0
	.set _ZN7rocprim17ROCPRIM_400000_NS6detail17trampoline_kernelINS0_14default_configENS1_36segmented_radix_sort_config_selectorIblEEZNS1_25segmented_radix_sort_implIS3_Lb1EPKbPbPKlPlN2at6native12_GLOBAL__N_18offset_tEEE10hipError_tPvRmT1_PNSt15iterator_traitsISK_E10value_typeET2_T3_PNSL_ISQ_E10value_typeET4_jRbjT5_SW_jjP12ihipStream_tbEUlT_E1_NS1_11comp_targetILNS1_3genE8ELNS1_11target_archE1030ELNS1_3gpuE2ELNS1_3repE0EEENS1_59segmented_radix_sort_warp_sort_small_config_static_selectorELNS0_4arch9wavefront6targetE1EEEvSK_.numbered_sgpr, 0
	.set _ZN7rocprim17ROCPRIM_400000_NS6detail17trampoline_kernelINS0_14default_configENS1_36segmented_radix_sort_config_selectorIblEEZNS1_25segmented_radix_sort_implIS3_Lb1EPKbPbPKlPlN2at6native12_GLOBAL__N_18offset_tEEE10hipError_tPvRmT1_PNSt15iterator_traitsISK_E10value_typeET2_T3_PNSL_ISQ_E10value_typeET4_jRbjT5_SW_jjP12ihipStream_tbEUlT_E1_NS1_11comp_targetILNS1_3genE8ELNS1_11target_archE1030ELNS1_3gpuE2ELNS1_3repE0EEENS1_59segmented_radix_sort_warp_sort_small_config_static_selectorELNS0_4arch9wavefront6targetE1EEEvSK_.num_named_barrier, 0
	.set _ZN7rocprim17ROCPRIM_400000_NS6detail17trampoline_kernelINS0_14default_configENS1_36segmented_radix_sort_config_selectorIblEEZNS1_25segmented_radix_sort_implIS3_Lb1EPKbPbPKlPlN2at6native12_GLOBAL__N_18offset_tEEE10hipError_tPvRmT1_PNSt15iterator_traitsISK_E10value_typeET2_T3_PNSL_ISQ_E10value_typeET4_jRbjT5_SW_jjP12ihipStream_tbEUlT_E1_NS1_11comp_targetILNS1_3genE8ELNS1_11target_archE1030ELNS1_3gpuE2ELNS1_3repE0EEENS1_59segmented_radix_sort_warp_sort_small_config_static_selectorELNS0_4arch9wavefront6targetE1EEEvSK_.private_seg_size, 0
	.set _ZN7rocprim17ROCPRIM_400000_NS6detail17trampoline_kernelINS0_14default_configENS1_36segmented_radix_sort_config_selectorIblEEZNS1_25segmented_radix_sort_implIS3_Lb1EPKbPbPKlPlN2at6native12_GLOBAL__N_18offset_tEEE10hipError_tPvRmT1_PNSt15iterator_traitsISK_E10value_typeET2_T3_PNSL_ISQ_E10value_typeET4_jRbjT5_SW_jjP12ihipStream_tbEUlT_E1_NS1_11comp_targetILNS1_3genE8ELNS1_11target_archE1030ELNS1_3gpuE2ELNS1_3repE0EEENS1_59segmented_radix_sort_warp_sort_small_config_static_selectorELNS0_4arch9wavefront6targetE1EEEvSK_.uses_vcc, 0
	.set _ZN7rocprim17ROCPRIM_400000_NS6detail17trampoline_kernelINS0_14default_configENS1_36segmented_radix_sort_config_selectorIblEEZNS1_25segmented_radix_sort_implIS3_Lb1EPKbPbPKlPlN2at6native12_GLOBAL__N_18offset_tEEE10hipError_tPvRmT1_PNSt15iterator_traitsISK_E10value_typeET2_T3_PNSL_ISQ_E10value_typeET4_jRbjT5_SW_jjP12ihipStream_tbEUlT_E1_NS1_11comp_targetILNS1_3genE8ELNS1_11target_archE1030ELNS1_3gpuE2ELNS1_3repE0EEENS1_59segmented_radix_sort_warp_sort_small_config_static_selectorELNS0_4arch9wavefront6targetE1EEEvSK_.uses_flat_scratch, 0
	.set _ZN7rocprim17ROCPRIM_400000_NS6detail17trampoline_kernelINS0_14default_configENS1_36segmented_radix_sort_config_selectorIblEEZNS1_25segmented_radix_sort_implIS3_Lb1EPKbPbPKlPlN2at6native12_GLOBAL__N_18offset_tEEE10hipError_tPvRmT1_PNSt15iterator_traitsISK_E10value_typeET2_T3_PNSL_ISQ_E10value_typeET4_jRbjT5_SW_jjP12ihipStream_tbEUlT_E1_NS1_11comp_targetILNS1_3genE8ELNS1_11target_archE1030ELNS1_3gpuE2ELNS1_3repE0EEENS1_59segmented_radix_sort_warp_sort_small_config_static_selectorELNS0_4arch9wavefront6targetE1EEEvSK_.has_dyn_sized_stack, 0
	.set _ZN7rocprim17ROCPRIM_400000_NS6detail17trampoline_kernelINS0_14default_configENS1_36segmented_radix_sort_config_selectorIblEEZNS1_25segmented_radix_sort_implIS3_Lb1EPKbPbPKlPlN2at6native12_GLOBAL__N_18offset_tEEE10hipError_tPvRmT1_PNSt15iterator_traitsISK_E10value_typeET2_T3_PNSL_ISQ_E10value_typeET4_jRbjT5_SW_jjP12ihipStream_tbEUlT_E1_NS1_11comp_targetILNS1_3genE8ELNS1_11target_archE1030ELNS1_3gpuE2ELNS1_3repE0EEENS1_59segmented_radix_sort_warp_sort_small_config_static_selectorELNS0_4arch9wavefront6targetE1EEEvSK_.has_recursion, 0
	.set _ZN7rocprim17ROCPRIM_400000_NS6detail17trampoline_kernelINS0_14default_configENS1_36segmented_radix_sort_config_selectorIblEEZNS1_25segmented_radix_sort_implIS3_Lb1EPKbPbPKlPlN2at6native12_GLOBAL__N_18offset_tEEE10hipError_tPvRmT1_PNSt15iterator_traitsISK_E10value_typeET2_T3_PNSL_ISQ_E10value_typeET4_jRbjT5_SW_jjP12ihipStream_tbEUlT_E1_NS1_11comp_targetILNS1_3genE8ELNS1_11target_archE1030ELNS1_3gpuE2ELNS1_3repE0EEENS1_59segmented_radix_sort_warp_sort_small_config_static_selectorELNS0_4arch9wavefront6targetE1EEEvSK_.has_indirect_call, 0
	.section	.AMDGPU.csdata,"",@progbits
; Kernel info:
; codeLenInByte = 0
; TotalNumSgprs: 4
; NumVgprs: 0
; ScratchSize: 0
; MemoryBound: 0
; FloatMode: 240
; IeeeMode: 1
; LDSByteSize: 0 bytes/workgroup (compile time only)
; SGPRBlocks: 0
; VGPRBlocks: 0
; NumSGPRsForWavesPerEU: 4
; NumVGPRsForWavesPerEU: 1
; Occupancy: 10
; WaveLimiterHint : 0
; COMPUTE_PGM_RSRC2:SCRATCH_EN: 0
; COMPUTE_PGM_RSRC2:USER_SGPR: 6
; COMPUTE_PGM_RSRC2:TRAP_HANDLER: 0
; COMPUTE_PGM_RSRC2:TGID_X_EN: 1
; COMPUTE_PGM_RSRC2:TGID_Y_EN: 0
; COMPUTE_PGM_RSRC2:TGID_Z_EN: 0
; COMPUTE_PGM_RSRC2:TIDIG_COMP_CNT: 0
	.section	.text._ZN7rocprim17ROCPRIM_400000_NS6detail17trampoline_kernelINS0_14default_configENS1_36segmented_radix_sort_config_selectorIblEEZNS1_25segmented_radix_sort_implIS3_Lb1EPKbPbPKlPlN2at6native12_GLOBAL__N_18offset_tEEE10hipError_tPvRmT1_PNSt15iterator_traitsISK_E10value_typeET2_T3_PNSL_ISQ_E10value_typeET4_jRbjT5_SW_jjP12ihipStream_tbEUlT_E2_NS1_11comp_targetILNS1_3genE0ELNS1_11target_archE4294967295ELNS1_3gpuE0ELNS1_3repE0EEENS1_30default_config_static_selectorELNS0_4arch9wavefront6targetE1EEEvSK_,"axG",@progbits,_ZN7rocprim17ROCPRIM_400000_NS6detail17trampoline_kernelINS0_14default_configENS1_36segmented_radix_sort_config_selectorIblEEZNS1_25segmented_radix_sort_implIS3_Lb1EPKbPbPKlPlN2at6native12_GLOBAL__N_18offset_tEEE10hipError_tPvRmT1_PNSt15iterator_traitsISK_E10value_typeET2_T3_PNSL_ISQ_E10value_typeET4_jRbjT5_SW_jjP12ihipStream_tbEUlT_E2_NS1_11comp_targetILNS1_3genE0ELNS1_11target_archE4294967295ELNS1_3gpuE0ELNS1_3repE0EEENS1_30default_config_static_selectorELNS0_4arch9wavefront6targetE1EEEvSK_,comdat
	.globl	_ZN7rocprim17ROCPRIM_400000_NS6detail17trampoline_kernelINS0_14default_configENS1_36segmented_radix_sort_config_selectorIblEEZNS1_25segmented_radix_sort_implIS3_Lb1EPKbPbPKlPlN2at6native12_GLOBAL__N_18offset_tEEE10hipError_tPvRmT1_PNSt15iterator_traitsISK_E10value_typeET2_T3_PNSL_ISQ_E10value_typeET4_jRbjT5_SW_jjP12ihipStream_tbEUlT_E2_NS1_11comp_targetILNS1_3genE0ELNS1_11target_archE4294967295ELNS1_3gpuE0ELNS1_3repE0EEENS1_30default_config_static_selectorELNS0_4arch9wavefront6targetE1EEEvSK_ ; -- Begin function _ZN7rocprim17ROCPRIM_400000_NS6detail17trampoline_kernelINS0_14default_configENS1_36segmented_radix_sort_config_selectorIblEEZNS1_25segmented_radix_sort_implIS3_Lb1EPKbPbPKlPlN2at6native12_GLOBAL__N_18offset_tEEE10hipError_tPvRmT1_PNSt15iterator_traitsISK_E10value_typeET2_T3_PNSL_ISQ_E10value_typeET4_jRbjT5_SW_jjP12ihipStream_tbEUlT_E2_NS1_11comp_targetILNS1_3genE0ELNS1_11target_archE4294967295ELNS1_3gpuE0ELNS1_3repE0EEENS1_30default_config_static_selectorELNS0_4arch9wavefront6targetE1EEEvSK_
	.p2align	8
	.type	_ZN7rocprim17ROCPRIM_400000_NS6detail17trampoline_kernelINS0_14default_configENS1_36segmented_radix_sort_config_selectorIblEEZNS1_25segmented_radix_sort_implIS3_Lb1EPKbPbPKlPlN2at6native12_GLOBAL__N_18offset_tEEE10hipError_tPvRmT1_PNSt15iterator_traitsISK_E10value_typeET2_T3_PNSL_ISQ_E10value_typeET4_jRbjT5_SW_jjP12ihipStream_tbEUlT_E2_NS1_11comp_targetILNS1_3genE0ELNS1_11target_archE4294967295ELNS1_3gpuE0ELNS1_3repE0EEENS1_30default_config_static_selectorELNS0_4arch9wavefront6targetE1EEEvSK_,@function
_ZN7rocprim17ROCPRIM_400000_NS6detail17trampoline_kernelINS0_14default_configENS1_36segmented_radix_sort_config_selectorIblEEZNS1_25segmented_radix_sort_implIS3_Lb1EPKbPbPKlPlN2at6native12_GLOBAL__N_18offset_tEEE10hipError_tPvRmT1_PNSt15iterator_traitsISK_E10value_typeET2_T3_PNSL_ISQ_E10value_typeET4_jRbjT5_SW_jjP12ihipStream_tbEUlT_E2_NS1_11comp_targetILNS1_3genE0ELNS1_11target_archE4294967295ELNS1_3gpuE0ELNS1_3repE0EEENS1_30default_config_static_selectorELNS0_4arch9wavefront6targetE1EEEvSK_: ; @_ZN7rocprim17ROCPRIM_400000_NS6detail17trampoline_kernelINS0_14default_configENS1_36segmented_radix_sort_config_selectorIblEEZNS1_25segmented_radix_sort_implIS3_Lb1EPKbPbPKlPlN2at6native12_GLOBAL__N_18offset_tEEE10hipError_tPvRmT1_PNSt15iterator_traitsISK_E10value_typeET2_T3_PNSL_ISQ_E10value_typeET4_jRbjT5_SW_jjP12ihipStream_tbEUlT_E2_NS1_11comp_targetILNS1_3genE0ELNS1_11target_archE4294967295ELNS1_3gpuE0ELNS1_3repE0EEENS1_30default_config_static_selectorELNS0_4arch9wavefront6targetE1EEEvSK_
; %bb.0:
	.section	.rodata,"a",@progbits
	.p2align	6, 0x0
	.amdhsa_kernel _ZN7rocprim17ROCPRIM_400000_NS6detail17trampoline_kernelINS0_14default_configENS1_36segmented_radix_sort_config_selectorIblEEZNS1_25segmented_radix_sort_implIS3_Lb1EPKbPbPKlPlN2at6native12_GLOBAL__N_18offset_tEEE10hipError_tPvRmT1_PNSt15iterator_traitsISK_E10value_typeET2_T3_PNSL_ISQ_E10value_typeET4_jRbjT5_SW_jjP12ihipStream_tbEUlT_E2_NS1_11comp_targetILNS1_3genE0ELNS1_11target_archE4294967295ELNS1_3gpuE0ELNS1_3repE0EEENS1_30default_config_static_selectorELNS0_4arch9wavefront6targetE1EEEvSK_
		.amdhsa_group_segment_fixed_size 0
		.amdhsa_private_segment_fixed_size 0
		.amdhsa_kernarg_size 80
		.amdhsa_user_sgpr_count 6
		.amdhsa_user_sgpr_private_segment_buffer 1
		.amdhsa_user_sgpr_dispatch_ptr 0
		.amdhsa_user_sgpr_queue_ptr 0
		.amdhsa_user_sgpr_kernarg_segment_ptr 1
		.amdhsa_user_sgpr_dispatch_id 0
		.amdhsa_user_sgpr_flat_scratch_init 0
		.amdhsa_user_sgpr_private_segment_size 0
		.amdhsa_uses_dynamic_stack 0
		.amdhsa_system_sgpr_private_segment_wavefront_offset 0
		.amdhsa_system_sgpr_workgroup_id_x 1
		.amdhsa_system_sgpr_workgroup_id_y 0
		.amdhsa_system_sgpr_workgroup_id_z 0
		.amdhsa_system_sgpr_workgroup_info 0
		.amdhsa_system_vgpr_workitem_id 0
		.amdhsa_next_free_vgpr 1
		.amdhsa_next_free_sgpr 0
		.amdhsa_reserve_vcc 0
		.amdhsa_reserve_flat_scratch 0
		.amdhsa_float_round_mode_32 0
		.amdhsa_float_round_mode_16_64 0
		.amdhsa_float_denorm_mode_32 3
		.amdhsa_float_denorm_mode_16_64 3
		.amdhsa_dx10_clamp 1
		.amdhsa_ieee_mode 1
		.amdhsa_fp16_overflow 0
		.amdhsa_exception_fp_ieee_invalid_op 0
		.amdhsa_exception_fp_denorm_src 0
		.amdhsa_exception_fp_ieee_div_zero 0
		.amdhsa_exception_fp_ieee_overflow 0
		.amdhsa_exception_fp_ieee_underflow 0
		.amdhsa_exception_fp_ieee_inexact 0
		.amdhsa_exception_int_div_zero 0
	.end_amdhsa_kernel
	.section	.text._ZN7rocprim17ROCPRIM_400000_NS6detail17trampoline_kernelINS0_14default_configENS1_36segmented_radix_sort_config_selectorIblEEZNS1_25segmented_radix_sort_implIS3_Lb1EPKbPbPKlPlN2at6native12_GLOBAL__N_18offset_tEEE10hipError_tPvRmT1_PNSt15iterator_traitsISK_E10value_typeET2_T3_PNSL_ISQ_E10value_typeET4_jRbjT5_SW_jjP12ihipStream_tbEUlT_E2_NS1_11comp_targetILNS1_3genE0ELNS1_11target_archE4294967295ELNS1_3gpuE0ELNS1_3repE0EEENS1_30default_config_static_selectorELNS0_4arch9wavefront6targetE1EEEvSK_,"axG",@progbits,_ZN7rocprim17ROCPRIM_400000_NS6detail17trampoline_kernelINS0_14default_configENS1_36segmented_radix_sort_config_selectorIblEEZNS1_25segmented_radix_sort_implIS3_Lb1EPKbPbPKlPlN2at6native12_GLOBAL__N_18offset_tEEE10hipError_tPvRmT1_PNSt15iterator_traitsISK_E10value_typeET2_T3_PNSL_ISQ_E10value_typeET4_jRbjT5_SW_jjP12ihipStream_tbEUlT_E2_NS1_11comp_targetILNS1_3genE0ELNS1_11target_archE4294967295ELNS1_3gpuE0ELNS1_3repE0EEENS1_30default_config_static_selectorELNS0_4arch9wavefront6targetE1EEEvSK_,comdat
.Lfunc_end1562:
	.size	_ZN7rocprim17ROCPRIM_400000_NS6detail17trampoline_kernelINS0_14default_configENS1_36segmented_radix_sort_config_selectorIblEEZNS1_25segmented_radix_sort_implIS3_Lb1EPKbPbPKlPlN2at6native12_GLOBAL__N_18offset_tEEE10hipError_tPvRmT1_PNSt15iterator_traitsISK_E10value_typeET2_T3_PNSL_ISQ_E10value_typeET4_jRbjT5_SW_jjP12ihipStream_tbEUlT_E2_NS1_11comp_targetILNS1_3genE0ELNS1_11target_archE4294967295ELNS1_3gpuE0ELNS1_3repE0EEENS1_30default_config_static_selectorELNS0_4arch9wavefront6targetE1EEEvSK_, .Lfunc_end1562-_ZN7rocprim17ROCPRIM_400000_NS6detail17trampoline_kernelINS0_14default_configENS1_36segmented_radix_sort_config_selectorIblEEZNS1_25segmented_radix_sort_implIS3_Lb1EPKbPbPKlPlN2at6native12_GLOBAL__N_18offset_tEEE10hipError_tPvRmT1_PNSt15iterator_traitsISK_E10value_typeET2_T3_PNSL_ISQ_E10value_typeET4_jRbjT5_SW_jjP12ihipStream_tbEUlT_E2_NS1_11comp_targetILNS1_3genE0ELNS1_11target_archE4294967295ELNS1_3gpuE0ELNS1_3repE0EEENS1_30default_config_static_selectorELNS0_4arch9wavefront6targetE1EEEvSK_
                                        ; -- End function
	.set _ZN7rocprim17ROCPRIM_400000_NS6detail17trampoline_kernelINS0_14default_configENS1_36segmented_radix_sort_config_selectorIblEEZNS1_25segmented_radix_sort_implIS3_Lb1EPKbPbPKlPlN2at6native12_GLOBAL__N_18offset_tEEE10hipError_tPvRmT1_PNSt15iterator_traitsISK_E10value_typeET2_T3_PNSL_ISQ_E10value_typeET4_jRbjT5_SW_jjP12ihipStream_tbEUlT_E2_NS1_11comp_targetILNS1_3genE0ELNS1_11target_archE4294967295ELNS1_3gpuE0ELNS1_3repE0EEENS1_30default_config_static_selectorELNS0_4arch9wavefront6targetE1EEEvSK_.num_vgpr, 0
	.set _ZN7rocprim17ROCPRIM_400000_NS6detail17trampoline_kernelINS0_14default_configENS1_36segmented_radix_sort_config_selectorIblEEZNS1_25segmented_radix_sort_implIS3_Lb1EPKbPbPKlPlN2at6native12_GLOBAL__N_18offset_tEEE10hipError_tPvRmT1_PNSt15iterator_traitsISK_E10value_typeET2_T3_PNSL_ISQ_E10value_typeET4_jRbjT5_SW_jjP12ihipStream_tbEUlT_E2_NS1_11comp_targetILNS1_3genE0ELNS1_11target_archE4294967295ELNS1_3gpuE0ELNS1_3repE0EEENS1_30default_config_static_selectorELNS0_4arch9wavefront6targetE1EEEvSK_.num_agpr, 0
	.set _ZN7rocprim17ROCPRIM_400000_NS6detail17trampoline_kernelINS0_14default_configENS1_36segmented_radix_sort_config_selectorIblEEZNS1_25segmented_radix_sort_implIS3_Lb1EPKbPbPKlPlN2at6native12_GLOBAL__N_18offset_tEEE10hipError_tPvRmT1_PNSt15iterator_traitsISK_E10value_typeET2_T3_PNSL_ISQ_E10value_typeET4_jRbjT5_SW_jjP12ihipStream_tbEUlT_E2_NS1_11comp_targetILNS1_3genE0ELNS1_11target_archE4294967295ELNS1_3gpuE0ELNS1_3repE0EEENS1_30default_config_static_selectorELNS0_4arch9wavefront6targetE1EEEvSK_.numbered_sgpr, 0
	.set _ZN7rocprim17ROCPRIM_400000_NS6detail17trampoline_kernelINS0_14default_configENS1_36segmented_radix_sort_config_selectorIblEEZNS1_25segmented_radix_sort_implIS3_Lb1EPKbPbPKlPlN2at6native12_GLOBAL__N_18offset_tEEE10hipError_tPvRmT1_PNSt15iterator_traitsISK_E10value_typeET2_T3_PNSL_ISQ_E10value_typeET4_jRbjT5_SW_jjP12ihipStream_tbEUlT_E2_NS1_11comp_targetILNS1_3genE0ELNS1_11target_archE4294967295ELNS1_3gpuE0ELNS1_3repE0EEENS1_30default_config_static_selectorELNS0_4arch9wavefront6targetE1EEEvSK_.num_named_barrier, 0
	.set _ZN7rocprim17ROCPRIM_400000_NS6detail17trampoline_kernelINS0_14default_configENS1_36segmented_radix_sort_config_selectorIblEEZNS1_25segmented_radix_sort_implIS3_Lb1EPKbPbPKlPlN2at6native12_GLOBAL__N_18offset_tEEE10hipError_tPvRmT1_PNSt15iterator_traitsISK_E10value_typeET2_T3_PNSL_ISQ_E10value_typeET4_jRbjT5_SW_jjP12ihipStream_tbEUlT_E2_NS1_11comp_targetILNS1_3genE0ELNS1_11target_archE4294967295ELNS1_3gpuE0ELNS1_3repE0EEENS1_30default_config_static_selectorELNS0_4arch9wavefront6targetE1EEEvSK_.private_seg_size, 0
	.set _ZN7rocprim17ROCPRIM_400000_NS6detail17trampoline_kernelINS0_14default_configENS1_36segmented_radix_sort_config_selectorIblEEZNS1_25segmented_radix_sort_implIS3_Lb1EPKbPbPKlPlN2at6native12_GLOBAL__N_18offset_tEEE10hipError_tPvRmT1_PNSt15iterator_traitsISK_E10value_typeET2_T3_PNSL_ISQ_E10value_typeET4_jRbjT5_SW_jjP12ihipStream_tbEUlT_E2_NS1_11comp_targetILNS1_3genE0ELNS1_11target_archE4294967295ELNS1_3gpuE0ELNS1_3repE0EEENS1_30default_config_static_selectorELNS0_4arch9wavefront6targetE1EEEvSK_.uses_vcc, 0
	.set _ZN7rocprim17ROCPRIM_400000_NS6detail17trampoline_kernelINS0_14default_configENS1_36segmented_radix_sort_config_selectorIblEEZNS1_25segmented_radix_sort_implIS3_Lb1EPKbPbPKlPlN2at6native12_GLOBAL__N_18offset_tEEE10hipError_tPvRmT1_PNSt15iterator_traitsISK_E10value_typeET2_T3_PNSL_ISQ_E10value_typeET4_jRbjT5_SW_jjP12ihipStream_tbEUlT_E2_NS1_11comp_targetILNS1_3genE0ELNS1_11target_archE4294967295ELNS1_3gpuE0ELNS1_3repE0EEENS1_30default_config_static_selectorELNS0_4arch9wavefront6targetE1EEEvSK_.uses_flat_scratch, 0
	.set _ZN7rocprim17ROCPRIM_400000_NS6detail17trampoline_kernelINS0_14default_configENS1_36segmented_radix_sort_config_selectorIblEEZNS1_25segmented_radix_sort_implIS3_Lb1EPKbPbPKlPlN2at6native12_GLOBAL__N_18offset_tEEE10hipError_tPvRmT1_PNSt15iterator_traitsISK_E10value_typeET2_T3_PNSL_ISQ_E10value_typeET4_jRbjT5_SW_jjP12ihipStream_tbEUlT_E2_NS1_11comp_targetILNS1_3genE0ELNS1_11target_archE4294967295ELNS1_3gpuE0ELNS1_3repE0EEENS1_30default_config_static_selectorELNS0_4arch9wavefront6targetE1EEEvSK_.has_dyn_sized_stack, 0
	.set _ZN7rocprim17ROCPRIM_400000_NS6detail17trampoline_kernelINS0_14default_configENS1_36segmented_radix_sort_config_selectorIblEEZNS1_25segmented_radix_sort_implIS3_Lb1EPKbPbPKlPlN2at6native12_GLOBAL__N_18offset_tEEE10hipError_tPvRmT1_PNSt15iterator_traitsISK_E10value_typeET2_T3_PNSL_ISQ_E10value_typeET4_jRbjT5_SW_jjP12ihipStream_tbEUlT_E2_NS1_11comp_targetILNS1_3genE0ELNS1_11target_archE4294967295ELNS1_3gpuE0ELNS1_3repE0EEENS1_30default_config_static_selectorELNS0_4arch9wavefront6targetE1EEEvSK_.has_recursion, 0
	.set _ZN7rocprim17ROCPRIM_400000_NS6detail17trampoline_kernelINS0_14default_configENS1_36segmented_radix_sort_config_selectorIblEEZNS1_25segmented_radix_sort_implIS3_Lb1EPKbPbPKlPlN2at6native12_GLOBAL__N_18offset_tEEE10hipError_tPvRmT1_PNSt15iterator_traitsISK_E10value_typeET2_T3_PNSL_ISQ_E10value_typeET4_jRbjT5_SW_jjP12ihipStream_tbEUlT_E2_NS1_11comp_targetILNS1_3genE0ELNS1_11target_archE4294967295ELNS1_3gpuE0ELNS1_3repE0EEENS1_30default_config_static_selectorELNS0_4arch9wavefront6targetE1EEEvSK_.has_indirect_call, 0
	.section	.AMDGPU.csdata,"",@progbits
; Kernel info:
; codeLenInByte = 0
; TotalNumSgprs: 4
; NumVgprs: 0
; ScratchSize: 0
; MemoryBound: 0
; FloatMode: 240
; IeeeMode: 1
; LDSByteSize: 0 bytes/workgroup (compile time only)
; SGPRBlocks: 0
; VGPRBlocks: 0
; NumSGPRsForWavesPerEU: 4
; NumVGPRsForWavesPerEU: 1
; Occupancy: 10
; WaveLimiterHint : 0
; COMPUTE_PGM_RSRC2:SCRATCH_EN: 0
; COMPUTE_PGM_RSRC2:USER_SGPR: 6
; COMPUTE_PGM_RSRC2:TRAP_HANDLER: 0
; COMPUTE_PGM_RSRC2:TGID_X_EN: 1
; COMPUTE_PGM_RSRC2:TGID_Y_EN: 0
; COMPUTE_PGM_RSRC2:TGID_Z_EN: 0
; COMPUTE_PGM_RSRC2:TIDIG_COMP_CNT: 0
	.section	.text._ZN7rocprim17ROCPRIM_400000_NS6detail17trampoline_kernelINS0_14default_configENS1_36segmented_radix_sort_config_selectorIblEEZNS1_25segmented_radix_sort_implIS3_Lb1EPKbPbPKlPlN2at6native12_GLOBAL__N_18offset_tEEE10hipError_tPvRmT1_PNSt15iterator_traitsISK_E10value_typeET2_T3_PNSL_ISQ_E10value_typeET4_jRbjT5_SW_jjP12ihipStream_tbEUlT_E2_NS1_11comp_targetILNS1_3genE5ELNS1_11target_archE942ELNS1_3gpuE9ELNS1_3repE0EEENS1_30default_config_static_selectorELNS0_4arch9wavefront6targetE1EEEvSK_,"axG",@progbits,_ZN7rocprim17ROCPRIM_400000_NS6detail17trampoline_kernelINS0_14default_configENS1_36segmented_radix_sort_config_selectorIblEEZNS1_25segmented_radix_sort_implIS3_Lb1EPKbPbPKlPlN2at6native12_GLOBAL__N_18offset_tEEE10hipError_tPvRmT1_PNSt15iterator_traitsISK_E10value_typeET2_T3_PNSL_ISQ_E10value_typeET4_jRbjT5_SW_jjP12ihipStream_tbEUlT_E2_NS1_11comp_targetILNS1_3genE5ELNS1_11target_archE942ELNS1_3gpuE9ELNS1_3repE0EEENS1_30default_config_static_selectorELNS0_4arch9wavefront6targetE1EEEvSK_,comdat
	.globl	_ZN7rocprim17ROCPRIM_400000_NS6detail17trampoline_kernelINS0_14default_configENS1_36segmented_radix_sort_config_selectorIblEEZNS1_25segmented_radix_sort_implIS3_Lb1EPKbPbPKlPlN2at6native12_GLOBAL__N_18offset_tEEE10hipError_tPvRmT1_PNSt15iterator_traitsISK_E10value_typeET2_T3_PNSL_ISQ_E10value_typeET4_jRbjT5_SW_jjP12ihipStream_tbEUlT_E2_NS1_11comp_targetILNS1_3genE5ELNS1_11target_archE942ELNS1_3gpuE9ELNS1_3repE0EEENS1_30default_config_static_selectorELNS0_4arch9wavefront6targetE1EEEvSK_ ; -- Begin function _ZN7rocprim17ROCPRIM_400000_NS6detail17trampoline_kernelINS0_14default_configENS1_36segmented_radix_sort_config_selectorIblEEZNS1_25segmented_radix_sort_implIS3_Lb1EPKbPbPKlPlN2at6native12_GLOBAL__N_18offset_tEEE10hipError_tPvRmT1_PNSt15iterator_traitsISK_E10value_typeET2_T3_PNSL_ISQ_E10value_typeET4_jRbjT5_SW_jjP12ihipStream_tbEUlT_E2_NS1_11comp_targetILNS1_3genE5ELNS1_11target_archE942ELNS1_3gpuE9ELNS1_3repE0EEENS1_30default_config_static_selectorELNS0_4arch9wavefront6targetE1EEEvSK_
	.p2align	8
	.type	_ZN7rocprim17ROCPRIM_400000_NS6detail17trampoline_kernelINS0_14default_configENS1_36segmented_radix_sort_config_selectorIblEEZNS1_25segmented_radix_sort_implIS3_Lb1EPKbPbPKlPlN2at6native12_GLOBAL__N_18offset_tEEE10hipError_tPvRmT1_PNSt15iterator_traitsISK_E10value_typeET2_T3_PNSL_ISQ_E10value_typeET4_jRbjT5_SW_jjP12ihipStream_tbEUlT_E2_NS1_11comp_targetILNS1_3genE5ELNS1_11target_archE942ELNS1_3gpuE9ELNS1_3repE0EEENS1_30default_config_static_selectorELNS0_4arch9wavefront6targetE1EEEvSK_,@function
_ZN7rocprim17ROCPRIM_400000_NS6detail17trampoline_kernelINS0_14default_configENS1_36segmented_radix_sort_config_selectorIblEEZNS1_25segmented_radix_sort_implIS3_Lb1EPKbPbPKlPlN2at6native12_GLOBAL__N_18offset_tEEE10hipError_tPvRmT1_PNSt15iterator_traitsISK_E10value_typeET2_T3_PNSL_ISQ_E10value_typeET4_jRbjT5_SW_jjP12ihipStream_tbEUlT_E2_NS1_11comp_targetILNS1_3genE5ELNS1_11target_archE942ELNS1_3gpuE9ELNS1_3repE0EEENS1_30default_config_static_selectorELNS0_4arch9wavefront6targetE1EEEvSK_: ; @_ZN7rocprim17ROCPRIM_400000_NS6detail17trampoline_kernelINS0_14default_configENS1_36segmented_radix_sort_config_selectorIblEEZNS1_25segmented_radix_sort_implIS3_Lb1EPKbPbPKlPlN2at6native12_GLOBAL__N_18offset_tEEE10hipError_tPvRmT1_PNSt15iterator_traitsISK_E10value_typeET2_T3_PNSL_ISQ_E10value_typeET4_jRbjT5_SW_jjP12ihipStream_tbEUlT_E2_NS1_11comp_targetILNS1_3genE5ELNS1_11target_archE942ELNS1_3gpuE9ELNS1_3repE0EEENS1_30default_config_static_selectorELNS0_4arch9wavefront6targetE1EEEvSK_
; %bb.0:
	.section	.rodata,"a",@progbits
	.p2align	6, 0x0
	.amdhsa_kernel _ZN7rocprim17ROCPRIM_400000_NS6detail17trampoline_kernelINS0_14default_configENS1_36segmented_radix_sort_config_selectorIblEEZNS1_25segmented_radix_sort_implIS3_Lb1EPKbPbPKlPlN2at6native12_GLOBAL__N_18offset_tEEE10hipError_tPvRmT1_PNSt15iterator_traitsISK_E10value_typeET2_T3_PNSL_ISQ_E10value_typeET4_jRbjT5_SW_jjP12ihipStream_tbEUlT_E2_NS1_11comp_targetILNS1_3genE5ELNS1_11target_archE942ELNS1_3gpuE9ELNS1_3repE0EEENS1_30default_config_static_selectorELNS0_4arch9wavefront6targetE1EEEvSK_
		.amdhsa_group_segment_fixed_size 0
		.amdhsa_private_segment_fixed_size 0
		.amdhsa_kernarg_size 80
		.amdhsa_user_sgpr_count 6
		.amdhsa_user_sgpr_private_segment_buffer 1
		.amdhsa_user_sgpr_dispatch_ptr 0
		.amdhsa_user_sgpr_queue_ptr 0
		.amdhsa_user_sgpr_kernarg_segment_ptr 1
		.amdhsa_user_sgpr_dispatch_id 0
		.amdhsa_user_sgpr_flat_scratch_init 0
		.amdhsa_user_sgpr_private_segment_size 0
		.amdhsa_uses_dynamic_stack 0
		.amdhsa_system_sgpr_private_segment_wavefront_offset 0
		.amdhsa_system_sgpr_workgroup_id_x 1
		.amdhsa_system_sgpr_workgroup_id_y 0
		.amdhsa_system_sgpr_workgroup_id_z 0
		.amdhsa_system_sgpr_workgroup_info 0
		.amdhsa_system_vgpr_workitem_id 0
		.amdhsa_next_free_vgpr 1
		.amdhsa_next_free_sgpr 0
		.amdhsa_reserve_vcc 0
		.amdhsa_reserve_flat_scratch 0
		.amdhsa_float_round_mode_32 0
		.amdhsa_float_round_mode_16_64 0
		.amdhsa_float_denorm_mode_32 3
		.amdhsa_float_denorm_mode_16_64 3
		.amdhsa_dx10_clamp 1
		.amdhsa_ieee_mode 1
		.amdhsa_fp16_overflow 0
		.amdhsa_exception_fp_ieee_invalid_op 0
		.amdhsa_exception_fp_denorm_src 0
		.amdhsa_exception_fp_ieee_div_zero 0
		.amdhsa_exception_fp_ieee_overflow 0
		.amdhsa_exception_fp_ieee_underflow 0
		.amdhsa_exception_fp_ieee_inexact 0
		.amdhsa_exception_int_div_zero 0
	.end_amdhsa_kernel
	.section	.text._ZN7rocprim17ROCPRIM_400000_NS6detail17trampoline_kernelINS0_14default_configENS1_36segmented_radix_sort_config_selectorIblEEZNS1_25segmented_radix_sort_implIS3_Lb1EPKbPbPKlPlN2at6native12_GLOBAL__N_18offset_tEEE10hipError_tPvRmT1_PNSt15iterator_traitsISK_E10value_typeET2_T3_PNSL_ISQ_E10value_typeET4_jRbjT5_SW_jjP12ihipStream_tbEUlT_E2_NS1_11comp_targetILNS1_3genE5ELNS1_11target_archE942ELNS1_3gpuE9ELNS1_3repE0EEENS1_30default_config_static_selectorELNS0_4arch9wavefront6targetE1EEEvSK_,"axG",@progbits,_ZN7rocprim17ROCPRIM_400000_NS6detail17trampoline_kernelINS0_14default_configENS1_36segmented_radix_sort_config_selectorIblEEZNS1_25segmented_radix_sort_implIS3_Lb1EPKbPbPKlPlN2at6native12_GLOBAL__N_18offset_tEEE10hipError_tPvRmT1_PNSt15iterator_traitsISK_E10value_typeET2_T3_PNSL_ISQ_E10value_typeET4_jRbjT5_SW_jjP12ihipStream_tbEUlT_E2_NS1_11comp_targetILNS1_3genE5ELNS1_11target_archE942ELNS1_3gpuE9ELNS1_3repE0EEENS1_30default_config_static_selectorELNS0_4arch9wavefront6targetE1EEEvSK_,comdat
.Lfunc_end1563:
	.size	_ZN7rocprim17ROCPRIM_400000_NS6detail17trampoline_kernelINS0_14default_configENS1_36segmented_radix_sort_config_selectorIblEEZNS1_25segmented_radix_sort_implIS3_Lb1EPKbPbPKlPlN2at6native12_GLOBAL__N_18offset_tEEE10hipError_tPvRmT1_PNSt15iterator_traitsISK_E10value_typeET2_T3_PNSL_ISQ_E10value_typeET4_jRbjT5_SW_jjP12ihipStream_tbEUlT_E2_NS1_11comp_targetILNS1_3genE5ELNS1_11target_archE942ELNS1_3gpuE9ELNS1_3repE0EEENS1_30default_config_static_selectorELNS0_4arch9wavefront6targetE1EEEvSK_, .Lfunc_end1563-_ZN7rocprim17ROCPRIM_400000_NS6detail17trampoline_kernelINS0_14default_configENS1_36segmented_radix_sort_config_selectorIblEEZNS1_25segmented_radix_sort_implIS3_Lb1EPKbPbPKlPlN2at6native12_GLOBAL__N_18offset_tEEE10hipError_tPvRmT1_PNSt15iterator_traitsISK_E10value_typeET2_T3_PNSL_ISQ_E10value_typeET4_jRbjT5_SW_jjP12ihipStream_tbEUlT_E2_NS1_11comp_targetILNS1_3genE5ELNS1_11target_archE942ELNS1_3gpuE9ELNS1_3repE0EEENS1_30default_config_static_selectorELNS0_4arch9wavefront6targetE1EEEvSK_
                                        ; -- End function
	.set _ZN7rocprim17ROCPRIM_400000_NS6detail17trampoline_kernelINS0_14default_configENS1_36segmented_radix_sort_config_selectorIblEEZNS1_25segmented_radix_sort_implIS3_Lb1EPKbPbPKlPlN2at6native12_GLOBAL__N_18offset_tEEE10hipError_tPvRmT1_PNSt15iterator_traitsISK_E10value_typeET2_T3_PNSL_ISQ_E10value_typeET4_jRbjT5_SW_jjP12ihipStream_tbEUlT_E2_NS1_11comp_targetILNS1_3genE5ELNS1_11target_archE942ELNS1_3gpuE9ELNS1_3repE0EEENS1_30default_config_static_selectorELNS0_4arch9wavefront6targetE1EEEvSK_.num_vgpr, 0
	.set _ZN7rocprim17ROCPRIM_400000_NS6detail17trampoline_kernelINS0_14default_configENS1_36segmented_radix_sort_config_selectorIblEEZNS1_25segmented_radix_sort_implIS3_Lb1EPKbPbPKlPlN2at6native12_GLOBAL__N_18offset_tEEE10hipError_tPvRmT1_PNSt15iterator_traitsISK_E10value_typeET2_T3_PNSL_ISQ_E10value_typeET4_jRbjT5_SW_jjP12ihipStream_tbEUlT_E2_NS1_11comp_targetILNS1_3genE5ELNS1_11target_archE942ELNS1_3gpuE9ELNS1_3repE0EEENS1_30default_config_static_selectorELNS0_4arch9wavefront6targetE1EEEvSK_.num_agpr, 0
	.set _ZN7rocprim17ROCPRIM_400000_NS6detail17trampoline_kernelINS0_14default_configENS1_36segmented_radix_sort_config_selectorIblEEZNS1_25segmented_radix_sort_implIS3_Lb1EPKbPbPKlPlN2at6native12_GLOBAL__N_18offset_tEEE10hipError_tPvRmT1_PNSt15iterator_traitsISK_E10value_typeET2_T3_PNSL_ISQ_E10value_typeET4_jRbjT5_SW_jjP12ihipStream_tbEUlT_E2_NS1_11comp_targetILNS1_3genE5ELNS1_11target_archE942ELNS1_3gpuE9ELNS1_3repE0EEENS1_30default_config_static_selectorELNS0_4arch9wavefront6targetE1EEEvSK_.numbered_sgpr, 0
	.set _ZN7rocprim17ROCPRIM_400000_NS6detail17trampoline_kernelINS0_14default_configENS1_36segmented_radix_sort_config_selectorIblEEZNS1_25segmented_radix_sort_implIS3_Lb1EPKbPbPKlPlN2at6native12_GLOBAL__N_18offset_tEEE10hipError_tPvRmT1_PNSt15iterator_traitsISK_E10value_typeET2_T3_PNSL_ISQ_E10value_typeET4_jRbjT5_SW_jjP12ihipStream_tbEUlT_E2_NS1_11comp_targetILNS1_3genE5ELNS1_11target_archE942ELNS1_3gpuE9ELNS1_3repE0EEENS1_30default_config_static_selectorELNS0_4arch9wavefront6targetE1EEEvSK_.num_named_barrier, 0
	.set _ZN7rocprim17ROCPRIM_400000_NS6detail17trampoline_kernelINS0_14default_configENS1_36segmented_radix_sort_config_selectorIblEEZNS1_25segmented_radix_sort_implIS3_Lb1EPKbPbPKlPlN2at6native12_GLOBAL__N_18offset_tEEE10hipError_tPvRmT1_PNSt15iterator_traitsISK_E10value_typeET2_T3_PNSL_ISQ_E10value_typeET4_jRbjT5_SW_jjP12ihipStream_tbEUlT_E2_NS1_11comp_targetILNS1_3genE5ELNS1_11target_archE942ELNS1_3gpuE9ELNS1_3repE0EEENS1_30default_config_static_selectorELNS0_4arch9wavefront6targetE1EEEvSK_.private_seg_size, 0
	.set _ZN7rocprim17ROCPRIM_400000_NS6detail17trampoline_kernelINS0_14default_configENS1_36segmented_radix_sort_config_selectorIblEEZNS1_25segmented_radix_sort_implIS3_Lb1EPKbPbPKlPlN2at6native12_GLOBAL__N_18offset_tEEE10hipError_tPvRmT1_PNSt15iterator_traitsISK_E10value_typeET2_T3_PNSL_ISQ_E10value_typeET4_jRbjT5_SW_jjP12ihipStream_tbEUlT_E2_NS1_11comp_targetILNS1_3genE5ELNS1_11target_archE942ELNS1_3gpuE9ELNS1_3repE0EEENS1_30default_config_static_selectorELNS0_4arch9wavefront6targetE1EEEvSK_.uses_vcc, 0
	.set _ZN7rocprim17ROCPRIM_400000_NS6detail17trampoline_kernelINS0_14default_configENS1_36segmented_radix_sort_config_selectorIblEEZNS1_25segmented_radix_sort_implIS3_Lb1EPKbPbPKlPlN2at6native12_GLOBAL__N_18offset_tEEE10hipError_tPvRmT1_PNSt15iterator_traitsISK_E10value_typeET2_T3_PNSL_ISQ_E10value_typeET4_jRbjT5_SW_jjP12ihipStream_tbEUlT_E2_NS1_11comp_targetILNS1_3genE5ELNS1_11target_archE942ELNS1_3gpuE9ELNS1_3repE0EEENS1_30default_config_static_selectorELNS0_4arch9wavefront6targetE1EEEvSK_.uses_flat_scratch, 0
	.set _ZN7rocprim17ROCPRIM_400000_NS6detail17trampoline_kernelINS0_14default_configENS1_36segmented_radix_sort_config_selectorIblEEZNS1_25segmented_radix_sort_implIS3_Lb1EPKbPbPKlPlN2at6native12_GLOBAL__N_18offset_tEEE10hipError_tPvRmT1_PNSt15iterator_traitsISK_E10value_typeET2_T3_PNSL_ISQ_E10value_typeET4_jRbjT5_SW_jjP12ihipStream_tbEUlT_E2_NS1_11comp_targetILNS1_3genE5ELNS1_11target_archE942ELNS1_3gpuE9ELNS1_3repE0EEENS1_30default_config_static_selectorELNS0_4arch9wavefront6targetE1EEEvSK_.has_dyn_sized_stack, 0
	.set _ZN7rocprim17ROCPRIM_400000_NS6detail17trampoline_kernelINS0_14default_configENS1_36segmented_radix_sort_config_selectorIblEEZNS1_25segmented_radix_sort_implIS3_Lb1EPKbPbPKlPlN2at6native12_GLOBAL__N_18offset_tEEE10hipError_tPvRmT1_PNSt15iterator_traitsISK_E10value_typeET2_T3_PNSL_ISQ_E10value_typeET4_jRbjT5_SW_jjP12ihipStream_tbEUlT_E2_NS1_11comp_targetILNS1_3genE5ELNS1_11target_archE942ELNS1_3gpuE9ELNS1_3repE0EEENS1_30default_config_static_selectorELNS0_4arch9wavefront6targetE1EEEvSK_.has_recursion, 0
	.set _ZN7rocprim17ROCPRIM_400000_NS6detail17trampoline_kernelINS0_14default_configENS1_36segmented_radix_sort_config_selectorIblEEZNS1_25segmented_radix_sort_implIS3_Lb1EPKbPbPKlPlN2at6native12_GLOBAL__N_18offset_tEEE10hipError_tPvRmT1_PNSt15iterator_traitsISK_E10value_typeET2_T3_PNSL_ISQ_E10value_typeET4_jRbjT5_SW_jjP12ihipStream_tbEUlT_E2_NS1_11comp_targetILNS1_3genE5ELNS1_11target_archE942ELNS1_3gpuE9ELNS1_3repE0EEENS1_30default_config_static_selectorELNS0_4arch9wavefront6targetE1EEEvSK_.has_indirect_call, 0
	.section	.AMDGPU.csdata,"",@progbits
; Kernel info:
; codeLenInByte = 0
; TotalNumSgprs: 4
; NumVgprs: 0
; ScratchSize: 0
; MemoryBound: 0
; FloatMode: 240
; IeeeMode: 1
; LDSByteSize: 0 bytes/workgroup (compile time only)
; SGPRBlocks: 0
; VGPRBlocks: 0
; NumSGPRsForWavesPerEU: 4
; NumVGPRsForWavesPerEU: 1
; Occupancy: 10
; WaveLimiterHint : 0
; COMPUTE_PGM_RSRC2:SCRATCH_EN: 0
; COMPUTE_PGM_RSRC2:USER_SGPR: 6
; COMPUTE_PGM_RSRC2:TRAP_HANDLER: 0
; COMPUTE_PGM_RSRC2:TGID_X_EN: 1
; COMPUTE_PGM_RSRC2:TGID_Y_EN: 0
; COMPUTE_PGM_RSRC2:TGID_Z_EN: 0
; COMPUTE_PGM_RSRC2:TIDIG_COMP_CNT: 0
	.section	.text._ZN7rocprim17ROCPRIM_400000_NS6detail17trampoline_kernelINS0_14default_configENS1_36segmented_radix_sort_config_selectorIblEEZNS1_25segmented_radix_sort_implIS3_Lb1EPKbPbPKlPlN2at6native12_GLOBAL__N_18offset_tEEE10hipError_tPvRmT1_PNSt15iterator_traitsISK_E10value_typeET2_T3_PNSL_ISQ_E10value_typeET4_jRbjT5_SW_jjP12ihipStream_tbEUlT_E2_NS1_11comp_targetILNS1_3genE4ELNS1_11target_archE910ELNS1_3gpuE8ELNS1_3repE0EEENS1_30default_config_static_selectorELNS0_4arch9wavefront6targetE1EEEvSK_,"axG",@progbits,_ZN7rocprim17ROCPRIM_400000_NS6detail17trampoline_kernelINS0_14default_configENS1_36segmented_radix_sort_config_selectorIblEEZNS1_25segmented_radix_sort_implIS3_Lb1EPKbPbPKlPlN2at6native12_GLOBAL__N_18offset_tEEE10hipError_tPvRmT1_PNSt15iterator_traitsISK_E10value_typeET2_T3_PNSL_ISQ_E10value_typeET4_jRbjT5_SW_jjP12ihipStream_tbEUlT_E2_NS1_11comp_targetILNS1_3genE4ELNS1_11target_archE910ELNS1_3gpuE8ELNS1_3repE0EEENS1_30default_config_static_selectorELNS0_4arch9wavefront6targetE1EEEvSK_,comdat
	.globl	_ZN7rocprim17ROCPRIM_400000_NS6detail17trampoline_kernelINS0_14default_configENS1_36segmented_radix_sort_config_selectorIblEEZNS1_25segmented_radix_sort_implIS3_Lb1EPKbPbPKlPlN2at6native12_GLOBAL__N_18offset_tEEE10hipError_tPvRmT1_PNSt15iterator_traitsISK_E10value_typeET2_T3_PNSL_ISQ_E10value_typeET4_jRbjT5_SW_jjP12ihipStream_tbEUlT_E2_NS1_11comp_targetILNS1_3genE4ELNS1_11target_archE910ELNS1_3gpuE8ELNS1_3repE0EEENS1_30default_config_static_selectorELNS0_4arch9wavefront6targetE1EEEvSK_ ; -- Begin function _ZN7rocprim17ROCPRIM_400000_NS6detail17trampoline_kernelINS0_14default_configENS1_36segmented_radix_sort_config_selectorIblEEZNS1_25segmented_radix_sort_implIS3_Lb1EPKbPbPKlPlN2at6native12_GLOBAL__N_18offset_tEEE10hipError_tPvRmT1_PNSt15iterator_traitsISK_E10value_typeET2_T3_PNSL_ISQ_E10value_typeET4_jRbjT5_SW_jjP12ihipStream_tbEUlT_E2_NS1_11comp_targetILNS1_3genE4ELNS1_11target_archE910ELNS1_3gpuE8ELNS1_3repE0EEENS1_30default_config_static_selectorELNS0_4arch9wavefront6targetE1EEEvSK_
	.p2align	8
	.type	_ZN7rocprim17ROCPRIM_400000_NS6detail17trampoline_kernelINS0_14default_configENS1_36segmented_radix_sort_config_selectorIblEEZNS1_25segmented_radix_sort_implIS3_Lb1EPKbPbPKlPlN2at6native12_GLOBAL__N_18offset_tEEE10hipError_tPvRmT1_PNSt15iterator_traitsISK_E10value_typeET2_T3_PNSL_ISQ_E10value_typeET4_jRbjT5_SW_jjP12ihipStream_tbEUlT_E2_NS1_11comp_targetILNS1_3genE4ELNS1_11target_archE910ELNS1_3gpuE8ELNS1_3repE0EEENS1_30default_config_static_selectorELNS0_4arch9wavefront6targetE1EEEvSK_,@function
_ZN7rocprim17ROCPRIM_400000_NS6detail17trampoline_kernelINS0_14default_configENS1_36segmented_radix_sort_config_selectorIblEEZNS1_25segmented_radix_sort_implIS3_Lb1EPKbPbPKlPlN2at6native12_GLOBAL__N_18offset_tEEE10hipError_tPvRmT1_PNSt15iterator_traitsISK_E10value_typeET2_T3_PNSL_ISQ_E10value_typeET4_jRbjT5_SW_jjP12ihipStream_tbEUlT_E2_NS1_11comp_targetILNS1_3genE4ELNS1_11target_archE910ELNS1_3gpuE8ELNS1_3repE0EEENS1_30default_config_static_selectorELNS0_4arch9wavefront6targetE1EEEvSK_: ; @_ZN7rocprim17ROCPRIM_400000_NS6detail17trampoline_kernelINS0_14default_configENS1_36segmented_radix_sort_config_selectorIblEEZNS1_25segmented_radix_sort_implIS3_Lb1EPKbPbPKlPlN2at6native12_GLOBAL__N_18offset_tEEE10hipError_tPvRmT1_PNSt15iterator_traitsISK_E10value_typeET2_T3_PNSL_ISQ_E10value_typeET4_jRbjT5_SW_jjP12ihipStream_tbEUlT_E2_NS1_11comp_targetILNS1_3genE4ELNS1_11target_archE910ELNS1_3gpuE8ELNS1_3repE0EEENS1_30default_config_static_selectorELNS0_4arch9wavefront6targetE1EEEvSK_
; %bb.0:
	.section	.rodata,"a",@progbits
	.p2align	6, 0x0
	.amdhsa_kernel _ZN7rocprim17ROCPRIM_400000_NS6detail17trampoline_kernelINS0_14default_configENS1_36segmented_radix_sort_config_selectorIblEEZNS1_25segmented_radix_sort_implIS3_Lb1EPKbPbPKlPlN2at6native12_GLOBAL__N_18offset_tEEE10hipError_tPvRmT1_PNSt15iterator_traitsISK_E10value_typeET2_T3_PNSL_ISQ_E10value_typeET4_jRbjT5_SW_jjP12ihipStream_tbEUlT_E2_NS1_11comp_targetILNS1_3genE4ELNS1_11target_archE910ELNS1_3gpuE8ELNS1_3repE0EEENS1_30default_config_static_selectorELNS0_4arch9wavefront6targetE1EEEvSK_
		.amdhsa_group_segment_fixed_size 0
		.amdhsa_private_segment_fixed_size 0
		.amdhsa_kernarg_size 80
		.amdhsa_user_sgpr_count 6
		.amdhsa_user_sgpr_private_segment_buffer 1
		.amdhsa_user_sgpr_dispatch_ptr 0
		.amdhsa_user_sgpr_queue_ptr 0
		.amdhsa_user_sgpr_kernarg_segment_ptr 1
		.amdhsa_user_sgpr_dispatch_id 0
		.amdhsa_user_sgpr_flat_scratch_init 0
		.amdhsa_user_sgpr_private_segment_size 0
		.amdhsa_uses_dynamic_stack 0
		.amdhsa_system_sgpr_private_segment_wavefront_offset 0
		.amdhsa_system_sgpr_workgroup_id_x 1
		.amdhsa_system_sgpr_workgroup_id_y 0
		.amdhsa_system_sgpr_workgroup_id_z 0
		.amdhsa_system_sgpr_workgroup_info 0
		.amdhsa_system_vgpr_workitem_id 0
		.amdhsa_next_free_vgpr 1
		.amdhsa_next_free_sgpr 0
		.amdhsa_reserve_vcc 0
		.amdhsa_reserve_flat_scratch 0
		.amdhsa_float_round_mode_32 0
		.amdhsa_float_round_mode_16_64 0
		.amdhsa_float_denorm_mode_32 3
		.amdhsa_float_denorm_mode_16_64 3
		.amdhsa_dx10_clamp 1
		.amdhsa_ieee_mode 1
		.amdhsa_fp16_overflow 0
		.amdhsa_exception_fp_ieee_invalid_op 0
		.amdhsa_exception_fp_denorm_src 0
		.amdhsa_exception_fp_ieee_div_zero 0
		.amdhsa_exception_fp_ieee_overflow 0
		.amdhsa_exception_fp_ieee_underflow 0
		.amdhsa_exception_fp_ieee_inexact 0
		.amdhsa_exception_int_div_zero 0
	.end_amdhsa_kernel
	.section	.text._ZN7rocprim17ROCPRIM_400000_NS6detail17trampoline_kernelINS0_14default_configENS1_36segmented_radix_sort_config_selectorIblEEZNS1_25segmented_radix_sort_implIS3_Lb1EPKbPbPKlPlN2at6native12_GLOBAL__N_18offset_tEEE10hipError_tPvRmT1_PNSt15iterator_traitsISK_E10value_typeET2_T3_PNSL_ISQ_E10value_typeET4_jRbjT5_SW_jjP12ihipStream_tbEUlT_E2_NS1_11comp_targetILNS1_3genE4ELNS1_11target_archE910ELNS1_3gpuE8ELNS1_3repE0EEENS1_30default_config_static_selectorELNS0_4arch9wavefront6targetE1EEEvSK_,"axG",@progbits,_ZN7rocprim17ROCPRIM_400000_NS6detail17trampoline_kernelINS0_14default_configENS1_36segmented_radix_sort_config_selectorIblEEZNS1_25segmented_radix_sort_implIS3_Lb1EPKbPbPKlPlN2at6native12_GLOBAL__N_18offset_tEEE10hipError_tPvRmT1_PNSt15iterator_traitsISK_E10value_typeET2_T3_PNSL_ISQ_E10value_typeET4_jRbjT5_SW_jjP12ihipStream_tbEUlT_E2_NS1_11comp_targetILNS1_3genE4ELNS1_11target_archE910ELNS1_3gpuE8ELNS1_3repE0EEENS1_30default_config_static_selectorELNS0_4arch9wavefront6targetE1EEEvSK_,comdat
.Lfunc_end1564:
	.size	_ZN7rocprim17ROCPRIM_400000_NS6detail17trampoline_kernelINS0_14default_configENS1_36segmented_radix_sort_config_selectorIblEEZNS1_25segmented_radix_sort_implIS3_Lb1EPKbPbPKlPlN2at6native12_GLOBAL__N_18offset_tEEE10hipError_tPvRmT1_PNSt15iterator_traitsISK_E10value_typeET2_T3_PNSL_ISQ_E10value_typeET4_jRbjT5_SW_jjP12ihipStream_tbEUlT_E2_NS1_11comp_targetILNS1_3genE4ELNS1_11target_archE910ELNS1_3gpuE8ELNS1_3repE0EEENS1_30default_config_static_selectorELNS0_4arch9wavefront6targetE1EEEvSK_, .Lfunc_end1564-_ZN7rocprim17ROCPRIM_400000_NS6detail17trampoline_kernelINS0_14default_configENS1_36segmented_radix_sort_config_selectorIblEEZNS1_25segmented_radix_sort_implIS3_Lb1EPKbPbPKlPlN2at6native12_GLOBAL__N_18offset_tEEE10hipError_tPvRmT1_PNSt15iterator_traitsISK_E10value_typeET2_T3_PNSL_ISQ_E10value_typeET4_jRbjT5_SW_jjP12ihipStream_tbEUlT_E2_NS1_11comp_targetILNS1_3genE4ELNS1_11target_archE910ELNS1_3gpuE8ELNS1_3repE0EEENS1_30default_config_static_selectorELNS0_4arch9wavefront6targetE1EEEvSK_
                                        ; -- End function
	.set _ZN7rocprim17ROCPRIM_400000_NS6detail17trampoline_kernelINS0_14default_configENS1_36segmented_radix_sort_config_selectorIblEEZNS1_25segmented_radix_sort_implIS3_Lb1EPKbPbPKlPlN2at6native12_GLOBAL__N_18offset_tEEE10hipError_tPvRmT1_PNSt15iterator_traitsISK_E10value_typeET2_T3_PNSL_ISQ_E10value_typeET4_jRbjT5_SW_jjP12ihipStream_tbEUlT_E2_NS1_11comp_targetILNS1_3genE4ELNS1_11target_archE910ELNS1_3gpuE8ELNS1_3repE0EEENS1_30default_config_static_selectorELNS0_4arch9wavefront6targetE1EEEvSK_.num_vgpr, 0
	.set _ZN7rocprim17ROCPRIM_400000_NS6detail17trampoline_kernelINS0_14default_configENS1_36segmented_radix_sort_config_selectorIblEEZNS1_25segmented_radix_sort_implIS3_Lb1EPKbPbPKlPlN2at6native12_GLOBAL__N_18offset_tEEE10hipError_tPvRmT1_PNSt15iterator_traitsISK_E10value_typeET2_T3_PNSL_ISQ_E10value_typeET4_jRbjT5_SW_jjP12ihipStream_tbEUlT_E2_NS1_11comp_targetILNS1_3genE4ELNS1_11target_archE910ELNS1_3gpuE8ELNS1_3repE0EEENS1_30default_config_static_selectorELNS0_4arch9wavefront6targetE1EEEvSK_.num_agpr, 0
	.set _ZN7rocprim17ROCPRIM_400000_NS6detail17trampoline_kernelINS0_14default_configENS1_36segmented_radix_sort_config_selectorIblEEZNS1_25segmented_radix_sort_implIS3_Lb1EPKbPbPKlPlN2at6native12_GLOBAL__N_18offset_tEEE10hipError_tPvRmT1_PNSt15iterator_traitsISK_E10value_typeET2_T3_PNSL_ISQ_E10value_typeET4_jRbjT5_SW_jjP12ihipStream_tbEUlT_E2_NS1_11comp_targetILNS1_3genE4ELNS1_11target_archE910ELNS1_3gpuE8ELNS1_3repE0EEENS1_30default_config_static_selectorELNS0_4arch9wavefront6targetE1EEEvSK_.numbered_sgpr, 0
	.set _ZN7rocprim17ROCPRIM_400000_NS6detail17trampoline_kernelINS0_14default_configENS1_36segmented_radix_sort_config_selectorIblEEZNS1_25segmented_radix_sort_implIS3_Lb1EPKbPbPKlPlN2at6native12_GLOBAL__N_18offset_tEEE10hipError_tPvRmT1_PNSt15iterator_traitsISK_E10value_typeET2_T3_PNSL_ISQ_E10value_typeET4_jRbjT5_SW_jjP12ihipStream_tbEUlT_E2_NS1_11comp_targetILNS1_3genE4ELNS1_11target_archE910ELNS1_3gpuE8ELNS1_3repE0EEENS1_30default_config_static_selectorELNS0_4arch9wavefront6targetE1EEEvSK_.num_named_barrier, 0
	.set _ZN7rocprim17ROCPRIM_400000_NS6detail17trampoline_kernelINS0_14default_configENS1_36segmented_radix_sort_config_selectorIblEEZNS1_25segmented_radix_sort_implIS3_Lb1EPKbPbPKlPlN2at6native12_GLOBAL__N_18offset_tEEE10hipError_tPvRmT1_PNSt15iterator_traitsISK_E10value_typeET2_T3_PNSL_ISQ_E10value_typeET4_jRbjT5_SW_jjP12ihipStream_tbEUlT_E2_NS1_11comp_targetILNS1_3genE4ELNS1_11target_archE910ELNS1_3gpuE8ELNS1_3repE0EEENS1_30default_config_static_selectorELNS0_4arch9wavefront6targetE1EEEvSK_.private_seg_size, 0
	.set _ZN7rocprim17ROCPRIM_400000_NS6detail17trampoline_kernelINS0_14default_configENS1_36segmented_radix_sort_config_selectorIblEEZNS1_25segmented_radix_sort_implIS3_Lb1EPKbPbPKlPlN2at6native12_GLOBAL__N_18offset_tEEE10hipError_tPvRmT1_PNSt15iterator_traitsISK_E10value_typeET2_T3_PNSL_ISQ_E10value_typeET4_jRbjT5_SW_jjP12ihipStream_tbEUlT_E2_NS1_11comp_targetILNS1_3genE4ELNS1_11target_archE910ELNS1_3gpuE8ELNS1_3repE0EEENS1_30default_config_static_selectorELNS0_4arch9wavefront6targetE1EEEvSK_.uses_vcc, 0
	.set _ZN7rocprim17ROCPRIM_400000_NS6detail17trampoline_kernelINS0_14default_configENS1_36segmented_radix_sort_config_selectorIblEEZNS1_25segmented_radix_sort_implIS3_Lb1EPKbPbPKlPlN2at6native12_GLOBAL__N_18offset_tEEE10hipError_tPvRmT1_PNSt15iterator_traitsISK_E10value_typeET2_T3_PNSL_ISQ_E10value_typeET4_jRbjT5_SW_jjP12ihipStream_tbEUlT_E2_NS1_11comp_targetILNS1_3genE4ELNS1_11target_archE910ELNS1_3gpuE8ELNS1_3repE0EEENS1_30default_config_static_selectorELNS0_4arch9wavefront6targetE1EEEvSK_.uses_flat_scratch, 0
	.set _ZN7rocprim17ROCPRIM_400000_NS6detail17trampoline_kernelINS0_14default_configENS1_36segmented_radix_sort_config_selectorIblEEZNS1_25segmented_radix_sort_implIS3_Lb1EPKbPbPKlPlN2at6native12_GLOBAL__N_18offset_tEEE10hipError_tPvRmT1_PNSt15iterator_traitsISK_E10value_typeET2_T3_PNSL_ISQ_E10value_typeET4_jRbjT5_SW_jjP12ihipStream_tbEUlT_E2_NS1_11comp_targetILNS1_3genE4ELNS1_11target_archE910ELNS1_3gpuE8ELNS1_3repE0EEENS1_30default_config_static_selectorELNS0_4arch9wavefront6targetE1EEEvSK_.has_dyn_sized_stack, 0
	.set _ZN7rocprim17ROCPRIM_400000_NS6detail17trampoline_kernelINS0_14default_configENS1_36segmented_radix_sort_config_selectorIblEEZNS1_25segmented_radix_sort_implIS3_Lb1EPKbPbPKlPlN2at6native12_GLOBAL__N_18offset_tEEE10hipError_tPvRmT1_PNSt15iterator_traitsISK_E10value_typeET2_T3_PNSL_ISQ_E10value_typeET4_jRbjT5_SW_jjP12ihipStream_tbEUlT_E2_NS1_11comp_targetILNS1_3genE4ELNS1_11target_archE910ELNS1_3gpuE8ELNS1_3repE0EEENS1_30default_config_static_selectorELNS0_4arch9wavefront6targetE1EEEvSK_.has_recursion, 0
	.set _ZN7rocprim17ROCPRIM_400000_NS6detail17trampoline_kernelINS0_14default_configENS1_36segmented_radix_sort_config_selectorIblEEZNS1_25segmented_radix_sort_implIS3_Lb1EPKbPbPKlPlN2at6native12_GLOBAL__N_18offset_tEEE10hipError_tPvRmT1_PNSt15iterator_traitsISK_E10value_typeET2_T3_PNSL_ISQ_E10value_typeET4_jRbjT5_SW_jjP12ihipStream_tbEUlT_E2_NS1_11comp_targetILNS1_3genE4ELNS1_11target_archE910ELNS1_3gpuE8ELNS1_3repE0EEENS1_30default_config_static_selectorELNS0_4arch9wavefront6targetE1EEEvSK_.has_indirect_call, 0
	.section	.AMDGPU.csdata,"",@progbits
; Kernel info:
; codeLenInByte = 0
; TotalNumSgprs: 4
; NumVgprs: 0
; ScratchSize: 0
; MemoryBound: 0
; FloatMode: 240
; IeeeMode: 1
; LDSByteSize: 0 bytes/workgroup (compile time only)
; SGPRBlocks: 0
; VGPRBlocks: 0
; NumSGPRsForWavesPerEU: 4
; NumVGPRsForWavesPerEU: 1
; Occupancy: 10
; WaveLimiterHint : 0
; COMPUTE_PGM_RSRC2:SCRATCH_EN: 0
; COMPUTE_PGM_RSRC2:USER_SGPR: 6
; COMPUTE_PGM_RSRC2:TRAP_HANDLER: 0
; COMPUTE_PGM_RSRC2:TGID_X_EN: 1
; COMPUTE_PGM_RSRC2:TGID_Y_EN: 0
; COMPUTE_PGM_RSRC2:TGID_Z_EN: 0
; COMPUTE_PGM_RSRC2:TIDIG_COMP_CNT: 0
	.section	.text._ZN7rocprim17ROCPRIM_400000_NS6detail17trampoline_kernelINS0_14default_configENS1_36segmented_radix_sort_config_selectorIblEEZNS1_25segmented_radix_sort_implIS3_Lb1EPKbPbPKlPlN2at6native12_GLOBAL__N_18offset_tEEE10hipError_tPvRmT1_PNSt15iterator_traitsISK_E10value_typeET2_T3_PNSL_ISQ_E10value_typeET4_jRbjT5_SW_jjP12ihipStream_tbEUlT_E2_NS1_11comp_targetILNS1_3genE3ELNS1_11target_archE908ELNS1_3gpuE7ELNS1_3repE0EEENS1_30default_config_static_selectorELNS0_4arch9wavefront6targetE1EEEvSK_,"axG",@progbits,_ZN7rocprim17ROCPRIM_400000_NS6detail17trampoline_kernelINS0_14default_configENS1_36segmented_radix_sort_config_selectorIblEEZNS1_25segmented_radix_sort_implIS3_Lb1EPKbPbPKlPlN2at6native12_GLOBAL__N_18offset_tEEE10hipError_tPvRmT1_PNSt15iterator_traitsISK_E10value_typeET2_T3_PNSL_ISQ_E10value_typeET4_jRbjT5_SW_jjP12ihipStream_tbEUlT_E2_NS1_11comp_targetILNS1_3genE3ELNS1_11target_archE908ELNS1_3gpuE7ELNS1_3repE0EEENS1_30default_config_static_selectorELNS0_4arch9wavefront6targetE1EEEvSK_,comdat
	.globl	_ZN7rocprim17ROCPRIM_400000_NS6detail17trampoline_kernelINS0_14default_configENS1_36segmented_radix_sort_config_selectorIblEEZNS1_25segmented_radix_sort_implIS3_Lb1EPKbPbPKlPlN2at6native12_GLOBAL__N_18offset_tEEE10hipError_tPvRmT1_PNSt15iterator_traitsISK_E10value_typeET2_T3_PNSL_ISQ_E10value_typeET4_jRbjT5_SW_jjP12ihipStream_tbEUlT_E2_NS1_11comp_targetILNS1_3genE3ELNS1_11target_archE908ELNS1_3gpuE7ELNS1_3repE0EEENS1_30default_config_static_selectorELNS0_4arch9wavefront6targetE1EEEvSK_ ; -- Begin function _ZN7rocprim17ROCPRIM_400000_NS6detail17trampoline_kernelINS0_14default_configENS1_36segmented_radix_sort_config_selectorIblEEZNS1_25segmented_radix_sort_implIS3_Lb1EPKbPbPKlPlN2at6native12_GLOBAL__N_18offset_tEEE10hipError_tPvRmT1_PNSt15iterator_traitsISK_E10value_typeET2_T3_PNSL_ISQ_E10value_typeET4_jRbjT5_SW_jjP12ihipStream_tbEUlT_E2_NS1_11comp_targetILNS1_3genE3ELNS1_11target_archE908ELNS1_3gpuE7ELNS1_3repE0EEENS1_30default_config_static_selectorELNS0_4arch9wavefront6targetE1EEEvSK_
	.p2align	8
	.type	_ZN7rocprim17ROCPRIM_400000_NS6detail17trampoline_kernelINS0_14default_configENS1_36segmented_radix_sort_config_selectorIblEEZNS1_25segmented_radix_sort_implIS3_Lb1EPKbPbPKlPlN2at6native12_GLOBAL__N_18offset_tEEE10hipError_tPvRmT1_PNSt15iterator_traitsISK_E10value_typeET2_T3_PNSL_ISQ_E10value_typeET4_jRbjT5_SW_jjP12ihipStream_tbEUlT_E2_NS1_11comp_targetILNS1_3genE3ELNS1_11target_archE908ELNS1_3gpuE7ELNS1_3repE0EEENS1_30default_config_static_selectorELNS0_4arch9wavefront6targetE1EEEvSK_,@function
_ZN7rocprim17ROCPRIM_400000_NS6detail17trampoline_kernelINS0_14default_configENS1_36segmented_radix_sort_config_selectorIblEEZNS1_25segmented_radix_sort_implIS3_Lb1EPKbPbPKlPlN2at6native12_GLOBAL__N_18offset_tEEE10hipError_tPvRmT1_PNSt15iterator_traitsISK_E10value_typeET2_T3_PNSL_ISQ_E10value_typeET4_jRbjT5_SW_jjP12ihipStream_tbEUlT_E2_NS1_11comp_targetILNS1_3genE3ELNS1_11target_archE908ELNS1_3gpuE7ELNS1_3repE0EEENS1_30default_config_static_selectorELNS0_4arch9wavefront6targetE1EEEvSK_: ; @_ZN7rocprim17ROCPRIM_400000_NS6detail17trampoline_kernelINS0_14default_configENS1_36segmented_radix_sort_config_selectorIblEEZNS1_25segmented_radix_sort_implIS3_Lb1EPKbPbPKlPlN2at6native12_GLOBAL__N_18offset_tEEE10hipError_tPvRmT1_PNSt15iterator_traitsISK_E10value_typeET2_T3_PNSL_ISQ_E10value_typeET4_jRbjT5_SW_jjP12ihipStream_tbEUlT_E2_NS1_11comp_targetILNS1_3genE3ELNS1_11target_archE908ELNS1_3gpuE7ELNS1_3repE0EEENS1_30default_config_static_selectorELNS0_4arch9wavefront6targetE1EEEvSK_
; %bb.0:
	.section	.rodata,"a",@progbits
	.p2align	6, 0x0
	.amdhsa_kernel _ZN7rocprim17ROCPRIM_400000_NS6detail17trampoline_kernelINS0_14default_configENS1_36segmented_radix_sort_config_selectorIblEEZNS1_25segmented_radix_sort_implIS3_Lb1EPKbPbPKlPlN2at6native12_GLOBAL__N_18offset_tEEE10hipError_tPvRmT1_PNSt15iterator_traitsISK_E10value_typeET2_T3_PNSL_ISQ_E10value_typeET4_jRbjT5_SW_jjP12ihipStream_tbEUlT_E2_NS1_11comp_targetILNS1_3genE3ELNS1_11target_archE908ELNS1_3gpuE7ELNS1_3repE0EEENS1_30default_config_static_selectorELNS0_4arch9wavefront6targetE1EEEvSK_
		.amdhsa_group_segment_fixed_size 0
		.amdhsa_private_segment_fixed_size 0
		.amdhsa_kernarg_size 80
		.amdhsa_user_sgpr_count 6
		.amdhsa_user_sgpr_private_segment_buffer 1
		.amdhsa_user_sgpr_dispatch_ptr 0
		.amdhsa_user_sgpr_queue_ptr 0
		.amdhsa_user_sgpr_kernarg_segment_ptr 1
		.amdhsa_user_sgpr_dispatch_id 0
		.amdhsa_user_sgpr_flat_scratch_init 0
		.amdhsa_user_sgpr_private_segment_size 0
		.amdhsa_uses_dynamic_stack 0
		.amdhsa_system_sgpr_private_segment_wavefront_offset 0
		.amdhsa_system_sgpr_workgroup_id_x 1
		.amdhsa_system_sgpr_workgroup_id_y 0
		.amdhsa_system_sgpr_workgroup_id_z 0
		.amdhsa_system_sgpr_workgroup_info 0
		.amdhsa_system_vgpr_workitem_id 0
		.amdhsa_next_free_vgpr 1
		.amdhsa_next_free_sgpr 0
		.amdhsa_reserve_vcc 0
		.amdhsa_reserve_flat_scratch 0
		.amdhsa_float_round_mode_32 0
		.amdhsa_float_round_mode_16_64 0
		.amdhsa_float_denorm_mode_32 3
		.amdhsa_float_denorm_mode_16_64 3
		.amdhsa_dx10_clamp 1
		.amdhsa_ieee_mode 1
		.amdhsa_fp16_overflow 0
		.amdhsa_exception_fp_ieee_invalid_op 0
		.amdhsa_exception_fp_denorm_src 0
		.amdhsa_exception_fp_ieee_div_zero 0
		.amdhsa_exception_fp_ieee_overflow 0
		.amdhsa_exception_fp_ieee_underflow 0
		.amdhsa_exception_fp_ieee_inexact 0
		.amdhsa_exception_int_div_zero 0
	.end_amdhsa_kernel
	.section	.text._ZN7rocprim17ROCPRIM_400000_NS6detail17trampoline_kernelINS0_14default_configENS1_36segmented_radix_sort_config_selectorIblEEZNS1_25segmented_radix_sort_implIS3_Lb1EPKbPbPKlPlN2at6native12_GLOBAL__N_18offset_tEEE10hipError_tPvRmT1_PNSt15iterator_traitsISK_E10value_typeET2_T3_PNSL_ISQ_E10value_typeET4_jRbjT5_SW_jjP12ihipStream_tbEUlT_E2_NS1_11comp_targetILNS1_3genE3ELNS1_11target_archE908ELNS1_3gpuE7ELNS1_3repE0EEENS1_30default_config_static_selectorELNS0_4arch9wavefront6targetE1EEEvSK_,"axG",@progbits,_ZN7rocprim17ROCPRIM_400000_NS6detail17trampoline_kernelINS0_14default_configENS1_36segmented_radix_sort_config_selectorIblEEZNS1_25segmented_radix_sort_implIS3_Lb1EPKbPbPKlPlN2at6native12_GLOBAL__N_18offset_tEEE10hipError_tPvRmT1_PNSt15iterator_traitsISK_E10value_typeET2_T3_PNSL_ISQ_E10value_typeET4_jRbjT5_SW_jjP12ihipStream_tbEUlT_E2_NS1_11comp_targetILNS1_3genE3ELNS1_11target_archE908ELNS1_3gpuE7ELNS1_3repE0EEENS1_30default_config_static_selectorELNS0_4arch9wavefront6targetE1EEEvSK_,comdat
.Lfunc_end1565:
	.size	_ZN7rocprim17ROCPRIM_400000_NS6detail17trampoline_kernelINS0_14default_configENS1_36segmented_radix_sort_config_selectorIblEEZNS1_25segmented_radix_sort_implIS3_Lb1EPKbPbPKlPlN2at6native12_GLOBAL__N_18offset_tEEE10hipError_tPvRmT1_PNSt15iterator_traitsISK_E10value_typeET2_T3_PNSL_ISQ_E10value_typeET4_jRbjT5_SW_jjP12ihipStream_tbEUlT_E2_NS1_11comp_targetILNS1_3genE3ELNS1_11target_archE908ELNS1_3gpuE7ELNS1_3repE0EEENS1_30default_config_static_selectorELNS0_4arch9wavefront6targetE1EEEvSK_, .Lfunc_end1565-_ZN7rocprim17ROCPRIM_400000_NS6detail17trampoline_kernelINS0_14default_configENS1_36segmented_radix_sort_config_selectorIblEEZNS1_25segmented_radix_sort_implIS3_Lb1EPKbPbPKlPlN2at6native12_GLOBAL__N_18offset_tEEE10hipError_tPvRmT1_PNSt15iterator_traitsISK_E10value_typeET2_T3_PNSL_ISQ_E10value_typeET4_jRbjT5_SW_jjP12ihipStream_tbEUlT_E2_NS1_11comp_targetILNS1_3genE3ELNS1_11target_archE908ELNS1_3gpuE7ELNS1_3repE0EEENS1_30default_config_static_selectorELNS0_4arch9wavefront6targetE1EEEvSK_
                                        ; -- End function
	.set _ZN7rocprim17ROCPRIM_400000_NS6detail17trampoline_kernelINS0_14default_configENS1_36segmented_radix_sort_config_selectorIblEEZNS1_25segmented_radix_sort_implIS3_Lb1EPKbPbPKlPlN2at6native12_GLOBAL__N_18offset_tEEE10hipError_tPvRmT1_PNSt15iterator_traitsISK_E10value_typeET2_T3_PNSL_ISQ_E10value_typeET4_jRbjT5_SW_jjP12ihipStream_tbEUlT_E2_NS1_11comp_targetILNS1_3genE3ELNS1_11target_archE908ELNS1_3gpuE7ELNS1_3repE0EEENS1_30default_config_static_selectorELNS0_4arch9wavefront6targetE1EEEvSK_.num_vgpr, 0
	.set _ZN7rocprim17ROCPRIM_400000_NS6detail17trampoline_kernelINS0_14default_configENS1_36segmented_radix_sort_config_selectorIblEEZNS1_25segmented_radix_sort_implIS3_Lb1EPKbPbPKlPlN2at6native12_GLOBAL__N_18offset_tEEE10hipError_tPvRmT1_PNSt15iterator_traitsISK_E10value_typeET2_T3_PNSL_ISQ_E10value_typeET4_jRbjT5_SW_jjP12ihipStream_tbEUlT_E2_NS1_11comp_targetILNS1_3genE3ELNS1_11target_archE908ELNS1_3gpuE7ELNS1_3repE0EEENS1_30default_config_static_selectorELNS0_4arch9wavefront6targetE1EEEvSK_.num_agpr, 0
	.set _ZN7rocprim17ROCPRIM_400000_NS6detail17trampoline_kernelINS0_14default_configENS1_36segmented_radix_sort_config_selectorIblEEZNS1_25segmented_radix_sort_implIS3_Lb1EPKbPbPKlPlN2at6native12_GLOBAL__N_18offset_tEEE10hipError_tPvRmT1_PNSt15iterator_traitsISK_E10value_typeET2_T3_PNSL_ISQ_E10value_typeET4_jRbjT5_SW_jjP12ihipStream_tbEUlT_E2_NS1_11comp_targetILNS1_3genE3ELNS1_11target_archE908ELNS1_3gpuE7ELNS1_3repE0EEENS1_30default_config_static_selectorELNS0_4arch9wavefront6targetE1EEEvSK_.numbered_sgpr, 0
	.set _ZN7rocprim17ROCPRIM_400000_NS6detail17trampoline_kernelINS0_14default_configENS1_36segmented_radix_sort_config_selectorIblEEZNS1_25segmented_radix_sort_implIS3_Lb1EPKbPbPKlPlN2at6native12_GLOBAL__N_18offset_tEEE10hipError_tPvRmT1_PNSt15iterator_traitsISK_E10value_typeET2_T3_PNSL_ISQ_E10value_typeET4_jRbjT5_SW_jjP12ihipStream_tbEUlT_E2_NS1_11comp_targetILNS1_3genE3ELNS1_11target_archE908ELNS1_3gpuE7ELNS1_3repE0EEENS1_30default_config_static_selectorELNS0_4arch9wavefront6targetE1EEEvSK_.num_named_barrier, 0
	.set _ZN7rocprim17ROCPRIM_400000_NS6detail17trampoline_kernelINS0_14default_configENS1_36segmented_radix_sort_config_selectorIblEEZNS1_25segmented_radix_sort_implIS3_Lb1EPKbPbPKlPlN2at6native12_GLOBAL__N_18offset_tEEE10hipError_tPvRmT1_PNSt15iterator_traitsISK_E10value_typeET2_T3_PNSL_ISQ_E10value_typeET4_jRbjT5_SW_jjP12ihipStream_tbEUlT_E2_NS1_11comp_targetILNS1_3genE3ELNS1_11target_archE908ELNS1_3gpuE7ELNS1_3repE0EEENS1_30default_config_static_selectorELNS0_4arch9wavefront6targetE1EEEvSK_.private_seg_size, 0
	.set _ZN7rocprim17ROCPRIM_400000_NS6detail17trampoline_kernelINS0_14default_configENS1_36segmented_radix_sort_config_selectorIblEEZNS1_25segmented_radix_sort_implIS3_Lb1EPKbPbPKlPlN2at6native12_GLOBAL__N_18offset_tEEE10hipError_tPvRmT1_PNSt15iterator_traitsISK_E10value_typeET2_T3_PNSL_ISQ_E10value_typeET4_jRbjT5_SW_jjP12ihipStream_tbEUlT_E2_NS1_11comp_targetILNS1_3genE3ELNS1_11target_archE908ELNS1_3gpuE7ELNS1_3repE0EEENS1_30default_config_static_selectorELNS0_4arch9wavefront6targetE1EEEvSK_.uses_vcc, 0
	.set _ZN7rocprim17ROCPRIM_400000_NS6detail17trampoline_kernelINS0_14default_configENS1_36segmented_radix_sort_config_selectorIblEEZNS1_25segmented_radix_sort_implIS3_Lb1EPKbPbPKlPlN2at6native12_GLOBAL__N_18offset_tEEE10hipError_tPvRmT1_PNSt15iterator_traitsISK_E10value_typeET2_T3_PNSL_ISQ_E10value_typeET4_jRbjT5_SW_jjP12ihipStream_tbEUlT_E2_NS1_11comp_targetILNS1_3genE3ELNS1_11target_archE908ELNS1_3gpuE7ELNS1_3repE0EEENS1_30default_config_static_selectorELNS0_4arch9wavefront6targetE1EEEvSK_.uses_flat_scratch, 0
	.set _ZN7rocprim17ROCPRIM_400000_NS6detail17trampoline_kernelINS0_14default_configENS1_36segmented_radix_sort_config_selectorIblEEZNS1_25segmented_radix_sort_implIS3_Lb1EPKbPbPKlPlN2at6native12_GLOBAL__N_18offset_tEEE10hipError_tPvRmT1_PNSt15iterator_traitsISK_E10value_typeET2_T3_PNSL_ISQ_E10value_typeET4_jRbjT5_SW_jjP12ihipStream_tbEUlT_E2_NS1_11comp_targetILNS1_3genE3ELNS1_11target_archE908ELNS1_3gpuE7ELNS1_3repE0EEENS1_30default_config_static_selectorELNS0_4arch9wavefront6targetE1EEEvSK_.has_dyn_sized_stack, 0
	.set _ZN7rocprim17ROCPRIM_400000_NS6detail17trampoline_kernelINS0_14default_configENS1_36segmented_radix_sort_config_selectorIblEEZNS1_25segmented_radix_sort_implIS3_Lb1EPKbPbPKlPlN2at6native12_GLOBAL__N_18offset_tEEE10hipError_tPvRmT1_PNSt15iterator_traitsISK_E10value_typeET2_T3_PNSL_ISQ_E10value_typeET4_jRbjT5_SW_jjP12ihipStream_tbEUlT_E2_NS1_11comp_targetILNS1_3genE3ELNS1_11target_archE908ELNS1_3gpuE7ELNS1_3repE0EEENS1_30default_config_static_selectorELNS0_4arch9wavefront6targetE1EEEvSK_.has_recursion, 0
	.set _ZN7rocprim17ROCPRIM_400000_NS6detail17trampoline_kernelINS0_14default_configENS1_36segmented_radix_sort_config_selectorIblEEZNS1_25segmented_radix_sort_implIS3_Lb1EPKbPbPKlPlN2at6native12_GLOBAL__N_18offset_tEEE10hipError_tPvRmT1_PNSt15iterator_traitsISK_E10value_typeET2_T3_PNSL_ISQ_E10value_typeET4_jRbjT5_SW_jjP12ihipStream_tbEUlT_E2_NS1_11comp_targetILNS1_3genE3ELNS1_11target_archE908ELNS1_3gpuE7ELNS1_3repE0EEENS1_30default_config_static_selectorELNS0_4arch9wavefront6targetE1EEEvSK_.has_indirect_call, 0
	.section	.AMDGPU.csdata,"",@progbits
; Kernel info:
; codeLenInByte = 0
; TotalNumSgprs: 4
; NumVgprs: 0
; ScratchSize: 0
; MemoryBound: 0
; FloatMode: 240
; IeeeMode: 1
; LDSByteSize: 0 bytes/workgroup (compile time only)
; SGPRBlocks: 0
; VGPRBlocks: 0
; NumSGPRsForWavesPerEU: 4
; NumVGPRsForWavesPerEU: 1
; Occupancy: 10
; WaveLimiterHint : 0
; COMPUTE_PGM_RSRC2:SCRATCH_EN: 0
; COMPUTE_PGM_RSRC2:USER_SGPR: 6
; COMPUTE_PGM_RSRC2:TRAP_HANDLER: 0
; COMPUTE_PGM_RSRC2:TGID_X_EN: 1
; COMPUTE_PGM_RSRC2:TGID_Y_EN: 0
; COMPUTE_PGM_RSRC2:TGID_Z_EN: 0
; COMPUTE_PGM_RSRC2:TIDIG_COMP_CNT: 0
	.section	.text._ZN7rocprim17ROCPRIM_400000_NS6detail17trampoline_kernelINS0_14default_configENS1_36segmented_radix_sort_config_selectorIblEEZNS1_25segmented_radix_sort_implIS3_Lb1EPKbPbPKlPlN2at6native12_GLOBAL__N_18offset_tEEE10hipError_tPvRmT1_PNSt15iterator_traitsISK_E10value_typeET2_T3_PNSL_ISQ_E10value_typeET4_jRbjT5_SW_jjP12ihipStream_tbEUlT_E2_NS1_11comp_targetILNS1_3genE2ELNS1_11target_archE906ELNS1_3gpuE6ELNS1_3repE0EEENS1_30default_config_static_selectorELNS0_4arch9wavefront6targetE1EEEvSK_,"axG",@progbits,_ZN7rocprim17ROCPRIM_400000_NS6detail17trampoline_kernelINS0_14default_configENS1_36segmented_radix_sort_config_selectorIblEEZNS1_25segmented_radix_sort_implIS3_Lb1EPKbPbPKlPlN2at6native12_GLOBAL__N_18offset_tEEE10hipError_tPvRmT1_PNSt15iterator_traitsISK_E10value_typeET2_T3_PNSL_ISQ_E10value_typeET4_jRbjT5_SW_jjP12ihipStream_tbEUlT_E2_NS1_11comp_targetILNS1_3genE2ELNS1_11target_archE906ELNS1_3gpuE6ELNS1_3repE0EEENS1_30default_config_static_selectorELNS0_4arch9wavefront6targetE1EEEvSK_,comdat
	.globl	_ZN7rocprim17ROCPRIM_400000_NS6detail17trampoline_kernelINS0_14default_configENS1_36segmented_radix_sort_config_selectorIblEEZNS1_25segmented_radix_sort_implIS3_Lb1EPKbPbPKlPlN2at6native12_GLOBAL__N_18offset_tEEE10hipError_tPvRmT1_PNSt15iterator_traitsISK_E10value_typeET2_T3_PNSL_ISQ_E10value_typeET4_jRbjT5_SW_jjP12ihipStream_tbEUlT_E2_NS1_11comp_targetILNS1_3genE2ELNS1_11target_archE906ELNS1_3gpuE6ELNS1_3repE0EEENS1_30default_config_static_selectorELNS0_4arch9wavefront6targetE1EEEvSK_ ; -- Begin function _ZN7rocprim17ROCPRIM_400000_NS6detail17trampoline_kernelINS0_14default_configENS1_36segmented_radix_sort_config_selectorIblEEZNS1_25segmented_radix_sort_implIS3_Lb1EPKbPbPKlPlN2at6native12_GLOBAL__N_18offset_tEEE10hipError_tPvRmT1_PNSt15iterator_traitsISK_E10value_typeET2_T3_PNSL_ISQ_E10value_typeET4_jRbjT5_SW_jjP12ihipStream_tbEUlT_E2_NS1_11comp_targetILNS1_3genE2ELNS1_11target_archE906ELNS1_3gpuE6ELNS1_3repE0EEENS1_30default_config_static_selectorELNS0_4arch9wavefront6targetE1EEEvSK_
	.p2align	8
	.type	_ZN7rocprim17ROCPRIM_400000_NS6detail17trampoline_kernelINS0_14default_configENS1_36segmented_radix_sort_config_selectorIblEEZNS1_25segmented_radix_sort_implIS3_Lb1EPKbPbPKlPlN2at6native12_GLOBAL__N_18offset_tEEE10hipError_tPvRmT1_PNSt15iterator_traitsISK_E10value_typeET2_T3_PNSL_ISQ_E10value_typeET4_jRbjT5_SW_jjP12ihipStream_tbEUlT_E2_NS1_11comp_targetILNS1_3genE2ELNS1_11target_archE906ELNS1_3gpuE6ELNS1_3repE0EEENS1_30default_config_static_selectorELNS0_4arch9wavefront6targetE1EEEvSK_,@function
_ZN7rocprim17ROCPRIM_400000_NS6detail17trampoline_kernelINS0_14default_configENS1_36segmented_radix_sort_config_selectorIblEEZNS1_25segmented_radix_sort_implIS3_Lb1EPKbPbPKlPlN2at6native12_GLOBAL__N_18offset_tEEE10hipError_tPvRmT1_PNSt15iterator_traitsISK_E10value_typeET2_T3_PNSL_ISQ_E10value_typeET4_jRbjT5_SW_jjP12ihipStream_tbEUlT_E2_NS1_11comp_targetILNS1_3genE2ELNS1_11target_archE906ELNS1_3gpuE6ELNS1_3repE0EEENS1_30default_config_static_selectorELNS0_4arch9wavefront6targetE1EEEvSK_: ; @_ZN7rocprim17ROCPRIM_400000_NS6detail17trampoline_kernelINS0_14default_configENS1_36segmented_radix_sort_config_selectorIblEEZNS1_25segmented_radix_sort_implIS3_Lb1EPKbPbPKlPlN2at6native12_GLOBAL__N_18offset_tEEE10hipError_tPvRmT1_PNSt15iterator_traitsISK_E10value_typeET2_T3_PNSL_ISQ_E10value_typeET4_jRbjT5_SW_jjP12ihipStream_tbEUlT_E2_NS1_11comp_targetILNS1_3genE2ELNS1_11target_archE906ELNS1_3gpuE6ELNS1_3repE0EEENS1_30default_config_static_selectorELNS0_4arch9wavefront6targetE1EEEvSK_
; %bb.0:
	s_add_u32 s0, s0, s8
	s_load_dwordx4 s[8:11], s[4:5], 0x34
	s_addc_u32 s1, s1, 0
	s_mov_b32 s32, 0
	s_waitcnt lgkmcnt(0)
	s_add_i32 s49, s9, s6
	s_add_i32 s76, s11, s6
	s_mul_i32 s49, s49, s8
	s_mul_i32 s76, s76, s10
	s_cmp_le_u32 s76, s49
	s_cbranch_scc1 .LBB1566_422
; %bb.1:
	s_mov_b32 s48, s6
	s_load_dword s6, s[4:5], 0x30
	s_load_dwordx4 s[52:55], s[4:5], 0x20
	s_load_dwordx4 s[72:75], s[4:5], 0x44
	s_load_dwordx8 s[64:71], s[4:5], 0x0
	s_mov_b32 s33, s7
	s_waitcnt lgkmcnt(0)
	s_bitcmp1_b32 s6, 0
	s_cselect_b64 s[50:51], -1, 0
	s_sub_i32 s75, s76, s49
	s_cmpk_lt_u32 s75, 0x401
	s_mov_b64 s[6:7], -1
	s_cbranch_scc0 .LBB1566_15
; %bb.2:
	s_cmp_lt_u32 s75, 33
	s_cbranch_scc0 .LBB1566_9
; %bb.3:
	s_load_dword s6, s[4:5], 0x5c
	s_waitcnt lgkmcnt(0)
	s_lshr_b32 s7, s6, 16
	s_and_b32 s6, s6, 0xffff
	v_mad_u32_u24 v3, v2, s7, v1
	v_mad_u64_u32 v[3:4], s[6:7], v3, s6, v[0:1]
	v_cmp_gt_u32_e32 vcc, 8, v3
	s_and_saveexec_b64 s[34:35], vcc
	s_cbranch_execz .LBB1566_8
; %bb.4:
	s_and_b32 s6, s72, 1
	v_cndmask_b32_e64 v3, 0, 1, s[50:51]
	v_cmp_ne_u32_e32 vcc, s6, v3
	s_mov_b64 s[6:7], -1
	s_cbranch_vccnz .LBB1566_6
; %bb.5:
	s_add_u32 s8, s4, 0x50
	s_mov_b64 s[6:7], src_shared_base
	s_addc_u32 s9, s5, 0
	v_lshlrev_b32_e32 v3, 20, v2
	v_lshlrev_b32_e32 v4, 10, v1
	s_getpc_b64 s[10:11]
	s_add_u32 s10, s10, _ZN7rocprim17ROCPRIM_400000_NS6detail26segmented_warp_sort_helperINS1_20WarpSortHelperConfigILj8ELj4ELj256EEEblLi256ELb1EvE4sortIPKbPbPKlPlEEvT_T0_T1_T2_jjjjRNS5_12storage_typeE@rel32@lo+4
	s_addc_u32 s11, s11, _ZN7rocprim17ROCPRIM_400000_NS6detail26segmented_warp_sort_helperINS1_20WarpSortHelperConfigILj8ELj4ELj256EEEblLi256ELb1EvE4sortIPKbPbPKlPlEEvT_T0_T1_T2_jjjjRNS5_12storage_typeE@rel32@hi+12
	v_or3_b32 v31, v0, v4, v3
	s_mov_b32 s12, s48
	s_mov_b32 s13, s33
	v_mov_b32_e32 v40, v0
	v_mov_b32_e32 v0, s64
	;; [unrolled: 1-line block ×17, first 2 shown]
	s_mov_b64 s[36:37], s[4:5]
	s_swappc_b64 s[30:31], s[10:11]
	v_mov_b32_e32 v1, v41
	v_mov_b32_e32 v2, v42
	;; [unrolled: 1-line block ×3, first 2 shown]
	s_mov_b64 s[4:5], s[36:37]
	s_mov_b64 s[6:7], 0
.LBB1566_6:
	s_andn2_b64 vcc, exec, s[6:7]
	s_cbranch_vccnz .LBB1566_8
; %bb.7:
	s_add_u32 s8, s4, 0x50
	s_mov_b64 s[6:7], src_shared_base
	s_addc_u32 s9, s5, 0
	v_lshlrev_b32_e32 v3, 20, v2
	v_lshlrev_b32_e32 v4, 10, v1
	s_getpc_b64 s[10:11]
	s_add_u32 s10, s10, _ZN7rocprim17ROCPRIM_400000_NS6detail26segmented_warp_sort_helperINS1_20WarpSortHelperConfigILj8ELj4ELj256EEEblLi256ELb1EvE4sortIPKbPbPKlPlEEvT_T0_T1_T2_jjjjRNS5_12storage_typeE@rel32@lo+4
	s_addc_u32 s11, s11, _ZN7rocprim17ROCPRIM_400000_NS6detail26segmented_warp_sort_helperINS1_20WarpSortHelperConfigILj8ELj4ELj256EEEblLi256ELb1EvE4sortIPKbPbPKlPlEEvT_T0_T1_T2_jjjjRNS5_12storage_typeE@rel32@hi+12
	v_or3_b32 v31, v0, v4, v3
	s_mov_b32 s12, s48
	s_mov_b32 s13, s33
	v_mov_b32_e32 v40, v0
	v_mov_b32_e32 v0, s64
	;; [unrolled: 1-line block ×17, first 2 shown]
	s_mov_b64 s[36:37], s[4:5]
	s_swappc_b64 s[30:31], s[10:11]
	v_mov_b32_e32 v1, v41
	v_mov_b32_e32 v2, v42
	;; [unrolled: 1-line block ×3, first 2 shown]
	s_mov_b64 s[4:5], s[36:37]
.LBB1566_8:
	s_or_b64 exec, exec, s[34:35]
	s_mov_b64 s[6:7], 0
.LBB1566_9:
	s_andn2_b64 vcc, exec, s[6:7]
	s_cbranch_vccnz .LBB1566_14
; %bb.10:
	s_and_b32 s6, s72, 1
	v_cndmask_b32_e64 v3, 0, 1, s[50:51]
	v_cmp_ne_u32_e32 vcc, s6, v3
	s_mov_b64 s[6:7], -1
	v_lshlrev_b32_e32 v41, 20, v2
	v_lshlrev_b32_e32 v42, 10, v1
	s_cbranch_vccnz .LBB1566_12
; %bb.11:
	s_add_u32 s8, s4, 0x50
	s_mov_b64 s[6:7], src_shared_base
	s_addc_u32 s9, s5, 0
	s_getpc_b64 s[10:11]
	s_add_u32 s10, s10, _ZN7rocprim17ROCPRIM_400000_NS6detail40segmented_radix_sort_single_block_helperIblLj256ELj4ELb1EE4sortIPKbPbPKlPlEEbT_T0_T1_T2_jjjjRNS3_12storage_typeE@rel32@lo+4
	s_addc_u32 s11, s11, _ZN7rocprim17ROCPRIM_400000_NS6detail40segmented_radix_sort_single_block_helperIblLj256ELj4ELb1EE4sortIPKbPbPKlPlEEbT_T0_T1_T2_jjjjRNS3_12storage_typeE@rel32@hi+12
	v_or3_b32 v31, v0, v42, v41
	s_mov_b32 s12, s48
	s_mov_b32 s13, s33
	v_mov_b32_e32 v40, v0
	v_mov_b32_e32 v0, s64
	v_mov_b32_e32 v43, v1
	v_mov_b32_e32 v1, s65
	v_mov_b32_e32 v44, v2
	v_mov_b32_e32 v2, s68
	v_mov_b32_e32 v3, s69
	v_mov_b32_e32 v4, s70
	v_mov_b32_e32 v5, s71
	v_mov_b32_e32 v6, s54
	v_mov_b32_e32 v7, s55
	v_mov_b32_e32 v8, s49
	v_mov_b32_e32 v9, s76
	v_mov_b32_e32 v10, s73
	v_mov_b32_e32 v11, s74
	v_mov_b32_e32 v12, 0
	v_mov_b32_e32 v13, s7
	s_mov_b64 s[34:35], s[4:5]
	s_swappc_b64 s[30:31], s[10:11]
	v_mov_b32_e32 v1, v43
	v_mov_b32_e32 v2, v44
	;; [unrolled: 1-line block ×3, first 2 shown]
	s_mov_b64 s[4:5], s[34:35]
	s_mov_b64 s[6:7], 0
.LBB1566_12:
	s_andn2_b64 vcc, exec, s[6:7]
	s_cbranch_vccnz .LBB1566_14
; %bb.13:
	s_add_u32 s8, s4, 0x50
	s_mov_b64 s[6:7], src_shared_base
	s_addc_u32 s9, s5, 0
	s_getpc_b64 s[10:11]
	s_add_u32 s10, s10, _ZN7rocprim17ROCPRIM_400000_NS6detail40segmented_radix_sort_single_block_helperIblLj256ELj4ELb1EE4sortIPKbPbPKlPlEEbT_T0_T1_T2_jjjjRNS3_12storage_typeE@rel32@lo+4
	s_addc_u32 s11, s11, _ZN7rocprim17ROCPRIM_400000_NS6detail40segmented_radix_sort_single_block_helperIblLj256ELj4ELb1EE4sortIPKbPbPKlPlEEbT_T0_T1_T2_jjjjRNS3_12storage_typeE@rel32@hi+12
	v_or3_b32 v31, v0, v42, v41
	s_mov_b32 s12, s48
	s_mov_b32 s13, s33
	v_mov_b32_e32 v40, v0
	v_mov_b32_e32 v0, s64
	;; [unrolled: 1-line block ×17, first 2 shown]
	s_mov_b64 s[34:35], s[4:5]
	s_swappc_b64 s[30:31], s[10:11]
	v_mov_b32_e32 v1, v41
	v_mov_b32_e32 v2, v42
	;; [unrolled: 1-line block ×3, first 2 shown]
	s_mov_b64 s[4:5], s[34:35]
.LBB1566_14:
	s_mov_b64 s[6:7], 0
.LBB1566_15:
	s_andn2_b64 vcc, exec, s[6:7]
	s_cbranch_vccnz .LBB1566_422
; %bb.16:
	s_cmp_ge_u32 s73, s74
	s_cbranch_scc1 .LBB1566_422
; %bb.17:
	v_and_b32_e32 v3, 3, v0
	s_movk_i32 s6, 0x100
	v_lshlrev_b32_e32 v24, 2, v3
	v_or_b32_e32 v3, 63, v0
	v_lshlrev_b32_e32 v18, 2, v0
	s_mov_b64 s[12:13], s[4:5]
	v_cmp_gt_u32_e64 s[4:5], s6, v0
	v_cmp_eq_u32_e64 s[6:7], v0, v3
	v_lshrrev_b32_e32 v3, 4, v0
	v_mov_b32_e32 v4, s69
	v_add_co_u32_e32 v22, vcc, s68, v0
	v_and_b32_e32 v26, 12, v3
	v_and_b32_e32 v3, 0x300, v18
	v_addc_co_u32_e32 v23, vcc, 0, v4, vcc
	v_lshlrev_b32_e32 v5, 3, v3
	v_mov_b32_e32 v6, s55
	v_add_co_u32_e32 v28, vcc, s54, v5
	v_addc_co_u32_e32 v29, vcc, 0, v6, vcc
	v_mov_b32_e32 v6, s69
	v_add_co_u32_e32 v30, vcc, s68, v3
	v_addc_co_u32_e32 v31, vcc, 0, v6, vcc
	v_mov_b32_e32 v6, s67
	v_add_co_u32_e32 v32, vcc, s66, v0
	v_addc_co_u32_e32 v33, vcc, 0, v6, vcc
	v_mov_b32_e32 v6, s53
	v_add_co_u32_e32 v34, vcc, s52, v5
	v_addc_co_u32_e32 v35, vcc, 0, v6, vcc
	v_mov_b32_e32 v6, s67
	v_add_co_u32_e32 v36, vcc, s66, v3
	v_addc_co_u32_e32 v37, vcc, 0, v6, vcc
	v_mov_b32_e32 v6, s65
	v_add_co_u32_e32 v38, vcc, s64, v0
	v_addc_co_u32_e32 v39, vcc, 0, v6, vcc
	v_mov_b32_e32 v6, s71
	v_add_co_u32_e32 v40, vcc, s70, v5
	v_addc_co_u32_e32 v41, vcc, 0, v6, vcc
	v_mov_b32_e32 v5, s65
	v_add_co_u32_e32 v42, vcc, s64, v3
	v_addc_co_u32_e32 v43, vcc, 0, v5, vcc
	v_mbcnt_lo_u32_b32 v5, -1, 0
	v_mbcnt_hi_u32_b32 v44, -1, v5
	v_mad_u32_u24 v25, v0, 12, v18
	v_lshlrev_b32_e32 v4, 4, v0
	v_and_b32_e32 v45, 63, v44
	s_add_u32 s44, s12, 0x50
	v_add_u32_e32 v27, v25, v18
	v_sub_u32_e32 v4, 0, v4
	s_movk_i32 s14, 0xff
	v_or_b32_e32 v46, v45, v3
	v_or_b32_e32 v19, 0x100, v0
	v_or_b32_e32 v20, 0x200, v0
	v_or_b32_e32 v21, 0x300, v0
	v_cmp_gt_u32_e64 s[8:9], 4, v0
	v_cmp_lt_u32_e64 s[10:11], 63, v0
	s_addc_u32 s45, s13, 0
	s_mov_b32 s47, 0
	v_cmp_eq_u32_e64 s[12:13], 0, v0
	v_cmp_ne_u32_e64 s[14:15], s14, v0
	v_add_u32_e32 v47, v27, v4
	s_mov_b32 s58, s73
	v_or_b32_e32 v48, 0x2400, v26
	v_or_b32_e32 v49, 0x2400, v18
	v_add_u32_e32 v50, 0x23fc, v26
	v_mul_u32_u24_e32 v51, 7, v0
	v_mov_b32_e32 v52, 1
	v_add_u32_e32 v53, 0x410, v27
	v_add_u32_e32 v54, 0x418, v27
	v_and_b32_e32 v55, 15, v44
	v_bfe_i32 v56, v44, 4, 1
	v_and_b32_e32 v57, 16, v44
	v_and_b32_e32 v58, 3, v44
	;; [unrolled: 1-line block ×3, first 2 shown]
	v_lshlrev_b32_e32 v60, 3, v45
	v_or_b32_e32 v61, 64, v46
	v_or_b32_e32 v62, 0x80, v46
	;; [unrolled: 1-line block ×3, first 2 shown]
	v_mov_b32_e32 v4, 0
	s_branch .LBB1566_20
.LBB1566_18:                            ;   in Loop: Header=BB1566_20 Depth=1
	s_waitcnt lgkmcnt(0)
	s_barrier
.LBB1566_19:                            ;   in Loop: Header=BB1566_20 Depth=1
	s_add_i32 s58, s58, 8
	s_cmp_ge_u32 s58, s74
	s_cbranch_scc1 .LBB1566_422
.LBB1566_20:                            ; =>This Loop Header: Depth=1
                                        ;     Child Loop BB1566_24 Depth 2
                                        ;     Child Loop BB1566_56 Depth 2
	;; [unrolled: 1-line block ×8, first 2 shown]
	s_sub_i32 s16, s74, s58
	s_min_u32 s16, s16, 8
	s_lshl_b32 s16, -1, s16
	s_xor_b64 s[50:51], s[50:51], -1
	s_not_b32 s59, s16
	s_cmp_lg_u32 s58, s73
	s_mov_b64 s[16:17], -1
	ds_write2st64_b32 v18, v4, v4 offset1:4
	ds_write2st64_b32 v18, v4, v4 offset0:8 offset1:12
	s_waitcnt lgkmcnt(0)
	s_cbranch_scc0 .LBB1566_222
; %bb.21:                               ;   in Loop: Header=BB1566_20 Depth=1
	s_and_b64 vcc, exec, s[50:51]
	s_cbranch_vccz .LBB1566_121
; %bb.22:                               ;   in Loop: Header=BB1566_20 Depth=1
	v_mov_b32_e32 v3, 0
	s_mov_b32 s18, s75
	s_mov_b32 s21, s49
	v_mov_b32_e32 v7, 0
	v_mov_b32_e32 v6, 0
	;; [unrolled: 1-line block ×3, first 2 shown]
	s_barrier
	s_branch .LBB1566_24
.LBB1566_23:                            ;   in Loop: Header=BB1566_24 Depth=2
	s_or_b64 exec, exec, s[16:17]
	s_addk_i32 s18, 0xfc00
	s_cmp_ge_u32 s19, s76
	s_mov_b32 s21, s19
	s_cbranch_scc1 .LBB1566_44
.LBB1566_24:                            ;   Parent Loop BB1566_20 Depth=1
                                        ; =>  This Inner Loop Header: Depth=2
	s_add_i32 s19, s21, 0x400
	s_cmp_gt_u32 s19, s76
	s_mov_b64 s[16:17], -1
                                        ; implicit-def: $vgpr8
                                        ; implicit-def: $vgpr9
                                        ; implicit-def: $vgpr10
                                        ; implicit-def: $vgpr11
	s_cbranch_scc1 .LBB1566_26
; %bb.25:                               ;   in Loop: Header=BB1566_24 Depth=2
	v_add_co_u32_e32 v12, vcc, s21, v22
	v_addc_co_u32_e32 v13, vcc, 0, v23, vcc
	global_load_ubyte v11, v[12:13], off offset:768
	global_load_ubyte v10, v[12:13], off offset:512
	;; [unrolled: 1-line block ×3, first 2 shown]
	global_load_ubyte v8, v[12:13], off
	s_mov_b64 s[16:17], 0
.LBB1566_26:                            ;   in Loop: Header=BB1566_24 Depth=2
	s_andn2_b64 vcc, exec, s[16:17]
	s_movk_i32 s20, 0x400
	s_cbranch_vccnz .LBB1566_33
; %bb.27:                               ;   in Loop: Header=BB1566_24 Depth=2
	s_add_u32 s20, s68, s21
	s_addc_u32 s21, s69, 0
	v_cmp_gt_u32_e32 vcc, s18, v0
	s_and_saveexec_b64 s[16:17], vcc
	s_cbranch_execnz .LBB1566_41
; %bb.28:                               ;   in Loop: Header=BB1566_24 Depth=2
	s_or_b64 exec, exec, s[16:17]
	v_cmp_gt_u32_e32 vcc, s18, v19
	s_and_saveexec_b64 s[16:17], vcc
	s_cbranch_execnz .LBB1566_42
.LBB1566_29:                            ;   in Loop: Header=BB1566_24 Depth=2
	s_or_b64 exec, exec, s[16:17]
	v_cmp_gt_u32_e32 vcc, s18, v20
	s_and_saveexec_b64 s[16:17], vcc
	s_cbranch_execnz .LBB1566_43
.LBB1566_30:                            ;   in Loop: Header=BB1566_24 Depth=2
	s_or_b64 exec, exec, s[16:17]
	v_cmp_gt_u32_e32 vcc, s18, v21
	s_and_saveexec_b64 s[16:17], vcc
	s_cbranch_execz .LBB1566_32
.LBB1566_31:                            ;   in Loop: Header=BB1566_24 Depth=2
	v_mov_b32_e32 v5, s21
	s_waitcnt vmcnt(0)
	v_add_co_u32_e32 v8, vcc, s20, v0
	v_addc_co_u32_e32 v9, vcc, 0, v5, vcc
	global_load_ubyte v5, v[8:9], off offset:768
.LBB1566_32:                            ;   in Loop: Header=BB1566_24 Depth=2
	s_or_b64 exec, exec, s[16:17]
	s_mov_b32 s20, s18
	s_waitcnt vmcnt(0)
	v_mov_b32_e32 v8, v3
	v_mov_b32_e32 v9, v7
	;; [unrolled: 1-line block ×4, first 2 shown]
.LBB1566_33:                            ;   in Loop: Header=BB1566_24 Depth=2
	s_waitcnt vmcnt(3)
	v_mov_b32_e32 v5, v11
	s_waitcnt vmcnt(2)
	v_mov_b32_e32 v6, v10
	;; [unrolled: 2-line block ×4, first 2 shown]
	v_cmp_gt_u32_e32 vcc, s20, v0
	s_and_saveexec_b64 s[16:17], vcc
	s_cbranch_execnz .LBB1566_37
; %bb.34:                               ;   in Loop: Header=BB1566_24 Depth=2
	s_or_b64 exec, exec, s[16:17]
	v_cmp_gt_u32_e32 vcc, s20, v19
	s_and_saveexec_b64 s[16:17], vcc
	s_cbranch_execnz .LBB1566_38
.LBB1566_35:                            ;   in Loop: Header=BB1566_24 Depth=2
	s_or_b64 exec, exec, s[16:17]
	v_cmp_gt_u32_e32 vcc, s20, v20
	s_and_saveexec_b64 s[16:17], vcc
	s_cbranch_execnz .LBB1566_39
.LBB1566_36:                            ;   in Loop: Header=BB1566_24 Depth=2
	s_or_b64 exec, exec, s[16:17]
	v_cmp_gt_u32_e32 vcc, s20, v21
	s_and_saveexec_b64 s[16:17], vcc
	s_cbranch_execz .LBB1566_23
	s_branch .LBB1566_40
.LBB1566_37:                            ;   in Loop: Header=BB1566_24 Depth=2
	v_xor_b32_e32 v8, -1, v3
	v_and_b32_e32 v8, 1, v8
	v_lshrrev_b32_sdwa v8, s58, v8 dst_sel:DWORD dst_unused:UNUSED_PAD src0_sel:DWORD src1_sel:WORD_0
	v_and_b32_e32 v8, s59, v8
	v_lshl_or_b32 v8, v8, 4, v24
	ds_add_u32 v8, v52
	s_or_b64 exec, exec, s[16:17]
	v_cmp_gt_u32_e32 vcc, s20, v19
	s_and_saveexec_b64 s[16:17], vcc
	s_cbranch_execz .LBB1566_35
.LBB1566_38:                            ;   in Loop: Header=BB1566_24 Depth=2
	v_xor_b32_e32 v8, -1, v7
	v_and_b32_e32 v8, 1, v8
	v_lshrrev_b32_sdwa v8, s58, v8 dst_sel:DWORD dst_unused:UNUSED_PAD src0_sel:DWORD src1_sel:WORD_0
	v_and_b32_e32 v8, s59, v8
	v_lshl_or_b32 v8, v8, 4, v24
	ds_add_u32 v8, v52
	s_or_b64 exec, exec, s[16:17]
	v_cmp_gt_u32_e32 vcc, s20, v20
	s_and_saveexec_b64 s[16:17], vcc
	s_cbranch_execz .LBB1566_36
.LBB1566_39:                            ;   in Loop: Header=BB1566_24 Depth=2
	v_xor_b32_e32 v8, -1, v6
	v_and_b32_e32 v8, 1, v8
	v_lshrrev_b32_sdwa v8, s58, v8 dst_sel:DWORD dst_unused:UNUSED_PAD src0_sel:DWORD src1_sel:WORD_0
	v_and_b32_e32 v8, s59, v8
	v_lshl_or_b32 v8, v8, 4, v24
	ds_add_u32 v8, v52
	s_or_b64 exec, exec, s[16:17]
	v_cmp_gt_u32_e32 vcc, s20, v21
	s_and_saveexec_b64 s[16:17], vcc
	s_cbranch_execz .LBB1566_23
.LBB1566_40:                            ;   in Loop: Header=BB1566_24 Depth=2
	v_xor_b32_e32 v8, -1, v5
	v_and_b32_e32 v8, 1, v8
	v_lshrrev_b32_sdwa v8, s58, v8 dst_sel:DWORD dst_unused:UNUSED_PAD src0_sel:DWORD src1_sel:WORD_0
	v_and_b32_e32 v8, s59, v8
	v_lshl_or_b32 v8, v8, 4, v24
	ds_add_u32 v8, v52
	s_branch .LBB1566_23
.LBB1566_41:                            ;   in Loop: Header=BB1566_24 Depth=2
	v_mov_b32_e32 v3, s21
	s_waitcnt vmcnt(0)
	v_add_co_u32_e32 v8, vcc, s20, v0
	v_addc_co_u32_e32 v9, vcc, 0, v3, vcc
	global_load_ubyte v3, v[8:9], off
	s_or_b64 exec, exec, s[16:17]
	v_cmp_gt_u32_e32 vcc, s18, v19
	s_and_saveexec_b64 s[16:17], vcc
	s_cbranch_execz .LBB1566_29
.LBB1566_42:                            ;   in Loop: Header=BB1566_24 Depth=2
	s_waitcnt vmcnt(0)
	v_mov_b32_e32 v8, s21
	v_add_co_u32_e32 v7, vcc, s20, v0
	v_addc_co_u32_e32 v8, vcc, 0, v8, vcc
	global_load_ubyte v7, v[7:8], off offset:256
	s_or_b64 exec, exec, s[16:17]
	v_cmp_gt_u32_e32 vcc, s18, v20
	s_and_saveexec_b64 s[16:17], vcc
	s_cbranch_execz .LBB1566_30
.LBB1566_43:                            ;   in Loop: Header=BB1566_24 Depth=2
	v_mov_b32_e32 v6, s21
	s_waitcnt vmcnt(0)
	v_add_co_u32_e32 v8, vcc, s20, v0
	v_addc_co_u32_e32 v9, vcc, 0, v6, vcc
	global_load_ubyte v6, v[8:9], off offset:512
	s_or_b64 exec, exec, s[16:17]
	v_cmp_gt_u32_e32 vcc, s18, v21
	s_and_saveexec_b64 s[16:17], vcc
	s_cbranch_execnz .LBB1566_31
	s_branch .LBB1566_32
.LBB1566_44:                            ;   in Loop: Header=BB1566_20 Depth=1
	v_mov_b32_e32 v3, 0
	s_waitcnt lgkmcnt(0)
	s_barrier
	s_and_saveexec_b64 s[16:17], s[4:5]
	s_cbranch_execz .LBB1566_46
; %bb.45:                               ;   in Loop: Header=BB1566_20 Depth=1
	ds_read2_b64 v[5:8], v25 offset1:1
	s_waitcnt lgkmcnt(0)
	v_add_u32_e32 v3, v6, v5
	v_add3_u32 v3, v3, v7, v8
.LBB1566_46:                            ;   in Loop: Header=BB1566_20 Depth=1
	s_or_b64 exec, exec, s[16:17]
	s_nop 0
	v_mov_b32_dpp v5, v3 row_shr:1 row_mask:0xf bank_mask:0xf
	v_cmp_eq_u32_e64 s[16:17], 0, v55
	v_cndmask_b32_e64 v5, v5, 0, s[16:17]
	v_add_u32_e32 v3, v5, v3
	v_cmp_lt_u32_e64 s[18:19], 1, v55
	v_cmp_lt_u32_e64 s[20:21], 3, v55
	v_mov_b32_dpp v5, v3 row_shr:2 row_mask:0xf bank_mask:0xf
	v_cndmask_b32_e64 v5, 0, v5, s[18:19]
	v_add_u32_e32 v3, v3, v5
	v_cmp_lt_u32_e64 s[22:23], 7, v55
	v_cmp_lt_u32_e64 s[26:27], 31, v44
	v_mov_b32_dpp v5, v3 row_shr:4 row_mask:0xf bank_mask:0xf
	v_cndmask_b32_e64 v5, 0, v5, s[20:21]
	v_add_u32_e32 v3, v3, v5
	v_cmp_eq_u32_e64 s[24:25], 0, v57
	s_nop 0
	v_mov_b32_dpp v5, v3 row_shr:8 row_mask:0xf bank_mask:0xf
	v_cndmask_b32_e64 v5, 0, v5, s[22:23]
	v_add_u32_e32 v3, v3, v5
	s_nop 1
	v_mov_b32_dpp v5, v3 row_bcast:15 row_mask:0xf bank_mask:0xf
	v_and_b32_e32 v5, v56, v5
	v_add_u32_e32 v3, v3, v5
	s_nop 1
	v_mov_b32_dpp v5, v3 row_bcast:31 row_mask:0xf bank_mask:0xf
	v_cndmask_b32_e64 v5, 0, v5, s[26:27]
	v_add_u32_e32 v3, v3, v5
	s_and_saveexec_b64 s[28:29], s[6:7]
; %bb.47:                               ;   in Loop: Header=BB1566_20 Depth=1
	ds_write_b32 v48, v3
; %bb.48:                               ;   in Loop: Header=BB1566_20 Depth=1
	s_or_b64 exec, exec, s[28:29]
	s_waitcnt lgkmcnt(0)
	s_barrier
	s_and_saveexec_b64 s[28:29], s[8:9]
	s_cbranch_execz .LBB1566_50
; %bb.49:                               ;   in Loop: Header=BB1566_20 Depth=1
	ds_read_b32 v5, v49
	v_cmp_ne_u32_e32 vcc, 0, v58
	s_waitcnt lgkmcnt(0)
	v_mov_b32_dpp v6, v5 row_shr:1 row_mask:0xf bank_mask:0xf
	v_cndmask_b32_e32 v6, 0, v6, vcc
	v_add_u32_e32 v5, v6, v5
	v_cmp_lt_u32_e32 vcc, 1, v58
	s_nop 0
	v_mov_b32_dpp v6, v5 row_shr:2 row_mask:0xf bank_mask:0xf
	v_cndmask_b32_e32 v6, 0, v6, vcc
	v_add_u32_e32 v5, v5, v6
	ds_write_b32 v49, v5
.LBB1566_50:                            ;   in Loop: Header=BB1566_20 Depth=1
	s_or_b64 exec, exec, s[28:29]
	v_mov_b32_e32 v5, 0
	s_waitcnt lgkmcnt(0)
	s_barrier
	s_and_saveexec_b64 s[28:29], s[10:11]
; %bb.51:                               ;   in Loop: Header=BB1566_20 Depth=1
	ds_read_b32 v5, v50
; %bb.52:                               ;   in Loop: Header=BB1566_20 Depth=1
	s_or_b64 exec, exec, s[28:29]
	v_subrev_co_u32_e64 v6, s[28:29], 1, v44
	v_cmp_lt_i32_e32 vcc, v6, v59
	v_cndmask_b32_e32 v6, v6, v44, vcc
	s_waitcnt lgkmcnt(0)
	v_add_u32_e32 v3, v5, v3
	v_lshlrev_b32_e32 v64, 2, v6
	ds_bpermute_b32 v3, v64, v3
	s_waitcnt lgkmcnt(0)
	s_barrier
	s_and_saveexec_b64 s[30:31], s[4:5]
; %bb.53:                               ;   in Loop: Header=BB1566_20 Depth=1
	v_cndmask_b32_e64 v3, v3, v5, s[28:29]
	v_add_u32_e32 v3, s49, v3
	ds_write_b32 v18, v3
; %bb.54:                               ;   in Loop: Header=BB1566_20 Depth=1
	s_or_b64 exec, exec, s[30:31]
	s_load_dword s30, s[44:45], 0x4
	s_load_dword s36, s[44:45], 0xc
	v_add_co_u32_e32 v65, vcc, v28, v60
	v_addc_co_u32_e32 v66, vcc, 0, v29, vcc
	s_waitcnt lgkmcnt(0)
	s_cmp_lt_u32 s33, s30
	s_cselect_b32 s30, 14, 20
	s_add_u32 s30, s44, s30
	s_addc_u32 s31, s45, 0
	global_load_ushort v3, v4, s[30:31]
	s_and_b32 s36, s36, 0xffff
	v_add_co_u32_e32 v67, vcc, v30, v45
	v_cmp_eq_u32_e64 s[30:31], 0, v58
	v_cmp_lt_u32_e64 s[34:35], 1, v58
	v_addc_co_u32_e32 v68, vcc, 0, v31, vcc
	s_mov_b32 s60, s75
	s_mov_b32 s46, s49
                                        ; implicit-def: $vgpr5_vgpr6
                                        ; implicit-def: $vgpr7_vgpr8
                                        ; implicit-def: $vgpr9_vgpr10
                                        ; implicit-def: $vgpr11_vgpr12
                                        ; implicit-def: $vgpr69
                                        ; implicit-def: $vgpr70
                                        ; implicit-def: $vgpr72
                                        ; implicit-def: $vgpr73
	s_waitcnt vmcnt(0)
	v_mad_u32_u24 v3, v2, v3, v1
	v_mad_u64_u32 v[13:14], s[36:37], v3, s36, v[0:1]
	v_lshrrev_b32_e32 v3, 4, v13
	v_and_b32_e32 v71, 0xffffffc, v3
	s_branch .LBB1566_56
.LBB1566_55:                            ;   in Loop: Header=BB1566_56 Depth=2
	s_or_b64 exec, exec, s[36:37]
	s_addk_i32 s60, 0xfc00
	s_cmp_lt_u32 s61, s76
	s_mov_b32 s46, s61
	s_cbranch_scc0 .LBB1566_120
.LBB1566_56:                            ;   Parent Loop BB1566_20 Depth=1
                                        ; =>  This Inner Loop Header: Depth=2
	s_add_i32 s61, s46, 0x400
	s_cmp_gt_u32 s61, s76
	s_cbranch_scc1 .LBB1566_58
; %bb.57:                               ;   in Loop: Header=BB1566_56 Depth=2
	v_add_co_u32_e32 v13, vcc, s46, v67
	v_addc_co_u32_e32 v14, vcc, 0, v68, vcc
	global_load_ubyte v15, v[13:14], off offset:128
	global_load_ubyte v16, v[13:14], off offset:64
	global_load_ubyte v3, v[13:14], off
	s_mov_b64 s[36:37], -1
	s_movk_i32 s40, 0x400
                                        ; implicit-def: $vgpr17
	s_cbranch_execz .LBB1566_59
	s_branch .LBB1566_66
.LBB1566_58:                            ;   in Loop: Header=BB1566_56 Depth=2
	s_mov_b64 s[36:37], 0
                                        ; implicit-def: $vgpr3
                                        ; implicit-def: $vgpr16
                                        ; implicit-def: $vgpr15
	s_movk_i32 s40, 0x400
                                        ; implicit-def: $vgpr17
.LBB1566_59:                            ;   in Loop: Header=BB1566_56 Depth=2
	v_add_co_u32_e32 v13, vcc, s46, v67
	v_addc_co_u32_e32 v14, vcc, 0, v68, vcc
	v_cmp_gt_u32_e32 vcc, s60, v46
	s_waitcnt vmcnt(2)
	v_mov_b32_e32 v15, 0
	s_waitcnt vmcnt(0)
	v_mov_b32_e32 v3, 0
	v_mov_b32_e32 v17, 0
	s_and_saveexec_b64 s[36:37], vcc
	s_cbranch_execz .LBB1566_61
; %bb.60:                               ;   in Loop: Header=BB1566_56 Depth=2
	global_load_ubyte v3, v[13:14], off
	v_mov_b32_e32 v17, 0
.LBB1566_61:                            ;   in Loop: Header=BB1566_56 Depth=2
	s_or_b64 exec, exec, s[36:37]
	v_cmp_gt_u32_e32 vcc, s60, v61
	v_mov_b32_e32 v16, v15
	s_and_saveexec_b64 s[36:37], vcc
	s_cbranch_execz .LBB1566_63
; %bb.62:                               ;   in Loop: Header=BB1566_56 Depth=2
	global_load_ubyte v16, v[13:14], off offset:64
.LBB1566_63:                            ;   in Loop: Header=BB1566_56 Depth=2
	s_or_b64 exec, exec, s[36:37]
	v_cmp_gt_u32_e32 vcc, s60, v62
	s_and_saveexec_b64 s[36:37], vcc
	s_cbranch_execz .LBB1566_65
; %bb.64:                               ;   in Loop: Header=BB1566_56 Depth=2
	global_load_ubyte v15, v[13:14], off offset:128
.LBB1566_65:                            ;   in Loop: Header=BB1566_56 Depth=2
	s_or_b64 exec, exec, s[36:37]
	s_sub_i32 s40, s76, s46
	v_cmp_gt_u32_e64 s[36:37], s60, v63
.LBB1566_66:                            ;   in Loop: Header=BB1566_56 Depth=2
	v_mov_b32_e32 v74, s60
	s_and_saveexec_b64 s[38:39], s[36:37]
	s_cbranch_execz .LBB1566_68
; %bb.67:                               ;   in Loop: Header=BB1566_56 Depth=2
	v_mov_b32_e32 v14, s47
	v_add_co_u32_e32 v13, vcc, s46, v67
	v_addc_co_u32_e32 v14, vcc, v68, v14, vcc
	global_load_ubyte v17, v[13:14], off offset:192
	v_mov_b32_e32 v74, s40
.LBB1566_68:                            ;   in Loop: Header=BB1566_56 Depth=2
	s_or_b64 exec, exec, s[38:39]
	s_waitcnt vmcnt(0)
	v_and_b32_e32 v3, 1, v3
	v_and_b32_e32 v13, 1, v16
	v_cmp_eq_u32_e64 s[40:41], 1, v3
	v_cmp_eq_u32_e64 s[38:39], 1, v13
	v_and_b32_e32 v13, 1, v15
	s_xor_b64 s[40:41], s[40:41], -1
	v_cmp_eq_u32_e64 s[36:37], 1, v13
	v_and_b32_e32 v13, 1, v17
	v_cndmask_b32_e64 v17, 0, 1, s[40:41]
	v_lshrrev_b32_e32 v3, s58, v17
	v_and_b32_e32 v3, s59, v3
	v_mul_u32_u24_e32 v15, 20, v3
	v_cmp_ne_u32_e64 s[40:41], 0, v3
	v_add_co_u32_e64 v3, s[42:43], -1, v3
	v_cmp_eq_u32_e32 vcc, 1, v13
	v_addc_co_u32_e64 v13, s[42:43], 0, -1, s[42:43]
	v_xor_b32_e32 v13, s41, v13
	v_xor_b32_e32 v3, s40, v3
	v_and_b32_e32 v14, exec_hi, v13
	v_and_b32_e32 v13, exec_lo, v3
	v_mbcnt_lo_u32_b32 v3, v13, 0
	v_mbcnt_hi_u32_b32 v3, v14, v3
	v_cmp_ne_u64_e64 s[40:41], 0, v[13:14]
	v_cmp_eq_u32_e64 s[42:43], 0, v3
	s_and_b64 s[42:43], s[40:41], s[42:43]
	v_add_u32_e32 v75, v71, v15
	ds_write2_b32 v53, v4, v4 offset1:1
	ds_write2_b32 v54, v4, v4 offset1:1
	ds_write_b32 v27, v4 offset:1056
	s_waitcnt lgkmcnt(0)
	s_barrier
	; wave barrier
	s_and_saveexec_b64 s[40:41], s[42:43]
; %bb.69:                               ;   in Loop: Header=BB1566_56 Depth=2
	v_bcnt_u32_b32 v13, v13, 0
	v_bcnt_u32_b32 v13, v14, v13
	ds_write_b32 v75, v13 offset:1040
; %bb.70:                               ;   in Loop: Header=BB1566_56 Depth=2
	s_or_b64 exec, exec, s[40:41]
	s_xor_b64 s[38:39], s[38:39], -1
	v_cndmask_b32_e64 v76, 0, 1, s[38:39]
	v_lshrrev_b32_e32 v13, s58, v76
	v_and_b32_e32 v13, s59, v13
	v_mul_u32_u24_e32 v15, 20, v13
	v_mad_u32_u24 v14, v13, 20, v71
	v_cmp_ne_u32_e64 s[38:39], 0, v13
	v_add_co_u32_e64 v13, s[40:41], -1, v13
	; wave barrier
	ds_read_b32 v77, v14 offset:1040
	v_addc_co_u32_e64 v14, s[40:41], 0, -1, s[40:41]
	v_xor_b32_e32 v13, s38, v13
	v_xor_b32_e32 v14, s39, v14
	v_and_b32_e32 v13, exec_lo, v13
	v_and_b32_e32 v14, exec_hi, v14
	v_mbcnt_lo_u32_b32 v16, v13, 0
	v_mbcnt_hi_u32_b32 v78, v14, v16
	v_cmp_ne_u64_e64 s[38:39], 0, v[13:14]
	v_cmp_eq_u32_e64 s[40:41], 0, v78
	s_and_b64 s[40:41], s[38:39], s[40:41]
	v_add_u32_e32 v81, v71, v15
	; wave barrier
	s_and_saveexec_b64 s[38:39], s[40:41]
	s_cbranch_execz .LBB1566_72
; %bb.71:                               ;   in Loop: Header=BB1566_56 Depth=2
	v_bcnt_u32_b32 v13, v13, 0
	v_bcnt_u32_b32 v13, v14, v13
	s_waitcnt lgkmcnt(0)
	v_add_u32_e32 v13, v77, v13
	ds_write_b32 v81, v13 offset:1040
.LBB1566_72:                            ;   in Loop: Header=BB1566_56 Depth=2
	s_or_b64 exec, exec, s[38:39]
	s_xor_b64 s[36:37], s[36:37], -1
	v_cndmask_b32_e64 v79, 0, 1, s[36:37]
	v_lshrrev_b32_e32 v13, s58, v79
	v_and_b32_e32 v13, s59, v13
	v_mul_u32_u24_e32 v15, 20, v13
	v_mad_u32_u24 v14, v13, 20, v71
	v_cmp_ne_u32_e64 s[36:37], 0, v13
	v_add_co_u32_e64 v13, s[38:39], -1, v13
	; wave barrier
	ds_read_b32 v80, v14 offset:1040
	v_addc_co_u32_e64 v14, s[38:39], 0, -1, s[38:39]
	v_xor_b32_e32 v13, s36, v13
	v_xor_b32_e32 v14, s37, v14
	v_and_b32_e32 v13, exec_lo, v13
	v_and_b32_e32 v14, exec_hi, v14
	v_mbcnt_lo_u32_b32 v16, v13, 0
	v_mbcnt_hi_u32_b32 v82, v14, v16
	v_cmp_ne_u64_e64 s[36:37], 0, v[13:14]
	v_cmp_eq_u32_e64 s[38:39], 0, v82
	s_and_b64 s[38:39], s[36:37], s[38:39]
	v_add_u32_e32 v85, v71, v15
	; wave barrier
	s_and_saveexec_b64 s[36:37], s[38:39]
	s_cbranch_execz .LBB1566_74
; %bb.73:                               ;   in Loop: Header=BB1566_56 Depth=2
	v_bcnt_u32_b32 v13, v13, 0
	v_bcnt_u32_b32 v13, v14, v13
	s_waitcnt lgkmcnt(0)
	v_add_u32_e32 v13, v80, v13
	ds_write_b32 v85, v13 offset:1040
.LBB1566_74:                            ;   in Loop: Header=BB1566_56 Depth=2
	s_or_b64 exec, exec, s[36:37]
	s_xor_b64 s[36:37], vcc, -1
	v_cndmask_b32_e64 v83, 0, 1, s[36:37]
	v_lshrrev_b32_e32 v13, s58, v83
	v_and_b32_e32 v13, s59, v13
	v_mul_u32_u24_e32 v15, 20, v13
	v_mad_u32_u24 v14, v13, 20, v71
	v_cmp_ne_u32_e32 vcc, 0, v13
	v_add_co_u32_e64 v13, s[36:37], -1, v13
	; wave barrier
	ds_read_b32 v84, v14 offset:1040
	v_addc_co_u32_e64 v14, s[36:37], 0, -1, s[36:37]
	v_xor_b32_e32 v13, vcc_lo, v13
	v_xor_b32_e32 v14, vcc_hi, v14
	v_and_b32_e32 v13, exec_lo, v13
	v_and_b32_e32 v14, exec_hi, v14
	v_mbcnt_lo_u32_b32 v16, v13, 0
	v_mbcnt_hi_u32_b32 v86, v14, v16
	v_cmp_ne_u64_e32 vcc, 0, v[13:14]
	v_cmp_eq_u32_e64 s[36:37], 0, v86
	s_and_b64 s[38:39], vcc, s[36:37]
	v_add_u32_e32 v87, v71, v15
	; wave barrier
	s_and_saveexec_b64 s[36:37], s[38:39]
	s_cbranch_execz .LBB1566_76
; %bb.75:                               ;   in Loop: Header=BB1566_56 Depth=2
	v_bcnt_u32_b32 v13, v13, 0
	v_bcnt_u32_b32 v13, v14, v13
	s_waitcnt lgkmcnt(0)
	v_add_u32_e32 v13, v84, v13
	ds_write_b32 v87, v13 offset:1040
.LBB1566_76:                            ;   in Loop: Header=BB1566_56 Depth=2
	s_or_b64 exec, exec, s[36:37]
	; wave barrier
	s_waitcnt lgkmcnt(0)
	s_barrier
	ds_read2_b32 v[15:16], v53 offset1:1
	ds_read2_b32 v[13:14], v54 offset1:1
	ds_read_b32 v88, v27 offset:1056
	s_waitcnt lgkmcnt(1)
	v_add3_u32 v89, v16, v15, v13
	s_waitcnt lgkmcnt(0)
	v_add3_u32 v88, v89, v14, v88
	s_nop 1
	v_mov_b32_dpp v89, v88 row_shr:1 row_mask:0xf bank_mask:0xf
	v_cndmask_b32_e64 v89, v89, 0, s[16:17]
	v_add_u32_e32 v88, v89, v88
	s_nop 1
	v_mov_b32_dpp v89, v88 row_shr:2 row_mask:0xf bank_mask:0xf
	v_cndmask_b32_e64 v89, 0, v89, s[18:19]
	v_add_u32_e32 v88, v88, v89
	;; [unrolled: 4-line block ×4, first 2 shown]
	s_nop 1
	v_mov_b32_dpp v89, v88 row_bcast:15 row_mask:0xf bank_mask:0xf
	v_cndmask_b32_e64 v89, v89, 0, s[24:25]
	v_add_u32_e32 v88, v88, v89
	s_nop 1
	v_mov_b32_dpp v89, v88 row_bcast:31 row_mask:0xf bank_mask:0xf
	v_cndmask_b32_e64 v89, 0, v89, s[26:27]
	v_add_u32_e32 v88, v88, v89
	s_and_saveexec_b64 s[36:37], s[6:7]
; %bb.77:                               ;   in Loop: Header=BB1566_56 Depth=2
	ds_write_b32 v26, v88 offset:1024
; %bb.78:                               ;   in Loop: Header=BB1566_56 Depth=2
	s_or_b64 exec, exec, s[36:37]
	s_waitcnt lgkmcnt(0)
	s_barrier
	s_and_saveexec_b64 s[36:37], s[8:9]
	s_cbranch_execz .LBB1566_80
; %bb.79:                               ;   in Loop: Header=BB1566_56 Depth=2
	ds_read_b32 v89, v47 offset:1024
	s_waitcnt lgkmcnt(0)
	s_nop 0
	v_mov_b32_dpp v90, v89 row_shr:1 row_mask:0xf bank_mask:0xf
	v_cndmask_b32_e64 v90, v90, 0, s[30:31]
	v_add_u32_e32 v89, v90, v89
	s_nop 1
	v_mov_b32_dpp v90, v89 row_shr:2 row_mask:0xf bank_mask:0xf
	v_cndmask_b32_e64 v90, 0, v90, s[34:35]
	v_add_u32_e32 v89, v89, v90
	ds_write_b32 v47, v89 offset:1024
.LBB1566_80:                            ;   in Loop: Header=BB1566_56 Depth=2
	s_or_b64 exec, exec, s[36:37]
	v_mov_b32_e32 v89, 0
	s_waitcnt lgkmcnt(0)
	s_barrier
	s_and_saveexec_b64 s[36:37], s[10:11]
; %bb.81:                               ;   in Loop: Header=BB1566_56 Depth=2
	ds_read_b32 v89, v26 offset:1020
; %bb.82:                               ;   in Loop: Header=BB1566_56 Depth=2
	s_or_b64 exec, exec, s[36:37]
	s_waitcnt lgkmcnt(0)
	v_add_u32_e32 v88, v89, v88
	ds_bpermute_b32 v88, v64, v88
	s_waitcnt lgkmcnt(0)
	v_cndmask_b32_e64 v88, v88, v89, s[28:29]
	v_cndmask_b32_e64 v88, v88, 0, s[12:13]
	v_add_u32_e32 v15, v88, v15
	v_add_u32_e32 v16, v15, v16
	;; [unrolled: 1-line block ×4, first 2 shown]
	ds_write2_b32 v53, v88, v15 offset1:1
	ds_write2_b32 v54, v16, v13 offset1:1
	ds_write_b32 v27, v14 offset:1056
	s_waitcnt lgkmcnt(0)
	s_barrier
	ds_read_b32 v13, v75 offset:1040
	ds_read_b32 v14, v81 offset:1040
	;; [unrolled: 1-line block ×5, first 2 shown]
	v_mov_b32_e32 v75, 0x400
	s_and_saveexec_b64 s[36:37], s[14:15]
; %bb.83:                               ;   in Loop: Header=BB1566_56 Depth=2
	ds_read_b32 v75, v27 offset:1060
; %bb.84:                               ;   in Loop: Header=BB1566_56 Depth=2
	s_or_b64 exec, exec, s[36:37]
	s_waitcnt lgkmcnt(0)
	s_barrier
	s_and_saveexec_b64 s[36:37], s[4:5]
	s_cbranch_execz .LBB1566_86
; %bb.85:                               ;   in Loop: Header=BB1566_56 Depth=2
	ds_read_b32 v85, v18
	s_waitcnt lgkmcnt(0)
	v_sub_u32_e32 v15, v85, v15
	ds_write_b32 v18, v15
.LBB1566_86:                            ;   in Loop: Header=BB1566_56 Depth=2
	s_or_b64 exec, exec, s[36:37]
	v_add_u32_e32 v15, v13, v3
	v_add3_u32 v14, v78, v77, v14
	v_add3_u32 v13, v82, v80, v16
	;; [unrolled: 1-line block ×3, first 2 shown]
	v_cmp_lt_u32_e64 s[40:41], v0, v74
	ds_write_b8 v15, v17 offset:1024
	ds_write_b8 v14, v76 offset:1024
	ds_write_b8 v13, v79 offset:1024
	ds_write_b8 v3, v83 offset:1024
	s_waitcnt lgkmcnt(0)
	s_barrier
	s_and_saveexec_b64 s[36:37], s[40:41]
	s_cbranch_execnz .LBB1566_107
; %bb.87:                               ;   in Loop: Header=BB1566_56 Depth=2
	s_or_b64 exec, exec, s[36:37]
	v_cmp_lt_u32_e64 s[38:39], v19, v74
	s_and_saveexec_b64 s[36:37], s[38:39]
	s_cbranch_execnz .LBB1566_108
.LBB1566_88:                            ;   in Loop: Header=BB1566_56 Depth=2
	s_or_b64 exec, exec, s[36:37]
	v_cmp_lt_u32_e64 s[36:37], v20, v74
	s_and_saveexec_b64 s[42:43], s[36:37]
	s_cbranch_execnz .LBB1566_109
.LBB1566_89:                            ;   in Loop: Header=BB1566_56 Depth=2
	s_or_b64 exec, exec, s[42:43]
	v_cmp_lt_u32_e32 vcc, v21, v74
	s_and_saveexec_b64 s[42:43], vcc
	s_cbranch_execz .LBB1566_91
.LBB1566_90:                            ;   in Loop: Header=BB1566_56 Depth=2
	ds_read_u8 v16, v0 offset:1792
	s_waitcnt lgkmcnt(0)
	v_and_b32_e32 v17, 1, v16
	v_lshrrev_b32_e32 v17, s58, v17
	v_and_b32_e32 v17, s59, v17
	v_lshlrev_b32_e32 v17, 2, v17
	ds_read_b32 v17, v17
	v_xor_b32_e32 v16, 1, v16
	s_waitcnt lgkmcnt(0)
	v_add_u32_e32 v17, v17, v21
	global_store_byte v17, v16, s[66:67]
.LBB1566_91:                            ;   in Loop: Header=BB1566_56 Depth=2
	s_or_b64 exec, exec, s[42:43]
	s_lshl_b64 s[42:43], s[46:47], 3
	v_mov_b32_e32 v17, s43
	v_add_co_u32_e64 v16, s[42:43], s42, v65
	v_addc_co_u32_e64 v17, s[42:43], v66, v17, s[42:43]
	v_cmp_lt_u32_e64 s[42:43], v46, v74
	s_and_saveexec_b64 s[56:57], s[42:43]
	s_xor_b64 s[42:43], exec, s[56:57]
	s_cbranch_execnz .LBB1566_110
; %bb.92:                               ;   in Loop: Header=BB1566_56 Depth=2
	s_or_b64 exec, exec, s[42:43]
	v_cmp_lt_u32_e64 s[42:43], v61, v74
	s_and_saveexec_b64 s[56:57], s[42:43]
	s_cbranch_execnz .LBB1566_111
.LBB1566_93:                            ;   in Loop: Header=BB1566_56 Depth=2
	s_or_b64 exec, exec, s[56:57]
	v_cmp_lt_u32_e64 s[42:43], v62, v74
	s_and_saveexec_b64 s[56:57], s[42:43]
	s_cbranch_execnz .LBB1566_112
.LBB1566_94:                            ;   in Loop: Header=BB1566_56 Depth=2
	s_or_b64 exec, exec, s[56:57]
	v_cmp_lt_u32_e64 s[42:43], v63, v74
	s_and_saveexec_b64 s[56:57], s[42:43]
	s_cbranch_execnz .LBB1566_113
.LBB1566_95:                            ;   in Loop: Header=BB1566_56 Depth=2
	s_or_b64 exec, exec, s[56:57]
	s_and_saveexec_b64 s[42:43], s[40:41]
	s_cbranch_execnz .LBB1566_114
.LBB1566_96:                            ;   in Loop: Header=BB1566_56 Depth=2
	s_or_b64 exec, exec, s[42:43]
	s_and_saveexec_b64 s[42:43], s[38:39]
	s_cbranch_execnz .LBB1566_115
.LBB1566_97:                            ;   in Loop: Header=BB1566_56 Depth=2
	s_or_b64 exec, exec, s[42:43]
	s_and_saveexec_b64 s[42:43], s[36:37]
	s_cbranch_execnz .LBB1566_116
.LBB1566_98:                            ;   in Loop: Header=BB1566_56 Depth=2
	s_or_b64 exec, exec, s[42:43]
	s_and_saveexec_b64 s[42:43], vcc
	s_cbranch_execz .LBB1566_100
.LBB1566_99:                            ;   in Loop: Header=BB1566_56 Depth=2
	ds_read_u8 v16, v0 offset:1792
	s_waitcnt lgkmcnt(0)
	v_lshrrev_b32_e32 v16, s58, v16
	v_and_b32_e32 v69, s59, v16
.LBB1566_100:                           ;   in Loop: Header=BB1566_56 Depth=2
	s_or_b64 exec, exec, s[42:43]
	v_mad_u64_u32 v[15:16], s[42:43], v15, 7, v[15:16]
	v_mad_u64_u32 v[76:77], s[42:43], v3, 7, v[3:4]
	;; [unrolled: 1-line block ×4, first 2 shown]
	s_waitcnt vmcnt(0)
	s_barrier
	ds_write_b64 v15, v[11:12] offset:1024
	ds_write_b64 v16, v[9:10] offset:1024
	;; [unrolled: 1-line block ×4, first 2 shown]
	s_waitcnt lgkmcnt(0)
	s_barrier
	s_and_saveexec_b64 s[42:43], s[40:41]
	s_cbranch_execnz .LBB1566_117
; %bb.101:                              ;   in Loop: Header=BB1566_56 Depth=2
	s_or_b64 exec, exec, s[42:43]
	s_and_saveexec_b64 s[40:41], s[38:39]
	s_cbranch_execnz .LBB1566_118
.LBB1566_102:                           ;   in Loop: Header=BB1566_56 Depth=2
	s_or_b64 exec, exec, s[40:41]
	s_and_saveexec_b64 s[38:39], s[36:37]
	s_cbranch_execnz .LBB1566_119
.LBB1566_103:                           ;   in Loop: Header=BB1566_56 Depth=2
	s_or_b64 exec, exec, s[38:39]
	s_and_saveexec_b64 s[36:37], vcc
	s_cbranch_execz .LBB1566_105
.LBB1566_104:                           ;   in Loop: Header=BB1566_56 Depth=2
	v_lshlrev_b32_e32 v3, 2, v69
	ds_read_b32 v3, v3
	v_add_u32_e32 v13, v0, v51
	ds_read_b64 v[13:14], v13 offset:7168
	v_mov_b32_e32 v17, s53
	s_waitcnt lgkmcnt(1)
	v_add_u32_e32 v3, v3, v21
	v_lshlrev_b64 v[15:16], 3, v[3:4]
	v_add_co_u32_e32 v15, vcc, s52, v15
	v_addc_co_u32_e32 v16, vcc, v17, v16, vcc
	s_waitcnt lgkmcnt(0)
	global_store_dwordx2 v[15:16], v[13:14], off
.LBB1566_105:                           ;   in Loop: Header=BB1566_56 Depth=2
	s_or_b64 exec, exec, s[36:37]
	s_waitcnt vmcnt(0)
	s_barrier
	s_and_saveexec_b64 s[36:37], s[4:5]
	s_cbranch_execz .LBB1566_55
; %bb.106:                              ;   in Loop: Header=BB1566_56 Depth=2
	ds_read_b32 v3, v18
	s_waitcnt lgkmcnt(0)
	v_add_u32_e32 v3, v3, v75
	ds_write_b32 v18, v3
	s_branch .LBB1566_55
.LBB1566_107:                           ;   in Loop: Header=BB1566_56 Depth=2
	ds_read_u8 v16, v0 offset:1024
	s_waitcnt lgkmcnt(0)
	v_and_b32_e32 v17, 1, v16
	v_lshrrev_b32_e32 v17, s58, v17
	v_and_b32_e32 v17, s59, v17
	v_lshlrev_b32_e32 v17, 2, v17
	ds_read_b32 v17, v17
	v_xor_b32_e32 v16, 1, v16
	s_waitcnt lgkmcnt(0)
	v_add_u32_e32 v17, v17, v0
	global_store_byte v17, v16, s[66:67]
	s_or_b64 exec, exec, s[36:37]
	v_cmp_lt_u32_e64 s[38:39], v19, v74
	s_and_saveexec_b64 s[36:37], s[38:39]
	s_cbranch_execz .LBB1566_88
.LBB1566_108:                           ;   in Loop: Header=BB1566_56 Depth=2
	ds_read_u8 v16, v0 offset:1280
	s_waitcnt lgkmcnt(0)
	v_and_b32_e32 v17, 1, v16
	v_lshrrev_b32_e32 v17, s58, v17
	v_and_b32_e32 v17, s59, v17
	v_lshlrev_b32_e32 v17, 2, v17
	ds_read_b32 v17, v17
	v_xor_b32_e32 v16, 1, v16
	s_waitcnt lgkmcnt(0)
	v_add_u32_e32 v17, v17, v19
	global_store_byte v17, v16, s[66:67]
	s_or_b64 exec, exec, s[36:37]
	v_cmp_lt_u32_e64 s[36:37], v20, v74
	s_and_saveexec_b64 s[42:43], s[36:37]
	s_cbranch_execz .LBB1566_89
.LBB1566_109:                           ;   in Loop: Header=BB1566_56 Depth=2
	ds_read_u8 v16, v0 offset:1536
	s_waitcnt lgkmcnt(0)
	v_and_b32_e32 v17, 1, v16
	v_lshrrev_b32_e32 v17, s58, v17
	v_and_b32_e32 v17, s59, v17
	v_lshlrev_b32_e32 v17, 2, v17
	ds_read_b32 v17, v17
	v_xor_b32_e32 v16, 1, v16
	s_waitcnt lgkmcnt(0)
	v_add_u32_e32 v17, v17, v20
	global_store_byte v17, v16, s[66:67]
	s_or_b64 exec, exec, s[42:43]
	v_cmp_lt_u32_e32 vcc, v21, v74
	s_and_saveexec_b64 s[42:43], vcc
	s_cbranch_execnz .LBB1566_90
	s_branch .LBB1566_91
.LBB1566_110:                           ;   in Loop: Header=BB1566_56 Depth=2
	global_load_dwordx2 v[11:12], v[16:17], off
	s_or_b64 exec, exec, s[42:43]
	v_cmp_lt_u32_e64 s[42:43], v61, v74
	s_and_saveexec_b64 s[56:57], s[42:43]
	s_cbranch_execz .LBB1566_93
.LBB1566_111:                           ;   in Loop: Header=BB1566_56 Depth=2
	global_load_dwordx2 v[9:10], v[16:17], off offset:512
	s_or_b64 exec, exec, s[56:57]
	v_cmp_lt_u32_e64 s[42:43], v62, v74
	s_and_saveexec_b64 s[56:57], s[42:43]
	s_cbranch_execz .LBB1566_94
.LBB1566_112:                           ;   in Loop: Header=BB1566_56 Depth=2
	global_load_dwordx2 v[7:8], v[16:17], off offset:1024
	s_or_b64 exec, exec, s[56:57]
	v_cmp_lt_u32_e64 s[42:43], v63, v74
	s_and_saveexec_b64 s[56:57], s[42:43]
	s_cbranch_execz .LBB1566_95
.LBB1566_113:                           ;   in Loop: Header=BB1566_56 Depth=2
	global_load_dwordx2 v[5:6], v[16:17], off offset:1536
	s_or_b64 exec, exec, s[56:57]
	s_and_saveexec_b64 s[42:43], s[40:41]
	s_cbranch_execz .LBB1566_96
.LBB1566_114:                           ;   in Loop: Header=BB1566_56 Depth=2
	ds_read_u8 v16, v0 offset:1024
	s_waitcnt lgkmcnt(0)
	v_lshrrev_b32_e32 v16, s58, v16
	v_and_b32_e32 v73, s59, v16
	s_or_b64 exec, exec, s[42:43]
	s_and_saveexec_b64 s[42:43], s[38:39]
	s_cbranch_execz .LBB1566_97
.LBB1566_115:                           ;   in Loop: Header=BB1566_56 Depth=2
	ds_read_u8 v16, v0 offset:1280
	s_waitcnt lgkmcnt(0)
	v_lshrrev_b32_e32 v16, s58, v16
	v_and_b32_e32 v72, s59, v16
	s_or_b64 exec, exec, s[42:43]
	s_and_saveexec_b64 s[42:43], s[36:37]
	s_cbranch_execz .LBB1566_98
.LBB1566_116:                           ;   in Loop: Header=BB1566_56 Depth=2
	ds_read_u8 v16, v0 offset:1536
	s_waitcnt lgkmcnt(0)
	v_lshrrev_b32_e32 v16, s58, v16
	v_and_b32_e32 v70, s59, v16
	s_or_b64 exec, exec, s[42:43]
	s_and_saveexec_b64 s[42:43], vcc
	s_cbranch_execnz .LBB1566_99
	s_branch .LBB1566_100
.LBB1566_117:                           ;   in Loop: Header=BB1566_56 Depth=2
	v_lshlrev_b32_e32 v3, 2, v73
	ds_read_b32 v3, v3
	v_add_u32_e32 v13, v0, v51
	ds_read_b64 v[13:14], v13 offset:1024
	v_mov_b32_e32 v17, s53
	s_waitcnt lgkmcnt(1)
	v_add_u32_e32 v3, v3, v0
	v_lshlrev_b64 v[15:16], 3, v[3:4]
	v_add_co_u32_e64 v15, s[40:41], s52, v15
	v_addc_co_u32_e64 v16, s[40:41], v17, v16, s[40:41]
	s_waitcnt lgkmcnt(0)
	global_store_dwordx2 v[15:16], v[13:14], off
	s_or_b64 exec, exec, s[42:43]
	s_and_saveexec_b64 s[40:41], s[38:39]
	s_cbranch_execz .LBB1566_102
.LBB1566_118:                           ;   in Loop: Header=BB1566_56 Depth=2
	v_lshlrev_b32_e32 v3, 2, v72
	ds_read_b32 v3, v3
	v_add_u32_e32 v13, v0, v51
	ds_read_b64 v[13:14], v13 offset:3072
	v_mov_b32_e32 v17, s53
	s_waitcnt lgkmcnt(1)
	v_add_u32_e32 v3, v3, v19
	v_lshlrev_b64 v[15:16], 3, v[3:4]
	v_add_co_u32_e64 v15, s[38:39], s52, v15
	v_addc_co_u32_e64 v16, s[38:39], v17, v16, s[38:39]
	s_waitcnt lgkmcnt(0)
	global_store_dwordx2 v[15:16], v[13:14], off
	s_or_b64 exec, exec, s[40:41]
	s_and_saveexec_b64 s[38:39], s[36:37]
	s_cbranch_execz .LBB1566_103
.LBB1566_119:                           ;   in Loop: Header=BB1566_56 Depth=2
	v_lshlrev_b32_e32 v3, 2, v70
	ds_read_b32 v3, v3
	v_add_u32_e32 v13, v0, v51
	ds_read_b64 v[13:14], v13 offset:5120
	v_mov_b32_e32 v17, s53
	s_waitcnt lgkmcnt(1)
	v_add_u32_e32 v3, v3, v20
	v_lshlrev_b64 v[15:16], 3, v[3:4]
	v_add_co_u32_e64 v15, s[36:37], s52, v15
	v_addc_co_u32_e64 v16, s[36:37], v17, v16, s[36:37]
	s_waitcnt lgkmcnt(0)
	global_store_dwordx2 v[15:16], v[13:14], off
	s_or_b64 exec, exec, s[38:39]
	s_and_saveexec_b64 s[36:37], vcc
	s_cbranch_execnz .LBB1566_104
	s_branch .LBB1566_105
.LBB1566_120:                           ;   in Loop: Header=BB1566_20 Depth=1
	s_waitcnt lgkmcnt(0)
	s_barrier
	s_mov_b64 s[16:17], 0
.LBB1566_121:                           ;   in Loop: Header=BB1566_20 Depth=1
	s_and_b64 vcc, exec, s[16:17]
	s_cbranch_vccz .LBB1566_221
; %bb.122:                              ;   in Loop: Header=BB1566_20 Depth=1
	v_mov_b32_e32 v3, 0
	s_mov_b32 s18, s75
	s_mov_b32 s21, s49
	v_mov_b32_e32 v7, 0
	v_mov_b32_e32 v6, 0
	;; [unrolled: 1-line block ×3, first 2 shown]
	s_barrier
	s_branch .LBB1566_124
.LBB1566_123:                           ;   in Loop: Header=BB1566_124 Depth=2
	s_or_b64 exec, exec, s[16:17]
	s_addk_i32 s18, 0xfc00
	s_cmp_ge_u32 s19, s76
	s_mov_b32 s21, s19
	s_cbranch_scc1 .LBB1566_144
.LBB1566_124:                           ;   Parent Loop BB1566_20 Depth=1
                                        ; =>  This Inner Loop Header: Depth=2
	s_add_i32 s19, s21, 0x400
	s_cmp_gt_u32 s19, s76
	s_mov_b64 s[16:17], -1
                                        ; implicit-def: $vgpr8
                                        ; implicit-def: $vgpr9
                                        ; implicit-def: $vgpr10
                                        ; implicit-def: $vgpr11
	s_cbranch_scc1 .LBB1566_126
; %bb.125:                              ;   in Loop: Header=BB1566_124 Depth=2
	v_add_co_u32_e32 v12, vcc, s21, v32
	v_addc_co_u32_e32 v13, vcc, 0, v33, vcc
	global_load_ubyte v11, v[12:13], off offset:768
	global_load_ubyte v10, v[12:13], off offset:512
	;; [unrolled: 1-line block ×3, first 2 shown]
	global_load_ubyte v8, v[12:13], off
	s_mov_b64 s[16:17], 0
.LBB1566_126:                           ;   in Loop: Header=BB1566_124 Depth=2
	s_andn2_b64 vcc, exec, s[16:17]
	s_movk_i32 s20, 0x400
	s_cbranch_vccnz .LBB1566_133
; %bb.127:                              ;   in Loop: Header=BB1566_124 Depth=2
	s_add_u32 s20, s66, s21
	s_addc_u32 s21, s67, 0
	v_cmp_gt_u32_e32 vcc, s18, v0
	s_and_saveexec_b64 s[16:17], vcc
	s_cbranch_execnz .LBB1566_141
; %bb.128:                              ;   in Loop: Header=BB1566_124 Depth=2
	s_or_b64 exec, exec, s[16:17]
	v_cmp_gt_u32_e32 vcc, s18, v19
	s_and_saveexec_b64 s[16:17], vcc
	s_cbranch_execnz .LBB1566_142
.LBB1566_129:                           ;   in Loop: Header=BB1566_124 Depth=2
	s_or_b64 exec, exec, s[16:17]
	v_cmp_gt_u32_e32 vcc, s18, v20
	s_and_saveexec_b64 s[16:17], vcc
	s_cbranch_execnz .LBB1566_143
.LBB1566_130:                           ;   in Loop: Header=BB1566_124 Depth=2
	s_or_b64 exec, exec, s[16:17]
	v_cmp_gt_u32_e32 vcc, s18, v21
	s_and_saveexec_b64 s[16:17], vcc
	s_cbranch_execz .LBB1566_132
.LBB1566_131:                           ;   in Loop: Header=BB1566_124 Depth=2
	v_mov_b32_e32 v5, s21
	s_waitcnt vmcnt(0)
	v_add_co_u32_e32 v8, vcc, s20, v0
	v_addc_co_u32_e32 v9, vcc, 0, v5, vcc
	global_load_ubyte v5, v[8:9], off offset:768
.LBB1566_132:                           ;   in Loop: Header=BB1566_124 Depth=2
	s_or_b64 exec, exec, s[16:17]
	s_mov_b32 s20, s18
	s_waitcnt vmcnt(0)
	v_mov_b32_e32 v8, v3
	v_mov_b32_e32 v9, v7
	;; [unrolled: 1-line block ×4, first 2 shown]
.LBB1566_133:                           ;   in Loop: Header=BB1566_124 Depth=2
	s_waitcnt vmcnt(3)
	v_mov_b32_e32 v5, v11
	s_waitcnt vmcnt(2)
	v_mov_b32_e32 v6, v10
	;; [unrolled: 2-line block ×4, first 2 shown]
	v_cmp_gt_u32_e32 vcc, s20, v0
	s_and_saveexec_b64 s[16:17], vcc
	s_cbranch_execnz .LBB1566_137
; %bb.134:                              ;   in Loop: Header=BB1566_124 Depth=2
	s_or_b64 exec, exec, s[16:17]
	v_cmp_gt_u32_e32 vcc, s20, v19
	s_and_saveexec_b64 s[16:17], vcc
	s_cbranch_execnz .LBB1566_138
.LBB1566_135:                           ;   in Loop: Header=BB1566_124 Depth=2
	s_or_b64 exec, exec, s[16:17]
	v_cmp_gt_u32_e32 vcc, s20, v20
	s_and_saveexec_b64 s[16:17], vcc
	s_cbranch_execnz .LBB1566_139
.LBB1566_136:                           ;   in Loop: Header=BB1566_124 Depth=2
	s_or_b64 exec, exec, s[16:17]
	v_cmp_gt_u32_e32 vcc, s20, v21
	s_and_saveexec_b64 s[16:17], vcc
	s_cbranch_execz .LBB1566_123
	s_branch .LBB1566_140
.LBB1566_137:                           ;   in Loop: Header=BB1566_124 Depth=2
	v_xor_b32_e32 v8, -1, v3
	v_and_b32_e32 v8, 1, v8
	v_lshrrev_b32_sdwa v8, s58, v8 dst_sel:DWORD dst_unused:UNUSED_PAD src0_sel:DWORD src1_sel:WORD_0
	v_and_b32_e32 v8, s59, v8
	v_lshl_or_b32 v8, v8, 4, v24
	ds_add_u32 v8, v52
	s_or_b64 exec, exec, s[16:17]
	v_cmp_gt_u32_e32 vcc, s20, v19
	s_and_saveexec_b64 s[16:17], vcc
	s_cbranch_execz .LBB1566_135
.LBB1566_138:                           ;   in Loop: Header=BB1566_124 Depth=2
	v_xor_b32_e32 v8, -1, v7
	v_and_b32_e32 v8, 1, v8
	v_lshrrev_b32_sdwa v8, s58, v8 dst_sel:DWORD dst_unused:UNUSED_PAD src0_sel:DWORD src1_sel:WORD_0
	v_and_b32_e32 v8, s59, v8
	v_lshl_or_b32 v8, v8, 4, v24
	ds_add_u32 v8, v52
	s_or_b64 exec, exec, s[16:17]
	v_cmp_gt_u32_e32 vcc, s20, v20
	s_and_saveexec_b64 s[16:17], vcc
	s_cbranch_execz .LBB1566_136
.LBB1566_139:                           ;   in Loop: Header=BB1566_124 Depth=2
	v_xor_b32_e32 v8, -1, v6
	v_and_b32_e32 v8, 1, v8
	v_lshrrev_b32_sdwa v8, s58, v8 dst_sel:DWORD dst_unused:UNUSED_PAD src0_sel:DWORD src1_sel:WORD_0
	v_and_b32_e32 v8, s59, v8
	v_lshl_or_b32 v8, v8, 4, v24
	ds_add_u32 v8, v52
	s_or_b64 exec, exec, s[16:17]
	v_cmp_gt_u32_e32 vcc, s20, v21
	s_and_saveexec_b64 s[16:17], vcc
	s_cbranch_execz .LBB1566_123
.LBB1566_140:                           ;   in Loop: Header=BB1566_124 Depth=2
	v_xor_b32_e32 v8, -1, v5
	v_and_b32_e32 v8, 1, v8
	v_lshrrev_b32_sdwa v8, s58, v8 dst_sel:DWORD dst_unused:UNUSED_PAD src0_sel:DWORD src1_sel:WORD_0
	v_and_b32_e32 v8, s59, v8
	v_lshl_or_b32 v8, v8, 4, v24
	ds_add_u32 v8, v52
	s_branch .LBB1566_123
.LBB1566_141:                           ;   in Loop: Header=BB1566_124 Depth=2
	v_mov_b32_e32 v3, s21
	s_waitcnt vmcnt(0)
	v_add_co_u32_e32 v8, vcc, s20, v0
	v_addc_co_u32_e32 v9, vcc, 0, v3, vcc
	global_load_ubyte v3, v[8:9], off
	s_or_b64 exec, exec, s[16:17]
	v_cmp_gt_u32_e32 vcc, s18, v19
	s_and_saveexec_b64 s[16:17], vcc
	s_cbranch_execz .LBB1566_129
.LBB1566_142:                           ;   in Loop: Header=BB1566_124 Depth=2
	s_waitcnt vmcnt(0)
	v_mov_b32_e32 v8, s21
	v_add_co_u32_e32 v7, vcc, s20, v0
	v_addc_co_u32_e32 v8, vcc, 0, v8, vcc
	global_load_ubyte v7, v[7:8], off offset:256
	s_or_b64 exec, exec, s[16:17]
	v_cmp_gt_u32_e32 vcc, s18, v20
	s_and_saveexec_b64 s[16:17], vcc
	s_cbranch_execz .LBB1566_130
.LBB1566_143:                           ;   in Loop: Header=BB1566_124 Depth=2
	v_mov_b32_e32 v6, s21
	s_waitcnt vmcnt(0)
	v_add_co_u32_e32 v8, vcc, s20, v0
	v_addc_co_u32_e32 v9, vcc, 0, v6, vcc
	global_load_ubyte v6, v[8:9], off offset:512
	s_or_b64 exec, exec, s[16:17]
	v_cmp_gt_u32_e32 vcc, s18, v21
	s_and_saveexec_b64 s[16:17], vcc
	s_cbranch_execnz .LBB1566_131
	s_branch .LBB1566_132
.LBB1566_144:                           ;   in Loop: Header=BB1566_20 Depth=1
	v_mov_b32_e32 v3, 0
	s_waitcnt lgkmcnt(0)
	s_barrier
	s_and_saveexec_b64 s[16:17], s[4:5]
	s_cbranch_execz .LBB1566_146
; %bb.145:                              ;   in Loop: Header=BB1566_20 Depth=1
	ds_read2_b64 v[5:8], v25 offset1:1
	s_waitcnt lgkmcnt(0)
	v_add_u32_e32 v3, v6, v5
	v_add3_u32 v3, v3, v7, v8
.LBB1566_146:                           ;   in Loop: Header=BB1566_20 Depth=1
	s_or_b64 exec, exec, s[16:17]
	s_nop 0
	v_mov_b32_dpp v5, v3 row_shr:1 row_mask:0xf bank_mask:0xf
	v_cmp_eq_u32_e64 s[16:17], 0, v55
	v_cndmask_b32_e64 v5, v5, 0, s[16:17]
	v_add_u32_e32 v3, v5, v3
	v_cmp_lt_u32_e64 s[18:19], 1, v55
	v_cmp_lt_u32_e64 s[20:21], 3, v55
	v_mov_b32_dpp v5, v3 row_shr:2 row_mask:0xf bank_mask:0xf
	v_cndmask_b32_e64 v5, 0, v5, s[18:19]
	v_add_u32_e32 v3, v3, v5
	v_cmp_lt_u32_e64 s[22:23], 7, v55
	v_cmp_lt_u32_e64 s[26:27], 31, v44
	v_mov_b32_dpp v5, v3 row_shr:4 row_mask:0xf bank_mask:0xf
	v_cndmask_b32_e64 v5, 0, v5, s[20:21]
	v_add_u32_e32 v3, v3, v5
	v_cmp_eq_u32_e64 s[24:25], 0, v57
	s_nop 0
	v_mov_b32_dpp v5, v3 row_shr:8 row_mask:0xf bank_mask:0xf
	v_cndmask_b32_e64 v5, 0, v5, s[22:23]
	v_add_u32_e32 v3, v3, v5
	s_nop 1
	v_mov_b32_dpp v5, v3 row_bcast:15 row_mask:0xf bank_mask:0xf
	v_and_b32_e32 v5, v56, v5
	v_add_u32_e32 v3, v3, v5
	s_nop 1
	v_mov_b32_dpp v5, v3 row_bcast:31 row_mask:0xf bank_mask:0xf
	v_cndmask_b32_e64 v5, 0, v5, s[26:27]
	v_add_u32_e32 v3, v3, v5
	s_and_saveexec_b64 s[28:29], s[6:7]
; %bb.147:                              ;   in Loop: Header=BB1566_20 Depth=1
	ds_write_b32 v48, v3
; %bb.148:                              ;   in Loop: Header=BB1566_20 Depth=1
	s_or_b64 exec, exec, s[28:29]
	s_waitcnt lgkmcnt(0)
	s_barrier
	s_and_saveexec_b64 s[28:29], s[8:9]
	s_cbranch_execz .LBB1566_150
; %bb.149:                              ;   in Loop: Header=BB1566_20 Depth=1
	ds_read_b32 v5, v49
	v_cmp_ne_u32_e32 vcc, 0, v58
	s_waitcnt lgkmcnt(0)
	v_mov_b32_dpp v6, v5 row_shr:1 row_mask:0xf bank_mask:0xf
	v_cndmask_b32_e32 v6, 0, v6, vcc
	v_add_u32_e32 v5, v6, v5
	v_cmp_lt_u32_e32 vcc, 1, v58
	s_nop 0
	v_mov_b32_dpp v6, v5 row_shr:2 row_mask:0xf bank_mask:0xf
	v_cndmask_b32_e32 v6, 0, v6, vcc
	v_add_u32_e32 v5, v5, v6
	ds_write_b32 v49, v5
.LBB1566_150:                           ;   in Loop: Header=BB1566_20 Depth=1
	s_or_b64 exec, exec, s[28:29]
	v_mov_b32_e32 v5, 0
	s_waitcnt lgkmcnt(0)
	s_barrier
	s_and_saveexec_b64 s[28:29], s[10:11]
; %bb.151:                              ;   in Loop: Header=BB1566_20 Depth=1
	ds_read_b32 v5, v50
; %bb.152:                              ;   in Loop: Header=BB1566_20 Depth=1
	s_or_b64 exec, exec, s[28:29]
	v_subrev_co_u32_e64 v6, s[28:29], 1, v44
	v_cmp_lt_i32_e32 vcc, v6, v59
	v_cndmask_b32_e32 v6, v6, v44, vcc
	s_waitcnt lgkmcnt(0)
	v_add_u32_e32 v3, v5, v3
	v_lshlrev_b32_e32 v64, 2, v6
	ds_bpermute_b32 v3, v64, v3
	s_waitcnt lgkmcnt(0)
	s_barrier
	s_and_saveexec_b64 s[30:31], s[4:5]
; %bb.153:                              ;   in Loop: Header=BB1566_20 Depth=1
	v_cndmask_b32_e64 v3, v3, v5, s[28:29]
	v_add_u32_e32 v3, s49, v3
	ds_write_b32 v18, v3
; %bb.154:                              ;   in Loop: Header=BB1566_20 Depth=1
	s_or_b64 exec, exec, s[30:31]
	s_load_dwordx2 s[30:31], s[44:45], 0x0
	v_add_co_u32_e32 v65, vcc, v34, v60
	v_addc_co_u32_e32 v66, vcc, 0, v35, vcc
	s_waitcnt lgkmcnt(0)
	s_cmp_lt_u32 s33, s31
	s_cselect_b32 s31, 14, 20
	s_add_u32 s34, s44, s31
	s_addc_u32 s35, s45, 0
	s_cmp_lt_u32 s48, s30
	s_cselect_b32 s30, 12, 18
	s_add_u32 s30, s44, s30
	global_load_ushort v3, v4, s[34:35]
	s_addc_u32 s31, s45, 0
	global_load_ushort v5, v4, s[30:31]
	v_add_co_u32_e32 v67, vcc, v36, v45
	v_cmp_eq_u32_e64 s[30:31], 0, v58
	v_cmp_lt_u32_e64 s[34:35], 1, v58
	v_addc_co_u32_e32 v68, vcc, 0, v37, vcc
	s_mov_b32 s60, s75
	s_mov_b32 s46, s49
                                        ; implicit-def: $vgpr7_vgpr8
                                        ; implicit-def: $vgpr9_vgpr10
                                        ; implicit-def: $vgpr11_vgpr12
                                        ; implicit-def: $vgpr69
                                        ; implicit-def: $vgpr70
                                        ; implicit-def: $vgpr72
                                        ; implicit-def: $vgpr73
	s_waitcnt vmcnt(1)
	v_mad_u32_u24 v3, v2, v3, v1
	s_waitcnt vmcnt(0)
	v_mad_u64_u32 v[13:14], s[36:37], v3, v5, v[0:1]
                                        ; implicit-def: $vgpr5_vgpr6
	v_lshrrev_b32_e32 v3, 4, v13
	v_and_b32_e32 v71, 0xffffffc, v3
	s_branch .LBB1566_156
.LBB1566_155:                           ;   in Loop: Header=BB1566_156 Depth=2
	s_or_b64 exec, exec, s[36:37]
	s_addk_i32 s60, 0xfc00
	s_cmp_lt_u32 s61, s76
	s_mov_b32 s46, s61
	s_cbranch_scc0 .LBB1566_220
.LBB1566_156:                           ;   Parent Loop BB1566_20 Depth=1
                                        ; =>  This Inner Loop Header: Depth=2
	s_add_i32 s61, s46, 0x400
	s_cmp_gt_u32 s61, s76
	s_cbranch_scc1 .LBB1566_158
; %bb.157:                              ;   in Loop: Header=BB1566_156 Depth=2
	v_add_co_u32_e32 v13, vcc, s46, v67
	v_addc_co_u32_e32 v14, vcc, 0, v68, vcc
	global_load_ubyte v15, v[13:14], off offset:128
	global_load_ubyte v16, v[13:14], off offset:64
	global_load_ubyte v3, v[13:14], off
	s_mov_b64 s[36:37], -1
	s_movk_i32 s40, 0x400
                                        ; implicit-def: $vgpr17
	s_cbranch_execz .LBB1566_159
	s_branch .LBB1566_166
.LBB1566_158:                           ;   in Loop: Header=BB1566_156 Depth=2
	s_mov_b64 s[36:37], 0
                                        ; implicit-def: $vgpr3
                                        ; implicit-def: $vgpr16
                                        ; implicit-def: $vgpr15
	s_movk_i32 s40, 0x400
                                        ; implicit-def: $vgpr17
.LBB1566_159:                           ;   in Loop: Header=BB1566_156 Depth=2
	v_add_co_u32_e32 v13, vcc, s46, v67
	v_addc_co_u32_e32 v14, vcc, 0, v68, vcc
	v_cmp_gt_u32_e32 vcc, s60, v46
	s_waitcnt vmcnt(2)
	v_mov_b32_e32 v15, 0
	s_waitcnt vmcnt(0)
	v_mov_b32_e32 v3, 0
	v_mov_b32_e32 v17, 0
	s_and_saveexec_b64 s[36:37], vcc
	s_cbranch_execz .LBB1566_161
; %bb.160:                              ;   in Loop: Header=BB1566_156 Depth=2
	global_load_ubyte v3, v[13:14], off
	v_mov_b32_e32 v17, 0
.LBB1566_161:                           ;   in Loop: Header=BB1566_156 Depth=2
	s_or_b64 exec, exec, s[36:37]
	v_cmp_gt_u32_e32 vcc, s60, v61
	v_mov_b32_e32 v16, v15
	s_and_saveexec_b64 s[36:37], vcc
	s_cbranch_execz .LBB1566_163
; %bb.162:                              ;   in Loop: Header=BB1566_156 Depth=2
	global_load_ubyte v16, v[13:14], off offset:64
.LBB1566_163:                           ;   in Loop: Header=BB1566_156 Depth=2
	s_or_b64 exec, exec, s[36:37]
	v_cmp_gt_u32_e32 vcc, s60, v62
	s_and_saveexec_b64 s[36:37], vcc
	s_cbranch_execz .LBB1566_165
; %bb.164:                              ;   in Loop: Header=BB1566_156 Depth=2
	global_load_ubyte v15, v[13:14], off offset:128
.LBB1566_165:                           ;   in Loop: Header=BB1566_156 Depth=2
	s_or_b64 exec, exec, s[36:37]
	s_sub_i32 s40, s76, s46
	v_cmp_gt_u32_e64 s[36:37], s60, v63
.LBB1566_166:                           ;   in Loop: Header=BB1566_156 Depth=2
	v_mov_b32_e32 v74, s60
	s_and_saveexec_b64 s[38:39], s[36:37]
	s_cbranch_execz .LBB1566_168
; %bb.167:                              ;   in Loop: Header=BB1566_156 Depth=2
	v_mov_b32_e32 v14, s47
	v_add_co_u32_e32 v13, vcc, s46, v67
	v_addc_co_u32_e32 v14, vcc, v68, v14, vcc
	global_load_ubyte v17, v[13:14], off offset:192
	v_mov_b32_e32 v74, s40
.LBB1566_168:                           ;   in Loop: Header=BB1566_156 Depth=2
	s_or_b64 exec, exec, s[38:39]
	s_waitcnt vmcnt(0)
	v_and_b32_e32 v3, 1, v3
	v_and_b32_e32 v13, 1, v16
	v_cmp_eq_u32_e64 s[40:41], 1, v3
	v_cmp_eq_u32_e64 s[38:39], 1, v13
	v_and_b32_e32 v13, 1, v15
	s_xor_b64 s[40:41], s[40:41], -1
	v_cmp_eq_u32_e64 s[36:37], 1, v13
	v_and_b32_e32 v13, 1, v17
	v_cndmask_b32_e64 v17, 0, 1, s[40:41]
	v_lshrrev_b32_e32 v3, s58, v17
	v_and_b32_e32 v3, s59, v3
	v_mul_u32_u24_e32 v15, 20, v3
	v_cmp_ne_u32_e64 s[40:41], 0, v3
	v_add_co_u32_e64 v3, s[42:43], -1, v3
	v_cmp_eq_u32_e32 vcc, 1, v13
	v_addc_co_u32_e64 v13, s[42:43], 0, -1, s[42:43]
	v_xor_b32_e32 v13, s41, v13
	v_xor_b32_e32 v3, s40, v3
	v_and_b32_e32 v14, exec_hi, v13
	v_and_b32_e32 v13, exec_lo, v3
	v_mbcnt_lo_u32_b32 v3, v13, 0
	v_mbcnt_hi_u32_b32 v3, v14, v3
	v_cmp_ne_u64_e64 s[40:41], 0, v[13:14]
	v_cmp_eq_u32_e64 s[42:43], 0, v3
	s_and_b64 s[42:43], s[40:41], s[42:43]
	v_add_u32_e32 v75, v71, v15
	ds_write2_b32 v53, v4, v4 offset1:1
	ds_write2_b32 v54, v4, v4 offset1:1
	ds_write_b32 v27, v4 offset:1056
	s_waitcnt lgkmcnt(0)
	s_barrier
	; wave barrier
	s_and_saveexec_b64 s[40:41], s[42:43]
; %bb.169:                              ;   in Loop: Header=BB1566_156 Depth=2
	v_bcnt_u32_b32 v13, v13, 0
	v_bcnt_u32_b32 v13, v14, v13
	ds_write_b32 v75, v13 offset:1040
; %bb.170:                              ;   in Loop: Header=BB1566_156 Depth=2
	s_or_b64 exec, exec, s[40:41]
	s_xor_b64 s[38:39], s[38:39], -1
	v_cndmask_b32_e64 v76, 0, 1, s[38:39]
	v_lshrrev_b32_e32 v13, s58, v76
	v_and_b32_e32 v13, s59, v13
	v_mul_u32_u24_e32 v15, 20, v13
	v_mad_u32_u24 v14, v13, 20, v71
	v_cmp_ne_u32_e64 s[38:39], 0, v13
	v_add_co_u32_e64 v13, s[40:41], -1, v13
	; wave barrier
	ds_read_b32 v77, v14 offset:1040
	v_addc_co_u32_e64 v14, s[40:41], 0, -1, s[40:41]
	v_xor_b32_e32 v13, s38, v13
	v_xor_b32_e32 v14, s39, v14
	v_and_b32_e32 v13, exec_lo, v13
	v_and_b32_e32 v14, exec_hi, v14
	v_mbcnt_lo_u32_b32 v16, v13, 0
	v_mbcnt_hi_u32_b32 v78, v14, v16
	v_cmp_ne_u64_e64 s[38:39], 0, v[13:14]
	v_cmp_eq_u32_e64 s[40:41], 0, v78
	s_and_b64 s[40:41], s[38:39], s[40:41]
	v_add_u32_e32 v81, v71, v15
	; wave barrier
	s_and_saveexec_b64 s[38:39], s[40:41]
	s_cbranch_execz .LBB1566_172
; %bb.171:                              ;   in Loop: Header=BB1566_156 Depth=2
	v_bcnt_u32_b32 v13, v13, 0
	v_bcnt_u32_b32 v13, v14, v13
	s_waitcnt lgkmcnt(0)
	v_add_u32_e32 v13, v77, v13
	ds_write_b32 v81, v13 offset:1040
.LBB1566_172:                           ;   in Loop: Header=BB1566_156 Depth=2
	s_or_b64 exec, exec, s[38:39]
	s_xor_b64 s[36:37], s[36:37], -1
	v_cndmask_b32_e64 v79, 0, 1, s[36:37]
	v_lshrrev_b32_e32 v13, s58, v79
	v_and_b32_e32 v13, s59, v13
	v_mul_u32_u24_e32 v15, 20, v13
	v_mad_u32_u24 v14, v13, 20, v71
	v_cmp_ne_u32_e64 s[36:37], 0, v13
	v_add_co_u32_e64 v13, s[38:39], -1, v13
	; wave barrier
	ds_read_b32 v80, v14 offset:1040
	v_addc_co_u32_e64 v14, s[38:39], 0, -1, s[38:39]
	v_xor_b32_e32 v13, s36, v13
	v_xor_b32_e32 v14, s37, v14
	v_and_b32_e32 v13, exec_lo, v13
	v_and_b32_e32 v14, exec_hi, v14
	v_mbcnt_lo_u32_b32 v16, v13, 0
	v_mbcnt_hi_u32_b32 v82, v14, v16
	v_cmp_ne_u64_e64 s[36:37], 0, v[13:14]
	v_cmp_eq_u32_e64 s[38:39], 0, v82
	s_and_b64 s[38:39], s[36:37], s[38:39]
	v_add_u32_e32 v85, v71, v15
	; wave barrier
	s_and_saveexec_b64 s[36:37], s[38:39]
	s_cbranch_execz .LBB1566_174
; %bb.173:                              ;   in Loop: Header=BB1566_156 Depth=2
	v_bcnt_u32_b32 v13, v13, 0
	v_bcnt_u32_b32 v13, v14, v13
	s_waitcnt lgkmcnt(0)
	v_add_u32_e32 v13, v80, v13
	ds_write_b32 v85, v13 offset:1040
.LBB1566_174:                           ;   in Loop: Header=BB1566_156 Depth=2
	s_or_b64 exec, exec, s[36:37]
	s_xor_b64 s[36:37], vcc, -1
	v_cndmask_b32_e64 v83, 0, 1, s[36:37]
	v_lshrrev_b32_e32 v13, s58, v83
	v_and_b32_e32 v13, s59, v13
	v_mul_u32_u24_e32 v15, 20, v13
	v_mad_u32_u24 v14, v13, 20, v71
	v_cmp_ne_u32_e32 vcc, 0, v13
	v_add_co_u32_e64 v13, s[36:37], -1, v13
	; wave barrier
	ds_read_b32 v84, v14 offset:1040
	v_addc_co_u32_e64 v14, s[36:37], 0, -1, s[36:37]
	v_xor_b32_e32 v13, vcc_lo, v13
	v_xor_b32_e32 v14, vcc_hi, v14
	v_and_b32_e32 v13, exec_lo, v13
	v_and_b32_e32 v14, exec_hi, v14
	v_mbcnt_lo_u32_b32 v16, v13, 0
	v_mbcnt_hi_u32_b32 v86, v14, v16
	v_cmp_ne_u64_e32 vcc, 0, v[13:14]
	v_cmp_eq_u32_e64 s[36:37], 0, v86
	s_and_b64 s[38:39], vcc, s[36:37]
	v_add_u32_e32 v87, v71, v15
	; wave barrier
	s_and_saveexec_b64 s[36:37], s[38:39]
	s_cbranch_execz .LBB1566_176
; %bb.175:                              ;   in Loop: Header=BB1566_156 Depth=2
	v_bcnt_u32_b32 v13, v13, 0
	v_bcnt_u32_b32 v13, v14, v13
	s_waitcnt lgkmcnt(0)
	v_add_u32_e32 v13, v84, v13
	ds_write_b32 v87, v13 offset:1040
.LBB1566_176:                           ;   in Loop: Header=BB1566_156 Depth=2
	s_or_b64 exec, exec, s[36:37]
	; wave barrier
	s_waitcnt lgkmcnt(0)
	s_barrier
	ds_read2_b32 v[15:16], v53 offset1:1
	ds_read2_b32 v[13:14], v54 offset1:1
	ds_read_b32 v88, v27 offset:1056
	s_waitcnt lgkmcnt(1)
	v_add3_u32 v89, v16, v15, v13
	s_waitcnt lgkmcnt(0)
	v_add3_u32 v88, v89, v14, v88
	s_nop 1
	v_mov_b32_dpp v89, v88 row_shr:1 row_mask:0xf bank_mask:0xf
	v_cndmask_b32_e64 v89, v89, 0, s[16:17]
	v_add_u32_e32 v88, v89, v88
	s_nop 1
	v_mov_b32_dpp v89, v88 row_shr:2 row_mask:0xf bank_mask:0xf
	v_cndmask_b32_e64 v89, 0, v89, s[18:19]
	v_add_u32_e32 v88, v88, v89
	;; [unrolled: 4-line block ×4, first 2 shown]
	s_nop 1
	v_mov_b32_dpp v89, v88 row_bcast:15 row_mask:0xf bank_mask:0xf
	v_cndmask_b32_e64 v89, v89, 0, s[24:25]
	v_add_u32_e32 v88, v88, v89
	s_nop 1
	v_mov_b32_dpp v89, v88 row_bcast:31 row_mask:0xf bank_mask:0xf
	v_cndmask_b32_e64 v89, 0, v89, s[26:27]
	v_add_u32_e32 v88, v88, v89
	s_and_saveexec_b64 s[36:37], s[6:7]
; %bb.177:                              ;   in Loop: Header=BB1566_156 Depth=2
	ds_write_b32 v26, v88 offset:1024
; %bb.178:                              ;   in Loop: Header=BB1566_156 Depth=2
	s_or_b64 exec, exec, s[36:37]
	s_waitcnt lgkmcnt(0)
	s_barrier
	s_and_saveexec_b64 s[36:37], s[8:9]
	s_cbranch_execz .LBB1566_180
; %bb.179:                              ;   in Loop: Header=BB1566_156 Depth=2
	ds_read_b32 v89, v47 offset:1024
	s_waitcnt lgkmcnt(0)
	s_nop 0
	v_mov_b32_dpp v90, v89 row_shr:1 row_mask:0xf bank_mask:0xf
	v_cndmask_b32_e64 v90, v90, 0, s[30:31]
	v_add_u32_e32 v89, v90, v89
	s_nop 1
	v_mov_b32_dpp v90, v89 row_shr:2 row_mask:0xf bank_mask:0xf
	v_cndmask_b32_e64 v90, 0, v90, s[34:35]
	v_add_u32_e32 v89, v89, v90
	ds_write_b32 v47, v89 offset:1024
.LBB1566_180:                           ;   in Loop: Header=BB1566_156 Depth=2
	s_or_b64 exec, exec, s[36:37]
	v_mov_b32_e32 v89, 0
	s_waitcnt lgkmcnt(0)
	s_barrier
	s_and_saveexec_b64 s[36:37], s[10:11]
; %bb.181:                              ;   in Loop: Header=BB1566_156 Depth=2
	ds_read_b32 v89, v26 offset:1020
; %bb.182:                              ;   in Loop: Header=BB1566_156 Depth=2
	s_or_b64 exec, exec, s[36:37]
	s_waitcnt lgkmcnt(0)
	v_add_u32_e32 v88, v89, v88
	ds_bpermute_b32 v88, v64, v88
	s_waitcnt lgkmcnt(0)
	v_cndmask_b32_e64 v88, v88, v89, s[28:29]
	v_cndmask_b32_e64 v88, v88, 0, s[12:13]
	v_add_u32_e32 v15, v88, v15
	v_add_u32_e32 v16, v15, v16
	;; [unrolled: 1-line block ×4, first 2 shown]
	ds_write2_b32 v53, v88, v15 offset1:1
	ds_write2_b32 v54, v16, v13 offset1:1
	ds_write_b32 v27, v14 offset:1056
	s_waitcnt lgkmcnt(0)
	s_barrier
	ds_read_b32 v13, v75 offset:1040
	ds_read_b32 v14, v81 offset:1040
	;; [unrolled: 1-line block ×5, first 2 shown]
	v_mov_b32_e32 v75, 0x400
	s_and_saveexec_b64 s[36:37], s[14:15]
; %bb.183:                              ;   in Loop: Header=BB1566_156 Depth=2
	ds_read_b32 v75, v27 offset:1060
; %bb.184:                              ;   in Loop: Header=BB1566_156 Depth=2
	s_or_b64 exec, exec, s[36:37]
	s_waitcnt lgkmcnt(0)
	s_barrier
	s_and_saveexec_b64 s[36:37], s[4:5]
	s_cbranch_execz .LBB1566_186
; %bb.185:                              ;   in Loop: Header=BB1566_156 Depth=2
	ds_read_b32 v85, v18
	s_waitcnt lgkmcnt(0)
	v_sub_u32_e32 v15, v85, v15
	ds_write_b32 v18, v15
.LBB1566_186:                           ;   in Loop: Header=BB1566_156 Depth=2
	s_or_b64 exec, exec, s[36:37]
	v_add_u32_e32 v15, v13, v3
	v_add3_u32 v14, v78, v77, v14
	v_add3_u32 v13, v82, v80, v16
	;; [unrolled: 1-line block ×3, first 2 shown]
	v_cmp_lt_u32_e64 s[40:41], v0, v74
	ds_write_b8 v15, v17 offset:1024
	ds_write_b8 v14, v76 offset:1024
	;; [unrolled: 1-line block ×4, first 2 shown]
	s_waitcnt lgkmcnt(0)
	s_barrier
	s_and_saveexec_b64 s[36:37], s[40:41]
	s_cbranch_execnz .LBB1566_207
; %bb.187:                              ;   in Loop: Header=BB1566_156 Depth=2
	s_or_b64 exec, exec, s[36:37]
	v_cmp_lt_u32_e64 s[38:39], v19, v74
	s_and_saveexec_b64 s[36:37], s[38:39]
	s_cbranch_execnz .LBB1566_208
.LBB1566_188:                           ;   in Loop: Header=BB1566_156 Depth=2
	s_or_b64 exec, exec, s[36:37]
	v_cmp_lt_u32_e64 s[36:37], v20, v74
	s_and_saveexec_b64 s[42:43], s[36:37]
	s_cbranch_execnz .LBB1566_209
.LBB1566_189:                           ;   in Loop: Header=BB1566_156 Depth=2
	s_or_b64 exec, exec, s[42:43]
	v_cmp_lt_u32_e32 vcc, v21, v74
	s_and_saveexec_b64 s[42:43], vcc
	s_cbranch_execz .LBB1566_191
.LBB1566_190:                           ;   in Loop: Header=BB1566_156 Depth=2
	ds_read_u8 v16, v0 offset:1792
	s_waitcnt lgkmcnt(0)
	v_and_b32_e32 v17, 1, v16
	v_lshrrev_b32_e32 v17, s58, v17
	v_and_b32_e32 v17, s59, v17
	v_lshlrev_b32_e32 v17, 2, v17
	ds_read_b32 v17, v17
	v_xor_b32_e32 v16, 1, v16
	s_waitcnt lgkmcnt(0)
	v_add_u32_e32 v17, v17, v21
	global_store_byte v17, v16, s[68:69]
.LBB1566_191:                           ;   in Loop: Header=BB1566_156 Depth=2
	s_or_b64 exec, exec, s[42:43]
	s_lshl_b64 s[42:43], s[46:47], 3
	v_mov_b32_e32 v17, s43
	v_add_co_u32_e64 v16, s[42:43], s42, v65
	v_addc_co_u32_e64 v17, s[42:43], v66, v17, s[42:43]
	v_cmp_lt_u32_e64 s[42:43], v46, v74
	s_and_saveexec_b64 s[56:57], s[42:43]
	s_xor_b64 s[42:43], exec, s[56:57]
	s_cbranch_execnz .LBB1566_210
; %bb.192:                              ;   in Loop: Header=BB1566_156 Depth=2
	s_or_b64 exec, exec, s[42:43]
	v_cmp_lt_u32_e64 s[42:43], v61, v74
	s_and_saveexec_b64 s[56:57], s[42:43]
	s_cbranch_execnz .LBB1566_211
.LBB1566_193:                           ;   in Loop: Header=BB1566_156 Depth=2
	s_or_b64 exec, exec, s[56:57]
	v_cmp_lt_u32_e64 s[42:43], v62, v74
	s_and_saveexec_b64 s[56:57], s[42:43]
	s_cbranch_execnz .LBB1566_212
.LBB1566_194:                           ;   in Loop: Header=BB1566_156 Depth=2
	s_or_b64 exec, exec, s[56:57]
	v_cmp_lt_u32_e64 s[42:43], v63, v74
	s_and_saveexec_b64 s[56:57], s[42:43]
	s_cbranch_execnz .LBB1566_213
.LBB1566_195:                           ;   in Loop: Header=BB1566_156 Depth=2
	s_or_b64 exec, exec, s[56:57]
	s_and_saveexec_b64 s[42:43], s[40:41]
	s_cbranch_execnz .LBB1566_214
.LBB1566_196:                           ;   in Loop: Header=BB1566_156 Depth=2
	s_or_b64 exec, exec, s[42:43]
	s_and_saveexec_b64 s[42:43], s[38:39]
	s_cbranch_execnz .LBB1566_215
.LBB1566_197:                           ;   in Loop: Header=BB1566_156 Depth=2
	s_or_b64 exec, exec, s[42:43]
	s_and_saveexec_b64 s[42:43], s[36:37]
	s_cbranch_execnz .LBB1566_216
.LBB1566_198:                           ;   in Loop: Header=BB1566_156 Depth=2
	s_or_b64 exec, exec, s[42:43]
	s_and_saveexec_b64 s[42:43], vcc
	s_cbranch_execz .LBB1566_200
.LBB1566_199:                           ;   in Loop: Header=BB1566_156 Depth=2
	ds_read_u8 v16, v0 offset:1792
	s_waitcnt lgkmcnt(0)
	v_lshrrev_b32_e32 v16, s58, v16
	v_and_b32_e32 v69, s59, v16
.LBB1566_200:                           ;   in Loop: Header=BB1566_156 Depth=2
	s_or_b64 exec, exec, s[42:43]
	v_mad_u64_u32 v[15:16], s[42:43], v15, 7, v[15:16]
	v_mad_u64_u32 v[76:77], s[42:43], v3, 7, v[3:4]
	;; [unrolled: 1-line block ×4, first 2 shown]
	s_waitcnt vmcnt(0)
	s_barrier
	ds_write_b64 v15, v[11:12] offset:1024
	ds_write_b64 v16, v[9:10] offset:1024
	ds_write_b64 v13, v[7:8] offset:1024
	ds_write_b64 v76, v[5:6] offset:1024
	s_waitcnt lgkmcnt(0)
	s_barrier
	s_and_saveexec_b64 s[42:43], s[40:41]
	s_cbranch_execnz .LBB1566_217
; %bb.201:                              ;   in Loop: Header=BB1566_156 Depth=2
	s_or_b64 exec, exec, s[42:43]
	s_and_saveexec_b64 s[40:41], s[38:39]
	s_cbranch_execnz .LBB1566_218
.LBB1566_202:                           ;   in Loop: Header=BB1566_156 Depth=2
	s_or_b64 exec, exec, s[40:41]
	s_and_saveexec_b64 s[38:39], s[36:37]
	s_cbranch_execnz .LBB1566_219
.LBB1566_203:                           ;   in Loop: Header=BB1566_156 Depth=2
	s_or_b64 exec, exec, s[38:39]
	s_and_saveexec_b64 s[36:37], vcc
	s_cbranch_execz .LBB1566_205
.LBB1566_204:                           ;   in Loop: Header=BB1566_156 Depth=2
	v_lshlrev_b32_e32 v3, 2, v69
	ds_read_b32 v3, v3
	v_add_u32_e32 v13, v0, v51
	ds_read_b64 v[13:14], v13 offset:7168
	v_mov_b32_e32 v17, s55
	s_waitcnt lgkmcnt(1)
	v_add_u32_e32 v3, v3, v21
	v_lshlrev_b64 v[15:16], 3, v[3:4]
	v_add_co_u32_e32 v15, vcc, s54, v15
	v_addc_co_u32_e32 v16, vcc, v17, v16, vcc
	s_waitcnt lgkmcnt(0)
	global_store_dwordx2 v[15:16], v[13:14], off
.LBB1566_205:                           ;   in Loop: Header=BB1566_156 Depth=2
	s_or_b64 exec, exec, s[36:37]
	s_waitcnt vmcnt(0)
	s_barrier
	s_and_saveexec_b64 s[36:37], s[4:5]
	s_cbranch_execz .LBB1566_155
; %bb.206:                              ;   in Loop: Header=BB1566_156 Depth=2
	ds_read_b32 v3, v18
	s_waitcnt lgkmcnt(0)
	v_add_u32_e32 v3, v3, v75
	ds_write_b32 v18, v3
	s_branch .LBB1566_155
.LBB1566_207:                           ;   in Loop: Header=BB1566_156 Depth=2
	ds_read_u8 v16, v0 offset:1024
	s_waitcnt lgkmcnt(0)
	v_and_b32_e32 v17, 1, v16
	v_lshrrev_b32_e32 v17, s58, v17
	v_and_b32_e32 v17, s59, v17
	v_lshlrev_b32_e32 v17, 2, v17
	ds_read_b32 v17, v17
	v_xor_b32_e32 v16, 1, v16
	s_waitcnt lgkmcnt(0)
	v_add_u32_e32 v17, v17, v0
	global_store_byte v17, v16, s[68:69]
	s_or_b64 exec, exec, s[36:37]
	v_cmp_lt_u32_e64 s[38:39], v19, v74
	s_and_saveexec_b64 s[36:37], s[38:39]
	s_cbranch_execz .LBB1566_188
.LBB1566_208:                           ;   in Loop: Header=BB1566_156 Depth=2
	ds_read_u8 v16, v0 offset:1280
	s_waitcnt lgkmcnt(0)
	v_and_b32_e32 v17, 1, v16
	v_lshrrev_b32_e32 v17, s58, v17
	v_and_b32_e32 v17, s59, v17
	v_lshlrev_b32_e32 v17, 2, v17
	ds_read_b32 v17, v17
	v_xor_b32_e32 v16, 1, v16
	s_waitcnt lgkmcnt(0)
	v_add_u32_e32 v17, v17, v19
	global_store_byte v17, v16, s[68:69]
	s_or_b64 exec, exec, s[36:37]
	v_cmp_lt_u32_e64 s[36:37], v20, v74
	s_and_saveexec_b64 s[42:43], s[36:37]
	s_cbranch_execz .LBB1566_189
.LBB1566_209:                           ;   in Loop: Header=BB1566_156 Depth=2
	ds_read_u8 v16, v0 offset:1536
	s_waitcnt lgkmcnt(0)
	v_and_b32_e32 v17, 1, v16
	v_lshrrev_b32_e32 v17, s58, v17
	v_and_b32_e32 v17, s59, v17
	v_lshlrev_b32_e32 v17, 2, v17
	ds_read_b32 v17, v17
	v_xor_b32_e32 v16, 1, v16
	s_waitcnt lgkmcnt(0)
	v_add_u32_e32 v17, v17, v20
	global_store_byte v17, v16, s[68:69]
	s_or_b64 exec, exec, s[42:43]
	v_cmp_lt_u32_e32 vcc, v21, v74
	s_and_saveexec_b64 s[42:43], vcc
	s_cbranch_execnz .LBB1566_190
	s_branch .LBB1566_191
.LBB1566_210:                           ;   in Loop: Header=BB1566_156 Depth=2
	global_load_dwordx2 v[11:12], v[16:17], off
	s_or_b64 exec, exec, s[42:43]
	v_cmp_lt_u32_e64 s[42:43], v61, v74
	s_and_saveexec_b64 s[56:57], s[42:43]
	s_cbranch_execz .LBB1566_193
.LBB1566_211:                           ;   in Loop: Header=BB1566_156 Depth=2
	global_load_dwordx2 v[9:10], v[16:17], off offset:512
	s_or_b64 exec, exec, s[56:57]
	v_cmp_lt_u32_e64 s[42:43], v62, v74
	s_and_saveexec_b64 s[56:57], s[42:43]
	s_cbranch_execz .LBB1566_194
.LBB1566_212:                           ;   in Loop: Header=BB1566_156 Depth=2
	global_load_dwordx2 v[7:8], v[16:17], off offset:1024
	s_or_b64 exec, exec, s[56:57]
	v_cmp_lt_u32_e64 s[42:43], v63, v74
	s_and_saveexec_b64 s[56:57], s[42:43]
	s_cbranch_execz .LBB1566_195
.LBB1566_213:                           ;   in Loop: Header=BB1566_156 Depth=2
	global_load_dwordx2 v[5:6], v[16:17], off offset:1536
	s_or_b64 exec, exec, s[56:57]
	s_and_saveexec_b64 s[42:43], s[40:41]
	s_cbranch_execz .LBB1566_196
.LBB1566_214:                           ;   in Loop: Header=BB1566_156 Depth=2
	ds_read_u8 v16, v0 offset:1024
	s_waitcnt lgkmcnt(0)
	v_lshrrev_b32_e32 v16, s58, v16
	v_and_b32_e32 v73, s59, v16
	s_or_b64 exec, exec, s[42:43]
	s_and_saveexec_b64 s[42:43], s[38:39]
	s_cbranch_execz .LBB1566_197
.LBB1566_215:                           ;   in Loop: Header=BB1566_156 Depth=2
	ds_read_u8 v16, v0 offset:1280
	s_waitcnt lgkmcnt(0)
	v_lshrrev_b32_e32 v16, s58, v16
	v_and_b32_e32 v72, s59, v16
	s_or_b64 exec, exec, s[42:43]
	s_and_saveexec_b64 s[42:43], s[36:37]
	s_cbranch_execz .LBB1566_198
.LBB1566_216:                           ;   in Loop: Header=BB1566_156 Depth=2
	ds_read_u8 v16, v0 offset:1536
	s_waitcnt lgkmcnt(0)
	v_lshrrev_b32_e32 v16, s58, v16
	v_and_b32_e32 v70, s59, v16
	s_or_b64 exec, exec, s[42:43]
	s_and_saveexec_b64 s[42:43], vcc
	s_cbranch_execnz .LBB1566_199
	s_branch .LBB1566_200
.LBB1566_217:                           ;   in Loop: Header=BB1566_156 Depth=2
	v_lshlrev_b32_e32 v3, 2, v73
	ds_read_b32 v3, v3
	v_add_u32_e32 v13, v0, v51
	ds_read_b64 v[13:14], v13 offset:1024
	v_mov_b32_e32 v17, s55
	s_waitcnt lgkmcnt(1)
	v_add_u32_e32 v3, v3, v0
	v_lshlrev_b64 v[15:16], 3, v[3:4]
	v_add_co_u32_e64 v15, s[40:41], s54, v15
	v_addc_co_u32_e64 v16, s[40:41], v17, v16, s[40:41]
	s_waitcnt lgkmcnt(0)
	global_store_dwordx2 v[15:16], v[13:14], off
	s_or_b64 exec, exec, s[42:43]
	s_and_saveexec_b64 s[40:41], s[38:39]
	s_cbranch_execz .LBB1566_202
.LBB1566_218:                           ;   in Loop: Header=BB1566_156 Depth=2
	v_lshlrev_b32_e32 v3, 2, v72
	ds_read_b32 v3, v3
	v_add_u32_e32 v13, v0, v51
	ds_read_b64 v[13:14], v13 offset:3072
	v_mov_b32_e32 v17, s55
	s_waitcnt lgkmcnt(1)
	v_add_u32_e32 v3, v3, v19
	v_lshlrev_b64 v[15:16], 3, v[3:4]
	v_add_co_u32_e64 v15, s[38:39], s54, v15
	v_addc_co_u32_e64 v16, s[38:39], v17, v16, s[38:39]
	s_waitcnt lgkmcnt(0)
	global_store_dwordx2 v[15:16], v[13:14], off
	s_or_b64 exec, exec, s[40:41]
	s_and_saveexec_b64 s[38:39], s[36:37]
	s_cbranch_execz .LBB1566_203
.LBB1566_219:                           ;   in Loop: Header=BB1566_156 Depth=2
	v_lshlrev_b32_e32 v3, 2, v70
	ds_read_b32 v3, v3
	v_add_u32_e32 v13, v0, v51
	ds_read_b64 v[13:14], v13 offset:5120
	v_mov_b32_e32 v17, s55
	s_waitcnt lgkmcnt(1)
	v_add_u32_e32 v3, v3, v20
	v_lshlrev_b64 v[15:16], 3, v[3:4]
	v_add_co_u32_e64 v15, s[36:37], s54, v15
	v_addc_co_u32_e64 v16, s[36:37], v17, v16, s[36:37]
	s_waitcnt lgkmcnt(0)
	global_store_dwordx2 v[15:16], v[13:14], off
	s_or_b64 exec, exec, s[38:39]
	s_and_saveexec_b64 s[36:37], vcc
	s_cbranch_execnz .LBB1566_204
	s_branch .LBB1566_205
.LBB1566_220:                           ;   in Loop: Header=BB1566_20 Depth=1
	s_waitcnt lgkmcnt(0)
	s_barrier
.LBB1566_221:                           ;   in Loop: Header=BB1566_20 Depth=1
	s_mov_b64 s[16:17], 0
.LBB1566_222:                           ;   in Loop: Header=BB1566_20 Depth=1
	s_andn2_b64 vcc, exec, s[16:17]
	s_cbranch_vccnz .LBB1566_19
; %bb.223:                              ;   in Loop: Header=BB1566_20 Depth=1
	s_mov_b64 s[16:17], -1
	s_and_b64 vcc, exec, s[50:51]
	s_cbranch_vccz .LBB1566_323
; %bb.224:                              ;   in Loop: Header=BB1566_20 Depth=1
	v_mov_b32_e32 v3, 0
	s_mov_b32 s18, s75
	s_mov_b32 s21, s49
	v_mov_b32_e32 v7, 0
	v_mov_b32_e32 v6, 0
	;; [unrolled: 1-line block ×3, first 2 shown]
	s_barrier
	s_branch .LBB1566_226
.LBB1566_225:                           ;   in Loop: Header=BB1566_226 Depth=2
	s_or_b64 exec, exec, s[16:17]
	s_addk_i32 s18, 0xfc00
	s_cmp_ge_u32 s19, s76
	s_mov_b32 s21, s19
	s_cbranch_scc1 .LBB1566_246
.LBB1566_226:                           ;   Parent Loop BB1566_20 Depth=1
                                        ; =>  This Inner Loop Header: Depth=2
	s_add_i32 s19, s21, 0x400
	s_cmp_gt_u32 s19, s76
	s_mov_b64 s[16:17], -1
                                        ; implicit-def: $vgpr8
                                        ; implicit-def: $vgpr9
                                        ; implicit-def: $vgpr10
                                        ; implicit-def: $vgpr11
	s_cbranch_scc1 .LBB1566_228
; %bb.227:                              ;   in Loop: Header=BB1566_226 Depth=2
	v_add_co_u32_e32 v12, vcc, s21, v38
	v_addc_co_u32_e32 v13, vcc, 0, v39, vcc
	global_load_ubyte v11, v[12:13], off offset:768
	global_load_ubyte v10, v[12:13], off offset:512
	;; [unrolled: 1-line block ×3, first 2 shown]
	global_load_ubyte v8, v[12:13], off
	s_mov_b64 s[16:17], 0
.LBB1566_228:                           ;   in Loop: Header=BB1566_226 Depth=2
	s_andn2_b64 vcc, exec, s[16:17]
	s_movk_i32 s20, 0x400
	s_cbranch_vccnz .LBB1566_235
; %bb.229:                              ;   in Loop: Header=BB1566_226 Depth=2
	s_add_u32 s20, s64, s21
	s_addc_u32 s21, s65, 0
	v_cmp_gt_u32_e32 vcc, s18, v0
	s_and_saveexec_b64 s[16:17], vcc
	s_cbranch_execnz .LBB1566_243
; %bb.230:                              ;   in Loop: Header=BB1566_226 Depth=2
	s_or_b64 exec, exec, s[16:17]
	v_cmp_gt_u32_e32 vcc, s18, v19
	s_and_saveexec_b64 s[16:17], vcc
	s_cbranch_execnz .LBB1566_244
.LBB1566_231:                           ;   in Loop: Header=BB1566_226 Depth=2
	s_or_b64 exec, exec, s[16:17]
	v_cmp_gt_u32_e32 vcc, s18, v20
	s_and_saveexec_b64 s[16:17], vcc
	s_cbranch_execnz .LBB1566_245
.LBB1566_232:                           ;   in Loop: Header=BB1566_226 Depth=2
	s_or_b64 exec, exec, s[16:17]
	v_cmp_gt_u32_e32 vcc, s18, v21
	s_and_saveexec_b64 s[16:17], vcc
	s_cbranch_execz .LBB1566_234
.LBB1566_233:                           ;   in Loop: Header=BB1566_226 Depth=2
	v_mov_b32_e32 v5, s21
	s_waitcnt vmcnt(0)
	v_add_co_u32_e32 v8, vcc, s20, v0
	v_addc_co_u32_e32 v9, vcc, 0, v5, vcc
	global_load_ubyte v5, v[8:9], off offset:768
.LBB1566_234:                           ;   in Loop: Header=BB1566_226 Depth=2
	s_or_b64 exec, exec, s[16:17]
	s_mov_b32 s20, s18
	s_waitcnt vmcnt(0)
	v_mov_b32_e32 v8, v3
	v_mov_b32_e32 v9, v7
	v_mov_b32_e32 v10, v6
	v_mov_b32_e32 v11, v5
.LBB1566_235:                           ;   in Loop: Header=BB1566_226 Depth=2
	s_waitcnt vmcnt(3)
	v_mov_b32_e32 v5, v11
	s_waitcnt vmcnt(2)
	v_mov_b32_e32 v6, v10
	;; [unrolled: 2-line block ×4, first 2 shown]
	v_cmp_gt_u32_e32 vcc, s20, v0
	s_and_saveexec_b64 s[16:17], vcc
	s_cbranch_execnz .LBB1566_239
; %bb.236:                              ;   in Loop: Header=BB1566_226 Depth=2
	s_or_b64 exec, exec, s[16:17]
	v_cmp_gt_u32_e32 vcc, s20, v19
	s_and_saveexec_b64 s[16:17], vcc
	s_cbranch_execnz .LBB1566_240
.LBB1566_237:                           ;   in Loop: Header=BB1566_226 Depth=2
	s_or_b64 exec, exec, s[16:17]
	v_cmp_gt_u32_e32 vcc, s20, v20
	s_and_saveexec_b64 s[16:17], vcc
	s_cbranch_execnz .LBB1566_241
.LBB1566_238:                           ;   in Loop: Header=BB1566_226 Depth=2
	s_or_b64 exec, exec, s[16:17]
	v_cmp_gt_u32_e32 vcc, s20, v21
	s_and_saveexec_b64 s[16:17], vcc
	s_cbranch_execz .LBB1566_225
	s_branch .LBB1566_242
.LBB1566_239:                           ;   in Loop: Header=BB1566_226 Depth=2
	v_xor_b32_e32 v8, -1, v3
	v_and_b32_e32 v8, 1, v8
	v_lshrrev_b32_sdwa v8, s73, v8 dst_sel:DWORD dst_unused:UNUSED_PAD src0_sel:DWORD src1_sel:WORD_0
	v_and_b32_e32 v8, s59, v8
	v_lshl_or_b32 v8, v8, 4, v24
	ds_add_u32 v8, v52
	s_or_b64 exec, exec, s[16:17]
	v_cmp_gt_u32_e32 vcc, s20, v19
	s_and_saveexec_b64 s[16:17], vcc
	s_cbranch_execz .LBB1566_237
.LBB1566_240:                           ;   in Loop: Header=BB1566_226 Depth=2
	v_xor_b32_e32 v8, -1, v7
	v_and_b32_e32 v8, 1, v8
	v_lshrrev_b32_sdwa v8, s73, v8 dst_sel:DWORD dst_unused:UNUSED_PAD src0_sel:DWORD src1_sel:WORD_0
	v_and_b32_e32 v8, s59, v8
	v_lshl_or_b32 v8, v8, 4, v24
	ds_add_u32 v8, v52
	s_or_b64 exec, exec, s[16:17]
	v_cmp_gt_u32_e32 vcc, s20, v20
	s_and_saveexec_b64 s[16:17], vcc
	s_cbranch_execz .LBB1566_238
.LBB1566_241:                           ;   in Loop: Header=BB1566_226 Depth=2
	v_xor_b32_e32 v8, -1, v6
	v_and_b32_e32 v8, 1, v8
	v_lshrrev_b32_sdwa v8, s73, v8 dst_sel:DWORD dst_unused:UNUSED_PAD src0_sel:DWORD src1_sel:WORD_0
	v_and_b32_e32 v8, s59, v8
	v_lshl_or_b32 v8, v8, 4, v24
	ds_add_u32 v8, v52
	s_or_b64 exec, exec, s[16:17]
	v_cmp_gt_u32_e32 vcc, s20, v21
	s_and_saveexec_b64 s[16:17], vcc
	s_cbranch_execz .LBB1566_225
.LBB1566_242:                           ;   in Loop: Header=BB1566_226 Depth=2
	v_xor_b32_e32 v8, -1, v5
	v_and_b32_e32 v8, 1, v8
	v_lshrrev_b32_sdwa v8, s73, v8 dst_sel:DWORD dst_unused:UNUSED_PAD src0_sel:DWORD src1_sel:WORD_0
	v_and_b32_e32 v8, s59, v8
	v_lshl_or_b32 v8, v8, 4, v24
	ds_add_u32 v8, v52
	s_branch .LBB1566_225
.LBB1566_243:                           ;   in Loop: Header=BB1566_226 Depth=2
	v_mov_b32_e32 v3, s21
	s_waitcnt vmcnt(0)
	v_add_co_u32_e32 v8, vcc, s20, v0
	v_addc_co_u32_e32 v9, vcc, 0, v3, vcc
	global_load_ubyte v3, v[8:9], off
	s_or_b64 exec, exec, s[16:17]
	v_cmp_gt_u32_e32 vcc, s18, v19
	s_and_saveexec_b64 s[16:17], vcc
	s_cbranch_execz .LBB1566_231
.LBB1566_244:                           ;   in Loop: Header=BB1566_226 Depth=2
	s_waitcnt vmcnt(0)
	v_mov_b32_e32 v8, s21
	v_add_co_u32_e32 v7, vcc, s20, v0
	v_addc_co_u32_e32 v8, vcc, 0, v8, vcc
	global_load_ubyte v7, v[7:8], off offset:256
	s_or_b64 exec, exec, s[16:17]
	v_cmp_gt_u32_e32 vcc, s18, v20
	s_and_saveexec_b64 s[16:17], vcc
	s_cbranch_execz .LBB1566_232
.LBB1566_245:                           ;   in Loop: Header=BB1566_226 Depth=2
	v_mov_b32_e32 v6, s21
	s_waitcnt vmcnt(0)
	v_add_co_u32_e32 v8, vcc, s20, v0
	v_addc_co_u32_e32 v9, vcc, 0, v6, vcc
	global_load_ubyte v6, v[8:9], off offset:512
	s_or_b64 exec, exec, s[16:17]
	v_cmp_gt_u32_e32 vcc, s18, v21
	s_and_saveexec_b64 s[16:17], vcc
	s_cbranch_execnz .LBB1566_233
	s_branch .LBB1566_234
.LBB1566_246:                           ;   in Loop: Header=BB1566_20 Depth=1
	v_mov_b32_e32 v3, 0
	s_waitcnt lgkmcnt(0)
	s_barrier
	s_and_saveexec_b64 s[16:17], s[4:5]
	s_cbranch_execz .LBB1566_248
; %bb.247:                              ;   in Loop: Header=BB1566_20 Depth=1
	ds_read2_b64 v[5:8], v25 offset1:1
	s_waitcnt lgkmcnt(0)
	v_add_u32_e32 v3, v6, v5
	v_add3_u32 v3, v3, v7, v8
.LBB1566_248:                           ;   in Loop: Header=BB1566_20 Depth=1
	s_or_b64 exec, exec, s[16:17]
	s_nop 0
	v_mov_b32_dpp v5, v3 row_shr:1 row_mask:0xf bank_mask:0xf
	v_cmp_eq_u32_e64 s[16:17], 0, v55
	v_cndmask_b32_e64 v5, v5, 0, s[16:17]
	v_add_u32_e32 v3, v5, v3
	v_cmp_lt_u32_e64 s[18:19], 1, v55
	v_cmp_lt_u32_e64 s[20:21], 3, v55
	v_mov_b32_dpp v5, v3 row_shr:2 row_mask:0xf bank_mask:0xf
	v_cndmask_b32_e64 v5, 0, v5, s[18:19]
	v_add_u32_e32 v3, v3, v5
	v_cmp_lt_u32_e64 s[22:23], 7, v55
	v_cmp_lt_u32_e64 s[26:27], 31, v44
	v_mov_b32_dpp v5, v3 row_shr:4 row_mask:0xf bank_mask:0xf
	v_cndmask_b32_e64 v5, 0, v5, s[20:21]
	v_add_u32_e32 v3, v3, v5
	v_cmp_eq_u32_e64 s[24:25], 0, v57
	s_nop 0
	v_mov_b32_dpp v5, v3 row_shr:8 row_mask:0xf bank_mask:0xf
	v_cndmask_b32_e64 v5, 0, v5, s[22:23]
	v_add_u32_e32 v3, v3, v5
	s_nop 1
	v_mov_b32_dpp v5, v3 row_bcast:15 row_mask:0xf bank_mask:0xf
	v_and_b32_e32 v5, v56, v5
	v_add_u32_e32 v3, v3, v5
	s_nop 1
	v_mov_b32_dpp v5, v3 row_bcast:31 row_mask:0xf bank_mask:0xf
	v_cndmask_b32_e64 v5, 0, v5, s[26:27]
	v_add_u32_e32 v3, v3, v5
	s_and_saveexec_b64 s[28:29], s[6:7]
; %bb.249:                              ;   in Loop: Header=BB1566_20 Depth=1
	ds_write_b32 v48, v3
; %bb.250:                              ;   in Loop: Header=BB1566_20 Depth=1
	s_or_b64 exec, exec, s[28:29]
	s_waitcnt lgkmcnt(0)
	s_barrier
	s_and_saveexec_b64 s[28:29], s[8:9]
	s_cbranch_execz .LBB1566_252
; %bb.251:                              ;   in Loop: Header=BB1566_20 Depth=1
	ds_read_b32 v5, v49
	v_cmp_ne_u32_e32 vcc, 0, v58
	s_waitcnt lgkmcnt(0)
	v_mov_b32_dpp v6, v5 row_shr:1 row_mask:0xf bank_mask:0xf
	v_cndmask_b32_e32 v6, 0, v6, vcc
	v_add_u32_e32 v5, v6, v5
	v_cmp_lt_u32_e32 vcc, 1, v58
	s_nop 0
	v_mov_b32_dpp v6, v5 row_shr:2 row_mask:0xf bank_mask:0xf
	v_cndmask_b32_e32 v6, 0, v6, vcc
	v_add_u32_e32 v5, v5, v6
	ds_write_b32 v49, v5
.LBB1566_252:                           ;   in Loop: Header=BB1566_20 Depth=1
	s_or_b64 exec, exec, s[28:29]
	v_mov_b32_e32 v5, 0
	s_waitcnt lgkmcnt(0)
	s_barrier
	s_and_saveexec_b64 s[28:29], s[10:11]
; %bb.253:                              ;   in Loop: Header=BB1566_20 Depth=1
	ds_read_b32 v5, v50
; %bb.254:                              ;   in Loop: Header=BB1566_20 Depth=1
	s_or_b64 exec, exec, s[28:29]
	v_subrev_co_u32_e64 v6, s[28:29], 1, v44
	v_cmp_lt_i32_e32 vcc, v6, v59
	v_cndmask_b32_e32 v6, v6, v44, vcc
	s_waitcnt lgkmcnt(0)
	v_add_u32_e32 v3, v5, v3
	v_lshlrev_b32_e32 v64, 2, v6
	ds_bpermute_b32 v3, v64, v3
	s_waitcnt lgkmcnt(0)
	s_barrier
	s_and_saveexec_b64 s[30:31], s[4:5]
; %bb.255:                              ;   in Loop: Header=BB1566_20 Depth=1
	v_cndmask_b32_e64 v3, v3, v5, s[28:29]
	v_add_u32_e32 v3, s49, v3
	ds_write_b32 v18, v3
; %bb.256:                              ;   in Loop: Header=BB1566_20 Depth=1
	s_or_b64 exec, exec, s[30:31]
	s_load_dwordx2 s[30:31], s[44:45], 0x0
	v_add_co_u32_e32 v65, vcc, v40, v60
	v_addc_co_u32_e32 v66, vcc, 0, v41, vcc
	s_waitcnt lgkmcnt(0)
	s_cmp_lt_u32 s33, s31
	s_cselect_b32 s31, 14, 20
	s_add_u32 s34, s44, s31
	s_addc_u32 s35, s45, 0
	s_cmp_lt_u32 s48, s30
	s_cselect_b32 s30, 12, 18
	s_add_u32 s30, s44, s30
	global_load_ushort v3, v4, s[34:35]
	s_addc_u32 s31, s45, 0
	global_load_ushort v5, v4, s[30:31]
	v_add_co_u32_e32 v67, vcc, v42, v45
	v_cmp_eq_u32_e64 s[30:31], 0, v58
	v_cmp_lt_u32_e64 s[34:35], 1, v58
	v_addc_co_u32_e32 v68, vcc, 0, v43, vcc
	s_mov_b32 s60, s75
	s_mov_b32 s46, s49
                                        ; implicit-def: $vgpr7_vgpr8
                                        ; implicit-def: $vgpr9_vgpr10
                                        ; implicit-def: $vgpr11_vgpr12
                                        ; implicit-def: $vgpr69
                                        ; implicit-def: $vgpr70
                                        ; implicit-def: $vgpr72
                                        ; implicit-def: $vgpr73
	s_waitcnt vmcnt(1)
	v_mad_u32_u24 v3, v2, v3, v1
	s_waitcnt vmcnt(0)
	v_mad_u64_u32 v[13:14], s[36:37], v3, v5, v[0:1]
                                        ; implicit-def: $vgpr5_vgpr6
	v_lshrrev_b32_e32 v3, 4, v13
	v_and_b32_e32 v71, 0xffffffc, v3
	s_branch .LBB1566_258
.LBB1566_257:                           ;   in Loop: Header=BB1566_258 Depth=2
	s_or_b64 exec, exec, s[36:37]
	s_addk_i32 s60, 0xfc00
	s_cmp_lt_u32 s61, s76
	s_mov_b32 s46, s61
	s_cbranch_scc0 .LBB1566_322
.LBB1566_258:                           ;   Parent Loop BB1566_20 Depth=1
                                        ; =>  This Inner Loop Header: Depth=2
	s_add_i32 s61, s46, 0x400
	s_cmp_gt_u32 s61, s76
	s_cbranch_scc1 .LBB1566_260
; %bb.259:                              ;   in Loop: Header=BB1566_258 Depth=2
	v_add_co_u32_e32 v13, vcc, s46, v67
	v_addc_co_u32_e32 v14, vcc, 0, v68, vcc
	global_load_ubyte v15, v[13:14], off offset:128
	global_load_ubyte v16, v[13:14], off offset:64
	global_load_ubyte v3, v[13:14], off
	s_mov_b64 s[36:37], -1
	s_movk_i32 s40, 0x400
                                        ; implicit-def: $vgpr17
	s_cbranch_execz .LBB1566_261
	s_branch .LBB1566_268
.LBB1566_260:                           ;   in Loop: Header=BB1566_258 Depth=2
	s_mov_b64 s[36:37], 0
                                        ; implicit-def: $vgpr3
                                        ; implicit-def: $vgpr16
                                        ; implicit-def: $vgpr15
	s_movk_i32 s40, 0x400
                                        ; implicit-def: $vgpr17
.LBB1566_261:                           ;   in Loop: Header=BB1566_258 Depth=2
	v_add_co_u32_e32 v13, vcc, s46, v67
	v_addc_co_u32_e32 v14, vcc, 0, v68, vcc
	v_cmp_gt_u32_e32 vcc, s60, v46
	s_waitcnt vmcnt(2)
	v_mov_b32_e32 v15, 0
	s_waitcnt vmcnt(0)
	v_mov_b32_e32 v3, 0
	v_mov_b32_e32 v17, 0
	s_and_saveexec_b64 s[36:37], vcc
	s_cbranch_execz .LBB1566_263
; %bb.262:                              ;   in Loop: Header=BB1566_258 Depth=2
	global_load_ubyte v3, v[13:14], off
	v_mov_b32_e32 v17, 0
.LBB1566_263:                           ;   in Loop: Header=BB1566_258 Depth=2
	s_or_b64 exec, exec, s[36:37]
	v_cmp_gt_u32_e32 vcc, s60, v61
	v_mov_b32_e32 v16, v15
	s_and_saveexec_b64 s[36:37], vcc
	s_cbranch_execz .LBB1566_265
; %bb.264:                              ;   in Loop: Header=BB1566_258 Depth=2
	global_load_ubyte v16, v[13:14], off offset:64
.LBB1566_265:                           ;   in Loop: Header=BB1566_258 Depth=2
	s_or_b64 exec, exec, s[36:37]
	v_cmp_gt_u32_e32 vcc, s60, v62
	s_and_saveexec_b64 s[36:37], vcc
	s_cbranch_execz .LBB1566_267
; %bb.266:                              ;   in Loop: Header=BB1566_258 Depth=2
	global_load_ubyte v15, v[13:14], off offset:128
.LBB1566_267:                           ;   in Loop: Header=BB1566_258 Depth=2
	s_or_b64 exec, exec, s[36:37]
	s_sub_i32 s40, s76, s46
	v_cmp_gt_u32_e64 s[36:37], s60, v63
.LBB1566_268:                           ;   in Loop: Header=BB1566_258 Depth=2
	v_mov_b32_e32 v74, s60
	s_and_saveexec_b64 s[38:39], s[36:37]
	s_cbranch_execz .LBB1566_270
; %bb.269:                              ;   in Loop: Header=BB1566_258 Depth=2
	v_mov_b32_e32 v14, s47
	v_add_co_u32_e32 v13, vcc, s46, v67
	v_addc_co_u32_e32 v14, vcc, v68, v14, vcc
	global_load_ubyte v17, v[13:14], off offset:192
	v_mov_b32_e32 v74, s40
.LBB1566_270:                           ;   in Loop: Header=BB1566_258 Depth=2
	s_or_b64 exec, exec, s[38:39]
	s_waitcnt vmcnt(0)
	v_and_b32_e32 v3, 1, v3
	v_and_b32_e32 v13, 1, v16
	v_cmp_eq_u32_e64 s[40:41], 1, v3
	v_cmp_eq_u32_e64 s[38:39], 1, v13
	v_and_b32_e32 v13, 1, v15
	s_xor_b64 s[40:41], s[40:41], -1
	v_cmp_eq_u32_e64 s[36:37], 1, v13
	v_and_b32_e32 v13, 1, v17
	v_cndmask_b32_e64 v17, 0, 1, s[40:41]
	v_lshrrev_b32_e32 v3, s73, v17
	v_and_b32_e32 v3, s59, v3
	v_mul_u32_u24_e32 v15, 20, v3
	v_cmp_ne_u32_e64 s[40:41], 0, v3
	v_add_co_u32_e64 v3, s[42:43], -1, v3
	v_cmp_eq_u32_e32 vcc, 1, v13
	v_addc_co_u32_e64 v13, s[42:43], 0, -1, s[42:43]
	v_xor_b32_e32 v13, s41, v13
	v_xor_b32_e32 v3, s40, v3
	v_and_b32_e32 v14, exec_hi, v13
	v_and_b32_e32 v13, exec_lo, v3
	v_mbcnt_lo_u32_b32 v3, v13, 0
	v_mbcnt_hi_u32_b32 v3, v14, v3
	v_cmp_ne_u64_e64 s[40:41], 0, v[13:14]
	v_cmp_eq_u32_e64 s[42:43], 0, v3
	s_and_b64 s[42:43], s[40:41], s[42:43]
	v_add_u32_e32 v75, v71, v15
	ds_write2_b32 v53, v4, v4 offset1:1
	ds_write2_b32 v54, v4, v4 offset1:1
	ds_write_b32 v27, v4 offset:1056
	s_waitcnt lgkmcnt(0)
	s_barrier
	; wave barrier
	s_and_saveexec_b64 s[40:41], s[42:43]
; %bb.271:                              ;   in Loop: Header=BB1566_258 Depth=2
	v_bcnt_u32_b32 v13, v13, 0
	v_bcnt_u32_b32 v13, v14, v13
	ds_write_b32 v75, v13 offset:1040
; %bb.272:                              ;   in Loop: Header=BB1566_258 Depth=2
	s_or_b64 exec, exec, s[40:41]
	s_xor_b64 s[38:39], s[38:39], -1
	v_cndmask_b32_e64 v76, 0, 1, s[38:39]
	v_lshrrev_b32_e32 v13, s73, v76
	v_and_b32_e32 v13, s59, v13
	v_mul_u32_u24_e32 v15, 20, v13
	v_mad_u32_u24 v14, v13, 20, v71
	v_cmp_ne_u32_e64 s[38:39], 0, v13
	v_add_co_u32_e64 v13, s[40:41], -1, v13
	; wave barrier
	ds_read_b32 v77, v14 offset:1040
	v_addc_co_u32_e64 v14, s[40:41], 0, -1, s[40:41]
	v_xor_b32_e32 v13, s38, v13
	v_xor_b32_e32 v14, s39, v14
	v_and_b32_e32 v13, exec_lo, v13
	v_and_b32_e32 v14, exec_hi, v14
	v_mbcnt_lo_u32_b32 v16, v13, 0
	v_mbcnt_hi_u32_b32 v78, v14, v16
	v_cmp_ne_u64_e64 s[38:39], 0, v[13:14]
	v_cmp_eq_u32_e64 s[40:41], 0, v78
	s_and_b64 s[40:41], s[38:39], s[40:41]
	v_add_u32_e32 v81, v71, v15
	; wave barrier
	s_and_saveexec_b64 s[38:39], s[40:41]
	s_cbranch_execz .LBB1566_274
; %bb.273:                              ;   in Loop: Header=BB1566_258 Depth=2
	v_bcnt_u32_b32 v13, v13, 0
	v_bcnt_u32_b32 v13, v14, v13
	s_waitcnt lgkmcnt(0)
	v_add_u32_e32 v13, v77, v13
	ds_write_b32 v81, v13 offset:1040
.LBB1566_274:                           ;   in Loop: Header=BB1566_258 Depth=2
	s_or_b64 exec, exec, s[38:39]
	s_xor_b64 s[36:37], s[36:37], -1
	v_cndmask_b32_e64 v79, 0, 1, s[36:37]
	v_lshrrev_b32_e32 v13, s73, v79
	v_and_b32_e32 v13, s59, v13
	v_mul_u32_u24_e32 v15, 20, v13
	v_mad_u32_u24 v14, v13, 20, v71
	v_cmp_ne_u32_e64 s[36:37], 0, v13
	v_add_co_u32_e64 v13, s[38:39], -1, v13
	; wave barrier
	ds_read_b32 v80, v14 offset:1040
	v_addc_co_u32_e64 v14, s[38:39], 0, -1, s[38:39]
	v_xor_b32_e32 v13, s36, v13
	v_xor_b32_e32 v14, s37, v14
	v_and_b32_e32 v13, exec_lo, v13
	v_and_b32_e32 v14, exec_hi, v14
	v_mbcnt_lo_u32_b32 v16, v13, 0
	v_mbcnt_hi_u32_b32 v82, v14, v16
	v_cmp_ne_u64_e64 s[36:37], 0, v[13:14]
	v_cmp_eq_u32_e64 s[38:39], 0, v82
	s_and_b64 s[38:39], s[36:37], s[38:39]
	v_add_u32_e32 v85, v71, v15
	; wave barrier
	s_and_saveexec_b64 s[36:37], s[38:39]
	s_cbranch_execz .LBB1566_276
; %bb.275:                              ;   in Loop: Header=BB1566_258 Depth=2
	v_bcnt_u32_b32 v13, v13, 0
	v_bcnt_u32_b32 v13, v14, v13
	s_waitcnt lgkmcnt(0)
	v_add_u32_e32 v13, v80, v13
	ds_write_b32 v85, v13 offset:1040
.LBB1566_276:                           ;   in Loop: Header=BB1566_258 Depth=2
	s_or_b64 exec, exec, s[36:37]
	s_xor_b64 s[36:37], vcc, -1
	v_cndmask_b32_e64 v83, 0, 1, s[36:37]
	v_lshrrev_b32_e32 v13, s73, v83
	v_and_b32_e32 v13, s59, v13
	v_mul_u32_u24_e32 v15, 20, v13
	v_mad_u32_u24 v14, v13, 20, v71
	v_cmp_ne_u32_e32 vcc, 0, v13
	v_add_co_u32_e64 v13, s[36:37], -1, v13
	; wave barrier
	ds_read_b32 v84, v14 offset:1040
	v_addc_co_u32_e64 v14, s[36:37], 0, -1, s[36:37]
	v_xor_b32_e32 v13, vcc_lo, v13
	v_xor_b32_e32 v14, vcc_hi, v14
	v_and_b32_e32 v13, exec_lo, v13
	v_and_b32_e32 v14, exec_hi, v14
	v_mbcnt_lo_u32_b32 v16, v13, 0
	v_mbcnt_hi_u32_b32 v86, v14, v16
	v_cmp_ne_u64_e32 vcc, 0, v[13:14]
	v_cmp_eq_u32_e64 s[36:37], 0, v86
	s_and_b64 s[38:39], vcc, s[36:37]
	v_add_u32_e32 v87, v71, v15
	; wave barrier
	s_and_saveexec_b64 s[36:37], s[38:39]
	s_cbranch_execz .LBB1566_278
; %bb.277:                              ;   in Loop: Header=BB1566_258 Depth=2
	v_bcnt_u32_b32 v13, v13, 0
	v_bcnt_u32_b32 v13, v14, v13
	s_waitcnt lgkmcnt(0)
	v_add_u32_e32 v13, v84, v13
	ds_write_b32 v87, v13 offset:1040
.LBB1566_278:                           ;   in Loop: Header=BB1566_258 Depth=2
	s_or_b64 exec, exec, s[36:37]
	; wave barrier
	s_waitcnt lgkmcnt(0)
	s_barrier
	ds_read2_b32 v[15:16], v53 offset1:1
	ds_read2_b32 v[13:14], v54 offset1:1
	ds_read_b32 v88, v27 offset:1056
	s_waitcnt lgkmcnt(1)
	v_add3_u32 v89, v16, v15, v13
	s_waitcnt lgkmcnt(0)
	v_add3_u32 v88, v89, v14, v88
	s_nop 1
	v_mov_b32_dpp v89, v88 row_shr:1 row_mask:0xf bank_mask:0xf
	v_cndmask_b32_e64 v89, v89, 0, s[16:17]
	v_add_u32_e32 v88, v89, v88
	s_nop 1
	v_mov_b32_dpp v89, v88 row_shr:2 row_mask:0xf bank_mask:0xf
	v_cndmask_b32_e64 v89, 0, v89, s[18:19]
	v_add_u32_e32 v88, v88, v89
	;; [unrolled: 4-line block ×4, first 2 shown]
	s_nop 1
	v_mov_b32_dpp v89, v88 row_bcast:15 row_mask:0xf bank_mask:0xf
	v_cndmask_b32_e64 v89, v89, 0, s[24:25]
	v_add_u32_e32 v88, v88, v89
	s_nop 1
	v_mov_b32_dpp v89, v88 row_bcast:31 row_mask:0xf bank_mask:0xf
	v_cndmask_b32_e64 v89, 0, v89, s[26:27]
	v_add_u32_e32 v88, v88, v89
	s_and_saveexec_b64 s[36:37], s[6:7]
; %bb.279:                              ;   in Loop: Header=BB1566_258 Depth=2
	ds_write_b32 v26, v88 offset:1024
; %bb.280:                              ;   in Loop: Header=BB1566_258 Depth=2
	s_or_b64 exec, exec, s[36:37]
	s_waitcnt lgkmcnt(0)
	s_barrier
	s_and_saveexec_b64 s[36:37], s[8:9]
	s_cbranch_execz .LBB1566_282
; %bb.281:                              ;   in Loop: Header=BB1566_258 Depth=2
	ds_read_b32 v89, v47 offset:1024
	s_waitcnt lgkmcnt(0)
	s_nop 0
	v_mov_b32_dpp v90, v89 row_shr:1 row_mask:0xf bank_mask:0xf
	v_cndmask_b32_e64 v90, v90, 0, s[30:31]
	v_add_u32_e32 v89, v90, v89
	s_nop 1
	v_mov_b32_dpp v90, v89 row_shr:2 row_mask:0xf bank_mask:0xf
	v_cndmask_b32_e64 v90, 0, v90, s[34:35]
	v_add_u32_e32 v89, v89, v90
	ds_write_b32 v47, v89 offset:1024
.LBB1566_282:                           ;   in Loop: Header=BB1566_258 Depth=2
	s_or_b64 exec, exec, s[36:37]
	v_mov_b32_e32 v89, 0
	s_waitcnt lgkmcnt(0)
	s_barrier
	s_and_saveexec_b64 s[36:37], s[10:11]
; %bb.283:                              ;   in Loop: Header=BB1566_258 Depth=2
	ds_read_b32 v89, v26 offset:1020
; %bb.284:                              ;   in Loop: Header=BB1566_258 Depth=2
	s_or_b64 exec, exec, s[36:37]
	s_waitcnt lgkmcnt(0)
	v_add_u32_e32 v88, v89, v88
	ds_bpermute_b32 v88, v64, v88
	s_waitcnt lgkmcnt(0)
	v_cndmask_b32_e64 v88, v88, v89, s[28:29]
	v_cndmask_b32_e64 v88, v88, 0, s[12:13]
	v_add_u32_e32 v15, v88, v15
	v_add_u32_e32 v16, v15, v16
	;; [unrolled: 1-line block ×4, first 2 shown]
	ds_write2_b32 v53, v88, v15 offset1:1
	ds_write2_b32 v54, v16, v13 offset1:1
	ds_write_b32 v27, v14 offset:1056
	s_waitcnt lgkmcnt(0)
	s_barrier
	ds_read_b32 v13, v75 offset:1040
	ds_read_b32 v14, v81 offset:1040
	;; [unrolled: 1-line block ×5, first 2 shown]
	v_mov_b32_e32 v75, 0x400
	s_and_saveexec_b64 s[36:37], s[14:15]
; %bb.285:                              ;   in Loop: Header=BB1566_258 Depth=2
	ds_read_b32 v75, v27 offset:1060
; %bb.286:                              ;   in Loop: Header=BB1566_258 Depth=2
	s_or_b64 exec, exec, s[36:37]
	s_waitcnt lgkmcnt(0)
	s_barrier
	s_and_saveexec_b64 s[36:37], s[4:5]
	s_cbranch_execz .LBB1566_288
; %bb.287:                              ;   in Loop: Header=BB1566_258 Depth=2
	ds_read_b32 v85, v18
	s_waitcnt lgkmcnt(0)
	v_sub_u32_e32 v15, v85, v15
	ds_write_b32 v18, v15
.LBB1566_288:                           ;   in Loop: Header=BB1566_258 Depth=2
	s_or_b64 exec, exec, s[36:37]
	v_add_u32_e32 v15, v13, v3
	v_add3_u32 v14, v78, v77, v14
	v_add3_u32 v13, v82, v80, v16
	;; [unrolled: 1-line block ×3, first 2 shown]
	v_cmp_lt_u32_e64 s[40:41], v0, v74
	ds_write_b8 v15, v17 offset:1024
	ds_write_b8 v14, v76 offset:1024
	;; [unrolled: 1-line block ×4, first 2 shown]
	s_waitcnt lgkmcnt(0)
	s_barrier
	s_and_saveexec_b64 s[36:37], s[40:41]
	s_cbranch_execnz .LBB1566_309
; %bb.289:                              ;   in Loop: Header=BB1566_258 Depth=2
	s_or_b64 exec, exec, s[36:37]
	v_cmp_lt_u32_e64 s[38:39], v19, v74
	s_and_saveexec_b64 s[36:37], s[38:39]
	s_cbranch_execnz .LBB1566_310
.LBB1566_290:                           ;   in Loop: Header=BB1566_258 Depth=2
	s_or_b64 exec, exec, s[36:37]
	v_cmp_lt_u32_e64 s[36:37], v20, v74
	s_and_saveexec_b64 s[42:43], s[36:37]
	s_cbranch_execnz .LBB1566_311
.LBB1566_291:                           ;   in Loop: Header=BB1566_258 Depth=2
	s_or_b64 exec, exec, s[42:43]
	v_cmp_lt_u32_e32 vcc, v21, v74
	s_and_saveexec_b64 s[42:43], vcc
	s_cbranch_execz .LBB1566_293
.LBB1566_292:                           ;   in Loop: Header=BB1566_258 Depth=2
	ds_read_u8 v16, v0 offset:1792
	s_waitcnt lgkmcnt(0)
	v_and_b32_e32 v17, 1, v16
	v_lshrrev_b32_e32 v17, s73, v17
	v_and_b32_e32 v17, s59, v17
	v_lshlrev_b32_e32 v17, 2, v17
	ds_read_b32 v17, v17
	v_xor_b32_e32 v16, 1, v16
	s_waitcnt lgkmcnt(0)
	v_add_u32_e32 v17, v17, v21
	global_store_byte v17, v16, s[66:67]
.LBB1566_293:                           ;   in Loop: Header=BB1566_258 Depth=2
	s_or_b64 exec, exec, s[42:43]
	s_lshl_b64 s[42:43], s[46:47], 3
	v_mov_b32_e32 v17, s43
	v_add_co_u32_e64 v16, s[42:43], s42, v65
	v_addc_co_u32_e64 v17, s[42:43], v66, v17, s[42:43]
	v_cmp_lt_u32_e64 s[42:43], v46, v74
	s_and_saveexec_b64 s[56:57], s[42:43]
	s_xor_b64 s[42:43], exec, s[56:57]
	s_cbranch_execnz .LBB1566_312
; %bb.294:                              ;   in Loop: Header=BB1566_258 Depth=2
	s_or_b64 exec, exec, s[42:43]
	v_cmp_lt_u32_e64 s[42:43], v61, v74
	s_and_saveexec_b64 s[56:57], s[42:43]
	s_cbranch_execnz .LBB1566_313
.LBB1566_295:                           ;   in Loop: Header=BB1566_258 Depth=2
	s_or_b64 exec, exec, s[56:57]
	v_cmp_lt_u32_e64 s[42:43], v62, v74
	s_and_saveexec_b64 s[56:57], s[42:43]
	s_cbranch_execnz .LBB1566_314
.LBB1566_296:                           ;   in Loop: Header=BB1566_258 Depth=2
	s_or_b64 exec, exec, s[56:57]
	v_cmp_lt_u32_e64 s[42:43], v63, v74
	s_and_saveexec_b64 s[56:57], s[42:43]
	s_cbranch_execnz .LBB1566_315
.LBB1566_297:                           ;   in Loop: Header=BB1566_258 Depth=2
	s_or_b64 exec, exec, s[56:57]
	s_and_saveexec_b64 s[42:43], s[40:41]
	s_cbranch_execnz .LBB1566_316
.LBB1566_298:                           ;   in Loop: Header=BB1566_258 Depth=2
	s_or_b64 exec, exec, s[42:43]
	s_and_saveexec_b64 s[42:43], s[38:39]
	s_cbranch_execnz .LBB1566_317
.LBB1566_299:                           ;   in Loop: Header=BB1566_258 Depth=2
	s_or_b64 exec, exec, s[42:43]
	s_and_saveexec_b64 s[42:43], s[36:37]
	s_cbranch_execnz .LBB1566_318
.LBB1566_300:                           ;   in Loop: Header=BB1566_258 Depth=2
	s_or_b64 exec, exec, s[42:43]
	s_and_saveexec_b64 s[42:43], vcc
	s_cbranch_execz .LBB1566_302
.LBB1566_301:                           ;   in Loop: Header=BB1566_258 Depth=2
	ds_read_u8 v16, v0 offset:1792
	s_waitcnt lgkmcnt(0)
	v_lshrrev_b32_e32 v16, s73, v16
	v_and_b32_e32 v69, s59, v16
.LBB1566_302:                           ;   in Loop: Header=BB1566_258 Depth=2
	s_or_b64 exec, exec, s[42:43]
	v_mad_u64_u32 v[15:16], s[42:43], v15, 7, v[15:16]
	v_mad_u64_u32 v[76:77], s[42:43], v3, 7, v[3:4]
	;; [unrolled: 1-line block ×4, first 2 shown]
	s_waitcnt vmcnt(0)
	s_barrier
	ds_write_b64 v15, v[11:12] offset:1024
	ds_write_b64 v16, v[9:10] offset:1024
	;; [unrolled: 1-line block ×4, first 2 shown]
	s_waitcnt lgkmcnt(0)
	s_barrier
	s_and_saveexec_b64 s[42:43], s[40:41]
	s_cbranch_execnz .LBB1566_319
; %bb.303:                              ;   in Loop: Header=BB1566_258 Depth=2
	s_or_b64 exec, exec, s[42:43]
	s_and_saveexec_b64 s[40:41], s[38:39]
	s_cbranch_execnz .LBB1566_320
.LBB1566_304:                           ;   in Loop: Header=BB1566_258 Depth=2
	s_or_b64 exec, exec, s[40:41]
	s_and_saveexec_b64 s[38:39], s[36:37]
	s_cbranch_execnz .LBB1566_321
.LBB1566_305:                           ;   in Loop: Header=BB1566_258 Depth=2
	s_or_b64 exec, exec, s[38:39]
	s_and_saveexec_b64 s[36:37], vcc
	s_cbranch_execz .LBB1566_307
.LBB1566_306:                           ;   in Loop: Header=BB1566_258 Depth=2
	v_lshlrev_b32_e32 v3, 2, v69
	ds_read_b32 v3, v3
	v_add_u32_e32 v13, v0, v51
	ds_read_b64 v[13:14], v13 offset:7168
	v_mov_b32_e32 v17, s53
	s_waitcnt lgkmcnt(1)
	v_add_u32_e32 v3, v3, v21
	v_lshlrev_b64 v[15:16], 3, v[3:4]
	v_add_co_u32_e32 v15, vcc, s52, v15
	v_addc_co_u32_e32 v16, vcc, v17, v16, vcc
	s_waitcnt lgkmcnt(0)
	global_store_dwordx2 v[15:16], v[13:14], off
.LBB1566_307:                           ;   in Loop: Header=BB1566_258 Depth=2
	s_or_b64 exec, exec, s[36:37]
	s_waitcnt vmcnt(0)
	s_barrier
	s_and_saveexec_b64 s[36:37], s[4:5]
	s_cbranch_execz .LBB1566_257
; %bb.308:                              ;   in Loop: Header=BB1566_258 Depth=2
	ds_read_b32 v3, v18
	s_waitcnt lgkmcnt(0)
	v_add_u32_e32 v3, v3, v75
	ds_write_b32 v18, v3
	s_branch .LBB1566_257
.LBB1566_309:                           ;   in Loop: Header=BB1566_258 Depth=2
	ds_read_u8 v16, v0 offset:1024
	s_waitcnt lgkmcnt(0)
	v_and_b32_e32 v17, 1, v16
	v_lshrrev_b32_e32 v17, s73, v17
	v_and_b32_e32 v17, s59, v17
	v_lshlrev_b32_e32 v17, 2, v17
	ds_read_b32 v17, v17
	v_xor_b32_e32 v16, 1, v16
	s_waitcnt lgkmcnt(0)
	v_add_u32_e32 v17, v17, v0
	global_store_byte v17, v16, s[66:67]
	s_or_b64 exec, exec, s[36:37]
	v_cmp_lt_u32_e64 s[38:39], v19, v74
	s_and_saveexec_b64 s[36:37], s[38:39]
	s_cbranch_execz .LBB1566_290
.LBB1566_310:                           ;   in Loop: Header=BB1566_258 Depth=2
	ds_read_u8 v16, v0 offset:1280
	s_waitcnt lgkmcnt(0)
	v_and_b32_e32 v17, 1, v16
	v_lshrrev_b32_e32 v17, s73, v17
	v_and_b32_e32 v17, s59, v17
	v_lshlrev_b32_e32 v17, 2, v17
	ds_read_b32 v17, v17
	v_xor_b32_e32 v16, 1, v16
	s_waitcnt lgkmcnt(0)
	v_add_u32_e32 v17, v17, v19
	global_store_byte v17, v16, s[66:67]
	s_or_b64 exec, exec, s[36:37]
	v_cmp_lt_u32_e64 s[36:37], v20, v74
	s_and_saveexec_b64 s[42:43], s[36:37]
	s_cbranch_execz .LBB1566_291
.LBB1566_311:                           ;   in Loop: Header=BB1566_258 Depth=2
	ds_read_u8 v16, v0 offset:1536
	s_waitcnt lgkmcnt(0)
	v_and_b32_e32 v17, 1, v16
	v_lshrrev_b32_e32 v17, s73, v17
	v_and_b32_e32 v17, s59, v17
	v_lshlrev_b32_e32 v17, 2, v17
	ds_read_b32 v17, v17
	v_xor_b32_e32 v16, 1, v16
	s_waitcnt lgkmcnt(0)
	v_add_u32_e32 v17, v17, v20
	global_store_byte v17, v16, s[66:67]
	s_or_b64 exec, exec, s[42:43]
	v_cmp_lt_u32_e32 vcc, v21, v74
	s_and_saveexec_b64 s[42:43], vcc
	s_cbranch_execnz .LBB1566_292
	s_branch .LBB1566_293
.LBB1566_312:                           ;   in Loop: Header=BB1566_258 Depth=2
	global_load_dwordx2 v[11:12], v[16:17], off
	s_or_b64 exec, exec, s[42:43]
	v_cmp_lt_u32_e64 s[42:43], v61, v74
	s_and_saveexec_b64 s[56:57], s[42:43]
	s_cbranch_execz .LBB1566_295
.LBB1566_313:                           ;   in Loop: Header=BB1566_258 Depth=2
	global_load_dwordx2 v[9:10], v[16:17], off offset:512
	s_or_b64 exec, exec, s[56:57]
	v_cmp_lt_u32_e64 s[42:43], v62, v74
	s_and_saveexec_b64 s[56:57], s[42:43]
	s_cbranch_execz .LBB1566_296
.LBB1566_314:                           ;   in Loop: Header=BB1566_258 Depth=2
	global_load_dwordx2 v[7:8], v[16:17], off offset:1024
	s_or_b64 exec, exec, s[56:57]
	v_cmp_lt_u32_e64 s[42:43], v63, v74
	s_and_saveexec_b64 s[56:57], s[42:43]
	s_cbranch_execz .LBB1566_297
.LBB1566_315:                           ;   in Loop: Header=BB1566_258 Depth=2
	global_load_dwordx2 v[5:6], v[16:17], off offset:1536
	s_or_b64 exec, exec, s[56:57]
	s_and_saveexec_b64 s[42:43], s[40:41]
	s_cbranch_execz .LBB1566_298
.LBB1566_316:                           ;   in Loop: Header=BB1566_258 Depth=2
	ds_read_u8 v16, v0 offset:1024
	s_waitcnt lgkmcnt(0)
	v_lshrrev_b32_e32 v16, s73, v16
	v_and_b32_e32 v73, s59, v16
	s_or_b64 exec, exec, s[42:43]
	s_and_saveexec_b64 s[42:43], s[38:39]
	s_cbranch_execz .LBB1566_299
.LBB1566_317:                           ;   in Loop: Header=BB1566_258 Depth=2
	ds_read_u8 v16, v0 offset:1280
	s_waitcnt lgkmcnt(0)
	v_lshrrev_b32_e32 v16, s73, v16
	v_and_b32_e32 v72, s59, v16
	s_or_b64 exec, exec, s[42:43]
	s_and_saveexec_b64 s[42:43], s[36:37]
	s_cbranch_execz .LBB1566_300
.LBB1566_318:                           ;   in Loop: Header=BB1566_258 Depth=2
	ds_read_u8 v16, v0 offset:1536
	s_waitcnt lgkmcnt(0)
	v_lshrrev_b32_e32 v16, s73, v16
	v_and_b32_e32 v70, s59, v16
	s_or_b64 exec, exec, s[42:43]
	s_and_saveexec_b64 s[42:43], vcc
	s_cbranch_execnz .LBB1566_301
	s_branch .LBB1566_302
.LBB1566_319:                           ;   in Loop: Header=BB1566_258 Depth=2
	v_lshlrev_b32_e32 v3, 2, v73
	ds_read_b32 v3, v3
	v_add_u32_e32 v13, v0, v51
	ds_read_b64 v[13:14], v13 offset:1024
	v_mov_b32_e32 v17, s53
	s_waitcnt lgkmcnt(1)
	v_add_u32_e32 v3, v3, v0
	v_lshlrev_b64 v[15:16], 3, v[3:4]
	v_add_co_u32_e64 v15, s[40:41], s52, v15
	v_addc_co_u32_e64 v16, s[40:41], v17, v16, s[40:41]
	s_waitcnt lgkmcnt(0)
	global_store_dwordx2 v[15:16], v[13:14], off
	s_or_b64 exec, exec, s[42:43]
	s_and_saveexec_b64 s[40:41], s[38:39]
	s_cbranch_execz .LBB1566_304
.LBB1566_320:                           ;   in Loop: Header=BB1566_258 Depth=2
	v_lshlrev_b32_e32 v3, 2, v72
	ds_read_b32 v3, v3
	v_add_u32_e32 v13, v0, v51
	ds_read_b64 v[13:14], v13 offset:3072
	v_mov_b32_e32 v17, s53
	s_waitcnt lgkmcnt(1)
	v_add_u32_e32 v3, v3, v19
	v_lshlrev_b64 v[15:16], 3, v[3:4]
	v_add_co_u32_e64 v15, s[38:39], s52, v15
	v_addc_co_u32_e64 v16, s[38:39], v17, v16, s[38:39]
	s_waitcnt lgkmcnt(0)
	global_store_dwordx2 v[15:16], v[13:14], off
	s_or_b64 exec, exec, s[40:41]
	s_and_saveexec_b64 s[38:39], s[36:37]
	s_cbranch_execz .LBB1566_305
.LBB1566_321:                           ;   in Loop: Header=BB1566_258 Depth=2
	v_lshlrev_b32_e32 v3, 2, v70
	ds_read_b32 v3, v3
	v_add_u32_e32 v13, v0, v51
	ds_read_b64 v[13:14], v13 offset:5120
	v_mov_b32_e32 v17, s53
	s_waitcnt lgkmcnt(1)
	v_add_u32_e32 v3, v3, v20
	v_lshlrev_b64 v[15:16], 3, v[3:4]
	v_add_co_u32_e64 v15, s[36:37], s52, v15
	v_addc_co_u32_e64 v16, s[36:37], v17, v16, s[36:37]
	s_waitcnt lgkmcnt(0)
	global_store_dwordx2 v[15:16], v[13:14], off
	s_or_b64 exec, exec, s[38:39]
	s_and_saveexec_b64 s[36:37], vcc
	s_cbranch_execnz .LBB1566_306
	s_branch .LBB1566_307
.LBB1566_322:                           ;   in Loop: Header=BB1566_20 Depth=1
	s_waitcnt lgkmcnt(0)
	s_barrier
	s_mov_b64 s[16:17], 0
.LBB1566_323:                           ;   in Loop: Header=BB1566_20 Depth=1
	s_and_b64 vcc, exec, s[16:17]
	s_cbranch_vccz .LBB1566_19
; %bb.324:                              ;   in Loop: Header=BB1566_20 Depth=1
	v_mov_b32_e32 v3, 0
	s_mov_b32 s18, s75
	s_mov_b32 s21, s49
	v_mov_b32_e32 v7, 0
	v_mov_b32_e32 v6, 0
	;; [unrolled: 1-line block ×3, first 2 shown]
	s_barrier
	s_branch .LBB1566_326
.LBB1566_325:                           ;   in Loop: Header=BB1566_326 Depth=2
	s_or_b64 exec, exec, s[16:17]
	s_addk_i32 s18, 0xfc00
	s_cmp_ge_u32 s19, s76
	s_mov_b32 s21, s19
	s_cbranch_scc1 .LBB1566_346
.LBB1566_326:                           ;   Parent Loop BB1566_20 Depth=1
                                        ; =>  This Inner Loop Header: Depth=2
	s_add_i32 s19, s21, 0x400
	s_cmp_gt_u32 s19, s76
	s_mov_b64 s[16:17], -1
                                        ; implicit-def: $vgpr8
                                        ; implicit-def: $vgpr9
                                        ; implicit-def: $vgpr10
                                        ; implicit-def: $vgpr11
	s_cbranch_scc1 .LBB1566_328
; %bb.327:                              ;   in Loop: Header=BB1566_326 Depth=2
	v_add_co_u32_e32 v12, vcc, s21, v38
	v_addc_co_u32_e32 v13, vcc, 0, v39, vcc
	global_load_ubyte v11, v[12:13], off offset:768
	global_load_ubyte v10, v[12:13], off offset:512
	;; [unrolled: 1-line block ×3, first 2 shown]
	global_load_ubyte v8, v[12:13], off
	s_mov_b64 s[16:17], 0
.LBB1566_328:                           ;   in Loop: Header=BB1566_326 Depth=2
	s_andn2_b64 vcc, exec, s[16:17]
	s_movk_i32 s20, 0x400
	s_cbranch_vccnz .LBB1566_335
; %bb.329:                              ;   in Loop: Header=BB1566_326 Depth=2
	s_add_u32 s20, s64, s21
	s_addc_u32 s21, s65, 0
	v_cmp_gt_u32_e32 vcc, s18, v0
	s_and_saveexec_b64 s[16:17], vcc
	s_cbranch_execnz .LBB1566_343
; %bb.330:                              ;   in Loop: Header=BB1566_326 Depth=2
	s_or_b64 exec, exec, s[16:17]
	v_cmp_gt_u32_e32 vcc, s18, v19
	s_and_saveexec_b64 s[16:17], vcc
	s_cbranch_execnz .LBB1566_344
.LBB1566_331:                           ;   in Loop: Header=BB1566_326 Depth=2
	s_or_b64 exec, exec, s[16:17]
	v_cmp_gt_u32_e32 vcc, s18, v20
	s_and_saveexec_b64 s[16:17], vcc
	s_cbranch_execnz .LBB1566_345
.LBB1566_332:                           ;   in Loop: Header=BB1566_326 Depth=2
	s_or_b64 exec, exec, s[16:17]
	v_cmp_gt_u32_e32 vcc, s18, v21
	s_and_saveexec_b64 s[16:17], vcc
	s_cbranch_execz .LBB1566_334
.LBB1566_333:                           ;   in Loop: Header=BB1566_326 Depth=2
	v_mov_b32_e32 v5, s21
	s_waitcnt vmcnt(0)
	v_add_co_u32_e32 v8, vcc, s20, v0
	v_addc_co_u32_e32 v9, vcc, 0, v5, vcc
	global_load_ubyte v5, v[8:9], off offset:768
.LBB1566_334:                           ;   in Loop: Header=BB1566_326 Depth=2
	s_or_b64 exec, exec, s[16:17]
	s_mov_b32 s20, s18
	s_waitcnt vmcnt(0)
	v_mov_b32_e32 v8, v3
	v_mov_b32_e32 v9, v7
	;; [unrolled: 1-line block ×4, first 2 shown]
.LBB1566_335:                           ;   in Loop: Header=BB1566_326 Depth=2
	s_waitcnt vmcnt(3)
	v_mov_b32_e32 v5, v11
	s_waitcnt vmcnt(2)
	v_mov_b32_e32 v6, v10
	;; [unrolled: 2-line block ×4, first 2 shown]
	v_cmp_gt_u32_e32 vcc, s20, v0
	s_and_saveexec_b64 s[16:17], vcc
	s_cbranch_execnz .LBB1566_339
; %bb.336:                              ;   in Loop: Header=BB1566_326 Depth=2
	s_or_b64 exec, exec, s[16:17]
	v_cmp_gt_u32_e32 vcc, s20, v19
	s_and_saveexec_b64 s[16:17], vcc
	s_cbranch_execnz .LBB1566_340
.LBB1566_337:                           ;   in Loop: Header=BB1566_326 Depth=2
	s_or_b64 exec, exec, s[16:17]
	v_cmp_gt_u32_e32 vcc, s20, v20
	s_and_saveexec_b64 s[16:17], vcc
	s_cbranch_execnz .LBB1566_341
.LBB1566_338:                           ;   in Loop: Header=BB1566_326 Depth=2
	s_or_b64 exec, exec, s[16:17]
	v_cmp_gt_u32_e32 vcc, s20, v21
	s_and_saveexec_b64 s[16:17], vcc
	s_cbranch_execz .LBB1566_325
	s_branch .LBB1566_342
.LBB1566_339:                           ;   in Loop: Header=BB1566_326 Depth=2
	v_xor_b32_e32 v8, -1, v3
	v_and_b32_e32 v8, 1, v8
	v_lshrrev_b32_sdwa v8, s73, v8 dst_sel:DWORD dst_unused:UNUSED_PAD src0_sel:DWORD src1_sel:WORD_0
	v_and_b32_e32 v8, s59, v8
	v_lshl_or_b32 v8, v8, 4, v24
	ds_add_u32 v8, v52
	s_or_b64 exec, exec, s[16:17]
	v_cmp_gt_u32_e32 vcc, s20, v19
	s_and_saveexec_b64 s[16:17], vcc
	s_cbranch_execz .LBB1566_337
.LBB1566_340:                           ;   in Loop: Header=BB1566_326 Depth=2
	v_xor_b32_e32 v8, -1, v7
	v_and_b32_e32 v8, 1, v8
	v_lshrrev_b32_sdwa v8, s73, v8 dst_sel:DWORD dst_unused:UNUSED_PAD src0_sel:DWORD src1_sel:WORD_0
	v_and_b32_e32 v8, s59, v8
	v_lshl_or_b32 v8, v8, 4, v24
	ds_add_u32 v8, v52
	s_or_b64 exec, exec, s[16:17]
	v_cmp_gt_u32_e32 vcc, s20, v20
	s_and_saveexec_b64 s[16:17], vcc
	s_cbranch_execz .LBB1566_338
.LBB1566_341:                           ;   in Loop: Header=BB1566_326 Depth=2
	v_xor_b32_e32 v8, -1, v6
	v_and_b32_e32 v8, 1, v8
	v_lshrrev_b32_sdwa v8, s73, v8 dst_sel:DWORD dst_unused:UNUSED_PAD src0_sel:DWORD src1_sel:WORD_0
	v_and_b32_e32 v8, s59, v8
	v_lshl_or_b32 v8, v8, 4, v24
	ds_add_u32 v8, v52
	s_or_b64 exec, exec, s[16:17]
	v_cmp_gt_u32_e32 vcc, s20, v21
	s_and_saveexec_b64 s[16:17], vcc
	s_cbranch_execz .LBB1566_325
.LBB1566_342:                           ;   in Loop: Header=BB1566_326 Depth=2
	v_xor_b32_e32 v8, -1, v5
	v_and_b32_e32 v8, 1, v8
	v_lshrrev_b32_sdwa v8, s73, v8 dst_sel:DWORD dst_unused:UNUSED_PAD src0_sel:DWORD src1_sel:WORD_0
	v_and_b32_e32 v8, s59, v8
	v_lshl_or_b32 v8, v8, 4, v24
	ds_add_u32 v8, v52
	s_branch .LBB1566_325
.LBB1566_343:                           ;   in Loop: Header=BB1566_326 Depth=2
	v_mov_b32_e32 v3, s21
	s_waitcnt vmcnt(0)
	v_add_co_u32_e32 v8, vcc, s20, v0
	v_addc_co_u32_e32 v9, vcc, 0, v3, vcc
	global_load_ubyte v3, v[8:9], off
	s_or_b64 exec, exec, s[16:17]
	v_cmp_gt_u32_e32 vcc, s18, v19
	s_and_saveexec_b64 s[16:17], vcc
	s_cbranch_execz .LBB1566_331
.LBB1566_344:                           ;   in Loop: Header=BB1566_326 Depth=2
	s_waitcnt vmcnt(0)
	v_mov_b32_e32 v8, s21
	v_add_co_u32_e32 v7, vcc, s20, v0
	v_addc_co_u32_e32 v8, vcc, 0, v8, vcc
	global_load_ubyte v7, v[7:8], off offset:256
	s_or_b64 exec, exec, s[16:17]
	v_cmp_gt_u32_e32 vcc, s18, v20
	s_and_saveexec_b64 s[16:17], vcc
	s_cbranch_execz .LBB1566_332
.LBB1566_345:                           ;   in Loop: Header=BB1566_326 Depth=2
	v_mov_b32_e32 v6, s21
	s_waitcnt vmcnt(0)
	v_add_co_u32_e32 v8, vcc, s20, v0
	v_addc_co_u32_e32 v9, vcc, 0, v6, vcc
	global_load_ubyte v6, v[8:9], off offset:512
	s_or_b64 exec, exec, s[16:17]
	v_cmp_gt_u32_e32 vcc, s18, v21
	s_and_saveexec_b64 s[16:17], vcc
	s_cbranch_execnz .LBB1566_333
	s_branch .LBB1566_334
.LBB1566_346:                           ;   in Loop: Header=BB1566_20 Depth=1
	v_mov_b32_e32 v3, 0
	s_waitcnt lgkmcnt(0)
	s_barrier
	s_and_saveexec_b64 s[16:17], s[4:5]
	s_cbranch_execz .LBB1566_348
; %bb.347:                              ;   in Loop: Header=BB1566_20 Depth=1
	ds_read2_b64 v[5:8], v25 offset1:1
	s_waitcnt lgkmcnt(0)
	v_add_u32_e32 v3, v6, v5
	v_add3_u32 v3, v3, v7, v8
.LBB1566_348:                           ;   in Loop: Header=BB1566_20 Depth=1
	s_or_b64 exec, exec, s[16:17]
	s_nop 0
	v_mov_b32_dpp v5, v3 row_shr:1 row_mask:0xf bank_mask:0xf
	v_cmp_eq_u32_e64 s[16:17], 0, v55
	v_cndmask_b32_e64 v5, v5, 0, s[16:17]
	v_add_u32_e32 v3, v5, v3
	v_cmp_lt_u32_e64 s[18:19], 1, v55
	v_cmp_lt_u32_e64 s[20:21], 3, v55
	v_mov_b32_dpp v5, v3 row_shr:2 row_mask:0xf bank_mask:0xf
	v_cndmask_b32_e64 v5, 0, v5, s[18:19]
	v_add_u32_e32 v3, v3, v5
	v_cmp_lt_u32_e64 s[22:23], 7, v55
	v_cmp_lt_u32_e64 s[26:27], 31, v44
	v_mov_b32_dpp v5, v3 row_shr:4 row_mask:0xf bank_mask:0xf
	v_cndmask_b32_e64 v5, 0, v5, s[20:21]
	v_add_u32_e32 v3, v3, v5
	v_cmp_eq_u32_e64 s[24:25], 0, v57
	s_nop 0
	v_mov_b32_dpp v5, v3 row_shr:8 row_mask:0xf bank_mask:0xf
	v_cndmask_b32_e64 v5, 0, v5, s[22:23]
	v_add_u32_e32 v3, v3, v5
	s_nop 1
	v_mov_b32_dpp v5, v3 row_bcast:15 row_mask:0xf bank_mask:0xf
	v_and_b32_e32 v5, v56, v5
	v_add_u32_e32 v3, v3, v5
	s_nop 1
	v_mov_b32_dpp v5, v3 row_bcast:31 row_mask:0xf bank_mask:0xf
	v_cndmask_b32_e64 v5, 0, v5, s[26:27]
	v_add_u32_e32 v3, v3, v5
	s_and_saveexec_b64 s[28:29], s[6:7]
; %bb.349:                              ;   in Loop: Header=BB1566_20 Depth=1
	ds_write_b32 v48, v3
; %bb.350:                              ;   in Loop: Header=BB1566_20 Depth=1
	s_or_b64 exec, exec, s[28:29]
	s_waitcnt lgkmcnt(0)
	s_barrier
	s_and_saveexec_b64 s[28:29], s[8:9]
	s_cbranch_execz .LBB1566_352
; %bb.351:                              ;   in Loop: Header=BB1566_20 Depth=1
	ds_read_b32 v5, v49
	v_cmp_ne_u32_e32 vcc, 0, v58
	s_waitcnt lgkmcnt(0)
	v_mov_b32_dpp v6, v5 row_shr:1 row_mask:0xf bank_mask:0xf
	v_cndmask_b32_e32 v6, 0, v6, vcc
	v_add_u32_e32 v5, v6, v5
	v_cmp_lt_u32_e32 vcc, 1, v58
	s_nop 0
	v_mov_b32_dpp v6, v5 row_shr:2 row_mask:0xf bank_mask:0xf
	v_cndmask_b32_e32 v6, 0, v6, vcc
	v_add_u32_e32 v5, v5, v6
	ds_write_b32 v49, v5
.LBB1566_352:                           ;   in Loop: Header=BB1566_20 Depth=1
	s_or_b64 exec, exec, s[28:29]
	v_mov_b32_e32 v5, 0
	s_waitcnt lgkmcnt(0)
	s_barrier
	s_and_saveexec_b64 s[28:29], s[10:11]
; %bb.353:                              ;   in Loop: Header=BB1566_20 Depth=1
	ds_read_b32 v5, v50
; %bb.354:                              ;   in Loop: Header=BB1566_20 Depth=1
	s_or_b64 exec, exec, s[28:29]
	v_subrev_co_u32_e64 v6, s[28:29], 1, v44
	v_cmp_lt_i32_e32 vcc, v6, v59
	v_cndmask_b32_e32 v6, v6, v44, vcc
	s_waitcnt lgkmcnt(0)
	v_add_u32_e32 v3, v5, v3
	v_lshlrev_b32_e32 v64, 2, v6
	ds_bpermute_b32 v3, v64, v3
	s_waitcnt lgkmcnt(0)
	s_barrier
	s_and_saveexec_b64 s[30:31], s[4:5]
; %bb.355:                              ;   in Loop: Header=BB1566_20 Depth=1
	v_cndmask_b32_e64 v3, v3, v5, s[28:29]
	v_add_u32_e32 v3, s49, v3
	ds_write_b32 v18, v3
; %bb.356:                              ;   in Loop: Header=BB1566_20 Depth=1
	s_or_b64 exec, exec, s[30:31]
	s_load_dwordx2 s[30:31], s[44:45], 0x0
	v_add_co_u32_e32 v65, vcc, v40, v60
	v_addc_co_u32_e32 v66, vcc, 0, v41, vcc
	s_waitcnt lgkmcnt(0)
	s_cmp_lt_u32 s33, s31
	s_cselect_b32 s31, 14, 20
	s_add_u32 s34, s44, s31
	s_addc_u32 s35, s45, 0
	s_cmp_lt_u32 s48, s30
	s_cselect_b32 s30, 12, 18
	s_add_u32 s30, s44, s30
	global_load_ushort v3, v4, s[34:35]
	s_addc_u32 s31, s45, 0
	global_load_ushort v5, v4, s[30:31]
	v_add_co_u32_e32 v67, vcc, v42, v45
	v_cmp_eq_u32_e64 s[30:31], 0, v58
	v_cmp_lt_u32_e64 s[34:35], 1, v58
	v_addc_co_u32_e32 v68, vcc, 0, v43, vcc
	s_mov_b32 s60, s75
	s_mov_b32 s46, s49
                                        ; implicit-def: $vgpr7_vgpr8
                                        ; implicit-def: $vgpr9_vgpr10
                                        ; implicit-def: $vgpr11_vgpr12
                                        ; implicit-def: $vgpr69
                                        ; implicit-def: $vgpr70
                                        ; implicit-def: $vgpr72
                                        ; implicit-def: $vgpr73
	s_waitcnt vmcnt(1)
	v_mad_u32_u24 v3, v2, v3, v1
	s_waitcnt vmcnt(0)
	v_mad_u64_u32 v[13:14], s[36:37], v3, v5, v[0:1]
                                        ; implicit-def: $vgpr5_vgpr6
	v_lshrrev_b32_e32 v3, 4, v13
	v_and_b32_e32 v71, 0xffffffc, v3
	s_branch .LBB1566_358
.LBB1566_357:                           ;   in Loop: Header=BB1566_358 Depth=2
	s_or_b64 exec, exec, s[36:37]
	s_addk_i32 s60, 0xfc00
	s_cmp_lt_u32 s61, s76
	s_mov_b32 s46, s61
	s_cbranch_scc0 .LBB1566_18
.LBB1566_358:                           ;   Parent Loop BB1566_20 Depth=1
                                        ; =>  This Inner Loop Header: Depth=2
	s_add_i32 s61, s46, 0x400
	s_cmp_gt_u32 s61, s76
	s_cbranch_scc1 .LBB1566_360
; %bb.359:                              ;   in Loop: Header=BB1566_358 Depth=2
	v_add_co_u32_e32 v13, vcc, s46, v67
	v_addc_co_u32_e32 v14, vcc, 0, v68, vcc
	global_load_ubyte v15, v[13:14], off offset:128
	global_load_ubyte v16, v[13:14], off offset:64
	global_load_ubyte v3, v[13:14], off
	s_mov_b64 s[36:37], -1
	s_movk_i32 s40, 0x400
                                        ; implicit-def: $vgpr17
	s_cbranch_execz .LBB1566_361
	s_branch .LBB1566_368
.LBB1566_360:                           ;   in Loop: Header=BB1566_358 Depth=2
	s_mov_b64 s[36:37], 0
                                        ; implicit-def: $vgpr3
                                        ; implicit-def: $vgpr16
                                        ; implicit-def: $vgpr15
	s_movk_i32 s40, 0x400
                                        ; implicit-def: $vgpr17
.LBB1566_361:                           ;   in Loop: Header=BB1566_358 Depth=2
	v_add_co_u32_e32 v13, vcc, s46, v67
	v_addc_co_u32_e32 v14, vcc, 0, v68, vcc
	v_cmp_gt_u32_e32 vcc, s60, v46
	s_waitcnt vmcnt(2)
	v_mov_b32_e32 v15, 0
	s_waitcnt vmcnt(0)
	v_mov_b32_e32 v3, 0
	v_mov_b32_e32 v17, 0
	s_and_saveexec_b64 s[36:37], vcc
	s_cbranch_execz .LBB1566_363
; %bb.362:                              ;   in Loop: Header=BB1566_358 Depth=2
	global_load_ubyte v3, v[13:14], off
	v_mov_b32_e32 v17, 0
.LBB1566_363:                           ;   in Loop: Header=BB1566_358 Depth=2
	s_or_b64 exec, exec, s[36:37]
	v_cmp_gt_u32_e32 vcc, s60, v61
	v_mov_b32_e32 v16, v15
	s_and_saveexec_b64 s[36:37], vcc
	s_cbranch_execz .LBB1566_365
; %bb.364:                              ;   in Loop: Header=BB1566_358 Depth=2
	global_load_ubyte v16, v[13:14], off offset:64
.LBB1566_365:                           ;   in Loop: Header=BB1566_358 Depth=2
	s_or_b64 exec, exec, s[36:37]
	v_cmp_gt_u32_e32 vcc, s60, v62
	s_and_saveexec_b64 s[36:37], vcc
	s_cbranch_execz .LBB1566_367
; %bb.366:                              ;   in Loop: Header=BB1566_358 Depth=2
	global_load_ubyte v15, v[13:14], off offset:128
.LBB1566_367:                           ;   in Loop: Header=BB1566_358 Depth=2
	s_or_b64 exec, exec, s[36:37]
	s_sub_i32 s40, s76, s46
	v_cmp_gt_u32_e64 s[36:37], s60, v63
.LBB1566_368:                           ;   in Loop: Header=BB1566_358 Depth=2
	v_mov_b32_e32 v74, s60
	s_and_saveexec_b64 s[38:39], s[36:37]
	s_cbranch_execz .LBB1566_370
; %bb.369:                              ;   in Loop: Header=BB1566_358 Depth=2
	v_mov_b32_e32 v14, s47
	v_add_co_u32_e32 v13, vcc, s46, v67
	v_addc_co_u32_e32 v14, vcc, v68, v14, vcc
	global_load_ubyte v17, v[13:14], off offset:192
	v_mov_b32_e32 v74, s40
.LBB1566_370:                           ;   in Loop: Header=BB1566_358 Depth=2
	s_or_b64 exec, exec, s[38:39]
	s_waitcnt vmcnt(0)
	v_and_b32_e32 v3, 1, v3
	v_and_b32_e32 v13, 1, v16
	v_cmp_eq_u32_e64 s[40:41], 1, v3
	v_cmp_eq_u32_e64 s[38:39], 1, v13
	v_and_b32_e32 v13, 1, v15
	s_xor_b64 s[40:41], s[40:41], -1
	v_cmp_eq_u32_e64 s[36:37], 1, v13
	v_and_b32_e32 v13, 1, v17
	v_cndmask_b32_e64 v17, 0, 1, s[40:41]
	v_lshrrev_b32_e32 v3, s73, v17
	v_and_b32_e32 v3, s59, v3
	v_mul_u32_u24_e32 v15, 20, v3
	v_cmp_ne_u32_e64 s[40:41], 0, v3
	v_add_co_u32_e64 v3, s[42:43], -1, v3
	v_cmp_eq_u32_e32 vcc, 1, v13
	v_addc_co_u32_e64 v13, s[42:43], 0, -1, s[42:43]
	v_xor_b32_e32 v13, s41, v13
	v_xor_b32_e32 v3, s40, v3
	v_and_b32_e32 v14, exec_hi, v13
	v_and_b32_e32 v13, exec_lo, v3
	v_mbcnt_lo_u32_b32 v3, v13, 0
	v_mbcnt_hi_u32_b32 v3, v14, v3
	v_cmp_ne_u64_e64 s[40:41], 0, v[13:14]
	v_cmp_eq_u32_e64 s[42:43], 0, v3
	s_and_b64 s[42:43], s[40:41], s[42:43]
	v_add_u32_e32 v75, v71, v15
	ds_write2_b32 v53, v4, v4 offset1:1
	ds_write2_b32 v54, v4, v4 offset1:1
	ds_write_b32 v27, v4 offset:1056
	s_waitcnt lgkmcnt(0)
	s_barrier
	; wave barrier
	s_and_saveexec_b64 s[40:41], s[42:43]
; %bb.371:                              ;   in Loop: Header=BB1566_358 Depth=2
	v_bcnt_u32_b32 v13, v13, 0
	v_bcnt_u32_b32 v13, v14, v13
	ds_write_b32 v75, v13 offset:1040
; %bb.372:                              ;   in Loop: Header=BB1566_358 Depth=2
	s_or_b64 exec, exec, s[40:41]
	s_xor_b64 s[38:39], s[38:39], -1
	v_cndmask_b32_e64 v76, 0, 1, s[38:39]
	v_lshrrev_b32_e32 v13, s73, v76
	v_and_b32_e32 v13, s59, v13
	v_mul_u32_u24_e32 v15, 20, v13
	v_mad_u32_u24 v14, v13, 20, v71
	v_cmp_ne_u32_e64 s[38:39], 0, v13
	v_add_co_u32_e64 v13, s[40:41], -1, v13
	; wave barrier
	ds_read_b32 v77, v14 offset:1040
	v_addc_co_u32_e64 v14, s[40:41], 0, -1, s[40:41]
	v_xor_b32_e32 v13, s38, v13
	v_xor_b32_e32 v14, s39, v14
	v_and_b32_e32 v13, exec_lo, v13
	v_and_b32_e32 v14, exec_hi, v14
	v_mbcnt_lo_u32_b32 v16, v13, 0
	v_mbcnt_hi_u32_b32 v78, v14, v16
	v_cmp_ne_u64_e64 s[38:39], 0, v[13:14]
	v_cmp_eq_u32_e64 s[40:41], 0, v78
	s_and_b64 s[40:41], s[38:39], s[40:41]
	v_add_u32_e32 v81, v71, v15
	; wave barrier
	s_and_saveexec_b64 s[38:39], s[40:41]
	s_cbranch_execz .LBB1566_374
; %bb.373:                              ;   in Loop: Header=BB1566_358 Depth=2
	v_bcnt_u32_b32 v13, v13, 0
	v_bcnt_u32_b32 v13, v14, v13
	s_waitcnt lgkmcnt(0)
	v_add_u32_e32 v13, v77, v13
	ds_write_b32 v81, v13 offset:1040
.LBB1566_374:                           ;   in Loop: Header=BB1566_358 Depth=2
	s_or_b64 exec, exec, s[38:39]
	s_xor_b64 s[36:37], s[36:37], -1
	v_cndmask_b32_e64 v79, 0, 1, s[36:37]
	v_lshrrev_b32_e32 v13, s73, v79
	v_and_b32_e32 v13, s59, v13
	v_mul_u32_u24_e32 v15, 20, v13
	v_mad_u32_u24 v14, v13, 20, v71
	v_cmp_ne_u32_e64 s[36:37], 0, v13
	v_add_co_u32_e64 v13, s[38:39], -1, v13
	; wave barrier
	ds_read_b32 v80, v14 offset:1040
	v_addc_co_u32_e64 v14, s[38:39], 0, -1, s[38:39]
	v_xor_b32_e32 v13, s36, v13
	v_xor_b32_e32 v14, s37, v14
	v_and_b32_e32 v13, exec_lo, v13
	v_and_b32_e32 v14, exec_hi, v14
	v_mbcnt_lo_u32_b32 v16, v13, 0
	v_mbcnt_hi_u32_b32 v82, v14, v16
	v_cmp_ne_u64_e64 s[36:37], 0, v[13:14]
	v_cmp_eq_u32_e64 s[38:39], 0, v82
	s_and_b64 s[38:39], s[36:37], s[38:39]
	v_add_u32_e32 v85, v71, v15
	; wave barrier
	s_and_saveexec_b64 s[36:37], s[38:39]
	s_cbranch_execz .LBB1566_376
; %bb.375:                              ;   in Loop: Header=BB1566_358 Depth=2
	v_bcnt_u32_b32 v13, v13, 0
	v_bcnt_u32_b32 v13, v14, v13
	s_waitcnt lgkmcnt(0)
	v_add_u32_e32 v13, v80, v13
	ds_write_b32 v85, v13 offset:1040
.LBB1566_376:                           ;   in Loop: Header=BB1566_358 Depth=2
	s_or_b64 exec, exec, s[36:37]
	s_xor_b64 s[36:37], vcc, -1
	v_cndmask_b32_e64 v83, 0, 1, s[36:37]
	v_lshrrev_b32_e32 v13, s73, v83
	v_and_b32_e32 v13, s59, v13
	v_mul_u32_u24_e32 v15, 20, v13
	v_mad_u32_u24 v14, v13, 20, v71
	v_cmp_ne_u32_e32 vcc, 0, v13
	v_add_co_u32_e64 v13, s[36:37], -1, v13
	; wave barrier
	ds_read_b32 v84, v14 offset:1040
	v_addc_co_u32_e64 v14, s[36:37], 0, -1, s[36:37]
	v_xor_b32_e32 v13, vcc_lo, v13
	v_xor_b32_e32 v14, vcc_hi, v14
	v_and_b32_e32 v13, exec_lo, v13
	v_and_b32_e32 v14, exec_hi, v14
	v_mbcnt_lo_u32_b32 v16, v13, 0
	v_mbcnt_hi_u32_b32 v86, v14, v16
	v_cmp_ne_u64_e32 vcc, 0, v[13:14]
	v_cmp_eq_u32_e64 s[36:37], 0, v86
	s_and_b64 s[38:39], vcc, s[36:37]
	v_add_u32_e32 v87, v71, v15
	; wave barrier
	s_and_saveexec_b64 s[36:37], s[38:39]
	s_cbranch_execz .LBB1566_378
; %bb.377:                              ;   in Loop: Header=BB1566_358 Depth=2
	v_bcnt_u32_b32 v13, v13, 0
	v_bcnt_u32_b32 v13, v14, v13
	s_waitcnt lgkmcnt(0)
	v_add_u32_e32 v13, v84, v13
	ds_write_b32 v87, v13 offset:1040
.LBB1566_378:                           ;   in Loop: Header=BB1566_358 Depth=2
	s_or_b64 exec, exec, s[36:37]
	; wave barrier
	s_waitcnt lgkmcnt(0)
	s_barrier
	ds_read2_b32 v[15:16], v53 offset1:1
	ds_read2_b32 v[13:14], v54 offset1:1
	ds_read_b32 v88, v27 offset:1056
	s_waitcnt lgkmcnt(1)
	v_add3_u32 v89, v16, v15, v13
	s_waitcnt lgkmcnt(0)
	v_add3_u32 v88, v89, v14, v88
	s_nop 1
	v_mov_b32_dpp v89, v88 row_shr:1 row_mask:0xf bank_mask:0xf
	v_cndmask_b32_e64 v89, v89, 0, s[16:17]
	v_add_u32_e32 v88, v89, v88
	s_nop 1
	v_mov_b32_dpp v89, v88 row_shr:2 row_mask:0xf bank_mask:0xf
	v_cndmask_b32_e64 v89, 0, v89, s[18:19]
	v_add_u32_e32 v88, v88, v89
	;; [unrolled: 4-line block ×4, first 2 shown]
	s_nop 1
	v_mov_b32_dpp v89, v88 row_bcast:15 row_mask:0xf bank_mask:0xf
	v_cndmask_b32_e64 v89, v89, 0, s[24:25]
	v_add_u32_e32 v88, v88, v89
	s_nop 1
	v_mov_b32_dpp v89, v88 row_bcast:31 row_mask:0xf bank_mask:0xf
	v_cndmask_b32_e64 v89, 0, v89, s[26:27]
	v_add_u32_e32 v88, v88, v89
	s_and_saveexec_b64 s[36:37], s[6:7]
; %bb.379:                              ;   in Loop: Header=BB1566_358 Depth=2
	ds_write_b32 v26, v88 offset:1024
; %bb.380:                              ;   in Loop: Header=BB1566_358 Depth=2
	s_or_b64 exec, exec, s[36:37]
	s_waitcnt lgkmcnt(0)
	s_barrier
	s_and_saveexec_b64 s[36:37], s[8:9]
	s_cbranch_execz .LBB1566_382
; %bb.381:                              ;   in Loop: Header=BB1566_358 Depth=2
	ds_read_b32 v89, v47 offset:1024
	s_waitcnt lgkmcnt(0)
	s_nop 0
	v_mov_b32_dpp v90, v89 row_shr:1 row_mask:0xf bank_mask:0xf
	v_cndmask_b32_e64 v90, v90, 0, s[30:31]
	v_add_u32_e32 v89, v90, v89
	s_nop 1
	v_mov_b32_dpp v90, v89 row_shr:2 row_mask:0xf bank_mask:0xf
	v_cndmask_b32_e64 v90, 0, v90, s[34:35]
	v_add_u32_e32 v89, v89, v90
	ds_write_b32 v47, v89 offset:1024
.LBB1566_382:                           ;   in Loop: Header=BB1566_358 Depth=2
	s_or_b64 exec, exec, s[36:37]
	v_mov_b32_e32 v89, 0
	s_waitcnt lgkmcnt(0)
	s_barrier
	s_and_saveexec_b64 s[36:37], s[10:11]
; %bb.383:                              ;   in Loop: Header=BB1566_358 Depth=2
	ds_read_b32 v89, v26 offset:1020
; %bb.384:                              ;   in Loop: Header=BB1566_358 Depth=2
	s_or_b64 exec, exec, s[36:37]
	s_waitcnt lgkmcnt(0)
	v_add_u32_e32 v88, v89, v88
	ds_bpermute_b32 v88, v64, v88
	s_waitcnt lgkmcnt(0)
	v_cndmask_b32_e64 v88, v88, v89, s[28:29]
	v_cndmask_b32_e64 v88, v88, 0, s[12:13]
	v_add_u32_e32 v15, v88, v15
	v_add_u32_e32 v16, v15, v16
	;; [unrolled: 1-line block ×4, first 2 shown]
	ds_write2_b32 v53, v88, v15 offset1:1
	ds_write2_b32 v54, v16, v13 offset1:1
	ds_write_b32 v27, v14 offset:1056
	s_waitcnt lgkmcnt(0)
	s_barrier
	ds_read_b32 v13, v75 offset:1040
	ds_read_b32 v14, v81 offset:1040
	;; [unrolled: 1-line block ×5, first 2 shown]
	v_mov_b32_e32 v75, 0x400
	s_and_saveexec_b64 s[36:37], s[14:15]
; %bb.385:                              ;   in Loop: Header=BB1566_358 Depth=2
	ds_read_b32 v75, v27 offset:1060
; %bb.386:                              ;   in Loop: Header=BB1566_358 Depth=2
	s_or_b64 exec, exec, s[36:37]
	s_waitcnt lgkmcnt(0)
	s_barrier
	s_and_saveexec_b64 s[36:37], s[4:5]
	s_cbranch_execz .LBB1566_388
; %bb.387:                              ;   in Loop: Header=BB1566_358 Depth=2
	ds_read_b32 v85, v18
	s_waitcnt lgkmcnt(0)
	v_sub_u32_e32 v15, v85, v15
	ds_write_b32 v18, v15
.LBB1566_388:                           ;   in Loop: Header=BB1566_358 Depth=2
	s_or_b64 exec, exec, s[36:37]
	v_add_u32_e32 v15, v13, v3
	v_add3_u32 v14, v78, v77, v14
	v_add3_u32 v13, v82, v80, v16
	;; [unrolled: 1-line block ×3, first 2 shown]
	v_cmp_lt_u32_e64 s[40:41], v0, v74
	ds_write_b8 v15, v17 offset:1024
	ds_write_b8 v14, v76 offset:1024
	;; [unrolled: 1-line block ×4, first 2 shown]
	s_waitcnt lgkmcnt(0)
	s_barrier
	s_and_saveexec_b64 s[36:37], s[40:41]
	s_cbranch_execnz .LBB1566_409
; %bb.389:                              ;   in Loop: Header=BB1566_358 Depth=2
	s_or_b64 exec, exec, s[36:37]
	v_cmp_lt_u32_e64 s[38:39], v19, v74
	s_and_saveexec_b64 s[36:37], s[38:39]
	s_cbranch_execnz .LBB1566_410
.LBB1566_390:                           ;   in Loop: Header=BB1566_358 Depth=2
	s_or_b64 exec, exec, s[36:37]
	v_cmp_lt_u32_e64 s[36:37], v20, v74
	s_and_saveexec_b64 s[42:43], s[36:37]
	s_cbranch_execnz .LBB1566_411
.LBB1566_391:                           ;   in Loop: Header=BB1566_358 Depth=2
	s_or_b64 exec, exec, s[42:43]
	v_cmp_lt_u32_e32 vcc, v21, v74
	s_and_saveexec_b64 s[42:43], vcc
	s_cbranch_execz .LBB1566_393
.LBB1566_392:                           ;   in Loop: Header=BB1566_358 Depth=2
	ds_read_u8 v16, v0 offset:1792
	s_waitcnt lgkmcnt(0)
	v_and_b32_e32 v17, 1, v16
	v_lshrrev_b32_e32 v17, s73, v17
	v_and_b32_e32 v17, s59, v17
	v_lshlrev_b32_e32 v17, 2, v17
	ds_read_b32 v17, v17
	v_xor_b32_e32 v16, 1, v16
	s_waitcnt lgkmcnt(0)
	v_add_u32_e32 v17, v17, v21
	global_store_byte v17, v16, s[68:69]
.LBB1566_393:                           ;   in Loop: Header=BB1566_358 Depth=2
	s_or_b64 exec, exec, s[42:43]
	s_lshl_b64 s[42:43], s[46:47], 3
	v_mov_b32_e32 v17, s43
	v_add_co_u32_e64 v16, s[42:43], s42, v65
	v_addc_co_u32_e64 v17, s[42:43], v66, v17, s[42:43]
	v_cmp_lt_u32_e64 s[42:43], v46, v74
	s_and_saveexec_b64 s[56:57], s[42:43]
	s_xor_b64 s[42:43], exec, s[56:57]
	s_cbranch_execnz .LBB1566_412
; %bb.394:                              ;   in Loop: Header=BB1566_358 Depth=2
	s_or_b64 exec, exec, s[42:43]
	v_cmp_lt_u32_e64 s[42:43], v61, v74
	s_and_saveexec_b64 s[56:57], s[42:43]
	s_cbranch_execnz .LBB1566_413
.LBB1566_395:                           ;   in Loop: Header=BB1566_358 Depth=2
	s_or_b64 exec, exec, s[56:57]
	v_cmp_lt_u32_e64 s[42:43], v62, v74
	s_and_saveexec_b64 s[56:57], s[42:43]
	s_cbranch_execnz .LBB1566_414
.LBB1566_396:                           ;   in Loop: Header=BB1566_358 Depth=2
	s_or_b64 exec, exec, s[56:57]
	v_cmp_lt_u32_e64 s[42:43], v63, v74
	s_and_saveexec_b64 s[56:57], s[42:43]
	s_cbranch_execnz .LBB1566_415
.LBB1566_397:                           ;   in Loop: Header=BB1566_358 Depth=2
	s_or_b64 exec, exec, s[56:57]
	s_and_saveexec_b64 s[42:43], s[40:41]
	s_cbranch_execnz .LBB1566_416
.LBB1566_398:                           ;   in Loop: Header=BB1566_358 Depth=2
	s_or_b64 exec, exec, s[42:43]
	s_and_saveexec_b64 s[42:43], s[38:39]
	s_cbranch_execnz .LBB1566_417
.LBB1566_399:                           ;   in Loop: Header=BB1566_358 Depth=2
	s_or_b64 exec, exec, s[42:43]
	s_and_saveexec_b64 s[42:43], s[36:37]
	s_cbranch_execnz .LBB1566_418
.LBB1566_400:                           ;   in Loop: Header=BB1566_358 Depth=2
	s_or_b64 exec, exec, s[42:43]
	s_and_saveexec_b64 s[42:43], vcc
	s_cbranch_execz .LBB1566_402
.LBB1566_401:                           ;   in Loop: Header=BB1566_358 Depth=2
	ds_read_u8 v16, v0 offset:1792
	s_waitcnt lgkmcnt(0)
	v_lshrrev_b32_e32 v16, s73, v16
	v_and_b32_e32 v69, s59, v16
.LBB1566_402:                           ;   in Loop: Header=BB1566_358 Depth=2
	s_or_b64 exec, exec, s[42:43]
	v_mad_u64_u32 v[15:16], s[42:43], v15, 7, v[15:16]
	v_mad_u64_u32 v[76:77], s[42:43], v3, 7, v[3:4]
	;; [unrolled: 1-line block ×4, first 2 shown]
	s_waitcnt vmcnt(0)
	s_barrier
	ds_write_b64 v15, v[11:12] offset:1024
	ds_write_b64 v16, v[9:10] offset:1024
	;; [unrolled: 1-line block ×4, first 2 shown]
	v_add_u32_e32 v13, v0, v51
	s_waitcnt lgkmcnt(0)
	s_barrier
	s_and_saveexec_b64 s[42:43], s[40:41]
	s_cbranch_execnz .LBB1566_419
; %bb.403:                              ;   in Loop: Header=BB1566_358 Depth=2
	s_or_b64 exec, exec, s[42:43]
	s_and_saveexec_b64 s[40:41], s[38:39]
	s_cbranch_execnz .LBB1566_420
.LBB1566_404:                           ;   in Loop: Header=BB1566_358 Depth=2
	s_or_b64 exec, exec, s[40:41]
	s_and_saveexec_b64 s[38:39], s[36:37]
	s_cbranch_execnz .LBB1566_421
.LBB1566_405:                           ;   in Loop: Header=BB1566_358 Depth=2
	s_or_b64 exec, exec, s[38:39]
	s_and_saveexec_b64 s[36:37], vcc
	s_cbranch_execz .LBB1566_407
.LBB1566_406:                           ;   in Loop: Header=BB1566_358 Depth=2
	v_lshlrev_b32_e32 v3, 2, v69
	ds_read_b32 v3, v3
	ds_read_b64 v[13:14], v13 offset:7168
	v_mov_b32_e32 v17, s55
	s_waitcnt lgkmcnt(1)
	v_add_u32_e32 v3, v3, v21
	v_lshlrev_b64 v[15:16], 3, v[3:4]
	v_add_co_u32_e32 v15, vcc, s54, v15
	v_addc_co_u32_e32 v16, vcc, v17, v16, vcc
	s_waitcnt lgkmcnt(0)
	global_store_dwordx2 v[15:16], v[13:14], off
.LBB1566_407:                           ;   in Loop: Header=BB1566_358 Depth=2
	s_or_b64 exec, exec, s[36:37]
	s_waitcnt vmcnt(0)
	s_barrier
	s_and_saveexec_b64 s[36:37], s[4:5]
	s_cbranch_execz .LBB1566_357
; %bb.408:                              ;   in Loop: Header=BB1566_358 Depth=2
	ds_read_b32 v3, v18
	s_waitcnt lgkmcnt(0)
	v_add_u32_e32 v3, v3, v75
	ds_write_b32 v18, v3
	s_branch .LBB1566_357
.LBB1566_409:                           ;   in Loop: Header=BB1566_358 Depth=2
	ds_read_u8 v16, v0 offset:1024
	s_waitcnt lgkmcnt(0)
	v_and_b32_e32 v17, 1, v16
	v_lshrrev_b32_e32 v17, s73, v17
	v_and_b32_e32 v17, s59, v17
	v_lshlrev_b32_e32 v17, 2, v17
	ds_read_b32 v17, v17
	v_xor_b32_e32 v16, 1, v16
	s_waitcnt lgkmcnt(0)
	v_add_u32_e32 v17, v17, v0
	global_store_byte v17, v16, s[68:69]
	s_or_b64 exec, exec, s[36:37]
	v_cmp_lt_u32_e64 s[38:39], v19, v74
	s_and_saveexec_b64 s[36:37], s[38:39]
	s_cbranch_execz .LBB1566_390
.LBB1566_410:                           ;   in Loop: Header=BB1566_358 Depth=2
	ds_read_u8 v16, v0 offset:1280
	s_waitcnt lgkmcnt(0)
	v_and_b32_e32 v17, 1, v16
	v_lshrrev_b32_e32 v17, s73, v17
	v_and_b32_e32 v17, s59, v17
	v_lshlrev_b32_e32 v17, 2, v17
	ds_read_b32 v17, v17
	v_xor_b32_e32 v16, 1, v16
	s_waitcnt lgkmcnt(0)
	v_add_u32_e32 v17, v17, v19
	global_store_byte v17, v16, s[68:69]
	s_or_b64 exec, exec, s[36:37]
	v_cmp_lt_u32_e64 s[36:37], v20, v74
	s_and_saveexec_b64 s[42:43], s[36:37]
	s_cbranch_execz .LBB1566_391
.LBB1566_411:                           ;   in Loop: Header=BB1566_358 Depth=2
	ds_read_u8 v16, v0 offset:1536
	s_waitcnt lgkmcnt(0)
	v_and_b32_e32 v17, 1, v16
	v_lshrrev_b32_e32 v17, s73, v17
	v_and_b32_e32 v17, s59, v17
	v_lshlrev_b32_e32 v17, 2, v17
	ds_read_b32 v17, v17
	v_xor_b32_e32 v16, 1, v16
	s_waitcnt lgkmcnt(0)
	v_add_u32_e32 v17, v17, v20
	global_store_byte v17, v16, s[68:69]
	s_or_b64 exec, exec, s[42:43]
	v_cmp_lt_u32_e32 vcc, v21, v74
	s_and_saveexec_b64 s[42:43], vcc
	s_cbranch_execnz .LBB1566_392
	s_branch .LBB1566_393
.LBB1566_412:                           ;   in Loop: Header=BB1566_358 Depth=2
	global_load_dwordx2 v[11:12], v[16:17], off
	s_or_b64 exec, exec, s[42:43]
	v_cmp_lt_u32_e64 s[42:43], v61, v74
	s_and_saveexec_b64 s[56:57], s[42:43]
	s_cbranch_execz .LBB1566_395
.LBB1566_413:                           ;   in Loop: Header=BB1566_358 Depth=2
	global_load_dwordx2 v[9:10], v[16:17], off offset:512
	s_or_b64 exec, exec, s[56:57]
	v_cmp_lt_u32_e64 s[42:43], v62, v74
	s_and_saveexec_b64 s[56:57], s[42:43]
	s_cbranch_execz .LBB1566_396
.LBB1566_414:                           ;   in Loop: Header=BB1566_358 Depth=2
	global_load_dwordx2 v[7:8], v[16:17], off offset:1024
	s_or_b64 exec, exec, s[56:57]
	v_cmp_lt_u32_e64 s[42:43], v63, v74
	s_and_saveexec_b64 s[56:57], s[42:43]
	s_cbranch_execz .LBB1566_397
.LBB1566_415:                           ;   in Loop: Header=BB1566_358 Depth=2
	global_load_dwordx2 v[5:6], v[16:17], off offset:1536
	s_or_b64 exec, exec, s[56:57]
	s_and_saveexec_b64 s[42:43], s[40:41]
	s_cbranch_execz .LBB1566_398
.LBB1566_416:                           ;   in Loop: Header=BB1566_358 Depth=2
	ds_read_u8 v16, v0 offset:1024
	s_waitcnt lgkmcnt(0)
	v_lshrrev_b32_e32 v16, s73, v16
	v_and_b32_e32 v73, s59, v16
	s_or_b64 exec, exec, s[42:43]
	s_and_saveexec_b64 s[42:43], s[38:39]
	s_cbranch_execz .LBB1566_399
.LBB1566_417:                           ;   in Loop: Header=BB1566_358 Depth=2
	ds_read_u8 v16, v0 offset:1280
	s_waitcnt lgkmcnt(0)
	v_lshrrev_b32_e32 v16, s73, v16
	v_and_b32_e32 v72, s59, v16
	s_or_b64 exec, exec, s[42:43]
	s_and_saveexec_b64 s[42:43], s[36:37]
	s_cbranch_execz .LBB1566_400
.LBB1566_418:                           ;   in Loop: Header=BB1566_358 Depth=2
	ds_read_u8 v16, v0 offset:1536
	s_waitcnt lgkmcnt(0)
	v_lshrrev_b32_e32 v16, s73, v16
	v_and_b32_e32 v70, s59, v16
	s_or_b64 exec, exec, s[42:43]
	s_and_saveexec_b64 s[42:43], vcc
	s_cbranch_execnz .LBB1566_401
	s_branch .LBB1566_402
.LBB1566_419:                           ;   in Loop: Header=BB1566_358 Depth=2
	v_lshlrev_b32_e32 v3, 2, v73
	ds_read_b32 v3, v3
	ds_read_b64 v[14:15], v13 offset:1024
	v_mov_b32_e32 v74, s55
	s_waitcnt lgkmcnt(1)
	v_add_u32_e32 v3, v3, v0
	v_lshlrev_b64 v[16:17], 3, v[3:4]
	v_add_co_u32_e64 v16, s[40:41], s54, v16
	v_addc_co_u32_e64 v17, s[40:41], v74, v17, s[40:41]
	s_waitcnt lgkmcnt(0)
	global_store_dwordx2 v[16:17], v[14:15], off
	s_or_b64 exec, exec, s[42:43]
	s_and_saveexec_b64 s[40:41], s[38:39]
	s_cbranch_execz .LBB1566_404
.LBB1566_420:                           ;   in Loop: Header=BB1566_358 Depth=2
	v_lshlrev_b32_e32 v3, 2, v72
	ds_read_b32 v3, v3
	ds_read_b64 v[14:15], v13 offset:3072
	v_mov_b32_e32 v74, s55
	s_waitcnt lgkmcnt(1)
	v_add_u32_e32 v3, v3, v19
	v_lshlrev_b64 v[16:17], 3, v[3:4]
	v_add_co_u32_e64 v16, s[38:39], s54, v16
	v_addc_co_u32_e64 v17, s[38:39], v74, v17, s[38:39]
	s_waitcnt lgkmcnt(0)
	global_store_dwordx2 v[16:17], v[14:15], off
	s_or_b64 exec, exec, s[40:41]
	s_and_saveexec_b64 s[38:39], s[36:37]
	s_cbranch_execz .LBB1566_405
.LBB1566_421:                           ;   in Loop: Header=BB1566_358 Depth=2
	v_lshlrev_b32_e32 v3, 2, v70
	ds_read_b32 v3, v3
	ds_read_b64 v[14:15], v13 offset:5120
	v_mov_b32_e32 v74, s55
	s_waitcnt lgkmcnt(1)
	v_add_u32_e32 v3, v3, v20
	v_lshlrev_b64 v[16:17], 3, v[3:4]
	v_add_co_u32_e64 v16, s[36:37], s54, v16
	v_addc_co_u32_e64 v17, s[36:37], v74, v17, s[36:37]
	s_waitcnt lgkmcnt(0)
	global_store_dwordx2 v[16:17], v[14:15], off
	s_or_b64 exec, exec, s[38:39]
	s_and_saveexec_b64 s[36:37], vcc
	s_cbranch_execnz .LBB1566_406
	s_branch .LBB1566_407
.LBB1566_422:
	s_endpgm
	.section	.rodata,"a",@progbits
	.p2align	6, 0x0
	.amdhsa_kernel _ZN7rocprim17ROCPRIM_400000_NS6detail17trampoline_kernelINS0_14default_configENS1_36segmented_radix_sort_config_selectorIblEEZNS1_25segmented_radix_sort_implIS3_Lb1EPKbPbPKlPlN2at6native12_GLOBAL__N_18offset_tEEE10hipError_tPvRmT1_PNSt15iterator_traitsISK_E10value_typeET2_T3_PNSL_ISQ_E10value_typeET4_jRbjT5_SW_jjP12ihipStream_tbEUlT_E2_NS1_11comp_targetILNS1_3genE2ELNS1_11target_archE906ELNS1_3gpuE6ELNS1_3repE0EEENS1_30default_config_static_selectorELNS0_4arch9wavefront6targetE1EEEvSK_
		.amdhsa_group_segment_fixed_size 9232
		.amdhsa_private_segment_fixed_size 12
		.amdhsa_kernarg_size 336
		.amdhsa_user_sgpr_count 6
		.amdhsa_user_sgpr_private_segment_buffer 1
		.amdhsa_user_sgpr_dispatch_ptr 0
		.amdhsa_user_sgpr_queue_ptr 0
		.amdhsa_user_sgpr_kernarg_segment_ptr 1
		.amdhsa_user_sgpr_dispatch_id 0
		.amdhsa_user_sgpr_flat_scratch_init 0
		.amdhsa_user_sgpr_private_segment_size 0
		.amdhsa_uses_dynamic_stack 0
		.amdhsa_system_sgpr_private_segment_wavefront_offset 1
		.amdhsa_system_sgpr_workgroup_id_x 1
		.amdhsa_system_sgpr_workgroup_id_y 1
		.amdhsa_system_sgpr_workgroup_id_z 0
		.amdhsa_system_sgpr_workgroup_info 0
		.amdhsa_system_vgpr_workitem_id 2
		.amdhsa_next_free_vgpr 97
		.amdhsa_next_free_sgpr 77
		.amdhsa_reserve_vcc 1
		.amdhsa_reserve_flat_scratch 0
		.amdhsa_float_round_mode_32 0
		.amdhsa_float_round_mode_16_64 0
		.amdhsa_float_denorm_mode_32 3
		.amdhsa_float_denorm_mode_16_64 3
		.amdhsa_dx10_clamp 1
		.amdhsa_ieee_mode 1
		.amdhsa_fp16_overflow 0
		.amdhsa_exception_fp_ieee_invalid_op 0
		.amdhsa_exception_fp_denorm_src 0
		.amdhsa_exception_fp_ieee_div_zero 0
		.amdhsa_exception_fp_ieee_overflow 0
		.amdhsa_exception_fp_ieee_underflow 0
		.amdhsa_exception_fp_ieee_inexact 0
		.amdhsa_exception_int_div_zero 0
	.end_amdhsa_kernel
	.section	.text._ZN7rocprim17ROCPRIM_400000_NS6detail17trampoline_kernelINS0_14default_configENS1_36segmented_radix_sort_config_selectorIblEEZNS1_25segmented_radix_sort_implIS3_Lb1EPKbPbPKlPlN2at6native12_GLOBAL__N_18offset_tEEE10hipError_tPvRmT1_PNSt15iterator_traitsISK_E10value_typeET2_T3_PNSL_ISQ_E10value_typeET4_jRbjT5_SW_jjP12ihipStream_tbEUlT_E2_NS1_11comp_targetILNS1_3genE2ELNS1_11target_archE906ELNS1_3gpuE6ELNS1_3repE0EEENS1_30default_config_static_selectorELNS0_4arch9wavefront6targetE1EEEvSK_,"axG",@progbits,_ZN7rocprim17ROCPRIM_400000_NS6detail17trampoline_kernelINS0_14default_configENS1_36segmented_radix_sort_config_selectorIblEEZNS1_25segmented_radix_sort_implIS3_Lb1EPKbPbPKlPlN2at6native12_GLOBAL__N_18offset_tEEE10hipError_tPvRmT1_PNSt15iterator_traitsISK_E10value_typeET2_T3_PNSL_ISQ_E10value_typeET4_jRbjT5_SW_jjP12ihipStream_tbEUlT_E2_NS1_11comp_targetILNS1_3genE2ELNS1_11target_archE906ELNS1_3gpuE6ELNS1_3repE0EEENS1_30default_config_static_selectorELNS0_4arch9wavefront6targetE1EEEvSK_,comdat
.Lfunc_end1566:
	.size	_ZN7rocprim17ROCPRIM_400000_NS6detail17trampoline_kernelINS0_14default_configENS1_36segmented_radix_sort_config_selectorIblEEZNS1_25segmented_radix_sort_implIS3_Lb1EPKbPbPKlPlN2at6native12_GLOBAL__N_18offset_tEEE10hipError_tPvRmT1_PNSt15iterator_traitsISK_E10value_typeET2_T3_PNSL_ISQ_E10value_typeET4_jRbjT5_SW_jjP12ihipStream_tbEUlT_E2_NS1_11comp_targetILNS1_3genE2ELNS1_11target_archE906ELNS1_3gpuE6ELNS1_3repE0EEENS1_30default_config_static_selectorELNS0_4arch9wavefront6targetE1EEEvSK_, .Lfunc_end1566-_ZN7rocprim17ROCPRIM_400000_NS6detail17trampoline_kernelINS0_14default_configENS1_36segmented_radix_sort_config_selectorIblEEZNS1_25segmented_radix_sort_implIS3_Lb1EPKbPbPKlPlN2at6native12_GLOBAL__N_18offset_tEEE10hipError_tPvRmT1_PNSt15iterator_traitsISK_E10value_typeET2_T3_PNSL_ISQ_E10value_typeET4_jRbjT5_SW_jjP12ihipStream_tbEUlT_E2_NS1_11comp_targetILNS1_3genE2ELNS1_11target_archE906ELNS1_3gpuE6ELNS1_3repE0EEENS1_30default_config_static_selectorELNS0_4arch9wavefront6targetE1EEEvSK_
                                        ; -- End function
	.set _ZN7rocprim17ROCPRIM_400000_NS6detail17trampoline_kernelINS0_14default_configENS1_36segmented_radix_sort_config_selectorIblEEZNS1_25segmented_radix_sort_implIS3_Lb1EPKbPbPKlPlN2at6native12_GLOBAL__N_18offset_tEEE10hipError_tPvRmT1_PNSt15iterator_traitsISK_E10value_typeET2_T3_PNSL_ISQ_E10value_typeET4_jRbjT5_SW_jjP12ihipStream_tbEUlT_E2_NS1_11comp_targetILNS1_3genE2ELNS1_11target_archE906ELNS1_3gpuE6ELNS1_3repE0EEENS1_30default_config_static_selectorELNS0_4arch9wavefront6targetE1EEEvSK_.num_vgpr, max(91, .L_ZN7rocprim17ROCPRIM_400000_NS6detail26segmented_warp_sort_helperINS1_20WarpSortHelperConfigILj8ELj4ELj256EEEblLi256ELb1EvE4sortIPKbPbPKlPlEEvT_T0_T1_T2_jjjjRNS5_12storage_typeE.num_vgpr, .L_ZN7rocprim17ROCPRIM_400000_NS6detail40segmented_radix_sort_single_block_helperIblLj256ELj4ELb1EE4sortIPKbPbPKlPlEEbT_T0_T1_T2_jjjjRNS3_12storage_typeE.num_vgpr)
	.set _ZN7rocprim17ROCPRIM_400000_NS6detail17trampoline_kernelINS0_14default_configENS1_36segmented_radix_sort_config_selectorIblEEZNS1_25segmented_radix_sort_implIS3_Lb1EPKbPbPKlPlN2at6native12_GLOBAL__N_18offset_tEEE10hipError_tPvRmT1_PNSt15iterator_traitsISK_E10value_typeET2_T3_PNSL_ISQ_E10value_typeET4_jRbjT5_SW_jjP12ihipStream_tbEUlT_E2_NS1_11comp_targetILNS1_3genE2ELNS1_11target_archE906ELNS1_3gpuE6ELNS1_3repE0EEENS1_30default_config_static_selectorELNS0_4arch9wavefront6targetE1EEEvSK_.num_agpr, max(0, .L_ZN7rocprim17ROCPRIM_400000_NS6detail26segmented_warp_sort_helperINS1_20WarpSortHelperConfigILj8ELj4ELj256EEEblLi256ELb1EvE4sortIPKbPbPKlPlEEvT_T0_T1_T2_jjjjRNS5_12storage_typeE.num_agpr, .L_ZN7rocprim17ROCPRIM_400000_NS6detail40segmented_radix_sort_single_block_helperIblLj256ELj4ELb1EE4sortIPKbPbPKlPlEEbT_T0_T1_T2_jjjjRNS3_12storage_typeE.num_agpr)
	.set _ZN7rocprim17ROCPRIM_400000_NS6detail17trampoline_kernelINS0_14default_configENS1_36segmented_radix_sort_config_selectorIblEEZNS1_25segmented_radix_sort_implIS3_Lb1EPKbPbPKlPlN2at6native12_GLOBAL__N_18offset_tEEE10hipError_tPvRmT1_PNSt15iterator_traitsISK_E10value_typeET2_T3_PNSL_ISQ_E10value_typeET4_jRbjT5_SW_jjP12ihipStream_tbEUlT_E2_NS1_11comp_targetILNS1_3genE2ELNS1_11target_archE906ELNS1_3gpuE6ELNS1_3repE0EEENS1_30default_config_static_selectorELNS0_4arch9wavefront6targetE1EEEvSK_.numbered_sgpr, max(77, .L_ZN7rocprim17ROCPRIM_400000_NS6detail26segmented_warp_sort_helperINS1_20WarpSortHelperConfigILj8ELj4ELj256EEEblLi256ELb1EvE4sortIPKbPbPKlPlEEvT_T0_T1_T2_jjjjRNS5_12storage_typeE.numbered_sgpr, .L_ZN7rocprim17ROCPRIM_400000_NS6detail40segmented_radix_sort_single_block_helperIblLj256ELj4ELb1EE4sortIPKbPbPKlPlEEbT_T0_T1_T2_jjjjRNS3_12storage_typeE.numbered_sgpr)
	.set _ZN7rocprim17ROCPRIM_400000_NS6detail17trampoline_kernelINS0_14default_configENS1_36segmented_radix_sort_config_selectorIblEEZNS1_25segmented_radix_sort_implIS3_Lb1EPKbPbPKlPlN2at6native12_GLOBAL__N_18offset_tEEE10hipError_tPvRmT1_PNSt15iterator_traitsISK_E10value_typeET2_T3_PNSL_ISQ_E10value_typeET4_jRbjT5_SW_jjP12ihipStream_tbEUlT_E2_NS1_11comp_targetILNS1_3genE2ELNS1_11target_archE906ELNS1_3gpuE6ELNS1_3repE0EEENS1_30default_config_static_selectorELNS0_4arch9wavefront6targetE1EEEvSK_.num_named_barrier, max(0, .L_ZN7rocprim17ROCPRIM_400000_NS6detail26segmented_warp_sort_helperINS1_20WarpSortHelperConfigILj8ELj4ELj256EEEblLi256ELb1EvE4sortIPKbPbPKlPlEEvT_T0_T1_T2_jjjjRNS5_12storage_typeE.num_named_barrier, .L_ZN7rocprim17ROCPRIM_400000_NS6detail40segmented_radix_sort_single_block_helperIblLj256ELj4ELb1EE4sortIPKbPbPKlPlEEbT_T0_T1_T2_jjjjRNS3_12storage_typeE.num_named_barrier)
	.set _ZN7rocprim17ROCPRIM_400000_NS6detail17trampoline_kernelINS0_14default_configENS1_36segmented_radix_sort_config_selectorIblEEZNS1_25segmented_radix_sort_implIS3_Lb1EPKbPbPKlPlN2at6native12_GLOBAL__N_18offset_tEEE10hipError_tPvRmT1_PNSt15iterator_traitsISK_E10value_typeET2_T3_PNSL_ISQ_E10value_typeET4_jRbjT5_SW_jjP12ihipStream_tbEUlT_E2_NS1_11comp_targetILNS1_3genE2ELNS1_11target_archE906ELNS1_3gpuE6ELNS1_3repE0EEENS1_30default_config_static_selectorELNS0_4arch9wavefront6targetE1EEEvSK_.private_seg_size, 0+max(.L_ZN7rocprim17ROCPRIM_400000_NS6detail26segmented_warp_sort_helperINS1_20WarpSortHelperConfigILj8ELj4ELj256EEEblLi256ELb1EvE4sortIPKbPbPKlPlEEvT_T0_T1_T2_jjjjRNS5_12storage_typeE.private_seg_size, .L_ZN7rocprim17ROCPRIM_400000_NS6detail40segmented_radix_sort_single_block_helperIblLj256ELj4ELb1EE4sortIPKbPbPKlPlEEbT_T0_T1_T2_jjjjRNS3_12storage_typeE.private_seg_size)
	.set _ZN7rocprim17ROCPRIM_400000_NS6detail17trampoline_kernelINS0_14default_configENS1_36segmented_radix_sort_config_selectorIblEEZNS1_25segmented_radix_sort_implIS3_Lb1EPKbPbPKlPlN2at6native12_GLOBAL__N_18offset_tEEE10hipError_tPvRmT1_PNSt15iterator_traitsISK_E10value_typeET2_T3_PNSL_ISQ_E10value_typeET4_jRbjT5_SW_jjP12ihipStream_tbEUlT_E2_NS1_11comp_targetILNS1_3genE2ELNS1_11target_archE906ELNS1_3gpuE6ELNS1_3repE0EEENS1_30default_config_static_selectorELNS0_4arch9wavefront6targetE1EEEvSK_.uses_vcc, or(1, .L_ZN7rocprim17ROCPRIM_400000_NS6detail26segmented_warp_sort_helperINS1_20WarpSortHelperConfigILj8ELj4ELj256EEEblLi256ELb1EvE4sortIPKbPbPKlPlEEvT_T0_T1_T2_jjjjRNS5_12storage_typeE.uses_vcc, .L_ZN7rocprim17ROCPRIM_400000_NS6detail40segmented_radix_sort_single_block_helperIblLj256ELj4ELb1EE4sortIPKbPbPKlPlEEbT_T0_T1_T2_jjjjRNS3_12storage_typeE.uses_vcc)
	.set _ZN7rocprim17ROCPRIM_400000_NS6detail17trampoline_kernelINS0_14default_configENS1_36segmented_radix_sort_config_selectorIblEEZNS1_25segmented_radix_sort_implIS3_Lb1EPKbPbPKlPlN2at6native12_GLOBAL__N_18offset_tEEE10hipError_tPvRmT1_PNSt15iterator_traitsISK_E10value_typeET2_T3_PNSL_ISQ_E10value_typeET4_jRbjT5_SW_jjP12ihipStream_tbEUlT_E2_NS1_11comp_targetILNS1_3genE2ELNS1_11target_archE906ELNS1_3gpuE6ELNS1_3repE0EEENS1_30default_config_static_selectorELNS0_4arch9wavefront6targetE1EEEvSK_.uses_flat_scratch, or(0, .L_ZN7rocprim17ROCPRIM_400000_NS6detail26segmented_warp_sort_helperINS1_20WarpSortHelperConfigILj8ELj4ELj256EEEblLi256ELb1EvE4sortIPKbPbPKlPlEEvT_T0_T1_T2_jjjjRNS5_12storage_typeE.uses_flat_scratch, .L_ZN7rocprim17ROCPRIM_400000_NS6detail40segmented_radix_sort_single_block_helperIblLj256ELj4ELb1EE4sortIPKbPbPKlPlEEbT_T0_T1_T2_jjjjRNS3_12storage_typeE.uses_flat_scratch)
	.set _ZN7rocprim17ROCPRIM_400000_NS6detail17trampoline_kernelINS0_14default_configENS1_36segmented_radix_sort_config_selectorIblEEZNS1_25segmented_radix_sort_implIS3_Lb1EPKbPbPKlPlN2at6native12_GLOBAL__N_18offset_tEEE10hipError_tPvRmT1_PNSt15iterator_traitsISK_E10value_typeET2_T3_PNSL_ISQ_E10value_typeET4_jRbjT5_SW_jjP12ihipStream_tbEUlT_E2_NS1_11comp_targetILNS1_3genE2ELNS1_11target_archE906ELNS1_3gpuE6ELNS1_3repE0EEENS1_30default_config_static_selectorELNS0_4arch9wavefront6targetE1EEEvSK_.has_dyn_sized_stack, or(0, .L_ZN7rocprim17ROCPRIM_400000_NS6detail26segmented_warp_sort_helperINS1_20WarpSortHelperConfigILj8ELj4ELj256EEEblLi256ELb1EvE4sortIPKbPbPKlPlEEvT_T0_T1_T2_jjjjRNS5_12storage_typeE.has_dyn_sized_stack, .L_ZN7rocprim17ROCPRIM_400000_NS6detail40segmented_radix_sort_single_block_helperIblLj256ELj4ELb1EE4sortIPKbPbPKlPlEEbT_T0_T1_T2_jjjjRNS3_12storage_typeE.has_dyn_sized_stack)
	.set _ZN7rocprim17ROCPRIM_400000_NS6detail17trampoline_kernelINS0_14default_configENS1_36segmented_radix_sort_config_selectorIblEEZNS1_25segmented_radix_sort_implIS3_Lb1EPKbPbPKlPlN2at6native12_GLOBAL__N_18offset_tEEE10hipError_tPvRmT1_PNSt15iterator_traitsISK_E10value_typeET2_T3_PNSL_ISQ_E10value_typeET4_jRbjT5_SW_jjP12ihipStream_tbEUlT_E2_NS1_11comp_targetILNS1_3genE2ELNS1_11target_archE906ELNS1_3gpuE6ELNS1_3repE0EEENS1_30default_config_static_selectorELNS0_4arch9wavefront6targetE1EEEvSK_.has_recursion, or(0, .L_ZN7rocprim17ROCPRIM_400000_NS6detail26segmented_warp_sort_helperINS1_20WarpSortHelperConfigILj8ELj4ELj256EEEblLi256ELb1EvE4sortIPKbPbPKlPlEEvT_T0_T1_T2_jjjjRNS5_12storage_typeE.has_recursion, .L_ZN7rocprim17ROCPRIM_400000_NS6detail40segmented_radix_sort_single_block_helperIblLj256ELj4ELb1EE4sortIPKbPbPKlPlEEbT_T0_T1_T2_jjjjRNS3_12storage_typeE.has_recursion)
	.set _ZN7rocprim17ROCPRIM_400000_NS6detail17trampoline_kernelINS0_14default_configENS1_36segmented_radix_sort_config_selectorIblEEZNS1_25segmented_radix_sort_implIS3_Lb1EPKbPbPKlPlN2at6native12_GLOBAL__N_18offset_tEEE10hipError_tPvRmT1_PNSt15iterator_traitsISK_E10value_typeET2_T3_PNSL_ISQ_E10value_typeET4_jRbjT5_SW_jjP12ihipStream_tbEUlT_E2_NS1_11comp_targetILNS1_3genE2ELNS1_11target_archE906ELNS1_3gpuE6ELNS1_3repE0EEENS1_30default_config_static_selectorELNS0_4arch9wavefront6targetE1EEEvSK_.has_indirect_call, or(0, .L_ZN7rocprim17ROCPRIM_400000_NS6detail26segmented_warp_sort_helperINS1_20WarpSortHelperConfigILj8ELj4ELj256EEEblLi256ELb1EvE4sortIPKbPbPKlPlEEvT_T0_T1_T2_jjjjRNS5_12storage_typeE.has_indirect_call, .L_ZN7rocprim17ROCPRIM_400000_NS6detail40segmented_radix_sort_single_block_helperIblLj256ELj4ELb1EE4sortIPKbPbPKlPlEEbT_T0_T1_T2_jjjjRNS3_12storage_typeE.has_indirect_call)
	.section	.AMDGPU.csdata,"",@progbits
; Kernel info:
; codeLenInByte = 17448
; TotalNumSgprs: 81
; NumVgprs: 97
; ScratchSize: 12
; MemoryBound: 0
; FloatMode: 240
; IeeeMode: 1
; LDSByteSize: 9232 bytes/workgroup (compile time only)
; SGPRBlocks: 10
; VGPRBlocks: 24
; NumSGPRsForWavesPerEU: 81
; NumVGPRsForWavesPerEU: 97
; Occupancy: 2
; WaveLimiterHint : 1
; COMPUTE_PGM_RSRC2:SCRATCH_EN: 1
; COMPUTE_PGM_RSRC2:USER_SGPR: 6
; COMPUTE_PGM_RSRC2:TRAP_HANDLER: 0
; COMPUTE_PGM_RSRC2:TGID_X_EN: 1
; COMPUTE_PGM_RSRC2:TGID_Y_EN: 1
; COMPUTE_PGM_RSRC2:TGID_Z_EN: 0
; COMPUTE_PGM_RSRC2:TIDIG_COMP_CNT: 2
	.section	.text._ZN7rocprim17ROCPRIM_400000_NS6detail17trampoline_kernelINS0_14default_configENS1_36segmented_radix_sort_config_selectorIblEEZNS1_25segmented_radix_sort_implIS3_Lb1EPKbPbPKlPlN2at6native12_GLOBAL__N_18offset_tEEE10hipError_tPvRmT1_PNSt15iterator_traitsISK_E10value_typeET2_T3_PNSL_ISQ_E10value_typeET4_jRbjT5_SW_jjP12ihipStream_tbEUlT_E2_NS1_11comp_targetILNS1_3genE10ELNS1_11target_archE1201ELNS1_3gpuE5ELNS1_3repE0EEENS1_30default_config_static_selectorELNS0_4arch9wavefront6targetE1EEEvSK_,"axG",@progbits,_ZN7rocprim17ROCPRIM_400000_NS6detail17trampoline_kernelINS0_14default_configENS1_36segmented_radix_sort_config_selectorIblEEZNS1_25segmented_radix_sort_implIS3_Lb1EPKbPbPKlPlN2at6native12_GLOBAL__N_18offset_tEEE10hipError_tPvRmT1_PNSt15iterator_traitsISK_E10value_typeET2_T3_PNSL_ISQ_E10value_typeET4_jRbjT5_SW_jjP12ihipStream_tbEUlT_E2_NS1_11comp_targetILNS1_3genE10ELNS1_11target_archE1201ELNS1_3gpuE5ELNS1_3repE0EEENS1_30default_config_static_selectorELNS0_4arch9wavefront6targetE1EEEvSK_,comdat
	.globl	_ZN7rocprim17ROCPRIM_400000_NS6detail17trampoline_kernelINS0_14default_configENS1_36segmented_radix_sort_config_selectorIblEEZNS1_25segmented_radix_sort_implIS3_Lb1EPKbPbPKlPlN2at6native12_GLOBAL__N_18offset_tEEE10hipError_tPvRmT1_PNSt15iterator_traitsISK_E10value_typeET2_T3_PNSL_ISQ_E10value_typeET4_jRbjT5_SW_jjP12ihipStream_tbEUlT_E2_NS1_11comp_targetILNS1_3genE10ELNS1_11target_archE1201ELNS1_3gpuE5ELNS1_3repE0EEENS1_30default_config_static_selectorELNS0_4arch9wavefront6targetE1EEEvSK_ ; -- Begin function _ZN7rocprim17ROCPRIM_400000_NS6detail17trampoline_kernelINS0_14default_configENS1_36segmented_radix_sort_config_selectorIblEEZNS1_25segmented_radix_sort_implIS3_Lb1EPKbPbPKlPlN2at6native12_GLOBAL__N_18offset_tEEE10hipError_tPvRmT1_PNSt15iterator_traitsISK_E10value_typeET2_T3_PNSL_ISQ_E10value_typeET4_jRbjT5_SW_jjP12ihipStream_tbEUlT_E2_NS1_11comp_targetILNS1_3genE10ELNS1_11target_archE1201ELNS1_3gpuE5ELNS1_3repE0EEENS1_30default_config_static_selectorELNS0_4arch9wavefront6targetE1EEEvSK_
	.p2align	8
	.type	_ZN7rocprim17ROCPRIM_400000_NS6detail17trampoline_kernelINS0_14default_configENS1_36segmented_radix_sort_config_selectorIblEEZNS1_25segmented_radix_sort_implIS3_Lb1EPKbPbPKlPlN2at6native12_GLOBAL__N_18offset_tEEE10hipError_tPvRmT1_PNSt15iterator_traitsISK_E10value_typeET2_T3_PNSL_ISQ_E10value_typeET4_jRbjT5_SW_jjP12ihipStream_tbEUlT_E2_NS1_11comp_targetILNS1_3genE10ELNS1_11target_archE1201ELNS1_3gpuE5ELNS1_3repE0EEENS1_30default_config_static_selectorELNS0_4arch9wavefront6targetE1EEEvSK_,@function
_ZN7rocprim17ROCPRIM_400000_NS6detail17trampoline_kernelINS0_14default_configENS1_36segmented_radix_sort_config_selectorIblEEZNS1_25segmented_radix_sort_implIS3_Lb1EPKbPbPKlPlN2at6native12_GLOBAL__N_18offset_tEEE10hipError_tPvRmT1_PNSt15iterator_traitsISK_E10value_typeET2_T3_PNSL_ISQ_E10value_typeET4_jRbjT5_SW_jjP12ihipStream_tbEUlT_E2_NS1_11comp_targetILNS1_3genE10ELNS1_11target_archE1201ELNS1_3gpuE5ELNS1_3repE0EEENS1_30default_config_static_selectorELNS0_4arch9wavefront6targetE1EEEvSK_: ; @_ZN7rocprim17ROCPRIM_400000_NS6detail17trampoline_kernelINS0_14default_configENS1_36segmented_radix_sort_config_selectorIblEEZNS1_25segmented_radix_sort_implIS3_Lb1EPKbPbPKlPlN2at6native12_GLOBAL__N_18offset_tEEE10hipError_tPvRmT1_PNSt15iterator_traitsISK_E10value_typeET2_T3_PNSL_ISQ_E10value_typeET4_jRbjT5_SW_jjP12ihipStream_tbEUlT_E2_NS1_11comp_targetILNS1_3genE10ELNS1_11target_archE1201ELNS1_3gpuE5ELNS1_3repE0EEENS1_30default_config_static_selectorELNS0_4arch9wavefront6targetE1EEEvSK_
; %bb.0:
	.section	.rodata,"a",@progbits
	.p2align	6, 0x0
	.amdhsa_kernel _ZN7rocprim17ROCPRIM_400000_NS6detail17trampoline_kernelINS0_14default_configENS1_36segmented_radix_sort_config_selectorIblEEZNS1_25segmented_radix_sort_implIS3_Lb1EPKbPbPKlPlN2at6native12_GLOBAL__N_18offset_tEEE10hipError_tPvRmT1_PNSt15iterator_traitsISK_E10value_typeET2_T3_PNSL_ISQ_E10value_typeET4_jRbjT5_SW_jjP12ihipStream_tbEUlT_E2_NS1_11comp_targetILNS1_3genE10ELNS1_11target_archE1201ELNS1_3gpuE5ELNS1_3repE0EEENS1_30default_config_static_selectorELNS0_4arch9wavefront6targetE1EEEvSK_
		.amdhsa_group_segment_fixed_size 0
		.amdhsa_private_segment_fixed_size 0
		.amdhsa_kernarg_size 80
		.amdhsa_user_sgpr_count 6
		.amdhsa_user_sgpr_private_segment_buffer 1
		.amdhsa_user_sgpr_dispatch_ptr 0
		.amdhsa_user_sgpr_queue_ptr 0
		.amdhsa_user_sgpr_kernarg_segment_ptr 1
		.amdhsa_user_sgpr_dispatch_id 0
		.amdhsa_user_sgpr_flat_scratch_init 0
		.amdhsa_user_sgpr_private_segment_size 0
		.amdhsa_uses_dynamic_stack 0
		.amdhsa_system_sgpr_private_segment_wavefront_offset 0
		.amdhsa_system_sgpr_workgroup_id_x 1
		.amdhsa_system_sgpr_workgroup_id_y 0
		.amdhsa_system_sgpr_workgroup_id_z 0
		.amdhsa_system_sgpr_workgroup_info 0
		.amdhsa_system_vgpr_workitem_id 0
		.amdhsa_next_free_vgpr 1
		.amdhsa_next_free_sgpr 0
		.amdhsa_reserve_vcc 0
		.amdhsa_reserve_flat_scratch 0
		.amdhsa_float_round_mode_32 0
		.amdhsa_float_round_mode_16_64 0
		.amdhsa_float_denorm_mode_32 3
		.amdhsa_float_denorm_mode_16_64 3
		.amdhsa_dx10_clamp 1
		.amdhsa_ieee_mode 1
		.amdhsa_fp16_overflow 0
		.amdhsa_exception_fp_ieee_invalid_op 0
		.amdhsa_exception_fp_denorm_src 0
		.amdhsa_exception_fp_ieee_div_zero 0
		.amdhsa_exception_fp_ieee_overflow 0
		.amdhsa_exception_fp_ieee_underflow 0
		.amdhsa_exception_fp_ieee_inexact 0
		.amdhsa_exception_int_div_zero 0
	.end_amdhsa_kernel
	.section	.text._ZN7rocprim17ROCPRIM_400000_NS6detail17trampoline_kernelINS0_14default_configENS1_36segmented_radix_sort_config_selectorIblEEZNS1_25segmented_radix_sort_implIS3_Lb1EPKbPbPKlPlN2at6native12_GLOBAL__N_18offset_tEEE10hipError_tPvRmT1_PNSt15iterator_traitsISK_E10value_typeET2_T3_PNSL_ISQ_E10value_typeET4_jRbjT5_SW_jjP12ihipStream_tbEUlT_E2_NS1_11comp_targetILNS1_3genE10ELNS1_11target_archE1201ELNS1_3gpuE5ELNS1_3repE0EEENS1_30default_config_static_selectorELNS0_4arch9wavefront6targetE1EEEvSK_,"axG",@progbits,_ZN7rocprim17ROCPRIM_400000_NS6detail17trampoline_kernelINS0_14default_configENS1_36segmented_radix_sort_config_selectorIblEEZNS1_25segmented_radix_sort_implIS3_Lb1EPKbPbPKlPlN2at6native12_GLOBAL__N_18offset_tEEE10hipError_tPvRmT1_PNSt15iterator_traitsISK_E10value_typeET2_T3_PNSL_ISQ_E10value_typeET4_jRbjT5_SW_jjP12ihipStream_tbEUlT_E2_NS1_11comp_targetILNS1_3genE10ELNS1_11target_archE1201ELNS1_3gpuE5ELNS1_3repE0EEENS1_30default_config_static_selectorELNS0_4arch9wavefront6targetE1EEEvSK_,comdat
.Lfunc_end1567:
	.size	_ZN7rocprim17ROCPRIM_400000_NS6detail17trampoline_kernelINS0_14default_configENS1_36segmented_radix_sort_config_selectorIblEEZNS1_25segmented_radix_sort_implIS3_Lb1EPKbPbPKlPlN2at6native12_GLOBAL__N_18offset_tEEE10hipError_tPvRmT1_PNSt15iterator_traitsISK_E10value_typeET2_T3_PNSL_ISQ_E10value_typeET4_jRbjT5_SW_jjP12ihipStream_tbEUlT_E2_NS1_11comp_targetILNS1_3genE10ELNS1_11target_archE1201ELNS1_3gpuE5ELNS1_3repE0EEENS1_30default_config_static_selectorELNS0_4arch9wavefront6targetE1EEEvSK_, .Lfunc_end1567-_ZN7rocprim17ROCPRIM_400000_NS6detail17trampoline_kernelINS0_14default_configENS1_36segmented_radix_sort_config_selectorIblEEZNS1_25segmented_radix_sort_implIS3_Lb1EPKbPbPKlPlN2at6native12_GLOBAL__N_18offset_tEEE10hipError_tPvRmT1_PNSt15iterator_traitsISK_E10value_typeET2_T3_PNSL_ISQ_E10value_typeET4_jRbjT5_SW_jjP12ihipStream_tbEUlT_E2_NS1_11comp_targetILNS1_3genE10ELNS1_11target_archE1201ELNS1_3gpuE5ELNS1_3repE0EEENS1_30default_config_static_selectorELNS0_4arch9wavefront6targetE1EEEvSK_
                                        ; -- End function
	.set _ZN7rocprim17ROCPRIM_400000_NS6detail17trampoline_kernelINS0_14default_configENS1_36segmented_radix_sort_config_selectorIblEEZNS1_25segmented_radix_sort_implIS3_Lb1EPKbPbPKlPlN2at6native12_GLOBAL__N_18offset_tEEE10hipError_tPvRmT1_PNSt15iterator_traitsISK_E10value_typeET2_T3_PNSL_ISQ_E10value_typeET4_jRbjT5_SW_jjP12ihipStream_tbEUlT_E2_NS1_11comp_targetILNS1_3genE10ELNS1_11target_archE1201ELNS1_3gpuE5ELNS1_3repE0EEENS1_30default_config_static_selectorELNS0_4arch9wavefront6targetE1EEEvSK_.num_vgpr, 0
	.set _ZN7rocprim17ROCPRIM_400000_NS6detail17trampoline_kernelINS0_14default_configENS1_36segmented_radix_sort_config_selectorIblEEZNS1_25segmented_radix_sort_implIS3_Lb1EPKbPbPKlPlN2at6native12_GLOBAL__N_18offset_tEEE10hipError_tPvRmT1_PNSt15iterator_traitsISK_E10value_typeET2_T3_PNSL_ISQ_E10value_typeET4_jRbjT5_SW_jjP12ihipStream_tbEUlT_E2_NS1_11comp_targetILNS1_3genE10ELNS1_11target_archE1201ELNS1_3gpuE5ELNS1_3repE0EEENS1_30default_config_static_selectorELNS0_4arch9wavefront6targetE1EEEvSK_.num_agpr, 0
	.set _ZN7rocprim17ROCPRIM_400000_NS6detail17trampoline_kernelINS0_14default_configENS1_36segmented_radix_sort_config_selectorIblEEZNS1_25segmented_radix_sort_implIS3_Lb1EPKbPbPKlPlN2at6native12_GLOBAL__N_18offset_tEEE10hipError_tPvRmT1_PNSt15iterator_traitsISK_E10value_typeET2_T3_PNSL_ISQ_E10value_typeET4_jRbjT5_SW_jjP12ihipStream_tbEUlT_E2_NS1_11comp_targetILNS1_3genE10ELNS1_11target_archE1201ELNS1_3gpuE5ELNS1_3repE0EEENS1_30default_config_static_selectorELNS0_4arch9wavefront6targetE1EEEvSK_.numbered_sgpr, 0
	.set _ZN7rocprim17ROCPRIM_400000_NS6detail17trampoline_kernelINS0_14default_configENS1_36segmented_radix_sort_config_selectorIblEEZNS1_25segmented_radix_sort_implIS3_Lb1EPKbPbPKlPlN2at6native12_GLOBAL__N_18offset_tEEE10hipError_tPvRmT1_PNSt15iterator_traitsISK_E10value_typeET2_T3_PNSL_ISQ_E10value_typeET4_jRbjT5_SW_jjP12ihipStream_tbEUlT_E2_NS1_11comp_targetILNS1_3genE10ELNS1_11target_archE1201ELNS1_3gpuE5ELNS1_3repE0EEENS1_30default_config_static_selectorELNS0_4arch9wavefront6targetE1EEEvSK_.num_named_barrier, 0
	.set _ZN7rocprim17ROCPRIM_400000_NS6detail17trampoline_kernelINS0_14default_configENS1_36segmented_radix_sort_config_selectorIblEEZNS1_25segmented_radix_sort_implIS3_Lb1EPKbPbPKlPlN2at6native12_GLOBAL__N_18offset_tEEE10hipError_tPvRmT1_PNSt15iterator_traitsISK_E10value_typeET2_T3_PNSL_ISQ_E10value_typeET4_jRbjT5_SW_jjP12ihipStream_tbEUlT_E2_NS1_11comp_targetILNS1_3genE10ELNS1_11target_archE1201ELNS1_3gpuE5ELNS1_3repE0EEENS1_30default_config_static_selectorELNS0_4arch9wavefront6targetE1EEEvSK_.private_seg_size, 0
	.set _ZN7rocprim17ROCPRIM_400000_NS6detail17trampoline_kernelINS0_14default_configENS1_36segmented_radix_sort_config_selectorIblEEZNS1_25segmented_radix_sort_implIS3_Lb1EPKbPbPKlPlN2at6native12_GLOBAL__N_18offset_tEEE10hipError_tPvRmT1_PNSt15iterator_traitsISK_E10value_typeET2_T3_PNSL_ISQ_E10value_typeET4_jRbjT5_SW_jjP12ihipStream_tbEUlT_E2_NS1_11comp_targetILNS1_3genE10ELNS1_11target_archE1201ELNS1_3gpuE5ELNS1_3repE0EEENS1_30default_config_static_selectorELNS0_4arch9wavefront6targetE1EEEvSK_.uses_vcc, 0
	.set _ZN7rocprim17ROCPRIM_400000_NS6detail17trampoline_kernelINS0_14default_configENS1_36segmented_radix_sort_config_selectorIblEEZNS1_25segmented_radix_sort_implIS3_Lb1EPKbPbPKlPlN2at6native12_GLOBAL__N_18offset_tEEE10hipError_tPvRmT1_PNSt15iterator_traitsISK_E10value_typeET2_T3_PNSL_ISQ_E10value_typeET4_jRbjT5_SW_jjP12ihipStream_tbEUlT_E2_NS1_11comp_targetILNS1_3genE10ELNS1_11target_archE1201ELNS1_3gpuE5ELNS1_3repE0EEENS1_30default_config_static_selectorELNS0_4arch9wavefront6targetE1EEEvSK_.uses_flat_scratch, 0
	.set _ZN7rocprim17ROCPRIM_400000_NS6detail17trampoline_kernelINS0_14default_configENS1_36segmented_radix_sort_config_selectorIblEEZNS1_25segmented_radix_sort_implIS3_Lb1EPKbPbPKlPlN2at6native12_GLOBAL__N_18offset_tEEE10hipError_tPvRmT1_PNSt15iterator_traitsISK_E10value_typeET2_T3_PNSL_ISQ_E10value_typeET4_jRbjT5_SW_jjP12ihipStream_tbEUlT_E2_NS1_11comp_targetILNS1_3genE10ELNS1_11target_archE1201ELNS1_3gpuE5ELNS1_3repE0EEENS1_30default_config_static_selectorELNS0_4arch9wavefront6targetE1EEEvSK_.has_dyn_sized_stack, 0
	.set _ZN7rocprim17ROCPRIM_400000_NS6detail17trampoline_kernelINS0_14default_configENS1_36segmented_radix_sort_config_selectorIblEEZNS1_25segmented_radix_sort_implIS3_Lb1EPKbPbPKlPlN2at6native12_GLOBAL__N_18offset_tEEE10hipError_tPvRmT1_PNSt15iterator_traitsISK_E10value_typeET2_T3_PNSL_ISQ_E10value_typeET4_jRbjT5_SW_jjP12ihipStream_tbEUlT_E2_NS1_11comp_targetILNS1_3genE10ELNS1_11target_archE1201ELNS1_3gpuE5ELNS1_3repE0EEENS1_30default_config_static_selectorELNS0_4arch9wavefront6targetE1EEEvSK_.has_recursion, 0
	.set _ZN7rocprim17ROCPRIM_400000_NS6detail17trampoline_kernelINS0_14default_configENS1_36segmented_radix_sort_config_selectorIblEEZNS1_25segmented_radix_sort_implIS3_Lb1EPKbPbPKlPlN2at6native12_GLOBAL__N_18offset_tEEE10hipError_tPvRmT1_PNSt15iterator_traitsISK_E10value_typeET2_T3_PNSL_ISQ_E10value_typeET4_jRbjT5_SW_jjP12ihipStream_tbEUlT_E2_NS1_11comp_targetILNS1_3genE10ELNS1_11target_archE1201ELNS1_3gpuE5ELNS1_3repE0EEENS1_30default_config_static_selectorELNS0_4arch9wavefront6targetE1EEEvSK_.has_indirect_call, 0
	.section	.AMDGPU.csdata,"",@progbits
; Kernel info:
; codeLenInByte = 0
; TotalNumSgprs: 4
; NumVgprs: 0
; ScratchSize: 0
; MemoryBound: 0
; FloatMode: 240
; IeeeMode: 1
; LDSByteSize: 0 bytes/workgroup (compile time only)
; SGPRBlocks: 0
; VGPRBlocks: 0
; NumSGPRsForWavesPerEU: 4
; NumVGPRsForWavesPerEU: 1
; Occupancy: 10
; WaveLimiterHint : 0
; COMPUTE_PGM_RSRC2:SCRATCH_EN: 0
; COMPUTE_PGM_RSRC2:USER_SGPR: 6
; COMPUTE_PGM_RSRC2:TRAP_HANDLER: 0
; COMPUTE_PGM_RSRC2:TGID_X_EN: 1
; COMPUTE_PGM_RSRC2:TGID_Y_EN: 0
; COMPUTE_PGM_RSRC2:TGID_Z_EN: 0
; COMPUTE_PGM_RSRC2:TIDIG_COMP_CNT: 0
	.section	.text._ZN7rocprim17ROCPRIM_400000_NS6detail17trampoline_kernelINS0_14default_configENS1_36segmented_radix_sort_config_selectorIblEEZNS1_25segmented_radix_sort_implIS3_Lb1EPKbPbPKlPlN2at6native12_GLOBAL__N_18offset_tEEE10hipError_tPvRmT1_PNSt15iterator_traitsISK_E10value_typeET2_T3_PNSL_ISQ_E10value_typeET4_jRbjT5_SW_jjP12ihipStream_tbEUlT_E2_NS1_11comp_targetILNS1_3genE10ELNS1_11target_archE1200ELNS1_3gpuE4ELNS1_3repE0EEENS1_30default_config_static_selectorELNS0_4arch9wavefront6targetE1EEEvSK_,"axG",@progbits,_ZN7rocprim17ROCPRIM_400000_NS6detail17trampoline_kernelINS0_14default_configENS1_36segmented_radix_sort_config_selectorIblEEZNS1_25segmented_radix_sort_implIS3_Lb1EPKbPbPKlPlN2at6native12_GLOBAL__N_18offset_tEEE10hipError_tPvRmT1_PNSt15iterator_traitsISK_E10value_typeET2_T3_PNSL_ISQ_E10value_typeET4_jRbjT5_SW_jjP12ihipStream_tbEUlT_E2_NS1_11comp_targetILNS1_3genE10ELNS1_11target_archE1200ELNS1_3gpuE4ELNS1_3repE0EEENS1_30default_config_static_selectorELNS0_4arch9wavefront6targetE1EEEvSK_,comdat
	.globl	_ZN7rocprim17ROCPRIM_400000_NS6detail17trampoline_kernelINS0_14default_configENS1_36segmented_radix_sort_config_selectorIblEEZNS1_25segmented_radix_sort_implIS3_Lb1EPKbPbPKlPlN2at6native12_GLOBAL__N_18offset_tEEE10hipError_tPvRmT1_PNSt15iterator_traitsISK_E10value_typeET2_T3_PNSL_ISQ_E10value_typeET4_jRbjT5_SW_jjP12ihipStream_tbEUlT_E2_NS1_11comp_targetILNS1_3genE10ELNS1_11target_archE1200ELNS1_3gpuE4ELNS1_3repE0EEENS1_30default_config_static_selectorELNS0_4arch9wavefront6targetE1EEEvSK_ ; -- Begin function _ZN7rocprim17ROCPRIM_400000_NS6detail17trampoline_kernelINS0_14default_configENS1_36segmented_radix_sort_config_selectorIblEEZNS1_25segmented_radix_sort_implIS3_Lb1EPKbPbPKlPlN2at6native12_GLOBAL__N_18offset_tEEE10hipError_tPvRmT1_PNSt15iterator_traitsISK_E10value_typeET2_T3_PNSL_ISQ_E10value_typeET4_jRbjT5_SW_jjP12ihipStream_tbEUlT_E2_NS1_11comp_targetILNS1_3genE10ELNS1_11target_archE1200ELNS1_3gpuE4ELNS1_3repE0EEENS1_30default_config_static_selectorELNS0_4arch9wavefront6targetE1EEEvSK_
	.p2align	8
	.type	_ZN7rocprim17ROCPRIM_400000_NS6detail17trampoline_kernelINS0_14default_configENS1_36segmented_radix_sort_config_selectorIblEEZNS1_25segmented_radix_sort_implIS3_Lb1EPKbPbPKlPlN2at6native12_GLOBAL__N_18offset_tEEE10hipError_tPvRmT1_PNSt15iterator_traitsISK_E10value_typeET2_T3_PNSL_ISQ_E10value_typeET4_jRbjT5_SW_jjP12ihipStream_tbEUlT_E2_NS1_11comp_targetILNS1_3genE10ELNS1_11target_archE1200ELNS1_3gpuE4ELNS1_3repE0EEENS1_30default_config_static_selectorELNS0_4arch9wavefront6targetE1EEEvSK_,@function
_ZN7rocprim17ROCPRIM_400000_NS6detail17trampoline_kernelINS0_14default_configENS1_36segmented_radix_sort_config_selectorIblEEZNS1_25segmented_radix_sort_implIS3_Lb1EPKbPbPKlPlN2at6native12_GLOBAL__N_18offset_tEEE10hipError_tPvRmT1_PNSt15iterator_traitsISK_E10value_typeET2_T3_PNSL_ISQ_E10value_typeET4_jRbjT5_SW_jjP12ihipStream_tbEUlT_E2_NS1_11comp_targetILNS1_3genE10ELNS1_11target_archE1200ELNS1_3gpuE4ELNS1_3repE0EEENS1_30default_config_static_selectorELNS0_4arch9wavefront6targetE1EEEvSK_: ; @_ZN7rocprim17ROCPRIM_400000_NS6detail17trampoline_kernelINS0_14default_configENS1_36segmented_radix_sort_config_selectorIblEEZNS1_25segmented_radix_sort_implIS3_Lb1EPKbPbPKlPlN2at6native12_GLOBAL__N_18offset_tEEE10hipError_tPvRmT1_PNSt15iterator_traitsISK_E10value_typeET2_T3_PNSL_ISQ_E10value_typeET4_jRbjT5_SW_jjP12ihipStream_tbEUlT_E2_NS1_11comp_targetILNS1_3genE10ELNS1_11target_archE1200ELNS1_3gpuE4ELNS1_3repE0EEENS1_30default_config_static_selectorELNS0_4arch9wavefront6targetE1EEEvSK_
; %bb.0:
	.section	.rodata,"a",@progbits
	.p2align	6, 0x0
	.amdhsa_kernel _ZN7rocprim17ROCPRIM_400000_NS6detail17trampoline_kernelINS0_14default_configENS1_36segmented_radix_sort_config_selectorIblEEZNS1_25segmented_radix_sort_implIS3_Lb1EPKbPbPKlPlN2at6native12_GLOBAL__N_18offset_tEEE10hipError_tPvRmT1_PNSt15iterator_traitsISK_E10value_typeET2_T3_PNSL_ISQ_E10value_typeET4_jRbjT5_SW_jjP12ihipStream_tbEUlT_E2_NS1_11comp_targetILNS1_3genE10ELNS1_11target_archE1200ELNS1_3gpuE4ELNS1_3repE0EEENS1_30default_config_static_selectorELNS0_4arch9wavefront6targetE1EEEvSK_
		.amdhsa_group_segment_fixed_size 0
		.amdhsa_private_segment_fixed_size 0
		.amdhsa_kernarg_size 80
		.amdhsa_user_sgpr_count 6
		.amdhsa_user_sgpr_private_segment_buffer 1
		.amdhsa_user_sgpr_dispatch_ptr 0
		.amdhsa_user_sgpr_queue_ptr 0
		.amdhsa_user_sgpr_kernarg_segment_ptr 1
		.amdhsa_user_sgpr_dispatch_id 0
		.amdhsa_user_sgpr_flat_scratch_init 0
		.amdhsa_user_sgpr_private_segment_size 0
		.amdhsa_uses_dynamic_stack 0
		.amdhsa_system_sgpr_private_segment_wavefront_offset 0
		.amdhsa_system_sgpr_workgroup_id_x 1
		.amdhsa_system_sgpr_workgroup_id_y 0
		.amdhsa_system_sgpr_workgroup_id_z 0
		.amdhsa_system_sgpr_workgroup_info 0
		.amdhsa_system_vgpr_workitem_id 0
		.amdhsa_next_free_vgpr 1
		.amdhsa_next_free_sgpr 0
		.amdhsa_reserve_vcc 0
		.amdhsa_reserve_flat_scratch 0
		.amdhsa_float_round_mode_32 0
		.amdhsa_float_round_mode_16_64 0
		.amdhsa_float_denorm_mode_32 3
		.amdhsa_float_denorm_mode_16_64 3
		.amdhsa_dx10_clamp 1
		.amdhsa_ieee_mode 1
		.amdhsa_fp16_overflow 0
		.amdhsa_exception_fp_ieee_invalid_op 0
		.amdhsa_exception_fp_denorm_src 0
		.amdhsa_exception_fp_ieee_div_zero 0
		.amdhsa_exception_fp_ieee_overflow 0
		.amdhsa_exception_fp_ieee_underflow 0
		.amdhsa_exception_fp_ieee_inexact 0
		.amdhsa_exception_int_div_zero 0
	.end_amdhsa_kernel
	.section	.text._ZN7rocprim17ROCPRIM_400000_NS6detail17trampoline_kernelINS0_14default_configENS1_36segmented_radix_sort_config_selectorIblEEZNS1_25segmented_radix_sort_implIS3_Lb1EPKbPbPKlPlN2at6native12_GLOBAL__N_18offset_tEEE10hipError_tPvRmT1_PNSt15iterator_traitsISK_E10value_typeET2_T3_PNSL_ISQ_E10value_typeET4_jRbjT5_SW_jjP12ihipStream_tbEUlT_E2_NS1_11comp_targetILNS1_3genE10ELNS1_11target_archE1200ELNS1_3gpuE4ELNS1_3repE0EEENS1_30default_config_static_selectorELNS0_4arch9wavefront6targetE1EEEvSK_,"axG",@progbits,_ZN7rocprim17ROCPRIM_400000_NS6detail17trampoline_kernelINS0_14default_configENS1_36segmented_radix_sort_config_selectorIblEEZNS1_25segmented_radix_sort_implIS3_Lb1EPKbPbPKlPlN2at6native12_GLOBAL__N_18offset_tEEE10hipError_tPvRmT1_PNSt15iterator_traitsISK_E10value_typeET2_T3_PNSL_ISQ_E10value_typeET4_jRbjT5_SW_jjP12ihipStream_tbEUlT_E2_NS1_11comp_targetILNS1_3genE10ELNS1_11target_archE1200ELNS1_3gpuE4ELNS1_3repE0EEENS1_30default_config_static_selectorELNS0_4arch9wavefront6targetE1EEEvSK_,comdat
.Lfunc_end1568:
	.size	_ZN7rocprim17ROCPRIM_400000_NS6detail17trampoline_kernelINS0_14default_configENS1_36segmented_radix_sort_config_selectorIblEEZNS1_25segmented_radix_sort_implIS3_Lb1EPKbPbPKlPlN2at6native12_GLOBAL__N_18offset_tEEE10hipError_tPvRmT1_PNSt15iterator_traitsISK_E10value_typeET2_T3_PNSL_ISQ_E10value_typeET4_jRbjT5_SW_jjP12ihipStream_tbEUlT_E2_NS1_11comp_targetILNS1_3genE10ELNS1_11target_archE1200ELNS1_3gpuE4ELNS1_3repE0EEENS1_30default_config_static_selectorELNS0_4arch9wavefront6targetE1EEEvSK_, .Lfunc_end1568-_ZN7rocprim17ROCPRIM_400000_NS6detail17trampoline_kernelINS0_14default_configENS1_36segmented_radix_sort_config_selectorIblEEZNS1_25segmented_radix_sort_implIS3_Lb1EPKbPbPKlPlN2at6native12_GLOBAL__N_18offset_tEEE10hipError_tPvRmT1_PNSt15iterator_traitsISK_E10value_typeET2_T3_PNSL_ISQ_E10value_typeET4_jRbjT5_SW_jjP12ihipStream_tbEUlT_E2_NS1_11comp_targetILNS1_3genE10ELNS1_11target_archE1200ELNS1_3gpuE4ELNS1_3repE0EEENS1_30default_config_static_selectorELNS0_4arch9wavefront6targetE1EEEvSK_
                                        ; -- End function
	.set _ZN7rocprim17ROCPRIM_400000_NS6detail17trampoline_kernelINS0_14default_configENS1_36segmented_radix_sort_config_selectorIblEEZNS1_25segmented_radix_sort_implIS3_Lb1EPKbPbPKlPlN2at6native12_GLOBAL__N_18offset_tEEE10hipError_tPvRmT1_PNSt15iterator_traitsISK_E10value_typeET2_T3_PNSL_ISQ_E10value_typeET4_jRbjT5_SW_jjP12ihipStream_tbEUlT_E2_NS1_11comp_targetILNS1_3genE10ELNS1_11target_archE1200ELNS1_3gpuE4ELNS1_3repE0EEENS1_30default_config_static_selectorELNS0_4arch9wavefront6targetE1EEEvSK_.num_vgpr, 0
	.set _ZN7rocprim17ROCPRIM_400000_NS6detail17trampoline_kernelINS0_14default_configENS1_36segmented_radix_sort_config_selectorIblEEZNS1_25segmented_radix_sort_implIS3_Lb1EPKbPbPKlPlN2at6native12_GLOBAL__N_18offset_tEEE10hipError_tPvRmT1_PNSt15iterator_traitsISK_E10value_typeET2_T3_PNSL_ISQ_E10value_typeET4_jRbjT5_SW_jjP12ihipStream_tbEUlT_E2_NS1_11comp_targetILNS1_3genE10ELNS1_11target_archE1200ELNS1_3gpuE4ELNS1_3repE0EEENS1_30default_config_static_selectorELNS0_4arch9wavefront6targetE1EEEvSK_.num_agpr, 0
	.set _ZN7rocprim17ROCPRIM_400000_NS6detail17trampoline_kernelINS0_14default_configENS1_36segmented_radix_sort_config_selectorIblEEZNS1_25segmented_radix_sort_implIS3_Lb1EPKbPbPKlPlN2at6native12_GLOBAL__N_18offset_tEEE10hipError_tPvRmT1_PNSt15iterator_traitsISK_E10value_typeET2_T3_PNSL_ISQ_E10value_typeET4_jRbjT5_SW_jjP12ihipStream_tbEUlT_E2_NS1_11comp_targetILNS1_3genE10ELNS1_11target_archE1200ELNS1_3gpuE4ELNS1_3repE0EEENS1_30default_config_static_selectorELNS0_4arch9wavefront6targetE1EEEvSK_.numbered_sgpr, 0
	.set _ZN7rocprim17ROCPRIM_400000_NS6detail17trampoline_kernelINS0_14default_configENS1_36segmented_radix_sort_config_selectorIblEEZNS1_25segmented_radix_sort_implIS3_Lb1EPKbPbPKlPlN2at6native12_GLOBAL__N_18offset_tEEE10hipError_tPvRmT1_PNSt15iterator_traitsISK_E10value_typeET2_T3_PNSL_ISQ_E10value_typeET4_jRbjT5_SW_jjP12ihipStream_tbEUlT_E2_NS1_11comp_targetILNS1_3genE10ELNS1_11target_archE1200ELNS1_3gpuE4ELNS1_3repE0EEENS1_30default_config_static_selectorELNS0_4arch9wavefront6targetE1EEEvSK_.num_named_barrier, 0
	.set _ZN7rocprim17ROCPRIM_400000_NS6detail17trampoline_kernelINS0_14default_configENS1_36segmented_radix_sort_config_selectorIblEEZNS1_25segmented_radix_sort_implIS3_Lb1EPKbPbPKlPlN2at6native12_GLOBAL__N_18offset_tEEE10hipError_tPvRmT1_PNSt15iterator_traitsISK_E10value_typeET2_T3_PNSL_ISQ_E10value_typeET4_jRbjT5_SW_jjP12ihipStream_tbEUlT_E2_NS1_11comp_targetILNS1_3genE10ELNS1_11target_archE1200ELNS1_3gpuE4ELNS1_3repE0EEENS1_30default_config_static_selectorELNS0_4arch9wavefront6targetE1EEEvSK_.private_seg_size, 0
	.set _ZN7rocprim17ROCPRIM_400000_NS6detail17trampoline_kernelINS0_14default_configENS1_36segmented_radix_sort_config_selectorIblEEZNS1_25segmented_radix_sort_implIS3_Lb1EPKbPbPKlPlN2at6native12_GLOBAL__N_18offset_tEEE10hipError_tPvRmT1_PNSt15iterator_traitsISK_E10value_typeET2_T3_PNSL_ISQ_E10value_typeET4_jRbjT5_SW_jjP12ihipStream_tbEUlT_E2_NS1_11comp_targetILNS1_3genE10ELNS1_11target_archE1200ELNS1_3gpuE4ELNS1_3repE0EEENS1_30default_config_static_selectorELNS0_4arch9wavefront6targetE1EEEvSK_.uses_vcc, 0
	.set _ZN7rocprim17ROCPRIM_400000_NS6detail17trampoline_kernelINS0_14default_configENS1_36segmented_radix_sort_config_selectorIblEEZNS1_25segmented_radix_sort_implIS3_Lb1EPKbPbPKlPlN2at6native12_GLOBAL__N_18offset_tEEE10hipError_tPvRmT1_PNSt15iterator_traitsISK_E10value_typeET2_T3_PNSL_ISQ_E10value_typeET4_jRbjT5_SW_jjP12ihipStream_tbEUlT_E2_NS1_11comp_targetILNS1_3genE10ELNS1_11target_archE1200ELNS1_3gpuE4ELNS1_3repE0EEENS1_30default_config_static_selectorELNS0_4arch9wavefront6targetE1EEEvSK_.uses_flat_scratch, 0
	.set _ZN7rocprim17ROCPRIM_400000_NS6detail17trampoline_kernelINS0_14default_configENS1_36segmented_radix_sort_config_selectorIblEEZNS1_25segmented_radix_sort_implIS3_Lb1EPKbPbPKlPlN2at6native12_GLOBAL__N_18offset_tEEE10hipError_tPvRmT1_PNSt15iterator_traitsISK_E10value_typeET2_T3_PNSL_ISQ_E10value_typeET4_jRbjT5_SW_jjP12ihipStream_tbEUlT_E2_NS1_11comp_targetILNS1_3genE10ELNS1_11target_archE1200ELNS1_3gpuE4ELNS1_3repE0EEENS1_30default_config_static_selectorELNS0_4arch9wavefront6targetE1EEEvSK_.has_dyn_sized_stack, 0
	.set _ZN7rocprim17ROCPRIM_400000_NS6detail17trampoline_kernelINS0_14default_configENS1_36segmented_radix_sort_config_selectorIblEEZNS1_25segmented_radix_sort_implIS3_Lb1EPKbPbPKlPlN2at6native12_GLOBAL__N_18offset_tEEE10hipError_tPvRmT1_PNSt15iterator_traitsISK_E10value_typeET2_T3_PNSL_ISQ_E10value_typeET4_jRbjT5_SW_jjP12ihipStream_tbEUlT_E2_NS1_11comp_targetILNS1_3genE10ELNS1_11target_archE1200ELNS1_3gpuE4ELNS1_3repE0EEENS1_30default_config_static_selectorELNS0_4arch9wavefront6targetE1EEEvSK_.has_recursion, 0
	.set _ZN7rocprim17ROCPRIM_400000_NS6detail17trampoline_kernelINS0_14default_configENS1_36segmented_radix_sort_config_selectorIblEEZNS1_25segmented_radix_sort_implIS3_Lb1EPKbPbPKlPlN2at6native12_GLOBAL__N_18offset_tEEE10hipError_tPvRmT1_PNSt15iterator_traitsISK_E10value_typeET2_T3_PNSL_ISQ_E10value_typeET4_jRbjT5_SW_jjP12ihipStream_tbEUlT_E2_NS1_11comp_targetILNS1_3genE10ELNS1_11target_archE1200ELNS1_3gpuE4ELNS1_3repE0EEENS1_30default_config_static_selectorELNS0_4arch9wavefront6targetE1EEEvSK_.has_indirect_call, 0
	.section	.AMDGPU.csdata,"",@progbits
; Kernel info:
; codeLenInByte = 0
; TotalNumSgprs: 4
; NumVgprs: 0
; ScratchSize: 0
; MemoryBound: 0
; FloatMode: 240
; IeeeMode: 1
; LDSByteSize: 0 bytes/workgroup (compile time only)
; SGPRBlocks: 0
; VGPRBlocks: 0
; NumSGPRsForWavesPerEU: 4
; NumVGPRsForWavesPerEU: 1
; Occupancy: 10
; WaveLimiterHint : 0
; COMPUTE_PGM_RSRC2:SCRATCH_EN: 0
; COMPUTE_PGM_RSRC2:USER_SGPR: 6
; COMPUTE_PGM_RSRC2:TRAP_HANDLER: 0
; COMPUTE_PGM_RSRC2:TGID_X_EN: 1
; COMPUTE_PGM_RSRC2:TGID_Y_EN: 0
; COMPUTE_PGM_RSRC2:TGID_Z_EN: 0
; COMPUTE_PGM_RSRC2:TIDIG_COMP_CNT: 0
	.section	.text._ZN7rocprim17ROCPRIM_400000_NS6detail17trampoline_kernelINS0_14default_configENS1_36segmented_radix_sort_config_selectorIblEEZNS1_25segmented_radix_sort_implIS3_Lb1EPKbPbPKlPlN2at6native12_GLOBAL__N_18offset_tEEE10hipError_tPvRmT1_PNSt15iterator_traitsISK_E10value_typeET2_T3_PNSL_ISQ_E10value_typeET4_jRbjT5_SW_jjP12ihipStream_tbEUlT_E2_NS1_11comp_targetILNS1_3genE9ELNS1_11target_archE1100ELNS1_3gpuE3ELNS1_3repE0EEENS1_30default_config_static_selectorELNS0_4arch9wavefront6targetE1EEEvSK_,"axG",@progbits,_ZN7rocprim17ROCPRIM_400000_NS6detail17trampoline_kernelINS0_14default_configENS1_36segmented_radix_sort_config_selectorIblEEZNS1_25segmented_radix_sort_implIS3_Lb1EPKbPbPKlPlN2at6native12_GLOBAL__N_18offset_tEEE10hipError_tPvRmT1_PNSt15iterator_traitsISK_E10value_typeET2_T3_PNSL_ISQ_E10value_typeET4_jRbjT5_SW_jjP12ihipStream_tbEUlT_E2_NS1_11comp_targetILNS1_3genE9ELNS1_11target_archE1100ELNS1_3gpuE3ELNS1_3repE0EEENS1_30default_config_static_selectorELNS0_4arch9wavefront6targetE1EEEvSK_,comdat
	.globl	_ZN7rocprim17ROCPRIM_400000_NS6detail17trampoline_kernelINS0_14default_configENS1_36segmented_radix_sort_config_selectorIblEEZNS1_25segmented_radix_sort_implIS3_Lb1EPKbPbPKlPlN2at6native12_GLOBAL__N_18offset_tEEE10hipError_tPvRmT1_PNSt15iterator_traitsISK_E10value_typeET2_T3_PNSL_ISQ_E10value_typeET4_jRbjT5_SW_jjP12ihipStream_tbEUlT_E2_NS1_11comp_targetILNS1_3genE9ELNS1_11target_archE1100ELNS1_3gpuE3ELNS1_3repE0EEENS1_30default_config_static_selectorELNS0_4arch9wavefront6targetE1EEEvSK_ ; -- Begin function _ZN7rocprim17ROCPRIM_400000_NS6detail17trampoline_kernelINS0_14default_configENS1_36segmented_radix_sort_config_selectorIblEEZNS1_25segmented_radix_sort_implIS3_Lb1EPKbPbPKlPlN2at6native12_GLOBAL__N_18offset_tEEE10hipError_tPvRmT1_PNSt15iterator_traitsISK_E10value_typeET2_T3_PNSL_ISQ_E10value_typeET4_jRbjT5_SW_jjP12ihipStream_tbEUlT_E2_NS1_11comp_targetILNS1_3genE9ELNS1_11target_archE1100ELNS1_3gpuE3ELNS1_3repE0EEENS1_30default_config_static_selectorELNS0_4arch9wavefront6targetE1EEEvSK_
	.p2align	8
	.type	_ZN7rocprim17ROCPRIM_400000_NS6detail17trampoline_kernelINS0_14default_configENS1_36segmented_radix_sort_config_selectorIblEEZNS1_25segmented_radix_sort_implIS3_Lb1EPKbPbPKlPlN2at6native12_GLOBAL__N_18offset_tEEE10hipError_tPvRmT1_PNSt15iterator_traitsISK_E10value_typeET2_T3_PNSL_ISQ_E10value_typeET4_jRbjT5_SW_jjP12ihipStream_tbEUlT_E2_NS1_11comp_targetILNS1_3genE9ELNS1_11target_archE1100ELNS1_3gpuE3ELNS1_3repE0EEENS1_30default_config_static_selectorELNS0_4arch9wavefront6targetE1EEEvSK_,@function
_ZN7rocprim17ROCPRIM_400000_NS6detail17trampoline_kernelINS0_14default_configENS1_36segmented_radix_sort_config_selectorIblEEZNS1_25segmented_radix_sort_implIS3_Lb1EPKbPbPKlPlN2at6native12_GLOBAL__N_18offset_tEEE10hipError_tPvRmT1_PNSt15iterator_traitsISK_E10value_typeET2_T3_PNSL_ISQ_E10value_typeET4_jRbjT5_SW_jjP12ihipStream_tbEUlT_E2_NS1_11comp_targetILNS1_3genE9ELNS1_11target_archE1100ELNS1_3gpuE3ELNS1_3repE0EEENS1_30default_config_static_selectorELNS0_4arch9wavefront6targetE1EEEvSK_: ; @_ZN7rocprim17ROCPRIM_400000_NS6detail17trampoline_kernelINS0_14default_configENS1_36segmented_radix_sort_config_selectorIblEEZNS1_25segmented_radix_sort_implIS3_Lb1EPKbPbPKlPlN2at6native12_GLOBAL__N_18offset_tEEE10hipError_tPvRmT1_PNSt15iterator_traitsISK_E10value_typeET2_T3_PNSL_ISQ_E10value_typeET4_jRbjT5_SW_jjP12ihipStream_tbEUlT_E2_NS1_11comp_targetILNS1_3genE9ELNS1_11target_archE1100ELNS1_3gpuE3ELNS1_3repE0EEENS1_30default_config_static_selectorELNS0_4arch9wavefront6targetE1EEEvSK_
; %bb.0:
	.section	.rodata,"a",@progbits
	.p2align	6, 0x0
	.amdhsa_kernel _ZN7rocprim17ROCPRIM_400000_NS6detail17trampoline_kernelINS0_14default_configENS1_36segmented_radix_sort_config_selectorIblEEZNS1_25segmented_radix_sort_implIS3_Lb1EPKbPbPKlPlN2at6native12_GLOBAL__N_18offset_tEEE10hipError_tPvRmT1_PNSt15iterator_traitsISK_E10value_typeET2_T3_PNSL_ISQ_E10value_typeET4_jRbjT5_SW_jjP12ihipStream_tbEUlT_E2_NS1_11comp_targetILNS1_3genE9ELNS1_11target_archE1100ELNS1_3gpuE3ELNS1_3repE0EEENS1_30default_config_static_selectorELNS0_4arch9wavefront6targetE1EEEvSK_
		.amdhsa_group_segment_fixed_size 0
		.amdhsa_private_segment_fixed_size 0
		.amdhsa_kernarg_size 80
		.amdhsa_user_sgpr_count 6
		.amdhsa_user_sgpr_private_segment_buffer 1
		.amdhsa_user_sgpr_dispatch_ptr 0
		.amdhsa_user_sgpr_queue_ptr 0
		.amdhsa_user_sgpr_kernarg_segment_ptr 1
		.amdhsa_user_sgpr_dispatch_id 0
		.amdhsa_user_sgpr_flat_scratch_init 0
		.amdhsa_user_sgpr_private_segment_size 0
		.amdhsa_uses_dynamic_stack 0
		.amdhsa_system_sgpr_private_segment_wavefront_offset 0
		.amdhsa_system_sgpr_workgroup_id_x 1
		.amdhsa_system_sgpr_workgroup_id_y 0
		.amdhsa_system_sgpr_workgroup_id_z 0
		.amdhsa_system_sgpr_workgroup_info 0
		.amdhsa_system_vgpr_workitem_id 0
		.amdhsa_next_free_vgpr 1
		.amdhsa_next_free_sgpr 0
		.amdhsa_reserve_vcc 0
		.amdhsa_reserve_flat_scratch 0
		.amdhsa_float_round_mode_32 0
		.amdhsa_float_round_mode_16_64 0
		.amdhsa_float_denorm_mode_32 3
		.amdhsa_float_denorm_mode_16_64 3
		.amdhsa_dx10_clamp 1
		.amdhsa_ieee_mode 1
		.amdhsa_fp16_overflow 0
		.amdhsa_exception_fp_ieee_invalid_op 0
		.amdhsa_exception_fp_denorm_src 0
		.amdhsa_exception_fp_ieee_div_zero 0
		.amdhsa_exception_fp_ieee_overflow 0
		.amdhsa_exception_fp_ieee_underflow 0
		.amdhsa_exception_fp_ieee_inexact 0
		.amdhsa_exception_int_div_zero 0
	.end_amdhsa_kernel
	.section	.text._ZN7rocprim17ROCPRIM_400000_NS6detail17trampoline_kernelINS0_14default_configENS1_36segmented_radix_sort_config_selectorIblEEZNS1_25segmented_radix_sort_implIS3_Lb1EPKbPbPKlPlN2at6native12_GLOBAL__N_18offset_tEEE10hipError_tPvRmT1_PNSt15iterator_traitsISK_E10value_typeET2_T3_PNSL_ISQ_E10value_typeET4_jRbjT5_SW_jjP12ihipStream_tbEUlT_E2_NS1_11comp_targetILNS1_3genE9ELNS1_11target_archE1100ELNS1_3gpuE3ELNS1_3repE0EEENS1_30default_config_static_selectorELNS0_4arch9wavefront6targetE1EEEvSK_,"axG",@progbits,_ZN7rocprim17ROCPRIM_400000_NS6detail17trampoline_kernelINS0_14default_configENS1_36segmented_radix_sort_config_selectorIblEEZNS1_25segmented_radix_sort_implIS3_Lb1EPKbPbPKlPlN2at6native12_GLOBAL__N_18offset_tEEE10hipError_tPvRmT1_PNSt15iterator_traitsISK_E10value_typeET2_T3_PNSL_ISQ_E10value_typeET4_jRbjT5_SW_jjP12ihipStream_tbEUlT_E2_NS1_11comp_targetILNS1_3genE9ELNS1_11target_archE1100ELNS1_3gpuE3ELNS1_3repE0EEENS1_30default_config_static_selectorELNS0_4arch9wavefront6targetE1EEEvSK_,comdat
.Lfunc_end1569:
	.size	_ZN7rocprim17ROCPRIM_400000_NS6detail17trampoline_kernelINS0_14default_configENS1_36segmented_radix_sort_config_selectorIblEEZNS1_25segmented_radix_sort_implIS3_Lb1EPKbPbPKlPlN2at6native12_GLOBAL__N_18offset_tEEE10hipError_tPvRmT1_PNSt15iterator_traitsISK_E10value_typeET2_T3_PNSL_ISQ_E10value_typeET4_jRbjT5_SW_jjP12ihipStream_tbEUlT_E2_NS1_11comp_targetILNS1_3genE9ELNS1_11target_archE1100ELNS1_3gpuE3ELNS1_3repE0EEENS1_30default_config_static_selectorELNS0_4arch9wavefront6targetE1EEEvSK_, .Lfunc_end1569-_ZN7rocprim17ROCPRIM_400000_NS6detail17trampoline_kernelINS0_14default_configENS1_36segmented_radix_sort_config_selectorIblEEZNS1_25segmented_radix_sort_implIS3_Lb1EPKbPbPKlPlN2at6native12_GLOBAL__N_18offset_tEEE10hipError_tPvRmT1_PNSt15iterator_traitsISK_E10value_typeET2_T3_PNSL_ISQ_E10value_typeET4_jRbjT5_SW_jjP12ihipStream_tbEUlT_E2_NS1_11comp_targetILNS1_3genE9ELNS1_11target_archE1100ELNS1_3gpuE3ELNS1_3repE0EEENS1_30default_config_static_selectorELNS0_4arch9wavefront6targetE1EEEvSK_
                                        ; -- End function
	.set _ZN7rocprim17ROCPRIM_400000_NS6detail17trampoline_kernelINS0_14default_configENS1_36segmented_radix_sort_config_selectorIblEEZNS1_25segmented_radix_sort_implIS3_Lb1EPKbPbPKlPlN2at6native12_GLOBAL__N_18offset_tEEE10hipError_tPvRmT1_PNSt15iterator_traitsISK_E10value_typeET2_T3_PNSL_ISQ_E10value_typeET4_jRbjT5_SW_jjP12ihipStream_tbEUlT_E2_NS1_11comp_targetILNS1_3genE9ELNS1_11target_archE1100ELNS1_3gpuE3ELNS1_3repE0EEENS1_30default_config_static_selectorELNS0_4arch9wavefront6targetE1EEEvSK_.num_vgpr, 0
	.set _ZN7rocprim17ROCPRIM_400000_NS6detail17trampoline_kernelINS0_14default_configENS1_36segmented_radix_sort_config_selectorIblEEZNS1_25segmented_radix_sort_implIS3_Lb1EPKbPbPKlPlN2at6native12_GLOBAL__N_18offset_tEEE10hipError_tPvRmT1_PNSt15iterator_traitsISK_E10value_typeET2_T3_PNSL_ISQ_E10value_typeET4_jRbjT5_SW_jjP12ihipStream_tbEUlT_E2_NS1_11comp_targetILNS1_3genE9ELNS1_11target_archE1100ELNS1_3gpuE3ELNS1_3repE0EEENS1_30default_config_static_selectorELNS0_4arch9wavefront6targetE1EEEvSK_.num_agpr, 0
	.set _ZN7rocprim17ROCPRIM_400000_NS6detail17trampoline_kernelINS0_14default_configENS1_36segmented_radix_sort_config_selectorIblEEZNS1_25segmented_radix_sort_implIS3_Lb1EPKbPbPKlPlN2at6native12_GLOBAL__N_18offset_tEEE10hipError_tPvRmT1_PNSt15iterator_traitsISK_E10value_typeET2_T3_PNSL_ISQ_E10value_typeET4_jRbjT5_SW_jjP12ihipStream_tbEUlT_E2_NS1_11comp_targetILNS1_3genE9ELNS1_11target_archE1100ELNS1_3gpuE3ELNS1_3repE0EEENS1_30default_config_static_selectorELNS0_4arch9wavefront6targetE1EEEvSK_.numbered_sgpr, 0
	.set _ZN7rocprim17ROCPRIM_400000_NS6detail17trampoline_kernelINS0_14default_configENS1_36segmented_radix_sort_config_selectorIblEEZNS1_25segmented_radix_sort_implIS3_Lb1EPKbPbPKlPlN2at6native12_GLOBAL__N_18offset_tEEE10hipError_tPvRmT1_PNSt15iterator_traitsISK_E10value_typeET2_T3_PNSL_ISQ_E10value_typeET4_jRbjT5_SW_jjP12ihipStream_tbEUlT_E2_NS1_11comp_targetILNS1_3genE9ELNS1_11target_archE1100ELNS1_3gpuE3ELNS1_3repE0EEENS1_30default_config_static_selectorELNS0_4arch9wavefront6targetE1EEEvSK_.num_named_barrier, 0
	.set _ZN7rocprim17ROCPRIM_400000_NS6detail17trampoline_kernelINS0_14default_configENS1_36segmented_radix_sort_config_selectorIblEEZNS1_25segmented_radix_sort_implIS3_Lb1EPKbPbPKlPlN2at6native12_GLOBAL__N_18offset_tEEE10hipError_tPvRmT1_PNSt15iterator_traitsISK_E10value_typeET2_T3_PNSL_ISQ_E10value_typeET4_jRbjT5_SW_jjP12ihipStream_tbEUlT_E2_NS1_11comp_targetILNS1_3genE9ELNS1_11target_archE1100ELNS1_3gpuE3ELNS1_3repE0EEENS1_30default_config_static_selectorELNS0_4arch9wavefront6targetE1EEEvSK_.private_seg_size, 0
	.set _ZN7rocprim17ROCPRIM_400000_NS6detail17trampoline_kernelINS0_14default_configENS1_36segmented_radix_sort_config_selectorIblEEZNS1_25segmented_radix_sort_implIS3_Lb1EPKbPbPKlPlN2at6native12_GLOBAL__N_18offset_tEEE10hipError_tPvRmT1_PNSt15iterator_traitsISK_E10value_typeET2_T3_PNSL_ISQ_E10value_typeET4_jRbjT5_SW_jjP12ihipStream_tbEUlT_E2_NS1_11comp_targetILNS1_3genE9ELNS1_11target_archE1100ELNS1_3gpuE3ELNS1_3repE0EEENS1_30default_config_static_selectorELNS0_4arch9wavefront6targetE1EEEvSK_.uses_vcc, 0
	.set _ZN7rocprim17ROCPRIM_400000_NS6detail17trampoline_kernelINS0_14default_configENS1_36segmented_radix_sort_config_selectorIblEEZNS1_25segmented_radix_sort_implIS3_Lb1EPKbPbPKlPlN2at6native12_GLOBAL__N_18offset_tEEE10hipError_tPvRmT1_PNSt15iterator_traitsISK_E10value_typeET2_T3_PNSL_ISQ_E10value_typeET4_jRbjT5_SW_jjP12ihipStream_tbEUlT_E2_NS1_11comp_targetILNS1_3genE9ELNS1_11target_archE1100ELNS1_3gpuE3ELNS1_3repE0EEENS1_30default_config_static_selectorELNS0_4arch9wavefront6targetE1EEEvSK_.uses_flat_scratch, 0
	.set _ZN7rocprim17ROCPRIM_400000_NS6detail17trampoline_kernelINS0_14default_configENS1_36segmented_radix_sort_config_selectorIblEEZNS1_25segmented_radix_sort_implIS3_Lb1EPKbPbPKlPlN2at6native12_GLOBAL__N_18offset_tEEE10hipError_tPvRmT1_PNSt15iterator_traitsISK_E10value_typeET2_T3_PNSL_ISQ_E10value_typeET4_jRbjT5_SW_jjP12ihipStream_tbEUlT_E2_NS1_11comp_targetILNS1_3genE9ELNS1_11target_archE1100ELNS1_3gpuE3ELNS1_3repE0EEENS1_30default_config_static_selectorELNS0_4arch9wavefront6targetE1EEEvSK_.has_dyn_sized_stack, 0
	.set _ZN7rocprim17ROCPRIM_400000_NS6detail17trampoline_kernelINS0_14default_configENS1_36segmented_radix_sort_config_selectorIblEEZNS1_25segmented_radix_sort_implIS3_Lb1EPKbPbPKlPlN2at6native12_GLOBAL__N_18offset_tEEE10hipError_tPvRmT1_PNSt15iterator_traitsISK_E10value_typeET2_T3_PNSL_ISQ_E10value_typeET4_jRbjT5_SW_jjP12ihipStream_tbEUlT_E2_NS1_11comp_targetILNS1_3genE9ELNS1_11target_archE1100ELNS1_3gpuE3ELNS1_3repE0EEENS1_30default_config_static_selectorELNS0_4arch9wavefront6targetE1EEEvSK_.has_recursion, 0
	.set _ZN7rocprim17ROCPRIM_400000_NS6detail17trampoline_kernelINS0_14default_configENS1_36segmented_radix_sort_config_selectorIblEEZNS1_25segmented_radix_sort_implIS3_Lb1EPKbPbPKlPlN2at6native12_GLOBAL__N_18offset_tEEE10hipError_tPvRmT1_PNSt15iterator_traitsISK_E10value_typeET2_T3_PNSL_ISQ_E10value_typeET4_jRbjT5_SW_jjP12ihipStream_tbEUlT_E2_NS1_11comp_targetILNS1_3genE9ELNS1_11target_archE1100ELNS1_3gpuE3ELNS1_3repE0EEENS1_30default_config_static_selectorELNS0_4arch9wavefront6targetE1EEEvSK_.has_indirect_call, 0
	.section	.AMDGPU.csdata,"",@progbits
; Kernel info:
; codeLenInByte = 0
; TotalNumSgprs: 4
; NumVgprs: 0
; ScratchSize: 0
; MemoryBound: 0
; FloatMode: 240
; IeeeMode: 1
; LDSByteSize: 0 bytes/workgroup (compile time only)
; SGPRBlocks: 0
; VGPRBlocks: 0
; NumSGPRsForWavesPerEU: 4
; NumVGPRsForWavesPerEU: 1
; Occupancy: 10
; WaveLimiterHint : 0
; COMPUTE_PGM_RSRC2:SCRATCH_EN: 0
; COMPUTE_PGM_RSRC2:USER_SGPR: 6
; COMPUTE_PGM_RSRC2:TRAP_HANDLER: 0
; COMPUTE_PGM_RSRC2:TGID_X_EN: 1
; COMPUTE_PGM_RSRC2:TGID_Y_EN: 0
; COMPUTE_PGM_RSRC2:TGID_Z_EN: 0
; COMPUTE_PGM_RSRC2:TIDIG_COMP_CNT: 0
	.section	.text._ZN7rocprim17ROCPRIM_400000_NS6detail17trampoline_kernelINS0_14default_configENS1_36segmented_radix_sort_config_selectorIblEEZNS1_25segmented_radix_sort_implIS3_Lb1EPKbPbPKlPlN2at6native12_GLOBAL__N_18offset_tEEE10hipError_tPvRmT1_PNSt15iterator_traitsISK_E10value_typeET2_T3_PNSL_ISQ_E10value_typeET4_jRbjT5_SW_jjP12ihipStream_tbEUlT_E2_NS1_11comp_targetILNS1_3genE8ELNS1_11target_archE1030ELNS1_3gpuE2ELNS1_3repE0EEENS1_30default_config_static_selectorELNS0_4arch9wavefront6targetE1EEEvSK_,"axG",@progbits,_ZN7rocprim17ROCPRIM_400000_NS6detail17trampoline_kernelINS0_14default_configENS1_36segmented_radix_sort_config_selectorIblEEZNS1_25segmented_radix_sort_implIS3_Lb1EPKbPbPKlPlN2at6native12_GLOBAL__N_18offset_tEEE10hipError_tPvRmT1_PNSt15iterator_traitsISK_E10value_typeET2_T3_PNSL_ISQ_E10value_typeET4_jRbjT5_SW_jjP12ihipStream_tbEUlT_E2_NS1_11comp_targetILNS1_3genE8ELNS1_11target_archE1030ELNS1_3gpuE2ELNS1_3repE0EEENS1_30default_config_static_selectorELNS0_4arch9wavefront6targetE1EEEvSK_,comdat
	.globl	_ZN7rocprim17ROCPRIM_400000_NS6detail17trampoline_kernelINS0_14default_configENS1_36segmented_radix_sort_config_selectorIblEEZNS1_25segmented_radix_sort_implIS3_Lb1EPKbPbPKlPlN2at6native12_GLOBAL__N_18offset_tEEE10hipError_tPvRmT1_PNSt15iterator_traitsISK_E10value_typeET2_T3_PNSL_ISQ_E10value_typeET4_jRbjT5_SW_jjP12ihipStream_tbEUlT_E2_NS1_11comp_targetILNS1_3genE8ELNS1_11target_archE1030ELNS1_3gpuE2ELNS1_3repE0EEENS1_30default_config_static_selectorELNS0_4arch9wavefront6targetE1EEEvSK_ ; -- Begin function _ZN7rocprim17ROCPRIM_400000_NS6detail17trampoline_kernelINS0_14default_configENS1_36segmented_radix_sort_config_selectorIblEEZNS1_25segmented_radix_sort_implIS3_Lb1EPKbPbPKlPlN2at6native12_GLOBAL__N_18offset_tEEE10hipError_tPvRmT1_PNSt15iterator_traitsISK_E10value_typeET2_T3_PNSL_ISQ_E10value_typeET4_jRbjT5_SW_jjP12ihipStream_tbEUlT_E2_NS1_11comp_targetILNS1_3genE8ELNS1_11target_archE1030ELNS1_3gpuE2ELNS1_3repE0EEENS1_30default_config_static_selectorELNS0_4arch9wavefront6targetE1EEEvSK_
	.p2align	8
	.type	_ZN7rocprim17ROCPRIM_400000_NS6detail17trampoline_kernelINS0_14default_configENS1_36segmented_radix_sort_config_selectorIblEEZNS1_25segmented_radix_sort_implIS3_Lb1EPKbPbPKlPlN2at6native12_GLOBAL__N_18offset_tEEE10hipError_tPvRmT1_PNSt15iterator_traitsISK_E10value_typeET2_T3_PNSL_ISQ_E10value_typeET4_jRbjT5_SW_jjP12ihipStream_tbEUlT_E2_NS1_11comp_targetILNS1_3genE8ELNS1_11target_archE1030ELNS1_3gpuE2ELNS1_3repE0EEENS1_30default_config_static_selectorELNS0_4arch9wavefront6targetE1EEEvSK_,@function
_ZN7rocprim17ROCPRIM_400000_NS6detail17trampoline_kernelINS0_14default_configENS1_36segmented_radix_sort_config_selectorIblEEZNS1_25segmented_radix_sort_implIS3_Lb1EPKbPbPKlPlN2at6native12_GLOBAL__N_18offset_tEEE10hipError_tPvRmT1_PNSt15iterator_traitsISK_E10value_typeET2_T3_PNSL_ISQ_E10value_typeET4_jRbjT5_SW_jjP12ihipStream_tbEUlT_E2_NS1_11comp_targetILNS1_3genE8ELNS1_11target_archE1030ELNS1_3gpuE2ELNS1_3repE0EEENS1_30default_config_static_selectorELNS0_4arch9wavefront6targetE1EEEvSK_: ; @_ZN7rocprim17ROCPRIM_400000_NS6detail17trampoline_kernelINS0_14default_configENS1_36segmented_radix_sort_config_selectorIblEEZNS1_25segmented_radix_sort_implIS3_Lb1EPKbPbPKlPlN2at6native12_GLOBAL__N_18offset_tEEE10hipError_tPvRmT1_PNSt15iterator_traitsISK_E10value_typeET2_T3_PNSL_ISQ_E10value_typeET4_jRbjT5_SW_jjP12ihipStream_tbEUlT_E2_NS1_11comp_targetILNS1_3genE8ELNS1_11target_archE1030ELNS1_3gpuE2ELNS1_3repE0EEENS1_30default_config_static_selectorELNS0_4arch9wavefront6targetE1EEEvSK_
; %bb.0:
	.section	.rodata,"a",@progbits
	.p2align	6, 0x0
	.amdhsa_kernel _ZN7rocprim17ROCPRIM_400000_NS6detail17trampoline_kernelINS0_14default_configENS1_36segmented_radix_sort_config_selectorIblEEZNS1_25segmented_radix_sort_implIS3_Lb1EPKbPbPKlPlN2at6native12_GLOBAL__N_18offset_tEEE10hipError_tPvRmT1_PNSt15iterator_traitsISK_E10value_typeET2_T3_PNSL_ISQ_E10value_typeET4_jRbjT5_SW_jjP12ihipStream_tbEUlT_E2_NS1_11comp_targetILNS1_3genE8ELNS1_11target_archE1030ELNS1_3gpuE2ELNS1_3repE0EEENS1_30default_config_static_selectorELNS0_4arch9wavefront6targetE1EEEvSK_
		.amdhsa_group_segment_fixed_size 0
		.amdhsa_private_segment_fixed_size 0
		.amdhsa_kernarg_size 80
		.amdhsa_user_sgpr_count 6
		.amdhsa_user_sgpr_private_segment_buffer 1
		.amdhsa_user_sgpr_dispatch_ptr 0
		.amdhsa_user_sgpr_queue_ptr 0
		.amdhsa_user_sgpr_kernarg_segment_ptr 1
		.amdhsa_user_sgpr_dispatch_id 0
		.amdhsa_user_sgpr_flat_scratch_init 0
		.amdhsa_user_sgpr_private_segment_size 0
		.amdhsa_uses_dynamic_stack 0
		.amdhsa_system_sgpr_private_segment_wavefront_offset 0
		.amdhsa_system_sgpr_workgroup_id_x 1
		.amdhsa_system_sgpr_workgroup_id_y 0
		.amdhsa_system_sgpr_workgroup_id_z 0
		.amdhsa_system_sgpr_workgroup_info 0
		.amdhsa_system_vgpr_workitem_id 0
		.amdhsa_next_free_vgpr 1
		.amdhsa_next_free_sgpr 0
		.amdhsa_reserve_vcc 0
		.amdhsa_reserve_flat_scratch 0
		.amdhsa_float_round_mode_32 0
		.amdhsa_float_round_mode_16_64 0
		.amdhsa_float_denorm_mode_32 3
		.amdhsa_float_denorm_mode_16_64 3
		.amdhsa_dx10_clamp 1
		.amdhsa_ieee_mode 1
		.amdhsa_fp16_overflow 0
		.amdhsa_exception_fp_ieee_invalid_op 0
		.amdhsa_exception_fp_denorm_src 0
		.amdhsa_exception_fp_ieee_div_zero 0
		.amdhsa_exception_fp_ieee_overflow 0
		.amdhsa_exception_fp_ieee_underflow 0
		.amdhsa_exception_fp_ieee_inexact 0
		.amdhsa_exception_int_div_zero 0
	.end_amdhsa_kernel
	.section	.text._ZN7rocprim17ROCPRIM_400000_NS6detail17trampoline_kernelINS0_14default_configENS1_36segmented_radix_sort_config_selectorIblEEZNS1_25segmented_radix_sort_implIS3_Lb1EPKbPbPKlPlN2at6native12_GLOBAL__N_18offset_tEEE10hipError_tPvRmT1_PNSt15iterator_traitsISK_E10value_typeET2_T3_PNSL_ISQ_E10value_typeET4_jRbjT5_SW_jjP12ihipStream_tbEUlT_E2_NS1_11comp_targetILNS1_3genE8ELNS1_11target_archE1030ELNS1_3gpuE2ELNS1_3repE0EEENS1_30default_config_static_selectorELNS0_4arch9wavefront6targetE1EEEvSK_,"axG",@progbits,_ZN7rocprim17ROCPRIM_400000_NS6detail17trampoline_kernelINS0_14default_configENS1_36segmented_radix_sort_config_selectorIblEEZNS1_25segmented_radix_sort_implIS3_Lb1EPKbPbPKlPlN2at6native12_GLOBAL__N_18offset_tEEE10hipError_tPvRmT1_PNSt15iterator_traitsISK_E10value_typeET2_T3_PNSL_ISQ_E10value_typeET4_jRbjT5_SW_jjP12ihipStream_tbEUlT_E2_NS1_11comp_targetILNS1_3genE8ELNS1_11target_archE1030ELNS1_3gpuE2ELNS1_3repE0EEENS1_30default_config_static_selectorELNS0_4arch9wavefront6targetE1EEEvSK_,comdat
.Lfunc_end1570:
	.size	_ZN7rocprim17ROCPRIM_400000_NS6detail17trampoline_kernelINS0_14default_configENS1_36segmented_radix_sort_config_selectorIblEEZNS1_25segmented_radix_sort_implIS3_Lb1EPKbPbPKlPlN2at6native12_GLOBAL__N_18offset_tEEE10hipError_tPvRmT1_PNSt15iterator_traitsISK_E10value_typeET2_T3_PNSL_ISQ_E10value_typeET4_jRbjT5_SW_jjP12ihipStream_tbEUlT_E2_NS1_11comp_targetILNS1_3genE8ELNS1_11target_archE1030ELNS1_3gpuE2ELNS1_3repE0EEENS1_30default_config_static_selectorELNS0_4arch9wavefront6targetE1EEEvSK_, .Lfunc_end1570-_ZN7rocprim17ROCPRIM_400000_NS6detail17trampoline_kernelINS0_14default_configENS1_36segmented_radix_sort_config_selectorIblEEZNS1_25segmented_radix_sort_implIS3_Lb1EPKbPbPKlPlN2at6native12_GLOBAL__N_18offset_tEEE10hipError_tPvRmT1_PNSt15iterator_traitsISK_E10value_typeET2_T3_PNSL_ISQ_E10value_typeET4_jRbjT5_SW_jjP12ihipStream_tbEUlT_E2_NS1_11comp_targetILNS1_3genE8ELNS1_11target_archE1030ELNS1_3gpuE2ELNS1_3repE0EEENS1_30default_config_static_selectorELNS0_4arch9wavefront6targetE1EEEvSK_
                                        ; -- End function
	.set _ZN7rocprim17ROCPRIM_400000_NS6detail17trampoline_kernelINS0_14default_configENS1_36segmented_radix_sort_config_selectorIblEEZNS1_25segmented_radix_sort_implIS3_Lb1EPKbPbPKlPlN2at6native12_GLOBAL__N_18offset_tEEE10hipError_tPvRmT1_PNSt15iterator_traitsISK_E10value_typeET2_T3_PNSL_ISQ_E10value_typeET4_jRbjT5_SW_jjP12ihipStream_tbEUlT_E2_NS1_11comp_targetILNS1_3genE8ELNS1_11target_archE1030ELNS1_3gpuE2ELNS1_3repE0EEENS1_30default_config_static_selectorELNS0_4arch9wavefront6targetE1EEEvSK_.num_vgpr, 0
	.set _ZN7rocprim17ROCPRIM_400000_NS6detail17trampoline_kernelINS0_14default_configENS1_36segmented_radix_sort_config_selectorIblEEZNS1_25segmented_radix_sort_implIS3_Lb1EPKbPbPKlPlN2at6native12_GLOBAL__N_18offset_tEEE10hipError_tPvRmT1_PNSt15iterator_traitsISK_E10value_typeET2_T3_PNSL_ISQ_E10value_typeET4_jRbjT5_SW_jjP12ihipStream_tbEUlT_E2_NS1_11comp_targetILNS1_3genE8ELNS1_11target_archE1030ELNS1_3gpuE2ELNS1_3repE0EEENS1_30default_config_static_selectorELNS0_4arch9wavefront6targetE1EEEvSK_.num_agpr, 0
	.set _ZN7rocprim17ROCPRIM_400000_NS6detail17trampoline_kernelINS0_14default_configENS1_36segmented_radix_sort_config_selectorIblEEZNS1_25segmented_radix_sort_implIS3_Lb1EPKbPbPKlPlN2at6native12_GLOBAL__N_18offset_tEEE10hipError_tPvRmT1_PNSt15iterator_traitsISK_E10value_typeET2_T3_PNSL_ISQ_E10value_typeET4_jRbjT5_SW_jjP12ihipStream_tbEUlT_E2_NS1_11comp_targetILNS1_3genE8ELNS1_11target_archE1030ELNS1_3gpuE2ELNS1_3repE0EEENS1_30default_config_static_selectorELNS0_4arch9wavefront6targetE1EEEvSK_.numbered_sgpr, 0
	.set _ZN7rocprim17ROCPRIM_400000_NS6detail17trampoline_kernelINS0_14default_configENS1_36segmented_radix_sort_config_selectorIblEEZNS1_25segmented_radix_sort_implIS3_Lb1EPKbPbPKlPlN2at6native12_GLOBAL__N_18offset_tEEE10hipError_tPvRmT1_PNSt15iterator_traitsISK_E10value_typeET2_T3_PNSL_ISQ_E10value_typeET4_jRbjT5_SW_jjP12ihipStream_tbEUlT_E2_NS1_11comp_targetILNS1_3genE8ELNS1_11target_archE1030ELNS1_3gpuE2ELNS1_3repE0EEENS1_30default_config_static_selectorELNS0_4arch9wavefront6targetE1EEEvSK_.num_named_barrier, 0
	.set _ZN7rocprim17ROCPRIM_400000_NS6detail17trampoline_kernelINS0_14default_configENS1_36segmented_radix_sort_config_selectorIblEEZNS1_25segmented_radix_sort_implIS3_Lb1EPKbPbPKlPlN2at6native12_GLOBAL__N_18offset_tEEE10hipError_tPvRmT1_PNSt15iterator_traitsISK_E10value_typeET2_T3_PNSL_ISQ_E10value_typeET4_jRbjT5_SW_jjP12ihipStream_tbEUlT_E2_NS1_11comp_targetILNS1_3genE8ELNS1_11target_archE1030ELNS1_3gpuE2ELNS1_3repE0EEENS1_30default_config_static_selectorELNS0_4arch9wavefront6targetE1EEEvSK_.private_seg_size, 0
	.set _ZN7rocprim17ROCPRIM_400000_NS6detail17trampoline_kernelINS0_14default_configENS1_36segmented_radix_sort_config_selectorIblEEZNS1_25segmented_radix_sort_implIS3_Lb1EPKbPbPKlPlN2at6native12_GLOBAL__N_18offset_tEEE10hipError_tPvRmT1_PNSt15iterator_traitsISK_E10value_typeET2_T3_PNSL_ISQ_E10value_typeET4_jRbjT5_SW_jjP12ihipStream_tbEUlT_E2_NS1_11comp_targetILNS1_3genE8ELNS1_11target_archE1030ELNS1_3gpuE2ELNS1_3repE0EEENS1_30default_config_static_selectorELNS0_4arch9wavefront6targetE1EEEvSK_.uses_vcc, 0
	.set _ZN7rocprim17ROCPRIM_400000_NS6detail17trampoline_kernelINS0_14default_configENS1_36segmented_radix_sort_config_selectorIblEEZNS1_25segmented_radix_sort_implIS3_Lb1EPKbPbPKlPlN2at6native12_GLOBAL__N_18offset_tEEE10hipError_tPvRmT1_PNSt15iterator_traitsISK_E10value_typeET2_T3_PNSL_ISQ_E10value_typeET4_jRbjT5_SW_jjP12ihipStream_tbEUlT_E2_NS1_11comp_targetILNS1_3genE8ELNS1_11target_archE1030ELNS1_3gpuE2ELNS1_3repE0EEENS1_30default_config_static_selectorELNS0_4arch9wavefront6targetE1EEEvSK_.uses_flat_scratch, 0
	.set _ZN7rocprim17ROCPRIM_400000_NS6detail17trampoline_kernelINS0_14default_configENS1_36segmented_radix_sort_config_selectorIblEEZNS1_25segmented_radix_sort_implIS3_Lb1EPKbPbPKlPlN2at6native12_GLOBAL__N_18offset_tEEE10hipError_tPvRmT1_PNSt15iterator_traitsISK_E10value_typeET2_T3_PNSL_ISQ_E10value_typeET4_jRbjT5_SW_jjP12ihipStream_tbEUlT_E2_NS1_11comp_targetILNS1_3genE8ELNS1_11target_archE1030ELNS1_3gpuE2ELNS1_3repE0EEENS1_30default_config_static_selectorELNS0_4arch9wavefront6targetE1EEEvSK_.has_dyn_sized_stack, 0
	.set _ZN7rocprim17ROCPRIM_400000_NS6detail17trampoline_kernelINS0_14default_configENS1_36segmented_radix_sort_config_selectorIblEEZNS1_25segmented_radix_sort_implIS3_Lb1EPKbPbPKlPlN2at6native12_GLOBAL__N_18offset_tEEE10hipError_tPvRmT1_PNSt15iterator_traitsISK_E10value_typeET2_T3_PNSL_ISQ_E10value_typeET4_jRbjT5_SW_jjP12ihipStream_tbEUlT_E2_NS1_11comp_targetILNS1_3genE8ELNS1_11target_archE1030ELNS1_3gpuE2ELNS1_3repE0EEENS1_30default_config_static_selectorELNS0_4arch9wavefront6targetE1EEEvSK_.has_recursion, 0
	.set _ZN7rocprim17ROCPRIM_400000_NS6detail17trampoline_kernelINS0_14default_configENS1_36segmented_radix_sort_config_selectorIblEEZNS1_25segmented_radix_sort_implIS3_Lb1EPKbPbPKlPlN2at6native12_GLOBAL__N_18offset_tEEE10hipError_tPvRmT1_PNSt15iterator_traitsISK_E10value_typeET2_T3_PNSL_ISQ_E10value_typeET4_jRbjT5_SW_jjP12ihipStream_tbEUlT_E2_NS1_11comp_targetILNS1_3genE8ELNS1_11target_archE1030ELNS1_3gpuE2ELNS1_3repE0EEENS1_30default_config_static_selectorELNS0_4arch9wavefront6targetE1EEEvSK_.has_indirect_call, 0
	.section	.AMDGPU.csdata,"",@progbits
; Kernel info:
; codeLenInByte = 0
; TotalNumSgprs: 4
; NumVgprs: 0
; ScratchSize: 0
; MemoryBound: 0
; FloatMode: 240
; IeeeMode: 1
; LDSByteSize: 0 bytes/workgroup (compile time only)
; SGPRBlocks: 0
; VGPRBlocks: 0
; NumSGPRsForWavesPerEU: 4
; NumVGPRsForWavesPerEU: 1
; Occupancy: 10
; WaveLimiterHint : 0
; COMPUTE_PGM_RSRC2:SCRATCH_EN: 0
; COMPUTE_PGM_RSRC2:USER_SGPR: 6
; COMPUTE_PGM_RSRC2:TRAP_HANDLER: 0
; COMPUTE_PGM_RSRC2:TGID_X_EN: 1
; COMPUTE_PGM_RSRC2:TGID_Y_EN: 0
; COMPUTE_PGM_RSRC2:TGID_Z_EN: 0
; COMPUTE_PGM_RSRC2:TIDIG_COMP_CNT: 0
	.section	.text._ZN7rocprim17ROCPRIM_400000_NS6detail17trampoline_kernelINS0_13select_configILj256ELj13ELNS0_17block_load_methodE3ELS4_3ELS4_3ELNS0_20block_scan_algorithmE0ELj4294967295EEENS1_25partition_config_selectorILNS1_17partition_subalgoE4EjNS0_10empty_typeEbEEZZNS1_14partition_implILS8_4ELb0ES6_15HIP_vector_typeIjLj2EENS0_17counting_iteratorIjlEEPS9_SG_NS0_5tupleIJPjSI_NS0_16reverse_iteratorISI_EEEEENSH_IJSG_SG_SG_EEES9_SI_JZNS1_25segmented_radix_sort_implINS0_14default_configELb0EPKbPbPKlPlN2at6native12_GLOBAL__N_18offset_tEEE10hipError_tPvRmT1_PNSt15iterator_traitsIS12_E10value_typeET2_T3_PNS13_IS18_E10value_typeET4_jRbjT5_S1E_jjP12ihipStream_tbEUljE_ZNSN_ISO_Lb0ESQ_SR_ST_SU_SY_EESZ_S10_S11_S12_S16_S17_S18_S1B_S1C_jS1D_jS1E_S1E_jjS1G_bEUljE0_EEESZ_S10_S11_S18_S1C_S1E_T6_T7_T9_mT8_S1G_bDpT10_ENKUlT_T0_E_clISt17integral_constantIbLb0EES1U_EEDaS1P_S1Q_EUlS1P_E_NS1_11comp_targetILNS1_3genE0ELNS1_11target_archE4294967295ELNS1_3gpuE0ELNS1_3repE0EEENS1_30default_config_static_selectorELNS0_4arch9wavefront6targetE1EEEvS12_,"axG",@progbits,_ZN7rocprim17ROCPRIM_400000_NS6detail17trampoline_kernelINS0_13select_configILj256ELj13ELNS0_17block_load_methodE3ELS4_3ELS4_3ELNS0_20block_scan_algorithmE0ELj4294967295EEENS1_25partition_config_selectorILNS1_17partition_subalgoE4EjNS0_10empty_typeEbEEZZNS1_14partition_implILS8_4ELb0ES6_15HIP_vector_typeIjLj2EENS0_17counting_iteratorIjlEEPS9_SG_NS0_5tupleIJPjSI_NS0_16reverse_iteratorISI_EEEEENSH_IJSG_SG_SG_EEES9_SI_JZNS1_25segmented_radix_sort_implINS0_14default_configELb0EPKbPbPKlPlN2at6native12_GLOBAL__N_18offset_tEEE10hipError_tPvRmT1_PNSt15iterator_traitsIS12_E10value_typeET2_T3_PNS13_IS18_E10value_typeET4_jRbjT5_S1E_jjP12ihipStream_tbEUljE_ZNSN_ISO_Lb0ESQ_SR_ST_SU_SY_EESZ_S10_S11_S12_S16_S17_S18_S1B_S1C_jS1D_jS1E_S1E_jjS1G_bEUljE0_EEESZ_S10_S11_S18_S1C_S1E_T6_T7_T9_mT8_S1G_bDpT10_ENKUlT_T0_E_clISt17integral_constantIbLb0EES1U_EEDaS1P_S1Q_EUlS1P_E_NS1_11comp_targetILNS1_3genE0ELNS1_11target_archE4294967295ELNS1_3gpuE0ELNS1_3repE0EEENS1_30default_config_static_selectorELNS0_4arch9wavefront6targetE1EEEvS12_,comdat
	.globl	_ZN7rocprim17ROCPRIM_400000_NS6detail17trampoline_kernelINS0_13select_configILj256ELj13ELNS0_17block_load_methodE3ELS4_3ELS4_3ELNS0_20block_scan_algorithmE0ELj4294967295EEENS1_25partition_config_selectorILNS1_17partition_subalgoE4EjNS0_10empty_typeEbEEZZNS1_14partition_implILS8_4ELb0ES6_15HIP_vector_typeIjLj2EENS0_17counting_iteratorIjlEEPS9_SG_NS0_5tupleIJPjSI_NS0_16reverse_iteratorISI_EEEEENSH_IJSG_SG_SG_EEES9_SI_JZNS1_25segmented_radix_sort_implINS0_14default_configELb0EPKbPbPKlPlN2at6native12_GLOBAL__N_18offset_tEEE10hipError_tPvRmT1_PNSt15iterator_traitsIS12_E10value_typeET2_T3_PNS13_IS18_E10value_typeET4_jRbjT5_S1E_jjP12ihipStream_tbEUljE_ZNSN_ISO_Lb0ESQ_SR_ST_SU_SY_EESZ_S10_S11_S12_S16_S17_S18_S1B_S1C_jS1D_jS1E_S1E_jjS1G_bEUljE0_EEESZ_S10_S11_S18_S1C_S1E_T6_T7_T9_mT8_S1G_bDpT10_ENKUlT_T0_E_clISt17integral_constantIbLb0EES1U_EEDaS1P_S1Q_EUlS1P_E_NS1_11comp_targetILNS1_3genE0ELNS1_11target_archE4294967295ELNS1_3gpuE0ELNS1_3repE0EEENS1_30default_config_static_selectorELNS0_4arch9wavefront6targetE1EEEvS12_ ; -- Begin function _ZN7rocprim17ROCPRIM_400000_NS6detail17trampoline_kernelINS0_13select_configILj256ELj13ELNS0_17block_load_methodE3ELS4_3ELS4_3ELNS0_20block_scan_algorithmE0ELj4294967295EEENS1_25partition_config_selectorILNS1_17partition_subalgoE4EjNS0_10empty_typeEbEEZZNS1_14partition_implILS8_4ELb0ES6_15HIP_vector_typeIjLj2EENS0_17counting_iteratorIjlEEPS9_SG_NS0_5tupleIJPjSI_NS0_16reverse_iteratorISI_EEEEENSH_IJSG_SG_SG_EEES9_SI_JZNS1_25segmented_radix_sort_implINS0_14default_configELb0EPKbPbPKlPlN2at6native12_GLOBAL__N_18offset_tEEE10hipError_tPvRmT1_PNSt15iterator_traitsIS12_E10value_typeET2_T3_PNS13_IS18_E10value_typeET4_jRbjT5_S1E_jjP12ihipStream_tbEUljE_ZNSN_ISO_Lb0ESQ_SR_ST_SU_SY_EESZ_S10_S11_S12_S16_S17_S18_S1B_S1C_jS1D_jS1E_S1E_jjS1G_bEUljE0_EEESZ_S10_S11_S18_S1C_S1E_T6_T7_T9_mT8_S1G_bDpT10_ENKUlT_T0_E_clISt17integral_constantIbLb0EES1U_EEDaS1P_S1Q_EUlS1P_E_NS1_11comp_targetILNS1_3genE0ELNS1_11target_archE4294967295ELNS1_3gpuE0ELNS1_3repE0EEENS1_30default_config_static_selectorELNS0_4arch9wavefront6targetE1EEEvS12_
	.p2align	8
	.type	_ZN7rocprim17ROCPRIM_400000_NS6detail17trampoline_kernelINS0_13select_configILj256ELj13ELNS0_17block_load_methodE3ELS4_3ELS4_3ELNS0_20block_scan_algorithmE0ELj4294967295EEENS1_25partition_config_selectorILNS1_17partition_subalgoE4EjNS0_10empty_typeEbEEZZNS1_14partition_implILS8_4ELb0ES6_15HIP_vector_typeIjLj2EENS0_17counting_iteratorIjlEEPS9_SG_NS0_5tupleIJPjSI_NS0_16reverse_iteratorISI_EEEEENSH_IJSG_SG_SG_EEES9_SI_JZNS1_25segmented_radix_sort_implINS0_14default_configELb0EPKbPbPKlPlN2at6native12_GLOBAL__N_18offset_tEEE10hipError_tPvRmT1_PNSt15iterator_traitsIS12_E10value_typeET2_T3_PNS13_IS18_E10value_typeET4_jRbjT5_S1E_jjP12ihipStream_tbEUljE_ZNSN_ISO_Lb0ESQ_SR_ST_SU_SY_EESZ_S10_S11_S12_S16_S17_S18_S1B_S1C_jS1D_jS1E_S1E_jjS1G_bEUljE0_EEESZ_S10_S11_S18_S1C_S1E_T6_T7_T9_mT8_S1G_bDpT10_ENKUlT_T0_E_clISt17integral_constantIbLb0EES1U_EEDaS1P_S1Q_EUlS1P_E_NS1_11comp_targetILNS1_3genE0ELNS1_11target_archE4294967295ELNS1_3gpuE0ELNS1_3repE0EEENS1_30default_config_static_selectorELNS0_4arch9wavefront6targetE1EEEvS12_,@function
_ZN7rocprim17ROCPRIM_400000_NS6detail17trampoline_kernelINS0_13select_configILj256ELj13ELNS0_17block_load_methodE3ELS4_3ELS4_3ELNS0_20block_scan_algorithmE0ELj4294967295EEENS1_25partition_config_selectorILNS1_17partition_subalgoE4EjNS0_10empty_typeEbEEZZNS1_14partition_implILS8_4ELb0ES6_15HIP_vector_typeIjLj2EENS0_17counting_iteratorIjlEEPS9_SG_NS0_5tupleIJPjSI_NS0_16reverse_iteratorISI_EEEEENSH_IJSG_SG_SG_EEES9_SI_JZNS1_25segmented_radix_sort_implINS0_14default_configELb0EPKbPbPKlPlN2at6native12_GLOBAL__N_18offset_tEEE10hipError_tPvRmT1_PNSt15iterator_traitsIS12_E10value_typeET2_T3_PNS13_IS18_E10value_typeET4_jRbjT5_S1E_jjP12ihipStream_tbEUljE_ZNSN_ISO_Lb0ESQ_SR_ST_SU_SY_EESZ_S10_S11_S12_S16_S17_S18_S1B_S1C_jS1D_jS1E_S1E_jjS1G_bEUljE0_EEESZ_S10_S11_S18_S1C_S1E_T6_T7_T9_mT8_S1G_bDpT10_ENKUlT_T0_E_clISt17integral_constantIbLb0EES1U_EEDaS1P_S1Q_EUlS1P_E_NS1_11comp_targetILNS1_3genE0ELNS1_11target_archE4294967295ELNS1_3gpuE0ELNS1_3repE0EEENS1_30default_config_static_selectorELNS0_4arch9wavefront6targetE1EEEvS12_: ; @_ZN7rocprim17ROCPRIM_400000_NS6detail17trampoline_kernelINS0_13select_configILj256ELj13ELNS0_17block_load_methodE3ELS4_3ELS4_3ELNS0_20block_scan_algorithmE0ELj4294967295EEENS1_25partition_config_selectorILNS1_17partition_subalgoE4EjNS0_10empty_typeEbEEZZNS1_14partition_implILS8_4ELb0ES6_15HIP_vector_typeIjLj2EENS0_17counting_iteratorIjlEEPS9_SG_NS0_5tupleIJPjSI_NS0_16reverse_iteratorISI_EEEEENSH_IJSG_SG_SG_EEES9_SI_JZNS1_25segmented_radix_sort_implINS0_14default_configELb0EPKbPbPKlPlN2at6native12_GLOBAL__N_18offset_tEEE10hipError_tPvRmT1_PNSt15iterator_traitsIS12_E10value_typeET2_T3_PNS13_IS18_E10value_typeET4_jRbjT5_S1E_jjP12ihipStream_tbEUljE_ZNSN_ISO_Lb0ESQ_SR_ST_SU_SY_EESZ_S10_S11_S12_S16_S17_S18_S1B_S1C_jS1D_jS1E_S1E_jjS1G_bEUljE0_EEESZ_S10_S11_S18_S1C_S1E_T6_T7_T9_mT8_S1G_bDpT10_ENKUlT_T0_E_clISt17integral_constantIbLb0EES1U_EEDaS1P_S1Q_EUlS1P_E_NS1_11comp_targetILNS1_3genE0ELNS1_11target_archE4294967295ELNS1_3gpuE0ELNS1_3repE0EEENS1_30default_config_static_selectorELNS0_4arch9wavefront6targetE1EEEvS12_
; %bb.0:
	.section	.rodata,"a",@progbits
	.p2align	6, 0x0
	.amdhsa_kernel _ZN7rocprim17ROCPRIM_400000_NS6detail17trampoline_kernelINS0_13select_configILj256ELj13ELNS0_17block_load_methodE3ELS4_3ELS4_3ELNS0_20block_scan_algorithmE0ELj4294967295EEENS1_25partition_config_selectorILNS1_17partition_subalgoE4EjNS0_10empty_typeEbEEZZNS1_14partition_implILS8_4ELb0ES6_15HIP_vector_typeIjLj2EENS0_17counting_iteratorIjlEEPS9_SG_NS0_5tupleIJPjSI_NS0_16reverse_iteratorISI_EEEEENSH_IJSG_SG_SG_EEES9_SI_JZNS1_25segmented_radix_sort_implINS0_14default_configELb0EPKbPbPKlPlN2at6native12_GLOBAL__N_18offset_tEEE10hipError_tPvRmT1_PNSt15iterator_traitsIS12_E10value_typeET2_T3_PNS13_IS18_E10value_typeET4_jRbjT5_S1E_jjP12ihipStream_tbEUljE_ZNSN_ISO_Lb0ESQ_SR_ST_SU_SY_EESZ_S10_S11_S12_S16_S17_S18_S1B_S1C_jS1D_jS1E_S1E_jjS1G_bEUljE0_EEESZ_S10_S11_S18_S1C_S1E_T6_T7_T9_mT8_S1G_bDpT10_ENKUlT_T0_E_clISt17integral_constantIbLb0EES1U_EEDaS1P_S1Q_EUlS1P_E_NS1_11comp_targetILNS1_3genE0ELNS1_11target_archE4294967295ELNS1_3gpuE0ELNS1_3repE0EEENS1_30default_config_static_selectorELNS0_4arch9wavefront6targetE1EEEvS12_
		.amdhsa_group_segment_fixed_size 0
		.amdhsa_private_segment_fixed_size 0
		.amdhsa_kernarg_size 176
		.amdhsa_user_sgpr_count 6
		.amdhsa_user_sgpr_private_segment_buffer 1
		.amdhsa_user_sgpr_dispatch_ptr 0
		.amdhsa_user_sgpr_queue_ptr 0
		.amdhsa_user_sgpr_kernarg_segment_ptr 1
		.amdhsa_user_sgpr_dispatch_id 0
		.amdhsa_user_sgpr_flat_scratch_init 0
		.amdhsa_user_sgpr_private_segment_size 0
		.amdhsa_uses_dynamic_stack 0
		.amdhsa_system_sgpr_private_segment_wavefront_offset 0
		.amdhsa_system_sgpr_workgroup_id_x 1
		.amdhsa_system_sgpr_workgroup_id_y 0
		.amdhsa_system_sgpr_workgroup_id_z 0
		.amdhsa_system_sgpr_workgroup_info 0
		.amdhsa_system_vgpr_workitem_id 0
		.amdhsa_next_free_vgpr 1
		.amdhsa_next_free_sgpr 0
		.amdhsa_reserve_vcc 0
		.amdhsa_reserve_flat_scratch 0
		.amdhsa_float_round_mode_32 0
		.amdhsa_float_round_mode_16_64 0
		.amdhsa_float_denorm_mode_32 3
		.amdhsa_float_denorm_mode_16_64 3
		.amdhsa_dx10_clamp 1
		.amdhsa_ieee_mode 1
		.amdhsa_fp16_overflow 0
		.amdhsa_exception_fp_ieee_invalid_op 0
		.amdhsa_exception_fp_denorm_src 0
		.amdhsa_exception_fp_ieee_div_zero 0
		.amdhsa_exception_fp_ieee_overflow 0
		.amdhsa_exception_fp_ieee_underflow 0
		.amdhsa_exception_fp_ieee_inexact 0
		.amdhsa_exception_int_div_zero 0
	.end_amdhsa_kernel
	.section	.text._ZN7rocprim17ROCPRIM_400000_NS6detail17trampoline_kernelINS0_13select_configILj256ELj13ELNS0_17block_load_methodE3ELS4_3ELS4_3ELNS0_20block_scan_algorithmE0ELj4294967295EEENS1_25partition_config_selectorILNS1_17partition_subalgoE4EjNS0_10empty_typeEbEEZZNS1_14partition_implILS8_4ELb0ES6_15HIP_vector_typeIjLj2EENS0_17counting_iteratorIjlEEPS9_SG_NS0_5tupleIJPjSI_NS0_16reverse_iteratorISI_EEEEENSH_IJSG_SG_SG_EEES9_SI_JZNS1_25segmented_radix_sort_implINS0_14default_configELb0EPKbPbPKlPlN2at6native12_GLOBAL__N_18offset_tEEE10hipError_tPvRmT1_PNSt15iterator_traitsIS12_E10value_typeET2_T3_PNS13_IS18_E10value_typeET4_jRbjT5_S1E_jjP12ihipStream_tbEUljE_ZNSN_ISO_Lb0ESQ_SR_ST_SU_SY_EESZ_S10_S11_S12_S16_S17_S18_S1B_S1C_jS1D_jS1E_S1E_jjS1G_bEUljE0_EEESZ_S10_S11_S18_S1C_S1E_T6_T7_T9_mT8_S1G_bDpT10_ENKUlT_T0_E_clISt17integral_constantIbLb0EES1U_EEDaS1P_S1Q_EUlS1P_E_NS1_11comp_targetILNS1_3genE0ELNS1_11target_archE4294967295ELNS1_3gpuE0ELNS1_3repE0EEENS1_30default_config_static_selectorELNS0_4arch9wavefront6targetE1EEEvS12_,"axG",@progbits,_ZN7rocprim17ROCPRIM_400000_NS6detail17trampoline_kernelINS0_13select_configILj256ELj13ELNS0_17block_load_methodE3ELS4_3ELS4_3ELNS0_20block_scan_algorithmE0ELj4294967295EEENS1_25partition_config_selectorILNS1_17partition_subalgoE4EjNS0_10empty_typeEbEEZZNS1_14partition_implILS8_4ELb0ES6_15HIP_vector_typeIjLj2EENS0_17counting_iteratorIjlEEPS9_SG_NS0_5tupleIJPjSI_NS0_16reverse_iteratorISI_EEEEENSH_IJSG_SG_SG_EEES9_SI_JZNS1_25segmented_radix_sort_implINS0_14default_configELb0EPKbPbPKlPlN2at6native12_GLOBAL__N_18offset_tEEE10hipError_tPvRmT1_PNSt15iterator_traitsIS12_E10value_typeET2_T3_PNS13_IS18_E10value_typeET4_jRbjT5_S1E_jjP12ihipStream_tbEUljE_ZNSN_ISO_Lb0ESQ_SR_ST_SU_SY_EESZ_S10_S11_S12_S16_S17_S18_S1B_S1C_jS1D_jS1E_S1E_jjS1G_bEUljE0_EEESZ_S10_S11_S18_S1C_S1E_T6_T7_T9_mT8_S1G_bDpT10_ENKUlT_T0_E_clISt17integral_constantIbLb0EES1U_EEDaS1P_S1Q_EUlS1P_E_NS1_11comp_targetILNS1_3genE0ELNS1_11target_archE4294967295ELNS1_3gpuE0ELNS1_3repE0EEENS1_30default_config_static_selectorELNS0_4arch9wavefront6targetE1EEEvS12_,comdat
.Lfunc_end1571:
	.size	_ZN7rocprim17ROCPRIM_400000_NS6detail17trampoline_kernelINS0_13select_configILj256ELj13ELNS0_17block_load_methodE3ELS4_3ELS4_3ELNS0_20block_scan_algorithmE0ELj4294967295EEENS1_25partition_config_selectorILNS1_17partition_subalgoE4EjNS0_10empty_typeEbEEZZNS1_14partition_implILS8_4ELb0ES6_15HIP_vector_typeIjLj2EENS0_17counting_iteratorIjlEEPS9_SG_NS0_5tupleIJPjSI_NS0_16reverse_iteratorISI_EEEEENSH_IJSG_SG_SG_EEES9_SI_JZNS1_25segmented_radix_sort_implINS0_14default_configELb0EPKbPbPKlPlN2at6native12_GLOBAL__N_18offset_tEEE10hipError_tPvRmT1_PNSt15iterator_traitsIS12_E10value_typeET2_T3_PNS13_IS18_E10value_typeET4_jRbjT5_S1E_jjP12ihipStream_tbEUljE_ZNSN_ISO_Lb0ESQ_SR_ST_SU_SY_EESZ_S10_S11_S12_S16_S17_S18_S1B_S1C_jS1D_jS1E_S1E_jjS1G_bEUljE0_EEESZ_S10_S11_S18_S1C_S1E_T6_T7_T9_mT8_S1G_bDpT10_ENKUlT_T0_E_clISt17integral_constantIbLb0EES1U_EEDaS1P_S1Q_EUlS1P_E_NS1_11comp_targetILNS1_3genE0ELNS1_11target_archE4294967295ELNS1_3gpuE0ELNS1_3repE0EEENS1_30default_config_static_selectorELNS0_4arch9wavefront6targetE1EEEvS12_, .Lfunc_end1571-_ZN7rocprim17ROCPRIM_400000_NS6detail17trampoline_kernelINS0_13select_configILj256ELj13ELNS0_17block_load_methodE3ELS4_3ELS4_3ELNS0_20block_scan_algorithmE0ELj4294967295EEENS1_25partition_config_selectorILNS1_17partition_subalgoE4EjNS0_10empty_typeEbEEZZNS1_14partition_implILS8_4ELb0ES6_15HIP_vector_typeIjLj2EENS0_17counting_iteratorIjlEEPS9_SG_NS0_5tupleIJPjSI_NS0_16reverse_iteratorISI_EEEEENSH_IJSG_SG_SG_EEES9_SI_JZNS1_25segmented_radix_sort_implINS0_14default_configELb0EPKbPbPKlPlN2at6native12_GLOBAL__N_18offset_tEEE10hipError_tPvRmT1_PNSt15iterator_traitsIS12_E10value_typeET2_T3_PNS13_IS18_E10value_typeET4_jRbjT5_S1E_jjP12ihipStream_tbEUljE_ZNSN_ISO_Lb0ESQ_SR_ST_SU_SY_EESZ_S10_S11_S12_S16_S17_S18_S1B_S1C_jS1D_jS1E_S1E_jjS1G_bEUljE0_EEESZ_S10_S11_S18_S1C_S1E_T6_T7_T9_mT8_S1G_bDpT10_ENKUlT_T0_E_clISt17integral_constantIbLb0EES1U_EEDaS1P_S1Q_EUlS1P_E_NS1_11comp_targetILNS1_3genE0ELNS1_11target_archE4294967295ELNS1_3gpuE0ELNS1_3repE0EEENS1_30default_config_static_selectorELNS0_4arch9wavefront6targetE1EEEvS12_
                                        ; -- End function
	.set _ZN7rocprim17ROCPRIM_400000_NS6detail17trampoline_kernelINS0_13select_configILj256ELj13ELNS0_17block_load_methodE3ELS4_3ELS4_3ELNS0_20block_scan_algorithmE0ELj4294967295EEENS1_25partition_config_selectorILNS1_17partition_subalgoE4EjNS0_10empty_typeEbEEZZNS1_14partition_implILS8_4ELb0ES6_15HIP_vector_typeIjLj2EENS0_17counting_iteratorIjlEEPS9_SG_NS0_5tupleIJPjSI_NS0_16reverse_iteratorISI_EEEEENSH_IJSG_SG_SG_EEES9_SI_JZNS1_25segmented_radix_sort_implINS0_14default_configELb0EPKbPbPKlPlN2at6native12_GLOBAL__N_18offset_tEEE10hipError_tPvRmT1_PNSt15iterator_traitsIS12_E10value_typeET2_T3_PNS13_IS18_E10value_typeET4_jRbjT5_S1E_jjP12ihipStream_tbEUljE_ZNSN_ISO_Lb0ESQ_SR_ST_SU_SY_EESZ_S10_S11_S12_S16_S17_S18_S1B_S1C_jS1D_jS1E_S1E_jjS1G_bEUljE0_EEESZ_S10_S11_S18_S1C_S1E_T6_T7_T9_mT8_S1G_bDpT10_ENKUlT_T0_E_clISt17integral_constantIbLb0EES1U_EEDaS1P_S1Q_EUlS1P_E_NS1_11comp_targetILNS1_3genE0ELNS1_11target_archE4294967295ELNS1_3gpuE0ELNS1_3repE0EEENS1_30default_config_static_selectorELNS0_4arch9wavefront6targetE1EEEvS12_.num_vgpr, 0
	.set _ZN7rocprim17ROCPRIM_400000_NS6detail17trampoline_kernelINS0_13select_configILj256ELj13ELNS0_17block_load_methodE3ELS4_3ELS4_3ELNS0_20block_scan_algorithmE0ELj4294967295EEENS1_25partition_config_selectorILNS1_17partition_subalgoE4EjNS0_10empty_typeEbEEZZNS1_14partition_implILS8_4ELb0ES6_15HIP_vector_typeIjLj2EENS0_17counting_iteratorIjlEEPS9_SG_NS0_5tupleIJPjSI_NS0_16reverse_iteratorISI_EEEEENSH_IJSG_SG_SG_EEES9_SI_JZNS1_25segmented_radix_sort_implINS0_14default_configELb0EPKbPbPKlPlN2at6native12_GLOBAL__N_18offset_tEEE10hipError_tPvRmT1_PNSt15iterator_traitsIS12_E10value_typeET2_T3_PNS13_IS18_E10value_typeET4_jRbjT5_S1E_jjP12ihipStream_tbEUljE_ZNSN_ISO_Lb0ESQ_SR_ST_SU_SY_EESZ_S10_S11_S12_S16_S17_S18_S1B_S1C_jS1D_jS1E_S1E_jjS1G_bEUljE0_EEESZ_S10_S11_S18_S1C_S1E_T6_T7_T9_mT8_S1G_bDpT10_ENKUlT_T0_E_clISt17integral_constantIbLb0EES1U_EEDaS1P_S1Q_EUlS1P_E_NS1_11comp_targetILNS1_3genE0ELNS1_11target_archE4294967295ELNS1_3gpuE0ELNS1_3repE0EEENS1_30default_config_static_selectorELNS0_4arch9wavefront6targetE1EEEvS12_.num_agpr, 0
	.set _ZN7rocprim17ROCPRIM_400000_NS6detail17trampoline_kernelINS0_13select_configILj256ELj13ELNS0_17block_load_methodE3ELS4_3ELS4_3ELNS0_20block_scan_algorithmE0ELj4294967295EEENS1_25partition_config_selectorILNS1_17partition_subalgoE4EjNS0_10empty_typeEbEEZZNS1_14partition_implILS8_4ELb0ES6_15HIP_vector_typeIjLj2EENS0_17counting_iteratorIjlEEPS9_SG_NS0_5tupleIJPjSI_NS0_16reverse_iteratorISI_EEEEENSH_IJSG_SG_SG_EEES9_SI_JZNS1_25segmented_radix_sort_implINS0_14default_configELb0EPKbPbPKlPlN2at6native12_GLOBAL__N_18offset_tEEE10hipError_tPvRmT1_PNSt15iterator_traitsIS12_E10value_typeET2_T3_PNS13_IS18_E10value_typeET4_jRbjT5_S1E_jjP12ihipStream_tbEUljE_ZNSN_ISO_Lb0ESQ_SR_ST_SU_SY_EESZ_S10_S11_S12_S16_S17_S18_S1B_S1C_jS1D_jS1E_S1E_jjS1G_bEUljE0_EEESZ_S10_S11_S18_S1C_S1E_T6_T7_T9_mT8_S1G_bDpT10_ENKUlT_T0_E_clISt17integral_constantIbLb0EES1U_EEDaS1P_S1Q_EUlS1P_E_NS1_11comp_targetILNS1_3genE0ELNS1_11target_archE4294967295ELNS1_3gpuE0ELNS1_3repE0EEENS1_30default_config_static_selectorELNS0_4arch9wavefront6targetE1EEEvS12_.numbered_sgpr, 0
	.set _ZN7rocprim17ROCPRIM_400000_NS6detail17trampoline_kernelINS0_13select_configILj256ELj13ELNS0_17block_load_methodE3ELS4_3ELS4_3ELNS0_20block_scan_algorithmE0ELj4294967295EEENS1_25partition_config_selectorILNS1_17partition_subalgoE4EjNS0_10empty_typeEbEEZZNS1_14partition_implILS8_4ELb0ES6_15HIP_vector_typeIjLj2EENS0_17counting_iteratorIjlEEPS9_SG_NS0_5tupleIJPjSI_NS0_16reverse_iteratorISI_EEEEENSH_IJSG_SG_SG_EEES9_SI_JZNS1_25segmented_radix_sort_implINS0_14default_configELb0EPKbPbPKlPlN2at6native12_GLOBAL__N_18offset_tEEE10hipError_tPvRmT1_PNSt15iterator_traitsIS12_E10value_typeET2_T3_PNS13_IS18_E10value_typeET4_jRbjT5_S1E_jjP12ihipStream_tbEUljE_ZNSN_ISO_Lb0ESQ_SR_ST_SU_SY_EESZ_S10_S11_S12_S16_S17_S18_S1B_S1C_jS1D_jS1E_S1E_jjS1G_bEUljE0_EEESZ_S10_S11_S18_S1C_S1E_T6_T7_T9_mT8_S1G_bDpT10_ENKUlT_T0_E_clISt17integral_constantIbLb0EES1U_EEDaS1P_S1Q_EUlS1P_E_NS1_11comp_targetILNS1_3genE0ELNS1_11target_archE4294967295ELNS1_3gpuE0ELNS1_3repE0EEENS1_30default_config_static_selectorELNS0_4arch9wavefront6targetE1EEEvS12_.num_named_barrier, 0
	.set _ZN7rocprim17ROCPRIM_400000_NS6detail17trampoline_kernelINS0_13select_configILj256ELj13ELNS0_17block_load_methodE3ELS4_3ELS4_3ELNS0_20block_scan_algorithmE0ELj4294967295EEENS1_25partition_config_selectorILNS1_17partition_subalgoE4EjNS0_10empty_typeEbEEZZNS1_14partition_implILS8_4ELb0ES6_15HIP_vector_typeIjLj2EENS0_17counting_iteratorIjlEEPS9_SG_NS0_5tupleIJPjSI_NS0_16reverse_iteratorISI_EEEEENSH_IJSG_SG_SG_EEES9_SI_JZNS1_25segmented_radix_sort_implINS0_14default_configELb0EPKbPbPKlPlN2at6native12_GLOBAL__N_18offset_tEEE10hipError_tPvRmT1_PNSt15iterator_traitsIS12_E10value_typeET2_T3_PNS13_IS18_E10value_typeET4_jRbjT5_S1E_jjP12ihipStream_tbEUljE_ZNSN_ISO_Lb0ESQ_SR_ST_SU_SY_EESZ_S10_S11_S12_S16_S17_S18_S1B_S1C_jS1D_jS1E_S1E_jjS1G_bEUljE0_EEESZ_S10_S11_S18_S1C_S1E_T6_T7_T9_mT8_S1G_bDpT10_ENKUlT_T0_E_clISt17integral_constantIbLb0EES1U_EEDaS1P_S1Q_EUlS1P_E_NS1_11comp_targetILNS1_3genE0ELNS1_11target_archE4294967295ELNS1_3gpuE0ELNS1_3repE0EEENS1_30default_config_static_selectorELNS0_4arch9wavefront6targetE1EEEvS12_.private_seg_size, 0
	.set _ZN7rocprim17ROCPRIM_400000_NS6detail17trampoline_kernelINS0_13select_configILj256ELj13ELNS0_17block_load_methodE3ELS4_3ELS4_3ELNS0_20block_scan_algorithmE0ELj4294967295EEENS1_25partition_config_selectorILNS1_17partition_subalgoE4EjNS0_10empty_typeEbEEZZNS1_14partition_implILS8_4ELb0ES6_15HIP_vector_typeIjLj2EENS0_17counting_iteratorIjlEEPS9_SG_NS0_5tupleIJPjSI_NS0_16reverse_iteratorISI_EEEEENSH_IJSG_SG_SG_EEES9_SI_JZNS1_25segmented_radix_sort_implINS0_14default_configELb0EPKbPbPKlPlN2at6native12_GLOBAL__N_18offset_tEEE10hipError_tPvRmT1_PNSt15iterator_traitsIS12_E10value_typeET2_T3_PNS13_IS18_E10value_typeET4_jRbjT5_S1E_jjP12ihipStream_tbEUljE_ZNSN_ISO_Lb0ESQ_SR_ST_SU_SY_EESZ_S10_S11_S12_S16_S17_S18_S1B_S1C_jS1D_jS1E_S1E_jjS1G_bEUljE0_EEESZ_S10_S11_S18_S1C_S1E_T6_T7_T9_mT8_S1G_bDpT10_ENKUlT_T0_E_clISt17integral_constantIbLb0EES1U_EEDaS1P_S1Q_EUlS1P_E_NS1_11comp_targetILNS1_3genE0ELNS1_11target_archE4294967295ELNS1_3gpuE0ELNS1_3repE0EEENS1_30default_config_static_selectorELNS0_4arch9wavefront6targetE1EEEvS12_.uses_vcc, 0
	.set _ZN7rocprim17ROCPRIM_400000_NS6detail17trampoline_kernelINS0_13select_configILj256ELj13ELNS0_17block_load_methodE3ELS4_3ELS4_3ELNS0_20block_scan_algorithmE0ELj4294967295EEENS1_25partition_config_selectorILNS1_17partition_subalgoE4EjNS0_10empty_typeEbEEZZNS1_14partition_implILS8_4ELb0ES6_15HIP_vector_typeIjLj2EENS0_17counting_iteratorIjlEEPS9_SG_NS0_5tupleIJPjSI_NS0_16reverse_iteratorISI_EEEEENSH_IJSG_SG_SG_EEES9_SI_JZNS1_25segmented_radix_sort_implINS0_14default_configELb0EPKbPbPKlPlN2at6native12_GLOBAL__N_18offset_tEEE10hipError_tPvRmT1_PNSt15iterator_traitsIS12_E10value_typeET2_T3_PNS13_IS18_E10value_typeET4_jRbjT5_S1E_jjP12ihipStream_tbEUljE_ZNSN_ISO_Lb0ESQ_SR_ST_SU_SY_EESZ_S10_S11_S12_S16_S17_S18_S1B_S1C_jS1D_jS1E_S1E_jjS1G_bEUljE0_EEESZ_S10_S11_S18_S1C_S1E_T6_T7_T9_mT8_S1G_bDpT10_ENKUlT_T0_E_clISt17integral_constantIbLb0EES1U_EEDaS1P_S1Q_EUlS1P_E_NS1_11comp_targetILNS1_3genE0ELNS1_11target_archE4294967295ELNS1_3gpuE0ELNS1_3repE0EEENS1_30default_config_static_selectorELNS0_4arch9wavefront6targetE1EEEvS12_.uses_flat_scratch, 0
	.set _ZN7rocprim17ROCPRIM_400000_NS6detail17trampoline_kernelINS0_13select_configILj256ELj13ELNS0_17block_load_methodE3ELS4_3ELS4_3ELNS0_20block_scan_algorithmE0ELj4294967295EEENS1_25partition_config_selectorILNS1_17partition_subalgoE4EjNS0_10empty_typeEbEEZZNS1_14partition_implILS8_4ELb0ES6_15HIP_vector_typeIjLj2EENS0_17counting_iteratorIjlEEPS9_SG_NS0_5tupleIJPjSI_NS0_16reverse_iteratorISI_EEEEENSH_IJSG_SG_SG_EEES9_SI_JZNS1_25segmented_radix_sort_implINS0_14default_configELb0EPKbPbPKlPlN2at6native12_GLOBAL__N_18offset_tEEE10hipError_tPvRmT1_PNSt15iterator_traitsIS12_E10value_typeET2_T3_PNS13_IS18_E10value_typeET4_jRbjT5_S1E_jjP12ihipStream_tbEUljE_ZNSN_ISO_Lb0ESQ_SR_ST_SU_SY_EESZ_S10_S11_S12_S16_S17_S18_S1B_S1C_jS1D_jS1E_S1E_jjS1G_bEUljE0_EEESZ_S10_S11_S18_S1C_S1E_T6_T7_T9_mT8_S1G_bDpT10_ENKUlT_T0_E_clISt17integral_constantIbLb0EES1U_EEDaS1P_S1Q_EUlS1P_E_NS1_11comp_targetILNS1_3genE0ELNS1_11target_archE4294967295ELNS1_3gpuE0ELNS1_3repE0EEENS1_30default_config_static_selectorELNS0_4arch9wavefront6targetE1EEEvS12_.has_dyn_sized_stack, 0
	.set _ZN7rocprim17ROCPRIM_400000_NS6detail17trampoline_kernelINS0_13select_configILj256ELj13ELNS0_17block_load_methodE3ELS4_3ELS4_3ELNS0_20block_scan_algorithmE0ELj4294967295EEENS1_25partition_config_selectorILNS1_17partition_subalgoE4EjNS0_10empty_typeEbEEZZNS1_14partition_implILS8_4ELb0ES6_15HIP_vector_typeIjLj2EENS0_17counting_iteratorIjlEEPS9_SG_NS0_5tupleIJPjSI_NS0_16reverse_iteratorISI_EEEEENSH_IJSG_SG_SG_EEES9_SI_JZNS1_25segmented_radix_sort_implINS0_14default_configELb0EPKbPbPKlPlN2at6native12_GLOBAL__N_18offset_tEEE10hipError_tPvRmT1_PNSt15iterator_traitsIS12_E10value_typeET2_T3_PNS13_IS18_E10value_typeET4_jRbjT5_S1E_jjP12ihipStream_tbEUljE_ZNSN_ISO_Lb0ESQ_SR_ST_SU_SY_EESZ_S10_S11_S12_S16_S17_S18_S1B_S1C_jS1D_jS1E_S1E_jjS1G_bEUljE0_EEESZ_S10_S11_S18_S1C_S1E_T6_T7_T9_mT8_S1G_bDpT10_ENKUlT_T0_E_clISt17integral_constantIbLb0EES1U_EEDaS1P_S1Q_EUlS1P_E_NS1_11comp_targetILNS1_3genE0ELNS1_11target_archE4294967295ELNS1_3gpuE0ELNS1_3repE0EEENS1_30default_config_static_selectorELNS0_4arch9wavefront6targetE1EEEvS12_.has_recursion, 0
	.set _ZN7rocprim17ROCPRIM_400000_NS6detail17trampoline_kernelINS0_13select_configILj256ELj13ELNS0_17block_load_methodE3ELS4_3ELS4_3ELNS0_20block_scan_algorithmE0ELj4294967295EEENS1_25partition_config_selectorILNS1_17partition_subalgoE4EjNS0_10empty_typeEbEEZZNS1_14partition_implILS8_4ELb0ES6_15HIP_vector_typeIjLj2EENS0_17counting_iteratorIjlEEPS9_SG_NS0_5tupleIJPjSI_NS0_16reverse_iteratorISI_EEEEENSH_IJSG_SG_SG_EEES9_SI_JZNS1_25segmented_radix_sort_implINS0_14default_configELb0EPKbPbPKlPlN2at6native12_GLOBAL__N_18offset_tEEE10hipError_tPvRmT1_PNSt15iterator_traitsIS12_E10value_typeET2_T3_PNS13_IS18_E10value_typeET4_jRbjT5_S1E_jjP12ihipStream_tbEUljE_ZNSN_ISO_Lb0ESQ_SR_ST_SU_SY_EESZ_S10_S11_S12_S16_S17_S18_S1B_S1C_jS1D_jS1E_S1E_jjS1G_bEUljE0_EEESZ_S10_S11_S18_S1C_S1E_T6_T7_T9_mT8_S1G_bDpT10_ENKUlT_T0_E_clISt17integral_constantIbLb0EES1U_EEDaS1P_S1Q_EUlS1P_E_NS1_11comp_targetILNS1_3genE0ELNS1_11target_archE4294967295ELNS1_3gpuE0ELNS1_3repE0EEENS1_30default_config_static_selectorELNS0_4arch9wavefront6targetE1EEEvS12_.has_indirect_call, 0
	.section	.AMDGPU.csdata,"",@progbits
; Kernel info:
; codeLenInByte = 0
; TotalNumSgprs: 4
; NumVgprs: 0
; ScratchSize: 0
; MemoryBound: 0
; FloatMode: 240
; IeeeMode: 1
; LDSByteSize: 0 bytes/workgroup (compile time only)
; SGPRBlocks: 0
; VGPRBlocks: 0
; NumSGPRsForWavesPerEU: 4
; NumVGPRsForWavesPerEU: 1
; Occupancy: 10
; WaveLimiterHint : 0
; COMPUTE_PGM_RSRC2:SCRATCH_EN: 0
; COMPUTE_PGM_RSRC2:USER_SGPR: 6
; COMPUTE_PGM_RSRC2:TRAP_HANDLER: 0
; COMPUTE_PGM_RSRC2:TGID_X_EN: 1
; COMPUTE_PGM_RSRC2:TGID_Y_EN: 0
; COMPUTE_PGM_RSRC2:TGID_Z_EN: 0
; COMPUTE_PGM_RSRC2:TIDIG_COMP_CNT: 0
	.section	.text._ZN7rocprim17ROCPRIM_400000_NS6detail17trampoline_kernelINS0_13select_configILj256ELj13ELNS0_17block_load_methodE3ELS4_3ELS4_3ELNS0_20block_scan_algorithmE0ELj4294967295EEENS1_25partition_config_selectorILNS1_17partition_subalgoE4EjNS0_10empty_typeEbEEZZNS1_14partition_implILS8_4ELb0ES6_15HIP_vector_typeIjLj2EENS0_17counting_iteratorIjlEEPS9_SG_NS0_5tupleIJPjSI_NS0_16reverse_iteratorISI_EEEEENSH_IJSG_SG_SG_EEES9_SI_JZNS1_25segmented_radix_sort_implINS0_14default_configELb0EPKbPbPKlPlN2at6native12_GLOBAL__N_18offset_tEEE10hipError_tPvRmT1_PNSt15iterator_traitsIS12_E10value_typeET2_T3_PNS13_IS18_E10value_typeET4_jRbjT5_S1E_jjP12ihipStream_tbEUljE_ZNSN_ISO_Lb0ESQ_SR_ST_SU_SY_EESZ_S10_S11_S12_S16_S17_S18_S1B_S1C_jS1D_jS1E_S1E_jjS1G_bEUljE0_EEESZ_S10_S11_S18_S1C_S1E_T6_T7_T9_mT8_S1G_bDpT10_ENKUlT_T0_E_clISt17integral_constantIbLb0EES1U_EEDaS1P_S1Q_EUlS1P_E_NS1_11comp_targetILNS1_3genE5ELNS1_11target_archE942ELNS1_3gpuE9ELNS1_3repE0EEENS1_30default_config_static_selectorELNS0_4arch9wavefront6targetE1EEEvS12_,"axG",@progbits,_ZN7rocprim17ROCPRIM_400000_NS6detail17trampoline_kernelINS0_13select_configILj256ELj13ELNS0_17block_load_methodE3ELS4_3ELS4_3ELNS0_20block_scan_algorithmE0ELj4294967295EEENS1_25partition_config_selectorILNS1_17partition_subalgoE4EjNS0_10empty_typeEbEEZZNS1_14partition_implILS8_4ELb0ES6_15HIP_vector_typeIjLj2EENS0_17counting_iteratorIjlEEPS9_SG_NS0_5tupleIJPjSI_NS0_16reverse_iteratorISI_EEEEENSH_IJSG_SG_SG_EEES9_SI_JZNS1_25segmented_radix_sort_implINS0_14default_configELb0EPKbPbPKlPlN2at6native12_GLOBAL__N_18offset_tEEE10hipError_tPvRmT1_PNSt15iterator_traitsIS12_E10value_typeET2_T3_PNS13_IS18_E10value_typeET4_jRbjT5_S1E_jjP12ihipStream_tbEUljE_ZNSN_ISO_Lb0ESQ_SR_ST_SU_SY_EESZ_S10_S11_S12_S16_S17_S18_S1B_S1C_jS1D_jS1E_S1E_jjS1G_bEUljE0_EEESZ_S10_S11_S18_S1C_S1E_T6_T7_T9_mT8_S1G_bDpT10_ENKUlT_T0_E_clISt17integral_constantIbLb0EES1U_EEDaS1P_S1Q_EUlS1P_E_NS1_11comp_targetILNS1_3genE5ELNS1_11target_archE942ELNS1_3gpuE9ELNS1_3repE0EEENS1_30default_config_static_selectorELNS0_4arch9wavefront6targetE1EEEvS12_,comdat
	.globl	_ZN7rocprim17ROCPRIM_400000_NS6detail17trampoline_kernelINS0_13select_configILj256ELj13ELNS0_17block_load_methodE3ELS4_3ELS4_3ELNS0_20block_scan_algorithmE0ELj4294967295EEENS1_25partition_config_selectorILNS1_17partition_subalgoE4EjNS0_10empty_typeEbEEZZNS1_14partition_implILS8_4ELb0ES6_15HIP_vector_typeIjLj2EENS0_17counting_iteratorIjlEEPS9_SG_NS0_5tupleIJPjSI_NS0_16reverse_iteratorISI_EEEEENSH_IJSG_SG_SG_EEES9_SI_JZNS1_25segmented_radix_sort_implINS0_14default_configELb0EPKbPbPKlPlN2at6native12_GLOBAL__N_18offset_tEEE10hipError_tPvRmT1_PNSt15iterator_traitsIS12_E10value_typeET2_T3_PNS13_IS18_E10value_typeET4_jRbjT5_S1E_jjP12ihipStream_tbEUljE_ZNSN_ISO_Lb0ESQ_SR_ST_SU_SY_EESZ_S10_S11_S12_S16_S17_S18_S1B_S1C_jS1D_jS1E_S1E_jjS1G_bEUljE0_EEESZ_S10_S11_S18_S1C_S1E_T6_T7_T9_mT8_S1G_bDpT10_ENKUlT_T0_E_clISt17integral_constantIbLb0EES1U_EEDaS1P_S1Q_EUlS1P_E_NS1_11comp_targetILNS1_3genE5ELNS1_11target_archE942ELNS1_3gpuE9ELNS1_3repE0EEENS1_30default_config_static_selectorELNS0_4arch9wavefront6targetE1EEEvS12_ ; -- Begin function _ZN7rocprim17ROCPRIM_400000_NS6detail17trampoline_kernelINS0_13select_configILj256ELj13ELNS0_17block_load_methodE3ELS4_3ELS4_3ELNS0_20block_scan_algorithmE0ELj4294967295EEENS1_25partition_config_selectorILNS1_17partition_subalgoE4EjNS0_10empty_typeEbEEZZNS1_14partition_implILS8_4ELb0ES6_15HIP_vector_typeIjLj2EENS0_17counting_iteratorIjlEEPS9_SG_NS0_5tupleIJPjSI_NS0_16reverse_iteratorISI_EEEEENSH_IJSG_SG_SG_EEES9_SI_JZNS1_25segmented_radix_sort_implINS0_14default_configELb0EPKbPbPKlPlN2at6native12_GLOBAL__N_18offset_tEEE10hipError_tPvRmT1_PNSt15iterator_traitsIS12_E10value_typeET2_T3_PNS13_IS18_E10value_typeET4_jRbjT5_S1E_jjP12ihipStream_tbEUljE_ZNSN_ISO_Lb0ESQ_SR_ST_SU_SY_EESZ_S10_S11_S12_S16_S17_S18_S1B_S1C_jS1D_jS1E_S1E_jjS1G_bEUljE0_EEESZ_S10_S11_S18_S1C_S1E_T6_T7_T9_mT8_S1G_bDpT10_ENKUlT_T0_E_clISt17integral_constantIbLb0EES1U_EEDaS1P_S1Q_EUlS1P_E_NS1_11comp_targetILNS1_3genE5ELNS1_11target_archE942ELNS1_3gpuE9ELNS1_3repE0EEENS1_30default_config_static_selectorELNS0_4arch9wavefront6targetE1EEEvS12_
	.p2align	8
	.type	_ZN7rocprim17ROCPRIM_400000_NS6detail17trampoline_kernelINS0_13select_configILj256ELj13ELNS0_17block_load_methodE3ELS4_3ELS4_3ELNS0_20block_scan_algorithmE0ELj4294967295EEENS1_25partition_config_selectorILNS1_17partition_subalgoE4EjNS0_10empty_typeEbEEZZNS1_14partition_implILS8_4ELb0ES6_15HIP_vector_typeIjLj2EENS0_17counting_iteratorIjlEEPS9_SG_NS0_5tupleIJPjSI_NS0_16reverse_iteratorISI_EEEEENSH_IJSG_SG_SG_EEES9_SI_JZNS1_25segmented_radix_sort_implINS0_14default_configELb0EPKbPbPKlPlN2at6native12_GLOBAL__N_18offset_tEEE10hipError_tPvRmT1_PNSt15iterator_traitsIS12_E10value_typeET2_T3_PNS13_IS18_E10value_typeET4_jRbjT5_S1E_jjP12ihipStream_tbEUljE_ZNSN_ISO_Lb0ESQ_SR_ST_SU_SY_EESZ_S10_S11_S12_S16_S17_S18_S1B_S1C_jS1D_jS1E_S1E_jjS1G_bEUljE0_EEESZ_S10_S11_S18_S1C_S1E_T6_T7_T9_mT8_S1G_bDpT10_ENKUlT_T0_E_clISt17integral_constantIbLb0EES1U_EEDaS1P_S1Q_EUlS1P_E_NS1_11comp_targetILNS1_3genE5ELNS1_11target_archE942ELNS1_3gpuE9ELNS1_3repE0EEENS1_30default_config_static_selectorELNS0_4arch9wavefront6targetE1EEEvS12_,@function
_ZN7rocprim17ROCPRIM_400000_NS6detail17trampoline_kernelINS0_13select_configILj256ELj13ELNS0_17block_load_methodE3ELS4_3ELS4_3ELNS0_20block_scan_algorithmE0ELj4294967295EEENS1_25partition_config_selectorILNS1_17partition_subalgoE4EjNS0_10empty_typeEbEEZZNS1_14partition_implILS8_4ELb0ES6_15HIP_vector_typeIjLj2EENS0_17counting_iteratorIjlEEPS9_SG_NS0_5tupleIJPjSI_NS0_16reverse_iteratorISI_EEEEENSH_IJSG_SG_SG_EEES9_SI_JZNS1_25segmented_radix_sort_implINS0_14default_configELb0EPKbPbPKlPlN2at6native12_GLOBAL__N_18offset_tEEE10hipError_tPvRmT1_PNSt15iterator_traitsIS12_E10value_typeET2_T3_PNS13_IS18_E10value_typeET4_jRbjT5_S1E_jjP12ihipStream_tbEUljE_ZNSN_ISO_Lb0ESQ_SR_ST_SU_SY_EESZ_S10_S11_S12_S16_S17_S18_S1B_S1C_jS1D_jS1E_S1E_jjS1G_bEUljE0_EEESZ_S10_S11_S18_S1C_S1E_T6_T7_T9_mT8_S1G_bDpT10_ENKUlT_T0_E_clISt17integral_constantIbLb0EES1U_EEDaS1P_S1Q_EUlS1P_E_NS1_11comp_targetILNS1_3genE5ELNS1_11target_archE942ELNS1_3gpuE9ELNS1_3repE0EEENS1_30default_config_static_selectorELNS0_4arch9wavefront6targetE1EEEvS12_: ; @_ZN7rocprim17ROCPRIM_400000_NS6detail17trampoline_kernelINS0_13select_configILj256ELj13ELNS0_17block_load_methodE3ELS4_3ELS4_3ELNS0_20block_scan_algorithmE0ELj4294967295EEENS1_25partition_config_selectorILNS1_17partition_subalgoE4EjNS0_10empty_typeEbEEZZNS1_14partition_implILS8_4ELb0ES6_15HIP_vector_typeIjLj2EENS0_17counting_iteratorIjlEEPS9_SG_NS0_5tupleIJPjSI_NS0_16reverse_iteratorISI_EEEEENSH_IJSG_SG_SG_EEES9_SI_JZNS1_25segmented_radix_sort_implINS0_14default_configELb0EPKbPbPKlPlN2at6native12_GLOBAL__N_18offset_tEEE10hipError_tPvRmT1_PNSt15iterator_traitsIS12_E10value_typeET2_T3_PNS13_IS18_E10value_typeET4_jRbjT5_S1E_jjP12ihipStream_tbEUljE_ZNSN_ISO_Lb0ESQ_SR_ST_SU_SY_EESZ_S10_S11_S12_S16_S17_S18_S1B_S1C_jS1D_jS1E_S1E_jjS1G_bEUljE0_EEESZ_S10_S11_S18_S1C_S1E_T6_T7_T9_mT8_S1G_bDpT10_ENKUlT_T0_E_clISt17integral_constantIbLb0EES1U_EEDaS1P_S1Q_EUlS1P_E_NS1_11comp_targetILNS1_3genE5ELNS1_11target_archE942ELNS1_3gpuE9ELNS1_3repE0EEENS1_30default_config_static_selectorELNS0_4arch9wavefront6targetE1EEEvS12_
; %bb.0:
	.section	.rodata,"a",@progbits
	.p2align	6, 0x0
	.amdhsa_kernel _ZN7rocprim17ROCPRIM_400000_NS6detail17trampoline_kernelINS0_13select_configILj256ELj13ELNS0_17block_load_methodE3ELS4_3ELS4_3ELNS0_20block_scan_algorithmE0ELj4294967295EEENS1_25partition_config_selectorILNS1_17partition_subalgoE4EjNS0_10empty_typeEbEEZZNS1_14partition_implILS8_4ELb0ES6_15HIP_vector_typeIjLj2EENS0_17counting_iteratorIjlEEPS9_SG_NS0_5tupleIJPjSI_NS0_16reverse_iteratorISI_EEEEENSH_IJSG_SG_SG_EEES9_SI_JZNS1_25segmented_radix_sort_implINS0_14default_configELb0EPKbPbPKlPlN2at6native12_GLOBAL__N_18offset_tEEE10hipError_tPvRmT1_PNSt15iterator_traitsIS12_E10value_typeET2_T3_PNS13_IS18_E10value_typeET4_jRbjT5_S1E_jjP12ihipStream_tbEUljE_ZNSN_ISO_Lb0ESQ_SR_ST_SU_SY_EESZ_S10_S11_S12_S16_S17_S18_S1B_S1C_jS1D_jS1E_S1E_jjS1G_bEUljE0_EEESZ_S10_S11_S18_S1C_S1E_T6_T7_T9_mT8_S1G_bDpT10_ENKUlT_T0_E_clISt17integral_constantIbLb0EES1U_EEDaS1P_S1Q_EUlS1P_E_NS1_11comp_targetILNS1_3genE5ELNS1_11target_archE942ELNS1_3gpuE9ELNS1_3repE0EEENS1_30default_config_static_selectorELNS0_4arch9wavefront6targetE1EEEvS12_
		.amdhsa_group_segment_fixed_size 0
		.amdhsa_private_segment_fixed_size 0
		.amdhsa_kernarg_size 176
		.amdhsa_user_sgpr_count 6
		.amdhsa_user_sgpr_private_segment_buffer 1
		.amdhsa_user_sgpr_dispatch_ptr 0
		.amdhsa_user_sgpr_queue_ptr 0
		.amdhsa_user_sgpr_kernarg_segment_ptr 1
		.amdhsa_user_sgpr_dispatch_id 0
		.amdhsa_user_sgpr_flat_scratch_init 0
		.amdhsa_user_sgpr_private_segment_size 0
		.amdhsa_uses_dynamic_stack 0
		.amdhsa_system_sgpr_private_segment_wavefront_offset 0
		.amdhsa_system_sgpr_workgroup_id_x 1
		.amdhsa_system_sgpr_workgroup_id_y 0
		.amdhsa_system_sgpr_workgroup_id_z 0
		.amdhsa_system_sgpr_workgroup_info 0
		.amdhsa_system_vgpr_workitem_id 0
		.amdhsa_next_free_vgpr 1
		.amdhsa_next_free_sgpr 0
		.amdhsa_reserve_vcc 0
		.amdhsa_reserve_flat_scratch 0
		.amdhsa_float_round_mode_32 0
		.amdhsa_float_round_mode_16_64 0
		.amdhsa_float_denorm_mode_32 3
		.amdhsa_float_denorm_mode_16_64 3
		.amdhsa_dx10_clamp 1
		.amdhsa_ieee_mode 1
		.amdhsa_fp16_overflow 0
		.amdhsa_exception_fp_ieee_invalid_op 0
		.amdhsa_exception_fp_denorm_src 0
		.amdhsa_exception_fp_ieee_div_zero 0
		.amdhsa_exception_fp_ieee_overflow 0
		.amdhsa_exception_fp_ieee_underflow 0
		.amdhsa_exception_fp_ieee_inexact 0
		.amdhsa_exception_int_div_zero 0
	.end_amdhsa_kernel
	.section	.text._ZN7rocprim17ROCPRIM_400000_NS6detail17trampoline_kernelINS0_13select_configILj256ELj13ELNS0_17block_load_methodE3ELS4_3ELS4_3ELNS0_20block_scan_algorithmE0ELj4294967295EEENS1_25partition_config_selectorILNS1_17partition_subalgoE4EjNS0_10empty_typeEbEEZZNS1_14partition_implILS8_4ELb0ES6_15HIP_vector_typeIjLj2EENS0_17counting_iteratorIjlEEPS9_SG_NS0_5tupleIJPjSI_NS0_16reverse_iteratorISI_EEEEENSH_IJSG_SG_SG_EEES9_SI_JZNS1_25segmented_radix_sort_implINS0_14default_configELb0EPKbPbPKlPlN2at6native12_GLOBAL__N_18offset_tEEE10hipError_tPvRmT1_PNSt15iterator_traitsIS12_E10value_typeET2_T3_PNS13_IS18_E10value_typeET4_jRbjT5_S1E_jjP12ihipStream_tbEUljE_ZNSN_ISO_Lb0ESQ_SR_ST_SU_SY_EESZ_S10_S11_S12_S16_S17_S18_S1B_S1C_jS1D_jS1E_S1E_jjS1G_bEUljE0_EEESZ_S10_S11_S18_S1C_S1E_T6_T7_T9_mT8_S1G_bDpT10_ENKUlT_T0_E_clISt17integral_constantIbLb0EES1U_EEDaS1P_S1Q_EUlS1P_E_NS1_11comp_targetILNS1_3genE5ELNS1_11target_archE942ELNS1_3gpuE9ELNS1_3repE0EEENS1_30default_config_static_selectorELNS0_4arch9wavefront6targetE1EEEvS12_,"axG",@progbits,_ZN7rocprim17ROCPRIM_400000_NS6detail17trampoline_kernelINS0_13select_configILj256ELj13ELNS0_17block_load_methodE3ELS4_3ELS4_3ELNS0_20block_scan_algorithmE0ELj4294967295EEENS1_25partition_config_selectorILNS1_17partition_subalgoE4EjNS0_10empty_typeEbEEZZNS1_14partition_implILS8_4ELb0ES6_15HIP_vector_typeIjLj2EENS0_17counting_iteratorIjlEEPS9_SG_NS0_5tupleIJPjSI_NS0_16reverse_iteratorISI_EEEEENSH_IJSG_SG_SG_EEES9_SI_JZNS1_25segmented_radix_sort_implINS0_14default_configELb0EPKbPbPKlPlN2at6native12_GLOBAL__N_18offset_tEEE10hipError_tPvRmT1_PNSt15iterator_traitsIS12_E10value_typeET2_T3_PNS13_IS18_E10value_typeET4_jRbjT5_S1E_jjP12ihipStream_tbEUljE_ZNSN_ISO_Lb0ESQ_SR_ST_SU_SY_EESZ_S10_S11_S12_S16_S17_S18_S1B_S1C_jS1D_jS1E_S1E_jjS1G_bEUljE0_EEESZ_S10_S11_S18_S1C_S1E_T6_T7_T9_mT8_S1G_bDpT10_ENKUlT_T0_E_clISt17integral_constantIbLb0EES1U_EEDaS1P_S1Q_EUlS1P_E_NS1_11comp_targetILNS1_3genE5ELNS1_11target_archE942ELNS1_3gpuE9ELNS1_3repE0EEENS1_30default_config_static_selectorELNS0_4arch9wavefront6targetE1EEEvS12_,comdat
.Lfunc_end1572:
	.size	_ZN7rocprim17ROCPRIM_400000_NS6detail17trampoline_kernelINS0_13select_configILj256ELj13ELNS0_17block_load_methodE3ELS4_3ELS4_3ELNS0_20block_scan_algorithmE0ELj4294967295EEENS1_25partition_config_selectorILNS1_17partition_subalgoE4EjNS0_10empty_typeEbEEZZNS1_14partition_implILS8_4ELb0ES6_15HIP_vector_typeIjLj2EENS0_17counting_iteratorIjlEEPS9_SG_NS0_5tupleIJPjSI_NS0_16reverse_iteratorISI_EEEEENSH_IJSG_SG_SG_EEES9_SI_JZNS1_25segmented_radix_sort_implINS0_14default_configELb0EPKbPbPKlPlN2at6native12_GLOBAL__N_18offset_tEEE10hipError_tPvRmT1_PNSt15iterator_traitsIS12_E10value_typeET2_T3_PNS13_IS18_E10value_typeET4_jRbjT5_S1E_jjP12ihipStream_tbEUljE_ZNSN_ISO_Lb0ESQ_SR_ST_SU_SY_EESZ_S10_S11_S12_S16_S17_S18_S1B_S1C_jS1D_jS1E_S1E_jjS1G_bEUljE0_EEESZ_S10_S11_S18_S1C_S1E_T6_T7_T9_mT8_S1G_bDpT10_ENKUlT_T0_E_clISt17integral_constantIbLb0EES1U_EEDaS1P_S1Q_EUlS1P_E_NS1_11comp_targetILNS1_3genE5ELNS1_11target_archE942ELNS1_3gpuE9ELNS1_3repE0EEENS1_30default_config_static_selectorELNS0_4arch9wavefront6targetE1EEEvS12_, .Lfunc_end1572-_ZN7rocprim17ROCPRIM_400000_NS6detail17trampoline_kernelINS0_13select_configILj256ELj13ELNS0_17block_load_methodE3ELS4_3ELS4_3ELNS0_20block_scan_algorithmE0ELj4294967295EEENS1_25partition_config_selectorILNS1_17partition_subalgoE4EjNS0_10empty_typeEbEEZZNS1_14partition_implILS8_4ELb0ES6_15HIP_vector_typeIjLj2EENS0_17counting_iteratorIjlEEPS9_SG_NS0_5tupleIJPjSI_NS0_16reverse_iteratorISI_EEEEENSH_IJSG_SG_SG_EEES9_SI_JZNS1_25segmented_radix_sort_implINS0_14default_configELb0EPKbPbPKlPlN2at6native12_GLOBAL__N_18offset_tEEE10hipError_tPvRmT1_PNSt15iterator_traitsIS12_E10value_typeET2_T3_PNS13_IS18_E10value_typeET4_jRbjT5_S1E_jjP12ihipStream_tbEUljE_ZNSN_ISO_Lb0ESQ_SR_ST_SU_SY_EESZ_S10_S11_S12_S16_S17_S18_S1B_S1C_jS1D_jS1E_S1E_jjS1G_bEUljE0_EEESZ_S10_S11_S18_S1C_S1E_T6_T7_T9_mT8_S1G_bDpT10_ENKUlT_T0_E_clISt17integral_constantIbLb0EES1U_EEDaS1P_S1Q_EUlS1P_E_NS1_11comp_targetILNS1_3genE5ELNS1_11target_archE942ELNS1_3gpuE9ELNS1_3repE0EEENS1_30default_config_static_selectorELNS0_4arch9wavefront6targetE1EEEvS12_
                                        ; -- End function
	.set _ZN7rocprim17ROCPRIM_400000_NS6detail17trampoline_kernelINS0_13select_configILj256ELj13ELNS0_17block_load_methodE3ELS4_3ELS4_3ELNS0_20block_scan_algorithmE0ELj4294967295EEENS1_25partition_config_selectorILNS1_17partition_subalgoE4EjNS0_10empty_typeEbEEZZNS1_14partition_implILS8_4ELb0ES6_15HIP_vector_typeIjLj2EENS0_17counting_iteratorIjlEEPS9_SG_NS0_5tupleIJPjSI_NS0_16reverse_iteratorISI_EEEEENSH_IJSG_SG_SG_EEES9_SI_JZNS1_25segmented_radix_sort_implINS0_14default_configELb0EPKbPbPKlPlN2at6native12_GLOBAL__N_18offset_tEEE10hipError_tPvRmT1_PNSt15iterator_traitsIS12_E10value_typeET2_T3_PNS13_IS18_E10value_typeET4_jRbjT5_S1E_jjP12ihipStream_tbEUljE_ZNSN_ISO_Lb0ESQ_SR_ST_SU_SY_EESZ_S10_S11_S12_S16_S17_S18_S1B_S1C_jS1D_jS1E_S1E_jjS1G_bEUljE0_EEESZ_S10_S11_S18_S1C_S1E_T6_T7_T9_mT8_S1G_bDpT10_ENKUlT_T0_E_clISt17integral_constantIbLb0EES1U_EEDaS1P_S1Q_EUlS1P_E_NS1_11comp_targetILNS1_3genE5ELNS1_11target_archE942ELNS1_3gpuE9ELNS1_3repE0EEENS1_30default_config_static_selectorELNS0_4arch9wavefront6targetE1EEEvS12_.num_vgpr, 0
	.set _ZN7rocprim17ROCPRIM_400000_NS6detail17trampoline_kernelINS0_13select_configILj256ELj13ELNS0_17block_load_methodE3ELS4_3ELS4_3ELNS0_20block_scan_algorithmE0ELj4294967295EEENS1_25partition_config_selectorILNS1_17partition_subalgoE4EjNS0_10empty_typeEbEEZZNS1_14partition_implILS8_4ELb0ES6_15HIP_vector_typeIjLj2EENS0_17counting_iteratorIjlEEPS9_SG_NS0_5tupleIJPjSI_NS0_16reverse_iteratorISI_EEEEENSH_IJSG_SG_SG_EEES9_SI_JZNS1_25segmented_radix_sort_implINS0_14default_configELb0EPKbPbPKlPlN2at6native12_GLOBAL__N_18offset_tEEE10hipError_tPvRmT1_PNSt15iterator_traitsIS12_E10value_typeET2_T3_PNS13_IS18_E10value_typeET4_jRbjT5_S1E_jjP12ihipStream_tbEUljE_ZNSN_ISO_Lb0ESQ_SR_ST_SU_SY_EESZ_S10_S11_S12_S16_S17_S18_S1B_S1C_jS1D_jS1E_S1E_jjS1G_bEUljE0_EEESZ_S10_S11_S18_S1C_S1E_T6_T7_T9_mT8_S1G_bDpT10_ENKUlT_T0_E_clISt17integral_constantIbLb0EES1U_EEDaS1P_S1Q_EUlS1P_E_NS1_11comp_targetILNS1_3genE5ELNS1_11target_archE942ELNS1_3gpuE9ELNS1_3repE0EEENS1_30default_config_static_selectorELNS0_4arch9wavefront6targetE1EEEvS12_.num_agpr, 0
	.set _ZN7rocprim17ROCPRIM_400000_NS6detail17trampoline_kernelINS0_13select_configILj256ELj13ELNS0_17block_load_methodE3ELS4_3ELS4_3ELNS0_20block_scan_algorithmE0ELj4294967295EEENS1_25partition_config_selectorILNS1_17partition_subalgoE4EjNS0_10empty_typeEbEEZZNS1_14partition_implILS8_4ELb0ES6_15HIP_vector_typeIjLj2EENS0_17counting_iteratorIjlEEPS9_SG_NS0_5tupleIJPjSI_NS0_16reverse_iteratorISI_EEEEENSH_IJSG_SG_SG_EEES9_SI_JZNS1_25segmented_radix_sort_implINS0_14default_configELb0EPKbPbPKlPlN2at6native12_GLOBAL__N_18offset_tEEE10hipError_tPvRmT1_PNSt15iterator_traitsIS12_E10value_typeET2_T3_PNS13_IS18_E10value_typeET4_jRbjT5_S1E_jjP12ihipStream_tbEUljE_ZNSN_ISO_Lb0ESQ_SR_ST_SU_SY_EESZ_S10_S11_S12_S16_S17_S18_S1B_S1C_jS1D_jS1E_S1E_jjS1G_bEUljE0_EEESZ_S10_S11_S18_S1C_S1E_T6_T7_T9_mT8_S1G_bDpT10_ENKUlT_T0_E_clISt17integral_constantIbLb0EES1U_EEDaS1P_S1Q_EUlS1P_E_NS1_11comp_targetILNS1_3genE5ELNS1_11target_archE942ELNS1_3gpuE9ELNS1_3repE0EEENS1_30default_config_static_selectorELNS0_4arch9wavefront6targetE1EEEvS12_.numbered_sgpr, 0
	.set _ZN7rocprim17ROCPRIM_400000_NS6detail17trampoline_kernelINS0_13select_configILj256ELj13ELNS0_17block_load_methodE3ELS4_3ELS4_3ELNS0_20block_scan_algorithmE0ELj4294967295EEENS1_25partition_config_selectorILNS1_17partition_subalgoE4EjNS0_10empty_typeEbEEZZNS1_14partition_implILS8_4ELb0ES6_15HIP_vector_typeIjLj2EENS0_17counting_iteratorIjlEEPS9_SG_NS0_5tupleIJPjSI_NS0_16reverse_iteratorISI_EEEEENSH_IJSG_SG_SG_EEES9_SI_JZNS1_25segmented_radix_sort_implINS0_14default_configELb0EPKbPbPKlPlN2at6native12_GLOBAL__N_18offset_tEEE10hipError_tPvRmT1_PNSt15iterator_traitsIS12_E10value_typeET2_T3_PNS13_IS18_E10value_typeET4_jRbjT5_S1E_jjP12ihipStream_tbEUljE_ZNSN_ISO_Lb0ESQ_SR_ST_SU_SY_EESZ_S10_S11_S12_S16_S17_S18_S1B_S1C_jS1D_jS1E_S1E_jjS1G_bEUljE0_EEESZ_S10_S11_S18_S1C_S1E_T6_T7_T9_mT8_S1G_bDpT10_ENKUlT_T0_E_clISt17integral_constantIbLb0EES1U_EEDaS1P_S1Q_EUlS1P_E_NS1_11comp_targetILNS1_3genE5ELNS1_11target_archE942ELNS1_3gpuE9ELNS1_3repE0EEENS1_30default_config_static_selectorELNS0_4arch9wavefront6targetE1EEEvS12_.num_named_barrier, 0
	.set _ZN7rocprim17ROCPRIM_400000_NS6detail17trampoline_kernelINS0_13select_configILj256ELj13ELNS0_17block_load_methodE3ELS4_3ELS4_3ELNS0_20block_scan_algorithmE0ELj4294967295EEENS1_25partition_config_selectorILNS1_17partition_subalgoE4EjNS0_10empty_typeEbEEZZNS1_14partition_implILS8_4ELb0ES6_15HIP_vector_typeIjLj2EENS0_17counting_iteratorIjlEEPS9_SG_NS0_5tupleIJPjSI_NS0_16reverse_iteratorISI_EEEEENSH_IJSG_SG_SG_EEES9_SI_JZNS1_25segmented_radix_sort_implINS0_14default_configELb0EPKbPbPKlPlN2at6native12_GLOBAL__N_18offset_tEEE10hipError_tPvRmT1_PNSt15iterator_traitsIS12_E10value_typeET2_T3_PNS13_IS18_E10value_typeET4_jRbjT5_S1E_jjP12ihipStream_tbEUljE_ZNSN_ISO_Lb0ESQ_SR_ST_SU_SY_EESZ_S10_S11_S12_S16_S17_S18_S1B_S1C_jS1D_jS1E_S1E_jjS1G_bEUljE0_EEESZ_S10_S11_S18_S1C_S1E_T6_T7_T9_mT8_S1G_bDpT10_ENKUlT_T0_E_clISt17integral_constantIbLb0EES1U_EEDaS1P_S1Q_EUlS1P_E_NS1_11comp_targetILNS1_3genE5ELNS1_11target_archE942ELNS1_3gpuE9ELNS1_3repE0EEENS1_30default_config_static_selectorELNS0_4arch9wavefront6targetE1EEEvS12_.private_seg_size, 0
	.set _ZN7rocprim17ROCPRIM_400000_NS6detail17trampoline_kernelINS0_13select_configILj256ELj13ELNS0_17block_load_methodE3ELS4_3ELS4_3ELNS0_20block_scan_algorithmE0ELj4294967295EEENS1_25partition_config_selectorILNS1_17partition_subalgoE4EjNS0_10empty_typeEbEEZZNS1_14partition_implILS8_4ELb0ES6_15HIP_vector_typeIjLj2EENS0_17counting_iteratorIjlEEPS9_SG_NS0_5tupleIJPjSI_NS0_16reverse_iteratorISI_EEEEENSH_IJSG_SG_SG_EEES9_SI_JZNS1_25segmented_radix_sort_implINS0_14default_configELb0EPKbPbPKlPlN2at6native12_GLOBAL__N_18offset_tEEE10hipError_tPvRmT1_PNSt15iterator_traitsIS12_E10value_typeET2_T3_PNS13_IS18_E10value_typeET4_jRbjT5_S1E_jjP12ihipStream_tbEUljE_ZNSN_ISO_Lb0ESQ_SR_ST_SU_SY_EESZ_S10_S11_S12_S16_S17_S18_S1B_S1C_jS1D_jS1E_S1E_jjS1G_bEUljE0_EEESZ_S10_S11_S18_S1C_S1E_T6_T7_T9_mT8_S1G_bDpT10_ENKUlT_T0_E_clISt17integral_constantIbLb0EES1U_EEDaS1P_S1Q_EUlS1P_E_NS1_11comp_targetILNS1_3genE5ELNS1_11target_archE942ELNS1_3gpuE9ELNS1_3repE0EEENS1_30default_config_static_selectorELNS0_4arch9wavefront6targetE1EEEvS12_.uses_vcc, 0
	.set _ZN7rocprim17ROCPRIM_400000_NS6detail17trampoline_kernelINS0_13select_configILj256ELj13ELNS0_17block_load_methodE3ELS4_3ELS4_3ELNS0_20block_scan_algorithmE0ELj4294967295EEENS1_25partition_config_selectorILNS1_17partition_subalgoE4EjNS0_10empty_typeEbEEZZNS1_14partition_implILS8_4ELb0ES6_15HIP_vector_typeIjLj2EENS0_17counting_iteratorIjlEEPS9_SG_NS0_5tupleIJPjSI_NS0_16reverse_iteratorISI_EEEEENSH_IJSG_SG_SG_EEES9_SI_JZNS1_25segmented_radix_sort_implINS0_14default_configELb0EPKbPbPKlPlN2at6native12_GLOBAL__N_18offset_tEEE10hipError_tPvRmT1_PNSt15iterator_traitsIS12_E10value_typeET2_T3_PNS13_IS18_E10value_typeET4_jRbjT5_S1E_jjP12ihipStream_tbEUljE_ZNSN_ISO_Lb0ESQ_SR_ST_SU_SY_EESZ_S10_S11_S12_S16_S17_S18_S1B_S1C_jS1D_jS1E_S1E_jjS1G_bEUljE0_EEESZ_S10_S11_S18_S1C_S1E_T6_T7_T9_mT8_S1G_bDpT10_ENKUlT_T0_E_clISt17integral_constantIbLb0EES1U_EEDaS1P_S1Q_EUlS1P_E_NS1_11comp_targetILNS1_3genE5ELNS1_11target_archE942ELNS1_3gpuE9ELNS1_3repE0EEENS1_30default_config_static_selectorELNS0_4arch9wavefront6targetE1EEEvS12_.uses_flat_scratch, 0
	.set _ZN7rocprim17ROCPRIM_400000_NS6detail17trampoline_kernelINS0_13select_configILj256ELj13ELNS0_17block_load_methodE3ELS4_3ELS4_3ELNS0_20block_scan_algorithmE0ELj4294967295EEENS1_25partition_config_selectorILNS1_17partition_subalgoE4EjNS0_10empty_typeEbEEZZNS1_14partition_implILS8_4ELb0ES6_15HIP_vector_typeIjLj2EENS0_17counting_iteratorIjlEEPS9_SG_NS0_5tupleIJPjSI_NS0_16reverse_iteratorISI_EEEEENSH_IJSG_SG_SG_EEES9_SI_JZNS1_25segmented_radix_sort_implINS0_14default_configELb0EPKbPbPKlPlN2at6native12_GLOBAL__N_18offset_tEEE10hipError_tPvRmT1_PNSt15iterator_traitsIS12_E10value_typeET2_T3_PNS13_IS18_E10value_typeET4_jRbjT5_S1E_jjP12ihipStream_tbEUljE_ZNSN_ISO_Lb0ESQ_SR_ST_SU_SY_EESZ_S10_S11_S12_S16_S17_S18_S1B_S1C_jS1D_jS1E_S1E_jjS1G_bEUljE0_EEESZ_S10_S11_S18_S1C_S1E_T6_T7_T9_mT8_S1G_bDpT10_ENKUlT_T0_E_clISt17integral_constantIbLb0EES1U_EEDaS1P_S1Q_EUlS1P_E_NS1_11comp_targetILNS1_3genE5ELNS1_11target_archE942ELNS1_3gpuE9ELNS1_3repE0EEENS1_30default_config_static_selectorELNS0_4arch9wavefront6targetE1EEEvS12_.has_dyn_sized_stack, 0
	.set _ZN7rocprim17ROCPRIM_400000_NS6detail17trampoline_kernelINS0_13select_configILj256ELj13ELNS0_17block_load_methodE3ELS4_3ELS4_3ELNS0_20block_scan_algorithmE0ELj4294967295EEENS1_25partition_config_selectorILNS1_17partition_subalgoE4EjNS0_10empty_typeEbEEZZNS1_14partition_implILS8_4ELb0ES6_15HIP_vector_typeIjLj2EENS0_17counting_iteratorIjlEEPS9_SG_NS0_5tupleIJPjSI_NS0_16reverse_iteratorISI_EEEEENSH_IJSG_SG_SG_EEES9_SI_JZNS1_25segmented_radix_sort_implINS0_14default_configELb0EPKbPbPKlPlN2at6native12_GLOBAL__N_18offset_tEEE10hipError_tPvRmT1_PNSt15iterator_traitsIS12_E10value_typeET2_T3_PNS13_IS18_E10value_typeET4_jRbjT5_S1E_jjP12ihipStream_tbEUljE_ZNSN_ISO_Lb0ESQ_SR_ST_SU_SY_EESZ_S10_S11_S12_S16_S17_S18_S1B_S1C_jS1D_jS1E_S1E_jjS1G_bEUljE0_EEESZ_S10_S11_S18_S1C_S1E_T6_T7_T9_mT8_S1G_bDpT10_ENKUlT_T0_E_clISt17integral_constantIbLb0EES1U_EEDaS1P_S1Q_EUlS1P_E_NS1_11comp_targetILNS1_3genE5ELNS1_11target_archE942ELNS1_3gpuE9ELNS1_3repE0EEENS1_30default_config_static_selectorELNS0_4arch9wavefront6targetE1EEEvS12_.has_recursion, 0
	.set _ZN7rocprim17ROCPRIM_400000_NS6detail17trampoline_kernelINS0_13select_configILj256ELj13ELNS0_17block_load_methodE3ELS4_3ELS4_3ELNS0_20block_scan_algorithmE0ELj4294967295EEENS1_25partition_config_selectorILNS1_17partition_subalgoE4EjNS0_10empty_typeEbEEZZNS1_14partition_implILS8_4ELb0ES6_15HIP_vector_typeIjLj2EENS0_17counting_iteratorIjlEEPS9_SG_NS0_5tupleIJPjSI_NS0_16reverse_iteratorISI_EEEEENSH_IJSG_SG_SG_EEES9_SI_JZNS1_25segmented_radix_sort_implINS0_14default_configELb0EPKbPbPKlPlN2at6native12_GLOBAL__N_18offset_tEEE10hipError_tPvRmT1_PNSt15iterator_traitsIS12_E10value_typeET2_T3_PNS13_IS18_E10value_typeET4_jRbjT5_S1E_jjP12ihipStream_tbEUljE_ZNSN_ISO_Lb0ESQ_SR_ST_SU_SY_EESZ_S10_S11_S12_S16_S17_S18_S1B_S1C_jS1D_jS1E_S1E_jjS1G_bEUljE0_EEESZ_S10_S11_S18_S1C_S1E_T6_T7_T9_mT8_S1G_bDpT10_ENKUlT_T0_E_clISt17integral_constantIbLb0EES1U_EEDaS1P_S1Q_EUlS1P_E_NS1_11comp_targetILNS1_3genE5ELNS1_11target_archE942ELNS1_3gpuE9ELNS1_3repE0EEENS1_30default_config_static_selectorELNS0_4arch9wavefront6targetE1EEEvS12_.has_indirect_call, 0
	.section	.AMDGPU.csdata,"",@progbits
; Kernel info:
; codeLenInByte = 0
; TotalNumSgprs: 4
; NumVgprs: 0
; ScratchSize: 0
; MemoryBound: 0
; FloatMode: 240
; IeeeMode: 1
; LDSByteSize: 0 bytes/workgroup (compile time only)
; SGPRBlocks: 0
; VGPRBlocks: 0
; NumSGPRsForWavesPerEU: 4
; NumVGPRsForWavesPerEU: 1
; Occupancy: 10
; WaveLimiterHint : 0
; COMPUTE_PGM_RSRC2:SCRATCH_EN: 0
; COMPUTE_PGM_RSRC2:USER_SGPR: 6
; COMPUTE_PGM_RSRC2:TRAP_HANDLER: 0
; COMPUTE_PGM_RSRC2:TGID_X_EN: 1
; COMPUTE_PGM_RSRC2:TGID_Y_EN: 0
; COMPUTE_PGM_RSRC2:TGID_Z_EN: 0
; COMPUTE_PGM_RSRC2:TIDIG_COMP_CNT: 0
	.section	.text._ZN7rocprim17ROCPRIM_400000_NS6detail17trampoline_kernelINS0_13select_configILj256ELj13ELNS0_17block_load_methodE3ELS4_3ELS4_3ELNS0_20block_scan_algorithmE0ELj4294967295EEENS1_25partition_config_selectorILNS1_17partition_subalgoE4EjNS0_10empty_typeEbEEZZNS1_14partition_implILS8_4ELb0ES6_15HIP_vector_typeIjLj2EENS0_17counting_iteratorIjlEEPS9_SG_NS0_5tupleIJPjSI_NS0_16reverse_iteratorISI_EEEEENSH_IJSG_SG_SG_EEES9_SI_JZNS1_25segmented_radix_sort_implINS0_14default_configELb0EPKbPbPKlPlN2at6native12_GLOBAL__N_18offset_tEEE10hipError_tPvRmT1_PNSt15iterator_traitsIS12_E10value_typeET2_T3_PNS13_IS18_E10value_typeET4_jRbjT5_S1E_jjP12ihipStream_tbEUljE_ZNSN_ISO_Lb0ESQ_SR_ST_SU_SY_EESZ_S10_S11_S12_S16_S17_S18_S1B_S1C_jS1D_jS1E_S1E_jjS1G_bEUljE0_EEESZ_S10_S11_S18_S1C_S1E_T6_T7_T9_mT8_S1G_bDpT10_ENKUlT_T0_E_clISt17integral_constantIbLb0EES1U_EEDaS1P_S1Q_EUlS1P_E_NS1_11comp_targetILNS1_3genE4ELNS1_11target_archE910ELNS1_3gpuE8ELNS1_3repE0EEENS1_30default_config_static_selectorELNS0_4arch9wavefront6targetE1EEEvS12_,"axG",@progbits,_ZN7rocprim17ROCPRIM_400000_NS6detail17trampoline_kernelINS0_13select_configILj256ELj13ELNS0_17block_load_methodE3ELS4_3ELS4_3ELNS0_20block_scan_algorithmE0ELj4294967295EEENS1_25partition_config_selectorILNS1_17partition_subalgoE4EjNS0_10empty_typeEbEEZZNS1_14partition_implILS8_4ELb0ES6_15HIP_vector_typeIjLj2EENS0_17counting_iteratorIjlEEPS9_SG_NS0_5tupleIJPjSI_NS0_16reverse_iteratorISI_EEEEENSH_IJSG_SG_SG_EEES9_SI_JZNS1_25segmented_radix_sort_implINS0_14default_configELb0EPKbPbPKlPlN2at6native12_GLOBAL__N_18offset_tEEE10hipError_tPvRmT1_PNSt15iterator_traitsIS12_E10value_typeET2_T3_PNS13_IS18_E10value_typeET4_jRbjT5_S1E_jjP12ihipStream_tbEUljE_ZNSN_ISO_Lb0ESQ_SR_ST_SU_SY_EESZ_S10_S11_S12_S16_S17_S18_S1B_S1C_jS1D_jS1E_S1E_jjS1G_bEUljE0_EEESZ_S10_S11_S18_S1C_S1E_T6_T7_T9_mT8_S1G_bDpT10_ENKUlT_T0_E_clISt17integral_constantIbLb0EES1U_EEDaS1P_S1Q_EUlS1P_E_NS1_11comp_targetILNS1_3genE4ELNS1_11target_archE910ELNS1_3gpuE8ELNS1_3repE0EEENS1_30default_config_static_selectorELNS0_4arch9wavefront6targetE1EEEvS12_,comdat
	.globl	_ZN7rocprim17ROCPRIM_400000_NS6detail17trampoline_kernelINS0_13select_configILj256ELj13ELNS0_17block_load_methodE3ELS4_3ELS4_3ELNS0_20block_scan_algorithmE0ELj4294967295EEENS1_25partition_config_selectorILNS1_17partition_subalgoE4EjNS0_10empty_typeEbEEZZNS1_14partition_implILS8_4ELb0ES6_15HIP_vector_typeIjLj2EENS0_17counting_iteratorIjlEEPS9_SG_NS0_5tupleIJPjSI_NS0_16reverse_iteratorISI_EEEEENSH_IJSG_SG_SG_EEES9_SI_JZNS1_25segmented_radix_sort_implINS0_14default_configELb0EPKbPbPKlPlN2at6native12_GLOBAL__N_18offset_tEEE10hipError_tPvRmT1_PNSt15iterator_traitsIS12_E10value_typeET2_T3_PNS13_IS18_E10value_typeET4_jRbjT5_S1E_jjP12ihipStream_tbEUljE_ZNSN_ISO_Lb0ESQ_SR_ST_SU_SY_EESZ_S10_S11_S12_S16_S17_S18_S1B_S1C_jS1D_jS1E_S1E_jjS1G_bEUljE0_EEESZ_S10_S11_S18_S1C_S1E_T6_T7_T9_mT8_S1G_bDpT10_ENKUlT_T0_E_clISt17integral_constantIbLb0EES1U_EEDaS1P_S1Q_EUlS1P_E_NS1_11comp_targetILNS1_3genE4ELNS1_11target_archE910ELNS1_3gpuE8ELNS1_3repE0EEENS1_30default_config_static_selectorELNS0_4arch9wavefront6targetE1EEEvS12_ ; -- Begin function _ZN7rocprim17ROCPRIM_400000_NS6detail17trampoline_kernelINS0_13select_configILj256ELj13ELNS0_17block_load_methodE3ELS4_3ELS4_3ELNS0_20block_scan_algorithmE0ELj4294967295EEENS1_25partition_config_selectorILNS1_17partition_subalgoE4EjNS0_10empty_typeEbEEZZNS1_14partition_implILS8_4ELb0ES6_15HIP_vector_typeIjLj2EENS0_17counting_iteratorIjlEEPS9_SG_NS0_5tupleIJPjSI_NS0_16reverse_iteratorISI_EEEEENSH_IJSG_SG_SG_EEES9_SI_JZNS1_25segmented_radix_sort_implINS0_14default_configELb0EPKbPbPKlPlN2at6native12_GLOBAL__N_18offset_tEEE10hipError_tPvRmT1_PNSt15iterator_traitsIS12_E10value_typeET2_T3_PNS13_IS18_E10value_typeET4_jRbjT5_S1E_jjP12ihipStream_tbEUljE_ZNSN_ISO_Lb0ESQ_SR_ST_SU_SY_EESZ_S10_S11_S12_S16_S17_S18_S1B_S1C_jS1D_jS1E_S1E_jjS1G_bEUljE0_EEESZ_S10_S11_S18_S1C_S1E_T6_T7_T9_mT8_S1G_bDpT10_ENKUlT_T0_E_clISt17integral_constantIbLb0EES1U_EEDaS1P_S1Q_EUlS1P_E_NS1_11comp_targetILNS1_3genE4ELNS1_11target_archE910ELNS1_3gpuE8ELNS1_3repE0EEENS1_30default_config_static_selectorELNS0_4arch9wavefront6targetE1EEEvS12_
	.p2align	8
	.type	_ZN7rocprim17ROCPRIM_400000_NS6detail17trampoline_kernelINS0_13select_configILj256ELj13ELNS0_17block_load_methodE3ELS4_3ELS4_3ELNS0_20block_scan_algorithmE0ELj4294967295EEENS1_25partition_config_selectorILNS1_17partition_subalgoE4EjNS0_10empty_typeEbEEZZNS1_14partition_implILS8_4ELb0ES6_15HIP_vector_typeIjLj2EENS0_17counting_iteratorIjlEEPS9_SG_NS0_5tupleIJPjSI_NS0_16reverse_iteratorISI_EEEEENSH_IJSG_SG_SG_EEES9_SI_JZNS1_25segmented_radix_sort_implINS0_14default_configELb0EPKbPbPKlPlN2at6native12_GLOBAL__N_18offset_tEEE10hipError_tPvRmT1_PNSt15iterator_traitsIS12_E10value_typeET2_T3_PNS13_IS18_E10value_typeET4_jRbjT5_S1E_jjP12ihipStream_tbEUljE_ZNSN_ISO_Lb0ESQ_SR_ST_SU_SY_EESZ_S10_S11_S12_S16_S17_S18_S1B_S1C_jS1D_jS1E_S1E_jjS1G_bEUljE0_EEESZ_S10_S11_S18_S1C_S1E_T6_T7_T9_mT8_S1G_bDpT10_ENKUlT_T0_E_clISt17integral_constantIbLb0EES1U_EEDaS1P_S1Q_EUlS1P_E_NS1_11comp_targetILNS1_3genE4ELNS1_11target_archE910ELNS1_3gpuE8ELNS1_3repE0EEENS1_30default_config_static_selectorELNS0_4arch9wavefront6targetE1EEEvS12_,@function
_ZN7rocprim17ROCPRIM_400000_NS6detail17trampoline_kernelINS0_13select_configILj256ELj13ELNS0_17block_load_methodE3ELS4_3ELS4_3ELNS0_20block_scan_algorithmE0ELj4294967295EEENS1_25partition_config_selectorILNS1_17partition_subalgoE4EjNS0_10empty_typeEbEEZZNS1_14partition_implILS8_4ELb0ES6_15HIP_vector_typeIjLj2EENS0_17counting_iteratorIjlEEPS9_SG_NS0_5tupleIJPjSI_NS0_16reverse_iteratorISI_EEEEENSH_IJSG_SG_SG_EEES9_SI_JZNS1_25segmented_radix_sort_implINS0_14default_configELb0EPKbPbPKlPlN2at6native12_GLOBAL__N_18offset_tEEE10hipError_tPvRmT1_PNSt15iterator_traitsIS12_E10value_typeET2_T3_PNS13_IS18_E10value_typeET4_jRbjT5_S1E_jjP12ihipStream_tbEUljE_ZNSN_ISO_Lb0ESQ_SR_ST_SU_SY_EESZ_S10_S11_S12_S16_S17_S18_S1B_S1C_jS1D_jS1E_S1E_jjS1G_bEUljE0_EEESZ_S10_S11_S18_S1C_S1E_T6_T7_T9_mT8_S1G_bDpT10_ENKUlT_T0_E_clISt17integral_constantIbLb0EES1U_EEDaS1P_S1Q_EUlS1P_E_NS1_11comp_targetILNS1_3genE4ELNS1_11target_archE910ELNS1_3gpuE8ELNS1_3repE0EEENS1_30default_config_static_selectorELNS0_4arch9wavefront6targetE1EEEvS12_: ; @_ZN7rocprim17ROCPRIM_400000_NS6detail17trampoline_kernelINS0_13select_configILj256ELj13ELNS0_17block_load_methodE3ELS4_3ELS4_3ELNS0_20block_scan_algorithmE0ELj4294967295EEENS1_25partition_config_selectorILNS1_17partition_subalgoE4EjNS0_10empty_typeEbEEZZNS1_14partition_implILS8_4ELb0ES6_15HIP_vector_typeIjLj2EENS0_17counting_iteratorIjlEEPS9_SG_NS0_5tupleIJPjSI_NS0_16reverse_iteratorISI_EEEEENSH_IJSG_SG_SG_EEES9_SI_JZNS1_25segmented_radix_sort_implINS0_14default_configELb0EPKbPbPKlPlN2at6native12_GLOBAL__N_18offset_tEEE10hipError_tPvRmT1_PNSt15iterator_traitsIS12_E10value_typeET2_T3_PNS13_IS18_E10value_typeET4_jRbjT5_S1E_jjP12ihipStream_tbEUljE_ZNSN_ISO_Lb0ESQ_SR_ST_SU_SY_EESZ_S10_S11_S12_S16_S17_S18_S1B_S1C_jS1D_jS1E_S1E_jjS1G_bEUljE0_EEESZ_S10_S11_S18_S1C_S1E_T6_T7_T9_mT8_S1G_bDpT10_ENKUlT_T0_E_clISt17integral_constantIbLb0EES1U_EEDaS1P_S1Q_EUlS1P_E_NS1_11comp_targetILNS1_3genE4ELNS1_11target_archE910ELNS1_3gpuE8ELNS1_3repE0EEENS1_30default_config_static_selectorELNS0_4arch9wavefront6targetE1EEEvS12_
; %bb.0:
	.section	.rodata,"a",@progbits
	.p2align	6, 0x0
	.amdhsa_kernel _ZN7rocprim17ROCPRIM_400000_NS6detail17trampoline_kernelINS0_13select_configILj256ELj13ELNS0_17block_load_methodE3ELS4_3ELS4_3ELNS0_20block_scan_algorithmE0ELj4294967295EEENS1_25partition_config_selectorILNS1_17partition_subalgoE4EjNS0_10empty_typeEbEEZZNS1_14partition_implILS8_4ELb0ES6_15HIP_vector_typeIjLj2EENS0_17counting_iteratorIjlEEPS9_SG_NS0_5tupleIJPjSI_NS0_16reverse_iteratorISI_EEEEENSH_IJSG_SG_SG_EEES9_SI_JZNS1_25segmented_radix_sort_implINS0_14default_configELb0EPKbPbPKlPlN2at6native12_GLOBAL__N_18offset_tEEE10hipError_tPvRmT1_PNSt15iterator_traitsIS12_E10value_typeET2_T3_PNS13_IS18_E10value_typeET4_jRbjT5_S1E_jjP12ihipStream_tbEUljE_ZNSN_ISO_Lb0ESQ_SR_ST_SU_SY_EESZ_S10_S11_S12_S16_S17_S18_S1B_S1C_jS1D_jS1E_S1E_jjS1G_bEUljE0_EEESZ_S10_S11_S18_S1C_S1E_T6_T7_T9_mT8_S1G_bDpT10_ENKUlT_T0_E_clISt17integral_constantIbLb0EES1U_EEDaS1P_S1Q_EUlS1P_E_NS1_11comp_targetILNS1_3genE4ELNS1_11target_archE910ELNS1_3gpuE8ELNS1_3repE0EEENS1_30default_config_static_selectorELNS0_4arch9wavefront6targetE1EEEvS12_
		.amdhsa_group_segment_fixed_size 0
		.amdhsa_private_segment_fixed_size 0
		.amdhsa_kernarg_size 176
		.amdhsa_user_sgpr_count 6
		.amdhsa_user_sgpr_private_segment_buffer 1
		.amdhsa_user_sgpr_dispatch_ptr 0
		.amdhsa_user_sgpr_queue_ptr 0
		.amdhsa_user_sgpr_kernarg_segment_ptr 1
		.amdhsa_user_sgpr_dispatch_id 0
		.amdhsa_user_sgpr_flat_scratch_init 0
		.amdhsa_user_sgpr_private_segment_size 0
		.amdhsa_uses_dynamic_stack 0
		.amdhsa_system_sgpr_private_segment_wavefront_offset 0
		.amdhsa_system_sgpr_workgroup_id_x 1
		.amdhsa_system_sgpr_workgroup_id_y 0
		.amdhsa_system_sgpr_workgroup_id_z 0
		.amdhsa_system_sgpr_workgroup_info 0
		.amdhsa_system_vgpr_workitem_id 0
		.amdhsa_next_free_vgpr 1
		.amdhsa_next_free_sgpr 0
		.amdhsa_reserve_vcc 0
		.amdhsa_reserve_flat_scratch 0
		.amdhsa_float_round_mode_32 0
		.amdhsa_float_round_mode_16_64 0
		.amdhsa_float_denorm_mode_32 3
		.amdhsa_float_denorm_mode_16_64 3
		.amdhsa_dx10_clamp 1
		.amdhsa_ieee_mode 1
		.amdhsa_fp16_overflow 0
		.amdhsa_exception_fp_ieee_invalid_op 0
		.amdhsa_exception_fp_denorm_src 0
		.amdhsa_exception_fp_ieee_div_zero 0
		.amdhsa_exception_fp_ieee_overflow 0
		.amdhsa_exception_fp_ieee_underflow 0
		.amdhsa_exception_fp_ieee_inexact 0
		.amdhsa_exception_int_div_zero 0
	.end_amdhsa_kernel
	.section	.text._ZN7rocprim17ROCPRIM_400000_NS6detail17trampoline_kernelINS0_13select_configILj256ELj13ELNS0_17block_load_methodE3ELS4_3ELS4_3ELNS0_20block_scan_algorithmE0ELj4294967295EEENS1_25partition_config_selectorILNS1_17partition_subalgoE4EjNS0_10empty_typeEbEEZZNS1_14partition_implILS8_4ELb0ES6_15HIP_vector_typeIjLj2EENS0_17counting_iteratorIjlEEPS9_SG_NS0_5tupleIJPjSI_NS0_16reverse_iteratorISI_EEEEENSH_IJSG_SG_SG_EEES9_SI_JZNS1_25segmented_radix_sort_implINS0_14default_configELb0EPKbPbPKlPlN2at6native12_GLOBAL__N_18offset_tEEE10hipError_tPvRmT1_PNSt15iterator_traitsIS12_E10value_typeET2_T3_PNS13_IS18_E10value_typeET4_jRbjT5_S1E_jjP12ihipStream_tbEUljE_ZNSN_ISO_Lb0ESQ_SR_ST_SU_SY_EESZ_S10_S11_S12_S16_S17_S18_S1B_S1C_jS1D_jS1E_S1E_jjS1G_bEUljE0_EEESZ_S10_S11_S18_S1C_S1E_T6_T7_T9_mT8_S1G_bDpT10_ENKUlT_T0_E_clISt17integral_constantIbLb0EES1U_EEDaS1P_S1Q_EUlS1P_E_NS1_11comp_targetILNS1_3genE4ELNS1_11target_archE910ELNS1_3gpuE8ELNS1_3repE0EEENS1_30default_config_static_selectorELNS0_4arch9wavefront6targetE1EEEvS12_,"axG",@progbits,_ZN7rocprim17ROCPRIM_400000_NS6detail17trampoline_kernelINS0_13select_configILj256ELj13ELNS0_17block_load_methodE3ELS4_3ELS4_3ELNS0_20block_scan_algorithmE0ELj4294967295EEENS1_25partition_config_selectorILNS1_17partition_subalgoE4EjNS0_10empty_typeEbEEZZNS1_14partition_implILS8_4ELb0ES6_15HIP_vector_typeIjLj2EENS0_17counting_iteratorIjlEEPS9_SG_NS0_5tupleIJPjSI_NS0_16reverse_iteratorISI_EEEEENSH_IJSG_SG_SG_EEES9_SI_JZNS1_25segmented_radix_sort_implINS0_14default_configELb0EPKbPbPKlPlN2at6native12_GLOBAL__N_18offset_tEEE10hipError_tPvRmT1_PNSt15iterator_traitsIS12_E10value_typeET2_T3_PNS13_IS18_E10value_typeET4_jRbjT5_S1E_jjP12ihipStream_tbEUljE_ZNSN_ISO_Lb0ESQ_SR_ST_SU_SY_EESZ_S10_S11_S12_S16_S17_S18_S1B_S1C_jS1D_jS1E_S1E_jjS1G_bEUljE0_EEESZ_S10_S11_S18_S1C_S1E_T6_T7_T9_mT8_S1G_bDpT10_ENKUlT_T0_E_clISt17integral_constantIbLb0EES1U_EEDaS1P_S1Q_EUlS1P_E_NS1_11comp_targetILNS1_3genE4ELNS1_11target_archE910ELNS1_3gpuE8ELNS1_3repE0EEENS1_30default_config_static_selectorELNS0_4arch9wavefront6targetE1EEEvS12_,comdat
.Lfunc_end1573:
	.size	_ZN7rocprim17ROCPRIM_400000_NS6detail17trampoline_kernelINS0_13select_configILj256ELj13ELNS0_17block_load_methodE3ELS4_3ELS4_3ELNS0_20block_scan_algorithmE0ELj4294967295EEENS1_25partition_config_selectorILNS1_17partition_subalgoE4EjNS0_10empty_typeEbEEZZNS1_14partition_implILS8_4ELb0ES6_15HIP_vector_typeIjLj2EENS0_17counting_iteratorIjlEEPS9_SG_NS0_5tupleIJPjSI_NS0_16reverse_iteratorISI_EEEEENSH_IJSG_SG_SG_EEES9_SI_JZNS1_25segmented_radix_sort_implINS0_14default_configELb0EPKbPbPKlPlN2at6native12_GLOBAL__N_18offset_tEEE10hipError_tPvRmT1_PNSt15iterator_traitsIS12_E10value_typeET2_T3_PNS13_IS18_E10value_typeET4_jRbjT5_S1E_jjP12ihipStream_tbEUljE_ZNSN_ISO_Lb0ESQ_SR_ST_SU_SY_EESZ_S10_S11_S12_S16_S17_S18_S1B_S1C_jS1D_jS1E_S1E_jjS1G_bEUljE0_EEESZ_S10_S11_S18_S1C_S1E_T6_T7_T9_mT8_S1G_bDpT10_ENKUlT_T0_E_clISt17integral_constantIbLb0EES1U_EEDaS1P_S1Q_EUlS1P_E_NS1_11comp_targetILNS1_3genE4ELNS1_11target_archE910ELNS1_3gpuE8ELNS1_3repE0EEENS1_30default_config_static_selectorELNS0_4arch9wavefront6targetE1EEEvS12_, .Lfunc_end1573-_ZN7rocprim17ROCPRIM_400000_NS6detail17trampoline_kernelINS0_13select_configILj256ELj13ELNS0_17block_load_methodE3ELS4_3ELS4_3ELNS0_20block_scan_algorithmE0ELj4294967295EEENS1_25partition_config_selectorILNS1_17partition_subalgoE4EjNS0_10empty_typeEbEEZZNS1_14partition_implILS8_4ELb0ES6_15HIP_vector_typeIjLj2EENS0_17counting_iteratorIjlEEPS9_SG_NS0_5tupleIJPjSI_NS0_16reverse_iteratorISI_EEEEENSH_IJSG_SG_SG_EEES9_SI_JZNS1_25segmented_radix_sort_implINS0_14default_configELb0EPKbPbPKlPlN2at6native12_GLOBAL__N_18offset_tEEE10hipError_tPvRmT1_PNSt15iterator_traitsIS12_E10value_typeET2_T3_PNS13_IS18_E10value_typeET4_jRbjT5_S1E_jjP12ihipStream_tbEUljE_ZNSN_ISO_Lb0ESQ_SR_ST_SU_SY_EESZ_S10_S11_S12_S16_S17_S18_S1B_S1C_jS1D_jS1E_S1E_jjS1G_bEUljE0_EEESZ_S10_S11_S18_S1C_S1E_T6_T7_T9_mT8_S1G_bDpT10_ENKUlT_T0_E_clISt17integral_constantIbLb0EES1U_EEDaS1P_S1Q_EUlS1P_E_NS1_11comp_targetILNS1_3genE4ELNS1_11target_archE910ELNS1_3gpuE8ELNS1_3repE0EEENS1_30default_config_static_selectorELNS0_4arch9wavefront6targetE1EEEvS12_
                                        ; -- End function
	.set _ZN7rocprim17ROCPRIM_400000_NS6detail17trampoline_kernelINS0_13select_configILj256ELj13ELNS0_17block_load_methodE3ELS4_3ELS4_3ELNS0_20block_scan_algorithmE0ELj4294967295EEENS1_25partition_config_selectorILNS1_17partition_subalgoE4EjNS0_10empty_typeEbEEZZNS1_14partition_implILS8_4ELb0ES6_15HIP_vector_typeIjLj2EENS0_17counting_iteratorIjlEEPS9_SG_NS0_5tupleIJPjSI_NS0_16reverse_iteratorISI_EEEEENSH_IJSG_SG_SG_EEES9_SI_JZNS1_25segmented_radix_sort_implINS0_14default_configELb0EPKbPbPKlPlN2at6native12_GLOBAL__N_18offset_tEEE10hipError_tPvRmT1_PNSt15iterator_traitsIS12_E10value_typeET2_T3_PNS13_IS18_E10value_typeET4_jRbjT5_S1E_jjP12ihipStream_tbEUljE_ZNSN_ISO_Lb0ESQ_SR_ST_SU_SY_EESZ_S10_S11_S12_S16_S17_S18_S1B_S1C_jS1D_jS1E_S1E_jjS1G_bEUljE0_EEESZ_S10_S11_S18_S1C_S1E_T6_T7_T9_mT8_S1G_bDpT10_ENKUlT_T0_E_clISt17integral_constantIbLb0EES1U_EEDaS1P_S1Q_EUlS1P_E_NS1_11comp_targetILNS1_3genE4ELNS1_11target_archE910ELNS1_3gpuE8ELNS1_3repE0EEENS1_30default_config_static_selectorELNS0_4arch9wavefront6targetE1EEEvS12_.num_vgpr, 0
	.set _ZN7rocprim17ROCPRIM_400000_NS6detail17trampoline_kernelINS0_13select_configILj256ELj13ELNS0_17block_load_methodE3ELS4_3ELS4_3ELNS0_20block_scan_algorithmE0ELj4294967295EEENS1_25partition_config_selectorILNS1_17partition_subalgoE4EjNS0_10empty_typeEbEEZZNS1_14partition_implILS8_4ELb0ES6_15HIP_vector_typeIjLj2EENS0_17counting_iteratorIjlEEPS9_SG_NS0_5tupleIJPjSI_NS0_16reverse_iteratorISI_EEEEENSH_IJSG_SG_SG_EEES9_SI_JZNS1_25segmented_radix_sort_implINS0_14default_configELb0EPKbPbPKlPlN2at6native12_GLOBAL__N_18offset_tEEE10hipError_tPvRmT1_PNSt15iterator_traitsIS12_E10value_typeET2_T3_PNS13_IS18_E10value_typeET4_jRbjT5_S1E_jjP12ihipStream_tbEUljE_ZNSN_ISO_Lb0ESQ_SR_ST_SU_SY_EESZ_S10_S11_S12_S16_S17_S18_S1B_S1C_jS1D_jS1E_S1E_jjS1G_bEUljE0_EEESZ_S10_S11_S18_S1C_S1E_T6_T7_T9_mT8_S1G_bDpT10_ENKUlT_T0_E_clISt17integral_constantIbLb0EES1U_EEDaS1P_S1Q_EUlS1P_E_NS1_11comp_targetILNS1_3genE4ELNS1_11target_archE910ELNS1_3gpuE8ELNS1_3repE0EEENS1_30default_config_static_selectorELNS0_4arch9wavefront6targetE1EEEvS12_.num_agpr, 0
	.set _ZN7rocprim17ROCPRIM_400000_NS6detail17trampoline_kernelINS0_13select_configILj256ELj13ELNS0_17block_load_methodE3ELS4_3ELS4_3ELNS0_20block_scan_algorithmE0ELj4294967295EEENS1_25partition_config_selectorILNS1_17partition_subalgoE4EjNS0_10empty_typeEbEEZZNS1_14partition_implILS8_4ELb0ES6_15HIP_vector_typeIjLj2EENS0_17counting_iteratorIjlEEPS9_SG_NS0_5tupleIJPjSI_NS0_16reverse_iteratorISI_EEEEENSH_IJSG_SG_SG_EEES9_SI_JZNS1_25segmented_radix_sort_implINS0_14default_configELb0EPKbPbPKlPlN2at6native12_GLOBAL__N_18offset_tEEE10hipError_tPvRmT1_PNSt15iterator_traitsIS12_E10value_typeET2_T3_PNS13_IS18_E10value_typeET4_jRbjT5_S1E_jjP12ihipStream_tbEUljE_ZNSN_ISO_Lb0ESQ_SR_ST_SU_SY_EESZ_S10_S11_S12_S16_S17_S18_S1B_S1C_jS1D_jS1E_S1E_jjS1G_bEUljE0_EEESZ_S10_S11_S18_S1C_S1E_T6_T7_T9_mT8_S1G_bDpT10_ENKUlT_T0_E_clISt17integral_constantIbLb0EES1U_EEDaS1P_S1Q_EUlS1P_E_NS1_11comp_targetILNS1_3genE4ELNS1_11target_archE910ELNS1_3gpuE8ELNS1_3repE0EEENS1_30default_config_static_selectorELNS0_4arch9wavefront6targetE1EEEvS12_.numbered_sgpr, 0
	.set _ZN7rocprim17ROCPRIM_400000_NS6detail17trampoline_kernelINS0_13select_configILj256ELj13ELNS0_17block_load_methodE3ELS4_3ELS4_3ELNS0_20block_scan_algorithmE0ELj4294967295EEENS1_25partition_config_selectorILNS1_17partition_subalgoE4EjNS0_10empty_typeEbEEZZNS1_14partition_implILS8_4ELb0ES6_15HIP_vector_typeIjLj2EENS0_17counting_iteratorIjlEEPS9_SG_NS0_5tupleIJPjSI_NS0_16reverse_iteratorISI_EEEEENSH_IJSG_SG_SG_EEES9_SI_JZNS1_25segmented_radix_sort_implINS0_14default_configELb0EPKbPbPKlPlN2at6native12_GLOBAL__N_18offset_tEEE10hipError_tPvRmT1_PNSt15iterator_traitsIS12_E10value_typeET2_T3_PNS13_IS18_E10value_typeET4_jRbjT5_S1E_jjP12ihipStream_tbEUljE_ZNSN_ISO_Lb0ESQ_SR_ST_SU_SY_EESZ_S10_S11_S12_S16_S17_S18_S1B_S1C_jS1D_jS1E_S1E_jjS1G_bEUljE0_EEESZ_S10_S11_S18_S1C_S1E_T6_T7_T9_mT8_S1G_bDpT10_ENKUlT_T0_E_clISt17integral_constantIbLb0EES1U_EEDaS1P_S1Q_EUlS1P_E_NS1_11comp_targetILNS1_3genE4ELNS1_11target_archE910ELNS1_3gpuE8ELNS1_3repE0EEENS1_30default_config_static_selectorELNS0_4arch9wavefront6targetE1EEEvS12_.num_named_barrier, 0
	.set _ZN7rocprim17ROCPRIM_400000_NS6detail17trampoline_kernelINS0_13select_configILj256ELj13ELNS0_17block_load_methodE3ELS4_3ELS4_3ELNS0_20block_scan_algorithmE0ELj4294967295EEENS1_25partition_config_selectorILNS1_17partition_subalgoE4EjNS0_10empty_typeEbEEZZNS1_14partition_implILS8_4ELb0ES6_15HIP_vector_typeIjLj2EENS0_17counting_iteratorIjlEEPS9_SG_NS0_5tupleIJPjSI_NS0_16reverse_iteratorISI_EEEEENSH_IJSG_SG_SG_EEES9_SI_JZNS1_25segmented_radix_sort_implINS0_14default_configELb0EPKbPbPKlPlN2at6native12_GLOBAL__N_18offset_tEEE10hipError_tPvRmT1_PNSt15iterator_traitsIS12_E10value_typeET2_T3_PNS13_IS18_E10value_typeET4_jRbjT5_S1E_jjP12ihipStream_tbEUljE_ZNSN_ISO_Lb0ESQ_SR_ST_SU_SY_EESZ_S10_S11_S12_S16_S17_S18_S1B_S1C_jS1D_jS1E_S1E_jjS1G_bEUljE0_EEESZ_S10_S11_S18_S1C_S1E_T6_T7_T9_mT8_S1G_bDpT10_ENKUlT_T0_E_clISt17integral_constantIbLb0EES1U_EEDaS1P_S1Q_EUlS1P_E_NS1_11comp_targetILNS1_3genE4ELNS1_11target_archE910ELNS1_3gpuE8ELNS1_3repE0EEENS1_30default_config_static_selectorELNS0_4arch9wavefront6targetE1EEEvS12_.private_seg_size, 0
	.set _ZN7rocprim17ROCPRIM_400000_NS6detail17trampoline_kernelINS0_13select_configILj256ELj13ELNS0_17block_load_methodE3ELS4_3ELS4_3ELNS0_20block_scan_algorithmE0ELj4294967295EEENS1_25partition_config_selectorILNS1_17partition_subalgoE4EjNS0_10empty_typeEbEEZZNS1_14partition_implILS8_4ELb0ES6_15HIP_vector_typeIjLj2EENS0_17counting_iteratorIjlEEPS9_SG_NS0_5tupleIJPjSI_NS0_16reverse_iteratorISI_EEEEENSH_IJSG_SG_SG_EEES9_SI_JZNS1_25segmented_radix_sort_implINS0_14default_configELb0EPKbPbPKlPlN2at6native12_GLOBAL__N_18offset_tEEE10hipError_tPvRmT1_PNSt15iterator_traitsIS12_E10value_typeET2_T3_PNS13_IS18_E10value_typeET4_jRbjT5_S1E_jjP12ihipStream_tbEUljE_ZNSN_ISO_Lb0ESQ_SR_ST_SU_SY_EESZ_S10_S11_S12_S16_S17_S18_S1B_S1C_jS1D_jS1E_S1E_jjS1G_bEUljE0_EEESZ_S10_S11_S18_S1C_S1E_T6_T7_T9_mT8_S1G_bDpT10_ENKUlT_T0_E_clISt17integral_constantIbLb0EES1U_EEDaS1P_S1Q_EUlS1P_E_NS1_11comp_targetILNS1_3genE4ELNS1_11target_archE910ELNS1_3gpuE8ELNS1_3repE0EEENS1_30default_config_static_selectorELNS0_4arch9wavefront6targetE1EEEvS12_.uses_vcc, 0
	.set _ZN7rocprim17ROCPRIM_400000_NS6detail17trampoline_kernelINS0_13select_configILj256ELj13ELNS0_17block_load_methodE3ELS4_3ELS4_3ELNS0_20block_scan_algorithmE0ELj4294967295EEENS1_25partition_config_selectorILNS1_17partition_subalgoE4EjNS0_10empty_typeEbEEZZNS1_14partition_implILS8_4ELb0ES6_15HIP_vector_typeIjLj2EENS0_17counting_iteratorIjlEEPS9_SG_NS0_5tupleIJPjSI_NS0_16reverse_iteratorISI_EEEEENSH_IJSG_SG_SG_EEES9_SI_JZNS1_25segmented_radix_sort_implINS0_14default_configELb0EPKbPbPKlPlN2at6native12_GLOBAL__N_18offset_tEEE10hipError_tPvRmT1_PNSt15iterator_traitsIS12_E10value_typeET2_T3_PNS13_IS18_E10value_typeET4_jRbjT5_S1E_jjP12ihipStream_tbEUljE_ZNSN_ISO_Lb0ESQ_SR_ST_SU_SY_EESZ_S10_S11_S12_S16_S17_S18_S1B_S1C_jS1D_jS1E_S1E_jjS1G_bEUljE0_EEESZ_S10_S11_S18_S1C_S1E_T6_T7_T9_mT8_S1G_bDpT10_ENKUlT_T0_E_clISt17integral_constantIbLb0EES1U_EEDaS1P_S1Q_EUlS1P_E_NS1_11comp_targetILNS1_3genE4ELNS1_11target_archE910ELNS1_3gpuE8ELNS1_3repE0EEENS1_30default_config_static_selectorELNS0_4arch9wavefront6targetE1EEEvS12_.uses_flat_scratch, 0
	.set _ZN7rocprim17ROCPRIM_400000_NS6detail17trampoline_kernelINS0_13select_configILj256ELj13ELNS0_17block_load_methodE3ELS4_3ELS4_3ELNS0_20block_scan_algorithmE0ELj4294967295EEENS1_25partition_config_selectorILNS1_17partition_subalgoE4EjNS0_10empty_typeEbEEZZNS1_14partition_implILS8_4ELb0ES6_15HIP_vector_typeIjLj2EENS0_17counting_iteratorIjlEEPS9_SG_NS0_5tupleIJPjSI_NS0_16reverse_iteratorISI_EEEEENSH_IJSG_SG_SG_EEES9_SI_JZNS1_25segmented_radix_sort_implINS0_14default_configELb0EPKbPbPKlPlN2at6native12_GLOBAL__N_18offset_tEEE10hipError_tPvRmT1_PNSt15iterator_traitsIS12_E10value_typeET2_T3_PNS13_IS18_E10value_typeET4_jRbjT5_S1E_jjP12ihipStream_tbEUljE_ZNSN_ISO_Lb0ESQ_SR_ST_SU_SY_EESZ_S10_S11_S12_S16_S17_S18_S1B_S1C_jS1D_jS1E_S1E_jjS1G_bEUljE0_EEESZ_S10_S11_S18_S1C_S1E_T6_T7_T9_mT8_S1G_bDpT10_ENKUlT_T0_E_clISt17integral_constantIbLb0EES1U_EEDaS1P_S1Q_EUlS1P_E_NS1_11comp_targetILNS1_3genE4ELNS1_11target_archE910ELNS1_3gpuE8ELNS1_3repE0EEENS1_30default_config_static_selectorELNS0_4arch9wavefront6targetE1EEEvS12_.has_dyn_sized_stack, 0
	.set _ZN7rocprim17ROCPRIM_400000_NS6detail17trampoline_kernelINS0_13select_configILj256ELj13ELNS0_17block_load_methodE3ELS4_3ELS4_3ELNS0_20block_scan_algorithmE0ELj4294967295EEENS1_25partition_config_selectorILNS1_17partition_subalgoE4EjNS0_10empty_typeEbEEZZNS1_14partition_implILS8_4ELb0ES6_15HIP_vector_typeIjLj2EENS0_17counting_iteratorIjlEEPS9_SG_NS0_5tupleIJPjSI_NS0_16reverse_iteratorISI_EEEEENSH_IJSG_SG_SG_EEES9_SI_JZNS1_25segmented_radix_sort_implINS0_14default_configELb0EPKbPbPKlPlN2at6native12_GLOBAL__N_18offset_tEEE10hipError_tPvRmT1_PNSt15iterator_traitsIS12_E10value_typeET2_T3_PNS13_IS18_E10value_typeET4_jRbjT5_S1E_jjP12ihipStream_tbEUljE_ZNSN_ISO_Lb0ESQ_SR_ST_SU_SY_EESZ_S10_S11_S12_S16_S17_S18_S1B_S1C_jS1D_jS1E_S1E_jjS1G_bEUljE0_EEESZ_S10_S11_S18_S1C_S1E_T6_T7_T9_mT8_S1G_bDpT10_ENKUlT_T0_E_clISt17integral_constantIbLb0EES1U_EEDaS1P_S1Q_EUlS1P_E_NS1_11comp_targetILNS1_3genE4ELNS1_11target_archE910ELNS1_3gpuE8ELNS1_3repE0EEENS1_30default_config_static_selectorELNS0_4arch9wavefront6targetE1EEEvS12_.has_recursion, 0
	.set _ZN7rocprim17ROCPRIM_400000_NS6detail17trampoline_kernelINS0_13select_configILj256ELj13ELNS0_17block_load_methodE3ELS4_3ELS4_3ELNS0_20block_scan_algorithmE0ELj4294967295EEENS1_25partition_config_selectorILNS1_17partition_subalgoE4EjNS0_10empty_typeEbEEZZNS1_14partition_implILS8_4ELb0ES6_15HIP_vector_typeIjLj2EENS0_17counting_iteratorIjlEEPS9_SG_NS0_5tupleIJPjSI_NS0_16reverse_iteratorISI_EEEEENSH_IJSG_SG_SG_EEES9_SI_JZNS1_25segmented_radix_sort_implINS0_14default_configELb0EPKbPbPKlPlN2at6native12_GLOBAL__N_18offset_tEEE10hipError_tPvRmT1_PNSt15iterator_traitsIS12_E10value_typeET2_T3_PNS13_IS18_E10value_typeET4_jRbjT5_S1E_jjP12ihipStream_tbEUljE_ZNSN_ISO_Lb0ESQ_SR_ST_SU_SY_EESZ_S10_S11_S12_S16_S17_S18_S1B_S1C_jS1D_jS1E_S1E_jjS1G_bEUljE0_EEESZ_S10_S11_S18_S1C_S1E_T6_T7_T9_mT8_S1G_bDpT10_ENKUlT_T0_E_clISt17integral_constantIbLb0EES1U_EEDaS1P_S1Q_EUlS1P_E_NS1_11comp_targetILNS1_3genE4ELNS1_11target_archE910ELNS1_3gpuE8ELNS1_3repE0EEENS1_30default_config_static_selectorELNS0_4arch9wavefront6targetE1EEEvS12_.has_indirect_call, 0
	.section	.AMDGPU.csdata,"",@progbits
; Kernel info:
; codeLenInByte = 0
; TotalNumSgprs: 4
; NumVgprs: 0
; ScratchSize: 0
; MemoryBound: 0
; FloatMode: 240
; IeeeMode: 1
; LDSByteSize: 0 bytes/workgroup (compile time only)
; SGPRBlocks: 0
; VGPRBlocks: 0
; NumSGPRsForWavesPerEU: 4
; NumVGPRsForWavesPerEU: 1
; Occupancy: 10
; WaveLimiterHint : 0
; COMPUTE_PGM_RSRC2:SCRATCH_EN: 0
; COMPUTE_PGM_RSRC2:USER_SGPR: 6
; COMPUTE_PGM_RSRC2:TRAP_HANDLER: 0
; COMPUTE_PGM_RSRC2:TGID_X_EN: 1
; COMPUTE_PGM_RSRC2:TGID_Y_EN: 0
; COMPUTE_PGM_RSRC2:TGID_Z_EN: 0
; COMPUTE_PGM_RSRC2:TIDIG_COMP_CNT: 0
	.section	.text._ZN7rocprim17ROCPRIM_400000_NS6detail17trampoline_kernelINS0_13select_configILj256ELj13ELNS0_17block_load_methodE3ELS4_3ELS4_3ELNS0_20block_scan_algorithmE0ELj4294967295EEENS1_25partition_config_selectorILNS1_17partition_subalgoE4EjNS0_10empty_typeEbEEZZNS1_14partition_implILS8_4ELb0ES6_15HIP_vector_typeIjLj2EENS0_17counting_iteratorIjlEEPS9_SG_NS0_5tupleIJPjSI_NS0_16reverse_iteratorISI_EEEEENSH_IJSG_SG_SG_EEES9_SI_JZNS1_25segmented_radix_sort_implINS0_14default_configELb0EPKbPbPKlPlN2at6native12_GLOBAL__N_18offset_tEEE10hipError_tPvRmT1_PNSt15iterator_traitsIS12_E10value_typeET2_T3_PNS13_IS18_E10value_typeET4_jRbjT5_S1E_jjP12ihipStream_tbEUljE_ZNSN_ISO_Lb0ESQ_SR_ST_SU_SY_EESZ_S10_S11_S12_S16_S17_S18_S1B_S1C_jS1D_jS1E_S1E_jjS1G_bEUljE0_EEESZ_S10_S11_S18_S1C_S1E_T6_T7_T9_mT8_S1G_bDpT10_ENKUlT_T0_E_clISt17integral_constantIbLb0EES1U_EEDaS1P_S1Q_EUlS1P_E_NS1_11comp_targetILNS1_3genE3ELNS1_11target_archE908ELNS1_3gpuE7ELNS1_3repE0EEENS1_30default_config_static_selectorELNS0_4arch9wavefront6targetE1EEEvS12_,"axG",@progbits,_ZN7rocprim17ROCPRIM_400000_NS6detail17trampoline_kernelINS0_13select_configILj256ELj13ELNS0_17block_load_methodE3ELS4_3ELS4_3ELNS0_20block_scan_algorithmE0ELj4294967295EEENS1_25partition_config_selectorILNS1_17partition_subalgoE4EjNS0_10empty_typeEbEEZZNS1_14partition_implILS8_4ELb0ES6_15HIP_vector_typeIjLj2EENS0_17counting_iteratorIjlEEPS9_SG_NS0_5tupleIJPjSI_NS0_16reverse_iteratorISI_EEEEENSH_IJSG_SG_SG_EEES9_SI_JZNS1_25segmented_radix_sort_implINS0_14default_configELb0EPKbPbPKlPlN2at6native12_GLOBAL__N_18offset_tEEE10hipError_tPvRmT1_PNSt15iterator_traitsIS12_E10value_typeET2_T3_PNS13_IS18_E10value_typeET4_jRbjT5_S1E_jjP12ihipStream_tbEUljE_ZNSN_ISO_Lb0ESQ_SR_ST_SU_SY_EESZ_S10_S11_S12_S16_S17_S18_S1B_S1C_jS1D_jS1E_S1E_jjS1G_bEUljE0_EEESZ_S10_S11_S18_S1C_S1E_T6_T7_T9_mT8_S1G_bDpT10_ENKUlT_T0_E_clISt17integral_constantIbLb0EES1U_EEDaS1P_S1Q_EUlS1P_E_NS1_11comp_targetILNS1_3genE3ELNS1_11target_archE908ELNS1_3gpuE7ELNS1_3repE0EEENS1_30default_config_static_selectorELNS0_4arch9wavefront6targetE1EEEvS12_,comdat
	.globl	_ZN7rocprim17ROCPRIM_400000_NS6detail17trampoline_kernelINS0_13select_configILj256ELj13ELNS0_17block_load_methodE3ELS4_3ELS4_3ELNS0_20block_scan_algorithmE0ELj4294967295EEENS1_25partition_config_selectorILNS1_17partition_subalgoE4EjNS0_10empty_typeEbEEZZNS1_14partition_implILS8_4ELb0ES6_15HIP_vector_typeIjLj2EENS0_17counting_iteratorIjlEEPS9_SG_NS0_5tupleIJPjSI_NS0_16reverse_iteratorISI_EEEEENSH_IJSG_SG_SG_EEES9_SI_JZNS1_25segmented_radix_sort_implINS0_14default_configELb0EPKbPbPKlPlN2at6native12_GLOBAL__N_18offset_tEEE10hipError_tPvRmT1_PNSt15iterator_traitsIS12_E10value_typeET2_T3_PNS13_IS18_E10value_typeET4_jRbjT5_S1E_jjP12ihipStream_tbEUljE_ZNSN_ISO_Lb0ESQ_SR_ST_SU_SY_EESZ_S10_S11_S12_S16_S17_S18_S1B_S1C_jS1D_jS1E_S1E_jjS1G_bEUljE0_EEESZ_S10_S11_S18_S1C_S1E_T6_T7_T9_mT8_S1G_bDpT10_ENKUlT_T0_E_clISt17integral_constantIbLb0EES1U_EEDaS1P_S1Q_EUlS1P_E_NS1_11comp_targetILNS1_3genE3ELNS1_11target_archE908ELNS1_3gpuE7ELNS1_3repE0EEENS1_30default_config_static_selectorELNS0_4arch9wavefront6targetE1EEEvS12_ ; -- Begin function _ZN7rocprim17ROCPRIM_400000_NS6detail17trampoline_kernelINS0_13select_configILj256ELj13ELNS0_17block_load_methodE3ELS4_3ELS4_3ELNS0_20block_scan_algorithmE0ELj4294967295EEENS1_25partition_config_selectorILNS1_17partition_subalgoE4EjNS0_10empty_typeEbEEZZNS1_14partition_implILS8_4ELb0ES6_15HIP_vector_typeIjLj2EENS0_17counting_iteratorIjlEEPS9_SG_NS0_5tupleIJPjSI_NS0_16reverse_iteratorISI_EEEEENSH_IJSG_SG_SG_EEES9_SI_JZNS1_25segmented_radix_sort_implINS0_14default_configELb0EPKbPbPKlPlN2at6native12_GLOBAL__N_18offset_tEEE10hipError_tPvRmT1_PNSt15iterator_traitsIS12_E10value_typeET2_T3_PNS13_IS18_E10value_typeET4_jRbjT5_S1E_jjP12ihipStream_tbEUljE_ZNSN_ISO_Lb0ESQ_SR_ST_SU_SY_EESZ_S10_S11_S12_S16_S17_S18_S1B_S1C_jS1D_jS1E_S1E_jjS1G_bEUljE0_EEESZ_S10_S11_S18_S1C_S1E_T6_T7_T9_mT8_S1G_bDpT10_ENKUlT_T0_E_clISt17integral_constantIbLb0EES1U_EEDaS1P_S1Q_EUlS1P_E_NS1_11comp_targetILNS1_3genE3ELNS1_11target_archE908ELNS1_3gpuE7ELNS1_3repE0EEENS1_30default_config_static_selectorELNS0_4arch9wavefront6targetE1EEEvS12_
	.p2align	8
	.type	_ZN7rocprim17ROCPRIM_400000_NS6detail17trampoline_kernelINS0_13select_configILj256ELj13ELNS0_17block_load_methodE3ELS4_3ELS4_3ELNS0_20block_scan_algorithmE0ELj4294967295EEENS1_25partition_config_selectorILNS1_17partition_subalgoE4EjNS0_10empty_typeEbEEZZNS1_14partition_implILS8_4ELb0ES6_15HIP_vector_typeIjLj2EENS0_17counting_iteratorIjlEEPS9_SG_NS0_5tupleIJPjSI_NS0_16reverse_iteratorISI_EEEEENSH_IJSG_SG_SG_EEES9_SI_JZNS1_25segmented_radix_sort_implINS0_14default_configELb0EPKbPbPKlPlN2at6native12_GLOBAL__N_18offset_tEEE10hipError_tPvRmT1_PNSt15iterator_traitsIS12_E10value_typeET2_T3_PNS13_IS18_E10value_typeET4_jRbjT5_S1E_jjP12ihipStream_tbEUljE_ZNSN_ISO_Lb0ESQ_SR_ST_SU_SY_EESZ_S10_S11_S12_S16_S17_S18_S1B_S1C_jS1D_jS1E_S1E_jjS1G_bEUljE0_EEESZ_S10_S11_S18_S1C_S1E_T6_T7_T9_mT8_S1G_bDpT10_ENKUlT_T0_E_clISt17integral_constantIbLb0EES1U_EEDaS1P_S1Q_EUlS1P_E_NS1_11comp_targetILNS1_3genE3ELNS1_11target_archE908ELNS1_3gpuE7ELNS1_3repE0EEENS1_30default_config_static_selectorELNS0_4arch9wavefront6targetE1EEEvS12_,@function
_ZN7rocprim17ROCPRIM_400000_NS6detail17trampoline_kernelINS0_13select_configILj256ELj13ELNS0_17block_load_methodE3ELS4_3ELS4_3ELNS0_20block_scan_algorithmE0ELj4294967295EEENS1_25partition_config_selectorILNS1_17partition_subalgoE4EjNS0_10empty_typeEbEEZZNS1_14partition_implILS8_4ELb0ES6_15HIP_vector_typeIjLj2EENS0_17counting_iteratorIjlEEPS9_SG_NS0_5tupleIJPjSI_NS0_16reverse_iteratorISI_EEEEENSH_IJSG_SG_SG_EEES9_SI_JZNS1_25segmented_radix_sort_implINS0_14default_configELb0EPKbPbPKlPlN2at6native12_GLOBAL__N_18offset_tEEE10hipError_tPvRmT1_PNSt15iterator_traitsIS12_E10value_typeET2_T3_PNS13_IS18_E10value_typeET4_jRbjT5_S1E_jjP12ihipStream_tbEUljE_ZNSN_ISO_Lb0ESQ_SR_ST_SU_SY_EESZ_S10_S11_S12_S16_S17_S18_S1B_S1C_jS1D_jS1E_S1E_jjS1G_bEUljE0_EEESZ_S10_S11_S18_S1C_S1E_T6_T7_T9_mT8_S1G_bDpT10_ENKUlT_T0_E_clISt17integral_constantIbLb0EES1U_EEDaS1P_S1Q_EUlS1P_E_NS1_11comp_targetILNS1_3genE3ELNS1_11target_archE908ELNS1_3gpuE7ELNS1_3repE0EEENS1_30default_config_static_selectorELNS0_4arch9wavefront6targetE1EEEvS12_: ; @_ZN7rocprim17ROCPRIM_400000_NS6detail17trampoline_kernelINS0_13select_configILj256ELj13ELNS0_17block_load_methodE3ELS4_3ELS4_3ELNS0_20block_scan_algorithmE0ELj4294967295EEENS1_25partition_config_selectorILNS1_17partition_subalgoE4EjNS0_10empty_typeEbEEZZNS1_14partition_implILS8_4ELb0ES6_15HIP_vector_typeIjLj2EENS0_17counting_iteratorIjlEEPS9_SG_NS0_5tupleIJPjSI_NS0_16reverse_iteratorISI_EEEEENSH_IJSG_SG_SG_EEES9_SI_JZNS1_25segmented_radix_sort_implINS0_14default_configELb0EPKbPbPKlPlN2at6native12_GLOBAL__N_18offset_tEEE10hipError_tPvRmT1_PNSt15iterator_traitsIS12_E10value_typeET2_T3_PNS13_IS18_E10value_typeET4_jRbjT5_S1E_jjP12ihipStream_tbEUljE_ZNSN_ISO_Lb0ESQ_SR_ST_SU_SY_EESZ_S10_S11_S12_S16_S17_S18_S1B_S1C_jS1D_jS1E_S1E_jjS1G_bEUljE0_EEESZ_S10_S11_S18_S1C_S1E_T6_T7_T9_mT8_S1G_bDpT10_ENKUlT_T0_E_clISt17integral_constantIbLb0EES1U_EEDaS1P_S1Q_EUlS1P_E_NS1_11comp_targetILNS1_3genE3ELNS1_11target_archE908ELNS1_3gpuE7ELNS1_3repE0EEENS1_30default_config_static_selectorELNS0_4arch9wavefront6targetE1EEEvS12_
; %bb.0:
	.section	.rodata,"a",@progbits
	.p2align	6, 0x0
	.amdhsa_kernel _ZN7rocprim17ROCPRIM_400000_NS6detail17trampoline_kernelINS0_13select_configILj256ELj13ELNS0_17block_load_methodE3ELS4_3ELS4_3ELNS0_20block_scan_algorithmE0ELj4294967295EEENS1_25partition_config_selectorILNS1_17partition_subalgoE4EjNS0_10empty_typeEbEEZZNS1_14partition_implILS8_4ELb0ES6_15HIP_vector_typeIjLj2EENS0_17counting_iteratorIjlEEPS9_SG_NS0_5tupleIJPjSI_NS0_16reverse_iteratorISI_EEEEENSH_IJSG_SG_SG_EEES9_SI_JZNS1_25segmented_radix_sort_implINS0_14default_configELb0EPKbPbPKlPlN2at6native12_GLOBAL__N_18offset_tEEE10hipError_tPvRmT1_PNSt15iterator_traitsIS12_E10value_typeET2_T3_PNS13_IS18_E10value_typeET4_jRbjT5_S1E_jjP12ihipStream_tbEUljE_ZNSN_ISO_Lb0ESQ_SR_ST_SU_SY_EESZ_S10_S11_S12_S16_S17_S18_S1B_S1C_jS1D_jS1E_S1E_jjS1G_bEUljE0_EEESZ_S10_S11_S18_S1C_S1E_T6_T7_T9_mT8_S1G_bDpT10_ENKUlT_T0_E_clISt17integral_constantIbLb0EES1U_EEDaS1P_S1Q_EUlS1P_E_NS1_11comp_targetILNS1_3genE3ELNS1_11target_archE908ELNS1_3gpuE7ELNS1_3repE0EEENS1_30default_config_static_selectorELNS0_4arch9wavefront6targetE1EEEvS12_
		.amdhsa_group_segment_fixed_size 0
		.amdhsa_private_segment_fixed_size 0
		.amdhsa_kernarg_size 176
		.amdhsa_user_sgpr_count 6
		.amdhsa_user_sgpr_private_segment_buffer 1
		.amdhsa_user_sgpr_dispatch_ptr 0
		.amdhsa_user_sgpr_queue_ptr 0
		.amdhsa_user_sgpr_kernarg_segment_ptr 1
		.amdhsa_user_sgpr_dispatch_id 0
		.amdhsa_user_sgpr_flat_scratch_init 0
		.amdhsa_user_sgpr_private_segment_size 0
		.amdhsa_uses_dynamic_stack 0
		.amdhsa_system_sgpr_private_segment_wavefront_offset 0
		.amdhsa_system_sgpr_workgroup_id_x 1
		.amdhsa_system_sgpr_workgroup_id_y 0
		.amdhsa_system_sgpr_workgroup_id_z 0
		.amdhsa_system_sgpr_workgroup_info 0
		.amdhsa_system_vgpr_workitem_id 0
		.amdhsa_next_free_vgpr 1
		.amdhsa_next_free_sgpr 0
		.amdhsa_reserve_vcc 0
		.amdhsa_reserve_flat_scratch 0
		.amdhsa_float_round_mode_32 0
		.amdhsa_float_round_mode_16_64 0
		.amdhsa_float_denorm_mode_32 3
		.amdhsa_float_denorm_mode_16_64 3
		.amdhsa_dx10_clamp 1
		.amdhsa_ieee_mode 1
		.amdhsa_fp16_overflow 0
		.amdhsa_exception_fp_ieee_invalid_op 0
		.amdhsa_exception_fp_denorm_src 0
		.amdhsa_exception_fp_ieee_div_zero 0
		.amdhsa_exception_fp_ieee_overflow 0
		.amdhsa_exception_fp_ieee_underflow 0
		.amdhsa_exception_fp_ieee_inexact 0
		.amdhsa_exception_int_div_zero 0
	.end_amdhsa_kernel
	.section	.text._ZN7rocprim17ROCPRIM_400000_NS6detail17trampoline_kernelINS0_13select_configILj256ELj13ELNS0_17block_load_methodE3ELS4_3ELS4_3ELNS0_20block_scan_algorithmE0ELj4294967295EEENS1_25partition_config_selectorILNS1_17partition_subalgoE4EjNS0_10empty_typeEbEEZZNS1_14partition_implILS8_4ELb0ES6_15HIP_vector_typeIjLj2EENS0_17counting_iteratorIjlEEPS9_SG_NS0_5tupleIJPjSI_NS0_16reverse_iteratorISI_EEEEENSH_IJSG_SG_SG_EEES9_SI_JZNS1_25segmented_radix_sort_implINS0_14default_configELb0EPKbPbPKlPlN2at6native12_GLOBAL__N_18offset_tEEE10hipError_tPvRmT1_PNSt15iterator_traitsIS12_E10value_typeET2_T3_PNS13_IS18_E10value_typeET4_jRbjT5_S1E_jjP12ihipStream_tbEUljE_ZNSN_ISO_Lb0ESQ_SR_ST_SU_SY_EESZ_S10_S11_S12_S16_S17_S18_S1B_S1C_jS1D_jS1E_S1E_jjS1G_bEUljE0_EEESZ_S10_S11_S18_S1C_S1E_T6_T7_T9_mT8_S1G_bDpT10_ENKUlT_T0_E_clISt17integral_constantIbLb0EES1U_EEDaS1P_S1Q_EUlS1P_E_NS1_11comp_targetILNS1_3genE3ELNS1_11target_archE908ELNS1_3gpuE7ELNS1_3repE0EEENS1_30default_config_static_selectorELNS0_4arch9wavefront6targetE1EEEvS12_,"axG",@progbits,_ZN7rocprim17ROCPRIM_400000_NS6detail17trampoline_kernelINS0_13select_configILj256ELj13ELNS0_17block_load_methodE3ELS4_3ELS4_3ELNS0_20block_scan_algorithmE0ELj4294967295EEENS1_25partition_config_selectorILNS1_17partition_subalgoE4EjNS0_10empty_typeEbEEZZNS1_14partition_implILS8_4ELb0ES6_15HIP_vector_typeIjLj2EENS0_17counting_iteratorIjlEEPS9_SG_NS0_5tupleIJPjSI_NS0_16reverse_iteratorISI_EEEEENSH_IJSG_SG_SG_EEES9_SI_JZNS1_25segmented_radix_sort_implINS0_14default_configELb0EPKbPbPKlPlN2at6native12_GLOBAL__N_18offset_tEEE10hipError_tPvRmT1_PNSt15iterator_traitsIS12_E10value_typeET2_T3_PNS13_IS18_E10value_typeET4_jRbjT5_S1E_jjP12ihipStream_tbEUljE_ZNSN_ISO_Lb0ESQ_SR_ST_SU_SY_EESZ_S10_S11_S12_S16_S17_S18_S1B_S1C_jS1D_jS1E_S1E_jjS1G_bEUljE0_EEESZ_S10_S11_S18_S1C_S1E_T6_T7_T9_mT8_S1G_bDpT10_ENKUlT_T0_E_clISt17integral_constantIbLb0EES1U_EEDaS1P_S1Q_EUlS1P_E_NS1_11comp_targetILNS1_3genE3ELNS1_11target_archE908ELNS1_3gpuE7ELNS1_3repE0EEENS1_30default_config_static_selectorELNS0_4arch9wavefront6targetE1EEEvS12_,comdat
.Lfunc_end1574:
	.size	_ZN7rocprim17ROCPRIM_400000_NS6detail17trampoline_kernelINS0_13select_configILj256ELj13ELNS0_17block_load_methodE3ELS4_3ELS4_3ELNS0_20block_scan_algorithmE0ELj4294967295EEENS1_25partition_config_selectorILNS1_17partition_subalgoE4EjNS0_10empty_typeEbEEZZNS1_14partition_implILS8_4ELb0ES6_15HIP_vector_typeIjLj2EENS0_17counting_iteratorIjlEEPS9_SG_NS0_5tupleIJPjSI_NS0_16reverse_iteratorISI_EEEEENSH_IJSG_SG_SG_EEES9_SI_JZNS1_25segmented_radix_sort_implINS0_14default_configELb0EPKbPbPKlPlN2at6native12_GLOBAL__N_18offset_tEEE10hipError_tPvRmT1_PNSt15iterator_traitsIS12_E10value_typeET2_T3_PNS13_IS18_E10value_typeET4_jRbjT5_S1E_jjP12ihipStream_tbEUljE_ZNSN_ISO_Lb0ESQ_SR_ST_SU_SY_EESZ_S10_S11_S12_S16_S17_S18_S1B_S1C_jS1D_jS1E_S1E_jjS1G_bEUljE0_EEESZ_S10_S11_S18_S1C_S1E_T6_T7_T9_mT8_S1G_bDpT10_ENKUlT_T0_E_clISt17integral_constantIbLb0EES1U_EEDaS1P_S1Q_EUlS1P_E_NS1_11comp_targetILNS1_3genE3ELNS1_11target_archE908ELNS1_3gpuE7ELNS1_3repE0EEENS1_30default_config_static_selectorELNS0_4arch9wavefront6targetE1EEEvS12_, .Lfunc_end1574-_ZN7rocprim17ROCPRIM_400000_NS6detail17trampoline_kernelINS0_13select_configILj256ELj13ELNS0_17block_load_methodE3ELS4_3ELS4_3ELNS0_20block_scan_algorithmE0ELj4294967295EEENS1_25partition_config_selectorILNS1_17partition_subalgoE4EjNS0_10empty_typeEbEEZZNS1_14partition_implILS8_4ELb0ES6_15HIP_vector_typeIjLj2EENS0_17counting_iteratorIjlEEPS9_SG_NS0_5tupleIJPjSI_NS0_16reverse_iteratorISI_EEEEENSH_IJSG_SG_SG_EEES9_SI_JZNS1_25segmented_radix_sort_implINS0_14default_configELb0EPKbPbPKlPlN2at6native12_GLOBAL__N_18offset_tEEE10hipError_tPvRmT1_PNSt15iterator_traitsIS12_E10value_typeET2_T3_PNS13_IS18_E10value_typeET4_jRbjT5_S1E_jjP12ihipStream_tbEUljE_ZNSN_ISO_Lb0ESQ_SR_ST_SU_SY_EESZ_S10_S11_S12_S16_S17_S18_S1B_S1C_jS1D_jS1E_S1E_jjS1G_bEUljE0_EEESZ_S10_S11_S18_S1C_S1E_T6_T7_T9_mT8_S1G_bDpT10_ENKUlT_T0_E_clISt17integral_constantIbLb0EES1U_EEDaS1P_S1Q_EUlS1P_E_NS1_11comp_targetILNS1_3genE3ELNS1_11target_archE908ELNS1_3gpuE7ELNS1_3repE0EEENS1_30default_config_static_selectorELNS0_4arch9wavefront6targetE1EEEvS12_
                                        ; -- End function
	.set _ZN7rocprim17ROCPRIM_400000_NS6detail17trampoline_kernelINS0_13select_configILj256ELj13ELNS0_17block_load_methodE3ELS4_3ELS4_3ELNS0_20block_scan_algorithmE0ELj4294967295EEENS1_25partition_config_selectorILNS1_17partition_subalgoE4EjNS0_10empty_typeEbEEZZNS1_14partition_implILS8_4ELb0ES6_15HIP_vector_typeIjLj2EENS0_17counting_iteratorIjlEEPS9_SG_NS0_5tupleIJPjSI_NS0_16reverse_iteratorISI_EEEEENSH_IJSG_SG_SG_EEES9_SI_JZNS1_25segmented_radix_sort_implINS0_14default_configELb0EPKbPbPKlPlN2at6native12_GLOBAL__N_18offset_tEEE10hipError_tPvRmT1_PNSt15iterator_traitsIS12_E10value_typeET2_T3_PNS13_IS18_E10value_typeET4_jRbjT5_S1E_jjP12ihipStream_tbEUljE_ZNSN_ISO_Lb0ESQ_SR_ST_SU_SY_EESZ_S10_S11_S12_S16_S17_S18_S1B_S1C_jS1D_jS1E_S1E_jjS1G_bEUljE0_EEESZ_S10_S11_S18_S1C_S1E_T6_T7_T9_mT8_S1G_bDpT10_ENKUlT_T0_E_clISt17integral_constantIbLb0EES1U_EEDaS1P_S1Q_EUlS1P_E_NS1_11comp_targetILNS1_3genE3ELNS1_11target_archE908ELNS1_3gpuE7ELNS1_3repE0EEENS1_30default_config_static_selectorELNS0_4arch9wavefront6targetE1EEEvS12_.num_vgpr, 0
	.set _ZN7rocprim17ROCPRIM_400000_NS6detail17trampoline_kernelINS0_13select_configILj256ELj13ELNS0_17block_load_methodE3ELS4_3ELS4_3ELNS0_20block_scan_algorithmE0ELj4294967295EEENS1_25partition_config_selectorILNS1_17partition_subalgoE4EjNS0_10empty_typeEbEEZZNS1_14partition_implILS8_4ELb0ES6_15HIP_vector_typeIjLj2EENS0_17counting_iteratorIjlEEPS9_SG_NS0_5tupleIJPjSI_NS0_16reverse_iteratorISI_EEEEENSH_IJSG_SG_SG_EEES9_SI_JZNS1_25segmented_radix_sort_implINS0_14default_configELb0EPKbPbPKlPlN2at6native12_GLOBAL__N_18offset_tEEE10hipError_tPvRmT1_PNSt15iterator_traitsIS12_E10value_typeET2_T3_PNS13_IS18_E10value_typeET4_jRbjT5_S1E_jjP12ihipStream_tbEUljE_ZNSN_ISO_Lb0ESQ_SR_ST_SU_SY_EESZ_S10_S11_S12_S16_S17_S18_S1B_S1C_jS1D_jS1E_S1E_jjS1G_bEUljE0_EEESZ_S10_S11_S18_S1C_S1E_T6_T7_T9_mT8_S1G_bDpT10_ENKUlT_T0_E_clISt17integral_constantIbLb0EES1U_EEDaS1P_S1Q_EUlS1P_E_NS1_11comp_targetILNS1_3genE3ELNS1_11target_archE908ELNS1_3gpuE7ELNS1_3repE0EEENS1_30default_config_static_selectorELNS0_4arch9wavefront6targetE1EEEvS12_.num_agpr, 0
	.set _ZN7rocprim17ROCPRIM_400000_NS6detail17trampoline_kernelINS0_13select_configILj256ELj13ELNS0_17block_load_methodE3ELS4_3ELS4_3ELNS0_20block_scan_algorithmE0ELj4294967295EEENS1_25partition_config_selectorILNS1_17partition_subalgoE4EjNS0_10empty_typeEbEEZZNS1_14partition_implILS8_4ELb0ES6_15HIP_vector_typeIjLj2EENS0_17counting_iteratorIjlEEPS9_SG_NS0_5tupleIJPjSI_NS0_16reverse_iteratorISI_EEEEENSH_IJSG_SG_SG_EEES9_SI_JZNS1_25segmented_radix_sort_implINS0_14default_configELb0EPKbPbPKlPlN2at6native12_GLOBAL__N_18offset_tEEE10hipError_tPvRmT1_PNSt15iterator_traitsIS12_E10value_typeET2_T3_PNS13_IS18_E10value_typeET4_jRbjT5_S1E_jjP12ihipStream_tbEUljE_ZNSN_ISO_Lb0ESQ_SR_ST_SU_SY_EESZ_S10_S11_S12_S16_S17_S18_S1B_S1C_jS1D_jS1E_S1E_jjS1G_bEUljE0_EEESZ_S10_S11_S18_S1C_S1E_T6_T7_T9_mT8_S1G_bDpT10_ENKUlT_T0_E_clISt17integral_constantIbLb0EES1U_EEDaS1P_S1Q_EUlS1P_E_NS1_11comp_targetILNS1_3genE3ELNS1_11target_archE908ELNS1_3gpuE7ELNS1_3repE0EEENS1_30default_config_static_selectorELNS0_4arch9wavefront6targetE1EEEvS12_.numbered_sgpr, 0
	.set _ZN7rocprim17ROCPRIM_400000_NS6detail17trampoline_kernelINS0_13select_configILj256ELj13ELNS0_17block_load_methodE3ELS4_3ELS4_3ELNS0_20block_scan_algorithmE0ELj4294967295EEENS1_25partition_config_selectorILNS1_17partition_subalgoE4EjNS0_10empty_typeEbEEZZNS1_14partition_implILS8_4ELb0ES6_15HIP_vector_typeIjLj2EENS0_17counting_iteratorIjlEEPS9_SG_NS0_5tupleIJPjSI_NS0_16reverse_iteratorISI_EEEEENSH_IJSG_SG_SG_EEES9_SI_JZNS1_25segmented_radix_sort_implINS0_14default_configELb0EPKbPbPKlPlN2at6native12_GLOBAL__N_18offset_tEEE10hipError_tPvRmT1_PNSt15iterator_traitsIS12_E10value_typeET2_T3_PNS13_IS18_E10value_typeET4_jRbjT5_S1E_jjP12ihipStream_tbEUljE_ZNSN_ISO_Lb0ESQ_SR_ST_SU_SY_EESZ_S10_S11_S12_S16_S17_S18_S1B_S1C_jS1D_jS1E_S1E_jjS1G_bEUljE0_EEESZ_S10_S11_S18_S1C_S1E_T6_T7_T9_mT8_S1G_bDpT10_ENKUlT_T0_E_clISt17integral_constantIbLb0EES1U_EEDaS1P_S1Q_EUlS1P_E_NS1_11comp_targetILNS1_3genE3ELNS1_11target_archE908ELNS1_3gpuE7ELNS1_3repE0EEENS1_30default_config_static_selectorELNS0_4arch9wavefront6targetE1EEEvS12_.num_named_barrier, 0
	.set _ZN7rocprim17ROCPRIM_400000_NS6detail17trampoline_kernelINS0_13select_configILj256ELj13ELNS0_17block_load_methodE3ELS4_3ELS4_3ELNS0_20block_scan_algorithmE0ELj4294967295EEENS1_25partition_config_selectorILNS1_17partition_subalgoE4EjNS0_10empty_typeEbEEZZNS1_14partition_implILS8_4ELb0ES6_15HIP_vector_typeIjLj2EENS0_17counting_iteratorIjlEEPS9_SG_NS0_5tupleIJPjSI_NS0_16reverse_iteratorISI_EEEEENSH_IJSG_SG_SG_EEES9_SI_JZNS1_25segmented_radix_sort_implINS0_14default_configELb0EPKbPbPKlPlN2at6native12_GLOBAL__N_18offset_tEEE10hipError_tPvRmT1_PNSt15iterator_traitsIS12_E10value_typeET2_T3_PNS13_IS18_E10value_typeET4_jRbjT5_S1E_jjP12ihipStream_tbEUljE_ZNSN_ISO_Lb0ESQ_SR_ST_SU_SY_EESZ_S10_S11_S12_S16_S17_S18_S1B_S1C_jS1D_jS1E_S1E_jjS1G_bEUljE0_EEESZ_S10_S11_S18_S1C_S1E_T6_T7_T9_mT8_S1G_bDpT10_ENKUlT_T0_E_clISt17integral_constantIbLb0EES1U_EEDaS1P_S1Q_EUlS1P_E_NS1_11comp_targetILNS1_3genE3ELNS1_11target_archE908ELNS1_3gpuE7ELNS1_3repE0EEENS1_30default_config_static_selectorELNS0_4arch9wavefront6targetE1EEEvS12_.private_seg_size, 0
	.set _ZN7rocprim17ROCPRIM_400000_NS6detail17trampoline_kernelINS0_13select_configILj256ELj13ELNS0_17block_load_methodE3ELS4_3ELS4_3ELNS0_20block_scan_algorithmE0ELj4294967295EEENS1_25partition_config_selectorILNS1_17partition_subalgoE4EjNS0_10empty_typeEbEEZZNS1_14partition_implILS8_4ELb0ES6_15HIP_vector_typeIjLj2EENS0_17counting_iteratorIjlEEPS9_SG_NS0_5tupleIJPjSI_NS0_16reverse_iteratorISI_EEEEENSH_IJSG_SG_SG_EEES9_SI_JZNS1_25segmented_radix_sort_implINS0_14default_configELb0EPKbPbPKlPlN2at6native12_GLOBAL__N_18offset_tEEE10hipError_tPvRmT1_PNSt15iterator_traitsIS12_E10value_typeET2_T3_PNS13_IS18_E10value_typeET4_jRbjT5_S1E_jjP12ihipStream_tbEUljE_ZNSN_ISO_Lb0ESQ_SR_ST_SU_SY_EESZ_S10_S11_S12_S16_S17_S18_S1B_S1C_jS1D_jS1E_S1E_jjS1G_bEUljE0_EEESZ_S10_S11_S18_S1C_S1E_T6_T7_T9_mT8_S1G_bDpT10_ENKUlT_T0_E_clISt17integral_constantIbLb0EES1U_EEDaS1P_S1Q_EUlS1P_E_NS1_11comp_targetILNS1_3genE3ELNS1_11target_archE908ELNS1_3gpuE7ELNS1_3repE0EEENS1_30default_config_static_selectorELNS0_4arch9wavefront6targetE1EEEvS12_.uses_vcc, 0
	.set _ZN7rocprim17ROCPRIM_400000_NS6detail17trampoline_kernelINS0_13select_configILj256ELj13ELNS0_17block_load_methodE3ELS4_3ELS4_3ELNS0_20block_scan_algorithmE0ELj4294967295EEENS1_25partition_config_selectorILNS1_17partition_subalgoE4EjNS0_10empty_typeEbEEZZNS1_14partition_implILS8_4ELb0ES6_15HIP_vector_typeIjLj2EENS0_17counting_iteratorIjlEEPS9_SG_NS0_5tupleIJPjSI_NS0_16reverse_iteratorISI_EEEEENSH_IJSG_SG_SG_EEES9_SI_JZNS1_25segmented_radix_sort_implINS0_14default_configELb0EPKbPbPKlPlN2at6native12_GLOBAL__N_18offset_tEEE10hipError_tPvRmT1_PNSt15iterator_traitsIS12_E10value_typeET2_T3_PNS13_IS18_E10value_typeET4_jRbjT5_S1E_jjP12ihipStream_tbEUljE_ZNSN_ISO_Lb0ESQ_SR_ST_SU_SY_EESZ_S10_S11_S12_S16_S17_S18_S1B_S1C_jS1D_jS1E_S1E_jjS1G_bEUljE0_EEESZ_S10_S11_S18_S1C_S1E_T6_T7_T9_mT8_S1G_bDpT10_ENKUlT_T0_E_clISt17integral_constantIbLb0EES1U_EEDaS1P_S1Q_EUlS1P_E_NS1_11comp_targetILNS1_3genE3ELNS1_11target_archE908ELNS1_3gpuE7ELNS1_3repE0EEENS1_30default_config_static_selectorELNS0_4arch9wavefront6targetE1EEEvS12_.uses_flat_scratch, 0
	.set _ZN7rocprim17ROCPRIM_400000_NS6detail17trampoline_kernelINS0_13select_configILj256ELj13ELNS0_17block_load_methodE3ELS4_3ELS4_3ELNS0_20block_scan_algorithmE0ELj4294967295EEENS1_25partition_config_selectorILNS1_17partition_subalgoE4EjNS0_10empty_typeEbEEZZNS1_14partition_implILS8_4ELb0ES6_15HIP_vector_typeIjLj2EENS0_17counting_iteratorIjlEEPS9_SG_NS0_5tupleIJPjSI_NS0_16reverse_iteratorISI_EEEEENSH_IJSG_SG_SG_EEES9_SI_JZNS1_25segmented_radix_sort_implINS0_14default_configELb0EPKbPbPKlPlN2at6native12_GLOBAL__N_18offset_tEEE10hipError_tPvRmT1_PNSt15iterator_traitsIS12_E10value_typeET2_T3_PNS13_IS18_E10value_typeET4_jRbjT5_S1E_jjP12ihipStream_tbEUljE_ZNSN_ISO_Lb0ESQ_SR_ST_SU_SY_EESZ_S10_S11_S12_S16_S17_S18_S1B_S1C_jS1D_jS1E_S1E_jjS1G_bEUljE0_EEESZ_S10_S11_S18_S1C_S1E_T6_T7_T9_mT8_S1G_bDpT10_ENKUlT_T0_E_clISt17integral_constantIbLb0EES1U_EEDaS1P_S1Q_EUlS1P_E_NS1_11comp_targetILNS1_3genE3ELNS1_11target_archE908ELNS1_3gpuE7ELNS1_3repE0EEENS1_30default_config_static_selectorELNS0_4arch9wavefront6targetE1EEEvS12_.has_dyn_sized_stack, 0
	.set _ZN7rocprim17ROCPRIM_400000_NS6detail17trampoline_kernelINS0_13select_configILj256ELj13ELNS0_17block_load_methodE3ELS4_3ELS4_3ELNS0_20block_scan_algorithmE0ELj4294967295EEENS1_25partition_config_selectorILNS1_17partition_subalgoE4EjNS0_10empty_typeEbEEZZNS1_14partition_implILS8_4ELb0ES6_15HIP_vector_typeIjLj2EENS0_17counting_iteratorIjlEEPS9_SG_NS0_5tupleIJPjSI_NS0_16reverse_iteratorISI_EEEEENSH_IJSG_SG_SG_EEES9_SI_JZNS1_25segmented_radix_sort_implINS0_14default_configELb0EPKbPbPKlPlN2at6native12_GLOBAL__N_18offset_tEEE10hipError_tPvRmT1_PNSt15iterator_traitsIS12_E10value_typeET2_T3_PNS13_IS18_E10value_typeET4_jRbjT5_S1E_jjP12ihipStream_tbEUljE_ZNSN_ISO_Lb0ESQ_SR_ST_SU_SY_EESZ_S10_S11_S12_S16_S17_S18_S1B_S1C_jS1D_jS1E_S1E_jjS1G_bEUljE0_EEESZ_S10_S11_S18_S1C_S1E_T6_T7_T9_mT8_S1G_bDpT10_ENKUlT_T0_E_clISt17integral_constantIbLb0EES1U_EEDaS1P_S1Q_EUlS1P_E_NS1_11comp_targetILNS1_3genE3ELNS1_11target_archE908ELNS1_3gpuE7ELNS1_3repE0EEENS1_30default_config_static_selectorELNS0_4arch9wavefront6targetE1EEEvS12_.has_recursion, 0
	.set _ZN7rocprim17ROCPRIM_400000_NS6detail17trampoline_kernelINS0_13select_configILj256ELj13ELNS0_17block_load_methodE3ELS4_3ELS4_3ELNS0_20block_scan_algorithmE0ELj4294967295EEENS1_25partition_config_selectorILNS1_17partition_subalgoE4EjNS0_10empty_typeEbEEZZNS1_14partition_implILS8_4ELb0ES6_15HIP_vector_typeIjLj2EENS0_17counting_iteratorIjlEEPS9_SG_NS0_5tupleIJPjSI_NS0_16reverse_iteratorISI_EEEEENSH_IJSG_SG_SG_EEES9_SI_JZNS1_25segmented_radix_sort_implINS0_14default_configELb0EPKbPbPKlPlN2at6native12_GLOBAL__N_18offset_tEEE10hipError_tPvRmT1_PNSt15iterator_traitsIS12_E10value_typeET2_T3_PNS13_IS18_E10value_typeET4_jRbjT5_S1E_jjP12ihipStream_tbEUljE_ZNSN_ISO_Lb0ESQ_SR_ST_SU_SY_EESZ_S10_S11_S12_S16_S17_S18_S1B_S1C_jS1D_jS1E_S1E_jjS1G_bEUljE0_EEESZ_S10_S11_S18_S1C_S1E_T6_T7_T9_mT8_S1G_bDpT10_ENKUlT_T0_E_clISt17integral_constantIbLb0EES1U_EEDaS1P_S1Q_EUlS1P_E_NS1_11comp_targetILNS1_3genE3ELNS1_11target_archE908ELNS1_3gpuE7ELNS1_3repE0EEENS1_30default_config_static_selectorELNS0_4arch9wavefront6targetE1EEEvS12_.has_indirect_call, 0
	.section	.AMDGPU.csdata,"",@progbits
; Kernel info:
; codeLenInByte = 0
; TotalNumSgprs: 4
; NumVgprs: 0
; ScratchSize: 0
; MemoryBound: 0
; FloatMode: 240
; IeeeMode: 1
; LDSByteSize: 0 bytes/workgroup (compile time only)
; SGPRBlocks: 0
; VGPRBlocks: 0
; NumSGPRsForWavesPerEU: 4
; NumVGPRsForWavesPerEU: 1
; Occupancy: 10
; WaveLimiterHint : 0
; COMPUTE_PGM_RSRC2:SCRATCH_EN: 0
; COMPUTE_PGM_RSRC2:USER_SGPR: 6
; COMPUTE_PGM_RSRC2:TRAP_HANDLER: 0
; COMPUTE_PGM_RSRC2:TGID_X_EN: 1
; COMPUTE_PGM_RSRC2:TGID_Y_EN: 0
; COMPUTE_PGM_RSRC2:TGID_Z_EN: 0
; COMPUTE_PGM_RSRC2:TIDIG_COMP_CNT: 0
	.section	.text._ZN7rocprim17ROCPRIM_400000_NS6detail17trampoline_kernelINS0_13select_configILj256ELj13ELNS0_17block_load_methodE3ELS4_3ELS4_3ELNS0_20block_scan_algorithmE0ELj4294967295EEENS1_25partition_config_selectorILNS1_17partition_subalgoE4EjNS0_10empty_typeEbEEZZNS1_14partition_implILS8_4ELb0ES6_15HIP_vector_typeIjLj2EENS0_17counting_iteratorIjlEEPS9_SG_NS0_5tupleIJPjSI_NS0_16reverse_iteratorISI_EEEEENSH_IJSG_SG_SG_EEES9_SI_JZNS1_25segmented_radix_sort_implINS0_14default_configELb0EPKbPbPKlPlN2at6native12_GLOBAL__N_18offset_tEEE10hipError_tPvRmT1_PNSt15iterator_traitsIS12_E10value_typeET2_T3_PNS13_IS18_E10value_typeET4_jRbjT5_S1E_jjP12ihipStream_tbEUljE_ZNSN_ISO_Lb0ESQ_SR_ST_SU_SY_EESZ_S10_S11_S12_S16_S17_S18_S1B_S1C_jS1D_jS1E_S1E_jjS1G_bEUljE0_EEESZ_S10_S11_S18_S1C_S1E_T6_T7_T9_mT8_S1G_bDpT10_ENKUlT_T0_E_clISt17integral_constantIbLb0EES1U_EEDaS1P_S1Q_EUlS1P_E_NS1_11comp_targetILNS1_3genE2ELNS1_11target_archE906ELNS1_3gpuE6ELNS1_3repE0EEENS1_30default_config_static_selectorELNS0_4arch9wavefront6targetE1EEEvS12_,"axG",@progbits,_ZN7rocprim17ROCPRIM_400000_NS6detail17trampoline_kernelINS0_13select_configILj256ELj13ELNS0_17block_load_methodE3ELS4_3ELS4_3ELNS0_20block_scan_algorithmE0ELj4294967295EEENS1_25partition_config_selectorILNS1_17partition_subalgoE4EjNS0_10empty_typeEbEEZZNS1_14partition_implILS8_4ELb0ES6_15HIP_vector_typeIjLj2EENS0_17counting_iteratorIjlEEPS9_SG_NS0_5tupleIJPjSI_NS0_16reverse_iteratorISI_EEEEENSH_IJSG_SG_SG_EEES9_SI_JZNS1_25segmented_radix_sort_implINS0_14default_configELb0EPKbPbPKlPlN2at6native12_GLOBAL__N_18offset_tEEE10hipError_tPvRmT1_PNSt15iterator_traitsIS12_E10value_typeET2_T3_PNS13_IS18_E10value_typeET4_jRbjT5_S1E_jjP12ihipStream_tbEUljE_ZNSN_ISO_Lb0ESQ_SR_ST_SU_SY_EESZ_S10_S11_S12_S16_S17_S18_S1B_S1C_jS1D_jS1E_S1E_jjS1G_bEUljE0_EEESZ_S10_S11_S18_S1C_S1E_T6_T7_T9_mT8_S1G_bDpT10_ENKUlT_T0_E_clISt17integral_constantIbLb0EES1U_EEDaS1P_S1Q_EUlS1P_E_NS1_11comp_targetILNS1_3genE2ELNS1_11target_archE906ELNS1_3gpuE6ELNS1_3repE0EEENS1_30default_config_static_selectorELNS0_4arch9wavefront6targetE1EEEvS12_,comdat
	.globl	_ZN7rocprim17ROCPRIM_400000_NS6detail17trampoline_kernelINS0_13select_configILj256ELj13ELNS0_17block_load_methodE3ELS4_3ELS4_3ELNS0_20block_scan_algorithmE0ELj4294967295EEENS1_25partition_config_selectorILNS1_17partition_subalgoE4EjNS0_10empty_typeEbEEZZNS1_14partition_implILS8_4ELb0ES6_15HIP_vector_typeIjLj2EENS0_17counting_iteratorIjlEEPS9_SG_NS0_5tupleIJPjSI_NS0_16reverse_iteratorISI_EEEEENSH_IJSG_SG_SG_EEES9_SI_JZNS1_25segmented_radix_sort_implINS0_14default_configELb0EPKbPbPKlPlN2at6native12_GLOBAL__N_18offset_tEEE10hipError_tPvRmT1_PNSt15iterator_traitsIS12_E10value_typeET2_T3_PNS13_IS18_E10value_typeET4_jRbjT5_S1E_jjP12ihipStream_tbEUljE_ZNSN_ISO_Lb0ESQ_SR_ST_SU_SY_EESZ_S10_S11_S12_S16_S17_S18_S1B_S1C_jS1D_jS1E_S1E_jjS1G_bEUljE0_EEESZ_S10_S11_S18_S1C_S1E_T6_T7_T9_mT8_S1G_bDpT10_ENKUlT_T0_E_clISt17integral_constantIbLb0EES1U_EEDaS1P_S1Q_EUlS1P_E_NS1_11comp_targetILNS1_3genE2ELNS1_11target_archE906ELNS1_3gpuE6ELNS1_3repE0EEENS1_30default_config_static_selectorELNS0_4arch9wavefront6targetE1EEEvS12_ ; -- Begin function _ZN7rocprim17ROCPRIM_400000_NS6detail17trampoline_kernelINS0_13select_configILj256ELj13ELNS0_17block_load_methodE3ELS4_3ELS4_3ELNS0_20block_scan_algorithmE0ELj4294967295EEENS1_25partition_config_selectorILNS1_17partition_subalgoE4EjNS0_10empty_typeEbEEZZNS1_14partition_implILS8_4ELb0ES6_15HIP_vector_typeIjLj2EENS0_17counting_iteratorIjlEEPS9_SG_NS0_5tupleIJPjSI_NS0_16reverse_iteratorISI_EEEEENSH_IJSG_SG_SG_EEES9_SI_JZNS1_25segmented_radix_sort_implINS0_14default_configELb0EPKbPbPKlPlN2at6native12_GLOBAL__N_18offset_tEEE10hipError_tPvRmT1_PNSt15iterator_traitsIS12_E10value_typeET2_T3_PNS13_IS18_E10value_typeET4_jRbjT5_S1E_jjP12ihipStream_tbEUljE_ZNSN_ISO_Lb0ESQ_SR_ST_SU_SY_EESZ_S10_S11_S12_S16_S17_S18_S1B_S1C_jS1D_jS1E_S1E_jjS1G_bEUljE0_EEESZ_S10_S11_S18_S1C_S1E_T6_T7_T9_mT8_S1G_bDpT10_ENKUlT_T0_E_clISt17integral_constantIbLb0EES1U_EEDaS1P_S1Q_EUlS1P_E_NS1_11comp_targetILNS1_3genE2ELNS1_11target_archE906ELNS1_3gpuE6ELNS1_3repE0EEENS1_30default_config_static_selectorELNS0_4arch9wavefront6targetE1EEEvS12_
	.p2align	8
	.type	_ZN7rocprim17ROCPRIM_400000_NS6detail17trampoline_kernelINS0_13select_configILj256ELj13ELNS0_17block_load_methodE3ELS4_3ELS4_3ELNS0_20block_scan_algorithmE0ELj4294967295EEENS1_25partition_config_selectorILNS1_17partition_subalgoE4EjNS0_10empty_typeEbEEZZNS1_14partition_implILS8_4ELb0ES6_15HIP_vector_typeIjLj2EENS0_17counting_iteratorIjlEEPS9_SG_NS0_5tupleIJPjSI_NS0_16reverse_iteratorISI_EEEEENSH_IJSG_SG_SG_EEES9_SI_JZNS1_25segmented_radix_sort_implINS0_14default_configELb0EPKbPbPKlPlN2at6native12_GLOBAL__N_18offset_tEEE10hipError_tPvRmT1_PNSt15iterator_traitsIS12_E10value_typeET2_T3_PNS13_IS18_E10value_typeET4_jRbjT5_S1E_jjP12ihipStream_tbEUljE_ZNSN_ISO_Lb0ESQ_SR_ST_SU_SY_EESZ_S10_S11_S12_S16_S17_S18_S1B_S1C_jS1D_jS1E_S1E_jjS1G_bEUljE0_EEESZ_S10_S11_S18_S1C_S1E_T6_T7_T9_mT8_S1G_bDpT10_ENKUlT_T0_E_clISt17integral_constantIbLb0EES1U_EEDaS1P_S1Q_EUlS1P_E_NS1_11comp_targetILNS1_3genE2ELNS1_11target_archE906ELNS1_3gpuE6ELNS1_3repE0EEENS1_30default_config_static_selectorELNS0_4arch9wavefront6targetE1EEEvS12_,@function
_ZN7rocprim17ROCPRIM_400000_NS6detail17trampoline_kernelINS0_13select_configILj256ELj13ELNS0_17block_load_methodE3ELS4_3ELS4_3ELNS0_20block_scan_algorithmE0ELj4294967295EEENS1_25partition_config_selectorILNS1_17partition_subalgoE4EjNS0_10empty_typeEbEEZZNS1_14partition_implILS8_4ELb0ES6_15HIP_vector_typeIjLj2EENS0_17counting_iteratorIjlEEPS9_SG_NS0_5tupleIJPjSI_NS0_16reverse_iteratorISI_EEEEENSH_IJSG_SG_SG_EEES9_SI_JZNS1_25segmented_radix_sort_implINS0_14default_configELb0EPKbPbPKlPlN2at6native12_GLOBAL__N_18offset_tEEE10hipError_tPvRmT1_PNSt15iterator_traitsIS12_E10value_typeET2_T3_PNS13_IS18_E10value_typeET4_jRbjT5_S1E_jjP12ihipStream_tbEUljE_ZNSN_ISO_Lb0ESQ_SR_ST_SU_SY_EESZ_S10_S11_S12_S16_S17_S18_S1B_S1C_jS1D_jS1E_S1E_jjS1G_bEUljE0_EEESZ_S10_S11_S18_S1C_S1E_T6_T7_T9_mT8_S1G_bDpT10_ENKUlT_T0_E_clISt17integral_constantIbLb0EES1U_EEDaS1P_S1Q_EUlS1P_E_NS1_11comp_targetILNS1_3genE2ELNS1_11target_archE906ELNS1_3gpuE6ELNS1_3repE0EEENS1_30default_config_static_selectorELNS0_4arch9wavefront6targetE1EEEvS12_: ; @_ZN7rocprim17ROCPRIM_400000_NS6detail17trampoline_kernelINS0_13select_configILj256ELj13ELNS0_17block_load_methodE3ELS4_3ELS4_3ELNS0_20block_scan_algorithmE0ELj4294967295EEENS1_25partition_config_selectorILNS1_17partition_subalgoE4EjNS0_10empty_typeEbEEZZNS1_14partition_implILS8_4ELb0ES6_15HIP_vector_typeIjLj2EENS0_17counting_iteratorIjlEEPS9_SG_NS0_5tupleIJPjSI_NS0_16reverse_iteratorISI_EEEEENSH_IJSG_SG_SG_EEES9_SI_JZNS1_25segmented_radix_sort_implINS0_14default_configELb0EPKbPbPKlPlN2at6native12_GLOBAL__N_18offset_tEEE10hipError_tPvRmT1_PNSt15iterator_traitsIS12_E10value_typeET2_T3_PNS13_IS18_E10value_typeET4_jRbjT5_S1E_jjP12ihipStream_tbEUljE_ZNSN_ISO_Lb0ESQ_SR_ST_SU_SY_EESZ_S10_S11_S12_S16_S17_S18_S1B_S1C_jS1D_jS1E_S1E_jjS1G_bEUljE0_EEESZ_S10_S11_S18_S1C_S1E_T6_T7_T9_mT8_S1G_bDpT10_ENKUlT_T0_E_clISt17integral_constantIbLb0EES1U_EEDaS1P_S1Q_EUlS1P_E_NS1_11comp_targetILNS1_3genE2ELNS1_11target_archE906ELNS1_3gpuE6ELNS1_3repE0EEENS1_30default_config_static_selectorELNS0_4arch9wavefront6targetE1EEEvS12_
; %bb.0:
	s_load_dwordx2 s[0:1], s[4:5], 0x68
	s_load_dwordx4 s[44:47], s[4:5], 0x58
	s_load_dword s8, s[4:5], 0x8
	s_load_dwordx2 s[56:57], s[4:5], 0x10
	s_load_dword s7, s[4:5], 0x80
	s_load_dwordx2 s[58:59], s[4:5], 0xa8
	s_load_dwordx8 s[36:43], s[4:5], 0x88
	s_waitcnt lgkmcnt(0)
	s_load_dwordx4 s[48:51], s[46:47], 0x0
	s_mul_i32 s33, s6, 0xd00
	s_add_i32 s9, s7, -1
	s_mulk_i32 s7, 0xd00
	s_add_u32 s2, s56, s7
	s_addc_u32 s3, s57, 0
	v_mov_b32_e32 v1, s2
	v_mov_b32_e32 v2, s3
	s_cmp_eq_u32 s6, s9
	v_cmp_gt_u64_e32 vcc, s[0:1], v[1:2]
	s_cselect_b64 s[34:35], -1, 0
	s_cmp_lg_u32 s6, s9
	s_cselect_b64 s[2:3], -1, 0
	s_add_i32 s1, s8, s33
	s_or_b64 s[2:3], s[2:3], vcc
	s_add_i32 s1, s1, s56
	s_mov_b64 s[8:9], -1
	s_and_b64 vcc, exec, s[2:3]
	v_add_u32_e32 v1, s1, v0
	s_cbranch_vccz .LBB1575_2
; %bb.1:
	v_add_u32_e32 v2, 0x100, v1
	v_lshlrev_b32_e32 v14, 2, v0
	v_add_u32_e32 v3, 0x200, v1
	v_add_u32_e32 v4, 0x300, v1
	;; [unrolled: 1-line block ×11, first 2 shown]
	ds_write2st64_b32 v14, v1, v2 offset1:4
	ds_write2st64_b32 v14, v3, v4 offset0:8 offset1:12
	ds_write2st64_b32 v14, v5, v6 offset0:16 offset1:20
	ds_write2st64_b32 v14, v7, v8 offset0:24 offset1:28
	ds_write2st64_b32 v14, v9, v10 offset0:32 offset1:36
	ds_write2st64_b32 v14, v11, v12 offset0:40 offset1:44
	ds_write_b32 v14, v13 offset:12288
	s_waitcnt lgkmcnt(0)
	s_barrier
	s_mov_b64 s[8:9], 0
.LBB1575_2:
	s_andn2_b64 vcc, exec, s[8:9]
	s_add_i32 s7, s7, s56
	s_cbranch_vccnz .LBB1575_4
; %bb.3:
	v_add_u32_e32 v2, 0x100, v1
	v_lshlrev_b32_e32 v14, 2, v0
	v_add_u32_e32 v3, 0x200, v1
	v_add_u32_e32 v4, 0x300, v1
	;; [unrolled: 1-line block ×11, first 2 shown]
	ds_write2st64_b32 v14, v1, v2 offset1:4
	ds_write2st64_b32 v14, v3, v4 offset0:8 offset1:12
	ds_write2st64_b32 v14, v5, v6 offset0:16 offset1:20
	;; [unrolled: 1-line block ×5, first 2 shown]
	ds_write_b32 v14, v13 offset:12288
	s_waitcnt lgkmcnt(0)
	s_barrier
.LBB1575_4:
	v_mul_u32_u24_e32 v30, 13, v0
	v_lshlrev_b32_e32 v1, 2, v30
	s_load_dwordx4 s[52:55], s[4:5], 0x28
	s_load_dwordx2 s[46:47], s[4:5], 0x38
	s_waitcnt lgkmcnt(0)
	ds_read_b32 v29, v1 offset:48
	ds_read2_b32 v[9:10], v1 offset0:10 offset1:11
	ds_read2_b32 v[11:12], v1 offset0:8 offset1:9
	;; [unrolled: 1-line block ×4, first 2 shown]
	ds_read2_b32 v[19:20], v1 offset1:1
	ds_read2_b32 v[17:18], v1 offset0:2 offset1:3
	v_cndmask_b32_e64 v1, 0, 1, s[2:3]
	s_sub_i32 s7, s0, s7
	v_cmp_ne_u32_e64 s[0:1], 1, v1
	s_andn2_b64 vcc, exec, s[2:3]
	s_waitcnt lgkmcnt(0)
	s_barrier
	s_cbranch_vccnz .LBB1575_32
; %bb.5:
	v_add_u32_e32 v1, s37, v19
	v_add_u32_e32 v2, s39, v19
	v_mul_lo_u32 v1, v1, s36
	v_mul_lo_u32 v2, v2, s38
	s_mov_b64 s[62:63], 0
	s_mov_b64 s[60:61], 0
	v_sub_u32_e32 v1, v1, v2
	v_cmp_lt_u32_e32 vcc, s40, v1
	v_cmp_ge_u32_e64 s[2:3], s40, v1
	s_and_saveexec_b64 s[8:9], s[2:3]
	s_cbranch_execz .LBB1575_7
; %bb.6:
	v_add_u32_e32 v1, s42, v19
	v_add_u32_e32 v2, s58, v19
	v_mul_lo_u32 v1, v1, s41
	v_mul_lo_u32 v2, v2, s43
	v_sub_u32_e32 v1, v1, v2
	v_cmp_lt_u32_e64 s[2:3], s59, v1
	s_and_b64 s[60:61], s[2:3], exec
.LBB1575_7:
	s_or_b64 exec, exec, s[8:9]
	v_add_u32_e32 v1, s37, v20
	v_add_u32_e32 v2, s39, v20
	v_mul_lo_u32 v1, v1, s36
	v_mul_lo_u32 v2, v2, s38
	v_sub_u32_e32 v1, v1, v2
	v_cmp_lt_u32_e64 s[2:3], s40, v1
	v_cmp_ge_u32_e64 s[8:9], s40, v1
	s_and_saveexec_b64 s[10:11], s[8:9]
	s_cbranch_execz .LBB1575_9
; %bb.8:
	v_add_u32_e32 v1, s42, v20
	v_add_u32_e32 v2, s58, v20
	v_mul_lo_u32 v1, v1, s41
	v_mul_lo_u32 v2, v2, s43
	v_sub_u32_e32 v1, v1, v2
	v_cmp_lt_u32_e64 s[8:9], s59, v1
	s_and_b64 s[62:63], s[8:9], exec
.LBB1575_9:
	s_or_b64 exec, exec, s[10:11]
	v_add_u32_e32 v1, s37, v17
	v_add_u32_e32 v2, s39, v17
	v_mul_lo_u32 v1, v1, s36
	v_mul_lo_u32 v2, v2, s38
	s_mov_b64 s[66:67], 0
	s_mov_b64 s[64:65], 0
	v_sub_u32_e32 v1, v1, v2
	v_cmp_lt_u32_e64 s[28:29], s40, v1
	v_cmp_ge_u32_e64 s[8:9], s40, v1
	s_and_saveexec_b64 s[10:11], s[8:9]
	s_cbranch_execz .LBB1575_11
; %bb.10:
	v_add_u32_e32 v1, s42, v17
	v_add_u32_e32 v2, s58, v17
	v_mul_lo_u32 v1, v1, s41
	v_mul_lo_u32 v2, v2, s43
	v_sub_u32_e32 v1, v1, v2
	v_cmp_lt_u32_e64 s[8:9], s59, v1
	s_and_b64 s[64:65], s[8:9], exec
.LBB1575_11:
	s_or_b64 exec, exec, s[10:11]
	v_add_u32_e32 v1, s37, v18
	v_add_u32_e32 v2, s39, v18
	v_mul_lo_u32 v1, v1, s36
	v_mul_lo_u32 v2, v2, s38
	v_sub_u32_e32 v1, v1, v2
	v_cmp_lt_u32_e64 s[8:9], s40, v1
	v_cmp_ge_u32_e64 s[10:11], s40, v1
	s_and_saveexec_b64 s[12:13], s[10:11]
	s_cbranch_execz .LBB1575_13
; %bb.12:
	v_add_u32_e32 v1, s42, v18
	v_add_u32_e32 v2, s58, v18
	v_mul_lo_u32 v1, v1, s41
	v_mul_lo_u32 v2, v2, s43
	v_sub_u32_e32 v1, v1, v2
	v_cmp_lt_u32_e64 s[10:11], s59, v1
	s_and_b64 s[66:67], s[10:11], exec
.LBB1575_13:
	s_or_b64 exec, exec, s[12:13]
	v_add_u32_e32 v1, s37, v15
	v_add_u32_e32 v2, s39, v15
	v_mul_lo_u32 v1, v1, s36
	v_mul_lo_u32 v2, v2, s38
	s_mov_b64 s[70:71], 0
	s_mov_b64 s[68:69], 0
	v_sub_u32_e32 v1, v1, v2
	v_cmp_lt_u32_e64 s[10:11], s40, v1
	;; [unrolled: 40-line block ×6, first 2 shown]
	v_cmp_ge_u32_e64 s[30:31], s40, v1
	s_and_saveexec_b64 s[88:89], s[30:31]
	s_cbranch_execz .LBB1575_31
; %bb.30:
	v_add_u32_e32 v1, s42, v29
	v_add_u32_e32 v2, s58, v29
	v_mul_lo_u32 v1, v1, s41
	v_mul_lo_u32 v2, v2, s43
	v_sub_u32_e32 v1, v1, v2
	v_cmp_lt_u32_e64 s[30:31], s59, v1
	s_and_b64 s[86:87], s[30:31], exec
.LBB1575_31:
	s_or_b64 exec, exec, s[88:89]
	v_cndmask_b32_e64 v2, 0, 1, s[2:3]
	v_cndmask_b32_e64 v1, 0, 1, vcc
	v_cndmask_b32_e64 v4, 0, 1, s[8:9]
	v_lshlrev_b16_e32 v2, 8, v2
	v_cndmask_b32_e64 v3, 0, 1, s[28:29]
	v_or_b32_e32 v1, v1, v2
	v_lshlrev_b16_e32 v2, 8, v4
	v_cndmask_b32_e64 v6, 0, 1, s[12:13]
	v_cndmask_b32_e64 v8, 0, 1, s[16:17]
	v_or_b32_sdwa v2, v3, v2 dst_sel:WORD_1 dst_unused:UNUSED_PAD src0_sel:DWORD src1_sel:DWORD
	v_cndmask_b32_e64 v5, 0, 1, s[10:11]
	v_cndmask_b32_e64 v7, 0, 1, s[14:15]
	v_or_b32_sdwa v31, v1, v2 dst_sel:DWORD dst_unused:UNUSED_PAD src0_sel:WORD_0 src1_sel:DWORD
	v_lshlrev_b16_e32 v1, 8, v6
	v_lshlrev_b16_e32 v2, 8, v8
	v_cndmask_b32_e64 v22, 0, 1, s[20:21]
	v_cndmask_b32_e64 v25, 0, 1, s[24:25]
	v_or_b32_e32 v1, v5, v1
	v_or_b32_sdwa v2, v7, v2 dst_sel:WORD_1 dst_unused:UNUSED_PAD src0_sel:DWORD src1_sel:DWORD
	v_cndmask_b32_e64 v21, 0, 1, s[18:19]
	v_cndmask_b32_e64 v23, 0, 1, s[22:23]
	v_or_b32_sdwa v33, v1, v2 dst_sel:DWORD dst_unused:UNUSED_PAD src0_sel:WORD_0 src1_sel:DWORD
	v_lshlrev_b16_e32 v1, 8, v22
	v_lshlrev_b16_e32 v2, 8, v25
	v_cndmask_b32_e64 v37, 0, 1, s[64:65]
	v_cndmask_b32_e64 v42, 0, 1, s[60:61]
	v_or_b32_e32 v1, v21, v1
	v_or_b32_sdwa v2, v23, v2 dst_sel:WORD_1 dst_unused:UNUSED_PAD src0_sel:DWORD src1_sel:DWORD
	v_cndmask_b32_e64 v41, 0, 1, s[62:63]
	v_cndmask_b32_e64 v43, 0, 1, s[26:27]
	v_or_b32_sdwa v36, v1, v2 dst_sel:DWORD dst_unused:UNUSED_PAD src0_sel:WORD_0 src1_sel:DWORD
	v_lshlrev_b16_e32 v1, 8, v42
	v_lshlrev_b16_e32 v2, 8, v37
	v_cndmask_b32_e64 v32, 0, 1, s[72:73]
	v_cndmask_b32_e64 v39, 0, 1, s[68:69]
	v_or_b32_e32 v1, v43, v1
	v_or_b32_sdwa v2, v41, v2 dst_sel:WORD_1 dst_unused:UNUSED_PAD src0_sel:DWORD src1_sel:DWORD
	v_cndmask_b32_e64 v34, 0, 1, s[70:71]
	v_cndmask_b32_e64 v40, 0, 1, s[66:67]
	v_or_b32_sdwa v37, v1, v2 dst_sel:DWORD dst_unused:UNUSED_PAD src0_sel:WORD_0 src1_sel:DWORD
	v_lshlrev_b16_e32 v1, 8, v39
	v_lshlrev_b16_e32 v2, 8, v32
	v_cndmask_b32_e64 v24, 0, 1, s[84:85]
	v_cndmask_b32_e64 v27, 0, 1, s[76:77]
	v_or_b32_e32 v1, v40, v1
	v_or_b32_sdwa v2, v34, v2 dst_sel:WORD_1 dst_unused:UNUSED_PAD src0_sel:DWORD src1_sel:DWORD
	v_cndmask_b32_e64 v26, 0, 1, s[78:79]
	v_cndmask_b32_e64 v28, 0, 1, s[74:75]
	v_or_b32_sdwa v32, v1, v2 dst_sel:DWORD dst_unused:UNUSED_PAD src0_sel:WORD_0 src1_sel:DWORD
	v_lshlrev_b16_e32 v1, 8, v27
	v_lshlrev_b16_e32 v2, 8, v24
	v_or_b32_e32 v1, v28, v1
	v_or_b32_sdwa v2, v26, v2 dst_sel:WORD_1 dst_unused:UNUSED_PAD src0_sel:DWORD src1_sel:DWORD
	v_cndmask_b32_e64 v35, 0, 1, s[82:83]
	v_cndmask_b32_e64 v38, 0, 1, s[86:87]
	v_or_b32_sdwa v34, v1, v2 dst_sel:DWORD dst_unused:UNUSED_PAD src0_sel:WORD_0 src1_sel:DWORD
	s_load_dwordx2 s[12:13], s[4:5], 0x78
	s_add_i32 s18, s7, 0xd00
	s_and_b64 vcc, exec, s[80:81]
	s_cbranch_vccnz .LBB1575_33
	s_branch .LBB1575_110
.LBB1575_32:
                                        ; implicit-def: $vgpr38
                                        ; implicit-def: $vgpr35
                                        ; implicit-def: $vgpr34
                                        ; implicit-def: $vgpr32
                                        ; implicit-def: $vgpr37
                                        ; implicit-def: $vgpr36
                                        ; implicit-def: $vgpr33
                                        ; implicit-def: $vgpr31
	s_load_dwordx2 s[12:13], s[4:5], 0x78
	s_add_i32 s18, s7, 0xd00
	s_cbranch_execz .LBB1575_110
.LBB1575_33:
	v_cmp_gt_u32_e32 vcc, s18, v30
	v_mov_b32_e32 v2, 0
	v_mov_b32_e32 v1, 0
	s_and_saveexec_b64 s[4:5], vcc
	s_cbranch_execz .LBB1575_37
; %bb.34:
	v_add_u32_e32 v1, s37, v19
	v_add_u32_e32 v2, s39, v19
	v_mul_lo_u32 v1, v1, s36
	v_mul_lo_u32 v2, v2, s38
	s_mov_b64 s[10:11], 0
	v_sub_u32_e32 v1, v1, v2
	v_cmp_lt_u32_e32 vcc, s40, v1
	v_cmp_ge_u32_e64 s[2:3], s40, v1
	s_and_saveexec_b64 s[8:9], s[2:3]
	s_cbranch_execz .LBB1575_36
; %bb.35:
	v_add_u32_e32 v1, s42, v19
	v_add_u32_e32 v2, s58, v19
	v_mul_lo_u32 v1, v1, s41
	v_mul_lo_u32 v2, v2, s43
	v_sub_u32_e32 v1, v1, v2
	v_cmp_lt_u32_e64 s[2:3], s59, v1
	s_and_b64 s[10:11], s[2:3], exec
.LBB1575_36:
	s_or_b64 exec, exec, s[8:9]
	v_cndmask_b32_e64 v2, 0, 1, s[10:11]
	v_cndmask_b32_e64 v1, 0, 1, vcc
.LBB1575_37:
	s_or_b64 exec, exec, s[4:5]
	v_lshlrev_b16_e32 v7, 8, v2
	v_add_u32_e32 v2, 1, v30
	v_cmp_le_u32_e32 vcc, s18, v2
	v_lshlrev_b16_e64 v4, 8, 0
                                        ; implicit-def: $vgpr3
                                        ; implicit-def: $vgpr5
                                        ; implicit-def: $vgpr6
                                        ; implicit-def: $vgpr2
                                        ; implicit-def: $vgpr8
	s_and_saveexec_b64 s[2:3], vcc
	s_xor_b64 s[2:3], exec, s[2:3]
; %bb.38:
	v_mov_b32_e32 v2, 8
	v_lshrrev_b32_sdwa v3, v2, v7 dst_sel:BYTE_1 dst_unused:UNUSED_PAD src0_sel:DWORD src1_sel:DWORD
	v_and_b32_e32 v8, 0xff, v1
	v_or_b32_sdwa v1, v7, v3 dst_sel:DWORD dst_unused:UNUSED_PAD src0_sel:BYTE_0 src1_sel:DWORD
	v_mov_b32_e32 v5, 0
	v_lshlrev_b16_e64 v4, 8, 0
	v_lshlrev_b16_e64 v2, 8, 0
	v_and_b32_e32 v6, 0xffff, v1
	v_lshlrev_b16_e64 v3, 8, 0
                                        ; implicit-def: $vgpr1
                                        ; implicit-def: $vgpr7
; %bb.39:
	s_andn2_saveexec_b64 s[4:5], s[2:3]
	s_cbranch_execz .LBB1575_43
; %bb.40:
	v_add_u32_e32 v2, s37, v20
	v_add_u32_e32 v3, s39, v20
	v_mul_lo_u32 v2, v2, s36
	v_mul_lo_u32 v3, v3, s38
	s_mov_b64 s[8:9], 0
	v_sub_u32_e32 v2, v2, v3
	v_cmp_lt_u32_e32 vcc, s40, v2
	v_cmp_ge_u32_e64 s[2:3], s40, v2
	s_and_saveexec_b64 s[10:11], s[2:3]
	s_cbranch_execz .LBB1575_42
; %bb.41:
	v_add_u32_e32 v2, s42, v20
	v_add_u32_e32 v3, s58, v20
	v_mul_lo_u32 v2, v2, s41
	v_mul_lo_u32 v3, v3, s43
	v_sub_u32_e32 v2, v2, v3
	v_cmp_lt_u32_e64 s[2:3], s59, v2
	s_and_b64 s[8:9], s[2:3], exec
.LBB1575_42:
	s_or_b64 exec, exec, s[10:11]
	v_cndmask_b32_e64 v3, 0, 1, vcc
	v_lshlrev_b16_e32 v3, 8, v3
	v_or_b32_sdwa v1, v1, v3 dst_sel:DWORD dst_unused:UNUSED_PAD src0_sel:BYTE_0 src1_sel:DWORD
	v_and_b32_e32 v8, 0xffff, v1
	v_mov_b32_e32 v1, 8
	v_lshrrev_b32_sdwa v1, v1, v7 dst_sel:BYTE_1 dst_unused:UNUSED_PAD src0_sel:DWORD src1_sel:DWORD
	v_or_b32_sdwa v1, v7, v1 dst_sel:DWORD dst_unused:UNUSED_PAD src0_sel:BYTE_0 src1_sel:DWORD
	v_and_b32_e32 v1, 0xffff, v1
	v_cndmask_b32_e64 v3, 0, 1, s[8:9]
	v_mov_b32_e32 v2, 0
	v_mov_b32_e32 v5, 0
	v_lshl_or_b32 v6, v3, 16, v1
	v_lshlrev_b16_e64 v3, 8, 0
.LBB1575_43:
	s_or_b64 exec, exec, s[4:5]
	v_add_u32_e32 v1, 2, v30
	v_cmp_le_u32_e32 vcc, s18, v1
	v_lshrrev_b32_e32 v21, 24, v8
                                        ; implicit-def: $vgpr1
                                        ; implicit-def: $vgpr7
	s_and_saveexec_b64 s[2:3], vcc
	s_xor_b64 s[2:3], exec, s[2:3]
	s_cbranch_execz .LBB1575_45
; %bb.44:
	s_mov_b32 s4, 0x40c0100
	v_perm_b32 v7, v21, v8, s4
	v_mov_b32_e32 v8, 8
	v_lshrrev_b32_sdwa v8, v8, v7 dst_sel:BYTE_1 dst_unused:UNUSED_PAD src0_sel:DWORD src1_sel:DWORD
	v_or_b32_sdwa v8, v7, v8 dst_sel:DWORD dst_unused:UNUSED_PAD src0_sel:BYTE_0 src1_sel:DWORD
	v_and_b32_e32 v8, 0xffff, v8
	s_mov_b32 s4, 0xff000000
	v_and_or_b32 v7, v7, s4, v8
	s_mov_b32 s4, 0x3060504
	v_and_b32_e32 v1, 0xff0000, v6
	v_perm_b32 v4, v4, v4, s4
	s_mov_b32 s4, 0x3020504
	v_perm_b32 v1, v6, v1, s4
                                        ; implicit-def: $vgpr8
                                        ; implicit-def: $vgpr21
                                        ; implicit-def: $vgpr6
.LBB1575_45:
	s_andn2_saveexec_b64 s[4:5], s[2:3]
	s_cbranch_execz .LBB1575_49
; %bb.46:
	v_add_u32_e32 v1, s37, v17
	v_add_u32_e32 v7, s39, v17
	v_mul_lo_u32 v1, v1, s36
	v_mul_lo_u32 v7, v7, s38
	s_mov_b64 s[8:9], 0
	v_sub_u32_e32 v1, v1, v7
	v_cmp_lt_u32_e32 vcc, s40, v1
	v_cmp_ge_u32_e64 s[2:3], s40, v1
	s_and_saveexec_b64 s[10:11], s[2:3]
	s_cbranch_execz .LBB1575_48
; %bb.47:
	v_add_u32_e32 v1, s42, v17
	v_add_u32_e32 v7, s58, v17
	v_mul_lo_u32 v1, v1, s41
	v_mul_lo_u32 v7, v7, s43
	v_sub_u32_e32 v1, v1, v7
	v_cmp_lt_u32_e64 s[2:3], s59, v1
	s_and_b64 s[8:9], s[2:3], exec
.LBB1575_48:
	s_or_b64 exec, exec, s[10:11]
	v_mov_b32_e32 v23, 8
	v_lshrrev_b32_sdwa v7, v23, v8 dst_sel:BYTE_1 dst_unused:UNUSED_PAD src0_sel:DWORD src1_sel:DWORD
	v_cndmask_b32_e64 v1, 0, 1, vcc
	v_or_b32_sdwa v7, v8, v7 dst_sel:DWORD dst_unused:UNUSED_PAD src0_sel:BYTE_0 src1_sel:DWORD
	v_lshlrev_b16_e32 v8, 8, v21
	v_or_b32_sdwa v1, v1, v8 dst_sel:WORD_1 dst_unused:UNUSED_PAD src0_sel:DWORD src1_sel:DWORD
	v_cndmask_b32_e64 v22, 0, 1, s[8:9]
	s_movk_i32 s2, 0xff
	v_or_b32_sdwa v7, v7, v1 dst_sel:DWORD dst_unused:UNUSED_PAD src0_sel:WORD_0 src1_sel:DWORD
	v_lshrrev_b32_sdwa v1, v23, v6 dst_sel:BYTE_1 dst_unused:UNUSED_PAD src0_sel:DWORD src1_sel:DWORD
	v_or_b32_sdwa v1, v6, v1 dst_sel:DWORD dst_unused:UNUSED_PAD src0_sel:BYTE_0 src1_sel:DWORD
	v_lshlrev_b16_e32 v8, 8, v22
	v_and_b32_sdwa v6, v6, s2 dst_sel:DWORD dst_unused:UNUSED_PAD src0_sel:WORD_1 src1_sel:DWORD
	v_or_b32_sdwa v6, v6, v8 dst_sel:WORD_1 dst_unused:UNUSED_PAD src0_sel:DWORD src1_sel:DWORD
	v_or_b32_sdwa v1, v1, v6 dst_sel:DWORD dst_unused:UNUSED_PAD src0_sel:WORD_0 src1_sel:DWORD
.LBB1575_49:
	s_or_b64 exec, exec, s[4:5]
	v_add_u32_e32 v6, 3, v30
	v_cmp_le_u32_e32 vcc, s18, v6
	v_lshrrev_b32_e32 v8, 24, v5
                                        ; implicit-def: $vgpr6
                                        ; implicit-def: $vgpr31
	s_and_saveexec_b64 s[2:3], vcc
	s_xor_b64 s[2:3], exec, s[2:3]
	s_cbranch_execz .LBB1575_51
; %bb.50:
	v_and_b32_e32 v6, 0xff0000, v7
	s_mov_b32 s4, 0x3020504
	s_movk_i32 s5, 0xff
	v_perm_b32 v31, v7, v6, s4
	v_lshlrev_b16_e32 v6, 8, v8
	v_and_b32_sdwa v7, v5, s5 dst_sel:DWORD dst_unused:UNUSED_PAD src0_sel:WORD_1 src1_sel:DWORD
	s_mov_b32 s4, 0x3060504
	v_or_b32_sdwa v6, v7, v6 dst_sel:WORD_1 dst_unused:UNUSED_PAD src0_sel:DWORD src1_sel:DWORD
	v_mov_b32_e32 v7, 8
	v_perm_b32 v4, v4, v4, s4
	v_lshrrev_b32_sdwa v6, v7, v5 dst_sel:BYTE_1 dst_unused:UNUSED_PRESERVE src0_sel:DWORD src1_sel:DWORD
	v_perm_b32 v3, v3, v3, s4
                                        ; implicit-def: $vgpr7
                                        ; implicit-def: $vgpr8
                                        ; implicit-def: $vgpr5
.LBB1575_51:
	s_andn2_saveexec_b64 s[4:5], s[2:3]
	s_cbranch_execz .LBB1575_55
; %bb.52:
	v_add_u32_e32 v6, s37, v18
	v_add_u32_e32 v21, s39, v18
	v_mul_lo_u32 v6, v6, s36
	v_mul_lo_u32 v21, v21, s38
	s_mov_b64 s[8:9], 0
	v_sub_u32_e32 v6, v6, v21
	v_cmp_lt_u32_e32 vcc, s40, v6
	v_cmp_ge_u32_e64 s[2:3], s40, v6
	s_and_saveexec_b64 s[10:11], s[2:3]
	s_cbranch_execz .LBB1575_54
; %bb.53:
	v_add_u32_e32 v6, s42, v18
	v_add_u32_e32 v21, s58, v18
	v_mul_lo_u32 v6, v6, s41
	v_mul_lo_u32 v21, v21, s43
	v_sub_u32_e32 v6, v6, v21
	v_cmp_lt_u32_e64 s[2:3], s59, v6
	s_and_b64 s[8:9], s[2:3], exec
.LBB1575_54:
	s_or_b64 exec, exec, s[10:11]
	v_mov_b32_e32 v22, 8
	v_cndmask_b32_e64 v6, 0, 1, vcc
	s_movk_i32 s2, 0xff
	v_lshrrev_b32_sdwa v23, v22, v7 dst_sel:BYTE_1 dst_unused:UNUSED_PAD src0_sel:DWORD src1_sel:DWORD
	v_or_b32_sdwa v23, v7, v23 dst_sel:DWORD dst_unused:UNUSED_PAD src0_sel:BYTE_0 src1_sel:DWORD
	v_lshlrev_b16_e32 v6, 8, v6
	v_and_b32_sdwa v7, v7, s2 dst_sel:DWORD dst_unused:UNUSED_PAD src0_sel:WORD_1 src1_sel:DWORD
	v_or_b32_sdwa v6, v7, v6 dst_sel:WORD_1 dst_unused:UNUSED_PAD src0_sel:DWORD src1_sel:DWORD
	v_cndmask_b32_e64 v21, 0, 1, s[8:9]
	v_or_b32_sdwa v31, v23, v6 dst_sel:DWORD dst_unused:UNUSED_PAD src0_sel:WORD_0 src1_sel:DWORD
	v_lshlrev_b16_e32 v6, 8, v8
	v_and_b32_sdwa v7, v5, s2 dst_sel:DWORD dst_unused:UNUSED_PAD src0_sel:WORD_1 src1_sel:DWORD
	v_lshrrev_b32_sdwa v5, v22, v5 dst_sel:BYTE_1 dst_unused:UNUSED_PAD src0_sel:DWORD src1_sel:DWORD
	v_or_b32_sdwa v6, v7, v6 dst_sel:WORD_1 dst_unused:UNUSED_PAD src0_sel:DWORD src1_sel:DWORD
	v_or_b32_e32 v5, v21, v5
	v_or_b32_sdwa v6, v5, v6 dst_sel:DWORD dst_unused:UNUSED_PAD src0_sel:WORD_0 src1_sel:DWORD
.LBB1575_55:
	s_or_b64 exec, exec, s[4:5]
	v_add_u32_e32 v5, 4, v30
	v_cmp_le_u32_e32 vcc, s18, v5
	v_lshrrev_b32_e32 v21, 24, v4
	v_lshrrev_b32_e32 v8, 24, v6
                                        ; implicit-def: $vgpr7
                                        ; implicit-def: $vgpr5
	s_and_saveexec_b64 s[2:3], vcc
	s_xor_b64 s[2:3], exec, s[2:3]
	s_cbranch_execz .LBB1575_57
; %bb.56:
	s_movk_i32 s4, 0xff
	v_lshlrev_b16_e32 v5, 8, v21
	v_and_b32_sdwa v21, v4, s4 dst_sel:DWORD dst_unused:UNUSED_PAD src0_sel:WORD_1 src1_sel:DWORD
	v_mov_b32_e32 v7, 8
	v_or_b32_sdwa v5, v21, v5 dst_sel:WORD_1 dst_unused:UNUSED_PAD src0_sel:DWORD src1_sel:DWORD
	v_lshrrev_b32_sdwa v5, v7, v4 dst_sel:BYTE_1 dst_unused:UNUSED_PRESERVE src0_sel:DWORD src1_sel:DWORD
	v_lshlrev_b16_e32 v4, 8, v8
	v_and_b32_sdwa v7, v6, s4 dst_sel:DWORD dst_unused:UNUSED_PAD src0_sel:WORD_1 src1_sel:DWORD
	v_or_b32_e32 v4, v7, v4
	s_mov_b32 s4, 0x5040c00
	v_perm_b32 v7, v4, v6, s4
	s_mov_b32 s4, 0x3060504
	v_perm_b32 v3, v3, v3, s4
                                        ; implicit-def: $vgpr21
                                        ; implicit-def: $vgpr4
                                        ; implicit-def: $vgpr6
                                        ; implicit-def: $vgpr8
.LBB1575_57:
	s_andn2_saveexec_b64 s[4:5], s[2:3]
	s_cbranch_execz .LBB1575_61
; %bb.58:
	v_add_u32_e32 v5, s37, v15
	v_add_u32_e32 v7, s39, v15
	v_mul_lo_u32 v5, v5, s36
	v_mul_lo_u32 v7, v7, s38
	s_mov_b64 s[8:9], 0
	v_sub_u32_e32 v5, v5, v7
	v_cmp_lt_u32_e32 vcc, s40, v5
	v_cmp_ge_u32_e64 s[2:3], s40, v5
	s_and_saveexec_b64 s[10:11], s[2:3]
	s_cbranch_execz .LBB1575_60
; %bb.59:
	v_add_u32_e32 v5, s42, v15
	v_add_u32_e32 v7, s58, v15
	v_mul_lo_u32 v5, v5, s41
	v_mul_lo_u32 v7, v7, s43
	v_sub_u32_e32 v5, v5, v7
	v_cmp_lt_u32_e64 s[2:3], s59, v5
	s_and_b64 s[8:9], s[2:3], exec
.LBB1575_60:
	s_or_b64 exec, exec, s[10:11]
	s_movk_i32 s2, 0xff
	v_lshlrev_b16_e32 v21, 8, v21
	v_and_b32_sdwa v22, v4, s2 dst_sel:DWORD dst_unused:UNUSED_PAD src0_sel:WORD_1 src1_sel:DWORD
	v_or_b32_sdwa v21, v22, v21 dst_sel:WORD_1 dst_unused:UNUSED_PAD src0_sel:DWORD src1_sel:DWORD
	v_mov_b32_e32 v22, 8
	v_cndmask_b32_e64 v5, 0, 1, vcc
	v_lshrrev_b32_sdwa v4, v22, v4 dst_sel:BYTE_1 dst_unused:UNUSED_PAD src0_sel:DWORD src1_sel:DWORD
	v_cndmask_b32_e64 v7, 0, 1, s[8:9]
	v_or_b32_e32 v4, v5, v4
	v_or_b32_sdwa v5, v4, v21 dst_sel:DWORD dst_unused:UNUSED_PAD src0_sel:WORD_0 src1_sel:DWORD
	v_lshlrev_b16_e32 v4, 8, v7
	v_or_b32_sdwa v4, v6, v4 dst_sel:DWORD dst_unused:UNUSED_PAD src0_sel:BYTE_0 src1_sel:DWORD
	v_lshlrev_b16_e32 v7, 8, v8
	v_and_b32_sdwa v6, v6, s2 dst_sel:DWORD dst_unused:UNUSED_PAD src0_sel:WORD_1 src1_sel:DWORD
	v_or_b32_sdwa v6, v6, v7 dst_sel:WORD_1 dst_unused:UNUSED_PAD src0_sel:DWORD src1_sel:DWORD
	v_or_b32_sdwa v7, v4, v6 dst_sel:DWORD dst_unused:UNUSED_PAD src0_sel:WORD_0 src1_sel:DWORD
.LBB1575_61:
	s_or_b64 exec, exec, s[4:5]
	v_add_u32_e32 v4, 5, v30
	v_cmp_le_u32_e32 vcc, s18, v4
	v_lshrrev_b32_e32 v8, 24, v7
	v_lshrrev_b32_e32 v21, 24, v5
                                        ; implicit-def: $vgpr4
                                        ; implicit-def: $vgpr6
	s_and_saveexec_b64 s[2:3], vcc
	s_xor_b64 s[2:3], exec, s[2:3]
	s_cbranch_execz .LBB1575_63
; %bb.62:
	s_mov_b32 s4, 0x40c0100
	v_perm_b32 v4, v8, v7, s4
	s_movk_i32 s4, 0xff
	v_lshlrev_b16_e32 v6, 8, v21
	v_and_b32_sdwa v7, v5, s4 dst_sel:DWORD dst_unused:UNUSED_PAD src0_sel:WORD_1 src1_sel:DWORD
	v_or_b32_e32 v6, v7, v6
	s_mov_b32 s4, 0x5040c00
	v_perm_b32 v6, v6, v5, s4
	v_mov_b32_e32 v5, 8
	v_lshrrev_b32_sdwa v5, v5, v4 dst_sel:BYTE_1 dst_unused:UNUSED_PAD src0_sel:DWORD src1_sel:DWORD
	v_or_b32_sdwa v5, v4, v5 dst_sel:DWORD dst_unused:UNUSED_PAD src0_sel:BYTE_0 src1_sel:DWORD
	v_and_b32_e32 v5, 0xffff, v5
	s_mov_b32 s4, 0xff000000
	v_and_or_b32 v4, v4, s4, v5
	s_mov_b32 s4, 0x3060504
	v_perm_b32 v3, v3, v3, s4
                                        ; implicit-def: $vgpr5
                                        ; implicit-def: $vgpr21
                                        ; implicit-def: $vgpr7
                                        ; implicit-def: $vgpr8
.LBB1575_63:
	s_andn2_saveexec_b64 s[4:5], s[2:3]
	s_cbranch_execz .LBB1575_67
; %bb.64:
	v_add_u32_e32 v4, s37, v16
	v_add_u32_e32 v6, s39, v16
	v_mul_lo_u32 v4, v4, s36
	v_mul_lo_u32 v6, v6, s38
	s_mov_b64 s[8:9], 0
	v_sub_u32_e32 v4, v4, v6
	v_cmp_lt_u32_e32 vcc, s40, v4
	v_cmp_ge_u32_e64 s[2:3], s40, v4
	s_and_saveexec_b64 s[10:11], s[2:3]
	s_cbranch_execz .LBB1575_66
; %bb.65:
	v_add_u32_e32 v4, s42, v16
	v_add_u32_e32 v6, s58, v16
	v_mul_lo_u32 v4, v4, s41
	v_mul_lo_u32 v6, v6, s43
	v_sub_u32_e32 v4, v4, v6
	v_cmp_lt_u32_e64 s[2:3], s59, v4
	s_and_b64 s[8:9], s[2:3], exec
.LBB1575_66:
	s_or_b64 exec, exec, s[10:11]
	v_cndmask_b32_e64 v4, 0, 1, vcc
	v_lshlrev_b16_e32 v4, 8, v4
	s_movk_i32 s2, 0xff
	v_or_b32_sdwa v4, v5, v4 dst_sel:DWORD dst_unused:UNUSED_PAD src0_sel:BYTE_0 src1_sel:DWORD
	v_lshlrev_b16_e32 v6, 8, v21
	v_and_b32_sdwa v5, v5, s2 dst_sel:DWORD dst_unused:UNUSED_PAD src0_sel:WORD_1 src1_sel:DWORD
	v_or_b32_sdwa v5, v5, v6 dst_sel:WORD_1 dst_unused:UNUSED_PAD src0_sel:DWORD src1_sel:DWORD
	v_or_b32_sdwa v6, v4, v5 dst_sel:DWORD dst_unused:UNUSED_PAD src0_sel:WORD_0 src1_sel:DWORD
	v_mov_b32_e32 v4, 8
	v_cndmask_b32_e64 v22, 0, 1, s[8:9]
	v_lshrrev_b32_sdwa v4, v4, v7 dst_sel:BYTE_1 dst_unused:UNUSED_PAD src0_sel:DWORD src1_sel:DWORD
	v_lshlrev_b16_e32 v5, 8, v8
	v_or_b32_sdwa v4, v7, v4 dst_sel:DWORD dst_unused:UNUSED_PAD src0_sel:BYTE_0 src1_sel:DWORD
	v_or_b32_sdwa v5, v22, v5 dst_sel:WORD_1 dst_unused:UNUSED_PAD src0_sel:DWORD src1_sel:DWORD
	v_or_b32_sdwa v4, v4, v5 dst_sel:DWORD dst_unused:UNUSED_PAD src0_sel:WORD_0 src1_sel:DWORD
.LBB1575_67:
	s_or_b64 exec, exec, s[4:5]
	v_add_u32_e32 v5, 6, v30
	v_cmp_le_u32_e32 vcc, s18, v5
	v_lshrrev_b32_e32 v7, 24, v6
                                        ; implicit-def: $vgpr32
                                        ; implicit-def: $vgpr5
	s_and_saveexec_b64 s[2:3], vcc
	s_xor_b64 s[2:3], exec, s[2:3]
	s_cbranch_execz .LBB1575_69
; %bb.68:
	s_mov_b32 s4, 0x40c0100
	v_perm_b32 v5, v7, v6, s4
	v_mov_b32_e32 v6, 8
	v_lshrrev_b32_sdwa v6, v6, v5 dst_sel:BYTE_1 dst_unused:UNUSED_PAD src0_sel:DWORD src1_sel:DWORD
	v_or_b32_sdwa v6, v5, v6 dst_sel:DWORD dst_unused:UNUSED_PAD src0_sel:BYTE_0 src1_sel:DWORD
	v_and_b32_e32 v6, 0xffff, v6
	s_mov_b32 s4, 0xff000000
	v_and_b32_e32 v8, 0xff0000, v4
	v_and_or_b32 v5, v5, s4, v6
	s_mov_b32 s4, 0x3020504
	v_perm_b32 v32, v4, v8, s4
	s_mov_b32 s4, 0x3060504
	v_perm_b32 v3, v3, v3, s4
                                        ; implicit-def: $vgpr6
                                        ; implicit-def: $vgpr7
                                        ; implicit-def: $vgpr4
.LBB1575_69:
	s_andn2_saveexec_b64 s[4:5], s[2:3]
	s_cbranch_execz .LBB1575_73
; %bb.70:
	v_add_u32_e32 v5, s37, v13
	v_add_u32_e32 v8, s39, v13
	v_mul_lo_u32 v5, v5, s36
	v_mul_lo_u32 v8, v8, s38
	s_mov_b64 s[8:9], 0
	v_sub_u32_e32 v5, v5, v8
	v_cmp_lt_u32_e32 vcc, s40, v5
	v_cmp_ge_u32_e64 s[2:3], s40, v5
	s_and_saveexec_b64 s[10:11], s[2:3]
	s_cbranch_execz .LBB1575_72
; %bb.71:
	v_add_u32_e32 v5, s42, v13
	v_add_u32_e32 v8, s58, v13
	v_mul_lo_u32 v5, v5, s41
	v_mul_lo_u32 v8, v8, s43
	v_sub_u32_e32 v5, v5, v8
	v_cmp_lt_u32_e64 s[2:3], s59, v5
	s_and_b64 s[8:9], s[2:3], exec
.LBB1575_72:
	s_or_b64 exec, exec, s[10:11]
	v_mov_b32_e32 v21, 8
	v_cndmask_b32_e64 v5, 0, 1, vcc
	v_lshrrev_b32_sdwa v22, v21, v6 dst_sel:BYTE_1 dst_unused:UNUSED_PAD src0_sel:DWORD src1_sel:DWORD
	v_lshlrev_b16_e32 v7, 8, v7
	v_or_b32_sdwa v6, v6, v22 dst_sel:DWORD dst_unused:UNUSED_PAD src0_sel:BYTE_0 src1_sel:DWORD
	v_or_b32_sdwa v5, v5, v7 dst_sel:WORD_1 dst_unused:UNUSED_PAD src0_sel:DWORD src1_sel:DWORD
	v_cndmask_b32_e64 v8, 0, 1, s[8:9]
	s_movk_i32 s2, 0xff
	v_or_b32_sdwa v5, v6, v5 dst_sel:DWORD dst_unused:UNUSED_PAD src0_sel:WORD_0 src1_sel:DWORD
	v_lshrrev_b32_sdwa v6, v21, v4 dst_sel:BYTE_1 dst_unused:UNUSED_PAD src0_sel:DWORD src1_sel:DWORD
	v_or_b32_sdwa v6, v4, v6 dst_sel:DWORD dst_unused:UNUSED_PAD src0_sel:BYTE_0 src1_sel:DWORD
	v_lshlrev_b16_e32 v7, 8, v8
	v_and_b32_sdwa v4, v4, s2 dst_sel:DWORD dst_unused:UNUSED_PAD src0_sel:WORD_1 src1_sel:DWORD
	v_or_b32_sdwa v4, v4, v7 dst_sel:WORD_1 dst_unused:UNUSED_PAD src0_sel:DWORD src1_sel:DWORD
	v_or_b32_sdwa v32, v6, v4 dst_sel:DWORD dst_unused:UNUSED_PAD src0_sel:WORD_0 src1_sel:DWORD
.LBB1575_73:
	s_or_b64 exec, exec, s[4:5]
	v_add_u32_e32 v4, 7, v30
	v_cmp_le_u32_e32 vcc, s18, v4
	v_lshrrev_b32_e32 v6, 24, v3
                                        ; implicit-def: $vgpr4
                                        ; implicit-def: $vgpr33
	s_and_saveexec_b64 s[2:3], vcc
	s_xor_b64 s[2:3], exec, s[2:3]
; %bb.74:
	v_and_b32_e32 v4, 0xff0000, v5
	s_mov_b32 s4, 0x3020504
	v_perm_b32 v33, v5, v4, s4
	s_movk_i32 s4, 0xff
	v_lshlrev_b16_e32 v4, 8, v6
	v_and_b32_sdwa v5, v3, s4 dst_sel:DWORD dst_unused:UNUSED_PAD src0_sel:WORD_1 src1_sel:DWORD
	v_mov_b32_e32 v7, 8
	v_or_b32_sdwa v4, v5, v4 dst_sel:WORD_1 dst_unused:UNUSED_PAD src0_sel:DWORD src1_sel:DWORD
	v_lshrrev_b32_sdwa v4, v7, v3 dst_sel:BYTE_1 dst_unused:UNUSED_PRESERVE src0_sel:DWORD src1_sel:DWORD
                                        ; implicit-def: $vgpr5
                                        ; implicit-def: $vgpr6
                                        ; implicit-def: $vgpr3
; %bb.75:
	s_andn2_saveexec_b64 s[4:5], s[2:3]
	s_cbranch_execz .LBB1575_79
; %bb.76:
	v_add_u32_e32 v4, s37, v14
	v_add_u32_e32 v7, s39, v14
	v_mul_lo_u32 v4, v4, s36
	v_mul_lo_u32 v7, v7, s38
	s_mov_b64 s[8:9], 0
	v_sub_u32_e32 v4, v4, v7
	v_cmp_lt_u32_e32 vcc, s40, v4
	v_cmp_ge_u32_e64 s[2:3], s40, v4
	s_and_saveexec_b64 s[10:11], s[2:3]
	s_cbranch_execz .LBB1575_78
; %bb.77:
	v_add_u32_e32 v4, s42, v14
	v_add_u32_e32 v7, s58, v14
	v_mul_lo_u32 v4, v4, s41
	v_mul_lo_u32 v7, v7, s43
	v_sub_u32_e32 v4, v4, v7
	v_cmp_lt_u32_e64 s[2:3], s59, v4
	s_and_b64 s[8:9], s[2:3], exec
.LBB1575_78:
	s_or_b64 exec, exec, s[10:11]
	v_mov_b32_e32 v8, 8
	v_cndmask_b32_e64 v4, 0, 1, vcc
	s_movk_i32 s2, 0xff
	v_lshrrev_b32_sdwa v21, v8, v5 dst_sel:BYTE_1 dst_unused:UNUSED_PAD src0_sel:DWORD src1_sel:DWORD
	v_or_b32_sdwa v21, v5, v21 dst_sel:DWORD dst_unused:UNUSED_PAD src0_sel:BYTE_0 src1_sel:DWORD
	v_lshlrev_b16_e32 v4, 8, v4
	v_and_b32_sdwa v5, v5, s2 dst_sel:DWORD dst_unused:UNUSED_PAD src0_sel:WORD_1 src1_sel:DWORD
	v_or_b32_sdwa v4, v5, v4 dst_sel:WORD_1 dst_unused:UNUSED_PAD src0_sel:DWORD src1_sel:DWORD
	v_cndmask_b32_e64 v7, 0, 1, s[8:9]
	v_or_b32_sdwa v33, v21, v4 dst_sel:DWORD dst_unused:UNUSED_PAD src0_sel:WORD_0 src1_sel:DWORD
	v_lshlrev_b16_e32 v4, 8, v6
	v_and_b32_sdwa v5, v3, s2 dst_sel:DWORD dst_unused:UNUSED_PAD src0_sel:WORD_1 src1_sel:DWORD
	v_lshrrev_b32_sdwa v3, v8, v3 dst_sel:BYTE_1 dst_unused:UNUSED_PAD src0_sel:DWORD src1_sel:DWORD
	v_or_b32_sdwa v4, v5, v4 dst_sel:WORD_1 dst_unused:UNUSED_PAD src0_sel:DWORD src1_sel:DWORD
	v_or_b32_e32 v3, v7, v3
	v_or_b32_sdwa v4, v3, v4 dst_sel:DWORD dst_unused:UNUSED_PAD src0_sel:WORD_0 src1_sel:DWORD
.LBB1575_79:
	s_or_b64 exec, exec, s[4:5]
	v_add_u32_e32 v3, 8, v30
	v_cmp_le_u32_e32 vcc, s18, v3
	v_lshrrev_b32_e32 v6, 24, v4
	v_lshrrev_b32_e32 v7, 24, v2
                                        ; implicit-def: $vgpr5
                                        ; implicit-def: $vgpr3
	s_and_saveexec_b64 s[2:3], vcc
	s_xor_b64 s[2:3], exec, s[2:3]
	s_cbranch_execz .LBB1575_81
; %bb.80:
	s_movk_i32 s4, 0xff
	v_lshlrev_b16_e32 v3, 8, v7
	v_and_b32_sdwa v5, v2, s4 dst_sel:DWORD dst_unused:UNUSED_PAD src0_sel:WORD_1 src1_sel:DWORD
	v_or_b32_sdwa v3, v5, v3 dst_sel:WORD_1 dst_unused:UNUSED_PAD src0_sel:DWORD src1_sel:DWORD
	v_mov_b32_e32 v5, 8
	v_lshrrev_b32_sdwa v3, v5, v2 dst_sel:BYTE_1 dst_unused:UNUSED_PRESERVE src0_sel:DWORD src1_sel:DWORD
	v_lshlrev_b16_e32 v2, 8, v6
	v_and_b32_sdwa v5, v4, s4 dst_sel:DWORD dst_unused:UNUSED_PAD src0_sel:WORD_1 src1_sel:DWORD
	s_mov_b32 s5, 0x3060504
	v_or_b32_e32 v2, v5, v2
	s_mov_b32 s4, 0x5040c00
	v_perm_b32 v1, v1, v1, s5
	v_perm_b32 v5, v2, v4, s4
                                        ; implicit-def: $vgpr7
                                        ; implicit-def: $vgpr2
                                        ; implicit-def: $vgpr4
                                        ; implicit-def: $vgpr6
.LBB1575_81:
	s_andn2_saveexec_b64 s[4:5], s[2:3]
	s_cbranch_execz .LBB1575_85
; %bb.82:
	v_add_u32_e32 v3, s37, v11
	v_add_u32_e32 v5, s39, v11
	v_mul_lo_u32 v3, v3, s36
	v_mul_lo_u32 v5, v5, s38
	s_mov_b64 s[8:9], 0
	v_sub_u32_e32 v3, v3, v5
	v_cmp_lt_u32_e32 vcc, s40, v3
	v_cmp_ge_u32_e64 s[2:3], s40, v3
	s_and_saveexec_b64 s[10:11], s[2:3]
	s_cbranch_execz .LBB1575_84
; %bb.83:
	v_add_u32_e32 v3, s42, v11
	v_add_u32_e32 v5, s58, v11
	v_mul_lo_u32 v3, v3, s41
	v_mul_lo_u32 v5, v5, s43
	v_sub_u32_e32 v3, v3, v5
	v_cmp_lt_u32_e64 s[2:3], s59, v3
	s_and_b64 s[8:9], s[2:3], exec
.LBB1575_84:
	s_or_b64 exec, exec, s[10:11]
	s_movk_i32 s2, 0xff
	v_lshlrev_b16_e32 v7, 8, v7
	v_and_b32_sdwa v8, v2, s2 dst_sel:DWORD dst_unused:UNUSED_PAD src0_sel:WORD_1 src1_sel:DWORD
	v_or_b32_sdwa v7, v8, v7 dst_sel:WORD_1 dst_unused:UNUSED_PAD src0_sel:DWORD src1_sel:DWORD
	v_mov_b32_e32 v8, 8
	v_cndmask_b32_e64 v3, 0, 1, vcc
	v_lshrrev_b32_sdwa v2, v8, v2 dst_sel:BYTE_1 dst_unused:UNUSED_PAD src0_sel:DWORD src1_sel:DWORD
	v_cndmask_b32_e64 v5, 0, 1, s[8:9]
	v_or_b32_e32 v2, v3, v2
	v_or_b32_sdwa v3, v2, v7 dst_sel:DWORD dst_unused:UNUSED_PAD src0_sel:WORD_0 src1_sel:DWORD
	v_lshlrev_b16_e32 v2, 8, v5
	v_or_b32_sdwa v2, v4, v2 dst_sel:DWORD dst_unused:UNUSED_PAD src0_sel:BYTE_0 src1_sel:DWORD
	v_lshlrev_b16_e32 v5, 8, v6
	v_and_b32_sdwa v4, v4, s2 dst_sel:DWORD dst_unused:UNUSED_PAD src0_sel:WORD_1 src1_sel:DWORD
	v_or_b32_sdwa v4, v4, v5 dst_sel:WORD_1 dst_unused:UNUSED_PAD src0_sel:DWORD src1_sel:DWORD
	v_or_b32_sdwa v5, v2, v4 dst_sel:DWORD dst_unused:UNUSED_PAD src0_sel:WORD_0 src1_sel:DWORD
.LBB1575_85:
	s_or_b64 exec, exec, s[4:5]
	v_add_u32_e32 v2, 9, v30
	v_cmp_le_u32_e32 vcc, s18, v2
	v_lshrrev_b32_e32 v6, 24, v5
	v_lshrrev_b32_e32 v7, 24, v3
                                        ; implicit-def: $vgpr2
                                        ; implicit-def: $vgpr4
	s_and_saveexec_b64 s[2:3], vcc
	s_xor_b64 s[2:3], exec, s[2:3]
	s_cbranch_execz .LBB1575_87
; %bb.86:
	s_mov_b32 s4, 0x40c0100
	v_perm_b32 v2, v6, v5, s4
	v_mov_b32_e32 v4, 8
	s_movk_i32 s4, 0xff
	v_lshrrev_b32_sdwa v5, v4, v2 dst_sel:BYTE_1 dst_unused:UNUSED_PAD src0_sel:DWORD src1_sel:DWORD
	v_lshlrev_b16_e32 v4, 8, v7
	v_and_b32_sdwa v6, v3, s4 dst_sel:DWORD dst_unused:UNUSED_PAD src0_sel:WORD_1 src1_sel:DWORD
	v_or_b32_e32 v4, v6, v4
	s_mov_b32 s4, 0x5040c00
	v_perm_b32 v4, v4, v3, s4
	s_mov_b32 s4, 0x3060504
	v_or_b32_sdwa v3, v2, v5 dst_sel:DWORD dst_unused:UNUSED_PAD src0_sel:BYTE_0 src1_sel:DWORD
	v_perm_b32 v1, v1, v1, s4
	v_and_b32_e32 v3, 0xffff, v3
	s_mov_b32 s4, 0xff000000
	v_and_or_b32 v2, v2, s4, v3
                                        ; implicit-def: $vgpr3
                                        ; implicit-def: $vgpr7
                                        ; implicit-def: $vgpr5
                                        ; implicit-def: $vgpr6
.LBB1575_87:
	s_andn2_saveexec_b64 s[4:5], s[2:3]
	s_cbranch_execz .LBB1575_91
; %bb.88:
	v_add_u32_e32 v2, s37, v12
	v_add_u32_e32 v4, s39, v12
	v_mul_lo_u32 v2, v2, s36
	v_mul_lo_u32 v4, v4, s38
	s_mov_b64 s[8:9], 0
	v_sub_u32_e32 v2, v2, v4
	v_cmp_lt_u32_e32 vcc, s40, v2
	v_cmp_ge_u32_e64 s[2:3], s40, v2
	s_and_saveexec_b64 s[10:11], s[2:3]
	s_cbranch_execz .LBB1575_90
; %bb.89:
	v_add_u32_e32 v2, s42, v12
	v_add_u32_e32 v4, s58, v12
	v_mul_lo_u32 v2, v2, s41
	v_mul_lo_u32 v4, v4, s43
	v_sub_u32_e32 v2, v2, v4
	v_cmp_lt_u32_e64 s[2:3], s59, v2
	s_and_b64 s[8:9], s[2:3], exec
.LBB1575_90:
	s_or_b64 exec, exec, s[10:11]
	v_cndmask_b32_e64 v2, 0, 1, vcc
	v_lshlrev_b16_e32 v2, 8, v2
	s_movk_i32 s2, 0xff
	v_or_b32_sdwa v2, v3, v2 dst_sel:DWORD dst_unused:UNUSED_PAD src0_sel:BYTE_0 src1_sel:DWORD
	v_lshlrev_b16_e32 v4, 8, v7
	v_and_b32_sdwa v3, v3, s2 dst_sel:DWORD dst_unused:UNUSED_PAD src0_sel:WORD_1 src1_sel:DWORD
	v_or_b32_sdwa v3, v3, v4 dst_sel:WORD_1 dst_unused:UNUSED_PAD src0_sel:DWORD src1_sel:DWORD
	v_or_b32_sdwa v4, v2, v3 dst_sel:DWORD dst_unused:UNUSED_PAD src0_sel:WORD_0 src1_sel:DWORD
	v_mov_b32_e32 v2, 8
	v_cndmask_b32_e64 v8, 0, 1, s[8:9]
	v_lshrrev_b32_sdwa v2, v2, v5 dst_sel:BYTE_1 dst_unused:UNUSED_PAD src0_sel:DWORD src1_sel:DWORD
	v_lshlrev_b16_e32 v3, 8, v6
	v_or_b32_sdwa v2, v5, v2 dst_sel:DWORD dst_unused:UNUSED_PAD src0_sel:BYTE_0 src1_sel:DWORD
	v_or_b32_sdwa v3, v8, v3 dst_sel:WORD_1 dst_unused:UNUSED_PAD src0_sel:DWORD src1_sel:DWORD
	v_or_b32_sdwa v2, v2, v3 dst_sel:DWORD dst_unused:UNUSED_PAD src0_sel:WORD_0 src1_sel:DWORD
.LBB1575_91:
	s_or_b64 exec, exec, s[4:5]
	v_add_u32_e32 v3, 10, v30
	v_cmp_le_u32_e32 vcc, s18, v3
	v_lshrrev_b32_e32 v5, 24, v4
                                        ; implicit-def: $vgpr34
                                        ; implicit-def: $vgpr3
	s_and_saveexec_b64 s[2:3], vcc
	s_xor_b64 s[2:3], exec, s[2:3]
	s_cbranch_execz .LBB1575_93
; %bb.92:
	s_mov_b32 s4, 0x40c0100
	v_perm_b32 v3, v5, v4, s4
	v_mov_b32_e32 v4, 8
	v_lshrrev_b32_sdwa v4, v4, v3 dst_sel:BYTE_1 dst_unused:UNUSED_PAD src0_sel:DWORD src1_sel:DWORD
	v_or_b32_sdwa v4, v3, v4 dst_sel:DWORD dst_unused:UNUSED_PAD src0_sel:BYTE_0 src1_sel:DWORD
	v_and_b32_e32 v4, 0xffff, v4
	s_mov_b32 s4, 0xff000000
	v_and_or_b32 v3, v3, s4, v4
	s_mov_b32 s4, 0x3060504
	v_and_b32_e32 v6, 0xff0000, v2
	v_perm_b32 v1, v1, v1, s4
	s_mov_b32 s4, 0x3020504
	v_perm_b32 v34, v2, v6, s4
                                        ; implicit-def: $vgpr4
                                        ; implicit-def: $vgpr5
                                        ; implicit-def: $vgpr2
.LBB1575_93:
	s_andn2_saveexec_b64 s[4:5], s[2:3]
	s_cbranch_execz .LBB1575_97
; %bb.94:
	v_add_u32_e32 v3, s37, v9
	v_add_u32_e32 v6, s39, v9
	v_mul_lo_u32 v3, v3, s36
	v_mul_lo_u32 v6, v6, s38
	s_mov_b64 s[8:9], 0
	v_sub_u32_e32 v3, v3, v6
	v_cmp_lt_u32_e32 vcc, s40, v3
	v_cmp_ge_u32_e64 s[2:3], s40, v3
	s_and_saveexec_b64 s[10:11], s[2:3]
	s_cbranch_execz .LBB1575_96
; %bb.95:
	v_add_u32_e32 v3, s42, v9
	v_add_u32_e32 v6, s58, v9
	v_mul_lo_u32 v3, v3, s41
	v_mul_lo_u32 v6, v6, s43
	v_sub_u32_e32 v3, v3, v6
	v_cmp_lt_u32_e64 s[2:3], s59, v3
	s_and_b64 s[8:9], s[2:3], exec
.LBB1575_96:
	s_or_b64 exec, exec, s[10:11]
	v_mov_b32_e32 v7, 8
	v_cndmask_b32_e64 v3, 0, 1, vcc
	v_lshrrev_b32_sdwa v8, v7, v4 dst_sel:BYTE_1 dst_unused:UNUSED_PAD src0_sel:DWORD src1_sel:DWORD
	v_lshlrev_b16_e32 v5, 8, v5
	v_or_b32_sdwa v4, v4, v8 dst_sel:DWORD dst_unused:UNUSED_PAD src0_sel:BYTE_0 src1_sel:DWORD
	v_or_b32_sdwa v3, v3, v5 dst_sel:WORD_1 dst_unused:UNUSED_PAD src0_sel:DWORD src1_sel:DWORD
	v_cndmask_b32_e64 v6, 0, 1, s[8:9]
	s_movk_i32 s2, 0xff
	v_or_b32_sdwa v3, v4, v3 dst_sel:DWORD dst_unused:UNUSED_PAD src0_sel:WORD_0 src1_sel:DWORD
	v_lshrrev_b32_sdwa v4, v7, v2 dst_sel:BYTE_1 dst_unused:UNUSED_PAD src0_sel:DWORD src1_sel:DWORD
	v_or_b32_sdwa v4, v2, v4 dst_sel:DWORD dst_unused:UNUSED_PAD src0_sel:BYTE_0 src1_sel:DWORD
	v_lshlrev_b16_e32 v5, 8, v6
	v_and_b32_sdwa v2, v2, s2 dst_sel:DWORD dst_unused:UNUSED_PAD src0_sel:WORD_1 src1_sel:DWORD
	v_or_b32_sdwa v2, v2, v5 dst_sel:WORD_1 dst_unused:UNUSED_PAD src0_sel:DWORD src1_sel:DWORD
	v_or_b32_sdwa v34, v4, v2 dst_sel:DWORD dst_unused:UNUSED_PAD src0_sel:WORD_0 src1_sel:DWORD
.LBB1575_97:
	s_or_b64 exec, exec, s[4:5]
	v_add_u32_e32 v2, 11, v30
	v_mov_b32_e32 v35, 0
	v_cmp_le_u32_e32 vcc, s18, v2
                                        ; implicit-def: $vgpr36
	s_and_saveexec_b64 s[2:3], vcc
	s_xor_b64 s[2:3], exec, s[2:3]
; %bb.98:
	v_and_b32_e32 v2, 0xff0000, v3
	s_mov_b32 s4, 0x3020504
	v_perm_b32 v36, v3, v2, s4
	s_mov_b32 s4, 0x3060504
	v_perm_b32 v1, v1, v1, s4
                                        ; implicit-def: $vgpr3
; %bb.99:
	s_andn2_saveexec_b64 s[4:5], s[2:3]
	s_cbranch_execz .LBB1575_103
; %bb.100:
	v_add_u32_e32 v2, s37, v10
	v_add_u32_e32 v4, s39, v10
	v_mul_lo_u32 v2, v2, s36
	v_mul_lo_u32 v4, v4, s38
	s_mov_b64 s[8:9], 0
	v_sub_u32_e32 v2, v2, v4
	v_cmp_lt_u32_e32 vcc, s40, v2
	v_cmp_ge_u32_e64 s[2:3], s40, v2
	s_and_saveexec_b64 s[10:11], s[2:3]
	s_cbranch_execz .LBB1575_102
; %bb.101:
	v_add_u32_e32 v2, s42, v10
	v_add_u32_e32 v4, s58, v10
	v_mul_lo_u32 v2, v2, s41
	v_mul_lo_u32 v4, v4, s43
	v_sub_u32_e32 v2, v2, v4
	v_cmp_lt_u32_e64 s[2:3], s59, v2
	s_and_b64 s[8:9], s[2:3], exec
.LBB1575_102:
	s_or_b64 exec, exec, s[10:11]
	v_mov_b32_e32 v4, 8
	v_cndmask_b32_e64 v2, 0, 1, vcc
	s_movk_i32 s2, 0xff
	v_lshrrev_b32_sdwa v4, v4, v3 dst_sel:BYTE_1 dst_unused:UNUSED_PAD src0_sel:DWORD src1_sel:DWORD
	v_or_b32_sdwa v4, v3, v4 dst_sel:DWORD dst_unused:UNUSED_PAD src0_sel:BYTE_0 src1_sel:DWORD
	v_lshlrev_b16_e32 v2, 8, v2
	v_and_b32_sdwa v3, v3, s2 dst_sel:DWORD dst_unused:UNUSED_PAD src0_sel:WORD_1 src1_sel:DWORD
	v_or_b32_sdwa v2, v3, v2 dst_sel:WORD_1 dst_unused:UNUSED_PAD src0_sel:DWORD src1_sel:DWORD
	v_cndmask_b32_e64 v35, 0, 1, s[8:9]
	v_or_b32_sdwa v36, v4, v2 dst_sel:DWORD dst_unused:UNUSED_PAD src0_sel:WORD_0 src1_sel:DWORD
.LBB1575_103:
	s_or_b64 exec, exec, s[4:5]
	v_add_u32_e32 v2, 12, v30
	v_cmp_le_u32_e32 vcc, s18, v2
	v_lshrrev_b32_e32 v2, 24, v1
                                        ; implicit-def: $vgpr37
	s_and_saveexec_b64 s[2:3], vcc
	s_xor_b64 s[2:3], exec, s[2:3]
; %bb.104:
	s_movk_i32 s4, 0xff
	v_lshlrev_b16_e32 v2, 8, v2
	v_and_b32_sdwa v4, v1, s4 dst_sel:DWORD dst_unused:UNUSED_PAD src0_sel:WORD_1 src1_sel:DWORD
	v_mov_b32_e32 v3, 8
	v_or_b32_sdwa v37, v4, v2 dst_sel:WORD_1 dst_unused:UNUSED_PAD src0_sel:DWORD src1_sel:DWORD
	v_lshrrev_b32_sdwa v37, v3, v1 dst_sel:BYTE_1 dst_unused:UNUSED_PRESERVE src0_sel:DWORD src1_sel:DWORD
                                        ; implicit-def: $vgpr2
                                        ; implicit-def: $vgpr1
; %bb.105:
	s_or_saveexec_b64 s[4:5], s[2:3]
	v_mov_b32_e32 v38, 0
	s_xor_b64 exec, exec, s[4:5]
	s_cbranch_execz .LBB1575_109
; %bb.106:
	v_add_u32_e32 v3, s37, v29
	v_add_u32_e32 v4, s39, v29
	v_mul_lo_u32 v3, v3, s36
	v_mul_lo_u32 v4, v4, s38
	s_mov_b64 s[8:9], 0
	v_sub_u32_e32 v3, v3, v4
	v_cmp_lt_u32_e32 vcc, s40, v3
	v_cmp_ge_u32_e64 s[2:3], s40, v3
	s_and_saveexec_b64 s[10:11], s[2:3]
	s_cbranch_execz .LBB1575_108
; %bb.107:
	v_add_u32_e32 v3, s42, v29
	v_add_u32_e32 v4, s58, v29
	v_mul_lo_u32 v3, v3, s41
	v_mul_lo_u32 v4, v4, s43
	v_sub_u32_e32 v3, v3, v4
	v_cmp_lt_u32_e64 s[2:3], s59, v3
	s_and_b64 s[8:9], s[2:3], exec
.LBB1575_108:
	s_or_b64 exec, exec, s[10:11]
	s_movk_i32 s2, 0xff
	v_lshlrev_b16_e32 v2, 8, v2
	v_and_b32_sdwa v4, v1, s2 dst_sel:DWORD dst_unused:UNUSED_PAD src0_sel:WORD_1 src1_sel:DWORD
	v_or_b32_sdwa v2, v4, v2 dst_sel:WORD_1 dst_unused:UNUSED_PAD src0_sel:DWORD src1_sel:DWORD
	v_mov_b32_e32 v4, 8
	v_cndmask_b32_e64 v3, 0, 1, vcc
	v_lshrrev_b32_sdwa v1, v4, v1 dst_sel:BYTE_1 dst_unused:UNUSED_PAD src0_sel:DWORD src1_sel:DWORD
	v_or_b32_e32 v1, v3, v1
	v_cndmask_b32_e64 v38, 0, 1, s[8:9]
	v_or_b32_sdwa v37, v1, v2 dst_sel:DWORD dst_unused:UNUSED_PAD src0_sel:WORD_0 src1_sel:DWORD
.LBB1575_109:
	s_or_b64 exec, exec, s[4:5]
.LBB1575_110:
	v_and_b32_e32 v48, 0xff, v31
	v_bfe_u32 v45, v31, 8, 8
	v_bfe_u32 v50, v31, 16, 8
	v_lshrrev_b32_e32 v43, 24, v31
	v_and_b32_e32 v51, 0xff, v33
	v_add3_u32 v4, v45, v48, v50
	v_bfe_u32 v46, v33, 8, 8
	v_bfe_u32 v53, v33, 16, 8
	v_add3_u32 v4, v4, v43, v51
	v_bfe_u32 v49, v37, 8, 8
	v_bfe_u32 v57, v37, 16, 8
	v_lshrrev_b32_e32 v44, 24, v37
	v_lshrrev_b32_e32 v41, 24, v33
	v_and_b32_e32 v54, 0xff, v36
	v_add3_u32 v4, v4, v46, v53
	v_and_b32_e32 v58, 0xff, v32
	v_bfe_u32 v52, v32, 8, 8
	v_bfe_u32 v47, v36, 8, 8
	;; [unrolled: 1-line block ×3, first 2 shown]
	v_add3_u32 v3, v57, v49, v44
	v_add3_u32 v4, v4, v41, v54
	v_bfe_u32 v59, v32, 16, 8
	v_lshrrev_b32_e32 v42, 24, v32
	v_lshrrev_b32_e32 v39, 24, v36
	v_and_b32_e32 v1, 0xff, v37
	v_add3_u32 v3, v3, v58, v52
	v_add3_u32 v4, v4, v47, v56
	v_and_b32_e32 v60, 0xff, v34
	v_bfe_u32 v55, v34, 8, 8
	v_add3_u32 v3, v3, v59, v42
	v_add3_u32 v68, v4, v39, v1
	v_mbcnt_lo_u32_b32 v1, -1, 0
	v_bfe_u32 v61, v34, 16, 8
	v_lshrrev_b32_e32 v40, 24, v34
	v_add3_u32 v3, v3, v60, v55
	v_mbcnt_hi_u32_b32 v63, -1, v1
	v_and_b32_e32 v62, 0xff, v35
	v_and_b32_e32 v2, 0xff, v38
	v_add3_u32 v3, v3, v61, v40
	v_and_b32_e32 v67, 15, v63
	s_cmp_lg_u32 s6, 0
	v_add3_u32 v69, v3, v62, v2
	v_cmp_eq_u32_e64 s[4:5], 0, v67
	v_cmp_lt_u32_e64 s[2:3], 1, v67
	v_cmp_lt_u32_e64 s[8:9], 3, v67
	;; [unrolled: 1-line block ×3, first 2 shown]
	v_and_b32_e32 v66, 16, v63
	v_cmp_lt_u32_e32 vcc, 31, v63
	v_lshrrev_b32_e32 v64, 6, v0
	v_or_b32_e32 v65, 63, v0
	s_cbranch_scc0 .LBB1575_132
; %bb.111:
	v_mov_b32_dpp v1, v68 row_shr:1 row_mask:0xf bank_mask:0xf
	v_mov_b32_dpp v2, v69 row_shr:1 row_mask:0xf bank_mask:0xf
	v_add_u32_e32 v1, v1, v68
	v_add_u32_e32 v2, v2, v69
	v_cndmask_b32_e64 v2, v2, v69, s[4:5]
	v_cndmask_b32_e64 v1, v1, v68, s[4:5]
	s_nop 0
	v_mov_b32_dpp v4, v2 row_shr:2 row_mask:0xf bank_mask:0xf
	v_mov_b32_dpp v3, v1 row_shr:2 row_mask:0xf bank_mask:0xf
	v_add_u32_e32 v3, v1, v3
	v_add_u32_e32 v4, v2, v4
	v_cndmask_b32_e64 v2, v2, v4, s[2:3]
	v_cndmask_b32_e64 v1, v1, v3, s[2:3]
	s_nop 0
	v_mov_b32_dpp v4, v2 row_shr:4 row_mask:0xf bank_mask:0xf
	v_mov_b32_dpp v3, v1 row_shr:4 row_mask:0xf bank_mask:0xf
	v_add_u32_e32 v3, v1, v3
	v_add_u32_e32 v4, v2, v4
	v_cndmask_b32_e64 v2, v2, v4, s[8:9]
	v_cndmask_b32_e64 v1, v1, v3, s[8:9]
	v_cmp_eq_u32_e64 s[8:9], 0, v66
	v_mov_b32_dpp v4, v2 row_shr:8 row_mask:0xf bank_mask:0xf
	v_mov_b32_dpp v3, v1 row_shr:8 row_mask:0xf bank_mask:0xf
	v_add_u32_e32 v3, v1, v3
	v_add_u32_e32 v4, v2, v4
	v_cndmask_b32_e64 v2, v2, v4, s[10:11]
	v_cndmask_b32_e64 v3, v1, v3, s[10:11]
	s_nop 0
	v_mov_b32_dpp v4, v2 row_bcast:15 row_mask:0xf bank_mask:0xf
	v_mov_b32_dpp v1, v3 row_bcast:15 row_mask:0xf bank_mask:0xf
	v_add_u32_e32 v5, v3, v1
	v_add_u32_e32 v1, v2, v4
	v_cndmask_b32_e64 v1, v1, v2, s[8:9]
	v_cndmask_b32_e64 v2, v5, v3, s[8:9]
	v_cmp_eq_u32_e64 s[8:9], v0, v65
	v_mov_b32_dpp v3, v1 row_bcast:31 row_mask:0xf bank_mask:0xf
	v_mov_b32_dpp v4, v2 row_bcast:31 row_mask:0xf bank_mask:0xf
	v_add_u32_e32 v3, v1, v3
	v_add_u32_e32 v4, v2, v4
	s_and_saveexec_b64 s[10:11], s[8:9]
; %bb.112:
	v_lshlrev_b32_e32 v7, 3, v64
	v_cndmask_b32_e32 v6, v1, v3, vcc
	v_cndmask_b32_e32 v5, v2, v4, vcc
	ds_write_b64 v7, v[5:6]
; %bb.113:
	s_or_b64 exec, exec, s[10:11]
	v_cmp_gt_u32_e64 s[8:9], 4, v0
	s_waitcnt lgkmcnt(0)
	s_barrier
	s_and_saveexec_b64 s[10:11], s[8:9]
	s_cbranch_execz .LBB1575_115
; %bb.114:
	v_lshlrev_b32_e32 v7, 3, v0
	ds_read_b64 v[5:6], v7
	v_and_b32_e32 v8, 3, v63
	v_cmp_eq_u32_e64 s[8:9], 0, v8
	s_waitcnt lgkmcnt(0)
	v_mov_b32_dpp v21, v5 row_shr:1 row_mask:0xf bank_mask:0xf
	v_mov_b32_dpp v22, v6 row_shr:1 row_mask:0xf bank_mask:0xf
	v_add_u32_e32 v21, v21, v5
	v_add_u32_e32 v22, v22, v6
	v_cndmask_b32_e64 v6, v22, v6, s[8:9]
	v_cndmask_b32_e64 v5, v21, v5, s[8:9]
	v_cmp_lt_u32_e64 s[8:9], 1, v8
	v_mov_b32_dpp v22, v6 row_shr:2 row_mask:0xf bank_mask:0xf
	v_mov_b32_dpp v21, v5 row_shr:2 row_mask:0xf bank_mask:0xf
	v_cndmask_b32_e64 v8, 0, v21, s[8:9]
	v_cndmask_b32_e64 v21, 0, v22, s[8:9]
	v_add_u32_e32 v6, v21, v6
	v_add_u32_e32 v5, v8, v5
	ds_write_b64 v7, v[5:6]
.LBB1575_115:
	s_or_b64 exec, exec, s[10:11]
	v_cndmask_b32_e32 v1, v1, v3, vcc
	v_cndmask_b32_e32 v2, v2, v4, vcc
	v_cmp_gt_u32_e32 vcc, 64, v0
	v_cmp_lt_u32_e64 s[8:9], 63, v0
	s_waitcnt lgkmcnt(0)
	s_barrier
                                        ; implicit-def: $vgpr21
	s_and_saveexec_b64 s[10:11], s[8:9]
	s_cbranch_execz .LBB1575_117
; %bb.116:
	v_lshl_add_u32 v3, v64, 3, -8
	ds_read_b64 v[21:22], v3
	s_waitcnt lgkmcnt(0)
	v_add_u32_e32 v1, v22, v1
	v_add_u32_e32 v2, v21, v2
.LBB1575_117:
	s_or_b64 exec, exec, s[10:11]
	v_subrev_co_u32_e64 v3, s[8:9], 1, v63
	v_and_b32_e32 v4, 64, v63
	v_cmp_lt_i32_e64 s[10:11], v3, v4
	v_cndmask_b32_e64 v3, v3, v63, s[10:11]
	v_lshlrev_b32_e32 v3, 2, v3
	ds_bpermute_b32 v70, v3, v2
	ds_bpermute_b32 v71, v3, v1
	s_and_saveexec_b64 s[10:11], vcc
	s_cbranch_execz .LBB1575_137
; %bb.118:
	v_mov_b32_e32 v4, 0
	ds_read_b64 v[1:2], v4 offset:24
	s_and_saveexec_b64 s[14:15], s[8:9]
	s_cbranch_execz .LBB1575_120
; %bb.119:
	s_add_i32 s16, s6, 64
	s_mov_b32 s17, 0
	s_lshl_b64 s[16:17], s[16:17], 4
	s_add_u32 s16, s12, s16
	s_addc_u32 s17, s13, s17
	v_mov_b32_e32 v5, s16
	v_mov_b32_e32 v3, 1
	;; [unrolled: 1-line block ×3, first 2 shown]
	s_waitcnt lgkmcnt(0)
	;;#ASMSTART
	global_store_dwordx4 v[5:6], v[1:4] off	
s_waitcnt vmcnt(0)
	;;#ASMEND
.LBB1575_120:
	s_or_b64 exec, exec, s[14:15]
	v_xad_u32 v23, v63, -1, s6
	v_add_u32_e32 v3, 64, v23
	v_lshlrev_b64 v[5:6], 4, v[3:4]
	v_mov_b32_e32 v3, s13
	v_add_co_u32_e32 v24, vcc, s12, v5
	v_addc_co_u32_e32 v25, vcc, v3, v6, vcc
	;;#ASMSTART
	global_load_dwordx4 v[5:8], v[24:25] off glc	
s_waitcnt vmcnt(0)
	;;#ASMEND
	v_cmp_eq_u16_sdwa s[16:17], v7, v4 src0_sel:BYTE_0 src1_sel:DWORD
	s_and_saveexec_b64 s[14:15], s[16:17]
	s_cbranch_execz .LBB1575_124
; %bb.121:
	s_mov_b64 s[16:17], 0
	v_mov_b32_e32 v3, 0
.LBB1575_122:                           ; =>This Inner Loop Header: Depth=1
	;;#ASMSTART
	global_load_dwordx4 v[5:8], v[24:25] off glc	
s_waitcnt vmcnt(0)
	;;#ASMEND
	v_cmp_ne_u16_sdwa s[20:21], v7, v3 src0_sel:BYTE_0 src1_sel:DWORD
	s_or_b64 s[16:17], s[20:21], s[16:17]
	s_andn2_b64 exec, exec, s[16:17]
	s_cbranch_execnz .LBB1575_122
; %bb.123:
	s_or_b64 exec, exec, s[16:17]
.LBB1575_124:
	s_or_b64 exec, exec, s[14:15]
	v_and_b32_e32 v73, 63, v63
	v_cmp_ne_u32_e32 vcc, 63, v73
	v_mov_b32_e32 v72, 2
	v_lshlrev_b64 v[25:26], v63, -1
	v_addc_co_u32_e32 v8, vcc, 0, v63, vcc
	v_cmp_eq_u16_sdwa s[14:15], v7, v72 src0_sel:BYTE_0 src1_sel:DWORD
	v_lshlrev_b32_e32 v74, 2, v8
	v_and_b32_e32 v3, s15, v26
	ds_bpermute_b32 v8, v74, v5
	ds_bpermute_b32 v24, v74, v6
	v_or_b32_e32 v3, 0x80000000, v3
	v_and_b32_e32 v4, s14, v25
	v_ffbl_b32_e32 v3, v3
	v_add_u32_e32 v3, 32, v3
	v_ffbl_b32_e32 v4, v4
	v_min_u32_e32 v3, v4, v3
	s_waitcnt lgkmcnt(1)
	v_add_u32_e32 v4, v8, v5
	s_waitcnt lgkmcnt(0)
	v_add_u32_e32 v8, v24, v6
	v_cmp_lt_u32_e32 vcc, v73, v3
	v_cndmask_b32_e32 v6, v6, v8, vcc
	v_cndmask_b32_e32 v4, v5, v4, vcc
	v_cmp_gt_u32_e32 vcc, 62, v73
	v_cndmask_b32_e64 v5, 0, 2, vcc
	v_add_lshl_u32 v75, v5, v63, 2
	ds_bpermute_b32 v5, v75, v4
	ds_bpermute_b32 v8, v75, v6
	v_add_u32_e32 v76, 2, v73
	v_cmp_gt_u32_e32 vcc, v76, v3
	v_add_u32_e32 v78, 4, v73
	s_waitcnt lgkmcnt(1)
	v_add_u32_e32 v5, v4, v5
	s_waitcnt lgkmcnt(0)
	v_add_u32_e32 v8, v6, v8
	v_cndmask_b32_e32 v6, v8, v6, vcc
	v_cndmask_b32_e32 v4, v5, v4, vcc
	v_cmp_gt_u32_e32 vcc, 60, v73
	v_cndmask_b32_e64 v5, 0, 4, vcc
	v_add_lshl_u32 v77, v5, v63, 2
	ds_bpermute_b32 v5, v77, v4
	ds_bpermute_b32 v8, v77, v6
	v_cmp_gt_u32_e32 vcc, v78, v3
	v_add_u32_e32 v80, 8, v73
	v_add_u32_e32 v82, 16, v73
	s_waitcnt lgkmcnt(1)
	v_add_u32_e32 v5, v4, v5
	s_waitcnt lgkmcnt(0)
	v_add_u32_e32 v8, v6, v8
	v_cndmask_b32_e32 v6, v8, v6, vcc
	v_cndmask_b32_e32 v4, v5, v4, vcc
	v_cmp_gt_u32_e32 vcc, 56, v73
	v_cndmask_b32_e64 v5, 0, 8, vcc
	v_add_lshl_u32 v79, v5, v63, 2
	ds_bpermute_b32 v5, v79, v4
	ds_bpermute_b32 v8, v79, v6
	v_cmp_gt_u32_e32 vcc, v80, v3
	v_add_u32_e32 v84, 32, v73
	v_mov_b32_e32 v24, 0
	s_waitcnt lgkmcnt(1)
	v_add_u32_e32 v5, v4, v5
	s_waitcnt lgkmcnt(0)
	v_add_u32_e32 v8, v6, v8
	v_cndmask_b32_e32 v6, v8, v6, vcc
	v_cndmask_b32_e32 v4, v5, v4, vcc
	v_cmp_gt_u32_e32 vcc, 48, v73
	v_cndmask_b32_e64 v5, 0, 16, vcc
	v_add_lshl_u32 v81, v5, v63, 2
	ds_bpermute_b32 v5, v81, v4
	ds_bpermute_b32 v8, v81, v6
	v_cmp_gt_u32_e32 vcc, v82, v3
	s_waitcnt lgkmcnt(1)
	v_add_u32_e32 v5, v4, v5
	s_waitcnt lgkmcnt(0)
	v_add_u32_e32 v8, v6, v8
	v_cndmask_b32_e32 v4, v5, v4, vcc
	v_mov_b32_e32 v5, 0x80
	v_cndmask_b32_e32 v6, v8, v6, vcc
	v_lshl_or_b32 v83, v63, 2, v5
	ds_bpermute_b32 v5, v83, v4
	ds_bpermute_b32 v8, v83, v6
	v_cmp_le_u32_e32 vcc, v84, v3
	s_waitcnt lgkmcnt(1)
	v_cndmask_b32_e32 v3, 0, v5, vcc
	s_waitcnt lgkmcnt(0)
	v_cndmask_b32_e32 v5, 0, v8, vcc
	v_add_u32_e32 v6, v6, v5
	v_add_u32_e32 v5, v4, v3
	s_branch .LBB1575_128
.LBB1575_125:                           ;   in Loop: Header=BB1575_128 Depth=1
	s_or_b64 exec, exec, s[16:17]
.LBB1575_126:                           ;   in Loop: Header=BB1575_128 Depth=1
	s_or_b64 exec, exec, s[14:15]
	v_cmp_eq_u16_sdwa s[14:15], v7, v72 src0_sel:BYTE_0 src1_sel:DWORD
	v_and_b32_e32 v8, s15, v26
	ds_bpermute_b32 v28, v74, v5
	ds_bpermute_b32 v85, v74, v6
	v_or_b32_e32 v8, 0x80000000, v8
	v_and_b32_e32 v27, s14, v25
	v_ffbl_b32_e32 v8, v8
	v_add_u32_e32 v8, 32, v8
	v_ffbl_b32_e32 v27, v27
	v_min_u32_e32 v8, v27, v8
	s_waitcnt lgkmcnt(1)
	v_add_u32_e32 v27, v28, v5
	s_waitcnt lgkmcnt(0)
	v_add_u32_e32 v28, v85, v6
	v_cmp_lt_u32_e32 vcc, v73, v8
	v_cndmask_b32_e32 v6, v6, v28, vcc
	v_cndmask_b32_e32 v5, v5, v27, vcc
	ds_bpermute_b32 v27, v75, v5
	ds_bpermute_b32 v28, v75, v6
	v_cmp_gt_u32_e32 vcc, v76, v8
	v_subrev_u32_e32 v23, 64, v23
	s_mov_b64 s[14:15], 0
	s_waitcnt lgkmcnt(1)
	v_add_u32_e32 v27, v5, v27
	s_waitcnt lgkmcnt(0)
	v_add_u32_e32 v28, v6, v28
	v_cndmask_b32_e32 v6, v28, v6, vcc
	v_cndmask_b32_e32 v5, v27, v5, vcc
	ds_bpermute_b32 v27, v77, v5
	ds_bpermute_b32 v28, v77, v6
	v_cmp_gt_u32_e32 vcc, v78, v8
	s_waitcnt lgkmcnt(1)
	v_add_u32_e32 v27, v5, v27
	s_waitcnt lgkmcnt(0)
	v_add_u32_e32 v28, v6, v28
	v_cndmask_b32_e32 v6, v28, v6, vcc
	v_cndmask_b32_e32 v5, v27, v5, vcc
	ds_bpermute_b32 v27, v79, v5
	ds_bpermute_b32 v28, v79, v6
	v_cmp_gt_u32_e32 vcc, v80, v8
	;; [unrolled: 9-line block ×3, first 2 shown]
	s_waitcnt lgkmcnt(1)
	v_add_u32_e32 v27, v5, v27
	s_waitcnt lgkmcnt(0)
	v_add_u32_e32 v28, v6, v28
	v_cndmask_b32_e32 v6, v28, v6, vcc
	v_cndmask_b32_e32 v5, v27, v5, vcc
	ds_bpermute_b32 v27, v83, v5
	ds_bpermute_b32 v28, v83, v6
	v_cmp_le_u32_e32 vcc, v84, v8
	s_waitcnt lgkmcnt(1)
	v_cndmask_b32_e32 v8, 0, v27, vcc
	s_waitcnt lgkmcnt(0)
	v_cndmask_b32_e32 v27, 0, v28, vcc
	v_add3_u32 v6, v27, v4, v6
	v_add3_u32 v5, v8, v3, v5
.LBB1575_127:                           ;   in Loop: Header=BB1575_128 Depth=1
	s_and_b64 vcc, exec, s[14:15]
	s_cbranch_vccnz .LBB1575_133
.LBB1575_128:                           ; =>This Loop Header: Depth=1
                                        ;     Child Loop BB1575_131 Depth 2
	v_mov_b32_e32 v3, v5
	v_cmp_ne_u16_sdwa s[14:15], v7, v72 src0_sel:BYTE_0 src1_sel:DWORD
	v_mov_b32_e32 v4, v6
	s_cmp_lg_u64 s[14:15], exec
	s_mov_b64 s[14:15], -1
                                        ; implicit-def: $vgpr7
                                        ; implicit-def: $vgpr5_vgpr6
	s_cbranch_scc1 .LBB1575_127
; %bb.129:                              ;   in Loop: Header=BB1575_128 Depth=1
	v_lshlrev_b64 v[5:6], 4, v[23:24]
	v_mov_b32_e32 v7, s13
	v_add_co_u32_e32 v27, vcc, s12, v5
	v_addc_co_u32_e32 v28, vcc, v7, v6, vcc
	;;#ASMSTART
	global_load_dwordx4 v[5:8], v[27:28] off glc	
s_waitcnt vmcnt(0)
	;;#ASMEND
	v_cmp_eq_u16_sdwa s[16:17], v7, v24 src0_sel:BYTE_0 src1_sel:DWORD
	s_and_saveexec_b64 s[14:15], s[16:17]
	s_cbranch_execz .LBB1575_126
; %bb.130:                              ;   in Loop: Header=BB1575_128 Depth=1
	s_mov_b64 s[16:17], 0
.LBB1575_131:                           ;   Parent Loop BB1575_128 Depth=1
                                        ; =>  This Inner Loop Header: Depth=2
	;;#ASMSTART
	global_load_dwordx4 v[5:8], v[27:28] off glc	
s_waitcnt vmcnt(0)
	;;#ASMEND
	v_cmp_ne_u16_sdwa s[20:21], v7, v24 src0_sel:BYTE_0 src1_sel:DWORD
	s_or_b64 s[16:17], s[20:21], s[16:17]
	s_andn2_b64 exec, exec, s[16:17]
	s_cbranch_execnz .LBB1575_131
	s_branch .LBB1575_125
.LBB1575_132:
                                        ; implicit-def: $vgpr22
                                        ; implicit-def: $vgpr3
                                        ; implicit-def: $vgpr23
	s_cbranch_execnz .LBB1575_138
	s_branch .LBB1575_147
.LBB1575_133:
	s_and_saveexec_b64 s[14:15], s[8:9]
	s_cbranch_execnz .LBB1575_375
; %bb.134:
	s_or_b64 exec, exec, s[14:15]
	s_and_saveexec_b64 s[6:7], s[8:9]
	s_cbranch_execnz .LBB1575_376
.LBB1575_135:
	s_or_b64 exec, exec, s[6:7]
	v_cmp_eq_u32_e32 vcc, 0, v0
	s_and_b64 exec, exec, vcc
.LBB1575_136:
	v_mov_b32_e32 v1, 0
	ds_write_b64 v1, v[3:4] offset:24
.LBB1575_137:
	s_or_b64 exec, exec, s[10:11]
	v_mov_b32_e32 v1, 0
	s_waitcnt lgkmcnt(0)
	s_barrier
	ds_read_b64 v[5:6], v1 offset:24
	v_cndmask_b32_e64 v2, v71, v22, s[8:9]
	v_cndmask_b32_e64 v3, v70, v21, s[8:9]
	s_waitcnt lgkmcnt(0)
	s_barrier
	v_add_u32_e32 v7, v5, v3
	v_add_u32_e32 v8, v6, v2
	ds_read_b128 v[1:4], v1 offset:13312
	v_cmp_eq_u32_e32 vcc, 0, v0
	v_cndmask_b32_e32 v22, v8, v6, vcc
	v_cndmask_b32_e32 v23, v7, v5, vcc
	s_branch .LBB1575_147
.LBB1575_138:
	s_waitcnt lgkmcnt(0)
	v_mov_b32_dpp v1, v68 row_shr:1 row_mask:0xf bank_mask:0xf
	v_mov_b32_dpp v2, v69 row_shr:1 row_mask:0xf bank_mask:0xf
	v_add_u32_e32 v1, v1, v68
	v_add_u32_e32 v2, v2, v69
	v_cndmask_b32_e64 v2, v2, v69, s[4:5]
	v_cndmask_b32_e64 v1, v1, v68, s[4:5]
	v_cmp_lt_u32_e32 vcc, 3, v67
	v_mov_b32_dpp v4, v2 row_shr:2 row_mask:0xf bank_mask:0xf
	v_mov_b32_dpp v3, v1 row_shr:2 row_mask:0xf bank_mask:0xf
	v_add_u32_e32 v3, v1, v3
	v_add_u32_e32 v4, v2, v4
	v_cndmask_b32_e64 v2, v2, v4, s[2:3]
	v_cndmask_b32_e64 v1, v1, v3, s[2:3]
	v_cmp_eq_u32_e64 s[2:3], v0, v65
	v_mov_b32_dpp v4, v2 row_shr:4 row_mask:0xf bank_mask:0xf
	v_mov_b32_dpp v3, v1 row_shr:4 row_mask:0xf bank_mask:0xf
	v_add_u32_e32 v3, v1, v3
	v_add_u32_e32 v4, v2, v4
	v_cndmask_b32_e32 v2, v2, v4, vcc
	v_cndmask_b32_e32 v1, v1, v3, vcc
	v_cmp_lt_u32_e32 vcc, 7, v67
	v_mov_b32_dpp v4, v2 row_shr:8 row_mask:0xf bank_mask:0xf
	v_mov_b32_dpp v3, v1 row_shr:8 row_mask:0xf bank_mask:0xf
	v_add_u32_e32 v3, v1, v3
	v_add_u32_e32 v4, v2, v4
	v_cndmask_b32_e32 v2, v2, v4, vcc
	v_cndmask_b32_e32 v3, v1, v3, vcc
	v_cmp_eq_u32_e32 vcc, 0, v66
	v_mov_b32_dpp v4, v2 row_bcast:15 row_mask:0xf bank_mask:0xf
	v_mov_b32_dpp v1, v3 row_bcast:15 row_mask:0xf bank_mask:0xf
	v_add_u32_e32 v5, v3, v1
	v_add_u32_e32 v1, v2, v4
	v_cndmask_b32_e32 v1, v1, v2, vcc
	v_cndmask_b32_e32 v2, v5, v3, vcc
	v_cmp_lt_u32_e32 vcc, 31, v63
	v_mov_b32_dpp v3, v1 row_bcast:31 row_mask:0xf bank_mask:0xf
	v_mov_b32_dpp v4, v2 row_bcast:31 row_mask:0xf bank_mask:0xf
	v_add_u32_e32 v3, v1, v3
	v_add_u32_e32 v4, v2, v4
	s_and_saveexec_b64 s[4:5], s[2:3]
; %bb.139:
	v_cndmask_b32_e32 v5, v2, v4, vcc
	v_cndmask_b32_e32 v6, v1, v3, vcc
	v_lshlrev_b32_e32 v7, 3, v64
	ds_write_b64 v7, v[5:6]
; %bb.140:
	s_or_b64 exec, exec, s[4:5]
	v_cmp_gt_u32_e64 s[2:3], 4, v0
	s_waitcnt lgkmcnt(0)
	s_barrier
	s_and_saveexec_b64 s[4:5], s[2:3]
	s_cbranch_execz .LBB1575_142
; %bb.141:
	v_lshlrev_b32_e32 v7, 3, v0
	ds_read_b64 v[5:6], v7
	v_and_b32_e32 v8, 3, v63
	v_cmp_eq_u32_e64 s[2:3], 0, v8
	s_waitcnt lgkmcnt(0)
	v_mov_b32_dpp v21, v5 row_shr:1 row_mask:0xf bank_mask:0xf
	v_mov_b32_dpp v22, v6 row_shr:1 row_mask:0xf bank_mask:0xf
	v_add_u32_e32 v21, v21, v5
	v_add_u32_e32 v22, v22, v6
	v_cndmask_b32_e64 v6, v22, v6, s[2:3]
	v_cndmask_b32_e64 v5, v21, v5, s[2:3]
	v_cmp_lt_u32_e64 s[2:3], 1, v8
	v_mov_b32_dpp v22, v6 row_shr:2 row_mask:0xf bank_mask:0xf
	v_mov_b32_dpp v21, v5 row_shr:2 row_mask:0xf bank_mask:0xf
	v_cndmask_b32_e64 v8, 0, v21, s[2:3]
	v_cndmask_b32_e64 v21, 0, v22, s[2:3]
	v_add_u32_e32 v6, v21, v6
	v_add_u32_e32 v5, v8, v5
	ds_write_b64 v7, v[5:6]
.LBB1575_142:
	s_or_b64 exec, exec, s[4:5]
	v_cmp_lt_u32_e64 s[2:3], 63, v0
	v_mov_b32_e32 v7, 0
	v_mov_b32_e32 v5, 0
	;; [unrolled: 1-line block ×3, first 2 shown]
	s_waitcnt lgkmcnt(0)
	s_barrier
	s_and_saveexec_b64 s[4:5], s[2:3]
; %bb.143:
	v_lshl_add_u32 v5, v64, 3, -8
	ds_read_b64 v[5:6], v5
; %bb.144:
	s_or_b64 exec, exec, s[4:5]
	v_cndmask_b32_e32 v2, v2, v4, vcc
	v_cndmask_b32_e32 v1, v1, v3, vcc
	v_subrev_co_u32_e32 v3, vcc, 1, v63
	v_and_b32_e32 v4, 64, v63
	v_cmp_lt_i32_e64 s[2:3], v3, v4
	v_cndmask_b32_e64 v3, v3, v63, s[2:3]
	s_waitcnt lgkmcnt(0)
	v_add_u32_e32 v1, v6, v1
	v_add_u32_e32 v2, v5, v2
	v_lshlrev_b32_e32 v3, 2, v3
	ds_bpermute_b32 v8, v3, v2
	ds_bpermute_b32 v21, v3, v1
	ds_read_b64 v[1:2], v7 offset:24
	v_cmp_eq_u32_e64 s[2:3], 0, v0
	s_and_saveexec_b64 s[4:5], s[2:3]
	s_cbranch_execz .LBB1575_146
; %bb.145:
	s_add_u32 s6, s12, 0x400
	s_addc_u32 s7, s13, 0
	v_mov_b32_e32 v23, s7
	v_mov_b32_e32 v3, 2
	;; [unrolled: 1-line block ×4, first 2 shown]
	s_waitcnt lgkmcnt(0)
	;;#ASMSTART
	global_store_dwordx4 v[22:23], v[1:4] off	
s_waitcnt vmcnt(0)
	;;#ASMEND
.LBB1575_146:
	s_or_b64 exec, exec, s[4:5]
	s_waitcnt lgkmcnt(2)
	v_cndmask_b32_e32 v3, v8, v5, vcc
	s_waitcnt lgkmcnt(1)
	v_cndmask_b32_e32 v4, v21, v6, vcc
	v_cndmask_b32_e64 v22, v4, 0, s[2:3]
	v_cndmask_b32_e64 v23, v3, 0, s[2:3]
	v_mov_b32_e32 v4, 0
	v_mov_b32_e32 v3, 0
	s_waitcnt lgkmcnt(0)
	s_barrier
.LBB1575_147:
	v_mov_b32_e32 v6, s49
	s_waitcnt lgkmcnt(0)
	v_add_co_u32_e32 v5, vcc, s48, v3
	v_addc_co_u32_e32 v6, vcc, 0, v6, vcc
	v_mov_b32_e32 v27, s51
	v_sub_co_u32_e32 v28, vcc, s50, v1
	v_subbrev_co_u32_e32 v69, vcc, 0, v27, vcc
	v_add_co_u32_e32 v27, vcc, v28, v4
	v_add_u32_e32 v49, v22, v49
	v_addc_co_u32_e32 v28, vcc, 0, v69, vcc
	v_lshlrev_b32_e32 v69, 1, v1
	v_sub_u32_e32 v22, v22, v4
	v_lshrrev_b32_e32 v26, 8, v37
	v_add_u32_e32 v48, v23, v48
	v_add_u32_e32 v70, v69, v2
	v_sub_u32_e32 v23, v23, v3
	v_add_u32_e32 v22, v22, v1
	v_add_u32_e32 v30, v70, v30
	v_and_b32_e32 v26, 1, v26
	v_add_u32_e32 v71, v23, v22
	v_and_b32_e32 v70, 1, v31
	v_sub_u32_e32 v71, v30, v71
	v_cmp_eq_u32_e32 vcc, 1, v26
	v_cndmask_b32_e32 v22, v71, v22, vcc
	v_cmp_eq_u32_e32 vcc, 1, v70
	v_cndmask_b32_e32 v22, v22, v23, vcc
	v_lshlrev_b32_e32 v22, 2, v22
	v_sub_u32_e32 v23, v49, v4
	v_lshrrev_b32_e32 v25, 8, v31
	ds_write_b32 v22, v19
	v_sub_u32_e32 v19, v48, v3
	v_add_u32_e32 v23, v23, v1
	v_add_u32_e32 v45, v48, v45
	v_and_b32_e32 v22, 1, v25
	v_mov_b32_e32 v25, 1
	v_add_u32_e32 v48, v23, v19
	v_and_b32_sdwa v26, v25, v37 dst_sel:DWORD dst_unused:UNUSED_PAD src0_sel:DWORD src1_sel:WORD_1
	v_sub_u32_e32 v48, v30, v48
	v_add_u32_e32 v48, 1, v48
	v_cmp_eq_u32_e32 vcc, 1, v26
	v_cndmask_b32_e32 v23, v48, v23, vcc
	v_cmp_eq_u32_e32 vcc, 1, v22
	v_add_u32_e32 v57, v49, v57
	v_cndmask_b32_e32 v19, v23, v19, vcc
	v_lshlrev_b32_e32 v19, 2, v19
	v_sub_u32_e32 v22, v57, v4
	ds_write_b32 v19, v20
	v_sub_u32_e32 v19, v45, v3
	v_add_u32_e32 v22, v22, v1
	v_add_u32_e32 v26, v22, v19
	v_and_b32_e32 v23, 1, v44
	v_sub_u32_e32 v26, v30, v26
	v_and_b32_sdwa v20, v25, v31 dst_sel:DWORD dst_unused:UNUSED_PAD src0_sel:DWORD src1_sel:WORD_1
	v_add_u32_e32 v26, 2, v26
	v_cmp_eq_u32_e32 vcc, 1, v23
	v_cndmask_b32_e32 v22, v26, v22, vcc
	v_cmp_eq_u32_e32 vcc, 1, v20
	v_add_u32_e32 v63, v57, v44
	v_cndmask_b32_e32 v19, v22, v19, vcc
	v_add_u32_e32 v50, v45, v50
	v_lshlrev_b32_e32 v19, 2, v19
	v_sub_u32_e32 v20, v63, v4
	ds_write_b32 v19, v17
	v_sub_u32_e32 v17, v50, v3
	v_add_u32_e32 v20, v20, v1
	v_add_u32_e32 v23, v17, v20
	v_and_b32_e32 v22, 1, v32
	v_sub_u32_e32 v23, v30, v23
	v_and_b32_e32 v19, 1, v43
	v_add_u32_e32 v23, 3, v23
	v_cmp_eq_u32_e32 vcc, 1, v22
	v_cndmask_b32_e32 v20, v23, v20, vcc
	v_cmp_eq_u32_e32 vcc, 1, v19
	v_add_u32_e32 v58, v63, v58
	v_cndmask_b32_e32 v17, v20, v17, vcc
	v_add_u32_e32 v64, v50, v43
	v_lshlrev_b32_e32 v17, 2, v17
	v_sub_u32_e32 v19, v58, v4
	ds_write_b32 v17, v18
	v_sub_u32_e32 v17, v64, v3
	v_add_u32_e32 v19, v19, v1
	v_lshrrev_b32_e32 v24, 8, v32
	v_add_u32_e32 v22, v17, v19
	v_and_b32_e32 v20, 1, v24
	v_sub_u32_e32 v22, v30, v22
	v_and_b32_e32 v18, 1, v33
	v_add_u32_e32 v22, 4, v22
	v_cmp_eq_u32_e32 vcc, 1, v20
	v_cndmask_b32_e32 v19, v22, v19, vcc
	v_cmp_eq_u32_e32 vcc, 1, v18
	v_add_u32_e32 v52, v58, v52
	v_cndmask_b32_e32 v17, v19, v17, vcc
	v_add_u32_e32 v51, v64, v51
	v_lshlrev_b32_e32 v17, 2, v17
	v_sub_u32_e32 v18, v52, v4
	ds_write_b32 v17, v15
	v_sub_u32_e32 v15, v51, v3
	v_add_u32_e32 v18, v18, v1
	v_add_u32_e32 v20, v15, v18
	v_lshrrev_b32_e32 v21, 8, v33
	v_and_b32_sdwa v19, v25, v32 dst_sel:DWORD dst_unused:UNUSED_PAD src0_sel:DWORD src1_sel:WORD_1
	v_sub_u32_e32 v20, v30, v20
	v_and_b32_e32 v17, 1, v21
	v_add_u32_e32 v20, 5, v20
	v_cmp_eq_u32_e32 vcc, 1, v19
	v_cndmask_b32_e32 v18, v20, v18, vcc
	v_cmp_eq_u32_e32 vcc, 1, v17
	v_add_u32_e32 v59, v52, v59
	v_cndmask_b32_e32 v15, v18, v15, vcc
	v_add_u32_e32 v46, v51, v46
	v_lshlrev_b32_e32 v15, 2, v15
	v_sub_u32_e32 v17, v59, v4
	ds_write_b32 v15, v16
	v_sub_u32_e32 v15, v46, v3
	v_add_u32_e32 v17, v17, v1
	v_add_u32_e32 v19, v15, v17
	v_and_b32_e32 v18, 1, v42
	v_sub_u32_e32 v19, v30, v19
	v_and_b32_sdwa v16, v25, v33 dst_sel:DWORD dst_unused:UNUSED_PAD src0_sel:DWORD src1_sel:WORD_1
	v_add_u32_e32 v19, 6, v19
	v_cmp_eq_u32_e32 vcc, 1, v18
	v_cndmask_b32_e32 v17, v19, v17, vcc
	v_cmp_eq_u32_e32 vcc, 1, v16
	v_add_u32_e32 v65, v59, v42
	v_cndmask_b32_e32 v15, v17, v15, vcc
	v_add_u32_e32 v53, v46, v53
	v_lshlrev_b32_e32 v15, 2, v15
	v_sub_u32_e32 v16, v65, v4
	ds_write_b32 v15, v13
	v_sub_u32_e32 v13, v53, v3
	v_add_u32_e32 v16, v16, v1
	v_add_u32_e32 v18, v13, v16
	v_and_b32_e32 v17, 1, v34
	v_sub_u32_e32 v18, v30, v18
	v_and_b32_e32 v15, 1, v41
	v_add_u32_e32 v18, 7, v18
	v_cmp_eq_u32_e32 vcc, 1, v17
	v_cndmask_b32_e32 v16, v18, v16, vcc
	v_cmp_eq_u32_e32 vcc, 1, v15
	v_add_u32_e32 v60, v65, v60
	v_cndmask_b32_e32 v13, v16, v13, vcc
	v_add_u32_e32 v66, v53, v41
	v_lshlrev_b32_e32 v13, 2, v13
	v_sub_u32_e32 v15, v60, v4
	ds_write_b32 v13, v14
	v_sub_u32_e32 v13, v66, v3
	v_add_u32_e32 v15, v15, v1
	v_lshrrev_b32_e32 v8, 8, v34
	v_add_u32_e32 v16, v13, v15
	v_and_b32_e32 v8, 1, v8
	v_sub_u32_e32 v16, v30, v16
	v_and_b32_e32 v14, 1, v36
	v_add_u32_e32 v16, 8, v16
	v_cmp_eq_u32_e32 vcc, 1, v8
	v_cndmask_b32_e32 v8, v16, v15, vcc
	v_cmp_eq_u32_e32 vcc, 1, v14
	v_cndmask_b32_e32 v8, v8, v13, vcc
	v_add_u32_e32 v55, v60, v55
	v_lshlrev_b32_e32 v8, 2, v8
	v_add_u32_e32 v54, v66, v54
	ds_write_b32 v8, v11
	v_sub_u32_e32 v11, v55, v4
	v_sub_u32_e32 v8, v54, v3
	v_add_u32_e32 v11, v11, v1
	v_add_u32_e32 v14, v8, v11
	v_lshrrev_b32_e32 v7, 8, v36
	v_and_b32_sdwa v13, v25, v34 dst_sel:DWORD dst_unused:UNUSED_PAD src0_sel:DWORD src1_sel:WORD_1
	v_sub_u32_e32 v14, v30, v14
	v_and_b32_e32 v7, 1, v7
	v_add_u32_e32 v14, 9, v14
	v_cmp_eq_u32_e32 vcc, 1, v13
	v_cndmask_b32_e32 v11, v14, v11, vcc
	v_cmp_eq_u32_e32 vcc, 1, v7
	v_add_u32_e32 v61, v55, v61
	v_cndmask_b32_e32 v7, v11, v8, vcc
	v_add_u32_e32 v47, v54, v47
	v_lshlrev_b32_e32 v7, 2, v7
	v_sub_u32_e32 v11, v61, v4
	ds_write_b32 v7, v12
	v_sub_u32_e32 v7, v47, v3
	v_add_u32_e32 v11, v11, v1
	v_add_u32_e32 v13, v7, v11
	v_and_b32_e32 v12, 1, v40
	v_sub_u32_e32 v13, v30, v13
	v_and_b32_sdwa v8, v25, v36 dst_sel:DWORD dst_unused:UNUSED_PAD src0_sel:DWORD src1_sel:WORD_1
	v_add_u32_e32 v13, 10, v13
	v_cmp_eq_u32_e32 vcc, 1, v12
	v_cndmask_b32_e32 v11, v13, v11, vcc
	v_cmp_eq_u32_e32 vcc, 1, v8
	v_cndmask_b32_e32 v7, v11, v7, vcc
	v_add_u32_e32 v67, v61, v40
	v_lshlrev_b32_e32 v7, 2, v7
	v_add_u32_e32 v56, v47, v56
	ds_write_b32 v7, v9
	v_sub_u32_e32 v9, v67, v4
	v_sub_u32_e32 v7, v56, v3
	v_add_u32_e32 v9, v9, v1
	v_add_u32_e32 v12, v7, v9
	v_and_b32_e32 v11, 1, v35
	v_sub_u32_e32 v12, v30, v12
	v_and_b32_e32 v8, 1, v39
	v_add_u32_e32 v12, 11, v12
	v_cmp_eq_u32_e32 vcc, 1, v11
	v_add_u32_e32 v62, v67, v62
	v_cndmask_b32_e32 v9, v12, v9, vcc
	v_cmp_eq_u32_e32 vcc, 1, v8
	v_add_u32_e32 v68, v56, v39
	v_cndmask_b32_e32 v7, v9, v7, vcc
	v_sub_u32_e32 v8, v62, v4
	v_lshlrev_b32_e32 v7, 2, v7
	v_sub_u32_e32 v3, v68, v3
	v_add_u32_e32 v8, v8, v1
	ds_write_b32 v7, v10
	v_add_u32_e32 v10, v3, v8
	v_and_b32_e32 v9, 1, v38
	v_sub_u32_e32 v10, v30, v10
	v_and_b32_e32 v7, 1, v37
	v_add_u32_e32 v10, 12, v10
	v_cmp_eq_u32_e32 vcc, 1, v9
	v_cndmask_b32_e32 v8, v10, v8, vcc
	v_cmp_eq_u32_e32 vcc, 1, v7
	v_cndmask_b32_e32 v3, v8, v3, vcc
	v_lshlrev_b32_e32 v3, 2, v3
	ds_write_b32 v3, v29
	v_add_co_u32_e32 v3, vcc, v2, v69
	v_addc_co_u32_e64 v7, s[2:3], 0, 0, vcc
	v_add_co_u32_e32 v3, vcc, v3, v27
	v_addc_co_u32_e32 v7, vcc, v7, v28, vcc
	s_add_u32 s4, s56, s33
	v_add_co_u32_e32 v3, vcc, v3, v5
	s_addc_u32 s5, s57, 0
	v_addc_co_u32_e32 v7, vcc, v7, v6, vcc
	v_mov_b32_e32 v8, s5
	v_sub_co_u32_e32 v3, vcc, s4, v3
	v_subb_co_u32_e32 v11, vcc, v8, v7, vcc
	v_lshlrev_b64 v[7:8], 2, v[27:28]
	v_mov_b32_e32 v9, s55
	v_add_co_u32_e32 v7, vcc, s54, v7
	v_addc_co_u32_e32 v8, vcc, v9, v8, vcc
	v_lshlrev_b64 v[9:10], 2, v[5:6]
	v_mov_b32_e32 v13, s53
	v_add_co_u32_e32 v9, vcc, s52, v9
	v_addc_co_u32_e32 v10, vcc, v13, v10, vcc
	v_add_u32_e32 v12, v1, v2
	s_and_b64 vcc, exec, s[0:1]
	s_mov_b64 s[0:1], -1
	s_waitcnt lgkmcnt(0)
	s_barrier
	s_cbranch_vccz .LBB1575_151
; %bb.148:
	s_and_b64 vcc, exec, s[0:1]
	s_cbranch_vccnz .LBB1575_256
.LBB1575_149:
	v_cmp_eq_u32_e32 vcc, 0, v0
	s_and_b64 s[0:1], vcc, s[34:35]
	s_and_saveexec_b64 s[2:3], s[0:1]
	s_cbranch_execnz .LBB1575_374
.LBB1575_150:
	s_endpgm
.LBB1575_151:
	v_cmp_ge_u32_e32 vcc, v0, v1
	s_and_saveexec_b64 s[0:1], vcc
	s_xor_b64 s[0:1], exec, s[0:1]
	s_cbranch_execz .LBB1575_157
; %bb.152:
	v_cmp_ge_u32_e32 vcc, v0, v12
	s_and_saveexec_b64 s[2:3], vcc
	s_xor_b64 s[2:3], exec, s[2:3]
	s_cbranch_execz .LBB1575_154
; %bb.153:
	v_add_co_u32_e32 v13, vcc, v3, v0
	v_lshlrev_b32_e32 v15, 2, v0
	v_addc_co_u32_e32 v14, vcc, 0, v11, vcc
	ds_read_b32 v15, v15
	v_lshlrev_b64 v[13:14], 2, v[13:14]
	v_mov_b32_e32 v16, s47
	v_sub_co_u32_e32 v13, vcc, s46, v13
	v_subb_co_u32_e32 v14, vcc, v16, v14, vcc
	s_waitcnt lgkmcnt(0)
	global_store_dword v[13:14], v15, off offset:-4
.LBB1575_154:
	s_andn2_saveexec_b64 s[2:3], s[2:3]
	s_cbranch_execz .LBB1575_156
; %bb.155:
	v_lshlrev_b32_e32 v13, 2, v0
	ds_read_b32 v14, v13
	v_readfirstlane_b32 s4, v7
	v_readfirstlane_b32 s5, v8
	s_waitcnt lgkmcnt(0)
	s_nop 3
	global_store_dword v13, v14, s[4:5]
.LBB1575_156:
	s_or_b64 exec, exec, s[2:3]
.LBB1575_157:
	s_andn2_saveexec_b64 s[0:1], s[0:1]
	s_cbranch_execz .LBB1575_159
; %bb.158:
	v_lshlrev_b32_e32 v13, 2, v0
	ds_read_b32 v14, v13
	v_readfirstlane_b32 s2, v9
	v_readfirstlane_b32 s3, v10
	s_waitcnt lgkmcnt(0)
	s_nop 3
	global_store_dword v13, v14, s[2:3]
.LBB1575_159:
	s_or_b64 exec, exec, s[0:1]
	v_or_b32_e32 v13, 0x100, v0
	v_cmp_ge_u32_e32 vcc, v13, v1
	s_and_saveexec_b64 s[0:1], vcc
	s_xor_b64 s[0:1], exec, s[0:1]
	s_cbranch_execz .LBB1575_165
; %bb.160:
	v_cmp_ge_u32_e32 vcc, v13, v12
	s_and_saveexec_b64 s[2:3], vcc
	s_xor_b64 s[2:3], exec, s[2:3]
	s_cbranch_execz .LBB1575_162
; %bb.161:
	v_lshlrev_b32_e32 v13, 2, v0
	ds_read_b32 v15, v13 offset:1024
	v_add_co_u32_e32 v13, vcc, v3, v0
	v_addc_co_u32_e32 v14, vcc, 0, v11, vcc
	v_lshlrev_b64 v[13:14], 2, v[13:14]
	v_mov_b32_e32 v16, s47
	v_sub_co_u32_e32 v13, vcc, s46, v13
	v_subb_co_u32_e32 v14, vcc, v16, v14, vcc
	s_waitcnt lgkmcnt(0)
	global_store_dword v[13:14], v15, off offset:-1028
.LBB1575_162:
	s_andn2_saveexec_b64 s[2:3], s[2:3]
	s_cbranch_execz .LBB1575_164
; %bb.163:
	v_lshlrev_b32_e32 v13, 2, v0
	ds_read_b32 v14, v13 offset:1024
	v_readfirstlane_b32 s4, v7
	v_readfirstlane_b32 s5, v8
	s_waitcnt lgkmcnt(0)
	s_nop 3
	global_store_dword v13, v14, s[4:5] offset:1024
.LBB1575_164:
	s_or_b64 exec, exec, s[2:3]
.LBB1575_165:
	s_andn2_saveexec_b64 s[0:1], s[0:1]
	s_cbranch_execz .LBB1575_167
; %bb.166:
	v_lshlrev_b32_e32 v13, 2, v0
	ds_read_b32 v14, v13 offset:1024
	v_readfirstlane_b32 s2, v9
	v_readfirstlane_b32 s3, v10
	s_waitcnt lgkmcnt(0)
	s_nop 3
	global_store_dword v13, v14, s[2:3] offset:1024
.LBB1575_167:
	s_or_b64 exec, exec, s[0:1]
	v_or_b32_e32 v13, 0x200, v0
	v_cmp_ge_u32_e32 vcc, v13, v1
	s_and_saveexec_b64 s[0:1], vcc
	s_xor_b64 s[0:1], exec, s[0:1]
	s_cbranch_execz .LBB1575_173
; %bb.168:
	v_cmp_ge_u32_e32 vcc, v13, v12
	s_and_saveexec_b64 s[2:3], vcc
	s_xor_b64 s[2:3], exec, s[2:3]
	s_cbranch_execz .LBB1575_170
; %bb.169:
	v_lshlrev_b32_e32 v13, 2, v0
	ds_read_b32 v15, v13 offset:2048
	v_add_co_u32_e32 v13, vcc, v3, v0
	v_addc_co_u32_e32 v14, vcc, 0, v11, vcc
	v_lshlrev_b64 v[13:14], 2, v[13:14]
	v_mov_b32_e32 v16, s47
	v_sub_co_u32_e32 v13, vcc, s46, v13
	v_subb_co_u32_e32 v14, vcc, v16, v14, vcc
	s_waitcnt lgkmcnt(0)
	global_store_dword v[13:14], v15, off offset:-2052
.LBB1575_170:
	s_andn2_saveexec_b64 s[2:3], s[2:3]
	s_cbranch_execz .LBB1575_172
; %bb.171:
	v_lshlrev_b32_e32 v13, 2, v0
	ds_read_b32 v14, v13 offset:2048
	v_readfirstlane_b32 s4, v7
	v_readfirstlane_b32 s5, v8
	s_waitcnt lgkmcnt(0)
	s_nop 3
	global_store_dword v13, v14, s[4:5] offset:2048
.LBB1575_172:
	s_or_b64 exec, exec, s[2:3]
.LBB1575_173:
	s_andn2_saveexec_b64 s[0:1], s[0:1]
	s_cbranch_execz .LBB1575_175
; %bb.174:
	v_lshlrev_b32_e32 v13, 2, v0
	ds_read_b32 v14, v13 offset:2048
	v_readfirstlane_b32 s2, v9
	v_readfirstlane_b32 s3, v10
	s_waitcnt lgkmcnt(0)
	s_nop 3
	global_store_dword v13, v14, s[2:3] offset:2048
.LBB1575_175:
	;; [unrolled: 47-line block ×3, first 2 shown]
	s_or_b64 exec, exec, s[0:1]
	v_or_b32_e32 v13, 0x400, v0
	v_cmp_ge_u32_e32 vcc, v13, v1
	s_and_saveexec_b64 s[0:1], vcc
	s_xor_b64 s[0:1], exec, s[0:1]
	s_cbranch_execz .LBB1575_189
; %bb.184:
	v_cmp_ge_u32_e32 vcc, v13, v12
	s_and_saveexec_b64 s[2:3], vcc
	s_xor_b64 s[2:3], exec, s[2:3]
	s_cbranch_execz .LBB1575_186
; %bb.185:
	v_lshlrev_b32_e32 v13, 2, v0
	ds_read_b32 v15, v13 offset:4096
	v_add_co_u32_e32 v13, vcc, v3, v0
	v_addc_co_u32_e32 v14, vcc, 0, v11, vcc
	v_lshlrev_b64 v[13:14], 2, v[13:14]
	v_mov_b32_e32 v16, s47
	v_sub_co_u32_e32 v13, vcc, s46, v13
	v_subb_co_u32_e32 v14, vcc, v16, v14, vcc
	v_add_co_u32_e32 v13, vcc, 0xfffff000, v13
	v_addc_co_u32_e32 v14, vcc, -1, v14, vcc
	s_waitcnt lgkmcnt(0)
	global_store_dword v[13:14], v15, off offset:-4
                                        ; implicit-def: $vgpr13
.LBB1575_186:
	s_andn2_saveexec_b64 s[2:3], s[2:3]
	s_cbranch_execz .LBB1575_188
; %bb.187:
	v_lshlrev_b32_e32 v14, 2, v0
	ds_read_b32 v14, v14 offset:4096
	v_lshlrev_b32_e32 v13, 2, v13
	v_readfirstlane_b32 s4, v7
	v_readfirstlane_b32 s5, v8
	s_waitcnt lgkmcnt(0)
	s_nop 3
	global_store_dword v13, v14, s[4:5]
.LBB1575_188:
	s_or_b64 exec, exec, s[2:3]
                                        ; implicit-def: $vgpr13
.LBB1575_189:
	s_andn2_saveexec_b64 s[0:1], s[0:1]
	s_cbranch_execz .LBB1575_191
; %bb.190:
	v_lshlrev_b32_e32 v14, 2, v0
	ds_read_b32 v14, v14 offset:4096
	v_lshlrev_b32_e32 v13, 2, v13
	v_readfirstlane_b32 s2, v9
	v_readfirstlane_b32 s3, v10
	s_waitcnt lgkmcnt(0)
	s_nop 3
	global_store_dword v13, v14, s[2:3]
.LBB1575_191:
	s_or_b64 exec, exec, s[0:1]
	v_or_b32_e32 v13, 0x500, v0
	v_cmp_ge_u32_e32 vcc, v13, v1
	s_and_saveexec_b64 s[0:1], vcc
	s_xor_b64 s[0:1], exec, s[0:1]
	s_cbranch_execz .LBB1575_197
; %bb.192:
	v_cmp_ge_u32_e32 vcc, v13, v12
	s_and_saveexec_b64 s[2:3], vcc
	s_xor_b64 s[2:3], exec, s[2:3]
	s_cbranch_execz .LBB1575_194
; %bb.193:
	v_add_co_u32_e32 v13, vcc, v3, v13
	v_lshlrev_b32_e32 v15, 2, v0
	v_addc_co_u32_e32 v14, vcc, 0, v11, vcc
	ds_read_b32 v15, v15 offset:5120
	v_lshlrev_b64 v[13:14], 2, v[13:14]
	v_mov_b32_e32 v16, s47
	v_sub_co_u32_e32 v13, vcc, s46, v13
	v_subb_co_u32_e32 v14, vcc, v16, v14, vcc
	s_waitcnt lgkmcnt(0)
	global_store_dword v[13:14], v15, off offset:-4
                                        ; implicit-def: $vgpr13
.LBB1575_194:
	s_andn2_saveexec_b64 s[2:3], s[2:3]
	s_cbranch_execz .LBB1575_196
; %bb.195:
	v_lshlrev_b32_e32 v14, 2, v0
	ds_read_b32 v14, v14 offset:5120
	v_lshlrev_b32_e32 v13, 2, v13
	v_readfirstlane_b32 s4, v7
	v_readfirstlane_b32 s5, v8
	s_waitcnt lgkmcnt(0)
	s_nop 3
	global_store_dword v13, v14, s[4:5]
.LBB1575_196:
	s_or_b64 exec, exec, s[2:3]
                                        ; implicit-def: $vgpr13
.LBB1575_197:
	s_andn2_saveexec_b64 s[0:1], s[0:1]
	s_cbranch_execz .LBB1575_199
; %bb.198:
	v_lshlrev_b32_e32 v14, 2, v0
	ds_read_b32 v14, v14 offset:5120
	v_lshlrev_b32_e32 v13, 2, v13
	v_readfirstlane_b32 s2, v9
	v_readfirstlane_b32 s3, v10
	s_waitcnt lgkmcnt(0)
	s_nop 3
	global_store_dword v13, v14, s[2:3]
.LBB1575_199:
	s_or_b64 exec, exec, s[0:1]
	v_or_b32_e32 v13, 0x600, v0
	v_cmp_ge_u32_e32 vcc, v13, v1
	s_and_saveexec_b64 s[0:1], vcc
	s_xor_b64 s[0:1], exec, s[0:1]
	s_cbranch_execz .LBB1575_205
; %bb.200:
	v_cmp_ge_u32_e32 vcc, v13, v12
	s_and_saveexec_b64 s[2:3], vcc
	s_xor_b64 s[2:3], exec, s[2:3]
	s_cbranch_execz .LBB1575_202
; %bb.201:
	v_add_co_u32_e32 v13, vcc, v3, v13
	v_lshlrev_b32_e32 v15, 2, v0
	v_addc_co_u32_e32 v14, vcc, 0, v11, vcc
	ds_read_b32 v15, v15 offset:6144
	v_lshlrev_b64 v[13:14], 2, v[13:14]
	v_mov_b32_e32 v16, s47
	v_sub_co_u32_e32 v13, vcc, s46, v13
	v_subb_co_u32_e32 v14, vcc, v16, v14, vcc
	s_waitcnt lgkmcnt(0)
	global_store_dword v[13:14], v15, off offset:-4
                                        ; implicit-def: $vgpr13
.LBB1575_202:
	s_andn2_saveexec_b64 s[2:3], s[2:3]
	s_cbranch_execz .LBB1575_204
; %bb.203:
	v_lshlrev_b32_e32 v14, 2, v0
	ds_read_b32 v14, v14 offset:6144
	v_lshlrev_b32_e32 v13, 2, v13
	v_readfirstlane_b32 s4, v7
	v_readfirstlane_b32 s5, v8
	s_waitcnt lgkmcnt(0)
	s_nop 3
	global_store_dword v13, v14, s[4:5]
.LBB1575_204:
	s_or_b64 exec, exec, s[2:3]
                                        ; implicit-def: $vgpr13
.LBB1575_205:
	;; [unrolled: 51-line block ×8, first 2 shown]
	s_andn2_saveexec_b64 s[0:1], s[0:1]
	s_cbranch_execz .LBB1575_255
; %bb.254:
	v_lshlrev_b32_e32 v14, 2, v0
	ds_read_b32 v14, v14 offset:12288
	v_lshlrev_b32_e32 v13, 2, v13
	v_readfirstlane_b32 s2, v9
	v_readfirstlane_b32 s3, v10
	s_waitcnt lgkmcnt(0)
	s_nop 3
	global_store_dword v13, v14, s[2:3]
.LBB1575_255:
	s_or_b64 exec, exec, s[0:1]
	s_branch .LBB1575_149
.LBB1575_256:
	v_cmp_gt_u32_e32 vcc, s18, v0
	s_and_saveexec_b64 s[0:1], vcc
	s_cbranch_execz .LBB1575_265
; %bb.257:
	v_cmp_ge_u32_e32 vcc, v0, v1
	s_and_saveexec_b64 s[2:3], vcc
	s_xor_b64 s[2:3], exec, s[2:3]
	s_cbranch_execz .LBB1575_263
; %bb.258:
	v_cmp_ge_u32_e32 vcc, v0, v12
	s_and_saveexec_b64 s[4:5], vcc
	s_xor_b64 s[4:5], exec, s[4:5]
	s_cbranch_execz .LBB1575_260
; %bb.259:
	v_add_co_u32_e32 v13, vcc, v3, v0
	v_lshlrev_b32_e32 v15, 2, v0
	v_addc_co_u32_e32 v14, vcc, 0, v11, vcc
	ds_read_b32 v15, v15
	v_lshlrev_b64 v[13:14], 2, v[13:14]
	v_mov_b32_e32 v16, s47
	v_sub_co_u32_e32 v13, vcc, s46, v13
	v_subb_co_u32_e32 v14, vcc, v16, v14, vcc
	s_waitcnt lgkmcnt(0)
	global_store_dword v[13:14], v15, off offset:-4
.LBB1575_260:
	s_andn2_saveexec_b64 s[4:5], s[4:5]
	s_cbranch_execz .LBB1575_262
; %bb.261:
	v_lshlrev_b32_e32 v13, 2, v0
	ds_read_b32 v14, v13
	v_readfirstlane_b32 s6, v7
	v_readfirstlane_b32 s7, v8
	s_waitcnt lgkmcnt(0)
	s_nop 3
	global_store_dword v13, v14, s[6:7]
.LBB1575_262:
	s_or_b64 exec, exec, s[4:5]
.LBB1575_263:
	s_andn2_saveexec_b64 s[2:3], s[2:3]
	s_cbranch_execz .LBB1575_265
; %bb.264:
	v_lshlrev_b32_e32 v13, 2, v0
	ds_read_b32 v14, v13
	v_readfirstlane_b32 s2, v9
	v_readfirstlane_b32 s3, v10
	s_waitcnt lgkmcnt(0)
	s_nop 3
	global_store_dword v13, v14, s[2:3]
.LBB1575_265:
	s_or_b64 exec, exec, s[0:1]
	v_or_b32_e32 v13, 0x100, v0
	v_cmp_gt_u32_e32 vcc, s18, v13
	s_and_saveexec_b64 s[0:1], vcc
	s_cbranch_execz .LBB1575_274
; %bb.266:
	v_cmp_ge_u32_e32 vcc, v13, v1
	s_and_saveexec_b64 s[2:3], vcc
	s_xor_b64 s[2:3], exec, s[2:3]
	s_cbranch_execz .LBB1575_272
; %bb.267:
	v_cmp_ge_u32_e32 vcc, v13, v12
	s_and_saveexec_b64 s[4:5], vcc
	s_xor_b64 s[4:5], exec, s[4:5]
	s_cbranch_execz .LBB1575_269
; %bb.268:
	v_lshlrev_b32_e32 v13, 2, v0
	ds_read_b32 v15, v13 offset:1024
	v_add_co_u32_e32 v13, vcc, v3, v0
	v_addc_co_u32_e32 v14, vcc, 0, v11, vcc
	v_lshlrev_b64 v[13:14], 2, v[13:14]
	v_mov_b32_e32 v16, s47
	v_sub_co_u32_e32 v13, vcc, s46, v13
	v_subb_co_u32_e32 v14, vcc, v16, v14, vcc
	s_waitcnt lgkmcnt(0)
	global_store_dword v[13:14], v15, off offset:-1028
.LBB1575_269:
	s_andn2_saveexec_b64 s[4:5], s[4:5]
	s_cbranch_execz .LBB1575_271
; %bb.270:
	v_lshlrev_b32_e32 v13, 2, v0
	ds_read_b32 v14, v13 offset:1024
	v_readfirstlane_b32 s6, v7
	v_readfirstlane_b32 s7, v8
	s_waitcnt lgkmcnt(0)
	s_nop 3
	global_store_dword v13, v14, s[6:7] offset:1024
.LBB1575_271:
	s_or_b64 exec, exec, s[4:5]
.LBB1575_272:
	s_andn2_saveexec_b64 s[2:3], s[2:3]
	s_cbranch_execz .LBB1575_274
; %bb.273:
	v_lshlrev_b32_e32 v13, 2, v0
	ds_read_b32 v14, v13 offset:1024
	v_readfirstlane_b32 s2, v9
	v_readfirstlane_b32 s3, v10
	s_waitcnt lgkmcnt(0)
	s_nop 3
	global_store_dword v13, v14, s[2:3] offset:1024
.LBB1575_274:
	s_or_b64 exec, exec, s[0:1]
	v_or_b32_e32 v13, 0x200, v0
	v_cmp_gt_u32_e32 vcc, s18, v13
	s_and_saveexec_b64 s[0:1], vcc
	s_cbranch_execz .LBB1575_283
; %bb.275:
	v_cmp_ge_u32_e32 vcc, v13, v1
	s_and_saveexec_b64 s[2:3], vcc
	s_xor_b64 s[2:3], exec, s[2:3]
	s_cbranch_execz .LBB1575_281
; %bb.276:
	v_cmp_ge_u32_e32 vcc, v13, v12
	s_and_saveexec_b64 s[4:5], vcc
	s_xor_b64 s[4:5], exec, s[4:5]
	s_cbranch_execz .LBB1575_278
; %bb.277:
	v_lshlrev_b32_e32 v13, 2, v0
	ds_read_b32 v15, v13 offset:2048
	v_add_co_u32_e32 v13, vcc, v3, v0
	v_addc_co_u32_e32 v14, vcc, 0, v11, vcc
	v_lshlrev_b64 v[13:14], 2, v[13:14]
	v_mov_b32_e32 v16, s47
	v_sub_co_u32_e32 v13, vcc, s46, v13
	v_subb_co_u32_e32 v14, vcc, v16, v14, vcc
	s_waitcnt lgkmcnt(0)
	global_store_dword v[13:14], v15, off offset:-2052
.LBB1575_278:
	s_andn2_saveexec_b64 s[4:5], s[4:5]
	s_cbranch_execz .LBB1575_280
; %bb.279:
	v_lshlrev_b32_e32 v13, 2, v0
	ds_read_b32 v14, v13 offset:2048
	v_readfirstlane_b32 s6, v7
	v_readfirstlane_b32 s7, v8
	s_waitcnt lgkmcnt(0)
	s_nop 3
	global_store_dword v13, v14, s[6:7] offset:2048
.LBB1575_280:
	s_or_b64 exec, exec, s[4:5]
.LBB1575_281:
	s_andn2_saveexec_b64 s[2:3], s[2:3]
	s_cbranch_execz .LBB1575_283
; %bb.282:
	v_lshlrev_b32_e32 v13, 2, v0
	ds_read_b32 v14, v13 offset:2048
	v_readfirstlane_b32 s2, v9
	v_readfirstlane_b32 s3, v10
	s_waitcnt lgkmcnt(0)
	s_nop 3
	global_store_dword v13, v14, s[2:3] offset:2048
.LBB1575_283:
	;; [unrolled: 51-line block ×3, first 2 shown]
	s_or_b64 exec, exec, s[0:1]
	v_or_b32_e32 v13, 0x400, v0
	v_cmp_gt_u32_e32 vcc, s18, v13
	s_and_saveexec_b64 s[0:1], vcc
	s_cbranch_execz .LBB1575_301
; %bb.293:
	v_cmp_ge_u32_e32 vcc, v13, v1
	s_and_saveexec_b64 s[2:3], vcc
	s_xor_b64 s[2:3], exec, s[2:3]
	s_cbranch_execz .LBB1575_299
; %bb.294:
	v_cmp_ge_u32_e32 vcc, v13, v12
	s_and_saveexec_b64 s[4:5], vcc
	s_xor_b64 s[4:5], exec, s[4:5]
	s_cbranch_execz .LBB1575_296
; %bb.295:
	v_lshlrev_b32_e32 v13, 2, v0
	ds_read_b32 v15, v13 offset:4096
	v_add_co_u32_e32 v13, vcc, v3, v0
	v_addc_co_u32_e32 v14, vcc, 0, v11, vcc
	v_lshlrev_b64 v[13:14], 2, v[13:14]
	v_mov_b32_e32 v16, s47
	v_sub_co_u32_e32 v13, vcc, s46, v13
	v_subb_co_u32_e32 v14, vcc, v16, v14, vcc
	v_add_co_u32_e32 v13, vcc, 0xfffff000, v13
	v_addc_co_u32_e32 v14, vcc, -1, v14, vcc
	s_waitcnt lgkmcnt(0)
	global_store_dword v[13:14], v15, off offset:-4
                                        ; implicit-def: $vgpr13
.LBB1575_296:
	s_andn2_saveexec_b64 s[4:5], s[4:5]
	s_cbranch_execz .LBB1575_298
; %bb.297:
	v_lshlrev_b32_e32 v14, 2, v0
	ds_read_b32 v14, v14 offset:4096
	v_lshlrev_b32_e32 v13, 2, v13
	v_readfirstlane_b32 s6, v7
	v_readfirstlane_b32 s7, v8
	s_waitcnt lgkmcnt(0)
	s_nop 3
	global_store_dword v13, v14, s[6:7]
.LBB1575_298:
	s_or_b64 exec, exec, s[4:5]
                                        ; implicit-def: $vgpr13
.LBB1575_299:
	s_andn2_saveexec_b64 s[2:3], s[2:3]
	s_cbranch_execz .LBB1575_301
; %bb.300:
	v_lshlrev_b32_e32 v14, 2, v0
	ds_read_b32 v14, v14 offset:4096
	v_lshlrev_b32_e32 v13, 2, v13
	v_readfirstlane_b32 s2, v9
	v_readfirstlane_b32 s3, v10
	s_waitcnt lgkmcnt(0)
	s_nop 3
	global_store_dword v13, v14, s[2:3]
.LBB1575_301:
	s_or_b64 exec, exec, s[0:1]
	v_or_b32_e32 v13, 0x500, v0
	v_cmp_gt_u32_e32 vcc, s18, v13
	s_and_saveexec_b64 s[0:1], vcc
	s_cbranch_execz .LBB1575_310
; %bb.302:
	v_cmp_ge_u32_e32 vcc, v13, v1
	s_and_saveexec_b64 s[2:3], vcc
	s_xor_b64 s[2:3], exec, s[2:3]
	s_cbranch_execz .LBB1575_308
; %bb.303:
	v_cmp_ge_u32_e32 vcc, v13, v12
	s_and_saveexec_b64 s[4:5], vcc
	s_xor_b64 s[4:5], exec, s[4:5]
	s_cbranch_execz .LBB1575_305
; %bb.304:
	v_add_co_u32_e32 v13, vcc, v3, v13
	v_lshlrev_b32_e32 v15, 2, v0
	v_addc_co_u32_e32 v14, vcc, 0, v11, vcc
	ds_read_b32 v15, v15 offset:5120
	v_lshlrev_b64 v[13:14], 2, v[13:14]
	v_mov_b32_e32 v16, s47
	v_sub_co_u32_e32 v13, vcc, s46, v13
	v_subb_co_u32_e32 v14, vcc, v16, v14, vcc
	s_waitcnt lgkmcnt(0)
	global_store_dword v[13:14], v15, off offset:-4
                                        ; implicit-def: $vgpr13
.LBB1575_305:
	s_andn2_saveexec_b64 s[4:5], s[4:5]
	s_cbranch_execz .LBB1575_307
; %bb.306:
	v_lshlrev_b32_e32 v14, 2, v0
	ds_read_b32 v14, v14 offset:5120
	v_lshlrev_b32_e32 v13, 2, v13
	v_readfirstlane_b32 s6, v7
	v_readfirstlane_b32 s7, v8
	s_waitcnt lgkmcnt(0)
	s_nop 3
	global_store_dword v13, v14, s[6:7]
.LBB1575_307:
	s_or_b64 exec, exec, s[4:5]
                                        ; implicit-def: $vgpr13
.LBB1575_308:
	s_andn2_saveexec_b64 s[2:3], s[2:3]
	s_cbranch_execz .LBB1575_310
; %bb.309:
	v_lshlrev_b32_e32 v14, 2, v0
	ds_read_b32 v14, v14 offset:5120
	v_lshlrev_b32_e32 v13, 2, v13
	v_readfirstlane_b32 s2, v9
	v_readfirstlane_b32 s3, v10
	s_waitcnt lgkmcnt(0)
	s_nop 3
	global_store_dword v13, v14, s[2:3]
.LBB1575_310:
	s_or_b64 exec, exec, s[0:1]
	v_or_b32_e32 v13, 0x600, v0
	v_cmp_gt_u32_e32 vcc, s18, v13
	s_and_saveexec_b64 s[0:1], vcc
	s_cbranch_execz .LBB1575_319
; %bb.311:
	v_cmp_ge_u32_e32 vcc, v13, v1
	s_and_saveexec_b64 s[2:3], vcc
	s_xor_b64 s[2:3], exec, s[2:3]
	s_cbranch_execz .LBB1575_317
; %bb.312:
	v_cmp_ge_u32_e32 vcc, v13, v12
	s_and_saveexec_b64 s[4:5], vcc
	s_xor_b64 s[4:5], exec, s[4:5]
	s_cbranch_execz .LBB1575_314
; %bb.313:
	v_add_co_u32_e32 v13, vcc, v3, v13
	v_lshlrev_b32_e32 v15, 2, v0
	v_addc_co_u32_e32 v14, vcc, 0, v11, vcc
	ds_read_b32 v15, v15 offset:6144
	v_lshlrev_b64 v[13:14], 2, v[13:14]
	v_mov_b32_e32 v16, s47
	v_sub_co_u32_e32 v13, vcc, s46, v13
	v_subb_co_u32_e32 v14, vcc, v16, v14, vcc
	s_waitcnt lgkmcnt(0)
	global_store_dword v[13:14], v15, off offset:-4
                                        ; implicit-def: $vgpr13
.LBB1575_314:
	s_andn2_saveexec_b64 s[4:5], s[4:5]
	s_cbranch_execz .LBB1575_316
; %bb.315:
	v_lshlrev_b32_e32 v14, 2, v0
	ds_read_b32 v14, v14 offset:6144
	v_lshlrev_b32_e32 v13, 2, v13
	v_readfirstlane_b32 s6, v7
	v_readfirstlane_b32 s7, v8
	s_waitcnt lgkmcnt(0)
	s_nop 3
	global_store_dword v13, v14, s[6:7]
.LBB1575_316:
	s_or_b64 exec, exec, s[4:5]
                                        ; implicit-def: $vgpr13
.LBB1575_317:
	s_andn2_saveexec_b64 s[2:3], s[2:3]
	s_cbranch_execz .LBB1575_319
; %bb.318:
	v_lshlrev_b32_e32 v14, 2, v0
	ds_read_b32 v14, v14 offset:6144
	v_lshlrev_b32_e32 v13, 2, v13
	v_readfirstlane_b32 s2, v9
	v_readfirstlane_b32 s3, v10
	s_waitcnt lgkmcnt(0)
	s_nop 3
	global_store_dword v13, v14, s[2:3]
.LBB1575_319:
	s_or_b64 exec, exec, s[0:1]
	v_or_b32_e32 v13, 0x700, v0
	v_cmp_gt_u32_e32 vcc, s18, v13
	s_and_saveexec_b64 s[0:1], vcc
	s_cbranch_execz .LBB1575_328
; %bb.320:
	v_cmp_ge_u32_e32 vcc, v13, v1
	s_and_saveexec_b64 s[2:3], vcc
	s_xor_b64 s[2:3], exec, s[2:3]
	s_cbranch_execz .LBB1575_326
; %bb.321:
	v_cmp_ge_u32_e32 vcc, v13, v12
	s_and_saveexec_b64 s[4:5], vcc
	s_xor_b64 s[4:5], exec, s[4:5]
	s_cbranch_execz .LBB1575_323
; %bb.322:
	v_add_co_u32_e32 v13, vcc, v3, v13
	v_lshlrev_b32_e32 v15, 2, v0
	v_addc_co_u32_e32 v14, vcc, 0, v11, vcc
	ds_read_b32 v15, v15 offset:7168
	v_lshlrev_b64 v[13:14], 2, v[13:14]
	v_mov_b32_e32 v16, s47
	v_sub_co_u32_e32 v13, vcc, s46, v13
	v_subb_co_u32_e32 v14, vcc, v16, v14, vcc
	s_waitcnt lgkmcnt(0)
	global_store_dword v[13:14], v15, off offset:-4
                                        ; implicit-def: $vgpr13
.LBB1575_323:
	s_andn2_saveexec_b64 s[4:5], s[4:5]
	s_cbranch_execz .LBB1575_325
; %bb.324:
	v_lshlrev_b32_e32 v14, 2, v0
	ds_read_b32 v14, v14 offset:7168
	v_lshlrev_b32_e32 v13, 2, v13
	v_readfirstlane_b32 s6, v7
	v_readfirstlane_b32 s7, v8
	s_waitcnt lgkmcnt(0)
	s_nop 3
	global_store_dword v13, v14, s[6:7]
.LBB1575_325:
	s_or_b64 exec, exec, s[4:5]
                                        ; implicit-def: $vgpr13
.LBB1575_326:
	s_andn2_saveexec_b64 s[2:3], s[2:3]
	s_cbranch_execz .LBB1575_328
; %bb.327:
	v_lshlrev_b32_e32 v14, 2, v0
	ds_read_b32 v14, v14 offset:7168
	v_lshlrev_b32_e32 v13, 2, v13
	v_readfirstlane_b32 s2, v9
	v_readfirstlane_b32 s3, v10
	s_waitcnt lgkmcnt(0)
	s_nop 3
	global_store_dword v13, v14, s[2:3]
.LBB1575_328:
	s_or_b64 exec, exec, s[0:1]
	v_or_b32_e32 v13, 0x800, v0
	v_cmp_gt_u32_e32 vcc, s18, v13
	s_and_saveexec_b64 s[0:1], vcc
	s_cbranch_execz .LBB1575_337
; %bb.329:
	v_cmp_ge_u32_e32 vcc, v13, v1
	s_and_saveexec_b64 s[2:3], vcc
	s_xor_b64 s[2:3], exec, s[2:3]
	s_cbranch_execz .LBB1575_335
; %bb.330:
	v_cmp_ge_u32_e32 vcc, v13, v12
	s_and_saveexec_b64 s[4:5], vcc
	s_xor_b64 s[4:5], exec, s[4:5]
	s_cbranch_execz .LBB1575_332
; %bb.331:
	v_add_co_u32_e32 v13, vcc, v3, v13
	v_lshlrev_b32_e32 v15, 2, v0
	v_addc_co_u32_e32 v14, vcc, 0, v11, vcc
	ds_read_b32 v15, v15 offset:8192
	v_lshlrev_b64 v[13:14], 2, v[13:14]
	v_mov_b32_e32 v16, s47
	v_sub_co_u32_e32 v13, vcc, s46, v13
	v_subb_co_u32_e32 v14, vcc, v16, v14, vcc
	s_waitcnt lgkmcnt(0)
	global_store_dword v[13:14], v15, off offset:-4
                                        ; implicit-def: $vgpr13
.LBB1575_332:
	s_andn2_saveexec_b64 s[4:5], s[4:5]
	s_cbranch_execz .LBB1575_334
; %bb.333:
	v_lshlrev_b32_e32 v14, 2, v0
	ds_read_b32 v14, v14 offset:8192
	v_lshlrev_b32_e32 v13, 2, v13
	v_readfirstlane_b32 s6, v7
	v_readfirstlane_b32 s7, v8
	s_waitcnt lgkmcnt(0)
	s_nop 3
	global_store_dword v13, v14, s[6:7]
.LBB1575_334:
	s_or_b64 exec, exec, s[4:5]
                                        ; implicit-def: $vgpr13
.LBB1575_335:
	s_andn2_saveexec_b64 s[2:3], s[2:3]
	s_cbranch_execz .LBB1575_337
; %bb.336:
	v_lshlrev_b32_e32 v14, 2, v0
	ds_read_b32 v14, v14 offset:8192
	v_lshlrev_b32_e32 v13, 2, v13
	v_readfirstlane_b32 s2, v9
	v_readfirstlane_b32 s3, v10
	s_waitcnt lgkmcnt(0)
	s_nop 3
	global_store_dword v13, v14, s[2:3]
.LBB1575_337:
	s_or_b64 exec, exec, s[0:1]
	v_or_b32_e32 v13, 0x900, v0
	v_cmp_gt_u32_e32 vcc, s18, v13
	s_and_saveexec_b64 s[0:1], vcc
	s_cbranch_execz .LBB1575_346
; %bb.338:
	v_cmp_ge_u32_e32 vcc, v13, v1
	s_and_saveexec_b64 s[2:3], vcc
	s_xor_b64 s[2:3], exec, s[2:3]
	s_cbranch_execz .LBB1575_344
; %bb.339:
	v_cmp_ge_u32_e32 vcc, v13, v12
	s_and_saveexec_b64 s[4:5], vcc
	s_xor_b64 s[4:5], exec, s[4:5]
	s_cbranch_execz .LBB1575_341
; %bb.340:
	v_add_co_u32_e32 v13, vcc, v3, v13
	v_lshlrev_b32_e32 v15, 2, v0
	v_addc_co_u32_e32 v14, vcc, 0, v11, vcc
	ds_read_b32 v15, v15 offset:9216
	v_lshlrev_b64 v[13:14], 2, v[13:14]
	v_mov_b32_e32 v16, s47
	v_sub_co_u32_e32 v13, vcc, s46, v13
	v_subb_co_u32_e32 v14, vcc, v16, v14, vcc
	s_waitcnt lgkmcnt(0)
	global_store_dword v[13:14], v15, off offset:-4
                                        ; implicit-def: $vgpr13
.LBB1575_341:
	s_andn2_saveexec_b64 s[4:5], s[4:5]
	s_cbranch_execz .LBB1575_343
; %bb.342:
	v_lshlrev_b32_e32 v14, 2, v0
	ds_read_b32 v14, v14 offset:9216
	v_lshlrev_b32_e32 v13, 2, v13
	v_readfirstlane_b32 s6, v7
	v_readfirstlane_b32 s7, v8
	s_waitcnt lgkmcnt(0)
	s_nop 3
	global_store_dword v13, v14, s[6:7]
.LBB1575_343:
	s_or_b64 exec, exec, s[4:5]
                                        ; implicit-def: $vgpr13
.LBB1575_344:
	s_andn2_saveexec_b64 s[2:3], s[2:3]
	s_cbranch_execz .LBB1575_346
; %bb.345:
	v_lshlrev_b32_e32 v14, 2, v0
	ds_read_b32 v14, v14 offset:9216
	v_lshlrev_b32_e32 v13, 2, v13
	v_readfirstlane_b32 s2, v9
	v_readfirstlane_b32 s3, v10
	s_waitcnt lgkmcnt(0)
	s_nop 3
	global_store_dword v13, v14, s[2:3]
.LBB1575_346:
	s_or_b64 exec, exec, s[0:1]
	v_or_b32_e32 v13, 0xa00, v0
	v_cmp_gt_u32_e32 vcc, s18, v13
	s_and_saveexec_b64 s[0:1], vcc
	s_cbranch_execz .LBB1575_355
; %bb.347:
	v_cmp_ge_u32_e32 vcc, v13, v1
	s_and_saveexec_b64 s[2:3], vcc
	s_xor_b64 s[2:3], exec, s[2:3]
	s_cbranch_execz .LBB1575_353
; %bb.348:
	v_cmp_ge_u32_e32 vcc, v13, v12
	s_and_saveexec_b64 s[4:5], vcc
	s_xor_b64 s[4:5], exec, s[4:5]
	s_cbranch_execz .LBB1575_350
; %bb.349:
	v_add_co_u32_e32 v13, vcc, v3, v13
	v_lshlrev_b32_e32 v15, 2, v0
	v_addc_co_u32_e32 v14, vcc, 0, v11, vcc
	ds_read_b32 v15, v15 offset:10240
	v_lshlrev_b64 v[13:14], 2, v[13:14]
	v_mov_b32_e32 v16, s47
	v_sub_co_u32_e32 v13, vcc, s46, v13
	v_subb_co_u32_e32 v14, vcc, v16, v14, vcc
	s_waitcnt lgkmcnt(0)
	global_store_dword v[13:14], v15, off offset:-4
                                        ; implicit-def: $vgpr13
.LBB1575_350:
	s_andn2_saveexec_b64 s[4:5], s[4:5]
	s_cbranch_execz .LBB1575_352
; %bb.351:
	v_lshlrev_b32_e32 v14, 2, v0
	ds_read_b32 v14, v14 offset:10240
	v_lshlrev_b32_e32 v13, 2, v13
	v_readfirstlane_b32 s6, v7
	v_readfirstlane_b32 s7, v8
	s_waitcnt lgkmcnt(0)
	s_nop 3
	global_store_dword v13, v14, s[6:7]
.LBB1575_352:
	s_or_b64 exec, exec, s[4:5]
                                        ; implicit-def: $vgpr13
.LBB1575_353:
	s_andn2_saveexec_b64 s[2:3], s[2:3]
	s_cbranch_execz .LBB1575_355
; %bb.354:
	v_lshlrev_b32_e32 v14, 2, v0
	ds_read_b32 v14, v14 offset:10240
	v_lshlrev_b32_e32 v13, 2, v13
	v_readfirstlane_b32 s2, v9
	v_readfirstlane_b32 s3, v10
	s_waitcnt lgkmcnt(0)
	s_nop 3
	global_store_dword v13, v14, s[2:3]
.LBB1575_355:
	s_or_b64 exec, exec, s[0:1]
	v_or_b32_e32 v13, 0xb00, v0
	v_cmp_gt_u32_e32 vcc, s18, v13
	s_and_saveexec_b64 s[0:1], vcc
	s_cbranch_execz .LBB1575_364
; %bb.356:
	v_cmp_ge_u32_e32 vcc, v13, v1
	s_and_saveexec_b64 s[2:3], vcc
	s_xor_b64 s[2:3], exec, s[2:3]
	s_cbranch_execz .LBB1575_362
; %bb.357:
	v_cmp_ge_u32_e32 vcc, v13, v12
	s_and_saveexec_b64 s[4:5], vcc
	s_xor_b64 s[4:5], exec, s[4:5]
	s_cbranch_execz .LBB1575_359
; %bb.358:
	v_add_co_u32_e32 v13, vcc, v3, v13
	v_lshlrev_b32_e32 v15, 2, v0
	v_addc_co_u32_e32 v14, vcc, 0, v11, vcc
	ds_read_b32 v15, v15 offset:11264
	v_lshlrev_b64 v[13:14], 2, v[13:14]
	v_mov_b32_e32 v16, s47
	v_sub_co_u32_e32 v13, vcc, s46, v13
	v_subb_co_u32_e32 v14, vcc, v16, v14, vcc
	s_waitcnt lgkmcnt(0)
	global_store_dword v[13:14], v15, off offset:-4
                                        ; implicit-def: $vgpr13
.LBB1575_359:
	s_andn2_saveexec_b64 s[4:5], s[4:5]
	s_cbranch_execz .LBB1575_361
; %bb.360:
	v_lshlrev_b32_e32 v14, 2, v0
	ds_read_b32 v14, v14 offset:11264
	v_lshlrev_b32_e32 v13, 2, v13
	v_readfirstlane_b32 s6, v7
	v_readfirstlane_b32 s7, v8
	s_waitcnt lgkmcnt(0)
	s_nop 3
	global_store_dword v13, v14, s[6:7]
.LBB1575_361:
	s_or_b64 exec, exec, s[4:5]
                                        ; implicit-def: $vgpr13
.LBB1575_362:
	s_andn2_saveexec_b64 s[2:3], s[2:3]
	s_cbranch_execz .LBB1575_364
; %bb.363:
	v_lshlrev_b32_e32 v14, 2, v0
	ds_read_b32 v14, v14 offset:11264
	v_lshlrev_b32_e32 v13, 2, v13
	v_readfirstlane_b32 s2, v9
	v_readfirstlane_b32 s3, v10
	s_waitcnt lgkmcnt(0)
	s_nop 3
	global_store_dword v13, v14, s[2:3]
.LBB1575_364:
	s_or_b64 exec, exec, s[0:1]
	v_or_b32_e32 v13, 0xc00, v0
	v_cmp_gt_u32_e32 vcc, s18, v13
	s_and_saveexec_b64 s[0:1], vcc
	s_cbranch_execz .LBB1575_373
; %bb.365:
	v_cmp_ge_u32_e32 vcc, v13, v1
	s_and_saveexec_b64 s[2:3], vcc
	s_xor_b64 s[2:3], exec, s[2:3]
	s_cbranch_execz .LBB1575_371
; %bb.366:
	v_cmp_ge_u32_e32 vcc, v13, v12
	s_and_saveexec_b64 s[4:5], vcc
	s_xor_b64 s[4:5], exec, s[4:5]
	s_cbranch_execz .LBB1575_368
; %bb.367:
	v_add_co_u32_e32 v7, vcc, v3, v13
	v_lshlrev_b32_e32 v3, 2, v0
	v_addc_co_u32_e32 v8, vcc, 0, v11, vcc
	ds_read_b32 v3, v3 offset:12288
	v_lshlrev_b64 v[7:8], 2, v[7:8]
	v_mov_b32_e32 v9, s47
	v_sub_co_u32_e32 v7, vcc, s46, v7
	v_subb_co_u32_e32 v8, vcc, v9, v8, vcc
	s_waitcnt lgkmcnt(0)
	global_store_dword v[7:8], v3, off offset:-4
                                        ; implicit-def: $vgpr13
                                        ; implicit-def: $vgpr7_vgpr8
.LBB1575_368:
	s_andn2_saveexec_b64 s[4:5], s[4:5]
	s_cbranch_execz .LBB1575_370
; %bb.369:
	v_lshlrev_b32_e32 v3, 2, v0
	ds_read_b32 v3, v3 offset:12288
	v_lshlrev_b32_e32 v9, 2, v13
	v_readfirstlane_b32 s6, v7
	v_readfirstlane_b32 s7, v8
	s_waitcnt lgkmcnt(0)
	s_nop 3
	global_store_dword v9, v3, s[6:7]
.LBB1575_370:
	s_or_b64 exec, exec, s[4:5]
                                        ; implicit-def: $vgpr13
                                        ; implicit-def: $vgpr9_vgpr10
.LBB1575_371:
	s_andn2_saveexec_b64 s[2:3], s[2:3]
	s_cbranch_execz .LBB1575_373
; %bb.372:
	v_lshlrev_b32_e32 v3, 2, v0
	ds_read_b32 v3, v3 offset:12288
	v_lshlrev_b32_e32 v7, 2, v13
	v_readfirstlane_b32 s2, v9
	v_readfirstlane_b32 s3, v10
	s_waitcnt lgkmcnt(0)
	s_nop 3
	global_store_dword v7, v3, s[2:3]
.LBB1575_373:
	s_or_b64 exec, exec, s[0:1]
	v_cmp_eq_u32_e32 vcc, 0, v0
	s_and_b64 s[0:1], vcc, s[34:35]
	s_and_saveexec_b64 s[2:3], s[0:1]
	s_cbranch_execz .LBB1575_150
.LBB1575_374:
	v_mov_b32_e32 v0, s51
	v_add_co_u32_e32 v2, vcc, s50, v2
	v_addc_co_u32_e32 v0, vcc, 0, v0, vcc
	v_add_co_u32_e32 v2, vcc, v2, v4
	v_addc_co_u32_e32 v3, vcc, 0, v0, vcc
	v_add_co_u32_e32 v0, vcc, v5, v1
	v_mov_b32_e32 v7, 0
	v_addc_co_u32_e32 v1, vcc, 0, v6, vcc
	global_store_dwordx4 v7, v[0:3], s[44:45]
	s_endpgm
.LBB1575_375:
	s_add_i32 s6, s6, 64
	s_mov_b32 s7, 0
	s_lshl_b64 s[6:7], s[6:7], 4
	s_add_u32 s6, s12, s6
	s_addc_u32 s7, s13, s7
	v_mov_b32_e32 v24, s7
	v_add_u32_e32 v6, v4, v2
	v_add_u32_e32 v5, v3, v1
	v_mov_b32_e32 v7, 2
	v_mov_b32_e32 v8, 0
	;; [unrolled: 1-line block ×3, first 2 shown]
	;;#ASMSTART
	global_store_dwordx4 v[23:24], v[5:8] off	
s_waitcnt vmcnt(0)
	;;#ASMEND
	s_or_b64 exec, exec, s[14:15]
	s_and_saveexec_b64 s[6:7], s[8:9]
	s_cbranch_execz .LBB1575_135
.LBB1575_376:
	v_mov_b32_e32 v5, 0
	ds_write_b128 v5, v[1:4] offset:13312
	s_or_b64 exec, exec, s[6:7]
	v_cmp_eq_u32_e32 vcc, 0, v0
	s_and_b64 exec, exec, vcc
	s_cbranch_execnz .LBB1575_136
	s_branch .LBB1575_137
	.section	.rodata,"a",@progbits
	.p2align	6, 0x0
	.amdhsa_kernel _ZN7rocprim17ROCPRIM_400000_NS6detail17trampoline_kernelINS0_13select_configILj256ELj13ELNS0_17block_load_methodE3ELS4_3ELS4_3ELNS0_20block_scan_algorithmE0ELj4294967295EEENS1_25partition_config_selectorILNS1_17partition_subalgoE4EjNS0_10empty_typeEbEEZZNS1_14partition_implILS8_4ELb0ES6_15HIP_vector_typeIjLj2EENS0_17counting_iteratorIjlEEPS9_SG_NS0_5tupleIJPjSI_NS0_16reverse_iteratorISI_EEEEENSH_IJSG_SG_SG_EEES9_SI_JZNS1_25segmented_radix_sort_implINS0_14default_configELb0EPKbPbPKlPlN2at6native12_GLOBAL__N_18offset_tEEE10hipError_tPvRmT1_PNSt15iterator_traitsIS12_E10value_typeET2_T3_PNS13_IS18_E10value_typeET4_jRbjT5_S1E_jjP12ihipStream_tbEUljE_ZNSN_ISO_Lb0ESQ_SR_ST_SU_SY_EESZ_S10_S11_S12_S16_S17_S18_S1B_S1C_jS1D_jS1E_S1E_jjS1G_bEUljE0_EEESZ_S10_S11_S18_S1C_S1E_T6_T7_T9_mT8_S1G_bDpT10_ENKUlT_T0_E_clISt17integral_constantIbLb0EES1U_EEDaS1P_S1Q_EUlS1P_E_NS1_11comp_targetILNS1_3genE2ELNS1_11target_archE906ELNS1_3gpuE6ELNS1_3repE0EEENS1_30default_config_static_selectorELNS0_4arch9wavefront6targetE1EEEvS12_
		.amdhsa_group_segment_fixed_size 13328
		.amdhsa_private_segment_fixed_size 0
		.amdhsa_kernarg_size 176
		.amdhsa_user_sgpr_count 6
		.amdhsa_user_sgpr_private_segment_buffer 1
		.amdhsa_user_sgpr_dispatch_ptr 0
		.amdhsa_user_sgpr_queue_ptr 0
		.amdhsa_user_sgpr_kernarg_segment_ptr 1
		.amdhsa_user_sgpr_dispatch_id 0
		.amdhsa_user_sgpr_flat_scratch_init 0
		.amdhsa_user_sgpr_private_segment_size 0
		.amdhsa_uses_dynamic_stack 0
		.amdhsa_system_sgpr_private_segment_wavefront_offset 0
		.amdhsa_system_sgpr_workgroup_id_x 1
		.amdhsa_system_sgpr_workgroup_id_y 0
		.amdhsa_system_sgpr_workgroup_id_z 0
		.amdhsa_system_sgpr_workgroup_info 0
		.amdhsa_system_vgpr_workitem_id 0
		.amdhsa_next_free_vgpr 86
		.amdhsa_next_free_sgpr 98
		.amdhsa_reserve_vcc 1
		.amdhsa_reserve_flat_scratch 0
		.amdhsa_float_round_mode_32 0
		.amdhsa_float_round_mode_16_64 0
		.amdhsa_float_denorm_mode_32 3
		.amdhsa_float_denorm_mode_16_64 3
		.amdhsa_dx10_clamp 1
		.amdhsa_ieee_mode 1
		.amdhsa_fp16_overflow 0
		.amdhsa_exception_fp_ieee_invalid_op 0
		.amdhsa_exception_fp_denorm_src 0
		.amdhsa_exception_fp_ieee_div_zero 0
		.amdhsa_exception_fp_ieee_overflow 0
		.amdhsa_exception_fp_ieee_underflow 0
		.amdhsa_exception_fp_ieee_inexact 0
		.amdhsa_exception_int_div_zero 0
	.end_amdhsa_kernel
	.section	.text._ZN7rocprim17ROCPRIM_400000_NS6detail17trampoline_kernelINS0_13select_configILj256ELj13ELNS0_17block_load_methodE3ELS4_3ELS4_3ELNS0_20block_scan_algorithmE0ELj4294967295EEENS1_25partition_config_selectorILNS1_17partition_subalgoE4EjNS0_10empty_typeEbEEZZNS1_14partition_implILS8_4ELb0ES6_15HIP_vector_typeIjLj2EENS0_17counting_iteratorIjlEEPS9_SG_NS0_5tupleIJPjSI_NS0_16reverse_iteratorISI_EEEEENSH_IJSG_SG_SG_EEES9_SI_JZNS1_25segmented_radix_sort_implINS0_14default_configELb0EPKbPbPKlPlN2at6native12_GLOBAL__N_18offset_tEEE10hipError_tPvRmT1_PNSt15iterator_traitsIS12_E10value_typeET2_T3_PNS13_IS18_E10value_typeET4_jRbjT5_S1E_jjP12ihipStream_tbEUljE_ZNSN_ISO_Lb0ESQ_SR_ST_SU_SY_EESZ_S10_S11_S12_S16_S17_S18_S1B_S1C_jS1D_jS1E_S1E_jjS1G_bEUljE0_EEESZ_S10_S11_S18_S1C_S1E_T6_T7_T9_mT8_S1G_bDpT10_ENKUlT_T0_E_clISt17integral_constantIbLb0EES1U_EEDaS1P_S1Q_EUlS1P_E_NS1_11comp_targetILNS1_3genE2ELNS1_11target_archE906ELNS1_3gpuE6ELNS1_3repE0EEENS1_30default_config_static_selectorELNS0_4arch9wavefront6targetE1EEEvS12_,"axG",@progbits,_ZN7rocprim17ROCPRIM_400000_NS6detail17trampoline_kernelINS0_13select_configILj256ELj13ELNS0_17block_load_methodE3ELS4_3ELS4_3ELNS0_20block_scan_algorithmE0ELj4294967295EEENS1_25partition_config_selectorILNS1_17partition_subalgoE4EjNS0_10empty_typeEbEEZZNS1_14partition_implILS8_4ELb0ES6_15HIP_vector_typeIjLj2EENS0_17counting_iteratorIjlEEPS9_SG_NS0_5tupleIJPjSI_NS0_16reverse_iteratorISI_EEEEENSH_IJSG_SG_SG_EEES9_SI_JZNS1_25segmented_radix_sort_implINS0_14default_configELb0EPKbPbPKlPlN2at6native12_GLOBAL__N_18offset_tEEE10hipError_tPvRmT1_PNSt15iterator_traitsIS12_E10value_typeET2_T3_PNS13_IS18_E10value_typeET4_jRbjT5_S1E_jjP12ihipStream_tbEUljE_ZNSN_ISO_Lb0ESQ_SR_ST_SU_SY_EESZ_S10_S11_S12_S16_S17_S18_S1B_S1C_jS1D_jS1E_S1E_jjS1G_bEUljE0_EEESZ_S10_S11_S18_S1C_S1E_T6_T7_T9_mT8_S1G_bDpT10_ENKUlT_T0_E_clISt17integral_constantIbLb0EES1U_EEDaS1P_S1Q_EUlS1P_E_NS1_11comp_targetILNS1_3genE2ELNS1_11target_archE906ELNS1_3gpuE6ELNS1_3repE0EEENS1_30default_config_static_selectorELNS0_4arch9wavefront6targetE1EEEvS12_,comdat
.Lfunc_end1575:
	.size	_ZN7rocprim17ROCPRIM_400000_NS6detail17trampoline_kernelINS0_13select_configILj256ELj13ELNS0_17block_load_methodE3ELS4_3ELS4_3ELNS0_20block_scan_algorithmE0ELj4294967295EEENS1_25partition_config_selectorILNS1_17partition_subalgoE4EjNS0_10empty_typeEbEEZZNS1_14partition_implILS8_4ELb0ES6_15HIP_vector_typeIjLj2EENS0_17counting_iteratorIjlEEPS9_SG_NS0_5tupleIJPjSI_NS0_16reverse_iteratorISI_EEEEENSH_IJSG_SG_SG_EEES9_SI_JZNS1_25segmented_radix_sort_implINS0_14default_configELb0EPKbPbPKlPlN2at6native12_GLOBAL__N_18offset_tEEE10hipError_tPvRmT1_PNSt15iterator_traitsIS12_E10value_typeET2_T3_PNS13_IS18_E10value_typeET4_jRbjT5_S1E_jjP12ihipStream_tbEUljE_ZNSN_ISO_Lb0ESQ_SR_ST_SU_SY_EESZ_S10_S11_S12_S16_S17_S18_S1B_S1C_jS1D_jS1E_S1E_jjS1G_bEUljE0_EEESZ_S10_S11_S18_S1C_S1E_T6_T7_T9_mT8_S1G_bDpT10_ENKUlT_T0_E_clISt17integral_constantIbLb0EES1U_EEDaS1P_S1Q_EUlS1P_E_NS1_11comp_targetILNS1_3genE2ELNS1_11target_archE906ELNS1_3gpuE6ELNS1_3repE0EEENS1_30default_config_static_selectorELNS0_4arch9wavefront6targetE1EEEvS12_, .Lfunc_end1575-_ZN7rocprim17ROCPRIM_400000_NS6detail17trampoline_kernelINS0_13select_configILj256ELj13ELNS0_17block_load_methodE3ELS4_3ELS4_3ELNS0_20block_scan_algorithmE0ELj4294967295EEENS1_25partition_config_selectorILNS1_17partition_subalgoE4EjNS0_10empty_typeEbEEZZNS1_14partition_implILS8_4ELb0ES6_15HIP_vector_typeIjLj2EENS0_17counting_iteratorIjlEEPS9_SG_NS0_5tupleIJPjSI_NS0_16reverse_iteratorISI_EEEEENSH_IJSG_SG_SG_EEES9_SI_JZNS1_25segmented_radix_sort_implINS0_14default_configELb0EPKbPbPKlPlN2at6native12_GLOBAL__N_18offset_tEEE10hipError_tPvRmT1_PNSt15iterator_traitsIS12_E10value_typeET2_T3_PNS13_IS18_E10value_typeET4_jRbjT5_S1E_jjP12ihipStream_tbEUljE_ZNSN_ISO_Lb0ESQ_SR_ST_SU_SY_EESZ_S10_S11_S12_S16_S17_S18_S1B_S1C_jS1D_jS1E_S1E_jjS1G_bEUljE0_EEESZ_S10_S11_S18_S1C_S1E_T6_T7_T9_mT8_S1G_bDpT10_ENKUlT_T0_E_clISt17integral_constantIbLb0EES1U_EEDaS1P_S1Q_EUlS1P_E_NS1_11comp_targetILNS1_3genE2ELNS1_11target_archE906ELNS1_3gpuE6ELNS1_3repE0EEENS1_30default_config_static_selectorELNS0_4arch9wavefront6targetE1EEEvS12_
                                        ; -- End function
	.set _ZN7rocprim17ROCPRIM_400000_NS6detail17trampoline_kernelINS0_13select_configILj256ELj13ELNS0_17block_load_methodE3ELS4_3ELS4_3ELNS0_20block_scan_algorithmE0ELj4294967295EEENS1_25partition_config_selectorILNS1_17partition_subalgoE4EjNS0_10empty_typeEbEEZZNS1_14partition_implILS8_4ELb0ES6_15HIP_vector_typeIjLj2EENS0_17counting_iteratorIjlEEPS9_SG_NS0_5tupleIJPjSI_NS0_16reverse_iteratorISI_EEEEENSH_IJSG_SG_SG_EEES9_SI_JZNS1_25segmented_radix_sort_implINS0_14default_configELb0EPKbPbPKlPlN2at6native12_GLOBAL__N_18offset_tEEE10hipError_tPvRmT1_PNSt15iterator_traitsIS12_E10value_typeET2_T3_PNS13_IS18_E10value_typeET4_jRbjT5_S1E_jjP12ihipStream_tbEUljE_ZNSN_ISO_Lb0ESQ_SR_ST_SU_SY_EESZ_S10_S11_S12_S16_S17_S18_S1B_S1C_jS1D_jS1E_S1E_jjS1G_bEUljE0_EEESZ_S10_S11_S18_S1C_S1E_T6_T7_T9_mT8_S1G_bDpT10_ENKUlT_T0_E_clISt17integral_constantIbLb0EES1U_EEDaS1P_S1Q_EUlS1P_E_NS1_11comp_targetILNS1_3genE2ELNS1_11target_archE906ELNS1_3gpuE6ELNS1_3repE0EEENS1_30default_config_static_selectorELNS0_4arch9wavefront6targetE1EEEvS12_.num_vgpr, 86
	.set _ZN7rocprim17ROCPRIM_400000_NS6detail17trampoline_kernelINS0_13select_configILj256ELj13ELNS0_17block_load_methodE3ELS4_3ELS4_3ELNS0_20block_scan_algorithmE0ELj4294967295EEENS1_25partition_config_selectorILNS1_17partition_subalgoE4EjNS0_10empty_typeEbEEZZNS1_14partition_implILS8_4ELb0ES6_15HIP_vector_typeIjLj2EENS0_17counting_iteratorIjlEEPS9_SG_NS0_5tupleIJPjSI_NS0_16reverse_iteratorISI_EEEEENSH_IJSG_SG_SG_EEES9_SI_JZNS1_25segmented_radix_sort_implINS0_14default_configELb0EPKbPbPKlPlN2at6native12_GLOBAL__N_18offset_tEEE10hipError_tPvRmT1_PNSt15iterator_traitsIS12_E10value_typeET2_T3_PNS13_IS18_E10value_typeET4_jRbjT5_S1E_jjP12ihipStream_tbEUljE_ZNSN_ISO_Lb0ESQ_SR_ST_SU_SY_EESZ_S10_S11_S12_S16_S17_S18_S1B_S1C_jS1D_jS1E_S1E_jjS1G_bEUljE0_EEESZ_S10_S11_S18_S1C_S1E_T6_T7_T9_mT8_S1G_bDpT10_ENKUlT_T0_E_clISt17integral_constantIbLb0EES1U_EEDaS1P_S1Q_EUlS1P_E_NS1_11comp_targetILNS1_3genE2ELNS1_11target_archE906ELNS1_3gpuE6ELNS1_3repE0EEENS1_30default_config_static_selectorELNS0_4arch9wavefront6targetE1EEEvS12_.num_agpr, 0
	.set _ZN7rocprim17ROCPRIM_400000_NS6detail17trampoline_kernelINS0_13select_configILj256ELj13ELNS0_17block_load_methodE3ELS4_3ELS4_3ELNS0_20block_scan_algorithmE0ELj4294967295EEENS1_25partition_config_selectorILNS1_17partition_subalgoE4EjNS0_10empty_typeEbEEZZNS1_14partition_implILS8_4ELb0ES6_15HIP_vector_typeIjLj2EENS0_17counting_iteratorIjlEEPS9_SG_NS0_5tupleIJPjSI_NS0_16reverse_iteratorISI_EEEEENSH_IJSG_SG_SG_EEES9_SI_JZNS1_25segmented_radix_sort_implINS0_14default_configELb0EPKbPbPKlPlN2at6native12_GLOBAL__N_18offset_tEEE10hipError_tPvRmT1_PNSt15iterator_traitsIS12_E10value_typeET2_T3_PNS13_IS18_E10value_typeET4_jRbjT5_S1E_jjP12ihipStream_tbEUljE_ZNSN_ISO_Lb0ESQ_SR_ST_SU_SY_EESZ_S10_S11_S12_S16_S17_S18_S1B_S1C_jS1D_jS1E_S1E_jjS1G_bEUljE0_EEESZ_S10_S11_S18_S1C_S1E_T6_T7_T9_mT8_S1G_bDpT10_ENKUlT_T0_E_clISt17integral_constantIbLb0EES1U_EEDaS1P_S1Q_EUlS1P_E_NS1_11comp_targetILNS1_3genE2ELNS1_11target_archE906ELNS1_3gpuE6ELNS1_3repE0EEENS1_30default_config_static_selectorELNS0_4arch9wavefront6targetE1EEEvS12_.numbered_sgpr, 90
	.set _ZN7rocprim17ROCPRIM_400000_NS6detail17trampoline_kernelINS0_13select_configILj256ELj13ELNS0_17block_load_methodE3ELS4_3ELS4_3ELNS0_20block_scan_algorithmE0ELj4294967295EEENS1_25partition_config_selectorILNS1_17partition_subalgoE4EjNS0_10empty_typeEbEEZZNS1_14partition_implILS8_4ELb0ES6_15HIP_vector_typeIjLj2EENS0_17counting_iteratorIjlEEPS9_SG_NS0_5tupleIJPjSI_NS0_16reverse_iteratorISI_EEEEENSH_IJSG_SG_SG_EEES9_SI_JZNS1_25segmented_radix_sort_implINS0_14default_configELb0EPKbPbPKlPlN2at6native12_GLOBAL__N_18offset_tEEE10hipError_tPvRmT1_PNSt15iterator_traitsIS12_E10value_typeET2_T3_PNS13_IS18_E10value_typeET4_jRbjT5_S1E_jjP12ihipStream_tbEUljE_ZNSN_ISO_Lb0ESQ_SR_ST_SU_SY_EESZ_S10_S11_S12_S16_S17_S18_S1B_S1C_jS1D_jS1E_S1E_jjS1G_bEUljE0_EEESZ_S10_S11_S18_S1C_S1E_T6_T7_T9_mT8_S1G_bDpT10_ENKUlT_T0_E_clISt17integral_constantIbLb0EES1U_EEDaS1P_S1Q_EUlS1P_E_NS1_11comp_targetILNS1_3genE2ELNS1_11target_archE906ELNS1_3gpuE6ELNS1_3repE0EEENS1_30default_config_static_selectorELNS0_4arch9wavefront6targetE1EEEvS12_.num_named_barrier, 0
	.set _ZN7rocprim17ROCPRIM_400000_NS6detail17trampoline_kernelINS0_13select_configILj256ELj13ELNS0_17block_load_methodE3ELS4_3ELS4_3ELNS0_20block_scan_algorithmE0ELj4294967295EEENS1_25partition_config_selectorILNS1_17partition_subalgoE4EjNS0_10empty_typeEbEEZZNS1_14partition_implILS8_4ELb0ES6_15HIP_vector_typeIjLj2EENS0_17counting_iteratorIjlEEPS9_SG_NS0_5tupleIJPjSI_NS0_16reverse_iteratorISI_EEEEENSH_IJSG_SG_SG_EEES9_SI_JZNS1_25segmented_radix_sort_implINS0_14default_configELb0EPKbPbPKlPlN2at6native12_GLOBAL__N_18offset_tEEE10hipError_tPvRmT1_PNSt15iterator_traitsIS12_E10value_typeET2_T3_PNS13_IS18_E10value_typeET4_jRbjT5_S1E_jjP12ihipStream_tbEUljE_ZNSN_ISO_Lb0ESQ_SR_ST_SU_SY_EESZ_S10_S11_S12_S16_S17_S18_S1B_S1C_jS1D_jS1E_S1E_jjS1G_bEUljE0_EEESZ_S10_S11_S18_S1C_S1E_T6_T7_T9_mT8_S1G_bDpT10_ENKUlT_T0_E_clISt17integral_constantIbLb0EES1U_EEDaS1P_S1Q_EUlS1P_E_NS1_11comp_targetILNS1_3genE2ELNS1_11target_archE906ELNS1_3gpuE6ELNS1_3repE0EEENS1_30default_config_static_selectorELNS0_4arch9wavefront6targetE1EEEvS12_.private_seg_size, 0
	.set _ZN7rocprim17ROCPRIM_400000_NS6detail17trampoline_kernelINS0_13select_configILj256ELj13ELNS0_17block_load_methodE3ELS4_3ELS4_3ELNS0_20block_scan_algorithmE0ELj4294967295EEENS1_25partition_config_selectorILNS1_17partition_subalgoE4EjNS0_10empty_typeEbEEZZNS1_14partition_implILS8_4ELb0ES6_15HIP_vector_typeIjLj2EENS0_17counting_iteratorIjlEEPS9_SG_NS0_5tupleIJPjSI_NS0_16reverse_iteratorISI_EEEEENSH_IJSG_SG_SG_EEES9_SI_JZNS1_25segmented_radix_sort_implINS0_14default_configELb0EPKbPbPKlPlN2at6native12_GLOBAL__N_18offset_tEEE10hipError_tPvRmT1_PNSt15iterator_traitsIS12_E10value_typeET2_T3_PNS13_IS18_E10value_typeET4_jRbjT5_S1E_jjP12ihipStream_tbEUljE_ZNSN_ISO_Lb0ESQ_SR_ST_SU_SY_EESZ_S10_S11_S12_S16_S17_S18_S1B_S1C_jS1D_jS1E_S1E_jjS1G_bEUljE0_EEESZ_S10_S11_S18_S1C_S1E_T6_T7_T9_mT8_S1G_bDpT10_ENKUlT_T0_E_clISt17integral_constantIbLb0EES1U_EEDaS1P_S1Q_EUlS1P_E_NS1_11comp_targetILNS1_3genE2ELNS1_11target_archE906ELNS1_3gpuE6ELNS1_3repE0EEENS1_30default_config_static_selectorELNS0_4arch9wavefront6targetE1EEEvS12_.uses_vcc, 1
	.set _ZN7rocprim17ROCPRIM_400000_NS6detail17trampoline_kernelINS0_13select_configILj256ELj13ELNS0_17block_load_methodE3ELS4_3ELS4_3ELNS0_20block_scan_algorithmE0ELj4294967295EEENS1_25partition_config_selectorILNS1_17partition_subalgoE4EjNS0_10empty_typeEbEEZZNS1_14partition_implILS8_4ELb0ES6_15HIP_vector_typeIjLj2EENS0_17counting_iteratorIjlEEPS9_SG_NS0_5tupleIJPjSI_NS0_16reverse_iteratorISI_EEEEENSH_IJSG_SG_SG_EEES9_SI_JZNS1_25segmented_radix_sort_implINS0_14default_configELb0EPKbPbPKlPlN2at6native12_GLOBAL__N_18offset_tEEE10hipError_tPvRmT1_PNSt15iterator_traitsIS12_E10value_typeET2_T3_PNS13_IS18_E10value_typeET4_jRbjT5_S1E_jjP12ihipStream_tbEUljE_ZNSN_ISO_Lb0ESQ_SR_ST_SU_SY_EESZ_S10_S11_S12_S16_S17_S18_S1B_S1C_jS1D_jS1E_S1E_jjS1G_bEUljE0_EEESZ_S10_S11_S18_S1C_S1E_T6_T7_T9_mT8_S1G_bDpT10_ENKUlT_T0_E_clISt17integral_constantIbLb0EES1U_EEDaS1P_S1Q_EUlS1P_E_NS1_11comp_targetILNS1_3genE2ELNS1_11target_archE906ELNS1_3gpuE6ELNS1_3repE0EEENS1_30default_config_static_selectorELNS0_4arch9wavefront6targetE1EEEvS12_.uses_flat_scratch, 0
	.set _ZN7rocprim17ROCPRIM_400000_NS6detail17trampoline_kernelINS0_13select_configILj256ELj13ELNS0_17block_load_methodE3ELS4_3ELS4_3ELNS0_20block_scan_algorithmE0ELj4294967295EEENS1_25partition_config_selectorILNS1_17partition_subalgoE4EjNS0_10empty_typeEbEEZZNS1_14partition_implILS8_4ELb0ES6_15HIP_vector_typeIjLj2EENS0_17counting_iteratorIjlEEPS9_SG_NS0_5tupleIJPjSI_NS0_16reverse_iteratorISI_EEEEENSH_IJSG_SG_SG_EEES9_SI_JZNS1_25segmented_radix_sort_implINS0_14default_configELb0EPKbPbPKlPlN2at6native12_GLOBAL__N_18offset_tEEE10hipError_tPvRmT1_PNSt15iterator_traitsIS12_E10value_typeET2_T3_PNS13_IS18_E10value_typeET4_jRbjT5_S1E_jjP12ihipStream_tbEUljE_ZNSN_ISO_Lb0ESQ_SR_ST_SU_SY_EESZ_S10_S11_S12_S16_S17_S18_S1B_S1C_jS1D_jS1E_S1E_jjS1G_bEUljE0_EEESZ_S10_S11_S18_S1C_S1E_T6_T7_T9_mT8_S1G_bDpT10_ENKUlT_T0_E_clISt17integral_constantIbLb0EES1U_EEDaS1P_S1Q_EUlS1P_E_NS1_11comp_targetILNS1_3genE2ELNS1_11target_archE906ELNS1_3gpuE6ELNS1_3repE0EEENS1_30default_config_static_selectorELNS0_4arch9wavefront6targetE1EEEvS12_.has_dyn_sized_stack, 0
	.set _ZN7rocprim17ROCPRIM_400000_NS6detail17trampoline_kernelINS0_13select_configILj256ELj13ELNS0_17block_load_methodE3ELS4_3ELS4_3ELNS0_20block_scan_algorithmE0ELj4294967295EEENS1_25partition_config_selectorILNS1_17partition_subalgoE4EjNS0_10empty_typeEbEEZZNS1_14partition_implILS8_4ELb0ES6_15HIP_vector_typeIjLj2EENS0_17counting_iteratorIjlEEPS9_SG_NS0_5tupleIJPjSI_NS0_16reverse_iteratorISI_EEEEENSH_IJSG_SG_SG_EEES9_SI_JZNS1_25segmented_radix_sort_implINS0_14default_configELb0EPKbPbPKlPlN2at6native12_GLOBAL__N_18offset_tEEE10hipError_tPvRmT1_PNSt15iterator_traitsIS12_E10value_typeET2_T3_PNS13_IS18_E10value_typeET4_jRbjT5_S1E_jjP12ihipStream_tbEUljE_ZNSN_ISO_Lb0ESQ_SR_ST_SU_SY_EESZ_S10_S11_S12_S16_S17_S18_S1B_S1C_jS1D_jS1E_S1E_jjS1G_bEUljE0_EEESZ_S10_S11_S18_S1C_S1E_T6_T7_T9_mT8_S1G_bDpT10_ENKUlT_T0_E_clISt17integral_constantIbLb0EES1U_EEDaS1P_S1Q_EUlS1P_E_NS1_11comp_targetILNS1_3genE2ELNS1_11target_archE906ELNS1_3gpuE6ELNS1_3repE0EEENS1_30default_config_static_selectorELNS0_4arch9wavefront6targetE1EEEvS12_.has_recursion, 0
	.set _ZN7rocprim17ROCPRIM_400000_NS6detail17trampoline_kernelINS0_13select_configILj256ELj13ELNS0_17block_load_methodE3ELS4_3ELS4_3ELNS0_20block_scan_algorithmE0ELj4294967295EEENS1_25partition_config_selectorILNS1_17partition_subalgoE4EjNS0_10empty_typeEbEEZZNS1_14partition_implILS8_4ELb0ES6_15HIP_vector_typeIjLj2EENS0_17counting_iteratorIjlEEPS9_SG_NS0_5tupleIJPjSI_NS0_16reverse_iteratorISI_EEEEENSH_IJSG_SG_SG_EEES9_SI_JZNS1_25segmented_radix_sort_implINS0_14default_configELb0EPKbPbPKlPlN2at6native12_GLOBAL__N_18offset_tEEE10hipError_tPvRmT1_PNSt15iterator_traitsIS12_E10value_typeET2_T3_PNS13_IS18_E10value_typeET4_jRbjT5_S1E_jjP12ihipStream_tbEUljE_ZNSN_ISO_Lb0ESQ_SR_ST_SU_SY_EESZ_S10_S11_S12_S16_S17_S18_S1B_S1C_jS1D_jS1E_S1E_jjS1G_bEUljE0_EEESZ_S10_S11_S18_S1C_S1E_T6_T7_T9_mT8_S1G_bDpT10_ENKUlT_T0_E_clISt17integral_constantIbLb0EES1U_EEDaS1P_S1Q_EUlS1P_E_NS1_11comp_targetILNS1_3genE2ELNS1_11target_archE906ELNS1_3gpuE6ELNS1_3repE0EEENS1_30default_config_static_selectorELNS0_4arch9wavefront6targetE1EEEvS12_.has_indirect_call, 0
	.section	.AMDGPU.csdata,"",@progbits
; Kernel info:
; codeLenInByte = 15480
; TotalNumSgprs: 94
; NumVgprs: 86
; ScratchSize: 0
; MemoryBound: 0
; FloatMode: 240
; IeeeMode: 1
; LDSByteSize: 13328 bytes/workgroup (compile time only)
; SGPRBlocks: 12
; VGPRBlocks: 21
; NumSGPRsForWavesPerEU: 102
; NumVGPRsForWavesPerEU: 86
; Occupancy: 2
; WaveLimiterHint : 1
; COMPUTE_PGM_RSRC2:SCRATCH_EN: 0
; COMPUTE_PGM_RSRC2:USER_SGPR: 6
; COMPUTE_PGM_RSRC2:TRAP_HANDLER: 0
; COMPUTE_PGM_RSRC2:TGID_X_EN: 1
; COMPUTE_PGM_RSRC2:TGID_Y_EN: 0
; COMPUTE_PGM_RSRC2:TGID_Z_EN: 0
; COMPUTE_PGM_RSRC2:TIDIG_COMP_CNT: 0
	.section	.text._ZN7rocprim17ROCPRIM_400000_NS6detail17trampoline_kernelINS0_13select_configILj256ELj13ELNS0_17block_load_methodE3ELS4_3ELS4_3ELNS0_20block_scan_algorithmE0ELj4294967295EEENS1_25partition_config_selectorILNS1_17partition_subalgoE4EjNS0_10empty_typeEbEEZZNS1_14partition_implILS8_4ELb0ES6_15HIP_vector_typeIjLj2EENS0_17counting_iteratorIjlEEPS9_SG_NS0_5tupleIJPjSI_NS0_16reverse_iteratorISI_EEEEENSH_IJSG_SG_SG_EEES9_SI_JZNS1_25segmented_radix_sort_implINS0_14default_configELb0EPKbPbPKlPlN2at6native12_GLOBAL__N_18offset_tEEE10hipError_tPvRmT1_PNSt15iterator_traitsIS12_E10value_typeET2_T3_PNS13_IS18_E10value_typeET4_jRbjT5_S1E_jjP12ihipStream_tbEUljE_ZNSN_ISO_Lb0ESQ_SR_ST_SU_SY_EESZ_S10_S11_S12_S16_S17_S18_S1B_S1C_jS1D_jS1E_S1E_jjS1G_bEUljE0_EEESZ_S10_S11_S18_S1C_S1E_T6_T7_T9_mT8_S1G_bDpT10_ENKUlT_T0_E_clISt17integral_constantIbLb0EES1U_EEDaS1P_S1Q_EUlS1P_E_NS1_11comp_targetILNS1_3genE10ELNS1_11target_archE1200ELNS1_3gpuE4ELNS1_3repE0EEENS1_30default_config_static_selectorELNS0_4arch9wavefront6targetE1EEEvS12_,"axG",@progbits,_ZN7rocprim17ROCPRIM_400000_NS6detail17trampoline_kernelINS0_13select_configILj256ELj13ELNS0_17block_load_methodE3ELS4_3ELS4_3ELNS0_20block_scan_algorithmE0ELj4294967295EEENS1_25partition_config_selectorILNS1_17partition_subalgoE4EjNS0_10empty_typeEbEEZZNS1_14partition_implILS8_4ELb0ES6_15HIP_vector_typeIjLj2EENS0_17counting_iteratorIjlEEPS9_SG_NS0_5tupleIJPjSI_NS0_16reverse_iteratorISI_EEEEENSH_IJSG_SG_SG_EEES9_SI_JZNS1_25segmented_radix_sort_implINS0_14default_configELb0EPKbPbPKlPlN2at6native12_GLOBAL__N_18offset_tEEE10hipError_tPvRmT1_PNSt15iterator_traitsIS12_E10value_typeET2_T3_PNS13_IS18_E10value_typeET4_jRbjT5_S1E_jjP12ihipStream_tbEUljE_ZNSN_ISO_Lb0ESQ_SR_ST_SU_SY_EESZ_S10_S11_S12_S16_S17_S18_S1B_S1C_jS1D_jS1E_S1E_jjS1G_bEUljE0_EEESZ_S10_S11_S18_S1C_S1E_T6_T7_T9_mT8_S1G_bDpT10_ENKUlT_T0_E_clISt17integral_constantIbLb0EES1U_EEDaS1P_S1Q_EUlS1P_E_NS1_11comp_targetILNS1_3genE10ELNS1_11target_archE1200ELNS1_3gpuE4ELNS1_3repE0EEENS1_30default_config_static_selectorELNS0_4arch9wavefront6targetE1EEEvS12_,comdat
	.globl	_ZN7rocprim17ROCPRIM_400000_NS6detail17trampoline_kernelINS0_13select_configILj256ELj13ELNS0_17block_load_methodE3ELS4_3ELS4_3ELNS0_20block_scan_algorithmE0ELj4294967295EEENS1_25partition_config_selectorILNS1_17partition_subalgoE4EjNS0_10empty_typeEbEEZZNS1_14partition_implILS8_4ELb0ES6_15HIP_vector_typeIjLj2EENS0_17counting_iteratorIjlEEPS9_SG_NS0_5tupleIJPjSI_NS0_16reverse_iteratorISI_EEEEENSH_IJSG_SG_SG_EEES9_SI_JZNS1_25segmented_radix_sort_implINS0_14default_configELb0EPKbPbPKlPlN2at6native12_GLOBAL__N_18offset_tEEE10hipError_tPvRmT1_PNSt15iterator_traitsIS12_E10value_typeET2_T3_PNS13_IS18_E10value_typeET4_jRbjT5_S1E_jjP12ihipStream_tbEUljE_ZNSN_ISO_Lb0ESQ_SR_ST_SU_SY_EESZ_S10_S11_S12_S16_S17_S18_S1B_S1C_jS1D_jS1E_S1E_jjS1G_bEUljE0_EEESZ_S10_S11_S18_S1C_S1E_T6_T7_T9_mT8_S1G_bDpT10_ENKUlT_T0_E_clISt17integral_constantIbLb0EES1U_EEDaS1P_S1Q_EUlS1P_E_NS1_11comp_targetILNS1_3genE10ELNS1_11target_archE1200ELNS1_3gpuE4ELNS1_3repE0EEENS1_30default_config_static_selectorELNS0_4arch9wavefront6targetE1EEEvS12_ ; -- Begin function _ZN7rocprim17ROCPRIM_400000_NS6detail17trampoline_kernelINS0_13select_configILj256ELj13ELNS0_17block_load_methodE3ELS4_3ELS4_3ELNS0_20block_scan_algorithmE0ELj4294967295EEENS1_25partition_config_selectorILNS1_17partition_subalgoE4EjNS0_10empty_typeEbEEZZNS1_14partition_implILS8_4ELb0ES6_15HIP_vector_typeIjLj2EENS0_17counting_iteratorIjlEEPS9_SG_NS0_5tupleIJPjSI_NS0_16reverse_iteratorISI_EEEEENSH_IJSG_SG_SG_EEES9_SI_JZNS1_25segmented_radix_sort_implINS0_14default_configELb0EPKbPbPKlPlN2at6native12_GLOBAL__N_18offset_tEEE10hipError_tPvRmT1_PNSt15iterator_traitsIS12_E10value_typeET2_T3_PNS13_IS18_E10value_typeET4_jRbjT5_S1E_jjP12ihipStream_tbEUljE_ZNSN_ISO_Lb0ESQ_SR_ST_SU_SY_EESZ_S10_S11_S12_S16_S17_S18_S1B_S1C_jS1D_jS1E_S1E_jjS1G_bEUljE0_EEESZ_S10_S11_S18_S1C_S1E_T6_T7_T9_mT8_S1G_bDpT10_ENKUlT_T0_E_clISt17integral_constantIbLb0EES1U_EEDaS1P_S1Q_EUlS1P_E_NS1_11comp_targetILNS1_3genE10ELNS1_11target_archE1200ELNS1_3gpuE4ELNS1_3repE0EEENS1_30default_config_static_selectorELNS0_4arch9wavefront6targetE1EEEvS12_
	.p2align	8
	.type	_ZN7rocprim17ROCPRIM_400000_NS6detail17trampoline_kernelINS0_13select_configILj256ELj13ELNS0_17block_load_methodE3ELS4_3ELS4_3ELNS0_20block_scan_algorithmE0ELj4294967295EEENS1_25partition_config_selectorILNS1_17partition_subalgoE4EjNS0_10empty_typeEbEEZZNS1_14partition_implILS8_4ELb0ES6_15HIP_vector_typeIjLj2EENS0_17counting_iteratorIjlEEPS9_SG_NS0_5tupleIJPjSI_NS0_16reverse_iteratorISI_EEEEENSH_IJSG_SG_SG_EEES9_SI_JZNS1_25segmented_radix_sort_implINS0_14default_configELb0EPKbPbPKlPlN2at6native12_GLOBAL__N_18offset_tEEE10hipError_tPvRmT1_PNSt15iterator_traitsIS12_E10value_typeET2_T3_PNS13_IS18_E10value_typeET4_jRbjT5_S1E_jjP12ihipStream_tbEUljE_ZNSN_ISO_Lb0ESQ_SR_ST_SU_SY_EESZ_S10_S11_S12_S16_S17_S18_S1B_S1C_jS1D_jS1E_S1E_jjS1G_bEUljE0_EEESZ_S10_S11_S18_S1C_S1E_T6_T7_T9_mT8_S1G_bDpT10_ENKUlT_T0_E_clISt17integral_constantIbLb0EES1U_EEDaS1P_S1Q_EUlS1P_E_NS1_11comp_targetILNS1_3genE10ELNS1_11target_archE1200ELNS1_3gpuE4ELNS1_3repE0EEENS1_30default_config_static_selectorELNS0_4arch9wavefront6targetE1EEEvS12_,@function
_ZN7rocprim17ROCPRIM_400000_NS6detail17trampoline_kernelINS0_13select_configILj256ELj13ELNS0_17block_load_methodE3ELS4_3ELS4_3ELNS0_20block_scan_algorithmE0ELj4294967295EEENS1_25partition_config_selectorILNS1_17partition_subalgoE4EjNS0_10empty_typeEbEEZZNS1_14partition_implILS8_4ELb0ES6_15HIP_vector_typeIjLj2EENS0_17counting_iteratorIjlEEPS9_SG_NS0_5tupleIJPjSI_NS0_16reverse_iteratorISI_EEEEENSH_IJSG_SG_SG_EEES9_SI_JZNS1_25segmented_radix_sort_implINS0_14default_configELb0EPKbPbPKlPlN2at6native12_GLOBAL__N_18offset_tEEE10hipError_tPvRmT1_PNSt15iterator_traitsIS12_E10value_typeET2_T3_PNS13_IS18_E10value_typeET4_jRbjT5_S1E_jjP12ihipStream_tbEUljE_ZNSN_ISO_Lb0ESQ_SR_ST_SU_SY_EESZ_S10_S11_S12_S16_S17_S18_S1B_S1C_jS1D_jS1E_S1E_jjS1G_bEUljE0_EEESZ_S10_S11_S18_S1C_S1E_T6_T7_T9_mT8_S1G_bDpT10_ENKUlT_T0_E_clISt17integral_constantIbLb0EES1U_EEDaS1P_S1Q_EUlS1P_E_NS1_11comp_targetILNS1_3genE10ELNS1_11target_archE1200ELNS1_3gpuE4ELNS1_3repE0EEENS1_30default_config_static_selectorELNS0_4arch9wavefront6targetE1EEEvS12_: ; @_ZN7rocprim17ROCPRIM_400000_NS6detail17trampoline_kernelINS0_13select_configILj256ELj13ELNS0_17block_load_methodE3ELS4_3ELS4_3ELNS0_20block_scan_algorithmE0ELj4294967295EEENS1_25partition_config_selectorILNS1_17partition_subalgoE4EjNS0_10empty_typeEbEEZZNS1_14partition_implILS8_4ELb0ES6_15HIP_vector_typeIjLj2EENS0_17counting_iteratorIjlEEPS9_SG_NS0_5tupleIJPjSI_NS0_16reverse_iteratorISI_EEEEENSH_IJSG_SG_SG_EEES9_SI_JZNS1_25segmented_radix_sort_implINS0_14default_configELb0EPKbPbPKlPlN2at6native12_GLOBAL__N_18offset_tEEE10hipError_tPvRmT1_PNSt15iterator_traitsIS12_E10value_typeET2_T3_PNS13_IS18_E10value_typeET4_jRbjT5_S1E_jjP12ihipStream_tbEUljE_ZNSN_ISO_Lb0ESQ_SR_ST_SU_SY_EESZ_S10_S11_S12_S16_S17_S18_S1B_S1C_jS1D_jS1E_S1E_jjS1G_bEUljE0_EEESZ_S10_S11_S18_S1C_S1E_T6_T7_T9_mT8_S1G_bDpT10_ENKUlT_T0_E_clISt17integral_constantIbLb0EES1U_EEDaS1P_S1Q_EUlS1P_E_NS1_11comp_targetILNS1_3genE10ELNS1_11target_archE1200ELNS1_3gpuE4ELNS1_3repE0EEENS1_30default_config_static_selectorELNS0_4arch9wavefront6targetE1EEEvS12_
; %bb.0:
	.section	.rodata,"a",@progbits
	.p2align	6, 0x0
	.amdhsa_kernel _ZN7rocprim17ROCPRIM_400000_NS6detail17trampoline_kernelINS0_13select_configILj256ELj13ELNS0_17block_load_methodE3ELS4_3ELS4_3ELNS0_20block_scan_algorithmE0ELj4294967295EEENS1_25partition_config_selectorILNS1_17partition_subalgoE4EjNS0_10empty_typeEbEEZZNS1_14partition_implILS8_4ELb0ES6_15HIP_vector_typeIjLj2EENS0_17counting_iteratorIjlEEPS9_SG_NS0_5tupleIJPjSI_NS0_16reverse_iteratorISI_EEEEENSH_IJSG_SG_SG_EEES9_SI_JZNS1_25segmented_radix_sort_implINS0_14default_configELb0EPKbPbPKlPlN2at6native12_GLOBAL__N_18offset_tEEE10hipError_tPvRmT1_PNSt15iterator_traitsIS12_E10value_typeET2_T3_PNS13_IS18_E10value_typeET4_jRbjT5_S1E_jjP12ihipStream_tbEUljE_ZNSN_ISO_Lb0ESQ_SR_ST_SU_SY_EESZ_S10_S11_S12_S16_S17_S18_S1B_S1C_jS1D_jS1E_S1E_jjS1G_bEUljE0_EEESZ_S10_S11_S18_S1C_S1E_T6_T7_T9_mT8_S1G_bDpT10_ENKUlT_T0_E_clISt17integral_constantIbLb0EES1U_EEDaS1P_S1Q_EUlS1P_E_NS1_11comp_targetILNS1_3genE10ELNS1_11target_archE1200ELNS1_3gpuE4ELNS1_3repE0EEENS1_30default_config_static_selectorELNS0_4arch9wavefront6targetE1EEEvS12_
		.amdhsa_group_segment_fixed_size 0
		.amdhsa_private_segment_fixed_size 0
		.amdhsa_kernarg_size 176
		.amdhsa_user_sgpr_count 6
		.amdhsa_user_sgpr_private_segment_buffer 1
		.amdhsa_user_sgpr_dispatch_ptr 0
		.amdhsa_user_sgpr_queue_ptr 0
		.amdhsa_user_sgpr_kernarg_segment_ptr 1
		.amdhsa_user_sgpr_dispatch_id 0
		.amdhsa_user_sgpr_flat_scratch_init 0
		.amdhsa_user_sgpr_private_segment_size 0
		.amdhsa_uses_dynamic_stack 0
		.amdhsa_system_sgpr_private_segment_wavefront_offset 0
		.amdhsa_system_sgpr_workgroup_id_x 1
		.amdhsa_system_sgpr_workgroup_id_y 0
		.amdhsa_system_sgpr_workgroup_id_z 0
		.amdhsa_system_sgpr_workgroup_info 0
		.amdhsa_system_vgpr_workitem_id 0
		.amdhsa_next_free_vgpr 1
		.amdhsa_next_free_sgpr 0
		.amdhsa_reserve_vcc 0
		.amdhsa_reserve_flat_scratch 0
		.amdhsa_float_round_mode_32 0
		.amdhsa_float_round_mode_16_64 0
		.amdhsa_float_denorm_mode_32 3
		.amdhsa_float_denorm_mode_16_64 3
		.amdhsa_dx10_clamp 1
		.amdhsa_ieee_mode 1
		.amdhsa_fp16_overflow 0
		.amdhsa_exception_fp_ieee_invalid_op 0
		.amdhsa_exception_fp_denorm_src 0
		.amdhsa_exception_fp_ieee_div_zero 0
		.amdhsa_exception_fp_ieee_overflow 0
		.amdhsa_exception_fp_ieee_underflow 0
		.amdhsa_exception_fp_ieee_inexact 0
		.amdhsa_exception_int_div_zero 0
	.end_amdhsa_kernel
	.section	.text._ZN7rocprim17ROCPRIM_400000_NS6detail17trampoline_kernelINS0_13select_configILj256ELj13ELNS0_17block_load_methodE3ELS4_3ELS4_3ELNS0_20block_scan_algorithmE0ELj4294967295EEENS1_25partition_config_selectorILNS1_17partition_subalgoE4EjNS0_10empty_typeEbEEZZNS1_14partition_implILS8_4ELb0ES6_15HIP_vector_typeIjLj2EENS0_17counting_iteratorIjlEEPS9_SG_NS0_5tupleIJPjSI_NS0_16reverse_iteratorISI_EEEEENSH_IJSG_SG_SG_EEES9_SI_JZNS1_25segmented_radix_sort_implINS0_14default_configELb0EPKbPbPKlPlN2at6native12_GLOBAL__N_18offset_tEEE10hipError_tPvRmT1_PNSt15iterator_traitsIS12_E10value_typeET2_T3_PNS13_IS18_E10value_typeET4_jRbjT5_S1E_jjP12ihipStream_tbEUljE_ZNSN_ISO_Lb0ESQ_SR_ST_SU_SY_EESZ_S10_S11_S12_S16_S17_S18_S1B_S1C_jS1D_jS1E_S1E_jjS1G_bEUljE0_EEESZ_S10_S11_S18_S1C_S1E_T6_T7_T9_mT8_S1G_bDpT10_ENKUlT_T0_E_clISt17integral_constantIbLb0EES1U_EEDaS1P_S1Q_EUlS1P_E_NS1_11comp_targetILNS1_3genE10ELNS1_11target_archE1200ELNS1_3gpuE4ELNS1_3repE0EEENS1_30default_config_static_selectorELNS0_4arch9wavefront6targetE1EEEvS12_,"axG",@progbits,_ZN7rocprim17ROCPRIM_400000_NS6detail17trampoline_kernelINS0_13select_configILj256ELj13ELNS0_17block_load_methodE3ELS4_3ELS4_3ELNS0_20block_scan_algorithmE0ELj4294967295EEENS1_25partition_config_selectorILNS1_17partition_subalgoE4EjNS0_10empty_typeEbEEZZNS1_14partition_implILS8_4ELb0ES6_15HIP_vector_typeIjLj2EENS0_17counting_iteratorIjlEEPS9_SG_NS0_5tupleIJPjSI_NS0_16reverse_iteratorISI_EEEEENSH_IJSG_SG_SG_EEES9_SI_JZNS1_25segmented_radix_sort_implINS0_14default_configELb0EPKbPbPKlPlN2at6native12_GLOBAL__N_18offset_tEEE10hipError_tPvRmT1_PNSt15iterator_traitsIS12_E10value_typeET2_T3_PNS13_IS18_E10value_typeET4_jRbjT5_S1E_jjP12ihipStream_tbEUljE_ZNSN_ISO_Lb0ESQ_SR_ST_SU_SY_EESZ_S10_S11_S12_S16_S17_S18_S1B_S1C_jS1D_jS1E_S1E_jjS1G_bEUljE0_EEESZ_S10_S11_S18_S1C_S1E_T6_T7_T9_mT8_S1G_bDpT10_ENKUlT_T0_E_clISt17integral_constantIbLb0EES1U_EEDaS1P_S1Q_EUlS1P_E_NS1_11comp_targetILNS1_3genE10ELNS1_11target_archE1200ELNS1_3gpuE4ELNS1_3repE0EEENS1_30default_config_static_selectorELNS0_4arch9wavefront6targetE1EEEvS12_,comdat
.Lfunc_end1576:
	.size	_ZN7rocprim17ROCPRIM_400000_NS6detail17trampoline_kernelINS0_13select_configILj256ELj13ELNS0_17block_load_methodE3ELS4_3ELS4_3ELNS0_20block_scan_algorithmE0ELj4294967295EEENS1_25partition_config_selectorILNS1_17partition_subalgoE4EjNS0_10empty_typeEbEEZZNS1_14partition_implILS8_4ELb0ES6_15HIP_vector_typeIjLj2EENS0_17counting_iteratorIjlEEPS9_SG_NS0_5tupleIJPjSI_NS0_16reverse_iteratorISI_EEEEENSH_IJSG_SG_SG_EEES9_SI_JZNS1_25segmented_radix_sort_implINS0_14default_configELb0EPKbPbPKlPlN2at6native12_GLOBAL__N_18offset_tEEE10hipError_tPvRmT1_PNSt15iterator_traitsIS12_E10value_typeET2_T3_PNS13_IS18_E10value_typeET4_jRbjT5_S1E_jjP12ihipStream_tbEUljE_ZNSN_ISO_Lb0ESQ_SR_ST_SU_SY_EESZ_S10_S11_S12_S16_S17_S18_S1B_S1C_jS1D_jS1E_S1E_jjS1G_bEUljE0_EEESZ_S10_S11_S18_S1C_S1E_T6_T7_T9_mT8_S1G_bDpT10_ENKUlT_T0_E_clISt17integral_constantIbLb0EES1U_EEDaS1P_S1Q_EUlS1P_E_NS1_11comp_targetILNS1_3genE10ELNS1_11target_archE1200ELNS1_3gpuE4ELNS1_3repE0EEENS1_30default_config_static_selectorELNS0_4arch9wavefront6targetE1EEEvS12_, .Lfunc_end1576-_ZN7rocprim17ROCPRIM_400000_NS6detail17trampoline_kernelINS0_13select_configILj256ELj13ELNS0_17block_load_methodE3ELS4_3ELS4_3ELNS0_20block_scan_algorithmE0ELj4294967295EEENS1_25partition_config_selectorILNS1_17partition_subalgoE4EjNS0_10empty_typeEbEEZZNS1_14partition_implILS8_4ELb0ES6_15HIP_vector_typeIjLj2EENS0_17counting_iteratorIjlEEPS9_SG_NS0_5tupleIJPjSI_NS0_16reverse_iteratorISI_EEEEENSH_IJSG_SG_SG_EEES9_SI_JZNS1_25segmented_radix_sort_implINS0_14default_configELb0EPKbPbPKlPlN2at6native12_GLOBAL__N_18offset_tEEE10hipError_tPvRmT1_PNSt15iterator_traitsIS12_E10value_typeET2_T3_PNS13_IS18_E10value_typeET4_jRbjT5_S1E_jjP12ihipStream_tbEUljE_ZNSN_ISO_Lb0ESQ_SR_ST_SU_SY_EESZ_S10_S11_S12_S16_S17_S18_S1B_S1C_jS1D_jS1E_S1E_jjS1G_bEUljE0_EEESZ_S10_S11_S18_S1C_S1E_T6_T7_T9_mT8_S1G_bDpT10_ENKUlT_T0_E_clISt17integral_constantIbLb0EES1U_EEDaS1P_S1Q_EUlS1P_E_NS1_11comp_targetILNS1_3genE10ELNS1_11target_archE1200ELNS1_3gpuE4ELNS1_3repE0EEENS1_30default_config_static_selectorELNS0_4arch9wavefront6targetE1EEEvS12_
                                        ; -- End function
	.set _ZN7rocprim17ROCPRIM_400000_NS6detail17trampoline_kernelINS0_13select_configILj256ELj13ELNS0_17block_load_methodE3ELS4_3ELS4_3ELNS0_20block_scan_algorithmE0ELj4294967295EEENS1_25partition_config_selectorILNS1_17partition_subalgoE4EjNS0_10empty_typeEbEEZZNS1_14partition_implILS8_4ELb0ES6_15HIP_vector_typeIjLj2EENS0_17counting_iteratorIjlEEPS9_SG_NS0_5tupleIJPjSI_NS0_16reverse_iteratorISI_EEEEENSH_IJSG_SG_SG_EEES9_SI_JZNS1_25segmented_radix_sort_implINS0_14default_configELb0EPKbPbPKlPlN2at6native12_GLOBAL__N_18offset_tEEE10hipError_tPvRmT1_PNSt15iterator_traitsIS12_E10value_typeET2_T3_PNS13_IS18_E10value_typeET4_jRbjT5_S1E_jjP12ihipStream_tbEUljE_ZNSN_ISO_Lb0ESQ_SR_ST_SU_SY_EESZ_S10_S11_S12_S16_S17_S18_S1B_S1C_jS1D_jS1E_S1E_jjS1G_bEUljE0_EEESZ_S10_S11_S18_S1C_S1E_T6_T7_T9_mT8_S1G_bDpT10_ENKUlT_T0_E_clISt17integral_constantIbLb0EES1U_EEDaS1P_S1Q_EUlS1P_E_NS1_11comp_targetILNS1_3genE10ELNS1_11target_archE1200ELNS1_3gpuE4ELNS1_3repE0EEENS1_30default_config_static_selectorELNS0_4arch9wavefront6targetE1EEEvS12_.num_vgpr, 0
	.set _ZN7rocprim17ROCPRIM_400000_NS6detail17trampoline_kernelINS0_13select_configILj256ELj13ELNS0_17block_load_methodE3ELS4_3ELS4_3ELNS0_20block_scan_algorithmE0ELj4294967295EEENS1_25partition_config_selectorILNS1_17partition_subalgoE4EjNS0_10empty_typeEbEEZZNS1_14partition_implILS8_4ELb0ES6_15HIP_vector_typeIjLj2EENS0_17counting_iteratorIjlEEPS9_SG_NS0_5tupleIJPjSI_NS0_16reverse_iteratorISI_EEEEENSH_IJSG_SG_SG_EEES9_SI_JZNS1_25segmented_radix_sort_implINS0_14default_configELb0EPKbPbPKlPlN2at6native12_GLOBAL__N_18offset_tEEE10hipError_tPvRmT1_PNSt15iterator_traitsIS12_E10value_typeET2_T3_PNS13_IS18_E10value_typeET4_jRbjT5_S1E_jjP12ihipStream_tbEUljE_ZNSN_ISO_Lb0ESQ_SR_ST_SU_SY_EESZ_S10_S11_S12_S16_S17_S18_S1B_S1C_jS1D_jS1E_S1E_jjS1G_bEUljE0_EEESZ_S10_S11_S18_S1C_S1E_T6_T7_T9_mT8_S1G_bDpT10_ENKUlT_T0_E_clISt17integral_constantIbLb0EES1U_EEDaS1P_S1Q_EUlS1P_E_NS1_11comp_targetILNS1_3genE10ELNS1_11target_archE1200ELNS1_3gpuE4ELNS1_3repE0EEENS1_30default_config_static_selectorELNS0_4arch9wavefront6targetE1EEEvS12_.num_agpr, 0
	.set _ZN7rocprim17ROCPRIM_400000_NS6detail17trampoline_kernelINS0_13select_configILj256ELj13ELNS0_17block_load_methodE3ELS4_3ELS4_3ELNS0_20block_scan_algorithmE0ELj4294967295EEENS1_25partition_config_selectorILNS1_17partition_subalgoE4EjNS0_10empty_typeEbEEZZNS1_14partition_implILS8_4ELb0ES6_15HIP_vector_typeIjLj2EENS0_17counting_iteratorIjlEEPS9_SG_NS0_5tupleIJPjSI_NS0_16reverse_iteratorISI_EEEEENSH_IJSG_SG_SG_EEES9_SI_JZNS1_25segmented_radix_sort_implINS0_14default_configELb0EPKbPbPKlPlN2at6native12_GLOBAL__N_18offset_tEEE10hipError_tPvRmT1_PNSt15iterator_traitsIS12_E10value_typeET2_T3_PNS13_IS18_E10value_typeET4_jRbjT5_S1E_jjP12ihipStream_tbEUljE_ZNSN_ISO_Lb0ESQ_SR_ST_SU_SY_EESZ_S10_S11_S12_S16_S17_S18_S1B_S1C_jS1D_jS1E_S1E_jjS1G_bEUljE0_EEESZ_S10_S11_S18_S1C_S1E_T6_T7_T9_mT8_S1G_bDpT10_ENKUlT_T0_E_clISt17integral_constantIbLb0EES1U_EEDaS1P_S1Q_EUlS1P_E_NS1_11comp_targetILNS1_3genE10ELNS1_11target_archE1200ELNS1_3gpuE4ELNS1_3repE0EEENS1_30default_config_static_selectorELNS0_4arch9wavefront6targetE1EEEvS12_.numbered_sgpr, 0
	.set _ZN7rocprim17ROCPRIM_400000_NS6detail17trampoline_kernelINS0_13select_configILj256ELj13ELNS0_17block_load_methodE3ELS4_3ELS4_3ELNS0_20block_scan_algorithmE0ELj4294967295EEENS1_25partition_config_selectorILNS1_17partition_subalgoE4EjNS0_10empty_typeEbEEZZNS1_14partition_implILS8_4ELb0ES6_15HIP_vector_typeIjLj2EENS0_17counting_iteratorIjlEEPS9_SG_NS0_5tupleIJPjSI_NS0_16reverse_iteratorISI_EEEEENSH_IJSG_SG_SG_EEES9_SI_JZNS1_25segmented_radix_sort_implINS0_14default_configELb0EPKbPbPKlPlN2at6native12_GLOBAL__N_18offset_tEEE10hipError_tPvRmT1_PNSt15iterator_traitsIS12_E10value_typeET2_T3_PNS13_IS18_E10value_typeET4_jRbjT5_S1E_jjP12ihipStream_tbEUljE_ZNSN_ISO_Lb0ESQ_SR_ST_SU_SY_EESZ_S10_S11_S12_S16_S17_S18_S1B_S1C_jS1D_jS1E_S1E_jjS1G_bEUljE0_EEESZ_S10_S11_S18_S1C_S1E_T6_T7_T9_mT8_S1G_bDpT10_ENKUlT_T0_E_clISt17integral_constantIbLb0EES1U_EEDaS1P_S1Q_EUlS1P_E_NS1_11comp_targetILNS1_3genE10ELNS1_11target_archE1200ELNS1_3gpuE4ELNS1_3repE0EEENS1_30default_config_static_selectorELNS0_4arch9wavefront6targetE1EEEvS12_.num_named_barrier, 0
	.set _ZN7rocprim17ROCPRIM_400000_NS6detail17trampoline_kernelINS0_13select_configILj256ELj13ELNS0_17block_load_methodE3ELS4_3ELS4_3ELNS0_20block_scan_algorithmE0ELj4294967295EEENS1_25partition_config_selectorILNS1_17partition_subalgoE4EjNS0_10empty_typeEbEEZZNS1_14partition_implILS8_4ELb0ES6_15HIP_vector_typeIjLj2EENS0_17counting_iteratorIjlEEPS9_SG_NS0_5tupleIJPjSI_NS0_16reverse_iteratorISI_EEEEENSH_IJSG_SG_SG_EEES9_SI_JZNS1_25segmented_radix_sort_implINS0_14default_configELb0EPKbPbPKlPlN2at6native12_GLOBAL__N_18offset_tEEE10hipError_tPvRmT1_PNSt15iterator_traitsIS12_E10value_typeET2_T3_PNS13_IS18_E10value_typeET4_jRbjT5_S1E_jjP12ihipStream_tbEUljE_ZNSN_ISO_Lb0ESQ_SR_ST_SU_SY_EESZ_S10_S11_S12_S16_S17_S18_S1B_S1C_jS1D_jS1E_S1E_jjS1G_bEUljE0_EEESZ_S10_S11_S18_S1C_S1E_T6_T7_T9_mT8_S1G_bDpT10_ENKUlT_T0_E_clISt17integral_constantIbLb0EES1U_EEDaS1P_S1Q_EUlS1P_E_NS1_11comp_targetILNS1_3genE10ELNS1_11target_archE1200ELNS1_3gpuE4ELNS1_3repE0EEENS1_30default_config_static_selectorELNS0_4arch9wavefront6targetE1EEEvS12_.private_seg_size, 0
	.set _ZN7rocprim17ROCPRIM_400000_NS6detail17trampoline_kernelINS0_13select_configILj256ELj13ELNS0_17block_load_methodE3ELS4_3ELS4_3ELNS0_20block_scan_algorithmE0ELj4294967295EEENS1_25partition_config_selectorILNS1_17partition_subalgoE4EjNS0_10empty_typeEbEEZZNS1_14partition_implILS8_4ELb0ES6_15HIP_vector_typeIjLj2EENS0_17counting_iteratorIjlEEPS9_SG_NS0_5tupleIJPjSI_NS0_16reverse_iteratorISI_EEEEENSH_IJSG_SG_SG_EEES9_SI_JZNS1_25segmented_radix_sort_implINS0_14default_configELb0EPKbPbPKlPlN2at6native12_GLOBAL__N_18offset_tEEE10hipError_tPvRmT1_PNSt15iterator_traitsIS12_E10value_typeET2_T3_PNS13_IS18_E10value_typeET4_jRbjT5_S1E_jjP12ihipStream_tbEUljE_ZNSN_ISO_Lb0ESQ_SR_ST_SU_SY_EESZ_S10_S11_S12_S16_S17_S18_S1B_S1C_jS1D_jS1E_S1E_jjS1G_bEUljE0_EEESZ_S10_S11_S18_S1C_S1E_T6_T7_T9_mT8_S1G_bDpT10_ENKUlT_T0_E_clISt17integral_constantIbLb0EES1U_EEDaS1P_S1Q_EUlS1P_E_NS1_11comp_targetILNS1_3genE10ELNS1_11target_archE1200ELNS1_3gpuE4ELNS1_3repE0EEENS1_30default_config_static_selectorELNS0_4arch9wavefront6targetE1EEEvS12_.uses_vcc, 0
	.set _ZN7rocprim17ROCPRIM_400000_NS6detail17trampoline_kernelINS0_13select_configILj256ELj13ELNS0_17block_load_methodE3ELS4_3ELS4_3ELNS0_20block_scan_algorithmE0ELj4294967295EEENS1_25partition_config_selectorILNS1_17partition_subalgoE4EjNS0_10empty_typeEbEEZZNS1_14partition_implILS8_4ELb0ES6_15HIP_vector_typeIjLj2EENS0_17counting_iteratorIjlEEPS9_SG_NS0_5tupleIJPjSI_NS0_16reverse_iteratorISI_EEEEENSH_IJSG_SG_SG_EEES9_SI_JZNS1_25segmented_radix_sort_implINS0_14default_configELb0EPKbPbPKlPlN2at6native12_GLOBAL__N_18offset_tEEE10hipError_tPvRmT1_PNSt15iterator_traitsIS12_E10value_typeET2_T3_PNS13_IS18_E10value_typeET4_jRbjT5_S1E_jjP12ihipStream_tbEUljE_ZNSN_ISO_Lb0ESQ_SR_ST_SU_SY_EESZ_S10_S11_S12_S16_S17_S18_S1B_S1C_jS1D_jS1E_S1E_jjS1G_bEUljE0_EEESZ_S10_S11_S18_S1C_S1E_T6_T7_T9_mT8_S1G_bDpT10_ENKUlT_T0_E_clISt17integral_constantIbLb0EES1U_EEDaS1P_S1Q_EUlS1P_E_NS1_11comp_targetILNS1_3genE10ELNS1_11target_archE1200ELNS1_3gpuE4ELNS1_3repE0EEENS1_30default_config_static_selectorELNS0_4arch9wavefront6targetE1EEEvS12_.uses_flat_scratch, 0
	.set _ZN7rocprim17ROCPRIM_400000_NS6detail17trampoline_kernelINS0_13select_configILj256ELj13ELNS0_17block_load_methodE3ELS4_3ELS4_3ELNS0_20block_scan_algorithmE0ELj4294967295EEENS1_25partition_config_selectorILNS1_17partition_subalgoE4EjNS0_10empty_typeEbEEZZNS1_14partition_implILS8_4ELb0ES6_15HIP_vector_typeIjLj2EENS0_17counting_iteratorIjlEEPS9_SG_NS0_5tupleIJPjSI_NS0_16reverse_iteratorISI_EEEEENSH_IJSG_SG_SG_EEES9_SI_JZNS1_25segmented_radix_sort_implINS0_14default_configELb0EPKbPbPKlPlN2at6native12_GLOBAL__N_18offset_tEEE10hipError_tPvRmT1_PNSt15iterator_traitsIS12_E10value_typeET2_T3_PNS13_IS18_E10value_typeET4_jRbjT5_S1E_jjP12ihipStream_tbEUljE_ZNSN_ISO_Lb0ESQ_SR_ST_SU_SY_EESZ_S10_S11_S12_S16_S17_S18_S1B_S1C_jS1D_jS1E_S1E_jjS1G_bEUljE0_EEESZ_S10_S11_S18_S1C_S1E_T6_T7_T9_mT8_S1G_bDpT10_ENKUlT_T0_E_clISt17integral_constantIbLb0EES1U_EEDaS1P_S1Q_EUlS1P_E_NS1_11comp_targetILNS1_3genE10ELNS1_11target_archE1200ELNS1_3gpuE4ELNS1_3repE0EEENS1_30default_config_static_selectorELNS0_4arch9wavefront6targetE1EEEvS12_.has_dyn_sized_stack, 0
	.set _ZN7rocprim17ROCPRIM_400000_NS6detail17trampoline_kernelINS0_13select_configILj256ELj13ELNS0_17block_load_methodE3ELS4_3ELS4_3ELNS0_20block_scan_algorithmE0ELj4294967295EEENS1_25partition_config_selectorILNS1_17partition_subalgoE4EjNS0_10empty_typeEbEEZZNS1_14partition_implILS8_4ELb0ES6_15HIP_vector_typeIjLj2EENS0_17counting_iteratorIjlEEPS9_SG_NS0_5tupleIJPjSI_NS0_16reverse_iteratorISI_EEEEENSH_IJSG_SG_SG_EEES9_SI_JZNS1_25segmented_radix_sort_implINS0_14default_configELb0EPKbPbPKlPlN2at6native12_GLOBAL__N_18offset_tEEE10hipError_tPvRmT1_PNSt15iterator_traitsIS12_E10value_typeET2_T3_PNS13_IS18_E10value_typeET4_jRbjT5_S1E_jjP12ihipStream_tbEUljE_ZNSN_ISO_Lb0ESQ_SR_ST_SU_SY_EESZ_S10_S11_S12_S16_S17_S18_S1B_S1C_jS1D_jS1E_S1E_jjS1G_bEUljE0_EEESZ_S10_S11_S18_S1C_S1E_T6_T7_T9_mT8_S1G_bDpT10_ENKUlT_T0_E_clISt17integral_constantIbLb0EES1U_EEDaS1P_S1Q_EUlS1P_E_NS1_11comp_targetILNS1_3genE10ELNS1_11target_archE1200ELNS1_3gpuE4ELNS1_3repE0EEENS1_30default_config_static_selectorELNS0_4arch9wavefront6targetE1EEEvS12_.has_recursion, 0
	.set _ZN7rocprim17ROCPRIM_400000_NS6detail17trampoline_kernelINS0_13select_configILj256ELj13ELNS0_17block_load_methodE3ELS4_3ELS4_3ELNS0_20block_scan_algorithmE0ELj4294967295EEENS1_25partition_config_selectorILNS1_17partition_subalgoE4EjNS0_10empty_typeEbEEZZNS1_14partition_implILS8_4ELb0ES6_15HIP_vector_typeIjLj2EENS0_17counting_iteratorIjlEEPS9_SG_NS0_5tupleIJPjSI_NS0_16reverse_iteratorISI_EEEEENSH_IJSG_SG_SG_EEES9_SI_JZNS1_25segmented_radix_sort_implINS0_14default_configELb0EPKbPbPKlPlN2at6native12_GLOBAL__N_18offset_tEEE10hipError_tPvRmT1_PNSt15iterator_traitsIS12_E10value_typeET2_T3_PNS13_IS18_E10value_typeET4_jRbjT5_S1E_jjP12ihipStream_tbEUljE_ZNSN_ISO_Lb0ESQ_SR_ST_SU_SY_EESZ_S10_S11_S12_S16_S17_S18_S1B_S1C_jS1D_jS1E_S1E_jjS1G_bEUljE0_EEESZ_S10_S11_S18_S1C_S1E_T6_T7_T9_mT8_S1G_bDpT10_ENKUlT_T0_E_clISt17integral_constantIbLb0EES1U_EEDaS1P_S1Q_EUlS1P_E_NS1_11comp_targetILNS1_3genE10ELNS1_11target_archE1200ELNS1_3gpuE4ELNS1_3repE0EEENS1_30default_config_static_selectorELNS0_4arch9wavefront6targetE1EEEvS12_.has_indirect_call, 0
	.section	.AMDGPU.csdata,"",@progbits
; Kernel info:
; codeLenInByte = 0
; TotalNumSgprs: 4
; NumVgprs: 0
; ScratchSize: 0
; MemoryBound: 0
; FloatMode: 240
; IeeeMode: 1
; LDSByteSize: 0 bytes/workgroup (compile time only)
; SGPRBlocks: 0
; VGPRBlocks: 0
; NumSGPRsForWavesPerEU: 4
; NumVGPRsForWavesPerEU: 1
; Occupancy: 10
; WaveLimiterHint : 0
; COMPUTE_PGM_RSRC2:SCRATCH_EN: 0
; COMPUTE_PGM_RSRC2:USER_SGPR: 6
; COMPUTE_PGM_RSRC2:TRAP_HANDLER: 0
; COMPUTE_PGM_RSRC2:TGID_X_EN: 1
; COMPUTE_PGM_RSRC2:TGID_Y_EN: 0
; COMPUTE_PGM_RSRC2:TGID_Z_EN: 0
; COMPUTE_PGM_RSRC2:TIDIG_COMP_CNT: 0
	.section	.text._ZN7rocprim17ROCPRIM_400000_NS6detail17trampoline_kernelINS0_13select_configILj256ELj13ELNS0_17block_load_methodE3ELS4_3ELS4_3ELNS0_20block_scan_algorithmE0ELj4294967295EEENS1_25partition_config_selectorILNS1_17partition_subalgoE4EjNS0_10empty_typeEbEEZZNS1_14partition_implILS8_4ELb0ES6_15HIP_vector_typeIjLj2EENS0_17counting_iteratorIjlEEPS9_SG_NS0_5tupleIJPjSI_NS0_16reverse_iteratorISI_EEEEENSH_IJSG_SG_SG_EEES9_SI_JZNS1_25segmented_radix_sort_implINS0_14default_configELb0EPKbPbPKlPlN2at6native12_GLOBAL__N_18offset_tEEE10hipError_tPvRmT1_PNSt15iterator_traitsIS12_E10value_typeET2_T3_PNS13_IS18_E10value_typeET4_jRbjT5_S1E_jjP12ihipStream_tbEUljE_ZNSN_ISO_Lb0ESQ_SR_ST_SU_SY_EESZ_S10_S11_S12_S16_S17_S18_S1B_S1C_jS1D_jS1E_S1E_jjS1G_bEUljE0_EEESZ_S10_S11_S18_S1C_S1E_T6_T7_T9_mT8_S1G_bDpT10_ENKUlT_T0_E_clISt17integral_constantIbLb0EES1U_EEDaS1P_S1Q_EUlS1P_E_NS1_11comp_targetILNS1_3genE9ELNS1_11target_archE1100ELNS1_3gpuE3ELNS1_3repE0EEENS1_30default_config_static_selectorELNS0_4arch9wavefront6targetE1EEEvS12_,"axG",@progbits,_ZN7rocprim17ROCPRIM_400000_NS6detail17trampoline_kernelINS0_13select_configILj256ELj13ELNS0_17block_load_methodE3ELS4_3ELS4_3ELNS0_20block_scan_algorithmE0ELj4294967295EEENS1_25partition_config_selectorILNS1_17partition_subalgoE4EjNS0_10empty_typeEbEEZZNS1_14partition_implILS8_4ELb0ES6_15HIP_vector_typeIjLj2EENS0_17counting_iteratorIjlEEPS9_SG_NS0_5tupleIJPjSI_NS0_16reverse_iteratorISI_EEEEENSH_IJSG_SG_SG_EEES9_SI_JZNS1_25segmented_radix_sort_implINS0_14default_configELb0EPKbPbPKlPlN2at6native12_GLOBAL__N_18offset_tEEE10hipError_tPvRmT1_PNSt15iterator_traitsIS12_E10value_typeET2_T3_PNS13_IS18_E10value_typeET4_jRbjT5_S1E_jjP12ihipStream_tbEUljE_ZNSN_ISO_Lb0ESQ_SR_ST_SU_SY_EESZ_S10_S11_S12_S16_S17_S18_S1B_S1C_jS1D_jS1E_S1E_jjS1G_bEUljE0_EEESZ_S10_S11_S18_S1C_S1E_T6_T7_T9_mT8_S1G_bDpT10_ENKUlT_T0_E_clISt17integral_constantIbLb0EES1U_EEDaS1P_S1Q_EUlS1P_E_NS1_11comp_targetILNS1_3genE9ELNS1_11target_archE1100ELNS1_3gpuE3ELNS1_3repE0EEENS1_30default_config_static_selectorELNS0_4arch9wavefront6targetE1EEEvS12_,comdat
	.globl	_ZN7rocprim17ROCPRIM_400000_NS6detail17trampoline_kernelINS0_13select_configILj256ELj13ELNS0_17block_load_methodE3ELS4_3ELS4_3ELNS0_20block_scan_algorithmE0ELj4294967295EEENS1_25partition_config_selectorILNS1_17partition_subalgoE4EjNS0_10empty_typeEbEEZZNS1_14partition_implILS8_4ELb0ES6_15HIP_vector_typeIjLj2EENS0_17counting_iteratorIjlEEPS9_SG_NS0_5tupleIJPjSI_NS0_16reverse_iteratorISI_EEEEENSH_IJSG_SG_SG_EEES9_SI_JZNS1_25segmented_radix_sort_implINS0_14default_configELb0EPKbPbPKlPlN2at6native12_GLOBAL__N_18offset_tEEE10hipError_tPvRmT1_PNSt15iterator_traitsIS12_E10value_typeET2_T3_PNS13_IS18_E10value_typeET4_jRbjT5_S1E_jjP12ihipStream_tbEUljE_ZNSN_ISO_Lb0ESQ_SR_ST_SU_SY_EESZ_S10_S11_S12_S16_S17_S18_S1B_S1C_jS1D_jS1E_S1E_jjS1G_bEUljE0_EEESZ_S10_S11_S18_S1C_S1E_T6_T7_T9_mT8_S1G_bDpT10_ENKUlT_T0_E_clISt17integral_constantIbLb0EES1U_EEDaS1P_S1Q_EUlS1P_E_NS1_11comp_targetILNS1_3genE9ELNS1_11target_archE1100ELNS1_3gpuE3ELNS1_3repE0EEENS1_30default_config_static_selectorELNS0_4arch9wavefront6targetE1EEEvS12_ ; -- Begin function _ZN7rocprim17ROCPRIM_400000_NS6detail17trampoline_kernelINS0_13select_configILj256ELj13ELNS0_17block_load_methodE3ELS4_3ELS4_3ELNS0_20block_scan_algorithmE0ELj4294967295EEENS1_25partition_config_selectorILNS1_17partition_subalgoE4EjNS0_10empty_typeEbEEZZNS1_14partition_implILS8_4ELb0ES6_15HIP_vector_typeIjLj2EENS0_17counting_iteratorIjlEEPS9_SG_NS0_5tupleIJPjSI_NS0_16reverse_iteratorISI_EEEEENSH_IJSG_SG_SG_EEES9_SI_JZNS1_25segmented_radix_sort_implINS0_14default_configELb0EPKbPbPKlPlN2at6native12_GLOBAL__N_18offset_tEEE10hipError_tPvRmT1_PNSt15iterator_traitsIS12_E10value_typeET2_T3_PNS13_IS18_E10value_typeET4_jRbjT5_S1E_jjP12ihipStream_tbEUljE_ZNSN_ISO_Lb0ESQ_SR_ST_SU_SY_EESZ_S10_S11_S12_S16_S17_S18_S1B_S1C_jS1D_jS1E_S1E_jjS1G_bEUljE0_EEESZ_S10_S11_S18_S1C_S1E_T6_T7_T9_mT8_S1G_bDpT10_ENKUlT_T0_E_clISt17integral_constantIbLb0EES1U_EEDaS1P_S1Q_EUlS1P_E_NS1_11comp_targetILNS1_3genE9ELNS1_11target_archE1100ELNS1_3gpuE3ELNS1_3repE0EEENS1_30default_config_static_selectorELNS0_4arch9wavefront6targetE1EEEvS12_
	.p2align	8
	.type	_ZN7rocprim17ROCPRIM_400000_NS6detail17trampoline_kernelINS0_13select_configILj256ELj13ELNS0_17block_load_methodE3ELS4_3ELS4_3ELNS0_20block_scan_algorithmE0ELj4294967295EEENS1_25partition_config_selectorILNS1_17partition_subalgoE4EjNS0_10empty_typeEbEEZZNS1_14partition_implILS8_4ELb0ES6_15HIP_vector_typeIjLj2EENS0_17counting_iteratorIjlEEPS9_SG_NS0_5tupleIJPjSI_NS0_16reverse_iteratorISI_EEEEENSH_IJSG_SG_SG_EEES9_SI_JZNS1_25segmented_radix_sort_implINS0_14default_configELb0EPKbPbPKlPlN2at6native12_GLOBAL__N_18offset_tEEE10hipError_tPvRmT1_PNSt15iterator_traitsIS12_E10value_typeET2_T3_PNS13_IS18_E10value_typeET4_jRbjT5_S1E_jjP12ihipStream_tbEUljE_ZNSN_ISO_Lb0ESQ_SR_ST_SU_SY_EESZ_S10_S11_S12_S16_S17_S18_S1B_S1C_jS1D_jS1E_S1E_jjS1G_bEUljE0_EEESZ_S10_S11_S18_S1C_S1E_T6_T7_T9_mT8_S1G_bDpT10_ENKUlT_T0_E_clISt17integral_constantIbLb0EES1U_EEDaS1P_S1Q_EUlS1P_E_NS1_11comp_targetILNS1_3genE9ELNS1_11target_archE1100ELNS1_3gpuE3ELNS1_3repE0EEENS1_30default_config_static_selectorELNS0_4arch9wavefront6targetE1EEEvS12_,@function
_ZN7rocprim17ROCPRIM_400000_NS6detail17trampoline_kernelINS0_13select_configILj256ELj13ELNS0_17block_load_methodE3ELS4_3ELS4_3ELNS0_20block_scan_algorithmE0ELj4294967295EEENS1_25partition_config_selectorILNS1_17partition_subalgoE4EjNS0_10empty_typeEbEEZZNS1_14partition_implILS8_4ELb0ES6_15HIP_vector_typeIjLj2EENS0_17counting_iteratorIjlEEPS9_SG_NS0_5tupleIJPjSI_NS0_16reverse_iteratorISI_EEEEENSH_IJSG_SG_SG_EEES9_SI_JZNS1_25segmented_radix_sort_implINS0_14default_configELb0EPKbPbPKlPlN2at6native12_GLOBAL__N_18offset_tEEE10hipError_tPvRmT1_PNSt15iterator_traitsIS12_E10value_typeET2_T3_PNS13_IS18_E10value_typeET4_jRbjT5_S1E_jjP12ihipStream_tbEUljE_ZNSN_ISO_Lb0ESQ_SR_ST_SU_SY_EESZ_S10_S11_S12_S16_S17_S18_S1B_S1C_jS1D_jS1E_S1E_jjS1G_bEUljE0_EEESZ_S10_S11_S18_S1C_S1E_T6_T7_T9_mT8_S1G_bDpT10_ENKUlT_T0_E_clISt17integral_constantIbLb0EES1U_EEDaS1P_S1Q_EUlS1P_E_NS1_11comp_targetILNS1_3genE9ELNS1_11target_archE1100ELNS1_3gpuE3ELNS1_3repE0EEENS1_30default_config_static_selectorELNS0_4arch9wavefront6targetE1EEEvS12_: ; @_ZN7rocprim17ROCPRIM_400000_NS6detail17trampoline_kernelINS0_13select_configILj256ELj13ELNS0_17block_load_methodE3ELS4_3ELS4_3ELNS0_20block_scan_algorithmE0ELj4294967295EEENS1_25partition_config_selectorILNS1_17partition_subalgoE4EjNS0_10empty_typeEbEEZZNS1_14partition_implILS8_4ELb0ES6_15HIP_vector_typeIjLj2EENS0_17counting_iteratorIjlEEPS9_SG_NS0_5tupleIJPjSI_NS0_16reverse_iteratorISI_EEEEENSH_IJSG_SG_SG_EEES9_SI_JZNS1_25segmented_radix_sort_implINS0_14default_configELb0EPKbPbPKlPlN2at6native12_GLOBAL__N_18offset_tEEE10hipError_tPvRmT1_PNSt15iterator_traitsIS12_E10value_typeET2_T3_PNS13_IS18_E10value_typeET4_jRbjT5_S1E_jjP12ihipStream_tbEUljE_ZNSN_ISO_Lb0ESQ_SR_ST_SU_SY_EESZ_S10_S11_S12_S16_S17_S18_S1B_S1C_jS1D_jS1E_S1E_jjS1G_bEUljE0_EEESZ_S10_S11_S18_S1C_S1E_T6_T7_T9_mT8_S1G_bDpT10_ENKUlT_T0_E_clISt17integral_constantIbLb0EES1U_EEDaS1P_S1Q_EUlS1P_E_NS1_11comp_targetILNS1_3genE9ELNS1_11target_archE1100ELNS1_3gpuE3ELNS1_3repE0EEENS1_30default_config_static_selectorELNS0_4arch9wavefront6targetE1EEEvS12_
; %bb.0:
	.section	.rodata,"a",@progbits
	.p2align	6, 0x0
	.amdhsa_kernel _ZN7rocprim17ROCPRIM_400000_NS6detail17trampoline_kernelINS0_13select_configILj256ELj13ELNS0_17block_load_methodE3ELS4_3ELS4_3ELNS0_20block_scan_algorithmE0ELj4294967295EEENS1_25partition_config_selectorILNS1_17partition_subalgoE4EjNS0_10empty_typeEbEEZZNS1_14partition_implILS8_4ELb0ES6_15HIP_vector_typeIjLj2EENS0_17counting_iteratorIjlEEPS9_SG_NS0_5tupleIJPjSI_NS0_16reverse_iteratorISI_EEEEENSH_IJSG_SG_SG_EEES9_SI_JZNS1_25segmented_radix_sort_implINS0_14default_configELb0EPKbPbPKlPlN2at6native12_GLOBAL__N_18offset_tEEE10hipError_tPvRmT1_PNSt15iterator_traitsIS12_E10value_typeET2_T3_PNS13_IS18_E10value_typeET4_jRbjT5_S1E_jjP12ihipStream_tbEUljE_ZNSN_ISO_Lb0ESQ_SR_ST_SU_SY_EESZ_S10_S11_S12_S16_S17_S18_S1B_S1C_jS1D_jS1E_S1E_jjS1G_bEUljE0_EEESZ_S10_S11_S18_S1C_S1E_T6_T7_T9_mT8_S1G_bDpT10_ENKUlT_T0_E_clISt17integral_constantIbLb0EES1U_EEDaS1P_S1Q_EUlS1P_E_NS1_11comp_targetILNS1_3genE9ELNS1_11target_archE1100ELNS1_3gpuE3ELNS1_3repE0EEENS1_30default_config_static_selectorELNS0_4arch9wavefront6targetE1EEEvS12_
		.amdhsa_group_segment_fixed_size 0
		.amdhsa_private_segment_fixed_size 0
		.amdhsa_kernarg_size 176
		.amdhsa_user_sgpr_count 6
		.amdhsa_user_sgpr_private_segment_buffer 1
		.amdhsa_user_sgpr_dispatch_ptr 0
		.amdhsa_user_sgpr_queue_ptr 0
		.amdhsa_user_sgpr_kernarg_segment_ptr 1
		.amdhsa_user_sgpr_dispatch_id 0
		.amdhsa_user_sgpr_flat_scratch_init 0
		.amdhsa_user_sgpr_private_segment_size 0
		.amdhsa_uses_dynamic_stack 0
		.amdhsa_system_sgpr_private_segment_wavefront_offset 0
		.amdhsa_system_sgpr_workgroup_id_x 1
		.amdhsa_system_sgpr_workgroup_id_y 0
		.amdhsa_system_sgpr_workgroup_id_z 0
		.amdhsa_system_sgpr_workgroup_info 0
		.amdhsa_system_vgpr_workitem_id 0
		.amdhsa_next_free_vgpr 1
		.amdhsa_next_free_sgpr 0
		.amdhsa_reserve_vcc 0
		.amdhsa_reserve_flat_scratch 0
		.amdhsa_float_round_mode_32 0
		.amdhsa_float_round_mode_16_64 0
		.amdhsa_float_denorm_mode_32 3
		.amdhsa_float_denorm_mode_16_64 3
		.amdhsa_dx10_clamp 1
		.amdhsa_ieee_mode 1
		.amdhsa_fp16_overflow 0
		.amdhsa_exception_fp_ieee_invalid_op 0
		.amdhsa_exception_fp_denorm_src 0
		.amdhsa_exception_fp_ieee_div_zero 0
		.amdhsa_exception_fp_ieee_overflow 0
		.amdhsa_exception_fp_ieee_underflow 0
		.amdhsa_exception_fp_ieee_inexact 0
		.amdhsa_exception_int_div_zero 0
	.end_amdhsa_kernel
	.section	.text._ZN7rocprim17ROCPRIM_400000_NS6detail17trampoline_kernelINS0_13select_configILj256ELj13ELNS0_17block_load_methodE3ELS4_3ELS4_3ELNS0_20block_scan_algorithmE0ELj4294967295EEENS1_25partition_config_selectorILNS1_17partition_subalgoE4EjNS0_10empty_typeEbEEZZNS1_14partition_implILS8_4ELb0ES6_15HIP_vector_typeIjLj2EENS0_17counting_iteratorIjlEEPS9_SG_NS0_5tupleIJPjSI_NS0_16reverse_iteratorISI_EEEEENSH_IJSG_SG_SG_EEES9_SI_JZNS1_25segmented_radix_sort_implINS0_14default_configELb0EPKbPbPKlPlN2at6native12_GLOBAL__N_18offset_tEEE10hipError_tPvRmT1_PNSt15iterator_traitsIS12_E10value_typeET2_T3_PNS13_IS18_E10value_typeET4_jRbjT5_S1E_jjP12ihipStream_tbEUljE_ZNSN_ISO_Lb0ESQ_SR_ST_SU_SY_EESZ_S10_S11_S12_S16_S17_S18_S1B_S1C_jS1D_jS1E_S1E_jjS1G_bEUljE0_EEESZ_S10_S11_S18_S1C_S1E_T6_T7_T9_mT8_S1G_bDpT10_ENKUlT_T0_E_clISt17integral_constantIbLb0EES1U_EEDaS1P_S1Q_EUlS1P_E_NS1_11comp_targetILNS1_3genE9ELNS1_11target_archE1100ELNS1_3gpuE3ELNS1_3repE0EEENS1_30default_config_static_selectorELNS0_4arch9wavefront6targetE1EEEvS12_,"axG",@progbits,_ZN7rocprim17ROCPRIM_400000_NS6detail17trampoline_kernelINS0_13select_configILj256ELj13ELNS0_17block_load_methodE3ELS4_3ELS4_3ELNS0_20block_scan_algorithmE0ELj4294967295EEENS1_25partition_config_selectorILNS1_17partition_subalgoE4EjNS0_10empty_typeEbEEZZNS1_14partition_implILS8_4ELb0ES6_15HIP_vector_typeIjLj2EENS0_17counting_iteratorIjlEEPS9_SG_NS0_5tupleIJPjSI_NS0_16reverse_iteratorISI_EEEEENSH_IJSG_SG_SG_EEES9_SI_JZNS1_25segmented_radix_sort_implINS0_14default_configELb0EPKbPbPKlPlN2at6native12_GLOBAL__N_18offset_tEEE10hipError_tPvRmT1_PNSt15iterator_traitsIS12_E10value_typeET2_T3_PNS13_IS18_E10value_typeET4_jRbjT5_S1E_jjP12ihipStream_tbEUljE_ZNSN_ISO_Lb0ESQ_SR_ST_SU_SY_EESZ_S10_S11_S12_S16_S17_S18_S1B_S1C_jS1D_jS1E_S1E_jjS1G_bEUljE0_EEESZ_S10_S11_S18_S1C_S1E_T6_T7_T9_mT8_S1G_bDpT10_ENKUlT_T0_E_clISt17integral_constantIbLb0EES1U_EEDaS1P_S1Q_EUlS1P_E_NS1_11comp_targetILNS1_3genE9ELNS1_11target_archE1100ELNS1_3gpuE3ELNS1_3repE0EEENS1_30default_config_static_selectorELNS0_4arch9wavefront6targetE1EEEvS12_,comdat
.Lfunc_end1577:
	.size	_ZN7rocprim17ROCPRIM_400000_NS6detail17trampoline_kernelINS0_13select_configILj256ELj13ELNS0_17block_load_methodE3ELS4_3ELS4_3ELNS0_20block_scan_algorithmE0ELj4294967295EEENS1_25partition_config_selectorILNS1_17partition_subalgoE4EjNS0_10empty_typeEbEEZZNS1_14partition_implILS8_4ELb0ES6_15HIP_vector_typeIjLj2EENS0_17counting_iteratorIjlEEPS9_SG_NS0_5tupleIJPjSI_NS0_16reverse_iteratorISI_EEEEENSH_IJSG_SG_SG_EEES9_SI_JZNS1_25segmented_radix_sort_implINS0_14default_configELb0EPKbPbPKlPlN2at6native12_GLOBAL__N_18offset_tEEE10hipError_tPvRmT1_PNSt15iterator_traitsIS12_E10value_typeET2_T3_PNS13_IS18_E10value_typeET4_jRbjT5_S1E_jjP12ihipStream_tbEUljE_ZNSN_ISO_Lb0ESQ_SR_ST_SU_SY_EESZ_S10_S11_S12_S16_S17_S18_S1B_S1C_jS1D_jS1E_S1E_jjS1G_bEUljE0_EEESZ_S10_S11_S18_S1C_S1E_T6_T7_T9_mT8_S1G_bDpT10_ENKUlT_T0_E_clISt17integral_constantIbLb0EES1U_EEDaS1P_S1Q_EUlS1P_E_NS1_11comp_targetILNS1_3genE9ELNS1_11target_archE1100ELNS1_3gpuE3ELNS1_3repE0EEENS1_30default_config_static_selectorELNS0_4arch9wavefront6targetE1EEEvS12_, .Lfunc_end1577-_ZN7rocprim17ROCPRIM_400000_NS6detail17trampoline_kernelINS0_13select_configILj256ELj13ELNS0_17block_load_methodE3ELS4_3ELS4_3ELNS0_20block_scan_algorithmE0ELj4294967295EEENS1_25partition_config_selectorILNS1_17partition_subalgoE4EjNS0_10empty_typeEbEEZZNS1_14partition_implILS8_4ELb0ES6_15HIP_vector_typeIjLj2EENS0_17counting_iteratorIjlEEPS9_SG_NS0_5tupleIJPjSI_NS0_16reverse_iteratorISI_EEEEENSH_IJSG_SG_SG_EEES9_SI_JZNS1_25segmented_radix_sort_implINS0_14default_configELb0EPKbPbPKlPlN2at6native12_GLOBAL__N_18offset_tEEE10hipError_tPvRmT1_PNSt15iterator_traitsIS12_E10value_typeET2_T3_PNS13_IS18_E10value_typeET4_jRbjT5_S1E_jjP12ihipStream_tbEUljE_ZNSN_ISO_Lb0ESQ_SR_ST_SU_SY_EESZ_S10_S11_S12_S16_S17_S18_S1B_S1C_jS1D_jS1E_S1E_jjS1G_bEUljE0_EEESZ_S10_S11_S18_S1C_S1E_T6_T7_T9_mT8_S1G_bDpT10_ENKUlT_T0_E_clISt17integral_constantIbLb0EES1U_EEDaS1P_S1Q_EUlS1P_E_NS1_11comp_targetILNS1_3genE9ELNS1_11target_archE1100ELNS1_3gpuE3ELNS1_3repE0EEENS1_30default_config_static_selectorELNS0_4arch9wavefront6targetE1EEEvS12_
                                        ; -- End function
	.set _ZN7rocprim17ROCPRIM_400000_NS6detail17trampoline_kernelINS0_13select_configILj256ELj13ELNS0_17block_load_methodE3ELS4_3ELS4_3ELNS0_20block_scan_algorithmE0ELj4294967295EEENS1_25partition_config_selectorILNS1_17partition_subalgoE4EjNS0_10empty_typeEbEEZZNS1_14partition_implILS8_4ELb0ES6_15HIP_vector_typeIjLj2EENS0_17counting_iteratorIjlEEPS9_SG_NS0_5tupleIJPjSI_NS0_16reverse_iteratorISI_EEEEENSH_IJSG_SG_SG_EEES9_SI_JZNS1_25segmented_radix_sort_implINS0_14default_configELb0EPKbPbPKlPlN2at6native12_GLOBAL__N_18offset_tEEE10hipError_tPvRmT1_PNSt15iterator_traitsIS12_E10value_typeET2_T3_PNS13_IS18_E10value_typeET4_jRbjT5_S1E_jjP12ihipStream_tbEUljE_ZNSN_ISO_Lb0ESQ_SR_ST_SU_SY_EESZ_S10_S11_S12_S16_S17_S18_S1B_S1C_jS1D_jS1E_S1E_jjS1G_bEUljE0_EEESZ_S10_S11_S18_S1C_S1E_T6_T7_T9_mT8_S1G_bDpT10_ENKUlT_T0_E_clISt17integral_constantIbLb0EES1U_EEDaS1P_S1Q_EUlS1P_E_NS1_11comp_targetILNS1_3genE9ELNS1_11target_archE1100ELNS1_3gpuE3ELNS1_3repE0EEENS1_30default_config_static_selectorELNS0_4arch9wavefront6targetE1EEEvS12_.num_vgpr, 0
	.set _ZN7rocprim17ROCPRIM_400000_NS6detail17trampoline_kernelINS0_13select_configILj256ELj13ELNS0_17block_load_methodE3ELS4_3ELS4_3ELNS0_20block_scan_algorithmE0ELj4294967295EEENS1_25partition_config_selectorILNS1_17partition_subalgoE4EjNS0_10empty_typeEbEEZZNS1_14partition_implILS8_4ELb0ES6_15HIP_vector_typeIjLj2EENS0_17counting_iteratorIjlEEPS9_SG_NS0_5tupleIJPjSI_NS0_16reverse_iteratorISI_EEEEENSH_IJSG_SG_SG_EEES9_SI_JZNS1_25segmented_radix_sort_implINS0_14default_configELb0EPKbPbPKlPlN2at6native12_GLOBAL__N_18offset_tEEE10hipError_tPvRmT1_PNSt15iterator_traitsIS12_E10value_typeET2_T3_PNS13_IS18_E10value_typeET4_jRbjT5_S1E_jjP12ihipStream_tbEUljE_ZNSN_ISO_Lb0ESQ_SR_ST_SU_SY_EESZ_S10_S11_S12_S16_S17_S18_S1B_S1C_jS1D_jS1E_S1E_jjS1G_bEUljE0_EEESZ_S10_S11_S18_S1C_S1E_T6_T7_T9_mT8_S1G_bDpT10_ENKUlT_T0_E_clISt17integral_constantIbLb0EES1U_EEDaS1P_S1Q_EUlS1P_E_NS1_11comp_targetILNS1_3genE9ELNS1_11target_archE1100ELNS1_3gpuE3ELNS1_3repE0EEENS1_30default_config_static_selectorELNS0_4arch9wavefront6targetE1EEEvS12_.num_agpr, 0
	.set _ZN7rocprim17ROCPRIM_400000_NS6detail17trampoline_kernelINS0_13select_configILj256ELj13ELNS0_17block_load_methodE3ELS4_3ELS4_3ELNS0_20block_scan_algorithmE0ELj4294967295EEENS1_25partition_config_selectorILNS1_17partition_subalgoE4EjNS0_10empty_typeEbEEZZNS1_14partition_implILS8_4ELb0ES6_15HIP_vector_typeIjLj2EENS0_17counting_iteratorIjlEEPS9_SG_NS0_5tupleIJPjSI_NS0_16reverse_iteratorISI_EEEEENSH_IJSG_SG_SG_EEES9_SI_JZNS1_25segmented_radix_sort_implINS0_14default_configELb0EPKbPbPKlPlN2at6native12_GLOBAL__N_18offset_tEEE10hipError_tPvRmT1_PNSt15iterator_traitsIS12_E10value_typeET2_T3_PNS13_IS18_E10value_typeET4_jRbjT5_S1E_jjP12ihipStream_tbEUljE_ZNSN_ISO_Lb0ESQ_SR_ST_SU_SY_EESZ_S10_S11_S12_S16_S17_S18_S1B_S1C_jS1D_jS1E_S1E_jjS1G_bEUljE0_EEESZ_S10_S11_S18_S1C_S1E_T6_T7_T9_mT8_S1G_bDpT10_ENKUlT_T0_E_clISt17integral_constantIbLb0EES1U_EEDaS1P_S1Q_EUlS1P_E_NS1_11comp_targetILNS1_3genE9ELNS1_11target_archE1100ELNS1_3gpuE3ELNS1_3repE0EEENS1_30default_config_static_selectorELNS0_4arch9wavefront6targetE1EEEvS12_.numbered_sgpr, 0
	.set _ZN7rocprim17ROCPRIM_400000_NS6detail17trampoline_kernelINS0_13select_configILj256ELj13ELNS0_17block_load_methodE3ELS4_3ELS4_3ELNS0_20block_scan_algorithmE0ELj4294967295EEENS1_25partition_config_selectorILNS1_17partition_subalgoE4EjNS0_10empty_typeEbEEZZNS1_14partition_implILS8_4ELb0ES6_15HIP_vector_typeIjLj2EENS0_17counting_iteratorIjlEEPS9_SG_NS0_5tupleIJPjSI_NS0_16reverse_iteratorISI_EEEEENSH_IJSG_SG_SG_EEES9_SI_JZNS1_25segmented_radix_sort_implINS0_14default_configELb0EPKbPbPKlPlN2at6native12_GLOBAL__N_18offset_tEEE10hipError_tPvRmT1_PNSt15iterator_traitsIS12_E10value_typeET2_T3_PNS13_IS18_E10value_typeET4_jRbjT5_S1E_jjP12ihipStream_tbEUljE_ZNSN_ISO_Lb0ESQ_SR_ST_SU_SY_EESZ_S10_S11_S12_S16_S17_S18_S1B_S1C_jS1D_jS1E_S1E_jjS1G_bEUljE0_EEESZ_S10_S11_S18_S1C_S1E_T6_T7_T9_mT8_S1G_bDpT10_ENKUlT_T0_E_clISt17integral_constantIbLb0EES1U_EEDaS1P_S1Q_EUlS1P_E_NS1_11comp_targetILNS1_3genE9ELNS1_11target_archE1100ELNS1_3gpuE3ELNS1_3repE0EEENS1_30default_config_static_selectorELNS0_4arch9wavefront6targetE1EEEvS12_.num_named_barrier, 0
	.set _ZN7rocprim17ROCPRIM_400000_NS6detail17trampoline_kernelINS0_13select_configILj256ELj13ELNS0_17block_load_methodE3ELS4_3ELS4_3ELNS0_20block_scan_algorithmE0ELj4294967295EEENS1_25partition_config_selectorILNS1_17partition_subalgoE4EjNS0_10empty_typeEbEEZZNS1_14partition_implILS8_4ELb0ES6_15HIP_vector_typeIjLj2EENS0_17counting_iteratorIjlEEPS9_SG_NS0_5tupleIJPjSI_NS0_16reverse_iteratorISI_EEEEENSH_IJSG_SG_SG_EEES9_SI_JZNS1_25segmented_radix_sort_implINS0_14default_configELb0EPKbPbPKlPlN2at6native12_GLOBAL__N_18offset_tEEE10hipError_tPvRmT1_PNSt15iterator_traitsIS12_E10value_typeET2_T3_PNS13_IS18_E10value_typeET4_jRbjT5_S1E_jjP12ihipStream_tbEUljE_ZNSN_ISO_Lb0ESQ_SR_ST_SU_SY_EESZ_S10_S11_S12_S16_S17_S18_S1B_S1C_jS1D_jS1E_S1E_jjS1G_bEUljE0_EEESZ_S10_S11_S18_S1C_S1E_T6_T7_T9_mT8_S1G_bDpT10_ENKUlT_T0_E_clISt17integral_constantIbLb0EES1U_EEDaS1P_S1Q_EUlS1P_E_NS1_11comp_targetILNS1_3genE9ELNS1_11target_archE1100ELNS1_3gpuE3ELNS1_3repE0EEENS1_30default_config_static_selectorELNS0_4arch9wavefront6targetE1EEEvS12_.private_seg_size, 0
	.set _ZN7rocprim17ROCPRIM_400000_NS6detail17trampoline_kernelINS0_13select_configILj256ELj13ELNS0_17block_load_methodE3ELS4_3ELS4_3ELNS0_20block_scan_algorithmE0ELj4294967295EEENS1_25partition_config_selectorILNS1_17partition_subalgoE4EjNS0_10empty_typeEbEEZZNS1_14partition_implILS8_4ELb0ES6_15HIP_vector_typeIjLj2EENS0_17counting_iteratorIjlEEPS9_SG_NS0_5tupleIJPjSI_NS0_16reverse_iteratorISI_EEEEENSH_IJSG_SG_SG_EEES9_SI_JZNS1_25segmented_radix_sort_implINS0_14default_configELb0EPKbPbPKlPlN2at6native12_GLOBAL__N_18offset_tEEE10hipError_tPvRmT1_PNSt15iterator_traitsIS12_E10value_typeET2_T3_PNS13_IS18_E10value_typeET4_jRbjT5_S1E_jjP12ihipStream_tbEUljE_ZNSN_ISO_Lb0ESQ_SR_ST_SU_SY_EESZ_S10_S11_S12_S16_S17_S18_S1B_S1C_jS1D_jS1E_S1E_jjS1G_bEUljE0_EEESZ_S10_S11_S18_S1C_S1E_T6_T7_T9_mT8_S1G_bDpT10_ENKUlT_T0_E_clISt17integral_constantIbLb0EES1U_EEDaS1P_S1Q_EUlS1P_E_NS1_11comp_targetILNS1_3genE9ELNS1_11target_archE1100ELNS1_3gpuE3ELNS1_3repE0EEENS1_30default_config_static_selectorELNS0_4arch9wavefront6targetE1EEEvS12_.uses_vcc, 0
	.set _ZN7rocprim17ROCPRIM_400000_NS6detail17trampoline_kernelINS0_13select_configILj256ELj13ELNS0_17block_load_methodE3ELS4_3ELS4_3ELNS0_20block_scan_algorithmE0ELj4294967295EEENS1_25partition_config_selectorILNS1_17partition_subalgoE4EjNS0_10empty_typeEbEEZZNS1_14partition_implILS8_4ELb0ES6_15HIP_vector_typeIjLj2EENS0_17counting_iteratorIjlEEPS9_SG_NS0_5tupleIJPjSI_NS0_16reverse_iteratorISI_EEEEENSH_IJSG_SG_SG_EEES9_SI_JZNS1_25segmented_radix_sort_implINS0_14default_configELb0EPKbPbPKlPlN2at6native12_GLOBAL__N_18offset_tEEE10hipError_tPvRmT1_PNSt15iterator_traitsIS12_E10value_typeET2_T3_PNS13_IS18_E10value_typeET4_jRbjT5_S1E_jjP12ihipStream_tbEUljE_ZNSN_ISO_Lb0ESQ_SR_ST_SU_SY_EESZ_S10_S11_S12_S16_S17_S18_S1B_S1C_jS1D_jS1E_S1E_jjS1G_bEUljE0_EEESZ_S10_S11_S18_S1C_S1E_T6_T7_T9_mT8_S1G_bDpT10_ENKUlT_T0_E_clISt17integral_constantIbLb0EES1U_EEDaS1P_S1Q_EUlS1P_E_NS1_11comp_targetILNS1_3genE9ELNS1_11target_archE1100ELNS1_3gpuE3ELNS1_3repE0EEENS1_30default_config_static_selectorELNS0_4arch9wavefront6targetE1EEEvS12_.uses_flat_scratch, 0
	.set _ZN7rocprim17ROCPRIM_400000_NS6detail17trampoline_kernelINS0_13select_configILj256ELj13ELNS0_17block_load_methodE3ELS4_3ELS4_3ELNS0_20block_scan_algorithmE0ELj4294967295EEENS1_25partition_config_selectorILNS1_17partition_subalgoE4EjNS0_10empty_typeEbEEZZNS1_14partition_implILS8_4ELb0ES6_15HIP_vector_typeIjLj2EENS0_17counting_iteratorIjlEEPS9_SG_NS0_5tupleIJPjSI_NS0_16reverse_iteratorISI_EEEEENSH_IJSG_SG_SG_EEES9_SI_JZNS1_25segmented_radix_sort_implINS0_14default_configELb0EPKbPbPKlPlN2at6native12_GLOBAL__N_18offset_tEEE10hipError_tPvRmT1_PNSt15iterator_traitsIS12_E10value_typeET2_T3_PNS13_IS18_E10value_typeET4_jRbjT5_S1E_jjP12ihipStream_tbEUljE_ZNSN_ISO_Lb0ESQ_SR_ST_SU_SY_EESZ_S10_S11_S12_S16_S17_S18_S1B_S1C_jS1D_jS1E_S1E_jjS1G_bEUljE0_EEESZ_S10_S11_S18_S1C_S1E_T6_T7_T9_mT8_S1G_bDpT10_ENKUlT_T0_E_clISt17integral_constantIbLb0EES1U_EEDaS1P_S1Q_EUlS1P_E_NS1_11comp_targetILNS1_3genE9ELNS1_11target_archE1100ELNS1_3gpuE3ELNS1_3repE0EEENS1_30default_config_static_selectorELNS0_4arch9wavefront6targetE1EEEvS12_.has_dyn_sized_stack, 0
	.set _ZN7rocprim17ROCPRIM_400000_NS6detail17trampoline_kernelINS0_13select_configILj256ELj13ELNS0_17block_load_methodE3ELS4_3ELS4_3ELNS0_20block_scan_algorithmE0ELj4294967295EEENS1_25partition_config_selectorILNS1_17partition_subalgoE4EjNS0_10empty_typeEbEEZZNS1_14partition_implILS8_4ELb0ES6_15HIP_vector_typeIjLj2EENS0_17counting_iteratorIjlEEPS9_SG_NS0_5tupleIJPjSI_NS0_16reverse_iteratorISI_EEEEENSH_IJSG_SG_SG_EEES9_SI_JZNS1_25segmented_radix_sort_implINS0_14default_configELb0EPKbPbPKlPlN2at6native12_GLOBAL__N_18offset_tEEE10hipError_tPvRmT1_PNSt15iterator_traitsIS12_E10value_typeET2_T3_PNS13_IS18_E10value_typeET4_jRbjT5_S1E_jjP12ihipStream_tbEUljE_ZNSN_ISO_Lb0ESQ_SR_ST_SU_SY_EESZ_S10_S11_S12_S16_S17_S18_S1B_S1C_jS1D_jS1E_S1E_jjS1G_bEUljE0_EEESZ_S10_S11_S18_S1C_S1E_T6_T7_T9_mT8_S1G_bDpT10_ENKUlT_T0_E_clISt17integral_constantIbLb0EES1U_EEDaS1P_S1Q_EUlS1P_E_NS1_11comp_targetILNS1_3genE9ELNS1_11target_archE1100ELNS1_3gpuE3ELNS1_3repE0EEENS1_30default_config_static_selectorELNS0_4arch9wavefront6targetE1EEEvS12_.has_recursion, 0
	.set _ZN7rocprim17ROCPRIM_400000_NS6detail17trampoline_kernelINS0_13select_configILj256ELj13ELNS0_17block_load_methodE3ELS4_3ELS4_3ELNS0_20block_scan_algorithmE0ELj4294967295EEENS1_25partition_config_selectorILNS1_17partition_subalgoE4EjNS0_10empty_typeEbEEZZNS1_14partition_implILS8_4ELb0ES6_15HIP_vector_typeIjLj2EENS0_17counting_iteratorIjlEEPS9_SG_NS0_5tupleIJPjSI_NS0_16reverse_iteratorISI_EEEEENSH_IJSG_SG_SG_EEES9_SI_JZNS1_25segmented_radix_sort_implINS0_14default_configELb0EPKbPbPKlPlN2at6native12_GLOBAL__N_18offset_tEEE10hipError_tPvRmT1_PNSt15iterator_traitsIS12_E10value_typeET2_T3_PNS13_IS18_E10value_typeET4_jRbjT5_S1E_jjP12ihipStream_tbEUljE_ZNSN_ISO_Lb0ESQ_SR_ST_SU_SY_EESZ_S10_S11_S12_S16_S17_S18_S1B_S1C_jS1D_jS1E_S1E_jjS1G_bEUljE0_EEESZ_S10_S11_S18_S1C_S1E_T6_T7_T9_mT8_S1G_bDpT10_ENKUlT_T0_E_clISt17integral_constantIbLb0EES1U_EEDaS1P_S1Q_EUlS1P_E_NS1_11comp_targetILNS1_3genE9ELNS1_11target_archE1100ELNS1_3gpuE3ELNS1_3repE0EEENS1_30default_config_static_selectorELNS0_4arch9wavefront6targetE1EEEvS12_.has_indirect_call, 0
	.section	.AMDGPU.csdata,"",@progbits
; Kernel info:
; codeLenInByte = 0
; TotalNumSgprs: 4
; NumVgprs: 0
; ScratchSize: 0
; MemoryBound: 0
; FloatMode: 240
; IeeeMode: 1
; LDSByteSize: 0 bytes/workgroup (compile time only)
; SGPRBlocks: 0
; VGPRBlocks: 0
; NumSGPRsForWavesPerEU: 4
; NumVGPRsForWavesPerEU: 1
; Occupancy: 10
; WaveLimiterHint : 0
; COMPUTE_PGM_RSRC2:SCRATCH_EN: 0
; COMPUTE_PGM_RSRC2:USER_SGPR: 6
; COMPUTE_PGM_RSRC2:TRAP_HANDLER: 0
; COMPUTE_PGM_RSRC2:TGID_X_EN: 1
; COMPUTE_PGM_RSRC2:TGID_Y_EN: 0
; COMPUTE_PGM_RSRC2:TGID_Z_EN: 0
; COMPUTE_PGM_RSRC2:TIDIG_COMP_CNT: 0
	.section	.text._ZN7rocprim17ROCPRIM_400000_NS6detail17trampoline_kernelINS0_13select_configILj256ELj13ELNS0_17block_load_methodE3ELS4_3ELS4_3ELNS0_20block_scan_algorithmE0ELj4294967295EEENS1_25partition_config_selectorILNS1_17partition_subalgoE4EjNS0_10empty_typeEbEEZZNS1_14partition_implILS8_4ELb0ES6_15HIP_vector_typeIjLj2EENS0_17counting_iteratorIjlEEPS9_SG_NS0_5tupleIJPjSI_NS0_16reverse_iteratorISI_EEEEENSH_IJSG_SG_SG_EEES9_SI_JZNS1_25segmented_radix_sort_implINS0_14default_configELb0EPKbPbPKlPlN2at6native12_GLOBAL__N_18offset_tEEE10hipError_tPvRmT1_PNSt15iterator_traitsIS12_E10value_typeET2_T3_PNS13_IS18_E10value_typeET4_jRbjT5_S1E_jjP12ihipStream_tbEUljE_ZNSN_ISO_Lb0ESQ_SR_ST_SU_SY_EESZ_S10_S11_S12_S16_S17_S18_S1B_S1C_jS1D_jS1E_S1E_jjS1G_bEUljE0_EEESZ_S10_S11_S18_S1C_S1E_T6_T7_T9_mT8_S1G_bDpT10_ENKUlT_T0_E_clISt17integral_constantIbLb0EES1U_EEDaS1P_S1Q_EUlS1P_E_NS1_11comp_targetILNS1_3genE8ELNS1_11target_archE1030ELNS1_3gpuE2ELNS1_3repE0EEENS1_30default_config_static_selectorELNS0_4arch9wavefront6targetE1EEEvS12_,"axG",@progbits,_ZN7rocprim17ROCPRIM_400000_NS6detail17trampoline_kernelINS0_13select_configILj256ELj13ELNS0_17block_load_methodE3ELS4_3ELS4_3ELNS0_20block_scan_algorithmE0ELj4294967295EEENS1_25partition_config_selectorILNS1_17partition_subalgoE4EjNS0_10empty_typeEbEEZZNS1_14partition_implILS8_4ELb0ES6_15HIP_vector_typeIjLj2EENS0_17counting_iteratorIjlEEPS9_SG_NS0_5tupleIJPjSI_NS0_16reverse_iteratorISI_EEEEENSH_IJSG_SG_SG_EEES9_SI_JZNS1_25segmented_radix_sort_implINS0_14default_configELb0EPKbPbPKlPlN2at6native12_GLOBAL__N_18offset_tEEE10hipError_tPvRmT1_PNSt15iterator_traitsIS12_E10value_typeET2_T3_PNS13_IS18_E10value_typeET4_jRbjT5_S1E_jjP12ihipStream_tbEUljE_ZNSN_ISO_Lb0ESQ_SR_ST_SU_SY_EESZ_S10_S11_S12_S16_S17_S18_S1B_S1C_jS1D_jS1E_S1E_jjS1G_bEUljE0_EEESZ_S10_S11_S18_S1C_S1E_T6_T7_T9_mT8_S1G_bDpT10_ENKUlT_T0_E_clISt17integral_constantIbLb0EES1U_EEDaS1P_S1Q_EUlS1P_E_NS1_11comp_targetILNS1_3genE8ELNS1_11target_archE1030ELNS1_3gpuE2ELNS1_3repE0EEENS1_30default_config_static_selectorELNS0_4arch9wavefront6targetE1EEEvS12_,comdat
	.globl	_ZN7rocprim17ROCPRIM_400000_NS6detail17trampoline_kernelINS0_13select_configILj256ELj13ELNS0_17block_load_methodE3ELS4_3ELS4_3ELNS0_20block_scan_algorithmE0ELj4294967295EEENS1_25partition_config_selectorILNS1_17partition_subalgoE4EjNS0_10empty_typeEbEEZZNS1_14partition_implILS8_4ELb0ES6_15HIP_vector_typeIjLj2EENS0_17counting_iteratorIjlEEPS9_SG_NS0_5tupleIJPjSI_NS0_16reverse_iteratorISI_EEEEENSH_IJSG_SG_SG_EEES9_SI_JZNS1_25segmented_radix_sort_implINS0_14default_configELb0EPKbPbPKlPlN2at6native12_GLOBAL__N_18offset_tEEE10hipError_tPvRmT1_PNSt15iterator_traitsIS12_E10value_typeET2_T3_PNS13_IS18_E10value_typeET4_jRbjT5_S1E_jjP12ihipStream_tbEUljE_ZNSN_ISO_Lb0ESQ_SR_ST_SU_SY_EESZ_S10_S11_S12_S16_S17_S18_S1B_S1C_jS1D_jS1E_S1E_jjS1G_bEUljE0_EEESZ_S10_S11_S18_S1C_S1E_T6_T7_T9_mT8_S1G_bDpT10_ENKUlT_T0_E_clISt17integral_constantIbLb0EES1U_EEDaS1P_S1Q_EUlS1P_E_NS1_11comp_targetILNS1_3genE8ELNS1_11target_archE1030ELNS1_3gpuE2ELNS1_3repE0EEENS1_30default_config_static_selectorELNS0_4arch9wavefront6targetE1EEEvS12_ ; -- Begin function _ZN7rocprim17ROCPRIM_400000_NS6detail17trampoline_kernelINS0_13select_configILj256ELj13ELNS0_17block_load_methodE3ELS4_3ELS4_3ELNS0_20block_scan_algorithmE0ELj4294967295EEENS1_25partition_config_selectorILNS1_17partition_subalgoE4EjNS0_10empty_typeEbEEZZNS1_14partition_implILS8_4ELb0ES6_15HIP_vector_typeIjLj2EENS0_17counting_iteratorIjlEEPS9_SG_NS0_5tupleIJPjSI_NS0_16reverse_iteratorISI_EEEEENSH_IJSG_SG_SG_EEES9_SI_JZNS1_25segmented_radix_sort_implINS0_14default_configELb0EPKbPbPKlPlN2at6native12_GLOBAL__N_18offset_tEEE10hipError_tPvRmT1_PNSt15iterator_traitsIS12_E10value_typeET2_T3_PNS13_IS18_E10value_typeET4_jRbjT5_S1E_jjP12ihipStream_tbEUljE_ZNSN_ISO_Lb0ESQ_SR_ST_SU_SY_EESZ_S10_S11_S12_S16_S17_S18_S1B_S1C_jS1D_jS1E_S1E_jjS1G_bEUljE0_EEESZ_S10_S11_S18_S1C_S1E_T6_T7_T9_mT8_S1G_bDpT10_ENKUlT_T0_E_clISt17integral_constantIbLb0EES1U_EEDaS1P_S1Q_EUlS1P_E_NS1_11comp_targetILNS1_3genE8ELNS1_11target_archE1030ELNS1_3gpuE2ELNS1_3repE0EEENS1_30default_config_static_selectorELNS0_4arch9wavefront6targetE1EEEvS12_
	.p2align	8
	.type	_ZN7rocprim17ROCPRIM_400000_NS6detail17trampoline_kernelINS0_13select_configILj256ELj13ELNS0_17block_load_methodE3ELS4_3ELS4_3ELNS0_20block_scan_algorithmE0ELj4294967295EEENS1_25partition_config_selectorILNS1_17partition_subalgoE4EjNS0_10empty_typeEbEEZZNS1_14partition_implILS8_4ELb0ES6_15HIP_vector_typeIjLj2EENS0_17counting_iteratorIjlEEPS9_SG_NS0_5tupleIJPjSI_NS0_16reverse_iteratorISI_EEEEENSH_IJSG_SG_SG_EEES9_SI_JZNS1_25segmented_radix_sort_implINS0_14default_configELb0EPKbPbPKlPlN2at6native12_GLOBAL__N_18offset_tEEE10hipError_tPvRmT1_PNSt15iterator_traitsIS12_E10value_typeET2_T3_PNS13_IS18_E10value_typeET4_jRbjT5_S1E_jjP12ihipStream_tbEUljE_ZNSN_ISO_Lb0ESQ_SR_ST_SU_SY_EESZ_S10_S11_S12_S16_S17_S18_S1B_S1C_jS1D_jS1E_S1E_jjS1G_bEUljE0_EEESZ_S10_S11_S18_S1C_S1E_T6_T7_T9_mT8_S1G_bDpT10_ENKUlT_T0_E_clISt17integral_constantIbLb0EES1U_EEDaS1P_S1Q_EUlS1P_E_NS1_11comp_targetILNS1_3genE8ELNS1_11target_archE1030ELNS1_3gpuE2ELNS1_3repE0EEENS1_30default_config_static_selectorELNS0_4arch9wavefront6targetE1EEEvS12_,@function
_ZN7rocprim17ROCPRIM_400000_NS6detail17trampoline_kernelINS0_13select_configILj256ELj13ELNS0_17block_load_methodE3ELS4_3ELS4_3ELNS0_20block_scan_algorithmE0ELj4294967295EEENS1_25partition_config_selectorILNS1_17partition_subalgoE4EjNS0_10empty_typeEbEEZZNS1_14partition_implILS8_4ELb0ES6_15HIP_vector_typeIjLj2EENS0_17counting_iteratorIjlEEPS9_SG_NS0_5tupleIJPjSI_NS0_16reverse_iteratorISI_EEEEENSH_IJSG_SG_SG_EEES9_SI_JZNS1_25segmented_radix_sort_implINS0_14default_configELb0EPKbPbPKlPlN2at6native12_GLOBAL__N_18offset_tEEE10hipError_tPvRmT1_PNSt15iterator_traitsIS12_E10value_typeET2_T3_PNS13_IS18_E10value_typeET4_jRbjT5_S1E_jjP12ihipStream_tbEUljE_ZNSN_ISO_Lb0ESQ_SR_ST_SU_SY_EESZ_S10_S11_S12_S16_S17_S18_S1B_S1C_jS1D_jS1E_S1E_jjS1G_bEUljE0_EEESZ_S10_S11_S18_S1C_S1E_T6_T7_T9_mT8_S1G_bDpT10_ENKUlT_T0_E_clISt17integral_constantIbLb0EES1U_EEDaS1P_S1Q_EUlS1P_E_NS1_11comp_targetILNS1_3genE8ELNS1_11target_archE1030ELNS1_3gpuE2ELNS1_3repE0EEENS1_30default_config_static_selectorELNS0_4arch9wavefront6targetE1EEEvS12_: ; @_ZN7rocprim17ROCPRIM_400000_NS6detail17trampoline_kernelINS0_13select_configILj256ELj13ELNS0_17block_load_methodE3ELS4_3ELS4_3ELNS0_20block_scan_algorithmE0ELj4294967295EEENS1_25partition_config_selectorILNS1_17partition_subalgoE4EjNS0_10empty_typeEbEEZZNS1_14partition_implILS8_4ELb0ES6_15HIP_vector_typeIjLj2EENS0_17counting_iteratorIjlEEPS9_SG_NS0_5tupleIJPjSI_NS0_16reverse_iteratorISI_EEEEENSH_IJSG_SG_SG_EEES9_SI_JZNS1_25segmented_radix_sort_implINS0_14default_configELb0EPKbPbPKlPlN2at6native12_GLOBAL__N_18offset_tEEE10hipError_tPvRmT1_PNSt15iterator_traitsIS12_E10value_typeET2_T3_PNS13_IS18_E10value_typeET4_jRbjT5_S1E_jjP12ihipStream_tbEUljE_ZNSN_ISO_Lb0ESQ_SR_ST_SU_SY_EESZ_S10_S11_S12_S16_S17_S18_S1B_S1C_jS1D_jS1E_S1E_jjS1G_bEUljE0_EEESZ_S10_S11_S18_S1C_S1E_T6_T7_T9_mT8_S1G_bDpT10_ENKUlT_T0_E_clISt17integral_constantIbLb0EES1U_EEDaS1P_S1Q_EUlS1P_E_NS1_11comp_targetILNS1_3genE8ELNS1_11target_archE1030ELNS1_3gpuE2ELNS1_3repE0EEENS1_30default_config_static_selectorELNS0_4arch9wavefront6targetE1EEEvS12_
; %bb.0:
	.section	.rodata,"a",@progbits
	.p2align	6, 0x0
	.amdhsa_kernel _ZN7rocprim17ROCPRIM_400000_NS6detail17trampoline_kernelINS0_13select_configILj256ELj13ELNS0_17block_load_methodE3ELS4_3ELS4_3ELNS0_20block_scan_algorithmE0ELj4294967295EEENS1_25partition_config_selectorILNS1_17partition_subalgoE4EjNS0_10empty_typeEbEEZZNS1_14partition_implILS8_4ELb0ES6_15HIP_vector_typeIjLj2EENS0_17counting_iteratorIjlEEPS9_SG_NS0_5tupleIJPjSI_NS0_16reverse_iteratorISI_EEEEENSH_IJSG_SG_SG_EEES9_SI_JZNS1_25segmented_radix_sort_implINS0_14default_configELb0EPKbPbPKlPlN2at6native12_GLOBAL__N_18offset_tEEE10hipError_tPvRmT1_PNSt15iterator_traitsIS12_E10value_typeET2_T3_PNS13_IS18_E10value_typeET4_jRbjT5_S1E_jjP12ihipStream_tbEUljE_ZNSN_ISO_Lb0ESQ_SR_ST_SU_SY_EESZ_S10_S11_S12_S16_S17_S18_S1B_S1C_jS1D_jS1E_S1E_jjS1G_bEUljE0_EEESZ_S10_S11_S18_S1C_S1E_T6_T7_T9_mT8_S1G_bDpT10_ENKUlT_T0_E_clISt17integral_constantIbLb0EES1U_EEDaS1P_S1Q_EUlS1P_E_NS1_11comp_targetILNS1_3genE8ELNS1_11target_archE1030ELNS1_3gpuE2ELNS1_3repE0EEENS1_30default_config_static_selectorELNS0_4arch9wavefront6targetE1EEEvS12_
		.amdhsa_group_segment_fixed_size 0
		.amdhsa_private_segment_fixed_size 0
		.amdhsa_kernarg_size 176
		.amdhsa_user_sgpr_count 6
		.amdhsa_user_sgpr_private_segment_buffer 1
		.amdhsa_user_sgpr_dispatch_ptr 0
		.amdhsa_user_sgpr_queue_ptr 0
		.amdhsa_user_sgpr_kernarg_segment_ptr 1
		.amdhsa_user_sgpr_dispatch_id 0
		.amdhsa_user_sgpr_flat_scratch_init 0
		.amdhsa_user_sgpr_private_segment_size 0
		.amdhsa_uses_dynamic_stack 0
		.amdhsa_system_sgpr_private_segment_wavefront_offset 0
		.amdhsa_system_sgpr_workgroup_id_x 1
		.amdhsa_system_sgpr_workgroup_id_y 0
		.amdhsa_system_sgpr_workgroup_id_z 0
		.amdhsa_system_sgpr_workgroup_info 0
		.amdhsa_system_vgpr_workitem_id 0
		.amdhsa_next_free_vgpr 1
		.amdhsa_next_free_sgpr 0
		.amdhsa_reserve_vcc 0
		.amdhsa_reserve_flat_scratch 0
		.amdhsa_float_round_mode_32 0
		.amdhsa_float_round_mode_16_64 0
		.amdhsa_float_denorm_mode_32 3
		.amdhsa_float_denorm_mode_16_64 3
		.amdhsa_dx10_clamp 1
		.amdhsa_ieee_mode 1
		.amdhsa_fp16_overflow 0
		.amdhsa_exception_fp_ieee_invalid_op 0
		.amdhsa_exception_fp_denorm_src 0
		.amdhsa_exception_fp_ieee_div_zero 0
		.amdhsa_exception_fp_ieee_overflow 0
		.amdhsa_exception_fp_ieee_underflow 0
		.amdhsa_exception_fp_ieee_inexact 0
		.amdhsa_exception_int_div_zero 0
	.end_amdhsa_kernel
	.section	.text._ZN7rocprim17ROCPRIM_400000_NS6detail17trampoline_kernelINS0_13select_configILj256ELj13ELNS0_17block_load_methodE3ELS4_3ELS4_3ELNS0_20block_scan_algorithmE0ELj4294967295EEENS1_25partition_config_selectorILNS1_17partition_subalgoE4EjNS0_10empty_typeEbEEZZNS1_14partition_implILS8_4ELb0ES6_15HIP_vector_typeIjLj2EENS0_17counting_iteratorIjlEEPS9_SG_NS0_5tupleIJPjSI_NS0_16reverse_iteratorISI_EEEEENSH_IJSG_SG_SG_EEES9_SI_JZNS1_25segmented_radix_sort_implINS0_14default_configELb0EPKbPbPKlPlN2at6native12_GLOBAL__N_18offset_tEEE10hipError_tPvRmT1_PNSt15iterator_traitsIS12_E10value_typeET2_T3_PNS13_IS18_E10value_typeET4_jRbjT5_S1E_jjP12ihipStream_tbEUljE_ZNSN_ISO_Lb0ESQ_SR_ST_SU_SY_EESZ_S10_S11_S12_S16_S17_S18_S1B_S1C_jS1D_jS1E_S1E_jjS1G_bEUljE0_EEESZ_S10_S11_S18_S1C_S1E_T6_T7_T9_mT8_S1G_bDpT10_ENKUlT_T0_E_clISt17integral_constantIbLb0EES1U_EEDaS1P_S1Q_EUlS1P_E_NS1_11comp_targetILNS1_3genE8ELNS1_11target_archE1030ELNS1_3gpuE2ELNS1_3repE0EEENS1_30default_config_static_selectorELNS0_4arch9wavefront6targetE1EEEvS12_,"axG",@progbits,_ZN7rocprim17ROCPRIM_400000_NS6detail17trampoline_kernelINS0_13select_configILj256ELj13ELNS0_17block_load_methodE3ELS4_3ELS4_3ELNS0_20block_scan_algorithmE0ELj4294967295EEENS1_25partition_config_selectorILNS1_17partition_subalgoE4EjNS0_10empty_typeEbEEZZNS1_14partition_implILS8_4ELb0ES6_15HIP_vector_typeIjLj2EENS0_17counting_iteratorIjlEEPS9_SG_NS0_5tupleIJPjSI_NS0_16reverse_iteratorISI_EEEEENSH_IJSG_SG_SG_EEES9_SI_JZNS1_25segmented_radix_sort_implINS0_14default_configELb0EPKbPbPKlPlN2at6native12_GLOBAL__N_18offset_tEEE10hipError_tPvRmT1_PNSt15iterator_traitsIS12_E10value_typeET2_T3_PNS13_IS18_E10value_typeET4_jRbjT5_S1E_jjP12ihipStream_tbEUljE_ZNSN_ISO_Lb0ESQ_SR_ST_SU_SY_EESZ_S10_S11_S12_S16_S17_S18_S1B_S1C_jS1D_jS1E_S1E_jjS1G_bEUljE0_EEESZ_S10_S11_S18_S1C_S1E_T6_T7_T9_mT8_S1G_bDpT10_ENKUlT_T0_E_clISt17integral_constantIbLb0EES1U_EEDaS1P_S1Q_EUlS1P_E_NS1_11comp_targetILNS1_3genE8ELNS1_11target_archE1030ELNS1_3gpuE2ELNS1_3repE0EEENS1_30default_config_static_selectorELNS0_4arch9wavefront6targetE1EEEvS12_,comdat
.Lfunc_end1578:
	.size	_ZN7rocprim17ROCPRIM_400000_NS6detail17trampoline_kernelINS0_13select_configILj256ELj13ELNS0_17block_load_methodE3ELS4_3ELS4_3ELNS0_20block_scan_algorithmE0ELj4294967295EEENS1_25partition_config_selectorILNS1_17partition_subalgoE4EjNS0_10empty_typeEbEEZZNS1_14partition_implILS8_4ELb0ES6_15HIP_vector_typeIjLj2EENS0_17counting_iteratorIjlEEPS9_SG_NS0_5tupleIJPjSI_NS0_16reverse_iteratorISI_EEEEENSH_IJSG_SG_SG_EEES9_SI_JZNS1_25segmented_radix_sort_implINS0_14default_configELb0EPKbPbPKlPlN2at6native12_GLOBAL__N_18offset_tEEE10hipError_tPvRmT1_PNSt15iterator_traitsIS12_E10value_typeET2_T3_PNS13_IS18_E10value_typeET4_jRbjT5_S1E_jjP12ihipStream_tbEUljE_ZNSN_ISO_Lb0ESQ_SR_ST_SU_SY_EESZ_S10_S11_S12_S16_S17_S18_S1B_S1C_jS1D_jS1E_S1E_jjS1G_bEUljE0_EEESZ_S10_S11_S18_S1C_S1E_T6_T7_T9_mT8_S1G_bDpT10_ENKUlT_T0_E_clISt17integral_constantIbLb0EES1U_EEDaS1P_S1Q_EUlS1P_E_NS1_11comp_targetILNS1_3genE8ELNS1_11target_archE1030ELNS1_3gpuE2ELNS1_3repE0EEENS1_30default_config_static_selectorELNS0_4arch9wavefront6targetE1EEEvS12_, .Lfunc_end1578-_ZN7rocprim17ROCPRIM_400000_NS6detail17trampoline_kernelINS0_13select_configILj256ELj13ELNS0_17block_load_methodE3ELS4_3ELS4_3ELNS0_20block_scan_algorithmE0ELj4294967295EEENS1_25partition_config_selectorILNS1_17partition_subalgoE4EjNS0_10empty_typeEbEEZZNS1_14partition_implILS8_4ELb0ES6_15HIP_vector_typeIjLj2EENS0_17counting_iteratorIjlEEPS9_SG_NS0_5tupleIJPjSI_NS0_16reverse_iteratorISI_EEEEENSH_IJSG_SG_SG_EEES9_SI_JZNS1_25segmented_radix_sort_implINS0_14default_configELb0EPKbPbPKlPlN2at6native12_GLOBAL__N_18offset_tEEE10hipError_tPvRmT1_PNSt15iterator_traitsIS12_E10value_typeET2_T3_PNS13_IS18_E10value_typeET4_jRbjT5_S1E_jjP12ihipStream_tbEUljE_ZNSN_ISO_Lb0ESQ_SR_ST_SU_SY_EESZ_S10_S11_S12_S16_S17_S18_S1B_S1C_jS1D_jS1E_S1E_jjS1G_bEUljE0_EEESZ_S10_S11_S18_S1C_S1E_T6_T7_T9_mT8_S1G_bDpT10_ENKUlT_T0_E_clISt17integral_constantIbLb0EES1U_EEDaS1P_S1Q_EUlS1P_E_NS1_11comp_targetILNS1_3genE8ELNS1_11target_archE1030ELNS1_3gpuE2ELNS1_3repE0EEENS1_30default_config_static_selectorELNS0_4arch9wavefront6targetE1EEEvS12_
                                        ; -- End function
	.set _ZN7rocprim17ROCPRIM_400000_NS6detail17trampoline_kernelINS0_13select_configILj256ELj13ELNS0_17block_load_methodE3ELS4_3ELS4_3ELNS0_20block_scan_algorithmE0ELj4294967295EEENS1_25partition_config_selectorILNS1_17partition_subalgoE4EjNS0_10empty_typeEbEEZZNS1_14partition_implILS8_4ELb0ES6_15HIP_vector_typeIjLj2EENS0_17counting_iteratorIjlEEPS9_SG_NS0_5tupleIJPjSI_NS0_16reverse_iteratorISI_EEEEENSH_IJSG_SG_SG_EEES9_SI_JZNS1_25segmented_radix_sort_implINS0_14default_configELb0EPKbPbPKlPlN2at6native12_GLOBAL__N_18offset_tEEE10hipError_tPvRmT1_PNSt15iterator_traitsIS12_E10value_typeET2_T3_PNS13_IS18_E10value_typeET4_jRbjT5_S1E_jjP12ihipStream_tbEUljE_ZNSN_ISO_Lb0ESQ_SR_ST_SU_SY_EESZ_S10_S11_S12_S16_S17_S18_S1B_S1C_jS1D_jS1E_S1E_jjS1G_bEUljE0_EEESZ_S10_S11_S18_S1C_S1E_T6_T7_T9_mT8_S1G_bDpT10_ENKUlT_T0_E_clISt17integral_constantIbLb0EES1U_EEDaS1P_S1Q_EUlS1P_E_NS1_11comp_targetILNS1_3genE8ELNS1_11target_archE1030ELNS1_3gpuE2ELNS1_3repE0EEENS1_30default_config_static_selectorELNS0_4arch9wavefront6targetE1EEEvS12_.num_vgpr, 0
	.set _ZN7rocprim17ROCPRIM_400000_NS6detail17trampoline_kernelINS0_13select_configILj256ELj13ELNS0_17block_load_methodE3ELS4_3ELS4_3ELNS0_20block_scan_algorithmE0ELj4294967295EEENS1_25partition_config_selectorILNS1_17partition_subalgoE4EjNS0_10empty_typeEbEEZZNS1_14partition_implILS8_4ELb0ES6_15HIP_vector_typeIjLj2EENS0_17counting_iteratorIjlEEPS9_SG_NS0_5tupleIJPjSI_NS0_16reverse_iteratorISI_EEEEENSH_IJSG_SG_SG_EEES9_SI_JZNS1_25segmented_radix_sort_implINS0_14default_configELb0EPKbPbPKlPlN2at6native12_GLOBAL__N_18offset_tEEE10hipError_tPvRmT1_PNSt15iterator_traitsIS12_E10value_typeET2_T3_PNS13_IS18_E10value_typeET4_jRbjT5_S1E_jjP12ihipStream_tbEUljE_ZNSN_ISO_Lb0ESQ_SR_ST_SU_SY_EESZ_S10_S11_S12_S16_S17_S18_S1B_S1C_jS1D_jS1E_S1E_jjS1G_bEUljE0_EEESZ_S10_S11_S18_S1C_S1E_T6_T7_T9_mT8_S1G_bDpT10_ENKUlT_T0_E_clISt17integral_constantIbLb0EES1U_EEDaS1P_S1Q_EUlS1P_E_NS1_11comp_targetILNS1_3genE8ELNS1_11target_archE1030ELNS1_3gpuE2ELNS1_3repE0EEENS1_30default_config_static_selectorELNS0_4arch9wavefront6targetE1EEEvS12_.num_agpr, 0
	.set _ZN7rocprim17ROCPRIM_400000_NS6detail17trampoline_kernelINS0_13select_configILj256ELj13ELNS0_17block_load_methodE3ELS4_3ELS4_3ELNS0_20block_scan_algorithmE0ELj4294967295EEENS1_25partition_config_selectorILNS1_17partition_subalgoE4EjNS0_10empty_typeEbEEZZNS1_14partition_implILS8_4ELb0ES6_15HIP_vector_typeIjLj2EENS0_17counting_iteratorIjlEEPS9_SG_NS0_5tupleIJPjSI_NS0_16reverse_iteratorISI_EEEEENSH_IJSG_SG_SG_EEES9_SI_JZNS1_25segmented_radix_sort_implINS0_14default_configELb0EPKbPbPKlPlN2at6native12_GLOBAL__N_18offset_tEEE10hipError_tPvRmT1_PNSt15iterator_traitsIS12_E10value_typeET2_T3_PNS13_IS18_E10value_typeET4_jRbjT5_S1E_jjP12ihipStream_tbEUljE_ZNSN_ISO_Lb0ESQ_SR_ST_SU_SY_EESZ_S10_S11_S12_S16_S17_S18_S1B_S1C_jS1D_jS1E_S1E_jjS1G_bEUljE0_EEESZ_S10_S11_S18_S1C_S1E_T6_T7_T9_mT8_S1G_bDpT10_ENKUlT_T0_E_clISt17integral_constantIbLb0EES1U_EEDaS1P_S1Q_EUlS1P_E_NS1_11comp_targetILNS1_3genE8ELNS1_11target_archE1030ELNS1_3gpuE2ELNS1_3repE0EEENS1_30default_config_static_selectorELNS0_4arch9wavefront6targetE1EEEvS12_.numbered_sgpr, 0
	.set _ZN7rocprim17ROCPRIM_400000_NS6detail17trampoline_kernelINS0_13select_configILj256ELj13ELNS0_17block_load_methodE3ELS4_3ELS4_3ELNS0_20block_scan_algorithmE0ELj4294967295EEENS1_25partition_config_selectorILNS1_17partition_subalgoE4EjNS0_10empty_typeEbEEZZNS1_14partition_implILS8_4ELb0ES6_15HIP_vector_typeIjLj2EENS0_17counting_iteratorIjlEEPS9_SG_NS0_5tupleIJPjSI_NS0_16reverse_iteratorISI_EEEEENSH_IJSG_SG_SG_EEES9_SI_JZNS1_25segmented_radix_sort_implINS0_14default_configELb0EPKbPbPKlPlN2at6native12_GLOBAL__N_18offset_tEEE10hipError_tPvRmT1_PNSt15iterator_traitsIS12_E10value_typeET2_T3_PNS13_IS18_E10value_typeET4_jRbjT5_S1E_jjP12ihipStream_tbEUljE_ZNSN_ISO_Lb0ESQ_SR_ST_SU_SY_EESZ_S10_S11_S12_S16_S17_S18_S1B_S1C_jS1D_jS1E_S1E_jjS1G_bEUljE0_EEESZ_S10_S11_S18_S1C_S1E_T6_T7_T9_mT8_S1G_bDpT10_ENKUlT_T0_E_clISt17integral_constantIbLb0EES1U_EEDaS1P_S1Q_EUlS1P_E_NS1_11comp_targetILNS1_3genE8ELNS1_11target_archE1030ELNS1_3gpuE2ELNS1_3repE0EEENS1_30default_config_static_selectorELNS0_4arch9wavefront6targetE1EEEvS12_.num_named_barrier, 0
	.set _ZN7rocprim17ROCPRIM_400000_NS6detail17trampoline_kernelINS0_13select_configILj256ELj13ELNS0_17block_load_methodE3ELS4_3ELS4_3ELNS0_20block_scan_algorithmE0ELj4294967295EEENS1_25partition_config_selectorILNS1_17partition_subalgoE4EjNS0_10empty_typeEbEEZZNS1_14partition_implILS8_4ELb0ES6_15HIP_vector_typeIjLj2EENS0_17counting_iteratorIjlEEPS9_SG_NS0_5tupleIJPjSI_NS0_16reverse_iteratorISI_EEEEENSH_IJSG_SG_SG_EEES9_SI_JZNS1_25segmented_radix_sort_implINS0_14default_configELb0EPKbPbPKlPlN2at6native12_GLOBAL__N_18offset_tEEE10hipError_tPvRmT1_PNSt15iterator_traitsIS12_E10value_typeET2_T3_PNS13_IS18_E10value_typeET4_jRbjT5_S1E_jjP12ihipStream_tbEUljE_ZNSN_ISO_Lb0ESQ_SR_ST_SU_SY_EESZ_S10_S11_S12_S16_S17_S18_S1B_S1C_jS1D_jS1E_S1E_jjS1G_bEUljE0_EEESZ_S10_S11_S18_S1C_S1E_T6_T7_T9_mT8_S1G_bDpT10_ENKUlT_T0_E_clISt17integral_constantIbLb0EES1U_EEDaS1P_S1Q_EUlS1P_E_NS1_11comp_targetILNS1_3genE8ELNS1_11target_archE1030ELNS1_3gpuE2ELNS1_3repE0EEENS1_30default_config_static_selectorELNS0_4arch9wavefront6targetE1EEEvS12_.private_seg_size, 0
	.set _ZN7rocprim17ROCPRIM_400000_NS6detail17trampoline_kernelINS0_13select_configILj256ELj13ELNS0_17block_load_methodE3ELS4_3ELS4_3ELNS0_20block_scan_algorithmE0ELj4294967295EEENS1_25partition_config_selectorILNS1_17partition_subalgoE4EjNS0_10empty_typeEbEEZZNS1_14partition_implILS8_4ELb0ES6_15HIP_vector_typeIjLj2EENS0_17counting_iteratorIjlEEPS9_SG_NS0_5tupleIJPjSI_NS0_16reverse_iteratorISI_EEEEENSH_IJSG_SG_SG_EEES9_SI_JZNS1_25segmented_radix_sort_implINS0_14default_configELb0EPKbPbPKlPlN2at6native12_GLOBAL__N_18offset_tEEE10hipError_tPvRmT1_PNSt15iterator_traitsIS12_E10value_typeET2_T3_PNS13_IS18_E10value_typeET4_jRbjT5_S1E_jjP12ihipStream_tbEUljE_ZNSN_ISO_Lb0ESQ_SR_ST_SU_SY_EESZ_S10_S11_S12_S16_S17_S18_S1B_S1C_jS1D_jS1E_S1E_jjS1G_bEUljE0_EEESZ_S10_S11_S18_S1C_S1E_T6_T7_T9_mT8_S1G_bDpT10_ENKUlT_T0_E_clISt17integral_constantIbLb0EES1U_EEDaS1P_S1Q_EUlS1P_E_NS1_11comp_targetILNS1_3genE8ELNS1_11target_archE1030ELNS1_3gpuE2ELNS1_3repE0EEENS1_30default_config_static_selectorELNS0_4arch9wavefront6targetE1EEEvS12_.uses_vcc, 0
	.set _ZN7rocprim17ROCPRIM_400000_NS6detail17trampoline_kernelINS0_13select_configILj256ELj13ELNS0_17block_load_methodE3ELS4_3ELS4_3ELNS0_20block_scan_algorithmE0ELj4294967295EEENS1_25partition_config_selectorILNS1_17partition_subalgoE4EjNS0_10empty_typeEbEEZZNS1_14partition_implILS8_4ELb0ES6_15HIP_vector_typeIjLj2EENS0_17counting_iteratorIjlEEPS9_SG_NS0_5tupleIJPjSI_NS0_16reverse_iteratorISI_EEEEENSH_IJSG_SG_SG_EEES9_SI_JZNS1_25segmented_radix_sort_implINS0_14default_configELb0EPKbPbPKlPlN2at6native12_GLOBAL__N_18offset_tEEE10hipError_tPvRmT1_PNSt15iterator_traitsIS12_E10value_typeET2_T3_PNS13_IS18_E10value_typeET4_jRbjT5_S1E_jjP12ihipStream_tbEUljE_ZNSN_ISO_Lb0ESQ_SR_ST_SU_SY_EESZ_S10_S11_S12_S16_S17_S18_S1B_S1C_jS1D_jS1E_S1E_jjS1G_bEUljE0_EEESZ_S10_S11_S18_S1C_S1E_T6_T7_T9_mT8_S1G_bDpT10_ENKUlT_T0_E_clISt17integral_constantIbLb0EES1U_EEDaS1P_S1Q_EUlS1P_E_NS1_11comp_targetILNS1_3genE8ELNS1_11target_archE1030ELNS1_3gpuE2ELNS1_3repE0EEENS1_30default_config_static_selectorELNS0_4arch9wavefront6targetE1EEEvS12_.uses_flat_scratch, 0
	.set _ZN7rocprim17ROCPRIM_400000_NS6detail17trampoline_kernelINS0_13select_configILj256ELj13ELNS0_17block_load_methodE3ELS4_3ELS4_3ELNS0_20block_scan_algorithmE0ELj4294967295EEENS1_25partition_config_selectorILNS1_17partition_subalgoE4EjNS0_10empty_typeEbEEZZNS1_14partition_implILS8_4ELb0ES6_15HIP_vector_typeIjLj2EENS0_17counting_iteratorIjlEEPS9_SG_NS0_5tupleIJPjSI_NS0_16reverse_iteratorISI_EEEEENSH_IJSG_SG_SG_EEES9_SI_JZNS1_25segmented_radix_sort_implINS0_14default_configELb0EPKbPbPKlPlN2at6native12_GLOBAL__N_18offset_tEEE10hipError_tPvRmT1_PNSt15iterator_traitsIS12_E10value_typeET2_T3_PNS13_IS18_E10value_typeET4_jRbjT5_S1E_jjP12ihipStream_tbEUljE_ZNSN_ISO_Lb0ESQ_SR_ST_SU_SY_EESZ_S10_S11_S12_S16_S17_S18_S1B_S1C_jS1D_jS1E_S1E_jjS1G_bEUljE0_EEESZ_S10_S11_S18_S1C_S1E_T6_T7_T9_mT8_S1G_bDpT10_ENKUlT_T0_E_clISt17integral_constantIbLb0EES1U_EEDaS1P_S1Q_EUlS1P_E_NS1_11comp_targetILNS1_3genE8ELNS1_11target_archE1030ELNS1_3gpuE2ELNS1_3repE0EEENS1_30default_config_static_selectorELNS0_4arch9wavefront6targetE1EEEvS12_.has_dyn_sized_stack, 0
	.set _ZN7rocprim17ROCPRIM_400000_NS6detail17trampoline_kernelINS0_13select_configILj256ELj13ELNS0_17block_load_methodE3ELS4_3ELS4_3ELNS0_20block_scan_algorithmE0ELj4294967295EEENS1_25partition_config_selectorILNS1_17partition_subalgoE4EjNS0_10empty_typeEbEEZZNS1_14partition_implILS8_4ELb0ES6_15HIP_vector_typeIjLj2EENS0_17counting_iteratorIjlEEPS9_SG_NS0_5tupleIJPjSI_NS0_16reverse_iteratorISI_EEEEENSH_IJSG_SG_SG_EEES9_SI_JZNS1_25segmented_radix_sort_implINS0_14default_configELb0EPKbPbPKlPlN2at6native12_GLOBAL__N_18offset_tEEE10hipError_tPvRmT1_PNSt15iterator_traitsIS12_E10value_typeET2_T3_PNS13_IS18_E10value_typeET4_jRbjT5_S1E_jjP12ihipStream_tbEUljE_ZNSN_ISO_Lb0ESQ_SR_ST_SU_SY_EESZ_S10_S11_S12_S16_S17_S18_S1B_S1C_jS1D_jS1E_S1E_jjS1G_bEUljE0_EEESZ_S10_S11_S18_S1C_S1E_T6_T7_T9_mT8_S1G_bDpT10_ENKUlT_T0_E_clISt17integral_constantIbLb0EES1U_EEDaS1P_S1Q_EUlS1P_E_NS1_11comp_targetILNS1_3genE8ELNS1_11target_archE1030ELNS1_3gpuE2ELNS1_3repE0EEENS1_30default_config_static_selectorELNS0_4arch9wavefront6targetE1EEEvS12_.has_recursion, 0
	.set _ZN7rocprim17ROCPRIM_400000_NS6detail17trampoline_kernelINS0_13select_configILj256ELj13ELNS0_17block_load_methodE3ELS4_3ELS4_3ELNS0_20block_scan_algorithmE0ELj4294967295EEENS1_25partition_config_selectorILNS1_17partition_subalgoE4EjNS0_10empty_typeEbEEZZNS1_14partition_implILS8_4ELb0ES6_15HIP_vector_typeIjLj2EENS0_17counting_iteratorIjlEEPS9_SG_NS0_5tupleIJPjSI_NS0_16reverse_iteratorISI_EEEEENSH_IJSG_SG_SG_EEES9_SI_JZNS1_25segmented_radix_sort_implINS0_14default_configELb0EPKbPbPKlPlN2at6native12_GLOBAL__N_18offset_tEEE10hipError_tPvRmT1_PNSt15iterator_traitsIS12_E10value_typeET2_T3_PNS13_IS18_E10value_typeET4_jRbjT5_S1E_jjP12ihipStream_tbEUljE_ZNSN_ISO_Lb0ESQ_SR_ST_SU_SY_EESZ_S10_S11_S12_S16_S17_S18_S1B_S1C_jS1D_jS1E_S1E_jjS1G_bEUljE0_EEESZ_S10_S11_S18_S1C_S1E_T6_T7_T9_mT8_S1G_bDpT10_ENKUlT_T0_E_clISt17integral_constantIbLb0EES1U_EEDaS1P_S1Q_EUlS1P_E_NS1_11comp_targetILNS1_3genE8ELNS1_11target_archE1030ELNS1_3gpuE2ELNS1_3repE0EEENS1_30default_config_static_selectorELNS0_4arch9wavefront6targetE1EEEvS12_.has_indirect_call, 0
	.section	.AMDGPU.csdata,"",@progbits
; Kernel info:
; codeLenInByte = 0
; TotalNumSgprs: 4
; NumVgprs: 0
; ScratchSize: 0
; MemoryBound: 0
; FloatMode: 240
; IeeeMode: 1
; LDSByteSize: 0 bytes/workgroup (compile time only)
; SGPRBlocks: 0
; VGPRBlocks: 0
; NumSGPRsForWavesPerEU: 4
; NumVGPRsForWavesPerEU: 1
; Occupancy: 10
; WaveLimiterHint : 0
; COMPUTE_PGM_RSRC2:SCRATCH_EN: 0
; COMPUTE_PGM_RSRC2:USER_SGPR: 6
; COMPUTE_PGM_RSRC2:TRAP_HANDLER: 0
; COMPUTE_PGM_RSRC2:TGID_X_EN: 1
; COMPUTE_PGM_RSRC2:TGID_Y_EN: 0
; COMPUTE_PGM_RSRC2:TGID_Z_EN: 0
; COMPUTE_PGM_RSRC2:TIDIG_COMP_CNT: 0
	.section	.text._ZN7rocprim17ROCPRIM_400000_NS6detail17trampoline_kernelINS0_13select_configILj256ELj13ELNS0_17block_load_methodE3ELS4_3ELS4_3ELNS0_20block_scan_algorithmE0ELj4294967295EEENS1_25partition_config_selectorILNS1_17partition_subalgoE4EjNS0_10empty_typeEbEEZZNS1_14partition_implILS8_4ELb0ES6_15HIP_vector_typeIjLj2EENS0_17counting_iteratorIjlEEPS9_SG_NS0_5tupleIJPjSI_NS0_16reverse_iteratorISI_EEEEENSH_IJSG_SG_SG_EEES9_SI_JZNS1_25segmented_radix_sort_implINS0_14default_configELb0EPKbPbPKlPlN2at6native12_GLOBAL__N_18offset_tEEE10hipError_tPvRmT1_PNSt15iterator_traitsIS12_E10value_typeET2_T3_PNS13_IS18_E10value_typeET4_jRbjT5_S1E_jjP12ihipStream_tbEUljE_ZNSN_ISO_Lb0ESQ_SR_ST_SU_SY_EESZ_S10_S11_S12_S16_S17_S18_S1B_S1C_jS1D_jS1E_S1E_jjS1G_bEUljE0_EEESZ_S10_S11_S18_S1C_S1E_T6_T7_T9_mT8_S1G_bDpT10_ENKUlT_T0_E_clISt17integral_constantIbLb1EES1U_EEDaS1P_S1Q_EUlS1P_E_NS1_11comp_targetILNS1_3genE0ELNS1_11target_archE4294967295ELNS1_3gpuE0ELNS1_3repE0EEENS1_30default_config_static_selectorELNS0_4arch9wavefront6targetE1EEEvS12_,"axG",@progbits,_ZN7rocprim17ROCPRIM_400000_NS6detail17trampoline_kernelINS0_13select_configILj256ELj13ELNS0_17block_load_methodE3ELS4_3ELS4_3ELNS0_20block_scan_algorithmE0ELj4294967295EEENS1_25partition_config_selectorILNS1_17partition_subalgoE4EjNS0_10empty_typeEbEEZZNS1_14partition_implILS8_4ELb0ES6_15HIP_vector_typeIjLj2EENS0_17counting_iteratorIjlEEPS9_SG_NS0_5tupleIJPjSI_NS0_16reverse_iteratorISI_EEEEENSH_IJSG_SG_SG_EEES9_SI_JZNS1_25segmented_radix_sort_implINS0_14default_configELb0EPKbPbPKlPlN2at6native12_GLOBAL__N_18offset_tEEE10hipError_tPvRmT1_PNSt15iterator_traitsIS12_E10value_typeET2_T3_PNS13_IS18_E10value_typeET4_jRbjT5_S1E_jjP12ihipStream_tbEUljE_ZNSN_ISO_Lb0ESQ_SR_ST_SU_SY_EESZ_S10_S11_S12_S16_S17_S18_S1B_S1C_jS1D_jS1E_S1E_jjS1G_bEUljE0_EEESZ_S10_S11_S18_S1C_S1E_T6_T7_T9_mT8_S1G_bDpT10_ENKUlT_T0_E_clISt17integral_constantIbLb1EES1U_EEDaS1P_S1Q_EUlS1P_E_NS1_11comp_targetILNS1_3genE0ELNS1_11target_archE4294967295ELNS1_3gpuE0ELNS1_3repE0EEENS1_30default_config_static_selectorELNS0_4arch9wavefront6targetE1EEEvS12_,comdat
	.globl	_ZN7rocprim17ROCPRIM_400000_NS6detail17trampoline_kernelINS0_13select_configILj256ELj13ELNS0_17block_load_methodE3ELS4_3ELS4_3ELNS0_20block_scan_algorithmE0ELj4294967295EEENS1_25partition_config_selectorILNS1_17partition_subalgoE4EjNS0_10empty_typeEbEEZZNS1_14partition_implILS8_4ELb0ES6_15HIP_vector_typeIjLj2EENS0_17counting_iteratorIjlEEPS9_SG_NS0_5tupleIJPjSI_NS0_16reverse_iteratorISI_EEEEENSH_IJSG_SG_SG_EEES9_SI_JZNS1_25segmented_radix_sort_implINS0_14default_configELb0EPKbPbPKlPlN2at6native12_GLOBAL__N_18offset_tEEE10hipError_tPvRmT1_PNSt15iterator_traitsIS12_E10value_typeET2_T3_PNS13_IS18_E10value_typeET4_jRbjT5_S1E_jjP12ihipStream_tbEUljE_ZNSN_ISO_Lb0ESQ_SR_ST_SU_SY_EESZ_S10_S11_S12_S16_S17_S18_S1B_S1C_jS1D_jS1E_S1E_jjS1G_bEUljE0_EEESZ_S10_S11_S18_S1C_S1E_T6_T7_T9_mT8_S1G_bDpT10_ENKUlT_T0_E_clISt17integral_constantIbLb1EES1U_EEDaS1P_S1Q_EUlS1P_E_NS1_11comp_targetILNS1_3genE0ELNS1_11target_archE4294967295ELNS1_3gpuE0ELNS1_3repE0EEENS1_30default_config_static_selectorELNS0_4arch9wavefront6targetE1EEEvS12_ ; -- Begin function _ZN7rocprim17ROCPRIM_400000_NS6detail17trampoline_kernelINS0_13select_configILj256ELj13ELNS0_17block_load_methodE3ELS4_3ELS4_3ELNS0_20block_scan_algorithmE0ELj4294967295EEENS1_25partition_config_selectorILNS1_17partition_subalgoE4EjNS0_10empty_typeEbEEZZNS1_14partition_implILS8_4ELb0ES6_15HIP_vector_typeIjLj2EENS0_17counting_iteratorIjlEEPS9_SG_NS0_5tupleIJPjSI_NS0_16reverse_iteratorISI_EEEEENSH_IJSG_SG_SG_EEES9_SI_JZNS1_25segmented_radix_sort_implINS0_14default_configELb0EPKbPbPKlPlN2at6native12_GLOBAL__N_18offset_tEEE10hipError_tPvRmT1_PNSt15iterator_traitsIS12_E10value_typeET2_T3_PNS13_IS18_E10value_typeET4_jRbjT5_S1E_jjP12ihipStream_tbEUljE_ZNSN_ISO_Lb0ESQ_SR_ST_SU_SY_EESZ_S10_S11_S12_S16_S17_S18_S1B_S1C_jS1D_jS1E_S1E_jjS1G_bEUljE0_EEESZ_S10_S11_S18_S1C_S1E_T6_T7_T9_mT8_S1G_bDpT10_ENKUlT_T0_E_clISt17integral_constantIbLb1EES1U_EEDaS1P_S1Q_EUlS1P_E_NS1_11comp_targetILNS1_3genE0ELNS1_11target_archE4294967295ELNS1_3gpuE0ELNS1_3repE0EEENS1_30default_config_static_selectorELNS0_4arch9wavefront6targetE1EEEvS12_
	.p2align	8
	.type	_ZN7rocprim17ROCPRIM_400000_NS6detail17trampoline_kernelINS0_13select_configILj256ELj13ELNS0_17block_load_methodE3ELS4_3ELS4_3ELNS0_20block_scan_algorithmE0ELj4294967295EEENS1_25partition_config_selectorILNS1_17partition_subalgoE4EjNS0_10empty_typeEbEEZZNS1_14partition_implILS8_4ELb0ES6_15HIP_vector_typeIjLj2EENS0_17counting_iteratorIjlEEPS9_SG_NS0_5tupleIJPjSI_NS0_16reverse_iteratorISI_EEEEENSH_IJSG_SG_SG_EEES9_SI_JZNS1_25segmented_radix_sort_implINS0_14default_configELb0EPKbPbPKlPlN2at6native12_GLOBAL__N_18offset_tEEE10hipError_tPvRmT1_PNSt15iterator_traitsIS12_E10value_typeET2_T3_PNS13_IS18_E10value_typeET4_jRbjT5_S1E_jjP12ihipStream_tbEUljE_ZNSN_ISO_Lb0ESQ_SR_ST_SU_SY_EESZ_S10_S11_S12_S16_S17_S18_S1B_S1C_jS1D_jS1E_S1E_jjS1G_bEUljE0_EEESZ_S10_S11_S18_S1C_S1E_T6_T7_T9_mT8_S1G_bDpT10_ENKUlT_T0_E_clISt17integral_constantIbLb1EES1U_EEDaS1P_S1Q_EUlS1P_E_NS1_11comp_targetILNS1_3genE0ELNS1_11target_archE4294967295ELNS1_3gpuE0ELNS1_3repE0EEENS1_30default_config_static_selectorELNS0_4arch9wavefront6targetE1EEEvS12_,@function
_ZN7rocprim17ROCPRIM_400000_NS6detail17trampoline_kernelINS0_13select_configILj256ELj13ELNS0_17block_load_methodE3ELS4_3ELS4_3ELNS0_20block_scan_algorithmE0ELj4294967295EEENS1_25partition_config_selectorILNS1_17partition_subalgoE4EjNS0_10empty_typeEbEEZZNS1_14partition_implILS8_4ELb0ES6_15HIP_vector_typeIjLj2EENS0_17counting_iteratorIjlEEPS9_SG_NS0_5tupleIJPjSI_NS0_16reverse_iteratorISI_EEEEENSH_IJSG_SG_SG_EEES9_SI_JZNS1_25segmented_radix_sort_implINS0_14default_configELb0EPKbPbPKlPlN2at6native12_GLOBAL__N_18offset_tEEE10hipError_tPvRmT1_PNSt15iterator_traitsIS12_E10value_typeET2_T3_PNS13_IS18_E10value_typeET4_jRbjT5_S1E_jjP12ihipStream_tbEUljE_ZNSN_ISO_Lb0ESQ_SR_ST_SU_SY_EESZ_S10_S11_S12_S16_S17_S18_S1B_S1C_jS1D_jS1E_S1E_jjS1G_bEUljE0_EEESZ_S10_S11_S18_S1C_S1E_T6_T7_T9_mT8_S1G_bDpT10_ENKUlT_T0_E_clISt17integral_constantIbLb1EES1U_EEDaS1P_S1Q_EUlS1P_E_NS1_11comp_targetILNS1_3genE0ELNS1_11target_archE4294967295ELNS1_3gpuE0ELNS1_3repE0EEENS1_30default_config_static_selectorELNS0_4arch9wavefront6targetE1EEEvS12_: ; @_ZN7rocprim17ROCPRIM_400000_NS6detail17trampoline_kernelINS0_13select_configILj256ELj13ELNS0_17block_load_methodE3ELS4_3ELS4_3ELNS0_20block_scan_algorithmE0ELj4294967295EEENS1_25partition_config_selectorILNS1_17partition_subalgoE4EjNS0_10empty_typeEbEEZZNS1_14partition_implILS8_4ELb0ES6_15HIP_vector_typeIjLj2EENS0_17counting_iteratorIjlEEPS9_SG_NS0_5tupleIJPjSI_NS0_16reverse_iteratorISI_EEEEENSH_IJSG_SG_SG_EEES9_SI_JZNS1_25segmented_radix_sort_implINS0_14default_configELb0EPKbPbPKlPlN2at6native12_GLOBAL__N_18offset_tEEE10hipError_tPvRmT1_PNSt15iterator_traitsIS12_E10value_typeET2_T3_PNS13_IS18_E10value_typeET4_jRbjT5_S1E_jjP12ihipStream_tbEUljE_ZNSN_ISO_Lb0ESQ_SR_ST_SU_SY_EESZ_S10_S11_S12_S16_S17_S18_S1B_S1C_jS1D_jS1E_S1E_jjS1G_bEUljE0_EEESZ_S10_S11_S18_S1C_S1E_T6_T7_T9_mT8_S1G_bDpT10_ENKUlT_T0_E_clISt17integral_constantIbLb1EES1U_EEDaS1P_S1Q_EUlS1P_E_NS1_11comp_targetILNS1_3genE0ELNS1_11target_archE4294967295ELNS1_3gpuE0ELNS1_3repE0EEENS1_30default_config_static_selectorELNS0_4arch9wavefront6targetE1EEEvS12_
; %bb.0:
	.section	.rodata,"a",@progbits
	.p2align	6, 0x0
	.amdhsa_kernel _ZN7rocprim17ROCPRIM_400000_NS6detail17trampoline_kernelINS0_13select_configILj256ELj13ELNS0_17block_load_methodE3ELS4_3ELS4_3ELNS0_20block_scan_algorithmE0ELj4294967295EEENS1_25partition_config_selectorILNS1_17partition_subalgoE4EjNS0_10empty_typeEbEEZZNS1_14partition_implILS8_4ELb0ES6_15HIP_vector_typeIjLj2EENS0_17counting_iteratorIjlEEPS9_SG_NS0_5tupleIJPjSI_NS0_16reverse_iteratorISI_EEEEENSH_IJSG_SG_SG_EEES9_SI_JZNS1_25segmented_radix_sort_implINS0_14default_configELb0EPKbPbPKlPlN2at6native12_GLOBAL__N_18offset_tEEE10hipError_tPvRmT1_PNSt15iterator_traitsIS12_E10value_typeET2_T3_PNS13_IS18_E10value_typeET4_jRbjT5_S1E_jjP12ihipStream_tbEUljE_ZNSN_ISO_Lb0ESQ_SR_ST_SU_SY_EESZ_S10_S11_S12_S16_S17_S18_S1B_S1C_jS1D_jS1E_S1E_jjS1G_bEUljE0_EEESZ_S10_S11_S18_S1C_S1E_T6_T7_T9_mT8_S1G_bDpT10_ENKUlT_T0_E_clISt17integral_constantIbLb1EES1U_EEDaS1P_S1Q_EUlS1P_E_NS1_11comp_targetILNS1_3genE0ELNS1_11target_archE4294967295ELNS1_3gpuE0ELNS1_3repE0EEENS1_30default_config_static_selectorELNS0_4arch9wavefront6targetE1EEEvS12_
		.amdhsa_group_segment_fixed_size 0
		.amdhsa_private_segment_fixed_size 0
		.amdhsa_kernarg_size 184
		.amdhsa_user_sgpr_count 6
		.amdhsa_user_sgpr_private_segment_buffer 1
		.amdhsa_user_sgpr_dispatch_ptr 0
		.amdhsa_user_sgpr_queue_ptr 0
		.amdhsa_user_sgpr_kernarg_segment_ptr 1
		.amdhsa_user_sgpr_dispatch_id 0
		.amdhsa_user_sgpr_flat_scratch_init 0
		.amdhsa_user_sgpr_private_segment_size 0
		.amdhsa_uses_dynamic_stack 0
		.amdhsa_system_sgpr_private_segment_wavefront_offset 0
		.amdhsa_system_sgpr_workgroup_id_x 1
		.amdhsa_system_sgpr_workgroup_id_y 0
		.amdhsa_system_sgpr_workgroup_id_z 0
		.amdhsa_system_sgpr_workgroup_info 0
		.amdhsa_system_vgpr_workitem_id 0
		.amdhsa_next_free_vgpr 1
		.amdhsa_next_free_sgpr 0
		.amdhsa_reserve_vcc 0
		.amdhsa_reserve_flat_scratch 0
		.amdhsa_float_round_mode_32 0
		.amdhsa_float_round_mode_16_64 0
		.amdhsa_float_denorm_mode_32 3
		.amdhsa_float_denorm_mode_16_64 3
		.amdhsa_dx10_clamp 1
		.amdhsa_ieee_mode 1
		.amdhsa_fp16_overflow 0
		.amdhsa_exception_fp_ieee_invalid_op 0
		.amdhsa_exception_fp_denorm_src 0
		.amdhsa_exception_fp_ieee_div_zero 0
		.amdhsa_exception_fp_ieee_overflow 0
		.amdhsa_exception_fp_ieee_underflow 0
		.amdhsa_exception_fp_ieee_inexact 0
		.amdhsa_exception_int_div_zero 0
	.end_amdhsa_kernel
	.section	.text._ZN7rocprim17ROCPRIM_400000_NS6detail17trampoline_kernelINS0_13select_configILj256ELj13ELNS0_17block_load_methodE3ELS4_3ELS4_3ELNS0_20block_scan_algorithmE0ELj4294967295EEENS1_25partition_config_selectorILNS1_17partition_subalgoE4EjNS0_10empty_typeEbEEZZNS1_14partition_implILS8_4ELb0ES6_15HIP_vector_typeIjLj2EENS0_17counting_iteratorIjlEEPS9_SG_NS0_5tupleIJPjSI_NS0_16reverse_iteratorISI_EEEEENSH_IJSG_SG_SG_EEES9_SI_JZNS1_25segmented_radix_sort_implINS0_14default_configELb0EPKbPbPKlPlN2at6native12_GLOBAL__N_18offset_tEEE10hipError_tPvRmT1_PNSt15iterator_traitsIS12_E10value_typeET2_T3_PNS13_IS18_E10value_typeET4_jRbjT5_S1E_jjP12ihipStream_tbEUljE_ZNSN_ISO_Lb0ESQ_SR_ST_SU_SY_EESZ_S10_S11_S12_S16_S17_S18_S1B_S1C_jS1D_jS1E_S1E_jjS1G_bEUljE0_EEESZ_S10_S11_S18_S1C_S1E_T6_T7_T9_mT8_S1G_bDpT10_ENKUlT_T0_E_clISt17integral_constantIbLb1EES1U_EEDaS1P_S1Q_EUlS1P_E_NS1_11comp_targetILNS1_3genE0ELNS1_11target_archE4294967295ELNS1_3gpuE0ELNS1_3repE0EEENS1_30default_config_static_selectorELNS0_4arch9wavefront6targetE1EEEvS12_,"axG",@progbits,_ZN7rocprim17ROCPRIM_400000_NS6detail17trampoline_kernelINS0_13select_configILj256ELj13ELNS0_17block_load_methodE3ELS4_3ELS4_3ELNS0_20block_scan_algorithmE0ELj4294967295EEENS1_25partition_config_selectorILNS1_17partition_subalgoE4EjNS0_10empty_typeEbEEZZNS1_14partition_implILS8_4ELb0ES6_15HIP_vector_typeIjLj2EENS0_17counting_iteratorIjlEEPS9_SG_NS0_5tupleIJPjSI_NS0_16reverse_iteratorISI_EEEEENSH_IJSG_SG_SG_EEES9_SI_JZNS1_25segmented_radix_sort_implINS0_14default_configELb0EPKbPbPKlPlN2at6native12_GLOBAL__N_18offset_tEEE10hipError_tPvRmT1_PNSt15iterator_traitsIS12_E10value_typeET2_T3_PNS13_IS18_E10value_typeET4_jRbjT5_S1E_jjP12ihipStream_tbEUljE_ZNSN_ISO_Lb0ESQ_SR_ST_SU_SY_EESZ_S10_S11_S12_S16_S17_S18_S1B_S1C_jS1D_jS1E_S1E_jjS1G_bEUljE0_EEESZ_S10_S11_S18_S1C_S1E_T6_T7_T9_mT8_S1G_bDpT10_ENKUlT_T0_E_clISt17integral_constantIbLb1EES1U_EEDaS1P_S1Q_EUlS1P_E_NS1_11comp_targetILNS1_3genE0ELNS1_11target_archE4294967295ELNS1_3gpuE0ELNS1_3repE0EEENS1_30default_config_static_selectorELNS0_4arch9wavefront6targetE1EEEvS12_,comdat
.Lfunc_end1579:
	.size	_ZN7rocprim17ROCPRIM_400000_NS6detail17trampoline_kernelINS0_13select_configILj256ELj13ELNS0_17block_load_methodE3ELS4_3ELS4_3ELNS0_20block_scan_algorithmE0ELj4294967295EEENS1_25partition_config_selectorILNS1_17partition_subalgoE4EjNS0_10empty_typeEbEEZZNS1_14partition_implILS8_4ELb0ES6_15HIP_vector_typeIjLj2EENS0_17counting_iteratorIjlEEPS9_SG_NS0_5tupleIJPjSI_NS0_16reverse_iteratorISI_EEEEENSH_IJSG_SG_SG_EEES9_SI_JZNS1_25segmented_radix_sort_implINS0_14default_configELb0EPKbPbPKlPlN2at6native12_GLOBAL__N_18offset_tEEE10hipError_tPvRmT1_PNSt15iterator_traitsIS12_E10value_typeET2_T3_PNS13_IS18_E10value_typeET4_jRbjT5_S1E_jjP12ihipStream_tbEUljE_ZNSN_ISO_Lb0ESQ_SR_ST_SU_SY_EESZ_S10_S11_S12_S16_S17_S18_S1B_S1C_jS1D_jS1E_S1E_jjS1G_bEUljE0_EEESZ_S10_S11_S18_S1C_S1E_T6_T7_T9_mT8_S1G_bDpT10_ENKUlT_T0_E_clISt17integral_constantIbLb1EES1U_EEDaS1P_S1Q_EUlS1P_E_NS1_11comp_targetILNS1_3genE0ELNS1_11target_archE4294967295ELNS1_3gpuE0ELNS1_3repE0EEENS1_30default_config_static_selectorELNS0_4arch9wavefront6targetE1EEEvS12_, .Lfunc_end1579-_ZN7rocprim17ROCPRIM_400000_NS6detail17trampoline_kernelINS0_13select_configILj256ELj13ELNS0_17block_load_methodE3ELS4_3ELS4_3ELNS0_20block_scan_algorithmE0ELj4294967295EEENS1_25partition_config_selectorILNS1_17partition_subalgoE4EjNS0_10empty_typeEbEEZZNS1_14partition_implILS8_4ELb0ES6_15HIP_vector_typeIjLj2EENS0_17counting_iteratorIjlEEPS9_SG_NS0_5tupleIJPjSI_NS0_16reverse_iteratorISI_EEEEENSH_IJSG_SG_SG_EEES9_SI_JZNS1_25segmented_radix_sort_implINS0_14default_configELb0EPKbPbPKlPlN2at6native12_GLOBAL__N_18offset_tEEE10hipError_tPvRmT1_PNSt15iterator_traitsIS12_E10value_typeET2_T3_PNS13_IS18_E10value_typeET4_jRbjT5_S1E_jjP12ihipStream_tbEUljE_ZNSN_ISO_Lb0ESQ_SR_ST_SU_SY_EESZ_S10_S11_S12_S16_S17_S18_S1B_S1C_jS1D_jS1E_S1E_jjS1G_bEUljE0_EEESZ_S10_S11_S18_S1C_S1E_T6_T7_T9_mT8_S1G_bDpT10_ENKUlT_T0_E_clISt17integral_constantIbLb1EES1U_EEDaS1P_S1Q_EUlS1P_E_NS1_11comp_targetILNS1_3genE0ELNS1_11target_archE4294967295ELNS1_3gpuE0ELNS1_3repE0EEENS1_30default_config_static_selectorELNS0_4arch9wavefront6targetE1EEEvS12_
                                        ; -- End function
	.set _ZN7rocprim17ROCPRIM_400000_NS6detail17trampoline_kernelINS0_13select_configILj256ELj13ELNS0_17block_load_methodE3ELS4_3ELS4_3ELNS0_20block_scan_algorithmE0ELj4294967295EEENS1_25partition_config_selectorILNS1_17partition_subalgoE4EjNS0_10empty_typeEbEEZZNS1_14partition_implILS8_4ELb0ES6_15HIP_vector_typeIjLj2EENS0_17counting_iteratorIjlEEPS9_SG_NS0_5tupleIJPjSI_NS0_16reverse_iteratorISI_EEEEENSH_IJSG_SG_SG_EEES9_SI_JZNS1_25segmented_radix_sort_implINS0_14default_configELb0EPKbPbPKlPlN2at6native12_GLOBAL__N_18offset_tEEE10hipError_tPvRmT1_PNSt15iterator_traitsIS12_E10value_typeET2_T3_PNS13_IS18_E10value_typeET4_jRbjT5_S1E_jjP12ihipStream_tbEUljE_ZNSN_ISO_Lb0ESQ_SR_ST_SU_SY_EESZ_S10_S11_S12_S16_S17_S18_S1B_S1C_jS1D_jS1E_S1E_jjS1G_bEUljE0_EEESZ_S10_S11_S18_S1C_S1E_T6_T7_T9_mT8_S1G_bDpT10_ENKUlT_T0_E_clISt17integral_constantIbLb1EES1U_EEDaS1P_S1Q_EUlS1P_E_NS1_11comp_targetILNS1_3genE0ELNS1_11target_archE4294967295ELNS1_3gpuE0ELNS1_3repE0EEENS1_30default_config_static_selectorELNS0_4arch9wavefront6targetE1EEEvS12_.num_vgpr, 0
	.set _ZN7rocprim17ROCPRIM_400000_NS6detail17trampoline_kernelINS0_13select_configILj256ELj13ELNS0_17block_load_methodE3ELS4_3ELS4_3ELNS0_20block_scan_algorithmE0ELj4294967295EEENS1_25partition_config_selectorILNS1_17partition_subalgoE4EjNS0_10empty_typeEbEEZZNS1_14partition_implILS8_4ELb0ES6_15HIP_vector_typeIjLj2EENS0_17counting_iteratorIjlEEPS9_SG_NS0_5tupleIJPjSI_NS0_16reverse_iteratorISI_EEEEENSH_IJSG_SG_SG_EEES9_SI_JZNS1_25segmented_radix_sort_implINS0_14default_configELb0EPKbPbPKlPlN2at6native12_GLOBAL__N_18offset_tEEE10hipError_tPvRmT1_PNSt15iterator_traitsIS12_E10value_typeET2_T3_PNS13_IS18_E10value_typeET4_jRbjT5_S1E_jjP12ihipStream_tbEUljE_ZNSN_ISO_Lb0ESQ_SR_ST_SU_SY_EESZ_S10_S11_S12_S16_S17_S18_S1B_S1C_jS1D_jS1E_S1E_jjS1G_bEUljE0_EEESZ_S10_S11_S18_S1C_S1E_T6_T7_T9_mT8_S1G_bDpT10_ENKUlT_T0_E_clISt17integral_constantIbLb1EES1U_EEDaS1P_S1Q_EUlS1P_E_NS1_11comp_targetILNS1_3genE0ELNS1_11target_archE4294967295ELNS1_3gpuE0ELNS1_3repE0EEENS1_30default_config_static_selectorELNS0_4arch9wavefront6targetE1EEEvS12_.num_agpr, 0
	.set _ZN7rocprim17ROCPRIM_400000_NS6detail17trampoline_kernelINS0_13select_configILj256ELj13ELNS0_17block_load_methodE3ELS4_3ELS4_3ELNS0_20block_scan_algorithmE0ELj4294967295EEENS1_25partition_config_selectorILNS1_17partition_subalgoE4EjNS0_10empty_typeEbEEZZNS1_14partition_implILS8_4ELb0ES6_15HIP_vector_typeIjLj2EENS0_17counting_iteratorIjlEEPS9_SG_NS0_5tupleIJPjSI_NS0_16reverse_iteratorISI_EEEEENSH_IJSG_SG_SG_EEES9_SI_JZNS1_25segmented_radix_sort_implINS0_14default_configELb0EPKbPbPKlPlN2at6native12_GLOBAL__N_18offset_tEEE10hipError_tPvRmT1_PNSt15iterator_traitsIS12_E10value_typeET2_T3_PNS13_IS18_E10value_typeET4_jRbjT5_S1E_jjP12ihipStream_tbEUljE_ZNSN_ISO_Lb0ESQ_SR_ST_SU_SY_EESZ_S10_S11_S12_S16_S17_S18_S1B_S1C_jS1D_jS1E_S1E_jjS1G_bEUljE0_EEESZ_S10_S11_S18_S1C_S1E_T6_T7_T9_mT8_S1G_bDpT10_ENKUlT_T0_E_clISt17integral_constantIbLb1EES1U_EEDaS1P_S1Q_EUlS1P_E_NS1_11comp_targetILNS1_3genE0ELNS1_11target_archE4294967295ELNS1_3gpuE0ELNS1_3repE0EEENS1_30default_config_static_selectorELNS0_4arch9wavefront6targetE1EEEvS12_.numbered_sgpr, 0
	.set _ZN7rocprim17ROCPRIM_400000_NS6detail17trampoline_kernelINS0_13select_configILj256ELj13ELNS0_17block_load_methodE3ELS4_3ELS4_3ELNS0_20block_scan_algorithmE0ELj4294967295EEENS1_25partition_config_selectorILNS1_17partition_subalgoE4EjNS0_10empty_typeEbEEZZNS1_14partition_implILS8_4ELb0ES6_15HIP_vector_typeIjLj2EENS0_17counting_iteratorIjlEEPS9_SG_NS0_5tupleIJPjSI_NS0_16reverse_iteratorISI_EEEEENSH_IJSG_SG_SG_EEES9_SI_JZNS1_25segmented_radix_sort_implINS0_14default_configELb0EPKbPbPKlPlN2at6native12_GLOBAL__N_18offset_tEEE10hipError_tPvRmT1_PNSt15iterator_traitsIS12_E10value_typeET2_T3_PNS13_IS18_E10value_typeET4_jRbjT5_S1E_jjP12ihipStream_tbEUljE_ZNSN_ISO_Lb0ESQ_SR_ST_SU_SY_EESZ_S10_S11_S12_S16_S17_S18_S1B_S1C_jS1D_jS1E_S1E_jjS1G_bEUljE0_EEESZ_S10_S11_S18_S1C_S1E_T6_T7_T9_mT8_S1G_bDpT10_ENKUlT_T0_E_clISt17integral_constantIbLb1EES1U_EEDaS1P_S1Q_EUlS1P_E_NS1_11comp_targetILNS1_3genE0ELNS1_11target_archE4294967295ELNS1_3gpuE0ELNS1_3repE0EEENS1_30default_config_static_selectorELNS0_4arch9wavefront6targetE1EEEvS12_.num_named_barrier, 0
	.set _ZN7rocprim17ROCPRIM_400000_NS6detail17trampoline_kernelINS0_13select_configILj256ELj13ELNS0_17block_load_methodE3ELS4_3ELS4_3ELNS0_20block_scan_algorithmE0ELj4294967295EEENS1_25partition_config_selectorILNS1_17partition_subalgoE4EjNS0_10empty_typeEbEEZZNS1_14partition_implILS8_4ELb0ES6_15HIP_vector_typeIjLj2EENS0_17counting_iteratorIjlEEPS9_SG_NS0_5tupleIJPjSI_NS0_16reverse_iteratorISI_EEEEENSH_IJSG_SG_SG_EEES9_SI_JZNS1_25segmented_radix_sort_implINS0_14default_configELb0EPKbPbPKlPlN2at6native12_GLOBAL__N_18offset_tEEE10hipError_tPvRmT1_PNSt15iterator_traitsIS12_E10value_typeET2_T3_PNS13_IS18_E10value_typeET4_jRbjT5_S1E_jjP12ihipStream_tbEUljE_ZNSN_ISO_Lb0ESQ_SR_ST_SU_SY_EESZ_S10_S11_S12_S16_S17_S18_S1B_S1C_jS1D_jS1E_S1E_jjS1G_bEUljE0_EEESZ_S10_S11_S18_S1C_S1E_T6_T7_T9_mT8_S1G_bDpT10_ENKUlT_T0_E_clISt17integral_constantIbLb1EES1U_EEDaS1P_S1Q_EUlS1P_E_NS1_11comp_targetILNS1_3genE0ELNS1_11target_archE4294967295ELNS1_3gpuE0ELNS1_3repE0EEENS1_30default_config_static_selectorELNS0_4arch9wavefront6targetE1EEEvS12_.private_seg_size, 0
	.set _ZN7rocprim17ROCPRIM_400000_NS6detail17trampoline_kernelINS0_13select_configILj256ELj13ELNS0_17block_load_methodE3ELS4_3ELS4_3ELNS0_20block_scan_algorithmE0ELj4294967295EEENS1_25partition_config_selectorILNS1_17partition_subalgoE4EjNS0_10empty_typeEbEEZZNS1_14partition_implILS8_4ELb0ES6_15HIP_vector_typeIjLj2EENS0_17counting_iteratorIjlEEPS9_SG_NS0_5tupleIJPjSI_NS0_16reverse_iteratorISI_EEEEENSH_IJSG_SG_SG_EEES9_SI_JZNS1_25segmented_radix_sort_implINS0_14default_configELb0EPKbPbPKlPlN2at6native12_GLOBAL__N_18offset_tEEE10hipError_tPvRmT1_PNSt15iterator_traitsIS12_E10value_typeET2_T3_PNS13_IS18_E10value_typeET4_jRbjT5_S1E_jjP12ihipStream_tbEUljE_ZNSN_ISO_Lb0ESQ_SR_ST_SU_SY_EESZ_S10_S11_S12_S16_S17_S18_S1B_S1C_jS1D_jS1E_S1E_jjS1G_bEUljE0_EEESZ_S10_S11_S18_S1C_S1E_T6_T7_T9_mT8_S1G_bDpT10_ENKUlT_T0_E_clISt17integral_constantIbLb1EES1U_EEDaS1P_S1Q_EUlS1P_E_NS1_11comp_targetILNS1_3genE0ELNS1_11target_archE4294967295ELNS1_3gpuE0ELNS1_3repE0EEENS1_30default_config_static_selectorELNS0_4arch9wavefront6targetE1EEEvS12_.uses_vcc, 0
	.set _ZN7rocprim17ROCPRIM_400000_NS6detail17trampoline_kernelINS0_13select_configILj256ELj13ELNS0_17block_load_methodE3ELS4_3ELS4_3ELNS0_20block_scan_algorithmE0ELj4294967295EEENS1_25partition_config_selectorILNS1_17partition_subalgoE4EjNS0_10empty_typeEbEEZZNS1_14partition_implILS8_4ELb0ES6_15HIP_vector_typeIjLj2EENS0_17counting_iteratorIjlEEPS9_SG_NS0_5tupleIJPjSI_NS0_16reverse_iteratorISI_EEEEENSH_IJSG_SG_SG_EEES9_SI_JZNS1_25segmented_radix_sort_implINS0_14default_configELb0EPKbPbPKlPlN2at6native12_GLOBAL__N_18offset_tEEE10hipError_tPvRmT1_PNSt15iterator_traitsIS12_E10value_typeET2_T3_PNS13_IS18_E10value_typeET4_jRbjT5_S1E_jjP12ihipStream_tbEUljE_ZNSN_ISO_Lb0ESQ_SR_ST_SU_SY_EESZ_S10_S11_S12_S16_S17_S18_S1B_S1C_jS1D_jS1E_S1E_jjS1G_bEUljE0_EEESZ_S10_S11_S18_S1C_S1E_T6_T7_T9_mT8_S1G_bDpT10_ENKUlT_T0_E_clISt17integral_constantIbLb1EES1U_EEDaS1P_S1Q_EUlS1P_E_NS1_11comp_targetILNS1_3genE0ELNS1_11target_archE4294967295ELNS1_3gpuE0ELNS1_3repE0EEENS1_30default_config_static_selectorELNS0_4arch9wavefront6targetE1EEEvS12_.uses_flat_scratch, 0
	.set _ZN7rocprim17ROCPRIM_400000_NS6detail17trampoline_kernelINS0_13select_configILj256ELj13ELNS0_17block_load_methodE3ELS4_3ELS4_3ELNS0_20block_scan_algorithmE0ELj4294967295EEENS1_25partition_config_selectorILNS1_17partition_subalgoE4EjNS0_10empty_typeEbEEZZNS1_14partition_implILS8_4ELb0ES6_15HIP_vector_typeIjLj2EENS0_17counting_iteratorIjlEEPS9_SG_NS0_5tupleIJPjSI_NS0_16reverse_iteratorISI_EEEEENSH_IJSG_SG_SG_EEES9_SI_JZNS1_25segmented_radix_sort_implINS0_14default_configELb0EPKbPbPKlPlN2at6native12_GLOBAL__N_18offset_tEEE10hipError_tPvRmT1_PNSt15iterator_traitsIS12_E10value_typeET2_T3_PNS13_IS18_E10value_typeET4_jRbjT5_S1E_jjP12ihipStream_tbEUljE_ZNSN_ISO_Lb0ESQ_SR_ST_SU_SY_EESZ_S10_S11_S12_S16_S17_S18_S1B_S1C_jS1D_jS1E_S1E_jjS1G_bEUljE0_EEESZ_S10_S11_S18_S1C_S1E_T6_T7_T9_mT8_S1G_bDpT10_ENKUlT_T0_E_clISt17integral_constantIbLb1EES1U_EEDaS1P_S1Q_EUlS1P_E_NS1_11comp_targetILNS1_3genE0ELNS1_11target_archE4294967295ELNS1_3gpuE0ELNS1_3repE0EEENS1_30default_config_static_selectorELNS0_4arch9wavefront6targetE1EEEvS12_.has_dyn_sized_stack, 0
	.set _ZN7rocprim17ROCPRIM_400000_NS6detail17trampoline_kernelINS0_13select_configILj256ELj13ELNS0_17block_load_methodE3ELS4_3ELS4_3ELNS0_20block_scan_algorithmE0ELj4294967295EEENS1_25partition_config_selectorILNS1_17partition_subalgoE4EjNS0_10empty_typeEbEEZZNS1_14partition_implILS8_4ELb0ES6_15HIP_vector_typeIjLj2EENS0_17counting_iteratorIjlEEPS9_SG_NS0_5tupleIJPjSI_NS0_16reverse_iteratorISI_EEEEENSH_IJSG_SG_SG_EEES9_SI_JZNS1_25segmented_radix_sort_implINS0_14default_configELb0EPKbPbPKlPlN2at6native12_GLOBAL__N_18offset_tEEE10hipError_tPvRmT1_PNSt15iterator_traitsIS12_E10value_typeET2_T3_PNS13_IS18_E10value_typeET4_jRbjT5_S1E_jjP12ihipStream_tbEUljE_ZNSN_ISO_Lb0ESQ_SR_ST_SU_SY_EESZ_S10_S11_S12_S16_S17_S18_S1B_S1C_jS1D_jS1E_S1E_jjS1G_bEUljE0_EEESZ_S10_S11_S18_S1C_S1E_T6_T7_T9_mT8_S1G_bDpT10_ENKUlT_T0_E_clISt17integral_constantIbLb1EES1U_EEDaS1P_S1Q_EUlS1P_E_NS1_11comp_targetILNS1_3genE0ELNS1_11target_archE4294967295ELNS1_3gpuE0ELNS1_3repE0EEENS1_30default_config_static_selectorELNS0_4arch9wavefront6targetE1EEEvS12_.has_recursion, 0
	.set _ZN7rocprim17ROCPRIM_400000_NS6detail17trampoline_kernelINS0_13select_configILj256ELj13ELNS0_17block_load_methodE3ELS4_3ELS4_3ELNS0_20block_scan_algorithmE0ELj4294967295EEENS1_25partition_config_selectorILNS1_17partition_subalgoE4EjNS0_10empty_typeEbEEZZNS1_14partition_implILS8_4ELb0ES6_15HIP_vector_typeIjLj2EENS0_17counting_iteratorIjlEEPS9_SG_NS0_5tupleIJPjSI_NS0_16reverse_iteratorISI_EEEEENSH_IJSG_SG_SG_EEES9_SI_JZNS1_25segmented_radix_sort_implINS0_14default_configELb0EPKbPbPKlPlN2at6native12_GLOBAL__N_18offset_tEEE10hipError_tPvRmT1_PNSt15iterator_traitsIS12_E10value_typeET2_T3_PNS13_IS18_E10value_typeET4_jRbjT5_S1E_jjP12ihipStream_tbEUljE_ZNSN_ISO_Lb0ESQ_SR_ST_SU_SY_EESZ_S10_S11_S12_S16_S17_S18_S1B_S1C_jS1D_jS1E_S1E_jjS1G_bEUljE0_EEESZ_S10_S11_S18_S1C_S1E_T6_T7_T9_mT8_S1G_bDpT10_ENKUlT_T0_E_clISt17integral_constantIbLb1EES1U_EEDaS1P_S1Q_EUlS1P_E_NS1_11comp_targetILNS1_3genE0ELNS1_11target_archE4294967295ELNS1_3gpuE0ELNS1_3repE0EEENS1_30default_config_static_selectorELNS0_4arch9wavefront6targetE1EEEvS12_.has_indirect_call, 0
	.section	.AMDGPU.csdata,"",@progbits
; Kernel info:
; codeLenInByte = 0
; TotalNumSgprs: 4
; NumVgprs: 0
; ScratchSize: 0
; MemoryBound: 0
; FloatMode: 240
; IeeeMode: 1
; LDSByteSize: 0 bytes/workgroup (compile time only)
; SGPRBlocks: 0
; VGPRBlocks: 0
; NumSGPRsForWavesPerEU: 4
; NumVGPRsForWavesPerEU: 1
; Occupancy: 10
; WaveLimiterHint : 0
; COMPUTE_PGM_RSRC2:SCRATCH_EN: 0
; COMPUTE_PGM_RSRC2:USER_SGPR: 6
; COMPUTE_PGM_RSRC2:TRAP_HANDLER: 0
; COMPUTE_PGM_RSRC2:TGID_X_EN: 1
; COMPUTE_PGM_RSRC2:TGID_Y_EN: 0
; COMPUTE_PGM_RSRC2:TGID_Z_EN: 0
; COMPUTE_PGM_RSRC2:TIDIG_COMP_CNT: 0
	.section	.text._ZN7rocprim17ROCPRIM_400000_NS6detail17trampoline_kernelINS0_13select_configILj256ELj13ELNS0_17block_load_methodE3ELS4_3ELS4_3ELNS0_20block_scan_algorithmE0ELj4294967295EEENS1_25partition_config_selectorILNS1_17partition_subalgoE4EjNS0_10empty_typeEbEEZZNS1_14partition_implILS8_4ELb0ES6_15HIP_vector_typeIjLj2EENS0_17counting_iteratorIjlEEPS9_SG_NS0_5tupleIJPjSI_NS0_16reverse_iteratorISI_EEEEENSH_IJSG_SG_SG_EEES9_SI_JZNS1_25segmented_radix_sort_implINS0_14default_configELb0EPKbPbPKlPlN2at6native12_GLOBAL__N_18offset_tEEE10hipError_tPvRmT1_PNSt15iterator_traitsIS12_E10value_typeET2_T3_PNS13_IS18_E10value_typeET4_jRbjT5_S1E_jjP12ihipStream_tbEUljE_ZNSN_ISO_Lb0ESQ_SR_ST_SU_SY_EESZ_S10_S11_S12_S16_S17_S18_S1B_S1C_jS1D_jS1E_S1E_jjS1G_bEUljE0_EEESZ_S10_S11_S18_S1C_S1E_T6_T7_T9_mT8_S1G_bDpT10_ENKUlT_T0_E_clISt17integral_constantIbLb1EES1U_EEDaS1P_S1Q_EUlS1P_E_NS1_11comp_targetILNS1_3genE5ELNS1_11target_archE942ELNS1_3gpuE9ELNS1_3repE0EEENS1_30default_config_static_selectorELNS0_4arch9wavefront6targetE1EEEvS12_,"axG",@progbits,_ZN7rocprim17ROCPRIM_400000_NS6detail17trampoline_kernelINS0_13select_configILj256ELj13ELNS0_17block_load_methodE3ELS4_3ELS4_3ELNS0_20block_scan_algorithmE0ELj4294967295EEENS1_25partition_config_selectorILNS1_17partition_subalgoE4EjNS0_10empty_typeEbEEZZNS1_14partition_implILS8_4ELb0ES6_15HIP_vector_typeIjLj2EENS0_17counting_iteratorIjlEEPS9_SG_NS0_5tupleIJPjSI_NS0_16reverse_iteratorISI_EEEEENSH_IJSG_SG_SG_EEES9_SI_JZNS1_25segmented_radix_sort_implINS0_14default_configELb0EPKbPbPKlPlN2at6native12_GLOBAL__N_18offset_tEEE10hipError_tPvRmT1_PNSt15iterator_traitsIS12_E10value_typeET2_T3_PNS13_IS18_E10value_typeET4_jRbjT5_S1E_jjP12ihipStream_tbEUljE_ZNSN_ISO_Lb0ESQ_SR_ST_SU_SY_EESZ_S10_S11_S12_S16_S17_S18_S1B_S1C_jS1D_jS1E_S1E_jjS1G_bEUljE0_EEESZ_S10_S11_S18_S1C_S1E_T6_T7_T9_mT8_S1G_bDpT10_ENKUlT_T0_E_clISt17integral_constantIbLb1EES1U_EEDaS1P_S1Q_EUlS1P_E_NS1_11comp_targetILNS1_3genE5ELNS1_11target_archE942ELNS1_3gpuE9ELNS1_3repE0EEENS1_30default_config_static_selectorELNS0_4arch9wavefront6targetE1EEEvS12_,comdat
	.globl	_ZN7rocprim17ROCPRIM_400000_NS6detail17trampoline_kernelINS0_13select_configILj256ELj13ELNS0_17block_load_methodE3ELS4_3ELS4_3ELNS0_20block_scan_algorithmE0ELj4294967295EEENS1_25partition_config_selectorILNS1_17partition_subalgoE4EjNS0_10empty_typeEbEEZZNS1_14partition_implILS8_4ELb0ES6_15HIP_vector_typeIjLj2EENS0_17counting_iteratorIjlEEPS9_SG_NS0_5tupleIJPjSI_NS0_16reverse_iteratorISI_EEEEENSH_IJSG_SG_SG_EEES9_SI_JZNS1_25segmented_radix_sort_implINS0_14default_configELb0EPKbPbPKlPlN2at6native12_GLOBAL__N_18offset_tEEE10hipError_tPvRmT1_PNSt15iterator_traitsIS12_E10value_typeET2_T3_PNS13_IS18_E10value_typeET4_jRbjT5_S1E_jjP12ihipStream_tbEUljE_ZNSN_ISO_Lb0ESQ_SR_ST_SU_SY_EESZ_S10_S11_S12_S16_S17_S18_S1B_S1C_jS1D_jS1E_S1E_jjS1G_bEUljE0_EEESZ_S10_S11_S18_S1C_S1E_T6_T7_T9_mT8_S1G_bDpT10_ENKUlT_T0_E_clISt17integral_constantIbLb1EES1U_EEDaS1P_S1Q_EUlS1P_E_NS1_11comp_targetILNS1_3genE5ELNS1_11target_archE942ELNS1_3gpuE9ELNS1_3repE0EEENS1_30default_config_static_selectorELNS0_4arch9wavefront6targetE1EEEvS12_ ; -- Begin function _ZN7rocprim17ROCPRIM_400000_NS6detail17trampoline_kernelINS0_13select_configILj256ELj13ELNS0_17block_load_methodE3ELS4_3ELS4_3ELNS0_20block_scan_algorithmE0ELj4294967295EEENS1_25partition_config_selectorILNS1_17partition_subalgoE4EjNS0_10empty_typeEbEEZZNS1_14partition_implILS8_4ELb0ES6_15HIP_vector_typeIjLj2EENS0_17counting_iteratorIjlEEPS9_SG_NS0_5tupleIJPjSI_NS0_16reverse_iteratorISI_EEEEENSH_IJSG_SG_SG_EEES9_SI_JZNS1_25segmented_radix_sort_implINS0_14default_configELb0EPKbPbPKlPlN2at6native12_GLOBAL__N_18offset_tEEE10hipError_tPvRmT1_PNSt15iterator_traitsIS12_E10value_typeET2_T3_PNS13_IS18_E10value_typeET4_jRbjT5_S1E_jjP12ihipStream_tbEUljE_ZNSN_ISO_Lb0ESQ_SR_ST_SU_SY_EESZ_S10_S11_S12_S16_S17_S18_S1B_S1C_jS1D_jS1E_S1E_jjS1G_bEUljE0_EEESZ_S10_S11_S18_S1C_S1E_T6_T7_T9_mT8_S1G_bDpT10_ENKUlT_T0_E_clISt17integral_constantIbLb1EES1U_EEDaS1P_S1Q_EUlS1P_E_NS1_11comp_targetILNS1_3genE5ELNS1_11target_archE942ELNS1_3gpuE9ELNS1_3repE0EEENS1_30default_config_static_selectorELNS0_4arch9wavefront6targetE1EEEvS12_
	.p2align	8
	.type	_ZN7rocprim17ROCPRIM_400000_NS6detail17trampoline_kernelINS0_13select_configILj256ELj13ELNS0_17block_load_methodE3ELS4_3ELS4_3ELNS0_20block_scan_algorithmE0ELj4294967295EEENS1_25partition_config_selectorILNS1_17partition_subalgoE4EjNS0_10empty_typeEbEEZZNS1_14partition_implILS8_4ELb0ES6_15HIP_vector_typeIjLj2EENS0_17counting_iteratorIjlEEPS9_SG_NS0_5tupleIJPjSI_NS0_16reverse_iteratorISI_EEEEENSH_IJSG_SG_SG_EEES9_SI_JZNS1_25segmented_radix_sort_implINS0_14default_configELb0EPKbPbPKlPlN2at6native12_GLOBAL__N_18offset_tEEE10hipError_tPvRmT1_PNSt15iterator_traitsIS12_E10value_typeET2_T3_PNS13_IS18_E10value_typeET4_jRbjT5_S1E_jjP12ihipStream_tbEUljE_ZNSN_ISO_Lb0ESQ_SR_ST_SU_SY_EESZ_S10_S11_S12_S16_S17_S18_S1B_S1C_jS1D_jS1E_S1E_jjS1G_bEUljE0_EEESZ_S10_S11_S18_S1C_S1E_T6_T7_T9_mT8_S1G_bDpT10_ENKUlT_T0_E_clISt17integral_constantIbLb1EES1U_EEDaS1P_S1Q_EUlS1P_E_NS1_11comp_targetILNS1_3genE5ELNS1_11target_archE942ELNS1_3gpuE9ELNS1_3repE0EEENS1_30default_config_static_selectorELNS0_4arch9wavefront6targetE1EEEvS12_,@function
_ZN7rocprim17ROCPRIM_400000_NS6detail17trampoline_kernelINS0_13select_configILj256ELj13ELNS0_17block_load_methodE3ELS4_3ELS4_3ELNS0_20block_scan_algorithmE0ELj4294967295EEENS1_25partition_config_selectorILNS1_17partition_subalgoE4EjNS0_10empty_typeEbEEZZNS1_14partition_implILS8_4ELb0ES6_15HIP_vector_typeIjLj2EENS0_17counting_iteratorIjlEEPS9_SG_NS0_5tupleIJPjSI_NS0_16reverse_iteratorISI_EEEEENSH_IJSG_SG_SG_EEES9_SI_JZNS1_25segmented_radix_sort_implINS0_14default_configELb0EPKbPbPKlPlN2at6native12_GLOBAL__N_18offset_tEEE10hipError_tPvRmT1_PNSt15iterator_traitsIS12_E10value_typeET2_T3_PNS13_IS18_E10value_typeET4_jRbjT5_S1E_jjP12ihipStream_tbEUljE_ZNSN_ISO_Lb0ESQ_SR_ST_SU_SY_EESZ_S10_S11_S12_S16_S17_S18_S1B_S1C_jS1D_jS1E_S1E_jjS1G_bEUljE0_EEESZ_S10_S11_S18_S1C_S1E_T6_T7_T9_mT8_S1G_bDpT10_ENKUlT_T0_E_clISt17integral_constantIbLb1EES1U_EEDaS1P_S1Q_EUlS1P_E_NS1_11comp_targetILNS1_3genE5ELNS1_11target_archE942ELNS1_3gpuE9ELNS1_3repE0EEENS1_30default_config_static_selectorELNS0_4arch9wavefront6targetE1EEEvS12_: ; @_ZN7rocprim17ROCPRIM_400000_NS6detail17trampoline_kernelINS0_13select_configILj256ELj13ELNS0_17block_load_methodE3ELS4_3ELS4_3ELNS0_20block_scan_algorithmE0ELj4294967295EEENS1_25partition_config_selectorILNS1_17partition_subalgoE4EjNS0_10empty_typeEbEEZZNS1_14partition_implILS8_4ELb0ES6_15HIP_vector_typeIjLj2EENS0_17counting_iteratorIjlEEPS9_SG_NS0_5tupleIJPjSI_NS0_16reverse_iteratorISI_EEEEENSH_IJSG_SG_SG_EEES9_SI_JZNS1_25segmented_radix_sort_implINS0_14default_configELb0EPKbPbPKlPlN2at6native12_GLOBAL__N_18offset_tEEE10hipError_tPvRmT1_PNSt15iterator_traitsIS12_E10value_typeET2_T3_PNS13_IS18_E10value_typeET4_jRbjT5_S1E_jjP12ihipStream_tbEUljE_ZNSN_ISO_Lb0ESQ_SR_ST_SU_SY_EESZ_S10_S11_S12_S16_S17_S18_S1B_S1C_jS1D_jS1E_S1E_jjS1G_bEUljE0_EEESZ_S10_S11_S18_S1C_S1E_T6_T7_T9_mT8_S1G_bDpT10_ENKUlT_T0_E_clISt17integral_constantIbLb1EES1U_EEDaS1P_S1Q_EUlS1P_E_NS1_11comp_targetILNS1_3genE5ELNS1_11target_archE942ELNS1_3gpuE9ELNS1_3repE0EEENS1_30default_config_static_selectorELNS0_4arch9wavefront6targetE1EEEvS12_
; %bb.0:
	.section	.rodata,"a",@progbits
	.p2align	6, 0x0
	.amdhsa_kernel _ZN7rocprim17ROCPRIM_400000_NS6detail17trampoline_kernelINS0_13select_configILj256ELj13ELNS0_17block_load_methodE3ELS4_3ELS4_3ELNS0_20block_scan_algorithmE0ELj4294967295EEENS1_25partition_config_selectorILNS1_17partition_subalgoE4EjNS0_10empty_typeEbEEZZNS1_14partition_implILS8_4ELb0ES6_15HIP_vector_typeIjLj2EENS0_17counting_iteratorIjlEEPS9_SG_NS0_5tupleIJPjSI_NS0_16reverse_iteratorISI_EEEEENSH_IJSG_SG_SG_EEES9_SI_JZNS1_25segmented_radix_sort_implINS0_14default_configELb0EPKbPbPKlPlN2at6native12_GLOBAL__N_18offset_tEEE10hipError_tPvRmT1_PNSt15iterator_traitsIS12_E10value_typeET2_T3_PNS13_IS18_E10value_typeET4_jRbjT5_S1E_jjP12ihipStream_tbEUljE_ZNSN_ISO_Lb0ESQ_SR_ST_SU_SY_EESZ_S10_S11_S12_S16_S17_S18_S1B_S1C_jS1D_jS1E_S1E_jjS1G_bEUljE0_EEESZ_S10_S11_S18_S1C_S1E_T6_T7_T9_mT8_S1G_bDpT10_ENKUlT_T0_E_clISt17integral_constantIbLb1EES1U_EEDaS1P_S1Q_EUlS1P_E_NS1_11comp_targetILNS1_3genE5ELNS1_11target_archE942ELNS1_3gpuE9ELNS1_3repE0EEENS1_30default_config_static_selectorELNS0_4arch9wavefront6targetE1EEEvS12_
		.amdhsa_group_segment_fixed_size 0
		.amdhsa_private_segment_fixed_size 0
		.amdhsa_kernarg_size 184
		.amdhsa_user_sgpr_count 6
		.amdhsa_user_sgpr_private_segment_buffer 1
		.amdhsa_user_sgpr_dispatch_ptr 0
		.amdhsa_user_sgpr_queue_ptr 0
		.amdhsa_user_sgpr_kernarg_segment_ptr 1
		.amdhsa_user_sgpr_dispatch_id 0
		.amdhsa_user_sgpr_flat_scratch_init 0
		.amdhsa_user_sgpr_private_segment_size 0
		.amdhsa_uses_dynamic_stack 0
		.amdhsa_system_sgpr_private_segment_wavefront_offset 0
		.amdhsa_system_sgpr_workgroup_id_x 1
		.amdhsa_system_sgpr_workgroup_id_y 0
		.amdhsa_system_sgpr_workgroup_id_z 0
		.amdhsa_system_sgpr_workgroup_info 0
		.amdhsa_system_vgpr_workitem_id 0
		.amdhsa_next_free_vgpr 1
		.amdhsa_next_free_sgpr 0
		.amdhsa_reserve_vcc 0
		.amdhsa_reserve_flat_scratch 0
		.amdhsa_float_round_mode_32 0
		.amdhsa_float_round_mode_16_64 0
		.amdhsa_float_denorm_mode_32 3
		.amdhsa_float_denorm_mode_16_64 3
		.amdhsa_dx10_clamp 1
		.amdhsa_ieee_mode 1
		.amdhsa_fp16_overflow 0
		.amdhsa_exception_fp_ieee_invalid_op 0
		.amdhsa_exception_fp_denorm_src 0
		.amdhsa_exception_fp_ieee_div_zero 0
		.amdhsa_exception_fp_ieee_overflow 0
		.amdhsa_exception_fp_ieee_underflow 0
		.amdhsa_exception_fp_ieee_inexact 0
		.amdhsa_exception_int_div_zero 0
	.end_amdhsa_kernel
	.section	.text._ZN7rocprim17ROCPRIM_400000_NS6detail17trampoline_kernelINS0_13select_configILj256ELj13ELNS0_17block_load_methodE3ELS4_3ELS4_3ELNS0_20block_scan_algorithmE0ELj4294967295EEENS1_25partition_config_selectorILNS1_17partition_subalgoE4EjNS0_10empty_typeEbEEZZNS1_14partition_implILS8_4ELb0ES6_15HIP_vector_typeIjLj2EENS0_17counting_iteratorIjlEEPS9_SG_NS0_5tupleIJPjSI_NS0_16reverse_iteratorISI_EEEEENSH_IJSG_SG_SG_EEES9_SI_JZNS1_25segmented_radix_sort_implINS0_14default_configELb0EPKbPbPKlPlN2at6native12_GLOBAL__N_18offset_tEEE10hipError_tPvRmT1_PNSt15iterator_traitsIS12_E10value_typeET2_T3_PNS13_IS18_E10value_typeET4_jRbjT5_S1E_jjP12ihipStream_tbEUljE_ZNSN_ISO_Lb0ESQ_SR_ST_SU_SY_EESZ_S10_S11_S12_S16_S17_S18_S1B_S1C_jS1D_jS1E_S1E_jjS1G_bEUljE0_EEESZ_S10_S11_S18_S1C_S1E_T6_T7_T9_mT8_S1G_bDpT10_ENKUlT_T0_E_clISt17integral_constantIbLb1EES1U_EEDaS1P_S1Q_EUlS1P_E_NS1_11comp_targetILNS1_3genE5ELNS1_11target_archE942ELNS1_3gpuE9ELNS1_3repE0EEENS1_30default_config_static_selectorELNS0_4arch9wavefront6targetE1EEEvS12_,"axG",@progbits,_ZN7rocprim17ROCPRIM_400000_NS6detail17trampoline_kernelINS0_13select_configILj256ELj13ELNS0_17block_load_methodE3ELS4_3ELS4_3ELNS0_20block_scan_algorithmE0ELj4294967295EEENS1_25partition_config_selectorILNS1_17partition_subalgoE4EjNS0_10empty_typeEbEEZZNS1_14partition_implILS8_4ELb0ES6_15HIP_vector_typeIjLj2EENS0_17counting_iteratorIjlEEPS9_SG_NS0_5tupleIJPjSI_NS0_16reverse_iteratorISI_EEEEENSH_IJSG_SG_SG_EEES9_SI_JZNS1_25segmented_radix_sort_implINS0_14default_configELb0EPKbPbPKlPlN2at6native12_GLOBAL__N_18offset_tEEE10hipError_tPvRmT1_PNSt15iterator_traitsIS12_E10value_typeET2_T3_PNS13_IS18_E10value_typeET4_jRbjT5_S1E_jjP12ihipStream_tbEUljE_ZNSN_ISO_Lb0ESQ_SR_ST_SU_SY_EESZ_S10_S11_S12_S16_S17_S18_S1B_S1C_jS1D_jS1E_S1E_jjS1G_bEUljE0_EEESZ_S10_S11_S18_S1C_S1E_T6_T7_T9_mT8_S1G_bDpT10_ENKUlT_T0_E_clISt17integral_constantIbLb1EES1U_EEDaS1P_S1Q_EUlS1P_E_NS1_11comp_targetILNS1_3genE5ELNS1_11target_archE942ELNS1_3gpuE9ELNS1_3repE0EEENS1_30default_config_static_selectorELNS0_4arch9wavefront6targetE1EEEvS12_,comdat
.Lfunc_end1580:
	.size	_ZN7rocprim17ROCPRIM_400000_NS6detail17trampoline_kernelINS0_13select_configILj256ELj13ELNS0_17block_load_methodE3ELS4_3ELS4_3ELNS0_20block_scan_algorithmE0ELj4294967295EEENS1_25partition_config_selectorILNS1_17partition_subalgoE4EjNS0_10empty_typeEbEEZZNS1_14partition_implILS8_4ELb0ES6_15HIP_vector_typeIjLj2EENS0_17counting_iteratorIjlEEPS9_SG_NS0_5tupleIJPjSI_NS0_16reverse_iteratorISI_EEEEENSH_IJSG_SG_SG_EEES9_SI_JZNS1_25segmented_radix_sort_implINS0_14default_configELb0EPKbPbPKlPlN2at6native12_GLOBAL__N_18offset_tEEE10hipError_tPvRmT1_PNSt15iterator_traitsIS12_E10value_typeET2_T3_PNS13_IS18_E10value_typeET4_jRbjT5_S1E_jjP12ihipStream_tbEUljE_ZNSN_ISO_Lb0ESQ_SR_ST_SU_SY_EESZ_S10_S11_S12_S16_S17_S18_S1B_S1C_jS1D_jS1E_S1E_jjS1G_bEUljE0_EEESZ_S10_S11_S18_S1C_S1E_T6_T7_T9_mT8_S1G_bDpT10_ENKUlT_T0_E_clISt17integral_constantIbLb1EES1U_EEDaS1P_S1Q_EUlS1P_E_NS1_11comp_targetILNS1_3genE5ELNS1_11target_archE942ELNS1_3gpuE9ELNS1_3repE0EEENS1_30default_config_static_selectorELNS0_4arch9wavefront6targetE1EEEvS12_, .Lfunc_end1580-_ZN7rocprim17ROCPRIM_400000_NS6detail17trampoline_kernelINS0_13select_configILj256ELj13ELNS0_17block_load_methodE3ELS4_3ELS4_3ELNS0_20block_scan_algorithmE0ELj4294967295EEENS1_25partition_config_selectorILNS1_17partition_subalgoE4EjNS0_10empty_typeEbEEZZNS1_14partition_implILS8_4ELb0ES6_15HIP_vector_typeIjLj2EENS0_17counting_iteratorIjlEEPS9_SG_NS0_5tupleIJPjSI_NS0_16reverse_iteratorISI_EEEEENSH_IJSG_SG_SG_EEES9_SI_JZNS1_25segmented_radix_sort_implINS0_14default_configELb0EPKbPbPKlPlN2at6native12_GLOBAL__N_18offset_tEEE10hipError_tPvRmT1_PNSt15iterator_traitsIS12_E10value_typeET2_T3_PNS13_IS18_E10value_typeET4_jRbjT5_S1E_jjP12ihipStream_tbEUljE_ZNSN_ISO_Lb0ESQ_SR_ST_SU_SY_EESZ_S10_S11_S12_S16_S17_S18_S1B_S1C_jS1D_jS1E_S1E_jjS1G_bEUljE0_EEESZ_S10_S11_S18_S1C_S1E_T6_T7_T9_mT8_S1G_bDpT10_ENKUlT_T0_E_clISt17integral_constantIbLb1EES1U_EEDaS1P_S1Q_EUlS1P_E_NS1_11comp_targetILNS1_3genE5ELNS1_11target_archE942ELNS1_3gpuE9ELNS1_3repE0EEENS1_30default_config_static_selectorELNS0_4arch9wavefront6targetE1EEEvS12_
                                        ; -- End function
	.set _ZN7rocprim17ROCPRIM_400000_NS6detail17trampoline_kernelINS0_13select_configILj256ELj13ELNS0_17block_load_methodE3ELS4_3ELS4_3ELNS0_20block_scan_algorithmE0ELj4294967295EEENS1_25partition_config_selectorILNS1_17partition_subalgoE4EjNS0_10empty_typeEbEEZZNS1_14partition_implILS8_4ELb0ES6_15HIP_vector_typeIjLj2EENS0_17counting_iteratorIjlEEPS9_SG_NS0_5tupleIJPjSI_NS0_16reverse_iteratorISI_EEEEENSH_IJSG_SG_SG_EEES9_SI_JZNS1_25segmented_radix_sort_implINS0_14default_configELb0EPKbPbPKlPlN2at6native12_GLOBAL__N_18offset_tEEE10hipError_tPvRmT1_PNSt15iterator_traitsIS12_E10value_typeET2_T3_PNS13_IS18_E10value_typeET4_jRbjT5_S1E_jjP12ihipStream_tbEUljE_ZNSN_ISO_Lb0ESQ_SR_ST_SU_SY_EESZ_S10_S11_S12_S16_S17_S18_S1B_S1C_jS1D_jS1E_S1E_jjS1G_bEUljE0_EEESZ_S10_S11_S18_S1C_S1E_T6_T7_T9_mT8_S1G_bDpT10_ENKUlT_T0_E_clISt17integral_constantIbLb1EES1U_EEDaS1P_S1Q_EUlS1P_E_NS1_11comp_targetILNS1_3genE5ELNS1_11target_archE942ELNS1_3gpuE9ELNS1_3repE0EEENS1_30default_config_static_selectorELNS0_4arch9wavefront6targetE1EEEvS12_.num_vgpr, 0
	.set _ZN7rocprim17ROCPRIM_400000_NS6detail17trampoline_kernelINS0_13select_configILj256ELj13ELNS0_17block_load_methodE3ELS4_3ELS4_3ELNS0_20block_scan_algorithmE0ELj4294967295EEENS1_25partition_config_selectorILNS1_17partition_subalgoE4EjNS0_10empty_typeEbEEZZNS1_14partition_implILS8_4ELb0ES6_15HIP_vector_typeIjLj2EENS0_17counting_iteratorIjlEEPS9_SG_NS0_5tupleIJPjSI_NS0_16reverse_iteratorISI_EEEEENSH_IJSG_SG_SG_EEES9_SI_JZNS1_25segmented_radix_sort_implINS0_14default_configELb0EPKbPbPKlPlN2at6native12_GLOBAL__N_18offset_tEEE10hipError_tPvRmT1_PNSt15iterator_traitsIS12_E10value_typeET2_T3_PNS13_IS18_E10value_typeET4_jRbjT5_S1E_jjP12ihipStream_tbEUljE_ZNSN_ISO_Lb0ESQ_SR_ST_SU_SY_EESZ_S10_S11_S12_S16_S17_S18_S1B_S1C_jS1D_jS1E_S1E_jjS1G_bEUljE0_EEESZ_S10_S11_S18_S1C_S1E_T6_T7_T9_mT8_S1G_bDpT10_ENKUlT_T0_E_clISt17integral_constantIbLb1EES1U_EEDaS1P_S1Q_EUlS1P_E_NS1_11comp_targetILNS1_3genE5ELNS1_11target_archE942ELNS1_3gpuE9ELNS1_3repE0EEENS1_30default_config_static_selectorELNS0_4arch9wavefront6targetE1EEEvS12_.num_agpr, 0
	.set _ZN7rocprim17ROCPRIM_400000_NS6detail17trampoline_kernelINS0_13select_configILj256ELj13ELNS0_17block_load_methodE3ELS4_3ELS4_3ELNS0_20block_scan_algorithmE0ELj4294967295EEENS1_25partition_config_selectorILNS1_17partition_subalgoE4EjNS0_10empty_typeEbEEZZNS1_14partition_implILS8_4ELb0ES6_15HIP_vector_typeIjLj2EENS0_17counting_iteratorIjlEEPS9_SG_NS0_5tupleIJPjSI_NS0_16reverse_iteratorISI_EEEEENSH_IJSG_SG_SG_EEES9_SI_JZNS1_25segmented_radix_sort_implINS0_14default_configELb0EPKbPbPKlPlN2at6native12_GLOBAL__N_18offset_tEEE10hipError_tPvRmT1_PNSt15iterator_traitsIS12_E10value_typeET2_T3_PNS13_IS18_E10value_typeET4_jRbjT5_S1E_jjP12ihipStream_tbEUljE_ZNSN_ISO_Lb0ESQ_SR_ST_SU_SY_EESZ_S10_S11_S12_S16_S17_S18_S1B_S1C_jS1D_jS1E_S1E_jjS1G_bEUljE0_EEESZ_S10_S11_S18_S1C_S1E_T6_T7_T9_mT8_S1G_bDpT10_ENKUlT_T0_E_clISt17integral_constantIbLb1EES1U_EEDaS1P_S1Q_EUlS1P_E_NS1_11comp_targetILNS1_3genE5ELNS1_11target_archE942ELNS1_3gpuE9ELNS1_3repE0EEENS1_30default_config_static_selectorELNS0_4arch9wavefront6targetE1EEEvS12_.numbered_sgpr, 0
	.set _ZN7rocprim17ROCPRIM_400000_NS6detail17trampoline_kernelINS0_13select_configILj256ELj13ELNS0_17block_load_methodE3ELS4_3ELS4_3ELNS0_20block_scan_algorithmE0ELj4294967295EEENS1_25partition_config_selectorILNS1_17partition_subalgoE4EjNS0_10empty_typeEbEEZZNS1_14partition_implILS8_4ELb0ES6_15HIP_vector_typeIjLj2EENS0_17counting_iteratorIjlEEPS9_SG_NS0_5tupleIJPjSI_NS0_16reverse_iteratorISI_EEEEENSH_IJSG_SG_SG_EEES9_SI_JZNS1_25segmented_radix_sort_implINS0_14default_configELb0EPKbPbPKlPlN2at6native12_GLOBAL__N_18offset_tEEE10hipError_tPvRmT1_PNSt15iterator_traitsIS12_E10value_typeET2_T3_PNS13_IS18_E10value_typeET4_jRbjT5_S1E_jjP12ihipStream_tbEUljE_ZNSN_ISO_Lb0ESQ_SR_ST_SU_SY_EESZ_S10_S11_S12_S16_S17_S18_S1B_S1C_jS1D_jS1E_S1E_jjS1G_bEUljE0_EEESZ_S10_S11_S18_S1C_S1E_T6_T7_T9_mT8_S1G_bDpT10_ENKUlT_T0_E_clISt17integral_constantIbLb1EES1U_EEDaS1P_S1Q_EUlS1P_E_NS1_11comp_targetILNS1_3genE5ELNS1_11target_archE942ELNS1_3gpuE9ELNS1_3repE0EEENS1_30default_config_static_selectorELNS0_4arch9wavefront6targetE1EEEvS12_.num_named_barrier, 0
	.set _ZN7rocprim17ROCPRIM_400000_NS6detail17trampoline_kernelINS0_13select_configILj256ELj13ELNS0_17block_load_methodE3ELS4_3ELS4_3ELNS0_20block_scan_algorithmE0ELj4294967295EEENS1_25partition_config_selectorILNS1_17partition_subalgoE4EjNS0_10empty_typeEbEEZZNS1_14partition_implILS8_4ELb0ES6_15HIP_vector_typeIjLj2EENS0_17counting_iteratorIjlEEPS9_SG_NS0_5tupleIJPjSI_NS0_16reverse_iteratorISI_EEEEENSH_IJSG_SG_SG_EEES9_SI_JZNS1_25segmented_radix_sort_implINS0_14default_configELb0EPKbPbPKlPlN2at6native12_GLOBAL__N_18offset_tEEE10hipError_tPvRmT1_PNSt15iterator_traitsIS12_E10value_typeET2_T3_PNS13_IS18_E10value_typeET4_jRbjT5_S1E_jjP12ihipStream_tbEUljE_ZNSN_ISO_Lb0ESQ_SR_ST_SU_SY_EESZ_S10_S11_S12_S16_S17_S18_S1B_S1C_jS1D_jS1E_S1E_jjS1G_bEUljE0_EEESZ_S10_S11_S18_S1C_S1E_T6_T7_T9_mT8_S1G_bDpT10_ENKUlT_T0_E_clISt17integral_constantIbLb1EES1U_EEDaS1P_S1Q_EUlS1P_E_NS1_11comp_targetILNS1_3genE5ELNS1_11target_archE942ELNS1_3gpuE9ELNS1_3repE0EEENS1_30default_config_static_selectorELNS0_4arch9wavefront6targetE1EEEvS12_.private_seg_size, 0
	.set _ZN7rocprim17ROCPRIM_400000_NS6detail17trampoline_kernelINS0_13select_configILj256ELj13ELNS0_17block_load_methodE3ELS4_3ELS4_3ELNS0_20block_scan_algorithmE0ELj4294967295EEENS1_25partition_config_selectorILNS1_17partition_subalgoE4EjNS0_10empty_typeEbEEZZNS1_14partition_implILS8_4ELb0ES6_15HIP_vector_typeIjLj2EENS0_17counting_iteratorIjlEEPS9_SG_NS0_5tupleIJPjSI_NS0_16reverse_iteratorISI_EEEEENSH_IJSG_SG_SG_EEES9_SI_JZNS1_25segmented_radix_sort_implINS0_14default_configELb0EPKbPbPKlPlN2at6native12_GLOBAL__N_18offset_tEEE10hipError_tPvRmT1_PNSt15iterator_traitsIS12_E10value_typeET2_T3_PNS13_IS18_E10value_typeET4_jRbjT5_S1E_jjP12ihipStream_tbEUljE_ZNSN_ISO_Lb0ESQ_SR_ST_SU_SY_EESZ_S10_S11_S12_S16_S17_S18_S1B_S1C_jS1D_jS1E_S1E_jjS1G_bEUljE0_EEESZ_S10_S11_S18_S1C_S1E_T6_T7_T9_mT8_S1G_bDpT10_ENKUlT_T0_E_clISt17integral_constantIbLb1EES1U_EEDaS1P_S1Q_EUlS1P_E_NS1_11comp_targetILNS1_3genE5ELNS1_11target_archE942ELNS1_3gpuE9ELNS1_3repE0EEENS1_30default_config_static_selectorELNS0_4arch9wavefront6targetE1EEEvS12_.uses_vcc, 0
	.set _ZN7rocprim17ROCPRIM_400000_NS6detail17trampoline_kernelINS0_13select_configILj256ELj13ELNS0_17block_load_methodE3ELS4_3ELS4_3ELNS0_20block_scan_algorithmE0ELj4294967295EEENS1_25partition_config_selectorILNS1_17partition_subalgoE4EjNS0_10empty_typeEbEEZZNS1_14partition_implILS8_4ELb0ES6_15HIP_vector_typeIjLj2EENS0_17counting_iteratorIjlEEPS9_SG_NS0_5tupleIJPjSI_NS0_16reverse_iteratorISI_EEEEENSH_IJSG_SG_SG_EEES9_SI_JZNS1_25segmented_radix_sort_implINS0_14default_configELb0EPKbPbPKlPlN2at6native12_GLOBAL__N_18offset_tEEE10hipError_tPvRmT1_PNSt15iterator_traitsIS12_E10value_typeET2_T3_PNS13_IS18_E10value_typeET4_jRbjT5_S1E_jjP12ihipStream_tbEUljE_ZNSN_ISO_Lb0ESQ_SR_ST_SU_SY_EESZ_S10_S11_S12_S16_S17_S18_S1B_S1C_jS1D_jS1E_S1E_jjS1G_bEUljE0_EEESZ_S10_S11_S18_S1C_S1E_T6_T7_T9_mT8_S1G_bDpT10_ENKUlT_T0_E_clISt17integral_constantIbLb1EES1U_EEDaS1P_S1Q_EUlS1P_E_NS1_11comp_targetILNS1_3genE5ELNS1_11target_archE942ELNS1_3gpuE9ELNS1_3repE0EEENS1_30default_config_static_selectorELNS0_4arch9wavefront6targetE1EEEvS12_.uses_flat_scratch, 0
	.set _ZN7rocprim17ROCPRIM_400000_NS6detail17trampoline_kernelINS0_13select_configILj256ELj13ELNS0_17block_load_methodE3ELS4_3ELS4_3ELNS0_20block_scan_algorithmE0ELj4294967295EEENS1_25partition_config_selectorILNS1_17partition_subalgoE4EjNS0_10empty_typeEbEEZZNS1_14partition_implILS8_4ELb0ES6_15HIP_vector_typeIjLj2EENS0_17counting_iteratorIjlEEPS9_SG_NS0_5tupleIJPjSI_NS0_16reverse_iteratorISI_EEEEENSH_IJSG_SG_SG_EEES9_SI_JZNS1_25segmented_radix_sort_implINS0_14default_configELb0EPKbPbPKlPlN2at6native12_GLOBAL__N_18offset_tEEE10hipError_tPvRmT1_PNSt15iterator_traitsIS12_E10value_typeET2_T3_PNS13_IS18_E10value_typeET4_jRbjT5_S1E_jjP12ihipStream_tbEUljE_ZNSN_ISO_Lb0ESQ_SR_ST_SU_SY_EESZ_S10_S11_S12_S16_S17_S18_S1B_S1C_jS1D_jS1E_S1E_jjS1G_bEUljE0_EEESZ_S10_S11_S18_S1C_S1E_T6_T7_T9_mT8_S1G_bDpT10_ENKUlT_T0_E_clISt17integral_constantIbLb1EES1U_EEDaS1P_S1Q_EUlS1P_E_NS1_11comp_targetILNS1_3genE5ELNS1_11target_archE942ELNS1_3gpuE9ELNS1_3repE0EEENS1_30default_config_static_selectorELNS0_4arch9wavefront6targetE1EEEvS12_.has_dyn_sized_stack, 0
	.set _ZN7rocprim17ROCPRIM_400000_NS6detail17trampoline_kernelINS0_13select_configILj256ELj13ELNS0_17block_load_methodE3ELS4_3ELS4_3ELNS0_20block_scan_algorithmE0ELj4294967295EEENS1_25partition_config_selectorILNS1_17partition_subalgoE4EjNS0_10empty_typeEbEEZZNS1_14partition_implILS8_4ELb0ES6_15HIP_vector_typeIjLj2EENS0_17counting_iteratorIjlEEPS9_SG_NS0_5tupleIJPjSI_NS0_16reverse_iteratorISI_EEEEENSH_IJSG_SG_SG_EEES9_SI_JZNS1_25segmented_radix_sort_implINS0_14default_configELb0EPKbPbPKlPlN2at6native12_GLOBAL__N_18offset_tEEE10hipError_tPvRmT1_PNSt15iterator_traitsIS12_E10value_typeET2_T3_PNS13_IS18_E10value_typeET4_jRbjT5_S1E_jjP12ihipStream_tbEUljE_ZNSN_ISO_Lb0ESQ_SR_ST_SU_SY_EESZ_S10_S11_S12_S16_S17_S18_S1B_S1C_jS1D_jS1E_S1E_jjS1G_bEUljE0_EEESZ_S10_S11_S18_S1C_S1E_T6_T7_T9_mT8_S1G_bDpT10_ENKUlT_T0_E_clISt17integral_constantIbLb1EES1U_EEDaS1P_S1Q_EUlS1P_E_NS1_11comp_targetILNS1_3genE5ELNS1_11target_archE942ELNS1_3gpuE9ELNS1_3repE0EEENS1_30default_config_static_selectorELNS0_4arch9wavefront6targetE1EEEvS12_.has_recursion, 0
	.set _ZN7rocprim17ROCPRIM_400000_NS6detail17trampoline_kernelINS0_13select_configILj256ELj13ELNS0_17block_load_methodE3ELS4_3ELS4_3ELNS0_20block_scan_algorithmE0ELj4294967295EEENS1_25partition_config_selectorILNS1_17partition_subalgoE4EjNS0_10empty_typeEbEEZZNS1_14partition_implILS8_4ELb0ES6_15HIP_vector_typeIjLj2EENS0_17counting_iteratorIjlEEPS9_SG_NS0_5tupleIJPjSI_NS0_16reverse_iteratorISI_EEEEENSH_IJSG_SG_SG_EEES9_SI_JZNS1_25segmented_radix_sort_implINS0_14default_configELb0EPKbPbPKlPlN2at6native12_GLOBAL__N_18offset_tEEE10hipError_tPvRmT1_PNSt15iterator_traitsIS12_E10value_typeET2_T3_PNS13_IS18_E10value_typeET4_jRbjT5_S1E_jjP12ihipStream_tbEUljE_ZNSN_ISO_Lb0ESQ_SR_ST_SU_SY_EESZ_S10_S11_S12_S16_S17_S18_S1B_S1C_jS1D_jS1E_S1E_jjS1G_bEUljE0_EEESZ_S10_S11_S18_S1C_S1E_T6_T7_T9_mT8_S1G_bDpT10_ENKUlT_T0_E_clISt17integral_constantIbLb1EES1U_EEDaS1P_S1Q_EUlS1P_E_NS1_11comp_targetILNS1_3genE5ELNS1_11target_archE942ELNS1_3gpuE9ELNS1_3repE0EEENS1_30default_config_static_selectorELNS0_4arch9wavefront6targetE1EEEvS12_.has_indirect_call, 0
	.section	.AMDGPU.csdata,"",@progbits
; Kernel info:
; codeLenInByte = 0
; TotalNumSgprs: 4
; NumVgprs: 0
; ScratchSize: 0
; MemoryBound: 0
; FloatMode: 240
; IeeeMode: 1
; LDSByteSize: 0 bytes/workgroup (compile time only)
; SGPRBlocks: 0
; VGPRBlocks: 0
; NumSGPRsForWavesPerEU: 4
; NumVGPRsForWavesPerEU: 1
; Occupancy: 10
; WaveLimiterHint : 0
; COMPUTE_PGM_RSRC2:SCRATCH_EN: 0
; COMPUTE_PGM_RSRC2:USER_SGPR: 6
; COMPUTE_PGM_RSRC2:TRAP_HANDLER: 0
; COMPUTE_PGM_RSRC2:TGID_X_EN: 1
; COMPUTE_PGM_RSRC2:TGID_Y_EN: 0
; COMPUTE_PGM_RSRC2:TGID_Z_EN: 0
; COMPUTE_PGM_RSRC2:TIDIG_COMP_CNT: 0
	.section	.text._ZN7rocprim17ROCPRIM_400000_NS6detail17trampoline_kernelINS0_13select_configILj256ELj13ELNS0_17block_load_methodE3ELS4_3ELS4_3ELNS0_20block_scan_algorithmE0ELj4294967295EEENS1_25partition_config_selectorILNS1_17partition_subalgoE4EjNS0_10empty_typeEbEEZZNS1_14partition_implILS8_4ELb0ES6_15HIP_vector_typeIjLj2EENS0_17counting_iteratorIjlEEPS9_SG_NS0_5tupleIJPjSI_NS0_16reverse_iteratorISI_EEEEENSH_IJSG_SG_SG_EEES9_SI_JZNS1_25segmented_radix_sort_implINS0_14default_configELb0EPKbPbPKlPlN2at6native12_GLOBAL__N_18offset_tEEE10hipError_tPvRmT1_PNSt15iterator_traitsIS12_E10value_typeET2_T3_PNS13_IS18_E10value_typeET4_jRbjT5_S1E_jjP12ihipStream_tbEUljE_ZNSN_ISO_Lb0ESQ_SR_ST_SU_SY_EESZ_S10_S11_S12_S16_S17_S18_S1B_S1C_jS1D_jS1E_S1E_jjS1G_bEUljE0_EEESZ_S10_S11_S18_S1C_S1E_T6_T7_T9_mT8_S1G_bDpT10_ENKUlT_T0_E_clISt17integral_constantIbLb1EES1U_EEDaS1P_S1Q_EUlS1P_E_NS1_11comp_targetILNS1_3genE4ELNS1_11target_archE910ELNS1_3gpuE8ELNS1_3repE0EEENS1_30default_config_static_selectorELNS0_4arch9wavefront6targetE1EEEvS12_,"axG",@progbits,_ZN7rocprim17ROCPRIM_400000_NS6detail17trampoline_kernelINS0_13select_configILj256ELj13ELNS0_17block_load_methodE3ELS4_3ELS4_3ELNS0_20block_scan_algorithmE0ELj4294967295EEENS1_25partition_config_selectorILNS1_17partition_subalgoE4EjNS0_10empty_typeEbEEZZNS1_14partition_implILS8_4ELb0ES6_15HIP_vector_typeIjLj2EENS0_17counting_iteratorIjlEEPS9_SG_NS0_5tupleIJPjSI_NS0_16reverse_iteratorISI_EEEEENSH_IJSG_SG_SG_EEES9_SI_JZNS1_25segmented_radix_sort_implINS0_14default_configELb0EPKbPbPKlPlN2at6native12_GLOBAL__N_18offset_tEEE10hipError_tPvRmT1_PNSt15iterator_traitsIS12_E10value_typeET2_T3_PNS13_IS18_E10value_typeET4_jRbjT5_S1E_jjP12ihipStream_tbEUljE_ZNSN_ISO_Lb0ESQ_SR_ST_SU_SY_EESZ_S10_S11_S12_S16_S17_S18_S1B_S1C_jS1D_jS1E_S1E_jjS1G_bEUljE0_EEESZ_S10_S11_S18_S1C_S1E_T6_T7_T9_mT8_S1G_bDpT10_ENKUlT_T0_E_clISt17integral_constantIbLb1EES1U_EEDaS1P_S1Q_EUlS1P_E_NS1_11comp_targetILNS1_3genE4ELNS1_11target_archE910ELNS1_3gpuE8ELNS1_3repE0EEENS1_30default_config_static_selectorELNS0_4arch9wavefront6targetE1EEEvS12_,comdat
	.globl	_ZN7rocprim17ROCPRIM_400000_NS6detail17trampoline_kernelINS0_13select_configILj256ELj13ELNS0_17block_load_methodE3ELS4_3ELS4_3ELNS0_20block_scan_algorithmE0ELj4294967295EEENS1_25partition_config_selectorILNS1_17partition_subalgoE4EjNS0_10empty_typeEbEEZZNS1_14partition_implILS8_4ELb0ES6_15HIP_vector_typeIjLj2EENS0_17counting_iteratorIjlEEPS9_SG_NS0_5tupleIJPjSI_NS0_16reverse_iteratorISI_EEEEENSH_IJSG_SG_SG_EEES9_SI_JZNS1_25segmented_radix_sort_implINS0_14default_configELb0EPKbPbPKlPlN2at6native12_GLOBAL__N_18offset_tEEE10hipError_tPvRmT1_PNSt15iterator_traitsIS12_E10value_typeET2_T3_PNS13_IS18_E10value_typeET4_jRbjT5_S1E_jjP12ihipStream_tbEUljE_ZNSN_ISO_Lb0ESQ_SR_ST_SU_SY_EESZ_S10_S11_S12_S16_S17_S18_S1B_S1C_jS1D_jS1E_S1E_jjS1G_bEUljE0_EEESZ_S10_S11_S18_S1C_S1E_T6_T7_T9_mT8_S1G_bDpT10_ENKUlT_T0_E_clISt17integral_constantIbLb1EES1U_EEDaS1P_S1Q_EUlS1P_E_NS1_11comp_targetILNS1_3genE4ELNS1_11target_archE910ELNS1_3gpuE8ELNS1_3repE0EEENS1_30default_config_static_selectorELNS0_4arch9wavefront6targetE1EEEvS12_ ; -- Begin function _ZN7rocprim17ROCPRIM_400000_NS6detail17trampoline_kernelINS0_13select_configILj256ELj13ELNS0_17block_load_methodE3ELS4_3ELS4_3ELNS0_20block_scan_algorithmE0ELj4294967295EEENS1_25partition_config_selectorILNS1_17partition_subalgoE4EjNS0_10empty_typeEbEEZZNS1_14partition_implILS8_4ELb0ES6_15HIP_vector_typeIjLj2EENS0_17counting_iteratorIjlEEPS9_SG_NS0_5tupleIJPjSI_NS0_16reverse_iteratorISI_EEEEENSH_IJSG_SG_SG_EEES9_SI_JZNS1_25segmented_radix_sort_implINS0_14default_configELb0EPKbPbPKlPlN2at6native12_GLOBAL__N_18offset_tEEE10hipError_tPvRmT1_PNSt15iterator_traitsIS12_E10value_typeET2_T3_PNS13_IS18_E10value_typeET4_jRbjT5_S1E_jjP12ihipStream_tbEUljE_ZNSN_ISO_Lb0ESQ_SR_ST_SU_SY_EESZ_S10_S11_S12_S16_S17_S18_S1B_S1C_jS1D_jS1E_S1E_jjS1G_bEUljE0_EEESZ_S10_S11_S18_S1C_S1E_T6_T7_T9_mT8_S1G_bDpT10_ENKUlT_T0_E_clISt17integral_constantIbLb1EES1U_EEDaS1P_S1Q_EUlS1P_E_NS1_11comp_targetILNS1_3genE4ELNS1_11target_archE910ELNS1_3gpuE8ELNS1_3repE0EEENS1_30default_config_static_selectorELNS0_4arch9wavefront6targetE1EEEvS12_
	.p2align	8
	.type	_ZN7rocprim17ROCPRIM_400000_NS6detail17trampoline_kernelINS0_13select_configILj256ELj13ELNS0_17block_load_methodE3ELS4_3ELS4_3ELNS0_20block_scan_algorithmE0ELj4294967295EEENS1_25partition_config_selectorILNS1_17partition_subalgoE4EjNS0_10empty_typeEbEEZZNS1_14partition_implILS8_4ELb0ES6_15HIP_vector_typeIjLj2EENS0_17counting_iteratorIjlEEPS9_SG_NS0_5tupleIJPjSI_NS0_16reverse_iteratorISI_EEEEENSH_IJSG_SG_SG_EEES9_SI_JZNS1_25segmented_radix_sort_implINS0_14default_configELb0EPKbPbPKlPlN2at6native12_GLOBAL__N_18offset_tEEE10hipError_tPvRmT1_PNSt15iterator_traitsIS12_E10value_typeET2_T3_PNS13_IS18_E10value_typeET4_jRbjT5_S1E_jjP12ihipStream_tbEUljE_ZNSN_ISO_Lb0ESQ_SR_ST_SU_SY_EESZ_S10_S11_S12_S16_S17_S18_S1B_S1C_jS1D_jS1E_S1E_jjS1G_bEUljE0_EEESZ_S10_S11_S18_S1C_S1E_T6_T7_T9_mT8_S1G_bDpT10_ENKUlT_T0_E_clISt17integral_constantIbLb1EES1U_EEDaS1P_S1Q_EUlS1P_E_NS1_11comp_targetILNS1_3genE4ELNS1_11target_archE910ELNS1_3gpuE8ELNS1_3repE0EEENS1_30default_config_static_selectorELNS0_4arch9wavefront6targetE1EEEvS12_,@function
_ZN7rocprim17ROCPRIM_400000_NS6detail17trampoline_kernelINS0_13select_configILj256ELj13ELNS0_17block_load_methodE3ELS4_3ELS4_3ELNS0_20block_scan_algorithmE0ELj4294967295EEENS1_25partition_config_selectorILNS1_17partition_subalgoE4EjNS0_10empty_typeEbEEZZNS1_14partition_implILS8_4ELb0ES6_15HIP_vector_typeIjLj2EENS0_17counting_iteratorIjlEEPS9_SG_NS0_5tupleIJPjSI_NS0_16reverse_iteratorISI_EEEEENSH_IJSG_SG_SG_EEES9_SI_JZNS1_25segmented_radix_sort_implINS0_14default_configELb0EPKbPbPKlPlN2at6native12_GLOBAL__N_18offset_tEEE10hipError_tPvRmT1_PNSt15iterator_traitsIS12_E10value_typeET2_T3_PNS13_IS18_E10value_typeET4_jRbjT5_S1E_jjP12ihipStream_tbEUljE_ZNSN_ISO_Lb0ESQ_SR_ST_SU_SY_EESZ_S10_S11_S12_S16_S17_S18_S1B_S1C_jS1D_jS1E_S1E_jjS1G_bEUljE0_EEESZ_S10_S11_S18_S1C_S1E_T6_T7_T9_mT8_S1G_bDpT10_ENKUlT_T0_E_clISt17integral_constantIbLb1EES1U_EEDaS1P_S1Q_EUlS1P_E_NS1_11comp_targetILNS1_3genE4ELNS1_11target_archE910ELNS1_3gpuE8ELNS1_3repE0EEENS1_30default_config_static_selectorELNS0_4arch9wavefront6targetE1EEEvS12_: ; @_ZN7rocprim17ROCPRIM_400000_NS6detail17trampoline_kernelINS0_13select_configILj256ELj13ELNS0_17block_load_methodE3ELS4_3ELS4_3ELNS0_20block_scan_algorithmE0ELj4294967295EEENS1_25partition_config_selectorILNS1_17partition_subalgoE4EjNS0_10empty_typeEbEEZZNS1_14partition_implILS8_4ELb0ES6_15HIP_vector_typeIjLj2EENS0_17counting_iteratorIjlEEPS9_SG_NS0_5tupleIJPjSI_NS0_16reverse_iteratorISI_EEEEENSH_IJSG_SG_SG_EEES9_SI_JZNS1_25segmented_radix_sort_implINS0_14default_configELb0EPKbPbPKlPlN2at6native12_GLOBAL__N_18offset_tEEE10hipError_tPvRmT1_PNSt15iterator_traitsIS12_E10value_typeET2_T3_PNS13_IS18_E10value_typeET4_jRbjT5_S1E_jjP12ihipStream_tbEUljE_ZNSN_ISO_Lb0ESQ_SR_ST_SU_SY_EESZ_S10_S11_S12_S16_S17_S18_S1B_S1C_jS1D_jS1E_S1E_jjS1G_bEUljE0_EEESZ_S10_S11_S18_S1C_S1E_T6_T7_T9_mT8_S1G_bDpT10_ENKUlT_T0_E_clISt17integral_constantIbLb1EES1U_EEDaS1P_S1Q_EUlS1P_E_NS1_11comp_targetILNS1_3genE4ELNS1_11target_archE910ELNS1_3gpuE8ELNS1_3repE0EEENS1_30default_config_static_selectorELNS0_4arch9wavefront6targetE1EEEvS12_
; %bb.0:
	.section	.rodata,"a",@progbits
	.p2align	6, 0x0
	.amdhsa_kernel _ZN7rocprim17ROCPRIM_400000_NS6detail17trampoline_kernelINS0_13select_configILj256ELj13ELNS0_17block_load_methodE3ELS4_3ELS4_3ELNS0_20block_scan_algorithmE0ELj4294967295EEENS1_25partition_config_selectorILNS1_17partition_subalgoE4EjNS0_10empty_typeEbEEZZNS1_14partition_implILS8_4ELb0ES6_15HIP_vector_typeIjLj2EENS0_17counting_iteratorIjlEEPS9_SG_NS0_5tupleIJPjSI_NS0_16reverse_iteratorISI_EEEEENSH_IJSG_SG_SG_EEES9_SI_JZNS1_25segmented_radix_sort_implINS0_14default_configELb0EPKbPbPKlPlN2at6native12_GLOBAL__N_18offset_tEEE10hipError_tPvRmT1_PNSt15iterator_traitsIS12_E10value_typeET2_T3_PNS13_IS18_E10value_typeET4_jRbjT5_S1E_jjP12ihipStream_tbEUljE_ZNSN_ISO_Lb0ESQ_SR_ST_SU_SY_EESZ_S10_S11_S12_S16_S17_S18_S1B_S1C_jS1D_jS1E_S1E_jjS1G_bEUljE0_EEESZ_S10_S11_S18_S1C_S1E_T6_T7_T9_mT8_S1G_bDpT10_ENKUlT_T0_E_clISt17integral_constantIbLb1EES1U_EEDaS1P_S1Q_EUlS1P_E_NS1_11comp_targetILNS1_3genE4ELNS1_11target_archE910ELNS1_3gpuE8ELNS1_3repE0EEENS1_30default_config_static_selectorELNS0_4arch9wavefront6targetE1EEEvS12_
		.amdhsa_group_segment_fixed_size 0
		.amdhsa_private_segment_fixed_size 0
		.amdhsa_kernarg_size 184
		.amdhsa_user_sgpr_count 6
		.amdhsa_user_sgpr_private_segment_buffer 1
		.amdhsa_user_sgpr_dispatch_ptr 0
		.amdhsa_user_sgpr_queue_ptr 0
		.amdhsa_user_sgpr_kernarg_segment_ptr 1
		.amdhsa_user_sgpr_dispatch_id 0
		.amdhsa_user_sgpr_flat_scratch_init 0
		.amdhsa_user_sgpr_private_segment_size 0
		.amdhsa_uses_dynamic_stack 0
		.amdhsa_system_sgpr_private_segment_wavefront_offset 0
		.amdhsa_system_sgpr_workgroup_id_x 1
		.amdhsa_system_sgpr_workgroup_id_y 0
		.amdhsa_system_sgpr_workgroup_id_z 0
		.amdhsa_system_sgpr_workgroup_info 0
		.amdhsa_system_vgpr_workitem_id 0
		.amdhsa_next_free_vgpr 1
		.amdhsa_next_free_sgpr 0
		.amdhsa_reserve_vcc 0
		.amdhsa_reserve_flat_scratch 0
		.amdhsa_float_round_mode_32 0
		.amdhsa_float_round_mode_16_64 0
		.amdhsa_float_denorm_mode_32 3
		.amdhsa_float_denorm_mode_16_64 3
		.amdhsa_dx10_clamp 1
		.amdhsa_ieee_mode 1
		.amdhsa_fp16_overflow 0
		.amdhsa_exception_fp_ieee_invalid_op 0
		.amdhsa_exception_fp_denorm_src 0
		.amdhsa_exception_fp_ieee_div_zero 0
		.amdhsa_exception_fp_ieee_overflow 0
		.amdhsa_exception_fp_ieee_underflow 0
		.amdhsa_exception_fp_ieee_inexact 0
		.amdhsa_exception_int_div_zero 0
	.end_amdhsa_kernel
	.section	.text._ZN7rocprim17ROCPRIM_400000_NS6detail17trampoline_kernelINS0_13select_configILj256ELj13ELNS0_17block_load_methodE3ELS4_3ELS4_3ELNS0_20block_scan_algorithmE0ELj4294967295EEENS1_25partition_config_selectorILNS1_17partition_subalgoE4EjNS0_10empty_typeEbEEZZNS1_14partition_implILS8_4ELb0ES6_15HIP_vector_typeIjLj2EENS0_17counting_iteratorIjlEEPS9_SG_NS0_5tupleIJPjSI_NS0_16reverse_iteratorISI_EEEEENSH_IJSG_SG_SG_EEES9_SI_JZNS1_25segmented_radix_sort_implINS0_14default_configELb0EPKbPbPKlPlN2at6native12_GLOBAL__N_18offset_tEEE10hipError_tPvRmT1_PNSt15iterator_traitsIS12_E10value_typeET2_T3_PNS13_IS18_E10value_typeET4_jRbjT5_S1E_jjP12ihipStream_tbEUljE_ZNSN_ISO_Lb0ESQ_SR_ST_SU_SY_EESZ_S10_S11_S12_S16_S17_S18_S1B_S1C_jS1D_jS1E_S1E_jjS1G_bEUljE0_EEESZ_S10_S11_S18_S1C_S1E_T6_T7_T9_mT8_S1G_bDpT10_ENKUlT_T0_E_clISt17integral_constantIbLb1EES1U_EEDaS1P_S1Q_EUlS1P_E_NS1_11comp_targetILNS1_3genE4ELNS1_11target_archE910ELNS1_3gpuE8ELNS1_3repE0EEENS1_30default_config_static_selectorELNS0_4arch9wavefront6targetE1EEEvS12_,"axG",@progbits,_ZN7rocprim17ROCPRIM_400000_NS6detail17trampoline_kernelINS0_13select_configILj256ELj13ELNS0_17block_load_methodE3ELS4_3ELS4_3ELNS0_20block_scan_algorithmE0ELj4294967295EEENS1_25partition_config_selectorILNS1_17partition_subalgoE4EjNS0_10empty_typeEbEEZZNS1_14partition_implILS8_4ELb0ES6_15HIP_vector_typeIjLj2EENS0_17counting_iteratorIjlEEPS9_SG_NS0_5tupleIJPjSI_NS0_16reverse_iteratorISI_EEEEENSH_IJSG_SG_SG_EEES9_SI_JZNS1_25segmented_radix_sort_implINS0_14default_configELb0EPKbPbPKlPlN2at6native12_GLOBAL__N_18offset_tEEE10hipError_tPvRmT1_PNSt15iterator_traitsIS12_E10value_typeET2_T3_PNS13_IS18_E10value_typeET4_jRbjT5_S1E_jjP12ihipStream_tbEUljE_ZNSN_ISO_Lb0ESQ_SR_ST_SU_SY_EESZ_S10_S11_S12_S16_S17_S18_S1B_S1C_jS1D_jS1E_S1E_jjS1G_bEUljE0_EEESZ_S10_S11_S18_S1C_S1E_T6_T7_T9_mT8_S1G_bDpT10_ENKUlT_T0_E_clISt17integral_constantIbLb1EES1U_EEDaS1P_S1Q_EUlS1P_E_NS1_11comp_targetILNS1_3genE4ELNS1_11target_archE910ELNS1_3gpuE8ELNS1_3repE0EEENS1_30default_config_static_selectorELNS0_4arch9wavefront6targetE1EEEvS12_,comdat
.Lfunc_end1581:
	.size	_ZN7rocprim17ROCPRIM_400000_NS6detail17trampoline_kernelINS0_13select_configILj256ELj13ELNS0_17block_load_methodE3ELS4_3ELS4_3ELNS0_20block_scan_algorithmE0ELj4294967295EEENS1_25partition_config_selectorILNS1_17partition_subalgoE4EjNS0_10empty_typeEbEEZZNS1_14partition_implILS8_4ELb0ES6_15HIP_vector_typeIjLj2EENS0_17counting_iteratorIjlEEPS9_SG_NS0_5tupleIJPjSI_NS0_16reverse_iteratorISI_EEEEENSH_IJSG_SG_SG_EEES9_SI_JZNS1_25segmented_radix_sort_implINS0_14default_configELb0EPKbPbPKlPlN2at6native12_GLOBAL__N_18offset_tEEE10hipError_tPvRmT1_PNSt15iterator_traitsIS12_E10value_typeET2_T3_PNS13_IS18_E10value_typeET4_jRbjT5_S1E_jjP12ihipStream_tbEUljE_ZNSN_ISO_Lb0ESQ_SR_ST_SU_SY_EESZ_S10_S11_S12_S16_S17_S18_S1B_S1C_jS1D_jS1E_S1E_jjS1G_bEUljE0_EEESZ_S10_S11_S18_S1C_S1E_T6_T7_T9_mT8_S1G_bDpT10_ENKUlT_T0_E_clISt17integral_constantIbLb1EES1U_EEDaS1P_S1Q_EUlS1P_E_NS1_11comp_targetILNS1_3genE4ELNS1_11target_archE910ELNS1_3gpuE8ELNS1_3repE0EEENS1_30default_config_static_selectorELNS0_4arch9wavefront6targetE1EEEvS12_, .Lfunc_end1581-_ZN7rocprim17ROCPRIM_400000_NS6detail17trampoline_kernelINS0_13select_configILj256ELj13ELNS0_17block_load_methodE3ELS4_3ELS4_3ELNS0_20block_scan_algorithmE0ELj4294967295EEENS1_25partition_config_selectorILNS1_17partition_subalgoE4EjNS0_10empty_typeEbEEZZNS1_14partition_implILS8_4ELb0ES6_15HIP_vector_typeIjLj2EENS0_17counting_iteratorIjlEEPS9_SG_NS0_5tupleIJPjSI_NS0_16reverse_iteratorISI_EEEEENSH_IJSG_SG_SG_EEES9_SI_JZNS1_25segmented_radix_sort_implINS0_14default_configELb0EPKbPbPKlPlN2at6native12_GLOBAL__N_18offset_tEEE10hipError_tPvRmT1_PNSt15iterator_traitsIS12_E10value_typeET2_T3_PNS13_IS18_E10value_typeET4_jRbjT5_S1E_jjP12ihipStream_tbEUljE_ZNSN_ISO_Lb0ESQ_SR_ST_SU_SY_EESZ_S10_S11_S12_S16_S17_S18_S1B_S1C_jS1D_jS1E_S1E_jjS1G_bEUljE0_EEESZ_S10_S11_S18_S1C_S1E_T6_T7_T9_mT8_S1G_bDpT10_ENKUlT_T0_E_clISt17integral_constantIbLb1EES1U_EEDaS1P_S1Q_EUlS1P_E_NS1_11comp_targetILNS1_3genE4ELNS1_11target_archE910ELNS1_3gpuE8ELNS1_3repE0EEENS1_30default_config_static_selectorELNS0_4arch9wavefront6targetE1EEEvS12_
                                        ; -- End function
	.set _ZN7rocprim17ROCPRIM_400000_NS6detail17trampoline_kernelINS0_13select_configILj256ELj13ELNS0_17block_load_methodE3ELS4_3ELS4_3ELNS0_20block_scan_algorithmE0ELj4294967295EEENS1_25partition_config_selectorILNS1_17partition_subalgoE4EjNS0_10empty_typeEbEEZZNS1_14partition_implILS8_4ELb0ES6_15HIP_vector_typeIjLj2EENS0_17counting_iteratorIjlEEPS9_SG_NS0_5tupleIJPjSI_NS0_16reverse_iteratorISI_EEEEENSH_IJSG_SG_SG_EEES9_SI_JZNS1_25segmented_radix_sort_implINS0_14default_configELb0EPKbPbPKlPlN2at6native12_GLOBAL__N_18offset_tEEE10hipError_tPvRmT1_PNSt15iterator_traitsIS12_E10value_typeET2_T3_PNS13_IS18_E10value_typeET4_jRbjT5_S1E_jjP12ihipStream_tbEUljE_ZNSN_ISO_Lb0ESQ_SR_ST_SU_SY_EESZ_S10_S11_S12_S16_S17_S18_S1B_S1C_jS1D_jS1E_S1E_jjS1G_bEUljE0_EEESZ_S10_S11_S18_S1C_S1E_T6_T7_T9_mT8_S1G_bDpT10_ENKUlT_T0_E_clISt17integral_constantIbLb1EES1U_EEDaS1P_S1Q_EUlS1P_E_NS1_11comp_targetILNS1_3genE4ELNS1_11target_archE910ELNS1_3gpuE8ELNS1_3repE0EEENS1_30default_config_static_selectorELNS0_4arch9wavefront6targetE1EEEvS12_.num_vgpr, 0
	.set _ZN7rocprim17ROCPRIM_400000_NS6detail17trampoline_kernelINS0_13select_configILj256ELj13ELNS0_17block_load_methodE3ELS4_3ELS4_3ELNS0_20block_scan_algorithmE0ELj4294967295EEENS1_25partition_config_selectorILNS1_17partition_subalgoE4EjNS0_10empty_typeEbEEZZNS1_14partition_implILS8_4ELb0ES6_15HIP_vector_typeIjLj2EENS0_17counting_iteratorIjlEEPS9_SG_NS0_5tupleIJPjSI_NS0_16reverse_iteratorISI_EEEEENSH_IJSG_SG_SG_EEES9_SI_JZNS1_25segmented_radix_sort_implINS0_14default_configELb0EPKbPbPKlPlN2at6native12_GLOBAL__N_18offset_tEEE10hipError_tPvRmT1_PNSt15iterator_traitsIS12_E10value_typeET2_T3_PNS13_IS18_E10value_typeET4_jRbjT5_S1E_jjP12ihipStream_tbEUljE_ZNSN_ISO_Lb0ESQ_SR_ST_SU_SY_EESZ_S10_S11_S12_S16_S17_S18_S1B_S1C_jS1D_jS1E_S1E_jjS1G_bEUljE0_EEESZ_S10_S11_S18_S1C_S1E_T6_T7_T9_mT8_S1G_bDpT10_ENKUlT_T0_E_clISt17integral_constantIbLb1EES1U_EEDaS1P_S1Q_EUlS1P_E_NS1_11comp_targetILNS1_3genE4ELNS1_11target_archE910ELNS1_3gpuE8ELNS1_3repE0EEENS1_30default_config_static_selectorELNS0_4arch9wavefront6targetE1EEEvS12_.num_agpr, 0
	.set _ZN7rocprim17ROCPRIM_400000_NS6detail17trampoline_kernelINS0_13select_configILj256ELj13ELNS0_17block_load_methodE3ELS4_3ELS4_3ELNS0_20block_scan_algorithmE0ELj4294967295EEENS1_25partition_config_selectorILNS1_17partition_subalgoE4EjNS0_10empty_typeEbEEZZNS1_14partition_implILS8_4ELb0ES6_15HIP_vector_typeIjLj2EENS0_17counting_iteratorIjlEEPS9_SG_NS0_5tupleIJPjSI_NS0_16reverse_iteratorISI_EEEEENSH_IJSG_SG_SG_EEES9_SI_JZNS1_25segmented_radix_sort_implINS0_14default_configELb0EPKbPbPKlPlN2at6native12_GLOBAL__N_18offset_tEEE10hipError_tPvRmT1_PNSt15iterator_traitsIS12_E10value_typeET2_T3_PNS13_IS18_E10value_typeET4_jRbjT5_S1E_jjP12ihipStream_tbEUljE_ZNSN_ISO_Lb0ESQ_SR_ST_SU_SY_EESZ_S10_S11_S12_S16_S17_S18_S1B_S1C_jS1D_jS1E_S1E_jjS1G_bEUljE0_EEESZ_S10_S11_S18_S1C_S1E_T6_T7_T9_mT8_S1G_bDpT10_ENKUlT_T0_E_clISt17integral_constantIbLb1EES1U_EEDaS1P_S1Q_EUlS1P_E_NS1_11comp_targetILNS1_3genE4ELNS1_11target_archE910ELNS1_3gpuE8ELNS1_3repE0EEENS1_30default_config_static_selectorELNS0_4arch9wavefront6targetE1EEEvS12_.numbered_sgpr, 0
	.set _ZN7rocprim17ROCPRIM_400000_NS6detail17trampoline_kernelINS0_13select_configILj256ELj13ELNS0_17block_load_methodE3ELS4_3ELS4_3ELNS0_20block_scan_algorithmE0ELj4294967295EEENS1_25partition_config_selectorILNS1_17partition_subalgoE4EjNS0_10empty_typeEbEEZZNS1_14partition_implILS8_4ELb0ES6_15HIP_vector_typeIjLj2EENS0_17counting_iteratorIjlEEPS9_SG_NS0_5tupleIJPjSI_NS0_16reverse_iteratorISI_EEEEENSH_IJSG_SG_SG_EEES9_SI_JZNS1_25segmented_radix_sort_implINS0_14default_configELb0EPKbPbPKlPlN2at6native12_GLOBAL__N_18offset_tEEE10hipError_tPvRmT1_PNSt15iterator_traitsIS12_E10value_typeET2_T3_PNS13_IS18_E10value_typeET4_jRbjT5_S1E_jjP12ihipStream_tbEUljE_ZNSN_ISO_Lb0ESQ_SR_ST_SU_SY_EESZ_S10_S11_S12_S16_S17_S18_S1B_S1C_jS1D_jS1E_S1E_jjS1G_bEUljE0_EEESZ_S10_S11_S18_S1C_S1E_T6_T7_T9_mT8_S1G_bDpT10_ENKUlT_T0_E_clISt17integral_constantIbLb1EES1U_EEDaS1P_S1Q_EUlS1P_E_NS1_11comp_targetILNS1_3genE4ELNS1_11target_archE910ELNS1_3gpuE8ELNS1_3repE0EEENS1_30default_config_static_selectorELNS0_4arch9wavefront6targetE1EEEvS12_.num_named_barrier, 0
	.set _ZN7rocprim17ROCPRIM_400000_NS6detail17trampoline_kernelINS0_13select_configILj256ELj13ELNS0_17block_load_methodE3ELS4_3ELS4_3ELNS0_20block_scan_algorithmE0ELj4294967295EEENS1_25partition_config_selectorILNS1_17partition_subalgoE4EjNS0_10empty_typeEbEEZZNS1_14partition_implILS8_4ELb0ES6_15HIP_vector_typeIjLj2EENS0_17counting_iteratorIjlEEPS9_SG_NS0_5tupleIJPjSI_NS0_16reverse_iteratorISI_EEEEENSH_IJSG_SG_SG_EEES9_SI_JZNS1_25segmented_radix_sort_implINS0_14default_configELb0EPKbPbPKlPlN2at6native12_GLOBAL__N_18offset_tEEE10hipError_tPvRmT1_PNSt15iterator_traitsIS12_E10value_typeET2_T3_PNS13_IS18_E10value_typeET4_jRbjT5_S1E_jjP12ihipStream_tbEUljE_ZNSN_ISO_Lb0ESQ_SR_ST_SU_SY_EESZ_S10_S11_S12_S16_S17_S18_S1B_S1C_jS1D_jS1E_S1E_jjS1G_bEUljE0_EEESZ_S10_S11_S18_S1C_S1E_T6_T7_T9_mT8_S1G_bDpT10_ENKUlT_T0_E_clISt17integral_constantIbLb1EES1U_EEDaS1P_S1Q_EUlS1P_E_NS1_11comp_targetILNS1_3genE4ELNS1_11target_archE910ELNS1_3gpuE8ELNS1_3repE0EEENS1_30default_config_static_selectorELNS0_4arch9wavefront6targetE1EEEvS12_.private_seg_size, 0
	.set _ZN7rocprim17ROCPRIM_400000_NS6detail17trampoline_kernelINS0_13select_configILj256ELj13ELNS0_17block_load_methodE3ELS4_3ELS4_3ELNS0_20block_scan_algorithmE0ELj4294967295EEENS1_25partition_config_selectorILNS1_17partition_subalgoE4EjNS0_10empty_typeEbEEZZNS1_14partition_implILS8_4ELb0ES6_15HIP_vector_typeIjLj2EENS0_17counting_iteratorIjlEEPS9_SG_NS0_5tupleIJPjSI_NS0_16reverse_iteratorISI_EEEEENSH_IJSG_SG_SG_EEES9_SI_JZNS1_25segmented_radix_sort_implINS0_14default_configELb0EPKbPbPKlPlN2at6native12_GLOBAL__N_18offset_tEEE10hipError_tPvRmT1_PNSt15iterator_traitsIS12_E10value_typeET2_T3_PNS13_IS18_E10value_typeET4_jRbjT5_S1E_jjP12ihipStream_tbEUljE_ZNSN_ISO_Lb0ESQ_SR_ST_SU_SY_EESZ_S10_S11_S12_S16_S17_S18_S1B_S1C_jS1D_jS1E_S1E_jjS1G_bEUljE0_EEESZ_S10_S11_S18_S1C_S1E_T6_T7_T9_mT8_S1G_bDpT10_ENKUlT_T0_E_clISt17integral_constantIbLb1EES1U_EEDaS1P_S1Q_EUlS1P_E_NS1_11comp_targetILNS1_3genE4ELNS1_11target_archE910ELNS1_3gpuE8ELNS1_3repE0EEENS1_30default_config_static_selectorELNS0_4arch9wavefront6targetE1EEEvS12_.uses_vcc, 0
	.set _ZN7rocprim17ROCPRIM_400000_NS6detail17trampoline_kernelINS0_13select_configILj256ELj13ELNS0_17block_load_methodE3ELS4_3ELS4_3ELNS0_20block_scan_algorithmE0ELj4294967295EEENS1_25partition_config_selectorILNS1_17partition_subalgoE4EjNS0_10empty_typeEbEEZZNS1_14partition_implILS8_4ELb0ES6_15HIP_vector_typeIjLj2EENS0_17counting_iteratorIjlEEPS9_SG_NS0_5tupleIJPjSI_NS0_16reverse_iteratorISI_EEEEENSH_IJSG_SG_SG_EEES9_SI_JZNS1_25segmented_radix_sort_implINS0_14default_configELb0EPKbPbPKlPlN2at6native12_GLOBAL__N_18offset_tEEE10hipError_tPvRmT1_PNSt15iterator_traitsIS12_E10value_typeET2_T3_PNS13_IS18_E10value_typeET4_jRbjT5_S1E_jjP12ihipStream_tbEUljE_ZNSN_ISO_Lb0ESQ_SR_ST_SU_SY_EESZ_S10_S11_S12_S16_S17_S18_S1B_S1C_jS1D_jS1E_S1E_jjS1G_bEUljE0_EEESZ_S10_S11_S18_S1C_S1E_T6_T7_T9_mT8_S1G_bDpT10_ENKUlT_T0_E_clISt17integral_constantIbLb1EES1U_EEDaS1P_S1Q_EUlS1P_E_NS1_11comp_targetILNS1_3genE4ELNS1_11target_archE910ELNS1_3gpuE8ELNS1_3repE0EEENS1_30default_config_static_selectorELNS0_4arch9wavefront6targetE1EEEvS12_.uses_flat_scratch, 0
	.set _ZN7rocprim17ROCPRIM_400000_NS6detail17trampoline_kernelINS0_13select_configILj256ELj13ELNS0_17block_load_methodE3ELS4_3ELS4_3ELNS0_20block_scan_algorithmE0ELj4294967295EEENS1_25partition_config_selectorILNS1_17partition_subalgoE4EjNS0_10empty_typeEbEEZZNS1_14partition_implILS8_4ELb0ES6_15HIP_vector_typeIjLj2EENS0_17counting_iteratorIjlEEPS9_SG_NS0_5tupleIJPjSI_NS0_16reverse_iteratorISI_EEEEENSH_IJSG_SG_SG_EEES9_SI_JZNS1_25segmented_radix_sort_implINS0_14default_configELb0EPKbPbPKlPlN2at6native12_GLOBAL__N_18offset_tEEE10hipError_tPvRmT1_PNSt15iterator_traitsIS12_E10value_typeET2_T3_PNS13_IS18_E10value_typeET4_jRbjT5_S1E_jjP12ihipStream_tbEUljE_ZNSN_ISO_Lb0ESQ_SR_ST_SU_SY_EESZ_S10_S11_S12_S16_S17_S18_S1B_S1C_jS1D_jS1E_S1E_jjS1G_bEUljE0_EEESZ_S10_S11_S18_S1C_S1E_T6_T7_T9_mT8_S1G_bDpT10_ENKUlT_T0_E_clISt17integral_constantIbLb1EES1U_EEDaS1P_S1Q_EUlS1P_E_NS1_11comp_targetILNS1_3genE4ELNS1_11target_archE910ELNS1_3gpuE8ELNS1_3repE0EEENS1_30default_config_static_selectorELNS0_4arch9wavefront6targetE1EEEvS12_.has_dyn_sized_stack, 0
	.set _ZN7rocprim17ROCPRIM_400000_NS6detail17trampoline_kernelINS0_13select_configILj256ELj13ELNS0_17block_load_methodE3ELS4_3ELS4_3ELNS0_20block_scan_algorithmE0ELj4294967295EEENS1_25partition_config_selectorILNS1_17partition_subalgoE4EjNS0_10empty_typeEbEEZZNS1_14partition_implILS8_4ELb0ES6_15HIP_vector_typeIjLj2EENS0_17counting_iteratorIjlEEPS9_SG_NS0_5tupleIJPjSI_NS0_16reverse_iteratorISI_EEEEENSH_IJSG_SG_SG_EEES9_SI_JZNS1_25segmented_radix_sort_implINS0_14default_configELb0EPKbPbPKlPlN2at6native12_GLOBAL__N_18offset_tEEE10hipError_tPvRmT1_PNSt15iterator_traitsIS12_E10value_typeET2_T3_PNS13_IS18_E10value_typeET4_jRbjT5_S1E_jjP12ihipStream_tbEUljE_ZNSN_ISO_Lb0ESQ_SR_ST_SU_SY_EESZ_S10_S11_S12_S16_S17_S18_S1B_S1C_jS1D_jS1E_S1E_jjS1G_bEUljE0_EEESZ_S10_S11_S18_S1C_S1E_T6_T7_T9_mT8_S1G_bDpT10_ENKUlT_T0_E_clISt17integral_constantIbLb1EES1U_EEDaS1P_S1Q_EUlS1P_E_NS1_11comp_targetILNS1_3genE4ELNS1_11target_archE910ELNS1_3gpuE8ELNS1_3repE0EEENS1_30default_config_static_selectorELNS0_4arch9wavefront6targetE1EEEvS12_.has_recursion, 0
	.set _ZN7rocprim17ROCPRIM_400000_NS6detail17trampoline_kernelINS0_13select_configILj256ELj13ELNS0_17block_load_methodE3ELS4_3ELS4_3ELNS0_20block_scan_algorithmE0ELj4294967295EEENS1_25partition_config_selectorILNS1_17partition_subalgoE4EjNS0_10empty_typeEbEEZZNS1_14partition_implILS8_4ELb0ES6_15HIP_vector_typeIjLj2EENS0_17counting_iteratorIjlEEPS9_SG_NS0_5tupleIJPjSI_NS0_16reverse_iteratorISI_EEEEENSH_IJSG_SG_SG_EEES9_SI_JZNS1_25segmented_radix_sort_implINS0_14default_configELb0EPKbPbPKlPlN2at6native12_GLOBAL__N_18offset_tEEE10hipError_tPvRmT1_PNSt15iterator_traitsIS12_E10value_typeET2_T3_PNS13_IS18_E10value_typeET4_jRbjT5_S1E_jjP12ihipStream_tbEUljE_ZNSN_ISO_Lb0ESQ_SR_ST_SU_SY_EESZ_S10_S11_S12_S16_S17_S18_S1B_S1C_jS1D_jS1E_S1E_jjS1G_bEUljE0_EEESZ_S10_S11_S18_S1C_S1E_T6_T7_T9_mT8_S1G_bDpT10_ENKUlT_T0_E_clISt17integral_constantIbLb1EES1U_EEDaS1P_S1Q_EUlS1P_E_NS1_11comp_targetILNS1_3genE4ELNS1_11target_archE910ELNS1_3gpuE8ELNS1_3repE0EEENS1_30default_config_static_selectorELNS0_4arch9wavefront6targetE1EEEvS12_.has_indirect_call, 0
	.section	.AMDGPU.csdata,"",@progbits
; Kernel info:
; codeLenInByte = 0
; TotalNumSgprs: 4
; NumVgprs: 0
; ScratchSize: 0
; MemoryBound: 0
; FloatMode: 240
; IeeeMode: 1
; LDSByteSize: 0 bytes/workgroup (compile time only)
; SGPRBlocks: 0
; VGPRBlocks: 0
; NumSGPRsForWavesPerEU: 4
; NumVGPRsForWavesPerEU: 1
; Occupancy: 10
; WaveLimiterHint : 0
; COMPUTE_PGM_RSRC2:SCRATCH_EN: 0
; COMPUTE_PGM_RSRC2:USER_SGPR: 6
; COMPUTE_PGM_RSRC2:TRAP_HANDLER: 0
; COMPUTE_PGM_RSRC2:TGID_X_EN: 1
; COMPUTE_PGM_RSRC2:TGID_Y_EN: 0
; COMPUTE_PGM_RSRC2:TGID_Z_EN: 0
; COMPUTE_PGM_RSRC2:TIDIG_COMP_CNT: 0
	.section	.text._ZN7rocprim17ROCPRIM_400000_NS6detail17trampoline_kernelINS0_13select_configILj256ELj13ELNS0_17block_load_methodE3ELS4_3ELS4_3ELNS0_20block_scan_algorithmE0ELj4294967295EEENS1_25partition_config_selectorILNS1_17partition_subalgoE4EjNS0_10empty_typeEbEEZZNS1_14partition_implILS8_4ELb0ES6_15HIP_vector_typeIjLj2EENS0_17counting_iteratorIjlEEPS9_SG_NS0_5tupleIJPjSI_NS0_16reverse_iteratorISI_EEEEENSH_IJSG_SG_SG_EEES9_SI_JZNS1_25segmented_radix_sort_implINS0_14default_configELb0EPKbPbPKlPlN2at6native12_GLOBAL__N_18offset_tEEE10hipError_tPvRmT1_PNSt15iterator_traitsIS12_E10value_typeET2_T3_PNS13_IS18_E10value_typeET4_jRbjT5_S1E_jjP12ihipStream_tbEUljE_ZNSN_ISO_Lb0ESQ_SR_ST_SU_SY_EESZ_S10_S11_S12_S16_S17_S18_S1B_S1C_jS1D_jS1E_S1E_jjS1G_bEUljE0_EEESZ_S10_S11_S18_S1C_S1E_T6_T7_T9_mT8_S1G_bDpT10_ENKUlT_T0_E_clISt17integral_constantIbLb1EES1U_EEDaS1P_S1Q_EUlS1P_E_NS1_11comp_targetILNS1_3genE3ELNS1_11target_archE908ELNS1_3gpuE7ELNS1_3repE0EEENS1_30default_config_static_selectorELNS0_4arch9wavefront6targetE1EEEvS12_,"axG",@progbits,_ZN7rocprim17ROCPRIM_400000_NS6detail17trampoline_kernelINS0_13select_configILj256ELj13ELNS0_17block_load_methodE3ELS4_3ELS4_3ELNS0_20block_scan_algorithmE0ELj4294967295EEENS1_25partition_config_selectorILNS1_17partition_subalgoE4EjNS0_10empty_typeEbEEZZNS1_14partition_implILS8_4ELb0ES6_15HIP_vector_typeIjLj2EENS0_17counting_iteratorIjlEEPS9_SG_NS0_5tupleIJPjSI_NS0_16reverse_iteratorISI_EEEEENSH_IJSG_SG_SG_EEES9_SI_JZNS1_25segmented_radix_sort_implINS0_14default_configELb0EPKbPbPKlPlN2at6native12_GLOBAL__N_18offset_tEEE10hipError_tPvRmT1_PNSt15iterator_traitsIS12_E10value_typeET2_T3_PNS13_IS18_E10value_typeET4_jRbjT5_S1E_jjP12ihipStream_tbEUljE_ZNSN_ISO_Lb0ESQ_SR_ST_SU_SY_EESZ_S10_S11_S12_S16_S17_S18_S1B_S1C_jS1D_jS1E_S1E_jjS1G_bEUljE0_EEESZ_S10_S11_S18_S1C_S1E_T6_T7_T9_mT8_S1G_bDpT10_ENKUlT_T0_E_clISt17integral_constantIbLb1EES1U_EEDaS1P_S1Q_EUlS1P_E_NS1_11comp_targetILNS1_3genE3ELNS1_11target_archE908ELNS1_3gpuE7ELNS1_3repE0EEENS1_30default_config_static_selectorELNS0_4arch9wavefront6targetE1EEEvS12_,comdat
	.globl	_ZN7rocprim17ROCPRIM_400000_NS6detail17trampoline_kernelINS0_13select_configILj256ELj13ELNS0_17block_load_methodE3ELS4_3ELS4_3ELNS0_20block_scan_algorithmE0ELj4294967295EEENS1_25partition_config_selectorILNS1_17partition_subalgoE4EjNS0_10empty_typeEbEEZZNS1_14partition_implILS8_4ELb0ES6_15HIP_vector_typeIjLj2EENS0_17counting_iteratorIjlEEPS9_SG_NS0_5tupleIJPjSI_NS0_16reverse_iteratorISI_EEEEENSH_IJSG_SG_SG_EEES9_SI_JZNS1_25segmented_radix_sort_implINS0_14default_configELb0EPKbPbPKlPlN2at6native12_GLOBAL__N_18offset_tEEE10hipError_tPvRmT1_PNSt15iterator_traitsIS12_E10value_typeET2_T3_PNS13_IS18_E10value_typeET4_jRbjT5_S1E_jjP12ihipStream_tbEUljE_ZNSN_ISO_Lb0ESQ_SR_ST_SU_SY_EESZ_S10_S11_S12_S16_S17_S18_S1B_S1C_jS1D_jS1E_S1E_jjS1G_bEUljE0_EEESZ_S10_S11_S18_S1C_S1E_T6_T7_T9_mT8_S1G_bDpT10_ENKUlT_T0_E_clISt17integral_constantIbLb1EES1U_EEDaS1P_S1Q_EUlS1P_E_NS1_11comp_targetILNS1_3genE3ELNS1_11target_archE908ELNS1_3gpuE7ELNS1_3repE0EEENS1_30default_config_static_selectorELNS0_4arch9wavefront6targetE1EEEvS12_ ; -- Begin function _ZN7rocprim17ROCPRIM_400000_NS6detail17trampoline_kernelINS0_13select_configILj256ELj13ELNS0_17block_load_methodE3ELS4_3ELS4_3ELNS0_20block_scan_algorithmE0ELj4294967295EEENS1_25partition_config_selectorILNS1_17partition_subalgoE4EjNS0_10empty_typeEbEEZZNS1_14partition_implILS8_4ELb0ES6_15HIP_vector_typeIjLj2EENS0_17counting_iteratorIjlEEPS9_SG_NS0_5tupleIJPjSI_NS0_16reverse_iteratorISI_EEEEENSH_IJSG_SG_SG_EEES9_SI_JZNS1_25segmented_radix_sort_implINS0_14default_configELb0EPKbPbPKlPlN2at6native12_GLOBAL__N_18offset_tEEE10hipError_tPvRmT1_PNSt15iterator_traitsIS12_E10value_typeET2_T3_PNS13_IS18_E10value_typeET4_jRbjT5_S1E_jjP12ihipStream_tbEUljE_ZNSN_ISO_Lb0ESQ_SR_ST_SU_SY_EESZ_S10_S11_S12_S16_S17_S18_S1B_S1C_jS1D_jS1E_S1E_jjS1G_bEUljE0_EEESZ_S10_S11_S18_S1C_S1E_T6_T7_T9_mT8_S1G_bDpT10_ENKUlT_T0_E_clISt17integral_constantIbLb1EES1U_EEDaS1P_S1Q_EUlS1P_E_NS1_11comp_targetILNS1_3genE3ELNS1_11target_archE908ELNS1_3gpuE7ELNS1_3repE0EEENS1_30default_config_static_selectorELNS0_4arch9wavefront6targetE1EEEvS12_
	.p2align	8
	.type	_ZN7rocprim17ROCPRIM_400000_NS6detail17trampoline_kernelINS0_13select_configILj256ELj13ELNS0_17block_load_methodE3ELS4_3ELS4_3ELNS0_20block_scan_algorithmE0ELj4294967295EEENS1_25partition_config_selectorILNS1_17partition_subalgoE4EjNS0_10empty_typeEbEEZZNS1_14partition_implILS8_4ELb0ES6_15HIP_vector_typeIjLj2EENS0_17counting_iteratorIjlEEPS9_SG_NS0_5tupleIJPjSI_NS0_16reverse_iteratorISI_EEEEENSH_IJSG_SG_SG_EEES9_SI_JZNS1_25segmented_radix_sort_implINS0_14default_configELb0EPKbPbPKlPlN2at6native12_GLOBAL__N_18offset_tEEE10hipError_tPvRmT1_PNSt15iterator_traitsIS12_E10value_typeET2_T3_PNS13_IS18_E10value_typeET4_jRbjT5_S1E_jjP12ihipStream_tbEUljE_ZNSN_ISO_Lb0ESQ_SR_ST_SU_SY_EESZ_S10_S11_S12_S16_S17_S18_S1B_S1C_jS1D_jS1E_S1E_jjS1G_bEUljE0_EEESZ_S10_S11_S18_S1C_S1E_T6_T7_T9_mT8_S1G_bDpT10_ENKUlT_T0_E_clISt17integral_constantIbLb1EES1U_EEDaS1P_S1Q_EUlS1P_E_NS1_11comp_targetILNS1_3genE3ELNS1_11target_archE908ELNS1_3gpuE7ELNS1_3repE0EEENS1_30default_config_static_selectorELNS0_4arch9wavefront6targetE1EEEvS12_,@function
_ZN7rocprim17ROCPRIM_400000_NS6detail17trampoline_kernelINS0_13select_configILj256ELj13ELNS0_17block_load_methodE3ELS4_3ELS4_3ELNS0_20block_scan_algorithmE0ELj4294967295EEENS1_25partition_config_selectorILNS1_17partition_subalgoE4EjNS0_10empty_typeEbEEZZNS1_14partition_implILS8_4ELb0ES6_15HIP_vector_typeIjLj2EENS0_17counting_iteratorIjlEEPS9_SG_NS0_5tupleIJPjSI_NS0_16reverse_iteratorISI_EEEEENSH_IJSG_SG_SG_EEES9_SI_JZNS1_25segmented_radix_sort_implINS0_14default_configELb0EPKbPbPKlPlN2at6native12_GLOBAL__N_18offset_tEEE10hipError_tPvRmT1_PNSt15iterator_traitsIS12_E10value_typeET2_T3_PNS13_IS18_E10value_typeET4_jRbjT5_S1E_jjP12ihipStream_tbEUljE_ZNSN_ISO_Lb0ESQ_SR_ST_SU_SY_EESZ_S10_S11_S12_S16_S17_S18_S1B_S1C_jS1D_jS1E_S1E_jjS1G_bEUljE0_EEESZ_S10_S11_S18_S1C_S1E_T6_T7_T9_mT8_S1G_bDpT10_ENKUlT_T0_E_clISt17integral_constantIbLb1EES1U_EEDaS1P_S1Q_EUlS1P_E_NS1_11comp_targetILNS1_3genE3ELNS1_11target_archE908ELNS1_3gpuE7ELNS1_3repE0EEENS1_30default_config_static_selectorELNS0_4arch9wavefront6targetE1EEEvS12_: ; @_ZN7rocprim17ROCPRIM_400000_NS6detail17trampoline_kernelINS0_13select_configILj256ELj13ELNS0_17block_load_methodE3ELS4_3ELS4_3ELNS0_20block_scan_algorithmE0ELj4294967295EEENS1_25partition_config_selectorILNS1_17partition_subalgoE4EjNS0_10empty_typeEbEEZZNS1_14partition_implILS8_4ELb0ES6_15HIP_vector_typeIjLj2EENS0_17counting_iteratorIjlEEPS9_SG_NS0_5tupleIJPjSI_NS0_16reverse_iteratorISI_EEEEENSH_IJSG_SG_SG_EEES9_SI_JZNS1_25segmented_radix_sort_implINS0_14default_configELb0EPKbPbPKlPlN2at6native12_GLOBAL__N_18offset_tEEE10hipError_tPvRmT1_PNSt15iterator_traitsIS12_E10value_typeET2_T3_PNS13_IS18_E10value_typeET4_jRbjT5_S1E_jjP12ihipStream_tbEUljE_ZNSN_ISO_Lb0ESQ_SR_ST_SU_SY_EESZ_S10_S11_S12_S16_S17_S18_S1B_S1C_jS1D_jS1E_S1E_jjS1G_bEUljE0_EEESZ_S10_S11_S18_S1C_S1E_T6_T7_T9_mT8_S1G_bDpT10_ENKUlT_T0_E_clISt17integral_constantIbLb1EES1U_EEDaS1P_S1Q_EUlS1P_E_NS1_11comp_targetILNS1_3genE3ELNS1_11target_archE908ELNS1_3gpuE7ELNS1_3repE0EEENS1_30default_config_static_selectorELNS0_4arch9wavefront6targetE1EEEvS12_
; %bb.0:
	.section	.rodata,"a",@progbits
	.p2align	6, 0x0
	.amdhsa_kernel _ZN7rocprim17ROCPRIM_400000_NS6detail17trampoline_kernelINS0_13select_configILj256ELj13ELNS0_17block_load_methodE3ELS4_3ELS4_3ELNS0_20block_scan_algorithmE0ELj4294967295EEENS1_25partition_config_selectorILNS1_17partition_subalgoE4EjNS0_10empty_typeEbEEZZNS1_14partition_implILS8_4ELb0ES6_15HIP_vector_typeIjLj2EENS0_17counting_iteratorIjlEEPS9_SG_NS0_5tupleIJPjSI_NS0_16reverse_iteratorISI_EEEEENSH_IJSG_SG_SG_EEES9_SI_JZNS1_25segmented_radix_sort_implINS0_14default_configELb0EPKbPbPKlPlN2at6native12_GLOBAL__N_18offset_tEEE10hipError_tPvRmT1_PNSt15iterator_traitsIS12_E10value_typeET2_T3_PNS13_IS18_E10value_typeET4_jRbjT5_S1E_jjP12ihipStream_tbEUljE_ZNSN_ISO_Lb0ESQ_SR_ST_SU_SY_EESZ_S10_S11_S12_S16_S17_S18_S1B_S1C_jS1D_jS1E_S1E_jjS1G_bEUljE0_EEESZ_S10_S11_S18_S1C_S1E_T6_T7_T9_mT8_S1G_bDpT10_ENKUlT_T0_E_clISt17integral_constantIbLb1EES1U_EEDaS1P_S1Q_EUlS1P_E_NS1_11comp_targetILNS1_3genE3ELNS1_11target_archE908ELNS1_3gpuE7ELNS1_3repE0EEENS1_30default_config_static_selectorELNS0_4arch9wavefront6targetE1EEEvS12_
		.amdhsa_group_segment_fixed_size 0
		.amdhsa_private_segment_fixed_size 0
		.amdhsa_kernarg_size 184
		.amdhsa_user_sgpr_count 6
		.amdhsa_user_sgpr_private_segment_buffer 1
		.amdhsa_user_sgpr_dispatch_ptr 0
		.amdhsa_user_sgpr_queue_ptr 0
		.amdhsa_user_sgpr_kernarg_segment_ptr 1
		.amdhsa_user_sgpr_dispatch_id 0
		.amdhsa_user_sgpr_flat_scratch_init 0
		.amdhsa_user_sgpr_private_segment_size 0
		.amdhsa_uses_dynamic_stack 0
		.amdhsa_system_sgpr_private_segment_wavefront_offset 0
		.amdhsa_system_sgpr_workgroup_id_x 1
		.amdhsa_system_sgpr_workgroup_id_y 0
		.amdhsa_system_sgpr_workgroup_id_z 0
		.amdhsa_system_sgpr_workgroup_info 0
		.amdhsa_system_vgpr_workitem_id 0
		.amdhsa_next_free_vgpr 1
		.amdhsa_next_free_sgpr 0
		.amdhsa_reserve_vcc 0
		.amdhsa_reserve_flat_scratch 0
		.amdhsa_float_round_mode_32 0
		.amdhsa_float_round_mode_16_64 0
		.amdhsa_float_denorm_mode_32 3
		.amdhsa_float_denorm_mode_16_64 3
		.amdhsa_dx10_clamp 1
		.amdhsa_ieee_mode 1
		.amdhsa_fp16_overflow 0
		.amdhsa_exception_fp_ieee_invalid_op 0
		.amdhsa_exception_fp_denorm_src 0
		.amdhsa_exception_fp_ieee_div_zero 0
		.amdhsa_exception_fp_ieee_overflow 0
		.amdhsa_exception_fp_ieee_underflow 0
		.amdhsa_exception_fp_ieee_inexact 0
		.amdhsa_exception_int_div_zero 0
	.end_amdhsa_kernel
	.section	.text._ZN7rocprim17ROCPRIM_400000_NS6detail17trampoline_kernelINS0_13select_configILj256ELj13ELNS0_17block_load_methodE3ELS4_3ELS4_3ELNS0_20block_scan_algorithmE0ELj4294967295EEENS1_25partition_config_selectorILNS1_17partition_subalgoE4EjNS0_10empty_typeEbEEZZNS1_14partition_implILS8_4ELb0ES6_15HIP_vector_typeIjLj2EENS0_17counting_iteratorIjlEEPS9_SG_NS0_5tupleIJPjSI_NS0_16reverse_iteratorISI_EEEEENSH_IJSG_SG_SG_EEES9_SI_JZNS1_25segmented_radix_sort_implINS0_14default_configELb0EPKbPbPKlPlN2at6native12_GLOBAL__N_18offset_tEEE10hipError_tPvRmT1_PNSt15iterator_traitsIS12_E10value_typeET2_T3_PNS13_IS18_E10value_typeET4_jRbjT5_S1E_jjP12ihipStream_tbEUljE_ZNSN_ISO_Lb0ESQ_SR_ST_SU_SY_EESZ_S10_S11_S12_S16_S17_S18_S1B_S1C_jS1D_jS1E_S1E_jjS1G_bEUljE0_EEESZ_S10_S11_S18_S1C_S1E_T6_T7_T9_mT8_S1G_bDpT10_ENKUlT_T0_E_clISt17integral_constantIbLb1EES1U_EEDaS1P_S1Q_EUlS1P_E_NS1_11comp_targetILNS1_3genE3ELNS1_11target_archE908ELNS1_3gpuE7ELNS1_3repE0EEENS1_30default_config_static_selectorELNS0_4arch9wavefront6targetE1EEEvS12_,"axG",@progbits,_ZN7rocprim17ROCPRIM_400000_NS6detail17trampoline_kernelINS0_13select_configILj256ELj13ELNS0_17block_load_methodE3ELS4_3ELS4_3ELNS0_20block_scan_algorithmE0ELj4294967295EEENS1_25partition_config_selectorILNS1_17partition_subalgoE4EjNS0_10empty_typeEbEEZZNS1_14partition_implILS8_4ELb0ES6_15HIP_vector_typeIjLj2EENS0_17counting_iteratorIjlEEPS9_SG_NS0_5tupleIJPjSI_NS0_16reverse_iteratorISI_EEEEENSH_IJSG_SG_SG_EEES9_SI_JZNS1_25segmented_radix_sort_implINS0_14default_configELb0EPKbPbPKlPlN2at6native12_GLOBAL__N_18offset_tEEE10hipError_tPvRmT1_PNSt15iterator_traitsIS12_E10value_typeET2_T3_PNS13_IS18_E10value_typeET4_jRbjT5_S1E_jjP12ihipStream_tbEUljE_ZNSN_ISO_Lb0ESQ_SR_ST_SU_SY_EESZ_S10_S11_S12_S16_S17_S18_S1B_S1C_jS1D_jS1E_S1E_jjS1G_bEUljE0_EEESZ_S10_S11_S18_S1C_S1E_T6_T7_T9_mT8_S1G_bDpT10_ENKUlT_T0_E_clISt17integral_constantIbLb1EES1U_EEDaS1P_S1Q_EUlS1P_E_NS1_11comp_targetILNS1_3genE3ELNS1_11target_archE908ELNS1_3gpuE7ELNS1_3repE0EEENS1_30default_config_static_selectorELNS0_4arch9wavefront6targetE1EEEvS12_,comdat
.Lfunc_end1582:
	.size	_ZN7rocprim17ROCPRIM_400000_NS6detail17trampoline_kernelINS0_13select_configILj256ELj13ELNS0_17block_load_methodE3ELS4_3ELS4_3ELNS0_20block_scan_algorithmE0ELj4294967295EEENS1_25partition_config_selectorILNS1_17partition_subalgoE4EjNS0_10empty_typeEbEEZZNS1_14partition_implILS8_4ELb0ES6_15HIP_vector_typeIjLj2EENS0_17counting_iteratorIjlEEPS9_SG_NS0_5tupleIJPjSI_NS0_16reverse_iteratorISI_EEEEENSH_IJSG_SG_SG_EEES9_SI_JZNS1_25segmented_radix_sort_implINS0_14default_configELb0EPKbPbPKlPlN2at6native12_GLOBAL__N_18offset_tEEE10hipError_tPvRmT1_PNSt15iterator_traitsIS12_E10value_typeET2_T3_PNS13_IS18_E10value_typeET4_jRbjT5_S1E_jjP12ihipStream_tbEUljE_ZNSN_ISO_Lb0ESQ_SR_ST_SU_SY_EESZ_S10_S11_S12_S16_S17_S18_S1B_S1C_jS1D_jS1E_S1E_jjS1G_bEUljE0_EEESZ_S10_S11_S18_S1C_S1E_T6_T7_T9_mT8_S1G_bDpT10_ENKUlT_T0_E_clISt17integral_constantIbLb1EES1U_EEDaS1P_S1Q_EUlS1P_E_NS1_11comp_targetILNS1_3genE3ELNS1_11target_archE908ELNS1_3gpuE7ELNS1_3repE0EEENS1_30default_config_static_selectorELNS0_4arch9wavefront6targetE1EEEvS12_, .Lfunc_end1582-_ZN7rocprim17ROCPRIM_400000_NS6detail17trampoline_kernelINS0_13select_configILj256ELj13ELNS0_17block_load_methodE3ELS4_3ELS4_3ELNS0_20block_scan_algorithmE0ELj4294967295EEENS1_25partition_config_selectorILNS1_17partition_subalgoE4EjNS0_10empty_typeEbEEZZNS1_14partition_implILS8_4ELb0ES6_15HIP_vector_typeIjLj2EENS0_17counting_iteratorIjlEEPS9_SG_NS0_5tupleIJPjSI_NS0_16reverse_iteratorISI_EEEEENSH_IJSG_SG_SG_EEES9_SI_JZNS1_25segmented_radix_sort_implINS0_14default_configELb0EPKbPbPKlPlN2at6native12_GLOBAL__N_18offset_tEEE10hipError_tPvRmT1_PNSt15iterator_traitsIS12_E10value_typeET2_T3_PNS13_IS18_E10value_typeET4_jRbjT5_S1E_jjP12ihipStream_tbEUljE_ZNSN_ISO_Lb0ESQ_SR_ST_SU_SY_EESZ_S10_S11_S12_S16_S17_S18_S1B_S1C_jS1D_jS1E_S1E_jjS1G_bEUljE0_EEESZ_S10_S11_S18_S1C_S1E_T6_T7_T9_mT8_S1G_bDpT10_ENKUlT_T0_E_clISt17integral_constantIbLb1EES1U_EEDaS1P_S1Q_EUlS1P_E_NS1_11comp_targetILNS1_3genE3ELNS1_11target_archE908ELNS1_3gpuE7ELNS1_3repE0EEENS1_30default_config_static_selectorELNS0_4arch9wavefront6targetE1EEEvS12_
                                        ; -- End function
	.set _ZN7rocprim17ROCPRIM_400000_NS6detail17trampoline_kernelINS0_13select_configILj256ELj13ELNS0_17block_load_methodE3ELS4_3ELS4_3ELNS0_20block_scan_algorithmE0ELj4294967295EEENS1_25partition_config_selectorILNS1_17partition_subalgoE4EjNS0_10empty_typeEbEEZZNS1_14partition_implILS8_4ELb0ES6_15HIP_vector_typeIjLj2EENS0_17counting_iteratorIjlEEPS9_SG_NS0_5tupleIJPjSI_NS0_16reverse_iteratorISI_EEEEENSH_IJSG_SG_SG_EEES9_SI_JZNS1_25segmented_radix_sort_implINS0_14default_configELb0EPKbPbPKlPlN2at6native12_GLOBAL__N_18offset_tEEE10hipError_tPvRmT1_PNSt15iterator_traitsIS12_E10value_typeET2_T3_PNS13_IS18_E10value_typeET4_jRbjT5_S1E_jjP12ihipStream_tbEUljE_ZNSN_ISO_Lb0ESQ_SR_ST_SU_SY_EESZ_S10_S11_S12_S16_S17_S18_S1B_S1C_jS1D_jS1E_S1E_jjS1G_bEUljE0_EEESZ_S10_S11_S18_S1C_S1E_T6_T7_T9_mT8_S1G_bDpT10_ENKUlT_T0_E_clISt17integral_constantIbLb1EES1U_EEDaS1P_S1Q_EUlS1P_E_NS1_11comp_targetILNS1_3genE3ELNS1_11target_archE908ELNS1_3gpuE7ELNS1_3repE0EEENS1_30default_config_static_selectorELNS0_4arch9wavefront6targetE1EEEvS12_.num_vgpr, 0
	.set _ZN7rocprim17ROCPRIM_400000_NS6detail17trampoline_kernelINS0_13select_configILj256ELj13ELNS0_17block_load_methodE3ELS4_3ELS4_3ELNS0_20block_scan_algorithmE0ELj4294967295EEENS1_25partition_config_selectorILNS1_17partition_subalgoE4EjNS0_10empty_typeEbEEZZNS1_14partition_implILS8_4ELb0ES6_15HIP_vector_typeIjLj2EENS0_17counting_iteratorIjlEEPS9_SG_NS0_5tupleIJPjSI_NS0_16reverse_iteratorISI_EEEEENSH_IJSG_SG_SG_EEES9_SI_JZNS1_25segmented_radix_sort_implINS0_14default_configELb0EPKbPbPKlPlN2at6native12_GLOBAL__N_18offset_tEEE10hipError_tPvRmT1_PNSt15iterator_traitsIS12_E10value_typeET2_T3_PNS13_IS18_E10value_typeET4_jRbjT5_S1E_jjP12ihipStream_tbEUljE_ZNSN_ISO_Lb0ESQ_SR_ST_SU_SY_EESZ_S10_S11_S12_S16_S17_S18_S1B_S1C_jS1D_jS1E_S1E_jjS1G_bEUljE0_EEESZ_S10_S11_S18_S1C_S1E_T6_T7_T9_mT8_S1G_bDpT10_ENKUlT_T0_E_clISt17integral_constantIbLb1EES1U_EEDaS1P_S1Q_EUlS1P_E_NS1_11comp_targetILNS1_3genE3ELNS1_11target_archE908ELNS1_3gpuE7ELNS1_3repE0EEENS1_30default_config_static_selectorELNS0_4arch9wavefront6targetE1EEEvS12_.num_agpr, 0
	.set _ZN7rocprim17ROCPRIM_400000_NS6detail17trampoline_kernelINS0_13select_configILj256ELj13ELNS0_17block_load_methodE3ELS4_3ELS4_3ELNS0_20block_scan_algorithmE0ELj4294967295EEENS1_25partition_config_selectorILNS1_17partition_subalgoE4EjNS0_10empty_typeEbEEZZNS1_14partition_implILS8_4ELb0ES6_15HIP_vector_typeIjLj2EENS0_17counting_iteratorIjlEEPS9_SG_NS0_5tupleIJPjSI_NS0_16reverse_iteratorISI_EEEEENSH_IJSG_SG_SG_EEES9_SI_JZNS1_25segmented_radix_sort_implINS0_14default_configELb0EPKbPbPKlPlN2at6native12_GLOBAL__N_18offset_tEEE10hipError_tPvRmT1_PNSt15iterator_traitsIS12_E10value_typeET2_T3_PNS13_IS18_E10value_typeET4_jRbjT5_S1E_jjP12ihipStream_tbEUljE_ZNSN_ISO_Lb0ESQ_SR_ST_SU_SY_EESZ_S10_S11_S12_S16_S17_S18_S1B_S1C_jS1D_jS1E_S1E_jjS1G_bEUljE0_EEESZ_S10_S11_S18_S1C_S1E_T6_T7_T9_mT8_S1G_bDpT10_ENKUlT_T0_E_clISt17integral_constantIbLb1EES1U_EEDaS1P_S1Q_EUlS1P_E_NS1_11comp_targetILNS1_3genE3ELNS1_11target_archE908ELNS1_3gpuE7ELNS1_3repE0EEENS1_30default_config_static_selectorELNS0_4arch9wavefront6targetE1EEEvS12_.numbered_sgpr, 0
	.set _ZN7rocprim17ROCPRIM_400000_NS6detail17trampoline_kernelINS0_13select_configILj256ELj13ELNS0_17block_load_methodE3ELS4_3ELS4_3ELNS0_20block_scan_algorithmE0ELj4294967295EEENS1_25partition_config_selectorILNS1_17partition_subalgoE4EjNS0_10empty_typeEbEEZZNS1_14partition_implILS8_4ELb0ES6_15HIP_vector_typeIjLj2EENS0_17counting_iteratorIjlEEPS9_SG_NS0_5tupleIJPjSI_NS0_16reverse_iteratorISI_EEEEENSH_IJSG_SG_SG_EEES9_SI_JZNS1_25segmented_radix_sort_implINS0_14default_configELb0EPKbPbPKlPlN2at6native12_GLOBAL__N_18offset_tEEE10hipError_tPvRmT1_PNSt15iterator_traitsIS12_E10value_typeET2_T3_PNS13_IS18_E10value_typeET4_jRbjT5_S1E_jjP12ihipStream_tbEUljE_ZNSN_ISO_Lb0ESQ_SR_ST_SU_SY_EESZ_S10_S11_S12_S16_S17_S18_S1B_S1C_jS1D_jS1E_S1E_jjS1G_bEUljE0_EEESZ_S10_S11_S18_S1C_S1E_T6_T7_T9_mT8_S1G_bDpT10_ENKUlT_T0_E_clISt17integral_constantIbLb1EES1U_EEDaS1P_S1Q_EUlS1P_E_NS1_11comp_targetILNS1_3genE3ELNS1_11target_archE908ELNS1_3gpuE7ELNS1_3repE0EEENS1_30default_config_static_selectorELNS0_4arch9wavefront6targetE1EEEvS12_.num_named_barrier, 0
	.set _ZN7rocprim17ROCPRIM_400000_NS6detail17trampoline_kernelINS0_13select_configILj256ELj13ELNS0_17block_load_methodE3ELS4_3ELS4_3ELNS0_20block_scan_algorithmE0ELj4294967295EEENS1_25partition_config_selectorILNS1_17partition_subalgoE4EjNS0_10empty_typeEbEEZZNS1_14partition_implILS8_4ELb0ES6_15HIP_vector_typeIjLj2EENS0_17counting_iteratorIjlEEPS9_SG_NS0_5tupleIJPjSI_NS0_16reverse_iteratorISI_EEEEENSH_IJSG_SG_SG_EEES9_SI_JZNS1_25segmented_radix_sort_implINS0_14default_configELb0EPKbPbPKlPlN2at6native12_GLOBAL__N_18offset_tEEE10hipError_tPvRmT1_PNSt15iterator_traitsIS12_E10value_typeET2_T3_PNS13_IS18_E10value_typeET4_jRbjT5_S1E_jjP12ihipStream_tbEUljE_ZNSN_ISO_Lb0ESQ_SR_ST_SU_SY_EESZ_S10_S11_S12_S16_S17_S18_S1B_S1C_jS1D_jS1E_S1E_jjS1G_bEUljE0_EEESZ_S10_S11_S18_S1C_S1E_T6_T7_T9_mT8_S1G_bDpT10_ENKUlT_T0_E_clISt17integral_constantIbLb1EES1U_EEDaS1P_S1Q_EUlS1P_E_NS1_11comp_targetILNS1_3genE3ELNS1_11target_archE908ELNS1_3gpuE7ELNS1_3repE0EEENS1_30default_config_static_selectorELNS0_4arch9wavefront6targetE1EEEvS12_.private_seg_size, 0
	.set _ZN7rocprim17ROCPRIM_400000_NS6detail17trampoline_kernelINS0_13select_configILj256ELj13ELNS0_17block_load_methodE3ELS4_3ELS4_3ELNS0_20block_scan_algorithmE0ELj4294967295EEENS1_25partition_config_selectorILNS1_17partition_subalgoE4EjNS0_10empty_typeEbEEZZNS1_14partition_implILS8_4ELb0ES6_15HIP_vector_typeIjLj2EENS0_17counting_iteratorIjlEEPS9_SG_NS0_5tupleIJPjSI_NS0_16reverse_iteratorISI_EEEEENSH_IJSG_SG_SG_EEES9_SI_JZNS1_25segmented_radix_sort_implINS0_14default_configELb0EPKbPbPKlPlN2at6native12_GLOBAL__N_18offset_tEEE10hipError_tPvRmT1_PNSt15iterator_traitsIS12_E10value_typeET2_T3_PNS13_IS18_E10value_typeET4_jRbjT5_S1E_jjP12ihipStream_tbEUljE_ZNSN_ISO_Lb0ESQ_SR_ST_SU_SY_EESZ_S10_S11_S12_S16_S17_S18_S1B_S1C_jS1D_jS1E_S1E_jjS1G_bEUljE0_EEESZ_S10_S11_S18_S1C_S1E_T6_T7_T9_mT8_S1G_bDpT10_ENKUlT_T0_E_clISt17integral_constantIbLb1EES1U_EEDaS1P_S1Q_EUlS1P_E_NS1_11comp_targetILNS1_3genE3ELNS1_11target_archE908ELNS1_3gpuE7ELNS1_3repE0EEENS1_30default_config_static_selectorELNS0_4arch9wavefront6targetE1EEEvS12_.uses_vcc, 0
	.set _ZN7rocprim17ROCPRIM_400000_NS6detail17trampoline_kernelINS0_13select_configILj256ELj13ELNS0_17block_load_methodE3ELS4_3ELS4_3ELNS0_20block_scan_algorithmE0ELj4294967295EEENS1_25partition_config_selectorILNS1_17partition_subalgoE4EjNS0_10empty_typeEbEEZZNS1_14partition_implILS8_4ELb0ES6_15HIP_vector_typeIjLj2EENS0_17counting_iteratorIjlEEPS9_SG_NS0_5tupleIJPjSI_NS0_16reverse_iteratorISI_EEEEENSH_IJSG_SG_SG_EEES9_SI_JZNS1_25segmented_radix_sort_implINS0_14default_configELb0EPKbPbPKlPlN2at6native12_GLOBAL__N_18offset_tEEE10hipError_tPvRmT1_PNSt15iterator_traitsIS12_E10value_typeET2_T3_PNS13_IS18_E10value_typeET4_jRbjT5_S1E_jjP12ihipStream_tbEUljE_ZNSN_ISO_Lb0ESQ_SR_ST_SU_SY_EESZ_S10_S11_S12_S16_S17_S18_S1B_S1C_jS1D_jS1E_S1E_jjS1G_bEUljE0_EEESZ_S10_S11_S18_S1C_S1E_T6_T7_T9_mT8_S1G_bDpT10_ENKUlT_T0_E_clISt17integral_constantIbLb1EES1U_EEDaS1P_S1Q_EUlS1P_E_NS1_11comp_targetILNS1_3genE3ELNS1_11target_archE908ELNS1_3gpuE7ELNS1_3repE0EEENS1_30default_config_static_selectorELNS0_4arch9wavefront6targetE1EEEvS12_.uses_flat_scratch, 0
	.set _ZN7rocprim17ROCPRIM_400000_NS6detail17trampoline_kernelINS0_13select_configILj256ELj13ELNS0_17block_load_methodE3ELS4_3ELS4_3ELNS0_20block_scan_algorithmE0ELj4294967295EEENS1_25partition_config_selectorILNS1_17partition_subalgoE4EjNS0_10empty_typeEbEEZZNS1_14partition_implILS8_4ELb0ES6_15HIP_vector_typeIjLj2EENS0_17counting_iteratorIjlEEPS9_SG_NS0_5tupleIJPjSI_NS0_16reverse_iteratorISI_EEEEENSH_IJSG_SG_SG_EEES9_SI_JZNS1_25segmented_radix_sort_implINS0_14default_configELb0EPKbPbPKlPlN2at6native12_GLOBAL__N_18offset_tEEE10hipError_tPvRmT1_PNSt15iterator_traitsIS12_E10value_typeET2_T3_PNS13_IS18_E10value_typeET4_jRbjT5_S1E_jjP12ihipStream_tbEUljE_ZNSN_ISO_Lb0ESQ_SR_ST_SU_SY_EESZ_S10_S11_S12_S16_S17_S18_S1B_S1C_jS1D_jS1E_S1E_jjS1G_bEUljE0_EEESZ_S10_S11_S18_S1C_S1E_T6_T7_T9_mT8_S1G_bDpT10_ENKUlT_T0_E_clISt17integral_constantIbLb1EES1U_EEDaS1P_S1Q_EUlS1P_E_NS1_11comp_targetILNS1_3genE3ELNS1_11target_archE908ELNS1_3gpuE7ELNS1_3repE0EEENS1_30default_config_static_selectorELNS0_4arch9wavefront6targetE1EEEvS12_.has_dyn_sized_stack, 0
	.set _ZN7rocprim17ROCPRIM_400000_NS6detail17trampoline_kernelINS0_13select_configILj256ELj13ELNS0_17block_load_methodE3ELS4_3ELS4_3ELNS0_20block_scan_algorithmE0ELj4294967295EEENS1_25partition_config_selectorILNS1_17partition_subalgoE4EjNS0_10empty_typeEbEEZZNS1_14partition_implILS8_4ELb0ES6_15HIP_vector_typeIjLj2EENS0_17counting_iteratorIjlEEPS9_SG_NS0_5tupleIJPjSI_NS0_16reverse_iteratorISI_EEEEENSH_IJSG_SG_SG_EEES9_SI_JZNS1_25segmented_radix_sort_implINS0_14default_configELb0EPKbPbPKlPlN2at6native12_GLOBAL__N_18offset_tEEE10hipError_tPvRmT1_PNSt15iterator_traitsIS12_E10value_typeET2_T3_PNS13_IS18_E10value_typeET4_jRbjT5_S1E_jjP12ihipStream_tbEUljE_ZNSN_ISO_Lb0ESQ_SR_ST_SU_SY_EESZ_S10_S11_S12_S16_S17_S18_S1B_S1C_jS1D_jS1E_S1E_jjS1G_bEUljE0_EEESZ_S10_S11_S18_S1C_S1E_T6_T7_T9_mT8_S1G_bDpT10_ENKUlT_T0_E_clISt17integral_constantIbLb1EES1U_EEDaS1P_S1Q_EUlS1P_E_NS1_11comp_targetILNS1_3genE3ELNS1_11target_archE908ELNS1_3gpuE7ELNS1_3repE0EEENS1_30default_config_static_selectorELNS0_4arch9wavefront6targetE1EEEvS12_.has_recursion, 0
	.set _ZN7rocprim17ROCPRIM_400000_NS6detail17trampoline_kernelINS0_13select_configILj256ELj13ELNS0_17block_load_methodE3ELS4_3ELS4_3ELNS0_20block_scan_algorithmE0ELj4294967295EEENS1_25partition_config_selectorILNS1_17partition_subalgoE4EjNS0_10empty_typeEbEEZZNS1_14partition_implILS8_4ELb0ES6_15HIP_vector_typeIjLj2EENS0_17counting_iteratorIjlEEPS9_SG_NS0_5tupleIJPjSI_NS0_16reverse_iteratorISI_EEEEENSH_IJSG_SG_SG_EEES9_SI_JZNS1_25segmented_radix_sort_implINS0_14default_configELb0EPKbPbPKlPlN2at6native12_GLOBAL__N_18offset_tEEE10hipError_tPvRmT1_PNSt15iterator_traitsIS12_E10value_typeET2_T3_PNS13_IS18_E10value_typeET4_jRbjT5_S1E_jjP12ihipStream_tbEUljE_ZNSN_ISO_Lb0ESQ_SR_ST_SU_SY_EESZ_S10_S11_S12_S16_S17_S18_S1B_S1C_jS1D_jS1E_S1E_jjS1G_bEUljE0_EEESZ_S10_S11_S18_S1C_S1E_T6_T7_T9_mT8_S1G_bDpT10_ENKUlT_T0_E_clISt17integral_constantIbLb1EES1U_EEDaS1P_S1Q_EUlS1P_E_NS1_11comp_targetILNS1_3genE3ELNS1_11target_archE908ELNS1_3gpuE7ELNS1_3repE0EEENS1_30default_config_static_selectorELNS0_4arch9wavefront6targetE1EEEvS12_.has_indirect_call, 0
	.section	.AMDGPU.csdata,"",@progbits
; Kernel info:
; codeLenInByte = 0
; TotalNumSgprs: 4
; NumVgprs: 0
; ScratchSize: 0
; MemoryBound: 0
; FloatMode: 240
; IeeeMode: 1
; LDSByteSize: 0 bytes/workgroup (compile time only)
; SGPRBlocks: 0
; VGPRBlocks: 0
; NumSGPRsForWavesPerEU: 4
; NumVGPRsForWavesPerEU: 1
; Occupancy: 10
; WaveLimiterHint : 0
; COMPUTE_PGM_RSRC2:SCRATCH_EN: 0
; COMPUTE_PGM_RSRC2:USER_SGPR: 6
; COMPUTE_PGM_RSRC2:TRAP_HANDLER: 0
; COMPUTE_PGM_RSRC2:TGID_X_EN: 1
; COMPUTE_PGM_RSRC2:TGID_Y_EN: 0
; COMPUTE_PGM_RSRC2:TGID_Z_EN: 0
; COMPUTE_PGM_RSRC2:TIDIG_COMP_CNT: 0
	.section	.text._ZN7rocprim17ROCPRIM_400000_NS6detail17trampoline_kernelINS0_13select_configILj256ELj13ELNS0_17block_load_methodE3ELS4_3ELS4_3ELNS0_20block_scan_algorithmE0ELj4294967295EEENS1_25partition_config_selectorILNS1_17partition_subalgoE4EjNS0_10empty_typeEbEEZZNS1_14partition_implILS8_4ELb0ES6_15HIP_vector_typeIjLj2EENS0_17counting_iteratorIjlEEPS9_SG_NS0_5tupleIJPjSI_NS0_16reverse_iteratorISI_EEEEENSH_IJSG_SG_SG_EEES9_SI_JZNS1_25segmented_radix_sort_implINS0_14default_configELb0EPKbPbPKlPlN2at6native12_GLOBAL__N_18offset_tEEE10hipError_tPvRmT1_PNSt15iterator_traitsIS12_E10value_typeET2_T3_PNS13_IS18_E10value_typeET4_jRbjT5_S1E_jjP12ihipStream_tbEUljE_ZNSN_ISO_Lb0ESQ_SR_ST_SU_SY_EESZ_S10_S11_S12_S16_S17_S18_S1B_S1C_jS1D_jS1E_S1E_jjS1G_bEUljE0_EEESZ_S10_S11_S18_S1C_S1E_T6_T7_T9_mT8_S1G_bDpT10_ENKUlT_T0_E_clISt17integral_constantIbLb1EES1U_EEDaS1P_S1Q_EUlS1P_E_NS1_11comp_targetILNS1_3genE2ELNS1_11target_archE906ELNS1_3gpuE6ELNS1_3repE0EEENS1_30default_config_static_selectorELNS0_4arch9wavefront6targetE1EEEvS12_,"axG",@progbits,_ZN7rocprim17ROCPRIM_400000_NS6detail17trampoline_kernelINS0_13select_configILj256ELj13ELNS0_17block_load_methodE3ELS4_3ELS4_3ELNS0_20block_scan_algorithmE0ELj4294967295EEENS1_25partition_config_selectorILNS1_17partition_subalgoE4EjNS0_10empty_typeEbEEZZNS1_14partition_implILS8_4ELb0ES6_15HIP_vector_typeIjLj2EENS0_17counting_iteratorIjlEEPS9_SG_NS0_5tupleIJPjSI_NS0_16reverse_iteratorISI_EEEEENSH_IJSG_SG_SG_EEES9_SI_JZNS1_25segmented_radix_sort_implINS0_14default_configELb0EPKbPbPKlPlN2at6native12_GLOBAL__N_18offset_tEEE10hipError_tPvRmT1_PNSt15iterator_traitsIS12_E10value_typeET2_T3_PNS13_IS18_E10value_typeET4_jRbjT5_S1E_jjP12ihipStream_tbEUljE_ZNSN_ISO_Lb0ESQ_SR_ST_SU_SY_EESZ_S10_S11_S12_S16_S17_S18_S1B_S1C_jS1D_jS1E_S1E_jjS1G_bEUljE0_EEESZ_S10_S11_S18_S1C_S1E_T6_T7_T9_mT8_S1G_bDpT10_ENKUlT_T0_E_clISt17integral_constantIbLb1EES1U_EEDaS1P_S1Q_EUlS1P_E_NS1_11comp_targetILNS1_3genE2ELNS1_11target_archE906ELNS1_3gpuE6ELNS1_3repE0EEENS1_30default_config_static_selectorELNS0_4arch9wavefront6targetE1EEEvS12_,comdat
	.globl	_ZN7rocprim17ROCPRIM_400000_NS6detail17trampoline_kernelINS0_13select_configILj256ELj13ELNS0_17block_load_methodE3ELS4_3ELS4_3ELNS0_20block_scan_algorithmE0ELj4294967295EEENS1_25partition_config_selectorILNS1_17partition_subalgoE4EjNS0_10empty_typeEbEEZZNS1_14partition_implILS8_4ELb0ES6_15HIP_vector_typeIjLj2EENS0_17counting_iteratorIjlEEPS9_SG_NS0_5tupleIJPjSI_NS0_16reverse_iteratorISI_EEEEENSH_IJSG_SG_SG_EEES9_SI_JZNS1_25segmented_radix_sort_implINS0_14default_configELb0EPKbPbPKlPlN2at6native12_GLOBAL__N_18offset_tEEE10hipError_tPvRmT1_PNSt15iterator_traitsIS12_E10value_typeET2_T3_PNS13_IS18_E10value_typeET4_jRbjT5_S1E_jjP12ihipStream_tbEUljE_ZNSN_ISO_Lb0ESQ_SR_ST_SU_SY_EESZ_S10_S11_S12_S16_S17_S18_S1B_S1C_jS1D_jS1E_S1E_jjS1G_bEUljE0_EEESZ_S10_S11_S18_S1C_S1E_T6_T7_T9_mT8_S1G_bDpT10_ENKUlT_T0_E_clISt17integral_constantIbLb1EES1U_EEDaS1P_S1Q_EUlS1P_E_NS1_11comp_targetILNS1_3genE2ELNS1_11target_archE906ELNS1_3gpuE6ELNS1_3repE0EEENS1_30default_config_static_selectorELNS0_4arch9wavefront6targetE1EEEvS12_ ; -- Begin function _ZN7rocprim17ROCPRIM_400000_NS6detail17trampoline_kernelINS0_13select_configILj256ELj13ELNS0_17block_load_methodE3ELS4_3ELS4_3ELNS0_20block_scan_algorithmE0ELj4294967295EEENS1_25partition_config_selectorILNS1_17partition_subalgoE4EjNS0_10empty_typeEbEEZZNS1_14partition_implILS8_4ELb0ES6_15HIP_vector_typeIjLj2EENS0_17counting_iteratorIjlEEPS9_SG_NS0_5tupleIJPjSI_NS0_16reverse_iteratorISI_EEEEENSH_IJSG_SG_SG_EEES9_SI_JZNS1_25segmented_radix_sort_implINS0_14default_configELb0EPKbPbPKlPlN2at6native12_GLOBAL__N_18offset_tEEE10hipError_tPvRmT1_PNSt15iterator_traitsIS12_E10value_typeET2_T3_PNS13_IS18_E10value_typeET4_jRbjT5_S1E_jjP12ihipStream_tbEUljE_ZNSN_ISO_Lb0ESQ_SR_ST_SU_SY_EESZ_S10_S11_S12_S16_S17_S18_S1B_S1C_jS1D_jS1E_S1E_jjS1G_bEUljE0_EEESZ_S10_S11_S18_S1C_S1E_T6_T7_T9_mT8_S1G_bDpT10_ENKUlT_T0_E_clISt17integral_constantIbLb1EES1U_EEDaS1P_S1Q_EUlS1P_E_NS1_11comp_targetILNS1_3genE2ELNS1_11target_archE906ELNS1_3gpuE6ELNS1_3repE0EEENS1_30default_config_static_selectorELNS0_4arch9wavefront6targetE1EEEvS12_
	.p2align	8
	.type	_ZN7rocprim17ROCPRIM_400000_NS6detail17trampoline_kernelINS0_13select_configILj256ELj13ELNS0_17block_load_methodE3ELS4_3ELS4_3ELNS0_20block_scan_algorithmE0ELj4294967295EEENS1_25partition_config_selectorILNS1_17partition_subalgoE4EjNS0_10empty_typeEbEEZZNS1_14partition_implILS8_4ELb0ES6_15HIP_vector_typeIjLj2EENS0_17counting_iteratorIjlEEPS9_SG_NS0_5tupleIJPjSI_NS0_16reverse_iteratorISI_EEEEENSH_IJSG_SG_SG_EEES9_SI_JZNS1_25segmented_radix_sort_implINS0_14default_configELb0EPKbPbPKlPlN2at6native12_GLOBAL__N_18offset_tEEE10hipError_tPvRmT1_PNSt15iterator_traitsIS12_E10value_typeET2_T3_PNS13_IS18_E10value_typeET4_jRbjT5_S1E_jjP12ihipStream_tbEUljE_ZNSN_ISO_Lb0ESQ_SR_ST_SU_SY_EESZ_S10_S11_S12_S16_S17_S18_S1B_S1C_jS1D_jS1E_S1E_jjS1G_bEUljE0_EEESZ_S10_S11_S18_S1C_S1E_T6_T7_T9_mT8_S1G_bDpT10_ENKUlT_T0_E_clISt17integral_constantIbLb1EES1U_EEDaS1P_S1Q_EUlS1P_E_NS1_11comp_targetILNS1_3genE2ELNS1_11target_archE906ELNS1_3gpuE6ELNS1_3repE0EEENS1_30default_config_static_selectorELNS0_4arch9wavefront6targetE1EEEvS12_,@function
_ZN7rocprim17ROCPRIM_400000_NS6detail17trampoline_kernelINS0_13select_configILj256ELj13ELNS0_17block_load_methodE3ELS4_3ELS4_3ELNS0_20block_scan_algorithmE0ELj4294967295EEENS1_25partition_config_selectorILNS1_17partition_subalgoE4EjNS0_10empty_typeEbEEZZNS1_14partition_implILS8_4ELb0ES6_15HIP_vector_typeIjLj2EENS0_17counting_iteratorIjlEEPS9_SG_NS0_5tupleIJPjSI_NS0_16reverse_iteratorISI_EEEEENSH_IJSG_SG_SG_EEES9_SI_JZNS1_25segmented_radix_sort_implINS0_14default_configELb0EPKbPbPKlPlN2at6native12_GLOBAL__N_18offset_tEEE10hipError_tPvRmT1_PNSt15iterator_traitsIS12_E10value_typeET2_T3_PNS13_IS18_E10value_typeET4_jRbjT5_S1E_jjP12ihipStream_tbEUljE_ZNSN_ISO_Lb0ESQ_SR_ST_SU_SY_EESZ_S10_S11_S12_S16_S17_S18_S1B_S1C_jS1D_jS1E_S1E_jjS1G_bEUljE0_EEESZ_S10_S11_S18_S1C_S1E_T6_T7_T9_mT8_S1G_bDpT10_ENKUlT_T0_E_clISt17integral_constantIbLb1EES1U_EEDaS1P_S1Q_EUlS1P_E_NS1_11comp_targetILNS1_3genE2ELNS1_11target_archE906ELNS1_3gpuE6ELNS1_3repE0EEENS1_30default_config_static_selectorELNS0_4arch9wavefront6targetE1EEEvS12_: ; @_ZN7rocprim17ROCPRIM_400000_NS6detail17trampoline_kernelINS0_13select_configILj256ELj13ELNS0_17block_load_methodE3ELS4_3ELS4_3ELNS0_20block_scan_algorithmE0ELj4294967295EEENS1_25partition_config_selectorILNS1_17partition_subalgoE4EjNS0_10empty_typeEbEEZZNS1_14partition_implILS8_4ELb0ES6_15HIP_vector_typeIjLj2EENS0_17counting_iteratorIjlEEPS9_SG_NS0_5tupleIJPjSI_NS0_16reverse_iteratorISI_EEEEENSH_IJSG_SG_SG_EEES9_SI_JZNS1_25segmented_radix_sort_implINS0_14default_configELb0EPKbPbPKlPlN2at6native12_GLOBAL__N_18offset_tEEE10hipError_tPvRmT1_PNSt15iterator_traitsIS12_E10value_typeET2_T3_PNS13_IS18_E10value_typeET4_jRbjT5_S1E_jjP12ihipStream_tbEUljE_ZNSN_ISO_Lb0ESQ_SR_ST_SU_SY_EESZ_S10_S11_S12_S16_S17_S18_S1B_S1C_jS1D_jS1E_S1E_jjS1G_bEUljE0_EEESZ_S10_S11_S18_S1C_S1E_T6_T7_T9_mT8_S1G_bDpT10_ENKUlT_T0_E_clISt17integral_constantIbLb1EES1U_EEDaS1P_S1Q_EUlS1P_E_NS1_11comp_targetILNS1_3genE2ELNS1_11target_archE906ELNS1_3gpuE6ELNS1_3repE0EEENS1_30default_config_static_selectorELNS0_4arch9wavefront6targetE1EEEvS12_
; %bb.0:
	s_endpgm
	.section	.rodata,"a",@progbits
	.p2align	6, 0x0
	.amdhsa_kernel _ZN7rocprim17ROCPRIM_400000_NS6detail17trampoline_kernelINS0_13select_configILj256ELj13ELNS0_17block_load_methodE3ELS4_3ELS4_3ELNS0_20block_scan_algorithmE0ELj4294967295EEENS1_25partition_config_selectorILNS1_17partition_subalgoE4EjNS0_10empty_typeEbEEZZNS1_14partition_implILS8_4ELb0ES6_15HIP_vector_typeIjLj2EENS0_17counting_iteratorIjlEEPS9_SG_NS0_5tupleIJPjSI_NS0_16reverse_iteratorISI_EEEEENSH_IJSG_SG_SG_EEES9_SI_JZNS1_25segmented_radix_sort_implINS0_14default_configELb0EPKbPbPKlPlN2at6native12_GLOBAL__N_18offset_tEEE10hipError_tPvRmT1_PNSt15iterator_traitsIS12_E10value_typeET2_T3_PNS13_IS18_E10value_typeET4_jRbjT5_S1E_jjP12ihipStream_tbEUljE_ZNSN_ISO_Lb0ESQ_SR_ST_SU_SY_EESZ_S10_S11_S12_S16_S17_S18_S1B_S1C_jS1D_jS1E_S1E_jjS1G_bEUljE0_EEESZ_S10_S11_S18_S1C_S1E_T6_T7_T9_mT8_S1G_bDpT10_ENKUlT_T0_E_clISt17integral_constantIbLb1EES1U_EEDaS1P_S1Q_EUlS1P_E_NS1_11comp_targetILNS1_3genE2ELNS1_11target_archE906ELNS1_3gpuE6ELNS1_3repE0EEENS1_30default_config_static_selectorELNS0_4arch9wavefront6targetE1EEEvS12_
		.amdhsa_group_segment_fixed_size 0
		.amdhsa_private_segment_fixed_size 0
		.amdhsa_kernarg_size 184
		.amdhsa_user_sgpr_count 6
		.amdhsa_user_sgpr_private_segment_buffer 1
		.amdhsa_user_sgpr_dispatch_ptr 0
		.amdhsa_user_sgpr_queue_ptr 0
		.amdhsa_user_sgpr_kernarg_segment_ptr 1
		.amdhsa_user_sgpr_dispatch_id 0
		.amdhsa_user_sgpr_flat_scratch_init 0
		.amdhsa_user_sgpr_private_segment_size 0
		.amdhsa_uses_dynamic_stack 0
		.amdhsa_system_sgpr_private_segment_wavefront_offset 0
		.amdhsa_system_sgpr_workgroup_id_x 1
		.amdhsa_system_sgpr_workgroup_id_y 0
		.amdhsa_system_sgpr_workgroup_id_z 0
		.amdhsa_system_sgpr_workgroup_info 0
		.amdhsa_system_vgpr_workitem_id 0
		.amdhsa_next_free_vgpr 1
		.amdhsa_next_free_sgpr 0
		.amdhsa_reserve_vcc 0
		.amdhsa_reserve_flat_scratch 0
		.amdhsa_float_round_mode_32 0
		.amdhsa_float_round_mode_16_64 0
		.amdhsa_float_denorm_mode_32 3
		.amdhsa_float_denorm_mode_16_64 3
		.amdhsa_dx10_clamp 1
		.amdhsa_ieee_mode 1
		.amdhsa_fp16_overflow 0
		.amdhsa_exception_fp_ieee_invalid_op 0
		.amdhsa_exception_fp_denorm_src 0
		.amdhsa_exception_fp_ieee_div_zero 0
		.amdhsa_exception_fp_ieee_overflow 0
		.amdhsa_exception_fp_ieee_underflow 0
		.amdhsa_exception_fp_ieee_inexact 0
		.amdhsa_exception_int_div_zero 0
	.end_amdhsa_kernel
	.section	.text._ZN7rocprim17ROCPRIM_400000_NS6detail17trampoline_kernelINS0_13select_configILj256ELj13ELNS0_17block_load_methodE3ELS4_3ELS4_3ELNS0_20block_scan_algorithmE0ELj4294967295EEENS1_25partition_config_selectorILNS1_17partition_subalgoE4EjNS0_10empty_typeEbEEZZNS1_14partition_implILS8_4ELb0ES6_15HIP_vector_typeIjLj2EENS0_17counting_iteratorIjlEEPS9_SG_NS0_5tupleIJPjSI_NS0_16reverse_iteratorISI_EEEEENSH_IJSG_SG_SG_EEES9_SI_JZNS1_25segmented_radix_sort_implINS0_14default_configELb0EPKbPbPKlPlN2at6native12_GLOBAL__N_18offset_tEEE10hipError_tPvRmT1_PNSt15iterator_traitsIS12_E10value_typeET2_T3_PNS13_IS18_E10value_typeET4_jRbjT5_S1E_jjP12ihipStream_tbEUljE_ZNSN_ISO_Lb0ESQ_SR_ST_SU_SY_EESZ_S10_S11_S12_S16_S17_S18_S1B_S1C_jS1D_jS1E_S1E_jjS1G_bEUljE0_EEESZ_S10_S11_S18_S1C_S1E_T6_T7_T9_mT8_S1G_bDpT10_ENKUlT_T0_E_clISt17integral_constantIbLb1EES1U_EEDaS1P_S1Q_EUlS1P_E_NS1_11comp_targetILNS1_3genE2ELNS1_11target_archE906ELNS1_3gpuE6ELNS1_3repE0EEENS1_30default_config_static_selectorELNS0_4arch9wavefront6targetE1EEEvS12_,"axG",@progbits,_ZN7rocprim17ROCPRIM_400000_NS6detail17trampoline_kernelINS0_13select_configILj256ELj13ELNS0_17block_load_methodE3ELS4_3ELS4_3ELNS0_20block_scan_algorithmE0ELj4294967295EEENS1_25partition_config_selectorILNS1_17partition_subalgoE4EjNS0_10empty_typeEbEEZZNS1_14partition_implILS8_4ELb0ES6_15HIP_vector_typeIjLj2EENS0_17counting_iteratorIjlEEPS9_SG_NS0_5tupleIJPjSI_NS0_16reverse_iteratorISI_EEEEENSH_IJSG_SG_SG_EEES9_SI_JZNS1_25segmented_radix_sort_implINS0_14default_configELb0EPKbPbPKlPlN2at6native12_GLOBAL__N_18offset_tEEE10hipError_tPvRmT1_PNSt15iterator_traitsIS12_E10value_typeET2_T3_PNS13_IS18_E10value_typeET4_jRbjT5_S1E_jjP12ihipStream_tbEUljE_ZNSN_ISO_Lb0ESQ_SR_ST_SU_SY_EESZ_S10_S11_S12_S16_S17_S18_S1B_S1C_jS1D_jS1E_S1E_jjS1G_bEUljE0_EEESZ_S10_S11_S18_S1C_S1E_T6_T7_T9_mT8_S1G_bDpT10_ENKUlT_T0_E_clISt17integral_constantIbLb1EES1U_EEDaS1P_S1Q_EUlS1P_E_NS1_11comp_targetILNS1_3genE2ELNS1_11target_archE906ELNS1_3gpuE6ELNS1_3repE0EEENS1_30default_config_static_selectorELNS0_4arch9wavefront6targetE1EEEvS12_,comdat
.Lfunc_end1583:
	.size	_ZN7rocprim17ROCPRIM_400000_NS6detail17trampoline_kernelINS0_13select_configILj256ELj13ELNS0_17block_load_methodE3ELS4_3ELS4_3ELNS0_20block_scan_algorithmE0ELj4294967295EEENS1_25partition_config_selectorILNS1_17partition_subalgoE4EjNS0_10empty_typeEbEEZZNS1_14partition_implILS8_4ELb0ES6_15HIP_vector_typeIjLj2EENS0_17counting_iteratorIjlEEPS9_SG_NS0_5tupleIJPjSI_NS0_16reverse_iteratorISI_EEEEENSH_IJSG_SG_SG_EEES9_SI_JZNS1_25segmented_radix_sort_implINS0_14default_configELb0EPKbPbPKlPlN2at6native12_GLOBAL__N_18offset_tEEE10hipError_tPvRmT1_PNSt15iterator_traitsIS12_E10value_typeET2_T3_PNS13_IS18_E10value_typeET4_jRbjT5_S1E_jjP12ihipStream_tbEUljE_ZNSN_ISO_Lb0ESQ_SR_ST_SU_SY_EESZ_S10_S11_S12_S16_S17_S18_S1B_S1C_jS1D_jS1E_S1E_jjS1G_bEUljE0_EEESZ_S10_S11_S18_S1C_S1E_T6_T7_T9_mT8_S1G_bDpT10_ENKUlT_T0_E_clISt17integral_constantIbLb1EES1U_EEDaS1P_S1Q_EUlS1P_E_NS1_11comp_targetILNS1_3genE2ELNS1_11target_archE906ELNS1_3gpuE6ELNS1_3repE0EEENS1_30default_config_static_selectorELNS0_4arch9wavefront6targetE1EEEvS12_, .Lfunc_end1583-_ZN7rocprim17ROCPRIM_400000_NS6detail17trampoline_kernelINS0_13select_configILj256ELj13ELNS0_17block_load_methodE3ELS4_3ELS4_3ELNS0_20block_scan_algorithmE0ELj4294967295EEENS1_25partition_config_selectorILNS1_17partition_subalgoE4EjNS0_10empty_typeEbEEZZNS1_14partition_implILS8_4ELb0ES6_15HIP_vector_typeIjLj2EENS0_17counting_iteratorIjlEEPS9_SG_NS0_5tupleIJPjSI_NS0_16reverse_iteratorISI_EEEEENSH_IJSG_SG_SG_EEES9_SI_JZNS1_25segmented_radix_sort_implINS0_14default_configELb0EPKbPbPKlPlN2at6native12_GLOBAL__N_18offset_tEEE10hipError_tPvRmT1_PNSt15iterator_traitsIS12_E10value_typeET2_T3_PNS13_IS18_E10value_typeET4_jRbjT5_S1E_jjP12ihipStream_tbEUljE_ZNSN_ISO_Lb0ESQ_SR_ST_SU_SY_EESZ_S10_S11_S12_S16_S17_S18_S1B_S1C_jS1D_jS1E_S1E_jjS1G_bEUljE0_EEESZ_S10_S11_S18_S1C_S1E_T6_T7_T9_mT8_S1G_bDpT10_ENKUlT_T0_E_clISt17integral_constantIbLb1EES1U_EEDaS1P_S1Q_EUlS1P_E_NS1_11comp_targetILNS1_3genE2ELNS1_11target_archE906ELNS1_3gpuE6ELNS1_3repE0EEENS1_30default_config_static_selectorELNS0_4arch9wavefront6targetE1EEEvS12_
                                        ; -- End function
	.set _ZN7rocprim17ROCPRIM_400000_NS6detail17trampoline_kernelINS0_13select_configILj256ELj13ELNS0_17block_load_methodE3ELS4_3ELS4_3ELNS0_20block_scan_algorithmE0ELj4294967295EEENS1_25partition_config_selectorILNS1_17partition_subalgoE4EjNS0_10empty_typeEbEEZZNS1_14partition_implILS8_4ELb0ES6_15HIP_vector_typeIjLj2EENS0_17counting_iteratorIjlEEPS9_SG_NS0_5tupleIJPjSI_NS0_16reverse_iteratorISI_EEEEENSH_IJSG_SG_SG_EEES9_SI_JZNS1_25segmented_radix_sort_implINS0_14default_configELb0EPKbPbPKlPlN2at6native12_GLOBAL__N_18offset_tEEE10hipError_tPvRmT1_PNSt15iterator_traitsIS12_E10value_typeET2_T3_PNS13_IS18_E10value_typeET4_jRbjT5_S1E_jjP12ihipStream_tbEUljE_ZNSN_ISO_Lb0ESQ_SR_ST_SU_SY_EESZ_S10_S11_S12_S16_S17_S18_S1B_S1C_jS1D_jS1E_S1E_jjS1G_bEUljE0_EEESZ_S10_S11_S18_S1C_S1E_T6_T7_T9_mT8_S1G_bDpT10_ENKUlT_T0_E_clISt17integral_constantIbLb1EES1U_EEDaS1P_S1Q_EUlS1P_E_NS1_11comp_targetILNS1_3genE2ELNS1_11target_archE906ELNS1_3gpuE6ELNS1_3repE0EEENS1_30default_config_static_selectorELNS0_4arch9wavefront6targetE1EEEvS12_.num_vgpr, 0
	.set _ZN7rocprim17ROCPRIM_400000_NS6detail17trampoline_kernelINS0_13select_configILj256ELj13ELNS0_17block_load_methodE3ELS4_3ELS4_3ELNS0_20block_scan_algorithmE0ELj4294967295EEENS1_25partition_config_selectorILNS1_17partition_subalgoE4EjNS0_10empty_typeEbEEZZNS1_14partition_implILS8_4ELb0ES6_15HIP_vector_typeIjLj2EENS0_17counting_iteratorIjlEEPS9_SG_NS0_5tupleIJPjSI_NS0_16reverse_iteratorISI_EEEEENSH_IJSG_SG_SG_EEES9_SI_JZNS1_25segmented_radix_sort_implINS0_14default_configELb0EPKbPbPKlPlN2at6native12_GLOBAL__N_18offset_tEEE10hipError_tPvRmT1_PNSt15iterator_traitsIS12_E10value_typeET2_T3_PNS13_IS18_E10value_typeET4_jRbjT5_S1E_jjP12ihipStream_tbEUljE_ZNSN_ISO_Lb0ESQ_SR_ST_SU_SY_EESZ_S10_S11_S12_S16_S17_S18_S1B_S1C_jS1D_jS1E_S1E_jjS1G_bEUljE0_EEESZ_S10_S11_S18_S1C_S1E_T6_T7_T9_mT8_S1G_bDpT10_ENKUlT_T0_E_clISt17integral_constantIbLb1EES1U_EEDaS1P_S1Q_EUlS1P_E_NS1_11comp_targetILNS1_3genE2ELNS1_11target_archE906ELNS1_3gpuE6ELNS1_3repE0EEENS1_30default_config_static_selectorELNS0_4arch9wavefront6targetE1EEEvS12_.num_agpr, 0
	.set _ZN7rocprim17ROCPRIM_400000_NS6detail17trampoline_kernelINS0_13select_configILj256ELj13ELNS0_17block_load_methodE3ELS4_3ELS4_3ELNS0_20block_scan_algorithmE0ELj4294967295EEENS1_25partition_config_selectorILNS1_17partition_subalgoE4EjNS0_10empty_typeEbEEZZNS1_14partition_implILS8_4ELb0ES6_15HIP_vector_typeIjLj2EENS0_17counting_iteratorIjlEEPS9_SG_NS0_5tupleIJPjSI_NS0_16reverse_iteratorISI_EEEEENSH_IJSG_SG_SG_EEES9_SI_JZNS1_25segmented_radix_sort_implINS0_14default_configELb0EPKbPbPKlPlN2at6native12_GLOBAL__N_18offset_tEEE10hipError_tPvRmT1_PNSt15iterator_traitsIS12_E10value_typeET2_T3_PNS13_IS18_E10value_typeET4_jRbjT5_S1E_jjP12ihipStream_tbEUljE_ZNSN_ISO_Lb0ESQ_SR_ST_SU_SY_EESZ_S10_S11_S12_S16_S17_S18_S1B_S1C_jS1D_jS1E_S1E_jjS1G_bEUljE0_EEESZ_S10_S11_S18_S1C_S1E_T6_T7_T9_mT8_S1G_bDpT10_ENKUlT_T0_E_clISt17integral_constantIbLb1EES1U_EEDaS1P_S1Q_EUlS1P_E_NS1_11comp_targetILNS1_3genE2ELNS1_11target_archE906ELNS1_3gpuE6ELNS1_3repE0EEENS1_30default_config_static_selectorELNS0_4arch9wavefront6targetE1EEEvS12_.numbered_sgpr, 0
	.set _ZN7rocprim17ROCPRIM_400000_NS6detail17trampoline_kernelINS0_13select_configILj256ELj13ELNS0_17block_load_methodE3ELS4_3ELS4_3ELNS0_20block_scan_algorithmE0ELj4294967295EEENS1_25partition_config_selectorILNS1_17partition_subalgoE4EjNS0_10empty_typeEbEEZZNS1_14partition_implILS8_4ELb0ES6_15HIP_vector_typeIjLj2EENS0_17counting_iteratorIjlEEPS9_SG_NS0_5tupleIJPjSI_NS0_16reverse_iteratorISI_EEEEENSH_IJSG_SG_SG_EEES9_SI_JZNS1_25segmented_radix_sort_implINS0_14default_configELb0EPKbPbPKlPlN2at6native12_GLOBAL__N_18offset_tEEE10hipError_tPvRmT1_PNSt15iterator_traitsIS12_E10value_typeET2_T3_PNS13_IS18_E10value_typeET4_jRbjT5_S1E_jjP12ihipStream_tbEUljE_ZNSN_ISO_Lb0ESQ_SR_ST_SU_SY_EESZ_S10_S11_S12_S16_S17_S18_S1B_S1C_jS1D_jS1E_S1E_jjS1G_bEUljE0_EEESZ_S10_S11_S18_S1C_S1E_T6_T7_T9_mT8_S1G_bDpT10_ENKUlT_T0_E_clISt17integral_constantIbLb1EES1U_EEDaS1P_S1Q_EUlS1P_E_NS1_11comp_targetILNS1_3genE2ELNS1_11target_archE906ELNS1_3gpuE6ELNS1_3repE0EEENS1_30default_config_static_selectorELNS0_4arch9wavefront6targetE1EEEvS12_.num_named_barrier, 0
	.set _ZN7rocprim17ROCPRIM_400000_NS6detail17trampoline_kernelINS0_13select_configILj256ELj13ELNS0_17block_load_methodE3ELS4_3ELS4_3ELNS0_20block_scan_algorithmE0ELj4294967295EEENS1_25partition_config_selectorILNS1_17partition_subalgoE4EjNS0_10empty_typeEbEEZZNS1_14partition_implILS8_4ELb0ES6_15HIP_vector_typeIjLj2EENS0_17counting_iteratorIjlEEPS9_SG_NS0_5tupleIJPjSI_NS0_16reverse_iteratorISI_EEEEENSH_IJSG_SG_SG_EEES9_SI_JZNS1_25segmented_radix_sort_implINS0_14default_configELb0EPKbPbPKlPlN2at6native12_GLOBAL__N_18offset_tEEE10hipError_tPvRmT1_PNSt15iterator_traitsIS12_E10value_typeET2_T3_PNS13_IS18_E10value_typeET4_jRbjT5_S1E_jjP12ihipStream_tbEUljE_ZNSN_ISO_Lb0ESQ_SR_ST_SU_SY_EESZ_S10_S11_S12_S16_S17_S18_S1B_S1C_jS1D_jS1E_S1E_jjS1G_bEUljE0_EEESZ_S10_S11_S18_S1C_S1E_T6_T7_T9_mT8_S1G_bDpT10_ENKUlT_T0_E_clISt17integral_constantIbLb1EES1U_EEDaS1P_S1Q_EUlS1P_E_NS1_11comp_targetILNS1_3genE2ELNS1_11target_archE906ELNS1_3gpuE6ELNS1_3repE0EEENS1_30default_config_static_selectorELNS0_4arch9wavefront6targetE1EEEvS12_.private_seg_size, 0
	.set _ZN7rocprim17ROCPRIM_400000_NS6detail17trampoline_kernelINS0_13select_configILj256ELj13ELNS0_17block_load_methodE3ELS4_3ELS4_3ELNS0_20block_scan_algorithmE0ELj4294967295EEENS1_25partition_config_selectorILNS1_17partition_subalgoE4EjNS0_10empty_typeEbEEZZNS1_14partition_implILS8_4ELb0ES6_15HIP_vector_typeIjLj2EENS0_17counting_iteratorIjlEEPS9_SG_NS0_5tupleIJPjSI_NS0_16reverse_iteratorISI_EEEEENSH_IJSG_SG_SG_EEES9_SI_JZNS1_25segmented_radix_sort_implINS0_14default_configELb0EPKbPbPKlPlN2at6native12_GLOBAL__N_18offset_tEEE10hipError_tPvRmT1_PNSt15iterator_traitsIS12_E10value_typeET2_T3_PNS13_IS18_E10value_typeET4_jRbjT5_S1E_jjP12ihipStream_tbEUljE_ZNSN_ISO_Lb0ESQ_SR_ST_SU_SY_EESZ_S10_S11_S12_S16_S17_S18_S1B_S1C_jS1D_jS1E_S1E_jjS1G_bEUljE0_EEESZ_S10_S11_S18_S1C_S1E_T6_T7_T9_mT8_S1G_bDpT10_ENKUlT_T0_E_clISt17integral_constantIbLb1EES1U_EEDaS1P_S1Q_EUlS1P_E_NS1_11comp_targetILNS1_3genE2ELNS1_11target_archE906ELNS1_3gpuE6ELNS1_3repE0EEENS1_30default_config_static_selectorELNS0_4arch9wavefront6targetE1EEEvS12_.uses_vcc, 0
	.set _ZN7rocprim17ROCPRIM_400000_NS6detail17trampoline_kernelINS0_13select_configILj256ELj13ELNS0_17block_load_methodE3ELS4_3ELS4_3ELNS0_20block_scan_algorithmE0ELj4294967295EEENS1_25partition_config_selectorILNS1_17partition_subalgoE4EjNS0_10empty_typeEbEEZZNS1_14partition_implILS8_4ELb0ES6_15HIP_vector_typeIjLj2EENS0_17counting_iteratorIjlEEPS9_SG_NS0_5tupleIJPjSI_NS0_16reverse_iteratorISI_EEEEENSH_IJSG_SG_SG_EEES9_SI_JZNS1_25segmented_radix_sort_implINS0_14default_configELb0EPKbPbPKlPlN2at6native12_GLOBAL__N_18offset_tEEE10hipError_tPvRmT1_PNSt15iterator_traitsIS12_E10value_typeET2_T3_PNS13_IS18_E10value_typeET4_jRbjT5_S1E_jjP12ihipStream_tbEUljE_ZNSN_ISO_Lb0ESQ_SR_ST_SU_SY_EESZ_S10_S11_S12_S16_S17_S18_S1B_S1C_jS1D_jS1E_S1E_jjS1G_bEUljE0_EEESZ_S10_S11_S18_S1C_S1E_T6_T7_T9_mT8_S1G_bDpT10_ENKUlT_T0_E_clISt17integral_constantIbLb1EES1U_EEDaS1P_S1Q_EUlS1P_E_NS1_11comp_targetILNS1_3genE2ELNS1_11target_archE906ELNS1_3gpuE6ELNS1_3repE0EEENS1_30default_config_static_selectorELNS0_4arch9wavefront6targetE1EEEvS12_.uses_flat_scratch, 0
	.set _ZN7rocprim17ROCPRIM_400000_NS6detail17trampoline_kernelINS0_13select_configILj256ELj13ELNS0_17block_load_methodE3ELS4_3ELS4_3ELNS0_20block_scan_algorithmE0ELj4294967295EEENS1_25partition_config_selectorILNS1_17partition_subalgoE4EjNS0_10empty_typeEbEEZZNS1_14partition_implILS8_4ELb0ES6_15HIP_vector_typeIjLj2EENS0_17counting_iteratorIjlEEPS9_SG_NS0_5tupleIJPjSI_NS0_16reverse_iteratorISI_EEEEENSH_IJSG_SG_SG_EEES9_SI_JZNS1_25segmented_radix_sort_implINS0_14default_configELb0EPKbPbPKlPlN2at6native12_GLOBAL__N_18offset_tEEE10hipError_tPvRmT1_PNSt15iterator_traitsIS12_E10value_typeET2_T3_PNS13_IS18_E10value_typeET4_jRbjT5_S1E_jjP12ihipStream_tbEUljE_ZNSN_ISO_Lb0ESQ_SR_ST_SU_SY_EESZ_S10_S11_S12_S16_S17_S18_S1B_S1C_jS1D_jS1E_S1E_jjS1G_bEUljE0_EEESZ_S10_S11_S18_S1C_S1E_T6_T7_T9_mT8_S1G_bDpT10_ENKUlT_T0_E_clISt17integral_constantIbLb1EES1U_EEDaS1P_S1Q_EUlS1P_E_NS1_11comp_targetILNS1_3genE2ELNS1_11target_archE906ELNS1_3gpuE6ELNS1_3repE0EEENS1_30default_config_static_selectorELNS0_4arch9wavefront6targetE1EEEvS12_.has_dyn_sized_stack, 0
	.set _ZN7rocprim17ROCPRIM_400000_NS6detail17trampoline_kernelINS0_13select_configILj256ELj13ELNS0_17block_load_methodE3ELS4_3ELS4_3ELNS0_20block_scan_algorithmE0ELj4294967295EEENS1_25partition_config_selectorILNS1_17partition_subalgoE4EjNS0_10empty_typeEbEEZZNS1_14partition_implILS8_4ELb0ES6_15HIP_vector_typeIjLj2EENS0_17counting_iteratorIjlEEPS9_SG_NS0_5tupleIJPjSI_NS0_16reverse_iteratorISI_EEEEENSH_IJSG_SG_SG_EEES9_SI_JZNS1_25segmented_radix_sort_implINS0_14default_configELb0EPKbPbPKlPlN2at6native12_GLOBAL__N_18offset_tEEE10hipError_tPvRmT1_PNSt15iterator_traitsIS12_E10value_typeET2_T3_PNS13_IS18_E10value_typeET4_jRbjT5_S1E_jjP12ihipStream_tbEUljE_ZNSN_ISO_Lb0ESQ_SR_ST_SU_SY_EESZ_S10_S11_S12_S16_S17_S18_S1B_S1C_jS1D_jS1E_S1E_jjS1G_bEUljE0_EEESZ_S10_S11_S18_S1C_S1E_T6_T7_T9_mT8_S1G_bDpT10_ENKUlT_T0_E_clISt17integral_constantIbLb1EES1U_EEDaS1P_S1Q_EUlS1P_E_NS1_11comp_targetILNS1_3genE2ELNS1_11target_archE906ELNS1_3gpuE6ELNS1_3repE0EEENS1_30default_config_static_selectorELNS0_4arch9wavefront6targetE1EEEvS12_.has_recursion, 0
	.set _ZN7rocprim17ROCPRIM_400000_NS6detail17trampoline_kernelINS0_13select_configILj256ELj13ELNS0_17block_load_methodE3ELS4_3ELS4_3ELNS0_20block_scan_algorithmE0ELj4294967295EEENS1_25partition_config_selectorILNS1_17partition_subalgoE4EjNS0_10empty_typeEbEEZZNS1_14partition_implILS8_4ELb0ES6_15HIP_vector_typeIjLj2EENS0_17counting_iteratorIjlEEPS9_SG_NS0_5tupleIJPjSI_NS0_16reverse_iteratorISI_EEEEENSH_IJSG_SG_SG_EEES9_SI_JZNS1_25segmented_radix_sort_implINS0_14default_configELb0EPKbPbPKlPlN2at6native12_GLOBAL__N_18offset_tEEE10hipError_tPvRmT1_PNSt15iterator_traitsIS12_E10value_typeET2_T3_PNS13_IS18_E10value_typeET4_jRbjT5_S1E_jjP12ihipStream_tbEUljE_ZNSN_ISO_Lb0ESQ_SR_ST_SU_SY_EESZ_S10_S11_S12_S16_S17_S18_S1B_S1C_jS1D_jS1E_S1E_jjS1G_bEUljE0_EEESZ_S10_S11_S18_S1C_S1E_T6_T7_T9_mT8_S1G_bDpT10_ENKUlT_T0_E_clISt17integral_constantIbLb1EES1U_EEDaS1P_S1Q_EUlS1P_E_NS1_11comp_targetILNS1_3genE2ELNS1_11target_archE906ELNS1_3gpuE6ELNS1_3repE0EEENS1_30default_config_static_selectorELNS0_4arch9wavefront6targetE1EEEvS12_.has_indirect_call, 0
	.section	.AMDGPU.csdata,"",@progbits
; Kernel info:
; codeLenInByte = 4
; TotalNumSgprs: 4
; NumVgprs: 0
; ScratchSize: 0
; MemoryBound: 0
; FloatMode: 240
; IeeeMode: 1
; LDSByteSize: 0 bytes/workgroup (compile time only)
; SGPRBlocks: 0
; VGPRBlocks: 0
; NumSGPRsForWavesPerEU: 4
; NumVGPRsForWavesPerEU: 1
; Occupancy: 10
; WaveLimiterHint : 0
; COMPUTE_PGM_RSRC2:SCRATCH_EN: 0
; COMPUTE_PGM_RSRC2:USER_SGPR: 6
; COMPUTE_PGM_RSRC2:TRAP_HANDLER: 0
; COMPUTE_PGM_RSRC2:TGID_X_EN: 1
; COMPUTE_PGM_RSRC2:TGID_Y_EN: 0
; COMPUTE_PGM_RSRC2:TGID_Z_EN: 0
; COMPUTE_PGM_RSRC2:TIDIG_COMP_CNT: 0
	.section	.text._ZN7rocprim17ROCPRIM_400000_NS6detail17trampoline_kernelINS0_13select_configILj256ELj13ELNS0_17block_load_methodE3ELS4_3ELS4_3ELNS0_20block_scan_algorithmE0ELj4294967295EEENS1_25partition_config_selectorILNS1_17partition_subalgoE4EjNS0_10empty_typeEbEEZZNS1_14partition_implILS8_4ELb0ES6_15HIP_vector_typeIjLj2EENS0_17counting_iteratorIjlEEPS9_SG_NS0_5tupleIJPjSI_NS0_16reverse_iteratorISI_EEEEENSH_IJSG_SG_SG_EEES9_SI_JZNS1_25segmented_radix_sort_implINS0_14default_configELb0EPKbPbPKlPlN2at6native12_GLOBAL__N_18offset_tEEE10hipError_tPvRmT1_PNSt15iterator_traitsIS12_E10value_typeET2_T3_PNS13_IS18_E10value_typeET4_jRbjT5_S1E_jjP12ihipStream_tbEUljE_ZNSN_ISO_Lb0ESQ_SR_ST_SU_SY_EESZ_S10_S11_S12_S16_S17_S18_S1B_S1C_jS1D_jS1E_S1E_jjS1G_bEUljE0_EEESZ_S10_S11_S18_S1C_S1E_T6_T7_T9_mT8_S1G_bDpT10_ENKUlT_T0_E_clISt17integral_constantIbLb1EES1U_EEDaS1P_S1Q_EUlS1P_E_NS1_11comp_targetILNS1_3genE10ELNS1_11target_archE1200ELNS1_3gpuE4ELNS1_3repE0EEENS1_30default_config_static_selectorELNS0_4arch9wavefront6targetE1EEEvS12_,"axG",@progbits,_ZN7rocprim17ROCPRIM_400000_NS6detail17trampoline_kernelINS0_13select_configILj256ELj13ELNS0_17block_load_methodE3ELS4_3ELS4_3ELNS0_20block_scan_algorithmE0ELj4294967295EEENS1_25partition_config_selectorILNS1_17partition_subalgoE4EjNS0_10empty_typeEbEEZZNS1_14partition_implILS8_4ELb0ES6_15HIP_vector_typeIjLj2EENS0_17counting_iteratorIjlEEPS9_SG_NS0_5tupleIJPjSI_NS0_16reverse_iteratorISI_EEEEENSH_IJSG_SG_SG_EEES9_SI_JZNS1_25segmented_radix_sort_implINS0_14default_configELb0EPKbPbPKlPlN2at6native12_GLOBAL__N_18offset_tEEE10hipError_tPvRmT1_PNSt15iterator_traitsIS12_E10value_typeET2_T3_PNS13_IS18_E10value_typeET4_jRbjT5_S1E_jjP12ihipStream_tbEUljE_ZNSN_ISO_Lb0ESQ_SR_ST_SU_SY_EESZ_S10_S11_S12_S16_S17_S18_S1B_S1C_jS1D_jS1E_S1E_jjS1G_bEUljE0_EEESZ_S10_S11_S18_S1C_S1E_T6_T7_T9_mT8_S1G_bDpT10_ENKUlT_T0_E_clISt17integral_constantIbLb1EES1U_EEDaS1P_S1Q_EUlS1P_E_NS1_11comp_targetILNS1_3genE10ELNS1_11target_archE1200ELNS1_3gpuE4ELNS1_3repE0EEENS1_30default_config_static_selectorELNS0_4arch9wavefront6targetE1EEEvS12_,comdat
	.globl	_ZN7rocprim17ROCPRIM_400000_NS6detail17trampoline_kernelINS0_13select_configILj256ELj13ELNS0_17block_load_methodE3ELS4_3ELS4_3ELNS0_20block_scan_algorithmE0ELj4294967295EEENS1_25partition_config_selectorILNS1_17partition_subalgoE4EjNS0_10empty_typeEbEEZZNS1_14partition_implILS8_4ELb0ES6_15HIP_vector_typeIjLj2EENS0_17counting_iteratorIjlEEPS9_SG_NS0_5tupleIJPjSI_NS0_16reverse_iteratorISI_EEEEENSH_IJSG_SG_SG_EEES9_SI_JZNS1_25segmented_radix_sort_implINS0_14default_configELb0EPKbPbPKlPlN2at6native12_GLOBAL__N_18offset_tEEE10hipError_tPvRmT1_PNSt15iterator_traitsIS12_E10value_typeET2_T3_PNS13_IS18_E10value_typeET4_jRbjT5_S1E_jjP12ihipStream_tbEUljE_ZNSN_ISO_Lb0ESQ_SR_ST_SU_SY_EESZ_S10_S11_S12_S16_S17_S18_S1B_S1C_jS1D_jS1E_S1E_jjS1G_bEUljE0_EEESZ_S10_S11_S18_S1C_S1E_T6_T7_T9_mT8_S1G_bDpT10_ENKUlT_T0_E_clISt17integral_constantIbLb1EES1U_EEDaS1P_S1Q_EUlS1P_E_NS1_11comp_targetILNS1_3genE10ELNS1_11target_archE1200ELNS1_3gpuE4ELNS1_3repE0EEENS1_30default_config_static_selectorELNS0_4arch9wavefront6targetE1EEEvS12_ ; -- Begin function _ZN7rocprim17ROCPRIM_400000_NS6detail17trampoline_kernelINS0_13select_configILj256ELj13ELNS0_17block_load_methodE3ELS4_3ELS4_3ELNS0_20block_scan_algorithmE0ELj4294967295EEENS1_25partition_config_selectorILNS1_17partition_subalgoE4EjNS0_10empty_typeEbEEZZNS1_14partition_implILS8_4ELb0ES6_15HIP_vector_typeIjLj2EENS0_17counting_iteratorIjlEEPS9_SG_NS0_5tupleIJPjSI_NS0_16reverse_iteratorISI_EEEEENSH_IJSG_SG_SG_EEES9_SI_JZNS1_25segmented_radix_sort_implINS0_14default_configELb0EPKbPbPKlPlN2at6native12_GLOBAL__N_18offset_tEEE10hipError_tPvRmT1_PNSt15iterator_traitsIS12_E10value_typeET2_T3_PNS13_IS18_E10value_typeET4_jRbjT5_S1E_jjP12ihipStream_tbEUljE_ZNSN_ISO_Lb0ESQ_SR_ST_SU_SY_EESZ_S10_S11_S12_S16_S17_S18_S1B_S1C_jS1D_jS1E_S1E_jjS1G_bEUljE0_EEESZ_S10_S11_S18_S1C_S1E_T6_T7_T9_mT8_S1G_bDpT10_ENKUlT_T0_E_clISt17integral_constantIbLb1EES1U_EEDaS1P_S1Q_EUlS1P_E_NS1_11comp_targetILNS1_3genE10ELNS1_11target_archE1200ELNS1_3gpuE4ELNS1_3repE0EEENS1_30default_config_static_selectorELNS0_4arch9wavefront6targetE1EEEvS12_
	.p2align	8
	.type	_ZN7rocprim17ROCPRIM_400000_NS6detail17trampoline_kernelINS0_13select_configILj256ELj13ELNS0_17block_load_methodE3ELS4_3ELS4_3ELNS0_20block_scan_algorithmE0ELj4294967295EEENS1_25partition_config_selectorILNS1_17partition_subalgoE4EjNS0_10empty_typeEbEEZZNS1_14partition_implILS8_4ELb0ES6_15HIP_vector_typeIjLj2EENS0_17counting_iteratorIjlEEPS9_SG_NS0_5tupleIJPjSI_NS0_16reverse_iteratorISI_EEEEENSH_IJSG_SG_SG_EEES9_SI_JZNS1_25segmented_radix_sort_implINS0_14default_configELb0EPKbPbPKlPlN2at6native12_GLOBAL__N_18offset_tEEE10hipError_tPvRmT1_PNSt15iterator_traitsIS12_E10value_typeET2_T3_PNS13_IS18_E10value_typeET4_jRbjT5_S1E_jjP12ihipStream_tbEUljE_ZNSN_ISO_Lb0ESQ_SR_ST_SU_SY_EESZ_S10_S11_S12_S16_S17_S18_S1B_S1C_jS1D_jS1E_S1E_jjS1G_bEUljE0_EEESZ_S10_S11_S18_S1C_S1E_T6_T7_T9_mT8_S1G_bDpT10_ENKUlT_T0_E_clISt17integral_constantIbLb1EES1U_EEDaS1P_S1Q_EUlS1P_E_NS1_11comp_targetILNS1_3genE10ELNS1_11target_archE1200ELNS1_3gpuE4ELNS1_3repE0EEENS1_30default_config_static_selectorELNS0_4arch9wavefront6targetE1EEEvS12_,@function
_ZN7rocprim17ROCPRIM_400000_NS6detail17trampoline_kernelINS0_13select_configILj256ELj13ELNS0_17block_load_methodE3ELS4_3ELS4_3ELNS0_20block_scan_algorithmE0ELj4294967295EEENS1_25partition_config_selectorILNS1_17partition_subalgoE4EjNS0_10empty_typeEbEEZZNS1_14partition_implILS8_4ELb0ES6_15HIP_vector_typeIjLj2EENS0_17counting_iteratorIjlEEPS9_SG_NS0_5tupleIJPjSI_NS0_16reverse_iteratorISI_EEEEENSH_IJSG_SG_SG_EEES9_SI_JZNS1_25segmented_radix_sort_implINS0_14default_configELb0EPKbPbPKlPlN2at6native12_GLOBAL__N_18offset_tEEE10hipError_tPvRmT1_PNSt15iterator_traitsIS12_E10value_typeET2_T3_PNS13_IS18_E10value_typeET4_jRbjT5_S1E_jjP12ihipStream_tbEUljE_ZNSN_ISO_Lb0ESQ_SR_ST_SU_SY_EESZ_S10_S11_S12_S16_S17_S18_S1B_S1C_jS1D_jS1E_S1E_jjS1G_bEUljE0_EEESZ_S10_S11_S18_S1C_S1E_T6_T7_T9_mT8_S1G_bDpT10_ENKUlT_T0_E_clISt17integral_constantIbLb1EES1U_EEDaS1P_S1Q_EUlS1P_E_NS1_11comp_targetILNS1_3genE10ELNS1_11target_archE1200ELNS1_3gpuE4ELNS1_3repE0EEENS1_30default_config_static_selectorELNS0_4arch9wavefront6targetE1EEEvS12_: ; @_ZN7rocprim17ROCPRIM_400000_NS6detail17trampoline_kernelINS0_13select_configILj256ELj13ELNS0_17block_load_methodE3ELS4_3ELS4_3ELNS0_20block_scan_algorithmE0ELj4294967295EEENS1_25partition_config_selectorILNS1_17partition_subalgoE4EjNS0_10empty_typeEbEEZZNS1_14partition_implILS8_4ELb0ES6_15HIP_vector_typeIjLj2EENS0_17counting_iteratorIjlEEPS9_SG_NS0_5tupleIJPjSI_NS0_16reverse_iteratorISI_EEEEENSH_IJSG_SG_SG_EEES9_SI_JZNS1_25segmented_radix_sort_implINS0_14default_configELb0EPKbPbPKlPlN2at6native12_GLOBAL__N_18offset_tEEE10hipError_tPvRmT1_PNSt15iterator_traitsIS12_E10value_typeET2_T3_PNS13_IS18_E10value_typeET4_jRbjT5_S1E_jjP12ihipStream_tbEUljE_ZNSN_ISO_Lb0ESQ_SR_ST_SU_SY_EESZ_S10_S11_S12_S16_S17_S18_S1B_S1C_jS1D_jS1E_S1E_jjS1G_bEUljE0_EEESZ_S10_S11_S18_S1C_S1E_T6_T7_T9_mT8_S1G_bDpT10_ENKUlT_T0_E_clISt17integral_constantIbLb1EES1U_EEDaS1P_S1Q_EUlS1P_E_NS1_11comp_targetILNS1_3genE10ELNS1_11target_archE1200ELNS1_3gpuE4ELNS1_3repE0EEENS1_30default_config_static_selectorELNS0_4arch9wavefront6targetE1EEEvS12_
; %bb.0:
	.section	.rodata,"a",@progbits
	.p2align	6, 0x0
	.amdhsa_kernel _ZN7rocprim17ROCPRIM_400000_NS6detail17trampoline_kernelINS0_13select_configILj256ELj13ELNS0_17block_load_methodE3ELS4_3ELS4_3ELNS0_20block_scan_algorithmE0ELj4294967295EEENS1_25partition_config_selectorILNS1_17partition_subalgoE4EjNS0_10empty_typeEbEEZZNS1_14partition_implILS8_4ELb0ES6_15HIP_vector_typeIjLj2EENS0_17counting_iteratorIjlEEPS9_SG_NS0_5tupleIJPjSI_NS0_16reverse_iteratorISI_EEEEENSH_IJSG_SG_SG_EEES9_SI_JZNS1_25segmented_radix_sort_implINS0_14default_configELb0EPKbPbPKlPlN2at6native12_GLOBAL__N_18offset_tEEE10hipError_tPvRmT1_PNSt15iterator_traitsIS12_E10value_typeET2_T3_PNS13_IS18_E10value_typeET4_jRbjT5_S1E_jjP12ihipStream_tbEUljE_ZNSN_ISO_Lb0ESQ_SR_ST_SU_SY_EESZ_S10_S11_S12_S16_S17_S18_S1B_S1C_jS1D_jS1E_S1E_jjS1G_bEUljE0_EEESZ_S10_S11_S18_S1C_S1E_T6_T7_T9_mT8_S1G_bDpT10_ENKUlT_T0_E_clISt17integral_constantIbLb1EES1U_EEDaS1P_S1Q_EUlS1P_E_NS1_11comp_targetILNS1_3genE10ELNS1_11target_archE1200ELNS1_3gpuE4ELNS1_3repE0EEENS1_30default_config_static_selectorELNS0_4arch9wavefront6targetE1EEEvS12_
		.amdhsa_group_segment_fixed_size 0
		.amdhsa_private_segment_fixed_size 0
		.amdhsa_kernarg_size 184
		.amdhsa_user_sgpr_count 6
		.amdhsa_user_sgpr_private_segment_buffer 1
		.amdhsa_user_sgpr_dispatch_ptr 0
		.amdhsa_user_sgpr_queue_ptr 0
		.amdhsa_user_sgpr_kernarg_segment_ptr 1
		.amdhsa_user_sgpr_dispatch_id 0
		.amdhsa_user_sgpr_flat_scratch_init 0
		.amdhsa_user_sgpr_private_segment_size 0
		.amdhsa_uses_dynamic_stack 0
		.amdhsa_system_sgpr_private_segment_wavefront_offset 0
		.amdhsa_system_sgpr_workgroup_id_x 1
		.amdhsa_system_sgpr_workgroup_id_y 0
		.amdhsa_system_sgpr_workgroup_id_z 0
		.amdhsa_system_sgpr_workgroup_info 0
		.amdhsa_system_vgpr_workitem_id 0
		.amdhsa_next_free_vgpr 1
		.amdhsa_next_free_sgpr 0
		.amdhsa_reserve_vcc 0
		.amdhsa_reserve_flat_scratch 0
		.amdhsa_float_round_mode_32 0
		.amdhsa_float_round_mode_16_64 0
		.amdhsa_float_denorm_mode_32 3
		.amdhsa_float_denorm_mode_16_64 3
		.amdhsa_dx10_clamp 1
		.amdhsa_ieee_mode 1
		.amdhsa_fp16_overflow 0
		.amdhsa_exception_fp_ieee_invalid_op 0
		.amdhsa_exception_fp_denorm_src 0
		.amdhsa_exception_fp_ieee_div_zero 0
		.amdhsa_exception_fp_ieee_overflow 0
		.amdhsa_exception_fp_ieee_underflow 0
		.amdhsa_exception_fp_ieee_inexact 0
		.amdhsa_exception_int_div_zero 0
	.end_amdhsa_kernel
	.section	.text._ZN7rocprim17ROCPRIM_400000_NS6detail17trampoline_kernelINS0_13select_configILj256ELj13ELNS0_17block_load_methodE3ELS4_3ELS4_3ELNS0_20block_scan_algorithmE0ELj4294967295EEENS1_25partition_config_selectorILNS1_17partition_subalgoE4EjNS0_10empty_typeEbEEZZNS1_14partition_implILS8_4ELb0ES6_15HIP_vector_typeIjLj2EENS0_17counting_iteratorIjlEEPS9_SG_NS0_5tupleIJPjSI_NS0_16reverse_iteratorISI_EEEEENSH_IJSG_SG_SG_EEES9_SI_JZNS1_25segmented_radix_sort_implINS0_14default_configELb0EPKbPbPKlPlN2at6native12_GLOBAL__N_18offset_tEEE10hipError_tPvRmT1_PNSt15iterator_traitsIS12_E10value_typeET2_T3_PNS13_IS18_E10value_typeET4_jRbjT5_S1E_jjP12ihipStream_tbEUljE_ZNSN_ISO_Lb0ESQ_SR_ST_SU_SY_EESZ_S10_S11_S12_S16_S17_S18_S1B_S1C_jS1D_jS1E_S1E_jjS1G_bEUljE0_EEESZ_S10_S11_S18_S1C_S1E_T6_T7_T9_mT8_S1G_bDpT10_ENKUlT_T0_E_clISt17integral_constantIbLb1EES1U_EEDaS1P_S1Q_EUlS1P_E_NS1_11comp_targetILNS1_3genE10ELNS1_11target_archE1200ELNS1_3gpuE4ELNS1_3repE0EEENS1_30default_config_static_selectorELNS0_4arch9wavefront6targetE1EEEvS12_,"axG",@progbits,_ZN7rocprim17ROCPRIM_400000_NS6detail17trampoline_kernelINS0_13select_configILj256ELj13ELNS0_17block_load_methodE3ELS4_3ELS4_3ELNS0_20block_scan_algorithmE0ELj4294967295EEENS1_25partition_config_selectorILNS1_17partition_subalgoE4EjNS0_10empty_typeEbEEZZNS1_14partition_implILS8_4ELb0ES6_15HIP_vector_typeIjLj2EENS0_17counting_iteratorIjlEEPS9_SG_NS0_5tupleIJPjSI_NS0_16reverse_iteratorISI_EEEEENSH_IJSG_SG_SG_EEES9_SI_JZNS1_25segmented_radix_sort_implINS0_14default_configELb0EPKbPbPKlPlN2at6native12_GLOBAL__N_18offset_tEEE10hipError_tPvRmT1_PNSt15iterator_traitsIS12_E10value_typeET2_T3_PNS13_IS18_E10value_typeET4_jRbjT5_S1E_jjP12ihipStream_tbEUljE_ZNSN_ISO_Lb0ESQ_SR_ST_SU_SY_EESZ_S10_S11_S12_S16_S17_S18_S1B_S1C_jS1D_jS1E_S1E_jjS1G_bEUljE0_EEESZ_S10_S11_S18_S1C_S1E_T6_T7_T9_mT8_S1G_bDpT10_ENKUlT_T0_E_clISt17integral_constantIbLb1EES1U_EEDaS1P_S1Q_EUlS1P_E_NS1_11comp_targetILNS1_3genE10ELNS1_11target_archE1200ELNS1_3gpuE4ELNS1_3repE0EEENS1_30default_config_static_selectorELNS0_4arch9wavefront6targetE1EEEvS12_,comdat
.Lfunc_end1584:
	.size	_ZN7rocprim17ROCPRIM_400000_NS6detail17trampoline_kernelINS0_13select_configILj256ELj13ELNS0_17block_load_methodE3ELS4_3ELS4_3ELNS0_20block_scan_algorithmE0ELj4294967295EEENS1_25partition_config_selectorILNS1_17partition_subalgoE4EjNS0_10empty_typeEbEEZZNS1_14partition_implILS8_4ELb0ES6_15HIP_vector_typeIjLj2EENS0_17counting_iteratorIjlEEPS9_SG_NS0_5tupleIJPjSI_NS0_16reverse_iteratorISI_EEEEENSH_IJSG_SG_SG_EEES9_SI_JZNS1_25segmented_radix_sort_implINS0_14default_configELb0EPKbPbPKlPlN2at6native12_GLOBAL__N_18offset_tEEE10hipError_tPvRmT1_PNSt15iterator_traitsIS12_E10value_typeET2_T3_PNS13_IS18_E10value_typeET4_jRbjT5_S1E_jjP12ihipStream_tbEUljE_ZNSN_ISO_Lb0ESQ_SR_ST_SU_SY_EESZ_S10_S11_S12_S16_S17_S18_S1B_S1C_jS1D_jS1E_S1E_jjS1G_bEUljE0_EEESZ_S10_S11_S18_S1C_S1E_T6_T7_T9_mT8_S1G_bDpT10_ENKUlT_T0_E_clISt17integral_constantIbLb1EES1U_EEDaS1P_S1Q_EUlS1P_E_NS1_11comp_targetILNS1_3genE10ELNS1_11target_archE1200ELNS1_3gpuE4ELNS1_3repE0EEENS1_30default_config_static_selectorELNS0_4arch9wavefront6targetE1EEEvS12_, .Lfunc_end1584-_ZN7rocprim17ROCPRIM_400000_NS6detail17trampoline_kernelINS0_13select_configILj256ELj13ELNS0_17block_load_methodE3ELS4_3ELS4_3ELNS0_20block_scan_algorithmE0ELj4294967295EEENS1_25partition_config_selectorILNS1_17partition_subalgoE4EjNS0_10empty_typeEbEEZZNS1_14partition_implILS8_4ELb0ES6_15HIP_vector_typeIjLj2EENS0_17counting_iteratorIjlEEPS9_SG_NS0_5tupleIJPjSI_NS0_16reverse_iteratorISI_EEEEENSH_IJSG_SG_SG_EEES9_SI_JZNS1_25segmented_radix_sort_implINS0_14default_configELb0EPKbPbPKlPlN2at6native12_GLOBAL__N_18offset_tEEE10hipError_tPvRmT1_PNSt15iterator_traitsIS12_E10value_typeET2_T3_PNS13_IS18_E10value_typeET4_jRbjT5_S1E_jjP12ihipStream_tbEUljE_ZNSN_ISO_Lb0ESQ_SR_ST_SU_SY_EESZ_S10_S11_S12_S16_S17_S18_S1B_S1C_jS1D_jS1E_S1E_jjS1G_bEUljE0_EEESZ_S10_S11_S18_S1C_S1E_T6_T7_T9_mT8_S1G_bDpT10_ENKUlT_T0_E_clISt17integral_constantIbLb1EES1U_EEDaS1P_S1Q_EUlS1P_E_NS1_11comp_targetILNS1_3genE10ELNS1_11target_archE1200ELNS1_3gpuE4ELNS1_3repE0EEENS1_30default_config_static_selectorELNS0_4arch9wavefront6targetE1EEEvS12_
                                        ; -- End function
	.set _ZN7rocprim17ROCPRIM_400000_NS6detail17trampoline_kernelINS0_13select_configILj256ELj13ELNS0_17block_load_methodE3ELS4_3ELS4_3ELNS0_20block_scan_algorithmE0ELj4294967295EEENS1_25partition_config_selectorILNS1_17partition_subalgoE4EjNS0_10empty_typeEbEEZZNS1_14partition_implILS8_4ELb0ES6_15HIP_vector_typeIjLj2EENS0_17counting_iteratorIjlEEPS9_SG_NS0_5tupleIJPjSI_NS0_16reverse_iteratorISI_EEEEENSH_IJSG_SG_SG_EEES9_SI_JZNS1_25segmented_radix_sort_implINS0_14default_configELb0EPKbPbPKlPlN2at6native12_GLOBAL__N_18offset_tEEE10hipError_tPvRmT1_PNSt15iterator_traitsIS12_E10value_typeET2_T3_PNS13_IS18_E10value_typeET4_jRbjT5_S1E_jjP12ihipStream_tbEUljE_ZNSN_ISO_Lb0ESQ_SR_ST_SU_SY_EESZ_S10_S11_S12_S16_S17_S18_S1B_S1C_jS1D_jS1E_S1E_jjS1G_bEUljE0_EEESZ_S10_S11_S18_S1C_S1E_T6_T7_T9_mT8_S1G_bDpT10_ENKUlT_T0_E_clISt17integral_constantIbLb1EES1U_EEDaS1P_S1Q_EUlS1P_E_NS1_11comp_targetILNS1_3genE10ELNS1_11target_archE1200ELNS1_3gpuE4ELNS1_3repE0EEENS1_30default_config_static_selectorELNS0_4arch9wavefront6targetE1EEEvS12_.num_vgpr, 0
	.set _ZN7rocprim17ROCPRIM_400000_NS6detail17trampoline_kernelINS0_13select_configILj256ELj13ELNS0_17block_load_methodE3ELS4_3ELS4_3ELNS0_20block_scan_algorithmE0ELj4294967295EEENS1_25partition_config_selectorILNS1_17partition_subalgoE4EjNS0_10empty_typeEbEEZZNS1_14partition_implILS8_4ELb0ES6_15HIP_vector_typeIjLj2EENS0_17counting_iteratorIjlEEPS9_SG_NS0_5tupleIJPjSI_NS0_16reverse_iteratorISI_EEEEENSH_IJSG_SG_SG_EEES9_SI_JZNS1_25segmented_radix_sort_implINS0_14default_configELb0EPKbPbPKlPlN2at6native12_GLOBAL__N_18offset_tEEE10hipError_tPvRmT1_PNSt15iterator_traitsIS12_E10value_typeET2_T3_PNS13_IS18_E10value_typeET4_jRbjT5_S1E_jjP12ihipStream_tbEUljE_ZNSN_ISO_Lb0ESQ_SR_ST_SU_SY_EESZ_S10_S11_S12_S16_S17_S18_S1B_S1C_jS1D_jS1E_S1E_jjS1G_bEUljE0_EEESZ_S10_S11_S18_S1C_S1E_T6_T7_T9_mT8_S1G_bDpT10_ENKUlT_T0_E_clISt17integral_constantIbLb1EES1U_EEDaS1P_S1Q_EUlS1P_E_NS1_11comp_targetILNS1_3genE10ELNS1_11target_archE1200ELNS1_3gpuE4ELNS1_3repE0EEENS1_30default_config_static_selectorELNS0_4arch9wavefront6targetE1EEEvS12_.num_agpr, 0
	.set _ZN7rocprim17ROCPRIM_400000_NS6detail17trampoline_kernelINS0_13select_configILj256ELj13ELNS0_17block_load_methodE3ELS4_3ELS4_3ELNS0_20block_scan_algorithmE0ELj4294967295EEENS1_25partition_config_selectorILNS1_17partition_subalgoE4EjNS0_10empty_typeEbEEZZNS1_14partition_implILS8_4ELb0ES6_15HIP_vector_typeIjLj2EENS0_17counting_iteratorIjlEEPS9_SG_NS0_5tupleIJPjSI_NS0_16reverse_iteratorISI_EEEEENSH_IJSG_SG_SG_EEES9_SI_JZNS1_25segmented_radix_sort_implINS0_14default_configELb0EPKbPbPKlPlN2at6native12_GLOBAL__N_18offset_tEEE10hipError_tPvRmT1_PNSt15iterator_traitsIS12_E10value_typeET2_T3_PNS13_IS18_E10value_typeET4_jRbjT5_S1E_jjP12ihipStream_tbEUljE_ZNSN_ISO_Lb0ESQ_SR_ST_SU_SY_EESZ_S10_S11_S12_S16_S17_S18_S1B_S1C_jS1D_jS1E_S1E_jjS1G_bEUljE0_EEESZ_S10_S11_S18_S1C_S1E_T6_T7_T9_mT8_S1G_bDpT10_ENKUlT_T0_E_clISt17integral_constantIbLb1EES1U_EEDaS1P_S1Q_EUlS1P_E_NS1_11comp_targetILNS1_3genE10ELNS1_11target_archE1200ELNS1_3gpuE4ELNS1_3repE0EEENS1_30default_config_static_selectorELNS0_4arch9wavefront6targetE1EEEvS12_.numbered_sgpr, 0
	.set _ZN7rocprim17ROCPRIM_400000_NS6detail17trampoline_kernelINS0_13select_configILj256ELj13ELNS0_17block_load_methodE3ELS4_3ELS4_3ELNS0_20block_scan_algorithmE0ELj4294967295EEENS1_25partition_config_selectorILNS1_17partition_subalgoE4EjNS0_10empty_typeEbEEZZNS1_14partition_implILS8_4ELb0ES6_15HIP_vector_typeIjLj2EENS0_17counting_iteratorIjlEEPS9_SG_NS0_5tupleIJPjSI_NS0_16reverse_iteratorISI_EEEEENSH_IJSG_SG_SG_EEES9_SI_JZNS1_25segmented_radix_sort_implINS0_14default_configELb0EPKbPbPKlPlN2at6native12_GLOBAL__N_18offset_tEEE10hipError_tPvRmT1_PNSt15iterator_traitsIS12_E10value_typeET2_T3_PNS13_IS18_E10value_typeET4_jRbjT5_S1E_jjP12ihipStream_tbEUljE_ZNSN_ISO_Lb0ESQ_SR_ST_SU_SY_EESZ_S10_S11_S12_S16_S17_S18_S1B_S1C_jS1D_jS1E_S1E_jjS1G_bEUljE0_EEESZ_S10_S11_S18_S1C_S1E_T6_T7_T9_mT8_S1G_bDpT10_ENKUlT_T0_E_clISt17integral_constantIbLb1EES1U_EEDaS1P_S1Q_EUlS1P_E_NS1_11comp_targetILNS1_3genE10ELNS1_11target_archE1200ELNS1_3gpuE4ELNS1_3repE0EEENS1_30default_config_static_selectorELNS0_4arch9wavefront6targetE1EEEvS12_.num_named_barrier, 0
	.set _ZN7rocprim17ROCPRIM_400000_NS6detail17trampoline_kernelINS0_13select_configILj256ELj13ELNS0_17block_load_methodE3ELS4_3ELS4_3ELNS0_20block_scan_algorithmE0ELj4294967295EEENS1_25partition_config_selectorILNS1_17partition_subalgoE4EjNS0_10empty_typeEbEEZZNS1_14partition_implILS8_4ELb0ES6_15HIP_vector_typeIjLj2EENS0_17counting_iteratorIjlEEPS9_SG_NS0_5tupleIJPjSI_NS0_16reverse_iteratorISI_EEEEENSH_IJSG_SG_SG_EEES9_SI_JZNS1_25segmented_radix_sort_implINS0_14default_configELb0EPKbPbPKlPlN2at6native12_GLOBAL__N_18offset_tEEE10hipError_tPvRmT1_PNSt15iterator_traitsIS12_E10value_typeET2_T3_PNS13_IS18_E10value_typeET4_jRbjT5_S1E_jjP12ihipStream_tbEUljE_ZNSN_ISO_Lb0ESQ_SR_ST_SU_SY_EESZ_S10_S11_S12_S16_S17_S18_S1B_S1C_jS1D_jS1E_S1E_jjS1G_bEUljE0_EEESZ_S10_S11_S18_S1C_S1E_T6_T7_T9_mT8_S1G_bDpT10_ENKUlT_T0_E_clISt17integral_constantIbLb1EES1U_EEDaS1P_S1Q_EUlS1P_E_NS1_11comp_targetILNS1_3genE10ELNS1_11target_archE1200ELNS1_3gpuE4ELNS1_3repE0EEENS1_30default_config_static_selectorELNS0_4arch9wavefront6targetE1EEEvS12_.private_seg_size, 0
	.set _ZN7rocprim17ROCPRIM_400000_NS6detail17trampoline_kernelINS0_13select_configILj256ELj13ELNS0_17block_load_methodE3ELS4_3ELS4_3ELNS0_20block_scan_algorithmE0ELj4294967295EEENS1_25partition_config_selectorILNS1_17partition_subalgoE4EjNS0_10empty_typeEbEEZZNS1_14partition_implILS8_4ELb0ES6_15HIP_vector_typeIjLj2EENS0_17counting_iteratorIjlEEPS9_SG_NS0_5tupleIJPjSI_NS0_16reverse_iteratorISI_EEEEENSH_IJSG_SG_SG_EEES9_SI_JZNS1_25segmented_radix_sort_implINS0_14default_configELb0EPKbPbPKlPlN2at6native12_GLOBAL__N_18offset_tEEE10hipError_tPvRmT1_PNSt15iterator_traitsIS12_E10value_typeET2_T3_PNS13_IS18_E10value_typeET4_jRbjT5_S1E_jjP12ihipStream_tbEUljE_ZNSN_ISO_Lb0ESQ_SR_ST_SU_SY_EESZ_S10_S11_S12_S16_S17_S18_S1B_S1C_jS1D_jS1E_S1E_jjS1G_bEUljE0_EEESZ_S10_S11_S18_S1C_S1E_T6_T7_T9_mT8_S1G_bDpT10_ENKUlT_T0_E_clISt17integral_constantIbLb1EES1U_EEDaS1P_S1Q_EUlS1P_E_NS1_11comp_targetILNS1_3genE10ELNS1_11target_archE1200ELNS1_3gpuE4ELNS1_3repE0EEENS1_30default_config_static_selectorELNS0_4arch9wavefront6targetE1EEEvS12_.uses_vcc, 0
	.set _ZN7rocprim17ROCPRIM_400000_NS6detail17trampoline_kernelINS0_13select_configILj256ELj13ELNS0_17block_load_methodE3ELS4_3ELS4_3ELNS0_20block_scan_algorithmE0ELj4294967295EEENS1_25partition_config_selectorILNS1_17partition_subalgoE4EjNS0_10empty_typeEbEEZZNS1_14partition_implILS8_4ELb0ES6_15HIP_vector_typeIjLj2EENS0_17counting_iteratorIjlEEPS9_SG_NS0_5tupleIJPjSI_NS0_16reverse_iteratorISI_EEEEENSH_IJSG_SG_SG_EEES9_SI_JZNS1_25segmented_radix_sort_implINS0_14default_configELb0EPKbPbPKlPlN2at6native12_GLOBAL__N_18offset_tEEE10hipError_tPvRmT1_PNSt15iterator_traitsIS12_E10value_typeET2_T3_PNS13_IS18_E10value_typeET4_jRbjT5_S1E_jjP12ihipStream_tbEUljE_ZNSN_ISO_Lb0ESQ_SR_ST_SU_SY_EESZ_S10_S11_S12_S16_S17_S18_S1B_S1C_jS1D_jS1E_S1E_jjS1G_bEUljE0_EEESZ_S10_S11_S18_S1C_S1E_T6_T7_T9_mT8_S1G_bDpT10_ENKUlT_T0_E_clISt17integral_constantIbLb1EES1U_EEDaS1P_S1Q_EUlS1P_E_NS1_11comp_targetILNS1_3genE10ELNS1_11target_archE1200ELNS1_3gpuE4ELNS1_3repE0EEENS1_30default_config_static_selectorELNS0_4arch9wavefront6targetE1EEEvS12_.uses_flat_scratch, 0
	.set _ZN7rocprim17ROCPRIM_400000_NS6detail17trampoline_kernelINS0_13select_configILj256ELj13ELNS0_17block_load_methodE3ELS4_3ELS4_3ELNS0_20block_scan_algorithmE0ELj4294967295EEENS1_25partition_config_selectorILNS1_17partition_subalgoE4EjNS0_10empty_typeEbEEZZNS1_14partition_implILS8_4ELb0ES6_15HIP_vector_typeIjLj2EENS0_17counting_iteratorIjlEEPS9_SG_NS0_5tupleIJPjSI_NS0_16reverse_iteratorISI_EEEEENSH_IJSG_SG_SG_EEES9_SI_JZNS1_25segmented_radix_sort_implINS0_14default_configELb0EPKbPbPKlPlN2at6native12_GLOBAL__N_18offset_tEEE10hipError_tPvRmT1_PNSt15iterator_traitsIS12_E10value_typeET2_T3_PNS13_IS18_E10value_typeET4_jRbjT5_S1E_jjP12ihipStream_tbEUljE_ZNSN_ISO_Lb0ESQ_SR_ST_SU_SY_EESZ_S10_S11_S12_S16_S17_S18_S1B_S1C_jS1D_jS1E_S1E_jjS1G_bEUljE0_EEESZ_S10_S11_S18_S1C_S1E_T6_T7_T9_mT8_S1G_bDpT10_ENKUlT_T0_E_clISt17integral_constantIbLb1EES1U_EEDaS1P_S1Q_EUlS1P_E_NS1_11comp_targetILNS1_3genE10ELNS1_11target_archE1200ELNS1_3gpuE4ELNS1_3repE0EEENS1_30default_config_static_selectorELNS0_4arch9wavefront6targetE1EEEvS12_.has_dyn_sized_stack, 0
	.set _ZN7rocprim17ROCPRIM_400000_NS6detail17trampoline_kernelINS0_13select_configILj256ELj13ELNS0_17block_load_methodE3ELS4_3ELS4_3ELNS0_20block_scan_algorithmE0ELj4294967295EEENS1_25partition_config_selectorILNS1_17partition_subalgoE4EjNS0_10empty_typeEbEEZZNS1_14partition_implILS8_4ELb0ES6_15HIP_vector_typeIjLj2EENS0_17counting_iteratorIjlEEPS9_SG_NS0_5tupleIJPjSI_NS0_16reverse_iteratorISI_EEEEENSH_IJSG_SG_SG_EEES9_SI_JZNS1_25segmented_radix_sort_implINS0_14default_configELb0EPKbPbPKlPlN2at6native12_GLOBAL__N_18offset_tEEE10hipError_tPvRmT1_PNSt15iterator_traitsIS12_E10value_typeET2_T3_PNS13_IS18_E10value_typeET4_jRbjT5_S1E_jjP12ihipStream_tbEUljE_ZNSN_ISO_Lb0ESQ_SR_ST_SU_SY_EESZ_S10_S11_S12_S16_S17_S18_S1B_S1C_jS1D_jS1E_S1E_jjS1G_bEUljE0_EEESZ_S10_S11_S18_S1C_S1E_T6_T7_T9_mT8_S1G_bDpT10_ENKUlT_T0_E_clISt17integral_constantIbLb1EES1U_EEDaS1P_S1Q_EUlS1P_E_NS1_11comp_targetILNS1_3genE10ELNS1_11target_archE1200ELNS1_3gpuE4ELNS1_3repE0EEENS1_30default_config_static_selectorELNS0_4arch9wavefront6targetE1EEEvS12_.has_recursion, 0
	.set _ZN7rocprim17ROCPRIM_400000_NS6detail17trampoline_kernelINS0_13select_configILj256ELj13ELNS0_17block_load_methodE3ELS4_3ELS4_3ELNS0_20block_scan_algorithmE0ELj4294967295EEENS1_25partition_config_selectorILNS1_17partition_subalgoE4EjNS0_10empty_typeEbEEZZNS1_14partition_implILS8_4ELb0ES6_15HIP_vector_typeIjLj2EENS0_17counting_iteratorIjlEEPS9_SG_NS0_5tupleIJPjSI_NS0_16reverse_iteratorISI_EEEEENSH_IJSG_SG_SG_EEES9_SI_JZNS1_25segmented_radix_sort_implINS0_14default_configELb0EPKbPbPKlPlN2at6native12_GLOBAL__N_18offset_tEEE10hipError_tPvRmT1_PNSt15iterator_traitsIS12_E10value_typeET2_T3_PNS13_IS18_E10value_typeET4_jRbjT5_S1E_jjP12ihipStream_tbEUljE_ZNSN_ISO_Lb0ESQ_SR_ST_SU_SY_EESZ_S10_S11_S12_S16_S17_S18_S1B_S1C_jS1D_jS1E_S1E_jjS1G_bEUljE0_EEESZ_S10_S11_S18_S1C_S1E_T6_T7_T9_mT8_S1G_bDpT10_ENKUlT_T0_E_clISt17integral_constantIbLb1EES1U_EEDaS1P_S1Q_EUlS1P_E_NS1_11comp_targetILNS1_3genE10ELNS1_11target_archE1200ELNS1_3gpuE4ELNS1_3repE0EEENS1_30default_config_static_selectorELNS0_4arch9wavefront6targetE1EEEvS12_.has_indirect_call, 0
	.section	.AMDGPU.csdata,"",@progbits
; Kernel info:
; codeLenInByte = 0
; TotalNumSgprs: 4
; NumVgprs: 0
; ScratchSize: 0
; MemoryBound: 0
; FloatMode: 240
; IeeeMode: 1
; LDSByteSize: 0 bytes/workgroup (compile time only)
; SGPRBlocks: 0
; VGPRBlocks: 0
; NumSGPRsForWavesPerEU: 4
; NumVGPRsForWavesPerEU: 1
; Occupancy: 10
; WaveLimiterHint : 0
; COMPUTE_PGM_RSRC2:SCRATCH_EN: 0
; COMPUTE_PGM_RSRC2:USER_SGPR: 6
; COMPUTE_PGM_RSRC2:TRAP_HANDLER: 0
; COMPUTE_PGM_RSRC2:TGID_X_EN: 1
; COMPUTE_PGM_RSRC2:TGID_Y_EN: 0
; COMPUTE_PGM_RSRC2:TGID_Z_EN: 0
; COMPUTE_PGM_RSRC2:TIDIG_COMP_CNT: 0
	.section	.text._ZN7rocprim17ROCPRIM_400000_NS6detail17trampoline_kernelINS0_13select_configILj256ELj13ELNS0_17block_load_methodE3ELS4_3ELS4_3ELNS0_20block_scan_algorithmE0ELj4294967295EEENS1_25partition_config_selectorILNS1_17partition_subalgoE4EjNS0_10empty_typeEbEEZZNS1_14partition_implILS8_4ELb0ES6_15HIP_vector_typeIjLj2EENS0_17counting_iteratorIjlEEPS9_SG_NS0_5tupleIJPjSI_NS0_16reverse_iteratorISI_EEEEENSH_IJSG_SG_SG_EEES9_SI_JZNS1_25segmented_radix_sort_implINS0_14default_configELb0EPKbPbPKlPlN2at6native12_GLOBAL__N_18offset_tEEE10hipError_tPvRmT1_PNSt15iterator_traitsIS12_E10value_typeET2_T3_PNS13_IS18_E10value_typeET4_jRbjT5_S1E_jjP12ihipStream_tbEUljE_ZNSN_ISO_Lb0ESQ_SR_ST_SU_SY_EESZ_S10_S11_S12_S16_S17_S18_S1B_S1C_jS1D_jS1E_S1E_jjS1G_bEUljE0_EEESZ_S10_S11_S18_S1C_S1E_T6_T7_T9_mT8_S1G_bDpT10_ENKUlT_T0_E_clISt17integral_constantIbLb1EES1U_EEDaS1P_S1Q_EUlS1P_E_NS1_11comp_targetILNS1_3genE9ELNS1_11target_archE1100ELNS1_3gpuE3ELNS1_3repE0EEENS1_30default_config_static_selectorELNS0_4arch9wavefront6targetE1EEEvS12_,"axG",@progbits,_ZN7rocprim17ROCPRIM_400000_NS6detail17trampoline_kernelINS0_13select_configILj256ELj13ELNS0_17block_load_methodE3ELS4_3ELS4_3ELNS0_20block_scan_algorithmE0ELj4294967295EEENS1_25partition_config_selectorILNS1_17partition_subalgoE4EjNS0_10empty_typeEbEEZZNS1_14partition_implILS8_4ELb0ES6_15HIP_vector_typeIjLj2EENS0_17counting_iteratorIjlEEPS9_SG_NS0_5tupleIJPjSI_NS0_16reverse_iteratorISI_EEEEENSH_IJSG_SG_SG_EEES9_SI_JZNS1_25segmented_radix_sort_implINS0_14default_configELb0EPKbPbPKlPlN2at6native12_GLOBAL__N_18offset_tEEE10hipError_tPvRmT1_PNSt15iterator_traitsIS12_E10value_typeET2_T3_PNS13_IS18_E10value_typeET4_jRbjT5_S1E_jjP12ihipStream_tbEUljE_ZNSN_ISO_Lb0ESQ_SR_ST_SU_SY_EESZ_S10_S11_S12_S16_S17_S18_S1B_S1C_jS1D_jS1E_S1E_jjS1G_bEUljE0_EEESZ_S10_S11_S18_S1C_S1E_T6_T7_T9_mT8_S1G_bDpT10_ENKUlT_T0_E_clISt17integral_constantIbLb1EES1U_EEDaS1P_S1Q_EUlS1P_E_NS1_11comp_targetILNS1_3genE9ELNS1_11target_archE1100ELNS1_3gpuE3ELNS1_3repE0EEENS1_30default_config_static_selectorELNS0_4arch9wavefront6targetE1EEEvS12_,comdat
	.globl	_ZN7rocprim17ROCPRIM_400000_NS6detail17trampoline_kernelINS0_13select_configILj256ELj13ELNS0_17block_load_methodE3ELS4_3ELS4_3ELNS0_20block_scan_algorithmE0ELj4294967295EEENS1_25partition_config_selectorILNS1_17partition_subalgoE4EjNS0_10empty_typeEbEEZZNS1_14partition_implILS8_4ELb0ES6_15HIP_vector_typeIjLj2EENS0_17counting_iteratorIjlEEPS9_SG_NS0_5tupleIJPjSI_NS0_16reverse_iteratorISI_EEEEENSH_IJSG_SG_SG_EEES9_SI_JZNS1_25segmented_radix_sort_implINS0_14default_configELb0EPKbPbPKlPlN2at6native12_GLOBAL__N_18offset_tEEE10hipError_tPvRmT1_PNSt15iterator_traitsIS12_E10value_typeET2_T3_PNS13_IS18_E10value_typeET4_jRbjT5_S1E_jjP12ihipStream_tbEUljE_ZNSN_ISO_Lb0ESQ_SR_ST_SU_SY_EESZ_S10_S11_S12_S16_S17_S18_S1B_S1C_jS1D_jS1E_S1E_jjS1G_bEUljE0_EEESZ_S10_S11_S18_S1C_S1E_T6_T7_T9_mT8_S1G_bDpT10_ENKUlT_T0_E_clISt17integral_constantIbLb1EES1U_EEDaS1P_S1Q_EUlS1P_E_NS1_11comp_targetILNS1_3genE9ELNS1_11target_archE1100ELNS1_3gpuE3ELNS1_3repE0EEENS1_30default_config_static_selectorELNS0_4arch9wavefront6targetE1EEEvS12_ ; -- Begin function _ZN7rocprim17ROCPRIM_400000_NS6detail17trampoline_kernelINS0_13select_configILj256ELj13ELNS0_17block_load_methodE3ELS4_3ELS4_3ELNS0_20block_scan_algorithmE0ELj4294967295EEENS1_25partition_config_selectorILNS1_17partition_subalgoE4EjNS0_10empty_typeEbEEZZNS1_14partition_implILS8_4ELb0ES6_15HIP_vector_typeIjLj2EENS0_17counting_iteratorIjlEEPS9_SG_NS0_5tupleIJPjSI_NS0_16reverse_iteratorISI_EEEEENSH_IJSG_SG_SG_EEES9_SI_JZNS1_25segmented_radix_sort_implINS0_14default_configELb0EPKbPbPKlPlN2at6native12_GLOBAL__N_18offset_tEEE10hipError_tPvRmT1_PNSt15iterator_traitsIS12_E10value_typeET2_T3_PNS13_IS18_E10value_typeET4_jRbjT5_S1E_jjP12ihipStream_tbEUljE_ZNSN_ISO_Lb0ESQ_SR_ST_SU_SY_EESZ_S10_S11_S12_S16_S17_S18_S1B_S1C_jS1D_jS1E_S1E_jjS1G_bEUljE0_EEESZ_S10_S11_S18_S1C_S1E_T6_T7_T9_mT8_S1G_bDpT10_ENKUlT_T0_E_clISt17integral_constantIbLb1EES1U_EEDaS1P_S1Q_EUlS1P_E_NS1_11comp_targetILNS1_3genE9ELNS1_11target_archE1100ELNS1_3gpuE3ELNS1_3repE0EEENS1_30default_config_static_selectorELNS0_4arch9wavefront6targetE1EEEvS12_
	.p2align	8
	.type	_ZN7rocprim17ROCPRIM_400000_NS6detail17trampoline_kernelINS0_13select_configILj256ELj13ELNS0_17block_load_methodE3ELS4_3ELS4_3ELNS0_20block_scan_algorithmE0ELj4294967295EEENS1_25partition_config_selectorILNS1_17partition_subalgoE4EjNS0_10empty_typeEbEEZZNS1_14partition_implILS8_4ELb0ES6_15HIP_vector_typeIjLj2EENS0_17counting_iteratorIjlEEPS9_SG_NS0_5tupleIJPjSI_NS0_16reverse_iteratorISI_EEEEENSH_IJSG_SG_SG_EEES9_SI_JZNS1_25segmented_radix_sort_implINS0_14default_configELb0EPKbPbPKlPlN2at6native12_GLOBAL__N_18offset_tEEE10hipError_tPvRmT1_PNSt15iterator_traitsIS12_E10value_typeET2_T3_PNS13_IS18_E10value_typeET4_jRbjT5_S1E_jjP12ihipStream_tbEUljE_ZNSN_ISO_Lb0ESQ_SR_ST_SU_SY_EESZ_S10_S11_S12_S16_S17_S18_S1B_S1C_jS1D_jS1E_S1E_jjS1G_bEUljE0_EEESZ_S10_S11_S18_S1C_S1E_T6_T7_T9_mT8_S1G_bDpT10_ENKUlT_T0_E_clISt17integral_constantIbLb1EES1U_EEDaS1P_S1Q_EUlS1P_E_NS1_11comp_targetILNS1_3genE9ELNS1_11target_archE1100ELNS1_3gpuE3ELNS1_3repE0EEENS1_30default_config_static_selectorELNS0_4arch9wavefront6targetE1EEEvS12_,@function
_ZN7rocprim17ROCPRIM_400000_NS6detail17trampoline_kernelINS0_13select_configILj256ELj13ELNS0_17block_load_methodE3ELS4_3ELS4_3ELNS0_20block_scan_algorithmE0ELj4294967295EEENS1_25partition_config_selectorILNS1_17partition_subalgoE4EjNS0_10empty_typeEbEEZZNS1_14partition_implILS8_4ELb0ES6_15HIP_vector_typeIjLj2EENS0_17counting_iteratorIjlEEPS9_SG_NS0_5tupleIJPjSI_NS0_16reverse_iteratorISI_EEEEENSH_IJSG_SG_SG_EEES9_SI_JZNS1_25segmented_radix_sort_implINS0_14default_configELb0EPKbPbPKlPlN2at6native12_GLOBAL__N_18offset_tEEE10hipError_tPvRmT1_PNSt15iterator_traitsIS12_E10value_typeET2_T3_PNS13_IS18_E10value_typeET4_jRbjT5_S1E_jjP12ihipStream_tbEUljE_ZNSN_ISO_Lb0ESQ_SR_ST_SU_SY_EESZ_S10_S11_S12_S16_S17_S18_S1B_S1C_jS1D_jS1E_S1E_jjS1G_bEUljE0_EEESZ_S10_S11_S18_S1C_S1E_T6_T7_T9_mT8_S1G_bDpT10_ENKUlT_T0_E_clISt17integral_constantIbLb1EES1U_EEDaS1P_S1Q_EUlS1P_E_NS1_11comp_targetILNS1_3genE9ELNS1_11target_archE1100ELNS1_3gpuE3ELNS1_3repE0EEENS1_30default_config_static_selectorELNS0_4arch9wavefront6targetE1EEEvS12_: ; @_ZN7rocprim17ROCPRIM_400000_NS6detail17trampoline_kernelINS0_13select_configILj256ELj13ELNS0_17block_load_methodE3ELS4_3ELS4_3ELNS0_20block_scan_algorithmE0ELj4294967295EEENS1_25partition_config_selectorILNS1_17partition_subalgoE4EjNS0_10empty_typeEbEEZZNS1_14partition_implILS8_4ELb0ES6_15HIP_vector_typeIjLj2EENS0_17counting_iteratorIjlEEPS9_SG_NS0_5tupleIJPjSI_NS0_16reverse_iteratorISI_EEEEENSH_IJSG_SG_SG_EEES9_SI_JZNS1_25segmented_radix_sort_implINS0_14default_configELb0EPKbPbPKlPlN2at6native12_GLOBAL__N_18offset_tEEE10hipError_tPvRmT1_PNSt15iterator_traitsIS12_E10value_typeET2_T3_PNS13_IS18_E10value_typeET4_jRbjT5_S1E_jjP12ihipStream_tbEUljE_ZNSN_ISO_Lb0ESQ_SR_ST_SU_SY_EESZ_S10_S11_S12_S16_S17_S18_S1B_S1C_jS1D_jS1E_S1E_jjS1G_bEUljE0_EEESZ_S10_S11_S18_S1C_S1E_T6_T7_T9_mT8_S1G_bDpT10_ENKUlT_T0_E_clISt17integral_constantIbLb1EES1U_EEDaS1P_S1Q_EUlS1P_E_NS1_11comp_targetILNS1_3genE9ELNS1_11target_archE1100ELNS1_3gpuE3ELNS1_3repE0EEENS1_30default_config_static_selectorELNS0_4arch9wavefront6targetE1EEEvS12_
; %bb.0:
	.section	.rodata,"a",@progbits
	.p2align	6, 0x0
	.amdhsa_kernel _ZN7rocprim17ROCPRIM_400000_NS6detail17trampoline_kernelINS0_13select_configILj256ELj13ELNS0_17block_load_methodE3ELS4_3ELS4_3ELNS0_20block_scan_algorithmE0ELj4294967295EEENS1_25partition_config_selectorILNS1_17partition_subalgoE4EjNS0_10empty_typeEbEEZZNS1_14partition_implILS8_4ELb0ES6_15HIP_vector_typeIjLj2EENS0_17counting_iteratorIjlEEPS9_SG_NS0_5tupleIJPjSI_NS0_16reverse_iteratorISI_EEEEENSH_IJSG_SG_SG_EEES9_SI_JZNS1_25segmented_radix_sort_implINS0_14default_configELb0EPKbPbPKlPlN2at6native12_GLOBAL__N_18offset_tEEE10hipError_tPvRmT1_PNSt15iterator_traitsIS12_E10value_typeET2_T3_PNS13_IS18_E10value_typeET4_jRbjT5_S1E_jjP12ihipStream_tbEUljE_ZNSN_ISO_Lb0ESQ_SR_ST_SU_SY_EESZ_S10_S11_S12_S16_S17_S18_S1B_S1C_jS1D_jS1E_S1E_jjS1G_bEUljE0_EEESZ_S10_S11_S18_S1C_S1E_T6_T7_T9_mT8_S1G_bDpT10_ENKUlT_T0_E_clISt17integral_constantIbLb1EES1U_EEDaS1P_S1Q_EUlS1P_E_NS1_11comp_targetILNS1_3genE9ELNS1_11target_archE1100ELNS1_3gpuE3ELNS1_3repE0EEENS1_30default_config_static_selectorELNS0_4arch9wavefront6targetE1EEEvS12_
		.amdhsa_group_segment_fixed_size 0
		.amdhsa_private_segment_fixed_size 0
		.amdhsa_kernarg_size 184
		.amdhsa_user_sgpr_count 6
		.amdhsa_user_sgpr_private_segment_buffer 1
		.amdhsa_user_sgpr_dispatch_ptr 0
		.amdhsa_user_sgpr_queue_ptr 0
		.amdhsa_user_sgpr_kernarg_segment_ptr 1
		.amdhsa_user_sgpr_dispatch_id 0
		.amdhsa_user_sgpr_flat_scratch_init 0
		.amdhsa_user_sgpr_private_segment_size 0
		.amdhsa_uses_dynamic_stack 0
		.amdhsa_system_sgpr_private_segment_wavefront_offset 0
		.amdhsa_system_sgpr_workgroup_id_x 1
		.amdhsa_system_sgpr_workgroup_id_y 0
		.amdhsa_system_sgpr_workgroup_id_z 0
		.amdhsa_system_sgpr_workgroup_info 0
		.amdhsa_system_vgpr_workitem_id 0
		.amdhsa_next_free_vgpr 1
		.amdhsa_next_free_sgpr 0
		.amdhsa_reserve_vcc 0
		.amdhsa_reserve_flat_scratch 0
		.amdhsa_float_round_mode_32 0
		.amdhsa_float_round_mode_16_64 0
		.amdhsa_float_denorm_mode_32 3
		.amdhsa_float_denorm_mode_16_64 3
		.amdhsa_dx10_clamp 1
		.amdhsa_ieee_mode 1
		.amdhsa_fp16_overflow 0
		.amdhsa_exception_fp_ieee_invalid_op 0
		.amdhsa_exception_fp_denorm_src 0
		.amdhsa_exception_fp_ieee_div_zero 0
		.amdhsa_exception_fp_ieee_overflow 0
		.amdhsa_exception_fp_ieee_underflow 0
		.amdhsa_exception_fp_ieee_inexact 0
		.amdhsa_exception_int_div_zero 0
	.end_amdhsa_kernel
	.section	.text._ZN7rocprim17ROCPRIM_400000_NS6detail17trampoline_kernelINS0_13select_configILj256ELj13ELNS0_17block_load_methodE3ELS4_3ELS4_3ELNS0_20block_scan_algorithmE0ELj4294967295EEENS1_25partition_config_selectorILNS1_17partition_subalgoE4EjNS0_10empty_typeEbEEZZNS1_14partition_implILS8_4ELb0ES6_15HIP_vector_typeIjLj2EENS0_17counting_iteratorIjlEEPS9_SG_NS0_5tupleIJPjSI_NS0_16reverse_iteratorISI_EEEEENSH_IJSG_SG_SG_EEES9_SI_JZNS1_25segmented_radix_sort_implINS0_14default_configELb0EPKbPbPKlPlN2at6native12_GLOBAL__N_18offset_tEEE10hipError_tPvRmT1_PNSt15iterator_traitsIS12_E10value_typeET2_T3_PNS13_IS18_E10value_typeET4_jRbjT5_S1E_jjP12ihipStream_tbEUljE_ZNSN_ISO_Lb0ESQ_SR_ST_SU_SY_EESZ_S10_S11_S12_S16_S17_S18_S1B_S1C_jS1D_jS1E_S1E_jjS1G_bEUljE0_EEESZ_S10_S11_S18_S1C_S1E_T6_T7_T9_mT8_S1G_bDpT10_ENKUlT_T0_E_clISt17integral_constantIbLb1EES1U_EEDaS1P_S1Q_EUlS1P_E_NS1_11comp_targetILNS1_3genE9ELNS1_11target_archE1100ELNS1_3gpuE3ELNS1_3repE0EEENS1_30default_config_static_selectorELNS0_4arch9wavefront6targetE1EEEvS12_,"axG",@progbits,_ZN7rocprim17ROCPRIM_400000_NS6detail17trampoline_kernelINS0_13select_configILj256ELj13ELNS0_17block_load_methodE3ELS4_3ELS4_3ELNS0_20block_scan_algorithmE0ELj4294967295EEENS1_25partition_config_selectorILNS1_17partition_subalgoE4EjNS0_10empty_typeEbEEZZNS1_14partition_implILS8_4ELb0ES6_15HIP_vector_typeIjLj2EENS0_17counting_iteratorIjlEEPS9_SG_NS0_5tupleIJPjSI_NS0_16reverse_iteratorISI_EEEEENSH_IJSG_SG_SG_EEES9_SI_JZNS1_25segmented_radix_sort_implINS0_14default_configELb0EPKbPbPKlPlN2at6native12_GLOBAL__N_18offset_tEEE10hipError_tPvRmT1_PNSt15iterator_traitsIS12_E10value_typeET2_T3_PNS13_IS18_E10value_typeET4_jRbjT5_S1E_jjP12ihipStream_tbEUljE_ZNSN_ISO_Lb0ESQ_SR_ST_SU_SY_EESZ_S10_S11_S12_S16_S17_S18_S1B_S1C_jS1D_jS1E_S1E_jjS1G_bEUljE0_EEESZ_S10_S11_S18_S1C_S1E_T6_T7_T9_mT8_S1G_bDpT10_ENKUlT_T0_E_clISt17integral_constantIbLb1EES1U_EEDaS1P_S1Q_EUlS1P_E_NS1_11comp_targetILNS1_3genE9ELNS1_11target_archE1100ELNS1_3gpuE3ELNS1_3repE0EEENS1_30default_config_static_selectorELNS0_4arch9wavefront6targetE1EEEvS12_,comdat
.Lfunc_end1585:
	.size	_ZN7rocprim17ROCPRIM_400000_NS6detail17trampoline_kernelINS0_13select_configILj256ELj13ELNS0_17block_load_methodE3ELS4_3ELS4_3ELNS0_20block_scan_algorithmE0ELj4294967295EEENS1_25partition_config_selectorILNS1_17partition_subalgoE4EjNS0_10empty_typeEbEEZZNS1_14partition_implILS8_4ELb0ES6_15HIP_vector_typeIjLj2EENS0_17counting_iteratorIjlEEPS9_SG_NS0_5tupleIJPjSI_NS0_16reverse_iteratorISI_EEEEENSH_IJSG_SG_SG_EEES9_SI_JZNS1_25segmented_radix_sort_implINS0_14default_configELb0EPKbPbPKlPlN2at6native12_GLOBAL__N_18offset_tEEE10hipError_tPvRmT1_PNSt15iterator_traitsIS12_E10value_typeET2_T3_PNS13_IS18_E10value_typeET4_jRbjT5_S1E_jjP12ihipStream_tbEUljE_ZNSN_ISO_Lb0ESQ_SR_ST_SU_SY_EESZ_S10_S11_S12_S16_S17_S18_S1B_S1C_jS1D_jS1E_S1E_jjS1G_bEUljE0_EEESZ_S10_S11_S18_S1C_S1E_T6_T7_T9_mT8_S1G_bDpT10_ENKUlT_T0_E_clISt17integral_constantIbLb1EES1U_EEDaS1P_S1Q_EUlS1P_E_NS1_11comp_targetILNS1_3genE9ELNS1_11target_archE1100ELNS1_3gpuE3ELNS1_3repE0EEENS1_30default_config_static_selectorELNS0_4arch9wavefront6targetE1EEEvS12_, .Lfunc_end1585-_ZN7rocprim17ROCPRIM_400000_NS6detail17trampoline_kernelINS0_13select_configILj256ELj13ELNS0_17block_load_methodE3ELS4_3ELS4_3ELNS0_20block_scan_algorithmE0ELj4294967295EEENS1_25partition_config_selectorILNS1_17partition_subalgoE4EjNS0_10empty_typeEbEEZZNS1_14partition_implILS8_4ELb0ES6_15HIP_vector_typeIjLj2EENS0_17counting_iteratorIjlEEPS9_SG_NS0_5tupleIJPjSI_NS0_16reverse_iteratorISI_EEEEENSH_IJSG_SG_SG_EEES9_SI_JZNS1_25segmented_radix_sort_implINS0_14default_configELb0EPKbPbPKlPlN2at6native12_GLOBAL__N_18offset_tEEE10hipError_tPvRmT1_PNSt15iterator_traitsIS12_E10value_typeET2_T3_PNS13_IS18_E10value_typeET4_jRbjT5_S1E_jjP12ihipStream_tbEUljE_ZNSN_ISO_Lb0ESQ_SR_ST_SU_SY_EESZ_S10_S11_S12_S16_S17_S18_S1B_S1C_jS1D_jS1E_S1E_jjS1G_bEUljE0_EEESZ_S10_S11_S18_S1C_S1E_T6_T7_T9_mT8_S1G_bDpT10_ENKUlT_T0_E_clISt17integral_constantIbLb1EES1U_EEDaS1P_S1Q_EUlS1P_E_NS1_11comp_targetILNS1_3genE9ELNS1_11target_archE1100ELNS1_3gpuE3ELNS1_3repE0EEENS1_30default_config_static_selectorELNS0_4arch9wavefront6targetE1EEEvS12_
                                        ; -- End function
	.set _ZN7rocprim17ROCPRIM_400000_NS6detail17trampoline_kernelINS0_13select_configILj256ELj13ELNS0_17block_load_methodE3ELS4_3ELS4_3ELNS0_20block_scan_algorithmE0ELj4294967295EEENS1_25partition_config_selectorILNS1_17partition_subalgoE4EjNS0_10empty_typeEbEEZZNS1_14partition_implILS8_4ELb0ES6_15HIP_vector_typeIjLj2EENS0_17counting_iteratorIjlEEPS9_SG_NS0_5tupleIJPjSI_NS0_16reverse_iteratorISI_EEEEENSH_IJSG_SG_SG_EEES9_SI_JZNS1_25segmented_radix_sort_implINS0_14default_configELb0EPKbPbPKlPlN2at6native12_GLOBAL__N_18offset_tEEE10hipError_tPvRmT1_PNSt15iterator_traitsIS12_E10value_typeET2_T3_PNS13_IS18_E10value_typeET4_jRbjT5_S1E_jjP12ihipStream_tbEUljE_ZNSN_ISO_Lb0ESQ_SR_ST_SU_SY_EESZ_S10_S11_S12_S16_S17_S18_S1B_S1C_jS1D_jS1E_S1E_jjS1G_bEUljE0_EEESZ_S10_S11_S18_S1C_S1E_T6_T7_T9_mT8_S1G_bDpT10_ENKUlT_T0_E_clISt17integral_constantIbLb1EES1U_EEDaS1P_S1Q_EUlS1P_E_NS1_11comp_targetILNS1_3genE9ELNS1_11target_archE1100ELNS1_3gpuE3ELNS1_3repE0EEENS1_30default_config_static_selectorELNS0_4arch9wavefront6targetE1EEEvS12_.num_vgpr, 0
	.set _ZN7rocprim17ROCPRIM_400000_NS6detail17trampoline_kernelINS0_13select_configILj256ELj13ELNS0_17block_load_methodE3ELS4_3ELS4_3ELNS0_20block_scan_algorithmE0ELj4294967295EEENS1_25partition_config_selectorILNS1_17partition_subalgoE4EjNS0_10empty_typeEbEEZZNS1_14partition_implILS8_4ELb0ES6_15HIP_vector_typeIjLj2EENS0_17counting_iteratorIjlEEPS9_SG_NS0_5tupleIJPjSI_NS0_16reverse_iteratorISI_EEEEENSH_IJSG_SG_SG_EEES9_SI_JZNS1_25segmented_radix_sort_implINS0_14default_configELb0EPKbPbPKlPlN2at6native12_GLOBAL__N_18offset_tEEE10hipError_tPvRmT1_PNSt15iterator_traitsIS12_E10value_typeET2_T3_PNS13_IS18_E10value_typeET4_jRbjT5_S1E_jjP12ihipStream_tbEUljE_ZNSN_ISO_Lb0ESQ_SR_ST_SU_SY_EESZ_S10_S11_S12_S16_S17_S18_S1B_S1C_jS1D_jS1E_S1E_jjS1G_bEUljE0_EEESZ_S10_S11_S18_S1C_S1E_T6_T7_T9_mT8_S1G_bDpT10_ENKUlT_T0_E_clISt17integral_constantIbLb1EES1U_EEDaS1P_S1Q_EUlS1P_E_NS1_11comp_targetILNS1_3genE9ELNS1_11target_archE1100ELNS1_3gpuE3ELNS1_3repE0EEENS1_30default_config_static_selectorELNS0_4arch9wavefront6targetE1EEEvS12_.num_agpr, 0
	.set _ZN7rocprim17ROCPRIM_400000_NS6detail17trampoline_kernelINS0_13select_configILj256ELj13ELNS0_17block_load_methodE3ELS4_3ELS4_3ELNS0_20block_scan_algorithmE0ELj4294967295EEENS1_25partition_config_selectorILNS1_17partition_subalgoE4EjNS0_10empty_typeEbEEZZNS1_14partition_implILS8_4ELb0ES6_15HIP_vector_typeIjLj2EENS0_17counting_iteratorIjlEEPS9_SG_NS0_5tupleIJPjSI_NS0_16reverse_iteratorISI_EEEEENSH_IJSG_SG_SG_EEES9_SI_JZNS1_25segmented_radix_sort_implINS0_14default_configELb0EPKbPbPKlPlN2at6native12_GLOBAL__N_18offset_tEEE10hipError_tPvRmT1_PNSt15iterator_traitsIS12_E10value_typeET2_T3_PNS13_IS18_E10value_typeET4_jRbjT5_S1E_jjP12ihipStream_tbEUljE_ZNSN_ISO_Lb0ESQ_SR_ST_SU_SY_EESZ_S10_S11_S12_S16_S17_S18_S1B_S1C_jS1D_jS1E_S1E_jjS1G_bEUljE0_EEESZ_S10_S11_S18_S1C_S1E_T6_T7_T9_mT8_S1G_bDpT10_ENKUlT_T0_E_clISt17integral_constantIbLb1EES1U_EEDaS1P_S1Q_EUlS1P_E_NS1_11comp_targetILNS1_3genE9ELNS1_11target_archE1100ELNS1_3gpuE3ELNS1_3repE0EEENS1_30default_config_static_selectorELNS0_4arch9wavefront6targetE1EEEvS12_.numbered_sgpr, 0
	.set _ZN7rocprim17ROCPRIM_400000_NS6detail17trampoline_kernelINS0_13select_configILj256ELj13ELNS0_17block_load_methodE3ELS4_3ELS4_3ELNS0_20block_scan_algorithmE0ELj4294967295EEENS1_25partition_config_selectorILNS1_17partition_subalgoE4EjNS0_10empty_typeEbEEZZNS1_14partition_implILS8_4ELb0ES6_15HIP_vector_typeIjLj2EENS0_17counting_iteratorIjlEEPS9_SG_NS0_5tupleIJPjSI_NS0_16reverse_iteratorISI_EEEEENSH_IJSG_SG_SG_EEES9_SI_JZNS1_25segmented_radix_sort_implINS0_14default_configELb0EPKbPbPKlPlN2at6native12_GLOBAL__N_18offset_tEEE10hipError_tPvRmT1_PNSt15iterator_traitsIS12_E10value_typeET2_T3_PNS13_IS18_E10value_typeET4_jRbjT5_S1E_jjP12ihipStream_tbEUljE_ZNSN_ISO_Lb0ESQ_SR_ST_SU_SY_EESZ_S10_S11_S12_S16_S17_S18_S1B_S1C_jS1D_jS1E_S1E_jjS1G_bEUljE0_EEESZ_S10_S11_S18_S1C_S1E_T6_T7_T9_mT8_S1G_bDpT10_ENKUlT_T0_E_clISt17integral_constantIbLb1EES1U_EEDaS1P_S1Q_EUlS1P_E_NS1_11comp_targetILNS1_3genE9ELNS1_11target_archE1100ELNS1_3gpuE3ELNS1_3repE0EEENS1_30default_config_static_selectorELNS0_4arch9wavefront6targetE1EEEvS12_.num_named_barrier, 0
	.set _ZN7rocprim17ROCPRIM_400000_NS6detail17trampoline_kernelINS0_13select_configILj256ELj13ELNS0_17block_load_methodE3ELS4_3ELS4_3ELNS0_20block_scan_algorithmE0ELj4294967295EEENS1_25partition_config_selectorILNS1_17partition_subalgoE4EjNS0_10empty_typeEbEEZZNS1_14partition_implILS8_4ELb0ES6_15HIP_vector_typeIjLj2EENS0_17counting_iteratorIjlEEPS9_SG_NS0_5tupleIJPjSI_NS0_16reverse_iteratorISI_EEEEENSH_IJSG_SG_SG_EEES9_SI_JZNS1_25segmented_radix_sort_implINS0_14default_configELb0EPKbPbPKlPlN2at6native12_GLOBAL__N_18offset_tEEE10hipError_tPvRmT1_PNSt15iterator_traitsIS12_E10value_typeET2_T3_PNS13_IS18_E10value_typeET4_jRbjT5_S1E_jjP12ihipStream_tbEUljE_ZNSN_ISO_Lb0ESQ_SR_ST_SU_SY_EESZ_S10_S11_S12_S16_S17_S18_S1B_S1C_jS1D_jS1E_S1E_jjS1G_bEUljE0_EEESZ_S10_S11_S18_S1C_S1E_T6_T7_T9_mT8_S1G_bDpT10_ENKUlT_T0_E_clISt17integral_constantIbLb1EES1U_EEDaS1P_S1Q_EUlS1P_E_NS1_11comp_targetILNS1_3genE9ELNS1_11target_archE1100ELNS1_3gpuE3ELNS1_3repE0EEENS1_30default_config_static_selectorELNS0_4arch9wavefront6targetE1EEEvS12_.private_seg_size, 0
	.set _ZN7rocprim17ROCPRIM_400000_NS6detail17trampoline_kernelINS0_13select_configILj256ELj13ELNS0_17block_load_methodE3ELS4_3ELS4_3ELNS0_20block_scan_algorithmE0ELj4294967295EEENS1_25partition_config_selectorILNS1_17partition_subalgoE4EjNS0_10empty_typeEbEEZZNS1_14partition_implILS8_4ELb0ES6_15HIP_vector_typeIjLj2EENS0_17counting_iteratorIjlEEPS9_SG_NS0_5tupleIJPjSI_NS0_16reverse_iteratorISI_EEEEENSH_IJSG_SG_SG_EEES9_SI_JZNS1_25segmented_radix_sort_implINS0_14default_configELb0EPKbPbPKlPlN2at6native12_GLOBAL__N_18offset_tEEE10hipError_tPvRmT1_PNSt15iterator_traitsIS12_E10value_typeET2_T3_PNS13_IS18_E10value_typeET4_jRbjT5_S1E_jjP12ihipStream_tbEUljE_ZNSN_ISO_Lb0ESQ_SR_ST_SU_SY_EESZ_S10_S11_S12_S16_S17_S18_S1B_S1C_jS1D_jS1E_S1E_jjS1G_bEUljE0_EEESZ_S10_S11_S18_S1C_S1E_T6_T7_T9_mT8_S1G_bDpT10_ENKUlT_T0_E_clISt17integral_constantIbLb1EES1U_EEDaS1P_S1Q_EUlS1P_E_NS1_11comp_targetILNS1_3genE9ELNS1_11target_archE1100ELNS1_3gpuE3ELNS1_3repE0EEENS1_30default_config_static_selectorELNS0_4arch9wavefront6targetE1EEEvS12_.uses_vcc, 0
	.set _ZN7rocprim17ROCPRIM_400000_NS6detail17trampoline_kernelINS0_13select_configILj256ELj13ELNS0_17block_load_methodE3ELS4_3ELS4_3ELNS0_20block_scan_algorithmE0ELj4294967295EEENS1_25partition_config_selectorILNS1_17partition_subalgoE4EjNS0_10empty_typeEbEEZZNS1_14partition_implILS8_4ELb0ES6_15HIP_vector_typeIjLj2EENS0_17counting_iteratorIjlEEPS9_SG_NS0_5tupleIJPjSI_NS0_16reverse_iteratorISI_EEEEENSH_IJSG_SG_SG_EEES9_SI_JZNS1_25segmented_radix_sort_implINS0_14default_configELb0EPKbPbPKlPlN2at6native12_GLOBAL__N_18offset_tEEE10hipError_tPvRmT1_PNSt15iterator_traitsIS12_E10value_typeET2_T3_PNS13_IS18_E10value_typeET4_jRbjT5_S1E_jjP12ihipStream_tbEUljE_ZNSN_ISO_Lb0ESQ_SR_ST_SU_SY_EESZ_S10_S11_S12_S16_S17_S18_S1B_S1C_jS1D_jS1E_S1E_jjS1G_bEUljE0_EEESZ_S10_S11_S18_S1C_S1E_T6_T7_T9_mT8_S1G_bDpT10_ENKUlT_T0_E_clISt17integral_constantIbLb1EES1U_EEDaS1P_S1Q_EUlS1P_E_NS1_11comp_targetILNS1_3genE9ELNS1_11target_archE1100ELNS1_3gpuE3ELNS1_3repE0EEENS1_30default_config_static_selectorELNS0_4arch9wavefront6targetE1EEEvS12_.uses_flat_scratch, 0
	.set _ZN7rocprim17ROCPRIM_400000_NS6detail17trampoline_kernelINS0_13select_configILj256ELj13ELNS0_17block_load_methodE3ELS4_3ELS4_3ELNS0_20block_scan_algorithmE0ELj4294967295EEENS1_25partition_config_selectorILNS1_17partition_subalgoE4EjNS0_10empty_typeEbEEZZNS1_14partition_implILS8_4ELb0ES6_15HIP_vector_typeIjLj2EENS0_17counting_iteratorIjlEEPS9_SG_NS0_5tupleIJPjSI_NS0_16reverse_iteratorISI_EEEEENSH_IJSG_SG_SG_EEES9_SI_JZNS1_25segmented_radix_sort_implINS0_14default_configELb0EPKbPbPKlPlN2at6native12_GLOBAL__N_18offset_tEEE10hipError_tPvRmT1_PNSt15iterator_traitsIS12_E10value_typeET2_T3_PNS13_IS18_E10value_typeET4_jRbjT5_S1E_jjP12ihipStream_tbEUljE_ZNSN_ISO_Lb0ESQ_SR_ST_SU_SY_EESZ_S10_S11_S12_S16_S17_S18_S1B_S1C_jS1D_jS1E_S1E_jjS1G_bEUljE0_EEESZ_S10_S11_S18_S1C_S1E_T6_T7_T9_mT8_S1G_bDpT10_ENKUlT_T0_E_clISt17integral_constantIbLb1EES1U_EEDaS1P_S1Q_EUlS1P_E_NS1_11comp_targetILNS1_3genE9ELNS1_11target_archE1100ELNS1_3gpuE3ELNS1_3repE0EEENS1_30default_config_static_selectorELNS0_4arch9wavefront6targetE1EEEvS12_.has_dyn_sized_stack, 0
	.set _ZN7rocprim17ROCPRIM_400000_NS6detail17trampoline_kernelINS0_13select_configILj256ELj13ELNS0_17block_load_methodE3ELS4_3ELS4_3ELNS0_20block_scan_algorithmE0ELj4294967295EEENS1_25partition_config_selectorILNS1_17partition_subalgoE4EjNS0_10empty_typeEbEEZZNS1_14partition_implILS8_4ELb0ES6_15HIP_vector_typeIjLj2EENS0_17counting_iteratorIjlEEPS9_SG_NS0_5tupleIJPjSI_NS0_16reverse_iteratorISI_EEEEENSH_IJSG_SG_SG_EEES9_SI_JZNS1_25segmented_radix_sort_implINS0_14default_configELb0EPKbPbPKlPlN2at6native12_GLOBAL__N_18offset_tEEE10hipError_tPvRmT1_PNSt15iterator_traitsIS12_E10value_typeET2_T3_PNS13_IS18_E10value_typeET4_jRbjT5_S1E_jjP12ihipStream_tbEUljE_ZNSN_ISO_Lb0ESQ_SR_ST_SU_SY_EESZ_S10_S11_S12_S16_S17_S18_S1B_S1C_jS1D_jS1E_S1E_jjS1G_bEUljE0_EEESZ_S10_S11_S18_S1C_S1E_T6_T7_T9_mT8_S1G_bDpT10_ENKUlT_T0_E_clISt17integral_constantIbLb1EES1U_EEDaS1P_S1Q_EUlS1P_E_NS1_11comp_targetILNS1_3genE9ELNS1_11target_archE1100ELNS1_3gpuE3ELNS1_3repE0EEENS1_30default_config_static_selectorELNS0_4arch9wavefront6targetE1EEEvS12_.has_recursion, 0
	.set _ZN7rocprim17ROCPRIM_400000_NS6detail17trampoline_kernelINS0_13select_configILj256ELj13ELNS0_17block_load_methodE3ELS4_3ELS4_3ELNS0_20block_scan_algorithmE0ELj4294967295EEENS1_25partition_config_selectorILNS1_17partition_subalgoE4EjNS0_10empty_typeEbEEZZNS1_14partition_implILS8_4ELb0ES6_15HIP_vector_typeIjLj2EENS0_17counting_iteratorIjlEEPS9_SG_NS0_5tupleIJPjSI_NS0_16reverse_iteratorISI_EEEEENSH_IJSG_SG_SG_EEES9_SI_JZNS1_25segmented_radix_sort_implINS0_14default_configELb0EPKbPbPKlPlN2at6native12_GLOBAL__N_18offset_tEEE10hipError_tPvRmT1_PNSt15iterator_traitsIS12_E10value_typeET2_T3_PNS13_IS18_E10value_typeET4_jRbjT5_S1E_jjP12ihipStream_tbEUljE_ZNSN_ISO_Lb0ESQ_SR_ST_SU_SY_EESZ_S10_S11_S12_S16_S17_S18_S1B_S1C_jS1D_jS1E_S1E_jjS1G_bEUljE0_EEESZ_S10_S11_S18_S1C_S1E_T6_T7_T9_mT8_S1G_bDpT10_ENKUlT_T0_E_clISt17integral_constantIbLb1EES1U_EEDaS1P_S1Q_EUlS1P_E_NS1_11comp_targetILNS1_3genE9ELNS1_11target_archE1100ELNS1_3gpuE3ELNS1_3repE0EEENS1_30default_config_static_selectorELNS0_4arch9wavefront6targetE1EEEvS12_.has_indirect_call, 0
	.section	.AMDGPU.csdata,"",@progbits
; Kernel info:
; codeLenInByte = 0
; TotalNumSgprs: 4
; NumVgprs: 0
; ScratchSize: 0
; MemoryBound: 0
; FloatMode: 240
; IeeeMode: 1
; LDSByteSize: 0 bytes/workgroup (compile time only)
; SGPRBlocks: 0
; VGPRBlocks: 0
; NumSGPRsForWavesPerEU: 4
; NumVGPRsForWavesPerEU: 1
; Occupancy: 10
; WaveLimiterHint : 0
; COMPUTE_PGM_RSRC2:SCRATCH_EN: 0
; COMPUTE_PGM_RSRC2:USER_SGPR: 6
; COMPUTE_PGM_RSRC2:TRAP_HANDLER: 0
; COMPUTE_PGM_RSRC2:TGID_X_EN: 1
; COMPUTE_PGM_RSRC2:TGID_Y_EN: 0
; COMPUTE_PGM_RSRC2:TGID_Z_EN: 0
; COMPUTE_PGM_RSRC2:TIDIG_COMP_CNT: 0
	.section	.text._ZN7rocprim17ROCPRIM_400000_NS6detail17trampoline_kernelINS0_13select_configILj256ELj13ELNS0_17block_load_methodE3ELS4_3ELS4_3ELNS0_20block_scan_algorithmE0ELj4294967295EEENS1_25partition_config_selectorILNS1_17partition_subalgoE4EjNS0_10empty_typeEbEEZZNS1_14partition_implILS8_4ELb0ES6_15HIP_vector_typeIjLj2EENS0_17counting_iteratorIjlEEPS9_SG_NS0_5tupleIJPjSI_NS0_16reverse_iteratorISI_EEEEENSH_IJSG_SG_SG_EEES9_SI_JZNS1_25segmented_radix_sort_implINS0_14default_configELb0EPKbPbPKlPlN2at6native12_GLOBAL__N_18offset_tEEE10hipError_tPvRmT1_PNSt15iterator_traitsIS12_E10value_typeET2_T3_PNS13_IS18_E10value_typeET4_jRbjT5_S1E_jjP12ihipStream_tbEUljE_ZNSN_ISO_Lb0ESQ_SR_ST_SU_SY_EESZ_S10_S11_S12_S16_S17_S18_S1B_S1C_jS1D_jS1E_S1E_jjS1G_bEUljE0_EEESZ_S10_S11_S18_S1C_S1E_T6_T7_T9_mT8_S1G_bDpT10_ENKUlT_T0_E_clISt17integral_constantIbLb1EES1U_EEDaS1P_S1Q_EUlS1P_E_NS1_11comp_targetILNS1_3genE8ELNS1_11target_archE1030ELNS1_3gpuE2ELNS1_3repE0EEENS1_30default_config_static_selectorELNS0_4arch9wavefront6targetE1EEEvS12_,"axG",@progbits,_ZN7rocprim17ROCPRIM_400000_NS6detail17trampoline_kernelINS0_13select_configILj256ELj13ELNS0_17block_load_methodE3ELS4_3ELS4_3ELNS0_20block_scan_algorithmE0ELj4294967295EEENS1_25partition_config_selectorILNS1_17partition_subalgoE4EjNS0_10empty_typeEbEEZZNS1_14partition_implILS8_4ELb0ES6_15HIP_vector_typeIjLj2EENS0_17counting_iteratorIjlEEPS9_SG_NS0_5tupleIJPjSI_NS0_16reverse_iteratorISI_EEEEENSH_IJSG_SG_SG_EEES9_SI_JZNS1_25segmented_radix_sort_implINS0_14default_configELb0EPKbPbPKlPlN2at6native12_GLOBAL__N_18offset_tEEE10hipError_tPvRmT1_PNSt15iterator_traitsIS12_E10value_typeET2_T3_PNS13_IS18_E10value_typeET4_jRbjT5_S1E_jjP12ihipStream_tbEUljE_ZNSN_ISO_Lb0ESQ_SR_ST_SU_SY_EESZ_S10_S11_S12_S16_S17_S18_S1B_S1C_jS1D_jS1E_S1E_jjS1G_bEUljE0_EEESZ_S10_S11_S18_S1C_S1E_T6_T7_T9_mT8_S1G_bDpT10_ENKUlT_T0_E_clISt17integral_constantIbLb1EES1U_EEDaS1P_S1Q_EUlS1P_E_NS1_11comp_targetILNS1_3genE8ELNS1_11target_archE1030ELNS1_3gpuE2ELNS1_3repE0EEENS1_30default_config_static_selectorELNS0_4arch9wavefront6targetE1EEEvS12_,comdat
	.globl	_ZN7rocprim17ROCPRIM_400000_NS6detail17trampoline_kernelINS0_13select_configILj256ELj13ELNS0_17block_load_methodE3ELS4_3ELS4_3ELNS0_20block_scan_algorithmE0ELj4294967295EEENS1_25partition_config_selectorILNS1_17partition_subalgoE4EjNS0_10empty_typeEbEEZZNS1_14partition_implILS8_4ELb0ES6_15HIP_vector_typeIjLj2EENS0_17counting_iteratorIjlEEPS9_SG_NS0_5tupleIJPjSI_NS0_16reverse_iteratorISI_EEEEENSH_IJSG_SG_SG_EEES9_SI_JZNS1_25segmented_radix_sort_implINS0_14default_configELb0EPKbPbPKlPlN2at6native12_GLOBAL__N_18offset_tEEE10hipError_tPvRmT1_PNSt15iterator_traitsIS12_E10value_typeET2_T3_PNS13_IS18_E10value_typeET4_jRbjT5_S1E_jjP12ihipStream_tbEUljE_ZNSN_ISO_Lb0ESQ_SR_ST_SU_SY_EESZ_S10_S11_S12_S16_S17_S18_S1B_S1C_jS1D_jS1E_S1E_jjS1G_bEUljE0_EEESZ_S10_S11_S18_S1C_S1E_T6_T7_T9_mT8_S1G_bDpT10_ENKUlT_T0_E_clISt17integral_constantIbLb1EES1U_EEDaS1P_S1Q_EUlS1P_E_NS1_11comp_targetILNS1_3genE8ELNS1_11target_archE1030ELNS1_3gpuE2ELNS1_3repE0EEENS1_30default_config_static_selectorELNS0_4arch9wavefront6targetE1EEEvS12_ ; -- Begin function _ZN7rocprim17ROCPRIM_400000_NS6detail17trampoline_kernelINS0_13select_configILj256ELj13ELNS0_17block_load_methodE3ELS4_3ELS4_3ELNS0_20block_scan_algorithmE0ELj4294967295EEENS1_25partition_config_selectorILNS1_17partition_subalgoE4EjNS0_10empty_typeEbEEZZNS1_14partition_implILS8_4ELb0ES6_15HIP_vector_typeIjLj2EENS0_17counting_iteratorIjlEEPS9_SG_NS0_5tupleIJPjSI_NS0_16reverse_iteratorISI_EEEEENSH_IJSG_SG_SG_EEES9_SI_JZNS1_25segmented_radix_sort_implINS0_14default_configELb0EPKbPbPKlPlN2at6native12_GLOBAL__N_18offset_tEEE10hipError_tPvRmT1_PNSt15iterator_traitsIS12_E10value_typeET2_T3_PNS13_IS18_E10value_typeET4_jRbjT5_S1E_jjP12ihipStream_tbEUljE_ZNSN_ISO_Lb0ESQ_SR_ST_SU_SY_EESZ_S10_S11_S12_S16_S17_S18_S1B_S1C_jS1D_jS1E_S1E_jjS1G_bEUljE0_EEESZ_S10_S11_S18_S1C_S1E_T6_T7_T9_mT8_S1G_bDpT10_ENKUlT_T0_E_clISt17integral_constantIbLb1EES1U_EEDaS1P_S1Q_EUlS1P_E_NS1_11comp_targetILNS1_3genE8ELNS1_11target_archE1030ELNS1_3gpuE2ELNS1_3repE0EEENS1_30default_config_static_selectorELNS0_4arch9wavefront6targetE1EEEvS12_
	.p2align	8
	.type	_ZN7rocprim17ROCPRIM_400000_NS6detail17trampoline_kernelINS0_13select_configILj256ELj13ELNS0_17block_load_methodE3ELS4_3ELS4_3ELNS0_20block_scan_algorithmE0ELj4294967295EEENS1_25partition_config_selectorILNS1_17partition_subalgoE4EjNS0_10empty_typeEbEEZZNS1_14partition_implILS8_4ELb0ES6_15HIP_vector_typeIjLj2EENS0_17counting_iteratorIjlEEPS9_SG_NS0_5tupleIJPjSI_NS0_16reverse_iteratorISI_EEEEENSH_IJSG_SG_SG_EEES9_SI_JZNS1_25segmented_radix_sort_implINS0_14default_configELb0EPKbPbPKlPlN2at6native12_GLOBAL__N_18offset_tEEE10hipError_tPvRmT1_PNSt15iterator_traitsIS12_E10value_typeET2_T3_PNS13_IS18_E10value_typeET4_jRbjT5_S1E_jjP12ihipStream_tbEUljE_ZNSN_ISO_Lb0ESQ_SR_ST_SU_SY_EESZ_S10_S11_S12_S16_S17_S18_S1B_S1C_jS1D_jS1E_S1E_jjS1G_bEUljE0_EEESZ_S10_S11_S18_S1C_S1E_T6_T7_T9_mT8_S1G_bDpT10_ENKUlT_T0_E_clISt17integral_constantIbLb1EES1U_EEDaS1P_S1Q_EUlS1P_E_NS1_11comp_targetILNS1_3genE8ELNS1_11target_archE1030ELNS1_3gpuE2ELNS1_3repE0EEENS1_30default_config_static_selectorELNS0_4arch9wavefront6targetE1EEEvS12_,@function
_ZN7rocprim17ROCPRIM_400000_NS6detail17trampoline_kernelINS0_13select_configILj256ELj13ELNS0_17block_load_methodE3ELS4_3ELS4_3ELNS0_20block_scan_algorithmE0ELj4294967295EEENS1_25partition_config_selectorILNS1_17partition_subalgoE4EjNS0_10empty_typeEbEEZZNS1_14partition_implILS8_4ELb0ES6_15HIP_vector_typeIjLj2EENS0_17counting_iteratorIjlEEPS9_SG_NS0_5tupleIJPjSI_NS0_16reverse_iteratorISI_EEEEENSH_IJSG_SG_SG_EEES9_SI_JZNS1_25segmented_radix_sort_implINS0_14default_configELb0EPKbPbPKlPlN2at6native12_GLOBAL__N_18offset_tEEE10hipError_tPvRmT1_PNSt15iterator_traitsIS12_E10value_typeET2_T3_PNS13_IS18_E10value_typeET4_jRbjT5_S1E_jjP12ihipStream_tbEUljE_ZNSN_ISO_Lb0ESQ_SR_ST_SU_SY_EESZ_S10_S11_S12_S16_S17_S18_S1B_S1C_jS1D_jS1E_S1E_jjS1G_bEUljE0_EEESZ_S10_S11_S18_S1C_S1E_T6_T7_T9_mT8_S1G_bDpT10_ENKUlT_T0_E_clISt17integral_constantIbLb1EES1U_EEDaS1P_S1Q_EUlS1P_E_NS1_11comp_targetILNS1_3genE8ELNS1_11target_archE1030ELNS1_3gpuE2ELNS1_3repE0EEENS1_30default_config_static_selectorELNS0_4arch9wavefront6targetE1EEEvS12_: ; @_ZN7rocprim17ROCPRIM_400000_NS6detail17trampoline_kernelINS0_13select_configILj256ELj13ELNS0_17block_load_methodE3ELS4_3ELS4_3ELNS0_20block_scan_algorithmE0ELj4294967295EEENS1_25partition_config_selectorILNS1_17partition_subalgoE4EjNS0_10empty_typeEbEEZZNS1_14partition_implILS8_4ELb0ES6_15HIP_vector_typeIjLj2EENS0_17counting_iteratorIjlEEPS9_SG_NS0_5tupleIJPjSI_NS0_16reverse_iteratorISI_EEEEENSH_IJSG_SG_SG_EEES9_SI_JZNS1_25segmented_radix_sort_implINS0_14default_configELb0EPKbPbPKlPlN2at6native12_GLOBAL__N_18offset_tEEE10hipError_tPvRmT1_PNSt15iterator_traitsIS12_E10value_typeET2_T3_PNS13_IS18_E10value_typeET4_jRbjT5_S1E_jjP12ihipStream_tbEUljE_ZNSN_ISO_Lb0ESQ_SR_ST_SU_SY_EESZ_S10_S11_S12_S16_S17_S18_S1B_S1C_jS1D_jS1E_S1E_jjS1G_bEUljE0_EEESZ_S10_S11_S18_S1C_S1E_T6_T7_T9_mT8_S1G_bDpT10_ENKUlT_T0_E_clISt17integral_constantIbLb1EES1U_EEDaS1P_S1Q_EUlS1P_E_NS1_11comp_targetILNS1_3genE8ELNS1_11target_archE1030ELNS1_3gpuE2ELNS1_3repE0EEENS1_30default_config_static_selectorELNS0_4arch9wavefront6targetE1EEEvS12_
; %bb.0:
	.section	.rodata,"a",@progbits
	.p2align	6, 0x0
	.amdhsa_kernel _ZN7rocprim17ROCPRIM_400000_NS6detail17trampoline_kernelINS0_13select_configILj256ELj13ELNS0_17block_load_methodE3ELS4_3ELS4_3ELNS0_20block_scan_algorithmE0ELj4294967295EEENS1_25partition_config_selectorILNS1_17partition_subalgoE4EjNS0_10empty_typeEbEEZZNS1_14partition_implILS8_4ELb0ES6_15HIP_vector_typeIjLj2EENS0_17counting_iteratorIjlEEPS9_SG_NS0_5tupleIJPjSI_NS0_16reverse_iteratorISI_EEEEENSH_IJSG_SG_SG_EEES9_SI_JZNS1_25segmented_radix_sort_implINS0_14default_configELb0EPKbPbPKlPlN2at6native12_GLOBAL__N_18offset_tEEE10hipError_tPvRmT1_PNSt15iterator_traitsIS12_E10value_typeET2_T3_PNS13_IS18_E10value_typeET4_jRbjT5_S1E_jjP12ihipStream_tbEUljE_ZNSN_ISO_Lb0ESQ_SR_ST_SU_SY_EESZ_S10_S11_S12_S16_S17_S18_S1B_S1C_jS1D_jS1E_S1E_jjS1G_bEUljE0_EEESZ_S10_S11_S18_S1C_S1E_T6_T7_T9_mT8_S1G_bDpT10_ENKUlT_T0_E_clISt17integral_constantIbLb1EES1U_EEDaS1P_S1Q_EUlS1P_E_NS1_11comp_targetILNS1_3genE8ELNS1_11target_archE1030ELNS1_3gpuE2ELNS1_3repE0EEENS1_30default_config_static_selectorELNS0_4arch9wavefront6targetE1EEEvS12_
		.amdhsa_group_segment_fixed_size 0
		.amdhsa_private_segment_fixed_size 0
		.amdhsa_kernarg_size 184
		.amdhsa_user_sgpr_count 6
		.amdhsa_user_sgpr_private_segment_buffer 1
		.amdhsa_user_sgpr_dispatch_ptr 0
		.amdhsa_user_sgpr_queue_ptr 0
		.amdhsa_user_sgpr_kernarg_segment_ptr 1
		.amdhsa_user_sgpr_dispatch_id 0
		.amdhsa_user_sgpr_flat_scratch_init 0
		.amdhsa_user_sgpr_private_segment_size 0
		.amdhsa_uses_dynamic_stack 0
		.amdhsa_system_sgpr_private_segment_wavefront_offset 0
		.amdhsa_system_sgpr_workgroup_id_x 1
		.amdhsa_system_sgpr_workgroup_id_y 0
		.amdhsa_system_sgpr_workgroup_id_z 0
		.amdhsa_system_sgpr_workgroup_info 0
		.amdhsa_system_vgpr_workitem_id 0
		.amdhsa_next_free_vgpr 1
		.amdhsa_next_free_sgpr 0
		.amdhsa_reserve_vcc 0
		.amdhsa_reserve_flat_scratch 0
		.amdhsa_float_round_mode_32 0
		.amdhsa_float_round_mode_16_64 0
		.amdhsa_float_denorm_mode_32 3
		.amdhsa_float_denorm_mode_16_64 3
		.amdhsa_dx10_clamp 1
		.amdhsa_ieee_mode 1
		.amdhsa_fp16_overflow 0
		.amdhsa_exception_fp_ieee_invalid_op 0
		.amdhsa_exception_fp_denorm_src 0
		.amdhsa_exception_fp_ieee_div_zero 0
		.amdhsa_exception_fp_ieee_overflow 0
		.amdhsa_exception_fp_ieee_underflow 0
		.amdhsa_exception_fp_ieee_inexact 0
		.amdhsa_exception_int_div_zero 0
	.end_amdhsa_kernel
	.section	.text._ZN7rocprim17ROCPRIM_400000_NS6detail17trampoline_kernelINS0_13select_configILj256ELj13ELNS0_17block_load_methodE3ELS4_3ELS4_3ELNS0_20block_scan_algorithmE0ELj4294967295EEENS1_25partition_config_selectorILNS1_17partition_subalgoE4EjNS0_10empty_typeEbEEZZNS1_14partition_implILS8_4ELb0ES6_15HIP_vector_typeIjLj2EENS0_17counting_iteratorIjlEEPS9_SG_NS0_5tupleIJPjSI_NS0_16reverse_iteratorISI_EEEEENSH_IJSG_SG_SG_EEES9_SI_JZNS1_25segmented_radix_sort_implINS0_14default_configELb0EPKbPbPKlPlN2at6native12_GLOBAL__N_18offset_tEEE10hipError_tPvRmT1_PNSt15iterator_traitsIS12_E10value_typeET2_T3_PNS13_IS18_E10value_typeET4_jRbjT5_S1E_jjP12ihipStream_tbEUljE_ZNSN_ISO_Lb0ESQ_SR_ST_SU_SY_EESZ_S10_S11_S12_S16_S17_S18_S1B_S1C_jS1D_jS1E_S1E_jjS1G_bEUljE0_EEESZ_S10_S11_S18_S1C_S1E_T6_T7_T9_mT8_S1G_bDpT10_ENKUlT_T0_E_clISt17integral_constantIbLb1EES1U_EEDaS1P_S1Q_EUlS1P_E_NS1_11comp_targetILNS1_3genE8ELNS1_11target_archE1030ELNS1_3gpuE2ELNS1_3repE0EEENS1_30default_config_static_selectorELNS0_4arch9wavefront6targetE1EEEvS12_,"axG",@progbits,_ZN7rocprim17ROCPRIM_400000_NS6detail17trampoline_kernelINS0_13select_configILj256ELj13ELNS0_17block_load_methodE3ELS4_3ELS4_3ELNS0_20block_scan_algorithmE0ELj4294967295EEENS1_25partition_config_selectorILNS1_17partition_subalgoE4EjNS0_10empty_typeEbEEZZNS1_14partition_implILS8_4ELb0ES6_15HIP_vector_typeIjLj2EENS0_17counting_iteratorIjlEEPS9_SG_NS0_5tupleIJPjSI_NS0_16reverse_iteratorISI_EEEEENSH_IJSG_SG_SG_EEES9_SI_JZNS1_25segmented_radix_sort_implINS0_14default_configELb0EPKbPbPKlPlN2at6native12_GLOBAL__N_18offset_tEEE10hipError_tPvRmT1_PNSt15iterator_traitsIS12_E10value_typeET2_T3_PNS13_IS18_E10value_typeET4_jRbjT5_S1E_jjP12ihipStream_tbEUljE_ZNSN_ISO_Lb0ESQ_SR_ST_SU_SY_EESZ_S10_S11_S12_S16_S17_S18_S1B_S1C_jS1D_jS1E_S1E_jjS1G_bEUljE0_EEESZ_S10_S11_S18_S1C_S1E_T6_T7_T9_mT8_S1G_bDpT10_ENKUlT_T0_E_clISt17integral_constantIbLb1EES1U_EEDaS1P_S1Q_EUlS1P_E_NS1_11comp_targetILNS1_3genE8ELNS1_11target_archE1030ELNS1_3gpuE2ELNS1_3repE0EEENS1_30default_config_static_selectorELNS0_4arch9wavefront6targetE1EEEvS12_,comdat
.Lfunc_end1586:
	.size	_ZN7rocprim17ROCPRIM_400000_NS6detail17trampoline_kernelINS0_13select_configILj256ELj13ELNS0_17block_load_methodE3ELS4_3ELS4_3ELNS0_20block_scan_algorithmE0ELj4294967295EEENS1_25partition_config_selectorILNS1_17partition_subalgoE4EjNS0_10empty_typeEbEEZZNS1_14partition_implILS8_4ELb0ES6_15HIP_vector_typeIjLj2EENS0_17counting_iteratorIjlEEPS9_SG_NS0_5tupleIJPjSI_NS0_16reverse_iteratorISI_EEEEENSH_IJSG_SG_SG_EEES9_SI_JZNS1_25segmented_radix_sort_implINS0_14default_configELb0EPKbPbPKlPlN2at6native12_GLOBAL__N_18offset_tEEE10hipError_tPvRmT1_PNSt15iterator_traitsIS12_E10value_typeET2_T3_PNS13_IS18_E10value_typeET4_jRbjT5_S1E_jjP12ihipStream_tbEUljE_ZNSN_ISO_Lb0ESQ_SR_ST_SU_SY_EESZ_S10_S11_S12_S16_S17_S18_S1B_S1C_jS1D_jS1E_S1E_jjS1G_bEUljE0_EEESZ_S10_S11_S18_S1C_S1E_T6_T7_T9_mT8_S1G_bDpT10_ENKUlT_T0_E_clISt17integral_constantIbLb1EES1U_EEDaS1P_S1Q_EUlS1P_E_NS1_11comp_targetILNS1_3genE8ELNS1_11target_archE1030ELNS1_3gpuE2ELNS1_3repE0EEENS1_30default_config_static_selectorELNS0_4arch9wavefront6targetE1EEEvS12_, .Lfunc_end1586-_ZN7rocprim17ROCPRIM_400000_NS6detail17trampoline_kernelINS0_13select_configILj256ELj13ELNS0_17block_load_methodE3ELS4_3ELS4_3ELNS0_20block_scan_algorithmE0ELj4294967295EEENS1_25partition_config_selectorILNS1_17partition_subalgoE4EjNS0_10empty_typeEbEEZZNS1_14partition_implILS8_4ELb0ES6_15HIP_vector_typeIjLj2EENS0_17counting_iteratorIjlEEPS9_SG_NS0_5tupleIJPjSI_NS0_16reverse_iteratorISI_EEEEENSH_IJSG_SG_SG_EEES9_SI_JZNS1_25segmented_radix_sort_implINS0_14default_configELb0EPKbPbPKlPlN2at6native12_GLOBAL__N_18offset_tEEE10hipError_tPvRmT1_PNSt15iterator_traitsIS12_E10value_typeET2_T3_PNS13_IS18_E10value_typeET4_jRbjT5_S1E_jjP12ihipStream_tbEUljE_ZNSN_ISO_Lb0ESQ_SR_ST_SU_SY_EESZ_S10_S11_S12_S16_S17_S18_S1B_S1C_jS1D_jS1E_S1E_jjS1G_bEUljE0_EEESZ_S10_S11_S18_S1C_S1E_T6_T7_T9_mT8_S1G_bDpT10_ENKUlT_T0_E_clISt17integral_constantIbLb1EES1U_EEDaS1P_S1Q_EUlS1P_E_NS1_11comp_targetILNS1_3genE8ELNS1_11target_archE1030ELNS1_3gpuE2ELNS1_3repE0EEENS1_30default_config_static_selectorELNS0_4arch9wavefront6targetE1EEEvS12_
                                        ; -- End function
	.set _ZN7rocprim17ROCPRIM_400000_NS6detail17trampoline_kernelINS0_13select_configILj256ELj13ELNS0_17block_load_methodE3ELS4_3ELS4_3ELNS0_20block_scan_algorithmE0ELj4294967295EEENS1_25partition_config_selectorILNS1_17partition_subalgoE4EjNS0_10empty_typeEbEEZZNS1_14partition_implILS8_4ELb0ES6_15HIP_vector_typeIjLj2EENS0_17counting_iteratorIjlEEPS9_SG_NS0_5tupleIJPjSI_NS0_16reverse_iteratorISI_EEEEENSH_IJSG_SG_SG_EEES9_SI_JZNS1_25segmented_radix_sort_implINS0_14default_configELb0EPKbPbPKlPlN2at6native12_GLOBAL__N_18offset_tEEE10hipError_tPvRmT1_PNSt15iterator_traitsIS12_E10value_typeET2_T3_PNS13_IS18_E10value_typeET4_jRbjT5_S1E_jjP12ihipStream_tbEUljE_ZNSN_ISO_Lb0ESQ_SR_ST_SU_SY_EESZ_S10_S11_S12_S16_S17_S18_S1B_S1C_jS1D_jS1E_S1E_jjS1G_bEUljE0_EEESZ_S10_S11_S18_S1C_S1E_T6_T7_T9_mT8_S1G_bDpT10_ENKUlT_T0_E_clISt17integral_constantIbLb1EES1U_EEDaS1P_S1Q_EUlS1P_E_NS1_11comp_targetILNS1_3genE8ELNS1_11target_archE1030ELNS1_3gpuE2ELNS1_3repE0EEENS1_30default_config_static_selectorELNS0_4arch9wavefront6targetE1EEEvS12_.num_vgpr, 0
	.set _ZN7rocprim17ROCPRIM_400000_NS6detail17trampoline_kernelINS0_13select_configILj256ELj13ELNS0_17block_load_methodE3ELS4_3ELS4_3ELNS0_20block_scan_algorithmE0ELj4294967295EEENS1_25partition_config_selectorILNS1_17partition_subalgoE4EjNS0_10empty_typeEbEEZZNS1_14partition_implILS8_4ELb0ES6_15HIP_vector_typeIjLj2EENS0_17counting_iteratorIjlEEPS9_SG_NS0_5tupleIJPjSI_NS0_16reverse_iteratorISI_EEEEENSH_IJSG_SG_SG_EEES9_SI_JZNS1_25segmented_radix_sort_implINS0_14default_configELb0EPKbPbPKlPlN2at6native12_GLOBAL__N_18offset_tEEE10hipError_tPvRmT1_PNSt15iterator_traitsIS12_E10value_typeET2_T3_PNS13_IS18_E10value_typeET4_jRbjT5_S1E_jjP12ihipStream_tbEUljE_ZNSN_ISO_Lb0ESQ_SR_ST_SU_SY_EESZ_S10_S11_S12_S16_S17_S18_S1B_S1C_jS1D_jS1E_S1E_jjS1G_bEUljE0_EEESZ_S10_S11_S18_S1C_S1E_T6_T7_T9_mT8_S1G_bDpT10_ENKUlT_T0_E_clISt17integral_constantIbLb1EES1U_EEDaS1P_S1Q_EUlS1P_E_NS1_11comp_targetILNS1_3genE8ELNS1_11target_archE1030ELNS1_3gpuE2ELNS1_3repE0EEENS1_30default_config_static_selectorELNS0_4arch9wavefront6targetE1EEEvS12_.num_agpr, 0
	.set _ZN7rocprim17ROCPRIM_400000_NS6detail17trampoline_kernelINS0_13select_configILj256ELj13ELNS0_17block_load_methodE3ELS4_3ELS4_3ELNS0_20block_scan_algorithmE0ELj4294967295EEENS1_25partition_config_selectorILNS1_17partition_subalgoE4EjNS0_10empty_typeEbEEZZNS1_14partition_implILS8_4ELb0ES6_15HIP_vector_typeIjLj2EENS0_17counting_iteratorIjlEEPS9_SG_NS0_5tupleIJPjSI_NS0_16reverse_iteratorISI_EEEEENSH_IJSG_SG_SG_EEES9_SI_JZNS1_25segmented_radix_sort_implINS0_14default_configELb0EPKbPbPKlPlN2at6native12_GLOBAL__N_18offset_tEEE10hipError_tPvRmT1_PNSt15iterator_traitsIS12_E10value_typeET2_T3_PNS13_IS18_E10value_typeET4_jRbjT5_S1E_jjP12ihipStream_tbEUljE_ZNSN_ISO_Lb0ESQ_SR_ST_SU_SY_EESZ_S10_S11_S12_S16_S17_S18_S1B_S1C_jS1D_jS1E_S1E_jjS1G_bEUljE0_EEESZ_S10_S11_S18_S1C_S1E_T6_T7_T9_mT8_S1G_bDpT10_ENKUlT_T0_E_clISt17integral_constantIbLb1EES1U_EEDaS1P_S1Q_EUlS1P_E_NS1_11comp_targetILNS1_3genE8ELNS1_11target_archE1030ELNS1_3gpuE2ELNS1_3repE0EEENS1_30default_config_static_selectorELNS0_4arch9wavefront6targetE1EEEvS12_.numbered_sgpr, 0
	.set _ZN7rocprim17ROCPRIM_400000_NS6detail17trampoline_kernelINS0_13select_configILj256ELj13ELNS0_17block_load_methodE3ELS4_3ELS4_3ELNS0_20block_scan_algorithmE0ELj4294967295EEENS1_25partition_config_selectorILNS1_17partition_subalgoE4EjNS0_10empty_typeEbEEZZNS1_14partition_implILS8_4ELb0ES6_15HIP_vector_typeIjLj2EENS0_17counting_iteratorIjlEEPS9_SG_NS0_5tupleIJPjSI_NS0_16reverse_iteratorISI_EEEEENSH_IJSG_SG_SG_EEES9_SI_JZNS1_25segmented_radix_sort_implINS0_14default_configELb0EPKbPbPKlPlN2at6native12_GLOBAL__N_18offset_tEEE10hipError_tPvRmT1_PNSt15iterator_traitsIS12_E10value_typeET2_T3_PNS13_IS18_E10value_typeET4_jRbjT5_S1E_jjP12ihipStream_tbEUljE_ZNSN_ISO_Lb0ESQ_SR_ST_SU_SY_EESZ_S10_S11_S12_S16_S17_S18_S1B_S1C_jS1D_jS1E_S1E_jjS1G_bEUljE0_EEESZ_S10_S11_S18_S1C_S1E_T6_T7_T9_mT8_S1G_bDpT10_ENKUlT_T0_E_clISt17integral_constantIbLb1EES1U_EEDaS1P_S1Q_EUlS1P_E_NS1_11comp_targetILNS1_3genE8ELNS1_11target_archE1030ELNS1_3gpuE2ELNS1_3repE0EEENS1_30default_config_static_selectorELNS0_4arch9wavefront6targetE1EEEvS12_.num_named_barrier, 0
	.set _ZN7rocprim17ROCPRIM_400000_NS6detail17trampoline_kernelINS0_13select_configILj256ELj13ELNS0_17block_load_methodE3ELS4_3ELS4_3ELNS0_20block_scan_algorithmE0ELj4294967295EEENS1_25partition_config_selectorILNS1_17partition_subalgoE4EjNS0_10empty_typeEbEEZZNS1_14partition_implILS8_4ELb0ES6_15HIP_vector_typeIjLj2EENS0_17counting_iteratorIjlEEPS9_SG_NS0_5tupleIJPjSI_NS0_16reverse_iteratorISI_EEEEENSH_IJSG_SG_SG_EEES9_SI_JZNS1_25segmented_radix_sort_implINS0_14default_configELb0EPKbPbPKlPlN2at6native12_GLOBAL__N_18offset_tEEE10hipError_tPvRmT1_PNSt15iterator_traitsIS12_E10value_typeET2_T3_PNS13_IS18_E10value_typeET4_jRbjT5_S1E_jjP12ihipStream_tbEUljE_ZNSN_ISO_Lb0ESQ_SR_ST_SU_SY_EESZ_S10_S11_S12_S16_S17_S18_S1B_S1C_jS1D_jS1E_S1E_jjS1G_bEUljE0_EEESZ_S10_S11_S18_S1C_S1E_T6_T7_T9_mT8_S1G_bDpT10_ENKUlT_T0_E_clISt17integral_constantIbLb1EES1U_EEDaS1P_S1Q_EUlS1P_E_NS1_11comp_targetILNS1_3genE8ELNS1_11target_archE1030ELNS1_3gpuE2ELNS1_3repE0EEENS1_30default_config_static_selectorELNS0_4arch9wavefront6targetE1EEEvS12_.private_seg_size, 0
	.set _ZN7rocprim17ROCPRIM_400000_NS6detail17trampoline_kernelINS0_13select_configILj256ELj13ELNS0_17block_load_methodE3ELS4_3ELS4_3ELNS0_20block_scan_algorithmE0ELj4294967295EEENS1_25partition_config_selectorILNS1_17partition_subalgoE4EjNS0_10empty_typeEbEEZZNS1_14partition_implILS8_4ELb0ES6_15HIP_vector_typeIjLj2EENS0_17counting_iteratorIjlEEPS9_SG_NS0_5tupleIJPjSI_NS0_16reverse_iteratorISI_EEEEENSH_IJSG_SG_SG_EEES9_SI_JZNS1_25segmented_radix_sort_implINS0_14default_configELb0EPKbPbPKlPlN2at6native12_GLOBAL__N_18offset_tEEE10hipError_tPvRmT1_PNSt15iterator_traitsIS12_E10value_typeET2_T3_PNS13_IS18_E10value_typeET4_jRbjT5_S1E_jjP12ihipStream_tbEUljE_ZNSN_ISO_Lb0ESQ_SR_ST_SU_SY_EESZ_S10_S11_S12_S16_S17_S18_S1B_S1C_jS1D_jS1E_S1E_jjS1G_bEUljE0_EEESZ_S10_S11_S18_S1C_S1E_T6_T7_T9_mT8_S1G_bDpT10_ENKUlT_T0_E_clISt17integral_constantIbLb1EES1U_EEDaS1P_S1Q_EUlS1P_E_NS1_11comp_targetILNS1_3genE8ELNS1_11target_archE1030ELNS1_3gpuE2ELNS1_3repE0EEENS1_30default_config_static_selectorELNS0_4arch9wavefront6targetE1EEEvS12_.uses_vcc, 0
	.set _ZN7rocprim17ROCPRIM_400000_NS6detail17trampoline_kernelINS0_13select_configILj256ELj13ELNS0_17block_load_methodE3ELS4_3ELS4_3ELNS0_20block_scan_algorithmE0ELj4294967295EEENS1_25partition_config_selectorILNS1_17partition_subalgoE4EjNS0_10empty_typeEbEEZZNS1_14partition_implILS8_4ELb0ES6_15HIP_vector_typeIjLj2EENS0_17counting_iteratorIjlEEPS9_SG_NS0_5tupleIJPjSI_NS0_16reverse_iteratorISI_EEEEENSH_IJSG_SG_SG_EEES9_SI_JZNS1_25segmented_radix_sort_implINS0_14default_configELb0EPKbPbPKlPlN2at6native12_GLOBAL__N_18offset_tEEE10hipError_tPvRmT1_PNSt15iterator_traitsIS12_E10value_typeET2_T3_PNS13_IS18_E10value_typeET4_jRbjT5_S1E_jjP12ihipStream_tbEUljE_ZNSN_ISO_Lb0ESQ_SR_ST_SU_SY_EESZ_S10_S11_S12_S16_S17_S18_S1B_S1C_jS1D_jS1E_S1E_jjS1G_bEUljE0_EEESZ_S10_S11_S18_S1C_S1E_T6_T7_T9_mT8_S1G_bDpT10_ENKUlT_T0_E_clISt17integral_constantIbLb1EES1U_EEDaS1P_S1Q_EUlS1P_E_NS1_11comp_targetILNS1_3genE8ELNS1_11target_archE1030ELNS1_3gpuE2ELNS1_3repE0EEENS1_30default_config_static_selectorELNS0_4arch9wavefront6targetE1EEEvS12_.uses_flat_scratch, 0
	.set _ZN7rocprim17ROCPRIM_400000_NS6detail17trampoline_kernelINS0_13select_configILj256ELj13ELNS0_17block_load_methodE3ELS4_3ELS4_3ELNS0_20block_scan_algorithmE0ELj4294967295EEENS1_25partition_config_selectorILNS1_17partition_subalgoE4EjNS0_10empty_typeEbEEZZNS1_14partition_implILS8_4ELb0ES6_15HIP_vector_typeIjLj2EENS0_17counting_iteratorIjlEEPS9_SG_NS0_5tupleIJPjSI_NS0_16reverse_iteratorISI_EEEEENSH_IJSG_SG_SG_EEES9_SI_JZNS1_25segmented_radix_sort_implINS0_14default_configELb0EPKbPbPKlPlN2at6native12_GLOBAL__N_18offset_tEEE10hipError_tPvRmT1_PNSt15iterator_traitsIS12_E10value_typeET2_T3_PNS13_IS18_E10value_typeET4_jRbjT5_S1E_jjP12ihipStream_tbEUljE_ZNSN_ISO_Lb0ESQ_SR_ST_SU_SY_EESZ_S10_S11_S12_S16_S17_S18_S1B_S1C_jS1D_jS1E_S1E_jjS1G_bEUljE0_EEESZ_S10_S11_S18_S1C_S1E_T6_T7_T9_mT8_S1G_bDpT10_ENKUlT_T0_E_clISt17integral_constantIbLb1EES1U_EEDaS1P_S1Q_EUlS1P_E_NS1_11comp_targetILNS1_3genE8ELNS1_11target_archE1030ELNS1_3gpuE2ELNS1_3repE0EEENS1_30default_config_static_selectorELNS0_4arch9wavefront6targetE1EEEvS12_.has_dyn_sized_stack, 0
	.set _ZN7rocprim17ROCPRIM_400000_NS6detail17trampoline_kernelINS0_13select_configILj256ELj13ELNS0_17block_load_methodE3ELS4_3ELS4_3ELNS0_20block_scan_algorithmE0ELj4294967295EEENS1_25partition_config_selectorILNS1_17partition_subalgoE4EjNS0_10empty_typeEbEEZZNS1_14partition_implILS8_4ELb0ES6_15HIP_vector_typeIjLj2EENS0_17counting_iteratorIjlEEPS9_SG_NS0_5tupleIJPjSI_NS0_16reverse_iteratorISI_EEEEENSH_IJSG_SG_SG_EEES9_SI_JZNS1_25segmented_radix_sort_implINS0_14default_configELb0EPKbPbPKlPlN2at6native12_GLOBAL__N_18offset_tEEE10hipError_tPvRmT1_PNSt15iterator_traitsIS12_E10value_typeET2_T3_PNS13_IS18_E10value_typeET4_jRbjT5_S1E_jjP12ihipStream_tbEUljE_ZNSN_ISO_Lb0ESQ_SR_ST_SU_SY_EESZ_S10_S11_S12_S16_S17_S18_S1B_S1C_jS1D_jS1E_S1E_jjS1G_bEUljE0_EEESZ_S10_S11_S18_S1C_S1E_T6_T7_T9_mT8_S1G_bDpT10_ENKUlT_T0_E_clISt17integral_constantIbLb1EES1U_EEDaS1P_S1Q_EUlS1P_E_NS1_11comp_targetILNS1_3genE8ELNS1_11target_archE1030ELNS1_3gpuE2ELNS1_3repE0EEENS1_30default_config_static_selectorELNS0_4arch9wavefront6targetE1EEEvS12_.has_recursion, 0
	.set _ZN7rocprim17ROCPRIM_400000_NS6detail17trampoline_kernelINS0_13select_configILj256ELj13ELNS0_17block_load_methodE3ELS4_3ELS4_3ELNS0_20block_scan_algorithmE0ELj4294967295EEENS1_25partition_config_selectorILNS1_17partition_subalgoE4EjNS0_10empty_typeEbEEZZNS1_14partition_implILS8_4ELb0ES6_15HIP_vector_typeIjLj2EENS0_17counting_iteratorIjlEEPS9_SG_NS0_5tupleIJPjSI_NS0_16reverse_iteratorISI_EEEEENSH_IJSG_SG_SG_EEES9_SI_JZNS1_25segmented_radix_sort_implINS0_14default_configELb0EPKbPbPKlPlN2at6native12_GLOBAL__N_18offset_tEEE10hipError_tPvRmT1_PNSt15iterator_traitsIS12_E10value_typeET2_T3_PNS13_IS18_E10value_typeET4_jRbjT5_S1E_jjP12ihipStream_tbEUljE_ZNSN_ISO_Lb0ESQ_SR_ST_SU_SY_EESZ_S10_S11_S12_S16_S17_S18_S1B_S1C_jS1D_jS1E_S1E_jjS1G_bEUljE0_EEESZ_S10_S11_S18_S1C_S1E_T6_T7_T9_mT8_S1G_bDpT10_ENKUlT_T0_E_clISt17integral_constantIbLb1EES1U_EEDaS1P_S1Q_EUlS1P_E_NS1_11comp_targetILNS1_3genE8ELNS1_11target_archE1030ELNS1_3gpuE2ELNS1_3repE0EEENS1_30default_config_static_selectorELNS0_4arch9wavefront6targetE1EEEvS12_.has_indirect_call, 0
	.section	.AMDGPU.csdata,"",@progbits
; Kernel info:
; codeLenInByte = 0
; TotalNumSgprs: 4
; NumVgprs: 0
; ScratchSize: 0
; MemoryBound: 0
; FloatMode: 240
; IeeeMode: 1
; LDSByteSize: 0 bytes/workgroup (compile time only)
; SGPRBlocks: 0
; VGPRBlocks: 0
; NumSGPRsForWavesPerEU: 4
; NumVGPRsForWavesPerEU: 1
; Occupancy: 10
; WaveLimiterHint : 0
; COMPUTE_PGM_RSRC2:SCRATCH_EN: 0
; COMPUTE_PGM_RSRC2:USER_SGPR: 6
; COMPUTE_PGM_RSRC2:TRAP_HANDLER: 0
; COMPUTE_PGM_RSRC2:TGID_X_EN: 1
; COMPUTE_PGM_RSRC2:TGID_Y_EN: 0
; COMPUTE_PGM_RSRC2:TGID_Z_EN: 0
; COMPUTE_PGM_RSRC2:TIDIG_COMP_CNT: 0
	.section	.text._ZN7rocprim17ROCPRIM_400000_NS6detail17trampoline_kernelINS0_13select_configILj256ELj13ELNS0_17block_load_methodE3ELS4_3ELS4_3ELNS0_20block_scan_algorithmE0ELj4294967295EEENS1_25partition_config_selectorILNS1_17partition_subalgoE4EjNS0_10empty_typeEbEEZZNS1_14partition_implILS8_4ELb0ES6_15HIP_vector_typeIjLj2EENS0_17counting_iteratorIjlEEPS9_SG_NS0_5tupleIJPjSI_NS0_16reverse_iteratorISI_EEEEENSH_IJSG_SG_SG_EEES9_SI_JZNS1_25segmented_radix_sort_implINS0_14default_configELb0EPKbPbPKlPlN2at6native12_GLOBAL__N_18offset_tEEE10hipError_tPvRmT1_PNSt15iterator_traitsIS12_E10value_typeET2_T3_PNS13_IS18_E10value_typeET4_jRbjT5_S1E_jjP12ihipStream_tbEUljE_ZNSN_ISO_Lb0ESQ_SR_ST_SU_SY_EESZ_S10_S11_S12_S16_S17_S18_S1B_S1C_jS1D_jS1E_S1E_jjS1G_bEUljE0_EEESZ_S10_S11_S18_S1C_S1E_T6_T7_T9_mT8_S1G_bDpT10_ENKUlT_T0_E_clISt17integral_constantIbLb1EES1T_IbLb0EEEEDaS1P_S1Q_EUlS1P_E_NS1_11comp_targetILNS1_3genE0ELNS1_11target_archE4294967295ELNS1_3gpuE0ELNS1_3repE0EEENS1_30default_config_static_selectorELNS0_4arch9wavefront6targetE1EEEvS12_,"axG",@progbits,_ZN7rocprim17ROCPRIM_400000_NS6detail17trampoline_kernelINS0_13select_configILj256ELj13ELNS0_17block_load_methodE3ELS4_3ELS4_3ELNS0_20block_scan_algorithmE0ELj4294967295EEENS1_25partition_config_selectorILNS1_17partition_subalgoE4EjNS0_10empty_typeEbEEZZNS1_14partition_implILS8_4ELb0ES6_15HIP_vector_typeIjLj2EENS0_17counting_iteratorIjlEEPS9_SG_NS0_5tupleIJPjSI_NS0_16reverse_iteratorISI_EEEEENSH_IJSG_SG_SG_EEES9_SI_JZNS1_25segmented_radix_sort_implINS0_14default_configELb0EPKbPbPKlPlN2at6native12_GLOBAL__N_18offset_tEEE10hipError_tPvRmT1_PNSt15iterator_traitsIS12_E10value_typeET2_T3_PNS13_IS18_E10value_typeET4_jRbjT5_S1E_jjP12ihipStream_tbEUljE_ZNSN_ISO_Lb0ESQ_SR_ST_SU_SY_EESZ_S10_S11_S12_S16_S17_S18_S1B_S1C_jS1D_jS1E_S1E_jjS1G_bEUljE0_EEESZ_S10_S11_S18_S1C_S1E_T6_T7_T9_mT8_S1G_bDpT10_ENKUlT_T0_E_clISt17integral_constantIbLb1EES1T_IbLb0EEEEDaS1P_S1Q_EUlS1P_E_NS1_11comp_targetILNS1_3genE0ELNS1_11target_archE4294967295ELNS1_3gpuE0ELNS1_3repE0EEENS1_30default_config_static_selectorELNS0_4arch9wavefront6targetE1EEEvS12_,comdat
	.globl	_ZN7rocprim17ROCPRIM_400000_NS6detail17trampoline_kernelINS0_13select_configILj256ELj13ELNS0_17block_load_methodE3ELS4_3ELS4_3ELNS0_20block_scan_algorithmE0ELj4294967295EEENS1_25partition_config_selectorILNS1_17partition_subalgoE4EjNS0_10empty_typeEbEEZZNS1_14partition_implILS8_4ELb0ES6_15HIP_vector_typeIjLj2EENS0_17counting_iteratorIjlEEPS9_SG_NS0_5tupleIJPjSI_NS0_16reverse_iteratorISI_EEEEENSH_IJSG_SG_SG_EEES9_SI_JZNS1_25segmented_radix_sort_implINS0_14default_configELb0EPKbPbPKlPlN2at6native12_GLOBAL__N_18offset_tEEE10hipError_tPvRmT1_PNSt15iterator_traitsIS12_E10value_typeET2_T3_PNS13_IS18_E10value_typeET4_jRbjT5_S1E_jjP12ihipStream_tbEUljE_ZNSN_ISO_Lb0ESQ_SR_ST_SU_SY_EESZ_S10_S11_S12_S16_S17_S18_S1B_S1C_jS1D_jS1E_S1E_jjS1G_bEUljE0_EEESZ_S10_S11_S18_S1C_S1E_T6_T7_T9_mT8_S1G_bDpT10_ENKUlT_T0_E_clISt17integral_constantIbLb1EES1T_IbLb0EEEEDaS1P_S1Q_EUlS1P_E_NS1_11comp_targetILNS1_3genE0ELNS1_11target_archE4294967295ELNS1_3gpuE0ELNS1_3repE0EEENS1_30default_config_static_selectorELNS0_4arch9wavefront6targetE1EEEvS12_ ; -- Begin function _ZN7rocprim17ROCPRIM_400000_NS6detail17trampoline_kernelINS0_13select_configILj256ELj13ELNS0_17block_load_methodE3ELS4_3ELS4_3ELNS0_20block_scan_algorithmE0ELj4294967295EEENS1_25partition_config_selectorILNS1_17partition_subalgoE4EjNS0_10empty_typeEbEEZZNS1_14partition_implILS8_4ELb0ES6_15HIP_vector_typeIjLj2EENS0_17counting_iteratorIjlEEPS9_SG_NS0_5tupleIJPjSI_NS0_16reverse_iteratorISI_EEEEENSH_IJSG_SG_SG_EEES9_SI_JZNS1_25segmented_radix_sort_implINS0_14default_configELb0EPKbPbPKlPlN2at6native12_GLOBAL__N_18offset_tEEE10hipError_tPvRmT1_PNSt15iterator_traitsIS12_E10value_typeET2_T3_PNS13_IS18_E10value_typeET4_jRbjT5_S1E_jjP12ihipStream_tbEUljE_ZNSN_ISO_Lb0ESQ_SR_ST_SU_SY_EESZ_S10_S11_S12_S16_S17_S18_S1B_S1C_jS1D_jS1E_S1E_jjS1G_bEUljE0_EEESZ_S10_S11_S18_S1C_S1E_T6_T7_T9_mT8_S1G_bDpT10_ENKUlT_T0_E_clISt17integral_constantIbLb1EES1T_IbLb0EEEEDaS1P_S1Q_EUlS1P_E_NS1_11comp_targetILNS1_3genE0ELNS1_11target_archE4294967295ELNS1_3gpuE0ELNS1_3repE0EEENS1_30default_config_static_selectorELNS0_4arch9wavefront6targetE1EEEvS12_
	.p2align	8
	.type	_ZN7rocprim17ROCPRIM_400000_NS6detail17trampoline_kernelINS0_13select_configILj256ELj13ELNS0_17block_load_methodE3ELS4_3ELS4_3ELNS0_20block_scan_algorithmE0ELj4294967295EEENS1_25partition_config_selectorILNS1_17partition_subalgoE4EjNS0_10empty_typeEbEEZZNS1_14partition_implILS8_4ELb0ES6_15HIP_vector_typeIjLj2EENS0_17counting_iteratorIjlEEPS9_SG_NS0_5tupleIJPjSI_NS0_16reverse_iteratorISI_EEEEENSH_IJSG_SG_SG_EEES9_SI_JZNS1_25segmented_radix_sort_implINS0_14default_configELb0EPKbPbPKlPlN2at6native12_GLOBAL__N_18offset_tEEE10hipError_tPvRmT1_PNSt15iterator_traitsIS12_E10value_typeET2_T3_PNS13_IS18_E10value_typeET4_jRbjT5_S1E_jjP12ihipStream_tbEUljE_ZNSN_ISO_Lb0ESQ_SR_ST_SU_SY_EESZ_S10_S11_S12_S16_S17_S18_S1B_S1C_jS1D_jS1E_S1E_jjS1G_bEUljE0_EEESZ_S10_S11_S18_S1C_S1E_T6_T7_T9_mT8_S1G_bDpT10_ENKUlT_T0_E_clISt17integral_constantIbLb1EES1T_IbLb0EEEEDaS1P_S1Q_EUlS1P_E_NS1_11comp_targetILNS1_3genE0ELNS1_11target_archE4294967295ELNS1_3gpuE0ELNS1_3repE0EEENS1_30default_config_static_selectorELNS0_4arch9wavefront6targetE1EEEvS12_,@function
_ZN7rocprim17ROCPRIM_400000_NS6detail17trampoline_kernelINS0_13select_configILj256ELj13ELNS0_17block_load_methodE3ELS4_3ELS4_3ELNS0_20block_scan_algorithmE0ELj4294967295EEENS1_25partition_config_selectorILNS1_17partition_subalgoE4EjNS0_10empty_typeEbEEZZNS1_14partition_implILS8_4ELb0ES6_15HIP_vector_typeIjLj2EENS0_17counting_iteratorIjlEEPS9_SG_NS0_5tupleIJPjSI_NS0_16reverse_iteratorISI_EEEEENSH_IJSG_SG_SG_EEES9_SI_JZNS1_25segmented_radix_sort_implINS0_14default_configELb0EPKbPbPKlPlN2at6native12_GLOBAL__N_18offset_tEEE10hipError_tPvRmT1_PNSt15iterator_traitsIS12_E10value_typeET2_T3_PNS13_IS18_E10value_typeET4_jRbjT5_S1E_jjP12ihipStream_tbEUljE_ZNSN_ISO_Lb0ESQ_SR_ST_SU_SY_EESZ_S10_S11_S12_S16_S17_S18_S1B_S1C_jS1D_jS1E_S1E_jjS1G_bEUljE0_EEESZ_S10_S11_S18_S1C_S1E_T6_T7_T9_mT8_S1G_bDpT10_ENKUlT_T0_E_clISt17integral_constantIbLb1EES1T_IbLb0EEEEDaS1P_S1Q_EUlS1P_E_NS1_11comp_targetILNS1_3genE0ELNS1_11target_archE4294967295ELNS1_3gpuE0ELNS1_3repE0EEENS1_30default_config_static_selectorELNS0_4arch9wavefront6targetE1EEEvS12_: ; @_ZN7rocprim17ROCPRIM_400000_NS6detail17trampoline_kernelINS0_13select_configILj256ELj13ELNS0_17block_load_methodE3ELS4_3ELS4_3ELNS0_20block_scan_algorithmE0ELj4294967295EEENS1_25partition_config_selectorILNS1_17partition_subalgoE4EjNS0_10empty_typeEbEEZZNS1_14partition_implILS8_4ELb0ES6_15HIP_vector_typeIjLj2EENS0_17counting_iteratorIjlEEPS9_SG_NS0_5tupleIJPjSI_NS0_16reverse_iteratorISI_EEEEENSH_IJSG_SG_SG_EEES9_SI_JZNS1_25segmented_radix_sort_implINS0_14default_configELb0EPKbPbPKlPlN2at6native12_GLOBAL__N_18offset_tEEE10hipError_tPvRmT1_PNSt15iterator_traitsIS12_E10value_typeET2_T3_PNS13_IS18_E10value_typeET4_jRbjT5_S1E_jjP12ihipStream_tbEUljE_ZNSN_ISO_Lb0ESQ_SR_ST_SU_SY_EESZ_S10_S11_S12_S16_S17_S18_S1B_S1C_jS1D_jS1E_S1E_jjS1G_bEUljE0_EEESZ_S10_S11_S18_S1C_S1E_T6_T7_T9_mT8_S1G_bDpT10_ENKUlT_T0_E_clISt17integral_constantIbLb1EES1T_IbLb0EEEEDaS1P_S1Q_EUlS1P_E_NS1_11comp_targetILNS1_3genE0ELNS1_11target_archE4294967295ELNS1_3gpuE0ELNS1_3repE0EEENS1_30default_config_static_selectorELNS0_4arch9wavefront6targetE1EEEvS12_
; %bb.0:
	.section	.rodata,"a",@progbits
	.p2align	6, 0x0
	.amdhsa_kernel _ZN7rocprim17ROCPRIM_400000_NS6detail17trampoline_kernelINS0_13select_configILj256ELj13ELNS0_17block_load_methodE3ELS4_3ELS4_3ELNS0_20block_scan_algorithmE0ELj4294967295EEENS1_25partition_config_selectorILNS1_17partition_subalgoE4EjNS0_10empty_typeEbEEZZNS1_14partition_implILS8_4ELb0ES6_15HIP_vector_typeIjLj2EENS0_17counting_iteratorIjlEEPS9_SG_NS0_5tupleIJPjSI_NS0_16reverse_iteratorISI_EEEEENSH_IJSG_SG_SG_EEES9_SI_JZNS1_25segmented_radix_sort_implINS0_14default_configELb0EPKbPbPKlPlN2at6native12_GLOBAL__N_18offset_tEEE10hipError_tPvRmT1_PNSt15iterator_traitsIS12_E10value_typeET2_T3_PNS13_IS18_E10value_typeET4_jRbjT5_S1E_jjP12ihipStream_tbEUljE_ZNSN_ISO_Lb0ESQ_SR_ST_SU_SY_EESZ_S10_S11_S12_S16_S17_S18_S1B_S1C_jS1D_jS1E_S1E_jjS1G_bEUljE0_EEESZ_S10_S11_S18_S1C_S1E_T6_T7_T9_mT8_S1G_bDpT10_ENKUlT_T0_E_clISt17integral_constantIbLb1EES1T_IbLb0EEEEDaS1P_S1Q_EUlS1P_E_NS1_11comp_targetILNS1_3genE0ELNS1_11target_archE4294967295ELNS1_3gpuE0ELNS1_3repE0EEENS1_30default_config_static_selectorELNS0_4arch9wavefront6targetE1EEEvS12_
		.amdhsa_group_segment_fixed_size 0
		.amdhsa_private_segment_fixed_size 0
		.amdhsa_kernarg_size 176
		.amdhsa_user_sgpr_count 6
		.amdhsa_user_sgpr_private_segment_buffer 1
		.amdhsa_user_sgpr_dispatch_ptr 0
		.amdhsa_user_sgpr_queue_ptr 0
		.amdhsa_user_sgpr_kernarg_segment_ptr 1
		.amdhsa_user_sgpr_dispatch_id 0
		.amdhsa_user_sgpr_flat_scratch_init 0
		.amdhsa_user_sgpr_private_segment_size 0
		.amdhsa_uses_dynamic_stack 0
		.amdhsa_system_sgpr_private_segment_wavefront_offset 0
		.amdhsa_system_sgpr_workgroup_id_x 1
		.amdhsa_system_sgpr_workgroup_id_y 0
		.amdhsa_system_sgpr_workgroup_id_z 0
		.amdhsa_system_sgpr_workgroup_info 0
		.amdhsa_system_vgpr_workitem_id 0
		.amdhsa_next_free_vgpr 1
		.amdhsa_next_free_sgpr 0
		.amdhsa_reserve_vcc 0
		.amdhsa_reserve_flat_scratch 0
		.amdhsa_float_round_mode_32 0
		.amdhsa_float_round_mode_16_64 0
		.amdhsa_float_denorm_mode_32 3
		.amdhsa_float_denorm_mode_16_64 3
		.amdhsa_dx10_clamp 1
		.amdhsa_ieee_mode 1
		.amdhsa_fp16_overflow 0
		.amdhsa_exception_fp_ieee_invalid_op 0
		.amdhsa_exception_fp_denorm_src 0
		.amdhsa_exception_fp_ieee_div_zero 0
		.amdhsa_exception_fp_ieee_overflow 0
		.amdhsa_exception_fp_ieee_underflow 0
		.amdhsa_exception_fp_ieee_inexact 0
		.amdhsa_exception_int_div_zero 0
	.end_amdhsa_kernel
	.section	.text._ZN7rocprim17ROCPRIM_400000_NS6detail17trampoline_kernelINS0_13select_configILj256ELj13ELNS0_17block_load_methodE3ELS4_3ELS4_3ELNS0_20block_scan_algorithmE0ELj4294967295EEENS1_25partition_config_selectorILNS1_17partition_subalgoE4EjNS0_10empty_typeEbEEZZNS1_14partition_implILS8_4ELb0ES6_15HIP_vector_typeIjLj2EENS0_17counting_iteratorIjlEEPS9_SG_NS0_5tupleIJPjSI_NS0_16reverse_iteratorISI_EEEEENSH_IJSG_SG_SG_EEES9_SI_JZNS1_25segmented_radix_sort_implINS0_14default_configELb0EPKbPbPKlPlN2at6native12_GLOBAL__N_18offset_tEEE10hipError_tPvRmT1_PNSt15iterator_traitsIS12_E10value_typeET2_T3_PNS13_IS18_E10value_typeET4_jRbjT5_S1E_jjP12ihipStream_tbEUljE_ZNSN_ISO_Lb0ESQ_SR_ST_SU_SY_EESZ_S10_S11_S12_S16_S17_S18_S1B_S1C_jS1D_jS1E_S1E_jjS1G_bEUljE0_EEESZ_S10_S11_S18_S1C_S1E_T6_T7_T9_mT8_S1G_bDpT10_ENKUlT_T0_E_clISt17integral_constantIbLb1EES1T_IbLb0EEEEDaS1P_S1Q_EUlS1P_E_NS1_11comp_targetILNS1_3genE0ELNS1_11target_archE4294967295ELNS1_3gpuE0ELNS1_3repE0EEENS1_30default_config_static_selectorELNS0_4arch9wavefront6targetE1EEEvS12_,"axG",@progbits,_ZN7rocprim17ROCPRIM_400000_NS6detail17trampoline_kernelINS0_13select_configILj256ELj13ELNS0_17block_load_methodE3ELS4_3ELS4_3ELNS0_20block_scan_algorithmE0ELj4294967295EEENS1_25partition_config_selectorILNS1_17partition_subalgoE4EjNS0_10empty_typeEbEEZZNS1_14partition_implILS8_4ELb0ES6_15HIP_vector_typeIjLj2EENS0_17counting_iteratorIjlEEPS9_SG_NS0_5tupleIJPjSI_NS0_16reverse_iteratorISI_EEEEENSH_IJSG_SG_SG_EEES9_SI_JZNS1_25segmented_radix_sort_implINS0_14default_configELb0EPKbPbPKlPlN2at6native12_GLOBAL__N_18offset_tEEE10hipError_tPvRmT1_PNSt15iterator_traitsIS12_E10value_typeET2_T3_PNS13_IS18_E10value_typeET4_jRbjT5_S1E_jjP12ihipStream_tbEUljE_ZNSN_ISO_Lb0ESQ_SR_ST_SU_SY_EESZ_S10_S11_S12_S16_S17_S18_S1B_S1C_jS1D_jS1E_S1E_jjS1G_bEUljE0_EEESZ_S10_S11_S18_S1C_S1E_T6_T7_T9_mT8_S1G_bDpT10_ENKUlT_T0_E_clISt17integral_constantIbLb1EES1T_IbLb0EEEEDaS1P_S1Q_EUlS1P_E_NS1_11comp_targetILNS1_3genE0ELNS1_11target_archE4294967295ELNS1_3gpuE0ELNS1_3repE0EEENS1_30default_config_static_selectorELNS0_4arch9wavefront6targetE1EEEvS12_,comdat
.Lfunc_end1587:
	.size	_ZN7rocprim17ROCPRIM_400000_NS6detail17trampoline_kernelINS0_13select_configILj256ELj13ELNS0_17block_load_methodE3ELS4_3ELS4_3ELNS0_20block_scan_algorithmE0ELj4294967295EEENS1_25partition_config_selectorILNS1_17partition_subalgoE4EjNS0_10empty_typeEbEEZZNS1_14partition_implILS8_4ELb0ES6_15HIP_vector_typeIjLj2EENS0_17counting_iteratorIjlEEPS9_SG_NS0_5tupleIJPjSI_NS0_16reverse_iteratorISI_EEEEENSH_IJSG_SG_SG_EEES9_SI_JZNS1_25segmented_radix_sort_implINS0_14default_configELb0EPKbPbPKlPlN2at6native12_GLOBAL__N_18offset_tEEE10hipError_tPvRmT1_PNSt15iterator_traitsIS12_E10value_typeET2_T3_PNS13_IS18_E10value_typeET4_jRbjT5_S1E_jjP12ihipStream_tbEUljE_ZNSN_ISO_Lb0ESQ_SR_ST_SU_SY_EESZ_S10_S11_S12_S16_S17_S18_S1B_S1C_jS1D_jS1E_S1E_jjS1G_bEUljE0_EEESZ_S10_S11_S18_S1C_S1E_T6_T7_T9_mT8_S1G_bDpT10_ENKUlT_T0_E_clISt17integral_constantIbLb1EES1T_IbLb0EEEEDaS1P_S1Q_EUlS1P_E_NS1_11comp_targetILNS1_3genE0ELNS1_11target_archE4294967295ELNS1_3gpuE0ELNS1_3repE0EEENS1_30default_config_static_selectorELNS0_4arch9wavefront6targetE1EEEvS12_, .Lfunc_end1587-_ZN7rocprim17ROCPRIM_400000_NS6detail17trampoline_kernelINS0_13select_configILj256ELj13ELNS0_17block_load_methodE3ELS4_3ELS4_3ELNS0_20block_scan_algorithmE0ELj4294967295EEENS1_25partition_config_selectorILNS1_17partition_subalgoE4EjNS0_10empty_typeEbEEZZNS1_14partition_implILS8_4ELb0ES6_15HIP_vector_typeIjLj2EENS0_17counting_iteratorIjlEEPS9_SG_NS0_5tupleIJPjSI_NS0_16reverse_iteratorISI_EEEEENSH_IJSG_SG_SG_EEES9_SI_JZNS1_25segmented_radix_sort_implINS0_14default_configELb0EPKbPbPKlPlN2at6native12_GLOBAL__N_18offset_tEEE10hipError_tPvRmT1_PNSt15iterator_traitsIS12_E10value_typeET2_T3_PNS13_IS18_E10value_typeET4_jRbjT5_S1E_jjP12ihipStream_tbEUljE_ZNSN_ISO_Lb0ESQ_SR_ST_SU_SY_EESZ_S10_S11_S12_S16_S17_S18_S1B_S1C_jS1D_jS1E_S1E_jjS1G_bEUljE0_EEESZ_S10_S11_S18_S1C_S1E_T6_T7_T9_mT8_S1G_bDpT10_ENKUlT_T0_E_clISt17integral_constantIbLb1EES1T_IbLb0EEEEDaS1P_S1Q_EUlS1P_E_NS1_11comp_targetILNS1_3genE0ELNS1_11target_archE4294967295ELNS1_3gpuE0ELNS1_3repE0EEENS1_30default_config_static_selectorELNS0_4arch9wavefront6targetE1EEEvS12_
                                        ; -- End function
	.set _ZN7rocprim17ROCPRIM_400000_NS6detail17trampoline_kernelINS0_13select_configILj256ELj13ELNS0_17block_load_methodE3ELS4_3ELS4_3ELNS0_20block_scan_algorithmE0ELj4294967295EEENS1_25partition_config_selectorILNS1_17partition_subalgoE4EjNS0_10empty_typeEbEEZZNS1_14partition_implILS8_4ELb0ES6_15HIP_vector_typeIjLj2EENS0_17counting_iteratorIjlEEPS9_SG_NS0_5tupleIJPjSI_NS0_16reverse_iteratorISI_EEEEENSH_IJSG_SG_SG_EEES9_SI_JZNS1_25segmented_radix_sort_implINS0_14default_configELb0EPKbPbPKlPlN2at6native12_GLOBAL__N_18offset_tEEE10hipError_tPvRmT1_PNSt15iterator_traitsIS12_E10value_typeET2_T3_PNS13_IS18_E10value_typeET4_jRbjT5_S1E_jjP12ihipStream_tbEUljE_ZNSN_ISO_Lb0ESQ_SR_ST_SU_SY_EESZ_S10_S11_S12_S16_S17_S18_S1B_S1C_jS1D_jS1E_S1E_jjS1G_bEUljE0_EEESZ_S10_S11_S18_S1C_S1E_T6_T7_T9_mT8_S1G_bDpT10_ENKUlT_T0_E_clISt17integral_constantIbLb1EES1T_IbLb0EEEEDaS1P_S1Q_EUlS1P_E_NS1_11comp_targetILNS1_3genE0ELNS1_11target_archE4294967295ELNS1_3gpuE0ELNS1_3repE0EEENS1_30default_config_static_selectorELNS0_4arch9wavefront6targetE1EEEvS12_.num_vgpr, 0
	.set _ZN7rocprim17ROCPRIM_400000_NS6detail17trampoline_kernelINS0_13select_configILj256ELj13ELNS0_17block_load_methodE3ELS4_3ELS4_3ELNS0_20block_scan_algorithmE0ELj4294967295EEENS1_25partition_config_selectorILNS1_17partition_subalgoE4EjNS0_10empty_typeEbEEZZNS1_14partition_implILS8_4ELb0ES6_15HIP_vector_typeIjLj2EENS0_17counting_iteratorIjlEEPS9_SG_NS0_5tupleIJPjSI_NS0_16reverse_iteratorISI_EEEEENSH_IJSG_SG_SG_EEES9_SI_JZNS1_25segmented_radix_sort_implINS0_14default_configELb0EPKbPbPKlPlN2at6native12_GLOBAL__N_18offset_tEEE10hipError_tPvRmT1_PNSt15iterator_traitsIS12_E10value_typeET2_T3_PNS13_IS18_E10value_typeET4_jRbjT5_S1E_jjP12ihipStream_tbEUljE_ZNSN_ISO_Lb0ESQ_SR_ST_SU_SY_EESZ_S10_S11_S12_S16_S17_S18_S1B_S1C_jS1D_jS1E_S1E_jjS1G_bEUljE0_EEESZ_S10_S11_S18_S1C_S1E_T6_T7_T9_mT8_S1G_bDpT10_ENKUlT_T0_E_clISt17integral_constantIbLb1EES1T_IbLb0EEEEDaS1P_S1Q_EUlS1P_E_NS1_11comp_targetILNS1_3genE0ELNS1_11target_archE4294967295ELNS1_3gpuE0ELNS1_3repE0EEENS1_30default_config_static_selectorELNS0_4arch9wavefront6targetE1EEEvS12_.num_agpr, 0
	.set _ZN7rocprim17ROCPRIM_400000_NS6detail17trampoline_kernelINS0_13select_configILj256ELj13ELNS0_17block_load_methodE3ELS4_3ELS4_3ELNS0_20block_scan_algorithmE0ELj4294967295EEENS1_25partition_config_selectorILNS1_17partition_subalgoE4EjNS0_10empty_typeEbEEZZNS1_14partition_implILS8_4ELb0ES6_15HIP_vector_typeIjLj2EENS0_17counting_iteratorIjlEEPS9_SG_NS0_5tupleIJPjSI_NS0_16reverse_iteratorISI_EEEEENSH_IJSG_SG_SG_EEES9_SI_JZNS1_25segmented_radix_sort_implINS0_14default_configELb0EPKbPbPKlPlN2at6native12_GLOBAL__N_18offset_tEEE10hipError_tPvRmT1_PNSt15iterator_traitsIS12_E10value_typeET2_T3_PNS13_IS18_E10value_typeET4_jRbjT5_S1E_jjP12ihipStream_tbEUljE_ZNSN_ISO_Lb0ESQ_SR_ST_SU_SY_EESZ_S10_S11_S12_S16_S17_S18_S1B_S1C_jS1D_jS1E_S1E_jjS1G_bEUljE0_EEESZ_S10_S11_S18_S1C_S1E_T6_T7_T9_mT8_S1G_bDpT10_ENKUlT_T0_E_clISt17integral_constantIbLb1EES1T_IbLb0EEEEDaS1P_S1Q_EUlS1P_E_NS1_11comp_targetILNS1_3genE0ELNS1_11target_archE4294967295ELNS1_3gpuE0ELNS1_3repE0EEENS1_30default_config_static_selectorELNS0_4arch9wavefront6targetE1EEEvS12_.numbered_sgpr, 0
	.set _ZN7rocprim17ROCPRIM_400000_NS6detail17trampoline_kernelINS0_13select_configILj256ELj13ELNS0_17block_load_methodE3ELS4_3ELS4_3ELNS0_20block_scan_algorithmE0ELj4294967295EEENS1_25partition_config_selectorILNS1_17partition_subalgoE4EjNS0_10empty_typeEbEEZZNS1_14partition_implILS8_4ELb0ES6_15HIP_vector_typeIjLj2EENS0_17counting_iteratorIjlEEPS9_SG_NS0_5tupleIJPjSI_NS0_16reverse_iteratorISI_EEEEENSH_IJSG_SG_SG_EEES9_SI_JZNS1_25segmented_radix_sort_implINS0_14default_configELb0EPKbPbPKlPlN2at6native12_GLOBAL__N_18offset_tEEE10hipError_tPvRmT1_PNSt15iterator_traitsIS12_E10value_typeET2_T3_PNS13_IS18_E10value_typeET4_jRbjT5_S1E_jjP12ihipStream_tbEUljE_ZNSN_ISO_Lb0ESQ_SR_ST_SU_SY_EESZ_S10_S11_S12_S16_S17_S18_S1B_S1C_jS1D_jS1E_S1E_jjS1G_bEUljE0_EEESZ_S10_S11_S18_S1C_S1E_T6_T7_T9_mT8_S1G_bDpT10_ENKUlT_T0_E_clISt17integral_constantIbLb1EES1T_IbLb0EEEEDaS1P_S1Q_EUlS1P_E_NS1_11comp_targetILNS1_3genE0ELNS1_11target_archE4294967295ELNS1_3gpuE0ELNS1_3repE0EEENS1_30default_config_static_selectorELNS0_4arch9wavefront6targetE1EEEvS12_.num_named_barrier, 0
	.set _ZN7rocprim17ROCPRIM_400000_NS6detail17trampoline_kernelINS0_13select_configILj256ELj13ELNS0_17block_load_methodE3ELS4_3ELS4_3ELNS0_20block_scan_algorithmE0ELj4294967295EEENS1_25partition_config_selectorILNS1_17partition_subalgoE4EjNS0_10empty_typeEbEEZZNS1_14partition_implILS8_4ELb0ES6_15HIP_vector_typeIjLj2EENS0_17counting_iteratorIjlEEPS9_SG_NS0_5tupleIJPjSI_NS0_16reverse_iteratorISI_EEEEENSH_IJSG_SG_SG_EEES9_SI_JZNS1_25segmented_radix_sort_implINS0_14default_configELb0EPKbPbPKlPlN2at6native12_GLOBAL__N_18offset_tEEE10hipError_tPvRmT1_PNSt15iterator_traitsIS12_E10value_typeET2_T3_PNS13_IS18_E10value_typeET4_jRbjT5_S1E_jjP12ihipStream_tbEUljE_ZNSN_ISO_Lb0ESQ_SR_ST_SU_SY_EESZ_S10_S11_S12_S16_S17_S18_S1B_S1C_jS1D_jS1E_S1E_jjS1G_bEUljE0_EEESZ_S10_S11_S18_S1C_S1E_T6_T7_T9_mT8_S1G_bDpT10_ENKUlT_T0_E_clISt17integral_constantIbLb1EES1T_IbLb0EEEEDaS1P_S1Q_EUlS1P_E_NS1_11comp_targetILNS1_3genE0ELNS1_11target_archE4294967295ELNS1_3gpuE0ELNS1_3repE0EEENS1_30default_config_static_selectorELNS0_4arch9wavefront6targetE1EEEvS12_.private_seg_size, 0
	.set _ZN7rocprim17ROCPRIM_400000_NS6detail17trampoline_kernelINS0_13select_configILj256ELj13ELNS0_17block_load_methodE3ELS4_3ELS4_3ELNS0_20block_scan_algorithmE0ELj4294967295EEENS1_25partition_config_selectorILNS1_17partition_subalgoE4EjNS0_10empty_typeEbEEZZNS1_14partition_implILS8_4ELb0ES6_15HIP_vector_typeIjLj2EENS0_17counting_iteratorIjlEEPS9_SG_NS0_5tupleIJPjSI_NS0_16reverse_iteratorISI_EEEEENSH_IJSG_SG_SG_EEES9_SI_JZNS1_25segmented_radix_sort_implINS0_14default_configELb0EPKbPbPKlPlN2at6native12_GLOBAL__N_18offset_tEEE10hipError_tPvRmT1_PNSt15iterator_traitsIS12_E10value_typeET2_T3_PNS13_IS18_E10value_typeET4_jRbjT5_S1E_jjP12ihipStream_tbEUljE_ZNSN_ISO_Lb0ESQ_SR_ST_SU_SY_EESZ_S10_S11_S12_S16_S17_S18_S1B_S1C_jS1D_jS1E_S1E_jjS1G_bEUljE0_EEESZ_S10_S11_S18_S1C_S1E_T6_T7_T9_mT8_S1G_bDpT10_ENKUlT_T0_E_clISt17integral_constantIbLb1EES1T_IbLb0EEEEDaS1P_S1Q_EUlS1P_E_NS1_11comp_targetILNS1_3genE0ELNS1_11target_archE4294967295ELNS1_3gpuE0ELNS1_3repE0EEENS1_30default_config_static_selectorELNS0_4arch9wavefront6targetE1EEEvS12_.uses_vcc, 0
	.set _ZN7rocprim17ROCPRIM_400000_NS6detail17trampoline_kernelINS0_13select_configILj256ELj13ELNS0_17block_load_methodE3ELS4_3ELS4_3ELNS0_20block_scan_algorithmE0ELj4294967295EEENS1_25partition_config_selectorILNS1_17partition_subalgoE4EjNS0_10empty_typeEbEEZZNS1_14partition_implILS8_4ELb0ES6_15HIP_vector_typeIjLj2EENS0_17counting_iteratorIjlEEPS9_SG_NS0_5tupleIJPjSI_NS0_16reverse_iteratorISI_EEEEENSH_IJSG_SG_SG_EEES9_SI_JZNS1_25segmented_radix_sort_implINS0_14default_configELb0EPKbPbPKlPlN2at6native12_GLOBAL__N_18offset_tEEE10hipError_tPvRmT1_PNSt15iterator_traitsIS12_E10value_typeET2_T3_PNS13_IS18_E10value_typeET4_jRbjT5_S1E_jjP12ihipStream_tbEUljE_ZNSN_ISO_Lb0ESQ_SR_ST_SU_SY_EESZ_S10_S11_S12_S16_S17_S18_S1B_S1C_jS1D_jS1E_S1E_jjS1G_bEUljE0_EEESZ_S10_S11_S18_S1C_S1E_T6_T7_T9_mT8_S1G_bDpT10_ENKUlT_T0_E_clISt17integral_constantIbLb1EES1T_IbLb0EEEEDaS1P_S1Q_EUlS1P_E_NS1_11comp_targetILNS1_3genE0ELNS1_11target_archE4294967295ELNS1_3gpuE0ELNS1_3repE0EEENS1_30default_config_static_selectorELNS0_4arch9wavefront6targetE1EEEvS12_.uses_flat_scratch, 0
	.set _ZN7rocprim17ROCPRIM_400000_NS6detail17trampoline_kernelINS0_13select_configILj256ELj13ELNS0_17block_load_methodE3ELS4_3ELS4_3ELNS0_20block_scan_algorithmE0ELj4294967295EEENS1_25partition_config_selectorILNS1_17partition_subalgoE4EjNS0_10empty_typeEbEEZZNS1_14partition_implILS8_4ELb0ES6_15HIP_vector_typeIjLj2EENS0_17counting_iteratorIjlEEPS9_SG_NS0_5tupleIJPjSI_NS0_16reverse_iteratorISI_EEEEENSH_IJSG_SG_SG_EEES9_SI_JZNS1_25segmented_radix_sort_implINS0_14default_configELb0EPKbPbPKlPlN2at6native12_GLOBAL__N_18offset_tEEE10hipError_tPvRmT1_PNSt15iterator_traitsIS12_E10value_typeET2_T3_PNS13_IS18_E10value_typeET4_jRbjT5_S1E_jjP12ihipStream_tbEUljE_ZNSN_ISO_Lb0ESQ_SR_ST_SU_SY_EESZ_S10_S11_S12_S16_S17_S18_S1B_S1C_jS1D_jS1E_S1E_jjS1G_bEUljE0_EEESZ_S10_S11_S18_S1C_S1E_T6_T7_T9_mT8_S1G_bDpT10_ENKUlT_T0_E_clISt17integral_constantIbLb1EES1T_IbLb0EEEEDaS1P_S1Q_EUlS1P_E_NS1_11comp_targetILNS1_3genE0ELNS1_11target_archE4294967295ELNS1_3gpuE0ELNS1_3repE0EEENS1_30default_config_static_selectorELNS0_4arch9wavefront6targetE1EEEvS12_.has_dyn_sized_stack, 0
	.set _ZN7rocprim17ROCPRIM_400000_NS6detail17trampoline_kernelINS0_13select_configILj256ELj13ELNS0_17block_load_methodE3ELS4_3ELS4_3ELNS0_20block_scan_algorithmE0ELj4294967295EEENS1_25partition_config_selectorILNS1_17partition_subalgoE4EjNS0_10empty_typeEbEEZZNS1_14partition_implILS8_4ELb0ES6_15HIP_vector_typeIjLj2EENS0_17counting_iteratorIjlEEPS9_SG_NS0_5tupleIJPjSI_NS0_16reverse_iteratorISI_EEEEENSH_IJSG_SG_SG_EEES9_SI_JZNS1_25segmented_radix_sort_implINS0_14default_configELb0EPKbPbPKlPlN2at6native12_GLOBAL__N_18offset_tEEE10hipError_tPvRmT1_PNSt15iterator_traitsIS12_E10value_typeET2_T3_PNS13_IS18_E10value_typeET4_jRbjT5_S1E_jjP12ihipStream_tbEUljE_ZNSN_ISO_Lb0ESQ_SR_ST_SU_SY_EESZ_S10_S11_S12_S16_S17_S18_S1B_S1C_jS1D_jS1E_S1E_jjS1G_bEUljE0_EEESZ_S10_S11_S18_S1C_S1E_T6_T7_T9_mT8_S1G_bDpT10_ENKUlT_T0_E_clISt17integral_constantIbLb1EES1T_IbLb0EEEEDaS1P_S1Q_EUlS1P_E_NS1_11comp_targetILNS1_3genE0ELNS1_11target_archE4294967295ELNS1_3gpuE0ELNS1_3repE0EEENS1_30default_config_static_selectorELNS0_4arch9wavefront6targetE1EEEvS12_.has_recursion, 0
	.set _ZN7rocprim17ROCPRIM_400000_NS6detail17trampoline_kernelINS0_13select_configILj256ELj13ELNS0_17block_load_methodE3ELS4_3ELS4_3ELNS0_20block_scan_algorithmE0ELj4294967295EEENS1_25partition_config_selectorILNS1_17partition_subalgoE4EjNS0_10empty_typeEbEEZZNS1_14partition_implILS8_4ELb0ES6_15HIP_vector_typeIjLj2EENS0_17counting_iteratorIjlEEPS9_SG_NS0_5tupleIJPjSI_NS0_16reverse_iteratorISI_EEEEENSH_IJSG_SG_SG_EEES9_SI_JZNS1_25segmented_radix_sort_implINS0_14default_configELb0EPKbPbPKlPlN2at6native12_GLOBAL__N_18offset_tEEE10hipError_tPvRmT1_PNSt15iterator_traitsIS12_E10value_typeET2_T3_PNS13_IS18_E10value_typeET4_jRbjT5_S1E_jjP12ihipStream_tbEUljE_ZNSN_ISO_Lb0ESQ_SR_ST_SU_SY_EESZ_S10_S11_S12_S16_S17_S18_S1B_S1C_jS1D_jS1E_S1E_jjS1G_bEUljE0_EEESZ_S10_S11_S18_S1C_S1E_T6_T7_T9_mT8_S1G_bDpT10_ENKUlT_T0_E_clISt17integral_constantIbLb1EES1T_IbLb0EEEEDaS1P_S1Q_EUlS1P_E_NS1_11comp_targetILNS1_3genE0ELNS1_11target_archE4294967295ELNS1_3gpuE0ELNS1_3repE0EEENS1_30default_config_static_selectorELNS0_4arch9wavefront6targetE1EEEvS12_.has_indirect_call, 0
	.section	.AMDGPU.csdata,"",@progbits
; Kernel info:
; codeLenInByte = 0
; TotalNumSgprs: 4
; NumVgprs: 0
; ScratchSize: 0
; MemoryBound: 0
; FloatMode: 240
; IeeeMode: 1
; LDSByteSize: 0 bytes/workgroup (compile time only)
; SGPRBlocks: 0
; VGPRBlocks: 0
; NumSGPRsForWavesPerEU: 4
; NumVGPRsForWavesPerEU: 1
; Occupancy: 10
; WaveLimiterHint : 0
; COMPUTE_PGM_RSRC2:SCRATCH_EN: 0
; COMPUTE_PGM_RSRC2:USER_SGPR: 6
; COMPUTE_PGM_RSRC2:TRAP_HANDLER: 0
; COMPUTE_PGM_RSRC2:TGID_X_EN: 1
; COMPUTE_PGM_RSRC2:TGID_Y_EN: 0
; COMPUTE_PGM_RSRC2:TGID_Z_EN: 0
; COMPUTE_PGM_RSRC2:TIDIG_COMP_CNT: 0
	.section	.text._ZN7rocprim17ROCPRIM_400000_NS6detail17trampoline_kernelINS0_13select_configILj256ELj13ELNS0_17block_load_methodE3ELS4_3ELS4_3ELNS0_20block_scan_algorithmE0ELj4294967295EEENS1_25partition_config_selectorILNS1_17partition_subalgoE4EjNS0_10empty_typeEbEEZZNS1_14partition_implILS8_4ELb0ES6_15HIP_vector_typeIjLj2EENS0_17counting_iteratorIjlEEPS9_SG_NS0_5tupleIJPjSI_NS0_16reverse_iteratorISI_EEEEENSH_IJSG_SG_SG_EEES9_SI_JZNS1_25segmented_radix_sort_implINS0_14default_configELb0EPKbPbPKlPlN2at6native12_GLOBAL__N_18offset_tEEE10hipError_tPvRmT1_PNSt15iterator_traitsIS12_E10value_typeET2_T3_PNS13_IS18_E10value_typeET4_jRbjT5_S1E_jjP12ihipStream_tbEUljE_ZNSN_ISO_Lb0ESQ_SR_ST_SU_SY_EESZ_S10_S11_S12_S16_S17_S18_S1B_S1C_jS1D_jS1E_S1E_jjS1G_bEUljE0_EEESZ_S10_S11_S18_S1C_S1E_T6_T7_T9_mT8_S1G_bDpT10_ENKUlT_T0_E_clISt17integral_constantIbLb1EES1T_IbLb0EEEEDaS1P_S1Q_EUlS1P_E_NS1_11comp_targetILNS1_3genE5ELNS1_11target_archE942ELNS1_3gpuE9ELNS1_3repE0EEENS1_30default_config_static_selectorELNS0_4arch9wavefront6targetE1EEEvS12_,"axG",@progbits,_ZN7rocprim17ROCPRIM_400000_NS6detail17trampoline_kernelINS0_13select_configILj256ELj13ELNS0_17block_load_methodE3ELS4_3ELS4_3ELNS0_20block_scan_algorithmE0ELj4294967295EEENS1_25partition_config_selectorILNS1_17partition_subalgoE4EjNS0_10empty_typeEbEEZZNS1_14partition_implILS8_4ELb0ES6_15HIP_vector_typeIjLj2EENS0_17counting_iteratorIjlEEPS9_SG_NS0_5tupleIJPjSI_NS0_16reverse_iteratorISI_EEEEENSH_IJSG_SG_SG_EEES9_SI_JZNS1_25segmented_radix_sort_implINS0_14default_configELb0EPKbPbPKlPlN2at6native12_GLOBAL__N_18offset_tEEE10hipError_tPvRmT1_PNSt15iterator_traitsIS12_E10value_typeET2_T3_PNS13_IS18_E10value_typeET4_jRbjT5_S1E_jjP12ihipStream_tbEUljE_ZNSN_ISO_Lb0ESQ_SR_ST_SU_SY_EESZ_S10_S11_S12_S16_S17_S18_S1B_S1C_jS1D_jS1E_S1E_jjS1G_bEUljE0_EEESZ_S10_S11_S18_S1C_S1E_T6_T7_T9_mT8_S1G_bDpT10_ENKUlT_T0_E_clISt17integral_constantIbLb1EES1T_IbLb0EEEEDaS1P_S1Q_EUlS1P_E_NS1_11comp_targetILNS1_3genE5ELNS1_11target_archE942ELNS1_3gpuE9ELNS1_3repE0EEENS1_30default_config_static_selectorELNS0_4arch9wavefront6targetE1EEEvS12_,comdat
	.globl	_ZN7rocprim17ROCPRIM_400000_NS6detail17trampoline_kernelINS0_13select_configILj256ELj13ELNS0_17block_load_methodE3ELS4_3ELS4_3ELNS0_20block_scan_algorithmE0ELj4294967295EEENS1_25partition_config_selectorILNS1_17partition_subalgoE4EjNS0_10empty_typeEbEEZZNS1_14partition_implILS8_4ELb0ES6_15HIP_vector_typeIjLj2EENS0_17counting_iteratorIjlEEPS9_SG_NS0_5tupleIJPjSI_NS0_16reverse_iteratorISI_EEEEENSH_IJSG_SG_SG_EEES9_SI_JZNS1_25segmented_radix_sort_implINS0_14default_configELb0EPKbPbPKlPlN2at6native12_GLOBAL__N_18offset_tEEE10hipError_tPvRmT1_PNSt15iterator_traitsIS12_E10value_typeET2_T3_PNS13_IS18_E10value_typeET4_jRbjT5_S1E_jjP12ihipStream_tbEUljE_ZNSN_ISO_Lb0ESQ_SR_ST_SU_SY_EESZ_S10_S11_S12_S16_S17_S18_S1B_S1C_jS1D_jS1E_S1E_jjS1G_bEUljE0_EEESZ_S10_S11_S18_S1C_S1E_T6_T7_T9_mT8_S1G_bDpT10_ENKUlT_T0_E_clISt17integral_constantIbLb1EES1T_IbLb0EEEEDaS1P_S1Q_EUlS1P_E_NS1_11comp_targetILNS1_3genE5ELNS1_11target_archE942ELNS1_3gpuE9ELNS1_3repE0EEENS1_30default_config_static_selectorELNS0_4arch9wavefront6targetE1EEEvS12_ ; -- Begin function _ZN7rocprim17ROCPRIM_400000_NS6detail17trampoline_kernelINS0_13select_configILj256ELj13ELNS0_17block_load_methodE3ELS4_3ELS4_3ELNS0_20block_scan_algorithmE0ELj4294967295EEENS1_25partition_config_selectorILNS1_17partition_subalgoE4EjNS0_10empty_typeEbEEZZNS1_14partition_implILS8_4ELb0ES6_15HIP_vector_typeIjLj2EENS0_17counting_iteratorIjlEEPS9_SG_NS0_5tupleIJPjSI_NS0_16reverse_iteratorISI_EEEEENSH_IJSG_SG_SG_EEES9_SI_JZNS1_25segmented_radix_sort_implINS0_14default_configELb0EPKbPbPKlPlN2at6native12_GLOBAL__N_18offset_tEEE10hipError_tPvRmT1_PNSt15iterator_traitsIS12_E10value_typeET2_T3_PNS13_IS18_E10value_typeET4_jRbjT5_S1E_jjP12ihipStream_tbEUljE_ZNSN_ISO_Lb0ESQ_SR_ST_SU_SY_EESZ_S10_S11_S12_S16_S17_S18_S1B_S1C_jS1D_jS1E_S1E_jjS1G_bEUljE0_EEESZ_S10_S11_S18_S1C_S1E_T6_T7_T9_mT8_S1G_bDpT10_ENKUlT_T0_E_clISt17integral_constantIbLb1EES1T_IbLb0EEEEDaS1P_S1Q_EUlS1P_E_NS1_11comp_targetILNS1_3genE5ELNS1_11target_archE942ELNS1_3gpuE9ELNS1_3repE0EEENS1_30default_config_static_selectorELNS0_4arch9wavefront6targetE1EEEvS12_
	.p2align	8
	.type	_ZN7rocprim17ROCPRIM_400000_NS6detail17trampoline_kernelINS0_13select_configILj256ELj13ELNS0_17block_load_methodE3ELS4_3ELS4_3ELNS0_20block_scan_algorithmE0ELj4294967295EEENS1_25partition_config_selectorILNS1_17partition_subalgoE4EjNS0_10empty_typeEbEEZZNS1_14partition_implILS8_4ELb0ES6_15HIP_vector_typeIjLj2EENS0_17counting_iteratorIjlEEPS9_SG_NS0_5tupleIJPjSI_NS0_16reverse_iteratorISI_EEEEENSH_IJSG_SG_SG_EEES9_SI_JZNS1_25segmented_radix_sort_implINS0_14default_configELb0EPKbPbPKlPlN2at6native12_GLOBAL__N_18offset_tEEE10hipError_tPvRmT1_PNSt15iterator_traitsIS12_E10value_typeET2_T3_PNS13_IS18_E10value_typeET4_jRbjT5_S1E_jjP12ihipStream_tbEUljE_ZNSN_ISO_Lb0ESQ_SR_ST_SU_SY_EESZ_S10_S11_S12_S16_S17_S18_S1B_S1C_jS1D_jS1E_S1E_jjS1G_bEUljE0_EEESZ_S10_S11_S18_S1C_S1E_T6_T7_T9_mT8_S1G_bDpT10_ENKUlT_T0_E_clISt17integral_constantIbLb1EES1T_IbLb0EEEEDaS1P_S1Q_EUlS1P_E_NS1_11comp_targetILNS1_3genE5ELNS1_11target_archE942ELNS1_3gpuE9ELNS1_3repE0EEENS1_30default_config_static_selectorELNS0_4arch9wavefront6targetE1EEEvS12_,@function
_ZN7rocprim17ROCPRIM_400000_NS6detail17trampoline_kernelINS0_13select_configILj256ELj13ELNS0_17block_load_methodE3ELS4_3ELS4_3ELNS0_20block_scan_algorithmE0ELj4294967295EEENS1_25partition_config_selectorILNS1_17partition_subalgoE4EjNS0_10empty_typeEbEEZZNS1_14partition_implILS8_4ELb0ES6_15HIP_vector_typeIjLj2EENS0_17counting_iteratorIjlEEPS9_SG_NS0_5tupleIJPjSI_NS0_16reverse_iteratorISI_EEEEENSH_IJSG_SG_SG_EEES9_SI_JZNS1_25segmented_radix_sort_implINS0_14default_configELb0EPKbPbPKlPlN2at6native12_GLOBAL__N_18offset_tEEE10hipError_tPvRmT1_PNSt15iterator_traitsIS12_E10value_typeET2_T3_PNS13_IS18_E10value_typeET4_jRbjT5_S1E_jjP12ihipStream_tbEUljE_ZNSN_ISO_Lb0ESQ_SR_ST_SU_SY_EESZ_S10_S11_S12_S16_S17_S18_S1B_S1C_jS1D_jS1E_S1E_jjS1G_bEUljE0_EEESZ_S10_S11_S18_S1C_S1E_T6_T7_T9_mT8_S1G_bDpT10_ENKUlT_T0_E_clISt17integral_constantIbLb1EES1T_IbLb0EEEEDaS1P_S1Q_EUlS1P_E_NS1_11comp_targetILNS1_3genE5ELNS1_11target_archE942ELNS1_3gpuE9ELNS1_3repE0EEENS1_30default_config_static_selectorELNS0_4arch9wavefront6targetE1EEEvS12_: ; @_ZN7rocprim17ROCPRIM_400000_NS6detail17trampoline_kernelINS0_13select_configILj256ELj13ELNS0_17block_load_methodE3ELS4_3ELS4_3ELNS0_20block_scan_algorithmE0ELj4294967295EEENS1_25partition_config_selectorILNS1_17partition_subalgoE4EjNS0_10empty_typeEbEEZZNS1_14partition_implILS8_4ELb0ES6_15HIP_vector_typeIjLj2EENS0_17counting_iteratorIjlEEPS9_SG_NS0_5tupleIJPjSI_NS0_16reverse_iteratorISI_EEEEENSH_IJSG_SG_SG_EEES9_SI_JZNS1_25segmented_radix_sort_implINS0_14default_configELb0EPKbPbPKlPlN2at6native12_GLOBAL__N_18offset_tEEE10hipError_tPvRmT1_PNSt15iterator_traitsIS12_E10value_typeET2_T3_PNS13_IS18_E10value_typeET4_jRbjT5_S1E_jjP12ihipStream_tbEUljE_ZNSN_ISO_Lb0ESQ_SR_ST_SU_SY_EESZ_S10_S11_S12_S16_S17_S18_S1B_S1C_jS1D_jS1E_S1E_jjS1G_bEUljE0_EEESZ_S10_S11_S18_S1C_S1E_T6_T7_T9_mT8_S1G_bDpT10_ENKUlT_T0_E_clISt17integral_constantIbLb1EES1T_IbLb0EEEEDaS1P_S1Q_EUlS1P_E_NS1_11comp_targetILNS1_3genE5ELNS1_11target_archE942ELNS1_3gpuE9ELNS1_3repE0EEENS1_30default_config_static_selectorELNS0_4arch9wavefront6targetE1EEEvS12_
; %bb.0:
	.section	.rodata,"a",@progbits
	.p2align	6, 0x0
	.amdhsa_kernel _ZN7rocprim17ROCPRIM_400000_NS6detail17trampoline_kernelINS0_13select_configILj256ELj13ELNS0_17block_load_methodE3ELS4_3ELS4_3ELNS0_20block_scan_algorithmE0ELj4294967295EEENS1_25partition_config_selectorILNS1_17partition_subalgoE4EjNS0_10empty_typeEbEEZZNS1_14partition_implILS8_4ELb0ES6_15HIP_vector_typeIjLj2EENS0_17counting_iteratorIjlEEPS9_SG_NS0_5tupleIJPjSI_NS0_16reverse_iteratorISI_EEEEENSH_IJSG_SG_SG_EEES9_SI_JZNS1_25segmented_radix_sort_implINS0_14default_configELb0EPKbPbPKlPlN2at6native12_GLOBAL__N_18offset_tEEE10hipError_tPvRmT1_PNSt15iterator_traitsIS12_E10value_typeET2_T3_PNS13_IS18_E10value_typeET4_jRbjT5_S1E_jjP12ihipStream_tbEUljE_ZNSN_ISO_Lb0ESQ_SR_ST_SU_SY_EESZ_S10_S11_S12_S16_S17_S18_S1B_S1C_jS1D_jS1E_S1E_jjS1G_bEUljE0_EEESZ_S10_S11_S18_S1C_S1E_T6_T7_T9_mT8_S1G_bDpT10_ENKUlT_T0_E_clISt17integral_constantIbLb1EES1T_IbLb0EEEEDaS1P_S1Q_EUlS1P_E_NS1_11comp_targetILNS1_3genE5ELNS1_11target_archE942ELNS1_3gpuE9ELNS1_3repE0EEENS1_30default_config_static_selectorELNS0_4arch9wavefront6targetE1EEEvS12_
		.amdhsa_group_segment_fixed_size 0
		.amdhsa_private_segment_fixed_size 0
		.amdhsa_kernarg_size 176
		.amdhsa_user_sgpr_count 6
		.amdhsa_user_sgpr_private_segment_buffer 1
		.amdhsa_user_sgpr_dispatch_ptr 0
		.amdhsa_user_sgpr_queue_ptr 0
		.amdhsa_user_sgpr_kernarg_segment_ptr 1
		.amdhsa_user_sgpr_dispatch_id 0
		.amdhsa_user_sgpr_flat_scratch_init 0
		.amdhsa_user_sgpr_private_segment_size 0
		.amdhsa_uses_dynamic_stack 0
		.amdhsa_system_sgpr_private_segment_wavefront_offset 0
		.amdhsa_system_sgpr_workgroup_id_x 1
		.amdhsa_system_sgpr_workgroup_id_y 0
		.amdhsa_system_sgpr_workgroup_id_z 0
		.amdhsa_system_sgpr_workgroup_info 0
		.amdhsa_system_vgpr_workitem_id 0
		.amdhsa_next_free_vgpr 1
		.amdhsa_next_free_sgpr 0
		.amdhsa_reserve_vcc 0
		.amdhsa_reserve_flat_scratch 0
		.amdhsa_float_round_mode_32 0
		.amdhsa_float_round_mode_16_64 0
		.amdhsa_float_denorm_mode_32 3
		.amdhsa_float_denorm_mode_16_64 3
		.amdhsa_dx10_clamp 1
		.amdhsa_ieee_mode 1
		.amdhsa_fp16_overflow 0
		.amdhsa_exception_fp_ieee_invalid_op 0
		.amdhsa_exception_fp_denorm_src 0
		.amdhsa_exception_fp_ieee_div_zero 0
		.amdhsa_exception_fp_ieee_overflow 0
		.amdhsa_exception_fp_ieee_underflow 0
		.amdhsa_exception_fp_ieee_inexact 0
		.amdhsa_exception_int_div_zero 0
	.end_amdhsa_kernel
	.section	.text._ZN7rocprim17ROCPRIM_400000_NS6detail17trampoline_kernelINS0_13select_configILj256ELj13ELNS0_17block_load_methodE3ELS4_3ELS4_3ELNS0_20block_scan_algorithmE0ELj4294967295EEENS1_25partition_config_selectorILNS1_17partition_subalgoE4EjNS0_10empty_typeEbEEZZNS1_14partition_implILS8_4ELb0ES6_15HIP_vector_typeIjLj2EENS0_17counting_iteratorIjlEEPS9_SG_NS0_5tupleIJPjSI_NS0_16reverse_iteratorISI_EEEEENSH_IJSG_SG_SG_EEES9_SI_JZNS1_25segmented_radix_sort_implINS0_14default_configELb0EPKbPbPKlPlN2at6native12_GLOBAL__N_18offset_tEEE10hipError_tPvRmT1_PNSt15iterator_traitsIS12_E10value_typeET2_T3_PNS13_IS18_E10value_typeET4_jRbjT5_S1E_jjP12ihipStream_tbEUljE_ZNSN_ISO_Lb0ESQ_SR_ST_SU_SY_EESZ_S10_S11_S12_S16_S17_S18_S1B_S1C_jS1D_jS1E_S1E_jjS1G_bEUljE0_EEESZ_S10_S11_S18_S1C_S1E_T6_T7_T9_mT8_S1G_bDpT10_ENKUlT_T0_E_clISt17integral_constantIbLb1EES1T_IbLb0EEEEDaS1P_S1Q_EUlS1P_E_NS1_11comp_targetILNS1_3genE5ELNS1_11target_archE942ELNS1_3gpuE9ELNS1_3repE0EEENS1_30default_config_static_selectorELNS0_4arch9wavefront6targetE1EEEvS12_,"axG",@progbits,_ZN7rocprim17ROCPRIM_400000_NS6detail17trampoline_kernelINS0_13select_configILj256ELj13ELNS0_17block_load_methodE3ELS4_3ELS4_3ELNS0_20block_scan_algorithmE0ELj4294967295EEENS1_25partition_config_selectorILNS1_17partition_subalgoE4EjNS0_10empty_typeEbEEZZNS1_14partition_implILS8_4ELb0ES6_15HIP_vector_typeIjLj2EENS0_17counting_iteratorIjlEEPS9_SG_NS0_5tupleIJPjSI_NS0_16reverse_iteratorISI_EEEEENSH_IJSG_SG_SG_EEES9_SI_JZNS1_25segmented_radix_sort_implINS0_14default_configELb0EPKbPbPKlPlN2at6native12_GLOBAL__N_18offset_tEEE10hipError_tPvRmT1_PNSt15iterator_traitsIS12_E10value_typeET2_T3_PNS13_IS18_E10value_typeET4_jRbjT5_S1E_jjP12ihipStream_tbEUljE_ZNSN_ISO_Lb0ESQ_SR_ST_SU_SY_EESZ_S10_S11_S12_S16_S17_S18_S1B_S1C_jS1D_jS1E_S1E_jjS1G_bEUljE0_EEESZ_S10_S11_S18_S1C_S1E_T6_T7_T9_mT8_S1G_bDpT10_ENKUlT_T0_E_clISt17integral_constantIbLb1EES1T_IbLb0EEEEDaS1P_S1Q_EUlS1P_E_NS1_11comp_targetILNS1_3genE5ELNS1_11target_archE942ELNS1_3gpuE9ELNS1_3repE0EEENS1_30default_config_static_selectorELNS0_4arch9wavefront6targetE1EEEvS12_,comdat
.Lfunc_end1588:
	.size	_ZN7rocprim17ROCPRIM_400000_NS6detail17trampoline_kernelINS0_13select_configILj256ELj13ELNS0_17block_load_methodE3ELS4_3ELS4_3ELNS0_20block_scan_algorithmE0ELj4294967295EEENS1_25partition_config_selectorILNS1_17partition_subalgoE4EjNS0_10empty_typeEbEEZZNS1_14partition_implILS8_4ELb0ES6_15HIP_vector_typeIjLj2EENS0_17counting_iteratorIjlEEPS9_SG_NS0_5tupleIJPjSI_NS0_16reverse_iteratorISI_EEEEENSH_IJSG_SG_SG_EEES9_SI_JZNS1_25segmented_radix_sort_implINS0_14default_configELb0EPKbPbPKlPlN2at6native12_GLOBAL__N_18offset_tEEE10hipError_tPvRmT1_PNSt15iterator_traitsIS12_E10value_typeET2_T3_PNS13_IS18_E10value_typeET4_jRbjT5_S1E_jjP12ihipStream_tbEUljE_ZNSN_ISO_Lb0ESQ_SR_ST_SU_SY_EESZ_S10_S11_S12_S16_S17_S18_S1B_S1C_jS1D_jS1E_S1E_jjS1G_bEUljE0_EEESZ_S10_S11_S18_S1C_S1E_T6_T7_T9_mT8_S1G_bDpT10_ENKUlT_T0_E_clISt17integral_constantIbLb1EES1T_IbLb0EEEEDaS1P_S1Q_EUlS1P_E_NS1_11comp_targetILNS1_3genE5ELNS1_11target_archE942ELNS1_3gpuE9ELNS1_3repE0EEENS1_30default_config_static_selectorELNS0_4arch9wavefront6targetE1EEEvS12_, .Lfunc_end1588-_ZN7rocprim17ROCPRIM_400000_NS6detail17trampoline_kernelINS0_13select_configILj256ELj13ELNS0_17block_load_methodE3ELS4_3ELS4_3ELNS0_20block_scan_algorithmE0ELj4294967295EEENS1_25partition_config_selectorILNS1_17partition_subalgoE4EjNS0_10empty_typeEbEEZZNS1_14partition_implILS8_4ELb0ES6_15HIP_vector_typeIjLj2EENS0_17counting_iteratorIjlEEPS9_SG_NS0_5tupleIJPjSI_NS0_16reverse_iteratorISI_EEEEENSH_IJSG_SG_SG_EEES9_SI_JZNS1_25segmented_radix_sort_implINS0_14default_configELb0EPKbPbPKlPlN2at6native12_GLOBAL__N_18offset_tEEE10hipError_tPvRmT1_PNSt15iterator_traitsIS12_E10value_typeET2_T3_PNS13_IS18_E10value_typeET4_jRbjT5_S1E_jjP12ihipStream_tbEUljE_ZNSN_ISO_Lb0ESQ_SR_ST_SU_SY_EESZ_S10_S11_S12_S16_S17_S18_S1B_S1C_jS1D_jS1E_S1E_jjS1G_bEUljE0_EEESZ_S10_S11_S18_S1C_S1E_T6_T7_T9_mT8_S1G_bDpT10_ENKUlT_T0_E_clISt17integral_constantIbLb1EES1T_IbLb0EEEEDaS1P_S1Q_EUlS1P_E_NS1_11comp_targetILNS1_3genE5ELNS1_11target_archE942ELNS1_3gpuE9ELNS1_3repE0EEENS1_30default_config_static_selectorELNS0_4arch9wavefront6targetE1EEEvS12_
                                        ; -- End function
	.set _ZN7rocprim17ROCPRIM_400000_NS6detail17trampoline_kernelINS0_13select_configILj256ELj13ELNS0_17block_load_methodE3ELS4_3ELS4_3ELNS0_20block_scan_algorithmE0ELj4294967295EEENS1_25partition_config_selectorILNS1_17partition_subalgoE4EjNS0_10empty_typeEbEEZZNS1_14partition_implILS8_4ELb0ES6_15HIP_vector_typeIjLj2EENS0_17counting_iteratorIjlEEPS9_SG_NS0_5tupleIJPjSI_NS0_16reverse_iteratorISI_EEEEENSH_IJSG_SG_SG_EEES9_SI_JZNS1_25segmented_radix_sort_implINS0_14default_configELb0EPKbPbPKlPlN2at6native12_GLOBAL__N_18offset_tEEE10hipError_tPvRmT1_PNSt15iterator_traitsIS12_E10value_typeET2_T3_PNS13_IS18_E10value_typeET4_jRbjT5_S1E_jjP12ihipStream_tbEUljE_ZNSN_ISO_Lb0ESQ_SR_ST_SU_SY_EESZ_S10_S11_S12_S16_S17_S18_S1B_S1C_jS1D_jS1E_S1E_jjS1G_bEUljE0_EEESZ_S10_S11_S18_S1C_S1E_T6_T7_T9_mT8_S1G_bDpT10_ENKUlT_T0_E_clISt17integral_constantIbLb1EES1T_IbLb0EEEEDaS1P_S1Q_EUlS1P_E_NS1_11comp_targetILNS1_3genE5ELNS1_11target_archE942ELNS1_3gpuE9ELNS1_3repE0EEENS1_30default_config_static_selectorELNS0_4arch9wavefront6targetE1EEEvS12_.num_vgpr, 0
	.set _ZN7rocprim17ROCPRIM_400000_NS6detail17trampoline_kernelINS0_13select_configILj256ELj13ELNS0_17block_load_methodE3ELS4_3ELS4_3ELNS0_20block_scan_algorithmE0ELj4294967295EEENS1_25partition_config_selectorILNS1_17partition_subalgoE4EjNS0_10empty_typeEbEEZZNS1_14partition_implILS8_4ELb0ES6_15HIP_vector_typeIjLj2EENS0_17counting_iteratorIjlEEPS9_SG_NS0_5tupleIJPjSI_NS0_16reverse_iteratorISI_EEEEENSH_IJSG_SG_SG_EEES9_SI_JZNS1_25segmented_radix_sort_implINS0_14default_configELb0EPKbPbPKlPlN2at6native12_GLOBAL__N_18offset_tEEE10hipError_tPvRmT1_PNSt15iterator_traitsIS12_E10value_typeET2_T3_PNS13_IS18_E10value_typeET4_jRbjT5_S1E_jjP12ihipStream_tbEUljE_ZNSN_ISO_Lb0ESQ_SR_ST_SU_SY_EESZ_S10_S11_S12_S16_S17_S18_S1B_S1C_jS1D_jS1E_S1E_jjS1G_bEUljE0_EEESZ_S10_S11_S18_S1C_S1E_T6_T7_T9_mT8_S1G_bDpT10_ENKUlT_T0_E_clISt17integral_constantIbLb1EES1T_IbLb0EEEEDaS1P_S1Q_EUlS1P_E_NS1_11comp_targetILNS1_3genE5ELNS1_11target_archE942ELNS1_3gpuE9ELNS1_3repE0EEENS1_30default_config_static_selectorELNS0_4arch9wavefront6targetE1EEEvS12_.num_agpr, 0
	.set _ZN7rocprim17ROCPRIM_400000_NS6detail17trampoline_kernelINS0_13select_configILj256ELj13ELNS0_17block_load_methodE3ELS4_3ELS4_3ELNS0_20block_scan_algorithmE0ELj4294967295EEENS1_25partition_config_selectorILNS1_17partition_subalgoE4EjNS0_10empty_typeEbEEZZNS1_14partition_implILS8_4ELb0ES6_15HIP_vector_typeIjLj2EENS0_17counting_iteratorIjlEEPS9_SG_NS0_5tupleIJPjSI_NS0_16reverse_iteratorISI_EEEEENSH_IJSG_SG_SG_EEES9_SI_JZNS1_25segmented_radix_sort_implINS0_14default_configELb0EPKbPbPKlPlN2at6native12_GLOBAL__N_18offset_tEEE10hipError_tPvRmT1_PNSt15iterator_traitsIS12_E10value_typeET2_T3_PNS13_IS18_E10value_typeET4_jRbjT5_S1E_jjP12ihipStream_tbEUljE_ZNSN_ISO_Lb0ESQ_SR_ST_SU_SY_EESZ_S10_S11_S12_S16_S17_S18_S1B_S1C_jS1D_jS1E_S1E_jjS1G_bEUljE0_EEESZ_S10_S11_S18_S1C_S1E_T6_T7_T9_mT8_S1G_bDpT10_ENKUlT_T0_E_clISt17integral_constantIbLb1EES1T_IbLb0EEEEDaS1P_S1Q_EUlS1P_E_NS1_11comp_targetILNS1_3genE5ELNS1_11target_archE942ELNS1_3gpuE9ELNS1_3repE0EEENS1_30default_config_static_selectorELNS0_4arch9wavefront6targetE1EEEvS12_.numbered_sgpr, 0
	.set _ZN7rocprim17ROCPRIM_400000_NS6detail17trampoline_kernelINS0_13select_configILj256ELj13ELNS0_17block_load_methodE3ELS4_3ELS4_3ELNS0_20block_scan_algorithmE0ELj4294967295EEENS1_25partition_config_selectorILNS1_17partition_subalgoE4EjNS0_10empty_typeEbEEZZNS1_14partition_implILS8_4ELb0ES6_15HIP_vector_typeIjLj2EENS0_17counting_iteratorIjlEEPS9_SG_NS0_5tupleIJPjSI_NS0_16reverse_iteratorISI_EEEEENSH_IJSG_SG_SG_EEES9_SI_JZNS1_25segmented_radix_sort_implINS0_14default_configELb0EPKbPbPKlPlN2at6native12_GLOBAL__N_18offset_tEEE10hipError_tPvRmT1_PNSt15iterator_traitsIS12_E10value_typeET2_T3_PNS13_IS18_E10value_typeET4_jRbjT5_S1E_jjP12ihipStream_tbEUljE_ZNSN_ISO_Lb0ESQ_SR_ST_SU_SY_EESZ_S10_S11_S12_S16_S17_S18_S1B_S1C_jS1D_jS1E_S1E_jjS1G_bEUljE0_EEESZ_S10_S11_S18_S1C_S1E_T6_T7_T9_mT8_S1G_bDpT10_ENKUlT_T0_E_clISt17integral_constantIbLb1EES1T_IbLb0EEEEDaS1P_S1Q_EUlS1P_E_NS1_11comp_targetILNS1_3genE5ELNS1_11target_archE942ELNS1_3gpuE9ELNS1_3repE0EEENS1_30default_config_static_selectorELNS0_4arch9wavefront6targetE1EEEvS12_.num_named_barrier, 0
	.set _ZN7rocprim17ROCPRIM_400000_NS6detail17trampoline_kernelINS0_13select_configILj256ELj13ELNS0_17block_load_methodE3ELS4_3ELS4_3ELNS0_20block_scan_algorithmE0ELj4294967295EEENS1_25partition_config_selectorILNS1_17partition_subalgoE4EjNS0_10empty_typeEbEEZZNS1_14partition_implILS8_4ELb0ES6_15HIP_vector_typeIjLj2EENS0_17counting_iteratorIjlEEPS9_SG_NS0_5tupleIJPjSI_NS0_16reverse_iteratorISI_EEEEENSH_IJSG_SG_SG_EEES9_SI_JZNS1_25segmented_radix_sort_implINS0_14default_configELb0EPKbPbPKlPlN2at6native12_GLOBAL__N_18offset_tEEE10hipError_tPvRmT1_PNSt15iterator_traitsIS12_E10value_typeET2_T3_PNS13_IS18_E10value_typeET4_jRbjT5_S1E_jjP12ihipStream_tbEUljE_ZNSN_ISO_Lb0ESQ_SR_ST_SU_SY_EESZ_S10_S11_S12_S16_S17_S18_S1B_S1C_jS1D_jS1E_S1E_jjS1G_bEUljE0_EEESZ_S10_S11_S18_S1C_S1E_T6_T7_T9_mT8_S1G_bDpT10_ENKUlT_T0_E_clISt17integral_constantIbLb1EES1T_IbLb0EEEEDaS1P_S1Q_EUlS1P_E_NS1_11comp_targetILNS1_3genE5ELNS1_11target_archE942ELNS1_3gpuE9ELNS1_3repE0EEENS1_30default_config_static_selectorELNS0_4arch9wavefront6targetE1EEEvS12_.private_seg_size, 0
	.set _ZN7rocprim17ROCPRIM_400000_NS6detail17trampoline_kernelINS0_13select_configILj256ELj13ELNS0_17block_load_methodE3ELS4_3ELS4_3ELNS0_20block_scan_algorithmE0ELj4294967295EEENS1_25partition_config_selectorILNS1_17partition_subalgoE4EjNS0_10empty_typeEbEEZZNS1_14partition_implILS8_4ELb0ES6_15HIP_vector_typeIjLj2EENS0_17counting_iteratorIjlEEPS9_SG_NS0_5tupleIJPjSI_NS0_16reverse_iteratorISI_EEEEENSH_IJSG_SG_SG_EEES9_SI_JZNS1_25segmented_radix_sort_implINS0_14default_configELb0EPKbPbPKlPlN2at6native12_GLOBAL__N_18offset_tEEE10hipError_tPvRmT1_PNSt15iterator_traitsIS12_E10value_typeET2_T3_PNS13_IS18_E10value_typeET4_jRbjT5_S1E_jjP12ihipStream_tbEUljE_ZNSN_ISO_Lb0ESQ_SR_ST_SU_SY_EESZ_S10_S11_S12_S16_S17_S18_S1B_S1C_jS1D_jS1E_S1E_jjS1G_bEUljE0_EEESZ_S10_S11_S18_S1C_S1E_T6_T7_T9_mT8_S1G_bDpT10_ENKUlT_T0_E_clISt17integral_constantIbLb1EES1T_IbLb0EEEEDaS1P_S1Q_EUlS1P_E_NS1_11comp_targetILNS1_3genE5ELNS1_11target_archE942ELNS1_3gpuE9ELNS1_3repE0EEENS1_30default_config_static_selectorELNS0_4arch9wavefront6targetE1EEEvS12_.uses_vcc, 0
	.set _ZN7rocprim17ROCPRIM_400000_NS6detail17trampoline_kernelINS0_13select_configILj256ELj13ELNS0_17block_load_methodE3ELS4_3ELS4_3ELNS0_20block_scan_algorithmE0ELj4294967295EEENS1_25partition_config_selectorILNS1_17partition_subalgoE4EjNS0_10empty_typeEbEEZZNS1_14partition_implILS8_4ELb0ES6_15HIP_vector_typeIjLj2EENS0_17counting_iteratorIjlEEPS9_SG_NS0_5tupleIJPjSI_NS0_16reverse_iteratorISI_EEEEENSH_IJSG_SG_SG_EEES9_SI_JZNS1_25segmented_radix_sort_implINS0_14default_configELb0EPKbPbPKlPlN2at6native12_GLOBAL__N_18offset_tEEE10hipError_tPvRmT1_PNSt15iterator_traitsIS12_E10value_typeET2_T3_PNS13_IS18_E10value_typeET4_jRbjT5_S1E_jjP12ihipStream_tbEUljE_ZNSN_ISO_Lb0ESQ_SR_ST_SU_SY_EESZ_S10_S11_S12_S16_S17_S18_S1B_S1C_jS1D_jS1E_S1E_jjS1G_bEUljE0_EEESZ_S10_S11_S18_S1C_S1E_T6_T7_T9_mT8_S1G_bDpT10_ENKUlT_T0_E_clISt17integral_constantIbLb1EES1T_IbLb0EEEEDaS1P_S1Q_EUlS1P_E_NS1_11comp_targetILNS1_3genE5ELNS1_11target_archE942ELNS1_3gpuE9ELNS1_3repE0EEENS1_30default_config_static_selectorELNS0_4arch9wavefront6targetE1EEEvS12_.uses_flat_scratch, 0
	.set _ZN7rocprim17ROCPRIM_400000_NS6detail17trampoline_kernelINS0_13select_configILj256ELj13ELNS0_17block_load_methodE3ELS4_3ELS4_3ELNS0_20block_scan_algorithmE0ELj4294967295EEENS1_25partition_config_selectorILNS1_17partition_subalgoE4EjNS0_10empty_typeEbEEZZNS1_14partition_implILS8_4ELb0ES6_15HIP_vector_typeIjLj2EENS0_17counting_iteratorIjlEEPS9_SG_NS0_5tupleIJPjSI_NS0_16reverse_iteratorISI_EEEEENSH_IJSG_SG_SG_EEES9_SI_JZNS1_25segmented_radix_sort_implINS0_14default_configELb0EPKbPbPKlPlN2at6native12_GLOBAL__N_18offset_tEEE10hipError_tPvRmT1_PNSt15iterator_traitsIS12_E10value_typeET2_T3_PNS13_IS18_E10value_typeET4_jRbjT5_S1E_jjP12ihipStream_tbEUljE_ZNSN_ISO_Lb0ESQ_SR_ST_SU_SY_EESZ_S10_S11_S12_S16_S17_S18_S1B_S1C_jS1D_jS1E_S1E_jjS1G_bEUljE0_EEESZ_S10_S11_S18_S1C_S1E_T6_T7_T9_mT8_S1G_bDpT10_ENKUlT_T0_E_clISt17integral_constantIbLb1EES1T_IbLb0EEEEDaS1P_S1Q_EUlS1P_E_NS1_11comp_targetILNS1_3genE5ELNS1_11target_archE942ELNS1_3gpuE9ELNS1_3repE0EEENS1_30default_config_static_selectorELNS0_4arch9wavefront6targetE1EEEvS12_.has_dyn_sized_stack, 0
	.set _ZN7rocprim17ROCPRIM_400000_NS6detail17trampoline_kernelINS0_13select_configILj256ELj13ELNS0_17block_load_methodE3ELS4_3ELS4_3ELNS0_20block_scan_algorithmE0ELj4294967295EEENS1_25partition_config_selectorILNS1_17partition_subalgoE4EjNS0_10empty_typeEbEEZZNS1_14partition_implILS8_4ELb0ES6_15HIP_vector_typeIjLj2EENS0_17counting_iteratorIjlEEPS9_SG_NS0_5tupleIJPjSI_NS0_16reverse_iteratorISI_EEEEENSH_IJSG_SG_SG_EEES9_SI_JZNS1_25segmented_radix_sort_implINS0_14default_configELb0EPKbPbPKlPlN2at6native12_GLOBAL__N_18offset_tEEE10hipError_tPvRmT1_PNSt15iterator_traitsIS12_E10value_typeET2_T3_PNS13_IS18_E10value_typeET4_jRbjT5_S1E_jjP12ihipStream_tbEUljE_ZNSN_ISO_Lb0ESQ_SR_ST_SU_SY_EESZ_S10_S11_S12_S16_S17_S18_S1B_S1C_jS1D_jS1E_S1E_jjS1G_bEUljE0_EEESZ_S10_S11_S18_S1C_S1E_T6_T7_T9_mT8_S1G_bDpT10_ENKUlT_T0_E_clISt17integral_constantIbLb1EES1T_IbLb0EEEEDaS1P_S1Q_EUlS1P_E_NS1_11comp_targetILNS1_3genE5ELNS1_11target_archE942ELNS1_3gpuE9ELNS1_3repE0EEENS1_30default_config_static_selectorELNS0_4arch9wavefront6targetE1EEEvS12_.has_recursion, 0
	.set _ZN7rocprim17ROCPRIM_400000_NS6detail17trampoline_kernelINS0_13select_configILj256ELj13ELNS0_17block_load_methodE3ELS4_3ELS4_3ELNS0_20block_scan_algorithmE0ELj4294967295EEENS1_25partition_config_selectorILNS1_17partition_subalgoE4EjNS0_10empty_typeEbEEZZNS1_14partition_implILS8_4ELb0ES6_15HIP_vector_typeIjLj2EENS0_17counting_iteratorIjlEEPS9_SG_NS0_5tupleIJPjSI_NS0_16reverse_iteratorISI_EEEEENSH_IJSG_SG_SG_EEES9_SI_JZNS1_25segmented_radix_sort_implINS0_14default_configELb0EPKbPbPKlPlN2at6native12_GLOBAL__N_18offset_tEEE10hipError_tPvRmT1_PNSt15iterator_traitsIS12_E10value_typeET2_T3_PNS13_IS18_E10value_typeET4_jRbjT5_S1E_jjP12ihipStream_tbEUljE_ZNSN_ISO_Lb0ESQ_SR_ST_SU_SY_EESZ_S10_S11_S12_S16_S17_S18_S1B_S1C_jS1D_jS1E_S1E_jjS1G_bEUljE0_EEESZ_S10_S11_S18_S1C_S1E_T6_T7_T9_mT8_S1G_bDpT10_ENKUlT_T0_E_clISt17integral_constantIbLb1EES1T_IbLb0EEEEDaS1P_S1Q_EUlS1P_E_NS1_11comp_targetILNS1_3genE5ELNS1_11target_archE942ELNS1_3gpuE9ELNS1_3repE0EEENS1_30default_config_static_selectorELNS0_4arch9wavefront6targetE1EEEvS12_.has_indirect_call, 0
	.section	.AMDGPU.csdata,"",@progbits
; Kernel info:
; codeLenInByte = 0
; TotalNumSgprs: 4
; NumVgprs: 0
; ScratchSize: 0
; MemoryBound: 0
; FloatMode: 240
; IeeeMode: 1
; LDSByteSize: 0 bytes/workgroup (compile time only)
; SGPRBlocks: 0
; VGPRBlocks: 0
; NumSGPRsForWavesPerEU: 4
; NumVGPRsForWavesPerEU: 1
; Occupancy: 10
; WaveLimiterHint : 0
; COMPUTE_PGM_RSRC2:SCRATCH_EN: 0
; COMPUTE_PGM_RSRC2:USER_SGPR: 6
; COMPUTE_PGM_RSRC2:TRAP_HANDLER: 0
; COMPUTE_PGM_RSRC2:TGID_X_EN: 1
; COMPUTE_PGM_RSRC2:TGID_Y_EN: 0
; COMPUTE_PGM_RSRC2:TGID_Z_EN: 0
; COMPUTE_PGM_RSRC2:TIDIG_COMP_CNT: 0
	.section	.text._ZN7rocprim17ROCPRIM_400000_NS6detail17trampoline_kernelINS0_13select_configILj256ELj13ELNS0_17block_load_methodE3ELS4_3ELS4_3ELNS0_20block_scan_algorithmE0ELj4294967295EEENS1_25partition_config_selectorILNS1_17partition_subalgoE4EjNS0_10empty_typeEbEEZZNS1_14partition_implILS8_4ELb0ES6_15HIP_vector_typeIjLj2EENS0_17counting_iteratorIjlEEPS9_SG_NS0_5tupleIJPjSI_NS0_16reverse_iteratorISI_EEEEENSH_IJSG_SG_SG_EEES9_SI_JZNS1_25segmented_radix_sort_implINS0_14default_configELb0EPKbPbPKlPlN2at6native12_GLOBAL__N_18offset_tEEE10hipError_tPvRmT1_PNSt15iterator_traitsIS12_E10value_typeET2_T3_PNS13_IS18_E10value_typeET4_jRbjT5_S1E_jjP12ihipStream_tbEUljE_ZNSN_ISO_Lb0ESQ_SR_ST_SU_SY_EESZ_S10_S11_S12_S16_S17_S18_S1B_S1C_jS1D_jS1E_S1E_jjS1G_bEUljE0_EEESZ_S10_S11_S18_S1C_S1E_T6_T7_T9_mT8_S1G_bDpT10_ENKUlT_T0_E_clISt17integral_constantIbLb1EES1T_IbLb0EEEEDaS1P_S1Q_EUlS1P_E_NS1_11comp_targetILNS1_3genE4ELNS1_11target_archE910ELNS1_3gpuE8ELNS1_3repE0EEENS1_30default_config_static_selectorELNS0_4arch9wavefront6targetE1EEEvS12_,"axG",@progbits,_ZN7rocprim17ROCPRIM_400000_NS6detail17trampoline_kernelINS0_13select_configILj256ELj13ELNS0_17block_load_methodE3ELS4_3ELS4_3ELNS0_20block_scan_algorithmE0ELj4294967295EEENS1_25partition_config_selectorILNS1_17partition_subalgoE4EjNS0_10empty_typeEbEEZZNS1_14partition_implILS8_4ELb0ES6_15HIP_vector_typeIjLj2EENS0_17counting_iteratorIjlEEPS9_SG_NS0_5tupleIJPjSI_NS0_16reverse_iteratorISI_EEEEENSH_IJSG_SG_SG_EEES9_SI_JZNS1_25segmented_radix_sort_implINS0_14default_configELb0EPKbPbPKlPlN2at6native12_GLOBAL__N_18offset_tEEE10hipError_tPvRmT1_PNSt15iterator_traitsIS12_E10value_typeET2_T3_PNS13_IS18_E10value_typeET4_jRbjT5_S1E_jjP12ihipStream_tbEUljE_ZNSN_ISO_Lb0ESQ_SR_ST_SU_SY_EESZ_S10_S11_S12_S16_S17_S18_S1B_S1C_jS1D_jS1E_S1E_jjS1G_bEUljE0_EEESZ_S10_S11_S18_S1C_S1E_T6_T7_T9_mT8_S1G_bDpT10_ENKUlT_T0_E_clISt17integral_constantIbLb1EES1T_IbLb0EEEEDaS1P_S1Q_EUlS1P_E_NS1_11comp_targetILNS1_3genE4ELNS1_11target_archE910ELNS1_3gpuE8ELNS1_3repE0EEENS1_30default_config_static_selectorELNS0_4arch9wavefront6targetE1EEEvS12_,comdat
	.globl	_ZN7rocprim17ROCPRIM_400000_NS6detail17trampoline_kernelINS0_13select_configILj256ELj13ELNS0_17block_load_methodE3ELS4_3ELS4_3ELNS0_20block_scan_algorithmE0ELj4294967295EEENS1_25partition_config_selectorILNS1_17partition_subalgoE4EjNS0_10empty_typeEbEEZZNS1_14partition_implILS8_4ELb0ES6_15HIP_vector_typeIjLj2EENS0_17counting_iteratorIjlEEPS9_SG_NS0_5tupleIJPjSI_NS0_16reverse_iteratorISI_EEEEENSH_IJSG_SG_SG_EEES9_SI_JZNS1_25segmented_radix_sort_implINS0_14default_configELb0EPKbPbPKlPlN2at6native12_GLOBAL__N_18offset_tEEE10hipError_tPvRmT1_PNSt15iterator_traitsIS12_E10value_typeET2_T3_PNS13_IS18_E10value_typeET4_jRbjT5_S1E_jjP12ihipStream_tbEUljE_ZNSN_ISO_Lb0ESQ_SR_ST_SU_SY_EESZ_S10_S11_S12_S16_S17_S18_S1B_S1C_jS1D_jS1E_S1E_jjS1G_bEUljE0_EEESZ_S10_S11_S18_S1C_S1E_T6_T7_T9_mT8_S1G_bDpT10_ENKUlT_T0_E_clISt17integral_constantIbLb1EES1T_IbLb0EEEEDaS1P_S1Q_EUlS1P_E_NS1_11comp_targetILNS1_3genE4ELNS1_11target_archE910ELNS1_3gpuE8ELNS1_3repE0EEENS1_30default_config_static_selectorELNS0_4arch9wavefront6targetE1EEEvS12_ ; -- Begin function _ZN7rocprim17ROCPRIM_400000_NS6detail17trampoline_kernelINS0_13select_configILj256ELj13ELNS0_17block_load_methodE3ELS4_3ELS4_3ELNS0_20block_scan_algorithmE0ELj4294967295EEENS1_25partition_config_selectorILNS1_17partition_subalgoE4EjNS0_10empty_typeEbEEZZNS1_14partition_implILS8_4ELb0ES6_15HIP_vector_typeIjLj2EENS0_17counting_iteratorIjlEEPS9_SG_NS0_5tupleIJPjSI_NS0_16reverse_iteratorISI_EEEEENSH_IJSG_SG_SG_EEES9_SI_JZNS1_25segmented_radix_sort_implINS0_14default_configELb0EPKbPbPKlPlN2at6native12_GLOBAL__N_18offset_tEEE10hipError_tPvRmT1_PNSt15iterator_traitsIS12_E10value_typeET2_T3_PNS13_IS18_E10value_typeET4_jRbjT5_S1E_jjP12ihipStream_tbEUljE_ZNSN_ISO_Lb0ESQ_SR_ST_SU_SY_EESZ_S10_S11_S12_S16_S17_S18_S1B_S1C_jS1D_jS1E_S1E_jjS1G_bEUljE0_EEESZ_S10_S11_S18_S1C_S1E_T6_T7_T9_mT8_S1G_bDpT10_ENKUlT_T0_E_clISt17integral_constantIbLb1EES1T_IbLb0EEEEDaS1P_S1Q_EUlS1P_E_NS1_11comp_targetILNS1_3genE4ELNS1_11target_archE910ELNS1_3gpuE8ELNS1_3repE0EEENS1_30default_config_static_selectorELNS0_4arch9wavefront6targetE1EEEvS12_
	.p2align	8
	.type	_ZN7rocprim17ROCPRIM_400000_NS6detail17trampoline_kernelINS0_13select_configILj256ELj13ELNS0_17block_load_methodE3ELS4_3ELS4_3ELNS0_20block_scan_algorithmE0ELj4294967295EEENS1_25partition_config_selectorILNS1_17partition_subalgoE4EjNS0_10empty_typeEbEEZZNS1_14partition_implILS8_4ELb0ES6_15HIP_vector_typeIjLj2EENS0_17counting_iteratorIjlEEPS9_SG_NS0_5tupleIJPjSI_NS0_16reverse_iteratorISI_EEEEENSH_IJSG_SG_SG_EEES9_SI_JZNS1_25segmented_radix_sort_implINS0_14default_configELb0EPKbPbPKlPlN2at6native12_GLOBAL__N_18offset_tEEE10hipError_tPvRmT1_PNSt15iterator_traitsIS12_E10value_typeET2_T3_PNS13_IS18_E10value_typeET4_jRbjT5_S1E_jjP12ihipStream_tbEUljE_ZNSN_ISO_Lb0ESQ_SR_ST_SU_SY_EESZ_S10_S11_S12_S16_S17_S18_S1B_S1C_jS1D_jS1E_S1E_jjS1G_bEUljE0_EEESZ_S10_S11_S18_S1C_S1E_T6_T7_T9_mT8_S1G_bDpT10_ENKUlT_T0_E_clISt17integral_constantIbLb1EES1T_IbLb0EEEEDaS1P_S1Q_EUlS1P_E_NS1_11comp_targetILNS1_3genE4ELNS1_11target_archE910ELNS1_3gpuE8ELNS1_3repE0EEENS1_30default_config_static_selectorELNS0_4arch9wavefront6targetE1EEEvS12_,@function
_ZN7rocprim17ROCPRIM_400000_NS6detail17trampoline_kernelINS0_13select_configILj256ELj13ELNS0_17block_load_methodE3ELS4_3ELS4_3ELNS0_20block_scan_algorithmE0ELj4294967295EEENS1_25partition_config_selectorILNS1_17partition_subalgoE4EjNS0_10empty_typeEbEEZZNS1_14partition_implILS8_4ELb0ES6_15HIP_vector_typeIjLj2EENS0_17counting_iteratorIjlEEPS9_SG_NS0_5tupleIJPjSI_NS0_16reverse_iteratorISI_EEEEENSH_IJSG_SG_SG_EEES9_SI_JZNS1_25segmented_radix_sort_implINS0_14default_configELb0EPKbPbPKlPlN2at6native12_GLOBAL__N_18offset_tEEE10hipError_tPvRmT1_PNSt15iterator_traitsIS12_E10value_typeET2_T3_PNS13_IS18_E10value_typeET4_jRbjT5_S1E_jjP12ihipStream_tbEUljE_ZNSN_ISO_Lb0ESQ_SR_ST_SU_SY_EESZ_S10_S11_S12_S16_S17_S18_S1B_S1C_jS1D_jS1E_S1E_jjS1G_bEUljE0_EEESZ_S10_S11_S18_S1C_S1E_T6_T7_T9_mT8_S1G_bDpT10_ENKUlT_T0_E_clISt17integral_constantIbLb1EES1T_IbLb0EEEEDaS1P_S1Q_EUlS1P_E_NS1_11comp_targetILNS1_3genE4ELNS1_11target_archE910ELNS1_3gpuE8ELNS1_3repE0EEENS1_30default_config_static_selectorELNS0_4arch9wavefront6targetE1EEEvS12_: ; @_ZN7rocprim17ROCPRIM_400000_NS6detail17trampoline_kernelINS0_13select_configILj256ELj13ELNS0_17block_load_methodE3ELS4_3ELS4_3ELNS0_20block_scan_algorithmE0ELj4294967295EEENS1_25partition_config_selectorILNS1_17partition_subalgoE4EjNS0_10empty_typeEbEEZZNS1_14partition_implILS8_4ELb0ES6_15HIP_vector_typeIjLj2EENS0_17counting_iteratorIjlEEPS9_SG_NS0_5tupleIJPjSI_NS0_16reverse_iteratorISI_EEEEENSH_IJSG_SG_SG_EEES9_SI_JZNS1_25segmented_radix_sort_implINS0_14default_configELb0EPKbPbPKlPlN2at6native12_GLOBAL__N_18offset_tEEE10hipError_tPvRmT1_PNSt15iterator_traitsIS12_E10value_typeET2_T3_PNS13_IS18_E10value_typeET4_jRbjT5_S1E_jjP12ihipStream_tbEUljE_ZNSN_ISO_Lb0ESQ_SR_ST_SU_SY_EESZ_S10_S11_S12_S16_S17_S18_S1B_S1C_jS1D_jS1E_S1E_jjS1G_bEUljE0_EEESZ_S10_S11_S18_S1C_S1E_T6_T7_T9_mT8_S1G_bDpT10_ENKUlT_T0_E_clISt17integral_constantIbLb1EES1T_IbLb0EEEEDaS1P_S1Q_EUlS1P_E_NS1_11comp_targetILNS1_3genE4ELNS1_11target_archE910ELNS1_3gpuE8ELNS1_3repE0EEENS1_30default_config_static_selectorELNS0_4arch9wavefront6targetE1EEEvS12_
; %bb.0:
	.section	.rodata,"a",@progbits
	.p2align	6, 0x0
	.amdhsa_kernel _ZN7rocprim17ROCPRIM_400000_NS6detail17trampoline_kernelINS0_13select_configILj256ELj13ELNS0_17block_load_methodE3ELS4_3ELS4_3ELNS0_20block_scan_algorithmE0ELj4294967295EEENS1_25partition_config_selectorILNS1_17partition_subalgoE4EjNS0_10empty_typeEbEEZZNS1_14partition_implILS8_4ELb0ES6_15HIP_vector_typeIjLj2EENS0_17counting_iteratorIjlEEPS9_SG_NS0_5tupleIJPjSI_NS0_16reverse_iteratorISI_EEEEENSH_IJSG_SG_SG_EEES9_SI_JZNS1_25segmented_radix_sort_implINS0_14default_configELb0EPKbPbPKlPlN2at6native12_GLOBAL__N_18offset_tEEE10hipError_tPvRmT1_PNSt15iterator_traitsIS12_E10value_typeET2_T3_PNS13_IS18_E10value_typeET4_jRbjT5_S1E_jjP12ihipStream_tbEUljE_ZNSN_ISO_Lb0ESQ_SR_ST_SU_SY_EESZ_S10_S11_S12_S16_S17_S18_S1B_S1C_jS1D_jS1E_S1E_jjS1G_bEUljE0_EEESZ_S10_S11_S18_S1C_S1E_T6_T7_T9_mT8_S1G_bDpT10_ENKUlT_T0_E_clISt17integral_constantIbLb1EES1T_IbLb0EEEEDaS1P_S1Q_EUlS1P_E_NS1_11comp_targetILNS1_3genE4ELNS1_11target_archE910ELNS1_3gpuE8ELNS1_3repE0EEENS1_30default_config_static_selectorELNS0_4arch9wavefront6targetE1EEEvS12_
		.amdhsa_group_segment_fixed_size 0
		.amdhsa_private_segment_fixed_size 0
		.amdhsa_kernarg_size 176
		.amdhsa_user_sgpr_count 6
		.amdhsa_user_sgpr_private_segment_buffer 1
		.amdhsa_user_sgpr_dispatch_ptr 0
		.amdhsa_user_sgpr_queue_ptr 0
		.amdhsa_user_sgpr_kernarg_segment_ptr 1
		.amdhsa_user_sgpr_dispatch_id 0
		.amdhsa_user_sgpr_flat_scratch_init 0
		.amdhsa_user_sgpr_private_segment_size 0
		.amdhsa_uses_dynamic_stack 0
		.amdhsa_system_sgpr_private_segment_wavefront_offset 0
		.amdhsa_system_sgpr_workgroup_id_x 1
		.amdhsa_system_sgpr_workgroup_id_y 0
		.amdhsa_system_sgpr_workgroup_id_z 0
		.amdhsa_system_sgpr_workgroup_info 0
		.amdhsa_system_vgpr_workitem_id 0
		.amdhsa_next_free_vgpr 1
		.amdhsa_next_free_sgpr 0
		.amdhsa_reserve_vcc 0
		.amdhsa_reserve_flat_scratch 0
		.amdhsa_float_round_mode_32 0
		.amdhsa_float_round_mode_16_64 0
		.amdhsa_float_denorm_mode_32 3
		.amdhsa_float_denorm_mode_16_64 3
		.amdhsa_dx10_clamp 1
		.amdhsa_ieee_mode 1
		.amdhsa_fp16_overflow 0
		.amdhsa_exception_fp_ieee_invalid_op 0
		.amdhsa_exception_fp_denorm_src 0
		.amdhsa_exception_fp_ieee_div_zero 0
		.amdhsa_exception_fp_ieee_overflow 0
		.amdhsa_exception_fp_ieee_underflow 0
		.amdhsa_exception_fp_ieee_inexact 0
		.amdhsa_exception_int_div_zero 0
	.end_amdhsa_kernel
	.section	.text._ZN7rocprim17ROCPRIM_400000_NS6detail17trampoline_kernelINS0_13select_configILj256ELj13ELNS0_17block_load_methodE3ELS4_3ELS4_3ELNS0_20block_scan_algorithmE0ELj4294967295EEENS1_25partition_config_selectorILNS1_17partition_subalgoE4EjNS0_10empty_typeEbEEZZNS1_14partition_implILS8_4ELb0ES6_15HIP_vector_typeIjLj2EENS0_17counting_iteratorIjlEEPS9_SG_NS0_5tupleIJPjSI_NS0_16reverse_iteratorISI_EEEEENSH_IJSG_SG_SG_EEES9_SI_JZNS1_25segmented_radix_sort_implINS0_14default_configELb0EPKbPbPKlPlN2at6native12_GLOBAL__N_18offset_tEEE10hipError_tPvRmT1_PNSt15iterator_traitsIS12_E10value_typeET2_T3_PNS13_IS18_E10value_typeET4_jRbjT5_S1E_jjP12ihipStream_tbEUljE_ZNSN_ISO_Lb0ESQ_SR_ST_SU_SY_EESZ_S10_S11_S12_S16_S17_S18_S1B_S1C_jS1D_jS1E_S1E_jjS1G_bEUljE0_EEESZ_S10_S11_S18_S1C_S1E_T6_T7_T9_mT8_S1G_bDpT10_ENKUlT_T0_E_clISt17integral_constantIbLb1EES1T_IbLb0EEEEDaS1P_S1Q_EUlS1P_E_NS1_11comp_targetILNS1_3genE4ELNS1_11target_archE910ELNS1_3gpuE8ELNS1_3repE0EEENS1_30default_config_static_selectorELNS0_4arch9wavefront6targetE1EEEvS12_,"axG",@progbits,_ZN7rocprim17ROCPRIM_400000_NS6detail17trampoline_kernelINS0_13select_configILj256ELj13ELNS0_17block_load_methodE3ELS4_3ELS4_3ELNS0_20block_scan_algorithmE0ELj4294967295EEENS1_25partition_config_selectorILNS1_17partition_subalgoE4EjNS0_10empty_typeEbEEZZNS1_14partition_implILS8_4ELb0ES6_15HIP_vector_typeIjLj2EENS0_17counting_iteratorIjlEEPS9_SG_NS0_5tupleIJPjSI_NS0_16reverse_iteratorISI_EEEEENSH_IJSG_SG_SG_EEES9_SI_JZNS1_25segmented_radix_sort_implINS0_14default_configELb0EPKbPbPKlPlN2at6native12_GLOBAL__N_18offset_tEEE10hipError_tPvRmT1_PNSt15iterator_traitsIS12_E10value_typeET2_T3_PNS13_IS18_E10value_typeET4_jRbjT5_S1E_jjP12ihipStream_tbEUljE_ZNSN_ISO_Lb0ESQ_SR_ST_SU_SY_EESZ_S10_S11_S12_S16_S17_S18_S1B_S1C_jS1D_jS1E_S1E_jjS1G_bEUljE0_EEESZ_S10_S11_S18_S1C_S1E_T6_T7_T9_mT8_S1G_bDpT10_ENKUlT_T0_E_clISt17integral_constantIbLb1EES1T_IbLb0EEEEDaS1P_S1Q_EUlS1P_E_NS1_11comp_targetILNS1_3genE4ELNS1_11target_archE910ELNS1_3gpuE8ELNS1_3repE0EEENS1_30default_config_static_selectorELNS0_4arch9wavefront6targetE1EEEvS12_,comdat
.Lfunc_end1589:
	.size	_ZN7rocprim17ROCPRIM_400000_NS6detail17trampoline_kernelINS0_13select_configILj256ELj13ELNS0_17block_load_methodE3ELS4_3ELS4_3ELNS0_20block_scan_algorithmE0ELj4294967295EEENS1_25partition_config_selectorILNS1_17partition_subalgoE4EjNS0_10empty_typeEbEEZZNS1_14partition_implILS8_4ELb0ES6_15HIP_vector_typeIjLj2EENS0_17counting_iteratorIjlEEPS9_SG_NS0_5tupleIJPjSI_NS0_16reverse_iteratorISI_EEEEENSH_IJSG_SG_SG_EEES9_SI_JZNS1_25segmented_radix_sort_implINS0_14default_configELb0EPKbPbPKlPlN2at6native12_GLOBAL__N_18offset_tEEE10hipError_tPvRmT1_PNSt15iterator_traitsIS12_E10value_typeET2_T3_PNS13_IS18_E10value_typeET4_jRbjT5_S1E_jjP12ihipStream_tbEUljE_ZNSN_ISO_Lb0ESQ_SR_ST_SU_SY_EESZ_S10_S11_S12_S16_S17_S18_S1B_S1C_jS1D_jS1E_S1E_jjS1G_bEUljE0_EEESZ_S10_S11_S18_S1C_S1E_T6_T7_T9_mT8_S1G_bDpT10_ENKUlT_T0_E_clISt17integral_constantIbLb1EES1T_IbLb0EEEEDaS1P_S1Q_EUlS1P_E_NS1_11comp_targetILNS1_3genE4ELNS1_11target_archE910ELNS1_3gpuE8ELNS1_3repE0EEENS1_30default_config_static_selectorELNS0_4arch9wavefront6targetE1EEEvS12_, .Lfunc_end1589-_ZN7rocprim17ROCPRIM_400000_NS6detail17trampoline_kernelINS0_13select_configILj256ELj13ELNS0_17block_load_methodE3ELS4_3ELS4_3ELNS0_20block_scan_algorithmE0ELj4294967295EEENS1_25partition_config_selectorILNS1_17partition_subalgoE4EjNS0_10empty_typeEbEEZZNS1_14partition_implILS8_4ELb0ES6_15HIP_vector_typeIjLj2EENS0_17counting_iteratorIjlEEPS9_SG_NS0_5tupleIJPjSI_NS0_16reverse_iteratorISI_EEEEENSH_IJSG_SG_SG_EEES9_SI_JZNS1_25segmented_radix_sort_implINS0_14default_configELb0EPKbPbPKlPlN2at6native12_GLOBAL__N_18offset_tEEE10hipError_tPvRmT1_PNSt15iterator_traitsIS12_E10value_typeET2_T3_PNS13_IS18_E10value_typeET4_jRbjT5_S1E_jjP12ihipStream_tbEUljE_ZNSN_ISO_Lb0ESQ_SR_ST_SU_SY_EESZ_S10_S11_S12_S16_S17_S18_S1B_S1C_jS1D_jS1E_S1E_jjS1G_bEUljE0_EEESZ_S10_S11_S18_S1C_S1E_T6_T7_T9_mT8_S1G_bDpT10_ENKUlT_T0_E_clISt17integral_constantIbLb1EES1T_IbLb0EEEEDaS1P_S1Q_EUlS1P_E_NS1_11comp_targetILNS1_3genE4ELNS1_11target_archE910ELNS1_3gpuE8ELNS1_3repE0EEENS1_30default_config_static_selectorELNS0_4arch9wavefront6targetE1EEEvS12_
                                        ; -- End function
	.set _ZN7rocprim17ROCPRIM_400000_NS6detail17trampoline_kernelINS0_13select_configILj256ELj13ELNS0_17block_load_methodE3ELS4_3ELS4_3ELNS0_20block_scan_algorithmE0ELj4294967295EEENS1_25partition_config_selectorILNS1_17partition_subalgoE4EjNS0_10empty_typeEbEEZZNS1_14partition_implILS8_4ELb0ES6_15HIP_vector_typeIjLj2EENS0_17counting_iteratorIjlEEPS9_SG_NS0_5tupleIJPjSI_NS0_16reverse_iteratorISI_EEEEENSH_IJSG_SG_SG_EEES9_SI_JZNS1_25segmented_radix_sort_implINS0_14default_configELb0EPKbPbPKlPlN2at6native12_GLOBAL__N_18offset_tEEE10hipError_tPvRmT1_PNSt15iterator_traitsIS12_E10value_typeET2_T3_PNS13_IS18_E10value_typeET4_jRbjT5_S1E_jjP12ihipStream_tbEUljE_ZNSN_ISO_Lb0ESQ_SR_ST_SU_SY_EESZ_S10_S11_S12_S16_S17_S18_S1B_S1C_jS1D_jS1E_S1E_jjS1G_bEUljE0_EEESZ_S10_S11_S18_S1C_S1E_T6_T7_T9_mT8_S1G_bDpT10_ENKUlT_T0_E_clISt17integral_constantIbLb1EES1T_IbLb0EEEEDaS1P_S1Q_EUlS1P_E_NS1_11comp_targetILNS1_3genE4ELNS1_11target_archE910ELNS1_3gpuE8ELNS1_3repE0EEENS1_30default_config_static_selectorELNS0_4arch9wavefront6targetE1EEEvS12_.num_vgpr, 0
	.set _ZN7rocprim17ROCPRIM_400000_NS6detail17trampoline_kernelINS0_13select_configILj256ELj13ELNS0_17block_load_methodE3ELS4_3ELS4_3ELNS0_20block_scan_algorithmE0ELj4294967295EEENS1_25partition_config_selectorILNS1_17partition_subalgoE4EjNS0_10empty_typeEbEEZZNS1_14partition_implILS8_4ELb0ES6_15HIP_vector_typeIjLj2EENS0_17counting_iteratorIjlEEPS9_SG_NS0_5tupleIJPjSI_NS0_16reverse_iteratorISI_EEEEENSH_IJSG_SG_SG_EEES9_SI_JZNS1_25segmented_radix_sort_implINS0_14default_configELb0EPKbPbPKlPlN2at6native12_GLOBAL__N_18offset_tEEE10hipError_tPvRmT1_PNSt15iterator_traitsIS12_E10value_typeET2_T3_PNS13_IS18_E10value_typeET4_jRbjT5_S1E_jjP12ihipStream_tbEUljE_ZNSN_ISO_Lb0ESQ_SR_ST_SU_SY_EESZ_S10_S11_S12_S16_S17_S18_S1B_S1C_jS1D_jS1E_S1E_jjS1G_bEUljE0_EEESZ_S10_S11_S18_S1C_S1E_T6_T7_T9_mT8_S1G_bDpT10_ENKUlT_T0_E_clISt17integral_constantIbLb1EES1T_IbLb0EEEEDaS1P_S1Q_EUlS1P_E_NS1_11comp_targetILNS1_3genE4ELNS1_11target_archE910ELNS1_3gpuE8ELNS1_3repE0EEENS1_30default_config_static_selectorELNS0_4arch9wavefront6targetE1EEEvS12_.num_agpr, 0
	.set _ZN7rocprim17ROCPRIM_400000_NS6detail17trampoline_kernelINS0_13select_configILj256ELj13ELNS0_17block_load_methodE3ELS4_3ELS4_3ELNS0_20block_scan_algorithmE0ELj4294967295EEENS1_25partition_config_selectorILNS1_17partition_subalgoE4EjNS0_10empty_typeEbEEZZNS1_14partition_implILS8_4ELb0ES6_15HIP_vector_typeIjLj2EENS0_17counting_iteratorIjlEEPS9_SG_NS0_5tupleIJPjSI_NS0_16reverse_iteratorISI_EEEEENSH_IJSG_SG_SG_EEES9_SI_JZNS1_25segmented_radix_sort_implINS0_14default_configELb0EPKbPbPKlPlN2at6native12_GLOBAL__N_18offset_tEEE10hipError_tPvRmT1_PNSt15iterator_traitsIS12_E10value_typeET2_T3_PNS13_IS18_E10value_typeET4_jRbjT5_S1E_jjP12ihipStream_tbEUljE_ZNSN_ISO_Lb0ESQ_SR_ST_SU_SY_EESZ_S10_S11_S12_S16_S17_S18_S1B_S1C_jS1D_jS1E_S1E_jjS1G_bEUljE0_EEESZ_S10_S11_S18_S1C_S1E_T6_T7_T9_mT8_S1G_bDpT10_ENKUlT_T0_E_clISt17integral_constantIbLb1EES1T_IbLb0EEEEDaS1P_S1Q_EUlS1P_E_NS1_11comp_targetILNS1_3genE4ELNS1_11target_archE910ELNS1_3gpuE8ELNS1_3repE0EEENS1_30default_config_static_selectorELNS0_4arch9wavefront6targetE1EEEvS12_.numbered_sgpr, 0
	.set _ZN7rocprim17ROCPRIM_400000_NS6detail17trampoline_kernelINS0_13select_configILj256ELj13ELNS0_17block_load_methodE3ELS4_3ELS4_3ELNS0_20block_scan_algorithmE0ELj4294967295EEENS1_25partition_config_selectorILNS1_17partition_subalgoE4EjNS0_10empty_typeEbEEZZNS1_14partition_implILS8_4ELb0ES6_15HIP_vector_typeIjLj2EENS0_17counting_iteratorIjlEEPS9_SG_NS0_5tupleIJPjSI_NS0_16reverse_iteratorISI_EEEEENSH_IJSG_SG_SG_EEES9_SI_JZNS1_25segmented_radix_sort_implINS0_14default_configELb0EPKbPbPKlPlN2at6native12_GLOBAL__N_18offset_tEEE10hipError_tPvRmT1_PNSt15iterator_traitsIS12_E10value_typeET2_T3_PNS13_IS18_E10value_typeET4_jRbjT5_S1E_jjP12ihipStream_tbEUljE_ZNSN_ISO_Lb0ESQ_SR_ST_SU_SY_EESZ_S10_S11_S12_S16_S17_S18_S1B_S1C_jS1D_jS1E_S1E_jjS1G_bEUljE0_EEESZ_S10_S11_S18_S1C_S1E_T6_T7_T9_mT8_S1G_bDpT10_ENKUlT_T0_E_clISt17integral_constantIbLb1EES1T_IbLb0EEEEDaS1P_S1Q_EUlS1P_E_NS1_11comp_targetILNS1_3genE4ELNS1_11target_archE910ELNS1_3gpuE8ELNS1_3repE0EEENS1_30default_config_static_selectorELNS0_4arch9wavefront6targetE1EEEvS12_.num_named_barrier, 0
	.set _ZN7rocprim17ROCPRIM_400000_NS6detail17trampoline_kernelINS0_13select_configILj256ELj13ELNS0_17block_load_methodE3ELS4_3ELS4_3ELNS0_20block_scan_algorithmE0ELj4294967295EEENS1_25partition_config_selectorILNS1_17partition_subalgoE4EjNS0_10empty_typeEbEEZZNS1_14partition_implILS8_4ELb0ES6_15HIP_vector_typeIjLj2EENS0_17counting_iteratorIjlEEPS9_SG_NS0_5tupleIJPjSI_NS0_16reverse_iteratorISI_EEEEENSH_IJSG_SG_SG_EEES9_SI_JZNS1_25segmented_radix_sort_implINS0_14default_configELb0EPKbPbPKlPlN2at6native12_GLOBAL__N_18offset_tEEE10hipError_tPvRmT1_PNSt15iterator_traitsIS12_E10value_typeET2_T3_PNS13_IS18_E10value_typeET4_jRbjT5_S1E_jjP12ihipStream_tbEUljE_ZNSN_ISO_Lb0ESQ_SR_ST_SU_SY_EESZ_S10_S11_S12_S16_S17_S18_S1B_S1C_jS1D_jS1E_S1E_jjS1G_bEUljE0_EEESZ_S10_S11_S18_S1C_S1E_T6_T7_T9_mT8_S1G_bDpT10_ENKUlT_T0_E_clISt17integral_constantIbLb1EES1T_IbLb0EEEEDaS1P_S1Q_EUlS1P_E_NS1_11comp_targetILNS1_3genE4ELNS1_11target_archE910ELNS1_3gpuE8ELNS1_3repE0EEENS1_30default_config_static_selectorELNS0_4arch9wavefront6targetE1EEEvS12_.private_seg_size, 0
	.set _ZN7rocprim17ROCPRIM_400000_NS6detail17trampoline_kernelINS0_13select_configILj256ELj13ELNS0_17block_load_methodE3ELS4_3ELS4_3ELNS0_20block_scan_algorithmE0ELj4294967295EEENS1_25partition_config_selectorILNS1_17partition_subalgoE4EjNS0_10empty_typeEbEEZZNS1_14partition_implILS8_4ELb0ES6_15HIP_vector_typeIjLj2EENS0_17counting_iteratorIjlEEPS9_SG_NS0_5tupleIJPjSI_NS0_16reverse_iteratorISI_EEEEENSH_IJSG_SG_SG_EEES9_SI_JZNS1_25segmented_radix_sort_implINS0_14default_configELb0EPKbPbPKlPlN2at6native12_GLOBAL__N_18offset_tEEE10hipError_tPvRmT1_PNSt15iterator_traitsIS12_E10value_typeET2_T3_PNS13_IS18_E10value_typeET4_jRbjT5_S1E_jjP12ihipStream_tbEUljE_ZNSN_ISO_Lb0ESQ_SR_ST_SU_SY_EESZ_S10_S11_S12_S16_S17_S18_S1B_S1C_jS1D_jS1E_S1E_jjS1G_bEUljE0_EEESZ_S10_S11_S18_S1C_S1E_T6_T7_T9_mT8_S1G_bDpT10_ENKUlT_T0_E_clISt17integral_constantIbLb1EES1T_IbLb0EEEEDaS1P_S1Q_EUlS1P_E_NS1_11comp_targetILNS1_3genE4ELNS1_11target_archE910ELNS1_3gpuE8ELNS1_3repE0EEENS1_30default_config_static_selectorELNS0_4arch9wavefront6targetE1EEEvS12_.uses_vcc, 0
	.set _ZN7rocprim17ROCPRIM_400000_NS6detail17trampoline_kernelINS0_13select_configILj256ELj13ELNS0_17block_load_methodE3ELS4_3ELS4_3ELNS0_20block_scan_algorithmE0ELj4294967295EEENS1_25partition_config_selectorILNS1_17partition_subalgoE4EjNS0_10empty_typeEbEEZZNS1_14partition_implILS8_4ELb0ES6_15HIP_vector_typeIjLj2EENS0_17counting_iteratorIjlEEPS9_SG_NS0_5tupleIJPjSI_NS0_16reverse_iteratorISI_EEEEENSH_IJSG_SG_SG_EEES9_SI_JZNS1_25segmented_radix_sort_implINS0_14default_configELb0EPKbPbPKlPlN2at6native12_GLOBAL__N_18offset_tEEE10hipError_tPvRmT1_PNSt15iterator_traitsIS12_E10value_typeET2_T3_PNS13_IS18_E10value_typeET4_jRbjT5_S1E_jjP12ihipStream_tbEUljE_ZNSN_ISO_Lb0ESQ_SR_ST_SU_SY_EESZ_S10_S11_S12_S16_S17_S18_S1B_S1C_jS1D_jS1E_S1E_jjS1G_bEUljE0_EEESZ_S10_S11_S18_S1C_S1E_T6_T7_T9_mT8_S1G_bDpT10_ENKUlT_T0_E_clISt17integral_constantIbLb1EES1T_IbLb0EEEEDaS1P_S1Q_EUlS1P_E_NS1_11comp_targetILNS1_3genE4ELNS1_11target_archE910ELNS1_3gpuE8ELNS1_3repE0EEENS1_30default_config_static_selectorELNS0_4arch9wavefront6targetE1EEEvS12_.uses_flat_scratch, 0
	.set _ZN7rocprim17ROCPRIM_400000_NS6detail17trampoline_kernelINS0_13select_configILj256ELj13ELNS0_17block_load_methodE3ELS4_3ELS4_3ELNS0_20block_scan_algorithmE0ELj4294967295EEENS1_25partition_config_selectorILNS1_17partition_subalgoE4EjNS0_10empty_typeEbEEZZNS1_14partition_implILS8_4ELb0ES6_15HIP_vector_typeIjLj2EENS0_17counting_iteratorIjlEEPS9_SG_NS0_5tupleIJPjSI_NS0_16reverse_iteratorISI_EEEEENSH_IJSG_SG_SG_EEES9_SI_JZNS1_25segmented_radix_sort_implINS0_14default_configELb0EPKbPbPKlPlN2at6native12_GLOBAL__N_18offset_tEEE10hipError_tPvRmT1_PNSt15iterator_traitsIS12_E10value_typeET2_T3_PNS13_IS18_E10value_typeET4_jRbjT5_S1E_jjP12ihipStream_tbEUljE_ZNSN_ISO_Lb0ESQ_SR_ST_SU_SY_EESZ_S10_S11_S12_S16_S17_S18_S1B_S1C_jS1D_jS1E_S1E_jjS1G_bEUljE0_EEESZ_S10_S11_S18_S1C_S1E_T6_T7_T9_mT8_S1G_bDpT10_ENKUlT_T0_E_clISt17integral_constantIbLb1EES1T_IbLb0EEEEDaS1P_S1Q_EUlS1P_E_NS1_11comp_targetILNS1_3genE4ELNS1_11target_archE910ELNS1_3gpuE8ELNS1_3repE0EEENS1_30default_config_static_selectorELNS0_4arch9wavefront6targetE1EEEvS12_.has_dyn_sized_stack, 0
	.set _ZN7rocprim17ROCPRIM_400000_NS6detail17trampoline_kernelINS0_13select_configILj256ELj13ELNS0_17block_load_methodE3ELS4_3ELS4_3ELNS0_20block_scan_algorithmE0ELj4294967295EEENS1_25partition_config_selectorILNS1_17partition_subalgoE4EjNS0_10empty_typeEbEEZZNS1_14partition_implILS8_4ELb0ES6_15HIP_vector_typeIjLj2EENS0_17counting_iteratorIjlEEPS9_SG_NS0_5tupleIJPjSI_NS0_16reverse_iteratorISI_EEEEENSH_IJSG_SG_SG_EEES9_SI_JZNS1_25segmented_radix_sort_implINS0_14default_configELb0EPKbPbPKlPlN2at6native12_GLOBAL__N_18offset_tEEE10hipError_tPvRmT1_PNSt15iterator_traitsIS12_E10value_typeET2_T3_PNS13_IS18_E10value_typeET4_jRbjT5_S1E_jjP12ihipStream_tbEUljE_ZNSN_ISO_Lb0ESQ_SR_ST_SU_SY_EESZ_S10_S11_S12_S16_S17_S18_S1B_S1C_jS1D_jS1E_S1E_jjS1G_bEUljE0_EEESZ_S10_S11_S18_S1C_S1E_T6_T7_T9_mT8_S1G_bDpT10_ENKUlT_T0_E_clISt17integral_constantIbLb1EES1T_IbLb0EEEEDaS1P_S1Q_EUlS1P_E_NS1_11comp_targetILNS1_3genE4ELNS1_11target_archE910ELNS1_3gpuE8ELNS1_3repE0EEENS1_30default_config_static_selectorELNS0_4arch9wavefront6targetE1EEEvS12_.has_recursion, 0
	.set _ZN7rocprim17ROCPRIM_400000_NS6detail17trampoline_kernelINS0_13select_configILj256ELj13ELNS0_17block_load_methodE3ELS4_3ELS4_3ELNS0_20block_scan_algorithmE0ELj4294967295EEENS1_25partition_config_selectorILNS1_17partition_subalgoE4EjNS0_10empty_typeEbEEZZNS1_14partition_implILS8_4ELb0ES6_15HIP_vector_typeIjLj2EENS0_17counting_iteratorIjlEEPS9_SG_NS0_5tupleIJPjSI_NS0_16reverse_iteratorISI_EEEEENSH_IJSG_SG_SG_EEES9_SI_JZNS1_25segmented_radix_sort_implINS0_14default_configELb0EPKbPbPKlPlN2at6native12_GLOBAL__N_18offset_tEEE10hipError_tPvRmT1_PNSt15iterator_traitsIS12_E10value_typeET2_T3_PNS13_IS18_E10value_typeET4_jRbjT5_S1E_jjP12ihipStream_tbEUljE_ZNSN_ISO_Lb0ESQ_SR_ST_SU_SY_EESZ_S10_S11_S12_S16_S17_S18_S1B_S1C_jS1D_jS1E_S1E_jjS1G_bEUljE0_EEESZ_S10_S11_S18_S1C_S1E_T6_T7_T9_mT8_S1G_bDpT10_ENKUlT_T0_E_clISt17integral_constantIbLb1EES1T_IbLb0EEEEDaS1P_S1Q_EUlS1P_E_NS1_11comp_targetILNS1_3genE4ELNS1_11target_archE910ELNS1_3gpuE8ELNS1_3repE0EEENS1_30default_config_static_selectorELNS0_4arch9wavefront6targetE1EEEvS12_.has_indirect_call, 0
	.section	.AMDGPU.csdata,"",@progbits
; Kernel info:
; codeLenInByte = 0
; TotalNumSgprs: 4
; NumVgprs: 0
; ScratchSize: 0
; MemoryBound: 0
; FloatMode: 240
; IeeeMode: 1
; LDSByteSize: 0 bytes/workgroup (compile time only)
; SGPRBlocks: 0
; VGPRBlocks: 0
; NumSGPRsForWavesPerEU: 4
; NumVGPRsForWavesPerEU: 1
; Occupancy: 10
; WaveLimiterHint : 0
; COMPUTE_PGM_RSRC2:SCRATCH_EN: 0
; COMPUTE_PGM_RSRC2:USER_SGPR: 6
; COMPUTE_PGM_RSRC2:TRAP_HANDLER: 0
; COMPUTE_PGM_RSRC2:TGID_X_EN: 1
; COMPUTE_PGM_RSRC2:TGID_Y_EN: 0
; COMPUTE_PGM_RSRC2:TGID_Z_EN: 0
; COMPUTE_PGM_RSRC2:TIDIG_COMP_CNT: 0
	.section	.text._ZN7rocprim17ROCPRIM_400000_NS6detail17trampoline_kernelINS0_13select_configILj256ELj13ELNS0_17block_load_methodE3ELS4_3ELS4_3ELNS0_20block_scan_algorithmE0ELj4294967295EEENS1_25partition_config_selectorILNS1_17partition_subalgoE4EjNS0_10empty_typeEbEEZZNS1_14partition_implILS8_4ELb0ES6_15HIP_vector_typeIjLj2EENS0_17counting_iteratorIjlEEPS9_SG_NS0_5tupleIJPjSI_NS0_16reverse_iteratorISI_EEEEENSH_IJSG_SG_SG_EEES9_SI_JZNS1_25segmented_radix_sort_implINS0_14default_configELb0EPKbPbPKlPlN2at6native12_GLOBAL__N_18offset_tEEE10hipError_tPvRmT1_PNSt15iterator_traitsIS12_E10value_typeET2_T3_PNS13_IS18_E10value_typeET4_jRbjT5_S1E_jjP12ihipStream_tbEUljE_ZNSN_ISO_Lb0ESQ_SR_ST_SU_SY_EESZ_S10_S11_S12_S16_S17_S18_S1B_S1C_jS1D_jS1E_S1E_jjS1G_bEUljE0_EEESZ_S10_S11_S18_S1C_S1E_T6_T7_T9_mT8_S1G_bDpT10_ENKUlT_T0_E_clISt17integral_constantIbLb1EES1T_IbLb0EEEEDaS1P_S1Q_EUlS1P_E_NS1_11comp_targetILNS1_3genE3ELNS1_11target_archE908ELNS1_3gpuE7ELNS1_3repE0EEENS1_30default_config_static_selectorELNS0_4arch9wavefront6targetE1EEEvS12_,"axG",@progbits,_ZN7rocprim17ROCPRIM_400000_NS6detail17trampoline_kernelINS0_13select_configILj256ELj13ELNS0_17block_load_methodE3ELS4_3ELS4_3ELNS0_20block_scan_algorithmE0ELj4294967295EEENS1_25partition_config_selectorILNS1_17partition_subalgoE4EjNS0_10empty_typeEbEEZZNS1_14partition_implILS8_4ELb0ES6_15HIP_vector_typeIjLj2EENS0_17counting_iteratorIjlEEPS9_SG_NS0_5tupleIJPjSI_NS0_16reverse_iteratorISI_EEEEENSH_IJSG_SG_SG_EEES9_SI_JZNS1_25segmented_radix_sort_implINS0_14default_configELb0EPKbPbPKlPlN2at6native12_GLOBAL__N_18offset_tEEE10hipError_tPvRmT1_PNSt15iterator_traitsIS12_E10value_typeET2_T3_PNS13_IS18_E10value_typeET4_jRbjT5_S1E_jjP12ihipStream_tbEUljE_ZNSN_ISO_Lb0ESQ_SR_ST_SU_SY_EESZ_S10_S11_S12_S16_S17_S18_S1B_S1C_jS1D_jS1E_S1E_jjS1G_bEUljE0_EEESZ_S10_S11_S18_S1C_S1E_T6_T7_T9_mT8_S1G_bDpT10_ENKUlT_T0_E_clISt17integral_constantIbLb1EES1T_IbLb0EEEEDaS1P_S1Q_EUlS1P_E_NS1_11comp_targetILNS1_3genE3ELNS1_11target_archE908ELNS1_3gpuE7ELNS1_3repE0EEENS1_30default_config_static_selectorELNS0_4arch9wavefront6targetE1EEEvS12_,comdat
	.globl	_ZN7rocprim17ROCPRIM_400000_NS6detail17trampoline_kernelINS0_13select_configILj256ELj13ELNS0_17block_load_methodE3ELS4_3ELS4_3ELNS0_20block_scan_algorithmE0ELj4294967295EEENS1_25partition_config_selectorILNS1_17partition_subalgoE4EjNS0_10empty_typeEbEEZZNS1_14partition_implILS8_4ELb0ES6_15HIP_vector_typeIjLj2EENS0_17counting_iteratorIjlEEPS9_SG_NS0_5tupleIJPjSI_NS0_16reverse_iteratorISI_EEEEENSH_IJSG_SG_SG_EEES9_SI_JZNS1_25segmented_radix_sort_implINS0_14default_configELb0EPKbPbPKlPlN2at6native12_GLOBAL__N_18offset_tEEE10hipError_tPvRmT1_PNSt15iterator_traitsIS12_E10value_typeET2_T3_PNS13_IS18_E10value_typeET4_jRbjT5_S1E_jjP12ihipStream_tbEUljE_ZNSN_ISO_Lb0ESQ_SR_ST_SU_SY_EESZ_S10_S11_S12_S16_S17_S18_S1B_S1C_jS1D_jS1E_S1E_jjS1G_bEUljE0_EEESZ_S10_S11_S18_S1C_S1E_T6_T7_T9_mT8_S1G_bDpT10_ENKUlT_T0_E_clISt17integral_constantIbLb1EES1T_IbLb0EEEEDaS1P_S1Q_EUlS1P_E_NS1_11comp_targetILNS1_3genE3ELNS1_11target_archE908ELNS1_3gpuE7ELNS1_3repE0EEENS1_30default_config_static_selectorELNS0_4arch9wavefront6targetE1EEEvS12_ ; -- Begin function _ZN7rocprim17ROCPRIM_400000_NS6detail17trampoline_kernelINS0_13select_configILj256ELj13ELNS0_17block_load_methodE3ELS4_3ELS4_3ELNS0_20block_scan_algorithmE0ELj4294967295EEENS1_25partition_config_selectorILNS1_17partition_subalgoE4EjNS0_10empty_typeEbEEZZNS1_14partition_implILS8_4ELb0ES6_15HIP_vector_typeIjLj2EENS0_17counting_iteratorIjlEEPS9_SG_NS0_5tupleIJPjSI_NS0_16reverse_iteratorISI_EEEEENSH_IJSG_SG_SG_EEES9_SI_JZNS1_25segmented_radix_sort_implINS0_14default_configELb0EPKbPbPKlPlN2at6native12_GLOBAL__N_18offset_tEEE10hipError_tPvRmT1_PNSt15iterator_traitsIS12_E10value_typeET2_T3_PNS13_IS18_E10value_typeET4_jRbjT5_S1E_jjP12ihipStream_tbEUljE_ZNSN_ISO_Lb0ESQ_SR_ST_SU_SY_EESZ_S10_S11_S12_S16_S17_S18_S1B_S1C_jS1D_jS1E_S1E_jjS1G_bEUljE0_EEESZ_S10_S11_S18_S1C_S1E_T6_T7_T9_mT8_S1G_bDpT10_ENKUlT_T0_E_clISt17integral_constantIbLb1EES1T_IbLb0EEEEDaS1P_S1Q_EUlS1P_E_NS1_11comp_targetILNS1_3genE3ELNS1_11target_archE908ELNS1_3gpuE7ELNS1_3repE0EEENS1_30default_config_static_selectorELNS0_4arch9wavefront6targetE1EEEvS12_
	.p2align	8
	.type	_ZN7rocprim17ROCPRIM_400000_NS6detail17trampoline_kernelINS0_13select_configILj256ELj13ELNS0_17block_load_methodE3ELS4_3ELS4_3ELNS0_20block_scan_algorithmE0ELj4294967295EEENS1_25partition_config_selectorILNS1_17partition_subalgoE4EjNS0_10empty_typeEbEEZZNS1_14partition_implILS8_4ELb0ES6_15HIP_vector_typeIjLj2EENS0_17counting_iteratorIjlEEPS9_SG_NS0_5tupleIJPjSI_NS0_16reverse_iteratorISI_EEEEENSH_IJSG_SG_SG_EEES9_SI_JZNS1_25segmented_radix_sort_implINS0_14default_configELb0EPKbPbPKlPlN2at6native12_GLOBAL__N_18offset_tEEE10hipError_tPvRmT1_PNSt15iterator_traitsIS12_E10value_typeET2_T3_PNS13_IS18_E10value_typeET4_jRbjT5_S1E_jjP12ihipStream_tbEUljE_ZNSN_ISO_Lb0ESQ_SR_ST_SU_SY_EESZ_S10_S11_S12_S16_S17_S18_S1B_S1C_jS1D_jS1E_S1E_jjS1G_bEUljE0_EEESZ_S10_S11_S18_S1C_S1E_T6_T7_T9_mT8_S1G_bDpT10_ENKUlT_T0_E_clISt17integral_constantIbLb1EES1T_IbLb0EEEEDaS1P_S1Q_EUlS1P_E_NS1_11comp_targetILNS1_3genE3ELNS1_11target_archE908ELNS1_3gpuE7ELNS1_3repE0EEENS1_30default_config_static_selectorELNS0_4arch9wavefront6targetE1EEEvS12_,@function
_ZN7rocprim17ROCPRIM_400000_NS6detail17trampoline_kernelINS0_13select_configILj256ELj13ELNS0_17block_load_methodE3ELS4_3ELS4_3ELNS0_20block_scan_algorithmE0ELj4294967295EEENS1_25partition_config_selectorILNS1_17partition_subalgoE4EjNS0_10empty_typeEbEEZZNS1_14partition_implILS8_4ELb0ES6_15HIP_vector_typeIjLj2EENS0_17counting_iteratorIjlEEPS9_SG_NS0_5tupleIJPjSI_NS0_16reverse_iteratorISI_EEEEENSH_IJSG_SG_SG_EEES9_SI_JZNS1_25segmented_radix_sort_implINS0_14default_configELb0EPKbPbPKlPlN2at6native12_GLOBAL__N_18offset_tEEE10hipError_tPvRmT1_PNSt15iterator_traitsIS12_E10value_typeET2_T3_PNS13_IS18_E10value_typeET4_jRbjT5_S1E_jjP12ihipStream_tbEUljE_ZNSN_ISO_Lb0ESQ_SR_ST_SU_SY_EESZ_S10_S11_S12_S16_S17_S18_S1B_S1C_jS1D_jS1E_S1E_jjS1G_bEUljE0_EEESZ_S10_S11_S18_S1C_S1E_T6_T7_T9_mT8_S1G_bDpT10_ENKUlT_T0_E_clISt17integral_constantIbLb1EES1T_IbLb0EEEEDaS1P_S1Q_EUlS1P_E_NS1_11comp_targetILNS1_3genE3ELNS1_11target_archE908ELNS1_3gpuE7ELNS1_3repE0EEENS1_30default_config_static_selectorELNS0_4arch9wavefront6targetE1EEEvS12_: ; @_ZN7rocprim17ROCPRIM_400000_NS6detail17trampoline_kernelINS0_13select_configILj256ELj13ELNS0_17block_load_methodE3ELS4_3ELS4_3ELNS0_20block_scan_algorithmE0ELj4294967295EEENS1_25partition_config_selectorILNS1_17partition_subalgoE4EjNS0_10empty_typeEbEEZZNS1_14partition_implILS8_4ELb0ES6_15HIP_vector_typeIjLj2EENS0_17counting_iteratorIjlEEPS9_SG_NS0_5tupleIJPjSI_NS0_16reverse_iteratorISI_EEEEENSH_IJSG_SG_SG_EEES9_SI_JZNS1_25segmented_radix_sort_implINS0_14default_configELb0EPKbPbPKlPlN2at6native12_GLOBAL__N_18offset_tEEE10hipError_tPvRmT1_PNSt15iterator_traitsIS12_E10value_typeET2_T3_PNS13_IS18_E10value_typeET4_jRbjT5_S1E_jjP12ihipStream_tbEUljE_ZNSN_ISO_Lb0ESQ_SR_ST_SU_SY_EESZ_S10_S11_S12_S16_S17_S18_S1B_S1C_jS1D_jS1E_S1E_jjS1G_bEUljE0_EEESZ_S10_S11_S18_S1C_S1E_T6_T7_T9_mT8_S1G_bDpT10_ENKUlT_T0_E_clISt17integral_constantIbLb1EES1T_IbLb0EEEEDaS1P_S1Q_EUlS1P_E_NS1_11comp_targetILNS1_3genE3ELNS1_11target_archE908ELNS1_3gpuE7ELNS1_3repE0EEENS1_30default_config_static_selectorELNS0_4arch9wavefront6targetE1EEEvS12_
; %bb.0:
	.section	.rodata,"a",@progbits
	.p2align	6, 0x0
	.amdhsa_kernel _ZN7rocprim17ROCPRIM_400000_NS6detail17trampoline_kernelINS0_13select_configILj256ELj13ELNS0_17block_load_methodE3ELS4_3ELS4_3ELNS0_20block_scan_algorithmE0ELj4294967295EEENS1_25partition_config_selectorILNS1_17partition_subalgoE4EjNS0_10empty_typeEbEEZZNS1_14partition_implILS8_4ELb0ES6_15HIP_vector_typeIjLj2EENS0_17counting_iteratorIjlEEPS9_SG_NS0_5tupleIJPjSI_NS0_16reverse_iteratorISI_EEEEENSH_IJSG_SG_SG_EEES9_SI_JZNS1_25segmented_radix_sort_implINS0_14default_configELb0EPKbPbPKlPlN2at6native12_GLOBAL__N_18offset_tEEE10hipError_tPvRmT1_PNSt15iterator_traitsIS12_E10value_typeET2_T3_PNS13_IS18_E10value_typeET4_jRbjT5_S1E_jjP12ihipStream_tbEUljE_ZNSN_ISO_Lb0ESQ_SR_ST_SU_SY_EESZ_S10_S11_S12_S16_S17_S18_S1B_S1C_jS1D_jS1E_S1E_jjS1G_bEUljE0_EEESZ_S10_S11_S18_S1C_S1E_T6_T7_T9_mT8_S1G_bDpT10_ENKUlT_T0_E_clISt17integral_constantIbLb1EES1T_IbLb0EEEEDaS1P_S1Q_EUlS1P_E_NS1_11comp_targetILNS1_3genE3ELNS1_11target_archE908ELNS1_3gpuE7ELNS1_3repE0EEENS1_30default_config_static_selectorELNS0_4arch9wavefront6targetE1EEEvS12_
		.amdhsa_group_segment_fixed_size 0
		.amdhsa_private_segment_fixed_size 0
		.amdhsa_kernarg_size 176
		.amdhsa_user_sgpr_count 6
		.amdhsa_user_sgpr_private_segment_buffer 1
		.amdhsa_user_sgpr_dispatch_ptr 0
		.amdhsa_user_sgpr_queue_ptr 0
		.amdhsa_user_sgpr_kernarg_segment_ptr 1
		.amdhsa_user_sgpr_dispatch_id 0
		.amdhsa_user_sgpr_flat_scratch_init 0
		.amdhsa_user_sgpr_private_segment_size 0
		.amdhsa_uses_dynamic_stack 0
		.amdhsa_system_sgpr_private_segment_wavefront_offset 0
		.amdhsa_system_sgpr_workgroup_id_x 1
		.amdhsa_system_sgpr_workgroup_id_y 0
		.amdhsa_system_sgpr_workgroup_id_z 0
		.amdhsa_system_sgpr_workgroup_info 0
		.amdhsa_system_vgpr_workitem_id 0
		.amdhsa_next_free_vgpr 1
		.amdhsa_next_free_sgpr 0
		.amdhsa_reserve_vcc 0
		.amdhsa_reserve_flat_scratch 0
		.amdhsa_float_round_mode_32 0
		.amdhsa_float_round_mode_16_64 0
		.amdhsa_float_denorm_mode_32 3
		.amdhsa_float_denorm_mode_16_64 3
		.amdhsa_dx10_clamp 1
		.amdhsa_ieee_mode 1
		.amdhsa_fp16_overflow 0
		.amdhsa_exception_fp_ieee_invalid_op 0
		.amdhsa_exception_fp_denorm_src 0
		.amdhsa_exception_fp_ieee_div_zero 0
		.amdhsa_exception_fp_ieee_overflow 0
		.amdhsa_exception_fp_ieee_underflow 0
		.amdhsa_exception_fp_ieee_inexact 0
		.amdhsa_exception_int_div_zero 0
	.end_amdhsa_kernel
	.section	.text._ZN7rocprim17ROCPRIM_400000_NS6detail17trampoline_kernelINS0_13select_configILj256ELj13ELNS0_17block_load_methodE3ELS4_3ELS4_3ELNS0_20block_scan_algorithmE0ELj4294967295EEENS1_25partition_config_selectorILNS1_17partition_subalgoE4EjNS0_10empty_typeEbEEZZNS1_14partition_implILS8_4ELb0ES6_15HIP_vector_typeIjLj2EENS0_17counting_iteratorIjlEEPS9_SG_NS0_5tupleIJPjSI_NS0_16reverse_iteratorISI_EEEEENSH_IJSG_SG_SG_EEES9_SI_JZNS1_25segmented_radix_sort_implINS0_14default_configELb0EPKbPbPKlPlN2at6native12_GLOBAL__N_18offset_tEEE10hipError_tPvRmT1_PNSt15iterator_traitsIS12_E10value_typeET2_T3_PNS13_IS18_E10value_typeET4_jRbjT5_S1E_jjP12ihipStream_tbEUljE_ZNSN_ISO_Lb0ESQ_SR_ST_SU_SY_EESZ_S10_S11_S12_S16_S17_S18_S1B_S1C_jS1D_jS1E_S1E_jjS1G_bEUljE0_EEESZ_S10_S11_S18_S1C_S1E_T6_T7_T9_mT8_S1G_bDpT10_ENKUlT_T0_E_clISt17integral_constantIbLb1EES1T_IbLb0EEEEDaS1P_S1Q_EUlS1P_E_NS1_11comp_targetILNS1_3genE3ELNS1_11target_archE908ELNS1_3gpuE7ELNS1_3repE0EEENS1_30default_config_static_selectorELNS0_4arch9wavefront6targetE1EEEvS12_,"axG",@progbits,_ZN7rocprim17ROCPRIM_400000_NS6detail17trampoline_kernelINS0_13select_configILj256ELj13ELNS0_17block_load_methodE3ELS4_3ELS4_3ELNS0_20block_scan_algorithmE0ELj4294967295EEENS1_25partition_config_selectorILNS1_17partition_subalgoE4EjNS0_10empty_typeEbEEZZNS1_14partition_implILS8_4ELb0ES6_15HIP_vector_typeIjLj2EENS0_17counting_iteratorIjlEEPS9_SG_NS0_5tupleIJPjSI_NS0_16reverse_iteratorISI_EEEEENSH_IJSG_SG_SG_EEES9_SI_JZNS1_25segmented_radix_sort_implINS0_14default_configELb0EPKbPbPKlPlN2at6native12_GLOBAL__N_18offset_tEEE10hipError_tPvRmT1_PNSt15iterator_traitsIS12_E10value_typeET2_T3_PNS13_IS18_E10value_typeET4_jRbjT5_S1E_jjP12ihipStream_tbEUljE_ZNSN_ISO_Lb0ESQ_SR_ST_SU_SY_EESZ_S10_S11_S12_S16_S17_S18_S1B_S1C_jS1D_jS1E_S1E_jjS1G_bEUljE0_EEESZ_S10_S11_S18_S1C_S1E_T6_T7_T9_mT8_S1G_bDpT10_ENKUlT_T0_E_clISt17integral_constantIbLb1EES1T_IbLb0EEEEDaS1P_S1Q_EUlS1P_E_NS1_11comp_targetILNS1_3genE3ELNS1_11target_archE908ELNS1_3gpuE7ELNS1_3repE0EEENS1_30default_config_static_selectorELNS0_4arch9wavefront6targetE1EEEvS12_,comdat
.Lfunc_end1590:
	.size	_ZN7rocprim17ROCPRIM_400000_NS6detail17trampoline_kernelINS0_13select_configILj256ELj13ELNS0_17block_load_methodE3ELS4_3ELS4_3ELNS0_20block_scan_algorithmE0ELj4294967295EEENS1_25partition_config_selectorILNS1_17partition_subalgoE4EjNS0_10empty_typeEbEEZZNS1_14partition_implILS8_4ELb0ES6_15HIP_vector_typeIjLj2EENS0_17counting_iteratorIjlEEPS9_SG_NS0_5tupleIJPjSI_NS0_16reverse_iteratorISI_EEEEENSH_IJSG_SG_SG_EEES9_SI_JZNS1_25segmented_radix_sort_implINS0_14default_configELb0EPKbPbPKlPlN2at6native12_GLOBAL__N_18offset_tEEE10hipError_tPvRmT1_PNSt15iterator_traitsIS12_E10value_typeET2_T3_PNS13_IS18_E10value_typeET4_jRbjT5_S1E_jjP12ihipStream_tbEUljE_ZNSN_ISO_Lb0ESQ_SR_ST_SU_SY_EESZ_S10_S11_S12_S16_S17_S18_S1B_S1C_jS1D_jS1E_S1E_jjS1G_bEUljE0_EEESZ_S10_S11_S18_S1C_S1E_T6_T7_T9_mT8_S1G_bDpT10_ENKUlT_T0_E_clISt17integral_constantIbLb1EES1T_IbLb0EEEEDaS1P_S1Q_EUlS1P_E_NS1_11comp_targetILNS1_3genE3ELNS1_11target_archE908ELNS1_3gpuE7ELNS1_3repE0EEENS1_30default_config_static_selectorELNS0_4arch9wavefront6targetE1EEEvS12_, .Lfunc_end1590-_ZN7rocprim17ROCPRIM_400000_NS6detail17trampoline_kernelINS0_13select_configILj256ELj13ELNS0_17block_load_methodE3ELS4_3ELS4_3ELNS0_20block_scan_algorithmE0ELj4294967295EEENS1_25partition_config_selectorILNS1_17partition_subalgoE4EjNS0_10empty_typeEbEEZZNS1_14partition_implILS8_4ELb0ES6_15HIP_vector_typeIjLj2EENS0_17counting_iteratorIjlEEPS9_SG_NS0_5tupleIJPjSI_NS0_16reverse_iteratorISI_EEEEENSH_IJSG_SG_SG_EEES9_SI_JZNS1_25segmented_radix_sort_implINS0_14default_configELb0EPKbPbPKlPlN2at6native12_GLOBAL__N_18offset_tEEE10hipError_tPvRmT1_PNSt15iterator_traitsIS12_E10value_typeET2_T3_PNS13_IS18_E10value_typeET4_jRbjT5_S1E_jjP12ihipStream_tbEUljE_ZNSN_ISO_Lb0ESQ_SR_ST_SU_SY_EESZ_S10_S11_S12_S16_S17_S18_S1B_S1C_jS1D_jS1E_S1E_jjS1G_bEUljE0_EEESZ_S10_S11_S18_S1C_S1E_T6_T7_T9_mT8_S1G_bDpT10_ENKUlT_T0_E_clISt17integral_constantIbLb1EES1T_IbLb0EEEEDaS1P_S1Q_EUlS1P_E_NS1_11comp_targetILNS1_3genE3ELNS1_11target_archE908ELNS1_3gpuE7ELNS1_3repE0EEENS1_30default_config_static_selectorELNS0_4arch9wavefront6targetE1EEEvS12_
                                        ; -- End function
	.set _ZN7rocprim17ROCPRIM_400000_NS6detail17trampoline_kernelINS0_13select_configILj256ELj13ELNS0_17block_load_methodE3ELS4_3ELS4_3ELNS0_20block_scan_algorithmE0ELj4294967295EEENS1_25partition_config_selectorILNS1_17partition_subalgoE4EjNS0_10empty_typeEbEEZZNS1_14partition_implILS8_4ELb0ES6_15HIP_vector_typeIjLj2EENS0_17counting_iteratorIjlEEPS9_SG_NS0_5tupleIJPjSI_NS0_16reverse_iteratorISI_EEEEENSH_IJSG_SG_SG_EEES9_SI_JZNS1_25segmented_radix_sort_implINS0_14default_configELb0EPKbPbPKlPlN2at6native12_GLOBAL__N_18offset_tEEE10hipError_tPvRmT1_PNSt15iterator_traitsIS12_E10value_typeET2_T3_PNS13_IS18_E10value_typeET4_jRbjT5_S1E_jjP12ihipStream_tbEUljE_ZNSN_ISO_Lb0ESQ_SR_ST_SU_SY_EESZ_S10_S11_S12_S16_S17_S18_S1B_S1C_jS1D_jS1E_S1E_jjS1G_bEUljE0_EEESZ_S10_S11_S18_S1C_S1E_T6_T7_T9_mT8_S1G_bDpT10_ENKUlT_T0_E_clISt17integral_constantIbLb1EES1T_IbLb0EEEEDaS1P_S1Q_EUlS1P_E_NS1_11comp_targetILNS1_3genE3ELNS1_11target_archE908ELNS1_3gpuE7ELNS1_3repE0EEENS1_30default_config_static_selectorELNS0_4arch9wavefront6targetE1EEEvS12_.num_vgpr, 0
	.set _ZN7rocprim17ROCPRIM_400000_NS6detail17trampoline_kernelINS0_13select_configILj256ELj13ELNS0_17block_load_methodE3ELS4_3ELS4_3ELNS0_20block_scan_algorithmE0ELj4294967295EEENS1_25partition_config_selectorILNS1_17partition_subalgoE4EjNS0_10empty_typeEbEEZZNS1_14partition_implILS8_4ELb0ES6_15HIP_vector_typeIjLj2EENS0_17counting_iteratorIjlEEPS9_SG_NS0_5tupleIJPjSI_NS0_16reverse_iteratorISI_EEEEENSH_IJSG_SG_SG_EEES9_SI_JZNS1_25segmented_radix_sort_implINS0_14default_configELb0EPKbPbPKlPlN2at6native12_GLOBAL__N_18offset_tEEE10hipError_tPvRmT1_PNSt15iterator_traitsIS12_E10value_typeET2_T3_PNS13_IS18_E10value_typeET4_jRbjT5_S1E_jjP12ihipStream_tbEUljE_ZNSN_ISO_Lb0ESQ_SR_ST_SU_SY_EESZ_S10_S11_S12_S16_S17_S18_S1B_S1C_jS1D_jS1E_S1E_jjS1G_bEUljE0_EEESZ_S10_S11_S18_S1C_S1E_T6_T7_T9_mT8_S1G_bDpT10_ENKUlT_T0_E_clISt17integral_constantIbLb1EES1T_IbLb0EEEEDaS1P_S1Q_EUlS1P_E_NS1_11comp_targetILNS1_3genE3ELNS1_11target_archE908ELNS1_3gpuE7ELNS1_3repE0EEENS1_30default_config_static_selectorELNS0_4arch9wavefront6targetE1EEEvS12_.num_agpr, 0
	.set _ZN7rocprim17ROCPRIM_400000_NS6detail17trampoline_kernelINS0_13select_configILj256ELj13ELNS0_17block_load_methodE3ELS4_3ELS4_3ELNS0_20block_scan_algorithmE0ELj4294967295EEENS1_25partition_config_selectorILNS1_17partition_subalgoE4EjNS0_10empty_typeEbEEZZNS1_14partition_implILS8_4ELb0ES6_15HIP_vector_typeIjLj2EENS0_17counting_iteratorIjlEEPS9_SG_NS0_5tupleIJPjSI_NS0_16reverse_iteratorISI_EEEEENSH_IJSG_SG_SG_EEES9_SI_JZNS1_25segmented_radix_sort_implINS0_14default_configELb0EPKbPbPKlPlN2at6native12_GLOBAL__N_18offset_tEEE10hipError_tPvRmT1_PNSt15iterator_traitsIS12_E10value_typeET2_T3_PNS13_IS18_E10value_typeET4_jRbjT5_S1E_jjP12ihipStream_tbEUljE_ZNSN_ISO_Lb0ESQ_SR_ST_SU_SY_EESZ_S10_S11_S12_S16_S17_S18_S1B_S1C_jS1D_jS1E_S1E_jjS1G_bEUljE0_EEESZ_S10_S11_S18_S1C_S1E_T6_T7_T9_mT8_S1G_bDpT10_ENKUlT_T0_E_clISt17integral_constantIbLb1EES1T_IbLb0EEEEDaS1P_S1Q_EUlS1P_E_NS1_11comp_targetILNS1_3genE3ELNS1_11target_archE908ELNS1_3gpuE7ELNS1_3repE0EEENS1_30default_config_static_selectorELNS0_4arch9wavefront6targetE1EEEvS12_.numbered_sgpr, 0
	.set _ZN7rocprim17ROCPRIM_400000_NS6detail17trampoline_kernelINS0_13select_configILj256ELj13ELNS0_17block_load_methodE3ELS4_3ELS4_3ELNS0_20block_scan_algorithmE0ELj4294967295EEENS1_25partition_config_selectorILNS1_17partition_subalgoE4EjNS0_10empty_typeEbEEZZNS1_14partition_implILS8_4ELb0ES6_15HIP_vector_typeIjLj2EENS0_17counting_iteratorIjlEEPS9_SG_NS0_5tupleIJPjSI_NS0_16reverse_iteratorISI_EEEEENSH_IJSG_SG_SG_EEES9_SI_JZNS1_25segmented_radix_sort_implINS0_14default_configELb0EPKbPbPKlPlN2at6native12_GLOBAL__N_18offset_tEEE10hipError_tPvRmT1_PNSt15iterator_traitsIS12_E10value_typeET2_T3_PNS13_IS18_E10value_typeET4_jRbjT5_S1E_jjP12ihipStream_tbEUljE_ZNSN_ISO_Lb0ESQ_SR_ST_SU_SY_EESZ_S10_S11_S12_S16_S17_S18_S1B_S1C_jS1D_jS1E_S1E_jjS1G_bEUljE0_EEESZ_S10_S11_S18_S1C_S1E_T6_T7_T9_mT8_S1G_bDpT10_ENKUlT_T0_E_clISt17integral_constantIbLb1EES1T_IbLb0EEEEDaS1P_S1Q_EUlS1P_E_NS1_11comp_targetILNS1_3genE3ELNS1_11target_archE908ELNS1_3gpuE7ELNS1_3repE0EEENS1_30default_config_static_selectorELNS0_4arch9wavefront6targetE1EEEvS12_.num_named_barrier, 0
	.set _ZN7rocprim17ROCPRIM_400000_NS6detail17trampoline_kernelINS0_13select_configILj256ELj13ELNS0_17block_load_methodE3ELS4_3ELS4_3ELNS0_20block_scan_algorithmE0ELj4294967295EEENS1_25partition_config_selectorILNS1_17partition_subalgoE4EjNS0_10empty_typeEbEEZZNS1_14partition_implILS8_4ELb0ES6_15HIP_vector_typeIjLj2EENS0_17counting_iteratorIjlEEPS9_SG_NS0_5tupleIJPjSI_NS0_16reverse_iteratorISI_EEEEENSH_IJSG_SG_SG_EEES9_SI_JZNS1_25segmented_radix_sort_implINS0_14default_configELb0EPKbPbPKlPlN2at6native12_GLOBAL__N_18offset_tEEE10hipError_tPvRmT1_PNSt15iterator_traitsIS12_E10value_typeET2_T3_PNS13_IS18_E10value_typeET4_jRbjT5_S1E_jjP12ihipStream_tbEUljE_ZNSN_ISO_Lb0ESQ_SR_ST_SU_SY_EESZ_S10_S11_S12_S16_S17_S18_S1B_S1C_jS1D_jS1E_S1E_jjS1G_bEUljE0_EEESZ_S10_S11_S18_S1C_S1E_T6_T7_T9_mT8_S1G_bDpT10_ENKUlT_T0_E_clISt17integral_constantIbLb1EES1T_IbLb0EEEEDaS1P_S1Q_EUlS1P_E_NS1_11comp_targetILNS1_3genE3ELNS1_11target_archE908ELNS1_3gpuE7ELNS1_3repE0EEENS1_30default_config_static_selectorELNS0_4arch9wavefront6targetE1EEEvS12_.private_seg_size, 0
	.set _ZN7rocprim17ROCPRIM_400000_NS6detail17trampoline_kernelINS0_13select_configILj256ELj13ELNS0_17block_load_methodE3ELS4_3ELS4_3ELNS0_20block_scan_algorithmE0ELj4294967295EEENS1_25partition_config_selectorILNS1_17partition_subalgoE4EjNS0_10empty_typeEbEEZZNS1_14partition_implILS8_4ELb0ES6_15HIP_vector_typeIjLj2EENS0_17counting_iteratorIjlEEPS9_SG_NS0_5tupleIJPjSI_NS0_16reverse_iteratorISI_EEEEENSH_IJSG_SG_SG_EEES9_SI_JZNS1_25segmented_radix_sort_implINS0_14default_configELb0EPKbPbPKlPlN2at6native12_GLOBAL__N_18offset_tEEE10hipError_tPvRmT1_PNSt15iterator_traitsIS12_E10value_typeET2_T3_PNS13_IS18_E10value_typeET4_jRbjT5_S1E_jjP12ihipStream_tbEUljE_ZNSN_ISO_Lb0ESQ_SR_ST_SU_SY_EESZ_S10_S11_S12_S16_S17_S18_S1B_S1C_jS1D_jS1E_S1E_jjS1G_bEUljE0_EEESZ_S10_S11_S18_S1C_S1E_T6_T7_T9_mT8_S1G_bDpT10_ENKUlT_T0_E_clISt17integral_constantIbLb1EES1T_IbLb0EEEEDaS1P_S1Q_EUlS1P_E_NS1_11comp_targetILNS1_3genE3ELNS1_11target_archE908ELNS1_3gpuE7ELNS1_3repE0EEENS1_30default_config_static_selectorELNS0_4arch9wavefront6targetE1EEEvS12_.uses_vcc, 0
	.set _ZN7rocprim17ROCPRIM_400000_NS6detail17trampoline_kernelINS0_13select_configILj256ELj13ELNS0_17block_load_methodE3ELS4_3ELS4_3ELNS0_20block_scan_algorithmE0ELj4294967295EEENS1_25partition_config_selectorILNS1_17partition_subalgoE4EjNS0_10empty_typeEbEEZZNS1_14partition_implILS8_4ELb0ES6_15HIP_vector_typeIjLj2EENS0_17counting_iteratorIjlEEPS9_SG_NS0_5tupleIJPjSI_NS0_16reverse_iteratorISI_EEEEENSH_IJSG_SG_SG_EEES9_SI_JZNS1_25segmented_radix_sort_implINS0_14default_configELb0EPKbPbPKlPlN2at6native12_GLOBAL__N_18offset_tEEE10hipError_tPvRmT1_PNSt15iterator_traitsIS12_E10value_typeET2_T3_PNS13_IS18_E10value_typeET4_jRbjT5_S1E_jjP12ihipStream_tbEUljE_ZNSN_ISO_Lb0ESQ_SR_ST_SU_SY_EESZ_S10_S11_S12_S16_S17_S18_S1B_S1C_jS1D_jS1E_S1E_jjS1G_bEUljE0_EEESZ_S10_S11_S18_S1C_S1E_T6_T7_T9_mT8_S1G_bDpT10_ENKUlT_T0_E_clISt17integral_constantIbLb1EES1T_IbLb0EEEEDaS1P_S1Q_EUlS1P_E_NS1_11comp_targetILNS1_3genE3ELNS1_11target_archE908ELNS1_3gpuE7ELNS1_3repE0EEENS1_30default_config_static_selectorELNS0_4arch9wavefront6targetE1EEEvS12_.uses_flat_scratch, 0
	.set _ZN7rocprim17ROCPRIM_400000_NS6detail17trampoline_kernelINS0_13select_configILj256ELj13ELNS0_17block_load_methodE3ELS4_3ELS4_3ELNS0_20block_scan_algorithmE0ELj4294967295EEENS1_25partition_config_selectorILNS1_17partition_subalgoE4EjNS0_10empty_typeEbEEZZNS1_14partition_implILS8_4ELb0ES6_15HIP_vector_typeIjLj2EENS0_17counting_iteratorIjlEEPS9_SG_NS0_5tupleIJPjSI_NS0_16reverse_iteratorISI_EEEEENSH_IJSG_SG_SG_EEES9_SI_JZNS1_25segmented_radix_sort_implINS0_14default_configELb0EPKbPbPKlPlN2at6native12_GLOBAL__N_18offset_tEEE10hipError_tPvRmT1_PNSt15iterator_traitsIS12_E10value_typeET2_T3_PNS13_IS18_E10value_typeET4_jRbjT5_S1E_jjP12ihipStream_tbEUljE_ZNSN_ISO_Lb0ESQ_SR_ST_SU_SY_EESZ_S10_S11_S12_S16_S17_S18_S1B_S1C_jS1D_jS1E_S1E_jjS1G_bEUljE0_EEESZ_S10_S11_S18_S1C_S1E_T6_T7_T9_mT8_S1G_bDpT10_ENKUlT_T0_E_clISt17integral_constantIbLb1EES1T_IbLb0EEEEDaS1P_S1Q_EUlS1P_E_NS1_11comp_targetILNS1_3genE3ELNS1_11target_archE908ELNS1_3gpuE7ELNS1_3repE0EEENS1_30default_config_static_selectorELNS0_4arch9wavefront6targetE1EEEvS12_.has_dyn_sized_stack, 0
	.set _ZN7rocprim17ROCPRIM_400000_NS6detail17trampoline_kernelINS0_13select_configILj256ELj13ELNS0_17block_load_methodE3ELS4_3ELS4_3ELNS0_20block_scan_algorithmE0ELj4294967295EEENS1_25partition_config_selectorILNS1_17partition_subalgoE4EjNS0_10empty_typeEbEEZZNS1_14partition_implILS8_4ELb0ES6_15HIP_vector_typeIjLj2EENS0_17counting_iteratorIjlEEPS9_SG_NS0_5tupleIJPjSI_NS0_16reverse_iteratorISI_EEEEENSH_IJSG_SG_SG_EEES9_SI_JZNS1_25segmented_radix_sort_implINS0_14default_configELb0EPKbPbPKlPlN2at6native12_GLOBAL__N_18offset_tEEE10hipError_tPvRmT1_PNSt15iterator_traitsIS12_E10value_typeET2_T3_PNS13_IS18_E10value_typeET4_jRbjT5_S1E_jjP12ihipStream_tbEUljE_ZNSN_ISO_Lb0ESQ_SR_ST_SU_SY_EESZ_S10_S11_S12_S16_S17_S18_S1B_S1C_jS1D_jS1E_S1E_jjS1G_bEUljE0_EEESZ_S10_S11_S18_S1C_S1E_T6_T7_T9_mT8_S1G_bDpT10_ENKUlT_T0_E_clISt17integral_constantIbLb1EES1T_IbLb0EEEEDaS1P_S1Q_EUlS1P_E_NS1_11comp_targetILNS1_3genE3ELNS1_11target_archE908ELNS1_3gpuE7ELNS1_3repE0EEENS1_30default_config_static_selectorELNS0_4arch9wavefront6targetE1EEEvS12_.has_recursion, 0
	.set _ZN7rocprim17ROCPRIM_400000_NS6detail17trampoline_kernelINS0_13select_configILj256ELj13ELNS0_17block_load_methodE3ELS4_3ELS4_3ELNS0_20block_scan_algorithmE0ELj4294967295EEENS1_25partition_config_selectorILNS1_17partition_subalgoE4EjNS0_10empty_typeEbEEZZNS1_14partition_implILS8_4ELb0ES6_15HIP_vector_typeIjLj2EENS0_17counting_iteratorIjlEEPS9_SG_NS0_5tupleIJPjSI_NS0_16reverse_iteratorISI_EEEEENSH_IJSG_SG_SG_EEES9_SI_JZNS1_25segmented_radix_sort_implINS0_14default_configELb0EPKbPbPKlPlN2at6native12_GLOBAL__N_18offset_tEEE10hipError_tPvRmT1_PNSt15iterator_traitsIS12_E10value_typeET2_T3_PNS13_IS18_E10value_typeET4_jRbjT5_S1E_jjP12ihipStream_tbEUljE_ZNSN_ISO_Lb0ESQ_SR_ST_SU_SY_EESZ_S10_S11_S12_S16_S17_S18_S1B_S1C_jS1D_jS1E_S1E_jjS1G_bEUljE0_EEESZ_S10_S11_S18_S1C_S1E_T6_T7_T9_mT8_S1G_bDpT10_ENKUlT_T0_E_clISt17integral_constantIbLb1EES1T_IbLb0EEEEDaS1P_S1Q_EUlS1P_E_NS1_11comp_targetILNS1_3genE3ELNS1_11target_archE908ELNS1_3gpuE7ELNS1_3repE0EEENS1_30default_config_static_selectorELNS0_4arch9wavefront6targetE1EEEvS12_.has_indirect_call, 0
	.section	.AMDGPU.csdata,"",@progbits
; Kernel info:
; codeLenInByte = 0
; TotalNumSgprs: 4
; NumVgprs: 0
; ScratchSize: 0
; MemoryBound: 0
; FloatMode: 240
; IeeeMode: 1
; LDSByteSize: 0 bytes/workgroup (compile time only)
; SGPRBlocks: 0
; VGPRBlocks: 0
; NumSGPRsForWavesPerEU: 4
; NumVGPRsForWavesPerEU: 1
; Occupancy: 10
; WaveLimiterHint : 0
; COMPUTE_PGM_RSRC2:SCRATCH_EN: 0
; COMPUTE_PGM_RSRC2:USER_SGPR: 6
; COMPUTE_PGM_RSRC2:TRAP_HANDLER: 0
; COMPUTE_PGM_RSRC2:TGID_X_EN: 1
; COMPUTE_PGM_RSRC2:TGID_Y_EN: 0
; COMPUTE_PGM_RSRC2:TGID_Z_EN: 0
; COMPUTE_PGM_RSRC2:TIDIG_COMP_CNT: 0
	.section	.text._ZN7rocprim17ROCPRIM_400000_NS6detail17trampoline_kernelINS0_13select_configILj256ELj13ELNS0_17block_load_methodE3ELS4_3ELS4_3ELNS0_20block_scan_algorithmE0ELj4294967295EEENS1_25partition_config_selectorILNS1_17partition_subalgoE4EjNS0_10empty_typeEbEEZZNS1_14partition_implILS8_4ELb0ES6_15HIP_vector_typeIjLj2EENS0_17counting_iteratorIjlEEPS9_SG_NS0_5tupleIJPjSI_NS0_16reverse_iteratorISI_EEEEENSH_IJSG_SG_SG_EEES9_SI_JZNS1_25segmented_radix_sort_implINS0_14default_configELb0EPKbPbPKlPlN2at6native12_GLOBAL__N_18offset_tEEE10hipError_tPvRmT1_PNSt15iterator_traitsIS12_E10value_typeET2_T3_PNS13_IS18_E10value_typeET4_jRbjT5_S1E_jjP12ihipStream_tbEUljE_ZNSN_ISO_Lb0ESQ_SR_ST_SU_SY_EESZ_S10_S11_S12_S16_S17_S18_S1B_S1C_jS1D_jS1E_S1E_jjS1G_bEUljE0_EEESZ_S10_S11_S18_S1C_S1E_T6_T7_T9_mT8_S1G_bDpT10_ENKUlT_T0_E_clISt17integral_constantIbLb1EES1T_IbLb0EEEEDaS1P_S1Q_EUlS1P_E_NS1_11comp_targetILNS1_3genE2ELNS1_11target_archE906ELNS1_3gpuE6ELNS1_3repE0EEENS1_30default_config_static_selectorELNS0_4arch9wavefront6targetE1EEEvS12_,"axG",@progbits,_ZN7rocprim17ROCPRIM_400000_NS6detail17trampoline_kernelINS0_13select_configILj256ELj13ELNS0_17block_load_methodE3ELS4_3ELS4_3ELNS0_20block_scan_algorithmE0ELj4294967295EEENS1_25partition_config_selectorILNS1_17partition_subalgoE4EjNS0_10empty_typeEbEEZZNS1_14partition_implILS8_4ELb0ES6_15HIP_vector_typeIjLj2EENS0_17counting_iteratorIjlEEPS9_SG_NS0_5tupleIJPjSI_NS0_16reverse_iteratorISI_EEEEENSH_IJSG_SG_SG_EEES9_SI_JZNS1_25segmented_radix_sort_implINS0_14default_configELb0EPKbPbPKlPlN2at6native12_GLOBAL__N_18offset_tEEE10hipError_tPvRmT1_PNSt15iterator_traitsIS12_E10value_typeET2_T3_PNS13_IS18_E10value_typeET4_jRbjT5_S1E_jjP12ihipStream_tbEUljE_ZNSN_ISO_Lb0ESQ_SR_ST_SU_SY_EESZ_S10_S11_S12_S16_S17_S18_S1B_S1C_jS1D_jS1E_S1E_jjS1G_bEUljE0_EEESZ_S10_S11_S18_S1C_S1E_T6_T7_T9_mT8_S1G_bDpT10_ENKUlT_T0_E_clISt17integral_constantIbLb1EES1T_IbLb0EEEEDaS1P_S1Q_EUlS1P_E_NS1_11comp_targetILNS1_3genE2ELNS1_11target_archE906ELNS1_3gpuE6ELNS1_3repE0EEENS1_30default_config_static_selectorELNS0_4arch9wavefront6targetE1EEEvS12_,comdat
	.globl	_ZN7rocprim17ROCPRIM_400000_NS6detail17trampoline_kernelINS0_13select_configILj256ELj13ELNS0_17block_load_methodE3ELS4_3ELS4_3ELNS0_20block_scan_algorithmE0ELj4294967295EEENS1_25partition_config_selectorILNS1_17partition_subalgoE4EjNS0_10empty_typeEbEEZZNS1_14partition_implILS8_4ELb0ES6_15HIP_vector_typeIjLj2EENS0_17counting_iteratorIjlEEPS9_SG_NS0_5tupleIJPjSI_NS0_16reverse_iteratorISI_EEEEENSH_IJSG_SG_SG_EEES9_SI_JZNS1_25segmented_radix_sort_implINS0_14default_configELb0EPKbPbPKlPlN2at6native12_GLOBAL__N_18offset_tEEE10hipError_tPvRmT1_PNSt15iterator_traitsIS12_E10value_typeET2_T3_PNS13_IS18_E10value_typeET4_jRbjT5_S1E_jjP12ihipStream_tbEUljE_ZNSN_ISO_Lb0ESQ_SR_ST_SU_SY_EESZ_S10_S11_S12_S16_S17_S18_S1B_S1C_jS1D_jS1E_S1E_jjS1G_bEUljE0_EEESZ_S10_S11_S18_S1C_S1E_T6_T7_T9_mT8_S1G_bDpT10_ENKUlT_T0_E_clISt17integral_constantIbLb1EES1T_IbLb0EEEEDaS1P_S1Q_EUlS1P_E_NS1_11comp_targetILNS1_3genE2ELNS1_11target_archE906ELNS1_3gpuE6ELNS1_3repE0EEENS1_30default_config_static_selectorELNS0_4arch9wavefront6targetE1EEEvS12_ ; -- Begin function _ZN7rocprim17ROCPRIM_400000_NS6detail17trampoline_kernelINS0_13select_configILj256ELj13ELNS0_17block_load_methodE3ELS4_3ELS4_3ELNS0_20block_scan_algorithmE0ELj4294967295EEENS1_25partition_config_selectorILNS1_17partition_subalgoE4EjNS0_10empty_typeEbEEZZNS1_14partition_implILS8_4ELb0ES6_15HIP_vector_typeIjLj2EENS0_17counting_iteratorIjlEEPS9_SG_NS0_5tupleIJPjSI_NS0_16reverse_iteratorISI_EEEEENSH_IJSG_SG_SG_EEES9_SI_JZNS1_25segmented_radix_sort_implINS0_14default_configELb0EPKbPbPKlPlN2at6native12_GLOBAL__N_18offset_tEEE10hipError_tPvRmT1_PNSt15iterator_traitsIS12_E10value_typeET2_T3_PNS13_IS18_E10value_typeET4_jRbjT5_S1E_jjP12ihipStream_tbEUljE_ZNSN_ISO_Lb0ESQ_SR_ST_SU_SY_EESZ_S10_S11_S12_S16_S17_S18_S1B_S1C_jS1D_jS1E_S1E_jjS1G_bEUljE0_EEESZ_S10_S11_S18_S1C_S1E_T6_T7_T9_mT8_S1G_bDpT10_ENKUlT_T0_E_clISt17integral_constantIbLb1EES1T_IbLb0EEEEDaS1P_S1Q_EUlS1P_E_NS1_11comp_targetILNS1_3genE2ELNS1_11target_archE906ELNS1_3gpuE6ELNS1_3repE0EEENS1_30default_config_static_selectorELNS0_4arch9wavefront6targetE1EEEvS12_
	.p2align	8
	.type	_ZN7rocprim17ROCPRIM_400000_NS6detail17trampoline_kernelINS0_13select_configILj256ELj13ELNS0_17block_load_methodE3ELS4_3ELS4_3ELNS0_20block_scan_algorithmE0ELj4294967295EEENS1_25partition_config_selectorILNS1_17partition_subalgoE4EjNS0_10empty_typeEbEEZZNS1_14partition_implILS8_4ELb0ES6_15HIP_vector_typeIjLj2EENS0_17counting_iteratorIjlEEPS9_SG_NS0_5tupleIJPjSI_NS0_16reverse_iteratorISI_EEEEENSH_IJSG_SG_SG_EEES9_SI_JZNS1_25segmented_radix_sort_implINS0_14default_configELb0EPKbPbPKlPlN2at6native12_GLOBAL__N_18offset_tEEE10hipError_tPvRmT1_PNSt15iterator_traitsIS12_E10value_typeET2_T3_PNS13_IS18_E10value_typeET4_jRbjT5_S1E_jjP12ihipStream_tbEUljE_ZNSN_ISO_Lb0ESQ_SR_ST_SU_SY_EESZ_S10_S11_S12_S16_S17_S18_S1B_S1C_jS1D_jS1E_S1E_jjS1G_bEUljE0_EEESZ_S10_S11_S18_S1C_S1E_T6_T7_T9_mT8_S1G_bDpT10_ENKUlT_T0_E_clISt17integral_constantIbLb1EES1T_IbLb0EEEEDaS1P_S1Q_EUlS1P_E_NS1_11comp_targetILNS1_3genE2ELNS1_11target_archE906ELNS1_3gpuE6ELNS1_3repE0EEENS1_30default_config_static_selectorELNS0_4arch9wavefront6targetE1EEEvS12_,@function
_ZN7rocprim17ROCPRIM_400000_NS6detail17trampoline_kernelINS0_13select_configILj256ELj13ELNS0_17block_load_methodE3ELS4_3ELS4_3ELNS0_20block_scan_algorithmE0ELj4294967295EEENS1_25partition_config_selectorILNS1_17partition_subalgoE4EjNS0_10empty_typeEbEEZZNS1_14partition_implILS8_4ELb0ES6_15HIP_vector_typeIjLj2EENS0_17counting_iteratorIjlEEPS9_SG_NS0_5tupleIJPjSI_NS0_16reverse_iteratorISI_EEEEENSH_IJSG_SG_SG_EEES9_SI_JZNS1_25segmented_radix_sort_implINS0_14default_configELb0EPKbPbPKlPlN2at6native12_GLOBAL__N_18offset_tEEE10hipError_tPvRmT1_PNSt15iterator_traitsIS12_E10value_typeET2_T3_PNS13_IS18_E10value_typeET4_jRbjT5_S1E_jjP12ihipStream_tbEUljE_ZNSN_ISO_Lb0ESQ_SR_ST_SU_SY_EESZ_S10_S11_S12_S16_S17_S18_S1B_S1C_jS1D_jS1E_S1E_jjS1G_bEUljE0_EEESZ_S10_S11_S18_S1C_S1E_T6_T7_T9_mT8_S1G_bDpT10_ENKUlT_T0_E_clISt17integral_constantIbLb1EES1T_IbLb0EEEEDaS1P_S1Q_EUlS1P_E_NS1_11comp_targetILNS1_3genE2ELNS1_11target_archE906ELNS1_3gpuE6ELNS1_3repE0EEENS1_30default_config_static_selectorELNS0_4arch9wavefront6targetE1EEEvS12_: ; @_ZN7rocprim17ROCPRIM_400000_NS6detail17trampoline_kernelINS0_13select_configILj256ELj13ELNS0_17block_load_methodE3ELS4_3ELS4_3ELNS0_20block_scan_algorithmE0ELj4294967295EEENS1_25partition_config_selectorILNS1_17partition_subalgoE4EjNS0_10empty_typeEbEEZZNS1_14partition_implILS8_4ELb0ES6_15HIP_vector_typeIjLj2EENS0_17counting_iteratorIjlEEPS9_SG_NS0_5tupleIJPjSI_NS0_16reverse_iteratorISI_EEEEENSH_IJSG_SG_SG_EEES9_SI_JZNS1_25segmented_radix_sort_implINS0_14default_configELb0EPKbPbPKlPlN2at6native12_GLOBAL__N_18offset_tEEE10hipError_tPvRmT1_PNSt15iterator_traitsIS12_E10value_typeET2_T3_PNS13_IS18_E10value_typeET4_jRbjT5_S1E_jjP12ihipStream_tbEUljE_ZNSN_ISO_Lb0ESQ_SR_ST_SU_SY_EESZ_S10_S11_S12_S16_S17_S18_S1B_S1C_jS1D_jS1E_S1E_jjS1G_bEUljE0_EEESZ_S10_S11_S18_S1C_S1E_T6_T7_T9_mT8_S1G_bDpT10_ENKUlT_T0_E_clISt17integral_constantIbLb1EES1T_IbLb0EEEEDaS1P_S1Q_EUlS1P_E_NS1_11comp_targetILNS1_3genE2ELNS1_11target_archE906ELNS1_3gpuE6ELNS1_3repE0EEENS1_30default_config_static_selectorELNS0_4arch9wavefront6targetE1EEEvS12_
; %bb.0:
	s_endpgm
	.section	.rodata,"a",@progbits
	.p2align	6, 0x0
	.amdhsa_kernel _ZN7rocprim17ROCPRIM_400000_NS6detail17trampoline_kernelINS0_13select_configILj256ELj13ELNS0_17block_load_methodE3ELS4_3ELS4_3ELNS0_20block_scan_algorithmE0ELj4294967295EEENS1_25partition_config_selectorILNS1_17partition_subalgoE4EjNS0_10empty_typeEbEEZZNS1_14partition_implILS8_4ELb0ES6_15HIP_vector_typeIjLj2EENS0_17counting_iteratorIjlEEPS9_SG_NS0_5tupleIJPjSI_NS0_16reverse_iteratorISI_EEEEENSH_IJSG_SG_SG_EEES9_SI_JZNS1_25segmented_radix_sort_implINS0_14default_configELb0EPKbPbPKlPlN2at6native12_GLOBAL__N_18offset_tEEE10hipError_tPvRmT1_PNSt15iterator_traitsIS12_E10value_typeET2_T3_PNS13_IS18_E10value_typeET4_jRbjT5_S1E_jjP12ihipStream_tbEUljE_ZNSN_ISO_Lb0ESQ_SR_ST_SU_SY_EESZ_S10_S11_S12_S16_S17_S18_S1B_S1C_jS1D_jS1E_S1E_jjS1G_bEUljE0_EEESZ_S10_S11_S18_S1C_S1E_T6_T7_T9_mT8_S1G_bDpT10_ENKUlT_T0_E_clISt17integral_constantIbLb1EES1T_IbLb0EEEEDaS1P_S1Q_EUlS1P_E_NS1_11comp_targetILNS1_3genE2ELNS1_11target_archE906ELNS1_3gpuE6ELNS1_3repE0EEENS1_30default_config_static_selectorELNS0_4arch9wavefront6targetE1EEEvS12_
		.amdhsa_group_segment_fixed_size 0
		.amdhsa_private_segment_fixed_size 0
		.amdhsa_kernarg_size 176
		.amdhsa_user_sgpr_count 6
		.amdhsa_user_sgpr_private_segment_buffer 1
		.amdhsa_user_sgpr_dispatch_ptr 0
		.amdhsa_user_sgpr_queue_ptr 0
		.amdhsa_user_sgpr_kernarg_segment_ptr 1
		.amdhsa_user_sgpr_dispatch_id 0
		.amdhsa_user_sgpr_flat_scratch_init 0
		.amdhsa_user_sgpr_private_segment_size 0
		.amdhsa_uses_dynamic_stack 0
		.amdhsa_system_sgpr_private_segment_wavefront_offset 0
		.amdhsa_system_sgpr_workgroup_id_x 1
		.amdhsa_system_sgpr_workgroup_id_y 0
		.amdhsa_system_sgpr_workgroup_id_z 0
		.amdhsa_system_sgpr_workgroup_info 0
		.amdhsa_system_vgpr_workitem_id 0
		.amdhsa_next_free_vgpr 1
		.amdhsa_next_free_sgpr 0
		.amdhsa_reserve_vcc 0
		.amdhsa_reserve_flat_scratch 0
		.amdhsa_float_round_mode_32 0
		.amdhsa_float_round_mode_16_64 0
		.amdhsa_float_denorm_mode_32 3
		.amdhsa_float_denorm_mode_16_64 3
		.amdhsa_dx10_clamp 1
		.amdhsa_ieee_mode 1
		.amdhsa_fp16_overflow 0
		.amdhsa_exception_fp_ieee_invalid_op 0
		.amdhsa_exception_fp_denorm_src 0
		.amdhsa_exception_fp_ieee_div_zero 0
		.amdhsa_exception_fp_ieee_overflow 0
		.amdhsa_exception_fp_ieee_underflow 0
		.amdhsa_exception_fp_ieee_inexact 0
		.amdhsa_exception_int_div_zero 0
	.end_amdhsa_kernel
	.section	.text._ZN7rocprim17ROCPRIM_400000_NS6detail17trampoline_kernelINS0_13select_configILj256ELj13ELNS0_17block_load_methodE3ELS4_3ELS4_3ELNS0_20block_scan_algorithmE0ELj4294967295EEENS1_25partition_config_selectorILNS1_17partition_subalgoE4EjNS0_10empty_typeEbEEZZNS1_14partition_implILS8_4ELb0ES6_15HIP_vector_typeIjLj2EENS0_17counting_iteratorIjlEEPS9_SG_NS0_5tupleIJPjSI_NS0_16reverse_iteratorISI_EEEEENSH_IJSG_SG_SG_EEES9_SI_JZNS1_25segmented_radix_sort_implINS0_14default_configELb0EPKbPbPKlPlN2at6native12_GLOBAL__N_18offset_tEEE10hipError_tPvRmT1_PNSt15iterator_traitsIS12_E10value_typeET2_T3_PNS13_IS18_E10value_typeET4_jRbjT5_S1E_jjP12ihipStream_tbEUljE_ZNSN_ISO_Lb0ESQ_SR_ST_SU_SY_EESZ_S10_S11_S12_S16_S17_S18_S1B_S1C_jS1D_jS1E_S1E_jjS1G_bEUljE0_EEESZ_S10_S11_S18_S1C_S1E_T6_T7_T9_mT8_S1G_bDpT10_ENKUlT_T0_E_clISt17integral_constantIbLb1EES1T_IbLb0EEEEDaS1P_S1Q_EUlS1P_E_NS1_11comp_targetILNS1_3genE2ELNS1_11target_archE906ELNS1_3gpuE6ELNS1_3repE0EEENS1_30default_config_static_selectorELNS0_4arch9wavefront6targetE1EEEvS12_,"axG",@progbits,_ZN7rocprim17ROCPRIM_400000_NS6detail17trampoline_kernelINS0_13select_configILj256ELj13ELNS0_17block_load_methodE3ELS4_3ELS4_3ELNS0_20block_scan_algorithmE0ELj4294967295EEENS1_25partition_config_selectorILNS1_17partition_subalgoE4EjNS0_10empty_typeEbEEZZNS1_14partition_implILS8_4ELb0ES6_15HIP_vector_typeIjLj2EENS0_17counting_iteratorIjlEEPS9_SG_NS0_5tupleIJPjSI_NS0_16reverse_iteratorISI_EEEEENSH_IJSG_SG_SG_EEES9_SI_JZNS1_25segmented_radix_sort_implINS0_14default_configELb0EPKbPbPKlPlN2at6native12_GLOBAL__N_18offset_tEEE10hipError_tPvRmT1_PNSt15iterator_traitsIS12_E10value_typeET2_T3_PNS13_IS18_E10value_typeET4_jRbjT5_S1E_jjP12ihipStream_tbEUljE_ZNSN_ISO_Lb0ESQ_SR_ST_SU_SY_EESZ_S10_S11_S12_S16_S17_S18_S1B_S1C_jS1D_jS1E_S1E_jjS1G_bEUljE0_EEESZ_S10_S11_S18_S1C_S1E_T6_T7_T9_mT8_S1G_bDpT10_ENKUlT_T0_E_clISt17integral_constantIbLb1EES1T_IbLb0EEEEDaS1P_S1Q_EUlS1P_E_NS1_11comp_targetILNS1_3genE2ELNS1_11target_archE906ELNS1_3gpuE6ELNS1_3repE0EEENS1_30default_config_static_selectorELNS0_4arch9wavefront6targetE1EEEvS12_,comdat
.Lfunc_end1591:
	.size	_ZN7rocprim17ROCPRIM_400000_NS6detail17trampoline_kernelINS0_13select_configILj256ELj13ELNS0_17block_load_methodE3ELS4_3ELS4_3ELNS0_20block_scan_algorithmE0ELj4294967295EEENS1_25partition_config_selectorILNS1_17partition_subalgoE4EjNS0_10empty_typeEbEEZZNS1_14partition_implILS8_4ELb0ES6_15HIP_vector_typeIjLj2EENS0_17counting_iteratorIjlEEPS9_SG_NS0_5tupleIJPjSI_NS0_16reverse_iteratorISI_EEEEENSH_IJSG_SG_SG_EEES9_SI_JZNS1_25segmented_radix_sort_implINS0_14default_configELb0EPKbPbPKlPlN2at6native12_GLOBAL__N_18offset_tEEE10hipError_tPvRmT1_PNSt15iterator_traitsIS12_E10value_typeET2_T3_PNS13_IS18_E10value_typeET4_jRbjT5_S1E_jjP12ihipStream_tbEUljE_ZNSN_ISO_Lb0ESQ_SR_ST_SU_SY_EESZ_S10_S11_S12_S16_S17_S18_S1B_S1C_jS1D_jS1E_S1E_jjS1G_bEUljE0_EEESZ_S10_S11_S18_S1C_S1E_T6_T7_T9_mT8_S1G_bDpT10_ENKUlT_T0_E_clISt17integral_constantIbLb1EES1T_IbLb0EEEEDaS1P_S1Q_EUlS1P_E_NS1_11comp_targetILNS1_3genE2ELNS1_11target_archE906ELNS1_3gpuE6ELNS1_3repE0EEENS1_30default_config_static_selectorELNS0_4arch9wavefront6targetE1EEEvS12_, .Lfunc_end1591-_ZN7rocprim17ROCPRIM_400000_NS6detail17trampoline_kernelINS0_13select_configILj256ELj13ELNS0_17block_load_methodE3ELS4_3ELS4_3ELNS0_20block_scan_algorithmE0ELj4294967295EEENS1_25partition_config_selectorILNS1_17partition_subalgoE4EjNS0_10empty_typeEbEEZZNS1_14partition_implILS8_4ELb0ES6_15HIP_vector_typeIjLj2EENS0_17counting_iteratorIjlEEPS9_SG_NS0_5tupleIJPjSI_NS0_16reverse_iteratorISI_EEEEENSH_IJSG_SG_SG_EEES9_SI_JZNS1_25segmented_radix_sort_implINS0_14default_configELb0EPKbPbPKlPlN2at6native12_GLOBAL__N_18offset_tEEE10hipError_tPvRmT1_PNSt15iterator_traitsIS12_E10value_typeET2_T3_PNS13_IS18_E10value_typeET4_jRbjT5_S1E_jjP12ihipStream_tbEUljE_ZNSN_ISO_Lb0ESQ_SR_ST_SU_SY_EESZ_S10_S11_S12_S16_S17_S18_S1B_S1C_jS1D_jS1E_S1E_jjS1G_bEUljE0_EEESZ_S10_S11_S18_S1C_S1E_T6_T7_T9_mT8_S1G_bDpT10_ENKUlT_T0_E_clISt17integral_constantIbLb1EES1T_IbLb0EEEEDaS1P_S1Q_EUlS1P_E_NS1_11comp_targetILNS1_3genE2ELNS1_11target_archE906ELNS1_3gpuE6ELNS1_3repE0EEENS1_30default_config_static_selectorELNS0_4arch9wavefront6targetE1EEEvS12_
                                        ; -- End function
	.set _ZN7rocprim17ROCPRIM_400000_NS6detail17trampoline_kernelINS0_13select_configILj256ELj13ELNS0_17block_load_methodE3ELS4_3ELS4_3ELNS0_20block_scan_algorithmE0ELj4294967295EEENS1_25partition_config_selectorILNS1_17partition_subalgoE4EjNS0_10empty_typeEbEEZZNS1_14partition_implILS8_4ELb0ES6_15HIP_vector_typeIjLj2EENS0_17counting_iteratorIjlEEPS9_SG_NS0_5tupleIJPjSI_NS0_16reverse_iteratorISI_EEEEENSH_IJSG_SG_SG_EEES9_SI_JZNS1_25segmented_radix_sort_implINS0_14default_configELb0EPKbPbPKlPlN2at6native12_GLOBAL__N_18offset_tEEE10hipError_tPvRmT1_PNSt15iterator_traitsIS12_E10value_typeET2_T3_PNS13_IS18_E10value_typeET4_jRbjT5_S1E_jjP12ihipStream_tbEUljE_ZNSN_ISO_Lb0ESQ_SR_ST_SU_SY_EESZ_S10_S11_S12_S16_S17_S18_S1B_S1C_jS1D_jS1E_S1E_jjS1G_bEUljE0_EEESZ_S10_S11_S18_S1C_S1E_T6_T7_T9_mT8_S1G_bDpT10_ENKUlT_T0_E_clISt17integral_constantIbLb1EES1T_IbLb0EEEEDaS1P_S1Q_EUlS1P_E_NS1_11comp_targetILNS1_3genE2ELNS1_11target_archE906ELNS1_3gpuE6ELNS1_3repE0EEENS1_30default_config_static_selectorELNS0_4arch9wavefront6targetE1EEEvS12_.num_vgpr, 0
	.set _ZN7rocprim17ROCPRIM_400000_NS6detail17trampoline_kernelINS0_13select_configILj256ELj13ELNS0_17block_load_methodE3ELS4_3ELS4_3ELNS0_20block_scan_algorithmE0ELj4294967295EEENS1_25partition_config_selectorILNS1_17partition_subalgoE4EjNS0_10empty_typeEbEEZZNS1_14partition_implILS8_4ELb0ES6_15HIP_vector_typeIjLj2EENS0_17counting_iteratorIjlEEPS9_SG_NS0_5tupleIJPjSI_NS0_16reverse_iteratorISI_EEEEENSH_IJSG_SG_SG_EEES9_SI_JZNS1_25segmented_radix_sort_implINS0_14default_configELb0EPKbPbPKlPlN2at6native12_GLOBAL__N_18offset_tEEE10hipError_tPvRmT1_PNSt15iterator_traitsIS12_E10value_typeET2_T3_PNS13_IS18_E10value_typeET4_jRbjT5_S1E_jjP12ihipStream_tbEUljE_ZNSN_ISO_Lb0ESQ_SR_ST_SU_SY_EESZ_S10_S11_S12_S16_S17_S18_S1B_S1C_jS1D_jS1E_S1E_jjS1G_bEUljE0_EEESZ_S10_S11_S18_S1C_S1E_T6_T7_T9_mT8_S1G_bDpT10_ENKUlT_T0_E_clISt17integral_constantIbLb1EES1T_IbLb0EEEEDaS1P_S1Q_EUlS1P_E_NS1_11comp_targetILNS1_3genE2ELNS1_11target_archE906ELNS1_3gpuE6ELNS1_3repE0EEENS1_30default_config_static_selectorELNS0_4arch9wavefront6targetE1EEEvS12_.num_agpr, 0
	.set _ZN7rocprim17ROCPRIM_400000_NS6detail17trampoline_kernelINS0_13select_configILj256ELj13ELNS0_17block_load_methodE3ELS4_3ELS4_3ELNS0_20block_scan_algorithmE0ELj4294967295EEENS1_25partition_config_selectorILNS1_17partition_subalgoE4EjNS0_10empty_typeEbEEZZNS1_14partition_implILS8_4ELb0ES6_15HIP_vector_typeIjLj2EENS0_17counting_iteratorIjlEEPS9_SG_NS0_5tupleIJPjSI_NS0_16reverse_iteratorISI_EEEEENSH_IJSG_SG_SG_EEES9_SI_JZNS1_25segmented_radix_sort_implINS0_14default_configELb0EPKbPbPKlPlN2at6native12_GLOBAL__N_18offset_tEEE10hipError_tPvRmT1_PNSt15iterator_traitsIS12_E10value_typeET2_T3_PNS13_IS18_E10value_typeET4_jRbjT5_S1E_jjP12ihipStream_tbEUljE_ZNSN_ISO_Lb0ESQ_SR_ST_SU_SY_EESZ_S10_S11_S12_S16_S17_S18_S1B_S1C_jS1D_jS1E_S1E_jjS1G_bEUljE0_EEESZ_S10_S11_S18_S1C_S1E_T6_T7_T9_mT8_S1G_bDpT10_ENKUlT_T0_E_clISt17integral_constantIbLb1EES1T_IbLb0EEEEDaS1P_S1Q_EUlS1P_E_NS1_11comp_targetILNS1_3genE2ELNS1_11target_archE906ELNS1_3gpuE6ELNS1_3repE0EEENS1_30default_config_static_selectorELNS0_4arch9wavefront6targetE1EEEvS12_.numbered_sgpr, 0
	.set _ZN7rocprim17ROCPRIM_400000_NS6detail17trampoline_kernelINS0_13select_configILj256ELj13ELNS0_17block_load_methodE3ELS4_3ELS4_3ELNS0_20block_scan_algorithmE0ELj4294967295EEENS1_25partition_config_selectorILNS1_17partition_subalgoE4EjNS0_10empty_typeEbEEZZNS1_14partition_implILS8_4ELb0ES6_15HIP_vector_typeIjLj2EENS0_17counting_iteratorIjlEEPS9_SG_NS0_5tupleIJPjSI_NS0_16reverse_iteratorISI_EEEEENSH_IJSG_SG_SG_EEES9_SI_JZNS1_25segmented_radix_sort_implINS0_14default_configELb0EPKbPbPKlPlN2at6native12_GLOBAL__N_18offset_tEEE10hipError_tPvRmT1_PNSt15iterator_traitsIS12_E10value_typeET2_T3_PNS13_IS18_E10value_typeET4_jRbjT5_S1E_jjP12ihipStream_tbEUljE_ZNSN_ISO_Lb0ESQ_SR_ST_SU_SY_EESZ_S10_S11_S12_S16_S17_S18_S1B_S1C_jS1D_jS1E_S1E_jjS1G_bEUljE0_EEESZ_S10_S11_S18_S1C_S1E_T6_T7_T9_mT8_S1G_bDpT10_ENKUlT_T0_E_clISt17integral_constantIbLb1EES1T_IbLb0EEEEDaS1P_S1Q_EUlS1P_E_NS1_11comp_targetILNS1_3genE2ELNS1_11target_archE906ELNS1_3gpuE6ELNS1_3repE0EEENS1_30default_config_static_selectorELNS0_4arch9wavefront6targetE1EEEvS12_.num_named_barrier, 0
	.set _ZN7rocprim17ROCPRIM_400000_NS6detail17trampoline_kernelINS0_13select_configILj256ELj13ELNS0_17block_load_methodE3ELS4_3ELS4_3ELNS0_20block_scan_algorithmE0ELj4294967295EEENS1_25partition_config_selectorILNS1_17partition_subalgoE4EjNS0_10empty_typeEbEEZZNS1_14partition_implILS8_4ELb0ES6_15HIP_vector_typeIjLj2EENS0_17counting_iteratorIjlEEPS9_SG_NS0_5tupleIJPjSI_NS0_16reverse_iteratorISI_EEEEENSH_IJSG_SG_SG_EEES9_SI_JZNS1_25segmented_radix_sort_implINS0_14default_configELb0EPKbPbPKlPlN2at6native12_GLOBAL__N_18offset_tEEE10hipError_tPvRmT1_PNSt15iterator_traitsIS12_E10value_typeET2_T3_PNS13_IS18_E10value_typeET4_jRbjT5_S1E_jjP12ihipStream_tbEUljE_ZNSN_ISO_Lb0ESQ_SR_ST_SU_SY_EESZ_S10_S11_S12_S16_S17_S18_S1B_S1C_jS1D_jS1E_S1E_jjS1G_bEUljE0_EEESZ_S10_S11_S18_S1C_S1E_T6_T7_T9_mT8_S1G_bDpT10_ENKUlT_T0_E_clISt17integral_constantIbLb1EES1T_IbLb0EEEEDaS1P_S1Q_EUlS1P_E_NS1_11comp_targetILNS1_3genE2ELNS1_11target_archE906ELNS1_3gpuE6ELNS1_3repE0EEENS1_30default_config_static_selectorELNS0_4arch9wavefront6targetE1EEEvS12_.private_seg_size, 0
	.set _ZN7rocprim17ROCPRIM_400000_NS6detail17trampoline_kernelINS0_13select_configILj256ELj13ELNS0_17block_load_methodE3ELS4_3ELS4_3ELNS0_20block_scan_algorithmE0ELj4294967295EEENS1_25partition_config_selectorILNS1_17partition_subalgoE4EjNS0_10empty_typeEbEEZZNS1_14partition_implILS8_4ELb0ES6_15HIP_vector_typeIjLj2EENS0_17counting_iteratorIjlEEPS9_SG_NS0_5tupleIJPjSI_NS0_16reverse_iteratorISI_EEEEENSH_IJSG_SG_SG_EEES9_SI_JZNS1_25segmented_radix_sort_implINS0_14default_configELb0EPKbPbPKlPlN2at6native12_GLOBAL__N_18offset_tEEE10hipError_tPvRmT1_PNSt15iterator_traitsIS12_E10value_typeET2_T3_PNS13_IS18_E10value_typeET4_jRbjT5_S1E_jjP12ihipStream_tbEUljE_ZNSN_ISO_Lb0ESQ_SR_ST_SU_SY_EESZ_S10_S11_S12_S16_S17_S18_S1B_S1C_jS1D_jS1E_S1E_jjS1G_bEUljE0_EEESZ_S10_S11_S18_S1C_S1E_T6_T7_T9_mT8_S1G_bDpT10_ENKUlT_T0_E_clISt17integral_constantIbLb1EES1T_IbLb0EEEEDaS1P_S1Q_EUlS1P_E_NS1_11comp_targetILNS1_3genE2ELNS1_11target_archE906ELNS1_3gpuE6ELNS1_3repE0EEENS1_30default_config_static_selectorELNS0_4arch9wavefront6targetE1EEEvS12_.uses_vcc, 0
	.set _ZN7rocprim17ROCPRIM_400000_NS6detail17trampoline_kernelINS0_13select_configILj256ELj13ELNS0_17block_load_methodE3ELS4_3ELS4_3ELNS0_20block_scan_algorithmE0ELj4294967295EEENS1_25partition_config_selectorILNS1_17partition_subalgoE4EjNS0_10empty_typeEbEEZZNS1_14partition_implILS8_4ELb0ES6_15HIP_vector_typeIjLj2EENS0_17counting_iteratorIjlEEPS9_SG_NS0_5tupleIJPjSI_NS0_16reverse_iteratorISI_EEEEENSH_IJSG_SG_SG_EEES9_SI_JZNS1_25segmented_radix_sort_implINS0_14default_configELb0EPKbPbPKlPlN2at6native12_GLOBAL__N_18offset_tEEE10hipError_tPvRmT1_PNSt15iterator_traitsIS12_E10value_typeET2_T3_PNS13_IS18_E10value_typeET4_jRbjT5_S1E_jjP12ihipStream_tbEUljE_ZNSN_ISO_Lb0ESQ_SR_ST_SU_SY_EESZ_S10_S11_S12_S16_S17_S18_S1B_S1C_jS1D_jS1E_S1E_jjS1G_bEUljE0_EEESZ_S10_S11_S18_S1C_S1E_T6_T7_T9_mT8_S1G_bDpT10_ENKUlT_T0_E_clISt17integral_constantIbLb1EES1T_IbLb0EEEEDaS1P_S1Q_EUlS1P_E_NS1_11comp_targetILNS1_3genE2ELNS1_11target_archE906ELNS1_3gpuE6ELNS1_3repE0EEENS1_30default_config_static_selectorELNS0_4arch9wavefront6targetE1EEEvS12_.uses_flat_scratch, 0
	.set _ZN7rocprim17ROCPRIM_400000_NS6detail17trampoline_kernelINS0_13select_configILj256ELj13ELNS0_17block_load_methodE3ELS4_3ELS4_3ELNS0_20block_scan_algorithmE0ELj4294967295EEENS1_25partition_config_selectorILNS1_17partition_subalgoE4EjNS0_10empty_typeEbEEZZNS1_14partition_implILS8_4ELb0ES6_15HIP_vector_typeIjLj2EENS0_17counting_iteratorIjlEEPS9_SG_NS0_5tupleIJPjSI_NS0_16reverse_iteratorISI_EEEEENSH_IJSG_SG_SG_EEES9_SI_JZNS1_25segmented_radix_sort_implINS0_14default_configELb0EPKbPbPKlPlN2at6native12_GLOBAL__N_18offset_tEEE10hipError_tPvRmT1_PNSt15iterator_traitsIS12_E10value_typeET2_T3_PNS13_IS18_E10value_typeET4_jRbjT5_S1E_jjP12ihipStream_tbEUljE_ZNSN_ISO_Lb0ESQ_SR_ST_SU_SY_EESZ_S10_S11_S12_S16_S17_S18_S1B_S1C_jS1D_jS1E_S1E_jjS1G_bEUljE0_EEESZ_S10_S11_S18_S1C_S1E_T6_T7_T9_mT8_S1G_bDpT10_ENKUlT_T0_E_clISt17integral_constantIbLb1EES1T_IbLb0EEEEDaS1P_S1Q_EUlS1P_E_NS1_11comp_targetILNS1_3genE2ELNS1_11target_archE906ELNS1_3gpuE6ELNS1_3repE0EEENS1_30default_config_static_selectorELNS0_4arch9wavefront6targetE1EEEvS12_.has_dyn_sized_stack, 0
	.set _ZN7rocprim17ROCPRIM_400000_NS6detail17trampoline_kernelINS0_13select_configILj256ELj13ELNS0_17block_load_methodE3ELS4_3ELS4_3ELNS0_20block_scan_algorithmE0ELj4294967295EEENS1_25partition_config_selectorILNS1_17partition_subalgoE4EjNS0_10empty_typeEbEEZZNS1_14partition_implILS8_4ELb0ES6_15HIP_vector_typeIjLj2EENS0_17counting_iteratorIjlEEPS9_SG_NS0_5tupleIJPjSI_NS0_16reverse_iteratorISI_EEEEENSH_IJSG_SG_SG_EEES9_SI_JZNS1_25segmented_radix_sort_implINS0_14default_configELb0EPKbPbPKlPlN2at6native12_GLOBAL__N_18offset_tEEE10hipError_tPvRmT1_PNSt15iterator_traitsIS12_E10value_typeET2_T3_PNS13_IS18_E10value_typeET4_jRbjT5_S1E_jjP12ihipStream_tbEUljE_ZNSN_ISO_Lb0ESQ_SR_ST_SU_SY_EESZ_S10_S11_S12_S16_S17_S18_S1B_S1C_jS1D_jS1E_S1E_jjS1G_bEUljE0_EEESZ_S10_S11_S18_S1C_S1E_T6_T7_T9_mT8_S1G_bDpT10_ENKUlT_T0_E_clISt17integral_constantIbLb1EES1T_IbLb0EEEEDaS1P_S1Q_EUlS1P_E_NS1_11comp_targetILNS1_3genE2ELNS1_11target_archE906ELNS1_3gpuE6ELNS1_3repE0EEENS1_30default_config_static_selectorELNS0_4arch9wavefront6targetE1EEEvS12_.has_recursion, 0
	.set _ZN7rocprim17ROCPRIM_400000_NS6detail17trampoline_kernelINS0_13select_configILj256ELj13ELNS0_17block_load_methodE3ELS4_3ELS4_3ELNS0_20block_scan_algorithmE0ELj4294967295EEENS1_25partition_config_selectorILNS1_17partition_subalgoE4EjNS0_10empty_typeEbEEZZNS1_14partition_implILS8_4ELb0ES6_15HIP_vector_typeIjLj2EENS0_17counting_iteratorIjlEEPS9_SG_NS0_5tupleIJPjSI_NS0_16reverse_iteratorISI_EEEEENSH_IJSG_SG_SG_EEES9_SI_JZNS1_25segmented_radix_sort_implINS0_14default_configELb0EPKbPbPKlPlN2at6native12_GLOBAL__N_18offset_tEEE10hipError_tPvRmT1_PNSt15iterator_traitsIS12_E10value_typeET2_T3_PNS13_IS18_E10value_typeET4_jRbjT5_S1E_jjP12ihipStream_tbEUljE_ZNSN_ISO_Lb0ESQ_SR_ST_SU_SY_EESZ_S10_S11_S12_S16_S17_S18_S1B_S1C_jS1D_jS1E_S1E_jjS1G_bEUljE0_EEESZ_S10_S11_S18_S1C_S1E_T6_T7_T9_mT8_S1G_bDpT10_ENKUlT_T0_E_clISt17integral_constantIbLb1EES1T_IbLb0EEEEDaS1P_S1Q_EUlS1P_E_NS1_11comp_targetILNS1_3genE2ELNS1_11target_archE906ELNS1_3gpuE6ELNS1_3repE0EEENS1_30default_config_static_selectorELNS0_4arch9wavefront6targetE1EEEvS12_.has_indirect_call, 0
	.section	.AMDGPU.csdata,"",@progbits
; Kernel info:
; codeLenInByte = 4
; TotalNumSgprs: 4
; NumVgprs: 0
; ScratchSize: 0
; MemoryBound: 0
; FloatMode: 240
; IeeeMode: 1
; LDSByteSize: 0 bytes/workgroup (compile time only)
; SGPRBlocks: 0
; VGPRBlocks: 0
; NumSGPRsForWavesPerEU: 4
; NumVGPRsForWavesPerEU: 1
; Occupancy: 10
; WaveLimiterHint : 0
; COMPUTE_PGM_RSRC2:SCRATCH_EN: 0
; COMPUTE_PGM_RSRC2:USER_SGPR: 6
; COMPUTE_PGM_RSRC2:TRAP_HANDLER: 0
; COMPUTE_PGM_RSRC2:TGID_X_EN: 1
; COMPUTE_PGM_RSRC2:TGID_Y_EN: 0
; COMPUTE_PGM_RSRC2:TGID_Z_EN: 0
; COMPUTE_PGM_RSRC2:TIDIG_COMP_CNT: 0
	.section	.text._ZN7rocprim17ROCPRIM_400000_NS6detail17trampoline_kernelINS0_13select_configILj256ELj13ELNS0_17block_load_methodE3ELS4_3ELS4_3ELNS0_20block_scan_algorithmE0ELj4294967295EEENS1_25partition_config_selectorILNS1_17partition_subalgoE4EjNS0_10empty_typeEbEEZZNS1_14partition_implILS8_4ELb0ES6_15HIP_vector_typeIjLj2EENS0_17counting_iteratorIjlEEPS9_SG_NS0_5tupleIJPjSI_NS0_16reverse_iteratorISI_EEEEENSH_IJSG_SG_SG_EEES9_SI_JZNS1_25segmented_radix_sort_implINS0_14default_configELb0EPKbPbPKlPlN2at6native12_GLOBAL__N_18offset_tEEE10hipError_tPvRmT1_PNSt15iterator_traitsIS12_E10value_typeET2_T3_PNS13_IS18_E10value_typeET4_jRbjT5_S1E_jjP12ihipStream_tbEUljE_ZNSN_ISO_Lb0ESQ_SR_ST_SU_SY_EESZ_S10_S11_S12_S16_S17_S18_S1B_S1C_jS1D_jS1E_S1E_jjS1G_bEUljE0_EEESZ_S10_S11_S18_S1C_S1E_T6_T7_T9_mT8_S1G_bDpT10_ENKUlT_T0_E_clISt17integral_constantIbLb1EES1T_IbLb0EEEEDaS1P_S1Q_EUlS1P_E_NS1_11comp_targetILNS1_3genE10ELNS1_11target_archE1200ELNS1_3gpuE4ELNS1_3repE0EEENS1_30default_config_static_selectorELNS0_4arch9wavefront6targetE1EEEvS12_,"axG",@progbits,_ZN7rocprim17ROCPRIM_400000_NS6detail17trampoline_kernelINS0_13select_configILj256ELj13ELNS0_17block_load_methodE3ELS4_3ELS4_3ELNS0_20block_scan_algorithmE0ELj4294967295EEENS1_25partition_config_selectorILNS1_17partition_subalgoE4EjNS0_10empty_typeEbEEZZNS1_14partition_implILS8_4ELb0ES6_15HIP_vector_typeIjLj2EENS0_17counting_iteratorIjlEEPS9_SG_NS0_5tupleIJPjSI_NS0_16reverse_iteratorISI_EEEEENSH_IJSG_SG_SG_EEES9_SI_JZNS1_25segmented_radix_sort_implINS0_14default_configELb0EPKbPbPKlPlN2at6native12_GLOBAL__N_18offset_tEEE10hipError_tPvRmT1_PNSt15iterator_traitsIS12_E10value_typeET2_T3_PNS13_IS18_E10value_typeET4_jRbjT5_S1E_jjP12ihipStream_tbEUljE_ZNSN_ISO_Lb0ESQ_SR_ST_SU_SY_EESZ_S10_S11_S12_S16_S17_S18_S1B_S1C_jS1D_jS1E_S1E_jjS1G_bEUljE0_EEESZ_S10_S11_S18_S1C_S1E_T6_T7_T9_mT8_S1G_bDpT10_ENKUlT_T0_E_clISt17integral_constantIbLb1EES1T_IbLb0EEEEDaS1P_S1Q_EUlS1P_E_NS1_11comp_targetILNS1_3genE10ELNS1_11target_archE1200ELNS1_3gpuE4ELNS1_3repE0EEENS1_30default_config_static_selectorELNS0_4arch9wavefront6targetE1EEEvS12_,comdat
	.globl	_ZN7rocprim17ROCPRIM_400000_NS6detail17trampoline_kernelINS0_13select_configILj256ELj13ELNS0_17block_load_methodE3ELS4_3ELS4_3ELNS0_20block_scan_algorithmE0ELj4294967295EEENS1_25partition_config_selectorILNS1_17partition_subalgoE4EjNS0_10empty_typeEbEEZZNS1_14partition_implILS8_4ELb0ES6_15HIP_vector_typeIjLj2EENS0_17counting_iteratorIjlEEPS9_SG_NS0_5tupleIJPjSI_NS0_16reverse_iteratorISI_EEEEENSH_IJSG_SG_SG_EEES9_SI_JZNS1_25segmented_radix_sort_implINS0_14default_configELb0EPKbPbPKlPlN2at6native12_GLOBAL__N_18offset_tEEE10hipError_tPvRmT1_PNSt15iterator_traitsIS12_E10value_typeET2_T3_PNS13_IS18_E10value_typeET4_jRbjT5_S1E_jjP12ihipStream_tbEUljE_ZNSN_ISO_Lb0ESQ_SR_ST_SU_SY_EESZ_S10_S11_S12_S16_S17_S18_S1B_S1C_jS1D_jS1E_S1E_jjS1G_bEUljE0_EEESZ_S10_S11_S18_S1C_S1E_T6_T7_T9_mT8_S1G_bDpT10_ENKUlT_T0_E_clISt17integral_constantIbLb1EES1T_IbLb0EEEEDaS1P_S1Q_EUlS1P_E_NS1_11comp_targetILNS1_3genE10ELNS1_11target_archE1200ELNS1_3gpuE4ELNS1_3repE0EEENS1_30default_config_static_selectorELNS0_4arch9wavefront6targetE1EEEvS12_ ; -- Begin function _ZN7rocprim17ROCPRIM_400000_NS6detail17trampoline_kernelINS0_13select_configILj256ELj13ELNS0_17block_load_methodE3ELS4_3ELS4_3ELNS0_20block_scan_algorithmE0ELj4294967295EEENS1_25partition_config_selectorILNS1_17partition_subalgoE4EjNS0_10empty_typeEbEEZZNS1_14partition_implILS8_4ELb0ES6_15HIP_vector_typeIjLj2EENS0_17counting_iteratorIjlEEPS9_SG_NS0_5tupleIJPjSI_NS0_16reverse_iteratorISI_EEEEENSH_IJSG_SG_SG_EEES9_SI_JZNS1_25segmented_radix_sort_implINS0_14default_configELb0EPKbPbPKlPlN2at6native12_GLOBAL__N_18offset_tEEE10hipError_tPvRmT1_PNSt15iterator_traitsIS12_E10value_typeET2_T3_PNS13_IS18_E10value_typeET4_jRbjT5_S1E_jjP12ihipStream_tbEUljE_ZNSN_ISO_Lb0ESQ_SR_ST_SU_SY_EESZ_S10_S11_S12_S16_S17_S18_S1B_S1C_jS1D_jS1E_S1E_jjS1G_bEUljE0_EEESZ_S10_S11_S18_S1C_S1E_T6_T7_T9_mT8_S1G_bDpT10_ENKUlT_T0_E_clISt17integral_constantIbLb1EES1T_IbLb0EEEEDaS1P_S1Q_EUlS1P_E_NS1_11comp_targetILNS1_3genE10ELNS1_11target_archE1200ELNS1_3gpuE4ELNS1_3repE0EEENS1_30default_config_static_selectorELNS0_4arch9wavefront6targetE1EEEvS12_
	.p2align	8
	.type	_ZN7rocprim17ROCPRIM_400000_NS6detail17trampoline_kernelINS0_13select_configILj256ELj13ELNS0_17block_load_methodE3ELS4_3ELS4_3ELNS0_20block_scan_algorithmE0ELj4294967295EEENS1_25partition_config_selectorILNS1_17partition_subalgoE4EjNS0_10empty_typeEbEEZZNS1_14partition_implILS8_4ELb0ES6_15HIP_vector_typeIjLj2EENS0_17counting_iteratorIjlEEPS9_SG_NS0_5tupleIJPjSI_NS0_16reverse_iteratorISI_EEEEENSH_IJSG_SG_SG_EEES9_SI_JZNS1_25segmented_radix_sort_implINS0_14default_configELb0EPKbPbPKlPlN2at6native12_GLOBAL__N_18offset_tEEE10hipError_tPvRmT1_PNSt15iterator_traitsIS12_E10value_typeET2_T3_PNS13_IS18_E10value_typeET4_jRbjT5_S1E_jjP12ihipStream_tbEUljE_ZNSN_ISO_Lb0ESQ_SR_ST_SU_SY_EESZ_S10_S11_S12_S16_S17_S18_S1B_S1C_jS1D_jS1E_S1E_jjS1G_bEUljE0_EEESZ_S10_S11_S18_S1C_S1E_T6_T7_T9_mT8_S1G_bDpT10_ENKUlT_T0_E_clISt17integral_constantIbLb1EES1T_IbLb0EEEEDaS1P_S1Q_EUlS1P_E_NS1_11comp_targetILNS1_3genE10ELNS1_11target_archE1200ELNS1_3gpuE4ELNS1_3repE0EEENS1_30default_config_static_selectorELNS0_4arch9wavefront6targetE1EEEvS12_,@function
_ZN7rocprim17ROCPRIM_400000_NS6detail17trampoline_kernelINS0_13select_configILj256ELj13ELNS0_17block_load_methodE3ELS4_3ELS4_3ELNS0_20block_scan_algorithmE0ELj4294967295EEENS1_25partition_config_selectorILNS1_17partition_subalgoE4EjNS0_10empty_typeEbEEZZNS1_14partition_implILS8_4ELb0ES6_15HIP_vector_typeIjLj2EENS0_17counting_iteratorIjlEEPS9_SG_NS0_5tupleIJPjSI_NS0_16reverse_iteratorISI_EEEEENSH_IJSG_SG_SG_EEES9_SI_JZNS1_25segmented_radix_sort_implINS0_14default_configELb0EPKbPbPKlPlN2at6native12_GLOBAL__N_18offset_tEEE10hipError_tPvRmT1_PNSt15iterator_traitsIS12_E10value_typeET2_T3_PNS13_IS18_E10value_typeET4_jRbjT5_S1E_jjP12ihipStream_tbEUljE_ZNSN_ISO_Lb0ESQ_SR_ST_SU_SY_EESZ_S10_S11_S12_S16_S17_S18_S1B_S1C_jS1D_jS1E_S1E_jjS1G_bEUljE0_EEESZ_S10_S11_S18_S1C_S1E_T6_T7_T9_mT8_S1G_bDpT10_ENKUlT_T0_E_clISt17integral_constantIbLb1EES1T_IbLb0EEEEDaS1P_S1Q_EUlS1P_E_NS1_11comp_targetILNS1_3genE10ELNS1_11target_archE1200ELNS1_3gpuE4ELNS1_3repE0EEENS1_30default_config_static_selectorELNS0_4arch9wavefront6targetE1EEEvS12_: ; @_ZN7rocprim17ROCPRIM_400000_NS6detail17trampoline_kernelINS0_13select_configILj256ELj13ELNS0_17block_load_methodE3ELS4_3ELS4_3ELNS0_20block_scan_algorithmE0ELj4294967295EEENS1_25partition_config_selectorILNS1_17partition_subalgoE4EjNS0_10empty_typeEbEEZZNS1_14partition_implILS8_4ELb0ES6_15HIP_vector_typeIjLj2EENS0_17counting_iteratorIjlEEPS9_SG_NS0_5tupleIJPjSI_NS0_16reverse_iteratorISI_EEEEENSH_IJSG_SG_SG_EEES9_SI_JZNS1_25segmented_radix_sort_implINS0_14default_configELb0EPKbPbPKlPlN2at6native12_GLOBAL__N_18offset_tEEE10hipError_tPvRmT1_PNSt15iterator_traitsIS12_E10value_typeET2_T3_PNS13_IS18_E10value_typeET4_jRbjT5_S1E_jjP12ihipStream_tbEUljE_ZNSN_ISO_Lb0ESQ_SR_ST_SU_SY_EESZ_S10_S11_S12_S16_S17_S18_S1B_S1C_jS1D_jS1E_S1E_jjS1G_bEUljE0_EEESZ_S10_S11_S18_S1C_S1E_T6_T7_T9_mT8_S1G_bDpT10_ENKUlT_T0_E_clISt17integral_constantIbLb1EES1T_IbLb0EEEEDaS1P_S1Q_EUlS1P_E_NS1_11comp_targetILNS1_3genE10ELNS1_11target_archE1200ELNS1_3gpuE4ELNS1_3repE0EEENS1_30default_config_static_selectorELNS0_4arch9wavefront6targetE1EEEvS12_
; %bb.0:
	.section	.rodata,"a",@progbits
	.p2align	6, 0x0
	.amdhsa_kernel _ZN7rocprim17ROCPRIM_400000_NS6detail17trampoline_kernelINS0_13select_configILj256ELj13ELNS0_17block_load_methodE3ELS4_3ELS4_3ELNS0_20block_scan_algorithmE0ELj4294967295EEENS1_25partition_config_selectorILNS1_17partition_subalgoE4EjNS0_10empty_typeEbEEZZNS1_14partition_implILS8_4ELb0ES6_15HIP_vector_typeIjLj2EENS0_17counting_iteratorIjlEEPS9_SG_NS0_5tupleIJPjSI_NS0_16reverse_iteratorISI_EEEEENSH_IJSG_SG_SG_EEES9_SI_JZNS1_25segmented_radix_sort_implINS0_14default_configELb0EPKbPbPKlPlN2at6native12_GLOBAL__N_18offset_tEEE10hipError_tPvRmT1_PNSt15iterator_traitsIS12_E10value_typeET2_T3_PNS13_IS18_E10value_typeET4_jRbjT5_S1E_jjP12ihipStream_tbEUljE_ZNSN_ISO_Lb0ESQ_SR_ST_SU_SY_EESZ_S10_S11_S12_S16_S17_S18_S1B_S1C_jS1D_jS1E_S1E_jjS1G_bEUljE0_EEESZ_S10_S11_S18_S1C_S1E_T6_T7_T9_mT8_S1G_bDpT10_ENKUlT_T0_E_clISt17integral_constantIbLb1EES1T_IbLb0EEEEDaS1P_S1Q_EUlS1P_E_NS1_11comp_targetILNS1_3genE10ELNS1_11target_archE1200ELNS1_3gpuE4ELNS1_3repE0EEENS1_30default_config_static_selectorELNS0_4arch9wavefront6targetE1EEEvS12_
		.amdhsa_group_segment_fixed_size 0
		.amdhsa_private_segment_fixed_size 0
		.amdhsa_kernarg_size 176
		.amdhsa_user_sgpr_count 6
		.amdhsa_user_sgpr_private_segment_buffer 1
		.amdhsa_user_sgpr_dispatch_ptr 0
		.amdhsa_user_sgpr_queue_ptr 0
		.amdhsa_user_sgpr_kernarg_segment_ptr 1
		.amdhsa_user_sgpr_dispatch_id 0
		.amdhsa_user_sgpr_flat_scratch_init 0
		.amdhsa_user_sgpr_private_segment_size 0
		.amdhsa_uses_dynamic_stack 0
		.amdhsa_system_sgpr_private_segment_wavefront_offset 0
		.amdhsa_system_sgpr_workgroup_id_x 1
		.amdhsa_system_sgpr_workgroup_id_y 0
		.amdhsa_system_sgpr_workgroup_id_z 0
		.amdhsa_system_sgpr_workgroup_info 0
		.amdhsa_system_vgpr_workitem_id 0
		.amdhsa_next_free_vgpr 1
		.amdhsa_next_free_sgpr 0
		.amdhsa_reserve_vcc 0
		.amdhsa_reserve_flat_scratch 0
		.amdhsa_float_round_mode_32 0
		.amdhsa_float_round_mode_16_64 0
		.amdhsa_float_denorm_mode_32 3
		.amdhsa_float_denorm_mode_16_64 3
		.amdhsa_dx10_clamp 1
		.amdhsa_ieee_mode 1
		.amdhsa_fp16_overflow 0
		.amdhsa_exception_fp_ieee_invalid_op 0
		.amdhsa_exception_fp_denorm_src 0
		.amdhsa_exception_fp_ieee_div_zero 0
		.amdhsa_exception_fp_ieee_overflow 0
		.amdhsa_exception_fp_ieee_underflow 0
		.amdhsa_exception_fp_ieee_inexact 0
		.amdhsa_exception_int_div_zero 0
	.end_amdhsa_kernel
	.section	.text._ZN7rocprim17ROCPRIM_400000_NS6detail17trampoline_kernelINS0_13select_configILj256ELj13ELNS0_17block_load_methodE3ELS4_3ELS4_3ELNS0_20block_scan_algorithmE0ELj4294967295EEENS1_25partition_config_selectorILNS1_17partition_subalgoE4EjNS0_10empty_typeEbEEZZNS1_14partition_implILS8_4ELb0ES6_15HIP_vector_typeIjLj2EENS0_17counting_iteratorIjlEEPS9_SG_NS0_5tupleIJPjSI_NS0_16reverse_iteratorISI_EEEEENSH_IJSG_SG_SG_EEES9_SI_JZNS1_25segmented_radix_sort_implINS0_14default_configELb0EPKbPbPKlPlN2at6native12_GLOBAL__N_18offset_tEEE10hipError_tPvRmT1_PNSt15iterator_traitsIS12_E10value_typeET2_T3_PNS13_IS18_E10value_typeET4_jRbjT5_S1E_jjP12ihipStream_tbEUljE_ZNSN_ISO_Lb0ESQ_SR_ST_SU_SY_EESZ_S10_S11_S12_S16_S17_S18_S1B_S1C_jS1D_jS1E_S1E_jjS1G_bEUljE0_EEESZ_S10_S11_S18_S1C_S1E_T6_T7_T9_mT8_S1G_bDpT10_ENKUlT_T0_E_clISt17integral_constantIbLb1EES1T_IbLb0EEEEDaS1P_S1Q_EUlS1P_E_NS1_11comp_targetILNS1_3genE10ELNS1_11target_archE1200ELNS1_3gpuE4ELNS1_3repE0EEENS1_30default_config_static_selectorELNS0_4arch9wavefront6targetE1EEEvS12_,"axG",@progbits,_ZN7rocprim17ROCPRIM_400000_NS6detail17trampoline_kernelINS0_13select_configILj256ELj13ELNS0_17block_load_methodE3ELS4_3ELS4_3ELNS0_20block_scan_algorithmE0ELj4294967295EEENS1_25partition_config_selectorILNS1_17partition_subalgoE4EjNS0_10empty_typeEbEEZZNS1_14partition_implILS8_4ELb0ES6_15HIP_vector_typeIjLj2EENS0_17counting_iteratorIjlEEPS9_SG_NS0_5tupleIJPjSI_NS0_16reverse_iteratorISI_EEEEENSH_IJSG_SG_SG_EEES9_SI_JZNS1_25segmented_radix_sort_implINS0_14default_configELb0EPKbPbPKlPlN2at6native12_GLOBAL__N_18offset_tEEE10hipError_tPvRmT1_PNSt15iterator_traitsIS12_E10value_typeET2_T3_PNS13_IS18_E10value_typeET4_jRbjT5_S1E_jjP12ihipStream_tbEUljE_ZNSN_ISO_Lb0ESQ_SR_ST_SU_SY_EESZ_S10_S11_S12_S16_S17_S18_S1B_S1C_jS1D_jS1E_S1E_jjS1G_bEUljE0_EEESZ_S10_S11_S18_S1C_S1E_T6_T7_T9_mT8_S1G_bDpT10_ENKUlT_T0_E_clISt17integral_constantIbLb1EES1T_IbLb0EEEEDaS1P_S1Q_EUlS1P_E_NS1_11comp_targetILNS1_3genE10ELNS1_11target_archE1200ELNS1_3gpuE4ELNS1_3repE0EEENS1_30default_config_static_selectorELNS0_4arch9wavefront6targetE1EEEvS12_,comdat
.Lfunc_end1592:
	.size	_ZN7rocprim17ROCPRIM_400000_NS6detail17trampoline_kernelINS0_13select_configILj256ELj13ELNS0_17block_load_methodE3ELS4_3ELS4_3ELNS0_20block_scan_algorithmE0ELj4294967295EEENS1_25partition_config_selectorILNS1_17partition_subalgoE4EjNS0_10empty_typeEbEEZZNS1_14partition_implILS8_4ELb0ES6_15HIP_vector_typeIjLj2EENS0_17counting_iteratorIjlEEPS9_SG_NS0_5tupleIJPjSI_NS0_16reverse_iteratorISI_EEEEENSH_IJSG_SG_SG_EEES9_SI_JZNS1_25segmented_radix_sort_implINS0_14default_configELb0EPKbPbPKlPlN2at6native12_GLOBAL__N_18offset_tEEE10hipError_tPvRmT1_PNSt15iterator_traitsIS12_E10value_typeET2_T3_PNS13_IS18_E10value_typeET4_jRbjT5_S1E_jjP12ihipStream_tbEUljE_ZNSN_ISO_Lb0ESQ_SR_ST_SU_SY_EESZ_S10_S11_S12_S16_S17_S18_S1B_S1C_jS1D_jS1E_S1E_jjS1G_bEUljE0_EEESZ_S10_S11_S18_S1C_S1E_T6_T7_T9_mT8_S1G_bDpT10_ENKUlT_T0_E_clISt17integral_constantIbLb1EES1T_IbLb0EEEEDaS1P_S1Q_EUlS1P_E_NS1_11comp_targetILNS1_3genE10ELNS1_11target_archE1200ELNS1_3gpuE4ELNS1_3repE0EEENS1_30default_config_static_selectorELNS0_4arch9wavefront6targetE1EEEvS12_, .Lfunc_end1592-_ZN7rocprim17ROCPRIM_400000_NS6detail17trampoline_kernelINS0_13select_configILj256ELj13ELNS0_17block_load_methodE3ELS4_3ELS4_3ELNS0_20block_scan_algorithmE0ELj4294967295EEENS1_25partition_config_selectorILNS1_17partition_subalgoE4EjNS0_10empty_typeEbEEZZNS1_14partition_implILS8_4ELb0ES6_15HIP_vector_typeIjLj2EENS0_17counting_iteratorIjlEEPS9_SG_NS0_5tupleIJPjSI_NS0_16reverse_iteratorISI_EEEEENSH_IJSG_SG_SG_EEES9_SI_JZNS1_25segmented_radix_sort_implINS0_14default_configELb0EPKbPbPKlPlN2at6native12_GLOBAL__N_18offset_tEEE10hipError_tPvRmT1_PNSt15iterator_traitsIS12_E10value_typeET2_T3_PNS13_IS18_E10value_typeET4_jRbjT5_S1E_jjP12ihipStream_tbEUljE_ZNSN_ISO_Lb0ESQ_SR_ST_SU_SY_EESZ_S10_S11_S12_S16_S17_S18_S1B_S1C_jS1D_jS1E_S1E_jjS1G_bEUljE0_EEESZ_S10_S11_S18_S1C_S1E_T6_T7_T9_mT8_S1G_bDpT10_ENKUlT_T0_E_clISt17integral_constantIbLb1EES1T_IbLb0EEEEDaS1P_S1Q_EUlS1P_E_NS1_11comp_targetILNS1_3genE10ELNS1_11target_archE1200ELNS1_3gpuE4ELNS1_3repE0EEENS1_30default_config_static_selectorELNS0_4arch9wavefront6targetE1EEEvS12_
                                        ; -- End function
	.set _ZN7rocprim17ROCPRIM_400000_NS6detail17trampoline_kernelINS0_13select_configILj256ELj13ELNS0_17block_load_methodE3ELS4_3ELS4_3ELNS0_20block_scan_algorithmE0ELj4294967295EEENS1_25partition_config_selectorILNS1_17partition_subalgoE4EjNS0_10empty_typeEbEEZZNS1_14partition_implILS8_4ELb0ES6_15HIP_vector_typeIjLj2EENS0_17counting_iteratorIjlEEPS9_SG_NS0_5tupleIJPjSI_NS0_16reverse_iteratorISI_EEEEENSH_IJSG_SG_SG_EEES9_SI_JZNS1_25segmented_radix_sort_implINS0_14default_configELb0EPKbPbPKlPlN2at6native12_GLOBAL__N_18offset_tEEE10hipError_tPvRmT1_PNSt15iterator_traitsIS12_E10value_typeET2_T3_PNS13_IS18_E10value_typeET4_jRbjT5_S1E_jjP12ihipStream_tbEUljE_ZNSN_ISO_Lb0ESQ_SR_ST_SU_SY_EESZ_S10_S11_S12_S16_S17_S18_S1B_S1C_jS1D_jS1E_S1E_jjS1G_bEUljE0_EEESZ_S10_S11_S18_S1C_S1E_T6_T7_T9_mT8_S1G_bDpT10_ENKUlT_T0_E_clISt17integral_constantIbLb1EES1T_IbLb0EEEEDaS1P_S1Q_EUlS1P_E_NS1_11comp_targetILNS1_3genE10ELNS1_11target_archE1200ELNS1_3gpuE4ELNS1_3repE0EEENS1_30default_config_static_selectorELNS0_4arch9wavefront6targetE1EEEvS12_.num_vgpr, 0
	.set _ZN7rocprim17ROCPRIM_400000_NS6detail17trampoline_kernelINS0_13select_configILj256ELj13ELNS0_17block_load_methodE3ELS4_3ELS4_3ELNS0_20block_scan_algorithmE0ELj4294967295EEENS1_25partition_config_selectorILNS1_17partition_subalgoE4EjNS0_10empty_typeEbEEZZNS1_14partition_implILS8_4ELb0ES6_15HIP_vector_typeIjLj2EENS0_17counting_iteratorIjlEEPS9_SG_NS0_5tupleIJPjSI_NS0_16reverse_iteratorISI_EEEEENSH_IJSG_SG_SG_EEES9_SI_JZNS1_25segmented_radix_sort_implINS0_14default_configELb0EPKbPbPKlPlN2at6native12_GLOBAL__N_18offset_tEEE10hipError_tPvRmT1_PNSt15iterator_traitsIS12_E10value_typeET2_T3_PNS13_IS18_E10value_typeET4_jRbjT5_S1E_jjP12ihipStream_tbEUljE_ZNSN_ISO_Lb0ESQ_SR_ST_SU_SY_EESZ_S10_S11_S12_S16_S17_S18_S1B_S1C_jS1D_jS1E_S1E_jjS1G_bEUljE0_EEESZ_S10_S11_S18_S1C_S1E_T6_T7_T9_mT8_S1G_bDpT10_ENKUlT_T0_E_clISt17integral_constantIbLb1EES1T_IbLb0EEEEDaS1P_S1Q_EUlS1P_E_NS1_11comp_targetILNS1_3genE10ELNS1_11target_archE1200ELNS1_3gpuE4ELNS1_3repE0EEENS1_30default_config_static_selectorELNS0_4arch9wavefront6targetE1EEEvS12_.num_agpr, 0
	.set _ZN7rocprim17ROCPRIM_400000_NS6detail17trampoline_kernelINS0_13select_configILj256ELj13ELNS0_17block_load_methodE3ELS4_3ELS4_3ELNS0_20block_scan_algorithmE0ELj4294967295EEENS1_25partition_config_selectorILNS1_17partition_subalgoE4EjNS0_10empty_typeEbEEZZNS1_14partition_implILS8_4ELb0ES6_15HIP_vector_typeIjLj2EENS0_17counting_iteratorIjlEEPS9_SG_NS0_5tupleIJPjSI_NS0_16reverse_iteratorISI_EEEEENSH_IJSG_SG_SG_EEES9_SI_JZNS1_25segmented_radix_sort_implINS0_14default_configELb0EPKbPbPKlPlN2at6native12_GLOBAL__N_18offset_tEEE10hipError_tPvRmT1_PNSt15iterator_traitsIS12_E10value_typeET2_T3_PNS13_IS18_E10value_typeET4_jRbjT5_S1E_jjP12ihipStream_tbEUljE_ZNSN_ISO_Lb0ESQ_SR_ST_SU_SY_EESZ_S10_S11_S12_S16_S17_S18_S1B_S1C_jS1D_jS1E_S1E_jjS1G_bEUljE0_EEESZ_S10_S11_S18_S1C_S1E_T6_T7_T9_mT8_S1G_bDpT10_ENKUlT_T0_E_clISt17integral_constantIbLb1EES1T_IbLb0EEEEDaS1P_S1Q_EUlS1P_E_NS1_11comp_targetILNS1_3genE10ELNS1_11target_archE1200ELNS1_3gpuE4ELNS1_3repE0EEENS1_30default_config_static_selectorELNS0_4arch9wavefront6targetE1EEEvS12_.numbered_sgpr, 0
	.set _ZN7rocprim17ROCPRIM_400000_NS6detail17trampoline_kernelINS0_13select_configILj256ELj13ELNS0_17block_load_methodE3ELS4_3ELS4_3ELNS0_20block_scan_algorithmE0ELj4294967295EEENS1_25partition_config_selectorILNS1_17partition_subalgoE4EjNS0_10empty_typeEbEEZZNS1_14partition_implILS8_4ELb0ES6_15HIP_vector_typeIjLj2EENS0_17counting_iteratorIjlEEPS9_SG_NS0_5tupleIJPjSI_NS0_16reverse_iteratorISI_EEEEENSH_IJSG_SG_SG_EEES9_SI_JZNS1_25segmented_radix_sort_implINS0_14default_configELb0EPKbPbPKlPlN2at6native12_GLOBAL__N_18offset_tEEE10hipError_tPvRmT1_PNSt15iterator_traitsIS12_E10value_typeET2_T3_PNS13_IS18_E10value_typeET4_jRbjT5_S1E_jjP12ihipStream_tbEUljE_ZNSN_ISO_Lb0ESQ_SR_ST_SU_SY_EESZ_S10_S11_S12_S16_S17_S18_S1B_S1C_jS1D_jS1E_S1E_jjS1G_bEUljE0_EEESZ_S10_S11_S18_S1C_S1E_T6_T7_T9_mT8_S1G_bDpT10_ENKUlT_T0_E_clISt17integral_constantIbLb1EES1T_IbLb0EEEEDaS1P_S1Q_EUlS1P_E_NS1_11comp_targetILNS1_3genE10ELNS1_11target_archE1200ELNS1_3gpuE4ELNS1_3repE0EEENS1_30default_config_static_selectorELNS0_4arch9wavefront6targetE1EEEvS12_.num_named_barrier, 0
	.set _ZN7rocprim17ROCPRIM_400000_NS6detail17trampoline_kernelINS0_13select_configILj256ELj13ELNS0_17block_load_methodE3ELS4_3ELS4_3ELNS0_20block_scan_algorithmE0ELj4294967295EEENS1_25partition_config_selectorILNS1_17partition_subalgoE4EjNS0_10empty_typeEbEEZZNS1_14partition_implILS8_4ELb0ES6_15HIP_vector_typeIjLj2EENS0_17counting_iteratorIjlEEPS9_SG_NS0_5tupleIJPjSI_NS0_16reverse_iteratorISI_EEEEENSH_IJSG_SG_SG_EEES9_SI_JZNS1_25segmented_radix_sort_implINS0_14default_configELb0EPKbPbPKlPlN2at6native12_GLOBAL__N_18offset_tEEE10hipError_tPvRmT1_PNSt15iterator_traitsIS12_E10value_typeET2_T3_PNS13_IS18_E10value_typeET4_jRbjT5_S1E_jjP12ihipStream_tbEUljE_ZNSN_ISO_Lb0ESQ_SR_ST_SU_SY_EESZ_S10_S11_S12_S16_S17_S18_S1B_S1C_jS1D_jS1E_S1E_jjS1G_bEUljE0_EEESZ_S10_S11_S18_S1C_S1E_T6_T7_T9_mT8_S1G_bDpT10_ENKUlT_T0_E_clISt17integral_constantIbLb1EES1T_IbLb0EEEEDaS1P_S1Q_EUlS1P_E_NS1_11comp_targetILNS1_3genE10ELNS1_11target_archE1200ELNS1_3gpuE4ELNS1_3repE0EEENS1_30default_config_static_selectorELNS0_4arch9wavefront6targetE1EEEvS12_.private_seg_size, 0
	.set _ZN7rocprim17ROCPRIM_400000_NS6detail17trampoline_kernelINS0_13select_configILj256ELj13ELNS0_17block_load_methodE3ELS4_3ELS4_3ELNS0_20block_scan_algorithmE0ELj4294967295EEENS1_25partition_config_selectorILNS1_17partition_subalgoE4EjNS0_10empty_typeEbEEZZNS1_14partition_implILS8_4ELb0ES6_15HIP_vector_typeIjLj2EENS0_17counting_iteratorIjlEEPS9_SG_NS0_5tupleIJPjSI_NS0_16reverse_iteratorISI_EEEEENSH_IJSG_SG_SG_EEES9_SI_JZNS1_25segmented_radix_sort_implINS0_14default_configELb0EPKbPbPKlPlN2at6native12_GLOBAL__N_18offset_tEEE10hipError_tPvRmT1_PNSt15iterator_traitsIS12_E10value_typeET2_T3_PNS13_IS18_E10value_typeET4_jRbjT5_S1E_jjP12ihipStream_tbEUljE_ZNSN_ISO_Lb0ESQ_SR_ST_SU_SY_EESZ_S10_S11_S12_S16_S17_S18_S1B_S1C_jS1D_jS1E_S1E_jjS1G_bEUljE0_EEESZ_S10_S11_S18_S1C_S1E_T6_T7_T9_mT8_S1G_bDpT10_ENKUlT_T0_E_clISt17integral_constantIbLb1EES1T_IbLb0EEEEDaS1P_S1Q_EUlS1P_E_NS1_11comp_targetILNS1_3genE10ELNS1_11target_archE1200ELNS1_3gpuE4ELNS1_3repE0EEENS1_30default_config_static_selectorELNS0_4arch9wavefront6targetE1EEEvS12_.uses_vcc, 0
	.set _ZN7rocprim17ROCPRIM_400000_NS6detail17trampoline_kernelINS0_13select_configILj256ELj13ELNS0_17block_load_methodE3ELS4_3ELS4_3ELNS0_20block_scan_algorithmE0ELj4294967295EEENS1_25partition_config_selectorILNS1_17partition_subalgoE4EjNS0_10empty_typeEbEEZZNS1_14partition_implILS8_4ELb0ES6_15HIP_vector_typeIjLj2EENS0_17counting_iteratorIjlEEPS9_SG_NS0_5tupleIJPjSI_NS0_16reverse_iteratorISI_EEEEENSH_IJSG_SG_SG_EEES9_SI_JZNS1_25segmented_radix_sort_implINS0_14default_configELb0EPKbPbPKlPlN2at6native12_GLOBAL__N_18offset_tEEE10hipError_tPvRmT1_PNSt15iterator_traitsIS12_E10value_typeET2_T3_PNS13_IS18_E10value_typeET4_jRbjT5_S1E_jjP12ihipStream_tbEUljE_ZNSN_ISO_Lb0ESQ_SR_ST_SU_SY_EESZ_S10_S11_S12_S16_S17_S18_S1B_S1C_jS1D_jS1E_S1E_jjS1G_bEUljE0_EEESZ_S10_S11_S18_S1C_S1E_T6_T7_T9_mT8_S1G_bDpT10_ENKUlT_T0_E_clISt17integral_constantIbLb1EES1T_IbLb0EEEEDaS1P_S1Q_EUlS1P_E_NS1_11comp_targetILNS1_3genE10ELNS1_11target_archE1200ELNS1_3gpuE4ELNS1_3repE0EEENS1_30default_config_static_selectorELNS0_4arch9wavefront6targetE1EEEvS12_.uses_flat_scratch, 0
	.set _ZN7rocprim17ROCPRIM_400000_NS6detail17trampoline_kernelINS0_13select_configILj256ELj13ELNS0_17block_load_methodE3ELS4_3ELS4_3ELNS0_20block_scan_algorithmE0ELj4294967295EEENS1_25partition_config_selectorILNS1_17partition_subalgoE4EjNS0_10empty_typeEbEEZZNS1_14partition_implILS8_4ELb0ES6_15HIP_vector_typeIjLj2EENS0_17counting_iteratorIjlEEPS9_SG_NS0_5tupleIJPjSI_NS0_16reverse_iteratorISI_EEEEENSH_IJSG_SG_SG_EEES9_SI_JZNS1_25segmented_radix_sort_implINS0_14default_configELb0EPKbPbPKlPlN2at6native12_GLOBAL__N_18offset_tEEE10hipError_tPvRmT1_PNSt15iterator_traitsIS12_E10value_typeET2_T3_PNS13_IS18_E10value_typeET4_jRbjT5_S1E_jjP12ihipStream_tbEUljE_ZNSN_ISO_Lb0ESQ_SR_ST_SU_SY_EESZ_S10_S11_S12_S16_S17_S18_S1B_S1C_jS1D_jS1E_S1E_jjS1G_bEUljE0_EEESZ_S10_S11_S18_S1C_S1E_T6_T7_T9_mT8_S1G_bDpT10_ENKUlT_T0_E_clISt17integral_constantIbLb1EES1T_IbLb0EEEEDaS1P_S1Q_EUlS1P_E_NS1_11comp_targetILNS1_3genE10ELNS1_11target_archE1200ELNS1_3gpuE4ELNS1_3repE0EEENS1_30default_config_static_selectorELNS0_4arch9wavefront6targetE1EEEvS12_.has_dyn_sized_stack, 0
	.set _ZN7rocprim17ROCPRIM_400000_NS6detail17trampoline_kernelINS0_13select_configILj256ELj13ELNS0_17block_load_methodE3ELS4_3ELS4_3ELNS0_20block_scan_algorithmE0ELj4294967295EEENS1_25partition_config_selectorILNS1_17partition_subalgoE4EjNS0_10empty_typeEbEEZZNS1_14partition_implILS8_4ELb0ES6_15HIP_vector_typeIjLj2EENS0_17counting_iteratorIjlEEPS9_SG_NS0_5tupleIJPjSI_NS0_16reverse_iteratorISI_EEEEENSH_IJSG_SG_SG_EEES9_SI_JZNS1_25segmented_radix_sort_implINS0_14default_configELb0EPKbPbPKlPlN2at6native12_GLOBAL__N_18offset_tEEE10hipError_tPvRmT1_PNSt15iterator_traitsIS12_E10value_typeET2_T3_PNS13_IS18_E10value_typeET4_jRbjT5_S1E_jjP12ihipStream_tbEUljE_ZNSN_ISO_Lb0ESQ_SR_ST_SU_SY_EESZ_S10_S11_S12_S16_S17_S18_S1B_S1C_jS1D_jS1E_S1E_jjS1G_bEUljE0_EEESZ_S10_S11_S18_S1C_S1E_T6_T7_T9_mT8_S1G_bDpT10_ENKUlT_T0_E_clISt17integral_constantIbLb1EES1T_IbLb0EEEEDaS1P_S1Q_EUlS1P_E_NS1_11comp_targetILNS1_3genE10ELNS1_11target_archE1200ELNS1_3gpuE4ELNS1_3repE0EEENS1_30default_config_static_selectorELNS0_4arch9wavefront6targetE1EEEvS12_.has_recursion, 0
	.set _ZN7rocprim17ROCPRIM_400000_NS6detail17trampoline_kernelINS0_13select_configILj256ELj13ELNS0_17block_load_methodE3ELS4_3ELS4_3ELNS0_20block_scan_algorithmE0ELj4294967295EEENS1_25partition_config_selectorILNS1_17partition_subalgoE4EjNS0_10empty_typeEbEEZZNS1_14partition_implILS8_4ELb0ES6_15HIP_vector_typeIjLj2EENS0_17counting_iteratorIjlEEPS9_SG_NS0_5tupleIJPjSI_NS0_16reverse_iteratorISI_EEEEENSH_IJSG_SG_SG_EEES9_SI_JZNS1_25segmented_radix_sort_implINS0_14default_configELb0EPKbPbPKlPlN2at6native12_GLOBAL__N_18offset_tEEE10hipError_tPvRmT1_PNSt15iterator_traitsIS12_E10value_typeET2_T3_PNS13_IS18_E10value_typeET4_jRbjT5_S1E_jjP12ihipStream_tbEUljE_ZNSN_ISO_Lb0ESQ_SR_ST_SU_SY_EESZ_S10_S11_S12_S16_S17_S18_S1B_S1C_jS1D_jS1E_S1E_jjS1G_bEUljE0_EEESZ_S10_S11_S18_S1C_S1E_T6_T7_T9_mT8_S1G_bDpT10_ENKUlT_T0_E_clISt17integral_constantIbLb1EES1T_IbLb0EEEEDaS1P_S1Q_EUlS1P_E_NS1_11comp_targetILNS1_3genE10ELNS1_11target_archE1200ELNS1_3gpuE4ELNS1_3repE0EEENS1_30default_config_static_selectorELNS0_4arch9wavefront6targetE1EEEvS12_.has_indirect_call, 0
	.section	.AMDGPU.csdata,"",@progbits
; Kernel info:
; codeLenInByte = 0
; TotalNumSgprs: 4
; NumVgprs: 0
; ScratchSize: 0
; MemoryBound: 0
; FloatMode: 240
; IeeeMode: 1
; LDSByteSize: 0 bytes/workgroup (compile time only)
; SGPRBlocks: 0
; VGPRBlocks: 0
; NumSGPRsForWavesPerEU: 4
; NumVGPRsForWavesPerEU: 1
; Occupancy: 10
; WaveLimiterHint : 0
; COMPUTE_PGM_RSRC2:SCRATCH_EN: 0
; COMPUTE_PGM_RSRC2:USER_SGPR: 6
; COMPUTE_PGM_RSRC2:TRAP_HANDLER: 0
; COMPUTE_PGM_RSRC2:TGID_X_EN: 1
; COMPUTE_PGM_RSRC2:TGID_Y_EN: 0
; COMPUTE_PGM_RSRC2:TGID_Z_EN: 0
; COMPUTE_PGM_RSRC2:TIDIG_COMP_CNT: 0
	.section	.text._ZN7rocprim17ROCPRIM_400000_NS6detail17trampoline_kernelINS0_13select_configILj256ELj13ELNS0_17block_load_methodE3ELS4_3ELS4_3ELNS0_20block_scan_algorithmE0ELj4294967295EEENS1_25partition_config_selectorILNS1_17partition_subalgoE4EjNS0_10empty_typeEbEEZZNS1_14partition_implILS8_4ELb0ES6_15HIP_vector_typeIjLj2EENS0_17counting_iteratorIjlEEPS9_SG_NS0_5tupleIJPjSI_NS0_16reverse_iteratorISI_EEEEENSH_IJSG_SG_SG_EEES9_SI_JZNS1_25segmented_radix_sort_implINS0_14default_configELb0EPKbPbPKlPlN2at6native12_GLOBAL__N_18offset_tEEE10hipError_tPvRmT1_PNSt15iterator_traitsIS12_E10value_typeET2_T3_PNS13_IS18_E10value_typeET4_jRbjT5_S1E_jjP12ihipStream_tbEUljE_ZNSN_ISO_Lb0ESQ_SR_ST_SU_SY_EESZ_S10_S11_S12_S16_S17_S18_S1B_S1C_jS1D_jS1E_S1E_jjS1G_bEUljE0_EEESZ_S10_S11_S18_S1C_S1E_T6_T7_T9_mT8_S1G_bDpT10_ENKUlT_T0_E_clISt17integral_constantIbLb1EES1T_IbLb0EEEEDaS1P_S1Q_EUlS1P_E_NS1_11comp_targetILNS1_3genE9ELNS1_11target_archE1100ELNS1_3gpuE3ELNS1_3repE0EEENS1_30default_config_static_selectorELNS0_4arch9wavefront6targetE1EEEvS12_,"axG",@progbits,_ZN7rocprim17ROCPRIM_400000_NS6detail17trampoline_kernelINS0_13select_configILj256ELj13ELNS0_17block_load_methodE3ELS4_3ELS4_3ELNS0_20block_scan_algorithmE0ELj4294967295EEENS1_25partition_config_selectorILNS1_17partition_subalgoE4EjNS0_10empty_typeEbEEZZNS1_14partition_implILS8_4ELb0ES6_15HIP_vector_typeIjLj2EENS0_17counting_iteratorIjlEEPS9_SG_NS0_5tupleIJPjSI_NS0_16reverse_iteratorISI_EEEEENSH_IJSG_SG_SG_EEES9_SI_JZNS1_25segmented_radix_sort_implINS0_14default_configELb0EPKbPbPKlPlN2at6native12_GLOBAL__N_18offset_tEEE10hipError_tPvRmT1_PNSt15iterator_traitsIS12_E10value_typeET2_T3_PNS13_IS18_E10value_typeET4_jRbjT5_S1E_jjP12ihipStream_tbEUljE_ZNSN_ISO_Lb0ESQ_SR_ST_SU_SY_EESZ_S10_S11_S12_S16_S17_S18_S1B_S1C_jS1D_jS1E_S1E_jjS1G_bEUljE0_EEESZ_S10_S11_S18_S1C_S1E_T6_T7_T9_mT8_S1G_bDpT10_ENKUlT_T0_E_clISt17integral_constantIbLb1EES1T_IbLb0EEEEDaS1P_S1Q_EUlS1P_E_NS1_11comp_targetILNS1_3genE9ELNS1_11target_archE1100ELNS1_3gpuE3ELNS1_3repE0EEENS1_30default_config_static_selectorELNS0_4arch9wavefront6targetE1EEEvS12_,comdat
	.globl	_ZN7rocprim17ROCPRIM_400000_NS6detail17trampoline_kernelINS0_13select_configILj256ELj13ELNS0_17block_load_methodE3ELS4_3ELS4_3ELNS0_20block_scan_algorithmE0ELj4294967295EEENS1_25partition_config_selectorILNS1_17partition_subalgoE4EjNS0_10empty_typeEbEEZZNS1_14partition_implILS8_4ELb0ES6_15HIP_vector_typeIjLj2EENS0_17counting_iteratorIjlEEPS9_SG_NS0_5tupleIJPjSI_NS0_16reverse_iteratorISI_EEEEENSH_IJSG_SG_SG_EEES9_SI_JZNS1_25segmented_radix_sort_implINS0_14default_configELb0EPKbPbPKlPlN2at6native12_GLOBAL__N_18offset_tEEE10hipError_tPvRmT1_PNSt15iterator_traitsIS12_E10value_typeET2_T3_PNS13_IS18_E10value_typeET4_jRbjT5_S1E_jjP12ihipStream_tbEUljE_ZNSN_ISO_Lb0ESQ_SR_ST_SU_SY_EESZ_S10_S11_S12_S16_S17_S18_S1B_S1C_jS1D_jS1E_S1E_jjS1G_bEUljE0_EEESZ_S10_S11_S18_S1C_S1E_T6_T7_T9_mT8_S1G_bDpT10_ENKUlT_T0_E_clISt17integral_constantIbLb1EES1T_IbLb0EEEEDaS1P_S1Q_EUlS1P_E_NS1_11comp_targetILNS1_3genE9ELNS1_11target_archE1100ELNS1_3gpuE3ELNS1_3repE0EEENS1_30default_config_static_selectorELNS0_4arch9wavefront6targetE1EEEvS12_ ; -- Begin function _ZN7rocprim17ROCPRIM_400000_NS6detail17trampoline_kernelINS0_13select_configILj256ELj13ELNS0_17block_load_methodE3ELS4_3ELS4_3ELNS0_20block_scan_algorithmE0ELj4294967295EEENS1_25partition_config_selectorILNS1_17partition_subalgoE4EjNS0_10empty_typeEbEEZZNS1_14partition_implILS8_4ELb0ES6_15HIP_vector_typeIjLj2EENS0_17counting_iteratorIjlEEPS9_SG_NS0_5tupleIJPjSI_NS0_16reverse_iteratorISI_EEEEENSH_IJSG_SG_SG_EEES9_SI_JZNS1_25segmented_radix_sort_implINS0_14default_configELb0EPKbPbPKlPlN2at6native12_GLOBAL__N_18offset_tEEE10hipError_tPvRmT1_PNSt15iterator_traitsIS12_E10value_typeET2_T3_PNS13_IS18_E10value_typeET4_jRbjT5_S1E_jjP12ihipStream_tbEUljE_ZNSN_ISO_Lb0ESQ_SR_ST_SU_SY_EESZ_S10_S11_S12_S16_S17_S18_S1B_S1C_jS1D_jS1E_S1E_jjS1G_bEUljE0_EEESZ_S10_S11_S18_S1C_S1E_T6_T7_T9_mT8_S1G_bDpT10_ENKUlT_T0_E_clISt17integral_constantIbLb1EES1T_IbLb0EEEEDaS1P_S1Q_EUlS1P_E_NS1_11comp_targetILNS1_3genE9ELNS1_11target_archE1100ELNS1_3gpuE3ELNS1_3repE0EEENS1_30default_config_static_selectorELNS0_4arch9wavefront6targetE1EEEvS12_
	.p2align	8
	.type	_ZN7rocprim17ROCPRIM_400000_NS6detail17trampoline_kernelINS0_13select_configILj256ELj13ELNS0_17block_load_methodE3ELS4_3ELS4_3ELNS0_20block_scan_algorithmE0ELj4294967295EEENS1_25partition_config_selectorILNS1_17partition_subalgoE4EjNS0_10empty_typeEbEEZZNS1_14partition_implILS8_4ELb0ES6_15HIP_vector_typeIjLj2EENS0_17counting_iteratorIjlEEPS9_SG_NS0_5tupleIJPjSI_NS0_16reverse_iteratorISI_EEEEENSH_IJSG_SG_SG_EEES9_SI_JZNS1_25segmented_radix_sort_implINS0_14default_configELb0EPKbPbPKlPlN2at6native12_GLOBAL__N_18offset_tEEE10hipError_tPvRmT1_PNSt15iterator_traitsIS12_E10value_typeET2_T3_PNS13_IS18_E10value_typeET4_jRbjT5_S1E_jjP12ihipStream_tbEUljE_ZNSN_ISO_Lb0ESQ_SR_ST_SU_SY_EESZ_S10_S11_S12_S16_S17_S18_S1B_S1C_jS1D_jS1E_S1E_jjS1G_bEUljE0_EEESZ_S10_S11_S18_S1C_S1E_T6_T7_T9_mT8_S1G_bDpT10_ENKUlT_T0_E_clISt17integral_constantIbLb1EES1T_IbLb0EEEEDaS1P_S1Q_EUlS1P_E_NS1_11comp_targetILNS1_3genE9ELNS1_11target_archE1100ELNS1_3gpuE3ELNS1_3repE0EEENS1_30default_config_static_selectorELNS0_4arch9wavefront6targetE1EEEvS12_,@function
_ZN7rocprim17ROCPRIM_400000_NS6detail17trampoline_kernelINS0_13select_configILj256ELj13ELNS0_17block_load_methodE3ELS4_3ELS4_3ELNS0_20block_scan_algorithmE0ELj4294967295EEENS1_25partition_config_selectorILNS1_17partition_subalgoE4EjNS0_10empty_typeEbEEZZNS1_14partition_implILS8_4ELb0ES6_15HIP_vector_typeIjLj2EENS0_17counting_iteratorIjlEEPS9_SG_NS0_5tupleIJPjSI_NS0_16reverse_iteratorISI_EEEEENSH_IJSG_SG_SG_EEES9_SI_JZNS1_25segmented_radix_sort_implINS0_14default_configELb0EPKbPbPKlPlN2at6native12_GLOBAL__N_18offset_tEEE10hipError_tPvRmT1_PNSt15iterator_traitsIS12_E10value_typeET2_T3_PNS13_IS18_E10value_typeET4_jRbjT5_S1E_jjP12ihipStream_tbEUljE_ZNSN_ISO_Lb0ESQ_SR_ST_SU_SY_EESZ_S10_S11_S12_S16_S17_S18_S1B_S1C_jS1D_jS1E_S1E_jjS1G_bEUljE0_EEESZ_S10_S11_S18_S1C_S1E_T6_T7_T9_mT8_S1G_bDpT10_ENKUlT_T0_E_clISt17integral_constantIbLb1EES1T_IbLb0EEEEDaS1P_S1Q_EUlS1P_E_NS1_11comp_targetILNS1_3genE9ELNS1_11target_archE1100ELNS1_3gpuE3ELNS1_3repE0EEENS1_30default_config_static_selectorELNS0_4arch9wavefront6targetE1EEEvS12_: ; @_ZN7rocprim17ROCPRIM_400000_NS6detail17trampoline_kernelINS0_13select_configILj256ELj13ELNS0_17block_load_methodE3ELS4_3ELS4_3ELNS0_20block_scan_algorithmE0ELj4294967295EEENS1_25partition_config_selectorILNS1_17partition_subalgoE4EjNS0_10empty_typeEbEEZZNS1_14partition_implILS8_4ELb0ES6_15HIP_vector_typeIjLj2EENS0_17counting_iteratorIjlEEPS9_SG_NS0_5tupleIJPjSI_NS0_16reverse_iteratorISI_EEEEENSH_IJSG_SG_SG_EEES9_SI_JZNS1_25segmented_radix_sort_implINS0_14default_configELb0EPKbPbPKlPlN2at6native12_GLOBAL__N_18offset_tEEE10hipError_tPvRmT1_PNSt15iterator_traitsIS12_E10value_typeET2_T3_PNS13_IS18_E10value_typeET4_jRbjT5_S1E_jjP12ihipStream_tbEUljE_ZNSN_ISO_Lb0ESQ_SR_ST_SU_SY_EESZ_S10_S11_S12_S16_S17_S18_S1B_S1C_jS1D_jS1E_S1E_jjS1G_bEUljE0_EEESZ_S10_S11_S18_S1C_S1E_T6_T7_T9_mT8_S1G_bDpT10_ENKUlT_T0_E_clISt17integral_constantIbLb1EES1T_IbLb0EEEEDaS1P_S1Q_EUlS1P_E_NS1_11comp_targetILNS1_3genE9ELNS1_11target_archE1100ELNS1_3gpuE3ELNS1_3repE0EEENS1_30default_config_static_selectorELNS0_4arch9wavefront6targetE1EEEvS12_
; %bb.0:
	.section	.rodata,"a",@progbits
	.p2align	6, 0x0
	.amdhsa_kernel _ZN7rocprim17ROCPRIM_400000_NS6detail17trampoline_kernelINS0_13select_configILj256ELj13ELNS0_17block_load_methodE3ELS4_3ELS4_3ELNS0_20block_scan_algorithmE0ELj4294967295EEENS1_25partition_config_selectorILNS1_17partition_subalgoE4EjNS0_10empty_typeEbEEZZNS1_14partition_implILS8_4ELb0ES6_15HIP_vector_typeIjLj2EENS0_17counting_iteratorIjlEEPS9_SG_NS0_5tupleIJPjSI_NS0_16reverse_iteratorISI_EEEEENSH_IJSG_SG_SG_EEES9_SI_JZNS1_25segmented_radix_sort_implINS0_14default_configELb0EPKbPbPKlPlN2at6native12_GLOBAL__N_18offset_tEEE10hipError_tPvRmT1_PNSt15iterator_traitsIS12_E10value_typeET2_T3_PNS13_IS18_E10value_typeET4_jRbjT5_S1E_jjP12ihipStream_tbEUljE_ZNSN_ISO_Lb0ESQ_SR_ST_SU_SY_EESZ_S10_S11_S12_S16_S17_S18_S1B_S1C_jS1D_jS1E_S1E_jjS1G_bEUljE0_EEESZ_S10_S11_S18_S1C_S1E_T6_T7_T9_mT8_S1G_bDpT10_ENKUlT_T0_E_clISt17integral_constantIbLb1EES1T_IbLb0EEEEDaS1P_S1Q_EUlS1P_E_NS1_11comp_targetILNS1_3genE9ELNS1_11target_archE1100ELNS1_3gpuE3ELNS1_3repE0EEENS1_30default_config_static_selectorELNS0_4arch9wavefront6targetE1EEEvS12_
		.amdhsa_group_segment_fixed_size 0
		.amdhsa_private_segment_fixed_size 0
		.amdhsa_kernarg_size 176
		.amdhsa_user_sgpr_count 6
		.amdhsa_user_sgpr_private_segment_buffer 1
		.amdhsa_user_sgpr_dispatch_ptr 0
		.amdhsa_user_sgpr_queue_ptr 0
		.amdhsa_user_sgpr_kernarg_segment_ptr 1
		.amdhsa_user_sgpr_dispatch_id 0
		.amdhsa_user_sgpr_flat_scratch_init 0
		.amdhsa_user_sgpr_private_segment_size 0
		.amdhsa_uses_dynamic_stack 0
		.amdhsa_system_sgpr_private_segment_wavefront_offset 0
		.amdhsa_system_sgpr_workgroup_id_x 1
		.amdhsa_system_sgpr_workgroup_id_y 0
		.amdhsa_system_sgpr_workgroup_id_z 0
		.amdhsa_system_sgpr_workgroup_info 0
		.amdhsa_system_vgpr_workitem_id 0
		.amdhsa_next_free_vgpr 1
		.amdhsa_next_free_sgpr 0
		.amdhsa_reserve_vcc 0
		.amdhsa_reserve_flat_scratch 0
		.amdhsa_float_round_mode_32 0
		.amdhsa_float_round_mode_16_64 0
		.amdhsa_float_denorm_mode_32 3
		.amdhsa_float_denorm_mode_16_64 3
		.amdhsa_dx10_clamp 1
		.amdhsa_ieee_mode 1
		.amdhsa_fp16_overflow 0
		.amdhsa_exception_fp_ieee_invalid_op 0
		.amdhsa_exception_fp_denorm_src 0
		.amdhsa_exception_fp_ieee_div_zero 0
		.amdhsa_exception_fp_ieee_overflow 0
		.amdhsa_exception_fp_ieee_underflow 0
		.amdhsa_exception_fp_ieee_inexact 0
		.amdhsa_exception_int_div_zero 0
	.end_amdhsa_kernel
	.section	.text._ZN7rocprim17ROCPRIM_400000_NS6detail17trampoline_kernelINS0_13select_configILj256ELj13ELNS0_17block_load_methodE3ELS4_3ELS4_3ELNS0_20block_scan_algorithmE0ELj4294967295EEENS1_25partition_config_selectorILNS1_17partition_subalgoE4EjNS0_10empty_typeEbEEZZNS1_14partition_implILS8_4ELb0ES6_15HIP_vector_typeIjLj2EENS0_17counting_iteratorIjlEEPS9_SG_NS0_5tupleIJPjSI_NS0_16reverse_iteratorISI_EEEEENSH_IJSG_SG_SG_EEES9_SI_JZNS1_25segmented_radix_sort_implINS0_14default_configELb0EPKbPbPKlPlN2at6native12_GLOBAL__N_18offset_tEEE10hipError_tPvRmT1_PNSt15iterator_traitsIS12_E10value_typeET2_T3_PNS13_IS18_E10value_typeET4_jRbjT5_S1E_jjP12ihipStream_tbEUljE_ZNSN_ISO_Lb0ESQ_SR_ST_SU_SY_EESZ_S10_S11_S12_S16_S17_S18_S1B_S1C_jS1D_jS1E_S1E_jjS1G_bEUljE0_EEESZ_S10_S11_S18_S1C_S1E_T6_T7_T9_mT8_S1G_bDpT10_ENKUlT_T0_E_clISt17integral_constantIbLb1EES1T_IbLb0EEEEDaS1P_S1Q_EUlS1P_E_NS1_11comp_targetILNS1_3genE9ELNS1_11target_archE1100ELNS1_3gpuE3ELNS1_3repE0EEENS1_30default_config_static_selectorELNS0_4arch9wavefront6targetE1EEEvS12_,"axG",@progbits,_ZN7rocprim17ROCPRIM_400000_NS6detail17trampoline_kernelINS0_13select_configILj256ELj13ELNS0_17block_load_methodE3ELS4_3ELS4_3ELNS0_20block_scan_algorithmE0ELj4294967295EEENS1_25partition_config_selectorILNS1_17partition_subalgoE4EjNS0_10empty_typeEbEEZZNS1_14partition_implILS8_4ELb0ES6_15HIP_vector_typeIjLj2EENS0_17counting_iteratorIjlEEPS9_SG_NS0_5tupleIJPjSI_NS0_16reverse_iteratorISI_EEEEENSH_IJSG_SG_SG_EEES9_SI_JZNS1_25segmented_radix_sort_implINS0_14default_configELb0EPKbPbPKlPlN2at6native12_GLOBAL__N_18offset_tEEE10hipError_tPvRmT1_PNSt15iterator_traitsIS12_E10value_typeET2_T3_PNS13_IS18_E10value_typeET4_jRbjT5_S1E_jjP12ihipStream_tbEUljE_ZNSN_ISO_Lb0ESQ_SR_ST_SU_SY_EESZ_S10_S11_S12_S16_S17_S18_S1B_S1C_jS1D_jS1E_S1E_jjS1G_bEUljE0_EEESZ_S10_S11_S18_S1C_S1E_T6_T7_T9_mT8_S1G_bDpT10_ENKUlT_T0_E_clISt17integral_constantIbLb1EES1T_IbLb0EEEEDaS1P_S1Q_EUlS1P_E_NS1_11comp_targetILNS1_3genE9ELNS1_11target_archE1100ELNS1_3gpuE3ELNS1_3repE0EEENS1_30default_config_static_selectorELNS0_4arch9wavefront6targetE1EEEvS12_,comdat
.Lfunc_end1593:
	.size	_ZN7rocprim17ROCPRIM_400000_NS6detail17trampoline_kernelINS0_13select_configILj256ELj13ELNS0_17block_load_methodE3ELS4_3ELS4_3ELNS0_20block_scan_algorithmE0ELj4294967295EEENS1_25partition_config_selectorILNS1_17partition_subalgoE4EjNS0_10empty_typeEbEEZZNS1_14partition_implILS8_4ELb0ES6_15HIP_vector_typeIjLj2EENS0_17counting_iteratorIjlEEPS9_SG_NS0_5tupleIJPjSI_NS0_16reverse_iteratorISI_EEEEENSH_IJSG_SG_SG_EEES9_SI_JZNS1_25segmented_radix_sort_implINS0_14default_configELb0EPKbPbPKlPlN2at6native12_GLOBAL__N_18offset_tEEE10hipError_tPvRmT1_PNSt15iterator_traitsIS12_E10value_typeET2_T3_PNS13_IS18_E10value_typeET4_jRbjT5_S1E_jjP12ihipStream_tbEUljE_ZNSN_ISO_Lb0ESQ_SR_ST_SU_SY_EESZ_S10_S11_S12_S16_S17_S18_S1B_S1C_jS1D_jS1E_S1E_jjS1G_bEUljE0_EEESZ_S10_S11_S18_S1C_S1E_T6_T7_T9_mT8_S1G_bDpT10_ENKUlT_T0_E_clISt17integral_constantIbLb1EES1T_IbLb0EEEEDaS1P_S1Q_EUlS1P_E_NS1_11comp_targetILNS1_3genE9ELNS1_11target_archE1100ELNS1_3gpuE3ELNS1_3repE0EEENS1_30default_config_static_selectorELNS0_4arch9wavefront6targetE1EEEvS12_, .Lfunc_end1593-_ZN7rocprim17ROCPRIM_400000_NS6detail17trampoline_kernelINS0_13select_configILj256ELj13ELNS0_17block_load_methodE3ELS4_3ELS4_3ELNS0_20block_scan_algorithmE0ELj4294967295EEENS1_25partition_config_selectorILNS1_17partition_subalgoE4EjNS0_10empty_typeEbEEZZNS1_14partition_implILS8_4ELb0ES6_15HIP_vector_typeIjLj2EENS0_17counting_iteratorIjlEEPS9_SG_NS0_5tupleIJPjSI_NS0_16reverse_iteratorISI_EEEEENSH_IJSG_SG_SG_EEES9_SI_JZNS1_25segmented_radix_sort_implINS0_14default_configELb0EPKbPbPKlPlN2at6native12_GLOBAL__N_18offset_tEEE10hipError_tPvRmT1_PNSt15iterator_traitsIS12_E10value_typeET2_T3_PNS13_IS18_E10value_typeET4_jRbjT5_S1E_jjP12ihipStream_tbEUljE_ZNSN_ISO_Lb0ESQ_SR_ST_SU_SY_EESZ_S10_S11_S12_S16_S17_S18_S1B_S1C_jS1D_jS1E_S1E_jjS1G_bEUljE0_EEESZ_S10_S11_S18_S1C_S1E_T6_T7_T9_mT8_S1G_bDpT10_ENKUlT_T0_E_clISt17integral_constantIbLb1EES1T_IbLb0EEEEDaS1P_S1Q_EUlS1P_E_NS1_11comp_targetILNS1_3genE9ELNS1_11target_archE1100ELNS1_3gpuE3ELNS1_3repE0EEENS1_30default_config_static_selectorELNS0_4arch9wavefront6targetE1EEEvS12_
                                        ; -- End function
	.set _ZN7rocprim17ROCPRIM_400000_NS6detail17trampoline_kernelINS0_13select_configILj256ELj13ELNS0_17block_load_methodE3ELS4_3ELS4_3ELNS0_20block_scan_algorithmE0ELj4294967295EEENS1_25partition_config_selectorILNS1_17partition_subalgoE4EjNS0_10empty_typeEbEEZZNS1_14partition_implILS8_4ELb0ES6_15HIP_vector_typeIjLj2EENS0_17counting_iteratorIjlEEPS9_SG_NS0_5tupleIJPjSI_NS0_16reverse_iteratorISI_EEEEENSH_IJSG_SG_SG_EEES9_SI_JZNS1_25segmented_radix_sort_implINS0_14default_configELb0EPKbPbPKlPlN2at6native12_GLOBAL__N_18offset_tEEE10hipError_tPvRmT1_PNSt15iterator_traitsIS12_E10value_typeET2_T3_PNS13_IS18_E10value_typeET4_jRbjT5_S1E_jjP12ihipStream_tbEUljE_ZNSN_ISO_Lb0ESQ_SR_ST_SU_SY_EESZ_S10_S11_S12_S16_S17_S18_S1B_S1C_jS1D_jS1E_S1E_jjS1G_bEUljE0_EEESZ_S10_S11_S18_S1C_S1E_T6_T7_T9_mT8_S1G_bDpT10_ENKUlT_T0_E_clISt17integral_constantIbLb1EES1T_IbLb0EEEEDaS1P_S1Q_EUlS1P_E_NS1_11comp_targetILNS1_3genE9ELNS1_11target_archE1100ELNS1_3gpuE3ELNS1_3repE0EEENS1_30default_config_static_selectorELNS0_4arch9wavefront6targetE1EEEvS12_.num_vgpr, 0
	.set _ZN7rocprim17ROCPRIM_400000_NS6detail17trampoline_kernelINS0_13select_configILj256ELj13ELNS0_17block_load_methodE3ELS4_3ELS4_3ELNS0_20block_scan_algorithmE0ELj4294967295EEENS1_25partition_config_selectorILNS1_17partition_subalgoE4EjNS0_10empty_typeEbEEZZNS1_14partition_implILS8_4ELb0ES6_15HIP_vector_typeIjLj2EENS0_17counting_iteratorIjlEEPS9_SG_NS0_5tupleIJPjSI_NS0_16reverse_iteratorISI_EEEEENSH_IJSG_SG_SG_EEES9_SI_JZNS1_25segmented_radix_sort_implINS0_14default_configELb0EPKbPbPKlPlN2at6native12_GLOBAL__N_18offset_tEEE10hipError_tPvRmT1_PNSt15iterator_traitsIS12_E10value_typeET2_T3_PNS13_IS18_E10value_typeET4_jRbjT5_S1E_jjP12ihipStream_tbEUljE_ZNSN_ISO_Lb0ESQ_SR_ST_SU_SY_EESZ_S10_S11_S12_S16_S17_S18_S1B_S1C_jS1D_jS1E_S1E_jjS1G_bEUljE0_EEESZ_S10_S11_S18_S1C_S1E_T6_T7_T9_mT8_S1G_bDpT10_ENKUlT_T0_E_clISt17integral_constantIbLb1EES1T_IbLb0EEEEDaS1P_S1Q_EUlS1P_E_NS1_11comp_targetILNS1_3genE9ELNS1_11target_archE1100ELNS1_3gpuE3ELNS1_3repE0EEENS1_30default_config_static_selectorELNS0_4arch9wavefront6targetE1EEEvS12_.num_agpr, 0
	.set _ZN7rocprim17ROCPRIM_400000_NS6detail17trampoline_kernelINS0_13select_configILj256ELj13ELNS0_17block_load_methodE3ELS4_3ELS4_3ELNS0_20block_scan_algorithmE0ELj4294967295EEENS1_25partition_config_selectorILNS1_17partition_subalgoE4EjNS0_10empty_typeEbEEZZNS1_14partition_implILS8_4ELb0ES6_15HIP_vector_typeIjLj2EENS0_17counting_iteratorIjlEEPS9_SG_NS0_5tupleIJPjSI_NS0_16reverse_iteratorISI_EEEEENSH_IJSG_SG_SG_EEES9_SI_JZNS1_25segmented_radix_sort_implINS0_14default_configELb0EPKbPbPKlPlN2at6native12_GLOBAL__N_18offset_tEEE10hipError_tPvRmT1_PNSt15iterator_traitsIS12_E10value_typeET2_T3_PNS13_IS18_E10value_typeET4_jRbjT5_S1E_jjP12ihipStream_tbEUljE_ZNSN_ISO_Lb0ESQ_SR_ST_SU_SY_EESZ_S10_S11_S12_S16_S17_S18_S1B_S1C_jS1D_jS1E_S1E_jjS1G_bEUljE0_EEESZ_S10_S11_S18_S1C_S1E_T6_T7_T9_mT8_S1G_bDpT10_ENKUlT_T0_E_clISt17integral_constantIbLb1EES1T_IbLb0EEEEDaS1P_S1Q_EUlS1P_E_NS1_11comp_targetILNS1_3genE9ELNS1_11target_archE1100ELNS1_3gpuE3ELNS1_3repE0EEENS1_30default_config_static_selectorELNS0_4arch9wavefront6targetE1EEEvS12_.numbered_sgpr, 0
	.set _ZN7rocprim17ROCPRIM_400000_NS6detail17trampoline_kernelINS0_13select_configILj256ELj13ELNS0_17block_load_methodE3ELS4_3ELS4_3ELNS0_20block_scan_algorithmE0ELj4294967295EEENS1_25partition_config_selectorILNS1_17partition_subalgoE4EjNS0_10empty_typeEbEEZZNS1_14partition_implILS8_4ELb0ES6_15HIP_vector_typeIjLj2EENS0_17counting_iteratorIjlEEPS9_SG_NS0_5tupleIJPjSI_NS0_16reverse_iteratorISI_EEEEENSH_IJSG_SG_SG_EEES9_SI_JZNS1_25segmented_radix_sort_implINS0_14default_configELb0EPKbPbPKlPlN2at6native12_GLOBAL__N_18offset_tEEE10hipError_tPvRmT1_PNSt15iterator_traitsIS12_E10value_typeET2_T3_PNS13_IS18_E10value_typeET4_jRbjT5_S1E_jjP12ihipStream_tbEUljE_ZNSN_ISO_Lb0ESQ_SR_ST_SU_SY_EESZ_S10_S11_S12_S16_S17_S18_S1B_S1C_jS1D_jS1E_S1E_jjS1G_bEUljE0_EEESZ_S10_S11_S18_S1C_S1E_T6_T7_T9_mT8_S1G_bDpT10_ENKUlT_T0_E_clISt17integral_constantIbLb1EES1T_IbLb0EEEEDaS1P_S1Q_EUlS1P_E_NS1_11comp_targetILNS1_3genE9ELNS1_11target_archE1100ELNS1_3gpuE3ELNS1_3repE0EEENS1_30default_config_static_selectorELNS0_4arch9wavefront6targetE1EEEvS12_.num_named_barrier, 0
	.set _ZN7rocprim17ROCPRIM_400000_NS6detail17trampoline_kernelINS0_13select_configILj256ELj13ELNS0_17block_load_methodE3ELS4_3ELS4_3ELNS0_20block_scan_algorithmE0ELj4294967295EEENS1_25partition_config_selectorILNS1_17partition_subalgoE4EjNS0_10empty_typeEbEEZZNS1_14partition_implILS8_4ELb0ES6_15HIP_vector_typeIjLj2EENS0_17counting_iteratorIjlEEPS9_SG_NS0_5tupleIJPjSI_NS0_16reverse_iteratorISI_EEEEENSH_IJSG_SG_SG_EEES9_SI_JZNS1_25segmented_radix_sort_implINS0_14default_configELb0EPKbPbPKlPlN2at6native12_GLOBAL__N_18offset_tEEE10hipError_tPvRmT1_PNSt15iterator_traitsIS12_E10value_typeET2_T3_PNS13_IS18_E10value_typeET4_jRbjT5_S1E_jjP12ihipStream_tbEUljE_ZNSN_ISO_Lb0ESQ_SR_ST_SU_SY_EESZ_S10_S11_S12_S16_S17_S18_S1B_S1C_jS1D_jS1E_S1E_jjS1G_bEUljE0_EEESZ_S10_S11_S18_S1C_S1E_T6_T7_T9_mT8_S1G_bDpT10_ENKUlT_T0_E_clISt17integral_constantIbLb1EES1T_IbLb0EEEEDaS1P_S1Q_EUlS1P_E_NS1_11comp_targetILNS1_3genE9ELNS1_11target_archE1100ELNS1_3gpuE3ELNS1_3repE0EEENS1_30default_config_static_selectorELNS0_4arch9wavefront6targetE1EEEvS12_.private_seg_size, 0
	.set _ZN7rocprim17ROCPRIM_400000_NS6detail17trampoline_kernelINS0_13select_configILj256ELj13ELNS0_17block_load_methodE3ELS4_3ELS4_3ELNS0_20block_scan_algorithmE0ELj4294967295EEENS1_25partition_config_selectorILNS1_17partition_subalgoE4EjNS0_10empty_typeEbEEZZNS1_14partition_implILS8_4ELb0ES6_15HIP_vector_typeIjLj2EENS0_17counting_iteratorIjlEEPS9_SG_NS0_5tupleIJPjSI_NS0_16reverse_iteratorISI_EEEEENSH_IJSG_SG_SG_EEES9_SI_JZNS1_25segmented_radix_sort_implINS0_14default_configELb0EPKbPbPKlPlN2at6native12_GLOBAL__N_18offset_tEEE10hipError_tPvRmT1_PNSt15iterator_traitsIS12_E10value_typeET2_T3_PNS13_IS18_E10value_typeET4_jRbjT5_S1E_jjP12ihipStream_tbEUljE_ZNSN_ISO_Lb0ESQ_SR_ST_SU_SY_EESZ_S10_S11_S12_S16_S17_S18_S1B_S1C_jS1D_jS1E_S1E_jjS1G_bEUljE0_EEESZ_S10_S11_S18_S1C_S1E_T6_T7_T9_mT8_S1G_bDpT10_ENKUlT_T0_E_clISt17integral_constantIbLb1EES1T_IbLb0EEEEDaS1P_S1Q_EUlS1P_E_NS1_11comp_targetILNS1_3genE9ELNS1_11target_archE1100ELNS1_3gpuE3ELNS1_3repE0EEENS1_30default_config_static_selectorELNS0_4arch9wavefront6targetE1EEEvS12_.uses_vcc, 0
	.set _ZN7rocprim17ROCPRIM_400000_NS6detail17trampoline_kernelINS0_13select_configILj256ELj13ELNS0_17block_load_methodE3ELS4_3ELS4_3ELNS0_20block_scan_algorithmE0ELj4294967295EEENS1_25partition_config_selectorILNS1_17partition_subalgoE4EjNS0_10empty_typeEbEEZZNS1_14partition_implILS8_4ELb0ES6_15HIP_vector_typeIjLj2EENS0_17counting_iteratorIjlEEPS9_SG_NS0_5tupleIJPjSI_NS0_16reverse_iteratorISI_EEEEENSH_IJSG_SG_SG_EEES9_SI_JZNS1_25segmented_radix_sort_implINS0_14default_configELb0EPKbPbPKlPlN2at6native12_GLOBAL__N_18offset_tEEE10hipError_tPvRmT1_PNSt15iterator_traitsIS12_E10value_typeET2_T3_PNS13_IS18_E10value_typeET4_jRbjT5_S1E_jjP12ihipStream_tbEUljE_ZNSN_ISO_Lb0ESQ_SR_ST_SU_SY_EESZ_S10_S11_S12_S16_S17_S18_S1B_S1C_jS1D_jS1E_S1E_jjS1G_bEUljE0_EEESZ_S10_S11_S18_S1C_S1E_T6_T7_T9_mT8_S1G_bDpT10_ENKUlT_T0_E_clISt17integral_constantIbLb1EES1T_IbLb0EEEEDaS1P_S1Q_EUlS1P_E_NS1_11comp_targetILNS1_3genE9ELNS1_11target_archE1100ELNS1_3gpuE3ELNS1_3repE0EEENS1_30default_config_static_selectorELNS0_4arch9wavefront6targetE1EEEvS12_.uses_flat_scratch, 0
	.set _ZN7rocprim17ROCPRIM_400000_NS6detail17trampoline_kernelINS0_13select_configILj256ELj13ELNS0_17block_load_methodE3ELS4_3ELS4_3ELNS0_20block_scan_algorithmE0ELj4294967295EEENS1_25partition_config_selectorILNS1_17partition_subalgoE4EjNS0_10empty_typeEbEEZZNS1_14partition_implILS8_4ELb0ES6_15HIP_vector_typeIjLj2EENS0_17counting_iteratorIjlEEPS9_SG_NS0_5tupleIJPjSI_NS0_16reverse_iteratorISI_EEEEENSH_IJSG_SG_SG_EEES9_SI_JZNS1_25segmented_radix_sort_implINS0_14default_configELb0EPKbPbPKlPlN2at6native12_GLOBAL__N_18offset_tEEE10hipError_tPvRmT1_PNSt15iterator_traitsIS12_E10value_typeET2_T3_PNS13_IS18_E10value_typeET4_jRbjT5_S1E_jjP12ihipStream_tbEUljE_ZNSN_ISO_Lb0ESQ_SR_ST_SU_SY_EESZ_S10_S11_S12_S16_S17_S18_S1B_S1C_jS1D_jS1E_S1E_jjS1G_bEUljE0_EEESZ_S10_S11_S18_S1C_S1E_T6_T7_T9_mT8_S1G_bDpT10_ENKUlT_T0_E_clISt17integral_constantIbLb1EES1T_IbLb0EEEEDaS1P_S1Q_EUlS1P_E_NS1_11comp_targetILNS1_3genE9ELNS1_11target_archE1100ELNS1_3gpuE3ELNS1_3repE0EEENS1_30default_config_static_selectorELNS0_4arch9wavefront6targetE1EEEvS12_.has_dyn_sized_stack, 0
	.set _ZN7rocprim17ROCPRIM_400000_NS6detail17trampoline_kernelINS0_13select_configILj256ELj13ELNS0_17block_load_methodE3ELS4_3ELS4_3ELNS0_20block_scan_algorithmE0ELj4294967295EEENS1_25partition_config_selectorILNS1_17partition_subalgoE4EjNS0_10empty_typeEbEEZZNS1_14partition_implILS8_4ELb0ES6_15HIP_vector_typeIjLj2EENS0_17counting_iteratorIjlEEPS9_SG_NS0_5tupleIJPjSI_NS0_16reverse_iteratorISI_EEEEENSH_IJSG_SG_SG_EEES9_SI_JZNS1_25segmented_radix_sort_implINS0_14default_configELb0EPKbPbPKlPlN2at6native12_GLOBAL__N_18offset_tEEE10hipError_tPvRmT1_PNSt15iterator_traitsIS12_E10value_typeET2_T3_PNS13_IS18_E10value_typeET4_jRbjT5_S1E_jjP12ihipStream_tbEUljE_ZNSN_ISO_Lb0ESQ_SR_ST_SU_SY_EESZ_S10_S11_S12_S16_S17_S18_S1B_S1C_jS1D_jS1E_S1E_jjS1G_bEUljE0_EEESZ_S10_S11_S18_S1C_S1E_T6_T7_T9_mT8_S1G_bDpT10_ENKUlT_T0_E_clISt17integral_constantIbLb1EES1T_IbLb0EEEEDaS1P_S1Q_EUlS1P_E_NS1_11comp_targetILNS1_3genE9ELNS1_11target_archE1100ELNS1_3gpuE3ELNS1_3repE0EEENS1_30default_config_static_selectorELNS0_4arch9wavefront6targetE1EEEvS12_.has_recursion, 0
	.set _ZN7rocprim17ROCPRIM_400000_NS6detail17trampoline_kernelINS0_13select_configILj256ELj13ELNS0_17block_load_methodE3ELS4_3ELS4_3ELNS0_20block_scan_algorithmE0ELj4294967295EEENS1_25partition_config_selectorILNS1_17partition_subalgoE4EjNS0_10empty_typeEbEEZZNS1_14partition_implILS8_4ELb0ES6_15HIP_vector_typeIjLj2EENS0_17counting_iteratorIjlEEPS9_SG_NS0_5tupleIJPjSI_NS0_16reverse_iteratorISI_EEEEENSH_IJSG_SG_SG_EEES9_SI_JZNS1_25segmented_radix_sort_implINS0_14default_configELb0EPKbPbPKlPlN2at6native12_GLOBAL__N_18offset_tEEE10hipError_tPvRmT1_PNSt15iterator_traitsIS12_E10value_typeET2_T3_PNS13_IS18_E10value_typeET4_jRbjT5_S1E_jjP12ihipStream_tbEUljE_ZNSN_ISO_Lb0ESQ_SR_ST_SU_SY_EESZ_S10_S11_S12_S16_S17_S18_S1B_S1C_jS1D_jS1E_S1E_jjS1G_bEUljE0_EEESZ_S10_S11_S18_S1C_S1E_T6_T7_T9_mT8_S1G_bDpT10_ENKUlT_T0_E_clISt17integral_constantIbLb1EES1T_IbLb0EEEEDaS1P_S1Q_EUlS1P_E_NS1_11comp_targetILNS1_3genE9ELNS1_11target_archE1100ELNS1_3gpuE3ELNS1_3repE0EEENS1_30default_config_static_selectorELNS0_4arch9wavefront6targetE1EEEvS12_.has_indirect_call, 0
	.section	.AMDGPU.csdata,"",@progbits
; Kernel info:
; codeLenInByte = 0
; TotalNumSgprs: 4
; NumVgprs: 0
; ScratchSize: 0
; MemoryBound: 0
; FloatMode: 240
; IeeeMode: 1
; LDSByteSize: 0 bytes/workgroup (compile time only)
; SGPRBlocks: 0
; VGPRBlocks: 0
; NumSGPRsForWavesPerEU: 4
; NumVGPRsForWavesPerEU: 1
; Occupancy: 10
; WaveLimiterHint : 0
; COMPUTE_PGM_RSRC2:SCRATCH_EN: 0
; COMPUTE_PGM_RSRC2:USER_SGPR: 6
; COMPUTE_PGM_RSRC2:TRAP_HANDLER: 0
; COMPUTE_PGM_RSRC2:TGID_X_EN: 1
; COMPUTE_PGM_RSRC2:TGID_Y_EN: 0
; COMPUTE_PGM_RSRC2:TGID_Z_EN: 0
; COMPUTE_PGM_RSRC2:TIDIG_COMP_CNT: 0
	.section	.text._ZN7rocprim17ROCPRIM_400000_NS6detail17trampoline_kernelINS0_13select_configILj256ELj13ELNS0_17block_load_methodE3ELS4_3ELS4_3ELNS0_20block_scan_algorithmE0ELj4294967295EEENS1_25partition_config_selectorILNS1_17partition_subalgoE4EjNS0_10empty_typeEbEEZZNS1_14partition_implILS8_4ELb0ES6_15HIP_vector_typeIjLj2EENS0_17counting_iteratorIjlEEPS9_SG_NS0_5tupleIJPjSI_NS0_16reverse_iteratorISI_EEEEENSH_IJSG_SG_SG_EEES9_SI_JZNS1_25segmented_radix_sort_implINS0_14default_configELb0EPKbPbPKlPlN2at6native12_GLOBAL__N_18offset_tEEE10hipError_tPvRmT1_PNSt15iterator_traitsIS12_E10value_typeET2_T3_PNS13_IS18_E10value_typeET4_jRbjT5_S1E_jjP12ihipStream_tbEUljE_ZNSN_ISO_Lb0ESQ_SR_ST_SU_SY_EESZ_S10_S11_S12_S16_S17_S18_S1B_S1C_jS1D_jS1E_S1E_jjS1G_bEUljE0_EEESZ_S10_S11_S18_S1C_S1E_T6_T7_T9_mT8_S1G_bDpT10_ENKUlT_T0_E_clISt17integral_constantIbLb1EES1T_IbLb0EEEEDaS1P_S1Q_EUlS1P_E_NS1_11comp_targetILNS1_3genE8ELNS1_11target_archE1030ELNS1_3gpuE2ELNS1_3repE0EEENS1_30default_config_static_selectorELNS0_4arch9wavefront6targetE1EEEvS12_,"axG",@progbits,_ZN7rocprim17ROCPRIM_400000_NS6detail17trampoline_kernelINS0_13select_configILj256ELj13ELNS0_17block_load_methodE3ELS4_3ELS4_3ELNS0_20block_scan_algorithmE0ELj4294967295EEENS1_25partition_config_selectorILNS1_17partition_subalgoE4EjNS0_10empty_typeEbEEZZNS1_14partition_implILS8_4ELb0ES6_15HIP_vector_typeIjLj2EENS0_17counting_iteratorIjlEEPS9_SG_NS0_5tupleIJPjSI_NS0_16reverse_iteratorISI_EEEEENSH_IJSG_SG_SG_EEES9_SI_JZNS1_25segmented_radix_sort_implINS0_14default_configELb0EPKbPbPKlPlN2at6native12_GLOBAL__N_18offset_tEEE10hipError_tPvRmT1_PNSt15iterator_traitsIS12_E10value_typeET2_T3_PNS13_IS18_E10value_typeET4_jRbjT5_S1E_jjP12ihipStream_tbEUljE_ZNSN_ISO_Lb0ESQ_SR_ST_SU_SY_EESZ_S10_S11_S12_S16_S17_S18_S1B_S1C_jS1D_jS1E_S1E_jjS1G_bEUljE0_EEESZ_S10_S11_S18_S1C_S1E_T6_T7_T9_mT8_S1G_bDpT10_ENKUlT_T0_E_clISt17integral_constantIbLb1EES1T_IbLb0EEEEDaS1P_S1Q_EUlS1P_E_NS1_11comp_targetILNS1_3genE8ELNS1_11target_archE1030ELNS1_3gpuE2ELNS1_3repE0EEENS1_30default_config_static_selectorELNS0_4arch9wavefront6targetE1EEEvS12_,comdat
	.globl	_ZN7rocprim17ROCPRIM_400000_NS6detail17trampoline_kernelINS0_13select_configILj256ELj13ELNS0_17block_load_methodE3ELS4_3ELS4_3ELNS0_20block_scan_algorithmE0ELj4294967295EEENS1_25partition_config_selectorILNS1_17partition_subalgoE4EjNS0_10empty_typeEbEEZZNS1_14partition_implILS8_4ELb0ES6_15HIP_vector_typeIjLj2EENS0_17counting_iteratorIjlEEPS9_SG_NS0_5tupleIJPjSI_NS0_16reverse_iteratorISI_EEEEENSH_IJSG_SG_SG_EEES9_SI_JZNS1_25segmented_radix_sort_implINS0_14default_configELb0EPKbPbPKlPlN2at6native12_GLOBAL__N_18offset_tEEE10hipError_tPvRmT1_PNSt15iterator_traitsIS12_E10value_typeET2_T3_PNS13_IS18_E10value_typeET4_jRbjT5_S1E_jjP12ihipStream_tbEUljE_ZNSN_ISO_Lb0ESQ_SR_ST_SU_SY_EESZ_S10_S11_S12_S16_S17_S18_S1B_S1C_jS1D_jS1E_S1E_jjS1G_bEUljE0_EEESZ_S10_S11_S18_S1C_S1E_T6_T7_T9_mT8_S1G_bDpT10_ENKUlT_T0_E_clISt17integral_constantIbLb1EES1T_IbLb0EEEEDaS1P_S1Q_EUlS1P_E_NS1_11comp_targetILNS1_3genE8ELNS1_11target_archE1030ELNS1_3gpuE2ELNS1_3repE0EEENS1_30default_config_static_selectorELNS0_4arch9wavefront6targetE1EEEvS12_ ; -- Begin function _ZN7rocprim17ROCPRIM_400000_NS6detail17trampoline_kernelINS0_13select_configILj256ELj13ELNS0_17block_load_methodE3ELS4_3ELS4_3ELNS0_20block_scan_algorithmE0ELj4294967295EEENS1_25partition_config_selectorILNS1_17partition_subalgoE4EjNS0_10empty_typeEbEEZZNS1_14partition_implILS8_4ELb0ES6_15HIP_vector_typeIjLj2EENS0_17counting_iteratorIjlEEPS9_SG_NS0_5tupleIJPjSI_NS0_16reverse_iteratorISI_EEEEENSH_IJSG_SG_SG_EEES9_SI_JZNS1_25segmented_radix_sort_implINS0_14default_configELb0EPKbPbPKlPlN2at6native12_GLOBAL__N_18offset_tEEE10hipError_tPvRmT1_PNSt15iterator_traitsIS12_E10value_typeET2_T3_PNS13_IS18_E10value_typeET4_jRbjT5_S1E_jjP12ihipStream_tbEUljE_ZNSN_ISO_Lb0ESQ_SR_ST_SU_SY_EESZ_S10_S11_S12_S16_S17_S18_S1B_S1C_jS1D_jS1E_S1E_jjS1G_bEUljE0_EEESZ_S10_S11_S18_S1C_S1E_T6_T7_T9_mT8_S1G_bDpT10_ENKUlT_T0_E_clISt17integral_constantIbLb1EES1T_IbLb0EEEEDaS1P_S1Q_EUlS1P_E_NS1_11comp_targetILNS1_3genE8ELNS1_11target_archE1030ELNS1_3gpuE2ELNS1_3repE0EEENS1_30default_config_static_selectorELNS0_4arch9wavefront6targetE1EEEvS12_
	.p2align	8
	.type	_ZN7rocprim17ROCPRIM_400000_NS6detail17trampoline_kernelINS0_13select_configILj256ELj13ELNS0_17block_load_methodE3ELS4_3ELS4_3ELNS0_20block_scan_algorithmE0ELj4294967295EEENS1_25partition_config_selectorILNS1_17partition_subalgoE4EjNS0_10empty_typeEbEEZZNS1_14partition_implILS8_4ELb0ES6_15HIP_vector_typeIjLj2EENS0_17counting_iteratorIjlEEPS9_SG_NS0_5tupleIJPjSI_NS0_16reverse_iteratorISI_EEEEENSH_IJSG_SG_SG_EEES9_SI_JZNS1_25segmented_radix_sort_implINS0_14default_configELb0EPKbPbPKlPlN2at6native12_GLOBAL__N_18offset_tEEE10hipError_tPvRmT1_PNSt15iterator_traitsIS12_E10value_typeET2_T3_PNS13_IS18_E10value_typeET4_jRbjT5_S1E_jjP12ihipStream_tbEUljE_ZNSN_ISO_Lb0ESQ_SR_ST_SU_SY_EESZ_S10_S11_S12_S16_S17_S18_S1B_S1C_jS1D_jS1E_S1E_jjS1G_bEUljE0_EEESZ_S10_S11_S18_S1C_S1E_T6_T7_T9_mT8_S1G_bDpT10_ENKUlT_T0_E_clISt17integral_constantIbLb1EES1T_IbLb0EEEEDaS1P_S1Q_EUlS1P_E_NS1_11comp_targetILNS1_3genE8ELNS1_11target_archE1030ELNS1_3gpuE2ELNS1_3repE0EEENS1_30default_config_static_selectorELNS0_4arch9wavefront6targetE1EEEvS12_,@function
_ZN7rocprim17ROCPRIM_400000_NS6detail17trampoline_kernelINS0_13select_configILj256ELj13ELNS0_17block_load_methodE3ELS4_3ELS4_3ELNS0_20block_scan_algorithmE0ELj4294967295EEENS1_25partition_config_selectorILNS1_17partition_subalgoE4EjNS0_10empty_typeEbEEZZNS1_14partition_implILS8_4ELb0ES6_15HIP_vector_typeIjLj2EENS0_17counting_iteratorIjlEEPS9_SG_NS0_5tupleIJPjSI_NS0_16reverse_iteratorISI_EEEEENSH_IJSG_SG_SG_EEES9_SI_JZNS1_25segmented_radix_sort_implINS0_14default_configELb0EPKbPbPKlPlN2at6native12_GLOBAL__N_18offset_tEEE10hipError_tPvRmT1_PNSt15iterator_traitsIS12_E10value_typeET2_T3_PNS13_IS18_E10value_typeET4_jRbjT5_S1E_jjP12ihipStream_tbEUljE_ZNSN_ISO_Lb0ESQ_SR_ST_SU_SY_EESZ_S10_S11_S12_S16_S17_S18_S1B_S1C_jS1D_jS1E_S1E_jjS1G_bEUljE0_EEESZ_S10_S11_S18_S1C_S1E_T6_T7_T9_mT8_S1G_bDpT10_ENKUlT_T0_E_clISt17integral_constantIbLb1EES1T_IbLb0EEEEDaS1P_S1Q_EUlS1P_E_NS1_11comp_targetILNS1_3genE8ELNS1_11target_archE1030ELNS1_3gpuE2ELNS1_3repE0EEENS1_30default_config_static_selectorELNS0_4arch9wavefront6targetE1EEEvS12_: ; @_ZN7rocprim17ROCPRIM_400000_NS6detail17trampoline_kernelINS0_13select_configILj256ELj13ELNS0_17block_load_methodE3ELS4_3ELS4_3ELNS0_20block_scan_algorithmE0ELj4294967295EEENS1_25partition_config_selectorILNS1_17partition_subalgoE4EjNS0_10empty_typeEbEEZZNS1_14partition_implILS8_4ELb0ES6_15HIP_vector_typeIjLj2EENS0_17counting_iteratorIjlEEPS9_SG_NS0_5tupleIJPjSI_NS0_16reverse_iteratorISI_EEEEENSH_IJSG_SG_SG_EEES9_SI_JZNS1_25segmented_radix_sort_implINS0_14default_configELb0EPKbPbPKlPlN2at6native12_GLOBAL__N_18offset_tEEE10hipError_tPvRmT1_PNSt15iterator_traitsIS12_E10value_typeET2_T3_PNS13_IS18_E10value_typeET4_jRbjT5_S1E_jjP12ihipStream_tbEUljE_ZNSN_ISO_Lb0ESQ_SR_ST_SU_SY_EESZ_S10_S11_S12_S16_S17_S18_S1B_S1C_jS1D_jS1E_S1E_jjS1G_bEUljE0_EEESZ_S10_S11_S18_S1C_S1E_T6_T7_T9_mT8_S1G_bDpT10_ENKUlT_T0_E_clISt17integral_constantIbLb1EES1T_IbLb0EEEEDaS1P_S1Q_EUlS1P_E_NS1_11comp_targetILNS1_3genE8ELNS1_11target_archE1030ELNS1_3gpuE2ELNS1_3repE0EEENS1_30default_config_static_selectorELNS0_4arch9wavefront6targetE1EEEvS12_
; %bb.0:
	.section	.rodata,"a",@progbits
	.p2align	6, 0x0
	.amdhsa_kernel _ZN7rocprim17ROCPRIM_400000_NS6detail17trampoline_kernelINS0_13select_configILj256ELj13ELNS0_17block_load_methodE3ELS4_3ELS4_3ELNS0_20block_scan_algorithmE0ELj4294967295EEENS1_25partition_config_selectorILNS1_17partition_subalgoE4EjNS0_10empty_typeEbEEZZNS1_14partition_implILS8_4ELb0ES6_15HIP_vector_typeIjLj2EENS0_17counting_iteratorIjlEEPS9_SG_NS0_5tupleIJPjSI_NS0_16reverse_iteratorISI_EEEEENSH_IJSG_SG_SG_EEES9_SI_JZNS1_25segmented_radix_sort_implINS0_14default_configELb0EPKbPbPKlPlN2at6native12_GLOBAL__N_18offset_tEEE10hipError_tPvRmT1_PNSt15iterator_traitsIS12_E10value_typeET2_T3_PNS13_IS18_E10value_typeET4_jRbjT5_S1E_jjP12ihipStream_tbEUljE_ZNSN_ISO_Lb0ESQ_SR_ST_SU_SY_EESZ_S10_S11_S12_S16_S17_S18_S1B_S1C_jS1D_jS1E_S1E_jjS1G_bEUljE0_EEESZ_S10_S11_S18_S1C_S1E_T6_T7_T9_mT8_S1G_bDpT10_ENKUlT_T0_E_clISt17integral_constantIbLb1EES1T_IbLb0EEEEDaS1P_S1Q_EUlS1P_E_NS1_11comp_targetILNS1_3genE8ELNS1_11target_archE1030ELNS1_3gpuE2ELNS1_3repE0EEENS1_30default_config_static_selectorELNS0_4arch9wavefront6targetE1EEEvS12_
		.amdhsa_group_segment_fixed_size 0
		.amdhsa_private_segment_fixed_size 0
		.amdhsa_kernarg_size 176
		.amdhsa_user_sgpr_count 6
		.amdhsa_user_sgpr_private_segment_buffer 1
		.amdhsa_user_sgpr_dispatch_ptr 0
		.amdhsa_user_sgpr_queue_ptr 0
		.amdhsa_user_sgpr_kernarg_segment_ptr 1
		.amdhsa_user_sgpr_dispatch_id 0
		.amdhsa_user_sgpr_flat_scratch_init 0
		.amdhsa_user_sgpr_private_segment_size 0
		.amdhsa_uses_dynamic_stack 0
		.amdhsa_system_sgpr_private_segment_wavefront_offset 0
		.amdhsa_system_sgpr_workgroup_id_x 1
		.amdhsa_system_sgpr_workgroup_id_y 0
		.amdhsa_system_sgpr_workgroup_id_z 0
		.amdhsa_system_sgpr_workgroup_info 0
		.amdhsa_system_vgpr_workitem_id 0
		.amdhsa_next_free_vgpr 1
		.amdhsa_next_free_sgpr 0
		.amdhsa_reserve_vcc 0
		.amdhsa_reserve_flat_scratch 0
		.amdhsa_float_round_mode_32 0
		.amdhsa_float_round_mode_16_64 0
		.amdhsa_float_denorm_mode_32 3
		.amdhsa_float_denorm_mode_16_64 3
		.amdhsa_dx10_clamp 1
		.amdhsa_ieee_mode 1
		.amdhsa_fp16_overflow 0
		.amdhsa_exception_fp_ieee_invalid_op 0
		.amdhsa_exception_fp_denorm_src 0
		.amdhsa_exception_fp_ieee_div_zero 0
		.amdhsa_exception_fp_ieee_overflow 0
		.amdhsa_exception_fp_ieee_underflow 0
		.amdhsa_exception_fp_ieee_inexact 0
		.amdhsa_exception_int_div_zero 0
	.end_amdhsa_kernel
	.section	.text._ZN7rocprim17ROCPRIM_400000_NS6detail17trampoline_kernelINS0_13select_configILj256ELj13ELNS0_17block_load_methodE3ELS4_3ELS4_3ELNS0_20block_scan_algorithmE0ELj4294967295EEENS1_25partition_config_selectorILNS1_17partition_subalgoE4EjNS0_10empty_typeEbEEZZNS1_14partition_implILS8_4ELb0ES6_15HIP_vector_typeIjLj2EENS0_17counting_iteratorIjlEEPS9_SG_NS0_5tupleIJPjSI_NS0_16reverse_iteratorISI_EEEEENSH_IJSG_SG_SG_EEES9_SI_JZNS1_25segmented_radix_sort_implINS0_14default_configELb0EPKbPbPKlPlN2at6native12_GLOBAL__N_18offset_tEEE10hipError_tPvRmT1_PNSt15iterator_traitsIS12_E10value_typeET2_T3_PNS13_IS18_E10value_typeET4_jRbjT5_S1E_jjP12ihipStream_tbEUljE_ZNSN_ISO_Lb0ESQ_SR_ST_SU_SY_EESZ_S10_S11_S12_S16_S17_S18_S1B_S1C_jS1D_jS1E_S1E_jjS1G_bEUljE0_EEESZ_S10_S11_S18_S1C_S1E_T6_T7_T9_mT8_S1G_bDpT10_ENKUlT_T0_E_clISt17integral_constantIbLb1EES1T_IbLb0EEEEDaS1P_S1Q_EUlS1P_E_NS1_11comp_targetILNS1_3genE8ELNS1_11target_archE1030ELNS1_3gpuE2ELNS1_3repE0EEENS1_30default_config_static_selectorELNS0_4arch9wavefront6targetE1EEEvS12_,"axG",@progbits,_ZN7rocprim17ROCPRIM_400000_NS6detail17trampoline_kernelINS0_13select_configILj256ELj13ELNS0_17block_load_methodE3ELS4_3ELS4_3ELNS0_20block_scan_algorithmE0ELj4294967295EEENS1_25partition_config_selectorILNS1_17partition_subalgoE4EjNS0_10empty_typeEbEEZZNS1_14partition_implILS8_4ELb0ES6_15HIP_vector_typeIjLj2EENS0_17counting_iteratorIjlEEPS9_SG_NS0_5tupleIJPjSI_NS0_16reverse_iteratorISI_EEEEENSH_IJSG_SG_SG_EEES9_SI_JZNS1_25segmented_radix_sort_implINS0_14default_configELb0EPKbPbPKlPlN2at6native12_GLOBAL__N_18offset_tEEE10hipError_tPvRmT1_PNSt15iterator_traitsIS12_E10value_typeET2_T3_PNS13_IS18_E10value_typeET4_jRbjT5_S1E_jjP12ihipStream_tbEUljE_ZNSN_ISO_Lb0ESQ_SR_ST_SU_SY_EESZ_S10_S11_S12_S16_S17_S18_S1B_S1C_jS1D_jS1E_S1E_jjS1G_bEUljE0_EEESZ_S10_S11_S18_S1C_S1E_T6_T7_T9_mT8_S1G_bDpT10_ENKUlT_T0_E_clISt17integral_constantIbLb1EES1T_IbLb0EEEEDaS1P_S1Q_EUlS1P_E_NS1_11comp_targetILNS1_3genE8ELNS1_11target_archE1030ELNS1_3gpuE2ELNS1_3repE0EEENS1_30default_config_static_selectorELNS0_4arch9wavefront6targetE1EEEvS12_,comdat
.Lfunc_end1594:
	.size	_ZN7rocprim17ROCPRIM_400000_NS6detail17trampoline_kernelINS0_13select_configILj256ELj13ELNS0_17block_load_methodE3ELS4_3ELS4_3ELNS0_20block_scan_algorithmE0ELj4294967295EEENS1_25partition_config_selectorILNS1_17partition_subalgoE4EjNS0_10empty_typeEbEEZZNS1_14partition_implILS8_4ELb0ES6_15HIP_vector_typeIjLj2EENS0_17counting_iteratorIjlEEPS9_SG_NS0_5tupleIJPjSI_NS0_16reverse_iteratorISI_EEEEENSH_IJSG_SG_SG_EEES9_SI_JZNS1_25segmented_radix_sort_implINS0_14default_configELb0EPKbPbPKlPlN2at6native12_GLOBAL__N_18offset_tEEE10hipError_tPvRmT1_PNSt15iterator_traitsIS12_E10value_typeET2_T3_PNS13_IS18_E10value_typeET4_jRbjT5_S1E_jjP12ihipStream_tbEUljE_ZNSN_ISO_Lb0ESQ_SR_ST_SU_SY_EESZ_S10_S11_S12_S16_S17_S18_S1B_S1C_jS1D_jS1E_S1E_jjS1G_bEUljE0_EEESZ_S10_S11_S18_S1C_S1E_T6_T7_T9_mT8_S1G_bDpT10_ENKUlT_T0_E_clISt17integral_constantIbLb1EES1T_IbLb0EEEEDaS1P_S1Q_EUlS1P_E_NS1_11comp_targetILNS1_3genE8ELNS1_11target_archE1030ELNS1_3gpuE2ELNS1_3repE0EEENS1_30default_config_static_selectorELNS0_4arch9wavefront6targetE1EEEvS12_, .Lfunc_end1594-_ZN7rocprim17ROCPRIM_400000_NS6detail17trampoline_kernelINS0_13select_configILj256ELj13ELNS0_17block_load_methodE3ELS4_3ELS4_3ELNS0_20block_scan_algorithmE0ELj4294967295EEENS1_25partition_config_selectorILNS1_17partition_subalgoE4EjNS0_10empty_typeEbEEZZNS1_14partition_implILS8_4ELb0ES6_15HIP_vector_typeIjLj2EENS0_17counting_iteratorIjlEEPS9_SG_NS0_5tupleIJPjSI_NS0_16reverse_iteratorISI_EEEEENSH_IJSG_SG_SG_EEES9_SI_JZNS1_25segmented_radix_sort_implINS0_14default_configELb0EPKbPbPKlPlN2at6native12_GLOBAL__N_18offset_tEEE10hipError_tPvRmT1_PNSt15iterator_traitsIS12_E10value_typeET2_T3_PNS13_IS18_E10value_typeET4_jRbjT5_S1E_jjP12ihipStream_tbEUljE_ZNSN_ISO_Lb0ESQ_SR_ST_SU_SY_EESZ_S10_S11_S12_S16_S17_S18_S1B_S1C_jS1D_jS1E_S1E_jjS1G_bEUljE0_EEESZ_S10_S11_S18_S1C_S1E_T6_T7_T9_mT8_S1G_bDpT10_ENKUlT_T0_E_clISt17integral_constantIbLb1EES1T_IbLb0EEEEDaS1P_S1Q_EUlS1P_E_NS1_11comp_targetILNS1_3genE8ELNS1_11target_archE1030ELNS1_3gpuE2ELNS1_3repE0EEENS1_30default_config_static_selectorELNS0_4arch9wavefront6targetE1EEEvS12_
                                        ; -- End function
	.set _ZN7rocprim17ROCPRIM_400000_NS6detail17trampoline_kernelINS0_13select_configILj256ELj13ELNS0_17block_load_methodE3ELS4_3ELS4_3ELNS0_20block_scan_algorithmE0ELj4294967295EEENS1_25partition_config_selectorILNS1_17partition_subalgoE4EjNS0_10empty_typeEbEEZZNS1_14partition_implILS8_4ELb0ES6_15HIP_vector_typeIjLj2EENS0_17counting_iteratorIjlEEPS9_SG_NS0_5tupleIJPjSI_NS0_16reverse_iteratorISI_EEEEENSH_IJSG_SG_SG_EEES9_SI_JZNS1_25segmented_radix_sort_implINS0_14default_configELb0EPKbPbPKlPlN2at6native12_GLOBAL__N_18offset_tEEE10hipError_tPvRmT1_PNSt15iterator_traitsIS12_E10value_typeET2_T3_PNS13_IS18_E10value_typeET4_jRbjT5_S1E_jjP12ihipStream_tbEUljE_ZNSN_ISO_Lb0ESQ_SR_ST_SU_SY_EESZ_S10_S11_S12_S16_S17_S18_S1B_S1C_jS1D_jS1E_S1E_jjS1G_bEUljE0_EEESZ_S10_S11_S18_S1C_S1E_T6_T7_T9_mT8_S1G_bDpT10_ENKUlT_T0_E_clISt17integral_constantIbLb1EES1T_IbLb0EEEEDaS1P_S1Q_EUlS1P_E_NS1_11comp_targetILNS1_3genE8ELNS1_11target_archE1030ELNS1_3gpuE2ELNS1_3repE0EEENS1_30default_config_static_selectorELNS0_4arch9wavefront6targetE1EEEvS12_.num_vgpr, 0
	.set _ZN7rocprim17ROCPRIM_400000_NS6detail17trampoline_kernelINS0_13select_configILj256ELj13ELNS0_17block_load_methodE3ELS4_3ELS4_3ELNS0_20block_scan_algorithmE0ELj4294967295EEENS1_25partition_config_selectorILNS1_17partition_subalgoE4EjNS0_10empty_typeEbEEZZNS1_14partition_implILS8_4ELb0ES6_15HIP_vector_typeIjLj2EENS0_17counting_iteratorIjlEEPS9_SG_NS0_5tupleIJPjSI_NS0_16reverse_iteratorISI_EEEEENSH_IJSG_SG_SG_EEES9_SI_JZNS1_25segmented_radix_sort_implINS0_14default_configELb0EPKbPbPKlPlN2at6native12_GLOBAL__N_18offset_tEEE10hipError_tPvRmT1_PNSt15iterator_traitsIS12_E10value_typeET2_T3_PNS13_IS18_E10value_typeET4_jRbjT5_S1E_jjP12ihipStream_tbEUljE_ZNSN_ISO_Lb0ESQ_SR_ST_SU_SY_EESZ_S10_S11_S12_S16_S17_S18_S1B_S1C_jS1D_jS1E_S1E_jjS1G_bEUljE0_EEESZ_S10_S11_S18_S1C_S1E_T6_T7_T9_mT8_S1G_bDpT10_ENKUlT_T0_E_clISt17integral_constantIbLb1EES1T_IbLb0EEEEDaS1P_S1Q_EUlS1P_E_NS1_11comp_targetILNS1_3genE8ELNS1_11target_archE1030ELNS1_3gpuE2ELNS1_3repE0EEENS1_30default_config_static_selectorELNS0_4arch9wavefront6targetE1EEEvS12_.num_agpr, 0
	.set _ZN7rocprim17ROCPRIM_400000_NS6detail17trampoline_kernelINS0_13select_configILj256ELj13ELNS0_17block_load_methodE3ELS4_3ELS4_3ELNS0_20block_scan_algorithmE0ELj4294967295EEENS1_25partition_config_selectorILNS1_17partition_subalgoE4EjNS0_10empty_typeEbEEZZNS1_14partition_implILS8_4ELb0ES6_15HIP_vector_typeIjLj2EENS0_17counting_iteratorIjlEEPS9_SG_NS0_5tupleIJPjSI_NS0_16reverse_iteratorISI_EEEEENSH_IJSG_SG_SG_EEES9_SI_JZNS1_25segmented_radix_sort_implINS0_14default_configELb0EPKbPbPKlPlN2at6native12_GLOBAL__N_18offset_tEEE10hipError_tPvRmT1_PNSt15iterator_traitsIS12_E10value_typeET2_T3_PNS13_IS18_E10value_typeET4_jRbjT5_S1E_jjP12ihipStream_tbEUljE_ZNSN_ISO_Lb0ESQ_SR_ST_SU_SY_EESZ_S10_S11_S12_S16_S17_S18_S1B_S1C_jS1D_jS1E_S1E_jjS1G_bEUljE0_EEESZ_S10_S11_S18_S1C_S1E_T6_T7_T9_mT8_S1G_bDpT10_ENKUlT_T0_E_clISt17integral_constantIbLb1EES1T_IbLb0EEEEDaS1P_S1Q_EUlS1P_E_NS1_11comp_targetILNS1_3genE8ELNS1_11target_archE1030ELNS1_3gpuE2ELNS1_3repE0EEENS1_30default_config_static_selectorELNS0_4arch9wavefront6targetE1EEEvS12_.numbered_sgpr, 0
	.set _ZN7rocprim17ROCPRIM_400000_NS6detail17trampoline_kernelINS0_13select_configILj256ELj13ELNS0_17block_load_methodE3ELS4_3ELS4_3ELNS0_20block_scan_algorithmE0ELj4294967295EEENS1_25partition_config_selectorILNS1_17partition_subalgoE4EjNS0_10empty_typeEbEEZZNS1_14partition_implILS8_4ELb0ES6_15HIP_vector_typeIjLj2EENS0_17counting_iteratorIjlEEPS9_SG_NS0_5tupleIJPjSI_NS0_16reverse_iteratorISI_EEEEENSH_IJSG_SG_SG_EEES9_SI_JZNS1_25segmented_radix_sort_implINS0_14default_configELb0EPKbPbPKlPlN2at6native12_GLOBAL__N_18offset_tEEE10hipError_tPvRmT1_PNSt15iterator_traitsIS12_E10value_typeET2_T3_PNS13_IS18_E10value_typeET4_jRbjT5_S1E_jjP12ihipStream_tbEUljE_ZNSN_ISO_Lb0ESQ_SR_ST_SU_SY_EESZ_S10_S11_S12_S16_S17_S18_S1B_S1C_jS1D_jS1E_S1E_jjS1G_bEUljE0_EEESZ_S10_S11_S18_S1C_S1E_T6_T7_T9_mT8_S1G_bDpT10_ENKUlT_T0_E_clISt17integral_constantIbLb1EES1T_IbLb0EEEEDaS1P_S1Q_EUlS1P_E_NS1_11comp_targetILNS1_3genE8ELNS1_11target_archE1030ELNS1_3gpuE2ELNS1_3repE0EEENS1_30default_config_static_selectorELNS0_4arch9wavefront6targetE1EEEvS12_.num_named_barrier, 0
	.set _ZN7rocprim17ROCPRIM_400000_NS6detail17trampoline_kernelINS0_13select_configILj256ELj13ELNS0_17block_load_methodE3ELS4_3ELS4_3ELNS0_20block_scan_algorithmE0ELj4294967295EEENS1_25partition_config_selectorILNS1_17partition_subalgoE4EjNS0_10empty_typeEbEEZZNS1_14partition_implILS8_4ELb0ES6_15HIP_vector_typeIjLj2EENS0_17counting_iteratorIjlEEPS9_SG_NS0_5tupleIJPjSI_NS0_16reverse_iteratorISI_EEEEENSH_IJSG_SG_SG_EEES9_SI_JZNS1_25segmented_radix_sort_implINS0_14default_configELb0EPKbPbPKlPlN2at6native12_GLOBAL__N_18offset_tEEE10hipError_tPvRmT1_PNSt15iterator_traitsIS12_E10value_typeET2_T3_PNS13_IS18_E10value_typeET4_jRbjT5_S1E_jjP12ihipStream_tbEUljE_ZNSN_ISO_Lb0ESQ_SR_ST_SU_SY_EESZ_S10_S11_S12_S16_S17_S18_S1B_S1C_jS1D_jS1E_S1E_jjS1G_bEUljE0_EEESZ_S10_S11_S18_S1C_S1E_T6_T7_T9_mT8_S1G_bDpT10_ENKUlT_T0_E_clISt17integral_constantIbLb1EES1T_IbLb0EEEEDaS1P_S1Q_EUlS1P_E_NS1_11comp_targetILNS1_3genE8ELNS1_11target_archE1030ELNS1_3gpuE2ELNS1_3repE0EEENS1_30default_config_static_selectorELNS0_4arch9wavefront6targetE1EEEvS12_.private_seg_size, 0
	.set _ZN7rocprim17ROCPRIM_400000_NS6detail17trampoline_kernelINS0_13select_configILj256ELj13ELNS0_17block_load_methodE3ELS4_3ELS4_3ELNS0_20block_scan_algorithmE0ELj4294967295EEENS1_25partition_config_selectorILNS1_17partition_subalgoE4EjNS0_10empty_typeEbEEZZNS1_14partition_implILS8_4ELb0ES6_15HIP_vector_typeIjLj2EENS0_17counting_iteratorIjlEEPS9_SG_NS0_5tupleIJPjSI_NS0_16reverse_iteratorISI_EEEEENSH_IJSG_SG_SG_EEES9_SI_JZNS1_25segmented_radix_sort_implINS0_14default_configELb0EPKbPbPKlPlN2at6native12_GLOBAL__N_18offset_tEEE10hipError_tPvRmT1_PNSt15iterator_traitsIS12_E10value_typeET2_T3_PNS13_IS18_E10value_typeET4_jRbjT5_S1E_jjP12ihipStream_tbEUljE_ZNSN_ISO_Lb0ESQ_SR_ST_SU_SY_EESZ_S10_S11_S12_S16_S17_S18_S1B_S1C_jS1D_jS1E_S1E_jjS1G_bEUljE0_EEESZ_S10_S11_S18_S1C_S1E_T6_T7_T9_mT8_S1G_bDpT10_ENKUlT_T0_E_clISt17integral_constantIbLb1EES1T_IbLb0EEEEDaS1P_S1Q_EUlS1P_E_NS1_11comp_targetILNS1_3genE8ELNS1_11target_archE1030ELNS1_3gpuE2ELNS1_3repE0EEENS1_30default_config_static_selectorELNS0_4arch9wavefront6targetE1EEEvS12_.uses_vcc, 0
	.set _ZN7rocprim17ROCPRIM_400000_NS6detail17trampoline_kernelINS0_13select_configILj256ELj13ELNS0_17block_load_methodE3ELS4_3ELS4_3ELNS0_20block_scan_algorithmE0ELj4294967295EEENS1_25partition_config_selectorILNS1_17partition_subalgoE4EjNS0_10empty_typeEbEEZZNS1_14partition_implILS8_4ELb0ES6_15HIP_vector_typeIjLj2EENS0_17counting_iteratorIjlEEPS9_SG_NS0_5tupleIJPjSI_NS0_16reverse_iteratorISI_EEEEENSH_IJSG_SG_SG_EEES9_SI_JZNS1_25segmented_radix_sort_implINS0_14default_configELb0EPKbPbPKlPlN2at6native12_GLOBAL__N_18offset_tEEE10hipError_tPvRmT1_PNSt15iterator_traitsIS12_E10value_typeET2_T3_PNS13_IS18_E10value_typeET4_jRbjT5_S1E_jjP12ihipStream_tbEUljE_ZNSN_ISO_Lb0ESQ_SR_ST_SU_SY_EESZ_S10_S11_S12_S16_S17_S18_S1B_S1C_jS1D_jS1E_S1E_jjS1G_bEUljE0_EEESZ_S10_S11_S18_S1C_S1E_T6_T7_T9_mT8_S1G_bDpT10_ENKUlT_T0_E_clISt17integral_constantIbLb1EES1T_IbLb0EEEEDaS1P_S1Q_EUlS1P_E_NS1_11comp_targetILNS1_3genE8ELNS1_11target_archE1030ELNS1_3gpuE2ELNS1_3repE0EEENS1_30default_config_static_selectorELNS0_4arch9wavefront6targetE1EEEvS12_.uses_flat_scratch, 0
	.set _ZN7rocprim17ROCPRIM_400000_NS6detail17trampoline_kernelINS0_13select_configILj256ELj13ELNS0_17block_load_methodE3ELS4_3ELS4_3ELNS0_20block_scan_algorithmE0ELj4294967295EEENS1_25partition_config_selectorILNS1_17partition_subalgoE4EjNS0_10empty_typeEbEEZZNS1_14partition_implILS8_4ELb0ES6_15HIP_vector_typeIjLj2EENS0_17counting_iteratorIjlEEPS9_SG_NS0_5tupleIJPjSI_NS0_16reverse_iteratorISI_EEEEENSH_IJSG_SG_SG_EEES9_SI_JZNS1_25segmented_radix_sort_implINS0_14default_configELb0EPKbPbPKlPlN2at6native12_GLOBAL__N_18offset_tEEE10hipError_tPvRmT1_PNSt15iterator_traitsIS12_E10value_typeET2_T3_PNS13_IS18_E10value_typeET4_jRbjT5_S1E_jjP12ihipStream_tbEUljE_ZNSN_ISO_Lb0ESQ_SR_ST_SU_SY_EESZ_S10_S11_S12_S16_S17_S18_S1B_S1C_jS1D_jS1E_S1E_jjS1G_bEUljE0_EEESZ_S10_S11_S18_S1C_S1E_T6_T7_T9_mT8_S1G_bDpT10_ENKUlT_T0_E_clISt17integral_constantIbLb1EES1T_IbLb0EEEEDaS1P_S1Q_EUlS1P_E_NS1_11comp_targetILNS1_3genE8ELNS1_11target_archE1030ELNS1_3gpuE2ELNS1_3repE0EEENS1_30default_config_static_selectorELNS0_4arch9wavefront6targetE1EEEvS12_.has_dyn_sized_stack, 0
	.set _ZN7rocprim17ROCPRIM_400000_NS6detail17trampoline_kernelINS0_13select_configILj256ELj13ELNS0_17block_load_methodE3ELS4_3ELS4_3ELNS0_20block_scan_algorithmE0ELj4294967295EEENS1_25partition_config_selectorILNS1_17partition_subalgoE4EjNS0_10empty_typeEbEEZZNS1_14partition_implILS8_4ELb0ES6_15HIP_vector_typeIjLj2EENS0_17counting_iteratorIjlEEPS9_SG_NS0_5tupleIJPjSI_NS0_16reverse_iteratorISI_EEEEENSH_IJSG_SG_SG_EEES9_SI_JZNS1_25segmented_radix_sort_implINS0_14default_configELb0EPKbPbPKlPlN2at6native12_GLOBAL__N_18offset_tEEE10hipError_tPvRmT1_PNSt15iterator_traitsIS12_E10value_typeET2_T3_PNS13_IS18_E10value_typeET4_jRbjT5_S1E_jjP12ihipStream_tbEUljE_ZNSN_ISO_Lb0ESQ_SR_ST_SU_SY_EESZ_S10_S11_S12_S16_S17_S18_S1B_S1C_jS1D_jS1E_S1E_jjS1G_bEUljE0_EEESZ_S10_S11_S18_S1C_S1E_T6_T7_T9_mT8_S1G_bDpT10_ENKUlT_T0_E_clISt17integral_constantIbLb1EES1T_IbLb0EEEEDaS1P_S1Q_EUlS1P_E_NS1_11comp_targetILNS1_3genE8ELNS1_11target_archE1030ELNS1_3gpuE2ELNS1_3repE0EEENS1_30default_config_static_selectorELNS0_4arch9wavefront6targetE1EEEvS12_.has_recursion, 0
	.set _ZN7rocprim17ROCPRIM_400000_NS6detail17trampoline_kernelINS0_13select_configILj256ELj13ELNS0_17block_load_methodE3ELS4_3ELS4_3ELNS0_20block_scan_algorithmE0ELj4294967295EEENS1_25partition_config_selectorILNS1_17partition_subalgoE4EjNS0_10empty_typeEbEEZZNS1_14partition_implILS8_4ELb0ES6_15HIP_vector_typeIjLj2EENS0_17counting_iteratorIjlEEPS9_SG_NS0_5tupleIJPjSI_NS0_16reverse_iteratorISI_EEEEENSH_IJSG_SG_SG_EEES9_SI_JZNS1_25segmented_radix_sort_implINS0_14default_configELb0EPKbPbPKlPlN2at6native12_GLOBAL__N_18offset_tEEE10hipError_tPvRmT1_PNSt15iterator_traitsIS12_E10value_typeET2_T3_PNS13_IS18_E10value_typeET4_jRbjT5_S1E_jjP12ihipStream_tbEUljE_ZNSN_ISO_Lb0ESQ_SR_ST_SU_SY_EESZ_S10_S11_S12_S16_S17_S18_S1B_S1C_jS1D_jS1E_S1E_jjS1G_bEUljE0_EEESZ_S10_S11_S18_S1C_S1E_T6_T7_T9_mT8_S1G_bDpT10_ENKUlT_T0_E_clISt17integral_constantIbLb1EES1T_IbLb0EEEEDaS1P_S1Q_EUlS1P_E_NS1_11comp_targetILNS1_3genE8ELNS1_11target_archE1030ELNS1_3gpuE2ELNS1_3repE0EEENS1_30default_config_static_selectorELNS0_4arch9wavefront6targetE1EEEvS12_.has_indirect_call, 0
	.section	.AMDGPU.csdata,"",@progbits
; Kernel info:
; codeLenInByte = 0
; TotalNumSgprs: 4
; NumVgprs: 0
; ScratchSize: 0
; MemoryBound: 0
; FloatMode: 240
; IeeeMode: 1
; LDSByteSize: 0 bytes/workgroup (compile time only)
; SGPRBlocks: 0
; VGPRBlocks: 0
; NumSGPRsForWavesPerEU: 4
; NumVGPRsForWavesPerEU: 1
; Occupancy: 10
; WaveLimiterHint : 0
; COMPUTE_PGM_RSRC2:SCRATCH_EN: 0
; COMPUTE_PGM_RSRC2:USER_SGPR: 6
; COMPUTE_PGM_RSRC2:TRAP_HANDLER: 0
; COMPUTE_PGM_RSRC2:TGID_X_EN: 1
; COMPUTE_PGM_RSRC2:TGID_Y_EN: 0
; COMPUTE_PGM_RSRC2:TGID_Z_EN: 0
; COMPUTE_PGM_RSRC2:TIDIG_COMP_CNT: 0
	.section	.text._ZN7rocprim17ROCPRIM_400000_NS6detail17trampoline_kernelINS0_13select_configILj256ELj13ELNS0_17block_load_methodE3ELS4_3ELS4_3ELNS0_20block_scan_algorithmE0ELj4294967295EEENS1_25partition_config_selectorILNS1_17partition_subalgoE4EjNS0_10empty_typeEbEEZZNS1_14partition_implILS8_4ELb0ES6_15HIP_vector_typeIjLj2EENS0_17counting_iteratorIjlEEPS9_SG_NS0_5tupleIJPjSI_NS0_16reverse_iteratorISI_EEEEENSH_IJSG_SG_SG_EEES9_SI_JZNS1_25segmented_radix_sort_implINS0_14default_configELb0EPKbPbPKlPlN2at6native12_GLOBAL__N_18offset_tEEE10hipError_tPvRmT1_PNSt15iterator_traitsIS12_E10value_typeET2_T3_PNS13_IS18_E10value_typeET4_jRbjT5_S1E_jjP12ihipStream_tbEUljE_ZNSN_ISO_Lb0ESQ_SR_ST_SU_SY_EESZ_S10_S11_S12_S16_S17_S18_S1B_S1C_jS1D_jS1E_S1E_jjS1G_bEUljE0_EEESZ_S10_S11_S18_S1C_S1E_T6_T7_T9_mT8_S1G_bDpT10_ENKUlT_T0_E_clISt17integral_constantIbLb0EES1T_IbLb1EEEEDaS1P_S1Q_EUlS1P_E_NS1_11comp_targetILNS1_3genE0ELNS1_11target_archE4294967295ELNS1_3gpuE0ELNS1_3repE0EEENS1_30default_config_static_selectorELNS0_4arch9wavefront6targetE1EEEvS12_,"axG",@progbits,_ZN7rocprim17ROCPRIM_400000_NS6detail17trampoline_kernelINS0_13select_configILj256ELj13ELNS0_17block_load_methodE3ELS4_3ELS4_3ELNS0_20block_scan_algorithmE0ELj4294967295EEENS1_25partition_config_selectorILNS1_17partition_subalgoE4EjNS0_10empty_typeEbEEZZNS1_14partition_implILS8_4ELb0ES6_15HIP_vector_typeIjLj2EENS0_17counting_iteratorIjlEEPS9_SG_NS0_5tupleIJPjSI_NS0_16reverse_iteratorISI_EEEEENSH_IJSG_SG_SG_EEES9_SI_JZNS1_25segmented_radix_sort_implINS0_14default_configELb0EPKbPbPKlPlN2at6native12_GLOBAL__N_18offset_tEEE10hipError_tPvRmT1_PNSt15iterator_traitsIS12_E10value_typeET2_T3_PNS13_IS18_E10value_typeET4_jRbjT5_S1E_jjP12ihipStream_tbEUljE_ZNSN_ISO_Lb0ESQ_SR_ST_SU_SY_EESZ_S10_S11_S12_S16_S17_S18_S1B_S1C_jS1D_jS1E_S1E_jjS1G_bEUljE0_EEESZ_S10_S11_S18_S1C_S1E_T6_T7_T9_mT8_S1G_bDpT10_ENKUlT_T0_E_clISt17integral_constantIbLb0EES1T_IbLb1EEEEDaS1P_S1Q_EUlS1P_E_NS1_11comp_targetILNS1_3genE0ELNS1_11target_archE4294967295ELNS1_3gpuE0ELNS1_3repE0EEENS1_30default_config_static_selectorELNS0_4arch9wavefront6targetE1EEEvS12_,comdat
	.globl	_ZN7rocprim17ROCPRIM_400000_NS6detail17trampoline_kernelINS0_13select_configILj256ELj13ELNS0_17block_load_methodE3ELS4_3ELS4_3ELNS0_20block_scan_algorithmE0ELj4294967295EEENS1_25partition_config_selectorILNS1_17partition_subalgoE4EjNS0_10empty_typeEbEEZZNS1_14partition_implILS8_4ELb0ES6_15HIP_vector_typeIjLj2EENS0_17counting_iteratorIjlEEPS9_SG_NS0_5tupleIJPjSI_NS0_16reverse_iteratorISI_EEEEENSH_IJSG_SG_SG_EEES9_SI_JZNS1_25segmented_radix_sort_implINS0_14default_configELb0EPKbPbPKlPlN2at6native12_GLOBAL__N_18offset_tEEE10hipError_tPvRmT1_PNSt15iterator_traitsIS12_E10value_typeET2_T3_PNS13_IS18_E10value_typeET4_jRbjT5_S1E_jjP12ihipStream_tbEUljE_ZNSN_ISO_Lb0ESQ_SR_ST_SU_SY_EESZ_S10_S11_S12_S16_S17_S18_S1B_S1C_jS1D_jS1E_S1E_jjS1G_bEUljE0_EEESZ_S10_S11_S18_S1C_S1E_T6_T7_T9_mT8_S1G_bDpT10_ENKUlT_T0_E_clISt17integral_constantIbLb0EES1T_IbLb1EEEEDaS1P_S1Q_EUlS1P_E_NS1_11comp_targetILNS1_3genE0ELNS1_11target_archE4294967295ELNS1_3gpuE0ELNS1_3repE0EEENS1_30default_config_static_selectorELNS0_4arch9wavefront6targetE1EEEvS12_ ; -- Begin function _ZN7rocprim17ROCPRIM_400000_NS6detail17trampoline_kernelINS0_13select_configILj256ELj13ELNS0_17block_load_methodE3ELS4_3ELS4_3ELNS0_20block_scan_algorithmE0ELj4294967295EEENS1_25partition_config_selectorILNS1_17partition_subalgoE4EjNS0_10empty_typeEbEEZZNS1_14partition_implILS8_4ELb0ES6_15HIP_vector_typeIjLj2EENS0_17counting_iteratorIjlEEPS9_SG_NS0_5tupleIJPjSI_NS0_16reverse_iteratorISI_EEEEENSH_IJSG_SG_SG_EEES9_SI_JZNS1_25segmented_radix_sort_implINS0_14default_configELb0EPKbPbPKlPlN2at6native12_GLOBAL__N_18offset_tEEE10hipError_tPvRmT1_PNSt15iterator_traitsIS12_E10value_typeET2_T3_PNS13_IS18_E10value_typeET4_jRbjT5_S1E_jjP12ihipStream_tbEUljE_ZNSN_ISO_Lb0ESQ_SR_ST_SU_SY_EESZ_S10_S11_S12_S16_S17_S18_S1B_S1C_jS1D_jS1E_S1E_jjS1G_bEUljE0_EEESZ_S10_S11_S18_S1C_S1E_T6_T7_T9_mT8_S1G_bDpT10_ENKUlT_T0_E_clISt17integral_constantIbLb0EES1T_IbLb1EEEEDaS1P_S1Q_EUlS1P_E_NS1_11comp_targetILNS1_3genE0ELNS1_11target_archE4294967295ELNS1_3gpuE0ELNS1_3repE0EEENS1_30default_config_static_selectorELNS0_4arch9wavefront6targetE1EEEvS12_
	.p2align	8
	.type	_ZN7rocprim17ROCPRIM_400000_NS6detail17trampoline_kernelINS0_13select_configILj256ELj13ELNS0_17block_load_methodE3ELS4_3ELS4_3ELNS0_20block_scan_algorithmE0ELj4294967295EEENS1_25partition_config_selectorILNS1_17partition_subalgoE4EjNS0_10empty_typeEbEEZZNS1_14partition_implILS8_4ELb0ES6_15HIP_vector_typeIjLj2EENS0_17counting_iteratorIjlEEPS9_SG_NS0_5tupleIJPjSI_NS0_16reverse_iteratorISI_EEEEENSH_IJSG_SG_SG_EEES9_SI_JZNS1_25segmented_radix_sort_implINS0_14default_configELb0EPKbPbPKlPlN2at6native12_GLOBAL__N_18offset_tEEE10hipError_tPvRmT1_PNSt15iterator_traitsIS12_E10value_typeET2_T3_PNS13_IS18_E10value_typeET4_jRbjT5_S1E_jjP12ihipStream_tbEUljE_ZNSN_ISO_Lb0ESQ_SR_ST_SU_SY_EESZ_S10_S11_S12_S16_S17_S18_S1B_S1C_jS1D_jS1E_S1E_jjS1G_bEUljE0_EEESZ_S10_S11_S18_S1C_S1E_T6_T7_T9_mT8_S1G_bDpT10_ENKUlT_T0_E_clISt17integral_constantIbLb0EES1T_IbLb1EEEEDaS1P_S1Q_EUlS1P_E_NS1_11comp_targetILNS1_3genE0ELNS1_11target_archE4294967295ELNS1_3gpuE0ELNS1_3repE0EEENS1_30default_config_static_selectorELNS0_4arch9wavefront6targetE1EEEvS12_,@function
_ZN7rocprim17ROCPRIM_400000_NS6detail17trampoline_kernelINS0_13select_configILj256ELj13ELNS0_17block_load_methodE3ELS4_3ELS4_3ELNS0_20block_scan_algorithmE0ELj4294967295EEENS1_25partition_config_selectorILNS1_17partition_subalgoE4EjNS0_10empty_typeEbEEZZNS1_14partition_implILS8_4ELb0ES6_15HIP_vector_typeIjLj2EENS0_17counting_iteratorIjlEEPS9_SG_NS0_5tupleIJPjSI_NS0_16reverse_iteratorISI_EEEEENSH_IJSG_SG_SG_EEES9_SI_JZNS1_25segmented_radix_sort_implINS0_14default_configELb0EPKbPbPKlPlN2at6native12_GLOBAL__N_18offset_tEEE10hipError_tPvRmT1_PNSt15iterator_traitsIS12_E10value_typeET2_T3_PNS13_IS18_E10value_typeET4_jRbjT5_S1E_jjP12ihipStream_tbEUljE_ZNSN_ISO_Lb0ESQ_SR_ST_SU_SY_EESZ_S10_S11_S12_S16_S17_S18_S1B_S1C_jS1D_jS1E_S1E_jjS1G_bEUljE0_EEESZ_S10_S11_S18_S1C_S1E_T6_T7_T9_mT8_S1G_bDpT10_ENKUlT_T0_E_clISt17integral_constantIbLb0EES1T_IbLb1EEEEDaS1P_S1Q_EUlS1P_E_NS1_11comp_targetILNS1_3genE0ELNS1_11target_archE4294967295ELNS1_3gpuE0ELNS1_3repE0EEENS1_30default_config_static_selectorELNS0_4arch9wavefront6targetE1EEEvS12_: ; @_ZN7rocprim17ROCPRIM_400000_NS6detail17trampoline_kernelINS0_13select_configILj256ELj13ELNS0_17block_load_methodE3ELS4_3ELS4_3ELNS0_20block_scan_algorithmE0ELj4294967295EEENS1_25partition_config_selectorILNS1_17partition_subalgoE4EjNS0_10empty_typeEbEEZZNS1_14partition_implILS8_4ELb0ES6_15HIP_vector_typeIjLj2EENS0_17counting_iteratorIjlEEPS9_SG_NS0_5tupleIJPjSI_NS0_16reverse_iteratorISI_EEEEENSH_IJSG_SG_SG_EEES9_SI_JZNS1_25segmented_radix_sort_implINS0_14default_configELb0EPKbPbPKlPlN2at6native12_GLOBAL__N_18offset_tEEE10hipError_tPvRmT1_PNSt15iterator_traitsIS12_E10value_typeET2_T3_PNS13_IS18_E10value_typeET4_jRbjT5_S1E_jjP12ihipStream_tbEUljE_ZNSN_ISO_Lb0ESQ_SR_ST_SU_SY_EESZ_S10_S11_S12_S16_S17_S18_S1B_S1C_jS1D_jS1E_S1E_jjS1G_bEUljE0_EEESZ_S10_S11_S18_S1C_S1E_T6_T7_T9_mT8_S1G_bDpT10_ENKUlT_T0_E_clISt17integral_constantIbLb0EES1T_IbLb1EEEEDaS1P_S1Q_EUlS1P_E_NS1_11comp_targetILNS1_3genE0ELNS1_11target_archE4294967295ELNS1_3gpuE0ELNS1_3repE0EEENS1_30default_config_static_selectorELNS0_4arch9wavefront6targetE1EEEvS12_
; %bb.0:
	.section	.rodata,"a",@progbits
	.p2align	6, 0x0
	.amdhsa_kernel _ZN7rocprim17ROCPRIM_400000_NS6detail17trampoline_kernelINS0_13select_configILj256ELj13ELNS0_17block_load_methodE3ELS4_3ELS4_3ELNS0_20block_scan_algorithmE0ELj4294967295EEENS1_25partition_config_selectorILNS1_17partition_subalgoE4EjNS0_10empty_typeEbEEZZNS1_14partition_implILS8_4ELb0ES6_15HIP_vector_typeIjLj2EENS0_17counting_iteratorIjlEEPS9_SG_NS0_5tupleIJPjSI_NS0_16reverse_iteratorISI_EEEEENSH_IJSG_SG_SG_EEES9_SI_JZNS1_25segmented_radix_sort_implINS0_14default_configELb0EPKbPbPKlPlN2at6native12_GLOBAL__N_18offset_tEEE10hipError_tPvRmT1_PNSt15iterator_traitsIS12_E10value_typeET2_T3_PNS13_IS18_E10value_typeET4_jRbjT5_S1E_jjP12ihipStream_tbEUljE_ZNSN_ISO_Lb0ESQ_SR_ST_SU_SY_EESZ_S10_S11_S12_S16_S17_S18_S1B_S1C_jS1D_jS1E_S1E_jjS1G_bEUljE0_EEESZ_S10_S11_S18_S1C_S1E_T6_T7_T9_mT8_S1G_bDpT10_ENKUlT_T0_E_clISt17integral_constantIbLb0EES1T_IbLb1EEEEDaS1P_S1Q_EUlS1P_E_NS1_11comp_targetILNS1_3genE0ELNS1_11target_archE4294967295ELNS1_3gpuE0ELNS1_3repE0EEENS1_30default_config_static_selectorELNS0_4arch9wavefront6targetE1EEEvS12_
		.amdhsa_group_segment_fixed_size 0
		.amdhsa_private_segment_fixed_size 0
		.amdhsa_kernarg_size 184
		.amdhsa_user_sgpr_count 6
		.amdhsa_user_sgpr_private_segment_buffer 1
		.amdhsa_user_sgpr_dispatch_ptr 0
		.amdhsa_user_sgpr_queue_ptr 0
		.amdhsa_user_sgpr_kernarg_segment_ptr 1
		.amdhsa_user_sgpr_dispatch_id 0
		.amdhsa_user_sgpr_flat_scratch_init 0
		.amdhsa_user_sgpr_private_segment_size 0
		.amdhsa_uses_dynamic_stack 0
		.amdhsa_system_sgpr_private_segment_wavefront_offset 0
		.amdhsa_system_sgpr_workgroup_id_x 1
		.amdhsa_system_sgpr_workgroup_id_y 0
		.amdhsa_system_sgpr_workgroup_id_z 0
		.amdhsa_system_sgpr_workgroup_info 0
		.amdhsa_system_vgpr_workitem_id 0
		.amdhsa_next_free_vgpr 1
		.amdhsa_next_free_sgpr 0
		.amdhsa_reserve_vcc 0
		.amdhsa_reserve_flat_scratch 0
		.amdhsa_float_round_mode_32 0
		.amdhsa_float_round_mode_16_64 0
		.amdhsa_float_denorm_mode_32 3
		.amdhsa_float_denorm_mode_16_64 3
		.amdhsa_dx10_clamp 1
		.amdhsa_ieee_mode 1
		.amdhsa_fp16_overflow 0
		.amdhsa_exception_fp_ieee_invalid_op 0
		.amdhsa_exception_fp_denorm_src 0
		.amdhsa_exception_fp_ieee_div_zero 0
		.amdhsa_exception_fp_ieee_overflow 0
		.amdhsa_exception_fp_ieee_underflow 0
		.amdhsa_exception_fp_ieee_inexact 0
		.amdhsa_exception_int_div_zero 0
	.end_amdhsa_kernel
	.section	.text._ZN7rocprim17ROCPRIM_400000_NS6detail17trampoline_kernelINS0_13select_configILj256ELj13ELNS0_17block_load_methodE3ELS4_3ELS4_3ELNS0_20block_scan_algorithmE0ELj4294967295EEENS1_25partition_config_selectorILNS1_17partition_subalgoE4EjNS0_10empty_typeEbEEZZNS1_14partition_implILS8_4ELb0ES6_15HIP_vector_typeIjLj2EENS0_17counting_iteratorIjlEEPS9_SG_NS0_5tupleIJPjSI_NS0_16reverse_iteratorISI_EEEEENSH_IJSG_SG_SG_EEES9_SI_JZNS1_25segmented_radix_sort_implINS0_14default_configELb0EPKbPbPKlPlN2at6native12_GLOBAL__N_18offset_tEEE10hipError_tPvRmT1_PNSt15iterator_traitsIS12_E10value_typeET2_T3_PNS13_IS18_E10value_typeET4_jRbjT5_S1E_jjP12ihipStream_tbEUljE_ZNSN_ISO_Lb0ESQ_SR_ST_SU_SY_EESZ_S10_S11_S12_S16_S17_S18_S1B_S1C_jS1D_jS1E_S1E_jjS1G_bEUljE0_EEESZ_S10_S11_S18_S1C_S1E_T6_T7_T9_mT8_S1G_bDpT10_ENKUlT_T0_E_clISt17integral_constantIbLb0EES1T_IbLb1EEEEDaS1P_S1Q_EUlS1P_E_NS1_11comp_targetILNS1_3genE0ELNS1_11target_archE4294967295ELNS1_3gpuE0ELNS1_3repE0EEENS1_30default_config_static_selectorELNS0_4arch9wavefront6targetE1EEEvS12_,"axG",@progbits,_ZN7rocprim17ROCPRIM_400000_NS6detail17trampoline_kernelINS0_13select_configILj256ELj13ELNS0_17block_load_methodE3ELS4_3ELS4_3ELNS0_20block_scan_algorithmE0ELj4294967295EEENS1_25partition_config_selectorILNS1_17partition_subalgoE4EjNS0_10empty_typeEbEEZZNS1_14partition_implILS8_4ELb0ES6_15HIP_vector_typeIjLj2EENS0_17counting_iteratorIjlEEPS9_SG_NS0_5tupleIJPjSI_NS0_16reverse_iteratorISI_EEEEENSH_IJSG_SG_SG_EEES9_SI_JZNS1_25segmented_radix_sort_implINS0_14default_configELb0EPKbPbPKlPlN2at6native12_GLOBAL__N_18offset_tEEE10hipError_tPvRmT1_PNSt15iterator_traitsIS12_E10value_typeET2_T3_PNS13_IS18_E10value_typeET4_jRbjT5_S1E_jjP12ihipStream_tbEUljE_ZNSN_ISO_Lb0ESQ_SR_ST_SU_SY_EESZ_S10_S11_S12_S16_S17_S18_S1B_S1C_jS1D_jS1E_S1E_jjS1G_bEUljE0_EEESZ_S10_S11_S18_S1C_S1E_T6_T7_T9_mT8_S1G_bDpT10_ENKUlT_T0_E_clISt17integral_constantIbLb0EES1T_IbLb1EEEEDaS1P_S1Q_EUlS1P_E_NS1_11comp_targetILNS1_3genE0ELNS1_11target_archE4294967295ELNS1_3gpuE0ELNS1_3repE0EEENS1_30default_config_static_selectorELNS0_4arch9wavefront6targetE1EEEvS12_,comdat
.Lfunc_end1595:
	.size	_ZN7rocprim17ROCPRIM_400000_NS6detail17trampoline_kernelINS0_13select_configILj256ELj13ELNS0_17block_load_methodE3ELS4_3ELS4_3ELNS0_20block_scan_algorithmE0ELj4294967295EEENS1_25partition_config_selectorILNS1_17partition_subalgoE4EjNS0_10empty_typeEbEEZZNS1_14partition_implILS8_4ELb0ES6_15HIP_vector_typeIjLj2EENS0_17counting_iteratorIjlEEPS9_SG_NS0_5tupleIJPjSI_NS0_16reverse_iteratorISI_EEEEENSH_IJSG_SG_SG_EEES9_SI_JZNS1_25segmented_radix_sort_implINS0_14default_configELb0EPKbPbPKlPlN2at6native12_GLOBAL__N_18offset_tEEE10hipError_tPvRmT1_PNSt15iterator_traitsIS12_E10value_typeET2_T3_PNS13_IS18_E10value_typeET4_jRbjT5_S1E_jjP12ihipStream_tbEUljE_ZNSN_ISO_Lb0ESQ_SR_ST_SU_SY_EESZ_S10_S11_S12_S16_S17_S18_S1B_S1C_jS1D_jS1E_S1E_jjS1G_bEUljE0_EEESZ_S10_S11_S18_S1C_S1E_T6_T7_T9_mT8_S1G_bDpT10_ENKUlT_T0_E_clISt17integral_constantIbLb0EES1T_IbLb1EEEEDaS1P_S1Q_EUlS1P_E_NS1_11comp_targetILNS1_3genE0ELNS1_11target_archE4294967295ELNS1_3gpuE0ELNS1_3repE0EEENS1_30default_config_static_selectorELNS0_4arch9wavefront6targetE1EEEvS12_, .Lfunc_end1595-_ZN7rocprim17ROCPRIM_400000_NS6detail17trampoline_kernelINS0_13select_configILj256ELj13ELNS0_17block_load_methodE3ELS4_3ELS4_3ELNS0_20block_scan_algorithmE0ELj4294967295EEENS1_25partition_config_selectorILNS1_17partition_subalgoE4EjNS0_10empty_typeEbEEZZNS1_14partition_implILS8_4ELb0ES6_15HIP_vector_typeIjLj2EENS0_17counting_iteratorIjlEEPS9_SG_NS0_5tupleIJPjSI_NS0_16reverse_iteratorISI_EEEEENSH_IJSG_SG_SG_EEES9_SI_JZNS1_25segmented_radix_sort_implINS0_14default_configELb0EPKbPbPKlPlN2at6native12_GLOBAL__N_18offset_tEEE10hipError_tPvRmT1_PNSt15iterator_traitsIS12_E10value_typeET2_T3_PNS13_IS18_E10value_typeET4_jRbjT5_S1E_jjP12ihipStream_tbEUljE_ZNSN_ISO_Lb0ESQ_SR_ST_SU_SY_EESZ_S10_S11_S12_S16_S17_S18_S1B_S1C_jS1D_jS1E_S1E_jjS1G_bEUljE0_EEESZ_S10_S11_S18_S1C_S1E_T6_T7_T9_mT8_S1G_bDpT10_ENKUlT_T0_E_clISt17integral_constantIbLb0EES1T_IbLb1EEEEDaS1P_S1Q_EUlS1P_E_NS1_11comp_targetILNS1_3genE0ELNS1_11target_archE4294967295ELNS1_3gpuE0ELNS1_3repE0EEENS1_30default_config_static_selectorELNS0_4arch9wavefront6targetE1EEEvS12_
                                        ; -- End function
	.set _ZN7rocprim17ROCPRIM_400000_NS6detail17trampoline_kernelINS0_13select_configILj256ELj13ELNS0_17block_load_methodE3ELS4_3ELS4_3ELNS0_20block_scan_algorithmE0ELj4294967295EEENS1_25partition_config_selectorILNS1_17partition_subalgoE4EjNS0_10empty_typeEbEEZZNS1_14partition_implILS8_4ELb0ES6_15HIP_vector_typeIjLj2EENS0_17counting_iteratorIjlEEPS9_SG_NS0_5tupleIJPjSI_NS0_16reverse_iteratorISI_EEEEENSH_IJSG_SG_SG_EEES9_SI_JZNS1_25segmented_radix_sort_implINS0_14default_configELb0EPKbPbPKlPlN2at6native12_GLOBAL__N_18offset_tEEE10hipError_tPvRmT1_PNSt15iterator_traitsIS12_E10value_typeET2_T3_PNS13_IS18_E10value_typeET4_jRbjT5_S1E_jjP12ihipStream_tbEUljE_ZNSN_ISO_Lb0ESQ_SR_ST_SU_SY_EESZ_S10_S11_S12_S16_S17_S18_S1B_S1C_jS1D_jS1E_S1E_jjS1G_bEUljE0_EEESZ_S10_S11_S18_S1C_S1E_T6_T7_T9_mT8_S1G_bDpT10_ENKUlT_T0_E_clISt17integral_constantIbLb0EES1T_IbLb1EEEEDaS1P_S1Q_EUlS1P_E_NS1_11comp_targetILNS1_3genE0ELNS1_11target_archE4294967295ELNS1_3gpuE0ELNS1_3repE0EEENS1_30default_config_static_selectorELNS0_4arch9wavefront6targetE1EEEvS12_.num_vgpr, 0
	.set _ZN7rocprim17ROCPRIM_400000_NS6detail17trampoline_kernelINS0_13select_configILj256ELj13ELNS0_17block_load_methodE3ELS4_3ELS4_3ELNS0_20block_scan_algorithmE0ELj4294967295EEENS1_25partition_config_selectorILNS1_17partition_subalgoE4EjNS0_10empty_typeEbEEZZNS1_14partition_implILS8_4ELb0ES6_15HIP_vector_typeIjLj2EENS0_17counting_iteratorIjlEEPS9_SG_NS0_5tupleIJPjSI_NS0_16reverse_iteratorISI_EEEEENSH_IJSG_SG_SG_EEES9_SI_JZNS1_25segmented_radix_sort_implINS0_14default_configELb0EPKbPbPKlPlN2at6native12_GLOBAL__N_18offset_tEEE10hipError_tPvRmT1_PNSt15iterator_traitsIS12_E10value_typeET2_T3_PNS13_IS18_E10value_typeET4_jRbjT5_S1E_jjP12ihipStream_tbEUljE_ZNSN_ISO_Lb0ESQ_SR_ST_SU_SY_EESZ_S10_S11_S12_S16_S17_S18_S1B_S1C_jS1D_jS1E_S1E_jjS1G_bEUljE0_EEESZ_S10_S11_S18_S1C_S1E_T6_T7_T9_mT8_S1G_bDpT10_ENKUlT_T0_E_clISt17integral_constantIbLb0EES1T_IbLb1EEEEDaS1P_S1Q_EUlS1P_E_NS1_11comp_targetILNS1_3genE0ELNS1_11target_archE4294967295ELNS1_3gpuE0ELNS1_3repE0EEENS1_30default_config_static_selectorELNS0_4arch9wavefront6targetE1EEEvS12_.num_agpr, 0
	.set _ZN7rocprim17ROCPRIM_400000_NS6detail17trampoline_kernelINS0_13select_configILj256ELj13ELNS0_17block_load_methodE3ELS4_3ELS4_3ELNS0_20block_scan_algorithmE0ELj4294967295EEENS1_25partition_config_selectorILNS1_17partition_subalgoE4EjNS0_10empty_typeEbEEZZNS1_14partition_implILS8_4ELb0ES6_15HIP_vector_typeIjLj2EENS0_17counting_iteratorIjlEEPS9_SG_NS0_5tupleIJPjSI_NS0_16reverse_iteratorISI_EEEEENSH_IJSG_SG_SG_EEES9_SI_JZNS1_25segmented_radix_sort_implINS0_14default_configELb0EPKbPbPKlPlN2at6native12_GLOBAL__N_18offset_tEEE10hipError_tPvRmT1_PNSt15iterator_traitsIS12_E10value_typeET2_T3_PNS13_IS18_E10value_typeET4_jRbjT5_S1E_jjP12ihipStream_tbEUljE_ZNSN_ISO_Lb0ESQ_SR_ST_SU_SY_EESZ_S10_S11_S12_S16_S17_S18_S1B_S1C_jS1D_jS1E_S1E_jjS1G_bEUljE0_EEESZ_S10_S11_S18_S1C_S1E_T6_T7_T9_mT8_S1G_bDpT10_ENKUlT_T0_E_clISt17integral_constantIbLb0EES1T_IbLb1EEEEDaS1P_S1Q_EUlS1P_E_NS1_11comp_targetILNS1_3genE0ELNS1_11target_archE4294967295ELNS1_3gpuE0ELNS1_3repE0EEENS1_30default_config_static_selectorELNS0_4arch9wavefront6targetE1EEEvS12_.numbered_sgpr, 0
	.set _ZN7rocprim17ROCPRIM_400000_NS6detail17trampoline_kernelINS0_13select_configILj256ELj13ELNS0_17block_load_methodE3ELS4_3ELS4_3ELNS0_20block_scan_algorithmE0ELj4294967295EEENS1_25partition_config_selectorILNS1_17partition_subalgoE4EjNS0_10empty_typeEbEEZZNS1_14partition_implILS8_4ELb0ES6_15HIP_vector_typeIjLj2EENS0_17counting_iteratorIjlEEPS9_SG_NS0_5tupleIJPjSI_NS0_16reverse_iteratorISI_EEEEENSH_IJSG_SG_SG_EEES9_SI_JZNS1_25segmented_radix_sort_implINS0_14default_configELb0EPKbPbPKlPlN2at6native12_GLOBAL__N_18offset_tEEE10hipError_tPvRmT1_PNSt15iterator_traitsIS12_E10value_typeET2_T3_PNS13_IS18_E10value_typeET4_jRbjT5_S1E_jjP12ihipStream_tbEUljE_ZNSN_ISO_Lb0ESQ_SR_ST_SU_SY_EESZ_S10_S11_S12_S16_S17_S18_S1B_S1C_jS1D_jS1E_S1E_jjS1G_bEUljE0_EEESZ_S10_S11_S18_S1C_S1E_T6_T7_T9_mT8_S1G_bDpT10_ENKUlT_T0_E_clISt17integral_constantIbLb0EES1T_IbLb1EEEEDaS1P_S1Q_EUlS1P_E_NS1_11comp_targetILNS1_3genE0ELNS1_11target_archE4294967295ELNS1_3gpuE0ELNS1_3repE0EEENS1_30default_config_static_selectorELNS0_4arch9wavefront6targetE1EEEvS12_.num_named_barrier, 0
	.set _ZN7rocprim17ROCPRIM_400000_NS6detail17trampoline_kernelINS0_13select_configILj256ELj13ELNS0_17block_load_methodE3ELS4_3ELS4_3ELNS0_20block_scan_algorithmE0ELj4294967295EEENS1_25partition_config_selectorILNS1_17partition_subalgoE4EjNS0_10empty_typeEbEEZZNS1_14partition_implILS8_4ELb0ES6_15HIP_vector_typeIjLj2EENS0_17counting_iteratorIjlEEPS9_SG_NS0_5tupleIJPjSI_NS0_16reverse_iteratorISI_EEEEENSH_IJSG_SG_SG_EEES9_SI_JZNS1_25segmented_radix_sort_implINS0_14default_configELb0EPKbPbPKlPlN2at6native12_GLOBAL__N_18offset_tEEE10hipError_tPvRmT1_PNSt15iterator_traitsIS12_E10value_typeET2_T3_PNS13_IS18_E10value_typeET4_jRbjT5_S1E_jjP12ihipStream_tbEUljE_ZNSN_ISO_Lb0ESQ_SR_ST_SU_SY_EESZ_S10_S11_S12_S16_S17_S18_S1B_S1C_jS1D_jS1E_S1E_jjS1G_bEUljE0_EEESZ_S10_S11_S18_S1C_S1E_T6_T7_T9_mT8_S1G_bDpT10_ENKUlT_T0_E_clISt17integral_constantIbLb0EES1T_IbLb1EEEEDaS1P_S1Q_EUlS1P_E_NS1_11comp_targetILNS1_3genE0ELNS1_11target_archE4294967295ELNS1_3gpuE0ELNS1_3repE0EEENS1_30default_config_static_selectorELNS0_4arch9wavefront6targetE1EEEvS12_.private_seg_size, 0
	.set _ZN7rocprim17ROCPRIM_400000_NS6detail17trampoline_kernelINS0_13select_configILj256ELj13ELNS0_17block_load_methodE3ELS4_3ELS4_3ELNS0_20block_scan_algorithmE0ELj4294967295EEENS1_25partition_config_selectorILNS1_17partition_subalgoE4EjNS0_10empty_typeEbEEZZNS1_14partition_implILS8_4ELb0ES6_15HIP_vector_typeIjLj2EENS0_17counting_iteratorIjlEEPS9_SG_NS0_5tupleIJPjSI_NS0_16reverse_iteratorISI_EEEEENSH_IJSG_SG_SG_EEES9_SI_JZNS1_25segmented_radix_sort_implINS0_14default_configELb0EPKbPbPKlPlN2at6native12_GLOBAL__N_18offset_tEEE10hipError_tPvRmT1_PNSt15iterator_traitsIS12_E10value_typeET2_T3_PNS13_IS18_E10value_typeET4_jRbjT5_S1E_jjP12ihipStream_tbEUljE_ZNSN_ISO_Lb0ESQ_SR_ST_SU_SY_EESZ_S10_S11_S12_S16_S17_S18_S1B_S1C_jS1D_jS1E_S1E_jjS1G_bEUljE0_EEESZ_S10_S11_S18_S1C_S1E_T6_T7_T9_mT8_S1G_bDpT10_ENKUlT_T0_E_clISt17integral_constantIbLb0EES1T_IbLb1EEEEDaS1P_S1Q_EUlS1P_E_NS1_11comp_targetILNS1_3genE0ELNS1_11target_archE4294967295ELNS1_3gpuE0ELNS1_3repE0EEENS1_30default_config_static_selectorELNS0_4arch9wavefront6targetE1EEEvS12_.uses_vcc, 0
	.set _ZN7rocprim17ROCPRIM_400000_NS6detail17trampoline_kernelINS0_13select_configILj256ELj13ELNS0_17block_load_methodE3ELS4_3ELS4_3ELNS0_20block_scan_algorithmE0ELj4294967295EEENS1_25partition_config_selectorILNS1_17partition_subalgoE4EjNS0_10empty_typeEbEEZZNS1_14partition_implILS8_4ELb0ES6_15HIP_vector_typeIjLj2EENS0_17counting_iteratorIjlEEPS9_SG_NS0_5tupleIJPjSI_NS0_16reverse_iteratorISI_EEEEENSH_IJSG_SG_SG_EEES9_SI_JZNS1_25segmented_radix_sort_implINS0_14default_configELb0EPKbPbPKlPlN2at6native12_GLOBAL__N_18offset_tEEE10hipError_tPvRmT1_PNSt15iterator_traitsIS12_E10value_typeET2_T3_PNS13_IS18_E10value_typeET4_jRbjT5_S1E_jjP12ihipStream_tbEUljE_ZNSN_ISO_Lb0ESQ_SR_ST_SU_SY_EESZ_S10_S11_S12_S16_S17_S18_S1B_S1C_jS1D_jS1E_S1E_jjS1G_bEUljE0_EEESZ_S10_S11_S18_S1C_S1E_T6_T7_T9_mT8_S1G_bDpT10_ENKUlT_T0_E_clISt17integral_constantIbLb0EES1T_IbLb1EEEEDaS1P_S1Q_EUlS1P_E_NS1_11comp_targetILNS1_3genE0ELNS1_11target_archE4294967295ELNS1_3gpuE0ELNS1_3repE0EEENS1_30default_config_static_selectorELNS0_4arch9wavefront6targetE1EEEvS12_.uses_flat_scratch, 0
	.set _ZN7rocprim17ROCPRIM_400000_NS6detail17trampoline_kernelINS0_13select_configILj256ELj13ELNS0_17block_load_methodE3ELS4_3ELS4_3ELNS0_20block_scan_algorithmE0ELj4294967295EEENS1_25partition_config_selectorILNS1_17partition_subalgoE4EjNS0_10empty_typeEbEEZZNS1_14partition_implILS8_4ELb0ES6_15HIP_vector_typeIjLj2EENS0_17counting_iteratorIjlEEPS9_SG_NS0_5tupleIJPjSI_NS0_16reverse_iteratorISI_EEEEENSH_IJSG_SG_SG_EEES9_SI_JZNS1_25segmented_radix_sort_implINS0_14default_configELb0EPKbPbPKlPlN2at6native12_GLOBAL__N_18offset_tEEE10hipError_tPvRmT1_PNSt15iterator_traitsIS12_E10value_typeET2_T3_PNS13_IS18_E10value_typeET4_jRbjT5_S1E_jjP12ihipStream_tbEUljE_ZNSN_ISO_Lb0ESQ_SR_ST_SU_SY_EESZ_S10_S11_S12_S16_S17_S18_S1B_S1C_jS1D_jS1E_S1E_jjS1G_bEUljE0_EEESZ_S10_S11_S18_S1C_S1E_T6_T7_T9_mT8_S1G_bDpT10_ENKUlT_T0_E_clISt17integral_constantIbLb0EES1T_IbLb1EEEEDaS1P_S1Q_EUlS1P_E_NS1_11comp_targetILNS1_3genE0ELNS1_11target_archE4294967295ELNS1_3gpuE0ELNS1_3repE0EEENS1_30default_config_static_selectorELNS0_4arch9wavefront6targetE1EEEvS12_.has_dyn_sized_stack, 0
	.set _ZN7rocprim17ROCPRIM_400000_NS6detail17trampoline_kernelINS0_13select_configILj256ELj13ELNS0_17block_load_methodE3ELS4_3ELS4_3ELNS0_20block_scan_algorithmE0ELj4294967295EEENS1_25partition_config_selectorILNS1_17partition_subalgoE4EjNS0_10empty_typeEbEEZZNS1_14partition_implILS8_4ELb0ES6_15HIP_vector_typeIjLj2EENS0_17counting_iteratorIjlEEPS9_SG_NS0_5tupleIJPjSI_NS0_16reverse_iteratorISI_EEEEENSH_IJSG_SG_SG_EEES9_SI_JZNS1_25segmented_radix_sort_implINS0_14default_configELb0EPKbPbPKlPlN2at6native12_GLOBAL__N_18offset_tEEE10hipError_tPvRmT1_PNSt15iterator_traitsIS12_E10value_typeET2_T3_PNS13_IS18_E10value_typeET4_jRbjT5_S1E_jjP12ihipStream_tbEUljE_ZNSN_ISO_Lb0ESQ_SR_ST_SU_SY_EESZ_S10_S11_S12_S16_S17_S18_S1B_S1C_jS1D_jS1E_S1E_jjS1G_bEUljE0_EEESZ_S10_S11_S18_S1C_S1E_T6_T7_T9_mT8_S1G_bDpT10_ENKUlT_T0_E_clISt17integral_constantIbLb0EES1T_IbLb1EEEEDaS1P_S1Q_EUlS1P_E_NS1_11comp_targetILNS1_3genE0ELNS1_11target_archE4294967295ELNS1_3gpuE0ELNS1_3repE0EEENS1_30default_config_static_selectorELNS0_4arch9wavefront6targetE1EEEvS12_.has_recursion, 0
	.set _ZN7rocprim17ROCPRIM_400000_NS6detail17trampoline_kernelINS0_13select_configILj256ELj13ELNS0_17block_load_methodE3ELS4_3ELS4_3ELNS0_20block_scan_algorithmE0ELj4294967295EEENS1_25partition_config_selectorILNS1_17partition_subalgoE4EjNS0_10empty_typeEbEEZZNS1_14partition_implILS8_4ELb0ES6_15HIP_vector_typeIjLj2EENS0_17counting_iteratorIjlEEPS9_SG_NS0_5tupleIJPjSI_NS0_16reverse_iteratorISI_EEEEENSH_IJSG_SG_SG_EEES9_SI_JZNS1_25segmented_radix_sort_implINS0_14default_configELb0EPKbPbPKlPlN2at6native12_GLOBAL__N_18offset_tEEE10hipError_tPvRmT1_PNSt15iterator_traitsIS12_E10value_typeET2_T3_PNS13_IS18_E10value_typeET4_jRbjT5_S1E_jjP12ihipStream_tbEUljE_ZNSN_ISO_Lb0ESQ_SR_ST_SU_SY_EESZ_S10_S11_S12_S16_S17_S18_S1B_S1C_jS1D_jS1E_S1E_jjS1G_bEUljE0_EEESZ_S10_S11_S18_S1C_S1E_T6_T7_T9_mT8_S1G_bDpT10_ENKUlT_T0_E_clISt17integral_constantIbLb0EES1T_IbLb1EEEEDaS1P_S1Q_EUlS1P_E_NS1_11comp_targetILNS1_3genE0ELNS1_11target_archE4294967295ELNS1_3gpuE0ELNS1_3repE0EEENS1_30default_config_static_selectorELNS0_4arch9wavefront6targetE1EEEvS12_.has_indirect_call, 0
	.section	.AMDGPU.csdata,"",@progbits
; Kernel info:
; codeLenInByte = 0
; TotalNumSgprs: 4
; NumVgprs: 0
; ScratchSize: 0
; MemoryBound: 0
; FloatMode: 240
; IeeeMode: 1
; LDSByteSize: 0 bytes/workgroup (compile time only)
; SGPRBlocks: 0
; VGPRBlocks: 0
; NumSGPRsForWavesPerEU: 4
; NumVGPRsForWavesPerEU: 1
; Occupancy: 10
; WaveLimiterHint : 0
; COMPUTE_PGM_RSRC2:SCRATCH_EN: 0
; COMPUTE_PGM_RSRC2:USER_SGPR: 6
; COMPUTE_PGM_RSRC2:TRAP_HANDLER: 0
; COMPUTE_PGM_RSRC2:TGID_X_EN: 1
; COMPUTE_PGM_RSRC2:TGID_Y_EN: 0
; COMPUTE_PGM_RSRC2:TGID_Z_EN: 0
; COMPUTE_PGM_RSRC2:TIDIG_COMP_CNT: 0
	.section	.text._ZN7rocprim17ROCPRIM_400000_NS6detail17trampoline_kernelINS0_13select_configILj256ELj13ELNS0_17block_load_methodE3ELS4_3ELS4_3ELNS0_20block_scan_algorithmE0ELj4294967295EEENS1_25partition_config_selectorILNS1_17partition_subalgoE4EjNS0_10empty_typeEbEEZZNS1_14partition_implILS8_4ELb0ES6_15HIP_vector_typeIjLj2EENS0_17counting_iteratorIjlEEPS9_SG_NS0_5tupleIJPjSI_NS0_16reverse_iteratorISI_EEEEENSH_IJSG_SG_SG_EEES9_SI_JZNS1_25segmented_radix_sort_implINS0_14default_configELb0EPKbPbPKlPlN2at6native12_GLOBAL__N_18offset_tEEE10hipError_tPvRmT1_PNSt15iterator_traitsIS12_E10value_typeET2_T3_PNS13_IS18_E10value_typeET4_jRbjT5_S1E_jjP12ihipStream_tbEUljE_ZNSN_ISO_Lb0ESQ_SR_ST_SU_SY_EESZ_S10_S11_S12_S16_S17_S18_S1B_S1C_jS1D_jS1E_S1E_jjS1G_bEUljE0_EEESZ_S10_S11_S18_S1C_S1E_T6_T7_T9_mT8_S1G_bDpT10_ENKUlT_T0_E_clISt17integral_constantIbLb0EES1T_IbLb1EEEEDaS1P_S1Q_EUlS1P_E_NS1_11comp_targetILNS1_3genE5ELNS1_11target_archE942ELNS1_3gpuE9ELNS1_3repE0EEENS1_30default_config_static_selectorELNS0_4arch9wavefront6targetE1EEEvS12_,"axG",@progbits,_ZN7rocprim17ROCPRIM_400000_NS6detail17trampoline_kernelINS0_13select_configILj256ELj13ELNS0_17block_load_methodE3ELS4_3ELS4_3ELNS0_20block_scan_algorithmE0ELj4294967295EEENS1_25partition_config_selectorILNS1_17partition_subalgoE4EjNS0_10empty_typeEbEEZZNS1_14partition_implILS8_4ELb0ES6_15HIP_vector_typeIjLj2EENS0_17counting_iteratorIjlEEPS9_SG_NS0_5tupleIJPjSI_NS0_16reverse_iteratorISI_EEEEENSH_IJSG_SG_SG_EEES9_SI_JZNS1_25segmented_radix_sort_implINS0_14default_configELb0EPKbPbPKlPlN2at6native12_GLOBAL__N_18offset_tEEE10hipError_tPvRmT1_PNSt15iterator_traitsIS12_E10value_typeET2_T3_PNS13_IS18_E10value_typeET4_jRbjT5_S1E_jjP12ihipStream_tbEUljE_ZNSN_ISO_Lb0ESQ_SR_ST_SU_SY_EESZ_S10_S11_S12_S16_S17_S18_S1B_S1C_jS1D_jS1E_S1E_jjS1G_bEUljE0_EEESZ_S10_S11_S18_S1C_S1E_T6_T7_T9_mT8_S1G_bDpT10_ENKUlT_T0_E_clISt17integral_constantIbLb0EES1T_IbLb1EEEEDaS1P_S1Q_EUlS1P_E_NS1_11comp_targetILNS1_3genE5ELNS1_11target_archE942ELNS1_3gpuE9ELNS1_3repE0EEENS1_30default_config_static_selectorELNS0_4arch9wavefront6targetE1EEEvS12_,comdat
	.globl	_ZN7rocprim17ROCPRIM_400000_NS6detail17trampoline_kernelINS0_13select_configILj256ELj13ELNS0_17block_load_methodE3ELS4_3ELS4_3ELNS0_20block_scan_algorithmE0ELj4294967295EEENS1_25partition_config_selectorILNS1_17partition_subalgoE4EjNS0_10empty_typeEbEEZZNS1_14partition_implILS8_4ELb0ES6_15HIP_vector_typeIjLj2EENS0_17counting_iteratorIjlEEPS9_SG_NS0_5tupleIJPjSI_NS0_16reverse_iteratorISI_EEEEENSH_IJSG_SG_SG_EEES9_SI_JZNS1_25segmented_radix_sort_implINS0_14default_configELb0EPKbPbPKlPlN2at6native12_GLOBAL__N_18offset_tEEE10hipError_tPvRmT1_PNSt15iterator_traitsIS12_E10value_typeET2_T3_PNS13_IS18_E10value_typeET4_jRbjT5_S1E_jjP12ihipStream_tbEUljE_ZNSN_ISO_Lb0ESQ_SR_ST_SU_SY_EESZ_S10_S11_S12_S16_S17_S18_S1B_S1C_jS1D_jS1E_S1E_jjS1G_bEUljE0_EEESZ_S10_S11_S18_S1C_S1E_T6_T7_T9_mT8_S1G_bDpT10_ENKUlT_T0_E_clISt17integral_constantIbLb0EES1T_IbLb1EEEEDaS1P_S1Q_EUlS1P_E_NS1_11comp_targetILNS1_3genE5ELNS1_11target_archE942ELNS1_3gpuE9ELNS1_3repE0EEENS1_30default_config_static_selectorELNS0_4arch9wavefront6targetE1EEEvS12_ ; -- Begin function _ZN7rocprim17ROCPRIM_400000_NS6detail17trampoline_kernelINS0_13select_configILj256ELj13ELNS0_17block_load_methodE3ELS4_3ELS4_3ELNS0_20block_scan_algorithmE0ELj4294967295EEENS1_25partition_config_selectorILNS1_17partition_subalgoE4EjNS0_10empty_typeEbEEZZNS1_14partition_implILS8_4ELb0ES6_15HIP_vector_typeIjLj2EENS0_17counting_iteratorIjlEEPS9_SG_NS0_5tupleIJPjSI_NS0_16reverse_iteratorISI_EEEEENSH_IJSG_SG_SG_EEES9_SI_JZNS1_25segmented_radix_sort_implINS0_14default_configELb0EPKbPbPKlPlN2at6native12_GLOBAL__N_18offset_tEEE10hipError_tPvRmT1_PNSt15iterator_traitsIS12_E10value_typeET2_T3_PNS13_IS18_E10value_typeET4_jRbjT5_S1E_jjP12ihipStream_tbEUljE_ZNSN_ISO_Lb0ESQ_SR_ST_SU_SY_EESZ_S10_S11_S12_S16_S17_S18_S1B_S1C_jS1D_jS1E_S1E_jjS1G_bEUljE0_EEESZ_S10_S11_S18_S1C_S1E_T6_T7_T9_mT8_S1G_bDpT10_ENKUlT_T0_E_clISt17integral_constantIbLb0EES1T_IbLb1EEEEDaS1P_S1Q_EUlS1P_E_NS1_11comp_targetILNS1_3genE5ELNS1_11target_archE942ELNS1_3gpuE9ELNS1_3repE0EEENS1_30default_config_static_selectorELNS0_4arch9wavefront6targetE1EEEvS12_
	.p2align	8
	.type	_ZN7rocprim17ROCPRIM_400000_NS6detail17trampoline_kernelINS0_13select_configILj256ELj13ELNS0_17block_load_methodE3ELS4_3ELS4_3ELNS0_20block_scan_algorithmE0ELj4294967295EEENS1_25partition_config_selectorILNS1_17partition_subalgoE4EjNS0_10empty_typeEbEEZZNS1_14partition_implILS8_4ELb0ES6_15HIP_vector_typeIjLj2EENS0_17counting_iteratorIjlEEPS9_SG_NS0_5tupleIJPjSI_NS0_16reverse_iteratorISI_EEEEENSH_IJSG_SG_SG_EEES9_SI_JZNS1_25segmented_radix_sort_implINS0_14default_configELb0EPKbPbPKlPlN2at6native12_GLOBAL__N_18offset_tEEE10hipError_tPvRmT1_PNSt15iterator_traitsIS12_E10value_typeET2_T3_PNS13_IS18_E10value_typeET4_jRbjT5_S1E_jjP12ihipStream_tbEUljE_ZNSN_ISO_Lb0ESQ_SR_ST_SU_SY_EESZ_S10_S11_S12_S16_S17_S18_S1B_S1C_jS1D_jS1E_S1E_jjS1G_bEUljE0_EEESZ_S10_S11_S18_S1C_S1E_T6_T7_T9_mT8_S1G_bDpT10_ENKUlT_T0_E_clISt17integral_constantIbLb0EES1T_IbLb1EEEEDaS1P_S1Q_EUlS1P_E_NS1_11comp_targetILNS1_3genE5ELNS1_11target_archE942ELNS1_3gpuE9ELNS1_3repE0EEENS1_30default_config_static_selectorELNS0_4arch9wavefront6targetE1EEEvS12_,@function
_ZN7rocprim17ROCPRIM_400000_NS6detail17trampoline_kernelINS0_13select_configILj256ELj13ELNS0_17block_load_methodE3ELS4_3ELS4_3ELNS0_20block_scan_algorithmE0ELj4294967295EEENS1_25partition_config_selectorILNS1_17partition_subalgoE4EjNS0_10empty_typeEbEEZZNS1_14partition_implILS8_4ELb0ES6_15HIP_vector_typeIjLj2EENS0_17counting_iteratorIjlEEPS9_SG_NS0_5tupleIJPjSI_NS0_16reverse_iteratorISI_EEEEENSH_IJSG_SG_SG_EEES9_SI_JZNS1_25segmented_radix_sort_implINS0_14default_configELb0EPKbPbPKlPlN2at6native12_GLOBAL__N_18offset_tEEE10hipError_tPvRmT1_PNSt15iterator_traitsIS12_E10value_typeET2_T3_PNS13_IS18_E10value_typeET4_jRbjT5_S1E_jjP12ihipStream_tbEUljE_ZNSN_ISO_Lb0ESQ_SR_ST_SU_SY_EESZ_S10_S11_S12_S16_S17_S18_S1B_S1C_jS1D_jS1E_S1E_jjS1G_bEUljE0_EEESZ_S10_S11_S18_S1C_S1E_T6_T7_T9_mT8_S1G_bDpT10_ENKUlT_T0_E_clISt17integral_constantIbLb0EES1T_IbLb1EEEEDaS1P_S1Q_EUlS1P_E_NS1_11comp_targetILNS1_3genE5ELNS1_11target_archE942ELNS1_3gpuE9ELNS1_3repE0EEENS1_30default_config_static_selectorELNS0_4arch9wavefront6targetE1EEEvS12_: ; @_ZN7rocprim17ROCPRIM_400000_NS6detail17trampoline_kernelINS0_13select_configILj256ELj13ELNS0_17block_load_methodE3ELS4_3ELS4_3ELNS0_20block_scan_algorithmE0ELj4294967295EEENS1_25partition_config_selectorILNS1_17partition_subalgoE4EjNS0_10empty_typeEbEEZZNS1_14partition_implILS8_4ELb0ES6_15HIP_vector_typeIjLj2EENS0_17counting_iteratorIjlEEPS9_SG_NS0_5tupleIJPjSI_NS0_16reverse_iteratorISI_EEEEENSH_IJSG_SG_SG_EEES9_SI_JZNS1_25segmented_radix_sort_implINS0_14default_configELb0EPKbPbPKlPlN2at6native12_GLOBAL__N_18offset_tEEE10hipError_tPvRmT1_PNSt15iterator_traitsIS12_E10value_typeET2_T3_PNS13_IS18_E10value_typeET4_jRbjT5_S1E_jjP12ihipStream_tbEUljE_ZNSN_ISO_Lb0ESQ_SR_ST_SU_SY_EESZ_S10_S11_S12_S16_S17_S18_S1B_S1C_jS1D_jS1E_S1E_jjS1G_bEUljE0_EEESZ_S10_S11_S18_S1C_S1E_T6_T7_T9_mT8_S1G_bDpT10_ENKUlT_T0_E_clISt17integral_constantIbLb0EES1T_IbLb1EEEEDaS1P_S1Q_EUlS1P_E_NS1_11comp_targetILNS1_3genE5ELNS1_11target_archE942ELNS1_3gpuE9ELNS1_3repE0EEENS1_30default_config_static_selectorELNS0_4arch9wavefront6targetE1EEEvS12_
; %bb.0:
	.section	.rodata,"a",@progbits
	.p2align	6, 0x0
	.amdhsa_kernel _ZN7rocprim17ROCPRIM_400000_NS6detail17trampoline_kernelINS0_13select_configILj256ELj13ELNS0_17block_load_methodE3ELS4_3ELS4_3ELNS0_20block_scan_algorithmE0ELj4294967295EEENS1_25partition_config_selectorILNS1_17partition_subalgoE4EjNS0_10empty_typeEbEEZZNS1_14partition_implILS8_4ELb0ES6_15HIP_vector_typeIjLj2EENS0_17counting_iteratorIjlEEPS9_SG_NS0_5tupleIJPjSI_NS0_16reverse_iteratorISI_EEEEENSH_IJSG_SG_SG_EEES9_SI_JZNS1_25segmented_radix_sort_implINS0_14default_configELb0EPKbPbPKlPlN2at6native12_GLOBAL__N_18offset_tEEE10hipError_tPvRmT1_PNSt15iterator_traitsIS12_E10value_typeET2_T3_PNS13_IS18_E10value_typeET4_jRbjT5_S1E_jjP12ihipStream_tbEUljE_ZNSN_ISO_Lb0ESQ_SR_ST_SU_SY_EESZ_S10_S11_S12_S16_S17_S18_S1B_S1C_jS1D_jS1E_S1E_jjS1G_bEUljE0_EEESZ_S10_S11_S18_S1C_S1E_T6_T7_T9_mT8_S1G_bDpT10_ENKUlT_T0_E_clISt17integral_constantIbLb0EES1T_IbLb1EEEEDaS1P_S1Q_EUlS1P_E_NS1_11comp_targetILNS1_3genE5ELNS1_11target_archE942ELNS1_3gpuE9ELNS1_3repE0EEENS1_30default_config_static_selectorELNS0_4arch9wavefront6targetE1EEEvS12_
		.amdhsa_group_segment_fixed_size 0
		.amdhsa_private_segment_fixed_size 0
		.amdhsa_kernarg_size 184
		.amdhsa_user_sgpr_count 6
		.amdhsa_user_sgpr_private_segment_buffer 1
		.amdhsa_user_sgpr_dispatch_ptr 0
		.amdhsa_user_sgpr_queue_ptr 0
		.amdhsa_user_sgpr_kernarg_segment_ptr 1
		.amdhsa_user_sgpr_dispatch_id 0
		.amdhsa_user_sgpr_flat_scratch_init 0
		.amdhsa_user_sgpr_private_segment_size 0
		.amdhsa_uses_dynamic_stack 0
		.amdhsa_system_sgpr_private_segment_wavefront_offset 0
		.amdhsa_system_sgpr_workgroup_id_x 1
		.amdhsa_system_sgpr_workgroup_id_y 0
		.amdhsa_system_sgpr_workgroup_id_z 0
		.amdhsa_system_sgpr_workgroup_info 0
		.amdhsa_system_vgpr_workitem_id 0
		.amdhsa_next_free_vgpr 1
		.amdhsa_next_free_sgpr 0
		.amdhsa_reserve_vcc 0
		.amdhsa_reserve_flat_scratch 0
		.amdhsa_float_round_mode_32 0
		.amdhsa_float_round_mode_16_64 0
		.amdhsa_float_denorm_mode_32 3
		.amdhsa_float_denorm_mode_16_64 3
		.amdhsa_dx10_clamp 1
		.amdhsa_ieee_mode 1
		.amdhsa_fp16_overflow 0
		.amdhsa_exception_fp_ieee_invalid_op 0
		.amdhsa_exception_fp_denorm_src 0
		.amdhsa_exception_fp_ieee_div_zero 0
		.amdhsa_exception_fp_ieee_overflow 0
		.amdhsa_exception_fp_ieee_underflow 0
		.amdhsa_exception_fp_ieee_inexact 0
		.amdhsa_exception_int_div_zero 0
	.end_amdhsa_kernel
	.section	.text._ZN7rocprim17ROCPRIM_400000_NS6detail17trampoline_kernelINS0_13select_configILj256ELj13ELNS0_17block_load_methodE3ELS4_3ELS4_3ELNS0_20block_scan_algorithmE0ELj4294967295EEENS1_25partition_config_selectorILNS1_17partition_subalgoE4EjNS0_10empty_typeEbEEZZNS1_14partition_implILS8_4ELb0ES6_15HIP_vector_typeIjLj2EENS0_17counting_iteratorIjlEEPS9_SG_NS0_5tupleIJPjSI_NS0_16reverse_iteratorISI_EEEEENSH_IJSG_SG_SG_EEES9_SI_JZNS1_25segmented_radix_sort_implINS0_14default_configELb0EPKbPbPKlPlN2at6native12_GLOBAL__N_18offset_tEEE10hipError_tPvRmT1_PNSt15iterator_traitsIS12_E10value_typeET2_T3_PNS13_IS18_E10value_typeET4_jRbjT5_S1E_jjP12ihipStream_tbEUljE_ZNSN_ISO_Lb0ESQ_SR_ST_SU_SY_EESZ_S10_S11_S12_S16_S17_S18_S1B_S1C_jS1D_jS1E_S1E_jjS1G_bEUljE0_EEESZ_S10_S11_S18_S1C_S1E_T6_T7_T9_mT8_S1G_bDpT10_ENKUlT_T0_E_clISt17integral_constantIbLb0EES1T_IbLb1EEEEDaS1P_S1Q_EUlS1P_E_NS1_11comp_targetILNS1_3genE5ELNS1_11target_archE942ELNS1_3gpuE9ELNS1_3repE0EEENS1_30default_config_static_selectorELNS0_4arch9wavefront6targetE1EEEvS12_,"axG",@progbits,_ZN7rocprim17ROCPRIM_400000_NS6detail17trampoline_kernelINS0_13select_configILj256ELj13ELNS0_17block_load_methodE3ELS4_3ELS4_3ELNS0_20block_scan_algorithmE0ELj4294967295EEENS1_25partition_config_selectorILNS1_17partition_subalgoE4EjNS0_10empty_typeEbEEZZNS1_14partition_implILS8_4ELb0ES6_15HIP_vector_typeIjLj2EENS0_17counting_iteratorIjlEEPS9_SG_NS0_5tupleIJPjSI_NS0_16reverse_iteratorISI_EEEEENSH_IJSG_SG_SG_EEES9_SI_JZNS1_25segmented_radix_sort_implINS0_14default_configELb0EPKbPbPKlPlN2at6native12_GLOBAL__N_18offset_tEEE10hipError_tPvRmT1_PNSt15iterator_traitsIS12_E10value_typeET2_T3_PNS13_IS18_E10value_typeET4_jRbjT5_S1E_jjP12ihipStream_tbEUljE_ZNSN_ISO_Lb0ESQ_SR_ST_SU_SY_EESZ_S10_S11_S12_S16_S17_S18_S1B_S1C_jS1D_jS1E_S1E_jjS1G_bEUljE0_EEESZ_S10_S11_S18_S1C_S1E_T6_T7_T9_mT8_S1G_bDpT10_ENKUlT_T0_E_clISt17integral_constantIbLb0EES1T_IbLb1EEEEDaS1P_S1Q_EUlS1P_E_NS1_11comp_targetILNS1_3genE5ELNS1_11target_archE942ELNS1_3gpuE9ELNS1_3repE0EEENS1_30default_config_static_selectorELNS0_4arch9wavefront6targetE1EEEvS12_,comdat
.Lfunc_end1596:
	.size	_ZN7rocprim17ROCPRIM_400000_NS6detail17trampoline_kernelINS0_13select_configILj256ELj13ELNS0_17block_load_methodE3ELS4_3ELS4_3ELNS0_20block_scan_algorithmE0ELj4294967295EEENS1_25partition_config_selectorILNS1_17partition_subalgoE4EjNS0_10empty_typeEbEEZZNS1_14partition_implILS8_4ELb0ES6_15HIP_vector_typeIjLj2EENS0_17counting_iteratorIjlEEPS9_SG_NS0_5tupleIJPjSI_NS0_16reverse_iteratorISI_EEEEENSH_IJSG_SG_SG_EEES9_SI_JZNS1_25segmented_radix_sort_implINS0_14default_configELb0EPKbPbPKlPlN2at6native12_GLOBAL__N_18offset_tEEE10hipError_tPvRmT1_PNSt15iterator_traitsIS12_E10value_typeET2_T3_PNS13_IS18_E10value_typeET4_jRbjT5_S1E_jjP12ihipStream_tbEUljE_ZNSN_ISO_Lb0ESQ_SR_ST_SU_SY_EESZ_S10_S11_S12_S16_S17_S18_S1B_S1C_jS1D_jS1E_S1E_jjS1G_bEUljE0_EEESZ_S10_S11_S18_S1C_S1E_T6_T7_T9_mT8_S1G_bDpT10_ENKUlT_T0_E_clISt17integral_constantIbLb0EES1T_IbLb1EEEEDaS1P_S1Q_EUlS1P_E_NS1_11comp_targetILNS1_3genE5ELNS1_11target_archE942ELNS1_3gpuE9ELNS1_3repE0EEENS1_30default_config_static_selectorELNS0_4arch9wavefront6targetE1EEEvS12_, .Lfunc_end1596-_ZN7rocprim17ROCPRIM_400000_NS6detail17trampoline_kernelINS0_13select_configILj256ELj13ELNS0_17block_load_methodE3ELS4_3ELS4_3ELNS0_20block_scan_algorithmE0ELj4294967295EEENS1_25partition_config_selectorILNS1_17partition_subalgoE4EjNS0_10empty_typeEbEEZZNS1_14partition_implILS8_4ELb0ES6_15HIP_vector_typeIjLj2EENS0_17counting_iteratorIjlEEPS9_SG_NS0_5tupleIJPjSI_NS0_16reverse_iteratorISI_EEEEENSH_IJSG_SG_SG_EEES9_SI_JZNS1_25segmented_radix_sort_implINS0_14default_configELb0EPKbPbPKlPlN2at6native12_GLOBAL__N_18offset_tEEE10hipError_tPvRmT1_PNSt15iterator_traitsIS12_E10value_typeET2_T3_PNS13_IS18_E10value_typeET4_jRbjT5_S1E_jjP12ihipStream_tbEUljE_ZNSN_ISO_Lb0ESQ_SR_ST_SU_SY_EESZ_S10_S11_S12_S16_S17_S18_S1B_S1C_jS1D_jS1E_S1E_jjS1G_bEUljE0_EEESZ_S10_S11_S18_S1C_S1E_T6_T7_T9_mT8_S1G_bDpT10_ENKUlT_T0_E_clISt17integral_constantIbLb0EES1T_IbLb1EEEEDaS1P_S1Q_EUlS1P_E_NS1_11comp_targetILNS1_3genE5ELNS1_11target_archE942ELNS1_3gpuE9ELNS1_3repE0EEENS1_30default_config_static_selectorELNS0_4arch9wavefront6targetE1EEEvS12_
                                        ; -- End function
	.set _ZN7rocprim17ROCPRIM_400000_NS6detail17trampoline_kernelINS0_13select_configILj256ELj13ELNS0_17block_load_methodE3ELS4_3ELS4_3ELNS0_20block_scan_algorithmE0ELj4294967295EEENS1_25partition_config_selectorILNS1_17partition_subalgoE4EjNS0_10empty_typeEbEEZZNS1_14partition_implILS8_4ELb0ES6_15HIP_vector_typeIjLj2EENS0_17counting_iteratorIjlEEPS9_SG_NS0_5tupleIJPjSI_NS0_16reverse_iteratorISI_EEEEENSH_IJSG_SG_SG_EEES9_SI_JZNS1_25segmented_radix_sort_implINS0_14default_configELb0EPKbPbPKlPlN2at6native12_GLOBAL__N_18offset_tEEE10hipError_tPvRmT1_PNSt15iterator_traitsIS12_E10value_typeET2_T3_PNS13_IS18_E10value_typeET4_jRbjT5_S1E_jjP12ihipStream_tbEUljE_ZNSN_ISO_Lb0ESQ_SR_ST_SU_SY_EESZ_S10_S11_S12_S16_S17_S18_S1B_S1C_jS1D_jS1E_S1E_jjS1G_bEUljE0_EEESZ_S10_S11_S18_S1C_S1E_T6_T7_T9_mT8_S1G_bDpT10_ENKUlT_T0_E_clISt17integral_constantIbLb0EES1T_IbLb1EEEEDaS1P_S1Q_EUlS1P_E_NS1_11comp_targetILNS1_3genE5ELNS1_11target_archE942ELNS1_3gpuE9ELNS1_3repE0EEENS1_30default_config_static_selectorELNS0_4arch9wavefront6targetE1EEEvS12_.num_vgpr, 0
	.set _ZN7rocprim17ROCPRIM_400000_NS6detail17trampoline_kernelINS0_13select_configILj256ELj13ELNS0_17block_load_methodE3ELS4_3ELS4_3ELNS0_20block_scan_algorithmE0ELj4294967295EEENS1_25partition_config_selectorILNS1_17partition_subalgoE4EjNS0_10empty_typeEbEEZZNS1_14partition_implILS8_4ELb0ES6_15HIP_vector_typeIjLj2EENS0_17counting_iteratorIjlEEPS9_SG_NS0_5tupleIJPjSI_NS0_16reverse_iteratorISI_EEEEENSH_IJSG_SG_SG_EEES9_SI_JZNS1_25segmented_radix_sort_implINS0_14default_configELb0EPKbPbPKlPlN2at6native12_GLOBAL__N_18offset_tEEE10hipError_tPvRmT1_PNSt15iterator_traitsIS12_E10value_typeET2_T3_PNS13_IS18_E10value_typeET4_jRbjT5_S1E_jjP12ihipStream_tbEUljE_ZNSN_ISO_Lb0ESQ_SR_ST_SU_SY_EESZ_S10_S11_S12_S16_S17_S18_S1B_S1C_jS1D_jS1E_S1E_jjS1G_bEUljE0_EEESZ_S10_S11_S18_S1C_S1E_T6_T7_T9_mT8_S1G_bDpT10_ENKUlT_T0_E_clISt17integral_constantIbLb0EES1T_IbLb1EEEEDaS1P_S1Q_EUlS1P_E_NS1_11comp_targetILNS1_3genE5ELNS1_11target_archE942ELNS1_3gpuE9ELNS1_3repE0EEENS1_30default_config_static_selectorELNS0_4arch9wavefront6targetE1EEEvS12_.num_agpr, 0
	.set _ZN7rocprim17ROCPRIM_400000_NS6detail17trampoline_kernelINS0_13select_configILj256ELj13ELNS0_17block_load_methodE3ELS4_3ELS4_3ELNS0_20block_scan_algorithmE0ELj4294967295EEENS1_25partition_config_selectorILNS1_17partition_subalgoE4EjNS0_10empty_typeEbEEZZNS1_14partition_implILS8_4ELb0ES6_15HIP_vector_typeIjLj2EENS0_17counting_iteratorIjlEEPS9_SG_NS0_5tupleIJPjSI_NS0_16reverse_iteratorISI_EEEEENSH_IJSG_SG_SG_EEES9_SI_JZNS1_25segmented_radix_sort_implINS0_14default_configELb0EPKbPbPKlPlN2at6native12_GLOBAL__N_18offset_tEEE10hipError_tPvRmT1_PNSt15iterator_traitsIS12_E10value_typeET2_T3_PNS13_IS18_E10value_typeET4_jRbjT5_S1E_jjP12ihipStream_tbEUljE_ZNSN_ISO_Lb0ESQ_SR_ST_SU_SY_EESZ_S10_S11_S12_S16_S17_S18_S1B_S1C_jS1D_jS1E_S1E_jjS1G_bEUljE0_EEESZ_S10_S11_S18_S1C_S1E_T6_T7_T9_mT8_S1G_bDpT10_ENKUlT_T0_E_clISt17integral_constantIbLb0EES1T_IbLb1EEEEDaS1P_S1Q_EUlS1P_E_NS1_11comp_targetILNS1_3genE5ELNS1_11target_archE942ELNS1_3gpuE9ELNS1_3repE0EEENS1_30default_config_static_selectorELNS0_4arch9wavefront6targetE1EEEvS12_.numbered_sgpr, 0
	.set _ZN7rocprim17ROCPRIM_400000_NS6detail17trampoline_kernelINS0_13select_configILj256ELj13ELNS0_17block_load_methodE3ELS4_3ELS4_3ELNS0_20block_scan_algorithmE0ELj4294967295EEENS1_25partition_config_selectorILNS1_17partition_subalgoE4EjNS0_10empty_typeEbEEZZNS1_14partition_implILS8_4ELb0ES6_15HIP_vector_typeIjLj2EENS0_17counting_iteratorIjlEEPS9_SG_NS0_5tupleIJPjSI_NS0_16reverse_iteratorISI_EEEEENSH_IJSG_SG_SG_EEES9_SI_JZNS1_25segmented_radix_sort_implINS0_14default_configELb0EPKbPbPKlPlN2at6native12_GLOBAL__N_18offset_tEEE10hipError_tPvRmT1_PNSt15iterator_traitsIS12_E10value_typeET2_T3_PNS13_IS18_E10value_typeET4_jRbjT5_S1E_jjP12ihipStream_tbEUljE_ZNSN_ISO_Lb0ESQ_SR_ST_SU_SY_EESZ_S10_S11_S12_S16_S17_S18_S1B_S1C_jS1D_jS1E_S1E_jjS1G_bEUljE0_EEESZ_S10_S11_S18_S1C_S1E_T6_T7_T9_mT8_S1G_bDpT10_ENKUlT_T0_E_clISt17integral_constantIbLb0EES1T_IbLb1EEEEDaS1P_S1Q_EUlS1P_E_NS1_11comp_targetILNS1_3genE5ELNS1_11target_archE942ELNS1_3gpuE9ELNS1_3repE0EEENS1_30default_config_static_selectorELNS0_4arch9wavefront6targetE1EEEvS12_.num_named_barrier, 0
	.set _ZN7rocprim17ROCPRIM_400000_NS6detail17trampoline_kernelINS0_13select_configILj256ELj13ELNS0_17block_load_methodE3ELS4_3ELS4_3ELNS0_20block_scan_algorithmE0ELj4294967295EEENS1_25partition_config_selectorILNS1_17partition_subalgoE4EjNS0_10empty_typeEbEEZZNS1_14partition_implILS8_4ELb0ES6_15HIP_vector_typeIjLj2EENS0_17counting_iteratorIjlEEPS9_SG_NS0_5tupleIJPjSI_NS0_16reverse_iteratorISI_EEEEENSH_IJSG_SG_SG_EEES9_SI_JZNS1_25segmented_radix_sort_implINS0_14default_configELb0EPKbPbPKlPlN2at6native12_GLOBAL__N_18offset_tEEE10hipError_tPvRmT1_PNSt15iterator_traitsIS12_E10value_typeET2_T3_PNS13_IS18_E10value_typeET4_jRbjT5_S1E_jjP12ihipStream_tbEUljE_ZNSN_ISO_Lb0ESQ_SR_ST_SU_SY_EESZ_S10_S11_S12_S16_S17_S18_S1B_S1C_jS1D_jS1E_S1E_jjS1G_bEUljE0_EEESZ_S10_S11_S18_S1C_S1E_T6_T7_T9_mT8_S1G_bDpT10_ENKUlT_T0_E_clISt17integral_constantIbLb0EES1T_IbLb1EEEEDaS1P_S1Q_EUlS1P_E_NS1_11comp_targetILNS1_3genE5ELNS1_11target_archE942ELNS1_3gpuE9ELNS1_3repE0EEENS1_30default_config_static_selectorELNS0_4arch9wavefront6targetE1EEEvS12_.private_seg_size, 0
	.set _ZN7rocprim17ROCPRIM_400000_NS6detail17trampoline_kernelINS0_13select_configILj256ELj13ELNS0_17block_load_methodE3ELS4_3ELS4_3ELNS0_20block_scan_algorithmE0ELj4294967295EEENS1_25partition_config_selectorILNS1_17partition_subalgoE4EjNS0_10empty_typeEbEEZZNS1_14partition_implILS8_4ELb0ES6_15HIP_vector_typeIjLj2EENS0_17counting_iteratorIjlEEPS9_SG_NS0_5tupleIJPjSI_NS0_16reverse_iteratorISI_EEEEENSH_IJSG_SG_SG_EEES9_SI_JZNS1_25segmented_radix_sort_implINS0_14default_configELb0EPKbPbPKlPlN2at6native12_GLOBAL__N_18offset_tEEE10hipError_tPvRmT1_PNSt15iterator_traitsIS12_E10value_typeET2_T3_PNS13_IS18_E10value_typeET4_jRbjT5_S1E_jjP12ihipStream_tbEUljE_ZNSN_ISO_Lb0ESQ_SR_ST_SU_SY_EESZ_S10_S11_S12_S16_S17_S18_S1B_S1C_jS1D_jS1E_S1E_jjS1G_bEUljE0_EEESZ_S10_S11_S18_S1C_S1E_T6_T7_T9_mT8_S1G_bDpT10_ENKUlT_T0_E_clISt17integral_constantIbLb0EES1T_IbLb1EEEEDaS1P_S1Q_EUlS1P_E_NS1_11comp_targetILNS1_3genE5ELNS1_11target_archE942ELNS1_3gpuE9ELNS1_3repE0EEENS1_30default_config_static_selectorELNS0_4arch9wavefront6targetE1EEEvS12_.uses_vcc, 0
	.set _ZN7rocprim17ROCPRIM_400000_NS6detail17trampoline_kernelINS0_13select_configILj256ELj13ELNS0_17block_load_methodE3ELS4_3ELS4_3ELNS0_20block_scan_algorithmE0ELj4294967295EEENS1_25partition_config_selectorILNS1_17partition_subalgoE4EjNS0_10empty_typeEbEEZZNS1_14partition_implILS8_4ELb0ES6_15HIP_vector_typeIjLj2EENS0_17counting_iteratorIjlEEPS9_SG_NS0_5tupleIJPjSI_NS0_16reverse_iteratorISI_EEEEENSH_IJSG_SG_SG_EEES9_SI_JZNS1_25segmented_radix_sort_implINS0_14default_configELb0EPKbPbPKlPlN2at6native12_GLOBAL__N_18offset_tEEE10hipError_tPvRmT1_PNSt15iterator_traitsIS12_E10value_typeET2_T3_PNS13_IS18_E10value_typeET4_jRbjT5_S1E_jjP12ihipStream_tbEUljE_ZNSN_ISO_Lb0ESQ_SR_ST_SU_SY_EESZ_S10_S11_S12_S16_S17_S18_S1B_S1C_jS1D_jS1E_S1E_jjS1G_bEUljE0_EEESZ_S10_S11_S18_S1C_S1E_T6_T7_T9_mT8_S1G_bDpT10_ENKUlT_T0_E_clISt17integral_constantIbLb0EES1T_IbLb1EEEEDaS1P_S1Q_EUlS1P_E_NS1_11comp_targetILNS1_3genE5ELNS1_11target_archE942ELNS1_3gpuE9ELNS1_3repE0EEENS1_30default_config_static_selectorELNS0_4arch9wavefront6targetE1EEEvS12_.uses_flat_scratch, 0
	.set _ZN7rocprim17ROCPRIM_400000_NS6detail17trampoline_kernelINS0_13select_configILj256ELj13ELNS0_17block_load_methodE3ELS4_3ELS4_3ELNS0_20block_scan_algorithmE0ELj4294967295EEENS1_25partition_config_selectorILNS1_17partition_subalgoE4EjNS0_10empty_typeEbEEZZNS1_14partition_implILS8_4ELb0ES6_15HIP_vector_typeIjLj2EENS0_17counting_iteratorIjlEEPS9_SG_NS0_5tupleIJPjSI_NS0_16reverse_iteratorISI_EEEEENSH_IJSG_SG_SG_EEES9_SI_JZNS1_25segmented_radix_sort_implINS0_14default_configELb0EPKbPbPKlPlN2at6native12_GLOBAL__N_18offset_tEEE10hipError_tPvRmT1_PNSt15iterator_traitsIS12_E10value_typeET2_T3_PNS13_IS18_E10value_typeET4_jRbjT5_S1E_jjP12ihipStream_tbEUljE_ZNSN_ISO_Lb0ESQ_SR_ST_SU_SY_EESZ_S10_S11_S12_S16_S17_S18_S1B_S1C_jS1D_jS1E_S1E_jjS1G_bEUljE0_EEESZ_S10_S11_S18_S1C_S1E_T6_T7_T9_mT8_S1G_bDpT10_ENKUlT_T0_E_clISt17integral_constantIbLb0EES1T_IbLb1EEEEDaS1P_S1Q_EUlS1P_E_NS1_11comp_targetILNS1_3genE5ELNS1_11target_archE942ELNS1_3gpuE9ELNS1_3repE0EEENS1_30default_config_static_selectorELNS0_4arch9wavefront6targetE1EEEvS12_.has_dyn_sized_stack, 0
	.set _ZN7rocprim17ROCPRIM_400000_NS6detail17trampoline_kernelINS0_13select_configILj256ELj13ELNS0_17block_load_methodE3ELS4_3ELS4_3ELNS0_20block_scan_algorithmE0ELj4294967295EEENS1_25partition_config_selectorILNS1_17partition_subalgoE4EjNS0_10empty_typeEbEEZZNS1_14partition_implILS8_4ELb0ES6_15HIP_vector_typeIjLj2EENS0_17counting_iteratorIjlEEPS9_SG_NS0_5tupleIJPjSI_NS0_16reverse_iteratorISI_EEEEENSH_IJSG_SG_SG_EEES9_SI_JZNS1_25segmented_radix_sort_implINS0_14default_configELb0EPKbPbPKlPlN2at6native12_GLOBAL__N_18offset_tEEE10hipError_tPvRmT1_PNSt15iterator_traitsIS12_E10value_typeET2_T3_PNS13_IS18_E10value_typeET4_jRbjT5_S1E_jjP12ihipStream_tbEUljE_ZNSN_ISO_Lb0ESQ_SR_ST_SU_SY_EESZ_S10_S11_S12_S16_S17_S18_S1B_S1C_jS1D_jS1E_S1E_jjS1G_bEUljE0_EEESZ_S10_S11_S18_S1C_S1E_T6_T7_T9_mT8_S1G_bDpT10_ENKUlT_T0_E_clISt17integral_constantIbLb0EES1T_IbLb1EEEEDaS1P_S1Q_EUlS1P_E_NS1_11comp_targetILNS1_3genE5ELNS1_11target_archE942ELNS1_3gpuE9ELNS1_3repE0EEENS1_30default_config_static_selectorELNS0_4arch9wavefront6targetE1EEEvS12_.has_recursion, 0
	.set _ZN7rocprim17ROCPRIM_400000_NS6detail17trampoline_kernelINS0_13select_configILj256ELj13ELNS0_17block_load_methodE3ELS4_3ELS4_3ELNS0_20block_scan_algorithmE0ELj4294967295EEENS1_25partition_config_selectorILNS1_17partition_subalgoE4EjNS0_10empty_typeEbEEZZNS1_14partition_implILS8_4ELb0ES6_15HIP_vector_typeIjLj2EENS0_17counting_iteratorIjlEEPS9_SG_NS0_5tupleIJPjSI_NS0_16reverse_iteratorISI_EEEEENSH_IJSG_SG_SG_EEES9_SI_JZNS1_25segmented_radix_sort_implINS0_14default_configELb0EPKbPbPKlPlN2at6native12_GLOBAL__N_18offset_tEEE10hipError_tPvRmT1_PNSt15iterator_traitsIS12_E10value_typeET2_T3_PNS13_IS18_E10value_typeET4_jRbjT5_S1E_jjP12ihipStream_tbEUljE_ZNSN_ISO_Lb0ESQ_SR_ST_SU_SY_EESZ_S10_S11_S12_S16_S17_S18_S1B_S1C_jS1D_jS1E_S1E_jjS1G_bEUljE0_EEESZ_S10_S11_S18_S1C_S1E_T6_T7_T9_mT8_S1G_bDpT10_ENKUlT_T0_E_clISt17integral_constantIbLb0EES1T_IbLb1EEEEDaS1P_S1Q_EUlS1P_E_NS1_11comp_targetILNS1_3genE5ELNS1_11target_archE942ELNS1_3gpuE9ELNS1_3repE0EEENS1_30default_config_static_selectorELNS0_4arch9wavefront6targetE1EEEvS12_.has_indirect_call, 0
	.section	.AMDGPU.csdata,"",@progbits
; Kernel info:
; codeLenInByte = 0
; TotalNumSgprs: 4
; NumVgprs: 0
; ScratchSize: 0
; MemoryBound: 0
; FloatMode: 240
; IeeeMode: 1
; LDSByteSize: 0 bytes/workgroup (compile time only)
; SGPRBlocks: 0
; VGPRBlocks: 0
; NumSGPRsForWavesPerEU: 4
; NumVGPRsForWavesPerEU: 1
; Occupancy: 10
; WaveLimiterHint : 0
; COMPUTE_PGM_RSRC2:SCRATCH_EN: 0
; COMPUTE_PGM_RSRC2:USER_SGPR: 6
; COMPUTE_PGM_RSRC2:TRAP_HANDLER: 0
; COMPUTE_PGM_RSRC2:TGID_X_EN: 1
; COMPUTE_PGM_RSRC2:TGID_Y_EN: 0
; COMPUTE_PGM_RSRC2:TGID_Z_EN: 0
; COMPUTE_PGM_RSRC2:TIDIG_COMP_CNT: 0
	.section	.text._ZN7rocprim17ROCPRIM_400000_NS6detail17trampoline_kernelINS0_13select_configILj256ELj13ELNS0_17block_load_methodE3ELS4_3ELS4_3ELNS0_20block_scan_algorithmE0ELj4294967295EEENS1_25partition_config_selectorILNS1_17partition_subalgoE4EjNS0_10empty_typeEbEEZZNS1_14partition_implILS8_4ELb0ES6_15HIP_vector_typeIjLj2EENS0_17counting_iteratorIjlEEPS9_SG_NS0_5tupleIJPjSI_NS0_16reverse_iteratorISI_EEEEENSH_IJSG_SG_SG_EEES9_SI_JZNS1_25segmented_radix_sort_implINS0_14default_configELb0EPKbPbPKlPlN2at6native12_GLOBAL__N_18offset_tEEE10hipError_tPvRmT1_PNSt15iterator_traitsIS12_E10value_typeET2_T3_PNS13_IS18_E10value_typeET4_jRbjT5_S1E_jjP12ihipStream_tbEUljE_ZNSN_ISO_Lb0ESQ_SR_ST_SU_SY_EESZ_S10_S11_S12_S16_S17_S18_S1B_S1C_jS1D_jS1E_S1E_jjS1G_bEUljE0_EEESZ_S10_S11_S18_S1C_S1E_T6_T7_T9_mT8_S1G_bDpT10_ENKUlT_T0_E_clISt17integral_constantIbLb0EES1T_IbLb1EEEEDaS1P_S1Q_EUlS1P_E_NS1_11comp_targetILNS1_3genE4ELNS1_11target_archE910ELNS1_3gpuE8ELNS1_3repE0EEENS1_30default_config_static_selectorELNS0_4arch9wavefront6targetE1EEEvS12_,"axG",@progbits,_ZN7rocprim17ROCPRIM_400000_NS6detail17trampoline_kernelINS0_13select_configILj256ELj13ELNS0_17block_load_methodE3ELS4_3ELS4_3ELNS0_20block_scan_algorithmE0ELj4294967295EEENS1_25partition_config_selectorILNS1_17partition_subalgoE4EjNS0_10empty_typeEbEEZZNS1_14partition_implILS8_4ELb0ES6_15HIP_vector_typeIjLj2EENS0_17counting_iteratorIjlEEPS9_SG_NS0_5tupleIJPjSI_NS0_16reverse_iteratorISI_EEEEENSH_IJSG_SG_SG_EEES9_SI_JZNS1_25segmented_radix_sort_implINS0_14default_configELb0EPKbPbPKlPlN2at6native12_GLOBAL__N_18offset_tEEE10hipError_tPvRmT1_PNSt15iterator_traitsIS12_E10value_typeET2_T3_PNS13_IS18_E10value_typeET4_jRbjT5_S1E_jjP12ihipStream_tbEUljE_ZNSN_ISO_Lb0ESQ_SR_ST_SU_SY_EESZ_S10_S11_S12_S16_S17_S18_S1B_S1C_jS1D_jS1E_S1E_jjS1G_bEUljE0_EEESZ_S10_S11_S18_S1C_S1E_T6_T7_T9_mT8_S1G_bDpT10_ENKUlT_T0_E_clISt17integral_constantIbLb0EES1T_IbLb1EEEEDaS1P_S1Q_EUlS1P_E_NS1_11comp_targetILNS1_3genE4ELNS1_11target_archE910ELNS1_3gpuE8ELNS1_3repE0EEENS1_30default_config_static_selectorELNS0_4arch9wavefront6targetE1EEEvS12_,comdat
	.globl	_ZN7rocprim17ROCPRIM_400000_NS6detail17trampoline_kernelINS0_13select_configILj256ELj13ELNS0_17block_load_methodE3ELS4_3ELS4_3ELNS0_20block_scan_algorithmE0ELj4294967295EEENS1_25partition_config_selectorILNS1_17partition_subalgoE4EjNS0_10empty_typeEbEEZZNS1_14partition_implILS8_4ELb0ES6_15HIP_vector_typeIjLj2EENS0_17counting_iteratorIjlEEPS9_SG_NS0_5tupleIJPjSI_NS0_16reverse_iteratorISI_EEEEENSH_IJSG_SG_SG_EEES9_SI_JZNS1_25segmented_radix_sort_implINS0_14default_configELb0EPKbPbPKlPlN2at6native12_GLOBAL__N_18offset_tEEE10hipError_tPvRmT1_PNSt15iterator_traitsIS12_E10value_typeET2_T3_PNS13_IS18_E10value_typeET4_jRbjT5_S1E_jjP12ihipStream_tbEUljE_ZNSN_ISO_Lb0ESQ_SR_ST_SU_SY_EESZ_S10_S11_S12_S16_S17_S18_S1B_S1C_jS1D_jS1E_S1E_jjS1G_bEUljE0_EEESZ_S10_S11_S18_S1C_S1E_T6_T7_T9_mT8_S1G_bDpT10_ENKUlT_T0_E_clISt17integral_constantIbLb0EES1T_IbLb1EEEEDaS1P_S1Q_EUlS1P_E_NS1_11comp_targetILNS1_3genE4ELNS1_11target_archE910ELNS1_3gpuE8ELNS1_3repE0EEENS1_30default_config_static_selectorELNS0_4arch9wavefront6targetE1EEEvS12_ ; -- Begin function _ZN7rocprim17ROCPRIM_400000_NS6detail17trampoline_kernelINS0_13select_configILj256ELj13ELNS0_17block_load_methodE3ELS4_3ELS4_3ELNS0_20block_scan_algorithmE0ELj4294967295EEENS1_25partition_config_selectorILNS1_17partition_subalgoE4EjNS0_10empty_typeEbEEZZNS1_14partition_implILS8_4ELb0ES6_15HIP_vector_typeIjLj2EENS0_17counting_iteratorIjlEEPS9_SG_NS0_5tupleIJPjSI_NS0_16reverse_iteratorISI_EEEEENSH_IJSG_SG_SG_EEES9_SI_JZNS1_25segmented_radix_sort_implINS0_14default_configELb0EPKbPbPKlPlN2at6native12_GLOBAL__N_18offset_tEEE10hipError_tPvRmT1_PNSt15iterator_traitsIS12_E10value_typeET2_T3_PNS13_IS18_E10value_typeET4_jRbjT5_S1E_jjP12ihipStream_tbEUljE_ZNSN_ISO_Lb0ESQ_SR_ST_SU_SY_EESZ_S10_S11_S12_S16_S17_S18_S1B_S1C_jS1D_jS1E_S1E_jjS1G_bEUljE0_EEESZ_S10_S11_S18_S1C_S1E_T6_T7_T9_mT8_S1G_bDpT10_ENKUlT_T0_E_clISt17integral_constantIbLb0EES1T_IbLb1EEEEDaS1P_S1Q_EUlS1P_E_NS1_11comp_targetILNS1_3genE4ELNS1_11target_archE910ELNS1_3gpuE8ELNS1_3repE0EEENS1_30default_config_static_selectorELNS0_4arch9wavefront6targetE1EEEvS12_
	.p2align	8
	.type	_ZN7rocprim17ROCPRIM_400000_NS6detail17trampoline_kernelINS0_13select_configILj256ELj13ELNS0_17block_load_methodE3ELS4_3ELS4_3ELNS0_20block_scan_algorithmE0ELj4294967295EEENS1_25partition_config_selectorILNS1_17partition_subalgoE4EjNS0_10empty_typeEbEEZZNS1_14partition_implILS8_4ELb0ES6_15HIP_vector_typeIjLj2EENS0_17counting_iteratorIjlEEPS9_SG_NS0_5tupleIJPjSI_NS0_16reverse_iteratorISI_EEEEENSH_IJSG_SG_SG_EEES9_SI_JZNS1_25segmented_radix_sort_implINS0_14default_configELb0EPKbPbPKlPlN2at6native12_GLOBAL__N_18offset_tEEE10hipError_tPvRmT1_PNSt15iterator_traitsIS12_E10value_typeET2_T3_PNS13_IS18_E10value_typeET4_jRbjT5_S1E_jjP12ihipStream_tbEUljE_ZNSN_ISO_Lb0ESQ_SR_ST_SU_SY_EESZ_S10_S11_S12_S16_S17_S18_S1B_S1C_jS1D_jS1E_S1E_jjS1G_bEUljE0_EEESZ_S10_S11_S18_S1C_S1E_T6_T7_T9_mT8_S1G_bDpT10_ENKUlT_T0_E_clISt17integral_constantIbLb0EES1T_IbLb1EEEEDaS1P_S1Q_EUlS1P_E_NS1_11comp_targetILNS1_3genE4ELNS1_11target_archE910ELNS1_3gpuE8ELNS1_3repE0EEENS1_30default_config_static_selectorELNS0_4arch9wavefront6targetE1EEEvS12_,@function
_ZN7rocprim17ROCPRIM_400000_NS6detail17trampoline_kernelINS0_13select_configILj256ELj13ELNS0_17block_load_methodE3ELS4_3ELS4_3ELNS0_20block_scan_algorithmE0ELj4294967295EEENS1_25partition_config_selectorILNS1_17partition_subalgoE4EjNS0_10empty_typeEbEEZZNS1_14partition_implILS8_4ELb0ES6_15HIP_vector_typeIjLj2EENS0_17counting_iteratorIjlEEPS9_SG_NS0_5tupleIJPjSI_NS0_16reverse_iteratorISI_EEEEENSH_IJSG_SG_SG_EEES9_SI_JZNS1_25segmented_radix_sort_implINS0_14default_configELb0EPKbPbPKlPlN2at6native12_GLOBAL__N_18offset_tEEE10hipError_tPvRmT1_PNSt15iterator_traitsIS12_E10value_typeET2_T3_PNS13_IS18_E10value_typeET4_jRbjT5_S1E_jjP12ihipStream_tbEUljE_ZNSN_ISO_Lb0ESQ_SR_ST_SU_SY_EESZ_S10_S11_S12_S16_S17_S18_S1B_S1C_jS1D_jS1E_S1E_jjS1G_bEUljE0_EEESZ_S10_S11_S18_S1C_S1E_T6_T7_T9_mT8_S1G_bDpT10_ENKUlT_T0_E_clISt17integral_constantIbLb0EES1T_IbLb1EEEEDaS1P_S1Q_EUlS1P_E_NS1_11comp_targetILNS1_3genE4ELNS1_11target_archE910ELNS1_3gpuE8ELNS1_3repE0EEENS1_30default_config_static_selectorELNS0_4arch9wavefront6targetE1EEEvS12_: ; @_ZN7rocprim17ROCPRIM_400000_NS6detail17trampoline_kernelINS0_13select_configILj256ELj13ELNS0_17block_load_methodE3ELS4_3ELS4_3ELNS0_20block_scan_algorithmE0ELj4294967295EEENS1_25partition_config_selectorILNS1_17partition_subalgoE4EjNS0_10empty_typeEbEEZZNS1_14partition_implILS8_4ELb0ES6_15HIP_vector_typeIjLj2EENS0_17counting_iteratorIjlEEPS9_SG_NS0_5tupleIJPjSI_NS0_16reverse_iteratorISI_EEEEENSH_IJSG_SG_SG_EEES9_SI_JZNS1_25segmented_radix_sort_implINS0_14default_configELb0EPKbPbPKlPlN2at6native12_GLOBAL__N_18offset_tEEE10hipError_tPvRmT1_PNSt15iterator_traitsIS12_E10value_typeET2_T3_PNS13_IS18_E10value_typeET4_jRbjT5_S1E_jjP12ihipStream_tbEUljE_ZNSN_ISO_Lb0ESQ_SR_ST_SU_SY_EESZ_S10_S11_S12_S16_S17_S18_S1B_S1C_jS1D_jS1E_S1E_jjS1G_bEUljE0_EEESZ_S10_S11_S18_S1C_S1E_T6_T7_T9_mT8_S1G_bDpT10_ENKUlT_T0_E_clISt17integral_constantIbLb0EES1T_IbLb1EEEEDaS1P_S1Q_EUlS1P_E_NS1_11comp_targetILNS1_3genE4ELNS1_11target_archE910ELNS1_3gpuE8ELNS1_3repE0EEENS1_30default_config_static_selectorELNS0_4arch9wavefront6targetE1EEEvS12_
; %bb.0:
	.section	.rodata,"a",@progbits
	.p2align	6, 0x0
	.amdhsa_kernel _ZN7rocprim17ROCPRIM_400000_NS6detail17trampoline_kernelINS0_13select_configILj256ELj13ELNS0_17block_load_methodE3ELS4_3ELS4_3ELNS0_20block_scan_algorithmE0ELj4294967295EEENS1_25partition_config_selectorILNS1_17partition_subalgoE4EjNS0_10empty_typeEbEEZZNS1_14partition_implILS8_4ELb0ES6_15HIP_vector_typeIjLj2EENS0_17counting_iteratorIjlEEPS9_SG_NS0_5tupleIJPjSI_NS0_16reverse_iteratorISI_EEEEENSH_IJSG_SG_SG_EEES9_SI_JZNS1_25segmented_radix_sort_implINS0_14default_configELb0EPKbPbPKlPlN2at6native12_GLOBAL__N_18offset_tEEE10hipError_tPvRmT1_PNSt15iterator_traitsIS12_E10value_typeET2_T3_PNS13_IS18_E10value_typeET4_jRbjT5_S1E_jjP12ihipStream_tbEUljE_ZNSN_ISO_Lb0ESQ_SR_ST_SU_SY_EESZ_S10_S11_S12_S16_S17_S18_S1B_S1C_jS1D_jS1E_S1E_jjS1G_bEUljE0_EEESZ_S10_S11_S18_S1C_S1E_T6_T7_T9_mT8_S1G_bDpT10_ENKUlT_T0_E_clISt17integral_constantIbLb0EES1T_IbLb1EEEEDaS1P_S1Q_EUlS1P_E_NS1_11comp_targetILNS1_3genE4ELNS1_11target_archE910ELNS1_3gpuE8ELNS1_3repE0EEENS1_30default_config_static_selectorELNS0_4arch9wavefront6targetE1EEEvS12_
		.amdhsa_group_segment_fixed_size 0
		.amdhsa_private_segment_fixed_size 0
		.amdhsa_kernarg_size 184
		.amdhsa_user_sgpr_count 6
		.amdhsa_user_sgpr_private_segment_buffer 1
		.amdhsa_user_sgpr_dispatch_ptr 0
		.amdhsa_user_sgpr_queue_ptr 0
		.amdhsa_user_sgpr_kernarg_segment_ptr 1
		.amdhsa_user_sgpr_dispatch_id 0
		.amdhsa_user_sgpr_flat_scratch_init 0
		.amdhsa_user_sgpr_private_segment_size 0
		.amdhsa_uses_dynamic_stack 0
		.amdhsa_system_sgpr_private_segment_wavefront_offset 0
		.amdhsa_system_sgpr_workgroup_id_x 1
		.amdhsa_system_sgpr_workgroup_id_y 0
		.amdhsa_system_sgpr_workgroup_id_z 0
		.amdhsa_system_sgpr_workgroup_info 0
		.amdhsa_system_vgpr_workitem_id 0
		.amdhsa_next_free_vgpr 1
		.amdhsa_next_free_sgpr 0
		.amdhsa_reserve_vcc 0
		.amdhsa_reserve_flat_scratch 0
		.amdhsa_float_round_mode_32 0
		.amdhsa_float_round_mode_16_64 0
		.amdhsa_float_denorm_mode_32 3
		.amdhsa_float_denorm_mode_16_64 3
		.amdhsa_dx10_clamp 1
		.amdhsa_ieee_mode 1
		.amdhsa_fp16_overflow 0
		.amdhsa_exception_fp_ieee_invalid_op 0
		.amdhsa_exception_fp_denorm_src 0
		.amdhsa_exception_fp_ieee_div_zero 0
		.amdhsa_exception_fp_ieee_overflow 0
		.amdhsa_exception_fp_ieee_underflow 0
		.amdhsa_exception_fp_ieee_inexact 0
		.amdhsa_exception_int_div_zero 0
	.end_amdhsa_kernel
	.section	.text._ZN7rocprim17ROCPRIM_400000_NS6detail17trampoline_kernelINS0_13select_configILj256ELj13ELNS0_17block_load_methodE3ELS4_3ELS4_3ELNS0_20block_scan_algorithmE0ELj4294967295EEENS1_25partition_config_selectorILNS1_17partition_subalgoE4EjNS0_10empty_typeEbEEZZNS1_14partition_implILS8_4ELb0ES6_15HIP_vector_typeIjLj2EENS0_17counting_iteratorIjlEEPS9_SG_NS0_5tupleIJPjSI_NS0_16reverse_iteratorISI_EEEEENSH_IJSG_SG_SG_EEES9_SI_JZNS1_25segmented_radix_sort_implINS0_14default_configELb0EPKbPbPKlPlN2at6native12_GLOBAL__N_18offset_tEEE10hipError_tPvRmT1_PNSt15iterator_traitsIS12_E10value_typeET2_T3_PNS13_IS18_E10value_typeET4_jRbjT5_S1E_jjP12ihipStream_tbEUljE_ZNSN_ISO_Lb0ESQ_SR_ST_SU_SY_EESZ_S10_S11_S12_S16_S17_S18_S1B_S1C_jS1D_jS1E_S1E_jjS1G_bEUljE0_EEESZ_S10_S11_S18_S1C_S1E_T6_T7_T9_mT8_S1G_bDpT10_ENKUlT_T0_E_clISt17integral_constantIbLb0EES1T_IbLb1EEEEDaS1P_S1Q_EUlS1P_E_NS1_11comp_targetILNS1_3genE4ELNS1_11target_archE910ELNS1_3gpuE8ELNS1_3repE0EEENS1_30default_config_static_selectorELNS0_4arch9wavefront6targetE1EEEvS12_,"axG",@progbits,_ZN7rocprim17ROCPRIM_400000_NS6detail17trampoline_kernelINS0_13select_configILj256ELj13ELNS0_17block_load_methodE3ELS4_3ELS4_3ELNS0_20block_scan_algorithmE0ELj4294967295EEENS1_25partition_config_selectorILNS1_17partition_subalgoE4EjNS0_10empty_typeEbEEZZNS1_14partition_implILS8_4ELb0ES6_15HIP_vector_typeIjLj2EENS0_17counting_iteratorIjlEEPS9_SG_NS0_5tupleIJPjSI_NS0_16reverse_iteratorISI_EEEEENSH_IJSG_SG_SG_EEES9_SI_JZNS1_25segmented_radix_sort_implINS0_14default_configELb0EPKbPbPKlPlN2at6native12_GLOBAL__N_18offset_tEEE10hipError_tPvRmT1_PNSt15iterator_traitsIS12_E10value_typeET2_T3_PNS13_IS18_E10value_typeET4_jRbjT5_S1E_jjP12ihipStream_tbEUljE_ZNSN_ISO_Lb0ESQ_SR_ST_SU_SY_EESZ_S10_S11_S12_S16_S17_S18_S1B_S1C_jS1D_jS1E_S1E_jjS1G_bEUljE0_EEESZ_S10_S11_S18_S1C_S1E_T6_T7_T9_mT8_S1G_bDpT10_ENKUlT_T0_E_clISt17integral_constantIbLb0EES1T_IbLb1EEEEDaS1P_S1Q_EUlS1P_E_NS1_11comp_targetILNS1_3genE4ELNS1_11target_archE910ELNS1_3gpuE8ELNS1_3repE0EEENS1_30default_config_static_selectorELNS0_4arch9wavefront6targetE1EEEvS12_,comdat
.Lfunc_end1597:
	.size	_ZN7rocprim17ROCPRIM_400000_NS6detail17trampoline_kernelINS0_13select_configILj256ELj13ELNS0_17block_load_methodE3ELS4_3ELS4_3ELNS0_20block_scan_algorithmE0ELj4294967295EEENS1_25partition_config_selectorILNS1_17partition_subalgoE4EjNS0_10empty_typeEbEEZZNS1_14partition_implILS8_4ELb0ES6_15HIP_vector_typeIjLj2EENS0_17counting_iteratorIjlEEPS9_SG_NS0_5tupleIJPjSI_NS0_16reverse_iteratorISI_EEEEENSH_IJSG_SG_SG_EEES9_SI_JZNS1_25segmented_radix_sort_implINS0_14default_configELb0EPKbPbPKlPlN2at6native12_GLOBAL__N_18offset_tEEE10hipError_tPvRmT1_PNSt15iterator_traitsIS12_E10value_typeET2_T3_PNS13_IS18_E10value_typeET4_jRbjT5_S1E_jjP12ihipStream_tbEUljE_ZNSN_ISO_Lb0ESQ_SR_ST_SU_SY_EESZ_S10_S11_S12_S16_S17_S18_S1B_S1C_jS1D_jS1E_S1E_jjS1G_bEUljE0_EEESZ_S10_S11_S18_S1C_S1E_T6_T7_T9_mT8_S1G_bDpT10_ENKUlT_T0_E_clISt17integral_constantIbLb0EES1T_IbLb1EEEEDaS1P_S1Q_EUlS1P_E_NS1_11comp_targetILNS1_3genE4ELNS1_11target_archE910ELNS1_3gpuE8ELNS1_3repE0EEENS1_30default_config_static_selectorELNS0_4arch9wavefront6targetE1EEEvS12_, .Lfunc_end1597-_ZN7rocprim17ROCPRIM_400000_NS6detail17trampoline_kernelINS0_13select_configILj256ELj13ELNS0_17block_load_methodE3ELS4_3ELS4_3ELNS0_20block_scan_algorithmE0ELj4294967295EEENS1_25partition_config_selectorILNS1_17partition_subalgoE4EjNS0_10empty_typeEbEEZZNS1_14partition_implILS8_4ELb0ES6_15HIP_vector_typeIjLj2EENS0_17counting_iteratorIjlEEPS9_SG_NS0_5tupleIJPjSI_NS0_16reverse_iteratorISI_EEEEENSH_IJSG_SG_SG_EEES9_SI_JZNS1_25segmented_radix_sort_implINS0_14default_configELb0EPKbPbPKlPlN2at6native12_GLOBAL__N_18offset_tEEE10hipError_tPvRmT1_PNSt15iterator_traitsIS12_E10value_typeET2_T3_PNS13_IS18_E10value_typeET4_jRbjT5_S1E_jjP12ihipStream_tbEUljE_ZNSN_ISO_Lb0ESQ_SR_ST_SU_SY_EESZ_S10_S11_S12_S16_S17_S18_S1B_S1C_jS1D_jS1E_S1E_jjS1G_bEUljE0_EEESZ_S10_S11_S18_S1C_S1E_T6_T7_T9_mT8_S1G_bDpT10_ENKUlT_T0_E_clISt17integral_constantIbLb0EES1T_IbLb1EEEEDaS1P_S1Q_EUlS1P_E_NS1_11comp_targetILNS1_3genE4ELNS1_11target_archE910ELNS1_3gpuE8ELNS1_3repE0EEENS1_30default_config_static_selectorELNS0_4arch9wavefront6targetE1EEEvS12_
                                        ; -- End function
	.set _ZN7rocprim17ROCPRIM_400000_NS6detail17trampoline_kernelINS0_13select_configILj256ELj13ELNS0_17block_load_methodE3ELS4_3ELS4_3ELNS0_20block_scan_algorithmE0ELj4294967295EEENS1_25partition_config_selectorILNS1_17partition_subalgoE4EjNS0_10empty_typeEbEEZZNS1_14partition_implILS8_4ELb0ES6_15HIP_vector_typeIjLj2EENS0_17counting_iteratorIjlEEPS9_SG_NS0_5tupleIJPjSI_NS0_16reverse_iteratorISI_EEEEENSH_IJSG_SG_SG_EEES9_SI_JZNS1_25segmented_radix_sort_implINS0_14default_configELb0EPKbPbPKlPlN2at6native12_GLOBAL__N_18offset_tEEE10hipError_tPvRmT1_PNSt15iterator_traitsIS12_E10value_typeET2_T3_PNS13_IS18_E10value_typeET4_jRbjT5_S1E_jjP12ihipStream_tbEUljE_ZNSN_ISO_Lb0ESQ_SR_ST_SU_SY_EESZ_S10_S11_S12_S16_S17_S18_S1B_S1C_jS1D_jS1E_S1E_jjS1G_bEUljE0_EEESZ_S10_S11_S18_S1C_S1E_T6_T7_T9_mT8_S1G_bDpT10_ENKUlT_T0_E_clISt17integral_constantIbLb0EES1T_IbLb1EEEEDaS1P_S1Q_EUlS1P_E_NS1_11comp_targetILNS1_3genE4ELNS1_11target_archE910ELNS1_3gpuE8ELNS1_3repE0EEENS1_30default_config_static_selectorELNS0_4arch9wavefront6targetE1EEEvS12_.num_vgpr, 0
	.set _ZN7rocprim17ROCPRIM_400000_NS6detail17trampoline_kernelINS0_13select_configILj256ELj13ELNS0_17block_load_methodE3ELS4_3ELS4_3ELNS0_20block_scan_algorithmE0ELj4294967295EEENS1_25partition_config_selectorILNS1_17partition_subalgoE4EjNS0_10empty_typeEbEEZZNS1_14partition_implILS8_4ELb0ES6_15HIP_vector_typeIjLj2EENS0_17counting_iteratorIjlEEPS9_SG_NS0_5tupleIJPjSI_NS0_16reverse_iteratorISI_EEEEENSH_IJSG_SG_SG_EEES9_SI_JZNS1_25segmented_radix_sort_implINS0_14default_configELb0EPKbPbPKlPlN2at6native12_GLOBAL__N_18offset_tEEE10hipError_tPvRmT1_PNSt15iterator_traitsIS12_E10value_typeET2_T3_PNS13_IS18_E10value_typeET4_jRbjT5_S1E_jjP12ihipStream_tbEUljE_ZNSN_ISO_Lb0ESQ_SR_ST_SU_SY_EESZ_S10_S11_S12_S16_S17_S18_S1B_S1C_jS1D_jS1E_S1E_jjS1G_bEUljE0_EEESZ_S10_S11_S18_S1C_S1E_T6_T7_T9_mT8_S1G_bDpT10_ENKUlT_T0_E_clISt17integral_constantIbLb0EES1T_IbLb1EEEEDaS1P_S1Q_EUlS1P_E_NS1_11comp_targetILNS1_3genE4ELNS1_11target_archE910ELNS1_3gpuE8ELNS1_3repE0EEENS1_30default_config_static_selectorELNS0_4arch9wavefront6targetE1EEEvS12_.num_agpr, 0
	.set _ZN7rocprim17ROCPRIM_400000_NS6detail17trampoline_kernelINS0_13select_configILj256ELj13ELNS0_17block_load_methodE3ELS4_3ELS4_3ELNS0_20block_scan_algorithmE0ELj4294967295EEENS1_25partition_config_selectorILNS1_17partition_subalgoE4EjNS0_10empty_typeEbEEZZNS1_14partition_implILS8_4ELb0ES6_15HIP_vector_typeIjLj2EENS0_17counting_iteratorIjlEEPS9_SG_NS0_5tupleIJPjSI_NS0_16reverse_iteratorISI_EEEEENSH_IJSG_SG_SG_EEES9_SI_JZNS1_25segmented_radix_sort_implINS0_14default_configELb0EPKbPbPKlPlN2at6native12_GLOBAL__N_18offset_tEEE10hipError_tPvRmT1_PNSt15iterator_traitsIS12_E10value_typeET2_T3_PNS13_IS18_E10value_typeET4_jRbjT5_S1E_jjP12ihipStream_tbEUljE_ZNSN_ISO_Lb0ESQ_SR_ST_SU_SY_EESZ_S10_S11_S12_S16_S17_S18_S1B_S1C_jS1D_jS1E_S1E_jjS1G_bEUljE0_EEESZ_S10_S11_S18_S1C_S1E_T6_T7_T9_mT8_S1G_bDpT10_ENKUlT_T0_E_clISt17integral_constantIbLb0EES1T_IbLb1EEEEDaS1P_S1Q_EUlS1P_E_NS1_11comp_targetILNS1_3genE4ELNS1_11target_archE910ELNS1_3gpuE8ELNS1_3repE0EEENS1_30default_config_static_selectorELNS0_4arch9wavefront6targetE1EEEvS12_.numbered_sgpr, 0
	.set _ZN7rocprim17ROCPRIM_400000_NS6detail17trampoline_kernelINS0_13select_configILj256ELj13ELNS0_17block_load_methodE3ELS4_3ELS4_3ELNS0_20block_scan_algorithmE0ELj4294967295EEENS1_25partition_config_selectorILNS1_17partition_subalgoE4EjNS0_10empty_typeEbEEZZNS1_14partition_implILS8_4ELb0ES6_15HIP_vector_typeIjLj2EENS0_17counting_iteratorIjlEEPS9_SG_NS0_5tupleIJPjSI_NS0_16reverse_iteratorISI_EEEEENSH_IJSG_SG_SG_EEES9_SI_JZNS1_25segmented_radix_sort_implINS0_14default_configELb0EPKbPbPKlPlN2at6native12_GLOBAL__N_18offset_tEEE10hipError_tPvRmT1_PNSt15iterator_traitsIS12_E10value_typeET2_T3_PNS13_IS18_E10value_typeET4_jRbjT5_S1E_jjP12ihipStream_tbEUljE_ZNSN_ISO_Lb0ESQ_SR_ST_SU_SY_EESZ_S10_S11_S12_S16_S17_S18_S1B_S1C_jS1D_jS1E_S1E_jjS1G_bEUljE0_EEESZ_S10_S11_S18_S1C_S1E_T6_T7_T9_mT8_S1G_bDpT10_ENKUlT_T0_E_clISt17integral_constantIbLb0EES1T_IbLb1EEEEDaS1P_S1Q_EUlS1P_E_NS1_11comp_targetILNS1_3genE4ELNS1_11target_archE910ELNS1_3gpuE8ELNS1_3repE0EEENS1_30default_config_static_selectorELNS0_4arch9wavefront6targetE1EEEvS12_.num_named_barrier, 0
	.set _ZN7rocprim17ROCPRIM_400000_NS6detail17trampoline_kernelINS0_13select_configILj256ELj13ELNS0_17block_load_methodE3ELS4_3ELS4_3ELNS0_20block_scan_algorithmE0ELj4294967295EEENS1_25partition_config_selectorILNS1_17partition_subalgoE4EjNS0_10empty_typeEbEEZZNS1_14partition_implILS8_4ELb0ES6_15HIP_vector_typeIjLj2EENS0_17counting_iteratorIjlEEPS9_SG_NS0_5tupleIJPjSI_NS0_16reverse_iteratorISI_EEEEENSH_IJSG_SG_SG_EEES9_SI_JZNS1_25segmented_radix_sort_implINS0_14default_configELb0EPKbPbPKlPlN2at6native12_GLOBAL__N_18offset_tEEE10hipError_tPvRmT1_PNSt15iterator_traitsIS12_E10value_typeET2_T3_PNS13_IS18_E10value_typeET4_jRbjT5_S1E_jjP12ihipStream_tbEUljE_ZNSN_ISO_Lb0ESQ_SR_ST_SU_SY_EESZ_S10_S11_S12_S16_S17_S18_S1B_S1C_jS1D_jS1E_S1E_jjS1G_bEUljE0_EEESZ_S10_S11_S18_S1C_S1E_T6_T7_T9_mT8_S1G_bDpT10_ENKUlT_T0_E_clISt17integral_constantIbLb0EES1T_IbLb1EEEEDaS1P_S1Q_EUlS1P_E_NS1_11comp_targetILNS1_3genE4ELNS1_11target_archE910ELNS1_3gpuE8ELNS1_3repE0EEENS1_30default_config_static_selectorELNS0_4arch9wavefront6targetE1EEEvS12_.private_seg_size, 0
	.set _ZN7rocprim17ROCPRIM_400000_NS6detail17trampoline_kernelINS0_13select_configILj256ELj13ELNS0_17block_load_methodE3ELS4_3ELS4_3ELNS0_20block_scan_algorithmE0ELj4294967295EEENS1_25partition_config_selectorILNS1_17partition_subalgoE4EjNS0_10empty_typeEbEEZZNS1_14partition_implILS8_4ELb0ES6_15HIP_vector_typeIjLj2EENS0_17counting_iteratorIjlEEPS9_SG_NS0_5tupleIJPjSI_NS0_16reverse_iteratorISI_EEEEENSH_IJSG_SG_SG_EEES9_SI_JZNS1_25segmented_radix_sort_implINS0_14default_configELb0EPKbPbPKlPlN2at6native12_GLOBAL__N_18offset_tEEE10hipError_tPvRmT1_PNSt15iterator_traitsIS12_E10value_typeET2_T3_PNS13_IS18_E10value_typeET4_jRbjT5_S1E_jjP12ihipStream_tbEUljE_ZNSN_ISO_Lb0ESQ_SR_ST_SU_SY_EESZ_S10_S11_S12_S16_S17_S18_S1B_S1C_jS1D_jS1E_S1E_jjS1G_bEUljE0_EEESZ_S10_S11_S18_S1C_S1E_T6_T7_T9_mT8_S1G_bDpT10_ENKUlT_T0_E_clISt17integral_constantIbLb0EES1T_IbLb1EEEEDaS1P_S1Q_EUlS1P_E_NS1_11comp_targetILNS1_3genE4ELNS1_11target_archE910ELNS1_3gpuE8ELNS1_3repE0EEENS1_30default_config_static_selectorELNS0_4arch9wavefront6targetE1EEEvS12_.uses_vcc, 0
	.set _ZN7rocprim17ROCPRIM_400000_NS6detail17trampoline_kernelINS0_13select_configILj256ELj13ELNS0_17block_load_methodE3ELS4_3ELS4_3ELNS0_20block_scan_algorithmE0ELj4294967295EEENS1_25partition_config_selectorILNS1_17partition_subalgoE4EjNS0_10empty_typeEbEEZZNS1_14partition_implILS8_4ELb0ES6_15HIP_vector_typeIjLj2EENS0_17counting_iteratorIjlEEPS9_SG_NS0_5tupleIJPjSI_NS0_16reverse_iteratorISI_EEEEENSH_IJSG_SG_SG_EEES9_SI_JZNS1_25segmented_radix_sort_implINS0_14default_configELb0EPKbPbPKlPlN2at6native12_GLOBAL__N_18offset_tEEE10hipError_tPvRmT1_PNSt15iterator_traitsIS12_E10value_typeET2_T3_PNS13_IS18_E10value_typeET4_jRbjT5_S1E_jjP12ihipStream_tbEUljE_ZNSN_ISO_Lb0ESQ_SR_ST_SU_SY_EESZ_S10_S11_S12_S16_S17_S18_S1B_S1C_jS1D_jS1E_S1E_jjS1G_bEUljE0_EEESZ_S10_S11_S18_S1C_S1E_T6_T7_T9_mT8_S1G_bDpT10_ENKUlT_T0_E_clISt17integral_constantIbLb0EES1T_IbLb1EEEEDaS1P_S1Q_EUlS1P_E_NS1_11comp_targetILNS1_3genE4ELNS1_11target_archE910ELNS1_3gpuE8ELNS1_3repE0EEENS1_30default_config_static_selectorELNS0_4arch9wavefront6targetE1EEEvS12_.uses_flat_scratch, 0
	.set _ZN7rocprim17ROCPRIM_400000_NS6detail17trampoline_kernelINS0_13select_configILj256ELj13ELNS0_17block_load_methodE3ELS4_3ELS4_3ELNS0_20block_scan_algorithmE0ELj4294967295EEENS1_25partition_config_selectorILNS1_17partition_subalgoE4EjNS0_10empty_typeEbEEZZNS1_14partition_implILS8_4ELb0ES6_15HIP_vector_typeIjLj2EENS0_17counting_iteratorIjlEEPS9_SG_NS0_5tupleIJPjSI_NS0_16reverse_iteratorISI_EEEEENSH_IJSG_SG_SG_EEES9_SI_JZNS1_25segmented_radix_sort_implINS0_14default_configELb0EPKbPbPKlPlN2at6native12_GLOBAL__N_18offset_tEEE10hipError_tPvRmT1_PNSt15iterator_traitsIS12_E10value_typeET2_T3_PNS13_IS18_E10value_typeET4_jRbjT5_S1E_jjP12ihipStream_tbEUljE_ZNSN_ISO_Lb0ESQ_SR_ST_SU_SY_EESZ_S10_S11_S12_S16_S17_S18_S1B_S1C_jS1D_jS1E_S1E_jjS1G_bEUljE0_EEESZ_S10_S11_S18_S1C_S1E_T6_T7_T9_mT8_S1G_bDpT10_ENKUlT_T0_E_clISt17integral_constantIbLb0EES1T_IbLb1EEEEDaS1P_S1Q_EUlS1P_E_NS1_11comp_targetILNS1_3genE4ELNS1_11target_archE910ELNS1_3gpuE8ELNS1_3repE0EEENS1_30default_config_static_selectorELNS0_4arch9wavefront6targetE1EEEvS12_.has_dyn_sized_stack, 0
	.set _ZN7rocprim17ROCPRIM_400000_NS6detail17trampoline_kernelINS0_13select_configILj256ELj13ELNS0_17block_load_methodE3ELS4_3ELS4_3ELNS0_20block_scan_algorithmE0ELj4294967295EEENS1_25partition_config_selectorILNS1_17partition_subalgoE4EjNS0_10empty_typeEbEEZZNS1_14partition_implILS8_4ELb0ES6_15HIP_vector_typeIjLj2EENS0_17counting_iteratorIjlEEPS9_SG_NS0_5tupleIJPjSI_NS0_16reverse_iteratorISI_EEEEENSH_IJSG_SG_SG_EEES9_SI_JZNS1_25segmented_radix_sort_implINS0_14default_configELb0EPKbPbPKlPlN2at6native12_GLOBAL__N_18offset_tEEE10hipError_tPvRmT1_PNSt15iterator_traitsIS12_E10value_typeET2_T3_PNS13_IS18_E10value_typeET4_jRbjT5_S1E_jjP12ihipStream_tbEUljE_ZNSN_ISO_Lb0ESQ_SR_ST_SU_SY_EESZ_S10_S11_S12_S16_S17_S18_S1B_S1C_jS1D_jS1E_S1E_jjS1G_bEUljE0_EEESZ_S10_S11_S18_S1C_S1E_T6_T7_T9_mT8_S1G_bDpT10_ENKUlT_T0_E_clISt17integral_constantIbLb0EES1T_IbLb1EEEEDaS1P_S1Q_EUlS1P_E_NS1_11comp_targetILNS1_3genE4ELNS1_11target_archE910ELNS1_3gpuE8ELNS1_3repE0EEENS1_30default_config_static_selectorELNS0_4arch9wavefront6targetE1EEEvS12_.has_recursion, 0
	.set _ZN7rocprim17ROCPRIM_400000_NS6detail17trampoline_kernelINS0_13select_configILj256ELj13ELNS0_17block_load_methodE3ELS4_3ELS4_3ELNS0_20block_scan_algorithmE0ELj4294967295EEENS1_25partition_config_selectorILNS1_17partition_subalgoE4EjNS0_10empty_typeEbEEZZNS1_14partition_implILS8_4ELb0ES6_15HIP_vector_typeIjLj2EENS0_17counting_iteratorIjlEEPS9_SG_NS0_5tupleIJPjSI_NS0_16reverse_iteratorISI_EEEEENSH_IJSG_SG_SG_EEES9_SI_JZNS1_25segmented_radix_sort_implINS0_14default_configELb0EPKbPbPKlPlN2at6native12_GLOBAL__N_18offset_tEEE10hipError_tPvRmT1_PNSt15iterator_traitsIS12_E10value_typeET2_T3_PNS13_IS18_E10value_typeET4_jRbjT5_S1E_jjP12ihipStream_tbEUljE_ZNSN_ISO_Lb0ESQ_SR_ST_SU_SY_EESZ_S10_S11_S12_S16_S17_S18_S1B_S1C_jS1D_jS1E_S1E_jjS1G_bEUljE0_EEESZ_S10_S11_S18_S1C_S1E_T6_T7_T9_mT8_S1G_bDpT10_ENKUlT_T0_E_clISt17integral_constantIbLb0EES1T_IbLb1EEEEDaS1P_S1Q_EUlS1P_E_NS1_11comp_targetILNS1_3genE4ELNS1_11target_archE910ELNS1_3gpuE8ELNS1_3repE0EEENS1_30default_config_static_selectorELNS0_4arch9wavefront6targetE1EEEvS12_.has_indirect_call, 0
	.section	.AMDGPU.csdata,"",@progbits
; Kernel info:
; codeLenInByte = 0
; TotalNumSgprs: 4
; NumVgprs: 0
; ScratchSize: 0
; MemoryBound: 0
; FloatMode: 240
; IeeeMode: 1
; LDSByteSize: 0 bytes/workgroup (compile time only)
; SGPRBlocks: 0
; VGPRBlocks: 0
; NumSGPRsForWavesPerEU: 4
; NumVGPRsForWavesPerEU: 1
; Occupancy: 10
; WaveLimiterHint : 0
; COMPUTE_PGM_RSRC2:SCRATCH_EN: 0
; COMPUTE_PGM_RSRC2:USER_SGPR: 6
; COMPUTE_PGM_RSRC2:TRAP_HANDLER: 0
; COMPUTE_PGM_RSRC2:TGID_X_EN: 1
; COMPUTE_PGM_RSRC2:TGID_Y_EN: 0
; COMPUTE_PGM_RSRC2:TGID_Z_EN: 0
; COMPUTE_PGM_RSRC2:TIDIG_COMP_CNT: 0
	.section	.text._ZN7rocprim17ROCPRIM_400000_NS6detail17trampoline_kernelINS0_13select_configILj256ELj13ELNS0_17block_load_methodE3ELS4_3ELS4_3ELNS0_20block_scan_algorithmE0ELj4294967295EEENS1_25partition_config_selectorILNS1_17partition_subalgoE4EjNS0_10empty_typeEbEEZZNS1_14partition_implILS8_4ELb0ES6_15HIP_vector_typeIjLj2EENS0_17counting_iteratorIjlEEPS9_SG_NS0_5tupleIJPjSI_NS0_16reverse_iteratorISI_EEEEENSH_IJSG_SG_SG_EEES9_SI_JZNS1_25segmented_radix_sort_implINS0_14default_configELb0EPKbPbPKlPlN2at6native12_GLOBAL__N_18offset_tEEE10hipError_tPvRmT1_PNSt15iterator_traitsIS12_E10value_typeET2_T3_PNS13_IS18_E10value_typeET4_jRbjT5_S1E_jjP12ihipStream_tbEUljE_ZNSN_ISO_Lb0ESQ_SR_ST_SU_SY_EESZ_S10_S11_S12_S16_S17_S18_S1B_S1C_jS1D_jS1E_S1E_jjS1G_bEUljE0_EEESZ_S10_S11_S18_S1C_S1E_T6_T7_T9_mT8_S1G_bDpT10_ENKUlT_T0_E_clISt17integral_constantIbLb0EES1T_IbLb1EEEEDaS1P_S1Q_EUlS1P_E_NS1_11comp_targetILNS1_3genE3ELNS1_11target_archE908ELNS1_3gpuE7ELNS1_3repE0EEENS1_30default_config_static_selectorELNS0_4arch9wavefront6targetE1EEEvS12_,"axG",@progbits,_ZN7rocprim17ROCPRIM_400000_NS6detail17trampoline_kernelINS0_13select_configILj256ELj13ELNS0_17block_load_methodE3ELS4_3ELS4_3ELNS0_20block_scan_algorithmE0ELj4294967295EEENS1_25partition_config_selectorILNS1_17partition_subalgoE4EjNS0_10empty_typeEbEEZZNS1_14partition_implILS8_4ELb0ES6_15HIP_vector_typeIjLj2EENS0_17counting_iteratorIjlEEPS9_SG_NS0_5tupleIJPjSI_NS0_16reverse_iteratorISI_EEEEENSH_IJSG_SG_SG_EEES9_SI_JZNS1_25segmented_radix_sort_implINS0_14default_configELb0EPKbPbPKlPlN2at6native12_GLOBAL__N_18offset_tEEE10hipError_tPvRmT1_PNSt15iterator_traitsIS12_E10value_typeET2_T3_PNS13_IS18_E10value_typeET4_jRbjT5_S1E_jjP12ihipStream_tbEUljE_ZNSN_ISO_Lb0ESQ_SR_ST_SU_SY_EESZ_S10_S11_S12_S16_S17_S18_S1B_S1C_jS1D_jS1E_S1E_jjS1G_bEUljE0_EEESZ_S10_S11_S18_S1C_S1E_T6_T7_T9_mT8_S1G_bDpT10_ENKUlT_T0_E_clISt17integral_constantIbLb0EES1T_IbLb1EEEEDaS1P_S1Q_EUlS1P_E_NS1_11comp_targetILNS1_3genE3ELNS1_11target_archE908ELNS1_3gpuE7ELNS1_3repE0EEENS1_30default_config_static_selectorELNS0_4arch9wavefront6targetE1EEEvS12_,comdat
	.globl	_ZN7rocprim17ROCPRIM_400000_NS6detail17trampoline_kernelINS0_13select_configILj256ELj13ELNS0_17block_load_methodE3ELS4_3ELS4_3ELNS0_20block_scan_algorithmE0ELj4294967295EEENS1_25partition_config_selectorILNS1_17partition_subalgoE4EjNS0_10empty_typeEbEEZZNS1_14partition_implILS8_4ELb0ES6_15HIP_vector_typeIjLj2EENS0_17counting_iteratorIjlEEPS9_SG_NS0_5tupleIJPjSI_NS0_16reverse_iteratorISI_EEEEENSH_IJSG_SG_SG_EEES9_SI_JZNS1_25segmented_radix_sort_implINS0_14default_configELb0EPKbPbPKlPlN2at6native12_GLOBAL__N_18offset_tEEE10hipError_tPvRmT1_PNSt15iterator_traitsIS12_E10value_typeET2_T3_PNS13_IS18_E10value_typeET4_jRbjT5_S1E_jjP12ihipStream_tbEUljE_ZNSN_ISO_Lb0ESQ_SR_ST_SU_SY_EESZ_S10_S11_S12_S16_S17_S18_S1B_S1C_jS1D_jS1E_S1E_jjS1G_bEUljE0_EEESZ_S10_S11_S18_S1C_S1E_T6_T7_T9_mT8_S1G_bDpT10_ENKUlT_T0_E_clISt17integral_constantIbLb0EES1T_IbLb1EEEEDaS1P_S1Q_EUlS1P_E_NS1_11comp_targetILNS1_3genE3ELNS1_11target_archE908ELNS1_3gpuE7ELNS1_3repE0EEENS1_30default_config_static_selectorELNS0_4arch9wavefront6targetE1EEEvS12_ ; -- Begin function _ZN7rocprim17ROCPRIM_400000_NS6detail17trampoline_kernelINS0_13select_configILj256ELj13ELNS0_17block_load_methodE3ELS4_3ELS4_3ELNS0_20block_scan_algorithmE0ELj4294967295EEENS1_25partition_config_selectorILNS1_17partition_subalgoE4EjNS0_10empty_typeEbEEZZNS1_14partition_implILS8_4ELb0ES6_15HIP_vector_typeIjLj2EENS0_17counting_iteratorIjlEEPS9_SG_NS0_5tupleIJPjSI_NS0_16reverse_iteratorISI_EEEEENSH_IJSG_SG_SG_EEES9_SI_JZNS1_25segmented_radix_sort_implINS0_14default_configELb0EPKbPbPKlPlN2at6native12_GLOBAL__N_18offset_tEEE10hipError_tPvRmT1_PNSt15iterator_traitsIS12_E10value_typeET2_T3_PNS13_IS18_E10value_typeET4_jRbjT5_S1E_jjP12ihipStream_tbEUljE_ZNSN_ISO_Lb0ESQ_SR_ST_SU_SY_EESZ_S10_S11_S12_S16_S17_S18_S1B_S1C_jS1D_jS1E_S1E_jjS1G_bEUljE0_EEESZ_S10_S11_S18_S1C_S1E_T6_T7_T9_mT8_S1G_bDpT10_ENKUlT_T0_E_clISt17integral_constantIbLb0EES1T_IbLb1EEEEDaS1P_S1Q_EUlS1P_E_NS1_11comp_targetILNS1_3genE3ELNS1_11target_archE908ELNS1_3gpuE7ELNS1_3repE0EEENS1_30default_config_static_selectorELNS0_4arch9wavefront6targetE1EEEvS12_
	.p2align	8
	.type	_ZN7rocprim17ROCPRIM_400000_NS6detail17trampoline_kernelINS0_13select_configILj256ELj13ELNS0_17block_load_methodE3ELS4_3ELS4_3ELNS0_20block_scan_algorithmE0ELj4294967295EEENS1_25partition_config_selectorILNS1_17partition_subalgoE4EjNS0_10empty_typeEbEEZZNS1_14partition_implILS8_4ELb0ES6_15HIP_vector_typeIjLj2EENS0_17counting_iteratorIjlEEPS9_SG_NS0_5tupleIJPjSI_NS0_16reverse_iteratorISI_EEEEENSH_IJSG_SG_SG_EEES9_SI_JZNS1_25segmented_radix_sort_implINS0_14default_configELb0EPKbPbPKlPlN2at6native12_GLOBAL__N_18offset_tEEE10hipError_tPvRmT1_PNSt15iterator_traitsIS12_E10value_typeET2_T3_PNS13_IS18_E10value_typeET4_jRbjT5_S1E_jjP12ihipStream_tbEUljE_ZNSN_ISO_Lb0ESQ_SR_ST_SU_SY_EESZ_S10_S11_S12_S16_S17_S18_S1B_S1C_jS1D_jS1E_S1E_jjS1G_bEUljE0_EEESZ_S10_S11_S18_S1C_S1E_T6_T7_T9_mT8_S1G_bDpT10_ENKUlT_T0_E_clISt17integral_constantIbLb0EES1T_IbLb1EEEEDaS1P_S1Q_EUlS1P_E_NS1_11comp_targetILNS1_3genE3ELNS1_11target_archE908ELNS1_3gpuE7ELNS1_3repE0EEENS1_30default_config_static_selectorELNS0_4arch9wavefront6targetE1EEEvS12_,@function
_ZN7rocprim17ROCPRIM_400000_NS6detail17trampoline_kernelINS0_13select_configILj256ELj13ELNS0_17block_load_methodE3ELS4_3ELS4_3ELNS0_20block_scan_algorithmE0ELj4294967295EEENS1_25partition_config_selectorILNS1_17partition_subalgoE4EjNS0_10empty_typeEbEEZZNS1_14partition_implILS8_4ELb0ES6_15HIP_vector_typeIjLj2EENS0_17counting_iteratorIjlEEPS9_SG_NS0_5tupleIJPjSI_NS0_16reverse_iteratorISI_EEEEENSH_IJSG_SG_SG_EEES9_SI_JZNS1_25segmented_radix_sort_implINS0_14default_configELb0EPKbPbPKlPlN2at6native12_GLOBAL__N_18offset_tEEE10hipError_tPvRmT1_PNSt15iterator_traitsIS12_E10value_typeET2_T3_PNS13_IS18_E10value_typeET4_jRbjT5_S1E_jjP12ihipStream_tbEUljE_ZNSN_ISO_Lb0ESQ_SR_ST_SU_SY_EESZ_S10_S11_S12_S16_S17_S18_S1B_S1C_jS1D_jS1E_S1E_jjS1G_bEUljE0_EEESZ_S10_S11_S18_S1C_S1E_T6_T7_T9_mT8_S1G_bDpT10_ENKUlT_T0_E_clISt17integral_constantIbLb0EES1T_IbLb1EEEEDaS1P_S1Q_EUlS1P_E_NS1_11comp_targetILNS1_3genE3ELNS1_11target_archE908ELNS1_3gpuE7ELNS1_3repE0EEENS1_30default_config_static_selectorELNS0_4arch9wavefront6targetE1EEEvS12_: ; @_ZN7rocprim17ROCPRIM_400000_NS6detail17trampoline_kernelINS0_13select_configILj256ELj13ELNS0_17block_load_methodE3ELS4_3ELS4_3ELNS0_20block_scan_algorithmE0ELj4294967295EEENS1_25partition_config_selectorILNS1_17partition_subalgoE4EjNS0_10empty_typeEbEEZZNS1_14partition_implILS8_4ELb0ES6_15HIP_vector_typeIjLj2EENS0_17counting_iteratorIjlEEPS9_SG_NS0_5tupleIJPjSI_NS0_16reverse_iteratorISI_EEEEENSH_IJSG_SG_SG_EEES9_SI_JZNS1_25segmented_radix_sort_implINS0_14default_configELb0EPKbPbPKlPlN2at6native12_GLOBAL__N_18offset_tEEE10hipError_tPvRmT1_PNSt15iterator_traitsIS12_E10value_typeET2_T3_PNS13_IS18_E10value_typeET4_jRbjT5_S1E_jjP12ihipStream_tbEUljE_ZNSN_ISO_Lb0ESQ_SR_ST_SU_SY_EESZ_S10_S11_S12_S16_S17_S18_S1B_S1C_jS1D_jS1E_S1E_jjS1G_bEUljE0_EEESZ_S10_S11_S18_S1C_S1E_T6_T7_T9_mT8_S1G_bDpT10_ENKUlT_T0_E_clISt17integral_constantIbLb0EES1T_IbLb1EEEEDaS1P_S1Q_EUlS1P_E_NS1_11comp_targetILNS1_3genE3ELNS1_11target_archE908ELNS1_3gpuE7ELNS1_3repE0EEENS1_30default_config_static_selectorELNS0_4arch9wavefront6targetE1EEEvS12_
; %bb.0:
	.section	.rodata,"a",@progbits
	.p2align	6, 0x0
	.amdhsa_kernel _ZN7rocprim17ROCPRIM_400000_NS6detail17trampoline_kernelINS0_13select_configILj256ELj13ELNS0_17block_load_methodE3ELS4_3ELS4_3ELNS0_20block_scan_algorithmE0ELj4294967295EEENS1_25partition_config_selectorILNS1_17partition_subalgoE4EjNS0_10empty_typeEbEEZZNS1_14partition_implILS8_4ELb0ES6_15HIP_vector_typeIjLj2EENS0_17counting_iteratorIjlEEPS9_SG_NS0_5tupleIJPjSI_NS0_16reverse_iteratorISI_EEEEENSH_IJSG_SG_SG_EEES9_SI_JZNS1_25segmented_radix_sort_implINS0_14default_configELb0EPKbPbPKlPlN2at6native12_GLOBAL__N_18offset_tEEE10hipError_tPvRmT1_PNSt15iterator_traitsIS12_E10value_typeET2_T3_PNS13_IS18_E10value_typeET4_jRbjT5_S1E_jjP12ihipStream_tbEUljE_ZNSN_ISO_Lb0ESQ_SR_ST_SU_SY_EESZ_S10_S11_S12_S16_S17_S18_S1B_S1C_jS1D_jS1E_S1E_jjS1G_bEUljE0_EEESZ_S10_S11_S18_S1C_S1E_T6_T7_T9_mT8_S1G_bDpT10_ENKUlT_T0_E_clISt17integral_constantIbLb0EES1T_IbLb1EEEEDaS1P_S1Q_EUlS1P_E_NS1_11comp_targetILNS1_3genE3ELNS1_11target_archE908ELNS1_3gpuE7ELNS1_3repE0EEENS1_30default_config_static_selectorELNS0_4arch9wavefront6targetE1EEEvS12_
		.amdhsa_group_segment_fixed_size 0
		.amdhsa_private_segment_fixed_size 0
		.amdhsa_kernarg_size 184
		.amdhsa_user_sgpr_count 6
		.amdhsa_user_sgpr_private_segment_buffer 1
		.amdhsa_user_sgpr_dispatch_ptr 0
		.amdhsa_user_sgpr_queue_ptr 0
		.amdhsa_user_sgpr_kernarg_segment_ptr 1
		.amdhsa_user_sgpr_dispatch_id 0
		.amdhsa_user_sgpr_flat_scratch_init 0
		.amdhsa_user_sgpr_private_segment_size 0
		.amdhsa_uses_dynamic_stack 0
		.amdhsa_system_sgpr_private_segment_wavefront_offset 0
		.amdhsa_system_sgpr_workgroup_id_x 1
		.amdhsa_system_sgpr_workgroup_id_y 0
		.amdhsa_system_sgpr_workgroup_id_z 0
		.amdhsa_system_sgpr_workgroup_info 0
		.amdhsa_system_vgpr_workitem_id 0
		.amdhsa_next_free_vgpr 1
		.amdhsa_next_free_sgpr 0
		.amdhsa_reserve_vcc 0
		.amdhsa_reserve_flat_scratch 0
		.amdhsa_float_round_mode_32 0
		.amdhsa_float_round_mode_16_64 0
		.amdhsa_float_denorm_mode_32 3
		.amdhsa_float_denorm_mode_16_64 3
		.amdhsa_dx10_clamp 1
		.amdhsa_ieee_mode 1
		.amdhsa_fp16_overflow 0
		.amdhsa_exception_fp_ieee_invalid_op 0
		.amdhsa_exception_fp_denorm_src 0
		.amdhsa_exception_fp_ieee_div_zero 0
		.amdhsa_exception_fp_ieee_overflow 0
		.amdhsa_exception_fp_ieee_underflow 0
		.amdhsa_exception_fp_ieee_inexact 0
		.amdhsa_exception_int_div_zero 0
	.end_amdhsa_kernel
	.section	.text._ZN7rocprim17ROCPRIM_400000_NS6detail17trampoline_kernelINS0_13select_configILj256ELj13ELNS0_17block_load_methodE3ELS4_3ELS4_3ELNS0_20block_scan_algorithmE0ELj4294967295EEENS1_25partition_config_selectorILNS1_17partition_subalgoE4EjNS0_10empty_typeEbEEZZNS1_14partition_implILS8_4ELb0ES6_15HIP_vector_typeIjLj2EENS0_17counting_iteratorIjlEEPS9_SG_NS0_5tupleIJPjSI_NS0_16reverse_iteratorISI_EEEEENSH_IJSG_SG_SG_EEES9_SI_JZNS1_25segmented_radix_sort_implINS0_14default_configELb0EPKbPbPKlPlN2at6native12_GLOBAL__N_18offset_tEEE10hipError_tPvRmT1_PNSt15iterator_traitsIS12_E10value_typeET2_T3_PNS13_IS18_E10value_typeET4_jRbjT5_S1E_jjP12ihipStream_tbEUljE_ZNSN_ISO_Lb0ESQ_SR_ST_SU_SY_EESZ_S10_S11_S12_S16_S17_S18_S1B_S1C_jS1D_jS1E_S1E_jjS1G_bEUljE0_EEESZ_S10_S11_S18_S1C_S1E_T6_T7_T9_mT8_S1G_bDpT10_ENKUlT_T0_E_clISt17integral_constantIbLb0EES1T_IbLb1EEEEDaS1P_S1Q_EUlS1P_E_NS1_11comp_targetILNS1_3genE3ELNS1_11target_archE908ELNS1_3gpuE7ELNS1_3repE0EEENS1_30default_config_static_selectorELNS0_4arch9wavefront6targetE1EEEvS12_,"axG",@progbits,_ZN7rocprim17ROCPRIM_400000_NS6detail17trampoline_kernelINS0_13select_configILj256ELj13ELNS0_17block_load_methodE3ELS4_3ELS4_3ELNS0_20block_scan_algorithmE0ELj4294967295EEENS1_25partition_config_selectorILNS1_17partition_subalgoE4EjNS0_10empty_typeEbEEZZNS1_14partition_implILS8_4ELb0ES6_15HIP_vector_typeIjLj2EENS0_17counting_iteratorIjlEEPS9_SG_NS0_5tupleIJPjSI_NS0_16reverse_iteratorISI_EEEEENSH_IJSG_SG_SG_EEES9_SI_JZNS1_25segmented_radix_sort_implINS0_14default_configELb0EPKbPbPKlPlN2at6native12_GLOBAL__N_18offset_tEEE10hipError_tPvRmT1_PNSt15iterator_traitsIS12_E10value_typeET2_T3_PNS13_IS18_E10value_typeET4_jRbjT5_S1E_jjP12ihipStream_tbEUljE_ZNSN_ISO_Lb0ESQ_SR_ST_SU_SY_EESZ_S10_S11_S12_S16_S17_S18_S1B_S1C_jS1D_jS1E_S1E_jjS1G_bEUljE0_EEESZ_S10_S11_S18_S1C_S1E_T6_T7_T9_mT8_S1G_bDpT10_ENKUlT_T0_E_clISt17integral_constantIbLb0EES1T_IbLb1EEEEDaS1P_S1Q_EUlS1P_E_NS1_11comp_targetILNS1_3genE3ELNS1_11target_archE908ELNS1_3gpuE7ELNS1_3repE0EEENS1_30default_config_static_selectorELNS0_4arch9wavefront6targetE1EEEvS12_,comdat
.Lfunc_end1598:
	.size	_ZN7rocprim17ROCPRIM_400000_NS6detail17trampoline_kernelINS0_13select_configILj256ELj13ELNS0_17block_load_methodE3ELS4_3ELS4_3ELNS0_20block_scan_algorithmE0ELj4294967295EEENS1_25partition_config_selectorILNS1_17partition_subalgoE4EjNS0_10empty_typeEbEEZZNS1_14partition_implILS8_4ELb0ES6_15HIP_vector_typeIjLj2EENS0_17counting_iteratorIjlEEPS9_SG_NS0_5tupleIJPjSI_NS0_16reverse_iteratorISI_EEEEENSH_IJSG_SG_SG_EEES9_SI_JZNS1_25segmented_radix_sort_implINS0_14default_configELb0EPKbPbPKlPlN2at6native12_GLOBAL__N_18offset_tEEE10hipError_tPvRmT1_PNSt15iterator_traitsIS12_E10value_typeET2_T3_PNS13_IS18_E10value_typeET4_jRbjT5_S1E_jjP12ihipStream_tbEUljE_ZNSN_ISO_Lb0ESQ_SR_ST_SU_SY_EESZ_S10_S11_S12_S16_S17_S18_S1B_S1C_jS1D_jS1E_S1E_jjS1G_bEUljE0_EEESZ_S10_S11_S18_S1C_S1E_T6_T7_T9_mT8_S1G_bDpT10_ENKUlT_T0_E_clISt17integral_constantIbLb0EES1T_IbLb1EEEEDaS1P_S1Q_EUlS1P_E_NS1_11comp_targetILNS1_3genE3ELNS1_11target_archE908ELNS1_3gpuE7ELNS1_3repE0EEENS1_30default_config_static_selectorELNS0_4arch9wavefront6targetE1EEEvS12_, .Lfunc_end1598-_ZN7rocprim17ROCPRIM_400000_NS6detail17trampoline_kernelINS0_13select_configILj256ELj13ELNS0_17block_load_methodE3ELS4_3ELS4_3ELNS0_20block_scan_algorithmE0ELj4294967295EEENS1_25partition_config_selectorILNS1_17partition_subalgoE4EjNS0_10empty_typeEbEEZZNS1_14partition_implILS8_4ELb0ES6_15HIP_vector_typeIjLj2EENS0_17counting_iteratorIjlEEPS9_SG_NS0_5tupleIJPjSI_NS0_16reverse_iteratorISI_EEEEENSH_IJSG_SG_SG_EEES9_SI_JZNS1_25segmented_radix_sort_implINS0_14default_configELb0EPKbPbPKlPlN2at6native12_GLOBAL__N_18offset_tEEE10hipError_tPvRmT1_PNSt15iterator_traitsIS12_E10value_typeET2_T3_PNS13_IS18_E10value_typeET4_jRbjT5_S1E_jjP12ihipStream_tbEUljE_ZNSN_ISO_Lb0ESQ_SR_ST_SU_SY_EESZ_S10_S11_S12_S16_S17_S18_S1B_S1C_jS1D_jS1E_S1E_jjS1G_bEUljE0_EEESZ_S10_S11_S18_S1C_S1E_T6_T7_T9_mT8_S1G_bDpT10_ENKUlT_T0_E_clISt17integral_constantIbLb0EES1T_IbLb1EEEEDaS1P_S1Q_EUlS1P_E_NS1_11comp_targetILNS1_3genE3ELNS1_11target_archE908ELNS1_3gpuE7ELNS1_3repE0EEENS1_30default_config_static_selectorELNS0_4arch9wavefront6targetE1EEEvS12_
                                        ; -- End function
	.set _ZN7rocprim17ROCPRIM_400000_NS6detail17trampoline_kernelINS0_13select_configILj256ELj13ELNS0_17block_load_methodE3ELS4_3ELS4_3ELNS0_20block_scan_algorithmE0ELj4294967295EEENS1_25partition_config_selectorILNS1_17partition_subalgoE4EjNS0_10empty_typeEbEEZZNS1_14partition_implILS8_4ELb0ES6_15HIP_vector_typeIjLj2EENS0_17counting_iteratorIjlEEPS9_SG_NS0_5tupleIJPjSI_NS0_16reverse_iteratorISI_EEEEENSH_IJSG_SG_SG_EEES9_SI_JZNS1_25segmented_radix_sort_implINS0_14default_configELb0EPKbPbPKlPlN2at6native12_GLOBAL__N_18offset_tEEE10hipError_tPvRmT1_PNSt15iterator_traitsIS12_E10value_typeET2_T3_PNS13_IS18_E10value_typeET4_jRbjT5_S1E_jjP12ihipStream_tbEUljE_ZNSN_ISO_Lb0ESQ_SR_ST_SU_SY_EESZ_S10_S11_S12_S16_S17_S18_S1B_S1C_jS1D_jS1E_S1E_jjS1G_bEUljE0_EEESZ_S10_S11_S18_S1C_S1E_T6_T7_T9_mT8_S1G_bDpT10_ENKUlT_T0_E_clISt17integral_constantIbLb0EES1T_IbLb1EEEEDaS1P_S1Q_EUlS1P_E_NS1_11comp_targetILNS1_3genE3ELNS1_11target_archE908ELNS1_3gpuE7ELNS1_3repE0EEENS1_30default_config_static_selectorELNS0_4arch9wavefront6targetE1EEEvS12_.num_vgpr, 0
	.set _ZN7rocprim17ROCPRIM_400000_NS6detail17trampoline_kernelINS0_13select_configILj256ELj13ELNS0_17block_load_methodE3ELS4_3ELS4_3ELNS0_20block_scan_algorithmE0ELj4294967295EEENS1_25partition_config_selectorILNS1_17partition_subalgoE4EjNS0_10empty_typeEbEEZZNS1_14partition_implILS8_4ELb0ES6_15HIP_vector_typeIjLj2EENS0_17counting_iteratorIjlEEPS9_SG_NS0_5tupleIJPjSI_NS0_16reverse_iteratorISI_EEEEENSH_IJSG_SG_SG_EEES9_SI_JZNS1_25segmented_radix_sort_implINS0_14default_configELb0EPKbPbPKlPlN2at6native12_GLOBAL__N_18offset_tEEE10hipError_tPvRmT1_PNSt15iterator_traitsIS12_E10value_typeET2_T3_PNS13_IS18_E10value_typeET4_jRbjT5_S1E_jjP12ihipStream_tbEUljE_ZNSN_ISO_Lb0ESQ_SR_ST_SU_SY_EESZ_S10_S11_S12_S16_S17_S18_S1B_S1C_jS1D_jS1E_S1E_jjS1G_bEUljE0_EEESZ_S10_S11_S18_S1C_S1E_T6_T7_T9_mT8_S1G_bDpT10_ENKUlT_T0_E_clISt17integral_constantIbLb0EES1T_IbLb1EEEEDaS1P_S1Q_EUlS1P_E_NS1_11comp_targetILNS1_3genE3ELNS1_11target_archE908ELNS1_3gpuE7ELNS1_3repE0EEENS1_30default_config_static_selectorELNS0_4arch9wavefront6targetE1EEEvS12_.num_agpr, 0
	.set _ZN7rocprim17ROCPRIM_400000_NS6detail17trampoline_kernelINS0_13select_configILj256ELj13ELNS0_17block_load_methodE3ELS4_3ELS4_3ELNS0_20block_scan_algorithmE0ELj4294967295EEENS1_25partition_config_selectorILNS1_17partition_subalgoE4EjNS0_10empty_typeEbEEZZNS1_14partition_implILS8_4ELb0ES6_15HIP_vector_typeIjLj2EENS0_17counting_iteratorIjlEEPS9_SG_NS0_5tupleIJPjSI_NS0_16reverse_iteratorISI_EEEEENSH_IJSG_SG_SG_EEES9_SI_JZNS1_25segmented_radix_sort_implINS0_14default_configELb0EPKbPbPKlPlN2at6native12_GLOBAL__N_18offset_tEEE10hipError_tPvRmT1_PNSt15iterator_traitsIS12_E10value_typeET2_T3_PNS13_IS18_E10value_typeET4_jRbjT5_S1E_jjP12ihipStream_tbEUljE_ZNSN_ISO_Lb0ESQ_SR_ST_SU_SY_EESZ_S10_S11_S12_S16_S17_S18_S1B_S1C_jS1D_jS1E_S1E_jjS1G_bEUljE0_EEESZ_S10_S11_S18_S1C_S1E_T6_T7_T9_mT8_S1G_bDpT10_ENKUlT_T0_E_clISt17integral_constantIbLb0EES1T_IbLb1EEEEDaS1P_S1Q_EUlS1P_E_NS1_11comp_targetILNS1_3genE3ELNS1_11target_archE908ELNS1_3gpuE7ELNS1_3repE0EEENS1_30default_config_static_selectorELNS0_4arch9wavefront6targetE1EEEvS12_.numbered_sgpr, 0
	.set _ZN7rocprim17ROCPRIM_400000_NS6detail17trampoline_kernelINS0_13select_configILj256ELj13ELNS0_17block_load_methodE3ELS4_3ELS4_3ELNS0_20block_scan_algorithmE0ELj4294967295EEENS1_25partition_config_selectorILNS1_17partition_subalgoE4EjNS0_10empty_typeEbEEZZNS1_14partition_implILS8_4ELb0ES6_15HIP_vector_typeIjLj2EENS0_17counting_iteratorIjlEEPS9_SG_NS0_5tupleIJPjSI_NS0_16reverse_iteratorISI_EEEEENSH_IJSG_SG_SG_EEES9_SI_JZNS1_25segmented_radix_sort_implINS0_14default_configELb0EPKbPbPKlPlN2at6native12_GLOBAL__N_18offset_tEEE10hipError_tPvRmT1_PNSt15iterator_traitsIS12_E10value_typeET2_T3_PNS13_IS18_E10value_typeET4_jRbjT5_S1E_jjP12ihipStream_tbEUljE_ZNSN_ISO_Lb0ESQ_SR_ST_SU_SY_EESZ_S10_S11_S12_S16_S17_S18_S1B_S1C_jS1D_jS1E_S1E_jjS1G_bEUljE0_EEESZ_S10_S11_S18_S1C_S1E_T6_T7_T9_mT8_S1G_bDpT10_ENKUlT_T0_E_clISt17integral_constantIbLb0EES1T_IbLb1EEEEDaS1P_S1Q_EUlS1P_E_NS1_11comp_targetILNS1_3genE3ELNS1_11target_archE908ELNS1_3gpuE7ELNS1_3repE0EEENS1_30default_config_static_selectorELNS0_4arch9wavefront6targetE1EEEvS12_.num_named_barrier, 0
	.set _ZN7rocprim17ROCPRIM_400000_NS6detail17trampoline_kernelINS0_13select_configILj256ELj13ELNS0_17block_load_methodE3ELS4_3ELS4_3ELNS0_20block_scan_algorithmE0ELj4294967295EEENS1_25partition_config_selectorILNS1_17partition_subalgoE4EjNS0_10empty_typeEbEEZZNS1_14partition_implILS8_4ELb0ES6_15HIP_vector_typeIjLj2EENS0_17counting_iteratorIjlEEPS9_SG_NS0_5tupleIJPjSI_NS0_16reverse_iteratorISI_EEEEENSH_IJSG_SG_SG_EEES9_SI_JZNS1_25segmented_radix_sort_implINS0_14default_configELb0EPKbPbPKlPlN2at6native12_GLOBAL__N_18offset_tEEE10hipError_tPvRmT1_PNSt15iterator_traitsIS12_E10value_typeET2_T3_PNS13_IS18_E10value_typeET4_jRbjT5_S1E_jjP12ihipStream_tbEUljE_ZNSN_ISO_Lb0ESQ_SR_ST_SU_SY_EESZ_S10_S11_S12_S16_S17_S18_S1B_S1C_jS1D_jS1E_S1E_jjS1G_bEUljE0_EEESZ_S10_S11_S18_S1C_S1E_T6_T7_T9_mT8_S1G_bDpT10_ENKUlT_T0_E_clISt17integral_constantIbLb0EES1T_IbLb1EEEEDaS1P_S1Q_EUlS1P_E_NS1_11comp_targetILNS1_3genE3ELNS1_11target_archE908ELNS1_3gpuE7ELNS1_3repE0EEENS1_30default_config_static_selectorELNS0_4arch9wavefront6targetE1EEEvS12_.private_seg_size, 0
	.set _ZN7rocprim17ROCPRIM_400000_NS6detail17trampoline_kernelINS0_13select_configILj256ELj13ELNS0_17block_load_methodE3ELS4_3ELS4_3ELNS0_20block_scan_algorithmE0ELj4294967295EEENS1_25partition_config_selectorILNS1_17partition_subalgoE4EjNS0_10empty_typeEbEEZZNS1_14partition_implILS8_4ELb0ES6_15HIP_vector_typeIjLj2EENS0_17counting_iteratorIjlEEPS9_SG_NS0_5tupleIJPjSI_NS0_16reverse_iteratorISI_EEEEENSH_IJSG_SG_SG_EEES9_SI_JZNS1_25segmented_radix_sort_implINS0_14default_configELb0EPKbPbPKlPlN2at6native12_GLOBAL__N_18offset_tEEE10hipError_tPvRmT1_PNSt15iterator_traitsIS12_E10value_typeET2_T3_PNS13_IS18_E10value_typeET4_jRbjT5_S1E_jjP12ihipStream_tbEUljE_ZNSN_ISO_Lb0ESQ_SR_ST_SU_SY_EESZ_S10_S11_S12_S16_S17_S18_S1B_S1C_jS1D_jS1E_S1E_jjS1G_bEUljE0_EEESZ_S10_S11_S18_S1C_S1E_T6_T7_T9_mT8_S1G_bDpT10_ENKUlT_T0_E_clISt17integral_constantIbLb0EES1T_IbLb1EEEEDaS1P_S1Q_EUlS1P_E_NS1_11comp_targetILNS1_3genE3ELNS1_11target_archE908ELNS1_3gpuE7ELNS1_3repE0EEENS1_30default_config_static_selectorELNS0_4arch9wavefront6targetE1EEEvS12_.uses_vcc, 0
	.set _ZN7rocprim17ROCPRIM_400000_NS6detail17trampoline_kernelINS0_13select_configILj256ELj13ELNS0_17block_load_methodE3ELS4_3ELS4_3ELNS0_20block_scan_algorithmE0ELj4294967295EEENS1_25partition_config_selectorILNS1_17partition_subalgoE4EjNS0_10empty_typeEbEEZZNS1_14partition_implILS8_4ELb0ES6_15HIP_vector_typeIjLj2EENS0_17counting_iteratorIjlEEPS9_SG_NS0_5tupleIJPjSI_NS0_16reverse_iteratorISI_EEEEENSH_IJSG_SG_SG_EEES9_SI_JZNS1_25segmented_radix_sort_implINS0_14default_configELb0EPKbPbPKlPlN2at6native12_GLOBAL__N_18offset_tEEE10hipError_tPvRmT1_PNSt15iterator_traitsIS12_E10value_typeET2_T3_PNS13_IS18_E10value_typeET4_jRbjT5_S1E_jjP12ihipStream_tbEUljE_ZNSN_ISO_Lb0ESQ_SR_ST_SU_SY_EESZ_S10_S11_S12_S16_S17_S18_S1B_S1C_jS1D_jS1E_S1E_jjS1G_bEUljE0_EEESZ_S10_S11_S18_S1C_S1E_T6_T7_T9_mT8_S1G_bDpT10_ENKUlT_T0_E_clISt17integral_constantIbLb0EES1T_IbLb1EEEEDaS1P_S1Q_EUlS1P_E_NS1_11comp_targetILNS1_3genE3ELNS1_11target_archE908ELNS1_3gpuE7ELNS1_3repE0EEENS1_30default_config_static_selectorELNS0_4arch9wavefront6targetE1EEEvS12_.uses_flat_scratch, 0
	.set _ZN7rocprim17ROCPRIM_400000_NS6detail17trampoline_kernelINS0_13select_configILj256ELj13ELNS0_17block_load_methodE3ELS4_3ELS4_3ELNS0_20block_scan_algorithmE0ELj4294967295EEENS1_25partition_config_selectorILNS1_17partition_subalgoE4EjNS0_10empty_typeEbEEZZNS1_14partition_implILS8_4ELb0ES6_15HIP_vector_typeIjLj2EENS0_17counting_iteratorIjlEEPS9_SG_NS0_5tupleIJPjSI_NS0_16reverse_iteratorISI_EEEEENSH_IJSG_SG_SG_EEES9_SI_JZNS1_25segmented_radix_sort_implINS0_14default_configELb0EPKbPbPKlPlN2at6native12_GLOBAL__N_18offset_tEEE10hipError_tPvRmT1_PNSt15iterator_traitsIS12_E10value_typeET2_T3_PNS13_IS18_E10value_typeET4_jRbjT5_S1E_jjP12ihipStream_tbEUljE_ZNSN_ISO_Lb0ESQ_SR_ST_SU_SY_EESZ_S10_S11_S12_S16_S17_S18_S1B_S1C_jS1D_jS1E_S1E_jjS1G_bEUljE0_EEESZ_S10_S11_S18_S1C_S1E_T6_T7_T9_mT8_S1G_bDpT10_ENKUlT_T0_E_clISt17integral_constantIbLb0EES1T_IbLb1EEEEDaS1P_S1Q_EUlS1P_E_NS1_11comp_targetILNS1_3genE3ELNS1_11target_archE908ELNS1_3gpuE7ELNS1_3repE0EEENS1_30default_config_static_selectorELNS0_4arch9wavefront6targetE1EEEvS12_.has_dyn_sized_stack, 0
	.set _ZN7rocprim17ROCPRIM_400000_NS6detail17trampoline_kernelINS0_13select_configILj256ELj13ELNS0_17block_load_methodE3ELS4_3ELS4_3ELNS0_20block_scan_algorithmE0ELj4294967295EEENS1_25partition_config_selectorILNS1_17partition_subalgoE4EjNS0_10empty_typeEbEEZZNS1_14partition_implILS8_4ELb0ES6_15HIP_vector_typeIjLj2EENS0_17counting_iteratorIjlEEPS9_SG_NS0_5tupleIJPjSI_NS0_16reverse_iteratorISI_EEEEENSH_IJSG_SG_SG_EEES9_SI_JZNS1_25segmented_radix_sort_implINS0_14default_configELb0EPKbPbPKlPlN2at6native12_GLOBAL__N_18offset_tEEE10hipError_tPvRmT1_PNSt15iterator_traitsIS12_E10value_typeET2_T3_PNS13_IS18_E10value_typeET4_jRbjT5_S1E_jjP12ihipStream_tbEUljE_ZNSN_ISO_Lb0ESQ_SR_ST_SU_SY_EESZ_S10_S11_S12_S16_S17_S18_S1B_S1C_jS1D_jS1E_S1E_jjS1G_bEUljE0_EEESZ_S10_S11_S18_S1C_S1E_T6_T7_T9_mT8_S1G_bDpT10_ENKUlT_T0_E_clISt17integral_constantIbLb0EES1T_IbLb1EEEEDaS1P_S1Q_EUlS1P_E_NS1_11comp_targetILNS1_3genE3ELNS1_11target_archE908ELNS1_3gpuE7ELNS1_3repE0EEENS1_30default_config_static_selectorELNS0_4arch9wavefront6targetE1EEEvS12_.has_recursion, 0
	.set _ZN7rocprim17ROCPRIM_400000_NS6detail17trampoline_kernelINS0_13select_configILj256ELj13ELNS0_17block_load_methodE3ELS4_3ELS4_3ELNS0_20block_scan_algorithmE0ELj4294967295EEENS1_25partition_config_selectorILNS1_17partition_subalgoE4EjNS0_10empty_typeEbEEZZNS1_14partition_implILS8_4ELb0ES6_15HIP_vector_typeIjLj2EENS0_17counting_iteratorIjlEEPS9_SG_NS0_5tupleIJPjSI_NS0_16reverse_iteratorISI_EEEEENSH_IJSG_SG_SG_EEES9_SI_JZNS1_25segmented_radix_sort_implINS0_14default_configELb0EPKbPbPKlPlN2at6native12_GLOBAL__N_18offset_tEEE10hipError_tPvRmT1_PNSt15iterator_traitsIS12_E10value_typeET2_T3_PNS13_IS18_E10value_typeET4_jRbjT5_S1E_jjP12ihipStream_tbEUljE_ZNSN_ISO_Lb0ESQ_SR_ST_SU_SY_EESZ_S10_S11_S12_S16_S17_S18_S1B_S1C_jS1D_jS1E_S1E_jjS1G_bEUljE0_EEESZ_S10_S11_S18_S1C_S1E_T6_T7_T9_mT8_S1G_bDpT10_ENKUlT_T0_E_clISt17integral_constantIbLb0EES1T_IbLb1EEEEDaS1P_S1Q_EUlS1P_E_NS1_11comp_targetILNS1_3genE3ELNS1_11target_archE908ELNS1_3gpuE7ELNS1_3repE0EEENS1_30default_config_static_selectorELNS0_4arch9wavefront6targetE1EEEvS12_.has_indirect_call, 0
	.section	.AMDGPU.csdata,"",@progbits
; Kernel info:
; codeLenInByte = 0
; TotalNumSgprs: 4
; NumVgprs: 0
; ScratchSize: 0
; MemoryBound: 0
; FloatMode: 240
; IeeeMode: 1
; LDSByteSize: 0 bytes/workgroup (compile time only)
; SGPRBlocks: 0
; VGPRBlocks: 0
; NumSGPRsForWavesPerEU: 4
; NumVGPRsForWavesPerEU: 1
; Occupancy: 10
; WaveLimiterHint : 0
; COMPUTE_PGM_RSRC2:SCRATCH_EN: 0
; COMPUTE_PGM_RSRC2:USER_SGPR: 6
; COMPUTE_PGM_RSRC2:TRAP_HANDLER: 0
; COMPUTE_PGM_RSRC2:TGID_X_EN: 1
; COMPUTE_PGM_RSRC2:TGID_Y_EN: 0
; COMPUTE_PGM_RSRC2:TGID_Z_EN: 0
; COMPUTE_PGM_RSRC2:TIDIG_COMP_CNT: 0
	.section	.text._ZN7rocprim17ROCPRIM_400000_NS6detail17trampoline_kernelINS0_13select_configILj256ELj13ELNS0_17block_load_methodE3ELS4_3ELS4_3ELNS0_20block_scan_algorithmE0ELj4294967295EEENS1_25partition_config_selectorILNS1_17partition_subalgoE4EjNS0_10empty_typeEbEEZZNS1_14partition_implILS8_4ELb0ES6_15HIP_vector_typeIjLj2EENS0_17counting_iteratorIjlEEPS9_SG_NS0_5tupleIJPjSI_NS0_16reverse_iteratorISI_EEEEENSH_IJSG_SG_SG_EEES9_SI_JZNS1_25segmented_radix_sort_implINS0_14default_configELb0EPKbPbPKlPlN2at6native12_GLOBAL__N_18offset_tEEE10hipError_tPvRmT1_PNSt15iterator_traitsIS12_E10value_typeET2_T3_PNS13_IS18_E10value_typeET4_jRbjT5_S1E_jjP12ihipStream_tbEUljE_ZNSN_ISO_Lb0ESQ_SR_ST_SU_SY_EESZ_S10_S11_S12_S16_S17_S18_S1B_S1C_jS1D_jS1E_S1E_jjS1G_bEUljE0_EEESZ_S10_S11_S18_S1C_S1E_T6_T7_T9_mT8_S1G_bDpT10_ENKUlT_T0_E_clISt17integral_constantIbLb0EES1T_IbLb1EEEEDaS1P_S1Q_EUlS1P_E_NS1_11comp_targetILNS1_3genE2ELNS1_11target_archE906ELNS1_3gpuE6ELNS1_3repE0EEENS1_30default_config_static_selectorELNS0_4arch9wavefront6targetE1EEEvS12_,"axG",@progbits,_ZN7rocprim17ROCPRIM_400000_NS6detail17trampoline_kernelINS0_13select_configILj256ELj13ELNS0_17block_load_methodE3ELS4_3ELS4_3ELNS0_20block_scan_algorithmE0ELj4294967295EEENS1_25partition_config_selectorILNS1_17partition_subalgoE4EjNS0_10empty_typeEbEEZZNS1_14partition_implILS8_4ELb0ES6_15HIP_vector_typeIjLj2EENS0_17counting_iteratorIjlEEPS9_SG_NS0_5tupleIJPjSI_NS0_16reverse_iteratorISI_EEEEENSH_IJSG_SG_SG_EEES9_SI_JZNS1_25segmented_radix_sort_implINS0_14default_configELb0EPKbPbPKlPlN2at6native12_GLOBAL__N_18offset_tEEE10hipError_tPvRmT1_PNSt15iterator_traitsIS12_E10value_typeET2_T3_PNS13_IS18_E10value_typeET4_jRbjT5_S1E_jjP12ihipStream_tbEUljE_ZNSN_ISO_Lb0ESQ_SR_ST_SU_SY_EESZ_S10_S11_S12_S16_S17_S18_S1B_S1C_jS1D_jS1E_S1E_jjS1G_bEUljE0_EEESZ_S10_S11_S18_S1C_S1E_T6_T7_T9_mT8_S1G_bDpT10_ENKUlT_T0_E_clISt17integral_constantIbLb0EES1T_IbLb1EEEEDaS1P_S1Q_EUlS1P_E_NS1_11comp_targetILNS1_3genE2ELNS1_11target_archE906ELNS1_3gpuE6ELNS1_3repE0EEENS1_30default_config_static_selectorELNS0_4arch9wavefront6targetE1EEEvS12_,comdat
	.globl	_ZN7rocprim17ROCPRIM_400000_NS6detail17trampoline_kernelINS0_13select_configILj256ELj13ELNS0_17block_load_methodE3ELS4_3ELS4_3ELNS0_20block_scan_algorithmE0ELj4294967295EEENS1_25partition_config_selectorILNS1_17partition_subalgoE4EjNS0_10empty_typeEbEEZZNS1_14partition_implILS8_4ELb0ES6_15HIP_vector_typeIjLj2EENS0_17counting_iteratorIjlEEPS9_SG_NS0_5tupleIJPjSI_NS0_16reverse_iteratorISI_EEEEENSH_IJSG_SG_SG_EEES9_SI_JZNS1_25segmented_radix_sort_implINS0_14default_configELb0EPKbPbPKlPlN2at6native12_GLOBAL__N_18offset_tEEE10hipError_tPvRmT1_PNSt15iterator_traitsIS12_E10value_typeET2_T3_PNS13_IS18_E10value_typeET4_jRbjT5_S1E_jjP12ihipStream_tbEUljE_ZNSN_ISO_Lb0ESQ_SR_ST_SU_SY_EESZ_S10_S11_S12_S16_S17_S18_S1B_S1C_jS1D_jS1E_S1E_jjS1G_bEUljE0_EEESZ_S10_S11_S18_S1C_S1E_T6_T7_T9_mT8_S1G_bDpT10_ENKUlT_T0_E_clISt17integral_constantIbLb0EES1T_IbLb1EEEEDaS1P_S1Q_EUlS1P_E_NS1_11comp_targetILNS1_3genE2ELNS1_11target_archE906ELNS1_3gpuE6ELNS1_3repE0EEENS1_30default_config_static_selectorELNS0_4arch9wavefront6targetE1EEEvS12_ ; -- Begin function _ZN7rocprim17ROCPRIM_400000_NS6detail17trampoline_kernelINS0_13select_configILj256ELj13ELNS0_17block_load_methodE3ELS4_3ELS4_3ELNS0_20block_scan_algorithmE0ELj4294967295EEENS1_25partition_config_selectorILNS1_17partition_subalgoE4EjNS0_10empty_typeEbEEZZNS1_14partition_implILS8_4ELb0ES6_15HIP_vector_typeIjLj2EENS0_17counting_iteratorIjlEEPS9_SG_NS0_5tupleIJPjSI_NS0_16reverse_iteratorISI_EEEEENSH_IJSG_SG_SG_EEES9_SI_JZNS1_25segmented_radix_sort_implINS0_14default_configELb0EPKbPbPKlPlN2at6native12_GLOBAL__N_18offset_tEEE10hipError_tPvRmT1_PNSt15iterator_traitsIS12_E10value_typeET2_T3_PNS13_IS18_E10value_typeET4_jRbjT5_S1E_jjP12ihipStream_tbEUljE_ZNSN_ISO_Lb0ESQ_SR_ST_SU_SY_EESZ_S10_S11_S12_S16_S17_S18_S1B_S1C_jS1D_jS1E_S1E_jjS1G_bEUljE0_EEESZ_S10_S11_S18_S1C_S1E_T6_T7_T9_mT8_S1G_bDpT10_ENKUlT_T0_E_clISt17integral_constantIbLb0EES1T_IbLb1EEEEDaS1P_S1Q_EUlS1P_E_NS1_11comp_targetILNS1_3genE2ELNS1_11target_archE906ELNS1_3gpuE6ELNS1_3repE0EEENS1_30default_config_static_selectorELNS0_4arch9wavefront6targetE1EEEvS12_
	.p2align	8
	.type	_ZN7rocprim17ROCPRIM_400000_NS6detail17trampoline_kernelINS0_13select_configILj256ELj13ELNS0_17block_load_methodE3ELS4_3ELS4_3ELNS0_20block_scan_algorithmE0ELj4294967295EEENS1_25partition_config_selectorILNS1_17partition_subalgoE4EjNS0_10empty_typeEbEEZZNS1_14partition_implILS8_4ELb0ES6_15HIP_vector_typeIjLj2EENS0_17counting_iteratorIjlEEPS9_SG_NS0_5tupleIJPjSI_NS0_16reverse_iteratorISI_EEEEENSH_IJSG_SG_SG_EEES9_SI_JZNS1_25segmented_radix_sort_implINS0_14default_configELb0EPKbPbPKlPlN2at6native12_GLOBAL__N_18offset_tEEE10hipError_tPvRmT1_PNSt15iterator_traitsIS12_E10value_typeET2_T3_PNS13_IS18_E10value_typeET4_jRbjT5_S1E_jjP12ihipStream_tbEUljE_ZNSN_ISO_Lb0ESQ_SR_ST_SU_SY_EESZ_S10_S11_S12_S16_S17_S18_S1B_S1C_jS1D_jS1E_S1E_jjS1G_bEUljE0_EEESZ_S10_S11_S18_S1C_S1E_T6_T7_T9_mT8_S1G_bDpT10_ENKUlT_T0_E_clISt17integral_constantIbLb0EES1T_IbLb1EEEEDaS1P_S1Q_EUlS1P_E_NS1_11comp_targetILNS1_3genE2ELNS1_11target_archE906ELNS1_3gpuE6ELNS1_3repE0EEENS1_30default_config_static_selectorELNS0_4arch9wavefront6targetE1EEEvS12_,@function
_ZN7rocprim17ROCPRIM_400000_NS6detail17trampoline_kernelINS0_13select_configILj256ELj13ELNS0_17block_load_methodE3ELS4_3ELS4_3ELNS0_20block_scan_algorithmE0ELj4294967295EEENS1_25partition_config_selectorILNS1_17partition_subalgoE4EjNS0_10empty_typeEbEEZZNS1_14partition_implILS8_4ELb0ES6_15HIP_vector_typeIjLj2EENS0_17counting_iteratorIjlEEPS9_SG_NS0_5tupleIJPjSI_NS0_16reverse_iteratorISI_EEEEENSH_IJSG_SG_SG_EEES9_SI_JZNS1_25segmented_radix_sort_implINS0_14default_configELb0EPKbPbPKlPlN2at6native12_GLOBAL__N_18offset_tEEE10hipError_tPvRmT1_PNSt15iterator_traitsIS12_E10value_typeET2_T3_PNS13_IS18_E10value_typeET4_jRbjT5_S1E_jjP12ihipStream_tbEUljE_ZNSN_ISO_Lb0ESQ_SR_ST_SU_SY_EESZ_S10_S11_S12_S16_S17_S18_S1B_S1C_jS1D_jS1E_S1E_jjS1G_bEUljE0_EEESZ_S10_S11_S18_S1C_S1E_T6_T7_T9_mT8_S1G_bDpT10_ENKUlT_T0_E_clISt17integral_constantIbLb0EES1T_IbLb1EEEEDaS1P_S1Q_EUlS1P_E_NS1_11comp_targetILNS1_3genE2ELNS1_11target_archE906ELNS1_3gpuE6ELNS1_3repE0EEENS1_30default_config_static_selectorELNS0_4arch9wavefront6targetE1EEEvS12_: ; @_ZN7rocprim17ROCPRIM_400000_NS6detail17trampoline_kernelINS0_13select_configILj256ELj13ELNS0_17block_load_methodE3ELS4_3ELS4_3ELNS0_20block_scan_algorithmE0ELj4294967295EEENS1_25partition_config_selectorILNS1_17partition_subalgoE4EjNS0_10empty_typeEbEEZZNS1_14partition_implILS8_4ELb0ES6_15HIP_vector_typeIjLj2EENS0_17counting_iteratorIjlEEPS9_SG_NS0_5tupleIJPjSI_NS0_16reverse_iteratorISI_EEEEENSH_IJSG_SG_SG_EEES9_SI_JZNS1_25segmented_radix_sort_implINS0_14default_configELb0EPKbPbPKlPlN2at6native12_GLOBAL__N_18offset_tEEE10hipError_tPvRmT1_PNSt15iterator_traitsIS12_E10value_typeET2_T3_PNS13_IS18_E10value_typeET4_jRbjT5_S1E_jjP12ihipStream_tbEUljE_ZNSN_ISO_Lb0ESQ_SR_ST_SU_SY_EESZ_S10_S11_S12_S16_S17_S18_S1B_S1C_jS1D_jS1E_S1E_jjS1G_bEUljE0_EEESZ_S10_S11_S18_S1C_S1E_T6_T7_T9_mT8_S1G_bDpT10_ENKUlT_T0_E_clISt17integral_constantIbLb0EES1T_IbLb1EEEEDaS1P_S1Q_EUlS1P_E_NS1_11comp_targetILNS1_3genE2ELNS1_11target_archE906ELNS1_3gpuE6ELNS1_3repE0EEENS1_30default_config_static_selectorELNS0_4arch9wavefront6targetE1EEEvS12_
; %bb.0:
	s_load_dwordx2 s[52:53], s[4:5], 0x10
	s_load_dwordx4 s[48:51], s[4:5], 0x28
	s_load_dwordx2 s[30:31], s[4:5], 0x38
	s_load_dwordx4 s[44:47], s[4:5], 0x58
	s_load_dwordx2 s[6:7], s[4:5], 0x68
	s_load_dwordx2 s[54:55], s[4:5], 0x78
	;; [unrolled: 1-line block ×3, first 2 shown]
	s_load_dwordx8 s[36:43], s[4:5], 0x90
	v_cmp_eq_u32_e64 s[0:1], 0, v0
	s_and_saveexec_b64 s[2:3], s[0:1]
	s_cbranch_execz .LBB1599_4
; %bb.1:
	s_mov_b64 s[10:11], exec
	v_mbcnt_lo_u32_b32 v1, s10, 0
	v_mbcnt_hi_u32_b32 v1, s11, v1
	v_cmp_eq_u32_e32 vcc, 0, v1
                                        ; implicit-def: $vgpr2
	s_and_saveexec_b64 s[8:9], vcc
	s_cbranch_execz .LBB1599_3
; %bb.2:
	s_load_dwordx2 s[12:13], s[4:5], 0x88
	s_bcnt1_i32_b64 s10, s[10:11]
	v_mov_b32_e32 v2, 0
	v_mov_b32_e32 v3, s10
	s_waitcnt lgkmcnt(0)
	global_atomic_add v2, v2, v3, s[12:13] glc
.LBB1599_3:
	s_or_b64 exec, exec, s[8:9]
	s_waitcnt vmcnt(0)
	v_readfirstlane_b32 s8, v2
	v_add_u32_e32 v1, s8, v1
	v_mov_b32_e32 v2, 0
	ds_write_b32 v2, v1
.LBB1599_4:
	s_or_b64 exec, exec, s[2:3]
	v_mov_b32_e32 v1, 0
	s_load_dword s2, s[4:5], 0x8
	s_load_dword s8, s[4:5], 0x80
	s_waitcnt lgkmcnt(0)
	s_barrier
	ds_read_b32 v7, v1
	s_waitcnt lgkmcnt(0)
	s_barrier
	global_load_dwordx4 v[1:4], v1, s[46:47]
	s_add_i32 s9, s2, s52
	s_movk_i32 s2, 0xd00
	s_add_i32 s4, s8, -1
	s_mulk_i32 s8, 0xd00
	v_mul_lo_u32 v33, v7, s2
	s_add_u32 s2, s52, s8
	s_addc_u32 s3, s53, 0
	v_mov_b32_e32 v6, s3
	v_mov_b32_e32 v5, s2
	v_readfirstlane_b32 s33, v7
	v_cmp_gt_u64_e32 vcc, s[6:7], v[5:6]
	s_cmp_eq_u32 s33, s4
	v_cmp_ne_u32_e64 s[2:3], s4, v7
	s_cselect_b64 s[34:35], -1, 0
	s_or_b64 s[4:5], vcc, s[2:3]
	v_add_u32_e32 v5, s9, v33
	s_mov_b64 s[2:3], -1
	s_and_b64 vcc, exec, s[4:5]
	v_add_u32_e32 v5, v5, v0
	s_cbranch_vccz .LBB1599_6
; %bb.5:
	v_add_u32_e32 v6, 0x100, v5
	v_lshlrev_b32_e32 v18, 2, v0
	v_add_u32_e32 v7, 0x200, v5
	v_add_u32_e32 v8, 0x300, v5
	;; [unrolled: 1-line block ×11, first 2 shown]
	ds_write2st64_b32 v18, v5, v6 offset1:4
	ds_write2st64_b32 v18, v7, v8 offset0:8 offset1:12
	ds_write2st64_b32 v18, v9, v10 offset0:16 offset1:20
	ds_write2st64_b32 v18, v11, v12 offset0:24 offset1:28
	ds_write2st64_b32 v18, v13, v14 offset0:32 offset1:36
	ds_write2st64_b32 v18, v15, v16 offset0:40 offset1:44
	ds_write_b32 v18, v17 offset:12288
	s_waitcnt vmcnt(0) lgkmcnt(0)
	s_barrier
	s_mov_b64 s[2:3], 0
.LBB1599_6:
	s_andn2_b64 vcc, exec, s[2:3]
	s_add_i32 s8, s8, s52
	s_cbranch_vccnz .LBB1599_8
; %bb.7:
	v_add_u32_e32 v6, 0x100, v5
	v_lshlrev_b32_e32 v18, 2, v0
	v_add_u32_e32 v7, 0x200, v5
	v_add_u32_e32 v8, 0x300, v5
	v_add_u32_e32 v9, 0x400, v5
	v_add_u32_e32 v10, 0x500, v5
	v_add_u32_e32 v11, 0x600, v5
	v_add_u32_e32 v12, 0x700, v5
	v_add_u32_e32 v13, 0x800, v5
	v_add_u32_e32 v14, 0x900, v5
	v_add_u32_e32 v15, 0xa00, v5
	v_add_u32_e32 v16, 0xb00, v5
	v_add_u32_e32 v17, 0xc00, v5
	ds_write2st64_b32 v18, v5, v6 offset1:4
	ds_write2st64_b32 v18, v7, v8 offset0:8 offset1:12
	ds_write2st64_b32 v18, v9, v10 offset0:16 offset1:20
	;; [unrolled: 1-line block ×5, first 2 shown]
	ds_write_b32 v18, v17 offset:12288
	s_waitcnt vmcnt(0) lgkmcnt(0)
	s_barrier
.LBB1599_8:
	v_mul_u32_u24_e32 v35, 13, v0
	v_lshlrev_b32_e32 v5, 2, v35
	ds_read_b32 v34, v5 offset:48
	ds_read2_b32 v[13:14], v5 offset0:10 offset1:11
	ds_read2_b32 v[15:16], v5 offset0:8 offset1:9
	ds_read2_b32 v[17:18], v5 offset0:6 offset1:7
	ds_read2_b32 v[19:20], v5 offset0:4 offset1:5
	ds_read2_b32 v[23:24], v5 offset1:1
	ds_read2_b32 v[21:22], v5 offset0:2 offset1:3
	v_cndmask_b32_e64 v5, 0, 1, s[4:5]
	s_sub_i32 s86, s6, s8
	v_cmp_ne_u32_e64 s[2:3], 1, v5
	s_andn2_b64 vcc, exec, s[4:5]
	s_waitcnt vmcnt(0) lgkmcnt(0)
	s_barrier
	s_cbranch_vccnz .LBB1599_36
; %bb.9:
	v_add_u32_e32 v5, s37, v23
	v_add_u32_e32 v6, s39, v23
	v_mul_lo_u32 v5, v5, s36
	v_mul_lo_u32 v6, v6, s38
	s_mov_b64 s[58:59], 0
	s_mov_b64 s[46:47], 0
	v_sub_u32_e32 v5, v5, v6
	v_cmp_lt_u32_e32 vcc, s40, v5
	v_cmp_ge_u32_e64 s[4:5], s40, v5
	s_and_saveexec_b64 s[6:7], s[4:5]
	s_cbranch_execz .LBB1599_11
; %bb.10:
	v_add_u32_e32 v5, s42, v23
	v_add_u32_e32 v6, s56, v23
	v_mul_lo_u32 v5, v5, s41
	v_mul_lo_u32 v6, v6, s43
	v_sub_u32_e32 v5, v5, v6
	v_cmp_lt_u32_e64 s[4:5], s57, v5
	s_and_b64 s[46:47], s[4:5], exec
.LBB1599_11:
	s_or_b64 exec, exec, s[6:7]
	v_add_u32_e32 v5, s37, v24
	v_add_u32_e32 v6, s39, v24
	v_mul_lo_u32 v5, v5, s36
	v_mul_lo_u32 v6, v6, s38
	v_sub_u32_e32 v5, v5, v6
	v_cmp_lt_u32_e64 s[4:5], s40, v5
	v_cmp_ge_u32_e64 s[6:7], s40, v5
	s_and_saveexec_b64 s[8:9], s[6:7]
	s_cbranch_execz .LBB1599_13
; %bb.12:
	v_add_u32_e32 v5, s42, v24
	v_add_u32_e32 v6, s56, v24
	v_mul_lo_u32 v5, v5, s41
	v_mul_lo_u32 v6, v6, s43
	v_sub_u32_e32 v5, v5, v6
	v_cmp_lt_u32_e64 s[6:7], s57, v5
	s_and_b64 s[58:59], s[6:7], exec
.LBB1599_13:
	s_or_b64 exec, exec, s[8:9]
	v_add_u32_e32 v5, s37, v21
	v_add_u32_e32 v6, s39, v21
	v_mul_lo_u32 v5, v5, s36
	v_mul_lo_u32 v6, v6, s38
	s_mov_b64 s[62:63], 0
	s_mov_b64 s[60:61], 0
	v_sub_u32_e32 v5, v5, v6
	v_cmp_lt_u32_e64 s[6:7], s40, v5
	v_cmp_ge_u32_e64 s[8:9], s40, v5
	s_and_saveexec_b64 s[10:11], s[8:9]
	s_cbranch_execz .LBB1599_15
; %bb.14:
	v_add_u32_e32 v5, s42, v21
	v_add_u32_e32 v6, s56, v21
	v_mul_lo_u32 v5, v5, s41
	v_mul_lo_u32 v6, v6, s43
	v_sub_u32_e32 v5, v5, v6
	v_cmp_lt_u32_e64 s[8:9], s57, v5
	s_and_b64 s[60:61], s[8:9], exec
.LBB1599_15:
	s_or_b64 exec, exec, s[10:11]
	v_add_u32_e32 v5, s37, v22
	v_add_u32_e32 v6, s39, v22
	v_mul_lo_u32 v5, v5, s36
	v_mul_lo_u32 v6, v6, s38
	v_sub_u32_e32 v5, v5, v6
	v_cmp_lt_u32_e64 s[8:9], s40, v5
	v_cmp_ge_u32_e64 s[10:11], s40, v5
	s_and_saveexec_b64 s[12:13], s[10:11]
	s_cbranch_execz .LBB1599_17
; %bb.16:
	v_add_u32_e32 v5, s42, v22
	v_add_u32_e32 v6, s56, v22
	v_mul_lo_u32 v5, v5, s41
	v_mul_lo_u32 v6, v6, s43
	v_sub_u32_e32 v5, v5, v6
	v_cmp_lt_u32_e64 s[10:11], s57, v5
	s_and_b64 s[62:63], s[10:11], exec
.LBB1599_17:
	s_or_b64 exec, exec, s[12:13]
	v_add_u32_e32 v5, s37, v19
	v_add_u32_e32 v6, s39, v19
	v_mul_lo_u32 v5, v5, s36
	v_mul_lo_u32 v6, v6, s38
	s_mov_b64 s[66:67], 0
	s_mov_b64 s[64:65], 0
	v_sub_u32_e32 v5, v5, v6
	v_cmp_lt_u32_e64 s[10:11], s40, v5
	;; [unrolled: 40-line block ×6, first 2 shown]
	v_cmp_ge_u32_e64 s[28:29], s40, v5
	s_and_saveexec_b64 s[84:85], s[28:29]
	s_cbranch_execz .LBB1599_35
; %bb.34:
	v_add_u32_e32 v5, s42, v34
	v_add_u32_e32 v6, s56, v34
	v_mul_lo_u32 v5, v5, s41
	v_mul_lo_u32 v6, v6, s43
	v_sub_u32_e32 v5, v5, v6
	v_cmp_lt_u32_e64 s[28:29], s57, v5
	s_and_b64 s[82:83], s[28:29], exec
.LBB1599_35:
	s_or_b64 exec, exec, s[84:85]
	v_cndmask_b32_e64 v6, 0, 1, s[4:5]
	v_cndmask_b32_e64 v5, 0, 1, vcc
	v_cndmask_b32_e64 v8, 0, 1, s[8:9]
	v_lshlrev_b16_e32 v6, 8, v6
	v_cndmask_b32_e64 v7, 0, 1, s[6:7]
	v_or_b32_e32 v5, v5, v6
	v_lshlrev_b16_e32 v6, 8, v8
	v_cndmask_b32_e64 v10, 0, 1, s[12:13]
	v_cndmask_b32_e64 v12, 0, 1, s[16:17]
	v_or_b32_sdwa v6, v7, v6 dst_sel:WORD_1 dst_unused:UNUSED_PAD src0_sel:DWORD src1_sel:DWORD
	v_cndmask_b32_e64 v9, 0, 1, s[10:11]
	v_cndmask_b32_e64 v11, 0, 1, s[14:15]
	v_or_b32_sdwa v36, v5, v6 dst_sel:DWORD dst_unused:UNUSED_PAD src0_sel:WORD_0 src1_sel:DWORD
	v_lshlrev_b16_e32 v5, 8, v10
	v_lshlrev_b16_e32 v6, 8, v12
	v_cndmask_b32_e64 v26, 0, 1, s[20:21]
	v_cndmask_b32_e64 v29, 0, 1, s[24:25]
	v_or_b32_e32 v5, v9, v5
	v_or_b32_sdwa v6, v11, v6 dst_sel:WORD_1 dst_unused:UNUSED_PAD src0_sel:DWORD src1_sel:DWORD
	v_cndmask_b32_e64 v25, 0, 1, s[18:19]
	v_cndmask_b32_e64 v27, 0, 1, s[22:23]
	v_or_b32_sdwa v38, v5, v6 dst_sel:DWORD dst_unused:UNUSED_PAD src0_sel:WORD_0 src1_sel:DWORD
	v_lshlrev_b16_e32 v5, 8, v26
	v_lshlrev_b16_e32 v6, 8, v29
	v_cndmask_b32_e64 v42, 0, 1, s[60:61]
	v_cndmask_b32_e64 v47, 0, 1, s[46:47]
	v_or_b32_e32 v5, v25, v5
	v_or_b32_sdwa v6, v27, v6 dst_sel:WORD_1 dst_unused:UNUSED_PAD src0_sel:DWORD src1_sel:DWORD
	v_cndmask_b32_e64 v46, 0, 1, s[58:59]
	v_cndmask_b32_e64 v48, 0, 1, s[26:27]
	v_or_b32_sdwa v41, v5, v6 dst_sel:DWORD dst_unused:UNUSED_PAD src0_sel:WORD_0 src1_sel:DWORD
	v_lshlrev_b16_e32 v5, 8, v47
	v_lshlrev_b16_e32 v6, 8, v42
	v_cndmask_b32_e64 v37, 0, 1, s[68:69]
	v_cndmask_b32_e64 v44, 0, 1, s[64:65]
	v_or_b32_e32 v5, v48, v5
	v_or_b32_sdwa v6, v46, v6 dst_sel:WORD_1 dst_unused:UNUSED_PAD src0_sel:DWORD src1_sel:DWORD
	v_cndmask_b32_e64 v39, 0, 1, s[66:67]
	v_cndmask_b32_e64 v45, 0, 1, s[62:63]
	v_or_b32_sdwa v42, v5, v6 dst_sel:DWORD dst_unused:UNUSED_PAD src0_sel:WORD_0 src1_sel:DWORD
	v_lshlrev_b16_e32 v5, 8, v44
	v_lshlrev_b16_e32 v6, 8, v37
	v_cndmask_b32_e64 v28, 0, 1, s[80:81]
	v_cndmask_b32_e64 v31, 0, 1, s[72:73]
	v_or_b32_e32 v5, v45, v5
	v_or_b32_sdwa v6, v39, v6 dst_sel:WORD_1 dst_unused:UNUSED_PAD src0_sel:DWORD src1_sel:DWORD
	v_cndmask_b32_e64 v30, 0, 1, s[74:75]
	v_cndmask_b32_e64 v32, 0, 1, s[70:71]
	v_or_b32_sdwa v37, v5, v6 dst_sel:DWORD dst_unused:UNUSED_PAD src0_sel:WORD_0 src1_sel:DWORD
	v_lshlrev_b16_e32 v5, 8, v31
	v_lshlrev_b16_e32 v6, 8, v28
	v_or_b32_e32 v5, v32, v5
	v_or_b32_sdwa v6, v30, v6 dst_sel:WORD_1 dst_unused:UNUSED_PAD src0_sel:DWORD src1_sel:DWORD
	v_cndmask_b32_e64 v40, 0, 1, s[78:79]
	v_cndmask_b32_e64 v43, 0, 1, s[82:83]
	v_or_b32_sdwa v39, v5, v6 dst_sel:DWORD dst_unused:UNUSED_PAD src0_sel:WORD_0 src1_sel:DWORD
	s_add_i32 s16, s86, 0xd00
	s_and_b64 vcc, exec, s[76:77]
	s_cbranch_vccnz .LBB1599_37
	s_branch .LBB1599_114
.LBB1599_36:
                                        ; implicit-def: $vgpr43
                                        ; implicit-def: $vgpr40
                                        ; implicit-def: $vgpr39
                                        ; implicit-def: $vgpr37
                                        ; implicit-def: $vgpr42
                                        ; implicit-def: $vgpr41
                                        ; implicit-def: $vgpr38
                                        ; implicit-def: $vgpr36
	s_add_i32 s16, s86, 0xd00
	s_cbranch_execz .LBB1599_114
.LBB1599_37:
	v_cmp_gt_u32_e32 vcc, s16, v35
	v_mov_b32_e32 v6, 0
	v_mov_b32_e32 v5, 0
	s_and_saveexec_b64 s[6:7], vcc
	s_cbranch_execz .LBB1599_41
; %bb.38:
	v_add_u32_e32 v5, s37, v23
	v_add_u32_e32 v6, s39, v23
	v_mul_lo_u32 v5, v5, s36
	v_mul_lo_u32 v6, v6, s38
	s_mov_b64 s[10:11], 0
	v_sub_u32_e32 v5, v5, v6
	v_cmp_lt_u32_e32 vcc, s40, v5
	v_cmp_ge_u32_e64 s[4:5], s40, v5
	s_and_saveexec_b64 s[8:9], s[4:5]
	s_cbranch_execz .LBB1599_40
; %bb.39:
	v_add_u32_e32 v5, s42, v23
	v_add_u32_e32 v6, s56, v23
	v_mul_lo_u32 v5, v5, s41
	v_mul_lo_u32 v6, v6, s43
	v_sub_u32_e32 v5, v5, v6
	v_cmp_lt_u32_e64 s[4:5], s57, v5
	s_and_b64 s[10:11], s[4:5], exec
.LBB1599_40:
	s_or_b64 exec, exec, s[8:9]
	v_cndmask_b32_e64 v6, 0, 1, s[10:11]
	v_cndmask_b32_e64 v5, 0, 1, vcc
.LBB1599_41:
	s_or_b64 exec, exec, s[6:7]
	v_lshlrev_b16_e32 v11, 8, v6
	v_add_u32_e32 v6, 1, v35
	v_cmp_le_u32_e32 vcc, s16, v6
	v_lshlrev_b16_e64 v8, 8, 0
                                        ; implicit-def: $vgpr7
                                        ; implicit-def: $vgpr9
                                        ; implicit-def: $vgpr10
                                        ; implicit-def: $vgpr6
                                        ; implicit-def: $vgpr12
	s_and_saveexec_b64 s[4:5], vcc
	s_xor_b64 s[4:5], exec, s[4:5]
; %bb.42:
	v_mov_b32_e32 v6, 8
	v_lshrrev_b32_sdwa v7, v6, v11 dst_sel:BYTE_1 dst_unused:UNUSED_PAD src0_sel:DWORD src1_sel:DWORD
	v_and_b32_e32 v12, 0xff, v5
	v_or_b32_sdwa v5, v11, v7 dst_sel:DWORD dst_unused:UNUSED_PAD src0_sel:BYTE_0 src1_sel:DWORD
	v_mov_b32_e32 v9, 0
	v_lshlrev_b16_e64 v8, 8, 0
	v_lshlrev_b16_e64 v6, 8, 0
	v_and_b32_e32 v10, 0xffff, v5
	v_lshlrev_b16_e64 v7, 8, 0
                                        ; implicit-def: $vgpr5
                                        ; implicit-def: $vgpr11
; %bb.43:
	s_andn2_saveexec_b64 s[6:7], s[4:5]
	s_cbranch_execz .LBB1599_47
; %bb.44:
	v_add_u32_e32 v6, s37, v24
	v_add_u32_e32 v7, s39, v24
	v_mul_lo_u32 v6, v6, s36
	v_mul_lo_u32 v7, v7, s38
	s_mov_b64 s[8:9], 0
	v_sub_u32_e32 v6, v6, v7
	v_cmp_lt_u32_e32 vcc, s40, v6
	v_cmp_ge_u32_e64 s[4:5], s40, v6
	s_and_saveexec_b64 s[10:11], s[4:5]
	s_cbranch_execz .LBB1599_46
; %bb.45:
	v_add_u32_e32 v6, s42, v24
	v_add_u32_e32 v7, s56, v24
	v_mul_lo_u32 v6, v6, s41
	v_mul_lo_u32 v7, v7, s43
	v_sub_u32_e32 v6, v6, v7
	v_cmp_lt_u32_e64 s[4:5], s57, v6
	s_and_b64 s[8:9], s[4:5], exec
.LBB1599_46:
	s_or_b64 exec, exec, s[10:11]
	v_cndmask_b32_e64 v7, 0, 1, vcc
	v_lshlrev_b16_e32 v7, 8, v7
	v_or_b32_sdwa v5, v5, v7 dst_sel:DWORD dst_unused:UNUSED_PAD src0_sel:BYTE_0 src1_sel:DWORD
	v_and_b32_e32 v12, 0xffff, v5
	v_mov_b32_e32 v5, 8
	v_lshrrev_b32_sdwa v5, v5, v11 dst_sel:BYTE_1 dst_unused:UNUSED_PAD src0_sel:DWORD src1_sel:DWORD
	v_or_b32_sdwa v5, v11, v5 dst_sel:DWORD dst_unused:UNUSED_PAD src0_sel:BYTE_0 src1_sel:DWORD
	v_and_b32_e32 v5, 0xffff, v5
	v_cndmask_b32_e64 v7, 0, 1, s[8:9]
	v_mov_b32_e32 v6, 0
	v_mov_b32_e32 v9, 0
	v_lshl_or_b32 v10, v7, 16, v5
	v_lshlrev_b16_e64 v7, 8, 0
.LBB1599_47:
	s_or_b64 exec, exec, s[6:7]
	v_add_u32_e32 v5, 2, v35
	v_cmp_le_u32_e32 vcc, s16, v5
	v_lshrrev_b32_e32 v25, 24, v12
                                        ; implicit-def: $vgpr5
                                        ; implicit-def: $vgpr11
	s_and_saveexec_b64 s[4:5], vcc
	s_xor_b64 s[4:5], exec, s[4:5]
	s_cbranch_execz .LBB1599_49
; %bb.48:
	s_mov_b32 s6, 0x40c0100
	v_perm_b32 v11, v25, v12, s6
	v_mov_b32_e32 v12, 8
	v_lshrrev_b32_sdwa v12, v12, v11 dst_sel:BYTE_1 dst_unused:UNUSED_PAD src0_sel:DWORD src1_sel:DWORD
	v_or_b32_sdwa v12, v11, v12 dst_sel:DWORD dst_unused:UNUSED_PAD src0_sel:BYTE_0 src1_sel:DWORD
	v_and_b32_e32 v12, 0xffff, v12
	s_mov_b32 s6, 0xff000000
	v_and_or_b32 v11, v11, s6, v12
	s_mov_b32 s6, 0x3060504
	v_and_b32_e32 v5, 0xff0000, v10
	v_perm_b32 v8, v8, v8, s6
	s_mov_b32 s6, 0x3020504
	v_perm_b32 v5, v10, v5, s6
                                        ; implicit-def: $vgpr12
                                        ; implicit-def: $vgpr25
                                        ; implicit-def: $vgpr10
.LBB1599_49:
	s_andn2_saveexec_b64 s[6:7], s[4:5]
	s_cbranch_execz .LBB1599_53
; %bb.50:
	v_add_u32_e32 v5, s37, v21
	v_add_u32_e32 v11, s39, v21
	v_mul_lo_u32 v5, v5, s36
	v_mul_lo_u32 v11, v11, s38
	s_mov_b64 s[8:9], 0
	v_sub_u32_e32 v5, v5, v11
	v_cmp_lt_u32_e32 vcc, s40, v5
	v_cmp_ge_u32_e64 s[4:5], s40, v5
	s_and_saveexec_b64 s[10:11], s[4:5]
	s_cbranch_execz .LBB1599_52
; %bb.51:
	v_add_u32_e32 v5, s42, v21
	v_add_u32_e32 v11, s56, v21
	v_mul_lo_u32 v5, v5, s41
	v_mul_lo_u32 v11, v11, s43
	v_sub_u32_e32 v5, v5, v11
	v_cmp_lt_u32_e64 s[4:5], s57, v5
	s_and_b64 s[8:9], s[4:5], exec
.LBB1599_52:
	s_or_b64 exec, exec, s[10:11]
	v_mov_b32_e32 v27, 8
	v_lshrrev_b32_sdwa v11, v27, v12 dst_sel:BYTE_1 dst_unused:UNUSED_PAD src0_sel:DWORD src1_sel:DWORD
	v_cndmask_b32_e64 v5, 0, 1, vcc
	v_or_b32_sdwa v11, v12, v11 dst_sel:DWORD dst_unused:UNUSED_PAD src0_sel:BYTE_0 src1_sel:DWORD
	v_lshlrev_b16_e32 v12, 8, v25
	v_or_b32_sdwa v5, v5, v12 dst_sel:WORD_1 dst_unused:UNUSED_PAD src0_sel:DWORD src1_sel:DWORD
	v_cndmask_b32_e64 v26, 0, 1, s[8:9]
	s_movk_i32 s4, 0xff
	v_or_b32_sdwa v11, v11, v5 dst_sel:DWORD dst_unused:UNUSED_PAD src0_sel:WORD_0 src1_sel:DWORD
	v_lshrrev_b32_sdwa v5, v27, v10 dst_sel:BYTE_1 dst_unused:UNUSED_PAD src0_sel:DWORD src1_sel:DWORD
	v_or_b32_sdwa v5, v10, v5 dst_sel:DWORD dst_unused:UNUSED_PAD src0_sel:BYTE_0 src1_sel:DWORD
	v_lshlrev_b16_e32 v12, 8, v26
	v_and_b32_sdwa v10, v10, s4 dst_sel:DWORD dst_unused:UNUSED_PAD src0_sel:WORD_1 src1_sel:DWORD
	v_or_b32_sdwa v10, v10, v12 dst_sel:WORD_1 dst_unused:UNUSED_PAD src0_sel:DWORD src1_sel:DWORD
	v_or_b32_sdwa v5, v5, v10 dst_sel:DWORD dst_unused:UNUSED_PAD src0_sel:WORD_0 src1_sel:DWORD
.LBB1599_53:
	s_or_b64 exec, exec, s[6:7]
	v_add_u32_e32 v10, 3, v35
	v_cmp_le_u32_e32 vcc, s16, v10
	v_lshrrev_b32_e32 v12, 24, v9
                                        ; implicit-def: $vgpr10
                                        ; implicit-def: $vgpr36
	s_and_saveexec_b64 s[4:5], vcc
	s_xor_b64 s[4:5], exec, s[4:5]
	s_cbranch_execz .LBB1599_55
; %bb.54:
	v_and_b32_e32 v10, 0xff0000, v11
	s_mov_b32 s6, 0x3020504
	s_movk_i32 s7, 0xff
	v_perm_b32 v36, v11, v10, s6
	v_lshlrev_b16_e32 v10, 8, v12
	v_and_b32_sdwa v11, v9, s7 dst_sel:DWORD dst_unused:UNUSED_PAD src0_sel:WORD_1 src1_sel:DWORD
	s_mov_b32 s6, 0x3060504
	v_or_b32_sdwa v10, v11, v10 dst_sel:WORD_1 dst_unused:UNUSED_PAD src0_sel:DWORD src1_sel:DWORD
	v_mov_b32_e32 v11, 8
	v_perm_b32 v8, v8, v8, s6
	v_lshrrev_b32_sdwa v10, v11, v9 dst_sel:BYTE_1 dst_unused:UNUSED_PRESERVE src0_sel:DWORD src1_sel:DWORD
	v_perm_b32 v7, v7, v7, s6
                                        ; implicit-def: $vgpr11
                                        ; implicit-def: $vgpr12
                                        ; implicit-def: $vgpr9
.LBB1599_55:
	s_andn2_saveexec_b64 s[6:7], s[4:5]
	s_cbranch_execz .LBB1599_59
; %bb.56:
	v_add_u32_e32 v10, s37, v22
	v_add_u32_e32 v25, s39, v22
	v_mul_lo_u32 v10, v10, s36
	v_mul_lo_u32 v25, v25, s38
	s_mov_b64 s[8:9], 0
	v_sub_u32_e32 v10, v10, v25
	v_cmp_lt_u32_e32 vcc, s40, v10
	v_cmp_ge_u32_e64 s[4:5], s40, v10
	s_and_saveexec_b64 s[10:11], s[4:5]
	s_cbranch_execz .LBB1599_58
; %bb.57:
	v_add_u32_e32 v10, s42, v22
	v_add_u32_e32 v25, s56, v22
	v_mul_lo_u32 v10, v10, s41
	v_mul_lo_u32 v25, v25, s43
	v_sub_u32_e32 v10, v10, v25
	v_cmp_lt_u32_e64 s[4:5], s57, v10
	s_and_b64 s[8:9], s[4:5], exec
.LBB1599_58:
	s_or_b64 exec, exec, s[10:11]
	v_mov_b32_e32 v26, 8
	v_cndmask_b32_e64 v10, 0, 1, vcc
	s_movk_i32 s4, 0xff
	v_lshrrev_b32_sdwa v27, v26, v11 dst_sel:BYTE_1 dst_unused:UNUSED_PAD src0_sel:DWORD src1_sel:DWORD
	v_or_b32_sdwa v27, v11, v27 dst_sel:DWORD dst_unused:UNUSED_PAD src0_sel:BYTE_0 src1_sel:DWORD
	v_lshlrev_b16_e32 v10, 8, v10
	v_and_b32_sdwa v11, v11, s4 dst_sel:DWORD dst_unused:UNUSED_PAD src0_sel:WORD_1 src1_sel:DWORD
	v_or_b32_sdwa v10, v11, v10 dst_sel:WORD_1 dst_unused:UNUSED_PAD src0_sel:DWORD src1_sel:DWORD
	v_cndmask_b32_e64 v25, 0, 1, s[8:9]
	v_or_b32_sdwa v36, v27, v10 dst_sel:DWORD dst_unused:UNUSED_PAD src0_sel:WORD_0 src1_sel:DWORD
	v_lshlrev_b16_e32 v10, 8, v12
	v_and_b32_sdwa v11, v9, s4 dst_sel:DWORD dst_unused:UNUSED_PAD src0_sel:WORD_1 src1_sel:DWORD
	v_lshrrev_b32_sdwa v9, v26, v9 dst_sel:BYTE_1 dst_unused:UNUSED_PAD src0_sel:DWORD src1_sel:DWORD
	v_or_b32_sdwa v10, v11, v10 dst_sel:WORD_1 dst_unused:UNUSED_PAD src0_sel:DWORD src1_sel:DWORD
	v_or_b32_e32 v9, v25, v9
	v_or_b32_sdwa v10, v9, v10 dst_sel:DWORD dst_unused:UNUSED_PAD src0_sel:WORD_0 src1_sel:DWORD
.LBB1599_59:
	s_or_b64 exec, exec, s[6:7]
	v_add_u32_e32 v9, 4, v35
	v_cmp_le_u32_e32 vcc, s16, v9
	v_lshrrev_b32_e32 v25, 24, v8
	v_lshrrev_b32_e32 v12, 24, v10
                                        ; implicit-def: $vgpr11
                                        ; implicit-def: $vgpr9
	s_and_saveexec_b64 s[4:5], vcc
	s_xor_b64 s[4:5], exec, s[4:5]
	s_cbranch_execz .LBB1599_61
; %bb.60:
	s_movk_i32 s6, 0xff
	v_lshlrev_b16_e32 v9, 8, v25
	v_and_b32_sdwa v25, v8, s6 dst_sel:DWORD dst_unused:UNUSED_PAD src0_sel:WORD_1 src1_sel:DWORD
	v_mov_b32_e32 v11, 8
	v_or_b32_sdwa v9, v25, v9 dst_sel:WORD_1 dst_unused:UNUSED_PAD src0_sel:DWORD src1_sel:DWORD
	v_lshrrev_b32_sdwa v9, v11, v8 dst_sel:BYTE_1 dst_unused:UNUSED_PRESERVE src0_sel:DWORD src1_sel:DWORD
	v_lshlrev_b16_e32 v8, 8, v12
	v_and_b32_sdwa v11, v10, s6 dst_sel:DWORD dst_unused:UNUSED_PAD src0_sel:WORD_1 src1_sel:DWORD
	v_or_b32_e32 v8, v11, v8
	s_mov_b32 s6, 0x5040c00
	v_perm_b32 v11, v8, v10, s6
	s_mov_b32 s6, 0x3060504
	v_perm_b32 v7, v7, v7, s6
                                        ; implicit-def: $vgpr25
                                        ; implicit-def: $vgpr8
                                        ; implicit-def: $vgpr10
                                        ; implicit-def: $vgpr12
.LBB1599_61:
	s_andn2_saveexec_b64 s[6:7], s[4:5]
	s_cbranch_execz .LBB1599_65
; %bb.62:
	v_add_u32_e32 v9, s37, v19
	v_add_u32_e32 v11, s39, v19
	v_mul_lo_u32 v9, v9, s36
	v_mul_lo_u32 v11, v11, s38
	s_mov_b64 s[8:9], 0
	v_sub_u32_e32 v9, v9, v11
	v_cmp_lt_u32_e32 vcc, s40, v9
	v_cmp_ge_u32_e64 s[4:5], s40, v9
	s_and_saveexec_b64 s[10:11], s[4:5]
	s_cbranch_execz .LBB1599_64
; %bb.63:
	v_add_u32_e32 v9, s42, v19
	v_add_u32_e32 v11, s56, v19
	v_mul_lo_u32 v9, v9, s41
	v_mul_lo_u32 v11, v11, s43
	v_sub_u32_e32 v9, v9, v11
	v_cmp_lt_u32_e64 s[4:5], s57, v9
	s_and_b64 s[8:9], s[4:5], exec
.LBB1599_64:
	s_or_b64 exec, exec, s[10:11]
	s_movk_i32 s4, 0xff
	v_lshlrev_b16_e32 v25, 8, v25
	v_and_b32_sdwa v26, v8, s4 dst_sel:DWORD dst_unused:UNUSED_PAD src0_sel:WORD_1 src1_sel:DWORD
	v_or_b32_sdwa v25, v26, v25 dst_sel:WORD_1 dst_unused:UNUSED_PAD src0_sel:DWORD src1_sel:DWORD
	v_mov_b32_e32 v26, 8
	v_cndmask_b32_e64 v9, 0, 1, vcc
	v_lshrrev_b32_sdwa v8, v26, v8 dst_sel:BYTE_1 dst_unused:UNUSED_PAD src0_sel:DWORD src1_sel:DWORD
	v_cndmask_b32_e64 v11, 0, 1, s[8:9]
	v_or_b32_e32 v8, v9, v8
	v_or_b32_sdwa v9, v8, v25 dst_sel:DWORD dst_unused:UNUSED_PAD src0_sel:WORD_0 src1_sel:DWORD
	v_lshlrev_b16_e32 v8, 8, v11
	v_or_b32_sdwa v8, v10, v8 dst_sel:DWORD dst_unused:UNUSED_PAD src0_sel:BYTE_0 src1_sel:DWORD
	v_lshlrev_b16_e32 v11, 8, v12
	v_and_b32_sdwa v10, v10, s4 dst_sel:DWORD dst_unused:UNUSED_PAD src0_sel:WORD_1 src1_sel:DWORD
	v_or_b32_sdwa v10, v10, v11 dst_sel:WORD_1 dst_unused:UNUSED_PAD src0_sel:DWORD src1_sel:DWORD
	v_or_b32_sdwa v11, v8, v10 dst_sel:DWORD dst_unused:UNUSED_PAD src0_sel:WORD_0 src1_sel:DWORD
.LBB1599_65:
	s_or_b64 exec, exec, s[6:7]
	v_add_u32_e32 v8, 5, v35
	v_cmp_le_u32_e32 vcc, s16, v8
	v_lshrrev_b32_e32 v12, 24, v11
	v_lshrrev_b32_e32 v25, 24, v9
                                        ; implicit-def: $vgpr8
                                        ; implicit-def: $vgpr10
	s_and_saveexec_b64 s[4:5], vcc
	s_xor_b64 s[4:5], exec, s[4:5]
	s_cbranch_execz .LBB1599_67
; %bb.66:
	s_mov_b32 s6, 0x40c0100
	v_perm_b32 v8, v12, v11, s6
	s_movk_i32 s6, 0xff
	v_lshlrev_b16_e32 v10, 8, v25
	v_and_b32_sdwa v11, v9, s6 dst_sel:DWORD dst_unused:UNUSED_PAD src0_sel:WORD_1 src1_sel:DWORD
	v_or_b32_e32 v10, v11, v10
	s_mov_b32 s6, 0x5040c00
	v_perm_b32 v10, v10, v9, s6
	v_mov_b32_e32 v9, 8
	v_lshrrev_b32_sdwa v9, v9, v8 dst_sel:BYTE_1 dst_unused:UNUSED_PAD src0_sel:DWORD src1_sel:DWORD
	v_or_b32_sdwa v9, v8, v9 dst_sel:DWORD dst_unused:UNUSED_PAD src0_sel:BYTE_0 src1_sel:DWORD
	v_and_b32_e32 v9, 0xffff, v9
	s_mov_b32 s6, 0xff000000
	v_and_or_b32 v8, v8, s6, v9
	s_mov_b32 s6, 0x3060504
	v_perm_b32 v7, v7, v7, s6
                                        ; implicit-def: $vgpr9
                                        ; implicit-def: $vgpr25
                                        ; implicit-def: $vgpr11
                                        ; implicit-def: $vgpr12
.LBB1599_67:
	s_andn2_saveexec_b64 s[6:7], s[4:5]
	s_cbranch_execz .LBB1599_71
; %bb.68:
	v_add_u32_e32 v8, s37, v20
	v_add_u32_e32 v10, s39, v20
	v_mul_lo_u32 v8, v8, s36
	v_mul_lo_u32 v10, v10, s38
	s_mov_b64 s[8:9], 0
	v_sub_u32_e32 v8, v8, v10
	v_cmp_lt_u32_e32 vcc, s40, v8
	v_cmp_ge_u32_e64 s[4:5], s40, v8
	s_and_saveexec_b64 s[10:11], s[4:5]
	s_cbranch_execz .LBB1599_70
; %bb.69:
	v_add_u32_e32 v8, s42, v20
	v_add_u32_e32 v10, s56, v20
	v_mul_lo_u32 v8, v8, s41
	v_mul_lo_u32 v10, v10, s43
	v_sub_u32_e32 v8, v8, v10
	v_cmp_lt_u32_e64 s[4:5], s57, v8
	s_and_b64 s[8:9], s[4:5], exec
.LBB1599_70:
	s_or_b64 exec, exec, s[10:11]
	v_cndmask_b32_e64 v8, 0, 1, vcc
	v_lshlrev_b16_e32 v8, 8, v8
	s_movk_i32 s4, 0xff
	v_or_b32_sdwa v8, v9, v8 dst_sel:DWORD dst_unused:UNUSED_PAD src0_sel:BYTE_0 src1_sel:DWORD
	v_lshlrev_b16_e32 v10, 8, v25
	v_and_b32_sdwa v9, v9, s4 dst_sel:DWORD dst_unused:UNUSED_PAD src0_sel:WORD_1 src1_sel:DWORD
	v_or_b32_sdwa v9, v9, v10 dst_sel:WORD_1 dst_unused:UNUSED_PAD src0_sel:DWORD src1_sel:DWORD
	v_or_b32_sdwa v10, v8, v9 dst_sel:DWORD dst_unused:UNUSED_PAD src0_sel:WORD_0 src1_sel:DWORD
	v_mov_b32_e32 v8, 8
	v_cndmask_b32_e64 v26, 0, 1, s[8:9]
	v_lshrrev_b32_sdwa v8, v8, v11 dst_sel:BYTE_1 dst_unused:UNUSED_PAD src0_sel:DWORD src1_sel:DWORD
	v_lshlrev_b16_e32 v9, 8, v12
	v_or_b32_sdwa v8, v11, v8 dst_sel:DWORD dst_unused:UNUSED_PAD src0_sel:BYTE_0 src1_sel:DWORD
	v_or_b32_sdwa v9, v26, v9 dst_sel:WORD_1 dst_unused:UNUSED_PAD src0_sel:DWORD src1_sel:DWORD
	v_or_b32_sdwa v8, v8, v9 dst_sel:DWORD dst_unused:UNUSED_PAD src0_sel:WORD_0 src1_sel:DWORD
.LBB1599_71:
	s_or_b64 exec, exec, s[6:7]
	v_add_u32_e32 v9, 6, v35
	v_cmp_le_u32_e32 vcc, s16, v9
	v_lshrrev_b32_e32 v11, 24, v10
                                        ; implicit-def: $vgpr37
                                        ; implicit-def: $vgpr9
	s_and_saveexec_b64 s[4:5], vcc
	s_xor_b64 s[4:5], exec, s[4:5]
	s_cbranch_execz .LBB1599_73
; %bb.72:
	s_mov_b32 s6, 0x40c0100
	v_perm_b32 v9, v11, v10, s6
	v_mov_b32_e32 v10, 8
	v_lshrrev_b32_sdwa v10, v10, v9 dst_sel:BYTE_1 dst_unused:UNUSED_PAD src0_sel:DWORD src1_sel:DWORD
	v_or_b32_sdwa v10, v9, v10 dst_sel:DWORD dst_unused:UNUSED_PAD src0_sel:BYTE_0 src1_sel:DWORD
	v_and_b32_e32 v10, 0xffff, v10
	s_mov_b32 s6, 0xff000000
	v_and_b32_e32 v12, 0xff0000, v8
	v_and_or_b32 v9, v9, s6, v10
	s_mov_b32 s6, 0x3020504
	v_perm_b32 v37, v8, v12, s6
	s_mov_b32 s6, 0x3060504
	v_perm_b32 v7, v7, v7, s6
                                        ; implicit-def: $vgpr10
                                        ; implicit-def: $vgpr11
                                        ; implicit-def: $vgpr8
.LBB1599_73:
	s_andn2_saveexec_b64 s[6:7], s[4:5]
	s_cbranch_execz .LBB1599_77
; %bb.74:
	v_add_u32_e32 v9, s37, v17
	v_add_u32_e32 v12, s39, v17
	v_mul_lo_u32 v9, v9, s36
	v_mul_lo_u32 v12, v12, s38
	s_mov_b64 s[8:9], 0
	v_sub_u32_e32 v9, v9, v12
	v_cmp_lt_u32_e32 vcc, s40, v9
	v_cmp_ge_u32_e64 s[4:5], s40, v9
	s_and_saveexec_b64 s[10:11], s[4:5]
	s_cbranch_execz .LBB1599_76
; %bb.75:
	v_add_u32_e32 v9, s42, v17
	v_add_u32_e32 v12, s56, v17
	v_mul_lo_u32 v9, v9, s41
	v_mul_lo_u32 v12, v12, s43
	v_sub_u32_e32 v9, v9, v12
	v_cmp_lt_u32_e64 s[4:5], s57, v9
	s_and_b64 s[8:9], s[4:5], exec
.LBB1599_76:
	s_or_b64 exec, exec, s[10:11]
	v_mov_b32_e32 v25, 8
	v_cndmask_b32_e64 v9, 0, 1, vcc
	v_lshrrev_b32_sdwa v26, v25, v10 dst_sel:BYTE_1 dst_unused:UNUSED_PAD src0_sel:DWORD src1_sel:DWORD
	v_lshlrev_b16_e32 v11, 8, v11
	v_or_b32_sdwa v10, v10, v26 dst_sel:DWORD dst_unused:UNUSED_PAD src0_sel:BYTE_0 src1_sel:DWORD
	v_or_b32_sdwa v9, v9, v11 dst_sel:WORD_1 dst_unused:UNUSED_PAD src0_sel:DWORD src1_sel:DWORD
	v_cndmask_b32_e64 v12, 0, 1, s[8:9]
	s_movk_i32 s4, 0xff
	v_or_b32_sdwa v9, v10, v9 dst_sel:DWORD dst_unused:UNUSED_PAD src0_sel:WORD_0 src1_sel:DWORD
	v_lshrrev_b32_sdwa v10, v25, v8 dst_sel:BYTE_1 dst_unused:UNUSED_PAD src0_sel:DWORD src1_sel:DWORD
	v_or_b32_sdwa v10, v8, v10 dst_sel:DWORD dst_unused:UNUSED_PAD src0_sel:BYTE_0 src1_sel:DWORD
	v_lshlrev_b16_e32 v11, 8, v12
	v_and_b32_sdwa v8, v8, s4 dst_sel:DWORD dst_unused:UNUSED_PAD src0_sel:WORD_1 src1_sel:DWORD
	v_or_b32_sdwa v8, v8, v11 dst_sel:WORD_1 dst_unused:UNUSED_PAD src0_sel:DWORD src1_sel:DWORD
	v_or_b32_sdwa v37, v10, v8 dst_sel:DWORD dst_unused:UNUSED_PAD src0_sel:WORD_0 src1_sel:DWORD
.LBB1599_77:
	s_or_b64 exec, exec, s[6:7]
	v_add_u32_e32 v8, 7, v35
	v_cmp_le_u32_e32 vcc, s16, v8
	v_lshrrev_b32_e32 v10, 24, v7
                                        ; implicit-def: $vgpr8
                                        ; implicit-def: $vgpr38
	s_and_saveexec_b64 s[4:5], vcc
	s_xor_b64 s[4:5], exec, s[4:5]
; %bb.78:
	v_and_b32_e32 v8, 0xff0000, v9
	s_mov_b32 s6, 0x3020504
	v_perm_b32 v38, v9, v8, s6
	s_movk_i32 s6, 0xff
	v_lshlrev_b16_e32 v8, 8, v10
	v_and_b32_sdwa v9, v7, s6 dst_sel:DWORD dst_unused:UNUSED_PAD src0_sel:WORD_1 src1_sel:DWORD
	v_mov_b32_e32 v11, 8
	v_or_b32_sdwa v8, v9, v8 dst_sel:WORD_1 dst_unused:UNUSED_PAD src0_sel:DWORD src1_sel:DWORD
	v_lshrrev_b32_sdwa v8, v11, v7 dst_sel:BYTE_1 dst_unused:UNUSED_PRESERVE src0_sel:DWORD src1_sel:DWORD
                                        ; implicit-def: $vgpr9
                                        ; implicit-def: $vgpr10
                                        ; implicit-def: $vgpr7
; %bb.79:
	s_andn2_saveexec_b64 s[6:7], s[4:5]
	s_cbranch_execz .LBB1599_83
; %bb.80:
	v_add_u32_e32 v8, s37, v18
	v_add_u32_e32 v11, s39, v18
	v_mul_lo_u32 v8, v8, s36
	v_mul_lo_u32 v11, v11, s38
	s_mov_b64 s[8:9], 0
	v_sub_u32_e32 v8, v8, v11
	v_cmp_lt_u32_e32 vcc, s40, v8
	v_cmp_ge_u32_e64 s[4:5], s40, v8
	s_and_saveexec_b64 s[10:11], s[4:5]
	s_cbranch_execz .LBB1599_82
; %bb.81:
	v_add_u32_e32 v8, s42, v18
	v_add_u32_e32 v11, s56, v18
	v_mul_lo_u32 v8, v8, s41
	v_mul_lo_u32 v11, v11, s43
	v_sub_u32_e32 v8, v8, v11
	v_cmp_lt_u32_e64 s[4:5], s57, v8
	s_and_b64 s[8:9], s[4:5], exec
.LBB1599_82:
	s_or_b64 exec, exec, s[10:11]
	v_mov_b32_e32 v12, 8
	v_cndmask_b32_e64 v8, 0, 1, vcc
	s_movk_i32 s4, 0xff
	v_lshrrev_b32_sdwa v25, v12, v9 dst_sel:BYTE_1 dst_unused:UNUSED_PAD src0_sel:DWORD src1_sel:DWORD
	v_or_b32_sdwa v25, v9, v25 dst_sel:DWORD dst_unused:UNUSED_PAD src0_sel:BYTE_0 src1_sel:DWORD
	v_lshlrev_b16_e32 v8, 8, v8
	v_and_b32_sdwa v9, v9, s4 dst_sel:DWORD dst_unused:UNUSED_PAD src0_sel:WORD_1 src1_sel:DWORD
	v_or_b32_sdwa v8, v9, v8 dst_sel:WORD_1 dst_unused:UNUSED_PAD src0_sel:DWORD src1_sel:DWORD
	v_cndmask_b32_e64 v11, 0, 1, s[8:9]
	v_or_b32_sdwa v38, v25, v8 dst_sel:DWORD dst_unused:UNUSED_PAD src0_sel:WORD_0 src1_sel:DWORD
	v_lshlrev_b16_e32 v8, 8, v10
	v_and_b32_sdwa v9, v7, s4 dst_sel:DWORD dst_unused:UNUSED_PAD src0_sel:WORD_1 src1_sel:DWORD
	v_lshrrev_b32_sdwa v7, v12, v7 dst_sel:BYTE_1 dst_unused:UNUSED_PAD src0_sel:DWORD src1_sel:DWORD
	v_or_b32_sdwa v8, v9, v8 dst_sel:WORD_1 dst_unused:UNUSED_PAD src0_sel:DWORD src1_sel:DWORD
	v_or_b32_e32 v7, v11, v7
	v_or_b32_sdwa v8, v7, v8 dst_sel:DWORD dst_unused:UNUSED_PAD src0_sel:WORD_0 src1_sel:DWORD
.LBB1599_83:
	s_or_b64 exec, exec, s[6:7]
	v_add_u32_e32 v7, 8, v35
	v_cmp_le_u32_e32 vcc, s16, v7
	v_lshrrev_b32_e32 v10, 24, v8
	v_lshrrev_b32_e32 v11, 24, v6
                                        ; implicit-def: $vgpr9
                                        ; implicit-def: $vgpr7
	s_and_saveexec_b64 s[4:5], vcc
	s_xor_b64 s[4:5], exec, s[4:5]
	s_cbranch_execz .LBB1599_85
; %bb.84:
	s_movk_i32 s6, 0xff
	v_lshlrev_b16_e32 v7, 8, v11
	v_and_b32_sdwa v9, v6, s6 dst_sel:DWORD dst_unused:UNUSED_PAD src0_sel:WORD_1 src1_sel:DWORD
	v_or_b32_sdwa v7, v9, v7 dst_sel:WORD_1 dst_unused:UNUSED_PAD src0_sel:DWORD src1_sel:DWORD
	v_mov_b32_e32 v9, 8
	v_lshrrev_b32_sdwa v7, v9, v6 dst_sel:BYTE_1 dst_unused:UNUSED_PRESERVE src0_sel:DWORD src1_sel:DWORD
	v_lshlrev_b16_e32 v6, 8, v10
	v_and_b32_sdwa v9, v8, s6 dst_sel:DWORD dst_unused:UNUSED_PAD src0_sel:WORD_1 src1_sel:DWORD
	s_mov_b32 s7, 0x3060504
	v_or_b32_e32 v6, v9, v6
	s_mov_b32 s6, 0x5040c00
	v_perm_b32 v5, v5, v5, s7
	v_perm_b32 v9, v6, v8, s6
                                        ; implicit-def: $vgpr11
                                        ; implicit-def: $vgpr6
                                        ; implicit-def: $vgpr8
                                        ; implicit-def: $vgpr10
.LBB1599_85:
	s_andn2_saveexec_b64 s[6:7], s[4:5]
	s_cbranch_execz .LBB1599_89
; %bb.86:
	v_add_u32_e32 v7, s37, v15
	v_add_u32_e32 v9, s39, v15
	v_mul_lo_u32 v7, v7, s36
	v_mul_lo_u32 v9, v9, s38
	s_mov_b64 s[8:9], 0
	v_sub_u32_e32 v7, v7, v9
	v_cmp_lt_u32_e32 vcc, s40, v7
	v_cmp_ge_u32_e64 s[4:5], s40, v7
	s_and_saveexec_b64 s[10:11], s[4:5]
	s_cbranch_execz .LBB1599_88
; %bb.87:
	v_add_u32_e32 v7, s42, v15
	v_add_u32_e32 v9, s56, v15
	v_mul_lo_u32 v7, v7, s41
	v_mul_lo_u32 v9, v9, s43
	v_sub_u32_e32 v7, v7, v9
	v_cmp_lt_u32_e64 s[4:5], s57, v7
	s_and_b64 s[8:9], s[4:5], exec
.LBB1599_88:
	s_or_b64 exec, exec, s[10:11]
	s_movk_i32 s4, 0xff
	v_lshlrev_b16_e32 v11, 8, v11
	v_and_b32_sdwa v12, v6, s4 dst_sel:DWORD dst_unused:UNUSED_PAD src0_sel:WORD_1 src1_sel:DWORD
	v_or_b32_sdwa v11, v12, v11 dst_sel:WORD_1 dst_unused:UNUSED_PAD src0_sel:DWORD src1_sel:DWORD
	v_mov_b32_e32 v12, 8
	v_cndmask_b32_e64 v7, 0, 1, vcc
	v_lshrrev_b32_sdwa v6, v12, v6 dst_sel:BYTE_1 dst_unused:UNUSED_PAD src0_sel:DWORD src1_sel:DWORD
	v_cndmask_b32_e64 v9, 0, 1, s[8:9]
	v_or_b32_e32 v6, v7, v6
	v_or_b32_sdwa v7, v6, v11 dst_sel:DWORD dst_unused:UNUSED_PAD src0_sel:WORD_0 src1_sel:DWORD
	v_lshlrev_b16_e32 v6, 8, v9
	v_or_b32_sdwa v6, v8, v6 dst_sel:DWORD dst_unused:UNUSED_PAD src0_sel:BYTE_0 src1_sel:DWORD
	v_lshlrev_b16_e32 v9, 8, v10
	v_and_b32_sdwa v8, v8, s4 dst_sel:DWORD dst_unused:UNUSED_PAD src0_sel:WORD_1 src1_sel:DWORD
	v_or_b32_sdwa v8, v8, v9 dst_sel:WORD_1 dst_unused:UNUSED_PAD src0_sel:DWORD src1_sel:DWORD
	v_or_b32_sdwa v9, v6, v8 dst_sel:DWORD dst_unused:UNUSED_PAD src0_sel:WORD_0 src1_sel:DWORD
.LBB1599_89:
	s_or_b64 exec, exec, s[6:7]
	v_add_u32_e32 v6, 9, v35
	v_cmp_le_u32_e32 vcc, s16, v6
	v_lshrrev_b32_e32 v10, 24, v9
	v_lshrrev_b32_e32 v11, 24, v7
                                        ; implicit-def: $vgpr6
                                        ; implicit-def: $vgpr8
	s_and_saveexec_b64 s[4:5], vcc
	s_xor_b64 s[4:5], exec, s[4:5]
	s_cbranch_execz .LBB1599_91
; %bb.90:
	s_mov_b32 s6, 0x40c0100
	v_perm_b32 v6, v10, v9, s6
	v_mov_b32_e32 v8, 8
	s_movk_i32 s6, 0xff
	v_lshrrev_b32_sdwa v9, v8, v6 dst_sel:BYTE_1 dst_unused:UNUSED_PAD src0_sel:DWORD src1_sel:DWORD
	v_lshlrev_b16_e32 v8, 8, v11
	v_and_b32_sdwa v10, v7, s6 dst_sel:DWORD dst_unused:UNUSED_PAD src0_sel:WORD_1 src1_sel:DWORD
	v_or_b32_e32 v8, v10, v8
	s_mov_b32 s6, 0x5040c00
	v_perm_b32 v8, v8, v7, s6
	s_mov_b32 s6, 0x3060504
	v_or_b32_sdwa v7, v6, v9 dst_sel:DWORD dst_unused:UNUSED_PAD src0_sel:BYTE_0 src1_sel:DWORD
	v_perm_b32 v5, v5, v5, s6
	v_and_b32_e32 v7, 0xffff, v7
	s_mov_b32 s6, 0xff000000
	v_and_or_b32 v6, v6, s6, v7
                                        ; implicit-def: $vgpr7
                                        ; implicit-def: $vgpr11
                                        ; implicit-def: $vgpr9
                                        ; implicit-def: $vgpr10
.LBB1599_91:
	s_andn2_saveexec_b64 s[6:7], s[4:5]
	s_cbranch_execz .LBB1599_95
; %bb.92:
	v_add_u32_e32 v6, s37, v16
	v_add_u32_e32 v8, s39, v16
	v_mul_lo_u32 v6, v6, s36
	v_mul_lo_u32 v8, v8, s38
	s_mov_b64 s[8:9], 0
	v_sub_u32_e32 v6, v6, v8
	v_cmp_lt_u32_e32 vcc, s40, v6
	v_cmp_ge_u32_e64 s[4:5], s40, v6
	s_and_saveexec_b64 s[10:11], s[4:5]
	s_cbranch_execz .LBB1599_94
; %bb.93:
	v_add_u32_e32 v6, s42, v16
	v_add_u32_e32 v8, s56, v16
	v_mul_lo_u32 v6, v6, s41
	v_mul_lo_u32 v8, v8, s43
	v_sub_u32_e32 v6, v6, v8
	v_cmp_lt_u32_e64 s[4:5], s57, v6
	s_and_b64 s[8:9], s[4:5], exec
.LBB1599_94:
	s_or_b64 exec, exec, s[10:11]
	v_cndmask_b32_e64 v6, 0, 1, vcc
	v_lshlrev_b16_e32 v6, 8, v6
	s_movk_i32 s4, 0xff
	v_or_b32_sdwa v6, v7, v6 dst_sel:DWORD dst_unused:UNUSED_PAD src0_sel:BYTE_0 src1_sel:DWORD
	v_lshlrev_b16_e32 v8, 8, v11
	v_and_b32_sdwa v7, v7, s4 dst_sel:DWORD dst_unused:UNUSED_PAD src0_sel:WORD_1 src1_sel:DWORD
	v_or_b32_sdwa v7, v7, v8 dst_sel:WORD_1 dst_unused:UNUSED_PAD src0_sel:DWORD src1_sel:DWORD
	v_or_b32_sdwa v8, v6, v7 dst_sel:DWORD dst_unused:UNUSED_PAD src0_sel:WORD_0 src1_sel:DWORD
	v_mov_b32_e32 v6, 8
	v_cndmask_b32_e64 v12, 0, 1, s[8:9]
	v_lshrrev_b32_sdwa v6, v6, v9 dst_sel:BYTE_1 dst_unused:UNUSED_PAD src0_sel:DWORD src1_sel:DWORD
	v_lshlrev_b16_e32 v7, 8, v10
	v_or_b32_sdwa v6, v9, v6 dst_sel:DWORD dst_unused:UNUSED_PAD src0_sel:BYTE_0 src1_sel:DWORD
	v_or_b32_sdwa v7, v12, v7 dst_sel:WORD_1 dst_unused:UNUSED_PAD src0_sel:DWORD src1_sel:DWORD
	v_or_b32_sdwa v6, v6, v7 dst_sel:DWORD dst_unused:UNUSED_PAD src0_sel:WORD_0 src1_sel:DWORD
.LBB1599_95:
	s_or_b64 exec, exec, s[6:7]
	v_add_u32_e32 v7, 10, v35
	v_cmp_le_u32_e32 vcc, s16, v7
	v_lshrrev_b32_e32 v9, 24, v8
                                        ; implicit-def: $vgpr39
                                        ; implicit-def: $vgpr7
	s_and_saveexec_b64 s[4:5], vcc
	s_xor_b64 s[4:5], exec, s[4:5]
	s_cbranch_execz .LBB1599_97
; %bb.96:
	s_mov_b32 s6, 0x40c0100
	v_perm_b32 v7, v9, v8, s6
	v_mov_b32_e32 v8, 8
	v_lshrrev_b32_sdwa v8, v8, v7 dst_sel:BYTE_1 dst_unused:UNUSED_PAD src0_sel:DWORD src1_sel:DWORD
	v_or_b32_sdwa v8, v7, v8 dst_sel:DWORD dst_unused:UNUSED_PAD src0_sel:BYTE_0 src1_sel:DWORD
	v_and_b32_e32 v8, 0xffff, v8
	s_mov_b32 s6, 0xff000000
	v_and_or_b32 v7, v7, s6, v8
	s_mov_b32 s6, 0x3060504
	v_and_b32_e32 v10, 0xff0000, v6
	v_perm_b32 v5, v5, v5, s6
	s_mov_b32 s6, 0x3020504
	v_perm_b32 v39, v6, v10, s6
                                        ; implicit-def: $vgpr8
                                        ; implicit-def: $vgpr9
                                        ; implicit-def: $vgpr6
.LBB1599_97:
	s_andn2_saveexec_b64 s[6:7], s[4:5]
	s_cbranch_execz .LBB1599_101
; %bb.98:
	v_add_u32_e32 v7, s37, v13
	v_add_u32_e32 v10, s39, v13
	v_mul_lo_u32 v7, v7, s36
	v_mul_lo_u32 v10, v10, s38
	s_mov_b64 s[8:9], 0
	v_sub_u32_e32 v7, v7, v10
	v_cmp_lt_u32_e32 vcc, s40, v7
	v_cmp_ge_u32_e64 s[4:5], s40, v7
	s_and_saveexec_b64 s[10:11], s[4:5]
	s_cbranch_execz .LBB1599_100
; %bb.99:
	v_add_u32_e32 v7, s42, v13
	v_add_u32_e32 v10, s56, v13
	v_mul_lo_u32 v7, v7, s41
	v_mul_lo_u32 v10, v10, s43
	v_sub_u32_e32 v7, v7, v10
	v_cmp_lt_u32_e64 s[4:5], s57, v7
	s_and_b64 s[8:9], s[4:5], exec
.LBB1599_100:
	s_or_b64 exec, exec, s[10:11]
	v_mov_b32_e32 v11, 8
	v_cndmask_b32_e64 v7, 0, 1, vcc
	v_lshrrev_b32_sdwa v12, v11, v8 dst_sel:BYTE_1 dst_unused:UNUSED_PAD src0_sel:DWORD src1_sel:DWORD
	v_lshlrev_b16_e32 v9, 8, v9
	v_or_b32_sdwa v8, v8, v12 dst_sel:DWORD dst_unused:UNUSED_PAD src0_sel:BYTE_0 src1_sel:DWORD
	v_or_b32_sdwa v7, v7, v9 dst_sel:WORD_1 dst_unused:UNUSED_PAD src0_sel:DWORD src1_sel:DWORD
	v_cndmask_b32_e64 v10, 0, 1, s[8:9]
	s_movk_i32 s4, 0xff
	v_or_b32_sdwa v7, v8, v7 dst_sel:DWORD dst_unused:UNUSED_PAD src0_sel:WORD_0 src1_sel:DWORD
	v_lshrrev_b32_sdwa v8, v11, v6 dst_sel:BYTE_1 dst_unused:UNUSED_PAD src0_sel:DWORD src1_sel:DWORD
	v_or_b32_sdwa v8, v6, v8 dst_sel:DWORD dst_unused:UNUSED_PAD src0_sel:BYTE_0 src1_sel:DWORD
	v_lshlrev_b16_e32 v9, 8, v10
	v_and_b32_sdwa v6, v6, s4 dst_sel:DWORD dst_unused:UNUSED_PAD src0_sel:WORD_1 src1_sel:DWORD
	v_or_b32_sdwa v6, v6, v9 dst_sel:WORD_1 dst_unused:UNUSED_PAD src0_sel:DWORD src1_sel:DWORD
	v_or_b32_sdwa v39, v8, v6 dst_sel:DWORD dst_unused:UNUSED_PAD src0_sel:WORD_0 src1_sel:DWORD
.LBB1599_101:
	s_or_b64 exec, exec, s[6:7]
	v_add_u32_e32 v6, 11, v35
	v_mov_b32_e32 v40, 0
	v_cmp_le_u32_e32 vcc, s16, v6
                                        ; implicit-def: $vgpr41
	s_and_saveexec_b64 s[4:5], vcc
	s_xor_b64 s[4:5], exec, s[4:5]
; %bb.102:
	v_and_b32_e32 v6, 0xff0000, v7
	s_mov_b32 s6, 0x3020504
	v_perm_b32 v41, v7, v6, s6
	s_mov_b32 s6, 0x3060504
	v_perm_b32 v5, v5, v5, s6
                                        ; implicit-def: $vgpr7
; %bb.103:
	s_andn2_saveexec_b64 s[6:7], s[4:5]
	s_cbranch_execz .LBB1599_107
; %bb.104:
	v_add_u32_e32 v6, s37, v14
	v_add_u32_e32 v8, s39, v14
	v_mul_lo_u32 v6, v6, s36
	v_mul_lo_u32 v8, v8, s38
	s_mov_b64 s[8:9], 0
	v_sub_u32_e32 v6, v6, v8
	v_cmp_lt_u32_e32 vcc, s40, v6
	v_cmp_ge_u32_e64 s[4:5], s40, v6
	s_and_saveexec_b64 s[10:11], s[4:5]
	s_cbranch_execz .LBB1599_106
; %bb.105:
	v_add_u32_e32 v6, s42, v14
	v_add_u32_e32 v8, s56, v14
	v_mul_lo_u32 v6, v6, s41
	v_mul_lo_u32 v8, v8, s43
	v_sub_u32_e32 v6, v6, v8
	v_cmp_lt_u32_e64 s[4:5], s57, v6
	s_and_b64 s[8:9], s[4:5], exec
.LBB1599_106:
	s_or_b64 exec, exec, s[10:11]
	v_mov_b32_e32 v8, 8
	v_cndmask_b32_e64 v6, 0, 1, vcc
	s_movk_i32 s4, 0xff
	v_lshrrev_b32_sdwa v8, v8, v7 dst_sel:BYTE_1 dst_unused:UNUSED_PAD src0_sel:DWORD src1_sel:DWORD
	v_or_b32_sdwa v8, v7, v8 dst_sel:DWORD dst_unused:UNUSED_PAD src0_sel:BYTE_0 src1_sel:DWORD
	v_lshlrev_b16_e32 v6, 8, v6
	v_and_b32_sdwa v7, v7, s4 dst_sel:DWORD dst_unused:UNUSED_PAD src0_sel:WORD_1 src1_sel:DWORD
	v_or_b32_sdwa v6, v7, v6 dst_sel:WORD_1 dst_unused:UNUSED_PAD src0_sel:DWORD src1_sel:DWORD
	v_cndmask_b32_e64 v40, 0, 1, s[8:9]
	v_or_b32_sdwa v41, v8, v6 dst_sel:DWORD dst_unused:UNUSED_PAD src0_sel:WORD_0 src1_sel:DWORD
.LBB1599_107:
	s_or_b64 exec, exec, s[6:7]
	v_add_u32_e32 v6, 12, v35
	v_cmp_le_u32_e32 vcc, s16, v6
	v_lshrrev_b32_e32 v6, 24, v5
                                        ; implicit-def: $vgpr42
	s_and_saveexec_b64 s[4:5], vcc
	s_xor_b64 s[4:5], exec, s[4:5]
; %bb.108:
	s_movk_i32 s6, 0xff
	v_lshlrev_b16_e32 v6, 8, v6
	v_and_b32_sdwa v8, v5, s6 dst_sel:DWORD dst_unused:UNUSED_PAD src0_sel:WORD_1 src1_sel:DWORD
	v_mov_b32_e32 v7, 8
	v_or_b32_sdwa v42, v8, v6 dst_sel:WORD_1 dst_unused:UNUSED_PAD src0_sel:DWORD src1_sel:DWORD
	v_lshrrev_b32_sdwa v42, v7, v5 dst_sel:BYTE_1 dst_unused:UNUSED_PRESERVE src0_sel:DWORD src1_sel:DWORD
                                        ; implicit-def: $vgpr6
                                        ; implicit-def: $vgpr5
; %bb.109:
	s_or_saveexec_b64 s[6:7], s[4:5]
	v_mov_b32_e32 v43, 0
	s_xor_b64 exec, exec, s[6:7]
	s_cbranch_execz .LBB1599_113
; %bb.110:
	v_add_u32_e32 v7, s37, v34
	v_add_u32_e32 v8, s39, v34
	v_mul_lo_u32 v7, v7, s36
	v_mul_lo_u32 v8, v8, s38
	s_mov_b64 s[8:9], 0
	v_sub_u32_e32 v7, v7, v8
	v_cmp_lt_u32_e32 vcc, s40, v7
	v_cmp_ge_u32_e64 s[4:5], s40, v7
	s_and_saveexec_b64 s[10:11], s[4:5]
	s_cbranch_execz .LBB1599_112
; %bb.111:
	v_add_u32_e32 v7, s42, v34
	v_add_u32_e32 v8, s56, v34
	v_mul_lo_u32 v7, v7, s41
	v_mul_lo_u32 v8, v8, s43
	v_sub_u32_e32 v7, v7, v8
	v_cmp_lt_u32_e64 s[4:5], s57, v7
	s_and_b64 s[8:9], s[4:5], exec
.LBB1599_112:
	s_or_b64 exec, exec, s[10:11]
	s_movk_i32 s4, 0xff
	v_lshlrev_b16_e32 v6, 8, v6
	v_and_b32_sdwa v8, v5, s4 dst_sel:DWORD dst_unused:UNUSED_PAD src0_sel:WORD_1 src1_sel:DWORD
	v_or_b32_sdwa v6, v8, v6 dst_sel:WORD_1 dst_unused:UNUSED_PAD src0_sel:DWORD src1_sel:DWORD
	v_mov_b32_e32 v8, 8
	v_cndmask_b32_e64 v7, 0, 1, vcc
	v_lshrrev_b32_sdwa v5, v8, v5 dst_sel:BYTE_1 dst_unused:UNUSED_PAD src0_sel:DWORD src1_sel:DWORD
	v_or_b32_e32 v5, v7, v5
	v_cndmask_b32_e64 v43, 0, 1, s[8:9]
	v_or_b32_sdwa v42, v5, v6 dst_sel:DWORD dst_unused:UNUSED_PAD src0_sel:WORD_0 src1_sel:DWORD
.LBB1599_113:
	s_or_b64 exec, exec, s[6:7]
.LBB1599_114:
	v_and_b32_e32 v53, 0xff, v36
	v_bfe_u32 v50, v36, 8, 8
	v_bfe_u32 v55, v36, 16, 8
	v_lshrrev_b32_e32 v48, 24, v36
	v_and_b32_e32 v56, 0xff, v38
	v_add3_u32 v8, v50, v53, v55
	v_bfe_u32 v51, v38, 8, 8
	v_bfe_u32 v58, v38, 16, 8
	v_add3_u32 v8, v8, v48, v56
	v_bfe_u32 v54, v42, 8, 8
	v_bfe_u32 v62, v42, 16, 8
	v_lshrrev_b32_e32 v49, 24, v42
	v_lshrrev_b32_e32 v46, 24, v38
	v_and_b32_e32 v59, 0xff, v41
	v_add3_u32 v8, v8, v51, v58
	v_and_b32_e32 v63, 0xff, v37
	v_bfe_u32 v57, v37, 8, 8
	v_bfe_u32 v52, v41, 8, 8
	;; [unrolled: 1-line block ×3, first 2 shown]
	v_add3_u32 v7, v62, v54, v49
	v_add3_u32 v8, v8, v46, v59
	v_bfe_u32 v64, v37, 16, 8
	v_lshrrev_b32_e32 v47, 24, v37
	v_lshrrev_b32_e32 v44, 24, v41
	v_and_b32_e32 v5, 0xff, v42
	v_add3_u32 v7, v7, v63, v57
	v_add3_u32 v8, v8, v52, v61
	v_and_b32_e32 v65, 0xff, v39
	v_bfe_u32 v60, v39, 8, 8
	v_add3_u32 v7, v7, v64, v47
	v_add3_u32 v73, v8, v44, v5
	v_mbcnt_lo_u32_b32 v5, -1, 0
	v_bfe_u32 v66, v39, 16, 8
	v_lshrrev_b32_e32 v45, 24, v39
	v_add3_u32 v7, v7, v65, v60
	v_mbcnt_hi_u32_b32 v68, -1, v5
	v_and_b32_e32 v67, 0xff, v40
	v_and_b32_e32 v6, 0xff, v43
	v_add3_u32 v7, v7, v66, v45
	v_and_b32_e32 v72, 15, v68
	s_cmp_lg_u32 s33, 0
	v_add3_u32 v74, v7, v67, v6
	v_cmp_eq_u32_e64 s[6:7], 0, v72
	v_cmp_lt_u32_e64 s[4:5], 1, v72
	v_cmp_lt_u32_e64 s[10:11], 3, v72
	;; [unrolled: 1-line block ×3, first 2 shown]
	v_and_b32_e32 v71, 16, v68
	v_cmp_lt_u32_e32 vcc, 31, v68
	v_lshrrev_b32_e32 v69, 6, v0
	v_or_b32_e32 v70, 63, v0
	s_cbranch_scc0 .LBB1599_136
; %bb.115:
	v_mov_b32_dpp v5, v73 row_shr:1 row_mask:0xf bank_mask:0xf
	v_mov_b32_dpp v6, v74 row_shr:1 row_mask:0xf bank_mask:0xf
	v_add_u32_e32 v5, v5, v73
	v_add_u32_e32 v6, v6, v74
	v_cndmask_b32_e64 v6, v6, v74, s[6:7]
	v_cndmask_b32_e64 v5, v5, v73, s[6:7]
	s_nop 0
	v_mov_b32_dpp v8, v6 row_shr:2 row_mask:0xf bank_mask:0xf
	v_mov_b32_dpp v7, v5 row_shr:2 row_mask:0xf bank_mask:0xf
	v_add_u32_e32 v7, v5, v7
	v_add_u32_e32 v8, v6, v8
	v_cndmask_b32_e64 v6, v6, v8, s[4:5]
	v_cndmask_b32_e64 v5, v5, v7, s[4:5]
	s_nop 0
	;; [unrolled: 7-line block ×3, first 2 shown]
	v_mov_b32_dpp v8, v6 row_shr:8 row_mask:0xf bank_mask:0xf
	v_mov_b32_dpp v7, v5 row_shr:8 row_mask:0xf bank_mask:0xf
	v_add_u32_e32 v7, v5, v7
	v_add_u32_e32 v8, v6, v8
	v_cndmask_b32_e64 v6, v6, v8, s[8:9]
	v_cndmask_b32_e64 v7, v5, v7, s[8:9]
	v_cmp_eq_u32_e64 s[8:9], 0, v71
	v_mov_b32_dpp v8, v6 row_bcast:15 row_mask:0xf bank_mask:0xf
	v_mov_b32_dpp v5, v7 row_bcast:15 row_mask:0xf bank_mask:0xf
	v_add_u32_e32 v9, v7, v5
	v_add_u32_e32 v5, v6, v8
	v_cndmask_b32_e64 v5, v5, v6, s[8:9]
	v_cndmask_b32_e64 v6, v9, v7, s[8:9]
	v_cmp_eq_u32_e64 s[8:9], v0, v70
	v_mov_b32_dpp v7, v5 row_bcast:31 row_mask:0xf bank_mask:0xf
	v_mov_b32_dpp v8, v6 row_bcast:31 row_mask:0xf bank_mask:0xf
	v_add_u32_e32 v7, v5, v7
	v_add_u32_e32 v8, v6, v8
	s_and_saveexec_b64 s[10:11], s[8:9]
; %bb.116:
	v_lshlrev_b32_e32 v11, 3, v69
	v_cndmask_b32_e32 v10, v5, v7, vcc
	v_cndmask_b32_e32 v9, v6, v8, vcc
	ds_write_b64 v11, v[9:10]
; %bb.117:
	s_or_b64 exec, exec, s[10:11]
	v_cmp_gt_u32_e64 s[8:9], 4, v0
	s_waitcnt lgkmcnt(0)
	s_barrier
	s_and_saveexec_b64 s[10:11], s[8:9]
	s_cbranch_execz .LBB1599_119
; %bb.118:
	v_lshlrev_b32_e32 v11, 3, v0
	ds_read_b64 v[9:10], v11
	v_and_b32_e32 v12, 3, v68
	v_cmp_eq_u32_e64 s[8:9], 0, v12
	s_waitcnt lgkmcnt(0)
	v_mov_b32_dpp v25, v9 row_shr:1 row_mask:0xf bank_mask:0xf
	v_mov_b32_dpp v26, v10 row_shr:1 row_mask:0xf bank_mask:0xf
	v_add_u32_e32 v25, v25, v9
	v_add_u32_e32 v26, v26, v10
	v_cndmask_b32_e64 v10, v26, v10, s[8:9]
	v_cndmask_b32_e64 v9, v25, v9, s[8:9]
	v_cmp_lt_u32_e64 s[8:9], 1, v12
	v_mov_b32_dpp v26, v10 row_shr:2 row_mask:0xf bank_mask:0xf
	v_mov_b32_dpp v25, v9 row_shr:2 row_mask:0xf bank_mask:0xf
	v_cndmask_b32_e64 v12, 0, v25, s[8:9]
	v_cndmask_b32_e64 v25, 0, v26, s[8:9]
	v_add_u32_e32 v10, v25, v10
	v_add_u32_e32 v9, v12, v9
	ds_write_b64 v11, v[9:10]
.LBB1599_119:
	s_or_b64 exec, exec, s[10:11]
	v_cndmask_b32_e32 v5, v5, v7, vcc
	v_cndmask_b32_e32 v6, v6, v8, vcc
	v_cmp_gt_u32_e32 vcc, 64, v0
	v_cmp_lt_u32_e64 s[8:9], 63, v0
	s_waitcnt lgkmcnt(0)
	s_barrier
                                        ; implicit-def: $vgpr25
	s_and_saveexec_b64 s[10:11], s[8:9]
	s_cbranch_execz .LBB1599_121
; %bb.120:
	v_lshl_add_u32 v7, v69, 3, -8
	ds_read_b64 v[25:26], v7
	s_waitcnt lgkmcnt(0)
	v_add_u32_e32 v5, v26, v5
	v_add_u32_e32 v6, v25, v6
.LBB1599_121:
	s_or_b64 exec, exec, s[10:11]
	v_subrev_co_u32_e64 v7, s[8:9], 1, v68
	v_and_b32_e32 v8, 64, v68
	v_cmp_lt_i32_e64 s[10:11], v7, v8
	v_cndmask_b32_e64 v7, v7, v68, s[10:11]
	v_lshlrev_b32_e32 v7, 2, v7
	ds_bpermute_b32 v75, v7, v6
	ds_bpermute_b32 v76, v7, v5
	s_and_saveexec_b64 s[10:11], vcc
	s_cbranch_execz .LBB1599_141
; %bb.122:
	v_mov_b32_e32 v8, 0
	ds_read_b64 v[5:6], v8 offset:24
	s_and_saveexec_b64 s[12:13], s[8:9]
	s_cbranch_execz .LBB1599_124
; %bb.123:
	s_add_i32 s14, s33, 64
	s_mov_b32 s15, 0
	s_lshl_b64 s[14:15], s[14:15], 4
	s_add_u32 s14, s54, s14
	s_addc_u32 s15, s55, s15
	v_mov_b32_e32 v9, s14
	v_mov_b32_e32 v7, 1
	;; [unrolled: 1-line block ×3, first 2 shown]
	s_waitcnt lgkmcnt(0)
	;;#ASMSTART
	global_store_dwordx4 v[9:10], v[5:8] off	
s_waitcnt vmcnt(0)
	;;#ASMEND
.LBB1599_124:
	s_or_b64 exec, exec, s[12:13]
	v_xad_u32 v27, v68, -1, s33
	v_add_u32_e32 v7, 64, v27
	v_lshlrev_b64 v[9:10], 4, v[7:8]
	v_mov_b32_e32 v7, s55
	v_add_co_u32_e32 v28, vcc, s54, v9
	v_addc_co_u32_e32 v29, vcc, v7, v10, vcc
	;;#ASMSTART
	global_load_dwordx4 v[9:12], v[28:29] off glc	
s_waitcnt vmcnt(0)
	;;#ASMEND
	v_cmp_eq_u16_sdwa s[14:15], v11, v8 src0_sel:BYTE_0 src1_sel:DWORD
	s_and_saveexec_b64 s[12:13], s[14:15]
	s_cbranch_execz .LBB1599_128
; %bb.125:
	s_mov_b64 s[14:15], 0
	v_mov_b32_e32 v7, 0
.LBB1599_126:                           ; =>This Inner Loop Header: Depth=1
	;;#ASMSTART
	global_load_dwordx4 v[9:12], v[28:29] off glc	
s_waitcnt vmcnt(0)
	;;#ASMEND
	v_cmp_ne_u16_sdwa s[18:19], v11, v7 src0_sel:BYTE_0 src1_sel:DWORD
	s_or_b64 s[14:15], s[18:19], s[14:15]
	s_andn2_b64 exec, exec, s[14:15]
	s_cbranch_execnz .LBB1599_126
; %bb.127:
	s_or_b64 exec, exec, s[14:15]
.LBB1599_128:
	s_or_b64 exec, exec, s[12:13]
	v_and_b32_e32 v78, 63, v68
	v_cmp_ne_u32_e32 vcc, 63, v78
	v_mov_b32_e32 v77, 2
	v_lshlrev_b64 v[29:30], v68, -1
	v_addc_co_u32_e32 v12, vcc, 0, v68, vcc
	v_cmp_eq_u16_sdwa s[12:13], v11, v77 src0_sel:BYTE_0 src1_sel:DWORD
	v_lshlrev_b32_e32 v79, 2, v12
	v_and_b32_e32 v7, s13, v30
	ds_bpermute_b32 v12, v79, v9
	ds_bpermute_b32 v28, v79, v10
	v_or_b32_e32 v7, 0x80000000, v7
	v_and_b32_e32 v8, s12, v29
	v_ffbl_b32_e32 v7, v7
	v_add_u32_e32 v7, 32, v7
	v_ffbl_b32_e32 v8, v8
	v_min_u32_e32 v7, v8, v7
	s_waitcnt lgkmcnt(1)
	v_add_u32_e32 v8, v12, v9
	s_waitcnt lgkmcnt(0)
	v_add_u32_e32 v12, v28, v10
	v_cmp_lt_u32_e32 vcc, v78, v7
	v_cndmask_b32_e32 v10, v10, v12, vcc
	v_cndmask_b32_e32 v8, v9, v8, vcc
	v_cmp_gt_u32_e32 vcc, 62, v78
	v_cndmask_b32_e64 v9, 0, 2, vcc
	v_add_lshl_u32 v80, v9, v68, 2
	ds_bpermute_b32 v9, v80, v8
	ds_bpermute_b32 v12, v80, v10
	v_add_u32_e32 v81, 2, v78
	v_cmp_gt_u32_e32 vcc, v81, v7
	v_add_u32_e32 v83, 4, v78
	s_waitcnt lgkmcnt(1)
	v_add_u32_e32 v9, v8, v9
	s_waitcnt lgkmcnt(0)
	v_add_u32_e32 v12, v10, v12
	v_cndmask_b32_e32 v10, v12, v10, vcc
	v_cndmask_b32_e32 v8, v9, v8, vcc
	v_cmp_gt_u32_e32 vcc, 60, v78
	v_cndmask_b32_e64 v9, 0, 4, vcc
	v_add_lshl_u32 v82, v9, v68, 2
	ds_bpermute_b32 v9, v82, v8
	ds_bpermute_b32 v12, v82, v10
	v_cmp_gt_u32_e32 vcc, v83, v7
	v_add_u32_e32 v85, 8, v78
	v_add_u32_e32 v87, 16, v78
	s_waitcnt lgkmcnt(1)
	v_add_u32_e32 v9, v8, v9
	s_waitcnt lgkmcnt(0)
	v_add_u32_e32 v12, v10, v12
	v_cndmask_b32_e32 v10, v12, v10, vcc
	v_cndmask_b32_e32 v8, v9, v8, vcc
	v_cmp_gt_u32_e32 vcc, 56, v78
	v_cndmask_b32_e64 v9, 0, 8, vcc
	v_add_lshl_u32 v84, v9, v68, 2
	ds_bpermute_b32 v9, v84, v8
	ds_bpermute_b32 v12, v84, v10
	v_cmp_gt_u32_e32 vcc, v85, v7
	v_add_u32_e32 v89, 32, v78
	v_mov_b32_e32 v28, 0
	s_waitcnt lgkmcnt(1)
	v_add_u32_e32 v9, v8, v9
	s_waitcnt lgkmcnt(0)
	v_add_u32_e32 v12, v10, v12
	v_cndmask_b32_e32 v10, v12, v10, vcc
	v_cndmask_b32_e32 v8, v9, v8, vcc
	v_cmp_gt_u32_e32 vcc, 48, v78
	v_cndmask_b32_e64 v9, 0, 16, vcc
	v_add_lshl_u32 v86, v9, v68, 2
	ds_bpermute_b32 v9, v86, v8
	ds_bpermute_b32 v12, v86, v10
	v_cmp_gt_u32_e32 vcc, v87, v7
	s_waitcnt lgkmcnt(1)
	v_add_u32_e32 v9, v8, v9
	s_waitcnt lgkmcnt(0)
	v_add_u32_e32 v12, v10, v12
	v_cndmask_b32_e32 v8, v9, v8, vcc
	v_mov_b32_e32 v9, 0x80
	v_cndmask_b32_e32 v10, v12, v10, vcc
	v_lshl_or_b32 v88, v68, 2, v9
	ds_bpermute_b32 v9, v88, v8
	ds_bpermute_b32 v12, v88, v10
	v_cmp_le_u32_e32 vcc, v89, v7
	s_waitcnt lgkmcnt(1)
	v_cndmask_b32_e32 v7, 0, v9, vcc
	s_waitcnt lgkmcnt(0)
	v_cndmask_b32_e32 v9, 0, v12, vcc
	v_add_u32_e32 v10, v10, v9
	v_add_u32_e32 v9, v8, v7
	s_branch .LBB1599_132
.LBB1599_129:                           ;   in Loop: Header=BB1599_132 Depth=1
	s_or_b64 exec, exec, s[14:15]
.LBB1599_130:                           ;   in Loop: Header=BB1599_132 Depth=1
	s_or_b64 exec, exec, s[12:13]
	v_cmp_eq_u16_sdwa s[12:13], v11, v77 src0_sel:BYTE_0 src1_sel:DWORD
	v_and_b32_e32 v12, s13, v30
	ds_bpermute_b32 v32, v79, v9
	ds_bpermute_b32 v90, v79, v10
	v_or_b32_e32 v12, 0x80000000, v12
	v_and_b32_e32 v31, s12, v29
	v_ffbl_b32_e32 v12, v12
	v_add_u32_e32 v12, 32, v12
	v_ffbl_b32_e32 v31, v31
	v_min_u32_e32 v12, v31, v12
	s_waitcnt lgkmcnt(1)
	v_add_u32_e32 v31, v32, v9
	s_waitcnt lgkmcnt(0)
	v_add_u32_e32 v32, v90, v10
	v_cmp_lt_u32_e32 vcc, v78, v12
	v_cndmask_b32_e32 v10, v10, v32, vcc
	v_cndmask_b32_e32 v9, v9, v31, vcc
	ds_bpermute_b32 v31, v80, v9
	ds_bpermute_b32 v32, v80, v10
	v_cmp_gt_u32_e32 vcc, v81, v12
	v_subrev_u32_e32 v27, 64, v27
	s_mov_b64 s[12:13], 0
	s_waitcnt lgkmcnt(1)
	v_add_u32_e32 v31, v9, v31
	s_waitcnt lgkmcnt(0)
	v_add_u32_e32 v32, v10, v32
	v_cndmask_b32_e32 v10, v32, v10, vcc
	v_cndmask_b32_e32 v9, v31, v9, vcc
	ds_bpermute_b32 v31, v82, v9
	ds_bpermute_b32 v32, v82, v10
	v_cmp_gt_u32_e32 vcc, v83, v12
	s_waitcnt lgkmcnt(1)
	v_add_u32_e32 v31, v9, v31
	s_waitcnt lgkmcnt(0)
	v_add_u32_e32 v32, v10, v32
	v_cndmask_b32_e32 v10, v32, v10, vcc
	v_cndmask_b32_e32 v9, v31, v9, vcc
	ds_bpermute_b32 v31, v84, v9
	ds_bpermute_b32 v32, v84, v10
	v_cmp_gt_u32_e32 vcc, v85, v12
	;; [unrolled: 9-line block ×3, first 2 shown]
	s_waitcnt lgkmcnt(1)
	v_add_u32_e32 v31, v9, v31
	s_waitcnt lgkmcnt(0)
	v_add_u32_e32 v32, v10, v32
	v_cndmask_b32_e32 v10, v32, v10, vcc
	v_cndmask_b32_e32 v9, v31, v9, vcc
	ds_bpermute_b32 v31, v88, v9
	ds_bpermute_b32 v32, v88, v10
	v_cmp_le_u32_e32 vcc, v89, v12
	s_waitcnt lgkmcnt(1)
	v_cndmask_b32_e32 v12, 0, v31, vcc
	s_waitcnt lgkmcnt(0)
	v_cndmask_b32_e32 v31, 0, v32, vcc
	v_add3_u32 v10, v31, v8, v10
	v_add3_u32 v9, v12, v7, v9
.LBB1599_131:                           ;   in Loop: Header=BB1599_132 Depth=1
	s_and_b64 vcc, exec, s[12:13]
	s_cbranch_vccnz .LBB1599_137
.LBB1599_132:                           ; =>This Loop Header: Depth=1
                                        ;     Child Loop BB1599_135 Depth 2
	v_mov_b32_e32 v7, v9
	v_cmp_ne_u16_sdwa s[12:13], v11, v77 src0_sel:BYTE_0 src1_sel:DWORD
	v_mov_b32_e32 v8, v10
	s_cmp_lg_u64 s[12:13], exec
	s_mov_b64 s[12:13], -1
                                        ; implicit-def: $vgpr11
                                        ; implicit-def: $vgpr9_vgpr10
	s_cbranch_scc1 .LBB1599_131
; %bb.133:                              ;   in Loop: Header=BB1599_132 Depth=1
	v_lshlrev_b64 v[9:10], 4, v[27:28]
	v_mov_b32_e32 v11, s55
	v_add_co_u32_e32 v31, vcc, s54, v9
	v_addc_co_u32_e32 v32, vcc, v11, v10, vcc
	;;#ASMSTART
	global_load_dwordx4 v[9:12], v[31:32] off glc	
s_waitcnt vmcnt(0)
	;;#ASMEND
	v_cmp_eq_u16_sdwa s[14:15], v11, v28 src0_sel:BYTE_0 src1_sel:DWORD
	s_and_saveexec_b64 s[12:13], s[14:15]
	s_cbranch_execz .LBB1599_130
; %bb.134:                              ;   in Loop: Header=BB1599_132 Depth=1
	s_mov_b64 s[14:15], 0
.LBB1599_135:                           ;   Parent Loop BB1599_132 Depth=1
                                        ; =>  This Inner Loop Header: Depth=2
	;;#ASMSTART
	global_load_dwordx4 v[9:12], v[31:32] off glc	
s_waitcnt vmcnt(0)
	;;#ASMEND
	v_cmp_ne_u16_sdwa s[18:19], v11, v28 src0_sel:BYTE_0 src1_sel:DWORD
	s_or_b64 s[14:15], s[18:19], s[14:15]
	s_andn2_b64 exec, exec, s[14:15]
	s_cbranch_execnz .LBB1599_135
	s_branch .LBB1599_129
.LBB1599_136:
                                        ; implicit-def: $vgpr12
                                        ; implicit-def: $vgpr7
                                        ; implicit-def: $vgpr25
	s_cbranch_execnz .LBB1599_142
	s_branch .LBB1599_151
.LBB1599_137:
	s_and_saveexec_b64 s[12:13], s[8:9]
	s_cbranch_execnz .LBB1599_379
; %bb.138:
	s_or_b64 exec, exec, s[12:13]
	s_and_saveexec_b64 s[12:13], s[8:9]
	s_cbranch_execnz .LBB1599_380
.LBB1599_139:
	s_or_b64 exec, exec, s[12:13]
	s_and_b64 exec, exec, s[0:1]
.LBB1599_140:
	v_mov_b32_e32 v5, 0
	ds_write_b64 v5, v[7:8] offset:24
.LBB1599_141:
	s_or_b64 exec, exec, s[10:11]
	v_mov_b32_e32 v5, 0
	s_waitcnt lgkmcnt(0)
	s_barrier
	ds_read_b64 v[9:10], v5 offset:24
	v_cndmask_b32_e64 v6, v75, v25, s[8:9]
	s_waitcnt lgkmcnt(0)
	s_barrier
	v_add_u32_e32 v25, v9, v6
	ds_read_b128 v[5:8], v5 offset:13312
	v_cndmask_b32_e64 v11, v76, v26, s[8:9]
	v_add_u32_e32 v11, v10, v11
	v_cndmask_b32_e64 v12, v11, v10, s[0:1]
	v_cndmask_b32_e64 v25, v25, v9, s[0:1]
	s_branch .LBB1599_151
.LBB1599_142:
	s_waitcnt lgkmcnt(0)
	v_mov_b32_dpp v5, v73 row_shr:1 row_mask:0xf bank_mask:0xf
	v_mov_b32_dpp v6, v74 row_shr:1 row_mask:0xf bank_mask:0xf
	v_add_u32_e32 v5, v5, v73
	v_add_u32_e32 v6, v6, v74
	v_cndmask_b32_e64 v6, v6, v74, s[6:7]
	v_cndmask_b32_e64 v5, v5, v73, s[6:7]
	v_cmp_lt_u32_e32 vcc, 3, v72
	v_mov_b32_dpp v8, v6 row_shr:2 row_mask:0xf bank_mask:0xf
	v_mov_b32_dpp v7, v5 row_shr:2 row_mask:0xf bank_mask:0xf
	v_add_u32_e32 v7, v5, v7
	v_add_u32_e32 v8, v6, v8
	v_cndmask_b32_e64 v6, v6, v8, s[4:5]
	v_cndmask_b32_e64 v5, v5, v7, s[4:5]
	v_cmp_eq_u32_e64 s[4:5], v0, v70
	v_mov_b32_dpp v8, v6 row_shr:4 row_mask:0xf bank_mask:0xf
	v_mov_b32_dpp v7, v5 row_shr:4 row_mask:0xf bank_mask:0xf
	v_add_u32_e32 v7, v5, v7
	v_add_u32_e32 v8, v6, v8
	v_cndmask_b32_e32 v6, v6, v8, vcc
	v_cndmask_b32_e32 v5, v5, v7, vcc
	v_cmp_lt_u32_e32 vcc, 7, v72
	v_mov_b32_dpp v8, v6 row_shr:8 row_mask:0xf bank_mask:0xf
	v_mov_b32_dpp v7, v5 row_shr:8 row_mask:0xf bank_mask:0xf
	v_add_u32_e32 v7, v5, v7
	v_add_u32_e32 v8, v6, v8
	v_cndmask_b32_e32 v6, v6, v8, vcc
	v_cndmask_b32_e32 v7, v5, v7, vcc
	v_cmp_eq_u32_e32 vcc, 0, v71
	v_mov_b32_dpp v8, v6 row_bcast:15 row_mask:0xf bank_mask:0xf
	v_mov_b32_dpp v5, v7 row_bcast:15 row_mask:0xf bank_mask:0xf
	v_add_u32_e32 v9, v7, v5
	v_add_u32_e32 v5, v6, v8
	v_cndmask_b32_e32 v5, v5, v6, vcc
	v_cndmask_b32_e32 v6, v9, v7, vcc
	v_cmp_lt_u32_e32 vcc, 31, v68
	v_mov_b32_dpp v7, v5 row_bcast:31 row_mask:0xf bank_mask:0xf
	v_mov_b32_dpp v8, v6 row_bcast:31 row_mask:0xf bank_mask:0xf
	v_add_u32_e32 v7, v5, v7
	v_add_u32_e32 v8, v6, v8
	s_and_saveexec_b64 s[6:7], s[4:5]
; %bb.143:
	v_cndmask_b32_e32 v9, v6, v8, vcc
	v_cndmask_b32_e32 v10, v5, v7, vcc
	v_lshlrev_b32_e32 v11, 3, v69
	ds_write_b64 v11, v[9:10]
; %bb.144:
	s_or_b64 exec, exec, s[6:7]
	v_cmp_gt_u32_e64 s[4:5], 4, v0
	s_waitcnt lgkmcnt(0)
	s_barrier
	s_and_saveexec_b64 s[6:7], s[4:5]
	s_cbranch_execz .LBB1599_146
; %bb.145:
	v_lshlrev_b32_e32 v11, 3, v0
	ds_read_b64 v[9:10], v11
	v_and_b32_e32 v12, 3, v68
	v_cmp_eq_u32_e64 s[4:5], 0, v12
	s_waitcnt lgkmcnt(0)
	v_mov_b32_dpp v25, v9 row_shr:1 row_mask:0xf bank_mask:0xf
	v_mov_b32_dpp v26, v10 row_shr:1 row_mask:0xf bank_mask:0xf
	v_add_u32_e32 v25, v25, v9
	v_add_u32_e32 v26, v26, v10
	v_cndmask_b32_e64 v10, v26, v10, s[4:5]
	v_cndmask_b32_e64 v9, v25, v9, s[4:5]
	v_cmp_lt_u32_e64 s[4:5], 1, v12
	v_mov_b32_dpp v26, v10 row_shr:2 row_mask:0xf bank_mask:0xf
	v_mov_b32_dpp v25, v9 row_shr:2 row_mask:0xf bank_mask:0xf
	v_cndmask_b32_e64 v12, 0, v25, s[4:5]
	v_cndmask_b32_e64 v25, 0, v26, s[4:5]
	v_add_u32_e32 v10, v25, v10
	v_add_u32_e32 v9, v12, v9
	ds_write_b64 v11, v[9:10]
.LBB1599_146:
	s_or_b64 exec, exec, s[6:7]
	v_cmp_lt_u32_e64 s[4:5], 63, v0
	v_mov_b32_e32 v11, 0
	v_mov_b32_e32 v9, 0
	;; [unrolled: 1-line block ×3, first 2 shown]
	s_waitcnt lgkmcnt(0)
	s_barrier
	s_and_saveexec_b64 s[6:7], s[4:5]
; %bb.147:
	v_lshl_add_u32 v9, v69, 3, -8
	ds_read_b64 v[9:10], v9
; %bb.148:
	s_or_b64 exec, exec, s[6:7]
	v_cndmask_b32_e32 v6, v6, v8, vcc
	v_cndmask_b32_e32 v5, v5, v7, vcc
	v_subrev_co_u32_e32 v7, vcc, 1, v68
	v_and_b32_e32 v8, 64, v68
	v_cmp_lt_i32_e64 s[4:5], v7, v8
	v_cndmask_b32_e64 v7, v7, v68, s[4:5]
	s_waitcnt lgkmcnt(0)
	v_add_u32_e32 v5, v10, v5
	v_add_u32_e32 v6, v9, v6
	v_lshlrev_b32_e32 v7, 2, v7
	ds_bpermute_b32 v12, v7, v6
	ds_bpermute_b32 v25, v7, v5
	ds_read_b64 v[5:6], v11 offset:24
	s_and_saveexec_b64 s[4:5], s[0:1]
	s_cbranch_execz .LBB1599_150
; %bb.149:
	s_add_u32 s6, s54, 0x400
	s_addc_u32 s7, s55, 0
	v_mov_b32_e32 v27, s7
	v_mov_b32_e32 v7, 2
	;; [unrolled: 1-line block ×4, first 2 shown]
	s_waitcnt lgkmcnt(0)
	;;#ASMSTART
	global_store_dwordx4 v[26:27], v[5:8] off	
s_waitcnt vmcnt(0)
	;;#ASMEND
.LBB1599_150:
	s_or_b64 exec, exec, s[4:5]
	s_waitcnt lgkmcnt(2)
	v_cndmask_b32_e32 v7, v12, v9, vcc
	s_waitcnt lgkmcnt(1)
	v_cndmask_b32_e32 v8, v25, v10, vcc
	v_cndmask_b32_e64 v12, v8, 0, s[0:1]
	v_cndmask_b32_e64 v25, v7, 0, s[0:1]
	v_mov_b32_e32 v8, 0
	v_mov_b32_e32 v7, 0
	s_waitcnt lgkmcnt(0)
	s_barrier
.LBB1599_151:
	s_waitcnt lgkmcnt(0)
	v_add_co_u32_e32 v1, vcc, v1, v7
	v_addc_co_u32_e32 v2, vcc, 0, v2, vcc
	v_sub_co_u32_e32 v29, vcc, v3, v5
	v_add_u32_e32 v32, v12, v54
	v_subbrev_co_u32_e32 v30, vcc, 0, v4, vcc
	v_lshlrev_b32_e32 v72, 1, v5
	v_sub_u32_e32 v12, v12, v8
	v_lshrrev_b32_e32 v28, 8, v42
	v_add_u32_e32 v31, v25, v53
	v_add_co_u32_e32 v29, vcc, v29, v8
	v_add_u32_e32 v73, v72, v6
	v_sub_u32_e32 v25, v25, v7
	v_add_u32_e32 v12, v12, v5
	v_addc_co_u32_e32 v30, vcc, 0, v30, vcc
	v_add_u32_e32 v35, v73, v35
	v_and_b32_e32 v28, 1, v28
	v_add_u32_e32 v74, v25, v12
	v_and_b32_e32 v73, 1, v36
	v_sub_u32_e32 v74, v35, v74
	v_cmp_eq_u32_e32 vcc, 1, v28
	v_cndmask_b32_e32 v12, v74, v12, vcc
	v_cmp_eq_u32_e32 vcc, 1, v73
	v_cndmask_b32_e32 v12, v12, v25, vcc
	v_lshlrev_b32_e32 v12, 2, v12
	v_sub_u32_e32 v25, v32, v8
	v_lshrrev_b32_e32 v27, 8, v36
	ds_write_b32 v12, v23
	v_sub_u32_e32 v12, v31, v7
	v_add_u32_e32 v25, v25, v5
	v_add_u32_e32 v50, v31, v50
	v_and_b32_e32 v23, 1, v27
	v_mov_b32_e32 v27, 1
	v_add_u32_e32 v31, v25, v12
	v_and_b32_sdwa v28, v27, v42 dst_sel:DWORD dst_unused:UNUSED_PAD src0_sel:DWORD src1_sel:WORD_1
	v_sub_u32_e32 v31, v35, v31
	v_add_u32_e32 v31, 1, v31
	v_cmp_eq_u32_e32 vcc, 1, v28
	v_cndmask_b32_e32 v25, v31, v25, vcc
	v_cmp_eq_u32_e32 vcc, 1, v23
	v_cndmask_b32_e32 v12, v25, v12, vcc
	v_add_u32_e32 v53, v32, v62
	v_lshlrev_b32_e32 v12, 2, v12
	ds_write_b32 v12, v24
	v_sub_u32_e32 v24, v53, v8
	v_sub_u32_e32 v12, v50, v7
	v_add_u32_e32 v24, v24, v5
	v_add_u32_e32 v28, v24, v12
	v_and_b32_e32 v25, 1, v49
	v_sub_u32_e32 v28, v35, v28
	v_and_b32_sdwa v23, v27, v36 dst_sel:DWORD dst_unused:UNUSED_PAD src0_sel:DWORD src1_sel:WORD_1
	v_add_u32_e32 v28, 2, v28
	v_cmp_eq_u32_e32 vcc, 1, v25
	v_cndmask_b32_e32 v24, v28, v24, vcc
	v_cmp_eq_u32_e32 vcc, 1, v23
	v_add_u32_e32 v54, v50, v55
	v_add_u32_e32 v55, v53, v49
	v_cndmask_b32_e32 v12, v24, v12, vcc
	v_lshlrev_b32_e32 v12, 2, v12
	v_sub_u32_e32 v23, v55, v8
	ds_write_b32 v12, v21
	v_sub_u32_e32 v12, v54, v7
	v_add_u32_e32 v23, v23, v5
	v_add_u32_e32 v25, v12, v23
	v_and_b32_e32 v24, 1, v37
	v_sub_u32_e32 v25, v35, v25
	v_and_b32_e32 v21, 1, v48
	v_add_u32_e32 v25, 3, v25
	v_cmp_eq_u32_e32 vcc, 1, v24
	v_cndmask_b32_e32 v23, v25, v23, vcc
	v_cmp_eq_u32_e32 vcc, 1, v21
	v_cndmask_b32_e32 v12, v23, v12, vcc
	v_add_u32_e32 v62, v55, v63
	v_lshlrev_b32_e32 v12, 2, v12
	v_add_u32_e32 v63, v54, v48
	ds_write_b32 v12, v22
	v_sub_u32_e32 v22, v62, v8
	v_sub_u32_e32 v12, v63, v7
	v_add_u32_e32 v22, v22, v5
	v_lshrrev_b32_e32 v26, 8, v37
	v_add_u32_e32 v24, v12, v22
	v_and_b32_e32 v23, 1, v26
	v_sub_u32_e32 v24, v35, v24
	v_and_b32_e32 v21, 1, v38
	v_add_u32_e32 v24, 4, v24
	v_cmp_eq_u32_e32 vcc, 1, v23
	v_cndmask_b32_e32 v22, v24, v22, vcc
	v_cmp_eq_u32_e32 vcc, 1, v21
	v_cndmask_b32_e32 v12, v22, v12, vcc
	v_add_u32_e32 v57, v62, v57
	v_lshlrev_b32_e32 v12, 2, v12
	v_add_u32_e32 v56, v63, v56
	ds_write_b32 v12, v19
	v_sub_u32_e32 v19, v57, v8
	v_sub_u32_e32 v12, v56, v7
	v_add_u32_e32 v19, v19, v5
	v_add_u32_e32 v22, v12, v19
	v_lshrrev_b32_e32 v11, 8, v38
	v_and_b32_sdwa v21, v27, v37 dst_sel:DWORD dst_unused:UNUSED_PAD src0_sel:DWORD src1_sel:WORD_1
	v_sub_u32_e32 v22, v35, v22
	v_and_b32_e32 v11, 1, v11
	v_add_u32_e32 v22, 5, v22
	v_cmp_eq_u32_e32 vcc, 1, v21
	v_cndmask_b32_e32 v19, v22, v19, vcc
	v_cmp_eq_u32_e32 vcc, 1, v11
	v_add_u32_e32 v64, v57, v64
	v_cndmask_b32_e32 v11, v19, v12, vcc
	v_add_u32_e32 v51, v56, v51
	v_lshlrev_b32_e32 v11, 2, v11
	v_sub_u32_e32 v19, v64, v8
	ds_write_b32 v11, v20
	v_sub_u32_e32 v11, v51, v7
	v_add_u32_e32 v19, v19, v5
	v_add_u32_e32 v21, v11, v19
	v_and_b32_e32 v20, 1, v47
	v_sub_u32_e32 v21, v35, v21
	v_and_b32_sdwa v12, v27, v38 dst_sel:DWORD dst_unused:UNUSED_PAD src0_sel:DWORD src1_sel:WORD_1
	v_add_u32_e32 v21, 6, v21
	v_cmp_eq_u32_e32 vcc, 1, v20
	v_cndmask_b32_e32 v19, v21, v19, vcc
	v_cmp_eq_u32_e32 vcc, 1, v12
	v_cndmask_b32_e32 v11, v19, v11, vcc
	v_add_u32_e32 v68, v64, v47
	v_lshlrev_b32_e32 v11, 2, v11
	v_add_u32_e32 v58, v51, v58
	ds_write_b32 v11, v17
	v_sub_u32_e32 v17, v68, v8
	v_sub_u32_e32 v11, v58, v7
	v_add_u32_e32 v17, v17, v5
	v_add_u32_e32 v20, v11, v17
	v_and_b32_e32 v19, 1, v39
	v_sub_u32_e32 v20, v35, v20
	v_and_b32_e32 v12, 1, v46
	v_add_u32_e32 v20, 7, v20
	v_cmp_eq_u32_e32 vcc, 1, v19
	v_cndmask_b32_e32 v17, v20, v17, vcc
	v_cmp_eq_u32_e32 vcc, 1, v12
	v_add_u32_e32 v65, v68, v65
	v_cndmask_b32_e32 v11, v17, v11, vcc
	v_add_u32_e32 v69, v58, v46
	v_lshlrev_b32_e32 v11, 2, v11
	v_sub_u32_e32 v17, v65, v8
	ds_write_b32 v11, v18
	v_sub_u32_e32 v11, v69, v7
	v_add_u32_e32 v17, v17, v5
	v_lshrrev_b32_e32 v10, 8, v39
	v_add_u32_e32 v18, v11, v17
	v_and_b32_e32 v10, 1, v10
	v_sub_u32_e32 v18, v35, v18
	v_and_b32_e32 v12, 1, v41
	v_add_u32_e32 v18, 8, v18
	v_cmp_eq_u32_e32 vcc, 1, v10
	v_cndmask_b32_e32 v10, v18, v17, vcc
	v_cmp_eq_u32_e32 vcc, 1, v12
	v_add_u32_e32 v60, v65, v60
	v_cndmask_b32_e32 v10, v10, v11, vcc
	v_add_u32_e32 v59, v69, v59
	v_lshlrev_b32_e32 v10, 2, v10
	v_sub_u32_e32 v11, v60, v8
	ds_write_b32 v10, v15
	v_sub_u32_e32 v10, v59, v7
	v_add_u32_e32 v11, v11, v5
	v_add_u32_e32 v15, v10, v11
	v_lshrrev_b32_e32 v9, 8, v41
	v_and_b32_sdwa v12, v27, v39 dst_sel:DWORD dst_unused:UNUSED_PAD src0_sel:DWORD src1_sel:WORD_1
	v_sub_u32_e32 v15, v35, v15
	v_and_b32_e32 v9, 1, v9
	v_add_u32_e32 v15, 9, v15
	v_cmp_eq_u32_e32 vcc, 1, v12
	v_cndmask_b32_e32 v11, v15, v11, vcc
	v_cmp_eq_u32_e32 vcc, 1, v9
	v_add_u32_e32 v66, v60, v66
	v_cndmask_b32_e32 v9, v11, v10, vcc
	v_add_u32_e32 v52, v59, v52
	v_lshlrev_b32_e32 v9, 2, v9
	v_sub_u32_e32 v11, v66, v8
	ds_write_b32 v9, v16
	v_sub_u32_e32 v9, v52, v7
	v_add_u32_e32 v11, v11, v5
	v_add_u32_e32 v15, v9, v11
	v_and_b32_e32 v12, 1, v45
	v_sub_u32_e32 v15, v35, v15
	v_and_b32_sdwa v10, v27, v41 dst_sel:DWORD dst_unused:UNUSED_PAD src0_sel:DWORD src1_sel:WORD_1
	v_add_u32_e32 v15, 10, v15
	v_cmp_eq_u32_e32 vcc, 1, v12
	v_cndmask_b32_e32 v11, v15, v11, vcc
	v_cmp_eq_u32_e32 vcc, 1, v10
	v_add_u32_e32 v70, v66, v45
	v_cndmask_b32_e32 v9, v11, v9, vcc
	v_add_u32_e32 v61, v52, v61
	v_lshlrev_b32_e32 v9, 2, v9
	v_sub_u32_e32 v11, v70, v8
	ds_write_b32 v9, v13
	v_sub_u32_e32 v9, v61, v7
	v_add_u32_e32 v11, v11, v5
	v_add_u32_e32 v13, v9, v11
	v_and_b32_e32 v12, 1, v40
	v_sub_u32_e32 v13, v35, v13
	v_add_u32_e32 v67, v70, v67
	v_and_b32_e32 v10, 1, v44
	v_add_u32_e32 v13, 11, v13
	v_cmp_eq_u32_e32 vcc, 1, v12
	v_add_u32_e32 v71, v61, v44
	v_cndmask_b32_e32 v11, v13, v11, vcc
	v_cmp_eq_u32_e32 vcc, 1, v10
	v_sub_u32_e32 v10, v67, v8
	v_sub_u32_e32 v7, v71, v7
	v_add_u32_e32 v10, v10, v5
	v_cndmask_b32_e32 v9, v11, v9, vcc
	v_add_u32_e32 v12, v7, v10
	v_lshlrev_b32_e32 v9, 2, v9
	v_and_b32_e32 v11, 1, v43
	v_sub_u32_e32 v12, v35, v12
	ds_write_b32 v9, v14
	v_and_b32_e32 v9, 1, v42
	v_add_u32_e32 v12, 12, v12
	v_cmp_eq_u32_e32 vcc, 1, v11
	v_cndmask_b32_e32 v10, v12, v10, vcc
	v_cmp_eq_u32_e32 vcc, 1, v9
	v_cndmask_b32_e32 v7, v10, v7, vcc
	v_lshlrev_b32_e32 v7, 2, v7
	ds_write_b32 v7, v34
	v_mov_b32_e32 v7, s53
	v_add_co_u32_e32 v9, vcc, s52, v33
	v_addc_co_u32_e32 v10, vcc, 0, v7, vcc
	v_add_co_u32_e32 v7, vcc, v6, v72
	v_addc_co_u32_e64 v11, s[4:5], 0, 0, vcc
	v_add_co_u32_e32 v7, vcc, v7, v29
	v_addc_co_u32_e32 v11, vcc, v11, v30, vcc
	v_add_co_u32_e32 v7, vcc, v7, v1
	v_addc_co_u32_e32 v11, vcc, v11, v2, vcc
	v_sub_co_u32_e32 v7, vcc, v9, v7
	v_subb_co_u32_e32 v13, vcc, v10, v11, vcc
	v_lshlrev_b64 v[9:10], 2, v[29:30]
	v_mov_b32_e32 v11, s51
	v_add_co_u32_e32 v9, vcc, s50, v9
	v_addc_co_u32_e32 v10, vcc, v11, v10, vcc
	v_lshlrev_b64 v[11:12], 2, v[1:2]
	v_mov_b32_e32 v15, s49
	v_add_co_u32_e32 v11, vcc, s48, v11
	v_addc_co_u32_e32 v12, vcc, v15, v12, vcc
	v_add_u32_e32 v14, v5, v6
	s_and_b64 vcc, exec, s[2:3]
	s_mov_b64 s[2:3], -1
	s_waitcnt lgkmcnt(0)
	s_barrier
	s_cbranch_vccz .LBB1599_155
; %bb.152:
	s_and_b64 vcc, exec, s[2:3]
	s_cbranch_vccnz .LBB1599_260
.LBB1599_153:
	s_and_b64 s[0:1], s[0:1], s[34:35]
	s_and_saveexec_b64 s[2:3], s[0:1]
	s_cbranch_execnz .LBB1599_378
.LBB1599_154:
	s_endpgm
.LBB1599_155:
	v_cmp_ge_u32_e32 vcc, v0, v5
	s_and_saveexec_b64 s[2:3], vcc
	s_xor_b64 s[2:3], exec, s[2:3]
	s_cbranch_execz .LBB1599_161
; %bb.156:
	v_cmp_ge_u32_e32 vcc, v0, v14
	s_and_saveexec_b64 s[4:5], vcc
	s_xor_b64 s[4:5], exec, s[4:5]
	s_cbranch_execz .LBB1599_158
; %bb.157:
	v_add_co_u32_e32 v15, vcc, v7, v0
	v_lshlrev_b32_e32 v17, 2, v0
	v_addc_co_u32_e32 v16, vcc, 0, v13, vcc
	ds_read_b32 v17, v17
	v_lshlrev_b64 v[15:16], 2, v[15:16]
	v_mov_b32_e32 v18, s31
	v_sub_co_u32_e32 v15, vcc, s30, v15
	v_subb_co_u32_e32 v16, vcc, v18, v16, vcc
	s_waitcnt lgkmcnt(0)
	global_store_dword v[15:16], v17, off offset:-4
.LBB1599_158:
	s_andn2_saveexec_b64 s[4:5], s[4:5]
	s_cbranch_execz .LBB1599_160
; %bb.159:
	v_lshlrev_b32_e32 v15, 2, v0
	ds_read_b32 v16, v15
	v_readfirstlane_b32 s6, v9
	v_readfirstlane_b32 s7, v10
	s_waitcnt lgkmcnt(0)
	s_nop 3
	global_store_dword v15, v16, s[6:7]
.LBB1599_160:
	s_or_b64 exec, exec, s[4:5]
.LBB1599_161:
	s_andn2_saveexec_b64 s[2:3], s[2:3]
	s_cbranch_execz .LBB1599_163
; %bb.162:
	v_lshlrev_b32_e32 v15, 2, v0
	ds_read_b32 v16, v15
	v_readfirstlane_b32 s4, v11
	v_readfirstlane_b32 s5, v12
	s_waitcnt lgkmcnt(0)
	s_nop 3
	global_store_dword v15, v16, s[4:5]
.LBB1599_163:
	s_or_b64 exec, exec, s[2:3]
	v_or_b32_e32 v15, 0x100, v0
	v_cmp_ge_u32_e32 vcc, v15, v5
	s_and_saveexec_b64 s[2:3], vcc
	s_xor_b64 s[2:3], exec, s[2:3]
	s_cbranch_execz .LBB1599_169
; %bb.164:
	v_cmp_ge_u32_e32 vcc, v15, v14
	s_and_saveexec_b64 s[4:5], vcc
	s_xor_b64 s[4:5], exec, s[4:5]
	s_cbranch_execz .LBB1599_166
; %bb.165:
	v_lshlrev_b32_e32 v15, 2, v0
	ds_read_b32 v17, v15 offset:1024
	v_add_co_u32_e32 v15, vcc, v7, v0
	v_addc_co_u32_e32 v16, vcc, 0, v13, vcc
	v_lshlrev_b64 v[15:16], 2, v[15:16]
	v_mov_b32_e32 v18, s31
	v_sub_co_u32_e32 v15, vcc, s30, v15
	v_subb_co_u32_e32 v16, vcc, v18, v16, vcc
	s_waitcnt lgkmcnt(0)
	global_store_dword v[15:16], v17, off offset:-1028
.LBB1599_166:
	s_andn2_saveexec_b64 s[4:5], s[4:5]
	s_cbranch_execz .LBB1599_168
; %bb.167:
	v_lshlrev_b32_e32 v15, 2, v0
	ds_read_b32 v16, v15 offset:1024
	v_readfirstlane_b32 s6, v9
	v_readfirstlane_b32 s7, v10
	s_waitcnt lgkmcnt(0)
	s_nop 3
	global_store_dword v15, v16, s[6:7] offset:1024
.LBB1599_168:
	s_or_b64 exec, exec, s[4:5]
.LBB1599_169:
	s_andn2_saveexec_b64 s[2:3], s[2:3]
	s_cbranch_execz .LBB1599_171
; %bb.170:
	v_lshlrev_b32_e32 v15, 2, v0
	ds_read_b32 v16, v15 offset:1024
	v_readfirstlane_b32 s4, v11
	v_readfirstlane_b32 s5, v12
	s_waitcnt lgkmcnt(0)
	s_nop 3
	global_store_dword v15, v16, s[4:5] offset:1024
.LBB1599_171:
	s_or_b64 exec, exec, s[2:3]
	v_or_b32_e32 v15, 0x200, v0
	v_cmp_ge_u32_e32 vcc, v15, v5
	s_and_saveexec_b64 s[2:3], vcc
	s_xor_b64 s[2:3], exec, s[2:3]
	s_cbranch_execz .LBB1599_177
; %bb.172:
	v_cmp_ge_u32_e32 vcc, v15, v14
	s_and_saveexec_b64 s[4:5], vcc
	s_xor_b64 s[4:5], exec, s[4:5]
	s_cbranch_execz .LBB1599_174
; %bb.173:
	v_lshlrev_b32_e32 v15, 2, v0
	ds_read_b32 v17, v15 offset:2048
	v_add_co_u32_e32 v15, vcc, v7, v0
	v_addc_co_u32_e32 v16, vcc, 0, v13, vcc
	v_lshlrev_b64 v[15:16], 2, v[15:16]
	v_mov_b32_e32 v18, s31
	v_sub_co_u32_e32 v15, vcc, s30, v15
	v_subb_co_u32_e32 v16, vcc, v18, v16, vcc
	s_waitcnt lgkmcnt(0)
	global_store_dword v[15:16], v17, off offset:-2052
.LBB1599_174:
	s_andn2_saveexec_b64 s[4:5], s[4:5]
	s_cbranch_execz .LBB1599_176
; %bb.175:
	v_lshlrev_b32_e32 v15, 2, v0
	ds_read_b32 v16, v15 offset:2048
	v_readfirstlane_b32 s6, v9
	v_readfirstlane_b32 s7, v10
	s_waitcnt lgkmcnt(0)
	s_nop 3
	global_store_dword v15, v16, s[6:7] offset:2048
.LBB1599_176:
	s_or_b64 exec, exec, s[4:5]
.LBB1599_177:
	s_andn2_saveexec_b64 s[2:3], s[2:3]
	s_cbranch_execz .LBB1599_179
; %bb.178:
	v_lshlrev_b32_e32 v15, 2, v0
	ds_read_b32 v16, v15 offset:2048
	v_readfirstlane_b32 s4, v11
	v_readfirstlane_b32 s5, v12
	s_waitcnt lgkmcnt(0)
	s_nop 3
	global_store_dword v15, v16, s[4:5] offset:2048
.LBB1599_179:
	;; [unrolled: 47-line block ×3, first 2 shown]
	s_or_b64 exec, exec, s[2:3]
	v_or_b32_e32 v15, 0x400, v0
	v_cmp_ge_u32_e32 vcc, v15, v5
	s_and_saveexec_b64 s[2:3], vcc
	s_xor_b64 s[2:3], exec, s[2:3]
	s_cbranch_execz .LBB1599_193
; %bb.188:
	v_cmp_ge_u32_e32 vcc, v15, v14
	s_and_saveexec_b64 s[4:5], vcc
	s_xor_b64 s[4:5], exec, s[4:5]
	s_cbranch_execz .LBB1599_190
; %bb.189:
	v_lshlrev_b32_e32 v15, 2, v0
	ds_read_b32 v17, v15 offset:4096
	v_add_co_u32_e32 v15, vcc, v7, v0
	v_addc_co_u32_e32 v16, vcc, 0, v13, vcc
	v_lshlrev_b64 v[15:16], 2, v[15:16]
	v_mov_b32_e32 v18, s31
	v_sub_co_u32_e32 v15, vcc, s30, v15
	v_subb_co_u32_e32 v16, vcc, v18, v16, vcc
	v_add_co_u32_e32 v15, vcc, 0xfffff000, v15
	v_addc_co_u32_e32 v16, vcc, -1, v16, vcc
	s_waitcnt lgkmcnt(0)
	global_store_dword v[15:16], v17, off offset:-4
                                        ; implicit-def: $vgpr15
.LBB1599_190:
	s_andn2_saveexec_b64 s[4:5], s[4:5]
	s_cbranch_execz .LBB1599_192
; %bb.191:
	v_lshlrev_b32_e32 v16, 2, v0
	ds_read_b32 v16, v16 offset:4096
	v_lshlrev_b32_e32 v15, 2, v15
	v_readfirstlane_b32 s6, v9
	v_readfirstlane_b32 s7, v10
	s_waitcnt lgkmcnt(0)
	s_nop 3
	global_store_dword v15, v16, s[6:7]
.LBB1599_192:
	s_or_b64 exec, exec, s[4:5]
                                        ; implicit-def: $vgpr15
.LBB1599_193:
	s_andn2_saveexec_b64 s[2:3], s[2:3]
	s_cbranch_execz .LBB1599_195
; %bb.194:
	v_lshlrev_b32_e32 v16, 2, v0
	ds_read_b32 v16, v16 offset:4096
	v_lshlrev_b32_e32 v15, 2, v15
	v_readfirstlane_b32 s4, v11
	v_readfirstlane_b32 s5, v12
	s_waitcnt lgkmcnt(0)
	s_nop 3
	global_store_dword v15, v16, s[4:5]
.LBB1599_195:
	s_or_b64 exec, exec, s[2:3]
	v_or_b32_e32 v15, 0x500, v0
	v_cmp_ge_u32_e32 vcc, v15, v5
	s_and_saveexec_b64 s[2:3], vcc
	s_xor_b64 s[2:3], exec, s[2:3]
	s_cbranch_execz .LBB1599_201
; %bb.196:
	v_cmp_ge_u32_e32 vcc, v15, v14
	s_and_saveexec_b64 s[4:5], vcc
	s_xor_b64 s[4:5], exec, s[4:5]
	s_cbranch_execz .LBB1599_198
; %bb.197:
	v_add_co_u32_e32 v15, vcc, v7, v15
	v_lshlrev_b32_e32 v17, 2, v0
	v_addc_co_u32_e32 v16, vcc, 0, v13, vcc
	ds_read_b32 v17, v17 offset:5120
	v_lshlrev_b64 v[15:16], 2, v[15:16]
	v_mov_b32_e32 v18, s31
	v_sub_co_u32_e32 v15, vcc, s30, v15
	v_subb_co_u32_e32 v16, vcc, v18, v16, vcc
	s_waitcnt lgkmcnt(0)
	global_store_dword v[15:16], v17, off offset:-4
                                        ; implicit-def: $vgpr15
.LBB1599_198:
	s_andn2_saveexec_b64 s[4:5], s[4:5]
	s_cbranch_execz .LBB1599_200
; %bb.199:
	v_lshlrev_b32_e32 v16, 2, v0
	ds_read_b32 v16, v16 offset:5120
	v_lshlrev_b32_e32 v15, 2, v15
	v_readfirstlane_b32 s6, v9
	v_readfirstlane_b32 s7, v10
	s_waitcnt lgkmcnt(0)
	s_nop 3
	global_store_dword v15, v16, s[6:7]
.LBB1599_200:
	s_or_b64 exec, exec, s[4:5]
                                        ; implicit-def: $vgpr15
.LBB1599_201:
	s_andn2_saveexec_b64 s[2:3], s[2:3]
	s_cbranch_execz .LBB1599_203
; %bb.202:
	v_lshlrev_b32_e32 v16, 2, v0
	ds_read_b32 v16, v16 offset:5120
	v_lshlrev_b32_e32 v15, 2, v15
	v_readfirstlane_b32 s4, v11
	v_readfirstlane_b32 s5, v12
	s_waitcnt lgkmcnt(0)
	s_nop 3
	global_store_dword v15, v16, s[4:5]
.LBB1599_203:
	s_or_b64 exec, exec, s[2:3]
	v_or_b32_e32 v15, 0x600, v0
	v_cmp_ge_u32_e32 vcc, v15, v5
	s_and_saveexec_b64 s[2:3], vcc
	s_xor_b64 s[2:3], exec, s[2:3]
	s_cbranch_execz .LBB1599_209
; %bb.204:
	v_cmp_ge_u32_e32 vcc, v15, v14
	s_and_saveexec_b64 s[4:5], vcc
	s_xor_b64 s[4:5], exec, s[4:5]
	s_cbranch_execz .LBB1599_206
; %bb.205:
	v_add_co_u32_e32 v15, vcc, v7, v15
	v_lshlrev_b32_e32 v17, 2, v0
	v_addc_co_u32_e32 v16, vcc, 0, v13, vcc
	ds_read_b32 v17, v17 offset:6144
	v_lshlrev_b64 v[15:16], 2, v[15:16]
	v_mov_b32_e32 v18, s31
	v_sub_co_u32_e32 v15, vcc, s30, v15
	v_subb_co_u32_e32 v16, vcc, v18, v16, vcc
	s_waitcnt lgkmcnt(0)
	global_store_dword v[15:16], v17, off offset:-4
                                        ; implicit-def: $vgpr15
.LBB1599_206:
	s_andn2_saveexec_b64 s[4:5], s[4:5]
	s_cbranch_execz .LBB1599_208
; %bb.207:
	v_lshlrev_b32_e32 v16, 2, v0
	ds_read_b32 v16, v16 offset:6144
	v_lshlrev_b32_e32 v15, 2, v15
	v_readfirstlane_b32 s6, v9
	v_readfirstlane_b32 s7, v10
	s_waitcnt lgkmcnt(0)
	s_nop 3
	global_store_dword v15, v16, s[6:7]
.LBB1599_208:
	s_or_b64 exec, exec, s[4:5]
                                        ; implicit-def: $vgpr15
.LBB1599_209:
	;; [unrolled: 51-line block ×8, first 2 shown]
	s_andn2_saveexec_b64 s[2:3], s[2:3]
	s_cbranch_execz .LBB1599_259
; %bb.258:
	v_lshlrev_b32_e32 v16, 2, v0
	ds_read_b32 v16, v16 offset:12288
	v_lshlrev_b32_e32 v15, 2, v15
	v_readfirstlane_b32 s4, v11
	v_readfirstlane_b32 s5, v12
	s_waitcnt lgkmcnt(0)
	s_nop 3
	global_store_dword v15, v16, s[4:5]
.LBB1599_259:
	s_or_b64 exec, exec, s[2:3]
	s_branch .LBB1599_153
.LBB1599_260:
	v_cmp_gt_u32_e32 vcc, s16, v0
	s_and_saveexec_b64 s[2:3], vcc
	s_cbranch_execz .LBB1599_269
; %bb.261:
	v_cmp_ge_u32_e32 vcc, v0, v5
	s_and_saveexec_b64 s[4:5], vcc
	s_xor_b64 s[4:5], exec, s[4:5]
	s_cbranch_execz .LBB1599_267
; %bb.262:
	v_cmp_ge_u32_e32 vcc, v0, v14
	s_and_saveexec_b64 s[6:7], vcc
	s_xor_b64 s[6:7], exec, s[6:7]
	s_cbranch_execz .LBB1599_264
; %bb.263:
	v_add_co_u32_e32 v15, vcc, v7, v0
	v_lshlrev_b32_e32 v17, 2, v0
	v_addc_co_u32_e32 v16, vcc, 0, v13, vcc
	ds_read_b32 v17, v17
	v_lshlrev_b64 v[15:16], 2, v[15:16]
	v_mov_b32_e32 v18, s31
	v_sub_co_u32_e32 v15, vcc, s30, v15
	v_subb_co_u32_e32 v16, vcc, v18, v16, vcc
	s_waitcnt lgkmcnt(0)
	global_store_dword v[15:16], v17, off offset:-4
.LBB1599_264:
	s_andn2_saveexec_b64 s[6:7], s[6:7]
	s_cbranch_execz .LBB1599_266
; %bb.265:
	v_lshlrev_b32_e32 v15, 2, v0
	ds_read_b32 v16, v15
	v_readfirstlane_b32 s8, v9
	v_readfirstlane_b32 s9, v10
	s_waitcnt lgkmcnt(0)
	s_nop 3
	global_store_dword v15, v16, s[8:9]
.LBB1599_266:
	s_or_b64 exec, exec, s[6:7]
.LBB1599_267:
	s_andn2_saveexec_b64 s[4:5], s[4:5]
	s_cbranch_execz .LBB1599_269
; %bb.268:
	v_lshlrev_b32_e32 v15, 2, v0
	ds_read_b32 v16, v15
	v_readfirstlane_b32 s4, v11
	v_readfirstlane_b32 s5, v12
	s_waitcnt lgkmcnt(0)
	s_nop 3
	global_store_dword v15, v16, s[4:5]
.LBB1599_269:
	s_or_b64 exec, exec, s[2:3]
	v_or_b32_e32 v15, 0x100, v0
	v_cmp_gt_u32_e32 vcc, s16, v15
	s_and_saveexec_b64 s[2:3], vcc
	s_cbranch_execz .LBB1599_278
; %bb.270:
	v_cmp_ge_u32_e32 vcc, v15, v5
	s_and_saveexec_b64 s[4:5], vcc
	s_xor_b64 s[4:5], exec, s[4:5]
	s_cbranch_execz .LBB1599_276
; %bb.271:
	v_cmp_ge_u32_e32 vcc, v15, v14
	s_and_saveexec_b64 s[6:7], vcc
	s_xor_b64 s[6:7], exec, s[6:7]
	s_cbranch_execz .LBB1599_273
; %bb.272:
	v_lshlrev_b32_e32 v15, 2, v0
	ds_read_b32 v17, v15 offset:1024
	v_add_co_u32_e32 v15, vcc, v7, v0
	v_addc_co_u32_e32 v16, vcc, 0, v13, vcc
	v_lshlrev_b64 v[15:16], 2, v[15:16]
	v_mov_b32_e32 v18, s31
	v_sub_co_u32_e32 v15, vcc, s30, v15
	v_subb_co_u32_e32 v16, vcc, v18, v16, vcc
	s_waitcnt lgkmcnt(0)
	global_store_dword v[15:16], v17, off offset:-1028
.LBB1599_273:
	s_andn2_saveexec_b64 s[6:7], s[6:7]
	s_cbranch_execz .LBB1599_275
; %bb.274:
	v_lshlrev_b32_e32 v15, 2, v0
	ds_read_b32 v16, v15 offset:1024
	v_readfirstlane_b32 s8, v9
	v_readfirstlane_b32 s9, v10
	s_waitcnt lgkmcnt(0)
	s_nop 3
	global_store_dword v15, v16, s[8:9] offset:1024
.LBB1599_275:
	s_or_b64 exec, exec, s[6:7]
.LBB1599_276:
	s_andn2_saveexec_b64 s[4:5], s[4:5]
	s_cbranch_execz .LBB1599_278
; %bb.277:
	v_lshlrev_b32_e32 v15, 2, v0
	ds_read_b32 v16, v15 offset:1024
	v_readfirstlane_b32 s4, v11
	v_readfirstlane_b32 s5, v12
	s_waitcnt lgkmcnt(0)
	s_nop 3
	global_store_dword v15, v16, s[4:5] offset:1024
.LBB1599_278:
	s_or_b64 exec, exec, s[2:3]
	v_or_b32_e32 v15, 0x200, v0
	v_cmp_gt_u32_e32 vcc, s16, v15
	s_and_saveexec_b64 s[2:3], vcc
	s_cbranch_execz .LBB1599_287
; %bb.279:
	v_cmp_ge_u32_e32 vcc, v15, v5
	s_and_saveexec_b64 s[4:5], vcc
	s_xor_b64 s[4:5], exec, s[4:5]
	s_cbranch_execz .LBB1599_285
; %bb.280:
	v_cmp_ge_u32_e32 vcc, v15, v14
	s_and_saveexec_b64 s[6:7], vcc
	s_xor_b64 s[6:7], exec, s[6:7]
	s_cbranch_execz .LBB1599_282
; %bb.281:
	v_lshlrev_b32_e32 v15, 2, v0
	ds_read_b32 v17, v15 offset:2048
	v_add_co_u32_e32 v15, vcc, v7, v0
	v_addc_co_u32_e32 v16, vcc, 0, v13, vcc
	v_lshlrev_b64 v[15:16], 2, v[15:16]
	v_mov_b32_e32 v18, s31
	v_sub_co_u32_e32 v15, vcc, s30, v15
	v_subb_co_u32_e32 v16, vcc, v18, v16, vcc
	s_waitcnt lgkmcnt(0)
	global_store_dword v[15:16], v17, off offset:-2052
.LBB1599_282:
	s_andn2_saveexec_b64 s[6:7], s[6:7]
	s_cbranch_execz .LBB1599_284
; %bb.283:
	v_lshlrev_b32_e32 v15, 2, v0
	ds_read_b32 v16, v15 offset:2048
	v_readfirstlane_b32 s8, v9
	v_readfirstlane_b32 s9, v10
	s_waitcnt lgkmcnt(0)
	s_nop 3
	global_store_dword v15, v16, s[8:9] offset:2048
.LBB1599_284:
	s_or_b64 exec, exec, s[6:7]
.LBB1599_285:
	s_andn2_saveexec_b64 s[4:5], s[4:5]
	s_cbranch_execz .LBB1599_287
; %bb.286:
	v_lshlrev_b32_e32 v15, 2, v0
	ds_read_b32 v16, v15 offset:2048
	v_readfirstlane_b32 s4, v11
	v_readfirstlane_b32 s5, v12
	s_waitcnt lgkmcnt(0)
	s_nop 3
	global_store_dword v15, v16, s[4:5] offset:2048
.LBB1599_287:
	;; [unrolled: 51-line block ×3, first 2 shown]
	s_or_b64 exec, exec, s[2:3]
	v_or_b32_e32 v15, 0x400, v0
	v_cmp_gt_u32_e32 vcc, s16, v15
	s_and_saveexec_b64 s[2:3], vcc
	s_cbranch_execz .LBB1599_305
; %bb.297:
	v_cmp_ge_u32_e32 vcc, v15, v5
	s_and_saveexec_b64 s[4:5], vcc
	s_xor_b64 s[4:5], exec, s[4:5]
	s_cbranch_execz .LBB1599_303
; %bb.298:
	v_cmp_ge_u32_e32 vcc, v15, v14
	s_and_saveexec_b64 s[6:7], vcc
	s_xor_b64 s[6:7], exec, s[6:7]
	s_cbranch_execz .LBB1599_300
; %bb.299:
	v_lshlrev_b32_e32 v15, 2, v0
	ds_read_b32 v17, v15 offset:4096
	v_add_co_u32_e32 v15, vcc, v7, v0
	v_addc_co_u32_e32 v16, vcc, 0, v13, vcc
	v_lshlrev_b64 v[15:16], 2, v[15:16]
	v_mov_b32_e32 v18, s31
	v_sub_co_u32_e32 v15, vcc, s30, v15
	v_subb_co_u32_e32 v16, vcc, v18, v16, vcc
	v_add_co_u32_e32 v15, vcc, 0xfffff000, v15
	v_addc_co_u32_e32 v16, vcc, -1, v16, vcc
	s_waitcnt lgkmcnt(0)
	global_store_dword v[15:16], v17, off offset:-4
                                        ; implicit-def: $vgpr15
.LBB1599_300:
	s_andn2_saveexec_b64 s[6:7], s[6:7]
	s_cbranch_execz .LBB1599_302
; %bb.301:
	v_lshlrev_b32_e32 v16, 2, v0
	ds_read_b32 v16, v16 offset:4096
	v_lshlrev_b32_e32 v15, 2, v15
	v_readfirstlane_b32 s8, v9
	v_readfirstlane_b32 s9, v10
	s_waitcnt lgkmcnt(0)
	s_nop 3
	global_store_dword v15, v16, s[8:9]
.LBB1599_302:
	s_or_b64 exec, exec, s[6:7]
                                        ; implicit-def: $vgpr15
.LBB1599_303:
	s_andn2_saveexec_b64 s[4:5], s[4:5]
	s_cbranch_execz .LBB1599_305
; %bb.304:
	v_lshlrev_b32_e32 v16, 2, v0
	ds_read_b32 v16, v16 offset:4096
	v_lshlrev_b32_e32 v15, 2, v15
	v_readfirstlane_b32 s4, v11
	v_readfirstlane_b32 s5, v12
	s_waitcnt lgkmcnt(0)
	s_nop 3
	global_store_dword v15, v16, s[4:5]
.LBB1599_305:
	s_or_b64 exec, exec, s[2:3]
	v_or_b32_e32 v15, 0x500, v0
	v_cmp_gt_u32_e32 vcc, s16, v15
	s_and_saveexec_b64 s[2:3], vcc
	s_cbranch_execz .LBB1599_314
; %bb.306:
	v_cmp_ge_u32_e32 vcc, v15, v5
	s_and_saveexec_b64 s[4:5], vcc
	s_xor_b64 s[4:5], exec, s[4:5]
	s_cbranch_execz .LBB1599_312
; %bb.307:
	v_cmp_ge_u32_e32 vcc, v15, v14
	s_and_saveexec_b64 s[6:7], vcc
	s_xor_b64 s[6:7], exec, s[6:7]
	s_cbranch_execz .LBB1599_309
; %bb.308:
	v_add_co_u32_e32 v15, vcc, v7, v15
	v_lshlrev_b32_e32 v17, 2, v0
	v_addc_co_u32_e32 v16, vcc, 0, v13, vcc
	ds_read_b32 v17, v17 offset:5120
	v_lshlrev_b64 v[15:16], 2, v[15:16]
	v_mov_b32_e32 v18, s31
	v_sub_co_u32_e32 v15, vcc, s30, v15
	v_subb_co_u32_e32 v16, vcc, v18, v16, vcc
	s_waitcnt lgkmcnt(0)
	global_store_dword v[15:16], v17, off offset:-4
                                        ; implicit-def: $vgpr15
.LBB1599_309:
	s_andn2_saveexec_b64 s[6:7], s[6:7]
	s_cbranch_execz .LBB1599_311
; %bb.310:
	v_lshlrev_b32_e32 v16, 2, v0
	ds_read_b32 v16, v16 offset:5120
	v_lshlrev_b32_e32 v15, 2, v15
	v_readfirstlane_b32 s8, v9
	v_readfirstlane_b32 s9, v10
	s_waitcnt lgkmcnt(0)
	s_nop 3
	global_store_dword v15, v16, s[8:9]
.LBB1599_311:
	s_or_b64 exec, exec, s[6:7]
                                        ; implicit-def: $vgpr15
.LBB1599_312:
	s_andn2_saveexec_b64 s[4:5], s[4:5]
	s_cbranch_execz .LBB1599_314
; %bb.313:
	v_lshlrev_b32_e32 v16, 2, v0
	ds_read_b32 v16, v16 offset:5120
	v_lshlrev_b32_e32 v15, 2, v15
	v_readfirstlane_b32 s4, v11
	v_readfirstlane_b32 s5, v12
	s_waitcnt lgkmcnt(0)
	s_nop 3
	global_store_dword v15, v16, s[4:5]
.LBB1599_314:
	s_or_b64 exec, exec, s[2:3]
	v_or_b32_e32 v15, 0x600, v0
	v_cmp_gt_u32_e32 vcc, s16, v15
	s_and_saveexec_b64 s[2:3], vcc
	s_cbranch_execz .LBB1599_323
; %bb.315:
	v_cmp_ge_u32_e32 vcc, v15, v5
	s_and_saveexec_b64 s[4:5], vcc
	s_xor_b64 s[4:5], exec, s[4:5]
	s_cbranch_execz .LBB1599_321
; %bb.316:
	v_cmp_ge_u32_e32 vcc, v15, v14
	s_and_saveexec_b64 s[6:7], vcc
	s_xor_b64 s[6:7], exec, s[6:7]
	s_cbranch_execz .LBB1599_318
; %bb.317:
	v_add_co_u32_e32 v15, vcc, v7, v15
	v_lshlrev_b32_e32 v17, 2, v0
	v_addc_co_u32_e32 v16, vcc, 0, v13, vcc
	ds_read_b32 v17, v17 offset:6144
	v_lshlrev_b64 v[15:16], 2, v[15:16]
	v_mov_b32_e32 v18, s31
	v_sub_co_u32_e32 v15, vcc, s30, v15
	v_subb_co_u32_e32 v16, vcc, v18, v16, vcc
	s_waitcnt lgkmcnt(0)
	global_store_dword v[15:16], v17, off offset:-4
                                        ; implicit-def: $vgpr15
.LBB1599_318:
	s_andn2_saveexec_b64 s[6:7], s[6:7]
	s_cbranch_execz .LBB1599_320
; %bb.319:
	v_lshlrev_b32_e32 v16, 2, v0
	ds_read_b32 v16, v16 offset:6144
	v_lshlrev_b32_e32 v15, 2, v15
	v_readfirstlane_b32 s8, v9
	v_readfirstlane_b32 s9, v10
	s_waitcnt lgkmcnt(0)
	s_nop 3
	global_store_dword v15, v16, s[8:9]
.LBB1599_320:
	s_or_b64 exec, exec, s[6:7]
                                        ; implicit-def: $vgpr15
.LBB1599_321:
	s_andn2_saveexec_b64 s[4:5], s[4:5]
	s_cbranch_execz .LBB1599_323
; %bb.322:
	v_lshlrev_b32_e32 v16, 2, v0
	ds_read_b32 v16, v16 offset:6144
	v_lshlrev_b32_e32 v15, 2, v15
	v_readfirstlane_b32 s4, v11
	v_readfirstlane_b32 s5, v12
	s_waitcnt lgkmcnt(0)
	s_nop 3
	global_store_dword v15, v16, s[4:5]
.LBB1599_323:
	;; [unrolled: 55-line block ×7, first 2 shown]
	s_or_b64 exec, exec, s[2:3]
	v_or_b32_e32 v15, 0xc00, v0
	v_cmp_gt_u32_e32 vcc, s16, v15
	s_and_saveexec_b64 s[2:3], vcc
	s_cbranch_execz .LBB1599_377
; %bb.369:
	v_cmp_ge_u32_e32 vcc, v15, v5
	s_and_saveexec_b64 s[4:5], vcc
	s_xor_b64 s[4:5], exec, s[4:5]
	s_cbranch_execz .LBB1599_375
; %bb.370:
	v_cmp_ge_u32_e32 vcc, v15, v14
	s_and_saveexec_b64 s[6:7], vcc
	s_xor_b64 s[6:7], exec, s[6:7]
	s_cbranch_execz .LBB1599_372
; %bb.371:
	v_add_co_u32_e32 v9, vcc, v7, v15
	v_lshlrev_b32_e32 v0, 2, v0
	v_addc_co_u32_e32 v10, vcc, 0, v13, vcc
	ds_read_b32 v0, v0 offset:12288
	v_lshlrev_b64 v[9:10], 2, v[9:10]
	v_mov_b32_e32 v7, s31
	v_sub_co_u32_e32 v9, vcc, s30, v9
	v_subb_co_u32_e32 v10, vcc, v7, v10, vcc
	s_waitcnt lgkmcnt(0)
	global_store_dword v[9:10], v0, off offset:-4
                                        ; implicit-def: $vgpr0
                                        ; implicit-def: $vgpr15
                                        ; implicit-def: $vgpr9_vgpr10
.LBB1599_372:
	s_andn2_saveexec_b64 s[6:7], s[6:7]
	s_cbranch_execz .LBB1599_374
; %bb.373:
	v_lshlrev_b32_e32 v0, 2, v0
	ds_read_b32 v0, v0 offset:12288
	v_lshlrev_b32_e32 v7, 2, v15
	v_readfirstlane_b32 s8, v9
	v_readfirstlane_b32 s9, v10
	s_waitcnt lgkmcnt(0)
	s_nop 3
	global_store_dword v7, v0, s[8:9]
.LBB1599_374:
	s_or_b64 exec, exec, s[6:7]
                                        ; implicit-def: $vgpr0
                                        ; implicit-def: $vgpr15
                                        ; implicit-def: $vgpr11_vgpr12
.LBB1599_375:
	s_andn2_saveexec_b64 s[4:5], s[4:5]
	s_cbranch_execz .LBB1599_377
; %bb.376:
	v_lshlrev_b32_e32 v0, 2, v0
	ds_read_b32 v0, v0 offset:12288
	v_lshlrev_b32_e32 v7, 2, v15
	v_readfirstlane_b32 s4, v11
	v_readfirstlane_b32 s5, v12
	s_waitcnt lgkmcnt(0)
	s_nop 3
	global_store_dword v7, v0, s[4:5]
.LBB1599_377:
	s_or_b64 exec, exec, s[2:3]
	s_and_b64 s[0:1], s[0:1], s[34:35]
	s_and_saveexec_b64 s[2:3], s[0:1]
	s_cbranch_execz .LBB1599_154
.LBB1599_378:
	v_add_co_u32_e32 v3, vcc, v3, v6
	v_addc_co_u32_e32 v4, vcc, 0, v4, vcc
	v_add_co_u32_e32 v3, vcc, v3, v8
	v_addc_co_u32_e32 v4, vcc, 0, v4, vcc
	v_add_co_u32_e32 v1, vcc, v1, v5
	v_mov_b32_e32 v0, 0
	v_addc_co_u32_e32 v2, vcc, 0, v2, vcc
	global_store_dwordx4 v0, v[1:4], s[44:45]
	s_endpgm
.LBB1599_379:
	s_add_i32 s14, s33, 64
	s_mov_b32 s15, 0
	s_lshl_b64 s[14:15], s[14:15], 4
	s_add_u32 s14, s54, s14
	s_addc_u32 s15, s55, s15
	v_mov_b32_e32 v28, s15
	v_add_u32_e32 v10, v8, v6
	v_add_u32_e32 v9, v7, v5
	v_mov_b32_e32 v11, 2
	v_mov_b32_e32 v12, 0
	;; [unrolled: 1-line block ×3, first 2 shown]
	;;#ASMSTART
	global_store_dwordx4 v[27:28], v[9:12] off	
s_waitcnt vmcnt(0)
	;;#ASMEND
	s_or_b64 exec, exec, s[12:13]
	s_and_saveexec_b64 s[12:13], s[8:9]
	s_cbranch_execz .LBB1599_139
.LBB1599_380:
	v_mov_b32_e32 v9, 0
	ds_write_b128 v9, v[5:8] offset:13312
	s_or_b64 exec, exec, s[12:13]
	s_and_b64 exec, exec, s[0:1]
	s_cbranch_execnz .LBB1599_140
	s_branch .LBB1599_141
	.section	.rodata,"a",@progbits
	.p2align	6, 0x0
	.amdhsa_kernel _ZN7rocprim17ROCPRIM_400000_NS6detail17trampoline_kernelINS0_13select_configILj256ELj13ELNS0_17block_load_methodE3ELS4_3ELS4_3ELNS0_20block_scan_algorithmE0ELj4294967295EEENS1_25partition_config_selectorILNS1_17partition_subalgoE4EjNS0_10empty_typeEbEEZZNS1_14partition_implILS8_4ELb0ES6_15HIP_vector_typeIjLj2EENS0_17counting_iteratorIjlEEPS9_SG_NS0_5tupleIJPjSI_NS0_16reverse_iteratorISI_EEEEENSH_IJSG_SG_SG_EEES9_SI_JZNS1_25segmented_radix_sort_implINS0_14default_configELb0EPKbPbPKlPlN2at6native12_GLOBAL__N_18offset_tEEE10hipError_tPvRmT1_PNSt15iterator_traitsIS12_E10value_typeET2_T3_PNS13_IS18_E10value_typeET4_jRbjT5_S1E_jjP12ihipStream_tbEUljE_ZNSN_ISO_Lb0ESQ_SR_ST_SU_SY_EESZ_S10_S11_S12_S16_S17_S18_S1B_S1C_jS1D_jS1E_S1E_jjS1G_bEUljE0_EEESZ_S10_S11_S18_S1C_S1E_T6_T7_T9_mT8_S1G_bDpT10_ENKUlT_T0_E_clISt17integral_constantIbLb0EES1T_IbLb1EEEEDaS1P_S1Q_EUlS1P_E_NS1_11comp_targetILNS1_3genE2ELNS1_11target_archE906ELNS1_3gpuE6ELNS1_3repE0EEENS1_30default_config_static_selectorELNS0_4arch9wavefront6targetE1EEEvS12_
		.amdhsa_group_segment_fixed_size 13328
		.amdhsa_private_segment_fixed_size 0
		.amdhsa_kernarg_size 184
		.amdhsa_user_sgpr_count 6
		.amdhsa_user_sgpr_private_segment_buffer 1
		.amdhsa_user_sgpr_dispatch_ptr 0
		.amdhsa_user_sgpr_queue_ptr 0
		.amdhsa_user_sgpr_kernarg_segment_ptr 1
		.amdhsa_user_sgpr_dispatch_id 0
		.amdhsa_user_sgpr_flat_scratch_init 0
		.amdhsa_user_sgpr_private_segment_size 0
		.amdhsa_uses_dynamic_stack 0
		.amdhsa_system_sgpr_private_segment_wavefront_offset 0
		.amdhsa_system_sgpr_workgroup_id_x 1
		.amdhsa_system_sgpr_workgroup_id_y 0
		.amdhsa_system_sgpr_workgroup_id_z 0
		.amdhsa_system_sgpr_workgroup_info 0
		.amdhsa_system_vgpr_workitem_id 0
		.amdhsa_next_free_vgpr 91
		.amdhsa_next_free_sgpr 98
		.amdhsa_reserve_vcc 1
		.amdhsa_reserve_flat_scratch 0
		.amdhsa_float_round_mode_32 0
		.amdhsa_float_round_mode_16_64 0
		.amdhsa_float_denorm_mode_32 3
		.amdhsa_float_denorm_mode_16_64 3
		.amdhsa_dx10_clamp 1
		.amdhsa_ieee_mode 1
		.amdhsa_fp16_overflow 0
		.amdhsa_exception_fp_ieee_invalid_op 0
		.amdhsa_exception_fp_denorm_src 0
		.amdhsa_exception_fp_ieee_div_zero 0
		.amdhsa_exception_fp_ieee_overflow 0
		.amdhsa_exception_fp_ieee_underflow 0
		.amdhsa_exception_fp_ieee_inexact 0
		.amdhsa_exception_int_div_zero 0
	.end_amdhsa_kernel
	.section	.text._ZN7rocprim17ROCPRIM_400000_NS6detail17trampoline_kernelINS0_13select_configILj256ELj13ELNS0_17block_load_methodE3ELS4_3ELS4_3ELNS0_20block_scan_algorithmE0ELj4294967295EEENS1_25partition_config_selectorILNS1_17partition_subalgoE4EjNS0_10empty_typeEbEEZZNS1_14partition_implILS8_4ELb0ES6_15HIP_vector_typeIjLj2EENS0_17counting_iteratorIjlEEPS9_SG_NS0_5tupleIJPjSI_NS0_16reverse_iteratorISI_EEEEENSH_IJSG_SG_SG_EEES9_SI_JZNS1_25segmented_radix_sort_implINS0_14default_configELb0EPKbPbPKlPlN2at6native12_GLOBAL__N_18offset_tEEE10hipError_tPvRmT1_PNSt15iterator_traitsIS12_E10value_typeET2_T3_PNS13_IS18_E10value_typeET4_jRbjT5_S1E_jjP12ihipStream_tbEUljE_ZNSN_ISO_Lb0ESQ_SR_ST_SU_SY_EESZ_S10_S11_S12_S16_S17_S18_S1B_S1C_jS1D_jS1E_S1E_jjS1G_bEUljE0_EEESZ_S10_S11_S18_S1C_S1E_T6_T7_T9_mT8_S1G_bDpT10_ENKUlT_T0_E_clISt17integral_constantIbLb0EES1T_IbLb1EEEEDaS1P_S1Q_EUlS1P_E_NS1_11comp_targetILNS1_3genE2ELNS1_11target_archE906ELNS1_3gpuE6ELNS1_3repE0EEENS1_30default_config_static_selectorELNS0_4arch9wavefront6targetE1EEEvS12_,"axG",@progbits,_ZN7rocprim17ROCPRIM_400000_NS6detail17trampoline_kernelINS0_13select_configILj256ELj13ELNS0_17block_load_methodE3ELS4_3ELS4_3ELNS0_20block_scan_algorithmE0ELj4294967295EEENS1_25partition_config_selectorILNS1_17partition_subalgoE4EjNS0_10empty_typeEbEEZZNS1_14partition_implILS8_4ELb0ES6_15HIP_vector_typeIjLj2EENS0_17counting_iteratorIjlEEPS9_SG_NS0_5tupleIJPjSI_NS0_16reverse_iteratorISI_EEEEENSH_IJSG_SG_SG_EEES9_SI_JZNS1_25segmented_radix_sort_implINS0_14default_configELb0EPKbPbPKlPlN2at6native12_GLOBAL__N_18offset_tEEE10hipError_tPvRmT1_PNSt15iterator_traitsIS12_E10value_typeET2_T3_PNS13_IS18_E10value_typeET4_jRbjT5_S1E_jjP12ihipStream_tbEUljE_ZNSN_ISO_Lb0ESQ_SR_ST_SU_SY_EESZ_S10_S11_S12_S16_S17_S18_S1B_S1C_jS1D_jS1E_S1E_jjS1G_bEUljE0_EEESZ_S10_S11_S18_S1C_S1E_T6_T7_T9_mT8_S1G_bDpT10_ENKUlT_T0_E_clISt17integral_constantIbLb0EES1T_IbLb1EEEEDaS1P_S1Q_EUlS1P_E_NS1_11comp_targetILNS1_3genE2ELNS1_11target_archE906ELNS1_3gpuE6ELNS1_3repE0EEENS1_30default_config_static_selectorELNS0_4arch9wavefront6targetE1EEEvS12_,comdat
.Lfunc_end1599:
	.size	_ZN7rocprim17ROCPRIM_400000_NS6detail17trampoline_kernelINS0_13select_configILj256ELj13ELNS0_17block_load_methodE3ELS4_3ELS4_3ELNS0_20block_scan_algorithmE0ELj4294967295EEENS1_25partition_config_selectorILNS1_17partition_subalgoE4EjNS0_10empty_typeEbEEZZNS1_14partition_implILS8_4ELb0ES6_15HIP_vector_typeIjLj2EENS0_17counting_iteratorIjlEEPS9_SG_NS0_5tupleIJPjSI_NS0_16reverse_iteratorISI_EEEEENSH_IJSG_SG_SG_EEES9_SI_JZNS1_25segmented_radix_sort_implINS0_14default_configELb0EPKbPbPKlPlN2at6native12_GLOBAL__N_18offset_tEEE10hipError_tPvRmT1_PNSt15iterator_traitsIS12_E10value_typeET2_T3_PNS13_IS18_E10value_typeET4_jRbjT5_S1E_jjP12ihipStream_tbEUljE_ZNSN_ISO_Lb0ESQ_SR_ST_SU_SY_EESZ_S10_S11_S12_S16_S17_S18_S1B_S1C_jS1D_jS1E_S1E_jjS1G_bEUljE0_EEESZ_S10_S11_S18_S1C_S1E_T6_T7_T9_mT8_S1G_bDpT10_ENKUlT_T0_E_clISt17integral_constantIbLb0EES1T_IbLb1EEEEDaS1P_S1Q_EUlS1P_E_NS1_11comp_targetILNS1_3genE2ELNS1_11target_archE906ELNS1_3gpuE6ELNS1_3repE0EEENS1_30default_config_static_selectorELNS0_4arch9wavefront6targetE1EEEvS12_, .Lfunc_end1599-_ZN7rocprim17ROCPRIM_400000_NS6detail17trampoline_kernelINS0_13select_configILj256ELj13ELNS0_17block_load_methodE3ELS4_3ELS4_3ELNS0_20block_scan_algorithmE0ELj4294967295EEENS1_25partition_config_selectorILNS1_17partition_subalgoE4EjNS0_10empty_typeEbEEZZNS1_14partition_implILS8_4ELb0ES6_15HIP_vector_typeIjLj2EENS0_17counting_iteratorIjlEEPS9_SG_NS0_5tupleIJPjSI_NS0_16reverse_iteratorISI_EEEEENSH_IJSG_SG_SG_EEES9_SI_JZNS1_25segmented_radix_sort_implINS0_14default_configELb0EPKbPbPKlPlN2at6native12_GLOBAL__N_18offset_tEEE10hipError_tPvRmT1_PNSt15iterator_traitsIS12_E10value_typeET2_T3_PNS13_IS18_E10value_typeET4_jRbjT5_S1E_jjP12ihipStream_tbEUljE_ZNSN_ISO_Lb0ESQ_SR_ST_SU_SY_EESZ_S10_S11_S12_S16_S17_S18_S1B_S1C_jS1D_jS1E_S1E_jjS1G_bEUljE0_EEESZ_S10_S11_S18_S1C_S1E_T6_T7_T9_mT8_S1G_bDpT10_ENKUlT_T0_E_clISt17integral_constantIbLb0EES1T_IbLb1EEEEDaS1P_S1Q_EUlS1P_E_NS1_11comp_targetILNS1_3genE2ELNS1_11target_archE906ELNS1_3gpuE6ELNS1_3repE0EEENS1_30default_config_static_selectorELNS0_4arch9wavefront6targetE1EEEvS12_
                                        ; -- End function
	.set _ZN7rocprim17ROCPRIM_400000_NS6detail17trampoline_kernelINS0_13select_configILj256ELj13ELNS0_17block_load_methodE3ELS4_3ELS4_3ELNS0_20block_scan_algorithmE0ELj4294967295EEENS1_25partition_config_selectorILNS1_17partition_subalgoE4EjNS0_10empty_typeEbEEZZNS1_14partition_implILS8_4ELb0ES6_15HIP_vector_typeIjLj2EENS0_17counting_iteratorIjlEEPS9_SG_NS0_5tupleIJPjSI_NS0_16reverse_iteratorISI_EEEEENSH_IJSG_SG_SG_EEES9_SI_JZNS1_25segmented_radix_sort_implINS0_14default_configELb0EPKbPbPKlPlN2at6native12_GLOBAL__N_18offset_tEEE10hipError_tPvRmT1_PNSt15iterator_traitsIS12_E10value_typeET2_T3_PNS13_IS18_E10value_typeET4_jRbjT5_S1E_jjP12ihipStream_tbEUljE_ZNSN_ISO_Lb0ESQ_SR_ST_SU_SY_EESZ_S10_S11_S12_S16_S17_S18_S1B_S1C_jS1D_jS1E_S1E_jjS1G_bEUljE0_EEESZ_S10_S11_S18_S1C_S1E_T6_T7_T9_mT8_S1G_bDpT10_ENKUlT_T0_E_clISt17integral_constantIbLb0EES1T_IbLb1EEEEDaS1P_S1Q_EUlS1P_E_NS1_11comp_targetILNS1_3genE2ELNS1_11target_archE906ELNS1_3gpuE6ELNS1_3repE0EEENS1_30default_config_static_selectorELNS0_4arch9wavefront6targetE1EEEvS12_.num_vgpr, 91
	.set _ZN7rocprim17ROCPRIM_400000_NS6detail17trampoline_kernelINS0_13select_configILj256ELj13ELNS0_17block_load_methodE3ELS4_3ELS4_3ELNS0_20block_scan_algorithmE0ELj4294967295EEENS1_25partition_config_selectorILNS1_17partition_subalgoE4EjNS0_10empty_typeEbEEZZNS1_14partition_implILS8_4ELb0ES6_15HIP_vector_typeIjLj2EENS0_17counting_iteratorIjlEEPS9_SG_NS0_5tupleIJPjSI_NS0_16reverse_iteratorISI_EEEEENSH_IJSG_SG_SG_EEES9_SI_JZNS1_25segmented_radix_sort_implINS0_14default_configELb0EPKbPbPKlPlN2at6native12_GLOBAL__N_18offset_tEEE10hipError_tPvRmT1_PNSt15iterator_traitsIS12_E10value_typeET2_T3_PNS13_IS18_E10value_typeET4_jRbjT5_S1E_jjP12ihipStream_tbEUljE_ZNSN_ISO_Lb0ESQ_SR_ST_SU_SY_EESZ_S10_S11_S12_S16_S17_S18_S1B_S1C_jS1D_jS1E_S1E_jjS1G_bEUljE0_EEESZ_S10_S11_S18_S1C_S1E_T6_T7_T9_mT8_S1G_bDpT10_ENKUlT_T0_E_clISt17integral_constantIbLb0EES1T_IbLb1EEEEDaS1P_S1Q_EUlS1P_E_NS1_11comp_targetILNS1_3genE2ELNS1_11target_archE906ELNS1_3gpuE6ELNS1_3repE0EEENS1_30default_config_static_selectorELNS0_4arch9wavefront6targetE1EEEvS12_.num_agpr, 0
	.set _ZN7rocprim17ROCPRIM_400000_NS6detail17trampoline_kernelINS0_13select_configILj256ELj13ELNS0_17block_load_methodE3ELS4_3ELS4_3ELNS0_20block_scan_algorithmE0ELj4294967295EEENS1_25partition_config_selectorILNS1_17partition_subalgoE4EjNS0_10empty_typeEbEEZZNS1_14partition_implILS8_4ELb0ES6_15HIP_vector_typeIjLj2EENS0_17counting_iteratorIjlEEPS9_SG_NS0_5tupleIJPjSI_NS0_16reverse_iteratorISI_EEEEENSH_IJSG_SG_SG_EEES9_SI_JZNS1_25segmented_radix_sort_implINS0_14default_configELb0EPKbPbPKlPlN2at6native12_GLOBAL__N_18offset_tEEE10hipError_tPvRmT1_PNSt15iterator_traitsIS12_E10value_typeET2_T3_PNS13_IS18_E10value_typeET4_jRbjT5_S1E_jjP12ihipStream_tbEUljE_ZNSN_ISO_Lb0ESQ_SR_ST_SU_SY_EESZ_S10_S11_S12_S16_S17_S18_S1B_S1C_jS1D_jS1E_S1E_jjS1G_bEUljE0_EEESZ_S10_S11_S18_S1C_S1E_T6_T7_T9_mT8_S1G_bDpT10_ENKUlT_T0_E_clISt17integral_constantIbLb0EES1T_IbLb1EEEEDaS1P_S1Q_EUlS1P_E_NS1_11comp_targetILNS1_3genE2ELNS1_11target_archE906ELNS1_3gpuE6ELNS1_3repE0EEENS1_30default_config_static_selectorELNS0_4arch9wavefront6targetE1EEEvS12_.numbered_sgpr, 87
	.set _ZN7rocprim17ROCPRIM_400000_NS6detail17trampoline_kernelINS0_13select_configILj256ELj13ELNS0_17block_load_methodE3ELS4_3ELS4_3ELNS0_20block_scan_algorithmE0ELj4294967295EEENS1_25partition_config_selectorILNS1_17partition_subalgoE4EjNS0_10empty_typeEbEEZZNS1_14partition_implILS8_4ELb0ES6_15HIP_vector_typeIjLj2EENS0_17counting_iteratorIjlEEPS9_SG_NS0_5tupleIJPjSI_NS0_16reverse_iteratorISI_EEEEENSH_IJSG_SG_SG_EEES9_SI_JZNS1_25segmented_radix_sort_implINS0_14default_configELb0EPKbPbPKlPlN2at6native12_GLOBAL__N_18offset_tEEE10hipError_tPvRmT1_PNSt15iterator_traitsIS12_E10value_typeET2_T3_PNS13_IS18_E10value_typeET4_jRbjT5_S1E_jjP12ihipStream_tbEUljE_ZNSN_ISO_Lb0ESQ_SR_ST_SU_SY_EESZ_S10_S11_S12_S16_S17_S18_S1B_S1C_jS1D_jS1E_S1E_jjS1G_bEUljE0_EEESZ_S10_S11_S18_S1C_S1E_T6_T7_T9_mT8_S1G_bDpT10_ENKUlT_T0_E_clISt17integral_constantIbLb0EES1T_IbLb1EEEEDaS1P_S1Q_EUlS1P_E_NS1_11comp_targetILNS1_3genE2ELNS1_11target_archE906ELNS1_3gpuE6ELNS1_3repE0EEENS1_30default_config_static_selectorELNS0_4arch9wavefront6targetE1EEEvS12_.num_named_barrier, 0
	.set _ZN7rocprim17ROCPRIM_400000_NS6detail17trampoline_kernelINS0_13select_configILj256ELj13ELNS0_17block_load_methodE3ELS4_3ELS4_3ELNS0_20block_scan_algorithmE0ELj4294967295EEENS1_25partition_config_selectorILNS1_17partition_subalgoE4EjNS0_10empty_typeEbEEZZNS1_14partition_implILS8_4ELb0ES6_15HIP_vector_typeIjLj2EENS0_17counting_iteratorIjlEEPS9_SG_NS0_5tupleIJPjSI_NS0_16reverse_iteratorISI_EEEEENSH_IJSG_SG_SG_EEES9_SI_JZNS1_25segmented_radix_sort_implINS0_14default_configELb0EPKbPbPKlPlN2at6native12_GLOBAL__N_18offset_tEEE10hipError_tPvRmT1_PNSt15iterator_traitsIS12_E10value_typeET2_T3_PNS13_IS18_E10value_typeET4_jRbjT5_S1E_jjP12ihipStream_tbEUljE_ZNSN_ISO_Lb0ESQ_SR_ST_SU_SY_EESZ_S10_S11_S12_S16_S17_S18_S1B_S1C_jS1D_jS1E_S1E_jjS1G_bEUljE0_EEESZ_S10_S11_S18_S1C_S1E_T6_T7_T9_mT8_S1G_bDpT10_ENKUlT_T0_E_clISt17integral_constantIbLb0EES1T_IbLb1EEEEDaS1P_S1Q_EUlS1P_E_NS1_11comp_targetILNS1_3genE2ELNS1_11target_archE906ELNS1_3gpuE6ELNS1_3repE0EEENS1_30default_config_static_selectorELNS0_4arch9wavefront6targetE1EEEvS12_.private_seg_size, 0
	.set _ZN7rocprim17ROCPRIM_400000_NS6detail17trampoline_kernelINS0_13select_configILj256ELj13ELNS0_17block_load_methodE3ELS4_3ELS4_3ELNS0_20block_scan_algorithmE0ELj4294967295EEENS1_25partition_config_selectorILNS1_17partition_subalgoE4EjNS0_10empty_typeEbEEZZNS1_14partition_implILS8_4ELb0ES6_15HIP_vector_typeIjLj2EENS0_17counting_iteratorIjlEEPS9_SG_NS0_5tupleIJPjSI_NS0_16reverse_iteratorISI_EEEEENSH_IJSG_SG_SG_EEES9_SI_JZNS1_25segmented_radix_sort_implINS0_14default_configELb0EPKbPbPKlPlN2at6native12_GLOBAL__N_18offset_tEEE10hipError_tPvRmT1_PNSt15iterator_traitsIS12_E10value_typeET2_T3_PNS13_IS18_E10value_typeET4_jRbjT5_S1E_jjP12ihipStream_tbEUljE_ZNSN_ISO_Lb0ESQ_SR_ST_SU_SY_EESZ_S10_S11_S12_S16_S17_S18_S1B_S1C_jS1D_jS1E_S1E_jjS1G_bEUljE0_EEESZ_S10_S11_S18_S1C_S1E_T6_T7_T9_mT8_S1G_bDpT10_ENKUlT_T0_E_clISt17integral_constantIbLb0EES1T_IbLb1EEEEDaS1P_S1Q_EUlS1P_E_NS1_11comp_targetILNS1_3genE2ELNS1_11target_archE906ELNS1_3gpuE6ELNS1_3repE0EEENS1_30default_config_static_selectorELNS0_4arch9wavefront6targetE1EEEvS12_.uses_vcc, 1
	.set _ZN7rocprim17ROCPRIM_400000_NS6detail17trampoline_kernelINS0_13select_configILj256ELj13ELNS0_17block_load_methodE3ELS4_3ELS4_3ELNS0_20block_scan_algorithmE0ELj4294967295EEENS1_25partition_config_selectorILNS1_17partition_subalgoE4EjNS0_10empty_typeEbEEZZNS1_14partition_implILS8_4ELb0ES6_15HIP_vector_typeIjLj2EENS0_17counting_iteratorIjlEEPS9_SG_NS0_5tupleIJPjSI_NS0_16reverse_iteratorISI_EEEEENSH_IJSG_SG_SG_EEES9_SI_JZNS1_25segmented_radix_sort_implINS0_14default_configELb0EPKbPbPKlPlN2at6native12_GLOBAL__N_18offset_tEEE10hipError_tPvRmT1_PNSt15iterator_traitsIS12_E10value_typeET2_T3_PNS13_IS18_E10value_typeET4_jRbjT5_S1E_jjP12ihipStream_tbEUljE_ZNSN_ISO_Lb0ESQ_SR_ST_SU_SY_EESZ_S10_S11_S12_S16_S17_S18_S1B_S1C_jS1D_jS1E_S1E_jjS1G_bEUljE0_EEESZ_S10_S11_S18_S1C_S1E_T6_T7_T9_mT8_S1G_bDpT10_ENKUlT_T0_E_clISt17integral_constantIbLb0EES1T_IbLb1EEEEDaS1P_S1Q_EUlS1P_E_NS1_11comp_targetILNS1_3genE2ELNS1_11target_archE906ELNS1_3gpuE6ELNS1_3repE0EEENS1_30default_config_static_selectorELNS0_4arch9wavefront6targetE1EEEvS12_.uses_flat_scratch, 0
	.set _ZN7rocprim17ROCPRIM_400000_NS6detail17trampoline_kernelINS0_13select_configILj256ELj13ELNS0_17block_load_methodE3ELS4_3ELS4_3ELNS0_20block_scan_algorithmE0ELj4294967295EEENS1_25partition_config_selectorILNS1_17partition_subalgoE4EjNS0_10empty_typeEbEEZZNS1_14partition_implILS8_4ELb0ES6_15HIP_vector_typeIjLj2EENS0_17counting_iteratorIjlEEPS9_SG_NS0_5tupleIJPjSI_NS0_16reverse_iteratorISI_EEEEENSH_IJSG_SG_SG_EEES9_SI_JZNS1_25segmented_radix_sort_implINS0_14default_configELb0EPKbPbPKlPlN2at6native12_GLOBAL__N_18offset_tEEE10hipError_tPvRmT1_PNSt15iterator_traitsIS12_E10value_typeET2_T3_PNS13_IS18_E10value_typeET4_jRbjT5_S1E_jjP12ihipStream_tbEUljE_ZNSN_ISO_Lb0ESQ_SR_ST_SU_SY_EESZ_S10_S11_S12_S16_S17_S18_S1B_S1C_jS1D_jS1E_S1E_jjS1G_bEUljE0_EEESZ_S10_S11_S18_S1C_S1E_T6_T7_T9_mT8_S1G_bDpT10_ENKUlT_T0_E_clISt17integral_constantIbLb0EES1T_IbLb1EEEEDaS1P_S1Q_EUlS1P_E_NS1_11comp_targetILNS1_3genE2ELNS1_11target_archE906ELNS1_3gpuE6ELNS1_3repE0EEENS1_30default_config_static_selectorELNS0_4arch9wavefront6targetE1EEEvS12_.has_dyn_sized_stack, 0
	.set _ZN7rocprim17ROCPRIM_400000_NS6detail17trampoline_kernelINS0_13select_configILj256ELj13ELNS0_17block_load_methodE3ELS4_3ELS4_3ELNS0_20block_scan_algorithmE0ELj4294967295EEENS1_25partition_config_selectorILNS1_17partition_subalgoE4EjNS0_10empty_typeEbEEZZNS1_14partition_implILS8_4ELb0ES6_15HIP_vector_typeIjLj2EENS0_17counting_iteratorIjlEEPS9_SG_NS0_5tupleIJPjSI_NS0_16reverse_iteratorISI_EEEEENSH_IJSG_SG_SG_EEES9_SI_JZNS1_25segmented_radix_sort_implINS0_14default_configELb0EPKbPbPKlPlN2at6native12_GLOBAL__N_18offset_tEEE10hipError_tPvRmT1_PNSt15iterator_traitsIS12_E10value_typeET2_T3_PNS13_IS18_E10value_typeET4_jRbjT5_S1E_jjP12ihipStream_tbEUljE_ZNSN_ISO_Lb0ESQ_SR_ST_SU_SY_EESZ_S10_S11_S12_S16_S17_S18_S1B_S1C_jS1D_jS1E_S1E_jjS1G_bEUljE0_EEESZ_S10_S11_S18_S1C_S1E_T6_T7_T9_mT8_S1G_bDpT10_ENKUlT_T0_E_clISt17integral_constantIbLb0EES1T_IbLb1EEEEDaS1P_S1Q_EUlS1P_E_NS1_11comp_targetILNS1_3genE2ELNS1_11target_archE906ELNS1_3gpuE6ELNS1_3repE0EEENS1_30default_config_static_selectorELNS0_4arch9wavefront6targetE1EEEvS12_.has_recursion, 0
	.set _ZN7rocprim17ROCPRIM_400000_NS6detail17trampoline_kernelINS0_13select_configILj256ELj13ELNS0_17block_load_methodE3ELS4_3ELS4_3ELNS0_20block_scan_algorithmE0ELj4294967295EEENS1_25partition_config_selectorILNS1_17partition_subalgoE4EjNS0_10empty_typeEbEEZZNS1_14partition_implILS8_4ELb0ES6_15HIP_vector_typeIjLj2EENS0_17counting_iteratorIjlEEPS9_SG_NS0_5tupleIJPjSI_NS0_16reverse_iteratorISI_EEEEENSH_IJSG_SG_SG_EEES9_SI_JZNS1_25segmented_radix_sort_implINS0_14default_configELb0EPKbPbPKlPlN2at6native12_GLOBAL__N_18offset_tEEE10hipError_tPvRmT1_PNSt15iterator_traitsIS12_E10value_typeET2_T3_PNS13_IS18_E10value_typeET4_jRbjT5_S1E_jjP12ihipStream_tbEUljE_ZNSN_ISO_Lb0ESQ_SR_ST_SU_SY_EESZ_S10_S11_S12_S16_S17_S18_S1B_S1C_jS1D_jS1E_S1E_jjS1G_bEUljE0_EEESZ_S10_S11_S18_S1C_S1E_T6_T7_T9_mT8_S1G_bDpT10_ENKUlT_T0_E_clISt17integral_constantIbLb0EES1T_IbLb1EEEEDaS1P_S1Q_EUlS1P_E_NS1_11comp_targetILNS1_3genE2ELNS1_11target_archE906ELNS1_3gpuE6ELNS1_3repE0EEENS1_30default_config_static_selectorELNS0_4arch9wavefront6targetE1EEEvS12_.has_indirect_call, 0
	.section	.AMDGPU.csdata,"",@progbits
; Kernel info:
; codeLenInByte = 15580
; TotalNumSgprs: 91
; NumVgprs: 91
; ScratchSize: 0
; MemoryBound: 0
; FloatMode: 240
; IeeeMode: 1
; LDSByteSize: 13328 bytes/workgroup (compile time only)
; SGPRBlocks: 12
; VGPRBlocks: 22
; NumSGPRsForWavesPerEU: 102
; NumVGPRsForWavesPerEU: 91
; Occupancy: 2
; WaveLimiterHint : 1
; COMPUTE_PGM_RSRC2:SCRATCH_EN: 0
; COMPUTE_PGM_RSRC2:USER_SGPR: 6
; COMPUTE_PGM_RSRC2:TRAP_HANDLER: 0
; COMPUTE_PGM_RSRC2:TGID_X_EN: 1
; COMPUTE_PGM_RSRC2:TGID_Y_EN: 0
; COMPUTE_PGM_RSRC2:TGID_Z_EN: 0
; COMPUTE_PGM_RSRC2:TIDIG_COMP_CNT: 0
	.section	.text._ZN7rocprim17ROCPRIM_400000_NS6detail17trampoline_kernelINS0_13select_configILj256ELj13ELNS0_17block_load_methodE3ELS4_3ELS4_3ELNS0_20block_scan_algorithmE0ELj4294967295EEENS1_25partition_config_selectorILNS1_17partition_subalgoE4EjNS0_10empty_typeEbEEZZNS1_14partition_implILS8_4ELb0ES6_15HIP_vector_typeIjLj2EENS0_17counting_iteratorIjlEEPS9_SG_NS0_5tupleIJPjSI_NS0_16reverse_iteratorISI_EEEEENSH_IJSG_SG_SG_EEES9_SI_JZNS1_25segmented_radix_sort_implINS0_14default_configELb0EPKbPbPKlPlN2at6native12_GLOBAL__N_18offset_tEEE10hipError_tPvRmT1_PNSt15iterator_traitsIS12_E10value_typeET2_T3_PNS13_IS18_E10value_typeET4_jRbjT5_S1E_jjP12ihipStream_tbEUljE_ZNSN_ISO_Lb0ESQ_SR_ST_SU_SY_EESZ_S10_S11_S12_S16_S17_S18_S1B_S1C_jS1D_jS1E_S1E_jjS1G_bEUljE0_EEESZ_S10_S11_S18_S1C_S1E_T6_T7_T9_mT8_S1G_bDpT10_ENKUlT_T0_E_clISt17integral_constantIbLb0EES1T_IbLb1EEEEDaS1P_S1Q_EUlS1P_E_NS1_11comp_targetILNS1_3genE10ELNS1_11target_archE1200ELNS1_3gpuE4ELNS1_3repE0EEENS1_30default_config_static_selectorELNS0_4arch9wavefront6targetE1EEEvS12_,"axG",@progbits,_ZN7rocprim17ROCPRIM_400000_NS6detail17trampoline_kernelINS0_13select_configILj256ELj13ELNS0_17block_load_methodE3ELS4_3ELS4_3ELNS0_20block_scan_algorithmE0ELj4294967295EEENS1_25partition_config_selectorILNS1_17partition_subalgoE4EjNS0_10empty_typeEbEEZZNS1_14partition_implILS8_4ELb0ES6_15HIP_vector_typeIjLj2EENS0_17counting_iteratorIjlEEPS9_SG_NS0_5tupleIJPjSI_NS0_16reverse_iteratorISI_EEEEENSH_IJSG_SG_SG_EEES9_SI_JZNS1_25segmented_radix_sort_implINS0_14default_configELb0EPKbPbPKlPlN2at6native12_GLOBAL__N_18offset_tEEE10hipError_tPvRmT1_PNSt15iterator_traitsIS12_E10value_typeET2_T3_PNS13_IS18_E10value_typeET4_jRbjT5_S1E_jjP12ihipStream_tbEUljE_ZNSN_ISO_Lb0ESQ_SR_ST_SU_SY_EESZ_S10_S11_S12_S16_S17_S18_S1B_S1C_jS1D_jS1E_S1E_jjS1G_bEUljE0_EEESZ_S10_S11_S18_S1C_S1E_T6_T7_T9_mT8_S1G_bDpT10_ENKUlT_T0_E_clISt17integral_constantIbLb0EES1T_IbLb1EEEEDaS1P_S1Q_EUlS1P_E_NS1_11comp_targetILNS1_3genE10ELNS1_11target_archE1200ELNS1_3gpuE4ELNS1_3repE0EEENS1_30default_config_static_selectorELNS0_4arch9wavefront6targetE1EEEvS12_,comdat
	.globl	_ZN7rocprim17ROCPRIM_400000_NS6detail17trampoline_kernelINS0_13select_configILj256ELj13ELNS0_17block_load_methodE3ELS4_3ELS4_3ELNS0_20block_scan_algorithmE0ELj4294967295EEENS1_25partition_config_selectorILNS1_17partition_subalgoE4EjNS0_10empty_typeEbEEZZNS1_14partition_implILS8_4ELb0ES6_15HIP_vector_typeIjLj2EENS0_17counting_iteratorIjlEEPS9_SG_NS0_5tupleIJPjSI_NS0_16reverse_iteratorISI_EEEEENSH_IJSG_SG_SG_EEES9_SI_JZNS1_25segmented_radix_sort_implINS0_14default_configELb0EPKbPbPKlPlN2at6native12_GLOBAL__N_18offset_tEEE10hipError_tPvRmT1_PNSt15iterator_traitsIS12_E10value_typeET2_T3_PNS13_IS18_E10value_typeET4_jRbjT5_S1E_jjP12ihipStream_tbEUljE_ZNSN_ISO_Lb0ESQ_SR_ST_SU_SY_EESZ_S10_S11_S12_S16_S17_S18_S1B_S1C_jS1D_jS1E_S1E_jjS1G_bEUljE0_EEESZ_S10_S11_S18_S1C_S1E_T6_T7_T9_mT8_S1G_bDpT10_ENKUlT_T0_E_clISt17integral_constantIbLb0EES1T_IbLb1EEEEDaS1P_S1Q_EUlS1P_E_NS1_11comp_targetILNS1_3genE10ELNS1_11target_archE1200ELNS1_3gpuE4ELNS1_3repE0EEENS1_30default_config_static_selectorELNS0_4arch9wavefront6targetE1EEEvS12_ ; -- Begin function _ZN7rocprim17ROCPRIM_400000_NS6detail17trampoline_kernelINS0_13select_configILj256ELj13ELNS0_17block_load_methodE3ELS4_3ELS4_3ELNS0_20block_scan_algorithmE0ELj4294967295EEENS1_25partition_config_selectorILNS1_17partition_subalgoE4EjNS0_10empty_typeEbEEZZNS1_14partition_implILS8_4ELb0ES6_15HIP_vector_typeIjLj2EENS0_17counting_iteratorIjlEEPS9_SG_NS0_5tupleIJPjSI_NS0_16reverse_iteratorISI_EEEEENSH_IJSG_SG_SG_EEES9_SI_JZNS1_25segmented_radix_sort_implINS0_14default_configELb0EPKbPbPKlPlN2at6native12_GLOBAL__N_18offset_tEEE10hipError_tPvRmT1_PNSt15iterator_traitsIS12_E10value_typeET2_T3_PNS13_IS18_E10value_typeET4_jRbjT5_S1E_jjP12ihipStream_tbEUljE_ZNSN_ISO_Lb0ESQ_SR_ST_SU_SY_EESZ_S10_S11_S12_S16_S17_S18_S1B_S1C_jS1D_jS1E_S1E_jjS1G_bEUljE0_EEESZ_S10_S11_S18_S1C_S1E_T6_T7_T9_mT8_S1G_bDpT10_ENKUlT_T0_E_clISt17integral_constantIbLb0EES1T_IbLb1EEEEDaS1P_S1Q_EUlS1P_E_NS1_11comp_targetILNS1_3genE10ELNS1_11target_archE1200ELNS1_3gpuE4ELNS1_3repE0EEENS1_30default_config_static_selectorELNS0_4arch9wavefront6targetE1EEEvS12_
	.p2align	8
	.type	_ZN7rocprim17ROCPRIM_400000_NS6detail17trampoline_kernelINS0_13select_configILj256ELj13ELNS0_17block_load_methodE3ELS4_3ELS4_3ELNS0_20block_scan_algorithmE0ELj4294967295EEENS1_25partition_config_selectorILNS1_17partition_subalgoE4EjNS0_10empty_typeEbEEZZNS1_14partition_implILS8_4ELb0ES6_15HIP_vector_typeIjLj2EENS0_17counting_iteratorIjlEEPS9_SG_NS0_5tupleIJPjSI_NS0_16reverse_iteratorISI_EEEEENSH_IJSG_SG_SG_EEES9_SI_JZNS1_25segmented_radix_sort_implINS0_14default_configELb0EPKbPbPKlPlN2at6native12_GLOBAL__N_18offset_tEEE10hipError_tPvRmT1_PNSt15iterator_traitsIS12_E10value_typeET2_T3_PNS13_IS18_E10value_typeET4_jRbjT5_S1E_jjP12ihipStream_tbEUljE_ZNSN_ISO_Lb0ESQ_SR_ST_SU_SY_EESZ_S10_S11_S12_S16_S17_S18_S1B_S1C_jS1D_jS1E_S1E_jjS1G_bEUljE0_EEESZ_S10_S11_S18_S1C_S1E_T6_T7_T9_mT8_S1G_bDpT10_ENKUlT_T0_E_clISt17integral_constantIbLb0EES1T_IbLb1EEEEDaS1P_S1Q_EUlS1P_E_NS1_11comp_targetILNS1_3genE10ELNS1_11target_archE1200ELNS1_3gpuE4ELNS1_3repE0EEENS1_30default_config_static_selectorELNS0_4arch9wavefront6targetE1EEEvS12_,@function
_ZN7rocprim17ROCPRIM_400000_NS6detail17trampoline_kernelINS0_13select_configILj256ELj13ELNS0_17block_load_methodE3ELS4_3ELS4_3ELNS0_20block_scan_algorithmE0ELj4294967295EEENS1_25partition_config_selectorILNS1_17partition_subalgoE4EjNS0_10empty_typeEbEEZZNS1_14partition_implILS8_4ELb0ES6_15HIP_vector_typeIjLj2EENS0_17counting_iteratorIjlEEPS9_SG_NS0_5tupleIJPjSI_NS0_16reverse_iteratorISI_EEEEENSH_IJSG_SG_SG_EEES9_SI_JZNS1_25segmented_radix_sort_implINS0_14default_configELb0EPKbPbPKlPlN2at6native12_GLOBAL__N_18offset_tEEE10hipError_tPvRmT1_PNSt15iterator_traitsIS12_E10value_typeET2_T3_PNS13_IS18_E10value_typeET4_jRbjT5_S1E_jjP12ihipStream_tbEUljE_ZNSN_ISO_Lb0ESQ_SR_ST_SU_SY_EESZ_S10_S11_S12_S16_S17_S18_S1B_S1C_jS1D_jS1E_S1E_jjS1G_bEUljE0_EEESZ_S10_S11_S18_S1C_S1E_T6_T7_T9_mT8_S1G_bDpT10_ENKUlT_T0_E_clISt17integral_constantIbLb0EES1T_IbLb1EEEEDaS1P_S1Q_EUlS1P_E_NS1_11comp_targetILNS1_3genE10ELNS1_11target_archE1200ELNS1_3gpuE4ELNS1_3repE0EEENS1_30default_config_static_selectorELNS0_4arch9wavefront6targetE1EEEvS12_: ; @_ZN7rocprim17ROCPRIM_400000_NS6detail17trampoline_kernelINS0_13select_configILj256ELj13ELNS0_17block_load_methodE3ELS4_3ELS4_3ELNS0_20block_scan_algorithmE0ELj4294967295EEENS1_25partition_config_selectorILNS1_17partition_subalgoE4EjNS0_10empty_typeEbEEZZNS1_14partition_implILS8_4ELb0ES6_15HIP_vector_typeIjLj2EENS0_17counting_iteratorIjlEEPS9_SG_NS0_5tupleIJPjSI_NS0_16reverse_iteratorISI_EEEEENSH_IJSG_SG_SG_EEES9_SI_JZNS1_25segmented_radix_sort_implINS0_14default_configELb0EPKbPbPKlPlN2at6native12_GLOBAL__N_18offset_tEEE10hipError_tPvRmT1_PNSt15iterator_traitsIS12_E10value_typeET2_T3_PNS13_IS18_E10value_typeET4_jRbjT5_S1E_jjP12ihipStream_tbEUljE_ZNSN_ISO_Lb0ESQ_SR_ST_SU_SY_EESZ_S10_S11_S12_S16_S17_S18_S1B_S1C_jS1D_jS1E_S1E_jjS1G_bEUljE0_EEESZ_S10_S11_S18_S1C_S1E_T6_T7_T9_mT8_S1G_bDpT10_ENKUlT_T0_E_clISt17integral_constantIbLb0EES1T_IbLb1EEEEDaS1P_S1Q_EUlS1P_E_NS1_11comp_targetILNS1_3genE10ELNS1_11target_archE1200ELNS1_3gpuE4ELNS1_3repE0EEENS1_30default_config_static_selectorELNS0_4arch9wavefront6targetE1EEEvS12_
; %bb.0:
	.section	.rodata,"a",@progbits
	.p2align	6, 0x0
	.amdhsa_kernel _ZN7rocprim17ROCPRIM_400000_NS6detail17trampoline_kernelINS0_13select_configILj256ELj13ELNS0_17block_load_methodE3ELS4_3ELS4_3ELNS0_20block_scan_algorithmE0ELj4294967295EEENS1_25partition_config_selectorILNS1_17partition_subalgoE4EjNS0_10empty_typeEbEEZZNS1_14partition_implILS8_4ELb0ES6_15HIP_vector_typeIjLj2EENS0_17counting_iteratorIjlEEPS9_SG_NS0_5tupleIJPjSI_NS0_16reverse_iteratorISI_EEEEENSH_IJSG_SG_SG_EEES9_SI_JZNS1_25segmented_radix_sort_implINS0_14default_configELb0EPKbPbPKlPlN2at6native12_GLOBAL__N_18offset_tEEE10hipError_tPvRmT1_PNSt15iterator_traitsIS12_E10value_typeET2_T3_PNS13_IS18_E10value_typeET4_jRbjT5_S1E_jjP12ihipStream_tbEUljE_ZNSN_ISO_Lb0ESQ_SR_ST_SU_SY_EESZ_S10_S11_S12_S16_S17_S18_S1B_S1C_jS1D_jS1E_S1E_jjS1G_bEUljE0_EEESZ_S10_S11_S18_S1C_S1E_T6_T7_T9_mT8_S1G_bDpT10_ENKUlT_T0_E_clISt17integral_constantIbLb0EES1T_IbLb1EEEEDaS1P_S1Q_EUlS1P_E_NS1_11comp_targetILNS1_3genE10ELNS1_11target_archE1200ELNS1_3gpuE4ELNS1_3repE0EEENS1_30default_config_static_selectorELNS0_4arch9wavefront6targetE1EEEvS12_
		.amdhsa_group_segment_fixed_size 0
		.amdhsa_private_segment_fixed_size 0
		.amdhsa_kernarg_size 184
		.amdhsa_user_sgpr_count 6
		.amdhsa_user_sgpr_private_segment_buffer 1
		.amdhsa_user_sgpr_dispatch_ptr 0
		.amdhsa_user_sgpr_queue_ptr 0
		.amdhsa_user_sgpr_kernarg_segment_ptr 1
		.amdhsa_user_sgpr_dispatch_id 0
		.amdhsa_user_sgpr_flat_scratch_init 0
		.amdhsa_user_sgpr_private_segment_size 0
		.amdhsa_uses_dynamic_stack 0
		.amdhsa_system_sgpr_private_segment_wavefront_offset 0
		.amdhsa_system_sgpr_workgroup_id_x 1
		.amdhsa_system_sgpr_workgroup_id_y 0
		.amdhsa_system_sgpr_workgroup_id_z 0
		.amdhsa_system_sgpr_workgroup_info 0
		.amdhsa_system_vgpr_workitem_id 0
		.amdhsa_next_free_vgpr 1
		.amdhsa_next_free_sgpr 0
		.amdhsa_reserve_vcc 0
		.amdhsa_reserve_flat_scratch 0
		.amdhsa_float_round_mode_32 0
		.amdhsa_float_round_mode_16_64 0
		.amdhsa_float_denorm_mode_32 3
		.amdhsa_float_denorm_mode_16_64 3
		.amdhsa_dx10_clamp 1
		.amdhsa_ieee_mode 1
		.amdhsa_fp16_overflow 0
		.amdhsa_exception_fp_ieee_invalid_op 0
		.amdhsa_exception_fp_denorm_src 0
		.amdhsa_exception_fp_ieee_div_zero 0
		.amdhsa_exception_fp_ieee_overflow 0
		.amdhsa_exception_fp_ieee_underflow 0
		.amdhsa_exception_fp_ieee_inexact 0
		.amdhsa_exception_int_div_zero 0
	.end_amdhsa_kernel
	.section	.text._ZN7rocprim17ROCPRIM_400000_NS6detail17trampoline_kernelINS0_13select_configILj256ELj13ELNS0_17block_load_methodE3ELS4_3ELS4_3ELNS0_20block_scan_algorithmE0ELj4294967295EEENS1_25partition_config_selectorILNS1_17partition_subalgoE4EjNS0_10empty_typeEbEEZZNS1_14partition_implILS8_4ELb0ES6_15HIP_vector_typeIjLj2EENS0_17counting_iteratorIjlEEPS9_SG_NS0_5tupleIJPjSI_NS0_16reverse_iteratorISI_EEEEENSH_IJSG_SG_SG_EEES9_SI_JZNS1_25segmented_radix_sort_implINS0_14default_configELb0EPKbPbPKlPlN2at6native12_GLOBAL__N_18offset_tEEE10hipError_tPvRmT1_PNSt15iterator_traitsIS12_E10value_typeET2_T3_PNS13_IS18_E10value_typeET4_jRbjT5_S1E_jjP12ihipStream_tbEUljE_ZNSN_ISO_Lb0ESQ_SR_ST_SU_SY_EESZ_S10_S11_S12_S16_S17_S18_S1B_S1C_jS1D_jS1E_S1E_jjS1G_bEUljE0_EEESZ_S10_S11_S18_S1C_S1E_T6_T7_T9_mT8_S1G_bDpT10_ENKUlT_T0_E_clISt17integral_constantIbLb0EES1T_IbLb1EEEEDaS1P_S1Q_EUlS1P_E_NS1_11comp_targetILNS1_3genE10ELNS1_11target_archE1200ELNS1_3gpuE4ELNS1_3repE0EEENS1_30default_config_static_selectorELNS0_4arch9wavefront6targetE1EEEvS12_,"axG",@progbits,_ZN7rocprim17ROCPRIM_400000_NS6detail17trampoline_kernelINS0_13select_configILj256ELj13ELNS0_17block_load_methodE3ELS4_3ELS4_3ELNS0_20block_scan_algorithmE0ELj4294967295EEENS1_25partition_config_selectorILNS1_17partition_subalgoE4EjNS0_10empty_typeEbEEZZNS1_14partition_implILS8_4ELb0ES6_15HIP_vector_typeIjLj2EENS0_17counting_iteratorIjlEEPS9_SG_NS0_5tupleIJPjSI_NS0_16reverse_iteratorISI_EEEEENSH_IJSG_SG_SG_EEES9_SI_JZNS1_25segmented_radix_sort_implINS0_14default_configELb0EPKbPbPKlPlN2at6native12_GLOBAL__N_18offset_tEEE10hipError_tPvRmT1_PNSt15iterator_traitsIS12_E10value_typeET2_T3_PNS13_IS18_E10value_typeET4_jRbjT5_S1E_jjP12ihipStream_tbEUljE_ZNSN_ISO_Lb0ESQ_SR_ST_SU_SY_EESZ_S10_S11_S12_S16_S17_S18_S1B_S1C_jS1D_jS1E_S1E_jjS1G_bEUljE0_EEESZ_S10_S11_S18_S1C_S1E_T6_T7_T9_mT8_S1G_bDpT10_ENKUlT_T0_E_clISt17integral_constantIbLb0EES1T_IbLb1EEEEDaS1P_S1Q_EUlS1P_E_NS1_11comp_targetILNS1_3genE10ELNS1_11target_archE1200ELNS1_3gpuE4ELNS1_3repE0EEENS1_30default_config_static_selectorELNS0_4arch9wavefront6targetE1EEEvS12_,comdat
.Lfunc_end1600:
	.size	_ZN7rocprim17ROCPRIM_400000_NS6detail17trampoline_kernelINS0_13select_configILj256ELj13ELNS0_17block_load_methodE3ELS4_3ELS4_3ELNS0_20block_scan_algorithmE0ELj4294967295EEENS1_25partition_config_selectorILNS1_17partition_subalgoE4EjNS0_10empty_typeEbEEZZNS1_14partition_implILS8_4ELb0ES6_15HIP_vector_typeIjLj2EENS0_17counting_iteratorIjlEEPS9_SG_NS0_5tupleIJPjSI_NS0_16reverse_iteratorISI_EEEEENSH_IJSG_SG_SG_EEES9_SI_JZNS1_25segmented_radix_sort_implINS0_14default_configELb0EPKbPbPKlPlN2at6native12_GLOBAL__N_18offset_tEEE10hipError_tPvRmT1_PNSt15iterator_traitsIS12_E10value_typeET2_T3_PNS13_IS18_E10value_typeET4_jRbjT5_S1E_jjP12ihipStream_tbEUljE_ZNSN_ISO_Lb0ESQ_SR_ST_SU_SY_EESZ_S10_S11_S12_S16_S17_S18_S1B_S1C_jS1D_jS1E_S1E_jjS1G_bEUljE0_EEESZ_S10_S11_S18_S1C_S1E_T6_T7_T9_mT8_S1G_bDpT10_ENKUlT_T0_E_clISt17integral_constantIbLb0EES1T_IbLb1EEEEDaS1P_S1Q_EUlS1P_E_NS1_11comp_targetILNS1_3genE10ELNS1_11target_archE1200ELNS1_3gpuE4ELNS1_3repE0EEENS1_30default_config_static_selectorELNS0_4arch9wavefront6targetE1EEEvS12_, .Lfunc_end1600-_ZN7rocprim17ROCPRIM_400000_NS6detail17trampoline_kernelINS0_13select_configILj256ELj13ELNS0_17block_load_methodE3ELS4_3ELS4_3ELNS0_20block_scan_algorithmE0ELj4294967295EEENS1_25partition_config_selectorILNS1_17partition_subalgoE4EjNS0_10empty_typeEbEEZZNS1_14partition_implILS8_4ELb0ES6_15HIP_vector_typeIjLj2EENS0_17counting_iteratorIjlEEPS9_SG_NS0_5tupleIJPjSI_NS0_16reverse_iteratorISI_EEEEENSH_IJSG_SG_SG_EEES9_SI_JZNS1_25segmented_radix_sort_implINS0_14default_configELb0EPKbPbPKlPlN2at6native12_GLOBAL__N_18offset_tEEE10hipError_tPvRmT1_PNSt15iterator_traitsIS12_E10value_typeET2_T3_PNS13_IS18_E10value_typeET4_jRbjT5_S1E_jjP12ihipStream_tbEUljE_ZNSN_ISO_Lb0ESQ_SR_ST_SU_SY_EESZ_S10_S11_S12_S16_S17_S18_S1B_S1C_jS1D_jS1E_S1E_jjS1G_bEUljE0_EEESZ_S10_S11_S18_S1C_S1E_T6_T7_T9_mT8_S1G_bDpT10_ENKUlT_T0_E_clISt17integral_constantIbLb0EES1T_IbLb1EEEEDaS1P_S1Q_EUlS1P_E_NS1_11comp_targetILNS1_3genE10ELNS1_11target_archE1200ELNS1_3gpuE4ELNS1_3repE0EEENS1_30default_config_static_selectorELNS0_4arch9wavefront6targetE1EEEvS12_
                                        ; -- End function
	.set _ZN7rocprim17ROCPRIM_400000_NS6detail17trampoline_kernelINS0_13select_configILj256ELj13ELNS0_17block_load_methodE3ELS4_3ELS4_3ELNS0_20block_scan_algorithmE0ELj4294967295EEENS1_25partition_config_selectorILNS1_17partition_subalgoE4EjNS0_10empty_typeEbEEZZNS1_14partition_implILS8_4ELb0ES6_15HIP_vector_typeIjLj2EENS0_17counting_iteratorIjlEEPS9_SG_NS0_5tupleIJPjSI_NS0_16reverse_iteratorISI_EEEEENSH_IJSG_SG_SG_EEES9_SI_JZNS1_25segmented_radix_sort_implINS0_14default_configELb0EPKbPbPKlPlN2at6native12_GLOBAL__N_18offset_tEEE10hipError_tPvRmT1_PNSt15iterator_traitsIS12_E10value_typeET2_T3_PNS13_IS18_E10value_typeET4_jRbjT5_S1E_jjP12ihipStream_tbEUljE_ZNSN_ISO_Lb0ESQ_SR_ST_SU_SY_EESZ_S10_S11_S12_S16_S17_S18_S1B_S1C_jS1D_jS1E_S1E_jjS1G_bEUljE0_EEESZ_S10_S11_S18_S1C_S1E_T6_T7_T9_mT8_S1G_bDpT10_ENKUlT_T0_E_clISt17integral_constantIbLb0EES1T_IbLb1EEEEDaS1P_S1Q_EUlS1P_E_NS1_11comp_targetILNS1_3genE10ELNS1_11target_archE1200ELNS1_3gpuE4ELNS1_3repE0EEENS1_30default_config_static_selectorELNS0_4arch9wavefront6targetE1EEEvS12_.num_vgpr, 0
	.set _ZN7rocprim17ROCPRIM_400000_NS6detail17trampoline_kernelINS0_13select_configILj256ELj13ELNS0_17block_load_methodE3ELS4_3ELS4_3ELNS0_20block_scan_algorithmE0ELj4294967295EEENS1_25partition_config_selectorILNS1_17partition_subalgoE4EjNS0_10empty_typeEbEEZZNS1_14partition_implILS8_4ELb0ES6_15HIP_vector_typeIjLj2EENS0_17counting_iteratorIjlEEPS9_SG_NS0_5tupleIJPjSI_NS0_16reverse_iteratorISI_EEEEENSH_IJSG_SG_SG_EEES9_SI_JZNS1_25segmented_radix_sort_implINS0_14default_configELb0EPKbPbPKlPlN2at6native12_GLOBAL__N_18offset_tEEE10hipError_tPvRmT1_PNSt15iterator_traitsIS12_E10value_typeET2_T3_PNS13_IS18_E10value_typeET4_jRbjT5_S1E_jjP12ihipStream_tbEUljE_ZNSN_ISO_Lb0ESQ_SR_ST_SU_SY_EESZ_S10_S11_S12_S16_S17_S18_S1B_S1C_jS1D_jS1E_S1E_jjS1G_bEUljE0_EEESZ_S10_S11_S18_S1C_S1E_T6_T7_T9_mT8_S1G_bDpT10_ENKUlT_T0_E_clISt17integral_constantIbLb0EES1T_IbLb1EEEEDaS1P_S1Q_EUlS1P_E_NS1_11comp_targetILNS1_3genE10ELNS1_11target_archE1200ELNS1_3gpuE4ELNS1_3repE0EEENS1_30default_config_static_selectorELNS0_4arch9wavefront6targetE1EEEvS12_.num_agpr, 0
	.set _ZN7rocprim17ROCPRIM_400000_NS6detail17trampoline_kernelINS0_13select_configILj256ELj13ELNS0_17block_load_methodE3ELS4_3ELS4_3ELNS0_20block_scan_algorithmE0ELj4294967295EEENS1_25partition_config_selectorILNS1_17partition_subalgoE4EjNS0_10empty_typeEbEEZZNS1_14partition_implILS8_4ELb0ES6_15HIP_vector_typeIjLj2EENS0_17counting_iteratorIjlEEPS9_SG_NS0_5tupleIJPjSI_NS0_16reverse_iteratorISI_EEEEENSH_IJSG_SG_SG_EEES9_SI_JZNS1_25segmented_radix_sort_implINS0_14default_configELb0EPKbPbPKlPlN2at6native12_GLOBAL__N_18offset_tEEE10hipError_tPvRmT1_PNSt15iterator_traitsIS12_E10value_typeET2_T3_PNS13_IS18_E10value_typeET4_jRbjT5_S1E_jjP12ihipStream_tbEUljE_ZNSN_ISO_Lb0ESQ_SR_ST_SU_SY_EESZ_S10_S11_S12_S16_S17_S18_S1B_S1C_jS1D_jS1E_S1E_jjS1G_bEUljE0_EEESZ_S10_S11_S18_S1C_S1E_T6_T7_T9_mT8_S1G_bDpT10_ENKUlT_T0_E_clISt17integral_constantIbLb0EES1T_IbLb1EEEEDaS1P_S1Q_EUlS1P_E_NS1_11comp_targetILNS1_3genE10ELNS1_11target_archE1200ELNS1_3gpuE4ELNS1_3repE0EEENS1_30default_config_static_selectorELNS0_4arch9wavefront6targetE1EEEvS12_.numbered_sgpr, 0
	.set _ZN7rocprim17ROCPRIM_400000_NS6detail17trampoline_kernelINS0_13select_configILj256ELj13ELNS0_17block_load_methodE3ELS4_3ELS4_3ELNS0_20block_scan_algorithmE0ELj4294967295EEENS1_25partition_config_selectorILNS1_17partition_subalgoE4EjNS0_10empty_typeEbEEZZNS1_14partition_implILS8_4ELb0ES6_15HIP_vector_typeIjLj2EENS0_17counting_iteratorIjlEEPS9_SG_NS0_5tupleIJPjSI_NS0_16reverse_iteratorISI_EEEEENSH_IJSG_SG_SG_EEES9_SI_JZNS1_25segmented_radix_sort_implINS0_14default_configELb0EPKbPbPKlPlN2at6native12_GLOBAL__N_18offset_tEEE10hipError_tPvRmT1_PNSt15iterator_traitsIS12_E10value_typeET2_T3_PNS13_IS18_E10value_typeET4_jRbjT5_S1E_jjP12ihipStream_tbEUljE_ZNSN_ISO_Lb0ESQ_SR_ST_SU_SY_EESZ_S10_S11_S12_S16_S17_S18_S1B_S1C_jS1D_jS1E_S1E_jjS1G_bEUljE0_EEESZ_S10_S11_S18_S1C_S1E_T6_T7_T9_mT8_S1G_bDpT10_ENKUlT_T0_E_clISt17integral_constantIbLb0EES1T_IbLb1EEEEDaS1P_S1Q_EUlS1P_E_NS1_11comp_targetILNS1_3genE10ELNS1_11target_archE1200ELNS1_3gpuE4ELNS1_3repE0EEENS1_30default_config_static_selectorELNS0_4arch9wavefront6targetE1EEEvS12_.num_named_barrier, 0
	.set _ZN7rocprim17ROCPRIM_400000_NS6detail17trampoline_kernelINS0_13select_configILj256ELj13ELNS0_17block_load_methodE3ELS4_3ELS4_3ELNS0_20block_scan_algorithmE0ELj4294967295EEENS1_25partition_config_selectorILNS1_17partition_subalgoE4EjNS0_10empty_typeEbEEZZNS1_14partition_implILS8_4ELb0ES6_15HIP_vector_typeIjLj2EENS0_17counting_iteratorIjlEEPS9_SG_NS0_5tupleIJPjSI_NS0_16reverse_iteratorISI_EEEEENSH_IJSG_SG_SG_EEES9_SI_JZNS1_25segmented_radix_sort_implINS0_14default_configELb0EPKbPbPKlPlN2at6native12_GLOBAL__N_18offset_tEEE10hipError_tPvRmT1_PNSt15iterator_traitsIS12_E10value_typeET2_T3_PNS13_IS18_E10value_typeET4_jRbjT5_S1E_jjP12ihipStream_tbEUljE_ZNSN_ISO_Lb0ESQ_SR_ST_SU_SY_EESZ_S10_S11_S12_S16_S17_S18_S1B_S1C_jS1D_jS1E_S1E_jjS1G_bEUljE0_EEESZ_S10_S11_S18_S1C_S1E_T6_T7_T9_mT8_S1G_bDpT10_ENKUlT_T0_E_clISt17integral_constantIbLb0EES1T_IbLb1EEEEDaS1P_S1Q_EUlS1P_E_NS1_11comp_targetILNS1_3genE10ELNS1_11target_archE1200ELNS1_3gpuE4ELNS1_3repE0EEENS1_30default_config_static_selectorELNS0_4arch9wavefront6targetE1EEEvS12_.private_seg_size, 0
	.set _ZN7rocprim17ROCPRIM_400000_NS6detail17trampoline_kernelINS0_13select_configILj256ELj13ELNS0_17block_load_methodE3ELS4_3ELS4_3ELNS0_20block_scan_algorithmE0ELj4294967295EEENS1_25partition_config_selectorILNS1_17partition_subalgoE4EjNS0_10empty_typeEbEEZZNS1_14partition_implILS8_4ELb0ES6_15HIP_vector_typeIjLj2EENS0_17counting_iteratorIjlEEPS9_SG_NS0_5tupleIJPjSI_NS0_16reverse_iteratorISI_EEEEENSH_IJSG_SG_SG_EEES9_SI_JZNS1_25segmented_radix_sort_implINS0_14default_configELb0EPKbPbPKlPlN2at6native12_GLOBAL__N_18offset_tEEE10hipError_tPvRmT1_PNSt15iterator_traitsIS12_E10value_typeET2_T3_PNS13_IS18_E10value_typeET4_jRbjT5_S1E_jjP12ihipStream_tbEUljE_ZNSN_ISO_Lb0ESQ_SR_ST_SU_SY_EESZ_S10_S11_S12_S16_S17_S18_S1B_S1C_jS1D_jS1E_S1E_jjS1G_bEUljE0_EEESZ_S10_S11_S18_S1C_S1E_T6_T7_T9_mT8_S1G_bDpT10_ENKUlT_T0_E_clISt17integral_constantIbLb0EES1T_IbLb1EEEEDaS1P_S1Q_EUlS1P_E_NS1_11comp_targetILNS1_3genE10ELNS1_11target_archE1200ELNS1_3gpuE4ELNS1_3repE0EEENS1_30default_config_static_selectorELNS0_4arch9wavefront6targetE1EEEvS12_.uses_vcc, 0
	.set _ZN7rocprim17ROCPRIM_400000_NS6detail17trampoline_kernelINS0_13select_configILj256ELj13ELNS0_17block_load_methodE3ELS4_3ELS4_3ELNS0_20block_scan_algorithmE0ELj4294967295EEENS1_25partition_config_selectorILNS1_17partition_subalgoE4EjNS0_10empty_typeEbEEZZNS1_14partition_implILS8_4ELb0ES6_15HIP_vector_typeIjLj2EENS0_17counting_iteratorIjlEEPS9_SG_NS0_5tupleIJPjSI_NS0_16reverse_iteratorISI_EEEEENSH_IJSG_SG_SG_EEES9_SI_JZNS1_25segmented_radix_sort_implINS0_14default_configELb0EPKbPbPKlPlN2at6native12_GLOBAL__N_18offset_tEEE10hipError_tPvRmT1_PNSt15iterator_traitsIS12_E10value_typeET2_T3_PNS13_IS18_E10value_typeET4_jRbjT5_S1E_jjP12ihipStream_tbEUljE_ZNSN_ISO_Lb0ESQ_SR_ST_SU_SY_EESZ_S10_S11_S12_S16_S17_S18_S1B_S1C_jS1D_jS1E_S1E_jjS1G_bEUljE0_EEESZ_S10_S11_S18_S1C_S1E_T6_T7_T9_mT8_S1G_bDpT10_ENKUlT_T0_E_clISt17integral_constantIbLb0EES1T_IbLb1EEEEDaS1P_S1Q_EUlS1P_E_NS1_11comp_targetILNS1_3genE10ELNS1_11target_archE1200ELNS1_3gpuE4ELNS1_3repE0EEENS1_30default_config_static_selectorELNS0_4arch9wavefront6targetE1EEEvS12_.uses_flat_scratch, 0
	.set _ZN7rocprim17ROCPRIM_400000_NS6detail17trampoline_kernelINS0_13select_configILj256ELj13ELNS0_17block_load_methodE3ELS4_3ELS4_3ELNS0_20block_scan_algorithmE0ELj4294967295EEENS1_25partition_config_selectorILNS1_17partition_subalgoE4EjNS0_10empty_typeEbEEZZNS1_14partition_implILS8_4ELb0ES6_15HIP_vector_typeIjLj2EENS0_17counting_iteratorIjlEEPS9_SG_NS0_5tupleIJPjSI_NS0_16reverse_iteratorISI_EEEEENSH_IJSG_SG_SG_EEES9_SI_JZNS1_25segmented_radix_sort_implINS0_14default_configELb0EPKbPbPKlPlN2at6native12_GLOBAL__N_18offset_tEEE10hipError_tPvRmT1_PNSt15iterator_traitsIS12_E10value_typeET2_T3_PNS13_IS18_E10value_typeET4_jRbjT5_S1E_jjP12ihipStream_tbEUljE_ZNSN_ISO_Lb0ESQ_SR_ST_SU_SY_EESZ_S10_S11_S12_S16_S17_S18_S1B_S1C_jS1D_jS1E_S1E_jjS1G_bEUljE0_EEESZ_S10_S11_S18_S1C_S1E_T6_T7_T9_mT8_S1G_bDpT10_ENKUlT_T0_E_clISt17integral_constantIbLb0EES1T_IbLb1EEEEDaS1P_S1Q_EUlS1P_E_NS1_11comp_targetILNS1_3genE10ELNS1_11target_archE1200ELNS1_3gpuE4ELNS1_3repE0EEENS1_30default_config_static_selectorELNS0_4arch9wavefront6targetE1EEEvS12_.has_dyn_sized_stack, 0
	.set _ZN7rocprim17ROCPRIM_400000_NS6detail17trampoline_kernelINS0_13select_configILj256ELj13ELNS0_17block_load_methodE3ELS4_3ELS4_3ELNS0_20block_scan_algorithmE0ELj4294967295EEENS1_25partition_config_selectorILNS1_17partition_subalgoE4EjNS0_10empty_typeEbEEZZNS1_14partition_implILS8_4ELb0ES6_15HIP_vector_typeIjLj2EENS0_17counting_iteratorIjlEEPS9_SG_NS0_5tupleIJPjSI_NS0_16reverse_iteratorISI_EEEEENSH_IJSG_SG_SG_EEES9_SI_JZNS1_25segmented_radix_sort_implINS0_14default_configELb0EPKbPbPKlPlN2at6native12_GLOBAL__N_18offset_tEEE10hipError_tPvRmT1_PNSt15iterator_traitsIS12_E10value_typeET2_T3_PNS13_IS18_E10value_typeET4_jRbjT5_S1E_jjP12ihipStream_tbEUljE_ZNSN_ISO_Lb0ESQ_SR_ST_SU_SY_EESZ_S10_S11_S12_S16_S17_S18_S1B_S1C_jS1D_jS1E_S1E_jjS1G_bEUljE0_EEESZ_S10_S11_S18_S1C_S1E_T6_T7_T9_mT8_S1G_bDpT10_ENKUlT_T0_E_clISt17integral_constantIbLb0EES1T_IbLb1EEEEDaS1P_S1Q_EUlS1P_E_NS1_11comp_targetILNS1_3genE10ELNS1_11target_archE1200ELNS1_3gpuE4ELNS1_3repE0EEENS1_30default_config_static_selectorELNS0_4arch9wavefront6targetE1EEEvS12_.has_recursion, 0
	.set _ZN7rocprim17ROCPRIM_400000_NS6detail17trampoline_kernelINS0_13select_configILj256ELj13ELNS0_17block_load_methodE3ELS4_3ELS4_3ELNS0_20block_scan_algorithmE0ELj4294967295EEENS1_25partition_config_selectorILNS1_17partition_subalgoE4EjNS0_10empty_typeEbEEZZNS1_14partition_implILS8_4ELb0ES6_15HIP_vector_typeIjLj2EENS0_17counting_iteratorIjlEEPS9_SG_NS0_5tupleIJPjSI_NS0_16reverse_iteratorISI_EEEEENSH_IJSG_SG_SG_EEES9_SI_JZNS1_25segmented_radix_sort_implINS0_14default_configELb0EPKbPbPKlPlN2at6native12_GLOBAL__N_18offset_tEEE10hipError_tPvRmT1_PNSt15iterator_traitsIS12_E10value_typeET2_T3_PNS13_IS18_E10value_typeET4_jRbjT5_S1E_jjP12ihipStream_tbEUljE_ZNSN_ISO_Lb0ESQ_SR_ST_SU_SY_EESZ_S10_S11_S12_S16_S17_S18_S1B_S1C_jS1D_jS1E_S1E_jjS1G_bEUljE0_EEESZ_S10_S11_S18_S1C_S1E_T6_T7_T9_mT8_S1G_bDpT10_ENKUlT_T0_E_clISt17integral_constantIbLb0EES1T_IbLb1EEEEDaS1P_S1Q_EUlS1P_E_NS1_11comp_targetILNS1_3genE10ELNS1_11target_archE1200ELNS1_3gpuE4ELNS1_3repE0EEENS1_30default_config_static_selectorELNS0_4arch9wavefront6targetE1EEEvS12_.has_indirect_call, 0
	.section	.AMDGPU.csdata,"",@progbits
; Kernel info:
; codeLenInByte = 0
; TotalNumSgprs: 4
; NumVgprs: 0
; ScratchSize: 0
; MemoryBound: 0
; FloatMode: 240
; IeeeMode: 1
; LDSByteSize: 0 bytes/workgroup (compile time only)
; SGPRBlocks: 0
; VGPRBlocks: 0
; NumSGPRsForWavesPerEU: 4
; NumVGPRsForWavesPerEU: 1
; Occupancy: 10
; WaveLimiterHint : 0
; COMPUTE_PGM_RSRC2:SCRATCH_EN: 0
; COMPUTE_PGM_RSRC2:USER_SGPR: 6
; COMPUTE_PGM_RSRC2:TRAP_HANDLER: 0
; COMPUTE_PGM_RSRC2:TGID_X_EN: 1
; COMPUTE_PGM_RSRC2:TGID_Y_EN: 0
; COMPUTE_PGM_RSRC2:TGID_Z_EN: 0
; COMPUTE_PGM_RSRC2:TIDIG_COMP_CNT: 0
	.section	.text._ZN7rocprim17ROCPRIM_400000_NS6detail17trampoline_kernelINS0_13select_configILj256ELj13ELNS0_17block_load_methodE3ELS4_3ELS4_3ELNS0_20block_scan_algorithmE0ELj4294967295EEENS1_25partition_config_selectorILNS1_17partition_subalgoE4EjNS0_10empty_typeEbEEZZNS1_14partition_implILS8_4ELb0ES6_15HIP_vector_typeIjLj2EENS0_17counting_iteratorIjlEEPS9_SG_NS0_5tupleIJPjSI_NS0_16reverse_iteratorISI_EEEEENSH_IJSG_SG_SG_EEES9_SI_JZNS1_25segmented_radix_sort_implINS0_14default_configELb0EPKbPbPKlPlN2at6native12_GLOBAL__N_18offset_tEEE10hipError_tPvRmT1_PNSt15iterator_traitsIS12_E10value_typeET2_T3_PNS13_IS18_E10value_typeET4_jRbjT5_S1E_jjP12ihipStream_tbEUljE_ZNSN_ISO_Lb0ESQ_SR_ST_SU_SY_EESZ_S10_S11_S12_S16_S17_S18_S1B_S1C_jS1D_jS1E_S1E_jjS1G_bEUljE0_EEESZ_S10_S11_S18_S1C_S1E_T6_T7_T9_mT8_S1G_bDpT10_ENKUlT_T0_E_clISt17integral_constantIbLb0EES1T_IbLb1EEEEDaS1P_S1Q_EUlS1P_E_NS1_11comp_targetILNS1_3genE9ELNS1_11target_archE1100ELNS1_3gpuE3ELNS1_3repE0EEENS1_30default_config_static_selectorELNS0_4arch9wavefront6targetE1EEEvS12_,"axG",@progbits,_ZN7rocprim17ROCPRIM_400000_NS6detail17trampoline_kernelINS0_13select_configILj256ELj13ELNS0_17block_load_methodE3ELS4_3ELS4_3ELNS0_20block_scan_algorithmE0ELj4294967295EEENS1_25partition_config_selectorILNS1_17partition_subalgoE4EjNS0_10empty_typeEbEEZZNS1_14partition_implILS8_4ELb0ES6_15HIP_vector_typeIjLj2EENS0_17counting_iteratorIjlEEPS9_SG_NS0_5tupleIJPjSI_NS0_16reverse_iteratorISI_EEEEENSH_IJSG_SG_SG_EEES9_SI_JZNS1_25segmented_radix_sort_implINS0_14default_configELb0EPKbPbPKlPlN2at6native12_GLOBAL__N_18offset_tEEE10hipError_tPvRmT1_PNSt15iterator_traitsIS12_E10value_typeET2_T3_PNS13_IS18_E10value_typeET4_jRbjT5_S1E_jjP12ihipStream_tbEUljE_ZNSN_ISO_Lb0ESQ_SR_ST_SU_SY_EESZ_S10_S11_S12_S16_S17_S18_S1B_S1C_jS1D_jS1E_S1E_jjS1G_bEUljE0_EEESZ_S10_S11_S18_S1C_S1E_T6_T7_T9_mT8_S1G_bDpT10_ENKUlT_T0_E_clISt17integral_constantIbLb0EES1T_IbLb1EEEEDaS1P_S1Q_EUlS1P_E_NS1_11comp_targetILNS1_3genE9ELNS1_11target_archE1100ELNS1_3gpuE3ELNS1_3repE0EEENS1_30default_config_static_selectorELNS0_4arch9wavefront6targetE1EEEvS12_,comdat
	.globl	_ZN7rocprim17ROCPRIM_400000_NS6detail17trampoline_kernelINS0_13select_configILj256ELj13ELNS0_17block_load_methodE3ELS4_3ELS4_3ELNS0_20block_scan_algorithmE0ELj4294967295EEENS1_25partition_config_selectorILNS1_17partition_subalgoE4EjNS0_10empty_typeEbEEZZNS1_14partition_implILS8_4ELb0ES6_15HIP_vector_typeIjLj2EENS0_17counting_iteratorIjlEEPS9_SG_NS0_5tupleIJPjSI_NS0_16reverse_iteratorISI_EEEEENSH_IJSG_SG_SG_EEES9_SI_JZNS1_25segmented_radix_sort_implINS0_14default_configELb0EPKbPbPKlPlN2at6native12_GLOBAL__N_18offset_tEEE10hipError_tPvRmT1_PNSt15iterator_traitsIS12_E10value_typeET2_T3_PNS13_IS18_E10value_typeET4_jRbjT5_S1E_jjP12ihipStream_tbEUljE_ZNSN_ISO_Lb0ESQ_SR_ST_SU_SY_EESZ_S10_S11_S12_S16_S17_S18_S1B_S1C_jS1D_jS1E_S1E_jjS1G_bEUljE0_EEESZ_S10_S11_S18_S1C_S1E_T6_T7_T9_mT8_S1G_bDpT10_ENKUlT_T0_E_clISt17integral_constantIbLb0EES1T_IbLb1EEEEDaS1P_S1Q_EUlS1P_E_NS1_11comp_targetILNS1_3genE9ELNS1_11target_archE1100ELNS1_3gpuE3ELNS1_3repE0EEENS1_30default_config_static_selectorELNS0_4arch9wavefront6targetE1EEEvS12_ ; -- Begin function _ZN7rocprim17ROCPRIM_400000_NS6detail17trampoline_kernelINS0_13select_configILj256ELj13ELNS0_17block_load_methodE3ELS4_3ELS4_3ELNS0_20block_scan_algorithmE0ELj4294967295EEENS1_25partition_config_selectorILNS1_17partition_subalgoE4EjNS0_10empty_typeEbEEZZNS1_14partition_implILS8_4ELb0ES6_15HIP_vector_typeIjLj2EENS0_17counting_iteratorIjlEEPS9_SG_NS0_5tupleIJPjSI_NS0_16reverse_iteratorISI_EEEEENSH_IJSG_SG_SG_EEES9_SI_JZNS1_25segmented_radix_sort_implINS0_14default_configELb0EPKbPbPKlPlN2at6native12_GLOBAL__N_18offset_tEEE10hipError_tPvRmT1_PNSt15iterator_traitsIS12_E10value_typeET2_T3_PNS13_IS18_E10value_typeET4_jRbjT5_S1E_jjP12ihipStream_tbEUljE_ZNSN_ISO_Lb0ESQ_SR_ST_SU_SY_EESZ_S10_S11_S12_S16_S17_S18_S1B_S1C_jS1D_jS1E_S1E_jjS1G_bEUljE0_EEESZ_S10_S11_S18_S1C_S1E_T6_T7_T9_mT8_S1G_bDpT10_ENKUlT_T0_E_clISt17integral_constantIbLb0EES1T_IbLb1EEEEDaS1P_S1Q_EUlS1P_E_NS1_11comp_targetILNS1_3genE9ELNS1_11target_archE1100ELNS1_3gpuE3ELNS1_3repE0EEENS1_30default_config_static_selectorELNS0_4arch9wavefront6targetE1EEEvS12_
	.p2align	8
	.type	_ZN7rocprim17ROCPRIM_400000_NS6detail17trampoline_kernelINS0_13select_configILj256ELj13ELNS0_17block_load_methodE3ELS4_3ELS4_3ELNS0_20block_scan_algorithmE0ELj4294967295EEENS1_25partition_config_selectorILNS1_17partition_subalgoE4EjNS0_10empty_typeEbEEZZNS1_14partition_implILS8_4ELb0ES6_15HIP_vector_typeIjLj2EENS0_17counting_iteratorIjlEEPS9_SG_NS0_5tupleIJPjSI_NS0_16reverse_iteratorISI_EEEEENSH_IJSG_SG_SG_EEES9_SI_JZNS1_25segmented_radix_sort_implINS0_14default_configELb0EPKbPbPKlPlN2at6native12_GLOBAL__N_18offset_tEEE10hipError_tPvRmT1_PNSt15iterator_traitsIS12_E10value_typeET2_T3_PNS13_IS18_E10value_typeET4_jRbjT5_S1E_jjP12ihipStream_tbEUljE_ZNSN_ISO_Lb0ESQ_SR_ST_SU_SY_EESZ_S10_S11_S12_S16_S17_S18_S1B_S1C_jS1D_jS1E_S1E_jjS1G_bEUljE0_EEESZ_S10_S11_S18_S1C_S1E_T6_T7_T9_mT8_S1G_bDpT10_ENKUlT_T0_E_clISt17integral_constantIbLb0EES1T_IbLb1EEEEDaS1P_S1Q_EUlS1P_E_NS1_11comp_targetILNS1_3genE9ELNS1_11target_archE1100ELNS1_3gpuE3ELNS1_3repE0EEENS1_30default_config_static_selectorELNS0_4arch9wavefront6targetE1EEEvS12_,@function
_ZN7rocprim17ROCPRIM_400000_NS6detail17trampoline_kernelINS0_13select_configILj256ELj13ELNS0_17block_load_methodE3ELS4_3ELS4_3ELNS0_20block_scan_algorithmE0ELj4294967295EEENS1_25partition_config_selectorILNS1_17partition_subalgoE4EjNS0_10empty_typeEbEEZZNS1_14partition_implILS8_4ELb0ES6_15HIP_vector_typeIjLj2EENS0_17counting_iteratorIjlEEPS9_SG_NS0_5tupleIJPjSI_NS0_16reverse_iteratorISI_EEEEENSH_IJSG_SG_SG_EEES9_SI_JZNS1_25segmented_radix_sort_implINS0_14default_configELb0EPKbPbPKlPlN2at6native12_GLOBAL__N_18offset_tEEE10hipError_tPvRmT1_PNSt15iterator_traitsIS12_E10value_typeET2_T3_PNS13_IS18_E10value_typeET4_jRbjT5_S1E_jjP12ihipStream_tbEUljE_ZNSN_ISO_Lb0ESQ_SR_ST_SU_SY_EESZ_S10_S11_S12_S16_S17_S18_S1B_S1C_jS1D_jS1E_S1E_jjS1G_bEUljE0_EEESZ_S10_S11_S18_S1C_S1E_T6_T7_T9_mT8_S1G_bDpT10_ENKUlT_T0_E_clISt17integral_constantIbLb0EES1T_IbLb1EEEEDaS1P_S1Q_EUlS1P_E_NS1_11comp_targetILNS1_3genE9ELNS1_11target_archE1100ELNS1_3gpuE3ELNS1_3repE0EEENS1_30default_config_static_selectorELNS0_4arch9wavefront6targetE1EEEvS12_: ; @_ZN7rocprim17ROCPRIM_400000_NS6detail17trampoline_kernelINS0_13select_configILj256ELj13ELNS0_17block_load_methodE3ELS4_3ELS4_3ELNS0_20block_scan_algorithmE0ELj4294967295EEENS1_25partition_config_selectorILNS1_17partition_subalgoE4EjNS0_10empty_typeEbEEZZNS1_14partition_implILS8_4ELb0ES6_15HIP_vector_typeIjLj2EENS0_17counting_iteratorIjlEEPS9_SG_NS0_5tupleIJPjSI_NS0_16reverse_iteratorISI_EEEEENSH_IJSG_SG_SG_EEES9_SI_JZNS1_25segmented_radix_sort_implINS0_14default_configELb0EPKbPbPKlPlN2at6native12_GLOBAL__N_18offset_tEEE10hipError_tPvRmT1_PNSt15iterator_traitsIS12_E10value_typeET2_T3_PNS13_IS18_E10value_typeET4_jRbjT5_S1E_jjP12ihipStream_tbEUljE_ZNSN_ISO_Lb0ESQ_SR_ST_SU_SY_EESZ_S10_S11_S12_S16_S17_S18_S1B_S1C_jS1D_jS1E_S1E_jjS1G_bEUljE0_EEESZ_S10_S11_S18_S1C_S1E_T6_T7_T9_mT8_S1G_bDpT10_ENKUlT_T0_E_clISt17integral_constantIbLb0EES1T_IbLb1EEEEDaS1P_S1Q_EUlS1P_E_NS1_11comp_targetILNS1_3genE9ELNS1_11target_archE1100ELNS1_3gpuE3ELNS1_3repE0EEENS1_30default_config_static_selectorELNS0_4arch9wavefront6targetE1EEEvS12_
; %bb.0:
	.section	.rodata,"a",@progbits
	.p2align	6, 0x0
	.amdhsa_kernel _ZN7rocprim17ROCPRIM_400000_NS6detail17trampoline_kernelINS0_13select_configILj256ELj13ELNS0_17block_load_methodE3ELS4_3ELS4_3ELNS0_20block_scan_algorithmE0ELj4294967295EEENS1_25partition_config_selectorILNS1_17partition_subalgoE4EjNS0_10empty_typeEbEEZZNS1_14partition_implILS8_4ELb0ES6_15HIP_vector_typeIjLj2EENS0_17counting_iteratorIjlEEPS9_SG_NS0_5tupleIJPjSI_NS0_16reverse_iteratorISI_EEEEENSH_IJSG_SG_SG_EEES9_SI_JZNS1_25segmented_radix_sort_implINS0_14default_configELb0EPKbPbPKlPlN2at6native12_GLOBAL__N_18offset_tEEE10hipError_tPvRmT1_PNSt15iterator_traitsIS12_E10value_typeET2_T3_PNS13_IS18_E10value_typeET4_jRbjT5_S1E_jjP12ihipStream_tbEUljE_ZNSN_ISO_Lb0ESQ_SR_ST_SU_SY_EESZ_S10_S11_S12_S16_S17_S18_S1B_S1C_jS1D_jS1E_S1E_jjS1G_bEUljE0_EEESZ_S10_S11_S18_S1C_S1E_T6_T7_T9_mT8_S1G_bDpT10_ENKUlT_T0_E_clISt17integral_constantIbLb0EES1T_IbLb1EEEEDaS1P_S1Q_EUlS1P_E_NS1_11comp_targetILNS1_3genE9ELNS1_11target_archE1100ELNS1_3gpuE3ELNS1_3repE0EEENS1_30default_config_static_selectorELNS0_4arch9wavefront6targetE1EEEvS12_
		.amdhsa_group_segment_fixed_size 0
		.amdhsa_private_segment_fixed_size 0
		.amdhsa_kernarg_size 184
		.amdhsa_user_sgpr_count 6
		.amdhsa_user_sgpr_private_segment_buffer 1
		.amdhsa_user_sgpr_dispatch_ptr 0
		.amdhsa_user_sgpr_queue_ptr 0
		.amdhsa_user_sgpr_kernarg_segment_ptr 1
		.amdhsa_user_sgpr_dispatch_id 0
		.amdhsa_user_sgpr_flat_scratch_init 0
		.amdhsa_user_sgpr_private_segment_size 0
		.amdhsa_uses_dynamic_stack 0
		.amdhsa_system_sgpr_private_segment_wavefront_offset 0
		.amdhsa_system_sgpr_workgroup_id_x 1
		.amdhsa_system_sgpr_workgroup_id_y 0
		.amdhsa_system_sgpr_workgroup_id_z 0
		.amdhsa_system_sgpr_workgroup_info 0
		.amdhsa_system_vgpr_workitem_id 0
		.amdhsa_next_free_vgpr 1
		.amdhsa_next_free_sgpr 0
		.amdhsa_reserve_vcc 0
		.amdhsa_reserve_flat_scratch 0
		.amdhsa_float_round_mode_32 0
		.amdhsa_float_round_mode_16_64 0
		.amdhsa_float_denorm_mode_32 3
		.amdhsa_float_denorm_mode_16_64 3
		.amdhsa_dx10_clamp 1
		.amdhsa_ieee_mode 1
		.amdhsa_fp16_overflow 0
		.amdhsa_exception_fp_ieee_invalid_op 0
		.amdhsa_exception_fp_denorm_src 0
		.amdhsa_exception_fp_ieee_div_zero 0
		.amdhsa_exception_fp_ieee_overflow 0
		.amdhsa_exception_fp_ieee_underflow 0
		.amdhsa_exception_fp_ieee_inexact 0
		.amdhsa_exception_int_div_zero 0
	.end_amdhsa_kernel
	.section	.text._ZN7rocprim17ROCPRIM_400000_NS6detail17trampoline_kernelINS0_13select_configILj256ELj13ELNS0_17block_load_methodE3ELS4_3ELS4_3ELNS0_20block_scan_algorithmE0ELj4294967295EEENS1_25partition_config_selectorILNS1_17partition_subalgoE4EjNS0_10empty_typeEbEEZZNS1_14partition_implILS8_4ELb0ES6_15HIP_vector_typeIjLj2EENS0_17counting_iteratorIjlEEPS9_SG_NS0_5tupleIJPjSI_NS0_16reverse_iteratorISI_EEEEENSH_IJSG_SG_SG_EEES9_SI_JZNS1_25segmented_radix_sort_implINS0_14default_configELb0EPKbPbPKlPlN2at6native12_GLOBAL__N_18offset_tEEE10hipError_tPvRmT1_PNSt15iterator_traitsIS12_E10value_typeET2_T3_PNS13_IS18_E10value_typeET4_jRbjT5_S1E_jjP12ihipStream_tbEUljE_ZNSN_ISO_Lb0ESQ_SR_ST_SU_SY_EESZ_S10_S11_S12_S16_S17_S18_S1B_S1C_jS1D_jS1E_S1E_jjS1G_bEUljE0_EEESZ_S10_S11_S18_S1C_S1E_T6_T7_T9_mT8_S1G_bDpT10_ENKUlT_T0_E_clISt17integral_constantIbLb0EES1T_IbLb1EEEEDaS1P_S1Q_EUlS1P_E_NS1_11comp_targetILNS1_3genE9ELNS1_11target_archE1100ELNS1_3gpuE3ELNS1_3repE0EEENS1_30default_config_static_selectorELNS0_4arch9wavefront6targetE1EEEvS12_,"axG",@progbits,_ZN7rocprim17ROCPRIM_400000_NS6detail17trampoline_kernelINS0_13select_configILj256ELj13ELNS0_17block_load_methodE3ELS4_3ELS4_3ELNS0_20block_scan_algorithmE0ELj4294967295EEENS1_25partition_config_selectorILNS1_17partition_subalgoE4EjNS0_10empty_typeEbEEZZNS1_14partition_implILS8_4ELb0ES6_15HIP_vector_typeIjLj2EENS0_17counting_iteratorIjlEEPS9_SG_NS0_5tupleIJPjSI_NS0_16reverse_iteratorISI_EEEEENSH_IJSG_SG_SG_EEES9_SI_JZNS1_25segmented_radix_sort_implINS0_14default_configELb0EPKbPbPKlPlN2at6native12_GLOBAL__N_18offset_tEEE10hipError_tPvRmT1_PNSt15iterator_traitsIS12_E10value_typeET2_T3_PNS13_IS18_E10value_typeET4_jRbjT5_S1E_jjP12ihipStream_tbEUljE_ZNSN_ISO_Lb0ESQ_SR_ST_SU_SY_EESZ_S10_S11_S12_S16_S17_S18_S1B_S1C_jS1D_jS1E_S1E_jjS1G_bEUljE0_EEESZ_S10_S11_S18_S1C_S1E_T6_T7_T9_mT8_S1G_bDpT10_ENKUlT_T0_E_clISt17integral_constantIbLb0EES1T_IbLb1EEEEDaS1P_S1Q_EUlS1P_E_NS1_11comp_targetILNS1_3genE9ELNS1_11target_archE1100ELNS1_3gpuE3ELNS1_3repE0EEENS1_30default_config_static_selectorELNS0_4arch9wavefront6targetE1EEEvS12_,comdat
.Lfunc_end1601:
	.size	_ZN7rocprim17ROCPRIM_400000_NS6detail17trampoline_kernelINS0_13select_configILj256ELj13ELNS0_17block_load_methodE3ELS4_3ELS4_3ELNS0_20block_scan_algorithmE0ELj4294967295EEENS1_25partition_config_selectorILNS1_17partition_subalgoE4EjNS0_10empty_typeEbEEZZNS1_14partition_implILS8_4ELb0ES6_15HIP_vector_typeIjLj2EENS0_17counting_iteratorIjlEEPS9_SG_NS0_5tupleIJPjSI_NS0_16reverse_iteratorISI_EEEEENSH_IJSG_SG_SG_EEES9_SI_JZNS1_25segmented_radix_sort_implINS0_14default_configELb0EPKbPbPKlPlN2at6native12_GLOBAL__N_18offset_tEEE10hipError_tPvRmT1_PNSt15iterator_traitsIS12_E10value_typeET2_T3_PNS13_IS18_E10value_typeET4_jRbjT5_S1E_jjP12ihipStream_tbEUljE_ZNSN_ISO_Lb0ESQ_SR_ST_SU_SY_EESZ_S10_S11_S12_S16_S17_S18_S1B_S1C_jS1D_jS1E_S1E_jjS1G_bEUljE0_EEESZ_S10_S11_S18_S1C_S1E_T6_T7_T9_mT8_S1G_bDpT10_ENKUlT_T0_E_clISt17integral_constantIbLb0EES1T_IbLb1EEEEDaS1P_S1Q_EUlS1P_E_NS1_11comp_targetILNS1_3genE9ELNS1_11target_archE1100ELNS1_3gpuE3ELNS1_3repE0EEENS1_30default_config_static_selectorELNS0_4arch9wavefront6targetE1EEEvS12_, .Lfunc_end1601-_ZN7rocprim17ROCPRIM_400000_NS6detail17trampoline_kernelINS0_13select_configILj256ELj13ELNS0_17block_load_methodE3ELS4_3ELS4_3ELNS0_20block_scan_algorithmE0ELj4294967295EEENS1_25partition_config_selectorILNS1_17partition_subalgoE4EjNS0_10empty_typeEbEEZZNS1_14partition_implILS8_4ELb0ES6_15HIP_vector_typeIjLj2EENS0_17counting_iteratorIjlEEPS9_SG_NS0_5tupleIJPjSI_NS0_16reverse_iteratorISI_EEEEENSH_IJSG_SG_SG_EEES9_SI_JZNS1_25segmented_radix_sort_implINS0_14default_configELb0EPKbPbPKlPlN2at6native12_GLOBAL__N_18offset_tEEE10hipError_tPvRmT1_PNSt15iterator_traitsIS12_E10value_typeET2_T3_PNS13_IS18_E10value_typeET4_jRbjT5_S1E_jjP12ihipStream_tbEUljE_ZNSN_ISO_Lb0ESQ_SR_ST_SU_SY_EESZ_S10_S11_S12_S16_S17_S18_S1B_S1C_jS1D_jS1E_S1E_jjS1G_bEUljE0_EEESZ_S10_S11_S18_S1C_S1E_T6_T7_T9_mT8_S1G_bDpT10_ENKUlT_T0_E_clISt17integral_constantIbLb0EES1T_IbLb1EEEEDaS1P_S1Q_EUlS1P_E_NS1_11comp_targetILNS1_3genE9ELNS1_11target_archE1100ELNS1_3gpuE3ELNS1_3repE0EEENS1_30default_config_static_selectorELNS0_4arch9wavefront6targetE1EEEvS12_
                                        ; -- End function
	.set _ZN7rocprim17ROCPRIM_400000_NS6detail17trampoline_kernelINS0_13select_configILj256ELj13ELNS0_17block_load_methodE3ELS4_3ELS4_3ELNS0_20block_scan_algorithmE0ELj4294967295EEENS1_25partition_config_selectorILNS1_17partition_subalgoE4EjNS0_10empty_typeEbEEZZNS1_14partition_implILS8_4ELb0ES6_15HIP_vector_typeIjLj2EENS0_17counting_iteratorIjlEEPS9_SG_NS0_5tupleIJPjSI_NS0_16reverse_iteratorISI_EEEEENSH_IJSG_SG_SG_EEES9_SI_JZNS1_25segmented_radix_sort_implINS0_14default_configELb0EPKbPbPKlPlN2at6native12_GLOBAL__N_18offset_tEEE10hipError_tPvRmT1_PNSt15iterator_traitsIS12_E10value_typeET2_T3_PNS13_IS18_E10value_typeET4_jRbjT5_S1E_jjP12ihipStream_tbEUljE_ZNSN_ISO_Lb0ESQ_SR_ST_SU_SY_EESZ_S10_S11_S12_S16_S17_S18_S1B_S1C_jS1D_jS1E_S1E_jjS1G_bEUljE0_EEESZ_S10_S11_S18_S1C_S1E_T6_T7_T9_mT8_S1G_bDpT10_ENKUlT_T0_E_clISt17integral_constantIbLb0EES1T_IbLb1EEEEDaS1P_S1Q_EUlS1P_E_NS1_11comp_targetILNS1_3genE9ELNS1_11target_archE1100ELNS1_3gpuE3ELNS1_3repE0EEENS1_30default_config_static_selectorELNS0_4arch9wavefront6targetE1EEEvS12_.num_vgpr, 0
	.set _ZN7rocprim17ROCPRIM_400000_NS6detail17trampoline_kernelINS0_13select_configILj256ELj13ELNS0_17block_load_methodE3ELS4_3ELS4_3ELNS0_20block_scan_algorithmE0ELj4294967295EEENS1_25partition_config_selectorILNS1_17partition_subalgoE4EjNS0_10empty_typeEbEEZZNS1_14partition_implILS8_4ELb0ES6_15HIP_vector_typeIjLj2EENS0_17counting_iteratorIjlEEPS9_SG_NS0_5tupleIJPjSI_NS0_16reverse_iteratorISI_EEEEENSH_IJSG_SG_SG_EEES9_SI_JZNS1_25segmented_radix_sort_implINS0_14default_configELb0EPKbPbPKlPlN2at6native12_GLOBAL__N_18offset_tEEE10hipError_tPvRmT1_PNSt15iterator_traitsIS12_E10value_typeET2_T3_PNS13_IS18_E10value_typeET4_jRbjT5_S1E_jjP12ihipStream_tbEUljE_ZNSN_ISO_Lb0ESQ_SR_ST_SU_SY_EESZ_S10_S11_S12_S16_S17_S18_S1B_S1C_jS1D_jS1E_S1E_jjS1G_bEUljE0_EEESZ_S10_S11_S18_S1C_S1E_T6_T7_T9_mT8_S1G_bDpT10_ENKUlT_T0_E_clISt17integral_constantIbLb0EES1T_IbLb1EEEEDaS1P_S1Q_EUlS1P_E_NS1_11comp_targetILNS1_3genE9ELNS1_11target_archE1100ELNS1_3gpuE3ELNS1_3repE0EEENS1_30default_config_static_selectorELNS0_4arch9wavefront6targetE1EEEvS12_.num_agpr, 0
	.set _ZN7rocprim17ROCPRIM_400000_NS6detail17trampoline_kernelINS0_13select_configILj256ELj13ELNS0_17block_load_methodE3ELS4_3ELS4_3ELNS0_20block_scan_algorithmE0ELj4294967295EEENS1_25partition_config_selectorILNS1_17partition_subalgoE4EjNS0_10empty_typeEbEEZZNS1_14partition_implILS8_4ELb0ES6_15HIP_vector_typeIjLj2EENS0_17counting_iteratorIjlEEPS9_SG_NS0_5tupleIJPjSI_NS0_16reverse_iteratorISI_EEEEENSH_IJSG_SG_SG_EEES9_SI_JZNS1_25segmented_radix_sort_implINS0_14default_configELb0EPKbPbPKlPlN2at6native12_GLOBAL__N_18offset_tEEE10hipError_tPvRmT1_PNSt15iterator_traitsIS12_E10value_typeET2_T3_PNS13_IS18_E10value_typeET4_jRbjT5_S1E_jjP12ihipStream_tbEUljE_ZNSN_ISO_Lb0ESQ_SR_ST_SU_SY_EESZ_S10_S11_S12_S16_S17_S18_S1B_S1C_jS1D_jS1E_S1E_jjS1G_bEUljE0_EEESZ_S10_S11_S18_S1C_S1E_T6_T7_T9_mT8_S1G_bDpT10_ENKUlT_T0_E_clISt17integral_constantIbLb0EES1T_IbLb1EEEEDaS1P_S1Q_EUlS1P_E_NS1_11comp_targetILNS1_3genE9ELNS1_11target_archE1100ELNS1_3gpuE3ELNS1_3repE0EEENS1_30default_config_static_selectorELNS0_4arch9wavefront6targetE1EEEvS12_.numbered_sgpr, 0
	.set _ZN7rocprim17ROCPRIM_400000_NS6detail17trampoline_kernelINS0_13select_configILj256ELj13ELNS0_17block_load_methodE3ELS4_3ELS4_3ELNS0_20block_scan_algorithmE0ELj4294967295EEENS1_25partition_config_selectorILNS1_17partition_subalgoE4EjNS0_10empty_typeEbEEZZNS1_14partition_implILS8_4ELb0ES6_15HIP_vector_typeIjLj2EENS0_17counting_iteratorIjlEEPS9_SG_NS0_5tupleIJPjSI_NS0_16reverse_iteratorISI_EEEEENSH_IJSG_SG_SG_EEES9_SI_JZNS1_25segmented_radix_sort_implINS0_14default_configELb0EPKbPbPKlPlN2at6native12_GLOBAL__N_18offset_tEEE10hipError_tPvRmT1_PNSt15iterator_traitsIS12_E10value_typeET2_T3_PNS13_IS18_E10value_typeET4_jRbjT5_S1E_jjP12ihipStream_tbEUljE_ZNSN_ISO_Lb0ESQ_SR_ST_SU_SY_EESZ_S10_S11_S12_S16_S17_S18_S1B_S1C_jS1D_jS1E_S1E_jjS1G_bEUljE0_EEESZ_S10_S11_S18_S1C_S1E_T6_T7_T9_mT8_S1G_bDpT10_ENKUlT_T0_E_clISt17integral_constantIbLb0EES1T_IbLb1EEEEDaS1P_S1Q_EUlS1P_E_NS1_11comp_targetILNS1_3genE9ELNS1_11target_archE1100ELNS1_3gpuE3ELNS1_3repE0EEENS1_30default_config_static_selectorELNS0_4arch9wavefront6targetE1EEEvS12_.num_named_barrier, 0
	.set _ZN7rocprim17ROCPRIM_400000_NS6detail17trampoline_kernelINS0_13select_configILj256ELj13ELNS0_17block_load_methodE3ELS4_3ELS4_3ELNS0_20block_scan_algorithmE0ELj4294967295EEENS1_25partition_config_selectorILNS1_17partition_subalgoE4EjNS0_10empty_typeEbEEZZNS1_14partition_implILS8_4ELb0ES6_15HIP_vector_typeIjLj2EENS0_17counting_iteratorIjlEEPS9_SG_NS0_5tupleIJPjSI_NS0_16reverse_iteratorISI_EEEEENSH_IJSG_SG_SG_EEES9_SI_JZNS1_25segmented_radix_sort_implINS0_14default_configELb0EPKbPbPKlPlN2at6native12_GLOBAL__N_18offset_tEEE10hipError_tPvRmT1_PNSt15iterator_traitsIS12_E10value_typeET2_T3_PNS13_IS18_E10value_typeET4_jRbjT5_S1E_jjP12ihipStream_tbEUljE_ZNSN_ISO_Lb0ESQ_SR_ST_SU_SY_EESZ_S10_S11_S12_S16_S17_S18_S1B_S1C_jS1D_jS1E_S1E_jjS1G_bEUljE0_EEESZ_S10_S11_S18_S1C_S1E_T6_T7_T9_mT8_S1G_bDpT10_ENKUlT_T0_E_clISt17integral_constantIbLb0EES1T_IbLb1EEEEDaS1P_S1Q_EUlS1P_E_NS1_11comp_targetILNS1_3genE9ELNS1_11target_archE1100ELNS1_3gpuE3ELNS1_3repE0EEENS1_30default_config_static_selectorELNS0_4arch9wavefront6targetE1EEEvS12_.private_seg_size, 0
	.set _ZN7rocprim17ROCPRIM_400000_NS6detail17trampoline_kernelINS0_13select_configILj256ELj13ELNS0_17block_load_methodE3ELS4_3ELS4_3ELNS0_20block_scan_algorithmE0ELj4294967295EEENS1_25partition_config_selectorILNS1_17partition_subalgoE4EjNS0_10empty_typeEbEEZZNS1_14partition_implILS8_4ELb0ES6_15HIP_vector_typeIjLj2EENS0_17counting_iteratorIjlEEPS9_SG_NS0_5tupleIJPjSI_NS0_16reverse_iteratorISI_EEEEENSH_IJSG_SG_SG_EEES9_SI_JZNS1_25segmented_radix_sort_implINS0_14default_configELb0EPKbPbPKlPlN2at6native12_GLOBAL__N_18offset_tEEE10hipError_tPvRmT1_PNSt15iterator_traitsIS12_E10value_typeET2_T3_PNS13_IS18_E10value_typeET4_jRbjT5_S1E_jjP12ihipStream_tbEUljE_ZNSN_ISO_Lb0ESQ_SR_ST_SU_SY_EESZ_S10_S11_S12_S16_S17_S18_S1B_S1C_jS1D_jS1E_S1E_jjS1G_bEUljE0_EEESZ_S10_S11_S18_S1C_S1E_T6_T7_T9_mT8_S1G_bDpT10_ENKUlT_T0_E_clISt17integral_constantIbLb0EES1T_IbLb1EEEEDaS1P_S1Q_EUlS1P_E_NS1_11comp_targetILNS1_3genE9ELNS1_11target_archE1100ELNS1_3gpuE3ELNS1_3repE0EEENS1_30default_config_static_selectorELNS0_4arch9wavefront6targetE1EEEvS12_.uses_vcc, 0
	.set _ZN7rocprim17ROCPRIM_400000_NS6detail17trampoline_kernelINS0_13select_configILj256ELj13ELNS0_17block_load_methodE3ELS4_3ELS4_3ELNS0_20block_scan_algorithmE0ELj4294967295EEENS1_25partition_config_selectorILNS1_17partition_subalgoE4EjNS0_10empty_typeEbEEZZNS1_14partition_implILS8_4ELb0ES6_15HIP_vector_typeIjLj2EENS0_17counting_iteratorIjlEEPS9_SG_NS0_5tupleIJPjSI_NS0_16reverse_iteratorISI_EEEEENSH_IJSG_SG_SG_EEES9_SI_JZNS1_25segmented_radix_sort_implINS0_14default_configELb0EPKbPbPKlPlN2at6native12_GLOBAL__N_18offset_tEEE10hipError_tPvRmT1_PNSt15iterator_traitsIS12_E10value_typeET2_T3_PNS13_IS18_E10value_typeET4_jRbjT5_S1E_jjP12ihipStream_tbEUljE_ZNSN_ISO_Lb0ESQ_SR_ST_SU_SY_EESZ_S10_S11_S12_S16_S17_S18_S1B_S1C_jS1D_jS1E_S1E_jjS1G_bEUljE0_EEESZ_S10_S11_S18_S1C_S1E_T6_T7_T9_mT8_S1G_bDpT10_ENKUlT_T0_E_clISt17integral_constantIbLb0EES1T_IbLb1EEEEDaS1P_S1Q_EUlS1P_E_NS1_11comp_targetILNS1_3genE9ELNS1_11target_archE1100ELNS1_3gpuE3ELNS1_3repE0EEENS1_30default_config_static_selectorELNS0_4arch9wavefront6targetE1EEEvS12_.uses_flat_scratch, 0
	.set _ZN7rocprim17ROCPRIM_400000_NS6detail17trampoline_kernelINS0_13select_configILj256ELj13ELNS0_17block_load_methodE3ELS4_3ELS4_3ELNS0_20block_scan_algorithmE0ELj4294967295EEENS1_25partition_config_selectorILNS1_17partition_subalgoE4EjNS0_10empty_typeEbEEZZNS1_14partition_implILS8_4ELb0ES6_15HIP_vector_typeIjLj2EENS0_17counting_iteratorIjlEEPS9_SG_NS0_5tupleIJPjSI_NS0_16reverse_iteratorISI_EEEEENSH_IJSG_SG_SG_EEES9_SI_JZNS1_25segmented_radix_sort_implINS0_14default_configELb0EPKbPbPKlPlN2at6native12_GLOBAL__N_18offset_tEEE10hipError_tPvRmT1_PNSt15iterator_traitsIS12_E10value_typeET2_T3_PNS13_IS18_E10value_typeET4_jRbjT5_S1E_jjP12ihipStream_tbEUljE_ZNSN_ISO_Lb0ESQ_SR_ST_SU_SY_EESZ_S10_S11_S12_S16_S17_S18_S1B_S1C_jS1D_jS1E_S1E_jjS1G_bEUljE0_EEESZ_S10_S11_S18_S1C_S1E_T6_T7_T9_mT8_S1G_bDpT10_ENKUlT_T0_E_clISt17integral_constantIbLb0EES1T_IbLb1EEEEDaS1P_S1Q_EUlS1P_E_NS1_11comp_targetILNS1_3genE9ELNS1_11target_archE1100ELNS1_3gpuE3ELNS1_3repE0EEENS1_30default_config_static_selectorELNS0_4arch9wavefront6targetE1EEEvS12_.has_dyn_sized_stack, 0
	.set _ZN7rocprim17ROCPRIM_400000_NS6detail17trampoline_kernelINS0_13select_configILj256ELj13ELNS0_17block_load_methodE3ELS4_3ELS4_3ELNS0_20block_scan_algorithmE0ELj4294967295EEENS1_25partition_config_selectorILNS1_17partition_subalgoE4EjNS0_10empty_typeEbEEZZNS1_14partition_implILS8_4ELb0ES6_15HIP_vector_typeIjLj2EENS0_17counting_iteratorIjlEEPS9_SG_NS0_5tupleIJPjSI_NS0_16reverse_iteratorISI_EEEEENSH_IJSG_SG_SG_EEES9_SI_JZNS1_25segmented_radix_sort_implINS0_14default_configELb0EPKbPbPKlPlN2at6native12_GLOBAL__N_18offset_tEEE10hipError_tPvRmT1_PNSt15iterator_traitsIS12_E10value_typeET2_T3_PNS13_IS18_E10value_typeET4_jRbjT5_S1E_jjP12ihipStream_tbEUljE_ZNSN_ISO_Lb0ESQ_SR_ST_SU_SY_EESZ_S10_S11_S12_S16_S17_S18_S1B_S1C_jS1D_jS1E_S1E_jjS1G_bEUljE0_EEESZ_S10_S11_S18_S1C_S1E_T6_T7_T9_mT8_S1G_bDpT10_ENKUlT_T0_E_clISt17integral_constantIbLb0EES1T_IbLb1EEEEDaS1P_S1Q_EUlS1P_E_NS1_11comp_targetILNS1_3genE9ELNS1_11target_archE1100ELNS1_3gpuE3ELNS1_3repE0EEENS1_30default_config_static_selectorELNS0_4arch9wavefront6targetE1EEEvS12_.has_recursion, 0
	.set _ZN7rocprim17ROCPRIM_400000_NS6detail17trampoline_kernelINS0_13select_configILj256ELj13ELNS0_17block_load_methodE3ELS4_3ELS4_3ELNS0_20block_scan_algorithmE0ELj4294967295EEENS1_25partition_config_selectorILNS1_17partition_subalgoE4EjNS0_10empty_typeEbEEZZNS1_14partition_implILS8_4ELb0ES6_15HIP_vector_typeIjLj2EENS0_17counting_iteratorIjlEEPS9_SG_NS0_5tupleIJPjSI_NS0_16reverse_iteratorISI_EEEEENSH_IJSG_SG_SG_EEES9_SI_JZNS1_25segmented_radix_sort_implINS0_14default_configELb0EPKbPbPKlPlN2at6native12_GLOBAL__N_18offset_tEEE10hipError_tPvRmT1_PNSt15iterator_traitsIS12_E10value_typeET2_T3_PNS13_IS18_E10value_typeET4_jRbjT5_S1E_jjP12ihipStream_tbEUljE_ZNSN_ISO_Lb0ESQ_SR_ST_SU_SY_EESZ_S10_S11_S12_S16_S17_S18_S1B_S1C_jS1D_jS1E_S1E_jjS1G_bEUljE0_EEESZ_S10_S11_S18_S1C_S1E_T6_T7_T9_mT8_S1G_bDpT10_ENKUlT_T0_E_clISt17integral_constantIbLb0EES1T_IbLb1EEEEDaS1P_S1Q_EUlS1P_E_NS1_11comp_targetILNS1_3genE9ELNS1_11target_archE1100ELNS1_3gpuE3ELNS1_3repE0EEENS1_30default_config_static_selectorELNS0_4arch9wavefront6targetE1EEEvS12_.has_indirect_call, 0
	.section	.AMDGPU.csdata,"",@progbits
; Kernel info:
; codeLenInByte = 0
; TotalNumSgprs: 4
; NumVgprs: 0
; ScratchSize: 0
; MemoryBound: 0
; FloatMode: 240
; IeeeMode: 1
; LDSByteSize: 0 bytes/workgroup (compile time only)
; SGPRBlocks: 0
; VGPRBlocks: 0
; NumSGPRsForWavesPerEU: 4
; NumVGPRsForWavesPerEU: 1
; Occupancy: 10
; WaveLimiterHint : 0
; COMPUTE_PGM_RSRC2:SCRATCH_EN: 0
; COMPUTE_PGM_RSRC2:USER_SGPR: 6
; COMPUTE_PGM_RSRC2:TRAP_HANDLER: 0
; COMPUTE_PGM_RSRC2:TGID_X_EN: 1
; COMPUTE_PGM_RSRC2:TGID_Y_EN: 0
; COMPUTE_PGM_RSRC2:TGID_Z_EN: 0
; COMPUTE_PGM_RSRC2:TIDIG_COMP_CNT: 0
	.section	.text._ZN7rocprim17ROCPRIM_400000_NS6detail17trampoline_kernelINS0_13select_configILj256ELj13ELNS0_17block_load_methodE3ELS4_3ELS4_3ELNS0_20block_scan_algorithmE0ELj4294967295EEENS1_25partition_config_selectorILNS1_17partition_subalgoE4EjNS0_10empty_typeEbEEZZNS1_14partition_implILS8_4ELb0ES6_15HIP_vector_typeIjLj2EENS0_17counting_iteratorIjlEEPS9_SG_NS0_5tupleIJPjSI_NS0_16reverse_iteratorISI_EEEEENSH_IJSG_SG_SG_EEES9_SI_JZNS1_25segmented_radix_sort_implINS0_14default_configELb0EPKbPbPKlPlN2at6native12_GLOBAL__N_18offset_tEEE10hipError_tPvRmT1_PNSt15iterator_traitsIS12_E10value_typeET2_T3_PNS13_IS18_E10value_typeET4_jRbjT5_S1E_jjP12ihipStream_tbEUljE_ZNSN_ISO_Lb0ESQ_SR_ST_SU_SY_EESZ_S10_S11_S12_S16_S17_S18_S1B_S1C_jS1D_jS1E_S1E_jjS1G_bEUljE0_EEESZ_S10_S11_S18_S1C_S1E_T6_T7_T9_mT8_S1G_bDpT10_ENKUlT_T0_E_clISt17integral_constantIbLb0EES1T_IbLb1EEEEDaS1P_S1Q_EUlS1P_E_NS1_11comp_targetILNS1_3genE8ELNS1_11target_archE1030ELNS1_3gpuE2ELNS1_3repE0EEENS1_30default_config_static_selectorELNS0_4arch9wavefront6targetE1EEEvS12_,"axG",@progbits,_ZN7rocprim17ROCPRIM_400000_NS6detail17trampoline_kernelINS0_13select_configILj256ELj13ELNS0_17block_load_methodE3ELS4_3ELS4_3ELNS0_20block_scan_algorithmE0ELj4294967295EEENS1_25partition_config_selectorILNS1_17partition_subalgoE4EjNS0_10empty_typeEbEEZZNS1_14partition_implILS8_4ELb0ES6_15HIP_vector_typeIjLj2EENS0_17counting_iteratorIjlEEPS9_SG_NS0_5tupleIJPjSI_NS0_16reverse_iteratorISI_EEEEENSH_IJSG_SG_SG_EEES9_SI_JZNS1_25segmented_radix_sort_implINS0_14default_configELb0EPKbPbPKlPlN2at6native12_GLOBAL__N_18offset_tEEE10hipError_tPvRmT1_PNSt15iterator_traitsIS12_E10value_typeET2_T3_PNS13_IS18_E10value_typeET4_jRbjT5_S1E_jjP12ihipStream_tbEUljE_ZNSN_ISO_Lb0ESQ_SR_ST_SU_SY_EESZ_S10_S11_S12_S16_S17_S18_S1B_S1C_jS1D_jS1E_S1E_jjS1G_bEUljE0_EEESZ_S10_S11_S18_S1C_S1E_T6_T7_T9_mT8_S1G_bDpT10_ENKUlT_T0_E_clISt17integral_constantIbLb0EES1T_IbLb1EEEEDaS1P_S1Q_EUlS1P_E_NS1_11comp_targetILNS1_3genE8ELNS1_11target_archE1030ELNS1_3gpuE2ELNS1_3repE0EEENS1_30default_config_static_selectorELNS0_4arch9wavefront6targetE1EEEvS12_,comdat
	.globl	_ZN7rocprim17ROCPRIM_400000_NS6detail17trampoline_kernelINS0_13select_configILj256ELj13ELNS0_17block_load_methodE3ELS4_3ELS4_3ELNS0_20block_scan_algorithmE0ELj4294967295EEENS1_25partition_config_selectorILNS1_17partition_subalgoE4EjNS0_10empty_typeEbEEZZNS1_14partition_implILS8_4ELb0ES6_15HIP_vector_typeIjLj2EENS0_17counting_iteratorIjlEEPS9_SG_NS0_5tupleIJPjSI_NS0_16reverse_iteratorISI_EEEEENSH_IJSG_SG_SG_EEES9_SI_JZNS1_25segmented_radix_sort_implINS0_14default_configELb0EPKbPbPKlPlN2at6native12_GLOBAL__N_18offset_tEEE10hipError_tPvRmT1_PNSt15iterator_traitsIS12_E10value_typeET2_T3_PNS13_IS18_E10value_typeET4_jRbjT5_S1E_jjP12ihipStream_tbEUljE_ZNSN_ISO_Lb0ESQ_SR_ST_SU_SY_EESZ_S10_S11_S12_S16_S17_S18_S1B_S1C_jS1D_jS1E_S1E_jjS1G_bEUljE0_EEESZ_S10_S11_S18_S1C_S1E_T6_T7_T9_mT8_S1G_bDpT10_ENKUlT_T0_E_clISt17integral_constantIbLb0EES1T_IbLb1EEEEDaS1P_S1Q_EUlS1P_E_NS1_11comp_targetILNS1_3genE8ELNS1_11target_archE1030ELNS1_3gpuE2ELNS1_3repE0EEENS1_30default_config_static_selectorELNS0_4arch9wavefront6targetE1EEEvS12_ ; -- Begin function _ZN7rocprim17ROCPRIM_400000_NS6detail17trampoline_kernelINS0_13select_configILj256ELj13ELNS0_17block_load_methodE3ELS4_3ELS4_3ELNS0_20block_scan_algorithmE0ELj4294967295EEENS1_25partition_config_selectorILNS1_17partition_subalgoE4EjNS0_10empty_typeEbEEZZNS1_14partition_implILS8_4ELb0ES6_15HIP_vector_typeIjLj2EENS0_17counting_iteratorIjlEEPS9_SG_NS0_5tupleIJPjSI_NS0_16reverse_iteratorISI_EEEEENSH_IJSG_SG_SG_EEES9_SI_JZNS1_25segmented_radix_sort_implINS0_14default_configELb0EPKbPbPKlPlN2at6native12_GLOBAL__N_18offset_tEEE10hipError_tPvRmT1_PNSt15iterator_traitsIS12_E10value_typeET2_T3_PNS13_IS18_E10value_typeET4_jRbjT5_S1E_jjP12ihipStream_tbEUljE_ZNSN_ISO_Lb0ESQ_SR_ST_SU_SY_EESZ_S10_S11_S12_S16_S17_S18_S1B_S1C_jS1D_jS1E_S1E_jjS1G_bEUljE0_EEESZ_S10_S11_S18_S1C_S1E_T6_T7_T9_mT8_S1G_bDpT10_ENKUlT_T0_E_clISt17integral_constantIbLb0EES1T_IbLb1EEEEDaS1P_S1Q_EUlS1P_E_NS1_11comp_targetILNS1_3genE8ELNS1_11target_archE1030ELNS1_3gpuE2ELNS1_3repE0EEENS1_30default_config_static_selectorELNS0_4arch9wavefront6targetE1EEEvS12_
	.p2align	8
	.type	_ZN7rocprim17ROCPRIM_400000_NS6detail17trampoline_kernelINS0_13select_configILj256ELj13ELNS0_17block_load_methodE3ELS4_3ELS4_3ELNS0_20block_scan_algorithmE0ELj4294967295EEENS1_25partition_config_selectorILNS1_17partition_subalgoE4EjNS0_10empty_typeEbEEZZNS1_14partition_implILS8_4ELb0ES6_15HIP_vector_typeIjLj2EENS0_17counting_iteratorIjlEEPS9_SG_NS0_5tupleIJPjSI_NS0_16reverse_iteratorISI_EEEEENSH_IJSG_SG_SG_EEES9_SI_JZNS1_25segmented_radix_sort_implINS0_14default_configELb0EPKbPbPKlPlN2at6native12_GLOBAL__N_18offset_tEEE10hipError_tPvRmT1_PNSt15iterator_traitsIS12_E10value_typeET2_T3_PNS13_IS18_E10value_typeET4_jRbjT5_S1E_jjP12ihipStream_tbEUljE_ZNSN_ISO_Lb0ESQ_SR_ST_SU_SY_EESZ_S10_S11_S12_S16_S17_S18_S1B_S1C_jS1D_jS1E_S1E_jjS1G_bEUljE0_EEESZ_S10_S11_S18_S1C_S1E_T6_T7_T9_mT8_S1G_bDpT10_ENKUlT_T0_E_clISt17integral_constantIbLb0EES1T_IbLb1EEEEDaS1P_S1Q_EUlS1P_E_NS1_11comp_targetILNS1_3genE8ELNS1_11target_archE1030ELNS1_3gpuE2ELNS1_3repE0EEENS1_30default_config_static_selectorELNS0_4arch9wavefront6targetE1EEEvS12_,@function
_ZN7rocprim17ROCPRIM_400000_NS6detail17trampoline_kernelINS0_13select_configILj256ELj13ELNS0_17block_load_methodE3ELS4_3ELS4_3ELNS0_20block_scan_algorithmE0ELj4294967295EEENS1_25partition_config_selectorILNS1_17partition_subalgoE4EjNS0_10empty_typeEbEEZZNS1_14partition_implILS8_4ELb0ES6_15HIP_vector_typeIjLj2EENS0_17counting_iteratorIjlEEPS9_SG_NS0_5tupleIJPjSI_NS0_16reverse_iteratorISI_EEEEENSH_IJSG_SG_SG_EEES9_SI_JZNS1_25segmented_radix_sort_implINS0_14default_configELb0EPKbPbPKlPlN2at6native12_GLOBAL__N_18offset_tEEE10hipError_tPvRmT1_PNSt15iterator_traitsIS12_E10value_typeET2_T3_PNS13_IS18_E10value_typeET4_jRbjT5_S1E_jjP12ihipStream_tbEUljE_ZNSN_ISO_Lb0ESQ_SR_ST_SU_SY_EESZ_S10_S11_S12_S16_S17_S18_S1B_S1C_jS1D_jS1E_S1E_jjS1G_bEUljE0_EEESZ_S10_S11_S18_S1C_S1E_T6_T7_T9_mT8_S1G_bDpT10_ENKUlT_T0_E_clISt17integral_constantIbLb0EES1T_IbLb1EEEEDaS1P_S1Q_EUlS1P_E_NS1_11comp_targetILNS1_3genE8ELNS1_11target_archE1030ELNS1_3gpuE2ELNS1_3repE0EEENS1_30default_config_static_selectorELNS0_4arch9wavefront6targetE1EEEvS12_: ; @_ZN7rocprim17ROCPRIM_400000_NS6detail17trampoline_kernelINS0_13select_configILj256ELj13ELNS0_17block_load_methodE3ELS4_3ELS4_3ELNS0_20block_scan_algorithmE0ELj4294967295EEENS1_25partition_config_selectorILNS1_17partition_subalgoE4EjNS0_10empty_typeEbEEZZNS1_14partition_implILS8_4ELb0ES6_15HIP_vector_typeIjLj2EENS0_17counting_iteratorIjlEEPS9_SG_NS0_5tupleIJPjSI_NS0_16reverse_iteratorISI_EEEEENSH_IJSG_SG_SG_EEES9_SI_JZNS1_25segmented_radix_sort_implINS0_14default_configELb0EPKbPbPKlPlN2at6native12_GLOBAL__N_18offset_tEEE10hipError_tPvRmT1_PNSt15iterator_traitsIS12_E10value_typeET2_T3_PNS13_IS18_E10value_typeET4_jRbjT5_S1E_jjP12ihipStream_tbEUljE_ZNSN_ISO_Lb0ESQ_SR_ST_SU_SY_EESZ_S10_S11_S12_S16_S17_S18_S1B_S1C_jS1D_jS1E_S1E_jjS1G_bEUljE0_EEESZ_S10_S11_S18_S1C_S1E_T6_T7_T9_mT8_S1G_bDpT10_ENKUlT_T0_E_clISt17integral_constantIbLb0EES1T_IbLb1EEEEDaS1P_S1Q_EUlS1P_E_NS1_11comp_targetILNS1_3genE8ELNS1_11target_archE1030ELNS1_3gpuE2ELNS1_3repE0EEENS1_30default_config_static_selectorELNS0_4arch9wavefront6targetE1EEEvS12_
; %bb.0:
	.section	.rodata,"a",@progbits
	.p2align	6, 0x0
	.amdhsa_kernel _ZN7rocprim17ROCPRIM_400000_NS6detail17trampoline_kernelINS0_13select_configILj256ELj13ELNS0_17block_load_methodE3ELS4_3ELS4_3ELNS0_20block_scan_algorithmE0ELj4294967295EEENS1_25partition_config_selectorILNS1_17partition_subalgoE4EjNS0_10empty_typeEbEEZZNS1_14partition_implILS8_4ELb0ES6_15HIP_vector_typeIjLj2EENS0_17counting_iteratorIjlEEPS9_SG_NS0_5tupleIJPjSI_NS0_16reverse_iteratorISI_EEEEENSH_IJSG_SG_SG_EEES9_SI_JZNS1_25segmented_radix_sort_implINS0_14default_configELb0EPKbPbPKlPlN2at6native12_GLOBAL__N_18offset_tEEE10hipError_tPvRmT1_PNSt15iterator_traitsIS12_E10value_typeET2_T3_PNS13_IS18_E10value_typeET4_jRbjT5_S1E_jjP12ihipStream_tbEUljE_ZNSN_ISO_Lb0ESQ_SR_ST_SU_SY_EESZ_S10_S11_S12_S16_S17_S18_S1B_S1C_jS1D_jS1E_S1E_jjS1G_bEUljE0_EEESZ_S10_S11_S18_S1C_S1E_T6_T7_T9_mT8_S1G_bDpT10_ENKUlT_T0_E_clISt17integral_constantIbLb0EES1T_IbLb1EEEEDaS1P_S1Q_EUlS1P_E_NS1_11comp_targetILNS1_3genE8ELNS1_11target_archE1030ELNS1_3gpuE2ELNS1_3repE0EEENS1_30default_config_static_selectorELNS0_4arch9wavefront6targetE1EEEvS12_
		.amdhsa_group_segment_fixed_size 0
		.amdhsa_private_segment_fixed_size 0
		.amdhsa_kernarg_size 184
		.amdhsa_user_sgpr_count 6
		.amdhsa_user_sgpr_private_segment_buffer 1
		.amdhsa_user_sgpr_dispatch_ptr 0
		.amdhsa_user_sgpr_queue_ptr 0
		.amdhsa_user_sgpr_kernarg_segment_ptr 1
		.amdhsa_user_sgpr_dispatch_id 0
		.amdhsa_user_sgpr_flat_scratch_init 0
		.amdhsa_user_sgpr_private_segment_size 0
		.amdhsa_uses_dynamic_stack 0
		.amdhsa_system_sgpr_private_segment_wavefront_offset 0
		.amdhsa_system_sgpr_workgroup_id_x 1
		.amdhsa_system_sgpr_workgroup_id_y 0
		.amdhsa_system_sgpr_workgroup_id_z 0
		.amdhsa_system_sgpr_workgroup_info 0
		.amdhsa_system_vgpr_workitem_id 0
		.amdhsa_next_free_vgpr 1
		.amdhsa_next_free_sgpr 0
		.amdhsa_reserve_vcc 0
		.amdhsa_reserve_flat_scratch 0
		.amdhsa_float_round_mode_32 0
		.amdhsa_float_round_mode_16_64 0
		.amdhsa_float_denorm_mode_32 3
		.amdhsa_float_denorm_mode_16_64 3
		.amdhsa_dx10_clamp 1
		.amdhsa_ieee_mode 1
		.amdhsa_fp16_overflow 0
		.amdhsa_exception_fp_ieee_invalid_op 0
		.amdhsa_exception_fp_denorm_src 0
		.amdhsa_exception_fp_ieee_div_zero 0
		.amdhsa_exception_fp_ieee_overflow 0
		.amdhsa_exception_fp_ieee_underflow 0
		.amdhsa_exception_fp_ieee_inexact 0
		.amdhsa_exception_int_div_zero 0
	.end_amdhsa_kernel
	.section	.text._ZN7rocprim17ROCPRIM_400000_NS6detail17trampoline_kernelINS0_13select_configILj256ELj13ELNS0_17block_load_methodE3ELS4_3ELS4_3ELNS0_20block_scan_algorithmE0ELj4294967295EEENS1_25partition_config_selectorILNS1_17partition_subalgoE4EjNS0_10empty_typeEbEEZZNS1_14partition_implILS8_4ELb0ES6_15HIP_vector_typeIjLj2EENS0_17counting_iteratorIjlEEPS9_SG_NS0_5tupleIJPjSI_NS0_16reverse_iteratorISI_EEEEENSH_IJSG_SG_SG_EEES9_SI_JZNS1_25segmented_radix_sort_implINS0_14default_configELb0EPKbPbPKlPlN2at6native12_GLOBAL__N_18offset_tEEE10hipError_tPvRmT1_PNSt15iterator_traitsIS12_E10value_typeET2_T3_PNS13_IS18_E10value_typeET4_jRbjT5_S1E_jjP12ihipStream_tbEUljE_ZNSN_ISO_Lb0ESQ_SR_ST_SU_SY_EESZ_S10_S11_S12_S16_S17_S18_S1B_S1C_jS1D_jS1E_S1E_jjS1G_bEUljE0_EEESZ_S10_S11_S18_S1C_S1E_T6_T7_T9_mT8_S1G_bDpT10_ENKUlT_T0_E_clISt17integral_constantIbLb0EES1T_IbLb1EEEEDaS1P_S1Q_EUlS1P_E_NS1_11comp_targetILNS1_3genE8ELNS1_11target_archE1030ELNS1_3gpuE2ELNS1_3repE0EEENS1_30default_config_static_selectorELNS0_4arch9wavefront6targetE1EEEvS12_,"axG",@progbits,_ZN7rocprim17ROCPRIM_400000_NS6detail17trampoline_kernelINS0_13select_configILj256ELj13ELNS0_17block_load_methodE3ELS4_3ELS4_3ELNS0_20block_scan_algorithmE0ELj4294967295EEENS1_25partition_config_selectorILNS1_17partition_subalgoE4EjNS0_10empty_typeEbEEZZNS1_14partition_implILS8_4ELb0ES6_15HIP_vector_typeIjLj2EENS0_17counting_iteratorIjlEEPS9_SG_NS0_5tupleIJPjSI_NS0_16reverse_iteratorISI_EEEEENSH_IJSG_SG_SG_EEES9_SI_JZNS1_25segmented_radix_sort_implINS0_14default_configELb0EPKbPbPKlPlN2at6native12_GLOBAL__N_18offset_tEEE10hipError_tPvRmT1_PNSt15iterator_traitsIS12_E10value_typeET2_T3_PNS13_IS18_E10value_typeET4_jRbjT5_S1E_jjP12ihipStream_tbEUljE_ZNSN_ISO_Lb0ESQ_SR_ST_SU_SY_EESZ_S10_S11_S12_S16_S17_S18_S1B_S1C_jS1D_jS1E_S1E_jjS1G_bEUljE0_EEESZ_S10_S11_S18_S1C_S1E_T6_T7_T9_mT8_S1G_bDpT10_ENKUlT_T0_E_clISt17integral_constantIbLb0EES1T_IbLb1EEEEDaS1P_S1Q_EUlS1P_E_NS1_11comp_targetILNS1_3genE8ELNS1_11target_archE1030ELNS1_3gpuE2ELNS1_3repE0EEENS1_30default_config_static_selectorELNS0_4arch9wavefront6targetE1EEEvS12_,comdat
.Lfunc_end1602:
	.size	_ZN7rocprim17ROCPRIM_400000_NS6detail17trampoline_kernelINS0_13select_configILj256ELj13ELNS0_17block_load_methodE3ELS4_3ELS4_3ELNS0_20block_scan_algorithmE0ELj4294967295EEENS1_25partition_config_selectorILNS1_17partition_subalgoE4EjNS0_10empty_typeEbEEZZNS1_14partition_implILS8_4ELb0ES6_15HIP_vector_typeIjLj2EENS0_17counting_iteratorIjlEEPS9_SG_NS0_5tupleIJPjSI_NS0_16reverse_iteratorISI_EEEEENSH_IJSG_SG_SG_EEES9_SI_JZNS1_25segmented_radix_sort_implINS0_14default_configELb0EPKbPbPKlPlN2at6native12_GLOBAL__N_18offset_tEEE10hipError_tPvRmT1_PNSt15iterator_traitsIS12_E10value_typeET2_T3_PNS13_IS18_E10value_typeET4_jRbjT5_S1E_jjP12ihipStream_tbEUljE_ZNSN_ISO_Lb0ESQ_SR_ST_SU_SY_EESZ_S10_S11_S12_S16_S17_S18_S1B_S1C_jS1D_jS1E_S1E_jjS1G_bEUljE0_EEESZ_S10_S11_S18_S1C_S1E_T6_T7_T9_mT8_S1G_bDpT10_ENKUlT_T0_E_clISt17integral_constantIbLb0EES1T_IbLb1EEEEDaS1P_S1Q_EUlS1P_E_NS1_11comp_targetILNS1_3genE8ELNS1_11target_archE1030ELNS1_3gpuE2ELNS1_3repE0EEENS1_30default_config_static_selectorELNS0_4arch9wavefront6targetE1EEEvS12_, .Lfunc_end1602-_ZN7rocprim17ROCPRIM_400000_NS6detail17trampoline_kernelINS0_13select_configILj256ELj13ELNS0_17block_load_methodE3ELS4_3ELS4_3ELNS0_20block_scan_algorithmE0ELj4294967295EEENS1_25partition_config_selectorILNS1_17partition_subalgoE4EjNS0_10empty_typeEbEEZZNS1_14partition_implILS8_4ELb0ES6_15HIP_vector_typeIjLj2EENS0_17counting_iteratorIjlEEPS9_SG_NS0_5tupleIJPjSI_NS0_16reverse_iteratorISI_EEEEENSH_IJSG_SG_SG_EEES9_SI_JZNS1_25segmented_radix_sort_implINS0_14default_configELb0EPKbPbPKlPlN2at6native12_GLOBAL__N_18offset_tEEE10hipError_tPvRmT1_PNSt15iterator_traitsIS12_E10value_typeET2_T3_PNS13_IS18_E10value_typeET4_jRbjT5_S1E_jjP12ihipStream_tbEUljE_ZNSN_ISO_Lb0ESQ_SR_ST_SU_SY_EESZ_S10_S11_S12_S16_S17_S18_S1B_S1C_jS1D_jS1E_S1E_jjS1G_bEUljE0_EEESZ_S10_S11_S18_S1C_S1E_T6_T7_T9_mT8_S1G_bDpT10_ENKUlT_T0_E_clISt17integral_constantIbLb0EES1T_IbLb1EEEEDaS1P_S1Q_EUlS1P_E_NS1_11comp_targetILNS1_3genE8ELNS1_11target_archE1030ELNS1_3gpuE2ELNS1_3repE0EEENS1_30default_config_static_selectorELNS0_4arch9wavefront6targetE1EEEvS12_
                                        ; -- End function
	.set _ZN7rocprim17ROCPRIM_400000_NS6detail17trampoline_kernelINS0_13select_configILj256ELj13ELNS0_17block_load_methodE3ELS4_3ELS4_3ELNS0_20block_scan_algorithmE0ELj4294967295EEENS1_25partition_config_selectorILNS1_17partition_subalgoE4EjNS0_10empty_typeEbEEZZNS1_14partition_implILS8_4ELb0ES6_15HIP_vector_typeIjLj2EENS0_17counting_iteratorIjlEEPS9_SG_NS0_5tupleIJPjSI_NS0_16reverse_iteratorISI_EEEEENSH_IJSG_SG_SG_EEES9_SI_JZNS1_25segmented_radix_sort_implINS0_14default_configELb0EPKbPbPKlPlN2at6native12_GLOBAL__N_18offset_tEEE10hipError_tPvRmT1_PNSt15iterator_traitsIS12_E10value_typeET2_T3_PNS13_IS18_E10value_typeET4_jRbjT5_S1E_jjP12ihipStream_tbEUljE_ZNSN_ISO_Lb0ESQ_SR_ST_SU_SY_EESZ_S10_S11_S12_S16_S17_S18_S1B_S1C_jS1D_jS1E_S1E_jjS1G_bEUljE0_EEESZ_S10_S11_S18_S1C_S1E_T6_T7_T9_mT8_S1G_bDpT10_ENKUlT_T0_E_clISt17integral_constantIbLb0EES1T_IbLb1EEEEDaS1P_S1Q_EUlS1P_E_NS1_11comp_targetILNS1_3genE8ELNS1_11target_archE1030ELNS1_3gpuE2ELNS1_3repE0EEENS1_30default_config_static_selectorELNS0_4arch9wavefront6targetE1EEEvS12_.num_vgpr, 0
	.set _ZN7rocprim17ROCPRIM_400000_NS6detail17trampoline_kernelINS0_13select_configILj256ELj13ELNS0_17block_load_methodE3ELS4_3ELS4_3ELNS0_20block_scan_algorithmE0ELj4294967295EEENS1_25partition_config_selectorILNS1_17partition_subalgoE4EjNS0_10empty_typeEbEEZZNS1_14partition_implILS8_4ELb0ES6_15HIP_vector_typeIjLj2EENS0_17counting_iteratorIjlEEPS9_SG_NS0_5tupleIJPjSI_NS0_16reverse_iteratorISI_EEEEENSH_IJSG_SG_SG_EEES9_SI_JZNS1_25segmented_radix_sort_implINS0_14default_configELb0EPKbPbPKlPlN2at6native12_GLOBAL__N_18offset_tEEE10hipError_tPvRmT1_PNSt15iterator_traitsIS12_E10value_typeET2_T3_PNS13_IS18_E10value_typeET4_jRbjT5_S1E_jjP12ihipStream_tbEUljE_ZNSN_ISO_Lb0ESQ_SR_ST_SU_SY_EESZ_S10_S11_S12_S16_S17_S18_S1B_S1C_jS1D_jS1E_S1E_jjS1G_bEUljE0_EEESZ_S10_S11_S18_S1C_S1E_T6_T7_T9_mT8_S1G_bDpT10_ENKUlT_T0_E_clISt17integral_constantIbLb0EES1T_IbLb1EEEEDaS1P_S1Q_EUlS1P_E_NS1_11comp_targetILNS1_3genE8ELNS1_11target_archE1030ELNS1_3gpuE2ELNS1_3repE0EEENS1_30default_config_static_selectorELNS0_4arch9wavefront6targetE1EEEvS12_.num_agpr, 0
	.set _ZN7rocprim17ROCPRIM_400000_NS6detail17trampoline_kernelINS0_13select_configILj256ELj13ELNS0_17block_load_methodE3ELS4_3ELS4_3ELNS0_20block_scan_algorithmE0ELj4294967295EEENS1_25partition_config_selectorILNS1_17partition_subalgoE4EjNS0_10empty_typeEbEEZZNS1_14partition_implILS8_4ELb0ES6_15HIP_vector_typeIjLj2EENS0_17counting_iteratorIjlEEPS9_SG_NS0_5tupleIJPjSI_NS0_16reverse_iteratorISI_EEEEENSH_IJSG_SG_SG_EEES9_SI_JZNS1_25segmented_radix_sort_implINS0_14default_configELb0EPKbPbPKlPlN2at6native12_GLOBAL__N_18offset_tEEE10hipError_tPvRmT1_PNSt15iterator_traitsIS12_E10value_typeET2_T3_PNS13_IS18_E10value_typeET4_jRbjT5_S1E_jjP12ihipStream_tbEUljE_ZNSN_ISO_Lb0ESQ_SR_ST_SU_SY_EESZ_S10_S11_S12_S16_S17_S18_S1B_S1C_jS1D_jS1E_S1E_jjS1G_bEUljE0_EEESZ_S10_S11_S18_S1C_S1E_T6_T7_T9_mT8_S1G_bDpT10_ENKUlT_T0_E_clISt17integral_constantIbLb0EES1T_IbLb1EEEEDaS1P_S1Q_EUlS1P_E_NS1_11comp_targetILNS1_3genE8ELNS1_11target_archE1030ELNS1_3gpuE2ELNS1_3repE0EEENS1_30default_config_static_selectorELNS0_4arch9wavefront6targetE1EEEvS12_.numbered_sgpr, 0
	.set _ZN7rocprim17ROCPRIM_400000_NS6detail17trampoline_kernelINS0_13select_configILj256ELj13ELNS0_17block_load_methodE3ELS4_3ELS4_3ELNS0_20block_scan_algorithmE0ELj4294967295EEENS1_25partition_config_selectorILNS1_17partition_subalgoE4EjNS0_10empty_typeEbEEZZNS1_14partition_implILS8_4ELb0ES6_15HIP_vector_typeIjLj2EENS0_17counting_iteratorIjlEEPS9_SG_NS0_5tupleIJPjSI_NS0_16reverse_iteratorISI_EEEEENSH_IJSG_SG_SG_EEES9_SI_JZNS1_25segmented_radix_sort_implINS0_14default_configELb0EPKbPbPKlPlN2at6native12_GLOBAL__N_18offset_tEEE10hipError_tPvRmT1_PNSt15iterator_traitsIS12_E10value_typeET2_T3_PNS13_IS18_E10value_typeET4_jRbjT5_S1E_jjP12ihipStream_tbEUljE_ZNSN_ISO_Lb0ESQ_SR_ST_SU_SY_EESZ_S10_S11_S12_S16_S17_S18_S1B_S1C_jS1D_jS1E_S1E_jjS1G_bEUljE0_EEESZ_S10_S11_S18_S1C_S1E_T6_T7_T9_mT8_S1G_bDpT10_ENKUlT_T0_E_clISt17integral_constantIbLb0EES1T_IbLb1EEEEDaS1P_S1Q_EUlS1P_E_NS1_11comp_targetILNS1_3genE8ELNS1_11target_archE1030ELNS1_3gpuE2ELNS1_3repE0EEENS1_30default_config_static_selectorELNS0_4arch9wavefront6targetE1EEEvS12_.num_named_barrier, 0
	.set _ZN7rocprim17ROCPRIM_400000_NS6detail17trampoline_kernelINS0_13select_configILj256ELj13ELNS0_17block_load_methodE3ELS4_3ELS4_3ELNS0_20block_scan_algorithmE0ELj4294967295EEENS1_25partition_config_selectorILNS1_17partition_subalgoE4EjNS0_10empty_typeEbEEZZNS1_14partition_implILS8_4ELb0ES6_15HIP_vector_typeIjLj2EENS0_17counting_iteratorIjlEEPS9_SG_NS0_5tupleIJPjSI_NS0_16reverse_iteratorISI_EEEEENSH_IJSG_SG_SG_EEES9_SI_JZNS1_25segmented_radix_sort_implINS0_14default_configELb0EPKbPbPKlPlN2at6native12_GLOBAL__N_18offset_tEEE10hipError_tPvRmT1_PNSt15iterator_traitsIS12_E10value_typeET2_T3_PNS13_IS18_E10value_typeET4_jRbjT5_S1E_jjP12ihipStream_tbEUljE_ZNSN_ISO_Lb0ESQ_SR_ST_SU_SY_EESZ_S10_S11_S12_S16_S17_S18_S1B_S1C_jS1D_jS1E_S1E_jjS1G_bEUljE0_EEESZ_S10_S11_S18_S1C_S1E_T6_T7_T9_mT8_S1G_bDpT10_ENKUlT_T0_E_clISt17integral_constantIbLb0EES1T_IbLb1EEEEDaS1P_S1Q_EUlS1P_E_NS1_11comp_targetILNS1_3genE8ELNS1_11target_archE1030ELNS1_3gpuE2ELNS1_3repE0EEENS1_30default_config_static_selectorELNS0_4arch9wavefront6targetE1EEEvS12_.private_seg_size, 0
	.set _ZN7rocprim17ROCPRIM_400000_NS6detail17trampoline_kernelINS0_13select_configILj256ELj13ELNS0_17block_load_methodE3ELS4_3ELS4_3ELNS0_20block_scan_algorithmE0ELj4294967295EEENS1_25partition_config_selectorILNS1_17partition_subalgoE4EjNS0_10empty_typeEbEEZZNS1_14partition_implILS8_4ELb0ES6_15HIP_vector_typeIjLj2EENS0_17counting_iteratorIjlEEPS9_SG_NS0_5tupleIJPjSI_NS0_16reverse_iteratorISI_EEEEENSH_IJSG_SG_SG_EEES9_SI_JZNS1_25segmented_radix_sort_implINS0_14default_configELb0EPKbPbPKlPlN2at6native12_GLOBAL__N_18offset_tEEE10hipError_tPvRmT1_PNSt15iterator_traitsIS12_E10value_typeET2_T3_PNS13_IS18_E10value_typeET4_jRbjT5_S1E_jjP12ihipStream_tbEUljE_ZNSN_ISO_Lb0ESQ_SR_ST_SU_SY_EESZ_S10_S11_S12_S16_S17_S18_S1B_S1C_jS1D_jS1E_S1E_jjS1G_bEUljE0_EEESZ_S10_S11_S18_S1C_S1E_T6_T7_T9_mT8_S1G_bDpT10_ENKUlT_T0_E_clISt17integral_constantIbLb0EES1T_IbLb1EEEEDaS1P_S1Q_EUlS1P_E_NS1_11comp_targetILNS1_3genE8ELNS1_11target_archE1030ELNS1_3gpuE2ELNS1_3repE0EEENS1_30default_config_static_selectorELNS0_4arch9wavefront6targetE1EEEvS12_.uses_vcc, 0
	.set _ZN7rocprim17ROCPRIM_400000_NS6detail17trampoline_kernelINS0_13select_configILj256ELj13ELNS0_17block_load_methodE3ELS4_3ELS4_3ELNS0_20block_scan_algorithmE0ELj4294967295EEENS1_25partition_config_selectorILNS1_17partition_subalgoE4EjNS0_10empty_typeEbEEZZNS1_14partition_implILS8_4ELb0ES6_15HIP_vector_typeIjLj2EENS0_17counting_iteratorIjlEEPS9_SG_NS0_5tupleIJPjSI_NS0_16reverse_iteratorISI_EEEEENSH_IJSG_SG_SG_EEES9_SI_JZNS1_25segmented_radix_sort_implINS0_14default_configELb0EPKbPbPKlPlN2at6native12_GLOBAL__N_18offset_tEEE10hipError_tPvRmT1_PNSt15iterator_traitsIS12_E10value_typeET2_T3_PNS13_IS18_E10value_typeET4_jRbjT5_S1E_jjP12ihipStream_tbEUljE_ZNSN_ISO_Lb0ESQ_SR_ST_SU_SY_EESZ_S10_S11_S12_S16_S17_S18_S1B_S1C_jS1D_jS1E_S1E_jjS1G_bEUljE0_EEESZ_S10_S11_S18_S1C_S1E_T6_T7_T9_mT8_S1G_bDpT10_ENKUlT_T0_E_clISt17integral_constantIbLb0EES1T_IbLb1EEEEDaS1P_S1Q_EUlS1P_E_NS1_11comp_targetILNS1_3genE8ELNS1_11target_archE1030ELNS1_3gpuE2ELNS1_3repE0EEENS1_30default_config_static_selectorELNS0_4arch9wavefront6targetE1EEEvS12_.uses_flat_scratch, 0
	.set _ZN7rocprim17ROCPRIM_400000_NS6detail17trampoline_kernelINS0_13select_configILj256ELj13ELNS0_17block_load_methodE3ELS4_3ELS4_3ELNS0_20block_scan_algorithmE0ELj4294967295EEENS1_25partition_config_selectorILNS1_17partition_subalgoE4EjNS0_10empty_typeEbEEZZNS1_14partition_implILS8_4ELb0ES6_15HIP_vector_typeIjLj2EENS0_17counting_iteratorIjlEEPS9_SG_NS0_5tupleIJPjSI_NS0_16reverse_iteratorISI_EEEEENSH_IJSG_SG_SG_EEES9_SI_JZNS1_25segmented_radix_sort_implINS0_14default_configELb0EPKbPbPKlPlN2at6native12_GLOBAL__N_18offset_tEEE10hipError_tPvRmT1_PNSt15iterator_traitsIS12_E10value_typeET2_T3_PNS13_IS18_E10value_typeET4_jRbjT5_S1E_jjP12ihipStream_tbEUljE_ZNSN_ISO_Lb0ESQ_SR_ST_SU_SY_EESZ_S10_S11_S12_S16_S17_S18_S1B_S1C_jS1D_jS1E_S1E_jjS1G_bEUljE0_EEESZ_S10_S11_S18_S1C_S1E_T6_T7_T9_mT8_S1G_bDpT10_ENKUlT_T0_E_clISt17integral_constantIbLb0EES1T_IbLb1EEEEDaS1P_S1Q_EUlS1P_E_NS1_11comp_targetILNS1_3genE8ELNS1_11target_archE1030ELNS1_3gpuE2ELNS1_3repE0EEENS1_30default_config_static_selectorELNS0_4arch9wavefront6targetE1EEEvS12_.has_dyn_sized_stack, 0
	.set _ZN7rocprim17ROCPRIM_400000_NS6detail17trampoline_kernelINS0_13select_configILj256ELj13ELNS0_17block_load_methodE3ELS4_3ELS4_3ELNS0_20block_scan_algorithmE0ELj4294967295EEENS1_25partition_config_selectorILNS1_17partition_subalgoE4EjNS0_10empty_typeEbEEZZNS1_14partition_implILS8_4ELb0ES6_15HIP_vector_typeIjLj2EENS0_17counting_iteratorIjlEEPS9_SG_NS0_5tupleIJPjSI_NS0_16reverse_iteratorISI_EEEEENSH_IJSG_SG_SG_EEES9_SI_JZNS1_25segmented_radix_sort_implINS0_14default_configELb0EPKbPbPKlPlN2at6native12_GLOBAL__N_18offset_tEEE10hipError_tPvRmT1_PNSt15iterator_traitsIS12_E10value_typeET2_T3_PNS13_IS18_E10value_typeET4_jRbjT5_S1E_jjP12ihipStream_tbEUljE_ZNSN_ISO_Lb0ESQ_SR_ST_SU_SY_EESZ_S10_S11_S12_S16_S17_S18_S1B_S1C_jS1D_jS1E_S1E_jjS1G_bEUljE0_EEESZ_S10_S11_S18_S1C_S1E_T6_T7_T9_mT8_S1G_bDpT10_ENKUlT_T0_E_clISt17integral_constantIbLb0EES1T_IbLb1EEEEDaS1P_S1Q_EUlS1P_E_NS1_11comp_targetILNS1_3genE8ELNS1_11target_archE1030ELNS1_3gpuE2ELNS1_3repE0EEENS1_30default_config_static_selectorELNS0_4arch9wavefront6targetE1EEEvS12_.has_recursion, 0
	.set _ZN7rocprim17ROCPRIM_400000_NS6detail17trampoline_kernelINS0_13select_configILj256ELj13ELNS0_17block_load_methodE3ELS4_3ELS4_3ELNS0_20block_scan_algorithmE0ELj4294967295EEENS1_25partition_config_selectorILNS1_17partition_subalgoE4EjNS0_10empty_typeEbEEZZNS1_14partition_implILS8_4ELb0ES6_15HIP_vector_typeIjLj2EENS0_17counting_iteratorIjlEEPS9_SG_NS0_5tupleIJPjSI_NS0_16reverse_iteratorISI_EEEEENSH_IJSG_SG_SG_EEES9_SI_JZNS1_25segmented_radix_sort_implINS0_14default_configELb0EPKbPbPKlPlN2at6native12_GLOBAL__N_18offset_tEEE10hipError_tPvRmT1_PNSt15iterator_traitsIS12_E10value_typeET2_T3_PNS13_IS18_E10value_typeET4_jRbjT5_S1E_jjP12ihipStream_tbEUljE_ZNSN_ISO_Lb0ESQ_SR_ST_SU_SY_EESZ_S10_S11_S12_S16_S17_S18_S1B_S1C_jS1D_jS1E_S1E_jjS1G_bEUljE0_EEESZ_S10_S11_S18_S1C_S1E_T6_T7_T9_mT8_S1G_bDpT10_ENKUlT_T0_E_clISt17integral_constantIbLb0EES1T_IbLb1EEEEDaS1P_S1Q_EUlS1P_E_NS1_11comp_targetILNS1_3genE8ELNS1_11target_archE1030ELNS1_3gpuE2ELNS1_3repE0EEENS1_30default_config_static_selectorELNS0_4arch9wavefront6targetE1EEEvS12_.has_indirect_call, 0
	.section	.AMDGPU.csdata,"",@progbits
; Kernel info:
; codeLenInByte = 0
; TotalNumSgprs: 4
; NumVgprs: 0
; ScratchSize: 0
; MemoryBound: 0
; FloatMode: 240
; IeeeMode: 1
; LDSByteSize: 0 bytes/workgroup (compile time only)
; SGPRBlocks: 0
; VGPRBlocks: 0
; NumSGPRsForWavesPerEU: 4
; NumVGPRsForWavesPerEU: 1
; Occupancy: 10
; WaveLimiterHint : 0
; COMPUTE_PGM_RSRC2:SCRATCH_EN: 0
; COMPUTE_PGM_RSRC2:USER_SGPR: 6
; COMPUTE_PGM_RSRC2:TRAP_HANDLER: 0
; COMPUTE_PGM_RSRC2:TGID_X_EN: 1
; COMPUTE_PGM_RSRC2:TGID_Y_EN: 0
; COMPUTE_PGM_RSRC2:TGID_Z_EN: 0
; COMPUTE_PGM_RSRC2:TIDIG_COMP_CNT: 0
	.section	.text._ZN7rocprim17ROCPRIM_400000_NS6detail17trampoline_kernelINS0_13select_configILj256ELj13ELNS0_17block_load_methodE3ELS4_3ELS4_3ELNS0_20block_scan_algorithmE0ELj4294967295EEENS1_25partition_config_selectorILNS1_17partition_subalgoE3EjNS0_10empty_typeEbEEZZNS1_14partition_implILS8_3ELb0ES6_jNS0_17counting_iteratorIjlEEPS9_SE_NS0_5tupleIJPjSE_EEENSF_IJSE_SE_EEES9_SG_JZNS1_25segmented_radix_sort_implINS0_14default_configELb0EPKbPbPKlPlN2at6native12_GLOBAL__N_18offset_tEEE10hipError_tPvRmT1_PNSt15iterator_traitsISY_E10value_typeET2_T3_PNSZ_IS14_E10value_typeET4_jRbjT5_S1A_jjP12ihipStream_tbEUljE_EEESV_SW_SX_S14_S18_S1A_T6_T7_T9_mT8_S1C_bDpT10_ENKUlT_T0_E_clISt17integral_constantIbLb0EES1P_EEDaS1K_S1L_EUlS1K_E_NS1_11comp_targetILNS1_3genE0ELNS1_11target_archE4294967295ELNS1_3gpuE0ELNS1_3repE0EEENS1_30default_config_static_selectorELNS0_4arch9wavefront6targetE1EEEvSY_,"axG",@progbits,_ZN7rocprim17ROCPRIM_400000_NS6detail17trampoline_kernelINS0_13select_configILj256ELj13ELNS0_17block_load_methodE3ELS4_3ELS4_3ELNS0_20block_scan_algorithmE0ELj4294967295EEENS1_25partition_config_selectorILNS1_17partition_subalgoE3EjNS0_10empty_typeEbEEZZNS1_14partition_implILS8_3ELb0ES6_jNS0_17counting_iteratorIjlEEPS9_SE_NS0_5tupleIJPjSE_EEENSF_IJSE_SE_EEES9_SG_JZNS1_25segmented_radix_sort_implINS0_14default_configELb0EPKbPbPKlPlN2at6native12_GLOBAL__N_18offset_tEEE10hipError_tPvRmT1_PNSt15iterator_traitsISY_E10value_typeET2_T3_PNSZ_IS14_E10value_typeET4_jRbjT5_S1A_jjP12ihipStream_tbEUljE_EEESV_SW_SX_S14_S18_S1A_T6_T7_T9_mT8_S1C_bDpT10_ENKUlT_T0_E_clISt17integral_constantIbLb0EES1P_EEDaS1K_S1L_EUlS1K_E_NS1_11comp_targetILNS1_3genE0ELNS1_11target_archE4294967295ELNS1_3gpuE0ELNS1_3repE0EEENS1_30default_config_static_selectorELNS0_4arch9wavefront6targetE1EEEvSY_,comdat
	.globl	_ZN7rocprim17ROCPRIM_400000_NS6detail17trampoline_kernelINS0_13select_configILj256ELj13ELNS0_17block_load_methodE3ELS4_3ELS4_3ELNS0_20block_scan_algorithmE0ELj4294967295EEENS1_25partition_config_selectorILNS1_17partition_subalgoE3EjNS0_10empty_typeEbEEZZNS1_14partition_implILS8_3ELb0ES6_jNS0_17counting_iteratorIjlEEPS9_SE_NS0_5tupleIJPjSE_EEENSF_IJSE_SE_EEES9_SG_JZNS1_25segmented_radix_sort_implINS0_14default_configELb0EPKbPbPKlPlN2at6native12_GLOBAL__N_18offset_tEEE10hipError_tPvRmT1_PNSt15iterator_traitsISY_E10value_typeET2_T3_PNSZ_IS14_E10value_typeET4_jRbjT5_S1A_jjP12ihipStream_tbEUljE_EEESV_SW_SX_S14_S18_S1A_T6_T7_T9_mT8_S1C_bDpT10_ENKUlT_T0_E_clISt17integral_constantIbLb0EES1P_EEDaS1K_S1L_EUlS1K_E_NS1_11comp_targetILNS1_3genE0ELNS1_11target_archE4294967295ELNS1_3gpuE0ELNS1_3repE0EEENS1_30default_config_static_selectorELNS0_4arch9wavefront6targetE1EEEvSY_ ; -- Begin function _ZN7rocprim17ROCPRIM_400000_NS6detail17trampoline_kernelINS0_13select_configILj256ELj13ELNS0_17block_load_methodE3ELS4_3ELS4_3ELNS0_20block_scan_algorithmE0ELj4294967295EEENS1_25partition_config_selectorILNS1_17partition_subalgoE3EjNS0_10empty_typeEbEEZZNS1_14partition_implILS8_3ELb0ES6_jNS0_17counting_iteratorIjlEEPS9_SE_NS0_5tupleIJPjSE_EEENSF_IJSE_SE_EEES9_SG_JZNS1_25segmented_radix_sort_implINS0_14default_configELb0EPKbPbPKlPlN2at6native12_GLOBAL__N_18offset_tEEE10hipError_tPvRmT1_PNSt15iterator_traitsISY_E10value_typeET2_T3_PNSZ_IS14_E10value_typeET4_jRbjT5_S1A_jjP12ihipStream_tbEUljE_EEESV_SW_SX_S14_S18_S1A_T6_T7_T9_mT8_S1C_bDpT10_ENKUlT_T0_E_clISt17integral_constantIbLb0EES1P_EEDaS1K_S1L_EUlS1K_E_NS1_11comp_targetILNS1_3genE0ELNS1_11target_archE4294967295ELNS1_3gpuE0ELNS1_3repE0EEENS1_30default_config_static_selectorELNS0_4arch9wavefront6targetE1EEEvSY_
	.p2align	8
	.type	_ZN7rocprim17ROCPRIM_400000_NS6detail17trampoline_kernelINS0_13select_configILj256ELj13ELNS0_17block_load_methodE3ELS4_3ELS4_3ELNS0_20block_scan_algorithmE0ELj4294967295EEENS1_25partition_config_selectorILNS1_17partition_subalgoE3EjNS0_10empty_typeEbEEZZNS1_14partition_implILS8_3ELb0ES6_jNS0_17counting_iteratorIjlEEPS9_SE_NS0_5tupleIJPjSE_EEENSF_IJSE_SE_EEES9_SG_JZNS1_25segmented_radix_sort_implINS0_14default_configELb0EPKbPbPKlPlN2at6native12_GLOBAL__N_18offset_tEEE10hipError_tPvRmT1_PNSt15iterator_traitsISY_E10value_typeET2_T3_PNSZ_IS14_E10value_typeET4_jRbjT5_S1A_jjP12ihipStream_tbEUljE_EEESV_SW_SX_S14_S18_S1A_T6_T7_T9_mT8_S1C_bDpT10_ENKUlT_T0_E_clISt17integral_constantIbLb0EES1P_EEDaS1K_S1L_EUlS1K_E_NS1_11comp_targetILNS1_3genE0ELNS1_11target_archE4294967295ELNS1_3gpuE0ELNS1_3repE0EEENS1_30default_config_static_selectorELNS0_4arch9wavefront6targetE1EEEvSY_,@function
_ZN7rocprim17ROCPRIM_400000_NS6detail17trampoline_kernelINS0_13select_configILj256ELj13ELNS0_17block_load_methodE3ELS4_3ELS4_3ELNS0_20block_scan_algorithmE0ELj4294967295EEENS1_25partition_config_selectorILNS1_17partition_subalgoE3EjNS0_10empty_typeEbEEZZNS1_14partition_implILS8_3ELb0ES6_jNS0_17counting_iteratorIjlEEPS9_SE_NS0_5tupleIJPjSE_EEENSF_IJSE_SE_EEES9_SG_JZNS1_25segmented_radix_sort_implINS0_14default_configELb0EPKbPbPKlPlN2at6native12_GLOBAL__N_18offset_tEEE10hipError_tPvRmT1_PNSt15iterator_traitsISY_E10value_typeET2_T3_PNSZ_IS14_E10value_typeET4_jRbjT5_S1A_jjP12ihipStream_tbEUljE_EEESV_SW_SX_S14_S18_S1A_T6_T7_T9_mT8_S1C_bDpT10_ENKUlT_T0_E_clISt17integral_constantIbLb0EES1P_EEDaS1K_S1L_EUlS1K_E_NS1_11comp_targetILNS1_3genE0ELNS1_11target_archE4294967295ELNS1_3gpuE0ELNS1_3repE0EEENS1_30default_config_static_selectorELNS0_4arch9wavefront6targetE1EEEvSY_: ; @_ZN7rocprim17ROCPRIM_400000_NS6detail17trampoline_kernelINS0_13select_configILj256ELj13ELNS0_17block_load_methodE3ELS4_3ELS4_3ELNS0_20block_scan_algorithmE0ELj4294967295EEENS1_25partition_config_selectorILNS1_17partition_subalgoE3EjNS0_10empty_typeEbEEZZNS1_14partition_implILS8_3ELb0ES6_jNS0_17counting_iteratorIjlEEPS9_SE_NS0_5tupleIJPjSE_EEENSF_IJSE_SE_EEES9_SG_JZNS1_25segmented_radix_sort_implINS0_14default_configELb0EPKbPbPKlPlN2at6native12_GLOBAL__N_18offset_tEEE10hipError_tPvRmT1_PNSt15iterator_traitsISY_E10value_typeET2_T3_PNSZ_IS14_E10value_typeET4_jRbjT5_S1A_jjP12ihipStream_tbEUljE_EEESV_SW_SX_S14_S18_S1A_T6_T7_T9_mT8_S1C_bDpT10_ENKUlT_T0_E_clISt17integral_constantIbLb0EES1P_EEDaS1K_S1L_EUlS1K_E_NS1_11comp_targetILNS1_3genE0ELNS1_11target_archE4294967295ELNS1_3gpuE0ELNS1_3repE0EEENS1_30default_config_static_selectorELNS0_4arch9wavefront6targetE1EEEvSY_
; %bb.0:
	.section	.rodata,"a",@progbits
	.p2align	6, 0x0
	.amdhsa_kernel _ZN7rocprim17ROCPRIM_400000_NS6detail17trampoline_kernelINS0_13select_configILj256ELj13ELNS0_17block_load_methodE3ELS4_3ELS4_3ELNS0_20block_scan_algorithmE0ELj4294967295EEENS1_25partition_config_selectorILNS1_17partition_subalgoE3EjNS0_10empty_typeEbEEZZNS1_14partition_implILS8_3ELb0ES6_jNS0_17counting_iteratorIjlEEPS9_SE_NS0_5tupleIJPjSE_EEENSF_IJSE_SE_EEES9_SG_JZNS1_25segmented_radix_sort_implINS0_14default_configELb0EPKbPbPKlPlN2at6native12_GLOBAL__N_18offset_tEEE10hipError_tPvRmT1_PNSt15iterator_traitsISY_E10value_typeET2_T3_PNSZ_IS14_E10value_typeET4_jRbjT5_S1A_jjP12ihipStream_tbEUljE_EEESV_SW_SX_S14_S18_S1A_T6_T7_T9_mT8_S1C_bDpT10_ENKUlT_T0_E_clISt17integral_constantIbLb0EES1P_EEDaS1K_S1L_EUlS1K_E_NS1_11comp_targetILNS1_3genE0ELNS1_11target_archE4294967295ELNS1_3gpuE0ELNS1_3repE0EEENS1_30default_config_static_selectorELNS0_4arch9wavefront6targetE1EEEvSY_
		.amdhsa_group_segment_fixed_size 0
		.amdhsa_private_segment_fixed_size 0
		.amdhsa_kernarg_size 144
		.amdhsa_user_sgpr_count 6
		.amdhsa_user_sgpr_private_segment_buffer 1
		.amdhsa_user_sgpr_dispatch_ptr 0
		.amdhsa_user_sgpr_queue_ptr 0
		.amdhsa_user_sgpr_kernarg_segment_ptr 1
		.amdhsa_user_sgpr_dispatch_id 0
		.amdhsa_user_sgpr_flat_scratch_init 0
		.amdhsa_user_sgpr_private_segment_size 0
		.amdhsa_uses_dynamic_stack 0
		.amdhsa_system_sgpr_private_segment_wavefront_offset 0
		.amdhsa_system_sgpr_workgroup_id_x 1
		.amdhsa_system_sgpr_workgroup_id_y 0
		.amdhsa_system_sgpr_workgroup_id_z 0
		.amdhsa_system_sgpr_workgroup_info 0
		.amdhsa_system_vgpr_workitem_id 0
		.amdhsa_next_free_vgpr 1
		.amdhsa_next_free_sgpr 0
		.amdhsa_reserve_vcc 0
		.amdhsa_reserve_flat_scratch 0
		.amdhsa_float_round_mode_32 0
		.amdhsa_float_round_mode_16_64 0
		.amdhsa_float_denorm_mode_32 3
		.amdhsa_float_denorm_mode_16_64 3
		.amdhsa_dx10_clamp 1
		.amdhsa_ieee_mode 1
		.amdhsa_fp16_overflow 0
		.amdhsa_exception_fp_ieee_invalid_op 0
		.amdhsa_exception_fp_denorm_src 0
		.amdhsa_exception_fp_ieee_div_zero 0
		.amdhsa_exception_fp_ieee_overflow 0
		.amdhsa_exception_fp_ieee_underflow 0
		.amdhsa_exception_fp_ieee_inexact 0
		.amdhsa_exception_int_div_zero 0
	.end_amdhsa_kernel
	.section	.text._ZN7rocprim17ROCPRIM_400000_NS6detail17trampoline_kernelINS0_13select_configILj256ELj13ELNS0_17block_load_methodE3ELS4_3ELS4_3ELNS0_20block_scan_algorithmE0ELj4294967295EEENS1_25partition_config_selectorILNS1_17partition_subalgoE3EjNS0_10empty_typeEbEEZZNS1_14partition_implILS8_3ELb0ES6_jNS0_17counting_iteratorIjlEEPS9_SE_NS0_5tupleIJPjSE_EEENSF_IJSE_SE_EEES9_SG_JZNS1_25segmented_radix_sort_implINS0_14default_configELb0EPKbPbPKlPlN2at6native12_GLOBAL__N_18offset_tEEE10hipError_tPvRmT1_PNSt15iterator_traitsISY_E10value_typeET2_T3_PNSZ_IS14_E10value_typeET4_jRbjT5_S1A_jjP12ihipStream_tbEUljE_EEESV_SW_SX_S14_S18_S1A_T6_T7_T9_mT8_S1C_bDpT10_ENKUlT_T0_E_clISt17integral_constantIbLb0EES1P_EEDaS1K_S1L_EUlS1K_E_NS1_11comp_targetILNS1_3genE0ELNS1_11target_archE4294967295ELNS1_3gpuE0ELNS1_3repE0EEENS1_30default_config_static_selectorELNS0_4arch9wavefront6targetE1EEEvSY_,"axG",@progbits,_ZN7rocprim17ROCPRIM_400000_NS6detail17trampoline_kernelINS0_13select_configILj256ELj13ELNS0_17block_load_methodE3ELS4_3ELS4_3ELNS0_20block_scan_algorithmE0ELj4294967295EEENS1_25partition_config_selectorILNS1_17partition_subalgoE3EjNS0_10empty_typeEbEEZZNS1_14partition_implILS8_3ELb0ES6_jNS0_17counting_iteratorIjlEEPS9_SE_NS0_5tupleIJPjSE_EEENSF_IJSE_SE_EEES9_SG_JZNS1_25segmented_radix_sort_implINS0_14default_configELb0EPKbPbPKlPlN2at6native12_GLOBAL__N_18offset_tEEE10hipError_tPvRmT1_PNSt15iterator_traitsISY_E10value_typeET2_T3_PNSZ_IS14_E10value_typeET4_jRbjT5_S1A_jjP12ihipStream_tbEUljE_EEESV_SW_SX_S14_S18_S1A_T6_T7_T9_mT8_S1C_bDpT10_ENKUlT_T0_E_clISt17integral_constantIbLb0EES1P_EEDaS1K_S1L_EUlS1K_E_NS1_11comp_targetILNS1_3genE0ELNS1_11target_archE4294967295ELNS1_3gpuE0ELNS1_3repE0EEENS1_30default_config_static_selectorELNS0_4arch9wavefront6targetE1EEEvSY_,comdat
.Lfunc_end1603:
	.size	_ZN7rocprim17ROCPRIM_400000_NS6detail17trampoline_kernelINS0_13select_configILj256ELj13ELNS0_17block_load_methodE3ELS4_3ELS4_3ELNS0_20block_scan_algorithmE0ELj4294967295EEENS1_25partition_config_selectorILNS1_17partition_subalgoE3EjNS0_10empty_typeEbEEZZNS1_14partition_implILS8_3ELb0ES6_jNS0_17counting_iteratorIjlEEPS9_SE_NS0_5tupleIJPjSE_EEENSF_IJSE_SE_EEES9_SG_JZNS1_25segmented_radix_sort_implINS0_14default_configELb0EPKbPbPKlPlN2at6native12_GLOBAL__N_18offset_tEEE10hipError_tPvRmT1_PNSt15iterator_traitsISY_E10value_typeET2_T3_PNSZ_IS14_E10value_typeET4_jRbjT5_S1A_jjP12ihipStream_tbEUljE_EEESV_SW_SX_S14_S18_S1A_T6_T7_T9_mT8_S1C_bDpT10_ENKUlT_T0_E_clISt17integral_constantIbLb0EES1P_EEDaS1K_S1L_EUlS1K_E_NS1_11comp_targetILNS1_3genE0ELNS1_11target_archE4294967295ELNS1_3gpuE0ELNS1_3repE0EEENS1_30default_config_static_selectorELNS0_4arch9wavefront6targetE1EEEvSY_, .Lfunc_end1603-_ZN7rocprim17ROCPRIM_400000_NS6detail17trampoline_kernelINS0_13select_configILj256ELj13ELNS0_17block_load_methodE3ELS4_3ELS4_3ELNS0_20block_scan_algorithmE0ELj4294967295EEENS1_25partition_config_selectorILNS1_17partition_subalgoE3EjNS0_10empty_typeEbEEZZNS1_14partition_implILS8_3ELb0ES6_jNS0_17counting_iteratorIjlEEPS9_SE_NS0_5tupleIJPjSE_EEENSF_IJSE_SE_EEES9_SG_JZNS1_25segmented_radix_sort_implINS0_14default_configELb0EPKbPbPKlPlN2at6native12_GLOBAL__N_18offset_tEEE10hipError_tPvRmT1_PNSt15iterator_traitsISY_E10value_typeET2_T3_PNSZ_IS14_E10value_typeET4_jRbjT5_S1A_jjP12ihipStream_tbEUljE_EEESV_SW_SX_S14_S18_S1A_T6_T7_T9_mT8_S1C_bDpT10_ENKUlT_T0_E_clISt17integral_constantIbLb0EES1P_EEDaS1K_S1L_EUlS1K_E_NS1_11comp_targetILNS1_3genE0ELNS1_11target_archE4294967295ELNS1_3gpuE0ELNS1_3repE0EEENS1_30default_config_static_selectorELNS0_4arch9wavefront6targetE1EEEvSY_
                                        ; -- End function
	.set _ZN7rocprim17ROCPRIM_400000_NS6detail17trampoline_kernelINS0_13select_configILj256ELj13ELNS0_17block_load_methodE3ELS4_3ELS4_3ELNS0_20block_scan_algorithmE0ELj4294967295EEENS1_25partition_config_selectorILNS1_17partition_subalgoE3EjNS0_10empty_typeEbEEZZNS1_14partition_implILS8_3ELb0ES6_jNS0_17counting_iteratorIjlEEPS9_SE_NS0_5tupleIJPjSE_EEENSF_IJSE_SE_EEES9_SG_JZNS1_25segmented_radix_sort_implINS0_14default_configELb0EPKbPbPKlPlN2at6native12_GLOBAL__N_18offset_tEEE10hipError_tPvRmT1_PNSt15iterator_traitsISY_E10value_typeET2_T3_PNSZ_IS14_E10value_typeET4_jRbjT5_S1A_jjP12ihipStream_tbEUljE_EEESV_SW_SX_S14_S18_S1A_T6_T7_T9_mT8_S1C_bDpT10_ENKUlT_T0_E_clISt17integral_constantIbLb0EES1P_EEDaS1K_S1L_EUlS1K_E_NS1_11comp_targetILNS1_3genE0ELNS1_11target_archE4294967295ELNS1_3gpuE0ELNS1_3repE0EEENS1_30default_config_static_selectorELNS0_4arch9wavefront6targetE1EEEvSY_.num_vgpr, 0
	.set _ZN7rocprim17ROCPRIM_400000_NS6detail17trampoline_kernelINS0_13select_configILj256ELj13ELNS0_17block_load_methodE3ELS4_3ELS4_3ELNS0_20block_scan_algorithmE0ELj4294967295EEENS1_25partition_config_selectorILNS1_17partition_subalgoE3EjNS0_10empty_typeEbEEZZNS1_14partition_implILS8_3ELb0ES6_jNS0_17counting_iteratorIjlEEPS9_SE_NS0_5tupleIJPjSE_EEENSF_IJSE_SE_EEES9_SG_JZNS1_25segmented_radix_sort_implINS0_14default_configELb0EPKbPbPKlPlN2at6native12_GLOBAL__N_18offset_tEEE10hipError_tPvRmT1_PNSt15iterator_traitsISY_E10value_typeET2_T3_PNSZ_IS14_E10value_typeET4_jRbjT5_S1A_jjP12ihipStream_tbEUljE_EEESV_SW_SX_S14_S18_S1A_T6_T7_T9_mT8_S1C_bDpT10_ENKUlT_T0_E_clISt17integral_constantIbLb0EES1P_EEDaS1K_S1L_EUlS1K_E_NS1_11comp_targetILNS1_3genE0ELNS1_11target_archE4294967295ELNS1_3gpuE0ELNS1_3repE0EEENS1_30default_config_static_selectorELNS0_4arch9wavefront6targetE1EEEvSY_.num_agpr, 0
	.set _ZN7rocprim17ROCPRIM_400000_NS6detail17trampoline_kernelINS0_13select_configILj256ELj13ELNS0_17block_load_methodE3ELS4_3ELS4_3ELNS0_20block_scan_algorithmE0ELj4294967295EEENS1_25partition_config_selectorILNS1_17partition_subalgoE3EjNS0_10empty_typeEbEEZZNS1_14partition_implILS8_3ELb0ES6_jNS0_17counting_iteratorIjlEEPS9_SE_NS0_5tupleIJPjSE_EEENSF_IJSE_SE_EEES9_SG_JZNS1_25segmented_radix_sort_implINS0_14default_configELb0EPKbPbPKlPlN2at6native12_GLOBAL__N_18offset_tEEE10hipError_tPvRmT1_PNSt15iterator_traitsISY_E10value_typeET2_T3_PNSZ_IS14_E10value_typeET4_jRbjT5_S1A_jjP12ihipStream_tbEUljE_EEESV_SW_SX_S14_S18_S1A_T6_T7_T9_mT8_S1C_bDpT10_ENKUlT_T0_E_clISt17integral_constantIbLb0EES1P_EEDaS1K_S1L_EUlS1K_E_NS1_11comp_targetILNS1_3genE0ELNS1_11target_archE4294967295ELNS1_3gpuE0ELNS1_3repE0EEENS1_30default_config_static_selectorELNS0_4arch9wavefront6targetE1EEEvSY_.numbered_sgpr, 0
	.set _ZN7rocprim17ROCPRIM_400000_NS6detail17trampoline_kernelINS0_13select_configILj256ELj13ELNS0_17block_load_methodE3ELS4_3ELS4_3ELNS0_20block_scan_algorithmE0ELj4294967295EEENS1_25partition_config_selectorILNS1_17partition_subalgoE3EjNS0_10empty_typeEbEEZZNS1_14partition_implILS8_3ELb0ES6_jNS0_17counting_iteratorIjlEEPS9_SE_NS0_5tupleIJPjSE_EEENSF_IJSE_SE_EEES9_SG_JZNS1_25segmented_radix_sort_implINS0_14default_configELb0EPKbPbPKlPlN2at6native12_GLOBAL__N_18offset_tEEE10hipError_tPvRmT1_PNSt15iterator_traitsISY_E10value_typeET2_T3_PNSZ_IS14_E10value_typeET4_jRbjT5_S1A_jjP12ihipStream_tbEUljE_EEESV_SW_SX_S14_S18_S1A_T6_T7_T9_mT8_S1C_bDpT10_ENKUlT_T0_E_clISt17integral_constantIbLb0EES1P_EEDaS1K_S1L_EUlS1K_E_NS1_11comp_targetILNS1_3genE0ELNS1_11target_archE4294967295ELNS1_3gpuE0ELNS1_3repE0EEENS1_30default_config_static_selectorELNS0_4arch9wavefront6targetE1EEEvSY_.num_named_barrier, 0
	.set _ZN7rocprim17ROCPRIM_400000_NS6detail17trampoline_kernelINS0_13select_configILj256ELj13ELNS0_17block_load_methodE3ELS4_3ELS4_3ELNS0_20block_scan_algorithmE0ELj4294967295EEENS1_25partition_config_selectorILNS1_17partition_subalgoE3EjNS0_10empty_typeEbEEZZNS1_14partition_implILS8_3ELb0ES6_jNS0_17counting_iteratorIjlEEPS9_SE_NS0_5tupleIJPjSE_EEENSF_IJSE_SE_EEES9_SG_JZNS1_25segmented_radix_sort_implINS0_14default_configELb0EPKbPbPKlPlN2at6native12_GLOBAL__N_18offset_tEEE10hipError_tPvRmT1_PNSt15iterator_traitsISY_E10value_typeET2_T3_PNSZ_IS14_E10value_typeET4_jRbjT5_S1A_jjP12ihipStream_tbEUljE_EEESV_SW_SX_S14_S18_S1A_T6_T7_T9_mT8_S1C_bDpT10_ENKUlT_T0_E_clISt17integral_constantIbLb0EES1P_EEDaS1K_S1L_EUlS1K_E_NS1_11comp_targetILNS1_3genE0ELNS1_11target_archE4294967295ELNS1_3gpuE0ELNS1_3repE0EEENS1_30default_config_static_selectorELNS0_4arch9wavefront6targetE1EEEvSY_.private_seg_size, 0
	.set _ZN7rocprim17ROCPRIM_400000_NS6detail17trampoline_kernelINS0_13select_configILj256ELj13ELNS0_17block_load_methodE3ELS4_3ELS4_3ELNS0_20block_scan_algorithmE0ELj4294967295EEENS1_25partition_config_selectorILNS1_17partition_subalgoE3EjNS0_10empty_typeEbEEZZNS1_14partition_implILS8_3ELb0ES6_jNS0_17counting_iteratorIjlEEPS9_SE_NS0_5tupleIJPjSE_EEENSF_IJSE_SE_EEES9_SG_JZNS1_25segmented_radix_sort_implINS0_14default_configELb0EPKbPbPKlPlN2at6native12_GLOBAL__N_18offset_tEEE10hipError_tPvRmT1_PNSt15iterator_traitsISY_E10value_typeET2_T3_PNSZ_IS14_E10value_typeET4_jRbjT5_S1A_jjP12ihipStream_tbEUljE_EEESV_SW_SX_S14_S18_S1A_T6_T7_T9_mT8_S1C_bDpT10_ENKUlT_T0_E_clISt17integral_constantIbLb0EES1P_EEDaS1K_S1L_EUlS1K_E_NS1_11comp_targetILNS1_3genE0ELNS1_11target_archE4294967295ELNS1_3gpuE0ELNS1_3repE0EEENS1_30default_config_static_selectorELNS0_4arch9wavefront6targetE1EEEvSY_.uses_vcc, 0
	.set _ZN7rocprim17ROCPRIM_400000_NS6detail17trampoline_kernelINS0_13select_configILj256ELj13ELNS0_17block_load_methodE3ELS4_3ELS4_3ELNS0_20block_scan_algorithmE0ELj4294967295EEENS1_25partition_config_selectorILNS1_17partition_subalgoE3EjNS0_10empty_typeEbEEZZNS1_14partition_implILS8_3ELb0ES6_jNS0_17counting_iteratorIjlEEPS9_SE_NS0_5tupleIJPjSE_EEENSF_IJSE_SE_EEES9_SG_JZNS1_25segmented_radix_sort_implINS0_14default_configELb0EPKbPbPKlPlN2at6native12_GLOBAL__N_18offset_tEEE10hipError_tPvRmT1_PNSt15iterator_traitsISY_E10value_typeET2_T3_PNSZ_IS14_E10value_typeET4_jRbjT5_S1A_jjP12ihipStream_tbEUljE_EEESV_SW_SX_S14_S18_S1A_T6_T7_T9_mT8_S1C_bDpT10_ENKUlT_T0_E_clISt17integral_constantIbLb0EES1P_EEDaS1K_S1L_EUlS1K_E_NS1_11comp_targetILNS1_3genE0ELNS1_11target_archE4294967295ELNS1_3gpuE0ELNS1_3repE0EEENS1_30default_config_static_selectorELNS0_4arch9wavefront6targetE1EEEvSY_.uses_flat_scratch, 0
	.set _ZN7rocprim17ROCPRIM_400000_NS6detail17trampoline_kernelINS0_13select_configILj256ELj13ELNS0_17block_load_methodE3ELS4_3ELS4_3ELNS0_20block_scan_algorithmE0ELj4294967295EEENS1_25partition_config_selectorILNS1_17partition_subalgoE3EjNS0_10empty_typeEbEEZZNS1_14partition_implILS8_3ELb0ES6_jNS0_17counting_iteratorIjlEEPS9_SE_NS0_5tupleIJPjSE_EEENSF_IJSE_SE_EEES9_SG_JZNS1_25segmented_radix_sort_implINS0_14default_configELb0EPKbPbPKlPlN2at6native12_GLOBAL__N_18offset_tEEE10hipError_tPvRmT1_PNSt15iterator_traitsISY_E10value_typeET2_T3_PNSZ_IS14_E10value_typeET4_jRbjT5_S1A_jjP12ihipStream_tbEUljE_EEESV_SW_SX_S14_S18_S1A_T6_T7_T9_mT8_S1C_bDpT10_ENKUlT_T0_E_clISt17integral_constantIbLb0EES1P_EEDaS1K_S1L_EUlS1K_E_NS1_11comp_targetILNS1_3genE0ELNS1_11target_archE4294967295ELNS1_3gpuE0ELNS1_3repE0EEENS1_30default_config_static_selectorELNS0_4arch9wavefront6targetE1EEEvSY_.has_dyn_sized_stack, 0
	.set _ZN7rocprim17ROCPRIM_400000_NS6detail17trampoline_kernelINS0_13select_configILj256ELj13ELNS0_17block_load_methodE3ELS4_3ELS4_3ELNS0_20block_scan_algorithmE0ELj4294967295EEENS1_25partition_config_selectorILNS1_17partition_subalgoE3EjNS0_10empty_typeEbEEZZNS1_14partition_implILS8_3ELb0ES6_jNS0_17counting_iteratorIjlEEPS9_SE_NS0_5tupleIJPjSE_EEENSF_IJSE_SE_EEES9_SG_JZNS1_25segmented_radix_sort_implINS0_14default_configELb0EPKbPbPKlPlN2at6native12_GLOBAL__N_18offset_tEEE10hipError_tPvRmT1_PNSt15iterator_traitsISY_E10value_typeET2_T3_PNSZ_IS14_E10value_typeET4_jRbjT5_S1A_jjP12ihipStream_tbEUljE_EEESV_SW_SX_S14_S18_S1A_T6_T7_T9_mT8_S1C_bDpT10_ENKUlT_T0_E_clISt17integral_constantIbLb0EES1P_EEDaS1K_S1L_EUlS1K_E_NS1_11comp_targetILNS1_3genE0ELNS1_11target_archE4294967295ELNS1_3gpuE0ELNS1_3repE0EEENS1_30default_config_static_selectorELNS0_4arch9wavefront6targetE1EEEvSY_.has_recursion, 0
	.set _ZN7rocprim17ROCPRIM_400000_NS6detail17trampoline_kernelINS0_13select_configILj256ELj13ELNS0_17block_load_methodE3ELS4_3ELS4_3ELNS0_20block_scan_algorithmE0ELj4294967295EEENS1_25partition_config_selectorILNS1_17partition_subalgoE3EjNS0_10empty_typeEbEEZZNS1_14partition_implILS8_3ELb0ES6_jNS0_17counting_iteratorIjlEEPS9_SE_NS0_5tupleIJPjSE_EEENSF_IJSE_SE_EEES9_SG_JZNS1_25segmented_radix_sort_implINS0_14default_configELb0EPKbPbPKlPlN2at6native12_GLOBAL__N_18offset_tEEE10hipError_tPvRmT1_PNSt15iterator_traitsISY_E10value_typeET2_T3_PNSZ_IS14_E10value_typeET4_jRbjT5_S1A_jjP12ihipStream_tbEUljE_EEESV_SW_SX_S14_S18_S1A_T6_T7_T9_mT8_S1C_bDpT10_ENKUlT_T0_E_clISt17integral_constantIbLb0EES1P_EEDaS1K_S1L_EUlS1K_E_NS1_11comp_targetILNS1_3genE0ELNS1_11target_archE4294967295ELNS1_3gpuE0ELNS1_3repE0EEENS1_30default_config_static_selectorELNS0_4arch9wavefront6targetE1EEEvSY_.has_indirect_call, 0
	.section	.AMDGPU.csdata,"",@progbits
; Kernel info:
; codeLenInByte = 0
; TotalNumSgprs: 4
; NumVgprs: 0
; ScratchSize: 0
; MemoryBound: 0
; FloatMode: 240
; IeeeMode: 1
; LDSByteSize: 0 bytes/workgroup (compile time only)
; SGPRBlocks: 0
; VGPRBlocks: 0
; NumSGPRsForWavesPerEU: 4
; NumVGPRsForWavesPerEU: 1
; Occupancy: 10
; WaveLimiterHint : 0
; COMPUTE_PGM_RSRC2:SCRATCH_EN: 0
; COMPUTE_PGM_RSRC2:USER_SGPR: 6
; COMPUTE_PGM_RSRC2:TRAP_HANDLER: 0
; COMPUTE_PGM_RSRC2:TGID_X_EN: 1
; COMPUTE_PGM_RSRC2:TGID_Y_EN: 0
; COMPUTE_PGM_RSRC2:TGID_Z_EN: 0
; COMPUTE_PGM_RSRC2:TIDIG_COMP_CNT: 0
	.section	.text._ZN7rocprim17ROCPRIM_400000_NS6detail17trampoline_kernelINS0_13select_configILj256ELj13ELNS0_17block_load_methodE3ELS4_3ELS4_3ELNS0_20block_scan_algorithmE0ELj4294967295EEENS1_25partition_config_selectorILNS1_17partition_subalgoE3EjNS0_10empty_typeEbEEZZNS1_14partition_implILS8_3ELb0ES6_jNS0_17counting_iteratorIjlEEPS9_SE_NS0_5tupleIJPjSE_EEENSF_IJSE_SE_EEES9_SG_JZNS1_25segmented_radix_sort_implINS0_14default_configELb0EPKbPbPKlPlN2at6native12_GLOBAL__N_18offset_tEEE10hipError_tPvRmT1_PNSt15iterator_traitsISY_E10value_typeET2_T3_PNSZ_IS14_E10value_typeET4_jRbjT5_S1A_jjP12ihipStream_tbEUljE_EEESV_SW_SX_S14_S18_S1A_T6_T7_T9_mT8_S1C_bDpT10_ENKUlT_T0_E_clISt17integral_constantIbLb0EES1P_EEDaS1K_S1L_EUlS1K_E_NS1_11comp_targetILNS1_3genE5ELNS1_11target_archE942ELNS1_3gpuE9ELNS1_3repE0EEENS1_30default_config_static_selectorELNS0_4arch9wavefront6targetE1EEEvSY_,"axG",@progbits,_ZN7rocprim17ROCPRIM_400000_NS6detail17trampoline_kernelINS0_13select_configILj256ELj13ELNS0_17block_load_methodE3ELS4_3ELS4_3ELNS0_20block_scan_algorithmE0ELj4294967295EEENS1_25partition_config_selectorILNS1_17partition_subalgoE3EjNS0_10empty_typeEbEEZZNS1_14partition_implILS8_3ELb0ES6_jNS0_17counting_iteratorIjlEEPS9_SE_NS0_5tupleIJPjSE_EEENSF_IJSE_SE_EEES9_SG_JZNS1_25segmented_radix_sort_implINS0_14default_configELb0EPKbPbPKlPlN2at6native12_GLOBAL__N_18offset_tEEE10hipError_tPvRmT1_PNSt15iterator_traitsISY_E10value_typeET2_T3_PNSZ_IS14_E10value_typeET4_jRbjT5_S1A_jjP12ihipStream_tbEUljE_EEESV_SW_SX_S14_S18_S1A_T6_T7_T9_mT8_S1C_bDpT10_ENKUlT_T0_E_clISt17integral_constantIbLb0EES1P_EEDaS1K_S1L_EUlS1K_E_NS1_11comp_targetILNS1_3genE5ELNS1_11target_archE942ELNS1_3gpuE9ELNS1_3repE0EEENS1_30default_config_static_selectorELNS0_4arch9wavefront6targetE1EEEvSY_,comdat
	.globl	_ZN7rocprim17ROCPRIM_400000_NS6detail17trampoline_kernelINS0_13select_configILj256ELj13ELNS0_17block_load_methodE3ELS4_3ELS4_3ELNS0_20block_scan_algorithmE0ELj4294967295EEENS1_25partition_config_selectorILNS1_17partition_subalgoE3EjNS0_10empty_typeEbEEZZNS1_14partition_implILS8_3ELb0ES6_jNS0_17counting_iteratorIjlEEPS9_SE_NS0_5tupleIJPjSE_EEENSF_IJSE_SE_EEES9_SG_JZNS1_25segmented_radix_sort_implINS0_14default_configELb0EPKbPbPKlPlN2at6native12_GLOBAL__N_18offset_tEEE10hipError_tPvRmT1_PNSt15iterator_traitsISY_E10value_typeET2_T3_PNSZ_IS14_E10value_typeET4_jRbjT5_S1A_jjP12ihipStream_tbEUljE_EEESV_SW_SX_S14_S18_S1A_T6_T7_T9_mT8_S1C_bDpT10_ENKUlT_T0_E_clISt17integral_constantIbLb0EES1P_EEDaS1K_S1L_EUlS1K_E_NS1_11comp_targetILNS1_3genE5ELNS1_11target_archE942ELNS1_3gpuE9ELNS1_3repE0EEENS1_30default_config_static_selectorELNS0_4arch9wavefront6targetE1EEEvSY_ ; -- Begin function _ZN7rocprim17ROCPRIM_400000_NS6detail17trampoline_kernelINS0_13select_configILj256ELj13ELNS0_17block_load_methodE3ELS4_3ELS4_3ELNS0_20block_scan_algorithmE0ELj4294967295EEENS1_25partition_config_selectorILNS1_17partition_subalgoE3EjNS0_10empty_typeEbEEZZNS1_14partition_implILS8_3ELb0ES6_jNS0_17counting_iteratorIjlEEPS9_SE_NS0_5tupleIJPjSE_EEENSF_IJSE_SE_EEES9_SG_JZNS1_25segmented_radix_sort_implINS0_14default_configELb0EPKbPbPKlPlN2at6native12_GLOBAL__N_18offset_tEEE10hipError_tPvRmT1_PNSt15iterator_traitsISY_E10value_typeET2_T3_PNSZ_IS14_E10value_typeET4_jRbjT5_S1A_jjP12ihipStream_tbEUljE_EEESV_SW_SX_S14_S18_S1A_T6_T7_T9_mT8_S1C_bDpT10_ENKUlT_T0_E_clISt17integral_constantIbLb0EES1P_EEDaS1K_S1L_EUlS1K_E_NS1_11comp_targetILNS1_3genE5ELNS1_11target_archE942ELNS1_3gpuE9ELNS1_3repE0EEENS1_30default_config_static_selectorELNS0_4arch9wavefront6targetE1EEEvSY_
	.p2align	8
	.type	_ZN7rocprim17ROCPRIM_400000_NS6detail17trampoline_kernelINS0_13select_configILj256ELj13ELNS0_17block_load_methodE3ELS4_3ELS4_3ELNS0_20block_scan_algorithmE0ELj4294967295EEENS1_25partition_config_selectorILNS1_17partition_subalgoE3EjNS0_10empty_typeEbEEZZNS1_14partition_implILS8_3ELb0ES6_jNS0_17counting_iteratorIjlEEPS9_SE_NS0_5tupleIJPjSE_EEENSF_IJSE_SE_EEES9_SG_JZNS1_25segmented_radix_sort_implINS0_14default_configELb0EPKbPbPKlPlN2at6native12_GLOBAL__N_18offset_tEEE10hipError_tPvRmT1_PNSt15iterator_traitsISY_E10value_typeET2_T3_PNSZ_IS14_E10value_typeET4_jRbjT5_S1A_jjP12ihipStream_tbEUljE_EEESV_SW_SX_S14_S18_S1A_T6_T7_T9_mT8_S1C_bDpT10_ENKUlT_T0_E_clISt17integral_constantIbLb0EES1P_EEDaS1K_S1L_EUlS1K_E_NS1_11comp_targetILNS1_3genE5ELNS1_11target_archE942ELNS1_3gpuE9ELNS1_3repE0EEENS1_30default_config_static_selectorELNS0_4arch9wavefront6targetE1EEEvSY_,@function
_ZN7rocprim17ROCPRIM_400000_NS6detail17trampoline_kernelINS0_13select_configILj256ELj13ELNS0_17block_load_methodE3ELS4_3ELS4_3ELNS0_20block_scan_algorithmE0ELj4294967295EEENS1_25partition_config_selectorILNS1_17partition_subalgoE3EjNS0_10empty_typeEbEEZZNS1_14partition_implILS8_3ELb0ES6_jNS0_17counting_iteratorIjlEEPS9_SE_NS0_5tupleIJPjSE_EEENSF_IJSE_SE_EEES9_SG_JZNS1_25segmented_radix_sort_implINS0_14default_configELb0EPKbPbPKlPlN2at6native12_GLOBAL__N_18offset_tEEE10hipError_tPvRmT1_PNSt15iterator_traitsISY_E10value_typeET2_T3_PNSZ_IS14_E10value_typeET4_jRbjT5_S1A_jjP12ihipStream_tbEUljE_EEESV_SW_SX_S14_S18_S1A_T6_T7_T9_mT8_S1C_bDpT10_ENKUlT_T0_E_clISt17integral_constantIbLb0EES1P_EEDaS1K_S1L_EUlS1K_E_NS1_11comp_targetILNS1_3genE5ELNS1_11target_archE942ELNS1_3gpuE9ELNS1_3repE0EEENS1_30default_config_static_selectorELNS0_4arch9wavefront6targetE1EEEvSY_: ; @_ZN7rocprim17ROCPRIM_400000_NS6detail17trampoline_kernelINS0_13select_configILj256ELj13ELNS0_17block_load_methodE3ELS4_3ELS4_3ELNS0_20block_scan_algorithmE0ELj4294967295EEENS1_25partition_config_selectorILNS1_17partition_subalgoE3EjNS0_10empty_typeEbEEZZNS1_14partition_implILS8_3ELb0ES6_jNS0_17counting_iteratorIjlEEPS9_SE_NS0_5tupleIJPjSE_EEENSF_IJSE_SE_EEES9_SG_JZNS1_25segmented_radix_sort_implINS0_14default_configELb0EPKbPbPKlPlN2at6native12_GLOBAL__N_18offset_tEEE10hipError_tPvRmT1_PNSt15iterator_traitsISY_E10value_typeET2_T3_PNSZ_IS14_E10value_typeET4_jRbjT5_S1A_jjP12ihipStream_tbEUljE_EEESV_SW_SX_S14_S18_S1A_T6_T7_T9_mT8_S1C_bDpT10_ENKUlT_T0_E_clISt17integral_constantIbLb0EES1P_EEDaS1K_S1L_EUlS1K_E_NS1_11comp_targetILNS1_3genE5ELNS1_11target_archE942ELNS1_3gpuE9ELNS1_3repE0EEENS1_30default_config_static_selectorELNS0_4arch9wavefront6targetE1EEEvSY_
; %bb.0:
	.section	.rodata,"a",@progbits
	.p2align	6, 0x0
	.amdhsa_kernel _ZN7rocprim17ROCPRIM_400000_NS6detail17trampoline_kernelINS0_13select_configILj256ELj13ELNS0_17block_load_methodE3ELS4_3ELS4_3ELNS0_20block_scan_algorithmE0ELj4294967295EEENS1_25partition_config_selectorILNS1_17partition_subalgoE3EjNS0_10empty_typeEbEEZZNS1_14partition_implILS8_3ELb0ES6_jNS0_17counting_iteratorIjlEEPS9_SE_NS0_5tupleIJPjSE_EEENSF_IJSE_SE_EEES9_SG_JZNS1_25segmented_radix_sort_implINS0_14default_configELb0EPKbPbPKlPlN2at6native12_GLOBAL__N_18offset_tEEE10hipError_tPvRmT1_PNSt15iterator_traitsISY_E10value_typeET2_T3_PNSZ_IS14_E10value_typeET4_jRbjT5_S1A_jjP12ihipStream_tbEUljE_EEESV_SW_SX_S14_S18_S1A_T6_T7_T9_mT8_S1C_bDpT10_ENKUlT_T0_E_clISt17integral_constantIbLb0EES1P_EEDaS1K_S1L_EUlS1K_E_NS1_11comp_targetILNS1_3genE5ELNS1_11target_archE942ELNS1_3gpuE9ELNS1_3repE0EEENS1_30default_config_static_selectorELNS0_4arch9wavefront6targetE1EEEvSY_
		.amdhsa_group_segment_fixed_size 0
		.amdhsa_private_segment_fixed_size 0
		.amdhsa_kernarg_size 144
		.amdhsa_user_sgpr_count 6
		.amdhsa_user_sgpr_private_segment_buffer 1
		.amdhsa_user_sgpr_dispatch_ptr 0
		.amdhsa_user_sgpr_queue_ptr 0
		.amdhsa_user_sgpr_kernarg_segment_ptr 1
		.amdhsa_user_sgpr_dispatch_id 0
		.amdhsa_user_sgpr_flat_scratch_init 0
		.amdhsa_user_sgpr_private_segment_size 0
		.amdhsa_uses_dynamic_stack 0
		.amdhsa_system_sgpr_private_segment_wavefront_offset 0
		.amdhsa_system_sgpr_workgroup_id_x 1
		.amdhsa_system_sgpr_workgroup_id_y 0
		.amdhsa_system_sgpr_workgroup_id_z 0
		.amdhsa_system_sgpr_workgroup_info 0
		.amdhsa_system_vgpr_workitem_id 0
		.amdhsa_next_free_vgpr 1
		.amdhsa_next_free_sgpr 0
		.amdhsa_reserve_vcc 0
		.amdhsa_reserve_flat_scratch 0
		.amdhsa_float_round_mode_32 0
		.amdhsa_float_round_mode_16_64 0
		.amdhsa_float_denorm_mode_32 3
		.amdhsa_float_denorm_mode_16_64 3
		.amdhsa_dx10_clamp 1
		.amdhsa_ieee_mode 1
		.amdhsa_fp16_overflow 0
		.amdhsa_exception_fp_ieee_invalid_op 0
		.amdhsa_exception_fp_denorm_src 0
		.amdhsa_exception_fp_ieee_div_zero 0
		.amdhsa_exception_fp_ieee_overflow 0
		.amdhsa_exception_fp_ieee_underflow 0
		.amdhsa_exception_fp_ieee_inexact 0
		.amdhsa_exception_int_div_zero 0
	.end_amdhsa_kernel
	.section	.text._ZN7rocprim17ROCPRIM_400000_NS6detail17trampoline_kernelINS0_13select_configILj256ELj13ELNS0_17block_load_methodE3ELS4_3ELS4_3ELNS0_20block_scan_algorithmE0ELj4294967295EEENS1_25partition_config_selectorILNS1_17partition_subalgoE3EjNS0_10empty_typeEbEEZZNS1_14partition_implILS8_3ELb0ES6_jNS0_17counting_iteratorIjlEEPS9_SE_NS0_5tupleIJPjSE_EEENSF_IJSE_SE_EEES9_SG_JZNS1_25segmented_radix_sort_implINS0_14default_configELb0EPKbPbPKlPlN2at6native12_GLOBAL__N_18offset_tEEE10hipError_tPvRmT1_PNSt15iterator_traitsISY_E10value_typeET2_T3_PNSZ_IS14_E10value_typeET4_jRbjT5_S1A_jjP12ihipStream_tbEUljE_EEESV_SW_SX_S14_S18_S1A_T6_T7_T9_mT8_S1C_bDpT10_ENKUlT_T0_E_clISt17integral_constantIbLb0EES1P_EEDaS1K_S1L_EUlS1K_E_NS1_11comp_targetILNS1_3genE5ELNS1_11target_archE942ELNS1_3gpuE9ELNS1_3repE0EEENS1_30default_config_static_selectorELNS0_4arch9wavefront6targetE1EEEvSY_,"axG",@progbits,_ZN7rocprim17ROCPRIM_400000_NS6detail17trampoline_kernelINS0_13select_configILj256ELj13ELNS0_17block_load_methodE3ELS4_3ELS4_3ELNS0_20block_scan_algorithmE0ELj4294967295EEENS1_25partition_config_selectorILNS1_17partition_subalgoE3EjNS0_10empty_typeEbEEZZNS1_14partition_implILS8_3ELb0ES6_jNS0_17counting_iteratorIjlEEPS9_SE_NS0_5tupleIJPjSE_EEENSF_IJSE_SE_EEES9_SG_JZNS1_25segmented_radix_sort_implINS0_14default_configELb0EPKbPbPKlPlN2at6native12_GLOBAL__N_18offset_tEEE10hipError_tPvRmT1_PNSt15iterator_traitsISY_E10value_typeET2_T3_PNSZ_IS14_E10value_typeET4_jRbjT5_S1A_jjP12ihipStream_tbEUljE_EEESV_SW_SX_S14_S18_S1A_T6_T7_T9_mT8_S1C_bDpT10_ENKUlT_T0_E_clISt17integral_constantIbLb0EES1P_EEDaS1K_S1L_EUlS1K_E_NS1_11comp_targetILNS1_3genE5ELNS1_11target_archE942ELNS1_3gpuE9ELNS1_3repE0EEENS1_30default_config_static_selectorELNS0_4arch9wavefront6targetE1EEEvSY_,comdat
.Lfunc_end1604:
	.size	_ZN7rocprim17ROCPRIM_400000_NS6detail17trampoline_kernelINS0_13select_configILj256ELj13ELNS0_17block_load_methodE3ELS4_3ELS4_3ELNS0_20block_scan_algorithmE0ELj4294967295EEENS1_25partition_config_selectorILNS1_17partition_subalgoE3EjNS0_10empty_typeEbEEZZNS1_14partition_implILS8_3ELb0ES6_jNS0_17counting_iteratorIjlEEPS9_SE_NS0_5tupleIJPjSE_EEENSF_IJSE_SE_EEES9_SG_JZNS1_25segmented_radix_sort_implINS0_14default_configELb0EPKbPbPKlPlN2at6native12_GLOBAL__N_18offset_tEEE10hipError_tPvRmT1_PNSt15iterator_traitsISY_E10value_typeET2_T3_PNSZ_IS14_E10value_typeET4_jRbjT5_S1A_jjP12ihipStream_tbEUljE_EEESV_SW_SX_S14_S18_S1A_T6_T7_T9_mT8_S1C_bDpT10_ENKUlT_T0_E_clISt17integral_constantIbLb0EES1P_EEDaS1K_S1L_EUlS1K_E_NS1_11comp_targetILNS1_3genE5ELNS1_11target_archE942ELNS1_3gpuE9ELNS1_3repE0EEENS1_30default_config_static_selectorELNS0_4arch9wavefront6targetE1EEEvSY_, .Lfunc_end1604-_ZN7rocprim17ROCPRIM_400000_NS6detail17trampoline_kernelINS0_13select_configILj256ELj13ELNS0_17block_load_methodE3ELS4_3ELS4_3ELNS0_20block_scan_algorithmE0ELj4294967295EEENS1_25partition_config_selectorILNS1_17partition_subalgoE3EjNS0_10empty_typeEbEEZZNS1_14partition_implILS8_3ELb0ES6_jNS0_17counting_iteratorIjlEEPS9_SE_NS0_5tupleIJPjSE_EEENSF_IJSE_SE_EEES9_SG_JZNS1_25segmented_radix_sort_implINS0_14default_configELb0EPKbPbPKlPlN2at6native12_GLOBAL__N_18offset_tEEE10hipError_tPvRmT1_PNSt15iterator_traitsISY_E10value_typeET2_T3_PNSZ_IS14_E10value_typeET4_jRbjT5_S1A_jjP12ihipStream_tbEUljE_EEESV_SW_SX_S14_S18_S1A_T6_T7_T9_mT8_S1C_bDpT10_ENKUlT_T0_E_clISt17integral_constantIbLb0EES1P_EEDaS1K_S1L_EUlS1K_E_NS1_11comp_targetILNS1_3genE5ELNS1_11target_archE942ELNS1_3gpuE9ELNS1_3repE0EEENS1_30default_config_static_selectorELNS0_4arch9wavefront6targetE1EEEvSY_
                                        ; -- End function
	.set _ZN7rocprim17ROCPRIM_400000_NS6detail17trampoline_kernelINS0_13select_configILj256ELj13ELNS0_17block_load_methodE3ELS4_3ELS4_3ELNS0_20block_scan_algorithmE0ELj4294967295EEENS1_25partition_config_selectorILNS1_17partition_subalgoE3EjNS0_10empty_typeEbEEZZNS1_14partition_implILS8_3ELb0ES6_jNS0_17counting_iteratorIjlEEPS9_SE_NS0_5tupleIJPjSE_EEENSF_IJSE_SE_EEES9_SG_JZNS1_25segmented_radix_sort_implINS0_14default_configELb0EPKbPbPKlPlN2at6native12_GLOBAL__N_18offset_tEEE10hipError_tPvRmT1_PNSt15iterator_traitsISY_E10value_typeET2_T3_PNSZ_IS14_E10value_typeET4_jRbjT5_S1A_jjP12ihipStream_tbEUljE_EEESV_SW_SX_S14_S18_S1A_T6_T7_T9_mT8_S1C_bDpT10_ENKUlT_T0_E_clISt17integral_constantIbLb0EES1P_EEDaS1K_S1L_EUlS1K_E_NS1_11comp_targetILNS1_3genE5ELNS1_11target_archE942ELNS1_3gpuE9ELNS1_3repE0EEENS1_30default_config_static_selectorELNS0_4arch9wavefront6targetE1EEEvSY_.num_vgpr, 0
	.set _ZN7rocprim17ROCPRIM_400000_NS6detail17trampoline_kernelINS0_13select_configILj256ELj13ELNS0_17block_load_methodE3ELS4_3ELS4_3ELNS0_20block_scan_algorithmE0ELj4294967295EEENS1_25partition_config_selectorILNS1_17partition_subalgoE3EjNS0_10empty_typeEbEEZZNS1_14partition_implILS8_3ELb0ES6_jNS0_17counting_iteratorIjlEEPS9_SE_NS0_5tupleIJPjSE_EEENSF_IJSE_SE_EEES9_SG_JZNS1_25segmented_radix_sort_implINS0_14default_configELb0EPKbPbPKlPlN2at6native12_GLOBAL__N_18offset_tEEE10hipError_tPvRmT1_PNSt15iterator_traitsISY_E10value_typeET2_T3_PNSZ_IS14_E10value_typeET4_jRbjT5_S1A_jjP12ihipStream_tbEUljE_EEESV_SW_SX_S14_S18_S1A_T6_T7_T9_mT8_S1C_bDpT10_ENKUlT_T0_E_clISt17integral_constantIbLb0EES1P_EEDaS1K_S1L_EUlS1K_E_NS1_11comp_targetILNS1_3genE5ELNS1_11target_archE942ELNS1_3gpuE9ELNS1_3repE0EEENS1_30default_config_static_selectorELNS0_4arch9wavefront6targetE1EEEvSY_.num_agpr, 0
	.set _ZN7rocprim17ROCPRIM_400000_NS6detail17trampoline_kernelINS0_13select_configILj256ELj13ELNS0_17block_load_methodE3ELS4_3ELS4_3ELNS0_20block_scan_algorithmE0ELj4294967295EEENS1_25partition_config_selectorILNS1_17partition_subalgoE3EjNS0_10empty_typeEbEEZZNS1_14partition_implILS8_3ELb0ES6_jNS0_17counting_iteratorIjlEEPS9_SE_NS0_5tupleIJPjSE_EEENSF_IJSE_SE_EEES9_SG_JZNS1_25segmented_radix_sort_implINS0_14default_configELb0EPKbPbPKlPlN2at6native12_GLOBAL__N_18offset_tEEE10hipError_tPvRmT1_PNSt15iterator_traitsISY_E10value_typeET2_T3_PNSZ_IS14_E10value_typeET4_jRbjT5_S1A_jjP12ihipStream_tbEUljE_EEESV_SW_SX_S14_S18_S1A_T6_T7_T9_mT8_S1C_bDpT10_ENKUlT_T0_E_clISt17integral_constantIbLb0EES1P_EEDaS1K_S1L_EUlS1K_E_NS1_11comp_targetILNS1_3genE5ELNS1_11target_archE942ELNS1_3gpuE9ELNS1_3repE0EEENS1_30default_config_static_selectorELNS0_4arch9wavefront6targetE1EEEvSY_.numbered_sgpr, 0
	.set _ZN7rocprim17ROCPRIM_400000_NS6detail17trampoline_kernelINS0_13select_configILj256ELj13ELNS0_17block_load_methodE3ELS4_3ELS4_3ELNS0_20block_scan_algorithmE0ELj4294967295EEENS1_25partition_config_selectorILNS1_17partition_subalgoE3EjNS0_10empty_typeEbEEZZNS1_14partition_implILS8_3ELb0ES6_jNS0_17counting_iteratorIjlEEPS9_SE_NS0_5tupleIJPjSE_EEENSF_IJSE_SE_EEES9_SG_JZNS1_25segmented_radix_sort_implINS0_14default_configELb0EPKbPbPKlPlN2at6native12_GLOBAL__N_18offset_tEEE10hipError_tPvRmT1_PNSt15iterator_traitsISY_E10value_typeET2_T3_PNSZ_IS14_E10value_typeET4_jRbjT5_S1A_jjP12ihipStream_tbEUljE_EEESV_SW_SX_S14_S18_S1A_T6_T7_T9_mT8_S1C_bDpT10_ENKUlT_T0_E_clISt17integral_constantIbLb0EES1P_EEDaS1K_S1L_EUlS1K_E_NS1_11comp_targetILNS1_3genE5ELNS1_11target_archE942ELNS1_3gpuE9ELNS1_3repE0EEENS1_30default_config_static_selectorELNS0_4arch9wavefront6targetE1EEEvSY_.num_named_barrier, 0
	.set _ZN7rocprim17ROCPRIM_400000_NS6detail17trampoline_kernelINS0_13select_configILj256ELj13ELNS0_17block_load_methodE3ELS4_3ELS4_3ELNS0_20block_scan_algorithmE0ELj4294967295EEENS1_25partition_config_selectorILNS1_17partition_subalgoE3EjNS0_10empty_typeEbEEZZNS1_14partition_implILS8_3ELb0ES6_jNS0_17counting_iteratorIjlEEPS9_SE_NS0_5tupleIJPjSE_EEENSF_IJSE_SE_EEES9_SG_JZNS1_25segmented_radix_sort_implINS0_14default_configELb0EPKbPbPKlPlN2at6native12_GLOBAL__N_18offset_tEEE10hipError_tPvRmT1_PNSt15iterator_traitsISY_E10value_typeET2_T3_PNSZ_IS14_E10value_typeET4_jRbjT5_S1A_jjP12ihipStream_tbEUljE_EEESV_SW_SX_S14_S18_S1A_T6_T7_T9_mT8_S1C_bDpT10_ENKUlT_T0_E_clISt17integral_constantIbLb0EES1P_EEDaS1K_S1L_EUlS1K_E_NS1_11comp_targetILNS1_3genE5ELNS1_11target_archE942ELNS1_3gpuE9ELNS1_3repE0EEENS1_30default_config_static_selectorELNS0_4arch9wavefront6targetE1EEEvSY_.private_seg_size, 0
	.set _ZN7rocprim17ROCPRIM_400000_NS6detail17trampoline_kernelINS0_13select_configILj256ELj13ELNS0_17block_load_methodE3ELS4_3ELS4_3ELNS0_20block_scan_algorithmE0ELj4294967295EEENS1_25partition_config_selectorILNS1_17partition_subalgoE3EjNS0_10empty_typeEbEEZZNS1_14partition_implILS8_3ELb0ES6_jNS0_17counting_iteratorIjlEEPS9_SE_NS0_5tupleIJPjSE_EEENSF_IJSE_SE_EEES9_SG_JZNS1_25segmented_radix_sort_implINS0_14default_configELb0EPKbPbPKlPlN2at6native12_GLOBAL__N_18offset_tEEE10hipError_tPvRmT1_PNSt15iterator_traitsISY_E10value_typeET2_T3_PNSZ_IS14_E10value_typeET4_jRbjT5_S1A_jjP12ihipStream_tbEUljE_EEESV_SW_SX_S14_S18_S1A_T6_T7_T9_mT8_S1C_bDpT10_ENKUlT_T0_E_clISt17integral_constantIbLb0EES1P_EEDaS1K_S1L_EUlS1K_E_NS1_11comp_targetILNS1_3genE5ELNS1_11target_archE942ELNS1_3gpuE9ELNS1_3repE0EEENS1_30default_config_static_selectorELNS0_4arch9wavefront6targetE1EEEvSY_.uses_vcc, 0
	.set _ZN7rocprim17ROCPRIM_400000_NS6detail17trampoline_kernelINS0_13select_configILj256ELj13ELNS0_17block_load_methodE3ELS4_3ELS4_3ELNS0_20block_scan_algorithmE0ELj4294967295EEENS1_25partition_config_selectorILNS1_17partition_subalgoE3EjNS0_10empty_typeEbEEZZNS1_14partition_implILS8_3ELb0ES6_jNS0_17counting_iteratorIjlEEPS9_SE_NS0_5tupleIJPjSE_EEENSF_IJSE_SE_EEES9_SG_JZNS1_25segmented_radix_sort_implINS0_14default_configELb0EPKbPbPKlPlN2at6native12_GLOBAL__N_18offset_tEEE10hipError_tPvRmT1_PNSt15iterator_traitsISY_E10value_typeET2_T3_PNSZ_IS14_E10value_typeET4_jRbjT5_S1A_jjP12ihipStream_tbEUljE_EEESV_SW_SX_S14_S18_S1A_T6_T7_T9_mT8_S1C_bDpT10_ENKUlT_T0_E_clISt17integral_constantIbLb0EES1P_EEDaS1K_S1L_EUlS1K_E_NS1_11comp_targetILNS1_3genE5ELNS1_11target_archE942ELNS1_3gpuE9ELNS1_3repE0EEENS1_30default_config_static_selectorELNS0_4arch9wavefront6targetE1EEEvSY_.uses_flat_scratch, 0
	.set _ZN7rocprim17ROCPRIM_400000_NS6detail17trampoline_kernelINS0_13select_configILj256ELj13ELNS0_17block_load_methodE3ELS4_3ELS4_3ELNS0_20block_scan_algorithmE0ELj4294967295EEENS1_25partition_config_selectorILNS1_17partition_subalgoE3EjNS0_10empty_typeEbEEZZNS1_14partition_implILS8_3ELb0ES6_jNS0_17counting_iteratorIjlEEPS9_SE_NS0_5tupleIJPjSE_EEENSF_IJSE_SE_EEES9_SG_JZNS1_25segmented_radix_sort_implINS0_14default_configELb0EPKbPbPKlPlN2at6native12_GLOBAL__N_18offset_tEEE10hipError_tPvRmT1_PNSt15iterator_traitsISY_E10value_typeET2_T3_PNSZ_IS14_E10value_typeET4_jRbjT5_S1A_jjP12ihipStream_tbEUljE_EEESV_SW_SX_S14_S18_S1A_T6_T7_T9_mT8_S1C_bDpT10_ENKUlT_T0_E_clISt17integral_constantIbLb0EES1P_EEDaS1K_S1L_EUlS1K_E_NS1_11comp_targetILNS1_3genE5ELNS1_11target_archE942ELNS1_3gpuE9ELNS1_3repE0EEENS1_30default_config_static_selectorELNS0_4arch9wavefront6targetE1EEEvSY_.has_dyn_sized_stack, 0
	.set _ZN7rocprim17ROCPRIM_400000_NS6detail17trampoline_kernelINS0_13select_configILj256ELj13ELNS0_17block_load_methodE3ELS4_3ELS4_3ELNS0_20block_scan_algorithmE0ELj4294967295EEENS1_25partition_config_selectorILNS1_17partition_subalgoE3EjNS0_10empty_typeEbEEZZNS1_14partition_implILS8_3ELb0ES6_jNS0_17counting_iteratorIjlEEPS9_SE_NS0_5tupleIJPjSE_EEENSF_IJSE_SE_EEES9_SG_JZNS1_25segmented_radix_sort_implINS0_14default_configELb0EPKbPbPKlPlN2at6native12_GLOBAL__N_18offset_tEEE10hipError_tPvRmT1_PNSt15iterator_traitsISY_E10value_typeET2_T3_PNSZ_IS14_E10value_typeET4_jRbjT5_S1A_jjP12ihipStream_tbEUljE_EEESV_SW_SX_S14_S18_S1A_T6_T7_T9_mT8_S1C_bDpT10_ENKUlT_T0_E_clISt17integral_constantIbLb0EES1P_EEDaS1K_S1L_EUlS1K_E_NS1_11comp_targetILNS1_3genE5ELNS1_11target_archE942ELNS1_3gpuE9ELNS1_3repE0EEENS1_30default_config_static_selectorELNS0_4arch9wavefront6targetE1EEEvSY_.has_recursion, 0
	.set _ZN7rocprim17ROCPRIM_400000_NS6detail17trampoline_kernelINS0_13select_configILj256ELj13ELNS0_17block_load_methodE3ELS4_3ELS4_3ELNS0_20block_scan_algorithmE0ELj4294967295EEENS1_25partition_config_selectorILNS1_17partition_subalgoE3EjNS0_10empty_typeEbEEZZNS1_14partition_implILS8_3ELb0ES6_jNS0_17counting_iteratorIjlEEPS9_SE_NS0_5tupleIJPjSE_EEENSF_IJSE_SE_EEES9_SG_JZNS1_25segmented_radix_sort_implINS0_14default_configELb0EPKbPbPKlPlN2at6native12_GLOBAL__N_18offset_tEEE10hipError_tPvRmT1_PNSt15iterator_traitsISY_E10value_typeET2_T3_PNSZ_IS14_E10value_typeET4_jRbjT5_S1A_jjP12ihipStream_tbEUljE_EEESV_SW_SX_S14_S18_S1A_T6_T7_T9_mT8_S1C_bDpT10_ENKUlT_T0_E_clISt17integral_constantIbLb0EES1P_EEDaS1K_S1L_EUlS1K_E_NS1_11comp_targetILNS1_3genE5ELNS1_11target_archE942ELNS1_3gpuE9ELNS1_3repE0EEENS1_30default_config_static_selectorELNS0_4arch9wavefront6targetE1EEEvSY_.has_indirect_call, 0
	.section	.AMDGPU.csdata,"",@progbits
; Kernel info:
; codeLenInByte = 0
; TotalNumSgprs: 4
; NumVgprs: 0
; ScratchSize: 0
; MemoryBound: 0
; FloatMode: 240
; IeeeMode: 1
; LDSByteSize: 0 bytes/workgroup (compile time only)
; SGPRBlocks: 0
; VGPRBlocks: 0
; NumSGPRsForWavesPerEU: 4
; NumVGPRsForWavesPerEU: 1
; Occupancy: 10
; WaveLimiterHint : 0
; COMPUTE_PGM_RSRC2:SCRATCH_EN: 0
; COMPUTE_PGM_RSRC2:USER_SGPR: 6
; COMPUTE_PGM_RSRC2:TRAP_HANDLER: 0
; COMPUTE_PGM_RSRC2:TGID_X_EN: 1
; COMPUTE_PGM_RSRC2:TGID_Y_EN: 0
; COMPUTE_PGM_RSRC2:TGID_Z_EN: 0
; COMPUTE_PGM_RSRC2:TIDIG_COMP_CNT: 0
	.section	.text._ZN7rocprim17ROCPRIM_400000_NS6detail17trampoline_kernelINS0_13select_configILj256ELj13ELNS0_17block_load_methodE3ELS4_3ELS4_3ELNS0_20block_scan_algorithmE0ELj4294967295EEENS1_25partition_config_selectorILNS1_17partition_subalgoE3EjNS0_10empty_typeEbEEZZNS1_14partition_implILS8_3ELb0ES6_jNS0_17counting_iteratorIjlEEPS9_SE_NS0_5tupleIJPjSE_EEENSF_IJSE_SE_EEES9_SG_JZNS1_25segmented_radix_sort_implINS0_14default_configELb0EPKbPbPKlPlN2at6native12_GLOBAL__N_18offset_tEEE10hipError_tPvRmT1_PNSt15iterator_traitsISY_E10value_typeET2_T3_PNSZ_IS14_E10value_typeET4_jRbjT5_S1A_jjP12ihipStream_tbEUljE_EEESV_SW_SX_S14_S18_S1A_T6_T7_T9_mT8_S1C_bDpT10_ENKUlT_T0_E_clISt17integral_constantIbLb0EES1P_EEDaS1K_S1L_EUlS1K_E_NS1_11comp_targetILNS1_3genE4ELNS1_11target_archE910ELNS1_3gpuE8ELNS1_3repE0EEENS1_30default_config_static_selectorELNS0_4arch9wavefront6targetE1EEEvSY_,"axG",@progbits,_ZN7rocprim17ROCPRIM_400000_NS6detail17trampoline_kernelINS0_13select_configILj256ELj13ELNS0_17block_load_methodE3ELS4_3ELS4_3ELNS0_20block_scan_algorithmE0ELj4294967295EEENS1_25partition_config_selectorILNS1_17partition_subalgoE3EjNS0_10empty_typeEbEEZZNS1_14partition_implILS8_3ELb0ES6_jNS0_17counting_iteratorIjlEEPS9_SE_NS0_5tupleIJPjSE_EEENSF_IJSE_SE_EEES9_SG_JZNS1_25segmented_radix_sort_implINS0_14default_configELb0EPKbPbPKlPlN2at6native12_GLOBAL__N_18offset_tEEE10hipError_tPvRmT1_PNSt15iterator_traitsISY_E10value_typeET2_T3_PNSZ_IS14_E10value_typeET4_jRbjT5_S1A_jjP12ihipStream_tbEUljE_EEESV_SW_SX_S14_S18_S1A_T6_T7_T9_mT8_S1C_bDpT10_ENKUlT_T0_E_clISt17integral_constantIbLb0EES1P_EEDaS1K_S1L_EUlS1K_E_NS1_11comp_targetILNS1_3genE4ELNS1_11target_archE910ELNS1_3gpuE8ELNS1_3repE0EEENS1_30default_config_static_selectorELNS0_4arch9wavefront6targetE1EEEvSY_,comdat
	.globl	_ZN7rocprim17ROCPRIM_400000_NS6detail17trampoline_kernelINS0_13select_configILj256ELj13ELNS0_17block_load_methodE3ELS4_3ELS4_3ELNS0_20block_scan_algorithmE0ELj4294967295EEENS1_25partition_config_selectorILNS1_17partition_subalgoE3EjNS0_10empty_typeEbEEZZNS1_14partition_implILS8_3ELb0ES6_jNS0_17counting_iteratorIjlEEPS9_SE_NS0_5tupleIJPjSE_EEENSF_IJSE_SE_EEES9_SG_JZNS1_25segmented_radix_sort_implINS0_14default_configELb0EPKbPbPKlPlN2at6native12_GLOBAL__N_18offset_tEEE10hipError_tPvRmT1_PNSt15iterator_traitsISY_E10value_typeET2_T3_PNSZ_IS14_E10value_typeET4_jRbjT5_S1A_jjP12ihipStream_tbEUljE_EEESV_SW_SX_S14_S18_S1A_T6_T7_T9_mT8_S1C_bDpT10_ENKUlT_T0_E_clISt17integral_constantIbLb0EES1P_EEDaS1K_S1L_EUlS1K_E_NS1_11comp_targetILNS1_3genE4ELNS1_11target_archE910ELNS1_3gpuE8ELNS1_3repE0EEENS1_30default_config_static_selectorELNS0_4arch9wavefront6targetE1EEEvSY_ ; -- Begin function _ZN7rocprim17ROCPRIM_400000_NS6detail17trampoline_kernelINS0_13select_configILj256ELj13ELNS0_17block_load_methodE3ELS4_3ELS4_3ELNS0_20block_scan_algorithmE0ELj4294967295EEENS1_25partition_config_selectorILNS1_17partition_subalgoE3EjNS0_10empty_typeEbEEZZNS1_14partition_implILS8_3ELb0ES6_jNS0_17counting_iteratorIjlEEPS9_SE_NS0_5tupleIJPjSE_EEENSF_IJSE_SE_EEES9_SG_JZNS1_25segmented_radix_sort_implINS0_14default_configELb0EPKbPbPKlPlN2at6native12_GLOBAL__N_18offset_tEEE10hipError_tPvRmT1_PNSt15iterator_traitsISY_E10value_typeET2_T3_PNSZ_IS14_E10value_typeET4_jRbjT5_S1A_jjP12ihipStream_tbEUljE_EEESV_SW_SX_S14_S18_S1A_T6_T7_T9_mT8_S1C_bDpT10_ENKUlT_T0_E_clISt17integral_constantIbLb0EES1P_EEDaS1K_S1L_EUlS1K_E_NS1_11comp_targetILNS1_3genE4ELNS1_11target_archE910ELNS1_3gpuE8ELNS1_3repE0EEENS1_30default_config_static_selectorELNS0_4arch9wavefront6targetE1EEEvSY_
	.p2align	8
	.type	_ZN7rocprim17ROCPRIM_400000_NS6detail17trampoline_kernelINS0_13select_configILj256ELj13ELNS0_17block_load_methodE3ELS4_3ELS4_3ELNS0_20block_scan_algorithmE0ELj4294967295EEENS1_25partition_config_selectorILNS1_17partition_subalgoE3EjNS0_10empty_typeEbEEZZNS1_14partition_implILS8_3ELb0ES6_jNS0_17counting_iteratorIjlEEPS9_SE_NS0_5tupleIJPjSE_EEENSF_IJSE_SE_EEES9_SG_JZNS1_25segmented_radix_sort_implINS0_14default_configELb0EPKbPbPKlPlN2at6native12_GLOBAL__N_18offset_tEEE10hipError_tPvRmT1_PNSt15iterator_traitsISY_E10value_typeET2_T3_PNSZ_IS14_E10value_typeET4_jRbjT5_S1A_jjP12ihipStream_tbEUljE_EEESV_SW_SX_S14_S18_S1A_T6_T7_T9_mT8_S1C_bDpT10_ENKUlT_T0_E_clISt17integral_constantIbLb0EES1P_EEDaS1K_S1L_EUlS1K_E_NS1_11comp_targetILNS1_3genE4ELNS1_11target_archE910ELNS1_3gpuE8ELNS1_3repE0EEENS1_30default_config_static_selectorELNS0_4arch9wavefront6targetE1EEEvSY_,@function
_ZN7rocprim17ROCPRIM_400000_NS6detail17trampoline_kernelINS0_13select_configILj256ELj13ELNS0_17block_load_methodE3ELS4_3ELS4_3ELNS0_20block_scan_algorithmE0ELj4294967295EEENS1_25partition_config_selectorILNS1_17partition_subalgoE3EjNS0_10empty_typeEbEEZZNS1_14partition_implILS8_3ELb0ES6_jNS0_17counting_iteratorIjlEEPS9_SE_NS0_5tupleIJPjSE_EEENSF_IJSE_SE_EEES9_SG_JZNS1_25segmented_radix_sort_implINS0_14default_configELb0EPKbPbPKlPlN2at6native12_GLOBAL__N_18offset_tEEE10hipError_tPvRmT1_PNSt15iterator_traitsISY_E10value_typeET2_T3_PNSZ_IS14_E10value_typeET4_jRbjT5_S1A_jjP12ihipStream_tbEUljE_EEESV_SW_SX_S14_S18_S1A_T6_T7_T9_mT8_S1C_bDpT10_ENKUlT_T0_E_clISt17integral_constantIbLb0EES1P_EEDaS1K_S1L_EUlS1K_E_NS1_11comp_targetILNS1_3genE4ELNS1_11target_archE910ELNS1_3gpuE8ELNS1_3repE0EEENS1_30default_config_static_selectorELNS0_4arch9wavefront6targetE1EEEvSY_: ; @_ZN7rocprim17ROCPRIM_400000_NS6detail17trampoline_kernelINS0_13select_configILj256ELj13ELNS0_17block_load_methodE3ELS4_3ELS4_3ELNS0_20block_scan_algorithmE0ELj4294967295EEENS1_25partition_config_selectorILNS1_17partition_subalgoE3EjNS0_10empty_typeEbEEZZNS1_14partition_implILS8_3ELb0ES6_jNS0_17counting_iteratorIjlEEPS9_SE_NS0_5tupleIJPjSE_EEENSF_IJSE_SE_EEES9_SG_JZNS1_25segmented_radix_sort_implINS0_14default_configELb0EPKbPbPKlPlN2at6native12_GLOBAL__N_18offset_tEEE10hipError_tPvRmT1_PNSt15iterator_traitsISY_E10value_typeET2_T3_PNSZ_IS14_E10value_typeET4_jRbjT5_S1A_jjP12ihipStream_tbEUljE_EEESV_SW_SX_S14_S18_S1A_T6_T7_T9_mT8_S1C_bDpT10_ENKUlT_T0_E_clISt17integral_constantIbLb0EES1P_EEDaS1K_S1L_EUlS1K_E_NS1_11comp_targetILNS1_3genE4ELNS1_11target_archE910ELNS1_3gpuE8ELNS1_3repE0EEENS1_30default_config_static_selectorELNS0_4arch9wavefront6targetE1EEEvSY_
; %bb.0:
	.section	.rodata,"a",@progbits
	.p2align	6, 0x0
	.amdhsa_kernel _ZN7rocprim17ROCPRIM_400000_NS6detail17trampoline_kernelINS0_13select_configILj256ELj13ELNS0_17block_load_methodE3ELS4_3ELS4_3ELNS0_20block_scan_algorithmE0ELj4294967295EEENS1_25partition_config_selectorILNS1_17partition_subalgoE3EjNS0_10empty_typeEbEEZZNS1_14partition_implILS8_3ELb0ES6_jNS0_17counting_iteratorIjlEEPS9_SE_NS0_5tupleIJPjSE_EEENSF_IJSE_SE_EEES9_SG_JZNS1_25segmented_radix_sort_implINS0_14default_configELb0EPKbPbPKlPlN2at6native12_GLOBAL__N_18offset_tEEE10hipError_tPvRmT1_PNSt15iterator_traitsISY_E10value_typeET2_T3_PNSZ_IS14_E10value_typeET4_jRbjT5_S1A_jjP12ihipStream_tbEUljE_EEESV_SW_SX_S14_S18_S1A_T6_T7_T9_mT8_S1C_bDpT10_ENKUlT_T0_E_clISt17integral_constantIbLb0EES1P_EEDaS1K_S1L_EUlS1K_E_NS1_11comp_targetILNS1_3genE4ELNS1_11target_archE910ELNS1_3gpuE8ELNS1_3repE0EEENS1_30default_config_static_selectorELNS0_4arch9wavefront6targetE1EEEvSY_
		.amdhsa_group_segment_fixed_size 0
		.amdhsa_private_segment_fixed_size 0
		.amdhsa_kernarg_size 144
		.amdhsa_user_sgpr_count 6
		.amdhsa_user_sgpr_private_segment_buffer 1
		.amdhsa_user_sgpr_dispatch_ptr 0
		.amdhsa_user_sgpr_queue_ptr 0
		.amdhsa_user_sgpr_kernarg_segment_ptr 1
		.amdhsa_user_sgpr_dispatch_id 0
		.amdhsa_user_sgpr_flat_scratch_init 0
		.amdhsa_user_sgpr_private_segment_size 0
		.amdhsa_uses_dynamic_stack 0
		.amdhsa_system_sgpr_private_segment_wavefront_offset 0
		.amdhsa_system_sgpr_workgroup_id_x 1
		.amdhsa_system_sgpr_workgroup_id_y 0
		.amdhsa_system_sgpr_workgroup_id_z 0
		.amdhsa_system_sgpr_workgroup_info 0
		.amdhsa_system_vgpr_workitem_id 0
		.amdhsa_next_free_vgpr 1
		.amdhsa_next_free_sgpr 0
		.amdhsa_reserve_vcc 0
		.amdhsa_reserve_flat_scratch 0
		.amdhsa_float_round_mode_32 0
		.amdhsa_float_round_mode_16_64 0
		.amdhsa_float_denorm_mode_32 3
		.amdhsa_float_denorm_mode_16_64 3
		.amdhsa_dx10_clamp 1
		.amdhsa_ieee_mode 1
		.amdhsa_fp16_overflow 0
		.amdhsa_exception_fp_ieee_invalid_op 0
		.amdhsa_exception_fp_denorm_src 0
		.amdhsa_exception_fp_ieee_div_zero 0
		.amdhsa_exception_fp_ieee_overflow 0
		.amdhsa_exception_fp_ieee_underflow 0
		.amdhsa_exception_fp_ieee_inexact 0
		.amdhsa_exception_int_div_zero 0
	.end_amdhsa_kernel
	.section	.text._ZN7rocprim17ROCPRIM_400000_NS6detail17trampoline_kernelINS0_13select_configILj256ELj13ELNS0_17block_load_methodE3ELS4_3ELS4_3ELNS0_20block_scan_algorithmE0ELj4294967295EEENS1_25partition_config_selectorILNS1_17partition_subalgoE3EjNS0_10empty_typeEbEEZZNS1_14partition_implILS8_3ELb0ES6_jNS0_17counting_iteratorIjlEEPS9_SE_NS0_5tupleIJPjSE_EEENSF_IJSE_SE_EEES9_SG_JZNS1_25segmented_radix_sort_implINS0_14default_configELb0EPKbPbPKlPlN2at6native12_GLOBAL__N_18offset_tEEE10hipError_tPvRmT1_PNSt15iterator_traitsISY_E10value_typeET2_T3_PNSZ_IS14_E10value_typeET4_jRbjT5_S1A_jjP12ihipStream_tbEUljE_EEESV_SW_SX_S14_S18_S1A_T6_T7_T9_mT8_S1C_bDpT10_ENKUlT_T0_E_clISt17integral_constantIbLb0EES1P_EEDaS1K_S1L_EUlS1K_E_NS1_11comp_targetILNS1_3genE4ELNS1_11target_archE910ELNS1_3gpuE8ELNS1_3repE0EEENS1_30default_config_static_selectorELNS0_4arch9wavefront6targetE1EEEvSY_,"axG",@progbits,_ZN7rocprim17ROCPRIM_400000_NS6detail17trampoline_kernelINS0_13select_configILj256ELj13ELNS0_17block_load_methodE3ELS4_3ELS4_3ELNS0_20block_scan_algorithmE0ELj4294967295EEENS1_25partition_config_selectorILNS1_17partition_subalgoE3EjNS0_10empty_typeEbEEZZNS1_14partition_implILS8_3ELb0ES6_jNS0_17counting_iteratorIjlEEPS9_SE_NS0_5tupleIJPjSE_EEENSF_IJSE_SE_EEES9_SG_JZNS1_25segmented_radix_sort_implINS0_14default_configELb0EPKbPbPKlPlN2at6native12_GLOBAL__N_18offset_tEEE10hipError_tPvRmT1_PNSt15iterator_traitsISY_E10value_typeET2_T3_PNSZ_IS14_E10value_typeET4_jRbjT5_S1A_jjP12ihipStream_tbEUljE_EEESV_SW_SX_S14_S18_S1A_T6_T7_T9_mT8_S1C_bDpT10_ENKUlT_T0_E_clISt17integral_constantIbLb0EES1P_EEDaS1K_S1L_EUlS1K_E_NS1_11comp_targetILNS1_3genE4ELNS1_11target_archE910ELNS1_3gpuE8ELNS1_3repE0EEENS1_30default_config_static_selectorELNS0_4arch9wavefront6targetE1EEEvSY_,comdat
.Lfunc_end1605:
	.size	_ZN7rocprim17ROCPRIM_400000_NS6detail17trampoline_kernelINS0_13select_configILj256ELj13ELNS0_17block_load_methodE3ELS4_3ELS4_3ELNS0_20block_scan_algorithmE0ELj4294967295EEENS1_25partition_config_selectorILNS1_17partition_subalgoE3EjNS0_10empty_typeEbEEZZNS1_14partition_implILS8_3ELb0ES6_jNS0_17counting_iteratorIjlEEPS9_SE_NS0_5tupleIJPjSE_EEENSF_IJSE_SE_EEES9_SG_JZNS1_25segmented_radix_sort_implINS0_14default_configELb0EPKbPbPKlPlN2at6native12_GLOBAL__N_18offset_tEEE10hipError_tPvRmT1_PNSt15iterator_traitsISY_E10value_typeET2_T3_PNSZ_IS14_E10value_typeET4_jRbjT5_S1A_jjP12ihipStream_tbEUljE_EEESV_SW_SX_S14_S18_S1A_T6_T7_T9_mT8_S1C_bDpT10_ENKUlT_T0_E_clISt17integral_constantIbLb0EES1P_EEDaS1K_S1L_EUlS1K_E_NS1_11comp_targetILNS1_3genE4ELNS1_11target_archE910ELNS1_3gpuE8ELNS1_3repE0EEENS1_30default_config_static_selectorELNS0_4arch9wavefront6targetE1EEEvSY_, .Lfunc_end1605-_ZN7rocprim17ROCPRIM_400000_NS6detail17trampoline_kernelINS0_13select_configILj256ELj13ELNS0_17block_load_methodE3ELS4_3ELS4_3ELNS0_20block_scan_algorithmE0ELj4294967295EEENS1_25partition_config_selectorILNS1_17partition_subalgoE3EjNS0_10empty_typeEbEEZZNS1_14partition_implILS8_3ELb0ES6_jNS0_17counting_iteratorIjlEEPS9_SE_NS0_5tupleIJPjSE_EEENSF_IJSE_SE_EEES9_SG_JZNS1_25segmented_radix_sort_implINS0_14default_configELb0EPKbPbPKlPlN2at6native12_GLOBAL__N_18offset_tEEE10hipError_tPvRmT1_PNSt15iterator_traitsISY_E10value_typeET2_T3_PNSZ_IS14_E10value_typeET4_jRbjT5_S1A_jjP12ihipStream_tbEUljE_EEESV_SW_SX_S14_S18_S1A_T6_T7_T9_mT8_S1C_bDpT10_ENKUlT_T0_E_clISt17integral_constantIbLb0EES1P_EEDaS1K_S1L_EUlS1K_E_NS1_11comp_targetILNS1_3genE4ELNS1_11target_archE910ELNS1_3gpuE8ELNS1_3repE0EEENS1_30default_config_static_selectorELNS0_4arch9wavefront6targetE1EEEvSY_
                                        ; -- End function
	.set _ZN7rocprim17ROCPRIM_400000_NS6detail17trampoline_kernelINS0_13select_configILj256ELj13ELNS0_17block_load_methodE3ELS4_3ELS4_3ELNS0_20block_scan_algorithmE0ELj4294967295EEENS1_25partition_config_selectorILNS1_17partition_subalgoE3EjNS0_10empty_typeEbEEZZNS1_14partition_implILS8_3ELb0ES6_jNS0_17counting_iteratorIjlEEPS9_SE_NS0_5tupleIJPjSE_EEENSF_IJSE_SE_EEES9_SG_JZNS1_25segmented_radix_sort_implINS0_14default_configELb0EPKbPbPKlPlN2at6native12_GLOBAL__N_18offset_tEEE10hipError_tPvRmT1_PNSt15iterator_traitsISY_E10value_typeET2_T3_PNSZ_IS14_E10value_typeET4_jRbjT5_S1A_jjP12ihipStream_tbEUljE_EEESV_SW_SX_S14_S18_S1A_T6_T7_T9_mT8_S1C_bDpT10_ENKUlT_T0_E_clISt17integral_constantIbLb0EES1P_EEDaS1K_S1L_EUlS1K_E_NS1_11comp_targetILNS1_3genE4ELNS1_11target_archE910ELNS1_3gpuE8ELNS1_3repE0EEENS1_30default_config_static_selectorELNS0_4arch9wavefront6targetE1EEEvSY_.num_vgpr, 0
	.set _ZN7rocprim17ROCPRIM_400000_NS6detail17trampoline_kernelINS0_13select_configILj256ELj13ELNS0_17block_load_methodE3ELS4_3ELS4_3ELNS0_20block_scan_algorithmE0ELj4294967295EEENS1_25partition_config_selectorILNS1_17partition_subalgoE3EjNS0_10empty_typeEbEEZZNS1_14partition_implILS8_3ELb0ES6_jNS0_17counting_iteratorIjlEEPS9_SE_NS0_5tupleIJPjSE_EEENSF_IJSE_SE_EEES9_SG_JZNS1_25segmented_radix_sort_implINS0_14default_configELb0EPKbPbPKlPlN2at6native12_GLOBAL__N_18offset_tEEE10hipError_tPvRmT1_PNSt15iterator_traitsISY_E10value_typeET2_T3_PNSZ_IS14_E10value_typeET4_jRbjT5_S1A_jjP12ihipStream_tbEUljE_EEESV_SW_SX_S14_S18_S1A_T6_T7_T9_mT8_S1C_bDpT10_ENKUlT_T0_E_clISt17integral_constantIbLb0EES1P_EEDaS1K_S1L_EUlS1K_E_NS1_11comp_targetILNS1_3genE4ELNS1_11target_archE910ELNS1_3gpuE8ELNS1_3repE0EEENS1_30default_config_static_selectorELNS0_4arch9wavefront6targetE1EEEvSY_.num_agpr, 0
	.set _ZN7rocprim17ROCPRIM_400000_NS6detail17trampoline_kernelINS0_13select_configILj256ELj13ELNS0_17block_load_methodE3ELS4_3ELS4_3ELNS0_20block_scan_algorithmE0ELj4294967295EEENS1_25partition_config_selectorILNS1_17partition_subalgoE3EjNS0_10empty_typeEbEEZZNS1_14partition_implILS8_3ELb0ES6_jNS0_17counting_iteratorIjlEEPS9_SE_NS0_5tupleIJPjSE_EEENSF_IJSE_SE_EEES9_SG_JZNS1_25segmented_radix_sort_implINS0_14default_configELb0EPKbPbPKlPlN2at6native12_GLOBAL__N_18offset_tEEE10hipError_tPvRmT1_PNSt15iterator_traitsISY_E10value_typeET2_T3_PNSZ_IS14_E10value_typeET4_jRbjT5_S1A_jjP12ihipStream_tbEUljE_EEESV_SW_SX_S14_S18_S1A_T6_T7_T9_mT8_S1C_bDpT10_ENKUlT_T0_E_clISt17integral_constantIbLb0EES1P_EEDaS1K_S1L_EUlS1K_E_NS1_11comp_targetILNS1_3genE4ELNS1_11target_archE910ELNS1_3gpuE8ELNS1_3repE0EEENS1_30default_config_static_selectorELNS0_4arch9wavefront6targetE1EEEvSY_.numbered_sgpr, 0
	.set _ZN7rocprim17ROCPRIM_400000_NS6detail17trampoline_kernelINS0_13select_configILj256ELj13ELNS0_17block_load_methodE3ELS4_3ELS4_3ELNS0_20block_scan_algorithmE0ELj4294967295EEENS1_25partition_config_selectorILNS1_17partition_subalgoE3EjNS0_10empty_typeEbEEZZNS1_14partition_implILS8_3ELb0ES6_jNS0_17counting_iteratorIjlEEPS9_SE_NS0_5tupleIJPjSE_EEENSF_IJSE_SE_EEES9_SG_JZNS1_25segmented_radix_sort_implINS0_14default_configELb0EPKbPbPKlPlN2at6native12_GLOBAL__N_18offset_tEEE10hipError_tPvRmT1_PNSt15iterator_traitsISY_E10value_typeET2_T3_PNSZ_IS14_E10value_typeET4_jRbjT5_S1A_jjP12ihipStream_tbEUljE_EEESV_SW_SX_S14_S18_S1A_T6_T7_T9_mT8_S1C_bDpT10_ENKUlT_T0_E_clISt17integral_constantIbLb0EES1P_EEDaS1K_S1L_EUlS1K_E_NS1_11comp_targetILNS1_3genE4ELNS1_11target_archE910ELNS1_3gpuE8ELNS1_3repE0EEENS1_30default_config_static_selectorELNS0_4arch9wavefront6targetE1EEEvSY_.num_named_barrier, 0
	.set _ZN7rocprim17ROCPRIM_400000_NS6detail17trampoline_kernelINS0_13select_configILj256ELj13ELNS0_17block_load_methodE3ELS4_3ELS4_3ELNS0_20block_scan_algorithmE0ELj4294967295EEENS1_25partition_config_selectorILNS1_17partition_subalgoE3EjNS0_10empty_typeEbEEZZNS1_14partition_implILS8_3ELb0ES6_jNS0_17counting_iteratorIjlEEPS9_SE_NS0_5tupleIJPjSE_EEENSF_IJSE_SE_EEES9_SG_JZNS1_25segmented_radix_sort_implINS0_14default_configELb0EPKbPbPKlPlN2at6native12_GLOBAL__N_18offset_tEEE10hipError_tPvRmT1_PNSt15iterator_traitsISY_E10value_typeET2_T3_PNSZ_IS14_E10value_typeET4_jRbjT5_S1A_jjP12ihipStream_tbEUljE_EEESV_SW_SX_S14_S18_S1A_T6_T7_T9_mT8_S1C_bDpT10_ENKUlT_T0_E_clISt17integral_constantIbLb0EES1P_EEDaS1K_S1L_EUlS1K_E_NS1_11comp_targetILNS1_3genE4ELNS1_11target_archE910ELNS1_3gpuE8ELNS1_3repE0EEENS1_30default_config_static_selectorELNS0_4arch9wavefront6targetE1EEEvSY_.private_seg_size, 0
	.set _ZN7rocprim17ROCPRIM_400000_NS6detail17trampoline_kernelINS0_13select_configILj256ELj13ELNS0_17block_load_methodE3ELS4_3ELS4_3ELNS0_20block_scan_algorithmE0ELj4294967295EEENS1_25partition_config_selectorILNS1_17partition_subalgoE3EjNS0_10empty_typeEbEEZZNS1_14partition_implILS8_3ELb0ES6_jNS0_17counting_iteratorIjlEEPS9_SE_NS0_5tupleIJPjSE_EEENSF_IJSE_SE_EEES9_SG_JZNS1_25segmented_radix_sort_implINS0_14default_configELb0EPKbPbPKlPlN2at6native12_GLOBAL__N_18offset_tEEE10hipError_tPvRmT1_PNSt15iterator_traitsISY_E10value_typeET2_T3_PNSZ_IS14_E10value_typeET4_jRbjT5_S1A_jjP12ihipStream_tbEUljE_EEESV_SW_SX_S14_S18_S1A_T6_T7_T9_mT8_S1C_bDpT10_ENKUlT_T0_E_clISt17integral_constantIbLb0EES1P_EEDaS1K_S1L_EUlS1K_E_NS1_11comp_targetILNS1_3genE4ELNS1_11target_archE910ELNS1_3gpuE8ELNS1_3repE0EEENS1_30default_config_static_selectorELNS0_4arch9wavefront6targetE1EEEvSY_.uses_vcc, 0
	.set _ZN7rocprim17ROCPRIM_400000_NS6detail17trampoline_kernelINS0_13select_configILj256ELj13ELNS0_17block_load_methodE3ELS4_3ELS4_3ELNS0_20block_scan_algorithmE0ELj4294967295EEENS1_25partition_config_selectorILNS1_17partition_subalgoE3EjNS0_10empty_typeEbEEZZNS1_14partition_implILS8_3ELb0ES6_jNS0_17counting_iteratorIjlEEPS9_SE_NS0_5tupleIJPjSE_EEENSF_IJSE_SE_EEES9_SG_JZNS1_25segmented_radix_sort_implINS0_14default_configELb0EPKbPbPKlPlN2at6native12_GLOBAL__N_18offset_tEEE10hipError_tPvRmT1_PNSt15iterator_traitsISY_E10value_typeET2_T3_PNSZ_IS14_E10value_typeET4_jRbjT5_S1A_jjP12ihipStream_tbEUljE_EEESV_SW_SX_S14_S18_S1A_T6_T7_T9_mT8_S1C_bDpT10_ENKUlT_T0_E_clISt17integral_constantIbLb0EES1P_EEDaS1K_S1L_EUlS1K_E_NS1_11comp_targetILNS1_3genE4ELNS1_11target_archE910ELNS1_3gpuE8ELNS1_3repE0EEENS1_30default_config_static_selectorELNS0_4arch9wavefront6targetE1EEEvSY_.uses_flat_scratch, 0
	.set _ZN7rocprim17ROCPRIM_400000_NS6detail17trampoline_kernelINS0_13select_configILj256ELj13ELNS0_17block_load_methodE3ELS4_3ELS4_3ELNS0_20block_scan_algorithmE0ELj4294967295EEENS1_25partition_config_selectorILNS1_17partition_subalgoE3EjNS0_10empty_typeEbEEZZNS1_14partition_implILS8_3ELb0ES6_jNS0_17counting_iteratorIjlEEPS9_SE_NS0_5tupleIJPjSE_EEENSF_IJSE_SE_EEES9_SG_JZNS1_25segmented_radix_sort_implINS0_14default_configELb0EPKbPbPKlPlN2at6native12_GLOBAL__N_18offset_tEEE10hipError_tPvRmT1_PNSt15iterator_traitsISY_E10value_typeET2_T3_PNSZ_IS14_E10value_typeET4_jRbjT5_S1A_jjP12ihipStream_tbEUljE_EEESV_SW_SX_S14_S18_S1A_T6_T7_T9_mT8_S1C_bDpT10_ENKUlT_T0_E_clISt17integral_constantIbLb0EES1P_EEDaS1K_S1L_EUlS1K_E_NS1_11comp_targetILNS1_3genE4ELNS1_11target_archE910ELNS1_3gpuE8ELNS1_3repE0EEENS1_30default_config_static_selectorELNS0_4arch9wavefront6targetE1EEEvSY_.has_dyn_sized_stack, 0
	.set _ZN7rocprim17ROCPRIM_400000_NS6detail17trampoline_kernelINS0_13select_configILj256ELj13ELNS0_17block_load_methodE3ELS4_3ELS4_3ELNS0_20block_scan_algorithmE0ELj4294967295EEENS1_25partition_config_selectorILNS1_17partition_subalgoE3EjNS0_10empty_typeEbEEZZNS1_14partition_implILS8_3ELb0ES6_jNS0_17counting_iteratorIjlEEPS9_SE_NS0_5tupleIJPjSE_EEENSF_IJSE_SE_EEES9_SG_JZNS1_25segmented_radix_sort_implINS0_14default_configELb0EPKbPbPKlPlN2at6native12_GLOBAL__N_18offset_tEEE10hipError_tPvRmT1_PNSt15iterator_traitsISY_E10value_typeET2_T3_PNSZ_IS14_E10value_typeET4_jRbjT5_S1A_jjP12ihipStream_tbEUljE_EEESV_SW_SX_S14_S18_S1A_T6_T7_T9_mT8_S1C_bDpT10_ENKUlT_T0_E_clISt17integral_constantIbLb0EES1P_EEDaS1K_S1L_EUlS1K_E_NS1_11comp_targetILNS1_3genE4ELNS1_11target_archE910ELNS1_3gpuE8ELNS1_3repE0EEENS1_30default_config_static_selectorELNS0_4arch9wavefront6targetE1EEEvSY_.has_recursion, 0
	.set _ZN7rocprim17ROCPRIM_400000_NS6detail17trampoline_kernelINS0_13select_configILj256ELj13ELNS0_17block_load_methodE3ELS4_3ELS4_3ELNS0_20block_scan_algorithmE0ELj4294967295EEENS1_25partition_config_selectorILNS1_17partition_subalgoE3EjNS0_10empty_typeEbEEZZNS1_14partition_implILS8_3ELb0ES6_jNS0_17counting_iteratorIjlEEPS9_SE_NS0_5tupleIJPjSE_EEENSF_IJSE_SE_EEES9_SG_JZNS1_25segmented_radix_sort_implINS0_14default_configELb0EPKbPbPKlPlN2at6native12_GLOBAL__N_18offset_tEEE10hipError_tPvRmT1_PNSt15iterator_traitsISY_E10value_typeET2_T3_PNSZ_IS14_E10value_typeET4_jRbjT5_S1A_jjP12ihipStream_tbEUljE_EEESV_SW_SX_S14_S18_S1A_T6_T7_T9_mT8_S1C_bDpT10_ENKUlT_T0_E_clISt17integral_constantIbLb0EES1P_EEDaS1K_S1L_EUlS1K_E_NS1_11comp_targetILNS1_3genE4ELNS1_11target_archE910ELNS1_3gpuE8ELNS1_3repE0EEENS1_30default_config_static_selectorELNS0_4arch9wavefront6targetE1EEEvSY_.has_indirect_call, 0
	.section	.AMDGPU.csdata,"",@progbits
; Kernel info:
; codeLenInByte = 0
; TotalNumSgprs: 4
; NumVgprs: 0
; ScratchSize: 0
; MemoryBound: 0
; FloatMode: 240
; IeeeMode: 1
; LDSByteSize: 0 bytes/workgroup (compile time only)
; SGPRBlocks: 0
; VGPRBlocks: 0
; NumSGPRsForWavesPerEU: 4
; NumVGPRsForWavesPerEU: 1
; Occupancy: 10
; WaveLimiterHint : 0
; COMPUTE_PGM_RSRC2:SCRATCH_EN: 0
; COMPUTE_PGM_RSRC2:USER_SGPR: 6
; COMPUTE_PGM_RSRC2:TRAP_HANDLER: 0
; COMPUTE_PGM_RSRC2:TGID_X_EN: 1
; COMPUTE_PGM_RSRC2:TGID_Y_EN: 0
; COMPUTE_PGM_RSRC2:TGID_Z_EN: 0
; COMPUTE_PGM_RSRC2:TIDIG_COMP_CNT: 0
	.section	.text._ZN7rocprim17ROCPRIM_400000_NS6detail17trampoline_kernelINS0_13select_configILj256ELj13ELNS0_17block_load_methodE3ELS4_3ELS4_3ELNS0_20block_scan_algorithmE0ELj4294967295EEENS1_25partition_config_selectorILNS1_17partition_subalgoE3EjNS0_10empty_typeEbEEZZNS1_14partition_implILS8_3ELb0ES6_jNS0_17counting_iteratorIjlEEPS9_SE_NS0_5tupleIJPjSE_EEENSF_IJSE_SE_EEES9_SG_JZNS1_25segmented_radix_sort_implINS0_14default_configELb0EPKbPbPKlPlN2at6native12_GLOBAL__N_18offset_tEEE10hipError_tPvRmT1_PNSt15iterator_traitsISY_E10value_typeET2_T3_PNSZ_IS14_E10value_typeET4_jRbjT5_S1A_jjP12ihipStream_tbEUljE_EEESV_SW_SX_S14_S18_S1A_T6_T7_T9_mT8_S1C_bDpT10_ENKUlT_T0_E_clISt17integral_constantIbLb0EES1P_EEDaS1K_S1L_EUlS1K_E_NS1_11comp_targetILNS1_3genE3ELNS1_11target_archE908ELNS1_3gpuE7ELNS1_3repE0EEENS1_30default_config_static_selectorELNS0_4arch9wavefront6targetE1EEEvSY_,"axG",@progbits,_ZN7rocprim17ROCPRIM_400000_NS6detail17trampoline_kernelINS0_13select_configILj256ELj13ELNS0_17block_load_methodE3ELS4_3ELS4_3ELNS0_20block_scan_algorithmE0ELj4294967295EEENS1_25partition_config_selectorILNS1_17partition_subalgoE3EjNS0_10empty_typeEbEEZZNS1_14partition_implILS8_3ELb0ES6_jNS0_17counting_iteratorIjlEEPS9_SE_NS0_5tupleIJPjSE_EEENSF_IJSE_SE_EEES9_SG_JZNS1_25segmented_radix_sort_implINS0_14default_configELb0EPKbPbPKlPlN2at6native12_GLOBAL__N_18offset_tEEE10hipError_tPvRmT1_PNSt15iterator_traitsISY_E10value_typeET2_T3_PNSZ_IS14_E10value_typeET4_jRbjT5_S1A_jjP12ihipStream_tbEUljE_EEESV_SW_SX_S14_S18_S1A_T6_T7_T9_mT8_S1C_bDpT10_ENKUlT_T0_E_clISt17integral_constantIbLb0EES1P_EEDaS1K_S1L_EUlS1K_E_NS1_11comp_targetILNS1_3genE3ELNS1_11target_archE908ELNS1_3gpuE7ELNS1_3repE0EEENS1_30default_config_static_selectorELNS0_4arch9wavefront6targetE1EEEvSY_,comdat
	.globl	_ZN7rocprim17ROCPRIM_400000_NS6detail17trampoline_kernelINS0_13select_configILj256ELj13ELNS0_17block_load_methodE3ELS4_3ELS4_3ELNS0_20block_scan_algorithmE0ELj4294967295EEENS1_25partition_config_selectorILNS1_17partition_subalgoE3EjNS0_10empty_typeEbEEZZNS1_14partition_implILS8_3ELb0ES6_jNS0_17counting_iteratorIjlEEPS9_SE_NS0_5tupleIJPjSE_EEENSF_IJSE_SE_EEES9_SG_JZNS1_25segmented_radix_sort_implINS0_14default_configELb0EPKbPbPKlPlN2at6native12_GLOBAL__N_18offset_tEEE10hipError_tPvRmT1_PNSt15iterator_traitsISY_E10value_typeET2_T3_PNSZ_IS14_E10value_typeET4_jRbjT5_S1A_jjP12ihipStream_tbEUljE_EEESV_SW_SX_S14_S18_S1A_T6_T7_T9_mT8_S1C_bDpT10_ENKUlT_T0_E_clISt17integral_constantIbLb0EES1P_EEDaS1K_S1L_EUlS1K_E_NS1_11comp_targetILNS1_3genE3ELNS1_11target_archE908ELNS1_3gpuE7ELNS1_3repE0EEENS1_30default_config_static_selectorELNS0_4arch9wavefront6targetE1EEEvSY_ ; -- Begin function _ZN7rocprim17ROCPRIM_400000_NS6detail17trampoline_kernelINS0_13select_configILj256ELj13ELNS0_17block_load_methodE3ELS4_3ELS4_3ELNS0_20block_scan_algorithmE0ELj4294967295EEENS1_25partition_config_selectorILNS1_17partition_subalgoE3EjNS0_10empty_typeEbEEZZNS1_14partition_implILS8_3ELb0ES6_jNS0_17counting_iteratorIjlEEPS9_SE_NS0_5tupleIJPjSE_EEENSF_IJSE_SE_EEES9_SG_JZNS1_25segmented_radix_sort_implINS0_14default_configELb0EPKbPbPKlPlN2at6native12_GLOBAL__N_18offset_tEEE10hipError_tPvRmT1_PNSt15iterator_traitsISY_E10value_typeET2_T3_PNSZ_IS14_E10value_typeET4_jRbjT5_S1A_jjP12ihipStream_tbEUljE_EEESV_SW_SX_S14_S18_S1A_T6_T7_T9_mT8_S1C_bDpT10_ENKUlT_T0_E_clISt17integral_constantIbLb0EES1P_EEDaS1K_S1L_EUlS1K_E_NS1_11comp_targetILNS1_3genE3ELNS1_11target_archE908ELNS1_3gpuE7ELNS1_3repE0EEENS1_30default_config_static_selectorELNS0_4arch9wavefront6targetE1EEEvSY_
	.p2align	8
	.type	_ZN7rocprim17ROCPRIM_400000_NS6detail17trampoline_kernelINS0_13select_configILj256ELj13ELNS0_17block_load_methodE3ELS4_3ELS4_3ELNS0_20block_scan_algorithmE0ELj4294967295EEENS1_25partition_config_selectorILNS1_17partition_subalgoE3EjNS0_10empty_typeEbEEZZNS1_14partition_implILS8_3ELb0ES6_jNS0_17counting_iteratorIjlEEPS9_SE_NS0_5tupleIJPjSE_EEENSF_IJSE_SE_EEES9_SG_JZNS1_25segmented_radix_sort_implINS0_14default_configELb0EPKbPbPKlPlN2at6native12_GLOBAL__N_18offset_tEEE10hipError_tPvRmT1_PNSt15iterator_traitsISY_E10value_typeET2_T3_PNSZ_IS14_E10value_typeET4_jRbjT5_S1A_jjP12ihipStream_tbEUljE_EEESV_SW_SX_S14_S18_S1A_T6_T7_T9_mT8_S1C_bDpT10_ENKUlT_T0_E_clISt17integral_constantIbLb0EES1P_EEDaS1K_S1L_EUlS1K_E_NS1_11comp_targetILNS1_3genE3ELNS1_11target_archE908ELNS1_3gpuE7ELNS1_3repE0EEENS1_30default_config_static_selectorELNS0_4arch9wavefront6targetE1EEEvSY_,@function
_ZN7rocprim17ROCPRIM_400000_NS6detail17trampoline_kernelINS0_13select_configILj256ELj13ELNS0_17block_load_methodE3ELS4_3ELS4_3ELNS0_20block_scan_algorithmE0ELj4294967295EEENS1_25partition_config_selectorILNS1_17partition_subalgoE3EjNS0_10empty_typeEbEEZZNS1_14partition_implILS8_3ELb0ES6_jNS0_17counting_iteratorIjlEEPS9_SE_NS0_5tupleIJPjSE_EEENSF_IJSE_SE_EEES9_SG_JZNS1_25segmented_radix_sort_implINS0_14default_configELb0EPKbPbPKlPlN2at6native12_GLOBAL__N_18offset_tEEE10hipError_tPvRmT1_PNSt15iterator_traitsISY_E10value_typeET2_T3_PNSZ_IS14_E10value_typeET4_jRbjT5_S1A_jjP12ihipStream_tbEUljE_EEESV_SW_SX_S14_S18_S1A_T6_T7_T9_mT8_S1C_bDpT10_ENKUlT_T0_E_clISt17integral_constantIbLb0EES1P_EEDaS1K_S1L_EUlS1K_E_NS1_11comp_targetILNS1_3genE3ELNS1_11target_archE908ELNS1_3gpuE7ELNS1_3repE0EEENS1_30default_config_static_selectorELNS0_4arch9wavefront6targetE1EEEvSY_: ; @_ZN7rocprim17ROCPRIM_400000_NS6detail17trampoline_kernelINS0_13select_configILj256ELj13ELNS0_17block_load_methodE3ELS4_3ELS4_3ELNS0_20block_scan_algorithmE0ELj4294967295EEENS1_25partition_config_selectorILNS1_17partition_subalgoE3EjNS0_10empty_typeEbEEZZNS1_14partition_implILS8_3ELb0ES6_jNS0_17counting_iteratorIjlEEPS9_SE_NS0_5tupleIJPjSE_EEENSF_IJSE_SE_EEES9_SG_JZNS1_25segmented_radix_sort_implINS0_14default_configELb0EPKbPbPKlPlN2at6native12_GLOBAL__N_18offset_tEEE10hipError_tPvRmT1_PNSt15iterator_traitsISY_E10value_typeET2_T3_PNSZ_IS14_E10value_typeET4_jRbjT5_S1A_jjP12ihipStream_tbEUljE_EEESV_SW_SX_S14_S18_S1A_T6_T7_T9_mT8_S1C_bDpT10_ENKUlT_T0_E_clISt17integral_constantIbLb0EES1P_EEDaS1K_S1L_EUlS1K_E_NS1_11comp_targetILNS1_3genE3ELNS1_11target_archE908ELNS1_3gpuE7ELNS1_3repE0EEENS1_30default_config_static_selectorELNS0_4arch9wavefront6targetE1EEEvSY_
; %bb.0:
	.section	.rodata,"a",@progbits
	.p2align	6, 0x0
	.amdhsa_kernel _ZN7rocprim17ROCPRIM_400000_NS6detail17trampoline_kernelINS0_13select_configILj256ELj13ELNS0_17block_load_methodE3ELS4_3ELS4_3ELNS0_20block_scan_algorithmE0ELj4294967295EEENS1_25partition_config_selectorILNS1_17partition_subalgoE3EjNS0_10empty_typeEbEEZZNS1_14partition_implILS8_3ELb0ES6_jNS0_17counting_iteratorIjlEEPS9_SE_NS0_5tupleIJPjSE_EEENSF_IJSE_SE_EEES9_SG_JZNS1_25segmented_radix_sort_implINS0_14default_configELb0EPKbPbPKlPlN2at6native12_GLOBAL__N_18offset_tEEE10hipError_tPvRmT1_PNSt15iterator_traitsISY_E10value_typeET2_T3_PNSZ_IS14_E10value_typeET4_jRbjT5_S1A_jjP12ihipStream_tbEUljE_EEESV_SW_SX_S14_S18_S1A_T6_T7_T9_mT8_S1C_bDpT10_ENKUlT_T0_E_clISt17integral_constantIbLb0EES1P_EEDaS1K_S1L_EUlS1K_E_NS1_11comp_targetILNS1_3genE3ELNS1_11target_archE908ELNS1_3gpuE7ELNS1_3repE0EEENS1_30default_config_static_selectorELNS0_4arch9wavefront6targetE1EEEvSY_
		.amdhsa_group_segment_fixed_size 0
		.amdhsa_private_segment_fixed_size 0
		.amdhsa_kernarg_size 144
		.amdhsa_user_sgpr_count 6
		.amdhsa_user_sgpr_private_segment_buffer 1
		.amdhsa_user_sgpr_dispatch_ptr 0
		.amdhsa_user_sgpr_queue_ptr 0
		.amdhsa_user_sgpr_kernarg_segment_ptr 1
		.amdhsa_user_sgpr_dispatch_id 0
		.amdhsa_user_sgpr_flat_scratch_init 0
		.amdhsa_user_sgpr_private_segment_size 0
		.amdhsa_uses_dynamic_stack 0
		.amdhsa_system_sgpr_private_segment_wavefront_offset 0
		.amdhsa_system_sgpr_workgroup_id_x 1
		.amdhsa_system_sgpr_workgroup_id_y 0
		.amdhsa_system_sgpr_workgroup_id_z 0
		.amdhsa_system_sgpr_workgroup_info 0
		.amdhsa_system_vgpr_workitem_id 0
		.amdhsa_next_free_vgpr 1
		.amdhsa_next_free_sgpr 0
		.amdhsa_reserve_vcc 0
		.amdhsa_reserve_flat_scratch 0
		.amdhsa_float_round_mode_32 0
		.amdhsa_float_round_mode_16_64 0
		.amdhsa_float_denorm_mode_32 3
		.amdhsa_float_denorm_mode_16_64 3
		.amdhsa_dx10_clamp 1
		.amdhsa_ieee_mode 1
		.amdhsa_fp16_overflow 0
		.amdhsa_exception_fp_ieee_invalid_op 0
		.amdhsa_exception_fp_denorm_src 0
		.amdhsa_exception_fp_ieee_div_zero 0
		.amdhsa_exception_fp_ieee_overflow 0
		.amdhsa_exception_fp_ieee_underflow 0
		.amdhsa_exception_fp_ieee_inexact 0
		.amdhsa_exception_int_div_zero 0
	.end_amdhsa_kernel
	.section	.text._ZN7rocprim17ROCPRIM_400000_NS6detail17trampoline_kernelINS0_13select_configILj256ELj13ELNS0_17block_load_methodE3ELS4_3ELS4_3ELNS0_20block_scan_algorithmE0ELj4294967295EEENS1_25partition_config_selectorILNS1_17partition_subalgoE3EjNS0_10empty_typeEbEEZZNS1_14partition_implILS8_3ELb0ES6_jNS0_17counting_iteratorIjlEEPS9_SE_NS0_5tupleIJPjSE_EEENSF_IJSE_SE_EEES9_SG_JZNS1_25segmented_radix_sort_implINS0_14default_configELb0EPKbPbPKlPlN2at6native12_GLOBAL__N_18offset_tEEE10hipError_tPvRmT1_PNSt15iterator_traitsISY_E10value_typeET2_T3_PNSZ_IS14_E10value_typeET4_jRbjT5_S1A_jjP12ihipStream_tbEUljE_EEESV_SW_SX_S14_S18_S1A_T6_T7_T9_mT8_S1C_bDpT10_ENKUlT_T0_E_clISt17integral_constantIbLb0EES1P_EEDaS1K_S1L_EUlS1K_E_NS1_11comp_targetILNS1_3genE3ELNS1_11target_archE908ELNS1_3gpuE7ELNS1_3repE0EEENS1_30default_config_static_selectorELNS0_4arch9wavefront6targetE1EEEvSY_,"axG",@progbits,_ZN7rocprim17ROCPRIM_400000_NS6detail17trampoline_kernelINS0_13select_configILj256ELj13ELNS0_17block_load_methodE3ELS4_3ELS4_3ELNS0_20block_scan_algorithmE0ELj4294967295EEENS1_25partition_config_selectorILNS1_17partition_subalgoE3EjNS0_10empty_typeEbEEZZNS1_14partition_implILS8_3ELb0ES6_jNS0_17counting_iteratorIjlEEPS9_SE_NS0_5tupleIJPjSE_EEENSF_IJSE_SE_EEES9_SG_JZNS1_25segmented_radix_sort_implINS0_14default_configELb0EPKbPbPKlPlN2at6native12_GLOBAL__N_18offset_tEEE10hipError_tPvRmT1_PNSt15iterator_traitsISY_E10value_typeET2_T3_PNSZ_IS14_E10value_typeET4_jRbjT5_S1A_jjP12ihipStream_tbEUljE_EEESV_SW_SX_S14_S18_S1A_T6_T7_T9_mT8_S1C_bDpT10_ENKUlT_T0_E_clISt17integral_constantIbLb0EES1P_EEDaS1K_S1L_EUlS1K_E_NS1_11comp_targetILNS1_3genE3ELNS1_11target_archE908ELNS1_3gpuE7ELNS1_3repE0EEENS1_30default_config_static_selectorELNS0_4arch9wavefront6targetE1EEEvSY_,comdat
.Lfunc_end1606:
	.size	_ZN7rocprim17ROCPRIM_400000_NS6detail17trampoline_kernelINS0_13select_configILj256ELj13ELNS0_17block_load_methodE3ELS4_3ELS4_3ELNS0_20block_scan_algorithmE0ELj4294967295EEENS1_25partition_config_selectorILNS1_17partition_subalgoE3EjNS0_10empty_typeEbEEZZNS1_14partition_implILS8_3ELb0ES6_jNS0_17counting_iteratorIjlEEPS9_SE_NS0_5tupleIJPjSE_EEENSF_IJSE_SE_EEES9_SG_JZNS1_25segmented_radix_sort_implINS0_14default_configELb0EPKbPbPKlPlN2at6native12_GLOBAL__N_18offset_tEEE10hipError_tPvRmT1_PNSt15iterator_traitsISY_E10value_typeET2_T3_PNSZ_IS14_E10value_typeET4_jRbjT5_S1A_jjP12ihipStream_tbEUljE_EEESV_SW_SX_S14_S18_S1A_T6_T7_T9_mT8_S1C_bDpT10_ENKUlT_T0_E_clISt17integral_constantIbLb0EES1P_EEDaS1K_S1L_EUlS1K_E_NS1_11comp_targetILNS1_3genE3ELNS1_11target_archE908ELNS1_3gpuE7ELNS1_3repE0EEENS1_30default_config_static_selectorELNS0_4arch9wavefront6targetE1EEEvSY_, .Lfunc_end1606-_ZN7rocprim17ROCPRIM_400000_NS6detail17trampoline_kernelINS0_13select_configILj256ELj13ELNS0_17block_load_methodE3ELS4_3ELS4_3ELNS0_20block_scan_algorithmE0ELj4294967295EEENS1_25partition_config_selectorILNS1_17partition_subalgoE3EjNS0_10empty_typeEbEEZZNS1_14partition_implILS8_3ELb0ES6_jNS0_17counting_iteratorIjlEEPS9_SE_NS0_5tupleIJPjSE_EEENSF_IJSE_SE_EEES9_SG_JZNS1_25segmented_radix_sort_implINS0_14default_configELb0EPKbPbPKlPlN2at6native12_GLOBAL__N_18offset_tEEE10hipError_tPvRmT1_PNSt15iterator_traitsISY_E10value_typeET2_T3_PNSZ_IS14_E10value_typeET4_jRbjT5_S1A_jjP12ihipStream_tbEUljE_EEESV_SW_SX_S14_S18_S1A_T6_T7_T9_mT8_S1C_bDpT10_ENKUlT_T0_E_clISt17integral_constantIbLb0EES1P_EEDaS1K_S1L_EUlS1K_E_NS1_11comp_targetILNS1_3genE3ELNS1_11target_archE908ELNS1_3gpuE7ELNS1_3repE0EEENS1_30default_config_static_selectorELNS0_4arch9wavefront6targetE1EEEvSY_
                                        ; -- End function
	.set _ZN7rocprim17ROCPRIM_400000_NS6detail17trampoline_kernelINS0_13select_configILj256ELj13ELNS0_17block_load_methodE3ELS4_3ELS4_3ELNS0_20block_scan_algorithmE0ELj4294967295EEENS1_25partition_config_selectorILNS1_17partition_subalgoE3EjNS0_10empty_typeEbEEZZNS1_14partition_implILS8_3ELb0ES6_jNS0_17counting_iteratorIjlEEPS9_SE_NS0_5tupleIJPjSE_EEENSF_IJSE_SE_EEES9_SG_JZNS1_25segmented_radix_sort_implINS0_14default_configELb0EPKbPbPKlPlN2at6native12_GLOBAL__N_18offset_tEEE10hipError_tPvRmT1_PNSt15iterator_traitsISY_E10value_typeET2_T3_PNSZ_IS14_E10value_typeET4_jRbjT5_S1A_jjP12ihipStream_tbEUljE_EEESV_SW_SX_S14_S18_S1A_T6_T7_T9_mT8_S1C_bDpT10_ENKUlT_T0_E_clISt17integral_constantIbLb0EES1P_EEDaS1K_S1L_EUlS1K_E_NS1_11comp_targetILNS1_3genE3ELNS1_11target_archE908ELNS1_3gpuE7ELNS1_3repE0EEENS1_30default_config_static_selectorELNS0_4arch9wavefront6targetE1EEEvSY_.num_vgpr, 0
	.set _ZN7rocprim17ROCPRIM_400000_NS6detail17trampoline_kernelINS0_13select_configILj256ELj13ELNS0_17block_load_methodE3ELS4_3ELS4_3ELNS0_20block_scan_algorithmE0ELj4294967295EEENS1_25partition_config_selectorILNS1_17partition_subalgoE3EjNS0_10empty_typeEbEEZZNS1_14partition_implILS8_3ELb0ES6_jNS0_17counting_iteratorIjlEEPS9_SE_NS0_5tupleIJPjSE_EEENSF_IJSE_SE_EEES9_SG_JZNS1_25segmented_radix_sort_implINS0_14default_configELb0EPKbPbPKlPlN2at6native12_GLOBAL__N_18offset_tEEE10hipError_tPvRmT1_PNSt15iterator_traitsISY_E10value_typeET2_T3_PNSZ_IS14_E10value_typeET4_jRbjT5_S1A_jjP12ihipStream_tbEUljE_EEESV_SW_SX_S14_S18_S1A_T6_T7_T9_mT8_S1C_bDpT10_ENKUlT_T0_E_clISt17integral_constantIbLb0EES1P_EEDaS1K_S1L_EUlS1K_E_NS1_11comp_targetILNS1_3genE3ELNS1_11target_archE908ELNS1_3gpuE7ELNS1_3repE0EEENS1_30default_config_static_selectorELNS0_4arch9wavefront6targetE1EEEvSY_.num_agpr, 0
	.set _ZN7rocprim17ROCPRIM_400000_NS6detail17trampoline_kernelINS0_13select_configILj256ELj13ELNS0_17block_load_methodE3ELS4_3ELS4_3ELNS0_20block_scan_algorithmE0ELj4294967295EEENS1_25partition_config_selectorILNS1_17partition_subalgoE3EjNS0_10empty_typeEbEEZZNS1_14partition_implILS8_3ELb0ES6_jNS0_17counting_iteratorIjlEEPS9_SE_NS0_5tupleIJPjSE_EEENSF_IJSE_SE_EEES9_SG_JZNS1_25segmented_radix_sort_implINS0_14default_configELb0EPKbPbPKlPlN2at6native12_GLOBAL__N_18offset_tEEE10hipError_tPvRmT1_PNSt15iterator_traitsISY_E10value_typeET2_T3_PNSZ_IS14_E10value_typeET4_jRbjT5_S1A_jjP12ihipStream_tbEUljE_EEESV_SW_SX_S14_S18_S1A_T6_T7_T9_mT8_S1C_bDpT10_ENKUlT_T0_E_clISt17integral_constantIbLb0EES1P_EEDaS1K_S1L_EUlS1K_E_NS1_11comp_targetILNS1_3genE3ELNS1_11target_archE908ELNS1_3gpuE7ELNS1_3repE0EEENS1_30default_config_static_selectorELNS0_4arch9wavefront6targetE1EEEvSY_.numbered_sgpr, 0
	.set _ZN7rocprim17ROCPRIM_400000_NS6detail17trampoline_kernelINS0_13select_configILj256ELj13ELNS0_17block_load_methodE3ELS4_3ELS4_3ELNS0_20block_scan_algorithmE0ELj4294967295EEENS1_25partition_config_selectorILNS1_17partition_subalgoE3EjNS0_10empty_typeEbEEZZNS1_14partition_implILS8_3ELb0ES6_jNS0_17counting_iteratorIjlEEPS9_SE_NS0_5tupleIJPjSE_EEENSF_IJSE_SE_EEES9_SG_JZNS1_25segmented_radix_sort_implINS0_14default_configELb0EPKbPbPKlPlN2at6native12_GLOBAL__N_18offset_tEEE10hipError_tPvRmT1_PNSt15iterator_traitsISY_E10value_typeET2_T3_PNSZ_IS14_E10value_typeET4_jRbjT5_S1A_jjP12ihipStream_tbEUljE_EEESV_SW_SX_S14_S18_S1A_T6_T7_T9_mT8_S1C_bDpT10_ENKUlT_T0_E_clISt17integral_constantIbLb0EES1P_EEDaS1K_S1L_EUlS1K_E_NS1_11comp_targetILNS1_3genE3ELNS1_11target_archE908ELNS1_3gpuE7ELNS1_3repE0EEENS1_30default_config_static_selectorELNS0_4arch9wavefront6targetE1EEEvSY_.num_named_barrier, 0
	.set _ZN7rocprim17ROCPRIM_400000_NS6detail17trampoline_kernelINS0_13select_configILj256ELj13ELNS0_17block_load_methodE3ELS4_3ELS4_3ELNS0_20block_scan_algorithmE0ELj4294967295EEENS1_25partition_config_selectorILNS1_17partition_subalgoE3EjNS0_10empty_typeEbEEZZNS1_14partition_implILS8_3ELb0ES6_jNS0_17counting_iteratorIjlEEPS9_SE_NS0_5tupleIJPjSE_EEENSF_IJSE_SE_EEES9_SG_JZNS1_25segmented_radix_sort_implINS0_14default_configELb0EPKbPbPKlPlN2at6native12_GLOBAL__N_18offset_tEEE10hipError_tPvRmT1_PNSt15iterator_traitsISY_E10value_typeET2_T3_PNSZ_IS14_E10value_typeET4_jRbjT5_S1A_jjP12ihipStream_tbEUljE_EEESV_SW_SX_S14_S18_S1A_T6_T7_T9_mT8_S1C_bDpT10_ENKUlT_T0_E_clISt17integral_constantIbLb0EES1P_EEDaS1K_S1L_EUlS1K_E_NS1_11comp_targetILNS1_3genE3ELNS1_11target_archE908ELNS1_3gpuE7ELNS1_3repE0EEENS1_30default_config_static_selectorELNS0_4arch9wavefront6targetE1EEEvSY_.private_seg_size, 0
	.set _ZN7rocprim17ROCPRIM_400000_NS6detail17trampoline_kernelINS0_13select_configILj256ELj13ELNS0_17block_load_methodE3ELS4_3ELS4_3ELNS0_20block_scan_algorithmE0ELj4294967295EEENS1_25partition_config_selectorILNS1_17partition_subalgoE3EjNS0_10empty_typeEbEEZZNS1_14partition_implILS8_3ELb0ES6_jNS0_17counting_iteratorIjlEEPS9_SE_NS0_5tupleIJPjSE_EEENSF_IJSE_SE_EEES9_SG_JZNS1_25segmented_radix_sort_implINS0_14default_configELb0EPKbPbPKlPlN2at6native12_GLOBAL__N_18offset_tEEE10hipError_tPvRmT1_PNSt15iterator_traitsISY_E10value_typeET2_T3_PNSZ_IS14_E10value_typeET4_jRbjT5_S1A_jjP12ihipStream_tbEUljE_EEESV_SW_SX_S14_S18_S1A_T6_T7_T9_mT8_S1C_bDpT10_ENKUlT_T0_E_clISt17integral_constantIbLb0EES1P_EEDaS1K_S1L_EUlS1K_E_NS1_11comp_targetILNS1_3genE3ELNS1_11target_archE908ELNS1_3gpuE7ELNS1_3repE0EEENS1_30default_config_static_selectorELNS0_4arch9wavefront6targetE1EEEvSY_.uses_vcc, 0
	.set _ZN7rocprim17ROCPRIM_400000_NS6detail17trampoline_kernelINS0_13select_configILj256ELj13ELNS0_17block_load_methodE3ELS4_3ELS4_3ELNS0_20block_scan_algorithmE0ELj4294967295EEENS1_25partition_config_selectorILNS1_17partition_subalgoE3EjNS0_10empty_typeEbEEZZNS1_14partition_implILS8_3ELb0ES6_jNS0_17counting_iteratorIjlEEPS9_SE_NS0_5tupleIJPjSE_EEENSF_IJSE_SE_EEES9_SG_JZNS1_25segmented_radix_sort_implINS0_14default_configELb0EPKbPbPKlPlN2at6native12_GLOBAL__N_18offset_tEEE10hipError_tPvRmT1_PNSt15iterator_traitsISY_E10value_typeET2_T3_PNSZ_IS14_E10value_typeET4_jRbjT5_S1A_jjP12ihipStream_tbEUljE_EEESV_SW_SX_S14_S18_S1A_T6_T7_T9_mT8_S1C_bDpT10_ENKUlT_T0_E_clISt17integral_constantIbLb0EES1P_EEDaS1K_S1L_EUlS1K_E_NS1_11comp_targetILNS1_3genE3ELNS1_11target_archE908ELNS1_3gpuE7ELNS1_3repE0EEENS1_30default_config_static_selectorELNS0_4arch9wavefront6targetE1EEEvSY_.uses_flat_scratch, 0
	.set _ZN7rocprim17ROCPRIM_400000_NS6detail17trampoline_kernelINS0_13select_configILj256ELj13ELNS0_17block_load_methodE3ELS4_3ELS4_3ELNS0_20block_scan_algorithmE0ELj4294967295EEENS1_25partition_config_selectorILNS1_17partition_subalgoE3EjNS0_10empty_typeEbEEZZNS1_14partition_implILS8_3ELb0ES6_jNS0_17counting_iteratorIjlEEPS9_SE_NS0_5tupleIJPjSE_EEENSF_IJSE_SE_EEES9_SG_JZNS1_25segmented_radix_sort_implINS0_14default_configELb0EPKbPbPKlPlN2at6native12_GLOBAL__N_18offset_tEEE10hipError_tPvRmT1_PNSt15iterator_traitsISY_E10value_typeET2_T3_PNSZ_IS14_E10value_typeET4_jRbjT5_S1A_jjP12ihipStream_tbEUljE_EEESV_SW_SX_S14_S18_S1A_T6_T7_T9_mT8_S1C_bDpT10_ENKUlT_T0_E_clISt17integral_constantIbLb0EES1P_EEDaS1K_S1L_EUlS1K_E_NS1_11comp_targetILNS1_3genE3ELNS1_11target_archE908ELNS1_3gpuE7ELNS1_3repE0EEENS1_30default_config_static_selectorELNS0_4arch9wavefront6targetE1EEEvSY_.has_dyn_sized_stack, 0
	.set _ZN7rocprim17ROCPRIM_400000_NS6detail17trampoline_kernelINS0_13select_configILj256ELj13ELNS0_17block_load_methodE3ELS4_3ELS4_3ELNS0_20block_scan_algorithmE0ELj4294967295EEENS1_25partition_config_selectorILNS1_17partition_subalgoE3EjNS0_10empty_typeEbEEZZNS1_14partition_implILS8_3ELb0ES6_jNS0_17counting_iteratorIjlEEPS9_SE_NS0_5tupleIJPjSE_EEENSF_IJSE_SE_EEES9_SG_JZNS1_25segmented_radix_sort_implINS0_14default_configELb0EPKbPbPKlPlN2at6native12_GLOBAL__N_18offset_tEEE10hipError_tPvRmT1_PNSt15iterator_traitsISY_E10value_typeET2_T3_PNSZ_IS14_E10value_typeET4_jRbjT5_S1A_jjP12ihipStream_tbEUljE_EEESV_SW_SX_S14_S18_S1A_T6_T7_T9_mT8_S1C_bDpT10_ENKUlT_T0_E_clISt17integral_constantIbLb0EES1P_EEDaS1K_S1L_EUlS1K_E_NS1_11comp_targetILNS1_3genE3ELNS1_11target_archE908ELNS1_3gpuE7ELNS1_3repE0EEENS1_30default_config_static_selectorELNS0_4arch9wavefront6targetE1EEEvSY_.has_recursion, 0
	.set _ZN7rocprim17ROCPRIM_400000_NS6detail17trampoline_kernelINS0_13select_configILj256ELj13ELNS0_17block_load_methodE3ELS4_3ELS4_3ELNS0_20block_scan_algorithmE0ELj4294967295EEENS1_25partition_config_selectorILNS1_17partition_subalgoE3EjNS0_10empty_typeEbEEZZNS1_14partition_implILS8_3ELb0ES6_jNS0_17counting_iteratorIjlEEPS9_SE_NS0_5tupleIJPjSE_EEENSF_IJSE_SE_EEES9_SG_JZNS1_25segmented_radix_sort_implINS0_14default_configELb0EPKbPbPKlPlN2at6native12_GLOBAL__N_18offset_tEEE10hipError_tPvRmT1_PNSt15iterator_traitsISY_E10value_typeET2_T3_PNSZ_IS14_E10value_typeET4_jRbjT5_S1A_jjP12ihipStream_tbEUljE_EEESV_SW_SX_S14_S18_S1A_T6_T7_T9_mT8_S1C_bDpT10_ENKUlT_T0_E_clISt17integral_constantIbLb0EES1P_EEDaS1K_S1L_EUlS1K_E_NS1_11comp_targetILNS1_3genE3ELNS1_11target_archE908ELNS1_3gpuE7ELNS1_3repE0EEENS1_30default_config_static_selectorELNS0_4arch9wavefront6targetE1EEEvSY_.has_indirect_call, 0
	.section	.AMDGPU.csdata,"",@progbits
; Kernel info:
; codeLenInByte = 0
; TotalNumSgprs: 4
; NumVgprs: 0
; ScratchSize: 0
; MemoryBound: 0
; FloatMode: 240
; IeeeMode: 1
; LDSByteSize: 0 bytes/workgroup (compile time only)
; SGPRBlocks: 0
; VGPRBlocks: 0
; NumSGPRsForWavesPerEU: 4
; NumVGPRsForWavesPerEU: 1
; Occupancy: 10
; WaveLimiterHint : 0
; COMPUTE_PGM_RSRC2:SCRATCH_EN: 0
; COMPUTE_PGM_RSRC2:USER_SGPR: 6
; COMPUTE_PGM_RSRC2:TRAP_HANDLER: 0
; COMPUTE_PGM_RSRC2:TGID_X_EN: 1
; COMPUTE_PGM_RSRC2:TGID_Y_EN: 0
; COMPUTE_PGM_RSRC2:TGID_Z_EN: 0
; COMPUTE_PGM_RSRC2:TIDIG_COMP_CNT: 0
	.section	.text._ZN7rocprim17ROCPRIM_400000_NS6detail17trampoline_kernelINS0_13select_configILj256ELj13ELNS0_17block_load_methodE3ELS4_3ELS4_3ELNS0_20block_scan_algorithmE0ELj4294967295EEENS1_25partition_config_selectorILNS1_17partition_subalgoE3EjNS0_10empty_typeEbEEZZNS1_14partition_implILS8_3ELb0ES6_jNS0_17counting_iteratorIjlEEPS9_SE_NS0_5tupleIJPjSE_EEENSF_IJSE_SE_EEES9_SG_JZNS1_25segmented_radix_sort_implINS0_14default_configELb0EPKbPbPKlPlN2at6native12_GLOBAL__N_18offset_tEEE10hipError_tPvRmT1_PNSt15iterator_traitsISY_E10value_typeET2_T3_PNSZ_IS14_E10value_typeET4_jRbjT5_S1A_jjP12ihipStream_tbEUljE_EEESV_SW_SX_S14_S18_S1A_T6_T7_T9_mT8_S1C_bDpT10_ENKUlT_T0_E_clISt17integral_constantIbLb0EES1P_EEDaS1K_S1L_EUlS1K_E_NS1_11comp_targetILNS1_3genE2ELNS1_11target_archE906ELNS1_3gpuE6ELNS1_3repE0EEENS1_30default_config_static_selectorELNS0_4arch9wavefront6targetE1EEEvSY_,"axG",@progbits,_ZN7rocprim17ROCPRIM_400000_NS6detail17trampoline_kernelINS0_13select_configILj256ELj13ELNS0_17block_load_methodE3ELS4_3ELS4_3ELNS0_20block_scan_algorithmE0ELj4294967295EEENS1_25partition_config_selectorILNS1_17partition_subalgoE3EjNS0_10empty_typeEbEEZZNS1_14partition_implILS8_3ELb0ES6_jNS0_17counting_iteratorIjlEEPS9_SE_NS0_5tupleIJPjSE_EEENSF_IJSE_SE_EEES9_SG_JZNS1_25segmented_radix_sort_implINS0_14default_configELb0EPKbPbPKlPlN2at6native12_GLOBAL__N_18offset_tEEE10hipError_tPvRmT1_PNSt15iterator_traitsISY_E10value_typeET2_T3_PNSZ_IS14_E10value_typeET4_jRbjT5_S1A_jjP12ihipStream_tbEUljE_EEESV_SW_SX_S14_S18_S1A_T6_T7_T9_mT8_S1C_bDpT10_ENKUlT_T0_E_clISt17integral_constantIbLb0EES1P_EEDaS1K_S1L_EUlS1K_E_NS1_11comp_targetILNS1_3genE2ELNS1_11target_archE906ELNS1_3gpuE6ELNS1_3repE0EEENS1_30default_config_static_selectorELNS0_4arch9wavefront6targetE1EEEvSY_,comdat
	.globl	_ZN7rocprim17ROCPRIM_400000_NS6detail17trampoline_kernelINS0_13select_configILj256ELj13ELNS0_17block_load_methodE3ELS4_3ELS4_3ELNS0_20block_scan_algorithmE0ELj4294967295EEENS1_25partition_config_selectorILNS1_17partition_subalgoE3EjNS0_10empty_typeEbEEZZNS1_14partition_implILS8_3ELb0ES6_jNS0_17counting_iteratorIjlEEPS9_SE_NS0_5tupleIJPjSE_EEENSF_IJSE_SE_EEES9_SG_JZNS1_25segmented_radix_sort_implINS0_14default_configELb0EPKbPbPKlPlN2at6native12_GLOBAL__N_18offset_tEEE10hipError_tPvRmT1_PNSt15iterator_traitsISY_E10value_typeET2_T3_PNSZ_IS14_E10value_typeET4_jRbjT5_S1A_jjP12ihipStream_tbEUljE_EEESV_SW_SX_S14_S18_S1A_T6_T7_T9_mT8_S1C_bDpT10_ENKUlT_T0_E_clISt17integral_constantIbLb0EES1P_EEDaS1K_S1L_EUlS1K_E_NS1_11comp_targetILNS1_3genE2ELNS1_11target_archE906ELNS1_3gpuE6ELNS1_3repE0EEENS1_30default_config_static_selectorELNS0_4arch9wavefront6targetE1EEEvSY_ ; -- Begin function _ZN7rocprim17ROCPRIM_400000_NS6detail17trampoline_kernelINS0_13select_configILj256ELj13ELNS0_17block_load_methodE3ELS4_3ELS4_3ELNS0_20block_scan_algorithmE0ELj4294967295EEENS1_25partition_config_selectorILNS1_17partition_subalgoE3EjNS0_10empty_typeEbEEZZNS1_14partition_implILS8_3ELb0ES6_jNS0_17counting_iteratorIjlEEPS9_SE_NS0_5tupleIJPjSE_EEENSF_IJSE_SE_EEES9_SG_JZNS1_25segmented_radix_sort_implINS0_14default_configELb0EPKbPbPKlPlN2at6native12_GLOBAL__N_18offset_tEEE10hipError_tPvRmT1_PNSt15iterator_traitsISY_E10value_typeET2_T3_PNSZ_IS14_E10value_typeET4_jRbjT5_S1A_jjP12ihipStream_tbEUljE_EEESV_SW_SX_S14_S18_S1A_T6_T7_T9_mT8_S1C_bDpT10_ENKUlT_T0_E_clISt17integral_constantIbLb0EES1P_EEDaS1K_S1L_EUlS1K_E_NS1_11comp_targetILNS1_3genE2ELNS1_11target_archE906ELNS1_3gpuE6ELNS1_3repE0EEENS1_30default_config_static_selectorELNS0_4arch9wavefront6targetE1EEEvSY_
	.p2align	8
	.type	_ZN7rocprim17ROCPRIM_400000_NS6detail17trampoline_kernelINS0_13select_configILj256ELj13ELNS0_17block_load_methodE3ELS4_3ELS4_3ELNS0_20block_scan_algorithmE0ELj4294967295EEENS1_25partition_config_selectorILNS1_17partition_subalgoE3EjNS0_10empty_typeEbEEZZNS1_14partition_implILS8_3ELb0ES6_jNS0_17counting_iteratorIjlEEPS9_SE_NS0_5tupleIJPjSE_EEENSF_IJSE_SE_EEES9_SG_JZNS1_25segmented_radix_sort_implINS0_14default_configELb0EPKbPbPKlPlN2at6native12_GLOBAL__N_18offset_tEEE10hipError_tPvRmT1_PNSt15iterator_traitsISY_E10value_typeET2_T3_PNSZ_IS14_E10value_typeET4_jRbjT5_S1A_jjP12ihipStream_tbEUljE_EEESV_SW_SX_S14_S18_S1A_T6_T7_T9_mT8_S1C_bDpT10_ENKUlT_T0_E_clISt17integral_constantIbLb0EES1P_EEDaS1K_S1L_EUlS1K_E_NS1_11comp_targetILNS1_3genE2ELNS1_11target_archE906ELNS1_3gpuE6ELNS1_3repE0EEENS1_30default_config_static_selectorELNS0_4arch9wavefront6targetE1EEEvSY_,@function
_ZN7rocprim17ROCPRIM_400000_NS6detail17trampoline_kernelINS0_13select_configILj256ELj13ELNS0_17block_load_methodE3ELS4_3ELS4_3ELNS0_20block_scan_algorithmE0ELj4294967295EEENS1_25partition_config_selectorILNS1_17partition_subalgoE3EjNS0_10empty_typeEbEEZZNS1_14partition_implILS8_3ELb0ES6_jNS0_17counting_iteratorIjlEEPS9_SE_NS0_5tupleIJPjSE_EEENSF_IJSE_SE_EEES9_SG_JZNS1_25segmented_radix_sort_implINS0_14default_configELb0EPKbPbPKlPlN2at6native12_GLOBAL__N_18offset_tEEE10hipError_tPvRmT1_PNSt15iterator_traitsISY_E10value_typeET2_T3_PNSZ_IS14_E10value_typeET4_jRbjT5_S1A_jjP12ihipStream_tbEUljE_EEESV_SW_SX_S14_S18_S1A_T6_T7_T9_mT8_S1C_bDpT10_ENKUlT_T0_E_clISt17integral_constantIbLb0EES1P_EEDaS1K_S1L_EUlS1K_E_NS1_11comp_targetILNS1_3genE2ELNS1_11target_archE906ELNS1_3gpuE6ELNS1_3repE0EEENS1_30default_config_static_selectorELNS0_4arch9wavefront6targetE1EEEvSY_: ; @_ZN7rocprim17ROCPRIM_400000_NS6detail17trampoline_kernelINS0_13select_configILj256ELj13ELNS0_17block_load_methodE3ELS4_3ELS4_3ELNS0_20block_scan_algorithmE0ELj4294967295EEENS1_25partition_config_selectorILNS1_17partition_subalgoE3EjNS0_10empty_typeEbEEZZNS1_14partition_implILS8_3ELb0ES6_jNS0_17counting_iteratorIjlEEPS9_SE_NS0_5tupleIJPjSE_EEENSF_IJSE_SE_EEES9_SG_JZNS1_25segmented_radix_sort_implINS0_14default_configELb0EPKbPbPKlPlN2at6native12_GLOBAL__N_18offset_tEEE10hipError_tPvRmT1_PNSt15iterator_traitsISY_E10value_typeET2_T3_PNSZ_IS14_E10value_typeET4_jRbjT5_S1A_jjP12ihipStream_tbEUljE_EEESV_SW_SX_S14_S18_S1A_T6_T7_T9_mT8_S1C_bDpT10_ENKUlT_T0_E_clISt17integral_constantIbLb0EES1P_EEDaS1K_S1L_EUlS1K_E_NS1_11comp_targetILNS1_3genE2ELNS1_11target_archE906ELNS1_3gpuE6ELNS1_3repE0EEENS1_30default_config_static_selectorELNS0_4arch9wavefront6targetE1EEEvSY_
; %bb.0:
	s_load_dwordx2 s[28:29], s[4:5], 0x58
	s_load_dwordx4 s[24:27], s[4:5], 0x48
	s_load_dword s12, s[4:5], 0x8
	s_load_dwordx2 s[30:31], s[4:5], 0x10
	s_load_dword s0, s[4:5], 0x70
	s_load_dword s7, s[4:5], 0x88
	s_load_dwordx4 s[8:11], s[4:5], 0x78
	s_waitcnt lgkmcnt(0)
	s_load_dwordx2 s[34:35], s[26:27], 0x0
	s_mul_i32 s44, s6, 0xd00
	s_add_i32 s2, s0, -1
	s_mulk_i32 s0, 0xd00
	s_add_i32 s1, s0, s30
	s_sub_i32 s33, s28, s1
	s_addk_i32 s33, 0xd00
	s_add_u32 s0, s30, s0
	s_addc_u32 s1, s31, 0
	v_mov_b32_e32 v2, s1
	v_mov_b32_e32 v1, s0
	s_cmp_eq_u32 s6, s2
	v_cmp_gt_u64_e32 vcc, s[28:29], v[1:2]
	s_cselect_b64 s[22:23], -1, 0
	s_cmp_lg_u32 s6, s2
	s_cselect_b64 s[0:1], -1, 0
	s_add_i32 s12, s12, s44
	s_or_b64 s[2:3], s[0:1], vcc
	s_add_i32 s12, s12, s30
	s_mov_b64 s[0:1], -1
	s_and_b64 vcc, exec, s[2:3]
	v_add_u32_e32 v1, s12, v0
	v_lshlrev_b32_e32 v23, 2, v0
	s_cbranch_vccz .LBB1607_2
; %bb.1:
	v_add_u32_e32 v2, 0x100, v1
	v_add_u32_e32 v3, 0x200, v1
	;; [unrolled: 1-line block ×12, first 2 shown]
	ds_write2st64_b32 v23, v1, v2 offset1:4
	ds_write2st64_b32 v23, v3, v4 offset0:8 offset1:12
	ds_write2st64_b32 v23, v5, v6 offset0:16 offset1:20
	;; [unrolled: 1-line block ×5, first 2 shown]
	ds_write_b32 v23, v13 offset:12288
	s_waitcnt lgkmcnt(0)
	s_barrier
	s_mov_b64 s[0:1], 0
.LBB1607_2:
	s_andn2_b64 vcc, exec, s[0:1]
	v_cmp_gt_u32_e64 s[0:1], s33, v0
	s_cbranch_vccnz .LBB1607_4
; %bb.3:
	v_or_b32_e32 v2, 0x100, v0
	v_add_u32_e32 v3, s12, v2
	v_cmp_gt_u32_e32 vcc, s33, v2
	v_cndmask_b32_e32 v2, 0, v3, vcc
	v_or_b32_e32 v3, 0x200, v0
	v_add_u32_e32 v4, s12, v3
	v_cmp_gt_u32_e32 vcc, s33, v3
	v_cndmask_b32_e32 v3, 0, v4, vcc
	;; [unrolled: 4-line block ×11, first 2 shown]
	v_or_b32_e32 v13, 0xc00, v0
	v_cndmask_b32_e64 v1, 0, v1, s[0:1]
	v_add_u32_e32 v14, s12, v13
	v_cmp_gt_u32_e32 vcc, s33, v13
	v_cndmask_b32_e32 v13, 0, v14, vcc
	ds_write2st64_b32 v23, v1, v2 offset1:4
	ds_write2st64_b32 v23, v3, v4 offset0:8 offset1:12
	ds_write2st64_b32 v23, v5, v6 offset0:16 offset1:20
	;; [unrolled: 1-line block ×5, first 2 shown]
	ds_write_b32 v23, v13 offset:12288
	s_waitcnt lgkmcnt(0)
	s_barrier
.LBB1607_4:
	v_mul_u32_u24_e32 v25, 13, v0
	v_lshlrev_b32_e32 v1, 2, v25
	s_waitcnt lgkmcnt(0)
	ds_read2_b32 v[13:14], v1 offset1:1
	ds_read2_b32 v[11:12], v1 offset0:2 offset1:3
	ds_read2_b32 v[9:10], v1 offset0:4 offset1:5
	;; [unrolled: 1-line block ×5, first 2 shown]
	ds_read_b32 v24, v1 offset:48
	v_cndmask_b32_e64 v1, 0, 1, s[2:3]
	v_cmp_ne_u32_e64 s[0:1], 1, v1
	s_andn2_b64 vcc, exec, s[2:3]
	s_waitcnt lgkmcnt(0)
	s_barrier
	s_cbranch_vccnz .LBB1607_6
; %bb.5:
	v_add_u32_e32 v1, s9, v13
	v_add_u32_e32 v2, s11, v13
	v_mul_lo_u32 v1, v1, s8
	v_mul_lo_u32 v2, v2, s10
	v_add_u32_e32 v15, s9, v11
	v_add_u32_e32 v16, s11, v11
	v_mul_lo_u32 v15, v15, s8
	v_sub_u32_e32 v1, v1, v2
	v_cmp_lt_u32_e32 vcc, s7, v1
	v_add_u32_e32 v1, s9, v14
	v_add_u32_e32 v2, s11, v14
	v_mul_lo_u32 v1, v1, s8
	v_mul_lo_u32 v2, v2, s10
	;; [unrolled: 1-line block ×3, first 2 shown]
	v_cndmask_b32_e64 v26, 0, 1, vcc
	v_sub_u32_e32 v1, v1, v2
	v_cmp_lt_u32_e32 vcc, s7, v1
	v_sub_u32_e32 v1, v15, v16
	v_cndmask_b32_e64 v27, 0, 1, vcc
	v_cmp_lt_u32_e32 vcc, s7, v1
	v_add_u32_e32 v1, s9, v12
	v_add_u32_e32 v2, s11, v12
	v_mul_lo_u32 v1, v1, s8
	v_mul_lo_u32 v2, v2, s10
	v_add_u32_e32 v15, s9, v9
	v_add_u32_e32 v16, s11, v9
	v_mul_lo_u32 v15, v15, s8
	v_mul_lo_u32 v16, v16, s10
	v_sub_u32_e32 v1, v1, v2
	v_cndmask_b32_e64 v28, 0, 1, vcc
	v_cmp_lt_u32_e32 vcc, s7, v1
	v_sub_u32_e32 v1, v15, v16
	v_cndmask_b32_e64 v29, 0, 1, vcc
	v_cmp_lt_u32_e32 vcc, s7, v1
	v_add_u32_e32 v1, s9, v10
	v_add_u32_e32 v2, s11, v10
	v_mul_lo_u32 v1, v1, s8
	v_mul_lo_u32 v2, v2, s10
	v_add_u32_e32 v15, s9, v7
	v_add_u32_e32 v16, s11, v7
	v_mul_lo_u32 v15, v15, s8
	v_mul_lo_u32 v16, v16, s10
	v_sub_u32_e32 v1, v1, v2
	v_cndmask_b32_e64 v30, 0, 1, vcc
	;; [unrolled: 14-line block ×5, first 2 shown]
	v_cmp_lt_u32_e32 vcc, s7, v1
	v_sub_u32_e32 v1, v15, v16
	v_cndmask_b32_e64 v37, 0, 1, vcc
	v_cmp_lt_u32_e64 s[38:39], s7, v1
	s_load_dwordx2 s[26:27], s[4:5], 0x28
	s_load_dwordx2 s[36:37], s[4:5], 0x68
	s_cbranch_execz .LBB1607_7
	s_branch .LBB1607_34
.LBB1607_6:
                                        ; implicit-def: $sgpr38_sgpr39
                                        ; implicit-def: $vgpr37
                                        ; implicit-def: $vgpr36
                                        ; implicit-def: $vgpr35
                                        ; implicit-def: $vgpr34
                                        ; implicit-def: $vgpr33
                                        ; implicit-def: $vgpr32
                                        ; implicit-def: $vgpr31
                                        ; implicit-def: $vgpr30
                                        ; implicit-def: $vgpr26
                                        ; implicit-def: $vgpr27
                                        ; implicit-def: $vgpr28
                                        ; implicit-def: $vgpr29
	s_load_dwordx2 s[26:27], s[4:5], 0x28
	s_load_dwordx2 s[36:37], s[4:5], 0x68
.LBB1607_7:
	v_cmp_gt_u32_e32 vcc, s33, v25
	v_mov_b32_e32 v27, 0
	v_mov_b32_e32 v26, 0
	s_and_saveexec_b64 s[2:3], vcc
	s_cbranch_execz .LBB1607_9
; %bb.8:
	v_add_u32_e32 v1, s9, v13
	v_add_u32_e32 v2, s11, v13
	v_mul_lo_u32 v1, v1, s8
	v_mul_lo_u32 v2, v2, s10
	v_sub_u32_e32 v1, v1, v2
	v_cmp_lt_u32_e32 vcc, s7, v1
	v_cndmask_b32_e64 v26, 0, 1, vcc
.LBB1607_9:
	s_or_b64 exec, exec, s[2:3]
	v_add_u32_e32 v1, 1, v25
	v_cmp_gt_u32_e32 vcc, s33, v1
	s_and_saveexec_b64 s[2:3], vcc
	s_cbranch_execz .LBB1607_11
; %bb.10:
	v_add_u32_e32 v1, s9, v14
	v_add_u32_e32 v2, s11, v14
	v_mul_lo_u32 v1, v1, s8
	v_mul_lo_u32 v2, v2, s10
	v_sub_u32_e32 v1, v1, v2
	v_cmp_lt_u32_e32 vcc, s7, v1
	v_cndmask_b32_e64 v27, 0, 1, vcc
.LBB1607_11:
	s_or_b64 exec, exec, s[2:3]
	v_add_u32_e32 v1, 2, v25
	v_cmp_gt_u32_e32 vcc, s33, v1
	v_mov_b32_e32 v29, 0
	v_mov_b32_e32 v28, 0
	s_and_saveexec_b64 s[2:3], vcc
	s_cbranch_execz .LBB1607_13
; %bb.12:
	v_add_u32_e32 v1, s9, v11
	v_add_u32_e32 v2, s11, v11
	v_mul_lo_u32 v1, v1, s8
	v_mul_lo_u32 v2, v2, s10
	v_sub_u32_e32 v1, v1, v2
	v_cmp_lt_u32_e32 vcc, s7, v1
	v_cndmask_b32_e64 v28, 0, 1, vcc
.LBB1607_13:
	s_or_b64 exec, exec, s[2:3]
	v_add_u32_e32 v1, 3, v25
	v_cmp_gt_u32_e32 vcc, s33, v1
	s_and_saveexec_b64 s[2:3], vcc
	s_cbranch_execz .LBB1607_15
; %bb.14:
	v_add_u32_e32 v1, s9, v12
	v_add_u32_e32 v2, s11, v12
	v_mul_lo_u32 v1, v1, s8
	v_mul_lo_u32 v2, v2, s10
	v_sub_u32_e32 v1, v1, v2
	v_cmp_lt_u32_e32 vcc, s7, v1
	v_cndmask_b32_e64 v29, 0, 1, vcc
.LBB1607_15:
	s_or_b64 exec, exec, s[2:3]
	v_add_u32_e32 v1, 4, v25
	;; [unrolled: 30-line block ×6, first 2 shown]
	v_cmp_gt_u32_e32 vcc, s33, v1
	s_mov_b64 s[38:39], 0
	s_and_saveexec_b64 s[2:3], vcc
	s_cbranch_execz .LBB1607_33
; %bb.32:
	v_add_u32_e32 v1, s9, v24
	v_add_u32_e32 v2, s11, v24
	v_mul_lo_u32 v1, v1, s8
	v_mul_lo_u32 v2, v2, s10
	v_sub_u32_e32 v1, v1, v2
	v_cmp_lt_u32_e32 vcc, s7, v1
	s_and_b64 s[38:39], vcc, exec
.LBB1607_33:
	s_or_b64 exec, exec, s[2:3]
.LBB1607_34:
	v_and_b32_e32 v40, 0xff, v27
	v_and_b32_e32 v41, 0xff, v28
	;; [unrolled: 1-line block ×5, first 2 shown]
	v_add3_u32 v2, v41, v42, v40
	v_and_b32_e32 v44, 0xff, v31
	v_and_b32_e32 v45, 0xff, v32
	v_add3_u32 v2, v2, v39, v43
	v_and_b32_e32 v46, 0xff, v33
	v_and_b32_e32 v47, 0xff, v34
	;; [unrolled: 3-line block ×3, first 2 shown]
	v_add3_u32 v2, v2, v46, v47
	v_and_b32_e32 v38, 0xff, v37
	v_cndmask_b32_e64 v1, 0, 1, s[38:39]
	v_add3_u32 v2, v2, v48, v49
	v_add3_u32 v52, v2, v38, v1
	v_mbcnt_lo_u32_b32 v1, -1, 0
	v_mbcnt_hi_u32_b32 v50, -1, v1
	v_and_b32_e32 v1, 15, v50
	v_cmp_eq_u32_e64 s[14:15], 0, v1
	v_cmp_lt_u32_e64 s[12:13], 1, v1
	v_cmp_lt_u32_e64 s[10:11], 3, v1
	;; [unrolled: 1-line block ×3, first 2 shown]
	v_and_b32_e32 v1, 16, v50
	v_cmp_eq_u32_e64 s[18:19], 0, v1
	v_or_b32_e32 v1, 63, v0
	s_cmp_lg_u32 s6, 0
	v_cmp_lt_u32_e64 s[2:3], 31, v50
	v_lshrrev_b32_e32 v51, 6, v0
	v_cmp_eq_u32_e64 s[4:5], v0, v1
	s_cbranch_scc0 .LBB1607_56
; %bb.35:
	v_mov_b32_dpp v1, v52 row_shr:1 row_mask:0xf bank_mask:0xf
	v_cndmask_b32_e64 v1, v1, 0, s[14:15]
	v_add_u32_e32 v1, v1, v52
	s_nop 1
	v_mov_b32_dpp v2, v1 row_shr:2 row_mask:0xf bank_mask:0xf
	v_cndmask_b32_e64 v2, 0, v2, s[12:13]
	v_add_u32_e32 v1, v1, v2
	s_nop 1
	;; [unrolled: 4-line block ×4, first 2 shown]
	v_mov_b32_dpp v2, v1 row_bcast:15 row_mask:0xf bank_mask:0xf
	v_cndmask_b32_e64 v2, v2, 0, s[18:19]
	v_add_u32_e32 v1, v1, v2
	s_nop 1
	v_mov_b32_dpp v2, v1 row_bcast:31 row_mask:0xf bank_mask:0xf
	v_cndmask_b32_e64 v2, 0, v2, s[2:3]
	v_add_u32_e32 v1, v1, v2
	s_and_saveexec_b64 s[16:17], s[4:5]
; %bb.36:
	v_lshlrev_b32_e32 v2, 2, v51
	ds_write_b32 v2, v1
; %bb.37:
	s_or_b64 exec, exec, s[16:17]
	v_cmp_gt_u32_e32 vcc, 4, v0
	s_waitcnt lgkmcnt(0)
	s_barrier
	s_and_saveexec_b64 s[16:17], vcc
	s_cbranch_execz .LBB1607_39
; %bb.38:
	ds_read_b32 v2, v23
	v_and_b32_e32 v15, 3, v50
	v_cmp_ne_u32_e32 vcc, 0, v15
	s_waitcnt lgkmcnt(0)
	v_mov_b32_dpp v16, v2 row_shr:1 row_mask:0xf bank_mask:0xf
	v_cndmask_b32_e32 v16, 0, v16, vcc
	v_add_u32_e32 v2, v16, v2
	v_cmp_lt_u32_e32 vcc, 1, v15
	s_nop 0
	v_mov_b32_dpp v16, v2 row_shr:2 row_mask:0xf bank_mask:0xf
	v_cndmask_b32_e32 v15, 0, v16, vcc
	v_add_u32_e32 v2, v2, v15
	ds_write_b32 v23, v2
.LBB1607_39:
	s_or_b64 exec, exec, s[16:17]
	v_cmp_gt_u32_e32 vcc, 64, v0
	v_cmp_lt_u32_e64 s[16:17], 63, v0
	s_waitcnt lgkmcnt(0)
	s_barrier
                                        ; implicit-def: $vgpr53
	s_and_saveexec_b64 s[20:21], s[16:17]
	s_cbranch_execz .LBB1607_41
; %bb.40:
	v_lshl_add_u32 v2, v51, 2, -4
	ds_read_b32 v53, v2
	s_waitcnt lgkmcnt(0)
	v_add_u32_e32 v1, v53, v1
.LBB1607_41:
	s_or_b64 exec, exec, s[20:21]
	v_subrev_co_u32_e64 v2, s[16:17], 1, v50
	v_and_b32_e32 v15, 64, v50
	v_cmp_lt_i32_e64 s[20:21], v2, v15
	v_cndmask_b32_e64 v2, v2, v50, s[20:21]
	v_lshlrev_b32_e32 v2, 2, v2
	ds_bpermute_b32 v54, v2, v1
	s_and_saveexec_b64 s[20:21], vcc
	s_cbranch_execz .LBB1607_61
; %bb.42:
	v_mov_b32_e32 v19, 0
	ds_read_b32 v1, v19 offset:12
	s_and_saveexec_b64 s[40:41], s[16:17]
	s_cbranch_execz .LBB1607_44
; %bb.43:
	s_add_i32 s42, s6, 64
	s_mov_b32 s43, 0
	s_lshl_b64 s[42:43], s[42:43], 3
	s_add_u32 s42, s36, s42
	v_mov_b32_e32 v2, 1
	s_addc_u32 s43, s37, s43
	s_waitcnt lgkmcnt(0)
	global_store_dwordx2 v19, v[1:2], s[42:43]
.LBB1607_44:
	s_or_b64 exec, exec, s[40:41]
	v_xad_u32 v15, v50, -1, s6
	v_add_u32_e32 v18, 64, v15
	v_lshlrev_b64 v[16:17], 3, v[18:19]
	v_mov_b32_e32 v2, s37
	v_add_co_u32_e32 v20, vcc, s36, v16
	v_addc_co_u32_e32 v21, vcc, v2, v17, vcc
	global_load_dwordx2 v[17:18], v[20:21], off glc
	s_waitcnt vmcnt(0)
	v_cmp_eq_u16_sdwa s[42:43], v18, v19 src0_sel:BYTE_0 src1_sel:DWORD
	s_and_saveexec_b64 s[40:41], s[42:43]
	s_cbranch_execz .LBB1607_48
; %bb.45:
	s_mov_b64 s[42:43], 0
	v_mov_b32_e32 v2, 0
.LBB1607_46:                            ; =>This Inner Loop Header: Depth=1
	global_load_dwordx2 v[17:18], v[20:21], off glc
	s_waitcnt vmcnt(0)
	v_cmp_ne_u16_sdwa s[46:47], v18, v2 src0_sel:BYTE_0 src1_sel:DWORD
	s_or_b64 s[42:43], s[46:47], s[42:43]
	s_andn2_b64 exec, exec, s[42:43]
	s_cbranch_execnz .LBB1607_46
; %bb.47:
	s_or_b64 exec, exec, s[42:43]
.LBB1607_48:
	s_or_b64 exec, exec, s[40:41]
	v_and_b32_e32 v56, 63, v50
	v_mov_b32_e32 v55, 2
	v_lshlrev_b64 v[19:20], v50, -1
	v_cmp_ne_u32_e32 vcc, 63, v56
	v_cmp_eq_u16_sdwa s[40:41], v18, v55 src0_sel:BYTE_0 src1_sel:DWORD
	v_addc_co_u32_e32 v21, vcc, 0, v50, vcc
	v_and_b32_e32 v2, s41, v20
	v_lshlrev_b32_e32 v57, 2, v21
	v_or_b32_e32 v2, 0x80000000, v2
	ds_bpermute_b32 v21, v57, v17
	v_and_b32_e32 v16, s40, v19
	v_ffbl_b32_e32 v2, v2
	v_add_u32_e32 v2, 32, v2
	v_ffbl_b32_e32 v16, v16
	v_min_u32_e32 v2, v16, v2
	v_cmp_lt_u32_e32 vcc, v56, v2
	s_waitcnt lgkmcnt(0)
	v_cndmask_b32_e32 v16, 0, v21, vcc
	v_cmp_gt_u32_e32 vcc, 62, v56
	v_add_u32_e32 v16, v16, v17
	v_cndmask_b32_e64 v17, 0, 2, vcc
	v_add_lshl_u32 v58, v17, v50, 2
	ds_bpermute_b32 v17, v58, v16
	v_add_u32_e32 v59, 2, v56
	v_cmp_le_u32_e32 vcc, v59, v2
	v_add_u32_e32 v61, 4, v56
	v_add_u32_e32 v63, 8, v56
	s_waitcnt lgkmcnt(0)
	v_cndmask_b32_e32 v17, 0, v17, vcc
	v_cmp_gt_u32_e32 vcc, 60, v56
	v_add_u32_e32 v16, v16, v17
	v_cndmask_b32_e64 v17, 0, 4, vcc
	v_add_lshl_u32 v60, v17, v50, 2
	ds_bpermute_b32 v17, v60, v16
	v_cmp_le_u32_e32 vcc, v61, v2
	v_add_u32_e32 v65, 16, v56
	v_add_u32_e32 v67, 32, v56
	s_waitcnt lgkmcnt(0)
	v_cndmask_b32_e32 v17, 0, v17, vcc
	v_cmp_gt_u32_e32 vcc, 56, v56
	v_add_u32_e32 v16, v16, v17
	v_cndmask_b32_e64 v17, 0, 8, vcc
	v_add_lshl_u32 v62, v17, v50, 2
	ds_bpermute_b32 v17, v62, v16
	v_cmp_le_u32_e32 vcc, v63, v2
	s_waitcnt lgkmcnt(0)
	v_cndmask_b32_e32 v17, 0, v17, vcc
	v_cmp_gt_u32_e32 vcc, 48, v56
	v_add_u32_e32 v16, v16, v17
	v_cndmask_b32_e64 v17, 0, 16, vcc
	v_add_lshl_u32 v64, v17, v50, 2
	ds_bpermute_b32 v17, v64, v16
	v_cmp_le_u32_e32 vcc, v65, v2
	s_waitcnt lgkmcnt(0)
	v_cndmask_b32_e32 v17, 0, v17, vcc
	v_add_u32_e32 v16, v16, v17
	v_mov_b32_e32 v17, 0x80
	v_lshl_or_b32 v66, v50, 2, v17
	ds_bpermute_b32 v17, v66, v16
	v_cmp_le_u32_e32 vcc, v67, v2
	s_waitcnt lgkmcnt(0)
	v_cndmask_b32_e32 v2, 0, v17, vcc
	v_add_u32_e32 v17, v16, v2
	v_mov_b32_e32 v16, 0
	s_branch .LBB1607_52
.LBB1607_49:                            ;   in Loop: Header=BB1607_52 Depth=1
	s_or_b64 exec, exec, s[42:43]
.LBB1607_50:                            ;   in Loop: Header=BB1607_52 Depth=1
	s_or_b64 exec, exec, s[40:41]
	v_cmp_eq_u16_sdwa s[40:41], v18, v55 src0_sel:BYTE_0 src1_sel:DWORD
	v_and_b32_e32 v21, s41, v20
	v_or_b32_e32 v21, 0x80000000, v21
	ds_bpermute_b32 v68, v57, v17
	v_and_b32_e32 v22, s40, v19
	v_ffbl_b32_e32 v21, v21
	v_add_u32_e32 v21, 32, v21
	v_ffbl_b32_e32 v22, v22
	v_min_u32_e32 v21, v22, v21
	v_cmp_lt_u32_e32 vcc, v56, v21
	s_waitcnt lgkmcnt(0)
	v_cndmask_b32_e32 v22, 0, v68, vcc
	v_add_u32_e32 v17, v22, v17
	ds_bpermute_b32 v22, v58, v17
	v_cmp_le_u32_e32 vcc, v59, v21
	v_subrev_u32_e32 v15, 64, v15
	s_mov_b64 s[40:41], 0
	s_waitcnt lgkmcnt(0)
	v_cndmask_b32_e32 v22, 0, v22, vcc
	v_add_u32_e32 v17, v17, v22
	ds_bpermute_b32 v22, v60, v17
	v_cmp_le_u32_e32 vcc, v61, v21
	s_waitcnt lgkmcnt(0)
	v_cndmask_b32_e32 v22, 0, v22, vcc
	v_add_u32_e32 v17, v17, v22
	ds_bpermute_b32 v22, v62, v17
	v_cmp_le_u32_e32 vcc, v63, v21
	;; [unrolled: 5-line block ×4, first 2 shown]
	s_waitcnt lgkmcnt(0)
	v_cndmask_b32_e32 v21, 0, v22, vcc
	v_add3_u32 v17, v21, v2, v17
.LBB1607_51:                            ;   in Loop: Header=BB1607_52 Depth=1
	s_and_b64 vcc, exec, s[40:41]
	s_cbranch_vccnz .LBB1607_57
.LBB1607_52:                            ; =>This Loop Header: Depth=1
                                        ;     Child Loop BB1607_55 Depth 2
	v_cmp_ne_u16_sdwa s[40:41], v18, v55 src0_sel:BYTE_0 src1_sel:DWORD
	v_mov_b32_e32 v2, v17
	s_cmp_lg_u64 s[40:41], exec
	s_mov_b64 s[40:41], -1
                                        ; implicit-def: $vgpr17
                                        ; implicit-def: $vgpr18
	s_cbranch_scc1 .LBB1607_51
; %bb.53:                               ;   in Loop: Header=BB1607_52 Depth=1
	v_lshlrev_b64 v[17:18], 3, v[15:16]
	v_mov_b32_e32 v22, s37
	v_add_co_u32_e32 v21, vcc, s36, v17
	v_addc_co_u32_e32 v22, vcc, v22, v18, vcc
	global_load_dwordx2 v[17:18], v[21:22], off glc
	s_waitcnt vmcnt(0)
	v_cmp_eq_u16_sdwa s[42:43], v18, v16 src0_sel:BYTE_0 src1_sel:DWORD
	s_and_saveexec_b64 s[40:41], s[42:43]
	s_cbranch_execz .LBB1607_50
; %bb.54:                               ;   in Loop: Header=BB1607_52 Depth=1
	s_mov_b64 s[42:43], 0
.LBB1607_55:                            ;   Parent Loop BB1607_52 Depth=1
                                        ; =>  This Inner Loop Header: Depth=2
	global_load_dwordx2 v[17:18], v[21:22], off glc
	s_waitcnt vmcnt(0)
	v_cmp_ne_u16_sdwa s[46:47], v18, v16 src0_sel:BYTE_0 src1_sel:DWORD
	s_or_b64 s[42:43], s[46:47], s[42:43]
	s_andn2_b64 exec, exec, s[42:43]
	s_cbranch_execnz .LBB1607_55
	s_branch .LBB1607_49
.LBB1607_56:
                                        ; implicit-def: $vgpr2
                                        ; implicit-def: $vgpr15
	s_cbranch_execnz .LBB1607_62
	s_branch .LBB1607_71
.LBB1607_57:
	s_and_saveexec_b64 s[40:41], s[16:17]
	s_cbranch_execz .LBB1607_59
; %bb.58:
	s_add_i32 s6, s6, 64
	s_mov_b32 s7, 0
	s_lshl_b64 s[6:7], s[6:7], 3
	s_add_u32 s6, s36, s6
	v_add_u32_e32 v15, v2, v1
	v_mov_b32_e32 v16, 2
	s_addc_u32 s7, s37, s7
	v_mov_b32_e32 v17, 0
	global_store_dwordx2 v17, v[15:16], s[6:7]
	ds_write_b64 v17, v[1:2] offset:13312
.LBB1607_59:
	s_or_b64 exec, exec, s[40:41]
	v_cmp_eq_u32_e32 vcc, 0, v0
	s_and_b64 exec, exec, vcc
; %bb.60:
	v_mov_b32_e32 v1, 0
	ds_write_b32 v1, v2 offset:12
.LBB1607_61:
	s_or_b64 exec, exec, s[20:21]
	v_mov_b32_e32 v1, 0
	s_waitcnt vmcnt(0) lgkmcnt(0)
	s_barrier
	ds_read_b32 v16, v1 offset:12
	s_waitcnt lgkmcnt(0)
	s_barrier
	ds_read_b64 v[1:2], v1 offset:13312
	v_cndmask_b32_e64 v15, v54, v53, s[16:17]
	v_cmp_ne_u32_e32 vcc, 0, v0
	v_cndmask_b32_e32 v15, 0, v15, vcc
	v_add_u32_e32 v15, v16, v15
	s_branch .LBB1607_71
.LBB1607_62:
	s_waitcnt lgkmcnt(0)
	v_mov_b32_dpp v1, v52 row_shr:1 row_mask:0xf bank_mask:0xf
	v_cndmask_b32_e64 v1, v1, 0, s[14:15]
	v_add_u32_e32 v1, v1, v52
	s_nop 1
	v_mov_b32_dpp v2, v1 row_shr:2 row_mask:0xf bank_mask:0xf
	v_cndmask_b32_e64 v2, 0, v2, s[12:13]
	v_add_u32_e32 v1, v1, v2
	s_nop 1
	;; [unrolled: 4-line block ×4, first 2 shown]
	v_mov_b32_dpp v2, v1 row_bcast:15 row_mask:0xf bank_mask:0xf
	v_cndmask_b32_e64 v2, v2, 0, s[18:19]
	v_add_u32_e32 v1, v1, v2
	s_nop 1
	v_mov_b32_dpp v2, v1 row_bcast:31 row_mask:0xf bank_mask:0xf
	v_cndmask_b32_e64 v2, 0, v2, s[2:3]
	v_add_u32_e32 v1, v1, v2
	s_and_saveexec_b64 s[2:3], s[4:5]
; %bb.63:
	v_lshlrev_b32_e32 v2, 2, v51
	ds_write_b32 v2, v1
; %bb.64:
	s_or_b64 exec, exec, s[2:3]
	v_cmp_gt_u32_e32 vcc, 4, v0
	s_waitcnt lgkmcnt(0)
	s_barrier
	s_and_saveexec_b64 s[2:3], vcc
	s_cbranch_execz .LBB1607_66
; %bb.65:
	ds_read_b32 v2, v23
	v_and_b32_e32 v15, 3, v50
	v_cmp_ne_u32_e32 vcc, 0, v15
	s_waitcnt lgkmcnt(0)
	v_mov_b32_dpp v16, v2 row_shr:1 row_mask:0xf bank_mask:0xf
	v_cndmask_b32_e32 v16, 0, v16, vcc
	v_add_u32_e32 v2, v16, v2
	v_cmp_lt_u32_e32 vcc, 1, v15
	s_nop 0
	v_mov_b32_dpp v16, v2 row_shr:2 row_mask:0xf bank_mask:0xf
	v_cndmask_b32_e32 v15, 0, v16, vcc
	v_add_u32_e32 v2, v2, v15
	ds_write_b32 v23, v2
.LBB1607_66:
	s_or_b64 exec, exec, s[2:3]
	v_cmp_lt_u32_e32 vcc, 63, v0
	v_mov_b32_e32 v2, 0
	v_mov_b32_e32 v15, 0
	s_waitcnt lgkmcnt(0)
	s_barrier
	s_and_saveexec_b64 s[2:3], vcc
; %bb.67:
	v_lshl_add_u32 v15, v51, 2, -4
	ds_read_b32 v15, v15
; %bb.68:
	s_or_b64 exec, exec, s[2:3]
	v_subrev_co_u32_e32 v16, vcc, 1, v50
	v_and_b32_e32 v17, 64, v50
	v_cmp_lt_i32_e64 s[2:3], v16, v17
	v_cndmask_b32_e64 v16, v16, v50, s[2:3]
	s_waitcnt lgkmcnt(0)
	v_add_u32_e32 v1, v15, v1
	v_lshlrev_b32_e32 v16, 2, v16
	ds_bpermute_b32 v16, v16, v1
	ds_read_b32 v1, v2 offset:12
	v_cmp_eq_u32_e64 s[2:3], 0, v0
	s_and_saveexec_b64 s[4:5], s[2:3]
	s_cbranch_execz .LBB1607_70
; %bb.69:
	v_mov_b32_e32 v17, 0
	v_mov_b32_e32 v2, 2
	s_waitcnt lgkmcnt(0)
	global_store_dwordx2 v17, v[1:2], s[36:37] offset:512
.LBB1607_70:
	s_or_b64 exec, exec, s[4:5]
	s_waitcnt lgkmcnt(1)
	v_cndmask_b32_e32 v2, v16, v15, vcc
	v_cndmask_b32_e64 v15, v2, 0, s[2:3]
	s_waitcnt vmcnt(0) lgkmcnt(0)
	s_barrier
	v_mov_b32_e32 v2, 0
.LBB1607_71:
	v_add_u32_e32 v16, v15, v39
	v_add_u32_e32 v17, v16, v40
	;; [unrolled: 1-line block ×4, first 2 shown]
	s_waitcnt lgkmcnt(0)
	v_add_u32_e32 v25, v1, v25
	v_sub_u32_e32 v15, v15, v2
	v_and_b32_e32 v26, 1, v26
	v_add_u32_e32 v20, v19, v43
	v_sub_u32_e32 v43, v25, v15
	v_cmp_eq_u32_e32 vcc, 1, v26
	v_cndmask_b32_e32 v15, v43, v15, vcc
	v_lshlrev_b32_e32 v15, 2, v15
	ds_write_b32 v15, v13
	v_sub_u32_e32 v13, v16, v2
	v_sub_u32_e32 v15, v25, v13
	v_and_b32_e32 v16, 1, v27
	v_add_u32_e32 v15, 1, v15
	v_cmp_eq_u32_e32 vcc, 1, v16
	v_cndmask_b32_e32 v13, v15, v13, vcc
	v_lshlrev_b32_e32 v13, 2, v13
	ds_write_b32 v13, v14
	v_sub_u32_e32 v13, v17, v2
	v_sub_u32_e32 v14, v25, v13
	v_and_b32_e32 v15, 1, v28
	v_add_u32_e32 v14, 2, v14
	;; [unrolled: 8-line block ×5, first 2 shown]
	v_cmp_eq_u32_e32 vcc, 1, v12
	v_cndmask_b32_e32 v9, v11, v9, vcc
	v_add_u32_e32 v21, v20, v44
	v_lshlrev_b32_e32 v9, 2, v9
	ds_write_b32 v9, v10
	v_sub_u32_e32 v9, v21, v2
	v_sub_u32_e32 v10, v25, v9
	v_and_b32_e32 v11, 1, v32
	v_add_u32_e32 v10, 6, v10
	v_cmp_eq_u32_e32 vcc, 1, v11
	v_cndmask_b32_e32 v9, v10, v9, vcc
	v_add_u32_e32 v22, v21, v45
	v_lshlrev_b32_e32 v9, 2, v9
	ds_write_b32 v9, v7
	v_sub_u32_e32 v7, v22, v2
	v_sub_u32_e32 v9, v25, v7
	v_and_b32_e32 v10, 1, v33
	v_add_u32_e32 v9, 7, v9
	;; [unrolled: 9-line block ×6, first 2 shown]
	v_cmp_eq_u32_e32 vcc, 1, v6
	v_cndmask_b32_e32 v3, v5, v3, vcc
	v_lshlrev_b32_e32 v3, 2, v3
	ds_write_b32 v3, v4
	v_sub_u32_e32 v3, v38, v2
	v_add_u32_e32 v3, v42, v3
	v_sub_u32_e32 v4, v25, v3
	v_add_u32_e32 v4, 12, v4
	v_cndmask_b32_e64 v3, v4, v3, s[38:39]
	v_lshlrev_b32_e32 v3, 2, v3
	ds_write_b32 v3, v24
	s_waitcnt lgkmcnt(0)
	s_barrier
	ds_read2st64_b32 v[13:14], v23 offset1:4
	ds_read2st64_b32 v[11:12], v23 offset0:8 offset1:12
	ds_read2st64_b32 v[9:10], v23 offset0:16 offset1:20
	;; [unrolled: 1-line block ×5, first 2 shown]
	ds_read_b32 v19, v23 offset:12288
	v_mov_b32_e32 v15, s35
	s_and_b64 vcc, exec, s[0:1]
	v_add_co_u32_e64 v17, s[0:1], s34, v2
	v_or_b32_e32 v33, 0x100, v0
	v_or_b32_e32 v31, 0x200, v0
	;; [unrolled: 1-line block ×12, first 2 shown]
	v_addc_co_u32_e64 v18, s[0:1], 0, v15, s[0:1]
	s_cbranch_vccnz .LBB1607_125
; %bb.72:
	v_mov_b32_e32 v2, s31
	v_subrev_co_u32_e32 v15, vcc, s30, v17
	s_sub_u32 s0, s28, s44
	v_subb_co_u32_e32 v16, vcc, v18, v2, vcc
	s_subb_u32 s1, s29, 0
	v_mov_b32_e32 v2, s1
	v_add_co_u32_e32 v23, vcc, s0, v1
	v_addc_co_u32_e32 v32, vcc, 0, v2, vcc
	v_add_co_u32_e32 v2, vcc, v23, v15
	v_addc_co_u32_e32 v23, vcc, v32, v16, vcc
	v_cmp_ge_u32_e32 vcc, v0, v1
                                        ; implicit-def: $vgpr15_vgpr16
	s_and_saveexec_b64 s[0:1], vcc
	s_xor_b64 s[0:1], exec, s[0:1]
; %bb.73:
	v_not_b32_e32 v15, v0
	v_ashrrev_i32_e32 v16, 31, v15
	v_add_co_u32_e32 v15, vcc, v2, v15
	v_addc_co_u32_e32 v16, vcc, v23, v16, vcc
; %bb.74:
	s_andn2_saveexec_b64 s[0:1], s[0:1]
; %bb.75:
	v_add_co_u32_e32 v15, vcc, v17, v0
	v_addc_co_u32_e32 v16, vcc, 0, v18, vcc
; %bb.76:
	s_or_b64 exec, exec, s[0:1]
	v_lshlrev_b64 v[15:16], 2, v[15:16]
	v_mov_b32_e32 v32, s27
	v_add_co_u32_e32 v15, vcc, s26, v15
	v_addc_co_u32_e32 v16, vcc, v32, v16, vcc
	v_cmp_ge_u32_e32 vcc, v33, v1
	s_waitcnt lgkmcnt(6)
	global_store_dword v[15:16], v13, off
                                        ; implicit-def: $vgpr15_vgpr16
	s_and_saveexec_b64 s[0:1], vcc
	s_xor_b64 s[0:1], exec, s[0:1]
; %bb.77:
	v_xor_b32_e32 v15, 0xfffffeff, v0
	v_ashrrev_i32_e32 v16, 31, v15
	v_add_co_u32_e32 v15, vcc, v2, v15
	v_addc_co_u32_e32 v16, vcc, v23, v16, vcc
; %bb.78:
	s_andn2_saveexec_b64 s[0:1], s[0:1]
; %bb.79:
	v_add_co_u32_e32 v15, vcc, v17, v33
	v_addc_co_u32_e32 v16, vcc, 0, v18, vcc
; %bb.80:
	s_or_b64 exec, exec, s[0:1]
	v_lshlrev_b64 v[15:16], 2, v[15:16]
	v_mov_b32_e32 v32, s27
	v_add_co_u32_e32 v15, vcc, s26, v15
	v_addc_co_u32_e32 v16, vcc, v32, v16, vcc
	v_cmp_ge_u32_e32 vcc, v31, v1
	global_store_dword v[15:16], v14, off
                                        ; implicit-def: $vgpr15_vgpr16
	s_and_saveexec_b64 s[0:1], vcc
	s_xor_b64 s[0:1], exec, s[0:1]
; %bb.81:
	v_xor_b32_e32 v15, 0xfffffdff, v0
	v_ashrrev_i32_e32 v16, 31, v15
	v_add_co_u32_e32 v15, vcc, v2, v15
	v_addc_co_u32_e32 v16, vcc, v23, v16, vcc
; %bb.82:
	s_andn2_saveexec_b64 s[0:1], s[0:1]
; %bb.83:
	v_add_co_u32_e32 v15, vcc, v17, v31
	v_addc_co_u32_e32 v16, vcc, 0, v18, vcc
; %bb.84:
	s_or_b64 exec, exec, s[0:1]
	v_lshlrev_b64 v[15:16], 2, v[15:16]
	v_mov_b32_e32 v32, s27
	v_add_co_u32_e32 v15, vcc, s26, v15
	v_addc_co_u32_e32 v16, vcc, v32, v16, vcc
	v_cmp_ge_u32_e32 vcc, v30, v1
	s_waitcnt lgkmcnt(5)
	global_store_dword v[15:16], v11, off
                                        ; implicit-def: $vgpr15_vgpr16
	s_and_saveexec_b64 s[0:1], vcc
	s_xor_b64 s[0:1], exec, s[0:1]
; %bb.85:
	v_xor_b32_e32 v15, 0xfffffcff, v0
	v_ashrrev_i32_e32 v16, 31, v15
	v_add_co_u32_e32 v15, vcc, v2, v15
	v_addc_co_u32_e32 v16, vcc, v23, v16, vcc
; %bb.86:
	s_andn2_saveexec_b64 s[0:1], s[0:1]
; %bb.87:
	v_add_co_u32_e32 v15, vcc, v17, v30
	v_addc_co_u32_e32 v16, vcc, 0, v18, vcc
; %bb.88:
	s_or_b64 exec, exec, s[0:1]
	v_lshlrev_b64 v[15:16], 2, v[15:16]
	v_mov_b32_e32 v32, s27
	v_add_co_u32_e32 v15, vcc, s26, v15
	v_addc_co_u32_e32 v16, vcc, v32, v16, vcc
	v_cmp_ge_u32_e32 vcc, v29, v1
	global_store_dword v[15:16], v12, off
                                        ; implicit-def: $vgpr15_vgpr16
	s_and_saveexec_b64 s[0:1], vcc
	s_xor_b64 s[0:1], exec, s[0:1]
; %bb.89:
	v_xor_b32_e32 v15, 0xfffffbff, v0
	;; [unrolled: 43-line block ×6, first 2 shown]
	v_ashrrev_i32_e32 v16, 31, v15
	v_add_co_u32_e32 v15, vcc, v2, v15
	v_addc_co_u32_e32 v16, vcc, v23, v16, vcc
; %bb.122:
	s_andn2_saveexec_b64 s[0:1], s[0:1]
; %bb.123:
	v_add_co_u32_e32 v15, vcc, v17, v20
	v_addc_co_u32_e32 v16, vcc, 0, v18, vcc
; %bb.124:
	s_or_b64 exec, exec, s[0:1]
	s_mov_b64 s[0:1], -1
	s_branch .LBB1607_205
.LBB1607_125:
	s_mov_b64 s[0:1], 0
                                        ; implicit-def: $vgpr15_vgpr16
	s_cbranch_execz .LBB1607_205
; %bb.126:
	s_add_u32 s2, s30, s44
	s_addc_u32 s3, s31, 0
	s_sub_u32 s2, s28, s2
	s_subb_u32 s3, s29, s3
	v_mov_b32_e32 v2, s3
	v_add_co_u32_e32 v15, vcc, s2, v1
	v_addc_co_u32_e32 v2, vcc, 0, v2, vcc
	v_add_co_u32_e32 v23, vcc, v15, v17
	v_addc_co_u32_e32 v32, vcc, v2, v18, vcc
	v_cmp_gt_u32_e32 vcc, s33, v0
	s_and_saveexec_b64 s[2:3], vcc
	s_cbranch_execz .LBB1607_162
; %bb.127:
	v_cmp_ge_u32_e32 vcc, v0, v1
                                        ; implicit-def: $vgpr15_vgpr16
	s_and_saveexec_b64 s[4:5], vcc
	s_xor_b64 s[4:5], exec, s[4:5]
; %bb.128:
	v_not_b32_e32 v2, v0
	v_ashrrev_i32_e32 v16, 31, v2
	v_add_co_u32_e32 v15, vcc, v23, v2
	v_addc_co_u32_e32 v16, vcc, v32, v16, vcc
; %bb.129:
	s_andn2_saveexec_b64 s[4:5], s[4:5]
; %bb.130:
	v_add_co_u32_e32 v15, vcc, v17, v0
	v_addc_co_u32_e32 v16, vcc, 0, v18, vcc
; %bb.131:
	s_or_b64 exec, exec, s[4:5]
	v_lshlrev_b64 v[15:16], 2, v[15:16]
	v_mov_b32_e32 v2, s27
	v_add_co_u32_e32 v15, vcc, s26, v15
	v_addc_co_u32_e32 v16, vcc, v2, v16, vcc
	s_waitcnt lgkmcnt(6)
	global_store_dword v[15:16], v13, off
	s_or_b64 exec, exec, s[2:3]
	v_cmp_gt_u32_e32 vcc, s33, v33
	s_and_saveexec_b64 s[2:3], vcc
	s_cbranch_execnz .LBB1607_163
.LBB1607_132:
	s_or_b64 exec, exec, s[2:3]
	v_cmp_gt_u32_e32 vcc, s33, v31
	s_and_saveexec_b64 s[2:3], vcc
	s_cbranch_execz .LBB1607_168
.LBB1607_133:
	v_cmp_ge_u32_e32 vcc, v31, v1
                                        ; implicit-def: $vgpr13_vgpr14
	s_and_saveexec_b64 s[4:5], vcc
	s_xor_b64 s[4:5], exec, s[4:5]
	s_cbranch_execz .LBB1607_135
; %bb.134:
	v_xor_b32_e32 v2, 0xfffffdff, v0
	s_waitcnt lgkmcnt(6)
	v_ashrrev_i32_e32 v14, 31, v2
	v_add_co_u32_e32 v13, vcc, v23, v2
	v_addc_co_u32_e32 v14, vcc, v32, v14, vcc
                                        ; implicit-def: $vgpr31
.LBB1607_135:
	s_andn2_saveexec_b64 s[4:5], s[4:5]
	s_cbranch_execz .LBB1607_137
; %bb.136:
	s_waitcnt lgkmcnt(6)
	v_add_co_u32_e32 v13, vcc, v17, v31
	v_addc_co_u32_e32 v14, vcc, 0, v18, vcc
.LBB1607_137:
	s_or_b64 exec, exec, s[4:5]
	s_waitcnt lgkmcnt(6)
	v_lshlrev_b64 v[13:14], 2, v[13:14]
	v_mov_b32_e32 v2, s27
	v_add_co_u32_e32 v13, vcc, s26, v13
	v_addc_co_u32_e32 v14, vcc, v2, v14, vcc
	s_waitcnt lgkmcnt(5)
	global_store_dword v[13:14], v11, off
	s_or_b64 exec, exec, s[2:3]
	v_cmp_gt_u32_e32 vcc, s33, v30
	s_and_saveexec_b64 s[2:3], vcc
	s_cbranch_execnz .LBB1607_169
.LBB1607_138:
	s_or_b64 exec, exec, s[2:3]
	v_cmp_gt_u32_e32 vcc, s33, v29
	s_and_saveexec_b64 s[2:3], vcc
	s_cbranch_execz .LBB1607_174
.LBB1607_139:
	v_cmp_ge_u32_e32 vcc, v29, v1
                                        ; implicit-def: $vgpr11_vgpr12
	s_and_saveexec_b64 s[4:5], vcc
	s_xor_b64 s[4:5], exec, s[4:5]
	s_cbranch_execz .LBB1607_141
; %bb.140:
	v_xor_b32_e32 v2, 0xfffffbff, v0
	s_waitcnt lgkmcnt(5)
	v_ashrrev_i32_e32 v12, 31, v2
	v_add_co_u32_e32 v11, vcc, v23, v2
	v_addc_co_u32_e32 v12, vcc, v32, v12, vcc
                                        ; implicit-def: $vgpr29
.LBB1607_141:
	s_andn2_saveexec_b64 s[4:5], s[4:5]
	s_cbranch_execz .LBB1607_143
; %bb.142:
	s_waitcnt lgkmcnt(5)
	v_add_co_u32_e32 v11, vcc, v17, v29
	v_addc_co_u32_e32 v12, vcc, 0, v18, vcc
.LBB1607_143:
	s_or_b64 exec, exec, s[4:5]
	s_waitcnt lgkmcnt(5)
	v_lshlrev_b64 v[11:12], 2, v[11:12]
	v_mov_b32_e32 v2, s27
	v_add_co_u32_e32 v11, vcc, s26, v11
	v_addc_co_u32_e32 v12, vcc, v2, v12, vcc
	s_waitcnt lgkmcnt(4)
	global_store_dword v[11:12], v9, off
	s_or_b64 exec, exec, s[2:3]
	v_cmp_gt_u32_e32 vcc, s33, v28
	s_and_saveexec_b64 s[2:3], vcc
	s_cbranch_execnz .LBB1607_175
.LBB1607_144:
	s_or_b64 exec, exec, s[2:3]
	v_cmp_gt_u32_e32 vcc, s33, v27
	s_and_saveexec_b64 s[2:3], vcc
	s_cbranch_execz .LBB1607_180
.LBB1607_145:
	v_cmp_ge_u32_e32 vcc, v27, v1
                                        ; implicit-def: $vgpr9_vgpr10
	s_and_saveexec_b64 s[4:5], vcc
	s_xor_b64 s[4:5], exec, s[4:5]
	s_cbranch_execz .LBB1607_147
; %bb.146:
	v_xor_b32_e32 v2, 0xfffff9ff, v0
	s_waitcnt lgkmcnt(4)
	v_ashrrev_i32_e32 v10, 31, v2
	v_add_co_u32_e32 v9, vcc, v23, v2
	v_addc_co_u32_e32 v10, vcc, v32, v10, vcc
                                        ; implicit-def: $vgpr27
.LBB1607_147:
	s_andn2_saveexec_b64 s[4:5], s[4:5]
	s_cbranch_execz .LBB1607_149
; %bb.148:
	s_waitcnt lgkmcnt(4)
	v_add_co_u32_e32 v9, vcc, v17, v27
	v_addc_co_u32_e32 v10, vcc, 0, v18, vcc
.LBB1607_149:
	s_or_b64 exec, exec, s[4:5]
	s_waitcnt lgkmcnt(4)
	v_lshlrev_b64 v[9:10], 2, v[9:10]
	v_mov_b32_e32 v2, s27
	v_add_co_u32_e32 v9, vcc, s26, v9
	v_addc_co_u32_e32 v10, vcc, v2, v10, vcc
	s_waitcnt lgkmcnt(3)
	global_store_dword v[9:10], v7, off
	s_or_b64 exec, exec, s[2:3]
	v_cmp_gt_u32_e32 vcc, s33, v26
	s_and_saveexec_b64 s[2:3], vcc
	s_cbranch_execnz .LBB1607_181
.LBB1607_150:
	s_or_b64 exec, exec, s[2:3]
	v_cmp_gt_u32_e32 vcc, s33, v25
	s_and_saveexec_b64 s[2:3], vcc
	s_cbranch_execz .LBB1607_186
.LBB1607_151:
	v_cmp_ge_u32_e32 vcc, v25, v1
                                        ; implicit-def: $vgpr7_vgpr8
	s_and_saveexec_b64 s[4:5], vcc
	s_xor_b64 s[4:5], exec, s[4:5]
	s_cbranch_execz .LBB1607_153
; %bb.152:
	v_xor_b32_e32 v2, 0xfffff7ff, v0
	s_waitcnt lgkmcnt(3)
	v_ashrrev_i32_e32 v8, 31, v2
	v_add_co_u32_e32 v7, vcc, v23, v2
	v_addc_co_u32_e32 v8, vcc, v32, v8, vcc
                                        ; implicit-def: $vgpr25
.LBB1607_153:
	s_andn2_saveexec_b64 s[4:5], s[4:5]
	s_cbranch_execz .LBB1607_155
; %bb.154:
	s_waitcnt lgkmcnt(3)
	v_add_co_u32_e32 v7, vcc, v17, v25
	v_addc_co_u32_e32 v8, vcc, 0, v18, vcc
.LBB1607_155:
	s_or_b64 exec, exec, s[4:5]
	s_waitcnt lgkmcnt(3)
	v_lshlrev_b64 v[7:8], 2, v[7:8]
	v_mov_b32_e32 v2, s27
	v_add_co_u32_e32 v7, vcc, s26, v7
	v_addc_co_u32_e32 v8, vcc, v2, v8, vcc
	s_waitcnt lgkmcnt(2)
	global_store_dword v[7:8], v5, off
	s_or_b64 exec, exec, s[2:3]
	v_cmp_gt_u32_e32 vcc, s33, v24
	s_and_saveexec_b64 s[2:3], vcc
	s_cbranch_execnz .LBB1607_187
.LBB1607_156:
	s_or_b64 exec, exec, s[2:3]
	v_cmp_gt_u32_e32 vcc, s33, v22
	s_and_saveexec_b64 s[2:3], vcc
	s_cbranch_execz .LBB1607_192
.LBB1607_157:
	v_cmp_ge_u32_e32 vcc, v22, v1
                                        ; implicit-def: $vgpr5_vgpr6
	s_and_saveexec_b64 s[4:5], vcc
	s_xor_b64 s[4:5], exec, s[4:5]
	s_cbranch_execz .LBB1607_159
; %bb.158:
	v_xor_b32_e32 v2, 0xfffff5ff, v0
	s_waitcnt lgkmcnt(2)
	v_ashrrev_i32_e32 v6, 31, v2
	v_add_co_u32_e32 v5, vcc, v23, v2
	v_addc_co_u32_e32 v6, vcc, v32, v6, vcc
                                        ; implicit-def: $vgpr22
.LBB1607_159:
	s_andn2_saveexec_b64 s[4:5], s[4:5]
	s_cbranch_execz .LBB1607_161
; %bb.160:
	s_waitcnt lgkmcnt(2)
	v_add_co_u32_e32 v5, vcc, v17, v22
	v_addc_co_u32_e32 v6, vcc, 0, v18, vcc
.LBB1607_161:
	s_or_b64 exec, exec, s[4:5]
	s_waitcnt lgkmcnt(2)
	v_lshlrev_b64 v[5:6], 2, v[5:6]
	v_mov_b32_e32 v2, s27
	v_add_co_u32_e32 v5, vcc, s26, v5
	v_addc_co_u32_e32 v6, vcc, v2, v6, vcc
	s_waitcnt lgkmcnt(1)
	global_store_dword v[5:6], v3, off
	s_or_b64 exec, exec, s[2:3]
	v_cmp_gt_u32_e32 vcc, s33, v21
	s_and_saveexec_b64 s[2:3], vcc
	s_cbranch_execz .LBB1607_198
	s_branch .LBB1607_193
.LBB1607_162:
	s_or_b64 exec, exec, s[2:3]
	v_cmp_gt_u32_e32 vcc, s33, v33
	s_and_saveexec_b64 s[2:3], vcc
	s_cbranch_execz .LBB1607_132
.LBB1607_163:
	v_cmp_ge_u32_e32 vcc, v33, v1
                                        ; implicit-def: $vgpr15_vgpr16
	s_and_saveexec_b64 s[4:5], vcc
	s_xor_b64 s[4:5], exec, s[4:5]
	s_cbranch_execz .LBB1607_165
; %bb.164:
	v_xor_b32_e32 v2, 0xfffffeff, v0
	s_waitcnt lgkmcnt(6)
	v_ashrrev_i32_e32 v13, 31, v2
	v_add_co_u32_e32 v15, vcc, v23, v2
	v_addc_co_u32_e32 v16, vcc, v32, v13, vcc
                                        ; implicit-def: $vgpr33
.LBB1607_165:
	s_andn2_saveexec_b64 s[4:5], s[4:5]
; %bb.166:
	v_add_co_u32_e32 v15, vcc, v17, v33
	v_addc_co_u32_e32 v16, vcc, 0, v18, vcc
; %bb.167:
	s_or_b64 exec, exec, s[4:5]
	v_lshlrev_b64 v[15:16], 2, v[15:16]
	v_mov_b32_e32 v2, s27
	v_add_co_u32_e32 v15, vcc, s26, v15
	v_addc_co_u32_e32 v16, vcc, v2, v16, vcc
	s_waitcnt lgkmcnt(6)
	global_store_dword v[15:16], v14, off
	s_or_b64 exec, exec, s[2:3]
	v_cmp_gt_u32_e32 vcc, s33, v31
	s_and_saveexec_b64 s[2:3], vcc
	s_cbranch_execnz .LBB1607_133
.LBB1607_168:
	s_or_b64 exec, exec, s[2:3]
	v_cmp_gt_u32_e32 vcc, s33, v30
	s_and_saveexec_b64 s[2:3], vcc
	s_cbranch_execz .LBB1607_138
.LBB1607_169:
	v_cmp_ge_u32_e32 vcc, v30, v1
                                        ; implicit-def: $vgpr13_vgpr14
	s_and_saveexec_b64 s[4:5], vcc
	s_xor_b64 s[4:5], exec, s[4:5]
	s_cbranch_execz .LBB1607_171
; %bb.170:
	v_xor_b32_e32 v2, 0xfffffcff, v0
	s_waitcnt lgkmcnt(5)
	v_ashrrev_i32_e32 v11, 31, v2
	v_add_co_u32_e32 v13, vcc, v23, v2
	v_addc_co_u32_e32 v14, vcc, v32, v11, vcc
                                        ; implicit-def: $vgpr30
.LBB1607_171:
	s_andn2_saveexec_b64 s[4:5], s[4:5]
	s_cbranch_execz .LBB1607_173
; %bb.172:
	s_waitcnt lgkmcnt(6)
	v_add_co_u32_e32 v13, vcc, v17, v30
	v_addc_co_u32_e32 v14, vcc, 0, v18, vcc
.LBB1607_173:
	s_or_b64 exec, exec, s[4:5]
	s_waitcnt lgkmcnt(6)
	v_lshlrev_b64 v[13:14], 2, v[13:14]
	v_mov_b32_e32 v2, s27
	v_add_co_u32_e32 v13, vcc, s26, v13
	v_addc_co_u32_e32 v14, vcc, v2, v14, vcc
	s_waitcnt lgkmcnt(5)
	global_store_dword v[13:14], v12, off
	s_or_b64 exec, exec, s[2:3]
	v_cmp_gt_u32_e32 vcc, s33, v29
	s_and_saveexec_b64 s[2:3], vcc
	s_cbranch_execnz .LBB1607_139
.LBB1607_174:
	s_or_b64 exec, exec, s[2:3]
	v_cmp_gt_u32_e32 vcc, s33, v28
	s_and_saveexec_b64 s[2:3], vcc
	s_cbranch_execz .LBB1607_144
.LBB1607_175:
	v_cmp_ge_u32_e32 vcc, v28, v1
                                        ; implicit-def: $vgpr11_vgpr12
	s_and_saveexec_b64 s[4:5], vcc
	s_xor_b64 s[4:5], exec, s[4:5]
	s_cbranch_execz .LBB1607_177
; %bb.176:
	v_xor_b32_e32 v2, 0xfffffaff, v0
	s_waitcnt lgkmcnt(4)
	v_ashrrev_i32_e32 v9, 31, v2
	v_add_co_u32_e32 v11, vcc, v23, v2
	v_addc_co_u32_e32 v12, vcc, v32, v9, vcc
                                        ; implicit-def: $vgpr28
.LBB1607_177:
	s_andn2_saveexec_b64 s[4:5], s[4:5]
	s_cbranch_execz .LBB1607_179
; %bb.178:
	s_waitcnt lgkmcnt(5)
	v_add_co_u32_e32 v11, vcc, v17, v28
	v_addc_co_u32_e32 v12, vcc, 0, v18, vcc
.LBB1607_179:
	s_or_b64 exec, exec, s[4:5]
	s_waitcnt lgkmcnt(5)
	v_lshlrev_b64 v[11:12], 2, v[11:12]
	v_mov_b32_e32 v2, s27
	v_add_co_u32_e32 v11, vcc, s26, v11
	v_addc_co_u32_e32 v12, vcc, v2, v12, vcc
	s_waitcnt lgkmcnt(4)
	global_store_dword v[11:12], v10, off
	s_or_b64 exec, exec, s[2:3]
	v_cmp_gt_u32_e32 vcc, s33, v27
	s_and_saveexec_b64 s[2:3], vcc
	s_cbranch_execnz .LBB1607_145
.LBB1607_180:
	s_or_b64 exec, exec, s[2:3]
	v_cmp_gt_u32_e32 vcc, s33, v26
	s_and_saveexec_b64 s[2:3], vcc
	s_cbranch_execz .LBB1607_150
.LBB1607_181:
	v_cmp_ge_u32_e32 vcc, v26, v1
                                        ; implicit-def: $vgpr9_vgpr10
	s_and_saveexec_b64 s[4:5], vcc
	s_xor_b64 s[4:5], exec, s[4:5]
	s_cbranch_execz .LBB1607_183
; %bb.182:
	v_xor_b32_e32 v2, 0xfffff8ff, v0
	s_waitcnt lgkmcnt(3)
	v_ashrrev_i32_e32 v7, 31, v2
	v_add_co_u32_e32 v9, vcc, v23, v2
	v_addc_co_u32_e32 v10, vcc, v32, v7, vcc
                                        ; implicit-def: $vgpr26
.LBB1607_183:
	s_andn2_saveexec_b64 s[4:5], s[4:5]
	s_cbranch_execz .LBB1607_185
; %bb.184:
	s_waitcnt lgkmcnt(4)
	v_add_co_u32_e32 v9, vcc, v17, v26
	v_addc_co_u32_e32 v10, vcc, 0, v18, vcc
.LBB1607_185:
	s_or_b64 exec, exec, s[4:5]
	s_waitcnt lgkmcnt(4)
	v_lshlrev_b64 v[9:10], 2, v[9:10]
	v_mov_b32_e32 v2, s27
	v_add_co_u32_e32 v9, vcc, s26, v9
	v_addc_co_u32_e32 v10, vcc, v2, v10, vcc
	s_waitcnt lgkmcnt(3)
	global_store_dword v[9:10], v8, off
	s_or_b64 exec, exec, s[2:3]
	v_cmp_gt_u32_e32 vcc, s33, v25
	s_and_saveexec_b64 s[2:3], vcc
	s_cbranch_execnz .LBB1607_151
.LBB1607_186:
	s_or_b64 exec, exec, s[2:3]
	v_cmp_gt_u32_e32 vcc, s33, v24
	s_and_saveexec_b64 s[2:3], vcc
	s_cbranch_execz .LBB1607_156
.LBB1607_187:
	v_cmp_ge_u32_e32 vcc, v24, v1
                                        ; implicit-def: $vgpr7_vgpr8
	s_and_saveexec_b64 s[4:5], vcc
	s_xor_b64 s[4:5], exec, s[4:5]
	s_cbranch_execz .LBB1607_189
; %bb.188:
	v_xor_b32_e32 v2, 0xfffff6ff, v0
	s_waitcnt lgkmcnt(2)
	v_ashrrev_i32_e32 v5, 31, v2
	v_add_co_u32_e32 v7, vcc, v23, v2
	v_addc_co_u32_e32 v8, vcc, v32, v5, vcc
                                        ; implicit-def: $vgpr24
.LBB1607_189:
	s_andn2_saveexec_b64 s[4:5], s[4:5]
	s_cbranch_execz .LBB1607_191
; %bb.190:
	s_waitcnt lgkmcnt(3)
	v_add_co_u32_e32 v7, vcc, v17, v24
	v_addc_co_u32_e32 v8, vcc, 0, v18, vcc
.LBB1607_191:
	s_or_b64 exec, exec, s[4:5]
	s_waitcnt lgkmcnt(3)
	v_lshlrev_b64 v[7:8], 2, v[7:8]
	v_mov_b32_e32 v2, s27
	v_add_co_u32_e32 v7, vcc, s26, v7
	v_addc_co_u32_e32 v8, vcc, v2, v8, vcc
	s_waitcnt lgkmcnt(2)
	global_store_dword v[7:8], v6, off
	s_or_b64 exec, exec, s[2:3]
	v_cmp_gt_u32_e32 vcc, s33, v22
	s_and_saveexec_b64 s[2:3], vcc
	s_cbranch_execnz .LBB1607_157
.LBB1607_192:
	s_or_b64 exec, exec, s[2:3]
	v_cmp_gt_u32_e32 vcc, s33, v21
	s_and_saveexec_b64 s[2:3], vcc
	s_cbranch_execz .LBB1607_198
.LBB1607_193:
	v_cmp_ge_u32_e32 vcc, v21, v1
                                        ; implicit-def: $vgpr2_vgpr3
	s_and_saveexec_b64 s[4:5], vcc
	s_xor_b64 s[4:5], exec, s[4:5]
	s_cbranch_execz .LBB1607_195
; %bb.194:
	v_xor_b32_e32 v2, 0xfffff4ff, v0
	s_waitcnt lgkmcnt(1)
	v_ashrrev_i32_e32 v3, 31, v2
	v_add_co_u32_e32 v2, vcc, v23, v2
	v_addc_co_u32_e32 v3, vcc, v32, v3, vcc
                                        ; implicit-def: $vgpr21
.LBB1607_195:
	s_andn2_saveexec_b64 s[4:5], s[4:5]
	s_cbranch_execz .LBB1607_197
; %bb.196:
	v_add_co_u32_e32 v2, vcc, v17, v21
	s_waitcnt lgkmcnt(1)
	v_addc_co_u32_e32 v3, vcc, 0, v18, vcc
.LBB1607_197:
	s_or_b64 exec, exec, s[4:5]
	s_waitcnt lgkmcnt(1)
	v_lshlrev_b64 v[2:3], 2, v[2:3]
	v_mov_b32_e32 v5, s27
	v_add_co_u32_e32 v2, vcc, s26, v2
	v_addc_co_u32_e32 v3, vcc, v5, v3, vcc
	global_store_dword v[2:3], v4, off
.LBB1607_198:
	s_or_b64 exec, exec, s[2:3]
	v_cmp_gt_u32_e32 vcc, s33, v20
                                        ; implicit-def: $vgpr15_vgpr16
	s_and_saveexec_b64 s[2:3], vcc
	s_cbranch_execz .LBB1607_204
; %bb.199:
	v_cmp_ge_u32_e32 vcc, v20, v1
                                        ; implicit-def: $vgpr15_vgpr16
	s_and_saveexec_b64 s[4:5], vcc
	s_xor_b64 s[4:5], exec, s[4:5]
	s_cbranch_execz .LBB1607_201
; %bb.200:
	v_xor_b32_e32 v2, 0xfffff3ff, v0
	s_waitcnt lgkmcnt(1)
	v_ashrrev_i32_e32 v3, 31, v2
	v_add_co_u32_e32 v15, vcc, v23, v2
	v_addc_co_u32_e32 v16, vcc, v32, v3, vcc
                                        ; implicit-def: $vgpr20
.LBB1607_201:
	s_andn2_saveexec_b64 s[4:5], s[4:5]
; %bb.202:
	v_add_co_u32_e32 v15, vcc, v17, v20
	v_addc_co_u32_e32 v16, vcc, 0, v18, vcc
; %bb.203:
	s_or_b64 exec, exec, s[4:5]
	s_or_b64 s[0:1], s[0:1], exec
.LBB1607_204:
	s_or_b64 exec, exec, s[2:3]
.LBB1607_205:
	s_and_saveexec_b64 s[2:3], s[0:1]
	s_cbranch_execz .LBB1607_207
; %bb.206:
	s_waitcnt lgkmcnt(1)
	v_lshlrev_b64 v[2:3], 2, v[15:16]
	v_mov_b32_e32 v4, s27
	v_add_co_u32_e32 v2, vcc, s26, v2
	v_addc_co_u32_e32 v3, vcc, v4, v3, vcc
	s_waitcnt lgkmcnt(0)
	global_store_dword v[2:3], v19, off
.LBB1607_207:
	s_or_b64 exec, exec, s[2:3]
	v_cmp_eq_u32_e32 vcc, 0, v0
	s_and_b64 s[0:1], vcc, s[22:23]
	s_and_saveexec_b64 s[2:3], s[0:1]
	s_cbranch_execz .LBB1607_209
; %bb.208:
	v_add_co_u32_e32 v0, vcc, v17, v1
	v_mov_b32_e32 v2, 0
	v_addc_co_u32_e32 v1, vcc, 0, v18, vcc
	global_store_dwordx2 v2, v[0:1], s[24:25]
.LBB1607_209:
	s_endpgm
	.section	.rodata,"a",@progbits
	.p2align	6, 0x0
	.amdhsa_kernel _ZN7rocprim17ROCPRIM_400000_NS6detail17trampoline_kernelINS0_13select_configILj256ELj13ELNS0_17block_load_methodE3ELS4_3ELS4_3ELNS0_20block_scan_algorithmE0ELj4294967295EEENS1_25partition_config_selectorILNS1_17partition_subalgoE3EjNS0_10empty_typeEbEEZZNS1_14partition_implILS8_3ELb0ES6_jNS0_17counting_iteratorIjlEEPS9_SE_NS0_5tupleIJPjSE_EEENSF_IJSE_SE_EEES9_SG_JZNS1_25segmented_radix_sort_implINS0_14default_configELb0EPKbPbPKlPlN2at6native12_GLOBAL__N_18offset_tEEE10hipError_tPvRmT1_PNSt15iterator_traitsISY_E10value_typeET2_T3_PNSZ_IS14_E10value_typeET4_jRbjT5_S1A_jjP12ihipStream_tbEUljE_EEESV_SW_SX_S14_S18_S1A_T6_T7_T9_mT8_S1C_bDpT10_ENKUlT_T0_E_clISt17integral_constantIbLb0EES1P_EEDaS1K_S1L_EUlS1K_E_NS1_11comp_targetILNS1_3genE2ELNS1_11target_archE906ELNS1_3gpuE6ELNS1_3repE0EEENS1_30default_config_static_selectorELNS0_4arch9wavefront6targetE1EEEvSY_
		.amdhsa_group_segment_fixed_size 13320
		.amdhsa_private_segment_fixed_size 0
		.amdhsa_kernarg_size 144
		.amdhsa_user_sgpr_count 6
		.amdhsa_user_sgpr_private_segment_buffer 1
		.amdhsa_user_sgpr_dispatch_ptr 0
		.amdhsa_user_sgpr_queue_ptr 0
		.amdhsa_user_sgpr_kernarg_segment_ptr 1
		.amdhsa_user_sgpr_dispatch_id 0
		.amdhsa_user_sgpr_flat_scratch_init 0
		.amdhsa_user_sgpr_private_segment_size 0
		.amdhsa_uses_dynamic_stack 0
		.amdhsa_system_sgpr_private_segment_wavefront_offset 0
		.amdhsa_system_sgpr_workgroup_id_x 1
		.amdhsa_system_sgpr_workgroup_id_y 0
		.amdhsa_system_sgpr_workgroup_id_z 0
		.amdhsa_system_sgpr_workgroup_info 0
		.amdhsa_system_vgpr_workitem_id 0
		.amdhsa_next_free_vgpr 69
		.amdhsa_next_free_sgpr 98
		.amdhsa_reserve_vcc 1
		.amdhsa_reserve_flat_scratch 0
		.amdhsa_float_round_mode_32 0
		.amdhsa_float_round_mode_16_64 0
		.amdhsa_float_denorm_mode_32 3
		.amdhsa_float_denorm_mode_16_64 3
		.amdhsa_dx10_clamp 1
		.amdhsa_ieee_mode 1
		.amdhsa_fp16_overflow 0
		.amdhsa_exception_fp_ieee_invalid_op 0
		.amdhsa_exception_fp_denorm_src 0
		.amdhsa_exception_fp_ieee_div_zero 0
		.amdhsa_exception_fp_ieee_overflow 0
		.amdhsa_exception_fp_ieee_underflow 0
		.amdhsa_exception_fp_ieee_inexact 0
		.amdhsa_exception_int_div_zero 0
	.end_amdhsa_kernel
	.section	.text._ZN7rocprim17ROCPRIM_400000_NS6detail17trampoline_kernelINS0_13select_configILj256ELj13ELNS0_17block_load_methodE3ELS4_3ELS4_3ELNS0_20block_scan_algorithmE0ELj4294967295EEENS1_25partition_config_selectorILNS1_17partition_subalgoE3EjNS0_10empty_typeEbEEZZNS1_14partition_implILS8_3ELb0ES6_jNS0_17counting_iteratorIjlEEPS9_SE_NS0_5tupleIJPjSE_EEENSF_IJSE_SE_EEES9_SG_JZNS1_25segmented_radix_sort_implINS0_14default_configELb0EPKbPbPKlPlN2at6native12_GLOBAL__N_18offset_tEEE10hipError_tPvRmT1_PNSt15iterator_traitsISY_E10value_typeET2_T3_PNSZ_IS14_E10value_typeET4_jRbjT5_S1A_jjP12ihipStream_tbEUljE_EEESV_SW_SX_S14_S18_S1A_T6_T7_T9_mT8_S1C_bDpT10_ENKUlT_T0_E_clISt17integral_constantIbLb0EES1P_EEDaS1K_S1L_EUlS1K_E_NS1_11comp_targetILNS1_3genE2ELNS1_11target_archE906ELNS1_3gpuE6ELNS1_3repE0EEENS1_30default_config_static_selectorELNS0_4arch9wavefront6targetE1EEEvSY_,"axG",@progbits,_ZN7rocprim17ROCPRIM_400000_NS6detail17trampoline_kernelINS0_13select_configILj256ELj13ELNS0_17block_load_methodE3ELS4_3ELS4_3ELNS0_20block_scan_algorithmE0ELj4294967295EEENS1_25partition_config_selectorILNS1_17partition_subalgoE3EjNS0_10empty_typeEbEEZZNS1_14partition_implILS8_3ELb0ES6_jNS0_17counting_iteratorIjlEEPS9_SE_NS0_5tupleIJPjSE_EEENSF_IJSE_SE_EEES9_SG_JZNS1_25segmented_radix_sort_implINS0_14default_configELb0EPKbPbPKlPlN2at6native12_GLOBAL__N_18offset_tEEE10hipError_tPvRmT1_PNSt15iterator_traitsISY_E10value_typeET2_T3_PNSZ_IS14_E10value_typeET4_jRbjT5_S1A_jjP12ihipStream_tbEUljE_EEESV_SW_SX_S14_S18_S1A_T6_T7_T9_mT8_S1C_bDpT10_ENKUlT_T0_E_clISt17integral_constantIbLb0EES1P_EEDaS1K_S1L_EUlS1K_E_NS1_11comp_targetILNS1_3genE2ELNS1_11target_archE906ELNS1_3gpuE6ELNS1_3repE0EEENS1_30default_config_static_selectorELNS0_4arch9wavefront6targetE1EEEvSY_,comdat
.Lfunc_end1607:
	.size	_ZN7rocprim17ROCPRIM_400000_NS6detail17trampoline_kernelINS0_13select_configILj256ELj13ELNS0_17block_load_methodE3ELS4_3ELS4_3ELNS0_20block_scan_algorithmE0ELj4294967295EEENS1_25partition_config_selectorILNS1_17partition_subalgoE3EjNS0_10empty_typeEbEEZZNS1_14partition_implILS8_3ELb0ES6_jNS0_17counting_iteratorIjlEEPS9_SE_NS0_5tupleIJPjSE_EEENSF_IJSE_SE_EEES9_SG_JZNS1_25segmented_radix_sort_implINS0_14default_configELb0EPKbPbPKlPlN2at6native12_GLOBAL__N_18offset_tEEE10hipError_tPvRmT1_PNSt15iterator_traitsISY_E10value_typeET2_T3_PNSZ_IS14_E10value_typeET4_jRbjT5_S1A_jjP12ihipStream_tbEUljE_EEESV_SW_SX_S14_S18_S1A_T6_T7_T9_mT8_S1C_bDpT10_ENKUlT_T0_E_clISt17integral_constantIbLb0EES1P_EEDaS1K_S1L_EUlS1K_E_NS1_11comp_targetILNS1_3genE2ELNS1_11target_archE906ELNS1_3gpuE6ELNS1_3repE0EEENS1_30default_config_static_selectorELNS0_4arch9wavefront6targetE1EEEvSY_, .Lfunc_end1607-_ZN7rocprim17ROCPRIM_400000_NS6detail17trampoline_kernelINS0_13select_configILj256ELj13ELNS0_17block_load_methodE3ELS4_3ELS4_3ELNS0_20block_scan_algorithmE0ELj4294967295EEENS1_25partition_config_selectorILNS1_17partition_subalgoE3EjNS0_10empty_typeEbEEZZNS1_14partition_implILS8_3ELb0ES6_jNS0_17counting_iteratorIjlEEPS9_SE_NS0_5tupleIJPjSE_EEENSF_IJSE_SE_EEES9_SG_JZNS1_25segmented_radix_sort_implINS0_14default_configELb0EPKbPbPKlPlN2at6native12_GLOBAL__N_18offset_tEEE10hipError_tPvRmT1_PNSt15iterator_traitsISY_E10value_typeET2_T3_PNSZ_IS14_E10value_typeET4_jRbjT5_S1A_jjP12ihipStream_tbEUljE_EEESV_SW_SX_S14_S18_S1A_T6_T7_T9_mT8_S1C_bDpT10_ENKUlT_T0_E_clISt17integral_constantIbLb0EES1P_EEDaS1K_S1L_EUlS1K_E_NS1_11comp_targetILNS1_3genE2ELNS1_11target_archE906ELNS1_3gpuE6ELNS1_3repE0EEENS1_30default_config_static_selectorELNS0_4arch9wavefront6targetE1EEEvSY_
                                        ; -- End function
	.set _ZN7rocprim17ROCPRIM_400000_NS6detail17trampoline_kernelINS0_13select_configILj256ELj13ELNS0_17block_load_methodE3ELS4_3ELS4_3ELNS0_20block_scan_algorithmE0ELj4294967295EEENS1_25partition_config_selectorILNS1_17partition_subalgoE3EjNS0_10empty_typeEbEEZZNS1_14partition_implILS8_3ELb0ES6_jNS0_17counting_iteratorIjlEEPS9_SE_NS0_5tupleIJPjSE_EEENSF_IJSE_SE_EEES9_SG_JZNS1_25segmented_radix_sort_implINS0_14default_configELb0EPKbPbPKlPlN2at6native12_GLOBAL__N_18offset_tEEE10hipError_tPvRmT1_PNSt15iterator_traitsISY_E10value_typeET2_T3_PNSZ_IS14_E10value_typeET4_jRbjT5_S1A_jjP12ihipStream_tbEUljE_EEESV_SW_SX_S14_S18_S1A_T6_T7_T9_mT8_S1C_bDpT10_ENKUlT_T0_E_clISt17integral_constantIbLb0EES1P_EEDaS1K_S1L_EUlS1K_E_NS1_11comp_targetILNS1_3genE2ELNS1_11target_archE906ELNS1_3gpuE6ELNS1_3repE0EEENS1_30default_config_static_selectorELNS0_4arch9wavefront6targetE1EEEvSY_.num_vgpr, 69
	.set _ZN7rocprim17ROCPRIM_400000_NS6detail17trampoline_kernelINS0_13select_configILj256ELj13ELNS0_17block_load_methodE3ELS4_3ELS4_3ELNS0_20block_scan_algorithmE0ELj4294967295EEENS1_25partition_config_selectorILNS1_17partition_subalgoE3EjNS0_10empty_typeEbEEZZNS1_14partition_implILS8_3ELb0ES6_jNS0_17counting_iteratorIjlEEPS9_SE_NS0_5tupleIJPjSE_EEENSF_IJSE_SE_EEES9_SG_JZNS1_25segmented_radix_sort_implINS0_14default_configELb0EPKbPbPKlPlN2at6native12_GLOBAL__N_18offset_tEEE10hipError_tPvRmT1_PNSt15iterator_traitsISY_E10value_typeET2_T3_PNSZ_IS14_E10value_typeET4_jRbjT5_S1A_jjP12ihipStream_tbEUljE_EEESV_SW_SX_S14_S18_S1A_T6_T7_T9_mT8_S1C_bDpT10_ENKUlT_T0_E_clISt17integral_constantIbLb0EES1P_EEDaS1K_S1L_EUlS1K_E_NS1_11comp_targetILNS1_3genE2ELNS1_11target_archE906ELNS1_3gpuE6ELNS1_3repE0EEENS1_30default_config_static_selectorELNS0_4arch9wavefront6targetE1EEEvSY_.num_agpr, 0
	.set _ZN7rocprim17ROCPRIM_400000_NS6detail17trampoline_kernelINS0_13select_configILj256ELj13ELNS0_17block_load_methodE3ELS4_3ELS4_3ELNS0_20block_scan_algorithmE0ELj4294967295EEENS1_25partition_config_selectorILNS1_17partition_subalgoE3EjNS0_10empty_typeEbEEZZNS1_14partition_implILS8_3ELb0ES6_jNS0_17counting_iteratorIjlEEPS9_SE_NS0_5tupleIJPjSE_EEENSF_IJSE_SE_EEES9_SG_JZNS1_25segmented_radix_sort_implINS0_14default_configELb0EPKbPbPKlPlN2at6native12_GLOBAL__N_18offset_tEEE10hipError_tPvRmT1_PNSt15iterator_traitsISY_E10value_typeET2_T3_PNSZ_IS14_E10value_typeET4_jRbjT5_S1A_jjP12ihipStream_tbEUljE_EEESV_SW_SX_S14_S18_S1A_T6_T7_T9_mT8_S1C_bDpT10_ENKUlT_T0_E_clISt17integral_constantIbLb0EES1P_EEDaS1K_S1L_EUlS1K_E_NS1_11comp_targetILNS1_3genE2ELNS1_11target_archE906ELNS1_3gpuE6ELNS1_3repE0EEENS1_30default_config_static_selectorELNS0_4arch9wavefront6targetE1EEEvSY_.numbered_sgpr, 48
	.set _ZN7rocprim17ROCPRIM_400000_NS6detail17trampoline_kernelINS0_13select_configILj256ELj13ELNS0_17block_load_methodE3ELS4_3ELS4_3ELNS0_20block_scan_algorithmE0ELj4294967295EEENS1_25partition_config_selectorILNS1_17partition_subalgoE3EjNS0_10empty_typeEbEEZZNS1_14partition_implILS8_3ELb0ES6_jNS0_17counting_iteratorIjlEEPS9_SE_NS0_5tupleIJPjSE_EEENSF_IJSE_SE_EEES9_SG_JZNS1_25segmented_radix_sort_implINS0_14default_configELb0EPKbPbPKlPlN2at6native12_GLOBAL__N_18offset_tEEE10hipError_tPvRmT1_PNSt15iterator_traitsISY_E10value_typeET2_T3_PNSZ_IS14_E10value_typeET4_jRbjT5_S1A_jjP12ihipStream_tbEUljE_EEESV_SW_SX_S14_S18_S1A_T6_T7_T9_mT8_S1C_bDpT10_ENKUlT_T0_E_clISt17integral_constantIbLb0EES1P_EEDaS1K_S1L_EUlS1K_E_NS1_11comp_targetILNS1_3genE2ELNS1_11target_archE906ELNS1_3gpuE6ELNS1_3repE0EEENS1_30default_config_static_selectorELNS0_4arch9wavefront6targetE1EEEvSY_.num_named_barrier, 0
	.set _ZN7rocprim17ROCPRIM_400000_NS6detail17trampoline_kernelINS0_13select_configILj256ELj13ELNS0_17block_load_methodE3ELS4_3ELS4_3ELNS0_20block_scan_algorithmE0ELj4294967295EEENS1_25partition_config_selectorILNS1_17partition_subalgoE3EjNS0_10empty_typeEbEEZZNS1_14partition_implILS8_3ELb0ES6_jNS0_17counting_iteratorIjlEEPS9_SE_NS0_5tupleIJPjSE_EEENSF_IJSE_SE_EEES9_SG_JZNS1_25segmented_radix_sort_implINS0_14default_configELb0EPKbPbPKlPlN2at6native12_GLOBAL__N_18offset_tEEE10hipError_tPvRmT1_PNSt15iterator_traitsISY_E10value_typeET2_T3_PNSZ_IS14_E10value_typeET4_jRbjT5_S1A_jjP12ihipStream_tbEUljE_EEESV_SW_SX_S14_S18_S1A_T6_T7_T9_mT8_S1C_bDpT10_ENKUlT_T0_E_clISt17integral_constantIbLb0EES1P_EEDaS1K_S1L_EUlS1K_E_NS1_11comp_targetILNS1_3genE2ELNS1_11target_archE906ELNS1_3gpuE6ELNS1_3repE0EEENS1_30default_config_static_selectorELNS0_4arch9wavefront6targetE1EEEvSY_.private_seg_size, 0
	.set _ZN7rocprim17ROCPRIM_400000_NS6detail17trampoline_kernelINS0_13select_configILj256ELj13ELNS0_17block_load_methodE3ELS4_3ELS4_3ELNS0_20block_scan_algorithmE0ELj4294967295EEENS1_25partition_config_selectorILNS1_17partition_subalgoE3EjNS0_10empty_typeEbEEZZNS1_14partition_implILS8_3ELb0ES6_jNS0_17counting_iteratorIjlEEPS9_SE_NS0_5tupleIJPjSE_EEENSF_IJSE_SE_EEES9_SG_JZNS1_25segmented_radix_sort_implINS0_14default_configELb0EPKbPbPKlPlN2at6native12_GLOBAL__N_18offset_tEEE10hipError_tPvRmT1_PNSt15iterator_traitsISY_E10value_typeET2_T3_PNSZ_IS14_E10value_typeET4_jRbjT5_S1A_jjP12ihipStream_tbEUljE_EEESV_SW_SX_S14_S18_S1A_T6_T7_T9_mT8_S1C_bDpT10_ENKUlT_T0_E_clISt17integral_constantIbLb0EES1P_EEDaS1K_S1L_EUlS1K_E_NS1_11comp_targetILNS1_3genE2ELNS1_11target_archE906ELNS1_3gpuE6ELNS1_3repE0EEENS1_30default_config_static_selectorELNS0_4arch9wavefront6targetE1EEEvSY_.uses_vcc, 1
	.set _ZN7rocprim17ROCPRIM_400000_NS6detail17trampoline_kernelINS0_13select_configILj256ELj13ELNS0_17block_load_methodE3ELS4_3ELS4_3ELNS0_20block_scan_algorithmE0ELj4294967295EEENS1_25partition_config_selectorILNS1_17partition_subalgoE3EjNS0_10empty_typeEbEEZZNS1_14partition_implILS8_3ELb0ES6_jNS0_17counting_iteratorIjlEEPS9_SE_NS0_5tupleIJPjSE_EEENSF_IJSE_SE_EEES9_SG_JZNS1_25segmented_radix_sort_implINS0_14default_configELb0EPKbPbPKlPlN2at6native12_GLOBAL__N_18offset_tEEE10hipError_tPvRmT1_PNSt15iterator_traitsISY_E10value_typeET2_T3_PNSZ_IS14_E10value_typeET4_jRbjT5_S1A_jjP12ihipStream_tbEUljE_EEESV_SW_SX_S14_S18_S1A_T6_T7_T9_mT8_S1C_bDpT10_ENKUlT_T0_E_clISt17integral_constantIbLb0EES1P_EEDaS1K_S1L_EUlS1K_E_NS1_11comp_targetILNS1_3genE2ELNS1_11target_archE906ELNS1_3gpuE6ELNS1_3repE0EEENS1_30default_config_static_selectorELNS0_4arch9wavefront6targetE1EEEvSY_.uses_flat_scratch, 0
	.set _ZN7rocprim17ROCPRIM_400000_NS6detail17trampoline_kernelINS0_13select_configILj256ELj13ELNS0_17block_load_methodE3ELS4_3ELS4_3ELNS0_20block_scan_algorithmE0ELj4294967295EEENS1_25partition_config_selectorILNS1_17partition_subalgoE3EjNS0_10empty_typeEbEEZZNS1_14partition_implILS8_3ELb0ES6_jNS0_17counting_iteratorIjlEEPS9_SE_NS0_5tupleIJPjSE_EEENSF_IJSE_SE_EEES9_SG_JZNS1_25segmented_radix_sort_implINS0_14default_configELb0EPKbPbPKlPlN2at6native12_GLOBAL__N_18offset_tEEE10hipError_tPvRmT1_PNSt15iterator_traitsISY_E10value_typeET2_T3_PNSZ_IS14_E10value_typeET4_jRbjT5_S1A_jjP12ihipStream_tbEUljE_EEESV_SW_SX_S14_S18_S1A_T6_T7_T9_mT8_S1C_bDpT10_ENKUlT_T0_E_clISt17integral_constantIbLb0EES1P_EEDaS1K_S1L_EUlS1K_E_NS1_11comp_targetILNS1_3genE2ELNS1_11target_archE906ELNS1_3gpuE6ELNS1_3repE0EEENS1_30default_config_static_selectorELNS0_4arch9wavefront6targetE1EEEvSY_.has_dyn_sized_stack, 0
	.set _ZN7rocprim17ROCPRIM_400000_NS6detail17trampoline_kernelINS0_13select_configILj256ELj13ELNS0_17block_load_methodE3ELS4_3ELS4_3ELNS0_20block_scan_algorithmE0ELj4294967295EEENS1_25partition_config_selectorILNS1_17partition_subalgoE3EjNS0_10empty_typeEbEEZZNS1_14partition_implILS8_3ELb0ES6_jNS0_17counting_iteratorIjlEEPS9_SE_NS0_5tupleIJPjSE_EEENSF_IJSE_SE_EEES9_SG_JZNS1_25segmented_radix_sort_implINS0_14default_configELb0EPKbPbPKlPlN2at6native12_GLOBAL__N_18offset_tEEE10hipError_tPvRmT1_PNSt15iterator_traitsISY_E10value_typeET2_T3_PNSZ_IS14_E10value_typeET4_jRbjT5_S1A_jjP12ihipStream_tbEUljE_EEESV_SW_SX_S14_S18_S1A_T6_T7_T9_mT8_S1C_bDpT10_ENKUlT_T0_E_clISt17integral_constantIbLb0EES1P_EEDaS1K_S1L_EUlS1K_E_NS1_11comp_targetILNS1_3genE2ELNS1_11target_archE906ELNS1_3gpuE6ELNS1_3repE0EEENS1_30default_config_static_selectorELNS0_4arch9wavefront6targetE1EEEvSY_.has_recursion, 0
	.set _ZN7rocprim17ROCPRIM_400000_NS6detail17trampoline_kernelINS0_13select_configILj256ELj13ELNS0_17block_load_methodE3ELS4_3ELS4_3ELNS0_20block_scan_algorithmE0ELj4294967295EEENS1_25partition_config_selectorILNS1_17partition_subalgoE3EjNS0_10empty_typeEbEEZZNS1_14partition_implILS8_3ELb0ES6_jNS0_17counting_iteratorIjlEEPS9_SE_NS0_5tupleIJPjSE_EEENSF_IJSE_SE_EEES9_SG_JZNS1_25segmented_radix_sort_implINS0_14default_configELb0EPKbPbPKlPlN2at6native12_GLOBAL__N_18offset_tEEE10hipError_tPvRmT1_PNSt15iterator_traitsISY_E10value_typeET2_T3_PNSZ_IS14_E10value_typeET4_jRbjT5_S1A_jjP12ihipStream_tbEUljE_EEESV_SW_SX_S14_S18_S1A_T6_T7_T9_mT8_S1C_bDpT10_ENKUlT_T0_E_clISt17integral_constantIbLb0EES1P_EEDaS1K_S1L_EUlS1K_E_NS1_11comp_targetILNS1_3genE2ELNS1_11target_archE906ELNS1_3gpuE6ELNS1_3repE0EEENS1_30default_config_static_selectorELNS0_4arch9wavefront6targetE1EEEvSY_.has_indirect_call, 0
	.section	.AMDGPU.csdata,"",@progbits
; Kernel info:
; codeLenInByte = 7612
; TotalNumSgprs: 52
; NumVgprs: 69
; ScratchSize: 0
; MemoryBound: 0
; FloatMode: 240
; IeeeMode: 1
; LDSByteSize: 13320 bytes/workgroup (compile time only)
; SGPRBlocks: 12
; VGPRBlocks: 17
; NumSGPRsForWavesPerEU: 102
; NumVGPRsForWavesPerEU: 69
; Occupancy: 3
; WaveLimiterHint : 0
; COMPUTE_PGM_RSRC2:SCRATCH_EN: 0
; COMPUTE_PGM_RSRC2:USER_SGPR: 6
; COMPUTE_PGM_RSRC2:TRAP_HANDLER: 0
; COMPUTE_PGM_RSRC2:TGID_X_EN: 1
; COMPUTE_PGM_RSRC2:TGID_Y_EN: 0
; COMPUTE_PGM_RSRC2:TGID_Z_EN: 0
; COMPUTE_PGM_RSRC2:TIDIG_COMP_CNT: 0
	.section	.text._ZN7rocprim17ROCPRIM_400000_NS6detail17trampoline_kernelINS0_13select_configILj256ELj13ELNS0_17block_load_methodE3ELS4_3ELS4_3ELNS0_20block_scan_algorithmE0ELj4294967295EEENS1_25partition_config_selectorILNS1_17partition_subalgoE3EjNS0_10empty_typeEbEEZZNS1_14partition_implILS8_3ELb0ES6_jNS0_17counting_iteratorIjlEEPS9_SE_NS0_5tupleIJPjSE_EEENSF_IJSE_SE_EEES9_SG_JZNS1_25segmented_radix_sort_implINS0_14default_configELb0EPKbPbPKlPlN2at6native12_GLOBAL__N_18offset_tEEE10hipError_tPvRmT1_PNSt15iterator_traitsISY_E10value_typeET2_T3_PNSZ_IS14_E10value_typeET4_jRbjT5_S1A_jjP12ihipStream_tbEUljE_EEESV_SW_SX_S14_S18_S1A_T6_T7_T9_mT8_S1C_bDpT10_ENKUlT_T0_E_clISt17integral_constantIbLb0EES1P_EEDaS1K_S1L_EUlS1K_E_NS1_11comp_targetILNS1_3genE10ELNS1_11target_archE1200ELNS1_3gpuE4ELNS1_3repE0EEENS1_30default_config_static_selectorELNS0_4arch9wavefront6targetE1EEEvSY_,"axG",@progbits,_ZN7rocprim17ROCPRIM_400000_NS6detail17trampoline_kernelINS0_13select_configILj256ELj13ELNS0_17block_load_methodE3ELS4_3ELS4_3ELNS0_20block_scan_algorithmE0ELj4294967295EEENS1_25partition_config_selectorILNS1_17partition_subalgoE3EjNS0_10empty_typeEbEEZZNS1_14partition_implILS8_3ELb0ES6_jNS0_17counting_iteratorIjlEEPS9_SE_NS0_5tupleIJPjSE_EEENSF_IJSE_SE_EEES9_SG_JZNS1_25segmented_radix_sort_implINS0_14default_configELb0EPKbPbPKlPlN2at6native12_GLOBAL__N_18offset_tEEE10hipError_tPvRmT1_PNSt15iterator_traitsISY_E10value_typeET2_T3_PNSZ_IS14_E10value_typeET4_jRbjT5_S1A_jjP12ihipStream_tbEUljE_EEESV_SW_SX_S14_S18_S1A_T6_T7_T9_mT8_S1C_bDpT10_ENKUlT_T0_E_clISt17integral_constantIbLb0EES1P_EEDaS1K_S1L_EUlS1K_E_NS1_11comp_targetILNS1_3genE10ELNS1_11target_archE1200ELNS1_3gpuE4ELNS1_3repE0EEENS1_30default_config_static_selectorELNS0_4arch9wavefront6targetE1EEEvSY_,comdat
	.globl	_ZN7rocprim17ROCPRIM_400000_NS6detail17trampoline_kernelINS0_13select_configILj256ELj13ELNS0_17block_load_methodE3ELS4_3ELS4_3ELNS0_20block_scan_algorithmE0ELj4294967295EEENS1_25partition_config_selectorILNS1_17partition_subalgoE3EjNS0_10empty_typeEbEEZZNS1_14partition_implILS8_3ELb0ES6_jNS0_17counting_iteratorIjlEEPS9_SE_NS0_5tupleIJPjSE_EEENSF_IJSE_SE_EEES9_SG_JZNS1_25segmented_radix_sort_implINS0_14default_configELb0EPKbPbPKlPlN2at6native12_GLOBAL__N_18offset_tEEE10hipError_tPvRmT1_PNSt15iterator_traitsISY_E10value_typeET2_T3_PNSZ_IS14_E10value_typeET4_jRbjT5_S1A_jjP12ihipStream_tbEUljE_EEESV_SW_SX_S14_S18_S1A_T6_T7_T9_mT8_S1C_bDpT10_ENKUlT_T0_E_clISt17integral_constantIbLb0EES1P_EEDaS1K_S1L_EUlS1K_E_NS1_11comp_targetILNS1_3genE10ELNS1_11target_archE1200ELNS1_3gpuE4ELNS1_3repE0EEENS1_30default_config_static_selectorELNS0_4arch9wavefront6targetE1EEEvSY_ ; -- Begin function _ZN7rocprim17ROCPRIM_400000_NS6detail17trampoline_kernelINS0_13select_configILj256ELj13ELNS0_17block_load_methodE3ELS4_3ELS4_3ELNS0_20block_scan_algorithmE0ELj4294967295EEENS1_25partition_config_selectorILNS1_17partition_subalgoE3EjNS0_10empty_typeEbEEZZNS1_14partition_implILS8_3ELb0ES6_jNS0_17counting_iteratorIjlEEPS9_SE_NS0_5tupleIJPjSE_EEENSF_IJSE_SE_EEES9_SG_JZNS1_25segmented_radix_sort_implINS0_14default_configELb0EPKbPbPKlPlN2at6native12_GLOBAL__N_18offset_tEEE10hipError_tPvRmT1_PNSt15iterator_traitsISY_E10value_typeET2_T3_PNSZ_IS14_E10value_typeET4_jRbjT5_S1A_jjP12ihipStream_tbEUljE_EEESV_SW_SX_S14_S18_S1A_T6_T7_T9_mT8_S1C_bDpT10_ENKUlT_T0_E_clISt17integral_constantIbLb0EES1P_EEDaS1K_S1L_EUlS1K_E_NS1_11comp_targetILNS1_3genE10ELNS1_11target_archE1200ELNS1_3gpuE4ELNS1_3repE0EEENS1_30default_config_static_selectorELNS0_4arch9wavefront6targetE1EEEvSY_
	.p2align	8
	.type	_ZN7rocprim17ROCPRIM_400000_NS6detail17trampoline_kernelINS0_13select_configILj256ELj13ELNS0_17block_load_methodE3ELS4_3ELS4_3ELNS0_20block_scan_algorithmE0ELj4294967295EEENS1_25partition_config_selectorILNS1_17partition_subalgoE3EjNS0_10empty_typeEbEEZZNS1_14partition_implILS8_3ELb0ES6_jNS0_17counting_iteratorIjlEEPS9_SE_NS0_5tupleIJPjSE_EEENSF_IJSE_SE_EEES9_SG_JZNS1_25segmented_radix_sort_implINS0_14default_configELb0EPKbPbPKlPlN2at6native12_GLOBAL__N_18offset_tEEE10hipError_tPvRmT1_PNSt15iterator_traitsISY_E10value_typeET2_T3_PNSZ_IS14_E10value_typeET4_jRbjT5_S1A_jjP12ihipStream_tbEUljE_EEESV_SW_SX_S14_S18_S1A_T6_T7_T9_mT8_S1C_bDpT10_ENKUlT_T0_E_clISt17integral_constantIbLb0EES1P_EEDaS1K_S1L_EUlS1K_E_NS1_11comp_targetILNS1_3genE10ELNS1_11target_archE1200ELNS1_3gpuE4ELNS1_3repE0EEENS1_30default_config_static_selectorELNS0_4arch9wavefront6targetE1EEEvSY_,@function
_ZN7rocprim17ROCPRIM_400000_NS6detail17trampoline_kernelINS0_13select_configILj256ELj13ELNS0_17block_load_methodE3ELS4_3ELS4_3ELNS0_20block_scan_algorithmE0ELj4294967295EEENS1_25partition_config_selectorILNS1_17partition_subalgoE3EjNS0_10empty_typeEbEEZZNS1_14partition_implILS8_3ELb0ES6_jNS0_17counting_iteratorIjlEEPS9_SE_NS0_5tupleIJPjSE_EEENSF_IJSE_SE_EEES9_SG_JZNS1_25segmented_radix_sort_implINS0_14default_configELb0EPKbPbPKlPlN2at6native12_GLOBAL__N_18offset_tEEE10hipError_tPvRmT1_PNSt15iterator_traitsISY_E10value_typeET2_T3_PNSZ_IS14_E10value_typeET4_jRbjT5_S1A_jjP12ihipStream_tbEUljE_EEESV_SW_SX_S14_S18_S1A_T6_T7_T9_mT8_S1C_bDpT10_ENKUlT_T0_E_clISt17integral_constantIbLb0EES1P_EEDaS1K_S1L_EUlS1K_E_NS1_11comp_targetILNS1_3genE10ELNS1_11target_archE1200ELNS1_3gpuE4ELNS1_3repE0EEENS1_30default_config_static_selectorELNS0_4arch9wavefront6targetE1EEEvSY_: ; @_ZN7rocprim17ROCPRIM_400000_NS6detail17trampoline_kernelINS0_13select_configILj256ELj13ELNS0_17block_load_methodE3ELS4_3ELS4_3ELNS0_20block_scan_algorithmE0ELj4294967295EEENS1_25partition_config_selectorILNS1_17partition_subalgoE3EjNS0_10empty_typeEbEEZZNS1_14partition_implILS8_3ELb0ES6_jNS0_17counting_iteratorIjlEEPS9_SE_NS0_5tupleIJPjSE_EEENSF_IJSE_SE_EEES9_SG_JZNS1_25segmented_radix_sort_implINS0_14default_configELb0EPKbPbPKlPlN2at6native12_GLOBAL__N_18offset_tEEE10hipError_tPvRmT1_PNSt15iterator_traitsISY_E10value_typeET2_T3_PNSZ_IS14_E10value_typeET4_jRbjT5_S1A_jjP12ihipStream_tbEUljE_EEESV_SW_SX_S14_S18_S1A_T6_T7_T9_mT8_S1C_bDpT10_ENKUlT_T0_E_clISt17integral_constantIbLb0EES1P_EEDaS1K_S1L_EUlS1K_E_NS1_11comp_targetILNS1_3genE10ELNS1_11target_archE1200ELNS1_3gpuE4ELNS1_3repE0EEENS1_30default_config_static_selectorELNS0_4arch9wavefront6targetE1EEEvSY_
; %bb.0:
	.section	.rodata,"a",@progbits
	.p2align	6, 0x0
	.amdhsa_kernel _ZN7rocprim17ROCPRIM_400000_NS6detail17trampoline_kernelINS0_13select_configILj256ELj13ELNS0_17block_load_methodE3ELS4_3ELS4_3ELNS0_20block_scan_algorithmE0ELj4294967295EEENS1_25partition_config_selectorILNS1_17partition_subalgoE3EjNS0_10empty_typeEbEEZZNS1_14partition_implILS8_3ELb0ES6_jNS0_17counting_iteratorIjlEEPS9_SE_NS0_5tupleIJPjSE_EEENSF_IJSE_SE_EEES9_SG_JZNS1_25segmented_radix_sort_implINS0_14default_configELb0EPKbPbPKlPlN2at6native12_GLOBAL__N_18offset_tEEE10hipError_tPvRmT1_PNSt15iterator_traitsISY_E10value_typeET2_T3_PNSZ_IS14_E10value_typeET4_jRbjT5_S1A_jjP12ihipStream_tbEUljE_EEESV_SW_SX_S14_S18_S1A_T6_T7_T9_mT8_S1C_bDpT10_ENKUlT_T0_E_clISt17integral_constantIbLb0EES1P_EEDaS1K_S1L_EUlS1K_E_NS1_11comp_targetILNS1_3genE10ELNS1_11target_archE1200ELNS1_3gpuE4ELNS1_3repE0EEENS1_30default_config_static_selectorELNS0_4arch9wavefront6targetE1EEEvSY_
		.amdhsa_group_segment_fixed_size 0
		.amdhsa_private_segment_fixed_size 0
		.amdhsa_kernarg_size 144
		.amdhsa_user_sgpr_count 6
		.amdhsa_user_sgpr_private_segment_buffer 1
		.amdhsa_user_sgpr_dispatch_ptr 0
		.amdhsa_user_sgpr_queue_ptr 0
		.amdhsa_user_sgpr_kernarg_segment_ptr 1
		.amdhsa_user_sgpr_dispatch_id 0
		.amdhsa_user_sgpr_flat_scratch_init 0
		.amdhsa_user_sgpr_private_segment_size 0
		.amdhsa_uses_dynamic_stack 0
		.amdhsa_system_sgpr_private_segment_wavefront_offset 0
		.amdhsa_system_sgpr_workgroup_id_x 1
		.amdhsa_system_sgpr_workgroup_id_y 0
		.amdhsa_system_sgpr_workgroup_id_z 0
		.amdhsa_system_sgpr_workgroup_info 0
		.amdhsa_system_vgpr_workitem_id 0
		.amdhsa_next_free_vgpr 1
		.amdhsa_next_free_sgpr 0
		.amdhsa_reserve_vcc 0
		.amdhsa_reserve_flat_scratch 0
		.amdhsa_float_round_mode_32 0
		.amdhsa_float_round_mode_16_64 0
		.amdhsa_float_denorm_mode_32 3
		.amdhsa_float_denorm_mode_16_64 3
		.amdhsa_dx10_clamp 1
		.amdhsa_ieee_mode 1
		.amdhsa_fp16_overflow 0
		.amdhsa_exception_fp_ieee_invalid_op 0
		.amdhsa_exception_fp_denorm_src 0
		.amdhsa_exception_fp_ieee_div_zero 0
		.amdhsa_exception_fp_ieee_overflow 0
		.amdhsa_exception_fp_ieee_underflow 0
		.amdhsa_exception_fp_ieee_inexact 0
		.amdhsa_exception_int_div_zero 0
	.end_amdhsa_kernel
	.section	.text._ZN7rocprim17ROCPRIM_400000_NS6detail17trampoline_kernelINS0_13select_configILj256ELj13ELNS0_17block_load_methodE3ELS4_3ELS4_3ELNS0_20block_scan_algorithmE0ELj4294967295EEENS1_25partition_config_selectorILNS1_17partition_subalgoE3EjNS0_10empty_typeEbEEZZNS1_14partition_implILS8_3ELb0ES6_jNS0_17counting_iteratorIjlEEPS9_SE_NS0_5tupleIJPjSE_EEENSF_IJSE_SE_EEES9_SG_JZNS1_25segmented_radix_sort_implINS0_14default_configELb0EPKbPbPKlPlN2at6native12_GLOBAL__N_18offset_tEEE10hipError_tPvRmT1_PNSt15iterator_traitsISY_E10value_typeET2_T3_PNSZ_IS14_E10value_typeET4_jRbjT5_S1A_jjP12ihipStream_tbEUljE_EEESV_SW_SX_S14_S18_S1A_T6_T7_T9_mT8_S1C_bDpT10_ENKUlT_T0_E_clISt17integral_constantIbLb0EES1P_EEDaS1K_S1L_EUlS1K_E_NS1_11comp_targetILNS1_3genE10ELNS1_11target_archE1200ELNS1_3gpuE4ELNS1_3repE0EEENS1_30default_config_static_selectorELNS0_4arch9wavefront6targetE1EEEvSY_,"axG",@progbits,_ZN7rocprim17ROCPRIM_400000_NS6detail17trampoline_kernelINS0_13select_configILj256ELj13ELNS0_17block_load_methodE3ELS4_3ELS4_3ELNS0_20block_scan_algorithmE0ELj4294967295EEENS1_25partition_config_selectorILNS1_17partition_subalgoE3EjNS0_10empty_typeEbEEZZNS1_14partition_implILS8_3ELb0ES6_jNS0_17counting_iteratorIjlEEPS9_SE_NS0_5tupleIJPjSE_EEENSF_IJSE_SE_EEES9_SG_JZNS1_25segmented_radix_sort_implINS0_14default_configELb0EPKbPbPKlPlN2at6native12_GLOBAL__N_18offset_tEEE10hipError_tPvRmT1_PNSt15iterator_traitsISY_E10value_typeET2_T3_PNSZ_IS14_E10value_typeET4_jRbjT5_S1A_jjP12ihipStream_tbEUljE_EEESV_SW_SX_S14_S18_S1A_T6_T7_T9_mT8_S1C_bDpT10_ENKUlT_T0_E_clISt17integral_constantIbLb0EES1P_EEDaS1K_S1L_EUlS1K_E_NS1_11comp_targetILNS1_3genE10ELNS1_11target_archE1200ELNS1_3gpuE4ELNS1_3repE0EEENS1_30default_config_static_selectorELNS0_4arch9wavefront6targetE1EEEvSY_,comdat
.Lfunc_end1608:
	.size	_ZN7rocprim17ROCPRIM_400000_NS6detail17trampoline_kernelINS0_13select_configILj256ELj13ELNS0_17block_load_methodE3ELS4_3ELS4_3ELNS0_20block_scan_algorithmE0ELj4294967295EEENS1_25partition_config_selectorILNS1_17partition_subalgoE3EjNS0_10empty_typeEbEEZZNS1_14partition_implILS8_3ELb0ES6_jNS0_17counting_iteratorIjlEEPS9_SE_NS0_5tupleIJPjSE_EEENSF_IJSE_SE_EEES9_SG_JZNS1_25segmented_radix_sort_implINS0_14default_configELb0EPKbPbPKlPlN2at6native12_GLOBAL__N_18offset_tEEE10hipError_tPvRmT1_PNSt15iterator_traitsISY_E10value_typeET2_T3_PNSZ_IS14_E10value_typeET4_jRbjT5_S1A_jjP12ihipStream_tbEUljE_EEESV_SW_SX_S14_S18_S1A_T6_T7_T9_mT8_S1C_bDpT10_ENKUlT_T0_E_clISt17integral_constantIbLb0EES1P_EEDaS1K_S1L_EUlS1K_E_NS1_11comp_targetILNS1_3genE10ELNS1_11target_archE1200ELNS1_3gpuE4ELNS1_3repE0EEENS1_30default_config_static_selectorELNS0_4arch9wavefront6targetE1EEEvSY_, .Lfunc_end1608-_ZN7rocprim17ROCPRIM_400000_NS6detail17trampoline_kernelINS0_13select_configILj256ELj13ELNS0_17block_load_methodE3ELS4_3ELS4_3ELNS0_20block_scan_algorithmE0ELj4294967295EEENS1_25partition_config_selectorILNS1_17partition_subalgoE3EjNS0_10empty_typeEbEEZZNS1_14partition_implILS8_3ELb0ES6_jNS0_17counting_iteratorIjlEEPS9_SE_NS0_5tupleIJPjSE_EEENSF_IJSE_SE_EEES9_SG_JZNS1_25segmented_radix_sort_implINS0_14default_configELb0EPKbPbPKlPlN2at6native12_GLOBAL__N_18offset_tEEE10hipError_tPvRmT1_PNSt15iterator_traitsISY_E10value_typeET2_T3_PNSZ_IS14_E10value_typeET4_jRbjT5_S1A_jjP12ihipStream_tbEUljE_EEESV_SW_SX_S14_S18_S1A_T6_T7_T9_mT8_S1C_bDpT10_ENKUlT_T0_E_clISt17integral_constantIbLb0EES1P_EEDaS1K_S1L_EUlS1K_E_NS1_11comp_targetILNS1_3genE10ELNS1_11target_archE1200ELNS1_3gpuE4ELNS1_3repE0EEENS1_30default_config_static_selectorELNS0_4arch9wavefront6targetE1EEEvSY_
                                        ; -- End function
	.set _ZN7rocprim17ROCPRIM_400000_NS6detail17trampoline_kernelINS0_13select_configILj256ELj13ELNS0_17block_load_methodE3ELS4_3ELS4_3ELNS0_20block_scan_algorithmE0ELj4294967295EEENS1_25partition_config_selectorILNS1_17partition_subalgoE3EjNS0_10empty_typeEbEEZZNS1_14partition_implILS8_3ELb0ES6_jNS0_17counting_iteratorIjlEEPS9_SE_NS0_5tupleIJPjSE_EEENSF_IJSE_SE_EEES9_SG_JZNS1_25segmented_radix_sort_implINS0_14default_configELb0EPKbPbPKlPlN2at6native12_GLOBAL__N_18offset_tEEE10hipError_tPvRmT1_PNSt15iterator_traitsISY_E10value_typeET2_T3_PNSZ_IS14_E10value_typeET4_jRbjT5_S1A_jjP12ihipStream_tbEUljE_EEESV_SW_SX_S14_S18_S1A_T6_T7_T9_mT8_S1C_bDpT10_ENKUlT_T0_E_clISt17integral_constantIbLb0EES1P_EEDaS1K_S1L_EUlS1K_E_NS1_11comp_targetILNS1_3genE10ELNS1_11target_archE1200ELNS1_3gpuE4ELNS1_3repE0EEENS1_30default_config_static_selectorELNS0_4arch9wavefront6targetE1EEEvSY_.num_vgpr, 0
	.set _ZN7rocprim17ROCPRIM_400000_NS6detail17trampoline_kernelINS0_13select_configILj256ELj13ELNS0_17block_load_methodE3ELS4_3ELS4_3ELNS0_20block_scan_algorithmE0ELj4294967295EEENS1_25partition_config_selectorILNS1_17partition_subalgoE3EjNS0_10empty_typeEbEEZZNS1_14partition_implILS8_3ELb0ES6_jNS0_17counting_iteratorIjlEEPS9_SE_NS0_5tupleIJPjSE_EEENSF_IJSE_SE_EEES9_SG_JZNS1_25segmented_radix_sort_implINS0_14default_configELb0EPKbPbPKlPlN2at6native12_GLOBAL__N_18offset_tEEE10hipError_tPvRmT1_PNSt15iterator_traitsISY_E10value_typeET2_T3_PNSZ_IS14_E10value_typeET4_jRbjT5_S1A_jjP12ihipStream_tbEUljE_EEESV_SW_SX_S14_S18_S1A_T6_T7_T9_mT8_S1C_bDpT10_ENKUlT_T0_E_clISt17integral_constantIbLb0EES1P_EEDaS1K_S1L_EUlS1K_E_NS1_11comp_targetILNS1_3genE10ELNS1_11target_archE1200ELNS1_3gpuE4ELNS1_3repE0EEENS1_30default_config_static_selectorELNS0_4arch9wavefront6targetE1EEEvSY_.num_agpr, 0
	.set _ZN7rocprim17ROCPRIM_400000_NS6detail17trampoline_kernelINS0_13select_configILj256ELj13ELNS0_17block_load_methodE3ELS4_3ELS4_3ELNS0_20block_scan_algorithmE0ELj4294967295EEENS1_25partition_config_selectorILNS1_17partition_subalgoE3EjNS0_10empty_typeEbEEZZNS1_14partition_implILS8_3ELb0ES6_jNS0_17counting_iteratorIjlEEPS9_SE_NS0_5tupleIJPjSE_EEENSF_IJSE_SE_EEES9_SG_JZNS1_25segmented_radix_sort_implINS0_14default_configELb0EPKbPbPKlPlN2at6native12_GLOBAL__N_18offset_tEEE10hipError_tPvRmT1_PNSt15iterator_traitsISY_E10value_typeET2_T3_PNSZ_IS14_E10value_typeET4_jRbjT5_S1A_jjP12ihipStream_tbEUljE_EEESV_SW_SX_S14_S18_S1A_T6_T7_T9_mT8_S1C_bDpT10_ENKUlT_T0_E_clISt17integral_constantIbLb0EES1P_EEDaS1K_S1L_EUlS1K_E_NS1_11comp_targetILNS1_3genE10ELNS1_11target_archE1200ELNS1_3gpuE4ELNS1_3repE0EEENS1_30default_config_static_selectorELNS0_4arch9wavefront6targetE1EEEvSY_.numbered_sgpr, 0
	.set _ZN7rocprim17ROCPRIM_400000_NS6detail17trampoline_kernelINS0_13select_configILj256ELj13ELNS0_17block_load_methodE3ELS4_3ELS4_3ELNS0_20block_scan_algorithmE0ELj4294967295EEENS1_25partition_config_selectorILNS1_17partition_subalgoE3EjNS0_10empty_typeEbEEZZNS1_14partition_implILS8_3ELb0ES6_jNS0_17counting_iteratorIjlEEPS9_SE_NS0_5tupleIJPjSE_EEENSF_IJSE_SE_EEES9_SG_JZNS1_25segmented_radix_sort_implINS0_14default_configELb0EPKbPbPKlPlN2at6native12_GLOBAL__N_18offset_tEEE10hipError_tPvRmT1_PNSt15iterator_traitsISY_E10value_typeET2_T3_PNSZ_IS14_E10value_typeET4_jRbjT5_S1A_jjP12ihipStream_tbEUljE_EEESV_SW_SX_S14_S18_S1A_T6_T7_T9_mT8_S1C_bDpT10_ENKUlT_T0_E_clISt17integral_constantIbLb0EES1P_EEDaS1K_S1L_EUlS1K_E_NS1_11comp_targetILNS1_3genE10ELNS1_11target_archE1200ELNS1_3gpuE4ELNS1_3repE0EEENS1_30default_config_static_selectorELNS0_4arch9wavefront6targetE1EEEvSY_.num_named_barrier, 0
	.set _ZN7rocprim17ROCPRIM_400000_NS6detail17trampoline_kernelINS0_13select_configILj256ELj13ELNS0_17block_load_methodE3ELS4_3ELS4_3ELNS0_20block_scan_algorithmE0ELj4294967295EEENS1_25partition_config_selectorILNS1_17partition_subalgoE3EjNS0_10empty_typeEbEEZZNS1_14partition_implILS8_3ELb0ES6_jNS0_17counting_iteratorIjlEEPS9_SE_NS0_5tupleIJPjSE_EEENSF_IJSE_SE_EEES9_SG_JZNS1_25segmented_radix_sort_implINS0_14default_configELb0EPKbPbPKlPlN2at6native12_GLOBAL__N_18offset_tEEE10hipError_tPvRmT1_PNSt15iterator_traitsISY_E10value_typeET2_T3_PNSZ_IS14_E10value_typeET4_jRbjT5_S1A_jjP12ihipStream_tbEUljE_EEESV_SW_SX_S14_S18_S1A_T6_T7_T9_mT8_S1C_bDpT10_ENKUlT_T0_E_clISt17integral_constantIbLb0EES1P_EEDaS1K_S1L_EUlS1K_E_NS1_11comp_targetILNS1_3genE10ELNS1_11target_archE1200ELNS1_3gpuE4ELNS1_3repE0EEENS1_30default_config_static_selectorELNS0_4arch9wavefront6targetE1EEEvSY_.private_seg_size, 0
	.set _ZN7rocprim17ROCPRIM_400000_NS6detail17trampoline_kernelINS0_13select_configILj256ELj13ELNS0_17block_load_methodE3ELS4_3ELS4_3ELNS0_20block_scan_algorithmE0ELj4294967295EEENS1_25partition_config_selectorILNS1_17partition_subalgoE3EjNS0_10empty_typeEbEEZZNS1_14partition_implILS8_3ELb0ES6_jNS0_17counting_iteratorIjlEEPS9_SE_NS0_5tupleIJPjSE_EEENSF_IJSE_SE_EEES9_SG_JZNS1_25segmented_radix_sort_implINS0_14default_configELb0EPKbPbPKlPlN2at6native12_GLOBAL__N_18offset_tEEE10hipError_tPvRmT1_PNSt15iterator_traitsISY_E10value_typeET2_T3_PNSZ_IS14_E10value_typeET4_jRbjT5_S1A_jjP12ihipStream_tbEUljE_EEESV_SW_SX_S14_S18_S1A_T6_T7_T9_mT8_S1C_bDpT10_ENKUlT_T0_E_clISt17integral_constantIbLb0EES1P_EEDaS1K_S1L_EUlS1K_E_NS1_11comp_targetILNS1_3genE10ELNS1_11target_archE1200ELNS1_3gpuE4ELNS1_3repE0EEENS1_30default_config_static_selectorELNS0_4arch9wavefront6targetE1EEEvSY_.uses_vcc, 0
	.set _ZN7rocprim17ROCPRIM_400000_NS6detail17trampoline_kernelINS0_13select_configILj256ELj13ELNS0_17block_load_methodE3ELS4_3ELS4_3ELNS0_20block_scan_algorithmE0ELj4294967295EEENS1_25partition_config_selectorILNS1_17partition_subalgoE3EjNS0_10empty_typeEbEEZZNS1_14partition_implILS8_3ELb0ES6_jNS0_17counting_iteratorIjlEEPS9_SE_NS0_5tupleIJPjSE_EEENSF_IJSE_SE_EEES9_SG_JZNS1_25segmented_radix_sort_implINS0_14default_configELb0EPKbPbPKlPlN2at6native12_GLOBAL__N_18offset_tEEE10hipError_tPvRmT1_PNSt15iterator_traitsISY_E10value_typeET2_T3_PNSZ_IS14_E10value_typeET4_jRbjT5_S1A_jjP12ihipStream_tbEUljE_EEESV_SW_SX_S14_S18_S1A_T6_T7_T9_mT8_S1C_bDpT10_ENKUlT_T0_E_clISt17integral_constantIbLb0EES1P_EEDaS1K_S1L_EUlS1K_E_NS1_11comp_targetILNS1_3genE10ELNS1_11target_archE1200ELNS1_3gpuE4ELNS1_3repE0EEENS1_30default_config_static_selectorELNS0_4arch9wavefront6targetE1EEEvSY_.uses_flat_scratch, 0
	.set _ZN7rocprim17ROCPRIM_400000_NS6detail17trampoline_kernelINS0_13select_configILj256ELj13ELNS0_17block_load_methodE3ELS4_3ELS4_3ELNS0_20block_scan_algorithmE0ELj4294967295EEENS1_25partition_config_selectorILNS1_17partition_subalgoE3EjNS0_10empty_typeEbEEZZNS1_14partition_implILS8_3ELb0ES6_jNS0_17counting_iteratorIjlEEPS9_SE_NS0_5tupleIJPjSE_EEENSF_IJSE_SE_EEES9_SG_JZNS1_25segmented_radix_sort_implINS0_14default_configELb0EPKbPbPKlPlN2at6native12_GLOBAL__N_18offset_tEEE10hipError_tPvRmT1_PNSt15iterator_traitsISY_E10value_typeET2_T3_PNSZ_IS14_E10value_typeET4_jRbjT5_S1A_jjP12ihipStream_tbEUljE_EEESV_SW_SX_S14_S18_S1A_T6_T7_T9_mT8_S1C_bDpT10_ENKUlT_T0_E_clISt17integral_constantIbLb0EES1P_EEDaS1K_S1L_EUlS1K_E_NS1_11comp_targetILNS1_3genE10ELNS1_11target_archE1200ELNS1_3gpuE4ELNS1_3repE0EEENS1_30default_config_static_selectorELNS0_4arch9wavefront6targetE1EEEvSY_.has_dyn_sized_stack, 0
	.set _ZN7rocprim17ROCPRIM_400000_NS6detail17trampoline_kernelINS0_13select_configILj256ELj13ELNS0_17block_load_methodE3ELS4_3ELS4_3ELNS0_20block_scan_algorithmE0ELj4294967295EEENS1_25partition_config_selectorILNS1_17partition_subalgoE3EjNS0_10empty_typeEbEEZZNS1_14partition_implILS8_3ELb0ES6_jNS0_17counting_iteratorIjlEEPS9_SE_NS0_5tupleIJPjSE_EEENSF_IJSE_SE_EEES9_SG_JZNS1_25segmented_radix_sort_implINS0_14default_configELb0EPKbPbPKlPlN2at6native12_GLOBAL__N_18offset_tEEE10hipError_tPvRmT1_PNSt15iterator_traitsISY_E10value_typeET2_T3_PNSZ_IS14_E10value_typeET4_jRbjT5_S1A_jjP12ihipStream_tbEUljE_EEESV_SW_SX_S14_S18_S1A_T6_T7_T9_mT8_S1C_bDpT10_ENKUlT_T0_E_clISt17integral_constantIbLb0EES1P_EEDaS1K_S1L_EUlS1K_E_NS1_11comp_targetILNS1_3genE10ELNS1_11target_archE1200ELNS1_3gpuE4ELNS1_3repE0EEENS1_30default_config_static_selectorELNS0_4arch9wavefront6targetE1EEEvSY_.has_recursion, 0
	.set _ZN7rocprim17ROCPRIM_400000_NS6detail17trampoline_kernelINS0_13select_configILj256ELj13ELNS0_17block_load_methodE3ELS4_3ELS4_3ELNS0_20block_scan_algorithmE0ELj4294967295EEENS1_25partition_config_selectorILNS1_17partition_subalgoE3EjNS0_10empty_typeEbEEZZNS1_14partition_implILS8_3ELb0ES6_jNS0_17counting_iteratorIjlEEPS9_SE_NS0_5tupleIJPjSE_EEENSF_IJSE_SE_EEES9_SG_JZNS1_25segmented_radix_sort_implINS0_14default_configELb0EPKbPbPKlPlN2at6native12_GLOBAL__N_18offset_tEEE10hipError_tPvRmT1_PNSt15iterator_traitsISY_E10value_typeET2_T3_PNSZ_IS14_E10value_typeET4_jRbjT5_S1A_jjP12ihipStream_tbEUljE_EEESV_SW_SX_S14_S18_S1A_T6_T7_T9_mT8_S1C_bDpT10_ENKUlT_T0_E_clISt17integral_constantIbLb0EES1P_EEDaS1K_S1L_EUlS1K_E_NS1_11comp_targetILNS1_3genE10ELNS1_11target_archE1200ELNS1_3gpuE4ELNS1_3repE0EEENS1_30default_config_static_selectorELNS0_4arch9wavefront6targetE1EEEvSY_.has_indirect_call, 0
	.section	.AMDGPU.csdata,"",@progbits
; Kernel info:
; codeLenInByte = 0
; TotalNumSgprs: 4
; NumVgprs: 0
; ScratchSize: 0
; MemoryBound: 0
; FloatMode: 240
; IeeeMode: 1
; LDSByteSize: 0 bytes/workgroup (compile time only)
; SGPRBlocks: 0
; VGPRBlocks: 0
; NumSGPRsForWavesPerEU: 4
; NumVGPRsForWavesPerEU: 1
; Occupancy: 10
; WaveLimiterHint : 0
; COMPUTE_PGM_RSRC2:SCRATCH_EN: 0
; COMPUTE_PGM_RSRC2:USER_SGPR: 6
; COMPUTE_PGM_RSRC2:TRAP_HANDLER: 0
; COMPUTE_PGM_RSRC2:TGID_X_EN: 1
; COMPUTE_PGM_RSRC2:TGID_Y_EN: 0
; COMPUTE_PGM_RSRC2:TGID_Z_EN: 0
; COMPUTE_PGM_RSRC2:TIDIG_COMP_CNT: 0
	.section	.text._ZN7rocprim17ROCPRIM_400000_NS6detail17trampoline_kernelINS0_13select_configILj256ELj13ELNS0_17block_load_methodE3ELS4_3ELS4_3ELNS0_20block_scan_algorithmE0ELj4294967295EEENS1_25partition_config_selectorILNS1_17partition_subalgoE3EjNS0_10empty_typeEbEEZZNS1_14partition_implILS8_3ELb0ES6_jNS0_17counting_iteratorIjlEEPS9_SE_NS0_5tupleIJPjSE_EEENSF_IJSE_SE_EEES9_SG_JZNS1_25segmented_radix_sort_implINS0_14default_configELb0EPKbPbPKlPlN2at6native12_GLOBAL__N_18offset_tEEE10hipError_tPvRmT1_PNSt15iterator_traitsISY_E10value_typeET2_T3_PNSZ_IS14_E10value_typeET4_jRbjT5_S1A_jjP12ihipStream_tbEUljE_EEESV_SW_SX_S14_S18_S1A_T6_T7_T9_mT8_S1C_bDpT10_ENKUlT_T0_E_clISt17integral_constantIbLb0EES1P_EEDaS1K_S1L_EUlS1K_E_NS1_11comp_targetILNS1_3genE9ELNS1_11target_archE1100ELNS1_3gpuE3ELNS1_3repE0EEENS1_30default_config_static_selectorELNS0_4arch9wavefront6targetE1EEEvSY_,"axG",@progbits,_ZN7rocprim17ROCPRIM_400000_NS6detail17trampoline_kernelINS0_13select_configILj256ELj13ELNS0_17block_load_methodE3ELS4_3ELS4_3ELNS0_20block_scan_algorithmE0ELj4294967295EEENS1_25partition_config_selectorILNS1_17partition_subalgoE3EjNS0_10empty_typeEbEEZZNS1_14partition_implILS8_3ELb0ES6_jNS0_17counting_iteratorIjlEEPS9_SE_NS0_5tupleIJPjSE_EEENSF_IJSE_SE_EEES9_SG_JZNS1_25segmented_radix_sort_implINS0_14default_configELb0EPKbPbPKlPlN2at6native12_GLOBAL__N_18offset_tEEE10hipError_tPvRmT1_PNSt15iterator_traitsISY_E10value_typeET2_T3_PNSZ_IS14_E10value_typeET4_jRbjT5_S1A_jjP12ihipStream_tbEUljE_EEESV_SW_SX_S14_S18_S1A_T6_T7_T9_mT8_S1C_bDpT10_ENKUlT_T0_E_clISt17integral_constantIbLb0EES1P_EEDaS1K_S1L_EUlS1K_E_NS1_11comp_targetILNS1_3genE9ELNS1_11target_archE1100ELNS1_3gpuE3ELNS1_3repE0EEENS1_30default_config_static_selectorELNS0_4arch9wavefront6targetE1EEEvSY_,comdat
	.globl	_ZN7rocprim17ROCPRIM_400000_NS6detail17trampoline_kernelINS0_13select_configILj256ELj13ELNS0_17block_load_methodE3ELS4_3ELS4_3ELNS0_20block_scan_algorithmE0ELj4294967295EEENS1_25partition_config_selectorILNS1_17partition_subalgoE3EjNS0_10empty_typeEbEEZZNS1_14partition_implILS8_3ELb0ES6_jNS0_17counting_iteratorIjlEEPS9_SE_NS0_5tupleIJPjSE_EEENSF_IJSE_SE_EEES9_SG_JZNS1_25segmented_radix_sort_implINS0_14default_configELb0EPKbPbPKlPlN2at6native12_GLOBAL__N_18offset_tEEE10hipError_tPvRmT1_PNSt15iterator_traitsISY_E10value_typeET2_T3_PNSZ_IS14_E10value_typeET4_jRbjT5_S1A_jjP12ihipStream_tbEUljE_EEESV_SW_SX_S14_S18_S1A_T6_T7_T9_mT8_S1C_bDpT10_ENKUlT_T0_E_clISt17integral_constantIbLb0EES1P_EEDaS1K_S1L_EUlS1K_E_NS1_11comp_targetILNS1_3genE9ELNS1_11target_archE1100ELNS1_3gpuE3ELNS1_3repE0EEENS1_30default_config_static_selectorELNS0_4arch9wavefront6targetE1EEEvSY_ ; -- Begin function _ZN7rocprim17ROCPRIM_400000_NS6detail17trampoline_kernelINS0_13select_configILj256ELj13ELNS0_17block_load_methodE3ELS4_3ELS4_3ELNS0_20block_scan_algorithmE0ELj4294967295EEENS1_25partition_config_selectorILNS1_17partition_subalgoE3EjNS0_10empty_typeEbEEZZNS1_14partition_implILS8_3ELb0ES6_jNS0_17counting_iteratorIjlEEPS9_SE_NS0_5tupleIJPjSE_EEENSF_IJSE_SE_EEES9_SG_JZNS1_25segmented_radix_sort_implINS0_14default_configELb0EPKbPbPKlPlN2at6native12_GLOBAL__N_18offset_tEEE10hipError_tPvRmT1_PNSt15iterator_traitsISY_E10value_typeET2_T3_PNSZ_IS14_E10value_typeET4_jRbjT5_S1A_jjP12ihipStream_tbEUljE_EEESV_SW_SX_S14_S18_S1A_T6_T7_T9_mT8_S1C_bDpT10_ENKUlT_T0_E_clISt17integral_constantIbLb0EES1P_EEDaS1K_S1L_EUlS1K_E_NS1_11comp_targetILNS1_3genE9ELNS1_11target_archE1100ELNS1_3gpuE3ELNS1_3repE0EEENS1_30default_config_static_selectorELNS0_4arch9wavefront6targetE1EEEvSY_
	.p2align	8
	.type	_ZN7rocprim17ROCPRIM_400000_NS6detail17trampoline_kernelINS0_13select_configILj256ELj13ELNS0_17block_load_methodE3ELS4_3ELS4_3ELNS0_20block_scan_algorithmE0ELj4294967295EEENS1_25partition_config_selectorILNS1_17partition_subalgoE3EjNS0_10empty_typeEbEEZZNS1_14partition_implILS8_3ELb0ES6_jNS0_17counting_iteratorIjlEEPS9_SE_NS0_5tupleIJPjSE_EEENSF_IJSE_SE_EEES9_SG_JZNS1_25segmented_radix_sort_implINS0_14default_configELb0EPKbPbPKlPlN2at6native12_GLOBAL__N_18offset_tEEE10hipError_tPvRmT1_PNSt15iterator_traitsISY_E10value_typeET2_T3_PNSZ_IS14_E10value_typeET4_jRbjT5_S1A_jjP12ihipStream_tbEUljE_EEESV_SW_SX_S14_S18_S1A_T6_T7_T9_mT8_S1C_bDpT10_ENKUlT_T0_E_clISt17integral_constantIbLb0EES1P_EEDaS1K_S1L_EUlS1K_E_NS1_11comp_targetILNS1_3genE9ELNS1_11target_archE1100ELNS1_3gpuE3ELNS1_3repE0EEENS1_30default_config_static_selectorELNS0_4arch9wavefront6targetE1EEEvSY_,@function
_ZN7rocprim17ROCPRIM_400000_NS6detail17trampoline_kernelINS0_13select_configILj256ELj13ELNS0_17block_load_methodE3ELS4_3ELS4_3ELNS0_20block_scan_algorithmE0ELj4294967295EEENS1_25partition_config_selectorILNS1_17partition_subalgoE3EjNS0_10empty_typeEbEEZZNS1_14partition_implILS8_3ELb0ES6_jNS0_17counting_iteratorIjlEEPS9_SE_NS0_5tupleIJPjSE_EEENSF_IJSE_SE_EEES9_SG_JZNS1_25segmented_radix_sort_implINS0_14default_configELb0EPKbPbPKlPlN2at6native12_GLOBAL__N_18offset_tEEE10hipError_tPvRmT1_PNSt15iterator_traitsISY_E10value_typeET2_T3_PNSZ_IS14_E10value_typeET4_jRbjT5_S1A_jjP12ihipStream_tbEUljE_EEESV_SW_SX_S14_S18_S1A_T6_T7_T9_mT8_S1C_bDpT10_ENKUlT_T0_E_clISt17integral_constantIbLb0EES1P_EEDaS1K_S1L_EUlS1K_E_NS1_11comp_targetILNS1_3genE9ELNS1_11target_archE1100ELNS1_3gpuE3ELNS1_3repE0EEENS1_30default_config_static_selectorELNS0_4arch9wavefront6targetE1EEEvSY_: ; @_ZN7rocprim17ROCPRIM_400000_NS6detail17trampoline_kernelINS0_13select_configILj256ELj13ELNS0_17block_load_methodE3ELS4_3ELS4_3ELNS0_20block_scan_algorithmE0ELj4294967295EEENS1_25partition_config_selectorILNS1_17partition_subalgoE3EjNS0_10empty_typeEbEEZZNS1_14partition_implILS8_3ELb0ES6_jNS0_17counting_iteratorIjlEEPS9_SE_NS0_5tupleIJPjSE_EEENSF_IJSE_SE_EEES9_SG_JZNS1_25segmented_radix_sort_implINS0_14default_configELb0EPKbPbPKlPlN2at6native12_GLOBAL__N_18offset_tEEE10hipError_tPvRmT1_PNSt15iterator_traitsISY_E10value_typeET2_T3_PNSZ_IS14_E10value_typeET4_jRbjT5_S1A_jjP12ihipStream_tbEUljE_EEESV_SW_SX_S14_S18_S1A_T6_T7_T9_mT8_S1C_bDpT10_ENKUlT_T0_E_clISt17integral_constantIbLb0EES1P_EEDaS1K_S1L_EUlS1K_E_NS1_11comp_targetILNS1_3genE9ELNS1_11target_archE1100ELNS1_3gpuE3ELNS1_3repE0EEENS1_30default_config_static_selectorELNS0_4arch9wavefront6targetE1EEEvSY_
; %bb.0:
	.section	.rodata,"a",@progbits
	.p2align	6, 0x0
	.amdhsa_kernel _ZN7rocprim17ROCPRIM_400000_NS6detail17trampoline_kernelINS0_13select_configILj256ELj13ELNS0_17block_load_methodE3ELS4_3ELS4_3ELNS0_20block_scan_algorithmE0ELj4294967295EEENS1_25partition_config_selectorILNS1_17partition_subalgoE3EjNS0_10empty_typeEbEEZZNS1_14partition_implILS8_3ELb0ES6_jNS0_17counting_iteratorIjlEEPS9_SE_NS0_5tupleIJPjSE_EEENSF_IJSE_SE_EEES9_SG_JZNS1_25segmented_radix_sort_implINS0_14default_configELb0EPKbPbPKlPlN2at6native12_GLOBAL__N_18offset_tEEE10hipError_tPvRmT1_PNSt15iterator_traitsISY_E10value_typeET2_T3_PNSZ_IS14_E10value_typeET4_jRbjT5_S1A_jjP12ihipStream_tbEUljE_EEESV_SW_SX_S14_S18_S1A_T6_T7_T9_mT8_S1C_bDpT10_ENKUlT_T0_E_clISt17integral_constantIbLb0EES1P_EEDaS1K_S1L_EUlS1K_E_NS1_11comp_targetILNS1_3genE9ELNS1_11target_archE1100ELNS1_3gpuE3ELNS1_3repE0EEENS1_30default_config_static_selectorELNS0_4arch9wavefront6targetE1EEEvSY_
		.amdhsa_group_segment_fixed_size 0
		.amdhsa_private_segment_fixed_size 0
		.amdhsa_kernarg_size 144
		.amdhsa_user_sgpr_count 6
		.amdhsa_user_sgpr_private_segment_buffer 1
		.amdhsa_user_sgpr_dispatch_ptr 0
		.amdhsa_user_sgpr_queue_ptr 0
		.amdhsa_user_sgpr_kernarg_segment_ptr 1
		.amdhsa_user_sgpr_dispatch_id 0
		.amdhsa_user_sgpr_flat_scratch_init 0
		.amdhsa_user_sgpr_private_segment_size 0
		.amdhsa_uses_dynamic_stack 0
		.amdhsa_system_sgpr_private_segment_wavefront_offset 0
		.amdhsa_system_sgpr_workgroup_id_x 1
		.amdhsa_system_sgpr_workgroup_id_y 0
		.amdhsa_system_sgpr_workgroup_id_z 0
		.amdhsa_system_sgpr_workgroup_info 0
		.amdhsa_system_vgpr_workitem_id 0
		.amdhsa_next_free_vgpr 1
		.amdhsa_next_free_sgpr 0
		.amdhsa_reserve_vcc 0
		.amdhsa_reserve_flat_scratch 0
		.amdhsa_float_round_mode_32 0
		.amdhsa_float_round_mode_16_64 0
		.amdhsa_float_denorm_mode_32 3
		.amdhsa_float_denorm_mode_16_64 3
		.amdhsa_dx10_clamp 1
		.amdhsa_ieee_mode 1
		.amdhsa_fp16_overflow 0
		.amdhsa_exception_fp_ieee_invalid_op 0
		.amdhsa_exception_fp_denorm_src 0
		.amdhsa_exception_fp_ieee_div_zero 0
		.amdhsa_exception_fp_ieee_overflow 0
		.amdhsa_exception_fp_ieee_underflow 0
		.amdhsa_exception_fp_ieee_inexact 0
		.amdhsa_exception_int_div_zero 0
	.end_amdhsa_kernel
	.section	.text._ZN7rocprim17ROCPRIM_400000_NS6detail17trampoline_kernelINS0_13select_configILj256ELj13ELNS0_17block_load_methodE3ELS4_3ELS4_3ELNS0_20block_scan_algorithmE0ELj4294967295EEENS1_25partition_config_selectorILNS1_17partition_subalgoE3EjNS0_10empty_typeEbEEZZNS1_14partition_implILS8_3ELb0ES6_jNS0_17counting_iteratorIjlEEPS9_SE_NS0_5tupleIJPjSE_EEENSF_IJSE_SE_EEES9_SG_JZNS1_25segmented_radix_sort_implINS0_14default_configELb0EPKbPbPKlPlN2at6native12_GLOBAL__N_18offset_tEEE10hipError_tPvRmT1_PNSt15iterator_traitsISY_E10value_typeET2_T3_PNSZ_IS14_E10value_typeET4_jRbjT5_S1A_jjP12ihipStream_tbEUljE_EEESV_SW_SX_S14_S18_S1A_T6_T7_T9_mT8_S1C_bDpT10_ENKUlT_T0_E_clISt17integral_constantIbLb0EES1P_EEDaS1K_S1L_EUlS1K_E_NS1_11comp_targetILNS1_3genE9ELNS1_11target_archE1100ELNS1_3gpuE3ELNS1_3repE0EEENS1_30default_config_static_selectorELNS0_4arch9wavefront6targetE1EEEvSY_,"axG",@progbits,_ZN7rocprim17ROCPRIM_400000_NS6detail17trampoline_kernelINS0_13select_configILj256ELj13ELNS0_17block_load_methodE3ELS4_3ELS4_3ELNS0_20block_scan_algorithmE0ELj4294967295EEENS1_25partition_config_selectorILNS1_17partition_subalgoE3EjNS0_10empty_typeEbEEZZNS1_14partition_implILS8_3ELb0ES6_jNS0_17counting_iteratorIjlEEPS9_SE_NS0_5tupleIJPjSE_EEENSF_IJSE_SE_EEES9_SG_JZNS1_25segmented_radix_sort_implINS0_14default_configELb0EPKbPbPKlPlN2at6native12_GLOBAL__N_18offset_tEEE10hipError_tPvRmT1_PNSt15iterator_traitsISY_E10value_typeET2_T3_PNSZ_IS14_E10value_typeET4_jRbjT5_S1A_jjP12ihipStream_tbEUljE_EEESV_SW_SX_S14_S18_S1A_T6_T7_T9_mT8_S1C_bDpT10_ENKUlT_T0_E_clISt17integral_constantIbLb0EES1P_EEDaS1K_S1L_EUlS1K_E_NS1_11comp_targetILNS1_3genE9ELNS1_11target_archE1100ELNS1_3gpuE3ELNS1_3repE0EEENS1_30default_config_static_selectorELNS0_4arch9wavefront6targetE1EEEvSY_,comdat
.Lfunc_end1609:
	.size	_ZN7rocprim17ROCPRIM_400000_NS6detail17trampoline_kernelINS0_13select_configILj256ELj13ELNS0_17block_load_methodE3ELS4_3ELS4_3ELNS0_20block_scan_algorithmE0ELj4294967295EEENS1_25partition_config_selectorILNS1_17partition_subalgoE3EjNS0_10empty_typeEbEEZZNS1_14partition_implILS8_3ELb0ES6_jNS0_17counting_iteratorIjlEEPS9_SE_NS0_5tupleIJPjSE_EEENSF_IJSE_SE_EEES9_SG_JZNS1_25segmented_radix_sort_implINS0_14default_configELb0EPKbPbPKlPlN2at6native12_GLOBAL__N_18offset_tEEE10hipError_tPvRmT1_PNSt15iterator_traitsISY_E10value_typeET2_T3_PNSZ_IS14_E10value_typeET4_jRbjT5_S1A_jjP12ihipStream_tbEUljE_EEESV_SW_SX_S14_S18_S1A_T6_T7_T9_mT8_S1C_bDpT10_ENKUlT_T0_E_clISt17integral_constantIbLb0EES1P_EEDaS1K_S1L_EUlS1K_E_NS1_11comp_targetILNS1_3genE9ELNS1_11target_archE1100ELNS1_3gpuE3ELNS1_3repE0EEENS1_30default_config_static_selectorELNS0_4arch9wavefront6targetE1EEEvSY_, .Lfunc_end1609-_ZN7rocprim17ROCPRIM_400000_NS6detail17trampoline_kernelINS0_13select_configILj256ELj13ELNS0_17block_load_methodE3ELS4_3ELS4_3ELNS0_20block_scan_algorithmE0ELj4294967295EEENS1_25partition_config_selectorILNS1_17partition_subalgoE3EjNS0_10empty_typeEbEEZZNS1_14partition_implILS8_3ELb0ES6_jNS0_17counting_iteratorIjlEEPS9_SE_NS0_5tupleIJPjSE_EEENSF_IJSE_SE_EEES9_SG_JZNS1_25segmented_radix_sort_implINS0_14default_configELb0EPKbPbPKlPlN2at6native12_GLOBAL__N_18offset_tEEE10hipError_tPvRmT1_PNSt15iterator_traitsISY_E10value_typeET2_T3_PNSZ_IS14_E10value_typeET4_jRbjT5_S1A_jjP12ihipStream_tbEUljE_EEESV_SW_SX_S14_S18_S1A_T6_T7_T9_mT8_S1C_bDpT10_ENKUlT_T0_E_clISt17integral_constantIbLb0EES1P_EEDaS1K_S1L_EUlS1K_E_NS1_11comp_targetILNS1_3genE9ELNS1_11target_archE1100ELNS1_3gpuE3ELNS1_3repE0EEENS1_30default_config_static_selectorELNS0_4arch9wavefront6targetE1EEEvSY_
                                        ; -- End function
	.set _ZN7rocprim17ROCPRIM_400000_NS6detail17trampoline_kernelINS0_13select_configILj256ELj13ELNS0_17block_load_methodE3ELS4_3ELS4_3ELNS0_20block_scan_algorithmE0ELj4294967295EEENS1_25partition_config_selectorILNS1_17partition_subalgoE3EjNS0_10empty_typeEbEEZZNS1_14partition_implILS8_3ELb0ES6_jNS0_17counting_iteratorIjlEEPS9_SE_NS0_5tupleIJPjSE_EEENSF_IJSE_SE_EEES9_SG_JZNS1_25segmented_radix_sort_implINS0_14default_configELb0EPKbPbPKlPlN2at6native12_GLOBAL__N_18offset_tEEE10hipError_tPvRmT1_PNSt15iterator_traitsISY_E10value_typeET2_T3_PNSZ_IS14_E10value_typeET4_jRbjT5_S1A_jjP12ihipStream_tbEUljE_EEESV_SW_SX_S14_S18_S1A_T6_T7_T9_mT8_S1C_bDpT10_ENKUlT_T0_E_clISt17integral_constantIbLb0EES1P_EEDaS1K_S1L_EUlS1K_E_NS1_11comp_targetILNS1_3genE9ELNS1_11target_archE1100ELNS1_3gpuE3ELNS1_3repE0EEENS1_30default_config_static_selectorELNS0_4arch9wavefront6targetE1EEEvSY_.num_vgpr, 0
	.set _ZN7rocprim17ROCPRIM_400000_NS6detail17trampoline_kernelINS0_13select_configILj256ELj13ELNS0_17block_load_methodE3ELS4_3ELS4_3ELNS0_20block_scan_algorithmE0ELj4294967295EEENS1_25partition_config_selectorILNS1_17partition_subalgoE3EjNS0_10empty_typeEbEEZZNS1_14partition_implILS8_3ELb0ES6_jNS0_17counting_iteratorIjlEEPS9_SE_NS0_5tupleIJPjSE_EEENSF_IJSE_SE_EEES9_SG_JZNS1_25segmented_radix_sort_implINS0_14default_configELb0EPKbPbPKlPlN2at6native12_GLOBAL__N_18offset_tEEE10hipError_tPvRmT1_PNSt15iterator_traitsISY_E10value_typeET2_T3_PNSZ_IS14_E10value_typeET4_jRbjT5_S1A_jjP12ihipStream_tbEUljE_EEESV_SW_SX_S14_S18_S1A_T6_T7_T9_mT8_S1C_bDpT10_ENKUlT_T0_E_clISt17integral_constantIbLb0EES1P_EEDaS1K_S1L_EUlS1K_E_NS1_11comp_targetILNS1_3genE9ELNS1_11target_archE1100ELNS1_3gpuE3ELNS1_3repE0EEENS1_30default_config_static_selectorELNS0_4arch9wavefront6targetE1EEEvSY_.num_agpr, 0
	.set _ZN7rocprim17ROCPRIM_400000_NS6detail17trampoline_kernelINS0_13select_configILj256ELj13ELNS0_17block_load_methodE3ELS4_3ELS4_3ELNS0_20block_scan_algorithmE0ELj4294967295EEENS1_25partition_config_selectorILNS1_17partition_subalgoE3EjNS0_10empty_typeEbEEZZNS1_14partition_implILS8_3ELb0ES6_jNS0_17counting_iteratorIjlEEPS9_SE_NS0_5tupleIJPjSE_EEENSF_IJSE_SE_EEES9_SG_JZNS1_25segmented_radix_sort_implINS0_14default_configELb0EPKbPbPKlPlN2at6native12_GLOBAL__N_18offset_tEEE10hipError_tPvRmT1_PNSt15iterator_traitsISY_E10value_typeET2_T3_PNSZ_IS14_E10value_typeET4_jRbjT5_S1A_jjP12ihipStream_tbEUljE_EEESV_SW_SX_S14_S18_S1A_T6_T7_T9_mT8_S1C_bDpT10_ENKUlT_T0_E_clISt17integral_constantIbLb0EES1P_EEDaS1K_S1L_EUlS1K_E_NS1_11comp_targetILNS1_3genE9ELNS1_11target_archE1100ELNS1_3gpuE3ELNS1_3repE0EEENS1_30default_config_static_selectorELNS0_4arch9wavefront6targetE1EEEvSY_.numbered_sgpr, 0
	.set _ZN7rocprim17ROCPRIM_400000_NS6detail17trampoline_kernelINS0_13select_configILj256ELj13ELNS0_17block_load_methodE3ELS4_3ELS4_3ELNS0_20block_scan_algorithmE0ELj4294967295EEENS1_25partition_config_selectorILNS1_17partition_subalgoE3EjNS0_10empty_typeEbEEZZNS1_14partition_implILS8_3ELb0ES6_jNS0_17counting_iteratorIjlEEPS9_SE_NS0_5tupleIJPjSE_EEENSF_IJSE_SE_EEES9_SG_JZNS1_25segmented_radix_sort_implINS0_14default_configELb0EPKbPbPKlPlN2at6native12_GLOBAL__N_18offset_tEEE10hipError_tPvRmT1_PNSt15iterator_traitsISY_E10value_typeET2_T3_PNSZ_IS14_E10value_typeET4_jRbjT5_S1A_jjP12ihipStream_tbEUljE_EEESV_SW_SX_S14_S18_S1A_T6_T7_T9_mT8_S1C_bDpT10_ENKUlT_T0_E_clISt17integral_constantIbLb0EES1P_EEDaS1K_S1L_EUlS1K_E_NS1_11comp_targetILNS1_3genE9ELNS1_11target_archE1100ELNS1_3gpuE3ELNS1_3repE0EEENS1_30default_config_static_selectorELNS0_4arch9wavefront6targetE1EEEvSY_.num_named_barrier, 0
	.set _ZN7rocprim17ROCPRIM_400000_NS6detail17trampoline_kernelINS0_13select_configILj256ELj13ELNS0_17block_load_methodE3ELS4_3ELS4_3ELNS0_20block_scan_algorithmE0ELj4294967295EEENS1_25partition_config_selectorILNS1_17partition_subalgoE3EjNS0_10empty_typeEbEEZZNS1_14partition_implILS8_3ELb0ES6_jNS0_17counting_iteratorIjlEEPS9_SE_NS0_5tupleIJPjSE_EEENSF_IJSE_SE_EEES9_SG_JZNS1_25segmented_radix_sort_implINS0_14default_configELb0EPKbPbPKlPlN2at6native12_GLOBAL__N_18offset_tEEE10hipError_tPvRmT1_PNSt15iterator_traitsISY_E10value_typeET2_T3_PNSZ_IS14_E10value_typeET4_jRbjT5_S1A_jjP12ihipStream_tbEUljE_EEESV_SW_SX_S14_S18_S1A_T6_T7_T9_mT8_S1C_bDpT10_ENKUlT_T0_E_clISt17integral_constantIbLb0EES1P_EEDaS1K_S1L_EUlS1K_E_NS1_11comp_targetILNS1_3genE9ELNS1_11target_archE1100ELNS1_3gpuE3ELNS1_3repE0EEENS1_30default_config_static_selectorELNS0_4arch9wavefront6targetE1EEEvSY_.private_seg_size, 0
	.set _ZN7rocprim17ROCPRIM_400000_NS6detail17trampoline_kernelINS0_13select_configILj256ELj13ELNS0_17block_load_methodE3ELS4_3ELS4_3ELNS0_20block_scan_algorithmE0ELj4294967295EEENS1_25partition_config_selectorILNS1_17partition_subalgoE3EjNS0_10empty_typeEbEEZZNS1_14partition_implILS8_3ELb0ES6_jNS0_17counting_iteratorIjlEEPS9_SE_NS0_5tupleIJPjSE_EEENSF_IJSE_SE_EEES9_SG_JZNS1_25segmented_radix_sort_implINS0_14default_configELb0EPKbPbPKlPlN2at6native12_GLOBAL__N_18offset_tEEE10hipError_tPvRmT1_PNSt15iterator_traitsISY_E10value_typeET2_T3_PNSZ_IS14_E10value_typeET4_jRbjT5_S1A_jjP12ihipStream_tbEUljE_EEESV_SW_SX_S14_S18_S1A_T6_T7_T9_mT8_S1C_bDpT10_ENKUlT_T0_E_clISt17integral_constantIbLb0EES1P_EEDaS1K_S1L_EUlS1K_E_NS1_11comp_targetILNS1_3genE9ELNS1_11target_archE1100ELNS1_3gpuE3ELNS1_3repE0EEENS1_30default_config_static_selectorELNS0_4arch9wavefront6targetE1EEEvSY_.uses_vcc, 0
	.set _ZN7rocprim17ROCPRIM_400000_NS6detail17trampoline_kernelINS0_13select_configILj256ELj13ELNS0_17block_load_methodE3ELS4_3ELS4_3ELNS0_20block_scan_algorithmE0ELj4294967295EEENS1_25partition_config_selectorILNS1_17partition_subalgoE3EjNS0_10empty_typeEbEEZZNS1_14partition_implILS8_3ELb0ES6_jNS0_17counting_iteratorIjlEEPS9_SE_NS0_5tupleIJPjSE_EEENSF_IJSE_SE_EEES9_SG_JZNS1_25segmented_radix_sort_implINS0_14default_configELb0EPKbPbPKlPlN2at6native12_GLOBAL__N_18offset_tEEE10hipError_tPvRmT1_PNSt15iterator_traitsISY_E10value_typeET2_T3_PNSZ_IS14_E10value_typeET4_jRbjT5_S1A_jjP12ihipStream_tbEUljE_EEESV_SW_SX_S14_S18_S1A_T6_T7_T9_mT8_S1C_bDpT10_ENKUlT_T0_E_clISt17integral_constantIbLb0EES1P_EEDaS1K_S1L_EUlS1K_E_NS1_11comp_targetILNS1_3genE9ELNS1_11target_archE1100ELNS1_3gpuE3ELNS1_3repE0EEENS1_30default_config_static_selectorELNS0_4arch9wavefront6targetE1EEEvSY_.uses_flat_scratch, 0
	.set _ZN7rocprim17ROCPRIM_400000_NS6detail17trampoline_kernelINS0_13select_configILj256ELj13ELNS0_17block_load_methodE3ELS4_3ELS4_3ELNS0_20block_scan_algorithmE0ELj4294967295EEENS1_25partition_config_selectorILNS1_17partition_subalgoE3EjNS0_10empty_typeEbEEZZNS1_14partition_implILS8_3ELb0ES6_jNS0_17counting_iteratorIjlEEPS9_SE_NS0_5tupleIJPjSE_EEENSF_IJSE_SE_EEES9_SG_JZNS1_25segmented_radix_sort_implINS0_14default_configELb0EPKbPbPKlPlN2at6native12_GLOBAL__N_18offset_tEEE10hipError_tPvRmT1_PNSt15iterator_traitsISY_E10value_typeET2_T3_PNSZ_IS14_E10value_typeET4_jRbjT5_S1A_jjP12ihipStream_tbEUljE_EEESV_SW_SX_S14_S18_S1A_T6_T7_T9_mT8_S1C_bDpT10_ENKUlT_T0_E_clISt17integral_constantIbLb0EES1P_EEDaS1K_S1L_EUlS1K_E_NS1_11comp_targetILNS1_3genE9ELNS1_11target_archE1100ELNS1_3gpuE3ELNS1_3repE0EEENS1_30default_config_static_selectorELNS0_4arch9wavefront6targetE1EEEvSY_.has_dyn_sized_stack, 0
	.set _ZN7rocprim17ROCPRIM_400000_NS6detail17trampoline_kernelINS0_13select_configILj256ELj13ELNS0_17block_load_methodE3ELS4_3ELS4_3ELNS0_20block_scan_algorithmE0ELj4294967295EEENS1_25partition_config_selectorILNS1_17partition_subalgoE3EjNS0_10empty_typeEbEEZZNS1_14partition_implILS8_3ELb0ES6_jNS0_17counting_iteratorIjlEEPS9_SE_NS0_5tupleIJPjSE_EEENSF_IJSE_SE_EEES9_SG_JZNS1_25segmented_radix_sort_implINS0_14default_configELb0EPKbPbPKlPlN2at6native12_GLOBAL__N_18offset_tEEE10hipError_tPvRmT1_PNSt15iterator_traitsISY_E10value_typeET2_T3_PNSZ_IS14_E10value_typeET4_jRbjT5_S1A_jjP12ihipStream_tbEUljE_EEESV_SW_SX_S14_S18_S1A_T6_T7_T9_mT8_S1C_bDpT10_ENKUlT_T0_E_clISt17integral_constantIbLb0EES1P_EEDaS1K_S1L_EUlS1K_E_NS1_11comp_targetILNS1_3genE9ELNS1_11target_archE1100ELNS1_3gpuE3ELNS1_3repE0EEENS1_30default_config_static_selectorELNS0_4arch9wavefront6targetE1EEEvSY_.has_recursion, 0
	.set _ZN7rocprim17ROCPRIM_400000_NS6detail17trampoline_kernelINS0_13select_configILj256ELj13ELNS0_17block_load_methodE3ELS4_3ELS4_3ELNS0_20block_scan_algorithmE0ELj4294967295EEENS1_25partition_config_selectorILNS1_17partition_subalgoE3EjNS0_10empty_typeEbEEZZNS1_14partition_implILS8_3ELb0ES6_jNS0_17counting_iteratorIjlEEPS9_SE_NS0_5tupleIJPjSE_EEENSF_IJSE_SE_EEES9_SG_JZNS1_25segmented_radix_sort_implINS0_14default_configELb0EPKbPbPKlPlN2at6native12_GLOBAL__N_18offset_tEEE10hipError_tPvRmT1_PNSt15iterator_traitsISY_E10value_typeET2_T3_PNSZ_IS14_E10value_typeET4_jRbjT5_S1A_jjP12ihipStream_tbEUljE_EEESV_SW_SX_S14_S18_S1A_T6_T7_T9_mT8_S1C_bDpT10_ENKUlT_T0_E_clISt17integral_constantIbLb0EES1P_EEDaS1K_S1L_EUlS1K_E_NS1_11comp_targetILNS1_3genE9ELNS1_11target_archE1100ELNS1_3gpuE3ELNS1_3repE0EEENS1_30default_config_static_selectorELNS0_4arch9wavefront6targetE1EEEvSY_.has_indirect_call, 0
	.section	.AMDGPU.csdata,"",@progbits
; Kernel info:
; codeLenInByte = 0
; TotalNumSgprs: 4
; NumVgprs: 0
; ScratchSize: 0
; MemoryBound: 0
; FloatMode: 240
; IeeeMode: 1
; LDSByteSize: 0 bytes/workgroup (compile time only)
; SGPRBlocks: 0
; VGPRBlocks: 0
; NumSGPRsForWavesPerEU: 4
; NumVGPRsForWavesPerEU: 1
; Occupancy: 10
; WaveLimiterHint : 0
; COMPUTE_PGM_RSRC2:SCRATCH_EN: 0
; COMPUTE_PGM_RSRC2:USER_SGPR: 6
; COMPUTE_PGM_RSRC2:TRAP_HANDLER: 0
; COMPUTE_PGM_RSRC2:TGID_X_EN: 1
; COMPUTE_PGM_RSRC2:TGID_Y_EN: 0
; COMPUTE_PGM_RSRC2:TGID_Z_EN: 0
; COMPUTE_PGM_RSRC2:TIDIG_COMP_CNT: 0
	.section	.text._ZN7rocprim17ROCPRIM_400000_NS6detail17trampoline_kernelINS0_13select_configILj256ELj13ELNS0_17block_load_methodE3ELS4_3ELS4_3ELNS0_20block_scan_algorithmE0ELj4294967295EEENS1_25partition_config_selectorILNS1_17partition_subalgoE3EjNS0_10empty_typeEbEEZZNS1_14partition_implILS8_3ELb0ES6_jNS0_17counting_iteratorIjlEEPS9_SE_NS0_5tupleIJPjSE_EEENSF_IJSE_SE_EEES9_SG_JZNS1_25segmented_radix_sort_implINS0_14default_configELb0EPKbPbPKlPlN2at6native12_GLOBAL__N_18offset_tEEE10hipError_tPvRmT1_PNSt15iterator_traitsISY_E10value_typeET2_T3_PNSZ_IS14_E10value_typeET4_jRbjT5_S1A_jjP12ihipStream_tbEUljE_EEESV_SW_SX_S14_S18_S1A_T6_T7_T9_mT8_S1C_bDpT10_ENKUlT_T0_E_clISt17integral_constantIbLb0EES1P_EEDaS1K_S1L_EUlS1K_E_NS1_11comp_targetILNS1_3genE8ELNS1_11target_archE1030ELNS1_3gpuE2ELNS1_3repE0EEENS1_30default_config_static_selectorELNS0_4arch9wavefront6targetE1EEEvSY_,"axG",@progbits,_ZN7rocprim17ROCPRIM_400000_NS6detail17trampoline_kernelINS0_13select_configILj256ELj13ELNS0_17block_load_methodE3ELS4_3ELS4_3ELNS0_20block_scan_algorithmE0ELj4294967295EEENS1_25partition_config_selectorILNS1_17partition_subalgoE3EjNS0_10empty_typeEbEEZZNS1_14partition_implILS8_3ELb0ES6_jNS0_17counting_iteratorIjlEEPS9_SE_NS0_5tupleIJPjSE_EEENSF_IJSE_SE_EEES9_SG_JZNS1_25segmented_radix_sort_implINS0_14default_configELb0EPKbPbPKlPlN2at6native12_GLOBAL__N_18offset_tEEE10hipError_tPvRmT1_PNSt15iterator_traitsISY_E10value_typeET2_T3_PNSZ_IS14_E10value_typeET4_jRbjT5_S1A_jjP12ihipStream_tbEUljE_EEESV_SW_SX_S14_S18_S1A_T6_T7_T9_mT8_S1C_bDpT10_ENKUlT_T0_E_clISt17integral_constantIbLb0EES1P_EEDaS1K_S1L_EUlS1K_E_NS1_11comp_targetILNS1_3genE8ELNS1_11target_archE1030ELNS1_3gpuE2ELNS1_3repE0EEENS1_30default_config_static_selectorELNS0_4arch9wavefront6targetE1EEEvSY_,comdat
	.globl	_ZN7rocprim17ROCPRIM_400000_NS6detail17trampoline_kernelINS0_13select_configILj256ELj13ELNS0_17block_load_methodE3ELS4_3ELS4_3ELNS0_20block_scan_algorithmE0ELj4294967295EEENS1_25partition_config_selectorILNS1_17partition_subalgoE3EjNS0_10empty_typeEbEEZZNS1_14partition_implILS8_3ELb0ES6_jNS0_17counting_iteratorIjlEEPS9_SE_NS0_5tupleIJPjSE_EEENSF_IJSE_SE_EEES9_SG_JZNS1_25segmented_radix_sort_implINS0_14default_configELb0EPKbPbPKlPlN2at6native12_GLOBAL__N_18offset_tEEE10hipError_tPvRmT1_PNSt15iterator_traitsISY_E10value_typeET2_T3_PNSZ_IS14_E10value_typeET4_jRbjT5_S1A_jjP12ihipStream_tbEUljE_EEESV_SW_SX_S14_S18_S1A_T6_T7_T9_mT8_S1C_bDpT10_ENKUlT_T0_E_clISt17integral_constantIbLb0EES1P_EEDaS1K_S1L_EUlS1K_E_NS1_11comp_targetILNS1_3genE8ELNS1_11target_archE1030ELNS1_3gpuE2ELNS1_3repE0EEENS1_30default_config_static_selectorELNS0_4arch9wavefront6targetE1EEEvSY_ ; -- Begin function _ZN7rocprim17ROCPRIM_400000_NS6detail17trampoline_kernelINS0_13select_configILj256ELj13ELNS0_17block_load_methodE3ELS4_3ELS4_3ELNS0_20block_scan_algorithmE0ELj4294967295EEENS1_25partition_config_selectorILNS1_17partition_subalgoE3EjNS0_10empty_typeEbEEZZNS1_14partition_implILS8_3ELb0ES6_jNS0_17counting_iteratorIjlEEPS9_SE_NS0_5tupleIJPjSE_EEENSF_IJSE_SE_EEES9_SG_JZNS1_25segmented_radix_sort_implINS0_14default_configELb0EPKbPbPKlPlN2at6native12_GLOBAL__N_18offset_tEEE10hipError_tPvRmT1_PNSt15iterator_traitsISY_E10value_typeET2_T3_PNSZ_IS14_E10value_typeET4_jRbjT5_S1A_jjP12ihipStream_tbEUljE_EEESV_SW_SX_S14_S18_S1A_T6_T7_T9_mT8_S1C_bDpT10_ENKUlT_T0_E_clISt17integral_constantIbLb0EES1P_EEDaS1K_S1L_EUlS1K_E_NS1_11comp_targetILNS1_3genE8ELNS1_11target_archE1030ELNS1_3gpuE2ELNS1_3repE0EEENS1_30default_config_static_selectorELNS0_4arch9wavefront6targetE1EEEvSY_
	.p2align	8
	.type	_ZN7rocprim17ROCPRIM_400000_NS6detail17trampoline_kernelINS0_13select_configILj256ELj13ELNS0_17block_load_methodE3ELS4_3ELS4_3ELNS0_20block_scan_algorithmE0ELj4294967295EEENS1_25partition_config_selectorILNS1_17partition_subalgoE3EjNS0_10empty_typeEbEEZZNS1_14partition_implILS8_3ELb0ES6_jNS0_17counting_iteratorIjlEEPS9_SE_NS0_5tupleIJPjSE_EEENSF_IJSE_SE_EEES9_SG_JZNS1_25segmented_radix_sort_implINS0_14default_configELb0EPKbPbPKlPlN2at6native12_GLOBAL__N_18offset_tEEE10hipError_tPvRmT1_PNSt15iterator_traitsISY_E10value_typeET2_T3_PNSZ_IS14_E10value_typeET4_jRbjT5_S1A_jjP12ihipStream_tbEUljE_EEESV_SW_SX_S14_S18_S1A_T6_T7_T9_mT8_S1C_bDpT10_ENKUlT_T0_E_clISt17integral_constantIbLb0EES1P_EEDaS1K_S1L_EUlS1K_E_NS1_11comp_targetILNS1_3genE8ELNS1_11target_archE1030ELNS1_3gpuE2ELNS1_3repE0EEENS1_30default_config_static_selectorELNS0_4arch9wavefront6targetE1EEEvSY_,@function
_ZN7rocprim17ROCPRIM_400000_NS6detail17trampoline_kernelINS0_13select_configILj256ELj13ELNS0_17block_load_methodE3ELS4_3ELS4_3ELNS0_20block_scan_algorithmE0ELj4294967295EEENS1_25partition_config_selectorILNS1_17partition_subalgoE3EjNS0_10empty_typeEbEEZZNS1_14partition_implILS8_3ELb0ES6_jNS0_17counting_iteratorIjlEEPS9_SE_NS0_5tupleIJPjSE_EEENSF_IJSE_SE_EEES9_SG_JZNS1_25segmented_radix_sort_implINS0_14default_configELb0EPKbPbPKlPlN2at6native12_GLOBAL__N_18offset_tEEE10hipError_tPvRmT1_PNSt15iterator_traitsISY_E10value_typeET2_T3_PNSZ_IS14_E10value_typeET4_jRbjT5_S1A_jjP12ihipStream_tbEUljE_EEESV_SW_SX_S14_S18_S1A_T6_T7_T9_mT8_S1C_bDpT10_ENKUlT_T0_E_clISt17integral_constantIbLb0EES1P_EEDaS1K_S1L_EUlS1K_E_NS1_11comp_targetILNS1_3genE8ELNS1_11target_archE1030ELNS1_3gpuE2ELNS1_3repE0EEENS1_30default_config_static_selectorELNS0_4arch9wavefront6targetE1EEEvSY_: ; @_ZN7rocprim17ROCPRIM_400000_NS6detail17trampoline_kernelINS0_13select_configILj256ELj13ELNS0_17block_load_methodE3ELS4_3ELS4_3ELNS0_20block_scan_algorithmE0ELj4294967295EEENS1_25partition_config_selectorILNS1_17partition_subalgoE3EjNS0_10empty_typeEbEEZZNS1_14partition_implILS8_3ELb0ES6_jNS0_17counting_iteratorIjlEEPS9_SE_NS0_5tupleIJPjSE_EEENSF_IJSE_SE_EEES9_SG_JZNS1_25segmented_radix_sort_implINS0_14default_configELb0EPKbPbPKlPlN2at6native12_GLOBAL__N_18offset_tEEE10hipError_tPvRmT1_PNSt15iterator_traitsISY_E10value_typeET2_T3_PNSZ_IS14_E10value_typeET4_jRbjT5_S1A_jjP12ihipStream_tbEUljE_EEESV_SW_SX_S14_S18_S1A_T6_T7_T9_mT8_S1C_bDpT10_ENKUlT_T0_E_clISt17integral_constantIbLb0EES1P_EEDaS1K_S1L_EUlS1K_E_NS1_11comp_targetILNS1_3genE8ELNS1_11target_archE1030ELNS1_3gpuE2ELNS1_3repE0EEENS1_30default_config_static_selectorELNS0_4arch9wavefront6targetE1EEEvSY_
; %bb.0:
	.section	.rodata,"a",@progbits
	.p2align	6, 0x0
	.amdhsa_kernel _ZN7rocprim17ROCPRIM_400000_NS6detail17trampoline_kernelINS0_13select_configILj256ELj13ELNS0_17block_load_methodE3ELS4_3ELS4_3ELNS0_20block_scan_algorithmE0ELj4294967295EEENS1_25partition_config_selectorILNS1_17partition_subalgoE3EjNS0_10empty_typeEbEEZZNS1_14partition_implILS8_3ELb0ES6_jNS0_17counting_iteratorIjlEEPS9_SE_NS0_5tupleIJPjSE_EEENSF_IJSE_SE_EEES9_SG_JZNS1_25segmented_radix_sort_implINS0_14default_configELb0EPKbPbPKlPlN2at6native12_GLOBAL__N_18offset_tEEE10hipError_tPvRmT1_PNSt15iterator_traitsISY_E10value_typeET2_T3_PNSZ_IS14_E10value_typeET4_jRbjT5_S1A_jjP12ihipStream_tbEUljE_EEESV_SW_SX_S14_S18_S1A_T6_T7_T9_mT8_S1C_bDpT10_ENKUlT_T0_E_clISt17integral_constantIbLb0EES1P_EEDaS1K_S1L_EUlS1K_E_NS1_11comp_targetILNS1_3genE8ELNS1_11target_archE1030ELNS1_3gpuE2ELNS1_3repE0EEENS1_30default_config_static_selectorELNS0_4arch9wavefront6targetE1EEEvSY_
		.amdhsa_group_segment_fixed_size 0
		.amdhsa_private_segment_fixed_size 0
		.amdhsa_kernarg_size 144
		.amdhsa_user_sgpr_count 6
		.amdhsa_user_sgpr_private_segment_buffer 1
		.amdhsa_user_sgpr_dispatch_ptr 0
		.amdhsa_user_sgpr_queue_ptr 0
		.amdhsa_user_sgpr_kernarg_segment_ptr 1
		.amdhsa_user_sgpr_dispatch_id 0
		.amdhsa_user_sgpr_flat_scratch_init 0
		.amdhsa_user_sgpr_private_segment_size 0
		.amdhsa_uses_dynamic_stack 0
		.amdhsa_system_sgpr_private_segment_wavefront_offset 0
		.amdhsa_system_sgpr_workgroup_id_x 1
		.amdhsa_system_sgpr_workgroup_id_y 0
		.amdhsa_system_sgpr_workgroup_id_z 0
		.amdhsa_system_sgpr_workgroup_info 0
		.amdhsa_system_vgpr_workitem_id 0
		.amdhsa_next_free_vgpr 1
		.amdhsa_next_free_sgpr 0
		.amdhsa_reserve_vcc 0
		.amdhsa_reserve_flat_scratch 0
		.amdhsa_float_round_mode_32 0
		.amdhsa_float_round_mode_16_64 0
		.amdhsa_float_denorm_mode_32 3
		.amdhsa_float_denorm_mode_16_64 3
		.amdhsa_dx10_clamp 1
		.amdhsa_ieee_mode 1
		.amdhsa_fp16_overflow 0
		.amdhsa_exception_fp_ieee_invalid_op 0
		.amdhsa_exception_fp_denorm_src 0
		.amdhsa_exception_fp_ieee_div_zero 0
		.amdhsa_exception_fp_ieee_overflow 0
		.amdhsa_exception_fp_ieee_underflow 0
		.amdhsa_exception_fp_ieee_inexact 0
		.amdhsa_exception_int_div_zero 0
	.end_amdhsa_kernel
	.section	.text._ZN7rocprim17ROCPRIM_400000_NS6detail17trampoline_kernelINS0_13select_configILj256ELj13ELNS0_17block_load_methodE3ELS4_3ELS4_3ELNS0_20block_scan_algorithmE0ELj4294967295EEENS1_25partition_config_selectorILNS1_17partition_subalgoE3EjNS0_10empty_typeEbEEZZNS1_14partition_implILS8_3ELb0ES6_jNS0_17counting_iteratorIjlEEPS9_SE_NS0_5tupleIJPjSE_EEENSF_IJSE_SE_EEES9_SG_JZNS1_25segmented_radix_sort_implINS0_14default_configELb0EPKbPbPKlPlN2at6native12_GLOBAL__N_18offset_tEEE10hipError_tPvRmT1_PNSt15iterator_traitsISY_E10value_typeET2_T3_PNSZ_IS14_E10value_typeET4_jRbjT5_S1A_jjP12ihipStream_tbEUljE_EEESV_SW_SX_S14_S18_S1A_T6_T7_T9_mT8_S1C_bDpT10_ENKUlT_T0_E_clISt17integral_constantIbLb0EES1P_EEDaS1K_S1L_EUlS1K_E_NS1_11comp_targetILNS1_3genE8ELNS1_11target_archE1030ELNS1_3gpuE2ELNS1_3repE0EEENS1_30default_config_static_selectorELNS0_4arch9wavefront6targetE1EEEvSY_,"axG",@progbits,_ZN7rocprim17ROCPRIM_400000_NS6detail17trampoline_kernelINS0_13select_configILj256ELj13ELNS0_17block_load_methodE3ELS4_3ELS4_3ELNS0_20block_scan_algorithmE0ELj4294967295EEENS1_25partition_config_selectorILNS1_17partition_subalgoE3EjNS0_10empty_typeEbEEZZNS1_14partition_implILS8_3ELb0ES6_jNS0_17counting_iteratorIjlEEPS9_SE_NS0_5tupleIJPjSE_EEENSF_IJSE_SE_EEES9_SG_JZNS1_25segmented_radix_sort_implINS0_14default_configELb0EPKbPbPKlPlN2at6native12_GLOBAL__N_18offset_tEEE10hipError_tPvRmT1_PNSt15iterator_traitsISY_E10value_typeET2_T3_PNSZ_IS14_E10value_typeET4_jRbjT5_S1A_jjP12ihipStream_tbEUljE_EEESV_SW_SX_S14_S18_S1A_T6_T7_T9_mT8_S1C_bDpT10_ENKUlT_T0_E_clISt17integral_constantIbLb0EES1P_EEDaS1K_S1L_EUlS1K_E_NS1_11comp_targetILNS1_3genE8ELNS1_11target_archE1030ELNS1_3gpuE2ELNS1_3repE0EEENS1_30default_config_static_selectorELNS0_4arch9wavefront6targetE1EEEvSY_,comdat
.Lfunc_end1610:
	.size	_ZN7rocprim17ROCPRIM_400000_NS6detail17trampoline_kernelINS0_13select_configILj256ELj13ELNS0_17block_load_methodE3ELS4_3ELS4_3ELNS0_20block_scan_algorithmE0ELj4294967295EEENS1_25partition_config_selectorILNS1_17partition_subalgoE3EjNS0_10empty_typeEbEEZZNS1_14partition_implILS8_3ELb0ES6_jNS0_17counting_iteratorIjlEEPS9_SE_NS0_5tupleIJPjSE_EEENSF_IJSE_SE_EEES9_SG_JZNS1_25segmented_radix_sort_implINS0_14default_configELb0EPKbPbPKlPlN2at6native12_GLOBAL__N_18offset_tEEE10hipError_tPvRmT1_PNSt15iterator_traitsISY_E10value_typeET2_T3_PNSZ_IS14_E10value_typeET4_jRbjT5_S1A_jjP12ihipStream_tbEUljE_EEESV_SW_SX_S14_S18_S1A_T6_T7_T9_mT8_S1C_bDpT10_ENKUlT_T0_E_clISt17integral_constantIbLb0EES1P_EEDaS1K_S1L_EUlS1K_E_NS1_11comp_targetILNS1_3genE8ELNS1_11target_archE1030ELNS1_3gpuE2ELNS1_3repE0EEENS1_30default_config_static_selectorELNS0_4arch9wavefront6targetE1EEEvSY_, .Lfunc_end1610-_ZN7rocprim17ROCPRIM_400000_NS6detail17trampoline_kernelINS0_13select_configILj256ELj13ELNS0_17block_load_methodE3ELS4_3ELS4_3ELNS0_20block_scan_algorithmE0ELj4294967295EEENS1_25partition_config_selectorILNS1_17partition_subalgoE3EjNS0_10empty_typeEbEEZZNS1_14partition_implILS8_3ELb0ES6_jNS0_17counting_iteratorIjlEEPS9_SE_NS0_5tupleIJPjSE_EEENSF_IJSE_SE_EEES9_SG_JZNS1_25segmented_radix_sort_implINS0_14default_configELb0EPKbPbPKlPlN2at6native12_GLOBAL__N_18offset_tEEE10hipError_tPvRmT1_PNSt15iterator_traitsISY_E10value_typeET2_T3_PNSZ_IS14_E10value_typeET4_jRbjT5_S1A_jjP12ihipStream_tbEUljE_EEESV_SW_SX_S14_S18_S1A_T6_T7_T9_mT8_S1C_bDpT10_ENKUlT_T0_E_clISt17integral_constantIbLb0EES1P_EEDaS1K_S1L_EUlS1K_E_NS1_11comp_targetILNS1_3genE8ELNS1_11target_archE1030ELNS1_3gpuE2ELNS1_3repE0EEENS1_30default_config_static_selectorELNS0_4arch9wavefront6targetE1EEEvSY_
                                        ; -- End function
	.set _ZN7rocprim17ROCPRIM_400000_NS6detail17trampoline_kernelINS0_13select_configILj256ELj13ELNS0_17block_load_methodE3ELS4_3ELS4_3ELNS0_20block_scan_algorithmE0ELj4294967295EEENS1_25partition_config_selectorILNS1_17partition_subalgoE3EjNS0_10empty_typeEbEEZZNS1_14partition_implILS8_3ELb0ES6_jNS0_17counting_iteratorIjlEEPS9_SE_NS0_5tupleIJPjSE_EEENSF_IJSE_SE_EEES9_SG_JZNS1_25segmented_radix_sort_implINS0_14default_configELb0EPKbPbPKlPlN2at6native12_GLOBAL__N_18offset_tEEE10hipError_tPvRmT1_PNSt15iterator_traitsISY_E10value_typeET2_T3_PNSZ_IS14_E10value_typeET4_jRbjT5_S1A_jjP12ihipStream_tbEUljE_EEESV_SW_SX_S14_S18_S1A_T6_T7_T9_mT8_S1C_bDpT10_ENKUlT_T0_E_clISt17integral_constantIbLb0EES1P_EEDaS1K_S1L_EUlS1K_E_NS1_11comp_targetILNS1_3genE8ELNS1_11target_archE1030ELNS1_3gpuE2ELNS1_3repE0EEENS1_30default_config_static_selectorELNS0_4arch9wavefront6targetE1EEEvSY_.num_vgpr, 0
	.set _ZN7rocprim17ROCPRIM_400000_NS6detail17trampoline_kernelINS0_13select_configILj256ELj13ELNS0_17block_load_methodE3ELS4_3ELS4_3ELNS0_20block_scan_algorithmE0ELj4294967295EEENS1_25partition_config_selectorILNS1_17partition_subalgoE3EjNS0_10empty_typeEbEEZZNS1_14partition_implILS8_3ELb0ES6_jNS0_17counting_iteratorIjlEEPS9_SE_NS0_5tupleIJPjSE_EEENSF_IJSE_SE_EEES9_SG_JZNS1_25segmented_radix_sort_implINS0_14default_configELb0EPKbPbPKlPlN2at6native12_GLOBAL__N_18offset_tEEE10hipError_tPvRmT1_PNSt15iterator_traitsISY_E10value_typeET2_T3_PNSZ_IS14_E10value_typeET4_jRbjT5_S1A_jjP12ihipStream_tbEUljE_EEESV_SW_SX_S14_S18_S1A_T6_T7_T9_mT8_S1C_bDpT10_ENKUlT_T0_E_clISt17integral_constantIbLb0EES1P_EEDaS1K_S1L_EUlS1K_E_NS1_11comp_targetILNS1_3genE8ELNS1_11target_archE1030ELNS1_3gpuE2ELNS1_3repE0EEENS1_30default_config_static_selectorELNS0_4arch9wavefront6targetE1EEEvSY_.num_agpr, 0
	.set _ZN7rocprim17ROCPRIM_400000_NS6detail17trampoline_kernelINS0_13select_configILj256ELj13ELNS0_17block_load_methodE3ELS4_3ELS4_3ELNS0_20block_scan_algorithmE0ELj4294967295EEENS1_25partition_config_selectorILNS1_17partition_subalgoE3EjNS0_10empty_typeEbEEZZNS1_14partition_implILS8_3ELb0ES6_jNS0_17counting_iteratorIjlEEPS9_SE_NS0_5tupleIJPjSE_EEENSF_IJSE_SE_EEES9_SG_JZNS1_25segmented_radix_sort_implINS0_14default_configELb0EPKbPbPKlPlN2at6native12_GLOBAL__N_18offset_tEEE10hipError_tPvRmT1_PNSt15iterator_traitsISY_E10value_typeET2_T3_PNSZ_IS14_E10value_typeET4_jRbjT5_S1A_jjP12ihipStream_tbEUljE_EEESV_SW_SX_S14_S18_S1A_T6_T7_T9_mT8_S1C_bDpT10_ENKUlT_T0_E_clISt17integral_constantIbLb0EES1P_EEDaS1K_S1L_EUlS1K_E_NS1_11comp_targetILNS1_3genE8ELNS1_11target_archE1030ELNS1_3gpuE2ELNS1_3repE0EEENS1_30default_config_static_selectorELNS0_4arch9wavefront6targetE1EEEvSY_.numbered_sgpr, 0
	.set _ZN7rocprim17ROCPRIM_400000_NS6detail17trampoline_kernelINS0_13select_configILj256ELj13ELNS0_17block_load_methodE3ELS4_3ELS4_3ELNS0_20block_scan_algorithmE0ELj4294967295EEENS1_25partition_config_selectorILNS1_17partition_subalgoE3EjNS0_10empty_typeEbEEZZNS1_14partition_implILS8_3ELb0ES6_jNS0_17counting_iteratorIjlEEPS9_SE_NS0_5tupleIJPjSE_EEENSF_IJSE_SE_EEES9_SG_JZNS1_25segmented_radix_sort_implINS0_14default_configELb0EPKbPbPKlPlN2at6native12_GLOBAL__N_18offset_tEEE10hipError_tPvRmT1_PNSt15iterator_traitsISY_E10value_typeET2_T3_PNSZ_IS14_E10value_typeET4_jRbjT5_S1A_jjP12ihipStream_tbEUljE_EEESV_SW_SX_S14_S18_S1A_T6_T7_T9_mT8_S1C_bDpT10_ENKUlT_T0_E_clISt17integral_constantIbLb0EES1P_EEDaS1K_S1L_EUlS1K_E_NS1_11comp_targetILNS1_3genE8ELNS1_11target_archE1030ELNS1_3gpuE2ELNS1_3repE0EEENS1_30default_config_static_selectorELNS0_4arch9wavefront6targetE1EEEvSY_.num_named_barrier, 0
	.set _ZN7rocprim17ROCPRIM_400000_NS6detail17trampoline_kernelINS0_13select_configILj256ELj13ELNS0_17block_load_methodE3ELS4_3ELS4_3ELNS0_20block_scan_algorithmE0ELj4294967295EEENS1_25partition_config_selectorILNS1_17partition_subalgoE3EjNS0_10empty_typeEbEEZZNS1_14partition_implILS8_3ELb0ES6_jNS0_17counting_iteratorIjlEEPS9_SE_NS0_5tupleIJPjSE_EEENSF_IJSE_SE_EEES9_SG_JZNS1_25segmented_radix_sort_implINS0_14default_configELb0EPKbPbPKlPlN2at6native12_GLOBAL__N_18offset_tEEE10hipError_tPvRmT1_PNSt15iterator_traitsISY_E10value_typeET2_T3_PNSZ_IS14_E10value_typeET4_jRbjT5_S1A_jjP12ihipStream_tbEUljE_EEESV_SW_SX_S14_S18_S1A_T6_T7_T9_mT8_S1C_bDpT10_ENKUlT_T0_E_clISt17integral_constantIbLb0EES1P_EEDaS1K_S1L_EUlS1K_E_NS1_11comp_targetILNS1_3genE8ELNS1_11target_archE1030ELNS1_3gpuE2ELNS1_3repE0EEENS1_30default_config_static_selectorELNS0_4arch9wavefront6targetE1EEEvSY_.private_seg_size, 0
	.set _ZN7rocprim17ROCPRIM_400000_NS6detail17trampoline_kernelINS0_13select_configILj256ELj13ELNS0_17block_load_methodE3ELS4_3ELS4_3ELNS0_20block_scan_algorithmE0ELj4294967295EEENS1_25partition_config_selectorILNS1_17partition_subalgoE3EjNS0_10empty_typeEbEEZZNS1_14partition_implILS8_3ELb0ES6_jNS0_17counting_iteratorIjlEEPS9_SE_NS0_5tupleIJPjSE_EEENSF_IJSE_SE_EEES9_SG_JZNS1_25segmented_radix_sort_implINS0_14default_configELb0EPKbPbPKlPlN2at6native12_GLOBAL__N_18offset_tEEE10hipError_tPvRmT1_PNSt15iterator_traitsISY_E10value_typeET2_T3_PNSZ_IS14_E10value_typeET4_jRbjT5_S1A_jjP12ihipStream_tbEUljE_EEESV_SW_SX_S14_S18_S1A_T6_T7_T9_mT8_S1C_bDpT10_ENKUlT_T0_E_clISt17integral_constantIbLb0EES1P_EEDaS1K_S1L_EUlS1K_E_NS1_11comp_targetILNS1_3genE8ELNS1_11target_archE1030ELNS1_3gpuE2ELNS1_3repE0EEENS1_30default_config_static_selectorELNS0_4arch9wavefront6targetE1EEEvSY_.uses_vcc, 0
	.set _ZN7rocprim17ROCPRIM_400000_NS6detail17trampoline_kernelINS0_13select_configILj256ELj13ELNS0_17block_load_methodE3ELS4_3ELS4_3ELNS0_20block_scan_algorithmE0ELj4294967295EEENS1_25partition_config_selectorILNS1_17partition_subalgoE3EjNS0_10empty_typeEbEEZZNS1_14partition_implILS8_3ELb0ES6_jNS0_17counting_iteratorIjlEEPS9_SE_NS0_5tupleIJPjSE_EEENSF_IJSE_SE_EEES9_SG_JZNS1_25segmented_radix_sort_implINS0_14default_configELb0EPKbPbPKlPlN2at6native12_GLOBAL__N_18offset_tEEE10hipError_tPvRmT1_PNSt15iterator_traitsISY_E10value_typeET2_T3_PNSZ_IS14_E10value_typeET4_jRbjT5_S1A_jjP12ihipStream_tbEUljE_EEESV_SW_SX_S14_S18_S1A_T6_T7_T9_mT8_S1C_bDpT10_ENKUlT_T0_E_clISt17integral_constantIbLb0EES1P_EEDaS1K_S1L_EUlS1K_E_NS1_11comp_targetILNS1_3genE8ELNS1_11target_archE1030ELNS1_3gpuE2ELNS1_3repE0EEENS1_30default_config_static_selectorELNS0_4arch9wavefront6targetE1EEEvSY_.uses_flat_scratch, 0
	.set _ZN7rocprim17ROCPRIM_400000_NS6detail17trampoline_kernelINS0_13select_configILj256ELj13ELNS0_17block_load_methodE3ELS4_3ELS4_3ELNS0_20block_scan_algorithmE0ELj4294967295EEENS1_25partition_config_selectorILNS1_17partition_subalgoE3EjNS0_10empty_typeEbEEZZNS1_14partition_implILS8_3ELb0ES6_jNS0_17counting_iteratorIjlEEPS9_SE_NS0_5tupleIJPjSE_EEENSF_IJSE_SE_EEES9_SG_JZNS1_25segmented_radix_sort_implINS0_14default_configELb0EPKbPbPKlPlN2at6native12_GLOBAL__N_18offset_tEEE10hipError_tPvRmT1_PNSt15iterator_traitsISY_E10value_typeET2_T3_PNSZ_IS14_E10value_typeET4_jRbjT5_S1A_jjP12ihipStream_tbEUljE_EEESV_SW_SX_S14_S18_S1A_T6_T7_T9_mT8_S1C_bDpT10_ENKUlT_T0_E_clISt17integral_constantIbLb0EES1P_EEDaS1K_S1L_EUlS1K_E_NS1_11comp_targetILNS1_3genE8ELNS1_11target_archE1030ELNS1_3gpuE2ELNS1_3repE0EEENS1_30default_config_static_selectorELNS0_4arch9wavefront6targetE1EEEvSY_.has_dyn_sized_stack, 0
	.set _ZN7rocprim17ROCPRIM_400000_NS6detail17trampoline_kernelINS0_13select_configILj256ELj13ELNS0_17block_load_methodE3ELS4_3ELS4_3ELNS0_20block_scan_algorithmE0ELj4294967295EEENS1_25partition_config_selectorILNS1_17partition_subalgoE3EjNS0_10empty_typeEbEEZZNS1_14partition_implILS8_3ELb0ES6_jNS0_17counting_iteratorIjlEEPS9_SE_NS0_5tupleIJPjSE_EEENSF_IJSE_SE_EEES9_SG_JZNS1_25segmented_radix_sort_implINS0_14default_configELb0EPKbPbPKlPlN2at6native12_GLOBAL__N_18offset_tEEE10hipError_tPvRmT1_PNSt15iterator_traitsISY_E10value_typeET2_T3_PNSZ_IS14_E10value_typeET4_jRbjT5_S1A_jjP12ihipStream_tbEUljE_EEESV_SW_SX_S14_S18_S1A_T6_T7_T9_mT8_S1C_bDpT10_ENKUlT_T0_E_clISt17integral_constantIbLb0EES1P_EEDaS1K_S1L_EUlS1K_E_NS1_11comp_targetILNS1_3genE8ELNS1_11target_archE1030ELNS1_3gpuE2ELNS1_3repE0EEENS1_30default_config_static_selectorELNS0_4arch9wavefront6targetE1EEEvSY_.has_recursion, 0
	.set _ZN7rocprim17ROCPRIM_400000_NS6detail17trampoline_kernelINS0_13select_configILj256ELj13ELNS0_17block_load_methodE3ELS4_3ELS4_3ELNS0_20block_scan_algorithmE0ELj4294967295EEENS1_25partition_config_selectorILNS1_17partition_subalgoE3EjNS0_10empty_typeEbEEZZNS1_14partition_implILS8_3ELb0ES6_jNS0_17counting_iteratorIjlEEPS9_SE_NS0_5tupleIJPjSE_EEENSF_IJSE_SE_EEES9_SG_JZNS1_25segmented_radix_sort_implINS0_14default_configELb0EPKbPbPKlPlN2at6native12_GLOBAL__N_18offset_tEEE10hipError_tPvRmT1_PNSt15iterator_traitsISY_E10value_typeET2_T3_PNSZ_IS14_E10value_typeET4_jRbjT5_S1A_jjP12ihipStream_tbEUljE_EEESV_SW_SX_S14_S18_S1A_T6_T7_T9_mT8_S1C_bDpT10_ENKUlT_T0_E_clISt17integral_constantIbLb0EES1P_EEDaS1K_S1L_EUlS1K_E_NS1_11comp_targetILNS1_3genE8ELNS1_11target_archE1030ELNS1_3gpuE2ELNS1_3repE0EEENS1_30default_config_static_selectorELNS0_4arch9wavefront6targetE1EEEvSY_.has_indirect_call, 0
	.section	.AMDGPU.csdata,"",@progbits
; Kernel info:
; codeLenInByte = 0
; TotalNumSgprs: 4
; NumVgprs: 0
; ScratchSize: 0
; MemoryBound: 0
; FloatMode: 240
; IeeeMode: 1
; LDSByteSize: 0 bytes/workgroup (compile time only)
; SGPRBlocks: 0
; VGPRBlocks: 0
; NumSGPRsForWavesPerEU: 4
; NumVGPRsForWavesPerEU: 1
; Occupancy: 10
; WaveLimiterHint : 0
; COMPUTE_PGM_RSRC2:SCRATCH_EN: 0
; COMPUTE_PGM_RSRC2:USER_SGPR: 6
; COMPUTE_PGM_RSRC2:TRAP_HANDLER: 0
; COMPUTE_PGM_RSRC2:TGID_X_EN: 1
; COMPUTE_PGM_RSRC2:TGID_Y_EN: 0
; COMPUTE_PGM_RSRC2:TGID_Z_EN: 0
; COMPUTE_PGM_RSRC2:TIDIG_COMP_CNT: 0
	.section	.text._ZN7rocprim17ROCPRIM_400000_NS6detail17trampoline_kernelINS0_13select_configILj256ELj13ELNS0_17block_load_methodE3ELS4_3ELS4_3ELNS0_20block_scan_algorithmE0ELj4294967295EEENS1_25partition_config_selectorILNS1_17partition_subalgoE3EjNS0_10empty_typeEbEEZZNS1_14partition_implILS8_3ELb0ES6_jNS0_17counting_iteratorIjlEEPS9_SE_NS0_5tupleIJPjSE_EEENSF_IJSE_SE_EEES9_SG_JZNS1_25segmented_radix_sort_implINS0_14default_configELb0EPKbPbPKlPlN2at6native12_GLOBAL__N_18offset_tEEE10hipError_tPvRmT1_PNSt15iterator_traitsISY_E10value_typeET2_T3_PNSZ_IS14_E10value_typeET4_jRbjT5_S1A_jjP12ihipStream_tbEUljE_EEESV_SW_SX_S14_S18_S1A_T6_T7_T9_mT8_S1C_bDpT10_ENKUlT_T0_E_clISt17integral_constantIbLb1EES1P_EEDaS1K_S1L_EUlS1K_E_NS1_11comp_targetILNS1_3genE0ELNS1_11target_archE4294967295ELNS1_3gpuE0ELNS1_3repE0EEENS1_30default_config_static_selectorELNS0_4arch9wavefront6targetE1EEEvSY_,"axG",@progbits,_ZN7rocprim17ROCPRIM_400000_NS6detail17trampoline_kernelINS0_13select_configILj256ELj13ELNS0_17block_load_methodE3ELS4_3ELS4_3ELNS0_20block_scan_algorithmE0ELj4294967295EEENS1_25partition_config_selectorILNS1_17partition_subalgoE3EjNS0_10empty_typeEbEEZZNS1_14partition_implILS8_3ELb0ES6_jNS0_17counting_iteratorIjlEEPS9_SE_NS0_5tupleIJPjSE_EEENSF_IJSE_SE_EEES9_SG_JZNS1_25segmented_radix_sort_implINS0_14default_configELb0EPKbPbPKlPlN2at6native12_GLOBAL__N_18offset_tEEE10hipError_tPvRmT1_PNSt15iterator_traitsISY_E10value_typeET2_T3_PNSZ_IS14_E10value_typeET4_jRbjT5_S1A_jjP12ihipStream_tbEUljE_EEESV_SW_SX_S14_S18_S1A_T6_T7_T9_mT8_S1C_bDpT10_ENKUlT_T0_E_clISt17integral_constantIbLb1EES1P_EEDaS1K_S1L_EUlS1K_E_NS1_11comp_targetILNS1_3genE0ELNS1_11target_archE4294967295ELNS1_3gpuE0ELNS1_3repE0EEENS1_30default_config_static_selectorELNS0_4arch9wavefront6targetE1EEEvSY_,comdat
	.globl	_ZN7rocprim17ROCPRIM_400000_NS6detail17trampoline_kernelINS0_13select_configILj256ELj13ELNS0_17block_load_methodE3ELS4_3ELS4_3ELNS0_20block_scan_algorithmE0ELj4294967295EEENS1_25partition_config_selectorILNS1_17partition_subalgoE3EjNS0_10empty_typeEbEEZZNS1_14partition_implILS8_3ELb0ES6_jNS0_17counting_iteratorIjlEEPS9_SE_NS0_5tupleIJPjSE_EEENSF_IJSE_SE_EEES9_SG_JZNS1_25segmented_radix_sort_implINS0_14default_configELb0EPKbPbPKlPlN2at6native12_GLOBAL__N_18offset_tEEE10hipError_tPvRmT1_PNSt15iterator_traitsISY_E10value_typeET2_T3_PNSZ_IS14_E10value_typeET4_jRbjT5_S1A_jjP12ihipStream_tbEUljE_EEESV_SW_SX_S14_S18_S1A_T6_T7_T9_mT8_S1C_bDpT10_ENKUlT_T0_E_clISt17integral_constantIbLb1EES1P_EEDaS1K_S1L_EUlS1K_E_NS1_11comp_targetILNS1_3genE0ELNS1_11target_archE4294967295ELNS1_3gpuE0ELNS1_3repE0EEENS1_30default_config_static_selectorELNS0_4arch9wavefront6targetE1EEEvSY_ ; -- Begin function _ZN7rocprim17ROCPRIM_400000_NS6detail17trampoline_kernelINS0_13select_configILj256ELj13ELNS0_17block_load_methodE3ELS4_3ELS4_3ELNS0_20block_scan_algorithmE0ELj4294967295EEENS1_25partition_config_selectorILNS1_17partition_subalgoE3EjNS0_10empty_typeEbEEZZNS1_14partition_implILS8_3ELb0ES6_jNS0_17counting_iteratorIjlEEPS9_SE_NS0_5tupleIJPjSE_EEENSF_IJSE_SE_EEES9_SG_JZNS1_25segmented_radix_sort_implINS0_14default_configELb0EPKbPbPKlPlN2at6native12_GLOBAL__N_18offset_tEEE10hipError_tPvRmT1_PNSt15iterator_traitsISY_E10value_typeET2_T3_PNSZ_IS14_E10value_typeET4_jRbjT5_S1A_jjP12ihipStream_tbEUljE_EEESV_SW_SX_S14_S18_S1A_T6_T7_T9_mT8_S1C_bDpT10_ENKUlT_T0_E_clISt17integral_constantIbLb1EES1P_EEDaS1K_S1L_EUlS1K_E_NS1_11comp_targetILNS1_3genE0ELNS1_11target_archE4294967295ELNS1_3gpuE0ELNS1_3repE0EEENS1_30default_config_static_selectorELNS0_4arch9wavefront6targetE1EEEvSY_
	.p2align	8
	.type	_ZN7rocprim17ROCPRIM_400000_NS6detail17trampoline_kernelINS0_13select_configILj256ELj13ELNS0_17block_load_methodE3ELS4_3ELS4_3ELNS0_20block_scan_algorithmE0ELj4294967295EEENS1_25partition_config_selectorILNS1_17partition_subalgoE3EjNS0_10empty_typeEbEEZZNS1_14partition_implILS8_3ELb0ES6_jNS0_17counting_iteratorIjlEEPS9_SE_NS0_5tupleIJPjSE_EEENSF_IJSE_SE_EEES9_SG_JZNS1_25segmented_radix_sort_implINS0_14default_configELb0EPKbPbPKlPlN2at6native12_GLOBAL__N_18offset_tEEE10hipError_tPvRmT1_PNSt15iterator_traitsISY_E10value_typeET2_T3_PNSZ_IS14_E10value_typeET4_jRbjT5_S1A_jjP12ihipStream_tbEUljE_EEESV_SW_SX_S14_S18_S1A_T6_T7_T9_mT8_S1C_bDpT10_ENKUlT_T0_E_clISt17integral_constantIbLb1EES1P_EEDaS1K_S1L_EUlS1K_E_NS1_11comp_targetILNS1_3genE0ELNS1_11target_archE4294967295ELNS1_3gpuE0ELNS1_3repE0EEENS1_30default_config_static_selectorELNS0_4arch9wavefront6targetE1EEEvSY_,@function
_ZN7rocprim17ROCPRIM_400000_NS6detail17trampoline_kernelINS0_13select_configILj256ELj13ELNS0_17block_load_methodE3ELS4_3ELS4_3ELNS0_20block_scan_algorithmE0ELj4294967295EEENS1_25partition_config_selectorILNS1_17partition_subalgoE3EjNS0_10empty_typeEbEEZZNS1_14partition_implILS8_3ELb0ES6_jNS0_17counting_iteratorIjlEEPS9_SE_NS0_5tupleIJPjSE_EEENSF_IJSE_SE_EEES9_SG_JZNS1_25segmented_radix_sort_implINS0_14default_configELb0EPKbPbPKlPlN2at6native12_GLOBAL__N_18offset_tEEE10hipError_tPvRmT1_PNSt15iterator_traitsISY_E10value_typeET2_T3_PNSZ_IS14_E10value_typeET4_jRbjT5_S1A_jjP12ihipStream_tbEUljE_EEESV_SW_SX_S14_S18_S1A_T6_T7_T9_mT8_S1C_bDpT10_ENKUlT_T0_E_clISt17integral_constantIbLb1EES1P_EEDaS1K_S1L_EUlS1K_E_NS1_11comp_targetILNS1_3genE0ELNS1_11target_archE4294967295ELNS1_3gpuE0ELNS1_3repE0EEENS1_30default_config_static_selectorELNS0_4arch9wavefront6targetE1EEEvSY_: ; @_ZN7rocprim17ROCPRIM_400000_NS6detail17trampoline_kernelINS0_13select_configILj256ELj13ELNS0_17block_load_methodE3ELS4_3ELS4_3ELNS0_20block_scan_algorithmE0ELj4294967295EEENS1_25partition_config_selectorILNS1_17partition_subalgoE3EjNS0_10empty_typeEbEEZZNS1_14partition_implILS8_3ELb0ES6_jNS0_17counting_iteratorIjlEEPS9_SE_NS0_5tupleIJPjSE_EEENSF_IJSE_SE_EEES9_SG_JZNS1_25segmented_radix_sort_implINS0_14default_configELb0EPKbPbPKlPlN2at6native12_GLOBAL__N_18offset_tEEE10hipError_tPvRmT1_PNSt15iterator_traitsISY_E10value_typeET2_T3_PNSZ_IS14_E10value_typeET4_jRbjT5_S1A_jjP12ihipStream_tbEUljE_EEESV_SW_SX_S14_S18_S1A_T6_T7_T9_mT8_S1C_bDpT10_ENKUlT_T0_E_clISt17integral_constantIbLb1EES1P_EEDaS1K_S1L_EUlS1K_E_NS1_11comp_targetILNS1_3genE0ELNS1_11target_archE4294967295ELNS1_3gpuE0ELNS1_3repE0EEENS1_30default_config_static_selectorELNS0_4arch9wavefront6targetE1EEEvSY_
; %bb.0:
	.section	.rodata,"a",@progbits
	.p2align	6, 0x0
	.amdhsa_kernel _ZN7rocprim17ROCPRIM_400000_NS6detail17trampoline_kernelINS0_13select_configILj256ELj13ELNS0_17block_load_methodE3ELS4_3ELS4_3ELNS0_20block_scan_algorithmE0ELj4294967295EEENS1_25partition_config_selectorILNS1_17partition_subalgoE3EjNS0_10empty_typeEbEEZZNS1_14partition_implILS8_3ELb0ES6_jNS0_17counting_iteratorIjlEEPS9_SE_NS0_5tupleIJPjSE_EEENSF_IJSE_SE_EEES9_SG_JZNS1_25segmented_radix_sort_implINS0_14default_configELb0EPKbPbPKlPlN2at6native12_GLOBAL__N_18offset_tEEE10hipError_tPvRmT1_PNSt15iterator_traitsISY_E10value_typeET2_T3_PNSZ_IS14_E10value_typeET4_jRbjT5_S1A_jjP12ihipStream_tbEUljE_EEESV_SW_SX_S14_S18_S1A_T6_T7_T9_mT8_S1C_bDpT10_ENKUlT_T0_E_clISt17integral_constantIbLb1EES1P_EEDaS1K_S1L_EUlS1K_E_NS1_11comp_targetILNS1_3genE0ELNS1_11target_archE4294967295ELNS1_3gpuE0ELNS1_3repE0EEENS1_30default_config_static_selectorELNS0_4arch9wavefront6targetE1EEEvSY_
		.amdhsa_group_segment_fixed_size 0
		.amdhsa_private_segment_fixed_size 0
		.amdhsa_kernarg_size 152
		.amdhsa_user_sgpr_count 6
		.amdhsa_user_sgpr_private_segment_buffer 1
		.amdhsa_user_sgpr_dispatch_ptr 0
		.amdhsa_user_sgpr_queue_ptr 0
		.amdhsa_user_sgpr_kernarg_segment_ptr 1
		.amdhsa_user_sgpr_dispatch_id 0
		.amdhsa_user_sgpr_flat_scratch_init 0
		.amdhsa_user_sgpr_private_segment_size 0
		.amdhsa_uses_dynamic_stack 0
		.amdhsa_system_sgpr_private_segment_wavefront_offset 0
		.amdhsa_system_sgpr_workgroup_id_x 1
		.amdhsa_system_sgpr_workgroup_id_y 0
		.amdhsa_system_sgpr_workgroup_id_z 0
		.amdhsa_system_sgpr_workgroup_info 0
		.amdhsa_system_vgpr_workitem_id 0
		.amdhsa_next_free_vgpr 1
		.amdhsa_next_free_sgpr 0
		.amdhsa_reserve_vcc 0
		.amdhsa_reserve_flat_scratch 0
		.amdhsa_float_round_mode_32 0
		.amdhsa_float_round_mode_16_64 0
		.amdhsa_float_denorm_mode_32 3
		.amdhsa_float_denorm_mode_16_64 3
		.amdhsa_dx10_clamp 1
		.amdhsa_ieee_mode 1
		.amdhsa_fp16_overflow 0
		.amdhsa_exception_fp_ieee_invalid_op 0
		.amdhsa_exception_fp_denorm_src 0
		.amdhsa_exception_fp_ieee_div_zero 0
		.amdhsa_exception_fp_ieee_overflow 0
		.amdhsa_exception_fp_ieee_underflow 0
		.amdhsa_exception_fp_ieee_inexact 0
		.amdhsa_exception_int_div_zero 0
	.end_amdhsa_kernel
	.section	.text._ZN7rocprim17ROCPRIM_400000_NS6detail17trampoline_kernelINS0_13select_configILj256ELj13ELNS0_17block_load_methodE3ELS4_3ELS4_3ELNS0_20block_scan_algorithmE0ELj4294967295EEENS1_25partition_config_selectorILNS1_17partition_subalgoE3EjNS0_10empty_typeEbEEZZNS1_14partition_implILS8_3ELb0ES6_jNS0_17counting_iteratorIjlEEPS9_SE_NS0_5tupleIJPjSE_EEENSF_IJSE_SE_EEES9_SG_JZNS1_25segmented_radix_sort_implINS0_14default_configELb0EPKbPbPKlPlN2at6native12_GLOBAL__N_18offset_tEEE10hipError_tPvRmT1_PNSt15iterator_traitsISY_E10value_typeET2_T3_PNSZ_IS14_E10value_typeET4_jRbjT5_S1A_jjP12ihipStream_tbEUljE_EEESV_SW_SX_S14_S18_S1A_T6_T7_T9_mT8_S1C_bDpT10_ENKUlT_T0_E_clISt17integral_constantIbLb1EES1P_EEDaS1K_S1L_EUlS1K_E_NS1_11comp_targetILNS1_3genE0ELNS1_11target_archE4294967295ELNS1_3gpuE0ELNS1_3repE0EEENS1_30default_config_static_selectorELNS0_4arch9wavefront6targetE1EEEvSY_,"axG",@progbits,_ZN7rocprim17ROCPRIM_400000_NS6detail17trampoline_kernelINS0_13select_configILj256ELj13ELNS0_17block_load_methodE3ELS4_3ELS4_3ELNS0_20block_scan_algorithmE0ELj4294967295EEENS1_25partition_config_selectorILNS1_17partition_subalgoE3EjNS0_10empty_typeEbEEZZNS1_14partition_implILS8_3ELb0ES6_jNS0_17counting_iteratorIjlEEPS9_SE_NS0_5tupleIJPjSE_EEENSF_IJSE_SE_EEES9_SG_JZNS1_25segmented_radix_sort_implINS0_14default_configELb0EPKbPbPKlPlN2at6native12_GLOBAL__N_18offset_tEEE10hipError_tPvRmT1_PNSt15iterator_traitsISY_E10value_typeET2_T3_PNSZ_IS14_E10value_typeET4_jRbjT5_S1A_jjP12ihipStream_tbEUljE_EEESV_SW_SX_S14_S18_S1A_T6_T7_T9_mT8_S1C_bDpT10_ENKUlT_T0_E_clISt17integral_constantIbLb1EES1P_EEDaS1K_S1L_EUlS1K_E_NS1_11comp_targetILNS1_3genE0ELNS1_11target_archE4294967295ELNS1_3gpuE0ELNS1_3repE0EEENS1_30default_config_static_selectorELNS0_4arch9wavefront6targetE1EEEvSY_,comdat
.Lfunc_end1611:
	.size	_ZN7rocprim17ROCPRIM_400000_NS6detail17trampoline_kernelINS0_13select_configILj256ELj13ELNS0_17block_load_methodE3ELS4_3ELS4_3ELNS0_20block_scan_algorithmE0ELj4294967295EEENS1_25partition_config_selectorILNS1_17partition_subalgoE3EjNS0_10empty_typeEbEEZZNS1_14partition_implILS8_3ELb0ES6_jNS0_17counting_iteratorIjlEEPS9_SE_NS0_5tupleIJPjSE_EEENSF_IJSE_SE_EEES9_SG_JZNS1_25segmented_radix_sort_implINS0_14default_configELb0EPKbPbPKlPlN2at6native12_GLOBAL__N_18offset_tEEE10hipError_tPvRmT1_PNSt15iterator_traitsISY_E10value_typeET2_T3_PNSZ_IS14_E10value_typeET4_jRbjT5_S1A_jjP12ihipStream_tbEUljE_EEESV_SW_SX_S14_S18_S1A_T6_T7_T9_mT8_S1C_bDpT10_ENKUlT_T0_E_clISt17integral_constantIbLb1EES1P_EEDaS1K_S1L_EUlS1K_E_NS1_11comp_targetILNS1_3genE0ELNS1_11target_archE4294967295ELNS1_3gpuE0ELNS1_3repE0EEENS1_30default_config_static_selectorELNS0_4arch9wavefront6targetE1EEEvSY_, .Lfunc_end1611-_ZN7rocprim17ROCPRIM_400000_NS6detail17trampoline_kernelINS0_13select_configILj256ELj13ELNS0_17block_load_methodE3ELS4_3ELS4_3ELNS0_20block_scan_algorithmE0ELj4294967295EEENS1_25partition_config_selectorILNS1_17partition_subalgoE3EjNS0_10empty_typeEbEEZZNS1_14partition_implILS8_3ELb0ES6_jNS0_17counting_iteratorIjlEEPS9_SE_NS0_5tupleIJPjSE_EEENSF_IJSE_SE_EEES9_SG_JZNS1_25segmented_radix_sort_implINS0_14default_configELb0EPKbPbPKlPlN2at6native12_GLOBAL__N_18offset_tEEE10hipError_tPvRmT1_PNSt15iterator_traitsISY_E10value_typeET2_T3_PNSZ_IS14_E10value_typeET4_jRbjT5_S1A_jjP12ihipStream_tbEUljE_EEESV_SW_SX_S14_S18_S1A_T6_T7_T9_mT8_S1C_bDpT10_ENKUlT_T0_E_clISt17integral_constantIbLb1EES1P_EEDaS1K_S1L_EUlS1K_E_NS1_11comp_targetILNS1_3genE0ELNS1_11target_archE4294967295ELNS1_3gpuE0ELNS1_3repE0EEENS1_30default_config_static_selectorELNS0_4arch9wavefront6targetE1EEEvSY_
                                        ; -- End function
	.set _ZN7rocprim17ROCPRIM_400000_NS6detail17trampoline_kernelINS0_13select_configILj256ELj13ELNS0_17block_load_methodE3ELS4_3ELS4_3ELNS0_20block_scan_algorithmE0ELj4294967295EEENS1_25partition_config_selectorILNS1_17partition_subalgoE3EjNS0_10empty_typeEbEEZZNS1_14partition_implILS8_3ELb0ES6_jNS0_17counting_iteratorIjlEEPS9_SE_NS0_5tupleIJPjSE_EEENSF_IJSE_SE_EEES9_SG_JZNS1_25segmented_radix_sort_implINS0_14default_configELb0EPKbPbPKlPlN2at6native12_GLOBAL__N_18offset_tEEE10hipError_tPvRmT1_PNSt15iterator_traitsISY_E10value_typeET2_T3_PNSZ_IS14_E10value_typeET4_jRbjT5_S1A_jjP12ihipStream_tbEUljE_EEESV_SW_SX_S14_S18_S1A_T6_T7_T9_mT8_S1C_bDpT10_ENKUlT_T0_E_clISt17integral_constantIbLb1EES1P_EEDaS1K_S1L_EUlS1K_E_NS1_11comp_targetILNS1_3genE0ELNS1_11target_archE4294967295ELNS1_3gpuE0ELNS1_3repE0EEENS1_30default_config_static_selectorELNS0_4arch9wavefront6targetE1EEEvSY_.num_vgpr, 0
	.set _ZN7rocprim17ROCPRIM_400000_NS6detail17trampoline_kernelINS0_13select_configILj256ELj13ELNS0_17block_load_methodE3ELS4_3ELS4_3ELNS0_20block_scan_algorithmE0ELj4294967295EEENS1_25partition_config_selectorILNS1_17partition_subalgoE3EjNS0_10empty_typeEbEEZZNS1_14partition_implILS8_3ELb0ES6_jNS0_17counting_iteratorIjlEEPS9_SE_NS0_5tupleIJPjSE_EEENSF_IJSE_SE_EEES9_SG_JZNS1_25segmented_radix_sort_implINS0_14default_configELb0EPKbPbPKlPlN2at6native12_GLOBAL__N_18offset_tEEE10hipError_tPvRmT1_PNSt15iterator_traitsISY_E10value_typeET2_T3_PNSZ_IS14_E10value_typeET4_jRbjT5_S1A_jjP12ihipStream_tbEUljE_EEESV_SW_SX_S14_S18_S1A_T6_T7_T9_mT8_S1C_bDpT10_ENKUlT_T0_E_clISt17integral_constantIbLb1EES1P_EEDaS1K_S1L_EUlS1K_E_NS1_11comp_targetILNS1_3genE0ELNS1_11target_archE4294967295ELNS1_3gpuE0ELNS1_3repE0EEENS1_30default_config_static_selectorELNS0_4arch9wavefront6targetE1EEEvSY_.num_agpr, 0
	.set _ZN7rocprim17ROCPRIM_400000_NS6detail17trampoline_kernelINS0_13select_configILj256ELj13ELNS0_17block_load_methodE3ELS4_3ELS4_3ELNS0_20block_scan_algorithmE0ELj4294967295EEENS1_25partition_config_selectorILNS1_17partition_subalgoE3EjNS0_10empty_typeEbEEZZNS1_14partition_implILS8_3ELb0ES6_jNS0_17counting_iteratorIjlEEPS9_SE_NS0_5tupleIJPjSE_EEENSF_IJSE_SE_EEES9_SG_JZNS1_25segmented_radix_sort_implINS0_14default_configELb0EPKbPbPKlPlN2at6native12_GLOBAL__N_18offset_tEEE10hipError_tPvRmT1_PNSt15iterator_traitsISY_E10value_typeET2_T3_PNSZ_IS14_E10value_typeET4_jRbjT5_S1A_jjP12ihipStream_tbEUljE_EEESV_SW_SX_S14_S18_S1A_T6_T7_T9_mT8_S1C_bDpT10_ENKUlT_T0_E_clISt17integral_constantIbLb1EES1P_EEDaS1K_S1L_EUlS1K_E_NS1_11comp_targetILNS1_3genE0ELNS1_11target_archE4294967295ELNS1_3gpuE0ELNS1_3repE0EEENS1_30default_config_static_selectorELNS0_4arch9wavefront6targetE1EEEvSY_.numbered_sgpr, 0
	.set _ZN7rocprim17ROCPRIM_400000_NS6detail17trampoline_kernelINS0_13select_configILj256ELj13ELNS0_17block_load_methodE3ELS4_3ELS4_3ELNS0_20block_scan_algorithmE0ELj4294967295EEENS1_25partition_config_selectorILNS1_17partition_subalgoE3EjNS0_10empty_typeEbEEZZNS1_14partition_implILS8_3ELb0ES6_jNS0_17counting_iteratorIjlEEPS9_SE_NS0_5tupleIJPjSE_EEENSF_IJSE_SE_EEES9_SG_JZNS1_25segmented_radix_sort_implINS0_14default_configELb0EPKbPbPKlPlN2at6native12_GLOBAL__N_18offset_tEEE10hipError_tPvRmT1_PNSt15iterator_traitsISY_E10value_typeET2_T3_PNSZ_IS14_E10value_typeET4_jRbjT5_S1A_jjP12ihipStream_tbEUljE_EEESV_SW_SX_S14_S18_S1A_T6_T7_T9_mT8_S1C_bDpT10_ENKUlT_T0_E_clISt17integral_constantIbLb1EES1P_EEDaS1K_S1L_EUlS1K_E_NS1_11comp_targetILNS1_3genE0ELNS1_11target_archE4294967295ELNS1_3gpuE0ELNS1_3repE0EEENS1_30default_config_static_selectorELNS0_4arch9wavefront6targetE1EEEvSY_.num_named_barrier, 0
	.set _ZN7rocprim17ROCPRIM_400000_NS6detail17trampoline_kernelINS0_13select_configILj256ELj13ELNS0_17block_load_methodE3ELS4_3ELS4_3ELNS0_20block_scan_algorithmE0ELj4294967295EEENS1_25partition_config_selectorILNS1_17partition_subalgoE3EjNS0_10empty_typeEbEEZZNS1_14partition_implILS8_3ELb0ES6_jNS0_17counting_iteratorIjlEEPS9_SE_NS0_5tupleIJPjSE_EEENSF_IJSE_SE_EEES9_SG_JZNS1_25segmented_radix_sort_implINS0_14default_configELb0EPKbPbPKlPlN2at6native12_GLOBAL__N_18offset_tEEE10hipError_tPvRmT1_PNSt15iterator_traitsISY_E10value_typeET2_T3_PNSZ_IS14_E10value_typeET4_jRbjT5_S1A_jjP12ihipStream_tbEUljE_EEESV_SW_SX_S14_S18_S1A_T6_T7_T9_mT8_S1C_bDpT10_ENKUlT_T0_E_clISt17integral_constantIbLb1EES1P_EEDaS1K_S1L_EUlS1K_E_NS1_11comp_targetILNS1_3genE0ELNS1_11target_archE4294967295ELNS1_3gpuE0ELNS1_3repE0EEENS1_30default_config_static_selectorELNS0_4arch9wavefront6targetE1EEEvSY_.private_seg_size, 0
	.set _ZN7rocprim17ROCPRIM_400000_NS6detail17trampoline_kernelINS0_13select_configILj256ELj13ELNS0_17block_load_methodE3ELS4_3ELS4_3ELNS0_20block_scan_algorithmE0ELj4294967295EEENS1_25partition_config_selectorILNS1_17partition_subalgoE3EjNS0_10empty_typeEbEEZZNS1_14partition_implILS8_3ELb0ES6_jNS0_17counting_iteratorIjlEEPS9_SE_NS0_5tupleIJPjSE_EEENSF_IJSE_SE_EEES9_SG_JZNS1_25segmented_radix_sort_implINS0_14default_configELb0EPKbPbPKlPlN2at6native12_GLOBAL__N_18offset_tEEE10hipError_tPvRmT1_PNSt15iterator_traitsISY_E10value_typeET2_T3_PNSZ_IS14_E10value_typeET4_jRbjT5_S1A_jjP12ihipStream_tbEUljE_EEESV_SW_SX_S14_S18_S1A_T6_T7_T9_mT8_S1C_bDpT10_ENKUlT_T0_E_clISt17integral_constantIbLb1EES1P_EEDaS1K_S1L_EUlS1K_E_NS1_11comp_targetILNS1_3genE0ELNS1_11target_archE4294967295ELNS1_3gpuE0ELNS1_3repE0EEENS1_30default_config_static_selectorELNS0_4arch9wavefront6targetE1EEEvSY_.uses_vcc, 0
	.set _ZN7rocprim17ROCPRIM_400000_NS6detail17trampoline_kernelINS0_13select_configILj256ELj13ELNS0_17block_load_methodE3ELS4_3ELS4_3ELNS0_20block_scan_algorithmE0ELj4294967295EEENS1_25partition_config_selectorILNS1_17partition_subalgoE3EjNS0_10empty_typeEbEEZZNS1_14partition_implILS8_3ELb0ES6_jNS0_17counting_iteratorIjlEEPS9_SE_NS0_5tupleIJPjSE_EEENSF_IJSE_SE_EEES9_SG_JZNS1_25segmented_radix_sort_implINS0_14default_configELb0EPKbPbPKlPlN2at6native12_GLOBAL__N_18offset_tEEE10hipError_tPvRmT1_PNSt15iterator_traitsISY_E10value_typeET2_T3_PNSZ_IS14_E10value_typeET4_jRbjT5_S1A_jjP12ihipStream_tbEUljE_EEESV_SW_SX_S14_S18_S1A_T6_T7_T9_mT8_S1C_bDpT10_ENKUlT_T0_E_clISt17integral_constantIbLb1EES1P_EEDaS1K_S1L_EUlS1K_E_NS1_11comp_targetILNS1_3genE0ELNS1_11target_archE4294967295ELNS1_3gpuE0ELNS1_3repE0EEENS1_30default_config_static_selectorELNS0_4arch9wavefront6targetE1EEEvSY_.uses_flat_scratch, 0
	.set _ZN7rocprim17ROCPRIM_400000_NS6detail17trampoline_kernelINS0_13select_configILj256ELj13ELNS0_17block_load_methodE3ELS4_3ELS4_3ELNS0_20block_scan_algorithmE0ELj4294967295EEENS1_25partition_config_selectorILNS1_17partition_subalgoE3EjNS0_10empty_typeEbEEZZNS1_14partition_implILS8_3ELb0ES6_jNS0_17counting_iteratorIjlEEPS9_SE_NS0_5tupleIJPjSE_EEENSF_IJSE_SE_EEES9_SG_JZNS1_25segmented_radix_sort_implINS0_14default_configELb0EPKbPbPKlPlN2at6native12_GLOBAL__N_18offset_tEEE10hipError_tPvRmT1_PNSt15iterator_traitsISY_E10value_typeET2_T3_PNSZ_IS14_E10value_typeET4_jRbjT5_S1A_jjP12ihipStream_tbEUljE_EEESV_SW_SX_S14_S18_S1A_T6_T7_T9_mT8_S1C_bDpT10_ENKUlT_T0_E_clISt17integral_constantIbLb1EES1P_EEDaS1K_S1L_EUlS1K_E_NS1_11comp_targetILNS1_3genE0ELNS1_11target_archE4294967295ELNS1_3gpuE0ELNS1_3repE0EEENS1_30default_config_static_selectorELNS0_4arch9wavefront6targetE1EEEvSY_.has_dyn_sized_stack, 0
	.set _ZN7rocprim17ROCPRIM_400000_NS6detail17trampoline_kernelINS0_13select_configILj256ELj13ELNS0_17block_load_methodE3ELS4_3ELS4_3ELNS0_20block_scan_algorithmE0ELj4294967295EEENS1_25partition_config_selectorILNS1_17partition_subalgoE3EjNS0_10empty_typeEbEEZZNS1_14partition_implILS8_3ELb0ES6_jNS0_17counting_iteratorIjlEEPS9_SE_NS0_5tupleIJPjSE_EEENSF_IJSE_SE_EEES9_SG_JZNS1_25segmented_radix_sort_implINS0_14default_configELb0EPKbPbPKlPlN2at6native12_GLOBAL__N_18offset_tEEE10hipError_tPvRmT1_PNSt15iterator_traitsISY_E10value_typeET2_T3_PNSZ_IS14_E10value_typeET4_jRbjT5_S1A_jjP12ihipStream_tbEUljE_EEESV_SW_SX_S14_S18_S1A_T6_T7_T9_mT8_S1C_bDpT10_ENKUlT_T0_E_clISt17integral_constantIbLb1EES1P_EEDaS1K_S1L_EUlS1K_E_NS1_11comp_targetILNS1_3genE0ELNS1_11target_archE4294967295ELNS1_3gpuE0ELNS1_3repE0EEENS1_30default_config_static_selectorELNS0_4arch9wavefront6targetE1EEEvSY_.has_recursion, 0
	.set _ZN7rocprim17ROCPRIM_400000_NS6detail17trampoline_kernelINS0_13select_configILj256ELj13ELNS0_17block_load_methodE3ELS4_3ELS4_3ELNS0_20block_scan_algorithmE0ELj4294967295EEENS1_25partition_config_selectorILNS1_17partition_subalgoE3EjNS0_10empty_typeEbEEZZNS1_14partition_implILS8_3ELb0ES6_jNS0_17counting_iteratorIjlEEPS9_SE_NS0_5tupleIJPjSE_EEENSF_IJSE_SE_EEES9_SG_JZNS1_25segmented_radix_sort_implINS0_14default_configELb0EPKbPbPKlPlN2at6native12_GLOBAL__N_18offset_tEEE10hipError_tPvRmT1_PNSt15iterator_traitsISY_E10value_typeET2_T3_PNSZ_IS14_E10value_typeET4_jRbjT5_S1A_jjP12ihipStream_tbEUljE_EEESV_SW_SX_S14_S18_S1A_T6_T7_T9_mT8_S1C_bDpT10_ENKUlT_T0_E_clISt17integral_constantIbLb1EES1P_EEDaS1K_S1L_EUlS1K_E_NS1_11comp_targetILNS1_3genE0ELNS1_11target_archE4294967295ELNS1_3gpuE0ELNS1_3repE0EEENS1_30default_config_static_selectorELNS0_4arch9wavefront6targetE1EEEvSY_.has_indirect_call, 0
	.section	.AMDGPU.csdata,"",@progbits
; Kernel info:
; codeLenInByte = 0
; TotalNumSgprs: 4
; NumVgprs: 0
; ScratchSize: 0
; MemoryBound: 0
; FloatMode: 240
; IeeeMode: 1
; LDSByteSize: 0 bytes/workgroup (compile time only)
; SGPRBlocks: 0
; VGPRBlocks: 0
; NumSGPRsForWavesPerEU: 4
; NumVGPRsForWavesPerEU: 1
; Occupancy: 10
; WaveLimiterHint : 0
; COMPUTE_PGM_RSRC2:SCRATCH_EN: 0
; COMPUTE_PGM_RSRC2:USER_SGPR: 6
; COMPUTE_PGM_RSRC2:TRAP_HANDLER: 0
; COMPUTE_PGM_RSRC2:TGID_X_EN: 1
; COMPUTE_PGM_RSRC2:TGID_Y_EN: 0
; COMPUTE_PGM_RSRC2:TGID_Z_EN: 0
; COMPUTE_PGM_RSRC2:TIDIG_COMP_CNT: 0
	.section	.text._ZN7rocprim17ROCPRIM_400000_NS6detail17trampoline_kernelINS0_13select_configILj256ELj13ELNS0_17block_load_methodE3ELS4_3ELS4_3ELNS0_20block_scan_algorithmE0ELj4294967295EEENS1_25partition_config_selectorILNS1_17partition_subalgoE3EjNS0_10empty_typeEbEEZZNS1_14partition_implILS8_3ELb0ES6_jNS0_17counting_iteratorIjlEEPS9_SE_NS0_5tupleIJPjSE_EEENSF_IJSE_SE_EEES9_SG_JZNS1_25segmented_radix_sort_implINS0_14default_configELb0EPKbPbPKlPlN2at6native12_GLOBAL__N_18offset_tEEE10hipError_tPvRmT1_PNSt15iterator_traitsISY_E10value_typeET2_T3_PNSZ_IS14_E10value_typeET4_jRbjT5_S1A_jjP12ihipStream_tbEUljE_EEESV_SW_SX_S14_S18_S1A_T6_T7_T9_mT8_S1C_bDpT10_ENKUlT_T0_E_clISt17integral_constantIbLb1EES1P_EEDaS1K_S1L_EUlS1K_E_NS1_11comp_targetILNS1_3genE5ELNS1_11target_archE942ELNS1_3gpuE9ELNS1_3repE0EEENS1_30default_config_static_selectorELNS0_4arch9wavefront6targetE1EEEvSY_,"axG",@progbits,_ZN7rocprim17ROCPRIM_400000_NS6detail17trampoline_kernelINS0_13select_configILj256ELj13ELNS0_17block_load_methodE3ELS4_3ELS4_3ELNS0_20block_scan_algorithmE0ELj4294967295EEENS1_25partition_config_selectorILNS1_17partition_subalgoE3EjNS0_10empty_typeEbEEZZNS1_14partition_implILS8_3ELb0ES6_jNS0_17counting_iteratorIjlEEPS9_SE_NS0_5tupleIJPjSE_EEENSF_IJSE_SE_EEES9_SG_JZNS1_25segmented_radix_sort_implINS0_14default_configELb0EPKbPbPKlPlN2at6native12_GLOBAL__N_18offset_tEEE10hipError_tPvRmT1_PNSt15iterator_traitsISY_E10value_typeET2_T3_PNSZ_IS14_E10value_typeET4_jRbjT5_S1A_jjP12ihipStream_tbEUljE_EEESV_SW_SX_S14_S18_S1A_T6_T7_T9_mT8_S1C_bDpT10_ENKUlT_T0_E_clISt17integral_constantIbLb1EES1P_EEDaS1K_S1L_EUlS1K_E_NS1_11comp_targetILNS1_3genE5ELNS1_11target_archE942ELNS1_3gpuE9ELNS1_3repE0EEENS1_30default_config_static_selectorELNS0_4arch9wavefront6targetE1EEEvSY_,comdat
	.globl	_ZN7rocprim17ROCPRIM_400000_NS6detail17trampoline_kernelINS0_13select_configILj256ELj13ELNS0_17block_load_methodE3ELS4_3ELS4_3ELNS0_20block_scan_algorithmE0ELj4294967295EEENS1_25partition_config_selectorILNS1_17partition_subalgoE3EjNS0_10empty_typeEbEEZZNS1_14partition_implILS8_3ELb0ES6_jNS0_17counting_iteratorIjlEEPS9_SE_NS0_5tupleIJPjSE_EEENSF_IJSE_SE_EEES9_SG_JZNS1_25segmented_radix_sort_implINS0_14default_configELb0EPKbPbPKlPlN2at6native12_GLOBAL__N_18offset_tEEE10hipError_tPvRmT1_PNSt15iterator_traitsISY_E10value_typeET2_T3_PNSZ_IS14_E10value_typeET4_jRbjT5_S1A_jjP12ihipStream_tbEUljE_EEESV_SW_SX_S14_S18_S1A_T6_T7_T9_mT8_S1C_bDpT10_ENKUlT_T0_E_clISt17integral_constantIbLb1EES1P_EEDaS1K_S1L_EUlS1K_E_NS1_11comp_targetILNS1_3genE5ELNS1_11target_archE942ELNS1_3gpuE9ELNS1_3repE0EEENS1_30default_config_static_selectorELNS0_4arch9wavefront6targetE1EEEvSY_ ; -- Begin function _ZN7rocprim17ROCPRIM_400000_NS6detail17trampoline_kernelINS0_13select_configILj256ELj13ELNS0_17block_load_methodE3ELS4_3ELS4_3ELNS0_20block_scan_algorithmE0ELj4294967295EEENS1_25partition_config_selectorILNS1_17partition_subalgoE3EjNS0_10empty_typeEbEEZZNS1_14partition_implILS8_3ELb0ES6_jNS0_17counting_iteratorIjlEEPS9_SE_NS0_5tupleIJPjSE_EEENSF_IJSE_SE_EEES9_SG_JZNS1_25segmented_radix_sort_implINS0_14default_configELb0EPKbPbPKlPlN2at6native12_GLOBAL__N_18offset_tEEE10hipError_tPvRmT1_PNSt15iterator_traitsISY_E10value_typeET2_T3_PNSZ_IS14_E10value_typeET4_jRbjT5_S1A_jjP12ihipStream_tbEUljE_EEESV_SW_SX_S14_S18_S1A_T6_T7_T9_mT8_S1C_bDpT10_ENKUlT_T0_E_clISt17integral_constantIbLb1EES1P_EEDaS1K_S1L_EUlS1K_E_NS1_11comp_targetILNS1_3genE5ELNS1_11target_archE942ELNS1_3gpuE9ELNS1_3repE0EEENS1_30default_config_static_selectorELNS0_4arch9wavefront6targetE1EEEvSY_
	.p2align	8
	.type	_ZN7rocprim17ROCPRIM_400000_NS6detail17trampoline_kernelINS0_13select_configILj256ELj13ELNS0_17block_load_methodE3ELS4_3ELS4_3ELNS0_20block_scan_algorithmE0ELj4294967295EEENS1_25partition_config_selectorILNS1_17partition_subalgoE3EjNS0_10empty_typeEbEEZZNS1_14partition_implILS8_3ELb0ES6_jNS0_17counting_iteratorIjlEEPS9_SE_NS0_5tupleIJPjSE_EEENSF_IJSE_SE_EEES9_SG_JZNS1_25segmented_radix_sort_implINS0_14default_configELb0EPKbPbPKlPlN2at6native12_GLOBAL__N_18offset_tEEE10hipError_tPvRmT1_PNSt15iterator_traitsISY_E10value_typeET2_T3_PNSZ_IS14_E10value_typeET4_jRbjT5_S1A_jjP12ihipStream_tbEUljE_EEESV_SW_SX_S14_S18_S1A_T6_T7_T9_mT8_S1C_bDpT10_ENKUlT_T0_E_clISt17integral_constantIbLb1EES1P_EEDaS1K_S1L_EUlS1K_E_NS1_11comp_targetILNS1_3genE5ELNS1_11target_archE942ELNS1_3gpuE9ELNS1_3repE0EEENS1_30default_config_static_selectorELNS0_4arch9wavefront6targetE1EEEvSY_,@function
_ZN7rocprim17ROCPRIM_400000_NS6detail17trampoline_kernelINS0_13select_configILj256ELj13ELNS0_17block_load_methodE3ELS4_3ELS4_3ELNS0_20block_scan_algorithmE0ELj4294967295EEENS1_25partition_config_selectorILNS1_17partition_subalgoE3EjNS0_10empty_typeEbEEZZNS1_14partition_implILS8_3ELb0ES6_jNS0_17counting_iteratorIjlEEPS9_SE_NS0_5tupleIJPjSE_EEENSF_IJSE_SE_EEES9_SG_JZNS1_25segmented_radix_sort_implINS0_14default_configELb0EPKbPbPKlPlN2at6native12_GLOBAL__N_18offset_tEEE10hipError_tPvRmT1_PNSt15iterator_traitsISY_E10value_typeET2_T3_PNSZ_IS14_E10value_typeET4_jRbjT5_S1A_jjP12ihipStream_tbEUljE_EEESV_SW_SX_S14_S18_S1A_T6_T7_T9_mT8_S1C_bDpT10_ENKUlT_T0_E_clISt17integral_constantIbLb1EES1P_EEDaS1K_S1L_EUlS1K_E_NS1_11comp_targetILNS1_3genE5ELNS1_11target_archE942ELNS1_3gpuE9ELNS1_3repE0EEENS1_30default_config_static_selectorELNS0_4arch9wavefront6targetE1EEEvSY_: ; @_ZN7rocprim17ROCPRIM_400000_NS6detail17trampoline_kernelINS0_13select_configILj256ELj13ELNS0_17block_load_methodE3ELS4_3ELS4_3ELNS0_20block_scan_algorithmE0ELj4294967295EEENS1_25partition_config_selectorILNS1_17partition_subalgoE3EjNS0_10empty_typeEbEEZZNS1_14partition_implILS8_3ELb0ES6_jNS0_17counting_iteratorIjlEEPS9_SE_NS0_5tupleIJPjSE_EEENSF_IJSE_SE_EEES9_SG_JZNS1_25segmented_radix_sort_implINS0_14default_configELb0EPKbPbPKlPlN2at6native12_GLOBAL__N_18offset_tEEE10hipError_tPvRmT1_PNSt15iterator_traitsISY_E10value_typeET2_T3_PNSZ_IS14_E10value_typeET4_jRbjT5_S1A_jjP12ihipStream_tbEUljE_EEESV_SW_SX_S14_S18_S1A_T6_T7_T9_mT8_S1C_bDpT10_ENKUlT_T0_E_clISt17integral_constantIbLb1EES1P_EEDaS1K_S1L_EUlS1K_E_NS1_11comp_targetILNS1_3genE5ELNS1_11target_archE942ELNS1_3gpuE9ELNS1_3repE0EEENS1_30default_config_static_selectorELNS0_4arch9wavefront6targetE1EEEvSY_
; %bb.0:
	.section	.rodata,"a",@progbits
	.p2align	6, 0x0
	.amdhsa_kernel _ZN7rocprim17ROCPRIM_400000_NS6detail17trampoline_kernelINS0_13select_configILj256ELj13ELNS0_17block_load_methodE3ELS4_3ELS4_3ELNS0_20block_scan_algorithmE0ELj4294967295EEENS1_25partition_config_selectorILNS1_17partition_subalgoE3EjNS0_10empty_typeEbEEZZNS1_14partition_implILS8_3ELb0ES6_jNS0_17counting_iteratorIjlEEPS9_SE_NS0_5tupleIJPjSE_EEENSF_IJSE_SE_EEES9_SG_JZNS1_25segmented_radix_sort_implINS0_14default_configELb0EPKbPbPKlPlN2at6native12_GLOBAL__N_18offset_tEEE10hipError_tPvRmT1_PNSt15iterator_traitsISY_E10value_typeET2_T3_PNSZ_IS14_E10value_typeET4_jRbjT5_S1A_jjP12ihipStream_tbEUljE_EEESV_SW_SX_S14_S18_S1A_T6_T7_T9_mT8_S1C_bDpT10_ENKUlT_T0_E_clISt17integral_constantIbLb1EES1P_EEDaS1K_S1L_EUlS1K_E_NS1_11comp_targetILNS1_3genE5ELNS1_11target_archE942ELNS1_3gpuE9ELNS1_3repE0EEENS1_30default_config_static_selectorELNS0_4arch9wavefront6targetE1EEEvSY_
		.amdhsa_group_segment_fixed_size 0
		.amdhsa_private_segment_fixed_size 0
		.amdhsa_kernarg_size 152
		.amdhsa_user_sgpr_count 6
		.amdhsa_user_sgpr_private_segment_buffer 1
		.amdhsa_user_sgpr_dispatch_ptr 0
		.amdhsa_user_sgpr_queue_ptr 0
		.amdhsa_user_sgpr_kernarg_segment_ptr 1
		.amdhsa_user_sgpr_dispatch_id 0
		.amdhsa_user_sgpr_flat_scratch_init 0
		.amdhsa_user_sgpr_private_segment_size 0
		.amdhsa_uses_dynamic_stack 0
		.amdhsa_system_sgpr_private_segment_wavefront_offset 0
		.amdhsa_system_sgpr_workgroup_id_x 1
		.amdhsa_system_sgpr_workgroup_id_y 0
		.amdhsa_system_sgpr_workgroup_id_z 0
		.amdhsa_system_sgpr_workgroup_info 0
		.amdhsa_system_vgpr_workitem_id 0
		.amdhsa_next_free_vgpr 1
		.amdhsa_next_free_sgpr 0
		.amdhsa_reserve_vcc 0
		.amdhsa_reserve_flat_scratch 0
		.amdhsa_float_round_mode_32 0
		.amdhsa_float_round_mode_16_64 0
		.amdhsa_float_denorm_mode_32 3
		.amdhsa_float_denorm_mode_16_64 3
		.amdhsa_dx10_clamp 1
		.amdhsa_ieee_mode 1
		.amdhsa_fp16_overflow 0
		.amdhsa_exception_fp_ieee_invalid_op 0
		.amdhsa_exception_fp_denorm_src 0
		.amdhsa_exception_fp_ieee_div_zero 0
		.amdhsa_exception_fp_ieee_overflow 0
		.amdhsa_exception_fp_ieee_underflow 0
		.amdhsa_exception_fp_ieee_inexact 0
		.amdhsa_exception_int_div_zero 0
	.end_amdhsa_kernel
	.section	.text._ZN7rocprim17ROCPRIM_400000_NS6detail17trampoline_kernelINS0_13select_configILj256ELj13ELNS0_17block_load_methodE3ELS4_3ELS4_3ELNS0_20block_scan_algorithmE0ELj4294967295EEENS1_25partition_config_selectorILNS1_17partition_subalgoE3EjNS0_10empty_typeEbEEZZNS1_14partition_implILS8_3ELb0ES6_jNS0_17counting_iteratorIjlEEPS9_SE_NS0_5tupleIJPjSE_EEENSF_IJSE_SE_EEES9_SG_JZNS1_25segmented_radix_sort_implINS0_14default_configELb0EPKbPbPKlPlN2at6native12_GLOBAL__N_18offset_tEEE10hipError_tPvRmT1_PNSt15iterator_traitsISY_E10value_typeET2_T3_PNSZ_IS14_E10value_typeET4_jRbjT5_S1A_jjP12ihipStream_tbEUljE_EEESV_SW_SX_S14_S18_S1A_T6_T7_T9_mT8_S1C_bDpT10_ENKUlT_T0_E_clISt17integral_constantIbLb1EES1P_EEDaS1K_S1L_EUlS1K_E_NS1_11comp_targetILNS1_3genE5ELNS1_11target_archE942ELNS1_3gpuE9ELNS1_3repE0EEENS1_30default_config_static_selectorELNS0_4arch9wavefront6targetE1EEEvSY_,"axG",@progbits,_ZN7rocprim17ROCPRIM_400000_NS6detail17trampoline_kernelINS0_13select_configILj256ELj13ELNS0_17block_load_methodE3ELS4_3ELS4_3ELNS0_20block_scan_algorithmE0ELj4294967295EEENS1_25partition_config_selectorILNS1_17partition_subalgoE3EjNS0_10empty_typeEbEEZZNS1_14partition_implILS8_3ELb0ES6_jNS0_17counting_iteratorIjlEEPS9_SE_NS0_5tupleIJPjSE_EEENSF_IJSE_SE_EEES9_SG_JZNS1_25segmented_radix_sort_implINS0_14default_configELb0EPKbPbPKlPlN2at6native12_GLOBAL__N_18offset_tEEE10hipError_tPvRmT1_PNSt15iterator_traitsISY_E10value_typeET2_T3_PNSZ_IS14_E10value_typeET4_jRbjT5_S1A_jjP12ihipStream_tbEUljE_EEESV_SW_SX_S14_S18_S1A_T6_T7_T9_mT8_S1C_bDpT10_ENKUlT_T0_E_clISt17integral_constantIbLb1EES1P_EEDaS1K_S1L_EUlS1K_E_NS1_11comp_targetILNS1_3genE5ELNS1_11target_archE942ELNS1_3gpuE9ELNS1_3repE0EEENS1_30default_config_static_selectorELNS0_4arch9wavefront6targetE1EEEvSY_,comdat
.Lfunc_end1612:
	.size	_ZN7rocprim17ROCPRIM_400000_NS6detail17trampoline_kernelINS0_13select_configILj256ELj13ELNS0_17block_load_methodE3ELS4_3ELS4_3ELNS0_20block_scan_algorithmE0ELj4294967295EEENS1_25partition_config_selectorILNS1_17partition_subalgoE3EjNS0_10empty_typeEbEEZZNS1_14partition_implILS8_3ELb0ES6_jNS0_17counting_iteratorIjlEEPS9_SE_NS0_5tupleIJPjSE_EEENSF_IJSE_SE_EEES9_SG_JZNS1_25segmented_radix_sort_implINS0_14default_configELb0EPKbPbPKlPlN2at6native12_GLOBAL__N_18offset_tEEE10hipError_tPvRmT1_PNSt15iterator_traitsISY_E10value_typeET2_T3_PNSZ_IS14_E10value_typeET4_jRbjT5_S1A_jjP12ihipStream_tbEUljE_EEESV_SW_SX_S14_S18_S1A_T6_T7_T9_mT8_S1C_bDpT10_ENKUlT_T0_E_clISt17integral_constantIbLb1EES1P_EEDaS1K_S1L_EUlS1K_E_NS1_11comp_targetILNS1_3genE5ELNS1_11target_archE942ELNS1_3gpuE9ELNS1_3repE0EEENS1_30default_config_static_selectorELNS0_4arch9wavefront6targetE1EEEvSY_, .Lfunc_end1612-_ZN7rocprim17ROCPRIM_400000_NS6detail17trampoline_kernelINS0_13select_configILj256ELj13ELNS0_17block_load_methodE3ELS4_3ELS4_3ELNS0_20block_scan_algorithmE0ELj4294967295EEENS1_25partition_config_selectorILNS1_17partition_subalgoE3EjNS0_10empty_typeEbEEZZNS1_14partition_implILS8_3ELb0ES6_jNS0_17counting_iteratorIjlEEPS9_SE_NS0_5tupleIJPjSE_EEENSF_IJSE_SE_EEES9_SG_JZNS1_25segmented_radix_sort_implINS0_14default_configELb0EPKbPbPKlPlN2at6native12_GLOBAL__N_18offset_tEEE10hipError_tPvRmT1_PNSt15iterator_traitsISY_E10value_typeET2_T3_PNSZ_IS14_E10value_typeET4_jRbjT5_S1A_jjP12ihipStream_tbEUljE_EEESV_SW_SX_S14_S18_S1A_T6_T7_T9_mT8_S1C_bDpT10_ENKUlT_T0_E_clISt17integral_constantIbLb1EES1P_EEDaS1K_S1L_EUlS1K_E_NS1_11comp_targetILNS1_3genE5ELNS1_11target_archE942ELNS1_3gpuE9ELNS1_3repE0EEENS1_30default_config_static_selectorELNS0_4arch9wavefront6targetE1EEEvSY_
                                        ; -- End function
	.set _ZN7rocprim17ROCPRIM_400000_NS6detail17trampoline_kernelINS0_13select_configILj256ELj13ELNS0_17block_load_methodE3ELS4_3ELS4_3ELNS0_20block_scan_algorithmE0ELj4294967295EEENS1_25partition_config_selectorILNS1_17partition_subalgoE3EjNS0_10empty_typeEbEEZZNS1_14partition_implILS8_3ELb0ES6_jNS0_17counting_iteratorIjlEEPS9_SE_NS0_5tupleIJPjSE_EEENSF_IJSE_SE_EEES9_SG_JZNS1_25segmented_radix_sort_implINS0_14default_configELb0EPKbPbPKlPlN2at6native12_GLOBAL__N_18offset_tEEE10hipError_tPvRmT1_PNSt15iterator_traitsISY_E10value_typeET2_T3_PNSZ_IS14_E10value_typeET4_jRbjT5_S1A_jjP12ihipStream_tbEUljE_EEESV_SW_SX_S14_S18_S1A_T6_T7_T9_mT8_S1C_bDpT10_ENKUlT_T0_E_clISt17integral_constantIbLb1EES1P_EEDaS1K_S1L_EUlS1K_E_NS1_11comp_targetILNS1_3genE5ELNS1_11target_archE942ELNS1_3gpuE9ELNS1_3repE0EEENS1_30default_config_static_selectorELNS0_4arch9wavefront6targetE1EEEvSY_.num_vgpr, 0
	.set _ZN7rocprim17ROCPRIM_400000_NS6detail17trampoline_kernelINS0_13select_configILj256ELj13ELNS0_17block_load_methodE3ELS4_3ELS4_3ELNS0_20block_scan_algorithmE0ELj4294967295EEENS1_25partition_config_selectorILNS1_17partition_subalgoE3EjNS0_10empty_typeEbEEZZNS1_14partition_implILS8_3ELb0ES6_jNS0_17counting_iteratorIjlEEPS9_SE_NS0_5tupleIJPjSE_EEENSF_IJSE_SE_EEES9_SG_JZNS1_25segmented_radix_sort_implINS0_14default_configELb0EPKbPbPKlPlN2at6native12_GLOBAL__N_18offset_tEEE10hipError_tPvRmT1_PNSt15iterator_traitsISY_E10value_typeET2_T3_PNSZ_IS14_E10value_typeET4_jRbjT5_S1A_jjP12ihipStream_tbEUljE_EEESV_SW_SX_S14_S18_S1A_T6_T7_T9_mT8_S1C_bDpT10_ENKUlT_T0_E_clISt17integral_constantIbLb1EES1P_EEDaS1K_S1L_EUlS1K_E_NS1_11comp_targetILNS1_3genE5ELNS1_11target_archE942ELNS1_3gpuE9ELNS1_3repE0EEENS1_30default_config_static_selectorELNS0_4arch9wavefront6targetE1EEEvSY_.num_agpr, 0
	.set _ZN7rocprim17ROCPRIM_400000_NS6detail17trampoline_kernelINS0_13select_configILj256ELj13ELNS0_17block_load_methodE3ELS4_3ELS4_3ELNS0_20block_scan_algorithmE0ELj4294967295EEENS1_25partition_config_selectorILNS1_17partition_subalgoE3EjNS0_10empty_typeEbEEZZNS1_14partition_implILS8_3ELb0ES6_jNS0_17counting_iteratorIjlEEPS9_SE_NS0_5tupleIJPjSE_EEENSF_IJSE_SE_EEES9_SG_JZNS1_25segmented_radix_sort_implINS0_14default_configELb0EPKbPbPKlPlN2at6native12_GLOBAL__N_18offset_tEEE10hipError_tPvRmT1_PNSt15iterator_traitsISY_E10value_typeET2_T3_PNSZ_IS14_E10value_typeET4_jRbjT5_S1A_jjP12ihipStream_tbEUljE_EEESV_SW_SX_S14_S18_S1A_T6_T7_T9_mT8_S1C_bDpT10_ENKUlT_T0_E_clISt17integral_constantIbLb1EES1P_EEDaS1K_S1L_EUlS1K_E_NS1_11comp_targetILNS1_3genE5ELNS1_11target_archE942ELNS1_3gpuE9ELNS1_3repE0EEENS1_30default_config_static_selectorELNS0_4arch9wavefront6targetE1EEEvSY_.numbered_sgpr, 0
	.set _ZN7rocprim17ROCPRIM_400000_NS6detail17trampoline_kernelINS0_13select_configILj256ELj13ELNS0_17block_load_methodE3ELS4_3ELS4_3ELNS0_20block_scan_algorithmE0ELj4294967295EEENS1_25partition_config_selectorILNS1_17partition_subalgoE3EjNS0_10empty_typeEbEEZZNS1_14partition_implILS8_3ELb0ES6_jNS0_17counting_iteratorIjlEEPS9_SE_NS0_5tupleIJPjSE_EEENSF_IJSE_SE_EEES9_SG_JZNS1_25segmented_radix_sort_implINS0_14default_configELb0EPKbPbPKlPlN2at6native12_GLOBAL__N_18offset_tEEE10hipError_tPvRmT1_PNSt15iterator_traitsISY_E10value_typeET2_T3_PNSZ_IS14_E10value_typeET4_jRbjT5_S1A_jjP12ihipStream_tbEUljE_EEESV_SW_SX_S14_S18_S1A_T6_T7_T9_mT8_S1C_bDpT10_ENKUlT_T0_E_clISt17integral_constantIbLb1EES1P_EEDaS1K_S1L_EUlS1K_E_NS1_11comp_targetILNS1_3genE5ELNS1_11target_archE942ELNS1_3gpuE9ELNS1_3repE0EEENS1_30default_config_static_selectorELNS0_4arch9wavefront6targetE1EEEvSY_.num_named_barrier, 0
	.set _ZN7rocprim17ROCPRIM_400000_NS6detail17trampoline_kernelINS0_13select_configILj256ELj13ELNS0_17block_load_methodE3ELS4_3ELS4_3ELNS0_20block_scan_algorithmE0ELj4294967295EEENS1_25partition_config_selectorILNS1_17partition_subalgoE3EjNS0_10empty_typeEbEEZZNS1_14partition_implILS8_3ELb0ES6_jNS0_17counting_iteratorIjlEEPS9_SE_NS0_5tupleIJPjSE_EEENSF_IJSE_SE_EEES9_SG_JZNS1_25segmented_radix_sort_implINS0_14default_configELb0EPKbPbPKlPlN2at6native12_GLOBAL__N_18offset_tEEE10hipError_tPvRmT1_PNSt15iterator_traitsISY_E10value_typeET2_T3_PNSZ_IS14_E10value_typeET4_jRbjT5_S1A_jjP12ihipStream_tbEUljE_EEESV_SW_SX_S14_S18_S1A_T6_T7_T9_mT8_S1C_bDpT10_ENKUlT_T0_E_clISt17integral_constantIbLb1EES1P_EEDaS1K_S1L_EUlS1K_E_NS1_11comp_targetILNS1_3genE5ELNS1_11target_archE942ELNS1_3gpuE9ELNS1_3repE0EEENS1_30default_config_static_selectorELNS0_4arch9wavefront6targetE1EEEvSY_.private_seg_size, 0
	.set _ZN7rocprim17ROCPRIM_400000_NS6detail17trampoline_kernelINS0_13select_configILj256ELj13ELNS0_17block_load_methodE3ELS4_3ELS4_3ELNS0_20block_scan_algorithmE0ELj4294967295EEENS1_25partition_config_selectorILNS1_17partition_subalgoE3EjNS0_10empty_typeEbEEZZNS1_14partition_implILS8_3ELb0ES6_jNS0_17counting_iteratorIjlEEPS9_SE_NS0_5tupleIJPjSE_EEENSF_IJSE_SE_EEES9_SG_JZNS1_25segmented_radix_sort_implINS0_14default_configELb0EPKbPbPKlPlN2at6native12_GLOBAL__N_18offset_tEEE10hipError_tPvRmT1_PNSt15iterator_traitsISY_E10value_typeET2_T3_PNSZ_IS14_E10value_typeET4_jRbjT5_S1A_jjP12ihipStream_tbEUljE_EEESV_SW_SX_S14_S18_S1A_T6_T7_T9_mT8_S1C_bDpT10_ENKUlT_T0_E_clISt17integral_constantIbLb1EES1P_EEDaS1K_S1L_EUlS1K_E_NS1_11comp_targetILNS1_3genE5ELNS1_11target_archE942ELNS1_3gpuE9ELNS1_3repE0EEENS1_30default_config_static_selectorELNS0_4arch9wavefront6targetE1EEEvSY_.uses_vcc, 0
	.set _ZN7rocprim17ROCPRIM_400000_NS6detail17trampoline_kernelINS0_13select_configILj256ELj13ELNS0_17block_load_methodE3ELS4_3ELS4_3ELNS0_20block_scan_algorithmE0ELj4294967295EEENS1_25partition_config_selectorILNS1_17partition_subalgoE3EjNS0_10empty_typeEbEEZZNS1_14partition_implILS8_3ELb0ES6_jNS0_17counting_iteratorIjlEEPS9_SE_NS0_5tupleIJPjSE_EEENSF_IJSE_SE_EEES9_SG_JZNS1_25segmented_radix_sort_implINS0_14default_configELb0EPKbPbPKlPlN2at6native12_GLOBAL__N_18offset_tEEE10hipError_tPvRmT1_PNSt15iterator_traitsISY_E10value_typeET2_T3_PNSZ_IS14_E10value_typeET4_jRbjT5_S1A_jjP12ihipStream_tbEUljE_EEESV_SW_SX_S14_S18_S1A_T6_T7_T9_mT8_S1C_bDpT10_ENKUlT_T0_E_clISt17integral_constantIbLb1EES1P_EEDaS1K_S1L_EUlS1K_E_NS1_11comp_targetILNS1_3genE5ELNS1_11target_archE942ELNS1_3gpuE9ELNS1_3repE0EEENS1_30default_config_static_selectorELNS0_4arch9wavefront6targetE1EEEvSY_.uses_flat_scratch, 0
	.set _ZN7rocprim17ROCPRIM_400000_NS6detail17trampoline_kernelINS0_13select_configILj256ELj13ELNS0_17block_load_methodE3ELS4_3ELS4_3ELNS0_20block_scan_algorithmE0ELj4294967295EEENS1_25partition_config_selectorILNS1_17partition_subalgoE3EjNS0_10empty_typeEbEEZZNS1_14partition_implILS8_3ELb0ES6_jNS0_17counting_iteratorIjlEEPS9_SE_NS0_5tupleIJPjSE_EEENSF_IJSE_SE_EEES9_SG_JZNS1_25segmented_radix_sort_implINS0_14default_configELb0EPKbPbPKlPlN2at6native12_GLOBAL__N_18offset_tEEE10hipError_tPvRmT1_PNSt15iterator_traitsISY_E10value_typeET2_T3_PNSZ_IS14_E10value_typeET4_jRbjT5_S1A_jjP12ihipStream_tbEUljE_EEESV_SW_SX_S14_S18_S1A_T6_T7_T9_mT8_S1C_bDpT10_ENKUlT_T0_E_clISt17integral_constantIbLb1EES1P_EEDaS1K_S1L_EUlS1K_E_NS1_11comp_targetILNS1_3genE5ELNS1_11target_archE942ELNS1_3gpuE9ELNS1_3repE0EEENS1_30default_config_static_selectorELNS0_4arch9wavefront6targetE1EEEvSY_.has_dyn_sized_stack, 0
	.set _ZN7rocprim17ROCPRIM_400000_NS6detail17trampoline_kernelINS0_13select_configILj256ELj13ELNS0_17block_load_methodE3ELS4_3ELS4_3ELNS0_20block_scan_algorithmE0ELj4294967295EEENS1_25partition_config_selectorILNS1_17partition_subalgoE3EjNS0_10empty_typeEbEEZZNS1_14partition_implILS8_3ELb0ES6_jNS0_17counting_iteratorIjlEEPS9_SE_NS0_5tupleIJPjSE_EEENSF_IJSE_SE_EEES9_SG_JZNS1_25segmented_radix_sort_implINS0_14default_configELb0EPKbPbPKlPlN2at6native12_GLOBAL__N_18offset_tEEE10hipError_tPvRmT1_PNSt15iterator_traitsISY_E10value_typeET2_T3_PNSZ_IS14_E10value_typeET4_jRbjT5_S1A_jjP12ihipStream_tbEUljE_EEESV_SW_SX_S14_S18_S1A_T6_T7_T9_mT8_S1C_bDpT10_ENKUlT_T0_E_clISt17integral_constantIbLb1EES1P_EEDaS1K_S1L_EUlS1K_E_NS1_11comp_targetILNS1_3genE5ELNS1_11target_archE942ELNS1_3gpuE9ELNS1_3repE0EEENS1_30default_config_static_selectorELNS0_4arch9wavefront6targetE1EEEvSY_.has_recursion, 0
	.set _ZN7rocprim17ROCPRIM_400000_NS6detail17trampoline_kernelINS0_13select_configILj256ELj13ELNS0_17block_load_methodE3ELS4_3ELS4_3ELNS0_20block_scan_algorithmE0ELj4294967295EEENS1_25partition_config_selectorILNS1_17partition_subalgoE3EjNS0_10empty_typeEbEEZZNS1_14partition_implILS8_3ELb0ES6_jNS0_17counting_iteratorIjlEEPS9_SE_NS0_5tupleIJPjSE_EEENSF_IJSE_SE_EEES9_SG_JZNS1_25segmented_radix_sort_implINS0_14default_configELb0EPKbPbPKlPlN2at6native12_GLOBAL__N_18offset_tEEE10hipError_tPvRmT1_PNSt15iterator_traitsISY_E10value_typeET2_T3_PNSZ_IS14_E10value_typeET4_jRbjT5_S1A_jjP12ihipStream_tbEUljE_EEESV_SW_SX_S14_S18_S1A_T6_T7_T9_mT8_S1C_bDpT10_ENKUlT_T0_E_clISt17integral_constantIbLb1EES1P_EEDaS1K_S1L_EUlS1K_E_NS1_11comp_targetILNS1_3genE5ELNS1_11target_archE942ELNS1_3gpuE9ELNS1_3repE0EEENS1_30default_config_static_selectorELNS0_4arch9wavefront6targetE1EEEvSY_.has_indirect_call, 0
	.section	.AMDGPU.csdata,"",@progbits
; Kernel info:
; codeLenInByte = 0
; TotalNumSgprs: 4
; NumVgprs: 0
; ScratchSize: 0
; MemoryBound: 0
; FloatMode: 240
; IeeeMode: 1
; LDSByteSize: 0 bytes/workgroup (compile time only)
; SGPRBlocks: 0
; VGPRBlocks: 0
; NumSGPRsForWavesPerEU: 4
; NumVGPRsForWavesPerEU: 1
; Occupancy: 10
; WaveLimiterHint : 0
; COMPUTE_PGM_RSRC2:SCRATCH_EN: 0
; COMPUTE_PGM_RSRC2:USER_SGPR: 6
; COMPUTE_PGM_RSRC2:TRAP_HANDLER: 0
; COMPUTE_PGM_RSRC2:TGID_X_EN: 1
; COMPUTE_PGM_RSRC2:TGID_Y_EN: 0
; COMPUTE_PGM_RSRC2:TGID_Z_EN: 0
; COMPUTE_PGM_RSRC2:TIDIG_COMP_CNT: 0
	.section	.text._ZN7rocprim17ROCPRIM_400000_NS6detail17trampoline_kernelINS0_13select_configILj256ELj13ELNS0_17block_load_methodE3ELS4_3ELS4_3ELNS0_20block_scan_algorithmE0ELj4294967295EEENS1_25partition_config_selectorILNS1_17partition_subalgoE3EjNS0_10empty_typeEbEEZZNS1_14partition_implILS8_3ELb0ES6_jNS0_17counting_iteratorIjlEEPS9_SE_NS0_5tupleIJPjSE_EEENSF_IJSE_SE_EEES9_SG_JZNS1_25segmented_radix_sort_implINS0_14default_configELb0EPKbPbPKlPlN2at6native12_GLOBAL__N_18offset_tEEE10hipError_tPvRmT1_PNSt15iterator_traitsISY_E10value_typeET2_T3_PNSZ_IS14_E10value_typeET4_jRbjT5_S1A_jjP12ihipStream_tbEUljE_EEESV_SW_SX_S14_S18_S1A_T6_T7_T9_mT8_S1C_bDpT10_ENKUlT_T0_E_clISt17integral_constantIbLb1EES1P_EEDaS1K_S1L_EUlS1K_E_NS1_11comp_targetILNS1_3genE4ELNS1_11target_archE910ELNS1_3gpuE8ELNS1_3repE0EEENS1_30default_config_static_selectorELNS0_4arch9wavefront6targetE1EEEvSY_,"axG",@progbits,_ZN7rocprim17ROCPRIM_400000_NS6detail17trampoline_kernelINS0_13select_configILj256ELj13ELNS0_17block_load_methodE3ELS4_3ELS4_3ELNS0_20block_scan_algorithmE0ELj4294967295EEENS1_25partition_config_selectorILNS1_17partition_subalgoE3EjNS0_10empty_typeEbEEZZNS1_14partition_implILS8_3ELb0ES6_jNS0_17counting_iteratorIjlEEPS9_SE_NS0_5tupleIJPjSE_EEENSF_IJSE_SE_EEES9_SG_JZNS1_25segmented_radix_sort_implINS0_14default_configELb0EPKbPbPKlPlN2at6native12_GLOBAL__N_18offset_tEEE10hipError_tPvRmT1_PNSt15iterator_traitsISY_E10value_typeET2_T3_PNSZ_IS14_E10value_typeET4_jRbjT5_S1A_jjP12ihipStream_tbEUljE_EEESV_SW_SX_S14_S18_S1A_T6_T7_T9_mT8_S1C_bDpT10_ENKUlT_T0_E_clISt17integral_constantIbLb1EES1P_EEDaS1K_S1L_EUlS1K_E_NS1_11comp_targetILNS1_3genE4ELNS1_11target_archE910ELNS1_3gpuE8ELNS1_3repE0EEENS1_30default_config_static_selectorELNS0_4arch9wavefront6targetE1EEEvSY_,comdat
	.globl	_ZN7rocprim17ROCPRIM_400000_NS6detail17trampoline_kernelINS0_13select_configILj256ELj13ELNS0_17block_load_methodE3ELS4_3ELS4_3ELNS0_20block_scan_algorithmE0ELj4294967295EEENS1_25partition_config_selectorILNS1_17partition_subalgoE3EjNS0_10empty_typeEbEEZZNS1_14partition_implILS8_3ELb0ES6_jNS0_17counting_iteratorIjlEEPS9_SE_NS0_5tupleIJPjSE_EEENSF_IJSE_SE_EEES9_SG_JZNS1_25segmented_radix_sort_implINS0_14default_configELb0EPKbPbPKlPlN2at6native12_GLOBAL__N_18offset_tEEE10hipError_tPvRmT1_PNSt15iterator_traitsISY_E10value_typeET2_T3_PNSZ_IS14_E10value_typeET4_jRbjT5_S1A_jjP12ihipStream_tbEUljE_EEESV_SW_SX_S14_S18_S1A_T6_T7_T9_mT8_S1C_bDpT10_ENKUlT_T0_E_clISt17integral_constantIbLb1EES1P_EEDaS1K_S1L_EUlS1K_E_NS1_11comp_targetILNS1_3genE4ELNS1_11target_archE910ELNS1_3gpuE8ELNS1_3repE0EEENS1_30default_config_static_selectorELNS0_4arch9wavefront6targetE1EEEvSY_ ; -- Begin function _ZN7rocprim17ROCPRIM_400000_NS6detail17trampoline_kernelINS0_13select_configILj256ELj13ELNS0_17block_load_methodE3ELS4_3ELS4_3ELNS0_20block_scan_algorithmE0ELj4294967295EEENS1_25partition_config_selectorILNS1_17partition_subalgoE3EjNS0_10empty_typeEbEEZZNS1_14partition_implILS8_3ELb0ES6_jNS0_17counting_iteratorIjlEEPS9_SE_NS0_5tupleIJPjSE_EEENSF_IJSE_SE_EEES9_SG_JZNS1_25segmented_radix_sort_implINS0_14default_configELb0EPKbPbPKlPlN2at6native12_GLOBAL__N_18offset_tEEE10hipError_tPvRmT1_PNSt15iterator_traitsISY_E10value_typeET2_T3_PNSZ_IS14_E10value_typeET4_jRbjT5_S1A_jjP12ihipStream_tbEUljE_EEESV_SW_SX_S14_S18_S1A_T6_T7_T9_mT8_S1C_bDpT10_ENKUlT_T0_E_clISt17integral_constantIbLb1EES1P_EEDaS1K_S1L_EUlS1K_E_NS1_11comp_targetILNS1_3genE4ELNS1_11target_archE910ELNS1_3gpuE8ELNS1_3repE0EEENS1_30default_config_static_selectorELNS0_4arch9wavefront6targetE1EEEvSY_
	.p2align	8
	.type	_ZN7rocprim17ROCPRIM_400000_NS6detail17trampoline_kernelINS0_13select_configILj256ELj13ELNS0_17block_load_methodE3ELS4_3ELS4_3ELNS0_20block_scan_algorithmE0ELj4294967295EEENS1_25partition_config_selectorILNS1_17partition_subalgoE3EjNS0_10empty_typeEbEEZZNS1_14partition_implILS8_3ELb0ES6_jNS0_17counting_iteratorIjlEEPS9_SE_NS0_5tupleIJPjSE_EEENSF_IJSE_SE_EEES9_SG_JZNS1_25segmented_radix_sort_implINS0_14default_configELb0EPKbPbPKlPlN2at6native12_GLOBAL__N_18offset_tEEE10hipError_tPvRmT1_PNSt15iterator_traitsISY_E10value_typeET2_T3_PNSZ_IS14_E10value_typeET4_jRbjT5_S1A_jjP12ihipStream_tbEUljE_EEESV_SW_SX_S14_S18_S1A_T6_T7_T9_mT8_S1C_bDpT10_ENKUlT_T0_E_clISt17integral_constantIbLb1EES1P_EEDaS1K_S1L_EUlS1K_E_NS1_11comp_targetILNS1_3genE4ELNS1_11target_archE910ELNS1_3gpuE8ELNS1_3repE0EEENS1_30default_config_static_selectorELNS0_4arch9wavefront6targetE1EEEvSY_,@function
_ZN7rocprim17ROCPRIM_400000_NS6detail17trampoline_kernelINS0_13select_configILj256ELj13ELNS0_17block_load_methodE3ELS4_3ELS4_3ELNS0_20block_scan_algorithmE0ELj4294967295EEENS1_25partition_config_selectorILNS1_17partition_subalgoE3EjNS0_10empty_typeEbEEZZNS1_14partition_implILS8_3ELb0ES6_jNS0_17counting_iteratorIjlEEPS9_SE_NS0_5tupleIJPjSE_EEENSF_IJSE_SE_EEES9_SG_JZNS1_25segmented_radix_sort_implINS0_14default_configELb0EPKbPbPKlPlN2at6native12_GLOBAL__N_18offset_tEEE10hipError_tPvRmT1_PNSt15iterator_traitsISY_E10value_typeET2_T3_PNSZ_IS14_E10value_typeET4_jRbjT5_S1A_jjP12ihipStream_tbEUljE_EEESV_SW_SX_S14_S18_S1A_T6_T7_T9_mT8_S1C_bDpT10_ENKUlT_T0_E_clISt17integral_constantIbLb1EES1P_EEDaS1K_S1L_EUlS1K_E_NS1_11comp_targetILNS1_3genE4ELNS1_11target_archE910ELNS1_3gpuE8ELNS1_3repE0EEENS1_30default_config_static_selectorELNS0_4arch9wavefront6targetE1EEEvSY_: ; @_ZN7rocprim17ROCPRIM_400000_NS6detail17trampoline_kernelINS0_13select_configILj256ELj13ELNS0_17block_load_methodE3ELS4_3ELS4_3ELNS0_20block_scan_algorithmE0ELj4294967295EEENS1_25partition_config_selectorILNS1_17partition_subalgoE3EjNS0_10empty_typeEbEEZZNS1_14partition_implILS8_3ELb0ES6_jNS0_17counting_iteratorIjlEEPS9_SE_NS0_5tupleIJPjSE_EEENSF_IJSE_SE_EEES9_SG_JZNS1_25segmented_radix_sort_implINS0_14default_configELb0EPKbPbPKlPlN2at6native12_GLOBAL__N_18offset_tEEE10hipError_tPvRmT1_PNSt15iterator_traitsISY_E10value_typeET2_T3_PNSZ_IS14_E10value_typeET4_jRbjT5_S1A_jjP12ihipStream_tbEUljE_EEESV_SW_SX_S14_S18_S1A_T6_T7_T9_mT8_S1C_bDpT10_ENKUlT_T0_E_clISt17integral_constantIbLb1EES1P_EEDaS1K_S1L_EUlS1K_E_NS1_11comp_targetILNS1_3genE4ELNS1_11target_archE910ELNS1_3gpuE8ELNS1_3repE0EEENS1_30default_config_static_selectorELNS0_4arch9wavefront6targetE1EEEvSY_
; %bb.0:
	.section	.rodata,"a",@progbits
	.p2align	6, 0x0
	.amdhsa_kernel _ZN7rocprim17ROCPRIM_400000_NS6detail17trampoline_kernelINS0_13select_configILj256ELj13ELNS0_17block_load_methodE3ELS4_3ELS4_3ELNS0_20block_scan_algorithmE0ELj4294967295EEENS1_25partition_config_selectorILNS1_17partition_subalgoE3EjNS0_10empty_typeEbEEZZNS1_14partition_implILS8_3ELb0ES6_jNS0_17counting_iteratorIjlEEPS9_SE_NS0_5tupleIJPjSE_EEENSF_IJSE_SE_EEES9_SG_JZNS1_25segmented_radix_sort_implINS0_14default_configELb0EPKbPbPKlPlN2at6native12_GLOBAL__N_18offset_tEEE10hipError_tPvRmT1_PNSt15iterator_traitsISY_E10value_typeET2_T3_PNSZ_IS14_E10value_typeET4_jRbjT5_S1A_jjP12ihipStream_tbEUljE_EEESV_SW_SX_S14_S18_S1A_T6_T7_T9_mT8_S1C_bDpT10_ENKUlT_T0_E_clISt17integral_constantIbLb1EES1P_EEDaS1K_S1L_EUlS1K_E_NS1_11comp_targetILNS1_3genE4ELNS1_11target_archE910ELNS1_3gpuE8ELNS1_3repE0EEENS1_30default_config_static_selectorELNS0_4arch9wavefront6targetE1EEEvSY_
		.amdhsa_group_segment_fixed_size 0
		.amdhsa_private_segment_fixed_size 0
		.amdhsa_kernarg_size 152
		.amdhsa_user_sgpr_count 6
		.amdhsa_user_sgpr_private_segment_buffer 1
		.amdhsa_user_sgpr_dispatch_ptr 0
		.amdhsa_user_sgpr_queue_ptr 0
		.amdhsa_user_sgpr_kernarg_segment_ptr 1
		.amdhsa_user_sgpr_dispatch_id 0
		.amdhsa_user_sgpr_flat_scratch_init 0
		.amdhsa_user_sgpr_private_segment_size 0
		.amdhsa_uses_dynamic_stack 0
		.amdhsa_system_sgpr_private_segment_wavefront_offset 0
		.amdhsa_system_sgpr_workgroup_id_x 1
		.amdhsa_system_sgpr_workgroup_id_y 0
		.amdhsa_system_sgpr_workgroup_id_z 0
		.amdhsa_system_sgpr_workgroup_info 0
		.amdhsa_system_vgpr_workitem_id 0
		.amdhsa_next_free_vgpr 1
		.amdhsa_next_free_sgpr 0
		.amdhsa_reserve_vcc 0
		.amdhsa_reserve_flat_scratch 0
		.amdhsa_float_round_mode_32 0
		.amdhsa_float_round_mode_16_64 0
		.amdhsa_float_denorm_mode_32 3
		.amdhsa_float_denorm_mode_16_64 3
		.amdhsa_dx10_clamp 1
		.amdhsa_ieee_mode 1
		.amdhsa_fp16_overflow 0
		.amdhsa_exception_fp_ieee_invalid_op 0
		.amdhsa_exception_fp_denorm_src 0
		.amdhsa_exception_fp_ieee_div_zero 0
		.amdhsa_exception_fp_ieee_overflow 0
		.amdhsa_exception_fp_ieee_underflow 0
		.amdhsa_exception_fp_ieee_inexact 0
		.amdhsa_exception_int_div_zero 0
	.end_amdhsa_kernel
	.section	.text._ZN7rocprim17ROCPRIM_400000_NS6detail17trampoline_kernelINS0_13select_configILj256ELj13ELNS0_17block_load_methodE3ELS4_3ELS4_3ELNS0_20block_scan_algorithmE0ELj4294967295EEENS1_25partition_config_selectorILNS1_17partition_subalgoE3EjNS0_10empty_typeEbEEZZNS1_14partition_implILS8_3ELb0ES6_jNS0_17counting_iteratorIjlEEPS9_SE_NS0_5tupleIJPjSE_EEENSF_IJSE_SE_EEES9_SG_JZNS1_25segmented_radix_sort_implINS0_14default_configELb0EPKbPbPKlPlN2at6native12_GLOBAL__N_18offset_tEEE10hipError_tPvRmT1_PNSt15iterator_traitsISY_E10value_typeET2_T3_PNSZ_IS14_E10value_typeET4_jRbjT5_S1A_jjP12ihipStream_tbEUljE_EEESV_SW_SX_S14_S18_S1A_T6_T7_T9_mT8_S1C_bDpT10_ENKUlT_T0_E_clISt17integral_constantIbLb1EES1P_EEDaS1K_S1L_EUlS1K_E_NS1_11comp_targetILNS1_3genE4ELNS1_11target_archE910ELNS1_3gpuE8ELNS1_3repE0EEENS1_30default_config_static_selectorELNS0_4arch9wavefront6targetE1EEEvSY_,"axG",@progbits,_ZN7rocprim17ROCPRIM_400000_NS6detail17trampoline_kernelINS0_13select_configILj256ELj13ELNS0_17block_load_methodE3ELS4_3ELS4_3ELNS0_20block_scan_algorithmE0ELj4294967295EEENS1_25partition_config_selectorILNS1_17partition_subalgoE3EjNS0_10empty_typeEbEEZZNS1_14partition_implILS8_3ELb0ES6_jNS0_17counting_iteratorIjlEEPS9_SE_NS0_5tupleIJPjSE_EEENSF_IJSE_SE_EEES9_SG_JZNS1_25segmented_radix_sort_implINS0_14default_configELb0EPKbPbPKlPlN2at6native12_GLOBAL__N_18offset_tEEE10hipError_tPvRmT1_PNSt15iterator_traitsISY_E10value_typeET2_T3_PNSZ_IS14_E10value_typeET4_jRbjT5_S1A_jjP12ihipStream_tbEUljE_EEESV_SW_SX_S14_S18_S1A_T6_T7_T9_mT8_S1C_bDpT10_ENKUlT_T0_E_clISt17integral_constantIbLb1EES1P_EEDaS1K_S1L_EUlS1K_E_NS1_11comp_targetILNS1_3genE4ELNS1_11target_archE910ELNS1_3gpuE8ELNS1_3repE0EEENS1_30default_config_static_selectorELNS0_4arch9wavefront6targetE1EEEvSY_,comdat
.Lfunc_end1613:
	.size	_ZN7rocprim17ROCPRIM_400000_NS6detail17trampoline_kernelINS0_13select_configILj256ELj13ELNS0_17block_load_methodE3ELS4_3ELS4_3ELNS0_20block_scan_algorithmE0ELj4294967295EEENS1_25partition_config_selectorILNS1_17partition_subalgoE3EjNS0_10empty_typeEbEEZZNS1_14partition_implILS8_3ELb0ES6_jNS0_17counting_iteratorIjlEEPS9_SE_NS0_5tupleIJPjSE_EEENSF_IJSE_SE_EEES9_SG_JZNS1_25segmented_radix_sort_implINS0_14default_configELb0EPKbPbPKlPlN2at6native12_GLOBAL__N_18offset_tEEE10hipError_tPvRmT1_PNSt15iterator_traitsISY_E10value_typeET2_T3_PNSZ_IS14_E10value_typeET4_jRbjT5_S1A_jjP12ihipStream_tbEUljE_EEESV_SW_SX_S14_S18_S1A_T6_T7_T9_mT8_S1C_bDpT10_ENKUlT_T0_E_clISt17integral_constantIbLb1EES1P_EEDaS1K_S1L_EUlS1K_E_NS1_11comp_targetILNS1_3genE4ELNS1_11target_archE910ELNS1_3gpuE8ELNS1_3repE0EEENS1_30default_config_static_selectorELNS0_4arch9wavefront6targetE1EEEvSY_, .Lfunc_end1613-_ZN7rocprim17ROCPRIM_400000_NS6detail17trampoline_kernelINS0_13select_configILj256ELj13ELNS0_17block_load_methodE3ELS4_3ELS4_3ELNS0_20block_scan_algorithmE0ELj4294967295EEENS1_25partition_config_selectorILNS1_17partition_subalgoE3EjNS0_10empty_typeEbEEZZNS1_14partition_implILS8_3ELb0ES6_jNS0_17counting_iteratorIjlEEPS9_SE_NS0_5tupleIJPjSE_EEENSF_IJSE_SE_EEES9_SG_JZNS1_25segmented_radix_sort_implINS0_14default_configELb0EPKbPbPKlPlN2at6native12_GLOBAL__N_18offset_tEEE10hipError_tPvRmT1_PNSt15iterator_traitsISY_E10value_typeET2_T3_PNSZ_IS14_E10value_typeET4_jRbjT5_S1A_jjP12ihipStream_tbEUljE_EEESV_SW_SX_S14_S18_S1A_T6_T7_T9_mT8_S1C_bDpT10_ENKUlT_T0_E_clISt17integral_constantIbLb1EES1P_EEDaS1K_S1L_EUlS1K_E_NS1_11comp_targetILNS1_3genE4ELNS1_11target_archE910ELNS1_3gpuE8ELNS1_3repE0EEENS1_30default_config_static_selectorELNS0_4arch9wavefront6targetE1EEEvSY_
                                        ; -- End function
	.set _ZN7rocprim17ROCPRIM_400000_NS6detail17trampoline_kernelINS0_13select_configILj256ELj13ELNS0_17block_load_methodE3ELS4_3ELS4_3ELNS0_20block_scan_algorithmE0ELj4294967295EEENS1_25partition_config_selectorILNS1_17partition_subalgoE3EjNS0_10empty_typeEbEEZZNS1_14partition_implILS8_3ELb0ES6_jNS0_17counting_iteratorIjlEEPS9_SE_NS0_5tupleIJPjSE_EEENSF_IJSE_SE_EEES9_SG_JZNS1_25segmented_radix_sort_implINS0_14default_configELb0EPKbPbPKlPlN2at6native12_GLOBAL__N_18offset_tEEE10hipError_tPvRmT1_PNSt15iterator_traitsISY_E10value_typeET2_T3_PNSZ_IS14_E10value_typeET4_jRbjT5_S1A_jjP12ihipStream_tbEUljE_EEESV_SW_SX_S14_S18_S1A_T6_T7_T9_mT8_S1C_bDpT10_ENKUlT_T0_E_clISt17integral_constantIbLb1EES1P_EEDaS1K_S1L_EUlS1K_E_NS1_11comp_targetILNS1_3genE4ELNS1_11target_archE910ELNS1_3gpuE8ELNS1_3repE0EEENS1_30default_config_static_selectorELNS0_4arch9wavefront6targetE1EEEvSY_.num_vgpr, 0
	.set _ZN7rocprim17ROCPRIM_400000_NS6detail17trampoline_kernelINS0_13select_configILj256ELj13ELNS0_17block_load_methodE3ELS4_3ELS4_3ELNS0_20block_scan_algorithmE0ELj4294967295EEENS1_25partition_config_selectorILNS1_17partition_subalgoE3EjNS0_10empty_typeEbEEZZNS1_14partition_implILS8_3ELb0ES6_jNS0_17counting_iteratorIjlEEPS9_SE_NS0_5tupleIJPjSE_EEENSF_IJSE_SE_EEES9_SG_JZNS1_25segmented_radix_sort_implINS0_14default_configELb0EPKbPbPKlPlN2at6native12_GLOBAL__N_18offset_tEEE10hipError_tPvRmT1_PNSt15iterator_traitsISY_E10value_typeET2_T3_PNSZ_IS14_E10value_typeET4_jRbjT5_S1A_jjP12ihipStream_tbEUljE_EEESV_SW_SX_S14_S18_S1A_T6_T7_T9_mT8_S1C_bDpT10_ENKUlT_T0_E_clISt17integral_constantIbLb1EES1P_EEDaS1K_S1L_EUlS1K_E_NS1_11comp_targetILNS1_3genE4ELNS1_11target_archE910ELNS1_3gpuE8ELNS1_3repE0EEENS1_30default_config_static_selectorELNS0_4arch9wavefront6targetE1EEEvSY_.num_agpr, 0
	.set _ZN7rocprim17ROCPRIM_400000_NS6detail17trampoline_kernelINS0_13select_configILj256ELj13ELNS0_17block_load_methodE3ELS4_3ELS4_3ELNS0_20block_scan_algorithmE0ELj4294967295EEENS1_25partition_config_selectorILNS1_17partition_subalgoE3EjNS0_10empty_typeEbEEZZNS1_14partition_implILS8_3ELb0ES6_jNS0_17counting_iteratorIjlEEPS9_SE_NS0_5tupleIJPjSE_EEENSF_IJSE_SE_EEES9_SG_JZNS1_25segmented_radix_sort_implINS0_14default_configELb0EPKbPbPKlPlN2at6native12_GLOBAL__N_18offset_tEEE10hipError_tPvRmT1_PNSt15iterator_traitsISY_E10value_typeET2_T3_PNSZ_IS14_E10value_typeET4_jRbjT5_S1A_jjP12ihipStream_tbEUljE_EEESV_SW_SX_S14_S18_S1A_T6_T7_T9_mT8_S1C_bDpT10_ENKUlT_T0_E_clISt17integral_constantIbLb1EES1P_EEDaS1K_S1L_EUlS1K_E_NS1_11comp_targetILNS1_3genE4ELNS1_11target_archE910ELNS1_3gpuE8ELNS1_3repE0EEENS1_30default_config_static_selectorELNS0_4arch9wavefront6targetE1EEEvSY_.numbered_sgpr, 0
	.set _ZN7rocprim17ROCPRIM_400000_NS6detail17trampoline_kernelINS0_13select_configILj256ELj13ELNS0_17block_load_methodE3ELS4_3ELS4_3ELNS0_20block_scan_algorithmE0ELj4294967295EEENS1_25partition_config_selectorILNS1_17partition_subalgoE3EjNS0_10empty_typeEbEEZZNS1_14partition_implILS8_3ELb0ES6_jNS0_17counting_iteratorIjlEEPS9_SE_NS0_5tupleIJPjSE_EEENSF_IJSE_SE_EEES9_SG_JZNS1_25segmented_radix_sort_implINS0_14default_configELb0EPKbPbPKlPlN2at6native12_GLOBAL__N_18offset_tEEE10hipError_tPvRmT1_PNSt15iterator_traitsISY_E10value_typeET2_T3_PNSZ_IS14_E10value_typeET4_jRbjT5_S1A_jjP12ihipStream_tbEUljE_EEESV_SW_SX_S14_S18_S1A_T6_T7_T9_mT8_S1C_bDpT10_ENKUlT_T0_E_clISt17integral_constantIbLb1EES1P_EEDaS1K_S1L_EUlS1K_E_NS1_11comp_targetILNS1_3genE4ELNS1_11target_archE910ELNS1_3gpuE8ELNS1_3repE0EEENS1_30default_config_static_selectorELNS0_4arch9wavefront6targetE1EEEvSY_.num_named_barrier, 0
	.set _ZN7rocprim17ROCPRIM_400000_NS6detail17trampoline_kernelINS0_13select_configILj256ELj13ELNS0_17block_load_methodE3ELS4_3ELS4_3ELNS0_20block_scan_algorithmE0ELj4294967295EEENS1_25partition_config_selectorILNS1_17partition_subalgoE3EjNS0_10empty_typeEbEEZZNS1_14partition_implILS8_3ELb0ES6_jNS0_17counting_iteratorIjlEEPS9_SE_NS0_5tupleIJPjSE_EEENSF_IJSE_SE_EEES9_SG_JZNS1_25segmented_radix_sort_implINS0_14default_configELb0EPKbPbPKlPlN2at6native12_GLOBAL__N_18offset_tEEE10hipError_tPvRmT1_PNSt15iterator_traitsISY_E10value_typeET2_T3_PNSZ_IS14_E10value_typeET4_jRbjT5_S1A_jjP12ihipStream_tbEUljE_EEESV_SW_SX_S14_S18_S1A_T6_T7_T9_mT8_S1C_bDpT10_ENKUlT_T0_E_clISt17integral_constantIbLb1EES1P_EEDaS1K_S1L_EUlS1K_E_NS1_11comp_targetILNS1_3genE4ELNS1_11target_archE910ELNS1_3gpuE8ELNS1_3repE0EEENS1_30default_config_static_selectorELNS0_4arch9wavefront6targetE1EEEvSY_.private_seg_size, 0
	.set _ZN7rocprim17ROCPRIM_400000_NS6detail17trampoline_kernelINS0_13select_configILj256ELj13ELNS0_17block_load_methodE3ELS4_3ELS4_3ELNS0_20block_scan_algorithmE0ELj4294967295EEENS1_25partition_config_selectorILNS1_17partition_subalgoE3EjNS0_10empty_typeEbEEZZNS1_14partition_implILS8_3ELb0ES6_jNS0_17counting_iteratorIjlEEPS9_SE_NS0_5tupleIJPjSE_EEENSF_IJSE_SE_EEES9_SG_JZNS1_25segmented_radix_sort_implINS0_14default_configELb0EPKbPbPKlPlN2at6native12_GLOBAL__N_18offset_tEEE10hipError_tPvRmT1_PNSt15iterator_traitsISY_E10value_typeET2_T3_PNSZ_IS14_E10value_typeET4_jRbjT5_S1A_jjP12ihipStream_tbEUljE_EEESV_SW_SX_S14_S18_S1A_T6_T7_T9_mT8_S1C_bDpT10_ENKUlT_T0_E_clISt17integral_constantIbLb1EES1P_EEDaS1K_S1L_EUlS1K_E_NS1_11comp_targetILNS1_3genE4ELNS1_11target_archE910ELNS1_3gpuE8ELNS1_3repE0EEENS1_30default_config_static_selectorELNS0_4arch9wavefront6targetE1EEEvSY_.uses_vcc, 0
	.set _ZN7rocprim17ROCPRIM_400000_NS6detail17trampoline_kernelINS0_13select_configILj256ELj13ELNS0_17block_load_methodE3ELS4_3ELS4_3ELNS0_20block_scan_algorithmE0ELj4294967295EEENS1_25partition_config_selectorILNS1_17partition_subalgoE3EjNS0_10empty_typeEbEEZZNS1_14partition_implILS8_3ELb0ES6_jNS0_17counting_iteratorIjlEEPS9_SE_NS0_5tupleIJPjSE_EEENSF_IJSE_SE_EEES9_SG_JZNS1_25segmented_radix_sort_implINS0_14default_configELb0EPKbPbPKlPlN2at6native12_GLOBAL__N_18offset_tEEE10hipError_tPvRmT1_PNSt15iterator_traitsISY_E10value_typeET2_T3_PNSZ_IS14_E10value_typeET4_jRbjT5_S1A_jjP12ihipStream_tbEUljE_EEESV_SW_SX_S14_S18_S1A_T6_T7_T9_mT8_S1C_bDpT10_ENKUlT_T0_E_clISt17integral_constantIbLb1EES1P_EEDaS1K_S1L_EUlS1K_E_NS1_11comp_targetILNS1_3genE4ELNS1_11target_archE910ELNS1_3gpuE8ELNS1_3repE0EEENS1_30default_config_static_selectorELNS0_4arch9wavefront6targetE1EEEvSY_.uses_flat_scratch, 0
	.set _ZN7rocprim17ROCPRIM_400000_NS6detail17trampoline_kernelINS0_13select_configILj256ELj13ELNS0_17block_load_methodE3ELS4_3ELS4_3ELNS0_20block_scan_algorithmE0ELj4294967295EEENS1_25partition_config_selectorILNS1_17partition_subalgoE3EjNS0_10empty_typeEbEEZZNS1_14partition_implILS8_3ELb0ES6_jNS0_17counting_iteratorIjlEEPS9_SE_NS0_5tupleIJPjSE_EEENSF_IJSE_SE_EEES9_SG_JZNS1_25segmented_radix_sort_implINS0_14default_configELb0EPKbPbPKlPlN2at6native12_GLOBAL__N_18offset_tEEE10hipError_tPvRmT1_PNSt15iterator_traitsISY_E10value_typeET2_T3_PNSZ_IS14_E10value_typeET4_jRbjT5_S1A_jjP12ihipStream_tbEUljE_EEESV_SW_SX_S14_S18_S1A_T6_T7_T9_mT8_S1C_bDpT10_ENKUlT_T0_E_clISt17integral_constantIbLb1EES1P_EEDaS1K_S1L_EUlS1K_E_NS1_11comp_targetILNS1_3genE4ELNS1_11target_archE910ELNS1_3gpuE8ELNS1_3repE0EEENS1_30default_config_static_selectorELNS0_4arch9wavefront6targetE1EEEvSY_.has_dyn_sized_stack, 0
	.set _ZN7rocprim17ROCPRIM_400000_NS6detail17trampoline_kernelINS0_13select_configILj256ELj13ELNS0_17block_load_methodE3ELS4_3ELS4_3ELNS0_20block_scan_algorithmE0ELj4294967295EEENS1_25partition_config_selectorILNS1_17partition_subalgoE3EjNS0_10empty_typeEbEEZZNS1_14partition_implILS8_3ELb0ES6_jNS0_17counting_iteratorIjlEEPS9_SE_NS0_5tupleIJPjSE_EEENSF_IJSE_SE_EEES9_SG_JZNS1_25segmented_radix_sort_implINS0_14default_configELb0EPKbPbPKlPlN2at6native12_GLOBAL__N_18offset_tEEE10hipError_tPvRmT1_PNSt15iterator_traitsISY_E10value_typeET2_T3_PNSZ_IS14_E10value_typeET4_jRbjT5_S1A_jjP12ihipStream_tbEUljE_EEESV_SW_SX_S14_S18_S1A_T6_T7_T9_mT8_S1C_bDpT10_ENKUlT_T0_E_clISt17integral_constantIbLb1EES1P_EEDaS1K_S1L_EUlS1K_E_NS1_11comp_targetILNS1_3genE4ELNS1_11target_archE910ELNS1_3gpuE8ELNS1_3repE0EEENS1_30default_config_static_selectorELNS0_4arch9wavefront6targetE1EEEvSY_.has_recursion, 0
	.set _ZN7rocprim17ROCPRIM_400000_NS6detail17trampoline_kernelINS0_13select_configILj256ELj13ELNS0_17block_load_methodE3ELS4_3ELS4_3ELNS0_20block_scan_algorithmE0ELj4294967295EEENS1_25partition_config_selectorILNS1_17partition_subalgoE3EjNS0_10empty_typeEbEEZZNS1_14partition_implILS8_3ELb0ES6_jNS0_17counting_iteratorIjlEEPS9_SE_NS0_5tupleIJPjSE_EEENSF_IJSE_SE_EEES9_SG_JZNS1_25segmented_radix_sort_implINS0_14default_configELb0EPKbPbPKlPlN2at6native12_GLOBAL__N_18offset_tEEE10hipError_tPvRmT1_PNSt15iterator_traitsISY_E10value_typeET2_T3_PNSZ_IS14_E10value_typeET4_jRbjT5_S1A_jjP12ihipStream_tbEUljE_EEESV_SW_SX_S14_S18_S1A_T6_T7_T9_mT8_S1C_bDpT10_ENKUlT_T0_E_clISt17integral_constantIbLb1EES1P_EEDaS1K_S1L_EUlS1K_E_NS1_11comp_targetILNS1_3genE4ELNS1_11target_archE910ELNS1_3gpuE8ELNS1_3repE0EEENS1_30default_config_static_selectorELNS0_4arch9wavefront6targetE1EEEvSY_.has_indirect_call, 0
	.section	.AMDGPU.csdata,"",@progbits
; Kernel info:
; codeLenInByte = 0
; TotalNumSgprs: 4
; NumVgprs: 0
; ScratchSize: 0
; MemoryBound: 0
; FloatMode: 240
; IeeeMode: 1
; LDSByteSize: 0 bytes/workgroup (compile time only)
; SGPRBlocks: 0
; VGPRBlocks: 0
; NumSGPRsForWavesPerEU: 4
; NumVGPRsForWavesPerEU: 1
; Occupancy: 10
; WaveLimiterHint : 0
; COMPUTE_PGM_RSRC2:SCRATCH_EN: 0
; COMPUTE_PGM_RSRC2:USER_SGPR: 6
; COMPUTE_PGM_RSRC2:TRAP_HANDLER: 0
; COMPUTE_PGM_RSRC2:TGID_X_EN: 1
; COMPUTE_PGM_RSRC2:TGID_Y_EN: 0
; COMPUTE_PGM_RSRC2:TGID_Z_EN: 0
; COMPUTE_PGM_RSRC2:TIDIG_COMP_CNT: 0
	.section	.text._ZN7rocprim17ROCPRIM_400000_NS6detail17trampoline_kernelINS0_13select_configILj256ELj13ELNS0_17block_load_methodE3ELS4_3ELS4_3ELNS0_20block_scan_algorithmE0ELj4294967295EEENS1_25partition_config_selectorILNS1_17partition_subalgoE3EjNS0_10empty_typeEbEEZZNS1_14partition_implILS8_3ELb0ES6_jNS0_17counting_iteratorIjlEEPS9_SE_NS0_5tupleIJPjSE_EEENSF_IJSE_SE_EEES9_SG_JZNS1_25segmented_radix_sort_implINS0_14default_configELb0EPKbPbPKlPlN2at6native12_GLOBAL__N_18offset_tEEE10hipError_tPvRmT1_PNSt15iterator_traitsISY_E10value_typeET2_T3_PNSZ_IS14_E10value_typeET4_jRbjT5_S1A_jjP12ihipStream_tbEUljE_EEESV_SW_SX_S14_S18_S1A_T6_T7_T9_mT8_S1C_bDpT10_ENKUlT_T0_E_clISt17integral_constantIbLb1EES1P_EEDaS1K_S1L_EUlS1K_E_NS1_11comp_targetILNS1_3genE3ELNS1_11target_archE908ELNS1_3gpuE7ELNS1_3repE0EEENS1_30default_config_static_selectorELNS0_4arch9wavefront6targetE1EEEvSY_,"axG",@progbits,_ZN7rocprim17ROCPRIM_400000_NS6detail17trampoline_kernelINS0_13select_configILj256ELj13ELNS0_17block_load_methodE3ELS4_3ELS4_3ELNS0_20block_scan_algorithmE0ELj4294967295EEENS1_25partition_config_selectorILNS1_17partition_subalgoE3EjNS0_10empty_typeEbEEZZNS1_14partition_implILS8_3ELb0ES6_jNS0_17counting_iteratorIjlEEPS9_SE_NS0_5tupleIJPjSE_EEENSF_IJSE_SE_EEES9_SG_JZNS1_25segmented_radix_sort_implINS0_14default_configELb0EPKbPbPKlPlN2at6native12_GLOBAL__N_18offset_tEEE10hipError_tPvRmT1_PNSt15iterator_traitsISY_E10value_typeET2_T3_PNSZ_IS14_E10value_typeET4_jRbjT5_S1A_jjP12ihipStream_tbEUljE_EEESV_SW_SX_S14_S18_S1A_T6_T7_T9_mT8_S1C_bDpT10_ENKUlT_T0_E_clISt17integral_constantIbLb1EES1P_EEDaS1K_S1L_EUlS1K_E_NS1_11comp_targetILNS1_3genE3ELNS1_11target_archE908ELNS1_3gpuE7ELNS1_3repE0EEENS1_30default_config_static_selectorELNS0_4arch9wavefront6targetE1EEEvSY_,comdat
	.globl	_ZN7rocprim17ROCPRIM_400000_NS6detail17trampoline_kernelINS0_13select_configILj256ELj13ELNS0_17block_load_methodE3ELS4_3ELS4_3ELNS0_20block_scan_algorithmE0ELj4294967295EEENS1_25partition_config_selectorILNS1_17partition_subalgoE3EjNS0_10empty_typeEbEEZZNS1_14partition_implILS8_3ELb0ES6_jNS0_17counting_iteratorIjlEEPS9_SE_NS0_5tupleIJPjSE_EEENSF_IJSE_SE_EEES9_SG_JZNS1_25segmented_radix_sort_implINS0_14default_configELb0EPKbPbPKlPlN2at6native12_GLOBAL__N_18offset_tEEE10hipError_tPvRmT1_PNSt15iterator_traitsISY_E10value_typeET2_T3_PNSZ_IS14_E10value_typeET4_jRbjT5_S1A_jjP12ihipStream_tbEUljE_EEESV_SW_SX_S14_S18_S1A_T6_T7_T9_mT8_S1C_bDpT10_ENKUlT_T0_E_clISt17integral_constantIbLb1EES1P_EEDaS1K_S1L_EUlS1K_E_NS1_11comp_targetILNS1_3genE3ELNS1_11target_archE908ELNS1_3gpuE7ELNS1_3repE0EEENS1_30default_config_static_selectorELNS0_4arch9wavefront6targetE1EEEvSY_ ; -- Begin function _ZN7rocprim17ROCPRIM_400000_NS6detail17trampoline_kernelINS0_13select_configILj256ELj13ELNS0_17block_load_methodE3ELS4_3ELS4_3ELNS0_20block_scan_algorithmE0ELj4294967295EEENS1_25partition_config_selectorILNS1_17partition_subalgoE3EjNS0_10empty_typeEbEEZZNS1_14partition_implILS8_3ELb0ES6_jNS0_17counting_iteratorIjlEEPS9_SE_NS0_5tupleIJPjSE_EEENSF_IJSE_SE_EEES9_SG_JZNS1_25segmented_radix_sort_implINS0_14default_configELb0EPKbPbPKlPlN2at6native12_GLOBAL__N_18offset_tEEE10hipError_tPvRmT1_PNSt15iterator_traitsISY_E10value_typeET2_T3_PNSZ_IS14_E10value_typeET4_jRbjT5_S1A_jjP12ihipStream_tbEUljE_EEESV_SW_SX_S14_S18_S1A_T6_T7_T9_mT8_S1C_bDpT10_ENKUlT_T0_E_clISt17integral_constantIbLb1EES1P_EEDaS1K_S1L_EUlS1K_E_NS1_11comp_targetILNS1_3genE3ELNS1_11target_archE908ELNS1_3gpuE7ELNS1_3repE0EEENS1_30default_config_static_selectorELNS0_4arch9wavefront6targetE1EEEvSY_
	.p2align	8
	.type	_ZN7rocprim17ROCPRIM_400000_NS6detail17trampoline_kernelINS0_13select_configILj256ELj13ELNS0_17block_load_methodE3ELS4_3ELS4_3ELNS0_20block_scan_algorithmE0ELj4294967295EEENS1_25partition_config_selectorILNS1_17partition_subalgoE3EjNS0_10empty_typeEbEEZZNS1_14partition_implILS8_3ELb0ES6_jNS0_17counting_iteratorIjlEEPS9_SE_NS0_5tupleIJPjSE_EEENSF_IJSE_SE_EEES9_SG_JZNS1_25segmented_radix_sort_implINS0_14default_configELb0EPKbPbPKlPlN2at6native12_GLOBAL__N_18offset_tEEE10hipError_tPvRmT1_PNSt15iterator_traitsISY_E10value_typeET2_T3_PNSZ_IS14_E10value_typeET4_jRbjT5_S1A_jjP12ihipStream_tbEUljE_EEESV_SW_SX_S14_S18_S1A_T6_T7_T9_mT8_S1C_bDpT10_ENKUlT_T0_E_clISt17integral_constantIbLb1EES1P_EEDaS1K_S1L_EUlS1K_E_NS1_11comp_targetILNS1_3genE3ELNS1_11target_archE908ELNS1_3gpuE7ELNS1_3repE0EEENS1_30default_config_static_selectorELNS0_4arch9wavefront6targetE1EEEvSY_,@function
_ZN7rocprim17ROCPRIM_400000_NS6detail17trampoline_kernelINS0_13select_configILj256ELj13ELNS0_17block_load_methodE3ELS4_3ELS4_3ELNS0_20block_scan_algorithmE0ELj4294967295EEENS1_25partition_config_selectorILNS1_17partition_subalgoE3EjNS0_10empty_typeEbEEZZNS1_14partition_implILS8_3ELb0ES6_jNS0_17counting_iteratorIjlEEPS9_SE_NS0_5tupleIJPjSE_EEENSF_IJSE_SE_EEES9_SG_JZNS1_25segmented_radix_sort_implINS0_14default_configELb0EPKbPbPKlPlN2at6native12_GLOBAL__N_18offset_tEEE10hipError_tPvRmT1_PNSt15iterator_traitsISY_E10value_typeET2_T3_PNSZ_IS14_E10value_typeET4_jRbjT5_S1A_jjP12ihipStream_tbEUljE_EEESV_SW_SX_S14_S18_S1A_T6_T7_T9_mT8_S1C_bDpT10_ENKUlT_T0_E_clISt17integral_constantIbLb1EES1P_EEDaS1K_S1L_EUlS1K_E_NS1_11comp_targetILNS1_3genE3ELNS1_11target_archE908ELNS1_3gpuE7ELNS1_3repE0EEENS1_30default_config_static_selectorELNS0_4arch9wavefront6targetE1EEEvSY_: ; @_ZN7rocprim17ROCPRIM_400000_NS6detail17trampoline_kernelINS0_13select_configILj256ELj13ELNS0_17block_load_methodE3ELS4_3ELS4_3ELNS0_20block_scan_algorithmE0ELj4294967295EEENS1_25partition_config_selectorILNS1_17partition_subalgoE3EjNS0_10empty_typeEbEEZZNS1_14partition_implILS8_3ELb0ES6_jNS0_17counting_iteratorIjlEEPS9_SE_NS0_5tupleIJPjSE_EEENSF_IJSE_SE_EEES9_SG_JZNS1_25segmented_radix_sort_implINS0_14default_configELb0EPKbPbPKlPlN2at6native12_GLOBAL__N_18offset_tEEE10hipError_tPvRmT1_PNSt15iterator_traitsISY_E10value_typeET2_T3_PNSZ_IS14_E10value_typeET4_jRbjT5_S1A_jjP12ihipStream_tbEUljE_EEESV_SW_SX_S14_S18_S1A_T6_T7_T9_mT8_S1C_bDpT10_ENKUlT_T0_E_clISt17integral_constantIbLb1EES1P_EEDaS1K_S1L_EUlS1K_E_NS1_11comp_targetILNS1_3genE3ELNS1_11target_archE908ELNS1_3gpuE7ELNS1_3repE0EEENS1_30default_config_static_selectorELNS0_4arch9wavefront6targetE1EEEvSY_
; %bb.0:
	.section	.rodata,"a",@progbits
	.p2align	6, 0x0
	.amdhsa_kernel _ZN7rocprim17ROCPRIM_400000_NS6detail17trampoline_kernelINS0_13select_configILj256ELj13ELNS0_17block_load_methodE3ELS4_3ELS4_3ELNS0_20block_scan_algorithmE0ELj4294967295EEENS1_25partition_config_selectorILNS1_17partition_subalgoE3EjNS0_10empty_typeEbEEZZNS1_14partition_implILS8_3ELb0ES6_jNS0_17counting_iteratorIjlEEPS9_SE_NS0_5tupleIJPjSE_EEENSF_IJSE_SE_EEES9_SG_JZNS1_25segmented_radix_sort_implINS0_14default_configELb0EPKbPbPKlPlN2at6native12_GLOBAL__N_18offset_tEEE10hipError_tPvRmT1_PNSt15iterator_traitsISY_E10value_typeET2_T3_PNSZ_IS14_E10value_typeET4_jRbjT5_S1A_jjP12ihipStream_tbEUljE_EEESV_SW_SX_S14_S18_S1A_T6_T7_T9_mT8_S1C_bDpT10_ENKUlT_T0_E_clISt17integral_constantIbLb1EES1P_EEDaS1K_S1L_EUlS1K_E_NS1_11comp_targetILNS1_3genE3ELNS1_11target_archE908ELNS1_3gpuE7ELNS1_3repE0EEENS1_30default_config_static_selectorELNS0_4arch9wavefront6targetE1EEEvSY_
		.amdhsa_group_segment_fixed_size 0
		.amdhsa_private_segment_fixed_size 0
		.amdhsa_kernarg_size 152
		.amdhsa_user_sgpr_count 6
		.amdhsa_user_sgpr_private_segment_buffer 1
		.amdhsa_user_sgpr_dispatch_ptr 0
		.amdhsa_user_sgpr_queue_ptr 0
		.amdhsa_user_sgpr_kernarg_segment_ptr 1
		.amdhsa_user_sgpr_dispatch_id 0
		.amdhsa_user_sgpr_flat_scratch_init 0
		.amdhsa_user_sgpr_private_segment_size 0
		.amdhsa_uses_dynamic_stack 0
		.amdhsa_system_sgpr_private_segment_wavefront_offset 0
		.amdhsa_system_sgpr_workgroup_id_x 1
		.amdhsa_system_sgpr_workgroup_id_y 0
		.amdhsa_system_sgpr_workgroup_id_z 0
		.amdhsa_system_sgpr_workgroup_info 0
		.amdhsa_system_vgpr_workitem_id 0
		.amdhsa_next_free_vgpr 1
		.amdhsa_next_free_sgpr 0
		.amdhsa_reserve_vcc 0
		.amdhsa_reserve_flat_scratch 0
		.amdhsa_float_round_mode_32 0
		.amdhsa_float_round_mode_16_64 0
		.amdhsa_float_denorm_mode_32 3
		.amdhsa_float_denorm_mode_16_64 3
		.amdhsa_dx10_clamp 1
		.amdhsa_ieee_mode 1
		.amdhsa_fp16_overflow 0
		.amdhsa_exception_fp_ieee_invalid_op 0
		.amdhsa_exception_fp_denorm_src 0
		.amdhsa_exception_fp_ieee_div_zero 0
		.amdhsa_exception_fp_ieee_overflow 0
		.amdhsa_exception_fp_ieee_underflow 0
		.amdhsa_exception_fp_ieee_inexact 0
		.amdhsa_exception_int_div_zero 0
	.end_amdhsa_kernel
	.section	.text._ZN7rocprim17ROCPRIM_400000_NS6detail17trampoline_kernelINS0_13select_configILj256ELj13ELNS0_17block_load_methodE3ELS4_3ELS4_3ELNS0_20block_scan_algorithmE0ELj4294967295EEENS1_25partition_config_selectorILNS1_17partition_subalgoE3EjNS0_10empty_typeEbEEZZNS1_14partition_implILS8_3ELb0ES6_jNS0_17counting_iteratorIjlEEPS9_SE_NS0_5tupleIJPjSE_EEENSF_IJSE_SE_EEES9_SG_JZNS1_25segmented_radix_sort_implINS0_14default_configELb0EPKbPbPKlPlN2at6native12_GLOBAL__N_18offset_tEEE10hipError_tPvRmT1_PNSt15iterator_traitsISY_E10value_typeET2_T3_PNSZ_IS14_E10value_typeET4_jRbjT5_S1A_jjP12ihipStream_tbEUljE_EEESV_SW_SX_S14_S18_S1A_T6_T7_T9_mT8_S1C_bDpT10_ENKUlT_T0_E_clISt17integral_constantIbLb1EES1P_EEDaS1K_S1L_EUlS1K_E_NS1_11comp_targetILNS1_3genE3ELNS1_11target_archE908ELNS1_3gpuE7ELNS1_3repE0EEENS1_30default_config_static_selectorELNS0_4arch9wavefront6targetE1EEEvSY_,"axG",@progbits,_ZN7rocprim17ROCPRIM_400000_NS6detail17trampoline_kernelINS0_13select_configILj256ELj13ELNS0_17block_load_methodE3ELS4_3ELS4_3ELNS0_20block_scan_algorithmE0ELj4294967295EEENS1_25partition_config_selectorILNS1_17partition_subalgoE3EjNS0_10empty_typeEbEEZZNS1_14partition_implILS8_3ELb0ES6_jNS0_17counting_iteratorIjlEEPS9_SE_NS0_5tupleIJPjSE_EEENSF_IJSE_SE_EEES9_SG_JZNS1_25segmented_radix_sort_implINS0_14default_configELb0EPKbPbPKlPlN2at6native12_GLOBAL__N_18offset_tEEE10hipError_tPvRmT1_PNSt15iterator_traitsISY_E10value_typeET2_T3_PNSZ_IS14_E10value_typeET4_jRbjT5_S1A_jjP12ihipStream_tbEUljE_EEESV_SW_SX_S14_S18_S1A_T6_T7_T9_mT8_S1C_bDpT10_ENKUlT_T0_E_clISt17integral_constantIbLb1EES1P_EEDaS1K_S1L_EUlS1K_E_NS1_11comp_targetILNS1_3genE3ELNS1_11target_archE908ELNS1_3gpuE7ELNS1_3repE0EEENS1_30default_config_static_selectorELNS0_4arch9wavefront6targetE1EEEvSY_,comdat
.Lfunc_end1614:
	.size	_ZN7rocprim17ROCPRIM_400000_NS6detail17trampoline_kernelINS0_13select_configILj256ELj13ELNS0_17block_load_methodE3ELS4_3ELS4_3ELNS0_20block_scan_algorithmE0ELj4294967295EEENS1_25partition_config_selectorILNS1_17partition_subalgoE3EjNS0_10empty_typeEbEEZZNS1_14partition_implILS8_3ELb0ES6_jNS0_17counting_iteratorIjlEEPS9_SE_NS0_5tupleIJPjSE_EEENSF_IJSE_SE_EEES9_SG_JZNS1_25segmented_radix_sort_implINS0_14default_configELb0EPKbPbPKlPlN2at6native12_GLOBAL__N_18offset_tEEE10hipError_tPvRmT1_PNSt15iterator_traitsISY_E10value_typeET2_T3_PNSZ_IS14_E10value_typeET4_jRbjT5_S1A_jjP12ihipStream_tbEUljE_EEESV_SW_SX_S14_S18_S1A_T6_T7_T9_mT8_S1C_bDpT10_ENKUlT_T0_E_clISt17integral_constantIbLb1EES1P_EEDaS1K_S1L_EUlS1K_E_NS1_11comp_targetILNS1_3genE3ELNS1_11target_archE908ELNS1_3gpuE7ELNS1_3repE0EEENS1_30default_config_static_selectorELNS0_4arch9wavefront6targetE1EEEvSY_, .Lfunc_end1614-_ZN7rocprim17ROCPRIM_400000_NS6detail17trampoline_kernelINS0_13select_configILj256ELj13ELNS0_17block_load_methodE3ELS4_3ELS4_3ELNS0_20block_scan_algorithmE0ELj4294967295EEENS1_25partition_config_selectorILNS1_17partition_subalgoE3EjNS0_10empty_typeEbEEZZNS1_14partition_implILS8_3ELb0ES6_jNS0_17counting_iteratorIjlEEPS9_SE_NS0_5tupleIJPjSE_EEENSF_IJSE_SE_EEES9_SG_JZNS1_25segmented_radix_sort_implINS0_14default_configELb0EPKbPbPKlPlN2at6native12_GLOBAL__N_18offset_tEEE10hipError_tPvRmT1_PNSt15iterator_traitsISY_E10value_typeET2_T3_PNSZ_IS14_E10value_typeET4_jRbjT5_S1A_jjP12ihipStream_tbEUljE_EEESV_SW_SX_S14_S18_S1A_T6_T7_T9_mT8_S1C_bDpT10_ENKUlT_T0_E_clISt17integral_constantIbLb1EES1P_EEDaS1K_S1L_EUlS1K_E_NS1_11comp_targetILNS1_3genE3ELNS1_11target_archE908ELNS1_3gpuE7ELNS1_3repE0EEENS1_30default_config_static_selectorELNS0_4arch9wavefront6targetE1EEEvSY_
                                        ; -- End function
	.set _ZN7rocprim17ROCPRIM_400000_NS6detail17trampoline_kernelINS0_13select_configILj256ELj13ELNS0_17block_load_methodE3ELS4_3ELS4_3ELNS0_20block_scan_algorithmE0ELj4294967295EEENS1_25partition_config_selectorILNS1_17partition_subalgoE3EjNS0_10empty_typeEbEEZZNS1_14partition_implILS8_3ELb0ES6_jNS0_17counting_iteratorIjlEEPS9_SE_NS0_5tupleIJPjSE_EEENSF_IJSE_SE_EEES9_SG_JZNS1_25segmented_radix_sort_implINS0_14default_configELb0EPKbPbPKlPlN2at6native12_GLOBAL__N_18offset_tEEE10hipError_tPvRmT1_PNSt15iterator_traitsISY_E10value_typeET2_T3_PNSZ_IS14_E10value_typeET4_jRbjT5_S1A_jjP12ihipStream_tbEUljE_EEESV_SW_SX_S14_S18_S1A_T6_T7_T9_mT8_S1C_bDpT10_ENKUlT_T0_E_clISt17integral_constantIbLb1EES1P_EEDaS1K_S1L_EUlS1K_E_NS1_11comp_targetILNS1_3genE3ELNS1_11target_archE908ELNS1_3gpuE7ELNS1_3repE0EEENS1_30default_config_static_selectorELNS0_4arch9wavefront6targetE1EEEvSY_.num_vgpr, 0
	.set _ZN7rocprim17ROCPRIM_400000_NS6detail17trampoline_kernelINS0_13select_configILj256ELj13ELNS0_17block_load_methodE3ELS4_3ELS4_3ELNS0_20block_scan_algorithmE0ELj4294967295EEENS1_25partition_config_selectorILNS1_17partition_subalgoE3EjNS0_10empty_typeEbEEZZNS1_14partition_implILS8_3ELb0ES6_jNS0_17counting_iteratorIjlEEPS9_SE_NS0_5tupleIJPjSE_EEENSF_IJSE_SE_EEES9_SG_JZNS1_25segmented_radix_sort_implINS0_14default_configELb0EPKbPbPKlPlN2at6native12_GLOBAL__N_18offset_tEEE10hipError_tPvRmT1_PNSt15iterator_traitsISY_E10value_typeET2_T3_PNSZ_IS14_E10value_typeET4_jRbjT5_S1A_jjP12ihipStream_tbEUljE_EEESV_SW_SX_S14_S18_S1A_T6_T7_T9_mT8_S1C_bDpT10_ENKUlT_T0_E_clISt17integral_constantIbLb1EES1P_EEDaS1K_S1L_EUlS1K_E_NS1_11comp_targetILNS1_3genE3ELNS1_11target_archE908ELNS1_3gpuE7ELNS1_3repE0EEENS1_30default_config_static_selectorELNS0_4arch9wavefront6targetE1EEEvSY_.num_agpr, 0
	.set _ZN7rocprim17ROCPRIM_400000_NS6detail17trampoline_kernelINS0_13select_configILj256ELj13ELNS0_17block_load_methodE3ELS4_3ELS4_3ELNS0_20block_scan_algorithmE0ELj4294967295EEENS1_25partition_config_selectorILNS1_17partition_subalgoE3EjNS0_10empty_typeEbEEZZNS1_14partition_implILS8_3ELb0ES6_jNS0_17counting_iteratorIjlEEPS9_SE_NS0_5tupleIJPjSE_EEENSF_IJSE_SE_EEES9_SG_JZNS1_25segmented_radix_sort_implINS0_14default_configELb0EPKbPbPKlPlN2at6native12_GLOBAL__N_18offset_tEEE10hipError_tPvRmT1_PNSt15iterator_traitsISY_E10value_typeET2_T3_PNSZ_IS14_E10value_typeET4_jRbjT5_S1A_jjP12ihipStream_tbEUljE_EEESV_SW_SX_S14_S18_S1A_T6_T7_T9_mT8_S1C_bDpT10_ENKUlT_T0_E_clISt17integral_constantIbLb1EES1P_EEDaS1K_S1L_EUlS1K_E_NS1_11comp_targetILNS1_3genE3ELNS1_11target_archE908ELNS1_3gpuE7ELNS1_3repE0EEENS1_30default_config_static_selectorELNS0_4arch9wavefront6targetE1EEEvSY_.numbered_sgpr, 0
	.set _ZN7rocprim17ROCPRIM_400000_NS6detail17trampoline_kernelINS0_13select_configILj256ELj13ELNS0_17block_load_methodE3ELS4_3ELS4_3ELNS0_20block_scan_algorithmE0ELj4294967295EEENS1_25partition_config_selectorILNS1_17partition_subalgoE3EjNS0_10empty_typeEbEEZZNS1_14partition_implILS8_3ELb0ES6_jNS0_17counting_iteratorIjlEEPS9_SE_NS0_5tupleIJPjSE_EEENSF_IJSE_SE_EEES9_SG_JZNS1_25segmented_radix_sort_implINS0_14default_configELb0EPKbPbPKlPlN2at6native12_GLOBAL__N_18offset_tEEE10hipError_tPvRmT1_PNSt15iterator_traitsISY_E10value_typeET2_T3_PNSZ_IS14_E10value_typeET4_jRbjT5_S1A_jjP12ihipStream_tbEUljE_EEESV_SW_SX_S14_S18_S1A_T6_T7_T9_mT8_S1C_bDpT10_ENKUlT_T0_E_clISt17integral_constantIbLb1EES1P_EEDaS1K_S1L_EUlS1K_E_NS1_11comp_targetILNS1_3genE3ELNS1_11target_archE908ELNS1_3gpuE7ELNS1_3repE0EEENS1_30default_config_static_selectorELNS0_4arch9wavefront6targetE1EEEvSY_.num_named_barrier, 0
	.set _ZN7rocprim17ROCPRIM_400000_NS6detail17trampoline_kernelINS0_13select_configILj256ELj13ELNS0_17block_load_methodE3ELS4_3ELS4_3ELNS0_20block_scan_algorithmE0ELj4294967295EEENS1_25partition_config_selectorILNS1_17partition_subalgoE3EjNS0_10empty_typeEbEEZZNS1_14partition_implILS8_3ELb0ES6_jNS0_17counting_iteratorIjlEEPS9_SE_NS0_5tupleIJPjSE_EEENSF_IJSE_SE_EEES9_SG_JZNS1_25segmented_radix_sort_implINS0_14default_configELb0EPKbPbPKlPlN2at6native12_GLOBAL__N_18offset_tEEE10hipError_tPvRmT1_PNSt15iterator_traitsISY_E10value_typeET2_T3_PNSZ_IS14_E10value_typeET4_jRbjT5_S1A_jjP12ihipStream_tbEUljE_EEESV_SW_SX_S14_S18_S1A_T6_T7_T9_mT8_S1C_bDpT10_ENKUlT_T0_E_clISt17integral_constantIbLb1EES1P_EEDaS1K_S1L_EUlS1K_E_NS1_11comp_targetILNS1_3genE3ELNS1_11target_archE908ELNS1_3gpuE7ELNS1_3repE0EEENS1_30default_config_static_selectorELNS0_4arch9wavefront6targetE1EEEvSY_.private_seg_size, 0
	.set _ZN7rocprim17ROCPRIM_400000_NS6detail17trampoline_kernelINS0_13select_configILj256ELj13ELNS0_17block_load_methodE3ELS4_3ELS4_3ELNS0_20block_scan_algorithmE0ELj4294967295EEENS1_25partition_config_selectorILNS1_17partition_subalgoE3EjNS0_10empty_typeEbEEZZNS1_14partition_implILS8_3ELb0ES6_jNS0_17counting_iteratorIjlEEPS9_SE_NS0_5tupleIJPjSE_EEENSF_IJSE_SE_EEES9_SG_JZNS1_25segmented_radix_sort_implINS0_14default_configELb0EPKbPbPKlPlN2at6native12_GLOBAL__N_18offset_tEEE10hipError_tPvRmT1_PNSt15iterator_traitsISY_E10value_typeET2_T3_PNSZ_IS14_E10value_typeET4_jRbjT5_S1A_jjP12ihipStream_tbEUljE_EEESV_SW_SX_S14_S18_S1A_T6_T7_T9_mT8_S1C_bDpT10_ENKUlT_T0_E_clISt17integral_constantIbLb1EES1P_EEDaS1K_S1L_EUlS1K_E_NS1_11comp_targetILNS1_3genE3ELNS1_11target_archE908ELNS1_3gpuE7ELNS1_3repE0EEENS1_30default_config_static_selectorELNS0_4arch9wavefront6targetE1EEEvSY_.uses_vcc, 0
	.set _ZN7rocprim17ROCPRIM_400000_NS6detail17trampoline_kernelINS0_13select_configILj256ELj13ELNS0_17block_load_methodE3ELS4_3ELS4_3ELNS0_20block_scan_algorithmE0ELj4294967295EEENS1_25partition_config_selectorILNS1_17partition_subalgoE3EjNS0_10empty_typeEbEEZZNS1_14partition_implILS8_3ELb0ES6_jNS0_17counting_iteratorIjlEEPS9_SE_NS0_5tupleIJPjSE_EEENSF_IJSE_SE_EEES9_SG_JZNS1_25segmented_radix_sort_implINS0_14default_configELb0EPKbPbPKlPlN2at6native12_GLOBAL__N_18offset_tEEE10hipError_tPvRmT1_PNSt15iterator_traitsISY_E10value_typeET2_T3_PNSZ_IS14_E10value_typeET4_jRbjT5_S1A_jjP12ihipStream_tbEUljE_EEESV_SW_SX_S14_S18_S1A_T6_T7_T9_mT8_S1C_bDpT10_ENKUlT_T0_E_clISt17integral_constantIbLb1EES1P_EEDaS1K_S1L_EUlS1K_E_NS1_11comp_targetILNS1_3genE3ELNS1_11target_archE908ELNS1_3gpuE7ELNS1_3repE0EEENS1_30default_config_static_selectorELNS0_4arch9wavefront6targetE1EEEvSY_.uses_flat_scratch, 0
	.set _ZN7rocprim17ROCPRIM_400000_NS6detail17trampoline_kernelINS0_13select_configILj256ELj13ELNS0_17block_load_methodE3ELS4_3ELS4_3ELNS0_20block_scan_algorithmE0ELj4294967295EEENS1_25partition_config_selectorILNS1_17partition_subalgoE3EjNS0_10empty_typeEbEEZZNS1_14partition_implILS8_3ELb0ES6_jNS0_17counting_iteratorIjlEEPS9_SE_NS0_5tupleIJPjSE_EEENSF_IJSE_SE_EEES9_SG_JZNS1_25segmented_radix_sort_implINS0_14default_configELb0EPKbPbPKlPlN2at6native12_GLOBAL__N_18offset_tEEE10hipError_tPvRmT1_PNSt15iterator_traitsISY_E10value_typeET2_T3_PNSZ_IS14_E10value_typeET4_jRbjT5_S1A_jjP12ihipStream_tbEUljE_EEESV_SW_SX_S14_S18_S1A_T6_T7_T9_mT8_S1C_bDpT10_ENKUlT_T0_E_clISt17integral_constantIbLb1EES1P_EEDaS1K_S1L_EUlS1K_E_NS1_11comp_targetILNS1_3genE3ELNS1_11target_archE908ELNS1_3gpuE7ELNS1_3repE0EEENS1_30default_config_static_selectorELNS0_4arch9wavefront6targetE1EEEvSY_.has_dyn_sized_stack, 0
	.set _ZN7rocprim17ROCPRIM_400000_NS6detail17trampoline_kernelINS0_13select_configILj256ELj13ELNS0_17block_load_methodE3ELS4_3ELS4_3ELNS0_20block_scan_algorithmE0ELj4294967295EEENS1_25partition_config_selectorILNS1_17partition_subalgoE3EjNS0_10empty_typeEbEEZZNS1_14partition_implILS8_3ELb0ES6_jNS0_17counting_iteratorIjlEEPS9_SE_NS0_5tupleIJPjSE_EEENSF_IJSE_SE_EEES9_SG_JZNS1_25segmented_radix_sort_implINS0_14default_configELb0EPKbPbPKlPlN2at6native12_GLOBAL__N_18offset_tEEE10hipError_tPvRmT1_PNSt15iterator_traitsISY_E10value_typeET2_T3_PNSZ_IS14_E10value_typeET4_jRbjT5_S1A_jjP12ihipStream_tbEUljE_EEESV_SW_SX_S14_S18_S1A_T6_T7_T9_mT8_S1C_bDpT10_ENKUlT_T0_E_clISt17integral_constantIbLb1EES1P_EEDaS1K_S1L_EUlS1K_E_NS1_11comp_targetILNS1_3genE3ELNS1_11target_archE908ELNS1_3gpuE7ELNS1_3repE0EEENS1_30default_config_static_selectorELNS0_4arch9wavefront6targetE1EEEvSY_.has_recursion, 0
	.set _ZN7rocprim17ROCPRIM_400000_NS6detail17trampoline_kernelINS0_13select_configILj256ELj13ELNS0_17block_load_methodE3ELS4_3ELS4_3ELNS0_20block_scan_algorithmE0ELj4294967295EEENS1_25partition_config_selectorILNS1_17partition_subalgoE3EjNS0_10empty_typeEbEEZZNS1_14partition_implILS8_3ELb0ES6_jNS0_17counting_iteratorIjlEEPS9_SE_NS0_5tupleIJPjSE_EEENSF_IJSE_SE_EEES9_SG_JZNS1_25segmented_radix_sort_implINS0_14default_configELb0EPKbPbPKlPlN2at6native12_GLOBAL__N_18offset_tEEE10hipError_tPvRmT1_PNSt15iterator_traitsISY_E10value_typeET2_T3_PNSZ_IS14_E10value_typeET4_jRbjT5_S1A_jjP12ihipStream_tbEUljE_EEESV_SW_SX_S14_S18_S1A_T6_T7_T9_mT8_S1C_bDpT10_ENKUlT_T0_E_clISt17integral_constantIbLb1EES1P_EEDaS1K_S1L_EUlS1K_E_NS1_11comp_targetILNS1_3genE3ELNS1_11target_archE908ELNS1_3gpuE7ELNS1_3repE0EEENS1_30default_config_static_selectorELNS0_4arch9wavefront6targetE1EEEvSY_.has_indirect_call, 0
	.section	.AMDGPU.csdata,"",@progbits
; Kernel info:
; codeLenInByte = 0
; TotalNumSgprs: 4
; NumVgprs: 0
; ScratchSize: 0
; MemoryBound: 0
; FloatMode: 240
; IeeeMode: 1
; LDSByteSize: 0 bytes/workgroup (compile time only)
; SGPRBlocks: 0
; VGPRBlocks: 0
; NumSGPRsForWavesPerEU: 4
; NumVGPRsForWavesPerEU: 1
; Occupancy: 10
; WaveLimiterHint : 0
; COMPUTE_PGM_RSRC2:SCRATCH_EN: 0
; COMPUTE_PGM_RSRC2:USER_SGPR: 6
; COMPUTE_PGM_RSRC2:TRAP_HANDLER: 0
; COMPUTE_PGM_RSRC2:TGID_X_EN: 1
; COMPUTE_PGM_RSRC2:TGID_Y_EN: 0
; COMPUTE_PGM_RSRC2:TGID_Z_EN: 0
; COMPUTE_PGM_RSRC2:TIDIG_COMP_CNT: 0
	.section	.text._ZN7rocprim17ROCPRIM_400000_NS6detail17trampoline_kernelINS0_13select_configILj256ELj13ELNS0_17block_load_methodE3ELS4_3ELS4_3ELNS0_20block_scan_algorithmE0ELj4294967295EEENS1_25partition_config_selectorILNS1_17partition_subalgoE3EjNS0_10empty_typeEbEEZZNS1_14partition_implILS8_3ELb0ES6_jNS0_17counting_iteratorIjlEEPS9_SE_NS0_5tupleIJPjSE_EEENSF_IJSE_SE_EEES9_SG_JZNS1_25segmented_radix_sort_implINS0_14default_configELb0EPKbPbPKlPlN2at6native12_GLOBAL__N_18offset_tEEE10hipError_tPvRmT1_PNSt15iterator_traitsISY_E10value_typeET2_T3_PNSZ_IS14_E10value_typeET4_jRbjT5_S1A_jjP12ihipStream_tbEUljE_EEESV_SW_SX_S14_S18_S1A_T6_T7_T9_mT8_S1C_bDpT10_ENKUlT_T0_E_clISt17integral_constantIbLb1EES1P_EEDaS1K_S1L_EUlS1K_E_NS1_11comp_targetILNS1_3genE2ELNS1_11target_archE906ELNS1_3gpuE6ELNS1_3repE0EEENS1_30default_config_static_selectorELNS0_4arch9wavefront6targetE1EEEvSY_,"axG",@progbits,_ZN7rocprim17ROCPRIM_400000_NS6detail17trampoline_kernelINS0_13select_configILj256ELj13ELNS0_17block_load_methodE3ELS4_3ELS4_3ELNS0_20block_scan_algorithmE0ELj4294967295EEENS1_25partition_config_selectorILNS1_17partition_subalgoE3EjNS0_10empty_typeEbEEZZNS1_14partition_implILS8_3ELb0ES6_jNS0_17counting_iteratorIjlEEPS9_SE_NS0_5tupleIJPjSE_EEENSF_IJSE_SE_EEES9_SG_JZNS1_25segmented_radix_sort_implINS0_14default_configELb0EPKbPbPKlPlN2at6native12_GLOBAL__N_18offset_tEEE10hipError_tPvRmT1_PNSt15iterator_traitsISY_E10value_typeET2_T3_PNSZ_IS14_E10value_typeET4_jRbjT5_S1A_jjP12ihipStream_tbEUljE_EEESV_SW_SX_S14_S18_S1A_T6_T7_T9_mT8_S1C_bDpT10_ENKUlT_T0_E_clISt17integral_constantIbLb1EES1P_EEDaS1K_S1L_EUlS1K_E_NS1_11comp_targetILNS1_3genE2ELNS1_11target_archE906ELNS1_3gpuE6ELNS1_3repE0EEENS1_30default_config_static_selectorELNS0_4arch9wavefront6targetE1EEEvSY_,comdat
	.globl	_ZN7rocprim17ROCPRIM_400000_NS6detail17trampoline_kernelINS0_13select_configILj256ELj13ELNS0_17block_load_methodE3ELS4_3ELS4_3ELNS0_20block_scan_algorithmE0ELj4294967295EEENS1_25partition_config_selectorILNS1_17partition_subalgoE3EjNS0_10empty_typeEbEEZZNS1_14partition_implILS8_3ELb0ES6_jNS0_17counting_iteratorIjlEEPS9_SE_NS0_5tupleIJPjSE_EEENSF_IJSE_SE_EEES9_SG_JZNS1_25segmented_radix_sort_implINS0_14default_configELb0EPKbPbPKlPlN2at6native12_GLOBAL__N_18offset_tEEE10hipError_tPvRmT1_PNSt15iterator_traitsISY_E10value_typeET2_T3_PNSZ_IS14_E10value_typeET4_jRbjT5_S1A_jjP12ihipStream_tbEUljE_EEESV_SW_SX_S14_S18_S1A_T6_T7_T9_mT8_S1C_bDpT10_ENKUlT_T0_E_clISt17integral_constantIbLb1EES1P_EEDaS1K_S1L_EUlS1K_E_NS1_11comp_targetILNS1_3genE2ELNS1_11target_archE906ELNS1_3gpuE6ELNS1_3repE0EEENS1_30default_config_static_selectorELNS0_4arch9wavefront6targetE1EEEvSY_ ; -- Begin function _ZN7rocprim17ROCPRIM_400000_NS6detail17trampoline_kernelINS0_13select_configILj256ELj13ELNS0_17block_load_methodE3ELS4_3ELS4_3ELNS0_20block_scan_algorithmE0ELj4294967295EEENS1_25partition_config_selectorILNS1_17partition_subalgoE3EjNS0_10empty_typeEbEEZZNS1_14partition_implILS8_3ELb0ES6_jNS0_17counting_iteratorIjlEEPS9_SE_NS0_5tupleIJPjSE_EEENSF_IJSE_SE_EEES9_SG_JZNS1_25segmented_radix_sort_implINS0_14default_configELb0EPKbPbPKlPlN2at6native12_GLOBAL__N_18offset_tEEE10hipError_tPvRmT1_PNSt15iterator_traitsISY_E10value_typeET2_T3_PNSZ_IS14_E10value_typeET4_jRbjT5_S1A_jjP12ihipStream_tbEUljE_EEESV_SW_SX_S14_S18_S1A_T6_T7_T9_mT8_S1C_bDpT10_ENKUlT_T0_E_clISt17integral_constantIbLb1EES1P_EEDaS1K_S1L_EUlS1K_E_NS1_11comp_targetILNS1_3genE2ELNS1_11target_archE906ELNS1_3gpuE6ELNS1_3repE0EEENS1_30default_config_static_selectorELNS0_4arch9wavefront6targetE1EEEvSY_
	.p2align	8
	.type	_ZN7rocprim17ROCPRIM_400000_NS6detail17trampoline_kernelINS0_13select_configILj256ELj13ELNS0_17block_load_methodE3ELS4_3ELS4_3ELNS0_20block_scan_algorithmE0ELj4294967295EEENS1_25partition_config_selectorILNS1_17partition_subalgoE3EjNS0_10empty_typeEbEEZZNS1_14partition_implILS8_3ELb0ES6_jNS0_17counting_iteratorIjlEEPS9_SE_NS0_5tupleIJPjSE_EEENSF_IJSE_SE_EEES9_SG_JZNS1_25segmented_radix_sort_implINS0_14default_configELb0EPKbPbPKlPlN2at6native12_GLOBAL__N_18offset_tEEE10hipError_tPvRmT1_PNSt15iterator_traitsISY_E10value_typeET2_T3_PNSZ_IS14_E10value_typeET4_jRbjT5_S1A_jjP12ihipStream_tbEUljE_EEESV_SW_SX_S14_S18_S1A_T6_T7_T9_mT8_S1C_bDpT10_ENKUlT_T0_E_clISt17integral_constantIbLb1EES1P_EEDaS1K_S1L_EUlS1K_E_NS1_11comp_targetILNS1_3genE2ELNS1_11target_archE906ELNS1_3gpuE6ELNS1_3repE0EEENS1_30default_config_static_selectorELNS0_4arch9wavefront6targetE1EEEvSY_,@function
_ZN7rocprim17ROCPRIM_400000_NS6detail17trampoline_kernelINS0_13select_configILj256ELj13ELNS0_17block_load_methodE3ELS4_3ELS4_3ELNS0_20block_scan_algorithmE0ELj4294967295EEENS1_25partition_config_selectorILNS1_17partition_subalgoE3EjNS0_10empty_typeEbEEZZNS1_14partition_implILS8_3ELb0ES6_jNS0_17counting_iteratorIjlEEPS9_SE_NS0_5tupleIJPjSE_EEENSF_IJSE_SE_EEES9_SG_JZNS1_25segmented_radix_sort_implINS0_14default_configELb0EPKbPbPKlPlN2at6native12_GLOBAL__N_18offset_tEEE10hipError_tPvRmT1_PNSt15iterator_traitsISY_E10value_typeET2_T3_PNSZ_IS14_E10value_typeET4_jRbjT5_S1A_jjP12ihipStream_tbEUljE_EEESV_SW_SX_S14_S18_S1A_T6_T7_T9_mT8_S1C_bDpT10_ENKUlT_T0_E_clISt17integral_constantIbLb1EES1P_EEDaS1K_S1L_EUlS1K_E_NS1_11comp_targetILNS1_3genE2ELNS1_11target_archE906ELNS1_3gpuE6ELNS1_3repE0EEENS1_30default_config_static_selectorELNS0_4arch9wavefront6targetE1EEEvSY_: ; @_ZN7rocprim17ROCPRIM_400000_NS6detail17trampoline_kernelINS0_13select_configILj256ELj13ELNS0_17block_load_methodE3ELS4_3ELS4_3ELNS0_20block_scan_algorithmE0ELj4294967295EEENS1_25partition_config_selectorILNS1_17partition_subalgoE3EjNS0_10empty_typeEbEEZZNS1_14partition_implILS8_3ELb0ES6_jNS0_17counting_iteratorIjlEEPS9_SE_NS0_5tupleIJPjSE_EEENSF_IJSE_SE_EEES9_SG_JZNS1_25segmented_radix_sort_implINS0_14default_configELb0EPKbPbPKlPlN2at6native12_GLOBAL__N_18offset_tEEE10hipError_tPvRmT1_PNSt15iterator_traitsISY_E10value_typeET2_T3_PNSZ_IS14_E10value_typeET4_jRbjT5_S1A_jjP12ihipStream_tbEUljE_EEESV_SW_SX_S14_S18_S1A_T6_T7_T9_mT8_S1C_bDpT10_ENKUlT_T0_E_clISt17integral_constantIbLb1EES1P_EEDaS1K_S1L_EUlS1K_E_NS1_11comp_targetILNS1_3genE2ELNS1_11target_archE906ELNS1_3gpuE6ELNS1_3repE0EEENS1_30default_config_static_selectorELNS0_4arch9wavefront6targetE1EEEvSY_
; %bb.0:
	s_endpgm
	.section	.rodata,"a",@progbits
	.p2align	6, 0x0
	.amdhsa_kernel _ZN7rocprim17ROCPRIM_400000_NS6detail17trampoline_kernelINS0_13select_configILj256ELj13ELNS0_17block_load_methodE3ELS4_3ELS4_3ELNS0_20block_scan_algorithmE0ELj4294967295EEENS1_25partition_config_selectorILNS1_17partition_subalgoE3EjNS0_10empty_typeEbEEZZNS1_14partition_implILS8_3ELb0ES6_jNS0_17counting_iteratorIjlEEPS9_SE_NS0_5tupleIJPjSE_EEENSF_IJSE_SE_EEES9_SG_JZNS1_25segmented_radix_sort_implINS0_14default_configELb0EPKbPbPKlPlN2at6native12_GLOBAL__N_18offset_tEEE10hipError_tPvRmT1_PNSt15iterator_traitsISY_E10value_typeET2_T3_PNSZ_IS14_E10value_typeET4_jRbjT5_S1A_jjP12ihipStream_tbEUljE_EEESV_SW_SX_S14_S18_S1A_T6_T7_T9_mT8_S1C_bDpT10_ENKUlT_T0_E_clISt17integral_constantIbLb1EES1P_EEDaS1K_S1L_EUlS1K_E_NS1_11comp_targetILNS1_3genE2ELNS1_11target_archE906ELNS1_3gpuE6ELNS1_3repE0EEENS1_30default_config_static_selectorELNS0_4arch9wavefront6targetE1EEEvSY_
		.amdhsa_group_segment_fixed_size 0
		.amdhsa_private_segment_fixed_size 0
		.amdhsa_kernarg_size 152
		.amdhsa_user_sgpr_count 6
		.amdhsa_user_sgpr_private_segment_buffer 1
		.amdhsa_user_sgpr_dispatch_ptr 0
		.amdhsa_user_sgpr_queue_ptr 0
		.amdhsa_user_sgpr_kernarg_segment_ptr 1
		.amdhsa_user_sgpr_dispatch_id 0
		.amdhsa_user_sgpr_flat_scratch_init 0
		.amdhsa_user_sgpr_private_segment_size 0
		.amdhsa_uses_dynamic_stack 0
		.amdhsa_system_sgpr_private_segment_wavefront_offset 0
		.amdhsa_system_sgpr_workgroup_id_x 1
		.amdhsa_system_sgpr_workgroup_id_y 0
		.amdhsa_system_sgpr_workgroup_id_z 0
		.amdhsa_system_sgpr_workgroup_info 0
		.amdhsa_system_vgpr_workitem_id 0
		.amdhsa_next_free_vgpr 1
		.amdhsa_next_free_sgpr 0
		.amdhsa_reserve_vcc 0
		.amdhsa_reserve_flat_scratch 0
		.amdhsa_float_round_mode_32 0
		.amdhsa_float_round_mode_16_64 0
		.amdhsa_float_denorm_mode_32 3
		.amdhsa_float_denorm_mode_16_64 3
		.amdhsa_dx10_clamp 1
		.amdhsa_ieee_mode 1
		.amdhsa_fp16_overflow 0
		.amdhsa_exception_fp_ieee_invalid_op 0
		.amdhsa_exception_fp_denorm_src 0
		.amdhsa_exception_fp_ieee_div_zero 0
		.amdhsa_exception_fp_ieee_overflow 0
		.amdhsa_exception_fp_ieee_underflow 0
		.amdhsa_exception_fp_ieee_inexact 0
		.amdhsa_exception_int_div_zero 0
	.end_amdhsa_kernel
	.section	.text._ZN7rocprim17ROCPRIM_400000_NS6detail17trampoline_kernelINS0_13select_configILj256ELj13ELNS0_17block_load_methodE3ELS4_3ELS4_3ELNS0_20block_scan_algorithmE0ELj4294967295EEENS1_25partition_config_selectorILNS1_17partition_subalgoE3EjNS0_10empty_typeEbEEZZNS1_14partition_implILS8_3ELb0ES6_jNS0_17counting_iteratorIjlEEPS9_SE_NS0_5tupleIJPjSE_EEENSF_IJSE_SE_EEES9_SG_JZNS1_25segmented_radix_sort_implINS0_14default_configELb0EPKbPbPKlPlN2at6native12_GLOBAL__N_18offset_tEEE10hipError_tPvRmT1_PNSt15iterator_traitsISY_E10value_typeET2_T3_PNSZ_IS14_E10value_typeET4_jRbjT5_S1A_jjP12ihipStream_tbEUljE_EEESV_SW_SX_S14_S18_S1A_T6_T7_T9_mT8_S1C_bDpT10_ENKUlT_T0_E_clISt17integral_constantIbLb1EES1P_EEDaS1K_S1L_EUlS1K_E_NS1_11comp_targetILNS1_3genE2ELNS1_11target_archE906ELNS1_3gpuE6ELNS1_3repE0EEENS1_30default_config_static_selectorELNS0_4arch9wavefront6targetE1EEEvSY_,"axG",@progbits,_ZN7rocprim17ROCPRIM_400000_NS6detail17trampoline_kernelINS0_13select_configILj256ELj13ELNS0_17block_load_methodE3ELS4_3ELS4_3ELNS0_20block_scan_algorithmE0ELj4294967295EEENS1_25partition_config_selectorILNS1_17partition_subalgoE3EjNS0_10empty_typeEbEEZZNS1_14partition_implILS8_3ELb0ES6_jNS0_17counting_iteratorIjlEEPS9_SE_NS0_5tupleIJPjSE_EEENSF_IJSE_SE_EEES9_SG_JZNS1_25segmented_radix_sort_implINS0_14default_configELb0EPKbPbPKlPlN2at6native12_GLOBAL__N_18offset_tEEE10hipError_tPvRmT1_PNSt15iterator_traitsISY_E10value_typeET2_T3_PNSZ_IS14_E10value_typeET4_jRbjT5_S1A_jjP12ihipStream_tbEUljE_EEESV_SW_SX_S14_S18_S1A_T6_T7_T9_mT8_S1C_bDpT10_ENKUlT_T0_E_clISt17integral_constantIbLb1EES1P_EEDaS1K_S1L_EUlS1K_E_NS1_11comp_targetILNS1_3genE2ELNS1_11target_archE906ELNS1_3gpuE6ELNS1_3repE0EEENS1_30default_config_static_selectorELNS0_4arch9wavefront6targetE1EEEvSY_,comdat
.Lfunc_end1615:
	.size	_ZN7rocprim17ROCPRIM_400000_NS6detail17trampoline_kernelINS0_13select_configILj256ELj13ELNS0_17block_load_methodE3ELS4_3ELS4_3ELNS0_20block_scan_algorithmE0ELj4294967295EEENS1_25partition_config_selectorILNS1_17partition_subalgoE3EjNS0_10empty_typeEbEEZZNS1_14partition_implILS8_3ELb0ES6_jNS0_17counting_iteratorIjlEEPS9_SE_NS0_5tupleIJPjSE_EEENSF_IJSE_SE_EEES9_SG_JZNS1_25segmented_radix_sort_implINS0_14default_configELb0EPKbPbPKlPlN2at6native12_GLOBAL__N_18offset_tEEE10hipError_tPvRmT1_PNSt15iterator_traitsISY_E10value_typeET2_T3_PNSZ_IS14_E10value_typeET4_jRbjT5_S1A_jjP12ihipStream_tbEUljE_EEESV_SW_SX_S14_S18_S1A_T6_T7_T9_mT8_S1C_bDpT10_ENKUlT_T0_E_clISt17integral_constantIbLb1EES1P_EEDaS1K_S1L_EUlS1K_E_NS1_11comp_targetILNS1_3genE2ELNS1_11target_archE906ELNS1_3gpuE6ELNS1_3repE0EEENS1_30default_config_static_selectorELNS0_4arch9wavefront6targetE1EEEvSY_, .Lfunc_end1615-_ZN7rocprim17ROCPRIM_400000_NS6detail17trampoline_kernelINS0_13select_configILj256ELj13ELNS0_17block_load_methodE3ELS4_3ELS4_3ELNS0_20block_scan_algorithmE0ELj4294967295EEENS1_25partition_config_selectorILNS1_17partition_subalgoE3EjNS0_10empty_typeEbEEZZNS1_14partition_implILS8_3ELb0ES6_jNS0_17counting_iteratorIjlEEPS9_SE_NS0_5tupleIJPjSE_EEENSF_IJSE_SE_EEES9_SG_JZNS1_25segmented_radix_sort_implINS0_14default_configELb0EPKbPbPKlPlN2at6native12_GLOBAL__N_18offset_tEEE10hipError_tPvRmT1_PNSt15iterator_traitsISY_E10value_typeET2_T3_PNSZ_IS14_E10value_typeET4_jRbjT5_S1A_jjP12ihipStream_tbEUljE_EEESV_SW_SX_S14_S18_S1A_T6_T7_T9_mT8_S1C_bDpT10_ENKUlT_T0_E_clISt17integral_constantIbLb1EES1P_EEDaS1K_S1L_EUlS1K_E_NS1_11comp_targetILNS1_3genE2ELNS1_11target_archE906ELNS1_3gpuE6ELNS1_3repE0EEENS1_30default_config_static_selectorELNS0_4arch9wavefront6targetE1EEEvSY_
                                        ; -- End function
	.set _ZN7rocprim17ROCPRIM_400000_NS6detail17trampoline_kernelINS0_13select_configILj256ELj13ELNS0_17block_load_methodE3ELS4_3ELS4_3ELNS0_20block_scan_algorithmE0ELj4294967295EEENS1_25partition_config_selectorILNS1_17partition_subalgoE3EjNS0_10empty_typeEbEEZZNS1_14partition_implILS8_3ELb0ES6_jNS0_17counting_iteratorIjlEEPS9_SE_NS0_5tupleIJPjSE_EEENSF_IJSE_SE_EEES9_SG_JZNS1_25segmented_radix_sort_implINS0_14default_configELb0EPKbPbPKlPlN2at6native12_GLOBAL__N_18offset_tEEE10hipError_tPvRmT1_PNSt15iterator_traitsISY_E10value_typeET2_T3_PNSZ_IS14_E10value_typeET4_jRbjT5_S1A_jjP12ihipStream_tbEUljE_EEESV_SW_SX_S14_S18_S1A_T6_T7_T9_mT8_S1C_bDpT10_ENKUlT_T0_E_clISt17integral_constantIbLb1EES1P_EEDaS1K_S1L_EUlS1K_E_NS1_11comp_targetILNS1_3genE2ELNS1_11target_archE906ELNS1_3gpuE6ELNS1_3repE0EEENS1_30default_config_static_selectorELNS0_4arch9wavefront6targetE1EEEvSY_.num_vgpr, 0
	.set _ZN7rocprim17ROCPRIM_400000_NS6detail17trampoline_kernelINS0_13select_configILj256ELj13ELNS0_17block_load_methodE3ELS4_3ELS4_3ELNS0_20block_scan_algorithmE0ELj4294967295EEENS1_25partition_config_selectorILNS1_17partition_subalgoE3EjNS0_10empty_typeEbEEZZNS1_14partition_implILS8_3ELb0ES6_jNS0_17counting_iteratorIjlEEPS9_SE_NS0_5tupleIJPjSE_EEENSF_IJSE_SE_EEES9_SG_JZNS1_25segmented_radix_sort_implINS0_14default_configELb0EPKbPbPKlPlN2at6native12_GLOBAL__N_18offset_tEEE10hipError_tPvRmT1_PNSt15iterator_traitsISY_E10value_typeET2_T3_PNSZ_IS14_E10value_typeET4_jRbjT5_S1A_jjP12ihipStream_tbEUljE_EEESV_SW_SX_S14_S18_S1A_T6_T7_T9_mT8_S1C_bDpT10_ENKUlT_T0_E_clISt17integral_constantIbLb1EES1P_EEDaS1K_S1L_EUlS1K_E_NS1_11comp_targetILNS1_3genE2ELNS1_11target_archE906ELNS1_3gpuE6ELNS1_3repE0EEENS1_30default_config_static_selectorELNS0_4arch9wavefront6targetE1EEEvSY_.num_agpr, 0
	.set _ZN7rocprim17ROCPRIM_400000_NS6detail17trampoline_kernelINS0_13select_configILj256ELj13ELNS0_17block_load_methodE3ELS4_3ELS4_3ELNS0_20block_scan_algorithmE0ELj4294967295EEENS1_25partition_config_selectorILNS1_17partition_subalgoE3EjNS0_10empty_typeEbEEZZNS1_14partition_implILS8_3ELb0ES6_jNS0_17counting_iteratorIjlEEPS9_SE_NS0_5tupleIJPjSE_EEENSF_IJSE_SE_EEES9_SG_JZNS1_25segmented_radix_sort_implINS0_14default_configELb0EPKbPbPKlPlN2at6native12_GLOBAL__N_18offset_tEEE10hipError_tPvRmT1_PNSt15iterator_traitsISY_E10value_typeET2_T3_PNSZ_IS14_E10value_typeET4_jRbjT5_S1A_jjP12ihipStream_tbEUljE_EEESV_SW_SX_S14_S18_S1A_T6_T7_T9_mT8_S1C_bDpT10_ENKUlT_T0_E_clISt17integral_constantIbLb1EES1P_EEDaS1K_S1L_EUlS1K_E_NS1_11comp_targetILNS1_3genE2ELNS1_11target_archE906ELNS1_3gpuE6ELNS1_3repE0EEENS1_30default_config_static_selectorELNS0_4arch9wavefront6targetE1EEEvSY_.numbered_sgpr, 0
	.set _ZN7rocprim17ROCPRIM_400000_NS6detail17trampoline_kernelINS0_13select_configILj256ELj13ELNS0_17block_load_methodE3ELS4_3ELS4_3ELNS0_20block_scan_algorithmE0ELj4294967295EEENS1_25partition_config_selectorILNS1_17partition_subalgoE3EjNS0_10empty_typeEbEEZZNS1_14partition_implILS8_3ELb0ES6_jNS0_17counting_iteratorIjlEEPS9_SE_NS0_5tupleIJPjSE_EEENSF_IJSE_SE_EEES9_SG_JZNS1_25segmented_radix_sort_implINS0_14default_configELb0EPKbPbPKlPlN2at6native12_GLOBAL__N_18offset_tEEE10hipError_tPvRmT1_PNSt15iterator_traitsISY_E10value_typeET2_T3_PNSZ_IS14_E10value_typeET4_jRbjT5_S1A_jjP12ihipStream_tbEUljE_EEESV_SW_SX_S14_S18_S1A_T6_T7_T9_mT8_S1C_bDpT10_ENKUlT_T0_E_clISt17integral_constantIbLb1EES1P_EEDaS1K_S1L_EUlS1K_E_NS1_11comp_targetILNS1_3genE2ELNS1_11target_archE906ELNS1_3gpuE6ELNS1_3repE0EEENS1_30default_config_static_selectorELNS0_4arch9wavefront6targetE1EEEvSY_.num_named_barrier, 0
	.set _ZN7rocprim17ROCPRIM_400000_NS6detail17trampoline_kernelINS0_13select_configILj256ELj13ELNS0_17block_load_methodE3ELS4_3ELS4_3ELNS0_20block_scan_algorithmE0ELj4294967295EEENS1_25partition_config_selectorILNS1_17partition_subalgoE3EjNS0_10empty_typeEbEEZZNS1_14partition_implILS8_3ELb0ES6_jNS0_17counting_iteratorIjlEEPS9_SE_NS0_5tupleIJPjSE_EEENSF_IJSE_SE_EEES9_SG_JZNS1_25segmented_radix_sort_implINS0_14default_configELb0EPKbPbPKlPlN2at6native12_GLOBAL__N_18offset_tEEE10hipError_tPvRmT1_PNSt15iterator_traitsISY_E10value_typeET2_T3_PNSZ_IS14_E10value_typeET4_jRbjT5_S1A_jjP12ihipStream_tbEUljE_EEESV_SW_SX_S14_S18_S1A_T6_T7_T9_mT8_S1C_bDpT10_ENKUlT_T0_E_clISt17integral_constantIbLb1EES1P_EEDaS1K_S1L_EUlS1K_E_NS1_11comp_targetILNS1_3genE2ELNS1_11target_archE906ELNS1_3gpuE6ELNS1_3repE0EEENS1_30default_config_static_selectorELNS0_4arch9wavefront6targetE1EEEvSY_.private_seg_size, 0
	.set _ZN7rocprim17ROCPRIM_400000_NS6detail17trampoline_kernelINS0_13select_configILj256ELj13ELNS0_17block_load_methodE3ELS4_3ELS4_3ELNS0_20block_scan_algorithmE0ELj4294967295EEENS1_25partition_config_selectorILNS1_17partition_subalgoE3EjNS0_10empty_typeEbEEZZNS1_14partition_implILS8_3ELb0ES6_jNS0_17counting_iteratorIjlEEPS9_SE_NS0_5tupleIJPjSE_EEENSF_IJSE_SE_EEES9_SG_JZNS1_25segmented_radix_sort_implINS0_14default_configELb0EPKbPbPKlPlN2at6native12_GLOBAL__N_18offset_tEEE10hipError_tPvRmT1_PNSt15iterator_traitsISY_E10value_typeET2_T3_PNSZ_IS14_E10value_typeET4_jRbjT5_S1A_jjP12ihipStream_tbEUljE_EEESV_SW_SX_S14_S18_S1A_T6_T7_T9_mT8_S1C_bDpT10_ENKUlT_T0_E_clISt17integral_constantIbLb1EES1P_EEDaS1K_S1L_EUlS1K_E_NS1_11comp_targetILNS1_3genE2ELNS1_11target_archE906ELNS1_3gpuE6ELNS1_3repE0EEENS1_30default_config_static_selectorELNS0_4arch9wavefront6targetE1EEEvSY_.uses_vcc, 0
	.set _ZN7rocprim17ROCPRIM_400000_NS6detail17trampoline_kernelINS0_13select_configILj256ELj13ELNS0_17block_load_methodE3ELS4_3ELS4_3ELNS0_20block_scan_algorithmE0ELj4294967295EEENS1_25partition_config_selectorILNS1_17partition_subalgoE3EjNS0_10empty_typeEbEEZZNS1_14partition_implILS8_3ELb0ES6_jNS0_17counting_iteratorIjlEEPS9_SE_NS0_5tupleIJPjSE_EEENSF_IJSE_SE_EEES9_SG_JZNS1_25segmented_radix_sort_implINS0_14default_configELb0EPKbPbPKlPlN2at6native12_GLOBAL__N_18offset_tEEE10hipError_tPvRmT1_PNSt15iterator_traitsISY_E10value_typeET2_T3_PNSZ_IS14_E10value_typeET4_jRbjT5_S1A_jjP12ihipStream_tbEUljE_EEESV_SW_SX_S14_S18_S1A_T6_T7_T9_mT8_S1C_bDpT10_ENKUlT_T0_E_clISt17integral_constantIbLb1EES1P_EEDaS1K_S1L_EUlS1K_E_NS1_11comp_targetILNS1_3genE2ELNS1_11target_archE906ELNS1_3gpuE6ELNS1_3repE0EEENS1_30default_config_static_selectorELNS0_4arch9wavefront6targetE1EEEvSY_.uses_flat_scratch, 0
	.set _ZN7rocprim17ROCPRIM_400000_NS6detail17trampoline_kernelINS0_13select_configILj256ELj13ELNS0_17block_load_methodE3ELS4_3ELS4_3ELNS0_20block_scan_algorithmE0ELj4294967295EEENS1_25partition_config_selectorILNS1_17partition_subalgoE3EjNS0_10empty_typeEbEEZZNS1_14partition_implILS8_3ELb0ES6_jNS0_17counting_iteratorIjlEEPS9_SE_NS0_5tupleIJPjSE_EEENSF_IJSE_SE_EEES9_SG_JZNS1_25segmented_radix_sort_implINS0_14default_configELb0EPKbPbPKlPlN2at6native12_GLOBAL__N_18offset_tEEE10hipError_tPvRmT1_PNSt15iterator_traitsISY_E10value_typeET2_T3_PNSZ_IS14_E10value_typeET4_jRbjT5_S1A_jjP12ihipStream_tbEUljE_EEESV_SW_SX_S14_S18_S1A_T6_T7_T9_mT8_S1C_bDpT10_ENKUlT_T0_E_clISt17integral_constantIbLb1EES1P_EEDaS1K_S1L_EUlS1K_E_NS1_11comp_targetILNS1_3genE2ELNS1_11target_archE906ELNS1_3gpuE6ELNS1_3repE0EEENS1_30default_config_static_selectorELNS0_4arch9wavefront6targetE1EEEvSY_.has_dyn_sized_stack, 0
	.set _ZN7rocprim17ROCPRIM_400000_NS6detail17trampoline_kernelINS0_13select_configILj256ELj13ELNS0_17block_load_methodE3ELS4_3ELS4_3ELNS0_20block_scan_algorithmE0ELj4294967295EEENS1_25partition_config_selectorILNS1_17partition_subalgoE3EjNS0_10empty_typeEbEEZZNS1_14partition_implILS8_3ELb0ES6_jNS0_17counting_iteratorIjlEEPS9_SE_NS0_5tupleIJPjSE_EEENSF_IJSE_SE_EEES9_SG_JZNS1_25segmented_radix_sort_implINS0_14default_configELb0EPKbPbPKlPlN2at6native12_GLOBAL__N_18offset_tEEE10hipError_tPvRmT1_PNSt15iterator_traitsISY_E10value_typeET2_T3_PNSZ_IS14_E10value_typeET4_jRbjT5_S1A_jjP12ihipStream_tbEUljE_EEESV_SW_SX_S14_S18_S1A_T6_T7_T9_mT8_S1C_bDpT10_ENKUlT_T0_E_clISt17integral_constantIbLb1EES1P_EEDaS1K_S1L_EUlS1K_E_NS1_11comp_targetILNS1_3genE2ELNS1_11target_archE906ELNS1_3gpuE6ELNS1_3repE0EEENS1_30default_config_static_selectorELNS0_4arch9wavefront6targetE1EEEvSY_.has_recursion, 0
	.set _ZN7rocprim17ROCPRIM_400000_NS6detail17trampoline_kernelINS0_13select_configILj256ELj13ELNS0_17block_load_methodE3ELS4_3ELS4_3ELNS0_20block_scan_algorithmE0ELj4294967295EEENS1_25partition_config_selectorILNS1_17partition_subalgoE3EjNS0_10empty_typeEbEEZZNS1_14partition_implILS8_3ELb0ES6_jNS0_17counting_iteratorIjlEEPS9_SE_NS0_5tupleIJPjSE_EEENSF_IJSE_SE_EEES9_SG_JZNS1_25segmented_radix_sort_implINS0_14default_configELb0EPKbPbPKlPlN2at6native12_GLOBAL__N_18offset_tEEE10hipError_tPvRmT1_PNSt15iterator_traitsISY_E10value_typeET2_T3_PNSZ_IS14_E10value_typeET4_jRbjT5_S1A_jjP12ihipStream_tbEUljE_EEESV_SW_SX_S14_S18_S1A_T6_T7_T9_mT8_S1C_bDpT10_ENKUlT_T0_E_clISt17integral_constantIbLb1EES1P_EEDaS1K_S1L_EUlS1K_E_NS1_11comp_targetILNS1_3genE2ELNS1_11target_archE906ELNS1_3gpuE6ELNS1_3repE0EEENS1_30default_config_static_selectorELNS0_4arch9wavefront6targetE1EEEvSY_.has_indirect_call, 0
	.section	.AMDGPU.csdata,"",@progbits
; Kernel info:
; codeLenInByte = 4
; TotalNumSgprs: 4
; NumVgprs: 0
; ScratchSize: 0
; MemoryBound: 0
; FloatMode: 240
; IeeeMode: 1
; LDSByteSize: 0 bytes/workgroup (compile time only)
; SGPRBlocks: 0
; VGPRBlocks: 0
; NumSGPRsForWavesPerEU: 4
; NumVGPRsForWavesPerEU: 1
; Occupancy: 10
; WaveLimiterHint : 0
; COMPUTE_PGM_RSRC2:SCRATCH_EN: 0
; COMPUTE_PGM_RSRC2:USER_SGPR: 6
; COMPUTE_PGM_RSRC2:TRAP_HANDLER: 0
; COMPUTE_PGM_RSRC2:TGID_X_EN: 1
; COMPUTE_PGM_RSRC2:TGID_Y_EN: 0
; COMPUTE_PGM_RSRC2:TGID_Z_EN: 0
; COMPUTE_PGM_RSRC2:TIDIG_COMP_CNT: 0
	.section	.text._ZN7rocprim17ROCPRIM_400000_NS6detail17trampoline_kernelINS0_13select_configILj256ELj13ELNS0_17block_load_methodE3ELS4_3ELS4_3ELNS0_20block_scan_algorithmE0ELj4294967295EEENS1_25partition_config_selectorILNS1_17partition_subalgoE3EjNS0_10empty_typeEbEEZZNS1_14partition_implILS8_3ELb0ES6_jNS0_17counting_iteratorIjlEEPS9_SE_NS0_5tupleIJPjSE_EEENSF_IJSE_SE_EEES9_SG_JZNS1_25segmented_radix_sort_implINS0_14default_configELb0EPKbPbPKlPlN2at6native12_GLOBAL__N_18offset_tEEE10hipError_tPvRmT1_PNSt15iterator_traitsISY_E10value_typeET2_T3_PNSZ_IS14_E10value_typeET4_jRbjT5_S1A_jjP12ihipStream_tbEUljE_EEESV_SW_SX_S14_S18_S1A_T6_T7_T9_mT8_S1C_bDpT10_ENKUlT_T0_E_clISt17integral_constantIbLb1EES1P_EEDaS1K_S1L_EUlS1K_E_NS1_11comp_targetILNS1_3genE10ELNS1_11target_archE1200ELNS1_3gpuE4ELNS1_3repE0EEENS1_30default_config_static_selectorELNS0_4arch9wavefront6targetE1EEEvSY_,"axG",@progbits,_ZN7rocprim17ROCPRIM_400000_NS6detail17trampoline_kernelINS0_13select_configILj256ELj13ELNS0_17block_load_methodE3ELS4_3ELS4_3ELNS0_20block_scan_algorithmE0ELj4294967295EEENS1_25partition_config_selectorILNS1_17partition_subalgoE3EjNS0_10empty_typeEbEEZZNS1_14partition_implILS8_3ELb0ES6_jNS0_17counting_iteratorIjlEEPS9_SE_NS0_5tupleIJPjSE_EEENSF_IJSE_SE_EEES9_SG_JZNS1_25segmented_radix_sort_implINS0_14default_configELb0EPKbPbPKlPlN2at6native12_GLOBAL__N_18offset_tEEE10hipError_tPvRmT1_PNSt15iterator_traitsISY_E10value_typeET2_T3_PNSZ_IS14_E10value_typeET4_jRbjT5_S1A_jjP12ihipStream_tbEUljE_EEESV_SW_SX_S14_S18_S1A_T6_T7_T9_mT8_S1C_bDpT10_ENKUlT_T0_E_clISt17integral_constantIbLb1EES1P_EEDaS1K_S1L_EUlS1K_E_NS1_11comp_targetILNS1_3genE10ELNS1_11target_archE1200ELNS1_3gpuE4ELNS1_3repE0EEENS1_30default_config_static_selectorELNS0_4arch9wavefront6targetE1EEEvSY_,comdat
	.globl	_ZN7rocprim17ROCPRIM_400000_NS6detail17trampoline_kernelINS0_13select_configILj256ELj13ELNS0_17block_load_methodE3ELS4_3ELS4_3ELNS0_20block_scan_algorithmE0ELj4294967295EEENS1_25partition_config_selectorILNS1_17partition_subalgoE3EjNS0_10empty_typeEbEEZZNS1_14partition_implILS8_3ELb0ES6_jNS0_17counting_iteratorIjlEEPS9_SE_NS0_5tupleIJPjSE_EEENSF_IJSE_SE_EEES9_SG_JZNS1_25segmented_radix_sort_implINS0_14default_configELb0EPKbPbPKlPlN2at6native12_GLOBAL__N_18offset_tEEE10hipError_tPvRmT1_PNSt15iterator_traitsISY_E10value_typeET2_T3_PNSZ_IS14_E10value_typeET4_jRbjT5_S1A_jjP12ihipStream_tbEUljE_EEESV_SW_SX_S14_S18_S1A_T6_T7_T9_mT8_S1C_bDpT10_ENKUlT_T0_E_clISt17integral_constantIbLb1EES1P_EEDaS1K_S1L_EUlS1K_E_NS1_11comp_targetILNS1_3genE10ELNS1_11target_archE1200ELNS1_3gpuE4ELNS1_3repE0EEENS1_30default_config_static_selectorELNS0_4arch9wavefront6targetE1EEEvSY_ ; -- Begin function _ZN7rocprim17ROCPRIM_400000_NS6detail17trampoline_kernelINS0_13select_configILj256ELj13ELNS0_17block_load_methodE3ELS4_3ELS4_3ELNS0_20block_scan_algorithmE0ELj4294967295EEENS1_25partition_config_selectorILNS1_17partition_subalgoE3EjNS0_10empty_typeEbEEZZNS1_14partition_implILS8_3ELb0ES6_jNS0_17counting_iteratorIjlEEPS9_SE_NS0_5tupleIJPjSE_EEENSF_IJSE_SE_EEES9_SG_JZNS1_25segmented_radix_sort_implINS0_14default_configELb0EPKbPbPKlPlN2at6native12_GLOBAL__N_18offset_tEEE10hipError_tPvRmT1_PNSt15iterator_traitsISY_E10value_typeET2_T3_PNSZ_IS14_E10value_typeET4_jRbjT5_S1A_jjP12ihipStream_tbEUljE_EEESV_SW_SX_S14_S18_S1A_T6_T7_T9_mT8_S1C_bDpT10_ENKUlT_T0_E_clISt17integral_constantIbLb1EES1P_EEDaS1K_S1L_EUlS1K_E_NS1_11comp_targetILNS1_3genE10ELNS1_11target_archE1200ELNS1_3gpuE4ELNS1_3repE0EEENS1_30default_config_static_selectorELNS0_4arch9wavefront6targetE1EEEvSY_
	.p2align	8
	.type	_ZN7rocprim17ROCPRIM_400000_NS6detail17trampoline_kernelINS0_13select_configILj256ELj13ELNS0_17block_load_methodE3ELS4_3ELS4_3ELNS0_20block_scan_algorithmE0ELj4294967295EEENS1_25partition_config_selectorILNS1_17partition_subalgoE3EjNS0_10empty_typeEbEEZZNS1_14partition_implILS8_3ELb0ES6_jNS0_17counting_iteratorIjlEEPS9_SE_NS0_5tupleIJPjSE_EEENSF_IJSE_SE_EEES9_SG_JZNS1_25segmented_radix_sort_implINS0_14default_configELb0EPKbPbPKlPlN2at6native12_GLOBAL__N_18offset_tEEE10hipError_tPvRmT1_PNSt15iterator_traitsISY_E10value_typeET2_T3_PNSZ_IS14_E10value_typeET4_jRbjT5_S1A_jjP12ihipStream_tbEUljE_EEESV_SW_SX_S14_S18_S1A_T6_T7_T9_mT8_S1C_bDpT10_ENKUlT_T0_E_clISt17integral_constantIbLb1EES1P_EEDaS1K_S1L_EUlS1K_E_NS1_11comp_targetILNS1_3genE10ELNS1_11target_archE1200ELNS1_3gpuE4ELNS1_3repE0EEENS1_30default_config_static_selectorELNS0_4arch9wavefront6targetE1EEEvSY_,@function
_ZN7rocprim17ROCPRIM_400000_NS6detail17trampoline_kernelINS0_13select_configILj256ELj13ELNS0_17block_load_methodE3ELS4_3ELS4_3ELNS0_20block_scan_algorithmE0ELj4294967295EEENS1_25partition_config_selectorILNS1_17partition_subalgoE3EjNS0_10empty_typeEbEEZZNS1_14partition_implILS8_3ELb0ES6_jNS0_17counting_iteratorIjlEEPS9_SE_NS0_5tupleIJPjSE_EEENSF_IJSE_SE_EEES9_SG_JZNS1_25segmented_radix_sort_implINS0_14default_configELb0EPKbPbPKlPlN2at6native12_GLOBAL__N_18offset_tEEE10hipError_tPvRmT1_PNSt15iterator_traitsISY_E10value_typeET2_T3_PNSZ_IS14_E10value_typeET4_jRbjT5_S1A_jjP12ihipStream_tbEUljE_EEESV_SW_SX_S14_S18_S1A_T6_T7_T9_mT8_S1C_bDpT10_ENKUlT_T0_E_clISt17integral_constantIbLb1EES1P_EEDaS1K_S1L_EUlS1K_E_NS1_11comp_targetILNS1_3genE10ELNS1_11target_archE1200ELNS1_3gpuE4ELNS1_3repE0EEENS1_30default_config_static_selectorELNS0_4arch9wavefront6targetE1EEEvSY_: ; @_ZN7rocprim17ROCPRIM_400000_NS6detail17trampoline_kernelINS0_13select_configILj256ELj13ELNS0_17block_load_methodE3ELS4_3ELS4_3ELNS0_20block_scan_algorithmE0ELj4294967295EEENS1_25partition_config_selectorILNS1_17partition_subalgoE3EjNS0_10empty_typeEbEEZZNS1_14partition_implILS8_3ELb0ES6_jNS0_17counting_iteratorIjlEEPS9_SE_NS0_5tupleIJPjSE_EEENSF_IJSE_SE_EEES9_SG_JZNS1_25segmented_radix_sort_implINS0_14default_configELb0EPKbPbPKlPlN2at6native12_GLOBAL__N_18offset_tEEE10hipError_tPvRmT1_PNSt15iterator_traitsISY_E10value_typeET2_T3_PNSZ_IS14_E10value_typeET4_jRbjT5_S1A_jjP12ihipStream_tbEUljE_EEESV_SW_SX_S14_S18_S1A_T6_T7_T9_mT8_S1C_bDpT10_ENKUlT_T0_E_clISt17integral_constantIbLb1EES1P_EEDaS1K_S1L_EUlS1K_E_NS1_11comp_targetILNS1_3genE10ELNS1_11target_archE1200ELNS1_3gpuE4ELNS1_3repE0EEENS1_30default_config_static_selectorELNS0_4arch9wavefront6targetE1EEEvSY_
; %bb.0:
	.section	.rodata,"a",@progbits
	.p2align	6, 0x0
	.amdhsa_kernel _ZN7rocprim17ROCPRIM_400000_NS6detail17trampoline_kernelINS0_13select_configILj256ELj13ELNS0_17block_load_methodE3ELS4_3ELS4_3ELNS0_20block_scan_algorithmE0ELj4294967295EEENS1_25partition_config_selectorILNS1_17partition_subalgoE3EjNS0_10empty_typeEbEEZZNS1_14partition_implILS8_3ELb0ES6_jNS0_17counting_iteratorIjlEEPS9_SE_NS0_5tupleIJPjSE_EEENSF_IJSE_SE_EEES9_SG_JZNS1_25segmented_radix_sort_implINS0_14default_configELb0EPKbPbPKlPlN2at6native12_GLOBAL__N_18offset_tEEE10hipError_tPvRmT1_PNSt15iterator_traitsISY_E10value_typeET2_T3_PNSZ_IS14_E10value_typeET4_jRbjT5_S1A_jjP12ihipStream_tbEUljE_EEESV_SW_SX_S14_S18_S1A_T6_T7_T9_mT8_S1C_bDpT10_ENKUlT_T0_E_clISt17integral_constantIbLb1EES1P_EEDaS1K_S1L_EUlS1K_E_NS1_11comp_targetILNS1_3genE10ELNS1_11target_archE1200ELNS1_3gpuE4ELNS1_3repE0EEENS1_30default_config_static_selectorELNS0_4arch9wavefront6targetE1EEEvSY_
		.amdhsa_group_segment_fixed_size 0
		.amdhsa_private_segment_fixed_size 0
		.amdhsa_kernarg_size 152
		.amdhsa_user_sgpr_count 6
		.amdhsa_user_sgpr_private_segment_buffer 1
		.amdhsa_user_sgpr_dispatch_ptr 0
		.amdhsa_user_sgpr_queue_ptr 0
		.amdhsa_user_sgpr_kernarg_segment_ptr 1
		.amdhsa_user_sgpr_dispatch_id 0
		.amdhsa_user_sgpr_flat_scratch_init 0
		.amdhsa_user_sgpr_private_segment_size 0
		.amdhsa_uses_dynamic_stack 0
		.amdhsa_system_sgpr_private_segment_wavefront_offset 0
		.amdhsa_system_sgpr_workgroup_id_x 1
		.amdhsa_system_sgpr_workgroup_id_y 0
		.amdhsa_system_sgpr_workgroup_id_z 0
		.amdhsa_system_sgpr_workgroup_info 0
		.amdhsa_system_vgpr_workitem_id 0
		.amdhsa_next_free_vgpr 1
		.amdhsa_next_free_sgpr 0
		.amdhsa_reserve_vcc 0
		.amdhsa_reserve_flat_scratch 0
		.amdhsa_float_round_mode_32 0
		.amdhsa_float_round_mode_16_64 0
		.amdhsa_float_denorm_mode_32 3
		.amdhsa_float_denorm_mode_16_64 3
		.amdhsa_dx10_clamp 1
		.amdhsa_ieee_mode 1
		.amdhsa_fp16_overflow 0
		.amdhsa_exception_fp_ieee_invalid_op 0
		.amdhsa_exception_fp_denorm_src 0
		.amdhsa_exception_fp_ieee_div_zero 0
		.amdhsa_exception_fp_ieee_overflow 0
		.amdhsa_exception_fp_ieee_underflow 0
		.amdhsa_exception_fp_ieee_inexact 0
		.amdhsa_exception_int_div_zero 0
	.end_amdhsa_kernel
	.section	.text._ZN7rocprim17ROCPRIM_400000_NS6detail17trampoline_kernelINS0_13select_configILj256ELj13ELNS0_17block_load_methodE3ELS4_3ELS4_3ELNS0_20block_scan_algorithmE0ELj4294967295EEENS1_25partition_config_selectorILNS1_17partition_subalgoE3EjNS0_10empty_typeEbEEZZNS1_14partition_implILS8_3ELb0ES6_jNS0_17counting_iteratorIjlEEPS9_SE_NS0_5tupleIJPjSE_EEENSF_IJSE_SE_EEES9_SG_JZNS1_25segmented_radix_sort_implINS0_14default_configELb0EPKbPbPKlPlN2at6native12_GLOBAL__N_18offset_tEEE10hipError_tPvRmT1_PNSt15iterator_traitsISY_E10value_typeET2_T3_PNSZ_IS14_E10value_typeET4_jRbjT5_S1A_jjP12ihipStream_tbEUljE_EEESV_SW_SX_S14_S18_S1A_T6_T7_T9_mT8_S1C_bDpT10_ENKUlT_T0_E_clISt17integral_constantIbLb1EES1P_EEDaS1K_S1L_EUlS1K_E_NS1_11comp_targetILNS1_3genE10ELNS1_11target_archE1200ELNS1_3gpuE4ELNS1_3repE0EEENS1_30default_config_static_selectorELNS0_4arch9wavefront6targetE1EEEvSY_,"axG",@progbits,_ZN7rocprim17ROCPRIM_400000_NS6detail17trampoline_kernelINS0_13select_configILj256ELj13ELNS0_17block_load_methodE3ELS4_3ELS4_3ELNS0_20block_scan_algorithmE0ELj4294967295EEENS1_25partition_config_selectorILNS1_17partition_subalgoE3EjNS0_10empty_typeEbEEZZNS1_14partition_implILS8_3ELb0ES6_jNS0_17counting_iteratorIjlEEPS9_SE_NS0_5tupleIJPjSE_EEENSF_IJSE_SE_EEES9_SG_JZNS1_25segmented_radix_sort_implINS0_14default_configELb0EPKbPbPKlPlN2at6native12_GLOBAL__N_18offset_tEEE10hipError_tPvRmT1_PNSt15iterator_traitsISY_E10value_typeET2_T3_PNSZ_IS14_E10value_typeET4_jRbjT5_S1A_jjP12ihipStream_tbEUljE_EEESV_SW_SX_S14_S18_S1A_T6_T7_T9_mT8_S1C_bDpT10_ENKUlT_T0_E_clISt17integral_constantIbLb1EES1P_EEDaS1K_S1L_EUlS1K_E_NS1_11comp_targetILNS1_3genE10ELNS1_11target_archE1200ELNS1_3gpuE4ELNS1_3repE0EEENS1_30default_config_static_selectorELNS0_4arch9wavefront6targetE1EEEvSY_,comdat
.Lfunc_end1616:
	.size	_ZN7rocprim17ROCPRIM_400000_NS6detail17trampoline_kernelINS0_13select_configILj256ELj13ELNS0_17block_load_methodE3ELS4_3ELS4_3ELNS0_20block_scan_algorithmE0ELj4294967295EEENS1_25partition_config_selectorILNS1_17partition_subalgoE3EjNS0_10empty_typeEbEEZZNS1_14partition_implILS8_3ELb0ES6_jNS0_17counting_iteratorIjlEEPS9_SE_NS0_5tupleIJPjSE_EEENSF_IJSE_SE_EEES9_SG_JZNS1_25segmented_radix_sort_implINS0_14default_configELb0EPKbPbPKlPlN2at6native12_GLOBAL__N_18offset_tEEE10hipError_tPvRmT1_PNSt15iterator_traitsISY_E10value_typeET2_T3_PNSZ_IS14_E10value_typeET4_jRbjT5_S1A_jjP12ihipStream_tbEUljE_EEESV_SW_SX_S14_S18_S1A_T6_T7_T9_mT8_S1C_bDpT10_ENKUlT_T0_E_clISt17integral_constantIbLb1EES1P_EEDaS1K_S1L_EUlS1K_E_NS1_11comp_targetILNS1_3genE10ELNS1_11target_archE1200ELNS1_3gpuE4ELNS1_3repE0EEENS1_30default_config_static_selectorELNS0_4arch9wavefront6targetE1EEEvSY_, .Lfunc_end1616-_ZN7rocprim17ROCPRIM_400000_NS6detail17trampoline_kernelINS0_13select_configILj256ELj13ELNS0_17block_load_methodE3ELS4_3ELS4_3ELNS0_20block_scan_algorithmE0ELj4294967295EEENS1_25partition_config_selectorILNS1_17partition_subalgoE3EjNS0_10empty_typeEbEEZZNS1_14partition_implILS8_3ELb0ES6_jNS0_17counting_iteratorIjlEEPS9_SE_NS0_5tupleIJPjSE_EEENSF_IJSE_SE_EEES9_SG_JZNS1_25segmented_radix_sort_implINS0_14default_configELb0EPKbPbPKlPlN2at6native12_GLOBAL__N_18offset_tEEE10hipError_tPvRmT1_PNSt15iterator_traitsISY_E10value_typeET2_T3_PNSZ_IS14_E10value_typeET4_jRbjT5_S1A_jjP12ihipStream_tbEUljE_EEESV_SW_SX_S14_S18_S1A_T6_T7_T9_mT8_S1C_bDpT10_ENKUlT_T0_E_clISt17integral_constantIbLb1EES1P_EEDaS1K_S1L_EUlS1K_E_NS1_11comp_targetILNS1_3genE10ELNS1_11target_archE1200ELNS1_3gpuE4ELNS1_3repE0EEENS1_30default_config_static_selectorELNS0_4arch9wavefront6targetE1EEEvSY_
                                        ; -- End function
	.set _ZN7rocprim17ROCPRIM_400000_NS6detail17trampoline_kernelINS0_13select_configILj256ELj13ELNS0_17block_load_methodE3ELS4_3ELS4_3ELNS0_20block_scan_algorithmE0ELj4294967295EEENS1_25partition_config_selectorILNS1_17partition_subalgoE3EjNS0_10empty_typeEbEEZZNS1_14partition_implILS8_3ELb0ES6_jNS0_17counting_iteratorIjlEEPS9_SE_NS0_5tupleIJPjSE_EEENSF_IJSE_SE_EEES9_SG_JZNS1_25segmented_radix_sort_implINS0_14default_configELb0EPKbPbPKlPlN2at6native12_GLOBAL__N_18offset_tEEE10hipError_tPvRmT1_PNSt15iterator_traitsISY_E10value_typeET2_T3_PNSZ_IS14_E10value_typeET4_jRbjT5_S1A_jjP12ihipStream_tbEUljE_EEESV_SW_SX_S14_S18_S1A_T6_T7_T9_mT8_S1C_bDpT10_ENKUlT_T0_E_clISt17integral_constantIbLb1EES1P_EEDaS1K_S1L_EUlS1K_E_NS1_11comp_targetILNS1_3genE10ELNS1_11target_archE1200ELNS1_3gpuE4ELNS1_3repE0EEENS1_30default_config_static_selectorELNS0_4arch9wavefront6targetE1EEEvSY_.num_vgpr, 0
	.set _ZN7rocprim17ROCPRIM_400000_NS6detail17trampoline_kernelINS0_13select_configILj256ELj13ELNS0_17block_load_methodE3ELS4_3ELS4_3ELNS0_20block_scan_algorithmE0ELj4294967295EEENS1_25partition_config_selectorILNS1_17partition_subalgoE3EjNS0_10empty_typeEbEEZZNS1_14partition_implILS8_3ELb0ES6_jNS0_17counting_iteratorIjlEEPS9_SE_NS0_5tupleIJPjSE_EEENSF_IJSE_SE_EEES9_SG_JZNS1_25segmented_radix_sort_implINS0_14default_configELb0EPKbPbPKlPlN2at6native12_GLOBAL__N_18offset_tEEE10hipError_tPvRmT1_PNSt15iterator_traitsISY_E10value_typeET2_T3_PNSZ_IS14_E10value_typeET4_jRbjT5_S1A_jjP12ihipStream_tbEUljE_EEESV_SW_SX_S14_S18_S1A_T6_T7_T9_mT8_S1C_bDpT10_ENKUlT_T0_E_clISt17integral_constantIbLb1EES1P_EEDaS1K_S1L_EUlS1K_E_NS1_11comp_targetILNS1_3genE10ELNS1_11target_archE1200ELNS1_3gpuE4ELNS1_3repE0EEENS1_30default_config_static_selectorELNS0_4arch9wavefront6targetE1EEEvSY_.num_agpr, 0
	.set _ZN7rocprim17ROCPRIM_400000_NS6detail17trampoline_kernelINS0_13select_configILj256ELj13ELNS0_17block_load_methodE3ELS4_3ELS4_3ELNS0_20block_scan_algorithmE0ELj4294967295EEENS1_25partition_config_selectorILNS1_17partition_subalgoE3EjNS0_10empty_typeEbEEZZNS1_14partition_implILS8_3ELb0ES6_jNS0_17counting_iteratorIjlEEPS9_SE_NS0_5tupleIJPjSE_EEENSF_IJSE_SE_EEES9_SG_JZNS1_25segmented_radix_sort_implINS0_14default_configELb0EPKbPbPKlPlN2at6native12_GLOBAL__N_18offset_tEEE10hipError_tPvRmT1_PNSt15iterator_traitsISY_E10value_typeET2_T3_PNSZ_IS14_E10value_typeET4_jRbjT5_S1A_jjP12ihipStream_tbEUljE_EEESV_SW_SX_S14_S18_S1A_T6_T7_T9_mT8_S1C_bDpT10_ENKUlT_T0_E_clISt17integral_constantIbLb1EES1P_EEDaS1K_S1L_EUlS1K_E_NS1_11comp_targetILNS1_3genE10ELNS1_11target_archE1200ELNS1_3gpuE4ELNS1_3repE0EEENS1_30default_config_static_selectorELNS0_4arch9wavefront6targetE1EEEvSY_.numbered_sgpr, 0
	.set _ZN7rocprim17ROCPRIM_400000_NS6detail17trampoline_kernelINS0_13select_configILj256ELj13ELNS0_17block_load_methodE3ELS4_3ELS4_3ELNS0_20block_scan_algorithmE0ELj4294967295EEENS1_25partition_config_selectorILNS1_17partition_subalgoE3EjNS0_10empty_typeEbEEZZNS1_14partition_implILS8_3ELb0ES6_jNS0_17counting_iteratorIjlEEPS9_SE_NS0_5tupleIJPjSE_EEENSF_IJSE_SE_EEES9_SG_JZNS1_25segmented_radix_sort_implINS0_14default_configELb0EPKbPbPKlPlN2at6native12_GLOBAL__N_18offset_tEEE10hipError_tPvRmT1_PNSt15iterator_traitsISY_E10value_typeET2_T3_PNSZ_IS14_E10value_typeET4_jRbjT5_S1A_jjP12ihipStream_tbEUljE_EEESV_SW_SX_S14_S18_S1A_T6_T7_T9_mT8_S1C_bDpT10_ENKUlT_T0_E_clISt17integral_constantIbLb1EES1P_EEDaS1K_S1L_EUlS1K_E_NS1_11comp_targetILNS1_3genE10ELNS1_11target_archE1200ELNS1_3gpuE4ELNS1_3repE0EEENS1_30default_config_static_selectorELNS0_4arch9wavefront6targetE1EEEvSY_.num_named_barrier, 0
	.set _ZN7rocprim17ROCPRIM_400000_NS6detail17trampoline_kernelINS0_13select_configILj256ELj13ELNS0_17block_load_methodE3ELS4_3ELS4_3ELNS0_20block_scan_algorithmE0ELj4294967295EEENS1_25partition_config_selectorILNS1_17partition_subalgoE3EjNS0_10empty_typeEbEEZZNS1_14partition_implILS8_3ELb0ES6_jNS0_17counting_iteratorIjlEEPS9_SE_NS0_5tupleIJPjSE_EEENSF_IJSE_SE_EEES9_SG_JZNS1_25segmented_radix_sort_implINS0_14default_configELb0EPKbPbPKlPlN2at6native12_GLOBAL__N_18offset_tEEE10hipError_tPvRmT1_PNSt15iterator_traitsISY_E10value_typeET2_T3_PNSZ_IS14_E10value_typeET4_jRbjT5_S1A_jjP12ihipStream_tbEUljE_EEESV_SW_SX_S14_S18_S1A_T6_T7_T9_mT8_S1C_bDpT10_ENKUlT_T0_E_clISt17integral_constantIbLb1EES1P_EEDaS1K_S1L_EUlS1K_E_NS1_11comp_targetILNS1_3genE10ELNS1_11target_archE1200ELNS1_3gpuE4ELNS1_3repE0EEENS1_30default_config_static_selectorELNS0_4arch9wavefront6targetE1EEEvSY_.private_seg_size, 0
	.set _ZN7rocprim17ROCPRIM_400000_NS6detail17trampoline_kernelINS0_13select_configILj256ELj13ELNS0_17block_load_methodE3ELS4_3ELS4_3ELNS0_20block_scan_algorithmE0ELj4294967295EEENS1_25partition_config_selectorILNS1_17partition_subalgoE3EjNS0_10empty_typeEbEEZZNS1_14partition_implILS8_3ELb0ES6_jNS0_17counting_iteratorIjlEEPS9_SE_NS0_5tupleIJPjSE_EEENSF_IJSE_SE_EEES9_SG_JZNS1_25segmented_radix_sort_implINS0_14default_configELb0EPKbPbPKlPlN2at6native12_GLOBAL__N_18offset_tEEE10hipError_tPvRmT1_PNSt15iterator_traitsISY_E10value_typeET2_T3_PNSZ_IS14_E10value_typeET4_jRbjT5_S1A_jjP12ihipStream_tbEUljE_EEESV_SW_SX_S14_S18_S1A_T6_T7_T9_mT8_S1C_bDpT10_ENKUlT_T0_E_clISt17integral_constantIbLb1EES1P_EEDaS1K_S1L_EUlS1K_E_NS1_11comp_targetILNS1_3genE10ELNS1_11target_archE1200ELNS1_3gpuE4ELNS1_3repE0EEENS1_30default_config_static_selectorELNS0_4arch9wavefront6targetE1EEEvSY_.uses_vcc, 0
	.set _ZN7rocprim17ROCPRIM_400000_NS6detail17trampoline_kernelINS0_13select_configILj256ELj13ELNS0_17block_load_methodE3ELS4_3ELS4_3ELNS0_20block_scan_algorithmE0ELj4294967295EEENS1_25partition_config_selectorILNS1_17partition_subalgoE3EjNS0_10empty_typeEbEEZZNS1_14partition_implILS8_3ELb0ES6_jNS0_17counting_iteratorIjlEEPS9_SE_NS0_5tupleIJPjSE_EEENSF_IJSE_SE_EEES9_SG_JZNS1_25segmented_radix_sort_implINS0_14default_configELb0EPKbPbPKlPlN2at6native12_GLOBAL__N_18offset_tEEE10hipError_tPvRmT1_PNSt15iterator_traitsISY_E10value_typeET2_T3_PNSZ_IS14_E10value_typeET4_jRbjT5_S1A_jjP12ihipStream_tbEUljE_EEESV_SW_SX_S14_S18_S1A_T6_T7_T9_mT8_S1C_bDpT10_ENKUlT_T0_E_clISt17integral_constantIbLb1EES1P_EEDaS1K_S1L_EUlS1K_E_NS1_11comp_targetILNS1_3genE10ELNS1_11target_archE1200ELNS1_3gpuE4ELNS1_3repE0EEENS1_30default_config_static_selectorELNS0_4arch9wavefront6targetE1EEEvSY_.uses_flat_scratch, 0
	.set _ZN7rocprim17ROCPRIM_400000_NS6detail17trampoline_kernelINS0_13select_configILj256ELj13ELNS0_17block_load_methodE3ELS4_3ELS4_3ELNS0_20block_scan_algorithmE0ELj4294967295EEENS1_25partition_config_selectorILNS1_17partition_subalgoE3EjNS0_10empty_typeEbEEZZNS1_14partition_implILS8_3ELb0ES6_jNS0_17counting_iteratorIjlEEPS9_SE_NS0_5tupleIJPjSE_EEENSF_IJSE_SE_EEES9_SG_JZNS1_25segmented_radix_sort_implINS0_14default_configELb0EPKbPbPKlPlN2at6native12_GLOBAL__N_18offset_tEEE10hipError_tPvRmT1_PNSt15iterator_traitsISY_E10value_typeET2_T3_PNSZ_IS14_E10value_typeET4_jRbjT5_S1A_jjP12ihipStream_tbEUljE_EEESV_SW_SX_S14_S18_S1A_T6_T7_T9_mT8_S1C_bDpT10_ENKUlT_T0_E_clISt17integral_constantIbLb1EES1P_EEDaS1K_S1L_EUlS1K_E_NS1_11comp_targetILNS1_3genE10ELNS1_11target_archE1200ELNS1_3gpuE4ELNS1_3repE0EEENS1_30default_config_static_selectorELNS0_4arch9wavefront6targetE1EEEvSY_.has_dyn_sized_stack, 0
	.set _ZN7rocprim17ROCPRIM_400000_NS6detail17trampoline_kernelINS0_13select_configILj256ELj13ELNS0_17block_load_methodE3ELS4_3ELS4_3ELNS0_20block_scan_algorithmE0ELj4294967295EEENS1_25partition_config_selectorILNS1_17partition_subalgoE3EjNS0_10empty_typeEbEEZZNS1_14partition_implILS8_3ELb0ES6_jNS0_17counting_iteratorIjlEEPS9_SE_NS0_5tupleIJPjSE_EEENSF_IJSE_SE_EEES9_SG_JZNS1_25segmented_radix_sort_implINS0_14default_configELb0EPKbPbPKlPlN2at6native12_GLOBAL__N_18offset_tEEE10hipError_tPvRmT1_PNSt15iterator_traitsISY_E10value_typeET2_T3_PNSZ_IS14_E10value_typeET4_jRbjT5_S1A_jjP12ihipStream_tbEUljE_EEESV_SW_SX_S14_S18_S1A_T6_T7_T9_mT8_S1C_bDpT10_ENKUlT_T0_E_clISt17integral_constantIbLb1EES1P_EEDaS1K_S1L_EUlS1K_E_NS1_11comp_targetILNS1_3genE10ELNS1_11target_archE1200ELNS1_3gpuE4ELNS1_3repE0EEENS1_30default_config_static_selectorELNS0_4arch9wavefront6targetE1EEEvSY_.has_recursion, 0
	.set _ZN7rocprim17ROCPRIM_400000_NS6detail17trampoline_kernelINS0_13select_configILj256ELj13ELNS0_17block_load_methodE3ELS4_3ELS4_3ELNS0_20block_scan_algorithmE0ELj4294967295EEENS1_25partition_config_selectorILNS1_17partition_subalgoE3EjNS0_10empty_typeEbEEZZNS1_14partition_implILS8_3ELb0ES6_jNS0_17counting_iteratorIjlEEPS9_SE_NS0_5tupleIJPjSE_EEENSF_IJSE_SE_EEES9_SG_JZNS1_25segmented_radix_sort_implINS0_14default_configELb0EPKbPbPKlPlN2at6native12_GLOBAL__N_18offset_tEEE10hipError_tPvRmT1_PNSt15iterator_traitsISY_E10value_typeET2_T3_PNSZ_IS14_E10value_typeET4_jRbjT5_S1A_jjP12ihipStream_tbEUljE_EEESV_SW_SX_S14_S18_S1A_T6_T7_T9_mT8_S1C_bDpT10_ENKUlT_T0_E_clISt17integral_constantIbLb1EES1P_EEDaS1K_S1L_EUlS1K_E_NS1_11comp_targetILNS1_3genE10ELNS1_11target_archE1200ELNS1_3gpuE4ELNS1_3repE0EEENS1_30default_config_static_selectorELNS0_4arch9wavefront6targetE1EEEvSY_.has_indirect_call, 0
	.section	.AMDGPU.csdata,"",@progbits
; Kernel info:
; codeLenInByte = 0
; TotalNumSgprs: 4
; NumVgprs: 0
; ScratchSize: 0
; MemoryBound: 0
; FloatMode: 240
; IeeeMode: 1
; LDSByteSize: 0 bytes/workgroup (compile time only)
; SGPRBlocks: 0
; VGPRBlocks: 0
; NumSGPRsForWavesPerEU: 4
; NumVGPRsForWavesPerEU: 1
; Occupancy: 10
; WaveLimiterHint : 0
; COMPUTE_PGM_RSRC2:SCRATCH_EN: 0
; COMPUTE_PGM_RSRC2:USER_SGPR: 6
; COMPUTE_PGM_RSRC2:TRAP_HANDLER: 0
; COMPUTE_PGM_RSRC2:TGID_X_EN: 1
; COMPUTE_PGM_RSRC2:TGID_Y_EN: 0
; COMPUTE_PGM_RSRC2:TGID_Z_EN: 0
; COMPUTE_PGM_RSRC2:TIDIG_COMP_CNT: 0
	.section	.text._ZN7rocprim17ROCPRIM_400000_NS6detail17trampoline_kernelINS0_13select_configILj256ELj13ELNS0_17block_load_methodE3ELS4_3ELS4_3ELNS0_20block_scan_algorithmE0ELj4294967295EEENS1_25partition_config_selectorILNS1_17partition_subalgoE3EjNS0_10empty_typeEbEEZZNS1_14partition_implILS8_3ELb0ES6_jNS0_17counting_iteratorIjlEEPS9_SE_NS0_5tupleIJPjSE_EEENSF_IJSE_SE_EEES9_SG_JZNS1_25segmented_radix_sort_implINS0_14default_configELb0EPKbPbPKlPlN2at6native12_GLOBAL__N_18offset_tEEE10hipError_tPvRmT1_PNSt15iterator_traitsISY_E10value_typeET2_T3_PNSZ_IS14_E10value_typeET4_jRbjT5_S1A_jjP12ihipStream_tbEUljE_EEESV_SW_SX_S14_S18_S1A_T6_T7_T9_mT8_S1C_bDpT10_ENKUlT_T0_E_clISt17integral_constantIbLb1EES1P_EEDaS1K_S1L_EUlS1K_E_NS1_11comp_targetILNS1_3genE9ELNS1_11target_archE1100ELNS1_3gpuE3ELNS1_3repE0EEENS1_30default_config_static_selectorELNS0_4arch9wavefront6targetE1EEEvSY_,"axG",@progbits,_ZN7rocprim17ROCPRIM_400000_NS6detail17trampoline_kernelINS0_13select_configILj256ELj13ELNS0_17block_load_methodE3ELS4_3ELS4_3ELNS0_20block_scan_algorithmE0ELj4294967295EEENS1_25partition_config_selectorILNS1_17partition_subalgoE3EjNS0_10empty_typeEbEEZZNS1_14partition_implILS8_3ELb0ES6_jNS0_17counting_iteratorIjlEEPS9_SE_NS0_5tupleIJPjSE_EEENSF_IJSE_SE_EEES9_SG_JZNS1_25segmented_radix_sort_implINS0_14default_configELb0EPKbPbPKlPlN2at6native12_GLOBAL__N_18offset_tEEE10hipError_tPvRmT1_PNSt15iterator_traitsISY_E10value_typeET2_T3_PNSZ_IS14_E10value_typeET4_jRbjT5_S1A_jjP12ihipStream_tbEUljE_EEESV_SW_SX_S14_S18_S1A_T6_T7_T9_mT8_S1C_bDpT10_ENKUlT_T0_E_clISt17integral_constantIbLb1EES1P_EEDaS1K_S1L_EUlS1K_E_NS1_11comp_targetILNS1_3genE9ELNS1_11target_archE1100ELNS1_3gpuE3ELNS1_3repE0EEENS1_30default_config_static_selectorELNS0_4arch9wavefront6targetE1EEEvSY_,comdat
	.globl	_ZN7rocprim17ROCPRIM_400000_NS6detail17trampoline_kernelINS0_13select_configILj256ELj13ELNS0_17block_load_methodE3ELS4_3ELS4_3ELNS0_20block_scan_algorithmE0ELj4294967295EEENS1_25partition_config_selectorILNS1_17partition_subalgoE3EjNS0_10empty_typeEbEEZZNS1_14partition_implILS8_3ELb0ES6_jNS0_17counting_iteratorIjlEEPS9_SE_NS0_5tupleIJPjSE_EEENSF_IJSE_SE_EEES9_SG_JZNS1_25segmented_radix_sort_implINS0_14default_configELb0EPKbPbPKlPlN2at6native12_GLOBAL__N_18offset_tEEE10hipError_tPvRmT1_PNSt15iterator_traitsISY_E10value_typeET2_T3_PNSZ_IS14_E10value_typeET4_jRbjT5_S1A_jjP12ihipStream_tbEUljE_EEESV_SW_SX_S14_S18_S1A_T6_T7_T9_mT8_S1C_bDpT10_ENKUlT_T0_E_clISt17integral_constantIbLb1EES1P_EEDaS1K_S1L_EUlS1K_E_NS1_11comp_targetILNS1_3genE9ELNS1_11target_archE1100ELNS1_3gpuE3ELNS1_3repE0EEENS1_30default_config_static_selectorELNS0_4arch9wavefront6targetE1EEEvSY_ ; -- Begin function _ZN7rocprim17ROCPRIM_400000_NS6detail17trampoline_kernelINS0_13select_configILj256ELj13ELNS0_17block_load_methodE3ELS4_3ELS4_3ELNS0_20block_scan_algorithmE0ELj4294967295EEENS1_25partition_config_selectorILNS1_17partition_subalgoE3EjNS0_10empty_typeEbEEZZNS1_14partition_implILS8_3ELb0ES6_jNS0_17counting_iteratorIjlEEPS9_SE_NS0_5tupleIJPjSE_EEENSF_IJSE_SE_EEES9_SG_JZNS1_25segmented_radix_sort_implINS0_14default_configELb0EPKbPbPKlPlN2at6native12_GLOBAL__N_18offset_tEEE10hipError_tPvRmT1_PNSt15iterator_traitsISY_E10value_typeET2_T3_PNSZ_IS14_E10value_typeET4_jRbjT5_S1A_jjP12ihipStream_tbEUljE_EEESV_SW_SX_S14_S18_S1A_T6_T7_T9_mT8_S1C_bDpT10_ENKUlT_T0_E_clISt17integral_constantIbLb1EES1P_EEDaS1K_S1L_EUlS1K_E_NS1_11comp_targetILNS1_3genE9ELNS1_11target_archE1100ELNS1_3gpuE3ELNS1_3repE0EEENS1_30default_config_static_selectorELNS0_4arch9wavefront6targetE1EEEvSY_
	.p2align	8
	.type	_ZN7rocprim17ROCPRIM_400000_NS6detail17trampoline_kernelINS0_13select_configILj256ELj13ELNS0_17block_load_methodE3ELS4_3ELS4_3ELNS0_20block_scan_algorithmE0ELj4294967295EEENS1_25partition_config_selectorILNS1_17partition_subalgoE3EjNS0_10empty_typeEbEEZZNS1_14partition_implILS8_3ELb0ES6_jNS0_17counting_iteratorIjlEEPS9_SE_NS0_5tupleIJPjSE_EEENSF_IJSE_SE_EEES9_SG_JZNS1_25segmented_radix_sort_implINS0_14default_configELb0EPKbPbPKlPlN2at6native12_GLOBAL__N_18offset_tEEE10hipError_tPvRmT1_PNSt15iterator_traitsISY_E10value_typeET2_T3_PNSZ_IS14_E10value_typeET4_jRbjT5_S1A_jjP12ihipStream_tbEUljE_EEESV_SW_SX_S14_S18_S1A_T6_T7_T9_mT8_S1C_bDpT10_ENKUlT_T0_E_clISt17integral_constantIbLb1EES1P_EEDaS1K_S1L_EUlS1K_E_NS1_11comp_targetILNS1_3genE9ELNS1_11target_archE1100ELNS1_3gpuE3ELNS1_3repE0EEENS1_30default_config_static_selectorELNS0_4arch9wavefront6targetE1EEEvSY_,@function
_ZN7rocprim17ROCPRIM_400000_NS6detail17trampoline_kernelINS0_13select_configILj256ELj13ELNS0_17block_load_methodE3ELS4_3ELS4_3ELNS0_20block_scan_algorithmE0ELj4294967295EEENS1_25partition_config_selectorILNS1_17partition_subalgoE3EjNS0_10empty_typeEbEEZZNS1_14partition_implILS8_3ELb0ES6_jNS0_17counting_iteratorIjlEEPS9_SE_NS0_5tupleIJPjSE_EEENSF_IJSE_SE_EEES9_SG_JZNS1_25segmented_radix_sort_implINS0_14default_configELb0EPKbPbPKlPlN2at6native12_GLOBAL__N_18offset_tEEE10hipError_tPvRmT1_PNSt15iterator_traitsISY_E10value_typeET2_T3_PNSZ_IS14_E10value_typeET4_jRbjT5_S1A_jjP12ihipStream_tbEUljE_EEESV_SW_SX_S14_S18_S1A_T6_T7_T9_mT8_S1C_bDpT10_ENKUlT_T0_E_clISt17integral_constantIbLb1EES1P_EEDaS1K_S1L_EUlS1K_E_NS1_11comp_targetILNS1_3genE9ELNS1_11target_archE1100ELNS1_3gpuE3ELNS1_3repE0EEENS1_30default_config_static_selectorELNS0_4arch9wavefront6targetE1EEEvSY_: ; @_ZN7rocprim17ROCPRIM_400000_NS6detail17trampoline_kernelINS0_13select_configILj256ELj13ELNS0_17block_load_methodE3ELS4_3ELS4_3ELNS0_20block_scan_algorithmE0ELj4294967295EEENS1_25partition_config_selectorILNS1_17partition_subalgoE3EjNS0_10empty_typeEbEEZZNS1_14partition_implILS8_3ELb0ES6_jNS0_17counting_iteratorIjlEEPS9_SE_NS0_5tupleIJPjSE_EEENSF_IJSE_SE_EEES9_SG_JZNS1_25segmented_radix_sort_implINS0_14default_configELb0EPKbPbPKlPlN2at6native12_GLOBAL__N_18offset_tEEE10hipError_tPvRmT1_PNSt15iterator_traitsISY_E10value_typeET2_T3_PNSZ_IS14_E10value_typeET4_jRbjT5_S1A_jjP12ihipStream_tbEUljE_EEESV_SW_SX_S14_S18_S1A_T6_T7_T9_mT8_S1C_bDpT10_ENKUlT_T0_E_clISt17integral_constantIbLb1EES1P_EEDaS1K_S1L_EUlS1K_E_NS1_11comp_targetILNS1_3genE9ELNS1_11target_archE1100ELNS1_3gpuE3ELNS1_3repE0EEENS1_30default_config_static_selectorELNS0_4arch9wavefront6targetE1EEEvSY_
; %bb.0:
	.section	.rodata,"a",@progbits
	.p2align	6, 0x0
	.amdhsa_kernel _ZN7rocprim17ROCPRIM_400000_NS6detail17trampoline_kernelINS0_13select_configILj256ELj13ELNS0_17block_load_methodE3ELS4_3ELS4_3ELNS0_20block_scan_algorithmE0ELj4294967295EEENS1_25partition_config_selectorILNS1_17partition_subalgoE3EjNS0_10empty_typeEbEEZZNS1_14partition_implILS8_3ELb0ES6_jNS0_17counting_iteratorIjlEEPS9_SE_NS0_5tupleIJPjSE_EEENSF_IJSE_SE_EEES9_SG_JZNS1_25segmented_radix_sort_implINS0_14default_configELb0EPKbPbPKlPlN2at6native12_GLOBAL__N_18offset_tEEE10hipError_tPvRmT1_PNSt15iterator_traitsISY_E10value_typeET2_T3_PNSZ_IS14_E10value_typeET4_jRbjT5_S1A_jjP12ihipStream_tbEUljE_EEESV_SW_SX_S14_S18_S1A_T6_T7_T9_mT8_S1C_bDpT10_ENKUlT_T0_E_clISt17integral_constantIbLb1EES1P_EEDaS1K_S1L_EUlS1K_E_NS1_11comp_targetILNS1_3genE9ELNS1_11target_archE1100ELNS1_3gpuE3ELNS1_3repE0EEENS1_30default_config_static_selectorELNS0_4arch9wavefront6targetE1EEEvSY_
		.amdhsa_group_segment_fixed_size 0
		.amdhsa_private_segment_fixed_size 0
		.amdhsa_kernarg_size 152
		.amdhsa_user_sgpr_count 6
		.amdhsa_user_sgpr_private_segment_buffer 1
		.amdhsa_user_sgpr_dispatch_ptr 0
		.amdhsa_user_sgpr_queue_ptr 0
		.amdhsa_user_sgpr_kernarg_segment_ptr 1
		.amdhsa_user_sgpr_dispatch_id 0
		.amdhsa_user_sgpr_flat_scratch_init 0
		.amdhsa_user_sgpr_private_segment_size 0
		.amdhsa_uses_dynamic_stack 0
		.amdhsa_system_sgpr_private_segment_wavefront_offset 0
		.amdhsa_system_sgpr_workgroup_id_x 1
		.amdhsa_system_sgpr_workgroup_id_y 0
		.amdhsa_system_sgpr_workgroup_id_z 0
		.amdhsa_system_sgpr_workgroup_info 0
		.amdhsa_system_vgpr_workitem_id 0
		.amdhsa_next_free_vgpr 1
		.amdhsa_next_free_sgpr 0
		.amdhsa_reserve_vcc 0
		.amdhsa_reserve_flat_scratch 0
		.amdhsa_float_round_mode_32 0
		.amdhsa_float_round_mode_16_64 0
		.amdhsa_float_denorm_mode_32 3
		.amdhsa_float_denorm_mode_16_64 3
		.amdhsa_dx10_clamp 1
		.amdhsa_ieee_mode 1
		.amdhsa_fp16_overflow 0
		.amdhsa_exception_fp_ieee_invalid_op 0
		.amdhsa_exception_fp_denorm_src 0
		.amdhsa_exception_fp_ieee_div_zero 0
		.amdhsa_exception_fp_ieee_overflow 0
		.amdhsa_exception_fp_ieee_underflow 0
		.amdhsa_exception_fp_ieee_inexact 0
		.amdhsa_exception_int_div_zero 0
	.end_amdhsa_kernel
	.section	.text._ZN7rocprim17ROCPRIM_400000_NS6detail17trampoline_kernelINS0_13select_configILj256ELj13ELNS0_17block_load_methodE3ELS4_3ELS4_3ELNS0_20block_scan_algorithmE0ELj4294967295EEENS1_25partition_config_selectorILNS1_17partition_subalgoE3EjNS0_10empty_typeEbEEZZNS1_14partition_implILS8_3ELb0ES6_jNS0_17counting_iteratorIjlEEPS9_SE_NS0_5tupleIJPjSE_EEENSF_IJSE_SE_EEES9_SG_JZNS1_25segmented_radix_sort_implINS0_14default_configELb0EPKbPbPKlPlN2at6native12_GLOBAL__N_18offset_tEEE10hipError_tPvRmT1_PNSt15iterator_traitsISY_E10value_typeET2_T3_PNSZ_IS14_E10value_typeET4_jRbjT5_S1A_jjP12ihipStream_tbEUljE_EEESV_SW_SX_S14_S18_S1A_T6_T7_T9_mT8_S1C_bDpT10_ENKUlT_T0_E_clISt17integral_constantIbLb1EES1P_EEDaS1K_S1L_EUlS1K_E_NS1_11comp_targetILNS1_3genE9ELNS1_11target_archE1100ELNS1_3gpuE3ELNS1_3repE0EEENS1_30default_config_static_selectorELNS0_4arch9wavefront6targetE1EEEvSY_,"axG",@progbits,_ZN7rocprim17ROCPRIM_400000_NS6detail17trampoline_kernelINS0_13select_configILj256ELj13ELNS0_17block_load_methodE3ELS4_3ELS4_3ELNS0_20block_scan_algorithmE0ELj4294967295EEENS1_25partition_config_selectorILNS1_17partition_subalgoE3EjNS0_10empty_typeEbEEZZNS1_14partition_implILS8_3ELb0ES6_jNS0_17counting_iteratorIjlEEPS9_SE_NS0_5tupleIJPjSE_EEENSF_IJSE_SE_EEES9_SG_JZNS1_25segmented_radix_sort_implINS0_14default_configELb0EPKbPbPKlPlN2at6native12_GLOBAL__N_18offset_tEEE10hipError_tPvRmT1_PNSt15iterator_traitsISY_E10value_typeET2_T3_PNSZ_IS14_E10value_typeET4_jRbjT5_S1A_jjP12ihipStream_tbEUljE_EEESV_SW_SX_S14_S18_S1A_T6_T7_T9_mT8_S1C_bDpT10_ENKUlT_T0_E_clISt17integral_constantIbLb1EES1P_EEDaS1K_S1L_EUlS1K_E_NS1_11comp_targetILNS1_3genE9ELNS1_11target_archE1100ELNS1_3gpuE3ELNS1_3repE0EEENS1_30default_config_static_selectorELNS0_4arch9wavefront6targetE1EEEvSY_,comdat
.Lfunc_end1617:
	.size	_ZN7rocprim17ROCPRIM_400000_NS6detail17trampoline_kernelINS0_13select_configILj256ELj13ELNS0_17block_load_methodE3ELS4_3ELS4_3ELNS0_20block_scan_algorithmE0ELj4294967295EEENS1_25partition_config_selectorILNS1_17partition_subalgoE3EjNS0_10empty_typeEbEEZZNS1_14partition_implILS8_3ELb0ES6_jNS0_17counting_iteratorIjlEEPS9_SE_NS0_5tupleIJPjSE_EEENSF_IJSE_SE_EEES9_SG_JZNS1_25segmented_radix_sort_implINS0_14default_configELb0EPKbPbPKlPlN2at6native12_GLOBAL__N_18offset_tEEE10hipError_tPvRmT1_PNSt15iterator_traitsISY_E10value_typeET2_T3_PNSZ_IS14_E10value_typeET4_jRbjT5_S1A_jjP12ihipStream_tbEUljE_EEESV_SW_SX_S14_S18_S1A_T6_T7_T9_mT8_S1C_bDpT10_ENKUlT_T0_E_clISt17integral_constantIbLb1EES1P_EEDaS1K_S1L_EUlS1K_E_NS1_11comp_targetILNS1_3genE9ELNS1_11target_archE1100ELNS1_3gpuE3ELNS1_3repE0EEENS1_30default_config_static_selectorELNS0_4arch9wavefront6targetE1EEEvSY_, .Lfunc_end1617-_ZN7rocprim17ROCPRIM_400000_NS6detail17trampoline_kernelINS0_13select_configILj256ELj13ELNS0_17block_load_methodE3ELS4_3ELS4_3ELNS0_20block_scan_algorithmE0ELj4294967295EEENS1_25partition_config_selectorILNS1_17partition_subalgoE3EjNS0_10empty_typeEbEEZZNS1_14partition_implILS8_3ELb0ES6_jNS0_17counting_iteratorIjlEEPS9_SE_NS0_5tupleIJPjSE_EEENSF_IJSE_SE_EEES9_SG_JZNS1_25segmented_radix_sort_implINS0_14default_configELb0EPKbPbPKlPlN2at6native12_GLOBAL__N_18offset_tEEE10hipError_tPvRmT1_PNSt15iterator_traitsISY_E10value_typeET2_T3_PNSZ_IS14_E10value_typeET4_jRbjT5_S1A_jjP12ihipStream_tbEUljE_EEESV_SW_SX_S14_S18_S1A_T6_T7_T9_mT8_S1C_bDpT10_ENKUlT_T0_E_clISt17integral_constantIbLb1EES1P_EEDaS1K_S1L_EUlS1K_E_NS1_11comp_targetILNS1_3genE9ELNS1_11target_archE1100ELNS1_3gpuE3ELNS1_3repE0EEENS1_30default_config_static_selectorELNS0_4arch9wavefront6targetE1EEEvSY_
                                        ; -- End function
	.set _ZN7rocprim17ROCPRIM_400000_NS6detail17trampoline_kernelINS0_13select_configILj256ELj13ELNS0_17block_load_methodE3ELS4_3ELS4_3ELNS0_20block_scan_algorithmE0ELj4294967295EEENS1_25partition_config_selectorILNS1_17partition_subalgoE3EjNS0_10empty_typeEbEEZZNS1_14partition_implILS8_3ELb0ES6_jNS0_17counting_iteratorIjlEEPS9_SE_NS0_5tupleIJPjSE_EEENSF_IJSE_SE_EEES9_SG_JZNS1_25segmented_radix_sort_implINS0_14default_configELb0EPKbPbPKlPlN2at6native12_GLOBAL__N_18offset_tEEE10hipError_tPvRmT1_PNSt15iterator_traitsISY_E10value_typeET2_T3_PNSZ_IS14_E10value_typeET4_jRbjT5_S1A_jjP12ihipStream_tbEUljE_EEESV_SW_SX_S14_S18_S1A_T6_T7_T9_mT8_S1C_bDpT10_ENKUlT_T0_E_clISt17integral_constantIbLb1EES1P_EEDaS1K_S1L_EUlS1K_E_NS1_11comp_targetILNS1_3genE9ELNS1_11target_archE1100ELNS1_3gpuE3ELNS1_3repE0EEENS1_30default_config_static_selectorELNS0_4arch9wavefront6targetE1EEEvSY_.num_vgpr, 0
	.set _ZN7rocprim17ROCPRIM_400000_NS6detail17trampoline_kernelINS0_13select_configILj256ELj13ELNS0_17block_load_methodE3ELS4_3ELS4_3ELNS0_20block_scan_algorithmE0ELj4294967295EEENS1_25partition_config_selectorILNS1_17partition_subalgoE3EjNS0_10empty_typeEbEEZZNS1_14partition_implILS8_3ELb0ES6_jNS0_17counting_iteratorIjlEEPS9_SE_NS0_5tupleIJPjSE_EEENSF_IJSE_SE_EEES9_SG_JZNS1_25segmented_radix_sort_implINS0_14default_configELb0EPKbPbPKlPlN2at6native12_GLOBAL__N_18offset_tEEE10hipError_tPvRmT1_PNSt15iterator_traitsISY_E10value_typeET2_T3_PNSZ_IS14_E10value_typeET4_jRbjT5_S1A_jjP12ihipStream_tbEUljE_EEESV_SW_SX_S14_S18_S1A_T6_T7_T9_mT8_S1C_bDpT10_ENKUlT_T0_E_clISt17integral_constantIbLb1EES1P_EEDaS1K_S1L_EUlS1K_E_NS1_11comp_targetILNS1_3genE9ELNS1_11target_archE1100ELNS1_3gpuE3ELNS1_3repE0EEENS1_30default_config_static_selectorELNS0_4arch9wavefront6targetE1EEEvSY_.num_agpr, 0
	.set _ZN7rocprim17ROCPRIM_400000_NS6detail17trampoline_kernelINS0_13select_configILj256ELj13ELNS0_17block_load_methodE3ELS4_3ELS4_3ELNS0_20block_scan_algorithmE0ELj4294967295EEENS1_25partition_config_selectorILNS1_17partition_subalgoE3EjNS0_10empty_typeEbEEZZNS1_14partition_implILS8_3ELb0ES6_jNS0_17counting_iteratorIjlEEPS9_SE_NS0_5tupleIJPjSE_EEENSF_IJSE_SE_EEES9_SG_JZNS1_25segmented_radix_sort_implINS0_14default_configELb0EPKbPbPKlPlN2at6native12_GLOBAL__N_18offset_tEEE10hipError_tPvRmT1_PNSt15iterator_traitsISY_E10value_typeET2_T3_PNSZ_IS14_E10value_typeET4_jRbjT5_S1A_jjP12ihipStream_tbEUljE_EEESV_SW_SX_S14_S18_S1A_T6_T7_T9_mT8_S1C_bDpT10_ENKUlT_T0_E_clISt17integral_constantIbLb1EES1P_EEDaS1K_S1L_EUlS1K_E_NS1_11comp_targetILNS1_3genE9ELNS1_11target_archE1100ELNS1_3gpuE3ELNS1_3repE0EEENS1_30default_config_static_selectorELNS0_4arch9wavefront6targetE1EEEvSY_.numbered_sgpr, 0
	.set _ZN7rocprim17ROCPRIM_400000_NS6detail17trampoline_kernelINS0_13select_configILj256ELj13ELNS0_17block_load_methodE3ELS4_3ELS4_3ELNS0_20block_scan_algorithmE0ELj4294967295EEENS1_25partition_config_selectorILNS1_17partition_subalgoE3EjNS0_10empty_typeEbEEZZNS1_14partition_implILS8_3ELb0ES6_jNS0_17counting_iteratorIjlEEPS9_SE_NS0_5tupleIJPjSE_EEENSF_IJSE_SE_EEES9_SG_JZNS1_25segmented_radix_sort_implINS0_14default_configELb0EPKbPbPKlPlN2at6native12_GLOBAL__N_18offset_tEEE10hipError_tPvRmT1_PNSt15iterator_traitsISY_E10value_typeET2_T3_PNSZ_IS14_E10value_typeET4_jRbjT5_S1A_jjP12ihipStream_tbEUljE_EEESV_SW_SX_S14_S18_S1A_T6_T7_T9_mT8_S1C_bDpT10_ENKUlT_T0_E_clISt17integral_constantIbLb1EES1P_EEDaS1K_S1L_EUlS1K_E_NS1_11comp_targetILNS1_3genE9ELNS1_11target_archE1100ELNS1_3gpuE3ELNS1_3repE0EEENS1_30default_config_static_selectorELNS0_4arch9wavefront6targetE1EEEvSY_.num_named_barrier, 0
	.set _ZN7rocprim17ROCPRIM_400000_NS6detail17trampoline_kernelINS0_13select_configILj256ELj13ELNS0_17block_load_methodE3ELS4_3ELS4_3ELNS0_20block_scan_algorithmE0ELj4294967295EEENS1_25partition_config_selectorILNS1_17partition_subalgoE3EjNS0_10empty_typeEbEEZZNS1_14partition_implILS8_3ELb0ES6_jNS0_17counting_iteratorIjlEEPS9_SE_NS0_5tupleIJPjSE_EEENSF_IJSE_SE_EEES9_SG_JZNS1_25segmented_radix_sort_implINS0_14default_configELb0EPKbPbPKlPlN2at6native12_GLOBAL__N_18offset_tEEE10hipError_tPvRmT1_PNSt15iterator_traitsISY_E10value_typeET2_T3_PNSZ_IS14_E10value_typeET4_jRbjT5_S1A_jjP12ihipStream_tbEUljE_EEESV_SW_SX_S14_S18_S1A_T6_T7_T9_mT8_S1C_bDpT10_ENKUlT_T0_E_clISt17integral_constantIbLb1EES1P_EEDaS1K_S1L_EUlS1K_E_NS1_11comp_targetILNS1_3genE9ELNS1_11target_archE1100ELNS1_3gpuE3ELNS1_3repE0EEENS1_30default_config_static_selectorELNS0_4arch9wavefront6targetE1EEEvSY_.private_seg_size, 0
	.set _ZN7rocprim17ROCPRIM_400000_NS6detail17trampoline_kernelINS0_13select_configILj256ELj13ELNS0_17block_load_methodE3ELS4_3ELS4_3ELNS0_20block_scan_algorithmE0ELj4294967295EEENS1_25partition_config_selectorILNS1_17partition_subalgoE3EjNS0_10empty_typeEbEEZZNS1_14partition_implILS8_3ELb0ES6_jNS0_17counting_iteratorIjlEEPS9_SE_NS0_5tupleIJPjSE_EEENSF_IJSE_SE_EEES9_SG_JZNS1_25segmented_radix_sort_implINS0_14default_configELb0EPKbPbPKlPlN2at6native12_GLOBAL__N_18offset_tEEE10hipError_tPvRmT1_PNSt15iterator_traitsISY_E10value_typeET2_T3_PNSZ_IS14_E10value_typeET4_jRbjT5_S1A_jjP12ihipStream_tbEUljE_EEESV_SW_SX_S14_S18_S1A_T6_T7_T9_mT8_S1C_bDpT10_ENKUlT_T0_E_clISt17integral_constantIbLb1EES1P_EEDaS1K_S1L_EUlS1K_E_NS1_11comp_targetILNS1_3genE9ELNS1_11target_archE1100ELNS1_3gpuE3ELNS1_3repE0EEENS1_30default_config_static_selectorELNS0_4arch9wavefront6targetE1EEEvSY_.uses_vcc, 0
	.set _ZN7rocprim17ROCPRIM_400000_NS6detail17trampoline_kernelINS0_13select_configILj256ELj13ELNS0_17block_load_methodE3ELS4_3ELS4_3ELNS0_20block_scan_algorithmE0ELj4294967295EEENS1_25partition_config_selectorILNS1_17partition_subalgoE3EjNS0_10empty_typeEbEEZZNS1_14partition_implILS8_3ELb0ES6_jNS0_17counting_iteratorIjlEEPS9_SE_NS0_5tupleIJPjSE_EEENSF_IJSE_SE_EEES9_SG_JZNS1_25segmented_radix_sort_implINS0_14default_configELb0EPKbPbPKlPlN2at6native12_GLOBAL__N_18offset_tEEE10hipError_tPvRmT1_PNSt15iterator_traitsISY_E10value_typeET2_T3_PNSZ_IS14_E10value_typeET4_jRbjT5_S1A_jjP12ihipStream_tbEUljE_EEESV_SW_SX_S14_S18_S1A_T6_T7_T9_mT8_S1C_bDpT10_ENKUlT_T0_E_clISt17integral_constantIbLb1EES1P_EEDaS1K_S1L_EUlS1K_E_NS1_11comp_targetILNS1_3genE9ELNS1_11target_archE1100ELNS1_3gpuE3ELNS1_3repE0EEENS1_30default_config_static_selectorELNS0_4arch9wavefront6targetE1EEEvSY_.uses_flat_scratch, 0
	.set _ZN7rocprim17ROCPRIM_400000_NS6detail17trampoline_kernelINS0_13select_configILj256ELj13ELNS0_17block_load_methodE3ELS4_3ELS4_3ELNS0_20block_scan_algorithmE0ELj4294967295EEENS1_25partition_config_selectorILNS1_17partition_subalgoE3EjNS0_10empty_typeEbEEZZNS1_14partition_implILS8_3ELb0ES6_jNS0_17counting_iteratorIjlEEPS9_SE_NS0_5tupleIJPjSE_EEENSF_IJSE_SE_EEES9_SG_JZNS1_25segmented_radix_sort_implINS0_14default_configELb0EPKbPbPKlPlN2at6native12_GLOBAL__N_18offset_tEEE10hipError_tPvRmT1_PNSt15iterator_traitsISY_E10value_typeET2_T3_PNSZ_IS14_E10value_typeET4_jRbjT5_S1A_jjP12ihipStream_tbEUljE_EEESV_SW_SX_S14_S18_S1A_T6_T7_T9_mT8_S1C_bDpT10_ENKUlT_T0_E_clISt17integral_constantIbLb1EES1P_EEDaS1K_S1L_EUlS1K_E_NS1_11comp_targetILNS1_3genE9ELNS1_11target_archE1100ELNS1_3gpuE3ELNS1_3repE0EEENS1_30default_config_static_selectorELNS0_4arch9wavefront6targetE1EEEvSY_.has_dyn_sized_stack, 0
	.set _ZN7rocprim17ROCPRIM_400000_NS6detail17trampoline_kernelINS0_13select_configILj256ELj13ELNS0_17block_load_methodE3ELS4_3ELS4_3ELNS0_20block_scan_algorithmE0ELj4294967295EEENS1_25partition_config_selectorILNS1_17partition_subalgoE3EjNS0_10empty_typeEbEEZZNS1_14partition_implILS8_3ELb0ES6_jNS0_17counting_iteratorIjlEEPS9_SE_NS0_5tupleIJPjSE_EEENSF_IJSE_SE_EEES9_SG_JZNS1_25segmented_radix_sort_implINS0_14default_configELb0EPKbPbPKlPlN2at6native12_GLOBAL__N_18offset_tEEE10hipError_tPvRmT1_PNSt15iterator_traitsISY_E10value_typeET2_T3_PNSZ_IS14_E10value_typeET4_jRbjT5_S1A_jjP12ihipStream_tbEUljE_EEESV_SW_SX_S14_S18_S1A_T6_T7_T9_mT8_S1C_bDpT10_ENKUlT_T0_E_clISt17integral_constantIbLb1EES1P_EEDaS1K_S1L_EUlS1K_E_NS1_11comp_targetILNS1_3genE9ELNS1_11target_archE1100ELNS1_3gpuE3ELNS1_3repE0EEENS1_30default_config_static_selectorELNS0_4arch9wavefront6targetE1EEEvSY_.has_recursion, 0
	.set _ZN7rocprim17ROCPRIM_400000_NS6detail17trampoline_kernelINS0_13select_configILj256ELj13ELNS0_17block_load_methodE3ELS4_3ELS4_3ELNS0_20block_scan_algorithmE0ELj4294967295EEENS1_25partition_config_selectorILNS1_17partition_subalgoE3EjNS0_10empty_typeEbEEZZNS1_14partition_implILS8_3ELb0ES6_jNS0_17counting_iteratorIjlEEPS9_SE_NS0_5tupleIJPjSE_EEENSF_IJSE_SE_EEES9_SG_JZNS1_25segmented_radix_sort_implINS0_14default_configELb0EPKbPbPKlPlN2at6native12_GLOBAL__N_18offset_tEEE10hipError_tPvRmT1_PNSt15iterator_traitsISY_E10value_typeET2_T3_PNSZ_IS14_E10value_typeET4_jRbjT5_S1A_jjP12ihipStream_tbEUljE_EEESV_SW_SX_S14_S18_S1A_T6_T7_T9_mT8_S1C_bDpT10_ENKUlT_T0_E_clISt17integral_constantIbLb1EES1P_EEDaS1K_S1L_EUlS1K_E_NS1_11comp_targetILNS1_3genE9ELNS1_11target_archE1100ELNS1_3gpuE3ELNS1_3repE0EEENS1_30default_config_static_selectorELNS0_4arch9wavefront6targetE1EEEvSY_.has_indirect_call, 0
	.section	.AMDGPU.csdata,"",@progbits
; Kernel info:
; codeLenInByte = 0
; TotalNumSgprs: 4
; NumVgprs: 0
; ScratchSize: 0
; MemoryBound: 0
; FloatMode: 240
; IeeeMode: 1
; LDSByteSize: 0 bytes/workgroup (compile time only)
; SGPRBlocks: 0
; VGPRBlocks: 0
; NumSGPRsForWavesPerEU: 4
; NumVGPRsForWavesPerEU: 1
; Occupancy: 10
; WaveLimiterHint : 0
; COMPUTE_PGM_RSRC2:SCRATCH_EN: 0
; COMPUTE_PGM_RSRC2:USER_SGPR: 6
; COMPUTE_PGM_RSRC2:TRAP_HANDLER: 0
; COMPUTE_PGM_RSRC2:TGID_X_EN: 1
; COMPUTE_PGM_RSRC2:TGID_Y_EN: 0
; COMPUTE_PGM_RSRC2:TGID_Z_EN: 0
; COMPUTE_PGM_RSRC2:TIDIG_COMP_CNT: 0
	.section	.text._ZN7rocprim17ROCPRIM_400000_NS6detail17trampoline_kernelINS0_13select_configILj256ELj13ELNS0_17block_load_methodE3ELS4_3ELS4_3ELNS0_20block_scan_algorithmE0ELj4294967295EEENS1_25partition_config_selectorILNS1_17partition_subalgoE3EjNS0_10empty_typeEbEEZZNS1_14partition_implILS8_3ELb0ES6_jNS0_17counting_iteratorIjlEEPS9_SE_NS0_5tupleIJPjSE_EEENSF_IJSE_SE_EEES9_SG_JZNS1_25segmented_radix_sort_implINS0_14default_configELb0EPKbPbPKlPlN2at6native12_GLOBAL__N_18offset_tEEE10hipError_tPvRmT1_PNSt15iterator_traitsISY_E10value_typeET2_T3_PNSZ_IS14_E10value_typeET4_jRbjT5_S1A_jjP12ihipStream_tbEUljE_EEESV_SW_SX_S14_S18_S1A_T6_T7_T9_mT8_S1C_bDpT10_ENKUlT_T0_E_clISt17integral_constantIbLb1EES1P_EEDaS1K_S1L_EUlS1K_E_NS1_11comp_targetILNS1_3genE8ELNS1_11target_archE1030ELNS1_3gpuE2ELNS1_3repE0EEENS1_30default_config_static_selectorELNS0_4arch9wavefront6targetE1EEEvSY_,"axG",@progbits,_ZN7rocprim17ROCPRIM_400000_NS6detail17trampoline_kernelINS0_13select_configILj256ELj13ELNS0_17block_load_methodE3ELS4_3ELS4_3ELNS0_20block_scan_algorithmE0ELj4294967295EEENS1_25partition_config_selectorILNS1_17partition_subalgoE3EjNS0_10empty_typeEbEEZZNS1_14partition_implILS8_3ELb0ES6_jNS0_17counting_iteratorIjlEEPS9_SE_NS0_5tupleIJPjSE_EEENSF_IJSE_SE_EEES9_SG_JZNS1_25segmented_radix_sort_implINS0_14default_configELb0EPKbPbPKlPlN2at6native12_GLOBAL__N_18offset_tEEE10hipError_tPvRmT1_PNSt15iterator_traitsISY_E10value_typeET2_T3_PNSZ_IS14_E10value_typeET4_jRbjT5_S1A_jjP12ihipStream_tbEUljE_EEESV_SW_SX_S14_S18_S1A_T6_T7_T9_mT8_S1C_bDpT10_ENKUlT_T0_E_clISt17integral_constantIbLb1EES1P_EEDaS1K_S1L_EUlS1K_E_NS1_11comp_targetILNS1_3genE8ELNS1_11target_archE1030ELNS1_3gpuE2ELNS1_3repE0EEENS1_30default_config_static_selectorELNS0_4arch9wavefront6targetE1EEEvSY_,comdat
	.globl	_ZN7rocprim17ROCPRIM_400000_NS6detail17trampoline_kernelINS0_13select_configILj256ELj13ELNS0_17block_load_methodE3ELS4_3ELS4_3ELNS0_20block_scan_algorithmE0ELj4294967295EEENS1_25partition_config_selectorILNS1_17partition_subalgoE3EjNS0_10empty_typeEbEEZZNS1_14partition_implILS8_3ELb0ES6_jNS0_17counting_iteratorIjlEEPS9_SE_NS0_5tupleIJPjSE_EEENSF_IJSE_SE_EEES9_SG_JZNS1_25segmented_radix_sort_implINS0_14default_configELb0EPKbPbPKlPlN2at6native12_GLOBAL__N_18offset_tEEE10hipError_tPvRmT1_PNSt15iterator_traitsISY_E10value_typeET2_T3_PNSZ_IS14_E10value_typeET4_jRbjT5_S1A_jjP12ihipStream_tbEUljE_EEESV_SW_SX_S14_S18_S1A_T6_T7_T9_mT8_S1C_bDpT10_ENKUlT_T0_E_clISt17integral_constantIbLb1EES1P_EEDaS1K_S1L_EUlS1K_E_NS1_11comp_targetILNS1_3genE8ELNS1_11target_archE1030ELNS1_3gpuE2ELNS1_3repE0EEENS1_30default_config_static_selectorELNS0_4arch9wavefront6targetE1EEEvSY_ ; -- Begin function _ZN7rocprim17ROCPRIM_400000_NS6detail17trampoline_kernelINS0_13select_configILj256ELj13ELNS0_17block_load_methodE3ELS4_3ELS4_3ELNS0_20block_scan_algorithmE0ELj4294967295EEENS1_25partition_config_selectorILNS1_17partition_subalgoE3EjNS0_10empty_typeEbEEZZNS1_14partition_implILS8_3ELb0ES6_jNS0_17counting_iteratorIjlEEPS9_SE_NS0_5tupleIJPjSE_EEENSF_IJSE_SE_EEES9_SG_JZNS1_25segmented_radix_sort_implINS0_14default_configELb0EPKbPbPKlPlN2at6native12_GLOBAL__N_18offset_tEEE10hipError_tPvRmT1_PNSt15iterator_traitsISY_E10value_typeET2_T3_PNSZ_IS14_E10value_typeET4_jRbjT5_S1A_jjP12ihipStream_tbEUljE_EEESV_SW_SX_S14_S18_S1A_T6_T7_T9_mT8_S1C_bDpT10_ENKUlT_T0_E_clISt17integral_constantIbLb1EES1P_EEDaS1K_S1L_EUlS1K_E_NS1_11comp_targetILNS1_3genE8ELNS1_11target_archE1030ELNS1_3gpuE2ELNS1_3repE0EEENS1_30default_config_static_selectorELNS0_4arch9wavefront6targetE1EEEvSY_
	.p2align	8
	.type	_ZN7rocprim17ROCPRIM_400000_NS6detail17trampoline_kernelINS0_13select_configILj256ELj13ELNS0_17block_load_methodE3ELS4_3ELS4_3ELNS0_20block_scan_algorithmE0ELj4294967295EEENS1_25partition_config_selectorILNS1_17partition_subalgoE3EjNS0_10empty_typeEbEEZZNS1_14partition_implILS8_3ELb0ES6_jNS0_17counting_iteratorIjlEEPS9_SE_NS0_5tupleIJPjSE_EEENSF_IJSE_SE_EEES9_SG_JZNS1_25segmented_radix_sort_implINS0_14default_configELb0EPKbPbPKlPlN2at6native12_GLOBAL__N_18offset_tEEE10hipError_tPvRmT1_PNSt15iterator_traitsISY_E10value_typeET2_T3_PNSZ_IS14_E10value_typeET4_jRbjT5_S1A_jjP12ihipStream_tbEUljE_EEESV_SW_SX_S14_S18_S1A_T6_T7_T9_mT8_S1C_bDpT10_ENKUlT_T0_E_clISt17integral_constantIbLb1EES1P_EEDaS1K_S1L_EUlS1K_E_NS1_11comp_targetILNS1_3genE8ELNS1_11target_archE1030ELNS1_3gpuE2ELNS1_3repE0EEENS1_30default_config_static_selectorELNS0_4arch9wavefront6targetE1EEEvSY_,@function
_ZN7rocprim17ROCPRIM_400000_NS6detail17trampoline_kernelINS0_13select_configILj256ELj13ELNS0_17block_load_methodE3ELS4_3ELS4_3ELNS0_20block_scan_algorithmE0ELj4294967295EEENS1_25partition_config_selectorILNS1_17partition_subalgoE3EjNS0_10empty_typeEbEEZZNS1_14partition_implILS8_3ELb0ES6_jNS0_17counting_iteratorIjlEEPS9_SE_NS0_5tupleIJPjSE_EEENSF_IJSE_SE_EEES9_SG_JZNS1_25segmented_radix_sort_implINS0_14default_configELb0EPKbPbPKlPlN2at6native12_GLOBAL__N_18offset_tEEE10hipError_tPvRmT1_PNSt15iterator_traitsISY_E10value_typeET2_T3_PNSZ_IS14_E10value_typeET4_jRbjT5_S1A_jjP12ihipStream_tbEUljE_EEESV_SW_SX_S14_S18_S1A_T6_T7_T9_mT8_S1C_bDpT10_ENKUlT_T0_E_clISt17integral_constantIbLb1EES1P_EEDaS1K_S1L_EUlS1K_E_NS1_11comp_targetILNS1_3genE8ELNS1_11target_archE1030ELNS1_3gpuE2ELNS1_3repE0EEENS1_30default_config_static_selectorELNS0_4arch9wavefront6targetE1EEEvSY_: ; @_ZN7rocprim17ROCPRIM_400000_NS6detail17trampoline_kernelINS0_13select_configILj256ELj13ELNS0_17block_load_methodE3ELS4_3ELS4_3ELNS0_20block_scan_algorithmE0ELj4294967295EEENS1_25partition_config_selectorILNS1_17partition_subalgoE3EjNS0_10empty_typeEbEEZZNS1_14partition_implILS8_3ELb0ES6_jNS0_17counting_iteratorIjlEEPS9_SE_NS0_5tupleIJPjSE_EEENSF_IJSE_SE_EEES9_SG_JZNS1_25segmented_radix_sort_implINS0_14default_configELb0EPKbPbPKlPlN2at6native12_GLOBAL__N_18offset_tEEE10hipError_tPvRmT1_PNSt15iterator_traitsISY_E10value_typeET2_T3_PNSZ_IS14_E10value_typeET4_jRbjT5_S1A_jjP12ihipStream_tbEUljE_EEESV_SW_SX_S14_S18_S1A_T6_T7_T9_mT8_S1C_bDpT10_ENKUlT_T0_E_clISt17integral_constantIbLb1EES1P_EEDaS1K_S1L_EUlS1K_E_NS1_11comp_targetILNS1_3genE8ELNS1_11target_archE1030ELNS1_3gpuE2ELNS1_3repE0EEENS1_30default_config_static_selectorELNS0_4arch9wavefront6targetE1EEEvSY_
; %bb.0:
	.section	.rodata,"a",@progbits
	.p2align	6, 0x0
	.amdhsa_kernel _ZN7rocprim17ROCPRIM_400000_NS6detail17trampoline_kernelINS0_13select_configILj256ELj13ELNS0_17block_load_methodE3ELS4_3ELS4_3ELNS0_20block_scan_algorithmE0ELj4294967295EEENS1_25partition_config_selectorILNS1_17partition_subalgoE3EjNS0_10empty_typeEbEEZZNS1_14partition_implILS8_3ELb0ES6_jNS0_17counting_iteratorIjlEEPS9_SE_NS0_5tupleIJPjSE_EEENSF_IJSE_SE_EEES9_SG_JZNS1_25segmented_radix_sort_implINS0_14default_configELb0EPKbPbPKlPlN2at6native12_GLOBAL__N_18offset_tEEE10hipError_tPvRmT1_PNSt15iterator_traitsISY_E10value_typeET2_T3_PNSZ_IS14_E10value_typeET4_jRbjT5_S1A_jjP12ihipStream_tbEUljE_EEESV_SW_SX_S14_S18_S1A_T6_T7_T9_mT8_S1C_bDpT10_ENKUlT_T0_E_clISt17integral_constantIbLb1EES1P_EEDaS1K_S1L_EUlS1K_E_NS1_11comp_targetILNS1_3genE8ELNS1_11target_archE1030ELNS1_3gpuE2ELNS1_3repE0EEENS1_30default_config_static_selectorELNS0_4arch9wavefront6targetE1EEEvSY_
		.amdhsa_group_segment_fixed_size 0
		.amdhsa_private_segment_fixed_size 0
		.amdhsa_kernarg_size 152
		.amdhsa_user_sgpr_count 6
		.amdhsa_user_sgpr_private_segment_buffer 1
		.amdhsa_user_sgpr_dispatch_ptr 0
		.amdhsa_user_sgpr_queue_ptr 0
		.amdhsa_user_sgpr_kernarg_segment_ptr 1
		.amdhsa_user_sgpr_dispatch_id 0
		.amdhsa_user_sgpr_flat_scratch_init 0
		.amdhsa_user_sgpr_private_segment_size 0
		.amdhsa_uses_dynamic_stack 0
		.amdhsa_system_sgpr_private_segment_wavefront_offset 0
		.amdhsa_system_sgpr_workgroup_id_x 1
		.amdhsa_system_sgpr_workgroup_id_y 0
		.amdhsa_system_sgpr_workgroup_id_z 0
		.amdhsa_system_sgpr_workgroup_info 0
		.amdhsa_system_vgpr_workitem_id 0
		.amdhsa_next_free_vgpr 1
		.amdhsa_next_free_sgpr 0
		.amdhsa_reserve_vcc 0
		.amdhsa_reserve_flat_scratch 0
		.amdhsa_float_round_mode_32 0
		.amdhsa_float_round_mode_16_64 0
		.amdhsa_float_denorm_mode_32 3
		.amdhsa_float_denorm_mode_16_64 3
		.amdhsa_dx10_clamp 1
		.amdhsa_ieee_mode 1
		.amdhsa_fp16_overflow 0
		.amdhsa_exception_fp_ieee_invalid_op 0
		.amdhsa_exception_fp_denorm_src 0
		.amdhsa_exception_fp_ieee_div_zero 0
		.amdhsa_exception_fp_ieee_overflow 0
		.amdhsa_exception_fp_ieee_underflow 0
		.amdhsa_exception_fp_ieee_inexact 0
		.amdhsa_exception_int_div_zero 0
	.end_amdhsa_kernel
	.section	.text._ZN7rocprim17ROCPRIM_400000_NS6detail17trampoline_kernelINS0_13select_configILj256ELj13ELNS0_17block_load_methodE3ELS4_3ELS4_3ELNS0_20block_scan_algorithmE0ELj4294967295EEENS1_25partition_config_selectorILNS1_17partition_subalgoE3EjNS0_10empty_typeEbEEZZNS1_14partition_implILS8_3ELb0ES6_jNS0_17counting_iteratorIjlEEPS9_SE_NS0_5tupleIJPjSE_EEENSF_IJSE_SE_EEES9_SG_JZNS1_25segmented_radix_sort_implINS0_14default_configELb0EPKbPbPKlPlN2at6native12_GLOBAL__N_18offset_tEEE10hipError_tPvRmT1_PNSt15iterator_traitsISY_E10value_typeET2_T3_PNSZ_IS14_E10value_typeET4_jRbjT5_S1A_jjP12ihipStream_tbEUljE_EEESV_SW_SX_S14_S18_S1A_T6_T7_T9_mT8_S1C_bDpT10_ENKUlT_T0_E_clISt17integral_constantIbLb1EES1P_EEDaS1K_S1L_EUlS1K_E_NS1_11comp_targetILNS1_3genE8ELNS1_11target_archE1030ELNS1_3gpuE2ELNS1_3repE0EEENS1_30default_config_static_selectorELNS0_4arch9wavefront6targetE1EEEvSY_,"axG",@progbits,_ZN7rocprim17ROCPRIM_400000_NS6detail17trampoline_kernelINS0_13select_configILj256ELj13ELNS0_17block_load_methodE3ELS4_3ELS4_3ELNS0_20block_scan_algorithmE0ELj4294967295EEENS1_25partition_config_selectorILNS1_17partition_subalgoE3EjNS0_10empty_typeEbEEZZNS1_14partition_implILS8_3ELb0ES6_jNS0_17counting_iteratorIjlEEPS9_SE_NS0_5tupleIJPjSE_EEENSF_IJSE_SE_EEES9_SG_JZNS1_25segmented_radix_sort_implINS0_14default_configELb0EPKbPbPKlPlN2at6native12_GLOBAL__N_18offset_tEEE10hipError_tPvRmT1_PNSt15iterator_traitsISY_E10value_typeET2_T3_PNSZ_IS14_E10value_typeET4_jRbjT5_S1A_jjP12ihipStream_tbEUljE_EEESV_SW_SX_S14_S18_S1A_T6_T7_T9_mT8_S1C_bDpT10_ENKUlT_T0_E_clISt17integral_constantIbLb1EES1P_EEDaS1K_S1L_EUlS1K_E_NS1_11comp_targetILNS1_3genE8ELNS1_11target_archE1030ELNS1_3gpuE2ELNS1_3repE0EEENS1_30default_config_static_selectorELNS0_4arch9wavefront6targetE1EEEvSY_,comdat
.Lfunc_end1618:
	.size	_ZN7rocprim17ROCPRIM_400000_NS6detail17trampoline_kernelINS0_13select_configILj256ELj13ELNS0_17block_load_methodE3ELS4_3ELS4_3ELNS0_20block_scan_algorithmE0ELj4294967295EEENS1_25partition_config_selectorILNS1_17partition_subalgoE3EjNS0_10empty_typeEbEEZZNS1_14partition_implILS8_3ELb0ES6_jNS0_17counting_iteratorIjlEEPS9_SE_NS0_5tupleIJPjSE_EEENSF_IJSE_SE_EEES9_SG_JZNS1_25segmented_radix_sort_implINS0_14default_configELb0EPKbPbPKlPlN2at6native12_GLOBAL__N_18offset_tEEE10hipError_tPvRmT1_PNSt15iterator_traitsISY_E10value_typeET2_T3_PNSZ_IS14_E10value_typeET4_jRbjT5_S1A_jjP12ihipStream_tbEUljE_EEESV_SW_SX_S14_S18_S1A_T6_T7_T9_mT8_S1C_bDpT10_ENKUlT_T0_E_clISt17integral_constantIbLb1EES1P_EEDaS1K_S1L_EUlS1K_E_NS1_11comp_targetILNS1_3genE8ELNS1_11target_archE1030ELNS1_3gpuE2ELNS1_3repE0EEENS1_30default_config_static_selectorELNS0_4arch9wavefront6targetE1EEEvSY_, .Lfunc_end1618-_ZN7rocprim17ROCPRIM_400000_NS6detail17trampoline_kernelINS0_13select_configILj256ELj13ELNS0_17block_load_methodE3ELS4_3ELS4_3ELNS0_20block_scan_algorithmE0ELj4294967295EEENS1_25partition_config_selectorILNS1_17partition_subalgoE3EjNS0_10empty_typeEbEEZZNS1_14partition_implILS8_3ELb0ES6_jNS0_17counting_iteratorIjlEEPS9_SE_NS0_5tupleIJPjSE_EEENSF_IJSE_SE_EEES9_SG_JZNS1_25segmented_radix_sort_implINS0_14default_configELb0EPKbPbPKlPlN2at6native12_GLOBAL__N_18offset_tEEE10hipError_tPvRmT1_PNSt15iterator_traitsISY_E10value_typeET2_T3_PNSZ_IS14_E10value_typeET4_jRbjT5_S1A_jjP12ihipStream_tbEUljE_EEESV_SW_SX_S14_S18_S1A_T6_T7_T9_mT8_S1C_bDpT10_ENKUlT_T0_E_clISt17integral_constantIbLb1EES1P_EEDaS1K_S1L_EUlS1K_E_NS1_11comp_targetILNS1_3genE8ELNS1_11target_archE1030ELNS1_3gpuE2ELNS1_3repE0EEENS1_30default_config_static_selectorELNS0_4arch9wavefront6targetE1EEEvSY_
                                        ; -- End function
	.set _ZN7rocprim17ROCPRIM_400000_NS6detail17trampoline_kernelINS0_13select_configILj256ELj13ELNS0_17block_load_methodE3ELS4_3ELS4_3ELNS0_20block_scan_algorithmE0ELj4294967295EEENS1_25partition_config_selectorILNS1_17partition_subalgoE3EjNS0_10empty_typeEbEEZZNS1_14partition_implILS8_3ELb0ES6_jNS0_17counting_iteratorIjlEEPS9_SE_NS0_5tupleIJPjSE_EEENSF_IJSE_SE_EEES9_SG_JZNS1_25segmented_radix_sort_implINS0_14default_configELb0EPKbPbPKlPlN2at6native12_GLOBAL__N_18offset_tEEE10hipError_tPvRmT1_PNSt15iterator_traitsISY_E10value_typeET2_T3_PNSZ_IS14_E10value_typeET4_jRbjT5_S1A_jjP12ihipStream_tbEUljE_EEESV_SW_SX_S14_S18_S1A_T6_T7_T9_mT8_S1C_bDpT10_ENKUlT_T0_E_clISt17integral_constantIbLb1EES1P_EEDaS1K_S1L_EUlS1K_E_NS1_11comp_targetILNS1_3genE8ELNS1_11target_archE1030ELNS1_3gpuE2ELNS1_3repE0EEENS1_30default_config_static_selectorELNS0_4arch9wavefront6targetE1EEEvSY_.num_vgpr, 0
	.set _ZN7rocprim17ROCPRIM_400000_NS6detail17trampoline_kernelINS0_13select_configILj256ELj13ELNS0_17block_load_methodE3ELS4_3ELS4_3ELNS0_20block_scan_algorithmE0ELj4294967295EEENS1_25partition_config_selectorILNS1_17partition_subalgoE3EjNS0_10empty_typeEbEEZZNS1_14partition_implILS8_3ELb0ES6_jNS0_17counting_iteratorIjlEEPS9_SE_NS0_5tupleIJPjSE_EEENSF_IJSE_SE_EEES9_SG_JZNS1_25segmented_radix_sort_implINS0_14default_configELb0EPKbPbPKlPlN2at6native12_GLOBAL__N_18offset_tEEE10hipError_tPvRmT1_PNSt15iterator_traitsISY_E10value_typeET2_T3_PNSZ_IS14_E10value_typeET4_jRbjT5_S1A_jjP12ihipStream_tbEUljE_EEESV_SW_SX_S14_S18_S1A_T6_T7_T9_mT8_S1C_bDpT10_ENKUlT_T0_E_clISt17integral_constantIbLb1EES1P_EEDaS1K_S1L_EUlS1K_E_NS1_11comp_targetILNS1_3genE8ELNS1_11target_archE1030ELNS1_3gpuE2ELNS1_3repE0EEENS1_30default_config_static_selectorELNS0_4arch9wavefront6targetE1EEEvSY_.num_agpr, 0
	.set _ZN7rocprim17ROCPRIM_400000_NS6detail17trampoline_kernelINS0_13select_configILj256ELj13ELNS0_17block_load_methodE3ELS4_3ELS4_3ELNS0_20block_scan_algorithmE0ELj4294967295EEENS1_25partition_config_selectorILNS1_17partition_subalgoE3EjNS0_10empty_typeEbEEZZNS1_14partition_implILS8_3ELb0ES6_jNS0_17counting_iteratorIjlEEPS9_SE_NS0_5tupleIJPjSE_EEENSF_IJSE_SE_EEES9_SG_JZNS1_25segmented_radix_sort_implINS0_14default_configELb0EPKbPbPKlPlN2at6native12_GLOBAL__N_18offset_tEEE10hipError_tPvRmT1_PNSt15iterator_traitsISY_E10value_typeET2_T3_PNSZ_IS14_E10value_typeET4_jRbjT5_S1A_jjP12ihipStream_tbEUljE_EEESV_SW_SX_S14_S18_S1A_T6_T7_T9_mT8_S1C_bDpT10_ENKUlT_T0_E_clISt17integral_constantIbLb1EES1P_EEDaS1K_S1L_EUlS1K_E_NS1_11comp_targetILNS1_3genE8ELNS1_11target_archE1030ELNS1_3gpuE2ELNS1_3repE0EEENS1_30default_config_static_selectorELNS0_4arch9wavefront6targetE1EEEvSY_.numbered_sgpr, 0
	.set _ZN7rocprim17ROCPRIM_400000_NS6detail17trampoline_kernelINS0_13select_configILj256ELj13ELNS0_17block_load_methodE3ELS4_3ELS4_3ELNS0_20block_scan_algorithmE0ELj4294967295EEENS1_25partition_config_selectorILNS1_17partition_subalgoE3EjNS0_10empty_typeEbEEZZNS1_14partition_implILS8_3ELb0ES6_jNS0_17counting_iteratorIjlEEPS9_SE_NS0_5tupleIJPjSE_EEENSF_IJSE_SE_EEES9_SG_JZNS1_25segmented_radix_sort_implINS0_14default_configELb0EPKbPbPKlPlN2at6native12_GLOBAL__N_18offset_tEEE10hipError_tPvRmT1_PNSt15iterator_traitsISY_E10value_typeET2_T3_PNSZ_IS14_E10value_typeET4_jRbjT5_S1A_jjP12ihipStream_tbEUljE_EEESV_SW_SX_S14_S18_S1A_T6_T7_T9_mT8_S1C_bDpT10_ENKUlT_T0_E_clISt17integral_constantIbLb1EES1P_EEDaS1K_S1L_EUlS1K_E_NS1_11comp_targetILNS1_3genE8ELNS1_11target_archE1030ELNS1_3gpuE2ELNS1_3repE0EEENS1_30default_config_static_selectorELNS0_4arch9wavefront6targetE1EEEvSY_.num_named_barrier, 0
	.set _ZN7rocprim17ROCPRIM_400000_NS6detail17trampoline_kernelINS0_13select_configILj256ELj13ELNS0_17block_load_methodE3ELS4_3ELS4_3ELNS0_20block_scan_algorithmE0ELj4294967295EEENS1_25partition_config_selectorILNS1_17partition_subalgoE3EjNS0_10empty_typeEbEEZZNS1_14partition_implILS8_3ELb0ES6_jNS0_17counting_iteratorIjlEEPS9_SE_NS0_5tupleIJPjSE_EEENSF_IJSE_SE_EEES9_SG_JZNS1_25segmented_radix_sort_implINS0_14default_configELb0EPKbPbPKlPlN2at6native12_GLOBAL__N_18offset_tEEE10hipError_tPvRmT1_PNSt15iterator_traitsISY_E10value_typeET2_T3_PNSZ_IS14_E10value_typeET4_jRbjT5_S1A_jjP12ihipStream_tbEUljE_EEESV_SW_SX_S14_S18_S1A_T6_T7_T9_mT8_S1C_bDpT10_ENKUlT_T0_E_clISt17integral_constantIbLb1EES1P_EEDaS1K_S1L_EUlS1K_E_NS1_11comp_targetILNS1_3genE8ELNS1_11target_archE1030ELNS1_3gpuE2ELNS1_3repE0EEENS1_30default_config_static_selectorELNS0_4arch9wavefront6targetE1EEEvSY_.private_seg_size, 0
	.set _ZN7rocprim17ROCPRIM_400000_NS6detail17trampoline_kernelINS0_13select_configILj256ELj13ELNS0_17block_load_methodE3ELS4_3ELS4_3ELNS0_20block_scan_algorithmE0ELj4294967295EEENS1_25partition_config_selectorILNS1_17partition_subalgoE3EjNS0_10empty_typeEbEEZZNS1_14partition_implILS8_3ELb0ES6_jNS0_17counting_iteratorIjlEEPS9_SE_NS0_5tupleIJPjSE_EEENSF_IJSE_SE_EEES9_SG_JZNS1_25segmented_radix_sort_implINS0_14default_configELb0EPKbPbPKlPlN2at6native12_GLOBAL__N_18offset_tEEE10hipError_tPvRmT1_PNSt15iterator_traitsISY_E10value_typeET2_T3_PNSZ_IS14_E10value_typeET4_jRbjT5_S1A_jjP12ihipStream_tbEUljE_EEESV_SW_SX_S14_S18_S1A_T6_T7_T9_mT8_S1C_bDpT10_ENKUlT_T0_E_clISt17integral_constantIbLb1EES1P_EEDaS1K_S1L_EUlS1K_E_NS1_11comp_targetILNS1_3genE8ELNS1_11target_archE1030ELNS1_3gpuE2ELNS1_3repE0EEENS1_30default_config_static_selectorELNS0_4arch9wavefront6targetE1EEEvSY_.uses_vcc, 0
	.set _ZN7rocprim17ROCPRIM_400000_NS6detail17trampoline_kernelINS0_13select_configILj256ELj13ELNS0_17block_load_methodE3ELS4_3ELS4_3ELNS0_20block_scan_algorithmE0ELj4294967295EEENS1_25partition_config_selectorILNS1_17partition_subalgoE3EjNS0_10empty_typeEbEEZZNS1_14partition_implILS8_3ELb0ES6_jNS0_17counting_iteratorIjlEEPS9_SE_NS0_5tupleIJPjSE_EEENSF_IJSE_SE_EEES9_SG_JZNS1_25segmented_radix_sort_implINS0_14default_configELb0EPKbPbPKlPlN2at6native12_GLOBAL__N_18offset_tEEE10hipError_tPvRmT1_PNSt15iterator_traitsISY_E10value_typeET2_T3_PNSZ_IS14_E10value_typeET4_jRbjT5_S1A_jjP12ihipStream_tbEUljE_EEESV_SW_SX_S14_S18_S1A_T6_T7_T9_mT8_S1C_bDpT10_ENKUlT_T0_E_clISt17integral_constantIbLb1EES1P_EEDaS1K_S1L_EUlS1K_E_NS1_11comp_targetILNS1_3genE8ELNS1_11target_archE1030ELNS1_3gpuE2ELNS1_3repE0EEENS1_30default_config_static_selectorELNS0_4arch9wavefront6targetE1EEEvSY_.uses_flat_scratch, 0
	.set _ZN7rocprim17ROCPRIM_400000_NS6detail17trampoline_kernelINS0_13select_configILj256ELj13ELNS0_17block_load_methodE3ELS4_3ELS4_3ELNS0_20block_scan_algorithmE0ELj4294967295EEENS1_25partition_config_selectorILNS1_17partition_subalgoE3EjNS0_10empty_typeEbEEZZNS1_14partition_implILS8_3ELb0ES6_jNS0_17counting_iteratorIjlEEPS9_SE_NS0_5tupleIJPjSE_EEENSF_IJSE_SE_EEES9_SG_JZNS1_25segmented_radix_sort_implINS0_14default_configELb0EPKbPbPKlPlN2at6native12_GLOBAL__N_18offset_tEEE10hipError_tPvRmT1_PNSt15iterator_traitsISY_E10value_typeET2_T3_PNSZ_IS14_E10value_typeET4_jRbjT5_S1A_jjP12ihipStream_tbEUljE_EEESV_SW_SX_S14_S18_S1A_T6_T7_T9_mT8_S1C_bDpT10_ENKUlT_T0_E_clISt17integral_constantIbLb1EES1P_EEDaS1K_S1L_EUlS1K_E_NS1_11comp_targetILNS1_3genE8ELNS1_11target_archE1030ELNS1_3gpuE2ELNS1_3repE0EEENS1_30default_config_static_selectorELNS0_4arch9wavefront6targetE1EEEvSY_.has_dyn_sized_stack, 0
	.set _ZN7rocprim17ROCPRIM_400000_NS6detail17trampoline_kernelINS0_13select_configILj256ELj13ELNS0_17block_load_methodE3ELS4_3ELS4_3ELNS0_20block_scan_algorithmE0ELj4294967295EEENS1_25partition_config_selectorILNS1_17partition_subalgoE3EjNS0_10empty_typeEbEEZZNS1_14partition_implILS8_3ELb0ES6_jNS0_17counting_iteratorIjlEEPS9_SE_NS0_5tupleIJPjSE_EEENSF_IJSE_SE_EEES9_SG_JZNS1_25segmented_radix_sort_implINS0_14default_configELb0EPKbPbPKlPlN2at6native12_GLOBAL__N_18offset_tEEE10hipError_tPvRmT1_PNSt15iterator_traitsISY_E10value_typeET2_T3_PNSZ_IS14_E10value_typeET4_jRbjT5_S1A_jjP12ihipStream_tbEUljE_EEESV_SW_SX_S14_S18_S1A_T6_T7_T9_mT8_S1C_bDpT10_ENKUlT_T0_E_clISt17integral_constantIbLb1EES1P_EEDaS1K_S1L_EUlS1K_E_NS1_11comp_targetILNS1_3genE8ELNS1_11target_archE1030ELNS1_3gpuE2ELNS1_3repE0EEENS1_30default_config_static_selectorELNS0_4arch9wavefront6targetE1EEEvSY_.has_recursion, 0
	.set _ZN7rocprim17ROCPRIM_400000_NS6detail17trampoline_kernelINS0_13select_configILj256ELj13ELNS0_17block_load_methodE3ELS4_3ELS4_3ELNS0_20block_scan_algorithmE0ELj4294967295EEENS1_25partition_config_selectorILNS1_17partition_subalgoE3EjNS0_10empty_typeEbEEZZNS1_14partition_implILS8_3ELb0ES6_jNS0_17counting_iteratorIjlEEPS9_SE_NS0_5tupleIJPjSE_EEENSF_IJSE_SE_EEES9_SG_JZNS1_25segmented_radix_sort_implINS0_14default_configELb0EPKbPbPKlPlN2at6native12_GLOBAL__N_18offset_tEEE10hipError_tPvRmT1_PNSt15iterator_traitsISY_E10value_typeET2_T3_PNSZ_IS14_E10value_typeET4_jRbjT5_S1A_jjP12ihipStream_tbEUljE_EEESV_SW_SX_S14_S18_S1A_T6_T7_T9_mT8_S1C_bDpT10_ENKUlT_T0_E_clISt17integral_constantIbLb1EES1P_EEDaS1K_S1L_EUlS1K_E_NS1_11comp_targetILNS1_3genE8ELNS1_11target_archE1030ELNS1_3gpuE2ELNS1_3repE0EEENS1_30default_config_static_selectorELNS0_4arch9wavefront6targetE1EEEvSY_.has_indirect_call, 0
	.section	.AMDGPU.csdata,"",@progbits
; Kernel info:
; codeLenInByte = 0
; TotalNumSgprs: 4
; NumVgprs: 0
; ScratchSize: 0
; MemoryBound: 0
; FloatMode: 240
; IeeeMode: 1
; LDSByteSize: 0 bytes/workgroup (compile time only)
; SGPRBlocks: 0
; VGPRBlocks: 0
; NumSGPRsForWavesPerEU: 4
; NumVGPRsForWavesPerEU: 1
; Occupancy: 10
; WaveLimiterHint : 0
; COMPUTE_PGM_RSRC2:SCRATCH_EN: 0
; COMPUTE_PGM_RSRC2:USER_SGPR: 6
; COMPUTE_PGM_RSRC2:TRAP_HANDLER: 0
; COMPUTE_PGM_RSRC2:TGID_X_EN: 1
; COMPUTE_PGM_RSRC2:TGID_Y_EN: 0
; COMPUTE_PGM_RSRC2:TGID_Z_EN: 0
; COMPUTE_PGM_RSRC2:TIDIG_COMP_CNT: 0
	.section	.text._ZN7rocprim17ROCPRIM_400000_NS6detail17trampoline_kernelINS0_13select_configILj256ELj13ELNS0_17block_load_methodE3ELS4_3ELS4_3ELNS0_20block_scan_algorithmE0ELj4294967295EEENS1_25partition_config_selectorILNS1_17partition_subalgoE3EjNS0_10empty_typeEbEEZZNS1_14partition_implILS8_3ELb0ES6_jNS0_17counting_iteratorIjlEEPS9_SE_NS0_5tupleIJPjSE_EEENSF_IJSE_SE_EEES9_SG_JZNS1_25segmented_radix_sort_implINS0_14default_configELb0EPKbPbPKlPlN2at6native12_GLOBAL__N_18offset_tEEE10hipError_tPvRmT1_PNSt15iterator_traitsISY_E10value_typeET2_T3_PNSZ_IS14_E10value_typeET4_jRbjT5_S1A_jjP12ihipStream_tbEUljE_EEESV_SW_SX_S14_S18_S1A_T6_T7_T9_mT8_S1C_bDpT10_ENKUlT_T0_E_clISt17integral_constantIbLb1EES1O_IbLb0EEEEDaS1K_S1L_EUlS1K_E_NS1_11comp_targetILNS1_3genE0ELNS1_11target_archE4294967295ELNS1_3gpuE0ELNS1_3repE0EEENS1_30default_config_static_selectorELNS0_4arch9wavefront6targetE1EEEvSY_,"axG",@progbits,_ZN7rocprim17ROCPRIM_400000_NS6detail17trampoline_kernelINS0_13select_configILj256ELj13ELNS0_17block_load_methodE3ELS4_3ELS4_3ELNS0_20block_scan_algorithmE0ELj4294967295EEENS1_25partition_config_selectorILNS1_17partition_subalgoE3EjNS0_10empty_typeEbEEZZNS1_14partition_implILS8_3ELb0ES6_jNS0_17counting_iteratorIjlEEPS9_SE_NS0_5tupleIJPjSE_EEENSF_IJSE_SE_EEES9_SG_JZNS1_25segmented_radix_sort_implINS0_14default_configELb0EPKbPbPKlPlN2at6native12_GLOBAL__N_18offset_tEEE10hipError_tPvRmT1_PNSt15iterator_traitsISY_E10value_typeET2_T3_PNSZ_IS14_E10value_typeET4_jRbjT5_S1A_jjP12ihipStream_tbEUljE_EEESV_SW_SX_S14_S18_S1A_T6_T7_T9_mT8_S1C_bDpT10_ENKUlT_T0_E_clISt17integral_constantIbLb1EES1O_IbLb0EEEEDaS1K_S1L_EUlS1K_E_NS1_11comp_targetILNS1_3genE0ELNS1_11target_archE4294967295ELNS1_3gpuE0ELNS1_3repE0EEENS1_30default_config_static_selectorELNS0_4arch9wavefront6targetE1EEEvSY_,comdat
	.globl	_ZN7rocprim17ROCPRIM_400000_NS6detail17trampoline_kernelINS0_13select_configILj256ELj13ELNS0_17block_load_methodE3ELS4_3ELS4_3ELNS0_20block_scan_algorithmE0ELj4294967295EEENS1_25partition_config_selectorILNS1_17partition_subalgoE3EjNS0_10empty_typeEbEEZZNS1_14partition_implILS8_3ELb0ES6_jNS0_17counting_iteratorIjlEEPS9_SE_NS0_5tupleIJPjSE_EEENSF_IJSE_SE_EEES9_SG_JZNS1_25segmented_radix_sort_implINS0_14default_configELb0EPKbPbPKlPlN2at6native12_GLOBAL__N_18offset_tEEE10hipError_tPvRmT1_PNSt15iterator_traitsISY_E10value_typeET2_T3_PNSZ_IS14_E10value_typeET4_jRbjT5_S1A_jjP12ihipStream_tbEUljE_EEESV_SW_SX_S14_S18_S1A_T6_T7_T9_mT8_S1C_bDpT10_ENKUlT_T0_E_clISt17integral_constantIbLb1EES1O_IbLb0EEEEDaS1K_S1L_EUlS1K_E_NS1_11comp_targetILNS1_3genE0ELNS1_11target_archE4294967295ELNS1_3gpuE0ELNS1_3repE0EEENS1_30default_config_static_selectorELNS0_4arch9wavefront6targetE1EEEvSY_ ; -- Begin function _ZN7rocprim17ROCPRIM_400000_NS6detail17trampoline_kernelINS0_13select_configILj256ELj13ELNS0_17block_load_methodE3ELS4_3ELS4_3ELNS0_20block_scan_algorithmE0ELj4294967295EEENS1_25partition_config_selectorILNS1_17partition_subalgoE3EjNS0_10empty_typeEbEEZZNS1_14partition_implILS8_3ELb0ES6_jNS0_17counting_iteratorIjlEEPS9_SE_NS0_5tupleIJPjSE_EEENSF_IJSE_SE_EEES9_SG_JZNS1_25segmented_radix_sort_implINS0_14default_configELb0EPKbPbPKlPlN2at6native12_GLOBAL__N_18offset_tEEE10hipError_tPvRmT1_PNSt15iterator_traitsISY_E10value_typeET2_T3_PNSZ_IS14_E10value_typeET4_jRbjT5_S1A_jjP12ihipStream_tbEUljE_EEESV_SW_SX_S14_S18_S1A_T6_T7_T9_mT8_S1C_bDpT10_ENKUlT_T0_E_clISt17integral_constantIbLb1EES1O_IbLb0EEEEDaS1K_S1L_EUlS1K_E_NS1_11comp_targetILNS1_3genE0ELNS1_11target_archE4294967295ELNS1_3gpuE0ELNS1_3repE0EEENS1_30default_config_static_selectorELNS0_4arch9wavefront6targetE1EEEvSY_
	.p2align	8
	.type	_ZN7rocprim17ROCPRIM_400000_NS6detail17trampoline_kernelINS0_13select_configILj256ELj13ELNS0_17block_load_methodE3ELS4_3ELS4_3ELNS0_20block_scan_algorithmE0ELj4294967295EEENS1_25partition_config_selectorILNS1_17partition_subalgoE3EjNS0_10empty_typeEbEEZZNS1_14partition_implILS8_3ELb0ES6_jNS0_17counting_iteratorIjlEEPS9_SE_NS0_5tupleIJPjSE_EEENSF_IJSE_SE_EEES9_SG_JZNS1_25segmented_radix_sort_implINS0_14default_configELb0EPKbPbPKlPlN2at6native12_GLOBAL__N_18offset_tEEE10hipError_tPvRmT1_PNSt15iterator_traitsISY_E10value_typeET2_T3_PNSZ_IS14_E10value_typeET4_jRbjT5_S1A_jjP12ihipStream_tbEUljE_EEESV_SW_SX_S14_S18_S1A_T6_T7_T9_mT8_S1C_bDpT10_ENKUlT_T0_E_clISt17integral_constantIbLb1EES1O_IbLb0EEEEDaS1K_S1L_EUlS1K_E_NS1_11comp_targetILNS1_3genE0ELNS1_11target_archE4294967295ELNS1_3gpuE0ELNS1_3repE0EEENS1_30default_config_static_selectorELNS0_4arch9wavefront6targetE1EEEvSY_,@function
_ZN7rocprim17ROCPRIM_400000_NS6detail17trampoline_kernelINS0_13select_configILj256ELj13ELNS0_17block_load_methodE3ELS4_3ELS4_3ELNS0_20block_scan_algorithmE0ELj4294967295EEENS1_25partition_config_selectorILNS1_17partition_subalgoE3EjNS0_10empty_typeEbEEZZNS1_14partition_implILS8_3ELb0ES6_jNS0_17counting_iteratorIjlEEPS9_SE_NS0_5tupleIJPjSE_EEENSF_IJSE_SE_EEES9_SG_JZNS1_25segmented_radix_sort_implINS0_14default_configELb0EPKbPbPKlPlN2at6native12_GLOBAL__N_18offset_tEEE10hipError_tPvRmT1_PNSt15iterator_traitsISY_E10value_typeET2_T3_PNSZ_IS14_E10value_typeET4_jRbjT5_S1A_jjP12ihipStream_tbEUljE_EEESV_SW_SX_S14_S18_S1A_T6_T7_T9_mT8_S1C_bDpT10_ENKUlT_T0_E_clISt17integral_constantIbLb1EES1O_IbLb0EEEEDaS1K_S1L_EUlS1K_E_NS1_11comp_targetILNS1_3genE0ELNS1_11target_archE4294967295ELNS1_3gpuE0ELNS1_3repE0EEENS1_30default_config_static_selectorELNS0_4arch9wavefront6targetE1EEEvSY_: ; @_ZN7rocprim17ROCPRIM_400000_NS6detail17trampoline_kernelINS0_13select_configILj256ELj13ELNS0_17block_load_methodE3ELS4_3ELS4_3ELNS0_20block_scan_algorithmE0ELj4294967295EEENS1_25partition_config_selectorILNS1_17partition_subalgoE3EjNS0_10empty_typeEbEEZZNS1_14partition_implILS8_3ELb0ES6_jNS0_17counting_iteratorIjlEEPS9_SE_NS0_5tupleIJPjSE_EEENSF_IJSE_SE_EEES9_SG_JZNS1_25segmented_radix_sort_implINS0_14default_configELb0EPKbPbPKlPlN2at6native12_GLOBAL__N_18offset_tEEE10hipError_tPvRmT1_PNSt15iterator_traitsISY_E10value_typeET2_T3_PNSZ_IS14_E10value_typeET4_jRbjT5_S1A_jjP12ihipStream_tbEUljE_EEESV_SW_SX_S14_S18_S1A_T6_T7_T9_mT8_S1C_bDpT10_ENKUlT_T0_E_clISt17integral_constantIbLb1EES1O_IbLb0EEEEDaS1K_S1L_EUlS1K_E_NS1_11comp_targetILNS1_3genE0ELNS1_11target_archE4294967295ELNS1_3gpuE0ELNS1_3repE0EEENS1_30default_config_static_selectorELNS0_4arch9wavefront6targetE1EEEvSY_
; %bb.0:
	.section	.rodata,"a",@progbits
	.p2align	6, 0x0
	.amdhsa_kernel _ZN7rocprim17ROCPRIM_400000_NS6detail17trampoline_kernelINS0_13select_configILj256ELj13ELNS0_17block_load_methodE3ELS4_3ELS4_3ELNS0_20block_scan_algorithmE0ELj4294967295EEENS1_25partition_config_selectorILNS1_17partition_subalgoE3EjNS0_10empty_typeEbEEZZNS1_14partition_implILS8_3ELb0ES6_jNS0_17counting_iteratorIjlEEPS9_SE_NS0_5tupleIJPjSE_EEENSF_IJSE_SE_EEES9_SG_JZNS1_25segmented_radix_sort_implINS0_14default_configELb0EPKbPbPKlPlN2at6native12_GLOBAL__N_18offset_tEEE10hipError_tPvRmT1_PNSt15iterator_traitsISY_E10value_typeET2_T3_PNSZ_IS14_E10value_typeET4_jRbjT5_S1A_jjP12ihipStream_tbEUljE_EEESV_SW_SX_S14_S18_S1A_T6_T7_T9_mT8_S1C_bDpT10_ENKUlT_T0_E_clISt17integral_constantIbLb1EES1O_IbLb0EEEEDaS1K_S1L_EUlS1K_E_NS1_11comp_targetILNS1_3genE0ELNS1_11target_archE4294967295ELNS1_3gpuE0ELNS1_3repE0EEENS1_30default_config_static_selectorELNS0_4arch9wavefront6targetE1EEEvSY_
		.amdhsa_group_segment_fixed_size 0
		.amdhsa_private_segment_fixed_size 0
		.amdhsa_kernarg_size 144
		.amdhsa_user_sgpr_count 6
		.amdhsa_user_sgpr_private_segment_buffer 1
		.amdhsa_user_sgpr_dispatch_ptr 0
		.amdhsa_user_sgpr_queue_ptr 0
		.amdhsa_user_sgpr_kernarg_segment_ptr 1
		.amdhsa_user_sgpr_dispatch_id 0
		.amdhsa_user_sgpr_flat_scratch_init 0
		.amdhsa_user_sgpr_private_segment_size 0
		.amdhsa_uses_dynamic_stack 0
		.amdhsa_system_sgpr_private_segment_wavefront_offset 0
		.amdhsa_system_sgpr_workgroup_id_x 1
		.amdhsa_system_sgpr_workgroup_id_y 0
		.amdhsa_system_sgpr_workgroup_id_z 0
		.amdhsa_system_sgpr_workgroup_info 0
		.amdhsa_system_vgpr_workitem_id 0
		.amdhsa_next_free_vgpr 1
		.amdhsa_next_free_sgpr 0
		.amdhsa_reserve_vcc 0
		.amdhsa_reserve_flat_scratch 0
		.amdhsa_float_round_mode_32 0
		.amdhsa_float_round_mode_16_64 0
		.amdhsa_float_denorm_mode_32 3
		.amdhsa_float_denorm_mode_16_64 3
		.amdhsa_dx10_clamp 1
		.amdhsa_ieee_mode 1
		.amdhsa_fp16_overflow 0
		.amdhsa_exception_fp_ieee_invalid_op 0
		.amdhsa_exception_fp_denorm_src 0
		.amdhsa_exception_fp_ieee_div_zero 0
		.amdhsa_exception_fp_ieee_overflow 0
		.amdhsa_exception_fp_ieee_underflow 0
		.amdhsa_exception_fp_ieee_inexact 0
		.amdhsa_exception_int_div_zero 0
	.end_amdhsa_kernel
	.section	.text._ZN7rocprim17ROCPRIM_400000_NS6detail17trampoline_kernelINS0_13select_configILj256ELj13ELNS0_17block_load_methodE3ELS4_3ELS4_3ELNS0_20block_scan_algorithmE0ELj4294967295EEENS1_25partition_config_selectorILNS1_17partition_subalgoE3EjNS0_10empty_typeEbEEZZNS1_14partition_implILS8_3ELb0ES6_jNS0_17counting_iteratorIjlEEPS9_SE_NS0_5tupleIJPjSE_EEENSF_IJSE_SE_EEES9_SG_JZNS1_25segmented_radix_sort_implINS0_14default_configELb0EPKbPbPKlPlN2at6native12_GLOBAL__N_18offset_tEEE10hipError_tPvRmT1_PNSt15iterator_traitsISY_E10value_typeET2_T3_PNSZ_IS14_E10value_typeET4_jRbjT5_S1A_jjP12ihipStream_tbEUljE_EEESV_SW_SX_S14_S18_S1A_T6_T7_T9_mT8_S1C_bDpT10_ENKUlT_T0_E_clISt17integral_constantIbLb1EES1O_IbLb0EEEEDaS1K_S1L_EUlS1K_E_NS1_11comp_targetILNS1_3genE0ELNS1_11target_archE4294967295ELNS1_3gpuE0ELNS1_3repE0EEENS1_30default_config_static_selectorELNS0_4arch9wavefront6targetE1EEEvSY_,"axG",@progbits,_ZN7rocprim17ROCPRIM_400000_NS6detail17trampoline_kernelINS0_13select_configILj256ELj13ELNS0_17block_load_methodE3ELS4_3ELS4_3ELNS0_20block_scan_algorithmE0ELj4294967295EEENS1_25partition_config_selectorILNS1_17partition_subalgoE3EjNS0_10empty_typeEbEEZZNS1_14partition_implILS8_3ELb0ES6_jNS0_17counting_iteratorIjlEEPS9_SE_NS0_5tupleIJPjSE_EEENSF_IJSE_SE_EEES9_SG_JZNS1_25segmented_radix_sort_implINS0_14default_configELb0EPKbPbPKlPlN2at6native12_GLOBAL__N_18offset_tEEE10hipError_tPvRmT1_PNSt15iterator_traitsISY_E10value_typeET2_T3_PNSZ_IS14_E10value_typeET4_jRbjT5_S1A_jjP12ihipStream_tbEUljE_EEESV_SW_SX_S14_S18_S1A_T6_T7_T9_mT8_S1C_bDpT10_ENKUlT_T0_E_clISt17integral_constantIbLb1EES1O_IbLb0EEEEDaS1K_S1L_EUlS1K_E_NS1_11comp_targetILNS1_3genE0ELNS1_11target_archE4294967295ELNS1_3gpuE0ELNS1_3repE0EEENS1_30default_config_static_selectorELNS0_4arch9wavefront6targetE1EEEvSY_,comdat
.Lfunc_end1619:
	.size	_ZN7rocprim17ROCPRIM_400000_NS6detail17trampoline_kernelINS0_13select_configILj256ELj13ELNS0_17block_load_methodE3ELS4_3ELS4_3ELNS0_20block_scan_algorithmE0ELj4294967295EEENS1_25partition_config_selectorILNS1_17partition_subalgoE3EjNS0_10empty_typeEbEEZZNS1_14partition_implILS8_3ELb0ES6_jNS0_17counting_iteratorIjlEEPS9_SE_NS0_5tupleIJPjSE_EEENSF_IJSE_SE_EEES9_SG_JZNS1_25segmented_radix_sort_implINS0_14default_configELb0EPKbPbPKlPlN2at6native12_GLOBAL__N_18offset_tEEE10hipError_tPvRmT1_PNSt15iterator_traitsISY_E10value_typeET2_T3_PNSZ_IS14_E10value_typeET4_jRbjT5_S1A_jjP12ihipStream_tbEUljE_EEESV_SW_SX_S14_S18_S1A_T6_T7_T9_mT8_S1C_bDpT10_ENKUlT_T0_E_clISt17integral_constantIbLb1EES1O_IbLb0EEEEDaS1K_S1L_EUlS1K_E_NS1_11comp_targetILNS1_3genE0ELNS1_11target_archE4294967295ELNS1_3gpuE0ELNS1_3repE0EEENS1_30default_config_static_selectorELNS0_4arch9wavefront6targetE1EEEvSY_, .Lfunc_end1619-_ZN7rocprim17ROCPRIM_400000_NS6detail17trampoline_kernelINS0_13select_configILj256ELj13ELNS0_17block_load_methodE3ELS4_3ELS4_3ELNS0_20block_scan_algorithmE0ELj4294967295EEENS1_25partition_config_selectorILNS1_17partition_subalgoE3EjNS0_10empty_typeEbEEZZNS1_14partition_implILS8_3ELb0ES6_jNS0_17counting_iteratorIjlEEPS9_SE_NS0_5tupleIJPjSE_EEENSF_IJSE_SE_EEES9_SG_JZNS1_25segmented_radix_sort_implINS0_14default_configELb0EPKbPbPKlPlN2at6native12_GLOBAL__N_18offset_tEEE10hipError_tPvRmT1_PNSt15iterator_traitsISY_E10value_typeET2_T3_PNSZ_IS14_E10value_typeET4_jRbjT5_S1A_jjP12ihipStream_tbEUljE_EEESV_SW_SX_S14_S18_S1A_T6_T7_T9_mT8_S1C_bDpT10_ENKUlT_T0_E_clISt17integral_constantIbLb1EES1O_IbLb0EEEEDaS1K_S1L_EUlS1K_E_NS1_11comp_targetILNS1_3genE0ELNS1_11target_archE4294967295ELNS1_3gpuE0ELNS1_3repE0EEENS1_30default_config_static_selectorELNS0_4arch9wavefront6targetE1EEEvSY_
                                        ; -- End function
	.set _ZN7rocprim17ROCPRIM_400000_NS6detail17trampoline_kernelINS0_13select_configILj256ELj13ELNS0_17block_load_methodE3ELS4_3ELS4_3ELNS0_20block_scan_algorithmE0ELj4294967295EEENS1_25partition_config_selectorILNS1_17partition_subalgoE3EjNS0_10empty_typeEbEEZZNS1_14partition_implILS8_3ELb0ES6_jNS0_17counting_iteratorIjlEEPS9_SE_NS0_5tupleIJPjSE_EEENSF_IJSE_SE_EEES9_SG_JZNS1_25segmented_radix_sort_implINS0_14default_configELb0EPKbPbPKlPlN2at6native12_GLOBAL__N_18offset_tEEE10hipError_tPvRmT1_PNSt15iterator_traitsISY_E10value_typeET2_T3_PNSZ_IS14_E10value_typeET4_jRbjT5_S1A_jjP12ihipStream_tbEUljE_EEESV_SW_SX_S14_S18_S1A_T6_T7_T9_mT8_S1C_bDpT10_ENKUlT_T0_E_clISt17integral_constantIbLb1EES1O_IbLb0EEEEDaS1K_S1L_EUlS1K_E_NS1_11comp_targetILNS1_3genE0ELNS1_11target_archE4294967295ELNS1_3gpuE0ELNS1_3repE0EEENS1_30default_config_static_selectorELNS0_4arch9wavefront6targetE1EEEvSY_.num_vgpr, 0
	.set _ZN7rocprim17ROCPRIM_400000_NS6detail17trampoline_kernelINS0_13select_configILj256ELj13ELNS0_17block_load_methodE3ELS4_3ELS4_3ELNS0_20block_scan_algorithmE0ELj4294967295EEENS1_25partition_config_selectorILNS1_17partition_subalgoE3EjNS0_10empty_typeEbEEZZNS1_14partition_implILS8_3ELb0ES6_jNS0_17counting_iteratorIjlEEPS9_SE_NS0_5tupleIJPjSE_EEENSF_IJSE_SE_EEES9_SG_JZNS1_25segmented_radix_sort_implINS0_14default_configELb0EPKbPbPKlPlN2at6native12_GLOBAL__N_18offset_tEEE10hipError_tPvRmT1_PNSt15iterator_traitsISY_E10value_typeET2_T3_PNSZ_IS14_E10value_typeET4_jRbjT5_S1A_jjP12ihipStream_tbEUljE_EEESV_SW_SX_S14_S18_S1A_T6_T7_T9_mT8_S1C_bDpT10_ENKUlT_T0_E_clISt17integral_constantIbLb1EES1O_IbLb0EEEEDaS1K_S1L_EUlS1K_E_NS1_11comp_targetILNS1_3genE0ELNS1_11target_archE4294967295ELNS1_3gpuE0ELNS1_3repE0EEENS1_30default_config_static_selectorELNS0_4arch9wavefront6targetE1EEEvSY_.num_agpr, 0
	.set _ZN7rocprim17ROCPRIM_400000_NS6detail17trampoline_kernelINS0_13select_configILj256ELj13ELNS0_17block_load_methodE3ELS4_3ELS4_3ELNS0_20block_scan_algorithmE0ELj4294967295EEENS1_25partition_config_selectorILNS1_17partition_subalgoE3EjNS0_10empty_typeEbEEZZNS1_14partition_implILS8_3ELb0ES6_jNS0_17counting_iteratorIjlEEPS9_SE_NS0_5tupleIJPjSE_EEENSF_IJSE_SE_EEES9_SG_JZNS1_25segmented_radix_sort_implINS0_14default_configELb0EPKbPbPKlPlN2at6native12_GLOBAL__N_18offset_tEEE10hipError_tPvRmT1_PNSt15iterator_traitsISY_E10value_typeET2_T3_PNSZ_IS14_E10value_typeET4_jRbjT5_S1A_jjP12ihipStream_tbEUljE_EEESV_SW_SX_S14_S18_S1A_T6_T7_T9_mT8_S1C_bDpT10_ENKUlT_T0_E_clISt17integral_constantIbLb1EES1O_IbLb0EEEEDaS1K_S1L_EUlS1K_E_NS1_11comp_targetILNS1_3genE0ELNS1_11target_archE4294967295ELNS1_3gpuE0ELNS1_3repE0EEENS1_30default_config_static_selectorELNS0_4arch9wavefront6targetE1EEEvSY_.numbered_sgpr, 0
	.set _ZN7rocprim17ROCPRIM_400000_NS6detail17trampoline_kernelINS0_13select_configILj256ELj13ELNS0_17block_load_methodE3ELS4_3ELS4_3ELNS0_20block_scan_algorithmE0ELj4294967295EEENS1_25partition_config_selectorILNS1_17partition_subalgoE3EjNS0_10empty_typeEbEEZZNS1_14partition_implILS8_3ELb0ES6_jNS0_17counting_iteratorIjlEEPS9_SE_NS0_5tupleIJPjSE_EEENSF_IJSE_SE_EEES9_SG_JZNS1_25segmented_radix_sort_implINS0_14default_configELb0EPKbPbPKlPlN2at6native12_GLOBAL__N_18offset_tEEE10hipError_tPvRmT1_PNSt15iterator_traitsISY_E10value_typeET2_T3_PNSZ_IS14_E10value_typeET4_jRbjT5_S1A_jjP12ihipStream_tbEUljE_EEESV_SW_SX_S14_S18_S1A_T6_T7_T9_mT8_S1C_bDpT10_ENKUlT_T0_E_clISt17integral_constantIbLb1EES1O_IbLb0EEEEDaS1K_S1L_EUlS1K_E_NS1_11comp_targetILNS1_3genE0ELNS1_11target_archE4294967295ELNS1_3gpuE0ELNS1_3repE0EEENS1_30default_config_static_selectorELNS0_4arch9wavefront6targetE1EEEvSY_.num_named_barrier, 0
	.set _ZN7rocprim17ROCPRIM_400000_NS6detail17trampoline_kernelINS0_13select_configILj256ELj13ELNS0_17block_load_methodE3ELS4_3ELS4_3ELNS0_20block_scan_algorithmE0ELj4294967295EEENS1_25partition_config_selectorILNS1_17partition_subalgoE3EjNS0_10empty_typeEbEEZZNS1_14partition_implILS8_3ELb0ES6_jNS0_17counting_iteratorIjlEEPS9_SE_NS0_5tupleIJPjSE_EEENSF_IJSE_SE_EEES9_SG_JZNS1_25segmented_radix_sort_implINS0_14default_configELb0EPKbPbPKlPlN2at6native12_GLOBAL__N_18offset_tEEE10hipError_tPvRmT1_PNSt15iterator_traitsISY_E10value_typeET2_T3_PNSZ_IS14_E10value_typeET4_jRbjT5_S1A_jjP12ihipStream_tbEUljE_EEESV_SW_SX_S14_S18_S1A_T6_T7_T9_mT8_S1C_bDpT10_ENKUlT_T0_E_clISt17integral_constantIbLb1EES1O_IbLb0EEEEDaS1K_S1L_EUlS1K_E_NS1_11comp_targetILNS1_3genE0ELNS1_11target_archE4294967295ELNS1_3gpuE0ELNS1_3repE0EEENS1_30default_config_static_selectorELNS0_4arch9wavefront6targetE1EEEvSY_.private_seg_size, 0
	.set _ZN7rocprim17ROCPRIM_400000_NS6detail17trampoline_kernelINS0_13select_configILj256ELj13ELNS0_17block_load_methodE3ELS4_3ELS4_3ELNS0_20block_scan_algorithmE0ELj4294967295EEENS1_25partition_config_selectorILNS1_17partition_subalgoE3EjNS0_10empty_typeEbEEZZNS1_14partition_implILS8_3ELb0ES6_jNS0_17counting_iteratorIjlEEPS9_SE_NS0_5tupleIJPjSE_EEENSF_IJSE_SE_EEES9_SG_JZNS1_25segmented_radix_sort_implINS0_14default_configELb0EPKbPbPKlPlN2at6native12_GLOBAL__N_18offset_tEEE10hipError_tPvRmT1_PNSt15iterator_traitsISY_E10value_typeET2_T3_PNSZ_IS14_E10value_typeET4_jRbjT5_S1A_jjP12ihipStream_tbEUljE_EEESV_SW_SX_S14_S18_S1A_T6_T7_T9_mT8_S1C_bDpT10_ENKUlT_T0_E_clISt17integral_constantIbLb1EES1O_IbLb0EEEEDaS1K_S1L_EUlS1K_E_NS1_11comp_targetILNS1_3genE0ELNS1_11target_archE4294967295ELNS1_3gpuE0ELNS1_3repE0EEENS1_30default_config_static_selectorELNS0_4arch9wavefront6targetE1EEEvSY_.uses_vcc, 0
	.set _ZN7rocprim17ROCPRIM_400000_NS6detail17trampoline_kernelINS0_13select_configILj256ELj13ELNS0_17block_load_methodE3ELS4_3ELS4_3ELNS0_20block_scan_algorithmE0ELj4294967295EEENS1_25partition_config_selectorILNS1_17partition_subalgoE3EjNS0_10empty_typeEbEEZZNS1_14partition_implILS8_3ELb0ES6_jNS0_17counting_iteratorIjlEEPS9_SE_NS0_5tupleIJPjSE_EEENSF_IJSE_SE_EEES9_SG_JZNS1_25segmented_radix_sort_implINS0_14default_configELb0EPKbPbPKlPlN2at6native12_GLOBAL__N_18offset_tEEE10hipError_tPvRmT1_PNSt15iterator_traitsISY_E10value_typeET2_T3_PNSZ_IS14_E10value_typeET4_jRbjT5_S1A_jjP12ihipStream_tbEUljE_EEESV_SW_SX_S14_S18_S1A_T6_T7_T9_mT8_S1C_bDpT10_ENKUlT_T0_E_clISt17integral_constantIbLb1EES1O_IbLb0EEEEDaS1K_S1L_EUlS1K_E_NS1_11comp_targetILNS1_3genE0ELNS1_11target_archE4294967295ELNS1_3gpuE0ELNS1_3repE0EEENS1_30default_config_static_selectorELNS0_4arch9wavefront6targetE1EEEvSY_.uses_flat_scratch, 0
	.set _ZN7rocprim17ROCPRIM_400000_NS6detail17trampoline_kernelINS0_13select_configILj256ELj13ELNS0_17block_load_methodE3ELS4_3ELS4_3ELNS0_20block_scan_algorithmE0ELj4294967295EEENS1_25partition_config_selectorILNS1_17partition_subalgoE3EjNS0_10empty_typeEbEEZZNS1_14partition_implILS8_3ELb0ES6_jNS0_17counting_iteratorIjlEEPS9_SE_NS0_5tupleIJPjSE_EEENSF_IJSE_SE_EEES9_SG_JZNS1_25segmented_radix_sort_implINS0_14default_configELb0EPKbPbPKlPlN2at6native12_GLOBAL__N_18offset_tEEE10hipError_tPvRmT1_PNSt15iterator_traitsISY_E10value_typeET2_T3_PNSZ_IS14_E10value_typeET4_jRbjT5_S1A_jjP12ihipStream_tbEUljE_EEESV_SW_SX_S14_S18_S1A_T6_T7_T9_mT8_S1C_bDpT10_ENKUlT_T0_E_clISt17integral_constantIbLb1EES1O_IbLb0EEEEDaS1K_S1L_EUlS1K_E_NS1_11comp_targetILNS1_3genE0ELNS1_11target_archE4294967295ELNS1_3gpuE0ELNS1_3repE0EEENS1_30default_config_static_selectorELNS0_4arch9wavefront6targetE1EEEvSY_.has_dyn_sized_stack, 0
	.set _ZN7rocprim17ROCPRIM_400000_NS6detail17trampoline_kernelINS0_13select_configILj256ELj13ELNS0_17block_load_methodE3ELS4_3ELS4_3ELNS0_20block_scan_algorithmE0ELj4294967295EEENS1_25partition_config_selectorILNS1_17partition_subalgoE3EjNS0_10empty_typeEbEEZZNS1_14partition_implILS8_3ELb0ES6_jNS0_17counting_iteratorIjlEEPS9_SE_NS0_5tupleIJPjSE_EEENSF_IJSE_SE_EEES9_SG_JZNS1_25segmented_radix_sort_implINS0_14default_configELb0EPKbPbPKlPlN2at6native12_GLOBAL__N_18offset_tEEE10hipError_tPvRmT1_PNSt15iterator_traitsISY_E10value_typeET2_T3_PNSZ_IS14_E10value_typeET4_jRbjT5_S1A_jjP12ihipStream_tbEUljE_EEESV_SW_SX_S14_S18_S1A_T6_T7_T9_mT8_S1C_bDpT10_ENKUlT_T0_E_clISt17integral_constantIbLb1EES1O_IbLb0EEEEDaS1K_S1L_EUlS1K_E_NS1_11comp_targetILNS1_3genE0ELNS1_11target_archE4294967295ELNS1_3gpuE0ELNS1_3repE0EEENS1_30default_config_static_selectorELNS0_4arch9wavefront6targetE1EEEvSY_.has_recursion, 0
	.set _ZN7rocprim17ROCPRIM_400000_NS6detail17trampoline_kernelINS0_13select_configILj256ELj13ELNS0_17block_load_methodE3ELS4_3ELS4_3ELNS0_20block_scan_algorithmE0ELj4294967295EEENS1_25partition_config_selectorILNS1_17partition_subalgoE3EjNS0_10empty_typeEbEEZZNS1_14partition_implILS8_3ELb0ES6_jNS0_17counting_iteratorIjlEEPS9_SE_NS0_5tupleIJPjSE_EEENSF_IJSE_SE_EEES9_SG_JZNS1_25segmented_radix_sort_implINS0_14default_configELb0EPKbPbPKlPlN2at6native12_GLOBAL__N_18offset_tEEE10hipError_tPvRmT1_PNSt15iterator_traitsISY_E10value_typeET2_T3_PNSZ_IS14_E10value_typeET4_jRbjT5_S1A_jjP12ihipStream_tbEUljE_EEESV_SW_SX_S14_S18_S1A_T6_T7_T9_mT8_S1C_bDpT10_ENKUlT_T0_E_clISt17integral_constantIbLb1EES1O_IbLb0EEEEDaS1K_S1L_EUlS1K_E_NS1_11comp_targetILNS1_3genE0ELNS1_11target_archE4294967295ELNS1_3gpuE0ELNS1_3repE0EEENS1_30default_config_static_selectorELNS0_4arch9wavefront6targetE1EEEvSY_.has_indirect_call, 0
	.section	.AMDGPU.csdata,"",@progbits
; Kernel info:
; codeLenInByte = 0
; TotalNumSgprs: 4
; NumVgprs: 0
; ScratchSize: 0
; MemoryBound: 0
; FloatMode: 240
; IeeeMode: 1
; LDSByteSize: 0 bytes/workgroup (compile time only)
; SGPRBlocks: 0
; VGPRBlocks: 0
; NumSGPRsForWavesPerEU: 4
; NumVGPRsForWavesPerEU: 1
; Occupancy: 10
; WaveLimiterHint : 0
; COMPUTE_PGM_RSRC2:SCRATCH_EN: 0
; COMPUTE_PGM_RSRC2:USER_SGPR: 6
; COMPUTE_PGM_RSRC2:TRAP_HANDLER: 0
; COMPUTE_PGM_RSRC2:TGID_X_EN: 1
; COMPUTE_PGM_RSRC2:TGID_Y_EN: 0
; COMPUTE_PGM_RSRC2:TGID_Z_EN: 0
; COMPUTE_PGM_RSRC2:TIDIG_COMP_CNT: 0
	.section	.text._ZN7rocprim17ROCPRIM_400000_NS6detail17trampoline_kernelINS0_13select_configILj256ELj13ELNS0_17block_load_methodE3ELS4_3ELS4_3ELNS0_20block_scan_algorithmE0ELj4294967295EEENS1_25partition_config_selectorILNS1_17partition_subalgoE3EjNS0_10empty_typeEbEEZZNS1_14partition_implILS8_3ELb0ES6_jNS0_17counting_iteratorIjlEEPS9_SE_NS0_5tupleIJPjSE_EEENSF_IJSE_SE_EEES9_SG_JZNS1_25segmented_radix_sort_implINS0_14default_configELb0EPKbPbPKlPlN2at6native12_GLOBAL__N_18offset_tEEE10hipError_tPvRmT1_PNSt15iterator_traitsISY_E10value_typeET2_T3_PNSZ_IS14_E10value_typeET4_jRbjT5_S1A_jjP12ihipStream_tbEUljE_EEESV_SW_SX_S14_S18_S1A_T6_T7_T9_mT8_S1C_bDpT10_ENKUlT_T0_E_clISt17integral_constantIbLb1EES1O_IbLb0EEEEDaS1K_S1L_EUlS1K_E_NS1_11comp_targetILNS1_3genE5ELNS1_11target_archE942ELNS1_3gpuE9ELNS1_3repE0EEENS1_30default_config_static_selectorELNS0_4arch9wavefront6targetE1EEEvSY_,"axG",@progbits,_ZN7rocprim17ROCPRIM_400000_NS6detail17trampoline_kernelINS0_13select_configILj256ELj13ELNS0_17block_load_methodE3ELS4_3ELS4_3ELNS0_20block_scan_algorithmE0ELj4294967295EEENS1_25partition_config_selectorILNS1_17partition_subalgoE3EjNS0_10empty_typeEbEEZZNS1_14partition_implILS8_3ELb0ES6_jNS0_17counting_iteratorIjlEEPS9_SE_NS0_5tupleIJPjSE_EEENSF_IJSE_SE_EEES9_SG_JZNS1_25segmented_radix_sort_implINS0_14default_configELb0EPKbPbPKlPlN2at6native12_GLOBAL__N_18offset_tEEE10hipError_tPvRmT1_PNSt15iterator_traitsISY_E10value_typeET2_T3_PNSZ_IS14_E10value_typeET4_jRbjT5_S1A_jjP12ihipStream_tbEUljE_EEESV_SW_SX_S14_S18_S1A_T6_T7_T9_mT8_S1C_bDpT10_ENKUlT_T0_E_clISt17integral_constantIbLb1EES1O_IbLb0EEEEDaS1K_S1L_EUlS1K_E_NS1_11comp_targetILNS1_3genE5ELNS1_11target_archE942ELNS1_3gpuE9ELNS1_3repE0EEENS1_30default_config_static_selectorELNS0_4arch9wavefront6targetE1EEEvSY_,comdat
	.globl	_ZN7rocprim17ROCPRIM_400000_NS6detail17trampoline_kernelINS0_13select_configILj256ELj13ELNS0_17block_load_methodE3ELS4_3ELS4_3ELNS0_20block_scan_algorithmE0ELj4294967295EEENS1_25partition_config_selectorILNS1_17partition_subalgoE3EjNS0_10empty_typeEbEEZZNS1_14partition_implILS8_3ELb0ES6_jNS0_17counting_iteratorIjlEEPS9_SE_NS0_5tupleIJPjSE_EEENSF_IJSE_SE_EEES9_SG_JZNS1_25segmented_radix_sort_implINS0_14default_configELb0EPKbPbPKlPlN2at6native12_GLOBAL__N_18offset_tEEE10hipError_tPvRmT1_PNSt15iterator_traitsISY_E10value_typeET2_T3_PNSZ_IS14_E10value_typeET4_jRbjT5_S1A_jjP12ihipStream_tbEUljE_EEESV_SW_SX_S14_S18_S1A_T6_T7_T9_mT8_S1C_bDpT10_ENKUlT_T0_E_clISt17integral_constantIbLb1EES1O_IbLb0EEEEDaS1K_S1L_EUlS1K_E_NS1_11comp_targetILNS1_3genE5ELNS1_11target_archE942ELNS1_3gpuE9ELNS1_3repE0EEENS1_30default_config_static_selectorELNS0_4arch9wavefront6targetE1EEEvSY_ ; -- Begin function _ZN7rocprim17ROCPRIM_400000_NS6detail17trampoline_kernelINS0_13select_configILj256ELj13ELNS0_17block_load_methodE3ELS4_3ELS4_3ELNS0_20block_scan_algorithmE0ELj4294967295EEENS1_25partition_config_selectorILNS1_17partition_subalgoE3EjNS0_10empty_typeEbEEZZNS1_14partition_implILS8_3ELb0ES6_jNS0_17counting_iteratorIjlEEPS9_SE_NS0_5tupleIJPjSE_EEENSF_IJSE_SE_EEES9_SG_JZNS1_25segmented_radix_sort_implINS0_14default_configELb0EPKbPbPKlPlN2at6native12_GLOBAL__N_18offset_tEEE10hipError_tPvRmT1_PNSt15iterator_traitsISY_E10value_typeET2_T3_PNSZ_IS14_E10value_typeET4_jRbjT5_S1A_jjP12ihipStream_tbEUljE_EEESV_SW_SX_S14_S18_S1A_T6_T7_T9_mT8_S1C_bDpT10_ENKUlT_T0_E_clISt17integral_constantIbLb1EES1O_IbLb0EEEEDaS1K_S1L_EUlS1K_E_NS1_11comp_targetILNS1_3genE5ELNS1_11target_archE942ELNS1_3gpuE9ELNS1_3repE0EEENS1_30default_config_static_selectorELNS0_4arch9wavefront6targetE1EEEvSY_
	.p2align	8
	.type	_ZN7rocprim17ROCPRIM_400000_NS6detail17trampoline_kernelINS0_13select_configILj256ELj13ELNS0_17block_load_methodE3ELS4_3ELS4_3ELNS0_20block_scan_algorithmE0ELj4294967295EEENS1_25partition_config_selectorILNS1_17partition_subalgoE3EjNS0_10empty_typeEbEEZZNS1_14partition_implILS8_3ELb0ES6_jNS0_17counting_iteratorIjlEEPS9_SE_NS0_5tupleIJPjSE_EEENSF_IJSE_SE_EEES9_SG_JZNS1_25segmented_radix_sort_implINS0_14default_configELb0EPKbPbPKlPlN2at6native12_GLOBAL__N_18offset_tEEE10hipError_tPvRmT1_PNSt15iterator_traitsISY_E10value_typeET2_T3_PNSZ_IS14_E10value_typeET4_jRbjT5_S1A_jjP12ihipStream_tbEUljE_EEESV_SW_SX_S14_S18_S1A_T6_T7_T9_mT8_S1C_bDpT10_ENKUlT_T0_E_clISt17integral_constantIbLb1EES1O_IbLb0EEEEDaS1K_S1L_EUlS1K_E_NS1_11comp_targetILNS1_3genE5ELNS1_11target_archE942ELNS1_3gpuE9ELNS1_3repE0EEENS1_30default_config_static_selectorELNS0_4arch9wavefront6targetE1EEEvSY_,@function
_ZN7rocprim17ROCPRIM_400000_NS6detail17trampoline_kernelINS0_13select_configILj256ELj13ELNS0_17block_load_methodE3ELS4_3ELS4_3ELNS0_20block_scan_algorithmE0ELj4294967295EEENS1_25partition_config_selectorILNS1_17partition_subalgoE3EjNS0_10empty_typeEbEEZZNS1_14partition_implILS8_3ELb0ES6_jNS0_17counting_iteratorIjlEEPS9_SE_NS0_5tupleIJPjSE_EEENSF_IJSE_SE_EEES9_SG_JZNS1_25segmented_radix_sort_implINS0_14default_configELb0EPKbPbPKlPlN2at6native12_GLOBAL__N_18offset_tEEE10hipError_tPvRmT1_PNSt15iterator_traitsISY_E10value_typeET2_T3_PNSZ_IS14_E10value_typeET4_jRbjT5_S1A_jjP12ihipStream_tbEUljE_EEESV_SW_SX_S14_S18_S1A_T6_T7_T9_mT8_S1C_bDpT10_ENKUlT_T0_E_clISt17integral_constantIbLb1EES1O_IbLb0EEEEDaS1K_S1L_EUlS1K_E_NS1_11comp_targetILNS1_3genE5ELNS1_11target_archE942ELNS1_3gpuE9ELNS1_3repE0EEENS1_30default_config_static_selectorELNS0_4arch9wavefront6targetE1EEEvSY_: ; @_ZN7rocprim17ROCPRIM_400000_NS6detail17trampoline_kernelINS0_13select_configILj256ELj13ELNS0_17block_load_methodE3ELS4_3ELS4_3ELNS0_20block_scan_algorithmE0ELj4294967295EEENS1_25partition_config_selectorILNS1_17partition_subalgoE3EjNS0_10empty_typeEbEEZZNS1_14partition_implILS8_3ELb0ES6_jNS0_17counting_iteratorIjlEEPS9_SE_NS0_5tupleIJPjSE_EEENSF_IJSE_SE_EEES9_SG_JZNS1_25segmented_radix_sort_implINS0_14default_configELb0EPKbPbPKlPlN2at6native12_GLOBAL__N_18offset_tEEE10hipError_tPvRmT1_PNSt15iterator_traitsISY_E10value_typeET2_T3_PNSZ_IS14_E10value_typeET4_jRbjT5_S1A_jjP12ihipStream_tbEUljE_EEESV_SW_SX_S14_S18_S1A_T6_T7_T9_mT8_S1C_bDpT10_ENKUlT_T0_E_clISt17integral_constantIbLb1EES1O_IbLb0EEEEDaS1K_S1L_EUlS1K_E_NS1_11comp_targetILNS1_3genE5ELNS1_11target_archE942ELNS1_3gpuE9ELNS1_3repE0EEENS1_30default_config_static_selectorELNS0_4arch9wavefront6targetE1EEEvSY_
; %bb.0:
	.section	.rodata,"a",@progbits
	.p2align	6, 0x0
	.amdhsa_kernel _ZN7rocprim17ROCPRIM_400000_NS6detail17trampoline_kernelINS0_13select_configILj256ELj13ELNS0_17block_load_methodE3ELS4_3ELS4_3ELNS0_20block_scan_algorithmE0ELj4294967295EEENS1_25partition_config_selectorILNS1_17partition_subalgoE3EjNS0_10empty_typeEbEEZZNS1_14partition_implILS8_3ELb0ES6_jNS0_17counting_iteratorIjlEEPS9_SE_NS0_5tupleIJPjSE_EEENSF_IJSE_SE_EEES9_SG_JZNS1_25segmented_radix_sort_implINS0_14default_configELb0EPKbPbPKlPlN2at6native12_GLOBAL__N_18offset_tEEE10hipError_tPvRmT1_PNSt15iterator_traitsISY_E10value_typeET2_T3_PNSZ_IS14_E10value_typeET4_jRbjT5_S1A_jjP12ihipStream_tbEUljE_EEESV_SW_SX_S14_S18_S1A_T6_T7_T9_mT8_S1C_bDpT10_ENKUlT_T0_E_clISt17integral_constantIbLb1EES1O_IbLb0EEEEDaS1K_S1L_EUlS1K_E_NS1_11comp_targetILNS1_3genE5ELNS1_11target_archE942ELNS1_3gpuE9ELNS1_3repE0EEENS1_30default_config_static_selectorELNS0_4arch9wavefront6targetE1EEEvSY_
		.amdhsa_group_segment_fixed_size 0
		.amdhsa_private_segment_fixed_size 0
		.amdhsa_kernarg_size 144
		.amdhsa_user_sgpr_count 6
		.amdhsa_user_sgpr_private_segment_buffer 1
		.amdhsa_user_sgpr_dispatch_ptr 0
		.amdhsa_user_sgpr_queue_ptr 0
		.amdhsa_user_sgpr_kernarg_segment_ptr 1
		.amdhsa_user_sgpr_dispatch_id 0
		.amdhsa_user_sgpr_flat_scratch_init 0
		.amdhsa_user_sgpr_private_segment_size 0
		.amdhsa_uses_dynamic_stack 0
		.amdhsa_system_sgpr_private_segment_wavefront_offset 0
		.amdhsa_system_sgpr_workgroup_id_x 1
		.amdhsa_system_sgpr_workgroup_id_y 0
		.amdhsa_system_sgpr_workgroup_id_z 0
		.amdhsa_system_sgpr_workgroup_info 0
		.amdhsa_system_vgpr_workitem_id 0
		.amdhsa_next_free_vgpr 1
		.amdhsa_next_free_sgpr 0
		.amdhsa_reserve_vcc 0
		.amdhsa_reserve_flat_scratch 0
		.amdhsa_float_round_mode_32 0
		.amdhsa_float_round_mode_16_64 0
		.amdhsa_float_denorm_mode_32 3
		.amdhsa_float_denorm_mode_16_64 3
		.amdhsa_dx10_clamp 1
		.amdhsa_ieee_mode 1
		.amdhsa_fp16_overflow 0
		.amdhsa_exception_fp_ieee_invalid_op 0
		.amdhsa_exception_fp_denorm_src 0
		.amdhsa_exception_fp_ieee_div_zero 0
		.amdhsa_exception_fp_ieee_overflow 0
		.amdhsa_exception_fp_ieee_underflow 0
		.amdhsa_exception_fp_ieee_inexact 0
		.amdhsa_exception_int_div_zero 0
	.end_amdhsa_kernel
	.section	.text._ZN7rocprim17ROCPRIM_400000_NS6detail17trampoline_kernelINS0_13select_configILj256ELj13ELNS0_17block_load_methodE3ELS4_3ELS4_3ELNS0_20block_scan_algorithmE0ELj4294967295EEENS1_25partition_config_selectorILNS1_17partition_subalgoE3EjNS0_10empty_typeEbEEZZNS1_14partition_implILS8_3ELb0ES6_jNS0_17counting_iteratorIjlEEPS9_SE_NS0_5tupleIJPjSE_EEENSF_IJSE_SE_EEES9_SG_JZNS1_25segmented_radix_sort_implINS0_14default_configELb0EPKbPbPKlPlN2at6native12_GLOBAL__N_18offset_tEEE10hipError_tPvRmT1_PNSt15iterator_traitsISY_E10value_typeET2_T3_PNSZ_IS14_E10value_typeET4_jRbjT5_S1A_jjP12ihipStream_tbEUljE_EEESV_SW_SX_S14_S18_S1A_T6_T7_T9_mT8_S1C_bDpT10_ENKUlT_T0_E_clISt17integral_constantIbLb1EES1O_IbLb0EEEEDaS1K_S1L_EUlS1K_E_NS1_11comp_targetILNS1_3genE5ELNS1_11target_archE942ELNS1_3gpuE9ELNS1_3repE0EEENS1_30default_config_static_selectorELNS0_4arch9wavefront6targetE1EEEvSY_,"axG",@progbits,_ZN7rocprim17ROCPRIM_400000_NS6detail17trampoline_kernelINS0_13select_configILj256ELj13ELNS0_17block_load_methodE3ELS4_3ELS4_3ELNS0_20block_scan_algorithmE0ELj4294967295EEENS1_25partition_config_selectorILNS1_17partition_subalgoE3EjNS0_10empty_typeEbEEZZNS1_14partition_implILS8_3ELb0ES6_jNS0_17counting_iteratorIjlEEPS9_SE_NS0_5tupleIJPjSE_EEENSF_IJSE_SE_EEES9_SG_JZNS1_25segmented_radix_sort_implINS0_14default_configELb0EPKbPbPKlPlN2at6native12_GLOBAL__N_18offset_tEEE10hipError_tPvRmT1_PNSt15iterator_traitsISY_E10value_typeET2_T3_PNSZ_IS14_E10value_typeET4_jRbjT5_S1A_jjP12ihipStream_tbEUljE_EEESV_SW_SX_S14_S18_S1A_T6_T7_T9_mT8_S1C_bDpT10_ENKUlT_T0_E_clISt17integral_constantIbLb1EES1O_IbLb0EEEEDaS1K_S1L_EUlS1K_E_NS1_11comp_targetILNS1_3genE5ELNS1_11target_archE942ELNS1_3gpuE9ELNS1_3repE0EEENS1_30default_config_static_selectorELNS0_4arch9wavefront6targetE1EEEvSY_,comdat
.Lfunc_end1620:
	.size	_ZN7rocprim17ROCPRIM_400000_NS6detail17trampoline_kernelINS0_13select_configILj256ELj13ELNS0_17block_load_methodE3ELS4_3ELS4_3ELNS0_20block_scan_algorithmE0ELj4294967295EEENS1_25partition_config_selectorILNS1_17partition_subalgoE3EjNS0_10empty_typeEbEEZZNS1_14partition_implILS8_3ELb0ES6_jNS0_17counting_iteratorIjlEEPS9_SE_NS0_5tupleIJPjSE_EEENSF_IJSE_SE_EEES9_SG_JZNS1_25segmented_radix_sort_implINS0_14default_configELb0EPKbPbPKlPlN2at6native12_GLOBAL__N_18offset_tEEE10hipError_tPvRmT1_PNSt15iterator_traitsISY_E10value_typeET2_T3_PNSZ_IS14_E10value_typeET4_jRbjT5_S1A_jjP12ihipStream_tbEUljE_EEESV_SW_SX_S14_S18_S1A_T6_T7_T9_mT8_S1C_bDpT10_ENKUlT_T0_E_clISt17integral_constantIbLb1EES1O_IbLb0EEEEDaS1K_S1L_EUlS1K_E_NS1_11comp_targetILNS1_3genE5ELNS1_11target_archE942ELNS1_3gpuE9ELNS1_3repE0EEENS1_30default_config_static_selectorELNS0_4arch9wavefront6targetE1EEEvSY_, .Lfunc_end1620-_ZN7rocprim17ROCPRIM_400000_NS6detail17trampoline_kernelINS0_13select_configILj256ELj13ELNS0_17block_load_methodE3ELS4_3ELS4_3ELNS0_20block_scan_algorithmE0ELj4294967295EEENS1_25partition_config_selectorILNS1_17partition_subalgoE3EjNS0_10empty_typeEbEEZZNS1_14partition_implILS8_3ELb0ES6_jNS0_17counting_iteratorIjlEEPS9_SE_NS0_5tupleIJPjSE_EEENSF_IJSE_SE_EEES9_SG_JZNS1_25segmented_radix_sort_implINS0_14default_configELb0EPKbPbPKlPlN2at6native12_GLOBAL__N_18offset_tEEE10hipError_tPvRmT1_PNSt15iterator_traitsISY_E10value_typeET2_T3_PNSZ_IS14_E10value_typeET4_jRbjT5_S1A_jjP12ihipStream_tbEUljE_EEESV_SW_SX_S14_S18_S1A_T6_T7_T9_mT8_S1C_bDpT10_ENKUlT_T0_E_clISt17integral_constantIbLb1EES1O_IbLb0EEEEDaS1K_S1L_EUlS1K_E_NS1_11comp_targetILNS1_3genE5ELNS1_11target_archE942ELNS1_3gpuE9ELNS1_3repE0EEENS1_30default_config_static_selectorELNS0_4arch9wavefront6targetE1EEEvSY_
                                        ; -- End function
	.set _ZN7rocprim17ROCPRIM_400000_NS6detail17trampoline_kernelINS0_13select_configILj256ELj13ELNS0_17block_load_methodE3ELS4_3ELS4_3ELNS0_20block_scan_algorithmE0ELj4294967295EEENS1_25partition_config_selectorILNS1_17partition_subalgoE3EjNS0_10empty_typeEbEEZZNS1_14partition_implILS8_3ELb0ES6_jNS0_17counting_iteratorIjlEEPS9_SE_NS0_5tupleIJPjSE_EEENSF_IJSE_SE_EEES9_SG_JZNS1_25segmented_radix_sort_implINS0_14default_configELb0EPKbPbPKlPlN2at6native12_GLOBAL__N_18offset_tEEE10hipError_tPvRmT1_PNSt15iterator_traitsISY_E10value_typeET2_T3_PNSZ_IS14_E10value_typeET4_jRbjT5_S1A_jjP12ihipStream_tbEUljE_EEESV_SW_SX_S14_S18_S1A_T6_T7_T9_mT8_S1C_bDpT10_ENKUlT_T0_E_clISt17integral_constantIbLb1EES1O_IbLb0EEEEDaS1K_S1L_EUlS1K_E_NS1_11comp_targetILNS1_3genE5ELNS1_11target_archE942ELNS1_3gpuE9ELNS1_3repE0EEENS1_30default_config_static_selectorELNS0_4arch9wavefront6targetE1EEEvSY_.num_vgpr, 0
	.set _ZN7rocprim17ROCPRIM_400000_NS6detail17trampoline_kernelINS0_13select_configILj256ELj13ELNS0_17block_load_methodE3ELS4_3ELS4_3ELNS0_20block_scan_algorithmE0ELj4294967295EEENS1_25partition_config_selectorILNS1_17partition_subalgoE3EjNS0_10empty_typeEbEEZZNS1_14partition_implILS8_3ELb0ES6_jNS0_17counting_iteratorIjlEEPS9_SE_NS0_5tupleIJPjSE_EEENSF_IJSE_SE_EEES9_SG_JZNS1_25segmented_radix_sort_implINS0_14default_configELb0EPKbPbPKlPlN2at6native12_GLOBAL__N_18offset_tEEE10hipError_tPvRmT1_PNSt15iterator_traitsISY_E10value_typeET2_T3_PNSZ_IS14_E10value_typeET4_jRbjT5_S1A_jjP12ihipStream_tbEUljE_EEESV_SW_SX_S14_S18_S1A_T6_T7_T9_mT8_S1C_bDpT10_ENKUlT_T0_E_clISt17integral_constantIbLb1EES1O_IbLb0EEEEDaS1K_S1L_EUlS1K_E_NS1_11comp_targetILNS1_3genE5ELNS1_11target_archE942ELNS1_3gpuE9ELNS1_3repE0EEENS1_30default_config_static_selectorELNS0_4arch9wavefront6targetE1EEEvSY_.num_agpr, 0
	.set _ZN7rocprim17ROCPRIM_400000_NS6detail17trampoline_kernelINS0_13select_configILj256ELj13ELNS0_17block_load_methodE3ELS4_3ELS4_3ELNS0_20block_scan_algorithmE0ELj4294967295EEENS1_25partition_config_selectorILNS1_17partition_subalgoE3EjNS0_10empty_typeEbEEZZNS1_14partition_implILS8_3ELb0ES6_jNS0_17counting_iteratorIjlEEPS9_SE_NS0_5tupleIJPjSE_EEENSF_IJSE_SE_EEES9_SG_JZNS1_25segmented_radix_sort_implINS0_14default_configELb0EPKbPbPKlPlN2at6native12_GLOBAL__N_18offset_tEEE10hipError_tPvRmT1_PNSt15iterator_traitsISY_E10value_typeET2_T3_PNSZ_IS14_E10value_typeET4_jRbjT5_S1A_jjP12ihipStream_tbEUljE_EEESV_SW_SX_S14_S18_S1A_T6_T7_T9_mT8_S1C_bDpT10_ENKUlT_T0_E_clISt17integral_constantIbLb1EES1O_IbLb0EEEEDaS1K_S1L_EUlS1K_E_NS1_11comp_targetILNS1_3genE5ELNS1_11target_archE942ELNS1_3gpuE9ELNS1_3repE0EEENS1_30default_config_static_selectorELNS0_4arch9wavefront6targetE1EEEvSY_.numbered_sgpr, 0
	.set _ZN7rocprim17ROCPRIM_400000_NS6detail17trampoline_kernelINS0_13select_configILj256ELj13ELNS0_17block_load_methodE3ELS4_3ELS4_3ELNS0_20block_scan_algorithmE0ELj4294967295EEENS1_25partition_config_selectorILNS1_17partition_subalgoE3EjNS0_10empty_typeEbEEZZNS1_14partition_implILS8_3ELb0ES6_jNS0_17counting_iteratorIjlEEPS9_SE_NS0_5tupleIJPjSE_EEENSF_IJSE_SE_EEES9_SG_JZNS1_25segmented_radix_sort_implINS0_14default_configELb0EPKbPbPKlPlN2at6native12_GLOBAL__N_18offset_tEEE10hipError_tPvRmT1_PNSt15iterator_traitsISY_E10value_typeET2_T3_PNSZ_IS14_E10value_typeET4_jRbjT5_S1A_jjP12ihipStream_tbEUljE_EEESV_SW_SX_S14_S18_S1A_T6_T7_T9_mT8_S1C_bDpT10_ENKUlT_T0_E_clISt17integral_constantIbLb1EES1O_IbLb0EEEEDaS1K_S1L_EUlS1K_E_NS1_11comp_targetILNS1_3genE5ELNS1_11target_archE942ELNS1_3gpuE9ELNS1_3repE0EEENS1_30default_config_static_selectorELNS0_4arch9wavefront6targetE1EEEvSY_.num_named_barrier, 0
	.set _ZN7rocprim17ROCPRIM_400000_NS6detail17trampoline_kernelINS0_13select_configILj256ELj13ELNS0_17block_load_methodE3ELS4_3ELS4_3ELNS0_20block_scan_algorithmE0ELj4294967295EEENS1_25partition_config_selectorILNS1_17partition_subalgoE3EjNS0_10empty_typeEbEEZZNS1_14partition_implILS8_3ELb0ES6_jNS0_17counting_iteratorIjlEEPS9_SE_NS0_5tupleIJPjSE_EEENSF_IJSE_SE_EEES9_SG_JZNS1_25segmented_radix_sort_implINS0_14default_configELb0EPKbPbPKlPlN2at6native12_GLOBAL__N_18offset_tEEE10hipError_tPvRmT1_PNSt15iterator_traitsISY_E10value_typeET2_T3_PNSZ_IS14_E10value_typeET4_jRbjT5_S1A_jjP12ihipStream_tbEUljE_EEESV_SW_SX_S14_S18_S1A_T6_T7_T9_mT8_S1C_bDpT10_ENKUlT_T0_E_clISt17integral_constantIbLb1EES1O_IbLb0EEEEDaS1K_S1L_EUlS1K_E_NS1_11comp_targetILNS1_3genE5ELNS1_11target_archE942ELNS1_3gpuE9ELNS1_3repE0EEENS1_30default_config_static_selectorELNS0_4arch9wavefront6targetE1EEEvSY_.private_seg_size, 0
	.set _ZN7rocprim17ROCPRIM_400000_NS6detail17trampoline_kernelINS0_13select_configILj256ELj13ELNS0_17block_load_methodE3ELS4_3ELS4_3ELNS0_20block_scan_algorithmE0ELj4294967295EEENS1_25partition_config_selectorILNS1_17partition_subalgoE3EjNS0_10empty_typeEbEEZZNS1_14partition_implILS8_3ELb0ES6_jNS0_17counting_iteratorIjlEEPS9_SE_NS0_5tupleIJPjSE_EEENSF_IJSE_SE_EEES9_SG_JZNS1_25segmented_radix_sort_implINS0_14default_configELb0EPKbPbPKlPlN2at6native12_GLOBAL__N_18offset_tEEE10hipError_tPvRmT1_PNSt15iterator_traitsISY_E10value_typeET2_T3_PNSZ_IS14_E10value_typeET4_jRbjT5_S1A_jjP12ihipStream_tbEUljE_EEESV_SW_SX_S14_S18_S1A_T6_T7_T9_mT8_S1C_bDpT10_ENKUlT_T0_E_clISt17integral_constantIbLb1EES1O_IbLb0EEEEDaS1K_S1L_EUlS1K_E_NS1_11comp_targetILNS1_3genE5ELNS1_11target_archE942ELNS1_3gpuE9ELNS1_3repE0EEENS1_30default_config_static_selectorELNS0_4arch9wavefront6targetE1EEEvSY_.uses_vcc, 0
	.set _ZN7rocprim17ROCPRIM_400000_NS6detail17trampoline_kernelINS0_13select_configILj256ELj13ELNS0_17block_load_methodE3ELS4_3ELS4_3ELNS0_20block_scan_algorithmE0ELj4294967295EEENS1_25partition_config_selectorILNS1_17partition_subalgoE3EjNS0_10empty_typeEbEEZZNS1_14partition_implILS8_3ELb0ES6_jNS0_17counting_iteratorIjlEEPS9_SE_NS0_5tupleIJPjSE_EEENSF_IJSE_SE_EEES9_SG_JZNS1_25segmented_radix_sort_implINS0_14default_configELb0EPKbPbPKlPlN2at6native12_GLOBAL__N_18offset_tEEE10hipError_tPvRmT1_PNSt15iterator_traitsISY_E10value_typeET2_T3_PNSZ_IS14_E10value_typeET4_jRbjT5_S1A_jjP12ihipStream_tbEUljE_EEESV_SW_SX_S14_S18_S1A_T6_T7_T9_mT8_S1C_bDpT10_ENKUlT_T0_E_clISt17integral_constantIbLb1EES1O_IbLb0EEEEDaS1K_S1L_EUlS1K_E_NS1_11comp_targetILNS1_3genE5ELNS1_11target_archE942ELNS1_3gpuE9ELNS1_3repE0EEENS1_30default_config_static_selectorELNS0_4arch9wavefront6targetE1EEEvSY_.uses_flat_scratch, 0
	.set _ZN7rocprim17ROCPRIM_400000_NS6detail17trampoline_kernelINS0_13select_configILj256ELj13ELNS0_17block_load_methodE3ELS4_3ELS4_3ELNS0_20block_scan_algorithmE0ELj4294967295EEENS1_25partition_config_selectorILNS1_17partition_subalgoE3EjNS0_10empty_typeEbEEZZNS1_14partition_implILS8_3ELb0ES6_jNS0_17counting_iteratorIjlEEPS9_SE_NS0_5tupleIJPjSE_EEENSF_IJSE_SE_EEES9_SG_JZNS1_25segmented_radix_sort_implINS0_14default_configELb0EPKbPbPKlPlN2at6native12_GLOBAL__N_18offset_tEEE10hipError_tPvRmT1_PNSt15iterator_traitsISY_E10value_typeET2_T3_PNSZ_IS14_E10value_typeET4_jRbjT5_S1A_jjP12ihipStream_tbEUljE_EEESV_SW_SX_S14_S18_S1A_T6_T7_T9_mT8_S1C_bDpT10_ENKUlT_T0_E_clISt17integral_constantIbLb1EES1O_IbLb0EEEEDaS1K_S1L_EUlS1K_E_NS1_11comp_targetILNS1_3genE5ELNS1_11target_archE942ELNS1_3gpuE9ELNS1_3repE0EEENS1_30default_config_static_selectorELNS0_4arch9wavefront6targetE1EEEvSY_.has_dyn_sized_stack, 0
	.set _ZN7rocprim17ROCPRIM_400000_NS6detail17trampoline_kernelINS0_13select_configILj256ELj13ELNS0_17block_load_methodE3ELS4_3ELS4_3ELNS0_20block_scan_algorithmE0ELj4294967295EEENS1_25partition_config_selectorILNS1_17partition_subalgoE3EjNS0_10empty_typeEbEEZZNS1_14partition_implILS8_3ELb0ES6_jNS0_17counting_iteratorIjlEEPS9_SE_NS0_5tupleIJPjSE_EEENSF_IJSE_SE_EEES9_SG_JZNS1_25segmented_radix_sort_implINS0_14default_configELb0EPKbPbPKlPlN2at6native12_GLOBAL__N_18offset_tEEE10hipError_tPvRmT1_PNSt15iterator_traitsISY_E10value_typeET2_T3_PNSZ_IS14_E10value_typeET4_jRbjT5_S1A_jjP12ihipStream_tbEUljE_EEESV_SW_SX_S14_S18_S1A_T6_T7_T9_mT8_S1C_bDpT10_ENKUlT_T0_E_clISt17integral_constantIbLb1EES1O_IbLb0EEEEDaS1K_S1L_EUlS1K_E_NS1_11comp_targetILNS1_3genE5ELNS1_11target_archE942ELNS1_3gpuE9ELNS1_3repE0EEENS1_30default_config_static_selectorELNS0_4arch9wavefront6targetE1EEEvSY_.has_recursion, 0
	.set _ZN7rocprim17ROCPRIM_400000_NS6detail17trampoline_kernelINS0_13select_configILj256ELj13ELNS0_17block_load_methodE3ELS4_3ELS4_3ELNS0_20block_scan_algorithmE0ELj4294967295EEENS1_25partition_config_selectorILNS1_17partition_subalgoE3EjNS0_10empty_typeEbEEZZNS1_14partition_implILS8_3ELb0ES6_jNS0_17counting_iteratorIjlEEPS9_SE_NS0_5tupleIJPjSE_EEENSF_IJSE_SE_EEES9_SG_JZNS1_25segmented_radix_sort_implINS0_14default_configELb0EPKbPbPKlPlN2at6native12_GLOBAL__N_18offset_tEEE10hipError_tPvRmT1_PNSt15iterator_traitsISY_E10value_typeET2_T3_PNSZ_IS14_E10value_typeET4_jRbjT5_S1A_jjP12ihipStream_tbEUljE_EEESV_SW_SX_S14_S18_S1A_T6_T7_T9_mT8_S1C_bDpT10_ENKUlT_T0_E_clISt17integral_constantIbLb1EES1O_IbLb0EEEEDaS1K_S1L_EUlS1K_E_NS1_11comp_targetILNS1_3genE5ELNS1_11target_archE942ELNS1_3gpuE9ELNS1_3repE0EEENS1_30default_config_static_selectorELNS0_4arch9wavefront6targetE1EEEvSY_.has_indirect_call, 0
	.section	.AMDGPU.csdata,"",@progbits
; Kernel info:
; codeLenInByte = 0
; TotalNumSgprs: 4
; NumVgprs: 0
; ScratchSize: 0
; MemoryBound: 0
; FloatMode: 240
; IeeeMode: 1
; LDSByteSize: 0 bytes/workgroup (compile time only)
; SGPRBlocks: 0
; VGPRBlocks: 0
; NumSGPRsForWavesPerEU: 4
; NumVGPRsForWavesPerEU: 1
; Occupancy: 10
; WaveLimiterHint : 0
; COMPUTE_PGM_RSRC2:SCRATCH_EN: 0
; COMPUTE_PGM_RSRC2:USER_SGPR: 6
; COMPUTE_PGM_RSRC2:TRAP_HANDLER: 0
; COMPUTE_PGM_RSRC2:TGID_X_EN: 1
; COMPUTE_PGM_RSRC2:TGID_Y_EN: 0
; COMPUTE_PGM_RSRC2:TGID_Z_EN: 0
; COMPUTE_PGM_RSRC2:TIDIG_COMP_CNT: 0
	.section	.text._ZN7rocprim17ROCPRIM_400000_NS6detail17trampoline_kernelINS0_13select_configILj256ELj13ELNS0_17block_load_methodE3ELS4_3ELS4_3ELNS0_20block_scan_algorithmE0ELj4294967295EEENS1_25partition_config_selectorILNS1_17partition_subalgoE3EjNS0_10empty_typeEbEEZZNS1_14partition_implILS8_3ELb0ES6_jNS0_17counting_iteratorIjlEEPS9_SE_NS0_5tupleIJPjSE_EEENSF_IJSE_SE_EEES9_SG_JZNS1_25segmented_radix_sort_implINS0_14default_configELb0EPKbPbPKlPlN2at6native12_GLOBAL__N_18offset_tEEE10hipError_tPvRmT1_PNSt15iterator_traitsISY_E10value_typeET2_T3_PNSZ_IS14_E10value_typeET4_jRbjT5_S1A_jjP12ihipStream_tbEUljE_EEESV_SW_SX_S14_S18_S1A_T6_T7_T9_mT8_S1C_bDpT10_ENKUlT_T0_E_clISt17integral_constantIbLb1EES1O_IbLb0EEEEDaS1K_S1L_EUlS1K_E_NS1_11comp_targetILNS1_3genE4ELNS1_11target_archE910ELNS1_3gpuE8ELNS1_3repE0EEENS1_30default_config_static_selectorELNS0_4arch9wavefront6targetE1EEEvSY_,"axG",@progbits,_ZN7rocprim17ROCPRIM_400000_NS6detail17trampoline_kernelINS0_13select_configILj256ELj13ELNS0_17block_load_methodE3ELS4_3ELS4_3ELNS0_20block_scan_algorithmE0ELj4294967295EEENS1_25partition_config_selectorILNS1_17partition_subalgoE3EjNS0_10empty_typeEbEEZZNS1_14partition_implILS8_3ELb0ES6_jNS0_17counting_iteratorIjlEEPS9_SE_NS0_5tupleIJPjSE_EEENSF_IJSE_SE_EEES9_SG_JZNS1_25segmented_radix_sort_implINS0_14default_configELb0EPKbPbPKlPlN2at6native12_GLOBAL__N_18offset_tEEE10hipError_tPvRmT1_PNSt15iterator_traitsISY_E10value_typeET2_T3_PNSZ_IS14_E10value_typeET4_jRbjT5_S1A_jjP12ihipStream_tbEUljE_EEESV_SW_SX_S14_S18_S1A_T6_T7_T9_mT8_S1C_bDpT10_ENKUlT_T0_E_clISt17integral_constantIbLb1EES1O_IbLb0EEEEDaS1K_S1L_EUlS1K_E_NS1_11comp_targetILNS1_3genE4ELNS1_11target_archE910ELNS1_3gpuE8ELNS1_3repE0EEENS1_30default_config_static_selectorELNS0_4arch9wavefront6targetE1EEEvSY_,comdat
	.globl	_ZN7rocprim17ROCPRIM_400000_NS6detail17trampoline_kernelINS0_13select_configILj256ELj13ELNS0_17block_load_methodE3ELS4_3ELS4_3ELNS0_20block_scan_algorithmE0ELj4294967295EEENS1_25partition_config_selectorILNS1_17partition_subalgoE3EjNS0_10empty_typeEbEEZZNS1_14partition_implILS8_3ELb0ES6_jNS0_17counting_iteratorIjlEEPS9_SE_NS0_5tupleIJPjSE_EEENSF_IJSE_SE_EEES9_SG_JZNS1_25segmented_radix_sort_implINS0_14default_configELb0EPKbPbPKlPlN2at6native12_GLOBAL__N_18offset_tEEE10hipError_tPvRmT1_PNSt15iterator_traitsISY_E10value_typeET2_T3_PNSZ_IS14_E10value_typeET4_jRbjT5_S1A_jjP12ihipStream_tbEUljE_EEESV_SW_SX_S14_S18_S1A_T6_T7_T9_mT8_S1C_bDpT10_ENKUlT_T0_E_clISt17integral_constantIbLb1EES1O_IbLb0EEEEDaS1K_S1L_EUlS1K_E_NS1_11comp_targetILNS1_3genE4ELNS1_11target_archE910ELNS1_3gpuE8ELNS1_3repE0EEENS1_30default_config_static_selectorELNS0_4arch9wavefront6targetE1EEEvSY_ ; -- Begin function _ZN7rocprim17ROCPRIM_400000_NS6detail17trampoline_kernelINS0_13select_configILj256ELj13ELNS0_17block_load_methodE3ELS4_3ELS4_3ELNS0_20block_scan_algorithmE0ELj4294967295EEENS1_25partition_config_selectorILNS1_17partition_subalgoE3EjNS0_10empty_typeEbEEZZNS1_14partition_implILS8_3ELb0ES6_jNS0_17counting_iteratorIjlEEPS9_SE_NS0_5tupleIJPjSE_EEENSF_IJSE_SE_EEES9_SG_JZNS1_25segmented_radix_sort_implINS0_14default_configELb0EPKbPbPKlPlN2at6native12_GLOBAL__N_18offset_tEEE10hipError_tPvRmT1_PNSt15iterator_traitsISY_E10value_typeET2_T3_PNSZ_IS14_E10value_typeET4_jRbjT5_S1A_jjP12ihipStream_tbEUljE_EEESV_SW_SX_S14_S18_S1A_T6_T7_T9_mT8_S1C_bDpT10_ENKUlT_T0_E_clISt17integral_constantIbLb1EES1O_IbLb0EEEEDaS1K_S1L_EUlS1K_E_NS1_11comp_targetILNS1_3genE4ELNS1_11target_archE910ELNS1_3gpuE8ELNS1_3repE0EEENS1_30default_config_static_selectorELNS0_4arch9wavefront6targetE1EEEvSY_
	.p2align	8
	.type	_ZN7rocprim17ROCPRIM_400000_NS6detail17trampoline_kernelINS0_13select_configILj256ELj13ELNS0_17block_load_methodE3ELS4_3ELS4_3ELNS0_20block_scan_algorithmE0ELj4294967295EEENS1_25partition_config_selectorILNS1_17partition_subalgoE3EjNS0_10empty_typeEbEEZZNS1_14partition_implILS8_3ELb0ES6_jNS0_17counting_iteratorIjlEEPS9_SE_NS0_5tupleIJPjSE_EEENSF_IJSE_SE_EEES9_SG_JZNS1_25segmented_radix_sort_implINS0_14default_configELb0EPKbPbPKlPlN2at6native12_GLOBAL__N_18offset_tEEE10hipError_tPvRmT1_PNSt15iterator_traitsISY_E10value_typeET2_T3_PNSZ_IS14_E10value_typeET4_jRbjT5_S1A_jjP12ihipStream_tbEUljE_EEESV_SW_SX_S14_S18_S1A_T6_T7_T9_mT8_S1C_bDpT10_ENKUlT_T0_E_clISt17integral_constantIbLb1EES1O_IbLb0EEEEDaS1K_S1L_EUlS1K_E_NS1_11comp_targetILNS1_3genE4ELNS1_11target_archE910ELNS1_3gpuE8ELNS1_3repE0EEENS1_30default_config_static_selectorELNS0_4arch9wavefront6targetE1EEEvSY_,@function
_ZN7rocprim17ROCPRIM_400000_NS6detail17trampoline_kernelINS0_13select_configILj256ELj13ELNS0_17block_load_methodE3ELS4_3ELS4_3ELNS0_20block_scan_algorithmE0ELj4294967295EEENS1_25partition_config_selectorILNS1_17partition_subalgoE3EjNS0_10empty_typeEbEEZZNS1_14partition_implILS8_3ELb0ES6_jNS0_17counting_iteratorIjlEEPS9_SE_NS0_5tupleIJPjSE_EEENSF_IJSE_SE_EEES9_SG_JZNS1_25segmented_radix_sort_implINS0_14default_configELb0EPKbPbPKlPlN2at6native12_GLOBAL__N_18offset_tEEE10hipError_tPvRmT1_PNSt15iterator_traitsISY_E10value_typeET2_T3_PNSZ_IS14_E10value_typeET4_jRbjT5_S1A_jjP12ihipStream_tbEUljE_EEESV_SW_SX_S14_S18_S1A_T6_T7_T9_mT8_S1C_bDpT10_ENKUlT_T0_E_clISt17integral_constantIbLb1EES1O_IbLb0EEEEDaS1K_S1L_EUlS1K_E_NS1_11comp_targetILNS1_3genE4ELNS1_11target_archE910ELNS1_3gpuE8ELNS1_3repE0EEENS1_30default_config_static_selectorELNS0_4arch9wavefront6targetE1EEEvSY_: ; @_ZN7rocprim17ROCPRIM_400000_NS6detail17trampoline_kernelINS0_13select_configILj256ELj13ELNS0_17block_load_methodE3ELS4_3ELS4_3ELNS0_20block_scan_algorithmE0ELj4294967295EEENS1_25partition_config_selectorILNS1_17partition_subalgoE3EjNS0_10empty_typeEbEEZZNS1_14partition_implILS8_3ELb0ES6_jNS0_17counting_iteratorIjlEEPS9_SE_NS0_5tupleIJPjSE_EEENSF_IJSE_SE_EEES9_SG_JZNS1_25segmented_radix_sort_implINS0_14default_configELb0EPKbPbPKlPlN2at6native12_GLOBAL__N_18offset_tEEE10hipError_tPvRmT1_PNSt15iterator_traitsISY_E10value_typeET2_T3_PNSZ_IS14_E10value_typeET4_jRbjT5_S1A_jjP12ihipStream_tbEUljE_EEESV_SW_SX_S14_S18_S1A_T6_T7_T9_mT8_S1C_bDpT10_ENKUlT_T0_E_clISt17integral_constantIbLb1EES1O_IbLb0EEEEDaS1K_S1L_EUlS1K_E_NS1_11comp_targetILNS1_3genE4ELNS1_11target_archE910ELNS1_3gpuE8ELNS1_3repE0EEENS1_30default_config_static_selectorELNS0_4arch9wavefront6targetE1EEEvSY_
; %bb.0:
	.section	.rodata,"a",@progbits
	.p2align	6, 0x0
	.amdhsa_kernel _ZN7rocprim17ROCPRIM_400000_NS6detail17trampoline_kernelINS0_13select_configILj256ELj13ELNS0_17block_load_methodE3ELS4_3ELS4_3ELNS0_20block_scan_algorithmE0ELj4294967295EEENS1_25partition_config_selectorILNS1_17partition_subalgoE3EjNS0_10empty_typeEbEEZZNS1_14partition_implILS8_3ELb0ES6_jNS0_17counting_iteratorIjlEEPS9_SE_NS0_5tupleIJPjSE_EEENSF_IJSE_SE_EEES9_SG_JZNS1_25segmented_radix_sort_implINS0_14default_configELb0EPKbPbPKlPlN2at6native12_GLOBAL__N_18offset_tEEE10hipError_tPvRmT1_PNSt15iterator_traitsISY_E10value_typeET2_T3_PNSZ_IS14_E10value_typeET4_jRbjT5_S1A_jjP12ihipStream_tbEUljE_EEESV_SW_SX_S14_S18_S1A_T6_T7_T9_mT8_S1C_bDpT10_ENKUlT_T0_E_clISt17integral_constantIbLb1EES1O_IbLb0EEEEDaS1K_S1L_EUlS1K_E_NS1_11comp_targetILNS1_3genE4ELNS1_11target_archE910ELNS1_3gpuE8ELNS1_3repE0EEENS1_30default_config_static_selectorELNS0_4arch9wavefront6targetE1EEEvSY_
		.amdhsa_group_segment_fixed_size 0
		.amdhsa_private_segment_fixed_size 0
		.amdhsa_kernarg_size 144
		.amdhsa_user_sgpr_count 6
		.amdhsa_user_sgpr_private_segment_buffer 1
		.amdhsa_user_sgpr_dispatch_ptr 0
		.amdhsa_user_sgpr_queue_ptr 0
		.amdhsa_user_sgpr_kernarg_segment_ptr 1
		.amdhsa_user_sgpr_dispatch_id 0
		.amdhsa_user_sgpr_flat_scratch_init 0
		.amdhsa_user_sgpr_private_segment_size 0
		.amdhsa_uses_dynamic_stack 0
		.amdhsa_system_sgpr_private_segment_wavefront_offset 0
		.amdhsa_system_sgpr_workgroup_id_x 1
		.amdhsa_system_sgpr_workgroup_id_y 0
		.amdhsa_system_sgpr_workgroup_id_z 0
		.amdhsa_system_sgpr_workgroup_info 0
		.amdhsa_system_vgpr_workitem_id 0
		.amdhsa_next_free_vgpr 1
		.amdhsa_next_free_sgpr 0
		.amdhsa_reserve_vcc 0
		.amdhsa_reserve_flat_scratch 0
		.amdhsa_float_round_mode_32 0
		.amdhsa_float_round_mode_16_64 0
		.amdhsa_float_denorm_mode_32 3
		.amdhsa_float_denorm_mode_16_64 3
		.amdhsa_dx10_clamp 1
		.amdhsa_ieee_mode 1
		.amdhsa_fp16_overflow 0
		.amdhsa_exception_fp_ieee_invalid_op 0
		.amdhsa_exception_fp_denorm_src 0
		.amdhsa_exception_fp_ieee_div_zero 0
		.amdhsa_exception_fp_ieee_overflow 0
		.amdhsa_exception_fp_ieee_underflow 0
		.amdhsa_exception_fp_ieee_inexact 0
		.amdhsa_exception_int_div_zero 0
	.end_amdhsa_kernel
	.section	.text._ZN7rocprim17ROCPRIM_400000_NS6detail17trampoline_kernelINS0_13select_configILj256ELj13ELNS0_17block_load_methodE3ELS4_3ELS4_3ELNS0_20block_scan_algorithmE0ELj4294967295EEENS1_25partition_config_selectorILNS1_17partition_subalgoE3EjNS0_10empty_typeEbEEZZNS1_14partition_implILS8_3ELb0ES6_jNS0_17counting_iteratorIjlEEPS9_SE_NS0_5tupleIJPjSE_EEENSF_IJSE_SE_EEES9_SG_JZNS1_25segmented_radix_sort_implINS0_14default_configELb0EPKbPbPKlPlN2at6native12_GLOBAL__N_18offset_tEEE10hipError_tPvRmT1_PNSt15iterator_traitsISY_E10value_typeET2_T3_PNSZ_IS14_E10value_typeET4_jRbjT5_S1A_jjP12ihipStream_tbEUljE_EEESV_SW_SX_S14_S18_S1A_T6_T7_T9_mT8_S1C_bDpT10_ENKUlT_T0_E_clISt17integral_constantIbLb1EES1O_IbLb0EEEEDaS1K_S1L_EUlS1K_E_NS1_11comp_targetILNS1_3genE4ELNS1_11target_archE910ELNS1_3gpuE8ELNS1_3repE0EEENS1_30default_config_static_selectorELNS0_4arch9wavefront6targetE1EEEvSY_,"axG",@progbits,_ZN7rocprim17ROCPRIM_400000_NS6detail17trampoline_kernelINS0_13select_configILj256ELj13ELNS0_17block_load_methodE3ELS4_3ELS4_3ELNS0_20block_scan_algorithmE0ELj4294967295EEENS1_25partition_config_selectorILNS1_17partition_subalgoE3EjNS0_10empty_typeEbEEZZNS1_14partition_implILS8_3ELb0ES6_jNS0_17counting_iteratorIjlEEPS9_SE_NS0_5tupleIJPjSE_EEENSF_IJSE_SE_EEES9_SG_JZNS1_25segmented_radix_sort_implINS0_14default_configELb0EPKbPbPKlPlN2at6native12_GLOBAL__N_18offset_tEEE10hipError_tPvRmT1_PNSt15iterator_traitsISY_E10value_typeET2_T3_PNSZ_IS14_E10value_typeET4_jRbjT5_S1A_jjP12ihipStream_tbEUljE_EEESV_SW_SX_S14_S18_S1A_T6_T7_T9_mT8_S1C_bDpT10_ENKUlT_T0_E_clISt17integral_constantIbLb1EES1O_IbLb0EEEEDaS1K_S1L_EUlS1K_E_NS1_11comp_targetILNS1_3genE4ELNS1_11target_archE910ELNS1_3gpuE8ELNS1_3repE0EEENS1_30default_config_static_selectorELNS0_4arch9wavefront6targetE1EEEvSY_,comdat
.Lfunc_end1621:
	.size	_ZN7rocprim17ROCPRIM_400000_NS6detail17trampoline_kernelINS0_13select_configILj256ELj13ELNS0_17block_load_methodE3ELS4_3ELS4_3ELNS0_20block_scan_algorithmE0ELj4294967295EEENS1_25partition_config_selectorILNS1_17partition_subalgoE3EjNS0_10empty_typeEbEEZZNS1_14partition_implILS8_3ELb0ES6_jNS0_17counting_iteratorIjlEEPS9_SE_NS0_5tupleIJPjSE_EEENSF_IJSE_SE_EEES9_SG_JZNS1_25segmented_radix_sort_implINS0_14default_configELb0EPKbPbPKlPlN2at6native12_GLOBAL__N_18offset_tEEE10hipError_tPvRmT1_PNSt15iterator_traitsISY_E10value_typeET2_T3_PNSZ_IS14_E10value_typeET4_jRbjT5_S1A_jjP12ihipStream_tbEUljE_EEESV_SW_SX_S14_S18_S1A_T6_T7_T9_mT8_S1C_bDpT10_ENKUlT_T0_E_clISt17integral_constantIbLb1EES1O_IbLb0EEEEDaS1K_S1L_EUlS1K_E_NS1_11comp_targetILNS1_3genE4ELNS1_11target_archE910ELNS1_3gpuE8ELNS1_3repE0EEENS1_30default_config_static_selectorELNS0_4arch9wavefront6targetE1EEEvSY_, .Lfunc_end1621-_ZN7rocprim17ROCPRIM_400000_NS6detail17trampoline_kernelINS0_13select_configILj256ELj13ELNS0_17block_load_methodE3ELS4_3ELS4_3ELNS0_20block_scan_algorithmE0ELj4294967295EEENS1_25partition_config_selectorILNS1_17partition_subalgoE3EjNS0_10empty_typeEbEEZZNS1_14partition_implILS8_3ELb0ES6_jNS0_17counting_iteratorIjlEEPS9_SE_NS0_5tupleIJPjSE_EEENSF_IJSE_SE_EEES9_SG_JZNS1_25segmented_radix_sort_implINS0_14default_configELb0EPKbPbPKlPlN2at6native12_GLOBAL__N_18offset_tEEE10hipError_tPvRmT1_PNSt15iterator_traitsISY_E10value_typeET2_T3_PNSZ_IS14_E10value_typeET4_jRbjT5_S1A_jjP12ihipStream_tbEUljE_EEESV_SW_SX_S14_S18_S1A_T6_T7_T9_mT8_S1C_bDpT10_ENKUlT_T0_E_clISt17integral_constantIbLb1EES1O_IbLb0EEEEDaS1K_S1L_EUlS1K_E_NS1_11comp_targetILNS1_3genE4ELNS1_11target_archE910ELNS1_3gpuE8ELNS1_3repE0EEENS1_30default_config_static_selectorELNS0_4arch9wavefront6targetE1EEEvSY_
                                        ; -- End function
	.set _ZN7rocprim17ROCPRIM_400000_NS6detail17trampoline_kernelINS0_13select_configILj256ELj13ELNS0_17block_load_methodE3ELS4_3ELS4_3ELNS0_20block_scan_algorithmE0ELj4294967295EEENS1_25partition_config_selectorILNS1_17partition_subalgoE3EjNS0_10empty_typeEbEEZZNS1_14partition_implILS8_3ELb0ES6_jNS0_17counting_iteratorIjlEEPS9_SE_NS0_5tupleIJPjSE_EEENSF_IJSE_SE_EEES9_SG_JZNS1_25segmented_radix_sort_implINS0_14default_configELb0EPKbPbPKlPlN2at6native12_GLOBAL__N_18offset_tEEE10hipError_tPvRmT1_PNSt15iterator_traitsISY_E10value_typeET2_T3_PNSZ_IS14_E10value_typeET4_jRbjT5_S1A_jjP12ihipStream_tbEUljE_EEESV_SW_SX_S14_S18_S1A_T6_T7_T9_mT8_S1C_bDpT10_ENKUlT_T0_E_clISt17integral_constantIbLb1EES1O_IbLb0EEEEDaS1K_S1L_EUlS1K_E_NS1_11comp_targetILNS1_3genE4ELNS1_11target_archE910ELNS1_3gpuE8ELNS1_3repE0EEENS1_30default_config_static_selectorELNS0_4arch9wavefront6targetE1EEEvSY_.num_vgpr, 0
	.set _ZN7rocprim17ROCPRIM_400000_NS6detail17trampoline_kernelINS0_13select_configILj256ELj13ELNS0_17block_load_methodE3ELS4_3ELS4_3ELNS0_20block_scan_algorithmE0ELj4294967295EEENS1_25partition_config_selectorILNS1_17partition_subalgoE3EjNS0_10empty_typeEbEEZZNS1_14partition_implILS8_3ELb0ES6_jNS0_17counting_iteratorIjlEEPS9_SE_NS0_5tupleIJPjSE_EEENSF_IJSE_SE_EEES9_SG_JZNS1_25segmented_radix_sort_implINS0_14default_configELb0EPKbPbPKlPlN2at6native12_GLOBAL__N_18offset_tEEE10hipError_tPvRmT1_PNSt15iterator_traitsISY_E10value_typeET2_T3_PNSZ_IS14_E10value_typeET4_jRbjT5_S1A_jjP12ihipStream_tbEUljE_EEESV_SW_SX_S14_S18_S1A_T6_T7_T9_mT8_S1C_bDpT10_ENKUlT_T0_E_clISt17integral_constantIbLb1EES1O_IbLb0EEEEDaS1K_S1L_EUlS1K_E_NS1_11comp_targetILNS1_3genE4ELNS1_11target_archE910ELNS1_3gpuE8ELNS1_3repE0EEENS1_30default_config_static_selectorELNS0_4arch9wavefront6targetE1EEEvSY_.num_agpr, 0
	.set _ZN7rocprim17ROCPRIM_400000_NS6detail17trampoline_kernelINS0_13select_configILj256ELj13ELNS0_17block_load_methodE3ELS4_3ELS4_3ELNS0_20block_scan_algorithmE0ELj4294967295EEENS1_25partition_config_selectorILNS1_17partition_subalgoE3EjNS0_10empty_typeEbEEZZNS1_14partition_implILS8_3ELb0ES6_jNS0_17counting_iteratorIjlEEPS9_SE_NS0_5tupleIJPjSE_EEENSF_IJSE_SE_EEES9_SG_JZNS1_25segmented_radix_sort_implINS0_14default_configELb0EPKbPbPKlPlN2at6native12_GLOBAL__N_18offset_tEEE10hipError_tPvRmT1_PNSt15iterator_traitsISY_E10value_typeET2_T3_PNSZ_IS14_E10value_typeET4_jRbjT5_S1A_jjP12ihipStream_tbEUljE_EEESV_SW_SX_S14_S18_S1A_T6_T7_T9_mT8_S1C_bDpT10_ENKUlT_T0_E_clISt17integral_constantIbLb1EES1O_IbLb0EEEEDaS1K_S1L_EUlS1K_E_NS1_11comp_targetILNS1_3genE4ELNS1_11target_archE910ELNS1_3gpuE8ELNS1_3repE0EEENS1_30default_config_static_selectorELNS0_4arch9wavefront6targetE1EEEvSY_.numbered_sgpr, 0
	.set _ZN7rocprim17ROCPRIM_400000_NS6detail17trampoline_kernelINS0_13select_configILj256ELj13ELNS0_17block_load_methodE3ELS4_3ELS4_3ELNS0_20block_scan_algorithmE0ELj4294967295EEENS1_25partition_config_selectorILNS1_17partition_subalgoE3EjNS0_10empty_typeEbEEZZNS1_14partition_implILS8_3ELb0ES6_jNS0_17counting_iteratorIjlEEPS9_SE_NS0_5tupleIJPjSE_EEENSF_IJSE_SE_EEES9_SG_JZNS1_25segmented_radix_sort_implINS0_14default_configELb0EPKbPbPKlPlN2at6native12_GLOBAL__N_18offset_tEEE10hipError_tPvRmT1_PNSt15iterator_traitsISY_E10value_typeET2_T3_PNSZ_IS14_E10value_typeET4_jRbjT5_S1A_jjP12ihipStream_tbEUljE_EEESV_SW_SX_S14_S18_S1A_T6_T7_T9_mT8_S1C_bDpT10_ENKUlT_T0_E_clISt17integral_constantIbLb1EES1O_IbLb0EEEEDaS1K_S1L_EUlS1K_E_NS1_11comp_targetILNS1_3genE4ELNS1_11target_archE910ELNS1_3gpuE8ELNS1_3repE0EEENS1_30default_config_static_selectorELNS0_4arch9wavefront6targetE1EEEvSY_.num_named_barrier, 0
	.set _ZN7rocprim17ROCPRIM_400000_NS6detail17trampoline_kernelINS0_13select_configILj256ELj13ELNS0_17block_load_methodE3ELS4_3ELS4_3ELNS0_20block_scan_algorithmE0ELj4294967295EEENS1_25partition_config_selectorILNS1_17partition_subalgoE3EjNS0_10empty_typeEbEEZZNS1_14partition_implILS8_3ELb0ES6_jNS0_17counting_iteratorIjlEEPS9_SE_NS0_5tupleIJPjSE_EEENSF_IJSE_SE_EEES9_SG_JZNS1_25segmented_radix_sort_implINS0_14default_configELb0EPKbPbPKlPlN2at6native12_GLOBAL__N_18offset_tEEE10hipError_tPvRmT1_PNSt15iterator_traitsISY_E10value_typeET2_T3_PNSZ_IS14_E10value_typeET4_jRbjT5_S1A_jjP12ihipStream_tbEUljE_EEESV_SW_SX_S14_S18_S1A_T6_T7_T9_mT8_S1C_bDpT10_ENKUlT_T0_E_clISt17integral_constantIbLb1EES1O_IbLb0EEEEDaS1K_S1L_EUlS1K_E_NS1_11comp_targetILNS1_3genE4ELNS1_11target_archE910ELNS1_3gpuE8ELNS1_3repE0EEENS1_30default_config_static_selectorELNS0_4arch9wavefront6targetE1EEEvSY_.private_seg_size, 0
	.set _ZN7rocprim17ROCPRIM_400000_NS6detail17trampoline_kernelINS0_13select_configILj256ELj13ELNS0_17block_load_methodE3ELS4_3ELS4_3ELNS0_20block_scan_algorithmE0ELj4294967295EEENS1_25partition_config_selectorILNS1_17partition_subalgoE3EjNS0_10empty_typeEbEEZZNS1_14partition_implILS8_3ELb0ES6_jNS0_17counting_iteratorIjlEEPS9_SE_NS0_5tupleIJPjSE_EEENSF_IJSE_SE_EEES9_SG_JZNS1_25segmented_radix_sort_implINS0_14default_configELb0EPKbPbPKlPlN2at6native12_GLOBAL__N_18offset_tEEE10hipError_tPvRmT1_PNSt15iterator_traitsISY_E10value_typeET2_T3_PNSZ_IS14_E10value_typeET4_jRbjT5_S1A_jjP12ihipStream_tbEUljE_EEESV_SW_SX_S14_S18_S1A_T6_T7_T9_mT8_S1C_bDpT10_ENKUlT_T0_E_clISt17integral_constantIbLb1EES1O_IbLb0EEEEDaS1K_S1L_EUlS1K_E_NS1_11comp_targetILNS1_3genE4ELNS1_11target_archE910ELNS1_3gpuE8ELNS1_3repE0EEENS1_30default_config_static_selectorELNS0_4arch9wavefront6targetE1EEEvSY_.uses_vcc, 0
	.set _ZN7rocprim17ROCPRIM_400000_NS6detail17trampoline_kernelINS0_13select_configILj256ELj13ELNS0_17block_load_methodE3ELS4_3ELS4_3ELNS0_20block_scan_algorithmE0ELj4294967295EEENS1_25partition_config_selectorILNS1_17partition_subalgoE3EjNS0_10empty_typeEbEEZZNS1_14partition_implILS8_3ELb0ES6_jNS0_17counting_iteratorIjlEEPS9_SE_NS0_5tupleIJPjSE_EEENSF_IJSE_SE_EEES9_SG_JZNS1_25segmented_radix_sort_implINS0_14default_configELb0EPKbPbPKlPlN2at6native12_GLOBAL__N_18offset_tEEE10hipError_tPvRmT1_PNSt15iterator_traitsISY_E10value_typeET2_T3_PNSZ_IS14_E10value_typeET4_jRbjT5_S1A_jjP12ihipStream_tbEUljE_EEESV_SW_SX_S14_S18_S1A_T6_T7_T9_mT8_S1C_bDpT10_ENKUlT_T0_E_clISt17integral_constantIbLb1EES1O_IbLb0EEEEDaS1K_S1L_EUlS1K_E_NS1_11comp_targetILNS1_3genE4ELNS1_11target_archE910ELNS1_3gpuE8ELNS1_3repE0EEENS1_30default_config_static_selectorELNS0_4arch9wavefront6targetE1EEEvSY_.uses_flat_scratch, 0
	.set _ZN7rocprim17ROCPRIM_400000_NS6detail17trampoline_kernelINS0_13select_configILj256ELj13ELNS0_17block_load_methodE3ELS4_3ELS4_3ELNS0_20block_scan_algorithmE0ELj4294967295EEENS1_25partition_config_selectorILNS1_17partition_subalgoE3EjNS0_10empty_typeEbEEZZNS1_14partition_implILS8_3ELb0ES6_jNS0_17counting_iteratorIjlEEPS9_SE_NS0_5tupleIJPjSE_EEENSF_IJSE_SE_EEES9_SG_JZNS1_25segmented_radix_sort_implINS0_14default_configELb0EPKbPbPKlPlN2at6native12_GLOBAL__N_18offset_tEEE10hipError_tPvRmT1_PNSt15iterator_traitsISY_E10value_typeET2_T3_PNSZ_IS14_E10value_typeET4_jRbjT5_S1A_jjP12ihipStream_tbEUljE_EEESV_SW_SX_S14_S18_S1A_T6_T7_T9_mT8_S1C_bDpT10_ENKUlT_T0_E_clISt17integral_constantIbLb1EES1O_IbLb0EEEEDaS1K_S1L_EUlS1K_E_NS1_11comp_targetILNS1_3genE4ELNS1_11target_archE910ELNS1_3gpuE8ELNS1_3repE0EEENS1_30default_config_static_selectorELNS0_4arch9wavefront6targetE1EEEvSY_.has_dyn_sized_stack, 0
	.set _ZN7rocprim17ROCPRIM_400000_NS6detail17trampoline_kernelINS0_13select_configILj256ELj13ELNS0_17block_load_methodE3ELS4_3ELS4_3ELNS0_20block_scan_algorithmE0ELj4294967295EEENS1_25partition_config_selectorILNS1_17partition_subalgoE3EjNS0_10empty_typeEbEEZZNS1_14partition_implILS8_3ELb0ES6_jNS0_17counting_iteratorIjlEEPS9_SE_NS0_5tupleIJPjSE_EEENSF_IJSE_SE_EEES9_SG_JZNS1_25segmented_radix_sort_implINS0_14default_configELb0EPKbPbPKlPlN2at6native12_GLOBAL__N_18offset_tEEE10hipError_tPvRmT1_PNSt15iterator_traitsISY_E10value_typeET2_T3_PNSZ_IS14_E10value_typeET4_jRbjT5_S1A_jjP12ihipStream_tbEUljE_EEESV_SW_SX_S14_S18_S1A_T6_T7_T9_mT8_S1C_bDpT10_ENKUlT_T0_E_clISt17integral_constantIbLb1EES1O_IbLb0EEEEDaS1K_S1L_EUlS1K_E_NS1_11comp_targetILNS1_3genE4ELNS1_11target_archE910ELNS1_3gpuE8ELNS1_3repE0EEENS1_30default_config_static_selectorELNS0_4arch9wavefront6targetE1EEEvSY_.has_recursion, 0
	.set _ZN7rocprim17ROCPRIM_400000_NS6detail17trampoline_kernelINS0_13select_configILj256ELj13ELNS0_17block_load_methodE3ELS4_3ELS4_3ELNS0_20block_scan_algorithmE0ELj4294967295EEENS1_25partition_config_selectorILNS1_17partition_subalgoE3EjNS0_10empty_typeEbEEZZNS1_14partition_implILS8_3ELb0ES6_jNS0_17counting_iteratorIjlEEPS9_SE_NS0_5tupleIJPjSE_EEENSF_IJSE_SE_EEES9_SG_JZNS1_25segmented_radix_sort_implINS0_14default_configELb0EPKbPbPKlPlN2at6native12_GLOBAL__N_18offset_tEEE10hipError_tPvRmT1_PNSt15iterator_traitsISY_E10value_typeET2_T3_PNSZ_IS14_E10value_typeET4_jRbjT5_S1A_jjP12ihipStream_tbEUljE_EEESV_SW_SX_S14_S18_S1A_T6_T7_T9_mT8_S1C_bDpT10_ENKUlT_T0_E_clISt17integral_constantIbLb1EES1O_IbLb0EEEEDaS1K_S1L_EUlS1K_E_NS1_11comp_targetILNS1_3genE4ELNS1_11target_archE910ELNS1_3gpuE8ELNS1_3repE0EEENS1_30default_config_static_selectorELNS0_4arch9wavefront6targetE1EEEvSY_.has_indirect_call, 0
	.section	.AMDGPU.csdata,"",@progbits
; Kernel info:
; codeLenInByte = 0
; TotalNumSgprs: 4
; NumVgprs: 0
; ScratchSize: 0
; MemoryBound: 0
; FloatMode: 240
; IeeeMode: 1
; LDSByteSize: 0 bytes/workgroup (compile time only)
; SGPRBlocks: 0
; VGPRBlocks: 0
; NumSGPRsForWavesPerEU: 4
; NumVGPRsForWavesPerEU: 1
; Occupancy: 10
; WaveLimiterHint : 0
; COMPUTE_PGM_RSRC2:SCRATCH_EN: 0
; COMPUTE_PGM_RSRC2:USER_SGPR: 6
; COMPUTE_PGM_RSRC2:TRAP_HANDLER: 0
; COMPUTE_PGM_RSRC2:TGID_X_EN: 1
; COMPUTE_PGM_RSRC2:TGID_Y_EN: 0
; COMPUTE_PGM_RSRC2:TGID_Z_EN: 0
; COMPUTE_PGM_RSRC2:TIDIG_COMP_CNT: 0
	.section	.text._ZN7rocprim17ROCPRIM_400000_NS6detail17trampoline_kernelINS0_13select_configILj256ELj13ELNS0_17block_load_methodE3ELS4_3ELS4_3ELNS0_20block_scan_algorithmE0ELj4294967295EEENS1_25partition_config_selectorILNS1_17partition_subalgoE3EjNS0_10empty_typeEbEEZZNS1_14partition_implILS8_3ELb0ES6_jNS0_17counting_iteratorIjlEEPS9_SE_NS0_5tupleIJPjSE_EEENSF_IJSE_SE_EEES9_SG_JZNS1_25segmented_radix_sort_implINS0_14default_configELb0EPKbPbPKlPlN2at6native12_GLOBAL__N_18offset_tEEE10hipError_tPvRmT1_PNSt15iterator_traitsISY_E10value_typeET2_T3_PNSZ_IS14_E10value_typeET4_jRbjT5_S1A_jjP12ihipStream_tbEUljE_EEESV_SW_SX_S14_S18_S1A_T6_T7_T9_mT8_S1C_bDpT10_ENKUlT_T0_E_clISt17integral_constantIbLb1EES1O_IbLb0EEEEDaS1K_S1L_EUlS1K_E_NS1_11comp_targetILNS1_3genE3ELNS1_11target_archE908ELNS1_3gpuE7ELNS1_3repE0EEENS1_30default_config_static_selectorELNS0_4arch9wavefront6targetE1EEEvSY_,"axG",@progbits,_ZN7rocprim17ROCPRIM_400000_NS6detail17trampoline_kernelINS0_13select_configILj256ELj13ELNS0_17block_load_methodE3ELS4_3ELS4_3ELNS0_20block_scan_algorithmE0ELj4294967295EEENS1_25partition_config_selectorILNS1_17partition_subalgoE3EjNS0_10empty_typeEbEEZZNS1_14partition_implILS8_3ELb0ES6_jNS0_17counting_iteratorIjlEEPS9_SE_NS0_5tupleIJPjSE_EEENSF_IJSE_SE_EEES9_SG_JZNS1_25segmented_radix_sort_implINS0_14default_configELb0EPKbPbPKlPlN2at6native12_GLOBAL__N_18offset_tEEE10hipError_tPvRmT1_PNSt15iterator_traitsISY_E10value_typeET2_T3_PNSZ_IS14_E10value_typeET4_jRbjT5_S1A_jjP12ihipStream_tbEUljE_EEESV_SW_SX_S14_S18_S1A_T6_T7_T9_mT8_S1C_bDpT10_ENKUlT_T0_E_clISt17integral_constantIbLb1EES1O_IbLb0EEEEDaS1K_S1L_EUlS1K_E_NS1_11comp_targetILNS1_3genE3ELNS1_11target_archE908ELNS1_3gpuE7ELNS1_3repE0EEENS1_30default_config_static_selectorELNS0_4arch9wavefront6targetE1EEEvSY_,comdat
	.globl	_ZN7rocprim17ROCPRIM_400000_NS6detail17trampoline_kernelINS0_13select_configILj256ELj13ELNS0_17block_load_methodE3ELS4_3ELS4_3ELNS0_20block_scan_algorithmE0ELj4294967295EEENS1_25partition_config_selectorILNS1_17partition_subalgoE3EjNS0_10empty_typeEbEEZZNS1_14partition_implILS8_3ELb0ES6_jNS0_17counting_iteratorIjlEEPS9_SE_NS0_5tupleIJPjSE_EEENSF_IJSE_SE_EEES9_SG_JZNS1_25segmented_radix_sort_implINS0_14default_configELb0EPKbPbPKlPlN2at6native12_GLOBAL__N_18offset_tEEE10hipError_tPvRmT1_PNSt15iterator_traitsISY_E10value_typeET2_T3_PNSZ_IS14_E10value_typeET4_jRbjT5_S1A_jjP12ihipStream_tbEUljE_EEESV_SW_SX_S14_S18_S1A_T6_T7_T9_mT8_S1C_bDpT10_ENKUlT_T0_E_clISt17integral_constantIbLb1EES1O_IbLb0EEEEDaS1K_S1L_EUlS1K_E_NS1_11comp_targetILNS1_3genE3ELNS1_11target_archE908ELNS1_3gpuE7ELNS1_3repE0EEENS1_30default_config_static_selectorELNS0_4arch9wavefront6targetE1EEEvSY_ ; -- Begin function _ZN7rocprim17ROCPRIM_400000_NS6detail17trampoline_kernelINS0_13select_configILj256ELj13ELNS0_17block_load_methodE3ELS4_3ELS4_3ELNS0_20block_scan_algorithmE0ELj4294967295EEENS1_25partition_config_selectorILNS1_17partition_subalgoE3EjNS0_10empty_typeEbEEZZNS1_14partition_implILS8_3ELb0ES6_jNS0_17counting_iteratorIjlEEPS9_SE_NS0_5tupleIJPjSE_EEENSF_IJSE_SE_EEES9_SG_JZNS1_25segmented_radix_sort_implINS0_14default_configELb0EPKbPbPKlPlN2at6native12_GLOBAL__N_18offset_tEEE10hipError_tPvRmT1_PNSt15iterator_traitsISY_E10value_typeET2_T3_PNSZ_IS14_E10value_typeET4_jRbjT5_S1A_jjP12ihipStream_tbEUljE_EEESV_SW_SX_S14_S18_S1A_T6_T7_T9_mT8_S1C_bDpT10_ENKUlT_T0_E_clISt17integral_constantIbLb1EES1O_IbLb0EEEEDaS1K_S1L_EUlS1K_E_NS1_11comp_targetILNS1_3genE3ELNS1_11target_archE908ELNS1_3gpuE7ELNS1_3repE0EEENS1_30default_config_static_selectorELNS0_4arch9wavefront6targetE1EEEvSY_
	.p2align	8
	.type	_ZN7rocprim17ROCPRIM_400000_NS6detail17trampoline_kernelINS0_13select_configILj256ELj13ELNS0_17block_load_methodE3ELS4_3ELS4_3ELNS0_20block_scan_algorithmE0ELj4294967295EEENS1_25partition_config_selectorILNS1_17partition_subalgoE3EjNS0_10empty_typeEbEEZZNS1_14partition_implILS8_3ELb0ES6_jNS0_17counting_iteratorIjlEEPS9_SE_NS0_5tupleIJPjSE_EEENSF_IJSE_SE_EEES9_SG_JZNS1_25segmented_radix_sort_implINS0_14default_configELb0EPKbPbPKlPlN2at6native12_GLOBAL__N_18offset_tEEE10hipError_tPvRmT1_PNSt15iterator_traitsISY_E10value_typeET2_T3_PNSZ_IS14_E10value_typeET4_jRbjT5_S1A_jjP12ihipStream_tbEUljE_EEESV_SW_SX_S14_S18_S1A_T6_T7_T9_mT8_S1C_bDpT10_ENKUlT_T0_E_clISt17integral_constantIbLb1EES1O_IbLb0EEEEDaS1K_S1L_EUlS1K_E_NS1_11comp_targetILNS1_3genE3ELNS1_11target_archE908ELNS1_3gpuE7ELNS1_3repE0EEENS1_30default_config_static_selectorELNS0_4arch9wavefront6targetE1EEEvSY_,@function
_ZN7rocprim17ROCPRIM_400000_NS6detail17trampoline_kernelINS0_13select_configILj256ELj13ELNS0_17block_load_methodE3ELS4_3ELS4_3ELNS0_20block_scan_algorithmE0ELj4294967295EEENS1_25partition_config_selectorILNS1_17partition_subalgoE3EjNS0_10empty_typeEbEEZZNS1_14partition_implILS8_3ELb0ES6_jNS0_17counting_iteratorIjlEEPS9_SE_NS0_5tupleIJPjSE_EEENSF_IJSE_SE_EEES9_SG_JZNS1_25segmented_radix_sort_implINS0_14default_configELb0EPKbPbPKlPlN2at6native12_GLOBAL__N_18offset_tEEE10hipError_tPvRmT1_PNSt15iterator_traitsISY_E10value_typeET2_T3_PNSZ_IS14_E10value_typeET4_jRbjT5_S1A_jjP12ihipStream_tbEUljE_EEESV_SW_SX_S14_S18_S1A_T6_T7_T9_mT8_S1C_bDpT10_ENKUlT_T0_E_clISt17integral_constantIbLb1EES1O_IbLb0EEEEDaS1K_S1L_EUlS1K_E_NS1_11comp_targetILNS1_3genE3ELNS1_11target_archE908ELNS1_3gpuE7ELNS1_3repE0EEENS1_30default_config_static_selectorELNS0_4arch9wavefront6targetE1EEEvSY_: ; @_ZN7rocprim17ROCPRIM_400000_NS6detail17trampoline_kernelINS0_13select_configILj256ELj13ELNS0_17block_load_methodE3ELS4_3ELS4_3ELNS0_20block_scan_algorithmE0ELj4294967295EEENS1_25partition_config_selectorILNS1_17partition_subalgoE3EjNS0_10empty_typeEbEEZZNS1_14partition_implILS8_3ELb0ES6_jNS0_17counting_iteratorIjlEEPS9_SE_NS0_5tupleIJPjSE_EEENSF_IJSE_SE_EEES9_SG_JZNS1_25segmented_radix_sort_implINS0_14default_configELb0EPKbPbPKlPlN2at6native12_GLOBAL__N_18offset_tEEE10hipError_tPvRmT1_PNSt15iterator_traitsISY_E10value_typeET2_T3_PNSZ_IS14_E10value_typeET4_jRbjT5_S1A_jjP12ihipStream_tbEUljE_EEESV_SW_SX_S14_S18_S1A_T6_T7_T9_mT8_S1C_bDpT10_ENKUlT_T0_E_clISt17integral_constantIbLb1EES1O_IbLb0EEEEDaS1K_S1L_EUlS1K_E_NS1_11comp_targetILNS1_3genE3ELNS1_11target_archE908ELNS1_3gpuE7ELNS1_3repE0EEENS1_30default_config_static_selectorELNS0_4arch9wavefront6targetE1EEEvSY_
; %bb.0:
	.section	.rodata,"a",@progbits
	.p2align	6, 0x0
	.amdhsa_kernel _ZN7rocprim17ROCPRIM_400000_NS6detail17trampoline_kernelINS0_13select_configILj256ELj13ELNS0_17block_load_methodE3ELS4_3ELS4_3ELNS0_20block_scan_algorithmE0ELj4294967295EEENS1_25partition_config_selectorILNS1_17partition_subalgoE3EjNS0_10empty_typeEbEEZZNS1_14partition_implILS8_3ELb0ES6_jNS0_17counting_iteratorIjlEEPS9_SE_NS0_5tupleIJPjSE_EEENSF_IJSE_SE_EEES9_SG_JZNS1_25segmented_radix_sort_implINS0_14default_configELb0EPKbPbPKlPlN2at6native12_GLOBAL__N_18offset_tEEE10hipError_tPvRmT1_PNSt15iterator_traitsISY_E10value_typeET2_T3_PNSZ_IS14_E10value_typeET4_jRbjT5_S1A_jjP12ihipStream_tbEUljE_EEESV_SW_SX_S14_S18_S1A_T6_T7_T9_mT8_S1C_bDpT10_ENKUlT_T0_E_clISt17integral_constantIbLb1EES1O_IbLb0EEEEDaS1K_S1L_EUlS1K_E_NS1_11comp_targetILNS1_3genE3ELNS1_11target_archE908ELNS1_3gpuE7ELNS1_3repE0EEENS1_30default_config_static_selectorELNS0_4arch9wavefront6targetE1EEEvSY_
		.amdhsa_group_segment_fixed_size 0
		.amdhsa_private_segment_fixed_size 0
		.amdhsa_kernarg_size 144
		.amdhsa_user_sgpr_count 6
		.amdhsa_user_sgpr_private_segment_buffer 1
		.amdhsa_user_sgpr_dispatch_ptr 0
		.amdhsa_user_sgpr_queue_ptr 0
		.amdhsa_user_sgpr_kernarg_segment_ptr 1
		.amdhsa_user_sgpr_dispatch_id 0
		.amdhsa_user_sgpr_flat_scratch_init 0
		.amdhsa_user_sgpr_private_segment_size 0
		.amdhsa_uses_dynamic_stack 0
		.amdhsa_system_sgpr_private_segment_wavefront_offset 0
		.amdhsa_system_sgpr_workgroup_id_x 1
		.amdhsa_system_sgpr_workgroup_id_y 0
		.amdhsa_system_sgpr_workgroup_id_z 0
		.amdhsa_system_sgpr_workgroup_info 0
		.amdhsa_system_vgpr_workitem_id 0
		.amdhsa_next_free_vgpr 1
		.amdhsa_next_free_sgpr 0
		.amdhsa_reserve_vcc 0
		.amdhsa_reserve_flat_scratch 0
		.amdhsa_float_round_mode_32 0
		.amdhsa_float_round_mode_16_64 0
		.amdhsa_float_denorm_mode_32 3
		.amdhsa_float_denorm_mode_16_64 3
		.amdhsa_dx10_clamp 1
		.amdhsa_ieee_mode 1
		.amdhsa_fp16_overflow 0
		.amdhsa_exception_fp_ieee_invalid_op 0
		.amdhsa_exception_fp_denorm_src 0
		.amdhsa_exception_fp_ieee_div_zero 0
		.amdhsa_exception_fp_ieee_overflow 0
		.amdhsa_exception_fp_ieee_underflow 0
		.amdhsa_exception_fp_ieee_inexact 0
		.amdhsa_exception_int_div_zero 0
	.end_amdhsa_kernel
	.section	.text._ZN7rocprim17ROCPRIM_400000_NS6detail17trampoline_kernelINS0_13select_configILj256ELj13ELNS0_17block_load_methodE3ELS4_3ELS4_3ELNS0_20block_scan_algorithmE0ELj4294967295EEENS1_25partition_config_selectorILNS1_17partition_subalgoE3EjNS0_10empty_typeEbEEZZNS1_14partition_implILS8_3ELb0ES6_jNS0_17counting_iteratorIjlEEPS9_SE_NS0_5tupleIJPjSE_EEENSF_IJSE_SE_EEES9_SG_JZNS1_25segmented_radix_sort_implINS0_14default_configELb0EPKbPbPKlPlN2at6native12_GLOBAL__N_18offset_tEEE10hipError_tPvRmT1_PNSt15iterator_traitsISY_E10value_typeET2_T3_PNSZ_IS14_E10value_typeET4_jRbjT5_S1A_jjP12ihipStream_tbEUljE_EEESV_SW_SX_S14_S18_S1A_T6_T7_T9_mT8_S1C_bDpT10_ENKUlT_T0_E_clISt17integral_constantIbLb1EES1O_IbLb0EEEEDaS1K_S1L_EUlS1K_E_NS1_11comp_targetILNS1_3genE3ELNS1_11target_archE908ELNS1_3gpuE7ELNS1_3repE0EEENS1_30default_config_static_selectorELNS0_4arch9wavefront6targetE1EEEvSY_,"axG",@progbits,_ZN7rocprim17ROCPRIM_400000_NS6detail17trampoline_kernelINS0_13select_configILj256ELj13ELNS0_17block_load_methodE3ELS4_3ELS4_3ELNS0_20block_scan_algorithmE0ELj4294967295EEENS1_25partition_config_selectorILNS1_17partition_subalgoE3EjNS0_10empty_typeEbEEZZNS1_14partition_implILS8_3ELb0ES6_jNS0_17counting_iteratorIjlEEPS9_SE_NS0_5tupleIJPjSE_EEENSF_IJSE_SE_EEES9_SG_JZNS1_25segmented_radix_sort_implINS0_14default_configELb0EPKbPbPKlPlN2at6native12_GLOBAL__N_18offset_tEEE10hipError_tPvRmT1_PNSt15iterator_traitsISY_E10value_typeET2_T3_PNSZ_IS14_E10value_typeET4_jRbjT5_S1A_jjP12ihipStream_tbEUljE_EEESV_SW_SX_S14_S18_S1A_T6_T7_T9_mT8_S1C_bDpT10_ENKUlT_T0_E_clISt17integral_constantIbLb1EES1O_IbLb0EEEEDaS1K_S1L_EUlS1K_E_NS1_11comp_targetILNS1_3genE3ELNS1_11target_archE908ELNS1_3gpuE7ELNS1_3repE0EEENS1_30default_config_static_selectorELNS0_4arch9wavefront6targetE1EEEvSY_,comdat
.Lfunc_end1622:
	.size	_ZN7rocprim17ROCPRIM_400000_NS6detail17trampoline_kernelINS0_13select_configILj256ELj13ELNS0_17block_load_methodE3ELS4_3ELS4_3ELNS0_20block_scan_algorithmE0ELj4294967295EEENS1_25partition_config_selectorILNS1_17partition_subalgoE3EjNS0_10empty_typeEbEEZZNS1_14partition_implILS8_3ELb0ES6_jNS0_17counting_iteratorIjlEEPS9_SE_NS0_5tupleIJPjSE_EEENSF_IJSE_SE_EEES9_SG_JZNS1_25segmented_radix_sort_implINS0_14default_configELb0EPKbPbPKlPlN2at6native12_GLOBAL__N_18offset_tEEE10hipError_tPvRmT1_PNSt15iterator_traitsISY_E10value_typeET2_T3_PNSZ_IS14_E10value_typeET4_jRbjT5_S1A_jjP12ihipStream_tbEUljE_EEESV_SW_SX_S14_S18_S1A_T6_T7_T9_mT8_S1C_bDpT10_ENKUlT_T0_E_clISt17integral_constantIbLb1EES1O_IbLb0EEEEDaS1K_S1L_EUlS1K_E_NS1_11comp_targetILNS1_3genE3ELNS1_11target_archE908ELNS1_3gpuE7ELNS1_3repE0EEENS1_30default_config_static_selectorELNS0_4arch9wavefront6targetE1EEEvSY_, .Lfunc_end1622-_ZN7rocprim17ROCPRIM_400000_NS6detail17trampoline_kernelINS0_13select_configILj256ELj13ELNS0_17block_load_methodE3ELS4_3ELS4_3ELNS0_20block_scan_algorithmE0ELj4294967295EEENS1_25partition_config_selectorILNS1_17partition_subalgoE3EjNS0_10empty_typeEbEEZZNS1_14partition_implILS8_3ELb0ES6_jNS0_17counting_iteratorIjlEEPS9_SE_NS0_5tupleIJPjSE_EEENSF_IJSE_SE_EEES9_SG_JZNS1_25segmented_radix_sort_implINS0_14default_configELb0EPKbPbPKlPlN2at6native12_GLOBAL__N_18offset_tEEE10hipError_tPvRmT1_PNSt15iterator_traitsISY_E10value_typeET2_T3_PNSZ_IS14_E10value_typeET4_jRbjT5_S1A_jjP12ihipStream_tbEUljE_EEESV_SW_SX_S14_S18_S1A_T6_T7_T9_mT8_S1C_bDpT10_ENKUlT_T0_E_clISt17integral_constantIbLb1EES1O_IbLb0EEEEDaS1K_S1L_EUlS1K_E_NS1_11comp_targetILNS1_3genE3ELNS1_11target_archE908ELNS1_3gpuE7ELNS1_3repE0EEENS1_30default_config_static_selectorELNS0_4arch9wavefront6targetE1EEEvSY_
                                        ; -- End function
	.set _ZN7rocprim17ROCPRIM_400000_NS6detail17trampoline_kernelINS0_13select_configILj256ELj13ELNS0_17block_load_methodE3ELS4_3ELS4_3ELNS0_20block_scan_algorithmE0ELj4294967295EEENS1_25partition_config_selectorILNS1_17partition_subalgoE3EjNS0_10empty_typeEbEEZZNS1_14partition_implILS8_3ELb0ES6_jNS0_17counting_iteratorIjlEEPS9_SE_NS0_5tupleIJPjSE_EEENSF_IJSE_SE_EEES9_SG_JZNS1_25segmented_radix_sort_implINS0_14default_configELb0EPKbPbPKlPlN2at6native12_GLOBAL__N_18offset_tEEE10hipError_tPvRmT1_PNSt15iterator_traitsISY_E10value_typeET2_T3_PNSZ_IS14_E10value_typeET4_jRbjT5_S1A_jjP12ihipStream_tbEUljE_EEESV_SW_SX_S14_S18_S1A_T6_T7_T9_mT8_S1C_bDpT10_ENKUlT_T0_E_clISt17integral_constantIbLb1EES1O_IbLb0EEEEDaS1K_S1L_EUlS1K_E_NS1_11comp_targetILNS1_3genE3ELNS1_11target_archE908ELNS1_3gpuE7ELNS1_3repE0EEENS1_30default_config_static_selectorELNS0_4arch9wavefront6targetE1EEEvSY_.num_vgpr, 0
	.set _ZN7rocprim17ROCPRIM_400000_NS6detail17trampoline_kernelINS0_13select_configILj256ELj13ELNS0_17block_load_methodE3ELS4_3ELS4_3ELNS0_20block_scan_algorithmE0ELj4294967295EEENS1_25partition_config_selectorILNS1_17partition_subalgoE3EjNS0_10empty_typeEbEEZZNS1_14partition_implILS8_3ELb0ES6_jNS0_17counting_iteratorIjlEEPS9_SE_NS0_5tupleIJPjSE_EEENSF_IJSE_SE_EEES9_SG_JZNS1_25segmented_radix_sort_implINS0_14default_configELb0EPKbPbPKlPlN2at6native12_GLOBAL__N_18offset_tEEE10hipError_tPvRmT1_PNSt15iterator_traitsISY_E10value_typeET2_T3_PNSZ_IS14_E10value_typeET4_jRbjT5_S1A_jjP12ihipStream_tbEUljE_EEESV_SW_SX_S14_S18_S1A_T6_T7_T9_mT8_S1C_bDpT10_ENKUlT_T0_E_clISt17integral_constantIbLb1EES1O_IbLb0EEEEDaS1K_S1L_EUlS1K_E_NS1_11comp_targetILNS1_3genE3ELNS1_11target_archE908ELNS1_3gpuE7ELNS1_3repE0EEENS1_30default_config_static_selectorELNS0_4arch9wavefront6targetE1EEEvSY_.num_agpr, 0
	.set _ZN7rocprim17ROCPRIM_400000_NS6detail17trampoline_kernelINS0_13select_configILj256ELj13ELNS0_17block_load_methodE3ELS4_3ELS4_3ELNS0_20block_scan_algorithmE0ELj4294967295EEENS1_25partition_config_selectorILNS1_17partition_subalgoE3EjNS0_10empty_typeEbEEZZNS1_14partition_implILS8_3ELb0ES6_jNS0_17counting_iteratorIjlEEPS9_SE_NS0_5tupleIJPjSE_EEENSF_IJSE_SE_EEES9_SG_JZNS1_25segmented_radix_sort_implINS0_14default_configELb0EPKbPbPKlPlN2at6native12_GLOBAL__N_18offset_tEEE10hipError_tPvRmT1_PNSt15iterator_traitsISY_E10value_typeET2_T3_PNSZ_IS14_E10value_typeET4_jRbjT5_S1A_jjP12ihipStream_tbEUljE_EEESV_SW_SX_S14_S18_S1A_T6_T7_T9_mT8_S1C_bDpT10_ENKUlT_T0_E_clISt17integral_constantIbLb1EES1O_IbLb0EEEEDaS1K_S1L_EUlS1K_E_NS1_11comp_targetILNS1_3genE3ELNS1_11target_archE908ELNS1_3gpuE7ELNS1_3repE0EEENS1_30default_config_static_selectorELNS0_4arch9wavefront6targetE1EEEvSY_.numbered_sgpr, 0
	.set _ZN7rocprim17ROCPRIM_400000_NS6detail17trampoline_kernelINS0_13select_configILj256ELj13ELNS0_17block_load_methodE3ELS4_3ELS4_3ELNS0_20block_scan_algorithmE0ELj4294967295EEENS1_25partition_config_selectorILNS1_17partition_subalgoE3EjNS0_10empty_typeEbEEZZNS1_14partition_implILS8_3ELb0ES6_jNS0_17counting_iteratorIjlEEPS9_SE_NS0_5tupleIJPjSE_EEENSF_IJSE_SE_EEES9_SG_JZNS1_25segmented_radix_sort_implINS0_14default_configELb0EPKbPbPKlPlN2at6native12_GLOBAL__N_18offset_tEEE10hipError_tPvRmT1_PNSt15iterator_traitsISY_E10value_typeET2_T3_PNSZ_IS14_E10value_typeET4_jRbjT5_S1A_jjP12ihipStream_tbEUljE_EEESV_SW_SX_S14_S18_S1A_T6_T7_T9_mT8_S1C_bDpT10_ENKUlT_T0_E_clISt17integral_constantIbLb1EES1O_IbLb0EEEEDaS1K_S1L_EUlS1K_E_NS1_11comp_targetILNS1_3genE3ELNS1_11target_archE908ELNS1_3gpuE7ELNS1_3repE0EEENS1_30default_config_static_selectorELNS0_4arch9wavefront6targetE1EEEvSY_.num_named_barrier, 0
	.set _ZN7rocprim17ROCPRIM_400000_NS6detail17trampoline_kernelINS0_13select_configILj256ELj13ELNS0_17block_load_methodE3ELS4_3ELS4_3ELNS0_20block_scan_algorithmE0ELj4294967295EEENS1_25partition_config_selectorILNS1_17partition_subalgoE3EjNS0_10empty_typeEbEEZZNS1_14partition_implILS8_3ELb0ES6_jNS0_17counting_iteratorIjlEEPS9_SE_NS0_5tupleIJPjSE_EEENSF_IJSE_SE_EEES9_SG_JZNS1_25segmented_radix_sort_implINS0_14default_configELb0EPKbPbPKlPlN2at6native12_GLOBAL__N_18offset_tEEE10hipError_tPvRmT1_PNSt15iterator_traitsISY_E10value_typeET2_T3_PNSZ_IS14_E10value_typeET4_jRbjT5_S1A_jjP12ihipStream_tbEUljE_EEESV_SW_SX_S14_S18_S1A_T6_T7_T9_mT8_S1C_bDpT10_ENKUlT_T0_E_clISt17integral_constantIbLb1EES1O_IbLb0EEEEDaS1K_S1L_EUlS1K_E_NS1_11comp_targetILNS1_3genE3ELNS1_11target_archE908ELNS1_3gpuE7ELNS1_3repE0EEENS1_30default_config_static_selectorELNS0_4arch9wavefront6targetE1EEEvSY_.private_seg_size, 0
	.set _ZN7rocprim17ROCPRIM_400000_NS6detail17trampoline_kernelINS0_13select_configILj256ELj13ELNS0_17block_load_methodE3ELS4_3ELS4_3ELNS0_20block_scan_algorithmE0ELj4294967295EEENS1_25partition_config_selectorILNS1_17partition_subalgoE3EjNS0_10empty_typeEbEEZZNS1_14partition_implILS8_3ELb0ES6_jNS0_17counting_iteratorIjlEEPS9_SE_NS0_5tupleIJPjSE_EEENSF_IJSE_SE_EEES9_SG_JZNS1_25segmented_radix_sort_implINS0_14default_configELb0EPKbPbPKlPlN2at6native12_GLOBAL__N_18offset_tEEE10hipError_tPvRmT1_PNSt15iterator_traitsISY_E10value_typeET2_T3_PNSZ_IS14_E10value_typeET4_jRbjT5_S1A_jjP12ihipStream_tbEUljE_EEESV_SW_SX_S14_S18_S1A_T6_T7_T9_mT8_S1C_bDpT10_ENKUlT_T0_E_clISt17integral_constantIbLb1EES1O_IbLb0EEEEDaS1K_S1L_EUlS1K_E_NS1_11comp_targetILNS1_3genE3ELNS1_11target_archE908ELNS1_3gpuE7ELNS1_3repE0EEENS1_30default_config_static_selectorELNS0_4arch9wavefront6targetE1EEEvSY_.uses_vcc, 0
	.set _ZN7rocprim17ROCPRIM_400000_NS6detail17trampoline_kernelINS0_13select_configILj256ELj13ELNS0_17block_load_methodE3ELS4_3ELS4_3ELNS0_20block_scan_algorithmE0ELj4294967295EEENS1_25partition_config_selectorILNS1_17partition_subalgoE3EjNS0_10empty_typeEbEEZZNS1_14partition_implILS8_3ELb0ES6_jNS0_17counting_iteratorIjlEEPS9_SE_NS0_5tupleIJPjSE_EEENSF_IJSE_SE_EEES9_SG_JZNS1_25segmented_radix_sort_implINS0_14default_configELb0EPKbPbPKlPlN2at6native12_GLOBAL__N_18offset_tEEE10hipError_tPvRmT1_PNSt15iterator_traitsISY_E10value_typeET2_T3_PNSZ_IS14_E10value_typeET4_jRbjT5_S1A_jjP12ihipStream_tbEUljE_EEESV_SW_SX_S14_S18_S1A_T6_T7_T9_mT8_S1C_bDpT10_ENKUlT_T0_E_clISt17integral_constantIbLb1EES1O_IbLb0EEEEDaS1K_S1L_EUlS1K_E_NS1_11comp_targetILNS1_3genE3ELNS1_11target_archE908ELNS1_3gpuE7ELNS1_3repE0EEENS1_30default_config_static_selectorELNS0_4arch9wavefront6targetE1EEEvSY_.uses_flat_scratch, 0
	.set _ZN7rocprim17ROCPRIM_400000_NS6detail17trampoline_kernelINS0_13select_configILj256ELj13ELNS0_17block_load_methodE3ELS4_3ELS4_3ELNS0_20block_scan_algorithmE0ELj4294967295EEENS1_25partition_config_selectorILNS1_17partition_subalgoE3EjNS0_10empty_typeEbEEZZNS1_14partition_implILS8_3ELb0ES6_jNS0_17counting_iteratorIjlEEPS9_SE_NS0_5tupleIJPjSE_EEENSF_IJSE_SE_EEES9_SG_JZNS1_25segmented_radix_sort_implINS0_14default_configELb0EPKbPbPKlPlN2at6native12_GLOBAL__N_18offset_tEEE10hipError_tPvRmT1_PNSt15iterator_traitsISY_E10value_typeET2_T3_PNSZ_IS14_E10value_typeET4_jRbjT5_S1A_jjP12ihipStream_tbEUljE_EEESV_SW_SX_S14_S18_S1A_T6_T7_T9_mT8_S1C_bDpT10_ENKUlT_T0_E_clISt17integral_constantIbLb1EES1O_IbLb0EEEEDaS1K_S1L_EUlS1K_E_NS1_11comp_targetILNS1_3genE3ELNS1_11target_archE908ELNS1_3gpuE7ELNS1_3repE0EEENS1_30default_config_static_selectorELNS0_4arch9wavefront6targetE1EEEvSY_.has_dyn_sized_stack, 0
	.set _ZN7rocprim17ROCPRIM_400000_NS6detail17trampoline_kernelINS0_13select_configILj256ELj13ELNS0_17block_load_methodE3ELS4_3ELS4_3ELNS0_20block_scan_algorithmE0ELj4294967295EEENS1_25partition_config_selectorILNS1_17partition_subalgoE3EjNS0_10empty_typeEbEEZZNS1_14partition_implILS8_3ELb0ES6_jNS0_17counting_iteratorIjlEEPS9_SE_NS0_5tupleIJPjSE_EEENSF_IJSE_SE_EEES9_SG_JZNS1_25segmented_radix_sort_implINS0_14default_configELb0EPKbPbPKlPlN2at6native12_GLOBAL__N_18offset_tEEE10hipError_tPvRmT1_PNSt15iterator_traitsISY_E10value_typeET2_T3_PNSZ_IS14_E10value_typeET4_jRbjT5_S1A_jjP12ihipStream_tbEUljE_EEESV_SW_SX_S14_S18_S1A_T6_T7_T9_mT8_S1C_bDpT10_ENKUlT_T0_E_clISt17integral_constantIbLb1EES1O_IbLb0EEEEDaS1K_S1L_EUlS1K_E_NS1_11comp_targetILNS1_3genE3ELNS1_11target_archE908ELNS1_3gpuE7ELNS1_3repE0EEENS1_30default_config_static_selectorELNS0_4arch9wavefront6targetE1EEEvSY_.has_recursion, 0
	.set _ZN7rocprim17ROCPRIM_400000_NS6detail17trampoline_kernelINS0_13select_configILj256ELj13ELNS0_17block_load_methodE3ELS4_3ELS4_3ELNS0_20block_scan_algorithmE0ELj4294967295EEENS1_25partition_config_selectorILNS1_17partition_subalgoE3EjNS0_10empty_typeEbEEZZNS1_14partition_implILS8_3ELb0ES6_jNS0_17counting_iteratorIjlEEPS9_SE_NS0_5tupleIJPjSE_EEENSF_IJSE_SE_EEES9_SG_JZNS1_25segmented_radix_sort_implINS0_14default_configELb0EPKbPbPKlPlN2at6native12_GLOBAL__N_18offset_tEEE10hipError_tPvRmT1_PNSt15iterator_traitsISY_E10value_typeET2_T3_PNSZ_IS14_E10value_typeET4_jRbjT5_S1A_jjP12ihipStream_tbEUljE_EEESV_SW_SX_S14_S18_S1A_T6_T7_T9_mT8_S1C_bDpT10_ENKUlT_T0_E_clISt17integral_constantIbLb1EES1O_IbLb0EEEEDaS1K_S1L_EUlS1K_E_NS1_11comp_targetILNS1_3genE3ELNS1_11target_archE908ELNS1_3gpuE7ELNS1_3repE0EEENS1_30default_config_static_selectorELNS0_4arch9wavefront6targetE1EEEvSY_.has_indirect_call, 0
	.section	.AMDGPU.csdata,"",@progbits
; Kernel info:
; codeLenInByte = 0
; TotalNumSgprs: 4
; NumVgprs: 0
; ScratchSize: 0
; MemoryBound: 0
; FloatMode: 240
; IeeeMode: 1
; LDSByteSize: 0 bytes/workgroup (compile time only)
; SGPRBlocks: 0
; VGPRBlocks: 0
; NumSGPRsForWavesPerEU: 4
; NumVGPRsForWavesPerEU: 1
; Occupancy: 10
; WaveLimiterHint : 0
; COMPUTE_PGM_RSRC2:SCRATCH_EN: 0
; COMPUTE_PGM_RSRC2:USER_SGPR: 6
; COMPUTE_PGM_RSRC2:TRAP_HANDLER: 0
; COMPUTE_PGM_RSRC2:TGID_X_EN: 1
; COMPUTE_PGM_RSRC2:TGID_Y_EN: 0
; COMPUTE_PGM_RSRC2:TGID_Z_EN: 0
; COMPUTE_PGM_RSRC2:TIDIG_COMP_CNT: 0
	.section	.text._ZN7rocprim17ROCPRIM_400000_NS6detail17trampoline_kernelINS0_13select_configILj256ELj13ELNS0_17block_load_methodE3ELS4_3ELS4_3ELNS0_20block_scan_algorithmE0ELj4294967295EEENS1_25partition_config_selectorILNS1_17partition_subalgoE3EjNS0_10empty_typeEbEEZZNS1_14partition_implILS8_3ELb0ES6_jNS0_17counting_iteratorIjlEEPS9_SE_NS0_5tupleIJPjSE_EEENSF_IJSE_SE_EEES9_SG_JZNS1_25segmented_radix_sort_implINS0_14default_configELb0EPKbPbPKlPlN2at6native12_GLOBAL__N_18offset_tEEE10hipError_tPvRmT1_PNSt15iterator_traitsISY_E10value_typeET2_T3_PNSZ_IS14_E10value_typeET4_jRbjT5_S1A_jjP12ihipStream_tbEUljE_EEESV_SW_SX_S14_S18_S1A_T6_T7_T9_mT8_S1C_bDpT10_ENKUlT_T0_E_clISt17integral_constantIbLb1EES1O_IbLb0EEEEDaS1K_S1L_EUlS1K_E_NS1_11comp_targetILNS1_3genE2ELNS1_11target_archE906ELNS1_3gpuE6ELNS1_3repE0EEENS1_30default_config_static_selectorELNS0_4arch9wavefront6targetE1EEEvSY_,"axG",@progbits,_ZN7rocprim17ROCPRIM_400000_NS6detail17trampoline_kernelINS0_13select_configILj256ELj13ELNS0_17block_load_methodE3ELS4_3ELS4_3ELNS0_20block_scan_algorithmE0ELj4294967295EEENS1_25partition_config_selectorILNS1_17partition_subalgoE3EjNS0_10empty_typeEbEEZZNS1_14partition_implILS8_3ELb0ES6_jNS0_17counting_iteratorIjlEEPS9_SE_NS0_5tupleIJPjSE_EEENSF_IJSE_SE_EEES9_SG_JZNS1_25segmented_radix_sort_implINS0_14default_configELb0EPKbPbPKlPlN2at6native12_GLOBAL__N_18offset_tEEE10hipError_tPvRmT1_PNSt15iterator_traitsISY_E10value_typeET2_T3_PNSZ_IS14_E10value_typeET4_jRbjT5_S1A_jjP12ihipStream_tbEUljE_EEESV_SW_SX_S14_S18_S1A_T6_T7_T9_mT8_S1C_bDpT10_ENKUlT_T0_E_clISt17integral_constantIbLb1EES1O_IbLb0EEEEDaS1K_S1L_EUlS1K_E_NS1_11comp_targetILNS1_3genE2ELNS1_11target_archE906ELNS1_3gpuE6ELNS1_3repE0EEENS1_30default_config_static_selectorELNS0_4arch9wavefront6targetE1EEEvSY_,comdat
	.globl	_ZN7rocprim17ROCPRIM_400000_NS6detail17trampoline_kernelINS0_13select_configILj256ELj13ELNS0_17block_load_methodE3ELS4_3ELS4_3ELNS0_20block_scan_algorithmE0ELj4294967295EEENS1_25partition_config_selectorILNS1_17partition_subalgoE3EjNS0_10empty_typeEbEEZZNS1_14partition_implILS8_3ELb0ES6_jNS0_17counting_iteratorIjlEEPS9_SE_NS0_5tupleIJPjSE_EEENSF_IJSE_SE_EEES9_SG_JZNS1_25segmented_radix_sort_implINS0_14default_configELb0EPKbPbPKlPlN2at6native12_GLOBAL__N_18offset_tEEE10hipError_tPvRmT1_PNSt15iterator_traitsISY_E10value_typeET2_T3_PNSZ_IS14_E10value_typeET4_jRbjT5_S1A_jjP12ihipStream_tbEUljE_EEESV_SW_SX_S14_S18_S1A_T6_T7_T9_mT8_S1C_bDpT10_ENKUlT_T0_E_clISt17integral_constantIbLb1EES1O_IbLb0EEEEDaS1K_S1L_EUlS1K_E_NS1_11comp_targetILNS1_3genE2ELNS1_11target_archE906ELNS1_3gpuE6ELNS1_3repE0EEENS1_30default_config_static_selectorELNS0_4arch9wavefront6targetE1EEEvSY_ ; -- Begin function _ZN7rocprim17ROCPRIM_400000_NS6detail17trampoline_kernelINS0_13select_configILj256ELj13ELNS0_17block_load_methodE3ELS4_3ELS4_3ELNS0_20block_scan_algorithmE0ELj4294967295EEENS1_25partition_config_selectorILNS1_17partition_subalgoE3EjNS0_10empty_typeEbEEZZNS1_14partition_implILS8_3ELb0ES6_jNS0_17counting_iteratorIjlEEPS9_SE_NS0_5tupleIJPjSE_EEENSF_IJSE_SE_EEES9_SG_JZNS1_25segmented_radix_sort_implINS0_14default_configELb0EPKbPbPKlPlN2at6native12_GLOBAL__N_18offset_tEEE10hipError_tPvRmT1_PNSt15iterator_traitsISY_E10value_typeET2_T3_PNSZ_IS14_E10value_typeET4_jRbjT5_S1A_jjP12ihipStream_tbEUljE_EEESV_SW_SX_S14_S18_S1A_T6_T7_T9_mT8_S1C_bDpT10_ENKUlT_T0_E_clISt17integral_constantIbLb1EES1O_IbLb0EEEEDaS1K_S1L_EUlS1K_E_NS1_11comp_targetILNS1_3genE2ELNS1_11target_archE906ELNS1_3gpuE6ELNS1_3repE0EEENS1_30default_config_static_selectorELNS0_4arch9wavefront6targetE1EEEvSY_
	.p2align	8
	.type	_ZN7rocprim17ROCPRIM_400000_NS6detail17trampoline_kernelINS0_13select_configILj256ELj13ELNS0_17block_load_methodE3ELS4_3ELS4_3ELNS0_20block_scan_algorithmE0ELj4294967295EEENS1_25partition_config_selectorILNS1_17partition_subalgoE3EjNS0_10empty_typeEbEEZZNS1_14partition_implILS8_3ELb0ES6_jNS0_17counting_iteratorIjlEEPS9_SE_NS0_5tupleIJPjSE_EEENSF_IJSE_SE_EEES9_SG_JZNS1_25segmented_radix_sort_implINS0_14default_configELb0EPKbPbPKlPlN2at6native12_GLOBAL__N_18offset_tEEE10hipError_tPvRmT1_PNSt15iterator_traitsISY_E10value_typeET2_T3_PNSZ_IS14_E10value_typeET4_jRbjT5_S1A_jjP12ihipStream_tbEUljE_EEESV_SW_SX_S14_S18_S1A_T6_T7_T9_mT8_S1C_bDpT10_ENKUlT_T0_E_clISt17integral_constantIbLb1EES1O_IbLb0EEEEDaS1K_S1L_EUlS1K_E_NS1_11comp_targetILNS1_3genE2ELNS1_11target_archE906ELNS1_3gpuE6ELNS1_3repE0EEENS1_30default_config_static_selectorELNS0_4arch9wavefront6targetE1EEEvSY_,@function
_ZN7rocprim17ROCPRIM_400000_NS6detail17trampoline_kernelINS0_13select_configILj256ELj13ELNS0_17block_load_methodE3ELS4_3ELS4_3ELNS0_20block_scan_algorithmE0ELj4294967295EEENS1_25partition_config_selectorILNS1_17partition_subalgoE3EjNS0_10empty_typeEbEEZZNS1_14partition_implILS8_3ELb0ES6_jNS0_17counting_iteratorIjlEEPS9_SE_NS0_5tupleIJPjSE_EEENSF_IJSE_SE_EEES9_SG_JZNS1_25segmented_radix_sort_implINS0_14default_configELb0EPKbPbPKlPlN2at6native12_GLOBAL__N_18offset_tEEE10hipError_tPvRmT1_PNSt15iterator_traitsISY_E10value_typeET2_T3_PNSZ_IS14_E10value_typeET4_jRbjT5_S1A_jjP12ihipStream_tbEUljE_EEESV_SW_SX_S14_S18_S1A_T6_T7_T9_mT8_S1C_bDpT10_ENKUlT_T0_E_clISt17integral_constantIbLb1EES1O_IbLb0EEEEDaS1K_S1L_EUlS1K_E_NS1_11comp_targetILNS1_3genE2ELNS1_11target_archE906ELNS1_3gpuE6ELNS1_3repE0EEENS1_30default_config_static_selectorELNS0_4arch9wavefront6targetE1EEEvSY_: ; @_ZN7rocprim17ROCPRIM_400000_NS6detail17trampoline_kernelINS0_13select_configILj256ELj13ELNS0_17block_load_methodE3ELS4_3ELS4_3ELNS0_20block_scan_algorithmE0ELj4294967295EEENS1_25partition_config_selectorILNS1_17partition_subalgoE3EjNS0_10empty_typeEbEEZZNS1_14partition_implILS8_3ELb0ES6_jNS0_17counting_iteratorIjlEEPS9_SE_NS0_5tupleIJPjSE_EEENSF_IJSE_SE_EEES9_SG_JZNS1_25segmented_radix_sort_implINS0_14default_configELb0EPKbPbPKlPlN2at6native12_GLOBAL__N_18offset_tEEE10hipError_tPvRmT1_PNSt15iterator_traitsISY_E10value_typeET2_T3_PNSZ_IS14_E10value_typeET4_jRbjT5_S1A_jjP12ihipStream_tbEUljE_EEESV_SW_SX_S14_S18_S1A_T6_T7_T9_mT8_S1C_bDpT10_ENKUlT_T0_E_clISt17integral_constantIbLb1EES1O_IbLb0EEEEDaS1K_S1L_EUlS1K_E_NS1_11comp_targetILNS1_3genE2ELNS1_11target_archE906ELNS1_3gpuE6ELNS1_3repE0EEENS1_30default_config_static_selectorELNS0_4arch9wavefront6targetE1EEEvSY_
; %bb.0:
	s_endpgm
	.section	.rodata,"a",@progbits
	.p2align	6, 0x0
	.amdhsa_kernel _ZN7rocprim17ROCPRIM_400000_NS6detail17trampoline_kernelINS0_13select_configILj256ELj13ELNS0_17block_load_methodE3ELS4_3ELS4_3ELNS0_20block_scan_algorithmE0ELj4294967295EEENS1_25partition_config_selectorILNS1_17partition_subalgoE3EjNS0_10empty_typeEbEEZZNS1_14partition_implILS8_3ELb0ES6_jNS0_17counting_iteratorIjlEEPS9_SE_NS0_5tupleIJPjSE_EEENSF_IJSE_SE_EEES9_SG_JZNS1_25segmented_radix_sort_implINS0_14default_configELb0EPKbPbPKlPlN2at6native12_GLOBAL__N_18offset_tEEE10hipError_tPvRmT1_PNSt15iterator_traitsISY_E10value_typeET2_T3_PNSZ_IS14_E10value_typeET4_jRbjT5_S1A_jjP12ihipStream_tbEUljE_EEESV_SW_SX_S14_S18_S1A_T6_T7_T9_mT8_S1C_bDpT10_ENKUlT_T0_E_clISt17integral_constantIbLb1EES1O_IbLb0EEEEDaS1K_S1L_EUlS1K_E_NS1_11comp_targetILNS1_3genE2ELNS1_11target_archE906ELNS1_3gpuE6ELNS1_3repE0EEENS1_30default_config_static_selectorELNS0_4arch9wavefront6targetE1EEEvSY_
		.amdhsa_group_segment_fixed_size 0
		.amdhsa_private_segment_fixed_size 0
		.amdhsa_kernarg_size 144
		.amdhsa_user_sgpr_count 6
		.amdhsa_user_sgpr_private_segment_buffer 1
		.amdhsa_user_sgpr_dispatch_ptr 0
		.amdhsa_user_sgpr_queue_ptr 0
		.amdhsa_user_sgpr_kernarg_segment_ptr 1
		.amdhsa_user_sgpr_dispatch_id 0
		.amdhsa_user_sgpr_flat_scratch_init 0
		.amdhsa_user_sgpr_private_segment_size 0
		.amdhsa_uses_dynamic_stack 0
		.amdhsa_system_sgpr_private_segment_wavefront_offset 0
		.amdhsa_system_sgpr_workgroup_id_x 1
		.amdhsa_system_sgpr_workgroup_id_y 0
		.amdhsa_system_sgpr_workgroup_id_z 0
		.amdhsa_system_sgpr_workgroup_info 0
		.amdhsa_system_vgpr_workitem_id 0
		.amdhsa_next_free_vgpr 1
		.amdhsa_next_free_sgpr 0
		.amdhsa_reserve_vcc 0
		.amdhsa_reserve_flat_scratch 0
		.amdhsa_float_round_mode_32 0
		.amdhsa_float_round_mode_16_64 0
		.amdhsa_float_denorm_mode_32 3
		.amdhsa_float_denorm_mode_16_64 3
		.amdhsa_dx10_clamp 1
		.amdhsa_ieee_mode 1
		.amdhsa_fp16_overflow 0
		.amdhsa_exception_fp_ieee_invalid_op 0
		.amdhsa_exception_fp_denorm_src 0
		.amdhsa_exception_fp_ieee_div_zero 0
		.amdhsa_exception_fp_ieee_overflow 0
		.amdhsa_exception_fp_ieee_underflow 0
		.amdhsa_exception_fp_ieee_inexact 0
		.amdhsa_exception_int_div_zero 0
	.end_amdhsa_kernel
	.section	.text._ZN7rocprim17ROCPRIM_400000_NS6detail17trampoline_kernelINS0_13select_configILj256ELj13ELNS0_17block_load_methodE3ELS4_3ELS4_3ELNS0_20block_scan_algorithmE0ELj4294967295EEENS1_25partition_config_selectorILNS1_17partition_subalgoE3EjNS0_10empty_typeEbEEZZNS1_14partition_implILS8_3ELb0ES6_jNS0_17counting_iteratorIjlEEPS9_SE_NS0_5tupleIJPjSE_EEENSF_IJSE_SE_EEES9_SG_JZNS1_25segmented_radix_sort_implINS0_14default_configELb0EPKbPbPKlPlN2at6native12_GLOBAL__N_18offset_tEEE10hipError_tPvRmT1_PNSt15iterator_traitsISY_E10value_typeET2_T3_PNSZ_IS14_E10value_typeET4_jRbjT5_S1A_jjP12ihipStream_tbEUljE_EEESV_SW_SX_S14_S18_S1A_T6_T7_T9_mT8_S1C_bDpT10_ENKUlT_T0_E_clISt17integral_constantIbLb1EES1O_IbLb0EEEEDaS1K_S1L_EUlS1K_E_NS1_11comp_targetILNS1_3genE2ELNS1_11target_archE906ELNS1_3gpuE6ELNS1_3repE0EEENS1_30default_config_static_selectorELNS0_4arch9wavefront6targetE1EEEvSY_,"axG",@progbits,_ZN7rocprim17ROCPRIM_400000_NS6detail17trampoline_kernelINS0_13select_configILj256ELj13ELNS0_17block_load_methodE3ELS4_3ELS4_3ELNS0_20block_scan_algorithmE0ELj4294967295EEENS1_25partition_config_selectorILNS1_17partition_subalgoE3EjNS0_10empty_typeEbEEZZNS1_14partition_implILS8_3ELb0ES6_jNS0_17counting_iteratorIjlEEPS9_SE_NS0_5tupleIJPjSE_EEENSF_IJSE_SE_EEES9_SG_JZNS1_25segmented_radix_sort_implINS0_14default_configELb0EPKbPbPKlPlN2at6native12_GLOBAL__N_18offset_tEEE10hipError_tPvRmT1_PNSt15iterator_traitsISY_E10value_typeET2_T3_PNSZ_IS14_E10value_typeET4_jRbjT5_S1A_jjP12ihipStream_tbEUljE_EEESV_SW_SX_S14_S18_S1A_T6_T7_T9_mT8_S1C_bDpT10_ENKUlT_T0_E_clISt17integral_constantIbLb1EES1O_IbLb0EEEEDaS1K_S1L_EUlS1K_E_NS1_11comp_targetILNS1_3genE2ELNS1_11target_archE906ELNS1_3gpuE6ELNS1_3repE0EEENS1_30default_config_static_selectorELNS0_4arch9wavefront6targetE1EEEvSY_,comdat
.Lfunc_end1623:
	.size	_ZN7rocprim17ROCPRIM_400000_NS6detail17trampoline_kernelINS0_13select_configILj256ELj13ELNS0_17block_load_methodE3ELS4_3ELS4_3ELNS0_20block_scan_algorithmE0ELj4294967295EEENS1_25partition_config_selectorILNS1_17partition_subalgoE3EjNS0_10empty_typeEbEEZZNS1_14partition_implILS8_3ELb0ES6_jNS0_17counting_iteratorIjlEEPS9_SE_NS0_5tupleIJPjSE_EEENSF_IJSE_SE_EEES9_SG_JZNS1_25segmented_radix_sort_implINS0_14default_configELb0EPKbPbPKlPlN2at6native12_GLOBAL__N_18offset_tEEE10hipError_tPvRmT1_PNSt15iterator_traitsISY_E10value_typeET2_T3_PNSZ_IS14_E10value_typeET4_jRbjT5_S1A_jjP12ihipStream_tbEUljE_EEESV_SW_SX_S14_S18_S1A_T6_T7_T9_mT8_S1C_bDpT10_ENKUlT_T0_E_clISt17integral_constantIbLb1EES1O_IbLb0EEEEDaS1K_S1L_EUlS1K_E_NS1_11comp_targetILNS1_3genE2ELNS1_11target_archE906ELNS1_3gpuE6ELNS1_3repE0EEENS1_30default_config_static_selectorELNS0_4arch9wavefront6targetE1EEEvSY_, .Lfunc_end1623-_ZN7rocprim17ROCPRIM_400000_NS6detail17trampoline_kernelINS0_13select_configILj256ELj13ELNS0_17block_load_methodE3ELS4_3ELS4_3ELNS0_20block_scan_algorithmE0ELj4294967295EEENS1_25partition_config_selectorILNS1_17partition_subalgoE3EjNS0_10empty_typeEbEEZZNS1_14partition_implILS8_3ELb0ES6_jNS0_17counting_iteratorIjlEEPS9_SE_NS0_5tupleIJPjSE_EEENSF_IJSE_SE_EEES9_SG_JZNS1_25segmented_radix_sort_implINS0_14default_configELb0EPKbPbPKlPlN2at6native12_GLOBAL__N_18offset_tEEE10hipError_tPvRmT1_PNSt15iterator_traitsISY_E10value_typeET2_T3_PNSZ_IS14_E10value_typeET4_jRbjT5_S1A_jjP12ihipStream_tbEUljE_EEESV_SW_SX_S14_S18_S1A_T6_T7_T9_mT8_S1C_bDpT10_ENKUlT_T0_E_clISt17integral_constantIbLb1EES1O_IbLb0EEEEDaS1K_S1L_EUlS1K_E_NS1_11comp_targetILNS1_3genE2ELNS1_11target_archE906ELNS1_3gpuE6ELNS1_3repE0EEENS1_30default_config_static_selectorELNS0_4arch9wavefront6targetE1EEEvSY_
                                        ; -- End function
	.set _ZN7rocprim17ROCPRIM_400000_NS6detail17trampoline_kernelINS0_13select_configILj256ELj13ELNS0_17block_load_methodE3ELS4_3ELS4_3ELNS0_20block_scan_algorithmE0ELj4294967295EEENS1_25partition_config_selectorILNS1_17partition_subalgoE3EjNS0_10empty_typeEbEEZZNS1_14partition_implILS8_3ELb0ES6_jNS0_17counting_iteratorIjlEEPS9_SE_NS0_5tupleIJPjSE_EEENSF_IJSE_SE_EEES9_SG_JZNS1_25segmented_radix_sort_implINS0_14default_configELb0EPKbPbPKlPlN2at6native12_GLOBAL__N_18offset_tEEE10hipError_tPvRmT1_PNSt15iterator_traitsISY_E10value_typeET2_T3_PNSZ_IS14_E10value_typeET4_jRbjT5_S1A_jjP12ihipStream_tbEUljE_EEESV_SW_SX_S14_S18_S1A_T6_T7_T9_mT8_S1C_bDpT10_ENKUlT_T0_E_clISt17integral_constantIbLb1EES1O_IbLb0EEEEDaS1K_S1L_EUlS1K_E_NS1_11comp_targetILNS1_3genE2ELNS1_11target_archE906ELNS1_3gpuE6ELNS1_3repE0EEENS1_30default_config_static_selectorELNS0_4arch9wavefront6targetE1EEEvSY_.num_vgpr, 0
	.set _ZN7rocprim17ROCPRIM_400000_NS6detail17trampoline_kernelINS0_13select_configILj256ELj13ELNS0_17block_load_methodE3ELS4_3ELS4_3ELNS0_20block_scan_algorithmE0ELj4294967295EEENS1_25partition_config_selectorILNS1_17partition_subalgoE3EjNS0_10empty_typeEbEEZZNS1_14partition_implILS8_3ELb0ES6_jNS0_17counting_iteratorIjlEEPS9_SE_NS0_5tupleIJPjSE_EEENSF_IJSE_SE_EEES9_SG_JZNS1_25segmented_radix_sort_implINS0_14default_configELb0EPKbPbPKlPlN2at6native12_GLOBAL__N_18offset_tEEE10hipError_tPvRmT1_PNSt15iterator_traitsISY_E10value_typeET2_T3_PNSZ_IS14_E10value_typeET4_jRbjT5_S1A_jjP12ihipStream_tbEUljE_EEESV_SW_SX_S14_S18_S1A_T6_T7_T9_mT8_S1C_bDpT10_ENKUlT_T0_E_clISt17integral_constantIbLb1EES1O_IbLb0EEEEDaS1K_S1L_EUlS1K_E_NS1_11comp_targetILNS1_3genE2ELNS1_11target_archE906ELNS1_3gpuE6ELNS1_3repE0EEENS1_30default_config_static_selectorELNS0_4arch9wavefront6targetE1EEEvSY_.num_agpr, 0
	.set _ZN7rocprim17ROCPRIM_400000_NS6detail17trampoline_kernelINS0_13select_configILj256ELj13ELNS0_17block_load_methodE3ELS4_3ELS4_3ELNS0_20block_scan_algorithmE0ELj4294967295EEENS1_25partition_config_selectorILNS1_17partition_subalgoE3EjNS0_10empty_typeEbEEZZNS1_14partition_implILS8_3ELb0ES6_jNS0_17counting_iteratorIjlEEPS9_SE_NS0_5tupleIJPjSE_EEENSF_IJSE_SE_EEES9_SG_JZNS1_25segmented_radix_sort_implINS0_14default_configELb0EPKbPbPKlPlN2at6native12_GLOBAL__N_18offset_tEEE10hipError_tPvRmT1_PNSt15iterator_traitsISY_E10value_typeET2_T3_PNSZ_IS14_E10value_typeET4_jRbjT5_S1A_jjP12ihipStream_tbEUljE_EEESV_SW_SX_S14_S18_S1A_T6_T7_T9_mT8_S1C_bDpT10_ENKUlT_T0_E_clISt17integral_constantIbLb1EES1O_IbLb0EEEEDaS1K_S1L_EUlS1K_E_NS1_11comp_targetILNS1_3genE2ELNS1_11target_archE906ELNS1_3gpuE6ELNS1_3repE0EEENS1_30default_config_static_selectorELNS0_4arch9wavefront6targetE1EEEvSY_.numbered_sgpr, 0
	.set _ZN7rocprim17ROCPRIM_400000_NS6detail17trampoline_kernelINS0_13select_configILj256ELj13ELNS0_17block_load_methodE3ELS4_3ELS4_3ELNS0_20block_scan_algorithmE0ELj4294967295EEENS1_25partition_config_selectorILNS1_17partition_subalgoE3EjNS0_10empty_typeEbEEZZNS1_14partition_implILS8_3ELb0ES6_jNS0_17counting_iteratorIjlEEPS9_SE_NS0_5tupleIJPjSE_EEENSF_IJSE_SE_EEES9_SG_JZNS1_25segmented_radix_sort_implINS0_14default_configELb0EPKbPbPKlPlN2at6native12_GLOBAL__N_18offset_tEEE10hipError_tPvRmT1_PNSt15iterator_traitsISY_E10value_typeET2_T3_PNSZ_IS14_E10value_typeET4_jRbjT5_S1A_jjP12ihipStream_tbEUljE_EEESV_SW_SX_S14_S18_S1A_T6_T7_T9_mT8_S1C_bDpT10_ENKUlT_T0_E_clISt17integral_constantIbLb1EES1O_IbLb0EEEEDaS1K_S1L_EUlS1K_E_NS1_11comp_targetILNS1_3genE2ELNS1_11target_archE906ELNS1_3gpuE6ELNS1_3repE0EEENS1_30default_config_static_selectorELNS0_4arch9wavefront6targetE1EEEvSY_.num_named_barrier, 0
	.set _ZN7rocprim17ROCPRIM_400000_NS6detail17trampoline_kernelINS0_13select_configILj256ELj13ELNS0_17block_load_methodE3ELS4_3ELS4_3ELNS0_20block_scan_algorithmE0ELj4294967295EEENS1_25partition_config_selectorILNS1_17partition_subalgoE3EjNS0_10empty_typeEbEEZZNS1_14partition_implILS8_3ELb0ES6_jNS0_17counting_iteratorIjlEEPS9_SE_NS0_5tupleIJPjSE_EEENSF_IJSE_SE_EEES9_SG_JZNS1_25segmented_radix_sort_implINS0_14default_configELb0EPKbPbPKlPlN2at6native12_GLOBAL__N_18offset_tEEE10hipError_tPvRmT1_PNSt15iterator_traitsISY_E10value_typeET2_T3_PNSZ_IS14_E10value_typeET4_jRbjT5_S1A_jjP12ihipStream_tbEUljE_EEESV_SW_SX_S14_S18_S1A_T6_T7_T9_mT8_S1C_bDpT10_ENKUlT_T0_E_clISt17integral_constantIbLb1EES1O_IbLb0EEEEDaS1K_S1L_EUlS1K_E_NS1_11comp_targetILNS1_3genE2ELNS1_11target_archE906ELNS1_3gpuE6ELNS1_3repE0EEENS1_30default_config_static_selectorELNS0_4arch9wavefront6targetE1EEEvSY_.private_seg_size, 0
	.set _ZN7rocprim17ROCPRIM_400000_NS6detail17trampoline_kernelINS0_13select_configILj256ELj13ELNS0_17block_load_methodE3ELS4_3ELS4_3ELNS0_20block_scan_algorithmE0ELj4294967295EEENS1_25partition_config_selectorILNS1_17partition_subalgoE3EjNS0_10empty_typeEbEEZZNS1_14partition_implILS8_3ELb0ES6_jNS0_17counting_iteratorIjlEEPS9_SE_NS0_5tupleIJPjSE_EEENSF_IJSE_SE_EEES9_SG_JZNS1_25segmented_radix_sort_implINS0_14default_configELb0EPKbPbPKlPlN2at6native12_GLOBAL__N_18offset_tEEE10hipError_tPvRmT1_PNSt15iterator_traitsISY_E10value_typeET2_T3_PNSZ_IS14_E10value_typeET4_jRbjT5_S1A_jjP12ihipStream_tbEUljE_EEESV_SW_SX_S14_S18_S1A_T6_T7_T9_mT8_S1C_bDpT10_ENKUlT_T0_E_clISt17integral_constantIbLb1EES1O_IbLb0EEEEDaS1K_S1L_EUlS1K_E_NS1_11comp_targetILNS1_3genE2ELNS1_11target_archE906ELNS1_3gpuE6ELNS1_3repE0EEENS1_30default_config_static_selectorELNS0_4arch9wavefront6targetE1EEEvSY_.uses_vcc, 0
	.set _ZN7rocprim17ROCPRIM_400000_NS6detail17trampoline_kernelINS0_13select_configILj256ELj13ELNS0_17block_load_methodE3ELS4_3ELS4_3ELNS0_20block_scan_algorithmE0ELj4294967295EEENS1_25partition_config_selectorILNS1_17partition_subalgoE3EjNS0_10empty_typeEbEEZZNS1_14partition_implILS8_3ELb0ES6_jNS0_17counting_iteratorIjlEEPS9_SE_NS0_5tupleIJPjSE_EEENSF_IJSE_SE_EEES9_SG_JZNS1_25segmented_radix_sort_implINS0_14default_configELb0EPKbPbPKlPlN2at6native12_GLOBAL__N_18offset_tEEE10hipError_tPvRmT1_PNSt15iterator_traitsISY_E10value_typeET2_T3_PNSZ_IS14_E10value_typeET4_jRbjT5_S1A_jjP12ihipStream_tbEUljE_EEESV_SW_SX_S14_S18_S1A_T6_T7_T9_mT8_S1C_bDpT10_ENKUlT_T0_E_clISt17integral_constantIbLb1EES1O_IbLb0EEEEDaS1K_S1L_EUlS1K_E_NS1_11comp_targetILNS1_3genE2ELNS1_11target_archE906ELNS1_3gpuE6ELNS1_3repE0EEENS1_30default_config_static_selectorELNS0_4arch9wavefront6targetE1EEEvSY_.uses_flat_scratch, 0
	.set _ZN7rocprim17ROCPRIM_400000_NS6detail17trampoline_kernelINS0_13select_configILj256ELj13ELNS0_17block_load_methodE3ELS4_3ELS4_3ELNS0_20block_scan_algorithmE0ELj4294967295EEENS1_25partition_config_selectorILNS1_17partition_subalgoE3EjNS0_10empty_typeEbEEZZNS1_14partition_implILS8_3ELb0ES6_jNS0_17counting_iteratorIjlEEPS9_SE_NS0_5tupleIJPjSE_EEENSF_IJSE_SE_EEES9_SG_JZNS1_25segmented_radix_sort_implINS0_14default_configELb0EPKbPbPKlPlN2at6native12_GLOBAL__N_18offset_tEEE10hipError_tPvRmT1_PNSt15iterator_traitsISY_E10value_typeET2_T3_PNSZ_IS14_E10value_typeET4_jRbjT5_S1A_jjP12ihipStream_tbEUljE_EEESV_SW_SX_S14_S18_S1A_T6_T7_T9_mT8_S1C_bDpT10_ENKUlT_T0_E_clISt17integral_constantIbLb1EES1O_IbLb0EEEEDaS1K_S1L_EUlS1K_E_NS1_11comp_targetILNS1_3genE2ELNS1_11target_archE906ELNS1_3gpuE6ELNS1_3repE0EEENS1_30default_config_static_selectorELNS0_4arch9wavefront6targetE1EEEvSY_.has_dyn_sized_stack, 0
	.set _ZN7rocprim17ROCPRIM_400000_NS6detail17trampoline_kernelINS0_13select_configILj256ELj13ELNS0_17block_load_methodE3ELS4_3ELS4_3ELNS0_20block_scan_algorithmE0ELj4294967295EEENS1_25partition_config_selectorILNS1_17partition_subalgoE3EjNS0_10empty_typeEbEEZZNS1_14partition_implILS8_3ELb0ES6_jNS0_17counting_iteratorIjlEEPS9_SE_NS0_5tupleIJPjSE_EEENSF_IJSE_SE_EEES9_SG_JZNS1_25segmented_radix_sort_implINS0_14default_configELb0EPKbPbPKlPlN2at6native12_GLOBAL__N_18offset_tEEE10hipError_tPvRmT1_PNSt15iterator_traitsISY_E10value_typeET2_T3_PNSZ_IS14_E10value_typeET4_jRbjT5_S1A_jjP12ihipStream_tbEUljE_EEESV_SW_SX_S14_S18_S1A_T6_T7_T9_mT8_S1C_bDpT10_ENKUlT_T0_E_clISt17integral_constantIbLb1EES1O_IbLb0EEEEDaS1K_S1L_EUlS1K_E_NS1_11comp_targetILNS1_3genE2ELNS1_11target_archE906ELNS1_3gpuE6ELNS1_3repE0EEENS1_30default_config_static_selectorELNS0_4arch9wavefront6targetE1EEEvSY_.has_recursion, 0
	.set _ZN7rocprim17ROCPRIM_400000_NS6detail17trampoline_kernelINS0_13select_configILj256ELj13ELNS0_17block_load_methodE3ELS4_3ELS4_3ELNS0_20block_scan_algorithmE0ELj4294967295EEENS1_25partition_config_selectorILNS1_17partition_subalgoE3EjNS0_10empty_typeEbEEZZNS1_14partition_implILS8_3ELb0ES6_jNS0_17counting_iteratorIjlEEPS9_SE_NS0_5tupleIJPjSE_EEENSF_IJSE_SE_EEES9_SG_JZNS1_25segmented_radix_sort_implINS0_14default_configELb0EPKbPbPKlPlN2at6native12_GLOBAL__N_18offset_tEEE10hipError_tPvRmT1_PNSt15iterator_traitsISY_E10value_typeET2_T3_PNSZ_IS14_E10value_typeET4_jRbjT5_S1A_jjP12ihipStream_tbEUljE_EEESV_SW_SX_S14_S18_S1A_T6_T7_T9_mT8_S1C_bDpT10_ENKUlT_T0_E_clISt17integral_constantIbLb1EES1O_IbLb0EEEEDaS1K_S1L_EUlS1K_E_NS1_11comp_targetILNS1_3genE2ELNS1_11target_archE906ELNS1_3gpuE6ELNS1_3repE0EEENS1_30default_config_static_selectorELNS0_4arch9wavefront6targetE1EEEvSY_.has_indirect_call, 0
	.section	.AMDGPU.csdata,"",@progbits
; Kernel info:
; codeLenInByte = 4
; TotalNumSgprs: 4
; NumVgprs: 0
; ScratchSize: 0
; MemoryBound: 0
; FloatMode: 240
; IeeeMode: 1
; LDSByteSize: 0 bytes/workgroup (compile time only)
; SGPRBlocks: 0
; VGPRBlocks: 0
; NumSGPRsForWavesPerEU: 4
; NumVGPRsForWavesPerEU: 1
; Occupancy: 10
; WaveLimiterHint : 0
; COMPUTE_PGM_RSRC2:SCRATCH_EN: 0
; COMPUTE_PGM_RSRC2:USER_SGPR: 6
; COMPUTE_PGM_RSRC2:TRAP_HANDLER: 0
; COMPUTE_PGM_RSRC2:TGID_X_EN: 1
; COMPUTE_PGM_RSRC2:TGID_Y_EN: 0
; COMPUTE_PGM_RSRC2:TGID_Z_EN: 0
; COMPUTE_PGM_RSRC2:TIDIG_COMP_CNT: 0
	.section	.text._ZN7rocprim17ROCPRIM_400000_NS6detail17trampoline_kernelINS0_13select_configILj256ELj13ELNS0_17block_load_methodE3ELS4_3ELS4_3ELNS0_20block_scan_algorithmE0ELj4294967295EEENS1_25partition_config_selectorILNS1_17partition_subalgoE3EjNS0_10empty_typeEbEEZZNS1_14partition_implILS8_3ELb0ES6_jNS0_17counting_iteratorIjlEEPS9_SE_NS0_5tupleIJPjSE_EEENSF_IJSE_SE_EEES9_SG_JZNS1_25segmented_radix_sort_implINS0_14default_configELb0EPKbPbPKlPlN2at6native12_GLOBAL__N_18offset_tEEE10hipError_tPvRmT1_PNSt15iterator_traitsISY_E10value_typeET2_T3_PNSZ_IS14_E10value_typeET4_jRbjT5_S1A_jjP12ihipStream_tbEUljE_EEESV_SW_SX_S14_S18_S1A_T6_T7_T9_mT8_S1C_bDpT10_ENKUlT_T0_E_clISt17integral_constantIbLb1EES1O_IbLb0EEEEDaS1K_S1L_EUlS1K_E_NS1_11comp_targetILNS1_3genE10ELNS1_11target_archE1200ELNS1_3gpuE4ELNS1_3repE0EEENS1_30default_config_static_selectorELNS0_4arch9wavefront6targetE1EEEvSY_,"axG",@progbits,_ZN7rocprim17ROCPRIM_400000_NS6detail17trampoline_kernelINS0_13select_configILj256ELj13ELNS0_17block_load_methodE3ELS4_3ELS4_3ELNS0_20block_scan_algorithmE0ELj4294967295EEENS1_25partition_config_selectorILNS1_17partition_subalgoE3EjNS0_10empty_typeEbEEZZNS1_14partition_implILS8_3ELb0ES6_jNS0_17counting_iteratorIjlEEPS9_SE_NS0_5tupleIJPjSE_EEENSF_IJSE_SE_EEES9_SG_JZNS1_25segmented_radix_sort_implINS0_14default_configELb0EPKbPbPKlPlN2at6native12_GLOBAL__N_18offset_tEEE10hipError_tPvRmT1_PNSt15iterator_traitsISY_E10value_typeET2_T3_PNSZ_IS14_E10value_typeET4_jRbjT5_S1A_jjP12ihipStream_tbEUljE_EEESV_SW_SX_S14_S18_S1A_T6_T7_T9_mT8_S1C_bDpT10_ENKUlT_T0_E_clISt17integral_constantIbLb1EES1O_IbLb0EEEEDaS1K_S1L_EUlS1K_E_NS1_11comp_targetILNS1_3genE10ELNS1_11target_archE1200ELNS1_3gpuE4ELNS1_3repE0EEENS1_30default_config_static_selectorELNS0_4arch9wavefront6targetE1EEEvSY_,comdat
	.globl	_ZN7rocprim17ROCPRIM_400000_NS6detail17trampoline_kernelINS0_13select_configILj256ELj13ELNS0_17block_load_methodE3ELS4_3ELS4_3ELNS0_20block_scan_algorithmE0ELj4294967295EEENS1_25partition_config_selectorILNS1_17partition_subalgoE3EjNS0_10empty_typeEbEEZZNS1_14partition_implILS8_3ELb0ES6_jNS0_17counting_iteratorIjlEEPS9_SE_NS0_5tupleIJPjSE_EEENSF_IJSE_SE_EEES9_SG_JZNS1_25segmented_radix_sort_implINS0_14default_configELb0EPKbPbPKlPlN2at6native12_GLOBAL__N_18offset_tEEE10hipError_tPvRmT1_PNSt15iterator_traitsISY_E10value_typeET2_T3_PNSZ_IS14_E10value_typeET4_jRbjT5_S1A_jjP12ihipStream_tbEUljE_EEESV_SW_SX_S14_S18_S1A_T6_T7_T9_mT8_S1C_bDpT10_ENKUlT_T0_E_clISt17integral_constantIbLb1EES1O_IbLb0EEEEDaS1K_S1L_EUlS1K_E_NS1_11comp_targetILNS1_3genE10ELNS1_11target_archE1200ELNS1_3gpuE4ELNS1_3repE0EEENS1_30default_config_static_selectorELNS0_4arch9wavefront6targetE1EEEvSY_ ; -- Begin function _ZN7rocprim17ROCPRIM_400000_NS6detail17trampoline_kernelINS0_13select_configILj256ELj13ELNS0_17block_load_methodE3ELS4_3ELS4_3ELNS0_20block_scan_algorithmE0ELj4294967295EEENS1_25partition_config_selectorILNS1_17partition_subalgoE3EjNS0_10empty_typeEbEEZZNS1_14partition_implILS8_3ELb0ES6_jNS0_17counting_iteratorIjlEEPS9_SE_NS0_5tupleIJPjSE_EEENSF_IJSE_SE_EEES9_SG_JZNS1_25segmented_radix_sort_implINS0_14default_configELb0EPKbPbPKlPlN2at6native12_GLOBAL__N_18offset_tEEE10hipError_tPvRmT1_PNSt15iterator_traitsISY_E10value_typeET2_T3_PNSZ_IS14_E10value_typeET4_jRbjT5_S1A_jjP12ihipStream_tbEUljE_EEESV_SW_SX_S14_S18_S1A_T6_T7_T9_mT8_S1C_bDpT10_ENKUlT_T0_E_clISt17integral_constantIbLb1EES1O_IbLb0EEEEDaS1K_S1L_EUlS1K_E_NS1_11comp_targetILNS1_3genE10ELNS1_11target_archE1200ELNS1_3gpuE4ELNS1_3repE0EEENS1_30default_config_static_selectorELNS0_4arch9wavefront6targetE1EEEvSY_
	.p2align	8
	.type	_ZN7rocprim17ROCPRIM_400000_NS6detail17trampoline_kernelINS0_13select_configILj256ELj13ELNS0_17block_load_methodE3ELS4_3ELS4_3ELNS0_20block_scan_algorithmE0ELj4294967295EEENS1_25partition_config_selectorILNS1_17partition_subalgoE3EjNS0_10empty_typeEbEEZZNS1_14partition_implILS8_3ELb0ES6_jNS0_17counting_iteratorIjlEEPS9_SE_NS0_5tupleIJPjSE_EEENSF_IJSE_SE_EEES9_SG_JZNS1_25segmented_radix_sort_implINS0_14default_configELb0EPKbPbPKlPlN2at6native12_GLOBAL__N_18offset_tEEE10hipError_tPvRmT1_PNSt15iterator_traitsISY_E10value_typeET2_T3_PNSZ_IS14_E10value_typeET4_jRbjT5_S1A_jjP12ihipStream_tbEUljE_EEESV_SW_SX_S14_S18_S1A_T6_T7_T9_mT8_S1C_bDpT10_ENKUlT_T0_E_clISt17integral_constantIbLb1EES1O_IbLb0EEEEDaS1K_S1L_EUlS1K_E_NS1_11comp_targetILNS1_3genE10ELNS1_11target_archE1200ELNS1_3gpuE4ELNS1_3repE0EEENS1_30default_config_static_selectorELNS0_4arch9wavefront6targetE1EEEvSY_,@function
_ZN7rocprim17ROCPRIM_400000_NS6detail17trampoline_kernelINS0_13select_configILj256ELj13ELNS0_17block_load_methodE3ELS4_3ELS4_3ELNS0_20block_scan_algorithmE0ELj4294967295EEENS1_25partition_config_selectorILNS1_17partition_subalgoE3EjNS0_10empty_typeEbEEZZNS1_14partition_implILS8_3ELb0ES6_jNS0_17counting_iteratorIjlEEPS9_SE_NS0_5tupleIJPjSE_EEENSF_IJSE_SE_EEES9_SG_JZNS1_25segmented_radix_sort_implINS0_14default_configELb0EPKbPbPKlPlN2at6native12_GLOBAL__N_18offset_tEEE10hipError_tPvRmT1_PNSt15iterator_traitsISY_E10value_typeET2_T3_PNSZ_IS14_E10value_typeET4_jRbjT5_S1A_jjP12ihipStream_tbEUljE_EEESV_SW_SX_S14_S18_S1A_T6_T7_T9_mT8_S1C_bDpT10_ENKUlT_T0_E_clISt17integral_constantIbLb1EES1O_IbLb0EEEEDaS1K_S1L_EUlS1K_E_NS1_11comp_targetILNS1_3genE10ELNS1_11target_archE1200ELNS1_3gpuE4ELNS1_3repE0EEENS1_30default_config_static_selectorELNS0_4arch9wavefront6targetE1EEEvSY_: ; @_ZN7rocprim17ROCPRIM_400000_NS6detail17trampoline_kernelINS0_13select_configILj256ELj13ELNS0_17block_load_methodE3ELS4_3ELS4_3ELNS0_20block_scan_algorithmE0ELj4294967295EEENS1_25partition_config_selectorILNS1_17partition_subalgoE3EjNS0_10empty_typeEbEEZZNS1_14partition_implILS8_3ELb0ES6_jNS0_17counting_iteratorIjlEEPS9_SE_NS0_5tupleIJPjSE_EEENSF_IJSE_SE_EEES9_SG_JZNS1_25segmented_radix_sort_implINS0_14default_configELb0EPKbPbPKlPlN2at6native12_GLOBAL__N_18offset_tEEE10hipError_tPvRmT1_PNSt15iterator_traitsISY_E10value_typeET2_T3_PNSZ_IS14_E10value_typeET4_jRbjT5_S1A_jjP12ihipStream_tbEUljE_EEESV_SW_SX_S14_S18_S1A_T6_T7_T9_mT8_S1C_bDpT10_ENKUlT_T0_E_clISt17integral_constantIbLb1EES1O_IbLb0EEEEDaS1K_S1L_EUlS1K_E_NS1_11comp_targetILNS1_3genE10ELNS1_11target_archE1200ELNS1_3gpuE4ELNS1_3repE0EEENS1_30default_config_static_selectorELNS0_4arch9wavefront6targetE1EEEvSY_
; %bb.0:
	.section	.rodata,"a",@progbits
	.p2align	6, 0x0
	.amdhsa_kernel _ZN7rocprim17ROCPRIM_400000_NS6detail17trampoline_kernelINS0_13select_configILj256ELj13ELNS0_17block_load_methodE3ELS4_3ELS4_3ELNS0_20block_scan_algorithmE0ELj4294967295EEENS1_25partition_config_selectorILNS1_17partition_subalgoE3EjNS0_10empty_typeEbEEZZNS1_14partition_implILS8_3ELb0ES6_jNS0_17counting_iteratorIjlEEPS9_SE_NS0_5tupleIJPjSE_EEENSF_IJSE_SE_EEES9_SG_JZNS1_25segmented_radix_sort_implINS0_14default_configELb0EPKbPbPKlPlN2at6native12_GLOBAL__N_18offset_tEEE10hipError_tPvRmT1_PNSt15iterator_traitsISY_E10value_typeET2_T3_PNSZ_IS14_E10value_typeET4_jRbjT5_S1A_jjP12ihipStream_tbEUljE_EEESV_SW_SX_S14_S18_S1A_T6_T7_T9_mT8_S1C_bDpT10_ENKUlT_T0_E_clISt17integral_constantIbLb1EES1O_IbLb0EEEEDaS1K_S1L_EUlS1K_E_NS1_11comp_targetILNS1_3genE10ELNS1_11target_archE1200ELNS1_3gpuE4ELNS1_3repE0EEENS1_30default_config_static_selectorELNS0_4arch9wavefront6targetE1EEEvSY_
		.amdhsa_group_segment_fixed_size 0
		.amdhsa_private_segment_fixed_size 0
		.amdhsa_kernarg_size 144
		.amdhsa_user_sgpr_count 6
		.amdhsa_user_sgpr_private_segment_buffer 1
		.amdhsa_user_sgpr_dispatch_ptr 0
		.amdhsa_user_sgpr_queue_ptr 0
		.amdhsa_user_sgpr_kernarg_segment_ptr 1
		.amdhsa_user_sgpr_dispatch_id 0
		.amdhsa_user_sgpr_flat_scratch_init 0
		.amdhsa_user_sgpr_private_segment_size 0
		.amdhsa_uses_dynamic_stack 0
		.amdhsa_system_sgpr_private_segment_wavefront_offset 0
		.amdhsa_system_sgpr_workgroup_id_x 1
		.amdhsa_system_sgpr_workgroup_id_y 0
		.amdhsa_system_sgpr_workgroup_id_z 0
		.amdhsa_system_sgpr_workgroup_info 0
		.amdhsa_system_vgpr_workitem_id 0
		.amdhsa_next_free_vgpr 1
		.amdhsa_next_free_sgpr 0
		.amdhsa_reserve_vcc 0
		.amdhsa_reserve_flat_scratch 0
		.amdhsa_float_round_mode_32 0
		.amdhsa_float_round_mode_16_64 0
		.amdhsa_float_denorm_mode_32 3
		.amdhsa_float_denorm_mode_16_64 3
		.amdhsa_dx10_clamp 1
		.amdhsa_ieee_mode 1
		.amdhsa_fp16_overflow 0
		.amdhsa_exception_fp_ieee_invalid_op 0
		.amdhsa_exception_fp_denorm_src 0
		.amdhsa_exception_fp_ieee_div_zero 0
		.amdhsa_exception_fp_ieee_overflow 0
		.amdhsa_exception_fp_ieee_underflow 0
		.amdhsa_exception_fp_ieee_inexact 0
		.amdhsa_exception_int_div_zero 0
	.end_amdhsa_kernel
	.section	.text._ZN7rocprim17ROCPRIM_400000_NS6detail17trampoline_kernelINS0_13select_configILj256ELj13ELNS0_17block_load_methodE3ELS4_3ELS4_3ELNS0_20block_scan_algorithmE0ELj4294967295EEENS1_25partition_config_selectorILNS1_17partition_subalgoE3EjNS0_10empty_typeEbEEZZNS1_14partition_implILS8_3ELb0ES6_jNS0_17counting_iteratorIjlEEPS9_SE_NS0_5tupleIJPjSE_EEENSF_IJSE_SE_EEES9_SG_JZNS1_25segmented_radix_sort_implINS0_14default_configELb0EPKbPbPKlPlN2at6native12_GLOBAL__N_18offset_tEEE10hipError_tPvRmT1_PNSt15iterator_traitsISY_E10value_typeET2_T3_PNSZ_IS14_E10value_typeET4_jRbjT5_S1A_jjP12ihipStream_tbEUljE_EEESV_SW_SX_S14_S18_S1A_T6_T7_T9_mT8_S1C_bDpT10_ENKUlT_T0_E_clISt17integral_constantIbLb1EES1O_IbLb0EEEEDaS1K_S1L_EUlS1K_E_NS1_11comp_targetILNS1_3genE10ELNS1_11target_archE1200ELNS1_3gpuE4ELNS1_3repE0EEENS1_30default_config_static_selectorELNS0_4arch9wavefront6targetE1EEEvSY_,"axG",@progbits,_ZN7rocprim17ROCPRIM_400000_NS6detail17trampoline_kernelINS0_13select_configILj256ELj13ELNS0_17block_load_methodE3ELS4_3ELS4_3ELNS0_20block_scan_algorithmE0ELj4294967295EEENS1_25partition_config_selectorILNS1_17partition_subalgoE3EjNS0_10empty_typeEbEEZZNS1_14partition_implILS8_3ELb0ES6_jNS0_17counting_iteratorIjlEEPS9_SE_NS0_5tupleIJPjSE_EEENSF_IJSE_SE_EEES9_SG_JZNS1_25segmented_radix_sort_implINS0_14default_configELb0EPKbPbPKlPlN2at6native12_GLOBAL__N_18offset_tEEE10hipError_tPvRmT1_PNSt15iterator_traitsISY_E10value_typeET2_T3_PNSZ_IS14_E10value_typeET4_jRbjT5_S1A_jjP12ihipStream_tbEUljE_EEESV_SW_SX_S14_S18_S1A_T6_T7_T9_mT8_S1C_bDpT10_ENKUlT_T0_E_clISt17integral_constantIbLb1EES1O_IbLb0EEEEDaS1K_S1L_EUlS1K_E_NS1_11comp_targetILNS1_3genE10ELNS1_11target_archE1200ELNS1_3gpuE4ELNS1_3repE0EEENS1_30default_config_static_selectorELNS0_4arch9wavefront6targetE1EEEvSY_,comdat
.Lfunc_end1624:
	.size	_ZN7rocprim17ROCPRIM_400000_NS6detail17trampoline_kernelINS0_13select_configILj256ELj13ELNS0_17block_load_methodE3ELS4_3ELS4_3ELNS0_20block_scan_algorithmE0ELj4294967295EEENS1_25partition_config_selectorILNS1_17partition_subalgoE3EjNS0_10empty_typeEbEEZZNS1_14partition_implILS8_3ELb0ES6_jNS0_17counting_iteratorIjlEEPS9_SE_NS0_5tupleIJPjSE_EEENSF_IJSE_SE_EEES9_SG_JZNS1_25segmented_radix_sort_implINS0_14default_configELb0EPKbPbPKlPlN2at6native12_GLOBAL__N_18offset_tEEE10hipError_tPvRmT1_PNSt15iterator_traitsISY_E10value_typeET2_T3_PNSZ_IS14_E10value_typeET4_jRbjT5_S1A_jjP12ihipStream_tbEUljE_EEESV_SW_SX_S14_S18_S1A_T6_T7_T9_mT8_S1C_bDpT10_ENKUlT_T0_E_clISt17integral_constantIbLb1EES1O_IbLb0EEEEDaS1K_S1L_EUlS1K_E_NS1_11comp_targetILNS1_3genE10ELNS1_11target_archE1200ELNS1_3gpuE4ELNS1_3repE0EEENS1_30default_config_static_selectorELNS0_4arch9wavefront6targetE1EEEvSY_, .Lfunc_end1624-_ZN7rocprim17ROCPRIM_400000_NS6detail17trampoline_kernelINS0_13select_configILj256ELj13ELNS0_17block_load_methodE3ELS4_3ELS4_3ELNS0_20block_scan_algorithmE0ELj4294967295EEENS1_25partition_config_selectorILNS1_17partition_subalgoE3EjNS0_10empty_typeEbEEZZNS1_14partition_implILS8_3ELb0ES6_jNS0_17counting_iteratorIjlEEPS9_SE_NS0_5tupleIJPjSE_EEENSF_IJSE_SE_EEES9_SG_JZNS1_25segmented_radix_sort_implINS0_14default_configELb0EPKbPbPKlPlN2at6native12_GLOBAL__N_18offset_tEEE10hipError_tPvRmT1_PNSt15iterator_traitsISY_E10value_typeET2_T3_PNSZ_IS14_E10value_typeET4_jRbjT5_S1A_jjP12ihipStream_tbEUljE_EEESV_SW_SX_S14_S18_S1A_T6_T7_T9_mT8_S1C_bDpT10_ENKUlT_T0_E_clISt17integral_constantIbLb1EES1O_IbLb0EEEEDaS1K_S1L_EUlS1K_E_NS1_11comp_targetILNS1_3genE10ELNS1_11target_archE1200ELNS1_3gpuE4ELNS1_3repE0EEENS1_30default_config_static_selectorELNS0_4arch9wavefront6targetE1EEEvSY_
                                        ; -- End function
	.set _ZN7rocprim17ROCPRIM_400000_NS6detail17trampoline_kernelINS0_13select_configILj256ELj13ELNS0_17block_load_methodE3ELS4_3ELS4_3ELNS0_20block_scan_algorithmE0ELj4294967295EEENS1_25partition_config_selectorILNS1_17partition_subalgoE3EjNS0_10empty_typeEbEEZZNS1_14partition_implILS8_3ELb0ES6_jNS0_17counting_iteratorIjlEEPS9_SE_NS0_5tupleIJPjSE_EEENSF_IJSE_SE_EEES9_SG_JZNS1_25segmented_radix_sort_implINS0_14default_configELb0EPKbPbPKlPlN2at6native12_GLOBAL__N_18offset_tEEE10hipError_tPvRmT1_PNSt15iterator_traitsISY_E10value_typeET2_T3_PNSZ_IS14_E10value_typeET4_jRbjT5_S1A_jjP12ihipStream_tbEUljE_EEESV_SW_SX_S14_S18_S1A_T6_T7_T9_mT8_S1C_bDpT10_ENKUlT_T0_E_clISt17integral_constantIbLb1EES1O_IbLb0EEEEDaS1K_S1L_EUlS1K_E_NS1_11comp_targetILNS1_3genE10ELNS1_11target_archE1200ELNS1_3gpuE4ELNS1_3repE0EEENS1_30default_config_static_selectorELNS0_4arch9wavefront6targetE1EEEvSY_.num_vgpr, 0
	.set _ZN7rocprim17ROCPRIM_400000_NS6detail17trampoline_kernelINS0_13select_configILj256ELj13ELNS0_17block_load_methodE3ELS4_3ELS4_3ELNS0_20block_scan_algorithmE0ELj4294967295EEENS1_25partition_config_selectorILNS1_17partition_subalgoE3EjNS0_10empty_typeEbEEZZNS1_14partition_implILS8_3ELb0ES6_jNS0_17counting_iteratorIjlEEPS9_SE_NS0_5tupleIJPjSE_EEENSF_IJSE_SE_EEES9_SG_JZNS1_25segmented_radix_sort_implINS0_14default_configELb0EPKbPbPKlPlN2at6native12_GLOBAL__N_18offset_tEEE10hipError_tPvRmT1_PNSt15iterator_traitsISY_E10value_typeET2_T3_PNSZ_IS14_E10value_typeET4_jRbjT5_S1A_jjP12ihipStream_tbEUljE_EEESV_SW_SX_S14_S18_S1A_T6_T7_T9_mT8_S1C_bDpT10_ENKUlT_T0_E_clISt17integral_constantIbLb1EES1O_IbLb0EEEEDaS1K_S1L_EUlS1K_E_NS1_11comp_targetILNS1_3genE10ELNS1_11target_archE1200ELNS1_3gpuE4ELNS1_3repE0EEENS1_30default_config_static_selectorELNS0_4arch9wavefront6targetE1EEEvSY_.num_agpr, 0
	.set _ZN7rocprim17ROCPRIM_400000_NS6detail17trampoline_kernelINS0_13select_configILj256ELj13ELNS0_17block_load_methodE3ELS4_3ELS4_3ELNS0_20block_scan_algorithmE0ELj4294967295EEENS1_25partition_config_selectorILNS1_17partition_subalgoE3EjNS0_10empty_typeEbEEZZNS1_14partition_implILS8_3ELb0ES6_jNS0_17counting_iteratorIjlEEPS9_SE_NS0_5tupleIJPjSE_EEENSF_IJSE_SE_EEES9_SG_JZNS1_25segmented_radix_sort_implINS0_14default_configELb0EPKbPbPKlPlN2at6native12_GLOBAL__N_18offset_tEEE10hipError_tPvRmT1_PNSt15iterator_traitsISY_E10value_typeET2_T3_PNSZ_IS14_E10value_typeET4_jRbjT5_S1A_jjP12ihipStream_tbEUljE_EEESV_SW_SX_S14_S18_S1A_T6_T7_T9_mT8_S1C_bDpT10_ENKUlT_T0_E_clISt17integral_constantIbLb1EES1O_IbLb0EEEEDaS1K_S1L_EUlS1K_E_NS1_11comp_targetILNS1_3genE10ELNS1_11target_archE1200ELNS1_3gpuE4ELNS1_3repE0EEENS1_30default_config_static_selectorELNS0_4arch9wavefront6targetE1EEEvSY_.numbered_sgpr, 0
	.set _ZN7rocprim17ROCPRIM_400000_NS6detail17trampoline_kernelINS0_13select_configILj256ELj13ELNS0_17block_load_methodE3ELS4_3ELS4_3ELNS0_20block_scan_algorithmE0ELj4294967295EEENS1_25partition_config_selectorILNS1_17partition_subalgoE3EjNS0_10empty_typeEbEEZZNS1_14partition_implILS8_3ELb0ES6_jNS0_17counting_iteratorIjlEEPS9_SE_NS0_5tupleIJPjSE_EEENSF_IJSE_SE_EEES9_SG_JZNS1_25segmented_radix_sort_implINS0_14default_configELb0EPKbPbPKlPlN2at6native12_GLOBAL__N_18offset_tEEE10hipError_tPvRmT1_PNSt15iterator_traitsISY_E10value_typeET2_T3_PNSZ_IS14_E10value_typeET4_jRbjT5_S1A_jjP12ihipStream_tbEUljE_EEESV_SW_SX_S14_S18_S1A_T6_T7_T9_mT8_S1C_bDpT10_ENKUlT_T0_E_clISt17integral_constantIbLb1EES1O_IbLb0EEEEDaS1K_S1L_EUlS1K_E_NS1_11comp_targetILNS1_3genE10ELNS1_11target_archE1200ELNS1_3gpuE4ELNS1_3repE0EEENS1_30default_config_static_selectorELNS0_4arch9wavefront6targetE1EEEvSY_.num_named_barrier, 0
	.set _ZN7rocprim17ROCPRIM_400000_NS6detail17trampoline_kernelINS0_13select_configILj256ELj13ELNS0_17block_load_methodE3ELS4_3ELS4_3ELNS0_20block_scan_algorithmE0ELj4294967295EEENS1_25partition_config_selectorILNS1_17partition_subalgoE3EjNS0_10empty_typeEbEEZZNS1_14partition_implILS8_3ELb0ES6_jNS0_17counting_iteratorIjlEEPS9_SE_NS0_5tupleIJPjSE_EEENSF_IJSE_SE_EEES9_SG_JZNS1_25segmented_radix_sort_implINS0_14default_configELb0EPKbPbPKlPlN2at6native12_GLOBAL__N_18offset_tEEE10hipError_tPvRmT1_PNSt15iterator_traitsISY_E10value_typeET2_T3_PNSZ_IS14_E10value_typeET4_jRbjT5_S1A_jjP12ihipStream_tbEUljE_EEESV_SW_SX_S14_S18_S1A_T6_T7_T9_mT8_S1C_bDpT10_ENKUlT_T0_E_clISt17integral_constantIbLb1EES1O_IbLb0EEEEDaS1K_S1L_EUlS1K_E_NS1_11comp_targetILNS1_3genE10ELNS1_11target_archE1200ELNS1_3gpuE4ELNS1_3repE0EEENS1_30default_config_static_selectorELNS0_4arch9wavefront6targetE1EEEvSY_.private_seg_size, 0
	.set _ZN7rocprim17ROCPRIM_400000_NS6detail17trampoline_kernelINS0_13select_configILj256ELj13ELNS0_17block_load_methodE3ELS4_3ELS4_3ELNS0_20block_scan_algorithmE0ELj4294967295EEENS1_25partition_config_selectorILNS1_17partition_subalgoE3EjNS0_10empty_typeEbEEZZNS1_14partition_implILS8_3ELb0ES6_jNS0_17counting_iteratorIjlEEPS9_SE_NS0_5tupleIJPjSE_EEENSF_IJSE_SE_EEES9_SG_JZNS1_25segmented_radix_sort_implINS0_14default_configELb0EPKbPbPKlPlN2at6native12_GLOBAL__N_18offset_tEEE10hipError_tPvRmT1_PNSt15iterator_traitsISY_E10value_typeET2_T3_PNSZ_IS14_E10value_typeET4_jRbjT5_S1A_jjP12ihipStream_tbEUljE_EEESV_SW_SX_S14_S18_S1A_T6_T7_T9_mT8_S1C_bDpT10_ENKUlT_T0_E_clISt17integral_constantIbLb1EES1O_IbLb0EEEEDaS1K_S1L_EUlS1K_E_NS1_11comp_targetILNS1_3genE10ELNS1_11target_archE1200ELNS1_3gpuE4ELNS1_3repE0EEENS1_30default_config_static_selectorELNS0_4arch9wavefront6targetE1EEEvSY_.uses_vcc, 0
	.set _ZN7rocprim17ROCPRIM_400000_NS6detail17trampoline_kernelINS0_13select_configILj256ELj13ELNS0_17block_load_methodE3ELS4_3ELS4_3ELNS0_20block_scan_algorithmE0ELj4294967295EEENS1_25partition_config_selectorILNS1_17partition_subalgoE3EjNS0_10empty_typeEbEEZZNS1_14partition_implILS8_3ELb0ES6_jNS0_17counting_iteratorIjlEEPS9_SE_NS0_5tupleIJPjSE_EEENSF_IJSE_SE_EEES9_SG_JZNS1_25segmented_radix_sort_implINS0_14default_configELb0EPKbPbPKlPlN2at6native12_GLOBAL__N_18offset_tEEE10hipError_tPvRmT1_PNSt15iterator_traitsISY_E10value_typeET2_T3_PNSZ_IS14_E10value_typeET4_jRbjT5_S1A_jjP12ihipStream_tbEUljE_EEESV_SW_SX_S14_S18_S1A_T6_T7_T9_mT8_S1C_bDpT10_ENKUlT_T0_E_clISt17integral_constantIbLb1EES1O_IbLb0EEEEDaS1K_S1L_EUlS1K_E_NS1_11comp_targetILNS1_3genE10ELNS1_11target_archE1200ELNS1_3gpuE4ELNS1_3repE0EEENS1_30default_config_static_selectorELNS0_4arch9wavefront6targetE1EEEvSY_.uses_flat_scratch, 0
	.set _ZN7rocprim17ROCPRIM_400000_NS6detail17trampoline_kernelINS0_13select_configILj256ELj13ELNS0_17block_load_methodE3ELS4_3ELS4_3ELNS0_20block_scan_algorithmE0ELj4294967295EEENS1_25partition_config_selectorILNS1_17partition_subalgoE3EjNS0_10empty_typeEbEEZZNS1_14partition_implILS8_3ELb0ES6_jNS0_17counting_iteratorIjlEEPS9_SE_NS0_5tupleIJPjSE_EEENSF_IJSE_SE_EEES9_SG_JZNS1_25segmented_radix_sort_implINS0_14default_configELb0EPKbPbPKlPlN2at6native12_GLOBAL__N_18offset_tEEE10hipError_tPvRmT1_PNSt15iterator_traitsISY_E10value_typeET2_T3_PNSZ_IS14_E10value_typeET4_jRbjT5_S1A_jjP12ihipStream_tbEUljE_EEESV_SW_SX_S14_S18_S1A_T6_T7_T9_mT8_S1C_bDpT10_ENKUlT_T0_E_clISt17integral_constantIbLb1EES1O_IbLb0EEEEDaS1K_S1L_EUlS1K_E_NS1_11comp_targetILNS1_3genE10ELNS1_11target_archE1200ELNS1_3gpuE4ELNS1_3repE0EEENS1_30default_config_static_selectorELNS0_4arch9wavefront6targetE1EEEvSY_.has_dyn_sized_stack, 0
	.set _ZN7rocprim17ROCPRIM_400000_NS6detail17trampoline_kernelINS0_13select_configILj256ELj13ELNS0_17block_load_methodE3ELS4_3ELS4_3ELNS0_20block_scan_algorithmE0ELj4294967295EEENS1_25partition_config_selectorILNS1_17partition_subalgoE3EjNS0_10empty_typeEbEEZZNS1_14partition_implILS8_3ELb0ES6_jNS0_17counting_iteratorIjlEEPS9_SE_NS0_5tupleIJPjSE_EEENSF_IJSE_SE_EEES9_SG_JZNS1_25segmented_radix_sort_implINS0_14default_configELb0EPKbPbPKlPlN2at6native12_GLOBAL__N_18offset_tEEE10hipError_tPvRmT1_PNSt15iterator_traitsISY_E10value_typeET2_T3_PNSZ_IS14_E10value_typeET4_jRbjT5_S1A_jjP12ihipStream_tbEUljE_EEESV_SW_SX_S14_S18_S1A_T6_T7_T9_mT8_S1C_bDpT10_ENKUlT_T0_E_clISt17integral_constantIbLb1EES1O_IbLb0EEEEDaS1K_S1L_EUlS1K_E_NS1_11comp_targetILNS1_3genE10ELNS1_11target_archE1200ELNS1_3gpuE4ELNS1_3repE0EEENS1_30default_config_static_selectorELNS0_4arch9wavefront6targetE1EEEvSY_.has_recursion, 0
	.set _ZN7rocprim17ROCPRIM_400000_NS6detail17trampoline_kernelINS0_13select_configILj256ELj13ELNS0_17block_load_methodE3ELS4_3ELS4_3ELNS0_20block_scan_algorithmE0ELj4294967295EEENS1_25partition_config_selectorILNS1_17partition_subalgoE3EjNS0_10empty_typeEbEEZZNS1_14partition_implILS8_3ELb0ES6_jNS0_17counting_iteratorIjlEEPS9_SE_NS0_5tupleIJPjSE_EEENSF_IJSE_SE_EEES9_SG_JZNS1_25segmented_radix_sort_implINS0_14default_configELb0EPKbPbPKlPlN2at6native12_GLOBAL__N_18offset_tEEE10hipError_tPvRmT1_PNSt15iterator_traitsISY_E10value_typeET2_T3_PNSZ_IS14_E10value_typeET4_jRbjT5_S1A_jjP12ihipStream_tbEUljE_EEESV_SW_SX_S14_S18_S1A_T6_T7_T9_mT8_S1C_bDpT10_ENKUlT_T0_E_clISt17integral_constantIbLb1EES1O_IbLb0EEEEDaS1K_S1L_EUlS1K_E_NS1_11comp_targetILNS1_3genE10ELNS1_11target_archE1200ELNS1_3gpuE4ELNS1_3repE0EEENS1_30default_config_static_selectorELNS0_4arch9wavefront6targetE1EEEvSY_.has_indirect_call, 0
	.section	.AMDGPU.csdata,"",@progbits
; Kernel info:
; codeLenInByte = 0
; TotalNumSgprs: 4
; NumVgprs: 0
; ScratchSize: 0
; MemoryBound: 0
; FloatMode: 240
; IeeeMode: 1
; LDSByteSize: 0 bytes/workgroup (compile time only)
; SGPRBlocks: 0
; VGPRBlocks: 0
; NumSGPRsForWavesPerEU: 4
; NumVGPRsForWavesPerEU: 1
; Occupancy: 10
; WaveLimiterHint : 0
; COMPUTE_PGM_RSRC2:SCRATCH_EN: 0
; COMPUTE_PGM_RSRC2:USER_SGPR: 6
; COMPUTE_PGM_RSRC2:TRAP_HANDLER: 0
; COMPUTE_PGM_RSRC2:TGID_X_EN: 1
; COMPUTE_PGM_RSRC2:TGID_Y_EN: 0
; COMPUTE_PGM_RSRC2:TGID_Z_EN: 0
; COMPUTE_PGM_RSRC2:TIDIG_COMP_CNT: 0
	.section	.text._ZN7rocprim17ROCPRIM_400000_NS6detail17trampoline_kernelINS0_13select_configILj256ELj13ELNS0_17block_load_methodE3ELS4_3ELS4_3ELNS0_20block_scan_algorithmE0ELj4294967295EEENS1_25partition_config_selectorILNS1_17partition_subalgoE3EjNS0_10empty_typeEbEEZZNS1_14partition_implILS8_3ELb0ES6_jNS0_17counting_iteratorIjlEEPS9_SE_NS0_5tupleIJPjSE_EEENSF_IJSE_SE_EEES9_SG_JZNS1_25segmented_radix_sort_implINS0_14default_configELb0EPKbPbPKlPlN2at6native12_GLOBAL__N_18offset_tEEE10hipError_tPvRmT1_PNSt15iterator_traitsISY_E10value_typeET2_T3_PNSZ_IS14_E10value_typeET4_jRbjT5_S1A_jjP12ihipStream_tbEUljE_EEESV_SW_SX_S14_S18_S1A_T6_T7_T9_mT8_S1C_bDpT10_ENKUlT_T0_E_clISt17integral_constantIbLb1EES1O_IbLb0EEEEDaS1K_S1L_EUlS1K_E_NS1_11comp_targetILNS1_3genE9ELNS1_11target_archE1100ELNS1_3gpuE3ELNS1_3repE0EEENS1_30default_config_static_selectorELNS0_4arch9wavefront6targetE1EEEvSY_,"axG",@progbits,_ZN7rocprim17ROCPRIM_400000_NS6detail17trampoline_kernelINS0_13select_configILj256ELj13ELNS0_17block_load_methodE3ELS4_3ELS4_3ELNS0_20block_scan_algorithmE0ELj4294967295EEENS1_25partition_config_selectorILNS1_17partition_subalgoE3EjNS0_10empty_typeEbEEZZNS1_14partition_implILS8_3ELb0ES6_jNS0_17counting_iteratorIjlEEPS9_SE_NS0_5tupleIJPjSE_EEENSF_IJSE_SE_EEES9_SG_JZNS1_25segmented_radix_sort_implINS0_14default_configELb0EPKbPbPKlPlN2at6native12_GLOBAL__N_18offset_tEEE10hipError_tPvRmT1_PNSt15iterator_traitsISY_E10value_typeET2_T3_PNSZ_IS14_E10value_typeET4_jRbjT5_S1A_jjP12ihipStream_tbEUljE_EEESV_SW_SX_S14_S18_S1A_T6_T7_T9_mT8_S1C_bDpT10_ENKUlT_T0_E_clISt17integral_constantIbLb1EES1O_IbLb0EEEEDaS1K_S1L_EUlS1K_E_NS1_11comp_targetILNS1_3genE9ELNS1_11target_archE1100ELNS1_3gpuE3ELNS1_3repE0EEENS1_30default_config_static_selectorELNS0_4arch9wavefront6targetE1EEEvSY_,comdat
	.globl	_ZN7rocprim17ROCPRIM_400000_NS6detail17trampoline_kernelINS0_13select_configILj256ELj13ELNS0_17block_load_methodE3ELS4_3ELS4_3ELNS0_20block_scan_algorithmE0ELj4294967295EEENS1_25partition_config_selectorILNS1_17partition_subalgoE3EjNS0_10empty_typeEbEEZZNS1_14partition_implILS8_3ELb0ES6_jNS0_17counting_iteratorIjlEEPS9_SE_NS0_5tupleIJPjSE_EEENSF_IJSE_SE_EEES9_SG_JZNS1_25segmented_radix_sort_implINS0_14default_configELb0EPKbPbPKlPlN2at6native12_GLOBAL__N_18offset_tEEE10hipError_tPvRmT1_PNSt15iterator_traitsISY_E10value_typeET2_T3_PNSZ_IS14_E10value_typeET4_jRbjT5_S1A_jjP12ihipStream_tbEUljE_EEESV_SW_SX_S14_S18_S1A_T6_T7_T9_mT8_S1C_bDpT10_ENKUlT_T0_E_clISt17integral_constantIbLb1EES1O_IbLb0EEEEDaS1K_S1L_EUlS1K_E_NS1_11comp_targetILNS1_3genE9ELNS1_11target_archE1100ELNS1_3gpuE3ELNS1_3repE0EEENS1_30default_config_static_selectorELNS0_4arch9wavefront6targetE1EEEvSY_ ; -- Begin function _ZN7rocprim17ROCPRIM_400000_NS6detail17trampoline_kernelINS0_13select_configILj256ELj13ELNS0_17block_load_methodE3ELS4_3ELS4_3ELNS0_20block_scan_algorithmE0ELj4294967295EEENS1_25partition_config_selectorILNS1_17partition_subalgoE3EjNS0_10empty_typeEbEEZZNS1_14partition_implILS8_3ELb0ES6_jNS0_17counting_iteratorIjlEEPS9_SE_NS0_5tupleIJPjSE_EEENSF_IJSE_SE_EEES9_SG_JZNS1_25segmented_radix_sort_implINS0_14default_configELb0EPKbPbPKlPlN2at6native12_GLOBAL__N_18offset_tEEE10hipError_tPvRmT1_PNSt15iterator_traitsISY_E10value_typeET2_T3_PNSZ_IS14_E10value_typeET4_jRbjT5_S1A_jjP12ihipStream_tbEUljE_EEESV_SW_SX_S14_S18_S1A_T6_T7_T9_mT8_S1C_bDpT10_ENKUlT_T0_E_clISt17integral_constantIbLb1EES1O_IbLb0EEEEDaS1K_S1L_EUlS1K_E_NS1_11comp_targetILNS1_3genE9ELNS1_11target_archE1100ELNS1_3gpuE3ELNS1_3repE0EEENS1_30default_config_static_selectorELNS0_4arch9wavefront6targetE1EEEvSY_
	.p2align	8
	.type	_ZN7rocprim17ROCPRIM_400000_NS6detail17trampoline_kernelINS0_13select_configILj256ELj13ELNS0_17block_load_methodE3ELS4_3ELS4_3ELNS0_20block_scan_algorithmE0ELj4294967295EEENS1_25partition_config_selectorILNS1_17partition_subalgoE3EjNS0_10empty_typeEbEEZZNS1_14partition_implILS8_3ELb0ES6_jNS0_17counting_iteratorIjlEEPS9_SE_NS0_5tupleIJPjSE_EEENSF_IJSE_SE_EEES9_SG_JZNS1_25segmented_radix_sort_implINS0_14default_configELb0EPKbPbPKlPlN2at6native12_GLOBAL__N_18offset_tEEE10hipError_tPvRmT1_PNSt15iterator_traitsISY_E10value_typeET2_T3_PNSZ_IS14_E10value_typeET4_jRbjT5_S1A_jjP12ihipStream_tbEUljE_EEESV_SW_SX_S14_S18_S1A_T6_T7_T9_mT8_S1C_bDpT10_ENKUlT_T0_E_clISt17integral_constantIbLb1EES1O_IbLb0EEEEDaS1K_S1L_EUlS1K_E_NS1_11comp_targetILNS1_3genE9ELNS1_11target_archE1100ELNS1_3gpuE3ELNS1_3repE0EEENS1_30default_config_static_selectorELNS0_4arch9wavefront6targetE1EEEvSY_,@function
_ZN7rocprim17ROCPRIM_400000_NS6detail17trampoline_kernelINS0_13select_configILj256ELj13ELNS0_17block_load_methodE3ELS4_3ELS4_3ELNS0_20block_scan_algorithmE0ELj4294967295EEENS1_25partition_config_selectorILNS1_17partition_subalgoE3EjNS0_10empty_typeEbEEZZNS1_14partition_implILS8_3ELb0ES6_jNS0_17counting_iteratorIjlEEPS9_SE_NS0_5tupleIJPjSE_EEENSF_IJSE_SE_EEES9_SG_JZNS1_25segmented_radix_sort_implINS0_14default_configELb0EPKbPbPKlPlN2at6native12_GLOBAL__N_18offset_tEEE10hipError_tPvRmT1_PNSt15iterator_traitsISY_E10value_typeET2_T3_PNSZ_IS14_E10value_typeET4_jRbjT5_S1A_jjP12ihipStream_tbEUljE_EEESV_SW_SX_S14_S18_S1A_T6_T7_T9_mT8_S1C_bDpT10_ENKUlT_T0_E_clISt17integral_constantIbLb1EES1O_IbLb0EEEEDaS1K_S1L_EUlS1K_E_NS1_11comp_targetILNS1_3genE9ELNS1_11target_archE1100ELNS1_3gpuE3ELNS1_3repE0EEENS1_30default_config_static_selectorELNS0_4arch9wavefront6targetE1EEEvSY_: ; @_ZN7rocprim17ROCPRIM_400000_NS6detail17trampoline_kernelINS0_13select_configILj256ELj13ELNS0_17block_load_methodE3ELS4_3ELS4_3ELNS0_20block_scan_algorithmE0ELj4294967295EEENS1_25partition_config_selectorILNS1_17partition_subalgoE3EjNS0_10empty_typeEbEEZZNS1_14partition_implILS8_3ELb0ES6_jNS0_17counting_iteratorIjlEEPS9_SE_NS0_5tupleIJPjSE_EEENSF_IJSE_SE_EEES9_SG_JZNS1_25segmented_radix_sort_implINS0_14default_configELb0EPKbPbPKlPlN2at6native12_GLOBAL__N_18offset_tEEE10hipError_tPvRmT1_PNSt15iterator_traitsISY_E10value_typeET2_T3_PNSZ_IS14_E10value_typeET4_jRbjT5_S1A_jjP12ihipStream_tbEUljE_EEESV_SW_SX_S14_S18_S1A_T6_T7_T9_mT8_S1C_bDpT10_ENKUlT_T0_E_clISt17integral_constantIbLb1EES1O_IbLb0EEEEDaS1K_S1L_EUlS1K_E_NS1_11comp_targetILNS1_3genE9ELNS1_11target_archE1100ELNS1_3gpuE3ELNS1_3repE0EEENS1_30default_config_static_selectorELNS0_4arch9wavefront6targetE1EEEvSY_
; %bb.0:
	.section	.rodata,"a",@progbits
	.p2align	6, 0x0
	.amdhsa_kernel _ZN7rocprim17ROCPRIM_400000_NS6detail17trampoline_kernelINS0_13select_configILj256ELj13ELNS0_17block_load_methodE3ELS4_3ELS4_3ELNS0_20block_scan_algorithmE0ELj4294967295EEENS1_25partition_config_selectorILNS1_17partition_subalgoE3EjNS0_10empty_typeEbEEZZNS1_14partition_implILS8_3ELb0ES6_jNS0_17counting_iteratorIjlEEPS9_SE_NS0_5tupleIJPjSE_EEENSF_IJSE_SE_EEES9_SG_JZNS1_25segmented_radix_sort_implINS0_14default_configELb0EPKbPbPKlPlN2at6native12_GLOBAL__N_18offset_tEEE10hipError_tPvRmT1_PNSt15iterator_traitsISY_E10value_typeET2_T3_PNSZ_IS14_E10value_typeET4_jRbjT5_S1A_jjP12ihipStream_tbEUljE_EEESV_SW_SX_S14_S18_S1A_T6_T7_T9_mT8_S1C_bDpT10_ENKUlT_T0_E_clISt17integral_constantIbLb1EES1O_IbLb0EEEEDaS1K_S1L_EUlS1K_E_NS1_11comp_targetILNS1_3genE9ELNS1_11target_archE1100ELNS1_3gpuE3ELNS1_3repE0EEENS1_30default_config_static_selectorELNS0_4arch9wavefront6targetE1EEEvSY_
		.amdhsa_group_segment_fixed_size 0
		.amdhsa_private_segment_fixed_size 0
		.amdhsa_kernarg_size 144
		.amdhsa_user_sgpr_count 6
		.amdhsa_user_sgpr_private_segment_buffer 1
		.amdhsa_user_sgpr_dispatch_ptr 0
		.amdhsa_user_sgpr_queue_ptr 0
		.amdhsa_user_sgpr_kernarg_segment_ptr 1
		.amdhsa_user_sgpr_dispatch_id 0
		.amdhsa_user_sgpr_flat_scratch_init 0
		.amdhsa_user_sgpr_private_segment_size 0
		.amdhsa_uses_dynamic_stack 0
		.amdhsa_system_sgpr_private_segment_wavefront_offset 0
		.amdhsa_system_sgpr_workgroup_id_x 1
		.amdhsa_system_sgpr_workgroup_id_y 0
		.amdhsa_system_sgpr_workgroup_id_z 0
		.amdhsa_system_sgpr_workgroup_info 0
		.amdhsa_system_vgpr_workitem_id 0
		.amdhsa_next_free_vgpr 1
		.amdhsa_next_free_sgpr 0
		.amdhsa_reserve_vcc 0
		.amdhsa_reserve_flat_scratch 0
		.amdhsa_float_round_mode_32 0
		.amdhsa_float_round_mode_16_64 0
		.amdhsa_float_denorm_mode_32 3
		.amdhsa_float_denorm_mode_16_64 3
		.amdhsa_dx10_clamp 1
		.amdhsa_ieee_mode 1
		.amdhsa_fp16_overflow 0
		.amdhsa_exception_fp_ieee_invalid_op 0
		.amdhsa_exception_fp_denorm_src 0
		.amdhsa_exception_fp_ieee_div_zero 0
		.amdhsa_exception_fp_ieee_overflow 0
		.amdhsa_exception_fp_ieee_underflow 0
		.amdhsa_exception_fp_ieee_inexact 0
		.amdhsa_exception_int_div_zero 0
	.end_amdhsa_kernel
	.section	.text._ZN7rocprim17ROCPRIM_400000_NS6detail17trampoline_kernelINS0_13select_configILj256ELj13ELNS0_17block_load_methodE3ELS4_3ELS4_3ELNS0_20block_scan_algorithmE0ELj4294967295EEENS1_25partition_config_selectorILNS1_17partition_subalgoE3EjNS0_10empty_typeEbEEZZNS1_14partition_implILS8_3ELb0ES6_jNS0_17counting_iteratorIjlEEPS9_SE_NS0_5tupleIJPjSE_EEENSF_IJSE_SE_EEES9_SG_JZNS1_25segmented_radix_sort_implINS0_14default_configELb0EPKbPbPKlPlN2at6native12_GLOBAL__N_18offset_tEEE10hipError_tPvRmT1_PNSt15iterator_traitsISY_E10value_typeET2_T3_PNSZ_IS14_E10value_typeET4_jRbjT5_S1A_jjP12ihipStream_tbEUljE_EEESV_SW_SX_S14_S18_S1A_T6_T7_T9_mT8_S1C_bDpT10_ENKUlT_T0_E_clISt17integral_constantIbLb1EES1O_IbLb0EEEEDaS1K_S1L_EUlS1K_E_NS1_11comp_targetILNS1_3genE9ELNS1_11target_archE1100ELNS1_3gpuE3ELNS1_3repE0EEENS1_30default_config_static_selectorELNS0_4arch9wavefront6targetE1EEEvSY_,"axG",@progbits,_ZN7rocprim17ROCPRIM_400000_NS6detail17trampoline_kernelINS0_13select_configILj256ELj13ELNS0_17block_load_methodE3ELS4_3ELS4_3ELNS0_20block_scan_algorithmE0ELj4294967295EEENS1_25partition_config_selectorILNS1_17partition_subalgoE3EjNS0_10empty_typeEbEEZZNS1_14partition_implILS8_3ELb0ES6_jNS0_17counting_iteratorIjlEEPS9_SE_NS0_5tupleIJPjSE_EEENSF_IJSE_SE_EEES9_SG_JZNS1_25segmented_radix_sort_implINS0_14default_configELb0EPKbPbPKlPlN2at6native12_GLOBAL__N_18offset_tEEE10hipError_tPvRmT1_PNSt15iterator_traitsISY_E10value_typeET2_T3_PNSZ_IS14_E10value_typeET4_jRbjT5_S1A_jjP12ihipStream_tbEUljE_EEESV_SW_SX_S14_S18_S1A_T6_T7_T9_mT8_S1C_bDpT10_ENKUlT_T0_E_clISt17integral_constantIbLb1EES1O_IbLb0EEEEDaS1K_S1L_EUlS1K_E_NS1_11comp_targetILNS1_3genE9ELNS1_11target_archE1100ELNS1_3gpuE3ELNS1_3repE0EEENS1_30default_config_static_selectorELNS0_4arch9wavefront6targetE1EEEvSY_,comdat
.Lfunc_end1625:
	.size	_ZN7rocprim17ROCPRIM_400000_NS6detail17trampoline_kernelINS0_13select_configILj256ELj13ELNS0_17block_load_methodE3ELS4_3ELS4_3ELNS0_20block_scan_algorithmE0ELj4294967295EEENS1_25partition_config_selectorILNS1_17partition_subalgoE3EjNS0_10empty_typeEbEEZZNS1_14partition_implILS8_3ELb0ES6_jNS0_17counting_iteratorIjlEEPS9_SE_NS0_5tupleIJPjSE_EEENSF_IJSE_SE_EEES9_SG_JZNS1_25segmented_radix_sort_implINS0_14default_configELb0EPKbPbPKlPlN2at6native12_GLOBAL__N_18offset_tEEE10hipError_tPvRmT1_PNSt15iterator_traitsISY_E10value_typeET2_T3_PNSZ_IS14_E10value_typeET4_jRbjT5_S1A_jjP12ihipStream_tbEUljE_EEESV_SW_SX_S14_S18_S1A_T6_T7_T9_mT8_S1C_bDpT10_ENKUlT_T0_E_clISt17integral_constantIbLb1EES1O_IbLb0EEEEDaS1K_S1L_EUlS1K_E_NS1_11comp_targetILNS1_3genE9ELNS1_11target_archE1100ELNS1_3gpuE3ELNS1_3repE0EEENS1_30default_config_static_selectorELNS0_4arch9wavefront6targetE1EEEvSY_, .Lfunc_end1625-_ZN7rocprim17ROCPRIM_400000_NS6detail17trampoline_kernelINS0_13select_configILj256ELj13ELNS0_17block_load_methodE3ELS4_3ELS4_3ELNS0_20block_scan_algorithmE0ELj4294967295EEENS1_25partition_config_selectorILNS1_17partition_subalgoE3EjNS0_10empty_typeEbEEZZNS1_14partition_implILS8_3ELb0ES6_jNS0_17counting_iteratorIjlEEPS9_SE_NS0_5tupleIJPjSE_EEENSF_IJSE_SE_EEES9_SG_JZNS1_25segmented_radix_sort_implINS0_14default_configELb0EPKbPbPKlPlN2at6native12_GLOBAL__N_18offset_tEEE10hipError_tPvRmT1_PNSt15iterator_traitsISY_E10value_typeET2_T3_PNSZ_IS14_E10value_typeET4_jRbjT5_S1A_jjP12ihipStream_tbEUljE_EEESV_SW_SX_S14_S18_S1A_T6_T7_T9_mT8_S1C_bDpT10_ENKUlT_T0_E_clISt17integral_constantIbLb1EES1O_IbLb0EEEEDaS1K_S1L_EUlS1K_E_NS1_11comp_targetILNS1_3genE9ELNS1_11target_archE1100ELNS1_3gpuE3ELNS1_3repE0EEENS1_30default_config_static_selectorELNS0_4arch9wavefront6targetE1EEEvSY_
                                        ; -- End function
	.set _ZN7rocprim17ROCPRIM_400000_NS6detail17trampoline_kernelINS0_13select_configILj256ELj13ELNS0_17block_load_methodE3ELS4_3ELS4_3ELNS0_20block_scan_algorithmE0ELj4294967295EEENS1_25partition_config_selectorILNS1_17partition_subalgoE3EjNS0_10empty_typeEbEEZZNS1_14partition_implILS8_3ELb0ES6_jNS0_17counting_iteratorIjlEEPS9_SE_NS0_5tupleIJPjSE_EEENSF_IJSE_SE_EEES9_SG_JZNS1_25segmented_radix_sort_implINS0_14default_configELb0EPKbPbPKlPlN2at6native12_GLOBAL__N_18offset_tEEE10hipError_tPvRmT1_PNSt15iterator_traitsISY_E10value_typeET2_T3_PNSZ_IS14_E10value_typeET4_jRbjT5_S1A_jjP12ihipStream_tbEUljE_EEESV_SW_SX_S14_S18_S1A_T6_T7_T9_mT8_S1C_bDpT10_ENKUlT_T0_E_clISt17integral_constantIbLb1EES1O_IbLb0EEEEDaS1K_S1L_EUlS1K_E_NS1_11comp_targetILNS1_3genE9ELNS1_11target_archE1100ELNS1_3gpuE3ELNS1_3repE0EEENS1_30default_config_static_selectorELNS0_4arch9wavefront6targetE1EEEvSY_.num_vgpr, 0
	.set _ZN7rocprim17ROCPRIM_400000_NS6detail17trampoline_kernelINS0_13select_configILj256ELj13ELNS0_17block_load_methodE3ELS4_3ELS4_3ELNS0_20block_scan_algorithmE0ELj4294967295EEENS1_25partition_config_selectorILNS1_17partition_subalgoE3EjNS0_10empty_typeEbEEZZNS1_14partition_implILS8_3ELb0ES6_jNS0_17counting_iteratorIjlEEPS9_SE_NS0_5tupleIJPjSE_EEENSF_IJSE_SE_EEES9_SG_JZNS1_25segmented_radix_sort_implINS0_14default_configELb0EPKbPbPKlPlN2at6native12_GLOBAL__N_18offset_tEEE10hipError_tPvRmT1_PNSt15iterator_traitsISY_E10value_typeET2_T3_PNSZ_IS14_E10value_typeET4_jRbjT5_S1A_jjP12ihipStream_tbEUljE_EEESV_SW_SX_S14_S18_S1A_T6_T7_T9_mT8_S1C_bDpT10_ENKUlT_T0_E_clISt17integral_constantIbLb1EES1O_IbLb0EEEEDaS1K_S1L_EUlS1K_E_NS1_11comp_targetILNS1_3genE9ELNS1_11target_archE1100ELNS1_3gpuE3ELNS1_3repE0EEENS1_30default_config_static_selectorELNS0_4arch9wavefront6targetE1EEEvSY_.num_agpr, 0
	.set _ZN7rocprim17ROCPRIM_400000_NS6detail17trampoline_kernelINS0_13select_configILj256ELj13ELNS0_17block_load_methodE3ELS4_3ELS4_3ELNS0_20block_scan_algorithmE0ELj4294967295EEENS1_25partition_config_selectorILNS1_17partition_subalgoE3EjNS0_10empty_typeEbEEZZNS1_14partition_implILS8_3ELb0ES6_jNS0_17counting_iteratorIjlEEPS9_SE_NS0_5tupleIJPjSE_EEENSF_IJSE_SE_EEES9_SG_JZNS1_25segmented_radix_sort_implINS0_14default_configELb0EPKbPbPKlPlN2at6native12_GLOBAL__N_18offset_tEEE10hipError_tPvRmT1_PNSt15iterator_traitsISY_E10value_typeET2_T3_PNSZ_IS14_E10value_typeET4_jRbjT5_S1A_jjP12ihipStream_tbEUljE_EEESV_SW_SX_S14_S18_S1A_T6_T7_T9_mT8_S1C_bDpT10_ENKUlT_T0_E_clISt17integral_constantIbLb1EES1O_IbLb0EEEEDaS1K_S1L_EUlS1K_E_NS1_11comp_targetILNS1_3genE9ELNS1_11target_archE1100ELNS1_3gpuE3ELNS1_3repE0EEENS1_30default_config_static_selectorELNS0_4arch9wavefront6targetE1EEEvSY_.numbered_sgpr, 0
	.set _ZN7rocprim17ROCPRIM_400000_NS6detail17trampoline_kernelINS0_13select_configILj256ELj13ELNS0_17block_load_methodE3ELS4_3ELS4_3ELNS0_20block_scan_algorithmE0ELj4294967295EEENS1_25partition_config_selectorILNS1_17partition_subalgoE3EjNS0_10empty_typeEbEEZZNS1_14partition_implILS8_3ELb0ES6_jNS0_17counting_iteratorIjlEEPS9_SE_NS0_5tupleIJPjSE_EEENSF_IJSE_SE_EEES9_SG_JZNS1_25segmented_radix_sort_implINS0_14default_configELb0EPKbPbPKlPlN2at6native12_GLOBAL__N_18offset_tEEE10hipError_tPvRmT1_PNSt15iterator_traitsISY_E10value_typeET2_T3_PNSZ_IS14_E10value_typeET4_jRbjT5_S1A_jjP12ihipStream_tbEUljE_EEESV_SW_SX_S14_S18_S1A_T6_T7_T9_mT8_S1C_bDpT10_ENKUlT_T0_E_clISt17integral_constantIbLb1EES1O_IbLb0EEEEDaS1K_S1L_EUlS1K_E_NS1_11comp_targetILNS1_3genE9ELNS1_11target_archE1100ELNS1_3gpuE3ELNS1_3repE0EEENS1_30default_config_static_selectorELNS0_4arch9wavefront6targetE1EEEvSY_.num_named_barrier, 0
	.set _ZN7rocprim17ROCPRIM_400000_NS6detail17trampoline_kernelINS0_13select_configILj256ELj13ELNS0_17block_load_methodE3ELS4_3ELS4_3ELNS0_20block_scan_algorithmE0ELj4294967295EEENS1_25partition_config_selectorILNS1_17partition_subalgoE3EjNS0_10empty_typeEbEEZZNS1_14partition_implILS8_3ELb0ES6_jNS0_17counting_iteratorIjlEEPS9_SE_NS0_5tupleIJPjSE_EEENSF_IJSE_SE_EEES9_SG_JZNS1_25segmented_radix_sort_implINS0_14default_configELb0EPKbPbPKlPlN2at6native12_GLOBAL__N_18offset_tEEE10hipError_tPvRmT1_PNSt15iterator_traitsISY_E10value_typeET2_T3_PNSZ_IS14_E10value_typeET4_jRbjT5_S1A_jjP12ihipStream_tbEUljE_EEESV_SW_SX_S14_S18_S1A_T6_T7_T9_mT8_S1C_bDpT10_ENKUlT_T0_E_clISt17integral_constantIbLb1EES1O_IbLb0EEEEDaS1K_S1L_EUlS1K_E_NS1_11comp_targetILNS1_3genE9ELNS1_11target_archE1100ELNS1_3gpuE3ELNS1_3repE0EEENS1_30default_config_static_selectorELNS0_4arch9wavefront6targetE1EEEvSY_.private_seg_size, 0
	.set _ZN7rocprim17ROCPRIM_400000_NS6detail17trampoline_kernelINS0_13select_configILj256ELj13ELNS0_17block_load_methodE3ELS4_3ELS4_3ELNS0_20block_scan_algorithmE0ELj4294967295EEENS1_25partition_config_selectorILNS1_17partition_subalgoE3EjNS0_10empty_typeEbEEZZNS1_14partition_implILS8_3ELb0ES6_jNS0_17counting_iteratorIjlEEPS9_SE_NS0_5tupleIJPjSE_EEENSF_IJSE_SE_EEES9_SG_JZNS1_25segmented_radix_sort_implINS0_14default_configELb0EPKbPbPKlPlN2at6native12_GLOBAL__N_18offset_tEEE10hipError_tPvRmT1_PNSt15iterator_traitsISY_E10value_typeET2_T3_PNSZ_IS14_E10value_typeET4_jRbjT5_S1A_jjP12ihipStream_tbEUljE_EEESV_SW_SX_S14_S18_S1A_T6_T7_T9_mT8_S1C_bDpT10_ENKUlT_T0_E_clISt17integral_constantIbLb1EES1O_IbLb0EEEEDaS1K_S1L_EUlS1K_E_NS1_11comp_targetILNS1_3genE9ELNS1_11target_archE1100ELNS1_3gpuE3ELNS1_3repE0EEENS1_30default_config_static_selectorELNS0_4arch9wavefront6targetE1EEEvSY_.uses_vcc, 0
	.set _ZN7rocprim17ROCPRIM_400000_NS6detail17trampoline_kernelINS0_13select_configILj256ELj13ELNS0_17block_load_methodE3ELS4_3ELS4_3ELNS0_20block_scan_algorithmE0ELj4294967295EEENS1_25partition_config_selectorILNS1_17partition_subalgoE3EjNS0_10empty_typeEbEEZZNS1_14partition_implILS8_3ELb0ES6_jNS0_17counting_iteratorIjlEEPS9_SE_NS0_5tupleIJPjSE_EEENSF_IJSE_SE_EEES9_SG_JZNS1_25segmented_radix_sort_implINS0_14default_configELb0EPKbPbPKlPlN2at6native12_GLOBAL__N_18offset_tEEE10hipError_tPvRmT1_PNSt15iterator_traitsISY_E10value_typeET2_T3_PNSZ_IS14_E10value_typeET4_jRbjT5_S1A_jjP12ihipStream_tbEUljE_EEESV_SW_SX_S14_S18_S1A_T6_T7_T9_mT8_S1C_bDpT10_ENKUlT_T0_E_clISt17integral_constantIbLb1EES1O_IbLb0EEEEDaS1K_S1L_EUlS1K_E_NS1_11comp_targetILNS1_3genE9ELNS1_11target_archE1100ELNS1_3gpuE3ELNS1_3repE0EEENS1_30default_config_static_selectorELNS0_4arch9wavefront6targetE1EEEvSY_.uses_flat_scratch, 0
	.set _ZN7rocprim17ROCPRIM_400000_NS6detail17trampoline_kernelINS0_13select_configILj256ELj13ELNS0_17block_load_methodE3ELS4_3ELS4_3ELNS0_20block_scan_algorithmE0ELj4294967295EEENS1_25partition_config_selectorILNS1_17partition_subalgoE3EjNS0_10empty_typeEbEEZZNS1_14partition_implILS8_3ELb0ES6_jNS0_17counting_iteratorIjlEEPS9_SE_NS0_5tupleIJPjSE_EEENSF_IJSE_SE_EEES9_SG_JZNS1_25segmented_radix_sort_implINS0_14default_configELb0EPKbPbPKlPlN2at6native12_GLOBAL__N_18offset_tEEE10hipError_tPvRmT1_PNSt15iterator_traitsISY_E10value_typeET2_T3_PNSZ_IS14_E10value_typeET4_jRbjT5_S1A_jjP12ihipStream_tbEUljE_EEESV_SW_SX_S14_S18_S1A_T6_T7_T9_mT8_S1C_bDpT10_ENKUlT_T0_E_clISt17integral_constantIbLb1EES1O_IbLb0EEEEDaS1K_S1L_EUlS1K_E_NS1_11comp_targetILNS1_3genE9ELNS1_11target_archE1100ELNS1_3gpuE3ELNS1_3repE0EEENS1_30default_config_static_selectorELNS0_4arch9wavefront6targetE1EEEvSY_.has_dyn_sized_stack, 0
	.set _ZN7rocprim17ROCPRIM_400000_NS6detail17trampoline_kernelINS0_13select_configILj256ELj13ELNS0_17block_load_methodE3ELS4_3ELS4_3ELNS0_20block_scan_algorithmE0ELj4294967295EEENS1_25partition_config_selectorILNS1_17partition_subalgoE3EjNS0_10empty_typeEbEEZZNS1_14partition_implILS8_3ELb0ES6_jNS0_17counting_iteratorIjlEEPS9_SE_NS0_5tupleIJPjSE_EEENSF_IJSE_SE_EEES9_SG_JZNS1_25segmented_radix_sort_implINS0_14default_configELb0EPKbPbPKlPlN2at6native12_GLOBAL__N_18offset_tEEE10hipError_tPvRmT1_PNSt15iterator_traitsISY_E10value_typeET2_T3_PNSZ_IS14_E10value_typeET4_jRbjT5_S1A_jjP12ihipStream_tbEUljE_EEESV_SW_SX_S14_S18_S1A_T6_T7_T9_mT8_S1C_bDpT10_ENKUlT_T0_E_clISt17integral_constantIbLb1EES1O_IbLb0EEEEDaS1K_S1L_EUlS1K_E_NS1_11comp_targetILNS1_3genE9ELNS1_11target_archE1100ELNS1_3gpuE3ELNS1_3repE0EEENS1_30default_config_static_selectorELNS0_4arch9wavefront6targetE1EEEvSY_.has_recursion, 0
	.set _ZN7rocprim17ROCPRIM_400000_NS6detail17trampoline_kernelINS0_13select_configILj256ELj13ELNS0_17block_load_methodE3ELS4_3ELS4_3ELNS0_20block_scan_algorithmE0ELj4294967295EEENS1_25partition_config_selectorILNS1_17partition_subalgoE3EjNS0_10empty_typeEbEEZZNS1_14partition_implILS8_3ELb0ES6_jNS0_17counting_iteratorIjlEEPS9_SE_NS0_5tupleIJPjSE_EEENSF_IJSE_SE_EEES9_SG_JZNS1_25segmented_radix_sort_implINS0_14default_configELb0EPKbPbPKlPlN2at6native12_GLOBAL__N_18offset_tEEE10hipError_tPvRmT1_PNSt15iterator_traitsISY_E10value_typeET2_T3_PNSZ_IS14_E10value_typeET4_jRbjT5_S1A_jjP12ihipStream_tbEUljE_EEESV_SW_SX_S14_S18_S1A_T6_T7_T9_mT8_S1C_bDpT10_ENKUlT_T0_E_clISt17integral_constantIbLb1EES1O_IbLb0EEEEDaS1K_S1L_EUlS1K_E_NS1_11comp_targetILNS1_3genE9ELNS1_11target_archE1100ELNS1_3gpuE3ELNS1_3repE0EEENS1_30default_config_static_selectorELNS0_4arch9wavefront6targetE1EEEvSY_.has_indirect_call, 0
	.section	.AMDGPU.csdata,"",@progbits
; Kernel info:
; codeLenInByte = 0
; TotalNumSgprs: 4
; NumVgprs: 0
; ScratchSize: 0
; MemoryBound: 0
; FloatMode: 240
; IeeeMode: 1
; LDSByteSize: 0 bytes/workgroup (compile time only)
; SGPRBlocks: 0
; VGPRBlocks: 0
; NumSGPRsForWavesPerEU: 4
; NumVGPRsForWavesPerEU: 1
; Occupancy: 10
; WaveLimiterHint : 0
; COMPUTE_PGM_RSRC2:SCRATCH_EN: 0
; COMPUTE_PGM_RSRC2:USER_SGPR: 6
; COMPUTE_PGM_RSRC2:TRAP_HANDLER: 0
; COMPUTE_PGM_RSRC2:TGID_X_EN: 1
; COMPUTE_PGM_RSRC2:TGID_Y_EN: 0
; COMPUTE_PGM_RSRC2:TGID_Z_EN: 0
; COMPUTE_PGM_RSRC2:TIDIG_COMP_CNT: 0
	.section	.text._ZN7rocprim17ROCPRIM_400000_NS6detail17trampoline_kernelINS0_13select_configILj256ELj13ELNS0_17block_load_methodE3ELS4_3ELS4_3ELNS0_20block_scan_algorithmE0ELj4294967295EEENS1_25partition_config_selectorILNS1_17partition_subalgoE3EjNS0_10empty_typeEbEEZZNS1_14partition_implILS8_3ELb0ES6_jNS0_17counting_iteratorIjlEEPS9_SE_NS0_5tupleIJPjSE_EEENSF_IJSE_SE_EEES9_SG_JZNS1_25segmented_radix_sort_implINS0_14default_configELb0EPKbPbPKlPlN2at6native12_GLOBAL__N_18offset_tEEE10hipError_tPvRmT1_PNSt15iterator_traitsISY_E10value_typeET2_T3_PNSZ_IS14_E10value_typeET4_jRbjT5_S1A_jjP12ihipStream_tbEUljE_EEESV_SW_SX_S14_S18_S1A_T6_T7_T9_mT8_S1C_bDpT10_ENKUlT_T0_E_clISt17integral_constantIbLb1EES1O_IbLb0EEEEDaS1K_S1L_EUlS1K_E_NS1_11comp_targetILNS1_3genE8ELNS1_11target_archE1030ELNS1_3gpuE2ELNS1_3repE0EEENS1_30default_config_static_selectorELNS0_4arch9wavefront6targetE1EEEvSY_,"axG",@progbits,_ZN7rocprim17ROCPRIM_400000_NS6detail17trampoline_kernelINS0_13select_configILj256ELj13ELNS0_17block_load_methodE3ELS4_3ELS4_3ELNS0_20block_scan_algorithmE0ELj4294967295EEENS1_25partition_config_selectorILNS1_17partition_subalgoE3EjNS0_10empty_typeEbEEZZNS1_14partition_implILS8_3ELb0ES6_jNS0_17counting_iteratorIjlEEPS9_SE_NS0_5tupleIJPjSE_EEENSF_IJSE_SE_EEES9_SG_JZNS1_25segmented_radix_sort_implINS0_14default_configELb0EPKbPbPKlPlN2at6native12_GLOBAL__N_18offset_tEEE10hipError_tPvRmT1_PNSt15iterator_traitsISY_E10value_typeET2_T3_PNSZ_IS14_E10value_typeET4_jRbjT5_S1A_jjP12ihipStream_tbEUljE_EEESV_SW_SX_S14_S18_S1A_T6_T7_T9_mT8_S1C_bDpT10_ENKUlT_T0_E_clISt17integral_constantIbLb1EES1O_IbLb0EEEEDaS1K_S1L_EUlS1K_E_NS1_11comp_targetILNS1_3genE8ELNS1_11target_archE1030ELNS1_3gpuE2ELNS1_3repE0EEENS1_30default_config_static_selectorELNS0_4arch9wavefront6targetE1EEEvSY_,comdat
	.globl	_ZN7rocprim17ROCPRIM_400000_NS6detail17trampoline_kernelINS0_13select_configILj256ELj13ELNS0_17block_load_methodE3ELS4_3ELS4_3ELNS0_20block_scan_algorithmE0ELj4294967295EEENS1_25partition_config_selectorILNS1_17partition_subalgoE3EjNS0_10empty_typeEbEEZZNS1_14partition_implILS8_3ELb0ES6_jNS0_17counting_iteratorIjlEEPS9_SE_NS0_5tupleIJPjSE_EEENSF_IJSE_SE_EEES9_SG_JZNS1_25segmented_radix_sort_implINS0_14default_configELb0EPKbPbPKlPlN2at6native12_GLOBAL__N_18offset_tEEE10hipError_tPvRmT1_PNSt15iterator_traitsISY_E10value_typeET2_T3_PNSZ_IS14_E10value_typeET4_jRbjT5_S1A_jjP12ihipStream_tbEUljE_EEESV_SW_SX_S14_S18_S1A_T6_T7_T9_mT8_S1C_bDpT10_ENKUlT_T0_E_clISt17integral_constantIbLb1EES1O_IbLb0EEEEDaS1K_S1L_EUlS1K_E_NS1_11comp_targetILNS1_3genE8ELNS1_11target_archE1030ELNS1_3gpuE2ELNS1_3repE0EEENS1_30default_config_static_selectorELNS0_4arch9wavefront6targetE1EEEvSY_ ; -- Begin function _ZN7rocprim17ROCPRIM_400000_NS6detail17trampoline_kernelINS0_13select_configILj256ELj13ELNS0_17block_load_methodE3ELS4_3ELS4_3ELNS0_20block_scan_algorithmE0ELj4294967295EEENS1_25partition_config_selectorILNS1_17partition_subalgoE3EjNS0_10empty_typeEbEEZZNS1_14partition_implILS8_3ELb0ES6_jNS0_17counting_iteratorIjlEEPS9_SE_NS0_5tupleIJPjSE_EEENSF_IJSE_SE_EEES9_SG_JZNS1_25segmented_radix_sort_implINS0_14default_configELb0EPKbPbPKlPlN2at6native12_GLOBAL__N_18offset_tEEE10hipError_tPvRmT1_PNSt15iterator_traitsISY_E10value_typeET2_T3_PNSZ_IS14_E10value_typeET4_jRbjT5_S1A_jjP12ihipStream_tbEUljE_EEESV_SW_SX_S14_S18_S1A_T6_T7_T9_mT8_S1C_bDpT10_ENKUlT_T0_E_clISt17integral_constantIbLb1EES1O_IbLb0EEEEDaS1K_S1L_EUlS1K_E_NS1_11comp_targetILNS1_3genE8ELNS1_11target_archE1030ELNS1_3gpuE2ELNS1_3repE0EEENS1_30default_config_static_selectorELNS0_4arch9wavefront6targetE1EEEvSY_
	.p2align	8
	.type	_ZN7rocprim17ROCPRIM_400000_NS6detail17trampoline_kernelINS0_13select_configILj256ELj13ELNS0_17block_load_methodE3ELS4_3ELS4_3ELNS0_20block_scan_algorithmE0ELj4294967295EEENS1_25partition_config_selectorILNS1_17partition_subalgoE3EjNS0_10empty_typeEbEEZZNS1_14partition_implILS8_3ELb0ES6_jNS0_17counting_iteratorIjlEEPS9_SE_NS0_5tupleIJPjSE_EEENSF_IJSE_SE_EEES9_SG_JZNS1_25segmented_radix_sort_implINS0_14default_configELb0EPKbPbPKlPlN2at6native12_GLOBAL__N_18offset_tEEE10hipError_tPvRmT1_PNSt15iterator_traitsISY_E10value_typeET2_T3_PNSZ_IS14_E10value_typeET4_jRbjT5_S1A_jjP12ihipStream_tbEUljE_EEESV_SW_SX_S14_S18_S1A_T6_T7_T9_mT8_S1C_bDpT10_ENKUlT_T0_E_clISt17integral_constantIbLb1EES1O_IbLb0EEEEDaS1K_S1L_EUlS1K_E_NS1_11comp_targetILNS1_3genE8ELNS1_11target_archE1030ELNS1_3gpuE2ELNS1_3repE0EEENS1_30default_config_static_selectorELNS0_4arch9wavefront6targetE1EEEvSY_,@function
_ZN7rocprim17ROCPRIM_400000_NS6detail17trampoline_kernelINS0_13select_configILj256ELj13ELNS0_17block_load_methodE3ELS4_3ELS4_3ELNS0_20block_scan_algorithmE0ELj4294967295EEENS1_25partition_config_selectorILNS1_17partition_subalgoE3EjNS0_10empty_typeEbEEZZNS1_14partition_implILS8_3ELb0ES6_jNS0_17counting_iteratorIjlEEPS9_SE_NS0_5tupleIJPjSE_EEENSF_IJSE_SE_EEES9_SG_JZNS1_25segmented_radix_sort_implINS0_14default_configELb0EPKbPbPKlPlN2at6native12_GLOBAL__N_18offset_tEEE10hipError_tPvRmT1_PNSt15iterator_traitsISY_E10value_typeET2_T3_PNSZ_IS14_E10value_typeET4_jRbjT5_S1A_jjP12ihipStream_tbEUljE_EEESV_SW_SX_S14_S18_S1A_T6_T7_T9_mT8_S1C_bDpT10_ENKUlT_T0_E_clISt17integral_constantIbLb1EES1O_IbLb0EEEEDaS1K_S1L_EUlS1K_E_NS1_11comp_targetILNS1_3genE8ELNS1_11target_archE1030ELNS1_3gpuE2ELNS1_3repE0EEENS1_30default_config_static_selectorELNS0_4arch9wavefront6targetE1EEEvSY_: ; @_ZN7rocprim17ROCPRIM_400000_NS6detail17trampoline_kernelINS0_13select_configILj256ELj13ELNS0_17block_load_methodE3ELS4_3ELS4_3ELNS0_20block_scan_algorithmE0ELj4294967295EEENS1_25partition_config_selectorILNS1_17partition_subalgoE3EjNS0_10empty_typeEbEEZZNS1_14partition_implILS8_3ELb0ES6_jNS0_17counting_iteratorIjlEEPS9_SE_NS0_5tupleIJPjSE_EEENSF_IJSE_SE_EEES9_SG_JZNS1_25segmented_radix_sort_implINS0_14default_configELb0EPKbPbPKlPlN2at6native12_GLOBAL__N_18offset_tEEE10hipError_tPvRmT1_PNSt15iterator_traitsISY_E10value_typeET2_T3_PNSZ_IS14_E10value_typeET4_jRbjT5_S1A_jjP12ihipStream_tbEUljE_EEESV_SW_SX_S14_S18_S1A_T6_T7_T9_mT8_S1C_bDpT10_ENKUlT_T0_E_clISt17integral_constantIbLb1EES1O_IbLb0EEEEDaS1K_S1L_EUlS1K_E_NS1_11comp_targetILNS1_3genE8ELNS1_11target_archE1030ELNS1_3gpuE2ELNS1_3repE0EEENS1_30default_config_static_selectorELNS0_4arch9wavefront6targetE1EEEvSY_
; %bb.0:
	.section	.rodata,"a",@progbits
	.p2align	6, 0x0
	.amdhsa_kernel _ZN7rocprim17ROCPRIM_400000_NS6detail17trampoline_kernelINS0_13select_configILj256ELj13ELNS0_17block_load_methodE3ELS4_3ELS4_3ELNS0_20block_scan_algorithmE0ELj4294967295EEENS1_25partition_config_selectorILNS1_17partition_subalgoE3EjNS0_10empty_typeEbEEZZNS1_14partition_implILS8_3ELb0ES6_jNS0_17counting_iteratorIjlEEPS9_SE_NS0_5tupleIJPjSE_EEENSF_IJSE_SE_EEES9_SG_JZNS1_25segmented_radix_sort_implINS0_14default_configELb0EPKbPbPKlPlN2at6native12_GLOBAL__N_18offset_tEEE10hipError_tPvRmT1_PNSt15iterator_traitsISY_E10value_typeET2_T3_PNSZ_IS14_E10value_typeET4_jRbjT5_S1A_jjP12ihipStream_tbEUljE_EEESV_SW_SX_S14_S18_S1A_T6_T7_T9_mT8_S1C_bDpT10_ENKUlT_T0_E_clISt17integral_constantIbLb1EES1O_IbLb0EEEEDaS1K_S1L_EUlS1K_E_NS1_11comp_targetILNS1_3genE8ELNS1_11target_archE1030ELNS1_3gpuE2ELNS1_3repE0EEENS1_30default_config_static_selectorELNS0_4arch9wavefront6targetE1EEEvSY_
		.amdhsa_group_segment_fixed_size 0
		.amdhsa_private_segment_fixed_size 0
		.amdhsa_kernarg_size 144
		.amdhsa_user_sgpr_count 6
		.amdhsa_user_sgpr_private_segment_buffer 1
		.amdhsa_user_sgpr_dispatch_ptr 0
		.amdhsa_user_sgpr_queue_ptr 0
		.amdhsa_user_sgpr_kernarg_segment_ptr 1
		.amdhsa_user_sgpr_dispatch_id 0
		.amdhsa_user_sgpr_flat_scratch_init 0
		.amdhsa_user_sgpr_private_segment_size 0
		.amdhsa_uses_dynamic_stack 0
		.amdhsa_system_sgpr_private_segment_wavefront_offset 0
		.amdhsa_system_sgpr_workgroup_id_x 1
		.amdhsa_system_sgpr_workgroup_id_y 0
		.amdhsa_system_sgpr_workgroup_id_z 0
		.amdhsa_system_sgpr_workgroup_info 0
		.amdhsa_system_vgpr_workitem_id 0
		.amdhsa_next_free_vgpr 1
		.amdhsa_next_free_sgpr 0
		.amdhsa_reserve_vcc 0
		.amdhsa_reserve_flat_scratch 0
		.amdhsa_float_round_mode_32 0
		.amdhsa_float_round_mode_16_64 0
		.amdhsa_float_denorm_mode_32 3
		.amdhsa_float_denorm_mode_16_64 3
		.amdhsa_dx10_clamp 1
		.amdhsa_ieee_mode 1
		.amdhsa_fp16_overflow 0
		.amdhsa_exception_fp_ieee_invalid_op 0
		.amdhsa_exception_fp_denorm_src 0
		.amdhsa_exception_fp_ieee_div_zero 0
		.amdhsa_exception_fp_ieee_overflow 0
		.amdhsa_exception_fp_ieee_underflow 0
		.amdhsa_exception_fp_ieee_inexact 0
		.amdhsa_exception_int_div_zero 0
	.end_amdhsa_kernel
	.section	.text._ZN7rocprim17ROCPRIM_400000_NS6detail17trampoline_kernelINS0_13select_configILj256ELj13ELNS0_17block_load_methodE3ELS4_3ELS4_3ELNS0_20block_scan_algorithmE0ELj4294967295EEENS1_25partition_config_selectorILNS1_17partition_subalgoE3EjNS0_10empty_typeEbEEZZNS1_14partition_implILS8_3ELb0ES6_jNS0_17counting_iteratorIjlEEPS9_SE_NS0_5tupleIJPjSE_EEENSF_IJSE_SE_EEES9_SG_JZNS1_25segmented_radix_sort_implINS0_14default_configELb0EPKbPbPKlPlN2at6native12_GLOBAL__N_18offset_tEEE10hipError_tPvRmT1_PNSt15iterator_traitsISY_E10value_typeET2_T3_PNSZ_IS14_E10value_typeET4_jRbjT5_S1A_jjP12ihipStream_tbEUljE_EEESV_SW_SX_S14_S18_S1A_T6_T7_T9_mT8_S1C_bDpT10_ENKUlT_T0_E_clISt17integral_constantIbLb1EES1O_IbLb0EEEEDaS1K_S1L_EUlS1K_E_NS1_11comp_targetILNS1_3genE8ELNS1_11target_archE1030ELNS1_3gpuE2ELNS1_3repE0EEENS1_30default_config_static_selectorELNS0_4arch9wavefront6targetE1EEEvSY_,"axG",@progbits,_ZN7rocprim17ROCPRIM_400000_NS6detail17trampoline_kernelINS0_13select_configILj256ELj13ELNS0_17block_load_methodE3ELS4_3ELS4_3ELNS0_20block_scan_algorithmE0ELj4294967295EEENS1_25partition_config_selectorILNS1_17partition_subalgoE3EjNS0_10empty_typeEbEEZZNS1_14partition_implILS8_3ELb0ES6_jNS0_17counting_iteratorIjlEEPS9_SE_NS0_5tupleIJPjSE_EEENSF_IJSE_SE_EEES9_SG_JZNS1_25segmented_radix_sort_implINS0_14default_configELb0EPKbPbPKlPlN2at6native12_GLOBAL__N_18offset_tEEE10hipError_tPvRmT1_PNSt15iterator_traitsISY_E10value_typeET2_T3_PNSZ_IS14_E10value_typeET4_jRbjT5_S1A_jjP12ihipStream_tbEUljE_EEESV_SW_SX_S14_S18_S1A_T6_T7_T9_mT8_S1C_bDpT10_ENKUlT_T0_E_clISt17integral_constantIbLb1EES1O_IbLb0EEEEDaS1K_S1L_EUlS1K_E_NS1_11comp_targetILNS1_3genE8ELNS1_11target_archE1030ELNS1_3gpuE2ELNS1_3repE0EEENS1_30default_config_static_selectorELNS0_4arch9wavefront6targetE1EEEvSY_,comdat
.Lfunc_end1626:
	.size	_ZN7rocprim17ROCPRIM_400000_NS6detail17trampoline_kernelINS0_13select_configILj256ELj13ELNS0_17block_load_methodE3ELS4_3ELS4_3ELNS0_20block_scan_algorithmE0ELj4294967295EEENS1_25partition_config_selectorILNS1_17partition_subalgoE3EjNS0_10empty_typeEbEEZZNS1_14partition_implILS8_3ELb0ES6_jNS0_17counting_iteratorIjlEEPS9_SE_NS0_5tupleIJPjSE_EEENSF_IJSE_SE_EEES9_SG_JZNS1_25segmented_radix_sort_implINS0_14default_configELb0EPKbPbPKlPlN2at6native12_GLOBAL__N_18offset_tEEE10hipError_tPvRmT1_PNSt15iterator_traitsISY_E10value_typeET2_T3_PNSZ_IS14_E10value_typeET4_jRbjT5_S1A_jjP12ihipStream_tbEUljE_EEESV_SW_SX_S14_S18_S1A_T6_T7_T9_mT8_S1C_bDpT10_ENKUlT_T0_E_clISt17integral_constantIbLb1EES1O_IbLb0EEEEDaS1K_S1L_EUlS1K_E_NS1_11comp_targetILNS1_3genE8ELNS1_11target_archE1030ELNS1_3gpuE2ELNS1_3repE0EEENS1_30default_config_static_selectorELNS0_4arch9wavefront6targetE1EEEvSY_, .Lfunc_end1626-_ZN7rocprim17ROCPRIM_400000_NS6detail17trampoline_kernelINS0_13select_configILj256ELj13ELNS0_17block_load_methodE3ELS4_3ELS4_3ELNS0_20block_scan_algorithmE0ELj4294967295EEENS1_25partition_config_selectorILNS1_17partition_subalgoE3EjNS0_10empty_typeEbEEZZNS1_14partition_implILS8_3ELb0ES6_jNS0_17counting_iteratorIjlEEPS9_SE_NS0_5tupleIJPjSE_EEENSF_IJSE_SE_EEES9_SG_JZNS1_25segmented_radix_sort_implINS0_14default_configELb0EPKbPbPKlPlN2at6native12_GLOBAL__N_18offset_tEEE10hipError_tPvRmT1_PNSt15iterator_traitsISY_E10value_typeET2_T3_PNSZ_IS14_E10value_typeET4_jRbjT5_S1A_jjP12ihipStream_tbEUljE_EEESV_SW_SX_S14_S18_S1A_T6_T7_T9_mT8_S1C_bDpT10_ENKUlT_T0_E_clISt17integral_constantIbLb1EES1O_IbLb0EEEEDaS1K_S1L_EUlS1K_E_NS1_11comp_targetILNS1_3genE8ELNS1_11target_archE1030ELNS1_3gpuE2ELNS1_3repE0EEENS1_30default_config_static_selectorELNS0_4arch9wavefront6targetE1EEEvSY_
                                        ; -- End function
	.set _ZN7rocprim17ROCPRIM_400000_NS6detail17trampoline_kernelINS0_13select_configILj256ELj13ELNS0_17block_load_methodE3ELS4_3ELS4_3ELNS0_20block_scan_algorithmE0ELj4294967295EEENS1_25partition_config_selectorILNS1_17partition_subalgoE3EjNS0_10empty_typeEbEEZZNS1_14partition_implILS8_3ELb0ES6_jNS0_17counting_iteratorIjlEEPS9_SE_NS0_5tupleIJPjSE_EEENSF_IJSE_SE_EEES9_SG_JZNS1_25segmented_radix_sort_implINS0_14default_configELb0EPKbPbPKlPlN2at6native12_GLOBAL__N_18offset_tEEE10hipError_tPvRmT1_PNSt15iterator_traitsISY_E10value_typeET2_T3_PNSZ_IS14_E10value_typeET4_jRbjT5_S1A_jjP12ihipStream_tbEUljE_EEESV_SW_SX_S14_S18_S1A_T6_T7_T9_mT8_S1C_bDpT10_ENKUlT_T0_E_clISt17integral_constantIbLb1EES1O_IbLb0EEEEDaS1K_S1L_EUlS1K_E_NS1_11comp_targetILNS1_3genE8ELNS1_11target_archE1030ELNS1_3gpuE2ELNS1_3repE0EEENS1_30default_config_static_selectorELNS0_4arch9wavefront6targetE1EEEvSY_.num_vgpr, 0
	.set _ZN7rocprim17ROCPRIM_400000_NS6detail17trampoline_kernelINS0_13select_configILj256ELj13ELNS0_17block_load_methodE3ELS4_3ELS4_3ELNS0_20block_scan_algorithmE0ELj4294967295EEENS1_25partition_config_selectorILNS1_17partition_subalgoE3EjNS0_10empty_typeEbEEZZNS1_14partition_implILS8_3ELb0ES6_jNS0_17counting_iteratorIjlEEPS9_SE_NS0_5tupleIJPjSE_EEENSF_IJSE_SE_EEES9_SG_JZNS1_25segmented_radix_sort_implINS0_14default_configELb0EPKbPbPKlPlN2at6native12_GLOBAL__N_18offset_tEEE10hipError_tPvRmT1_PNSt15iterator_traitsISY_E10value_typeET2_T3_PNSZ_IS14_E10value_typeET4_jRbjT5_S1A_jjP12ihipStream_tbEUljE_EEESV_SW_SX_S14_S18_S1A_T6_T7_T9_mT8_S1C_bDpT10_ENKUlT_T0_E_clISt17integral_constantIbLb1EES1O_IbLb0EEEEDaS1K_S1L_EUlS1K_E_NS1_11comp_targetILNS1_3genE8ELNS1_11target_archE1030ELNS1_3gpuE2ELNS1_3repE0EEENS1_30default_config_static_selectorELNS0_4arch9wavefront6targetE1EEEvSY_.num_agpr, 0
	.set _ZN7rocprim17ROCPRIM_400000_NS6detail17trampoline_kernelINS0_13select_configILj256ELj13ELNS0_17block_load_methodE3ELS4_3ELS4_3ELNS0_20block_scan_algorithmE0ELj4294967295EEENS1_25partition_config_selectorILNS1_17partition_subalgoE3EjNS0_10empty_typeEbEEZZNS1_14partition_implILS8_3ELb0ES6_jNS0_17counting_iteratorIjlEEPS9_SE_NS0_5tupleIJPjSE_EEENSF_IJSE_SE_EEES9_SG_JZNS1_25segmented_radix_sort_implINS0_14default_configELb0EPKbPbPKlPlN2at6native12_GLOBAL__N_18offset_tEEE10hipError_tPvRmT1_PNSt15iterator_traitsISY_E10value_typeET2_T3_PNSZ_IS14_E10value_typeET4_jRbjT5_S1A_jjP12ihipStream_tbEUljE_EEESV_SW_SX_S14_S18_S1A_T6_T7_T9_mT8_S1C_bDpT10_ENKUlT_T0_E_clISt17integral_constantIbLb1EES1O_IbLb0EEEEDaS1K_S1L_EUlS1K_E_NS1_11comp_targetILNS1_3genE8ELNS1_11target_archE1030ELNS1_3gpuE2ELNS1_3repE0EEENS1_30default_config_static_selectorELNS0_4arch9wavefront6targetE1EEEvSY_.numbered_sgpr, 0
	.set _ZN7rocprim17ROCPRIM_400000_NS6detail17trampoline_kernelINS0_13select_configILj256ELj13ELNS0_17block_load_methodE3ELS4_3ELS4_3ELNS0_20block_scan_algorithmE0ELj4294967295EEENS1_25partition_config_selectorILNS1_17partition_subalgoE3EjNS0_10empty_typeEbEEZZNS1_14partition_implILS8_3ELb0ES6_jNS0_17counting_iteratorIjlEEPS9_SE_NS0_5tupleIJPjSE_EEENSF_IJSE_SE_EEES9_SG_JZNS1_25segmented_radix_sort_implINS0_14default_configELb0EPKbPbPKlPlN2at6native12_GLOBAL__N_18offset_tEEE10hipError_tPvRmT1_PNSt15iterator_traitsISY_E10value_typeET2_T3_PNSZ_IS14_E10value_typeET4_jRbjT5_S1A_jjP12ihipStream_tbEUljE_EEESV_SW_SX_S14_S18_S1A_T6_T7_T9_mT8_S1C_bDpT10_ENKUlT_T0_E_clISt17integral_constantIbLb1EES1O_IbLb0EEEEDaS1K_S1L_EUlS1K_E_NS1_11comp_targetILNS1_3genE8ELNS1_11target_archE1030ELNS1_3gpuE2ELNS1_3repE0EEENS1_30default_config_static_selectorELNS0_4arch9wavefront6targetE1EEEvSY_.num_named_barrier, 0
	.set _ZN7rocprim17ROCPRIM_400000_NS6detail17trampoline_kernelINS0_13select_configILj256ELj13ELNS0_17block_load_methodE3ELS4_3ELS4_3ELNS0_20block_scan_algorithmE0ELj4294967295EEENS1_25partition_config_selectorILNS1_17partition_subalgoE3EjNS0_10empty_typeEbEEZZNS1_14partition_implILS8_3ELb0ES6_jNS0_17counting_iteratorIjlEEPS9_SE_NS0_5tupleIJPjSE_EEENSF_IJSE_SE_EEES9_SG_JZNS1_25segmented_radix_sort_implINS0_14default_configELb0EPKbPbPKlPlN2at6native12_GLOBAL__N_18offset_tEEE10hipError_tPvRmT1_PNSt15iterator_traitsISY_E10value_typeET2_T3_PNSZ_IS14_E10value_typeET4_jRbjT5_S1A_jjP12ihipStream_tbEUljE_EEESV_SW_SX_S14_S18_S1A_T6_T7_T9_mT8_S1C_bDpT10_ENKUlT_T0_E_clISt17integral_constantIbLb1EES1O_IbLb0EEEEDaS1K_S1L_EUlS1K_E_NS1_11comp_targetILNS1_3genE8ELNS1_11target_archE1030ELNS1_3gpuE2ELNS1_3repE0EEENS1_30default_config_static_selectorELNS0_4arch9wavefront6targetE1EEEvSY_.private_seg_size, 0
	.set _ZN7rocprim17ROCPRIM_400000_NS6detail17trampoline_kernelINS0_13select_configILj256ELj13ELNS0_17block_load_methodE3ELS4_3ELS4_3ELNS0_20block_scan_algorithmE0ELj4294967295EEENS1_25partition_config_selectorILNS1_17partition_subalgoE3EjNS0_10empty_typeEbEEZZNS1_14partition_implILS8_3ELb0ES6_jNS0_17counting_iteratorIjlEEPS9_SE_NS0_5tupleIJPjSE_EEENSF_IJSE_SE_EEES9_SG_JZNS1_25segmented_radix_sort_implINS0_14default_configELb0EPKbPbPKlPlN2at6native12_GLOBAL__N_18offset_tEEE10hipError_tPvRmT1_PNSt15iterator_traitsISY_E10value_typeET2_T3_PNSZ_IS14_E10value_typeET4_jRbjT5_S1A_jjP12ihipStream_tbEUljE_EEESV_SW_SX_S14_S18_S1A_T6_T7_T9_mT8_S1C_bDpT10_ENKUlT_T0_E_clISt17integral_constantIbLb1EES1O_IbLb0EEEEDaS1K_S1L_EUlS1K_E_NS1_11comp_targetILNS1_3genE8ELNS1_11target_archE1030ELNS1_3gpuE2ELNS1_3repE0EEENS1_30default_config_static_selectorELNS0_4arch9wavefront6targetE1EEEvSY_.uses_vcc, 0
	.set _ZN7rocprim17ROCPRIM_400000_NS6detail17trampoline_kernelINS0_13select_configILj256ELj13ELNS0_17block_load_methodE3ELS4_3ELS4_3ELNS0_20block_scan_algorithmE0ELj4294967295EEENS1_25partition_config_selectorILNS1_17partition_subalgoE3EjNS0_10empty_typeEbEEZZNS1_14partition_implILS8_3ELb0ES6_jNS0_17counting_iteratorIjlEEPS9_SE_NS0_5tupleIJPjSE_EEENSF_IJSE_SE_EEES9_SG_JZNS1_25segmented_radix_sort_implINS0_14default_configELb0EPKbPbPKlPlN2at6native12_GLOBAL__N_18offset_tEEE10hipError_tPvRmT1_PNSt15iterator_traitsISY_E10value_typeET2_T3_PNSZ_IS14_E10value_typeET4_jRbjT5_S1A_jjP12ihipStream_tbEUljE_EEESV_SW_SX_S14_S18_S1A_T6_T7_T9_mT8_S1C_bDpT10_ENKUlT_T0_E_clISt17integral_constantIbLb1EES1O_IbLb0EEEEDaS1K_S1L_EUlS1K_E_NS1_11comp_targetILNS1_3genE8ELNS1_11target_archE1030ELNS1_3gpuE2ELNS1_3repE0EEENS1_30default_config_static_selectorELNS0_4arch9wavefront6targetE1EEEvSY_.uses_flat_scratch, 0
	.set _ZN7rocprim17ROCPRIM_400000_NS6detail17trampoline_kernelINS0_13select_configILj256ELj13ELNS0_17block_load_methodE3ELS4_3ELS4_3ELNS0_20block_scan_algorithmE0ELj4294967295EEENS1_25partition_config_selectorILNS1_17partition_subalgoE3EjNS0_10empty_typeEbEEZZNS1_14partition_implILS8_3ELb0ES6_jNS0_17counting_iteratorIjlEEPS9_SE_NS0_5tupleIJPjSE_EEENSF_IJSE_SE_EEES9_SG_JZNS1_25segmented_radix_sort_implINS0_14default_configELb0EPKbPbPKlPlN2at6native12_GLOBAL__N_18offset_tEEE10hipError_tPvRmT1_PNSt15iterator_traitsISY_E10value_typeET2_T3_PNSZ_IS14_E10value_typeET4_jRbjT5_S1A_jjP12ihipStream_tbEUljE_EEESV_SW_SX_S14_S18_S1A_T6_T7_T9_mT8_S1C_bDpT10_ENKUlT_T0_E_clISt17integral_constantIbLb1EES1O_IbLb0EEEEDaS1K_S1L_EUlS1K_E_NS1_11comp_targetILNS1_3genE8ELNS1_11target_archE1030ELNS1_3gpuE2ELNS1_3repE0EEENS1_30default_config_static_selectorELNS0_4arch9wavefront6targetE1EEEvSY_.has_dyn_sized_stack, 0
	.set _ZN7rocprim17ROCPRIM_400000_NS6detail17trampoline_kernelINS0_13select_configILj256ELj13ELNS0_17block_load_methodE3ELS4_3ELS4_3ELNS0_20block_scan_algorithmE0ELj4294967295EEENS1_25partition_config_selectorILNS1_17partition_subalgoE3EjNS0_10empty_typeEbEEZZNS1_14partition_implILS8_3ELb0ES6_jNS0_17counting_iteratorIjlEEPS9_SE_NS0_5tupleIJPjSE_EEENSF_IJSE_SE_EEES9_SG_JZNS1_25segmented_radix_sort_implINS0_14default_configELb0EPKbPbPKlPlN2at6native12_GLOBAL__N_18offset_tEEE10hipError_tPvRmT1_PNSt15iterator_traitsISY_E10value_typeET2_T3_PNSZ_IS14_E10value_typeET4_jRbjT5_S1A_jjP12ihipStream_tbEUljE_EEESV_SW_SX_S14_S18_S1A_T6_T7_T9_mT8_S1C_bDpT10_ENKUlT_T0_E_clISt17integral_constantIbLb1EES1O_IbLb0EEEEDaS1K_S1L_EUlS1K_E_NS1_11comp_targetILNS1_3genE8ELNS1_11target_archE1030ELNS1_3gpuE2ELNS1_3repE0EEENS1_30default_config_static_selectorELNS0_4arch9wavefront6targetE1EEEvSY_.has_recursion, 0
	.set _ZN7rocprim17ROCPRIM_400000_NS6detail17trampoline_kernelINS0_13select_configILj256ELj13ELNS0_17block_load_methodE3ELS4_3ELS4_3ELNS0_20block_scan_algorithmE0ELj4294967295EEENS1_25partition_config_selectorILNS1_17partition_subalgoE3EjNS0_10empty_typeEbEEZZNS1_14partition_implILS8_3ELb0ES6_jNS0_17counting_iteratorIjlEEPS9_SE_NS0_5tupleIJPjSE_EEENSF_IJSE_SE_EEES9_SG_JZNS1_25segmented_radix_sort_implINS0_14default_configELb0EPKbPbPKlPlN2at6native12_GLOBAL__N_18offset_tEEE10hipError_tPvRmT1_PNSt15iterator_traitsISY_E10value_typeET2_T3_PNSZ_IS14_E10value_typeET4_jRbjT5_S1A_jjP12ihipStream_tbEUljE_EEESV_SW_SX_S14_S18_S1A_T6_T7_T9_mT8_S1C_bDpT10_ENKUlT_T0_E_clISt17integral_constantIbLb1EES1O_IbLb0EEEEDaS1K_S1L_EUlS1K_E_NS1_11comp_targetILNS1_3genE8ELNS1_11target_archE1030ELNS1_3gpuE2ELNS1_3repE0EEENS1_30default_config_static_selectorELNS0_4arch9wavefront6targetE1EEEvSY_.has_indirect_call, 0
	.section	.AMDGPU.csdata,"",@progbits
; Kernel info:
; codeLenInByte = 0
; TotalNumSgprs: 4
; NumVgprs: 0
; ScratchSize: 0
; MemoryBound: 0
; FloatMode: 240
; IeeeMode: 1
; LDSByteSize: 0 bytes/workgroup (compile time only)
; SGPRBlocks: 0
; VGPRBlocks: 0
; NumSGPRsForWavesPerEU: 4
; NumVGPRsForWavesPerEU: 1
; Occupancy: 10
; WaveLimiterHint : 0
; COMPUTE_PGM_RSRC2:SCRATCH_EN: 0
; COMPUTE_PGM_RSRC2:USER_SGPR: 6
; COMPUTE_PGM_RSRC2:TRAP_HANDLER: 0
; COMPUTE_PGM_RSRC2:TGID_X_EN: 1
; COMPUTE_PGM_RSRC2:TGID_Y_EN: 0
; COMPUTE_PGM_RSRC2:TGID_Z_EN: 0
; COMPUTE_PGM_RSRC2:TIDIG_COMP_CNT: 0
	.section	.text._ZN7rocprim17ROCPRIM_400000_NS6detail17trampoline_kernelINS0_13select_configILj256ELj13ELNS0_17block_load_methodE3ELS4_3ELS4_3ELNS0_20block_scan_algorithmE0ELj4294967295EEENS1_25partition_config_selectorILNS1_17partition_subalgoE3EjNS0_10empty_typeEbEEZZNS1_14partition_implILS8_3ELb0ES6_jNS0_17counting_iteratorIjlEEPS9_SE_NS0_5tupleIJPjSE_EEENSF_IJSE_SE_EEES9_SG_JZNS1_25segmented_radix_sort_implINS0_14default_configELb0EPKbPbPKlPlN2at6native12_GLOBAL__N_18offset_tEEE10hipError_tPvRmT1_PNSt15iterator_traitsISY_E10value_typeET2_T3_PNSZ_IS14_E10value_typeET4_jRbjT5_S1A_jjP12ihipStream_tbEUljE_EEESV_SW_SX_S14_S18_S1A_T6_T7_T9_mT8_S1C_bDpT10_ENKUlT_T0_E_clISt17integral_constantIbLb0EES1O_IbLb1EEEEDaS1K_S1L_EUlS1K_E_NS1_11comp_targetILNS1_3genE0ELNS1_11target_archE4294967295ELNS1_3gpuE0ELNS1_3repE0EEENS1_30default_config_static_selectorELNS0_4arch9wavefront6targetE1EEEvSY_,"axG",@progbits,_ZN7rocprim17ROCPRIM_400000_NS6detail17trampoline_kernelINS0_13select_configILj256ELj13ELNS0_17block_load_methodE3ELS4_3ELS4_3ELNS0_20block_scan_algorithmE0ELj4294967295EEENS1_25partition_config_selectorILNS1_17partition_subalgoE3EjNS0_10empty_typeEbEEZZNS1_14partition_implILS8_3ELb0ES6_jNS0_17counting_iteratorIjlEEPS9_SE_NS0_5tupleIJPjSE_EEENSF_IJSE_SE_EEES9_SG_JZNS1_25segmented_radix_sort_implINS0_14default_configELb0EPKbPbPKlPlN2at6native12_GLOBAL__N_18offset_tEEE10hipError_tPvRmT1_PNSt15iterator_traitsISY_E10value_typeET2_T3_PNSZ_IS14_E10value_typeET4_jRbjT5_S1A_jjP12ihipStream_tbEUljE_EEESV_SW_SX_S14_S18_S1A_T6_T7_T9_mT8_S1C_bDpT10_ENKUlT_T0_E_clISt17integral_constantIbLb0EES1O_IbLb1EEEEDaS1K_S1L_EUlS1K_E_NS1_11comp_targetILNS1_3genE0ELNS1_11target_archE4294967295ELNS1_3gpuE0ELNS1_3repE0EEENS1_30default_config_static_selectorELNS0_4arch9wavefront6targetE1EEEvSY_,comdat
	.globl	_ZN7rocprim17ROCPRIM_400000_NS6detail17trampoline_kernelINS0_13select_configILj256ELj13ELNS0_17block_load_methodE3ELS4_3ELS4_3ELNS0_20block_scan_algorithmE0ELj4294967295EEENS1_25partition_config_selectorILNS1_17partition_subalgoE3EjNS0_10empty_typeEbEEZZNS1_14partition_implILS8_3ELb0ES6_jNS0_17counting_iteratorIjlEEPS9_SE_NS0_5tupleIJPjSE_EEENSF_IJSE_SE_EEES9_SG_JZNS1_25segmented_radix_sort_implINS0_14default_configELb0EPKbPbPKlPlN2at6native12_GLOBAL__N_18offset_tEEE10hipError_tPvRmT1_PNSt15iterator_traitsISY_E10value_typeET2_T3_PNSZ_IS14_E10value_typeET4_jRbjT5_S1A_jjP12ihipStream_tbEUljE_EEESV_SW_SX_S14_S18_S1A_T6_T7_T9_mT8_S1C_bDpT10_ENKUlT_T0_E_clISt17integral_constantIbLb0EES1O_IbLb1EEEEDaS1K_S1L_EUlS1K_E_NS1_11comp_targetILNS1_3genE0ELNS1_11target_archE4294967295ELNS1_3gpuE0ELNS1_3repE0EEENS1_30default_config_static_selectorELNS0_4arch9wavefront6targetE1EEEvSY_ ; -- Begin function _ZN7rocprim17ROCPRIM_400000_NS6detail17trampoline_kernelINS0_13select_configILj256ELj13ELNS0_17block_load_methodE3ELS4_3ELS4_3ELNS0_20block_scan_algorithmE0ELj4294967295EEENS1_25partition_config_selectorILNS1_17partition_subalgoE3EjNS0_10empty_typeEbEEZZNS1_14partition_implILS8_3ELb0ES6_jNS0_17counting_iteratorIjlEEPS9_SE_NS0_5tupleIJPjSE_EEENSF_IJSE_SE_EEES9_SG_JZNS1_25segmented_radix_sort_implINS0_14default_configELb0EPKbPbPKlPlN2at6native12_GLOBAL__N_18offset_tEEE10hipError_tPvRmT1_PNSt15iterator_traitsISY_E10value_typeET2_T3_PNSZ_IS14_E10value_typeET4_jRbjT5_S1A_jjP12ihipStream_tbEUljE_EEESV_SW_SX_S14_S18_S1A_T6_T7_T9_mT8_S1C_bDpT10_ENKUlT_T0_E_clISt17integral_constantIbLb0EES1O_IbLb1EEEEDaS1K_S1L_EUlS1K_E_NS1_11comp_targetILNS1_3genE0ELNS1_11target_archE4294967295ELNS1_3gpuE0ELNS1_3repE0EEENS1_30default_config_static_selectorELNS0_4arch9wavefront6targetE1EEEvSY_
	.p2align	8
	.type	_ZN7rocprim17ROCPRIM_400000_NS6detail17trampoline_kernelINS0_13select_configILj256ELj13ELNS0_17block_load_methodE3ELS4_3ELS4_3ELNS0_20block_scan_algorithmE0ELj4294967295EEENS1_25partition_config_selectorILNS1_17partition_subalgoE3EjNS0_10empty_typeEbEEZZNS1_14partition_implILS8_3ELb0ES6_jNS0_17counting_iteratorIjlEEPS9_SE_NS0_5tupleIJPjSE_EEENSF_IJSE_SE_EEES9_SG_JZNS1_25segmented_radix_sort_implINS0_14default_configELb0EPKbPbPKlPlN2at6native12_GLOBAL__N_18offset_tEEE10hipError_tPvRmT1_PNSt15iterator_traitsISY_E10value_typeET2_T3_PNSZ_IS14_E10value_typeET4_jRbjT5_S1A_jjP12ihipStream_tbEUljE_EEESV_SW_SX_S14_S18_S1A_T6_T7_T9_mT8_S1C_bDpT10_ENKUlT_T0_E_clISt17integral_constantIbLb0EES1O_IbLb1EEEEDaS1K_S1L_EUlS1K_E_NS1_11comp_targetILNS1_3genE0ELNS1_11target_archE4294967295ELNS1_3gpuE0ELNS1_3repE0EEENS1_30default_config_static_selectorELNS0_4arch9wavefront6targetE1EEEvSY_,@function
_ZN7rocprim17ROCPRIM_400000_NS6detail17trampoline_kernelINS0_13select_configILj256ELj13ELNS0_17block_load_methodE3ELS4_3ELS4_3ELNS0_20block_scan_algorithmE0ELj4294967295EEENS1_25partition_config_selectorILNS1_17partition_subalgoE3EjNS0_10empty_typeEbEEZZNS1_14partition_implILS8_3ELb0ES6_jNS0_17counting_iteratorIjlEEPS9_SE_NS0_5tupleIJPjSE_EEENSF_IJSE_SE_EEES9_SG_JZNS1_25segmented_radix_sort_implINS0_14default_configELb0EPKbPbPKlPlN2at6native12_GLOBAL__N_18offset_tEEE10hipError_tPvRmT1_PNSt15iterator_traitsISY_E10value_typeET2_T3_PNSZ_IS14_E10value_typeET4_jRbjT5_S1A_jjP12ihipStream_tbEUljE_EEESV_SW_SX_S14_S18_S1A_T6_T7_T9_mT8_S1C_bDpT10_ENKUlT_T0_E_clISt17integral_constantIbLb0EES1O_IbLb1EEEEDaS1K_S1L_EUlS1K_E_NS1_11comp_targetILNS1_3genE0ELNS1_11target_archE4294967295ELNS1_3gpuE0ELNS1_3repE0EEENS1_30default_config_static_selectorELNS0_4arch9wavefront6targetE1EEEvSY_: ; @_ZN7rocprim17ROCPRIM_400000_NS6detail17trampoline_kernelINS0_13select_configILj256ELj13ELNS0_17block_load_methodE3ELS4_3ELS4_3ELNS0_20block_scan_algorithmE0ELj4294967295EEENS1_25partition_config_selectorILNS1_17partition_subalgoE3EjNS0_10empty_typeEbEEZZNS1_14partition_implILS8_3ELb0ES6_jNS0_17counting_iteratorIjlEEPS9_SE_NS0_5tupleIJPjSE_EEENSF_IJSE_SE_EEES9_SG_JZNS1_25segmented_radix_sort_implINS0_14default_configELb0EPKbPbPKlPlN2at6native12_GLOBAL__N_18offset_tEEE10hipError_tPvRmT1_PNSt15iterator_traitsISY_E10value_typeET2_T3_PNSZ_IS14_E10value_typeET4_jRbjT5_S1A_jjP12ihipStream_tbEUljE_EEESV_SW_SX_S14_S18_S1A_T6_T7_T9_mT8_S1C_bDpT10_ENKUlT_T0_E_clISt17integral_constantIbLb0EES1O_IbLb1EEEEDaS1K_S1L_EUlS1K_E_NS1_11comp_targetILNS1_3genE0ELNS1_11target_archE4294967295ELNS1_3gpuE0ELNS1_3repE0EEENS1_30default_config_static_selectorELNS0_4arch9wavefront6targetE1EEEvSY_
; %bb.0:
	.section	.rodata,"a",@progbits
	.p2align	6, 0x0
	.amdhsa_kernel _ZN7rocprim17ROCPRIM_400000_NS6detail17trampoline_kernelINS0_13select_configILj256ELj13ELNS0_17block_load_methodE3ELS4_3ELS4_3ELNS0_20block_scan_algorithmE0ELj4294967295EEENS1_25partition_config_selectorILNS1_17partition_subalgoE3EjNS0_10empty_typeEbEEZZNS1_14partition_implILS8_3ELb0ES6_jNS0_17counting_iteratorIjlEEPS9_SE_NS0_5tupleIJPjSE_EEENSF_IJSE_SE_EEES9_SG_JZNS1_25segmented_radix_sort_implINS0_14default_configELb0EPKbPbPKlPlN2at6native12_GLOBAL__N_18offset_tEEE10hipError_tPvRmT1_PNSt15iterator_traitsISY_E10value_typeET2_T3_PNSZ_IS14_E10value_typeET4_jRbjT5_S1A_jjP12ihipStream_tbEUljE_EEESV_SW_SX_S14_S18_S1A_T6_T7_T9_mT8_S1C_bDpT10_ENKUlT_T0_E_clISt17integral_constantIbLb0EES1O_IbLb1EEEEDaS1K_S1L_EUlS1K_E_NS1_11comp_targetILNS1_3genE0ELNS1_11target_archE4294967295ELNS1_3gpuE0ELNS1_3repE0EEENS1_30default_config_static_selectorELNS0_4arch9wavefront6targetE1EEEvSY_
		.amdhsa_group_segment_fixed_size 0
		.amdhsa_private_segment_fixed_size 0
		.amdhsa_kernarg_size 152
		.amdhsa_user_sgpr_count 6
		.amdhsa_user_sgpr_private_segment_buffer 1
		.amdhsa_user_sgpr_dispatch_ptr 0
		.amdhsa_user_sgpr_queue_ptr 0
		.amdhsa_user_sgpr_kernarg_segment_ptr 1
		.amdhsa_user_sgpr_dispatch_id 0
		.amdhsa_user_sgpr_flat_scratch_init 0
		.amdhsa_user_sgpr_private_segment_size 0
		.amdhsa_uses_dynamic_stack 0
		.amdhsa_system_sgpr_private_segment_wavefront_offset 0
		.amdhsa_system_sgpr_workgroup_id_x 1
		.amdhsa_system_sgpr_workgroup_id_y 0
		.amdhsa_system_sgpr_workgroup_id_z 0
		.amdhsa_system_sgpr_workgroup_info 0
		.amdhsa_system_vgpr_workitem_id 0
		.amdhsa_next_free_vgpr 1
		.amdhsa_next_free_sgpr 0
		.amdhsa_reserve_vcc 0
		.amdhsa_reserve_flat_scratch 0
		.amdhsa_float_round_mode_32 0
		.amdhsa_float_round_mode_16_64 0
		.amdhsa_float_denorm_mode_32 3
		.amdhsa_float_denorm_mode_16_64 3
		.amdhsa_dx10_clamp 1
		.amdhsa_ieee_mode 1
		.amdhsa_fp16_overflow 0
		.amdhsa_exception_fp_ieee_invalid_op 0
		.amdhsa_exception_fp_denorm_src 0
		.amdhsa_exception_fp_ieee_div_zero 0
		.amdhsa_exception_fp_ieee_overflow 0
		.amdhsa_exception_fp_ieee_underflow 0
		.amdhsa_exception_fp_ieee_inexact 0
		.amdhsa_exception_int_div_zero 0
	.end_amdhsa_kernel
	.section	.text._ZN7rocprim17ROCPRIM_400000_NS6detail17trampoline_kernelINS0_13select_configILj256ELj13ELNS0_17block_load_methodE3ELS4_3ELS4_3ELNS0_20block_scan_algorithmE0ELj4294967295EEENS1_25partition_config_selectorILNS1_17partition_subalgoE3EjNS0_10empty_typeEbEEZZNS1_14partition_implILS8_3ELb0ES6_jNS0_17counting_iteratorIjlEEPS9_SE_NS0_5tupleIJPjSE_EEENSF_IJSE_SE_EEES9_SG_JZNS1_25segmented_radix_sort_implINS0_14default_configELb0EPKbPbPKlPlN2at6native12_GLOBAL__N_18offset_tEEE10hipError_tPvRmT1_PNSt15iterator_traitsISY_E10value_typeET2_T3_PNSZ_IS14_E10value_typeET4_jRbjT5_S1A_jjP12ihipStream_tbEUljE_EEESV_SW_SX_S14_S18_S1A_T6_T7_T9_mT8_S1C_bDpT10_ENKUlT_T0_E_clISt17integral_constantIbLb0EES1O_IbLb1EEEEDaS1K_S1L_EUlS1K_E_NS1_11comp_targetILNS1_3genE0ELNS1_11target_archE4294967295ELNS1_3gpuE0ELNS1_3repE0EEENS1_30default_config_static_selectorELNS0_4arch9wavefront6targetE1EEEvSY_,"axG",@progbits,_ZN7rocprim17ROCPRIM_400000_NS6detail17trampoline_kernelINS0_13select_configILj256ELj13ELNS0_17block_load_methodE3ELS4_3ELS4_3ELNS0_20block_scan_algorithmE0ELj4294967295EEENS1_25partition_config_selectorILNS1_17partition_subalgoE3EjNS0_10empty_typeEbEEZZNS1_14partition_implILS8_3ELb0ES6_jNS0_17counting_iteratorIjlEEPS9_SE_NS0_5tupleIJPjSE_EEENSF_IJSE_SE_EEES9_SG_JZNS1_25segmented_radix_sort_implINS0_14default_configELb0EPKbPbPKlPlN2at6native12_GLOBAL__N_18offset_tEEE10hipError_tPvRmT1_PNSt15iterator_traitsISY_E10value_typeET2_T3_PNSZ_IS14_E10value_typeET4_jRbjT5_S1A_jjP12ihipStream_tbEUljE_EEESV_SW_SX_S14_S18_S1A_T6_T7_T9_mT8_S1C_bDpT10_ENKUlT_T0_E_clISt17integral_constantIbLb0EES1O_IbLb1EEEEDaS1K_S1L_EUlS1K_E_NS1_11comp_targetILNS1_3genE0ELNS1_11target_archE4294967295ELNS1_3gpuE0ELNS1_3repE0EEENS1_30default_config_static_selectorELNS0_4arch9wavefront6targetE1EEEvSY_,comdat
.Lfunc_end1627:
	.size	_ZN7rocprim17ROCPRIM_400000_NS6detail17trampoline_kernelINS0_13select_configILj256ELj13ELNS0_17block_load_methodE3ELS4_3ELS4_3ELNS0_20block_scan_algorithmE0ELj4294967295EEENS1_25partition_config_selectorILNS1_17partition_subalgoE3EjNS0_10empty_typeEbEEZZNS1_14partition_implILS8_3ELb0ES6_jNS0_17counting_iteratorIjlEEPS9_SE_NS0_5tupleIJPjSE_EEENSF_IJSE_SE_EEES9_SG_JZNS1_25segmented_radix_sort_implINS0_14default_configELb0EPKbPbPKlPlN2at6native12_GLOBAL__N_18offset_tEEE10hipError_tPvRmT1_PNSt15iterator_traitsISY_E10value_typeET2_T3_PNSZ_IS14_E10value_typeET4_jRbjT5_S1A_jjP12ihipStream_tbEUljE_EEESV_SW_SX_S14_S18_S1A_T6_T7_T9_mT8_S1C_bDpT10_ENKUlT_T0_E_clISt17integral_constantIbLb0EES1O_IbLb1EEEEDaS1K_S1L_EUlS1K_E_NS1_11comp_targetILNS1_3genE0ELNS1_11target_archE4294967295ELNS1_3gpuE0ELNS1_3repE0EEENS1_30default_config_static_selectorELNS0_4arch9wavefront6targetE1EEEvSY_, .Lfunc_end1627-_ZN7rocprim17ROCPRIM_400000_NS6detail17trampoline_kernelINS0_13select_configILj256ELj13ELNS0_17block_load_methodE3ELS4_3ELS4_3ELNS0_20block_scan_algorithmE0ELj4294967295EEENS1_25partition_config_selectorILNS1_17partition_subalgoE3EjNS0_10empty_typeEbEEZZNS1_14partition_implILS8_3ELb0ES6_jNS0_17counting_iteratorIjlEEPS9_SE_NS0_5tupleIJPjSE_EEENSF_IJSE_SE_EEES9_SG_JZNS1_25segmented_radix_sort_implINS0_14default_configELb0EPKbPbPKlPlN2at6native12_GLOBAL__N_18offset_tEEE10hipError_tPvRmT1_PNSt15iterator_traitsISY_E10value_typeET2_T3_PNSZ_IS14_E10value_typeET4_jRbjT5_S1A_jjP12ihipStream_tbEUljE_EEESV_SW_SX_S14_S18_S1A_T6_T7_T9_mT8_S1C_bDpT10_ENKUlT_T0_E_clISt17integral_constantIbLb0EES1O_IbLb1EEEEDaS1K_S1L_EUlS1K_E_NS1_11comp_targetILNS1_3genE0ELNS1_11target_archE4294967295ELNS1_3gpuE0ELNS1_3repE0EEENS1_30default_config_static_selectorELNS0_4arch9wavefront6targetE1EEEvSY_
                                        ; -- End function
	.set _ZN7rocprim17ROCPRIM_400000_NS6detail17trampoline_kernelINS0_13select_configILj256ELj13ELNS0_17block_load_methodE3ELS4_3ELS4_3ELNS0_20block_scan_algorithmE0ELj4294967295EEENS1_25partition_config_selectorILNS1_17partition_subalgoE3EjNS0_10empty_typeEbEEZZNS1_14partition_implILS8_3ELb0ES6_jNS0_17counting_iteratorIjlEEPS9_SE_NS0_5tupleIJPjSE_EEENSF_IJSE_SE_EEES9_SG_JZNS1_25segmented_radix_sort_implINS0_14default_configELb0EPKbPbPKlPlN2at6native12_GLOBAL__N_18offset_tEEE10hipError_tPvRmT1_PNSt15iterator_traitsISY_E10value_typeET2_T3_PNSZ_IS14_E10value_typeET4_jRbjT5_S1A_jjP12ihipStream_tbEUljE_EEESV_SW_SX_S14_S18_S1A_T6_T7_T9_mT8_S1C_bDpT10_ENKUlT_T0_E_clISt17integral_constantIbLb0EES1O_IbLb1EEEEDaS1K_S1L_EUlS1K_E_NS1_11comp_targetILNS1_3genE0ELNS1_11target_archE4294967295ELNS1_3gpuE0ELNS1_3repE0EEENS1_30default_config_static_selectorELNS0_4arch9wavefront6targetE1EEEvSY_.num_vgpr, 0
	.set _ZN7rocprim17ROCPRIM_400000_NS6detail17trampoline_kernelINS0_13select_configILj256ELj13ELNS0_17block_load_methodE3ELS4_3ELS4_3ELNS0_20block_scan_algorithmE0ELj4294967295EEENS1_25partition_config_selectorILNS1_17partition_subalgoE3EjNS0_10empty_typeEbEEZZNS1_14partition_implILS8_3ELb0ES6_jNS0_17counting_iteratorIjlEEPS9_SE_NS0_5tupleIJPjSE_EEENSF_IJSE_SE_EEES9_SG_JZNS1_25segmented_radix_sort_implINS0_14default_configELb0EPKbPbPKlPlN2at6native12_GLOBAL__N_18offset_tEEE10hipError_tPvRmT1_PNSt15iterator_traitsISY_E10value_typeET2_T3_PNSZ_IS14_E10value_typeET4_jRbjT5_S1A_jjP12ihipStream_tbEUljE_EEESV_SW_SX_S14_S18_S1A_T6_T7_T9_mT8_S1C_bDpT10_ENKUlT_T0_E_clISt17integral_constantIbLb0EES1O_IbLb1EEEEDaS1K_S1L_EUlS1K_E_NS1_11comp_targetILNS1_3genE0ELNS1_11target_archE4294967295ELNS1_3gpuE0ELNS1_3repE0EEENS1_30default_config_static_selectorELNS0_4arch9wavefront6targetE1EEEvSY_.num_agpr, 0
	.set _ZN7rocprim17ROCPRIM_400000_NS6detail17trampoline_kernelINS0_13select_configILj256ELj13ELNS0_17block_load_methodE3ELS4_3ELS4_3ELNS0_20block_scan_algorithmE0ELj4294967295EEENS1_25partition_config_selectorILNS1_17partition_subalgoE3EjNS0_10empty_typeEbEEZZNS1_14partition_implILS8_3ELb0ES6_jNS0_17counting_iteratorIjlEEPS9_SE_NS0_5tupleIJPjSE_EEENSF_IJSE_SE_EEES9_SG_JZNS1_25segmented_radix_sort_implINS0_14default_configELb0EPKbPbPKlPlN2at6native12_GLOBAL__N_18offset_tEEE10hipError_tPvRmT1_PNSt15iterator_traitsISY_E10value_typeET2_T3_PNSZ_IS14_E10value_typeET4_jRbjT5_S1A_jjP12ihipStream_tbEUljE_EEESV_SW_SX_S14_S18_S1A_T6_T7_T9_mT8_S1C_bDpT10_ENKUlT_T0_E_clISt17integral_constantIbLb0EES1O_IbLb1EEEEDaS1K_S1L_EUlS1K_E_NS1_11comp_targetILNS1_3genE0ELNS1_11target_archE4294967295ELNS1_3gpuE0ELNS1_3repE0EEENS1_30default_config_static_selectorELNS0_4arch9wavefront6targetE1EEEvSY_.numbered_sgpr, 0
	.set _ZN7rocprim17ROCPRIM_400000_NS6detail17trampoline_kernelINS0_13select_configILj256ELj13ELNS0_17block_load_methodE3ELS4_3ELS4_3ELNS0_20block_scan_algorithmE0ELj4294967295EEENS1_25partition_config_selectorILNS1_17partition_subalgoE3EjNS0_10empty_typeEbEEZZNS1_14partition_implILS8_3ELb0ES6_jNS0_17counting_iteratorIjlEEPS9_SE_NS0_5tupleIJPjSE_EEENSF_IJSE_SE_EEES9_SG_JZNS1_25segmented_radix_sort_implINS0_14default_configELb0EPKbPbPKlPlN2at6native12_GLOBAL__N_18offset_tEEE10hipError_tPvRmT1_PNSt15iterator_traitsISY_E10value_typeET2_T3_PNSZ_IS14_E10value_typeET4_jRbjT5_S1A_jjP12ihipStream_tbEUljE_EEESV_SW_SX_S14_S18_S1A_T6_T7_T9_mT8_S1C_bDpT10_ENKUlT_T0_E_clISt17integral_constantIbLb0EES1O_IbLb1EEEEDaS1K_S1L_EUlS1K_E_NS1_11comp_targetILNS1_3genE0ELNS1_11target_archE4294967295ELNS1_3gpuE0ELNS1_3repE0EEENS1_30default_config_static_selectorELNS0_4arch9wavefront6targetE1EEEvSY_.num_named_barrier, 0
	.set _ZN7rocprim17ROCPRIM_400000_NS6detail17trampoline_kernelINS0_13select_configILj256ELj13ELNS0_17block_load_methodE3ELS4_3ELS4_3ELNS0_20block_scan_algorithmE0ELj4294967295EEENS1_25partition_config_selectorILNS1_17partition_subalgoE3EjNS0_10empty_typeEbEEZZNS1_14partition_implILS8_3ELb0ES6_jNS0_17counting_iteratorIjlEEPS9_SE_NS0_5tupleIJPjSE_EEENSF_IJSE_SE_EEES9_SG_JZNS1_25segmented_radix_sort_implINS0_14default_configELb0EPKbPbPKlPlN2at6native12_GLOBAL__N_18offset_tEEE10hipError_tPvRmT1_PNSt15iterator_traitsISY_E10value_typeET2_T3_PNSZ_IS14_E10value_typeET4_jRbjT5_S1A_jjP12ihipStream_tbEUljE_EEESV_SW_SX_S14_S18_S1A_T6_T7_T9_mT8_S1C_bDpT10_ENKUlT_T0_E_clISt17integral_constantIbLb0EES1O_IbLb1EEEEDaS1K_S1L_EUlS1K_E_NS1_11comp_targetILNS1_3genE0ELNS1_11target_archE4294967295ELNS1_3gpuE0ELNS1_3repE0EEENS1_30default_config_static_selectorELNS0_4arch9wavefront6targetE1EEEvSY_.private_seg_size, 0
	.set _ZN7rocprim17ROCPRIM_400000_NS6detail17trampoline_kernelINS0_13select_configILj256ELj13ELNS0_17block_load_methodE3ELS4_3ELS4_3ELNS0_20block_scan_algorithmE0ELj4294967295EEENS1_25partition_config_selectorILNS1_17partition_subalgoE3EjNS0_10empty_typeEbEEZZNS1_14partition_implILS8_3ELb0ES6_jNS0_17counting_iteratorIjlEEPS9_SE_NS0_5tupleIJPjSE_EEENSF_IJSE_SE_EEES9_SG_JZNS1_25segmented_radix_sort_implINS0_14default_configELb0EPKbPbPKlPlN2at6native12_GLOBAL__N_18offset_tEEE10hipError_tPvRmT1_PNSt15iterator_traitsISY_E10value_typeET2_T3_PNSZ_IS14_E10value_typeET4_jRbjT5_S1A_jjP12ihipStream_tbEUljE_EEESV_SW_SX_S14_S18_S1A_T6_T7_T9_mT8_S1C_bDpT10_ENKUlT_T0_E_clISt17integral_constantIbLb0EES1O_IbLb1EEEEDaS1K_S1L_EUlS1K_E_NS1_11comp_targetILNS1_3genE0ELNS1_11target_archE4294967295ELNS1_3gpuE0ELNS1_3repE0EEENS1_30default_config_static_selectorELNS0_4arch9wavefront6targetE1EEEvSY_.uses_vcc, 0
	.set _ZN7rocprim17ROCPRIM_400000_NS6detail17trampoline_kernelINS0_13select_configILj256ELj13ELNS0_17block_load_methodE3ELS4_3ELS4_3ELNS0_20block_scan_algorithmE0ELj4294967295EEENS1_25partition_config_selectorILNS1_17partition_subalgoE3EjNS0_10empty_typeEbEEZZNS1_14partition_implILS8_3ELb0ES6_jNS0_17counting_iteratorIjlEEPS9_SE_NS0_5tupleIJPjSE_EEENSF_IJSE_SE_EEES9_SG_JZNS1_25segmented_radix_sort_implINS0_14default_configELb0EPKbPbPKlPlN2at6native12_GLOBAL__N_18offset_tEEE10hipError_tPvRmT1_PNSt15iterator_traitsISY_E10value_typeET2_T3_PNSZ_IS14_E10value_typeET4_jRbjT5_S1A_jjP12ihipStream_tbEUljE_EEESV_SW_SX_S14_S18_S1A_T6_T7_T9_mT8_S1C_bDpT10_ENKUlT_T0_E_clISt17integral_constantIbLb0EES1O_IbLb1EEEEDaS1K_S1L_EUlS1K_E_NS1_11comp_targetILNS1_3genE0ELNS1_11target_archE4294967295ELNS1_3gpuE0ELNS1_3repE0EEENS1_30default_config_static_selectorELNS0_4arch9wavefront6targetE1EEEvSY_.uses_flat_scratch, 0
	.set _ZN7rocprim17ROCPRIM_400000_NS6detail17trampoline_kernelINS0_13select_configILj256ELj13ELNS0_17block_load_methodE3ELS4_3ELS4_3ELNS0_20block_scan_algorithmE0ELj4294967295EEENS1_25partition_config_selectorILNS1_17partition_subalgoE3EjNS0_10empty_typeEbEEZZNS1_14partition_implILS8_3ELb0ES6_jNS0_17counting_iteratorIjlEEPS9_SE_NS0_5tupleIJPjSE_EEENSF_IJSE_SE_EEES9_SG_JZNS1_25segmented_radix_sort_implINS0_14default_configELb0EPKbPbPKlPlN2at6native12_GLOBAL__N_18offset_tEEE10hipError_tPvRmT1_PNSt15iterator_traitsISY_E10value_typeET2_T3_PNSZ_IS14_E10value_typeET4_jRbjT5_S1A_jjP12ihipStream_tbEUljE_EEESV_SW_SX_S14_S18_S1A_T6_T7_T9_mT8_S1C_bDpT10_ENKUlT_T0_E_clISt17integral_constantIbLb0EES1O_IbLb1EEEEDaS1K_S1L_EUlS1K_E_NS1_11comp_targetILNS1_3genE0ELNS1_11target_archE4294967295ELNS1_3gpuE0ELNS1_3repE0EEENS1_30default_config_static_selectorELNS0_4arch9wavefront6targetE1EEEvSY_.has_dyn_sized_stack, 0
	.set _ZN7rocprim17ROCPRIM_400000_NS6detail17trampoline_kernelINS0_13select_configILj256ELj13ELNS0_17block_load_methodE3ELS4_3ELS4_3ELNS0_20block_scan_algorithmE0ELj4294967295EEENS1_25partition_config_selectorILNS1_17partition_subalgoE3EjNS0_10empty_typeEbEEZZNS1_14partition_implILS8_3ELb0ES6_jNS0_17counting_iteratorIjlEEPS9_SE_NS0_5tupleIJPjSE_EEENSF_IJSE_SE_EEES9_SG_JZNS1_25segmented_radix_sort_implINS0_14default_configELb0EPKbPbPKlPlN2at6native12_GLOBAL__N_18offset_tEEE10hipError_tPvRmT1_PNSt15iterator_traitsISY_E10value_typeET2_T3_PNSZ_IS14_E10value_typeET4_jRbjT5_S1A_jjP12ihipStream_tbEUljE_EEESV_SW_SX_S14_S18_S1A_T6_T7_T9_mT8_S1C_bDpT10_ENKUlT_T0_E_clISt17integral_constantIbLb0EES1O_IbLb1EEEEDaS1K_S1L_EUlS1K_E_NS1_11comp_targetILNS1_3genE0ELNS1_11target_archE4294967295ELNS1_3gpuE0ELNS1_3repE0EEENS1_30default_config_static_selectorELNS0_4arch9wavefront6targetE1EEEvSY_.has_recursion, 0
	.set _ZN7rocprim17ROCPRIM_400000_NS6detail17trampoline_kernelINS0_13select_configILj256ELj13ELNS0_17block_load_methodE3ELS4_3ELS4_3ELNS0_20block_scan_algorithmE0ELj4294967295EEENS1_25partition_config_selectorILNS1_17partition_subalgoE3EjNS0_10empty_typeEbEEZZNS1_14partition_implILS8_3ELb0ES6_jNS0_17counting_iteratorIjlEEPS9_SE_NS0_5tupleIJPjSE_EEENSF_IJSE_SE_EEES9_SG_JZNS1_25segmented_radix_sort_implINS0_14default_configELb0EPKbPbPKlPlN2at6native12_GLOBAL__N_18offset_tEEE10hipError_tPvRmT1_PNSt15iterator_traitsISY_E10value_typeET2_T3_PNSZ_IS14_E10value_typeET4_jRbjT5_S1A_jjP12ihipStream_tbEUljE_EEESV_SW_SX_S14_S18_S1A_T6_T7_T9_mT8_S1C_bDpT10_ENKUlT_T0_E_clISt17integral_constantIbLb0EES1O_IbLb1EEEEDaS1K_S1L_EUlS1K_E_NS1_11comp_targetILNS1_3genE0ELNS1_11target_archE4294967295ELNS1_3gpuE0ELNS1_3repE0EEENS1_30default_config_static_selectorELNS0_4arch9wavefront6targetE1EEEvSY_.has_indirect_call, 0
	.section	.AMDGPU.csdata,"",@progbits
; Kernel info:
; codeLenInByte = 0
; TotalNumSgprs: 4
; NumVgprs: 0
; ScratchSize: 0
; MemoryBound: 0
; FloatMode: 240
; IeeeMode: 1
; LDSByteSize: 0 bytes/workgroup (compile time only)
; SGPRBlocks: 0
; VGPRBlocks: 0
; NumSGPRsForWavesPerEU: 4
; NumVGPRsForWavesPerEU: 1
; Occupancy: 10
; WaveLimiterHint : 0
; COMPUTE_PGM_RSRC2:SCRATCH_EN: 0
; COMPUTE_PGM_RSRC2:USER_SGPR: 6
; COMPUTE_PGM_RSRC2:TRAP_HANDLER: 0
; COMPUTE_PGM_RSRC2:TGID_X_EN: 1
; COMPUTE_PGM_RSRC2:TGID_Y_EN: 0
; COMPUTE_PGM_RSRC2:TGID_Z_EN: 0
; COMPUTE_PGM_RSRC2:TIDIG_COMP_CNT: 0
	.section	.text._ZN7rocprim17ROCPRIM_400000_NS6detail17trampoline_kernelINS0_13select_configILj256ELj13ELNS0_17block_load_methodE3ELS4_3ELS4_3ELNS0_20block_scan_algorithmE0ELj4294967295EEENS1_25partition_config_selectorILNS1_17partition_subalgoE3EjNS0_10empty_typeEbEEZZNS1_14partition_implILS8_3ELb0ES6_jNS0_17counting_iteratorIjlEEPS9_SE_NS0_5tupleIJPjSE_EEENSF_IJSE_SE_EEES9_SG_JZNS1_25segmented_radix_sort_implINS0_14default_configELb0EPKbPbPKlPlN2at6native12_GLOBAL__N_18offset_tEEE10hipError_tPvRmT1_PNSt15iterator_traitsISY_E10value_typeET2_T3_PNSZ_IS14_E10value_typeET4_jRbjT5_S1A_jjP12ihipStream_tbEUljE_EEESV_SW_SX_S14_S18_S1A_T6_T7_T9_mT8_S1C_bDpT10_ENKUlT_T0_E_clISt17integral_constantIbLb0EES1O_IbLb1EEEEDaS1K_S1L_EUlS1K_E_NS1_11comp_targetILNS1_3genE5ELNS1_11target_archE942ELNS1_3gpuE9ELNS1_3repE0EEENS1_30default_config_static_selectorELNS0_4arch9wavefront6targetE1EEEvSY_,"axG",@progbits,_ZN7rocprim17ROCPRIM_400000_NS6detail17trampoline_kernelINS0_13select_configILj256ELj13ELNS0_17block_load_methodE3ELS4_3ELS4_3ELNS0_20block_scan_algorithmE0ELj4294967295EEENS1_25partition_config_selectorILNS1_17partition_subalgoE3EjNS0_10empty_typeEbEEZZNS1_14partition_implILS8_3ELb0ES6_jNS0_17counting_iteratorIjlEEPS9_SE_NS0_5tupleIJPjSE_EEENSF_IJSE_SE_EEES9_SG_JZNS1_25segmented_radix_sort_implINS0_14default_configELb0EPKbPbPKlPlN2at6native12_GLOBAL__N_18offset_tEEE10hipError_tPvRmT1_PNSt15iterator_traitsISY_E10value_typeET2_T3_PNSZ_IS14_E10value_typeET4_jRbjT5_S1A_jjP12ihipStream_tbEUljE_EEESV_SW_SX_S14_S18_S1A_T6_T7_T9_mT8_S1C_bDpT10_ENKUlT_T0_E_clISt17integral_constantIbLb0EES1O_IbLb1EEEEDaS1K_S1L_EUlS1K_E_NS1_11comp_targetILNS1_3genE5ELNS1_11target_archE942ELNS1_3gpuE9ELNS1_3repE0EEENS1_30default_config_static_selectorELNS0_4arch9wavefront6targetE1EEEvSY_,comdat
	.globl	_ZN7rocprim17ROCPRIM_400000_NS6detail17trampoline_kernelINS0_13select_configILj256ELj13ELNS0_17block_load_methodE3ELS4_3ELS4_3ELNS0_20block_scan_algorithmE0ELj4294967295EEENS1_25partition_config_selectorILNS1_17partition_subalgoE3EjNS0_10empty_typeEbEEZZNS1_14partition_implILS8_3ELb0ES6_jNS0_17counting_iteratorIjlEEPS9_SE_NS0_5tupleIJPjSE_EEENSF_IJSE_SE_EEES9_SG_JZNS1_25segmented_radix_sort_implINS0_14default_configELb0EPKbPbPKlPlN2at6native12_GLOBAL__N_18offset_tEEE10hipError_tPvRmT1_PNSt15iterator_traitsISY_E10value_typeET2_T3_PNSZ_IS14_E10value_typeET4_jRbjT5_S1A_jjP12ihipStream_tbEUljE_EEESV_SW_SX_S14_S18_S1A_T6_T7_T9_mT8_S1C_bDpT10_ENKUlT_T0_E_clISt17integral_constantIbLb0EES1O_IbLb1EEEEDaS1K_S1L_EUlS1K_E_NS1_11comp_targetILNS1_3genE5ELNS1_11target_archE942ELNS1_3gpuE9ELNS1_3repE0EEENS1_30default_config_static_selectorELNS0_4arch9wavefront6targetE1EEEvSY_ ; -- Begin function _ZN7rocprim17ROCPRIM_400000_NS6detail17trampoline_kernelINS0_13select_configILj256ELj13ELNS0_17block_load_methodE3ELS4_3ELS4_3ELNS0_20block_scan_algorithmE0ELj4294967295EEENS1_25partition_config_selectorILNS1_17partition_subalgoE3EjNS0_10empty_typeEbEEZZNS1_14partition_implILS8_3ELb0ES6_jNS0_17counting_iteratorIjlEEPS9_SE_NS0_5tupleIJPjSE_EEENSF_IJSE_SE_EEES9_SG_JZNS1_25segmented_radix_sort_implINS0_14default_configELb0EPKbPbPKlPlN2at6native12_GLOBAL__N_18offset_tEEE10hipError_tPvRmT1_PNSt15iterator_traitsISY_E10value_typeET2_T3_PNSZ_IS14_E10value_typeET4_jRbjT5_S1A_jjP12ihipStream_tbEUljE_EEESV_SW_SX_S14_S18_S1A_T6_T7_T9_mT8_S1C_bDpT10_ENKUlT_T0_E_clISt17integral_constantIbLb0EES1O_IbLb1EEEEDaS1K_S1L_EUlS1K_E_NS1_11comp_targetILNS1_3genE5ELNS1_11target_archE942ELNS1_3gpuE9ELNS1_3repE0EEENS1_30default_config_static_selectorELNS0_4arch9wavefront6targetE1EEEvSY_
	.p2align	8
	.type	_ZN7rocprim17ROCPRIM_400000_NS6detail17trampoline_kernelINS0_13select_configILj256ELj13ELNS0_17block_load_methodE3ELS4_3ELS4_3ELNS0_20block_scan_algorithmE0ELj4294967295EEENS1_25partition_config_selectorILNS1_17partition_subalgoE3EjNS0_10empty_typeEbEEZZNS1_14partition_implILS8_3ELb0ES6_jNS0_17counting_iteratorIjlEEPS9_SE_NS0_5tupleIJPjSE_EEENSF_IJSE_SE_EEES9_SG_JZNS1_25segmented_radix_sort_implINS0_14default_configELb0EPKbPbPKlPlN2at6native12_GLOBAL__N_18offset_tEEE10hipError_tPvRmT1_PNSt15iterator_traitsISY_E10value_typeET2_T3_PNSZ_IS14_E10value_typeET4_jRbjT5_S1A_jjP12ihipStream_tbEUljE_EEESV_SW_SX_S14_S18_S1A_T6_T7_T9_mT8_S1C_bDpT10_ENKUlT_T0_E_clISt17integral_constantIbLb0EES1O_IbLb1EEEEDaS1K_S1L_EUlS1K_E_NS1_11comp_targetILNS1_3genE5ELNS1_11target_archE942ELNS1_3gpuE9ELNS1_3repE0EEENS1_30default_config_static_selectorELNS0_4arch9wavefront6targetE1EEEvSY_,@function
_ZN7rocprim17ROCPRIM_400000_NS6detail17trampoline_kernelINS0_13select_configILj256ELj13ELNS0_17block_load_methodE3ELS4_3ELS4_3ELNS0_20block_scan_algorithmE0ELj4294967295EEENS1_25partition_config_selectorILNS1_17partition_subalgoE3EjNS0_10empty_typeEbEEZZNS1_14partition_implILS8_3ELb0ES6_jNS0_17counting_iteratorIjlEEPS9_SE_NS0_5tupleIJPjSE_EEENSF_IJSE_SE_EEES9_SG_JZNS1_25segmented_radix_sort_implINS0_14default_configELb0EPKbPbPKlPlN2at6native12_GLOBAL__N_18offset_tEEE10hipError_tPvRmT1_PNSt15iterator_traitsISY_E10value_typeET2_T3_PNSZ_IS14_E10value_typeET4_jRbjT5_S1A_jjP12ihipStream_tbEUljE_EEESV_SW_SX_S14_S18_S1A_T6_T7_T9_mT8_S1C_bDpT10_ENKUlT_T0_E_clISt17integral_constantIbLb0EES1O_IbLb1EEEEDaS1K_S1L_EUlS1K_E_NS1_11comp_targetILNS1_3genE5ELNS1_11target_archE942ELNS1_3gpuE9ELNS1_3repE0EEENS1_30default_config_static_selectorELNS0_4arch9wavefront6targetE1EEEvSY_: ; @_ZN7rocprim17ROCPRIM_400000_NS6detail17trampoline_kernelINS0_13select_configILj256ELj13ELNS0_17block_load_methodE3ELS4_3ELS4_3ELNS0_20block_scan_algorithmE0ELj4294967295EEENS1_25partition_config_selectorILNS1_17partition_subalgoE3EjNS0_10empty_typeEbEEZZNS1_14partition_implILS8_3ELb0ES6_jNS0_17counting_iteratorIjlEEPS9_SE_NS0_5tupleIJPjSE_EEENSF_IJSE_SE_EEES9_SG_JZNS1_25segmented_radix_sort_implINS0_14default_configELb0EPKbPbPKlPlN2at6native12_GLOBAL__N_18offset_tEEE10hipError_tPvRmT1_PNSt15iterator_traitsISY_E10value_typeET2_T3_PNSZ_IS14_E10value_typeET4_jRbjT5_S1A_jjP12ihipStream_tbEUljE_EEESV_SW_SX_S14_S18_S1A_T6_T7_T9_mT8_S1C_bDpT10_ENKUlT_T0_E_clISt17integral_constantIbLb0EES1O_IbLb1EEEEDaS1K_S1L_EUlS1K_E_NS1_11comp_targetILNS1_3genE5ELNS1_11target_archE942ELNS1_3gpuE9ELNS1_3repE0EEENS1_30default_config_static_selectorELNS0_4arch9wavefront6targetE1EEEvSY_
; %bb.0:
	.section	.rodata,"a",@progbits
	.p2align	6, 0x0
	.amdhsa_kernel _ZN7rocprim17ROCPRIM_400000_NS6detail17trampoline_kernelINS0_13select_configILj256ELj13ELNS0_17block_load_methodE3ELS4_3ELS4_3ELNS0_20block_scan_algorithmE0ELj4294967295EEENS1_25partition_config_selectorILNS1_17partition_subalgoE3EjNS0_10empty_typeEbEEZZNS1_14partition_implILS8_3ELb0ES6_jNS0_17counting_iteratorIjlEEPS9_SE_NS0_5tupleIJPjSE_EEENSF_IJSE_SE_EEES9_SG_JZNS1_25segmented_radix_sort_implINS0_14default_configELb0EPKbPbPKlPlN2at6native12_GLOBAL__N_18offset_tEEE10hipError_tPvRmT1_PNSt15iterator_traitsISY_E10value_typeET2_T3_PNSZ_IS14_E10value_typeET4_jRbjT5_S1A_jjP12ihipStream_tbEUljE_EEESV_SW_SX_S14_S18_S1A_T6_T7_T9_mT8_S1C_bDpT10_ENKUlT_T0_E_clISt17integral_constantIbLb0EES1O_IbLb1EEEEDaS1K_S1L_EUlS1K_E_NS1_11comp_targetILNS1_3genE5ELNS1_11target_archE942ELNS1_3gpuE9ELNS1_3repE0EEENS1_30default_config_static_selectorELNS0_4arch9wavefront6targetE1EEEvSY_
		.amdhsa_group_segment_fixed_size 0
		.amdhsa_private_segment_fixed_size 0
		.amdhsa_kernarg_size 152
		.amdhsa_user_sgpr_count 6
		.amdhsa_user_sgpr_private_segment_buffer 1
		.amdhsa_user_sgpr_dispatch_ptr 0
		.amdhsa_user_sgpr_queue_ptr 0
		.amdhsa_user_sgpr_kernarg_segment_ptr 1
		.amdhsa_user_sgpr_dispatch_id 0
		.amdhsa_user_sgpr_flat_scratch_init 0
		.amdhsa_user_sgpr_private_segment_size 0
		.amdhsa_uses_dynamic_stack 0
		.amdhsa_system_sgpr_private_segment_wavefront_offset 0
		.amdhsa_system_sgpr_workgroup_id_x 1
		.amdhsa_system_sgpr_workgroup_id_y 0
		.amdhsa_system_sgpr_workgroup_id_z 0
		.amdhsa_system_sgpr_workgroup_info 0
		.amdhsa_system_vgpr_workitem_id 0
		.amdhsa_next_free_vgpr 1
		.amdhsa_next_free_sgpr 0
		.amdhsa_reserve_vcc 0
		.amdhsa_reserve_flat_scratch 0
		.amdhsa_float_round_mode_32 0
		.amdhsa_float_round_mode_16_64 0
		.amdhsa_float_denorm_mode_32 3
		.amdhsa_float_denorm_mode_16_64 3
		.amdhsa_dx10_clamp 1
		.amdhsa_ieee_mode 1
		.amdhsa_fp16_overflow 0
		.amdhsa_exception_fp_ieee_invalid_op 0
		.amdhsa_exception_fp_denorm_src 0
		.amdhsa_exception_fp_ieee_div_zero 0
		.amdhsa_exception_fp_ieee_overflow 0
		.amdhsa_exception_fp_ieee_underflow 0
		.amdhsa_exception_fp_ieee_inexact 0
		.amdhsa_exception_int_div_zero 0
	.end_amdhsa_kernel
	.section	.text._ZN7rocprim17ROCPRIM_400000_NS6detail17trampoline_kernelINS0_13select_configILj256ELj13ELNS0_17block_load_methodE3ELS4_3ELS4_3ELNS0_20block_scan_algorithmE0ELj4294967295EEENS1_25partition_config_selectorILNS1_17partition_subalgoE3EjNS0_10empty_typeEbEEZZNS1_14partition_implILS8_3ELb0ES6_jNS0_17counting_iteratorIjlEEPS9_SE_NS0_5tupleIJPjSE_EEENSF_IJSE_SE_EEES9_SG_JZNS1_25segmented_radix_sort_implINS0_14default_configELb0EPKbPbPKlPlN2at6native12_GLOBAL__N_18offset_tEEE10hipError_tPvRmT1_PNSt15iterator_traitsISY_E10value_typeET2_T3_PNSZ_IS14_E10value_typeET4_jRbjT5_S1A_jjP12ihipStream_tbEUljE_EEESV_SW_SX_S14_S18_S1A_T6_T7_T9_mT8_S1C_bDpT10_ENKUlT_T0_E_clISt17integral_constantIbLb0EES1O_IbLb1EEEEDaS1K_S1L_EUlS1K_E_NS1_11comp_targetILNS1_3genE5ELNS1_11target_archE942ELNS1_3gpuE9ELNS1_3repE0EEENS1_30default_config_static_selectorELNS0_4arch9wavefront6targetE1EEEvSY_,"axG",@progbits,_ZN7rocprim17ROCPRIM_400000_NS6detail17trampoline_kernelINS0_13select_configILj256ELj13ELNS0_17block_load_methodE3ELS4_3ELS4_3ELNS0_20block_scan_algorithmE0ELj4294967295EEENS1_25partition_config_selectorILNS1_17partition_subalgoE3EjNS0_10empty_typeEbEEZZNS1_14partition_implILS8_3ELb0ES6_jNS0_17counting_iteratorIjlEEPS9_SE_NS0_5tupleIJPjSE_EEENSF_IJSE_SE_EEES9_SG_JZNS1_25segmented_radix_sort_implINS0_14default_configELb0EPKbPbPKlPlN2at6native12_GLOBAL__N_18offset_tEEE10hipError_tPvRmT1_PNSt15iterator_traitsISY_E10value_typeET2_T3_PNSZ_IS14_E10value_typeET4_jRbjT5_S1A_jjP12ihipStream_tbEUljE_EEESV_SW_SX_S14_S18_S1A_T6_T7_T9_mT8_S1C_bDpT10_ENKUlT_T0_E_clISt17integral_constantIbLb0EES1O_IbLb1EEEEDaS1K_S1L_EUlS1K_E_NS1_11comp_targetILNS1_3genE5ELNS1_11target_archE942ELNS1_3gpuE9ELNS1_3repE0EEENS1_30default_config_static_selectorELNS0_4arch9wavefront6targetE1EEEvSY_,comdat
.Lfunc_end1628:
	.size	_ZN7rocprim17ROCPRIM_400000_NS6detail17trampoline_kernelINS0_13select_configILj256ELj13ELNS0_17block_load_methodE3ELS4_3ELS4_3ELNS0_20block_scan_algorithmE0ELj4294967295EEENS1_25partition_config_selectorILNS1_17partition_subalgoE3EjNS0_10empty_typeEbEEZZNS1_14partition_implILS8_3ELb0ES6_jNS0_17counting_iteratorIjlEEPS9_SE_NS0_5tupleIJPjSE_EEENSF_IJSE_SE_EEES9_SG_JZNS1_25segmented_radix_sort_implINS0_14default_configELb0EPKbPbPKlPlN2at6native12_GLOBAL__N_18offset_tEEE10hipError_tPvRmT1_PNSt15iterator_traitsISY_E10value_typeET2_T3_PNSZ_IS14_E10value_typeET4_jRbjT5_S1A_jjP12ihipStream_tbEUljE_EEESV_SW_SX_S14_S18_S1A_T6_T7_T9_mT8_S1C_bDpT10_ENKUlT_T0_E_clISt17integral_constantIbLb0EES1O_IbLb1EEEEDaS1K_S1L_EUlS1K_E_NS1_11comp_targetILNS1_3genE5ELNS1_11target_archE942ELNS1_3gpuE9ELNS1_3repE0EEENS1_30default_config_static_selectorELNS0_4arch9wavefront6targetE1EEEvSY_, .Lfunc_end1628-_ZN7rocprim17ROCPRIM_400000_NS6detail17trampoline_kernelINS0_13select_configILj256ELj13ELNS0_17block_load_methodE3ELS4_3ELS4_3ELNS0_20block_scan_algorithmE0ELj4294967295EEENS1_25partition_config_selectorILNS1_17partition_subalgoE3EjNS0_10empty_typeEbEEZZNS1_14partition_implILS8_3ELb0ES6_jNS0_17counting_iteratorIjlEEPS9_SE_NS0_5tupleIJPjSE_EEENSF_IJSE_SE_EEES9_SG_JZNS1_25segmented_radix_sort_implINS0_14default_configELb0EPKbPbPKlPlN2at6native12_GLOBAL__N_18offset_tEEE10hipError_tPvRmT1_PNSt15iterator_traitsISY_E10value_typeET2_T3_PNSZ_IS14_E10value_typeET4_jRbjT5_S1A_jjP12ihipStream_tbEUljE_EEESV_SW_SX_S14_S18_S1A_T6_T7_T9_mT8_S1C_bDpT10_ENKUlT_T0_E_clISt17integral_constantIbLb0EES1O_IbLb1EEEEDaS1K_S1L_EUlS1K_E_NS1_11comp_targetILNS1_3genE5ELNS1_11target_archE942ELNS1_3gpuE9ELNS1_3repE0EEENS1_30default_config_static_selectorELNS0_4arch9wavefront6targetE1EEEvSY_
                                        ; -- End function
	.set _ZN7rocprim17ROCPRIM_400000_NS6detail17trampoline_kernelINS0_13select_configILj256ELj13ELNS0_17block_load_methodE3ELS4_3ELS4_3ELNS0_20block_scan_algorithmE0ELj4294967295EEENS1_25partition_config_selectorILNS1_17partition_subalgoE3EjNS0_10empty_typeEbEEZZNS1_14partition_implILS8_3ELb0ES6_jNS0_17counting_iteratorIjlEEPS9_SE_NS0_5tupleIJPjSE_EEENSF_IJSE_SE_EEES9_SG_JZNS1_25segmented_radix_sort_implINS0_14default_configELb0EPKbPbPKlPlN2at6native12_GLOBAL__N_18offset_tEEE10hipError_tPvRmT1_PNSt15iterator_traitsISY_E10value_typeET2_T3_PNSZ_IS14_E10value_typeET4_jRbjT5_S1A_jjP12ihipStream_tbEUljE_EEESV_SW_SX_S14_S18_S1A_T6_T7_T9_mT8_S1C_bDpT10_ENKUlT_T0_E_clISt17integral_constantIbLb0EES1O_IbLb1EEEEDaS1K_S1L_EUlS1K_E_NS1_11comp_targetILNS1_3genE5ELNS1_11target_archE942ELNS1_3gpuE9ELNS1_3repE0EEENS1_30default_config_static_selectorELNS0_4arch9wavefront6targetE1EEEvSY_.num_vgpr, 0
	.set _ZN7rocprim17ROCPRIM_400000_NS6detail17trampoline_kernelINS0_13select_configILj256ELj13ELNS0_17block_load_methodE3ELS4_3ELS4_3ELNS0_20block_scan_algorithmE0ELj4294967295EEENS1_25partition_config_selectorILNS1_17partition_subalgoE3EjNS0_10empty_typeEbEEZZNS1_14partition_implILS8_3ELb0ES6_jNS0_17counting_iteratorIjlEEPS9_SE_NS0_5tupleIJPjSE_EEENSF_IJSE_SE_EEES9_SG_JZNS1_25segmented_radix_sort_implINS0_14default_configELb0EPKbPbPKlPlN2at6native12_GLOBAL__N_18offset_tEEE10hipError_tPvRmT1_PNSt15iterator_traitsISY_E10value_typeET2_T3_PNSZ_IS14_E10value_typeET4_jRbjT5_S1A_jjP12ihipStream_tbEUljE_EEESV_SW_SX_S14_S18_S1A_T6_T7_T9_mT8_S1C_bDpT10_ENKUlT_T0_E_clISt17integral_constantIbLb0EES1O_IbLb1EEEEDaS1K_S1L_EUlS1K_E_NS1_11comp_targetILNS1_3genE5ELNS1_11target_archE942ELNS1_3gpuE9ELNS1_3repE0EEENS1_30default_config_static_selectorELNS0_4arch9wavefront6targetE1EEEvSY_.num_agpr, 0
	.set _ZN7rocprim17ROCPRIM_400000_NS6detail17trampoline_kernelINS0_13select_configILj256ELj13ELNS0_17block_load_methodE3ELS4_3ELS4_3ELNS0_20block_scan_algorithmE0ELj4294967295EEENS1_25partition_config_selectorILNS1_17partition_subalgoE3EjNS0_10empty_typeEbEEZZNS1_14partition_implILS8_3ELb0ES6_jNS0_17counting_iteratorIjlEEPS9_SE_NS0_5tupleIJPjSE_EEENSF_IJSE_SE_EEES9_SG_JZNS1_25segmented_radix_sort_implINS0_14default_configELb0EPKbPbPKlPlN2at6native12_GLOBAL__N_18offset_tEEE10hipError_tPvRmT1_PNSt15iterator_traitsISY_E10value_typeET2_T3_PNSZ_IS14_E10value_typeET4_jRbjT5_S1A_jjP12ihipStream_tbEUljE_EEESV_SW_SX_S14_S18_S1A_T6_T7_T9_mT8_S1C_bDpT10_ENKUlT_T0_E_clISt17integral_constantIbLb0EES1O_IbLb1EEEEDaS1K_S1L_EUlS1K_E_NS1_11comp_targetILNS1_3genE5ELNS1_11target_archE942ELNS1_3gpuE9ELNS1_3repE0EEENS1_30default_config_static_selectorELNS0_4arch9wavefront6targetE1EEEvSY_.numbered_sgpr, 0
	.set _ZN7rocprim17ROCPRIM_400000_NS6detail17trampoline_kernelINS0_13select_configILj256ELj13ELNS0_17block_load_methodE3ELS4_3ELS4_3ELNS0_20block_scan_algorithmE0ELj4294967295EEENS1_25partition_config_selectorILNS1_17partition_subalgoE3EjNS0_10empty_typeEbEEZZNS1_14partition_implILS8_3ELb0ES6_jNS0_17counting_iteratorIjlEEPS9_SE_NS0_5tupleIJPjSE_EEENSF_IJSE_SE_EEES9_SG_JZNS1_25segmented_radix_sort_implINS0_14default_configELb0EPKbPbPKlPlN2at6native12_GLOBAL__N_18offset_tEEE10hipError_tPvRmT1_PNSt15iterator_traitsISY_E10value_typeET2_T3_PNSZ_IS14_E10value_typeET4_jRbjT5_S1A_jjP12ihipStream_tbEUljE_EEESV_SW_SX_S14_S18_S1A_T6_T7_T9_mT8_S1C_bDpT10_ENKUlT_T0_E_clISt17integral_constantIbLb0EES1O_IbLb1EEEEDaS1K_S1L_EUlS1K_E_NS1_11comp_targetILNS1_3genE5ELNS1_11target_archE942ELNS1_3gpuE9ELNS1_3repE0EEENS1_30default_config_static_selectorELNS0_4arch9wavefront6targetE1EEEvSY_.num_named_barrier, 0
	.set _ZN7rocprim17ROCPRIM_400000_NS6detail17trampoline_kernelINS0_13select_configILj256ELj13ELNS0_17block_load_methodE3ELS4_3ELS4_3ELNS0_20block_scan_algorithmE0ELj4294967295EEENS1_25partition_config_selectorILNS1_17partition_subalgoE3EjNS0_10empty_typeEbEEZZNS1_14partition_implILS8_3ELb0ES6_jNS0_17counting_iteratorIjlEEPS9_SE_NS0_5tupleIJPjSE_EEENSF_IJSE_SE_EEES9_SG_JZNS1_25segmented_radix_sort_implINS0_14default_configELb0EPKbPbPKlPlN2at6native12_GLOBAL__N_18offset_tEEE10hipError_tPvRmT1_PNSt15iterator_traitsISY_E10value_typeET2_T3_PNSZ_IS14_E10value_typeET4_jRbjT5_S1A_jjP12ihipStream_tbEUljE_EEESV_SW_SX_S14_S18_S1A_T6_T7_T9_mT8_S1C_bDpT10_ENKUlT_T0_E_clISt17integral_constantIbLb0EES1O_IbLb1EEEEDaS1K_S1L_EUlS1K_E_NS1_11comp_targetILNS1_3genE5ELNS1_11target_archE942ELNS1_3gpuE9ELNS1_3repE0EEENS1_30default_config_static_selectorELNS0_4arch9wavefront6targetE1EEEvSY_.private_seg_size, 0
	.set _ZN7rocprim17ROCPRIM_400000_NS6detail17trampoline_kernelINS0_13select_configILj256ELj13ELNS0_17block_load_methodE3ELS4_3ELS4_3ELNS0_20block_scan_algorithmE0ELj4294967295EEENS1_25partition_config_selectorILNS1_17partition_subalgoE3EjNS0_10empty_typeEbEEZZNS1_14partition_implILS8_3ELb0ES6_jNS0_17counting_iteratorIjlEEPS9_SE_NS0_5tupleIJPjSE_EEENSF_IJSE_SE_EEES9_SG_JZNS1_25segmented_radix_sort_implINS0_14default_configELb0EPKbPbPKlPlN2at6native12_GLOBAL__N_18offset_tEEE10hipError_tPvRmT1_PNSt15iterator_traitsISY_E10value_typeET2_T3_PNSZ_IS14_E10value_typeET4_jRbjT5_S1A_jjP12ihipStream_tbEUljE_EEESV_SW_SX_S14_S18_S1A_T6_T7_T9_mT8_S1C_bDpT10_ENKUlT_T0_E_clISt17integral_constantIbLb0EES1O_IbLb1EEEEDaS1K_S1L_EUlS1K_E_NS1_11comp_targetILNS1_3genE5ELNS1_11target_archE942ELNS1_3gpuE9ELNS1_3repE0EEENS1_30default_config_static_selectorELNS0_4arch9wavefront6targetE1EEEvSY_.uses_vcc, 0
	.set _ZN7rocprim17ROCPRIM_400000_NS6detail17trampoline_kernelINS0_13select_configILj256ELj13ELNS0_17block_load_methodE3ELS4_3ELS4_3ELNS0_20block_scan_algorithmE0ELj4294967295EEENS1_25partition_config_selectorILNS1_17partition_subalgoE3EjNS0_10empty_typeEbEEZZNS1_14partition_implILS8_3ELb0ES6_jNS0_17counting_iteratorIjlEEPS9_SE_NS0_5tupleIJPjSE_EEENSF_IJSE_SE_EEES9_SG_JZNS1_25segmented_radix_sort_implINS0_14default_configELb0EPKbPbPKlPlN2at6native12_GLOBAL__N_18offset_tEEE10hipError_tPvRmT1_PNSt15iterator_traitsISY_E10value_typeET2_T3_PNSZ_IS14_E10value_typeET4_jRbjT5_S1A_jjP12ihipStream_tbEUljE_EEESV_SW_SX_S14_S18_S1A_T6_T7_T9_mT8_S1C_bDpT10_ENKUlT_T0_E_clISt17integral_constantIbLb0EES1O_IbLb1EEEEDaS1K_S1L_EUlS1K_E_NS1_11comp_targetILNS1_3genE5ELNS1_11target_archE942ELNS1_3gpuE9ELNS1_3repE0EEENS1_30default_config_static_selectorELNS0_4arch9wavefront6targetE1EEEvSY_.uses_flat_scratch, 0
	.set _ZN7rocprim17ROCPRIM_400000_NS6detail17trampoline_kernelINS0_13select_configILj256ELj13ELNS0_17block_load_methodE3ELS4_3ELS4_3ELNS0_20block_scan_algorithmE0ELj4294967295EEENS1_25partition_config_selectorILNS1_17partition_subalgoE3EjNS0_10empty_typeEbEEZZNS1_14partition_implILS8_3ELb0ES6_jNS0_17counting_iteratorIjlEEPS9_SE_NS0_5tupleIJPjSE_EEENSF_IJSE_SE_EEES9_SG_JZNS1_25segmented_radix_sort_implINS0_14default_configELb0EPKbPbPKlPlN2at6native12_GLOBAL__N_18offset_tEEE10hipError_tPvRmT1_PNSt15iterator_traitsISY_E10value_typeET2_T3_PNSZ_IS14_E10value_typeET4_jRbjT5_S1A_jjP12ihipStream_tbEUljE_EEESV_SW_SX_S14_S18_S1A_T6_T7_T9_mT8_S1C_bDpT10_ENKUlT_T0_E_clISt17integral_constantIbLb0EES1O_IbLb1EEEEDaS1K_S1L_EUlS1K_E_NS1_11comp_targetILNS1_3genE5ELNS1_11target_archE942ELNS1_3gpuE9ELNS1_3repE0EEENS1_30default_config_static_selectorELNS0_4arch9wavefront6targetE1EEEvSY_.has_dyn_sized_stack, 0
	.set _ZN7rocprim17ROCPRIM_400000_NS6detail17trampoline_kernelINS0_13select_configILj256ELj13ELNS0_17block_load_methodE3ELS4_3ELS4_3ELNS0_20block_scan_algorithmE0ELj4294967295EEENS1_25partition_config_selectorILNS1_17partition_subalgoE3EjNS0_10empty_typeEbEEZZNS1_14partition_implILS8_3ELb0ES6_jNS0_17counting_iteratorIjlEEPS9_SE_NS0_5tupleIJPjSE_EEENSF_IJSE_SE_EEES9_SG_JZNS1_25segmented_radix_sort_implINS0_14default_configELb0EPKbPbPKlPlN2at6native12_GLOBAL__N_18offset_tEEE10hipError_tPvRmT1_PNSt15iterator_traitsISY_E10value_typeET2_T3_PNSZ_IS14_E10value_typeET4_jRbjT5_S1A_jjP12ihipStream_tbEUljE_EEESV_SW_SX_S14_S18_S1A_T6_T7_T9_mT8_S1C_bDpT10_ENKUlT_T0_E_clISt17integral_constantIbLb0EES1O_IbLb1EEEEDaS1K_S1L_EUlS1K_E_NS1_11comp_targetILNS1_3genE5ELNS1_11target_archE942ELNS1_3gpuE9ELNS1_3repE0EEENS1_30default_config_static_selectorELNS0_4arch9wavefront6targetE1EEEvSY_.has_recursion, 0
	.set _ZN7rocprim17ROCPRIM_400000_NS6detail17trampoline_kernelINS0_13select_configILj256ELj13ELNS0_17block_load_methodE3ELS4_3ELS4_3ELNS0_20block_scan_algorithmE0ELj4294967295EEENS1_25partition_config_selectorILNS1_17partition_subalgoE3EjNS0_10empty_typeEbEEZZNS1_14partition_implILS8_3ELb0ES6_jNS0_17counting_iteratorIjlEEPS9_SE_NS0_5tupleIJPjSE_EEENSF_IJSE_SE_EEES9_SG_JZNS1_25segmented_radix_sort_implINS0_14default_configELb0EPKbPbPKlPlN2at6native12_GLOBAL__N_18offset_tEEE10hipError_tPvRmT1_PNSt15iterator_traitsISY_E10value_typeET2_T3_PNSZ_IS14_E10value_typeET4_jRbjT5_S1A_jjP12ihipStream_tbEUljE_EEESV_SW_SX_S14_S18_S1A_T6_T7_T9_mT8_S1C_bDpT10_ENKUlT_T0_E_clISt17integral_constantIbLb0EES1O_IbLb1EEEEDaS1K_S1L_EUlS1K_E_NS1_11comp_targetILNS1_3genE5ELNS1_11target_archE942ELNS1_3gpuE9ELNS1_3repE0EEENS1_30default_config_static_selectorELNS0_4arch9wavefront6targetE1EEEvSY_.has_indirect_call, 0
	.section	.AMDGPU.csdata,"",@progbits
; Kernel info:
; codeLenInByte = 0
; TotalNumSgprs: 4
; NumVgprs: 0
; ScratchSize: 0
; MemoryBound: 0
; FloatMode: 240
; IeeeMode: 1
; LDSByteSize: 0 bytes/workgroup (compile time only)
; SGPRBlocks: 0
; VGPRBlocks: 0
; NumSGPRsForWavesPerEU: 4
; NumVGPRsForWavesPerEU: 1
; Occupancy: 10
; WaveLimiterHint : 0
; COMPUTE_PGM_RSRC2:SCRATCH_EN: 0
; COMPUTE_PGM_RSRC2:USER_SGPR: 6
; COMPUTE_PGM_RSRC2:TRAP_HANDLER: 0
; COMPUTE_PGM_RSRC2:TGID_X_EN: 1
; COMPUTE_PGM_RSRC2:TGID_Y_EN: 0
; COMPUTE_PGM_RSRC2:TGID_Z_EN: 0
; COMPUTE_PGM_RSRC2:TIDIG_COMP_CNT: 0
	.section	.text._ZN7rocprim17ROCPRIM_400000_NS6detail17trampoline_kernelINS0_13select_configILj256ELj13ELNS0_17block_load_methodE3ELS4_3ELS4_3ELNS0_20block_scan_algorithmE0ELj4294967295EEENS1_25partition_config_selectorILNS1_17partition_subalgoE3EjNS0_10empty_typeEbEEZZNS1_14partition_implILS8_3ELb0ES6_jNS0_17counting_iteratorIjlEEPS9_SE_NS0_5tupleIJPjSE_EEENSF_IJSE_SE_EEES9_SG_JZNS1_25segmented_radix_sort_implINS0_14default_configELb0EPKbPbPKlPlN2at6native12_GLOBAL__N_18offset_tEEE10hipError_tPvRmT1_PNSt15iterator_traitsISY_E10value_typeET2_T3_PNSZ_IS14_E10value_typeET4_jRbjT5_S1A_jjP12ihipStream_tbEUljE_EEESV_SW_SX_S14_S18_S1A_T6_T7_T9_mT8_S1C_bDpT10_ENKUlT_T0_E_clISt17integral_constantIbLb0EES1O_IbLb1EEEEDaS1K_S1L_EUlS1K_E_NS1_11comp_targetILNS1_3genE4ELNS1_11target_archE910ELNS1_3gpuE8ELNS1_3repE0EEENS1_30default_config_static_selectorELNS0_4arch9wavefront6targetE1EEEvSY_,"axG",@progbits,_ZN7rocprim17ROCPRIM_400000_NS6detail17trampoline_kernelINS0_13select_configILj256ELj13ELNS0_17block_load_methodE3ELS4_3ELS4_3ELNS0_20block_scan_algorithmE0ELj4294967295EEENS1_25partition_config_selectorILNS1_17partition_subalgoE3EjNS0_10empty_typeEbEEZZNS1_14partition_implILS8_3ELb0ES6_jNS0_17counting_iteratorIjlEEPS9_SE_NS0_5tupleIJPjSE_EEENSF_IJSE_SE_EEES9_SG_JZNS1_25segmented_radix_sort_implINS0_14default_configELb0EPKbPbPKlPlN2at6native12_GLOBAL__N_18offset_tEEE10hipError_tPvRmT1_PNSt15iterator_traitsISY_E10value_typeET2_T3_PNSZ_IS14_E10value_typeET4_jRbjT5_S1A_jjP12ihipStream_tbEUljE_EEESV_SW_SX_S14_S18_S1A_T6_T7_T9_mT8_S1C_bDpT10_ENKUlT_T0_E_clISt17integral_constantIbLb0EES1O_IbLb1EEEEDaS1K_S1L_EUlS1K_E_NS1_11comp_targetILNS1_3genE4ELNS1_11target_archE910ELNS1_3gpuE8ELNS1_3repE0EEENS1_30default_config_static_selectorELNS0_4arch9wavefront6targetE1EEEvSY_,comdat
	.globl	_ZN7rocprim17ROCPRIM_400000_NS6detail17trampoline_kernelINS0_13select_configILj256ELj13ELNS0_17block_load_methodE3ELS4_3ELS4_3ELNS0_20block_scan_algorithmE0ELj4294967295EEENS1_25partition_config_selectorILNS1_17partition_subalgoE3EjNS0_10empty_typeEbEEZZNS1_14partition_implILS8_3ELb0ES6_jNS0_17counting_iteratorIjlEEPS9_SE_NS0_5tupleIJPjSE_EEENSF_IJSE_SE_EEES9_SG_JZNS1_25segmented_radix_sort_implINS0_14default_configELb0EPKbPbPKlPlN2at6native12_GLOBAL__N_18offset_tEEE10hipError_tPvRmT1_PNSt15iterator_traitsISY_E10value_typeET2_T3_PNSZ_IS14_E10value_typeET4_jRbjT5_S1A_jjP12ihipStream_tbEUljE_EEESV_SW_SX_S14_S18_S1A_T6_T7_T9_mT8_S1C_bDpT10_ENKUlT_T0_E_clISt17integral_constantIbLb0EES1O_IbLb1EEEEDaS1K_S1L_EUlS1K_E_NS1_11comp_targetILNS1_3genE4ELNS1_11target_archE910ELNS1_3gpuE8ELNS1_3repE0EEENS1_30default_config_static_selectorELNS0_4arch9wavefront6targetE1EEEvSY_ ; -- Begin function _ZN7rocprim17ROCPRIM_400000_NS6detail17trampoline_kernelINS0_13select_configILj256ELj13ELNS0_17block_load_methodE3ELS4_3ELS4_3ELNS0_20block_scan_algorithmE0ELj4294967295EEENS1_25partition_config_selectorILNS1_17partition_subalgoE3EjNS0_10empty_typeEbEEZZNS1_14partition_implILS8_3ELb0ES6_jNS0_17counting_iteratorIjlEEPS9_SE_NS0_5tupleIJPjSE_EEENSF_IJSE_SE_EEES9_SG_JZNS1_25segmented_radix_sort_implINS0_14default_configELb0EPKbPbPKlPlN2at6native12_GLOBAL__N_18offset_tEEE10hipError_tPvRmT1_PNSt15iterator_traitsISY_E10value_typeET2_T3_PNSZ_IS14_E10value_typeET4_jRbjT5_S1A_jjP12ihipStream_tbEUljE_EEESV_SW_SX_S14_S18_S1A_T6_T7_T9_mT8_S1C_bDpT10_ENKUlT_T0_E_clISt17integral_constantIbLb0EES1O_IbLb1EEEEDaS1K_S1L_EUlS1K_E_NS1_11comp_targetILNS1_3genE4ELNS1_11target_archE910ELNS1_3gpuE8ELNS1_3repE0EEENS1_30default_config_static_selectorELNS0_4arch9wavefront6targetE1EEEvSY_
	.p2align	8
	.type	_ZN7rocprim17ROCPRIM_400000_NS6detail17trampoline_kernelINS0_13select_configILj256ELj13ELNS0_17block_load_methodE3ELS4_3ELS4_3ELNS0_20block_scan_algorithmE0ELj4294967295EEENS1_25partition_config_selectorILNS1_17partition_subalgoE3EjNS0_10empty_typeEbEEZZNS1_14partition_implILS8_3ELb0ES6_jNS0_17counting_iteratorIjlEEPS9_SE_NS0_5tupleIJPjSE_EEENSF_IJSE_SE_EEES9_SG_JZNS1_25segmented_radix_sort_implINS0_14default_configELb0EPKbPbPKlPlN2at6native12_GLOBAL__N_18offset_tEEE10hipError_tPvRmT1_PNSt15iterator_traitsISY_E10value_typeET2_T3_PNSZ_IS14_E10value_typeET4_jRbjT5_S1A_jjP12ihipStream_tbEUljE_EEESV_SW_SX_S14_S18_S1A_T6_T7_T9_mT8_S1C_bDpT10_ENKUlT_T0_E_clISt17integral_constantIbLb0EES1O_IbLb1EEEEDaS1K_S1L_EUlS1K_E_NS1_11comp_targetILNS1_3genE4ELNS1_11target_archE910ELNS1_3gpuE8ELNS1_3repE0EEENS1_30default_config_static_selectorELNS0_4arch9wavefront6targetE1EEEvSY_,@function
_ZN7rocprim17ROCPRIM_400000_NS6detail17trampoline_kernelINS0_13select_configILj256ELj13ELNS0_17block_load_methodE3ELS4_3ELS4_3ELNS0_20block_scan_algorithmE0ELj4294967295EEENS1_25partition_config_selectorILNS1_17partition_subalgoE3EjNS0_10empty_typeEbEEZZNS1_14partition_implILS8_3ELb0ES6_jNS0_17counting_iteratorIjlEEPS9_SE_NS0_5tupleIJPjSE_EEENSF_IJSE_SE_EEES9_SG_JZNS1_25segmented_radix_sort_implINS0_14default_configELb0EPKbPbPKlPlN2at6native12_GLOBAL__N_18offset_tEEE10hipError_tPvRmT1_PNSt15iterator_traitsISY_E10value_typeET2_T3_PNSZ_IS14_E10value_typeET4_jRbjT5_S1A_jjP12ihipStream_tbEUljE_EEESV_SW_SX_S14_S18_S1A_T6_T7_T9_mT8_S1C_bDpT10_ENKUlT_T0_E_clISt17integral_constantIbLb0EES1O_IbLb1EEEEDaS1K_S1L_EUlS1K_E_NS1_11comp_targetILNS1_3genE4ELNS1_11target_archE910ELNS1_3gpuE8ELNS1_3repE0EEENS1_30default_config_static_selectorELNS0_4arch9wavefront6targetE1EEEvSY_: ; @_ZN7rocprim17ROCPRIM_400000_NS6detail17trampoline_kernelINS0_13select_configILj256ELj13ELNS0_17block_load_methodE3ELS4_3ELS4_3ELNS0_20block_scan_algorithmE0ELj4294967295EEENS1_25partition_config_selectorILNS1_17partition_subalgoE3EjNS0_10empty_typeEbEEZZNS1_14partition_implILS8_3ELb0ES6_jNS0_17counting_iteratorIjlEEPS9_SE_NS0_5tupleIJPjSE_EEENSF_IJSE_SE_EEES9_SG_JZNS1_25segmented_radix_sort_implINS0_14default_configELb0EPKbPbPKlPlN2at6native12_GLOBAL__N_18offset_tEEE10hipError_tPvRmT1_PNSt15iterator_traitsISY_E10value_typeET2_T3_PNSZ_IS14_E10value_typeET4_jRbjT5_S1A_jjP12ihipStream_tbEUljE_EEESV_SW_SX_S14_S18_S1A_T6_T7_T9_mT8_S1C_bDpT10_ENKUlT_T0_E_clISt17integral_constantIbLb0EES1O_IbLb1EEEEDaS1K_S1L_EUlS1K_E_NS1_11comp_targetILNS1_3genE4ELNS1_11target_archE910ELNS1_3gpuE8ELNS1_3repE0EEENS1_30default_config_static_selectorELNS0_4arch9wavefront6targetE1EEEvSY_
; %bb.0:
	.section	.rodata,"a",@progbits
	.p2align	6, 0x0
	.amdhsa_kernel _ZN7rocprim17ROCPRIM_400000_NS6detail17trampoline_kernelINS0_13select_configILj256ELj13ELNS0_17block_load_methodE3ELS4_3ELS4_3ELNS0_20block_scan_algorithmE0ELj4294967295EEENS1_25partition_config_selectorILNS1_17partition_subalgoE3EjNS0_10empty_typeEbEEZZNS1_14partition_implILS8_3ELb0ES6_jNS0_17counting_iteratorIjlEEPS9_SE_NS0_5tupleIJPjSE_EEENSF_IJSE_SE_EEES9_SG_JZNS1_25segmented_radix_sort_implINS0_14default_configELb0EPKbPbPKlPlN2at6native12_GLOBAL__N_18offset_tEEE10hipError_tPvRmT1_PNSt15iterator_traitsISY_E10value_typeET2_T3_PNSZ_IS14_E10value_typeET4_jRbjT5_S1A_jjP12ihipStream_tbEUljE_EEESV_SW_SX_S14_S18_S1A_T6_T7_T9_mT8_S1C_bDpT10_ENKUlT_T0_E_clISt17integral_constantIbLb0EES1O_IbLb1EEEEDaS1K_S1L_EUlS1K_E_NS1_11comp_targetILNS1_3genE4ELNS1_11target_archE910ELNS1_3gpuE8ELNS1_3repE0EEENS1_30default_config_static_selectorELNS0_4arch9wavefront6targetE1EEEvSY_
		.amdhsa_group_segment_fixed_size 0
		.amdhsa_private_segment_fixed_size 0
		.amdhsa_kernarg_size 152
		.amdhsa_user_sgpr_count 6
		.amdhsa_user_sgpr_private_segment_buffer 1
		.amdhsa_user_sgpr_dispatch_ptr 0
		.amdhsa_user_sgpr_queue_ptr 0
		.amdhsa_user_sgpr_kernarg_segment_ptr 1
		.amdhsa_user_sgpr_dispatch_id 0
		.amdhsa_user_sgpr_flat_scratch_init 0
		.amdhsa_user_sgpr_private_segment_size 0
		.amdhsa_uses_dynamic_stack 0
		.amdhsa_system_sgpr_private_segment_wavefront_offset 0
		.amdhsa_system_sgpr_workgroup_id_x 1
		.amdhsa_system_sgpr_workgroup_id_y 0
		.amdhsa_system_sgpr_workgroup_id_z 0
		.amdhsa_system_sgpr_workgroup_info 0
		.amdhsa_system_vgpr_workitem_id 0
		.amdhsa_next_free_vgpr 1
		.amdhsa_next_free_sgpr 0
		.amdhsa_reserve_vcc 0
		.amdhsa_reserve_flat_scratch 0
		.amdhsa_float_round_mode_32 0
		.amdhsa_float_round_mode_16_64 0
		.amdhsa_float_denorm_mode_32 3
		.amdhsa_float_denorm_mode_16_64 3
		.amdhsa_dx10_clamp 1
		.amdhsa_ieee_mode 1
		.amdhsa_fp16_overflow 0
		.amdhsa_exception_fp_ieee_invalid_op 0
		.amdhsa_exception_fp_denorm_src 0
		.amdhsa_exception_fp_ieee_div_zero 0
		.amdhsa_exception_fp_ieee_overflow 0
		.amdhsa_exception_fp_ieee_underflow 0
		.amdhsa_exception_fp_ieee_inexact 0
		.amdhsa_exception_int_div_zero 0
	.end_amdhsa_kernel
	.section	.text._ZN7rocprim17ROCPRIM_400000_NS6detail17trampoline_kernelINS0_13select_configILj256ELj13ELNS0_17block_load_methodE3ELS4_3ELS4_3ELNS0_20block_scan_algorithmE0ELj4294967295EEENS1_25partition_config_selectorILNS1_17partition_subalgoE3EjNS0_10empty_typeEbEEZZNS1_14partition_implILS8_3ELb0ES6_jNS0_17counting_iteratorIjlEEPS9_SE_NS0_5tupleIJPjSE_EEENSF_IJSE_SE_EEES9_SG_JZNS1_25segmented_radix_sort_implINS0_14default_configELb0EPKbPbPKlPlN2at6native12_GLOBAL__N_18offset_tEEE10hipError_tPvRmT1_PNSt15iterator_traitsISY_E10value_typeET2_T3_PNSZ_IS14_E10value_typeET4_jRbjT5_S1A_jjP12ihipStream_tbEUljE_EEESV_SW_SX_S14_S18_S1A_T6_T7_T9_mT8_S1C_bDpT10_ENKUlT_T0_E_clISt17integral_constantIbLb0EES1O_IbLb1EEEEDaS1K_S1L_EUlS1K_E_NS1_11comp_targetILNS1_3genE4ELNS1_11target_archE910ELNS1_3gpuE8ELNS1_3repE0EEENS1_30default_config_static_selectorELNS0_4arch9wavefront6targetE1EEEvSY_,"axG",@progbits,_ZN7rocprim17ROCPRIM_400000_NS6detail17trampoline_kernelINS0_13select_configILj256ELj13ELNS0_17block_load_methodE3ELS4_3ELS4_3ELNS0_20block_scan_algorithmE0ELj4294967295EEENS1_25partition_config_selectorILNS1_17partition_subalgoE3EjNS0_10empty_typeEbEEZZNS1_14partition_implILS8_3ELb0ES6_jNS0_17counting_iteratorIjlEEPS9_SE_NS0_5tupleIJPjSE_EEENSF_IJSE_SE_EEES9_SG_JZNS1_25segmented_radix_sort_implINS0_14default_configELb0EPKbPbPKlPlN2at6native12_GLOBAL__N_18offset_tEEE10hipError_tPvRmT1_PNSt15iterator_traitsISY_E10value_typeET2_T3_PNSZ_IS14_E10value_typeET4_jRbjT5_S1A_jjP12ihipStream_tbEUljE_EEESV_SW_SX_S14_S18_S1A_T6_T7_T9_mT8_S1C_bDpT10_ENKUlT_T0_E_clISt17integral_constantIbLb0EES1O_IbLb1EEEEDaS1K_S1L_EUlS1K_E_NS1_11comp_targetILNS1_3genE4ELNS1_11target_archE910ELNS1_3gpuE8ELNS1_3repE0EEENS1_30default_config_static_selectorELNS0_4arch9wavefront6targetE1EEEvSY_,comdat
.Lfunc_end1629:
	.size	_ZN7rocprim17ROCPRIM_400000_NS6detail17trampoline_kernelINS0_13select_configILj256ELj13ELNS0_17block_load_methodE3ELS4_3ELS4_3ELNS0_20block_scan_algorithmE0ELj4294967295EEENS1_25partition_config_selectorILNS1_17partition_subalgoE3EjNS0_10empty_typeEbEEZZNS1_14partition_implILS8_3ELb0ES6_jNS0_17counting_iteratorIjlEEPS9_SE_NS0_5tupleIJPjSE_EEENSF_IJSE_SE_EEES9_SG_JZNS1_25segmented_radix_sort_implINS0_14default_configELb0EPKbPbPKlPlN2at6native12_GLOBAL__N_18offset_tEEE10hipError_tPvRmT1_PNSt15iterator_traitsISY_E10value_typeET2_T3_PNSZ_IS14_E10value_typeET4_jRbjT5_S1A_jjP12ihipStream_tbEUljE_EEESV_SW_SX_S14_S18_S1A_T6_T7_T9_mT8_S1C_bDpT10_ENKUlT_T0_E_clISt17integral_constantIbLb0EES1O_IbLb1EEEEDaS1K_S1L_EUlS1K_E_NS1_11comp_targetILNS1_3genE4ELNS1_11target_archE910ELNS1_3gpuE8ELNS1_3repE0EEENS1_30default_config_static_selectorELNS0_4arch9wavefront6targetE1EEEvSY_, .Lfunc_end1629-_ZN7rocprim17ROCPRIM_400000_NS6detail17trampoline_kernelINS0_13select_configILj256ELj13ELNS0_17block_load_methodE3ELS4_3ELS4_3ELNS0_20block_scan_algorithmE0ELj4294967295EEENS1_25partition_config_selectorILNS1_17partition_subalgoE3EjNS0_10empty_typeEbEEZZNS1_14partition_implILS8_3ELb0ES6_jNS0_17counting_iteratorIjlEEPS9_SE_NS0_5tupleIJPjSE_EEENSF_IJSE_SE_EEES9_SG_JZNS1_25segmented_radix_sort_implINS0_14default_configELb0EPKbPbPKlPlN2at6native12_GLOBAL__N_18offset_tEEE10hipError_tPvRmT1_PNSt15iterator_traitsISY_E10value_typeET2_T3_PNSZ_IS14_E10value_typeET4_jRbjT5_S1A_jjP12ihipStream_tbEUljE_EEESV_SW_SX_S14_S18_S1A_T6_T7_T9_mT8_S1C_bDpT10_ENKUlT_T0_E_clISt17integral_constantIbLb0EES1O_IbLb1EEEEDaS1K_S1L_EUlS1K_E_NS1_11comp_targetILNS1_3genE4ELNS1_11target_archE910ELNS1_3gpuE8ELNS1_3repE0EEENS1_30default_config_static_selectorELNS0_4arch9wavefront6targetE1EEEvSY_
                                        ; -- End function
	.set _ZN7rocprim17ROCPRIM_400000_NS6detail17trampoline_kernelINS0_13select_configILj256ELj13ELNS0_17block_load_methodE3ELS4_3ELS4_3ELNS0_20block_scan_algorithmE0ELj4294967295EEENS1_25partition_config_selectorILNS1_17partition_subalgoE3EjNS0_10empty_typeEbEEZZNS1_14partition_implILS8_3ELb0ES6_jNS0_17counting_iteratorIjlEEPS9_SE_NS0_5tupleIJPjSE_EEENSF_IJSE_SE_EEES9_SG_JZNS1_25segmented_radix_sort_implINS0_14default_configELb0EPKbPbPKlPlN2at6native12_GLOBAL__N_18offset_tEEE10hipError_tPvRmT1_PNSt15iterator_traitsISY_E10value_typeET2_T3_PNSZ_IS14_E10value_typeET4_jRbjT5_S1A_jjP12ihipStream_tbEUljE_EEESV_SW_SX_S14_S18_S1A_T6_T7_T9_mT8_S1C_bDpT10_ENKUlT_T0_E_clISt17integral_constantIbLb0EES1O_IbLb1EEEEDaS1K_S1L_EUlS1K_E_NS1_11comp_targetILNS1_3genE4ELNS1_11target_archE910ELNS1_3gpuE8ELNS1_3repE0EEENS1_30default_config_static_selectorELNS0_4arch9wavefront6targetE1EEEvSY_.num_vgpr, 0
	.set _ZN7rocprim17ROCPRIM_400000_NS6detail17trampoline_kernelINS0_13select_configILj256ELj13ELNS0_17block_load_methodE3ELS4_3ELS4_3ELNS0_20block_scan_algorithmE0ELj4294967295EEENS1_25partition_config_selectorILNS1_17partition_subalgoE3EjNS0_10empty_typeEbEEZZNS1_14partition_implILS8_3ELb0ES6_jNS0_17counting_iteratorIjlEEPS9_SE_NS0_5tupleIJPjSE_EEENSF_IJSE_SE_EEES9_SG_JZNS1_25segmented_radix_sort_implINS0_14default_configELb0EPKbPbPKlPlN2at6native12_GLOBAL__N_18offset_tEEE10hipError_tPvRmT1_PNSt15iterator_traitsISY_E10value_typeET2_T3_PNSZ_IS14_E10value_typeET4_jRbjT5_S1A_jjP12ihipStream_tbEUljE_EEESV_SW_SX_S14_S18_S1A_T6_T7_T9_mT8_S1C_bDpT10_ENKUlT_T0_E_clISt17integral_constantIbLb0EES1O_IbLb1EEEEDaS1K_S1L_EUlS1K_E_NS1_11comp_targetILNS1_3genE4ELNS1_11target_archE910ELNS1_3gpuE8ELNS1_3repE0EEENS1_30default_config_static_selectorELNS0_4arch9wavefront6targetE1EEEvSY_.num_agpr, 0
	.set _ZN7rocprim17ROCPRIM_400000_NS6detail17trampoline_kernelINS0_13select_configILj256ELj13ELNS0_17block_load_methodE3ELS4_3ELS4_3ELNS0_20block_scan_algorithmE0ELj4294967295EEENS1_25partition_config_selectorILNS1_17partition_subalgoE3EjNS0_10empty_typeEbEEZZNS1_14partition_implILS8_3ELb0ES6_jNS0_17counting_iteratorIjlEEPS9_SE_NS0_5tupleIJPjSE_EEENSF_IJSE_SE_EEES9_SG_JZNS1_25segmented_radix_sort_implINS0_14default_configELb0EPKbPbPKlPlN2at6native12_GLOBAL__N_18offset_tEEE10hipError_tPvRmT1_PNSt15iterator_traitsISY_E10value_typeET2_T3_PNSZ_IS14_E10value_typeET4_jRbjT5_S1A_jjP12ihipStream_tbEUljE_EEESV_SW_SX_S14_S18_S1A_T6_T7_T9_mT8_S1C_bDpT10_ENKUlT_T0_E_clISt17integral_constantIbLb0EES1O_IbLb1EEEEDaS1K_S1L_EUlS1K_E_NS1_11comp_targetILNS1_3genE4ELNS1_11target_archE910ELNS1_3gpuE8ELNS1_3repE0EEENS1_30default_config_static_selectorELNS0_4arch9wavefront6targetE1EEEvSY_.numbered_sgpr, 0
	.set _ZN7rocprim17ROCPRIM_400000_NS6detail17trampoline_kernelINS0_13select_configILj256ELj13ELNS0_17block_load_methodE3ELS4_3ELS4_3ELNS0_20block_scan_algorithmE0ELj4294967295EEENS1_25partition_config_selectorILNS1_17partition_subalgoE3EjNS0_10empty_typeEbEEZZNS1_14partition_implILS8_3ELb0ES6_jNS0_17counting_iteratorIjlEEPS9_SE_NS0_5tupleIJPjSE_EEENSF_IJSE_SE_EEES9_SG_JZNS1_25segmented_radix_sort_implINS0_14default_configELb0EPKbPbPKlPlN2at6native12_GLOBAL__N_18offset_tEEE10hipError_tPvRmT1_PNSt15iterator_traitsISY_E10value_typeET2_T3_PNSZ_IS14_E10value_typeET4_jRbjT5_S1A_jjP12ihipStream_tbEUljE_EEESV_SW_SX_S14_S18_S1A_T6_T7_T9_mT8_S1C_bDpT10_ENKUlT_T0_E_clISt17integral_constantIbLb0EES1O_IbLb1EEEEDaS1K_S1L_EUlS1K_E_NS1_11comp_targetILNS1_3genE4ELNS1_11target_archE910ELNS1_3gpuE8ELNS1_3repE0EEENS1_30default_config_static_selectorELNS0_4arch9wavefront6targetE1EEEvSY_.num_named_barrier, 0
	.set _ZN7rocprim17ROCPRIM_400000_NS6detail17trampoline_kernelINS0_13select_configILj256ELj13ELNS0_17block_load_methodE3ELS4_3ELS4_3ELNS0_20block_scan_algorithmE0ELj4294967295EEENS1_25partition_config_selectorILNS1_17partition_subalgoE3EjNS0_10empty_typeEbEEZZNS1_14partition_implILS8_3ELb0ES6_jNS0_17counting_iteratorIjlEEPS9_SE_NS0_5tupleIJPjSE_EEENSF_IJSE_SE_EEES9_SG_JZNS1_25segmented_radix_sort_implINS0_14default_configELb0EPKbPbPKlPlN2at6native12_GLOBAL__N_18offset_tEEE10hipError_tPvRmT1_PNSt15iterator_traitsISY_E10value_typeET2_T3_PNSZ_IS14_E10value_typeET4_jRbjT5_S1A_jjP12ihipStream_tbEUljE_EEESV_SW_SX_S14_S18_S1A_T6_T7_T9_mT8_S1C_bDpT10_ENKUlT_T0_E_clISt17integral_constantIbLb0EES1O_IbLb1EEEEDaS1K_S1L_EUlS1K_E_NS1_11comp_targetILNS1_3genE4ELNS1_11target_archE910ELNS1_3gpuE8ELNS1_3repE0EEENS1_30default_config_static_selectorELNS0_4arch9wavefront6targetE1EEEvSY_.private_seg_size, 0
	.set _ZN7rocprim17ROCPRIM_400000_NS6detail17trampoline_kernelINS0_13select_configILj256ELj13ELNS0_17block_load_methodE3ELS4_3ELS4_3ELNS0_20block_scan_algorithmE0ELj4294967295EEENS1_25partition_config_selectorILNS1_17partition_subalgoE3EjNS0_10empty_typeEbEEZZNS1_14partition_implILS8_3ELb0ES6_jNS0_17counting_iteratorIjlEEPS9_SE_NS0_5tupleIJPjSE_EEENSF_IJSE_SE_EEES9_SG_JZNS1_25segmented_radix_sort_implINS0_14default_configELb0EPKbPbPKlPlN2at6native12_GLOBAL__N_18offset_tEEE10hipError_tPvRmT1_PNSt15iterator_traitsISY_E10value_typeET2_T3_PNSZ_IS14_E10value_typeET4_jRbjT5_S1A_jjP12ihipStream_tbEUljE_EEESV_SW_SX_S14_S18_S1A_T6_T7_T9_mT8_S1C_bDpT10_ENKUlT_T0_E_clISt17integral_constantIbLb0EES1O_IbLb1EEEEDaS1K_S1L_EUlS1K_E_NS1_11comp_targetILNS1_3genE4ELNS1_11target_archE910ELNS1_3gpuE8ELNS1_3repE0EEENS1_30default_config_static_selectorELNS0_4arch9wavefront6targetE1EEEvSY_.uses_vcc, 0
	.set _ZN7rocprim17ROCPRIM_400000_NS6detail17trampoline_kernelINS0_13select_configILj256ELj13ELNS0_17block_load_methodE3ELS4_3ELS4_3ELNS0_20block_scan_algorithmE0ELj4294967295EEENS1_25partition_config_selectorILNS1_17partition_subalgoE3EjNS0_10empty_typeEbEEZZNS1_14partition_implILS8_3ELb0ES6_jNS0_17counting_iteratorIjlEEPS9_SE_NS0_5tupleIJPjSE_EEENSF_IJSE_SE_EEES9_SG_JZNS1_25segmented_radix_sort_implINS0_14default_configELb0EPKbPbPKlPlN2at6native12_GLOBAL__N_18offset_tEEE10hipError_tPvRmT1_PNSt15iterator_traitsISY_E10value_typeET2_T3_PNSZ_IS14_E10value_typeET4_jRbjT5_S1A_jjP12ihipStream_tbEUljE_EEESV_SW_SX_S14_S18_S1A_T6_T7_T9_mT8_S1C_bDpT10_ENKUlT_T0_E_clISt17integral_constantIbLb0EES1O_IbLb1EEEEDaS1K_S1L_EUlS1K_E_NS1_11comp_targetILNS1_3genE4ELNS1_11target_archE910ELNS1_3gpuE8ELNS1_3repE0EEENS1_30default_config_static_selectorELNS0_4arch9wavefront6targetE1EEEvSY_.uses_flat_scratch, 0
	.set _ZN7rocprim17ROCPRIM_400000_NS6detail17trampoline_kernelINS0_13select_configILj256ELj13ELNS0_17block_load_methodE3ELS4_3ELS4_3ELNS0_20block_scan_algorithmE0ELj4294967295EEENS1_25partition_config_selectorILNS1_17partition_subalgoE3EjNS0_10empty_typeEbEEZZNS1_14partition_implILS8_3ELb0ES6_jNS0_17counting_iteratorIjlEEPS9_SE_NS0_5tupleIJPjSE_EEENSF_IJSE_SE_EEES9_SG_JZNS1_25segmented_radix_sort_implINS0_14default_configELb0EPKbPbPKlPlN2at6native12_GLOBAL__N_18offset_tEEE10hipError_tPvRmT1_PNSt15iterator_traitsISY_E10value_typeET2_T3_PNSZ_IS14_E10value_typeET4_jRbjT5_S1A_jjP12ihipStream_tbEUljE_EEESV_SW_SX_S14_S18_S1A_T6_T7_T9_mT8_S1C_bDpT10_ENKUlT_T0_E_clISt17integral_constantIbLb0EES1O_IbLb1EEEEDaS1K_S1L_EUlS1K_E_NS1_11comp_targetILNS1_3genE4ELNS1_11target_archE910ELNS1_3gpuE8ELNS1_3repE0EEENS1_30default_config_static_selectorELNS0_4arch9wavefront6targetE1EEEvSY_.has_dyn_sized_stack, 0
	.set _ZN7rocprim17ROCPRIM_400000_NS6detail17trampoline_kernelINS0_13select_configILj256ELj13ELNS0_17block_load_methodE3ELS4_3ELS4_3ELNS0_20block_scan_algorithmE0ELj4294967295EEENS1_25partition_config_selectorILNS1_17partition_subalgoE3EjNS0_10empty_typeEbEEZZNS1_14partition_implILS8_3ELb0ES6_jNS0_17counting_iteratorIjlEEPS9_SE_NS0_5tupleIJPjSE_EEENSF_IJSE_SE_EEES9_SG_JZNS1_25segmented_radix_sort_implINS0_14default_configELb0EPKbPbPKlPlN2at6native12_GLOBAL__N_18offset_tEEE10hipError_tPvRmT1_PNSt15iterator_traitsISY_E10value_typeET2_T3_PNSZ_IS14_E10value_typeET4_jRbjT5_S1A_jjP12ihipStream_tbEUljE_EEESV_SW_SX_S14_S18_S1A_T6_T7_T9_mT8_S1C_bDpT10_ENKUlT_T0_E_clISt17integral_constantIbLb0EES1O_IbLb1EEEEDaS1K_S1L_EUlS1K_E_NS1_11comp_targetILNS1_3genE4ELNS1_11target_archE910ELNS1_3gpuE8ELNS1_3repE0EEENS1_30default_config_static_selectorELNS0_4arch9wavefront6targetE1EEEvSY_.has_recursion, 0
	.set _ZN7rocprim17ROCPRIM_400000_NS6detail17trampoline_kernelINS0_13select_configILj256ELj13ELNS0_17block_load_methodE3ELS4_3ELS4_3ELNS0_20block_scan_algorithmE0ELj4294967295EEENS1_25partition_config_selectorILNS1_17partition_subalgoE3EjNS0_10empty_typeEbEEZZNS1_14partition_implILS8_3ELb0ES6_jNS0_17counting_iteratorIjlEEPS9_SE_NS0_5tupleIJPjSE_EEENSF_IJSE_SE_EEES9_SG_JZNS1_25segmented_radix_sort_implINS0_14default_configELb0EPKbPbPKlPlN2at6native12_GLOBAL__N_18offset_tEEE10hipError_tPvRmT1_PNSt15iterator_traitsISY_E10value_typeET2_T3_PNSZ_IS14_E10value_typeET4_jRbjT5_S1A_jjP12ihipStream_tbEUljE_EEESV_SW_SX_S14_S18_S1A_T6_T7_T9_mT8_S1C_bDpT10_ENKUlT_T0_E_clISt17integral_constantIbLb0EES1O_IbLb1EEEEDaS1K_S1L_EUlS1K_E_NS1_11comp_targetILNS1_3genE4ELNS1_11target_archE910ELNS1_3gpuE8ELNS1_3repE0EEENS1_30default_config_static_selectorELNS0_4arch9wavefront6targetE1EEEvSY_.has_indirect_call, 0
	.section	.AMDGPU.csdata,"",@progbits
; Kernel info:
; codeLenInByte = 0
; TotalNumSgprs: 4
; NumVgprs: 0
; ScratchSize: 0
; MemoryBound: 0
; FloatMode: 240
; IeeeMode: 1
; LDSByteSize: 0 bytes/workgroup (compile time only)
; SGPRBlocks: 0
; VGPRBlocks: 0
; NumSGPRsForWavesPerEU: 4
; NumVGPRsForWavesPerEU: 1
; Occupancy: 10
; WaveLimiterHint : 0
; COMPUTE_PGM_RSRC2:SCRATCH_EN: 0
; COMPUTE_PGM_RSRC2:USER_SGPR: 6
; COMPUTE_PGM_RSRC2:TRAP_HANDLER: 0
; COMPUTE_PGM_RSRC2:TGID_X_EN: 1
; COMPUTE_PGM_RSRC2:TGID_Y_EN: 0
; COMPUTE_PGM_RSRC2:TGID_Z_EN: 0
; COMPUTE_PGM_RSRC2:TIDIG_COMP_CNT: 0
	.section	.text._ZN7rocprim17ROCPRIM_400000_NS6detail17trampoline_kernelINS0_13select_configILj256ELj13ELNS0_17block_load_methodE3ELS4_3ELS4_3ELNS0_20block_scan_algorithmE0ELj4294967295EEENS1_25partition_config_selectorILNS1_17partition_subalgoE3EjNS0_10empty_typeEbEEZZNS1_14partition_implILS8_3ELb0ES6_jNS0_17counting_iteratorIjlEEPS9_SE_NS0_5tupleIJPjSE_EEENSF_IJSE_SE_EEES9_SG_JZNS1_25segmented_radix_sort_implINS0_14default_configELb0EPKbPbPKlPlN2at6native12_GLOBAL__N_18offset_tEEE10hipError_tPvRmT1_PNSt15iterator_traitsISY_E10value_typeET2_T3_PNSZ_IS14_E10value_typeET4_jRbjT5_S1A_jjP12ihipStream_tbEUljE_EEESV_SW_SX_S14_S18_S1A_T6_T7_T9_mT8_S1C_bDpT10_ENKUlT_T0_E_clISt17integral_constantIbLb0EES1O_IbLb1EEEEDaS1K_S1L_EUlS1K_E_NS1_11comp_targetILNS1_3genE3ELNS1_11target_archE908ELNS1_3gpuE7ELNS1_3repE0EEENS1_30default_config_static_selectorELNS0_4arch9wavefront6targetE1EEEvSY_,"axG",@progbits,_ZN7rocprim17ROCPRIM_400000_NS6detail17trampoline_kernelINS0_13select_configILj256ELj13ELNS0_17block_load_methodE3ELS4_3ELS4_3ELNS0_20block_scan_algorithmE0ELj4294967295EEENS1_25partition_config_selectorILNS1_17partition_subalgoE3EjNS0_10empty_typeEbEEZZNS1_14partition_implILS8_3ELb0ES6_jNS0_17counting_iteratorIjlEEPS9_SE_NS0_5tupleIJPjSE_EEENSF_IJSE_SE_EEES9_SG_JZNS1_25segmented_radix_sort_implINS0_14default_configELb0EPKbPbPKlPlN2at6native12_GLOBAL__N_18offset_tEEE10hipError_tPvRmT1_PNSt15iterator_traitsISY_E10value_typeET2_T3_PNSZ_IS14_E10value_typeET4_jRbjT5_S1A_jjP12ihipStream_tbEUljE_EEESV_SW_SX_S14_S18_S1A_T6_T7_T9_mT8_S1C_bDpT10_ENKUlT_T0_E_clISt17integral_constantIbLb0EES1O_IbLb1EEEEDaS1K_S1L_EUlS1K_E_NS1_11comp_targetILNS1_3genE3ELNS1_11target_archE908ELNS1_3gpuE7ELNS1_3repE0EEENS1_30default_config_static_selectorELNS0_4arch9wavefront6targetE1EEEvSY_,comdat
	.globl	_ZN7rocprim17ROCPRIM_400000_NS6detail17trampoline_kernelINS0_13select_configILj256ELj13ELNS0_17block_load_methodE3ELS4_3ELS4_3ELNS0_20block_scan_algorithmE0ELj4294967295EEENS1_25partition_config_selectorILNS1_17partition_subalgoE3EjNS0_10empty_typeEbEEZZNS1_14partition_implILS8_3ELb0ES6_jNS0_17counting_iteratorIjlEEPS9_SE_NS0_5tupleIJPjSE_EEENSF_IJSE_SE_EEES9_SG_JZNS1_25segmented_radix_sort_implINS0_14default_configELb0EPKbPbPKlPlN2at6native12_GLOBAL__N_18offset_tEEE10hipError_tPvRmT1_PNSt15iterator_traitsISY_E10value_typeET2_T3_PNSZ_IS14_E10value_typeET4_jRbjT5_S1A_jjP12ihipStream_tbEUljE_EEESV_SW_SX_S14_S18_S1A_T6_T7_T9_mT8_S1C_bDpT10_ENKUlT_T0_E_clISt17integral_constantIbLb0EES1O_IbLb1EEEEDaS1K_S1L_EUlS1K_E_NS1_11comp_targetILNS1_3genE3ELNS1_11target_archE908ELNS1_3gpuE7ELNS1_3repE0EEENS1_30default_config_static_selectorELNS0_4arch9wavefront6targetE1EEEvSY_ ; -- Begin function _ZN7rocprim17ROCPRIM_400000_NS6detail17trampoline_kernelINS0_13select_configILj256ELj13ELNS0_17block_load_methodE3ELS4_3ELS4_3ELNS0_20block_scan_algorithmE0ELj4294967295EEENS1_25partition_config_selectorILNS1_17partition_subalgoE3EjNS0_10empty_typeEbEEZZNS1_14partition_implILS8_3ELb0ES6_jNS0_17counting_iteratorIjlEEPS9_SE_NS0_5tupleIJPjSE_EEENSF_IJSE_SE_EEES9_SG_JZNS1_25segmented_radix_sort_implINS0_14default_configELb0EPKbPbPKlPlN2at6native12_GLOBAL__N_18offset_tEEE10hipError_tPvRmT1_PNSt15iterator_traitsISY_E10value_typeET2_T3_PNSZ_IS14_E10value_typeET4_jRbjT5_S1A_jjP12ihipStream_tbEUljE_EEESV_SW_SX_S14_S18_S1A_T6_T7_T9_mT8_S1C_bDpT10_ENKUlT_T0_E_clISt17integral_constantIbLb0EES1O_IbLb1EEEEDaS1K_S1L_EUlS1K_E_NS1_11comp_targetILNS1_3genE3ELNS1_11target_archE908ELNS1_3gpuE7ELNS1_3repE0EEENS1_30default_config_static_selectorELNS0_4arch9wavefront6targetE1EEEvSY_
	.p2align	8
	.type	_ZN7rocprim17ROCPRIM_400000_NS6detail17trampoline_kernelINS0_13select_configILj256ELj13ELNS0_17block_load_methodE3ELS4_3ELS4_3ELNS0_20block_scan_algorithmE0ELj4294967295EEENS1_25partition_config_selectorILNS1_17partition_subalgoE3EjNS0_10empty_typeEbEEZZNS1_14partition_implILS8_3ELb0ES6_jNS0_17counting_iteratorIjlEEPS9_SE_NS0_5tupleIJPjSE_EEENSF_IJSE_SE_EEES9_SG_JZNS1_25segmented_radix_sort_implINS0_14default_configELb0EPKbPbPKlPlN2at6native12_GLOBAL__N_18offset_tEEE10hipError_tPvRmT1_PNSt15iterator_traitsISY_E10value_typeET2_T3_PNSZ_IS14_E10value_typeET4_jRbjT5_S1A_jjP12ihipStream_tbEUljE_EEESV_SW_SX_S14_S18_S1A_T6_T7_T9_mT8_S1C_bDpT10_ENKUlT_T0_E_clISt17integral_constantIbLb0EES1O_IbLb1EEEEDaS1K_S1L_EUlS1K_E_NS1_11comp_targetILNS1_3genE3ELNS1_11target_archE908ELNS1_3gpuE7ELNS1_3repE0EEENS1_30default_config_static_selectorELNS0_4arch9wavefront6targetE1EEEvSY_,@function
_ZN7rocprim17ROCPRIM_400000_NS6detail17trampoline_kernelINS0_13select_configILj256ELj13ELNS0_17block_load_methodE3ELS4_3ELS4_3ELNS0_20block_scan_algorithmE0ELj4294967295EEENS1_25partition_config_selectorILNS1_17partition_subalgoE3EjNS0_10empty_typeEbEEZZNS1_14partition_implILS8_3ELb0ES6_jNS0_17counting_iteratorIjlEEPS9_SE_NS0_5tupleIJPjSE_EEENSF_IJSE_SE_EEES9_SG_JZNS1_25segmented_radix_sort_implINS0_14default_configELb0EPKbPbPKlPlN2at6native12_GLOBAL__N_18offset_tEEE10hipError_tPvRmT1_PNSt15iterator_traitsISY_E10value_typeET2_T3_PNSZ_IS14_E10value_typeET4_jRbjT5_S1A_jjP12ihipStream_tbEUljE_EEESV_SW_SX_S14_S18_S1A_T6_T7_T9_mT8_S1C_bDpT10_ENKUlT_T0_E_clISt17integral_constantIbLb0EES1O_IbLb1EEEEDaS1K_S1L_EUlS1K_E_NS1_11comp_targetILNS1_3genE3ELNS1_11target_archE908ELNS1_3gpuE7ELNS1_3repE0EEENS1_30default_config_static_selectorELNS0_4arch9wavefront6targetE1EEEvSY_: ; @_ZN7rocprim17ROCPRIM_400000_NS6detail17trampoline_kernelINS0_13select_configILj256ELj13ELNS0_17block_load_methodE3ELS4_3ELS4_3ELNS0_20block_scan_algorithmE0ELj4294967295EEENS1_25partition_config_selectorILNS1_17partition_subalgoE3EjNS0_10empty_typeEbEEZZNS1_14partition_implILS8_3ELb0ES6_jNS0_17counting_iteratorIjlEEPS9_SE_NS0_5tupleIJPjSE_EEENSF_IJSE_SE_EEES9_SG_JZNS1_25segmented_radix_sort_implINS0_14default_configELb0EPKbPbPKlPlN2at6native12_GLOBAL__N_18offset_tEEE10hipError_tPvRmT1_PNSt15iterator_traitsISY_E10value_typeET2_T3_PNSZ_IS14_E10value_typeET4_jRbjT5_S1A_jjP12ihipStream_tbEUljE_EEESV_SW_SX_S14_S18_S1A_T6_T7_T9_mT8_S1C_bDpT10_ENKUlT_T0_E_clISt17integral_constantIbLb0EES1O_IbLb1EEEEDaS1K_S1L_EUlS1K_E_NS1_11comp_targetILNS1_3genE3ELNS1_11target_archE908ELNS1_3gpuE7ELNS1_3repE0EEENS1_30default_config_static_selectorELNS0_4arch9wavefront6targetE1EEEvSY_
; %bb.0:
	.section	.rodata,"a",@progbits
	.p2align	6, 0x0
	.amdhsa_kernel _ZN7rocprim17ROCPRIM_400000_NS6detail17trampoline_kernelINS0_13select_configILj256ELj13ELNS0_17block_load_methodE3ELS4_3ELS4_3ELNS0_20block_scan_algorithmE0ELj4294967295EEENS1_25partition_config_selectorILNS1_17partition_subalgoE3EjNS0_10empty_typeEbEEZZNS1_14partition_implILS8_3ELb0ES6_jNS0_17counting_iteratorIjlEEPS9_SE_NS0_5tupleIJPjSE_EEENSF_IJSE_SE_EEES9_SG_JZNS1_25segmented_radix_sort_implINS0_14default_configELb0EPKbPbPKlPlN2at6native12_GLOBAL__N_18offset_tEEE10hipError_tPvRmT1_PNSt15iterator_traitsISY_E10value_typeET2_T3_PNSZ_IS14_E10value_typeET4_jRbjT5_S1A_jjP12ihipStream_tbEUljE_EEESV_SW_SX_S14_S18_S1A_T6_T7_T9_mT8_S1C_bDpT10_ENKUlT_T0_E_clISt17integral_constantIbLb0EES1O_IbLb1EEEEDaS1K_S1L_EUlS1K_E_NS1_11comp_targetILNS1_3genE3ELNS1_11target_archE908ELNS1_3gpuE7ELNS1_3repE0EEENS1_30default_config_static_selectorELNS0_4arch9wavefront6targetE1EEEvSY_
		.amdhsa_group_segment_fixed_size 0
		.amdhsa_private_segment_fixed_size 0
		.amdhsa_kernarg_size 152
		.amdhsa_user_sgpr_count 6
		.amdhsa_user_sgpr_private_segment_buffer 1
		.amdhsa_user_sgpr_dispatch_ptr 0
		.amdhsa_user_sgpr_queue_ptr 0
		.amdhsa_user_sgpr_kernarg_segment_ptr 1
		.amdhsa_user_sgpr_dispatch_id 0
		.amdhsa_user_sgpr_flat_scratch_init 0
		.amdhsa_user_sgpr_private_segment_size 0
		.amdhsa_uses_dynamic_stack 0
		.amdhsa_system_sgpr_private_segment_wavefront_offset 0
		.amdhsa_system_sgpr_workgroup_id_x 1
		.amdhsa_system_sgpr_workgroup_id_y 0
		.amdhsa_system_sgpr_workgroup_id_z 0
		.amdhsa_system_sgpr_workgroup_info 0
		.amdhsa_system_vgpr_workitem_id 0
		.amdhsa_next_free_vgpr 1
		.amdhsa_next_free_sgpr 0
		.amdhsa_reserve_vcc 0
		.amdhsa_reserve_flat_scratch 0
		.amdhsa_float_round_mode_32 0
		.amdhsa_float_round_mode_16_64 0
		.amdhsa_float_denorm_mode_32 3
		.amdhsa_float_denorm_mode_16_64 3
		.amdhsa_dx10_clamp 1
		.amdhsa_ieee_mode 1
		.amdhsa_fp16_overflow 0
		.amdhsa_exception_fp_ieee_invalid_op 0
		.amdhsa_exception_fp_denorm_src 0
		.amdhsa_exception_fp_ieee_div_zero 0
		.amdhsa_exception_fp_ieee_overflow 0
		.amdhsa_exception_fp_ieee_underflow 0
		.amdhsa_exception_fp_ieee_inexact 0
		.amdhsa_exception_int_div_zero 0
	.end_amdhsa_kernel
	.section	.text._ZN7rocprim17ROCPRIM_400000_NS6detail17trampoline_kernelINS0_13select_configILj256ELj13ELNS0_17block_load_methodE3ELS4_3ELS4_3ELNS0_20block_scan_algorithmE0ELj4294967295EEENS1_25partition_config_selectorILNS1_17partition_subalgoE3EjNS0_10empty_typeEbEEZZNS1_14partition_implILS8_3ELb0ES6_jNS0_17counting_iteratorIjlEEPS9_SE_NS0_5tupleIJPjSE_EEENSF_IJSE_SE_EEES9_SG_JZNS1_25segmented_radix_sort_implINS0_14default_configELb0EPKbPbPKlPlN2at6native12_GLOBAL__N_18offset_tEEE10hipError_tPvRmT1_PNSt15iterator_traitsISY_E10value_typeET2_T3_PNSZ_IS14_E10value_typeET4_jRbjT5_S1A_jjP12ihipStream_tbEUljE_EEESV_SW_SX_S14_S18_S1A_T6_T7_T9_mT8_S1C_bDpT10_ENKUlT_T0_E_clISt17integral_constantIbLb0EES1O_IbLb1EEEEDaS1K_S1L_EUlS1K_E_NS1_11comp_targetILNS1_3genE3ELNS1_11target_archE908ELNS1_3gpuE7ELNS1_3repE0EEENS1_30default_config_static_selectorELNS0_4arch9wavefront6targetE1EEEvSY_,"axG",@progbits,_ZN7rocprim17ROCPRIM_400000_NS6detail17trampoline_kernelINS0_13select_configILj256ELj13ELNS0_17block_load_methodE3ELS4_3ELS4_3ELNS0_20block_scan_algorithmE0ELj4294967295EEENS1_25partition_config_selectorILNS1_17partition_subalgoE3EjNS0_10empty_typeEbEEZZNS1_14partition_implILS8_3ELb0ES6_jNS0_17counting_iteratorIjlEEPS9_SE_NS0_5tupleIJPjSE_EEENSF_IJSE_SE_EEES9_SG_JZNS1_25segmented_radix_sort_implINS0_14default_configELb0EPKbPbPKlPlN2at6native12_GLOBAL__N_18offset_tEEE10hipError_tPvRmT1_PNSt15iterator_traitsISY_E10value_typeET2_T3_PNSZ_IS14_E10value_typeET4_jRbjT5_S1A_jjP12ihipStream_tbEUljE_EEESV_SW_SX_S14_S18_S1A_T6_T7_T9_mT8_S1C_bDpT10_ENKUlT_T0_E_clISt17integral_constantIbLb0EES1O_IbLb1EEEEDaS1K_S1L_EUlS1K_E_NS1_11comp_targetILNS1_3genE3ELNS1_11target_archE908ELNS1_3gpuE7ELNS1_3repE0EEENS1_30default_config_static_selectorELNS0_4arch9wavefront6targetE1EEEvSY_,comdat
.Lfunc_end1630:
	.size	_ZN7rocprim17ROCPRIM_400000_NS6detail17trampoline_kernelINS0_13select_configILj256ELj13ELNS0_17block_load_methodE3ELS4_3ELS4_3ELNS0_20block_scan_algorithmE0ELj4294967295EEENS1_25partition_config_selectorILNS1_17partition_subalgoE3EjNS0_10empty_typeEbEEZZNS1_14partition_implILS8_3ELb0ES6_jNS0_17counting_iteratorIjlEEPS9_SE_NS0_5tupleIJPjSE_EEENSF_IJSE_SE_EEES9_SG_JZNS1_25segmented_radix_sort_implINS0_14default_configELb0EPKbPbPKlPlN2at6native12_GLOBAL__N_18offset_tEEE10hipError_tPvRmT1_PNSt15iterator_traitsISY_E10value_typeET2_T3_PNSZ_IS14_E10value_typeET4_jRbjT5_S1A_jjP12ihipStream_tbEUljE_EEESV_SW_SX_S14_S18_S1A_T6_T7_T9_mT8_S1C_bDpT10_ENKUlT_T0_E_clISt17integral_constantIbLb0EES1O_IbLb1EEEEDaS1K_S1L_EUlS1K_E_NS1_11comp_targetILNS1_3genE3ELNS1_11target_archE908ELNS1_3gpuE7ELNS1_3repE0EEENS1_30default_config_static_selectorELNS0_4arch9wavefront6targetE1EEEvSY_, .Lfunc_end1630-_ZN7rocprim17ROCPRIM_400000_NS6detail17trampoline_kernelINS0_13select_configILj256ELj13ELNS0_17block_load_methodE3ELS4_3ELS4_3ELNS0_20block_scan_algorithmE0ELj4294967295EEENS1_25partition_config_selectorILNS1_17partition_subalgoE3EjNS0_10empty_typeEbEEZZNS1_14partition_implILS8_3ELb0ES6_jNS0_17counting_iteratorIjlEEPS9_SE_NS0_5tupleIJPjSE_EEENSF_IJSE_SE_EEES9_SG_JZNS1_25segmented_radix_sort_implINS0_14default_configELb0EPKbPbPKlPlN2at6native12_GLOBAL__N_18offset_tEEE10hipError_tPvRmT1_PNSt15iterator_traitsISY_E10value_typeET2_T3_PNSZ_IS14_E10value_typeET4_jRbjT5_S1A_jjP12ihipStream_tbEUljE_EEESV_SW_SX_S14_S18_S1A_T6_T7_T9_mT8_S1C_bDpT10_ENKUlT_T0_E_clISt17integral_constantIbLb0EES1O_IbLb1EEEEDaS1K_S1L_EUlS1K_E_NS1_11comp_targetILNS1_3genE3ELNS1_11target_archE908ELNS1_3gpuE7ELNS1_3repE0EEENS1_30default_config_static_selectorELNS0_4arch9wavefront6targetE1EEEvSY_
                                        ; -- End function
	.set _ZN7rocprim17ROCPRIM_400000_NS6detail17trampoline_kernelINS0_13select_configILj256ELj13ELNS0_17block_load_methodE3ELS4_3ELS4_3ELNS0_20block_scan_algorithmE0ELj4294967295EEENS1_25partition_config_selectorILNS1_17partition_subalgoE3EjNS0_10empty_typeEbEEZZNS1_14partition_implILS8_3ELb0ES6_jNS0_17counting_iteratorIjlEEPS9_SE_NS0_5tupleIJPjSE_EEENSF_IJSE_SE_EEES9_SG_JZNS1_25segmented_radix_sort_implINS0_14default_configELb0EPKbPbPKlPlN2at6native12_GLOBAL__N_18offset_tEEE10hipError_tPvRmT1_PNSt15iterator_traitsISY_E10value_typeET2_T3_PNSZ_IS14_E10value_typeET4_jRbjT5_S1A_jjP12ihipStream_tbEUljE_EEESV_SW_SX_S14_S18_S1A_T6_T7_T9_mT8_S1C_bDpT10_ENKUlT_T0_E_clISt17integral_constantIbLb0EES1O_IbLb1EEEEDaS1K_S1L_EUlS1K_E_NS1_11comp_targetILNS1_3genE3ELNS1_11target_archE908ELNS1_3gpuE7ELNS1_3repE0EEENS1_30default_config_static_selectorELNS0_4arch9wavefront6targetE1EEEvSY_.num_vgpr, 0
	.set _ZN7rocprim17ROCPRIM_400000_NS6detail17trampoline_kernelINS0_13select_configILj256ELj13ELNS0_17block_load_methodE3ELS4_3ELS4_3ELNS0_20block_scan_algorithmE0ELj4294967295EEENS1_25partition_config_selectorILNS1_17partition_subalgoE3EjNS0_10empty_typeEbEEZZNS1_14partition_implILS8_3ELb0ES6_jNS0_17counting_iteratorIjlEEPS9_SE_NS0_5tupleIJPjSE_EEENSF_IJSE_SE_EEES9_SG_JZNS1_25segmented_radix_sort_implINS0_14default_configELb0EPKbPbPKlPlN2at6native12_GLOBAL__N_18offset_tEEE10hipError_tPvRmT1_PNSt15iterator_traitsISY_E10value_typeET2_T3_PNSZ_IS14_E10value_typeET4_jRbjT5_S1A_jjP12ihipStream_tbEUljE_EEESV_SW_SX_S14_S18_S1A_T6_T7_T9_mT8_S1C_bDpT10_ENKUlT_T0_E_clISt17integral_constantIbLb0EES1O_IbLb1EEEEDaS1K_S1L_EUlS1K_E_NS1_11comp_targetILNS1_3genE3ELNS1_11target_archE908ELNS1_3gpuE7ELNS1_3repE0EEENS1_30default_config_static_selectorELNS0_4arch9wavefront6targetE1EEEvSY_.num_agpr, 0
	.set _ZN7rocprim17ROCPRIM_400000_NS6detail17trampoline_kernelINS0_13select_configILj256ELj13ELNS0_17block_load_methodE3ELS4_3ELS4_3ELNS0_20block_scan_algorithmE0ELj4294967295EEENS1_25partition_config_selectorILNS1_17partition_subalgoE3EjNS0_10empty_typeEbEEZZNS1_14partition_implILS8_3ELb0ES6_jNS0_17counting_iteratorIjlEEPS9_SE_NS0_5tupleIJPjSE_EEENSF_IJSE_SE_EEES9_SG_JZNS1_25segmented_radix_sort_implINS0_14default_configELb0EPKbPbPKlPlN2at6native12_GLOBAL__N_18offset_tEEE10hipError_tPvRmT1_PNSt15iterator_traitsISY_E10value_typeET2_T3_PNSZ_IS14_E10value_typeET4_jRbjT5_S1A_jjP12ihipStream_tbEUljE_EEESV_SW_SX_S14_S18_S1A_T6_T7_T9_mT8_S1C_bDpT10_ENKUlT_T0_E_clISt17integral_constantIbLb0EES1O_IbLb1EEEEDaS1K_S1L_EUlS1K_E_NS1_11comp_targetILNS1_3genE3ELNS1_11target_archE908ELNS1_3gpuE7ELNS1_3repE0EEENS1_30default_config_static_selectorELNS0_4arch9wavefront6targetE1EEEvSY_.numbered_sgpr, 0
	.set _ZN7rocprim17ROCPRIM_400000_NS6detail17trampoline_kernelINS0_13select_configILj256ELj13ELNS0_17block_load_methodE3ELS4_3ELS4_3ELNS0_20block_scan_algorithmE0ELj4294967295EEENS1_25partition_config_selectorILNS1_17partition_subalgoE3EjNS0_10empty_typeEbEEZZNS1_14partition_implILS8_3ELb0ES6_jNS0_17counting_iteratorIjlEEPS9_SE_NS0_5tupleIJPjSE_EEENSF_IJSE_SE_EEES9_SG_JZNS1_25segmented_radix_sort_implINS0_14default_configELb0EPKbPbPKlPlN2at6native12_GLOBAL__N_18offset_tEEE10hipError_tPvRmT1_PNSt15iterator_traitsISY_E10value_typeET2_T3_PNSZ_IS14_E10value_typeET4_jRbjT5_S1A_jjP12ihipStream_tbEUljE_EEESV_SW_SX_S14_S18_S1A_T6_T7_T9_mT8_S1C_bDpT10_ENKUlT_T0_E_clISt17integral_constantIbLb0EES1O_IbLb1EEEEDaS1K_S1L_EUlS1K_E_NS1_11comp_targetILNS1_3genE3ELNS1_11target_archE908ELNS1_3gpuE7ELNS1_3repE0EEENS1_30default_config_static_selectorELNS0_4arch9wavefront6targetE1EEEvSY_.num_named_barrier, 0
	.set _ZN7rocprim17ROCPRIM_400000_NS6detail17trampoline_kernelINS0_13select_configILj256ELj13ELNS0_17block_load_methodE3ELS4_3ELS4_3ELNS0_20block_scan_algorithmE0ELj4294967295EEENS1_25partition_config_selectorILNS1_17partition_subalgoE3EjNS0_10empty_typeEbEEZZNS1_14partition_implILS8_3ELb0ES6_jNS0_17counting_iteratorIjlEEPS9_SE_NS0_5tupleIJPjSE_EEENSF_IJSE_SE_EEES9_SG_JZNS1_25segmented_radix_sort_implINS0_14default_configELb0EPKbPbPKlPlN2at6native12_GLOBAL__N_18offset_tEEE10hipError_tPvRmT1_PNSt15iterator_traitsISY_E10value_typeET2_T3_PNSZ_IS14_E10value_typeET4_jRbjT5_S1A_jjP12ihipStream_tbEUljE_EEESV_SW_SX_S14_S18_S1A_T6_T7_T9_mT8_S1C_bDpT10_ENKUlT_T0_E_clISt17integral_constantIbLb0EES1O_IbLb1EEEEDaS1K_S1L_EUlS1K_E_NS1_11comp_targetILNS1_3genE3ELNS1_11target_archE908ELNS1_3gpuE7ELNS1_3repE0EEENS1_30default_config_static_selectorELNS0_4arch9wavefront6targetE1EEEvSY_.private_seg_size, 0
	.set _ZN7rocprim17ROCPRIM_400000_NS6detail17trampoline_kernelINS0_13select_configILj256ELj13ELNS0_17block_load_methodE3ELS4_3ELS4_3ELNS0_20block_scan_algorithmE0ELj4294967295EEENS1_25partition_config_selectorILNS1_17partition_subalgoE3EjNS0_10empty_typeEbEEZZNS1_14partition_implILS8_3ELb0ES6_jNS0_17counting_iteratorIjlEEPS9_SE_NS0_5tupleIJPjSE_EEENSF_IJSE_SE_EEES9_SG_JZNS1_25segmented_radix_sort_implINS0_14default_configELb0EPKbPbPKlPlN2at6native12_GLOBAL__N_18offset_tEEE10hipError_tPvRmT1_PNSt15iterator_traitsISY_E10value_typeET2_T3_PNSZ_IS14_E10value_typeET4_jRbjT5_S1A_jjP12ihipStream_tbEUljE_EEESV_SW_SX_S14_S18_S1A_T6_T7_T9_mT8_S1C_bDpT10_ENKUlT_T0_E_clISt17integral_constantIbLb0EES1O_IbLb1EEEEDaS1K_S1L_EUlS1K_E_NS1_11comp_targetILNS1_3genE3ELNS1_11target_archE908ELNS1_3gpuE7ELNS1_3repE0EEENS1_30default_config_static_selectorELNS0_4arch9wavefront6targetE1EEEvSY_.uses_vcc, 0
	.set _ZN7rocprim17ROCPRIM_400000_NS6detail17trampoline_kernelINS0_13select_configILj256ELj13ELNS0_17block_load_methodE3ELS4_3ELS4_3ELNS0_20block_scan_algorithmE0ELj4294967295EEENS1_25partition_config_selectorILNS1_17partition_subalgoE3EjNS0_10empty_typeEbEEZZNS1_14partition_implILS8_3ELb0ES6_jNS0_17counting_iteratorIjlEEPS9_SE_NS0_5tupleIJPjSE_EEENSF_IJSE_SE_EEES9_SG_JZNS1_25segmented_radix_sort_implINS0_14default_configELb0EPKbPbPKlPlN2at6native12_GLOBAL__N_18offset_tEEE10hipError_tPvRmT1_PNSt15iterator_traitsISY_E10value_typeET2_T3_PNSZ_IS14_E10value_typeET4_jRbjT5_S1A_jjP12ihipStream_tbEUljE_EEESV_SW_SX_S14_S18_S1A_T6_T7_T9_mT8_S1C_bDpT10_ENKUlT_T0_E_clISt17integral_constantIbLb0EES1O_IbLb1EEEEDaS1K_S1L_EUlS1K_E_NS1_11comp_targetILNS1_3genE3ELNS1_11target_archE908ELNS1_3gpuE7ELNS1_3repE0EEENS1_30default_config_static_selectorELNS0_4arch9wavefront6targetE1EEEvSY_.uses_flat_scratch, 0
	.set _ZN7rocprim17ROCPRIM_400000_NS6detail17trampoline_kernelINS0_13select_configILj256ELj13ELNS0_17block_load_methodE3ELS4_3ELS4_3ELNS0_20block_scan_algorithmE0ELj4294967295EEENS1_25partition_config_selectorILNS1_17partition_subalgoE3EjNS0_10empty_typeEbEEZZNS1_14partition_implILS8_3ELb0ES6_jNS0_17counting_iteratorIjlEEPS9_SE_NS0_5tupleIJPjSE_EEENSF_IJSE_SE_EEES9_SG_JZNS1_25segmented_radix_sort_implINS0_14default_configELb0EPKbPbPKlPlN2at6native12_GLOBAL__N_18offset_tEEE10hipError_tPvRmT1_PNSt15iterator_traitsISY_E10value_typeET2_T3_PNSZ_IS14_E10value_typeET4_jRbjT5_S1A_jjP12ihipStream_tbEUljE_EEESV_SW_SX_S14_S18_S1A_T6_T7_T9_mT8_S1C_bDpT10_ENKUlT_T0_E_clISt17integral_constantIbLb0EES1O_IbLb1EEEEDaS1K_S1L_EUlS1K_E_NS1_11comp_targetILNS1_3genE3ELNS1_11target_archE908ELNS1_3gpuE7ELNS1_3repE0EEENS1_30default_config_static_selectorELNS0_4arch9wavefront6targetE1EEEvSY_.has_dyn_sized_stack, 0
	.set _ZN7rocprim17ROCPRIM_400000_NS6detail17trampoline_kernelINS0_13select_configILj256ELj13ELNS0_17block_load_methodE3ELS4_3ELS4_3ELNS0_20block_scan_algorithmE0ELj4294967295EEENS1_25partition_config_selectorILNS1_17partition_subalgoE3EjNS0_10empty_typeEbEEZZNS1_14partition_implILS8_3ELb0ES6_jNS0_17counting_iteratorIjlEEPS9_SE_NS0_5tupleIJPjSE_EEENSF_IJSE_SE_EEES9_SG_JZNS1_25segmented_radix_sort_implINS0_14default_configELb0EPKbPbPKlPlN2at6native12_GLOBAL__N_18offset_tEEE10hipError_tPvRmT1_PNSt15iterator_traitsISY_E10value_typeET2_T3_PNSZ_IS14_E10value_typeET4_jRbjT5_S1A_jjP12ihipStream_tbEUljE_EEESV_SW_SX_S14_S18_S1A_T6_T7_T9_mT8_S1C_bDpT10_ENKUlT_T0_E_clISt17integral_constantIbLb0EES1O_IbLb1EEEEDaS1K_S1L_EUlS1K_E_NS1_11comp_targetILNS1_3genE3ELNS1_11target_archE908ELNS1_3gpuE7ELNS1_3repE0EEENS1_30default_config_static_selectorELNS0_4arch9wavefront6targetE1EEEvSY_.has_recursion, 0
	.set _ZN7rocprim17ROCPRIM_400000_NS6detail17trampoline_kernelINS0_13select_configILj256ELj13ELNS0_17block_load_methodE3ELS4_3ELS4_3ELNS0_20block_scan_algorithmE0ELj4294967295EEENS1_25partition_config_selectorILNS1_17partition_subalgoE3EjNS0_10empty_typeEbEEZZNS1_14partition_implILS8_3ELb0ES6_jNS0_17counting_iteratorIjlEEPS9_SE_NS0_5tupleIJPjSE_EEENSF_IJSE_SE_EEES9_SG_JZNS1_25segmented_radix_sort_implINS0_14default_configELb0EPKbPbPKlPlN2at6native12_GLOBAL__N_18offset_tEEE10hipError_tPvRmT1_PNSt15iterator_traitsISY_E10value_typeET2_T3_PNSZ_IS14_E10value_typeET4_jRbjT5_S1A_jjP12ihipStream_tbEUljE_EEESV_SW_SX_S14_S18_S1A_T6_T7_T9_mT8_S1C_bDpT10_ENKUlT_T0_E_clISt17integral_constantIbLb0EES1O_IbLb1EEEEDaS1K_S1L_EUlS1K_E_NS1_11comp_targetILNS1_3genE3ELNS1_11target_archE908ELNS1_3gpuE7ELNS1_3repE0EEENS1_30default_config_static_selectorELNS0_4arch9wavefront6targetE1EEEvSY_.has_indirect_call, 0
	.section	.AMDGPU.csdata,"",@progbits
; Kernel info:
; codeLenInByte = 0
; TotalNumSgprs: 4
; NumVgprs: 0
; ScratchSize: 0
; MemoryBound: 0
; FloatMode: 240
; IeeeMode: 1
; LDSByteSize: 0 bytes/workgroup (compile time only)
; SGPRBlocks: 0
; VGPRBlocks: 0
; NumSGPRsForWavesPerEU: 4
; NumVGPRsForWavesPerEU: 1
; Occupancy: 10
; WaveLimiterHint : 0
; COMPUTE_PGM_RSRC2:SCRATCH_EN: 0
; COMPUTE_PGM_RSRC2:USER_SGPR: 6
; COMPUTE_PGM_RSRC2:TRAP_HANDLER: 0
; COMPUTE_PGM_RSRC2:TGID_X_EN: 1
; COMPUTE_PGM_RSRC2:TGID_Y_EN: 0
; COMPUTE_PGM_RSRC2:TGID_Z_EN: 0
; COMPUTE_PGM_RSRC2:TIDIG_COMP_CNT: 0
	.section	.text._ZN7rocprim17ROCPRIM_400000_NS6detail17trampoline_kernelINS0_13select_configILj256ELj13ELNS0_17block_load_methodE3ELS4_3ELS4_3ELNS0_20block_scan_algorithmE0ELj4294967295EEENS1_25partition_config_selectorILNS1_17partition_subalgoE3EjNS0_10empty_typeEbEEZZNS1_14partition_implILS8_3ELb0ES6_jNS0_17counting_iteratorIjlEEPS9_SE_NS0_5tupleIJPjSE_EEENSF_IJSE_SE_EEES9_SG_JZNS1_25segmented_radix_sort_implINS0_14default_configELb0EPKbPbPKlPlN2at6native12_GLOBAL__N_18offset_tEEE10hipError_tPvRmT1_PNSt15iterator_traitsISY_E10value_typeET2_T3_PNSZ_IS14_E10value_typeET4_jRbjT5_S1A_jjP12ihipStream_tbEUljE_EEESV_SW_SX_S14_S18_S1A_T6_T7_T9_mT8_S1C_bDpT10_ENKUlT_T0_E_clISt17integral_constantIbLb0EES1O_IbLb1EEEEDaS1K_S1L_EUlS1K_E_NS1_11comp_targetILNS1_3genE2ELNS1_11target_archE906ELNS1_3gpuE6ELNS1_3repE0EEENS1_30default_config_static_selectorELNS0_4arch9wavefront6targetE1EEEvSY_,"axG",@progbits,_ZN7rocprim17ROCPRIM_400000_NS6detail17trampoline_kernelINS0_13select_configILj256ELj13ELNS0_17block_load_methodE3ELS4_3ELS4_3ELNS0_20block_scan_algorithmE0ELj4294967295EEENS1_25partition_config_selectorILNS1_17partition_subalgoE3EjNS0_10empty_typeEbEEZZNS1_14partition_implILS8_3ELb0ES6_jNS0_17counting_iteratorIjlEEPS9_SE_NS0_5tupleIJPjSE_EEENSF_IJSE_SE_EEES9_SG_JZNS1_25segmented_radix_sort_implINS0_14default_configELb0EPKbPbPKlPlN2at6native12_GLOBAL__N_18offset_tEEE10hipError_tPvRmT1_PNSt15iterator_traitsISY_E10value_typeET2_T3_PNSZ_IS14_E10value_typeET4_jRbjT5_S1A_jjP12ihipStream_tbEUljE_EEESV_SW_SX_S14_S18_S1A_T6_T7_T9_mT8_S1C_bDpT10_ENKUlT_T0_E_clISt17integral_constantIbLb0EES1O_IbLb1EEEEDaS1K_S1L_EUlS1K_E_NS1_11comp_targetILNS1_3genE2ELNS1_11target_archE906ELNS1_3gpuE6ELNS1_3repE0EEENS1_30default_config_static_selectorELNS0_4arch9wavefront6targetE1EEEvSY_,comdat
	.globl	_ZN7rocprim17ROCPRIM_400000_NS6detail17trampoline_kernelINS0_13select_configILj256ELj13ELNS0_17block_load_methodE3ELS4_3ELS4_3ELNS0_20block_scan_algorithmE0ELj4294967295EEENS1_25partition_config_selectorILNS1_17partition_subalgoE3EjNS0_10empty_typeEbEEZZNS1_14partition_implILS8_3ELb0ES6_jNS0_17counting_iteratorIjlEEPS9_SE_NS0_5tupleIJPjSE_EEENSF_IJSE_SE_EEES9_SG_JZNS1_25segmented_radix_sort_implINS0_14default_configELb0EPKbPbPKlPlN2at6native12_GLOBAL__N_18offset_tEEE10hipError_tPvRmT1_PNSt15iterator_traitsISY_E10value_typeET2_T3_PNSZ_IS14_E10value_typeET4_jRbjT5_S1A_jjP12ihipStream_tbEUljE_EEESV_SW_SX_S14_S18_S1A_T6_T7_T9_mT8_S1C_bDpT10_ENKUlT_T0_E_clISt17integral_constantIbLb0EES1O_IbLb1EEEEDaS1K_S1L_EUlS1K_E_NS1_11comp_targetILNS1_3genE2ELNS1_11target_archE906ELNS1_3gpuE6ELNS1_3repE0EEENS1_30default_config_static_selectorELNS0_4arch9wavefront6targetE1EEEvSY_ ; -- Begin function _ZN7rocprim17ROCPRIM_400000_NS6detail17trampoline_kernelINS0_13select_configILj256ELj13ELNS0_17block_load_methodE3ELS4_3ELS4_3ELNS0_20block_scan_algorithmE0ELj4294967295EEENS1_25partition_config_selectorILNS1_17partition_subalgoE3EjNS0_10empty_typeEbEEZZNS1_14partition_implILS8_3ELb0ES6_jNS0_17counting_iteratorIjlEEPS9_SE_NS0_5tupleIJPjSE_EEENSF_IJSE_SE_EEES9_SG_JZNS1_25segmented_radix_sort_implINS0_14default_configELb0EPKbPbPKlPlN2at6native12_GLOBAL__N_18offset_tEEE10hipError_tPvRmT1_PNSt15iterator_traitsISY_E10value_typeET2_T3_PNSZ_IS14_E10value_typeET4_jRbjT5_S1A_jjP12ihipStream_tbEUljE_EEESV_SW_SX_S14_S18_S1A_T6_T7_T9_mT8_S1C_bDpT10_ENKUlT_T0_E_clISt17integral_constantIbLb0EES1O_IbLb1EEEEDaS1K_S1L_EUlS1K_E_NS1_11comp_targetILNS1_3genE2ELNS1_11target_archE906ELNS1_3gpuE6ELNS1_3repE0EEENS1_30default_config_static_selectorELNS0_4arch9wavefront6targetE1EEEvSY_
	.p2align	8
	.type	_ZN7rocprim17ROCPRIM_400000_NS6detail17trampoline_kernelINS0_13select_configILj256ELj13ELNS0_17block_load_methodE3ELS4_3ELS4_3ELNS0_20block_scan_algorithmE0ELj4294967295EEENS1_25partition_config_selectorILNS1_17partition_subalgoE3EjNS0_10empty_typeEbEEZZNS1_14partition_implILS8_3ELb0ES6_jNS0_17counting_iteratorIjlEEPS9_SE_NS0_5tupleIJPjSE_EEENSF_IJSE_SE_EEES9_SG_JZNS1_25segmented_radix_sort_implINS0_14default_configELb0EPKbPbPKlPlN2at6native12_GLOBAL__N_18offset_tEEE10hipError_tPvRmT1_PNSt15iterator_traitsISY_E10value_typeET2_T3_PNSZ_IS14_E10value_typeET4_jRbjT5_S1A_jjP12ihipStream_tbEUljE_EEESV_SW_SX_S14_S18_S1A_T6_T7_T9_mT8_S1C_bDpT10_ENKUlT_T0_E_clISt17integral_constantIbLb0EES1O_IbLb1EEEEDaS1K_S1L_EUlS1K_E_NS1_11comp_targetILNS1_3genE2ELNS1_11target_archE906ELNS1_3gpuE6ELNS1_3repE0EEENS1_30default_config_static_selectorELNS0_4arch9wavefront6targetE1EEEvSY_,@function
_ZN7rocprim17ROCPRIM_400000_NS6detail17trampoline_kernelINS0_13select_configILj256ELj13ELNS0_17block_load_methodE3ELS4_3ELS4_3ELNS0_20block_scan_algorithmE0ELj4294967295EEENS1_25partition_config_selectorILNS1_17partition_subalgoE3EjNS0_10empty_typeEbEEZZNS1_14partition_implILS8_3ELb0ES6_jNS0_17counting_iteratorIjlEEPS9_SE_NS0_5tupleIJPjSE_EEENSF_IJSE_SE_EEES9_SG_JZNS1_25segmented_radix_sort_implINS0_14default_configELb0EPKbPbPKlPlN2at6native12_GLOBAL__N_18offset_tEEE10hipError_tPvRmT1_PNSt15iterator_traitsISY_E10value_typeET2_T3_PNSZ_IS14_E10value_typeET4_jRbjT5_S1A_jjP12ihipStream_tbEUljE_EEESV_SW_SX_S14_S18_S1A_T6_T7_T9_mT8_S1C_bDpT10_ENKUlT_T0_E_clISt17integral_constantIbLb0EES1O_IbLb1EEEEDaS1K_S1L_EUlS1K_E_NS1_11comp_targetILNS1_3genE2ELNS1_11target_archE906ELNS1_3gpuE6ELNS1_3repE0EEENS1_30default_config_static_selectorELNS0_4arch9wavefront6targetE1EEEvSY_: ; @_ZN7rocprim17ROCPRIM_400000_NS6detail17trampoline_kernelINS0_13select_configILj256ELj13ELNS0_17block_load_methodE3ELS4_3ELS4_3ELNS0_20block_scan_algorithmE0ELj4294967295EEENS1_25partition_config_selectorILNS1_17partition_subalgoE3EjNS0_10empty_typeEbEEZZNS1_14partition_implILS8_3ELb0ES6_jNS0_17counting_iteratorIjlEEPS9_SE_NS0_5tupleIJPjSE_EEENSF_IJSE_SE_EEES9_SG_JZNS1_25segmented_radix_sort_implINS0_14default_configELb0EPKbPbPKlPlN2at6native12_GLOBAL__N_18offset_tEEE10hipError_tPvRmT1_PNSt15iterator_traitsISY_E10value_typeET2_T3_PNSZ_IS14_E10value_typeET4_jRbjT5_S1A_jjP12ihipStream_tbEUljE_EEESV_SW_SX_S14_S18_S1A_T6_T7_T9_mT8_S1C_bDpT10_ENKUlT_T0_E_clISt17integral_constantIbLb0EES1O_IbLb1EEEEDaS1K_S1L_EUlS1K_E_NS1_11comp_targetILNS1_3genE2ELNS1_11target_archE906ELNS1_3gpuE6ELNS1_3repE0EEENS1_30default_config_static_selectorELNS0_4arch9wavefront6targetE1EEEvSY_
; %bb.0:
	s_load_dwordx2 s[28:29], s[4:5], 0x10
	s_load_dwordx2 s[22:23], s[4:5], 0x28
	s_load_dwordx2 s[30:31], s[4:5], 0x58
	s_load_dwordx4 s[24:27], s[4:5], 0x48
	s_load_dword s14, s[4:5], 0x90
	s_load_dwordx2 s[34:35], s[4:5], 0x68
	s_load_dwordx4 s[8:11], s[4:5], 0x80
	v_cmp_eq_u32_e64 s[0:1], 0, v0
	s_and_saveexec_b64 s[2:3], s[0:1]
	s_cbranch_execz .LBB1631_4
; %bb.1:
	s_mov_b64 s[12:13], exec
	v_mbcnt_lo_u32_b32 v1, s12, 0
	v_mbcnt_hi_u32_b32 v1, s13, v1
	v_cmp_eq_u32_e32 vcc, 0, v1
                                        ; implicit-def: $vgpr2
	s_and_saveexec_b64 s[6:7], vcc
	s_cbranch_execz .LBB1631_3
; %bb.2:
	s_load_dwordx2 s[16:17], s[4:5], 0x78
	s_bcnt1_i32_b64 s12, s[12:13]
	v_mov_b32_e32 v2, 0
	v_mov_b32_e32 v3, s12
	s_waitcnt lgkmcnt(0)
	global_atomic_add v2, v2, v3, s[16:17] glc
.LBB1631_3:
	s_or_b64 exec, exec, s[6:7]
	s_waitcnt vmcnt(0)
	v_readfirstlane_b32 s6, v2
	v_add_u32_e32 v1, s6, v1
	v_mov_b32_e32 v2, 0
	ds_write_b32 v2, v1
.LBB1631_4:
	s_or_b64 exec, exec, s[2:3]
	v_mov_b32_e32 v1, 0
	s_load_dword s6, s[4:5], 0x8
	s_load_dword s2, s[4:5], 0x70
	s_waitcnt lgkmcnt(0)
	s_barrier
	ds_read_b32 v5, v1
	s_waitcnt lgkmcnt(0)
	s_barrier
	global_load_dwordx2 v[3:4], v1, s[26:27]
	s_add_i32 s4, s2, -1
	s_mulk_i32 s2, 0xd00
	s_add_i32 s3, s2, s28
	s_sub_i32 s33, s30, s3
	s_add_i32 s6, s6, s28
	s_addk_i32 s33, 0xd00
	s_add_u32 s2, s28, s2
	s_addc_u32 s3, s29, 0
	v_mov_b32_e32 v1, s2
	v_mov_b32_e32 v2, s3
	v_readfirstlane_b32 s43, v5
	v_cmp_gt_u64_e32 vcc, s[30:31], v[1:2]
	s_cmp_eq_u32 s43, s4
	v_cmp_ne_u32_e64 s[2:3], s4, v5
	s_cselect_b64 s[26:27], -1, 0
	s_or_b64 s[4:5], vcc, s[2:3]
	s_mul_i32 s42, s43, 0xd00
	s_mov_b64 s[2:3], -1
	s_and_b64 vcc, exec, s[4:5]
	v_lshlrev_b32_e32 v25, 2, v0
	s_cbranch_vccz .LBB1631_6
; %bb.5:
	s_add_i32 s2, s42, s6
	v_add_u32_e32 v1, s2, v0
	v_add_u32_e32 v2, 0x100, v1
	;; [unrolled: 1-line block ×13, first 2 shown]
	ds_write2st64_b32 v25, v1, v2 offset1:4
	ds_write2st64_b32 v25, v5, v6 offset0:8 offset1:12
	ds_write2st64_b32 v25, v7, v8 offset0:16 offset1:20
	ds_write2st64_b32 v25, v9, v10 offset0:24 offset1:28
	ds_write2st64_b32 v25, v11, v12 offset0:32 offset1:36
	ds_write2st64_b32 v25, v13, v14 offset0:40 offset1:44
	ds_write_b32 v25, v15 offset:12288
	s_waitcnt vmcnt(0) lgkmcnt(0)
	s_barrier
	s_mov_b64 s[2:3], 0
.LBB1631_6:
	s_andn2_b64 vcc, exec, s[2:3]
	v_cmp_gt_u32_e64 s[2:3], s33, v0
	s_cbranch_vccnz .LBB1631_8
; %bb.7:
	s_add_i32 s6, s42, s6
	v_or_b32_e32 v2, 0x100, v0
	v_add_u32_e32 v5, s6, v2
	v_cmp_gt_u32_e32 vcc, s33, v2
	v_cndmask_b32_e32 v2, 0, v5, vcc
	v_or_b32_e32 v5, 0x200, v0
	v_add_u32_e32 v6, s6, v5
	v_cmp_gt_u32_e32 vcc, s33, v5
	v_cndmask_b32_e32 v5, 0, v6, vcc
	;; [unrolled: 4-line block ×10, first 2 shown]
	v_or_b32_e32 v14, 0xb00, v0
	v_add_u32_e32 v15, s6, v14
	v_cmp_gt_u32_e32 vcc, s33, v14
	v_add_u32_e32 v1, s6, v0
	v_cndmask_b32_e32 v14, 0, v15, vcc
	v_or_b32_e32 v15, 0xc00, v0
	v_cndmask_b32_e64 v1, 0, v1, s[2:3]
	v_add_u32_e32 v16, s6, v15
	v_cmp_gt_u32_e32 vcc, s33, v15
	v_cndmask_b32_e32 v15, 0, v16, vcc
	ds_write2st64_b32 v25, v1, v2 offset1:4
	ds_write2st64_b32 v25, v5, v6 offset0:8 offset1:12
	ds_write2st64_b32 v25, v7, v8 offset0:16 offset1:20
	;; [unrolled: 1-line block ×5, first 2 shown]
	ds_write_b32 v25, v15 offset:12288
	s_waitcnt vmcnt(0) lgkmcnt(0)
	s_barrier
.LBB1631_8:
	v_mul_u32_u24_e32 v27, 13, v0
	v_lshlrev_b32_e32 v1, 2, v27
	ds_read2_b32 v[15:16], v1 offset1:1
	ds_read2_b32 v[13:14], v1 offset0:2 offset1:3
	ds_read2_b32 v[11:12], v1 offset0:4 offset1:5
	;; [unrolled: 1-line block ×5, first 2 shown]
	ds_read_b32 v26, v1 offset:48
	v_cndmask_b32_e64 v1, 0, 1, s[4:5]
	v_cmp_ne_u32_e64 s[2:3], 1, v1
	s_andn2_b64 vcc, exec, s[4:5]
	s_waitcnt vmcnt(0) lgkmcnt(0)
	s_barrier
	s_cbranch_vccnz .LBB1631_10
; %bb.9:
	v_add_u32_e32 v1, s9, v15
	v_add_u32_e32 v2, s11, v15
	v_mul_lo_u32 v1, v1, s8
	v_mul_lo_u32 v2, v2, s10
	v_add_u32_e32 v17, s9, v13
	v_add_u32_e32 v18, s11, v13
	v_mul_lo_u32 v17, v17, s8
	v_sub_u32_e32 v1, v1, v2
	v_cmp_lt_u32_e32 vcc, s14, v1
	v_add_u32_e32 v1, s9, v16
	v_add_u32_e32 v2, s11, v16
	v_mul_lo_u32 v1, v1, s8
	v_mul_lo_u32 v2, v2, s10
	;; [unrolled: 1-line block ×3, first 2 shown]
	v_cndmask_b32_e64 v28, 0, 1, vcc
	v_sub_u32_e32 v1, v1, v2
	v_cmp_lt_u32_e32 vcc, s14, v1
	v_sub_u32_e32 v1, v17, v18
	v_cndmask_b32_e64 v29, 0, 1, vcc
	v_cmp_lt_u32_e32 vcc, s14, v1
	v_add_u32_e32 v1, s9, v14
	v_add_u32_e32 v2, s11, v14
	v_mul_lo_u32 v1, v1, s8
	v_mul_lo_u32 v2, v2, s10
	v_add_u32_e32 v17, s9, v11
	v_add_u32_e32 v18, s11, v11
	v_mul_lo_u32 v17, v17, s8
	v_mul_lo_u32 v18, v18, s10
	v_sub_u32_e32 v1, v1, v2
	v_cndmask_b32_e64 v30, 0, 1, vcc
	v_cmp_lt_u32_e32 vcc, s14, v1
	v_sub_u32_e32 v1, v17, v18
	v_cndmask_b32_e64 v31, 0, 1, vcc
	v_cmp_lt_u32_e32 vcc, s14, v1
	v_add_u32_e32 v1, s9, v12
	v_add_u32_e32 v2, s11, v12
	v_mul_lo_u32 v1, v1, s8
	v_mul_lo_u32 v2, v2, s10
	v_add_u32_e32 v17, s9, v9
	v_add_u32_e32 v18, s11, v9
	v_mul_lo_u32 v17, v17, s8
	v_mul_lo_u32 v18, v18, s10
	v_sub_u32_e32 v1, v1, v2
	v_cndmask_b32_e64 v32, 0, 1, vcc
	;; [unrolled: 14-line block ×5, first 2 shown]
	v_cmp_lt_u32_e32 vcc, s14, v1
	v_sub_u32_e32 v1, v17, v18
	v_cndmask_b32_e64 v39, 0, 1, vcc
	v_cmp_lt_u32_e64 s[36:37], s14, v1
	s_cbranch_execz .LBB1631_11
	s_branch .LBB1631_38
.LBB1631_10:
                                        ; implicit-def: $sgpr36_sgpr37
                                        ; implicit-def: $vgpr39
                                        ; implicit-def: $vgpr38
                                        ; implicit-def: $vgpr37
                                        ; implicit-def: $vgpr36
                                        ; implicit-def: $vgpr35
                                        ; implicit-def: $vgpr34
                                        ; implicit-def: $vgpr33
                                        ; implicit-def: $vgpr32
                                        ; implicit-def: $vgpr28
                                        ; implicit-def: $vgpr29
                                        ; implicit-def: $vgpr30
                                        ; implicit-def: $vgpr31
.LBB1631_11:
	v_cmp_gt_u32_e32 vcc, s33, v27
	v_mov_b32_e32 v29, 0
	v_mov_b32_e32 v28, 0
	s_and_saveexec_b64 s[4:5], vcc
	s_cbranch_execz .LBB1631_13
; %bb.12:
	v_add_u32_e32 v1, s9, v15
	v_add_u32_e32 v2, s11, v15
	v_mul_lo_u32 v1, v1, s8
	v_mul_lo_u32 v2, v2, s10
	v_sub_u32_e32 v1, v1, v2
	v_cmp_lt_u32_e32 vcc, s14, v1
	v_cndmask_b32_e64 v28, 0, 1, vcc
.LBB1631_13:
	s_or_b64 exec, exec, s[4:5]
	v_add_u32_e32 v1, 1, v27
	v_cmp_gt_u32_e32 vcc, s33, v1
	s_and_saveexec_b64 s[4:5], vcc
	s_cbranch_execz .LBB1631_15
; %bb.14:
	v_add_u32_e32 v1, s9, v16
	v_add_u32_e32 v2, s11, v16
	v_mul_lo_u32 v1, v1, s8
	v_mul_lo_u32 v2, v2, s10
	v_sub_u32_e32 v1, v1, v2
	v_cmp_lt_u32_e32 vcc, s14, v1
	v_cndmask_b32_e64 v29, 0, 1, vcc
.LBB1631_15:
	s_or_b64 exec, exec, s[4:5]
	v_add_u32_e32 v1, 2, v27
	v_cmp_gt_u32_e32 vcc, s33, v1
	v_mov_b32_e32 v31, 0
	v_mov_b32_e32 v30, 0
	s_and_saveexec_b64 s[4:5], vcc
	s_cbranch_execz .LBB1631_17
; %bb.16:
	v_add_u32_e32 v1, s9, v13
	v_add_u32_e32 v2, s11, v13
	v_mul_lo_u32 v1, v1, s8
	v_mul_lo_u32 v2, v2, s10
	v_sub_u32_e32 v1, v1, v2
	v_cmp_lt_u32_e32 vcc, s14, v1
	v_cndmask_b32_e64 v30, 0, 1, vcc
.LBB1631_17:
	s_or_b64 exec, exec, s[4:5]
	v_add_u32_e32 v1, 3, v27
	v_cmp_gt_u32_e32 vcc, s33, v1
	s_and_saveexec_b64 s[4:5], vcc
	s_cbranch_execz .LBB1631_19
; %bb.18:
	v_add_u32_e32 v1, s9, v14
	v_add_u32_e32 v2, s11, v14
	v_mul_lo_u32 v1, v1, s8
	v_mul_lo_u32 v2, v2, s10
	v_sub_u32_e32 v1, v1, v2
	v_cmp_lt_u32_e32 vcc, s14, v1
	v_cndmask_b32_e64 v31, 0, 1, vcc
.LBB1631_19:
	s_or_b64 exec, exec, s[4:5]
	v_add_u32_e32 v1, 4, v27
	;; [unrolled: 30-line block ×6, first 2 shown]
	v_cmp_gt_u32_e32 vcc, s33, v1
	s_mov_b64 s[36:37], 0
	s_and_saveexec_b64 s[4:5], vcc
	s_cbranch_execz .LBB1631_37
; %bb.36:
	v_add_u32_e32 v1, s9, v26
	v_add_u32_e32 v2, s11, v26
	v_mul_lo_u32 v1, v1, s8
	v_mul_lo_u32 v2, v2, s10
	v_sub_u32_e32 v1, v1, v2
	v_cmp_lt_u32_e32 vcc, s14, v1
	s_and_b64 s[36:37], vcc, exec
.LBB1631_37:
	s_or_b64 exec, exec, s[4:5]
.LBB1631_38:
	v_and_b32_e32 v42, 0xff, v29
	v_and_b32_e32 v43, 0xff, v30
	;; [unrolled: 1-line block ×5, first 2 shown]
	v_add3_u32 v2, v43, v44, v42
	v_and_b32_e32 v46, 0xff, v33
	v_and_b32_e32 v47, 0xff, v34
	v_add3_u32 v2, v2, v41, v45
	v_and_b32_e32 v48, 0xff, v35
	v_and_b32_e32 v49, 0xff, v36
	;; [unrolled: 3-line block ×3, first 2 shown]
	v_add3_u32 v2, v2, v48, v49
	v_and_b32_e32 v40, 0xff, v39
	v_cndmask_b32_e64 v1, 0, 1, s[36:37]
	v_add3_u32 v2, v2, v50, v51
	v_add3_u32 v54, v2, v40, v1
	v_mbcnt_lo_u32_b32 v1, -1, 0
	v_mbcnt_hi_u32_b32 v52, -1, v1
	v_and_b32_e32 v1, 15, v52
	v_cmp_eq_u32_e64 s[16:17], 0, v1
	v_cmp_lt_u32_e64 s[14:15], 1, v1
	v_cmp_lt_u32_e64 s[12:13], 3, v1
	;; [unrolled: 1-line block ×3, first 2 shown]
	v_and_b32_e32 v1, 16, v52
	v_cmp_eq_u32_e64 s[8:9], 0, v1
	v_or_b32_e32 v1, 63, v0
	s_cmp_lg_u32 s43, 0
	v_cmp_lt_u32_e64 s[4:5], 31, v52
	v_lshrrev_b32_e32 v53, 6, v0
	v_cmp_eq_u32_e64 s[6:7], v0, v1
	s_cbranch_scc0 .LBB1631_60
; %bb.39:
	v_mov_b32_dpp v1, v54 row_shr:1 row_mask:0xf bank_mask:0xf
	v_cndmask_b32_e64 v1, v1, 0, s[16:17]
	v_add_u32_e32 v1, v1, v54
	s_nop 1
	v_mov_b32_dpp v2, v1 row_shr:2 row_mask:0xf bank_mask:0xf
	v_cndmask_b32_e64 v2, 0, v2, s[14:15]
	v_add_u32_e32 v1, v1, v2
	s_nop 1
	;; [unrolled: 4-line block ×4, first 2 shown]
	v_mov_b32_dpp v2, v1 row_bcast:15 row_mask:0xf bank_mask:0xf
	v_cndmask_b32_e64 v2, v2, 0, s[8:9]
	v_add_u32_e32 v1, v1, v2
	s_nop 1
	v_mov_b32_dpp v2, v1 row_bcast:31 row_mask:0xf bank_mask:0xf
	v_cndmask_b32_e64 v2, 0, v2, s[4:5]
	v_add_u32_e32 v1, v1, v2
	s_and_saveexec_b64 s[18:19], s[6:7]
; %bb.40:
	v_lshlrev_b32_e32 v2, 2, v53
	ds_write_b32 v2, v1
; %bb.41:
	s_or_b64 exec, exec, s[18:19]
	v_cmp_gt_u32_e32 vcc, 4, v0
	s_waitcnt lgkmcnt(0)
	s_barrier
	s_and_saveexec_b64 s[18:19], vcc
	s_cbranch_execz .LBB1631_43
; %bb.42:
	ds_read_b32 v2, v25
	v_and_b32_e32 v17, 3, v52
	v_cmp_ne_u32_e32 vcc, 0, v17
	s_waitcnt lgkmcnt(0)
	v_mov_b32_dpp v18, v2 row_shr:1 row_mask:0xf bank_mask:0xf
	v_cndmask_b32_e32 v18, 0, v18, vcc
	v_add_u32_e32 v2, v18, v2
	v_cmp_lt_u32_e32 vcc, 1, v17
	s_nop 0
	v_mov_b32_dpp v18, v2 row_shr:2 row_mask:0xf bank_mask:0xf
	v_cndmask_b32_e32 v17, 0, v18, vcc
	v_add_u32_e32 v2, v2, v17
	ds_write_b32 v25, v2
.LBB1631_43:
	s_or_b64 exec, exec, s[18:19]
	v_cmp_gt_u32_e32 vcc, 64, v0
	v_cmp_lt_u32_e64 s[18:19], 63, v0
	s_waitcnt lgkmcnt(0)
	s_barrier
                                        ; implicit-def: $vgpr55
	s_and_saveexec_b64 s[20:21], s[18:19]
	s_cbranch_execz .LBB1631_45
; %bb.44:
	v_lshl_add_u32 v2, v53, 2, -4
	ds_read_b32 v55, v2
	s_waitcnt lgkmcnt(0)
	v_add_u32_e32 v1, v55, v1
.LBB1631_45:
	s_or_b64 exec, exec, s[20:21]
	v_subrev_co_u32_e64 v2, s[18:19], 1, v52
	v_and_b32_e32 v17, 64, v52
	v_cmp_lt_i32_e64 s[20:21], v2, v17
	v_cndmask_b32_e64 v2, v2, v52, s[20:21]
	v_lshlrev_b32_e32 v2, 2, v2
	ds_bpermute_b32 v56, v2, v1
	s_and_saveexec_b64 s[20:21], vcc
	s_cbranch_execz .LBB1631_65
; %bb.46:
	v_mov_b32_e32 v21, 0
	ds_read_b32 v1, v21 offset:12
	s_and_saveexec_b64 s[38:39], s[18:19]
	s_cbranch_execz .LBB1631_48
; %bb.47:
	s_add_i32 s40, s43, 64
	s_mov_b32 s41, 0
	s_lshl_b64 s[40:41], s[40:41], 3
	s_add_u32 s40, s34, s40
	v_mov_b32_e32 v2, 1
	s_addc_u32 s41, s35, s41
	s_waitcnt lgkmcnt(0)
	global_store_dwordx2 v21, v[1:2], s[40:41]
.LBB1631_48:
	s_or_b64 exec, exec, s[38:39]
	v_xad_u32 v17, v52, -1, s43
	v_add_u32_e32 v20, 64, v17
	v_lshlrev_b64 v[18:19], 3, v[20:21]
	v_mov_b32_e32 v2, s35
	v_add_co_u32_e32 v22, vcc, s34, v18
	v_addc_co_u32_e32 v23, vcc, v2, v19, vcc
	global_load_dwordx2 v[19:20], v[22:23], off glc
	s_waitcnt vmcnt(0)
	v_cmp_eq_u16_sdwa s[40:41], v20, v21 src0_sel:BYTE_0 src1_sel:DWORD
	s_and_saveexec_b64 s[38:39], s[40:41]
	s_cbranch_execz .LBB1631_52
; %bb.49:
	s_mov_b64 s[40:41], 0
	v_mov_b32_e32 v2, 0
.LBB1631_50:                            ; =>This Inner Loop Header: Depth=1
	global_load_dwordx2 v[19:20], v[22:23], off glc
	s_waitcnt vmcnt(0)
	v_cmp_ne_u16_sdwa s[44:45], v20, v2 src0_sel:BYTE_0 src1_sel:DWORD
	s_or_b64 s[40:41], s[44:45], s[40:41]
	s_andn2_b64 exec, exec, s[40:41]
	s_cbranch_execnz .LBB1631_50
; %bb.51:
	s_or_b64 exec, exec, s[40:41]
.LBB1631_52:
	s_or_b64 exec, exec, s[38:39]
	v_and_b32_e32 v58, 63, v52
	v_mov_b32_e32 v57, 2
	v_lshlrev_b64 v[21:22], v52, -1
	v_cmp_ne_u32_e32 vcc, 63, v58
	v_cmp_eq_u16_sdwa s[38:39], v20, v57 src0_sel:BYTE_0 src1_sel:DWORD
	v_addc_co_u32_e32 v23, vcc, 0, v52, vcc
	v_and_b32_e32 v2, s39, v22
	v_lshlrev_b32_e32 v59, 2, v23
	v_or_b32_e32 v2, 0x80000000, v2
	ds_bpermute_b32 v23, v59, v19
	v_and_b32_e32 v18, s38, v21
	v_ffbl_b32_e32 v2, v2
	v_add_u32_e32 v2, 32, v2
	v_ffbl_b32_e32 v18, v18
	v_min_u32_e32 v2, v18, v2
	v_cmp_lt_u32_e32 vcc, v58, v2
	s_waitcnt lgkmcnt(0)
	v_cndmask_b32_e32 v18, 0, v23, vcc
	v_cmp_gt_u32_e32 vcc, 62, v58
	v_add_u32_e32 v18, v18, v19
	v_cndmask_b32_e64 v19, 0, 2, vcc
	v_add_lshl_u32 v60, v19, v52, 2
	ds_bpermute_b32 v19, v60, v18
	v_add_u32_e32 v61, 2, v58
	v_cmp_le_u32_e32 vcc, v61, v2
	v_add_u32_e32 v63, 4, v58
	v_add_u32_e32 v65, 8, v58
	s_waitcnt lgkmcnt(0)
	v_cndmask_b32_e32 v19, 0, v19, vcc
	v_cmp_gt_u32_e32 vcc, 60, v58
	v_add_u32_e32 v18, v18, v19
	v_cndmask_b32_e64 v19, 0, 4, vcc
	v_add_lshl_u32 v62, v19, v52, 2
	ds_bpermute_b32 v19, v62, v18
	v_cmp_le_u32_e32 vcc, v63, v2
	v_add_u32_e32 v67, 16, v58
	v_add_u32_e32 v69, 32, v58
	s_waitcnt lgkmcnt(0)
	v_cndmask_b32_e32 v19, 0, v19, vcc
	v_cmp_gt_u32_e32 vcc, 56, v58
	v_add_u32_e32 v18, v18, v19
	v_cndmask_b32_e64 v19, 0, 8, vcc
	v_add_lshl_u32 v64, v19, v52, 2
	ds_bpermute_b32 v19, v64, v18
	v_cmp_le_u32_e32 vcc, v65, v2
	s_waitcnt lgkmcnt(0)
	v_cndmask_b32_e32 v19, 0, v19, vcc
	v_cmp_gt_u32_e32 vcc, 48, v58
	v_add_u32_e32 v18, v18, v19
	v_cndmask_b32_e64 v19, 0, 16, vcc
	v_add_lshl_u32 v66, v19, v52, 2
	ds_bpermute_b32 v19, v66, v18
	v_cmp_le_u32_e32 vcc, v67, v2
	s_waitcnt lgkmcnt(0)
	v_cndmask_b32_e32 v19, 0, v19, vcc
	v_add_u32_e32 v18, v18, v19
	v_mov_b32_e32 v19, 0x80
	v_lshl_or_b32 v68, v52, 2, v19
	ds_bpermute_b32 v19, v68, v18
	v_cmp_le_u32_e32 vcc, v69, v2
	s_waitcnt lgkmcnt(0)
	v_cndmask_b32_e32 v2, 0, v19, vcc
	v_add_u32_e32 v19, v18, v2
	v_mov_b32_e32 v18, 0
	s_branch .LBB1631_56
.LBB1631_53:                            ;   in Loop: Header=BB1631_56 Depth=1
	s_or_b64 exec, exec, s[40:41]
.LBB1631_54:                            ;   in Loop: Header=BB1631_56 Depth=1
	s_or_b64 exec, exec, s[38:39]
	v_cmp_eq_u16_sdwa s[38:39], v20, v57 src0_sel:BYTE_0 src1_sel:DWORD
	v_and_b32_e32 v23, s39, v22
	v_or_b32_e32 v23, 0x80000000, v23
	ds_bpermute_b32 v70, v59, v19
	v_and_b32_e32 v24, s38, v21
	v_ffbl_b32_e32 v23, v23
	v_add_u32_e32 v23, 32, v23
	v_ffbl_b32_e32 v24, v24
	v_min_u32_e32 v23, v24, v23
	v_cmp_lt_u32_e32 vcc, v58, v23
	s_waitcnt lgkmcnt(0)
	v_cndmask_b32_e32 v24, 0, v70, vcc
	v_add_u32_e32 v19, v24, v19
	ds_bpermute_b32 v24, v60, v19
	v_cmp_le_u32_e32 vcc, v61, v23
	v_subrev_u32_e32 v17, 64, v17
	s_mov_b64 s[38:39], 0
	s_waitcnt lgkmcnt(0)
	v_cndmask_b32_e32 v24, 0, v24, vcc
	v_add_u32_e32 v19, v19, v24
	ds_bpermute_b32 v24, v62, v19
	v_cmp_le_u32_e32 vcc, v63, v23
	s_waitcnt lgkmcnt(0)
	v_cndmask_b32_e32 v24, 0, v24, vcc
	v_add_u32_e32 v19, v19, v24
	ds_bpermute_b32 v24, v64, v19
	v_cmp_le_u32_e32 vcc, v65, v23
	;; [unrolled: 5-line block ×4, first 2 shown]
	s_waitcnt lgkmcnt(0)
	v_cndmask_b32_e32 v23, 0, v24, vcc
	v_add3_u32 v19, v23, v2, v19
.LBB1631_55:                            ;   in Loop: Header=BB1631_56 Depth=1
	s_and_b64 vcc, exec, s[38:39]
	s_cbranch_vccnz .LBB1631_61
.LBB1631_56:                            ; =>This Loop Header: Depth=1
                                        ;     Child Loop BB1631_59 Depth 2
	v_cmp_ne_u16_sdwa s[38:39], v20, v57 src0_sel:BYTE_0 src1_sel:DWORD
	v_mov_b32_e32 v2, v19
	s_cmp_lg_u64 s[38:39], exec
	s_mov_b64 s[38:39], -1
                                        ; implicit-def: $vgpr19
                                        ; implicit-def: $vgpr20
	s_cbranch_scc1 .LBB1631_55
; %bb.57:                               ;   in Loop: Header=BB1631_56 Depth=1
	v_lshlrev_b64 v[19:20], 3, v[17:18]
	v_mov_b32_e32 v24, s35
	v_add_co_u32_e32 v23, vcc, s34, v19
	v_addc_co_u32_e32 v24, vcc, v24, v20, vcc
	global_load_dwordx2 v[19:20], v[23:24], off glc
	s_waitcnt vmcnt(0)
	v_cmp_eq_u16_sdwa s[40:41], v20, v18 src0_sel:BYTE_0 src1_sel:DWORD
	s_and_saveexec_b64 s[38:39], s[40:41]
	s_cbranch_execz .LBB1631_54
; %bb.58:                               ;   in Loop: Header=BB1631_56 Depth=1
	s_mov_b64 s[40:41], 0
.LBB1631_59:                            ;   Parent Loop BB1631_56 Depth=1
                                        ; =>  This Inner Loop Header: Depth=2
	global_load_dwordx2 v[19:20], v[23:24], off glc
	s_waitcnt vmcnt(0)
	v_cmp_ne_u16_sdwa s[44:45], v20, v18 src0_sel:BYTE_0 src1_sel:DWORD
	s_or_b64 s[40:41], s[44:45], s[40:41]
	s_andn2_b64 exec, exec, s[40:41]
	s_cbranch_execnz .LBB1631_59
	s_branch .LBB1631_53
.LBB1631_60:
                                        ; implicit-def: $vgpr2
                                        ; implicit-def: $vgpr17
	s_cbranch_execnz .LBB1631_66
	s_branch .LBB1631_75
.LBB1631_61:
	s_and_saveexec_b64 s[38:39], s[18:19]
	s_cbranch_execz .LBB1631_63
; %bb.62:
	s_add_i32 s40, s43, 64
	s_mov_b32 s41, 0
	s_lshl_b64 s[40:41], s[40:41], 3
	s_add_u32 s40, s34, s40
	v_add_u32_e32 v17, v2, v1
	v_mov_b32_e32 v18, 2
	s_addc_u32 s41, s35, s41
	v_mov_b32_e32 v19, 0
	global_store_dwordx2 v19, v[17:18], s[40:41]
	ds_write_b64 v19, v[1:2] offset:13312
.LBB1631_63:
	s_or_b64 exec, exec, s[38:39]
	s_and_b64 exec, exec, s[0:1]
; %bb.64:
	v_mov_b32_e32 v1, 0
	ds_write_b32 v1, v2 offset:12
.LBB1631_65:
	s_or_b64 exec, exec, s[20:21]
	v_mov_b32_e32 v1, 0
	s_waitcnt vmcnt(0) lgkmcnt(0)
	s_barrier
	ds_read_b32 v17, v1 offset:12
	s_waitcnt lgkmcnt(0)
	s_barrier
	ds_read_b64 v[1:2], v1 offset:13312
	v_cndmask_b32_e64 v18, v56, v55, s[18:19]
	v_cndmask_b32_e64 v18, v18, 0, s[0:1]
	v_add_u32_e32 v17, v17, v18
	s_branch .LBB1631_75
.LBB1631_66:
	s_waitcnt lgkmcnt(0)
	v_mov_b32_dpp v1, v54 row_shr:1 row_mask:0xf bank_mask:0xf
	v_cndmask_b32_e64 v1, v1, 0, s[16:17]
	v_add_u32_e32 v1, v1, v54
	s_nop 1
	v_mov_b32_dpp v2, v1 row_shr:2 row_mask:0xf bank_mask:0xf
	v_cndmask_b32_e64 v2, 0, v2, s[14:15]
	v_add_u32_e32 v1, v1, v2
	s_nop 1
	;; [unrolled: 4-line block ×4, first 2 shown]
	v_mov_b32_dpp v2, v1 row_bcast:15 row_mask:0xf bank_mask:0xf
	v_cndmask_b32_e64 v2, v2, 0, s[8:9]
	v_add_u32_e32 v1, v1, v2
	s_nop 1
	v_mov_b32_dpp v2, v1 row_bcast:31 row_mask:0xf bank_mask:0xf
	v_cndmask_b32_e64 v2, 0, v2, s[4:5]
	v_add_u32_e32 v1, v1, v2
	s_and_saveexec_b64 s[4:5], s[6:7]
; %bb.67:
	v_lshlrev_b32_e32 v2, 2, v53
	ds_write_b32 v2, v1
; %bb.68:
	s_or_b64 exec, exec, s[4:5]
	v_cmp_gt_u32_e32 vcc, 4, v0
	s_waitcnt lgkmcnt(0)
	s_barrier
	s_and_saveexec_b64 s[4:5], vcc
	s_cbranch_execz .LBB1631_70
; %bb.69:
	ds_read_b32 v2, v25
	v_and_b32_e32 v17, 3, v52
	v_cmp_ne_u32_e32 vcc, 0, v17
	s_waitcnt lgkmcnt(0)
	v_mov_b32_dpp v18, v2 row_shr:1 row_mask:0xf bank_mask:0xf
	v_cndmask_b32_e32 v18, 0, v18, vcc
	v_add_u32_e32 v2, v18, v2
	v_cmp_lt_u32_e32 vcc, 1, v17
	s_nop 0
	v_mov_b32_dpp v18, v2 row_shr:2 row_mask:0xf bank_mask:0xf
	v_cndmask_b32_e32 v17, 0, v18, vcc
	v_add_u32_e32 v2, v2, v17
	ds_write_b32 v25, v2
.LBB1631_70:
	s_or_b64 exec, exec, s[4:5]
	v_cmp_lt_u32_e32 vcc, 63, v0
	v_mov_b32_e32 v2, 0
	v_mov_b32_e32 v17, 0
	s_waitcnt lgkmcnt(0)
	s_barrier
	s_and_saveexec_b64 s[4:5], vcc
; %bb.71:
	v_lshl_add_u32 v17, v53, 2, -4
	ds_read_b32 v17, v17
; %bb.72:
	s_or_b64 exec, exec, s[4:5]
	v_subrev_co_u32_e32 v18, vcc, 1, v52
	v_and_b32_e32 v19, 64, v52
	v_cmp_lt_i32_e64 s[4:5], v18, v19
	v_cndmask_b32_e64 v18, v18, v52, s[4:5]
	s_waitcnt lgkmcnt(0)
	v_add_u32_e32 v1, v17, v1
	v_lshlrev_b32_e32 v18, 2, v18
	ds_bpermute_b32 v18, v18, v1
	ds_read_b32 v1, v2 offset:12
	s_and_saveexec_b64 s[4:5], s[0:1]
	s_cbranch_execz .LBB1631_74
; %bb.73:
	v_mov_b32_e32 v19, 0
	v_mov_b32_e32 v2, 2
	s_waitcnt lgkmcnt(0)
	global_store_dwordx2 v19, v[1:2], s[34:35] offset:512
.LBB1631_74:
	s_or_b64 exec, exec, s[4:5]
	s_waitcnt lgkmcnt(1)
	v_cndmask_b32_e32 v2, v18, v17, vcc
	v_cndmask_b32_e64 v17, v2, 0, s[0:1]
	s_waitcnt vmcnt(0) lgkmcnt(0)
	s_barrier
	v_mov_b32_e32 v2, 0
.LBB1631_75:
	v_add_u32_e32 v18, v17, v41
	v_add_u32_e32 v19, v18, v42
	;; [unrolled: 1-line block ×4, first 2 shown]
	s_waitcnt lgkmcnt(0)
	v_add_u32_e32 v27, v1, v27
	v_sub_u32_e32 v17, v17, v2
	v_and_b32_e32 v28, 1, v28
	v_add_u32_e32 v22, v21, v45
	v_sub_u32_e32 v45, v27, v17
	v_cmp_eq_u32_e32 vcc, 1, v28
	v_cndmask_b32_e32 v17, v45, v17, vcc
	v_lshlrev_b32_e32 v17, 2, v17
	ds_write_b32 v17, v15
	v_sub_u32_e32 v15, v18, v2
	v_sub_u32_e32 v17, v27, v15
	v_and_b32_e32 v18, 1, v29
	v_add_u32_e32 v17, 1, v17
	v_cmp_eq_u32_e32 vcc, 1, v18
	v_cndmask_b32_e32 v15, v17, v15, vcc
	v_lshlrev_b32_e32 v15, 2, v15
	ds_write_b32 v15, v16
	v_sub_u32_e32 v15, v19, v2
	v_sub_u32_e32 v16, v27, v15
	v_and_b32_e32 v17, 1, v30
	v_add_u32_e32 v16, 2, v16
	;; [unrolled: 8-line block ×5, first 2 shown]
	v_cmp_eq_u32_e32 vcc, 1, v14
	v_cndmask_b32_e32 v11, v13, v11, vcc
	v_add_u32_e32 v23, v22, v46
	v_lshlrev_b32_e32 v11, 2, v11
	ds_write_b32 v11, v12
	v_sub_u32_e32 v11, v23, v2
	v_sub_u32_e32 v12, v27, v11
	v_and_b32_e32 v13, 1, v34
	v_add_u32_e32 v12, 6, v12
	v_cmp_eq_u32_e32 vcc, 1, v13
	v_cndmask_b32_e32 v11, v12, v11, vcc
	v_add_u32_e32 v24, v23, v47
	v_lshlrev_b32_e32 v11, 2, v11
	ds_write_b32 v11, v9
	v_sub_u32_e32 v9, v24, v2
	v_sub_u32_e32 v11, v27, v9
	v_and_b32_e32 v12, 1, v35
	v_add_u32_e32 v11, 7, v11
	;; [unrolled: 9-line block ×6, first 2 shown]
	v_cmp_eq_u32_e32 vcc, 1, v8
	v_cndmask_b32_e32 v5, v7, v5, vcc
	v_lshlrev_b32_e32 v5, 2, v5
	ds_write_b32 v5, v6
	v_sub_u32_e32 v5, v40, v2
	v_add_u32_e32 v5, v44, v5
	v_sub_u32_e32 v6, v27, v5
	v_add_u32_e32 v6, 12, v6
	v_cndmask_b32_e64 v5, v6, v5, s[36:37]
	v_lshlrev_b32_e32 v5, 2, v5
	ds_write_b32 v5, v26
	s_waitcnt lgkmcnt(0)
	s_barrier
	ds_read2st64_b32 v[15:16], v25 offset1:4
	ds_read2st64_b32 v[13:14], v25 offset0:8 offset1:12
	ds_read2st64_b32 v[11:12], v25 offset0:16 offset1:20
	;; [unrolled: 1-line block ×5, first 2 shown]
	ds_read_b32 v18, v25 offset:12288
	s_and_b64 vcc, exec, s[2:3]
	v_add_co_u32_e64 v17, s[2:3], v3, v2
	v_or_b32_e32 v32, 0x100, v0
	v_or_b32_e32 v30, 0x200, v0
	;; [unrolled: 1-line block ×12, first 2 shown]
	v_addc_co_u32_e64 v4, s[2:3], 0, v4, s[2:3]
	s_cbranch_vccnz .LBB1631_132
; %bb.76:
	v_mov_b32_e32 v2, s29
	v_subrev_co_u32_e32 v3, vcc, s28, v17
	s_sub_u32 s2, s30, s42
	v_subb_co_u32_e32 v2, vcc, v4, v2, vcc
	s_subb_u32 s3, s31, 0
	v_mov_b32_e32 v25, s3
	v_add_co_u32_e32 v31, vcc, s2, v1
	v_addc_co_u32_e32 v33, vcc, 0, v25, vcc
	v_add_co_u32_e32 v25, vcc, v31, v3
	v_addc_co_u32_e32 v31, vcc, v33, v2, vcc
	v_cmp_ge_u32_e32 vcc, v0, v1
                                        ; implicit-def: $vgpr2_vgpr3
	s_and_saveexec_b64 s[2:3], vcc
	s_xor_b64 s[2:3], exec, s[2:3]
; %bb.77:
	v_not_b32_e32 v2, v0
	v_ashrrev_i32_e32 v3, 31, v2
	v_add_co_u32_e32 v2, vcc, v25, v2
	v_addc_co_u32_e32 v3, vcc, v31, v3, vcc
; %bb.78:
	s_andn2_saveexec_b64 s[2:3], s[2:3]
; %bb.79:
	v_add_co_u32_e32 v2, vcc, v17, v0
	v_addc_co_u32_e32 v3, vcc, 0, v4, vcc
; %bb.80:
	s_or_b64 exec, exec, s[2:3]
	v_lshlrev_b64 v[2:3], 2, v[2:3]
	v_mov_b32_e32 v33, s23
	v_add_co_u32_e32 v2, vcc, s22, v2
	v_addc_co_u32_e32 v3, vcc, v33, v3, vcc
	v_cmp_ge_u32_e32 vcc, v32, v1
	s_waitcnt lgkmcnt(6)
	global_store_dword v[2:3], v15, off
                                        ; implicit-def: $vgpr2_vgpr3
	s_and_saveexec_b64 s[2:3], vcc
	s_xor_b64 s[2:3], exec, s[2:3]
; %bb.81:
	v_xor_b32_e32 v2, 0xfffffeff, v0
	v_ashrrev_i32_e32 v3, 31, v2
	v_add_co_u32_e32 v2, vcc, v25, v2
	v_addc_co_u32_e32 v3, vcc, v31, v3, vcc
; %bb.82:
	s_andn2_saveexec_b64 s[2:3], s[2:3]
; %bb.83:
	v_add_co_u32_e32 v2, vcc, v17, v32
	v_addc_co_u32_e32 v3, vcc, 0, v4, vcc
; %bb.84:
	s_or_b64 exec, exec, s[2:3]
	v_lshlrev_b64 v[2:3], 2, v[2:3]
	v_mov_b32_e32 v33, s23
	v_add_co_u32_e32 v2, vcc, s22, v2
	v_addc_co_u32_e32 v3, vcc, v33, v3, vcc
	v_cmp_ge_u32_e32 vcc, v30, v1
	global_store_dword v[2:3], v16, off
                                        ; implicit-def: $vgpr2_vgpr3
	s_and_saveexec_b64 s[2:3], vcc
	s_xor_b64 s[2:3], exec, s[2:3]
; %bb.85:
	v_xor_b32_e32 v2, 0xfffffdff, v0
	v_ashrrev_i32_e32 v3, 31, v2
	v_add_co_u32_e32 v2, vcc, v25, v2
	v_addc_co_u32_e32 v3, vcc, v31, v3, vcc
; %bb.86:
	s_andn2_saveexec_b64 s[2:3], s[2:3]
; %bb.87:
	v_add_co_u32_e32 v2, vcc, v17, v30
	v_addc_co_u32_e32 v3, vcc, 0, v4, vcc
; %bb.88:
	s_or_b64 exec, exec, s[2:3]
	v_lshlrev_b64 v[2:3], 2, v[2:3]
	v_mov_b32_e32 v33, s23
	v_add_co_u32_e32 v2, vcc, s22, v2
	v_addc_co_u32_e32 v3, vcc, v33, v3, vcc
	v_cmp_ge_u32_e32 vcc, v29, v1
	s_waitcnt lgkmcnt(5)
	global_store_dword v[2:3], v13, off
                                        ; implicit-def: $vgpr2_vgpr3
	s_and_saveexec_b64 s[2:3], vcc
	s_xor_b64 s[2:3], exec, s[2:3]
; %bb.89:
	v_xor_b32_e32 v2, 0xfffffcff, v0
	v_ashrrev_i32_e32 v3, 31, v2
	v_add_co_u32_e32 v2, vcc, v25, v2
	v_addc_co_u32_e32 v3, vcc, v31, v3, vcc
; %bb.90:
	s_andn2_saveexec_b64 s[2:3], s[2:3]
; %bb.91:
	v_add_co_u32_e32 v2, vcc, v17, v29
	v_addc_co_u32_e32 v3, vcc, 0, v4, vcc
; %bb.92:
	s_or_b64 exec, exec, s[2:3]
	v_lshlrev_b64 v[2:3], 2, v[2:3]
	v_mov_b32_e32 v33, s23
	v_add_co_u32_e32 v2, vcc, s22, v2
	v_addc_co_u32_e32 v3, vcc, v33, v3, vcc
	v_cmp_ge_u32_e32 vcc, v28, v1
	global_store_dword v[2:3], v14, off
                                        ; implicit-def: $vgpr2_vgpr3
	s_and_saveexec_b64 s[2:3], vcc
	s_xor_b64 s[2:3], exec, s[2:3]
; %bb.93:
	v_xor_b32_e32 v2, 0xfffffbff, v0
	;; [unrolled: 43-line block ×6, first 2 shown]
	v_ashrrev_i32_e32 v3, 31, v2
	v_add_co_u32_e32 v2, vcc, v25, v2
	v_addc_co_u32_e32 v3, vcc, v31, v3, vcc
; %bb.126:
	s_andn2_saveexec_b64 s[2:3], s[2:3]
; %bb.127:
	v_add_co_u32_e32 v2, vcc, v17, v19
	v_addc_co_u32_e32 v3, vcc, 0, v4, vcc
; %bb.128:
	s_or_b64 exec, exec, s[2:3]
	s_mov_b64 s[2:3], -1
.LBB1631_129:
	s_and_saveexec_b64 s[4:5], s[2:3]
	s_cbranch_execz .LBB1631_212
.LBB1631_130:
	v_lshlrev_b64 v[2:3], 2, v[2:3]
	v_mov_b32_e32 v0, s23
	v_add_co_u32_e32 v2, vcc, s22, v2
	v_addc_co_u32_e32 v3, vcc, v0, v3, vcc
	s_waitcnt lgkmcnt(0)
	global_store_dword v[2:3], v18, off
	s_or_b64 exec, exec, s[4:5]
	s_and_b64 s[0:1], s[0:1], s[26:27]
	s_and_saveexec_b64 s[2:3], s[0:1]
	s_cbranch_execnz .LBB1631_213
.LBB1631_131:
	s_endpgm
.LBB1631_132:
	s_mov_b64 s[2:3], 0
                                        ; implicit-def: $vgpr2_vgpr3
	s_cbranch_execz .LBB1631_129
; %bb.133:
	s_add_u32 s4, s28, s42
	s_addc_u32 s5, s29, 0
	s_sub_u32 s4, s30, s4
	s_subb_u32 s5, s31, s5
	v_mov_b32_e32 v2, s5
	v_add_co_u32_e32 v3, vcc, s4, v1
	v_addc_co_u32_e32 v2, vcc, 0, v2, vcc
	v_add_co_u32_e32 v25, vcc, v3, v17
	v_addc_co_u32_e32 v31, vcc, v2, v4, vcc
	v_cmp_gt_u32_e32 vcc, s33, v0
	s_and_saveexec_b64 s[4:5], vcc
	s_cbranch_execz .LBB1631_169
; %bb.134:
	v_cmp_ge_u32_e32 vcc, v0, v1
                                        ; implicit-def: $vgpr2_vgpr3
	s_and_saveexec_b64 s[6:7], vcc
	s_xor_b64 s[6:7], exec, s[6:7]
; %bb.135:
	v_not_b32_e32 v2, v0
	v_ashrrev_i32_e32 v3, 31, v2
	v_add_co_u32_e32 v2, vcc, v25, v2
	v_addc_co_u32_e32 v3, vcc, v31, v3, vcc
; %bb.136:
	s_andn2_saveexec_b64 s[6:7], s[6:7]
; %bb.137:
	v_add_co_u32_e32 v2, vcc, v17, v0
	v_addc_co_u32_e32 v3, vcc, 0, v4, vcc
; %bb.138:
	s_or_b64 exec, exec, s[6:7]
	v_lshlrev_b64 v[2:3], 2, v[2:3]
	v_mov_b32_e32 v33, s23
	v_add_co_u32_e32 v2, vcc, s22, v2
	v_addc_co_u32_e32 v3, vcc, v33, v3, vcc
	s_waitcnt lgkmcnt(6)
	global_store_dword v[2:3], v15, off
	s_or_b64 exec, exec, s[4:5]
	v_cmp_gt_u32_e32 vcc, s33, v32
	s_and_saveexec_b64 s[4:5], vcc
	s_cbranch_execnz .LBB1631_170
.LBB1631_139:
	s_or_b64 exec, exec, s[4:5]
	v_cmp_gt_u32_e32 vcc, s33, v30
	s_and_saveexec_b64 s[4:5], vcc
	s_cbranch_execz .LBB1631_175
.LBB1631_140:
	v_cmp_ge_u32_e32 vcc, v30, v1
                                        ; implicit-def: $vgpr2_vgpr3
	s_and_saveexec_b64 s[6:7], vcc
	s_xor_b64 s[6:7], exec, s[6:7]
; %bb.141:
	v_xor_b32_e32 v2, 0xfffffdff, v0
	v_ashrrev_i32_e32 v3, 31, v2
	v_add_co_u32_e32 v2, vcc, v25, v2
	v_addc_co_u32_e32 v3, vcc, v31, v3, vcc
                                        ; implicit-def: $vgpr30
; %bb.142:
	s_andn2_saveexec_b64 s[6:7], s[6:7]
; %bb.143:
	v_add_co_u32_e32 v2, vcc, v17, v30
	v_addc_co_u32_e32 v3, vcc, 0, v4, vcc
; %bb.144:
	s_or_b64 exec, exec, s[6:7]
	v_lshlrev_b64 v[2:3], 2, v[2:3]
	s_waitcnt lgkmcnt(6)
	v_mov_b32_e32 v15, s23
	v_add_co_u32_e32 v2, vcc, s22, v2
	v_addc_co_u32_e32 v3, vcc, v15, v3, vcc
	s_waitcnt lgkmcnt(5)
	global_store_dword v[2:3], v13, off
	s_or_b64 exec, exec, s[4:5]
	v_cmp_gt_u32_e32 vcc, s33, v29
	s_and_saveexec_b64 s[4:5], vcc
	s_cbranch_execnz .LBB1631_176
.LBB1631_145:
	s_or_b64 exec, exec, s[4:5]
	v_cmp_gt_u32_e32 vcc, s33, v28
	s_and_saveexec_b64 s[4:5], vcc
	s_cbranch_execz .LBB1631_181
.LBB1631_146:
	v_cmp_ge_u32_e32 vcc, v28, v1
                                        ; implicit-def: $vgpr2_vgpr3
	s_and_saveexec_b64 s[6:7], vcc
	s_xor_b64 s[6:7], exec, s[6:7]
; %bb.147:
	v_xor_b32_e32 v2, 0xfffffbff, v0
	v_ashrrev_i32_e32 v3, 31, v2
	v_add_co_u32_e32 v2, vcc, v25, v2
	v_addc_co_u32_e32 v3, vcc, v31, v3, vcc
                                        ; implicit-def: $vgpr28
; %bb.148:
	s_andn2_saveexec_b64 s[6:7], s[6:7]
; %bb.149:
	v_add_co_u32_e32 v2, vcc, v17, v28
	v_addc_co_u32_e32 v3, vcc, 0, v4, vcc
; %bb.150:
	s_or_b64 exec, exec, s[6:7]
	v_lshlrev_b64 v[2:3], 2, v[2:3]
	s_waitcnt lgkmcnt(5)
	v_mov_b32_e32 v13, s23
	v_add_co_u32_e32 v2, vcc, s22, v2
	v_addc_co_u32_e32 v3, vcc, v13, v3, vcc
	s_waitcnt lgkmcnt(4)
	global_store_dword v[2:3], v11, off
	s_or_b64 exec, exec, s[4:5]
	v_cmp_gt_u32_e32 vcc, s33, v27
	s_and_saveexec_b64 s[4:5], vcc
	s_cbranch_execnz .LBB1631_182
.LBB1631_151:
	s_or_b64 exec, exec, s[4:5]
	v_cmp_gt_u32_e32 vcc, s33, v26
	s_and_saveexec_b64 s[4:5], vcc
	s_cbranch_execz .LBB1631_187
.LBB1631_152:
	v_cmp_ge_u32_e32 vcc, v26, v1
                                        ; implicit-def: $vgpr2_vgpr3
	s_and_saveexec_b64 s[6:7], vcc
	s_xor_b64 s[6:7], exec, s[6:7]
; %bb.153:
	v_xor_b32_e32 v2, 0xfffff9ff, v0
	v_ashrrev_i32_e32 v3, 31, v2
	v_add_co_u32_e32 v2, vcc, v25, v2
	v_addc_co_u32_e32 v3, vcc, v31, v3, vcc
                                        ; implicit-def: $vgpr26
; %bb.154:
	s_andn2_saveexec_b64 s[6:7], s[6:7]
; %bb.155:
	v_add_co_u32_e32 v2, vcc, v17, v26
	v_addc_co_u32_e32 v3, vcc, 0, v4, vcc
; %bb.156:
	s_or_b64 exec, exec, s[6:7]
	v_lshlrev_b64 v[2:3], 2, v[2:3]
	s_waitcnt lgkmcnt(4)
	v_mov_b32_e32 v11, s23
	v_add_co_u32_e32 v2, vcc, s22, v2
	v_addc_co_u32_e32 v3, vcc, v11, v3, vcc
	s_waitcnt lgkmcnt(3)
	global_store_dword v[2:3], v9, off
	s_or_b64 exec, exec, s[4:5]
	v_cmp_gt_u32_e32 vcc, s33, v24
	s_and_saveexec_b64 s[4:5], vcc
	s_cbranch_execnz .LBB1631_188
.LBB1631_157:
	s_or_b64 exec, exec, s[4:5]
	v_cmp_gt_u32_e32 vcc, s33, v23
	s_and_saveexec_b64 s[4:5], vcc
	s_cbranch_execz .LBB1631_193
.LBB1631_158:
	v_cmp_ge_u32_e32 vcc, v23, v1
                                        ; implicit-def: $vgpr2_vgpr3
	s_and_saveexec_b64 s[6:7], vcc
	s_xor_b64 s[6:7], exec, s[6:7]
; %bb.159:
	v_xor_b32_e32 v2, 0xfffff7ff, v0
	v_ashrrev_i32_e32 v3, 31, v2
	v_add_co_u32_e32 v2, vcc, v25, v2
	v_addc_co_u32_e32 v3, vcc, v31, v3, vcc
                                        ; implicit-def: $vgpr23
; %bb.160:
	s_andn2_saveexec_b64 s[6:7], s[6:7]
; %bb.161:
	v_add_co_u32_e32 v2, vcc, v17, v23
	v_addc_co_u32_e32 v3, vcc, 0, v4, vcc
; %bb.162:
	s_or_b64 exec, exec, s[6:7]
	v_lshlrev_b64 v[2:3], 2, v[2:3]
	s_waitcnt lgkmcnt(3)
	v_mov_b32_e32 v9, s23
	v_add_co_u32_e32 v2, vcc, s22, v2
	v_addc_co_u32_e32 v3, vcc, v9, v3, vcc
	s_waitcnt lgkmcnt(2)
	global_store_dword v[2:3], v7, off
	s_or_b64 exec, exec, s[4:5]
	v_cmp_gt_u32_e32 vcc, s33, v22
	s_and_saveexec_b64 s[4:5], vcc
	s_cbranch_execnz .LBB1631_194
.LBB1631_163:
	s_or_b64 exec, exec, s[4:5]
	v_cmp_gt_u32_e32 vcc, s33, v21
	s_and_saveexec_b64 s[4:5], vcc
	s_cbranch_execz .LBB1631_199
.LBB1631_164:
	v_cmp_ge_u32_e32 vcc, v21, v1
                                        ; implicit-def: $vgpr2_vgpr3
	s_and_saveexec_b64 s[6:7], vcc
	s_xor_b64 s[6:7], exec, s[6:7]
; %bb.165:
	v_xor_b32_e32 v2, 0xfffff5ff, v0
	v_ashrrev_i32_e32 v3, 31, v2
	v_add_co_u32_e32 v2, vcc, v25, v2
	v_addc_co_u32_e32 v3, vcc, v31, v3, vcc
                                        ; implicit-def: $vgpr21
; %bb.166:
	s_andn2_saveexec_b64 s[6:7], s[6:7]
; %bb.167:
	v_add_co_u32_e32 v2, vcc, v17, v21
	v_addc_co_u32_e32 v3, vcc, 0, v4, vcc
; %bb.168:
	s_or_b64 exec, exec, s[6:7]
	v_lshlrev_b64 v[2:3], 2, v[2:3]
	s_waitcnt lgkmcnt(2)
	v_mov_b32_e32 v7, s23
	v_add_co_u32_e32 v2, vcc, s22, v2
	v_addc_co_u32_e32 v3, vcc, v7, v3, vcc
	s_waitcnt lgkmcnt(1)
	global_store_dword v[2:3], v5, off
	s_or_b64 exec, exec, s[4:5]
	v_cmp_gt_u32_e32 vcc, s33, v20
	s_and_saveexec_b64 s[4:5], vcc
	s_cbranch_execz .LBB1631_205
	s_branch .LBB1631_200
.LBB1631_169:
	s_or_b64 exec, exec, s[4:5]
	v_cmp_gt_u32_e32 vcc, s33, v32
	s_and_saveexec_b64 s[4:5], vcc
	s_cbranch_execz .LBB1631_139
.LBB1631_170:
	v_cmp_ge_u32_e32 vcc, v32, v1
                                        ; implicit-def: $vgpr2_vgpr3
	s_and_saveexec_b64 s[6:7], vcc
	s_xor_b64 s[6:7], exec, s[6:7]
; %bb.171:
	v_xor_b32_e32 v2, 0xfffffeff, v0
	v_ashrrev_i32_e32 v3, 31, v2
	v_add_co_u32_e32 v2, vcc, v25, v2
	v_addc_co_u32_e32 v3, vcc, v31, v3, vcc
                                        ; implicit-def: $vgpr32
; %bb.172:
	s_andn2_saveexec_b64 s[6:7], s[6:7]
; %bb.173:
	v_add_co_u32_e32 v2, vcc, v17, v32
	v_addc_co_u32_e32 v3, vcc, 0, v4, vcc
; %bb.174:
	s_or_b64 exec, exec, s[6:7]
	v_lshlrev_b64 v[2:3], 2, v[2:3]
	s_waitcnt lgkmcnt(6)
	v_mov_b32_e32 v15, s23
	v_add_co_u32_e32 v2, vcc, s22, v2
	v_addc_co_u32_e32 v3, vcc, v15, v3, vcc
	global_store_dword v[2:3], v16, off
	s_or_b64 exec, exec, s[4:5]
	v_cmp_gt_u32_e32 vcc, s33, v30
	s_and_saveexec_b64 s[4:5], vcc
	s_cbranch_execnz .LBB1631_140
.LBB1631_175:
	s_or_b64 exec, exec, s[4:5]
	v_cmp_gt_u32_e32 vcc, s33, v29
	s_and_saveexec_b64 s[4:5], vcc
	s_cbranch_execz .LBB1631_145
.LBB1631_176:
	v_cmp_ge_u32_e32 vcc, v29, v1
                                        ; implicit-def: $vgpr2_vgpr3
	s_and_saveexec_b64 s[6:7], vcc
	s_xor_b64 s[6:7], exec, s[6:7]
; %bb.177:
	v_xor_b32_e32 v2, 0xfffffcff, v0
	v_ashrrev_i32_e32 v3, 31, v2
	v_add_co_u32_e32 v2, vcc, v25, v2
	v_addc_co_u32_e32 v3, vcc, v31, v3, vcc
                                        ; implicit-def: $vgpr29
; %bb.178:
	s_andn2_saveexec_b64 s[6:7], s[6:7]
; %bb.179:
	v_add_co_u32_e32 v2, vcc, v17, v29
	v_addc_co_u32_e32 v3, vcc, 0, v4, vcc
; %bb.180:
	s_or_b64 exec, exec, s[6:7]
	v_lshlrev_b64 v[2:3], 2, v[2:3]
	s_waitcnt lgkmcnt(5)
	v_mov_b32_e32 v13, s23
	v_add_co_u32_e32 v2, vcc, s22, v2
	v_addc_co_u32_e32 v3, vcc, v13, v3, vcc
	global_store_dword v[2:3], v14, off
	s_or_b64 exec, exec, s[4:5]
	v_cmp_gt_u32_e32 vcc, s33, v28
	s_and_saveexec_b64 s[4:5], vcc
	s_cbranch_execnz .LBB1631_146
.LBB1631_181:
	s_or_b64 exec, exec, s[4:5]
	v_cmp_gt_u32_e32 vcc, s33, v27
	s_and_saveexec_b64 s[4:5], vcc
	s_cbranch_execz .LBB1631_151
.LBB1631_182:
	v_cmp_ge_u32_e32 vcc, v27, v1
                                        ; implicit-def: $vgpr2_vgpr3
	s_and_saveexec_b64 s[6:7], vcc
	s_xor_b64 s[6:7], exec, s[6:7]
; %bb.183:
	v_xor_b32_e32 v2, 0xfffffaff, v0
	v_ashrrev_i32_e32 v3, 31, v2
	v_add_co_u32_e32 v2, vcc, v25, v2
	v_addc_co_u32_e32 v3, vcc, v31, v3, vcc
                                        ; implicit-def: $vgpr27
; %bb.184:
	s_andn2_saveexec_b64 s[6:7], s[6:7]
; %bb.185:
	v_add_co_u32_e32 v2, vcc, v17, v27
	v_addc_co_u32_e32 v3, vcc, 0, v4, vcc
; %bb.186:
	s_or_b64 exec, exec, s[6:7]
	v_lshlrev_b64 v[2:3], 2, v[2:3]
	s_waitcnt lgkmcnt(4)
	v_mov_b32_e32 v11, s23
	v_add_co_u32_e32 v2, vcc, s22, v2
	v_addc_co_u32_e32 v3, vcc, v11, v3, vcc
	global_store_dword v[2:3], v12, off
	s_or_b64 exec, exec, s[4:5]
	v_cmp_gt_u32_e32 vcc, s33, v26
	s_and_saveexec_b64 s[4:5], vcc
	s_cbranch_execnz .LBB1631_152
.LBB1631_187:
	s_or_b64 exec, exec, s[4:5]
	v_cmp_gt_u32_e32 vcc, s33, v24
	s_and_saveexec_b64 s[4:5], vcc
	s_cbranch_execz .LBB1631_157
.LBB1631_188:
	v_cmp_ge_u32_e32 vcc, v24, v1
                                        ; implicit-def: $vgpr2_vgpr3
	s_and_saveexec_b64 s[6:7], vcc
	s_xor_b64 s[6:7], exec, s[6:7]
; %bb.189:
	v_xor_b32_e32 v2, 0xfffff8ff, v0
	v_ashrrev_i32_e32 v3, 31, v2
	v_add_co_u32_e32 v2, vcc, v25, v2
	v_addc_co_u32_e32 v3, vcc, v31, v3, vcc
                                        ; implicit-def: $vgpr24
; %bb.190:
	s_andn2_saveexec_b64 s[6:7], s[6:7]
; %bb.191:
	v_add_co_u32_e32 v2, vcc, v17, v24
	v_addc_co_u32_e32 v3, vcc, 0, v4, vcc
; %bb.192:
	s_or_b64 exec, exec, s[6:7]
	v_lshlrev_b64 v[2:3], 2, v[2:3]
	s_waitcnt lgkmcnt(3)
	v_mov_b32_e32 v9, s23
	v_add_co_u32_e32 v2, vcc, s22, v2
	v_addc_co_u32_e32 v3, vcc, v9, v3, vcc
	global_store_dword v[2:3], v10, off
	s_or_b64 exec, exec, s[4:5]
	v_cmp_gt_u32_e32 vcc, s33, v23
	s_and_saveexec_b64 s[4:5], vcc
	s_cbranch_execnz .LBB1631_158
.LBB1631_193:
	s_or_b64 exec, exec, s[4:5]
	v_cmp_gt_u32_e32 vcc, s33, v22
	s_and_saveexec_b64 s[4:5], vcc
	s_cbranch_execz .LBB1631_163
.LBB1631_194:
	v_cmp_ge_u32_e32 vcc, v22, v1
                                        ; implicit-def: $vgpr2_vgpr3
	s_and_saveexec_b64 s[6:7], vcc
	s_xor_b64 s[6:7], exec, s[6:7]
; %bb.195:
	v_xor_b32_e32 v2, 0xfffff6ff, v0
	v_ashrrev_i32_e32 v3, 31, v2
	v_add_co_u32_e32 v2, vcc, v25, v2
	v_addc_co_u32_e32 v3, vcc, v31, v3, vcc
                                        ; implicit-def: $vgpr22
; %bb.196:
	s_andn2_saveexec_b64 s[6:7], s[6:7]
; %bb.197:
	v_add_co_u32_e32 v2, vcc, v17, v22
	v_addc_co_u32_e32 v3, vcc, 0, v4, vcc
; %bb.198:
	s_or_b64 exec, exec, s[6:7]
	v_lshlrev_b64 v[2:3], 2, v[2:3]
	s_waitcnt lgkmcnt(2)
	v_mov_b32_e32 v7, s23
	v_add_co_u32_e32 v2, vcc, s22, v2
	v_addc_co_u32_e32 v3, vcc, v7, v3, vcc
	global_store_dword v[2:3], v8, off
	s_or_b64 exec, exec, s[4:5]
	v_cmp_gt_u32_e32 vcc, s33, v21
	s_and_saveexec_b64 s[4:5], vcc
	s_cbranch_execnz .LBB1631_164
.LBB1631_199:
	s_or_b64 exec, exec, s[4:5]
	v_cmp_gt_u32_e32 vcc, s33, v20
	s_and_saveexec_b64 s[4:5], vcc
	s_cbranch_execz .LBB1631_205
.LBB1631_200:
	v_cmp_ge_u32_e32 vcc, v20, v1
                                        ; implicit-def: $vgpr2_vgpr3
	s_and_saveexec_b64 s[6:7], vcc
	s_xor_b64 s[6:7], exec, s[6:7]
; %bb.201:
	v_xor_b32_e32 v2, 0xfffff4ff, v0
	v_ashrrev_i32_e32 v3, 31, v2
	v_add_co_u32_e32 v2, vcc, v25, v2
	v_addc_co_u32_e32 v3, vcc, v31, v3, vcc
                                        ; implicit-def: $vgpr20
; %bb.202:
	s_andn2_saveexec_b64 s[6:7], s[6:7]
; %bb.203:
	v_add_co_u32_e32 v2, vcc, v17, v20
	v_addc_co_u32_e32 v3, vcc, 0, v4, vcc
; %bb.204:
	s_or_b64 exec, exec, s[6:7]
	v_lshlrev_b64 v[2:3], 2, v[2:3]
	s_waitcnt lgkmcnt(1)
	v_mov_b32_e32 v5, s23
	v_add_co_u32_e32 v2, vcc, s22, v2
	v_addc_co_u32_e32 v3, vcc, v5, v3, vcc
	global_store_dword v[2:3], v6, off
.LBB1631_205:
	s_or_b64 exec, exec, s[4:5]
	v_cmp_gt_u32_e32 vcc, s33, v19
                                        ; implicit-def: $vgpr2_vgpr3
	s_and_saveexec_b64 s[4:5], vcc
	s_cbranch_execz .LBB1631_211
; %bb.206:
	v_cmp_ge_u32_e32 vcc, v19, v1
                                        ; implicit-def: $vgpr2_vgpr3
	s_and_saveexec_b64 s[6:7], vcc
	s_xor_b64 s[6:7], exec, s[6:7]
; %bb.207:
	v_xor_b32_e32 v0, 0xfffff3ff, v0
	v_ashrrev_i32_e32 v3, 31, v0
	v_add_co_u32_e32 v2, vcc, v25, v0
	v_addc_co_u32_e32 v3, vcc, v31, v3, vcc
                                        ; implicit-def: $vgpr19
; %bb.208:
	s_andn2_saveexec_b64 s[6:7], s[6:7]
; %bb.209:
	v_add_co_u32_e32 v2, vcc, v17, v19
	v_addc_co_u32_e32 v3, vcc, 0, v4, vcc
; %bb.210:
	s_or_b64 exec, exec, s[6:7]
	s_or_b64 s[2:3], s[2:3], exec
.LBB1631_211:
	s_or_b64 exec, exec, s[4:5]
	s_and_saveexec_b64 s[4:5], s[2:3]
	s_cbranch_execnz .LBB1631_130
.LBB1631_212:
	s_or_b64 exec, exec, s[4:5]
	s_and_b64 s[0:1], s[0:1], s[26:27]
	s_and_saveexec_b64 s[2:3], s[0:1]
	s_cbranch_execz .LBB1631_131
.LBB1631_213:
	v_add_co_u32_e32 v0, vcc, v17, v1
	v_mov_b32_e32 v2, 0
	v_addc_co_u32_e32 v1, vcc, 0, v4, vcc
	global_store_dwordx2 v2, v[0:1], s[24:25]
	s_endpgm
	.section	.rodata,"a",@progbits
	.p2align	6, 0x0
	.amdhsa_kernel _ZN7rocprim17ROCPRIM_400000_NS6detail17trampoline_kernelINS0_13select_configILj256ELj13ELNS0_17block_load_methodE3ELS4_3ELS4_3ELNS0_20block_scan_algorithmE0ELj4294967295EEENS1_25partition_config_selectorILNS1_17partition_subalgoE3EjNS0_10empty_typeEbEEZZNS1_14partition_implILS8_3ELb0ES6_jNS0_17counting_iteratorIjlEEPS9_SE_NS0_5tupleIJPjSE_EEENSF_IJSE_SE_EEES9_SG_JZNS1_25segmented_radix_sort_implINS0_14default_configELb0EPKbPbPKlPlN2at6native12_GLOBAL__N_18offset_tEEE10hipError_tPvRmT1_PNSt15iterator_traitsISY_E10value_typeET2_T3_PNSZ_IS14_E10value_typeET4_jRbjT5_S1A_jjP12ihipStream_tbEUljE_EEESV_SW_SX_S14_S18_S1A_T6_T7_T9_mT8_S1C_bDpT10_ENKUlT_T0_E_clISt17integral_constantIbLb0EES1O_IbLb1EEEEDaS1K_S1L_EUlS1K_E_NS1_11comp_targetILNS1_3genE2ELNS1_11target_archE906ELNS1_3gpuE6ELNS1_3repE0EEENS1_30default_config_static_selectorELNS0_4arch9wavefront6targetE1EEEvSY_
		.amdhsa_group_segment_fixed_size 13320
		.amdhsa_private_segment_fixed_size 0
		.amdhsa_kernarg_size 152
		.amdhsa_user_sgpr_count 6
		.amdhsa_user_sgpr_private_segment_buffer 1
		.amdhsa_user_sgpr_dispatch_ptr 0
		.amdhsa_user_sgpr_queue_ptr 0
		.amdhsa_user_sgpr_kernarg_segment_ptr 1
		.amdhsa_user_sgpr_dispatch_id 0
		.amdhsa_user_sgpr_flat_scratch_init 0
		.amdhsa_user_sgpr_private_segment_size 0
		.amdhsa_uses_dynamic_stack 0
		.amdhsa_system_sgpr_private_segment_wavefront_offset 0
		.amdhsa_system_sgpr_workgroup_id_x 1
		.amdhsa_system_sgpr_workgroup_id_y 0
		.amdhsa_system_sgpr_workgroup_id_z 0
		.amdhsa_system_sgpr_workgroup_info 0
		.amdhsa_system_vgpr_workitem_id 0
		.amdhsa_next_free_vgpr 71
		.amdhsa_next_free_sgpr 98
		.amdhsa_reserve_vcc 1
		.amdhsa_reserve_flat_scratch 0
		.amdhsa_float_round_mode_32 0
		.amdhsa_float_round_mode_16_64 0
		.amdhsa_float_denorm_mode_32 3
		.amdhsa_float_denorm_mode_16_64 3
		.amdhsa_dx10_clamp 1
		.amdhsa_ieee_mode 1
		.amdhsa_fp16_overflow 0
		.amdhsa_exception_fp_ieee_invalid_op 0
		.amdhsa_exception_fp_denorm_src 0
		.amdhsa_exception_fp_ieee_div_zero 0
		.amdhsa_exception_fp_ieee_overflow 0
		.amdhsa_exception_fp_ieee_underflow 0
		.amdhsa_exception_fp_ieee_inexact 0
		.amdhsa_exception_int_div_zero 0
	.end_amdhsa_kernel
	.section	.text._ZN7rocprim17ROCPRIM_400000_NS6detail17trampoline_kernelINS0_13select_configILj256ELj13ELNS0_17block_load_methodE3ELS4_3ELS4_3ELNS0_20block_scan_algorithmE0ELj4294967295EEENS1_25partition_config_selectorILNS1_17partition_subalgoE3EjNS0_10empty_typeEbEEZZNS1_14partition_implILS8_3ELb0ES6_jNS0_17counting_iteratorIjlEEPS9_SE_NS0_5tupleIJPjSE_EEENSF_IJSE_SE_EEES9_SG_JZNS1_25segmented_radix_sort_implINS0_14default_configELb0EPKbPbPKlPlN2at6native12_GLOBAL__N_18offset_tEEE10hipError_tPvRmT1_PNSt15iterator_traitsISY_E10value_typeET2_T3_PNSZ_IS14_E10value_typeET4_jRbjT5_S1A_jjP12ihipStream_tbEUljE_EEESV_SW_SX_S14_S18_S1A_T6_T7_T9_mT8_S1C_bDpT10_ENKUlT_T0_E_clISt17integral_constantIbLb0EES1O_IbLb1EEEEDaS1K_S1L_EUlS1K_E_NS1_11comp_targetILNS1_3genE2ELNS1_11target_archE906ELNS1_3gpuE6ELNS1_3repE0EEENS1_30default_config_static_selectorELNS0_4arch9wavefront6targetE1EEEvSY_,"axG",@progbits,_ZN7rocprim17ROCPRIM_400000_NS6detail17trampoline_kernelINS0_13select_configILj256ELj13ELNS0_17block_load_methodE3ELS4_3ELS4_3ELNS0_20block_scan_algorithmE0ELj4294967295EEENS1_25partition_config_selectorILNS1_17partition_subalgoE3EjNS0_10empty_typeEbEEZZNS1_14partition_implILS8_3ELb0ES6_jNS0_17counting_iteratorIjlEEPS9_SE_NS0_5tupleIJPjSE_EEENSF_IJSE_SE_EEES9_SG_JZNS1_25segmented_radix_sort_implINS0_14default_configELb0EPKbPbPKlPlN2at6native12_GLOBAL__N_18offset_tEEE10hipError_tPvRmT1_PNSt15iterator_traitsISY_E10value_typeET2_T3_PNSZ_IS14_E10value_typeET4_jRbjT5_S1A_jjP12ihipStream_tbEUljE_EEESV_SW_SX_S14_S18_S1A_T6_T7_T9_mT8_S1C_bDpT10_ENKUlT_T0_E_clISt17integral_constantIbLb0EES1O_IbLb1EEEEDaS1K_S1L_EUlS1K_E_NS1_11comp_targetILNS1_3genE2ELNS1_11target_archE906ELNS1_3gpuE6ELNS1_3repE0EEENS1_30default_config_static_selectorELNS0_4arch9wavefront6targetE1EEEvSY_,comdat
.Lfunc_end1631:
	.size	_ZN7rocprim17ROCPRIM_400000_NS6detail17trampoline_kernelINS0_13select_configILj256ELj13ELNS0_17block_load_methodE3ELS4_3ELS4_3ELNS0_20block_scan_algorithmE0ELj4294967295EEENS1_25partition_config_selectorILNS1_17partition_subalgoE3EjNS0_10empty_typeEbEEZZNS1_14partition_implILS8_3ELb0ES6_jNS0_17counting_iteratorIjlEEPS9_SE_NS0_5tupleIJPjSE_EEENSF_IJSE_SE_EEES9_SG_JZNS1_25segmented_radix_sort_implINS0_14default_configELb0EPKbPbPKlPlN2at6native12_GLOBAL__N_18offset_tEEE10hipError_tPvRmT1_PNSt15iterator_traitsISY_E10value_typeET2_T3_PNSZ_IS14_E10value_typeET4_jRbjT5_S1A_jjP12ihipStream_tbEUljE_EEESV_SW_SX_S14_S18_S1A_T6_T7_T9_mT8_S1C_bDpT10_ENKUlT_T0_E_clISt17integral_constantIbLb0EES1O_IbLb1EEEEDaS1K_S1L_EUlS1K_E_NS1_11comp_targetILNS1_3genE2ELNS1_11target_archE906ELNS1_3gpuE6ELNS1_3repE0EEENS1_30default_config_static_selectorELNS0_4arch9wavefront6targetE1EEEvSY_, .Lfunc_end1631-_ZN7rocprim17ROCPRIM_400000_NS6detail17trampoline_kernelINS0_13select_configILj256ELj13ELNS0_17block_load_methodE3ELS4_3ELS4_3ELNS0_20block_scan_algorithmE0ELj4294967295EEENS1_25partition_config_selectorILNS1_17partition_subalgoE3EjNS0_10empty_typeEbEEZZNS1_14partition_implILS8_3ELb0ES6_jNS0_17counting_iteratorIjlEEPS9_SE_NS0_5tupleIJPjSE_EEENSF_IJSE_SE_EEES9_SG_JZNS1_25segmented_radix_sort_implINS0_14default_configELb0EPKbPbPKlPlN2at6native12_GLOBAL__N_18offset_tEEE10hipError_tPvRmT1_PNSt15iterator_traitsISY_E10value_typeET2_T3_PNSZ_IS14_E10value_typeET4_jRbjT5_S1A_jjP12ihipStream_tbEUljE_EEESV_SW_SX_S14_S18_S1A_T6_T7_T9_mT8_S1C_bDpT10_ENKUlT_T0_E_clISt17integral_constantIbLb0EES1O_IbLb1EEEEDaS1K_S1L_EUlS1K_E_NS1_11comp_targetILNS1_3genE2ELNS1_11target_archE906ELNS1_3gpuE6ELNS1_3repE0EEENS1_30default_config_static_selectorELNS0_4arch9wavefront6targetE1EEEvSY_
                                        ; -- End function
	.set _ZN7rocprim17ROCPRIM_400000_NS6detail17trampoline_kernelINS0_13select_configILj256ELj13ELNS0_17block_load_methodE3ELS4_3ELS4_3ELNS0_20block_scan_algorithmE0ELj4294967295EEENS1_25partition_config_selectorILNS1_17partition_subalgoE3EjNS0_10empty_typeEbEEZZNS1_14partition_implILS8_3ELb0ES6_jNS0_17counting_iteratorIjlEEPS9_SE_NS0_5tupleIJPjSE_EEENSF_IJSE_SE_EEES9_SG_JZNS1_25segmented_radix_sort_implINS0_14default_configELb0EPKbPbPKlPlN2at6native12_GLOBAL__N_18offset_tEEE10hipError_tPvRmT1_PNSt15iterator_traitsISY_E10value_typeET2_T3_PNSZ_IS14_E10value_typeET4_jRbjT5_S1A_jjP12ihipStream_tbEUljE_EEESV_SW_SX_S14_S18_S1A_T6_T7_T9_mT8_S1C_bDpT10_ENKUlT_T0_E_clISt17integral_constantIbLb0EES1O_IbLb1EEEEDaS1K_S1L_EUlS1K_E_NS1_11comp_targetILNS1_3genE2ELNS1_11target_archE906ELNS1_3gpuE6ELNS1_3repE0EEENS1_30default_config_static_selectorELNS0_4arch9wavefront6targetE1EEEvSY_.num_vgpr, 71
	.set _ZN7rocprim17ROCPRIM_400000_NS6detail17trampoline_kernelINS0_13select_configILj256ELj13ELNS0_17block_load_methodE3ELS4_3ELS4_3ELNS0_20block_scan_algorithmE0ELj4294967295EEENS1_25partition_config_selectorILNS1_17partition_subalgoE3EjNS0_10empty_typeEbEEZZNS1_14partition_implILS8_3ELb0ES6_jNS0_17counting_iteratorIjlEEPS9_SE_NS0_5tupleIJPjSE_EEENSF_IJSE_SE_EEES9_SG_JZNS1_25segmented_radix_sort_implINS0_14default_configELb0EPKbPbPKlPlN2at6native12_GLOBAL__N_18offset_tEEE10hipError_tPvRmT1_PNSt15iterator_traitsISY_E10value_typeET2_T3_PNSZ_IS14_E10value_typeET4_jRbjT5_S1A_jjP12ihipStream_tbEUljE_EEESV_SW_SX_S14_S18_S1A_T6_T7_T9_mT8_S1C_bDpT10_ENKUlT_T0_E_clISt17integral_constantIbLb0EES1O_IbLb1EEEEDaS1K_S1L_EUlS1K_E_NS1_11comp_targetILNS1_3genE2ELNS1_11target_archE906ELNS1_3gpuE6ELNS1_3repE0EEENS1_30default_config_static_selectorELNS0_4arch9wavefront6targetE1EEEvSY_.num_agpr, 0
	.set _ZN7rocprim17ROCPRIM_400000_NS6detail17trampoline_kernelINS0_13select_configILj256ELj13ELNS0_17block_load_methodE3ELS4_3ELS4_3ELNS0_20block_scan_algorithmE0ELj4294967295EEENS1_25partition_config_selectorILNS1_17partition_subalgoE3EjNS0_10empty_typeEbEEZZNS1_14partition_implILS8_3ELb0ES6_jNS0_17counting_iteratorIjlEEPS9_SE_NS0_5tupleIJPjSE_EEENSF_IJSE_SE_EEES9_SG_JZNS1_25segmented_radix_sort_implINS0_14default_configELb0EPKbPbPKlPlN2at6native12_GLOBAL__N_18offset_tEEE10hipError_tPvRmT1_PNSt15iterator_traitsISY_E10value_typeET2_T3_PNSZ_IS14_E10value_typeET4_jRbjT5_S1A_jjP12ihipStream_tbEUljE_EEESV_SW_SX_S14_S18_S1A_T6_T7_T9_mT8_S1C_bDpT10_ENKUlT_T0_E_clISt17integral_constantIbLb0EES1O_IbLb1EEEEDaS1K_S1L_EUlS1K_E_NS1_11comp_targetILNS1_3genE2ELNS1_11target_archE906ELNS1_3gpuE6ELNS1_3repE0EEENS1_30default_config_static_selectorELNS0_4arch9wavefront6targetE1EEEvSY_.numbered_sgpr, 46
	.set _ZN7rocprim17ROCPRIM_400000_NS6detail17trampoline_kernelINS0_13select_configILj256ELj13ELNS0_17block_load_methodE3ELS4_3ELS4_3ELNS0_20block_scan_algorithmE0ELj4294967295EEENS1_25partition_config_selectorILNS1_17partition_subalgoE3EjNS0_10empty_typeEbEEZZNS1_14partition_implILS8_3ELb0ES6_jNS0_17counting_iteratorIjlEEPS9_SE_NS0_5tupleIJPjSE_EEENSF_IJSE_SE_EEES9_SG_JZNS1_25segmented_radix_sort_implINS0_14default_configELb0EPKbPbPKlPlN2at6native12_GLOBAL__N_18offset_tEEE10hipError_tPvRmT1_PNSt15iterator_traitsISY_E10value_typeET2_T3_PNSZ_IS14_E10value_typeET4_jRbjT5_S1A_jjP12ihipStream_tbEUljE_EEESV_SW_SX_S14_S18_S1A_T6_T7_T9_mT8_S1C_bDpT10_ENKUlT_T0_E_clISt17integral_constantIbLb0EES1O_IbLb1EEEEDaS1K_S1L_EUlS1K_E_NS1_11comp_targetILNS1_3genE2ELNS1_11target_archE906ELNS1_3gpuE6ELNS1_3repE0EEENS1_30default_config_static_selectorELNS0_4arch9wavefront6targetE1EEEvSY_.num_named_barrier, 0
	.set _ZN7rocprim17ROCPRIM_400000_NS6detail17trampoline_kernelINS0_13select_configILj256ELj13ELNS0_17block_load_methodE3ELS4_3ELS4_3ELNS0_20block_scan_algorithmE0ELj4294967295EEENS1_25partition_config_selectorILNS1_17partition_subalgoE3EjNS0_10empty_typeEbEEZZNS1_14partition_implILS8_3ELb0ES6_jNS0_17counting_iteratorIjlEEPS9_SE_NS0_5tupleIJPjSE_EEENSF_IJSE_SE_EEES9_SG_JZNS1_25segmented_radix_sort_implINS0_14default_configELb0EPKbPbPKlPlN2at6native12_GLOBAL__N_18offset_tEEE10hipError_tPvRmT1_PNSt15iterator_traitsISY_E10value_typeET2_T3_PNSZ_IS14_E10value_typeET4_jRbjT5_S1A_jjP12ihipStream_tbEUljE_EEESV_SW_SX_S14_S18_S1A_T6_T7_T9_mT8_S1C_bDpT10_ENKUlT_T0_E_clISt17integral_constantIbLb0EES1O_IbLb1EEEEDaS1K_S1L_EUlS1K_E_NS1_11comp_targetILNS1_3genE2ELNS1_11target_archE906ELNS1_3gpuE6ELNS1_3repE0EEENS1_30default_config_static_selectorELNS0_4arch9wavefront6targetE1EEEvSY_.private_seg_size, 0
	.set _ZN7rocprim17ROCPRIM_400000_NS6detail17trampoline_kernelINS0_13select_configILj256ELj13ELNS0_17block_load_methodE3ELS4_3ELS4_3ELNS0_20block_scan_algorithmE0ELj4294967295EEENS1_25partition_config_selectorILNS1_17partition_subalgoE3EjNS0_10empty_typeEbEEZZNS1_14partition_implILS8_3ELb0ES6_jNS0_17counting_iteratorIjlEEPS9_SE_NS0_5tupleIJPjSE_EEENSF_IJSE_SE_EEES9_SG_JZNS1_25segmented_radix_sort_implINS0_14default_configELb0EPKbPbPKlPlN2at6native12_GLOBAL__N_18offset_tEEE10hipError_tPvRmT1_PNSt15iterator_traitsISY_E10value_typeET2_T3_PNSZ_IS14_E10value_typeET4_jRbjT5_S1A_jjP12ihipStream_tbEUljE_EEESV_SW_SX_S14_S18_S1A_T6_T7_T9_mT8_S1C_bDpT10_ENKUlT_T0_E_clISt17integral_constantIbLb0EES1O_IbLb1EEEEDaS1K_S1L_EUlS1K_E_NS1_11comp_targetILNS1_3genE2ELNS1_11target_archE906ELNS1_3gpuE6ELNS1_3repE0EEENS1_30default_config_static_selectorELNS0_4arch9wavefront6targetE1EEEvSY_.uses_vcc, 1
	.set _ZN7rocprim17ROCPRIM_400000_NS6detail17trampoline_kernelINS0_13select_configILj256ELj13ELNS0_17block_load_methodE3ELS4_3ELS4_3ELNS0_20block_scan_algorithmE0ELj4294967295EEENS1_25partition_config_selectorILNS1_17partition_subalgoE3EjNS0_10empty_typeEbEEZZNS1_14partition_implILS8_3ELb0ES6_jNS0_17counting_iteratorIjlEEPS9_SE_NS0_5tupleIJPjSE_EEENSF_IJSE_SE_EEES9_SG_JZNS1_25segmented_radix_sort_implINS0_14default_configELb0EPKbPbPKlPlN2at6native12_GLOBAL__N_18offset_tEEE10hipError_tPvRmT1_PNSt15iterator_traitsISY_E10value_typeET2_T3_PNSZ_IS14_E10value_typeET4_jRbjT5_S1A_jjP12ihipStream_tbEUljE_EEESV_SW_SX_S14_S18_S1A_T6_T7_T9_mT8_S1C_bDpT10_ENKUlT_T0_E_clISt17integral_constantIbLb0EES1O_IbLb1EEEEDaS1K_S1L_EUlS1K_E_NS1_11comp_targetILNS1_3genE2ELNS1_11target_archE906ELNS1_3gpuE6ELNS1_3repE0EEENS1_30default_config_static_selectorELNS0_4arch9wavefront6targetE1EEEvSY_.uses_flat_scratch, 0
	.set _ZN7rocprim17ROCPRIM_400000_NS6detail17trampoline_kernelINS0_13select_configILj256ELj13ELNS0_17block_load_methodE3ELS4_3ELS4_3ELNS0_20block_scan_algorithmE0ELj4294967295EEENS1_25partition_config_selectorILNS1_17partition_subalgoE3EjNS0_10empty_typeEbEEZZNS1_14partition_implILS8_3ELb0ES6_jNS0_17counting_iteratorIjlEEPS9_SE_NS0_5tupleIJPjSE_EEENSF_IJSE_SE_EEES9_SG_JZNS1_25segmented_radix_sort_implINS0_14default_configELb0EPKbPbPKlPlN2at6native12_GLOBAL__N_18offset_tEEE10hipError_tPvRmT1_PNSt15iterator_traitsISY_E10value_typeET2_T3_PNSZ_IS14_E10value_typeET4_jRbjT5_S1A_jjP12ihipStream_tbEUljE_EEESV_SW_SX_S14_S18_S1A_T6_T7_T9_mT8_S1C_bDpT10_ENKUlT_T0_E_clISt17integral_constantIbLb0EES1O_IbLb1EEEEDaS1K_S1L_EUlS1K_E_NS1_11comp_targetILNS1_3genE2ELNS1_11target_archE906ELNS1_3gpuE6ELNS1_3repE0EEENS1_30default_config_static_selectorELNS0_4arch9wavefront6targetE1EEEvSY_.has_dyn_sized_stack, 0
	.set _ZN7rocprim17ROCPRIM_400000_NS6detail17trampoline_kernelINS0_13select_configILj256ELj13ELNS0_17block_load_methodE3ELS4_3ELS4_3ELNS0_20block_scan_algorithmE0ELj4294967295EEENS1_25partition_config_selectorILNS1_17partition_subalgoE3EjNS0_10empty_typeEbEEZZNS1_14partition_implILS8_3ELb0ES6_jNS0_17counting_iteratorIjlEEPS9_SE_NS0_5tupleIJPjSE_EEENSF_IJSE_SE_EEES9_SG_JZNS1_25segmented_radix_sort_implINS0_14default_configELb0EPKbPbPKlPlN2at6native12_GLOBAL__N_18offset_tEEE10hipError_tPvRmT1_PNSt15iterator_traitsISY_E10value_typeET2_T3_PNSZ_IS14_E10value_typeET4_jRbjT5_S1A_jjP12ihipStream_tbEUljE_EEESV_SW_SX_S14_S18_S1A_T6_T7_T9_mT8_S1C_bDpT10_ENKUlT_T0_E_clISt17integral_constantIbLb0EES1O_IbLb1EEEEDaS1K_S1L_EUlS1K_E_NS1_11comp_targetILNS1_3genE2ELNS1_11target_archE906ELNS1_3gpuE6ELNS1_3repE0EEENS1_30default_config_static_selectorELNS0_4arch9wavefront6targetE1EEEvSY_.has_recursion, 0
	.set _ZN7rocprim17ROCPRIM_400000_NS6detail17trampoline_kernelINS0_13select_configILj256ELj13ELNS0_17block_load_methodE3ELS4_3ELS4_3ELNS0_20block_scan_algorithmE0ELj4294967295EEENS1_25partition_config_selectorILNS1_17partition_subalgoE3EjNS0_10empty_typeEbEEZZNS1_14partition_implILS8_3ELb0ES6_jNS0_17counting_iteratorIjlEEPS9_SE_NS0_5tupleIJPjSE_EEENSF_IJSE_SE_EEES9_SG_JZNS1_25segmented_radix_sort_implINS0_14default_configELb0EPKbPbPKlPlN2at6native12_GLOBAL__N_18offset_tEEE10hipError_tPvRmT1_PNSt15iterator_traitsISY_E10value_typeET2_T3_PNSZ_IS14_E10value_typeET4_jRbjT5_S1A_jjP12ihipStream_tbEUljE_EEESV_SW_SX_S14_S18_S1A_T6_T7_T9_mT8_S1C_bDpT10_ENKUlT_T0_E_clISt17integral_constantIbLb0EES1O_IbLb1EEEEDaS1K_S1L_EUlS1K_E_NS1_11comp_targetILNS1_3genE2ELNS1_11target_archE906ELNS1_3gpuE6ELNS1_3repE0EEENS1_30default_config_static_selectorELNS0_4arch9wavefront6targetE1EEEvSY_.has_indirect_call, 0
	.section	.AMDGPU.csdata,"",@progbits
; Kernel info:
; codeLenInByte = 7548
; TotalNumSgprs: 50
; NumVgprs: 71
; ScratchSize: 0
; MemoryBound: 0
; FloatMode: 240
; IeeeMode: 1
; LDSByteSize: 13320 bytes/workgroup (compile time only)
; SGPRBlocks: 12
; VGPRBlocks: 17
; NumSGPRsForWavesPerEU: 102
; NumVGPRsForWavesPerEU: 71
; Occupancy: 3
; WaveLimiterHint : 0
; COMPUTE_PGM_RSRC2:SCRATCH_EN: 0
; COMPUTE_PGM_RSRC2:USER_SGPR: 6
; COMPUTE_PGM_RSRC2:TRAP_HANDLER: 0
; COMPUTE_PGM_RSRC2:TGID_X_EN: 1
; COMPUTE_PGM_RSRC2:TGID_Y_EN: 0
; COMPUTE_PGM_RSRC2:TGID_Z_EN: 0
; COMPUTE_PGM_RSRC2:TIDIG_COMP_CNT: 0
	.section	.text._ZN7rocprim17ROCPRIM_400000_NS6detail17trampoline_kernelINS0_13select_configILj256ELj13ELNS0_17block_load_methodE3ELS4_3ELS4_3ELNS0_20block_scan_algorithmE0ELj4294967295EEENS1_25partition_config_selectorILNS1_17partition_subalgoE3EjNS0_10empty_typeEbEEZZNS1_14partition_implILS8_3ELb0ES6_jNS0_17counting_iteratorIjlEEPS9_SE_NS0_5tupleIJPjSE_EEENSF_IJSE_SE_EEES9_SG_JZNS1_25segmented_radix_sort_implINS0_14default_configELb0EPKbPbPKlPlN2at6native12_GLOBAL__N_18offset_tEEE10hipError_tPvRmT1_PNSt15iterator_traitsISY_E10value_typeET2_T3_PNSZ_IS14_E10value_typeET4_jRbjT5_S1A_jjP12ihipStream_tbEUljE_EEESV_SW_SX_S14_S18_S1A_T6_T7_T9_mT8_S1C_bDpT10_ENKUlT_T0_E_clISt17integral_constantIbLb0EES1O_IbLb1EEEEDaS1K_S1L_EUlS1K_E_NS1_11comp_targetILNS1_3genE10ELNS1_11target_archE1200ELNS1_3gpuE4ELNS1_3repE0EEENS1_30default_config_static_selectorELNS0_4arch9wavefront6targetE1EEEvSY_,"axG",@progbits,_ZN7rocprim17ROCPRIM_400000_NS6detail17trampoline_kernelINS0_13select_configILj256ELj13ELNS0_17block_load_methodE3ELS4_3ELS4_3ELNS0_20block_scan_algorithmE0ELj4294967295EEENS1_25partition_config_selectorILNS1_17partition_subalgoE3EjNS0_10empty_typeEbEEZZNS1_14partition_implILS8_3ELb0ES6_jNS0_17counting_iteratorIjlEEPS9_SE_NS0_5tupleIJPjSE_EEENSF_IJSE_SE_EEES9_SG_JZNS1_25segmented_radix_sort_implINS0_14default_configELb0EPKbPbPKlPlN2at6native12_GLOBAL__N_18offset_tEEE10hipError_tPvRmT1_PNSt15iterator_traitsISY_E10value_typeET2_T3_PNSZ_IS14_E10value_typeET4_jRbjT5_S1A_jjP12ihipStream_tbEUljE_EEESV_SW_SX_S14_S18_S1A_T6_T7_T9_mT8_S1C_bDpT10_ENKUlT_T0_E_clISt17integral_constantIbLb0EES1O_IbLb1EEEEDaS1K_S1L_EUlS1K_E_NS1_11comp_targetILNS1_3genE10ELNS1_11target_archE1200ELNS1_3gpuE4ELNS1_3repE0EEENS1_30default_config_static_selectorELNS0_4arch9wavefront6targetE1EEEvSY_,comdat
	.globl	_ZN7rocprim17ROCPRIM_400000_NS6detail17trampoline_kernelINS0_13select_configILj256ELj13ELNS0_17block_load_methodE3ELS4_3ELS4_3ELNS0_20block_scan_algorithmE0ELj4294967295EEENS1_25partition_config_selectorILNS1_17partition_subalgoE3EjNS0_10empty_typeEbEEZZNS1_14partition_implILS8_3ELb0ES6_jNS0_17counting_iteratorIjlEEPS9_SE_NS0_5tupleIJPjSE_EEENSF_IJSE_SE_EEES9_SG_JZNS1_25segmented_radix_sort_implINS0_14default_configELb0EPKbPbPKlPlN2at6native12_GLOBAL__N_18offset_tEEE10hipError_tPvRmT1_PNSt15iterator_traitsISY_E10value_typeET2_T3_PNSZ_IS14_E10value_typeET4_jRbjT5_S1A_jjP12ihipStream_tbEUljE_EEESV_SW_SX_S14_S18_S1A_T6_T7_T9_mT8_S1C_bDpT10_ENKUlT_T0_E_clISt17integral_constantIbLb0EES1O_IbLb1EEEEDaS1K_S1L_EUlS1K_E_NS1_11comp_targetILNS1_3genE10ELNS1_11target_archE1200ELNS1_3gpuE4ELNS1_3repE0EEENS1_30default_config_static_selectorELNS0_4arch9wavefront6targetE1EEEvSY_ ; -- Begin function _ZN7rocprim17ROCPRIM_400000_NS6detail17trampoline_kernelINS0_13select_configILj256ELj13ELNS0_17block_load_methodE3ELS4_3ELS4_3ELNS0_20block_scan_algorithmE0ELj4294967295EEENS1_25partition_config_selectorILNS1_17partition_subalgoE3EjNS0_10empty_typeEbEEZZNS1_14partition_implILS8_3ELb0ES6_jNS0_17counting_iteratorIjlEEPS9_SE_NS0_5tupleIJPjSE_EEENSF_IJSE_SE_EEES9_SG_JZNS1_25segmented_radix_sort_implINS0_14default_configELb0EPKbPbPKlPlN2at6native12_GLOBAL__N_18offset_tEEE10hipError_tPvRmT1_PNSt15iterator_traitsISY_E10value_typeET2_T3_PNSZ_IS14_E10value_typeET4_jRbjT5_S1A_jjP12ihipStream_tbEUljE_EEESV_SW_SX_S14_S18_S1A_T6_T7_T9_mT8_S1C_bDpT10_ENKUlT_T0_E_clISt17integral_constantIbLb0EES1O_IbLb1EEEEDaS1K_S1L_EUlS1K_E_NS1_11comp_targetILNS1_3genE10ELNS1_11target_archE1200ELNS1_3gpuE4ELNS1_3repE0EEENS1_30default_config_static_selectorELNS0_4arch9wavefront6targetE1EEEvSY_
	.p2align	8
	.type	_ZN7rocprim17ROCPRIM_400000_NS6detail17trampoline_kernelINS0_13select_configILj256ELj13ELNS0_17block_load_methodE3ELS4_3ELS4_3ELNS0_20block_scan_algorithmE0ELj4294967295EEENS1_25partition_config_selectorILNS1_17partition_subalgoE3EjNS0_10empty_typeEbEEZZNS1_14partition_implILS8_3ELb0ES6_jNS0_17counting_iteratorIjlEEPS9_SE_NS0_5tupleIJPjSE_EEENSF_IJSE_SE_EEES9_SG_JZNS1_25segmented_radix_sort_implINS0_14default_configELb0EPKbPbPKlPlN2at6native12_GLOBAL__N_18offset_tEEE10hipError_tPvRmT1_PNSt15iterator_traitsISY_E10value_typeET2_T3_PNSZ_IS14_E10value_typeET4_jRbjT5_S1A_jjP12ihipStream_tbEUljE_EEESV_SW_SX_S14_S18_S1A_T6_T7_T9_mT8_S1C_bDpT10_ENKUlT_T0_E_clISt17integral_constantIbLb0EES1O_IbLb1EEEEDaS1K_S1L_EUlS1K_E_NS1_11comp_targetILNS1_3genE10ELNS1_11target_archE1200ELNS1_3gpuE4ELNS1_3repE0EEENS1_30default_config_static_selectorELNS0_4arch9wavefront6targetE1EEEvSY_,@function
_ZN7rocprim17ROCPRIM_400000_NS6detail17trampoline_kernelINS0_13select_configILj256ELj13ELNS0_17block_load_methodE3ELS4_3ELS4_3ELNS0_20block_scan_algorithmE0ELj4294967295EEENS1_25partition_config_selectorILNS1_17partition_subalgoE3EjNS0_10empty_typeEbEEZZNS1_14partition_implILS8_3ELb0ES6_jNS0_17counting_iteratorIjlEEPS9_SE_NS0_5tupleIJPjSE_EEENSF_IJSE_SE_EEES9_SG_JZNS1_25segmented_radix_sort_implINS0_14default_configELb0EPKbPbPKlPlN2at6native12_GLOBAL__N_18offset_tEEE10hipError_tPvRmT1_PNSt15iterator_traitsISY_E10value_typeET2_T3_PNSZ_IS14_E10value_typeET4_jRbjT5_S1A_jjP12ihipStream_tbEUljE_EEESV_SW_SX_S14_S18_S1A_T6_T7_T9_mT8_S1C_bDpT10_ENKUlT_T0_E_clISt17integral_constantIbLb0EES1O_IbLb1EEEEDaS1K_S1L_EUlS1K_E_NS1_11comp_targetILNS1_3genE10ELNS1_11target_archE1200ELNS1_3gpuE4ELNS1_3repE0EEENS1_30default_config_static_selectorELNS0_4arch9wavefront6targetE1EEEvSY_: ; @_ZN7rocprim17ROCPRIM_400000_NS6detail17trampoline_kernelINS0_13select_configILj256ELj13ELNS0_17block_load_methodE3ELS4_3ELS4_3ELNS0_20block_scan_algorithmE0ELj4294967295EEENS1_25partition_config_selectorILNS1_17partition_subalgoE3EjNS0_10empty_typeEbEEZZNS1_14partition_implILS8_3ELb0ES6_jNS0_17counting_iteratorIjlEEPS9_SE_NS0_5tupleIJPjSE_EEENSF_IJSE_SE_EEES9_SG_JZNS1_25segmented_radix_sort_implINS0_14default_configELb0EPKbPbPKlPlN2at6native12_GLOBAL__N_18offset_tEEE10hipError_tPvRmT1_PNSt15iterator_traitsISY_E10value_typeET2_T3_PNSZ_IS14_E10value_typeET4_jRbjT5_S1A_jjP12ihipStream_tbEUljE_EEESV_SW_SX_S14_S18_S1A_T6_T7_T9_mT8_S1C_bDpT10_ENKUlT_T0_E_clISt17integral_constantIbLb0EES1O_IbLb1EEEEDaS1K_S1L_EUlS1K_E_NS1_11comp_targetILNS1_3genE10ELNS1_11target_archE1200ELNS1_3gpuE4ELNS1_3repE0EEENS1_30default_config_static_selectorELNS0_4arch9wavefront6targetE1EEEvSY_
; %bb.0:
	.section	.rodata,"a",@progbits
	.p2align	6, 0x0
	.amdhsa_kernel _ZN7rocprim17ROCPRIM_400000_NS6detail17trampoline_kernelINS0_13select_configILj256ELj13ELNS0_17block_load_methodE3ELS4_3ELS4_3ELNS0_20block_scan_algorithmE0ELj4294967295EEENS1_25partition_config_selectorILNS1_17partition_subalgoE3EjNS0_10empty_typeEbEEZZNS1_14partition_implILS8_3ELb0ES6_jNS0_17counting_iteratorIjlEEPS9_SE_NS0_5tupleIJPjSE_EEENSF_IJSE_SE_EEES9_SG_JZNS1_25segmented_radix_sort_implINS0_14default_configELb0EPKbPbPKlPlN2at6native12_GLOBAL__N_18offset_tEEE10hipError_tPvRmT1_PNSt15iterator_traitsISY_E10value_typeET2_T3_PNSZ_IS14_E10value_typeET4_jRbjT5_S1A_jjP12ihipStream_tbEUljE_EEESV_SW_SX_S14_S18_S1A_T6_T7_T9_mT8_S1C_bDpT10_ENKUlT_T0_E_clISt17integral_constantIbLb0EES1O_IbLb1EEEEDaS1K_S1L_EUlS1K_E_NS1_11comp_targetILNS1_3genE10ELNS1_11target_archE1200ELNS1_3gpuE4ELNS1_3repE0EEENS1_30default_config_static_selectorELNS0_4arch9wavefront6targetE1EEEvSY_
		.amdhsa_group_segment_fixed_size 0
		.amdhsa_private_segment_fixed_size 0
		.amdhsa_kernarg_size 152
		.amdhsa_user_sgpr_count 6
		.amdhsa_user_sgpr_private_segment_buffer 1
		.amdhsa_user_sgpr_dispatch_ptr 0
		.amdhsa_user_sgpr_queue_ptr 0
		.amdhsa_user_sgpr_kernarg_segment_ptr 1
		.amdhsa_user_sgpr_dispatch_id 0
		.amdhsa_user_sgpr_flat_scratch_init 0
		.amdhsa_user_sgpr_private_segment_size 0
		.amdhsa_uses_dynamic_stack 0
		.amdhsa_system_sgpr_private_segment_wavefront_offset 0
		.amdhsa_system_sgpr_workgroup_id_x 1
		.amdhsa_system_sgpr_workgroup_id_y 0
		.amdhsa_system_sgpr_workgroup_id_z 0
		.amdhsa_system_sgpr_workgroup_info 0
		.amdhsa_system_vgpr_workitem_id 0
		.amdhsa_next_free_vgpr 1
		.amdhsa_next_free_sgpr 0
		.amdhsa_reserve_vcc 0
		.amdhsa_reserve_flat_scratch 0
		.amdhsa_float_round_mode_32 0
		.amdhsa_float_round_mode_16_64 0
		.amdhsa_float_denorm_mode_32 3
		.amdhsa_float_denorm_mode_16_64 3
		.amdhsa_dx10_clamp 1
		.amdhsa_ieee_mode 1
		.amdhsa_fp16_overflow 0
		.amdhsa_exception_fp_ieee_invalid_op 0
		.amdhsa_exception_fp_denorm_src 0
		.amdhsa_exception_fp_ieee_div_zero 0
		.amdhsa_exception_fp_ieee_overflow 0
		.amdhsa_exception_fp_ieee_underflow 0
		.amdhsa_exception_fp_ieee_inexact 0
		.amdhsa_exception_int_div_zero 0
	.end_amdhsa_kernel
	.section	.text._ZN7rocprim17ROCPRIM_400000_NS6detail17trampoline_kernelINS0_13select_configILj256ELj13ELNS0_17block_load_methodE3ELS4_3ELS4_3ELNS0_20block_scan_algorithmE0ELj4294967295EEENS1_25partition_config_selectorILNS1_17partition_subalgoE3EjNS0_10empty_typeEbEEZZNS1_14partition_implILS8_3ELb0ES6_jNS0_17counting_iteratorIjlEEPS9_SE_NS0_5tupleIJPjSE_EEENSF_IJSE_SE_EEES9_SG_JZNS1_25segmented_radix_sort_implINS0_14default_configELb0EPKbPbPKlPlN2at6native12_GLOBAL__N_18offset_tEEE10hipError_tPvRmT1_PNSt15iterator_traitsISY_E10value_typeET2_T3_PNSZ_IS14_E10value_typeET4_jRbjT5_S1A_jjP12ihipStream_tbEUljE_EEESV_SW_SX_S14_S18_S1A_T6_T7_T9_mT8_S1C_bDpT10_ENKUlT_T0_E_clISt17integral_constantIbLb0EES1O_IbLb1EEEEDaS1K_S1L_EUlS1K_E_NS1_11comp_targetILNS1_3genE10ELNS1_11target_archE1200ELNS1_3gpuE4ELNS1_3repE0EEENS1_30default_config_static_selectorELNS0_4arch9wavefront6targetE1EEEvSY_,"axG",@progbits,_ZN7rocprim17ROCPRIM_400000_NS6detail17trampoline_kernelINS0_13select_configILj256ELj13ELNS0_17block_load_methodE3ELS4_3ELS4_3ELNS0_20block_scan_algorithmE0ELj4294967295EEENS1_25partition_config_selectorILNS1_17partition_subalgoE3EjNS0_10empty_typeEbEEZZNS1_14partition_implILS8_3ELb0ES6_jNS0_17counting_iteratorIjlEEPS9_SE_NS0_5tupleIJPjSE_EEENSF_IJSE_SE_EEES9_SG_JZNS1_25segmented_radix_sort_implINS0_14default_configELb0EPKbPbPKlPlN2at6native12_GLOBAL__N_18offset_tEEE10hipError_tPvRmT1_PNSt15iterator_traitsISY_E10value_typeET2_T3_PNSZ_IS14_E10value_typeET4_jRbjT5_S1A_jjP12ihipStream_tbEUljE_EEESV_SW_SX_S14_S18_S1A_T6_T7_T9_mT8_S1C_bDpT10_ENKUlT_T0_E_clISt17integral_constantIbLb0EES1O_IbLb1EEEEDaS1K_S1L_EUlS1K_E_NS1_11comp_targetILNS1_3genE10ELNS1_11target_archE1200ELNS1_3gpuE4ELNS1_3repE0EEENS1_30default_config_static_selectorELNS0_4arch9wavefront6targetE1EEEvSY_,comdat
.Lfunc_end1632:
	.size	_ZN7rocprim17ROCPRIM_400000_NS6detail17trampoline_kernelINS0_13select_configILj256ELj13ELNS0_17block_load_methodE3ELS4_3ELS4_3ELNS0_20block_scan_algorithmE0ELj4294967295EEENS1_25partition_config_selectorILNS1_17partition_subalgoE3EjNS0_10empty_typeEbEEZZNS1_14partition_implILS8_3ELb0ES6_jNS0_17counting_iteratorIjlEEPS9_SE_NS0_5tupleIJPjSE_EEENSF_IJSE_SE_EEES9_SG_JZNS1_25segmented_radix_sort_implINS0_14default_configELb0EPKbPbPKlPlN2at6native12_GLOBAL__N_18offset_tEEE10hipError_tPvRmT1_PNSt15iterator_traitsISY_E10value_typeET2_T3_PNSZ_IS14_E10value_typeET4_jRbjT5_S1A_jjP12ihipStream_tbEUljE_EEESV_SW_SX_S14_S18_S1A_T6_T7_T9_mT8_S1C_bDpT10_ENKUlT_T0_E_clISt17integral_constantIbLb0EES1O_IbLb1EEEEDaS1K_S1L_EUlS1K_E_NS1_11comp_targetILNS1_3genE10ELNS1_11target_archE1200ELNS1_3gpuE4ELNS1_3repE0EEENS1_30default_config_static_selectorELNS0_4arch9wavefront6targetE1EEEvSY_, .Lfunc_end1632-_ZN7rocprim17ROCPRIM_400000_NS6detail17trampoline_kernelINS0_13select_configILj256ELj13ELNS0_17block_load_methodE3ELS4_3ELS4_3ELNS0_20block_scan_algorithmE0ELj4294967295EEENS1_25partition_config_selectorILNS1_17partition_subalgoE3EjNS0_10empty_typeEbEEZZNS1_14partition_implILS8_3ELb0ES6_jNS0_17counting_iteratorIjlEEPS9_SE_NS0_5tupleIJPjSE_EEENSF_IJSE_SE_EEES9_SG_JZNS1_25segmented_radix_sort_implINS0_14default_configELb0EPKbPbPKlPlN2at6native12_GLOBAL__N_18offset_tEEE10hipError_tPvRmT1_PNSt15iterator_traitsISY_E10value_typeET2_T3_PNSZ_IS14_E10value_typeET4_jRbjT5_S1A_jjP12ihipStream_tbEUljE_EEESV_SW_SX_S14_S18_S1A_T6_T7_T9_mT8_S1C_bDpT10_ENKUlT_T0_E_clISt17integral_constantIbLb0EES1O_IbLb1EEEEDaS1K_S1L_EUlS1K_E_NS1_11comp_targetILNS1_3genE10ELNS1_11target_archE1200ELNS1_3gpuE4ELNS1_3repE0EEENS1_30default_config_static_selectorELNS0_4arch9wavefront6targetE1EEEvSY_
                                        ; -- End function
	.set _ZN7rocprim17ROCPRIM_400000_NS6detail17trampoline_kernelINS0_13select_configILj256ELj13ELNS0_17block_load_methodE3ELS4_3ELS4_3ELNS0_20block_scan_algorithmE0ELj4294967295EEENS1_25partition_config_selectorILNS1_17partition_subalgoE3EjNS0_10empty_typeEbEEZZNS1_14partition_implILS8_3ELb0ES6_jNS0_17counting_iteratorIjlEEPS9_SE_NS0_5tupleIJPjSE_EEENSF_IJSE_SE_EEES9_SG_JZNS1_25segmented_radix_sort_implINS0_14default_configELb0EPKbPbPKlPlN2at6native12_GLOBAL__N_18offset_tEEE10hipError_tPvRmT1_PNSt15iterator_traitsISY_E10value_typeET2_T3_PNSZ_IS14_E10value_typeET4_jRbjT5_S1A_jjP12ihipStream_tbEUljE_EEESV_SW_SX_S14_S18_S1A_T6_T7_T9_mT8_S1C_bDpT10_ENKUlT_T0_E_clISt17integral_constantIbLb0EES1O_IbLb1EEEEDaS1K_S1L_EUlS1K_E_NS1_11comp_targetILNS1_3genE10ELNS1_11target_archE1200ELNS1_3gpuE4ELNS1_3repE0EEENS1_30default_config_static_selectorELNS0_4arch9wavefront6targetE1EEEvSY_.num_vgpr, 0
	.set _ZN7rocprim17ROCPRIM_400000_NS6detail17trampoline_kernelINS0_13select_configILj256ELj13ELNS0_17block_load_methodE3ELS4_3ELS4_3ELNS0_20block_scan_algorithmE0ELj4294967295EEENS1_25partition_config_selectorILNS1_17partition_subalgoE3EjNS0_10empty_typeEbEEZZNS1_14partition_implILS8_3ELb0ES6_jNS0_17counting_iteratorIjlEEPS9_SE_NS0_5tupleIJPjSE_EEENSF_IJSE_SE_EEES9_SG_JZNS1_25segmented_radix_sort_implINS0_14default_configELb0EPKbPbPKlPlN2at6native12_GLOBAL__N_18offset_tEEE10hipError_tPvRmT1_PNSt15iterator_traitsISY_E10value_typeET2_T3_PNSZ_IS14_E10value_typeET4_jRbjT5_S1A_jjP12ihipStream_tbEUljE_EEESV_SW_SX_S14_S18_S1A_T6_T7_T9_mT8_S1C_bDpT10_ENKUlT_T0_E_clISt17integral_constantIbLb0EES1O_IbLb1EEEEDaS1K_S1L_EUlS1K_E_NS1_11comp_targetILNS1_3genE10ELNS1_11target_archE1200ELNS1_3gpuE4ELNS1_3repE0EEENS1_30default_config_static_selectorELNS0_4arch9wavefront6targetE1EEEvSY_.num_agpr, 0
	.set _ZN7rocprim17ROCPRIM_400000_NS6detail17trampoline_kernelINS0_13select_configILj256ELj13ELNS0_17block_load_methodE3ELS4_3ELS4_3ELNS0_20block_scan_algorithmE0ELj4294967295EEENS1_25partition_config_selectorILNS1_17partition_subalgoE3EjNS0_10empty_typeEbEEZZNS1_14partition_implILS8_3ELb0ES6_jNS0_17counting_iteratorIjlEEPS9_SE_NS0_5tupleIJPjSE_EEENSF_IJSE_SE_EEES9_SG_JZNS1_25segmented_radix_sort_implINS0_14default_configELb0EPKbPbPKlPlN2at6native12_GLOBAL__N_18offset_tEEE10hipError_tPvRmT1_PNSt15iterator_traitsISY_E10value_typeET2_T3_PNSZ_IS14_E10value_typeET4_jRbjT5_S1A_jjP12ihipStream_tbEUljE_EEESV_SW_SX_S14_S18_S1A_T6_T7_T9_mT8_S1C_bDpT10_ENKUlT_T0_E_clISt17integral_constantIbLb0EES1O_IbLb1EEEEDaS1K_S1L_EUlS1K_E_NS1_11comp_targetILNS1_3genE10ELNS1_11target_archE1200ELNS1_3gpuE4ELNS1_3repE0EEENS1_30default_config_static_selectorELNS0_4arch9wavefront6targetE1EEEvSY_.numbered_sgpr, 0
	.set _ZN7rocprim17ROCPRIM_400000_NS6detail17trampoline_kernelINS0_13select_configILj256ELj13ELNS0_17block_load_methodE3ELS4_3ELS4_3ELNS0_20block_scan_algorithmE0ELj4294967295EEENS1_25partition_config_selectorILNS1_17partition_subalgoE3EjNS0_10empty_typeEbEEZZNS1_14partition_implILS8_3ELb0ES6_jNS0_17counting_iteratorIjlEEPS9_SE_NS0_5tupleIJPjSE_EEENSF_IJSE_SE_EEES9_SG_JZNS1_25segmented_radix_sort_implINS0_14default_configELb0EPKbPbPKlPlN2at6native12_GLOBAL__N_18offset_tEEE10hipError_tPvRmT1_PNSt15iterator_traitsISY_E10value_typeET2_T3_PNSZ_IS14_E10value_typeET4_jRbjT5_S1A_jjP12ihipStream_tbEUljE_EEESV_SW_SX_S14_S18_S1A_T6_T7_T9_mT8_S1C_bDpT10_ENKUlT_T0_E_clISt17integral_constantIbLb0EES1O_IbLb1EEEEDaS1K_S1L_EUlS1K_E_NS1_11comp_targetILNS1_3genE10ELNS1_11target_archE1200ELNS1_3gpuE4ELNS1_3repE0EEENS1_30default_config_static_selectorELNS0_4arch9wavefront6targetE1EEEvSY_.num_named_barrier, 0
	.set _ZN7rocprim17ROCPRIM_400000_NS6detail17trampoline_kernelINS0_13select_configILj256ELj13ELNS0_17block_load_methodE3ELS4_3ELS4_3ELNS0_20block_scan_algorithmE0ELj4294967295EEENS1_25partition_config_selectorILNS1_17partition_subalgoE3EjNS0_10empty_typeEbEEZZNS1_14partition_implILS8_3ELb0ES6_jNS0_17counting_iteratorIjlEEPS9_SE_NS0_5tupleIJPjSE_EEENSF_IJSE_SE_EEES9_SG_JZNS1_25segmented_radix_sort_implINS0_14default_configELb0EPKbPbPKlPlN2at6native12_GLOBAL__N_18offset_tEEE10hipError_tPvRmT1_PNSt15iterator_traitsISY_E10value_typeET2_T3_PNSZ_IS14_E10value_typeET4_jRbjT5_S1A_jjP12ihipStream_tbEUljE_EEESV_SW_SX_S14_S18_S1A_T6_T7_T9_mT8_S1C_bDpT10_ENKUlT_T0_E_clISt17integral_constantIbLb0EES1O_IbLb1EEEEDaS1K_S1L_EUlS1K_E_NS1_11comp_targetILNS1_3genE10ELNS1_11target_archE1200ELNS1_3gpuE4ELNS1_3repE0EEENS1_30default_config_static_selectorELNS0_4arch9wavefront6targetE1EEEvSY_.private_seg_size, 0
	.set _ZN7rocprim17ROCPRIM_400000_NS6detail17trampoline_kernelINS0_13select_configILj256ELj13ELNS0_17block_load_methodE3ELS4_3ELS4_3ELNS0_20block_scan_algorithmE0ELj4294967295EEENS1_25partition_config_selectorILNS1_17partition_subalgoE3EjNS0_10empty_typeEbEEZZNS1_14partition_implILS8_3ELb0ES6_jNS0_17counting_iteratorIjlEEPS9_SE_NS0_5tupleIJPjSE_EEENSF_IJSE_SE_EEES9_SG_JZNS1_25segmented_radix_sort_implINS0_14default_configELb0EPKbPbPKlPlN2at6native12_GLOBAL__N_18offset_tEEE10hipError_tPvRmT1_PNSt15iterator_traitsISY_E10value_typeET2_T3_PNSZ_IS14_E10value_typeET4_jRbjT5_S1A_jjP12ihipStream_tbEUljE_EEESV_SW_SX_S14_S18_S1A_T6_T7_T9_mT8_S1C_bDpT10_ENKUlT_T0_E_clISt17integral_constantIbLb0EES1O_IbLb1EEEEDaS1K_S1L_EUlS1K_E_NS1_11comp_targetILNS1_3genE10ELNS1_11target_archE1200ELNS1_3gpuE4ELNS1_3repE0EEENS1_30default_config_static_selectorELNS0_4arch9wavefront6targetE1EEEvSY_.uses_vcc, 0
	.set _ZN7rocprim17ROCPRIM_400000_NS6detail17trampoline_kernelINS0_13select_configILj256ELj13ELNS0_17block_load_methodE3ELS4_3ELS4_3ELNS0_20block_scan_algorithmE0ELj4294967295EEENS1_25partition_config_selectorILNS1_17partition_subalgoE3EjNS0_10empty_typeEbEEZZNS1_14partition_implILS8_3ELb0ES6_jNS0_17counting_iteratorIjlEEPS9_SE_NS0_5tupleIJPjSE_EEENSF_IJSE_SE_EEES9_SG_JZNS1_25segmented_radix_sort_implINS0_14default_configELb0EPKbPbPKlPlN2at6native12_GLOBAL__N_18offset_tEEE10hipError_tPvRmT1_PNSt15iterator_traitsISY_E10value_typeET2_T3_PNSZ_IS14_E10value_typeET4_jRbjT5_S1A_jjP12ihipStream_tbEUljE_EEESV_SW_SX_S14_S18_S1A_T6_T7_T9_mT8_S1C_bDpT10_ENKUlT_T0_E_clISt17integral_constantIbLb0EES1O_IbLb1EEEEDaS1K_S1L_EUlS1K_E_NS1_11comp_targetILNS1_3genE10ELNS1_11target_archE1200ELNS1_3gpuE4ELNS1_3repE0EEENS1_30default_config_static_selectorELNS0_4arch9wavefront6targetE1EEEvSY_.uses_flat_scratch, 0
	.set _ZN7rocprim17ROCPRIM_400000_NS6detail17trampoline_kernelINS0_13select_configILj256ELj13ELNS0_17block_load_methodE3ELS4_3ELS4_3ELNS0_20block_scan_algorithmE0ELj4294967295EEENS1_25partition_config_selectorILNS1_17partition_subalgoE3EjNS0_10empty_typeEbEEZZNS1_14partition_implILS8_3ELb0ES6_jNS0_17counting_iteratorIjlEEPS9_SE_NS0_5tupleIJPjSE_EEENSF_IJSE_SE_EEES9_SG_JZNS1_25segmented_radix_sort_implINS0_14default_configELb0EPKbPbPKlPlN2at6native12_GLOBAL__N_18offset_tEEE10hipError_tPvRmT1_PNSt15iterator_traitsISY_E10value_typeET2_T3_PNSZ_IS14_E10value_typeET4_jRbjT5_S1A_jjP12ihipStream_tbEUljE_EEESV_SW_SX_S14_S18_S1A_T6_T7_T9_mT8_S1C_bDpT10_ENKUlT_T0_E_clISt17integral_constantIbLb0EES1O_IbLb1EEEEDaS1K_S1L_EUlS1K_E_NS1_11comp_targetILNS1_3genE10ELNS1_11target_archE1200ELNS1_3gpuE4ELNS1_3repE0EEENS1_30default_config_static_selectorELNS0_4arch9wavefront6targetE1EEEvSY_.has_dyn_sized_stack, 0
	.set _ZN7rocprim17ROCPRIM_400000_NS6detail17trampoline_kernelINS0_13select_configILj256ELj13ELNS0_17block_load_methodE3ELS4_3ELS4_3ELNS0_20block_scan_algorithmE0ELj4294967295EEENS1_25partition_config_selectorILNS1_17partition_subalgoE3EjNS0_10empty_typeEbEEZZNS1_14partition_implILS8_3ELb0ES6_jNS0_17counting_iteratorIjlEEPS9_SE_NS0_5tupleIJPjSE_EEENSF_IJSE_SE_EEES9_SG_JZNS1_25segmented_radix_sort_implINS0_14default_configELb0EPKbPbPKlPlN2at6native12_GLOBAL__N_18offset_tEEE10hipError_tPvRmT1_PNSt15iterator_traitsISY_E10value_typeET2_T3_PNSZ_IS14_E10value_typeET4_jRbjT5_S1A_jjP12ihipStream_tbEUljE_EEESV_SW_SX_S14_S18_S1A_T6_T7_T9_mT8_S1C_bDpT10_ENKUlT_T0_E_clISt17integral_constantIbLb0EES1O_IbLb1EEEEDaS1K_S1L_EUlS1K_E_NS1_11comp_targetILNS1_3genE10ELNS1_11target_archE1200ELNS1_3gpuE4ELNS1_3repE0EEENS1_30default_config_static_selectorELNS0_4arch9wavefront6targetE1EEEvSY_.has_recursion, 0
	.set _ZN7rocprim17ROCPRIM_400000_NS6detail17trampoline_kernelINS0_13select_configILj256ELj13ELNS0_17block_load_methodE3ELS4_3ELS4_3ELNS0_20block_scan_algorithmE0ELj4294967295EEENS1_25partition_config_selectorILNS1_17partition_subalgoE3EjNS0_10empty_typeEbEEZZNS1_14partition_implILS8_3ELb0ES6_jNS0_17counting_iteratorIjlEEPS9_SE_NS0_5tupleIJPjSE_EEENSF_IJSE_SE_EEES9_SG_JZNS1_25segmented_radix_sort_implINS0_14default_configELb0EPKbPbPKlPlN2at6native12_GLOBAL__N_18offset_tEEE10hipError_tPvRmT1_PNSt15iterator_traitsISY_E10value_typeET2_T3_PNSZ_IS14_E10value_typeET4_jRbjT5_S1A_jjP12ihipStream_tbEUljE_EEESV_SW_SX_S14_S18_S1A_T6_T7_T9_mT8_S1C_bDpT10_ENKUlT_T0_E_clISt17integral_constantIbLb0EES1O_IbLb1EEEEDaS1K_S1L_EUlS1K_E_NS1_11comp_targetILNS1_3genE10ELNS1_11target_archE1200ELNS1_3gpuE4ELNS1_3repE0EEENS1_30default_config_static_selectorELNS0_4arch9wavefront6targetE1EEEvSY_.has_indirect_call, 0
	.section	.AMDGPU.csdata,"",@progbits
; Kernel info:
; codeLenInByte = 0
; TotalNumSgprs: 4
; NumVgprs: 0
; ScratchSize: 0
; MemoryBound: 0
; FloatMode: 240
; IeeeMode: 1
; LDSByteSize: 0 bytes/workgroup (compile time only)
; SGPRBlocks: 0
; VGPRBlocks: 0
; NumSGPRsForWavesPerEU: 4
; NumVGPRsForWavesPerEU: 1
; Occupancy: 10
; WaveLimiterHint : 0
; COMPUTE_PGM_RSRC2:SCRATCH_EN: 0
; COMPUTE_PGM_RSRC2:USER_SGPR: 6
; COMPUTE_PGM_RSRC2:TRAP_HANDLER: 0
; COMPUTE_PGM_RSRC2:TGID_X_EN: 1
; COMPUTE_PGM_RSRC2:TGID_Y_EN: 0
; COMPUTE_PGM_RSRC2:TGID_Z_EN: 0
; COMPUTE_PGM_RSRC2:TIDIG_COMP_CNT: 0
	.section	.text._ZN7rocprim17ROCPRIM_400000_NS6detail17trampoline_kernelINS0_13select_configILj256ELj13ELNS0_17block_load_methodE3ELS4_3ELS4_3ELNS0_20block_scan_algorithmE0ELj4294967295EEENS1_25partition_config_selectorILNS1_17partition_subalgoE3EjNS0_10empty_typeEbEEZZNS1_14partition_implILS8_3ELb0ES6_jNS0_17counting_iteratorIjlEEPS9_SE_NS0_5tupleIJPjSE_EEENSF_IJSE_SE_EEES9_SG_JZNS1_25segmented_radix_sort_implINS0_14default_configELb0EPKbPbPKlPlN2at6native12_GLOBAL__N_18offset_tEEE10hipError_tPvRmT1_PNSt15iterator_traitsISY_E10value_typeET2_T3_PNSZ_IS14_E10value_typeET4_jRbjT5_S1A_jjP12ihipStream_tbEUljE_EEESV_SW_SX_S14_S18_S1A_T6_T7_T9_mT8_S1C_bDpT10_ENKUlT_T0_E_clISt17integral_constantIbLb0EES1O_IbLb1EEEEDaS1K_S1L_EUlS1K_E_NS1_11comp_targetILNS1_3genE9ELNS1_11target_archE1100ELNS1_3gpuE3ELNS1_3repE0EEENS1_30default_config_static_selectorELNS0_4arch9wavefront6targetE1EEEvSY_,"axG",@progbits,_ZN7rocprim17ROCPRIM_400000_NS6detail17trampoline_kernelINS0_13select_configILj256ELj13ELNS0_17block_load_methodE3ELS4_3ELS4_3ELNS0_20block_scan_algorithmE0ELj4294967295EEENS1_25partition_config_selectorILNS1_17partition_subalgoE3EjNS0_10empty_typeEbEEZZNS1_14partition_implILS8_3ELb0ES6_jNS0_17counting_iteratorIjlEEPS9_SE_NS0_5tupleIJPjSE_EEENSF_IJSE_SE_EEES9_SG_JZNS1_25segmented_radix_sort_implINS0_14default_configELb0EPKbPbPKlPlN2at6native12_GLOBAL__N_18offset_tEEE10hipError_tPvRmT1_PNSt15iterator_traitsISY_E10value_typeET2_T3_PNSZ_IS14_E10value_typeET4_jRbjT5_S1A_jjP12ihipStream_tbEUljE_EEESV_SW_SX_S14_S18_S1A_T6_T7_T9_mT8_S1C_bDpT10_ENKUlT_T0_E_clISt17integral_constantIbLb0EES1O_IbLb1EEEEDaS1K_S1L_EUlS1K_E_NS1_11comp_targetILNS1_3genE9ELNS1_11target_archE1100ELNS1_3gpuE3ELNS1_3repE0EEENS1_30default_config_static_selectorELNS0_4arch9wavefront6targetE1EEEvSY_,comdat
	.globl	_ZN7rocprim17ROCPRIM_400000_NS6detail17trampoline_kernelINS0_13select_configILj256ELj13ELNS0_17block_load_methodE3ELS4_3ELS4_3ELNS0_20block_scan_algorithmE0ELj4294967295EEENS1_25partition_config_selectorILNS1_17partition_subalgoE3EjNS0_10empty_typeEbEEZZNS1_14partition_implILS8_3ELb0ES6_jNS0_17counting_iteratorIjlEEPS9_SE_NS0_5tupleIJPjSE_EEENSF_IJSE_SE_EEES9_SG_JZNS1_25segmented_radix_sort_implINS0_14default_configELb0EPKbPbPKlPlN2at6native12_GLOBAL__N_18offset_tEEE10hipError_tPvRmT1_PNSt15iterator_traitsISY_E10value_typeET2_T3_PNSZ_IS14_E10value_typeET4_jRbjT5_S1A_jjP12ihipStream_tbEUljE_EEESV_SW_SX_S14_S18_S1A_T6_T7_T9_mT8_S1C_bDpT10_ENKUlT_T0_E_clISt17integral_constantIbLb0EES1O_IbLb1EEEEDaS1K_S1L_EUlS1K_E_NS1_11comp_targetILNS1_3genE9ELNS1_11target_archE1100ELNS1_3gpuE3ELNS1_3repE0EEENS1_30default_config_static_selectorELNS0_4arch9wavefront6targetE1EEEvSY_ ; -- Begin function _ZN7rocprim17ROCPRIM_400000_NS6detail17trampoline_kernelINS0_13select_configILj256ELj13ELNS0_17block_load_methodE3ELS4_3ELS4_3ELNS0_20block_scan_algorithmE0ELj4294967295EEENS1_25partition_config_selectorILNS1_17partition_subalgoE3EjNS0_10empty_typeEbEEZZNS1_14partition_implILS8_3ELb0ES6_jNS0_17counting_iteratorIjlEEPS9_SE_NS0_5tupleIJPjSE_EEENSF_IJSE_SE_EEES9_SG_JZNS1_25segmented_radix_sort_implINS0_14default_configELb0EPKbPbPKlPlN2at6native12_GLOBAL__N_18offset_tEEE10hipError_tPvRmT1_PNSt15iterator_traitsISY_E10value_typeET2_T3_PNSZ_IS14_E10value_typeET4_jRbjT5_S1A_jjP12ihipStream_tbEUljE_EEESV_SW_SX_S14_S18_S1A_T6_T7_T9_mT8_S1C_bDpT10_ENKUlT_T0_E_clISt17integral_constantIbLb0EES1O_IbLb1EEEEDaS1K_S1L_EUlS1K_E_NS1_11comp_targetILNS1_3genE9ELNS1_11target_archE1100ELNS1_3gpuE3ELNS1_3repE0EEENS1_30default_config_static_selectorELNS0_4arch9wavefront6targetE1EEEvSY_
	.p2align	8
	.type	_ZN7rocprim17ROCPRIM_400000_NS6detail17trampoline_kernelINS0_13select_configILj256ELj13ELNS0_17block_load_methodE3ELS4_3ELS4_3ELNS0_20block_scan_algorithmE0ELj4294967295EEENS1_25partition_config_selectorILNS1_17partition_subalgoE3EjNS0_10empty_typeEbEEZZNS1_14partition_implILS8_3ELb0ES6_jNS0_17counting_iteratorIjlEEPS9_SE_NS0_5tupleIJPjSE_EEENSF_IJSE_SE_EEES9_SG_JZNS1_25segmented_radix_sort_implINS0_14default_configELb0EPKbPbPKlPlN2at6native12_GLOBAL__N_18offset_tEEE10hipError_tPvRmT1_PNSt15iterator_traitsISY_E10value_typeET2_T3_PNSZ_IS14_E10value_typeET4_jRbjT5_S1A_jjP12ihipStream_tbEUljE_EEESV_SW_SX_S14_S18_S1A_T6_T7_T9_mT8_S1C_bDpT10_ENKUlT_T0_E_clISt17integral_constantIbLb0EES1O_IbLb1EEEEDaS1K_S1L_EUlS1K_E_NS1_11comp_targetILNS1_3genE9ELNS1_11target_archE1100ELNS1_3gpuE3ELNS1_3repE0EEENS1_30default_config_static_selectorELNS0_4arch9wavefront6targetE1EEEvSY_,@function
_ZN7rocprim17ROCPRIM_400000_NS6detail17trampoline_kernelINS0_13select_configILj256ELj13ELNS0_17block_load_methodE3ELS4_3ELS4_3ELNS0_20block_scan_algorithmE0ELj4294967295EEENS1_25partition_config_selectorILNS1_17partition_subalgoE3EjNS0_10empty_typeEbEEZZNS1_14partition_implILS8_3ELb0ES6_jNS0_17counting_iteratorIjlEEPS9_SE_NS0_5tupleIJPjSE_EEENSF_IJSE_SE_EEES9_SG_JZNS1_25segmented_radix_sort_implINS0_14default_configELb0EPKbPbPKlPlN2at6native12_GLOBAL__N_18offset_tEEE10hipError_tPvRmT1_PNSt15iterator_traitsISY_E10value_typeET2_T3_PNSZ_IS14_E10value_typeET4_jRbjT5_S1A_jjP12ihipStream_tbEUljE_EEESV_SW_SX_S14_S18_S1A_T6_T7_T9_mT8_S1C_bDpT10_ENKUlT_T0_E_clISt17integral_constantIbLb0EES1O_IbLb1EEEEDaS1K_S1L_EUlS1K_E_NS1_11comp_targetILNS1_3genE9ELNS1_11target_archE1100ELNS1_3gpuE3ELNS1_3repE0EEENS1_30default_config_static_selectorELNS0_4arch9wavefront6targetE1EEEvSY_: ; @_ZN7rocprim17ROCPRIM_400000_NS6detail17trampoline_kernelINS0_13select_configILj256ELj13ELNS0_17block_load_methodE3ELS4_3ELS4_3ELNS0_20block_scan_algorithmE0ELj4294967295EEENS1_25partition_config_selectorILNS1_17partition_subalgoE3EjNS0_10empty_typeEbEEZZNS1_14partition_implILS8_3ELb0ES6_jNS0_17counting_iteratorIjlEEPS9_SE_NS0_5tupleIJPjSE_EEENSF_IJSE_SE_EEES9_SG_JZNS1_25segmented_radix_sort_implINS0_14default_configELb0EPKbPbPKlPlN2at6native12_GLOBAL__N_18offset_tEEE10hipError_tPvRmT1_PNSt15iterator_traitsISY_E10value_typeET2_T3_PNSZ_IS14_E10value_typeET4_jRbjT5_S1A_jjP12ihipStream_tbEUljE_EEESV_SW_SX_S14_S18_S1A_T6_T7_T9_mT8_S1C_bDpT10_ENKUlT_T0_E_clISt17integral_constantIbLb0EES1O_IbLb1EEEEDaS1K_S1L_EUlS1K_E_NS1_11comp_targetILNS1_3genE9ELNS1_11target_archE1100ELNS1_3gpuE3ELNS1_3repE0EEENS1_30default_config_static_selectorELNS0_4arch9wavefront6targetE1EEEvSY_
; %bb.0:
	.section	.rodata,"a",@progbits
	.p2align	6, 0x0
	.amdhsa_kernel _ZN7rocprim17ROCPRIM_400000_NS6detail17trampoline_kernelINS0_13select_configILj256ELj13ELNS0_17block_load_methodE3ELS4_3ELS4_3ELNS0_20block_scan_algorithmE0ELj4294967295EEENS1_25partition_config_selectorILNS1_17partition_subalgoE3EjNS0_10empty_typeEbEEZZNS1_14partition_implILS8_3ELb0ES6_jNS0_17counting_iteratorIjlEEPS9_SE_NS0_5tupleIJPjSE_EEENSF_IJSE_SE_EEES9_SG_JZNS1_25segmented_radix_sort_implINS0_14default_configELb0EPKbPbPKlPlN2at6native12_GLOBAL__N_18offset_tEEE10hipError_tPvRmT1_PNSt15iterator_traitsISY_E10value_typeET2_T3_PNSZ_IS14_E10value_typeET4_jRbjT5_S1A_jjP12ihipStream_tbEUljE_EEESV_SW_SX_S14_S18_S1A_T6_T7_T9_mT8_S1C_bDpT10_ENKUlT_T0_E_clISt17integral_constantIbLb0EES1O_IbLb1EEEEDaS1K_S1L_EUlS1K_E_NS1_11comp_targetILNS1_3genE9ELNS1_11target_archE1100ELNS1_3gpuE3ELNS1_3repE0EEENS1_30default_config_static_selectorELNS0_4arch9wavefront6targetE1EEEvSY_
		.amdhsa_group_segment_fixed_size 0
		.amdhsa_private_segment_fixed_size 0
		.amdhsa_kernarg_size 152
		.amdhsa_user_sgpr_count 6
		.amdhsa_user_sgpr_private_segment_buffer 1
		.amdhsa_user_sgpr_dispatch_ptr 0
		.amdhsa_user_sgpr_queue_ptr 0
		.amdhsa_user_sgpr_kernarg_segment_ptr 1
		.amdhsa_user_sgpr_dispatch_id 0
		.amdhsa_user_sgpr_flat_scratch_init 0
		.amdhsa_user_sgpr_private_segment_size 0
		.amdhsa_uses_dynamic_stack 0
		.amdhsa_system_sgpr_private_segment_wavefront_offset 0
		.amdhsa_system_sgpr_workgroup_id_x 1
		.amdhsa_system_sgpr_workgroup_id_y 0
		.amdhsa_system_sgpr_workgroup_id_z 0
		.amdhsa_system_sgpr_workgroup_info 0
		.amdhsa_system_vgpr_workitem_id 0
		.amdhsa_next_free_vgpr 1
		.amdhsa_next_free_sgpr 0
		.amdhsa_reserve_vcc 0
		.amdhsa_reserve_flat_scratch 0
		.amdhsa_float_round_mode_32 0
		.amdhsa_float_round_mode_16_64 0
		.amdhsa_float_denorm_mode_32 3
		.amdhsa_float_denorm_mode_16_64 3
		.amdhsa_dx10_clamp 1
		.amdhsa_ieee_mode 1
		.amdhsa_fp16_overflow 0
		.amdhsa_exception_fp_ieee_invalid_op 0
		.amdhsa_exception_fp_denorm_src 0
		.amdhsa_exception_fp_ieee_div_zero 0
		.amdhsa_exception_fp_ieee_overflow 0
		.amdhsa_exception_fp_ieee_underflow 0
		.amdhsa_exception_fp_ieee_inexact 0
		.amdhsa_exception_int_div_zero 0
	.end_amdhsa_kernel
	.section	.text._ZN7rocprim17ROCPRIM_400000_NS6detail17trampoline_kernelINS0_13select_configILj256ELj13ELNS0_17block_load_methodE3ELS4_3ELS4_3ELNS0_20block_scan_algorithmE0ELj4294967295EEENS1_25partition_config_selectorILNS1_17partition_subalgoE3EjNS0_10empty_typeEbEEZZNS1_14partition_implILS8_3ELb0ES6_jNS0_17counting_iteratorIjlEEPS9_SE_NS0_5tupleIJPjSE_EEENSF_IJSE_SE_EEES9_SG_JZNS1_25segmented_radix_sort_implINS0_14default_configELb0EPKbPbPKlPlN2at6native12_GLOBAL__N_18offset_tEEE10hipError_tPvRmT1_PNSt15iterator_traitsISY_E10value_typeET2_T3_PNSZ_IS14_E10value_typeET4_jRbjT5_S1A_jjP12ihipStream_tbEUljE_EEESV_SW_SX_S14_S18_S1A_T6_T7_T9_mT8_S1C_bDpT10_ENKUlT_T0_E_clISt17integral_constantIbLb0EES1O_IbLb1EEEEDaS1K_S1L_EUlS1K_E_NS1_11comp_targetILNS1_3genE9ELNS1_11target_archE1100ELNS1_3gpuE3ELNS1_3repE0EEENS1_30default_config_static_selectorELNS0_4arch9wavefront6targetE1EEEvSY_,"axG",@progbits,_ZN7rocprim17ROCPRIM_400000_NS6detail17trampoline_kernelINS0_13select_configILj256ELj13ELNS0_17block_load_methodE3ELS4_3ELS4_3ELNS0_20block_scan_algorithmE0ELj4294967295EEENS1_25partition_config_selectorILNS1_17partition_subalgoE3EjNS0_10empty_typeEbEEZZNS1_14partition_implILS8_3ELb0ES6_jNS0_17counting_iteratorIjlEEPS9_SE_NS0_5tupleIJPjSE_EEENSF_IJSE_SE_EEES9_SG_JZNS1_25segmented_radix_sort_implINS0_14default_configELb0EPKbPbPKlPlN2at6native12_GLOBAL__N_18offset_tEEE10hipError_tPvRmT1_PNSt15iterator_traitsISY_E10value_typeET2_T3_PNSZ_IS14_E10value_typeET4_jRbjT5_S1A_jjP12ihipStream_tbEUljE_EEESV_SW_SX_S14_S18_S1A_T6_T7_T9_mT8_S1C_bDpT10_ENKUlT_T0_E_clISt17integral_constantIbLb0EES1O_IbLb1EEEEDaS1K_S1L_EUlS1K_E_NS1_11comp_targetILNS1_3genE9ELNS1_11target_archE1100ELNS1_3gpuE3ELNS1_3repE0EEENS1_30default_config_static_selectorELNS0_4arch9wavefront6targetE1EEEvSY_,comdat
.Lfunc_end1633:
	.size	_ZN7rocprim17ROCPRIM_400000_NS6detail17trampoline_kernelINS0_13select_configILj256ELj13ELNS0_17block_load_methodE3ELS4_3ELS4_3ELNS0_20block_scan_algorithmE0ELj4294967295EEENS1_25partition_config_selectorILNS1_17partition_subalgoE3EjNS0_10empty_typeEbEEZZNS1_14partition_implILS8_3ELb0ES6_jNS0_17counting_iteratorIjlEEPS9_SE_NS0_5tupleIJPjSE_EEENSF_IJSE_SE_EEES9_SG_JZNS1_25segmented_radix_sort_implINS0_14default_configELb0EPKbPbPKlPlN2at6native12_GLOBAL__N_18offset_tEEE10hipError_tPvRmT1_PNSt15iterator_traitsISY_E10value_typeET2_T3_PNSZ_IS14_E10value_typeET4_jRbjT5_S1A_jjP12ihipStream_tbEUljE_EEESV_SW_SX_S14_S18_S1A_T6_T7_T9_mT8_S1C_bDpT10_ENKUlT_T0_E_clISt17integral_constantIbLb0EES1O_IbLb1EEEEDaS1K_S1L_EUlS1K_E_NS1_11comp_targetILNS1_3genE9ELNS1_11target_archE1100ELNS1_3gpuE3ELNS1_3repE0EEENS1_30default_config_static_selectorELNS0_4arch9wavefront6targetE1EEEvSY_, .Lfunc_end1633-_ZN7rocprim17ROCPRIM_400000_NS6detail17trampoline_kernelINS0_13select_configILj256ELj13ELNS0_17block_load_methodE3ELS4_3ELS4_3ELNS0_20block_scan_algorithmE0ELj4294967295EEENS1_25partition_config_selectorILNS1_17partition_subalgoE3EjNS0_10empty_typeEbEEZZNS1_14partition_implILS8_3ELb0ES6_jNS0_17counting_iteratorIjlEEPS9_SE_NS0_5tupleIJPjSE_EEENSF_IJSE_SE_EEES9_SG_JZNS1_25segmented_radix_sort_implINS0_14default_configELb0EPKbPbPKlPlN2at6native12_GLOBAL__N_18offset_tEEE10hipError_tPvRmT1_PNSt15iterator_traitsISY_E10value_typeET2_T3_PNSZ_IS14_E10value_typeET4_jRbjT5_S1A_jjP12ihipStream_tbEUljE_EEESV_SW_SX_S14_S18_S1A_T6_T7_T9_mT8_S1C_bDpT10_ENKUlT_T0_E_clISt17integral_constantIbLb0EES1O_IbLb1EEEEDaS1K_S1L_EUlS1K_E_NS1_11comp_targetILNS1_3genE9ELNS1_11target_archE1100ELNS1_3gpuE3ELNS1_3repE0EEENS1_30default_config_static_selectorELNS0_4arch9wavefront6targetE1EEEvSY_
                                        ; -- End function
	.set _ZN7rocprim17ROCPRIM_400000_NS6detail17trampoline_kernelINS0_13select_configILj256ELj13ELNS0_17block_load_methodE3ELS4_3ELS4_3ELNS0_20block_scan_algorithmE0ELj4294967295EEENS1_25partition_config_selectorILNS1_17partition_subalgoE3EjNS0_10empty_typeEbEEZZNS1_14partition_implILS8_3ELb0ES6_jNS0_17counting_iteratorIjlEEPS9_SE_NS0_5tupleIJPjSE_EEENSF_IJSE_SE_EEES9_SG_JZNS1_25segmented_radix_sort_implINS0_14default_configELb0EPKbPbPKlPlN2at6native12_GLOBAL__N_18offset_tEEE10hipError_tPvRmT1_PNSt15iterator_traitsISY_E10value_typeET2_T3_PNSZ_IS14_E10value_typeET4_jRbjT5_S1A_jjP12ihipStream_tbEUljE_EEESV_SW_SX_S14_S18_S1A_T6_T7_T9_mT8_S1C_bDpT10_ENKUlT_T0_E_clISt17integral_constantIbLb0EES1O_IbLb1EEEEDaS1K_S1L_EUlS1K_E_NS1_11comp_targetILNS1_3genE9ELNS1_11target_archE1100ELNS1_3gpuE3ELNS1_3repE0EEENS1_30default_config_static_selectorELNS0_4arch9wavefront6targetE1EEEvSY_.num_vgpr, 0
	.set _ZN7rocprim17ROCPRIM_400000_NS6detail17trampoline_kernelINS0_13select_configILj256ELj13ELNS0_17block_load_methodE3ELS4_3ELS4_3ELNS0_20block_scan_algorithmE0ELj4294967295EEENS1_25partition_config_selectorILNS1_17partition_subalgoE3EjNS0_10empty_typeEbEEZZNS1_14partition_implILS8_3ELb0ES6_jNS0_17counting_iteratorIjlEEPS9_SE_NS0_5tupleIJPjSE_EEENSF_IJSE_SE_EEES9_SG_JZNS1_25segmented_radix_sort_implINS0_14default_configELb0EPKbPbPKlPlN2at6native12_GLOBAL__N_18offset_tEEE10hipError_tPvRmT1_PNSt15iterator_traitsISY_E10value_typeET2_T3_PNSZ_IS14_E10value_typeET4_jRbjT5_S1A_jjP12ihipStream_tbEUljE_EEESV_SW_SX_S14_S18_S1A_T6_T7_T9_mT8_S1C_bDpT10_ENKUlT_T0_E_clISt17integral_constantIbLb0EES1O_IbLb1EEEEDaS1K_S1L_EUlS1K_E_NS1_11comp_targetILNS1_3genE9ELNS1_11target_archE1100ELNS1_3gpuE3ELNS1_3repE0EEENS1_30default_config_static_selectorELNS0_4arch9wavefront6targetE1EEEvSY_.num_agpr, 0
	.set _ZN7rocprim17ROCPRIM_400000_NS6detail17trampoline_kernelINS0_13select_configILj256ELj13ELNS0_17block_load_methodE3ELS4_3ELS4_3ELNS0_20block_scan_algorithmE0ELj4294967295EEENS1_25partition_config_selectorILNS1_17partition_subalgoE3EjNS0_10empty_typeEbEEZZNS1_14partition_implILS8_3ELb0ES6_jNS0_17counting_iteratorIjlEEPS9_SE_NS0_5tupleIJPjSE_EEENSF_IJSE_SE_EEES9_SG_JZNS1_25segmented_radix_sort_implINS0_14default_configELb0EPKbPbPKlPlN2at6native12_GLOBAL__N_18offset_tEEE10hipError_tPvRmT1_PNSt15iterator_traitsISY_E10value_typeET2_T3_PNSZ_IS14_E10value_typeET4_jRbjT5_S1A_jjP12ihipStream_tbEUljE_EEESV_SW_SX_S14_S18_S1A_T6_T7_T9_mT8_S1C_bDpT10_ENKUlT_T0_E_clISt17integral_constantIbLb0EES1O_IbLb1EEEEDaS1K_S1L_EUlS1K_E_NS1_11comp_targetILNS1_3genE9ELNS1_11target_archE1100ELNS1_3gpuE3ELNS1_3repE0EEENS1_30default_config_static_selectorELNS0_4arch9wavefront6targetE1EEEvSY_.numbered_sgpr, 0
	.set _ZN7rocprim17ROCPRIM_400000_NS6detail17trampoline_kernelINS0_13select_configILj256ELj13ELNS0_17block_load_methodE3ELS4_3ELS4_3ELNS0_20block_scan_algorithmE0ELj4294967295EEENS1_25partition_config_selectorILNS1_17partition_subalgoE3EjNS0_10empty_typeEbEEZZNS1_14partition_implILS8_3ELb0ES6_jNS0_17counting_iteratorIjlEEPS9_SE_NS0_5tupleIJPjSE_EEENSF_IJSE_SE_EEES9_SG_JZNS1_25segmented_radix_sort_implINS0_14default_configELb0EPKbPbPKlPlN2at6native12_GLOBAL__N_18offset_tEEE10hipError_tPvRmT1_PNSt15iterator_traitsISY_E10value_typeET2_T3_PNSZ_IS14_E10value_typeET4_jRbjT5_S1A_jjP12ihipStream_tbEUljE_EEESV_SW_SX_S14_S18_S1A_T6_T7_T9_mT8_S1C_bDpT10_ENKUlT_T0_E_clISt17integral_constantIbLb0EES1O_IbLb1EEEEDaS1K_S1L_EUlS1K_E_NS1_11comp_targetILNS1_3genE9ELNS1_11target_archE1100ELNS1_3gpuE3ELNS1_3repE0EEENS1_30default_config_static_selectorELNS0_4arch9wavefront6targetE1EEEvSY_.num_named_barrier, 0
	.set _ZN7rocprim17ROCPRIM_400000_NS6detail17trampoline_kernelINS0_13select_configILj256ELj13ELNS0_17block_load_methodE3ELS4_3ELS4_3ELNS0_20block_scan_algorithmE0ELj4294967295EEENS1_25partition_config_selectorILNS1_17partition_subalgoE3EjNS0_10empty_typeEbEEZZNS1_14partition_implILS8_3ELb0ES6_jNS0_17counting_iteratorIjlEEPS9_SE_NS0_5tupleIJPjSE_EEENSF_IJSE_SE_EEES9_SG_JZNS1_25segmented_radix_sort_implINS0_14default_configELb0EPKbPbPKlPlN2at6native12_GLOBAL__N_18offset_tEEE10hipError_tPvRmT1_PNSt15iterator_traitsISY_E10value_typeET2_T3_PNSZ_IS14_E10value_typeET4_jRbjT5_S1A_jjP12ihipStream_tbEUljE_EEESV_SW_SX_S14_S18_S1A_T6_T7_T9_mT8_S1C_bDpT10_ENKUlT_T0_E_clISt17integral_constantIbLb0EES1O_IbLb1EEEEDaS1K_S1L_EUlS1K_E_NS1_11comp_targetILNS1_3genE9ELNS1_11target_archE1100ELNS1_3gpuE3ELNS1_3repE0EEENS1_30default_config_static_selectorELNS0_4arch9wavefront6targetE1EEEvSY_.private_seg_size, 0
	.set _ZN7rocprim17ROCPRIM_400000_NS6detail17trampoline_kernelINS0_13select_configILj256ELj13ELNS0_17block_load_methodE3ELS4_3ELS4_3ELNS0_20block_scan_algorithmE0ELj4294967295EEENS1_25partition_config_selectorILNS1_17partition_subalgoE3EjNS0_10empty_typeEbEEZZNS1_14partition_implILS8_3ELb0ES6_jNS0_17counting_iteratorIjlEEPS9_SE_NS0_5tupleIJPjSE_EEENSF_IJSE_SE_EEES9_SG_JZNS1_25segmented_radix_sort_implINS0_14default_configELb0EPKbPbPKlPlN2at6native12_GLOBAL__N_18offset_tEEE10hipError_tPvRmT1_PNSt15iterator_traitsISY_E10value_typeET2_T3_PNSZ_IS14_E10value_typeET4_jRbjT5_S1A_jjP12ihipStream_tbEUljE_EEESV_SW_SX_S14_S18_S1A_T6_T7_T9_mT8_S1C_bDpT10_ENKUlT_T0_E_clISt17integral_constantIbLb0EES1O_IbLb1EEEEDaS1K_S1L_EUlS1K_E_NS1_11comp_targetILNS1_3genE9ELNS1_11target_archE1100ELNS1_3gpuE3ELNS1_3repE0EEENS1_30default_config_static_selectorELNS0_4arch9wavefront6targetE1EEEvSY_.uses_vcc, 0
	.set _ZN7rocprim17ROCPRIM_400000_NS6detail17trampoline_kernelINS0_13select_configILj256ELj13ELNS0_17block_load_methodE3ELS4_3ELS4_3ELNS0_20block_scan_algorithmE0ELj4294967295EEENS1_25partition_config_selectorILNS1_17partition_subalgoE3EjNS0_10empty_typeEbEEZZNS1_14partition_implILS8_3ELb0ES6_jNS0_17counting_iteratorIjlEEPS9_SE_NS0_5tupleIJPjSE_EEENSF_IJSE_SE_EEES9_SG_JZNS1_25segmented_radix_sort_implINS0_14default_configELb0EPKbPbPKlPlN2at6native12_GLOBAL__N_18offset_tEEE10hipError_tPvRmT1_PNSt15iterator_traitsISY_E10value_typeET2_T3_PNSZ_IS14_E10value_typeET4_jRbjT5_S1A_jjP12ihipStream_tbEUljE_EEESV_SW_SX_S14_S18_S1A_T6_T7_T9_mT8_S1C_bDpT10_ENKUlT_T0_E_clISt17integral_constantIbLb0EES1O_IbLb1EEEEDaS1K_S1L_EUlS1K_E_NS1_11comp_targetILNS1_3genE9ELNS1_11target_archE1100ELNS1_3gpuE3ELNS1_3repE0EEENS1_30default_config_static_selectorELNS0_4arch9wavefront6targetE1EEEvSY_.uses_flat_scratch, 0
	.set _ZN7rocprim17ROCPRIM_400000_NS6detail17trampoline_kernelINS0_13select_configILj256ELj13ELNS0_17block_load_methodE3ELS4_3ELS4_3ELNS0_20block_scan_algorithmE0ELj4294967295EEENS1_25partition_config_selectorILNS1_17partition_subalgoE3EjNS0_10empty_typeEbEEZZNS1_14partition_implILS8_3ELb0ES6_jNS0_17counting_iteratorIjlEEPS9_SE_NS0_5tupleIJPjSE_EEENSF_IJSE_SE_EEES9_SG_JZNS1_25segmented_radix_sort_implINS0_14default_configELb0EPKbPbPKlPlN2at6native12_GLOBAL__N_18offset_tEEE10hipError_tPvRmT1_PNSt15iterator_traitsISY_E10value_typeET2_T3_PNSZ_IS14_E10value_typeET4_jRbjT5_S1A_jjP12ihipStream_tbEUljE_EEESV_SW_SX_S14_S18_S1A_T6_T7_T9_mT8_S1C_bDpT10_ENKUlT_T0_E_clISt17integral_constantIbLb0EES1O_IbLb1EEEEDaS1K_S1L_EUlS1K_E_NS1_11comp_targetILNS1_3genE9ELNS1_11target_archE1100ELNS1_3gpuE3ELNS1_3repE0EEENS1_30default_config_static_selectorELNS0_4arch9wavefront6targetE1EEEvSY_.has_dyn_sized_stack, 0
	.set _ZN7rocprim17ROCPRIM_400000_NS6detail17trampoline_kernelINS0_13select_configILj256ELj13ELNS0_17block_load_methodE3ELS4_3ELS4_3ELNS0_20block_scan_algorithmE0ELj4294967295EEENS1_25partition_config_selectorILNS1_17partition_subalgoE3EjNS0_10empty_typeEbEEZZNS1_14partition_implILS8_3ELb0ES6_jNS0_17counting_iteratorIjlEEPS9_SE_NS0_5tupleIJPjSE_EEENSF_IJSE_SE_EEES9_SG_JZNS1_25segmented_radix_sort_implINS0_14default_configELb0EPKbPbPKlPlN2at6native12_GLOBAL__N_18offset_tEEE10hipError_tPvRmT1_PNSt15iterator_traitsISY_E10value_typeET2_T3_PNSZ_IS14_E10value_typeET4_jRbjT5_S1A_jjP12ihipStream_tbEUljE_EEESV_SW_SX_S14_S18_S1A_T6_T7_T9_mT8_S1C_bDpT10_ENKUlT_T0_E_clISt17integral_constantIbLb0EES1O_IbLb1EEEEDaS1K_S1L_EUlS1K_E_NS1_11comp_targetILNS1_3genE9ELNS1_11target_archE1100ELNS1_3gpuE3ELNS1_3repE0EEENS1_30default_config_static_selectorELNS0_4arch9wavefront6targetE1EEEvSY_.has_recursion, 0
	.set _ZN7rocprim17ROCPRIM_400000_NS6detail17trampoline_kernelINS0_13select_configILj256ELj13ELNS0_17block_load_methodE3ELS4_3ELS4_3ELNS0_20block_scan_algorithmE0ELj4294967295EEENS1_25partition_config_selectorILNS1_17partition_subalgoE3EjNS0_10empty_typeEbEEZZNS1_14partition_implILS8_3ELb0ES6_jNS0_17counting_iteratorIjlEEPS9_SE_NS0_5tupleIJPjSE_EEENSF_IJSE_SE_EEES9_SG_JZNS1_25segmented_radix_sort_implINS0_14default_configELb0EPKbPbPKlPlN2at6native12_GLOBAL__N_18offset_tEEE10hipError_tPvRmT1_PNSt15iterator_traitsISY_E10value_typeET2_T3_PNSZ_IS14_E10value_typeET4_jRbjT5_S1A_jjP12ihipStream_tbEUljE_EEESV_SW_SX_S14_S18_S1A_T6_T7_T9_mT8_S1C_bDpT10_ENKUlT_T0_E_clISt17integral_constantIbLb0EES1O_IbLb1EEEEDaS1K_S1L_EUlS1K_E_NS1_11comp_targetILNS1_3genE9ELNS1_11target_archE1100ELNS1_3gpuE3ELNS1_3repE0EEENS1_30default_config_static_selectorELNS0_4arch9wavefront6targetE1EEEvSY_.has_indirect_call, 0
	.section	.AMDGPU.csdata,"",@progbits
; Kernel info:
; codeLenInByte = 0
; TotalNumSgprs: 4
; NumVgprs: 0
; ScratchSize: 0
; MemoryBound: 0
; FloatMode: 240
; IeeeMode: 1
; LDSByteSize: 0 bytes/workgroup (compile time only)
; SGPRBlocks: 0
; VGPRBlocks: 0
; NumSGPRsForWavesPerEU: 4
; NumVGPRsForWavesPerEU: 1
; Occupancy: 10
; WaveLimiterHint : 0
; COMPUTE_PGM_RSRC2:SCRATCH_EN: 0
; COMPUTE_PGM_RSRC2:USER_SGPR: 6
; COMPUTE_PGM_RSRC2:TRAP_HANDLER: 0
; COMPUTE_PGM_RSRC2:TGID_X_EN: 1
; COMPUTE_PGM_RSRC2:TGID_Y_EN: 0
; COMPUTE_PGM_RSRC2:TGID_Z_EN: 0
; COMPUTE_PGM_RSRC2:TIDIG_COMP_CNT: 0
	.section	.text._ZN7rocprim17ROCPRIM_400000_NS6detail17trampoline_kernelINS0_13select_configILj256ELj13ELNS0_17block_load_methodE3ELS4_3ELS4_3ELNS0_20block_scan_algorithmE0ELj4294967295EEENS1_25partition_config_selectorILNS1_17partition_subalgoE3EjNS0_10empty_typeEbEEZZNS1_14partition_implILS8_3ELb0ES6_jNS0_17counting_iteratorIjlEEPS9_SE_NS0_5tupleIJPjSE_EEENSF_IJSE_SE_EEES9_SG_JZNS1_25segmented_radix_sort_implINS0_14default_configELb0EPKbPbPKlPlN2at6native12_GLOBAL__N_18offset_tEEE10hipError_tPvRmT1_PNSt15iterator_traitsISY_E10value_typeET2_T3_PNSZ_IS14_E10value_typeET4_jRbjT5_S1A_jjP12ihipStream_tbEUljE_EEESV_SW_SX_S14_S18_S1A_T6_T7_T9_mT8_S1C_bDpT10_ENKUlT_T0_E_clISt17integral_constantIbLb0EES1O_IbLb1EEEEDaS1K_S1L_EUlS1K_E_NS1_11comp_targetILNS1_3genE8ELNS1_11target_archE1030ELNS1_3gpuE2ELNS1_3repE0EEENS1_30default_config_static_selectorELNS0_4arch9wavefront6targetE1EEEvSY_,"axG",@progbits,_ZN7rocprim17ROCPRIM_400000_NS6detail17trampoline_kernelINS0_13select_configILj256ELj13ELNS0_17block_load_methodE3ELS4_3ELS4_3ELNS0_20block_scan_algorithmE0ELj4294967295EEENS1_25partition_config_selectorILNS1_17partition_subalgoE3EjNS0_10empty_typeEbEEZZNS1_14partition_implILS8_3ELb0ES6_jNS0_17counting_iteratorIjlEEPS9_SE_NS0_5tupleIJPjSE_EEENSF_IJSE_SE_EEES9_SG_JZNS1_25segmented_radix_sort_implINS0_14default_configELb0EPKbPbPKlPlN2at6native12_GLOBAL__N_18offset_tEEE10hipError_tPvRmT1_PNSt15iterator_traitsISY_E10value_typeET2_T3_PNSZ_IS14_E10value_typeET4_jRbjT5_S1A_jjP12ihipStream_tbEUljE_EEESV_SW_SX_S14_S18_S1A_T6_T7_T9_mT8_S1C_bDpT10_ENKUlT_T0_E_clISt17integral_constantIbLb0EES1O_IbLb1EEEEDaS1K_S1L_EUlS1K_E_NS1_11comp_targetILNS1_3genE8ELNS1_11target_archE1030ELNS1_3gpuE2ELNS1_3repE0EEENS1_30default_config_static_selectorELNS0_4arch9wavefront6targetE1EEEvSY_,comdat
	.globl	_ZN7rocprim17ROCPRIM_400000_NS6detail17trampoline_kernelINS0_13select_configILj256ELj13ELNS0_17block_load_methodE3ELS4_3ELS4_3ELNS0_20block_scan_algorithmE0ELj4294967295EEENS1_25partition_config_selectorILNS1_17partition_subalgoE3EjNS0_10empty_typeEbEEZZNS1_14partition_implILS8_3ELb0ES6_jNS0_17counting_iteratorIjlEEPS9_SE_NS0_5tupleIJPjSE_EEENSF_IJSE_SE_EEES9_SG_JZNS1_25segmented_radix_sort_implINS0_14default_configELb0EPKbPbPKlPlN2at6native12_GLOBAL__N_18offset_tEEE10hipError_tPvRmT1_PNSt15iterator_traitsISY_E10value_typeET2_T3_PNSZ_IS14_E10value_typeET4_jRbjT5_S1A_jjP12ihipStream_tbEUljE_EEESV_SW_SX_S14_S18_S1A_T6_T7_T9_mT8_S1C_bDpT10_ENKUlT_T0_E_clISt17integral_constantIbLb0EES1O_IbLb1EEEEDaS1K_S1L_EUlS1K_E_NS1_11comp_targetILNS1_3genE8ELNS1_11target_archE1030ELNS1_3gpuE2ELNS1_3repE0EEENS1_30default_config_static_selectorELNS0_4arch9wavefront6targetE1EEEvSY_ ; -- Begin function _ZN7rocprim17ROCPRIM_400000_NS6detail17trampoline_kernelINS0_13select_configILj256ELj13ELNS0_17block_load_methodE3ELS4_3ELS4_3ELNS0_20block_scan_algorithmE0ELj4294967295EEENS1_25partition_config_selectorILNS1_17partition_subalgoE3EjNS0_10empty_typeEbEEZZNS1_14partition_implILS8_3ELb0ES6_jNS0_17counting_iteratorIjlEEPS9_SE_NS0_5tupleIJPjSE_EEENSF_IJSE_SE_EEES9_SG_JZNS1_25segmented_radix_sort_implINS0_14default_configELb0EPKbPbPKlPlN2at6native12_GLOBAL__N_18offset_tEEE10hipError_tPvRmT1_PNSt15iterator_traitsISY_E10value_typeET2_T3_PNSZ_IS14_E10value_typeET4_jRbjT5_S1A_jjP12ihipStream_tbEUljE_EEESV_SW_SX_S14_S18_S1A_T6_T7_T9_mT8_S1C_bDpT10_ENKUlT_T0_E_clISt17integral_constantIbLb0EES1O_IbLb1EEEEDaS1K_S1L_EUlS1K_E_NS1_11comp_targetILNS1_3genE8ELNS1_11target_archE1030ELNS1_3gpuE2ELNS1_3repE0EEENS1_30default_config_static_selectorELNS0_4arch9wavefront6targetE1EEEvSY_
	.p2align	8
	.type	_ZN7rocprim17ROCPRIM_400000_NS6detail17trampoline_kernelINS0_13select_configILj256ELj13ELNS0_17block_load_methodE3ELS4_3ELS4_3ELNS0_20block_scan_algorithmE0ELj4294967295EEENS1_25partition_config_selectorILNS1_17partition_subalgoE3EjNS0_10empty_typeEbEEZZNS1_14partition_implILS8_3ELb0ES6_jNS0_17counting_iteratorIjlEEPS9_SE_NS0_5tupleIJPjSE_EEENSF_IJSE_SE_EEES9_SG_JZNS1_25segmented_radix_sort_implINS0_14default_configELb0EPKbPbPKlPlN2at6native12_GLOBAL__N_18offset_tEEE10hipError_tPvRmT1_PNSt15iterator_traitsISY_E10value_typeET2_T3_PNSZ_IS14_E10value_typeET4_jRbjT5_S1A_jjP12ihipStream_tbEUljE_EEESV_SW_SX_S14_S18_S1A_T6_T7_T9_mT8_S1C_bDpT10_ENKUlT_T0_E_clISt17integral_constantIbLb0EES1O_IbLb1EEEEDaS1K_S1L_EUlS1K_E_NS1_11comp_targetILNS1_3genE8ELNS1_11target_archE1030ELNS1_3gpuE2ELNS1_3repE0EEENS1_30default_config_static_selectorELNS0_4arch9wavefront6targetE1EEEvSY_,@function
_ZN7rocprim17ROCPRIM_400000_NS6detail17trampoline_kernelINS0_13select_configILj256ELj13ELNS0_17block_load_methodE3ELS4_3ELS4_3ELNS0_20block_scan_algorithmE0ELj4294967295EEENS1_25partition_config_selectorILNS1_17partition_subalgoE3EjNS0_10empty_typeEbEEZZNS1_14partition_implILS8_3ELb0ES6_jNS0_17counting_iteratorIjlEEPS9_SE_NS0_5tupleIJPjSE_EEENSF_IJSE_SE_EEES9_SG_JZNS1_25segmented_radix_sort_implINS0_14default_configELb0EPKbPbPKlPlN2at6native12_GLOBAL__N_18offset_tEEE10hipError_tPvRmT1_PNSt15iterator_traitsISY_E10value_typeET2_T3_PNSZ_IS14_E10value_typeET4_jRbjT5_S1A_jjP12ihipStream_tbEUljE_EEESV_SW_SX_S14_S18_S1A_T6_T7_T9_mT8_S1C_bDpT10_ENKUlT_T0_E_clISt17integral_constantIbLb0EES1O_IbLb1EEEEDaS1K_S1L_EUlS1K_E_NS1_11comp_targetILNS1_3genE8ELNS1_11target_archE1030ELNS1_3gpuE2ELNS1_3repE0EEENS1_30default_config_static_selectorELNS0_4arch9wavefront6targetE1EEEvSY_: ; @_ZN7rocprim17ROCPRIM_400000_NS6detail17trampoline_kernelINS0_13select_configILj256ELj13ELNS0_17block_load_methodE3ELS4_3ELS4_3ELNS0_20block_scan_algorithmE0ELj4294967295EEENS1_25partition_config_selectorILNS1_17partition_subalgoE3EjNS0_10empty_typeEbEEZZNS1_14partition_implILS8_3ELb0ES6_jNS0_17counting_iteratorIjlEEPS9_SE_NS0_5tupleIJPjSE_EEENSF_IJSE_SE_EEES9_SG_JZNS1_25segmented_radix_sort_implINS0_14default_configELb0EPKbPbPKlPlN2at6native12_GLOBAL__N_18offset_tEEE10hipError_tPvRmT1_PNSt15iterator_traitsISY_E10value_typeET2_T3_PNSZ_IS14_E10value_typeET4_jRbjT5_S1A_jjP12ihipStream_tbEUljE_EEESV_SW_SX_S14_S18_S1A_T6_T7_T9_mT8_S1C_bDpT10_ENKUlT_T0_E_clISt17integral_constantIbLb0EES1O_IbLb1EEEEDaS1K_S1L_EUlS1K_E_NS1_11comp_targetILNS1_3genE8ELNS1_11target_archE1030ELNS1_3gpuE2ELNS1_3repE0EEENS1_30default_config_static_selectorELNS0_4arch9wavefront6targetE1EEEvSY_
; %bb.0:
	.section	.rodata,"a",@progbits
	.p2align	6, 0x0
	.amdhsa_kernel _ZN7rocprim17ROCPRIM_400000_NS6detail17trampoline_kernelINS0_13select_configILj256ELj13ELNS0_17block_load_methodE3ELS4_3ELS4_3ELNS0_20block_scan_algorithmE0ELj4294967295EEENS1_25partition_config_selectorILNS1_17partition_subalgoE3EjNS0_10empty_typeEbEEZZNS1_14partition_implILS8_3ELb0ES6_jNS0_17counting_iteratorIjlEEPS9_SE_NS0_5tupleIJPjSE_EEENSF_IJSE_SE_EEES9_SG_JZNS1_25segmented_radix_sort_implINS0_14default_configELb0EPKbPbPKlPlN2at6native12_GLOBAL__N_18offset_tEEE10hipError_tPvRmT1_PNSt15iterator_traitsISY_E10value_typeET2_T3_PNSZ_IS14_E10value_typeET4_jRbjT5_S1A_jjP12ihipStream_tbEUljE_EEESV_SW_SX_S14_S18_S1A_T6_T7_T9_mT8_S1C_bDpT10_ENKUlT_T0_E_clISt17integral_constantIbLb0EES1O_IbLb1EEEEDaS1K_S1L_EUlS1K_E_NS1_11comp_targetILNS1_3genE8ELNS1_11target_archE1030ELNS1_3gpuE2ELNS1_3repE0EEENS1_30default_config_static_selectorELNS0_4arch9wavefront6targetE1EEEvSY_
		.amdhsa_group_segment_fixed_size 0
		.amdhsa_private_segment_fixed_size 0
		.amdhsa_kernarg_size 152
		.amdhsa_user_sgpr_count 6
		.amdhsa_user_sgpr_private_segment_buffer 1
		.amdhsa_user_sgpr_dispatch_ptr 0
		.amdhsa_user_sgpr_queue_ptr 0
		.amdhsa_user_sgpr_kernarg_segment_ptr 1
		.amdhsa_user_sgpr_dispatch_id 0
		.amdhsa_user_sgpr_flat_scratch_init 0
		.amdhsa_user_sgpr_private_segment_size 0
		.amdhsa_uses_dynamic_stack 0
		.amdhsa_system_sgpr_private_segment_wavefront_offset 0
		.amdhsa_system_sgpr_workgroup_id_x 1
		.amdhsa_system_sgpr_workgroup_id_y 0
		.amdhsa_system_sgpr_workgroup_id_z 0
		.amdhsa_system_sgpr_workgroup_info 0
		.amdhsa_system_vgpr_workitem_id 0
		.amdhsa_next_free_vgpr 1
		.amdhsa_next_free_sgpr 0
		.amdhsa_reserve_vcc 0
		.amdhsa_reserve_flat_scratch 0
		.amdhsa_float_round_mode_32 0
		.amdhsa_float_round_mode_16_64 0
		.amdhsa_float_denorm_mode_32 3
		.amdhsa_float_denorm_mode_16_64 3
		.amdhsa_dx10_clamp 1
		.amdhsa_ieee_mode 1
		.amdhsa_fp16_overflow 0
		.amdhsa_exception_fp_ieee_invalid_op 0
		.amdhsa_exception_fp_denorm_src 0
		.amdhsa_exception_fp_ieee_div_zero 0
		.amdhsa_exception_fp_ieee_overflow 0
		.amdhsa_exception_fp_ieee_underflow 0
		.amdhsa_exception_fp_ieee_inexact 0
		.amdhsa_exception_int_div_zero 0
	.end_amdhsa_kernel
	.section	.text._ZN7rocprim17ROCPRIM_400000_NS6detail17trampoline_kernelINS0_13select_configILj256ELj13ELNS0_17block_load_methodE3ELS4_3ELS4_3ELNS0_20block_scan_algorithmE0ELj4294967295EEENS1_25partition_config_selectorILNS1_17partition_subalgoE3EjNS0_10empty_typeEbEEZZNS1_14partition_implILS8_3ELb0ES6_jNS0_17counting_iteratorIjlEEPS9_SE_NS0_5tupleIJPjSE_EEENSF_IJSE_SE_EEES9_SG_JZNS1_25segmented_radix_sort_implINS0_14default_configELb0EPKbPbPKlPlN2at6native12_GLOBAL__N_18offset_tEEE10hipError_tPvRmT1_PNSt15iterator_traitsISY_E10value_typeET2_T3_PNSZ_IS14_E10value_typeET4_jRbjT5_S1A_jjP12ihipStream_tbEUljE_EEESV_SW_SX_S14_S18_S1A_T6_T7_T9_mT8_S1C_bDpT10_ENKUlT_T0_E_clISt17integral_constantIbLb0EES1O_IbLb1EEEEDaS1K_S1L_EUlS1K_E_NS1_11comp_targetILNS1_3genE8ELNS1_11target_archE1030ELNS1_3gpuE2ELNS1_3repE0EEENS1_30default_config_static_selectorELNS0_4arch9wavefront6targetE1EEEvSY_,"axG",@progbits,_ZN7rocprim17ROCPRIM_400000_NS6detail17trampoline_kernelINS0_13select_configILj256ELj13ELNS0_17block_load_methodE3ELS4_3ELS4_3ELNS0_20block_scan_algorithmE0ELj4294967295EEENS1_25partition_config_selectorILNS1_17partition_subalgoE3EjNS0_10empty_typeEbEEZZNS1_14partition_implILS8_3ELb0ES6_jNS0_17counting_iteratorIjlEEPS9_SE_NS0_5tupleIJPjSE_EEENSF_IJSE_SE_EEES9_SG_JZNS1_25segmented_radix_sort_implINS0_14default_configELb0EPKbPbPKlPlN2at6native12_GLOBAL__N_18offset_tEEE10hipError_tPvRmT1_PNSt15iterator_traitsISY_E10value_typeET2_T3_PNSZ_IS14_E10value_typeET4_jRbjT5_S1A_jjP12ihipStream_tbEUljE_EEESV_SW_SX_S14_S18_S1A_T6_T7_T9_mT8_S1C_bDpT10_ENKUlT_T0_E_clISt17integral_constantIbLb0EES1O_IbLb1EEEEDaS1K_S1L_EUlS1K_E_NS1_11comp_targetILNS1_3genE8ELNS1_11target_archE1030ELNS1_3gpuE2ELNS1_3repE0EEENS1_30default_config_static_selectorELNS0_4arch9wavefront6targetE1EEEvSY_,comdat
.Lfunc_end1634:
	.size	_ZN7rocprim17ROCPRIM_400000_NS6detail17trampoline_kernelINS0_13select_configILj256ELj13ELNS0_17block_load_methodE3ELS4_3ELS4_3ELNS0_20block_scan_algorithmE0ELj4294967295EEENS1_25partition_config_selectorILNS1_17partition_subalgoE3EjNS0_10empty_typeEbEEZZNS1_14partition_implILS8_3ELb0ES6_jNS0_17counting_iteratorIjlEEPS9_SE_NS0_5tupleIJPjSE_EEENSF_IJSE_SE_EEES9_SG_JZNS1_25segmented_radix_sort_implINS0_14default_configELb0EPKbPbPKlPlN2at6native12_GLOBAL__N_18offset_tEEE10hipError_tPvRmT1_PNSt15iterator_traitsISY_E10value_typeET2_T3_PNSZ_IS14_E10value_typeET4_jRbjT5_S1A_jjP12ihipStream_tbEUljE_EEESV_SW_SX_S14_S18_S1A_T6_T7_T9_mT8_S1C_bDpT10_ENKUlT_T0_E_clISt17integral_constantIbLb0EES1O_IbLb1EEEEDaS1K_S1L_EUlS1K_E_NS1_11comp_targetILNS1_3genE8ELNS1_11target_archE1030ELNS1_3gpuE2ELNS1_3repE0EEENS1_30default_config_static_selectorELNS0_4arch9wavefront6targetE1EEEvSY_, .Lfunc_end1634-_ZN7rocprim17ROCPRIM_400000_NS6detail17trampoline_kernelINS0_13select_configILj256ELj13ELNS0_17block_load_methodE3ELS4_3ELS4_3ELNS0_20block_scan_algorithmE0ELj4294967295EEENS1_25partition_config_selectorILNS1_17partition_subalgoE3EjNS0_10empty_typeEbEEZZNS1_14partition_implILS8_3ELb0ES6_jNS0_17counting_iteratorIjlEEPS9_SE_NS0_5tupleIJPjSE_EEENSF_IJSE_SE_EEES9_SG_JZNS1_25segmented_radix_sort_implINS0_14default_configELb0EPKbPbPKlPlN2at6native12_GLOBAL__N_18offset_tEEE10hipError_tPvRmT1_PNSt15iterator_traitsISY_E10value_typeET2_T3_PNSZ_IS14_E10value_typeET4_jRbjT5_S1A_jjP12ihipStream_tbEUljE_EEESV_SW_SX_S14_S18_S1A_T6_T7_T9_mT8_S1C_bDpT10_ENKUlT_T0_E_clISt17integral_constantIbLb0EES1O_IbLb1EEEEDaS1K_S1L_EUlS1K_E_NS1_11comp_targetILNS1_3genE8ELNS1_11target_archE1030ELNS1_3gpuE2ELNS1_3repE0EEENS1_30default_config_static_selectorELNS0_4arch9wavefront6targetE1EEEvSY_
                                        ; -- End function
	.set _ZN7rocprim17ROCPRIM_400000_NS6detail17trampoline_kernelINS0_13select_configILj256ELj13ELNS0_17block_load_methodE3ELS4_3ELS4_3ELNS0_20block_scan_algorithmE0ELj4294967295EEENS1_25partition_config_selectorILNS1_17partition_subalgoE3EjNS0_10empty_typeEbEEZZNS1_14partition_implILS8_3ELb0ES6_jNS0_17counting_iteratorIjlEEPS9_SE_NS0_5tupleIJPjSE_EEENSF_IJSE_SE_EEES9_SG_JZNS1_25segmented_radix_sort_implINS0_14default_configELb0EPKbPbPKlPlN2at6native12_GLOBAL__N_18offset_tEEE10hipError_tPvRmT1_PNSt15iterator_traitsISY_E10value_typeET2_T3_PNSZ_IS14_E10value_typeET4_jRbjT5_S1A_jjP12ihipStream_tbEUljE_EEESV_SW_SX_S14_S18_S1A_T6_T7_T9_mT8_S1C_bDpT10_ENKUlT_T0_E_clISt17integral_constantIbLb0EES1O_IbLb1EEEEDaS1K_S1L_EUlS1K_E_NS1_11comp_targetILNS1_3genE8ELNS1_11target_archE1030ELNS1_3gpuE2ELNS1_3repE0EEENS1_30default_config_static_selectorELNS0_4arch9wavefront6targetE1EEEvSY_.num_vgpr, 0
	.set _ZN7rocprim17ROCPRIM_400000_NS6detail17trampoline_kernelINS0_13select_configILj256ELj13ELNS0_17block_load_methodE3ELS4_3ELS4_3ELNS0_20block_scan_algorithmE0ELj4294967295EEENS1_25partition_config_selectorILNS1_17partition_subalgoE3EjNS0_10empty_typeEbEEZZNS1_14partition_implILS8_3ELb0ES6_jNS0_17counting_iteratorIjlEEPS9_SE_NS0_5tupleIJPjSE_EEENSF_IJSE_SE_EEES9_SG_JZNS1_25segmented_radix_sort_implINS0_14default_configELb0EPKbPbPKlPlN2at6native12_GLOBAL__N_18offset_tEEE10hipError_tPvRmT1_PNSt15iterator_traitsISY_E10value_typeET2_T3_PNSZ_IS14_E10value_typeET4_jRbjT5_S1A_jjP12ihipStream_tbEUljE_EEESV_SW_SX_S14_S18_S1A_T6_T7_T9_mT8_S1C_bDpT10_ENKUlT_T0_E_clISt17integral_constantIbLb0EES1O_IbLb1EEEEDaS1K_S1L_EUlS1K_E_NS1_11comp_targetILNS1_3genE8ELNS1_11target_archE1030ELNS1_3gpuE2ELNS1_3repE0EEENS1_30default_config_static_selectorELNS0_4arch9wavefront6targetE1EEEvSY_.num_agpr, 0
	.set _ZN7rocprim17ROCPRIM_400000_NS6detail17trampoline_kernelINS0_13select_configILj256ELj13ELNS0_17block_load_methodE3ELS4_3ELS4_3ELNS0_20block_scan_algorithmE0ELj4294967295EEENS1_25partition_config_selectorILNS1_17partition_subalgoE3EjNS0_10empty_typeEbEEZZNS1_14partition_implILS8_3ELb0ES6_jNS0_17counting_iteratorIjlEEPS9_SE_NS0_5tupleIJPjSE_EEENSF_IJSE_SE_EEES9_SG_JZNS1_25segmented_radix_sort_implINS0_14default_configELb0EPKbPbPKlPlN2at6native12_GLOBAL__N_18offset_tEEE10hipError_tPvRmT1_PNSt15iterator_traitsISY_E10value_typeET2_T3_PNSZ_IS14_E10value_typeET4_jRbjT5_S1A_jjP12ihipStream_tbEUljE_EEESV_SW_SX_S14_S18_S1A_T6_T7_T9_mT8_S1C_bDpT10_ENKUlT_T0_E_clISt17integral_constantIbLb0EES1O_IbLb1EEEEDaS1K_S1L_EUlS1K_E_NS1_11comp_targetILNS1_3genE8ELNS1_11target_archE1030ELNS1_3gpuE2ELNS1_3repE0EEENS1_30default_config_static_selectorELNS0_4arch9wavefront6targetE1EEEvSY_.numbered_sgpr, 0
	.set _ZN7rocprim17ROCPRIM_400000_NS6detail17trampoline_kernelINS0_13select_configILj256ELj13ELNS0_17block_load_methodE3ELS4_3ELS4_3ELNS0_20block_scan_algorithmE0ELj4294967295EEENS1_25partition_config_selectorILNS1_17partition_subalgoE3EjNS0_10empty_typeEbEEZZNS1_14partition_implILS8_3ELb0ES6_jNS0_17counting_iteratorIjlEEPS9_SE_NS0_5tupleIJPjSE_EEENSF_IJSE_SE_EEES9_SG_JZNS1_25segmented_radix_sort_implINS0_14default_configELb0EPKbPbPKlPlN2at6native12_GLOBAL__N_18offset_tEEE10hipError_tPvRmT1_PNSt15iterator_traitsISY_E10value_typeET2_T3_PNSZ_IS14_E10value_typeET4_jRbjT5_S1A_jjP12ihipStream_tbEUljE_EEESV_SW_SX_S14_S18_S1A_T6_T7_T9_mT8_S1C_bDpT10_ENKUlT_T0_E_clISt17integral_constantIbLb0EES1O_IbLb1EEEEDaS1K_S1L_EUlS1K_E_NS1_11comp_targetILNS1_3genE8ELNS1_11target_archE1030ELNS1_3gpuE2ELNS1_3repE0EEENS1_30default_config_static_selectorELNS0_4arch9wavefront6targetE1EEEvSY_.num_named_barrier, 0
	.set _ZN7rocprim17ROCPRIM_400000_NS6detail17trampoline_kernelINS0_13select_configILj256ELj13ELNS0_17block_load_methodE3ELS4_3ELS4_3ELNS0_20block_scan_algorithmE0ELj4294967295EEENS1_25partition_config_selectorILNS1_17partition_subalgoE3EjNS0_10empty_typeEbEEZZNS1_14partition_implILS8_3ELb0ES6_jNS0_17counting_iteratorIjlEEPS9_SE_NS0_5tupleIJPjSE_EEENSF_IJSE_SE_EEES9_SG_JZNS1_25segmented_radix_sort_implINS0_14default_configELb0EPKbPbPKlPlN2at6native12_GLOBAL__N_18offset_tEEE10hipError_tPvRmT1_PNSt15iterator_traitsISY_E10value_typeET2_T3_PNSZ_IS14_E10value_typeET4_jRbjT5_S1A_jjP12ihipStream_tbEUljE_EEESV_SW_SX_S14_S18_S1A_T6_T7_T9_mT8_S1C_bDpT10_ENKUlT_T0_E_clISt17integral_constantIbLb0EES1O_IbLb1EEEEDaS1K_S1L_EUlS1K_E_NS1_11comp_targetILNS1_3genE8ELNS1_11target_archE1030ELNS1_3gpuE2ELNS1_3repE0EEENS1_30default_config_static_selectorELNS0_4arch9wavefront6targetE1EEEvSY_.private_seg_size, 0
	.set _ZN7rocprim17ROCPRIM_400000_NS6detail17trampoline_kernelINS0_13select_configILj256ELj13ELNS0_17block_load_methodE3ELS4_3ELS4_3ELNS0_20block_scan_algorithmE0ELj4294967295EEENS1_25partition_config_selectorILNS1_17partition_subalgoE3EjNS0_10empty_typeEbEEZZNS1_14partition_implILS8_3ELb0ES6_jNS0_17counting_iteratorIjlEEPS9_SE_NS0_5tupleIJPjSE_EEENSF_IJSE_SE_EEES9_SG_JZNS1_25segmented_radix_sort_implINS0_14default_configELb0EPKbPbPKlPlN2at6native12_GLOBAL__N_18offset_tEEE10hipError_tPvRmT1_PNSt15iterator_traitsISY_E10value_typeET2_T3_PNSZ_IS14_E10value_typeET4_jRbjT5_S1A_jjP12ihipStream_tbEUljE_EEESV_SW_SX_S14_S18_S1A_T6_T7_T9_mT8_S1C_bDpT10_ENKUlT_T0_E_clISt17integral_constantIbLb0EES1O_IbLb1EEEEDaS1K_S1L_EUlS1K_E_NS1_11comp_targetILNS1_3genE8ELNS1_11target_archE1030ELNS1_3gpuE2ELNS1_3repE0EEENS1_30default_config_static_selectorELNS0_4arch9wavefront6targetE1EEEvSY_.uses_vcc, 0
	.set _ZN7rocprim17ROCPRIM_400000_NS6detail17trampoline_kernelINS0_13select_configILj256ELj13ELNS0_17block_load_methodE3ELS4_3ELS4_3ELNS0_20block_scan_algorithmE0ELj4294967295EEENS1_25partition_config_selectorILNS1_17partition_subalgoE3EjNS0_10empty_typeEbEEZZNS1_14partition_implILS8_3ELb0ES6_jNS0_17counting_iteratorIjlEEPS9_SE_NS0_5tupleIJPjSE_EEENSF_IJSE_SE_EEES9_SG_JZNS1_25segmented_radix_sort_implINS0_14default_configELb0EPKbPbPKlPlN2at6native12_GLOBAL__N_18offset_tEEE10hipError_tPvRmT1_PNSt15iterator_traitsISY_E10value_typeET2_T3_PNSZ_IS14_E10value_typeET4_jRbjT5_S1A_jjP12ihipStream_tbEUljE_EEESV_SW_SX_S14_S18_S1A_T6_T7_T9_mT8_S1C_bDpT10_ENKUlT_T0_E_clISt17integral_constantIbLb0EES1O_IbLb1EEEEDaS1K_S1L_EUlS1K_E_NS1_11comp_targetILNS1_3genE8ELNS1_11target_archE1030ELNS1_3gpuE2ELNS1_3repE0EEENS1_30default_config_static_selectorELNS0_4arch9wavefront6targetE1EEEvSY_.uses_flat_scratch, 0
	.set _ZN7rocprim17ROCPRIM_400000_NS6detail17trampoline_kernelINS0_13select_configILj256ELj13ELNS0_17block_load_methodE3ELS4_3ELS4_3ELNS0_20block_scan_algorithmE0ELj4294967295EEENS1_25partition_config_selectorILNS1_17partition_subalgoE3EjNS0_10empty_typeEbEEZZNS1_14partition_implILS8_3ELb0ES6_jNS0_17counting_iteratorIjlEEPS9_SE_NS0_5tupleIJPjSE_EEENSF_IJSE_SE_EEES9_SG_JZNS1_25segmented_radix_sort_implINS0_14default_configELb0EPKbPbPKlPlN2at6native12_GLOBAL__N_18offset_tEEE10hipError_tPvRmT1_PNSt15iterator_traitsISY_E10value_typeET2_T3_PNSZ_IS14_E10value_typeET4_jRbjT5_S1A_jjP12ihipStream_tbEUljE_EEESV_SW_SX_S14_S18_S1A_T6_T7_T9_mT8_S1C_bDpT10_ENKUlT_T0_E_clISt17integral_constantIbLb0EES1O_IbLb1EEEEDaS1K_S1L_EUlS1K_E_NS1_11comp_targetILNS1_3genE8ELNS1_11target_archE1030ELNS1_3gpuE2ELNS1_3repE0EEENS1_30default_config_static_selectorELNS0_4arch9wavefront6targetE1EEEvSY_.has_dyn_sized_stack, 0
	.set _ZN7rocprim17ROCPRIM_400000_NS6detail17trampoline_kernelINS0_13select_configILj256ELj13ELNS0_17block_load_methodE3ELS4_3ELS4_3ELNS0_20block_scan_algorithmE0ELj4294967295EEENS1_25partition_config_selectorILNS1_17partition_subalgoE3EjNS0_10empty_typeEbEEZZNS1_14partition_implILS8_3ELb0ES6_jNS0_17counting_iteratorIjlEEPS9_SE_NS0_5tupleIJPjSE_EEENSF_IJSE_SE_EEES9_SG_JZNS1_25segmented_radix_sort_implINS0_14default_configELb0EPKbPbPKlPlN2at6native12_GLOBAL__N_18offset_tEEE10hipError_tPvRmT1_PNSt15iterator_traitsISY_E10value_typeET2_T3_PNSZ_IS14_E10value_typeET4_jRbjT5_S1A_jjP12ihipStream_tbEUljE_EEESV_SW_SX_S14_S18_S1A_T6_T7_T9_mT8_S1C_bDpT10_ENKUlT_T0_E_clISt17integral_constantIbLb0EES1O_IbLb1EEEEDaS1K_S1L_EUlS1K_E_NS1_11comp_targetILNS1_3genE8ELNS1_11target_archE1030ELNS1_3gpuE2ELNS1_3repE0EEENS1_30default_config_static_selectorELNS0_4arch9wavefront6targetE1EEEvSY_.has_recursion, 0
	.set _ZN7rocprim17ROCPRIM_400000_NS6detail17trampoline_kernelINS0_13select_configILj256ELj13ELNS0_17block_load_methodE3ELS4_3ELS4_3ELNS0_20block_scan_algorithmE0ELj4294967295EEENS1_25partition_config_selectorILNS1_17partition_subalgoE3EjNS0_10empty_typeEbEEZZNS1_14partition_implILS8_3ELb0ES6_jNS0_17counting_iteratorIjlEEPS9_SE_NS0_5tupleIJPjSE_EEENSF_IJSE_SE_EEES9_SG_JZNS1_25segmented_radix_sort_implINS0_14default_configELb0EPKbPbPKlPlN2at6native12_GLOBAL__N_18offset_tEEE10hipError_tPvRmT1_PNSt15iterator_traitsISY_E10value_typeET2_T3_PNSZ_IS14_E10value_typeET4_jRbjT5_S1A_jjP12ihipStream_tbEUljE_EEESV_SW_SX_S14_S18_S1A_T6_T7_T9_mT8_S1C_bDpT10_ENKUlT_T0_E_clISt17integral_constantIbLb0EES1O_IbLb1EEEEDaS1K_S1L_EUlS1K_E_NS1_11comp_targetILNS1_3genE8ELNS1_11target_archE1030ELNS1_3gpuE2ELNS1_3repE0EEENS1_30default_config_static_selectorELNS0_4arch9wavefront6targetE1EEEvSY_.has_indirect_call, 0
	.section	.AMDGPU.csdata,"",@progbits
; Kernel info:
; codeLenInByte = 0
; TotalNumSgprs: 4
; NumVgprs: 0
; ScratchSize: 0
; MemoryBound: 0
; FloatMode: 240
; IeeeMode: 1
; LDSByteSize: 0 bytes/workgroup (compile time only)
; SGPRBlocks: 0
; VGPRBlocks: 0
; NumSGPRsForWavesPerEU: 4
; NumVGPRsForWavesPerEU: 1
; Occupancy: 10
; WaveLimiterHint : 0
; COMPUTE_PGM_RSRC2:SCRATCH_EN: 0
; COMPUTE_PGM_RSRC2:USER_SGPR: 6
; COMPUTE_PGM_RSRC2:TRAP_HANDLER: 0
; COMPUTE_PGM_RSRC2:TGID_X_EN: 1
; COMPUTE_PGM_RSRC2:TGID_Y_EN: 0
; COMPUTE_PGM_RSRC2:TGID_Z_EN: 0
; COMPUTE_PGM_RSRC2:TIDIG_COMP_CNT: 0
	.section	.text._ZN7rocprim17ROCPRIM_400000_NS6detail17trampoline_kernelINS0_14default_configENS1_36segmented_radix_sort_config_selectorIblEEZNS1_25segmented_radix_sort_implIS3_Lb0EPKbPbPKlPlN2at6native12_GLOBAL__N_18offset_tEEE10hipError_tPvRmT1_PNSt15iterator_traitsISK_E10value_typeET2_T3_PNSL_ISQ_E10value_typeET4_jRbjT5_SW_jjP12ihipStream_tbEUlT_E_NS1_11comp_targetILNS1_3genE0ELNS1_11target_archE4294967295ELNS1_3gpuE0ELNS1_3repE0EEENS1_30default_config_static_selectorELNS0_4arch9wavefront6targetE1EEEvSK_,"axG",@progbits,_ZN7rocprim17ROCPRIM_400000_NS6detail17trampoline_kernelINS0_14default_configENS1_36segmented_radix_sort_config_selectorIblEEZNS1_25segmented_radix_sort_implIS3_Lb0EPKbPbPKlPlN2at6native12_GLOBAL__N_18offset_tEEE10hipError_tPvRmT1_PNSt15iterator_traitsISK_E10value_typeET2_T3_PNSL_ISQ_E10value_typeET4_jRbjT5_SW_jjP12ihipStream_tbEUlT_E_NS1_11comp_targetILNS1_3genE0ELNS1_11target_archE4294967295ELNS1_3gpuE0ELNS1_3repE0EEENS1_30default_config_static_selectorELNS0_4arch9wavefront6targetE1EEEvSK_,comdat
	.globl	_ZN7rocprim17ROCPRIM_400000_NS6detail17trampoline_kernelINS0_14default_configENS1_36segmented_radix_sort_config_selectorIblEEZNS1_25segmented_radix_sort_implIS3_Lb0EPKbPbPKlPlN2at6native12_GLOBAL__N_18offset_tEEE10hipError_tPvRmT1_PNSt15iterator_traitsISK_E10value_typeET2_T3_PNSL_ISQ_E10value_typeET4_jRbjT5_SW_jjP12ihipStream_tbEUlT_E_NS1_11comp_targetILNS1_3genE0ELNS1_11target_archE4294967295ELNS1_3gpuE0ELNS1_3repE0EEENS1_30default_config_static_selectorELNS0_4arch9wavefront6targetE1EEEvSK_ ; -- Begin function _ZN7rocprim17ROCPRIM_400000_NS6detail17trampoline_kernelINS0_14default_configENS1_36segmented_radix_sort_config_selectorIblEEZNS1_25segmented_radix_sort_implIS3_Lb0EPKbPbPKlPlN2at6native12_GLOBAL__N_18offset_tEEE10hipError_tPvRmT1_PNSt15iterator_traitsISK_E10value_typeET2_T3_PNSL_ISQ_E10value_typeET4_jRbjT5_SW_jjP12ihipStream_tbEUlT_E_NS1_11comp_targetILNS1_3genE0ELNS1_11target_archE4294967295ELNS1_3gpuE0ELNS1_3repE0EEENS1_30default_config_static_selectorELNS0_4arch9wavefront6targetE1EEEvSK_
	.p2align	8
	.type	_ZN7rocprim17ROCPRIM_400000_NS6detail17trampoline_kernelINS0_14default_configENS1_36segmented_radix_sort_config_selectorIblEEZNS1_25segmented_radix_sort_implIS3_Lb0EPKbPbPKlPlN2at6native12_GLOBAL__N_18offset_tEEE10hipError_tPvRmT1_PNSt15iterator_traitsISK_E10value_typeET2_T3_PNSL_ISQ_E10value_typeET4_jRbjT5_SW_jjP12ihipStream_tbEUlT_E_NS1_11comp_targetILNS1_3genE0ELNS1_11target_archE4294967295ELNS1_3gpuE0ELNS1_3repE0EEENS1_30default_config_static_selectorELNS0_4arch9wavefront6targetE1EEEvSK_,@function
_ZN7rocprim17ROCPRIM_400000_NS6detail17trampoline_kernelINS0_14default_configENS1_36segmented_radix_sort_config_selectorIblEEZNS1_25segmented_radix_sort_implIS3_Lb0EPKbPbPKlPlN2at6native12_GLOBAL__N_18offset_tEEE10hipError_tPvRmT1_PNSt15iterator_traitsISK_E10value_typeET2_T3_PNSL_ISQ_E10value_typeET4_jRbjT5_SW_jjP12ihipStream_tbEUlT_E_NS1_11comp_targetILNS1_3genE0ELNS1_11target_archE4294967295ELNS1_3gpuE0ELNS1_3repE0EEENS1_30default_config_static_selectorELNS0_4arch9wavefront6targetE1EEEvSK_: ; @_ZN7rocprim17ROCPRIM_400000_NS6detail17trampoline_kernelINS0_14default_configENS1_36segmented_radix_sort_config_selectorIblEEZNS1_25segmented_radix_sort_implIS3_Lb0EPKbPbPKlPlN2at6native12_GLOBAL__N_18offset_tEEE10hipError_tPvRmT1_PNSt15iterator_traitsISK_E10value_typeET2_T3_PNSL_ISQ_E10value_typeET4_jRbjT5_SW_jjP12ihipStream_tbEUlT_E_NS1_11comp_targetILNS1_3genE0ELNS1_11target_archE4294967295ELNS1_3gpuE0ELNS1_3repE0EEENS1_30default_config_static_selectorELNS0_4arch9wavefront6targetE1EEEvSK_
; %bb.0:
	.section	.rodata,"a",@progbits
	.p2align	6, 0x0
	.amdhsa_kernel _ZN7rocprim17ROCPRIM_400000_NS6detail17trampoline_kernelINS0_14default_configENS1_36segmented_radix_sort_config_selectorIblEEZNS1_25segmented_radix_sort_implIS3_Lb0EPKbPbPKlPlN2at6native12_GLOBAL__N_18offset_tEEE10hipError_tPvRmT1_PNSt15iterator_traitsISK_E10value_typeET2_T3_PNSL_ISQ_E10value_typeET4_jRbjT5_SW_jjP12ihipStream_tbEUlT_E_NS1_11comp_targetILNS1_3genE0ELNS1_11target_archE4294967295ELNS1_3gpuE0ELNS1_3repE0EEENS1_30default_config_static_selectorELNS0_4arch9wavefront6targetE1EEEvSK_
		.amdhsa_group_segment_fixed_size 0
		.amdhsa_private_segment_fixed_size 0
		.amdhsa_kernarg_size 96
		.amdhsa_user_sgpr_count 6
		.amdhsa_user_sgpr_private_segment_buffer 1
		.amdhsa_user_sgpr_dispatch_ptr 0
		.amdhsa_user_sgpr_queue_ptr 0
		.amdhsa_user_sgpr_kernarg_segment_ptr 1
		.amdhsa_user_sgpr_dispatch_id 0
		.amdhsa_user_sgpr_flat_scratch_init 0
		.amdhsa_user_sgpr_private_segment_size 0
		.amdhsa_uses_dynamic_stack 0
		.amdhsa_system_sgpr_private_segment_wavefront_offset 0
		.amdhsa_system_sgpr_workgroup_id_x 1
		.amdhsa_system_sgpr_workgroup_id_y 0
		.amdhsa_system_sgpr_workgroup_id_z 0
		.amdhsa_system_sgpr_workgroup_info 0
		.amdhsa_system_vgpr_workitem_id 0
		.amdhsa_next_free_vgpr 1
		.amdhsa_next_free_sgpr 0
		.amdhsa_reserve_vcc 0
		.amdhsa_reserve_flat_scratch 0
		.amdhsa_float_round_mode_32 0
		.amdhsa_float_round_mode_16_64 0
		.amdhsa_float_denorm_mode_32 3
		.amdhsa_float_denorm_mode_16_64 3
		.amdhsa_dx10_clamp 1
		.amdhsa_ieee_mode 1
		.amdhsa_fp16_overflow 0
		.amdhsa_exception_fp_ieee_invalid_op 0
		.amdhsa_exception_fp_denorm_src 0
		.amdhsa_exception_fp_ieee_div_zero 0
		.amdhsa_exception_fp_ieee_overflow 0
		.amdhsa_exception_fp_ieee_underflow 0
		.amdhsa_exception_fp_ieee_inexact 0
		.amdhsa_exception_int_div_zero 0
	.end_amdhsa_kernel
	.section	.text._ZN7rocprim17ROCPRIM_400000_NS6detail17trampoline_kernelINS0_14default_configENS1_36segmented_radix_sort_config_selectorIblEEZNS1_25segmented_radix_sort_implIS3_Lb0EPKbPbPKlPlN2at6native12_GLOBAL__N_18offset_tEEE10hipError_tPvRmT1_PNSt15iterator_traitsISK_E10value_typeET2_T3_PNSL_ISQ_E10value_typeET4_jRbjT5_SW_jjP12ihipStream_tbEUlT_E_NS1_11comp_targetILNS1_3genE0ELNS1_11target_archE4294967295ELNS1_3gpuE0ELNS1_3repE0EEENS1_30default_config_static_selectorELNS0_4arch9wavefront6targetE1EEEvSK_,"axG",@progbits,_ZN7rocprim17ROCPRIM_400000_NS6detail17trampoline_kernelINS0_14default_configENS1_36segmented_radix_sort_config_selectorIblEEZNS1_25segmented_radix_sort_implIS3_Lb0EPKbPbPKlPlN2at6native12_GLOBAL__N_18offset_tEEE10hipError_tPvRmT1_PNSt15iterator_traitsISK_E10value_typeET2_T3_PNSL_ISQ_E10value_typeET4_jRbjT5_SW_jjP12ihipStream_tbEUlT_E_NS1_11comp_targetILNS1_3genE0ELNS1_11target_archE4294967295ELNS1_3gpuE0ELNS1_3repE0EEENS1_30default_config_static_selectorELNS0_4arch9wavefront6targetE1EEEvSK_,comdat
.Lfunc_end1635:
	.size	_ZN7rocprim17ROCPRIM_400000_NS6detail17trampoline_kernelINS0_14default_configENS1_36segmented_radix_sort_config_selectorIblEEZNS1_25segmented_radix_sort_implIS3_Lb0EPKbPbPKlPlN2at6native12_GLOBAL__N_18offset_tEEE10hipError_tPvRmT1_PNSt15iterator_traitsISK_E10value_typeET2_T3_PNSL_ISQ_E10value_typeET4_jRbjT5_SW_jjP12ihipStream_tbEUlT_E_NS1_11comp_targetILNS1_3genE0ELNS1_11target_archE4294967295ELNS1_3gpuE0ELNS1_3repE0EEENS1_30default_config_static_selectorELNS0_4arch9wavefront6targetE1EEEvSK_, .Lfunc_end1635-_ZN7rocprim17ROCPRIM_400000_NS6detail17trampoline_kernelINS0_14default_configENS1_36segmented_radix_sort_config_selectorIblEEZNS1_25segmented_radix_sort_implIS3_Lb0EPKbPbPKlPlN2at6native12_GLOBAL__N_18offset_tEEE10hipError_tPvRmT1_PNSt15iterator_traitsISK_E10value_typeET2_T3_PNSL_ISQ_E10value_typeET4_jRbjT5_SW_jjP12ihipStream_tbEUlT_E_NS1_11comp_targetILNS1_3genE0ELNS1_11target_archE4294967295ELNS1_3gpuE0ELNS1_3repE0EEENS1_30default_config_static_selectorELNS0_4arch9wavefront6targetE1EEEvSK_
                                        ; -- End function
	.set _ZN7rocprim17ROCPRIM_400000_NS6detail17trampoline_kernelINS0_14default_configENS1_36segmented_radix_sort_config_selectorIblEEZNS1_25segmented_radix_sort_implIS3_Lb0EPKbPbPKlPlN2at6native12_GLOBAL__N_18offset_tEEE10hipError_tPvRmT1_PNSt15iterator_traitsISK_E10value_typeET2_T3_PNSL_ISQ_E10value_typeET4_jRbjT5_SW_jjP12ihipStream_tbEUlT_E_NS1_11comp_targetILNS1_3genE0ELNS1_11target_archE4294967295ELNS1_3gpuE0ELNS1_3repE0EEENS1_30default_config_static_selectorELNS0_4arch9wavefront6targetE1EEEvSK_.num_vgpr, 0
	.set _ZN7rocprim17ROCPRIM_400000_NS6detail17trampoline_kernelINS0_14default_configENS1_36segmented_radix_sort_config_selectorIblEEZNS1_25segmented_radix_sort_implIS3_Lb0EPKbPbPKlPlN2at6native12_GLOBAL__N_18offset_tEEE10hipError_tPvRmT1_PNSt15iterator_traitsISK_E10value_typeET2_T3_PNSL_ISQ_E10value_typeET4_jRbjT5_SW_jjP12ihipStream_tbEUlT_E_NS1_11comp_targetILNS1_3genE0ELNS1_11target_archE4294967295ELNS1_3gpuE0ELNS1_3repE0EEENS1_30default_config_static_selectorELNS0_4arch9wavefront6targetE1EEEvSK_.num_agpr, 0
	.set _ZN7rocprim17ROCPRIM_400000_NS6detail17trampoline_kernelINS0_14default_configENS1_36segmented_radix_sort_config_selectorIblEEZNS1_25segmented_radix_sort_implIS3_Lb0EPKbPbPKlPlN2at6native12_GLOBAL__N_18offset_tEEE10hipError_tPvRmT1_PNSt15iterator_traitsISK_E10value_typeET2_T3_PNSL_ISQ_E10value_typeET4_jRbjT5_SW_jjP12ihipStream_tbEUlT_E_NS1_11comp_targetILNS1_3genE0ELNS1_11target_archE4294967295ELNS1_3gpuE0ELNS1_3repE0EEENS1_30default_config_static_selectorELNS0_4arch9wavefront6targetE1EEEvSK_.numbered_sgpr, 0
	.set _ZN7rocprim17ROCPRIM_400000_NS6detail17trampoline_kernelINS0_14default_configENS1_36segmented_radix_sort_config_selectorIblEEZNS1_25segmented_radix_sort_implIS3_Lb0EPKbPbPKlPlN2at6native12_GLOBAL__N_18offset_tEEE10hipError_tPvRmT1_PNSt15iterator_traitsISK_E10value_typeET2_T3_PNSL_ISQ_E10value_typeET4_jRbjT5_SW_jjP12ihipStream_tbEUlT_E_NS1_11comp_targetILNS1_3genE0ELNS1_11target_archE4294967295ELNS1_3gpuE0ELNS1_3repE0EEENS1_30default_config_static_selectorELNS0_4arch9wavefront6targetE1EEEvSK_.num_named_barrier, 0
	.set _ZN7rocprim17ROCPRIM_400000_NS6detail17trampoline_kernelINS0_14default_configENS1_36segmented_radix_sort_config_selectorIblEEZNS1_25segmented_radix_sort_implIS3_Lb0EPKbPbPKlPlN2at6native12_GLOBAL__N_18offset_tEEE10hipError_tPvRmT1_PNSt15iterator_traitsISK_E10value_typeET2_T3_PNSL_ISQ_E10value_typeET4_jRbjT5_SW_jjP12ihipStream_tbEUlT_E_NS1_11comp_targetILNS1_3genE0ELNS1_11target_archE4294967295ELNS1_3gpuE0ELNS1_3repE0EEENS1_30default_config_static_selectorELNS0_4arch9wavefront6targetE1EEEvSK_.private_seg_size, 0
	.set _ZN7rocprim17ROCPRIM_400000_NS6detail17trampoline_kernelINS0_14default_configENS1_36segmented_radix_sort_config_selectorIblEEZNS1_25segmented_radix_sort_implIS3_Lb0EPKbPbPKlPlN2at6native12_GLOBAL__N_18offset_tEEE10hipError_tPvRmT1_PNSt15iterator_traitsISK_E10value_typeET2_T3_PNSL_ISQ_E10value_typeET4_jRbjT5_SW_jjP12ihipStream_tbEUlT_E_NS1_11comp_targetILNS1_3genE0ELNS1_11target_archE4294967295ELNS1_3gpuE0ELNS1_3repE0EEENS1_30default_config_static_selectorELNS0_4arch9wavefront6targetE1EEEvSK_.uses_vcc, 0
	.set _ZN7rocprim17ROCPRIM_400000_NS6detail17trampoline_kernelINS0_14default_configENS1_36segmented_radix_sort_config_selectorIblEEZNS1_25segmented_radix_sort_implIS3_Lb0EPKbPbPKlPlN2at6native12_GLOBAL__N_18offset_tEEE10hipError_tPvRmT1_PNSt15iterator_traitsISK_E10value_typeET2_T3_PNSL_ISQ_E10value_typeET4_jRbjT5_SW_jjP12ihipStream_tbEUlT_E_NS1_11comp_targetILNS1_3genE0ELNS1_11target_archE4294967295ELNS1_3gpuE0ELNS1_3repE0EEENS1_30default_config_static_selectorELNS0_4arch9wavefront6targetE1EEEvSK_.uses_flat_scratch, 0
	.set _ZN7rocprim17ROCPRIM_400000_NS6detail17trampoline_kernelINS0_14default_configENS1_36segmented_radix_sort_config_selectorIblEEZNS1_25segmented_radix_sort_implIS3_Lb0EPKbPbPKlPlN2at6native12_GLOBAL__N_18offset_tEEE10hipError_tPvRmT1_PNSt15iterator_traitsISK_E10value_typeET2_T3_PNSL_ISQ_E10value_typeET4_jRbjT5_SW_jjP12ihipStream_tbEUlT_E_NS1_11comp_targetILNS1_3genE0ELNS1_11target_archE4294967295ELNS1_3gpuE0ELNS1_3repE0EEENS1_30default_config_static_selectorELNS0_4arch9wavefront6targetE1EEEvSK_.has_dyn_sized_stack, 0
	.set _ZN7rocprim17ROCPRIM_400000_NS6detail17trampoline_kernelINS0_14default_configENS1_36segmented_radix_sort_config_selectorIblEEZNS1_25segmented_radix_sort_implIS3_Lb0EPKbPbPKlPlN2at6native12_GLOBAL__N_18offset_tEEE10hipError_tPvRmT1_PNSt15iterator_traitsISK_E10value_typeET2_T3_PNSL_ISQ_E10value_typeET4_jRbjT5_SW_jjP12ihipStream_tbEUlT_E_NS1_11comp_targetILNS1_3genE0ELNS1_11target_archE4294967295ELNS1_3gpuE0ELNS1_3repE0EEENS1_30default_config_static_selectorELNS0_4arch9wavefront6targetE1EEEvSK_.has_recursion, 0
	.set _ZN7rocprim17ROCPRIM_400000_NS6detail17trampoline_kernelINS0_14default_configENS1_36segmented_radix_sort_config_selectorIblEEZNS1_25segmented_radix_sort_implIS3_Lb0EPKbPbPKlPlN2at6native12_GLOBAL__N_18offset_tEEE10hipError_tPvRmT1_PNSt15iterator_traitsISK_E10value_typeET2_T3_PNSL_ISQ_E10value_typeET4_jRbjT5_SW_jjP12ihipStream_tbEUlT_E_NS1_11comp_targetILNS1_3genE0ELNS1_11target_archE4294967295ELNS1_3gpuE0ELNS1_3repE0EEENS1_30default_config_static_selectorELNS0_4arch9wavefront6targetE1EEEvSK_.has_indirect_call, 0
	.section	.AMDGPU.csdata,"",@progbits
; Kernel info:
; codeLenInByte = 0
; TotalNumSgprs: 4
; NumVgprs: 0
; ScratchSize: 0
; MemoryBound: 0
; FloatMode: 240
; IeeeMode: 1
; LDSByteSize: 0 bytes/workgroup (compile time only)
; SGPRBlocks: 0
; VGPRBlocks: 0
; NumSGPRsForWavesPerEU: 4
; NumVGPRsForWavesPerEU: 1
; Occupancy: 10
; WaveLimiterHint : 0
; COMPUTE_PGM_RSRC2:SCRATCH_EN: 0
; COMPUTE_PGM_RSRC2:USER_SGPR: 6
; COMPUTE_PGM_RSRC2:TRAP_HANDLER: 0
; COMPUTE_PGM_RSRC2:TGID_X_EN: 1
; COMPUTE_PGM_RSRC2:TGID_Y_EN: 0
; COMPUTE_PGM_RSRC2:TGID_Z_EN: 0
; COMPUTE_PGM_RSRC2:TIDIG_COMP_CNT: 0
	.section	.text._ZN7rocprim17ROCPRIM_400000_NS6detail17trampoline_kernelINS0_14default_configENS1_36segmented_radix_sort_config_selectorIblEEZNS1_25segmented_radix_sort_implIS3_Lb0EPKbPbPKlPlN2at6native12_GLOBAL__N_18offset_tEEE10hipError_tPvRmT1_PNSt15iterator_traitsISK_E10value_typeET2_T3_PNSL_ISQ_E10value_typeET4_jRbjT5_SW_jjP12ihipStream_tbEUlT_E_NS1_11comp_targetILNS1_3genE5ELNS1_11target_archE942ELNS1_3gpuE9ELNS1_3repE0EEENS1_30default_config_static_selectorELNS0_4arch9wavefront6targetE1EEEvSK_,"axG",@progbits,_ZN7rocprim17ROCPRIM_400000_NS6detail17trampoline_kernelINS0_14default_configENS1_36segmented_radix_sort_config_selectorIblEEZNS1_25segmented_radix_sort_implIS3_Lb0EPKbPbPKlPlN2at6native12_GLOBAL__N_18offset_tEEE10hipError_tPvRmT1_PNSt15iterator_traitsISK_E10value_typeET2_T3_PNSL_ISQ_E10value_typeET4_jRbjT5_SW_jjP12ihipStream_tbEUlT_E_NS1_11comp_targetILNS1_3genE5ELNS1_11target_archE942ELNS1_3gpuE9ELNS1_3repE0EEENS1_30default_config_static_selectorELNS0_4arch9wavefront6targetE1EEEvSK_,comdat
	.globl	_ZN7rocprim17ROCPRIM_400000_NS6detail17trampoline_kernelINS0_14default_configENS1_36segmented_radix_sort_config_selectorIblEEZNS1_25segmented_radix_sort_implIS3_Lb0EPKbPbPKlPlN2at6native12_GLOBAL__N_18offset_tEEE10hipError_tPvRmT1_PNSt15iterator_traitsISK_E10value_typeET2_T3_PNSL_ISQ_E10value_typeET4_jRbjT5_SW_jjP12ihipStream_tbEUlT_E_NS1_11comp_targetILNS1_3genE5ELNS1_11target_archE942ELNS1_3gpuE9ELNS1_3repE0EEENS1_30default_config_static_selectorELNS0_4arch9wavefront6targetE1EEEvSK_ ; -- Begin function _ZN7rocprim17ROCPRIM_400000_NS6detail17trampoline_kernelINS0_14default_configENS1_36segmented_radix_sort_config_selectorIblEEZNS1_25segmented_radix_sort_implIS3_Lb0EPKbPbPKlPlN2at6native12_GLOBAL__N_18offset_tEEE10hipError_tPvRmT1_PNSt15iterator_traitsISK_E10value_typeET2_T3_PNSL_ISQ_E10value_typeET4_jRbjT5_SW_jjP12ihipStream_tbEUlT_E_NS1_11comp_targetILNS1_3genE5ELNS1_11target_archE942ELNS1_3gpuE9ELNS1_3repE0EEENS1_30default_config_static_selectorELNS0_4arch9wavefront6targetE1EEEvSK_
	.p2align	8
	.type	_ZN7rocprim17ROCPRIM_400000_NS6detail17trampoline_kernelINS0_14default_configENS1_36segmented_radix_sort_config_selectorIblEEZNS1_25segmented_radix_sort_implIS3_Lb0EPKbPbPKlPlN2at6native12_GLOBAL__N_18offset_tEEE10hipError_tPvRmT1_PNSt15iterator_traitsISK_E10value_typeET2_T3_PNSL_ISQ_E10value_typeET4_jRbjT5_SW_jjP12ihipStream_tbEUlT_E_NS1_11comp_targetILNS1_3genE5ELNS1_11target_archE942ELNS1_3gpuE9ELNS1_3repE0EEENS1_30default_config_static_selectorELNS0_4arch9wavefront6targetE1EEEvSK_,@function
_ZN7rocprim17ROCPRIM_400000_NS6detail17trampoline_kernelINS0_14default_configENS1_36segmented_radix_sort_config_selectorIblEEZNS1_25segmented_radix_sort_implIS3_Lb0EPKbPbPKlPlN2at6native12_GLOBAL__N_18offset_tEEE10hipError_tPvRmT1_PNSt15iterator_traitsISK_E10value_typeET2_T3_PNSL_ISQ_E10value_typeET4_jRbjT5_SW_jjP12ihipStream_tbEUlT_E_NS1_11comp_targetILNS1_3genE5ELNS1_11target_archE942ELNS1_3gpuE9ELNS1_3repE0EEENS1_30default_config_static_selectorELNS0_4arch9wavefront6targetE1EEEvSK_: ; @_ZN7rocprim17ROCPRIM_400000_NS6detail17trampoline_kernelINS0_14default_configENS1_36segmented_radix_sort_config_selectorIblEEZNS1_25segmented_radix_sort_implIS3_Lb0EPKbPbPKlPlN2at6native12_GLOBAL__N_18offset_tEEE10hipError_tPvRmT1_PNSt15iterator_traitsISK_E10value_typeET2_T3_PNSL_ISQ_E10value_typeET4_jRbjT5_SW_jjP12ihipStream_tbEUlT_E_NS1_11comp_targetILNS1_3genE5ELNS1_11target_archE942ELNS1_3gpuE9ELNS1_3repE0EEENS1_30default_config_static_selectorELNS0_4arch9wavefront6targetE1EEEvSK_
; %bb.0:
	.section	.rodata,"a",@progbits
	.p2align	6, 0x0
	.amdhsa_kernel _ZN7rocprim17ROCPRIM_400000_NS6detail17trampoline_kernelINS0_14default_configENS1_36segmented_radix_sort_config_selectorIblEEZNS1_25segmented_radix_sort_implIS3_Lb0EPKbPbPKlPlN2at6native12_GLOBAL__N_18offset_tEEE10hipError_tPvRmT1_PNSt15iterator_traitsISK_E10value_typeET2_T3_PNSL_ISQ_E10value_typeET4_jRbjT5_SW_jjP12ihipStream_tbEUlT_E_NS1_11comp_targetILNS1_3genE5ELNS1_11target_archE942ELNS1_3gpuE9ELNS1_3repE0EEENS1_30default_config_static_selectorELNS0_4arch9wavefront6targetE1EEEvSK_
		.amdhsa_group_segment_fixed_size 0
		.amdhsa_private_segment_fixed_size 0
		.amdhsa_kernarg_size 96
		.amdhsa_user_sgpr_count 6
		.amdhsa_user_sgpr_private_segment_buffer 1
		.amdhsa_user_sgpr_dispatch_ptr 0
		.amdhsa_user_sgpr_queue_ptr 0
		.amdhsa_user_sgpr_kernarg_segment_ptr 1
		.amdhsa_user_sgpr_dispatch_id 0
		.amdhsa_user_sgpr_flat_scratch_init 0
		.amdhsa_user_sgpr_private_segment_size 0
		.amdhsa_uses_dynamic_stack 0
		.amdhsa_system_sgpr_private_segment_wavefront_offset 0
		.amdhsa_system_sgpr_workgroup_id_x 1
		.amdhsa_system_sgpr_workgroup_id_y 0
		.amdhsa_system_sgpr_workgroup_id_z 0
		.amdhsa_system_sgpr_workgroup_info 0
		.amdhsa_system_vgpr_workitem_id 0
		.amdhsa_next_free_vgpr 1
		.amdhsa_next_free_sgpr 0
		.amdhsa_reserve_vcc 0
		.amdhsa_reserve_flat_scratch 0
		.amdhsa_float_round_mode_32 0
		.amdhsa_float_round_mode_16_64 0
		.amdhsa_float_denorm_mode_32 3
		.amdhsa_float_denorm_mode_16_64 3
		.amdhsa_dx10_clamp 1
		.amdhsa_ieee_mode 1
		.amdhsa_fp16_overflow 0
		.amdhsa_exception_fp_ieee_invalid_op 0
		.amdhsa_exception_fp_denorm_src 0
		.amdhsa_exception_fp_ieee_div_zero 0
		.amdhsa_exception_fp_ieee_overflow 0
		.amdhsa_exception_fp_ieee_underflow 0
		.amdhsa_exception_fp_ieee_inexact 0
		.amdhsa_exception_int_div_zero 0
	.end_amdhsa_kernel
	.section	.text._ZN7rocprim17ROCPRIM_400000_NS6detail17trampoline_kernelINS0_14default_configENS1_36segmented_radix_sort_config_selectorIblEEZNS1_25segmented_radix_sort_implIS3_Lb0EPKbPbPKlPlN2at6native12_GLOBAL__N_18offset_tEEE10hipError_tPvRmT1_PNSt15iterator_traitsISK_E10value_typeET2_T3_PNSL_ISQ_E10value_typeET4_jRbjT5_SW_jjP12ihipStream_tbEUlT_E_NS1_11comp_targetILNS1_3genE5ELNS1_11target_archE942ELNS1_3gpuE9ELNS1_3repE0EEENS1_30default_config_static_selectorELNS0_4arch9wavefront6targetE1EEEvSK_,"axG",@progbits,_ZN7rocprim17ROCPRIM_400000_NS6detail17trampoline_kernelINS0_14default_configENS1_36segmented_radix_sort_config_selectorIblEEZNS1_25segmented_radix_sort_implIS3_Lb0EPKbPbPKlPlN2at6native12_GLOBAL__N_18offset_tEEE10hipError_tPvRmT1_PNSt15iterator_traitsISK_E10value_typeET2_T3_PNSL_ISQ_E10value_typeET4_jRbjT5_SW_jjP12ihipStream_tbEUlT_E_NS1_11comp_targetILNS1_3genE5ELNS1_11target_archE942ELNS1_3gpuE9ELNS1_3repE0EEENS1_30default_config_static_selectorELNS0_4arch9wavefront6targetE1EEEvSK_,comdat
.Lfunc_end1636:
	.size	_ZN7rocprim17ROCPRIM_400000_NS6detail17trampoline_kernelINS0_14default_configENS1_36segmented_radix_sort_config_selectorIblEEZNS1_25segmented_radix_sort_implIS3_Lb0EPKbPbPKlPlN2at6native12_GLOBAL__N_18offset_tEEE10hipError_tPvRmT1_PNSt15iterator_traitsISK_E10value_typeET2_T3_PNSL_ISQ_E10value_typeET4_jRbjT5_SW_jjP12ihipStream_tbEUlT_E_NS1_11comp_targetILNS1_3genE5ELNS1_11target_archE942ELNS1_3gpuE9ELNS1_3repE0EEENS1_30default_config_static_selectorELNS0_4arch9wavefront6targetE1EEEvSK_, .Lfunc_end1636-_ZN7rocprim17ROCPRIM_400000_NS6detail17trampoline_kernelINS0_14default_configENS1_36segmented_radix_sort_config_selectorIblEEZNS1_25segmented_radix_sort_implIS3_Lb0EPKbPbPKlPlN2at6native12_GLOBAL__N_18offset_tEEE10hipError_tPvRmT1_PNSt15iterator_traitsISK_E10value_typeET2_T3_PNSL_ISQ_E10value_typeET4_jRbjT5_SW_jjP12ihipStream_tbEUlT_E_NS1_11comp_targetILNS1_3genE5ELNS1_11target_archE942ELNS1_3gpuE9ELNS1_3repE0EEENS1_30default_config_static_selectorELNS0_4arch9wavefront6targetE1EEEvSK_
                                        ; -- End function
	.set _ZN7rocprim17ROCPRIM_400000_NS6detail17trampoline_kernelINS0_14default_configENS1_36segmented_radix_sort_config_selectorIblEEZNS1_25segmented_radix_sort_implIS3_Lb0EPKbPbPKlPlN2at6native12_GLOBAL__N_18offset_tEEE10hipError_tPvRmT1_PNSt15iterator_traitsISK_E10value_typeET2_T3_PNSL_ISQ_E10value_typeET4_jRbjT5_SW_jjP12ihipStream_tbEUlT_E_NS1_11comp_targetILNS1_3genE5ELNS1_11target_archE942ELNS1_3gpuE9ELNS1_3repE0EEENS1_30default_config_static_selectorELNS0_4arch9wavefront6targetE1EEEvSK_.num_vgpr, 0
	.set _ZN7rocprim17ROCPRIM_400000_NS6detail17trampoline_kernelINS0_14default_configENS1_36segmented_radix_sort_config_selectorIblEEZNS1_25segmented_radix_sort_implIS3_Lb0EPKbPbPKlPlN2at6native12_GLOBAL__N_18offset_tEEE10hipError_tPvRmT1_PNSt15iterator_traitsISK_E10value_typeET2_T3_PNSL_ISQ_E10value_typeET4_jRbjT5_SW_jjP12ihipStream_tbEUlT_E_NS1_11comp_targetILNS1_3genE5ELNS1_11target_archE942ELNS1_3gpuE9ELNS1_3repE0EEENS1_30default_config_static_selectorELNS0_4arch9wavefront6targetE1EEEvSK_.num_agpr, 0
	.set _ZN7rocprim17ROCPRIM_400000_NS6detail17trampoline_kernelINS0_14default_configENS1_36segmented_radix_sort_config_selectorIblEEZNS1_25segmented_radix_sort_implIS3_Lb0EPKbPbPKlPlN2at6native12_GLOBAL__N_18offset_tEEE10hipError_tPvRmT1_PNSt15iterator_traitsISK_E10value_typeET2_T3_PNSL_ISQ_E10value_typeET4_jRbjT5_SW_jjP12ihipStream_tbEUlT_E_NS1_11comp_targetILNS1_3genE5ELNS1_11target_archE942ELNS1_3gpuE9ELNS1_3repE0EEENS1_30default_config_static_selectorELNS0_4arch9wavefront6targetE1EEEvSK_.numbered_sgpr, 0
	.set _ZN7rocprim17ROCPRIM_400000_NS6detail17trampoline_kernelINS0_14default_configENS1_36segmented_radix_sort_config_selectorIblEEZNS1_25segmented_radix_sort_implIS3_Lb0EPKbPbPKlPlN2at6native12_GLOBAL__N_18offset_tEEE10hipError_tPvRmT1_PNSt15iterator_traitsISK_E10value_typeET2_T3_PNSL_ISQ_E10value_typeET4_jRbjT5_SW_jjP12ihipStream_tbEUlT_E_NS1_11comp_targetILNS1_3genE5ELNS1_11target_archE942ELNS1_3gpuE9ELNS1_3repE0EEENS1_30default_config_static_selectorELNS0_4arch9wavefront6targetE1EEEvSK_.num_named_barrier, 0
	.set _ZN7rocprim17ROCPRIM_400000_NS6detail17trampoline_kernelINS0_14default_configENS1_36segmented_radix_sort_config_selectorIblEEZNS1_25segmented_radix_sort_implIS3_Lb0EPKbPbPKlPlN2at6native12_GLOBAL__N_18offset_tEEE10hipError_tPvRmT1_PNSt15iterator_traitsISK_E10value_typeET2_T3_PNSL_ISQ_E10value_typeET4_jRbjT5_SW_jjP12ihipStream_tbEUlT_E_NS1_11comp_targetILNS1_3genE5ELNS1_11target_archE942ELNS1_3gpuE9ELNS1_3repE0EEENS1_30default_config_static_selectorELNS0_4arch9wavefront6targetE1EEEvSK_.private_seg_size, 0
	.set _ZN7rocprim17ROCPRIM_400000_NS6detail17trampoline_kernelINS0_14default_configENS1_36segmented_radix_sort_config_selectorIblEEZNS1_25segmented_radix_sort_implIS3_Lb0EPKbPbPKlPlN2at6native12_GLOBAL__N_18offset_tEEE10hipError_tPvRmT1_PNSt15iterator_traitsISK_E10value_typeET2_T3_PNSL_ISQ_E10value_typeET4_jRbjT5_SW_jjP12ihipStream_tbEUlT_E_NS1_11comp_targetILNS1_3genE5ELNS1_11target_archE942ELNS1_3gpuE9ELNS1_3repE0EEENS1_30default_config_static_selectorELNS0_4arch9wavefront6targetE1EEEvSK_.uses_vcc, 0
	.set _ZN7rocprim17ROCPRIM_400000_NS6detail17trampoline_kernelINS0_14default_configENS1_36segmented_radix_sort_config_selectorIblEEZNS1_25segmented_radix_sort_implIS3_Lb0EPKbPbPKlPlN2at6native12_GLOBAL__N_18offset_tEEE10hipError_tPvRmT1_PNSt15iterator_traitsISK_E10value_typeET2_T3_PNSL_ISQ_E10value_typeET4_jRbjT5_SW_jjP12ihipStream_tbEUlT_E_NS1_11comp_targetILNS1_3genE5ELNS1_11target_archE942ELNS1_3gpuE9ELNS1_3repE0EEENS1_30default_config_static_selectorELNS0_4arch9wavefront6targetE1EEEvSK_.uses_flat_scratch, 0
	.set _ZN7rocprim17ROCPRIM_400000_NS6detail17trampoline_kernelINS0_14default_configENS1_36segmented_radix_sort_config_selectorIblEEZNS1_25segmented_radix_sort_implIS3_Lb0EPKbPbPKlPlN2at6native12_GLOBAL__N_18offset_tEEE10hipError_tPvRmT1_PNSt15iterator_traitsISK_E10value_typeET2_T3_PNSL_ISQ_E10value_typeET4_jRbjT5_SW_jjP12ihipStream_tbEUlT_E_NS1_11comp_targetILNS1_3genE5ELNS1_11target_archE942ELNS1_3gpuE9ELNS1_3repE0EEENS1_30default_config_static_selectorELNS0_4arch9wavefront6targetE1EEEvSK_.has_dyn_sized_stack, 0
	.set _ZN7rocprim17ROCPRIM_400000_NS6detail17trampoline_kernelINS0_14default_configENS1_36segmented_radix_sort_config_selectorIblEEZNS1_25segmented_radix_sort_implIS3_Lb0EPKbPbPKlPlN2at6native12_GLOBAL__N_18offset_tEEE10hipError_tPvRmT1_PNSt15iterator_traitsISK_E10value_typeET2_T3_PNSL_ISQ_E10value_typeET4_jRbjT5_SW_jjP12ihipStream_tbEUlT_E_NS1_11comp_targetILNS1_3genE5ELNS1_11target_archE942ELNS1_3gpuE9ELNS1_3repE0EEENS1_30default_config_static_selectorELNS0_4arch9wavefront6targetE1EEEvSK_.has_recursion, 0
	.set _ZN7rocprim17ROCPRIM_400000_NS6detail17trampoline_kernelINS0_14default_configENS1_36segmented_radix_sort_config_selectorIblEEZNS1_25segmented_radix_sort_implIS3_Lb0EPKbPbPKlPlN2at6native12_GLOBAL__N_18offset_tEEE10hipError_tPvRmT1_PNSt15iterator_traitsISK_E10value_typeET2_T3_PNSL_ISQ_E10value_typeET4_jRbjT5_SW_jjP12ihipStream_tbEUlT_E_NS1_11comp_targetILNS1_3genE5ELNS1_11target_archE942ELNS1_3gpuE9ELNS1_3repE0EEENS1_30default_config_static_selectorELNS0_4arch9wavefront6targetE1EEEvSK_.has_indirect_call, 0
	.section	.AMDGPU.csdata,"",@progbits
; Kernel info:
; codeLenInByte = 0
; TotalNumSgprs: 4
; NumVgprs: 0
; ScratchSize: 0
; MemoryBound: 0
; FloatMode: 240
; IeeeMode: 1
; LDSByteSize: 0 bytes/workgroup (compile time only)
; SGPRBlocks: 0
; VGPRBlocks: 0
; NumSGPRsForWavesPerEU: 4
; NumVGPRsForWavesPerEU: 1
; Occupancy: 10
; WaveLimiterHint : 0
; COMPUTE_PGM_RSRC2:SCRATCH_EN: 0
; COMPUTE_PGM_RSRC2:USER_SGPR: 6
; COMPUTE_PGM_RSRC2:TRAP_HANDLER: 0
; COMPUTE_PGM_RSRC2:TGID_X_EN: 1
; COMPUTE_PGM_RSRC2:TGID_Y_EN: 0
; COMPUTE_PGM_RSRC2:TGID_Z_EN: 0
; COMPUTE_PGM_RSRC2:TIDIG_COMP_CNT: 0
	.section	.text._ZN7rocprim17ROCPRIM_400000_NS6detail17trampoline_kernelINS0_14default_configENS1_36segmented_radix_sort_config_selectorIblEEZNS1_25segmented_radix_sort_implIS3_Lb0EPKbPbPKlPlN2at6native12_GLOBAL__N_18offset_tEEE10hipError_tPvRmT1_PNSt15iterator_traitsISK_E10value_typeET2_T3_PNSL_ISQ_E10value_typeET4_jRbjT5_SW_jjP12ihipStream_tbEUlT_E_NS1_11comp_targetILNS1_3genE4ELNS1_11target_archE910ELNS1_3gpuE8ELNS1_3repE0EEENS1_30default_config_static_selectorELNS0_4arch9wavefront6targetE1EEEvSK_,"axG",@progbits,_ZN7rocprim17ROCPRIM_400000_NS6detail17trampoline_kernelINS0_14default_configENS1_36segmented_radix_sort_config_selectorIblEEZNS1_25segmented_radix_sort_implIS3_Lb0EPKbPbPKlPlN2at6native12_GLOBAL__N_18offset_tEEE10hipError_tPvRmT1_PNSt15iterator_traitsISK_E10value_typeET2_T3_PNSL_ISQ_E10value_typeET4_jRbjT5_SW_jjP12ihipStream_tbEUlT_E_NS1_11comp_targetILNS1_3genE4ELNS1_11target_archE910ELNS1_3gpuE8ELNS1_3repE0EEENS1_30default_config_static_selectorELNS0_4arch9wavefront6targetE1EEEvSK_,comdat
	.globl	_ZN7rocprim17ROCPRIM_400000_NS6detail17trampoline_kernelINS0_14default_configENS1_36segmented_radix_sort_config_selectorIblEEZNS1_25segmented_radix_sort_implIS3_Lb0EPKbPbPKlPlN2at6native12_GLOBAL__N_18offset_tEEE10hipError_tPvRmT1_PNSt15iterator_traitsISK_E10value_typeET2_T3_PNSL_ISQ_E10value_typeET4_jRbjT5_SW_jjP12ihipStream_tbEUlT_E_NS1_11comp_targetILNS1_3genE4ELNS1_11target_archE910ELNS1_3gpuE8ELNS1_3repE0EEENS1_30default_config_static_selectorELNS0_4arch9wavefront6targetE1EEEvSK_ ; -- Begin function _ZN7rocprim17ROCPRIM_400000_NS6detail17trampoline_kernelINS0_14default_configENS1_36segmented_radix_sort_config_selectorIblEEZNS1_25segmented_radix_sort_implIS3_Lb0EPKbPbPKlPlN2at6native12_GLOBAL__N_18offset_tEEE10hipError_tPvRmT1_PNSt15iterator_traitsISK_E10value_typeET2_T3_PNSL_ISQ_E10value_typeET4_jRbjT5_SW_jjP12ihipStream_tbEUlT_E_NS1_11comp_targetILNS1_3genE4ELNS1_11target_archE910ELNS1_3gpuE8ELNS1_3repE0EEENS1_30default_config_static_selectorELNS0_4arch9wavefront6targetE1EEEvSK_
	.p2align	8
	.type	_ZN7rocprim17ROCPRIM_400000_NS6detail17trampoline_kernelINS0_14default_configENS1_36segmented_radix_sort_config_selectorIblEEZNS1_25segmented_radix_sort_implIS3_Lb0EPKbPbPKlPlN2at6native12_GLOBAL__N_18offset_tEEE10hipError_tPvRmT1_PNSt15iterator_traitsISK_E10value_typeET2_T3_PNSL_ISQ_E10value_typeET4_jRbjT5_SW_jjP12ihipStream_tbEUlT_E_NS1_11comp_targetILNS1_3genE4ELNS1_11target_archE910ELNS1_3gpuE8ELNS1_3repE0EEENS1_30default_config_static_selectorELNS0_4arch9wavefront6targetE1EEEvSK_,@function
_ZN7rocprim17ROCPRIM_400000_NS6detail17trampoline_kernelINS0_14default_configENS1_36segmented_radix_sort_config_selectorIblEEZNS1_25segmented_radix_sort_implIS3_Lb0EPKbPbPKlPlN2at6native12_GLOBAL__N_18offset_tEEE10hipError_tPvRmT1_PNSt15iterator_traitsISK_E10value_typeET2_T3_PNSL_ISQ_E10value_typeET4_jRbjT5_SW_jjP12ihipStream_tbEUlT_E_NS1_11comp_targetILNS1_3genE4ELNS1_11target_archE910ELNS1_3gpuE8ELNS1_3repE0EEENS1_30default_config_static_selectorELNS0_4arch9wavefront6targetE1EEEvSK_: ; @_ZN7rocprim17ROCPRIM_400000_NS6detail17trampoline_kernelINS0_14default_configENS1_36segmented_radix_sort_config_selectorIblEEZNS1_25segmented_radix_sort_implIS3_Lb0EPKbPbPKlPlN2at6native12_GLOBAL__N_18offset_tEEE10hipError_tPvRmT1_PNSt15iterator_traitsISK_E10value_typeET2_T3_PNSL_ISQ_E10value_typeET4_jRbjT5_SW_jjP12ihipStream_tbEUlT_E_NS1_11comp_targetILNS1_3genE4ELNS1_11target_archE910ELNS1_3gpuE8ELNS1_3repE0EEENS1_30default_config_static_selectorELNS0_4arch9wavefront6targetE1EEEvSK_
; %bb.0:
	.section	.rodata,"a",@progbits
	.p2align	6, 0x0
	.amdhsa_kernel _ZN7rocprim17ROCPRIM_400000_NS6detail17trampoline_kernelINS0_14default_configENS1_36segmented_radix_sort_config_selectorIblEEZNS1_25segmented_radix_sort_implIS3_Lb0EPKbPbPKlPlN2at6native12_GLOBAL__N_18offset_tEEE10hipError_tPvRmT1_PNSt15iterator_traitsISK_E10value_typeET2_T3_PNSL_ISQ_E10value_typeET4_jRbjT5_SW_jjP12ihipStream_tbEUlT_E_NS1_11comp_targetILNS1_3genE4ELNS1_11target_archE910ELNS1_3gpuE8ELNS1_3repE0EEENS1_30default_config_static_selectorELNS0_4arch9wavefront6targetE1EEEvSK_
		.amdhsa_group_segment_fixed_size 0
		.amdhsa_private_segment_fixed_size 0
		.amdhsa_kernarg_size 96
		.amdhsa_user_sgpr_count 6
		.amdhsa_user_sgpr_private_segment_buffer 1
		.amdhsa_user_sgpr_dispatch_ptr 0
		.amdhsa_user_sgpr_queue_ptr 0
		.amdhsa_user_sgpr_kernarg_segment_ptr 1
		.amdhsa_user_sgpr_dispatch_id 0
		.amdhsa_user_sgpr_flat_scratch_init 0
		.amdhsa_user_sgpr_private_segment_size 0
		.amdhsa_uses_dynamic_stack 0
		.amdhsa_system_sgpr_private_segment_wavefront_offset 0
		.amdhsa_system_sgpr_workgroup_id_x 1
		.amdhsa_system_sgpr_workgroup_id_y 0
		.amdhsa_system_sgpr_workgroup_id_z 0
		.amdhsa_system_sgpr_workgroup_info 0
		.amdhsa_system_vgpr_workitem_id 0
		.amdhsa_next_free_vgpr 1
		.amdhsa_next_free_sgpr 0
		.amdhsa_reserve_vcc 0
		.amdhsa_reserve_flat_scratch 0
		.amdhsa_float_round_mode_32 0
		.amdhsa_float_round_mode_16_64 0
		.amdhsa_float_denorm_mode_32 3
		.amdhsa_float_denorm_mode_16_64 3
		.amdhsa_dx10_clamp 1
		.amdhsa_ieee_mode 1
		.amdhsa_fp16_overflow 0
		.amdhsa_exception_fp_ieee_invalid_op 0
		.amdhsa_exception_fp_denorm_src 0
		.amdhsa_exception_fp_ieee_div_zero 0
		.amdhsa_exception_fp_ieee_overflow 0
		.amdhsa_exception_fp_ieee_underflow 0
		.amdhsa_exception_fp_ieee_inexact 0
		.amdhsa_exception_int_div_zero 0
	.end_amdhsa_kernel
	.section	.text._ZN7rocprim17ROCPRIM_400000_NS6detail17trampoline_kernelINS0_14default_configENS1_36segmented_radix_sort_config_selectorIblEEZNS1_25segmented_radix_sort_implIS3_Lb0EPKbPbPKlPlN2at6native12_GLOBAL__N_18offset_tEEE10hipError_tPvRmT1_PNSt15iterator_traitsISK_E10value_typeET2_T3_PNSL_ISQ_E10value_typeET4_jRbjT5_SW_jjP12ihipStream_tbEUlT_E_NS1_11comp_targetILNS1_3genE4ELNS1_11target_archE910ELNS1_3gpuE8ELNS1_3repE0EEENS1_30default_config_static_selectorELNS0_4arch9wavefront6targetE1EEEvSK_,"axG",@progbits,_ZN7rocprim17ROCPRIM_400000_NS6detail17trampoline_kernelINS0_14default_configENS1_36segmented_radix_sort_config_selectorIblEEZNS1_25segmented_radix_sort_implIS3_Lb0EPKbPbPKlPlN2at6native12_GLOBAL__N_18offset_tEEE10hipError_tPvRmT1_PNSt15iterator_traitsISK_E10value_typeET2_T3_PNSL_ISQ_E10value_typeET4_jRbjT5_SW_jjP12ihipStream_tbEUlT_E_NS1_11comp_targetILNS1_3genE4ELNS1_11target_archE910ELNS1_3gpuE8ELNS1_3repE0EEENS1_30default_config_static_selectorELNS0_4arch9wavefront6targetE1EEEvSK_,comdat
.Lfunc_end1637:
	.size	_ZN7rocprim17ROCPRIM_400000_NS6detail17trampoline_kernelINS0_14default_configENS1_36segmented_radix_sort_config_selectorIblEEZNS1_25segmented_radix_sort_implIS3_Lb0EPKbPbPKlPlN2at6native12_GLOBAL__N_18offset_tEEE10hipError_tPvRmT1_PNSt15iterator_traitsISK_E10value_typeET2_T3_PNSL_ISQ_E10value_typeET4_jRbjT5_SW_jjP12ihipStream_tbEUlT_E_NS1_11comp_targetILNS1_3genE4ELNS1_11target_archE910ELNS1_3gpuE8ELNS1_3repE0EEENS1_30default_config_static_selectorELNS0_4arch9wavefront6targetE1EEEvSK_, .Lfunc_end1637-_ZN7rocprim17ROCPRIM_400000_NS6detail17trampoline_kernelINS0_14default_configENS1_36segmented_radix_sort_config_selectorIblEEZNS1_25segmented_radix_sort_implIS3_Lb0EPKbPbPKlPlN2at6native12_GLOBAL__N_18offset_tEEE10hipError_tPvRmT1_PNSt15iterator_traitsISK_E10value_typeET2_T3_PNSL_ISQ_E10value_typeET4_jRbjT5_SW_jjP12ihipStream_tbEUlT_E_NS1_11comp_targetILNS1_3genE4ELNS1_11target_archE910ELNS1_3gpuE8ELNS1_3repE0EEENS1_30default_config_static_selectorELNS0_4arch9wavefront6targetE1EEEvSK_
                                        ; -- End function
	.set _ZN7rocprim17ROCPRIM_400000_NS6detail17trampoline_kernelINS0_14default_configENS1_36segmented_radix_sort_config_selectorIblEEZNS1_25segmented_radix_sort_implIS3_Lb0EPKbPbPKlPlN2at6native12_GLOBAL__N_18offset_tEEE10hipError_tPvRmT1_PNSt15iterator_traitsISK_E10value_typeET2_T3_PNSL_ISQ_E10value_typeET4_jRbjT5_SW_jjP12ihipStream_tbEUlT_E_NS1_11comp_targetILNS1_3genE4ELNS1_11target_archE910ELNS1_3gpuE8ELNS1_3repE0EEENS1_30default_config_static_selectorELNS0_4arch9wavefront6targetE1EEEvSK_.num_vgpr, 0
	.set _ZN7rocprim17ROCPRIM_400000_NS6detail17trampoline_kernelINS0_14default_configENS1_36segmented_radix_sort_config_selectorIblEEZNS1_25segmented_radix_sort_implIS3_Lb0EPKbPbPKlPlN2at6native12_GLOBAL__N_18offset_tEEE10hipError_tPvRmT1_PNSt15iterator_traitsISK_E10value_typeET2_T3_PNSL_ISQ_E10value_typeET4_jRbjT5_SW_jjP12ihipStream_tbEUlT_E_NS1_11comp_targetILNS1_3genE4ELNS1_11target_archE910ELNS1_3gpuE8ELNS1_3repE0EEENS1_30default_config_static_selectorELNS0_4arch9wavefront6targetE1EEEvSK_.num_agpr, 0
	.set _ZN7rocprim17ROCPRIM_400000_NS6detail17trampoline_kernelINS0_14default_configENS1_36segmented_radix_sort_config_selectorIblEEZNS1_25segmented_radix_sort_implIS3_Lb0EPKbPbPKlPlN2at6native12_GLOBAL__N_18offset_tEEE10hipError_tPvRmT1_PNSt15iterator_traitsISK_E10value_typeET2_T3_PNSL_ISQ_E10value_typeET4_jRbjT5_SW_jjP12ihipStream_tbEUlT_E_NS1_11comp_targetILNS1_3genE4ELNS1_11target_archE910ELNS1_3gpuE8ELNS1_3repE0EEENS1_30default_config_static_selectorELNS0_4arch9wavefront6targetE1EEEvSK_.numbered_sgpr, 0
	.set _ZN7rocprim17ROCPRIM_400000_NS6detail17trampoline_kernelINS0_14default_configENS1_36segmented_radix_sort_config_selectorIblEEZNS1_25segmented_radix_sort_implIS3_Lb0EPKbPbPKlPlN2at6native12_GLOBAL__N_18offset_tEEE10hipError_tPvRmT1_PNSt15iterator_traitsISK_E10value_typeET2_T3_PNSL_ISQ_E10value_typeET4_jRbjT5_SW_jjP12ihipStream_tbEUlT_E_NS1_11comp_targetILNS1_3genE4ELNS1_11target_archE910ELNS1_3gpuE8ELNS1_3repE0EEENS1_30default_config_static_selectorELNS0_4arch9wavefront6targetE1EEEvSK_.num_named_barrier, 0
	.set _ZN7rocprim17ROCPRIM_400000_NS6detail17trampoline_kernelINS0_14default_configENS1_36segmented_radix_sort_config_selectorIblEEZNS1_25segmented_radix_sort_implIS3_Lb0EPKbPbPKlPlN2at6native12_GLOBAL__N_18offset_tEEE10hipError_tPvRmT1_PNSt15iterator_traitsISK_E10value_typeET2_T3_PNSL_ISQ_E10value_typeET4_jRbjT5_SW_jjP12ihipStream_tbEUlT_E_NS1_11comp_targetILNS1_3genE4ELNS1_11target_archE910ELNS1_3gpuE8ELNS1_3repE0EEENS1_30default_config_static_selectorELNS0_4arch9wavefront6targetE1EEEvSK_.private_seg_size, 0
	.set _ZN7rocprim17ROCPRIM_400000_NS6detail17trampoline_kernelINS0_14default_configENS1_36segmented_radix_sort_config_selectorIblEEZNS1_25segmented_radix_sort_implIS3_Lb0EPKbPbPKlPlN2at6native12_GLOBAL__N_18offset_tEEE10hipError_tPvRmT1_PNSt15iterator_traitsISK_E10value_typeET2_T3_PNSL_ISQ_E10value_typeET4_jRbjT5_SW_jjP12ihipStream_tbEUlT_E_NS1_11comp_targetILNS1_3genE4ELNS1_11target_archE910ELNS1_3gpuE8ELNS1_3repE0EEENS1_30default_config_static_selectorELNS0_4arch9wavefront6targetE1EEEvSK_.uses_vcc, 0
	.set _ZN7rocprim17ROCPRIM_400000_NS6detail17trampoline_kernelINS0_14default_configENS1_36segmented_radix_sort_config_selectorIblEEZNS1_25segmented_radix_sort_implIS3_Lb0EPKbPbPKlPlN2at6native12_GLOBAL__N_18offset_tEEE10hipError_tPvRmT1_PNSt15iterator_traitsISK_E10value_typeET2_T3_PNSL_ISQ_E10value_typeET4_jRbjT5_SW_jjP12ihipStream_tbEUlT_E_NS1_11comp_targetILNS1_3genE4ELNS1_11target_archE910ELNS1_3gpuE8ELNS1_3repE0EEENS1_30default_config_static_selectorELNS0_4arch9wavefront6targetE1EEEvSK_.uses_flat_scratch, 0
	.set _ZN7rocprim17ROCPRIM_400000_NS6detail17trampoline_kernelINS0_14default_configENS1_36segmented_radix_sort_config_selectorIblEEZNS1_25segmented_radix_sort_implIS3_Lb0EPKbPbPKlPlN2at6native12_GLOBAL__N_18offset_tEEE10hipError_tPvRmT1_PNSt15iterator_traitsISK_E10value_typeET2_T3_PNSL_ISQ_E10value_typeET4_jRbjT5_SW_jjP12ihipStream_tbEUlT_E_NS1_11comp_targetILNS1_3genE4ELNS1_11target_archE910ELNS1_3gpuE8ELNS1_3repE0EEENS1_30default_config_static_selectorELNS0_4arch9wavefront6targetE1EEEvSK_.has_dyn_sized_stack, 0
	.set _ZN7rocprim17ROCPRIM_400000_NS6detail17trampoline_kernelINS0_14default_configENS1_36segmented_radix_sort_config_selectorIblEEZNS1_25segmented_radix_sort_implIS3_Lb0EPKbPbPKlPlN2at6native12_GLOBAL__N_18offset_tEEE10hipError_tPvRmT1_PNSt15iterator_traitsISK_E10value_typeET2_T3_PNSL_ISQ_E10value_typeET4_jRbjT5_SW_jjP12ihipStream_tbEUlT_E_NS1_11comp_targetILNS1_3genE4ELNS1_11target_archE910ELNS1_3gpuE8ELNS1_3repE0EEENS1_30default_config_static_selectorELNS0_4arch9wavefront6targetE1EEEvSK_.has_recursion, 0
	.set _ZN7rocprim17ROCPRIM_400000_NS6detail17trampoline_kernelINS0_14default_configENS1_36segmented_radix_sort_config_selectorIblEEZNS1_25segmented_radix_sort_implIS3_Lb0EPKbPbPKlPlN2at6native12_GLOBAL__N_18offset_tEEE10hipError_tPvRmT1_PNSt15iterator_traitsISK_E10value_typeET2_T3_PNSL_ISQ_E10value_typeET4_jRbjT5_SW_jjP12ihipStream_tbEUlT_E_NS1_11comp_targetILNS1_3genE4ELNS1_11target_archE910ELNS1_3gpuE8ELNS1_3repE0EEENS1_30default_config_static_selectorELNS0_4arch9wavefront6targetE1EEEvSK_.has_indirect_call, 0
	.section	.AMDGPU.csdata,"",@progbits
; Kernel info:
; codeLenInByte = 0
; TotalNumSgprs: 4
; NumVgprs: 0
; ScratchSize: 0
; MemoryBound: 0
; FloatMode: 240
; IeeeMode: 1
; LDSByteSize: 0 bytes/workgroup (compile time only)
; SGPRBlocks: 0
; VGPRBlocks: 0
; NumSGPRsForWavesPerEU: 4
; NumVGPRsForWavesPerEU: 1
; Occupancy: 10
; WaveLimiterHint : 0
; COMPUTE_PGM_RSRC2:SCRATCH_EN: 0
; COMPUTE_PGM_RSRC2:USER_SGPR: 6
; COMPUTE_PGM_RSRC2:TRAP_HANDLER: 0
; COMPUTE_PGM_RSRC2:TGID_X_EN: 1
; COMPUTE_PGM_RSRC2:TGID_Y_EN: 0
; COMPUTE_PGM_RSRC2:TGID_Z_EN: 0
; COMPUTE_PGM_RSRC2:TIDIG_COMP_CNT: 0
	.section	.text._ZN7rocprim17ROCPRIM_400000_NS6detail17trampoline_kernelINS0_14default_configENS1_36segmented_radix_sort_config_selectorIblEEZNS1_25segmented_radix_sort_implIS3_Lb0EPKbPbPKlPlN2at6native12_GLOBAL__N_18offset_tEEE10hipError_tPvRmT1_PNSt15iterator_traitsISK_E10value_typeET2_T3_PNSL_ISQ_E10value_typeET4_jRbjT5_SW_jjP12ihipStream_tbEUlT_E_NS1_11comp_targetILNS1_3genE3ELNS1_11target_archE908ELNS1_3gpuE7ELNS1_3repE0EEENS1_30default_config_static_selectorELNS0_4arch9wavefront6targetE1EEEvSK_,"axG",@progbits,_ZN7rocprim17ROCPRIM_400000_NS6detail17trampoline_kernelINS0_14default_configENS1_36segmented_radix_sort_config_selectorIblEEZNS1_25segmented_radix_sort_implIS3_Lb0EPKbPbPKlPlN2at6native12_GLOBAL__N_18offset_tEEE10hipError_tPvRmT1_PNSt15iterator_traitsISK_E10value_typeET2_T3_PNSL_ISQ_E10value_typeET4_jRbjT5_SW_jjP12ihipStream_tbEUlT_E_NS1_11comp_targetILNS1_3genE3ELNS1_11target_archE908ELNS1_3gpuE7ELNS1_3repE0EEENS1_30default_config_static_selectorELNS0_4arch9wavefront6targetE1EEEvSK_,comdat
	.globl	_ZN7rocprim17ROCPRIM_400000_NS6detail17trampoline_kernelINS0_14default_configENS1_36segmented_radix_sort_config_selectorIblEEZNS1_25segmented_radix_sort_implIS3_Lb0EPKbPbPKlPlN2at6native12_GLOBAL__N_18offset_tEEE10hipError_tPvRmT1_PNSt15iterator_traitsISK_E10value_typeET2_T3_PNSL_ISQ_E10value_typeET4_jRbjT5_SW_jjP12ihipStream_tbEUlT_E_NS1_11comp_targetILNS1_3genE3ELNS1_11target_archE908ELNS1_3gpuE7ELNS1_3repE0EEENS1_30default_config_static_selectorELNS0_4arch9wavefront6targetE1EEEvSK_ ; -- Begin function _ZN7rocprim17ROCPRIM_400000_NS6detail17trampoline_kernelINS0_14default_configENS1_36segmented_radix_sort_config_selectorIblEEZNS1_25segmented_radix_sort_implIS3_Lb0EPKbPbPKlPlN2at6native12_GLOBAL__N_18offset_tEEE10hipError_tPvRmT1_PNSt15iterator_traitsISK_E10value_typeET2_T3_PNSL_ISQ_E10value_typeET4_jRbjT5_SW_jjP12ihipStream_tbEUlT_E_NS1_11comp_targetILNS1_3genE3ELNS1_11target_archE908ELNS1_3gpuE7ELNS1_3repE0EEENS1_30default_config_static_selectorELNS0_4arch9wavefront6targetE1EEEvSK_
	.p2align	8
	.type	_ZN7rocprim17ROCPRIM_400000_NS6detail17trampoline_kernelINS0_14default_configENS1_36segmented_radix_sort_config_selectorIblEEZNS1_25segmented_radix_sort_implIS3_Lb0EPKbPbPKlPlN2at6native12_GLOBAL__N_18offset_tEEE10hipError_tPvRmT1_PNSt15iterator_traitsISK_E10value_typeET2_T3_PNSL_ISQ_E10value_typeET4_jRbjT5_SW_jjP12ihipStream_tbEUlT_E_NS1_11comp_targetILNS1_3genE3ELNS1_11target_archE908ELNS1_3gpuE7ELNS1_3repE0EEENS1_30default_config_static_selectorELNS0_4arch9wavefront6targetE1EEEvSK_,@function
_ZN7rocprim17ROCPRIM_400000_NS6detail17trampoline_kernelINS0_14default_configENS1_36segmented_radix_sort_config_selectorIblEEZNS1_25segmented_radix_sort_implIS3_Lb0EPKbPbPKlPlN2at6native12_GLOBAL__N_18offset_tEEE10hipError_tPvRmT1_PNSt15iterator_traitsISK_E10value_typeET2_T3_PNSL_ISQ_E10value_typeET4_jRbjT5_SW_jjP12ihipStream_tbEUlT_E_NS1_11comp_targetILNS1_3genE3ELNS1_11target_archE908ELNS1_3gpuE7ELNS1_3repE0EEENS1_30default_config_static_selectorELNS0_4arch9wavefront6targetE1EEEvSK_: ; @_ZN7rocprim17ROCPRIM_400000_NS6detail17trampoline_kernelINS0_14default_configENS1_36segmented_radix_sort_config_selectorIblEEZNS1_25segmented_radix_sort_implIS3_Lb0EPKbPbPKlPlN2at6native12_GLOBAL__N_18offset_tEEE10hipError_tPvRmT1_PNSt15iterator_traitsISK_E10value_typeET2_T3_PNSL_ISQ_E10value_typeET4_jRbjT5_SW_jjP12ihipStream_tbEUlT_E_NS1_11comp_targetILNS1_3genE3ELNS1_11target_archE908ELNS1_3gpuE7ELNS1_3repE0EEENS1_30default_config_static_selectorELNS0_4arch9wavefront6targetE1EEEvSK_
; %bb.0:
	.section	.rodata,"a",@progbits
	.p2align	6, 0x0
	.amdhsa_kernel _ZN7rocprim17ROCPRIM_400000_NS6detail17trampoline_kernelINS0_14default_configENS1_36segmented_radix_sort_config_selectorIblEEZNS1_25segmented_radix_sort_implIS3_Lb0EPKbPbPKlPlN2at6native12_GLOBAL__N_18offset_tEEE10hipError_tPvRmT1_PNSt15iterator_traitsISK_E10value_typeET2_T3_PNSL_ISQ_E10value_typeET4_jRbjT5_SW_jjP12ihipStream_tbEUlT_E_NS1_11comp_targetILNS1_3genE3ELNS1_11target_archE908ELNS1_3gpuE7ELNS1_3repE0EEENS1_30default_config_static_selectorELNS0_4arch9wavefront6targetE1EEEvSK_
		.amdhsa_group_segment_fixed_size 0
		.amdhsa_private_segment_fixed_size 0
		.amdhsa_kernarg_size 96
		.amdhsa_user_sgpr_count 6
		.amdhsa_user_sgpr_private_segment_buffer 1
		.amdhsa_user_sgpr_dispatch_ptr 0
		.amdhsa_user_sgpr_queue_ptr 0
		.amdhsa_user_sgpr_kernarg_segment_ptr 1
		.amdhsa_user_sgpr_dispatch_id 0
		.amdhsa_user_sgpr_flat_scratch_init 0
		.amdhsa_user_sgpr_private_segment_size 0
		.amdhsa_uses_dynamic_stack 0
		.amdhsa_system_sgpr_private_segment_wavefront_offset 0
		.amdhsa_system_sgpr_workgroup_id_x 1
		.amdhsa_system_sgpr_workgroup_id_y 0
		.amdhsa_system_sgpr_workgroup_id_z 0
		.amdhsa_system_sgpr_workgroup_info 0
		.amdhsa_system_vgpr_workitem_id 0
		.amdhsa_next_free_vgpr 1
		.amdhsa_next_free_sgpr 0
		.amdhsa_reserve_vcc 0
		.amdhsa_reserve_flat_scratch 0
		.amdhsa_float_round_mode_32 0
		.amdhsa_float_round_mode_16_64 0
		.amdhsa_float_denorm_mode_32 3
		.amdhsa_float_denorm_mode_16_64 3
		.amdhsa_dx10_clamp 1
		.amdhsa_ieee_mode 1
		.amdhsa_fp16_overflow 0
		.amdhsa_exception_fp_ieee_invalid_op 0
		.amdhsa_exception_fp_denorm_src 0
		.amdhsa_exception_fp_ieee_div_zero 0
		.amdhsa_exception_fp_ieee_overflow 0
		.amdhsa_exception_fp_ieee_underflow 0
		.amdhsa_exception_fp_ieee_inexact 0
		.amdhsa_exception_int_div_zero 0
	.end_amdhsa_kernel
	.section	.text._ZN7rocprim17ROCPRIM_400000_NS6detail17trampoline_kernelINS0_14default_configENS1_36segmented_radix_sort_config_selectorIblEEZNS1_25segmented_radix_sort_implIS3_Lb0EPKbPbPKlPlN2at6native12_GLOBAL__N_18offset_tEEE10hipError_tPvRmT1_PNSt15iterator_traitsISK_E10value_typeET2_T3_PNSL_ISQ_E10value_typeET4_jRbjT5_SW_jjP12ihipStream_tbEUlT_E_NS1_11comp_targetILNS1_3genE3ELNS1_11target_archE908ELNS1_3gpuE7ELNS1_3repE0EEENS1_30default_config_static_selectorELNS0_4arch9wavefront6targetE1EEEvSK_,"axG",@progbits,_ZN7rocprim17ROCPRIM_400000_NS6detail17trampoline_kernelINS0_14default_configENS1_36segmented_radix_sort_config_selectorIblEEZNS1_25segmented_radix_sort_implIS3_Lb0EPKbPbPKlPlN2at6native12_GLOBAL__N_18offset_tEEE10hipError_tPvRmT1_PNSt15iterator_traitsISK_E10value_typeET2_T3_PNSL_ISQ_E10value_typeET4_jRbjT5_SW_jjP12ihipStream_tbEUlT_E_NS1_11comp_targetILNS1_3genE3ELNS1_11target_archE908ELNS1_3gpuE7ELNS1_3repE0EEENS1_30default_config_static_selectorELNS0_4arch9wavefront6targetE1EEEvSK_,comdat
.Lfunc_end1638:
	.size	_ZN7rocprim17ROCPRIM_400000_NS6detail17trampoline_kernelINS0_14default_configENS1_36segmented_radix_sort_config_selectorIblEEZNS1_25segmented_radix_sort_implIS3_Lb0EPKbPbPKlPlN2at6native12_GLOBAL__N_18offset_tEEE10hipError_tPvRmT1_PNSt15iterator_traitsISK_E10value_typeET2_T3_PNSL_ISQ_E10value_typeET4_jRbjT5_SW_jjP12ihipStream_tbEUlT_E_NS1_11comp_targetILNS1_3genE3ELNS1_11target_archE908ELNS1_3gpuE7ELNS1_3repE0EEENS1_30default_config_static_selectorELNS0_4arch9wavefront6targetE1EEEvSK_, .Lfunc_end1638-_ZN7rocprim17ROCPRIM_400000_NS6detail17trampoline_kernelINS0_14default_configENS1_36segmented_radix_sort_config_selectorIblEEZNS1_25segmented_radix_sort_implIS3_Lb0EPKbPbPKlPlN2at6native12_GLOBAL__N_18offset_tEEE10hipError_tPvRmT1_PNSt15iterator_traitsISK_E10value_typeET2_T3_PNSL_ISQ_E10value_typeET4_jRbjT5_SW_jjP12ihipStream_tbEUlT_E_NS1_11comp_targetILNS1_3genE3ELNS1_11target_archE908ELNS1_3gpuE7ELNS1_3repE0EEENS1_30default_config_static_selectorELNS0_4arch9wavefront6targetE1EEEvSK_
                                        ; -- End function
	.set _ZN7rocprim17ROCPRIM_400000_NS6detail17trampoline_kernelINS0_14default_configENS1_36segmented_radix_sort_config_selectorIblEEZNS1_25segmented_radix_sort_implIS3_Lb0EPKbPbPKlPlN2at6native12_GLOBAL__N_18offset_tEEE10hipError_tPvRmT1_PNSt15iterator_traitsISK_E10value_typeET2_T3_PNSL_ISQ_E10value_typeET4_jRbjT5_SW_jjP12ihipStream_tbEUlT_E_NS1_11comp_targetILNS1_3genE3ELNS1_11target_archE908ELNS1_3gpuE7ELNS1_3repE0EEENS1_30default_config_static_selectorELNS0_4arch9wavefront6targetE1EEEvSK_.num_vgpr, 0
	.set _ZN7rocprim17ROCPRIM_400000_NS6detail17trampoline_kernelINS0_14default_configENS1_36segmented_radix_sort_config_selectorIblEEZNS1_25segmented_radix_sort_implIS3_Lb0EPKbPbPKlPlN2at6native12_GLOBAL__N_18offset_tEEE10hipError_tPvRmT1_PNSt15iterator_traitsISK_E10value_typeET2_T3_PNSL_ISQ_E10value_typeET4_jRbjT5_SW_jjP12ihipStream_tbEUlT_E_NS1_11comp_targetILNS1_3genE3ELNS1_11target_archE908ELNS1_3gpuE7ELNS1_3repE0EEENS1_30default_config_static_selectorELNS0_4arch9wavefront6targetE1EEEvSK_.num_agpr, 0
	.set _ZN7rocprim17ROCPRIM_400000_NS6detail17trampoline_kernelINS0_14default_configENS1_36segmented_radix_sort_config_selectorIblEEZNS1_25segmented_radix_sort_implIS3_Lb0EPKbPbPKlPlN2at6native12_GLOBAL__N_18offset_tEEE10hipError_tPvRmT1_PNSt15iterator_traitsISK_E10value_typeET2_T3_PNSL_ISQ_E10value_typeET4_jRbjT5_SW_jjP12ihipStream_tbEUlT_E_NS1_11comp_targetILNS1_3genE3ELNS1_11target_archE908ELNS1_3gpuE7ELNS1_3repE0EEENS1_30default_config_static_selectorELNS0_4arch9wavefront6targetE1EEEvSK_.numbered_sgpr, 0
	.set _ZN7rocprim17ROCPRIM_400000_NS6detail17trampoline_kernelINS0_14default_configENS1_36segmented_radix_sort_config_selectorIblEEZNS1_25segmented_radix_sort_implIS3_Lb0EPKbPbPKlPlN2at6native12_GLOBAL__N_18offset_tEEE10hipError_tPvRmT1_PNSt15iterator_traitsISK_E10value_typeET2_T3_PNSL_ISQ_E10value_typeET4_jRbjT5_SW_jjP12ihipStream_tbEUlT_E_NS1_11comp_targetILNS1_3genE3ELNS1_11target_archE908ELNS1_3gpuE7ELNS1_3repE0EEENS1_30default_config_static_selectorELNS0_4arch9wavefront6targetE1EEEvSK_.num_named_barrier, 0
	.set _ZN7rocprim17ROCPRIM_400000_NS6detail17trampoline_kernelINS0_14default_configENS1_36segmented_radix_sort_config_selectorIblEEZNS1_25segmented_radix_sort_implIS3_Lb0EPKbPbPKlPlN2at6native12_GLOBAL__N_18offset_tEEE10hipError_tPvRmT1_PNSt15iterator_traitsISK_E10value_typeET2_T3_PNSL_ISQ_E10value_typeET4_jRbjT5_SW_jjP12ihipStream_tbEUlT_E_NS1_11comp_targetILNS1_3genE3ELNS1_11target_archE908ELNS1_3gpuE7ELNS1_3repE0EEENS1_30default_config_static_selectorELNS0_4arch9wavefront6targetE1EEEvSK_.private_seg_size, 0
	.set _ZN7rocprim17ROCPRIM_400000_NS6detail17trampoline_kernelINS0_14default_configENS1_36segmented_radix_sort_config_selectorIblEEZNS1_25segmented_radix_sort_implIS3_Lb0EPKbPbPKlPlN2at6native12_GLOBAL__N_18offset_tEEE10hipError_tPvRmT1_PNSt15iterator_traitsISK_E10value_typeET2_T3_PNSL_ISQ_E10value_typeET4_jRbjT5_SW_jjP12ihipStream_tbEUlT_E_NS1_11comp_targetILNS1_3genE3ELNS1_11target_archE908ELNS1_3gpuE7ELNS1_3repE0EEENS1_30default_config_static_selectorELNS0_4arch9wavefront6targetE1EEEvSK_.uses_vcc, 0
	.set _ZN7rocprim17ROCPRIM_400000_NS6detail17trampoline_kernelINS0_14default_configENS1_36segmented_radix_sort_config_selectorIblEEZNS1_25segmented_radix_sort_implIS3_Lb0EPKbPbPKlPlN2at6native12_GLOBAL__N_18offset_tEEE10hipError_tPvRmT1_PNSt15iterator_traitsISK_E10value_typeET2_T3_PNSL_ISQ_E10value_typeET4_jRbjT5_SW_jjP12ihipStream_tbEUlT_E_NS1_11comp_targetILNS1_3genE3ELNS1_11target_archE908ELNS1_3gpuE7ELNS1_3repE0EEENS1_30default_config_static_selectorELNS0_4arch9wavefront6targetE1EEEvSK_.uses_flat_scratch, 0
	.set _ZN7rocprim17ROCPRIM_400000_NS6detail17trampoline_kernelINS0_14default_configENS1_36segmented_radix_sort_config_selectorIblEEZNS1_25segmented_radix_sort_implIS3_Lb0EPKbPbPKlPlN2at6native12_GLOBAL__N_18offset_tEEE10hipError_tPvRmT1_PNSt15iterator_traitsISK_E10value_typeET2_T3_PNSL_ISQ_E10value_typeET4_jRbjT5_SW_jjP12ihipStream_tbEUlT_E_NS1_11comp_targetILNS1_3genE3ELNS1_11target_archE908ELNS1_3gpuE7ELNS1_3repE0EEENS1_30default_config_static_selectorELNS0_4arch9wavefront6targetE1EEEvSK_.has_dyn_sized_stack, 0
	.set _ZN7rocprim17ROCPRIM_400000_NS6detail17trampoline_kernelINS0_14default_configENS1_36segmented_radix_sort_config_selectorIblEEZNS1_25segmented_radix_sort_implIS3_Lb0EPKbPbPKlPlN2at6native12_GLOBAL__N_18offset_tEEE10hipError_tPvRmT1_PNSt15iterator_traitsISK_E10value_typeET2_T3_PNSL_ISQ_E10value_typeET4_jRbjT5_SW_jjP12ihipStream_tbEUlT_E_NS1_11comp_targetILNS1_3genE3ELNS1_11target_archE908ELNS1_3gpuE7ELNS1_3repE0EEENS1_30default_config_static_selectorELNS0_4arch9wavefront6targetE1EEEvSK_.has_recursion, 0
	.set _ZN7rocprim17ROCPRIM_400000_NS6detail17trampoline_kernelINS0_14default_configENS1_36segmented_radix_sort_config_selectorIblEEZNS1_25segmented_radix_sort_implIS3_Lb0EPKbPbPKlPlN2at6native12_GLOBAL__N_18offset_tEEE10hipError_tPvRmT1_PNSt15iterator_traitsISK_E10value_typeET2_T3_PNSL_ISQ_E10value_typeET4_jRbjT5_SW_jjP12ihipStream_tbEUlT_E_NS1_11comp_targetILNS1_3genE3ELNS1_11target_archE908ELNS1_3gpuE7ELNS1_3repE0EEENS1_30default_config_static_selectorELNS0_4arch9wavefront6targetE1EEEvSK_.has_indirect_call, 0
	.section	.AMDGPU.csdata,"",@progbits
; Kernel info:
; codeLenInByte = 0
; TotalNumSgprs: 4
; NumVgprs: 0
; ScratchSize: 0
; MemoryBound: 0
; FloatMode: 240
; IeeeMode: 1
; LDSByteSize: 0 bytes/workgroup (compile time only)
; SGPRBlocks: 0
; VGPRBlocks: 0
; NumSGPRsForWavesPerEU: 4
; NumVGPRsForWavesPerEU: 1
; Occupancy: 10
; WaveLimiterHint : 0
; COMPUTE_PGM_RSRC2:SCRATCH_EN: 0
; COMPUTE_PGM_RSRC2:USER_SGPR: 6
; COMPUTE_PGM_RSRC2:TRAP_HANDLER: 0
; COMPUTE_PGM_RSRC2:TGID_X_EN: 1
; COMPUTE_PGM_RSRC2:TGID_Y_EN: 0
; COMPUTE_PGM_RSRC2:TGID_Z_EN: 0
; COMPUTE_PGM_RSRC2:TIDIG_COMP_CNT: 0
	.text
	.p2align	2                               ; -- Begin function _ZN7rocprim17ROCPRIM_400000_NS6detail40segmented_radix_sort_single_block_helperIblLj256ELj4ELb0EE4sortIPKbPbPKlPlEEbT_T0_T1_T2_jjjjRNS3_12storage_typeE
	.type	_ZN7rocprim17ROCPRIM_400000_NS6detail40segmented_radix_sort_single_block_helperIblLj256ELj4ELb0EE4sortIPKbPbPKlPlEEbT_T0_T1_T2_jjjjRNS3_12storage_typeE,@function
_ZN7rocprim17ROCPRIM_400000_NS6detail40segmented_radix_sort_single_block_helperIblLj256ELj4ELb0EE4sortIPKbPbPKlPlEEbT_T0_T1_T2_jjjjRNS3_12storage_typeE: ; @_ZN7rocprim17ROCPRIM_400000_NS6detail40segmented_radix_sort_single_block_helperIblLj256ELj4ELb0EE4sortIPKbPbPKlPlEEbT_T0_T1_T2_jjjjRNS3_12storage_typeE
; %bb.0:
	s_waitcnt vmcnt(0) expcnt(0) lgkmcnt(0)
	v_sub_u32_e32 v48, v9, v8
	s_movk_i32 s4, 0x401
	v_cmp_gt_u32_e32 vcc, s4, v48
	s_and_saveexec_b64 s[46:47], vcc
	s_cbranch_execz .LBB1639_106
; %bb.1:
	s_movk_i32 s4, 0x200
	v_cmp_lt_u32_e32 vcc, s4, v48
	v_bfe_u32 v15, v31, 10, 10
	v_bfe_u32 v18, v31, 20, 10
	v_mbcnt_lo_u32_b32 v17, -1, 0
	s_and_saveexec_b64 s[4:5], vcc
	s_xor_b64 s[56:57], exec, s[4:5]
	s_cbranch_execz .LBB1639_47
; %bb.2:
	s_load_dwordx2 s[4:5], s[8:9], 0x0
	v_mov_b32_e32 v9, 0
	v_and_b32_e32 v14, 0x3ff, v31
	v_add_co_u32_e32 v23, vcc, v0, v8
	s_waitcnt lgkmcnt(0)
	s_cmp_lt_u32 s13, s5
	s_cselect_b32 s5, 14, 20
	s_add_u32 s6, s8, s5
	s_addc_u32 s7, s9, 0
	s_cmp_lt_u32 s12, s4
	s_cselect_b32 s4, 12, 18
	s_add_u32 s4, s8, s4
	global_load_ushort v21, v9, s[6:7]
	s_addc_u32 s5, s9, 0
	global_load_ushort v22, v9, s[4:5]
	v_addc_co_u32_e32 v24, vcc, 0, v1, vcc
	v_mbcnt_hi_u32_b32 v19, -1, v17
	v_and_b32_e32 v20, 63, v19
	v_mov_b32_e32 v49, 1
	v_mov_b32_e32 v50, 1
	;; [unrolled: 1-line block ×3, first 2 shown]
	s_waitcnt vmcnt(1)
	v_mad_u32_u24 v0, v18, v21, v15
	s_waitcnt vmcnt(0)
	v_mad_u64_u32 v[0:1], s[4:5], v0, v22, v[14:15]
	v_add_co_u32_e32 v1, vcc, v23, v20
	v_lshlrev_b32_e32 v15, 2, v0
	v_addc_co_u32_e32 v18, vcc, 0, v24, vcc
	v_and_b32_e32 v15, 0xffffff00, v15
	v_add_co_u32_e32 v17, vcc, v1, v15
	v_addc_co_u32_e32 v18, vcc, 0, v18, vcc
	v_or_b32_e32 v21, v15, v20
	v_cmp_lt_u32_e32 vcc, v21, v48
	v_mov_b32_e32 v1, 1
	s_and_saveexec_b64 s[4:5], vcc
	s_cbranch_execz .LBB1639_4
; %bb.3:
	flat_load_ubyte v50, v[17:18]
	v_mov_b32_e32 v1, 1
.LBB1639_4:
	s_or_b64 exec, exec, s[4:5]
	v_or_b32_e32 v22, 64, v21
	v_cmp_lt_u32_e64 s[4:5], v22, v48
	v_mov_b32_e32 v51, v49
	s_and_saveexec_b64 s[6:7], s[4:5]
	s_cbranch_execz .LBB1639_6
; %bb.5:
	flat_load_ubyte v51, v[17:18] offset:64
.LBB1639_6:
	s_or_b64 exec, exec, s[6:7]
	v_or_b32_e32 v22, 0x80, v21
	v_cmp_lt_u32_e64 s[6:7], v22, v48
	s_and_saveexec_b64 s[10:11], s[6:7]
	s_cbranch_execz .LBB1639_8
; %bb.7:
	flat_load_ubyte v49, v[17:18] offset:128
.LBB1639_8:
	s_or_b64 exec, exec, s[10:11]
	v_or_b32_e32 v21, 0xc0, v21
	v_cmp_lt_u32_e64 s[10:11], v21, v48
	s_and_saveexec_b64 s[14:15], s[10:11]
	s_cbranch_execz .LBB1639_10
; %bb.9:
	flat_load_ubyte v1, v[17:18] offset:192
.LBB1639_10:
	s_or_b64 exec, exec, s[14:15]
	v_lshlrev_b64 v[17:18], 3, v[8:9]
	v_lshlrev_b32_e32 v9, 3, v20
	v_add_co_u32_e64 v4, s[14:15], v4, v17
	v_addc_co_u32_e64 v5, s[14:15], v5, v18, s[14:15]
	v_add_co_u32_e64 v9, s[14:15], v4, v9
	v_addc_co_u32_e64 v21, s[14:15], 0, v5, s[14:15]
	v_lshlrev_b64 v[4:5], 3, v[15:16]
                                        ; implicit-def: $vgpr23_vgpr24
	v_add_co_u32_e64 v4, s[14:15], v9, v4
	v_addc_co_u32_e64 v5, s[14:15], v21, v5, s[14:15]
	s_and_saveexec_b64 s[14:15], vcc
	s_cbranch_execnz .LBB1639_71
; %bb.11:
	s_or_b64 exec, exec, s[14:15]
                                        ; implicit-def: $vgpr25_vgpr26
	s_and_saveexec_b64 s[14:15], s[4:5]
	s_cbranch_execnz .LBB1639_72
.LBB1639_12:
	s_or_b64 exec, exec, s[14:15]
                                        ; implicit-def: $vgpr27_vgpr28
	s_and_saveexec_b64 s[4:5], s[6:7]
	s_cbranch_execnz .LBB1639_73
.LBB1639_13:
	s_or_b64 exec, exec, s[4:5]
                                        ; implicit-def: $vgpr29_vgpr30
	s_and_saveexec_b64 s[4:5], s[10:11]
	s_cbranch_execz .LBB1639_15
.LBB1639_14:
	flat_load_dwordx2 v[29:30], v[4:5] offset:1536
.LBB1639_15:
	s_or_b64 exec, exec, s[4:5]
	v_lshl_add_u32 v5, v14, 4, v12
	s_getpc_b64 s[4:5]
	s_add_u32 s4, s4, _ZN7rocprim17ROCPRIM_400000_NS16block_radix_sortIbLj256ELj4ElLj1ELj1ELj8ELNS0_26block_radix_rank_algorithmE2ELNS0_18block_padding_hintE2ELNS0_4arch9wavefront6targetE1EE19radix_bits_per_passE@rel32@lo+4
	s_addc_u32 s5, s5, _ZN7rocprim17ROCPRIM_400000_NS16block_radix_sortIbLj256ELj4ElLj1ELj1ELj8ELNS0_26block_radix_rank_algorithmE2ELNS0_18block_padding_hintE2ELNS0_4arch9wavefront6targetE1EE19radix_bits_per_passE@rel32@hi+12
	v_add_u32_e32 v9, 16, v5
	v_add_u32_e32 v52, 20, v5
	;; [unrolled: 1-line block ×4, first 2 shown]
	v_and_b32_e32 v5, 15, v19
	s_load_dword s62, s[4:5], 0x0
	v_cmp_eq_u32_e32 vcc, 0, v5
	v_cmp_lt_u32_e64 s[4:5], 1, v5
	v_cmp_lt_u32_e64 s[6:7], 3, v5
	;; [unrolled: 1-line block ×3, first 2 shown]
	v_and_b32_e32 v5, 16, v19
	v_cmp_eq_u32_e64 s[40:41], 0, v5
	v_and_b32_e32 v5, 0x3c0, v14
	v_min_u32_e32 v5, 0xc0, v5
	v_or_b32_e32 v5, 63, v5
	v_cmp_eq_u32_e64 s[16:17], v14, v5
	v_subrev_co_u32_e64 v5, s[22:23], 1, v19
	v_and_b32_e32 v15, 64, v19
	v_cmp_lt_i32_e64 s[24:25], v5, v15
	v_lshlrev_b32_e32 v4, 2, v14
	v_cndmask_b32_e64 v5, v5, v19, s[24:25]
	s_movk_i32 s42, 0xf00
	v_lshlrev_b32_e32 v64, 2, v5
	v_lshrrev_b32_e32 v5, 4, v14
	v_add_u32_e32 v67, v12, v4
	v_and_or_b32 v4, v4, s42, v20
	v_and_b32_e32 v5, 60, v5
	v_add_u32_e32 v68, v12, v4
	v_mul_u32_u24_e32 v4, 7, v4
	v_add_u32_e32 v65, v12, v5
	v_and_b32_e32 v5, 3, v19
	v_add_u32_e32 v69, v68, v4
	v_lshrrev_b32_e32 v55, 6, v0
	v_cmp_lt_u32_e64 s[14:15], 31, v19
	v_cmp_gt_u32_e64 s[18:19], 4, v14
	v_cmp_lt_u32_e64 s[20:21], 63, v14
	v_cmp_eq_u32_e64 s[24:25], 0, v14
	v_mov_b32_e32 v66, 0
	v_cmp_eq_u32_e64 s[26:27], 0, v5
	v_cmp_lt_u32_e64 s[28:29], 1, v5
	v_add_u32_e32 v70, 0x200, v69
	v_add_u32_e32 v71, 0x400, v69
	;; [unrolled: 1-line block ×3, first 2 shown]
	v_sub_u32_e32 v81, v11, v10
	s_mov_b64 s[58:59], 0
	s_waitcnt vmcnt(0) lgkmcnt(0)
	s_barrier
	s_branch .LBB1639_17
.LBB1639_16:                            ;   in Loop: Header=BB1639_17 Depth=1
	s_or_b64 exec, exec, s[44:45]
	s_and_b64 s[42:43], exec, s[60:61]
	s_or_b64 s[58:59], s[42:43], s[58:59]
	s_andn2_b64 exec, exec, s[58:59]
	s_cbranch_execz .LBB1639_33
.LBB1639_17:                            ; =>This Inner Loop Header: Depth=1
	v_mov_b32_e32 v21, v23
	v_mov_b32_e32 v22, v24
	v_min_u32_e32 v23, s62, v81
	v_lshlrev_b32_e64 v23, v23, -1
	v_not_b32_e32 v33, v23
	v_lshrrev_b32_sdwa v23, v10, v50 dst_sel:DWORD dst_unused:UNUSED_PAD src0_sel:DWORD src1_sel:BYTE_0
	v_and_b32_e32 v23, v23, v33
	v_lshlrev_b32_e32 v24, 2, v23
	v_add_lshl_u32 v24, v24, v55, 2
	v_mov_b32_e32 v19, v25
	v_add_co_u32_e64 v24, s[42:43], v12, v24
	v_mov_b32_e32 v20, v26
	v_add_co_u32_e64 v25, s[42:43], 16, v24
	v_cmp_ne_u32_e64 s[42:43], 0, v23
	v_add_co_u32_e64 v23, s[44:45], -1, v23
	v_addc_co_u32_e64 v24, s[44:45], 0, -1, s[44:45]
	v_xor_b32_e32 v23, s42, v23
	v_xor_b32_e32 v24, s43, v24
	v_and_b32_e32 v23, exec_lo, v23
	v_and_b32_e32 v24, exec_hi, v24
	v_mbcnt_lo_u32_b32 v26, v23, 0
	v_mbcnt_hi_u32_b32 v26, v24, v26
	v_cmp_ne_u64_e64 s[42:43], 0, v[23:24]
	v_mov_b32_e32 v15, v27
	v_mov_b32_e32 v4, v29
	v_cmp_eq_u32_e64 s[44:45], 0, v26
	v_mov_b32_e32 v16, v28
	v_mov_b32_e32 v5, v30
	s_and_b64 s[44:45], s[42:43], s[44:45]
	ds_write_b32 v9, v66
	ds_write_b32 v52, v66
	ds_write_b32 v53, v66
	ds_write_b32 v54, v66
	s_waitcnt lgkmcnt(0)
	s_barrier
	; wave barrier
	s_and_saveexec_b64 s[42:43], s[44:45]
; %bb.18:                               ;   in Loop: Header=BB1639_17 Depth=1
	v_bcnt_u32_b32 v23, v23, 0
	v_bcnt_u32_b32 v23, v24, v23
	ds_write_b32 v25, v23
; %bb.19:                               ;   in Loop: Header=BB1639_17 Depth=1
	s_or_b64 exec, exec, s[42:43]
	v_lshrrev_b32_sdwa v23, v10, v51 dst_sel:DWORD dst_unused:UNUSED_PAD src0_sel:DWORD src1_sel:BYTE_0
	v_and_b32_e32 v23, v23, v33
	v_lshl_add_u32 v24, v23, 2, v55
	v_lshl_add_u32 v24, v24, 2, v12
	v_cmp_ne_u32_e64 s[42:43], 0, v23
	v_add_co_u32_e64 v23, s[44:45], -1, v23
	; wave barrier
	v_add_u32_e32 v28, 16, v24
	ds_read_b32 v27, v24 offset:16
	v_addc_co_u32_e64 v24, s[44:45], 0, -1, s[44:45]
	v_xor_b32_e32 v23, s42, v23
	v_xor_b32_e32 v24, s43, v24
	v_and_b32_e32 v23, exec_lo, v23
	v_and_b32_e32 v24, exec_hi, v24
	v_mbcnt_lo_u32_b32 v29, v23, 0
	v_mbcnt_hi_u32_b32 v29, v24, v29
	v_cmp_ne_u64_e64 s[42:43], 0, v[23:24]
	v_cmp_eq_u32_e64 s[44:45], 0, v29
	s_and_b64 s[44:45], s[42:43], s[44:45]
	; wave barrier
	s_and_saveexec_b64 s[42:43], s[44:45]
	s_cbranch_execz .LBB1639_21
; %bb.20:                               ;   in Loop: Header=BB1639_17 Depth=1
	v_bcnt_u32_b32 v23, v23, 0
	v_bcnt_u32_b32 v23, v24, v23
	s_waitcnt lgkmcnt(0)
	v_add_u32_e32 v23, v27, v23
	ds_write_b32 v28, v23
.LBB1639_21:                            ;   in Loop: Header=BB1639_17 Depth=1
	s_or_b64 exec, exec, s[42:43]
	v_lshrrev_b32_sdwa v23, v10, v49 dst_sel:DWORD dst_unused:UNUSED_PAD src0_sel:DWORD src1_sel:BYTE_0
	v_and_b32_e32 v23, v23, v33
	v_lshl_add_u32 v24, v23, 2, v55
	v_lshl_add_u32 v24, v24, 2, v12
	v_cmp_ne_u32_e64 s[42:43], 0, v23
	v_add_co_u32_e64 v23, s[44:45], -1, v23
	; wave barrier
	v_add_u32_e32 v31, 16, v24
	ds_read_b32 v30, v24 offset:16
	v_addc_co_u32_e64 v24, s[44:45], 0, -1, s[44:45]
	v_xor_b32_e32 v23, s42, v23
	v_xor_b32_e32 v24, s43, v24
	v_and_b32_e32 v23, exec_lo, v23
	v_and_b32_e32 v24, exec_hi, v24
	v_mbcnt_lo_u32_b32 v32, v23, 0
	v_mbcnt_hi_u32_b32 v32, v24, v32
	v_cmp_ne_u64_e64 s[42:43], 0, v[23:24]
	v_cmp_eq_u32_e64 s[44:45], 0, v32
	s_and_b64 s[44:45], s[42:43], s[44:45]
	; wave barrier
	s_and_saveexec_b64 s[42:43], s[44:45]
	s_cbranch_execz .LBB1639_23
; %bb.22:                               ;   in Loop: Header=BB1639_17 Depth=1
	v_bcnt_u32_b32 v23, v23, 0
	v_bcnt_u32_b32 v23, v24, v23
	s_waitcnt lgkmcnt(0)
	v_add_u32_e32 v23, v30, v23
	ds_write_b32 v31, v23
.LBB1639_23:                            ;   in Loop: Header=BB1639_17 Depth=1
	;; [unrolled: 30-line block ×3, first 2 shown]
	s_or_b64 exec, exec, s[42:43]
	; wave barrier
	s_waitcnt lgkmcnt(0)
	s_barrier
	ds_read_b32 v36, v9
	ds_read_b32 v23, v52
	;; [unrolled: 1-line block ×4, first 2 shown]
	s_waitcnt lgkmcnt(2)
	v_add_u32_e32 v38, v23, v36
	s_waitcnt lgkmcnt(0)
	v_add3_u32 v37, v38, v24, v37
	s_nop 1
	v_mov_b32_dpp v38, v37 row_shr:1 row_mask:0xf bank_mask:0xf
	v_cndmask_b32_e64 v38, v38, 0, vcc
	v_add_u32_e32 v37, v38, v37
	s_nop 1
	v_mov_b32_dpp v38, v37 row_shr:2 row_mask:0xf bank_mask:0xf
	v_cndmask_b32_e64 v38, 0, v38, s[4:5]
	v_add_u32_e32 v37, v37, v38
	s_nop 1
	v_mov_b32_dpp v38, v37 row_shr:4 row_mask:0xf bank_mask:0xf
	v_cndmask_b32_e64 v38, 0, v38, s[6:7]
	v_add_u32_e32 v37, v37, v38
	s_nop 1
	v_mov_b32_dpp v38, v37 row_shr:8 row_mask:0xf bank_mask:0xf
	v_cndmask_b32_e64 v38, 0, v38, s[10:11]
	v_add_u32_e32 v37, v37, v38
	s_nop 1
	v_mov_b32_dpp v38, v37 row_bcast:15 row_mask:0xf bank_mask:0xf
	v_cndmask_b32_e64 v38, v38, 0, s[40:41]
	v_add_u32_e32 v37, v37, v38
	s_nop 1
	v_mov_b32_dpp v38, v37 row_bcast:31 row_mask:0xf bank_mask:0xf
	v_cndmask_b32_e64 v38, 0, v38, s[14:15]
	v_add_u32_e32 v37, v37, v38
	s_and_saveexec_b64 s[42:43], s[16:17]
; %bb.26:                               ;   in Loop: Header=BB1639_17 Depth=1
	ds_write_b32 v65, v37
; %bb.27:                               ;   in Loop: Header=BB1639_17 Depth=1
	s_or_b64 exec, exec, s[42:43]
	s_waitcnt lgkmcnt(0)
	s_barrier
	s_and_saveexec_b64 s[42:43], s[18:19]
	s_cbranch_execz .LBB1639_29
; %bb.28:                               ;   in Loop: Header=BB1639_17 Depth=1
	ds_read_b32 v38, v67
	s_waitcnt lgkmcnt(0)
	s_nop 0
	v_mov_b32_dpp v39, v38 row_shr:1 row_mask:0xf bank_mask:0xf
	v_cndmask_b32_e64 v39, v39, 0, s[26:27]
	v_add_u32_e32 v38, v39, v38
	s_nop 1
	v_mov_b32_dpp v39, v38 row_shr:2 row_mask:0xf bank_mask:0xf
	v_cndmask_b32_e64 v39, 0, v39, s[28:29]
	v_add_u32_e32 v38, v38, v39
	ds_write_b32 v67, v38
.LBB1639_29:                            ;   in Loop: Header=BB1639_17 Depth=1
	s_or_b64 exec, exec, s[42:43]
	v_mov_b32_e32 v38, 0
	s_waitcnt lgkmcnt(0)
	s_barrier
	s_and_saveexec_b64 s[42:43], s[20:21]
; %bb.30:                               ;   in Loop: Header=BB1639_17 Depth=1
	v_add_u32_e32 v38, -4, v65
	ds_read_b32 v38, v38
; %bb.31:                               ;   in Loop: Header=BB1639_17 Depth=1
	s_or_b64 exec, exec, s[42:43]
	s_waitcnt lgkmcnt(0)
	v_add_u32_e32 v37, v38, v37
	ds_bpermute_b32 v37, v64, v37
	v_add_u32_e32 v10, 8, v10
	v_mov_b32_e32 v82, v50
	v_mov_b32_e32 v83, v51
	v_mov_b32_e32 v84, v49
	s_waitcnt lgkmcnt(0)
	v_cndmask_b32_e64 v37, v37, v38, s[22:23]
	v_cndmask_b32_e64 v37, v37, 0, s[24:25]
	v_add_u32_e32 v36, v37, v36
	v_add_u32_e32 v23, v36, v23
	;; [unrolled: 1-line block ×3, first 2 shown]
	ds_write_b32 v9, v37
	ds_write_b32 v52, v36
	;; [unrolled: 1-line block ×4, first 2 shown]
	s_waitcnt lgkmcnt(0)
	s_barrier
	ds_read_b32 v23, v25
	ds_read_b32 v24, v28
	;; [unrolled: 1-line block ×4, first 2 shown]
	v_mov_b32_e32 v96, v1
	s_waitcnt lgkmcnt(3)
	v_add_u32_e32 v23, v23, v26
	v_add_co_u32_e64 v37, s[44:45], v12, v23
	s_waitcnt lgkmcnt(2)
	v_add3_u32 v87, v29, v27, v24
	v_addc_co_u32_e64 v38, s[44:45], 0, v13, s[44:45]
	v_add_co_u32_e64 v31, s[44:45], v12, v87
	s_waitcnt lgkmcnt(1)
	v_add3_u32 v86, v32, v30, v25
	v_addc_co_u32_e64 v32, s[44:45], 0, v13, s[44:45]
	s_waitcnt lgkmcnt(0)
	v_add3_u32 v85, v35, v33, v28
	v_add_co_u32_e64 v33, s[44:45], v12, v86
	v_addc_co_u32_e64 v34, s[44:45], 0, v13, s[44:45]
	v_mad_u64_u32 v[35:36], s[44:45], v23, 7, v[37:38]
	v_add_co_u32_e64 v38, s[44:45], v12, v85
	v_cmp_lt_u32_e64 s[42:43], v10, v11
	v_addc_co_u32_e64 v39, s[44:45], 0, v13, s[44:45]
	s_mov_b64 s[60:61], -1
                                        ; implicit-def: $vgpr23_vgpr24
                                        ; implicit-def: $vgpr25_vgpr26
                                        ; implicit-def: $vgpr27_vgpr28
                                        ; implicit-def: $vgpr29_vgpr30
	s_and_saveexec_b64 s[44:45], s[42:43]
	s_cbranch_execz .LBB1639_16
; %bb.32:                               ;   in Loop: Header=BB1639_17 Depth=1
	v_add_u32_e32 v23, 0x80, v68
	s_barrier
	ds_write_b8 v37, v50
	ds_write_b8 v31, v51
	;; [unrolled: 1-line block ×4, first 2 shown]
	s_waitcnt lgkmcnt(0)
	s_barrier
	v_add_u32_e32 v1, 0xc0, v68
	ds_read_u8 v49, v23
	v_add_u32_e32 v23, 64, v68
	ds_read_u8 v1, v1
	ds_read_u8 v51, v23
	;; [unrolled: 1-line block ×3, first 2 shown]
	v_mad_u64_u32 v[23:24], s[42:43], v87, 7, v[31:32]
	v_mad_u64_u32 v[24:25], s[42:43], v86, 7, v[33:34]
	v_mad_u64_u32 v[25:26], s[42:43], v85, 7, v[38:39]
	s_waitcnt lgkmcnt(0)
	s_barrier
	ds_write_b64 v35, v[21:22]
	ds_write_b64 v23, v[19:20]
	;; [unrolled: 1-line block ×4, first 2 shown]
	s_waitcnt lgkmcnt(0)
	s_barrier
	ds_read_b64 v[23:24], v69
	ds_read_b64 v[25:26], v70
	;; [unrolled: 1-line block ×4, first 2 shown]
	v_add_u32_e32 v81, -8, v81
	s_xor_b64 s[60:61], exec, -1
	s_waitcnt lgkmcnt(0)
	s_barrier
	s_branch .LBB1639_16
.LBB1639_33:
	s_or_b64 exec, exec, s[58:59]
	v_mad_u64_u32 v[9:10], s[4:5], v87, 7, v[31:32]
	v_mad_u64_u32 v[10:11], s[4:5], v86, 7, v[33:34]
	v_add_u32_e32 v1, v12, v14
	v_mad_u64_u32 v[11:12], s[4:5], v85, 7, v[38:39]
	s_barrier
	ds_write_b8 v37, v82
	ds_write_b8 v31, v83
	;; [unrolled: 1-line block ×4, first 2 shown]
	s_waitcnt lgkmcnt(0)
	s_barrier
	ds_read_u8 v26, v1
	ds_read_u8 v25, v1 offset:256
	ds_read_u8 v24, v1 offset:512
	;; [unrolled: 1-line block ×3, first 2 shown]
	s_waitcnt lgkmcnt(0)
	s_barrier
	ds_write_b64 v35, v[21:22]
	ds_write_b64 v9, v[19:20]
	;; [unrolled: 1-line block ×4, first 2 shown]
	v_mul_u32_u24_e32 v4, 7, v14
	v_add_u32_e32 v1, v1, v4
	s_waitcnt lgkmcnt(0)
	s_barrier
	ds_read2st64_b64 v[13:16], v1 offset1:4
	ds_read2st64_b64 v[9:12], v1 offset0:8 offset1:12
	v_add_co_u32_e32 v2, vcc, v2, v8
	v_addc_co_u32_e32 v3, vcc, 0, v3, vcc
	v_add_co_u32_e32 v2, vcc, v2, v0
	v_addc_co_u32_e32 v3, vcc, 0, v3, vcc
	v_mov_b32_e32 v1, 0
	v_cmp_lt_u32_e32 vcc, v0, v48
	s_waitcnt lgkmcnt(0)
	s_barrier
	s_and_saveexec_b64 s[4:5], vcc
	s_cbranch_execz .LBB1639_35
; %bb.34:
	flat_store_byte v[2:3], v26
.LBB1639_35:
	s_or_b64 exec, exec, s[4:5]
	v_add_u32_e32 v4, 0x100, v0
	v_cmp_lt_u32_e64 s[6:7], v4, v48
	s_and_saveexec_b64 s[4:5], s[6:7]
	s_cbranch_execz .LBB1639_37
; %bb.36:
	flat_store_byte v[2:3], v25 offset:256
.LBB1639_37:
	s_or_b64 exec, exec, s[4:5]
	v_add_u32_e32 v4, 0x200, v0
	v_cmp_lt_u32_e64 s[10:11], v4, v48
	s_and_saveexec_b64 s[4:5], s[10:11]
	s_cbranch_execz .LBB1639_39
; %bb.38:
	flat_store_byte v[2:3], v24 offset:512
.LBB1639_39:
	;; [unrolled: 8-line block ×3, first 2 shown]
	s_or_b64 exec, exec, s[14:15]
	v_add_co_u32_e64 v2, s[14:15], v6, v17
	v_lshlrev_b64 v[0:1], 3, v[0:1]
	v_addc_co_u32_e64 v3, s[14:15], v7, v18, s[14:15]
	v_add_co_u32_e64 v0, s[14:15], v2, v0
	v_addc_co_u32_e64 v1, s[14:15], v3, v1, s[14:15]
	s_and_saveexec_b64 s[14:15], vcc
	s_cbranch_execnz .LBB1639_74
; %bb.42:
	s_or_b64 exec, exec, s[14:15]
	s_and_saveexec_b64 s[14:15], s[6:7]
	s_cbranch_execnz .LBB1639_75
.LBB1639_43:
	s_or_b64 exec, exec, s[14:15]
	s_and_saveexec_b64 s[6:7], s[10:11]
	s_cbranch_execnz .LBB1639_76
.LBB1639_44:
	s_or_b64 exec, exec, s[6:7]
	s_and_saveexec_b64 s[6:7], s[4:5]
	s_cbranch_execz .LBB1639_46
.LBB1639_45:
	v_add_co_u32_e32 v0, vcc, 0x1000, v0
	v_addc_co_u32_e32 v1, vcc, 0, v1, vcc
	flat_store_dwordx2 v[0:1], v[11:12] offset:2048
.LBB1639_46:
	s_or_b64 exec, exec, s[6:7]
                                        ; implicit-def: $vgpr48
                                        ; implicit-def: $vgpr0
                                        ; implicit-def: $vgpr1
                                        ; implicit-def: $vgpr2
                                        ; implicit-def: $vgpr3
                                        ; implicit-def: $vgpr4
                                        ; implicit-def: $vgpr5
                                        ; implicit-def: $vgpr6
                                        ; implicit-def: $vgpr7
                                        ; implicit-def: $vgpr8
                                        ; implicit-def: $vgpr10
                                        ; implicit-def: $vgpr11
                                        ; implicit-def: $vgpr12
                                        ; implicit-def: $vgpr13
                                        ; implicit-def: $vgpr31
                                        ; implicit-def: $vgpr15
                                        ; implicit-def: $vgpr18
                                        ; implicit-def: $vgpr17
.LBB1639_47:
	s_andn2_saveexec_b64 s[4:5], s[56:57]
	s_cbranch_execz .LBB1639_106
; %bb.48:
	s_load_dwordx2 s[4:5], s[8:9], 0x0
	v_mov_b32_e32 v9, 0
	v_and_b32_e32 v16, 0x3ff, v31
	s_waitcnt lgkmcnt(0)
	s_cmp_lt_u32 s13, s5
	s_cselect_b32 s5, 14, 20
	s_add_u32 s6, s8, s5
	s_addc_u32 s7, s9, 0
	s_cmp_lt_u32 s12, s4
	s_cselect_b32 s4, 12, 18
	s_add_u32 s4, s8, s4
	global_load_ushort v14, v9, s[6:7]
	s_addc_u32 s5, s9, 0
	global_load_ushort v19, v9, s[4:5]
	s_waitcnt vmcnt(0)
	v_mad_u32_u24 v14, v18, v14, v15
	v_mad_u64_u32 v[14:15], s[4:5], v14, v19, v[16:17]
	s_movk_i32 s4, 0x100
	v_cmp_lt_u32_e32 vcc, s4, v48
	s_and_saveexec_b64 s[4:5], vcc
	s_xor_b64 s[42:43], exec, s[4:5]
	s_cbranch_execz .LBB1639_86
; %bb.49:
	v_add_co_u32_e32 v0, vcc, v0, v8
	v_mbcnt_hi_u32_b32 v24, -1, v17
	v_addc_co_u32_e32 v1, vcc, 0, v1, vcc
	v_and_b32_e32 v23, 63, v24
	v_lshlrev_b32_e32 v15, 1, v14
	v_add_co_u32_e32 v0, vcc, v0, v23
	v_and_b32_e32 v17, 0xffffff80, v15
	v_addc_co_u32_e32 v1, vcc, 0, v1, vcc
	v_add_co_u32_e32 v0, vcc, v0, v17
	v_addc_co_u32_e32 v1, vcc, 0, v1, vcc
	v_or_b32_e32 v19, v23, v17
	v_mov_b32_e32 v18, v9
	v_cmp_lt_u32_e32 vcc, v19, v48
	v_mov_b32_e32 v15, 1
	v_mov_b32_e32 v30, 1
	s_and_saveexec_b64 s[4:5], vcc
	s_cbranch_execz .LBB1639_51
; %bb.50:
	flat_load_ubyte v30, v[0:1]
.LBB1639_51:
	s_or_b64 exec, exec, s[4:5]
	v_or_b32_e32 v19, 64, v19
	v_cmp_lt_u32_e64 s[4:5], v19, v48
	s_and_saveexec_b64 s[6:7], s[4:5]
	s_cbranch_execz .LBB1639_53
; %bb.52:
	flat_load_ubyte v15, v[0:1] offset:64
.LBB1639_53:
	s_or_b64 exec, exec, s[6:7]
	v_lshlrev_b64 v[0:1], 3, v[8:9]
	v_lshlrev_b32_e32 v9, 3, v23
	v_add_co_u32_e64 v4, s[6:7], v4, v0
	v_addc_co_u32_e64 v5, s[6:7], v5, v1, s[6:7]
	v_add_co_u32_e64 v9, s[6:7], v4, v9
	v_addc_co_u32_e64 v25, s[6:7], 0, v5, s[6:7]
	v_lshlrev_b64 v[4:5], 3, v[17:18]
	v_mov_b32_e32 v21, 0
	v_mov_b32_e32 v19, 0
	v_add_co_u32_e64 v4, s[6:7], v9, v4
	v_mov_b32_e32 v22, 0
	v_mov_b32_e32 v20, 0
	v_addc_co_u32_e64 v5, s[6:7], v25, v5, s[6:7]
	s_and_saveexec_b64 s[6:7], vcc
	s_cbranch_execz .LBB1639_55
; %bb.54:
	flat_load_dwordx2 v[19:20], v[4:5]
.LBB1639_55:
	s_or_b64 exec, exec, s[6:7]
	s_and_saveexec_b64 s[6:7], s[4:5]
	s_cbranch_execz .LBB1639_57
; %bb.56:
	flat_load_dwordx2 v[21:22], v[4:5] offset:512
.LBB1639_57:
	s_or_b64 exec, exec, s[6:7]
	v_lshl_add_u32 v4, v16, 4, v12
	s_getpc_b64 s[4:5]
	s_add_u32 s4, s4, _ZN7rocprim17ROCPRIM_400000_NS16block_radix_sortIbLj256ELj2ElLj1ELj1ELj8ELNS0_26block_radix_rank_algorithmE2ELNS0_18block_padding_hintE2ELNS0_4arch9wavefront6targetE1EE19radix_bits_per_passE@rel32@lo+4
	s_addc_u32 s5, s5, _ZN7rocprim17ROCPRIM_400000_NS16block_radix_sortIbLj256ELj2ElLj1ELj1ELj8ELNS0_26block_radix_rank_algorithmE2ELNS0_18block_padding_hintE2ELNS0_4arch9wavefront6targetE1EE19radix_bits_per_passE@rel32@hi+12
	v_add_u32_e32 v9, 16, v4
	v_add_u32_e32 v31, 20, v4
	;; [unrolled: 1-line block ×4, first 2 shown]
	v_and_b32_e32 v4, 15, v24
	s_load_dword s58, s[4:5], 0x0
	v_cmp_eq_u32_e32 vcc, 0, v4
	v_cmp_lt_u32_e64 s[4:5], 1, v4
	v_cmp_lt_u32_e64 s[6:7], 3, v4
	;; [unrolled: 1-line block ×3, first 2 shown]
	v_and_b32_e32 v4, 16, v24
	v_cmp_eq_u32_e64 s[10:11], 0, v4
	v_and_b32_e32 v4, 0x3c0, v16
	v_min_u32_e32 v4, 0xc0, v4
	v_or_b32_e32 v4, 63, v4
	v_cmp_eq_u32_e64 s[14:15], v16, v4
	v_subrev_co_u32_e64 v4, s[20:21], 1, v24
	v_and_b32_e32 v5, 64, v24
	v_cmp_lt_i32_e64 s[22:23], v4, v5
	v_cndmask_b32_e64 v4, v4, v24, s[22:23]
	v_lshlrev_b32_e32 v35, 2, v4
	v_lshrrev_b32_e32 v4, 4, v16
	v_and_b32_e32 v4, 60, v4
	v_add_u32_e32 v36, v12, v4
	v_and_b32_e32 v4, 3, v24
	v_cmp_eq_u32_e64 s[24:25], 0, v4
	v_cmp_lt_u32_e64 s[26:27], 1, v4
	v_lshlrev_b32_e32 v4, 1, v16
	s_movk_i32 s28, 0x780
	v_and_or_b32 v4, v4, s28, v23
	v_add_u32_e32 v49, v12, v4
	v_mul_u32_u24_e32 v4, 7, v4
	v_add_u32_e32 v51, v49, v4
	v_lshrrev_b32_e32 v34, 6, v14
	v_cmp_lt_u32_e64 s[12:13], 31, v24
	v_cmp_gt_u32_e64 s[16:17], 4, v16
	v_cmp_lt_u32_e64 s[18:19], 63, v16
	v_cmp_eq_u32_e64 s[22:23], 0, v16
	v_mov_b32_e32 v37, 0
	v_lshl_add_u32 v38, v16, 2, v12
	v_add_u32_e32 v39, -4, v36
	v_add_u32_e32 v50, 64, v49
	v_add_u32_e32 v52, 0x200, v51
	v_sub_u32_e32 v53, v11, v10
	s_mov_b64 s[44:45], 0
	s_waitcnt vmcnt(0) lgkmcnt(0)
	s_barrier
	s_branch .LBB1639_59
.LBB1639_58:                            ;   in Loop: Header=BB1639_59 Depth=1
	s_or_b64 exec, exec, s[40:41]
	s_and_b64 s[28:29], exec, s[56:57]
	s_or_b64 s[44:45], s[28:29], s[44:45]
	s_andn2_b64 exec, exec, s[44:45]
	s_cbranch_execz .LBB1639_77
.LBB1639_59:                            ; =>This Inner Loop Header: Depth=1
	v_mov_b32_e32 v17, v19
	v_mov_b32_e32 v18, v20
	v_min_u32_e32 v19, s58, v53
	v_lshlrev_b32_e64 v19, v19, -1
	v_not_b32_e32 v23, v19
	v_lshrrev_b32_sdwa v19, v10, v30 dst_sel:DWORD dst_unused:UNUSED_PAD src0_sel:DWORD src1_sel:BYTE_0
	v_and_b32_e32 v19, v19, v23
	v_lshlrev_b32_e32 v20, 2, v19
	v_add_lshl_u32 v20, v20, v34, 2
	v_mov_b32_e32 v4, v21
	v_add_co_u32_e64 v20, s[28:29], v12, v20
	v_mov_b32_e32 v5, v22
	v_add_co_u32_e64 v21, s[28:29], 16, v20
	v_cmp_ne_u32_e64 s[28:29], 0, v19
	v_add_co_u32_e64 v19, s[40:41], -1, v19
	v_addc_co_u32_e64 v20, s[40:41], 0, -1, s[40:41]
	v_xor_b32_e32 v19, s28, v19
	v_xor_b32_e32 v20, s29, v20
	v_and_b32_e32 v19, exec_lo, v19
	v_and_b32_e32 v20, exec_hi, v20
	v_mbcnt_lo_u32_b32 v22, v19, 0
	v_mbcnt_hi_u32_b32 v22, v20, v22
	v_cmp_ne_u64_e64 s[28:29], 0, v[19:20]
	v_cmp_eq_u32_e64 s[40:41], 0, v22
	s_and_b64 s[40:41], s[28:29], s[40:41]
	ds_write_b32 v9, v37
	ds_write_b32 v31, v37
	;; [unrolled: 1-line block ×4, first 2 shown]
	s_waitcnt lgkmcnt(0)
	s_barrier
	; wave barrier
	s_and_saveexec_b64 s[28:29], s[40:41]
; %bb.60:                               ;   in Loop: Header=BB1639_59 Depth=1
	v_bcnt_u32_b32 v19, v19, 0
	v_bcnt_u32_b32 v19, v20, v19
	ds_write_b32 v21, v19
; %bb.61:                               ;   in Loop: Header=BB1639_59 Depth=1
	s_or_b64 exec, exec, s[28:29]
	v_lshrrev_b32_sdwa v19, v10, v15 dst_sel:DWORD dst_unused:UNUSED_PAD src0_sel:DWORD src1_sel:BYTE_0
	v_and_b32_e32 v19, v19, v23
	v_lshl_add_u32 v20, v19, 2, v34
	v_lshl_add_u32 v20, v20, 2, v12
	v_cmp_ne_u32_e64 s[28:29], 0, v19
	v_add_co_u32_e64 v19, s[40:41], -1, v19
	; wave barrier
	v_add_u32_e32 v24, 16, v20
	ds_read_b32 v23, v20 offset:16
	v_addc_co_u32_e64 v20, s[40:41], 0, -1, s[40:41]
	v_xor_b32_e32 v19, s28, v19
	v_xor_b32_e32 v20, s29, v20
	v_and_b32_e32 v19, exec_lo, v19
	v_and_b32_e32 v20, exec_hi, v20
	v_mbcnt_lo_u32_b32 v25, v19, 0
	v_mbcnt_hi_u32_b32 v25, v20, v25
	v_cmp_ne_u64_e64 s[28:29], 0, v[19:20]
	v_cmp_eq_u32_e64 s[40:41], 0, v25
	s_and_b64 s[40:41], s[28:29], s[40:41]
	; wave barrier
	s_and_saveexec_b64 s[28:29], s[40:41]
	s_cbranch_execz .LBB1639_63
; %bb.62:                               ;   in Loop: Header=BB1639_59 Depth=1
	v_bcnt_u32_b32 v19, v19, 0
	v_bcnt_u32_b32 v19, v20, v19
	s_waitcnt lgkmcnt(0)
	v_add_u32_e32 v19, v23, v19
	ds_write_b32 v24, v19
.LBB1639_63:                            ;   in Loop: Header=BB1639_59 Depth=1
	s_or_b64 exec, exec, s[28:29]
	; wave barrier
	s_waitcnt lgkmcnt(0)
	s_barrier
	ds_read_b32 v26, v9
	ds_read_b32 v20, v31
	;; [unrolled: 1-line block ×4, first 2 shown]
	s_waitcnt lgkmcnt(2)
	v_add_u32_e32 v28, v20, v26
	s_waitcnt lgkmcnt(0)
	v_add3_u32 v27, v28, v19, v27
	s_nop 1
	v_mov_b32_dpp v28, v27 row_shr:1 row_mask:0xf bank_mask:0xf
	v_cndmask_b32_e64 v28, v28, 0, vcc
	v_add_u32_e32 v27, v28, v27
	s_nop 1
	v_mov_b32_dpp v28, v27 row_shr:2 row_mask:0xf bank_mask:0xf
	v_cndmask_b32_e64 v28, 0, v28, s[4:5]
	v_add_u32_e32 v27, v27, v28
	s_nop 1
	v_mov_b32_dpp v28, v27 row_shr:4 row_mask:0xf bank_mask:0xf
	v_cndmask_b32_e64 v28, 0, v28, s[6:7]
	;; [unrolled: 4-line block ×3, first 2 shown]
	v_add_u32_e32 v27, v27, v28
	s_nop 1
	v_mov_b32_dpp v28, v27 row_bcast:15 row_mask:0xf bank_mask:0xf
	v_cndmask_b32_e64 v28, v28, 0, s[10:11]
	v_add_u32_e32 v27, v27, v28
	s_nop 1
	v_mov_b32_dpp v28, v27 row_bcast:31 row_mask:0xf bank_mask:0xf
	v_cndmask_b32_e64 v28, 0, v28, s[12:13]
	v_add_u32_e32 v27, v27, v28
	s_and_saveexec_b64 s[28:29], s[14:15]
; %bb.64:                               ;   in Loop: Header=BB1639_59 Depth=1
	ds_write_b32 v36, v27
; %bb.65:                               ;   in Loop: Header=BB1639_59 Depth=1
	s_or_b64 exec, exec, s[28:29]
	s_waitcnt lgkmcnt(0)
	s_barrier
	s_and_saveexec_b64 s[28:29], s[16:17]
	s_cbranch_execz .LBB1639_67
; %bb.66:                               ;   in Loop: Header=BB1639_59 Depth=1
	ds_read_b32 v28, v38
	s_waitcnt lgkmcnt(0)
	s_nop 0
	v_mov_b32_dpp v29, v28 row_shr:1 row_mask:0xf bank_mask:0xf
	v_cndmask_b32_e64 v29, v29, 0, s[24:25]
	v_add_u32_e32 v28, v29, v28
	s_nop 1
	v_mov_b32_dpp v29, v28 row_shr:2 row_mask:0xf bank_mask:0xf
	v_cndmask_b32_e64 v29, 0, v29, s[26:27]
	v_add_u32_e32 v28, v28, v29
	ds_write_b32 v38, v28
.LBB1639_67:                            ;   in Loop: Header=BB1639_59 Depth=1
	s_or_b64 exec, exec, s[28:29]
	v_mov_b32_e32 v28, 0
	s_waitcnt lgkmcnt(0)
	s_barrier
	s_and_saveexec_b64 s[28:29], s[18:19]
; %bb.68:                               ;   in Loop: Header=BB1639_59 Depth=1
	ds_read_b32 v28, v39
; %bb.69:                               ;   in Loop: Header=BB1639_59 Depth=1
	s_or_b64 exec, exec, s[28:29]
	s_waitcnt lgkmcnt(0)
	v_add_u32_e32 v27, v28, v27
	ds_bpermute_b32 v27, v35, v27
	v_add_u32_e32 v10, 8, v10
	v_mov_b32_e32 v54, v30
	v_mov_b32_e32 v55, v15
	s_mov_b64 s[56:57], -1
	s_waitcnt lgkmcnt(0)
	v_cndmask_b32_e64 v27, v27, v28, s[20:21]
	v_cndmask_b32_e64 v27, v27, 0, s[22:23]
	v_add_u32_e32 v26, v27, v26
	v_add_u32_e32 v20, v26, v20
	;; [unrolled: 1-line block ×3, first 2 shown]
	ds_write_b32 v9, v27
	ds_write_b32 v31, v26
	;; [unrolled: 1-line block ×4, first 2 shown]
	s_waitcnt lgkmcnt(0)
	s_barrier
	ds_read_b32 v19, v21
	ds_read_b32 v20, v24
	s_waitcnt lgkmcnt(0)
	v_add_u32_e32 v19, v19, v22
	v_add_co_u32_e64 v26, s[28:29], v12, v19
	v_add3_u32 v20, v25, v23, v20
	v_addc_co_u32_e64 v27, s[28:29], 0, v13, s[28:29]
	v_add_co_u32_e64 v28, s[28:29], v12, v20
	v_addc_co_u32_e64 v29, s[28:29], 0, v13, s[28:29]
	v_mad_u64_u32 v[23:24], s[28:29], v19, 7, v[26:27]
	v_mad_u64_u32 v[24:25], s[28:29], v20, 7, v[28:29]
	v_cmp_lt_u32_e64 s[28:29], v10, v11
                                        ; implicit-def: $vgpr21_vgpr22
                                        ; implicit-def: $vgpr19_vgpr20
	s_and_saveexec_b64 s[40:41], s[28:29]
	s_cbranch_execz .LBB1639_58
; %bb.70:                               ;   in Loop: Header=BB1639_59 Depth=1
	s_barrier
	ds_write_b8 v26, v30
	ds_write_b8 v28, v15
	s_waitcnt lgkmcnt(0)
	s_barrier
	ds_read_u8 v15, v50
	ds_read_u8 v30, v49
	s_waitcnt lgkmcnt(0)
	s_barrier
	ds_write_b64 v23, v[17:18]
	ds_write_b64 v24, v[4:5]
	s_waitcnt lgkmcnt(0)
	s_barrier
	ds_read_b64 v[19:20], v51
	ds_read_b64 v[21:22], v52
	v_add_u32_e32 v53, -8, v53
	s_xor_b64 s[56:57], exec, -1
	s_waitcnt lgkmcnt(0)
	s_barrier
	s_branch .LBB1639_58
.LBB1639_71:
	flat_load_dwordx2 v[23:24], v[4:5]
	s_or_b64 exec, exec, s[14:15]
                                        ; implicit-def: $vgpr25_vgpr26
	s_and_saveexec_b64 s[14:15], s[4:5]
	s_cbranch_execz .LBB1639_12
.LBB1639_72:
	flat_load_dwordx2 v[25:26], v[4:5] offset:512
	s_or_b64 exec, exec, s[14:15]
                                        ; implicit-def: $vgpr27_vgpr28
	s_and_saveexec_b64 s[4:5], s[6:7]
	s_cbranch_execz .LBB1639_13
.LBB1639_73:
	flat_load_dwordx2 v[27:28], v[4:5] offset:1024
	s_or_b64 exec, exec, s[4:5]
                                        ; implicit-def: $vgpr29_vgpr30
	s_and_saveexec_b64 s[4:5], s[10:11]
	s_cbranch_execnz .LBB1639_14
	s_branch .LBB1639_15
.LBB1639_74:
	flat_store_dwordx2 v[0:1], v[13:14]
	s_or_b64 exec, exec, s[14:15]
	s_and_saveexec_b64 s[14:15], s[6:7]
	s_cbranch_execz .LBB1639_43
.LBB1639_75:
	flat_store_dwordx2 v[0:1], v[15:16] offset:2048
	s_or_b64 exec, exec, s[14:15]
	s_and_saveexec_b64 s[6:7], s[10:11]
	s_cbranch_execz .LBB1639_44
.LBB1639_76:
	v_add_co_u32_e32 v2, vcc, 0x1000, v0
	v_addc_co_u32_e32 v3, vcc, 0, v1, vcc
	flat_store_dwordx2 v[2:3], v[9:10]
	s_or_b64 exec, exec, s[6:7]
	s_and_saveexec_b64 s[6:7], s[4:5]
	s_cbranch_execnz .LBB1639_45
	s_branch .LBB1639_46
.LBB1639_77:
	s_or_b64 exec, exec, s[44:45]
	v_add_u32_e32 v9, v12, v16
	s_barrier
	ds_write_b8 v26, v54
	ds_write_b8 v28, v55
	s_waitcnt lgkmcnt(0)
	s_barrier
	ds_read_u8 v19, v9
	ds_read_u8 v13, v9 offset:256
	s_waitcnt lgkmcnt(0)
	s_barrier
	ds_write_b64 v23, v[17:18]
	ds_write_b64 v24, v[4:5]
	v_mul_u32_u24_e32 v4, 7, v16
	v_add_u32_e32 v4, v9, v4
	s_waitcnt lgkmcnt(0)
	s_barrier
	ds_read2st64_b64 v[9:12], v4 offset1:4
	v_add_co_u32_e32 v2, vcc, v2, v8
	v_addc_co_u32_e32 v3, vcc, 0, v3, vcc
	v_add_co_u32_e32 v2, vcc, v2, v14
	v_addc_co_u32_e32 v3, vcc, 0, v3, vcc
	v_mov_b32_e32 v15, 0
	v_cmp_lt_u32_e32 vcc, v14, v48
	s_waitcnt lgkmcnt(0)
	s_barrier
	s_and_saveexec_b64 s[4:5], vcc
	s_cbranch_execz .LBB1639_79
; %bb.78:
	flat_store_byte v[2:3], v19
.LBB1639_79:
	s_or_b64 exec, exec, s[4:5]
	v_add_u32_e32 v4, 0x100, v14
	v_cmp_lt_u32_e64 s[4:5], v4, v48
	s_and_saveexec_b64 s[6:7], s[4:5]
	s_cbranch_execz .LBB1639_81
; %bb.80:
	flat_store_byte v[2:3], v13 offset:256
.LBB1639_81:
	s_or_b64 exec, exec, s[6:7]
	v_add_co_u32_e64 v2, s[6:7], v6, v0
	v_addc_co_u32_e64 v3, s[6:7], v7, v1, s[6:7]
	v_lshlrev_b64 v[0:1], 3, v[14:15]
	v_add_co_u32_e64 v0, s[6:7], v2, v0
	v_addc_co_u32_e64 v1, s[6:7], v3, v1, s[6:7]
	s_and_saveexec_b64 s[6:7], vcc
	s_cbranch_execz .LBB1639_83
; %bb.82:
	flat_store_dwordx2 v[0:1], v[9:10]
.LBB1639_83:
	s_or_b64 exec, exec, s[6:7]
	s_and_saveexec_b64 s[6:7], s[4:5]
	s_cbranch_execz .LBB1639_85
; %bb.84:
	flat_store_dwordx2 v[0:1], v[11:12] offset:2048
.LBB1639_85:
	s_or_b64 exec, exec, s[6:7]
                                        ; implicit-def: $vgpr16
                                        ; implicit-def: $vgpr14_vgpr15
                                        ; implicit-def: $vgpr8_vgpr9
                                        ; implicit-def: $vgpr48
                                        ; implicit-def: $vgpr0
                                        ; implicit-def: $vgpr1
                                        ; implicit-def: $vgpr2
                                        ; implicit-def: $vgpr3
                                        ; implicit-def: $vgpr4
                                        ; implicit-def: $vgpr5
                                        ; implicit-def: $vgpr6
                                        ; implicit-def: $vgpr7
                                        ; implicit-def: $vgpr10
                                        ; implicit-def: $vgpr11
                                        ; implicit-def: $vgpr12
                                        ; implicit-def: $vgpr13
                                        ; implicit-def: $vgpr17
.LBB1639_86:
	s_andn2_saveexec_b64 s[4:5], s[42:43]
	s_cbranch_execz .LBB1639_106
; %bb.87:
	v_mbcnt_hi_u32_b32 v28, -1, v17
	v_bfi_b32 v15, 63, v28, v14
	v_and_b32_e32 v29, 63, v28
	v_and_b32_e32 v19, 0xffffffc0, v14
	v_cmp_lt_u32_e32 vcc, v15, v48
	v_mov_b32_e32 v33, 1
	s_and_saveexec_b64 s[6:7], vcc
	s_cbranch_execz .LBB1639_89
; %bb.88:
	v_add_co_u32_e64 v0, s[4:5], v0, v8
	v_addc_co_u32_e64 v1, s[4:5], 0, v1, s[4:5]
	v_add_co_u32_e64 v0, s[4:5], v0, v29
	v_addc_co_u32_e64 v1, s[4:5], 0, v1, s[4:5]
	;; [unrolled: 2-line block ×3, first 2 shown]
	flat_load_ubyte v33, v[0:1]
.LBB1639_89:
	s_or_b64 exec, exec, s[6:7]
	v_lshlrev_b64 v[0:1], 3, v[8:9]
                                        ; implicit-def: $vgpr17_vgpr18
	s_and_saveexec_b64 s[4:5], vcc
	s_cbranch_execz .LBB1639_91
; %bb.90:
	v_add_co_u32_e32 v4, vcc, v4, v0
	v_addc_co_u32_e32 v5, vcc, v5, v1, vcc
	v_lshlrev_b32_e32 v9, 3, v29
	v_mov_b32_e32 v20, 0
	v_add_co_u32_e32 v9, vcc, v4, v9
	v_addc_co_u32_e32 v15, vcc, 0, v5, vcc
	v_lshlrev_b64 v[4:5], 3, v[19:20]
	v_add_co_u32_e32 v4, vcc, v9, v4
	v_addc_co_u32_e32 v5, vcc, v15, v5, vcc
	flat_load_dwordx2 v[17:18], v[4:5]
.LBB1639_91:
	s_or_b64 exec, exec, s[4:5]
	v_lshl_add_u32 v4, v16, 4, v12
	s_getpc_b64 s[4:5]
	s_add_u32 s4, s4, _ZN7rocprim17ROCPRIM_400000_NS16block_radix_sortIbLj256ELj1ElLj1ELj1ELj8ELNS0_26block_radix_rank_algorithmE2ELNS0_18block_padding_hintE2ELNS0_4arch9wavefront6targetE1EE19radix_bits_per_passE@rel32@lo+4
	s_addc_u32 s5, s5, _ZN7rocprim17ROCPRIM_400000_NS16block_radix_sortIbLj256ELj1ElLj1ELj1ELj8ELNS0_26block_radix_rank_algorithmE2ELNS0_18block_padding_hintE2ELNS0_4arch9wavefront6targetE1EE19radix_bits_per_passE@rel32@hi+12
	v_add_u32_e32 v9, 16, v4
	v_add_u32_e32 v15, 20, v4
	;; [unrolled: 1-line block ×4, first 2 shown]
	v_and_b32_e32 v4, 15, v28
	s_load_dword s56, s[4:5], 0x0
	v_cmp_eq_u32_e32 vcc, 0, v4
	v_cmp_lt_u32_e64 s[4:5], 1, v4
	v_cmp_lt_u32_e64 s[6:7], 3, v4
	;; [unrolled: 1-line block ×3, first 2 shown]
	v_and_b32_e32 v4, 16, v28
	v_cmp_eq_u32_e64 s[10:11], 0, v4
	v_and_b32_e32 v4, 0x3c0, v16
	v_min_u32_e32 v5, 0xc0, v4
	v_or_b32_e32 v5, 63, v5
	v_cmp_eq_u32_e64 s[14:15], v16, v5
	v_subrev_co_u32_e64 v5, s[20:21], 1, v28
	v_and_b32_e32 v19, 64, v28
	v_cmp_lt_i32_e64 s[22:23], v5, v19
	v_cndmask_b32_e64 v5, v5, v28, s[22:23]
	v_lshlrev_b32_e32 v24, 2, v5
	v_lshrrev_b32_e32 v5, 4, v16
	v_and_b32_e32 v5, 60, v5
	v_or_b32_e32 v4, v29, v4
	v_add_u32_e32 v25, v12, v5
	v_and_b32_e32 v5, 3, v28
	v_add_u32_e32 v29, v12, v4
	v_mul_u32_u24_e32 v4, 7, v4
	v_lshrrev_b32_e32 v23, 6, v14
	v_cmp_lt_u32_e64 s[12:13], 31, v28
	v_cmp_gt_u32_e64 s[16:17], 4, v16
	v_cmp_lt_u32_e64 s[18:19], 63, v16
	v_cmp_eq_u32_e64 s[22:23], 0, v16
	v_mov_b32_e32 v26, 0
	v_lshl_add_u32 v27, v16, 2, v12
	v_cmp_eq_u32_e64 s[24:25], 0, v5
	v_cmp_lt_u32_e64 s[26:27], 1, v5
	v_add_u32_e32 v28, -4, v25
	v_add_u32_e32 v30, v29, v4
	v_sub_u32_e32 v31, v11, v10
	s_mov_b64 s[42:43], 0
	s_waitcnt vmcnt(0) lgkmcnt(0)
	s_barrier
	s_branch .LBB1639_93
.LBB1639_92:                            ;   in Loop: Header=BB1639_93 Depth=1
	s_or_b64 exec, exec, s[40:41]
	s_and_b64 s[28:29], exec, s[44:45]
	s_or_b64 s[42:43], s[28:29], s[42:43]
	s_andn2_b64 exec, exec, s[42:43]
	s_cbranch_execz .LBB1639_103
.LBB1639_93:                            ; =>This Inner Loop Header: Depth=1
	v_mov_b32_e32 v4, v17
	v_mov_b32_e32 v32, v33
	;; [unrolled: 1-line block ×3, first 2 shown]
	v_min_u32_e32 v17, s56, v31
	v_lshrrev_b32_sdwa v18, v10, v32 dst_sel:DWORD dst_unused:UNUSED_PAD src0_sel:DWORD src1_sel:BYTE_0
	v_bfe_u32 v17, v18, 0, v17
	v_lshlrev_b32_e32 v18, 2, v17
	v_add_lshl_u32 v18, v18, v23, 2
	v_add_co_u32_e64 v18, s[28:29], v12, v18
	v_add_co_u32_e64 v19, s[28:29], 16, v18
	v_cmp_ne_u32_e64 s[28:29], 0, v17
	v_add_co_u32_e64 v17, s[40:41], -1, v17
	v_addc_co_u32_e64 v18, s[40:41], 0, -1, s[40:41]
	v_xor_b32_e32 v17, s28, v17
	v_xor_b32_e32 v18, s29, v18
	v_and_b32_e32 v17, exec_lo, v17
	v_and_b32_e32 v18, exec_hi, v18
	v_mbcnt_lo_u32_b32 v20, v17, 0
	v_mbcnt_hi_u32_b32 v20, v18, v20
	v_cmp_ne_u64_e64 s[28:29], 0, v[17:18]
	v_cmp_eq_u32_e64 s[40:41], 0, v20
	s_and_b64 s[40:41], s[28:29], s[40:41]
	ds_write_b32 v9, v26
	ds_write_b32 v15, v26
	;; [unrolled: 1-line block ×4, first 2 shown]
	s_waitcnt lgkmcnt(0)
	s_barrier
	; wave barrier
	s_and_saveexec_b64 s[28:29], s[40:41]
; %bb.94:                               ;   in Loop: Header=BB1639_93 Depth=1
	v_bcnt_u32_b32 v17, v17, 0
	v_bcnt_u32_b32 v17, v18, v17
	ds_write_b32 v19, v17
; %bb.95:                               ;   in Loop: Header=BB1639_93 Depth=1
	s_or_b64 exec, exec, s[28:29]
	; wave barrier
	s_waitcnt lgkmcnt(0)
	s_barrier
	ds_read_b32 v33, v9
	ds_read_b32 v18, v15
	;; [unrolled: 1-line block ×4, first 2 shown]
	s_waitcnt lgkmcnt(2)
	v_add_u32_e32 v35, v18, v33
	s_waitcnt lgkmcnt(0)
	v_add3_u32 v34, v35, v17, v34
	s_nop 1
	v_mov_b32_dpp v35, v34 row_shr:1 row_mask:0xf bank_mask:0xf
	v_cndmask_b32_e64 v35, v35, 0, vcc
	v_add_u32_e32 v34, v35, v34
	s_nop 1
	v_mov_b32_dpp v35, v34 row_shr:2 row_mask:0xf bank_mask:0xf
	v_cndmask_b32_e64 v35, 0, v35, s[4:5]
	v_add_u32_e32 v34, v34, v35
	s_nop 1
	v_mov_b32_dpp v35, v34 row_shr:4 row_mask:0xf bank_mask:0xf
	v_cndmask_b32_e64 v35, 0, v35, s[6:7]
	;; [unrolled: 4-line block ×3, first 2 shown]
	v_add_u32_e32 v34, v34, v35
	s_nop 1
	v_mov_b32_dpp v35, v34 row_bcast:15 row_mask:0xf bank_mask:0xf
	v_cndmask_b32_e64 v35, v35, 0, s[10:11]
	v_add_u32_e32 v34, v34, v35
	s_nop 1
	v_mov_b32_dpp v35, v34 row_bcast:31 row_mask:0xf bank_mask:0xf
	v_cndmask_b32_e64 v35, 0, v35, s[12:13]
	v_add_u32_e32 v34, v34, v35
	s_and_saveexec_b64 s[28:29], s[14:15]
; %bb.96:                               ;   in Loop: Header=BB1639_93 Depth=1
	ds_write_b32 v25, v34
; %bb.97:                               ;   in Loop: Header=BB1639_93 Depth=1
	s_or_b64 exec, exec, s[28:29]
	s_waitcnt lgkmcnt(0)
	s_barrier
	s_and_saveexec_b64 s[28:29], s[16:17]
	s_cbranch_execz .LBB1639_99
; %bb.98:                               ;   in Loop: Header=BB1639_93 Depth=1
	ds_read_b32 v35, v27
	s_waitcnt lgkmcnt(0)
	s_nop 0
	v_mov_b32_dpp v36, v35 row_shr:1 row_mask:0xf bank_mask:0xf
	v_cndmask_b32_e64 v36, v36, 0, s[24:25]
	v_add_u32_e32 v35, v36, v35
	s_nop 1
	v_mov_b32_dpp v36, v35 row_shr:2 row_mask:0xf bank_mask:0xf
	v_cndmask_b32_e64 v36, 0, v36, s[26:27]
	v_add_u32_e32 v35, v35, v36
	ds_write_b32 v27, v35
.LBB1639_99:                            ;   in Loop: Header=BB1639_93 Depth=1
	s_or_b64 exec, exec, s[28:29]
	v_mov_b32_e32 v35, 0
	s_waitcnt lgkmcnt(0)
	s_barrier
	s_and_saveexec_b64 s[28:29], s[18:19]
; %bb.100:                              ;   in Loop: Header=BB1639_93 Depth=1
	ds_read_b32 v35, v28
; %bb.101:                              ;   in Loop: Header=BB1639_93 Depth=1
	s_or_b64 exec, exec, s[28:29]
	s_waitcnt lgkmcnt(0)
	v_add_u32_e32 v34, v35, v34
	ds_bpermute_b32 v34, v24, v34
	v_add_u32_e32 v10, 8, v10
	v_cmp_lt_u32_e64 s[28:29], v10, v11
	s_mov_b64 s[44:45], -1
	s_waitcnt lgkmcnt(0)
	v_cndmask_b32_e64 v34, v34, v35, s[20:21]
	v_cndmask_b32_e64 v34, v34, 0, s[22:23]
	v_add_u32_e32 v33, v34, v33
	v_add_u32_e32 v18, v33, v18
	;; [unrolled: 1-line block ×3, first 2 shown]
	ds_write_b32 v9, v34
	ds_write_b32 v15, v33
	;; [unrolled: 1-line block ×4, first 2 shown]
	s_waitcnt lgkmcnt(0)
	s_barrier
	ds_read_b32 v17, v19
	s_waitcnt lgkmcnt(0)
                                        ; implicit-def: $vgpr33
	v_add_u32_e32 v34, v17, v20
	v_add_co_u32_e64 v19, s[40:41], v12, v34
	v_addc_co_u32_e64 v20, s[40:41], 0, v13, s[40:41]
                                        ; implicit-def: $vgpr17_vgpr18
	s_and_saveexec_b64 s[40:41], s[28:29]
	s_cbranch_execz .LBB1639_92
; %bb.102:                              ;   in Loop: Header=BB1639_93 Depth=1
	v_mad_u64_u32 v[17:18], s[28:29], v34, 7, v[19:20]
	s_barrier
	ds_write_b8 v19, v32
	s_waitcnt lgkmcnt(0)
	s_barrier
	ds_read_u8 v33, v29
	s_waitcnt lgkmcnt(0)
	s_barrier
	ds_write_b64 v17, v[4:5]
	s_waitcnt lgkmcnt(0)
	s_barrier
	ds_read_b64 v[17:18], v30
	v_add_u32_e32 v31, -8, v31
	s_xor_b64 s[44:45], exec, -1
	s_waitcnt lgkmcnt(0)
	s_barrier
	s_branch .LBB1639_92
.LBB1639_103:
	s_or_b64 exec, exec, s[42:43]
	v_mad_u64_u32 v[10:11], s[4:5], v34, 7, v[19:20]
	v_add_u32_e32 v12, v12, v16
	s_barrier
	ds_write_b8 v19, v32
	s_waitcnt lgkmcnt(0)
	s_barrier
	ds_read_u8 v9, v12
	s_waitcnt lgkmcnt(0)
	s_barrier
	ds_write_b64 v10, v[4:5]
	v_mul_u32_u24_e32 v4, 7, v16
	v_add_u32_e32 v4, v12, v4
	s_waitcnt lgkmcnt(0)
	s_barrier
	ds_read_b64 v[4:5], v4
	v_cmp_lt_u32_e32 vcc, v14, v48
	s_waitcnt lgkmcnt(0)
	s_barrier
	s_and_saveexec_b64 s[4:5], vcc
	s_cbranch_execz .LBB1639_105
; %bb.104:
	v_add_co_u32_e32 v2, vcc, v2, v8
	v_addc_co_u32_e32 v3, vcc, 0, v3, vcc
	v_add_co_u32_e32 v2, vcc, v2, v14
	v_addc_co_u32_e32 v3, vcc, 0, v3, vcc
	v_mov_b32_e32 v15, 0
	v_add_co_u32_e32 v6, vcc, v6, v0
	v_addc_co_u32_e32 v7, vcc, v7, v1, vcc
	v_lshlrev_b64 v[0:1], 3, v[14:15]
	v_add_co_u32_e32 v0, vcc, v6, v0
	v_addc_co_u32_e32 v1, vcc, v7, v1, vcc
	flat_store_byte v[2:3], v9
	flat_store_dwordx2 v[0:1], v[4:5]
.LBB1639_105:
	s_or_b64 exec, exec, s[4:5]
.LBB1639_106:
	s_or_b64 exec, exec, s[46:47]
	s_waitcnt vmcnt(0) lgkmcnt(0)
	s_setpc_b64 s[30:31]
.Lfunc_end1639:
	.size	_ZN7rocprim17ROCPRIM_400000_NS6detail40segmented_radix_sort_single_block_helperIblLj256ELj4ELb0EE4sortIPKbPbPKlPlEEbT_T0_T1_T2_jjjjRNS3_12storage_typeE, .Lfunc_end1639-_ZN7rocprim17ROCPRIM_400000_NS6detail40segmented_radix_sort_single_block_helperIblLj256ELj4ELb0EE4sortIPKbPbPKlPlEEbT_T0_T1_T2_jjjjRNS3_12storage_typeE
                                        ; -- End function
	.set .L_ZN7rocprim17ROCPRIM_400000_NS6detail40segmented_radix_sort_single_block_helperIblLj256ELj4ELb0EE4sortIPKbPbPKlPlEEbT_T0_T1_T2_jjjjRNS3_12storage_typeE.num_vgpr, 97
	.set .L_ZN7rocprim17ROCPRIM_400000_NS6detail40segmented_radix_sort_single_block_helperIblLj256ELj4ELb0EE4sortIPKbPbPKlPlEEbT_T0_T1_T2_jjjjRNS3_12storage_typeE.num_agpr, 0
	.set .L_ZN7rocprim17ROCPRIM_400000_NS6detail40segmented_radix_sort_single_block_helperIblLj256ELj4ELb0EE4sortIPKbPbPKlPlEEbT_T0_T1_T2_jjjjRNS3_12storage_typeE.numbered_sgpr, 63
	.set .L_ZN7rocprim17ROCPRIM_400000_NS6detail40segmented_radix_sort_single_block_helperIblLj256ELj4ELb0EE4sortIPKbPbPKlPlEEbT_T0_T1_T2_jjjjRNS3_12storage_typeE.num_named_barrier, 0
	.set .L_ZN7rocprim17ROCPRIM_400000_NS6detail40segmented_radix_sort_single_block_helperIblLj256ELj4ELb0EE4sortIPKbPbPKlPlEEbT_T0_T1_T2_jjjjRNS3_12storage_typeE.private_seg_size, 0
	.set .L_ZN7rocprim17ROCPRIM_400000_NS6detail40segmented_radix_sort_single_block_helperIblLj256ELj4ELb0EE4sortIPKbPbPKlPlEEbT_T0_T1_T2_jjjjRNS3_12storage_typeE.uses_vcc, 1
	.set .L_ZN7rocprim17ROCPRIM_400000_NS6detail40segmented_radix_sort_single_block_helperIblLj256ELj4ELb0EE4sortIPKbPbPKlPlEEbT_T0_T1_T2_jjjjRNS3_12storage_typeE.uses_flat_scratch, 0
	.set .L_ZN7rocprim17ROCPRIM_400000_NS6detail40segmented_radix_sort_single_block_helperIblLj256ELj4ELb0EE4sortIPKbPbPKlPlEEbT_T0_T1_T2_jjjjRNS3_12storage_typeE.has_dyn_sized_stack, 0
	.set .L_ZN7rocprim17ROCPRIM_400000_NS6detail40segmented_radix_sort_single_block_helperIblLj256ELj4ELb0EE4sortIPKbPbPKlPlEEbT_T0_T1_T2_jjjjRNS3_12storage_typeE.has_recursion, 0
	.set .L_ZN7rocprim17ROCPRIM_400000_NS6detail40segmented_radix_sort_single_block_helperIblLj256ELj4ELb0EE4sortIPKbPbPKlPlEEbT_T0_T1_T2_jjjjRNS3_12storage_typeE.has_indirect_call, 0
	.section	.AMDGPU.csdata,"",@progbits
; Function info:
; codeLenInByte = 6368
; TotalNumSgprs: 67
; NumVgprs: 97
; ScratchSize: 0
; MemoryBound: 1
	.section	.text._ZN7rocprim17ROCPRIM_400000_NS6detail17trampoline_kernelINS0_14default_configENS1_36segmented_radix_sort_config_selectorIblEEZNS1_25segmented_radix_sort_implIS3_Lb0EPKbPbPKlPlN2at6native12_GLOBAL__N_18offset_tEEE10hipError_tPvRmT1_PNSt15iterator_traitsISK_E10value_typeET2_T3_PNSL_ISQ_E10value_typeET4_jRbjT5_SW_jjP12ihipStream_tbEUlT_E_NS1_11comp_targetILNS1_3genE2ELNS1_11target_archE906ELNS1_3gpuE6ELNS1_3repE0EEENS1_30default_config_static_selectorELNS0_4arch9wavefront6targetE1EEEvSK_,"axG",@progbits,_ZN7rocprim17ROCPRIM_400000_NS6detail17trampoline_kernelINS0_14default_configENS1_36segmented_radix_sort_config_selectorIblEEZNS1_25segmented_radix_sort_implIS3_Lb0EPKbPbPKlPlN2at6native12_GLOBAL__N_18offset_tEEE10hipError_tPvRmT1_PNSt15iterator_traitsISK_E10value_typeET2_T3_PNSL_ISQ_E10value_typeET4_jRbjT5_SW_jjP12ihipStream_tbEUlT_E_NS1_11comp_targetILNS1_3genE2ELNS1_11target_archE906ELNS1_3gpuE6ELNS1_3repE0EEENS1_30default_config_static_selectorELNS0_4arch9wavefront6targetE1EEEvSK_,comdat
	.globl	_ZN7rocprim17ROCPRIM_400000_NS6detail17trampoline_kernelINS0_14default_configENS1_36segmented_radix_sort_config_selectorIblEEZNS1_25segmented_radix_sort_implIS3_Lb0EPKbPbPKlPlN2at6native12_GLOBAL__N_18offset_tEEE10hipError_tPvRmT1_PNSt15iterator_traitsISK_E10value_typeET2_T3_PNSL_ISQ_E10value_typeET4_jRbjT5_SW_jjP12ihipStream_tbEUlT_E_NS1_11comp_targetILNS1_3genE2ELNS1_11target_archE906ELNS1_3gpuE6ELNS1_3repE0EEENS1_30default_config_static_selectorELNS0_4arch9wavefront6targetE1EEEvSK_ ; -- Begin function _ZN7rocprim17ROCPRIM_400000_NS6detail17trampoline_kernelINS0_14default_configENS1_36segmented_radix_sort_config_selectorIblEEZNS1_25segmented_radix_sort_implIS3_Lb0EPKbPbPKlPlN2at6native12_GLOBAL__N_18offset_tEEE10hipError_tPvRmT1_PNSt15iterator_traitsISK_E10value_typeET2_T3_PNSL_ISQ_E10value_typeET4_jRbjT5_SW_jjP12ihipStream_tbEUlT_E_NS1_11comp_targetILNS1_3genE2ELNS1_11target_archE906ELNS1_3gpuE6ELNS1_3repE0EEENS1_30default_config_static_selectorELNS0_4arch9wavefront6targetE1EEEvSK_
	.p2align	8
	.type	_ZN7rocprim17ROCPRIM_400000_NS6detail17trampoline_kernelINS0_14default_configENS1_36segmented_radix_sort_config_selectorIblEEZNS1_25segmented_radix_sort_implIS3_Lb0EPKbPbPKlPlN2at6native12_GLOBAL__N_18offset_tEEE10hipError_tPvRmT1_PNSt15iterator_traitsISK_E10value_typeET2_T3_PNSL_ISQ_E10value_typeET4_jRbjT5_SW_jjP12ihipStream_tbEUlT_E_NS1_11comp_targetILNS1_3genE2ELNS1_11target_archE906ELNS1_3gpuE6ELNS1_3repE0EEENS1_30default_config_static_selectorELNS0_4arch9wavefront6targetE1EEEvSK_,@function
_ZN7rocprim17ROCPRIM_400000_NS6detail17trampoline_kernelINS0_14default_configENS1_36segmented_radix_sort_config_selectorIblEEZNS1_25segmented_radix_sort_implIS3_Lb0EPKbPbPKlPlN2at6native12_GLOBAL__N_18offset_tEEE10hipError_tPvRmT1_PNSt15iterator_traitsISK_E10value_typeET2_T3_PNSL_ISQ_E10value_typeET4_jRbjT5_SW_jjP12ihipStream_tbEUlT_E_NS1_11comp_targetILNS1_3genE2ELNS1_11target_archE906ELNS1_3gpuE6ELNS1_3repE0EEENS1_30default_config_static_selectorELNS0_4arch9wavefront6targetE1EEEvSK_: ; @_ZN7rocprim17ROCPRIM_400000_NS6detail17trampoline_kernelINS0_14default_configENS1_36segmented_radix_sort_config_selectorIblEEZNS1_25segmented_radix_sort_implIS3_Lb0EPKbPbPKlPlN2at6native12_GLOBAL__N_18offset_tEEE10hipError_tPvRmT1_PNSt15iterator_traitsISK_E10value_typeET2_T3_PNSL_ISQ_E10value_typeET4_jRbjT5_SW_jjP12ihipStream_tbEUlT_E_NS1_11comp_targetILNS1_3genE2ELNS1_11target_archE906ELNS1_3gpuE6ELNS1_3repE0EEENS1_30default_config_static_selectorELNS0_4arch9wavefront6targetE1EEEvSK_
; %bb.0:
	s_add_u32 s0, s0, s8
	s_mov_b64 s[34:35], s[4:5]
	s_load_dwordx2 s[4:5], s[4:5], 0x38
	s_nop 0
	s_load_dwordx4 s[8:11], s[34:35], 0x40
	s_mov_b32 s33, s7
	s_mov_b32 s7, 0
	s_addc_u32 s1, s1, 0
	s_lshl_b64 s[12:13], s[6:7], 2
	s_waitcnt lgkmcnt(0)
	s_add_u32 s4, s4, s12
	s_addc_u32 s5, s5, s13
	s_load_dword s4, s[4:5], 0x0
	s_mov_b32 s32, 0
	s_waitcnt lgkmcnt(0)
	s_add_i32 s63, s4, s9
	s_add_i32 s74, s4, s11
	s_mul_i32 s63, s63, s8
	s_mul_i32 s74, s74, s10
	s_cmp_le_u32 s74, s63
	s_cbranch_scc1 .LBB1640_414
; %bb.1:
	s_load_dword s4, s[34:35], 0x30
	s_load_dwordx4 s[64:67], s[34:35], 0x20
	s_load_dwordx4 s[68:71], s[34:35], 0x50
	s_load_dwordx8 s[48:55], s[34:35], 0x0
	s_waitcnt lgkmcnt(0)
	s_bitcmp1_b32 s4, 0
	s_cselect_b64 s[72:73], -1, 0
	s_sub_i32 s71, s74, s63
	s_cmpk_lt_u32 s71, 0x401
	s_mov_b64 s[4:5], -1
	s_cbranch_scc0 .LBB1640_7
; %bb.2:
	s_and_b32 s4, s68, 1
	v_cndmask_b32_e64 v3, 0, 1, s[72:73]
	v_cmp_ne_u32_e32 vcc, s4, v3
	s_mov_b64 s[4:5], -1
	v_lshlrev_b32_e32 v41, 20, v2
	v_lshlrev_b32_e32 v42, 10, v1
	s_cbranch_vccnz .LBB1640_4
; %bb.3:
	s_add_u32 s8, s34, 0x60
	s_mov_b64 s[4:5], src_shared_base
	s_addc_u32 s9, s35, 0
	s_getpc_b64 s[10:11]
	s_add_u32 s10, s10, _ZN7rocprim17ROCPRIM_400000_NS6detail40segmented_radix_sort_single_block_helperIblLj256ELj4ELb0EE4sortIPKbPbPKlPlEEbT_T0_T1_T2_jjjjRNS3_12storage_typeE@rel32@lo+4
	s_addc_u32 s11, s11, _ZN7rocprim17ROCPRIM_400000_NS6detail40segmented_radix_sort_single_block_helperIblLj256ELj4ELb0EE4sortIPKbPbPKlPlEEbT_T0_T1_T2_jjjjRNS3_12storage_typeE@rel32@hi+12
	v_or3_b32 v31, v0, v42, v41
	s_mov_b32 s12, s6
	s_mov_b32 s13, s33
	v_mov_b32_e32 v40, v0
	v_mov_b32_e32 v0, s48
	;; [unrolled: 1-line block ×17, first 2 shown]
	s_mov_b32 s36, s6
	s_swappc_b64 s[30:31], s[10:11]
	v_mov_b32_e32 v1, v43
	v_mov_b32_e32 v2, v44
	;; [unrolled: 1-line block ×3, first 2 shown]
	s_mov_b32 s6, s36
	s_mov_b64 s[4:5], 0
.LBB1640_4:
	s_andn2_b64 vcc, exec, s[4:5]
	s_cbranch_vccnz .LBB1640_6
; %bb.5:
	s_add_u32 s8, s34, 0x60
	s_mov_b64 s[4:5], src_shared_base
	s_addc_u32 s9, s35, 0
	s_getpc_b64 s[10:11]
	s_add_u32 s10, s10, _ZN7rocprim17ROCPRIM_400000_NS6detail40segmented_radix_sort_single_block_helperIblLj256ELj4ELb0EE4sortIPKbPbPKlPlEEbT_T0_T1_T2_jjjjRNS3_12storage_typeE@rel32@lo+4
	s_addc_u32 s11, s11, _ZN7rocprim17ROCPRIM_400000_NS6detail40segmented_radix_sort_single_block_helperIblLj256ELj4ELb0EE4sortIPKbPbPKlPlEEbT_T0_T1_T2_jjjjRNS3_12storage_typeE@rel32@hi+12
	v_or3_b32 v31, v0, v42, v41
	s_mov_b32 s12, s6
	s_mov_b32 s13, s33
	v_mov_b32_e32 v40, v0
	v_mov_b32_e32 v0, s48
	;; [unrolled: 1-line block ×17, first 2 shown]
	s_mov_b32 s36, s6
	s_swappc_b64 s[30:31], s[10:11]
	v_mov_b32_e32 v1, v41
	v_mov_b32_e32 v2, v42
	;; [unrolled: 1-line block ×3, first 2 shown]
	s_mov_b32 s6, s36
.LBB1640_6:
	s_mov_b64 s[4:5], 0
.LBB1640_7:
	s_andn2_b64 vcc, exec, s[4:5]
	s_cbranch_vccnz .LBB1640_414
; %bb.8:
	s_cmp_ge_u32 s69, s70
	s_cbranch_scc1 .LBB1640_414
; %bb.9:
	v_and_b32_e32 v3, 3, v0
	v_lshlrev_b32_e32 v24, 2, v3
	v_or_b32_e32 v3, 63, v0
	v_lshlrev_b32_e32 v18, 2, v0
	v_cmp_eq_u32_e64 s[8:9], v0, v3
	v_lshrrev_b32_e32 v3, 4, v0
	v_mov_b32_e32 v4, s53
	v_add_co_u32_e32 v22, vcc, s52, v0
	v_and_b32_e32 v26, 12, v3
	v_and_b32_e32 v3, 0x300, v18
	v_addc_co_u32_e32 v23, vcc, 0, v4, vcc
	v_lshlrev_b32_e32 v5, 3, v3
	v_mov_b32_e32 v6, s67
	v_add_co_u32_e32 v28, vcc, s66, v5
	v_addc_co_u32_e32 v29, vcc, 0, v6, vcc
	v_mov_b32_e32 v6, s53
	v_add_co_u32_e32 v30, vcc, s52, v3
	v_addc_co_u32_e32 v31, vcc, 0, v6, vcc
	;; [unrolled: 3-line block ×8, first 2 shown]
	v_mbcnt_lo_u32_b32 v5, -1, 0
	v_mbcnt_hi_u32_b32 v44, -1, v5
	v_mad_u32_u24 v25, v0, 12, v18
	v_lshlrev_b32_e32 v4, 4, v0
	v_and_b32_e32 v45, 63, v44
	s_movk_i32 s4, 0x100
	s_add_u32 s46, s34, 0x60
	v_add_u32_e32 v27, v25, v18
	v_sub_u32_e32 v4, 0, v4
	s_movk_i32 s7, 0xff
	v_or_b32_e32 v46, v45, v3
	v_or_b32_e32 v19, 0x100, v0
	;; [unrolled: 1-line block ×4, first 2 shown]
	v_cmp_gt_u32_e64 s[4:5], s4, v0
	v_cmp_gt_u32_e64 s[10:11], 4, v0
	v_cmp_lt_u32_e64 s[12:13], 63, v0
	s_addc_u32 s47, s35, 0
	s_mov_b32 s57, 0
	v_cmp_eq_u32_e64 s[14:15], 0, v0
	v_cmp_ne_u32_e64 s[16:17], s7, v0
	v_add_u32_e32 v47, v27, v4
	s_mov_b32 s7, s69
	v_or_b32_e32 v48, 0x2400, v26
	v_or_b32_e32 v49, 0x2400, v18
	v_add_u32_e32 v50, 0x23fc, v26
	v_mul_u32_u24_e32 v51, 7, v0
	v_mov_b32_e32 v52, 1
	v_add_u32_e32 v53, 0x410, v27
	v_add_u32_e32 v54, 0x418, v27
	v_and_b32_e32 v55, 15, v44
	v_bfe_i32 v56, v44, 4, 1
	v_and_b32_e32 v57, 16, v44
	v_and_b32_e32 v58, 3, v44
	;; [unrolled: 1-line block ×3, first 2 shown]
	v_lshlrev_b32_e32 v60, 3, v45
	v_or_b32_e32 v61, 64, v46
	v_or_b32_e32 v62, 0x80, v46
	;; [unrolled: 1-line block ×3, first 2 shown]
	v_mov_b32_e32 v4, 0
	s_branch .LBB1640_12
.LBB1640_10:                            ;   in Loop: Header=BB1640_12 Depth=1
	s_waitcnt lgkmcnt(0)
	s_barrier
.LBB1640_11:                            ;   in Loop: Header=BB1640_12 Depth=1
	s_add_i32 s7, s7, 8
	s_cmp_ge_u32 s7, s70
	s_cbranch_scc1 .LBB1640_414
.LBB1640_12:                            ; =>This Loop Header: Depth=1
                                        ;     Child Loop BB1640_16 Depth 2
                                        ;     Child Loop BB1640_48 Depth 2
	;; [unrolled: 1-line block ×8, first 2 shown]
	s_sub_i32 s18, s70, s7
	s_min_u32 s18, s18, 8
	s_lshl_b32 s18, -1, s18
	s_xor_b64 s[72:73], s[72:73], -1
	s_not_b32 s58, s18
	s_cmp_lg_u32 s7, s69
	s_mov_b64 s[18:19], -1
	ds_write2st64_b32 v18, v4, v4 offset1:4
	ds_write2st64_b32 v18, v4, v4 offset0:8 offset1:12
	s_waitcnt lgkmcnt(0)
	s_cbranch_scc0 .LBB1640_214
; %bb.13:                               ;   in Loop: Header=BB1640_12 Depth=1
	s_and_b64 vcc, exec, s[72:73]
	s_cbranch_vccz .LBB1640_113
; %bb.14:                               ;   in Loop: Header=BB1640_12 Depth=1
	v_mov_b32_e32 v3, 0
	s_mov_b32 s20, s71
	s_mov_b32 s22, s63
	v_mov_b32_e32 v7, 0
	v_mov_b32_e32 v6, 0
	;; [unrolled: 1-line block ×3, first 2 shown]
	s_barrier
	s_branch .LBB1640_16
.LBB1640_15:                            ;   in Loop: Header=BB1640_16 Depth=2
	s_or_b64 exec, exec, s[18:19]
	s_addk_i32 s20, 0xfc00
	s_cmp_ge_u32 s21, s74
	s_mov_b32 s22, s21
	s_cbranch_scc1 .LBB1640_36
.LBB1640_16:                            ;   Parent Loop BB1640_12 Depth=1
                                        ; =>  This Inner Loop Header: Depth=2
	s_add_i32 s21, s22, 0x400
	s_cmp_gt_u32 s21, s74
	s_mov_b64 s[18:19], -1
                                        ; implicit-def: $vgpr8
                                        ; implicit-def: $vgpr9
                                        ; implicit-def: $vgpr10
                                        ; implicit-def: $vgpr11
	s_cbranch_scc1 .LBB1640_18
; %bb.17:                               ;   in Loop: Header=BB1640_16 Depth=2
	v_add_co_u32_e32 v12, vcc, s22, v22
	v_addc_co_u32_e32 v13, vcc, 0, v23, vcc
	global_load_ubyte v11, v[12:13], off offset:768
	global_load_ubyte v10, v[12:13], off offset:512
	;; [unrolled: 1-line block ×3, first 2 shown]
	global_load_ubyte v8, v[12:13], off
	s_mov_b64 s[18:19], 0
.LBB1640_18:                            ;   in Loop: Header=BB1640_16 Depth=2
	s_andn2_b64 vcc, exec, s[18:19]
	s_movk_i32 s23, 0x400
	s_cbranch_vccnz .LBB1640_25
; %bb.19:                               ;   in Loop: Header=BB1640_16 Depth=2
	s_add_u32 s22, s52, s22
	s_addc_u32 s23, s53, 0
	v_cmp_gt_u32_e32 vcc, s20, v0
	s_and_saveexec_b64 s[18:19], vcc
	s_cbranch_execnz .LBB1640_33
; %bb.20:                               ;   in Loop: Header=BB1640_16 Depth=2
	s_or_b64 exec, exec, s[18:19]
	v_cmp_gt_u32_e32 vcc, s20, v19
	s_and_saveexec_b64 s[18:19], vcc
	s_cbranch_execnz .LBB1640_34
.LBB1640_21:                            ;   in Loop: Header=BB1640_16 Depth=2
	s_or_b64 exec, exec, s[18:19]
	v_cmp_gt_u32_e32 vcc, s20, v20
	s_and_saveexec_b64 s[18:19], vcc
	s_cbranch_execnz .LBB1640_35
.LBB1640_22:                            ;   in Loop: Header=BB1640_16 Depth=2
	s_or_b64 exec, exec, s[18:19]
	v_cmp_gt_u32_e32 vcc, s20, v21
	s_and_saveexec_b64 s[18:19], vcc
	s_cbranch_execz .LBB1640_24
.LBB1640_23:                            ;   in Loop: Header=BB1640_16 Depth=2
	v_mov_b32_e32 v5, s23
	s_waitcnt vmcnt(0)
	v_add_co_u32_e32 v8, vcc, s22, v0
	v_addc_co_u32_e32 v9, vcc, 0, v5, vcc
	global_load_ubyte v5, v[8:9], off offset:768
.LBB1640_24:                            ;   in Loop: Header=BB1640_16 Depth=2
	s_or_b64 exec, exec, s[18:19]
	s_mov_b32 s23, s20
	s_waitcnt vmcnt(0)
	v_mov_b32_e32 v8, v3
	v_mov_b32_e32 v9, v7
	;; [unrolled: 1-line block ×4, first 2 shown]
.LBB1640_25:                            ;   in Loop: Header=BB1640_16 Depth=2
	s_waitcnt vmcnt(3)
	v_mov_b32_e32 v5, v11
	s_waitcnt vmcnt(2)
	v_mov_b32_e32 v6, v10
	s_waitcnt vmcnt(1)
	v_mov_b32_e32 v7, v9
	s_waitcnt vmcnt(0)
	v_mov_b32_e32 v3, v8
	v_cmp_gt_u32_e32 vcc, s23, v0
	s_and_saveexec_b64 s[18:19], vcc
	s_cbranch_execnz .LBB1640_29
; %bb.26:                               ;   in Loop: Header=BB1640_16 Depth=2
	s_or_b64 exec, exec, s[18:19]
	v_cmp_gt_u32_e32 vcc, s23, v19
	s_and_saveexec_b64 s[18:19], vcc
	s_cbranch_execnz .LBB1640_30
.LBB1640_27:                            ;   in Loop: Header=BB1640_16 Depth=2
	s_or_b64 exec, exec, s[18:19]
	v_cmp_gt_u32_e32 vcc, s23, v20
	s_and_saveexec_b64 s[18:19], vcc
	s_cbranch_execnz .LBB1640_31
.LBB1640_28:                            ;   in Loop: Header=BB1640_16 Depth=2
	s_or_b64 exec, exec, s[18:19]
	v_cmp_gt_u32_e32 vcc, s23, v21
	s_and_saveexec_b64 s[18:19], vcc
	s_cbranch_execz .LBB1640_15
	s_branch .LBB1640_32
.LBB1640_29:                            ;   in Loop: Header=BB1640_16 Depth=2
	v_and_b32_e32 v8, 1, v3
	v_lshrrev_b32_e32 v8, s7, v8
	v_and_b32_e32 v8, s58, v8
	v_lshl_or_b32 v8, v8, 4, v24
	ds_add_u32 v8, v52
	s_or_b64 exec, exec, s[18:19]
	v_cmp_gt_u32_e32 vcc, s23, v19
	s_and_saveexec_b64 s[18:19], vcc
	s_cbranch_execz .LBB1640_27
.LBB1640_30:                            ;   in Loop: Header=BB1640_16 Depth=2
	v_and_b32_e32 v8, 1, v7
	v_lshrrev_b32_e32 v8, s7, v8
	v_and_b32_e32 v8, s58, v8
	v_lshl_or_b32 v8, v8, 4, v24
	ds_add_u32 v8, v52
	s_or_b64 exec, exec, s[18:19]
	v_cmp_gt_u32_e32 vcc, s23, v20
	s_and_saveexec_b64 s[18:19], vcc
	s_cbranch_execz .LBB1640_28
.LBB1640_31:                            ;   in Loop: Header=BB1640_16 Depth=2
	v_and_b32_e32 v8, 1, v6
	v_lshrrev_b32_e32 v8, s7, v8
	v_and_b32_e32 v8, s58, v8
	v_lshl_or_b32 v8, v8, 4, v24
	ds_add_u32 v8, v52
	s_or_b64 exec, exec, s[18:19]
	v_cmp_gt_u32_e32 vcc, s23, v21
	s_and_saveexec_b64 s[18:19], vcc
	s_cbranch_execz .LBB1640_15
.LBB1640_32:                            ;   in Loop: Header=BB1640_16 Depth=2
	v_and_b32_e32 v8, 1, v5
	v_lshrrev_b32_e32 v8, s7, v8
	v_and_b32_e32 v8, s58, v8
	v_lshl_or_b32 v8, v8, 4, v24
	ds_add_u32 v8, v52
	s_branch .LBB1640_15
.LBB1640_33:                            ;   in Loop: Header=BB1640_16 Depth=2
	v_mov_b32_e32 v3, s23
	s_waitcnt vmcnt(0)
	v_add_co_u32_e32 v8, vcc, s22, v0
	v_addc_co_u32_e32 v9, vcc, 0, v3, vcc
	global_load_ubyte v3, v[8:9], off
	s_or_b64 exec, exec, s[18:19]
	v_cmp_gt_u32_e32 vcc, s20, v19
	s_and_saveexec_b64 s[18:19], vcc
	s_cbranch_execz .LBB1640_21
.LBB1640_34:                            ;   in Loop: Header=BB1640_16 Depth=2
	s_waitcnt vmcnt(0)
	v_mov_b32_e32 v8, s23
	v_add_co_u32_e32 v7, vcc, s22, v0
	v_addc_co_u32_e32 v8, vcc, 0, v8, vcc
	global_load_ubyte v7, v[7:8], off offset:256
	s_or_b64 exec, exec, s[18:19]
	v_cmp_gt_u32_e32 vcc, s20, v20
	s_and_saveexec_b64 s[18:19], vcc
	s_cbranch_execz .LBB1640_22
.LBB1640_35:                            ;   in Loop: Header=BB1640_16 Depth=2
	v_mov_b32_e32 v6, s23
	s_waitcnt vmcnt(0)
	v_add_co_u32_e32 v8, vcc, s22, v0
	v_addc_co_u32_e32 v9, vcc, 0, v6, vcc
	global_load_ubyte v6, v[8:9], off offset:512
	s_or_b64 exec, exec, s[18:19]
	v_cmp_gt_u32_e32 vcc, s20, v21
	s_and_saveexec_b64 s[18:19], vcc
	s_cbranch_execnz .LBB1640_23
	s_branch .LBB1640_24
.LBB1640_36:                            ;   in Loop: Header=BB1640_12 Depth=1
	v_mov_b32_e32 v3, 0
	s_waitcnt lgkmcnt(0)
	s_barrier
	s_and_saveexec_b64 s[18:19], s[4:5]
	s_cbranch_execz .LBB1640_38
; %bb.37:                               ;   in Loop: Header=BB1640_12 Depth=1
	ds_read2_b64 v[5:8], v25 offset1:1
	s_waitcnt lgkmcnt(0)
	v_add_u32_e32 v3, v6, v5
	v_add3_u32 v3, v3, v7, v8
.LBB1640_38:                            ;   in Loop: Header=BB1640_12 Depth=1
	s_or_b64 exec, exec, s[18:19]
	s_nop 0
	v_mov_b32_dpp v5, v3 row_shr:1 row_mask:0xf bank_mask:0xf
	v_cmp_eq_u32_e64 s[18:19], 0, v55
	v_cndmask_b32_e64 v5, v5, 0, s[18:19]
	v_add_u32_e32 v3, v5, v3
	v_cmp_lt_u32_e64 s[20:21], 1, v55
	v_cmp_lt_u32_e64 s[22:23], 3, v55
	v_mov_b32_dpp v5, v3 row_shr:2 row_mask:0xf bank_mask:0xf
	v_cndmask_b32_e64 v5, 0, v5, s[20:21]
	v_add_u32_e32 v3, v3, v5
	v_cmp_lt_u32_e64 s[24:25], 7, v55
	v_cmp_lt_u32_e64 s[28:29], 31, v44
	v_mov_b32_dpp v5, v3 row_shr:4 row_mask:0xf bank_mask:0xf
	v_cndmask_b32_e64 v5, 0, v5, s[22:23]
	v_add_u32_e32 v3, v3, v5
	v_cmp_eq_u32_e64 s[26:27], 0, v57
	s_nop 0
	v_mov_b32_dpp v5, v3 row_shr:8 row_mask:0xf bank_mask:0xf
	v_cndmask_b32_e64 v5, 0, v5, s[24:25]
	v_add_u32_e32 v3, v3, v5
	s_nop 1
	v_mov_b32_dpp v5, v3 row_bcast:15 row_mask:0xf bank_mask:0xf
	v_and_b32_e32 v5, v56, v5
	v_add_u32_e32 v3, v3, v5
	s_nop 1
	v_mov_b32_dpp v5, v3 row_bcast:31 row_mask:0xf bank_mask:0xf
	v_cndmask_b32_e64 v5, 0, v5, s[28:29]
	v_add_u32_e32 v3, v3, v5
	s_and_saveexec_b64 s[30:31], s[8:9]
; %bb.39:                               ;   in Loop: Header=BB1640_12 Depth=1
	ds_write_b32 v48, v3
; %bb.40:                               ;   in Loop: Header=BB1640_12 Depth=1
	s_or_b64 exec, exec, s[30:31]
	s_waitcnt lgkmcnt(0)
	s_barrier
	s_and_saveexec_b64 s[30:31], s[10:11]
	s_cbranch_execz .LBB1640_42
; %bb.41:                               ;   in Loop: Header=BB1640_12 Depth=1
	ds_read_b32 v5, v49
	v_cmp_ne_u32_e32 vcc, 0, v58
	s_waitcnt lgkmcnt(0)
	v_mov_b32_dpp v6, v5 row_shr:1 row_mask:0xf bank_mask:0xf
	v_cndmask_b32_e32 v6, 0, v6, vcc
	v_add_u32_e32 v5, v6, v5
	v_cmp_lt_u32_e32 vcc, 1, v58
	s_nop 0
	v_mov_b32_dpp v6, v5 row_shr:2 row_mask:0xf bank_mask:0xf
	v_cndmask_b32_e32 v6, 0, v6, vcc
	v_add_u32_e32 v5, v5, v6
	ds_write_b32 v49, v5
.LBB1640_42:                            ;   in Loop: Header=BB1640_12 Depth=1
	s_or_b64 exec, exec, s[30:31]
	v_mov_b32_e32 v5, 0
	s_waitcnt lgkmcnt(0)
	s_barrier
	s_and_saveexec_b64 s[30:31], s[12:13]
; %bb.43:                               ;   in Loop: Header=BB1640_12 Depth=1
	ds_read_b32 v5, v50
; %bb.44:                               ;   in Loop: Header=BB1640_12 Depth=1
	s_or_b64 exec, exec, s[30:31]
	v_subrev_co_u32_e64 v6, s[30:31], 1, v44
	v_cmp_lt_i32_e32 vcc, v6, v59
	v_cndmask_b32_e32 v6, v6, v44, vcc
	s_waitcnt lgkmcnt(0)
	v_add_u32_e32 v3, v5, v3
	v_lshlrev_b32_e32 v64, 2, v6
	ds_bpermute_b32 v3, v64, v3
	s_waitcnt lgkmcnt(0)
	s_barrier
	s_and_saveexec_b64 s[34:35], s[4:5]
; %bb.45:                               ;   in Loop: Header=BB1640_12 Depth=1
	v_cndmask_b32_e64 v3, v3, v5, s[30:31]
	v_add_u32_e32 v3, s63, v3
	ds_write_b32 v18, v3
; %bb.46:                               ;   in Loop: Header=BB1640_12 Depth=1
	s_or_b64 exec, exec, s[34:35]
	s_load_dword s34, s[46:47], 0x4
	s_load_dword s38, s[46:47], 0xc
	v_add_co_u32_e32 v65, vcc, v28, v60
	v_addc_co_u32_e32 v66, vcc, 0, v29, vcc
	s_waitcnt lgkmcnt(0)
	s_cmp_lt_u32 s33, s34
	s_cselect_b32 s34, 14, 20
	s_add_u32 s34, s46, s34
	s_addc_u32 s35, s47, 0
	global_load_ushort v3, v4, s[34:35]
	s_and_b32 s38, s38, 0xffff
	v_add_co_u32_e32 v67, vcc, v30, v45
	v_cmp_eq_u32_e64 s[34:35], 0, v58
	v_cmp_lt_u32_e64 s[36:37], 1, v58
	v_addc_co_u32_e32 v68, vcc, 0, v31, vcc
	s_mov_b32 s59, s71
	s_mov_b32 s56, s63
                                        ; implicit-def: $vgpr5_vgpr6
                                        ; implicit-def: $vgpr7_vgpr8
                                        ; implicit-def: $vgpr9_vgpr10
                                        ; implicit-def: $vgpr11_vgpr12
                                        ; implicit-def: $vgpr69
                                        ; implicit-def: $vgpr70
                                        ; implicit-def: $vgpr72
                                        ; implicit-def: $vgpr73
	s_waitcnt vmcnt(0)
	v_mad_u32_u24 v3, v2, v3, v1
	v_mad_u64_u32 v[13:14], s[38:39], v3, s38, v[0:1]
	v_lshrrev_b32_e32 v3, 4, v13
	v_and_b32_e32 v71, 0xffffffc, v3
	s_branch .LBB1640_48
.LBB1640_47:                            ;   in Loop: Header=BB1640_48 Depth=2
	s_or_b64 exec, exec, s[38:39]
	s_addk_i32 s59, 0xfc00
	s_cmp_lt_u32 s60, s74
	s_mov_b32 s56, s60
	s_cbranch_scc0 .LBB1640_112
.LBB1640_48:                            ;   Parent Loop BB1640_12 Depth=1
                                        ; =>  This Inner Loop Header: Depth=2
	s_add_i32 s60, s56, 0x400
	s_cmp_gt_u32 s60, s74
	s_cbranch_scc1 .LBB1640_50
; %bb.49:                               ;   in Loop: Header=BB1640_48 Depth=2
	v_add_co_u32_e32 v13, vcc, s56, v67
	v_addc_co_u32_e32 v14, vcc, 0, v68, vcc
	global_load_ubyte v17, v[13:14], off
	global_load_ubyte v75, v[13:14], off offset:64
	global_load_ubyte v76, v[13:14], off offset:128
	s_mov_b64 s[38:39], -1
	s_movk_i32 s42, 0x400
	s_cbranch_execz .LBB1640_51
	s_branch .LBB1640_58
.LBB1640_50:                            ;   in Loop: Header=BB1640_48 Depth=2
	s_mov_b64 s[38:39], 0
                                        ; implicit-def: $vgpr17
                                        ; implicit-def: $vgpr75
                                        ; implicit-def: $vgpr76
	s_movk_i32 s42, 0x400
.LBB1640_51:                            ;   in Loop: Header=BB1640_48 Depth=2
	v_add_co_u32_e32 v13, vcc, s56, v67
	v_addc_co_u32_e32 v14, vcc, 0, v68, vcc
	v_cmp_gt_u32_e32 vcc, s59, v46
	s_waitcnt vmcnt(1)
	v_mov_b32_e32 v75, 1
	v_mov_b32_e32 v17, 1
	s_and_saveexec_b64 s[38:39], vcc
	s_cbranch_execz .LBB1640_53
; %bb.52:                               ;   in Loop: Header=BB1640_48 Depth=2
	global_load_ubyte v17, v[13:14], off
.LBB1640_53:                            ;   in Loop: Header=BB1640_48 Depth=2
	s_or_b64 exec, exec, s[38:39]
	v_cmp_gt_u32_e32 vcc, s59, v61
	s_and_saveexec_b64 s[38:39], vcc
	s_cbranch_execz .LBB1640_55
; %bb.54:                               ;   in Loop: Header=BB1640_48 Depth=2
	global_load_ubyte v75, v[13:14], off offset:64
.LBB1640_55:                            ;   in Loop: Header=BB1640_48 Depth=2
	s_or_b64 exec, exec, s[38:39]
	v_cmp_gt_u32_e32 vcc, s59, v62
	s_waitcnt vmcnt(0)
	v_mov_b32_e32 v76, 1
	s_and_saveexec_b64 s[38:39], vcc
	s_cbranch_execz .LBB1640_57
; %bb.56:                               ;   in Loop: Header=BB1640_48 Depth=2
	global_load_ubyte v76, v[13:14], off offset:128
.LBB1640_57:                            ;   in Loop: Header=BB1640_48 Depth=2
	s_or_b64 exec, exec, s[38:39]
	s_sub_i32 s42, s74, s56
	v_cmp_gt_u32_e64 s[38:39], s59, v63
.LBB1640_58:                            ;   in Loop: Header=BB1640_48 Depth=2
	v_mov_b32_e32 v78, 1
	v_mov_b32_e32 v74, s59
	s_and_saveexec_b64 s[40:41], s[38:39]
	s_cbranch_execz .LBB1640_60
; %bb.59:                               ;   in Loop: Header=BB1640_48 Depth=2
	v_mov_b32_e32 v3, s57
	v_add_co_u32_e32 v13, vcc, s56, v67
	v_addc_co_u32_e32 v14, vcc, v68, v3, vcc
	global_load_ubyte v78, v[13:14], off offset:192
	v_mov_b32_e32 v74, s42
.LBB1640_60:                            ;   in Loop: Header=BB1640_48 Depth=2
	s_or_b64 exec, exec, s[40:41]
	s_waitcnt vmcnt(2)
	v_lshrrev_b32_sdwa v3, s7, v17 dst_sel:DWORD dst_unused:UNUSED_PAD src0_sel:DWORD src1_sel:BYTE_0
	v_and_b32_e32 v3, s58, v3
	v_mul_u32_u24_e32 v15, 20, v3
	v_cmp_ne_u32_e32 vcc, 0, v3
	v_add_co_u32_e64 v3, s[38:39], -1, v3
	v_addc_co_u32_e64 v13, s[38:39], 0, -1, s[38:39]
	v_xor_b32_e32 v13, vcc_hi, v13
	v_xor_b32_e32 v3, vcc_lo, v3
	v_and_b32_e32 v14, exec_hi, v13
	v_and_b32_e32 v13, exec_lo, v3
	v_mbcnt_lo_u32_b32 v3, v13, 0
	v_mbcnt_hi_u32_b32 v3, v14, v3
	v_cmp_ne_u64_e32 vcc, 0, v[13:14]
	v_cmp_eq_u32_e64 s[38:39], 0, v3
	s_and_b64 s[40:41], vcc, s[38:39]
	v_add_u32_e32 v77, v71, v15
	ds_write2_b32 v53, v4, v4 offset1:1
	ds_write2_b32 v54, v4, v4 offset1:1
	ds_write_b32 v27, v4 offset:1056
	s_waitcnt vmcnt(0) lgkmcnt(0)
	s_barrier
	; wave barrier
	s_and_saveexec_b64 s[38:39], s[40:41]
; %bb.61:                               ;   in Loop: Header=BB1640_48 Depth=2
	v_bcnt_u32_b32 v13, v13, 0
	v_bcnt_u32_b32 v13, v14, v13
	ds_write_b32 v77, v13 offset:1040
; %bb.62:                               ;   in Loop: Header=BB1640_48 Depth=2
	s_or_b64 exec, exec, s[38:39]
	v_lshrrev_b32_sdwa v13, s7, v75 dst_sel:DWORD dst_unused:UNUSED_PAD src0_sel:DWORD src1_sel:BYTE_0
	v_and_b32_e32 v13, s58, v13
	v_mul_u32_u24_e32 v15, 20, v13
	v_mad_u32_u24 v14, v13, 20, v71
	v_cmp_ne_u32_e32 vcc, 0, v13
	v_add_co_u32_e64 v13, s[38:39], -1, v13
	; wave barrier
	ds_read_b32 v79, v14 offset:1040
	v_addc_co_u32_e64 v14, s[38:39], 0, -1, s[38:39]
	v_xor_b32_e32 v13, vcc_lo, v13
	v_xor_b32_e32 v14, vcc_hi, v14
	v_and_b32_e32 v13, exec_lo, v13
	v_and_b32_e32 v14, exec_hi, v14
	v_mbcnt_lo_u32_b32 v16, v13, 0
	v_mbcnt_hi_u32_b32 v80, v14, v16
	v_cmp_ne_u64_e32 vcc, 0, v[13:14]
	v_cmp_eq_u32_e64 s[38:39], 0, v80
	s_and_b64 s[40:41], vcc, s[38:39]
	v_add_u32_e32 v82, v71, v15
	; wave barrier
	s_and_saveexec_b64 s[38:39], s[40:41]
	s_cbranch_execz .LBB1640_64
; %bb.63:                               ;   in Loop: Header=BB1640_48 Depth=2
	v_bcnt_u32_b32 v13, v13, 0
	v_bcnt_u32_b32 v13, v14, v13
	s_waitcnt lgkmcnt(0)
	v_add_u32_e32 v13, v79, v13
	ds_write_b32 v82, v13 offset:1040
.LBB1640_64:                            ;   in Loop: Header=BB1640_48 Depth=2
	s_or_b64 exec, exec, s[38:39]
	v_lshrrev_b32_sdwa v13, s7, v76 dst_sel:DWORD dst_unused:UNUSED_PAD src0_sel:DWORD src1_sel:BYTE_0
	v_and_b32_e32 v13, s58, v13
	v_mul_u32_u24_e32 v15, 20, v13
	v_mad_u32_u24 v14, v13, 20, v71
	v_cmp_ne_u32_e32 vcc, 0, v13
	v_add_co_u32_e64 v13, s[38:39], -1, v13
	; wave barrier
	ds_read_b32 v81, v14 offset:1040
	v_addc_co_u32_e64 v14, s[38:39], 0, -1, s[38:39]
	v_xor_b32_e32 v13, vcc_lo, v13
	v_xor_b32_e32 v14, vcc_hi, v14
	v_and_b32_e32 v13, exec_lo, v13
	v_and_b32_e32 v14, exec_hi, v14
	v_mbcnt_lo_u32_b32 v16, v13, 0
	v_mbcnt_hi_u32_b32 v83, v14, v16
	v_cmp_ne_u64_e32 vcc, 0, v[13:14]
	v_cmp_eq_u32_e64 s[38:39], 0, v83
	s_and_b64 s[40:41], vcc, s[38:39]
	v_add_u32_e32 v85, v71, v15
	; wave barrier
	s_and_saveexec_b64 s[38:39], s[40:41]
	s_cbranch_execz .LBB1640_66
; %bb.65:                               ;   in Loop: Header=BB1640_48 Depth=2
	v_bcnt_u32_b32 v13, v13, 0
	v_bcnt_u32_b32 v13, v14, v13
	s_waitcnt lgkmcnt(0)
	v_add_u32_e32 v13, v81, v13
	ds_write_b32 v85, v13 offset:1040
.LBB1640_66:                            ;   in Loop: Header=BB1640_48 Depth=2
	;; [unrolled: 30-line block ×3, first 2 shown]
	s_or_b64 exec, exec, s[38:39]
	; wave barrier
	s_waitcnt lgkmcnt(0)
	s_barrier
	ds_read2_b32 v[15:16], v53 offset1:1
	ds_read2_b32 v[13:14], v54 offset1:1
	ds_read_b32 v88, v27 offset:1056
	s_waitcnt lgkmcnt(1)
	v_add3_u32 v89, v16, v15, v13
	s_waitcnt lgkmcnt(0)
	v_add3_u32 v88, v89, v14, v88
	s_nop 1
	v_mov_b32_dpp v89, v88 row_shr:1 row_mask:0xf bank_mask:0xf
	v_cndmask_b32_e64 v89, v89, 0, s[18:19]
	v_add_u32_e32 v88, v89, v88
	s_nop 1
	v_mov_b32_dpp v89, v88 row_shr:2 row_mask:0xf bank_mask:0xf
	v_cndmask_b32_e64 v89, 0, v89, s[20:21]
	v_add_u32_e32 v88, v88, v89
	;; [unrolled: 4-line block ×4, first 2 shown]
	s_nop 1
	v_mov_b32_dpp v89, v88 row_bcast:15 row_mask:0xf bank_mask:0xf
	v_cndmask_b32_e64 v89, v89, 0, s[26:27]
	v_add_u32_e32 v88, v88, v89
	s_nop 1
	v_mov_b32_dpp v89, v88 row_bcast:31 row_mask:0xf bank_mask:0xf
	v_cndmask_b32_e64 v89, 0, v89, s[28:29]
	v_add_u32_e32 v88, v88, v89
	s_and_saveexec_b64 s[38:39], s[8:9]
; %bb.69:                               ;   in Loop: Header=BB1640_48 Depth=2
	ds_write_b32 v26, v88 offset:1024
; %bb.70:                               ;   in Loop: Header=BB1640_48 Depth=2
	s_or_b64 exec, exec, s[38:39]
	s_waitcnt lgkmcnt(0)
	s_barrier
	s_and_saveexec_b64 s[38:39], s[10:11]
	s_cbranch_execz .LBB1640_72
; %bb.71:                               ;   in Loop: Header=BB1640_48 Depth=2
	ds_read_b32 v89, v47 offset:1024
	s_waitcnt lgkmcnt(0)
	s_nop 0
	v_mov_b32_dpp v90, v89 row_shr:1 row_mask:0xf bank_mask:0xf
	v_cndmask_b32_e64 v90, v90, 0, s[34:35]
	v_add_u32_e32 v89, v90, v89
	s_nop 1
	v_mov_b32_dpp v90, v89 row_shr:2 row_mask:0xf bank_mask:0xf
	v_cndmask_b32_e64 v90, 0, v90, s[36:37]
	v_add_u32_e32 v89, v89, v90
	ds_write_b32 v47, v89 offset:1024
.LBB1640_72:                            ;   in Loop: Header=BB1640_48 Depth=2
	s_or_b64 exec, exec, s[38:39]
	v_mov_b32_e32 v89, 0
	s_waitcnt lgkmcnt(0)
	s_barrier
	s_and_saveexec_b64 s[38:39], s[12:13]
; %bb.73:                               ;   in Loop: Header=BB1640_48 Depth=2
	ds_read_b32 v89, v26 offset:1020
; %bb.74:                               ;   in Loop: Header=BB1640_48 Depth=2
	s_or_b64 exec, exec, s[38:39]
	s_waitcnt lgkmcnt(0)
	v_add_u32_e32 v88, v89, v88
	ds_bpermute_b32 v88, v64, v88
	s_waitcnt lgkmcnt(0)
	v_cndmask_b32_e64 v88, v88, v89, s[30:31]
	v_cndmask_b32_e64 v88, v88, 0, s[14:15]
	v_add_u32_e32 v15, v88, v15
	v_add_u32_e32 v16, v15, v16
	;; [unrolled: 1-line block ×4, first 2 shown]
	ds_write2_b32 v53, v88, v15 offset1:1
	ds_write2_b32 v54, v16, v13 offset1:1
	ds_write_b32 v27, v14 offset:1056
	s_waitcnt lgkmcnt(0)
	s_barrier
	ds_read_b32 v13, v77 offset:1040
	ds_read_b32 v14, v82 offset:1040
	;; [unrolled: 1-line block ×5, first 2 shown]
	v_mov_b32_e32 v77, 0x400
	s_and_saveexec_b64 s[38:39], s[16:17]
; %bb.75:                               ;   in Loop: Header=BB1640_48 Depth=2
	ds_read_b32 v77, v27 offset:1060
; %bb.76:                               ;   in Loop: Header=BB1640_48 Depth=2
	s_or_b64 exec, exec, s[38:39]
	s_waitcnt lgkmcnt(0)
	s_barrier
	s_and_saveexec_b64 s[38:39], s[4:5]
	s_cbranch_execz .LBB1640_78
; %bb.77:                               ;   in Loop: Header=BB1640_48 Depth=2
	ds_read_b32 v85, v18
	s_waitcnt lgkmcnt(0)
	v_sub_u32_e32 v15, v85, v15
	ds_write_b32 v18, v15
.LBB1640_78:                            ;   in Loop: Header=BB1640_48 Depth=2
	s_or_b64 exec, exec, s[38:39]
	v_add_u32_e32 v15, v13, v3
	v_add3_u32 v14, v80, v79, v14
	v_add3_u32 v13, v83, v81, v16
	;; [unrolled: 1-line block ×3, first 2 shown]
	v_cmp_lt_u32_e64 s[42:43], v0, v74
	ds_write_b8 v15, v17 offset:1024
	ds_write_b8 v14, v75 offset:1024
	;; [unrolled: 1-line block ×4, first 2 shown]
	s_waitcnt lgkmcnt(0)
	s_barrier
	s_and_saveexec_b64 s[38:39], s[42:43]
	s_cbranch_execnz .LBB1640_99
; %bb.79:                               ;   in Loop: Header=BB1640_48 Depth=2
	s_or_b64 exec, exec, s[38:39]
	v_cmp_lt_u32_e64 s[40:41], v19, v74
	s_and_saveexec_b64 s[38:39], s[40:41]
	s_cbranch_execnz .LBB1640_100
.LBB1640_80:                            ;   in Loop: Header=BB1640_48 Depth=2
	s_or_b64 exec, exec, s[38:39]
	v_cmp_lt_u32_e64 s[38:39], v20, v74
	s_and_saveexec_b64 s[44:45], s[38:39]
	s_cbranch_execnz .LBB1640_101
.LBB1640_81:                            ;   in Loop: Header=BB1640_48 Depth=2
	s_or_b64 exec, exec, s[44:45]
	v_cmp_lt_u32_e32 vcc, v21, v74
	s_and_saveexec_b64 s[44:45], vcc
	s_cbranch_execz .LBB1640_83
.LBB1640_82:                            ;   in Loop: Header=BB1640_48 Depth=2
	ds_read_u8 v16, v0 offset:1792
	s_waitcnt lgkmcnt(0)
	v_and_b32_e32 v17, 1, v16
	v_lshrrev_b32_e32 v17, s7, v17
	v_and_b32_e32 v17, s58, v17
	v_lshlrev_b32_e32 v17, 2, v17
	ds_read_b32 v17, v17
	s_waitcnt lgkmcnt(0)
	v_add_u32_e32 v17, v17, v21
	global_store_byte v17, v16, s[50:51]
.LBB1640_83:                            ;   in Loop: Header=BB1640_48 Depth=2
	s_or_b64 exec, exec, s[44:45]
	s_lshl_b64 s[44:45], s[56:57], 3
	v_mov_b32_e32 v17, s45
	v_add_co_u32_e64 v16, s[44:45], s44, v65
	v_addc_co_u32_e64 v17, s[44:45], v66, v17, s[44:45]
	v_cmp_lt_u32_e64 s[44:45], v46, v74
	s_and_saveexec_b64 s[54:55], s[44:45]
	s_xor_b64 s[44:45], exec, s[54:55]
	s_cbranch_execnz .LBB1640_102
; %bb.84:                               ;   in Loop: Header=BB1640_48 Depth=2
	s_or_b64 exec, exec, s[44:45]
	v_cmp_lt_u32_e64 s[44:45], v61, v74
	s_and_saveexec_b64 s[54:55], s[44:45]
	s_cbranch_execnz .LBB1640_103
.LBB1640_85:                            ;   in Loop: Header=BB1640_48 Depth=2
	s_or_b64 exec, exec, s[54:55]
	v_cmp_lt_u32_e64 s[44:45], v62, v74
	s_and_saveexec_b64 s[54:55], s[44:45]
	s_cbranch_execnz .LBB1640_104
.LBB1640_86:                            ;   in Loop: Header=BB1640_48 Depth=2
	s_or_b64 exec, exec, s[54:55]
	v_cmp_lt_u32_e64 s[44:45], v63, v74
	s_and_saveexec_b64 s[54:55], s[44:45]
	s_cbranch_execnz .LBB1640_105
.LBB1640_87:                            ;   in Loop: Header=BB1640_48 Depth=2
	s_or_b64 exec, exec, s[54:55]
	s_and_saveexec_b64 s[44:45], s[42:43]
	s_cbranch_execnz .LBB1640_106
.LBB1640_88:                            ;   in Loop: Header=BB1640_48 Depth=2
	s_or_b64 exec, exec, s[44:45]
	s_and_saveexec_b64 s[44:45], s[40:41]
	s_cbranch_execnz .LBB1640_107
.LBB1640_89:                            ;   in Loop: Header=BB1640_48 Depth=2
	s_or_b64 exec, exec, s[44:45]
	s_and_saveexec_b64 s[44:45], s[38:39]
	s_cbranch_execnz .LBB1640_108
.LBB1640_90:                            ;   in Loop: Header=BB1640_48 Depth=2
	s_or_b64 exec, exec, s[44:45]
	s_and_saveexec_b64 s[44:45], vcc
	s_cbranch_execz .LBB1640_92
.LBB1640_91:                            ;   in Loop: Header=BB1640_48 Depth=2
	ds_read_u8 v16, v0 offset:1792
	s_waitcnt lgkmcnt(0)
	v_lshrrev_b32_e32 v16, s7, v16
	v_and_b32_e32 v69, s58, v16
.LBB1640_92:                            ;   in Loop: Header=BB1640_48 Depth=2
	s_or_b64 exec, exec, s[44:45]
	v_mad_u64_u32 v[15:16], s[44:45], v15, 7, v[15:16]
	v_mad_u64_u32 v[74:75], s[44:45], v3, 7, v[3:4]
	;; [unrolled: 1-line block ×4, first 2 shown]
	s_waitcnt vmcnt(0)
	s_barrier
	ds_write_b64 v15, v[11:12] offset:1024
	ds_write_b64 v16, v[9:10] offset:1024
	;; [unrolled: 1-line block ×4, first 2 shown]
	s_waitcnt lgkmcnt(0)
	s_barrier
	s_and_saveexec_b64 s[44:45], s[42:43]
	s_cbranch_execnz .LBB1640_109
; %bb.93:                               ;   in Loop: Header=BB1640_48 Depth=2
	s_or_b64 exec, exec, s[44:45]
	s_and_saveexec_b64 s[42:43], s[40:41]
	s_cbranch_execnz .LBB1640_110
.LBB1640_94:                            ;   in Loop: Header=BB1640_48 Depth=2
	s_or_b64 exec, exec, s[42:43]
	s_and_saveexec_b64 s[40:41], s[38:39]
	s_cbranch_execnz .LBB1640_111
.LBB1640_95:                            ;   in Loop: Header=BB1640_48 Depth=2
	s_or_b64 exec, exec, s[40:41]
	s_and_saveexec_b64 s[38:39], vcc
	s_cbranch_execz .LBB1640_97
.LBB1640_96:                            ;   in Loop: Header=BB1640_48 Depth=2
	v_lshlrev_b32_e32 v3, 2, v69
	ds_read_b32 v3, v3
	v_add_u32_e32 v13, v0, v51
	ds_read_b64 v[13:14], v13 offset:7168
	v_mov_b32_e32 v17, s65
	s_waitcnt lgkmcnt(1)
	v_add_u32_e32 v3, v3, v21
	v_lshlrev_b64 v[15:16], 3, v[3:4]
	v_add_co_u32_e32 v15, vcc, s64, v15
	v_addc_co_u32_e32 v16, vcc, v17, v16, vcc
	s_waitcnt lgkmcnt(0)
	global_store_dwordx2 v[15:16], v[13:14], off
.LBB1640_97:                            ;   in Loop: Header=BB1640_48 Depth=2
	s_or_b64 exec, exec, s[38:39]
	s_waitcnt vmcnt(0)
	s_barrier
	s_and_saveexec_b64 s[38:39], s[4:5]
	s_cbranch_execz .LBB1640_47
; %bb.98:                               ;   in Loop: Header=BB1640_48 Depth=2
	ds_read_b32 v3, v18
	s_waitcnt lgkmcnt(0)
	v_add_u32_e32 v3, v3, v77
	ds_write_b32 v18, v3
	s_branch .LBB1640_47
.LBB1640_99:                            ;   in Loop: Header=BB1640_48 Depth=2
	ds_read_u8 v16, v0 offset:1024
	s_waitcnt lgkmcnt(0)
	v_and_b32_e32 v17, 1, v16
	v_lshrrev_b32_e32 v17, s7, v17
	v_and_b32_e32 v17, s58, v17
	v_lshlrev_b32_e32 v17, 2, v17
	ds_read_b32 v17, v17
	s_waitcnt lgkmcnt(0)
	v_add_u32_e32 v17, v17, v0
	global_store_byte v17, v16, s[50:51]
	s_or_b64 exec, exec, s[38:39]
	v_cmp_lt_u32_e64 s[40:41], v19, v74
	s_and_saveexec_b64 s[38:39], s[40:41]
	s_cbranch_execz .LBB1640_80
.LBB1640_100:                           ;   in Loop: Header=BB1640_48 Depth=2
	ds_read_u8 v16, v0 offset:1280
	s_waitcnt lgkmcnt(0)
	v_and_b32_e32 v17, 1, v16
	v_lshrrev_b32_e32 v17, s7, v17
	v_and_b32_e32 v17, s58, v17
	v_lshlrev_b32_e32 v17, 2, v17
	ds_read_b32 v17, v17
	s_waitcnt lgkmcnt(0)
	v_add_u32_e32 v17, v17, v19
	global_store_byte v17, v16, s[50:51]
	s_or_b64 exec, exec, s[38:39]
	v_cmp_lt_u32_e64 s[38:39], v20, v74
	s_and_saveexec_b64 s[44:45], s[38:39]
	s_cbranch_execz .LBB1640_81
.LBB1640_101:                           ;   in Loop: Header=BB1640_48 Depth=2
	ds_read_u8 v16, v0 offset:1536
	s_waitcnt lgkmcnt(0)
	v_and_b32_e32 v17, 1, v16
	v_lshrrev_b32_e32 v17, s7, v17
	v_and_b32_e32 v17, s58, v17
	v_lshlrev_b32_e32 v17, 2, v17
	ds_read_b32 v17, v17
	s_waitcnt lgkmcnt(0)
	v_add_u32_e32 v17, v17, v20
	global_store_byte v17, v16, s[50:51]
	s_or_b64 exec, exec, s[44:45]
	v_cmp_lt_u32_e32 vcc, v21, v74
	s_and_saveexec_b64 s[44:45], vcc
	s_cbranch_execnz .LBB1640_82
	s_branch .LBB1640_83
.LBB1640_102:                           ;   in Loop: Header=BB1640_48 Depth=2
	global_load_dwordx2 v[11:12], v[16:17], off
	s_or_b64 exec, exec, s[44:45]
	v_cmp_lt_u32_e64 s[44:45], v61, v74
	s_and_saveexec_b64 s[54:55], s[44:45]
	s_cbranch_execz .LBB1640_85
.LBB1640_103:                           ;   in Loop: Header=BB1640_48 Depth=2
	global_load_dwordx2 v[9:10], v[16:17], off offset:512
	s_or_b64 exec, exec, s[54:55]
	v_cmp_lt_u32_e64 s[44:45], v62, v74
	s_and_saveexec_b64 s[54:55], s[44:45]
	s_cbranch_execz .LBB1640_86
.LBB1640_104:                           ;   in Loop: Header=BB1640_48 Depth=2
	global_load_dwordx2 v[7:8], v[16:17], off offset:1024
	s_or_b64 exec, exec, s[54:55]
	v_cmp_lt_u32_e64 s[44:45], v63, v74
	s_and_saveexec_b64 s[54:55], s[44:45]
	s_cbranch_execz .LBB1640_87
.LBB1640_105:                           ;   in Loop: Header=BB1640_48 Depth=2
	global_load_dwordx2 v[5:6], v[16:17], off offset:1536
	s_or_b64 exec, exec, s[54:55]
	s_and_saveexec_b64 s[44:45], s[42:43]
	s_cbranch_execz .LBB1640_88
.LBB1640_106:                           ;   in Loop: Header=BB1640_48 Depth=2
	ds_read_u8 v16, v0 offset:1024
	s_waitcnt lgkmcnt(0)
	v_lshrrev_b32_e32 v16, s7, v16
	v_and_b32_e32 v73, s58, v16
	s_or_b64 exec, exec, s[44:45]
	s_and_saveexec_b64 s[44:45], s[40:41]
	s_cbranch_execz .LBB1640_89
.LBB1640_107:                           ;   in Loop: Header=BB1640_48 Depth=2
	ds_read_u8 v16, v0 offset:1280
	s_waitcnt lgkmcnt(0)
	v_lshrrev_b32_e32 v16, s7, v16
	v_and_b32_e32 v72, s58, v16
	s_or_b64 exec, exec, s[44:45]
	s_and_saveexec_b64 s[44:45], s[38:39]
	s_cbranch_execz .LBB1640_90
.LBB1640_108:                           ;   in Loop: Header=BB1640_48 Depth=2
	ds_read_u8 v16, v0 offset:1536
	s_waitcnt lgkmcnt(0)
	v_lshrrev_b32_e32 v16, s7, v16
	v_and_b32_e32 v70, s58, v16
	s_or_b64 exec, exec, s[44:45]
	s_and_saveexec_b64 s[44:45], vcc
	s_cbranch_execnz .LBB1640_91
	s_branch .LBB1640_92
.LBB1640_109:                           ;   in Loop: Header=BB1640_48 Depth=2
	v_lshlrev_b32_e32 v3, 2, v73
	ds_read_b32 v3, v3
	v_add_u32_e32 v13, v0, v51
	ds_read_b64 v[13:14], v13 offset:1024
	v_mov_b32_e32 v17, s65
	s_waitcnt lgkmcnt(1)
	v_add_u32_e32 v3, v3, v0
	v_lshlrev_b64 v[15:16], 3, v[3:4]
	v_add_co_u32_e64 v15, s[42:43], s64, v15
	v_addc_co_u32_e64 v16, s[42:43], v17, v16, s[42:43]
	s_waitcnt lgkmcnt(0)
	global_store_dwordx2 v[15:16], v[13:14], off
	s_or_b64 exec, exec, s[44:45]
	s_and_saveexec_b64 s[42:43], s[40:41]
	s_cbranch_execz .LBB1640_94
.LBB1640_110:                           ;   in Loop: Header=BB1640_48 Depth=2
	v_lshlrev_b32_e32 v3, 2, v72
	ds_read_b32 v3, v3
	v_add_u32_e32 v13, v0, v51
	ds_read_b64 v[13:14], v13 offset:3072
	v_mov_b32_e32 v17, s65
	s_waitcnt lgkmcnt(1)
	v_add_u32_e32 v3, v3, v19
	v_lshlrev_b64 v[15:16], 3, v[3:4]
	v_add_co_u32_e64 v15, s[40:41], s64, v15
	v_addc_co_u32_e64 v16, s[40:41], v17, v16, s[40:41]
	s_waitcnt lgkmcnt(0)
	global_store_dwordx2 v[15:16], v[13:14], off
	s_or_b64 exec, exec, s[42:43]
	s_and_saveexec_b64 s[40:41], s[38:39]
	s_cbranch_execz .LBB1640_95
.LBB1640_111:                           ;   in Loop: Header=BB1640_48 Depth=2
	v_lshlrev_b32_e32 v3, 2, v70
	ds_read_b32 v3, v3
	v_add_u32_e32 v13, v0, v51
	ds_read_b64 v[13:14], v13 offset:5120
	v_mov_b32_e32 v17, s65
	s_waitcnt lgkmcnt(1)
	v_add_u32_e32 v3, v3, v20
	v_lshlrev_b64 v[15:16], 3, v[3:4]
	v_add_co_u32_e64 v15, s[38:39], s64, v15
	v_addc_co_u32_e64 v16, s[38:39], v17, v16, s[38:39]
	s_waitcnt lgkmcnt(0)
	global_store_dwordx2 v[15:16], v[13:14], off
	s_or_b64 exec, exec, s[40:41]
	s_and_saveexec_b64 s[38:39], vcc
	s_cbranch_execnz .LBB1640_96
	s_branch .LBB1640_97
.LBB1640_112:                           ;   in Loop: Header=BB1640_12 Depth=1
	s_waitcnt lgkmcnt(0)
	s_barrier
	s_mov_b64 s[18:19], 0
.LBB1640_113:                           ;   in Loop: Header=BB1640_12 Depth=1
	s_and_b64 vcc, exec, s[18:19]
	s_cbranch_vccz .LBB1640_213
; %bb.114:                              ;   in Loop: Header=BB1640_12 Depth=1
	v_mov_b32_e32 v3, 0
	s_mov_b32 s20, s71
	s_mov_b32 s22, s63
	v_mov_b32_e32 v7, 0
	v_mov_b32_e32 v6, 0
	;; [unrolled: 1-line block ×3, first 2 shown]
	s_barrier
	s_branch .LBB1640_116
.LBB1640_115:                           ;   in Loop: Header=BB1640_116 Depth=2
	s_or_b64 exec, exec, s[18:19]
	s_addk_i32 s20, 0xfc00
	s_cmp_ge_u32 s21, s74
	s_mov_b32 s22, s21
	s_cbranch_scc1 .LBB1640_136
.LBB1640_116:                           ;   Parent Loop BB1640_12 Depth=1
                                        ; =>  This Inner Loop Header: Depth=2
	s_add_i32 s21, s22, 0x400
	s_cmp_gt_u32 s21, s74
	s_mov_b64 s[18:19], -1
                                        ; implicit-def: $vgpr8
                                        ; implicit-def: $vgpr9
                                        ; implicit-def: $vgpr10
                                        ; implicit-def: $vgpr11
	s_cbranch_scc1 .LBB1640_118
; %bb.117:                              ;   in Loop: Header=BB1640_116 Depth=2
	v_add_co_u32_e32 v12, vcc, s22, v32
	v_addc_co_u32_e32 v13, vcc, 0, v33, vcc
	global_load_ubyte v11, v[12:13], off offset:768
	global_load_ubyte v10, v[12:13], off offset:512
	global_load_ubyte v9, v[12:13], off offset:256
	global_load_ubyte v8, v[12:13], off
	s_mov_b64 s[18:19], 0
.LBB1640_118:                           ;   in Loop: Header=BB1640_116 Depth=2
	s_andn2_b64 vcc, exec, s[18:19]
	s_movk_i32 s23, 0x400
	s_cbranch_vccnz .LBB1640_125
; %bb.119:                              ;   in Loop: Header=BB1640_116 Depth=2
	s_add_u32 s22, s50, s22
	s_addc_u32 s23, s51, 0
	v_cmp_gt_u32_e32 vcc, s20, v0
	s_and_saveexec_b64 s[18:19], vcc
	s_cbranch_execnz .LBB1640_133
; %bb.120:                              ;   in Loop: Header=BB1640_116 Depth=2
	s_or_b64 exec, exec, s[18:19]
	v_cmp_gt_u32_e32 vcc, s20, v19
	s_and_saveexec_b64 s[18:19], vcc
	s_cbranch_execnz .LBB1640_134
.LBB1640_121:                           ;   in Loop: Header=BB1640_116 Depth=2
	s_or_b64 exec, exec, s[18:19]
	v_cmp_gt_u32_e32 vcc, s20, v20
	s_and_saveexec_b64 s[18:19], vcc
	s_cbranch_execnz .LBB1640_135
.LBB1640_122:                           ;   in Loop: Header=BB1640_116 Depth=2
	s_or_b64 exec, exec, s[18:19]
	v_cmp_gt_u32_e32 vcc, s20, v21
	s_and_saveexec_b64 s[18:19], vcc
	s_cbranch_execz .LBB1640_124
.LBB1640_123:                           ;   in Loop: Header=BB1640_116 Depth=2
	v_mov_b32_e32 v5, s23
	s_waitcnt vmcnt(0)
	v_add_co_u32_e32 v8, vcc, s22, v0
	v_addc_co_u32_e32 v9, vcc, 0, v5, vcc
	global_load_ubyte v5, v[8:9], off offset:768
.LBB1640_124:                           ;   in Loop: Header=BB1640_116 Depth=2
	s_or_b64 exec, exec, s[18:19]
	s_mov_b32 s23, s20
	s_waitcnt vmcnt(0)
	v_mov_b32_e32 v8, v3
	v_mov_b32_e32 v9, v7
	;; [unrolled: 1-line block ×4, first 2 shown]
.LBB1640_125:                           ;   in Loop: Header=BB1640_116 Depth=2
	s_waitcnt vmcnt(3)
	v_mov_b32_e32 v5, v11
	s_waitcnt vmcnt(2)
	v_mov_b32_e32 v6, v10
	;; [unrolled: 2-line block ×4, first 2 shown]
	v_cmp_gt_u32_e32 vcc, s23, v0
	s_and_saveexec_b64 s[18:19], vcc
	s_cbranch_execnz .LBB1640_129
; %bb.126:                              ;   in Loop: Header=BB1640_116 Depth=2
	s_or_b64 exec, exec, s[18:19]
	v_cmp_gt_u32_e32 vcc, s23, v19
	s_and_saveexec_b64 s[18:19], vcc
	s_cbranch_execnz .LBB1640_130
.LBB1640_127:                           ;   in Loop: Header=BB1640_116 Depth=2
	s_or_b64 exec, exec, s[18:19]
	v_cmp_gt_u32_e32 vcc, s23, v20
	s_and_saveexec_b64 s[18:19], vcc
	s_cbranch_execnz .LBB1640_131
.LBB1640_128:                           ;   in Loop: Header=BB1640_116 Depth=2
	s_or_b64 exec, exec, s[18:19]
	v_cmp_gt_u32_e32 vcc, s23, v21
	s_and_saveexec_b64 s[18:19], vcc
	s_cbranch_execz .LBB1640_115
	s_branch .LBB1640_132
.LBB1640_129:                           ;   in Loop: Header=BB1640_116 Depth=2
	v_and_b32_e32 v8, 1, v3
	v_lshrrev_b32_e32 v8, s7, v8
	v_and_b32_e32 v8, s58, v8
	v_lshl_or_b32 v8, v8, 4, v24
	ds_add_u32 v8, v52
	s_or_b64 exec, exec, s[18:19]
	v_cmp_gt_u32_e32 vcc, s23, v19
	s_and_saveexec_b64 s[18:19], vcc
	s_cbranch_execz .LBB1640_127
.LBB1640_130:                           ;   in Loop: Header=BB1640_116 Depth=2
	v_and_b32_e32 v8, 1, v7
	v_lshrrev_b32_e32 v8, s7, v8
	v_and_b32_e32 v8, s58, v8
	v_lshl_or_b32 v8, v8, 4, v24
	ds_add_u32 v8, v52
	s_or_b64 exec, exec, s[18:19]
	v_cmp_gt_u32_e32 vcc, s23, v20
	s_and_saveexec_b64 s[18:19], vcc
	s_cbranch_execz .LBB1640_128
.LBB1640_131:                           ;   in Loop: Header=BB1640_116 Depth=2
	v_and_b32_e32 v8, 1, v6
	v_lshrrev_b32_e32 v8, s7, v8
	v_and_b32_e32 v8, s58, v8
	v_lshl_or_b32 v8, v8, 4, v24
	ds_add_u32 v8, v52
	s_or_b64 exec, exec, s[18:19]
	v_cmp_gt_u32_e32 vcc, s23, v21
	s_and_saveexec_b64 s[18:19], vcc
	s_cbranch_execz .LBB1640_115
.LBB1640_132:                           ;   in Loop: Header=BB1640_116 Depth=2
	v_and_b32_e32 v8, 1, v5
	v_lshrrev_b32_e32 v8, s7, v8
	v_and_b32_e32 v8, s58, v8
	v_lshl_or_b32 v8, v8, 4, v24
	ds_add_u32 v8, v52
	s_branch .LBB1640_115
.LBB1640_133:                           ;   in Loop: Header=BB1640_116 Depth=2
	v_mov_b32_e32 v3, s23
	s_waitcnt vmcnt(0)
	v_add_co_u32_e32 v8, vcc, s22, v0
	v_addc_co_u32_e32 v9, vcc, 0, v3, vcc
	global_load_ubyte v3, v[8:9], off
	s_or_b64 exec, exec, s[18:19]
	v_cmp_gt_u32_e32 vcc, s20, v19
	s_and_saveexec_b64 s[18:19], vcc
	s_cbranch_execz .LBB1640_121
.LBB1640_134:                           ;   in Loop: Header=BB1640_116 Depth=2
	s_waitcnt vmcnt(0)
	v_mov_b32_e32 v8, s23
	v_add_co_u32_e32 v7, vcc, s22, v0
	v_addc_co_u32_e32 v8, vcc, 0, v8, vcc
	global_load_ubyte v7, v[7:8], off offset:256
	s_or_b64 exec, exec, s[18:19]
	v_cmp_gt_u32_e32 vcc, s20, v20
	s_and_saveexec_b64 s[18:19], vcc
	s_cbranch_execz .LBB1640_122
.LBB1640_135:                           ;   in Loop: Header=BB1640_116 Depth=2
	v_mov_b32_e32 v6, s23
	s_waitcnt vmcnt(0)
	v_add_co_u32_e32 v8, vcc, s22, v0
	v_addc_co_u32_e32 v9, vcc, 0, v6, vcc
	global_load_ubyte v6, v[8:9], off offset:512
	s_or_b64 exec, exec, s[18:19]
	v_cmp_gt_u32_e32 vcc, s20, v21
	s_and_saveexec_b64 s[18:19], vcc
	s_cbranch_execnz .LBB1640_123
	s_branch .LBB1640_124
.LBB1640_136:                           ;   in Loop: Header=BB1640_12 Depth=1
	v_mov_b32_e32 v3, 0
	s_waitcnt lgkmcnt(0)
	s_barrier
	s_and_saveexec_b64 s[18:19], s[4:5]
	s_cbranch_execz .LBB1640_138
; %bb.137:                              ;   in Loop: Header=BB1640_12 Depth=1
	ds_read2_b64 v[5:8], v25 offset1:1
	s_waitcnt lgkmcnt(0)
	v_add_u32_e32 v3, v6, v5
	v_add3_u32 v3, v3, v7, v8
.LBB1640_138:                           ;   in Loop: Header=BB1640_12 Depth=1
	s_or_b64 exec, exec, s[18:19]
	s_nop 0
	v_mov_b32_dpp v5, v3 row_shr:1 row_mask:0xf bank_mask:0xf
	v_cmp_eq_u32_e64 s[18:19], 0, v55
	v_cndmask_b32_e64 v5, v5, 0, s[18:19]
	v_add_u32_e32 v3, v5, v3
	v_cmp_lt_u32_e64 s[20:21], 1, v55
	v_cmp_lt_u32_e64 s[22:23], 3, v55
	v_mov_b32_dpp v5, v3 row_shr:2 row_mask:0xf bank_mask:0xf
	v_cndmask_b32_e64 v5, 0, v5, s[20:21]
	v_add_u32_e32 v3, v3, v5
	v_cmp_lt_u32_e64 s[24:25], 7, v55
	v_cmp_lt_u32_e64 s[28:29], 31, v44
	v_mov_b32_dpp v5, v3 row_shr:4 row_mask:0xf bank_mask:0xf
	v_cndmask_b32_e64 v5, 0, v5, s[22:23]
	v_add_u32_e32 v3, v3, v5
	v_cmp_eq_u32_e64 s[26:27], 0, v57
	s_nop 0
	v_mov_b32_dpp v5, v3 row_shr:8 row_mask:0xf bank_mask:0xf
	v_cndmask_b32_e64 v5, 0, v5, s[24:25]
	v_add_u32_e32 v3, v3, v5
	s_nop 1
	v_mov_b32_dpp v5, v3 row_bcast:15 row_mask:0xf bank_mask:0xf
	v_and_b32_e32 v5, v56, v5
	v_add_u32_e32 v3, v3, v5
	s_nop 1
	v_mov_b32_dpp v5, v3 row_bcast:31 row_mask:0xf bank_mask:0xf
	v_cndmask_b32_e64 v5, 0, v5, s[28:29]
	v_add_u32_e32 v3, v3, v5
	s_and_saveexec_b64 s[30:31], s[8:9]
; %bb.139:                              ;   in Loop: Header=BB1640_12 Depth=1
	ds_write_b32 v48, v3
; %bb.140:                              ;   in Loop: Header=BB1640_12 Depth=1
	s_or_b64 exec, exec, s[30:31]
	s_waitcnt lgkmcnt(0)
	s_barrier
	s_and_saveexec_b64 s[30:31], s[10:11]
	s_cbranch_execz .LBB1640_142
; %bb.141:                              ;   in Loop: Header=BB1640_12 Depth=1
	ds_read_b32 v5, v49
	v_cmp_ne_u32_e32 vcc, 0, v58
	s_waitcnt lgkmcnt(0)
	v_mov_b32_dpp v6, v5 row_shr:1 row_mask:0xf bank_mask:0xf
	v_cndmask_b32_e32 v6, 0, v6, vcc
	v_add_u32_e32 v5, v6, v5
	v_cmp_lt_u32_e32 vcc, 1, v58
	s_nop 0
	v_mov_b32_dpp v6, v5 row_shr:2 row_mask:0xf bank_mask:0xf
	v_cndmask_b32_e32 v6, 0, v6, vcc
	v_add_u32_e32 v5, v5, v6
	ds_write_b32 v49, v5
.LBB1640_142:                           ;   in Loop: Header=BB1640_12 Depth=1
	s_or_b64 exec, exec, s[30:31]
	v_mov_b32_e32 v5, 0
	s_waitcnt lgkmcnt(0)
	s_barrier
	s_and_saveexec_b64 s[30:31], s[12:13]
; %bb.143:                              ;   in Loop: Header=BB1640_12 Depth=1
	ds_read_b32 v5, v50
; %bb.144:                              ;   in Loop: Header=BB1640_12 Depth=1
	s_or_b64 exec, exec, s[30:31]
	v_subrev_co_u32_e64 v6, s[30:31], 1, v44
	v_cmp_lt_i32_e32 vcc, v6, v59
	v_cndmask_b32_e32 v6, v6, v44, vcc
	s_waitcnt lgkmcnt(0)
	v_add_u32_e32 v3, v5, v3
	v_lshlrev_b32_e32 v64, 2, v6
	ds_bpermute_b32 v3, v64, v3
	s_waitcnt lgkmcnt(0)
	s_barrier
	s_and_saveexec_b64 s[34:35], s[4:5]
; %bb.145:                              ;   in Loop: Header=BB1640_12 Depth=1
	v_cndmask_b32_e64 v3, v3, v5, s[30:31]
	v_add_u32_e32 v3, s63, v3
	ds_write_b32 v18, v3
; %bb.146:                              ;   in Loop: Header=BB1640_12 Depth=1
	s_or_b64 exec, exec, s[34:35]
	s_load_dwordx2 s[34:35], s[46:47], 0x0
	v_add_co_u32_e32 v65, vcc, v34, v60
	v_addc_co_u32_e32 v66, vcc, 0, v35, vcc
	s_waitcnt lgkmcnt(0)
	s_cmp_lt_u32 s33, s35
	s_cselect_b32 s35, 14, 20
	s_add_u32 s36, s46, s35
	s_addc_u32 s37, s47, 0
	s_cmp_lt_u32 s6, s34
	s_cselect_b32 s34, 12, 18
	s_add_u32 s34, s46, s34
	global_load_ushort v3, v4, s[36:37]
	s_addc_u32 s35, s47, 0
	global_load_ushort v5, v4, s[34:35]
	v_add_co_u32_e32 v67, vcc, v36, v45
	v_cmp_eq_u32_e64 s[34:35], 0, v58
	v_cmp_lt_u32_e64 s[36:37], 1, v58
	v_addc_co_u32_e32 v68, vcc, 0, v37, vcc
	s_mov_b32 s59, s71
	s_mov_b32 s56, s63
                                        ; implicit-def: $vgpr7_vgpr8
                                        ; implicit-def: $vgpr9_vgpr10
                                        ; implicit-def: $vgpr11_vgpr12
                                        ; implicit-def: $vgpr69
                                        ; implicit-def: $vgpr70
                                        ; implicit-def: $vgpr72
                                        ; implicit-def: $vgpr73
	s_waitcnt vmcnt(1)
	v_mad_u32_u24 v3, v2, v3, v1
	s_waitcnt vmcnt(0)
	v_mad_u64_u32 v[13:14], s[38:39], v3, v5, v[0:1]
                                        ; implicit-def: $vgpr5_vgpr6
	v_lshrrev_b32_e32 v3, 4, v13
	v_and_b32_e32 v71, 0xffffffc, v3
	s_branch .LBB1640_148
.LBB1640_147:                           ;   in Loop: Header=BB1640_148 Depth=2
	s_or_b64 exec, exec, s[38:39]
	s_addk_i32 s59, 0xfc00
	s_cmp_lt_u32 s60, s74
	s_mov_b32 s56, s60
	s_cbranch_scc0 .LBB1640_212
.LBB1640_148:                           ;   Parent Loop BB1640_12 Depth=1
                                        ; =>  This Inner Loop Header: Depth=2
	s_add_i32 s60, s56, 0x400
	s_cmp_gt_u32 s60, s74
	s_cbranch_scc1 .LBB1640_150
; %bb.149:                              ;   in Loop: Header=BB1640_148 Depth=2
	v_add_co_u32_e32 v13, vcc, s56, v67
	v_addc_co_u32_e32 v14, vcc, 0, v68, vcc
	global_load_ubyte v17, v[13:14], off
	global_load_ubyte v75, v[13:14], off offset:64
	global_load_ubyte v76, v[13:14], off offset:128
	s_mov_b64 s[38:39], -1
	s_movk_i32 s42, 0x400
	s_cbranch_execz .LBB1640_151
	s_branch .LBB1640_158
.LBB1640_150:                           ;   in Loop: Header=BB1640_148 Depth=2
	s_mov_b64 s[38:39], 0
                                        ; implicit-def: $vgpr17
                                        ; implicit-def: $vgpr75
                                        ; implicit-def: $vgpr76
	s_movk_i32 s42, 0x400
.LBB1640_151:                           ;   in Loop: Header=BB1640_148 Depth=2
	v_add_co_u32_e32 v13, vcc, s56, v67
	v_addc_co_u32_e32 v14, vcc, 0, v68, vcc
	v_cmp_gt_u32_e32 vcc, s59, v46
	s_waitcnt vmcnt(1)
	v_mov_b32_e32 v75, 1
	v_mov_b32_e32 v17, 1
	s_and_saveexec_b64 s[38:39], vcc
	s_cbranch_execz .LBB1640_153
; %bb.152:                              ;   in Loop: Header=BB1640_148 Depth=2
	global_load_ubyte v17, v[13:14], off
.LBB1640_153:                           ;   in Loop: Header=BB1640_148 Depth=2
	s_or_b64 exec, exec, s[38:39]
	v_cmp_gt_u32_e32 vcc, s59, v61
	s_and_saveexec_b64 s[38:39], vcc
	s_cbranch_execz .LBB1640_155
; %bb.154:                              ;   in Loop: Header=BB1640_148 Depth=2
	global_load_ubyte v75, v[13:14], off offset:64
.LBB1640_155:                           ;   in Loop: Header=BB1640_148 Depth=2
	s_or_b64 exec, exec, s[38:39]
	v_cmp_gt_u32_e32 vcc, s59, v62
	s_waitcnt vmcnt(0)
	v_mov_b32_e32 v76, 1
	s_and_saveexec_b64 s[38:39], vcc
	s_cbranch_execz .LBB1640_157
; %bb.156:                              ;   in Loop: Header=BB1640_148 Depth=2
	global_load_ubyte v76, v[13:14], off offset:128
.LBB1640_157:                           ;   in Loop: Header=BB1640_148 Depth=2
	s_or_b64 exec, exec, s[38:39]
	s_sub_i32 s42, s74, s56
	v_cmp_gt_u32_e64 s[38:39], s59, v63
.LBB1640_158:                           ;   in Loop: Header=BB1640_148 Depth=2
	v_mov_b32_e32 v78, 1
	v_mov_b32_e32 v74, s59
	s_and_saveexec_b64 s[40:41], s[38:39]
	s_cbranch_execz .LBB1640_160
; %bb.159:                              ;   in Loop: Header=BB1640_148 Depth=2
	v_mov_b32_e32 v3, s57
	v_add_co_u32_e32 v13, vcc, s56, v67
	v_addc_co_u32_e32 v14, vcc, v68, v3, vcc
	global_load_ubyte v78, v[13:14], off offset:192
	v_mov_b32_e32 v74, s42
.LBB1640_160:                           ;   in Loop: Header=BB1640_148 Depth=2
	s_or_b64 exec, exec, s[40:41]
	s_waitcnt vmcnt(2)
	v_lshrrev_b32_sdwa v3, s7, v17 dst_sel:DWORD dst_unused:UNUSED_PAD src0_sel:DWORD src1_sel:BYTE_0
	v_and_b32_e32 v3, s58, v3
	v_mul_u32_u24_e32 v15, 20, v3
	v_cmp_ne_u32_e32 vcc, 0, v3
	v_add_co_u32_e64 v3, s[38:39], -1, v3
	v_addc_co_u32_e64 v13, s[38:39], 0, -1, s[38:39]
	v_xor_b32_e32 v13, vcc_hi, v13
	v_xor_b32_e32 v3, vcc_lo, v3
	v_and_b32_e32 v14, exec_hi, v13
	v_and_b32_e32 v13, exec_lo, v3
	v_mbcnt_lo_u32_b32 v3, v13, 0
	v_mbcnt_hi_u32_b32 v3, v14, v3
	v_cmp_ne_u64_e32 vcc, 0, v[13:14]
	v_cmp_eq_u32_e64 s[38:39], 0, v3
	s_and_b64 s[40:41], vcc, s[38:39]
	v_add_u32_e32 v77, v71, v15
	ds_write2_b32 v53, v4, v4 offset1:1
	ds_write2_b32 v54, v4, v4 offset1:1
	ds_write_b32 v27, v4 offset:1056
	s_waitcnt vmcnt(0) lgkmcnt(0)
	s_barrier
	; wave barrier
	s_and_saveexec_b64 s[38:39], s[40:41]
; %bb.161:                              ;   in Loop: Header=BB1640_148 Depth=2
	v_bcnt_u32_b32 v13, v13, 0
	v_bcnt_u32_b32 v13, v14, v13
	ds_write_b32 v77, v13 offset:1040
; %bb.162:                              ;   in Loop: Header=BB1640_148 Depth=2
	s_or_b64 exec, exec, s[38:39]
	v_lshrrev_b32_sdwa v13, s7, v75 dst_sel:DWORD dst_unused:UNUSED_PAD src0_sel:DWORD src1_sel:BYTE_0
	v_and_b32_e32 v13, s58, v13
	v_mul_u32_u24_e32 v15, 20, v13
	v_mad_u32_u24 v14, v13, 20, v71
	v_cmp_ne_u32_e32 vcc, 0, v13
	v_add_co_u32_e64 v13, s[38:39], -1, v13
	; wave barrier
	ds_read_b32 v79, v14 offset:1040
	v_addc_co_u32_e64 v14, s[38:39], 0, -1, s[38:39]
	v_xor_b32_e32 v13, vcc_lo, v13
	v_xor_b32_e32 v14, vcc_hi, v14
	v_and_b32_e32 v13, exec_lo, v13
	v_and_b32_e32 v14, exec_hi, v14
	v_mbcnt_lo_u32_b32 v16, v13, 0
	v_mbcnt_hi_u32_b32 v80, v14, v16
	v_cmp_ne_u64_e32 vcc, 0, v[13:14]
	v_cmp_eq_u32_e64 s[38:39], 0, v80
	s_and_b64 s[40:41], vcc, s[38:39]
	v_add_u32_e32 v82, v71, v15
	; wave barrier
	s_and_saveexec_b64 s[38:39], s[40:41]
	s_cbranch_execz .LBB1640_164
; %bb.163:                              ;   in Loop: Header=BB1640_148 Depth=2
	v_bcnt_u32_b32 v13, v13, 0
	v_bcnt_u32_b32 v13, v14, v13
	s_waitcnt lgkmcnt(0)
	v_add_u32_e32 v13, v79, v13
	ds_write_b32 v82, v13 offset:1040
.LBB1640_164:                           ;   in Loop: Header=BB1640_148 Depth=2
	s_or_b64 exec, exec, s[38:39]
	v_lshrrev_b32_sdwa v13, s7, v76 dst_sel:DWORD dst_unused:UNUSED_PAD src0_sel:DWORD src1_sel:BYTE_0
	v_and_b32_e32 v13, s58, v13
	v_mul_u32_u24_e32 v15, 20, v13
	v_mad_u32_u24 v14, v13, 20, v71
	v_cmp_ne_u32_e32 vcc, 0, v13
	v_add_co_u32_e64 v13, s[38:39], -1, v13
	; wave barrier
	ds_read_b32 v81, v14 offset:1040
	v_addc_co_u32_e64 v14, s[38:39], 0, -1, s[38:39]
	v_xor_b32_e32 v13, vcc_lo, v13
	v_xor_b32_e32 v14, vcc_hi, v14
	v_and_b32_e32 v13, exec_lo, v13
	v_and_b32_e32 v14, exec_hi, v14
	v_mbcnt_lo_u32_b32 v16, v13, 0
	v_mbcnt_hi_u32_b32 v83, v14, v16
	v_cmp_ne_u64_e32 vcc, 0, v[13:14]
	v_cmp_eq_u32_e64 s[38:39], 0, v83
	s_and_b64 s[40:41], vcc, s[38:39]
	v_add_u32_e32 v85, v71, v15
	; wave barrier
	s_and_saveexec_b64 s[38:39], s[40:41]
	s_cbranch_execz .LBB1640_166
; %bb.165:                              ;   in Loop: Header=BB1640_148 Depth=2
	v_bcnt_u32_b32 v13, v13, 0
	v_bcnt_u32_b32 v13, v14, v13
	s_waitcnt lgkmcnt(0)
	v_add_u32_e32 v13, v81, v13
	ds_write_b32 v85, v13 offset:1040
.LBB1640_166:                           ;   in Loop: Header=BB1640_148 Depth=2
	;; [unrolled: 30-line block ×3, first 2 shown]
	s_or_b64 exec, exec, s[38:39]
	; wave barrier
	s_waitcnt lgkmcnt(0)
	s_barrier
	ds_read2_b32 v[15:16], v53 offset1:1
	ds_read2_b32 v[13:14], v54 offset1:1
	ds_read_b32 v88, v27 offset:1056
	s_waitcnt lgkmcnt(1)
	v_add3_u32 v89, v16, v15, v13
	s_waitcnt lgkmcnt(0)
	v_add3_u32 v88, v89, v14, v88
	s_nop 1
	v_mov_b32_dpp v89, v88 row_shr:1 row_mask:0xf bank_mask:0xf
	v_cndmask_b32_e64 v89, v89, 0, s[18:19]
	v_add_u32_e32 v88, v89, v88
	s_nop 1
	v_mov_b32_dpp v89, v88 row_shr:2 row_mask:0xf bank_mask:0xf
	v_cndmask_b32_e64 v89, 0, v89, s[20:21]
	v_add_u32_e32 v88, v88, v89
	;; [unrolled: 4-line block ×4, first 2 shown]
	s_nop 1
	v_mov_b32_dpp v89, v88 row_bcast:15 row_mask:0xf bank_mask:0xf
	v_cndmask_b32_e64 v89, v89, 0, s[26:27]
	v_add_u32_e32 v88, v88, v89
	s_nop 1
	v_mov_b32_dpp v89, v88 row_bcast:31 row_mask:0xf bank_mask:0xf
	v_cndmask_b32_e64 v89, 0, v89, s[28:29]
	v_add_u32_e32 v88, v88, v89
	s_and_saveexec_b64 s[38:39], s[8:9]
; %bb.169:                              ;   in Loop: Header=BB1640_148 Depth=2
	ds_write_b32 v26, v88 offset:1024
; %bb.170:                              ;   in Loop: Header=BB1640_148 Depth=2
	s_or_b64 exec, exec, s[38:39]
	s_waitcnt lgkmcnt(0)
	s_barrier
	s_and_saveexec_b64 s[38:39], s[10:11]
	s_cbranch_execz .LBB1640_172
; %bb.171:                              ;   in Loop: Header=BB1640_148 Depth=2
	ds_read_b32 v89, v47 offset:1024
	s_waitcnt lgkmcnt(0)
	s_nop 0
	v_mov_b32_dpp v90, v89 row_shr:1 row_mask:0xf bank_mask:0xf
	v_cndmask_b32_e64 v90, v90, 0, s[34:35]
	v_add_u32_e32 v89, v90, v89
	s_nop 1
	v_mov_b32_dpp v90, v89 row_shr:2 row_mask:0xf bank_mask:0xf
	v_cndmask_b32_e64 v90, 0, v90, s[36:37]
	v_add_u32_e32 v89, v89, v90
	ds_write_b32 v47, v89 offset:1024
.LBB1640_172:                           ;   in Loop: Header=BB1640_148 Depth=2
	s_or_b64 exec, exec, s[38:39]
	v_mov_b32_e32 v89, 0
	s_waitcnt lgkmcnt(0)
	s_barrier
	s_and_saveexec_b64 s[38:39], s[12:13]
; %bb.173:                              ;   in Loop: Header=BB1640_148 Depth=2
	ds_read_b32 v89, v26 offset:1020
; %bb.174:                              ;   in Loop: Header=BB1640_148 Depth=2
	s_or_b64 exec, exec, s[38:39]
	s_waitcnt lgkmcnt(0)
	v_add_u32_e32 v88, v89, v88
	ds_bpermute_b32 v88, v64, v88
	s_waitcnt lgkmcnt(0)
	v_cndmask_b32_e64 v88, v88, v89, s[30:31]
	v_cndmask_b32_e64 v88, v88, 0, s[14:15]
	v_add_u32_e32 v15, v88, v15
	v_add_u32_e32 v16, v15, v16
	;; [unrolled: 1-line block ×4, first 2 shown]
	ds_write2_b32 v53, v88, v15 offset1:1
	ds_write2_b32 v54, v16, v13 offset1:1
	ds_write_b32 v27, v14 offset:1056
	s_waitcnt lgkmcnt(0)
	s_barrier
	ds_read_b32 v13, v77 offset:1040
	ds_read_b32 v14, v82 offset:1040
	;; [unrolled: 1-line block ×5, first 2 shown]
	v_mov_b32_e32 v77, 0x400
	s_and_saveexec_b64 s[38:39], s[16:17]
; %bb.175:                              ;   in Loop: Header=BB1640_148 Depth=2
	ds_read_b32 v77, v27 offset:1060
; %bb.176:                              ;   in Loop: Header=BB1640_148 Depth=2
	s_or_b64 exec, exec, s[38:39]
	s_waitcnt lgkmcnt(0)
	s_barrier
	s_and_saveexec_b64 s[38:39], s[4:5]
	s_cbranch_execz .LBB1640_178
; %bb.177:                              ;   in Loop: Header=BB1640_148 Depth=2
	ds_read_b32 v85, v18
	s_waitcnt lgkmcnt(0)
	v_sub_u32_e32 v15, v85, v15
	ds_write_b32 v18, v15
.LBB1640_178:                           ;   in Loop: Header=BB1640_148 Depth=2
	s_or_b64 exec, exec, s[38:39]
	v_add_u32_e32 v15, v13, v3
	v_add3_u32 v14, v80, v79, v14
	v_add3_u32 v13, v83, v81, v16
	;; [unrolled: 1-line block ×3, first 2 shown]
	v_cmp_lt_u32_e64 s[42:43], v0, v74
	ds_write_b8 v15, v17 offset:1024
	ds_write_b8 v14, v75 offset:1024
	;; [unrolled: 1-line block ×4, first 2 shown]
	s_waitcnt lgkmcnt(0)
	s_barrier
	s_and_saveexec_b64 s[38:39], s[42:43]
	s_cbranch_execnz .LBB1640_199
; %bb.179:                              ;   in Loop: Header=BB1640_148 Depth=2
	s_or_b64 exec, exec, s[38:39]
	v_cmp_lt_u32_e64 s[40:41], v19, v74
	s_and_saveexec_b64 s[38:39], s[40:41]
	s_cbranch_execnz .LBB1640_200
.LBB1640_180:                           ;   in Loop: Header=BB1640_148 Depth=2
	s_or_b64 exec, exec, s[38:39]
	v_cmp_lt_u32_e64 s[38:39], v20, v74
	s_and_saveexec_b64 s[44:45], s[38:39]
	s_cbranch_execnz .LBB1640_201
.LBB1640_181:                           ;   in Loop: Header=BB1640_148 Depth=2
	s_or_b64 exec, exec, s[44:45]
	v_cmp_lt_u32_e32 vcc, v21, v74
	s_and_saveexec_b64 s[44:45], vcc
	s_cbranch_execz .LBB1640_183
.LBB1640_182:                           ;   in Loop: Header=BB1640_148 Depth=2
	ds_read_u8 v16, v0 offset:1792
	s_waitcnt lgkmcnt(0)
	v_and_b32_e32 v17, 1, v16
	v_lshrrev_b32_e32 v17, s7, v17
	v_and_b32_e32 v17, s58, v17
	v_lshlrev_b32_e32 v17, 2, v17
	ds_read_b32 v17, v17
	s_waitcnt lgkmcnt(0)
	v_add_u32_e32 v17, v17, v21
	global_store_byte v17, v16, s[52:53]
.LBB1640_183:                           ;   in Loop: Header=BB1640_148 Depth=2
	s_or_b64 exec, exec, s[44:45]
	s_lshl_b64 s[44:45], s[56:57], 3
	v_mov_b32_e32 v17, s45
	v_add_co_u32_e64 v16, s[44:45], s44, v65
	v_addc_co_u32_e64 v17, s[44:45], v66, v17, s[44:45]
	v_cmp_lt_u32_e64 s[44:45], v46, v74
	s_and_saveexec_b64 s[54:55], s[44:45]
	s_xor_b64 s[44:45], exec, s[54:55]
	s_cbranch_execnz .LBB1640_202
; %bb.184:                              ;   in Loop: Header=BB1640_148 Depth=2
	s_or_b64 exec, exec, s[44:45]
	v_cmp_lt_u32_e64 s[44:45], v61, v74
	s_and_saveexec_b64 s[54:55], s[44:45]
	s_cbranch_execnz .LBB1640_203
.LBB1640_185:                           ;   in Loop: Header=BB1640_148 Depth=2
	s_or_b64 exec, exec, s[54:55]
	v_cmp_lt_u32_e64 s[44:45], v62, v74
	s_and_saveexec_b64 s[54:55], s[44:45]
	s_cbranch_execnz .LBB1640_204
.LBB1640_186:                           ;   in Loop: Header=BB1640_148 Depth=2
	s_or_b64 exec, exec, s[54:55]
	v_cmp_lt_u32_e64 s[44:45], v63, v74
	s_and_saveexec_b64 s[54:55], s[44:45]
	s_cbranch_execnz .LBB1640_205
.LBB1640_187:                           ;   in Loop: Header=BB1640_148 Depth=2
	s_or_b64 exec, exec, s[54:55]
	s_and_saveexec_b64 s[44:45], s[42:43]
	s_cbranch_execnz .LBB1640_206
.LBB1640_188:                           ;   in Loop: Header=BB1640_148 Depth=2
	s_or_b64 exec, exec, s[44:45]
	s_and_saveexec_b64 s[44:45], s[40:41]
	s_cbranch_execnz .LBB1640_207
.LBB1640_189:                           ;   in Loop: Header=BB1640_148 Depth=2
	s_or_b64 exec, exec, s[44:45]
	s_and_saveexec_b64 s[44:45], s[38:39]
	s_cbranch_execnz .LBB1640_208
.LBB1640_190:                           ;   in Loop: Header=BB1640_148 Depth=2
	s_or_b64 exec, exec, s[44:45]
	s_and_saveexec_b64 s[44:45], vcc
	s_cbranch_execz .LBB1640_192
.LBB1640_191:                           ;   in Loop: Header=BB1640_148 Depth=2
	ds_read_u8 v16, v0 offset:1792
	s_waitcnt lgkmcnt(0)
	v_lshrrev_b32_e32 v16, s7, v16
	v_and_b32_e32 v69, s58, v16
.LBB1640_192:                           ;   in Loop: Header=BB1640_148 Depth=2
	s_or_b64 exec, exec, s[44:45]
	v_mad_u64_u32 v[15:16], s[44:45], v15, 7, v[15:16]
	v_mad_u64_u32 v[74:75], s[44:45], v3, 7, v[3:4]
	;; [unrolled: 1-line block ×4, first 2 shown]
	s_waitcnt vmcnt(0)
	s_barrier
	ds_write_b64 v15, v[11:12] offset:1024
	ds_write_b64 v16, v[9:10] offset:1024
	ds_write_b64 v13, v[7:8] offset:1024
	ds_write_b64 v74, v[5:6] offset:1024
	s_waitcnt lgkmcnt(0)
	s_barrier
	s_and_saveexec_b64 s[44:45], s[42:43]
	s_cbranch_execnz .LBB1640_209
; %bb.193:                              ;   in Loop: Header=BB1640_148 Depth=2
	s_or_b64 exec, exec, s[44:45]
	s_and_saveexec_b64 s[42:43], s[40:41]
	s_cbranch_execnz .LBB1640_210
.LBB1640_194:                           ;   in Loop: Header=BB1640_148 Depth=2
	s_or_b64 exec, exec, s[42:43]
	s_and_saveexec_b64 s[40:41], s[38:39]
	s_cbranch_execnz .LBB1640_211
.LBB1640_195:                           ;   in Loop: Header=BB1640_148 Depth=2
	s_or_b64 exec, exec, s[40:41]
	s_and_saveexec_b64 s[38:39], vcc
	s_cbranch_execz .LBB1640_197
.LBB1640_196:                           ;   in Loop: Header=BB1640_148 Depth=2
	v_lshlrev_b32_e32 v3, 2, v69
	ds_read_b32 v3, v3
	v_add_u32_e32 v13, v0, v51
	ds_read_b64 v[13:14], v13 offset:7168
	v_mov_b32_e32 v17, s67
	s_waitcnt lgkmcnt(1)
	v_add_u32_e32 v3, v3, v21
	v_lshlrev_b64 v[15:16], 3, v[3:4]
	v_add_co_u32_e32 v15, vcc, s66, v15
	v_addc_co_u32_e32 v16, vcc, v17, v16, vcc
	s_waitcnt lgkmcnt(0)
	global_store_dwordx2 v[15:16], v[13:14], off
.LBB1640_197:                           ;   in Loop: Header=BB1640_148 Depth=2
	s_or_b64 exec, exec, s[38:39]
	s_waitcnt vmcnt(0)
	s_barrier
	s_and_saveexec_b64 s[38:39], s[4:5]
	s_cbranch_execz .LBB1640_147
; %bb.198:                              ;   in Loop: Header=BB1640_148 Depth=2
	ds_read_b32 v3, v18
	s_waitcnt lgkmcnt(0)
	v_add_u32_e32 v3, v3, v77
	ds_write_b32 v18, v3
	s_branch .LBB1640_147
.LBB1640_199:                           ;   in Loop: Header=BB1640_148 Depth=2
	ds_read_u8 v16, v0 offset:1024
	s_waitcnt lgkmcnt(0)
	v_and_b32_e32 v17, 1, v16
	v_lshrrev_b32_e32 v17, s7, v17
	v_and_b32_e32 v17, s58, v17
	v_lshlrev_b32_e32 v17, 2, v17
	ds_read_b32 v17, v17
	s_waitcnt lgkmcnt(0)
	v_add_u32_e32 v17, v17, v0
	global_store_byte v17, v16, s[52:53]
	s_or_b64 exec, exec, s[38:39]
	v_cmp_lt_u32_e64 s[40:41], v19, v74
	s_and_saveexec_b64 s[38:39], s[40:41]
	s_cbranch_execz .LBB1640_180
.LBB1640_200:                           ;   in Loop: Header=BB1640_148 Depth=2
	ds_read_u8 v16, v0 offset:1280
	s_waitcnt lgkmcnt(0)
	v_and_b32_e32 v17, 1, v16
	v_lshrrev_b32_e32 v17, s7, v17
	v_and_b32_e32 v17, s58, v17
	v_lshlrev_b32_e32 v17, 2, v17
	ds_read_b32 v17, v17
	s_waitcnt lgkmcnt(0)
	v_add_u32_e32 v17, v17, v19
	global_store_byte v17, v16, s[52:53]
	s_or_b64 exec, exec, s[38:39]
	v_cmp_lt_u32_e64 s[38:39], v20, v74
	s_and_saveexec_b64 s[44:45], s[38:39]
	s_cbranch_execz .LBB1640_181
.LBB1640_201:                           ;   in Loop: Header=BB1640_148 Depth=2
	ds_read_u8 v16, v0 offset:1536
	s_waitcnt lgkmcnt(0)
	v_and_b32_e32 v17, 1, v16
	v_lshrrev_b32_e32 v17, s7, v17
	v_and_b32_e32 v17, s58, v17
	v_lshlrev_b32_e32 v17, 2, v17
	ds_read_b32 v17, v17
	s_waitcnt lgkmcnt(0)
	v_add_u32_e32 v17, v17, v20
	global_store_byte v17, v16, s[52:53]
	s_or_b64 exec, exec, s[44:45]
	v_cmp_lt_u32_e32 vcc, v21, v74
	s_and_saveexec_b64 s[44:45], vcc
	s_cbranch_execnz .LBB1640_182
	s_branch .LBB1640_183
.LBB1640_202:                           ;   in Loop: Header=BB1640_148 Depth=2
	global_load_dwordx2 v[11:12], v[16:17], off
	s_or_b64 exec, exec, s[44:45]
	v_cmp_lt_u32_e64 s[44:45], v61, v74
	s_and_saveexec_b64 s[54:55], s[44:45]
	s_cbranch_execz .LBB1640_185
.LBB1640_203:                           ;   in Loop: Header=BB1640_148 Depth=2
	global_load_dwordx2 v[9:10], v[16:17], off offset:512
	s_or_b64 exec, exec, s[54:55]
	v_cmp_lt_u32_e64 s[44:45], v62, v74
	s_and_saveexec_b64 s[54:55], s[44:45]
	s_cbranch_execz .LBB1640_186
.LBB1640_204:                           ;   in Loop: Header=BB1640_148 Depth=2
	global_load_dwordx2 v[7:8], v[16:17], off offset:1024
	s_or_b64 exec, exec, s[54:55]
	v_cmp_lt_u32_e64 s[44:45], v63, v74
	s_and_saveexec_b64 s[54:55], s[44:45]
	s_cbranch_execz .LBB1640_187
.LBB1640_205:                           ;   in Loop: Header=BB1640_148 Depth=2
	global_load_dwordx2 v[5:6], v[16:17], off offset:1536
	s_or_b64 exec, exec, s[54:55]
	s_and_saveexec_b64 s[44:45], s[42:43]
	s_cbranch_execz .LBB1640_188
.LBB1640_206:                           ;   in Loop: Header=BB1640_148 Depth=2
	ds_read_u8 v16, v0 offset:1024
	s_waitcnt lgkmcnt(0)
	v_lshrrev_b32_e32 v16, s7, v16
	v_and_b32_e32 v73, s58, v16
	s_or_b64 exec, exec, s[44:45]
	s_and_saveexec_b64 s[44:45], s[40:41]
	s_cbranch_execz .LBB1640_189
.LBB1640_207:                           ;   in Loop: Header=BB1640_148 Depth=2
	ds_read_u8 v16, v0 offset:1280
	s_waitcnt lgkmcnt(0)
	v_lshrrev_b32_e32 v16, s7, v16
	v_and_b32_e32 v72, s58, v16
	s_or_b64 exec, exec, s[44:45]
	s_and_saveexec_b64 s[44:45], s[38:39]
	s_cbranch_execz .LBB1640_190
.LBB1640_208:                           ;   in Loop: Header=BB1640_148 Depth=2
	ds_read_u8 v16, v0 offset:1536
	s_waitcnt lgkmcnt(0)
	v_lshrrev_b32_e32 v16, s7, v16
	v_and_b32_e32 v70, s58, v16
	s_or_b64 exec, exec, s[44:45]
	s_and_saveexec_b64 s[44:45], vcc
	s_cbranch_execnz .LBB1640_191
	s_branch .LBB1640_192
.LBB1640_209:                           ;   in Loop: Header=BB1640_148 Depth=2
	v_lshlrev_b32_e32 v3, 2, v73
	ds_read_b32 v3, v3
	v_add_u32_e32 v13, v0, v51
	ds_read_b64 v[13:14], v13 offset:1024
	v_mov_b32_e32 v17, s67
	s_waitcnt lgkmcnt(1)
	v_add_u32_e32 v3, v3, v0
	v_lshlrev_b64 v[15:16], 3, v[3:4]
	v_add_co_u32_e64 v15, s[42:43], s66, v15
	v_addc_co_u32_e64 v16, s[42:43], v17, v16, s[42:43]
	s_waitcnt lgkmcnt(0)
	global_store_dwordx2 v[15:16], v[13:14], off
	s_or_b64 exec, exec, s[44:45]
	s_and_saveexec_b64 s[42:43], s[40:41]
	s_cbranch_execz .LBB1640_194
.LBB1640_210:                           ;   in Loop: Header=BB1640_148 Depth=2
	v_lshlrev_b32_e32 v3, 2, v72
	ds_read_b32 v3, v3
	v_add_u32_e32 v13, v0, v51
	ds_read_b64 v[13:14], v13 offset:3072
	v_mov_b32_e32 v17, s67
	s_waitcnt lgkmcnt(1)
	v_add_u32_e32 v3, v3, v19
	v_lshlrev_b64 v[15:16], 3, v[3:4]
	v_add_co_u32_e64 v15, s[40:41], s66, v15
	v_addc_co_u32_e64 v16, s[40:41], v17, v16, s[40:41]
	s_waitcnt lgkmcnt(0)
	global_store_dwordx2 v[15:16], v[13:14], off
	s_or_b64 exec, exec, s[42:43]
	s_and_saveexec_b64 s[40:41], s[38:39]
	s_cbranch_execz .LBB1640_195
.LBB1640_211:                           ;   in Loop: Header=BB1640_148 Depth=2
	v_lshlrev_b32_e32 v3, 2, v70
	ds_read_b32 v3, v3
	v_add_u32_e32 v13, v0, v51
	ds_read_b64 v[13:14], v13 offset:5120
	v_mov_b32_e32 v17, s67
	s_waitcnt lgkmcnt(1)
	v_add_u32_e32 v3, v3, v20
	v_lshlrev_b64 v[15:16], 3, v[3:4]
	v_add_co_u32_e64 v15, s[38:39], s66, v15
	v_addc_co_u32_e64 v16, s[38:39], v17, v16, s[38:39]
	s_waitcnt lgkmcnt(0)
	global_store_dwordx2 v[15:16], v[13:14], off
	s_or_b64 exec, exec, s[40:41]
	s_and_saveexec_b64 s[38:39], vcc
	s_cbranch_execnz .LBB1640_196
	s_branch .LBB1640_197
.LBB1640_212:                           ;   in Loop: Header=BB1640_12 Depth=1
	s_waitcnt lgkmcnt(0)
	s_barrier
.LBB1640_213:                           ;   in Loop: Header=BB1640_12 Depth=1
	s_mov_b64 s[18:19], 0
.LBB1640_214:                           ;   in Loop: Header=BB1640_12 Depth=1
	s_andn2_b64 vcc, exec, s[18:19]
	s_cbranch_vccnz .LBB1640_11
; %bb.215:                              ;   in Loop: Header=BB1640_12 Depth=1
	s_mov_b64 s[18:19], -1
	s_and_b64 vcc, exec, s[72:73]
	s_cbranch_vccz .LBB1640_315
; %bb.216:                              ;   in Loop: Header=BB1640_12 Depth=1
	v_mov_b32_e32 v3, 0
	s_mov_b32 s20, s71
	s_mov_b32 s22, s63
	v_mov_b32_e32 v7, 0
	v_mov_b32_e32 v6, 0
	;; [unrolled: 1-line block ×3, first 2 shown]
	s_barrier
	s_branch .LBB1640_218
.LBB1640_217:                           ;   in Loop: Header=BB1640_218 Depth=2
	s_or_b64 exec, exec, s[18:19]
	s_addk_i32 s20, 0xfc00
	s_cmp_ge_u32 s21, s74
	s_mov_b32 s22, s21
	s_cbranch_scc1 .LBB1640_238
.LBB1640_218:                           ;   Parent Loop BB1640_12 Depth=1
                                        ; =>  This Inner Loop Header: Depth=2
	s_add_i32 s21, s22, 0x400
	s_cmp_gt_u32 s21, s74
	s_mov_b64 s[18:19], -1
                                        ; implicit-def: $vgpr8
                                        ; implicit-def: $vgpr9
                                        ; implicit-def: $vgpr10
                                        ; implicit-def: $vgpr11
	s_cbranch_scc1 .LBB1640_220
; %bb.219:                              ;   in Loop: Header=BB1640_218 Depth=2
	v_add_co_u32_e32 v12, vcc, s22, v38
	v_addc_co_u32_e32 v13, vcc, 0, v39, vcc
	global_load_ubyte v11, v[12:13], off offset:768
	global_load_ubyte v10, v[12:13], off offset:512
	;; [unrolled: 1-line block ×3, first 2 shown]
	global_load_ubyte v8, v[12:13], off
	s_mov_b64 s[18:19], 0
.LBB1640_220:                           ;   in Loop: Header=BB1640_218 Depth=2
	s_andn2_b64 vcc, exec, s[18:19]
	s_movk_i32 s23, 0x400
	s_cbranch_vccnz .LBB1640_227
; %bb.221:                              ;   in Loop: Header=BB1640_218 Depth=2
	s_add_u32 s22, s48, s22
	s_addc_u32 s23, s49, 0
	v_cmp_gt_u32_e32 vcc, s20, v0
	s_and_saveexec_b64 s[18:19], vcc
	s_cbranch_execnz .LBB1640_235
; %bb.222:                              ;   in Loop: Header=BB1640_218 Depth=2
	s_or_b64 exec, exec, s[18:19]
	v_cmp_gt_u32_e32 vcc, s20, v19
	s_and_saveexec_b64 s[18:19], vcc
	s_cbranch_execnz .LBB1640_236
.LBB1640_223:                           ;   in Loop: Header=BB1640_218 Depth=2
	s_or_b64 exec, exec, s[18:19]
	v_cmp_gt_u32_e32 vcc, s20, v20
	s_and_saveexec_b64 s[18:19], vcc
	s_cbranch_execnz .LBB1640_237
.LBB1640_224:                           ;   in Loop: Header=BB1640_218 Depth=2
	s_or_b64 exec, exec, s[18:19]
	v_cmp_gt_u32_e32 vcc, s20, v21
	s_and_saveexec_b64 s[18:19], vcc
	s_cbranch_execz .LBB1640_226
.LBB1640_225:                           ;   in Loop: Header=BB1640_218 Depth=2
	v_mov_b32_e32 v5, s23
	s_waitcnt vmcnt(0)
	v_add_co_u32_e32 v8, vcc, s22, v0
	v_addc_co_u32_e32 v9, vcc, 0, v5, vcc
	global_load_ubyte v5, v[8:9], off offset:768
.LBB1640_226:                           ;   in Loop: Header=BB1640_218 Depth=2
	s_or_b64 exec, exec, s[18:19]
	s_mov_b32 s23, s20
	s_waitcnt vmcnt(0)
	v_mov_b32_e32 v8, v3
	v_mov_b32_e32 v9, v7
	;; [unrolled: 1-line block ×4, first 2 shown]
.LBB1640_227:                           ;   in Loop: Header=BB1640_218 Depth=2
	s_waitcnt vmcnt(3)
	v_mov_b32_e32 v5, v11
	s_waitcnt vmcnt(2)
	v_mov_b32_e32 v6, v10
	;; [unrolled: 2-line block ×4, first 2 shown]
	v_cmp_gt_u32_e32 vcc, s23, v0
	s_and_saveexec_b64 s[18:19], vcc
	s_cbranch_execnz .LBB1640_231
; %bb.228:                              ;   in Loop: Header=BB1640_218 Depth=2
	s_or_b64 exec, exec, s[18:19]
	v_cmp_gt_u32_e32 vcc, s23, v19
	s_and_saveexec_b64 s[18:19], vcc
	s_cbranch_execnz .LBB1640_232
.LBB1640_229:                           ;   in Loop: Header=BB1640_218 Depth=2
	s_or_b64 exec, exec, s[18:19]
	v_cmp_gt_u32_e32 vcc, s23, v20
	s_and_saveexec_b64 s[18:19], vcc
	s_cbranch_execnz .LBB1640_233
.LBB1640_230:                           ;   in Loop: Header=BB1640_218 Depth=2
	s_or_b64 exec, exec, s[18:19]
	v_cmp_gt_u32_e32 vcc, s23, v21
	s_and_saveexec_b64 s[18:19], vcc
	s_cbranch_execz .LBB1640_217
	s_branch .LBB1640_234
.LBB1640_231:                           ;   in Loop: Header=BB1640_218 Depth=2
	v_and_b32_e32 v8, 1, v3
	v_lshrrev_b32_e32 v8, s69, v8
	v_and_b32_e32 v8, s58, v8
	v_lshl_or_b32 v8, v8, 4, v24
	ds_add_u32 v8, v52
	s_or_b64 exec, exec, s[18:19]
	v_cmp_gt_u32_e32 vcc, s23, v19
	s_and_saveexec_b64 s[18:19], vcc
	s_cbranch_execz .LBB1640_229
.LBB1640_232:                           ;   in Loop: Header=BB1640_218 Depth=2
	v_and_b32_e32 v8, 1, v7
	v_lshrrev_b32_e32 v8, s69, v8
	v_and_b32_e32 v8, s58, v8
	v_lshl_or_b32 v8, v8, 4, v24
	ds_add_u32 v8, v52
	s_or_b64 exec, exec, s[18:19]
	v_cmp_gt_u32_e32 vcc, s23, v20
	s_and_saveexec_b64 s[18:19], vcc
	s_cbranch_execz .LBB1640_230
.LBB1640_233:                           ;   in Loop: Header=BB1640_218 Depth=2
	v_and_b32_e32 v8, 1, v6
	v_lshrrev_b32_e32 v8, s69, v8
	v_and_b32_e32 v8, s58, v8
	v_lshl_or_b32 v8, v8, 4, v24
	ds_add_u32 v8, v52
	s_or_b64 exec, exec, s[18:19]
	v_cmp_gt_u32_e32 vcc, s23, v21
	s_and_saveexec_b64 s[18:19], vcc
	s_cbranch_execz .LBB1640_217
.LBB1640_234:                           ;   in Loop: Header=BB1640_218 Depth=2
	v_and_b32_e32 v8, 1, v5
	v_lshrrev_b32_e32 v8, s69, v8
	v_and_b32_e32 v8, s58, v8
	v_lshl_or_b32 v8, v8, 4, v24
	ds_add_u32 v8, v52
	s_branch .LBB1640_217
.LBB1640_235:                           ;   in Loop: Header=BB1640_218 Depth=2
	v_mov_b32_e32 v3, s23
	s_waitcnt vmcnt(0)
	v_add_co_u32_e32 v8, vcc, s22, v0
	v_addc_co_u32_e32 v9, vcc, 0, v3, vcc
	global_load_ubyte v3, v[8:9], off
	s_or_b64 exec, exec, s[18:19]
	v_cmp_gt_u32_e32 vcc, s20, v19
	s_and_saveexec_b64 s[18:19], vcc
	s_cbranch_execz .LBB1640_223
.LBB1640_236:                           ;   in Loop: Header=BB1640_218 Depth=2
	s_waitcnt vmcnt(0)
	v_mov_b32_e32 v8, s23
	v_add_co_u32_e32 v7, vcc, s22, v0
	v_addc_co_u32_e32 v8, vcc, 0, v8, vcc
	global_load_ubyte v7, v[7:8], off offset:256
	s_or_b64 exec, exec, s[18:19]
	v_cmp_gt_u32_e32 vcc, s20, v20
	s_and_saveexec_b64 s[18:19], vcc
	s_cbranch_execz .LBB1640_224
.LBB1640_237:                           ;   in Loop: Header=BB1640_218 Depth=2
	v_mov_b32_e32 v6, s23
	s_waitcnt vmcnt(0)
	v_add_co_u32_e32 v8, vcc, s22, v0
	v_addc_co_u32_e32 v9, vcc, 0, v6, vcc
	global_load_ubyte v6, v[8:9], off offset:512
	s_or_b64 exec, exec, s[18:19]
	v_cmp_gt_u32_e32 vcc, s20, v21
	s_and_saveexec_b64 s[18:19], vcc
	s_cbranch_execnz .LBB1640_225
	s_branch .LBB1640_226
.LBB1640_238:                           ;   in Loop: Header=BB1640_12 Depth=1
	v_mov_b32_e32 v3, 0
	s_waitcnt lgkmcnt(0)
	s_barrier
	s_and_saveexec_b64 s[18:19], s[4:5]
	s_cbranch_execz .LBB1640_240
; %bb.239:                              ;   in Loop: Header=BB1640_12 Depth=1
	ds_read2_b64 v[5:8], v25 offset1:1
	s_waitcnt lgkmcnt(0)
	v_add_u32_e32 v3, v6, v5
	v_add3_u32 v3, v3, v7, v8
.LBB1640_240:                           ;   in Loop: Header=BB1640_12 Depth=1
	s_or_b64 exec, exec, s[18:19]
	s_nop 0
	v_mov_b32_dpp v5, v3 row_shr:1 row_mask:0xf bank_mask:0xf
	v_cmp_eq_u32_e64 s[18:19], 0, v55
	v_cndmask_b32_e64 v5, v5, 0, s[18:19]
	v_add_u32_e32 v3, v5, v3
	v_cmp_lt_u32_e64 s[20:21], 1, v55
	v_cmp_lt_u32_e64 s[22:23], 3, v55
	v_mov_b32_dpp v5, v3 row_shr:2 row_mask:0xf bank_mask:0xf
	v_cndmask_b32_e64 v5, 0, v5, s[20:21]
	v_add_u32_e32 v3, v3, v5
	v_cmp_lt_u32_e64 s[24:25], 7, v55
	v_cmp_lt_u32_e64 s[28:29], 31, v44
	v_mov_b32_dpp v5, v3 row_shr:4 row_mask:0xf bank_mask:0xf
	v_cndmask_b32_e64 v5, 0, v5, s[22:23]
	v_add_u32_e32 v3, v3, v5
	v_cmp_eq_u32_e64 s[26:27], 0, v57
	s_nop 0
	v_mov_b32_dpp v5, v3 row_shr:8 row_mask:0xf bank_mask:0xf
	v_cndmask_b32_e64 v5, 0, v5, s[24:25]
	v_add_u32_e32 v3, v3, v5
	s_nop 1
	v_mov_b32_dpp v5, v3 row_bcast:15 row_mask:0xf bank_mask:0xf
	v_and_b32_e32 v5, v56, v5
	v_add_u32_e32 v3, v3, v5
	s_nop 1
	v_mov_b32_dpp v5, v3 row_bcast:31 row_mask:0xf bank_mask:0xf
	v_cndmask_b32_e64 v5, 0, v5, s[28:29]
	v_add_u32_e32 v3, v3, v5
	s_and_saveexec_b64 s[30:31], s[8:9]
; %bb.241:                              ;   in Loop: Header=BB1640_12 Depth=1
	ds_write_b32 v48, v3
; %bb.242:                              ;   in Loop: Header=BB1640_12 Depth=1
	s_or_b64 exec, exec, s[30:31]
	s_waitcnt lgkmcnt(0)
	s_barrier
	s_and_saveexec_b64 s[30:31], s[10:11]
	s_cbranch_execz .LBB1640_244
; %bb.243:                              ;   in Loop: Header=BB1640_12 Depth=1
	ds_read_b32 v5, v49
	v_cmp_ne_u32_e32 vcc, 0, v58
	s_waitcnt lgkmcnt(0)
	v_mov_b32_dpp v6, v5 row_shr:1 row_mask:0xf bank_mask:0xf
	v_cndmask_b32_e32 v6, 0, v6, vcc
	v_add_u32_e32 v5, v6, v5
	v_cmp_lt_u32_e32 vcc, 1, v58
	s_nop 0
	v_mov_b32_dpp v6, v5 row_shr:2 row_mask:0xf bank_mask:0xf
	v_cndmask_b32_e32 v6, 0, v6, vcc
	v_add_u32_e32 v5, v5, v6
	ds_write_b32 v49, v5
.LBB1640_244:                           ;   in Loop: Header=BB1640_12 Depth=1
	s_or_b64 exec, exec, s[30:31]
	v_mov_b32_e32 v5, 0
	s_waitcnt lgkmcnt(0)
	s_barrier
	s_and_saveexec_b64 s[30:31], s[12:13]
; %bb.245:                              ;   in Loop: Header=BB1640_12 Depth=1
	ds_read_b32 v5, v50
; %bb.246:                              ;   in Loop: Header=BB1640_12 Depth=1
	s_or_b64 exec, exec, s[30:31]
	v_subrev_co_u32_e64 v6, s[30:31], 1, v44
	v_cmp_lt_i32_e32 vcc, v6, v59
	v_cndmask_b32_e32 v6, v6, v44, vcc
	s_waitcnt lgkmcnt(0)
	v_add_u32_e32 v3, v5, v3
	v_lshlrev_b32_e32 v64, 2, v6
	ds_bpermute_b32 v3, v64, v3
	s_waitcnt lgkmcnt(0)
	s_barrier
	s_and_saveexec_b64 s[34:35], s[4:5]
; %bb.247:                              ;   in Loop: Header=BB1640_12 Depth=1
	v_cndmask_b32_e64 v3, v3, v5, s[30:31]
	v_add_u32_e32 v3, s63, v3
	ds_write_b32 v18, v3
; %bb.248:                              ;   in Loop: Header=BB1640_12 Depth=1
	s_or_b64 exec, exec, s[34:35]
	s_load_dwordx2 s[34:35], s[46:47], 0x0
	v_add_co_u32_e32 v65, vcc, v40, v60
	v_addc_co_u32_e32 v66, vcc, 0, v41, vcc
	s_waitcnt lgkmcnt(0)
	s_cmp_lt_u32 s33, s35
	s_cselect_b32 s35, 14, 20
	s_add_u32 s36, s46, s35
	s_addc_u32 s37, s47, 0
	s_cmp_lt_u32 s6, s34
	s_cselect_b32 s34, 12, 18
	s_add_u32 s34, s46, s34
	global_load_ushort v3, v4, s[36:37]
	s_addc_u32 s35, s47, 0
	global_load_ushort v5, v4, s[34:35]
	v_add_co_u32_e32 v67, vcc, v42, v45
	v_cmp_eq_u32_e64 s[34:35], 0, v58
	v_cmp_lt_u32_e64 s[36:37], 1, v58
	v_addc_co_u32_e32 v68, vcc, 0, v43, vcc
	s_mov_b32 s59, s71
	s_mov_b32 s56, s63
                                        ; implicit-def: $vgpr7_vgpr8
                                        ; implicit-def: $vgpr9_vgpr10
                                        ; implicit-def: $vgpr11_vgpr12
                                        ; implicit-def: $vgpr69
                                        ; implicit-def: $vgpr70
                                        ; implicit-def: $vgpr72
                                        ; implicit-def: $vgpr73
	s_waitcnt vmcnt(1)
	v_mad_u32_u24 v3, v2, v3, v1
	s_waitcnt vmcnt(0)
	v_mad_u64_u32 v[13:14], s[38:39], v3, v5, v[0:1]
                                        ; implicit-def: $vgpr5_vgpr6
	v_lshrrev_b32_e32 v3, 4, v13
	v_and_b32_e32 v71, 0xffffffc, v3
	s_branch .LBB1640_250
.LBB1640_249:                           ;   in Loop: Header=BB1640_250 Depth=2
	s_or_b64 exec, exec, s[38:39]
	s_addk_i32 s59, 0xfc00
	s_cmp_lt_u32 s60, s74
	s_mov_b32 s56, s60
	s_cbranch_scc0 .LBB1640_314
.LBB1640_250:                           ;   Parent Loop BB1640_12 Depth=1
                                        ; =>  This Inner Loop Header: Depth=2
	s_add_i32 s60, s56, 0x400
	s_cmp_gt_u32 s60, s74
	s_cbranch_scc1 .LBB1640_252
; %bb.251:                              ;   in Loop: Header=BB1640_250 Depth=2
	v_add_co_u32_e32 v13, vcc, s56, v67
	v_addc_co_u32_e32 v14, vcc, 0, v68, vcc
	global_load_ubyte v17, v[13:14], off
	global_load_ubyte v75, v[13:14], off offset:64
	global_load_ubyte v76, v[13:14], off offset:128
	s_mov_b64 s[38:39], -1
	s_movk_i32 s42, 0x400
	s_cbranch_execz .LBB1640_253
	s_branch .LBB1640_260
.LBB1640_252:                           ;   in Loop: Header=BB1640_250 Depth=2
	s_mov_b64 s[38:39], 0
                                        ; implicit-def: $vgpr17
                                        ; implicit-def: $vgpr75
                                        ; implicit-def: $vgpr76
	s_movk_i32 s42, 0x400
.LBB1640_253:                           ;   in Loop: Header=BB1640_250 Depth=2
	v_add_co_u32_e32 v13, vcc, s56, v67
	v_addc_co_u32_e32 v14, vcc, 0, v68, vcc
	v_cmp_gt_u32_e32 vcc, s59, v46
	s_waitcnt vmcnt(1)
	v_mov_b32_e32 v75, 1
	v_mov_b32_e32 v17, 1
	s_and_saveexec_b64 s[38:39], vcc
	s_cbranch_execz .LBB1640_255
; %bb.254:                              ;   in Loop: Header=BB1640_250 Depth=2
	global_load_ubyte v17, v[13:14], off
.LBB1640_255:                           ;   in Loop: Header=BB1640_250 Depth=2
	s_or_b64 exec, exec, s[38:39]
	v_cmp_gt_u32_e32 vcc, s59, v61
	s_and_saveexec_b64 s[38:39], vcc
	s_cbranch_execz .LBB1640_257
; %bb.256:                              ;   in Loop: Header=BB1640_250 Depth=2
	global_load_ubyte v75, v[13:14], off offset:64
.LBB1640_257:                           ;   in Loop: Header=BB1640_250 Depth=2
	s_or_b64 exec, exec, s[38:39]
	v_cmp_gt_u32_e32 vcc, s59, v62
	s_waitcnt vmcnt(0)
	v_mov_b32_e32 v76, 1
	s_and_saveexec_b64 s[38:39], vcc
	s_cbranch_execz .LBB1640_259
; %bb.258:                              ;   in Loop: Header=BB1640_250 Depth=2
	global_load_ubyte v76, v[13:14], off offset:128
.LBB1640_259:                           ;   in Loop: Header=BB1640_250 Depth=2
	s_or_b64 exec, exec, s[38:39]
	s_sub_i32 s42, s74, s56
	v_cmp_gt_u32_e64 s[38:39], s59, v63
.LBB1640_260:                           ;   in Loop: Header=BB1640_250 Depth=2
	v_mov_b32_e32 v78, 1
	v_mov_b32_e32 v74, s59
	s_and_saveexec_b64 s[40:41], s[38:39]
	s_cbranch_execz .LBB1640_262
; %bb.261:                              ;   in Loop: Header=BB1640_250 Depth=2
	v_mov_b32_e32 v3, s57
	v_add_co_u32_e32 v13, vcc, s56, v67
	v_addc_co_u32_e32 v14, vcc, v68, v3, vcc
	global_load_ubyte v78, v[13:14], off offset:192
	v_mov_b32_e32 v74, s42
.LBB1640_262:                           ;   in Loop: Header=BB1640_250 Depth=2
	s_or_b64 exec, exec, s[40:41]
	s_waitcnt vmcnt(2)
	v_lshrrev_b32_sdwa v3, s69, v17 dst_sel:DWORD dst_unused:UNUSED_PAD src0_sel:DWORD src1_sel:BYTE_0
	v_and_b32_e32 v3, s58, v3
	v_mul_u32_u24_e32 v15, 20, v3
	v_cmp_ne_u32_e32 vcc, 0, v3
	v_add_co_u32_e64 v3, s[38:39], -1, v3
	v_addc_co_u32_e64 v13, s[38:39], 0, -1, s[38:39]
	v_xor_b32_e32 v13, vcc_hi, v13
	v_xor_b32_e32 v3, vcc_lo, v3
	v_and_b32_e32 v14, exec_hi, v13
	v_and_b32_e32 v13, exec_lo, v3
	v_mbcnt_lo_u32_b32 v3, v13, 0
	v_mbcnt_hi_u32_b32 v3, v14, v3
	v_cmp_ne_u64_e32 vcc, 0, v[13:14]
	v_cmp_eq_u32_e64 s[38:39], 0, v3
	s_and_b64 s[40:41], vcc, s[38:39]
	v_add_u32_e32 v77, v71, v15
	ds_write2_b32 v53, v4, v4 offset1:1
	ds_write2_b32 v54, v4, v4 offset1:1
	ds_write_b32 v27, v4 offset:1056
	s_waitcnt vmcnt(0) lgkmcnt(0)
	s_barrier
	; wave barrier
	s_and_saveexec_b64 s[38:39], s[40:41]
; %bb.263:                              ;   in Loop: Header=BB1640_250 Depth=2
	v_bcnt_u32_b32 v13, v13, 0
	v_bcnt_u32_b32 v13, v14, v13
	ds_write_b32 v77, v13 offset:1040
; %bb.264:                              ;   in Loop: Header=BB1640_250 Depth=2
	s_or_b64 exec, exec, s[38:39]
	v_lshrrev_b32_sdwa v13, s69, v75 dst_sel:DWORD dst_unused:UNUSED_PAD src0_sel:DWORD src1_sel:BYTE_0
	v_and_b32_e32 v13, s58, v13
	v_mul_u32_u24_e32 v15, 20, v13
	v_mad_u32_u24 v14, v13, 20, v71
	v_cmp_ne_u32_e32 vcc, 0, v13
	v_add_co_u32_e64 v13, s[38:39], -1, v13
	; wave barrier
	ds_read_b32 v79, v14 offset:1040
	v_addc_co_u32_e64 v14, s[38:39], 0, -1, s[38:39]
	v_xor_b32_e32 v13, vcc_lo, v13
	v_xor_b32_e32 v14, vcc_hi, v14
	v_and_b32_e32 v13, exec_lo, v13
	v_and_b32_e32 v14, exec_hi, v14
	v_mbcnt_lo_u32_b32 v16, v13, 0
	v_mbcnt_hi_u32_b32 v80, v14, v16
	v_cmp_ne_u64_e32 vcc, 0, v[13:14]
	v_cmp_eq_u32_e64 s[38:39], 0, v80
	s_and_b64 s[40:41], vcc, s[38:39]
	v_add_u32_e32 v82, v71, v15
	; wave barrier
	s_and_saveexec_b64 s[38:39], s[40:41]
	s_cbranch_execz .LBB1640_266
; %bb.265:                              ;   in Loop: Header=BB1640_250 Depth=2
	v_bcnt_u32_b32 v13, v13, 0
	v_bcnt_u32_b32 v13, v14, v13
	s_waitcnt lgkmcnt(0)
	v_add_u32_e32 v13, v79, v13
	ds_write_b32 v82, v13 offset:1040
.LBB1640_266:                           ;   in Loop: Header=BB1640_250 Depth=2
	s_or_b64 exec, exec, s[38:39]
	v_lshrrev_b32_sdwa v13, s69, v76 dst_sel:DWORD dst_unused:UNUSED_PAD src0_sel:DWORD src1_sel:BYTE_0
	v_and_b32_e32 v13, s58, v13
	v_mul_u32_u24_e32 v15, 20, v13
	v_mad_u32_u24 v14, v13, 20, v71
	v_cmp_ne_u32_e32 vcc, 0, v13
	v_add_co_u32_e64 v13, s[38:39], -1, v13
	; wave barrier
	ds_read_b32 v81, v14 offset:1040
	v_addc_co_u32_e64 v14, s[38:39], 0, -1, s[38:39]
	v_xor_b32_e32 v13, vcc_lo, v13
	v_xor_b32_e32 v14, vcc_hi, v14
	v_and_b32_e32 v13, exec_lo, v13
	v_and_b32_e32 v14, exec_hi, v14
	v_mbcnt_lo_u32_b32 v16, v13, 0
	v_mbcnt_hi_u32_b32 v83, v14, v16
	v_cmp_ne_u64_e32 vcc, 0, v[13:14]
	v_cmp_eq_u32_e64 s[38:39], 0, v83
	s_and_b64 s[40:41], vcc, s[38:39]
	v_add_u32_e32 v85, v71, v15
	; wave barrier
	s_and_saveexec_b64 s[38:39], s[40:41]
	s_cbranch_execz .LBB1640_268
; %bb.267:                              ;   in Loop: Header=BB1640_250 Depth=2
	v_bcnt_u32_b32 v13, v13, 0
	v_bcnt_u32_b32 v13, v14, v13
	s_waitcnt lgkmcnt(0)
	v_add_u32_e32 v13, v81, v13
	ds_write_b32 v85, v13 offset:1040
.LBB1640_268:                           ;   in Loop: Header=BB1640_250 Depth=2
	;; [unrolled: 30-line block ×3, first 2 shown]
	s_or_b64 exec, exec, s[38:39]
	; wave barrier
	s_waitcnt lgkmcnt(0)
	s_barrier
	ds_read2_b32 v[15:16], v53 offset1:1
	ds_read2_b32 v[13:14], v54 offset1:1
	ds_read_b32 v88, v27 offset:1056
	s_waitcnt lgkmcnt(1)
	v_add3_u32 v89, v16, v15, v13
	s_waitcnt lgkmcnt(0)
	v_add3_u32 v88, v89, v14, v88
	s_nop 1
	v_mov_b32_dpp v89, v88 row_shr:1 row_mask:0xf bank_mask:0xf
	v_cndmask_b32_e64 v89, v89, 0, s[18:19]
	v_add_u32_e32 v88, v89, v88
	s_nop 1
	v_mov_b32_dpp v89, v88 row_shr:2 row_mask:0xf bank_mask:0xf
	v_cndmask_b32_e64 v89, 0, v89, s[20:21]
	v_add_u32_e32 v88, v88, v89
	;; [unrolled: 4-line block ×4, first 2 shown]
	s_nop 1
	v_mov_b32_dpp v89, v88 row_bcast:15 row_mask:0xf bank_mask:0xf
	v_cndmask_b32_e64 v89, v89, 0, s[26:27]
	v_add_u32_e32 v88, v88, v89
	s_nop 1
	v_mov_b32_dpp v89, v88 row_bcast:31 row_mask:0xf bank_mask:0xf
	v_cndmask_b32_e64 v89, 0, v89, s[28:29]
	v_add_u32_e32 v88, v88, v89
	s_and_saveexec_b64 s[38:39], s[8:9]
; %bb.271:                              ;   in Loop: Header=BB1640_250 Depth=2
	ds_write_b32 v26, v88 offset:1024
; %bb.272:                              ;   in Loop: Header=BB1640_250 Depth=2
	s_or_b64 exec, exec, s[38:39]
	s_waitcnt lgkmcnt(0)
	s_barrier
	s_and_saveexec_b64 s[38:39], s[10:11]
	s_cbranch_execz .LBB1640_274
; %bb.273:                              ;   in Loop: Header=BB1640_250 Depth=2
	ds_read_b32 v89, v47 offset:1024
	s_waitcnt lgkmcnt(0)
	s_nop 0
	v_mov_b32_dpp v90, v89 row_shr:1 row_mask:0xf bank_mask:0xf
	v_cndmask_b32_e64 v90, v90, 0, s[34:35]
	v_add_u32_e32 v89, v90, v89
	s_nop 1
	v_mov_b32_dpp v90, v89 row_shr:2 row_mask:0xf bank_mask:0xf
	v_cndmask_b32_e64 v90, 0, v90, s[36:37]
	v_add_u32_e32 v89, v89, v90
	ds_write_b32 v47, v89 offset:1024
.LBB1640_274:                           ;   in Loop: Header=BB1640_250 Depth=2
	s_or_b64 exec, exec, s[38:39]
	v_mov_b32_e32 v89, 0
	s_waitcnt lgkmcnt(0)
	s_barrier
	s_and_saveexec_b64 s[38:39], s[12:13]
; %bb.275:                              ;   in Loop: Header=BB1640_250 Depth=2
	ds_read_b32 v89, v26 offset:1020
; %bb.276:                              ;   in Loop: Header=BB1640_250 Depth=2
	s_or_b64 exec, exec, s[38:39]
	s_waitcnt lgkmcnt(0)
	v_add_u32_e32 v88, v89, v88
	ds_bpermute_b32 v88, v64, v88
	s_waitcnt lgkmcnt(0)
	v_cndmask_b32_e64 v88, v88, v89, s[30:31]
	v_cndmask_b32_e64 v88, v88, 0, s[14:15]
	v_add_u32_e32 v15, v88, v15
	v_add_u32_e32 v16, v15, v16
	;; [unrolled: 1-line block ×4, first 2 shown]
	ds_write2_b32 v53, v88, v15 offset1:1
	ds_write2_b32 v54, v16, v13 offset1:1
	ds_write_b32 v27, v14 offset:1056
	s_waitcnt lgkmcnt(0)
	s_barrier
	ds_read_b32 v13, v77 offset:1040
	ds_read_b32 v14, v82 offset:1040
	;; [unrolled: 1-line block ×5, first 2 shown]
	v_mov_b32_e32 v77, 0x400
	s_and_saveexec_b64 s[38:39], s[16:17]
; %bb.277:                              ;   in Loop: Header=BB1640_250 Depth=2
	ds_read_b32 v77, v27 offset:1060
; %bb.278:                              ;   in Loop: Header=BB1640_250 Depth=2
	s_or_b64 exec, exec, s[38:39]
	s_waitcnt lgkmcnt(0)
	s_barrier
	s_and_saveexec_b64 s[38:39], s[4:5]
	s_cbranch_execz .LBB1640_280
; %bb.279:                              ;   in Loop: Header=BB1640_250 Depth=2
	ds_read_b32 v85, v18
	s_waitcnt lgkmcnt(0)
	v_sub_u32_e32 v15, v85, v15
	ds_write_b32 v18, v15
.LBB1640_280:                           ;   in Loop: Header=BB1640_250 Depth=2
	s_or_b64 exec, exec, s[38:39]
	v_add_u32_e32 v15, v13, v3
	v_add3_u32 v14, v80, v79, v14
	v_add3_u32 v13, v83, v81, v16
	;; [unrolled: 1-line block ×3, first 2 shown]
	v_cmp_lt_u32_e64 s[42:43], v0, v74
	ds_write_b8 v15, v17 offset:1024
	ds_write_b8 v14, v75 offset:1024
	;; [unrolled: 1-line block ×4, first 2 shown]
	s_waitcnt lgkmcnt(0)
	s_barrier
	s_and_saveexec_b64 s[38:39], s[42:43]
	s_cbranch_execnz .LBB1640_301
; %bb.281:                              ;   in Loop: Header=BB1640_250 Depth=2
	s_or_b64 exec, exec, s[38:39]
	v_cmp_lt_u32_e64 s[40:41], v19, v74
	s_and_saveexec_b64 s[38:39], s[40:41]
	s_cbranch_execnz .LBB1640_302
.LBB1640_282:                           ;   in Loop: Header=BB1640_250 Depth=2
	s_or_b64 exec, exec, s[38:39]
	v_cmp_lt_u32_e64 s[38:39], v20, v74
	s_and_saveexec_b64 s[44:45], s[38:39]
	s_cbranch_execnz .LBB1640_303
.LBB1640_283:                           ;   in Loop: Header=BB1640_250 Depth=2
	s_or_b64 exec, exec, s[44:45]
	v_cmp_lt_u32_e32 vcc, v21, v74
	s_and_saveexec_b64 s[44:45], vcc
	s_cbranch_execz .LBB1640_285
.LBB1640_284:                           ;   in Loop: Header=BB1640_250 Depth=2
	ds_read_u8 v16, v0 offset:1792
	s_waitcnt lgkmcnt(0)
	v_and_b32_e32 v17, 1, v16
	v_lshrrev_b32_e32 v17, s69, v17
	v_and_b32_e32 v17, s58, v17
	v_lshlrev_b32_e32 v17, 2, v17
	ds_read_b32 v17, v17
	s_waitcnt lgkmcnt(0)
	v_add_u32_e32 v17, v17, v21
	global_store_byte v17, v16, s[50:51]
.LBB1640_285:                           ;   in Loop: Header=BB1640_250 Depth=2
	s_or_b64 exec, exec, s[44:45]
	s_lshl_b64 s[44:45], s[56:57], 3
	v_mov_b32_e32 v17, s45
	v_add_co_u32_e64 v16, s[44:45], s44, v65
	v_addc_co_u32_e64 v17, s[44:45], v66, v17, s[44:45]
	v_cmp_lt_u32_e64 s[44:45], v46, v74
	s_and_saveexec_b64 s[54:55], s[44:45]
	s_xor_b64 s[44:45], exec, s[54:55]
	s_cbranch_execnz .LBB1640_304
; %bb.286:                              ;   in Loop: Header=BB1640_250 Depth=2
	s_or_b64 exec, exec, s[44:45]
	v_cmp_lt_u32_e64 s[44:45], v61, v74
	s_and_saveexec_b64 s[54:55], s[44:45]
	s_cbranch_execnz .LBB1640_305
.LBB1640_287:                           ;   in Loop: Header=BB1640_250 Depth=2
	s_or_b64 exec, exec, s[54:55]
	v_cmp_lt_u32_e64 s[44:45], v62, v74
	s_and_saveexec_b64 s[54:55], s[44:45]
	s_cbranch_execnz .LBB1640_306
.LBB1640_288:                           ;   in Loop: Header=BB1640_250 Depth=2
	s_or_b64 exec, exec, s[54:55]
	v_cmp_lt_u32_e64 s[44:45], v63, v74
	s_and_saveexec_b64 s[54:55], s[44:45]
	s_cbranch_execnz .LBB1640_307
.LBB1640_289:                           ;   in Loop: Header=BB1640_250 Depth=2
	s_or_b64 exec, exec, s[54:55]
	s_and_saveexec_b64 s[44:45], s[42:43]
	s_cbranch_execnz .LBB1640_308
.LBB1640_290:                           ;   in Loop: Header=BB1640_250 Depth=2
	s_or_b64 exec, exec, s[44:45]
	s_and_saveexec_b64 s[44:45], s[40:41]
	s_cbranch_execnz .LBB1640_309
.LBB1640_291:                           ;   in Loop: Header=BB1640_250 Depth=2
	s_or_b64 exec, exec, s[44:45]
	s_and_saveexec_b64 s[44:45], s[38:39]
	s_cbranch_execnz .LBB1640_310
.LBB1640_292:                           ;   in Loop: Header=BB1640_250 Depth=2
	s_or_b64 exec, exec, s[44:45]
	s_and_saveexec_b64 s[44:45], vcc
	s_cbranch_execz .LBB1640_294
.LBB1640_293:                           ;   in Loop: Header=BB1640_250 Depth=2
	ds_read_u8 v16, v0 offset:1792
	s_waitcnt lgkmcnt(0)
	v_lshrrev_b32_e32 v16, s69, v16
	v_and_b32_e32 v69, s58, v16
.LBB1640_294:                           ;   in Loop: Header=BB1640_250 Depth=2
	s_or_b64 exec, exec, s[44:45]
	v_mad_u64_u32 v[15:16], s[44:45], v15, 7, v[15:16]
	v_mad_u64_u32 v[74:75], s[44:45], v3, 7, v[3:4]
	;; [unrolled: 1-line block ×4, first 2 shown]
	s_waitcnt vmcnt(0)
	s_barrier
	ds_write_b64 v15, v[11:12] offset:1024
	ds_write_b64 v16, v[9:10] offset:1024
	;; [unrolled: 1-line block ×4, first 2 shown]
	s_waitcnt lgkmcnt(0)
	s_barrier
	s_and_saveexec_b64 s[44:45], s[42:43]
	s_cbranch_execnz .LBB1640_311
; %bb.295:                              ;   in Loop: Header=BB1640_250 Depth=2
	s_or_b64 exec, exec, s[44:45]
	s_and_saveexec_b64 s[42:43], s[40:41]
	s_cbranch_execnz .LBB1640_312
.LBB1640_296:                           ;   in Loop: Header=BB1640_250 Depth=2
	s_or_b64 exec, exec, s[42:43]
	s_and_saveexec_b64 s[40:41], s[38:39]
	s_cbranch_execnz .LBB1640_313
.LBB1640_297:                           ;   in Loop: Header=BB1640_250 Depth=2
	s_or_b64 exec, exec, s[40:41]
	s_and_saveexec_b64 s[38:39], vcc
	s_cbranch_execz .LBB1640_299
.LBB1640_298:                           ;   in Loop: Header=BB1640_250 Depth=2
	v_lshlrev_b32_e32 v3, 2, v69
	ds_read_b32 v3, v3
	v_add_u32_e32 v13, v0, v51
	ds_read_b64 v[13:14], v13 offset:7168
	v_mov_b32_e32 v17, s65
	s_waitcnt lgkmcnt(1)
	v_add_u32_e32 v3, v3, v21
	v_lshlrev_b64 v[15:16], 3, v[3:4]
	v_add_co_u32_e32 v15, vcc, s64, v15
	v_addc_co_u32_e32 v16, vcc, v17, v16, vcc
	s_waitcnt lgkmcnt(0)
	global_store_dwordx2 v[15:16], v[13:14], off
.LBB1640_299:                           ;   in Loop: Header=BB1640_250 Depth=2
	s_or_b64 exec, exec, s[38:39]
	s_waitcnt vmcnt(0)
	s_barrier
	s_and_saveexec_b64 s[38:39], s[4:5]
	s_cbranch_execz .LBB1640_249
; %bb.300:                              ;   in Loop: Header=BB1640_250 Depth=2
	ds_read_b32 v3, v18
	s_waitcnt lgkmcnt(0)
	v_add_u32_e32 v3, v3, v77
	ds_write_b32 v18, v3
	s_branch .LBB1640_249
.LBB1640_301:                           ;   in Loop: Header=BB1640_250 Depth=2
	ds_read_u8 v16, v0 offset:1024
	s_waitcnt lgkmcnt(0)
	v_and_b32_e32 v17, 1, v16
	v_lshrrev_b32_e32 v17, s69, v17
	v_and_b32_e32 v17, s58, v17
	v_lshlrev_b32_e32 v17, 2, v17
	ds_read_b32 v17, v17
	s_waitcnt lgkmcnt(0)
	v_add_u32_e32 v17, v17, v0
	global_store_byte v17, v16, s[50:51]
	s_or_b64 exec, exec, s[38:39]
	v_cmp_lt_u32_e64 s[40:41], v19, v74
	s_and_saveexec_b64 s[38:39], s[40:41]
	s_cbranch_execz .LBB1640_282
.LBB1640_302:                           ;   in Loop: Header=BB1640_250 Depth=2
	ds_read_u8 v16, v0 offset:1280
	s_waitcnt lgkmcnt(0)
	v_and_b32_e32 v17, 1, v16
	v_lshrrev_b32_e32 v17, s69, v17
	v_and_b32_e32 v17, s58, v17
	v_lshlrev_b32_e32 v17, 2, v17
	ds_read_b32 v17, v17
	s_waitcnt lgkmcnt(0)
	v_add_u32_e32 v17, v17, v19
	global_store_byte v17, v16, s[50:51]
	s_or_b64 exec, exec, s[38:39]
	v_cmp_lt_u32_e64 s[38:39], v20, v74
	s_and_saveexec_b64 s[44:45], s[38:39]
	s_cbranch_execz .LBB1640_283
.LBB1640_303:                           ;   in Loop: Header=BB1640_250 Depth=2
	ds_read_u8 v16, v0 offset:1536
	s_waitcnt lgkmcnt(0)
	v_and_b32_e32 v17, 1, v16
	v_lshrrev_b32_e32 v17, s69, v17
	v_and_b32_e32 v17, s58, v17
	v_lshlrev_b32_e32 v17, 2, v17
	ds_read_b32 v17, v17
	s_waitcnt lgkmcnt(0)
	v_add_u32_e32 v17, v17, v20
	global_store_byte v17, v16, s[50:51]
	s_or_b64 exec, exec, s[44:45]
	v_cmp_lt_u32_e32 vcc, v21, v74
	s_and_saveexec_b64 s[44:45], vcc
	s_cbranch_execnz .LBB1640_284
	s_branch .LBB1640_285
.LBB1640_304:                           ;   in Loop: Header=BB1640_250 Depth=2
	global_load_dwordx2 v[11:12], v[16:17], off
	s_or_b64 exec, exec, s[44:45]
	v_cmp_lt_u32_e64 s[44:45], v61, v74
	s_and_saveexec_b64 s[54:55], s[44:45]
	s_cbranch_execz .LBB1640_287
.LBB1640_305:                           ;   in Loop: Header=BB1640_250 Depth=2
	global_load_dwordx2 v[9:10], v[16:17], off offset:512
	s_or_b64 exec, exec, s[54:55]
	v_cmp_lt_u32_e64 s[44:45], v62, v74
	s_and_saveexec_b64 s[54:55], s[44:45]
	s_cbranch_execz .LBB1640_288
.LBB1640_306:                           ;   in Loop: Header=BB1640_250 Depth=2
	global_load_dwordx2 v[7:8], v[16:17], off offset:1024
	s_or_b64 exec, exec, s[54:55]
	v_cmp_lt_u32_e64 s[44:45], v63, v74
	s_and_saveexec_b64 s[54:55], s[44:45]
	s_cbranch_execz .LBB1640_289
.LBB1640_307:                           ;   in Loop: Header=BB1640_250 Depth=2
	global_load_dwordx2 v[5:6], v[16:17], off offset:1536
	s_or_b64 exec, exec, s[54:55]
	s_and_saveexec_b64 s[44:45], s[42:43]
	s_cbranch_execz .LBB1640_290
.LBB1640_308:                           ;   in Loop: Header=BB1640_250 Depth=2
	ds_read_u8 v16, v0 offset:1024
	s_waitcnt lgkmcnt(0)
	v_lshrrev_b32_e32 v16, s69, v16
	v_and_b32_e32 v73, s58, v16
	s_or_b64 exec, exec, s[44:45]
	s_and_saveexec_b64 s[44:45], s[40:41]
	s_cbranch_execz .LBB1640_291
.LBB1640_309:                           ;   in Loop: Header=BB1640_250 Depth=2
	ds_read_u8 v16, v0 offset:1280
	s_waitcnt lgkmcnt(0)
	v_lshrrev_b32_e32 v16, s69, v16
	v_and_b32_e32 v72, s58, v16
	s_or_b64 exec, exec, s[44:45]
	s_and_saveexec_b64 s[44:45], s[38:39]
	s_cbranch_execz .LBB1640_292
.LBB1640_310:                           ;   in Loop: Header=BB1640_250 Depth=2
	ds_read_u8 v16, v0 offset:1536
	s_waitcnt lgkmcnt(0)
	v_lshrrev_b32_e32 v16, s69, v16
	v_and_b32_e32 v70, s58, v16
	s_or_b64 exec, exec, s[44:45]
	s_and_saveexec_b64 s[44:45], vcc
	s_cbranch_execnz .LBB1640_293
	s_branch .LBB1640_294
.LBB1640_311:                           ;   in Loop: Header=BB1640_250 Depth=2
	v_lshlrev_b32_e32 v3, 2, v73
	ds_read_b32 v3, v3
	v_add_u32_e32 v13, v0, v51
	ds_read_b64 v[13:14], v13 offset:1024
	v_mov_b32_e32 v17, s65
	s_waitcnt lgkmcnt(1)
	v_add_u32_e32 v3, v3, v0
	v_lshlrev_b64 v[15:16], 3, v[3:4]
	v_add_co_u32_e64 v15, s[42:43], s64, v15
	v_addc_co_u32_e64 v16, s[42:43], v17, v16, s[42:43]
	s_waitcnt lgkmcnt(0)
	global_store_dwordx2 v[15:16], v[13:14], off
	s_or_b64 exec, exec, s[44:45]
	s_and_saveexec_b64 s[42:43], s[40:41]
	s_cbranch_execz .LBB1640_296
.LBB1640_312:                           ;   in Loop: Header=BB1640_250 Depth=2
	v_lshlrev_b32_e32 v3, 2, v72
	ds_read_b32 v3, v3
	v_add_u32_e32 v13, v0, v51
	ds_read_b64 v[13:14], v13 offset:3072
	v_mov_b32_e32 v17, s65
	s_waitcnt lgkmcnt(1)
	v_add_u32_e32 v3, v3, v19
	v_lshlrev_b64 v[15:16], 3, v[3:4]
	v_add_co_u32_e64 v15, s[40:41], s64, v15
	v_addc_co_u32_e64 v16, s[40:41], v17, v16, s[40:41]
	s_waitcnt lgkmcnt(0)
	global_store_dwordx2 v[15:16], v[13:14], off
	s_or_b64 exec, exec, s[42:43]
	s_and_saveexec_b64 s[40:41], s[38:39]
	s_cbranch_execz .LBB1640_297
.LBB1640_313:                           ;   in Loop: Header=BB1640_250 Depth=2
	v_lshlrev_b32_e32 v3, 2, v70
	ds_read_b32 v3, v3
	v_add_u32_e32 v13, v0, v51
	ds_read_b64 v[13:14], v13 offset:5120
	v_mov_b32_e32 v17, s65
	s_waitcnt lgkmcnt(1)
	v_add_u32_e32 v3, v3, v20
	v_lshlrev_b64 v[15:16], 3, v[3:4]
	v_add_co_u32_e64 v15, s[38:39], s64, v15
	v_addc_co_u32_e64 v16, s[38:39], v17, v16, s[38:39]
	s_waitcnt lgkmcnt(0)
	global_store_dwordx2 v[15:16], v[13:14], off
	s_or_b64 exec, exec, s[40:41]
	s_and_saveexec_b64 s[38:39], vcc
	s_cbranch_execnz .LBB1640_298
	s_branch .LBB1640_299
.LBB1640_314:                           ;   in Loop: Header=BB1640_12 Depth=1
	s_waitcnt lgkmcnt(0)
	s_barrier
	s_mov_b64 s[18:19], 0
.LBB1640_315:                           ;   in Loop: Header=BB1640_12 Depth=1
	s_and_b64 vcc, exec, s[18:19]
	s_cbranch_vccz .LBB1640_11
; %bb.316:                              ;   in Loop: Header=BB1640_12 Depth=1
	v_mov_b32_e32 v3, 0
	s_mov_b32 s20, s71
	s_mov_b32 s22, s63
	v_mov_b32_e32 v7, 0
	v_mov_b32_e32 v6, 0
	;; [unrolled: 1-line block ×3, first 2 shown]
	s_barrier
	s_branch .LBB1640_318
.LBB1640_317:                           ;   in Loop: Header=BB1640_318 Depth=2
	s_or_b64 exec, exec, s[18:19]
	s_addk_i32 s20, 0xfc00
	s_cmp_ge_u32 s21, s74
	s_mov_b32 s22, s21
	s_cbranch_scc1 .LBB1640_338
.LBB1640_318:                           ;   Parent Loop BB1640_12 Depth=1
                                        ; =>  This Inner Loop Header: Depth=2
	s_add_i32 s21, s22, 0x400
	s_cmp_gt_u32 s21, s74
	s_mov_b64 s[18:19], -1
                                        ; implicit-def: $vgpr8
                                        ; implicit-def: $vgpr9
                                        ; implicit-def: $vgpr10
                                        ; implicit-def: $vgpr11
	s_cbranch_scc1 .LBB1640_320
; %bb.319:                              ;   in Loop: Header=BB1640_318 Depth=2
	v_add_co_u32_e32 v12, vcc, s22, v38
	v_addc_co_u32_e32 v13, vcc, 0, v39, vcc
	global_load_ubyte v11, v[12:13], off offset:768
	global_load_ubyte v10, v[12:13], off offset:512
	;; [unrolled: 1-line block ×3, first 2 shown]
	global_load_ubyte v8, v[12:13], off
	s_mov_b64 s[18:19], 0
.LBB1640_320:                           ;   in Loop: Header=BB1640_318 Depth=2
	s_andn2_b64 vcc, exec, s[18:19]
	s_movk_i32 s23, 0x400
	s_cbranch_vccnz .LBB1640_327
; %bb.321:                              ;   in Loop: Header=BB1640_318 Depth=2
	s_add_u32 s22, s48, s22
	s_addc_u32 s23, s49, 0
	v_cmp_gt_u32_e32 vcc, s20, v0
	s_and_saveexec_b64 s[18:19], vcc
	s_cbranch_execnz .LBB1640_335
; %bb.322:                              ;   in Loop: Header=BB1640_318 Depth=2
	s_or_b64 exec, exec, s[18:19]
	v_cmp_gt_u32_e32 vcc, s20, v19
	s_and_saveexec_b64 s[18:19], vcc
	s_cbranch_execnz .LBB1640_336
.LBB1640_323:                           ;   in Loop: Header=BB1640_318 Depth=2
	s_or_b64 exec, exec, s[18:19]
	v_cmp_gt_u32_e32 vcc, s20, v20
	s_and_saveexec_b64 s[18:19], vcc
	s_cbranch_execnz .LBB1640_337
.LBB1640_324:                           ;   in Loop: Header=BB1640_318 Depth=2
	s_or_b64 exec, exec, s[18:19]
	v_cmp_gt_u32_e32 vcc, s20, v21
	s_and_saveexec_b64 s[18:19], vcc
	s_cbranch_execz .LBB1640_326
.LBB1640_325:                           ;   in Loop: Header=BB1640_318 Depth=2
	v_mov_b32_e32 v5, s23
	s_waitcnt vmcnt(0)
	v_add_co_u32_e32 v8, vcc, s22, v0
	v_addc_co_u32_e32 v9, vcc, 0, v5, vcc
	global_load_ubyte v5, v[8:9], off offset:768
.LBB1640_326:                           ;   in Loop: Header=BB1640_318 Depth=2
	s_or_b64 exec, exec, s[18:19]
	s_mov_b32 s23, s20
	s_waitcnt vmcnt(0)
	v_mov_b32_e32 v8, v3
	v_mov_b32_e32 v9, v7
	;; [unrolled: 1-line block ×4, first 2 shown]
.LBB1640_327:                           ;   in Loop: Header=BB1640_318 Depth=2
	s_waitcnt vmcnt(3)
	v_mov_b32_e32 v5, v11
	s_waitcnt vmcnt(2)
	v_mov_b32_e32 v6, v10
	;; [unrolled: 2-line block ×4, first 2 shown]
	v_cmp_gt_u32_e32 vcc, s23, v0
	s_and_saveexec_b64 s[18:19], vcc
	s_cbranch_execnz .LBB1640_331
; %bb.328:                              ;   in Loop: Header=BB1640_318 Depth=2
	s_or_b64 exec, exec, s[18:19]
	v_cmp_gt_u32_e32 vcc, s23, v19
	s_and_saveexec_b64 s[18:19], vcc
	s_cbranch_execnz .LBB1640_332
.LBB1640_329:                           ;   in Loop: Header=BB1640_318 Depth=2
	s_or_b64 exec, exec, s[18:19]
	v_cmp_gt_u32_e32 vcc, s23, v20
	s_and_saveexec_b64 s[18:19], vcc
	s_cbranch_execnz .LBB1640_333
.LBB1640_330:                           ;   in Loop: Header=BB1640_318 Depth=2
	s_or_b64 exec, exec, s[18:19]
	v_cmp_gt_u32_e32 vcc, s23, v21
	s_and_saveexec_b64 s[18:19], vcc
	s_cbranch_execz .LBB1640_317
	s_branch .LBB1640_334
.LBB1640_331:                           ;   in Loop: Header=BB1640_318 Depth=2
	v_and_b32_e32 v8, 1, v3
	v_lshrrev_b32_e32 v8, s69, v8
	v_and_b32_e32 v8, s58, v8
	v_lshl_or_b32 v8, v8, 4, v24
	ds_add_u32 v8, v52
	s_or_b64 exec, exec, s[18:19]
	v_cmp_gt_u32_e32 vcc, s23, v19
	s_and_saveexec_b64 s[18:19], vcc
	s_cbranch_execz .LBB1640_329
.LBB1640_332:                           ;   in Loop: Header=BB1640_318 Depth=2
	v_and_b32_e32 v8, 1, v7
	v_lshrrev_b32_e32 v8, s69, v8
	v_and_b32_e32 v8, s58, v8
	v_lshl_or_b32 v8, v8, 4, v24
	ds_add_u32 v8, v52
	s_or_b64 exec, exec, s[18:19]
	v_cmp_gt_u32_e32 vcc, s23, v20
	s_and_saveexec_b64 s[18:19], vcc
	s_cbranch_execz .LBB1640_330
.LBB1640_333:                           ;   in Loop: Header=BB1640_318 Depth=2
	v_and_b32_e32 v8, 1, v6
	v_lshrrev_b32_e32 v8, s69, v8
	v_and_b32_e32 v8, s58, v8
	v_lshl_or_b32 v8, v8, 4, v24
	ds_add_u32 v8, v52
	s_or_b64 exec, exec, s[18:19]
	v_cmp_gt_u32_e32 vcc, s23, v21
	s_and_saveexec_b64 s[18:19], vcc
	s_cbranch_execz .LBB1640_317
.LBB1640_334:                           ;   in Loop: Header=BB1640_318 Depth=2
	v_and_b32_e32 v8, 1, v5
	v_lshrrev_b32_e32 v8, s69, v8
	v_and_b32_e32 v8, s58, v8
	v_lshl_or_b32 v8, v8, 4, v24
	ds_add_u32 v8, v52
	s_branch .LBB1640_317
.LBB1640_335:                           ;   in Loop: Header=BB1640_318 Depth=2
	v_mov_b32_e32 v3, s23
	s_waitcnt vmcnt(0)
	v_add_co_u32_e32 v8, vcc, s22, v0
	v_addc_co_u32_e32 v9, vcc, 0, v3, vcc
	global_load_ubyte v3, v[8:9], off
	s_or_b64 exec, exec, s[18:19]
	v_cmp_gt_u32_e32 vcc, s20, v19
	s_and_saveexec_b64 s[18:19], vcc
	s_cbranch_execz .LBB1640_323
.LBB1640_336:                           ;   in Loop: Header=BB1640_318 Depth=2
	s_waitcnt vmcnt(0)
	v_mov_b32_e32 v8, s23
	v_add_co_u32_e32 v7, vcc, s22, v0
	v_addc_co_u32_e32 v8, vcc, 0, v8, vcc
	global_load_ubyte v7, v[7:8], off offset:256
	s_or_b64 exec, exec, s[18:19]
	v_cmp_gt_u32_e32 vcc, s20, v20
	s_and_saveexec_b64 s[18:19], vcc
	s_cbranch_execz .LBB1640_324
.LBB1640_337:                           ;   in Loop: Header=BB1640_318 Depth=2
	v_mov_b32_e32 v6, s23
	s_waitcnt vmcnt(0)
	v_add_co_u32_e32 v8, vcc, s22, v0
	v_addc_co_u32_e32 v9, vcc, 0, v6, vcc
	global_load_ubyte v6, v[8:9], off offset:512
	s_or_b64 exec, exec, s[18:19]
	v_cmp_gt_u32_e32 vcc, s20, v21
	s_and_saveexec_b64 s[18:19], vcc
	s_cbranch_execnz .LBB1640_325
	s_branch .LBB1640_326
.LBB1640_338:                           ;   in Loop: Header=BB1640_12 Depth=1
	v_mov_b32_e32 v3, 0
	s_waitcnt lgkmcnt(0)
	s_barrier
	s_and_saveexec_b64 s[18:19], s[4:5]
	s_cbranch_execz .LBB1640_340
; %bb.339:                              ;   in Loop: Header=BB1640_12 Depth=1
	ds_read2_b64 v[5:8], v25 offset1:1
	s_waitcnt lgkmcnt(0)
	v_add_u32_e32 v3, v6, v5
	v_add3_u32 v3, v3, v7, v8
.LBB1640_340:                           ;   in Loop: Header=BB1640_12 Depth=1
	s_or_b64 exec, exec, s[18:19]
	s_nop 0
	v_mov_b32_dpp v5, v3 row_shr:1 row_mask:0xf bank_mask:0xf
	v_cmp_eq_u32_e64 s[18:19], 0, v55
	v_cndmask_b32_e64 v5, v5, 0, s[18:19]
	v_add_u32_e32 v3, v5, v3
	v_cmp_lt_u32_e64 s[20:21], 1, v55
	v_cmp_lt_u32_e64 s[22:23], 3, v55
	v_mov_b32_dpp v5, v3 row_shr:2 row_mask:0xf bank_mask:0xf
	v_cndmask_b32_e64 v5, 0, v5, s[20:21]
	v_add_u32_e32 v3, v3, v5
	v_cmp_lt_u32_e64 s[24:25], 7, v55
	v_cmp_lt_u32_e64 s[28:29], 31, v44
	v_mov_b32_dpp v5, v3 row_shr:4 row_mask:0xf bank_mask:0xf
	v_cndmask_b32_e64 v5, 0, v5, s[22:23]
	v_add_u32_e32 v3, v3, v5
	v_cmp_eq_u32_e64 s[26:27], 0, v57
	s_nop 0
	v_mov_b32_dpp v5, v3 row_shr:8 row_mask:0xf bank_mask:0xf
	v_cndmask_b32_e64 v5, 0, v5, s[24:25]
	v_add_u32_e32 v3, v3, v5
	s_nop 1
	v_mov_b32_dpp v5, v3 row_bcast:15 row_mask:0xf bank_mask:0xf
	v_and_b32_e32 v5, v56, v5
	v_add_u32_e32 v3, v3, v5
	s_nop 1
	v_mov_b32_dpp v5, v3 row_bcast:31 row_mask:0xf bank_mask:0xf
	v_cndmask_b32_e64 v5, 0, v5, s[28:29]
	v_add_u32_e32 v3, v3, v5
	s_and_saveexec_b64 s[30:31], s[8:9]
; %bb.341:                              ;   in Loop: Header=BB1640_12 Depth=1
	ds_write_b32 v48, v3
; %bb.342:                              ;   in Loop: Header=BB1640_12 Depth=1
	s_or_b64 exec, exec, s[30:31]
	s_waitcnt lgkmcnt(0)
	s_barrier
	s_and_saveexec_b64 s[30:31], s[10:11]
	s_cbranch_execz .LBB1640_344
; %bb.343:                              ;   in Loop: Header=BB1640_12 Depth=1
	ds_read_b32 v5, v49
	v_cmp_ne_u32_e32 vcc, 0, v58
	s_waitcnt lgkmcnt(0)
	v_mov_b32_dpp v6, v5 row_shr:1 row_mask:0xf bank_mask:0xf
	v_cndmask_b32_e32 v6, 0, v6, vcc
	v_add_u32_e32 v5, v6, v5
	v_cmp_lt_u32_e32 vcc, 1, v58
	s_nop 0
	v_mov_b32_dpp v6, v5 row_shr:2 row_mask:0xf bank_mask:0xf
	v_cndmask_b32_e32 v6, 0, v6, vcc
	v_add_u32_e32 v5, v5, v6
	ds_write_b32 v49, v5
.LBB1640_344:                           ;   in Loop: Header=BB1640_12 Depth=1
	s_or_b64 exec, exec, s[30:31]
	v_mov_b32_e32 v5, 0
	s_waitcnt lgkmcnt(0)
	s_barrier
	s_and_saveexec_b64 s[30:31], s[12:13]
; %bb.345:                              ;   in Loop: Header=BB1640_12 Depth=1
	ds_read_b32 v5, v50
; %bb.346:                              ;   in Loop: Header=BB1640_12 Depth=1
	s_or_b64 exec, exec, s[30:31]
	v_subrev_co_u32_e64 v6, s[30:31], 1, v44
	v_cmp_lt_i32_e32 vcc, v6, v59
	v_cndmask_b32_e32 v6, v6, v44, vcc
	s_waitcnt lgkmcnt(0)
	v_add_u32_e32 v3, v5, v3
	v_lshlrev_b32_e32 v64, 2, v6
	ds_bpermute_b32 v3, v64, v3
	s_waitcnt lgkmcnt(0)
	s_barrier
	s_and_saveexec_b64 s[34:35], s[4:5]
; %bb.347:                              ;   in Loop: Header=BB1640_12 Depth=1
	v_cndmask_b32_e64 v3, v3, v5, s[30:31]
	v_add_u32_e32 v3, s63, v3
	ds_write_b32 v18, v3
; %bb.348:                              ;   in Loop: Header=BB1640_12 Depth=1
	s_or_b64 exec, exec, s[34:35]
	s_load_dwordx2 s[34:35], s[46:47], 0x0
	v_add_co_u32_e32 v65, vcc, v40, v60
	v_addc_co_u32_e32 v66, vcc, 0, v41, vcc
	s_waitcnt lgkmcnt(0)
	s_cmp_lt_u32 s33, s35
	s_cselect_b32 s35, 14, 20
	s_add_u32 s36, s46, s35
	s_addc_u32 s37, s47, 0
	s_cmp_lt_u32 s6, s34
	s_cselect_b32 s34, 12, 18
	s_add_u32 s34, s46, s34
	global_load_ushort v3, v4, s[36:37]
	s_addc_u32 s35, s47, 0
	global_load_ushort v5, v4, s[34:35]
	v_add_co_u32_e32 v67, vcc, v42, v45
	v_cmp_eq_u32_e64 s[34:35], 0, v58
	v_cmp_lt_u32_e64 s[36:37], 1, v58
	v_addc_co_u32_e32 v68, vcc, 0, v43, vcc
	s_mov_b32 s59, s71
	s_mov_b32 s56, s63
                                        ; implicit-def: $vgpr7_vgpr8
                                        ; implicit-def: $vgpr9_vgpr10
                                        ; implicit-def: $vgpr11_vgpr12
                                        ; implicit-def: $vgpr69
                                        ; implicit-def: $vgpr70
                                        ; implicit-def: $vgpr72
                                        ; implicit-def: $vgpr73
	s_waitcnt vmcnt(1)
	v_mad_u32_u24 v3, v2, v3, v1
	s_waitcnt vmcnt(0)
	v_mad_u64_u32 v[13:14], s[38:39], v3, v5, v[0:1]
                                        ; implicit-def: $vgpr5_vgpr6
	v_lshrrev_b32_e32 v3, 4, v13
	v_and_b32_e32 v71, 0xffffffc, v3
	s_branch .LBB1640_350
.LBB1640_349:                           ;   in Loop: Header=BB1640_350 Depth=2
	s_or_b64 exec, exec, s[38:39]
	s_addk_i32 s59, 0xfc00
	s_cmp_lt_u32 s60, s74
	s_mov_b32 s56, s60
	s_cbranch_scc0 .LBB1640_10
.LBB1640_350:                           ;   Parent Loop BB1640_12 Depth=1
                                        ; =>  This Inner Loop Header: Depth=2
	s_add_i32 s60, s56, 0x400
	s_cmp_gt_u32 s60, s74
	s_cbranch_scc1 .LBB1640_352
; %bb.351:                              ;   in Loop: Header=BB1640_350 Depth=2
	v_add_co_u32_e32 v13, vcc, s56, v67
	v_addc_co_u32_e32 v14, vcc, 0, v68, vcc
	global_load_ubyte v17, v[13:14], off
	global_load_ubyte v75, v[13:14], off offset:64
	global_load_ubyte v76, v[13:14], off offset:128
	s_mov_b64 s[38:39], -1
	s_movk_i32 s42, 0x400
	s_cbranch_execz .LBB1640_353
	s_branch .LBB1640_360
.LBB1640_352:                           ;   in Loop: Header=BB1640_350 Depth=2
	s_mov_b64 s[38:39], 0
                                        ; implicit-def: $vgpr17
                                        ; implicit-def: $vgpr75
                                        ; implicit-def: $vgpr76
	s_movk_i32 s42, 0x400
.LBB1640_353:                           ;   in Loop: Header=BB1640_350 Depth=2
	v_add_co_u32_e32 v13, vcc, s56, v67
	v_addc_co_u32_e32 v14, vcc, 0, v68, vcc
	v_cmp_gt_u32_e32 vcc, s59, v46
	s_waitcnt vmcnt(1)
	v_mov_b32_e32 v75, 1
	v_mov_b32_e32 v17, 1
	s_and_saveexec_b64 s[38:39], vcc
	s_cbranch_execz .LBB1640_355
; %bb.354:                              ;   in Loop: Header=BB1640_350 Depth=2
	global_load_ubyte v17, v[13:14], off
.LBB1640_355:                           ;   in Loop: Header=BB1640_350 Depth=2
	s_or_b64 exec, exec, s[38:39]
	v_cmp_gt_u32_e32 vcc, s59, v61
	s_and_saveexec_b64 s[38:39], vcc
	s_cbranch_execz .LBB1640_357
; %bb.356:                              ;   in Loop: Header=BB1640_350 Depth=2
	global_load_ubyte v75, v[13:14], off offset:64
.LBB1640_357:                           ;   in Loop: Header=BB1640_350 Depth=2
	s_or_b64 exec, exec, s[38:39]
	v_cmp_gt_u32_e32 vcc, s59, v62
	s_waitcnt vmcnt(0)
	v_mov_b32_e32 v76, 1
	s_and_saveexec_b64 s[38:39], vcc
	s_cbranch_execz .LBB1640_359
; %bb.358:                              ;   in Loop: Header=BB1640_350 Depth=2
	global_load_ubyte v76, v[13:14], off offset:128
.LBB1640_359:                           ;   in Loop: Header=BB1640_350 Depth=2
	s_or_b64 exec, exec, s[38:39]
	s_sub_i32 s42, s74, s56
	v_cmp_gt_u32_e64 s[38:39], s59, v63
.LBB1640_360:                           ;   in Loop: Header=BB1640_350 Depth=2
	v_mov_b32_e32 v78, 1
	v_mov_b32_e32 v74, s59
	s_and_saveexec_b64 s[40:41], s[38:39]
	s_cbranch_execz .LBB1640_362
; %bb.361:                              ;   in Loop: Header=BB1640_350 Depth=2
	v_mov_b32_e32 v3, s57
	v_add_co_u32_e32 v13, vcc, s56, v67
	v_addc_co_u32_e32 v14, vcc, v68, v3, vcc
	global_load_ubyte v78, v[13:14], off offset:192
	v_mov_b32_e32 v74, s42
.LBB1640_362:                           ;   in Loop: Header=BB1640_350 Depth=2
	s_or_b64 exec, exec, s[40:41]
	s_waitcnt vmcnt(2)
	v_lshrrev_b32_sdwa v3, s69, v17 dst_sel:DWORD dst_unused:UNUSED_PAD src0_sel:DWORD src1_sel:BYTE_0
	v_and_b32_e32 v3, s58, v3
	v_mul_u32_u24_e32 v15, 20, v3
	v_cmp_ne_u32_e32 vcc, 0, v3
	v_add_co_u32_e64 v3, s[38:39], -1, v3
	v_addc_co_u32_e64 v13, s[38:39], 0, -1, s[38:39]
	v_xor_b32_e32 v13, vcc_hi, v13
	v_xor_b32_e32 v3, vcc_lo, v3
	v_and_b32_e32 v14, exec_hi, v13
	v_and_b32_e32 v13, exec_lo, v3
	v_mbcnt_lo_u32_b32 v3, v13, 0
	v_mbcnt_hi_u32_b32 v3, v14, v3
	v_cmp_ne_u64_e32 vcc, 0, v[13:14]
	v_cmp_eq_u32_e64 s[38:39], 0, v3
	s_and_b64 s[40:41], vcc, s[38:39]
	v_add_u32_e32 v77, v71, v15
	ds_write2_b32 v53, v4, v4 offset1:1
	ds_write2_b32 v54, v4, v4 offset1:1
	ds_write_b32 v27, v4 offset:1056
	s_waitcnt vmcnt(0) lgkmcnt(0)
	s_barrier
	; wave barrier
	s_and_saveexec_b64 s[38:39], s[40:41]
; %bb.363:                              ;   in Loop: Header=BB1640_350 Depth=2
	v_bcnt_u32_b32 v13, v13, 0
	v_bcnt_u32_b32 v13, v14, v13
	ds_write_b32 v77, v13 offset:1040
; %bb.364:                              ;   in Loop: Header=BB1640_350 Depth=2
	s_or_b64 exec, exec, s[38:39]
	v_lshrrev_b32_sdwa v13, s69, v75 dst_sel:DWORD dst_unused:UNUSED_PAD src0_sel:DWORD src1_sel:BYTE_0
	v_and_b32_e32 v13, s58, v13
	v_mul_u32_u24_e32 v15, 20, v13
	v_mad_u32_u24 v14, v13, 20, v71
	v_cmp_ne_u32_e32 vcc, 0, v13
	v_add_co_u32_e64 v13, s[38:39], -1, v13
	; wave barrier
	ds_read_b32 v79, v14 offset:1040
	v_addc_co_u32_e64 v14, s[38:39], 0, -1, s[38:39]
	v_xor_b32_e32 v13, vcc_lo, v13
	v_xor_b32_e32 v14, vcc_hi, v14
	v_and_b32_e32 v13, exec_lo, v13
	v_and_b32_e32 v14, exec_hi, v14
	v_mbcnt_lo_u32_b32 v16, v13, 0
	v_mbcnt_hi_u32_b32 v80, v14, v16
	v_cmp_ne_u64_e32 vcc, 0, v[13:14]
	v_cmp_eq_u32_e64 s[38:39], 0, v80
	s_and_b64 s[40:41], vcc, s[38:39]
	v_add_u32_e32 v82, v71, v15
	; wave barrier
	s_and_saveexec_b64 s[38:39], s[40:41]
	s_cbranch_execz .LBB1640_366
; %bb.365:                              ;   in Loop: Header=BB1640_350 Depth=2
	v_bcnt_u32_b32 v13, v13, 0
	v_bcnt_u32_b32 v13, v14, v13
	s_waitcnt lgkmcnt(0)
	v_add_u32_e32 v13, v79, v13
	ds_write_b32 v82, v13 offset:1040
.LBB1640_366:                           ;   in Loop: Header=BB1640_350 Depth=2
	s_or_b64 exec, exec, s[38:39]
	v_lshrrev_b32_sdwa v13, s69, v76 dst_sel:DWORD dst_unused:UNUSED_PAD src0_sel:DWORD src1_sel:BYTE_0
	v_and_b32_e32 v13, s58, v13
	v_mul_u32_u24_e32 v15, 20, v13
	v_mad_u32_u24 v14, v13, 20, v71
	v_cmp_ne_u32_e32 vcc, 0, v13
	v_add_co_u32_e64 v13, s[38:39], -1, v13
	; wave barrier
	ds_read_b32 v81, v14 offset:1040
	v_addc_co_u32_e64 v14, s[38:39], 0, -1, s[38:39]
	v_xor_b32_e32 v13, vcc_lo, v13
	v_xor_b32_e32 v14, vcc_hi, v14
	v_and_b32_e32 v13, exec_lo, v13
	v_and_b32_e32 v14, exec_hi, v14
	v_mbcnt_lo_u32_b32 v16, v13, 0
	v_mbcnt_hi_u32_b32 v83, v14, v16
	v_cmp_ne_u64_e32 vcc, 0, v[13:14]
	v_cmp_eq_u32_e64 s[38:39], 0, v83
	s_and_b64 s[40:41], vcc, s[38:39]
	v_add_u32_e32 v85, v71, v15
	; wave barrier
	s_and_saveexec_b64 s[38:39], s[40:41]
	s_cbranch_execz .LBB1640_368
; %bb.367:                              ;   in Loop: Header=BB1640_350 Depth=2
	v_bcnt_u32_b32 v13, v13, 0
	v_bcnt_u32_b32 v13, v14, v13
	s_waitcnt lgkmcnt(0)
	v_add_u32_e32 v13, v81, v13
	ds_write_b32 v85, v13 offset:1040
.LBB1640_368:                           ;   in Loop: Header=BB1640_350 Depth=2
	;; [unrolled: 30-line block ×3, first 2 shown]
	s_or_b64 exec, exec, s[38:39]
	; wave barrier
	s_waitcnt lgkmcnt(0)
	s_barrier
	ds_read2_b32 v[15:16], v53 offset1:1
	ds_read2_b32 v[13:14], v54 offset1:1
	ds_read_b32 v88, v27 offset:1056
	s_waitcnt lgkmcnt(1)
	v_add3_u32 v89, v16, v15, v13
	s_waitcnt lgkmcnt(0)
	v_add3_u32 v88, v89, v14, v88
	s_nop 1
	v_mov_b32_dpp v89, v88 row_shr:1 row_mask:0xf bank_mask:0xf
	v_cndmask_b32_e64 v89, v89, 0, s[18:19]
	v_add_u32_e32 v88, v89, v88
	s_nop 1
	v_mov_b32_dpp v89, v88 row_shr:2 row_mask:0xf bank_mask:0xf
	v_cndmask_b32_e64 v89, 0, v89, s[20:21]
	v_add_u32_e32 v88, v88, v89
	;; [unrolled: 4-line block ×4, first 2 shown]
	s_nop 1
	v_mov_b32_dpp v89, v88 row_bcast:15 row_mask:0xf bank_mask:0xf
	v_cndmask_b32_e64 v89, v89, 0, s[26:27]
	v_add_u32_e32 v88, v88, v89
	s_nop 1
	v_mov_b32_dpp v89, v88 row_bcast:31 row_mask:0xf bank_mask:0xf
	v_cndmask_b32_e64 v89, 0, v89, s[28:29]
	v_add_u32_e32 v88, v88, v89
	s_and_saveexec_b64 s[38:39], s[8:9]
; %bb.371:                              ;   in Loop: Header=BB1640_350 Depth=2
	ds_write_b32 v26, v88 offset:1024
; %bb.372:                              ;   in Loop: Header=BB1640_350 Depth=2
	s_or_b64 exec, exec, s[38:39]
	s_waitcnt lgkmcnt(0)
	s_barrier
	s_and_saveexec_b64 s[38:39], s[10:11]
	s_cbranch_execz .LBB1640_374
; %bb.373:                              ;   in Loop: Header=BB1640_350 Depth=2
	ds_read_b32 v89, v47 offset:1024
	s_waitcnt lgkmcnt(0)
	s_nop 0
	v_mov_b32_dpp v90, v89 row_shr:1 row_mask:0xf bank_mask:0xf
	v_cndmask_b32_e64 v90, v90, 0, s[34:35]
	v_add_u32_e32 v89, v90, v89
	s_nop 1
	v_mov_b32_dpp v90, v89 row_shr:2 row_mask:0xf bank_mask:0xf
	v_cndmask_b32_e64 v90, 0, v90, s[36:37]
	v_add_u32_e32 v89, v89, v90
	ds_write_b32 v47, v89 offset:1024
.LBB1640_374:                           ;   in Loop: Header=BB1640_350 Depth=2
	s_or_b64 exec, exec, s[38:39]
	v_mov_b32_e32 v89, 0
	s_waitcnt lgkmcnt(0)
	s_barrier
	s_and_saveexec_b64 s[38:39], s[12:13]
; %bb.375:                              ;   in Loop: Header=BB1640_350 Depth=2
	ds_read_b32 v89, v26 offset:1020
; %bb.376:                              ;   in Loop: Header=BB1640_350 Depth=2
	s_or_b64 exec, exec, s[38:39]
	s_waitcnt lgkmcnt(0)
	v_add_u32_e32 v88, v89, v88
	ds_bpermute_b32 v88, v64, v88
	s_waitcnt lgkmcnt(0)
	v_cndmask_b32_e64 v88, v88, v89, s[30:31]
	v_cndmask_b32_e64 v88, v88, 0, s[14:15]
	v_add_u32_e32 v15, v88, v15
	v_add_u32_e32 v16, v15, v16
	;; [unrolled: 1-line block ×4, first 2 shown]
	ds_write2_b32 v53, v88, v15 offset1:1
	ds_write2_b32 v54, v16, v13 offset1:1
	ds_write_b32 v27, v14 offset:1056
	s_waitcnt lgkmcnt(0)
	s_barrier
	ds_read_b32 v13, v77 offset:1040
	ds_read_b32 v14, v82 offset:1040
	;; [unrolled: 1-line block ×5, first 2 shown]
	v_mov_b32_e32 v77, 0x400
	s_and_saveexec_b64 s[38:39], s[16:17]
; %bb.377:                              ;   in Loop: Header=BB1640_350 Depth=2
	ds_read_b32 v77, v27 offset:1060
; %bb.378:                              ;   in Loop: Header=BB1640_350 Depth=2
	s_or_b64 exec, exec, s[38:39]
	s_waitcnt lgkmcnt(0)
	s_barrier
	s_and_saveexec_b64 s[38:39], s[4:5]
	s_cbranch_execz .LBB1640_380
; %bb.379:                              ;   in Loop: Header=BB1640_350 Depth=2
	ds_read_b32 v85, v18
	s_waitcnt lgkmcnt(0)
	v_sub_u32_e32 v15, v85, v15
	ds_write_b32 v18, v15
.LBB1640_380:                           ;   in Loop: Header=BB1640_350 Depth=2
	s_or_b64 exec, exec, s[38:39]
	v_add_u32_e32 v15, v13, v3
	v_add3_u32 v14, v80, v79, v14
	v_add3_u32 v13, v83, v81, v16
	;; [unrolled: 1-line block ×3, first 2 shown]
	v_cmp_lt_u32_e64 s[42:43], v0, v74
	ds_write_b8 v15, v17 offset:1024
	ds_write_b8 v14, v75 offset:1024
	;; [unrolled: 1-line block ×4, first 2 shown]
	s_waitcnt lgkmcnt(0)
	s_barrier
	s_and_saveexec_b64 s[38:39], s[42:43]
	s_cbranch_execnz .LBB1640_401
; %bb.381:                              ;   in Loop: Header=BB1640_350 Depth=2
	s_or_b64 exec, exec, s[38:39]
	v_cmp_lt_u32_e64 s[40:41], v19, v74
	s_and_saveexec_b64 s[38:39], s[40:41]
	s_cbranch_execnz .LBB1640_402
.LBB1640_382:                           ;   in Loop: Header=BB1640_350 Depth=2
	s_or_b64 exec, exec, s[38:39]
	v_cmp_lt_u32_e64 s[38:39], v20, v74
	s_and_saveexec_b64 s[44:45], s[38:39]
	s_cbranch_execnz .LBB1640_403
.LBB1640_383:                           ;   in Loop: Header=BB1640_350 Depth=2
	s_or_b64 exec, exec, s[44:45]
	v_cmp_lt_u32_e32 vcc, v21, v74
	s_and_saveexec_b64 s[44:45], vcc
	s_cbranch_execz .LBB1640_385
.LBB1640_384:                           ;   in Loop: Header=BB1640_350 Depth=2
	ds_read_u8 v16, v0 offset:1792
	s_waitcnt lgkmcnt(0)
	v_and_b32_e32 v17, 1, v16
	v_lshrrev_b32_e32 v17, s69, v17
	v_and_b32_e32 v17, s58, v17
	v_lshlrev_b32_e32 v17, 2, v17
	ds_read_b32 v17, v17
	s_waitcnt lgkmcnt(0)
	v_add_u32_e32 v17, v17, v21
	global_store_byte v17, v16, s[52:53]
.LBB1640_385:                           ;   in Loop: Header=BB1640_350 Depth=2
	s_or_b64 exec, exec, s[44:45]
	s_lshl_b64 s[44:45], s[56:57], 3
	v_mov_b32_e32 v17, s45
	v_add_co_u32_e64 v16, s[44:45], s44, v65
	v_addc_co_u32_e64 v17, s[44:45], v66, v17, s[44:45]
	v_cmp_lt_u32_e64 s[44:45], v46, v74
	s_and_saveexec_b64 s[54:55], s[44:45]
	s_xor_b64 s[44:45], exec, s[54:55]
	s_cbranch_execnz .LBB1640_404
; %bb.386:                              ;   in Loop: Header=BB1640_350 Depth=2
	s_or_b64 exec, exec, s[44:45]
	v_cmp_lt_u32_e64 s[44:45], v61, v74
	s_and_saveexec_b64 s[54:55], s[44:45]
	s_cbranch_execnz .LBB1640_405
.LBB1640_387:                           ;   in Loop: Header=BB1640_350 Depth=2
	s_or_b64 exec, exec, s[54:55]
	v_cmp_lt_u32_e64 s[44:45], v62, v74
	s_and_saveexec_b64 s[54:55], s[44:45]
	s_cbranch_execnz .LBB1640_406
.LBB1640_388:                           ;   in Loop: Header=BB1640_350 Depth=2
	s_or_b64 exec, exec, s[54:55]
	v_cmp_lt_u32_e64 s[44:45], v63, v74
	s_and_saveexec_b64 s[54:55], s[44:45]
	s_cbranch_execnz .LBB1640_407
.LBB1640_389:                           ;   in Loop: Header=BB1640_350 Depth=2
	s_or_b64 exec, exec, s[54:55]
	s_and_saveexec_b64 s[44:45], s[42:43]
	s_cbranch_execnz .LBB1640_408
.LBB1640_390:                           ;   in Loop: Header=BB1640_350 Depth=2
	s_or_b64 exec, exec, s[44:45]
	s_and_saveexec_b64 s[44:45], s[40:41]
	s_cbranch_execnz .LBB1640_409
.LBB1640_391:                           ;   in Loop: Header=BB1640_350 Depth=2
	s_or_b64 exec, exec, s[44:45]
	s_and_saveexec_b64 s[44:45], s[38:39]
	s_cbranch_execnz .LBB1640_410
.LBB1640_392:                           ;   in Loop: Header=BB1640_350 Depth=2
	s_or_b64 exec, exec, s[44:45]
	s_and_saveexec_b64 s[44:45], vcc
	s_cbranch_execz .LBB1640_394
.LBB1640_393:                           ;   in Loop: Header=BB1640_350 Depth=2
	ds_read_u8 v16, v0 offset:1792
	s_waitcnt lgkmcnt(0)
	v_lshrrev_b32_e32 v16, s69, v16
	v_and_b32_e32 v69, s58, v16
.LBB1640_394:                           ;   in Loop: Header=BB1640_350 Depth=2
	s_or_b64 exec, exec, s[44:45]
	v_mad_u64_u32 v[15:16], s[44:45], v15, 7, v[15:16]
	v_mad_u64_u32 v[74:75], s[44:45], v3, 7, v[3:4]
	;; [unrolled: 1-line block ×4, first 2 shown]
	s_waitcnt vmcnt(0)
	s_barrier
	ds_write_b64 v15, v[11:12] offset:1024
	ds_write_b64 v16, v[9:10] offset:1024
	;; [unrolled: 1-line block ×4, first 2 shown]
	v_add_u32_e32 v13, v0, v51
	s_waitcnt lgkmcnt(0)
	s_barrier
	s_and_saveexec_b64 s[44:45], s[42:43]
	s_cbranch_execnz .LBB1640_411
; %bb.395:                              ;   in Loop: Header=BB1640_350 Depth=2
	s_or_b64 exec, exec, s[44:45]
	s_and_saveexec_b64 s[42:43], s[40:41]
	s_cbranch_execnz .LBB1640_412
.LBB1640_396:                           ;   in Loop: Header=BB1640_350 Depth=2
	s_or_b64 exec, exec, s[42:43]
	s_and_saveexec_b64 s[40:41], s[38:39]
	s_cbranch_execnz .LBB1640_413
.LBB1640_397:                           ;   in Loop: Header=BB1640_350 Depth=2
	s_or_b64 exec, exec, s[40:41]
	s_and_saveexec_b64 s[38:39], vcc
	s_cbranch_execz .LBB1640_399
.LBB1640_398:                           ;   in Loop: Header=BB1640_350 Depth=2
	v_lshlrev_b32_e32 v3, 2, v69
	ds_read_b32 v3, v3
	ds_read_b64 v[13:14], v13 offset:7168
	v_mov_b32_e32 v17, s67
	s_waitcnt lgkmcnt(1)
	v_add_u32_e32 v3, v3, v21
	v_lshlrev_b64 v[15:16], 3, v[3:4]
	v_add_co_u32_e32 v15, vcc, s66, v15
	v_addc_co_u32_e32 v16, vcc, v17, v16, vcc
	s_waitcnt lgkmcnt(0)
	global_store_dwordx2 v[15:16], v[13:14], off
.LBB1640_399:                           ;   in Loop: Header=BB1640_350 Depth=2
	s_or_b64 exec, exec, s[38:39]
	s_waitcnt vmcnt(0)
	s_barrier
	s_and_saveexec_b64 s[38:39], s[4:5]
	s_cbranch_execz .LBB1640_349
; %bb.400:                              ;   in Loop: Header=BB1640_350 Depth=2
	ds_read_b32 v3, v18
	s_waitcnt lgkmcnt(0)
	v_add_u32_e32 v3, v3, v77
	ds_write_b32 v18, v3
	s_branch .LBB1640_349
.LBB1640_401:                           ;   in Loop: Header=BB1640_350 Depth=2
	ds_read_u8 v16, v0 offset:1024
	s_waitcnt lgkmcnt(0)
	v_and_b32_e32 v17, 1, v16
	v_lshrrev_b32_e32 v17, s69, v17
	v_and_b32_e32 v17, s58, v17
	v_lshlrev_b32_e32 v17, 2, v17
	ds_read_b32 v17, v17
	s_waitcnt lgkmcnt(0)
	v_add_u32_e32 v17, v17, v0
	global_store_byte v17, v16, s[52:53]
	s_or_b64 exec, exec, s[38:39]
	v_cmp_lt_u32_e64 s[40:41], v19, v74
	s_and_saveexec_b64 s[38:39], s[40:41]
	s_cbranch_execz .LBB1640_382
.LBB1640_402:                           ;   in Loop: Header=BB1640_350 Depth=2
	ds_read_u8 v16, v0 offset:1280
	s_waitcnt lgkmcnt(0)
	v_and_b32_e32 v17, 1, v16
	v_lshrrev_b32_e32 v17, s69, v17
	v_and_b32_e32 v17, s58, v17
	v_lshlrev_b32_e32 v17, 2, v17
	ds_read_b32 v17, v17
	s_waitcnt lgkmcnt(0)
	v_add_u32_e32 v17, v17, v19
	global_store_byte v17, v16, s[52:53]
	s_or_b64 exec, exec, s[38:39]
	v_cmp_lt_u32_e64 s[38:39], v20, v74
	s_and_saveexec_b64 s[44:45], s[38:39]
	s_cbranch_execz .LBB1640_383
.LBB1640_403:                           ;   in Loop: Header=BB1640_350 Depth=2
	ds_read_u8 v16, v0 offset:1536
	s_waitcnt lgkmcnt(0)
	v_and_b32_e32 v17, 1, v16
	v_lshrrev_b32_e32 v17, s69, v17
	v_and_b32_e32 v17, s58, v17
	v_lshlrev_b32_e32 v17, 2, v17
	ds_read_b32 v17, v17
	s_waitcnt lgkmcnt(0)
	v_add_u32_e32 v17, v17, v20
	global_store_byte v17, v16, s[52:53]
	s_or_b64 exec, exec, s[44:45]
	v_cmp_lt_u32_e32 vcc, v21, v74
	s_and_saveexec_b64 s[44:45], vcc
	s_cbranch_execnz .LBB1640_384
	s_branch .LBB1640_385
.LBB1640_404:                           ;   in Loop: Header=BB1640_350 Depth=2
	global_load_dwordx2 v[11:12], v[16:17], off
	s_or_b64 exec, exec, s[44:45]
	v_cmp_lt_u32_e64 s[44:45], v61, v74
	s_and_saveexec_b64 s[54:55], s[44:45]
	s_cbranch_execz .LBB1640_387
.LBB1640_405:                           ;   in Loop: Header=BB1640_350 Depth=2
	global_load_dwordx2 v[9:10], v[16:17], off offset:512
	s_or_b64 exec, exec, s[54:55]
	v_cmp_lt_u32_e64 s[44:45], v62, v74
	s_and_saveexec_b64 s[54:55], s[44:45]
	s_cbranch_execz .LBB1640_388
.LBB1640_406:                           ;   in Loop: Header=BB1640_350 Depth=2
	global_load_dwordx2 v[7:8], v[16:17], off offset:1024
	s_or_b64 exec, exec, s[54:55]
	v_cmp_lt_u32_e64 s[44:45], v63, v74
	s_and_saveexec_b64 s[54:55], s[44:45]
	s_cbranch_execz .LBB1640_389
.LBB1640_407:                           ;   in Loop: Header=BB1640_350 Depth=2
	global_load_dwordx2 v[5:6], v[16:17], off offset:1536
	s_or_b64 exec, exec, s[54:55]
	s_and_saveexec_b64 s[44:45], s[42:43]
	s_cbranch_execz .LBB1640_390
.LBB1640_408:                           ;   in Loop: Header=BB1640_350 Depth=2
	ds_read_u8 v16, v0 offset:1024
	s_waitcnt lgkmcnt(0)
	v_lshrrev_b32_e32 v16, s69, v16
	v_and_b32_e32 v73, s58, v16
	s_or_b64 exec, exec, s[44:45]
	s_and_saveexec_b64 s[44:45], s[40:41]
	s_cbranch_execz .LBB1640_391
.LBB1640_409:                           ;   in Loop: Header=BB1640_350 Depth=2
	ds_read_u8 v16, v0 offset:1280
	s_waitcnt lgkmcnt(0)
	v_lshrrev_b32_e32 v16, s69, v16
	v_and_b32_e32 v72, s58, v16
	s_or_b64 exec, exec, s[44:45]
	s_and_saveexec_b64 s[44:45], s[38:39]
	s_cbranch_execz .LBB1640_392
.LBB1640_410:                           ;   in Loop: Header=BB1640_350 Depth=2
	ds_read_u8 v16, v0 offset:1536
	s_waitcnt lgkmcnt(0)
	v_lshrrev_b32_e32 v16, s69, v16
	v_and_b32_e32 v70, s58, v16
	s_or_b64 exec, exec, s[44:45]
	s_and_saveexec_b64 s[44:45], vcc
	s_cbranch_execnz .LBB1640_393
	s_branch .LBB1640_394
.LBB1640_411:                           ;   in Loop: Header=BB1640_350 Depth=2
	v_lshlrev_b32_e32 v3, 2, v73
	ds_read_b32 v3, v3
	ds_read_b64 v[14:15], v13 offset:1024
	v_mov_b32_e32 v74, s67
	s_waitcnt lgkmcnt(1)
	v_add_u32_e32 v3, v3, v0
	v_lshlrev_b64 v[16:17], 3, v[3:4]
	v_add_co_u32_e64 v16, s[42:43], s66, v16
	v_addc_co_u32_e64 v17, s[42:43], v74, v17, s[42:43]
	s_waitcnt lgkmcnt(0)
	global_store_dwordx2 v[16:17], v[14:15], off
	s_or_b64 exec, exec, s[44:45]
	s_and_saveexec_b64 s[42:43], s[40:41]
	s_cbranch_execz .LBB1640_396
.LBB1640_412:                           ;   in Loop: Header=BB1640_350 Depth=2
	v_lshlrev_b32_e32 v3, 2, v72
	ds_read_b32 v3, v3
	ds_read_b64 v[14:15], v13 offset:3072
	v_mov_b32_e32 v74, s67
	s_waitcnt lgkmcnt(1)
	v_add_u32_e32 v3, v3, v19
	v_lshlrev_b64 v[16:17], 3, v[3:4]
	v_add_co_u32_e64 v16, s[40:41], s66, v16
	v_addc_co_u32_e64 v17, s[40:41], v74, v17, s[40:41]
	s_waitcnt lgkmcnt(0)
	global_store_dwordx2 v[16:17], v[14:15], off
	s_or_b64 exec, exec, s[42:43]
	s_and_saveexec_b64 s[40:41], s[38:39]
	s_cbranch_execz .LBB1640_397
.LBB1640_413:                           ;   in Loop: Header=BB1640_350 Depth=2
	v_lshlrev_b32_e32 v3, 2, v70
	ds_read_b32 v3, v3
	ds_read_b64 v[14:15], v13 offset:5120
	v_mov_b32_e32 v74, s67
	s_waitcnt lgkmcnt(1)
	v_add_u32_e32 v3, v3, v20
	v_lshlrev_b64 v[16:17], 3, v[3:4]
	v_add_co_u32_e64 v16, s[38:39], s66, v16
	v_addc_co_u32_e64 v17, s[38:39], v74, v17, s[38:39]
	s_waitcnt lgkmcnt(0)
	global_store_dwordx2 v[16:17], v[14:15], off
	s_or_b64 exec, exec, s[40:41]
	s_and_saveexec_b64 s[38:39], vcc
	s_cbranch_execnz .LBB1640_398
	s_branch .LBB1640_399
.LBB1640_414:
	s_endpgm
	.section	.rodata,"a",@progbits
	.p2align	6, 0x0
	.amdhsa_kernel _ZN7rocprim17ROCPRIM_400000_NS6detail17trampoline_kernelINS0_14default_configENS1_36segmented_radix_sort_config_selectorIblEEZNS1_25segmented_radix_sort_implIS3_Lb0EPKbPbPKlPlN2at6native12_GLOBAL__N_18offset_tEEE10hipError_tPvRmT1_PNSt15iterator_traitsISK_E10value_typeET2_T3_PNSL_ISQ_E10value_typeET4_jRbjT5_SW_jjP12ihipStream_tbEUlT_E_NS1_11comp_targetILNS1_3genE2ELNS1_11target_archE906ELNS1_3gpuE6ELNS1_3repE0EEENS1_30default_config_static_selectorELNS0_4arch9wavefront6targetE1EEEvSK_
		.amdhsa_group_segment_fixed_size 9232
		.amdhsa_private_segment_fixed_size 0
		.amdhsa_kernarg_size 352
		.amdhsa_user_sgpr_count 6
		.amdhsa_user_sgpr_private_segment_buffer 1
		.amdhsa_user_sgpr_dispatch_ptr 0
		.amdhsa_user_sgpr_queue_ptr 0
		.amdhsa_user_sgpr_kernarg_segment_ptr 1
		.amdhsa_user_sgpr_dispatch_id 0
		.amdhsa_user_sgpr_flat_scratch_init 0
		.amdhsa_user_sgpr_private_segment_size 0
		.amdhsa_uses_dynamic_stack 0
		.amdhsa_system_sgpr_private_segment_wavefront_offset 0
		.amdhsa_system_sgpr_workgroup_id_x 1
		.amdhsa_system_sgpr_workgroup_id_y 1
		.amdhsa_system_sgpr_workgroup_id_z 0
		.amdhsa_system_sgpr_workgroup_info 0
		.amdhsa_system_vgpr_workitem_id 2
		.amdhsa_next_free_vgpr 97
		.amdhsa_next_free_sgpr 77
		.amdhsa_reserve_vcc 1
		.amdhsa_reserve_flat_scratch 0
		.amdhsa_float_round_mode_32 0
		.amdhsa_float_round_mode_16_64 0
		.amdhsa_float_denorm_mode_32 3
		.amdhsa_float_denorm_mode_16_64 3
		.amdhsa_dx10_clamp 1
		.amdhsa_ieee_mode 1
		.amdhsa_fp16_overflow 0
		.amdhsa_exception_fp_ieee_invalid_op 0
		.amdhsa_exception_fp_denorm_src 0
		.amdhsa_exception_fp_ieee_div_zero 0
		.amdhsa_exception_fp_ieee_overflow 0
		.amdhsa_exception_fp_ieee_underflow 0
		.amdhsa_exception_fp_ieee_inexact 0
		.amdhsa_exception_int_div_zero 0
	.end_amdhsa_kernel
	.section	.text._ZN7rocprim17ROCPRIM_400000_NS6detail17trampoline_kernelINS0_14default_configENS1_36segmented_radix_sort_config_selectorIblEEZNS1_25segmented_radix_sort_implIS3_Lb0EPKbPbPKlPlN2at6native12_GLOBAL__N_18offset_tEEE10hipError_tPvRmT1_PNSt15iterator_traitsISK_E10value_typeET2_T3_PNSL_ISQ_E10value_typeET4_jRbjT5_SW_jjP12ihipStream_tbEUlT_E_NS1_11comp_targetILNS1_3genE2ELNS1_11target_archE906ELNS1_3gpuE6ELNS1_3repE0EEENS1_30default_config_static_selectorELNS0_4arch9wavefront6targetE1EEEvSK_,"axG",@progbits,_ZN7rocprim17ROCPRIM_400000_NS6detail17trampoline_kernelINS0_14default_configENS1_36segmented_radix_sort_config_selectorIblEEZNS1_25segmented_radix_sort_implIS3_Lb0EPKbPbPKlPlN2at6native12_GLOBAL__N_18offset_tEEE10hipError_tPvRmT1_PNSt15iterator_traitsISK_E10value_typeET2_T3_PNSL_ISQ_E10value_typeET4_jRbjT5_SW_jjP12ihipStream_tbEUlT_E_NS1_11comp_targetILNS1_3genE2ELNS1_11target_archE906ELNS1_3gpuE6ELNS1_3repE0EEENS1_30default_config_static_selectorELNS0_4arch9wavefront6targetE1EEEvSK_,comdat
.Lfunc_end1640:
	.size	_ZN7rocprim17ROCPRIM_400000_NS6detail17trampoline_kernelINS0_14default_configENS1_36segmented_radix_sort_config_selectorIblEEZNS1_25segmented_radix_sort_implIS3_Lb0EPKbPbPKlPlN2at6native12_GLOBAL__N_18offset_tEEE10hipError_tPvRmT1_PNSt15iterator_traitsISK_E10value_typeET2_T3_PNSL_ISQ_E10value_typeET4_jRbjT5_SW_jjP12ihipStream_tbEUlT_E_NS1_11comp_targetILNS1_3genE2ELNS1_11target_archE906ELNS1_3gpuE6ELNS1_3repE0EEENS1_30default_config_static_selectorELNS0_4arch9wavefront6targetE1EEEvSK_, .Lfunc_end1640-_ZN7rocprim17ROCPRIM_400000_NS6detail17trampoline_kernelINS0_14default_configENS1_36segmented_radix_sort_config_selectorIblEEZNS1_25segmented_radix_sort_implIS3_Lb0EPKbPbPKlPlN2at6native12_GLOBAL__N_18offset_tEEE10hipError_tPvRmT1_PNSt15iterator_traitsISK_E10value_typeET2_T3_PNSL_ISQ_E10value_typeET4_jRbjT5_SW_jjP12ihipStream_tbEUlT_E_NS1_11comp_targetILNS1_3genE2ELNS1_11target_archE906ELNS1_3gpuE6ELNS1_3repE0EEENS1_30default_config_static_selectorELNS0_4arch9wavefront6targetE1EEEvSK_
                                        ; -- End function
	.set _ZN7rocprim17ROCPRIM_400000_NS6detail17trampoline_kernelINS0_14default_configENS1_36segmented_radix_sort_config_selectorIblEEZNS1_25segmented_radix_sort_implIS3_Lb0EPKbPbPKlPlN2at6native12_GLOBAL__N_18offset_tEEE10hipError_tPvRmT1_PNSt15iterator_traitsISK_E10value_typeET2_T3_PNSL_ISQ_E10value_typeET4_jRbjT5_SW_jjP12ihipStream_tbEUlT_E_NS1_11comp_targetILNS1_3genE2ELNS1_11target_archE906ELNS1_3gpuE6ELNS1_3repE0EEENS1_30default_config_static_selectorELNS0_4arch9wavefront6targetE1EEEvSK_.num_vgpr, max(91, .L_ZN7rocprim17ROCPRIM_400000_NS6detail40segmented_radix_sort_single_block_helperIblLj256ELj4ELb0EE4sortIPKbPbPKlPlEEbT_T0_T1_T2_jjjjRNS3_12storage_typeE.num_vgpr)
	.set _ZN7rocprim17ROCPRIM_400000_NS6detail17trampoline_kernelINS0_14default_configENS1_36segmented_radix_sort_config_selectorIblEEZNS1_25segmented_radix_sort_implIS3_Lb0EPKbPbPKlPlN2at6native12_GLOBAL__N_18offset_tEEE10hipError_tPvRmT1_PNSt15iterator_traitsISK_E10value_typeET2_T3_PNSL_ISQ_E10value_typeET4_jRbjT5_SW_jjP12ihipStream_tbEUlT_E_NS1_11comp_targetILNS1_3genE2ELNS1_11target_archE906ELNS1_3gpuE6ELNS1_3repE0EEENS1_30default_config_static_selectorELNS0_4arch9wavefront6targetE1EEEvSK_.num_agpr, max(0, .L_ZN7rocprim17ROCPRIM_400000_NS6detail40segmented_radix_sort_single_block_helperIblLj256ELj4ELb0EE4sortIPKbPbPKlPlEEbT_T0_T1_T2_jjjjRNS3_12storage_typeE.num_agpr)
	.set _ZN7rocprim17ROCPRIM_400000_NS6detail17trampoline_kernelINS0_14default_configENS1_36segmented_radix_sort_config_selectorIblEEZNS1_25segmented_radix_sort_implIS3_Lb0EPKbPbPKlPlN2at6native12_GLOBAL__N_18offset_tEEE10hipError_tPvRmT1_PNSt15iterator_traitsISK_E10value_typeET2_T3_PNSL_ISQ_E10value_typeET4_jRbjT5_SW_jjP12ihipStream_tbEUlT_E_NS1_11comp_targetILNS1_3genE2ELNS1_11target_archE906ELNS1_3gpuE6ELNS1_3repE0EEENS1_30default_config_static_selectorELNS0_4arch9wavefront6targetE1EEEvSK_.numbered_sgpr, max(75, .L_ZN7rocprim17ROCPRIM_400000_NS6detail40segmented_radix_sort_single_block_helperIblLj256ELj4ELb0EE4sortIPKbPbPKlPlEEbT_T0_T1_T2_jjjjRNS3_12storage_typeE.numbered_sgpr)
	.set _ZN7rocprim17ROCPRIM_400000_NS6detail17trampoline_kernelINS0_14default_configENS1_36segmented_radix_sort_config_selectorIblEEZNS1_25segmented_radix_sort_implIS3_Lb0EPKbPbPKlPlN2at6native12_GLOBAL__N_18offset_tEEE10hipError_tPvRmT1_PNSt15iterator_traitsISK_E10value_typeET2_T3_PNSL_ISQ_E10value_typeET4_jRbjT5_SW_jjP12ihipStream_tbEUlT_E_NS1_11comp_targetILNS1_3genE2ELNS1_11target_archE906ELNS1_3gpuE6ELNS1_3repE0EEENS1_30default_config_static_selectorELNS0_4arch9wavefront6targetE1EEEvSK_.num_named_barrier, max(0, .L_ZN7rocprim17ROCPRIM_400000_NS6detail40segmented_radix_sort_single_block_helperIblLj256ELj4ELb0EE4sortIPKbPbPKlPlEEbT_T0_T1_T2_jjjjRNS3_12storage_typeE.num_named_barrier)
	.set _ZN7rocprim17ROCPRIM_400000_NS6detail17trampoline_kernelINS0_14default_configENS1_36segmented_radix_sort_config_selectorIblEEZNS1_25segmented_radix_sort_implIS3_Lb0EPKbPbPKlPlN2at6native12_GLOBAL__N_18offset_tEEE10hipError_tPvRmT1_PNSt15iterator_traitsISK_E10value_typeET2_T3_PNSL_ISQ_E10value_typeET4_jRbjT5_SW_jjP12ihipStream_tbEUlT_E_NS1_11comp_targetILNS1_3genE2ELNS1_11target_archE906ELNS1_3gpuE6ELNS1_3repE0EEENS1_30default_config_static_selectorELNS0_4arch9wavefront6targetE1EEEvSK_.private_seg_size, 0+max(.L_ZN7rocprim17ROCPRIM_400000_NS6detail40segmented_radix_sort_single_block_helperIblLj256ELj4ELb0EE4sortIPKbPbPKlPlEEbT_T0_T1_T2_jjjjRNS3_12storage_typeE.private_seg_size)
	.set _ZN7rocprim17ROCPRIM_400000_NS6detail17trampoline_kernelINS0_14default_configENS1_36segmented_radix_sort_config_selectorIblEEZNS1_25segmented_radix_sort_implIS3_Lb0EPKbPbPKlPlN2at6native12_GLOBAL__N_18offset_tEEE10hipError_tPvRmT1_PNSt15iterator_traitsISK_E10value_typeET2_T3_PNSL_ISQ_E10value_typeET4_jRbjT5_SW_jjP12ihipStream_tbEUlT_E_NS1_11comp_targetILNS1_3genE2ELNS1_11target_archE906ELNS1_3gpuE6ELNS1_3repE0EEENS1_30default_config_static_selectorELNS0_4arch9wavefront6targetE1EEEvSK_.uses_vcc, or(1, .L_ZN7rocprim17ROCPRIM_400000_NS6detail40segmented_radix_sort_single_block_helperIblLj256ELj4ELb0EE4sortIPKbPbPKlPlEEbT_T0_T1_T2_jjjjRNS3_12storage_typeE.uses_vcc)
	.set _ZN7rocprim17ROCPRIM_400000_NS6detail17trampoline_kernelINS0_14default_configENS1_36segmented_radix_sort_config_selectorIblEEZNS1_25segmented_radix_sort_implIS3_Lb0EPKbPbPKlPlN2at6native12_GLOBAL__N_18offset_tEEE10hipError_tPvRmT1_PNSt15iterator_traitsISK_E10value_typeET2_T3_PNSL_ISQ_E10value_typeET4_jRbjT5_SW_jjP12ihipStream_tbEUlT_E_NS1_11comp_targetILNS1_3genE2ELNS1_11target_archE906ELNS1_3gpuE6ELNS1_3repE0EEENS1_30default_config_static_selectorELNS0_4arch9wavefront6targetE1EEEvSK_.uses_flat_scratch, or(0, .L_ZN7rocprim17ROCPRIM_400000_NS6detail40segmented_radix_sort_single_block_helperIblLj256ELj4ELb0EE4sortIPKbPbPKlPlEEbT_T0_T1_T2_jjjjRNS3_12storage_typeE.uses_flat_scratch)
	.set _ZN7rocprim17ROCPRIM_400000_NS6detail17trampoline_kernelINS0_14default_configENS1_36segmented_radix_sort_config_selectorIblEEZNS1_25segmented_radix_sort_implIS3_Lb0EPKbPbPKlPlN2at6native12_GLOBAL__N_18offset_tEEE10hipError_tPvRmT1_PNSt15iterator_traitsISK_E10value_typeET2_T3_PNSL_ISQ_E10value_typeET4_jRbjT5_SW_jjP12ihipStream_tbEUlT_E_NS1_11comp_targetILNS1_3genE2ELNS1_11target_archE906ELNS1_3gpuE6ELNS1_3repE0EEENS1_30default_config_static_selectorELNS0_4arch9wavefront6targetE1EEEvSK_.has_dyn_sized_stack, or(0, .L_ZN7rocprim17ROCPRIM_400000_NS6detail40segmented_radix_sort_single_block_helperIblLj256ELj4ELb0EE4sortIPKbPbPKlPlEEbT_T0_T1_T2_jjjjRNS3_12storage_typeE.has_dyn_sized_stack)
	.set _ZN7rocprim17ROCPRIM_400000_NS6detail17trampoline_kernelINS0_14default_configENS1_36segmented_radix_sort_config_selectorIblEEZNS1_25segmented_radix_sort_implIS3_Lb0EPKbPbPKlPlN2at6native12_GLOBAL__N_18offset_tEEE10hipError_tPvRmT1_PNSt15iterator_traitsISK_E10value_typeET2_T3_PNSL_ISQ_E10value_typeET4_jRbjT5_SW_jjP12ihipStream_tbEUlT_E_NS1_11comp_targetILNS1_3genE2ELNS1_11target_archE906ELNS1_3gpuE6ELNS1_3repE0EEENS1_30default_config_static_selectorELNS0_4arch9wavefront6targetE1EEEvSK_.has_recursion, or(0, .L_ZN7rocprim17ROCPRIM_400000_NS6detail40segmented_radix_sort_single_block_helperIblLj256ELj4ELb0EE4sortIPKbPbPKlPlEEbT_T0_T1_T2_jjjjRNS3_12storage_typeE.has_recursion)
	.set _ZN7rocprim17ROCPRIM_400000_NS6detail17trampoline_kernelINS0_14default_configENS1_36segmented_radix_sort_config_selectorIblEEZNS1_25segmented_radix_sort_implIS3_Lb0EPKbPbPKlPlN2at6native12_GLOBAL__N_18offset_tEEE10hipError_tPvRmT1_PNSt15iterator_traitsISK_E10value_typeET2_T3_PNSL_ISQ_E10value_typeET4_jRbjT5_SW_jjP12ihipStream_tbEUlT_E_NS1_11comp_targetILNS1_3genE2ELNS1_11target_archE906ELNS1_3gpuE6ELNS1_3repE0EEENS1_30default_config_static_selectorELNS0_4arch9wavefront6targetE1EEEvSK_.has_indirect_call, or(0, .L_ZN7rocprim17ROCPRIM_400000_NS6detail40segmented_radix_sort_single_block_helperIblLj256ELj4ELb0EE4sortIPKbPbPKlPlEEbT_T0_T1_T2_jjjjRNS3_12storage_typeE.has_indirect_call)
	.section	.AMDGPU.csdata,"",@progbits
; Kernel info:
; codeLenInByte = 16460
; TotalNumSgprs: 79
; NumVgprs: 97
; ScratchSize: 0
; MemoryBound: 0
; FloatMode: 240
; IeeeMode: 1
; LDSByteSize: 9232 bytes/workgroup (compile time only)
; SGPRBlocks: 10
; VGPRBlocks: 24
; NumSGPRsForWavesPerEU: 81
; NumVGPRsForWavesPerEU: 97
; Occupancy: 2
; WaveLimiterHint : 1
; COMPUTE_PGM_RSRC2:SCRATCH_EN: 0
; COMPUTE_PGM_RSRC2:USER_SGPR: 6
; COMPUTE_PGM_RSRC2:TRAP_HANDLER: 0
; COMPUTE_PGM_RSRC2:TGID_X_EN: 1
; COMPUTE_PGM_RSRC2:TGID_Y_EN: 1
; COMPUTE_PGM_RSRC2:TGID_Z_EN: 0
; COMPUTE_PGM_RSRC2:TIDIG_COMP_CNT: 2
	.section	.text._ZN7rocprim17ROCPRIM_400000_NS6detail17trampoline_kernelINS0_14default_configENS1_36segmented_radix_sort_config_selectorIblEEZNS1_25segmented_radix_sort_implIS3_Lb0EPKbPbPKlPlN2at6native12_GLOBAL__N_18offset_tEEE10hipError_tPvRmT1_PNSt15iterator_traitsISK_E10value_typeET2_T3_PNSL_ISQ_E10value_typeET4_jRbjT5_SW_jjP12ihipStream_tbEUlT_E_NS1_11comp_targetILNS1_3genE10ELNS1_11target_archE1201ELNS1_3gpuE5ELNS1_3repE0EEENS1_30default_config_static_selectorELNS0_4arch9wavefront6targetE1EEEvSK_,"axG",@progbits,_ZN7rocprim17ROCPRIM_400000_NS6detail17trampoline_kernelINS0_14default_configENS1_36segmented_radix_sort_config_selectorIblEEZNS1_25segmented_radix_sort_implIS3_Lb0EPKbPbPKlPlN2at6native12_GLOBAL__N_18offset_tEEE10hipError_tPvRmT1_PNSt15iterator_traitsISK_E10value_typeET2_T3_PNSL_ISQ_E10value_typeET4_jRbjT5_SW_jjP12ihipStream_tbEUlT_E_NS1_11comp_targetILNS1_3genE10ELNS1_11target_archE1201ELNS1_3gpuE5ELNS1_3repE0EEENS1_30default_config_static_selectorELNS0_4arch9wavefront6targetE1EEEvSK_,comdat
	.globl	_ZN7rocprim17ROCPRIM_400000_NS6detail17trampoline_kernelINS0_14default_configENS1_36segmented_radix_sort_config_selectorIblEEZNS1_25segmented_radix_sort_implIS3_Lb0EPKbPbPKlPlN2at6native12_GLOBAL__N_18offset_tEEE10hipError_tPvRmT1_PNSt15iterator_traitsISK_E10value_typeET2_T3_PNSL_ISQ_E10value_typeET4_jRbjT5_SW_jjP12ihipStream_tbEUlT_E_NS1_11comp_targetILNS1_3genE10ELNS1_11target_archE1201ELNS1_3gpuE5ELNS1_3repE0EEENS1_30default_config_static_selectorELNS0_4arch9wavefront6targetE1EEEvSK_ ; -- Begin function _ZN7rocprim17ROCPRIM_400000_NS6detail17trampoline_kernelINS0_14default_configENS1_36segmented_radix_sort_config_selectorIblEEZNS1_25segmented_radix_sort_implIS3_Lb0EPKbPbPKlPlN2at6native12_GLOBAL__N_18offset_tEEE10hipError_tPvRmT1_PNSt15iterator_traitsISK_E10value_typeET2_T3_PNSL_ISQ_E10value_typeET4_jRbjT5_SW_jjP12ihipStream_tbEUlT_E_NS1_11comp_targetILNS1_3genE10ELNS1_11target_archE1201ELNS1_3gpuE5ELNS1_3repE0EEENS1_30default_config_static_selectorELNS0_4arch9wavefront6targetE1EEEvSK_
	.p2align	8
	.type	_ZN7rocprim17ROCPRIM_400000_NS6detail17trampoline_kernelINS0_14default_configENS1_36segmented_radix_sort_config_selectorIblEEZNS1_25segmented_radix_sort_implIS3_Lb0EPKbPbPKlPlN2at6native12_GLOBAL__N_18offset_tEEE10hipError_tPvRmT1_PNSt15iterator_traitsISK_E10value_typeET2_T3_PNSL_ISQ_E10value_typeET4_jRbjT5_SW_jjP12ihipStream_tbEUlT_E_NS1_11comp_targetILNS1_3genE10ELNS1_11target_archE1201ELNS1_3gpuE5ELNS1_3repE0EEENS1_30default_config_static_selectorELNS0_4arch9wavefront6targetE1EEEvSK_,@function
_ZN7rocprim17ROCPRIM_400000_NS6detail17trampoline_kernelINS0_14default_configENS1_36segmented_radix_sort_config_selectorIblEEZNS1_25segmented_radix_sort_implIS3_Lb0EPKbPbPKlPlN2at6native12_GLOBAL__N_18offset_tEEE10hipError_tPvRmT1_PNSt15iterator_traitsISK_E10value_typeET2_T3_PNSL_ISQ_E10value_typeET4_jRbjT5_SW_jjP12ihipStream_tbEUlT_E_NS1_11comp_targetILNS1_3genE10ELNS1_11target_archE1201ELNS1_3gpuE5ELNS1_3repE0EEENS1_30default_config_static_selectorELNS0_4arch9wavefront6targetE1EEEvSK_: ; @_ZN7rocprim17ROCPRIM_400000_NS6detail17trampoline_kernelINS0_14default_configENS1_36segmented_radix_sort_config_selectorIblEEZNS1_25segmented_radix_sort_implIS3_Lb0EPKbPbPKlPlN2at6native12_GLOBAL__N_18offset_tEEE10hipError_tPvRmT1_PNSt15iterator_traitsISK_E10value_typeET2_T3_PNSL_ISQ_E10value_typeET4_jRbjT5_SW_jjP12ihipStream_tbEUlT_E_NS1_11comp_targetILNS1_3genE10ELNS1_11target_archE1201ELNS1_3gpuE5ELNS1_3repE0EEENS1_30default_config_static_selectorELNS0_4arch9wavefront6targetE1EEEvSK_
; %bb.0:
	.section	.rodata,"a",@progbits
	.p2align	6, 0x0
	.amdhsa_kernel _ZN7rocprim17ROCPRIM_400000_NS6detail17trampoline_kernelINS0_14default_configENS1_36segmented_radix_sort_config_selectorIblEEZNS1_25segmented_radix_sort_implIS3_Lb0EPKbPbPKlPlN2at6native12_GLOBAL__N_18offset_tEEE10hipError_tPvRmT1_PNSt15iterator_traitsISK_E10value_typeET2_T3_PNSL_ISQ_E10value_typeET4_jRbjT5_SW_jjP12ihipStream_tbEUlT_E_NS1_11comp_targetILNS1_3genE10ELNS1_11target_archE1201ELNS1_3gpuE5ELNS1_3repE0EEENS1_30default_config_static_selectorELNS0_4arch9wavefront6targetE1EEEvSK_
		.amdhsa_group_segment_fixed_size 0
		.amdhsa_private_segment_fixed_size 0
		.amdhsa_kernarg_size 96
		.amdhsa_user_sgpr_count 6
		.amdhsa_user_sgpr_private_segment_buffer 1
		.amdhsa_user_sgpr_dispatch_ptr 0
		.amdhsa_user_sgpr_queue_ptr 0
		.amdhsa_user_sgpr_kernarg_segment_ptr 1
		.amdhsa_user_sgpr_dispatch_id 0
		.amdhsa_user_sgpr_flat_scratch_init 0
		.amdhsa_user_sgpr_private_segment_size 0
		.amdhsa_uses_dynamic_stack 0
		.amdhsa_system_sgpr_private_segment_wavefront_offset 0
		.amdhsa_system_sgpr_workgroup_id_x 1
		.amdhsa_system_sgpr_workgroup_id_y 0
		.amdhsa_system_sgpr_workgroup_id_z 0
		.amdhsa_system_sgpr_workgroup_info 0
		.amdhsa_system_vgpr_workitem_id 0
		.amdhsa_next_free_vgpr 1
		.amdhsa_next_free_sgpr 0
		.amdhsa_reserve_vcc 0
		.amdhsa_reserve_flat_scratch 0
		.amdhsa_float_round_mode_32 0
		.amdhsa_float_round_mode_16_64 0
		.amdhsa_float_denorm_mode_32 3
		.amdhsa_float_denorm_mode_16_64 3
		.amdhsa_dx10_clamp 1
		.amdhsa_ieee_mode 1
		.amdhsa_fp16_overflow 0
		.amdhsa_exception_fp_ieee_invalid_op 0
		.amdhsa_exception_fp_denorm_src 0
		.amdhsa_exception_fp_ieee_div_zero 0
		.amdhsa_exception_fp_ieee_overflow 0
		.amdhsa_exception_fp_ieee_underflow 0
		.amdhsa_exception_fp_ieee_inexact 0
		.amdhsa_exception_int_div_zero 0
	.end_amdhsa_kernel
	.section	.text._ZN7rocprim17ROCPRIM_400000_NS6detail17trampoline_kernelINS0_14default_configENS1_36segmented_radix_sort_config_selectorIblEEZNS1_25segmented_radix_sort_implIS3_Lb0EPKbPbPKlPlN2at6native12_GLOBAL__N_18offset_tEEE10hipError_tPvRmT1_PNSt15iterator_traitsISK_E10value_typeET2_T3_PNSL_ISQ_E10value_typeET4_jRbjT5_SW_jjP12ihipStream_tbEUlT_E_NS1_11comp_targetILNS1_3genE10ELNS1_11target_archE1201ELNS1_3gpuE5ELNS1_3repE0EEENS1_30default_config_static_selectorELNS0_4arch9wavefront6targetE1EEEvSK_,"axG",@progbits,_ZN7rocprim17ROCPRIM_400000_NS6detail17trampoline_kernelINS0_14default_configENS1_36segmented_radix_sort_config_selectorIblEEZNS1_25segmented_radix_sort_implIS3_Lb0EPKbPbPKlPlN2at6native12_GLOBAL__N_18offset_tEEE10hipError_tPvRmT1_PNSt15iterator_traitsISK_E10value_typeET2_T3_PNSL_ISQ_E10value_typeET4_jRbjT5_SW_jjP12ihipStream_tbEUlT_E_NS1_11comp_targetILNS1_3genE10ELNS1_11target_archE1201ELNS1_3gpuE5ELNS1_3repE0EEENS1_30default_config_static_selectorELNS0_4arch9wavefront6targetE1EEEvSK_,comdat
.Lfunc_end1641:
	.size	_ZN7rocprim17ROCPRIM_400000_NS6detail17trampoline_kernelINS0_14default_configENS1_36segmented_radix_sort_config_selectorIblEEZNS1_25segmented_radix_sort_implIS3_Lb0EPKbPbPKlPlN2at6native12_GLOBAL__N_18offset_tEEE10hipError_tPvRmT1_PNSt15iterator_traitsISK_E10value_typeET2_T3_PNSL_ISQ_E10value_typeET4_jRbjT5_SW_jjP12ihipStream_tbEUlT_E_NS1_11comp_targetILNS1_3genE10ELNS1_11target_archE1201ELNS1_3gpuE5ELNS1_3repE0EEENS1_30default_config_static_selectorELNS0_4arch9wavefront6targetE1EEEvSK_, .Lfunc_end1641-_ZN7rocprim17ROCPRIM_400000_NS6detail17trampoline_kernelINS0_14default_configENS1_36segmented_radix_sort_config_selectorIblEEZNS1_25segmented_radix_sort_implIS3_Lb0EPKbPbPKlPlN2at6native12_GLOBAL__N_18offset_tEEE10hipError_tPvRmT1_PNSt15iterator_traitsISK_E10value_typeET2_T3_PNSL_ISQ_E10value_typeET4_jRbjT5_SW_jjP12ihipStream_tbEUlT_E_NS1_11comp_targetILNS1_3genE10ELNS1_11target_archE1201ELNS1_3gpuE5ELNS1_3repE0EEENS1_30default_config_static_selectorELNS0_4arch9wavefront6targetE1EEEvSK_
                                        ; -- End function
	.set _ZN7rocprim17ROCPRIM_400000_NS6detail17trampoline_kernelINS0_14default_configENS1_36segmented_radix_sort_config_selectorIblEEZNS1_25segmented_radix_sort_implIS3_Lb0EPKbPbPKlPlN2at6native12_GLOBAL__N_18offset_tEEE10hipError_tPvRmT1_PNSt15iterator_traitsISK_E10value_typeET2_T3_PNSL_ISQ_E10value_typeET4_jRbjT5_SW_jjP12ihipStream_tbEUlT_E_NS1_11comp_targetILNS1_3genE10ELNS1_11target_archE1201ELNS1_3gpuE5ELNS1_3repE0EEENS1_30default_config_static_selectorELNS0_4arch9wavefront6targetE1EEEvSK_.num_vgpr, 0
	.set _ZN7rocprim17ROCPRIM_400000_NS6detail17trampoline_kernelINS0_14default_configENS1_36segmented_radix_sort_config_selectorIblEEZNS1_25segmented_radix_sort_implIS3_Lb0EPKbPbPKlPlN2at6native12_GLOBAL__N_18offset_tEEE10hipError_tPvRmT1_PNSt15iterator_traitsISK_E10value_typeET2_T3_PNSL_ISQ_E10value_typeET4_jRbjT5_SW_jjP12ihipStream_tbEUlT_E_NS1_11comp_targetILNS1_3genE10ELNS1_11target_archE1201ELNS1_3gpuE5ELNS1_3repE0EEENS1_30default_config_static_selectorELNS0_4arch9wavefront6targetE1EEEvSK_.num_agpr, 0
	.set _ZN7rocprim17ROCPRIM_400000_NS6detail17trampoline_kernelINS0_14default_configENS1_36segmented_radix_sort_config_selectorIblEEZNS1_25segmented_radix_sort_implIS3_Lb0EPKbPbPKlPlN2at6native12_GLOBAL__N_18offset_tEEE10hipError_tPvRmT1_PNSt15iterator_traitsISK_E10value_typeET2_T3_PNSL_ISQ_E10value_typeET4_jRbjT5_SW_jjP12ihipStream_tbEUlT_E_NS1_11comp_targetILNS1_3genE10ELNS1_11target_archE1201ELNS1_3gpuE5ELNS1_3repE0EEENS1_30default_config_static_selectorELNS0_4arch9wavefront6targetE1EEEvSK_.numbered_sgpr, 0
	.set _ZN7rocprim17ROCPRIM_400000_NS6detail17trampoline_kernelINS0_14default_configENS1_36segmented_radix_sort_config_selectorIblEEZNS1_25segmented_radix_sort_implIS3_Lb0EPKbPbPKlPlN2at6native12_GLOBAL__N_18offset_tEEE10hipError_tPvRmT1_PNSt15iterator_traitsISK_E10value_typeET2_T3_PNSL_ISQ_E10value_typeET4_jRbjT5_SW_jjP12ihipStream_tbEUlT_E_NS1_11comp_targetILNS1_3genE10ELNS1_11target_archE1201ELNS1_3gpuE5ELNS1_3repE0EEENS1_30default_config_static_selectorELNS0_4arch9wavefront6targetE1EEEvSK_.num_named_barrier, 0
	.set _ZN7rocprim17ROCPRIM_400000_NS6detail17trampoline_kernelINS0_14default_configENS1_36segmented_radix_sort_config_selectorIblEEZNS1_25segmented_radix_sort_implIS3_Lb0EPKbPbPKlPlN2at6native12_GLOBAL__N_18offset_tEEE10hipError_tPvRmT1_PNSt15iterator_traitsISK_E10value_typeET2_T3_PNSL_ISQ_E10value_typeET4_jRbjT5_SW_jjP12ihipStream_tbEUlT_E_NS1_11comp_targetILNS1_3genE10ELNS1_11target_archE1201ELNS1_3gpuE5ELNS1_3repE0EEENS1_30default_config_static_selectorELNS0_4arch9wavefront6targetE1EEEvSK_.private_seg_size, 0
	.set _ZN7rocprim17ROCPRIM_400000_NS6detail17trampoline_kernelINS0_14default_configENS1_36segmented_radix_sort_config_selectorIblEEZNS1_25segmented_radix_sort_implIS3_Lb0EPKbPbPKlPlN2at6native12_GLOBAL__N_18offset_tEEE10hipError_tPvRmT1_PNSt15iterator_traitsISK_E10value_typeET2_T3_PNSL_ISQ_E10value_typeET4_jRbjT5_SW_jjP12ihipStream_tbEUlT_E_NS1_11comp_targetILNS1_3genE10ELNS1_11target_archE1201ELNS1_3gpuE5ELNS1_3repE0EEENS1_30default_config_static_selectorELNS0_4arch9wavefront6targetE1EEEvSK_.uses_vcc, 0
	.set _ZN7rocprim17ROCPRIM_400000_NS6detail17trampoline_kernelINS0_14default_configENS1_36segmented_radix_sort_config_selectorIblEEZNS1_25segmented_radix_sort_implIS3_Lb0EPKbPbPKlPlN2at6native12_GLOBAL__N_18offset_tEEE10hipError_tPvRmT1_PNSt15iterator_traitsISK_E10value_typeET2_T3_PNSL_ISQ_E10value_typeET4_jRbjT5_SW_jjP12ihipStream_tbEUlT_E_NS1_11comp_targetILNS1_3genE10ELNS1_11target_archE1201ELNS1_3gpuE5ELNS1_3repE0EEENS1_30default_config_static_selectorELNS0_4arch9wavefront6targetE1EEEvSK_.uses_flat_scratch, 0
	.set _ZN7rocprim17ROCPRIM_400000_NS6detail17trampoline_kernelINS0_14default_configENS1_36segmented_radix_sort_config_selectorIblEEZNS1_25segmented_radix_sort_implIS3_Lb0EPKbPbPKlPlN2at6native12_GLOBAL__N_18offset_tEEE10hipError_tPvRmT1_PNSt15iterator_traitsISK_E10value_typeET2_T3_PNSL_ISQ_E10value_typeET4_jRbjT5_SW_jjP12ihipStream_tbEUlT_E_NS1_11comp_targetILNS1_3genE10ELNS1_11target_archE1201ELNS1_3gpuE5ELNS1_3repE0EEENS1_30default_config_static_selectorELNS0_4arch9wavefront6targetE1EEEvSK_.has_dyn_sized_stack, 0
	.set _ZN7rocprim17ROCPRIM_400000_NS6detail17trampoline_kernelINS0_14default_configENS1_36segmented_radix_sort_config_selectorIblEEZNS1_25segmented_radix_sort_implIS3_Lb0EPKbPbPKlPlN2at6native12_GLOBAL__N_18offset_tEEE10hipError_tPvRmT1_PNSt15iterator_traitsISK_E10value_typeET2_T3_PNSL_ISQ_E10value_typeET4_jRbjT5_SW_jjP12ihipStream_tbEUlT_E_NS1_11comp_targetILNS1_3genE10ELNS1_11target_archE1201ELNS1_3gpuE5ELNS1_3repE0EEENS1_30default_config_static_selectorELNS0_4arch9wavefront6targetE1EEEvSK_.has_recursion, 0
	.set _ZN7rocprim17ROCPRIM_400000_NS6detail17trampoline_kernelINS0_14default_configENS1_36segmented_radix_sort_config_selectorIblEEZNS1_25segmented_radix_sort_implIS3_Lb0EPKbPbPKlPlN2at6native12_GLOBAL__N_18offset_tEEE10hipError_tPvRmT1_PNSt15iterator_traitsISK_E10value_typeET2_T3_PNSL_ISQ_E10value_typeET4_jRbjT5_SW_jjP12ihipStream_tbEUlT_E_NS1_11comp_targetILNS1_3genE10ELNS1_11target_archE1201ELNS1_3gpuE5ELNS1_3repE0EEENS1_30default_config_static_selectorELNS0_4arch9wavefront6targetE1EEEvSK_.has_indirect_call, 0
	.section	.AMDGPU.csdata,"",@progbits
; Kernel info:
; codeLenInByte = 0
; TotalNumSgprs: 4
; NumVgprs: 0
; ScratchSize: 0
; MemoryBound: 0
; FloatMode: 240
; IeeeMode: 1
; LDSByteSize: 0 bytes/workgroup (compile time only)
; SGPRBlocks: 0
; VGPRBlocks: 0
; NumSGPRsForWavesPerEU: 4
; NumVGPRsForWavesPerEU: 1
; Occupancy: 10
; WaveLimiterHint : 0
; COMPUTE_PGM_RSRC2:SCRATCH_EN: 0
; COMPUTE_PGM_RSRC2:USER_SGPR: 6
; COMPUTE_PGM_RSRC2:TRAP_HANDLER: 0
; COMPUTE_PGM_RSRC2:TGID_X_EN: 1
; COMPUTE_PGM_RSRC2:TGID_Y_EN: 0
; COMPUTE_PGM_RSRC2:TGID_Z_EN: 0
; COMPUTE_PGM_RSRC2:TIDIG_COMP_CNT: 0
	.section	.text._ZN7rocprim17ROCPRIM_400000_NS6detail17trampoline_kernelINS0_14default_configENS1_36segmented_radix_sort_config_selectorIblEEZNS1_25segmented_radix_sort_implIS3_Lb0EPKbPbPKlPlN2at6native12_GLOBAL__N_18offset_tEEE10hipError_tPvRmT1_PNSt15iterator_traitsISK_E10value_typeET2_T3_PNSL_ISQ_E10value_typeET4_jRbjT5_SW_jjP12ihipStream_tbEUlT_E_NS1_11comp_targetILNS1_3genE10ELNS1_11target_archE1200ELNS1_3gpuE4ELNS1_3repE0EEENS1_30default_config_static_selectorELNS0_4arch9wavefront6targetE1EEEvSK_,"axG",@progbits,_ZN7rocprim17ROCPRIM_400000_NS6detail17trampoline_kernelINS0_14default_configENS1_36segmented_radix_sort_config_selectorIblEEZNS1_25segmented_radix_sort_implIS3_Lb0EPKbPbPKlPlN2at6native12_GLOBAL__N_18offset_tEEE10hipError_tPvRmT1_PNSt15iterator_traitsISK_E10value_typeET2_T3_PNSL_ISQ_E10value_typeET4_jRbjT5_SW_jjP12ihipStream_tbEUlT_E_NS1_11comp_targetILNS1_3genE10ELNS1_11target_archE1200ELNS1_3gpuE4ELNS1_3repE0EEENS1_30default_config_static_selectorELNS0_4arch9wavefront6targetE1EEEvSK_,comdat
	.globl	_ZN7rocprim17ROCPRIM_400000_NS6detail17trampoline_kernelINS0_14default_configENS1_36segmented_radix_sort_config_selectorIblEEZNS1_25segmented_radix_sort_implIS3_Lb0EPKbPbPKlPlN2at6native12_GLOBAL__N_18offset_tEEE10hipError_tPvRmT1_PNSt15iterator_traitsISK_E10value_typeET2_T3_PNSL_ISQ_E10value_typeET4_jRbjT5_SW_jjP12ihipStream_tbEUlT_E_NS1_11comp_targetILNS1_3genE10ELNS1_11target_archE1200ELNS1_3gpuE4ELNS1_3repE0EEENS1_30default_config_static_selectorELNS0_4arch9wavefront6targetE1EEEvSK_ ; -- Begin function _ZN7rocprim17ROCPRIM_400000_NS6detail17trampoline_kernelINS0_14default_configENS1_36segmented_radix_sort_config_selectorIblEEZNS1_25segmented_radix_sort_implIS3_Lb0EPKbPbPKlPlN2at6native12_GLOBAL__N_18offset_tEEE10hipError_tPvRmT1_PNSt15iterator_traitsISK_E10value_typeET2_T3_PNSL_ISQ_E10value_typeET4_jRbjT5_SW_jjP12ihipStream_tbEUlT_E_NS1_11comp_targetILNS1_3genE10ELNS1_11target_archE1200ELNS1_3gpuE4ELNS1_3repE0EEENS1_30default_config_static_selectorELNS0_4arch9wavefront6targetE1EEEvSK_
	.p2align	8
	.type	_ZN7rocprim17ROCPRIM_400000_NS6detail17trampoline_kernelINS0_14default_configENS1_36segmented_radix_sort_config_selectorIblEEZNS1_25segmented_radix_sort_implIS3_Lb0EPKbPbPKlPlN2at6native12_GLOBAL__N_18offset_tEEE10hipError_tPvRmT1_PNSt15iterator_traitsISK_E10value_typeET2_T3_PNSL_ISQ_E10value_typeET4_jRbjT5_SW_jjP12ihipStream_tbEUlT_E_NS1_11comp_targetILNS1_3genE10ELNS1_11target_archE1200ELNS1_3gpuE4ELNS1_3repE0EEENS1_30default_config_static_selectorELNS0_4arch9wavefront6targetE1EEEvSK_,@function
_ZN7rocprim17ROCPRIM_400000_NS6detail17trampoline_kernelINS0_14default_configENS1_36segmented_radix_sort_config_selectorIblEEZNS1_25segmented_radix_sort_implIS3_Lb0EPKbPbPKlPlN2at6native12_GLOBAL__N_18offset_tEEE10hipError_tPvRmT1_PNSt15iterator_traitsISK_E10value_typeET2_T3_PNSL_ISQ_E10value_typeET4_jRbjT5_SW_jjP12ihipStream_tbEUlT_E_NS1_11comp_targetILNS1_3genE10ELNS1_11target_archE1200ELNS1_3gpuE4ELNS1_3repE0EEENS1_30default_config_static_selectorELNS0_4arch9wavefront6targetE1EEEvSK_: ; @_ZN7rocprim17ROCPRIM_400000_NS6detail17trampoline_kernelINS0_14default_configENS1_36segmented_radix_sort_config_selectorIblEEZNS1_25segmented_radix_sort_implIS3_Lb0EPKbPbPKlPlN2at6native12_GLOBAL__N_18offset_tEEE10hipError_tPvRmT1_PNSt15iterator_traitsISK_E10value_typeET2_T3_PNSL_ISQ_E10value_typeET4_jRbjT5_SW_jjP12ihipStream_tbEUlT_E_NS1_11comp_targetILNS1_3genE10ELNS1_11target_archE1200ELNS1_3gpuE4ELNS1_3repE0EEENS1_30default_config_static_selectorELNS0_4arch9wavefront6targetE1EEEvSK_
; %bb.0:
	.section	.rodata,"a",@progbits
	.p2align	6, 0x0
	.amdhsa_kernel _ZN7rocprim17ROCPRIM_400000_NS6detail17trampoline_kernelINS0_14default_configENS1_36segmented_radix_sort_config_selectorIblEEZNS1_25segmented_radix_sort_implIS3_Lb0EPKbPbPKlPlN2at6native12_GLOBAL__N_18offset_tEEE10hipError_tPvRmT1_PNSt15iterator_traitsISK_E10value_typeET2_T3_PNSL_ISQ_E10value_typeET4_jRbjT5_SW_jjP12ihipStream_tbEUlT_E_NS1_11comp_targetILNS1_3genE10ELNS1_11target_archE1200ELNS1_3gpuE4ELNS1_3repE0EEENS1_30default_config_static_selectorELNS0_4arch9wavefront6targetE1EEEvSK_
		.amdhsa_group_segment_fixed_size 0
		.amdhsa_private_segment_fixed_size 0
		.amdhsa_kernarg_size 96
		.amdhsa_user_sgpr_count 6
		.amdhsa_user_sgpr_private_segment_buffer 1
		.amdhsa_user_sgpr_dispatch_ptr 0
		.amdhsa_user_sgpr_queue_ptr 0
		.amdhsa_user_sgpr_kernarg_segment_ptr 1
		.amdhsa_user_sgpr_dispatch_id 0
		.amdhsa_user_sgpr_flat_scratch_init 0
		.amdhsa_user_sgpr_private_segment_size 0
		.amdhsa_uses_dynamic_stack 0
		.amdhsa_system_sgpr_private_segment_wavefront_offset 0
		.amdhsa_system_sgpr_workgroup_id_x 1
		.amdhsa_system_sgpr_workgroup_id_y 0
		.amdhsa_system_sgpr_workgroup_id_z 0
		.amdhsa_system_sgpr_workgroup_info 0
		.amdhsa_system_vgpr_workitem_id 0
		.amdhsa_next_free_vgpr 1
		.amdhsa_next_free_sgpr 0
		.amdhsa_reserve_vcc 0
		.amdhsa_reserve_flat_scratch 0
		.amdhsa_float_round_mode_32 0
		.amdhsa_float_round_mode_16_64 0
		.amdhsa_float_denorm_mode_32 3
		.amdhsa_float_denorm_mode_16_64 3
		.amdhsa_dx10_clamp 1
		.amdhsa_ieee_mode 1
		.amdhsa_fp16_overflow 0
		.amdhsa_exception_fp_ieee_invalid_op 0
		.amdhsa_exception_fp_denorm_src 0
		.amdhsa_exception_fp_ieee_div_zero 0
		.amdhsa_exception_fp_ieee_overflow 0
		.amdhsa_exception_fp_ieee_underflow 0
		.amdhsa_exception_fp_ieee_inexact 0
		.amdhsa_exception_int_div_zero 0
	.end_amdhsa_kernel
	.section	.text._ZN7rocprim17ROCPRIM_400000_NS6detail17trampoline_kernelINS0_14default_configENS1_36segmented_radix_sort_config_selectorIblEEZNS1_25segmented_radix_sort_implIS3_Lb0EPKbPbPKlPlN2at6native12_GLOBAL__N_18offset_tEEE10hipError_tPvRmT1_PNSt15iterator_traitsISK_E10value_typeET2_T3_PNSL_ISQ_E10value_typeET4_jRbjT5_SW_jjP12ihipStream_tbEUlT_E_NS1_11comp_targetILNS1_3genE10ELNS1_11target_archE1200ELNS1_3gpuE4ELNS1_3repE0EEENS1_30default_config_static_selectorELNS0_4arch9wavefront6targetE1EEEvSK_,"axG",@progbits,_ZN7rocprim17ROCPRIM_400000_NS6detail17trampoline_kernelINS0_14default_configENS1_36segmented_radix_sort_config_selectorIblEEZNS1_25segmented_radix_sort_implIS3_Lb0EPKbPbPKlPlN2at6native12_GLOBAL__N_18offset_tEEE10hipError_tPvRmT1_PNSt15iterator_traitsISK_E10value_typeET2_T3_PNSL_ISQ_E10value_typeET4_jRbjT5_SW_jjP12ihipStream_tbEUlT_E_NS1_11comp_targetILNS1_3genE10ELNS1_11target_archE1200ELNS1_3gpuE4ELNS1_3repE0EEENS1_30default_config_static_selectorELNS0_4arch9wavefront6targetE1EEEvSK_,comdat
.Lfunc_end1642:
	.size	_ZN7rocprim17ROCPRIM_400000_NS6detail17trampoline_kernelINS0_14default_configENS1_36segmented_radix_sort_config_selectorIblEEZNS1_25segmented_radix_sort_implIS3_Lb0EPKbPbPKlPlN2at6native12_GLOBAL__N_18offset_tEEE10hipError_tPvRmT1_PNSt15iterator_traitsISK_E10value_typeET2_T3_PNSL_ISQ_E10value_typeET4_jRbjT5_SW_jjP12ihipStream_tbEUlT_E_NS1_11comp_targetILNS1_3genE10ELNS1_11target_archE1200ELNS1_3gpuE4ELNS1_3repE0EEENS1_30default_config_static_selectorELNS0_4arch9wavefront6targetE1EEEvSK_, .Lfunc_end1642-_ZN7rocprim17ROCPRIM_400000_NS6detail17trampoline_kernelINS0_14default_configENS1_36segmented_radix_sort_config_selectorIblEEZNS1_25segmented_radix_sort_implIS3_Lb0EPKbPbPKlPlN2at6native12_GLOBAL__N_18offset_tEEE10hipError_tPvRmT1_PNSt15iterator_traitsISK_E10value_typeET2_T3_PNSL_ISQ_E10value_typeET4_jRbjT5_SW_jjP12ihipStream_tbEUlT_E_NS1_11comp_targetILNS1_3genE10ELNS1_11target_archE1200ELNS1_3gpuE4ELNS1_3repE0EEENS1_30default_config_static_selectorELNS0_4arch9wavefront6targetE1EEEvSK_
                                        ; -- End function
	.set _ZN7rocprim17ROCPRIM_400000_NS6detail17trampoline_kernelINS0_14default_configENS1_36segmented_radix_sort_config_selectorIblEEZNS1_25segmented_radix_sort_implIS3_Lb0EPKbPbPKlPlN2at6native12_GLOBAL__N_18offset_tEEE10hipError_tPvRmT1_PNSt15iterator_traitsISK_E10value_typeET2_T3_PNSL_ISQ_E10value_typeET4_jRbjT5_SW_jjP12ihipStream_tbEUlT_E_NS1_11comp_targetILNS1_3genE10ELNS1_11target_archE1200ELNS1_3gpuE4ELNS1_3repE0EEENS1_30default_config_static_selectorELNS0_4arch9wavefront6targetE1EEEvSK_.num_vgpr, 0
	.set _ZN7rocprim17ROCPRIM_400000_NS6detail17trampoline_kernelINS0_14default_configENS1_36segmented_radix_sort_config_selectorIblEEZNS1_25segmented_radix_sort_implIS3_Lb0EPKbPbPKlPlN2at6native12_GLOBAL__N_18offset_tEEE10hipError_tPvRmT1_PNSt15iterator_traitsISK_E10value_typeET2_T3_PNSL_ISQ_E10value_typeET4_jRbjT5_SW_jjP12ihipStream_tbEUlT_E_NS1_11comp_targetILNS1_3genE10ELNS1_11target_archE1200ELNS1_3gpuE4ELNS1_3repE0EEENS1_30default_config_static_selectorELNS0_4arch9wavefront6targetE1EEEvSK_.num_agpr, 0
	.set _ZN7rocprim17ROCPRIM_400000_NS6detail17trampoline_kernelINS0_14default_configENS1_36segmented_radix_sort_config_selectorIblEEZNS1_25segmented_radix_sort_implIS3_Lb0EPKbPbPKlPlN2at6native12_GLOBAL__N_18offset_tEEE10hipError_tPvRmT1_PNSt15iterator_traitsISK_E10value_typeET2_T3_PNSL_ISQ_E10value_typeET4_jRbjT5_SW_jjP12ihipStream_tbEUlT_E_NS1_11comp_targetILNS1_3genE10ELNS1_11target_archE1200ELNS1_3gpuE4ELNS1_3repE0EEENS1_30default_config_static_selectorELNS0_4arch9wavefront6targetE1EEEvSK_.numbered_sgpr, 0
	.set _ZN7rocprim17ROCPRIM_400000_NS6detail17trampoline_kernelINS0_14default_configENS1_36segmented_radix_sort_config_selectorIblEEZNS1_25segmented_radix_sort_implIS3_Lb0EPKbPbPKlPlN2at6native12_GLOBAL__N_18offset_tEEE10hipError_tPvRmT1_PNSt15iterator_traitsISK_E10value_typeET2_T3_PNSL_ISQ_E10value_typeET4_jRbjT5_SW_jjP12ihipStream_tbEUlT_E_NS1_11comp_targetILNS1_3genE10ELNS1_11target_archE1200ELNS1_3gpuE4ELNS1_3repE0EEENS1_30default_config_static_selectorELNS0_4arch9wavefront6targetE1EEEvSK_.num_named_barrier, 0
	.set _ZN7rocprim17ROCPRIM_400000_NS6detail17trampoline_kernelINS0_14default_configENS1_36segmented_radix_sort_config_selectorIblEEZNS1_25segmented_radix_sort_implIS3_Lb0EPKbPbPKlPlN2at6native12_GLOBAL__N_18offset_tEEE10hipError_tPvRmT1_PNSt15iterator_traitsISK_E10value_typeET2_T3_PNSL_ISQ_E10value_typeET4_jRbjT5_SW_jjP12ihipStream_tbEUlT_E_NS1_11comp_targetILNS1_3genE10ELNS1_11target_archE1200ELNS1_3gpuE4ELNS1_3repE0EEENS1_30default_config_static_selectorELNS0_4arch9wavefront6targetE1EEEvSK_.private_seg_size, 0
	.set _ZN7rocprim17ROCPRIM_400000_NS6detail17trampoline_kernelINS0_14default_configENS1_36segmented_radix_sort_config_selectorIblEEZNS1_25segmented_radix_sort_implIS3_Lb0EPKbPbPKlPlN2at6native12_GLOBAL__N_18offset_tEEE10hipError_tPvRmT1_PNSt15iterator_traitsISK_E10value_typeET2_T3_PNSL_ISQ_E10value_typeET4_jRbjT5_SW_jjP12ihipStream_tbEUlT_E_NS1_11comp_targetILNS1_3genE10ELNS1_11target_archE1200ELNS1_3gpuE4ELNS1_3repE0EEENS1_30default_config_static_selectorELNS0_4arch9wavefront6targetE1EEEvSK_.uses_vcc, 0
	.set _ZN7rocprim17ROCPRIM_400000_NS6detail17trampoline_kernelINS0_14default_configENS1_36segmented_radix_sort_config_selectorIblEEZNS1_25segmented_radix_sort_implIS3_Lb0EPKbPbPKlPlN2at6native12_GLOBAL__N_18offset_tEEE10hipError_tPvRmT1_PNSt15iterator_traitsISK_E10value_typeET2_T3_PNSL_ISQ_E10value_typeET4_jRbjT5_SW_jjP12ihipStream_tbEUlT_E_NS1_11comp_targetILNS1_3genE10ELNS1_11target_archE1200ELNS1_3gpuE4ELNS1_3repE0EEENS1_30default_config_static_selectorELNS0_4arch9wavefront6targetE1EEEvSK_.uses_flat_scratch, 0
	.set _ZN7rocprim17ROCPRIM_400000_NS6detail17trampoline_kernelINS0_14default_configENS1_36segmented_radix_sort_config_selectorIblEEZNS1_25segmented_radix_sort_implIS3_Lb0EPKbPbPKlPlN2at6native12_GLOBAL__N_18offset_tEEE10hipError_tPvRmT1_PNSt15iterator_traitsISK_E10value_typeET2_T3_PNSL_ISQ_E10value_typeET4_jRbjT5_SW_jjP12ihipStream_tbEUlT_E_NS1_11comp_targetILNS1_3genE10ELNS1_11target_archE1200ELNS1_3gpuE4ELNS1_3repE0EEENS1_30default_config_static_selectorELNS0_4arch9wavefront6targetE1EEEvSK_.has_dyn_sized_stack, 0
	.set _ZN7rocprim17ROCPRIM_400000_NS6detail17trampoline_kernelINS0_14default_configENS1_36segmented_radix_sort_config_selectorIblEEZNS1_25segmented_radix_sort_implIS3_Lb0EPKbPbPKlPlN2at6native12_GLOBAL__N_18offset_tEEE10hipError_tPvRmT1_PNSt15iterator_traitsISK_E10value_typeET2_T3_PNSL_ISQ_E10value_typeET4_jRbjT5_SW_jjP12ihipStream_tbEUlT_E_NS1_11comp_targetILNS1_3genE10ELNS1_11target_archE1200ELNS1_3gpuE4ELNS1_3repE0EEENS1_30default_config_static_selectorELNS0_4arch9wavefront6targetE1EEEvSK_.has_recursion, 0
	.set _ZN7rocprim17ROCPRIM_400000_NS6detail17trampoline_kernelINS0_14default_configENS1_36segmented_radix_sort_config_selectorIblEEZNS1_25segmented_radix_sort_implIS3_Lb0EPKbPbPKlPlN2at6native12_GLOBAL__N_18offset_tEEE10hipError_tPvRmT1_PNSt15iterator_traitsISK_E10value_typeET2_T3_PNSL_ISQ_E10value_typeET4_jRbjT5_SW_jjP12ihipStream_tbEUlT_E_NS1_11comp_targetILNS1_3genE10ELNS1_11target_archE1200ELNS1_3gpuE4ELNS1_3repE0EEENS1_30default_config_static_selectorELNS0_4arch9wavefront6targetE1EEEvSK_.has_indirect_call, 0
	.section	.AMDGPU.csdata,"",@progbits
; Kernel info:
; codeLenInByte = 0
; TotalNumSgprs: 4
; NumVgprs: 0
; ScratchSize: 0
; MemoryBound: 0
; FloatMode: 240
; IeeeMode: 1
; LDSByteSize: 0 bytes/workgroup (compile time only)
; SGPRBlocks: 0
; VGPRBlocks: 0
; NumSGPRsForWavesPerEU: 4
; NumVGPRsForWavesPerEU: 1
; Occupancy: 10
; WaveLimiterHint : 0
; COMPUTE_PGM_RSRC2:SCRATCH_EN: 0
; COMPUTE_PGM_RSRC2:USER_SGPR: 6
; COMPUTE_PGM_RSRC2:TRAP_HANDLER: 0
; COMPUTE_PGM_RSRC2:TGID_X_EN: 1
; COMPUTE_PGM_RSRC2:TGID_Y_EN: 0
; COMPUTE_PGM_RSRC2:TGID_Z_EN: 0
; COMPUTE_PGM_RSRC2:TIDIG_COMP_CNT: 0
	.section	.text._ZN7rocprim17ROCPRIM_400000_NS6detail17trampoline_kernelINS0_14default_configENS1_36segmented_radix_sort_config_selectorIblEEZNS1_25segmented_radix_sort_implIS3_Lb0EPKbPbPKlPlN2at6native12_GLOBAL__N_18offset_tEEE10hipError_tPvRmT1_PNSt15iterator_traitsISK_E10value_typeET2_T3_PNSL_ISQ_E10value_typeET4_jRbjT5_SW_jjP12ihipStream_tbEUlT_E_NS1_11comp_targetILNS1_3genE9ELNS1_11target_archE1100ELNS1_3gpuE3ELNS1_3repE0EEENS1_30default_config_static_selectorELNS0_4arch9wavefront6targetE1EEEvSK_,"axG",@progbits,_ZN7rocprim17ROCPRIM_400000_NS6detail17trampoline_kernelINS0_14default_configENS1_36segmented_radix_sort_config_selectorIblEEZNS1_25segmented_radix_sort_implIS3_Lb0EPKbPbPKlPlN2at6native12_GLOBAL__N_18offset_tEEE10hipError_tPvRmT1_PNSt15iterator_traitsISK_E10value_typeET2_T3_PNSL_ISQ_E10value_typeET4_jRbjT5_SW_jjP12ihipStream_tbEUlT_E_NS1_11comp_targetILNS1_3genE9ELNS1_11target_archE1100ELNS1_3gpuE3ELNS1_3repE0EEENS1_30default_config_static_selectorELNS0_4arch9wavefront6targetE1EEEvSK_,comdat
	.globl	_ZN7rocprim17ROCPRIM_400000_NS6detail17trampoline_kernelINS0_14default_configENS1_36segmented_radix_sort_config_selectorIblEEZNS1_25segmented_radix_sort_implIS3_Lb0EPKbPbPKlPlN2at6native12_GLOBAL__N_18offset_tEEE10hipError_tPvRmT1_PNSt15iterator_traitsISK_E10value_typeET2_T3_PNSL_ISQ_E10value_typeET4_jRbjT5_SW_jjP12ihipStream_tbEUlT_E_NS1_11comp_targetILNS1_3genE9ELNS1_11target_archE1100ELNS1_3gpuE3ELNS1_3repE0EEENS1_30default_config_static_selectorELNS0_4arch9wavefront6targetE1EEEvSK_ ; -- Begin function _ZN7rocprim17ROCPRIM_400000_NS6detail17trampoline_kernelINS0_14default_configENS1_36segmented_radix_sort_config_selectorIblEEZNS1_25segmented_radix_sort_implIS3_Lb0EPKbPbPKlPlN2at6native12_GLOBAL__N_18offset_tEEE10hipError_tPvRmT1_PNSt15iterator_traitsISK_E10value_typeET2_T3_PNSL_ISQ_E10value_typeET4_jRbjT5_SW_jjP12ihipStream_tbEUlT_E_NS1_11comp_targetILNS1_3genE9ELNS1_11target_archE1100ELNS1_3gpuE3ELNS1_3repE0EEENS1_30default_config_static_selectorELNS0_4arch9wavefront6targetE1EEEvSK_
	.p2align	8
	.type	_ZN7rocprim17ROCPRIM_400000_NS6detail17trampoline_kernelINS0_14default_configENS1_36segmented_radix_sort_config_selectorIblEEZNS1_25segmented_radix_sort_implIS3_Lb0EPKbPbPKlPlN2at6native12_GLOBAL__N_18offset_tEEE10hipError_tPvRmT1_PNSt15iterator_traitsISK_E10value_typeET2_T3_PNSL_ISQ_E10value_typeET4_jRbjT5_SW_jjP12ihipStream_tbEUlT_E_NS1_11comp_targetILNS1_3genE9ELNS1_11target_archE1100ELNS1_3gpuE3ELNS1_3repE0EEENS1_30default_config_static_selectorELNS0_4arch9wavefront6targetE1EEEvSK_,@function
_ZN7rocprim17ROCPRIM_400000_NS6detail17trampoline_kernelINS0_14default_configENS1_36segmented_radix_sort_config_selectorIblEEZNS1_25segmented_radix_sort_implIS3_Lb0EPKbPbPKlPlN2at6native12_GLOBAL__N_18offset_tEEE10hipError_tPvRmT1_PNSt15iterator_traitsISK_E10value_typeET2_T3_PNSL_ISQ_E10value_typeET4_jRbjT5_SW_jjP12ihipStream_tbEUlT_E_NS1_11comp_targetILNS1_3genE9ELNS1_11target_archE1100ELNS1_3gpuE3ELNS1_3repE0EEENS1_30default_config_static_selectorELNS0_4arch9wavefront6targetE1EEEvSK_: ; @_ZN7rocprim17ROCPRIM_400000_NS6detail17trampoline_kernelINS0_14default_configENS1_36segmented_radix_sort_config_selectorIblEEZNS1_25segmented_radix_sort_implIS3_Lb0EPKbPbPKlPlN2at6native12_GLOBAL__N_18offset_tEEE10hipError_tPvRmT1_PNSt15iterator_traitsISK_E10value_typeET2_T3_PNSL_ISQ_E10value_typeET4_jRbjT5_SW_jjP12ihipStream_tbEUlT_E_NS1_11comp_targetILNS1_3genE9ELNS1_11target_archE1100ELNS1_3gpuE3ELNS1_3repE0EEENS1_30default_config_static_selectorELNS0_4arch9wavefront6targetE1EEEvSK_
; %bb.0:
	.section	.rodata,"a",@progbits
	.p2align	6, 0x0
	.amdhsa_kernel _ZN7rocprim17ROCPRIM_400000_NS6detail17trampoline_kernelINS0_14default_configENS1_36segmented_radix_sort_config_selectorIblEEZNS1_25segmented_radix_sort_implIS3_Lb0EPKbPbPKlPlN2at6native12_GLOBAL__N_18offset_tEEE10hipError_tPvRmT1_PNSt15iterator_traitsISK_E10value_typeET2_T3_PNSL_ISQ_E10value_typeET4_jRbjT5_SW_jjP12ihipStream_tbEUlT_E_NS1_11comp_targetILNS1_3genE9ELNS1_11target_archE1100ELNS1_3gpuE3ELNS1_3repE0EEENS1_30default_config_static_selectorELNS0_4arch9wavefront6targetE1EEEvSK_
		.amdhsa_group_segment_fixed_size 0
		.amdhsa_private_segment_fixed_size 0
		.amdhsa_kernarg_size 96
		.amdhsa_user_sgpr_count 6
		.amdhsa_user_sgpr_private_segment_buffer 1
		.amdhsa_user_sgpr_dispatch_ptr 0
		.amdhsa_user_sgpr_queue_ptr 0
		.amdhsa_user_sgpr_kernarg_segment_ptr 1
		.amdhsa_user_sgpr_dispatch_id 0
		.amdhsa_user_sgpr_flat_scratch_init 0
		.amdhsa_user_sgpr_private_segment_size 0
		.amdhsa_uses_dynamic_stack 0
		.amdhsa_system_sgpr_private_segment_wavefront_offset 0
		.amdhsa_system_sgpr_workgroup_id_x 1
		.amdhsa_system_sgpr_workgroup_id_y 0
		.amdhsa_system_sgpr_workgroup_id_z 0
		.amdhsa_system_sgpr_workgroup_info 0
		.amdhsa_system_vgpr_workitem_id 0
		.amdhsa_next_free_vgpr 1
		.amdhsa_next_free_sgpr 0
		.amdhsa_reserve_vcc 0
		.amdhsa_reserve_flat_scratch 0
		.amdhsa_float_round_mode_32 0
		.amdhsa_float_round_mode_16_64 0
		.amdhsa_float_denorm_mode_32 3
		.amdhsa_float_denorm_mode_16_64 3
		.amdhsa_dx10_clamp 1
		.amdhsa_ieee_mode 1
		.amdhsa_fp16_overflow 0
		.amdhsa_exception_fp_ieee_invalid_op 0
		.amdhsa_exception_fp_denorm_src 0
		.amdhsa_exception_fp_ieee_div_zero 0
		.amdhsa_exception_fp_ieee_overflow 0
		.amdhsa_exception_fp_ieee_underflow 0
		.amdhsa_exception_fp_ieee_inexact 0
		.amdhsa_exception_int_div_zero 0
	.end_amdhsa_kernel
	.section	.text._ZN7rocprim17ROCPRIM_400000_NS6detail17trampoline_kernelINS0_14default_configENS1_36segmented_radix_sort_config_selectorIblEEZNS1_25segmented_radix_sort_implIS3_Lb0EPKbPbPKlPlN2at6native12_GLOBAL__N_18offset_tEEE10hipError_tPvRmT1_PNSt15iterator_traitsISK_E10value_typeET2_T3_PNSL_ISQ_E10value_typeET4_jRbjT5_SW_jjP12ihipStream_tbEUlT_E_NS1_11comp_targetILNS1_3genE9ELNS1_11target_archE1100ELNS1_3gpuE3ELNS1_3repE0EEENS1_30default_config_static_selectorELNS0_4arch9wavefront6targetE1EEEvSK_,"axG",@progbits,_ZN7rocprim17ROCPRIM_400000_NS6detail17trampoline_kernelINS0_14default_configENS1_36segmented_radix_sort_config_selectorIblEEZNS1_25segmented_radix_sort_implIS3_Lb0EPKbPbPKlPlN2at6native12_GLOBAL__N_18offset_tEEE10hipError_tPvRmT1_PNSt15iterator_traitsISK_E10value_typeET2_T3_PNSL_ISQ_E10value_typeET4_jRbjT5_SW_jjP12ihipStream_tbEUlT_E_NS1_11comp_targetILNS1_3genE9ELNS1_11target_archE1100ELNS1_3gpuE3ELNS1_3repE0EEENS1_30default_config_static_selectorELNS0_4arch9wavefront6targetE1EEEvSK_,comdat
.Lfunc_end1643:
	.size	_ZN7rocprim17ROCPRIM_400000_NS6detail17trampoline_kernelINS0_14default_configENS1_36segmented_radix_sort_config_selectorIblEEZNS1_25segmented_radix_sort_implIS3_Lb0EPKbPbPKlPlN2at6native12_GLOBAL__N_18offset_tEEE10hipError_tPvRmT1_PNSt15iterator_traitsISK_E10value_typeET2_T3_PNSL_ISQ_E10value_typeET4_jRbjT5_SW_jjP12ihipStream_tbEUlT_E_NS1_11comp_targetILNS1_3genE9ELNS1_11target_archE1100ELNS1_3gpuE3ELNS1_3repE0EEENS1_30default_config_static_selectorELNS0_4arch9wavefront6targetE1EEEvSK_, .Lfunc_end1643-_ZN7rocprim17ROCPRIM_400000_NS6detail17trampoline_kernelINS0_14default_configENS1_36segmented_radix_sort_config_selectorIblEEZNS1_25segmented_radix_sort_implIS3_Lb0EPKbPbPKlPlN2at6native12_GLOBAL__N_18offset_tEEE10hipError_tPvRmT1_PNSt15iterator_traitsISK_E10value_typeET2_T3_PNSL_ISQ_E10value_typeET4_jRbjT5_SW_jjP12ihipStream_tbEUlT_E_NS1_11comp_targetILNS1_3genE9ELNS1_11target_archE1100ELNS1_3gpuE3ELNS1_3repE0EEENS1_30default_config_static_selectorELNS0_4arch9wavefront6targetE1EEEvSK_
                                        ; -- End function
	.set _ZN7rocprim17ROCPRIM_400000_NS6detail17trampoline_kernelINS0_14default_configENS1_36segmented_radix_sort_config_selectorIblEEZNS1_25segmented_radix_sort_implIS3_Lb0EPKbPbPKlPlN2at6native12_GLOBAL__N_18offset_tEEE10hipError_tPvRmT1_PNSt15iterator_traitsISK_E10value_typeET2_T3_PNSL_ISQ_E10value_typeET4_jRbjT5_SW_jjP12ihipStream_tbEUlT_E_NS1_11comp_targetILNS1_3genE9ELNS1_11target_archE1100ELNS1_3gpuE3ELNS1_3repE0EEENS1_30default_config_static_selectorELNS0_4arch9wavefront6targetE1EEEvSK_.num_vgpr, 0
	.set _ZN7rocprim17ROCPRIM_400000_NS6detail17trampoline_kernelINS0_14default_configENS1_36segmented_radix_sort_config_selectorIblEEZNS1_25segmented_radix_sort_implIS3_Lb0EPKbPbPKlPlN2at6native12_GLOBAL__N_18offset_tEEE10hipError_tPvRmT1_PNSt15iterator_traitsISK_E10value_typeET2_T3_PNSL_ISQ_E10value_typeET4_jRbjT5_SW_jjP12ihipStream_tbEUlT_E_NS1_11comp_targetILNS1_3genE9ELNS1_11target_archE1100ELNS1_3gpuE3ELNS1_3repE0EEENS1_30default_config_static_selectorELNS0_4arch9wavefront6targetE1EEEvSK_.num_agpr, 0
	.set _ZN7rocprim17ROCPRIM_400000_NS6detail17trampoline_kernelINS0_14default_configENS1_36segmented_radix_sort_config_selectorIblEEZNS1_25segmented_radix_sort_implIS3_Lb0EPKbPbPKlPlN2at6native12_GLOBAL__N_18offset_tEEE10hipError_tPvRmT1_PNSt15iterator_traitsISK_E10value_typeET2_T3_PNSL_ISQ_E10value_typeET4_jRbjT5_SW_jjP12ihipStream_tbEUlT_E_NS1_11comp_targetILNS1_3genE9ELNS1_11target_archE1100ELNS1_3gpuE3ELNS1_3repE0EEENS1_30default_config_static_selectorELNS0_4arch9wavefront6targetE1EEEvSK_.numbered_sgpr, 0
	.set _ZN7rocprim17ROCPRIM_400000_NS6detail17trampoline_kernelINS0_14default_configENS1_36segmented_radix_sort_config_selectorIblEEZNS1_25segmented_radix_sort_implIS3_Lb0EPKbPbPKlPlN2at6native12_GLOBAL__N_18offset_tEEE10hipError_tPvRmT1_PNSt15iterator_traitsISK_E10value_typeET2_T3_PNSL_ISQ_E10value_typeET4_jRbjT5_SW_jjP12ihipStream_tbEUlT_E_NS1_11comp_targetILNS1_3genE9ELNS1_11target_archE1100ELNS1_3gpuE3ELNS1_3repE0EEENS1_30default_config_static_selectorELNS0_4arch9wavefront6targetE1EEEvSK_.num_named_barrier, 0
	.set _ZN7rocprim17ROCPRIM_400000_NS6detail17trampoline_kernelINS0_14default_configENS1_36segmented_radix_sort_config_selectorIblEEZNS1_25segmented_radix_sort_implIS3_Lb0EPKbPbPKlPlN2at6native12_GLOBAL__N_18offset_tEEE10hipError_tPvRmT1_PNSt15iterator_traitsISK_E10value_typeET2_T3_PNSL_ISQ_E10value_typeET4_jRbjT5_SW_jjP12ihipStream_tbEUlT_E_NS1_11comp_targetILNS1_3genE9ELNS1_11target_archE1100ELNS1_3gpuE3ELNS1_3repE0EEENS1_30default_config_static_selectorELNS0_4arch9wavefront6targetE1EEEvSK_.private_seg_size, 0
	.set _ZN7rocprim17ROCPRIM_400000_NS6detail17trampoline_kernelINS0_14default_configENS1_36segmented_radix_sort_config_selectorIblEEZNS1_25segmented_radix_sort_implIS3_Lb0EPKbPbPKlPlN2at6native12_GLOBAL__N_18offset_tEEE10hipError_tPvRmT1_PNSt15iterator_traitsISK_E10value_typeET2_T3_PNSL_ISQ_E10value_typeET4_jRbjT5_SW_jjP12ihipStream_tbEUlT_E_NS1_11comp_targetILNS1_3genE9ELNS1_11target_archE1100ELNS1_3gpuE3ELNS1_3repE0EEENS1_30default_config_static_selectorELNS0_4arch9wavefront6targetE1EEEvSK_.uses_vcc, 0
	.set _ZN7rocprim17ROCPRIM_400000_NS6detail17trampoline_kernelINS0_14default_configENS1_36segmented_radix_sort_config_selectorIblEEZNS1_25segmented_radix_sort_implIS3_Lb0EPKbPbPKlPlN2at6native12_GLOBAL__N_18offset_tEEE10hipError_tPvRmT1_PNSt15iterator_traitsISK_E10value_typeET2_T3_PNSL_ISQ_E10value_typeET4_jRbjT5_SW_jjP12ihipStream_tbEUlT_E_NS1_11comp_targetILNS1_3genE9ELNS1_11target_archE1100ELNS1_3gpuE3ELNS1_3repE0EEENS1_30default_config_static_selectorELNS0_4arch9wavefront6targetE1EEEvSK_.uses_flat_scratch, 0
	.set _ZN7rocprim17ROCPRIM_400000_NS6detail17trampoline_kernelINS0_14default_configENS1_36segmented_radix_sort_config_selectorIblEEZNS1_25segmented_radix_sort_implIS3_Lb0EPKbPbPKlPlN2at6native12_GLOBAL__N_18offset_tEEE10hipError_tPvRmT1_PNSt15iterator_traitsISK_E10value_typeET2_T3_PNSL_ISQ_E10value_typeET4_jRbjT5_SW_jjP12ihipStream_tbEUlT_E_NS1_11comp_targetILNS1_3genE9ELNS1_11target_archE1100ELNS1_3gpuE3ELNS1_3repE0EEENS1_30default_config_static_selectorELNS0_4arch9wavefront6targetE1EEEvSK_.has_dyn_sized_stack, 0
	.set _ZN7rocprim17ROCPRIM_400000_NS6detail17trampoline_kernelINS0_14default_configENS1_36segmented_radix_sort_config_selectorIblEEZNS1_25segmented_radix_sort_implIS3_Lb0EPKbPbPKlPlN2at6native12_GLOBAL__N_18offset_tEEE10hipError_tPvRmT1_PNSt15iterator_traitsISK_E10value_typeET2_T3_PNSL_ISQ_E10value_typeET4_jRbjT5_SW_jjP12ihipStream_tbEUlT_E_NS1_11comp_targetILNS1_3genE9ELNS1_11target_archE1100ELNS1_3gpuE3ELNS1_3repE0EEENS1_30default_config_static_selectorELNS0_4arch9wavefront6targetE1EEEvSK_.has_recursion, 0
	.set _ZN7rocprim17ROCPRIM_400000_NS6detail17trampoline_kernelINS0_14default_configENS1_36segmented_radix_sort_config_selectorIblEEZNS1_25segmented_radix_sort_implIS3_Lb0EPKbPbPKlPlN2at6native12_GLOBAL__N_18offset_tEEE10hipError_tPvRmT1_PNSt15iterator_traitsISK_E10value_typeET2_T3_PNSL_ISQ_E10value_typeET4_jRbjT5_SW_jjP12ihipStream_tbEUlT_E_NS1_11comp_targetILNS1_3genE9ELNS1_11target_archE1100ELNS1_3gpuE3ELNS1_3repE0EEENS1_30default_config_static_selectorELNS0_4arch9wavefront6targetE1EEEvSK_.has_indirect_call, 0
	.section	.AMDGPU.csdata,"",@progbits
; Kernel info:
; codeLenInByte = 0
; TotalNumSgprs: 4
; NumVgprs: 0
; ScratchSize: 0
; MemoryBound: 0
; FloatMode: 240
; IeeeMode: 1
; LDSByteSize: 0 bytes/workgroup (compile time only)
; SGPRBlocks: 0
; VGPRBlocks: 0
; NumSGPRsForWavesPerEU: 4
; NumVGPRsForWavesPerEU: 1
; Occupancy: 10
; WaveLimiterHint : 0
; COMPUTE_PGM_RSRC2:SCRATCH_EN: 0
; COMPUTE_PGM_RSRC2:USER_SGPR: 6
; COMPUTE_PGM_RSRC2:TRAP_HANDLER: 0
; COMPUTE_PGM_RSRC2:TGID_X_EN: 1
; COMPUTE_PGM_RSRC2:TGID_Y_EN: 0
; COMPUTE_PGM_RSRC2:TGID_Z_EN: 0
; COMPUTE_PGM_RSRC2:TIDIG_COMP_CNT: 0
	.section	.text._ZN7rocprim17ROCPRIM_400000_NS6detail17trampoline_kernelINS0_14default_configENS1_36segmented_radix_sort_config_selectorIblEEZNS1_25segmented_radix_sort_implIS3_Lb0EPKbPbPKlPlN2at6native12_GLOBAL__N_18offset_tEEE10hipError_tPvRmT1_PNSt15iterator_traitsISK_E10value_typeET2_T3_PNSL_ISQ_E10value_typeET4_jRbjT5_SW_jjP12ihipStream_tbEUlT_E_NS1_11comp_targetILNS1_3genE8ELNS1_11target_archE1030ELNS1_3gpuE2ELNS1_3repE0EEENS1_30default_config_static_selectorELNS0_4arch9wavefront6targetE1EEEvSK_,"axG",@progbits,_ZN7rocprim17ROCPRIM_400000_NS6detail17trampoline_kernelINS0_14default_configENS1_36segmented_radix_sort_config_selectorIblEEZNS1_25segmented_radix_sort_implIS3_Lb0EPKbPbPKlPlN2at6native12_GLOBAL__N_18offset_tEEE10hipError_tPvRmT1_PNSt15iterator_traitsISK_E10value_typeET2_T3_PNSL_ISQ_E10value_typeET4_jRbjT5_SW_jjP12ihipStream_tbEUlT_E_NS1_11comp_targetILNS1_3genE8ELNS1_11target_archE1030ELNS1_3gpuE2ELNS1_3repE0EEENS1_30default_config_static_selectorELNS0_4arch9wavefront6targetE1EEEvSK_,comdat
	.globl	_ZN7rocprim17ROCPRIM_400000_NS6detail17trampoline_kernelINS0_14default_configENS1_36segmented_radix_sort_config_selectorIblEEZNS1_25segmented_radix_sort_implIS3_Lb0EPKbPbPKlPlN2at6native12_GLOBAL__N_18offset_tEEE10hipError_tPvRmT1_PNSt15iterator_traitsISK_E10value_typeET2_T3_PNSL_ISQ_E10value_typeET4_jRbjT5_SW_jjP12ihipStream_tbEUlT_E_NS1_11comp_targetILNS1_3genE8ELNS1_11target_archE1030ELNS1_3gpuE2ELNS1_3repE0EEENS1_30default_config_static_selectorELNS0_4arch9wavefront6targetE1EEEvSK_ ; -- Begin function _ZN7rocprim17ROCPRIM_400000_NS6detail17trampoline_kernelINS0_14default_configENS1_36segmented_radix_sort_config_selectorIblEEZNS1_25segmented_radix_sort_implIS3_Lb0EPKbPbPKlPlN2at6native12_GLOBAL__N_18offset_tEEE10hipError_tPvRmT1_PNSt15iterator_traitsISK_E10value_typeET2_T3_PNSL_ISQ_E10value_typeET4_jRbjT5_SW_jjP12ihipStream_tbEUlT_E_NS1_11comp_targetILNS1_3genE8ELNS1_11target_archE1030ELNS1_3gpuE2ELNS1_3repE0EEENS1_30default_config_static_selectorELNS0_4arch9wavefront6targetE1EEEvSK_
	.p2align	8
	.type	_ZN7rocprim17ROCPRIM_400000_NS6detail17trampoline_kernelINS0_14default_configENS1_36segmented_radix_sort_config_selectorIblEEZNS1_25segmented_radix_sort_implIS3_Lb0EPKbPbPKlPlN2at6native12_GLOBAL__N_18offset_tEEE10hipError_tPvRmT1_PNSt15iterator_traitsISK_E10value_typeET2_T3_PNSL_ISQ_E10value_typeET4_jRbjT5_SW_jjP12ihipStream_tbEUlT_E_NS1_11comp_targetILNS1_3genE8ELNS1_11target_archE1030ELNS1_3gpuE2ELNS1_3repE0EEENS1_30default_config_static_selectorELNS0_4arch9wavefront6targetE1EEEvSK_,@function
_ZN7rocprim17ROCPRIM_400000_NS6detail17trampoline_kernelINS0_14default_configENS1_36segmented_radix_sort_config_selectorIblEEZNS1_25segmented_radix_sort_implIS3_Lb0EPKbPbPKlPlN2at6native12_GLOBAL__N_18offset_tEEE10hipError_tPvRmT1_PNSt15iterator_traitsISK_E10value_typeET2_T3_PNSL_ISQ_E10value_typeET4_jRbjT5_SW_jjP12ihipStream_tbEUlT_E_NS1_11comp_targetILNS1_3genE8ELNS1_11target_archE1030ELNS1_3gpuE2ELNS1_3repE0EEENS1_30default_config_static_selectorELNS0_4arch9wavefront6targetE1EEEvSK_: ; @_ZN7rocprim17ROCPRIM_400000_NS6detail17trampoline_kernelINS0_14default_configENS1_36segmented_radix_sort_config_selectorIblEEZNS1_25segmented_radix_sort_implIS3_Lb0EPKbPbPKlPlN2at6native12_GLOBAL__N_18offset_tEEE10hipError_tPvRmT1_PNSt15iterator_traitsISK_E10value_typeET2_T3_PNSL_ISQ_E10value_typeET4_jRbjT5_SW_jjP12ihipStream_tbEUlT_E_NS1_11comp_targetILNS1_3genE8ELNS1_11target_archE1030ELNS1_3gpuE2ELNS1_3repE0EEENS1_30default_config_static_selectorELNS0_4arch9wavefront6targetE1EEEvSK_
; %bb.0:
	.section	.rodata,"a",@progbits
	.p2align	6, 0x0
	.amdhsa_kernel _ZN7rocprim17ROCPRIM_400000_NS6detail17trampoline_kernelINS0_14default_configENS1_36segmented_radix_sort_config_selectorIblEEZNS1_25segmented_radix_sort_implIS3_Lb0EPKbPbPKlPlN2at6native12_GLOBAL__N_18offset_tEEE10hipError_tPvRmT1_PNSt15iterator_traitsISK_E10value_typeET2_T3_PNSL_ISQ_E10value_typeET4_jRbjT5_SW_jjP12ihipStream_tbEUlT_E_NS1_11comp_targetILNS1_3genE8ELNS1_11target_archE1030ELNS1_3gpuE2ELNS1_3repE0EEENS1_30default_config_static_selectorELNS0_4arch9wavefront6targetE1EEEvSK_
		.amdhsa_group_segment_fixed_size 0
		.amdhsa_private_segment_fixed_size 0
		.amdhsa_kernarg_size 96
		.amdhsa_user_sgpr_count 6
		.amdhsa_user_sgpr_private_segment_buffer 1
		.amdhsa_user_sgpr_dispatch_ptr 0
		.amdhsa_user_sgpr_queue_ptr 0
		.amdhsa_user_sgpr_kernarg_segment_ptr 1
		.amdhsa_user_sgpr_dispatch_id 0
		.amdhsa_user_sgpr_flat_scratch_init 0
		.amdhsa_user_sgpr_private_segment_size 0
		.amdhsa_uses_dynamic_stack 0
		.amdhsa_system_sgpr_private_segment_wavefront_offset 0
		.amdhsa_system_sgpr_workgroup_id_x 1
		.amdhsa_system_sgpr_workgroup_id_y 0
		.amdhsa_system_sgpr_workgroup_id_z 0
		.amdhsa_system_sgpr_workgroup_info 0
		.amdhsa_system_vgpr_workitem_id 0
		.amdhsa_next_free_vgpr 1
		.amdhsa_next_free_sgpr 0
		.amdhsa_reserve_vcc 0
		.amdhsa_reserve_flat_scratch 0
		.amdhsa_float_round_mode_32 0
		.amdhsa_float_round_mode_16_64 0
		.amdhsa_float_denorm_mode_32 3
		.amdhsa_float_denorm_mode_16_64 3
		.amdhsa_dx10_clamp 1
		.amdhsa_ieee_mode 1
		.amdhsa_fp16_overflow 0
		.amdhsa_exception_fp_ieee_invalid_op 0
		.amdhsa_exception_fp_denorm_src 0
		.amdhsa_exception_fp_ieee_div_zero 0
		.amdhsa_exception_fp_ieee_overflow 0
		.amdhsa_exception_fp_ieee_underflow 0
		.amdhsa_exception_fp_ieee_inexact 0
		.amdhsa_exception_int_div_zero 0
	.end_amdhsa_kernel
	.section	.text._ZN7rocprim17ROCPRIM_400000_NS6detail17trampoline_kernelINS0_14default_configENS1_36segmented_radix_sort_config_selectorIblEEZNS1_25segmented_radix_sort_implIS3_Lb0EPKbPbPKlPlN2at6native12_GLOBAL__N_18offset_tEEE10hipError_tPvRmT1_PNSt15iterator_traitsISK_E10value_typeET2_T3_PNSL_ISQ_E10value_typeET4_jRbjT5_SW_jjP12ihipStream_tbEUlT_E_NS1_11comp_targetILNS1_3genE8ELNS1_11target_archE1030ELNS1_3gpuE2ELNS1_3repE0EEENS1_30default_config_static_selectorELNS0_4arch9wavefront6targetE1EEEvSK_,"axG",@progbits,_ZN7rocprim17ROCPRIM_400000_NS6detail17trampoline_kernelINS0_14default_configENS1_36segmented_radix_sort_config_selectorIblEEZNS1_25segmented_radix_sort_implIS3_Lb0EPKbPbPKlPlN2at6native12_GLOBAL__N_18offset_tEEE10hipError_tPvRmT1_PNSt15iterator_traitsISK_E10value_typeET2_T3_PNSL_ISQ_E10value_typeET4_jRbjT5_SW_jjP12ihipStream_tbEUlT_E_NS1_11comp_targetILNS1_3genE8ELNS1_11target_archE1030ELNS1_3gpuE2ELNS1_3repE0EEENS1_30default_config_static_selectorELNS0_4arch9wavefront6targetE1EEEvSK_,comdat
.Lfunc_end1644:
	.size	_ZN7rocprim17ROCPRIM_400000_NS6detail17trampoline_kernelINS0_14default_configENS1_36segmented_radix_sort_config_selectorIblEEZNS1_25segmented_radix_sort_implIS3_Lb0EPKbPbPKlPlN2at6native12_GLOBAL__N_18offset_tEEE10hipError_tPvRmT1_PNSt15iterator_traitsISK_E10value_typeET2_T3_PNSL_ISQ_E10value_typeET4_jRbjT5_SW_jjP12ihipStream_tbEUlT_E_NS1_11comp_targetILNS1_3genE8ELNS1_11target_archE1030ELNS1_3gpuE2ELNS1_3repE0EEENS1_30default_config_static_selectorELNS0_4arch9wavefront6targetE1EEEvSK_, .Lfunc_end1644-_ZN7rocprim17ROCPRIM_400000_NS6detail17trampoline_kernelINS0_14default_configENS1_36segmented_radix_sort_config_selectorIblEEZNS1_25segmented_radix_sort_implIS3_Lb0EPKbPbPKlPlN2at6native12_GLOBAL__N_18offset_tEEE10hipError_tPvRmT1_PNSt15iterator_traitsISK_E10value_typeET2_T3_PNSL_ISQ_E10value_typeET4_jRbjT5_SW_jjP12ihipStream_tbEUlT_E_NS1_11comp_targetILNS1_3genE8ELNS1_11target_archE1030ELNS1_3gpuE2ELNS1_3repE0EEENS1_30default_config_static_selectorELNS0_4arch9wavefront6targetE1EEEvSK_
                                        ; -- End function
	.set _ZN7rocprim17ROCPRIM_400000_NS6detail17trampoline_kernelINS0_14default_configENS1_36segmented_radix_sort_config_selectorIblEEZNS1_25segmented_radix_sort_implIS3_Lb0EPKbPbPKlPlN2at6native12_GLOBAL__N_18offset_tEEE10hipError_tPvRmT1_PNSt15iterator_traitsISK_E10value_typeET2_T3_PNSL_ISQ_E10value_typeET4_jRbjT5_SW_jjP12ihipStream_tbEUlT_E_NS1_11comp_targetILNS1_3genE8ELNS1_11target_archE1030ELNS1_3gpuE2ELNS1_3repE0EEENS1_30default_config_static_selectorELNS0_4arch9wavefront6targetE1EEEvSK_.num_vgpr, 0
	.set _ZN7rocprim17ROCPRIM_400000_NS6detail17trampoline_kernelINS0_14default_configENS1_36segmented_radix_sort_config_selectorIblEEZNS1_25segmented_radix_sort_implIS3_Lb0EPKbPbPKlPlN2at6native12_GLOBAL__N_18offset_tEEE10hipError_tPvRmT1_PNSt15iterator_traitsISK_E10value_typeET2_T3_PNSL_ISQ_E10value_typeET4_jRbjT5_SW_jjP12ihipStream_tbEUlT_E_NS1_11comp_targetILNS1_3genE8ELNS1_11target_archE1030ELNS1_3gpuE2ELNS1_3repE0EEENS1_30default_config_static_selectorELNS0_4arch9wavefront6targetE1EEEvSK_.num_agpr, 0
	.set _ZN7rocprim17ROCPRIM_400000_NS6detail17trampoline_kernelINS0_14default_configENS1_36segmented_radix_sort_config_selectorIblEEZNS1_25segmented_radix_sort_implIS3_Lb0EPKbPbPKlPlN2at6native12_GLOBAL__N_18offset_tEEE10hipError_tPvRmT1_PNSt15iterator_traitsISK_E10value_typeET2_T3_PNSL_ISQ_E10value_typeET4_jRbjT5_SW_jjP12ihipStream_tbEUlT_E_NS1_11comp_targetILNS1_3genE8ELNS1_11target_archE1030ELNS1_3gpuE2ELNS1_3repE0EEENS1_30default_config_static_selectorELNS0_4arch9wavefront6targetE1EEEvSK_.numbered_sgpr, 0
	.set _ZN7rocprim17ROCPRIM_400000_NS6detail17trampoline_kernelINS0_14default_configENS1_36segmented_radix_sort_config_selectorIblEEZNS1_25segmented_radix_sort_implIS3_Lb0EPKbPbPKlPlN2at6native12_GLOBAL__N_18offset_tEEE10hipError_tPvRmT1_PNSt15iterator_traitsISK_E10value_typeET2_T3_PNSL_ISQ_E10value_typeET4_jRbjT5_SW_jjP12ihipStream_tbEUlT_E_NS1_11comp_targetILNS1_3genE8ELNS1_11target_archE1030ELNS1_3gpuE2ELNS1_3repE0EEENS1_30default_config_static_selectorELNS0_4arch9wavefront6targetE1EEEvSK_.num_named_barrier, 0
	.set _ZN7rocprim17ROCPRIM_400000_NS6detail17trampoline_kernelINS0_14default_configENS1_36segmented_radix_sort_config_selectorIblEEZNS1_25segmented_radix_sort_implIS3_Lb0EPKbPbPKlPlN2at6native12_GLOBAL__N_18offset_tEEE10hipError_tPvRmT1_PNSt15iterator_traitsISK_E10value_typeET2_T3_PNSL_ISQ_E10value_typeET4_jRbjT5_SW_jjP12ihipStream_tbEUlT_E_NS1_11comp_targetILNS1_3genE8ELNS1_11target_archE1030ELNS1_3gpuE2ELNS1_3repE0EEENS1_30default_config_static_selectorELNS0_4arch9wavefront6targetE1EEEvSK_.private_seg_size, 0
	.set _ZN7rocprim17ROCPRIM_400000_NS6detail17trampoline_kernelINS0_14default_configENS1_36segmented_radix_sort_config_selectorIblEEZNS1_25segmented_radix_sort_implIS3_Lb0EPKbPbPKlPlN2at6native12_GLOBAL__N_18offset_tEEE10hipError_tPvRmT1_PNSt15iterator_traitsISK_E10value_typeET2_T3_PNSL_ISQ_E10value_typeET4_jRbjT5_SW_jjP12ihipStream_tbEUlT_E_NS1_11comp_targetILNS1_3genE8ELNS1_11target_archE1030ELNS1_3gpuE2ELNS1_3repE0EEENS1_30default_config_static_selectorELNS0_4arch9wavefront6targetE1EEEvSK_.uses_vcc, 0
	.set _ZN7rocprim17ROCPRIM_400000_NS6detail17trampoline_kernelINS0_14default_configENS1_36segmented_radix_sort_config_selectorIblEEZNS1_25segmented_radix_sort_implIS3_Lb0EPKbPbPKlPlN2at6native12_GLOBAL__N_18offset_tEEE10hipError_tPvRmT1_PNSt15iterator_traitsISK_E10value_typeET2_T3_PNSL_ISQ_E10value_typeET4_jRbjT5_SW_jjP12ihipStream_tbEUlT_E_NS1_11comp_targetILNS1_3genE8ELNS1_11target_archE1030ELNS1_3gpuE2ELNS1_3repE0EEENS1_30default_config_static_selectorELNS0_4arch9wavefront6targetE1EEEvSK_.uses_flat_scratch, 0
	.set _ZN7rocprim17ROCPRIM_400000_NS6detail17trampoline_kernelINS0_14default_configENS1_36segmented_radix_sort_config_selectorIblEEZNS1_25segmented_radix_sort_implIS3_Lb0EPKbPbPKlPlN2at6native12_GLOBAL__N_18offset_tEEE10hipError_tPvRmT1_PNSt15iterator_traitsISK_E10value_typeET2_T3_PNSL_ISQ_E10value_typeET4_jRbjT5_SW_jjP12ihipStream_tbEUlT_E_NS1_11comp_targetILNS1_3genE8ELNS1_11target_archE1030ELNS1_3gpuE2ELNS1_3repE0EEENS1_30default_config_static_selectorELNS0_4arch9wavefront6targetE1EEEvSK_.has_dyn_sized_stack, 0
	.set _ZN7rocprim17ROCPRIM_400000_NS6detail17trampoline_kernelINS0_14default_configENS1_36segmented_radix_sort_config_selectorIblEEZNS1_25segmented_radix_sort_implIS3_Lb0EPKbPbPKlPlN2at6native12_GLOBAL__N_18offset_tEEE10hipError_tPvRmT1_PNSt15iterator_traitsISK_E10value_typeET2_T3_PNSL_ISQ_E10value_typeET4_jRbjT5_SW_jjP12ihipStream_tbEUlT_E_NS1_11comp_targetILNS1_3genE8ELNS1_11target_archE1030ELNS1_3gpuE2ELNS1_3repE0EEENS1_30default_config_static_selectorELNS0_4arch9wavefront6targetE1EEEvSK_.has_recursion, 0
	.set _ZN7rocprim17ROCPRIM_400000_NS6detail17trampoline_kernelINS0_14default_configENS1_36segmented_radix_sort_config_selectorIblEEZNS1_25segmented_radix_sort_implIS3_Lb0EPKbPbPKlPlN2at6native12_GLOBAL__N_18offset_tEEE10hipError_tPvRmT1_PNSt15iterator_traitsISK_E10value_typeET2_T3_PNSL_ISQ_E10value_typeET4_jRbjT5_SW_jjP12ihipStream_tbEUlT_E_NS1_11comp_targetILNS1_3genE8ELNS1_11target_archE1030ELNS1_3gpuE2ELNS1_3repE0EEENS1_30default_config_static_selectorELNS0_4arch9wavefront6targetE1EEEvSK_.has_indirect_call, 0
	.section	.AMDGPU.csdata,"",@progbits
; Kernel info:
; codeLenInByte = 0
; TotalNumSgprs: 4
; NumVgprs: 0
; ScratchSize: 0
; MemoryBound: 0
; FloatMode: 240
; IeeeMode: 1
; LDSByteSize: 0 bytes/workgroup (compile time only)
; SGPRBlocks: 0
; VGPRBlocks: 0
; NumSGPRsForWavesPerEU: 4
; NumVGPRsForWavesPerEU: 1
; Occupancy: 10
; WaveLimiterHint : 0
; COMPUTE_PGM_RSRC2:SCRATCH_EN: 0
; COMPUTE_PGM_RSRC2:USER_SGPR: 6
; COMPUTE_PGM_RSRC2:TRAP_HANDLER: 0
; COMPUTE_PGM_RSRC2:TGID_X_EN: 1
; COMPUTE_PGM_RSRC2:TGID_Y_EN: 0
; COMPUTE_PGM_RSRC2:TGID_Z_EN: 0
; COMPUTE_PGM_RSRC2:TIDIG_COMP_CNT: 0
	.section	.text._ZN7rocprim17ROCPRIM_400000_NS6detail17trampoline_kernelINS0_14default_configENS1_36segmented_radix_sort_config_selectorIblEEZNS1_25segmented_radix_sort_implIS3_Lb0EPKbPbPKlPlN2at6native12_GLOBAL__N_18offset_tEEE10hipError_tPvRmT1_PNSt15iterator_traitsISK_E10value_typeET2_T3_PNSL_ISQ_E10value_typeET4_jRbjT5_SW_jjP12ihipStream_tbEUlT_E0_NS1_11comp_targetILNS1_3genE0ELNS1_11target_archE4294967295ELNS1_3gpuE0ELNS1_3repE0EEENS1_60segmented_radix_sort_warp_sort_medium_config_static_selectorELNS0_4arch9wavefront6targetE1EEEvSK_,"axG",@progbits,_ZN7rocprim17ROCPRIM_400000_NS6detail17trampoline_kernelINS0_14default_configENS1_36segmented_radix_sort_config_selectorIblEEZNS1_25segmented_radix_sort_implIS3_Lb0EPKbPbPKlPlN2at6native12_GLOBAL__N_18offset_tEEE10hipError_tPvRmT1_PNSt15iterator_traitsISK_E10value_typeET2_T3_PNSL_ISQ_E10value_typeET4_jRbjT5_SW_jjP12ihipStream_tbEUlT_E0_NS1_11comp_targetILNS1_3genE0ELNS1_11target_archE4294967295ELNS1_3gpuE0ELNS1_3repE0EEENS1_60segmented_radix_sort_warp_sort_medium_config_static_selectorELNS0_4arch9wavefront6targetE1EEEvSK_,comdat
	.globl	_ZN7rocprim17ROCPRIM_400000_NS6detail17trampoline_kernelINS0_14default_configENS1_36segmented_radix_sort_config_selectorIblEEZNS1_25segmented_radix_sort_implIS3_Lb0EPKbPbPKlPlN2at6native12_GLOBAL__N_18offset_tEEE10hipError_tPvRmT1_PNSt15iterator_traitsISK_E10value_typeET2_T3_PNSL_ISQ_E10value_typeET4_jRbjT5_SW_jjP12ihipStream_tbEUlT_E0_NS1_11comp_targetILNS1_3genE0ELNS1_11target_archE4294967295ELNS1_3gpuE0ELNS1_3repE0EEENS1_60segmented_radix_sort_warp_sort_medium_config_static_selectorELNS0_4arch9wavefront6targetE1EEEvSK_ ; -- Begin function _ZN7rocprim17ROCPRIM_400000_NS6detail17trampoline_kernelINS0_14default_configENS1_36segmented_radix_sort_config_selectorIblEEZNS1_25segmented_radix_sort_implIS3_Lb0EPKbPbPKlPlN2at6native12_GLOBAL__N_18offset_tEEE10hipError_tPvRmT1_PNSt15iterator_traitsISK_E10value_typeET2_T3_PNSL_ISQ_E10value_typeET4_jRbjT5_SW_jjP12ihipStream_tbEUlT_E0_NS1_11comp_targetILNS1_3genE0ELNS1_11target_archE4294967295ELNS1_3gpuE0ELNS1_3repE0EEENS1_60segmented_radix_sort_warp_sort_medium_config_static_selectorELNS0_4arch9wavefront6targetE1EEEvSK_
	.p2align	8
	.type	_ZN7rocprim17ROCPRIM_400000_NS6detail17trampoline_kernelINS0_14default_configENS1_36segmented_radix_sort_config_selectorIblEEZNS1_25segmented_radix_sort_implIS3_Lb0EPKbPbPKlPlN2at6native12_GLOBAL__N_18offset_tEEE10hipError_tPvRmT1_PNSt15iterator_traitsISK_E10value_typeET2_T3_PNSL_ISQ_E10value_typeET4_jRbjT5_SW_jjP12ihipStream_tbEUlT_E0_NS1_11comp_targetILNS1_3genE0ELNS1_11target_archE4294967295ELNS1_3gpuE0ELNS1_3repE0EEENS1_60segmented_radix_sort_warp_sort_medium_config_static_selectorELNS0_4arch9wavefront6targetE1EEEvSK_,@function
_ZN7rocprim17ROCPRIM_400000_NS6detail17trampoline_kernelINS0_14default_configENS1_36segmented_radix_sort_config_selectorIblEEZNS1_25segmented_radix_sort_implIS3_Lb0EPKbPbPKlPlN2at6native12_GLOBAL__N_18offset_tEEE10hipError_tPvRmT1_PNSt15iterator_traitsISK_E10value_typeET2_T3_PNSL_ISQ_E10value_typeET4_jRbjT5_SW_jjP12ihipStream_tbEUlT_E0_NS1_11comp_targetILNS1_3genE0ELNS1_11target_archE4294967295ELNS1_3gpuE0ELNS1_3repE0EEENS1_60segmented_radix_sort_warp_sort_medium_config_static_selectorELNS0_4arch9wavefront6targetE1EEEvSK_: ; @_ZN7rocprim17ROCPRIM_400000_NS6detail17trampoline_kernelINS0_14default_configENS1_36segmented_radix_sort_config_selectorIblEEZNS1_25segmented_radix_sort_implIS3_Lb0EPKbPbPKlPlN2at6native12_GLOBAL__N_18offset_tEEE10hipError_tPvRmT1_PNSt15iterator_traitsISK_E10value_typeET2_T3_PNSL_ISQ_E10value_typeET4_jRbjT5_SW_jjP12ihipStream_tbEUlT_E0_NS1_11comp_targetILNS1_3genE0ELNS1_11target_archE4294967295ELNS1_3gpuE0ELNS1_3repE0EEENS1_60segmented_radix_sort_warp_sort_medium_config_static_selectorELNS0_4arch9wavefront6targetE1EEEvSK_
; %bb.0:
	.section	.rodata,"a",@progbits
	.p2align	6, 0x0
	.amdhsa_kernel _ZN7rocprim17ROCPRIM_400000_NS6detail17trampoline_kernelINS0_14default_configENS1_36segmented_radix_sort_config_selectorIblEEZNS1_25segmented_radix_sort_implIS3_Lb0EPKbPbPKlPlN2at6native12_GLOBAL__N_18offset_tEEE10hipError_tPvRmT1_PNSt15iterator_traitsISK_E10value_typeET2_T3_PNSL_ISQ_E10value_typeET4_jRbjT5_SW_jjP12ihipStream_tbEUlT_E0_NS1_11comp_targetILNS1_3genE0ELNS1_11target_archE4294967295ELNS1_3gpuE0ELNS1_3repE0EEENS1_60segmented_radix_sort_warp_sort_medium_config_static_selectorELNS0_4arch9wavefront6targetE1EEEvSK_
		.amdhsa_group_segment_fixed_size 0
		.amdhsa_private_segment_fixed_size 0
		.amdhsa_kernarg_size 88
		.amdhsa_user_sgpr_count 6
		.amdhsa_user_sgpr_private_segment_buffer 1
		.amdhsa_user_sgpr_dispatch_ptr 0
		.amdhsa_user_sgpr_queue_ptr 0
		.amdhsa_user_sgpr_kernarg_segment_ptr 1
		.amdhsa_user_sgpr_dispatch_id 0
		.amdhsa_user_sgpr_flat_scratch_init 0
		.amdhsa_user_sgpr_private_segment_size 0
		.amdhsa_uses_dynamic_stack 0
		.amdhsa_system_sgpr_private_segment_wavefront_offset 0
		.amdhsa_system_sgpr_workgroup_id_x 1
		.amdhsa_system_sgpr_workgroup_id_y 0
		.amdhsa_system_sgpr_workgroup_id_z 0
		.amdhsa_system_sgpr_workgroup_info 0
		.amdhsa_system_vgpr_workitem_id 0
		.amdhsa_next_free_vgpr 1
		.amdhsa_next_free_sgpr 0
		.amdhsa_reserve_vcc 0
		.amdhsa_reserve_flat_scratch 0
		.amdhsa_float_round_mode_32 0
		.amdhsa_float_round_mode_16_64 0
		.amdhsa_float_denorm_mode_32 3
		.amdhsa_float_denorm_mode_16_64 3
		.amdhsa_dx10_clamp 1
		.amdhsa_ieee_mode 1
		.amdhsa_fp16_overflow 0
		.amdhsa_exception_fp_ieee_invalid_op 0
		.amdhsa_exception_fp_denorm_src 0
		.amdhsa_exception_fp_ieee_div_zero 0
		.amdhsa_exception_fp_ieee_overflow 0
		.amdhsa_exception_fp_ieee_underflow 0
		.amdhsa_exception_fp_ieee_inexact 0
		.amdhsa_exception_int_div_zero 0
	.end_amdhsa_kernel
	.section	.text._ZN7rocprim17ROCPRIM_400000_NS6detail17trampoline_kernelINS0_14default_configENS1_36segmented_radix_sort_config_selectorIblEEZNS1_25segmented_radix_sort_implIS3_Lb0EPKbPbPKlPlN2at6native12_GLOBAL__N_18offset_tEEE10hipError_tPvRmT1_PNSt15iterator_traitsISK_E10value_typeET2_T3_PNSL_ISQ_E10value_typeET4_jRbjT5_SW_jjP12ihipStream_tbEUlT_E0_NS1_11comp_targetILNS1_3genE0ELNS1_11target_archE4294967295ELNS1_3gpuE0ELNS1_3repE0EEENS1_60segmented_radix_sort_warp_sort_medium_config_static_selectorELNS0_4arch9wavefront6targetE1EEEvSK_,"axG",@progbits,_ZN7rocprim17ROCPRIM_400000_NS6detail17trampoline_kernelINS0_14default_configENS1_36segmented_radix_sort_config_selectorIblEEZNS1_25segmented_radix_sort_implIS3_Lb0EPKbPbPKlPlN2at6native12_GLOBAL__N_18offset_tEEE10hipError_tPvRmT1_PNSt15iterator_traitsISK_E10value_typeET2_T3_PNSL_ISQ_E10value_typeET4_jRbjT5_SW_jjP12ihipStream_tbEUlT_E0_NS1_11comp_targetILNS1_3genE0ELNS1_11target_archE4294967295ELNS1_3gpuE0ELNS1_3repE0EEENS1_60segmented_radix_sort_warp_sort_medium_config_static_selectorELNS0_4arch9wavefront6targetE1EEEvSK_,comdat
.Lfunc_end1645:
	.size	_ZN7rocprim17ROCPRIM_400000_NS6detail17trampoline_kernelINS0_14default_configENS1_36segmented_radix_sort_config_selectorIblEEZNS1_25segmented_radix_sort_implIS3_Lb0EPKbPbPKlPlN2at6native12_GLOBAL__N_18offset_tEEE10hipError_tPvRmT1_PNSt15iterator_traitsISK_E10value_typeET2_T3_PNSL_ISQ_E10value_typeET4_jRbjT5_SW_jjP12ihipStream_tbEUlT_E0_NS1_11comp_targetILNS1_3genE0ELNS1_11target_archE4294967295ELNS1_3gpuE0ELNS1_3repE0EEENS1_60segmented_radix_sort_warp_sort_medium_config_static_selectorELNS0_4arch9wavefront6targetE1EEEvSK_, .Lfunc_end1645-_ZN7rocprim17ROCPRIM_400000_NS6detail17trampoline_kernelINS0_14default_configENS1_36segmented_radix_sort_config_selectorIblEEZNS1_25segmented_radix_sort_implIS3_Lb0EPKbPbPKlPlN2at6native12_GLOBAL__N_18offset_tEEE10hipError_tPvRmT1_PNSt15iterator_traitsISK_E10value_typeET2_T3_PNSL_ISQ_E10value_typeET4_jRbjT5_SW_jjP12ihipStream_tbEUlT_E0_NS1_11comp_targetILNS1_3genE0ELNS1_11target_archE4294967295ELNS1_3gpuE0ELNS1_3repE0EEENS1_60segmented_radix_sort_warp_sort_medium_config_static_selectorELNS0_4arch9wavefront6targetE1EEEvSK_
                                        ; -- End function
	.set _ZN7rocprim17ROCPRIM_400000_NS6detail17trampoline_kernelINS0_14default_configENS1_36segmented_radix_sort_config_selectorIblEEZNS1_25segmented_radix_sort_implIS3_Lb0EPKbPbPKlPlN2at6native12_GLOBAL__N_18offset_tEEE10hipError_tPvRmT1_PNSt15iterator_traitsISK_E10value_typeET2_T3_PNSL_ISQ_E10value_typeET4_jRbjT5_SW_jjP12ihipStream_tbEUlT_E0_NS1_11comp_targetILNS1_3genE0ELNS1_11target_archE4294967295ELNS1_3gpuE0ELNS1_3repE0EEENS1_60segmented_radix_sort_warp_sort_medium_config_static_selectorELNS0_4arch9wavefront6targetE1EEEvSK_.num_vgpr, 0
	.set _ZN7rocprim17ROCPRIM_400000_NS6detail17trampoline_kernelINS0_14default_configENS1_36segmented_radix_sort_config_selectorIblEEZNS1_25segmented_radix_sort_implIS3_Lb0EPKbPbPKlPlN2at6native12_GLOBAL__N_18offset_tEEE10hipError_tPvRmT1_PNSt15iterator_traitsISK_E10value_typeET2_T3_PNSL_ISQ_E10value_typeET4_jRbjT5_SW_jjP12ihipStream_tbEUlT_E0_NS1_11comp_targetILNS1_3genE0ELNS1_11target_archE4294967295ELNS1_3gpuE0ELNS1_3repE0EEENS1_60segmented_radix_sort_warp_sort_medium_config_static_selectorELNS0_4arch9wavefront6targetE1EEEvSK_.num_agpr, 0
	.set _ZN7rocprim17ROCPRIM_400000_NS6detail17trampoline_kernelINS0_14default_configENS1_36segmented_radix_sort_config_selectorIblEEZNS1_25segmented_radix_sort_implIS3_Lb0EPKbPbPKlPlN2at6native12_GLOBAL__N_18offset_tEEE10hipError_tPvRmT1_PNSt15iterator_traitsISK_E10value_typeET2_T3_PNSL_ISQ_E10value_typeET4_jRbjT5_SW_jjP12ihipStream_tbEUlT_E0_NS1_11comp_targetILNS1_3genE0ELNS1_11target_archE4294967295ELNS1_3gpuE0ELNS1_3repE0EEENS1_60segmented_radix_sort_warp_sort_medium_config_static_selectorELNS0_4arch9wavefront6targetE1EEEvSK_.numbered_sgpr, 0
	.set _ZN7rocprim17ROCPRIM_400000_NS6detail17trampoline_kernelINS0_14default_configENS1_36segmented_radix_sort_config_selectorIblEEZNS1_25segmented_radix_sort_implIS3_Lb0EPKbPbPKlPlN2at6native12_GLOBAL__N_18offset_tEEE10hipError_tPvRmT1_PNSt15iterator_traitsISK_E10value_typeET2_T3_PNSL_ISQ_E10value_typeET4_jRbjT5_SW_jjP12ihipStream_tbEUlT_E0_NS1_11comp_targetILNS1_3genE0ELNS1_11target_archE4294967295ELNS1_3gpuE0ELNS1_3repE0EEENS1_60segmented_radix_sort_warp_sort_medium_config_static_selectorELNS0_4arch9wavefront6targetE1EEEvSK_.num_named_barrier, 0
	.set _ZN7rocprim17ROCPRIM_400000_NS6detail17trampoline_kernelINS0_14default_configENS1_36segmented_radix_sort_config_selectorIblEEZNS1_25segmented_radix_sort_implIS3_Lb0EPKbPbPKlPlN2at6native12_GLOBAL__N_18offset_tEEE10hipError_tPvRmT1_PNSt15iterator_traitsISK_E10value_typeET2_T3_PNSL_ISQ_E10value_typeET4_jRbjT5_SW_jjP12ihipStream_tbEUlT_E0_NS1_11comp_targetILNS1_3genE0ELNS1_11target_archE4294967295ELNS1_3gpuE0ELNS1_3repE0EEENS1_60segmented_radix_sort_warp_sort_medium_config_static_selectorELNS0_4arch9wavefront6targetE1EEEvSK_.private_seg_size, 0
	.set _ZN7rocprim17ROCPRIM_400000_NS6detail17trampoline_kernelINS0_14default_configENS1_36segmented_radix_sort_config_selectorIblEEZNS1_25segmented_radix_sort_implIS3_Lb0EPKbPbPKlPlN2at6native12_GLOBAL__N_18offset_tEEE10hipError_tPvRmT1_PNSt15iterator_traitsISK_E10value_typeET2_T3_PNSL_ISQ_E10value_typeET4_jRbjT5_SW_jjP12ihipStream_tbEUlT_E0_NS1_11comp_targetILNS1_3genE0ELNS1_11target_archE4294967295ELNS1_3gpuE0ELNS1_3repE0EEENS1_60segmented_radix_sort_warp_sort_medium_config_static_selectorELNS0_4arch9wavefront6targetE1EEEvSK_.uses_vcc, 0
	.set _ZN7rocprim17ROCPRIM_400000_NS6detail17trampoline_kernelINS0_14default_configENS1_36segmented_radix_sort_config_selectorIblEEZNS1_25segmented_radix_sort_implIS3_Lb0EPKbPbPKlPlN2at6native12_GLOBAL__N_18offset_tEEE10hipError_tPvRmT1_PNSt15iterator_traitsISK_E10value_typeET2_T3_PNSL_ISQ_E10value_typeET4_jRbjT5_SW_jjP12ihipStream_tbEUlT_E0_NS1_11comp_targetILNS1_3genE0ELNS1_11target_archE4294967295ELNS1_3gpuE0ELNS1_3repE0EEENS1_60segmented_radix_sort_warp_sort_medium_config_static_selectorELNS0_4arch9wavefront6targetE1EEEvSK_.uses_flat_scratch, 0
	.set _ZN7rocprim17ROCPRIM_400000_NS6detail17trampoline_kernelINS0_14default_configENS1_36segmented_radix_sort_config_selectorIblEEZNS1_25segmented_radix_sort_implIS3_Lb0EPKbPbPKlPlN2at6native12_GLOBAL__N_18offset_tEEE10hipError_tPvRmT1_PNSt15iterator_traitsISK_E10value_typeET2_T3_PNSL_ISQ_E10value_typeET4_jRbjT5_SW_jjP12ihipStream_tbEUlT_E0_NS1_11comp_targetILNS1_3genE0ELNS1_11target_archE4294967295ELNS1_3gpuE0ELNS1_3repE0EEENS1_60segmented_radix_sort_warp_sort_medium_config_static_selectorELNS0_4arch9wavefront6targetE1EEEvSK_.has_dyn_sized_stack, 0
	.set _ZN7rocprim17ROCPRIM_400000_NS6detail17trampoline_kernelINS0_14default_configENS1_36segmented_radix_sort_config_selectorIblEEZNS1_25segmented_radix_sort_implIS3_Lb0EPKbPbPKlPlN2at6native12_GLOBAL__N_18offset_tEEE10hipError_tPvRmT1_PNSt15iterator_traitsISK_E10value_typeET2_T3_PNSL_ISQ_E10value_typeET4_jRbjT5_SW_jjP12ihipStream_tbEUlT_E0_NS1_11comp_targetILNS1_3genE0ELNS1_11target_archE4294967295ELNS1_3gpuE0ELNS1_3repE0EEENS1_60segmented_radix_sort_warp_sort_medium_config_static_selectorELNS0_4arch9wavefront6targetE1EEEvSK_.has_recursion, 0
	.set _ZN7rocprim17ROCPRIM_400000_NS6detail17trampoline_kernelINS0_14default_configENS1_36segmented_radix_sort_config_selectorIblEEZNS1_25segmented_radix_sort_implIS3_Lb0EPKbPbPKlPlN2at6native12_GLOBAL__N_18offset_tEEE10hipError_tPvRmT1_PNSt15iterator_traitsISK_E10value_typeET2_T3_PNSL_ISQ_E10value_typeET4_jRbjT5_SW_jjP12ihipStream_tbEUlT_E0_NS1_11comp_targetILNS1_3genE0ELNS1_11target_archE4294967295ELNS1_3gpuE0ELNS1_3repE0EEENS1_60segmented_radix_sort_warp_sort_medium_config_static_selectorELNS0_4arch9wavefront6targetE1EEEvSK_.has_indirect_call, 0
	.section	.AMDGPU.csdata,"",@progbits
; Kernel info:
; codeLenInByte = 0
; TotalNumSgprs: 4
; NumVgprs: 0
; ScratchSize: 0
; MemoryBound: 0
; FloatMode: 240
; IeeeMode: 1
; LDSByteSize: 0 bytes/workgroup (compile time only)
; SGPRBlocks: 0
; VGPRBlocks: 0
; NumSGPRsForWavesPerEU: 4
; NumVGPRsForWavesPerEU: 1
; Occupancy: 10
; WaveLimiterHint : 0
; COMPUTE_PGM_RSRC2:SCRATCH_EN: 0
; COMPUTE_PGM_RSRC2:USER_SGPR: 6
; COMPUTE_PGM_RSRC2:TRAP_HANDLER: 0
; COMPUTE_PGM_RSRC2:TGID_X_EN: 1
; COMPUTE_PGM_RSRC2:TGID_Y_EN: 0
; COMPUTE_PGM_RSRC2:TGID_Z_EN: 0
; COMPUTE_PGM_RSRC2:TIDIG_COMP_CNT: 0
	.section	.text._ZN7rocprim17ROCPRIM_400000_NS6detail17trampoline_kernelINS0_14default_configENS1_36segmented_radix_sort_config_selectorIblEEZNS1_25segmented_radix_sort_implIS3_Lb0EPKbPbPKlPlN2at6native12_GLOBAL__N_18offset_tEEE10hipError_tPvRmT1_PNSt15iterator_traitsISK_E10value_typeET2_T3_PNSL_ISQ_E10value_typeET4_jRbjT5_SW_jjP12ihipStream_tbEUlT_E0_NS1_11comp_targetILNS1_3genE5ELNS1_11target_archE942ELNS1_3gpuE9ELNS1_3repE0EEENS1_60segmented_radix_sort_warp_sort_medium_config_static_selectorELNS0_4arch9wavefront6targetE1EEEvSK_,"axG",@progbits,_ZN7rocprim17ROCPRIM_400000_NS6detail17trampoline_kernelINS0_14default_configENS1_36segmented_radix_sort_config_selectorIblEEZNS1_25segmented_radix_sort_implIS3_Lb0EPKbPbPKlPlN2at6native12_GLOBAL__N_18offset_tEEE10hipError_tPvRmT1_PNSt15iterator_traitsISK_E10value_typeET2_T3_PNSL_ISQ_E10value_typeET4_jRbjT5_SW_jjP12ihipStream_tbEUlT_E0_NS1_11comp_targetILNS1_3genE5ELNS1_11target_archE942ELNS1_3gpuE9ELNS1_3repE0EEENS1_60segmented_radix_sort_warp_sort_medium_config_static_selectorELNS0_4arch9wavefront6targetE1EEEvSK_,comdat
	.globl	_ZN7rocprim17ROCPRIM_400000_NS6detail17trampoline_kernelINS0_14default_configENS1_36segmented_radix_sort_config_selectorIblEEZNS1_25segmented_radix_sort_implIS3_Lb0EPKbPbPKlPlN2at6native12_GLOBAL__N_18offset_tEEE10hipError_tPvRmT1_PNSt15iterator_traitsISK_E10value_typeET2_T3_PNSL_ISQ_E10value_typeET4_jRbjT5_SW_jjP12ihipStream_tbEUlT_E0_NS1_11comp_targetILNS1_3genE5ELNS1_11target_archE942ELNS1_3gpuE9ELNS1_3repE0EEENS1_60segmented_radix_sort_warp_sort_medium_config_static_selectorELNS0_4arch9wavefront6targetE1EEEvSK_ ; -- Begin function _ZN7rocprim17ROCPRIM_400000_NS6detail17trampoline_kernelINS0_14default_configENS1_36segmented_radix_sort_config_selectorIblEEZNS1_25segmented_radix_sort_implIS3_Lb0EPKbPbPKlPlN2at6native12_GLOBAL__N_18offset_tEEE10hipError_tPvRmT1_PNSt15iterator_traitsISK_E10value_typeET2_T3_PNSL_ISQ_E10value_typeET4_jRbjT5_SW_jjP12ihipStream_tbEUlT_E0_NS1_11comp_targetILNS1_3genE5ELNS1_11target_archE942ELNS1_3gpuE9ELNS1_3repE0EEENS1_60segmented_radix_sort_warp_sort_medium_config_static_selectorELNS0_4arch9wavefront6targetE1EEEvSK_
	.p2align	8
	.type	_ZN7rocprim17ROCPRIM_400000_NS6detail17trampoline_kernelINS0_14default_configENS1_36segmented_radix_sort_config_selectorIblEEZNS1_25segmented_radix_sort_implIS3_Lb0EPKbPbPKlPlN2at6native12_GLOBAL__N_18offset_tEEE10hipError_tPvRmT1_PNSt15iterator_traitsISK_E10value_typeET2_T3_PNSL_ISQ_E10value_typeET4_jRbjT5_SW_jjP12ihipStream_tbEUlT_E0_NS1_11comp_targetILNS1_3genE5ELNS1_11target_archE942ELNS1_3gpuE9ELNS1_3repE0EEENS1_60segmented_radix_sort_warp_sort_medium_config_static_selectorELNS0_4arch9wavefront6targetE1EEEvSK_,@function
_ZN7rocprim17ROCPRIM_400000_NS6detail17trampoline_kernelINS0_14default_configENS1_36segmented_radix_sort_config_selectorIblEEZNS1_25segmented_radix_sort_implIS3_Lb0EPKbPbPKlPlN2at6native12_GLOBAL__N_18offset_tEEE10hipError_tPvRmT1_PNSt15iterator_traitsISK_E10value_typeET2_T3_PNSL_ISQ_E10value_typeET4_jRbjT5_SW_jjP12ihipStream_tbEUlT_E0_NS1_11comp_targetILNS1_3genE5ELNS1_11target_archE942ELNS1_3gpuE9ELNS1_3repE0EEENS1_60segmented_radix_sort_warp_sort_medium_config_static_selectorELNS0_4arch9wavefront6targetE1EEEvSK_: ; @_ZN7rocprim17ROCPRIM_400000_NS6detail17trampoline_kernelINS0_14default_configENS1_36segmented_radix_sort_config_selectorIblEEZNS1_25segmented_radix_sort_implIS3_Lb0EPKbPbPKlPlN2at6native12_GLOBAL__N_18offset_tEEE10hipError_tPvRmT1_PNSt15iterator_traitsISK_E10value_typeET2_T3_PNSL_ISQ_E10value_typeET4_jRbjT5_SW_jjP12ihipStream_tbEUlT_E0_NS1_11comp_targetILNS1_3genE5ELNS1_11target_archE942ELNS1_3gpuE9ELNS1_3repE0EEENS1_60segmented_radix_sort_warp_sort_medium_config_static_selectorELNS0_4arch9wavefront6targetE1EEEvSK_
; %bb.0:
	.section	.rodata,"a",@progbits
	.p2align	6, 0x0
	.amdhsa_kernel _ZN7rocprim17ROCPRIM_400000_NS6detail17trampoline_kernelINS0_14default_configENS1_36segmented_radix_sort_config_selectorIblEEZNS1_25segmented_radix_sort_implIS3_Lb0EPKbPbPKlPlN2at6native12_GLOBAL__N_18offset_tEEE10hipError_tPvRmT1_PNSt15iterator_traitsISK_E10value_typeET2_T3_PNSL_ISQ_E10value_typeET4_jRbjT5_SW_jjP12ihipStream_tbEUlT_E0_NS1_11comp_targetILNS1_3genE5ELNS1_11target_archE942ELNS1_3gpuE9ELNS1_3repE0EEENS1_60segmented_radix_sort_warp_sort_medium_config_static_selectorELNS0_4arch9wavefront6targetE1EEEvSK_
		.amdhsa_group_segment_fixed_size 0
		.amdhsa_private_segment_fixed_size 0
		.amdhsa_kernarg_size 88
		.amdhsa_user_sgpr_count 6
		.amdhsa_user_sgpr_private_segment_buffer 1
		.amdhsa_user_sgpr_dispatch_ptr 0
		.amdhsa_user_sgpr_queue_ptr 0
		.amdhsa_user_sgpr_kernarg_segment_ptr 1
		.amdhsa_user_sgpr_dispatch_id 0
		.amdhsa_user_sgpr_flat_scratch_init 0
		.amdhsa_user_sgpr_private_segment_size 0
		.amdhsa_uses_dynamic_stack 0
		.amdhsa_system_sgpr_private_segment_wavefront_offset 0
		.amdhsa_system_sgpr_workgroup_id_x 1
		.amdhsa_system_sgpr_workgroup_id_y 0
		.amdhsa_system_sgpr_workgroup_id_z 0
		.amdhsa_system_sgpr_workgroup_info 0
		.amdhsa_system_vgpr_workitem_id 0
		.amdhsa_next_free_vgpr 1
		.amdhsa_next_free_sgpr 0
		.amdhsa_reserve_vcc 0
		.amdhsa_reserve_flat_scratch 0
		.amdhsa_float_round_mode_32 0
		.amdhsa_float_round_mode_16_64 0
		.amdhsa_float_denorm_mode_32 3
		.amdhsa_float_denorm_mode_16_64 3
		.amdhsa_dx10_clamp 1
		.amdhsa_ieee_mode 1
		.amdhsa_fp16_overflow 0
		.amdhsa_exception_fp_ieee_invalid_op 0
		.amdhsa_exception_fp_denorm_src 0
		.amdhsa_exception_fp_ieee_div_zero 0
		.amdhsa_exception_fp_ieee_overflow 0
		.amdhsa_exception_fp_ieee_underflow 0
		.amdhsa_exception_fp_ieee_inexact 0
		.amdhsa_exception_int_div_zero 0
	.end_amdhsa_kernel
	.section	.text._ZN7rocprim17ROCPRIM_400000_NS6detail17trampoline_kernelINS0_14default_configENS1_36segmented_radix_sort_config_selectorIblEEZNS1_25segmented_radix_sort_implIS3_Lb0EPKbPbPKlPlN2at6native12_GLOBAL__N_18offset_tEEE10hipError_tPvRmT1_PNSt15iterator_traitsISK_E10value_typeET2_T3_PNSL_ISQ_E10value_typeET4_jRbjT5_SW_jjP12ihipStream_tbEUlT_E0_NS1_11comp_targetILNS1_3genE5ELNS1_11target_archE942ELNS1_3gpuE9ELNS1_3repE0EEENS1_60segmented_radix_sort_warp_sort_medium_config_static_selectorELNS0_4arch9wavefront6targetE1EEEvSK_,"axG",@progbits,_ZN7rocprim17ROCPRIM_400000_NS6detail17trampoline_kernelINS0_14default_configENS1_36segmented_radix_sort_config_selectorIblEEZNS1_25segmented_radix_sort_implIS3_Lb0EPKbPbPKlPlN2at6native12_GLOBAL__N_18offset_tEEE10hipError_tPvRmT1_PNSt15iterator_traitsISK_E10value_typeET2_T3_PNSL_ISQ_E10value_typeET4_jRbjT5_SW_jjP12ihipStream_tbEUlT_E0_NS1_11comp_targetILNS1_3genE5ELNS1_11target_archE942ELNS1_3gpuE9ELNS1_3repE0EEENS1_60segmented_radix_sort_warp_sort_medium_config_static_selectorELNS0_4arch9wavefront6targetE1EEEvSK_,comdat
.Lfunc_end1646:
	.size	_ZN7rocprim17ROCPRIM_400000_NS6detail17trampoline_kernelINS0_14default_configENS1_36segmented_radix_sort_config_selectorIblEEZNS1_25segmented_radix_sort_implIS3_Lb0EPKbPbPKlPlN2at6native12_GLOBAL__N_18offset_tEEE10hipError_tPvRmT1_PNSt15iterator_traitsISK_E10value_typeET2_T3_PNSL_ISQ_E10value_typeET4_jRbjT5_SW_jjP12ihipStream_tbEUlT_E0_NS1_11comp_targetILNS1_3genE5ELNS1_11target_archE942ELNS1_3gpuE9ELNS1_3repE0EEENS1_60segmented_radix_sort_warp_sort_medium_config_static_selectorELNS0_4arch9wavefront6targetE1EEEvSK_, .Lfunc_end1646-_ZN7rocprim17ROCPRIM_400000_NS6detail17trampoline_kernelINS0_14default_configENS1_36segmented_radix_sort_config_selectorIblEEZNS1_25segmented_radix_sort_implIS3_Lb0EPKbPbPKlPlN2at6native12_GLOBAL__N_18offset_tEEE10hipError_tPvRmT1_PNSt15iterator_traitsISK_E10value_typeET2_T3_PNSL_ISQ_E10value_typeET4_jRbjT5_SW_jjP12ihipStream_tbEUlT_E0_NS1_11comp_targetILNS1_3genE5ELNS1_11target_archE942ELNS1_3gpuE9ELNS1_3repE0EEENS1_60segmented_radix_sort_warp_sort_medium_config_static_selectorELNS0_4arch9wavefront6targetE1EEEvSK_
                                        ; -- End function
	.set _ZN7rocprim17ROCPRIM_400000_NS6detail17trampoline_kernelINS0_14default_configENS1_36segmented_radix_sort_config_selectorIblEEZNS1_25segmented_radix_sort_implIS3_Lb0EPKbPbPKlPlN2at6native12_GLOBAL__N_18offset_tEEE10hipError_tPvRmT1_PNSt15iterator_traitsISK_E10value_typeET2_T3_PNSL_ISQ_E10value_typeET4_jRbjT5_SW_jjP12ihipStream_tbEUlT_E0_NS1_11comp_targetILNS1_3genE5ELNS1_11target_archE942ELNS1_3gpuE9ELNS1_3repE0EEENS1_60segmented_radix_sort_warp_sort_medium_config_static_selectorELNS0_4arch9wavefront6targetE1EEEvSK_.num_vgpr, 0
	.set _ZN7rocprim17ROCPRIM_400000_NS6detail17trampoline_kernelINS0_14default_configENS1_36segmented_radix_sort_config_selectorIblEEZNS1_25segmented_radix_sort_implIS3_Lb0EPKbPbPKlPlN2at6native12_GLOBAL__N_18offset_tEEE10hipError_tPvRmT1_PNSt15iterator_traitsISK_E10value_typeET2_T3_PNSL_ISQ_E10value_typeET4_jRbjT5_SW_jjP12ihipStream_tbEUlT_E0_NS1_11comp_targetILNS1_3genE5ELNS1_11target_archE942ELNS1_3gpuE9ELNS1_3repE0EEENS1_60segmented_radix_sort_warp_sort_medium_config_static_selectorELNS0_4arch9wavefront6targetE1EEEvSK_.num_agpr, 0
	.set _ZN7rocprim17ROCPRIM_400000_NS6detail17trampoline_kernelINS0_14default_configENS1_36segmented_radix_sort_config_selectorIblEEZNS1_25segmented_radix_sort_implIS3_Lb0EPKbPbPKlPlN2at6native12_GLOBAL__N_18offset_tEEE10hipError_tPvRmT1_PNSt15iterator_traitsISK_E10value_typeET2_T3_PNSL_ISQ_E10value_typeET4_jRbjT5_SW_jjP12ihipStream_tbEUlT_E0_NS1_11comp_targetILNS1_3genE5ELNS1_11target_archE942ELNS1_3gpuE9ELNS1_3repE0EEENS1_60segmented_radix_sort_warp_sort_medium_config_static_selectorELNS0_4arch9wavefront6targetE1EEEvSK_.numbered_sgpr, 0
	.set _ZN7rocprim17ROCPRIM_400000_NS6detail17trampoline_kernelINS0_14default_configENS1_36segmented_radix_sort_config_selectorIblEEZNS1_25segmented_radix_sort_implIS3_Lb0EPKbPbPKlPlN2at6native12_GLOBAL__N_18offset_tEEE10hipError_tPvRmT1_PNSt15iterator_traitsISK_E10value_typeET2_T3_PNSL_ISQ_E10value_typeET4_jRbjT5_SW_jjP12ihipStream_tbEUlT_E0_NS1_11comp_targetILNS1_3genE5ELNS1_11target_archE942ELNS1_3gpuE9ELNS1_3repE0EEENS1_60segmented_radix_sort_warp_sort_medium_config_static_selectorELNS0_4arch9wavefront6targetE1EEEvSK_.num_named_barrier, 0
	.set _ZN7rocprim17ROCPRIM_400000_NS6detail17trampoline_kernelINS0_14default_configENS1_36segmented_radix_sort_config_selectorIblEEZNS1_25segmented_radix_sort_implIS3_Lb0EPKbPbPKlPlN2at6native12_GLOBAL__N_18offset_tEEE10hipError_tPvRmT1_PNSt15iterator_traitsISK_E10value_typeET2_T3_PNSL_ISQ_E10value_typeET4_jRbjT5_SW_jjP12ihipStream_tbEUlT_E0_NS1_11comp_targetILNS1_3genE5ELNS1_11target_archE942ELNS1_3gpuE9ELNS1_3repE0EEENS1_60segmented_radix_sort_warp_sort_medium_config_static_selectorELNS0_4arch9wavefront6targetE1EEEvSK_.private_seg_size, 0
	.set _ZN7rocprim17ROCPRIM_400000_NS6detail17trampoline_kernelINS0_14default_configENS1_36segmented_radix_sort_config_selectorIblEEZNS1_25segmented_radix_sort_implIS3_Lb0EPKbPbPKlPlN2at6native12_GLOBAL__N_18offset_tEEE10hipError_tPvRmT1_PNSt15iterator_traitsISK_E10value_typeET2_T3_PNSL_ISQ_E10value_typeET4_jRbjT5_SW_jjP12ihipStream_tbEUlT_E0_NS1_11comp_targetILNS1_3genE5ELNS1_11target_archE942ELNS1_3gpuE9ELNS1_3repE0EEENS1_60segmented_radix_sort_warp_sort_medium_config_static_selectorELNS0_4arch9wavefront6targetE1EEEvSK_.uses_vcc, 0
	.set _ZN7rocprim17ROCPRIM_400000_NS6detail17trampoline_kernelINS0_14default_configENS1_36segmented_radix_sort_config_selectorIblEEZNS1_25segmented_radix_sort_implIS3_Lb0EPKbPbPKlPlN2at6native12_GLOBAL__N_18offset_tEEE10hipError_tPvRmT1_PNSt15iterator_traitsISK_E10value_typeET2_T3_PNSL_ISQ_E10value_typeET4_jRbjT5_SW_jjP12ihipStream_tbEUlT_E0_NS1_11comp_targetILNS1_3genE5ELNS1_11target_archE942ELNS1_3gpuE9ELNS1_3repE0EEENS1_60segmented_radix_sort_warp_sort_medium_config_static_selectorELNS0_4arch9wavefront6targetE1EEEvSK_.uses_flat_scratch, 0
	.set _ZN7rocprim17ROCPRIM_400000_NS6detail17trampoline_kernelINS0_14default_configENS1_36segmented_radix_sort_config_selectorIblEEZNS1_25segmented_radix_sort_implIS3_Lb0EPKbPbPKlPlN2at6native12_GLOBAL__N_18offset_tEEE10hipError_tPvRmT1_PNSt15iterator_traitsISK_E10value_typeET2_T3_PNSL_ISQ_E10value_typeET4_jRbjT5_SW_jjP12ihipStream_tbEUlT_E0_NS1_11comp_targetILNS1_3genE5ELNS1_11target_archE942ELNS1_3gpuE9ELNS1_3repE0EEENS1_60segmented_radix_sort_warp_sort_medium_config_static_selectorELNS0_4arch9wavefront6targetE1EEEvSK_.has_dyn_sized_stack, 0
	.set _ZN7rocprim17ROCPRIM_400000_NS6detail17trampoline_kernelINS0_14default_configENS1_36segmented_radix_sort_config_selectorIblEEZNS1_25segmented_radix_sort_implIS3_Lb0EPKbPbPKlPlN2at6native12_GLOBAL__N_18offset_tEEE10hipError_tPvRmT1_PNSt15iterator_traitsISK_E10value_typeET2_T3_PNSL_ISQ_E10value_typeET4_jRbjT5_SW_jjP12ihipStream_tbEUlT_E0_NS1_11comp_targetILNS1_3genE5ELNS1_11target_archE942ELNS1_3gpuE9ELNS1_3repE0EEENS1_60segmented_radix_sort_warp_sort_medium_config_static_selectorELNS0_4arch9wavefront6targetE1EEEvSK_.has_recursion, 0
	.set _ZN7rocprim17ROCPRIM_400000_NS6detail17trampoline_kernelINS0_14default_configENS1_36segmented_radix_sort_config_selectorIblEEZNS1_25segmented_radix_sort_implIS3_Lb0EPKbPbPKlPlN2at6native12_GLOBAL__N_18offset_tEEE10hipError_tPvRmT1_PNSt15iterator_traitsISK_E10value_typeET2_T3_PNSL_ISQ_E10value_typeET4_jRbjT5_SW_jjP12ihipStream_tbEUlT_E0_NS1_11comp_targetILNS1_3genE5ELNS1_11target_archE942ELNS1_3gpuE9ELNS1_3repE0EEENS1_60segmented_radix_sort_warp_sort_medium_config_static_selectorELNS0_4arch9wavefront6targetE1EEEvSK_.has_indirect_call, 0
	.section	.AMDGPU.csdata,"",@progbits
; Kernel info:
; codeLenInByte = 0
; TotalNumSgprs: 4
; NumVgprs: 0
; ScratchSize: 0
; MemoryBound: 0
; FloatMode: 240
; IeeeMode: 1
; LDSByteSize: 0 bytes/workgroup (compile time only)
; SGPRBlocks: 0
; VGPRBlocks: 0
; NumSGPRsForWavesPerEU: 4
; NumVGPRsForWavesPerEU: 1
; Occupancy: 10
; WaveLimiterHint : 0
; COMPUTE_PGM_RSRC2:SCRATCH_EN: 0
; COMPUTE_PGM_RSRC2:USER_SGPR: 6
; COMPUTE_PGM_RSRC2:TRAP_HANDLER: 0
; COMPUTE_PGM_RSRC2:TGID_X_EN: 1
; COMPUTE_PGM_RSRC2:TGID_Y_EN: 0
; COMPUTE_PGM_RSRC2:TGID_Z_EN: 0
; COMPUTE_PGM_RSRC2:TIDIG_COMP_CNT: 0
	.section	.text._ZN7rocprim17ROCPRIM_400000_NS6detail17trampoline_kernelINS0_14default_configENS1_36segmented_radix_sort_config_selectorIblEEZNS1_25segmented_radix_sort_implIS3_Lb0EPKbPbPKlPlN2at6native12_GLOBAL__N_18offset_tEEE10hipError_tPvRmT1_PNSt15iterator_traitsISK_E10value_typeET2_T3_PNSL_ISQ_E10value_typeET4_jRbjT5_SW_jjP12ihipStream_tbEUlT_E0_NS1_11comp_targetILNS1_3genE4ELNS1_11target_archE910ELNS1_3gpuE8ELNS1_3repE0EEENS1_60segmented_radix_sort_warp_sort_medium_config_static_selectorELNS0_4arch9wavefront6targetE1EEEvSK_,"axG",@progbits,_ZN7rocprim17ROCPRIM_400000_NS6detail17trampoline_kernelINS0_14default_configENS1_36segmented_radix_sort_config_selectorIblEEZNS1_25segmented_radix_sort_implIS3_Lb0EPKbPbPKlPlN2at6native12_GLOBAL__N_18offset_tEEE10hipError_tPvRmT1_PNSt15iterator_traitsISK_E10value_typeET2_T3_PNSL_ISQ_E10value_typeET4_jRbjT5_SW_jjP12ihipStream_tbEUlT_E0_NS1_11comp_targetILNS1_3genE4ELNS1_11target_archE910ELNS1_3gpuE8ELNS1_3repE0EEENS1_60segmented_radix_sort_warp_sort_medium_config_static_selectorELNS0_4arch9wavefront6targetE1EEEvSK_,comdat
	.globl	_ZN7rocprim17ROCPRIM_400000_NS6detail17trampoline_kernelINS0_14default_configENS1_36segmented_radix_sort_config_selectorIblEEZNS1_25segmented_radix_sort_implIS3_Lb0EPKbPbPKlPlN2at6native12_GLOBAL__N_18offset_tEEE10hipError_tPvRmT1_PNSt15iterator_traitsISK_E10value_typeET2_T3_PNSL_ISQ_E10value_typeET4_jRbjT5_SW_jjP12ihipStream_tbEUlT_E0_NS1_11comp_targetILNS1_3genE4ELNS1_11target_archE910ELNS1_3gpuE8ELNS1_3repE0EEENS1_60segmented_radix_sort_warp_sort_medium_config_static_selectorELNS0_4arch9wavefront6targetE1EEEvSK_ ; -- Begin function _ZN7rocprim17ROCPRIM_400000_NS6detail17trampoline_kernelINS0_14default_configENS1_36segmented_radix_sort_config_selectorIblEEZNS1_25segmented_radix_sort_implIS3_Lb0EPKbPbPKlPlN2at6native12_GLOBAL__N_18offset_tEEE10hipError_tPvRmT1_PNSt15iterator_traitsISK_E10value_typeET2_T3_PNSL_ISQ_E10value_typeET4_jRbjT5_SW_jjP12ihipStream_tbEUlT_E0_NS1_11comp_targetILNS1_3genE4ELNS1_11target_archE910ELNS1_3gpuE8ELNS1_3repE0EEENS1_60segmented_radix_sort_warp_sort_medium_config_static_selectorELNS0_4arch9wavefront6targetE1EEEvSK_
	.p2align	8
	.type	_ZN7rocprim17ROCPRIM_400000_NS6detail17trampoline_kernelINS0_14default_configENS1_36segmented_radix_sort_config_selectorIblEEZNS1_25segmented_radix_sort_implIS3_Lb0EPKbPbPKlPlN2at6native12_GLOBAL__N_18offset_tEEE10hipError_tPvRmT1_PNSt15iterator_traitsISK_E10value_typeET2_T3_PNSL_ISQ_E10value_typeET4_jRbjT5_SW_jjP12ihipStream_tbEUlT_E0_NS1_11comp_targetILNS1_3genE4ELNS1_11target_archE910ELNS1_3gpuE8ELNS1_3repE0EEENS1_60segmented_radix_sort_warp_sort_medium_config_static_selectorELNS0_4arch9wavefront6targetE1EEEvSK_,@function
_ZN7rocprim17ROCPRIM_400000_NS6detail17trampoline_kernelINS0_14default_configENS1_36segmented_radix_sort_config_selectorIblEEZNS1_25segmented_radix_sort_implIS3_Lb0EPKbPbPKlPlN2at6native12_GLOBAL__N_18offset_tEEE10hipError_tPvRmT1_PNSt15iterator_traitsISK_E10value_typeET2_T3_PNSL_ISQ_E10value_typeET4_jRbjT5_SW_jjP12ihipStream_tbEUlT_E0_NS1_11comp_targetILNS1_3genE4ELNS1_11target_archE910ELNS1_3gpuE8ELNS1_3repE0EEENS1_60segmented_radix_sort_warp_sort_medium_config_static_selectorELNS0_4arch9wavefront6targetE1EEEvSK_: ; @_ZN7rocprim17ROCPRIM_400000_NS6detail17trampoline_kernelINS0_14default_configENS1_36segmented_radix_sort_config_selectorIblEEZNS1_25segmented_radix_sort_implIS3_Lb0EPKbPbPKlPlN2at6native12_GLOBAL__N_18offset_tEEE10hipError_tPvRmT1_PNSt15iterator_traitsISK_E10value_typeET2_T3_PNSL_ISQ_E10value_typeET4_jRbjT5_SW_jjP12ihipStream_tbEUlT_E0_NS1_11comp_targetILNS1_3genE4ELNS1_11target_archE910ELNS1_3gpuE8ELNS1_3repE0EEENS1_60segmented_radix_sort_warp_sort_medium_config_static_selectorELNS0_4arch9wavefront6targetE1EEEvSK_
; %bb.0:
	.section	.rodata,"a",@progbits
	.p2align	6, 0x0
	.amdhsa_kernel _ZN7rocprim17ROCPRIM_400000_NS6detail17trampoline_kernelINS0_14default_configENS1_36segmented_radix_sort_config_selectorIblEEZNS1_25segmented_radix_sort_implIS3_Lb0EPKbPbPKlPlN2at6native12_GLOBAL__N_18offset_tEEE10hipError_tPvRmT1_PNSt15iterator_traitsISK_E10value_typeET2_T3_PNSL_ISQ_E10value_typeET4_jRbjT5_SW_jjP12ihipStream_tbEUlT_E0_NS1_11comp_targetILNS1_3genE4ELNS1_11target_archE910ELNS1_3gpuE8ELNS1_3repE0EEENS1_60segmented_radix_sort_warp_sort_medium_config_static_selectorELNS0_4arch9wavefront6targetE1EEEvSK_
		.amdhsa_group_segment_fixed_size 0
		.amdhsa_private_segment_fixed_size 0
		.amdhsa_kernarg_size 88
		.amdhsa_user_sgpr_count 6
		.amdhsa_user_sgpr_private_segment_buffer 1
		.amdhsa_user_sgpr_dispatch_ptr 0
		.amdhsa_user_sgpr_queue_ptr 0
		.amdhsa_user_sgpr_kernarg_segment_ptr 1
		.amdhsa_user_sgpr_dispatch_id 0
		.amdhsa_user_sgpr_flat_scratch_init 0
		.amdhsa_user_sgpr_private_segment_size 0
		.amdhsa_uses_dynamic_stack 0
		.amdhsa_system_sgpr_private_segment_wavefront_offset 0
		.amdhsa_system_sgpr_workgroup_id_x 1
		.amdhsa_system_sgpr_workgroup_id_y 0
		.amdhsa_system_sgpr_workgroup_id_z 0
		.amdhsa_system_sgpr_workgroup_info 0
		.amdhsa_system_vgpr_workitem_id 0
		.amdhsa_next_free_vgpr 1
		.amdhsa_next_free_sgpr 0
		.amdhsa_reserve_vcc 0
		.amdhsa_reserve_flat_scratch 0
		.amdhsa_float_round_mode_32 0
		.amdhsa_float_round_mode_16_64 0
		.amdhsa_float_denorm_mode_32 3
		.amdhsa_float_denorm_mode_16_64 3
		.amdhsa_dx10_clamp 1
		.amdhsa_ieee_mode 1
		.amdhsa_fp16_overflow 0
		.amdhsa_exception_fp_ieee_invalid_op 0
		.amdhsa_exception_fp_denorm_src 0
		.amdhsa_exception_fp_ieee_div_zero 0
		.amdhsa_exception_fp_ieee_overflow 0
		.amdhsa_exception_fp_ieee_underflow 0
		.amdhsa_exception_fp_ieee_inexact 0
		.amdhsa_exception_int_div_zero 0
	.end_amdhsa_kernel
	.section	.text._ZN7rocprim17ROCPRIM_400000_NS6detail17trampoline_kernelINS0_14default_configENS1_36segmented_radix_sort_config_selectorIblEEZNS1_25segmented_radix_sort_implIS3_Lb0EPKbPbPKlPlN2at6native12_GLOBAL__N_18offset_tEEE10hipError_tPvRmT1_PNSt15iterator_traitsISK_E10value_typeET2_T3_PNSL_ISQ_E10value_typeET4_jRbjT5_SW_jjP12ihipStream_tbEUlT_E0_NS1_11comp_targetILNS1_3genE4ELNS1_11target_archE910ELNS1_3gpuE8ELNS1_3repE0EEENS1_60segmented_radix_sort_warp_sort_medium_config_static_selectorELNS0_4arch9wavefront6targetE1EEEvSK_,"axG",@progbits,_ZN7rocprim17ROCPRIM_400000_NS6detail17trampoline_kernelINS0_14default_configENS1_36segmented_radix_sort_config_selectorIblEEZNS1_25segmented_radix_sort_implIS3_Lb0EPKbPbPKlPlN2at6native12_GLOBAL__N_18offset_tEEE10hipError_tPvRmT1_PNSt15iterator_traitsISK_E10value_typeET2_T3_PNSL_ISQ_E10value_typeET4_jRbjT5_SW_jjP12ihipStream_tbEUlT_E0_NS1_11comp_targetILNS1_3genE4ELNS1_11target_archE910ELNS1_3gpuE8ELNS1_3repE0EEENS1_60segmented_radix_sort_warp_sort_medium_config_static_selectorELNS0_4arch9wavefront6targetE1EEEvSK_,comdat
.Lfunc_end1647:
	.size	_ZN7rocprim17ROCPRIM_400000_NS6detail17trampoline_kernelINS0_14default_configENS1_36segmented_radix_sort_config_selectorIblEEZNS1_25segmented_radix_sort_implIS3_Lb0EPKbPbPKlPlN2at6native12_GLOBAL__N_18offset_tEEE10hipError_tPvRmT1_PNSt15iterator_traitsISK_E10value_typeET2_T3_PNSL_ISQ_E10value_typeET4_jRbjT5_SW_jjP12ihipStream_tbEUlT_E0_NS1_11comp_targetILNS1_3genE4ELNS1_11target_archE910ELNS1_3gpuE8ELNS1_3repE0EEENS1_60segmented_radix_sort_warp_sort_medium_config_static_selectorELNS0_4arch9wavefront6targetE1EEEvSK_, .Lfunc_end1647-_ZN7rocprim17ROCPRIM_400000_NS6detail17trampoline_kernelINS0_14default_configENS1_36segmented_radix_sort_config_selectorIblEEZNS1_25segmented_radix_sort_implIS3_Lb0EPKbPbPKlPlN2at6native12_GLOBAL__N_18offset_tEEE10hipError_tPvRmT1_PNSt15iterator_traitsISK_E10value_typeET2_T3_PNSL_ISQ_E10value_typeET4_jRbjT5_SW_jjP12ihipStream_tbEUlT_E0_NS1_11comp_targetILNS1_3genE4ELNS1_11target_archE910ELNS1_3gpuE8ELNS1_3repE0EEENS1_60segmented_radix_sort_warp_sort_medium_config_static_selectorELNS0_4arch9wavefront6targetE1EEEvSK_
                                        ; -- End function
	.set _ZN7rocprim17ROCPRIM_400000_NS6detail17trampoline_kernelINS0_14default_configENS1_36segmented_radix_sort_config_selectorIblEEZNS1_25segmented_radix_sort_implIS3_Lb0EPKbPbPKlPlN2at6native12_GLOBAL__N_18offset_tEEE10hipError_tPvRmT1_PNSt15iterator_traitsISK_E10value_typeET2_T3_PNSL_ISQ_E10value_typeET4_jRbjT5_SW_jjP12ihipStream_tbEUlT_E0_NS1_11comp_targetILNS1_3genE4ELNS1_11target_archE910ELNS1_3gpuE8ELNS1_3repE0EEENS1_60segmented_radix_sort_warp_sort_medium_config_static_selectorELNS0_4arch9wavefront6targetE1EEEvSK_.num_vgpr, 0
	.set _ZN7rocprim17ROCPRIM_400000_NS6detail17trampoline_kernelINS0_14default_configENS1_36segmented_radix_sort_config_selectorIblEEZNS1_25segmented_radix_sort_implIS3_Lb0EPKbPbPKlPlN2at6native12_GLOBAL__N_18offset_tEEE10hipError_tPvRmT1_PNSt15iterator_traitsISK_E10value_typeET2_T3_PNSL_ISQ_E10value_typeET4_jRbjT5_SW_jjP12ihipStream_tbEUlT_E0_NS1_11comp_targetILNS1_3genE4ELNS1_11target_archE910ELNS1_3gpuE8ELNS1_3repE0EEENS1_60segmented_radix_sort_warp_sort_medium_config_static_selectorELNS0_4arch9wavefront6targetE1EEEvSK_.num_agpr, 0
	.set _ZN7rocprim17ROCPRIM_400000_NS6detail17trampoline_kernelINS0_14default_configENS1_36segmented_radix_sort_config_selectorIblEEZNS1_25segmented_radix_sort_implIS3_Lb0EPKbPbPKlPlN2at6native12_GLOBAL__N_18offset_tEEE10hipError_tPvRmT1_PNSt15iterator_traitsISK_E10value_typeET2_T3_PNSL_ISQ_E10value_typeET4_jRbjT5_SW_jjP12ihipStream_tbEUlT_E0_NS1_11comp_targetILNS1_3genE4ELNS1_11target_archE910ELNS1_3gpuE8ELNS1_3repE0EEENS1_60segmented_radix_sort_warp_sort_medium_config_static_selectorELNS0_4arch9wavefront6targetE1EEEvSK_.numbered_sgpr, 0
	.set _ZN7rocprim17ROCPRIM_400000_NS6detail17trampoline_kernelINS0_14default_configENS1_36segmented_radix_sort_config_selectorIblEEZNS1_25segmented_radix_sort_implIS3_Lb0EPKbPbPKlPlN2at6native12_GLOBAL__N_18offset_tEEE10hipError_tPvRmT1_PNSt15iterator_traitsISK_E10value_typeET2_T3_PNSL_ISQ_E10value_typeET4_jRbjT5_SW_jjP12ihipStream_tbEUlT_E0_NS1_11comp_targetILNS1_3genE4ELNS1_11target_archE910ELNS1_3gpuE8ELNS1_3repE0EEENS1_60segmented_radix_sort_warp_sort_medium_config_static_selectorELNS0_4arch9wavefront6targetE1EEEvSK_.num_named_barrier, 0
	.set _ZN7rocprim17ROCPRIM_400000_NS6detail17trampoline_kernelINS0_14default_configENS1_36segmented_radix_sort_config_selectorIblEEZNS1_25segmented_radix_sort_implIS3_Lb0EPKbPbPKlPlN2at6native12_GLOBAL__N_18offset_tEEE10hipError_tPvRmT1_PNSt15iterator_traitsISK_E10value_typeET2_T3_PNSL_ISQ_E10value_typeET4_jRbjT5_SW_jjP12ihipStream_tbEUlT_E0_NS1_11comp_targetILNS1_3genE4ELNS1_11target_archE910ELNS1_3gpuE8ELNS1_3repE0EEENS1_60segmented_radix_sort_warp_sort_medium_config_static_selectorELNS0_4arch9wavefront6targetE1EEEvSK_.private_seg_size, 0
	.set _ZN7rocprim17ROCPRIM_400000_NS6detail17trampoline_kernelINS0_14default_configENS1_36segmented_radix_sort_config_selectorIblEEZNS1_25segmented_radix_sort_implIS3_Lb0EPKbPbPKlPlN2at6native12_GLOBAL__N_18offset_tEEE10hipError_tPvRmT1_PNSt15iterator_traitsISK_E10value_typeET2_T3_PNSL_ISQ_E10value_typeET4_jRbjT5_SW_jjP12ihipStream_tbEUlT_E0_NS1_11comp_targetILNS1_3genE4ELNS1_11target_archE910ELNS1_3gpuE8ELNS1_3repE0EEENS1_60segmented_radix_sort_warp_sort_medium_config_static_selectorELNS0_4arch9wavefront6targetE1EEEvSK_.uses_vcc, 0
	.set _ZN7rocprim17ROCPRIM_400000_NS6detail17trampoline_kernelINS0_14default_configENS1_36segmented_radix_sort_config_selectorIblEEZNS1_25segmented_radix_sort_implIS3_Lb0EPKbPbPKlPlN2at6native12_GLOBAL__N_18offset_tEEE10hipError_tPvRmT1_PNSt15iterator_traitsISK_E10value_typeET2_T3_PNSL_ISQ_E10value_typeET4_jRbjT5_SW_jjP12ihipStream_tbEUlT_E0_NS1_11comp_targetILNS1_3genE4ELNS1_11target_archE910ELNS1_3gpuE8ELNS1_3repE0EEENS1_60segmented_radix_sort_warp_sort_medium_config_static_selectorELNS0_4arch9wavefront6targetE1EEEvSK_.uses_flat_scratch, 0
	.set _ZN7rocprim17ROCPRIM_400000_NS6detail17trampoline_kernelINS0_14default_configENS1_36segmented_radix_sort_config_selectorIblEEZNS1_25segmented_radix_sort_implIS3_Lb0EPKbPbPKlPlN2at6native12_GLOBAL__N_18offset_tEEE10hipError_tPvRmT1_PNSt15iterator_traitsISK_E10value_typeET2_T3_PNSL_ISQ_E10value_typeET4_jRbjT5_SW_jjP12ihipStream_tbEUlT_E0_NS1_11comp_targetILNS1_3genE4ELNS1_11target_archE910ELNS1_3gpuE8ELNS1_3repE0EEENS1_60segmented_radix_sort_warp_sort_medium_config_static_selectorELNS0_4arch9wavefront6targetE1EEEvSK_.has_dyn_sized_stack, 0
	.set _ZN7rocprim17ROCPRIM_400000_NS6detail17trampoline_kernelINS0_14default_configENS1_36segmented_radix_sort_config_selectorIblEEZNS1_25segmented_radix_sort_implIS3_Lb0EPKbPbPKlPlN2at6native12_GLOBAL__N_18offset_tEEE10hipError_tPvRmT1_PNSt15iterator_traitsISK_E10value_typeET2_T3_PNSL_ISQ_E10value_typeET4_jRbjT5_SW_jjP12ihipStream_tbEUlT_E0_NS1_11comp_targetILNS1_3genE4ELNS1_11target_archE910ELNS1_3gpuE8ELNS1_3repE0EEENS1_60segmented_radix_sort_warp_sort_medium_config_static_selectorELNS0_4arch9wavefront6targetE1EEEvSK_.has_recursion, 0
	.set _ZN7rocprim17ROCPRIM_400000_NS6detail17trampoline_kernelINS0_14default_configENS1_36segmented_radix_sort_config_selectorIblEEZNS1_25segmented_radix_sort_implIS3_Lb0EPKbPbPKlPlN2at6native12_GLOBAL__N_18offset_tEEE10hipError_tPvRmT1_PNSt15iterator_traitsISK_E10value_typeET2_T3_PNSL_ISQ_E10value_typeET4_jRbjT5_SW_jjP12ihipStream_tbEUlT_E0_NS1_11comp_targetILNS1_3genE4ELNS1_11target_archE910ELNS1_3gpuE8ELNS1_3repE0EEENS1_60segmented_radix_sort_warp_sort_medium_config_static_selectorELNS0_4arch9wavefront6targetE1EEEvSK_.has_indirect_call, 0
	.section	.AMDGPU.csdata,"",@progbits
; Kernel info:
; codeLenInByte = 0
; TotalNumSgprs: 4
; NumVgprs: 0
; ScratchSize: 0
; MemoryBound: 0
; FloatMode: 240
; IeeeMode: 1
; LDSByteSize: 0 bytes/workgroup (compile time only)
; SGPRBlocks: 0
; VGPRBlocks: 0
; NumSGPRsForWavesPerEU: 4
; NumVGPRsForWavesPerEU: 1
; Occupancy: 10
; WaveLimiterHint : 0
; COMPUTE_PGM_RSRC2:SCRATCH_EN: 0
; COMPUTE_PGM_RSRC2:USER_SGPR: 6
; COMPUTE_PGM_RSRC2:TRAP_HANDLER: 0
; COMPUTE_PGM_RSRC2:TGID_X_EN: 1
; COMPUTE_PGM_RSRC2:TGID_Y_EN: 0
; COMPUTE_PGM_RSRC2:TGID_Z_EN: 0
; COMPUTE_PGM_RSRC2:TIDIG_COMP_CNT: 0
	.section	.text._ZN7rocprim17ROCPRIM_400000_NS6detail17trampoline_kernelINS0_14default_configENS1_36segmented_radix_sort_config_selectorIblEEZNS1_25segmented_radix_sort_implIS3_Lb0EPKbPbPKlPlN2at6native12_GLOBAL__N_18offset_tEEE10hipError_tPvRmT1_PNSt15iterator_traitsISK_E10value_typeET2_T3_PNSL_ISQ_E10value_typeET4_jRbjT5_SW_jjP12ihipStream_tbEUlT_E0_NS1_11comp_targetILNS1_3genE3ELNS1_11target_archE908ELNS1_3gpuE7ELNS1_3repE0EEENS1_60segmented_radix_sort_warp_sort_medium_config_static_selectorELNS0_4arch9wavefront6targetE1EEEvSK_,"axG",@progbits,_ZN7rocprim17ROCPRIM_400000_NS6detail17trampoline_kernelINS0_14default_configENS1_36segmented_radix_sort_config_selectorIblEEZNS1_25segmented_radix_sort_implIS3_Lb0EPKbPbPKlPlN2at6native12_GLOBAL__N_18offset_tEEE10hipError_tPvRmT1_PNSt15iterator_traitsISK_E10value_typeET2_T3_PNSL_ISQ_E10value_typeET4_jRbjT5_SW_jjP12ihipStream_tbEUlT_E0_NS1_11comp_targetILNS1_3genE3ELNS1_11target_archE908ELNS1_3gpuE7ELNS1_3repE0EEENS1_60segmented_radix_sort_warp_sort_medium_config_static_selectorELNS0_4arch9wavefront6targetE1EEEvSK_,comdat
	.globl	_ZN7rocprim17ROCPRIM_400000_NS6detail17trampoline_kernelINS0_14default_configENS1_36segmented_radix_sort_config_selectorIblEEZNS1_25segmented_radix_sort_implIS3_Lb0EPKbPbPKlPlN2at6native12_GLOBAL__N_18offset_tEEE10hipError_tPvRmT1_PNSt15iterator_traitsISK_E10value_typeET2_T3_PNSL_ISQ_E10value_typeET4_jRbjT5_SW_jjP12ihipStream_tbEUlT_E0_NS1_11comp_targetILNS1_3genE3ELNS1_11target_archE908ELNS1_3gpuE7ELNS1_3repE0EEENS1_60segmented_radix_sort_warp_sort_medium_config_static_selectorELNS0_4arch9wavefront6targetE1EEEvSK_ ; -- Begin function _ZN7rocprim17ROCPRIM_400000_NS6detail17trampoline_kernelINS0_14default_configENS1_36segmented_radix_sort_config_selectorIblEEZNS1_25segmented_radix_sort_implIS3_Lb0EPKbPbPKlPlN2at6native12_GLOBAL__N_18offset_tEEE10hipError_tPvRmT1_PNSt15iterator_traitsISK_E10value_typeET2_T3_PNSL_ISQ_E10value_typeET4_jRbjT5_SW_jjP12ihipStream_tbEUlT_E0_NS1_11comp_targetILNS1_3genE3ELNS1_11target_archE908ELNS1_3gpuE7ELNS1_3repE0EEENS1_60segmented_radix_sort_warp_sort_medium_config_static_selectorELNS0_4arch9wavefront6targetE1EEEvSK_
	.p2align	8
	.type	_ZN7rocprim17ROCPRIM_400000_NS6detail17trampoline_kernelINS0_14default_configENS1_36segmented_radix_sort_config_selectorIblEEZNS1_25segmented_radix_sort_implIS3_Lb0EPKbPbPKlPlN2at6native12_GLOBAL__N_18offset_tEEE10hipError_tPvRmT1_PNSt15iterator_traitsISK_E10value_typeET2_T3_PNSL_ISQ_E10value_typeET4_jRbjT5_SW_jjP12ihipStream_tbEUlT_E0_NS1_11comp_targetILNS1_3genE3ELNS1_11target_archE908ELNS1_3gpuE7ELNS1_3repE0EEENS1_60segmented_radix_sort_warp_sort_medium_config_static_selectorELNS0_4arch9wavefront6targetE1EEEvSK_,@function
_ZN7rocprim17ROCPRIM_400000_NS6detail17trampoline_kernelINS0_14default_configENS1_36segmented_radix_sort_config_selectorIblEEZNS1_25segmented_radix_sort_implIS3_Lb0EPKbPbPKlPlN2at6native12_GLOBAL__N_18offset_tEEE10hipError_tPvRmT1_PNSt15iterator_traitsISK_E10value_typeET2_T3_PNSL_ISQ_E10value_typeET4_jRbjT5_SW_jjP12ihipStream_tbEUlT_E0_NS1_11comp_targetILNS1_3genE3ELNS1_11target_archE908ELNS1_3gpuE7ELNS1_3repE0EEENS1_60segmented_radix_sort_warp_sort_medium_config_static_selectorELNS0_4arch9wavefront6targetE1EEEvSK_: ; @_ZN7rocprim17ROCPRIM_400000_NS6detail17trampoline_kernelINS0_14default_configENS1_36segmented_radix_sort_config_selectorIblEEZNS1_25segmented_radix_sort_implIS3_Lb0EPKbPbPKlPlN2at6native12_GLOBAL__N_18offset_tEEE10hipError_tPvRmT1_PNSt15iterator_traitsISK_E10value_typeET2_T3_PNSL_ISQ_E10value_typeET4_jRbjT5_SW_jjP12ihipStream_tbEUlT_E0_NS1_11comp_targetILNS1_3genE3ELNS1_11target_archE908ELNS1_3gpuE7ELNS1_3repE0EEENS1_60segmented_radix_sort_warp_sort_medium_config_static_selectorELNS0_4arch9wavefront6targetE1EEEvSK_
; %bb.0:
	.section	.rodata,"a",@progbits
	.p2align	6, 0x0
	.amdhsa_kernel _ZN7rocprim17ROCPRIM_400000_NS6detail17trampoline_kernelINS0_14default_configENS1_36segmented_radix_sort_config_selectorIblEEZNS1_25segmented_radix_sort_implIS3_Lb0EPKbPbPKlPlN2at6native12_GLOBAL__N_18offset_tEEE10hipError_tPvRmT1_PNSt15iterator_traitsISK_E10value_typeET2_T3_PNSL_ISQ_E10value_typeET4_jRbjT5_SW_jjP12ihipStream_tbEUlT_E0_NS1_11comp_targetILNS1_3genE3ELNS1_11target_archE908ELNS1_3gpuE7ELNS1_3repE0EEENS1_60segmented_radix_sort_warp_sort_medium_config_static_selectorELNS0_4arch9wavefront6targetE1EEEvSK_
		.amdhsa_group_segment_fixed_size 0
		.amdhsa_private_segment_fixed_size 0
		.amdhsa_kernarg_size 88
		.amdhsa_user_sgpr_count 6
		.amdhsa_user_sgpr_private_segment_buffer 1
		.amdhsa_user_sgpr_dispatch_ptr 0
		.amdhsa_user_sgpr_queue_ptr 0
		.amdhsa_user_sgpr_kernarg_segment_ptr 1
		.amdhsa_user_sgpr_dispatch_id 0
		.amdhsa_user_sgpr_flat_scratch_init 0
		.amdhsa_user_sgpr_private_segment_size 0
		.amdhsa_uses_dynamic_stack 0
		.amdhsa_system_sgpr_private_segment_wavefront_offset 0
		.amdhsa_system_sgpr_workgroup_id_x 1
		.amdhsa_system_sgpr_workgroup_id_y 0
		.amdhsa_system_sgpr_workgroup_id_z 0
		.amdhsa_system_sgpr_workgroup_info 0
		.amdhsa_system_vgpr_workitem_id 0
		.amdhsa_next_free_vgpr 1
		.amdhsa_next_free_sgpr 0
		.amdhsa_reserve_vcc 0
		.amdhsa_reserve_flat_scratch 0
		.amdhsa_float_round_mode_32 0
		.amdhsa_float_round_mode_16_64 0
		.amdhsa_float_denorm_mode_32 3
		.amdhsa_float_denorm_mode_16_64 3
		.amdhsa_dx10_clamp 1
		.amdhsa_ieee_mode 1
		.amdhsa_fp16_overflow 0
		.amdhsa_exception_fp_ieee_invalid_op 0
		.amdhsa_exception_fp_denorm_src 0
		.amdhsa_exception_fp_ieee_div_zero 0
		.amdhsa_exception_fp_ieee_overflow 0
		.amdhsa_exception_fp_ieee_underflow 0
		.amdhsa_exception_fp_ieee_inexact 0
		.amdhsa_exception_int_div_zero 0
	.end_amdhsa_kernel
	.section	.text._ZN7rocprim17ROCPRIM_400000_NS6detail17trampoline_kernelINS0_14default_configENS1_36segmented_radix_sort_config_selectorIblEEZNS1_25segmented_radix_sort_implIS3_Lb0EPKbPbPKlPlN2at6native12_GLOBAL__N_18offset_tEEE10hipError_tPvRmT1_PNSt15iterator_traitsISK_E10value_typeET2_T3_PNSL_ISQ_E10value_typeET4_jRbjT5_SW_jjP12ihipStream_tbEUlT_E0_NS1_11comp_targetILNS1_3genE3ELNS1_11target_archE908ELNS1_3gpuE7ELNS1_3repE0EEENS1_60segmented_radix_sort_warp_sort_medium_config_static_selectorELNS0_4arch9wavefront6targetE1EEEvSK_,"axG",@progbits,_ZN7rocprim17ROCPRIM_400000_NS6detail17trampoline_kernelINS0_14default_configENS1_36segmented_radix_sort_config_selectorIblEEZNS1_25segmented_radix_sort_implIS3_Lb0EPKbPbPKlPlN2at6native12_GLOBAL__N_18offset_tEEE10hipError_tPvRmT1_PNSt15iterator_traitsISK_E10value_typeET2_T3_PNSL_ISQ_E10value_typeET4_jRbjT5_SW_jjP12ihipStream_tbEUlT_E0_NS1_11comp_targetILNS1_3genE3ELNS1_11target_archE908ELNS1_3gpuE7ELNS1_3repE0EEENS1_60segmented_radix_sort_warp_sort_medium_config_static_selectorELNS0_4arch9wavefront6targetE1EEEvSK_,comdat
.Lfunc_end1648:
	.size	_ZN7rocprim17ROCPRIM_400000_NS6detail17trampoline_kernelINS0_14default_configENS1_36segmented_radix_sort_config_selectorIblEEZNS1_25segmented_radix_sort_implIS3_Lb0EPKbPbPKlPlN2at6native12_GLOBAL__N_18offset_tEEE10hipError_tPvRmT1_PNSt15iterator_traitsISK_E10value_typeET2_T3_PNSL_ISQ_E10value_typeET4_jRbjT5_SW_jjP12ihipStream_tbEUlT_E0_NS1_11comp_targetILNS1_3genE3ELNS1_11target_archE908ELNS1_3gpuE7ELNS1_3repE0EEENS1_60segmented_radix_sort_warp_sort_medium_config_static_selectorELNS0_4arch9wavefront6targetE1EEEvSK_, .Lfunc_end1648-_ZN7rocprim17ROCPRIM_400000_NS6detail17trampoline_kernelINS0_14default_configENS1_36segmented_radix_sort_config_selectorIblEEZNS1_25segmented_radix_sort_implIS3_Lb0EPKbPbPKlPlN2at6native12_GLOBAL__N_18offset_tEEE10hipError_tPvRmT1_PNSt15iterator_traitsISK_E10value_typeET2_T3_PNSL_ISQ_E10value_typeET4_jRbjT5_SW_jjP12ihipStream_tbEUlT_E0_NS1_11comp_targetILNS1_3genE3ELNS1_11target_archE908ELNS1_3gpuE7ELNS1_3repE0EEENS1_60segmented_radix_sort_warp_sort_medium_config_static_selectorELNS0_4arch9wavefront6targetE1EEEvSK_
                                        ; -- End function
	.set _ZN7rocprim17ROCPRIM_400000_NS6detail17trampoline_kernelINS0_14default_configENS1_36segmented_radix_sort_config_selectorIblEEZNS1_25segmented_radix_sort_implIS3_Lb0EPKbPbPKlPlN2at6native12_GLOBAL__N_18offset_tEEE10hipError_tPvRmT1_PNSt15iterator_traitsISK_E10value_typeET2_T3_PNSL_ISQ_E10value_typeET4_jRbjT5_SW_jjP12ihipStream_tbEUlT_E0_NS1_11comp_targetILNS1_3genE3ELNS1_11target_archE908ELNS1_3gpuE7ELNS1_3repE0EEENS1_60segmented_radix_sort_warp_sort_medium_config_static_selectorELNS0_4arch9wavefront6targetE1EEEvSK_.num_vgpr, 0
	.set _ZN7rocprim17ROCPRIM_400000_NS6detail17trampoline_kernelINS0_14default_configENS1_36segmented_radix_sort_config_selectorIblEEZNS1_25segmented_radix_sort_implIS3_Lb0EPKbPbPKlPlN2at6native12_GLOBAL__N_18offset_tEEE10hipError_tPvRmT1_PNSt15iterator_traitsISK_E10value_typeET2_T3_PNSL_ISQ_E10value_typeET4_jRbjT5_SW_jjP12ihipStream_tbEUlT_E0_NS1_11comp_targetILNS1_3genE3ELNS1_11target_archE908ELNS1_3gpuE7ELNS1_3repE0EEENS1_60segmented_radix_sort_warp_sort_medium_config_static_selectorELNS0_4arch9wavefront6targetE1EEEvSK_.num_agpr, 0
	.set _ZN7rocprim17ROCPRIM_400000_NS6detail17trampoline_kernelINS0_14default_configENS1_36segmented_radix_sort_config_selectorIblEEZNS1_25segmented_radix_sort_implIS3_Lb0EPKbPbPKlPlN2at6native12_GLOBAL__N_18offset_tEEE10hipError_tPvRmT1_PNSt15iterator_traitsISK_E10value_typeET2_T3_PNSL_ISQ_E10value_typeET4_jRbjT5_SW_jjP12ihipStream_tbEUlT_E0_NS1_11comp_targetILNS1_3genE3ELNS1_11target_archE908ELNS1_3gpuE7ELNS1_3repE0EEENS1_60segmented_radix_sort_warp_sort_medium_config_static_selectorELNS0_4arch9wavefront6targetE1EEEvSK_.numbered_sgpr, 0
	.set _ZN7rocprim17ROCPRIM_400000_NS6detail17trampoline_kernelINS0_14default_configENS1_36segmented_radix_sort_config_selectorIblEEZNS1_25segmented_radix_sort_implIS3_Lb0EPKbPbPKlPlN2at6native12_GLOBAL__N_18offset_tEEE10hipError_tPvRmT1_PNSt15iterator_traitsISK_E10value_typeET2_T3_PNSL_ISQ_E10value_typeET4_jRbjT5_SW_jjP12ihipStream_tbEUlT_E0_NS1_11comp_targetILNS1_3genE3ELNS1_11target_archE908ELNS1_3gpuE7ELNS1_3repE0EEENS1_60segmented_radix_sort_warp_sort_medium_config_static_selectorELNS0_4arch9wavefront6targetE1EEEvSK_.num_named_barrier, 0
	.set _ZN7rocprim17ROCPRIM_400000_NS6detail17trampoline_kernelINS0_14default_configENS1_36segmented_radix_sort_config_selectorIblEEZNS1_25segmented_radix_sort_implIS3_Lb0EPKbPbPKlPlN2at6native12_GLOBAL__N_18offset_tEEE10hipError_tPvRmT1_PNSt15iterator_traitsISK_E10value_typeET2_T3_PNSL_ISQ_E10value_typeET4_jRbjT5_SW_jjP12ihipStream_tbEUlT_E0_NS1_11comp_targetILNS1_3genE3ELNS1_11target_archE908ELNS1_3gpuE7ELNS1_3repE0EEENS1_60segmented_radix_sort_warp_sort_medium_config_static_selectorELNS0_4arch9wavefront6targetE1EEEvSK_.private_seg_size, 0
	.set _ZN7rocprim17ROCPRIM_400000_NS6detail17trampoline_kernelINS0_14default_configENS1_36segmented_radix_sort_config_selectorIblEEZNS1_25segmented_radix_sort_implIS3_Lb0EPKbPbPKlPlN2at6native12_GLOBAL__N_18offset_tEEE10hipError_tPvRmT1_PNSt15iterator_traitsISK_E10value_typeET2_T3_PNSL_ISQ_E10value_typeET4_jRbjT5_SW_jjP12ihipStream_tbEUlT_E0_NS1_11comp_targetILNS1_3genE3ELNS1_11target_archE908ELNS1_3gpuE7ELNS1_3repE0EEENS1_60segmented_radix_sort_warp_sort_medium_config_static_selectorELNS0_4arch9wavefront6targetE1EEEvSK_.uses_vcc, 0
	.set _ZN7rocprim17ROCPRIM_400000_NS6detail17trampoline_kernelINS0_14default_configENS1_36segmented_radix_sort_config_selectorIblEEZNS1_25segmented_radix_sort_implIS3_Lb0EPKbPbPKlPlN2at6native12_GLOBAL__N_18offset_tEEE10hipError_tPvRmT1_PNSt15iterator_traitsISK_E10value_typeET2_T3_PNSL_ISQ_E10value_typeET4_jRbjT5_SW_jjP12ihipStream_tbEUlT_E0_NS1_11comp_targetILNS1_3genE3ELNS1_11target_archE908ELNS1_3gpuE7ELNS1_3repE0EEENS1_60segmented_radix_sort_warp_sort_medium_config_static_selectorELNS0_4arch9wavefront6targetE1EEEvSK_.uses_flat_scratch, 0
	.set _ZN7rocprim17ROCPRIM_400000_NS6detail17trampoline_kernelINS0_14default_configENS1_36segmented_radix_sort_config_selectorIblEEZNS1_25segmented_radix_sort_implIS3_Lb0EPKbPbPKlPlN2at6native12_GLOBAL__N_18offset_tEEE10hipError_tPvRmT1_PNSt15iterator_traitsISK_E10value_typeET2_T3_PNSL_ISQ_E10value_typeET4_jRbjT5_SW_jjP12ihipStream_tbEUlT_E0_NS1_11comp_targetILNS1_3genE3ELNS1_11target_archE908ELNS1_3gpuE7ELNS1_3repE0EEENS1_60segmented_radix_sort_warp_sort_medium_config_static_selectorELNS0_4arch9wavefront6targetE1EEEvSK_.has_dyn_sized_stack, 0
	.set _ZN7rocprim17ROCPRIM_400000_NS6detail17trampoline_kernelINS0_14default_configENS1_36segmented_radix_sort_config_selectorIblEEZNS1_25segmented_radix_sort_implIS3_Lb0EPKbPbPKlPlN2at6native12_GLOBAL__N_18offset_tEEE10hipError_tPvRmT1_PNSt15iterator_traitsISK_E10value_typeET2_T3_PNSL_ISQ_E10value_typeET4_jRbjT5_SW_jjP12ihipStream_tbEUlT_E0_NS1_11comp_targetILNS1_3genE3ELNS1_11target_archE908ELNS1_3gpuE7ELNS1_3repE0EEENS1_60segmented_radix_sort_warp_sort_medium_config_static_selectorELNS0_4arch9wavefront6targetE1EEEvSK_.has_recursion, 0
	.set _ZN7rocprim17ROCPRIM_400000_NS6detail17trampoline_kernelINS0_14default_configENS1_36segmented_radix_sort_config_selectorIblEEZNS1_25segmented_radix_sort_implIS3_Lb0EPKbPbPKlPlN2at6native12_GLOBAL__N_18offset_tEEE10hipError_tPvRmT1_PNSt15iterator_traitsISK_E10value_typeET2_T3_PNSL_ISQ_E10value_typeET4_jRbjT5_SW_jjP12ihipStream_tbEUlT_E0_NS1_11comp_targetILNS1_3genE3ELNS1_11target_archE908ELNS1_3gpuE7ELNS1_3repE0EEENS1_60segmented_radix_sort_warp_sort_medium_config_static_selectorELNS0_4arch9wavefront6targetE1EEEvSK_.has_indirect_call, 0
	.section	.AMDGPU.csdata,"",@progbits
; Kernel info:
; codeLenInByte = 0
; TotalNumSgprs: 4
; NumVgprs: 0
; ScratchSize: 0
; MemoryBound: 0
; FloatMode: 240
; IeeeMode: 1
; LDSByteSize: 0 bytes/workgroup (compile time only)
; SGPRBlocks: 0
; VGPRBlocks: 0
; NumSGPRsForWavesPerEU: 4
; NumVGPRsForWavesPerEU: 1
; Occupancy: 10
; WaveLimiterHint : 0
; COMPUTE_PGM_RSRC2:SCRATCH_EN: 0
; COMPUTE_PGM_RSRC2:USER_SGPR: 6
; COMPUTE_PGM_RSRC2:TRAP_HANDLER: 0
; COMPUTE_PGM_RSRC2:TGID_X_EN: 1
; COMPUTE_PGM_RSRC2:TGID_Y_EN: 0
; COMPUTE_PGM_RSRC2:TGID_Z_EN: 0
; COMPUTE_PGM_RSRC2:TIDIG_COMP_CNT: 0
	.text
	.p2align	2                               ; -- Begin function _ZN7rocprim17ROCPRIM_400000_NS6detail26segmented_warp_sort_helperINS1_20WarpSortHelperConfigILj16ELj8ELj256EEEblLi256ELb0EvE4sortIPKbPbPKlPlEEvT_T0_T1_T2_jjjjRNS5_12storage_typeE
	.type	_ZN7rocprim17ROCPRIM_400000_NS6detail26segmented_warp_sort_helperINS1_20WarpSortHelperConfigILj16ELj8ELj256EEEblLi256ELb0EvE4sortIPKbPbPKlPlEEvT_T0_T1_T2_jjjjRNS5_12storage_typeE,@function
_ZN7rocprim17ROCPRIM_400000_NS6detail26segmented_warp_sort_helperINS1_20WarpSortHelperConfigILj16ELj8ELj256EEEblLi256ELb0EvE4sortIPKbPbPKlPlEEvT_T0_T1_T2_jjjjRNS5_12storage_typeE: ; @_ZN7rocprim17ROCPRIM_400000_NS6detail26segmented_warp_sort_helperINS1_20WarpSortHelperConfigILj16ELj8ELj256EEEblLi256ELb0EvE4sortIPKbPbPKlPlEEvT_T0_T1_T2_jjjjRNS5_12storage_typeE
; %bb.0:
	s_waitcnt vmcnt(0) expcnt(0) lgkmcnt(0)
	v_mbcnt_lo_u32_b32 v13, -1, 0
	v_mbcnt_hi_u32_b32 v13, -1, v13
	v_add_co_u32_e32 v0, vcc, v0, v8
	v_lshlrev_b32_e32 v36, 3, v13
	v_addc_co_u32_e32 v1, vcc, 0, v1, vcc
	v_and_b32_e32 v34, 0x78, v36
	v_add_co_u32_e32 v0, vcc, v0, v34
	v_sub_u32_e32 v12, v9, v8
	v_addc_co_u32_e32 v1, vcc, 0, v1, vcc
	v_mov_b32_e32 v9, 0
	v_cmp_lt_u32_e32 vcc, v34, v12
	v_mov_b32_e32 v38, 1
	v_mov_b32_e32 v37, 1
	s_and_saveexec_b64 s[4:5], vcc
	s_cbranch_execz .LBB1649_2
; %bb.1:
	flat_load_ubyte v37, v[0:1]
.LBB1649_2:
	s_or_b64 exec, exec, s[4:5]
	v_or_b32_e32 v13, 1, v34
	v_cmp_lt_u32_e64 s[4:5], v13, v12
	s_and_saveexec_b64 s[6:7], s[4:5]
	s_cbranch_execz .LBB1649_4
; %bb.3:
	flat_load_ubyte v38, v[0:1] offset:1
.LBB1649_4:
	s_or_b64 exec, exec, s[6:7]
	v_or_b32_e32 v13, 2, v34
	v_cmp_lt_u32_e64 s[6:7], v13, v12
	v_mov_b32_e32 v51, 1
	v_mov_b32_e32 v39, 1
	s_and_saveexec_b64 s[10:11], s[6:7]
	s_cbranch_execz .LBB1649_6
; %bb.5:
	flat_load_ubyte v39, v[0:1] offset:2
.LBB1649_6:
	s_or_b64 exec, exec, s[10:11]
	v_or_b32_e32 v13, 3, v34
	v_cmp_lt_u32_e64 s[18:19], v13, v12
	s_and_saveexec_b64 s[10:11], s[18:19]
	s_cbranch_execz .LBB1649_8
; %bb.7:
	flat_load_ubyte v51, v[0:1] offset:3
.LBB1649_8:
	s_or_b64 exec, exec, s[10:11]
	v_or_b32_e32 v13, 4, v34
	v_cmp_lt_u32_e64 s[10:11], v13, v12
	v_mov_b32_e32 v48, 1
	v_mov_b32_e32 v50, 1
	s_and_saveexec_b64 s[14:15], s[10:11]
	s_cbranch_execz .LBB1649_10
; %bb.9:
	flat_load_ubyte v50, v[0:1] offset:4
.LBB1649_10:
	;; [unrolled: 18-line block ×3, first 2 shown]
	s_or_b64 exec, exec, s[16:17]
	v_or_b32_e32 v13, 7, v34
	v_cmp_lt_u32_e64 s[16:17], v13, v12
	s_and_saveexec_b64 s[20:21], s[16:17]
	s_cbranch_execz .LBB1649_16
; %bb.15:
	flat_load_ubyte v49, v[0:1] offset:7
.LBB1649_16:
	s_or_b64 exec, exec, s[20:21]
	v_lshlrev_b64 v[0:1], 3, v[8:9]
	v_lshlrev_b32_e32 v35, 3, v34
	v_add_co_u32_e64 v4, s[20:21], v4, v0
	v_addc_co_u32_e64 v5, s[20:21], v5, v1, s[20:21]
	v_add_co_u32_e64 v26, s[20:21], v4, v35
	v_addc_co_u32_e64 v27, s[20:21], 0, v5, s[20:21]
	; wave barrier
                                        ; implicit-def: $vgpr4_vgpr5
	s_and_saveexec_b64 s[20:21], vcc
	s_cbranch_execnz .LBB1649_243
; %bb.17:
	s_or_b64 exec, exec, s[20:21]
	s_and_saveexec_b64 s[20:21], s[4:5]
                                        ; implicit-def: $vgpr12_vgpr13
	s_cbranch_execnz .LBB1649_244
.LBB1649_18:
	s_or_b64 exec, exec, s[20:21]
                                        ; implicit-def: $vgpr14_vgpr15
	s_and_saveexec_b64 s[20:21], s[6:7]
	s_cbranch_execnz .LBB1649_245
.LBB1649_19:
	s_or_b64 exec, exec, s[20:21]
	s_and_saveexec_b64 s[20:21], s[18:19]
                                        ; implicit-def: $vgpr16_vgpr17
	s_cbranch_execnz .LBB1649_246
.LBB1649_20:
	s_or_b64 exec, exec, s[20:21]
                                        ; implicit-def: $vgpr20_vgpr21
	s_and_saveexec_b64 s[20:21], s[10:11]
	s_cbranch_execnz .LBB1649_247
.LBB1649_21:
	s_or_b64 exec, exec, s[20:21]
	s_and_saveexec_b64 s[20:21], s[24:25]
                                        ; implicit-def: $vgpr22_vgpr23
	s_cbranch_execnz .LBB1649_248
.LBB1649_22:
	s_or_b64 exec, exec, s[20:21]
                                        ; implicit-def: $vgpr18_vgpr19
	s_and_saveexec_b64 s[20:21], s[14:15]
	s_cbranch_execnz .LBB1649_249
.LBB1649_23:
	s_or_b64 exec, exec, s[20:21]
	s_and_saveexec_b64 s[20:21], s[16:17]
                                        ; implicit-def: $vgpr24_vgpr25
	s_cbranch_execz .LBB1649_25
.LBB1649_24:
	flat_load_dwordx2 v[24:25], v[26:27] offset:56
.LBB1649_25:
	s_or_b64 exec, exec, s[20:21]
	v_cmp_ne_u32_e64 s[20:21], 0, v10
	v_cmp_ne_u32_e64 s[22:23], 8, v11
	s_or_b64 s[20:21], s[20:21], s[22:23]
	v_bfe_u32 v9, v31, 10, 10
	v_bfe_u32 v26, v31, 20, 10
	; wave barrier
	s_and_saveexec_b64 s[22:23], s[20:21]
	s_xor_b64 s[42:43], exec, s[22:23]
	s_cbranch_execz .LBB1649_125
; %bb.26:
	s_load_dwordx2 s[26:27], s[8:9], 0x0
	v_cmp_ne_u32_e64 s[20:21], 0, v11
	v_cmp_ne_u32_e64 s[22:23], 0, v10
	s_xor_b64 s[20:21], s[22:23], s[20:21]
	v_cndmask_b32_e64 v10, 0, 1, s[20:21]
	s_waitcnt lgkmcnt(0)
	s_cmp_lt_u32 s13, s27
	s_cselect_b32 s20, 14, 20
	s_add_u32 s20, s8, s20
	s_addc_u32 s21, s9, 0
	s_cmp_lt_u32 s12, s26
	s_cselect_b32 s22, 12, 18
	buffer_store_byte v10, off, s[0:3], s32 offset:6
	v_mov_b32_e32 v11, 0
	s_add_u32 s22, s8, s22
	buffer_load_ubyte v10, off, s[0:3], s32 offset:6
	s_addc_u32 s23, s9, 0
	global_load_ushort v27, v11, s[20:21]
	global_load_ushort v28, v11, s[22:23]
	v_and_b32_e32 v11, 0x3ff, v31
	s_movk_i32 s22, 0x800
	s_waitcnt vmcnt(0)
	v_and_b32_e32 v10, 1, v10
	v_mad_u32_u24 v9, v26, v27, v9
	v_mul_lo_u32 v9, v9, v28
	buffer_store_byte v10, off, s[0:3], s32 offset:5
	v_cmp_eq_u32_e64 s[20:21], 1, v10
	v_and_b32_e32 v10, 1, v10
	v_add_lshl_u32 v53, v9, v11, 3
	v_cmp_gt_u32_e64 s[22:23], s22, v53
	buffer_store_byte v10, off, s[0:3], s32 offset:4
	s_and_saveexec_b64 s[26:27], s[22:23]
	s_cbranch_execz .LBB1649_84
; %bb.27:
	buffer_load_ubyte v54, off, s[0:3], s32 offset:4
	v_mov_b32_e32 v27, v13
	v_mov_b32_e32 v32, v38
	;; [unrolled: 1-line block ×3, first 2 shown]
	s_waitcnt vmcnt(0)
	v_and_b32_e32 v9, v54, v38
	v_and_b32_e32 v10, v54, v37
	;; [unrolled: 1-line block ×4, first 2 shown]
	v_cmp_gt_u16_e64 s[22:23], v10, v9
	s_and_saveexec_b64 s[28:29], s[22:23]
; %bb.28:
	v_mov_b32_e32 v27, v5
	v_mov_b32_e32 v26, v4
	;; [unrolled: 1-line block ×6, first 2 shown]
; %bb.29:
	s_or_b64 exec, exec, s[28:29]
	v_and_b32_e32 v9, v54, v51
	v_and_b32_e32 v10, v54, v39
	v_mov_b32_e32 v29, v17
	v_cmp_gt_u16_sdwa s[28:29], v10, v9 src0_sel:BYTE_0 src1_sel:BYTE_0
	v_mov_b32_e32 v33, v51
	v_mov_b32_e32 v28, v16
	s_and_saveexec_b64 s[22:23], s[28:29]
; %bb.30:
	v_mov_b32_e32 v29, v15
	v_mov_b32_e32 v28, v14
	;; [unrolled: 1-line block ×6, first 2 shown]
; %bb.31:
	s_or_b64 exec, exec, s[22:23]
	v_and_b32_e32 v9, v54, v48
	v_and_b32_e32 v10, v54, v50
	v_mov_b32_e32 v11, v22
	v_cmp_gt_u16_sdwa s[28:29], v10, v9 src0_sel:BYTE_0 src1_sel:BYTE_0
	v_mov_b32_e32 v12, v23
	s_and_saveexec_b64 s[22:23], s[28:29]
; %bb.32:
	v_mov_b32_e32 v11, v20
	v_mov_b32_e32 v12, v21
	;; [unrolled: 1-line block ×6, first 2 shown]
; %bb.33:
	s_or_b64 exec, exec, s[22:23]
	v_and_b32_e32 v9, v54, v49
	v_and_b32_e32 v10, v54, v52
	v_cmp_gt_u16_sdwa s[28:29], v10, v9 src0_sel:BYTE_0 src1_sel:BYTE_0
	v_mov_b32_e32 v9, v24
	v_mov_b32_e32 v10, v25
	s_and_saveexec_b64 s[22:23], s[28:29]
; %bb.34:
	v_mov_b32_e32 v9, v18
	v_mov_b32_e32 v10, v19
	;; [unrolled: 1-line block ×6, first 2 shown]
; %bb.35:
	s_or_b64 exec, exec, s[22:23]
	v_and_b32_e32 v13, v39, v54
	v_and_b32_e32 v16, v32, v54
	v_mov_b32_e32 v23, v15
	v_cmp_gt_u16_sdwa s[22:23], v16, v13 src0_sel:BYTE_0 src1_sel:BYTE_0
	v_mov_b32_e32 v17, v39
	v_mov_b32_e32 v22, v14
	s_and_saveexec_b64 s[28:29], s[22:23]
	s_xor_b64 s[22:23], exec, s[28:29]
; %bb.36:
	v_mov_b32_e32 v22, v26
	v_mov_b32_e32 v23, v27
	v_mov_b32_e32 v27, v15
	v_mov_b32_e32 v17, 1
	v_mov_b32_e32 v32, v39
	v_mov_b32_e32 v26, v14
; %bb.37:
	s_or_b64 exec, exec, s[22:23]
	v_and_b32_e32 v13, v50, v54
	v_and_b32_e32 v14, v33, v54
	v_mov_b32_e32 v25, v21
	v_cmp_gt_u16_sdwa s[28:29], v14, v13 src0_sel:BYTE_0 src1_sel:BYTE_0
	v_mov_b32_e32 v24, v20
	s_and_saveexec_b64 s[22:23], s[28:29]
; %bb.38:
	v_mov_b32_e32 v24, v28
	v_mov_b32_e32 v25, v29
	;; [unrolled: 1-line block ×6, first 2 shown]
; %bb.39:
	s_or_b64 exec, exec, s[22:23]
	v_and_b32_e32 v13, v52, v54
	v_and_b32_e32 v14, v48, v54
	v_cmp_gt_u16_sdwa s[28:29], v14, v13 src0_sel:BYTE_0 src1_sel:BYTE_0
	v_mov_b32_e32 v13, v18
	v_mov_b32_e32 v14, v19
	s_and_saveexec_b64 s[22:23], s[28:29]
; %bb.40:
	v_mov_b32_e32 v14, v12
	v_mov_b32_e32 v13, v11
	;; [unrolled: 1-line block ×6, first 2 shown]
; %bb.41:
	s_or_b64 exec, exec, s[22:23]
	v_and_b32_e32 v15, v32, v54
	v_and_b32_e32 v16, v37, v54
	v_mov_b32_e32 v31, v27
	v_cmp_gt_u16_sdwa s[28:29], v16, v15 src0_sel:BYTE_0 src1_sel:BYTE_0
	v_mov_b32_e32 v38, v32
	v_mov_b32_e32 v30, v26
	s_and_saveexec_b64 s[22:23], s[28:29]
; %bb.42:
	v_mov_b32_e32 v31, v5
	v_mov_b32_e32 v30, v4
	;; [unrolled: 1-line block ×6, first 2 shown]
; %bb.43:
	s_or_b64 exec, exec, s[22:23]
	v_and_b32_e32 v15, v33, v54
	v_and_b32_e32 v16, v17, v54
	v_mov_b32_e32 v26, v28
	v_cmp_gt_u16_sdwa s[28:29], v16, v15 src0_sel:BYTE_0 src1_sel:BYTE_0
	v_mov_b32_e32 v19, v33
	v_mov_b32_e32 v27, v29
	s_and_saveexec_b64 s[22:23], s[28:29]
; %bb.44:
	v_mov_b32_e32 v27, v23
	v_mov_b32_e32 v26, v22
	v_mov_b32_e32 v22, v28
	v_mov_b32_e32 v19, 1
	v_mov_b32_e32 v17, v33
	v_mov_b32_e32 v23, v29
; %bb.45:
	s_or_b64 exec, exec, s[22:23]
	v_and_b32_e32 v15, v48, v54
	v_and_b32_e32 v16, v50, v54
	v_cmp_gt_u16_sdwa s[28:29], v16, v15 src0_sel:BYTE_0 src1_sel:BYTE_0
	v_mov_b32_e32 v16, v12
	v_mov_b32_e32 v15, v11
	s_and_saveexec_b64 s[22:23], s[28:29]
; %bb.46:
	v_mov_b32_e32 v15, v24
	v_mov_b32_e32 v16, v25
	v_mov_b32_e32 v25, v12
	v_mov_b32_e32 v24, v11
	v_mov_b32_e32 v50, v48
	v_mov_b32_e32 v48, 1
; %bb.47:
	s_or_b64 exec, exec, s[22:23]
	v_and_b32_e32 v11, v49, v54
	v_and_b32_e32 v12, v52, v54
	;; [unrolled: 15-line block ×3, first 2 shown]
	v_mov_b32_e32 v29, v23
	v_cmp_gt_u16_sdwa s[28:29], v10, v9 src0_sel:BYTE_0 src1_sel:BYTE_0
	v_mov_b32_e32 v39, v17
	v_mov_b32_e32 v28, v22
	s_and_saveexec_b64 s[22:23], s[28:29]
; %bb.50:
	v_mov_b32_e32 v28, v30
	v_mov_b32_e32 v29, v31
	v_mov_b32_e32 v31, v23
	v_mov_b32_e32 v39, 1
	v_mov_b32_e32 v38, v17
	v_mov_b32_e32 v30, v22
; %bb.51:
	s_or_b64 exec, exec, s[22:23]
	v_and_b32_e32 v9, v50, v54
	v_and_b32_e32 v10, v19, v54
	v_mov_b32_e32 v17, v24
	v_cmp_gt_u16_sdwa s[28:29], v10, v9 src0_sel:BYTE_0 src1_sel:BYTE_0
	v_mov_b32_e32 v18, v25
	s_and_saveexec_b64 s[22:23], s[28:29]
; %bb.52:
	v_mov_b32_e32 v17, v26
	v_mov_b32_e32 v18, v27
	v_mov_b32_e32 v27, v25
	v_mov_b32_e32 v19, v50
	v_mov_b32_e32 v26, v24
	v_mov_b32_e32 v50, 1
; %bb.53:
	s_or_b64 exec, exec, s[22:23]
	v_and_b32_e32 v9, v52, v54
	v_and_b32_e32 v10, v48, v54
	v_mov_b32_e32 v21, v14
	v_cmp_gt_u16_sdwa s[28:29], v10, v9 src0_sel:BYTE_0 src1_sel:BYTE_0
	;; [unrolled: 15-line block ×3, first 2 shown]
	v_mov_b32_e32 v51, v38
	v_mov_b32_e32 v25, v31
	s_and_saveexec_b64 s[22:23], s[28:29]
; %bb.56:
	v_mov_b32_e32 v25, v5
	v_mov_b32_e32 v24, v4
	;; [unrolled: 1-line block ×6, first 2 shown]
; %bb.57:
	s_or_b64 exec, exec, s[22:23]
	v_and_b32_e32 v9, v19, v54
	v_and_b32_e32 v10, v39, v54
	v_mov_b32_e32 v31, v27
	v_cmp_gt_u16_sdwa s[28:29], v10, v9 src0_sel:BYTE_0 src1_sel:BYTE_0
	v_mov_b32_e32 v14, v19
	v_mov_b32_e32 v30, v26
	s_and_saveexec_b64 s[22:23], s[28:29]
; %bb.58:
	v_mov_b32_e32 v31, v29
	v_mov_b32_e32 v30, v28
	;; [unrolled: 1-line block ×6, first 2 shown]
; %bb.59:
	s_or_b64 exec, exec, s[22:23]
	v_and_b32_e32 v9, v48, v54
	v_and_b32_e32 v10, v50, v54
	v_mov_b32_e32 v23, v16
	v_cmp_gt_u16_sdwa s[28:29], v10, v9 src0_sel:BYTE_0 src1_sel:BYTE_0
	v_mov_b32_e32 v22, v15
	s_and_saveexec_b64 s[22:23], s[28:29]
; %bb.60:
	v_mov_b32_e32 v23, v18
	v_mov_b32_e32 v22, v17
	;; [unrolled: 1-line block ×6, first 2 shown]
; %bb.61:
	s_or_b64 exec, exec, s[22:23]
	v_and_b32_e32 v9, v49, v54
	v_and_b32_e32 v10, v52, v54
	v_cmp_gt_u16_sdwa s[28:29], v10, v9 src0_sel:BYTE_0 src1_sel:BYTE_0
	v_mov_b32_e32 v9, v11
	v_mov_b32_e32 v10, v12
	s_and_saveexec_b64 s[22:23], s[28:29]
; %bb.62:
	v_mov_b32_e32 v9, v20
	v_mov_b32_e32 v10, v21
	;; [unrolled: 1-line block ×6, first 2 shown]
; %bb.63:
	s_or_b64 exec, exec, s[22:23]
	v_and_b32_e32 v11, v39, v54
	v_and_b32_e32 v12, v51, v54
	v_mov_b32_e32 v33, v29
	v_cmp_gt_u16_sdwa s[28:29], v12, v11 src0_sel:BYTE_0 src1_sel:BYTE_0
	v_mov_b32_e32 v11, v39
	v_mov_b32_e32 v32, v28
	s_and_saveexec_b64 s[22:23], s[28:29]
; %bb.64:
	v_mov_b32_e32 v33, v25
	v_mov_b32_e32 v32, v24
	;; [unrolled: 1-line block ×6, first 2 shown]
; %bb.65:
	s_or_b64 exec, exec, s[22:23]
	v_and_b32_e32 v12, v50, v54
	v_and_b32_e32 v13, v14, v54
	v_mov_b32_e32 v27, v18
	v_cmp_gt_u16_sdwa s[28:29], v13, v12 src0_sel:BYTE_0 src1_sel:BYTE_0
	v_mov_b32_e32 v26, v17
	s_and_saveexec_b64 s[22:23], s[28:29]
; %bb.66:
	v_mov_b32_e32 v26, v30
	v_mov_b32_e32 v27, v31
	v_mov_b32_e32 v31, v18
	v_mov_b32_e32 v14, v50
	v_mov_b32_e32 v30, v17
	v_mov_b32_e32 v50, 1
; %bb.67:
	s_or_b64 exec, exec, s[22:23]
	v_and_b32_e32 v12, v52, v54
	v_and_b32_e32 v13, v48, v54
	v_mov_b32_e32 v18, v20
	v_cmp_gt_u16_sdwa s[28:29], v13, v12 src0_sel:BYTE_0 src1_sel:BYTE_0
	v_mov_b32_e32 v19, v21
	s_and_saveexec_b64 s[22:23], s[28:29]
; %bb.68:
	v_mov_b32_e32 v18, v22
	v_mov_b32_e32 v19, v23
	;; [unrolled: 1-line block ×6, first 2 shown]
; %bb.69:
	s_or_b64 exec, exec, s[22:23]
	v_and_b32_e32 v12, v51, v54
	v_and_b32_e32 v13, v37, v54
	v_cmp_gt_u16_sdwa s[28:29], v13, v12 src0_sel:BYTE_0 src1_sel:BYTE_0
	v_mov_b32_e32 v12, v24
	v_mov_b32_e32 v38, v51
	;; [unrolled: 1-line block ×3, first 2 shown]
	s_and_saveexec_b64 s[22:23], s[28:29]
; %bb.70:
	v_mov_b32_e32 v13, v5
	v_mov_b32_e32 v12, v4
	;; [unrolled: 1-line block ×6, first 2 shown]
; %bb.71:
	s_or_b64 exec, exec, s[22:23]
	v_and_b32_e32 v15, v14, v54
	v_and_b32_e32 v16, v11, v54
	v_cmp_gt_u16_sdwa s[28:29], v16, v15 src0_sel:BYTE_0 src1_sel:BYTE_0
	v_mov_b32_e32 v16, v30
	v_mov_b32_e32 v51, v14
	;; [unrolled: 1-line block ×3, first 2 shown]
	s_and_saveexec_b64 s[22:23], s[28:29]
; %bb.72:
	v_mov_b32_e32 v16, v32
	v_mov_b32_e32 v17, v33
	v_mov_b32_e32 v33, v31
	v_mov_b32_e32 v51, 1
	v_mov_b32_e32 v11, v14
	v_mov_b32_e32 v32, v30
; %bb.73:
	s_or_b64 exec, exec, s[22:23]
	v_and_b32_e32 v14, v48, v54
	v_and_b32_e32 v15, v50, v54
	v_mov_b32_e32 v29, v23
	v_cmp_gt_u16_sdwa s[28:29], v15, v14 src0_sel:BYTE_0 src1_sel:BYTE_0
	v_mov_b32_e32 v28, v22
	s_and_saveexec_b64 s[22:23], s[28:29]
; %bb.74:
	v_mov_b32_e32 v29, v27
	v_mov_b32_e32 v28, v26
	v_mov_b32_e32 v27, v23
	v_mov_b32_e32 v26, v22
	v_mov_b32_e32 v50, v48
	v_mov_b32_e32 v48, 1
; %bb.75:
	s_or_b64 exec, exec, s[22:23]
	v_and_b32_e32 v14, v49, v54
	v_and_b32_e32 v15, v52, v54
	v_mov_b32_e32 v25, v10
	v_cmp_gt_u16_sdwa s[28:29], v15, v14 src0_sel:BYTE_0 src1_sel:BYTE_0
	v_mov_b32_e32 v24, v9
	s_and_saveexec_b64 s[22:23], s[28:29]
; %bb.76:
	v_mov_b32_e32 v25, v19
	v_mov_b32_e32 v24, v18
	v_mov_b32_e32 v19, v10
	v_mov_b32_e32 v18, v9
	v_mov_b32_e32 v52, v49
	v_mov_b32_e32 v49, 1
; %bb.77:
	s_or_b64 exec, exec, s[22:23]
	v_and_b32_e32 v9, v11, v54
	v_and_b32_e32 v10, v38, v54
	v_mov_b32_e32 v14, v32
	v_cmp_gt_u16_sdwa s[28:29], v10, v9 src0_sel:BYTE_0 src1_sel:BYTE_0
	v_mov_b32_e32 v39, v11
	v_mov_b32_e32 v15, v33
	s_and_saveexec_b64 s[22:23], s[28:29]
; %bb.78:
	v_mov_b32_e32 v15, v13
	v_mov_b32_e32 v14, v12
	;; [unrolled: 1-line block ×6, first 2 shown]
; %bb.79:
	s_or_b64 exec, exec, s[22:23]
	v_and_b32_e32 v9, v50, v54
	v_and_b32_e32 v10, v51, v54
	v_mov_b32_e32 v20, v26
	v_cmp_gt_u16_sdwa s[28:29], v10, v9 src0_sel:BYTE_0 src1_sel:BYTE_0
	v_mov_b32_e32 v21, v27
	s_and_saveexec_b64 s[22:23], s[28:29]
; %bb.80:
	v_mov_b32_e32 v21, v17
	v_mov_b32_e32 v20, v16
	;; [unrolled: 1-line block ×6, first 2 shown]
; %bb.81:
	s_or_b64 exec, exec, s[22:23]
	v_and_b32_e32 v9, v52, v54
	v_and_b32_e32 v10, v48, v54
	v_mov_b32_e32 v22, v28
	v_cmp_gt_u16_sdwa s[28:29], v10, v9 src0_sel:BYTE_0 src1_sel:BYTE_0
	v_mov_b32_e32 v23, v29
	s_and_saveexec_b64 s[22:23], s[28:29]
; %bb.82:
	v_mov_b32_e32 v23, v19
	v_mov_b32_e32 v9, 1
	v_mov_b32_e32 v22, v18
	v_mov_b32_e32 v18, v28
	v_mov_b32_e32 v48, v52
	v_mov_b32_e32 v19, v29
	v_mov_b32_e32 v52, v9
; %bb.83:
	s_or_b64 exec, exec, s[22:23]
.LBB1649_84:
	s_or_b64 exec, exec, s[26:27]
	v_cndmask_b32_e64 v9, 0, 1, s[20:21]
	v_and_b32_e32 v10, 0xfffffe00, v53
	buffer_store_byte v9, off, s[0:3], s32 offset:3
	v_lshlrev_b32_e32 v9, 3, v10
	v_lshl_add_u32 v26, v36, 3, v9
	v_add_u32_e32 v27, 0x800, v26
	ds_write2_b64 v27, v[4:5], v[12:13] offset1:1
	v_add_u32_e32 v27, 0x810, v26
	ds_write2_b64 v27, v[14:15], v[16:17] offset1:1
	v_add_u32_e32 v27, 0x820, v26
	s_mov_b32 s20, 0xc0c0004
	ds_write2_b64 v27, v[20:21], v[22:23] offset1:1
	v_perm_b32 v27, v50, v48, s20
	v_perm_b32 v28, v52, v49, s20
	v_lshl_or_b32 v28, v28, 16, v27
	v_perm_b32 v27, v37, v38, s20
	v_perm_b32 v30, v39, v51, s20
	v_add_u32_e32 v11, v10, v36
	v_lshl_or_b32 v27, v30, 16, v27
	v_add_u32_e32 v29, 0x830, v26
	ds_write_b64 v11, v[27:28]
	ds_write2_b64 v29, v[18:19], v[24:25] offset1:1
	; wave barrier
	buffer_load_ubyte v53, off, s[0:3], s32 offset:3
	s_movk_i32 s20, 0x800
	v_or_b32_e32 v28, 8, v36
	v_sub_u32_e64 v27, s20, v10 clamp
	v_and_b32_e32 v29, 8, v36
	v_min_u32_e32 v28, v27, v28
	v_and_b32_e32 v30, 0x3f0, v36
	v_min_u32_e32 v31, v27, v29
	v_add_u32_e32 v29, 8, v28
	v_sub_u32_e32 v32, v28, v30
	v_min_u32_e32 v29, v27, v29
	v_min_u32_e32 v33, v31, v32
	v_sub_u32_e32 v32, v29, v28
	v_sub_u32_e64 v32, v31, v32 clamp
	v_cmp_lt_u32_e64 s[22:23], v32, v33
	s_waitcnt vmcnt(0)
	v_and_b32_e32 v53, 1, v53
	v_cmp_eq_u32_e64 s[20:21], 1, v53
	buffer_store_byte v53, off, s[0:3], s32 offset:2
	s_and_saveexec_b64 s[26:27], s[22:23]
	s_cbranch_execz .LBB1649_88
; %bb.85:
	buffer_load_ubyte v53, off, s[0:3], s32 offset:2
	v_add_u32_e32 v54, v10, v30
	v_add3_u32 v55, v10, v28, v31
	s_mov_b64 s[28:29], 0
.LBB1649_86:                            ; =>This Inner Loop Header: Depth=1
	v_add_u32_e32 v64, v33, v32
	v_lshrrev_b32_e32 v64, 1, v64
	v_add_u32_e32 v65, v54, v64
	v_xad_u32 v66, v64, -1, v55
	ds_read_u8 v66, v66
	ds_read_u8 v65, v65
	v_add_u32_e32 v67, 1, v64
	s_waitcnt vmcnt(0) lgkmcnt(1)
	v_and_b32_e32 v66, v66, v53
	s_waitcnt lgkmcnt(0)
	v_and_b32_e32 v65, v65, v53
	v_and_b32_e32 v66, 1, v66
	;; [unrolled: 1-line block ×3, first 2 shown]
	v_cmp_gt_u16_e64 s[22:23], v65, v66
	v_cndmask_b32_e64 v33, v33, v64, s[22:23]
	v_cndmask_b32_e64 v32, v67, v32, s[22:23]
	v_cmp_ge_u32_e64 s[22:23], v32, v33
	s_or_b64 s[28:29], s[22:23], s[28:29]
	s_andn2_b64 exec, exec, s[28:29]
	s_cbranch_execnz .LBB1649_86
; %bb.87:
	s_or_b64 exec, exec, s[28:29]
.LBB1649_88:
	s_or_b64 exec, exec, s[26:27]
	v_cndmask_b32_e64 v33, 0, 1, s[20:21]
	buffer_store_byte v33, off, s[0:3], s32 offset:1
	buffer_load_ubyte v33, off, s[0:3], s32 offset:1
	v_add_u32_e32 v31, v28, v31
	v_add_u32_e32 v30, v32, v30
	v_sub_u32_e32 v31, v31, v32
	v_cmp_le_u32_e64 s[20:21], v30, v28
	v_cmp_le_u32_e64 s[22:23], v31, v29
	s_or_b64 s[20:21], s[20:21], s[22:23]
	s_waitcnt vmcnt(0)
	v_and_b32_e32 v32, 1, v33
	buffer_store_byte v32, off, s[0:3], s32
	s_and_saveexec_b64 s[44:45], s[20:21]
	s_cbranch_execz .LBB1649_94
; %bb.89:
	v_cmp_ge_u32_e64 s[20:21], v30, v28
	v_cmp_lt_u32_e64 s[22:23], v30, v28
                                        ; implicit-def: $vgpr12
	s_and_saveexec_b64 s[26:27], s[22:23]
; %bb.90:
	v_add_u32_e32 v4, v10, v30
	ds_read_u8 v12, v4
; %bb.91:
	s_or_b64 exec, exec, s[26:27]
	v_cmp_ge_u32_e64 s[22:23], v31, v29
	v_cmp_lt_u32_e64 s[26:27], v31, v29
                                        ; implicit-def: $vgpr13
	s_and_saveexec_b64 s[28:29], s[26:27]
; %bb.92:
	v_add_u32_e32 v4, v10, v31
	ds_read_u8 v13, v4
; %bb.93:
	s_or_b64 exec, exec, s[28:29]
	buffer_load_ubyte v24, off, s[0:3], s32
	v_cndmask_b32_e64 v4, 0, 1, s[22:23]
	s_or_b64 s[20:21], s[20:21], s[22:23]
	s_waitcnt vmcnt(0) lgkmcnt(0)
	v_and_b32_e32 v5, v24, v13
	v_and_b32_e32 v14, v24, v12
	v_and_b32_e32 v5, 1, v5
	v_and_b32_e32 v14, 1, v14
	v_cmp_le_u16_e64 s[26:27], v14, v5
	v_cndmask_b32_e64 v5, 0, 1, s[26:27]
	v_cndmask_b32_e64 v4, v5, v4, s[20:21]
	v_and_b32_e32 v4, 1, v4
	v_cmp_eq_u32_e64 s[20:21], 1, v4
	v_cndmask_b32_e64 v4, v31, v30, s[20:21]
	v_cndmask_b32_e64 v5, v29, v28, s[20:21]
	v_lshl_add_u32 v14, v4, 3, v9
	v_add_u32_e32 v15, 1, v4
	v_add_u32_e32 v4, -1, v5
	v_min_u32_e32 v4, v15, v4
	v_add_u32_e32 v16, v10, v4
	ds_read_b64 v[4:5], v14 offset:2048
	ds_read_u8 v14, v16
	v_cndmask_b32_e64 v37, v13, v12, s[20:21]
	v_cndmask_b32_e64 v16, v15, v31, s[20:21]
	v_cndmask_b32_e64 v15, v30, v15, s[20:21]
	v_cmp_lt_u32_e64 s[26:27], v15, v28
	s_waitcnt lgkmcnt(0)
	v_cndmask_b32_e64 v17, v14, v13, s[20:21]
	v_cndmask_b32_e64 v14, v12, v14, s[20:21]
	v_and_b32_e32 v12, v17, v24
	v_and_b32_e32 v13, v14, v24
	v_cmp_le_u16_sdwa s[20:21], v13, v12 src0_sel:BYTE_0 src1_sel:BYTE_0
	v_cmp_ge_u32_e64 s[22:23], v16, v29
	s_and_b64 s[20:21], s[26:27], s[20:21]
	s_or_b64 s[20:21], s[22:23], s[20:21]
	v_cndmask_b32_e64 v12, v16, v15, s[20:21]
	v_cndmask_b32_e64 v13, v29, v28, s[20:21]
	v_lshl_add_u32 v18, v12, 3, v9
	v_add_u32_e32 v19, 1, v12
	v_add_u32_e32 v12, -1, v13
	v_min_u32_e32 v12, v19, v12
	v_add_u32_e32 v20, v10, v12
	ds_read_b64 v[12:13], v18 offset:2048
	ds_read_u8 v18, v20
	v_cndmask_b32_e64 v38, v17, v14, s[20:21]
	v_cndmask_b32_e64 v16, v19, v16, s[20:21]
	v_cndmask_b32_e64 v19, v15, v19, s[20:21]
	v_cmp_lt_u32_e64 s[26:27], v19, v28
	s_waitcnt lgkmcnt(0)
	v_cndmask_b32_e64 v17, v18, v17, s[20:21]
	v_cndmask_b32_e64 v18, v14, v18, s[20:21]
	v_and_b32_e32 v14, v17, v24
	v_and_b32_e32 v15, v18, v24
	v_cmp_le_u16_sdwa s[20:21], v15, v14 src0_sel:BYTE_0 src1_sel:BYTE_0
	v_cmp_ge_u32_e64 s[22:23], v16, v29
	s_and_b64 s[20:21], s[26:27], s[20:21]
	s_or_b64 s[20:21], s[22:23], s[20:21]
	;; [unrolled: 22-line block ×4, first 2 shown]
	v_cndmask_b32_e64 v18, v22, v19, s[20:21]
	v_cndmask_b32_e64 v20, v29, v28, s[20:21]
	v_lshl_add_u32 v21, v18, 3, v9
	v_add_u32_e32 v18, 1, v18
	v_add_u32_e32 v20, -1, v20
	v_min_u32_e32 v20, v18, v20
	v_add_u32_e32 v23, v10, v20
	ds_read_b64 v[20:21], v21 offset:2048
	ds_read_u8 v23, v23
	v_cndmask_b32_e64 v25, v18, v22, s[20:21]
	v_cndmask_b32_e64 v18, v19, v18, s[20:21]
	v_cmp_lt_u32_e64 s[26:27], v18, v28
	v_cmp_ge_u32_e64 s[22:23], v25, v29
	s_waitcnt lgkmcnt(0)
	v_cndmask_b32_e64 v32, v23, v30, s[20:21]
	v_cndmask_b32_e64 v33, v31, v23, s[20:21]
	v_and_b32_e32 v19, v32, v24
	v_and_b32_e32 v22, v33, v24
	v_cmp_le_u16_sdwa s[28:29], v22, v19 src0_sel:BYTE_0 src1_sel:BYTE_0
	s_and_b64 s[26:27], s[26:27], s[28:29]
	s_or_b64 s[22:23], s[22:23], s[26:27]
	v_cndmask_b32_e64 v19, v25, v18, s[22:23]
	v_cndmask_b32_e64 v22, v29, v28, s[22:23]
	v_lshl_add_u32 v23, v19, 3, v9
	v_add_u32_e32 v19, 1, v19
	v_add_u32_e32 v22, -1, v22
	v_min_u32_e32 v22, v19, v22
	v_add_u32_e32 v48, v10, v22
	ds_read_b64 v[22:23], v23 offset:2048
	ds_read_u8 v48, v48
	v_cndmask_b32_e64 v25, v19, v25, s[22:23]
	v_cndmask_b32_e64 v49, v18, v19, s[22:23]
	v_cmp_lt_u32_e64 s[28:29], v49, v28
	v_cmp_ge_u32_e64 s[26:27], v25, v29
	s_waitcnt lgkmcnt(0)
	v_cndmask_b32_e64 v52, v48, v32, s[22:23]
	v_cndmask_b32_e64 v53, v33, v48, s[22:23]
	v_and_b32_e32 v18, v52, v24
	v_and_b32_e32 v19, v53, v24
	v_cmp_le_u16_sdwa s[40:41], v19, v18 src0_sel:BYTE_0 src1_sel:BYTE_0
	s_and_b64 s[28:29], s[28:29], s[40:41]
	s_or_b64 s[26:27], s[26:27], s[28:29]
	v_cndmask_b32_e64 v18, v25, v49, s[26:27]
	v_cndmask_b32_e64 v19, v29, v28, s[26:27]
	v_lshl_add_u32 v48, v18, 3, v9
	v_add_u32_e32 v50, 1, v18
	v_add_u32_e32 v18, -1, v19
	v_min_u32_e32 v18, v50, v18
	v_add_u32_e32 v54, v10, v18
	ds_read_b64 v[18:19], v48 offset:2048
	ds_read_u8 v48, v54
	v_cndmask_b32_e64 v25, v50, v25, s[26:27]
	v_cndmask_b32_e64 v49, v49, v50, s[26:27]
	v_cmp_ge_u32_e64 s[28:29], v25, v29
	v_cmp_lt_u32_e64 s[40:41], v49, v28
	s_waitcnt lgkmcnt(0)
	v_cndmask_b32_e64 v28, v48, v52, s[26:27]
	v_cndmask_b32_e64 v29, v53, v48, s[26:27]
	v_and_b32_e32 v48, v28, v24
	v_and_b32_e32 v24, v29, v24
	v_cmp_le_u16_sdwa s[46:47], v24, v48 src0_sel:BYTE_0 src1_sel:BYTE_0
	s_and_b64 s[40:41], s[40:41], s[46:47]
	s_or_b64 s[28:29], s[28:29], s[40:41]
	v_cndmask_b32_e64 v24, v25, v49, s[28:29]
	v_lshl_add_u32 v24, v24, 3, v9
	ds_read_b64 v[24:25], v24 offset:2048
	v_cndmask_b32_e64 v50, v30, v31, s[20:21]
	v_cndmask_b32_e64 v48, v32, v33, s[22:23]
	;; [unrolled: 1-line block ×4, first 2 shown]
.LBB1649_94:
	s_or_b64 exec, exec, s[44:45]
	v_add_u32_e32 v28, 0x800, v26
	; wave barrier
	ds_write2_b64 v28, v[4:5], v[12:13] offset1:1
	v_add_u32_e32 v28, 0x810, v26
	ds_write2_b64 v28, v[14:15], v[16:17] offset1:1
	v_add_u32_e32 v28, 0x820, v26
	s_mov_b32 s20, 0xc0c0004
	ds_write2_b64 v28, v[20:21], v[22:23] offset1:1
	v_perm_b32 v28, v50, v48, s20
	v_perm_b32 v29, v52, v49, s20
	v_lshl_or_b32 v29, v29, 16, v28
	v_perm_b32 v28, v37, v38, s20
	v_perm_b32 v31, v39, v51, s20
	v_lshl_or_b32 v28, v31, 16, v28
	v_add_u32_e32 v30, 0x830, v26
	ds_write_b64 v11, v[28:29]
	s_waitcnt lgkmcnt(4)
	ds_write2_b64 v30, v[18:19], v[24:25] offset1:1
	; wave barrier
	buffer_load_ubyte v53, off, s[0:3], s32 offset:3
	v_and_b32_e32 v30, 0x3e0, v36
	v_and_b32_e32 v28, 24, v36
	v_or_b32_e32 v29, 16, v30
	v_min_u32_e32 v31, v27, v28
	v_min_u32_e32 v28, v27, v29
	v_add_u32_e32 v29, 16, v28
	v_sub_u32_e32 v32, v28, v30
	v_min_u32_e32 v29, v27, v29
	v_min_u32_e32 v33, v31, v32
	v_sub_u32_e32 v32, v29, v28
	v_sub_u32_e64 v32, v31, v32 clamp
	v_cmp_lt_u32_e64 s[22:23], v32, v33
	s_waitcnt vmcnt(0)
	v_and_b32_e32 v53, 1, v53
	v_cmp_eq_u32_e64 s[20:21], 1, v53
	buffer_store_byte v53, off, s[0:3], s32 offset:2
	s_and_saveexec_b64 s[26:27], s[22:23]
	s_cbranch_execz .LBB1649_98
; %bb.95:
	buffer_load_ubyte v53, off, s[0:3], s32 offset:2
	v_add_u32_e32 v54, v10, v30
	v_add3_u32 v55, v10, v28, v31
	s_mov_b64 s[28:29], 0
.LBB1649_96:                            ; =>This Inner Loop Header: Depth=1
	v_add_u32_e32 v64, v33, v32
	v_lshrrev_b32_e32 v64, 1, v64
	v_add_u32_e32 v65, v54, v64
	v_xad_u32 v66, v64, -1, v55
	ds_read_u8 v66, v66
	ds_read_u8 v65, v65
	v_add_u32_e32 v67, 1, v64
	s_waitcnt vmcnt(0) lgkmcnt(1)
	v_and_b32_e32 v66, v66, v53
	s_waitcnt lgkmcnt(0)
	v_and_b32_e32 v65, v65, v53
	v_and_b32_e32 v66, 1, v66
	;; [unrolled: 1-line block ×3, first 2 shown]
	v_cmp_gt_u16_e64 s[22:23], v65, v66
	v_cndmask_b32_e64 v33, v33, v64, s[22:23]
	v_cndmask_b32_e64 v32, v67, v32, s[22:23]
	v_cmp_ge_u32_e64 s[22:23], v32, v33
	s_or_b64 s[28:29], s[22:23], s[28:29]
	s_andn2_b64 exec, exec, s[28:29]
	s_cbranch_execnz .LBB1649_96
; %bb.97:
	s_or_b64 exec, exec, s[28:29]
.LBB1649_98:
	s_or_b64 exec, exec, s[26:27]
	v_cndmask_b32_e64 v33, 0, 1, s[20:21]
	buffer_store_byte v33, off, s[0:3], s32 offset:1
	buffer_load_ubyte v33, off, s[0:3], s32 offset:1
	v_add_u32_e32 v31, v28, v31
	v_add_u32_e32 v30, v32, v30
	v_sub_u32_e32 v31, v31, v32
	v_cmp_le_u32_e64 s[20:21], v30, v28
	v_cmp_le_u32_e64 s[22:23], v31, v29
	s_or_b64 s[20:21], s[20:21], s[22:23]
	s_waitcnt vmcnt(0)
	v_and_b32_e32 v32, 1, v33
	buffer_store_byte v32, off, s[0:3], s32
	s_and_saveexec_b64 s[44:45], s[20:21]
	s_cbranch_execz .LBB1649_104
; %bb.99:
	v_cmp_ge_u32_e64 s[20:21], v30, v28
	v_cmp_lt_u32_e64 s[22:23], v30, v28
                                        ; implicit-def: $vgpr12
	s_and_saveexec_b64 s[26:27], s[22:23]
; %bb.100:
	v_add_u32_e32 v4, v10, v30
	ds_read_u8 v12, v4
; %bb.101:
	s_or_b64 exec, exec, s[26:27]
	v_cmp_ge_u32_e64 s[22:23], v31, v29
	v_cmp_lt_u32_e64 s[26:27], v31, v29
                                        ; implicit-def: $vgpr13
	s_and_saveexec_b64 s[28:29], s[26:27]
; %bb.102:
	v_add_u32_e32 v4, v10, v31
	ds_read_u8 v13, v4
; %bb.103:
	s_or_b64 exec, exec, s[28:29]
	buffer_load_ubyte v24, off, s[0:3], s32
	v_cndmask_b32_e64 v4, 0, 1, s[22:23]
	s_or_b64 s[20:21], s[20:21], s[22:23]
	s_waitcnt vmcnt(0) lgkmcnt(0)
	v_and_b32_e32 v5, v24, v13
	v_and_b32_e32 v14, v24, v12
	;; [unrolled: 1-line block ×4, first 2 shown]
	v_cmp_le_u16_e64 s[26:27], v14, v5
	v_cndmask_b32_e64 v5, 0, 1, s[26:27]
	v_cndmask_b32_e64 v4, v5, v4, s[20:21]
	v_and_b32_e32 v4, 1, v4
	v_cmp_eq_u32_e64 s[20:21], 1, v4
	v_cndmask_b32_e64 v4, v31, v30, s[20:21]
	v_cndmask_b32_e64 v5, v29, v28, s[20:21]
	v_lshl_add_u32 v14, v4, 3, v9
	v_add_u32_e32 v15, 1, v4
	v_add_u32_e32 v4, -1, v5
	v_min_u32_e32 v4, v15, v4
	v_add_u32_e32 v16, v10, v4
	ds_read_b64 v[4:5], v14 offset:2048
	ds_read_u8 v14, v16
	v_cndmask_b32_e64 v37, v13, v12, s[20:21]
	v_cndmask_b32_e64 v16, v15, v31, s[20:21]
	v_cndmask_b32_e64 v15, v30, v15, s[20:21]
	v_cmp_lt_u32_e64 s[26:27], v15, v28
	s_waitcnt lgkmcnt(0)
	v_cndmask_b32_e64 v17, v14, v13, s[20:21]
	v_cndmask_b32_e64 v14, v12, v14, s[20:21]
	v_and_b32_e32 v12, v17, v24
	v_and_b32_e32 v13, v14, v24
	v_cmp_le_u16_sdwa s[20:21], v13, v12 src0_sel:BYTE_0 src1_sel:BYTE_0
	v_cmp_ge_u32_e64 s[22:23], v16, v29
	s_and_b64 s[20:21], s[26:27], s[20:21]
	s_or_b64 s[20:21], s[22:23], s[20:21]
	v_cndmask_b32_e64 v12, v16, v15, s[20:21]
	v_cndmask_b32_e64 v13, v29, v28, s[20:21]
	v_lshl_add_u32 v18, v12, 3, v9
	v_add_u32_e32 v19, 1, v12
	v_add_u32_e32 v12, -1, v13
	v_min_u32_e32 v12, v19, v12
	v_add_u32_e32 v20, v10, v12
	ds_read_b64 v[12:13], v18 offset:2048
	ds_read_u8 v18, v20
	v_cndmask_b32_e64 v38, v17, v14, s[20:21]
	v_cndmask_b32_e64 v16, v19, v16, s[20:21]
	v_cndmask_b32_e64 v19, v15, v19, s[20:21]
	v_cmp_lt_u32_e64 s[26:27], v19, v28
	s_waitcnt lgkmcnt(0)
	v_cndmask_b32_e64 v17, v18, v17, s[20:21]
	v_cndmask_b32_e64 v18, v14, v18, s[20:21]
	v_and_b32_e32 v14, v17, v24
	v_and_b32_e32 v15, v18, v24
	v_cmp_le_u16_sdwa s[20:21], v15, v14 src0_sel:BYTE_0 src1_sel:BYTE_0
	v_cmp_ge_u32_e64 s[22:23], v16, v29
	s_and_b64 s[20:21], s[26:27], s[20:21]
	s_or_b64 s[20:21], s[22:23], s[20:21]
	;; [unrolled: 22-line block ×4, first 2 shown]
	v_cndmask_b32_e64 v18, v22, v19, s[20:21]
	v_cndmask_b32_e64 v20, v29, v28, s[20:21]
	v_lshl_add_u32 v21, v18, 3, v9
	v_add_u32_e32 v18, 1, v18
	v_add_u32_e32 v20, -1, v20
	v_min_u32_e32 v20, v18, v20
	v_add_u32_e32 v23, v10, v20
	ds_read_b64 v[20:21], v21 offset:2048
	ds_read_u8 v23, v23
	v_cndmask_b32_e64 v25, v18, v22, s[20:21]
	v_cndmask_b32_e64 v18, v19, v18, s[20:21]
	v_cmp_lt_u32_e64 s[26:27], v18, v28
	v_cmp_ge_u32_e64 s[22:23], v25, v29
	s_waitcnt lgkmcnt(0)
	v_cndmask_b32_e64 v32, v23, v30, s[20:21]
	v_cndmask_b32_e64 v33, v31, v23, s[20:21]
	v_and_b32_e32 v19, v32, v24
	v_and_b32_e32 v22, v33, v24
	v_cmp_le_u16_sdwa s[28:29], v22, v19 src0_sel:BYTE_0 src1_sel:BYTE_0
	s_and_b64 s[26:27], s[26:27], s[28:29]
	s_or_b64 s[22:23], s[22:23], s[26:27]
	v_cndmask_b32_e64 v19, v25, v18, s[22:23]
	v_cndmask_b32_e64 v22, v29, v28, s[22:23]
	v_lshl_add_u32 v23, v19, 3, v9
	v_add_u32_e32 v19, 1, v19
	v_add_u32_e32 v22, -1, v22
	v_min_u32_e32 v22, v19, v22
	v_add_u32_e32 v48, v10, v22
	ds_read_b64 v[22:23], v23 offset:2048
	ds_read_u8 v48, v48
	v_cndmask_b32_e64 v25, v19, v25, s[22:23]
	v_cndmask_b32_e64 v49, v18, v19, s[22:23]
	v_cmp_lt_u32_e64 s[28:29], v49, v28
	v_cmp_ge_u32_e64 s[26:27], v25, v29
	s_waitcnt lgkmcnt(0)
	v_cndmask_b32_e64 v52, v48, v32, s[22:23]
	v_cndmask_b32_e64 v53, v33, v48, s[22:23]
	v_and_b32_e32 v18, v52, v24
	v_and_b32_e32 v19, v53, v24
	v_cmp_le_u16_sdwa s[40:41], v19, v18 src0_sel:BYTE_0 src1_sel:BYTE_0
	s_and_b64 s[28:29], s[28:29], s[40:41]
	s_or_b64 s[26:27], s[26:27], s[28:29]
	v_cndmask_b32_e64 v18, v25, v49, s[26:27]
	v_cndmask_b32_e64 v19, v29, v28, s[26:27]
	v_lshl_add_u32 v48, v18, 3, v9
	v_add_u32_e32 v50, 1, v18
	v_add_u32_e32 v18, -1, v19
	v_min_u32_e32 v18, v50, v18
	v_add_u32_e32 v54, v10, v18
	ds_read_b64 v[18:19], v48 offset:2048
	ds_read_u8 v48, v54
	v_cndmask_b32_e64 v25, v50, v25, s[26:27]
	v_cndmask_b32_e64 v49, v49, v50, s[26:27]
	v_cmp_ge_u32_e64 s[28:29], v25, v29
	v_cmp_lt_u32_e64 s[40:41], v49, v28
	s_waitcnt lgkmcnt(0)
	v_cndmask_b32_e64 v28, v48, v52, s[26:27]
	v_cndmask_b32_e64 v29, v53, v48, s[26:27]
	v_and_b32_e32 v48, v28, v24
	v_and_b32_e32 v24, v29, v24
	v_cmp_le_u16_sdwa s[46:47], v24, v48 src0_sel:BYTE_0 src1_sel:BYTE_0
	s_and_b64 s[40:41], s[40:41], s[46:47]
	s_or_b64 s[28:29], s[28:29], s[40:41]
	v_cndmask_b32_e64 v24, v25, v49, s[28:29]
	v_lshl_add_u32 v24, v24, 3, v9
	ds_read_b64 v[24:25], v24 offset:2048
	v_cndmask_b32_e64 v50, v30, v31, s[20:21]
	v_cndmask_b32_e64 v48, v32, v33, s[22:23]
	;; [unrolled: 1-line block ×4, first 2 shown]
.LBB1649_104:
	s_or_b64 exec, exec, s[44:45]
	v_add_u32_e32 v28, 0x800, v26
	; wave barrier
	ds_write2_b64 v28, v[4:5], v[12:13] offset1:1
	v_add_u32_e32 v28, 0x810, v26
	ds_write2_b64 v28, v[14:15], v[16:17] offset1:1
	v_add_u32_e32 v28, 0x820, v26
	s_mov_b32 s20, 0xc0c0004
	ds_write2_b64 v28, v[20:21], v[22:23] offset1:1
	v_perm_b32 v28, v50, v48, s20
	v_perm_b32 v29, v52, v49, s20
	v_lshl_or_b32 v29, v29, 16, v28
	v_perm_b32 v28, v37, v38, s20
	v_perm_b32 v31, v39, v51, s20
	v_lshl_or_b32 v28, v31, 16, v28
	v_add_u32_e32 v30, 0x830, v26
	ds_write_b64 v11, v[28:29]
	s_waitcnt lgkmcnt(4)
	ds_write2_b64 v30, v[18:19], v[24:25] offset1:1
	; wave barrier
	buffer_load_ubyte v53, off, s[0:3], s32 offset:3
	v_and_b32_e32 v30, 0x3c0, v36
	v_and_b32_e32 v28, 56, v36
	v_or_b32_e32 v29, 32, v30
	v_min_u32_e32 v31, v27, v28
	v_min_u32_e32 v28, v27, v29
	v_add_u32_e32 v29, 32, v28
	v_sub_u32_e32 v32, v28, v30
	v_min_u32_e32 v29, v27, v29
	v_min_u32_e32 v33, v31, v32
	v_sub_u32_e32 v32, v29, v28
	v_sub_u32_e64 v32, v31, v32 clamp
	v_cmp_lt_u32_e64 s[22:23], v32, v33
	s_waitcnt vmcnt(0)
	v_and_b32_e32 v53, 1, v53
	v_cmp_eq_u32_e64 s[20:21], 1, v53
	buffer_store_byte v53, off, s[0:3], s32 offset:2
	s_and_saveexec_b64 s[26:27], s[22:23]
	s_cbranch_execz .LBB1649_108
; %bb.105:
	buffer_load_ubyte v53, off, s[0:3], s32 offset:2
	v_add_u32_e32 v54, v10, v30
	v_add3_u32 v55, v10, v28, v31
	s_mov_b64 s[28:29], 0
.LBB1649_106:                           ; =>This Inner Loop Header: Depth=1
	v_add_u32_e32 v64, v33, v32
	v_lshrrev_b32_e32 v64, 1, v64
	v_add_u32_e32 v65, v54, v64
	v_xad_u32 v66, v64, -1, v55
	ds_read_u8 v66, v66
	ds_read_u8 v65, v65
	v_add_u32_e32 v67, 1, v64
	s_waitcnt vmcnt(0) lgkmcnt(1)
	v_and_b32_e32 v66, v66, v53
	s_waitcnt lgkmcnt(0)
	v_and_b32_e32 v65, v65, v53
	v_and_b32_e32 v66, 1, v66
	;; [unrolled: 1-line block ×3, first 2 shown]
	v_cmp_gt_u16_e64 s[22:23], v65, v66
	v_cndmask_b32_e64 v33, v33, v64, s[22:23]
	v_cndmask_b32_e64 v32, v67, v32, s[22:23]
	v_cmp_ge_u32_e64 s[22:23], v32, v33
	s_or_b64 s[28:29], s[22:23], s[28:29]
	s_andn2_b64 exec, exec, s[28:29]
	s_cbranch_execnz .LBB1649_106
; %bb.107:
	s_or_b64 exec, exec, s[28:29]
.LBB1649_108:
	s_or_b64 exec, exec, s[26:27]
	v_cndmask_b32_e64 v33, 0, 1, s[20:21]
	buffer_store_byte v33, off, s[0:3], s32 offset:1
	buffer_load_ubyte v33, off, s[0:3], s32 offset:1
	v_add_u32_e32 v31, v28, v31
	v_add_u32_e32 v30, v32, v30
	v_sub_u32_e32 v31, v31, v32
	v_cmp_le_u32_e64 s[20:21], v30, v28
	v_cmp_le_u32_e64 s[22:23], v31, v29
	s_or_b64 s[20:21], s[20:21], s[22:23]
	s_waitcnt vmcnt(0)
	v_and_b32_e32 v32, 1, v33
	buffer_store_byte v32, off, s[0:3], s32
	s_and_saveexec_b64 s[44:45], s[20:21]
	s_cbranch_execz .LBB1649_114
; %bb.109:
	v_cmp_ge_u32_e64 s[20:21], v30, v28
	v_cmp_lt_u32_e64 s[22:23], v30, v28
                                        ; implicit-def: $vgpr12
	s_and_saveexec_b64 s[26:27], s[22:23]
; %bb.110:
	v_add_u32_e32 v4, v10, v30
	ds_read_u8 v12, v4
; %bb.111:
	s_or_b64 exec, exec, s[26:27]
	v_cmp_ge_u32_e64 s[22:23], v31, v29
	v_cmp_lt_u32_e64 s[26:27], v31, v29
                                        ; implicit-def: $vgpr13
	s_and_saveexec_b64 s[28:29], s[26:27]
; %bb.112:
	v_add_u32_e32 v4, v10, v31
	ds_read_u8 v13, v4
; %bb.113:
	s_or_b64 exec, exec, s[28:29]
	buffer_load_ubyte v24, off, s[0:3], s32
	v_cndmask_b32_e64 v4, 0, 1, s[22:23]
	s_or_b64 s[20:21], s[20:21], s[22:23]
	s_waitcnt vmcnt(0) lgkmcnt(0)
	v_and_b32_e32 v5, v24, v13
	v_and_b32_e32 v14, v24, v12
	;; [unrolled: 1-line block ×4, first 2 shown]
	v_cmp_le_u16_e64 s[26:27], v14, v5
	v_cndmask_b32_e64 v5, 0, 1, s[26:27]
	v_cndmask_b32_e64 v4, v5, v4, s[20:21]
	v_and_b32_e32 v4, 1, v4
	v_cmp_eq_u32_e64 s[20:21], 1, v4
	v_cndmask_b32_e64 v4, v31, v30, s[20:21]
	v_cndmask_b32_e64 v5, v29, v28, s[20:21]
	v_lshl_add_u32 v14, v4, 3, v9
	v_add_u32_e32 v15, 1, v4
	v_add_u32_e32 v4, -1, v5
	v_min_u32_e32 v4, v15, v4
	v_add_u32_e32 v16, v10, v4
	ds_read_b64 v[4:5], v14 offset:2048
	ds_read_u8 v14, v16
	v_cndmask_b32_e64 v37, v13, v12, s[20:21]
	v_cndmask_b32_e64 v16, v15, v31, s[20:21]
	v_cndmask_b32_e64 v15, v30, v15, s[20:21]
	v_cmp_lt_u32_e64 s[26:27], v15, v28
	s_waitcnt lgkmcnt(0)
	v_cndmask_b32_e64 v17, v14, v13, s[20:21]
	v_cndmask_b32_e64 v14, v12, v14, s[20:21]
	v_and_b32_e32 v12, v17, v24
	v_and_b32_e32 v13, v14, v24
	v_cmp_le_u16_sdwa s[20:21], v13, v12 src0_sel:BYTE_0 src1_sel:BYTE_0
	v_cmp_ge_u32_e64 s[22:23], v16, v29
	s_and_b64 s[20:21], s[26:27], s[20:21]
	s_or_b64 s[20:21], s[22:23], s[20:21]
	v_cndmask_b32_e64 v12, v16, v15, s[20:21]
	v_cndmask_b32_e64 v13, v29, v28, s[20:21]
	v_lshl_add_u32 v18, v12, 3, v9
	v_add_u32_e32 v19, 1, v12
	v_add_u32_e32 v12, -1, v13
	v_min_u32_e32 v12, v19, v12
	v_add_u32_e32 v20, v10, v12
	ds_read_b64 v[12:13], v18 offset:2048
	ds_read_u8 v18, v20
	v_cndmask_b32_e64 v38, v17, v14, s[20:21]
	v_cndmask_b32_e64 v16, v19, v16, s[20:21]
	v_cndmask_b32_e64 v19, v15, v19, s[20:21]
	v_cmp_lt_u32_e64 s[26:27], v19, v28
	s_waitcnt lgkmcnt(0)
	v_cndmask_b32_e64 v17, v18, v17, s[20:21]
	v_cndmask_b32_e64 v18, v14, v18, s[20:21]
	v_and_b32_e32 v14, v17, v24
	v_and_b32_e32 v15, v18, v24
	v_cmp_le_u16_sdwa s[20:21], v15, v14 src0_sel:BYTE_0 src1_sel:BYTE_0
	v_cmp_ge_u32_e64 s[22:23], v16, v29
	s_and_b64 s[20:21], s[26:27], s[20:21]
	s_or_b64 s[20:21], s[22:23], s[20:21]
	;; [unrolled: 22-line block ×4, first 2 shown]
	v_cndmask_b32_e64 v18, v22, v19, s[20:21]
	v_cndmask_b32_e64 v20, v29, v28, s[20:21]
	v_lshl_add_u32 v21, v18, 3, v9
	v_add_u32_e32 v18, 1, v18
	v_add_u32_e32 v20, -1, v20
	v_min_u32_e32 v20, v18, v20
	v_add_u32_e32 v23, v10, v20
	ds_read_b64 v[20:21], v21 offset:2048
	ds_read_u8 v23, v23
	v_cndmask_b32_e64 v25, v18, v22, s[20:21]
	v_cndmask_b32_e64 v18, v19, v18, s[20:21]
	v_cmp_lt_u32_e64 s[26:27], v18, v28
	v_cmp_ge_u32_e64 s[22:23], v25, v29
	s_waitcnt lgkmcnt(0)
	v_cndmask_b32_e64 v32, v23, v30, s[20:21]
	v_cndmask_b32_e64 v33, v31, v23, s[20:21]
	v_and_b32_e32 v19, v32, v24
	v_and_b32_e32 v22, v33, v24
	v_cmp_le_u16_sdwa s[28:29], v22, v19 src0_sel:BYTE_0 src1_sel:BYTE_0
	s_and_b64 s[26:27], s[26:27], s[28:29]
	s_or_b64 s[22:23], s[22:23], s[26:27]
	v_cndmask_b32_e64 v19, v25, v18, s[22:23]
	v_cndmask_b32_e64 v22, v29, v28, s[22:23]
	v_lshl_add_u32 v23, v19, 3, v9
	v_add_u32_e32 v19, 1, v19
	v_add_u32_e32 v22, -1, v22
	v_min_u32_e32 v22, v19, v22
	v_add_u32_e32 v48, v10, v22
	ds_read_b64 v[22:23], v23 offset:2048
	ds_read_u8 v48, v48
	v_cndmask_b32_e64 v25, v19, v25, s[22:23]
	v_cndmask_b32_e64 v49, v18, v19, s[22:23]
	v_cmp_lt_u32_e64 s[28:29], v49, v28
	v_cmp_ge_u32_e64 s[26:27], v25, v29
	s_waitcnt lgkmcnt(0)
	v_cndmask_b32_e64 v52, v48, v32, s[22:23]
	v_cndmask_b32_e64 v53, v33, v48, s[22:23]
	v_and_b32_e32 v18, v52, v24
	v_and_b32_e32 v19, v53, v24
	v_cmp_le_u16_sdwa s[40:41], v19, v18 src0_sel:BYTE_0 src1_sel:BYTE_0
	s_and_b64 s[28:29], s[28:29], s[40:41]
	s_or_b64 s[26:27], s[26:27], s[28:29]
	v_cndmask_b32_e64 v18, v25, v49, s[26:27]
	v_cndmask_b32_e64 v19, v29, v28, s[26:27]
	v_lshl_add_u32 v48, v18, 3, v9
	v_add_u32_e32 v50, 1, v18
	v_add_u32_e32 v18, -1, v19
	v_min_u32_e32 v18, v50, v18
	v_add_u32_e32 v54, v10, v18
	ds_read_b64 v[18:19], v48 offset:2048
	ds_read_u8 v48, v54
	v_cndmask_b32_e64 v25, v50, v25, s[26:27]
	v_cndmask_b32_e64 v49, v49, v50, s[26:27]
	v_cmp_ge_u32_e64 s[28:29], v25, v29
	v_cmp_lt_u32_e64 s[40:41], v49, v28
	s_waitcnt lgkmcnt(0)
	v_cndmask_b32_e64 v28, v48, v52, s[26:27]
	v_cndmask_b32_e64 v29, v53, v48, s[26:27]
	v_and_b32_e32 v48, v28, v24
	v_and_b32_e32 v24, v29, v24
	v_cmp_le_u16_sdwa s[46:47], v24, v48 src0_sel:BYTE_0 src1_sel:BYTE_0
	s_and_b64 s[40:41], s[40:41], s[46:47]
	s_or_b64 s[28:29], s[28:29], s[40:41]
	v_cndmask_b32_e64 v24, v25, v49, s[28:29]
	v_lshl_add_u32 v24, v24, 3, v9
	ds_read_b64 v[24:25], v24 offset:2048
	v_cndmask_b32_e64 v50, v30, v31, s[20:21]
	v_cndmask_b32_e64 v48, v32, v33, s[22:23]
	;; [unrolled: 1-line block ×4, first 2 shown]
.LBB1649_114:
	s_or_b64 exec, exec, s[44:45]
	v_add_u32_e32 v28, 0x800, v26
	; wave barrier
	ds_write2_b64 v28, v[4:5], v[12:13] offset1:1
	v_add_u32_e32 v28, 0x810, v26
	ds_write2_b64 v28, v[14:15], v[16:17] offset1:1
	v_add_u32_e32 v28, 0x820, v26
	s_mov_b32 s20, 0xc0c0004
	ds_write2_b64 v28, v[20:21], v[22:23] offset1:1
	v_perm_b32 v28, v50, v48, s20
	v_perm_b32 v29, v52, v49, s20
	v_lshl_or_b32 v29, v29, 16, v28
	v_perm_b32 v28, v37, v38, s20
	v_perm_b32 v30, v39, v51, s20
	v_lshl_or_b32 v28, v30, 16, v28
	v_add_u32_e32 v26, 0x830, v26
	ds_write_b64 v11, v[28:29]
	s_waitcnt lgkmcnt(4)
	ds_write2_b64 v26, v[18:19], v[24:25] offset1:1
	; wave barrier
	buffer_load_ubyte v31, off, s[0:3], s32 offset:3
	v_and_b32_e32 v28, 0x380, v36
	v_or_b32_e32 v11, 64, v28
	v_min_u32_e32 v11, v27, v11
	v_add_u32_e32 v26, 64, v11
	v_min_u32_e32 v29, v27, v34
	v_sub_u32_e32 v30, v11, v28
	v_min_u32_e32 v26, v27, v26
	v_min_u32_e32 v27, v29, v30
	v_sub_u32_e32 v30, v26, v11
	v_sub_u32_e64 v30, v29, v30 clamp
	v_cmp_lt_u32_e64 s[22:23], v30, v27
	s_waitcnt vmcnt(0)
	v_and_b32_e32 v31, 1, v31
	v_cmp_eq_u32_e64 s[20:21], 1, v31
	buffer_store_byte v31, off, s[0:3], s32 offset:2
	s_and_saveexec_b64 s[26:27], s[22:23]
	s_cbranch_execz .LBB1649_118
; %bb.115:
	buffer_load_ubyte v31, off, s[0:3], s32 offset:2
	v_add_u32_e32 v32, v10, v28
	v_add3_u32 v33, v10, v11, v29
	s_mov_b64 s[28:29], 0
.LBB1649_116:                           ; =>This Inner Loop Header: Depth=1
	v_add_u32_e32 v36, v27, v30
	v_lshrrev_b32_e32 v36, 1, v36
	v_add_u32_e32 v53, v32, v36
	v_xad_u32 v54, v36, -1, v33
	ds_read_u8 v54, v54
	ds_read_u8 v53, v53
	v_add_u32_e32 v55, 1, v36
	s_waitcnt vmcnt(0) lgkmcnt(1)
	v_and_b32_e32 v54, v54, v31
	s_waitcnt lgkmcnt(0)
	v_and_b32_e32 v53, v53, v31
	v_and_b32_e32 v54, 1, v54
	;; [unrolled: 1-line block ×3, first 2 shown]
	v_cmp_gt_u16_e64 s[22:23], v53, v54
	v_cndmask_b32_e64 v27, v27, v36, s[22:23]
	v_cndmask_b32_e64 v30, v55, v30, s[22:23]
	v_cmp_ge_u32_e64 s[22:23], v30, v27
	s_or_b64 s[28:29], s[22:23], s[28:29]
	s_andn2_b64 exec, exec, s[28:29]
	s_cbranch_execnz .LBB1649_116
; %bb.117:
	s_or_b64 exec, exec, s[28:29]
.LBB1649_118:
	s_or_b64 exec, exec, s[26:27]
	v_cndmask_b32_e64 v27, 0, 1, s[20:21]
	buffer_store_byte v27, off, s[0:3], s32 offset:1
	buffer_load_ubyte v31, off, s[0:3], s32 offset:1
	v_add_u32_e32 v27, v30, v28
	v_add_u32_e32 v28, v11, v29
	v_sub_u32_e32 v28, v28, v30
	v_cmp_le_u32_e64 s[20:21], v27, v11
	v_cmp_le_u32_e64 s[22:23], v28, v26
	s_or_b64 s[20:21], s[20:21], s[22:23]
	s_waitcnt vmcnt(0)
	v_and_b32_e32 v29, 1, v31
	buffer_store_byte v29, off, s[0:3], s32
	s_and_saveexec_b64 s[44:45], s[20:21]
	s_cbranch_execz .LBB1649_124
; %bb.119:
	v_cmp_ge_u32_e64 s[20:21], v27, v11
	v_cmp_lt_u32_e64 s[22:23], v27, v11
                                        ; implicit-def: $vgpr12
	s_and_saveexec_b64 s[26:27], s[22:23]
; %bb.120:
	v_add_u32_e32 v4, v10, v27
	ds_read_u8 v12, v4
; %bb.121:
	s_or_b64 exec, exec, s[26:27]
	v_cmp_ge_u32_e64 s[22:23], v28, v26
	v_cmp_lt_u32_e64 s[26:27], v28, v26
                                        ; implicit-def: $vgpr13
	s_and_saveexec_b64 s[28:29], s[26:27]
; %bb.122:
	v_add_u32_e32 v4, v10, v28
	ds_read_u8 v13, v4
; %bb.123:
	s_or_b64 exec, exec, s[28:29]
	buffer_load_ubyte v24, off, s[0:3], s32
	v_cndmask_b32_e64 v4, 0, 1, s[22:23]
	s_or_b64 s[20:21], s[20:21], s[22:23]
	s_waitcnt vmcnt(0) lgkmcnt(0)
	v_and_b32_e32 v5, v24, v13
	v_and_b32_e32 v14, v24, v12
	;; [unrolled: 1-line block ×4, first 2 shown]
	v_cmp_le_u16_e64 s[26:27], v14, v5
	v_cndmask_b32_e64 v5, 0, 1, s[26:27]
	v_cndmask_b32_e64 v4, v5, v4, s[20:21]
	v_and_b32_e32 v4, 1, v4
	v_cmp_eq_u32_e64 s[20:21], 1, v4
	v_cndmask_b32_e64 v4, v28, v27, s[20:21]
	v_cndmask_b32_e64 v5, v26, v11, s[20:21]
	v_lshl_add_u32 v14, v4, 3, v9
	v_add_u32_e32 v15, 1, v4
	v_add_u32_e32 v4, -1, v5
	v_min_u32_e32 v4, v15, v4
	v_add_u32_e32 v16, v10, v4
	ds_read_b64 v[4:5], v14 offset:2048
	ds_read_u8 v14, v16
	v_cndmask_b32_e64 v37, v13, v12, s[20:21]
	v_cndmask_b32_e64 v16, v15, v28, s[20:21]
	v_cndmask_b32_e64 v15, v27, v15, s[20:21]
	v_cmp_lt_u32_e64 s[26:27], v15, v11
	s_waitcnt lgkmcnt(0)
	v_cndmask_b32_e64 v17, v14, v13, s[20:21]
	v_cndmask_b32_e64 v14, v12, v14, s[20:21]
	v_and_b32_e32 v12, v17, v24
	v_and_b32_e32 v13, v14, v24
	v_cmp_le_u16_sdwa s[20:21], v13, v12 src0_sel:BYTE_0 src1_sel:BYTE_0
	v_cmp_ge_u32_e64 s[22:23], v16, v26
	s_and_b64 s[20:21], s[26:27], s[20:21]
	s_or_b64 s[20:21], s[22:23], s[20:21]
	v_cndmask_b32_e64 v12, v16, v15, s[20:21]
	v_cndmask_b32_e64 v13, v26, v11, s[20:21]
	v_lshl_add_u32 v18, v12, 3, v9
	v_add_u32_e32 v19, 1, v12
	v_add_u32_e32 v12, -1, v13
	v_min_u32_e32 v12, v19, v12
	v_add_u32_e32 v20, v10, v12
	ds_read_b64 v[12:13], v18 offset:2048
	ds_read_u8 v18, v20
	v_cndmask_b32_e64 v38, v17, v14, s[20:21]
	v_cndmask_b32_e64 v16, v19, v16, s[20:21]
	v_cndmask_b32_e64 v19, v15, v19, s[20:21]
	v_cmp_lt_u32_e64 s[26:27], v19, v11
	s_waitcnt lgkmcnt(0)
	v_cndmask_b32_e64 v17, v18, v17, s[20:21]
	v_cndmask_b32_e64 v18, v14, v18, s[20:21]
	v_and_b32_e32 v14, v17, v24
	v_and_b32_e32 v15, v18, v24
	v_cmp_le_u16_sdwa s[20:21], v15, v14 src0_sel:BYTE_0 src1_sel:BYTE_0
	v_cmp_ge_u32_e64 s[22:23], v16, v26
	s_and_b64 s[20:21], s[26:27], s[20:21]
	s_or_b64 s[20:21], s[22:23], s[20:21]
	;; [unrolled: 22-line block ×4, first 2 shown]
	v_cndmask_b32_e64 v18, v22, v19, s[20:21]
	v_cndmask_b32_e64 v20, v26, v11, s[20:21]
	v_lshl_add_u32 v21, v18, 3, v9
	v_add_u32_e32 v18, 1, v18
	v_add_u32_e32 v20, -1, v20
	v_min_u32_e32 v20, v18, v20
	v_add_u32_e32 v23, v10, v20
	ds_read_b64 v[20:21], v21 offset:2048
	ds_read_u8 v23, v23
	v_cndmask_b32_e64 v25, v18, v22, s[20:21]
	v_cndmask_b32_e64 v18, v19, v18, s[20:21]
	v_cmp_lt_u32_e64 s[26:27], v18, v11
	v_cmp_ge_u32_e64 s[22:23], v25, v26
	s_waitcnt lgkmcnt(0)
	v_cndmask_b32_e64 v29, v23, v27, s[20:21]
	v_cndmask_b32_e64 v30, v28, v23, s[20:21]
	v_and_b32_e32 v19, v29, v24
	v_and_b32_e32 v22, v30, v24
	v_cmp_le_u16_sdwa s[28:29], v22, v19 src0_sel:BYTE_0 src1_sel:BYTE_0
	s_and_b64 s[26:27], s[26:27], s[28:29]
	s_or_b64 s[22:23], s[22:23], s[26:27]
	v_cndmask_b32_e64 v19, v25, v18, s[22:23]
	v_cndmask_b32_e64 v22, v26, v11, s[22:23]
	v_lshl_add_u32 v23, v19, 3, v9
	v_add_u32_e32 v19, 1, v19
	v_add_u32_e32 v22, -1, v22
	v_min_u32_e32 v22, v19, v22
	v_add_u32_e32 v31, v10, v22
	ds_read_b64 v[22:23], v23 offset:2048
	ds_read_u8 v31, v31
	v_cndmask_b32_e64 v25, v19, v25, s[22:23]
	v_cndmask_b32_e64 v32, v18, v19, s[22:23]
	v_cmp_lt_u32_e64 s[28:29], v32, v11
	v_cmp_ge_u32_e64 s[26:27], v25, v26
	s_waitcnt lgkmcnt(0)
	v_cndmask_b32_e64 v33, v31, v29, s[22:23]
	v_cndmask_b32_e64 v31, v30, v31, s[22:23]
	v_and_b32_e32 v18, v33, v24
	v_and_b32_e32 v19, v31, v24
	v_cmp_le_u16_sdwa s[40:41], v19, v18 src0_sel:BYTE_0 src1_sel:BYTE_0
	s_and_b64 s[28:29], s[28:29], s[40:41]
	s_or_b64 s[26:27], s[26:27], s[28:29]
	;; [unrolled: 21-line block ×3, first 2 shown]
	v_cndmask_b32_e64 v24, v25, v32, s[28:29]
	v_lshl_add_u32 v9, v24, 3, v9
	ds_read_b64 v[24:25], v9 offset:2048
	v_cndmask_b32_e64 v50, v27, v28, s[20:21]
	v_cndmask_b32_e64 v48, v29, v30, s[22:23]
	;; [unrolled: 1-line block ×4, first 2 shown]
.LBB1649_124:
	s_or_b64 exec, exec, s[44:45]
	; wave barrier
	s_waitcnt vmcnt(0) lgkmcnt(0)
	s_barrier
                                        ; implicit-def: $vgpr36
                                        ; implicit-def: $vgpr31
                                        ; implicit-def: $vgpr9
                                        ; implicit-def: $vgpr26
.LBB1649_125:
	s_andn2_saveexec_b64 s[44:45], s[42:43]
	s_cbranch_execz .LBB1649_225
; %bb.126:
	s_load_dwordx2 s[20:21], s[8:9], 0x0
	v_mov_b32_e32 v10, 0
	s_waitcnt lgkmcnt(0)
	s_cmp_lt_u32 s13, s21
	s_cselect_b32 s13, 14, 20
	s_add_u32 s22, s8, s13
	s_addc_u32 s23, s9, 0
	s_cmp_lt_u32 s12, s20
	s_cselect_b32 s12, 12, 18
	s_add_u32 s8, s8, s12
	s_addc_u32 s9, s9, 0
	global_load_ushort v11, v10, s[22:23]
	global_load_ushort v27, v10, s[8:9]
	v_and_b32_e32 v10, 0x3ff, v31
	s_movk_i32 s8, 0x800
	s_waitcnt vmcnt(0)
	v_mad_u32_u24 v9, v26, v11, v9
	v_mul_lo_u32 v9, v9, v27
	v_add_lshl_u32 v53, v9, v10, 3
	v_cmp_gt_u32_e64 s[8:9], s8, v53
	s_and_saveexec_b64 s[12:13], s[8:9]
	s_cbranch_execz .LBB1649_184
; %bb.127:
	v_mov_b32_e32 v27, v13
	v_cmp_gt_u16_sdwa s[20:21], v37, v38 src0_sel:BYTE_0 src1_sel:BYTE_0
	v_mov_b32_e32 v26, v12
	s_and_saveexec_b64 s[8:9], s[20:21]
; %bb.128:
	v_mov_b32_e32 v27, v5
	v_mov_b32_e32 v26, v4
	v_mov_b32_e32 v4, v12
	v_mov_b32_e32 v37, 0
	v_mov_b32_e32 v38, 1
	v_mov_b32_e32 v5, v13
; %bb.129:
	s_or_b64 exec, exec, s[8:9]
	v_mov_b32_e32 v29, v17
	v_cmp_gt_u16_sdwa s[20:21], v39, v51 src0_sel:BYTE_0 src1_sel:BYTE_0
	v_mov_b32_e32 v28, v16
	s_and_saveexec_b64 s[8:9], s[20:21]
; %bb.130:
	v_mov_b32_e32 v29, v15
	v_mov_b32_e32 v28, v14
	v_mov_b32_e32 v14, v16
	v_mov_b32_e32 v39, 0
	v_mov_b32_e32 v51, 1
	v_mov_b32_e32 v15, v17
; %bb.131:
	s_or_b64 exec, exec, s[8:9]
	;; [unrolled: 13-line block ×4, first 2 shown]
	v_mov_b32_e32 v23, v15
	v_cmp_gt_u16_sdwa s[8:9], v38, v39 src0_sel:BYTE_0 src1_sel:BYTE_0
	v_mov_b32_e32 v22, v14
	s_and_saveexec_b64 s[20:21], s[8:9]
	s_xor_b64 s[8:9], exec, s[20:21]
; %bb.136:
	v_mov_b32_e32 v22, v26
	v_mov_b32_e32 v23, v27
	v_mov_b32_e32 v27, v15
	v_mov_b32_e32 v38, 0
	v_mov_b32_e32 v39, 1
	v_mov_b32_e32 v26, v14
; %bb.137:
	s_or_b64 exec, exec, s[8:9]
	v_mov_b32_e32 v25, v21
	v_cmp_gt_u16_sdwa s[20:21], v51, v50 src0_sel:BYTE_0 src1_sel:BYTE_0
	v_mov_b32_e32 v24, v20
	s_and_saveexec_b64 s[8:9], s[20:21]
; %bb.138:
	v_mov_b32_e32 v24, v28
	v_mov_b32_e32 v25, v29
	v_mov_b32_e32 v29, v21
	v_mov_b32_e32 v50, 1
	v_mov_b32_e32 v51, 0
	v_mov_b32_e32 v28, v20
; %bb.139:
	s_or_b64 exec, exec, s[8:9]
	v_mov_b32_e32 v13, v18
	v_cmp_gt_u16_sdwa s[20:21], v48, v52 src0_sel:BYTE_0 src1_sel:BYTE_0
	v_mov_b32_e32 v14, v19
	s_and_saveexec_b64 s[8:9], s[20:21]
	;; [unrolled: 13-line block ×23, first 2 shown]
; %bb.182:
	v_mov_b32_e32 v23, v19
	v_mov_b32_e32 v22, v18
	;; [unrolled: 1-line block ×6, first 2 shown]
; %bb.183:
	s_or_b64 exec, exec, s[8:9]
.LBB1649_184:
	s_or_b64 exec, exec, s[12:13]
	v_and_b32_e32 v10, 0xfffffe00, v53
	v_lshlrev_b32_e32 v9, 3, v10
	v_lshl_add_u32 v27, v36, 3, v9
	v_add_u32_e32 v28, 0x800, v27
	s_movk_i32 s8, 0x800
	ds_write2_b64 v28, v[4:5], v[12:13] offset1:1
	v_add_u32_e32 v28, 0x810, v27
	v_sub_u32_e64 v11, s8, v10 clamp
	ds_write2_b64 v28, v[14:15], v[16:17] offset1:1
	v_add_u32_e32 v28, 0x820, v27
	s_mov_b32 s8, 0xc0c0004
	ds_write2_b64 v28, v[20:21], v[22:23] offset1:1
	v_perm_b32 v28, v50, v48, s8
	v_perm_b32 v29, v52, v49, s8
	v_lshl_or_b32 v29, v29, 16, v28
	v_perm_b32 v28, v37, v38, s8
	v_perm_b32 v31, v39, v51, s8
	v_add_u32_e32 v26, v10, v36
	v_lshl_or_b32 v28, v31, 16, v28
	v_add_u32_e32 v30, 0x830, v27
	ds_write_b64 v26, v[28:29]
	ds_write2_b64 v30, v[18:19], v[24:25] offset1:1
	v_or_b32_e32 v28, 8, v36
	v_min_u32_e32 v28, v11, v28
	v_add_u32_e32 v29, 8, v28
	v_and_b32_e32 v30, 0x3f0, v36
	v_min_u32_e32 v29, v11, v29
	v_and_b32_e32 v31, 8, v36
	v_min_u32_e32 v31, v11, v31
	v_sub_u32_e32 v33, v28, v30
	v_sub_u32_e32 v32, v29, v28
	v_sub_u32_e64 v32, v31, v32 clamp
	v_min_u32_e32 v33, v31, v33
	v_cmp_lt_u32_e64 s[8:9], v32, v33
	; wave barrier
	s_and_saveexec_b64 s[12:13], s[8:9]
	s_cbranch_execz .LBB1649_188
; %bb.185:
	v_add_u32_e32 v53, v10, v30
	v_add3_u32 v54, v10, v28, v31
	s_mov_b64 s[20:21], 0
.LBB1649_186:                           ; =>This Inner Loop Header: Depth=1
	v_add_u32_e32 v55, v33, v32
	v_lshrrev_b32_e32 v55, 1, v55
	v_add_u32_e32 v64, v53, v55
	v_xad_u32 v65, v55, -1, v54
	ds_read_u8 v64, v64
	ds_read_u8 v65, v65
	v_add_u32_e32 v66, 1, v55
	s_waitcnt lgkmcnt(0)
	v_cmp_gt_u16_e64 s[8:9], v64, v65
	v_cndmask_b32_e64 v33, v33, v55, s[8:9]
	v_cndmask_b32_e64 v32, v66, v32, s[8:9]
	v_cmp_ge_u32_e64 s[8:9], v32, v33
	s_or_b64 s[20:21], s[8:9], s[20:21]
	s_andn2_b64 exec, exec, s[20:21]
	s_cbranch_execnz .LBB1649_186
; %bb.187:
	s_or_b64 exec, exec, s[20:21]
.LBB1649_188:
	s_or_b64 exec, exec, s[12:13]
	v_add_u32_e32 v31, v28, v31
	v_add_u32_e32 v30, v32, v30
	v_sub_u32_e32 v31, v31, v32
	v_cmp_le_u32_e64 s[8:9], v30, v28
	v_cmp_le_u32_e64 s[12:13], v31, v29
	s_or_b64 s[8:9], s[8:9], s[12:13]
	s_and_saveexec_b64 s[46:47], s[8:9]
	s_cbranch_execz .LBB1649_194
; %bb.189:
	v_cmp_lt_u32_e64 s[8:9], v30, v28
                                        ; implicit-def: $vgpr24
	s_and_saveexec_b64 s[12:13], s[8:9]
; %bb.190:
	v_add_u32_e32 v4, v10, v30
	ds_read_u8 v24, v4
; %bb.191:
	s_or_b64 exec, exec, s[12:13]
	v_cmp_ge_u32_e64 s[20:21], v31, v29
	v_cmp_lt_u32_e64 s[12:13], v31, v29
                                        ; implicit-def: $vgpr25
	s_and_saveexec_b64 s[22:23], s[12:13]
; %bb.192:
	v_add_u32_e32 v4, v10, v31
	ds_read_u8 v25, v4
; %bb.193:
	s_or_b64 exec, exec, s[22:23]
	s_waitcnt lgkmcnt(0)
	v_cmp_le_u16_sdwa s[12:13], v24, v25 src0_sel:BYTE_0 src1_sel:BYTE_0
	s_and_b64 s[8:9], s[8:9], s[12:13]
	s_or_b64 s[8:9], s[20:21], s[8:9]
	v_cndmask_b32_e64 v4, v31, v30, s[8:9]
	v_cndmask_b32_e64 v5, v29, v28, s[8:9]
	v_add_u32_e32 v12, 1, v4
	v_add_u32_e32 v5, -1, v5
	v_min_u32_e32 v5, v12, v5
	v_add_u32_e32 v5, v10, v5
	ds_read_u8 v5, v5
	v_cndmask_b32_e64 v13, v12, v31, s[8:9]
	v_cmp_ge_u32_e64 s[12:13], v13, v29
	v_lshl_add_u32 v4, v4, 3, v9
	s_waitcnt lgkmcnt(0)
	v_cndmask_b32_e64 v31, v5, v25, s[8:9]
	v_cndmask_b32_e64 v32, v24, v5, s[8:9]
	;; [unrolled: 1-line block ×3, first 2 shown]
	v_cmp_lt_u32_e64 s[20:21], v5, v28
	v_cmp_le_u16_sdwa s[22:23], v32, v31 src0_sel:BYTE_0 src1_sel:BYTE_0
	s_and_b64 s[20:21], s[20:21], s[22:23]
	s_or_b64 s[20:21], s[12:13], s[20:21]
	v_cndmask_b32_e64 v12, v13, v5, s[20:21]
	v_cndmask_b32_e64 v14, v29, v28, s[20:21]
	v_add_u32_e32 v15, 1, v12
	v_add_u32_e32 v14, -1, v14
	v_min_u32_e32 v14, v15, v14
	v_add_u32_e32 v14, v10, v14
	ds_read_u8 v14, v14
	v_cndmask_b32_e64 v5, v5, v15, s[20:21]
	v_cndmask_b32_e64 v13, v15, v13, s[20:21]
	v_cmp_lt_u32_e64 s[22:23], v5, v28
	v_cmp_ge_u32_e64 s[12:13], v13, v29
	s_waitcnt lgkmcnt(0)
	v_cndmask_b32_e64 v30, v14, v31, s[20:21]
	v_cndmask_b32_e64 v33, v32, v14, s[20:21]
	v_cmp_le_u16_sdwa s[26:27], v33, v30 src0_sel:BYTE_0 src1_sel:BYTE_0
	s_and_b64 s[22:23], s[22:23], s[26:27]
	s_or_b64 s[22:23], s[12:13], s[22:23]
	v_cndmask_b32_e64 v14, v13, v5, s[22:23]
	v_cndmask_b32_e64 v15, v29, v28, s[22:23]
	v_add_u32_e32 v16, 1, v14
	v_add_u32_e32 v15, -1, v15
	v_min_u32_e32 v15, v16, v15
	v_add_u32_e32 v15, v10, v15
	ds_read_u8 v15, v15
	v_lshl_add_u32 v12, v12, 3, v9
	v_lshl_add_u32 v14, v14, 3, v9
	v_cndmask_b32_e64 v39, v30, v33, s[22:23]
	s_waitcnt lgkmcnt(0)
	v_cndmask_b32_e64 v48, v15, v30, s[22:23]
	v_cndmask_b32_e64 v49, v33, v15, s[22:23]
	;; [unrolled: 1-line block ×4, first 2 shown]
	v_cmp_lt_u32_e64 s[26:27], v16, v28
	v_cmp_le_u16_sdwa s[28:29], v49, v48 src0_sel:BYTE_0 src1_sel:BYTE_0
	v_cmp_ge_u32_e64 s[12:13], v15, v29
	s_and_b64 s[26:27], s[26:27], s[28:29]
	s_or_b64 s[12:13], s[12:13], s[26:27]
	v_cndmask_b32_e64 v17, v15, v16, s[12:13]
	v_cndmask_b32_e64 v5, v29, v28, s[12:13]
	v_add_u32_e32 v18, 1, v17
	v_add_u32_e32 v5, -1, v5
	v_min_u32_e32 v5, v18, v5
	v_add_u32_e32 v5, v10, v5
	ds_read_u8 v19, v5
	ds_read_b64 v[4:5], v4 offset:2048
	ds_read_b64 v[12:13], v12 offset:2048
	v_cndmask_b32_e64 v51, v48, v49, s[12:13]
	s_waitcnt lgkmcnt(2)
	v_cndmask_b32_e64 v50, v19, v48, s[12:13]
	v_cndmask_b32_e64 v52, v49, v19, s[12:13]
	v_cndmask_b32_e64 v19, v18, v15, s[12:13]
	v_cndmask_b32_e64 v18, v16, v18, s[12:13]
	v_cmp_lt_u32_e64 s[28:29], v18, v28
	v_cmp_le_u16_sdwa s[40:41], v52, v50 src0_sel:BYTE_0 src1_sel:BYTE_0
	v_cmp_ge_u32_e64 s[26:27], v19, v29
	s_and_b64 s[28:29], s[28:29], s[40:41]
	s_or_b64 s[26:27], s[26:27], s[28:29]
	v_cndmask_b32_e64 v20, v19, v18, s[26:27]
	v_cndmask_b32_e64 v15, v29, v28, s[26:27]
	v_add_u32_e32 v21, 1, v20
	v_add_u32_e32 v15, -1, v15
	v_min_u32_e32 v15, v21, v15
	v_add_u32_e32 v15, v10, v15
	ds_read_u8 v22, v15
	v_cndmask_b32_e64 v18, v18, v21, s[26:27]
	v_cndmask_b32_e64 v19, v21, v19, s[26:27]
	v_cmp_lt_u32_e64 s[40:41], v18, v28
	v_cmp_ge_u32_e64 s[28:29], v19, v29
	s_waitcnt lgkmcnt(0)
	v_cndmask_b32_e64 v53, v22, v50, s[26:27]
	v_cndmask_b32_e64 v54, v52, v22, s[26:27]
	v_cmp_le_u16_sdwa s[42:43], v54, v53 src0_sel:BYTE_0 src1_sel:BYTE_0
	s_and_b64 s[40:41], s[40:41], s[42:43]
	s_or_b64 s[28:29], s[28:29], s[40:41]
	v_cndmask_b32_e64 v22, v19, v18, s[28:29]
	v_cndmask_b32_e64 v21, v29, v28, s[28:29]
	v_add_u32_e32 v37, 1, v22
	v_add_u32_e32 v21, -1, v21
	v_min_u32_e32 v21, v37, v21
	v_add_u32_e32 v21, v10, v21
	ds_read_u8 v38, v21
	v_cndmask_b32_e64 v66, v18, v37, s[28:29]
	v_cndmask_b32_e64 v65, v37, v19, s[28:29]
	v_cmp_lt_u32_e64 s[42:43], v66, v28
	v_cmp_ge_u32_e64 s[40:41], v65, v29
	s_waitcnt lgkmcnt(0)
	v_cndmask_b32_e64 v55, v38, v53, s[28:29]
	v_cndmask_b32_e64 v64, v54, v38, s[28:29]
	v_cmp_le_u16_sdwa s[56:57], v64, v55 src0_sel:BYTE_0 src1_sel:BYTE_0
	s_and_b64 s[42:43], s[42:43], s[56:57]
	s_or_b64 s[40:41], s[40:41], s[42:43]
	v_cndmask_b32_e64 v18, v65, v66, s[40:41]
	v_cndmask_b32_e64 v19, v29, v28, s[40:41]
	v_lshl_add_u32 v37, v18, 3, v9
	v_add_u32_e32 v67, 1, v18
	v_add_u32_e32 v18, -1, v19
	v_lshl_add_u32 v16, v17, 3, v9
	v_lshl_add_u32 v20, v20, 3, v9
	;; [unrolled: 1-line block ×3, first 2 shown]
	v_min_u32_e32 v18, v67, v18
	ds_read_b64 v[14:15], v14 offset:2048
	ds_read_b64 v[16:17], v16 offset:2048
	;; [unrolled: 1-line block ×4, first 2 shown]
	v_add_u32_e32 v38, v10, v18
	ds_read_b64 v[18:19], v37 offset:2048
	ds_read_u8 v68, v38
	v_cndmask_b32_e64 v37, v25, v24, s[8:9]
	v_cndmask_b32_e64 v38, v31, v32, s[20:21]
	;; [unrolled: 1-line block ×4, first 2 shown]
	s_waitcnt lgkmcnt(0)
	v_cndmask_b32_e64 v30, v68, v55, s[40:41]
	v_cndmask_b32_e64 v31, v64, v68, s[40:41]
	v_cmp_lt_u32_e64 s[12:13], v25, v28
	v_cmp_le_u16_sdwa s[20:21], v31, v30 src0_sel:BYTE_0 src1_sel:BYTE_0
	v_cmp_ge_u32_e64 s[8:9], v24, v29
	s_and_b64 s[12:13], s[12:13], s[20:21]
	s_or_b64 s[8:9], s[8:9], s[12:13]
	v_cndmask_b32_e64 v24, v24, v25, s[8:9]
	v_lshl_add_u32 v24, v24, 3, v9
	ds_read_b64 v[24:25], v24 offset:2048
	v_cndmask_b32_e64 v50, v50, v52, s[26:27]
	v_cndmask_b32_e64 v48, v53, v54, s[28:29]
	;; [unrolled: 1-line block ×4, first 2 shown]
.LBB1649_194:
	s_or_b64 exec, exec, s[46:47]
	v_add_u32_e32 v28, 0x800, v27
	; wave barrier
	ds_write2_b64 v28, v[4:5], v[12:13] offset1:1
	v_add_u32_e32 v28, 0x810, v27
	ds_write2_b64 v28, v[14:15], v[16:17] offset1:1
	v_add_u32_e32 v28, 0x820, v27
	s_mov_b32 s8, 0xc0c0004
	ds_write2_b64 v28, v[20:21], v[22:23] offset1:1
	v_perm_b32 v28, v50, v48, s8
	v_perm_b32 v29, v52, v49, s8
	v_lshl_or_b32 v29, v29, 16, v28
	v_perm_b32 v28, v37, v38, s8
	v_perm_b32 v31, v39, v51, s8
	v_add_u32_e32 v30, 0x830, v27
	v_lshl_or_b32 v28, v31, 16, v28
	ds_write_b64 v26, v[28:29]
	s_waitcnt lgkmcnt(4)
	ds_write2_b64 v30, v[18:19], v[24:25] offset1:1
	v_and_b32_e32 v30, 0x3e0, v36
	v_or_b32_e32 v28, 16, v30
	v_min_u32_e32 v28, v11, v28
	v_add_u32_e32 v29, 16, v28
	v_min_u32_e32 v29, v11, v29
	v_and_b32_e32 v31, 24, v36
	v_min_u32_e32 v31, v11, v31
	v_sub_u32_e32 v33, v28, v30
	v_sub_u32_e32 v32, v29, v28
	v_sub_u32_e64 v32, v31, v32 clamp
	v_min_u32_e32 v33, v31, v33
	v_cmp_lt_u32_e64 s[8:9], v32, v33
	; wave barrier
	s_and_saveexec_b64 s[12:13], s[8:9]
	s_cbranch_execz .LBB1649_198
; %bb.195:
	v_add_u32_e32 v53, v10, v30
	v_add3_u32 v54, v10, v28, v31
	s_mov_b64 s[20:21], 0
.LBB1649_196:                           ; =>This Inner Loop Header: Depth=1
	v_add_u32_e32 v55, v33, v32
	v_lshrrev_b32_e32 v55, 1, v55
	v_add_u32_e32 v64, v53, v55
	v_xad_u32 v65, v55, -1, v54
	ds_read_u8 v64, v64
	ds_read_u8 v65, v65
	v_add_u32_e32 v66, 1, v55
	s_waitcnt lgkmcnt(0)
	v_cmp_gt_u16_e64 s[8:9], v64, v65
	v_cndmask_b32_e64 v33, v33, v55, s[8:9]
	v_cndmask_b32_e64 v32, v66, v32, s[8:9]
	v_cmp_ge_u32_e64 s[8:9], v32, v33
	s_or_b64 s[20:21], s[8:9], s[20:21]
	s_andn2_b64 exec, exec, s[20:21]
	s_cbranch_execnz .LBB1649_196
; %bb.197:
	s_or_b64 exec, exec, s[20:21]
.LBB1649_198:
	s_or_b64 exec, exec, s[12:13]
	v_add_u32_e32 v31, v28, v31
	v_add_u32_e32 v30, v32, v30
	v_sub_u32_e32 v31, v31, v32
	v_cmp_le_u32_e64 s[8:9], v30, v28
	v_cmp_le_u32_e64 s[12:13], v31, v29
	s_or_b64 s[8:9], s[8:9], s[12:13]
	s_and_saveexec_b64 s[46:47], s[8:9]
	s_cbranch_execz .LBB1649_204
; %bb.199:
	v_cmp_lt_u32_e64 s[8:9], v30, v28
                                        ; implicit-def: $vgpr24
	s_and_saveexec_b64 s[12:13], s[8:9]
; %bb.200:
	v_add_u32_e32 v4, v10, v30
	ds_read_u8 v24, v4
; %bb.201:
	s_or_b64 exec, exec, s[12:13]
	v_cmp_ge_u32_e64 s[20:21], v31, v29
	v_cmp_lt_u32_e64 s[12:13], v31, v29
                                        ; implicit-def: $vgpr25
	s_and_saveexec_b64 s[22:23], s[12:13]
; %bb.202:
	v_add_u32_e32 v4, v10, v31
	ds_read_u8 v25, v4
; %bb.203:
	s_or_b64 exec, exec, s[22:23]
	s_waitcnt lgkmcnt(0)
	v_cmp_le_u16_sdwa s[12:13], v24, v25 src0_sel:BYTE_0 src1_sel:BYTE_0
	s_and_b64 s[8:9], s[8:9], s[12:13]
	s_or_b64 s[8:9], s[20:21], s[8:9]
	v_cndmask_b32_e64 v4, v31, v30, s[8:9]
	v_cndmask_b32_e64 v5, v29, v28, s[8:9]
	v_add_u32_e32 v12, 1, v4
	v_add_u32_e32 v5, -1, v5
	v_min_u32_e32 v5, v12, v5
	v_add_u32_e32 v5, v10, v5
	ds_read_u8 v5, v5
	v_cndmask_b32_e64 v13, v12, v31, s[8:9]
	v_cmp_ge_u32_e64 s[12:13], v13, v29
	v_lshl_add_u32 v4, v4, 3, v9
	s_waitcnt lgkmcnt(0)
	v_cndmask_b32_e64 v31, v5, v25, s[8:9]
	v_cndmask_b32_e64 v32, v24, v5, s[8:9]
	;; [unrolled: 1-line block ×3, first 2 shown]
	v_cmp_lt_u32_e64 s[20:21], v5, v28
	v_cmp_le_u16_sdwa s[22:23], v32, v31 src0_sel:BYTE_0 src1_sel:BYTE_0
	s_and_b64 s[20:21], s[20:21], s[22:23]
	s_or_b64 s[20:21], s[12:13], s[20:21]
	v_cndmask_b32_e64 v12, v13, v5, s[20:21]
	v_cndmask_b32_e64 v14, v29, v28, s[20:21]
	v_add_u32_e32 v15, 1, v12
	v_add_u32_e32 v14, -1, v14
	v_min_u32_e32 v14, v15, v14
	v_add_u32_e32 v14, v10, v14
	ds_read_u8 v14, v14
	v_cndmask_b32_e64 v5, v5, v15, s[20:21]
	v_cndmask_b32_e64 v13, v15, v13, s[20:21]
	v_cmp_lt_u32_e64 s[22:23], v5, v28
	v_cmp_ge_u32_e64 s[12:13], v13, v29
	s_waitcnt lgkmcnt(0)
	v_cndmask_b32_e64 v30, v14, v31, s[20:21]
	v_cndmask_b32_e64 v33, v32, v14, s[20:21]
	v_cmp_le_u16_sdwa s[26:27], v33, v30 src0_sel:BYTE_0 src1_sel:BYTE_0
	s_and_b64 s[22:23], s[22:23], s[26:27]
	s_or_b64 s[22:23], s[12:13], s[22:23]
	v_cndmask_b32_e64 v14, v13, v5, s[22:23]
	v_cndmask_b32_e64 v15, v29, v28, s[22:23]
	v_add_u32_e32 v16, 1, v14
	v_add_u32_e32 v15, -1, v15
	v_min_u32_e32 v15, v16, v15
	v_add_u32_e32 v15, v10, v15
	ds_read_u8 v15, v15
	v_lshl_add_u32 v12, v12, 3, v9
	v_lshl_add_u32 v14, v14, 3, v9
	v_cndmask_b32_e64 v39, v30, v33, s[22:23]
	s_waitcnt lgkmcnt(0)
	v_cndmask_b32_e64 v48, v15, v30, s[22:23]
	v_cndmask_b32_e64 v49, v33, v15, s[22:23]
	;; [unrolled: 1-line block ×4, first 2 shown]
	v_cmp_lt_u32_e64 s[26:27], v16, v28
	v_cmp_le_u16_sdwa s[28:29], v49, v48 src0_sel:BYTE_0 src1_sel:BYTE_0
	v_cmp_ge_u32_e64 s[12:13], v15, v29
	s_and_b64 s[26:27], s[26:27], s[28:29]
	s_or_b64 s[12:13], s[12:13], s[26:27]
	v_cndmask_b32_e64 v17, v15, v16, s[12:13]
	v_cndmask_b32_e64 v5, v29, v28, s[12:13]
	v_add_u32_e32 v18, 1, v17
	v_add_u32_e32 v5, -1, v5
	v_min_u32_e32 v5, v18, v5
	v_add_u32_e32 v5, v10, v5
	ds_read_u8 v19, v5
	ds_read_b64 v[4:5], v4 offset:2048
	ds_read_b64 v[12:13], v12 offset:2048
	v_cndmask_b32_e64 v51, v48, v49, s[12:13]
	s_waitcnt lgkmcnt(2)
	v_cndmask_b32_e64 v50, v19, v48, s[12:13]
	v_cndmask_b32_e64 v52, v49, v19, s[12:13]
	;; [unrolled: 1-line block ×4, first 2 shown]
	v_cmp_lt_u32_e64 s[28:29], v18, v28
	v_cmp_le_u16_sdwa s[40:41], v52, v50 src0_sel:BYTE_0 src1_sel:BYTE_0
	v_cmp_ge_u32_e64 s[26:27], v19, v29
	s_and_b64 s[28:29], s[28:29], s[40:41]
	s_or_b64 s[26:27], s[26:27], s[28:29]
	v_cndmask_b32_e64 v20, v19, v18, s[26:27]
	v_cndmask_b32_e64 v15, v29, v28, s[26:27]
	v_add_u32_e32 v21, 1, v20
	v_add_u32_e32 v15, -1, v15
	v_min_u32_e32 v15, v21, v15
	v_add_u32_e32 v15, v10, v15
	ds_read_u8 v22, v15
	v_cndmask_b32_e64 v18, v18, v21, s[26:27]
	v_cndmask_b32_e64 v19, v21, v19, s[26:27]
	v_cmp_lt_u32_e64 s[40:41], v18, v28
	v_cmp_ge_u32_e64 s[28:29], v19, v29
	s_waitcnt lgkmcnt(0)
	v_cndmask_b32_e64 v53, v22, v50, s[26:27]
	v_cndmask_b32_e64 v54, v52, v22, s[26:27]
	v_cmp_le_u16_sdwa s[42:43], v54, v53 src0_sel:BYTE_0 src1_sel:BYTE_0
	s_and_b64 s[40:41], s[40:41], s[42:43]
	s_or_b64 s[28:29], s[28:29], s[40:41]
	v_cndmask_b32_e64 v22, v19, v18, s[28:29]
	v_cndmask_b32_e64 v21, v29, v28, s[28:29]
	v_add_u32_e32 v37, 1, v22
	v_add_u32_e32 v21, -1, v21
	v_min_u32_e32 v21, v37, v21
	v_add_u32_e32 v21, v10, v21
	ds_read_u8 v38, v21
	v_cndmask_b32_e64 v66, v18, v37, s[28:29]
	v_cndmask_b32_e64 v65, v37, v19, s[28:29]
	v_cmp_lt_u32_e64 s[42:43], v66, v28
	v_cmp_ge_u32_e64 s[40:41], v65, v29
	s_waitcnt lgkmcnt(0)
	v_cndmask_b32_e64 v55, v38, v53, s[28:29]
	v_cndmask_b32_e64 v64, v54, v38, s[28:29]
	v_cmp_le_u16_sdwa s[56:57], v64, v55 src0_sel:BYTE_0 src1_sel:BYTE_0
	s_and_b64 s[42:43], s[42:43], s[56:57]
	s_or_b64 s[40:41], s[40:41], s[42:43]
	v_cndmask_b32_e64 v18, v65, v66, s[40:41]
	v_cndmask_b32_e64 v19, v29, v28, s[40:41]
	v_lshl_add_u32 v37, v18, 3, v9
	v_add_u32_e32 v67, 1, v18
	v_add_u32_e32 v18, -1, v19
	v_lshl_add_u32 v16, v17, 3, v9
	v_lshl_add_u32 v20, v20, 3, v9
	;; [unrolled: 1-line block ×3, first 2 shown]
	v_min_u32_e32 v18, v67, v18
	ds_read_b64 v[14:15], v14 offset:2048
	ds_read_b64 v[16:17], v16 offset:2048
	;; [unrolled: 1-line block ×4, first 2 shown]
	v_add_u32_e32 v38, v10, v18
	ds_read_b64 v[18:19], v37 offset:2048
	ds_read_u8 v68, v38
	v_cndmask_b32_e64 v37, v25, v24, s[8:9]
	v_cndmask_b32_e64 v38, v31, v32, s[20:21]
	;; [unrolled: 1-line block ×4, first 2 shown]
	s_waitcnt lgkmcnt(0)
	v_cndmask_b32_e64 v30, v68, v55, s[40:41]
	v_cndmask_b32_e64 v31, v64, v68, s[40:41]
	v_cmp_lt_u32_e64 s[12:13], v25, v28
	v_cmp_le_u16_sdwa s[20:21], v31, v30 src0_sel:BYTE_0 src1_sel:BYTE_0
	v_cmp_ge_u32_e64 s[8:9], v24, v29
	s_and_b64 s[12:13], s[12:13], s[20:21]
	s_or_b64 s[8:9], s[8:9], s[12:13]
	v_cndmask_b32_e64 v24, v24, v25, s[8:9]
	v_lshl_add_u32 v24, v24, 3, v9
	ds_read_b64 v[24:25], v24 offset:2048
	v_cndmask_b32_e64 v50, v50, v52, s[26:27]
	v_cndmask_b32_e64 v48, v53, v54, s[28:29]
	;; [unrolled: 1-line block ×4, first 2 shown]
.LBB1649_204:
	s_or_b64 exec, exec, s[46:47]
	v_add_u32_e32 v28, 0x800, v27
	; wave barrier
	ds_write2_b64 v28, v[4:5], v[12:13] offset1:1
	v_add_u32_e32 v28, 0x810, v27
	ds_write2_b64 v28, v[14:15], v[16:17] offset1:1
	v_add_u32_e32 v28, 0x820, v27
	s_mov_b32 s8, 0xc0c0004
	ds_write2_b64 v28, v[20:21], v[22:23] offset1:1
	v_perm_b32 v28, v50, v48, s8
	v_perm_b32 v29, v52, v49, s8
	v_lshl_or_b32 v29, v29, 16, v28
	v_perm_b32 v28, v37, v38, s8
	v_perm_b32 v31, v39, v51, s8
	v_add_u32_e32 v30, 0x830, v27
	v_lshl_or_b32 v28, v31, 16, v28
	ds_write_b64 v26, v[28:29]
	s_waitcnt lgkmcnt(4)
	ds_write2_b64 v30, v[18:19], v[24:25] offset1:1
	v_and_b32_e32 v30, 0x3c0, v36
	v_or_b32_e32 v28, 32, v30
	v_min_u32_e32 v28, v11, v28
	v_add_u32_e32 v29, 32, v28
	v_min_u32_e32 v29, v11, v29
	v_and_b32_e32 v31, 56, v36
	v_min_u32_e32 v31, v11, v31
	v_sub_u32_e32 v33, v28, v30
	v_sub_u32_e32 v32, v29, v28
	v_sub_u32_e64 v32, v31, v32 clamp
	v_min_u32_e32 v33, v31, v33
	v_cmp_lt_u32_e64 s[8:9], v32, v33
	; wave barrier
	s_and_saveexec_b64 s[12:13], s[8:9]
	s_cbranch_execz .LBB1649_208
; %bb.205:
	v_add_u32_e32 v53, v10, v30
	v_add3_u32 v54, v10, v28, v31
	s_mov_b64 s[20:21], 0
.LBB1649_206:                           ; =>This Inner Loop Header: Depth=1
	v_add_u32_e32 v55, v33, v32
	v_lshrrev_b32_e32 v55, 1, v55
	v_add_u32_e32 v64, v53, v55
	v_xad_u32 v65, v55, -1, v54
	ds_read_u8 v64, v64
	ds_read_u8 v65, v65
	v_add_u32_e32 v66, 1, v55
	s_waitcnt lgkmcnt(0)
	v_cmp_gt_u16_e64 s[8:9], v64, v65
	v_cndmask_b32_e64 v33, v33, v55, s[8:9]
	v_cndmask_b32_e64 v32, v66, v32, s[8:9]
	v_cmp_ge_u32_e64 s[8:9], v32, v33
	s_or_b64 s[20:21], s[8:9], s[20:21]
	s_andn2_b64 exec, exec, s[20:21]
	s_cbranch_execnz .LBB1649_206
; %bb.207:
	s_or_b64 exec, exec, s[20:21]
.LBB1649_208:
	s_or_b64 exec, exec, s[12:13]
	v_add_u32_e32 v31, v28, v31
	v_add_u32_e32 v30, v32, v30
	v_sub_u32_e32 v31, v31, v32
	v_cmp_le_u32_e64 s[8:9], v30, v28
	v_cmp_le_u32_e64 s[12:13], v31, v29
	s_or_b64 s[8:9], s[8:9], s[12:13]
	s_and_saveexec_b64 s[46:47], s[8:9]
	s_cbranch_execz .LBB1649_214
; %bb.209:
	v_cmp_lt_u32_e64 s[8:9], v30, v28
                                        ; implicit-def: $vgpr24
	s_and_saveexec_b64 s[12:13], s[8:9]
; %bb.210:
	v_add_u32_e32 v4, v10, v30
	ds_read_u8 v24, v4
; %bb.211:
	s_or_b64 exec, exec, s[12:13]
	v_cmp_ge_u32_e64 s[20:21], v31, v29
	v_cmp_lt_u32_e64 s[12:13], v31, v29
                                        ; implicit-def: $vgpr25
	s_and_saveexec_b64 s[22:23], s[12:13]
; %bb.212:
	v_add_u32_e32 v4, v10, v31
	ds_read_u8 v25, v4
; %bb.213:
	s_or_b64 exec, exec, s[22:23]
	s_waitcnt lgkmcnt(0)
	v_cmp_le_u16_sdwa s[12:13], v24, v25 src0_sel:BYTE_0 src1_sel:BYTE_0
	s_and_b64 s[8:9], s[8:9], s[12:13]
	s_or_b64 s[8:9], s[20:21], s[8:9]
	v_cndmask_b32_e64 v4, v31, v30, s[8:9]
	v_cndmask_b32_e64 v5, v29, v28, s[8:9]
	v_add_u32_e32 v12, 1, v4
	v_add_u32_e32 v5, -1, v5
	v_min_u32_e32 v5, v12, v5
	v_add_u32_e32 v5, v10, v5
	ds_read_u8 v5, v5
	v_cndmask_b32_e64 v13, v12, v31, s[8:9]
	v_cmp_ge_u32_e64 s[12:13], v13, v29
	v_lshl_add_u32 v4, v4, 3, v9
	s_waitcnt lgkmcnt(0)
	v_cndmask_b32_e64 v31, v5, v25, s[8:9]
	v_cndmask_b32_e64 v32, v24, v5, s[8:9]
	;; [unrolled: 1-line block ×3, first 2 shown]
	v_cmp_lt_u32_e64 s[20:21], v5, v28
	v_cmp_le_u16_sdwa s[22:23], v32, v31 src0_sel:BYTE_0 src1_sel:BYTE_0
	s_and_b64 s[20:21], s[20:21], s[22:23]
	s_or_b64 s[20:21], s[12:13], s[20:21]
	v_cndmask_b32_e64 v12, v13, v5, s[20:21]
	v_cndmask_b32_e64 v14, v29, v28, s[20:21]
	v_add_u32_e32 v15, 1, v12
	v_add_u32_e32 v14, -1, v14
	v_min_u32_e32 v14, v15, v14
	v_add_u32_e32 v14, v10, v14
	ds_read_u8 v14, v14
	v_cndmask_b32_e64 v5, v5, v15, s[20:21]
	v_cndmask_b32_e64 v13, v15, v13, s[20:21]
	v_cmp_lt_u32_e64 s[22:23], v5, v28
	v_cmp_ge_u32_e64 s[12:13], v13, v29
	s_waitcnt lgkmcnt(0)
	v_cndmask_b32_e64 v30, v14, v31, s[20:21]
	v_cndmask_b32_e64 v33, v32, v14, s[20:21]
	v_cmp_le_u16_sdwa s[26:27], v33, v30 src0_sel:BYTE_0 src1_sel:BYTE_0
	s_and_b64 s[22:23], s[22:23], s[26:27]
	s_or_b64 s[22:23], s[12:13], s[22:23]
	v_cndmask_b32_e64 v14, v13, v5, s[22:23]
	v_cndmask_b32_e64 v15, v29, v28, s[22:23]
	v_add_u32_e32 v16, 1, v14
	v_add_u32_e32 v15, -1, v15
	v_min_u32_e32 v15, v16, v15
	v_add_u32_e32 v15, v10, v15
	ds_read_u8 v15, v15
	v_lshl_add_u32 v12, v12, 3, v9
	v_lshl_add_u32 v14, v14, 3, v9
	v_cndmask_b32_e64 v39, v30, v33, s[22:23]
	s_waitcnt lgkmcnt(0)
	v_cndmask_b32_e64 v48, v15, v30, s[22:23]
	v_cndmask_b32_e64 v49, v33, v15, s[22:23]
	;; [unrolled: 1-line block ×4, first 2 shown]
	v_cmp_lt_u32_e64 s[26:27], v16, v28
	v_cmp_le_u16_sdwa s[28:29], v49, v48 src0_sel:BYTE_0 src1_sel:BYTE_0
	v_cmp_ge_u32_e64 s[12:13], v15, v29
	s_and_b64 s[26:27], s[26:27], s[28:29]
	s_or_b64 s[12:13], s[12:13], s[26:27]
	v_cndmask_b32_e64 v17, v15, v16, s[12:13]
	v_cndmask_b32_e64 v5, v29, v28, s[12:13]
	v_add_u32_e32 v18, 1, v17
	v_add_u32_e32 v5, -1, v5
	v_min_u32_e32 v5, v18, v5
	v_add_u32_e32 v5, v10, v5
	ds_read_u8 v19, v5
	ds_read_b64 v[4:5], v4 offset:2048
	ds_read_b64 v[12:13], v12 offset:2048
	v_cndmask_b32_e64 v51, v48, v49, s[12:13]
	s_waitcnt lgkmcnt(2)
	v_cndmask_b32_e64 v50, v19, v48, s[12:13]
	v_cndmask_b32_e64 v52, v49, v19, s[12:13]
	;; [unrolled: 1-line block ×4, first 2 shown]
	v_cmp_lt_u32_e64 s[28:29], v18, v28
	v_cmp_le_u16_sdwa s[40:41], v52, v50 src0_sel:BYTE_0 src1_sel:BYTE_0
	v_cmp_ge_u32_e64 s[26:27], v19, v29
	s_and_b64 s[28:29], s[28:29], s[40:41]
	s_or_b64 s[26:27], s[26:27], s[28:29]
	v_cndmask_b32_e64 v20, v19, v18, s[26:27]
	v_cndmask_b32_e64 v15, v29, v28, s[26:27]
	v_add_u32_e32 v21, 1, v20
	v_add_u32_e32 v15, -1, v15
	v_min_u32_e32 v15, v21, v15
	v_add_u32_e32 v15, v10, v15
	ds_read_u8 v22, v15
	v_cndmask_b32_e64 v18, v18, v21, s[26:27]
	v_cndmask_b32_e64 v19, v21, v19, s[26:27]
	v_cmp_lt_u32_e64 s[40:41], v18, v28
	v_cmp_ge_u32_e64 s[28:29], v19, v29
	s_waitcnt lgkmcnt(0)
	v_cndmask_b32_e64 v53, v22, v50, s[26:27]
	v_cndmask_b32_e64 v54, v52, v22, s[26:27]
	v_cmp_le_u16_sdwa s[42:43], v54, v53 src0_sel:BYTE_0 src1_sel:BYTE_0
	s_and_b64 s[40:41], s[40:41], s[42:43]
	s_or_b64 s[28:29], s[28:29], s[40:41]
	v_cndmask_b32_e64 v22, v19, v18, s[28:29]
	v_cndmask_b32_e64 v21, v29, v28, s[28:29]
	v_add_u32_e32 v37, 1, v22
	v_add_u32_e32 v21, -1, v21
	v_min_u32_e32 v21, v37, v21
	v_add_u32_e32 v21, v10, v21
	ds_read_u8 v38, v21
	v_cndmask_b32_e64 v66, v18, v37, s[28:29]
	v_cndmask_b32_e64 v65, v37, v19, s[28:29]
	v_cmp_lt_u32_e64 s[42:43], v66, v28
	v_cmp_ge_u32_e64 s[40:41], v65, v29
	s_waitcnt lgkmcnt(0)
	v_cndmask_b32_e64 v55, v38, v53, s[28:29]
	v_cndmask_b32_e64 v64, v54, v38, s[28:29]
	v_cmp_le_u16_sdwa s[56:57], v64, v55 src0_sel:BYTE_0 src1_sel:BYTE_0
	s_and_b64 s[42:43], s[42:43], s[56:57]
	s_or_b64 s[40:41], s[40:41], s[42:43]
	v_cndmask_b32_e64 v18, v65, v66, s[40:41]
	v_cndmask_b32_e64 v19, v29, v28, s[40:41]
	v_lshl_add_u32 v37, v18, 3, v9
	v_add_u32_e32 v67, 1, v18
	v_add_u32_e32 v18, -1, v19
	v_lshl_add_u32 v16, v17, 3, v9
	v_lshl_add_u32 v20, v20, 3, v9
	;; [unrolled: 1-line block ×3, first 2 shown]
	v_min_u32_e32 v18, v67, v18
	ds_read_b64 v[14:15], v14 offset:2048
	ds_read_b64 v[16:17], v16 offset:2048
	;; [unrolled: 1-line block ×4, first 2 shown]
	v_add_u32_e32 v38, v10, v18
	ds_read_b64 v[18:19], v37 offset:2048
	ds_read_u8 v68, v38
	v_cndmask_b32_e64 v37, v25, v24, s[8:9]
	v_cndmask_b32_e64 v38, v31, v32, s[20:21]
	;; [unrolled: 1-line block ×4, first 2 shown]
	s_waitcnt lgkmcnt(0)
	v_cndmask_b32_e64 v30, v68, v55, s[40:41]
	v_cndmask_b32_e64 v31, v64, v68, s[40:41]
	v_cmp_lt_u32_e64 s[12:13], v25, v28
	v_cmp_le_u16_sdwa s[20:21], v31, v30 src0_sel:BYTE_0 src1_sel:BYTE_0
	v_cmp_ge_u32_e64 s[8:9], v24, v29
	s_and_b64 s[12:13], s[12:13], s[20:21]
	s_or_b64 s[8:9], s[8:9], s[12:13]
	v_cndmask_b32_e64 v24, v24, v25, s[8:9]
	v_lshl_add_u32 v24, v24, 3, v9
	ds_read_b64 v[24:25], v24 offset:2048
	v_cndmask_b32_e64 v50, v50, v52, s[26:27]
	v_cndmask_b32_e64 v48, v53, v54, s[28:29]
	v_cndmask_b32_e64 v52, v55, v64, s[40:41]
	v_cndmask_b32_e64 v49, v30, v31, s[8:9]
.LBB1649_214:
	s_or_b64 exec, exec, s[46:47]
	v_add_u32_e32 v28, 0x800, v27
	; wave barrier
	ds_write2_b64 v28, v[4:5], v[12:13] offset1:1
	v_add_u32_e32 v28, 0x810, v27
	ds_write2_b64 v28, v[14:15], v[16:17] offset1:1
	v_add_u32_e32 v28, 0x820, v27
	s_mov_b32 s8, 0xc0c0004
	ds_write2_b64 v28, v[20:21], v[22:23] offset1:1
	v_add_u32_e32 v29, 0x830, v27
	v_perm_b32 v27, v50, v48, s8
	v_perm_b32 v28, v52, v49, s8
	v_lshl_or_b32 v28, v28, 16, v27
	v_perm_b32 v27, v37, v38, s8
	v_perm_b32 v30, v39, v51, s8
	v_lshl_or_b32 v27, v30, 16, v27
	ds_write_b64 v26, v[27:28]
	s_waitcnt lgkmcnt(4)
	ds_write2_b64 v29, v[18:19], v[24:25] offset1:1
	v_and_b32_e32 v28, 0x380, v36
	v_or_b32_e32 v26, 64, v28
	v_min_u32_e32 v26, v11, v26
	v_add_u32_e32 v27, 64, v26
	v_min_u32_e32 v27, v11, v27
	v_min_u32_e32 v11, v11, v34
	v_sub_u32_e32 v30, v26, v28
	v_sub_u32_e32 v29, v27, v26
	v_sub_u32_e64 v29, v11, v29 clamp
	v_min_u32_e32 v30, v11, v30
	v_cmp_lt_u32_e64 s[8:9], v29, v30
	; wave barrier
	s_and_saveexec_b64 s[12:13], s[8:9]
	s_cbranch_execz .LBB1649_218
; %bb.215:
	v_add_u32_e32 v31, v10, v28
	v_add3_u32 v32, v10, v26, v11
	s_mov_b64 s[20:21], 0
.LBB1649_216:                           ; =>This Inner Loop Header: Depth=1
	v_add_u32_e32 v33, v30, v29
	v_lshrrev_b32_e32 v33, 1, v33
	v_add_u32_e32 v36, v31, v33
	v_xad_u32 v53, v33, -1, v32
	ds_read_u8 v36, v36
	ds_read_u8 v53, v53
	v_add_u32_e32 v54, 1, v33
	s_waitcnt lgkmcnt(0)
	v_cmp_gt_u16_e64 s[8:9], v36, v53
	v_cndmask_b32_e64 v30, v30, v33, s[8:9]
	v_cndmask_b32_e64 v29, v54, v29, s[8:9]
	v_cmp_ge_u32_e64 s[8:9], v29, v30
	s_or_b64 s[20:21], s[8:9], s[20:21]
	s_andn2_b64 exec, exec, s[20:21]
	s_cbranch_execnz .LBB1649_216
; %bb.217:
	s_or_b64 exec, exec, s[20:21]
.LBB1649_218:
	s_or_b64 exec, exec, s[12:13]
	v_add_u32_e32 v11, v26, v11
	v_add_u32_e32 v28, v29, v28
	v_sub_u32_e32 v29, v11, v29
	v_cmp_le_u32_e64 s[8:9], v28, v26
	v_cmp_le_u32_e64 s[12:13], v29, v27
	s_or_b64 s[8:9], s[8:9], s[12:13]
	s_and_saveexec_b64 s[46:47], s[8:9]
	s_cbranch_execz .LBB1649_224
; %bb.219:
	v_cmp_lt_u32_e64 s[8:9], v28, v26
                                        ; implicit-def: $vgpr11
	s_and_saveexec_b64 s[12:13], s[8:9]
; %bb.220:
	v_add_u32_e32 v4, v10, v28
	ds_read_u8 v11, v4
; %bb.221:
	s_or_b64 exec, exec, s[12:13]
	v_cmp_ge_u32_e64 s[20:21], v29, v27
	v_cmp_lt_u32_e64 s[12:13], v29, v27
                                        ; implicit-def: $vgpr24
	s_and_saveexec_b64 s[22:23], s[12:13]
; %bb.222:
	v_add_u32_e32 v4, v10, v29
	ds_read_u8 v24, v4
; %bb.223:
	s_or_b64 exec, exec, s[22:23]
	s_waitcnt lgkmcnt(0)
	v_cmp_le_u16_sdwa s[12:13], v11, v24 src0_sel:BYTE_0 src1_sel:BYTE_0
	s_and_b64 s[8:9], s[8:9], s[12:13]
	s_or_b64 s[8:9], s[20:21], s[8:9]
	v_cndmask_b32_e64 v4, v29, v28, s[8:9]
	v_cndmask_b32_e64 v5, v27, v26, s[8:9]
	v_add_u32_e32 v12, 1, v4
	v_add_u32_e32 v5, -1, v5
	v_min_u32_e32 v5, v12, v5
	v_add_u32_e32 v5, v10, v5
	ds_read_u8 v5, v5
	v_cndmask_b32_e64 v13, v12, v29, s[8:9]
	v_cmp_ge_u32_e64 s[12:13], v13, v27
	v_lshl_add_u32 v4, v4, 3, v9
	s_waitcnt lgkmcnt(0)
	v_cndmask_b32_e64 v25, v5, v24, s[8:9]
	v_cndmask_b32_e64 v29, v11, v5, s[8:9]
	;; [unrolled: 1-line block ×3, first 2 shown]
	v_cmp_lt_u32_e64 s[20:21], v5, v26
	v_cmp_le_u16_sdwa s[22:23], v29, v25 src0_sel:BYTE_0 src1_sel:BYTE_0
	s_and_b64 s[20:21], s[20:21], s[22:23]
	s_or_b64 s[20:21], s[12:13], s[20:21]
	v_cndmask_b32_e64 v12, v13, v5, s[20:21]
	v_cndmask_b32_e64 v14, v27, v26, s[20:21]
	v_add_u32_e32 v15, 1, v12
	v_add_u32_e32 v14, -1, v14
	v_min_u32_e32 v14, v15, v14
	v_add_u32_e32 v14, v10, v14
	ds_read_u8 v14, v14
	v_cndmask_b32_e64 v5, v5, v15, s[20:21]
	v_cndmask_b32_e64 v13, v15, v13, s[20:21]
	v_cmp_lt_u32_e64 s[22:23], v5, v26
	v_cmp_ge_u32_e64 s[12:13], v13, v27
	s_waitcnt lgkmcnt(0)
	v_cndmask_b32_e64 v28, v14, v25, s[20:21]
	v_cndmask_b32_e64 v30, v29, v14, s[20:21]
	v_cmp_le_u16_sdwa s[26:27], v30, v28 src0_sel:BYTE_0 src1_sel:BYTE_0
	s_and_b64 s[22:23], s[22:23], s[26:27]
	s_or_b64 s[22:23], s[12:13], s[22:23]
	v_cndmask_b32_e64 v14, v13, v5, s[22:23]
	v_cndmask_b32_e64 v15, v27, v26, s[22:23]
	v_add_u32_e32 v16, 1, v14
	v_add_u32_e32 v15, -1, v15
	v_min_u32_e32 v15, v16, v15
	v_add_u32_e32 v15, v10, v15
	ds_read_u8 v15, v15
	v_lshl_add_u32 v12, v12, 3, v9
	v_lshl_add_u32 v14, v14, 3, v9
	v_cndmask_b32_e64 v39, v28, v30, s[22:23]
	s_waitcnt lgkmcnt(0)
	v_cndmask_b32_e64 v31, v15, v28, s[22:23]
	v_cndmask_b32_e64 v32, v30, v15, s[22:23]
	;; [unrolled: 1-line block ×4, first 2 shown]
	v_cmp_lt_u32_e64 s[26:27], v16, v26
	v_cmp_le_u16_sdwa s[28:29], v32, v31 src0_sel:BYTE_0 src1_sel:BYTE_0
	v_cmp_ge_u32_e64 s[12:13], v15, v27
	s_and_b64 s[26:27], s[26:27], s[28:29]
	s_or_b64 s[12:13], s[12:13], s[26:27]
	v_cndmask_b32_e64 v17, v15, v16, s[12:13]
	v_cndmask_b32_e64 v5, v27, v26, s[12:13]
	v_add_u32_e32 v18, 1, v17
	v_add_u32_e32 v5, -1, v5
	v_min_u32_e32 v5, v18, v5
	v_add_u32_e32 v5, v10, v5
	ds_read_u8 v19, v5
	ds_read_b64 v[4:5], v4 offset:2048
	ds_read_b64 v[12:13], v12 offset:2048
	v_cndmask_b32_e64 v51, v31, v32, s[12:13]
	s_waitcnt lgkmcnt(2)
	v_cndmask_b32_e64 v33, v19, v31, s[12:13]
	v_cndmask_b32_e64 v36, v32, v19, s[12:13]
	;; [unrolled: 1-line block ×4, first 2 shown]
	v_cmp_lt_u32_e64 s[28:29], v18, v26
	v_cmp_le_u16_sdwa s[40:41], v36, v33 src0_sel:BYTE_0 src1_sel:BYTE_0
	v_cmp_ge_u32_e64 s[26:27], v19, v27
	s_and_b64 s[28:29], s[28:29], s[40:41]
	s_or_b64 s[26:27], s[26:27], s[28:29]
	v_cndmask_b32_e64 v20, v19, v18, s[26:27]
	v_cndmask_b32_e64 v15, v27, v26, s[26:27]
	v_add_u32_e32 v21, 1, v20
	v_add_u32_e32 v15, -1, v15
	v_min_u32_e32 v15, v21, v15
	v_add_u32_e32 v15, v10, v15
	ds_read_u8 v22, v15
	v_cndmask_b32_e64 v18, v18, v21, s[26:27]
	v_cndmask_b32_e64 v19, v21, v19, s[26:27]
	v_cmp_lt_u32_e64 s[40:41], v18, v26
	v_cmp_ge_u32_e64 s[28:29], v19, v27
	s_waitcnt lgkmcnt(0)
	v_cndmask_b32_e64 v48, v22, v33, s[26:27]
	v_cndmask_b32_e64 v49, v36, v22, s[26:27]
	v_cmp_le_u16_sdwa s[42:43], v49, v48 src0_sel:BYTE_0 src1_sel:BYTE_0
	s_and_b64 s[40:41], s[40:41], s[42:43]
	s_or_b64 s[28:29], s[28:29], s[40:41]
	v_cndmask_b32_e64 v22, v19, v18, s[28:29]
	v_cndmask_b32_e64 v21, v27, v26, s[28:29]
	v_add_u32_e32 v37, 1, v22
	v_add_u32_e32 v21, -1, v21
	v_min_u32_e32 v21, v37, v21
	v_add_u32_e32 v21, v10, v21
	ds_read_u8 v38, v21
	v_cndmask_b32_e64 v54, v18, v37, s[28:29]
	v_cndmask_b32_e64 v50, v37, v19, s[28:29]
	v_cmp_lt_u32_e64 s[42:43], v54, v26
	v_cmp_ge_u32_e64 s[40:41], v50, v27
	s_waitcnt lgkmcnt(0)
	v_cndmask_b32_e64 v52, v38, v48, s[28:29]
	v_cndmask_b32_e64 v53, v49, v38, s[28:29]
	v_cmp_le_u16_sdwa s[56:57], v53, v52 src0_sel:BYTE_0 src1_sel:BYTE_0
	s_and_b64 s[42:43], s[42:43], s[56:57]
	s_or_b64 s[40:41], s[40:41], s[42:43]
	v_cndmask_b32_e64 v18, v50, v54, s[40:41]
	v_cndmask_b32_e64 v19, v27, v26, s[40:41]
	v_lshl_add_u32 v37, v18, 3, v9
	v_add_u32_e32 v55, 1, v18
	v_add_u32_e32 v18, -1, v19
	v_min_u32_e32 v18, v55, v18
	v_lshl_add_u32 v16, v17, 3, v9
	v_lshl_add_u32 v20, v20, 3, v9
	;; [unrolled: 1-line block ×3, first 2 shown]
	v_add_u32_e32 v10, v10, v18
	ds_read_b64 v[14:15], v14 offset:2048
	ds_read_b64 v[16:17], v16 offset:2048
	;; [unrolled: 1-line block ×5, first 2 shown]
	ds_read_u8 v10, v10
	v_cndmask_b32_e64 v37, v24, v11, s[8:9]
	v_cndmask_b32_e64 v38, v25, v29, s[20:21]
	;; [unrolled: 1-line block ×4, first 2 shown]
	s_waitcnt lgkmcnt(0)
	v_cndmask_b32_e64 v11, v10, v52, s[40:41]
	v_cndmask_b32_e64 v10, v53, v10, s[40:41]
	v_cmp_lt_u32_e64 s[12:13], v25, v26
	v_cmp_le_u16_sdwa s[20:21], v10, v11 src0_sel:BYTE_0 src1_sel:BYTE_0
	v_cmp_ge_u32_e64 s[8:9], v24, v27
	s_and_b64 s[12:13], s[12:13], s[20:21]
	s_or_b64 s[8:9], s[8:9], s[12:13]
	v_cndmask_b32_e64 v24, v24, v25, s[8:9]
	v_lshl_add_u32 v9, v24, 3, v9
	ds_read_b64 v[24:25], v9 offset:2048
	v_cndmask_b32_e64 v50, v33, v36, s[26:27]
	v_cndmask_b32_e64 v48, v48, v49, s[28:29]
	;; [unrolled: 1-line block ×4, first 2 shown]
.LBB1649_224:
	s_or_b64 exec, exec, s[46:47]
	; wave barrier
	s_waitcnt lgkmcnt(0)
	s_barrier
.LBB1649_225:
	s_or_b64 exec, exec, s[44:45]
	v_add_co_u32_e64 v2, s[8:9], v2, v8
	v_addc_co_u32_e64 v3, s[8:9], 0, v3, s[8:9]
	v_add_co_u32_e64 v2, s[8:9], v2, v34
	v_addc_co_u32_e64 v3, s[8:9], 0, v3, s[8:9]
	; wave barrier
	s_and_saveexec_b64 s[8:9], vcc
	s_cbranch_execnz .LBB1649_250
; %bb.226:
	s_or_b64 exec, exec, s[8:9]
	s_and_saveexec_b64 s[8:9], s[4:5]
	s_cbranch_execnz .LBB1649_251
.LBB1649_227:
	s_or_b64 exec, exec, s[8:9]
	s_and_saveexec_b64 s[8:9], s[6:7]
	s_cbranch_execnz .LBB1649_252
.LBB1649_228:
	s_or_b64 exec, exec, s[8:9]
	s_and_saveexec_b64 s[8:9], s[18:19]
	s_cbranch_execnz .LBB1649_253
.LBB1649_229:
	s_or_b64 exec, exec, s[8:9]
	s_and_saveexec_b64 s[8:9], s[10:11]
	s_cbranch_execnz .LBB1649_254
.LBB1649_230:
	s_or_b64 exec, exec, s[8:9]
	s_and_saveexec_b64 s[8:9], s[24:25]
	s_cbranch_execnz .LBB1649_255
.LBB1649_231:
	s_or_b64 exec, exec, s[8:9]
	s_and_saveexec_b64 s[8:9], s[14:15]
	s_cbranch_execnz .LBB1649_256
.LBB1649_232:
	s_or_b64 exec, exec, s[8:9]
	s_and_saveexec_b64 s[8:9], s[16:17]
	s_cbranch_execz .LBB1649_234
.LBB1649_233:
	s_waitcnt vmcnt(0) lgkmcnt(0)
	flat_store_byte v[2:3], v49 offset:7
.LBB1649_234:
	s_or_b64 exec, exec, s[8:9]
	v_add_co_u32_e64 v0, s[8:9], v6, v0
	v_addc_co_u32_e64 v1, s[8:9], v7, v1, s[8:9]
	v_add_co_u32_e64 v0, s[8:9], v0, v35
	v_addc_co_u32_e64 v1, s[8:9], 0, v1, s[8:9]
	; wave barrier
	s_and_saveexec_b64 s[8:9], vcc
	s_cbranch_execnz .LBB1649_257
; %bb.235:
	s_or_b64 exec, exec, s[8:9]
	s_and_saveexec_b64 s[8:9], s[4:5]
	s_cbranch_execnz .LBB1649_258
.LBB1649_236:
	s_or_b64 exec, exec, s[8:9]
	s_and_saveexec_b64 s[4:5], s[6:7]
	s_cbranch_execnz .LBB1649_259
.LBB1649_237:
	s_or_b64 exec, exec, s[4:5]
	s_and_saveexec_b64 s[4:5], s[18:19]
	s_cbranch_execnz .LBB1649_260
.LBB1649_238:
	s_or_b64 exec, exec, s[4:5]
	s_and_saveexec_b64 s[4:5], s[10:11]
	s_cbranch_execnz .LBB1649_261
.LBB1649_239:
	s_or_b64 exec, exec, s[4:5]
	s_and_saveexec_b64 s[4:5], s[24:25]
	s_cbranch_execnz .LBB1649_262
.LBB1649_240:
	s_or_b64 exec, exec, s[4:5]
	s_and_saveexec_b64 s[4:5], s[14:15]
	s_cbranch_execnz .LBB1649_263
.LBB1649_241:
	s_or_b64 exec, exec, s[4:5]
	s_and_saveexec_b64 s[4:5], s[16:17]
	s_cbranch_execnz .LBB1649_264
.LBB1649_242:
	s_or_b64 exec, exec, s[4:5]
	s_waitcnt vmcnt(0) lgkmcnt(0)
	s_setpc_b64 s[30:31]
.LBB1649_243:
	flat_load_dwordx2 v[4:5], v[26:27]
	s_or_b64 exec, exec, s[20:21]
	s_and_saveexec_b64 s[20:21], s[4:5]
                                        ; implicit-def: $vgpr12_vgpr13
	s_cbranch_execz .LBB1649_18
.LBB1649_244:
	flat_load_dwordx2 v[12:13], v[26:27] offset:8
	s_or_b64 exec, exec, s[20:21]
                                        ; implicit-def: $vgpr14_vgpr15
	s_and_saveexec_b64 s[20:21], s[6:7]
	s_cbranch_execz .LBB1649_19
.LBB1649_245:
	flat_load_dwordx2 v[14:15], v[26:27] offset:16
	s_or_b64 exec, exec, s[20:21]
	s_and_saveexec_b64 s[20:21], s[18:19]
                                        ; implicit-def: $vgpr16_vgpr17
	s_cbranch_execz .LBB1649_20
.LBB1649_246:
	flat_load_dwordx2 v[16:17], v[26:27] offset:24
	s_or_b64 exec, exec, s[20:21]
                                        ; implicit-def: $vgpr20_vgpr21
	s_and_saveexec_b64 s[20:21], s[10:11]
	s_cbranch_execz .LBB1649_21
.LBB1649_247:
	flat_load_dwordx2 v[20:21], v[26:27] offset:32
	s_or_b64 exec, exec, s[20:21]
	s_and_saveexec_b64 s[20:21], s[24:25]
                                        ; implicit-def: $vgpr22_vgpr23
	s_cbranch_execz .LBB1649_22
.LBB1649_248:
	flat_load_dwordx2 v[22:23], v[26:27] offset:40
	s_or_b64 exec, exec, s[20:21]
                                        ; implicit-def: $vgpr18_vgpr19
	s_and_saveexec_b64 s[20:21], s[14:15]
	s_cbranch_execz .LBB1649_23
.LBB1649_249:
	flat_load_dwordx2 v[18:19], v[26:27] offset:48
	s_or_b64 exec, exec, s[20:21]
	s_and_saveexec_b64 s[20:21], s[16:17]
                                        ; implicit-def: $vgpr24_vgpr25
	s_cbranch_execnz .LBB1649_24
	s_branch .LBB1649_25
.LBB1649_250:
	s_waitcnt vmcnt(0) lgkmcnt(0)
	flat_store_byte v[2:3], v37
	s_or_b64 exec, exec, s[8:9]
	s_and_saveexec_b64 s[8:9], s[4:5]
	s_cbranch_execz .LBB1649_227
.LBB1649_251:
	s_waitcnt vmcnt(0) lgkmcnt(0)
	flat_store_byte v[2:3], v38 offset:1
	s_or_b64 exec, exec, s[8:9]
	s_and_saveexec_b64 s[8:9], s[6:7]
	s_cbranch_execz .LBB1649_228
.LBB1649_252:
	s_waitcnt vmcnt(0) lgkmcnt(0)
	flat_store_byte v[2:3], v39 offset:2
	s_or_b64 exec, exec, s[8:9]
	s_and_saveexec_b64 s[8:9], s[18:19]
	s_cbranch_execz .LBB1649_229
.LBB1649_253:
	s_waitcnt vmcnt(0) lgkmcnt(0)
	flat_store_byte v[2:3], v51 offset:3
	s_or_b64 exec, exec, s[8:9]
	s_and_saveexec_b64 s[8:9], s[10:11]
	s_cbranch_execz .LBB1649_230
.LBB1649_254:
	s_waitcnt vmcnt(0) lgkmcnt(0)
	flat_store_byte v[2:3], v50 offset:4
	s_or_b64 exec, exec, s[8:9]
	s_and_saveexec_b64 s[8:9], s[24:25]
	s_cbranch_execz .LBB1649_231
.LBB1649_255:
	s_waitcnt vmcnt(0) lgkmcnt(0)
	flat_store_byte v[2:3], v48 offset:5
	s_or_b64 exec, exec, s[8:9]
	s_and_saveexec_b64 s[8:9], s[14:15]
	s_cbranch_execz .LBB1649_232
.LBB1649_256:
	s_waitcnt vmcnt(0) lgkmcnt(0)
	flat_store_byte v[2:3], v52 offset:6
	s_or_b64 exec, exec, s[8:9]
	s_and_saveexec_b64 s[8:9], s[16:17]
	s_cbranch_execnz .LBB1649_233
	s_branch .LBB1649_234
.LBB1649_257:
	s_waitcnt vmcnt(0) lgkmcnt(0)
	flat_store_dwordx2 v[0:1], v[4:5]
	s_or_b64 exec, exec, s[8:9]
	s_and_saveexec_b64 s[8:9], s[4:5]
	s_cbranch_execz .LBB1649_236
.LBB1649_258:
	s_waitcnt vmcnt(0) lgkmcnt(0)
	flat_store_dwordx2 v[0:1], v[12:13] offset:8
	s_or_b64 exec, exec, s[8:9]
	s_and_saveexec_b64 s[4:5], s[6:7]
	s_cbranch_execz .LBB1649_237
.LBB1649_259:
	s_waitcnt vmcnt(0) lgkmcnt(0)
	flat_store_dwordx2 v[0:1], v[14:15] offset:16
	s_or_b64 exec, exec, s[4:5]
	s_and_saveexec_b64 s[4:5], s[18:19]
	s_cbranch_execz .LBB1649_238
.LBB1649_260:
	s_waitcnt vmcnt(0) lgkmcnt(0)
	flat_store_dwordx2 v[0:1], v[16:17] offset:24
	s_or_b64 exec, exec, s[4:5]
	s_and_saveexec_b64 s[4:5], s[10:11]
	s_cbranch_execz .LBB1649_239
.LBB1649_261:
	s_waitcnt vmcnt(0) lgkmcnt(0)
	flat_store_dwordx2 v[0:1], v[20:21] offset:32
	s_or_b64 exec, exec, s[4:5]
	s_and_saveexec_b64 s[4:5], s[24:25]
	s_cbranch_execz .LBB1649_240
.LBB1649_262:
	s_waitcnt vmcnt(0) lgkmcnt(0)
	flat_store_dwordx2 v[0:1], v[22:23] offset:40
	s_or_b64 exec, exec, s[4:5]
	s_and_saveexec_b64 s[4:5], s[14:15]
	s_cbranch_execz .LBB1649_241
.LBB1649_263:
	s_waitcnt vmcnt(0) lgkmcnt(0)
	flat_store_dwordx2 v[0:1], v[18:19] offset:48
	s_or_b64 exec, exec, s[4:5]
	s_and_saveexec_b64 s[4:5], s[16:17]
	s_cbranch_execz .LBB1649_242
.LBB1649_264:
	s_waitcnt vmcnt(0) lgkmcnt(0)
	flat_store_dwordx2 v[0:1], v[24:25] offset:56
	s_or_b64 exec, exec, s[4:5]
	s_waitcnt vmcnt(0) lgkmcnt(0)
	s_setpc_b64 s[30:31]
.Lfunc_end1649:
	.size	_ZN7rocprim17ROCPRIM_400000_NS6detail26segmented_warp_sort_helperINS1_20WarpSortHelperConfigILj16ELj8ELj256EEEblLi256ELb0EvE4sortIPKbPbPKlPlEEvT_T0_T1_T2_jjjjRNS5_12storage_typeE, .Lfunc_end1649-_ZN7rocprim17ROCPRIM_400000_NS6detail26segmented_warp_sort_helperINS1_20WarpSortHelperConfigILj16ELj8ELj256EEEblLi256ELb0EvE4sortIPKbPbPKlPlEEvT_T0_T1_T2_jjjjRNS5_12storage_typeE
                                        ; -- End function
	.set .L_ZN7rocprim17ROCPRIM_400000_NS6detail26segmented_warp_sort_helperINS1_20WarpSortHelperConfigILj16ELj8ELj256EEEblLi256ELb0EvE4sortIPKbPbPKlPlEEvT_T0_T1_T2_jjjjRNS5_12storage_typeE.num_vgpr, 69
	.set .L_ZN7rocprim17ROCPRIM_400000_NS6detail26segmented_warp_sort_helperINS1_20WarpSortHelperConfigILj16ELj8ELj256EEEblLi256ELb0EvE4sortIPKbPbPKlPlEEvT_T0_T1_T2_jjjjRNS5_12storage_typeE.num_agpr, 0
	.set .L_ZN7rocprim17ROCPRIM_400000_NS6detail26segmented_warp_sort_helperINS1_20WarpSortHelperConfigILj16ELj8ELj256EEEblLi256ELb0EvE4sortIPKbPbPKlPlEEvT_T0_T1_T2_jjjjRNS5_12storage_typeE.numbered_sgpr, 58
	.set .L_ZN7rocprim17ROCPRIM_400000_NS6detail26segmented_warp_sort_helperINS1_20WarpSortHelperConfigILj16ELj8ELj256EEEblLi256ELb0EvE4sortIPKbPbPKlPlEEvT_T0_T1_T2_jjjjRNS5_12storage_typeE.num_named_barrier, 0
	.set .L_ZN7rocprim17ROCPRIM_400000_NS6detail26segmented_warp_sort_helperINS1_20WarpSortHelperConfigILj16ELj8ELj256EEEblLi256ELb0EvE4sortIPKbPbPKlPlEEvT_T0_T1_T2_jjjjRNS5_12storage_typeE.private_seg_size, 12
	.set .L_ZN7rocprim17ROCPRIM_400000_NS6detail26segmented_warp_sort_helperINS1_20WarpSortHelperConfigILj16ELj8ELj256EEEblLi256ELb0EvE4sortIPKbPbPKlPlEEvT_T0_T1_T2_jjjjRNS5_12storage_typeE.uses_vcc, 1
	.set .L_ZN7rocprim17ROCPRIM_400000_NS6detail26segmented_warp_sort_helperINS1_20WarpSortHelperConfigILj16ELj8ELj256EEEblLi256ELb0EvE4sortIPKbPbPKlPlEEvT_T0_T1_T2_jjjjRNS5_12storage_typeE.uses_flat_scratch, 0
	.set .L_ZN7rocprim17ROCPRIM_400000_NS6detail26segmented_warp_sort_helperINS1_20WarpSortHelperConfigILj16ELj8ELj256EEEblLi256ELb0EvE4sortIPKbPbPKlPlEEvT_T0_T1_T2_jjjjRNS5_12storage_typeE.has_dyn_sized_stack, 0
	.set .L_ZN7rocprim17ROCPRIM_400000_NS6detail26segmented_warp_sort_helperINS1_20WarpSortHelperConfigILj16ELj8ELj256EEEblLi256ELb0EvE4sortIPKbPbPKlPlEEvT_T0_T1_T2_jjjjRNS5_12storage_typeE.has_recursion, 0
	.set .L_ZN7rocprim17ROCPRIM_400000_NS6detail26segmented_warp_sort_helperINS1_20WarpSortHelperConfigILj16ELj8ELj256EEEblLi256ELb0EvE4sortIPKbPbPKlPlEEvT_T0_T1_T2_jjjjRNS5_12storage_typeE.has_indirect_call, 0
	.section	.AMDGPU.csdata,"",@progbits
; Function info:
; codeLenInByte = 16780
; TotalNumSgprs: 62
; NumVgprs: 69
; ScratchSize: 12
; MemoryBound: 0
	.section	.text._ZN7rocprim17ROCPRIM_400000_NS6detail17trampoline_kernelINS0_14default_configENS1_36segmented_radix_sort_config_selectorIblEEZNS1_25segmented_radix_sort_implIS3_Lb0EPKbPbPKlPlN2at6native12_GLOBAL__N_18offset_tEEE10hipError_tPvRmT1_PNSt15iterator_traitsISK_E10value_typeET2_T3_PNSL_ISQ_E10value_typeET4_jRbjT5_SW_jjP12ihipStream_tbEUlT_E0_NS1_11comp_targetILNS1_3genE2ELNS1_11target_archE906ELNS1_3gpuE6ELNS1_3repE0EEENS1_60segmented_radix_sort_warp_sort_medium_config_static_selectorELNS0_4arch9wavefront6targetE1EEEvSK_,"axG",@progbits,_ZN7rocprim17ROCPRIM_400000_NS6detail17trampoline_kernelINS0_14default_configENS1_36segmented_radix_sort_config_selectorIblEEZNS1_25segmented_radix_sort_implIS3_Lb0EPKbPbPKlPlN2at6native12_GLOBAL__N_18offset_tEEE10hipError_tPvRmT1_PNSt15iterator_traitsISK_E10value_typeET2_T3_PNSL_ISQ_E10value_typeET4_jRbjT5_SW_jjP12ihipStream_tbEUlT_E0_NS1_11comp_targetILNS1_3genE2ELNS1_11target_archE906ELNS1_3gpuE6ELNS1_3repE0EEENS1_60segmented_radix_sort_warp_sort_medium_config_static_selectorELNS0_4arch9wavefront6targetE1EEEvSK_,comdat
	.globl	_ZN7rocprim17ROCPRIM_400000_NS6detail17trampoline_kernelINS0_14default_configENS1_36segmented_radix_sort_config_selectorIblEEZNS1_25segmented_radix_sort_implIS3_Lb0EPKbPbPKlPlN2at6native12_GLOBAL__N_18offset_tEEE10hipError_tPvRmT1_PNSt15iterator_traitsISK_E10value_typeET2_T3_PNSL_ISQ_E10value_typeET4_jRbjT5_SW_jjP12ihipStream_tbEUlT_E0_NS1_11comp_targetILNS1_3genE2ELNS1_11target_archE906ELNS1_3gpuE6ELNS1_3repE0EEENS1_60segmented_radix_sort_warp_sort_medium_config_static_selectorELNS0_4arch9wavefront6targetE1EEEvSK_ ; -- Begin function _ZN7rocprim17ROCPRIM_400000_NS6detail17trampoline_kernelINS0_14default_configENS1_36segmented_radix_sort_config_selectorIblEEZNS1_25segmented_radix_sort_implIS3_Lb0EPKbPbPKlPlN2at6native12_GLOBAL__N_18offset_tEEE10hipError_tPvRmT1_PNSt15iterator_traitsISK_E10value_typeET2_T3_PNSL_ISQ_E10value_typeET4_jRbjT5_SW_jjP12ihipStream_tbEUlT_E0_NS1_11comp_targetILNS1_3genE2ELNS1_11target_archE906ELNS1_3gpuE6ELNS1_3repE0EEENS1_60segmented_radix_sort_warp_sort_medium_config_static_selectorELNS0_4arch9wavefront6targetE1EEEvSK_
	.p2align	8
	.type	_ZN7rocprim17ROCPRIM_400000_NS6detail17trampoline_kernelINS0_14default_configENS1_36segmented_radix_sort_config_selectorIblEEZNS1_25segmented_radix_sort_implIS3_Lb0EPKbPbPKlPlN2at6native12_GLOBAL__N_18offset_tEEE10hipError_tPvRmT1_PNSt15iterator_traitsISK_E10value_typeET2_T3_PNSL_ISQ_E10value_typeET4_jRbjT5_SW_jjP12ihipStream_tbEUlT_E0_NS1_11comp_targetILNS1_3genE2ELNS1_11target_archE906ELNS1_3gpuE6ELNS1_3repE0EEENS1_60segmented_radix_sort_warp_sort_medium_config_static_selectorELNS0_4arch9wavefront6targetE1EEEvSK_,@function
_ZN7rocprim17ROCPRIM_400000_NS6detail17trampoline_kernelINS0_14default_configENS1_36segmented_radix_sort_config_selectorIblEEZNS1_25segmented_radix_sort_implIS3_Lb0EPKbPbPKlPlN2at6native12_GLOBAL__N_18offset_tEEE10hipError_tPvRmT1_PNSt15iterator_traitsISK_E10value_typeET2_T3_PNSL_ISQ_E10value_typeET4_jRbjT5_SW_jjP12ihipStream_tbEUlT_E0_NS1_11comp_targetILNS1_3genE2ELNS1_11target_archE906ELNS1_3gpuE6ELNS1_3repE0EEENS1_60segmented_radix_sort_warp_sort_medium_config_static_selectorELNS0_4arch9wavefront6targetE1EEEvSK_: ; @_ZN7rocprim17ROCPRIM_400000_NS6detail17trampoline_kernelINS0_14default_configENS1_36segmented_radix_sort_config_selectorIblEEZNS1_25segmented_radix_sort_implIS3_Lb0EPKbPbPKlPlN2at6native12_GLOBAL__N_18offset_tEEE10hipError_tPvRmT1_PNSt15iterator_traitsISK_E10value_typeET2_T3_PNSL_ISQ_E10value_typeET4_jRbjT5_SW_jjP12ihipStream_tbEUlT_E0_NS1_11comp_targetILNS1_3genE2ELNS1_11target_archE906ELNS1_3gpuE6ELNS1_3repE0EEENS1_60segmented_radix_sort_warp_sort_medium_config_static_selectorELNS0_4arch9wavefront6targetE1EEEvSK_
; %bb.0:
	s_add_u32 s0, s0, s8
	s_load_dword s8, s[4:5], 0x64
	s_addc_u32 s1, s1, 0
	s_mov_b32 s32, 0
	s_waitcnt lgkmcnt(0)
	s_lshr_b32 s9, s8, 16
	s_and_b32 s8, s8, 0xffff
	v_mad_u32_u24 v3, v2, s9, v1
	v_mad_u64_u32 v[3:4], s[8:9], v3, s8, v[0:1]
	s_load_dword s8, s[4:5], 0x34
	v_lshrrev_b32_e32 v3, 4, v3
	v_lshl_add_u32 v3, s6, 4, v3
	s_waitcnt lgkmcnt(0)
	v_cmp_gt_u32_e32 vcc, s8, v3
	s_and_saveexec_b64 s[8:9], vcc
	s_cbranch_execz .LBB1650_6
; %bb.1:
	s_load_dwordx2 s[12:13], s[4:5], 0x38
	s_load_dwordx4 s[8:11], s[4:5], 0x40
	v_mov_b32_e32 v4, 0
	v_lshlrev_b64 v[3:4], 2, v[3:4]
	s_waitcnt lgkmcnt(0)
	v_mov_b32_e32 v5, s13
	v_add_co_u32_e32 v3, vcc, s12, v3
	v_addc_co_u32_e32 v4, vcc, v5, v4, vcc
	global_load_dword v3, v[3:4], off
	s_waitcnt vmcnt(0)
	v_add_u32_e32 v4, s9, v3
	v_add_u32_e32 v3, s11, v3
	v_mul_lo_u32 v8, v4, s8
	v_mul_lo_u32 v40, v3, s10
	v_cmp_gt_u32_e32 vcc, v40, v8
	s_and_b64 exec, exec, vcc
	s_cbranch_execz .LBB1650_6
; %bb.2:
	s_load_dword s10, s[4:5], 0x30
	s_load_dwordx4 s[36:39], s[4:5], 0x20
	s_load_dwordx8 s[48:55], s[4:5], 0x0
	s_load_dwordx2 s[34:35], s[4:5], 0x50
	s_mov_b64 s[8:9], -1
	s_waitcnt lgkmcnt(0)
	s_bitcmp0_b32 s10, 0
	v_lshlrev_b32_e32 v42, 20, v2
	v_lshlrev_b32_e32 v43, 10, v1
	s_cbranch_scc0 .LBB1650_4
; %bb.3:
	s_add_u32 s8, s4, 0x58
	s_addc_u32 s9, s5, 0
	s_getpc_b64 s[10:11]
	s_add_u32 s10, s10, _ZN7rocprim17ROCPRIM_400000_NS6detail26segmented_warp_sort_helperINS1_20WarpSortHelperConfigILj16ELj8ELj256EEEblLi256ELb0EvE4sortIPKbPbPKlPlEEvT_T0_T1_T2_jjjjRNS5_12storage_typeE@rel32@lo+4
	s_addc_u32 s11, s11, _ZN7rocprim17ROCPRIM_400000_NS6detail26segmented_warp_sort_helperINS1_20WarpSortHelperConfigILj16ELj8ELj256EEEblLi256ELb0EvE4sortIPKbPbPKlPlEEvT_T0_T1_T2_jjjjRNS5_12storage_typeE@rel32@hi+12
	v_or3_b32 v31, v0, v43, v42
	s_mov_b32 s12, s6
	s_mov_b32 s13, s7
	v_mov_b32_e32 v41, v0
	v_mov_b32_e32 v0, s48
	;; [unrolled: 1-line block ×12, first 2 shown]
	s_mov_b64 s[36:37], s[4:5]
	s_mov_b32 s50, s7
	s_mov_b32 s33, s6
	s_swappc_b64 s[30:31], s[10:11]
	v_mov_b32_e32 v0, v41
	s_mov_b32 s6, s33
	s_mov_b32 s7, s50
	s_mov_b64 s[4:5], s[36:37]
	s_mov_b64 s[8:9], 0
.LBB1650_4:
	s_andn2_b64 vcc, exec, s[8:9]
	s_cbranch_vccnz .LBB1650_6
; %bb.5:
	s_add_u32 s8, s4, 0x58
	s_addc_u32 s9, s5, 0
	s_getpc_b64 s[4:5]
	s_add_u32 s4, s4, _ZN7rocprim17ROCPRIM_400000_NS6detail26segmented_warp_sort_helperINS1_20WarpSortHelperConfigILj16ELj8ELj256EEEblLi256ELb0EvE4sortIPKbPbPKlPlEEvT_T0_T1_T2_jjjjRNS5_12storage_typeE@rel32@lo+4
	s_addc_u32 s5, s5, _ZN7rocprim17ROCPRIM_400000_NS6detail26segmented_warp_sort_helperINS1_20WarpSortHelperConfigILj16ELj8ELj256EEEblLi256ELb0EvE4sortIPKbPbPKlPlEEvT_T0_T1_T2_jjjjRNS5_12storage_typeE@rel32@hi+12
	v_or3_b32 v31, v0, v43, v42
	s_mov_b32 s12, s6
	s_mov_b32 s13, s7
	v_mov_b32_e32 v0, s48
	v_mov_b32_e32 v1, s49
	v_mov_b32_e32 v2, s52
	v_mov_b32_e32 v3, s53
	v_mov_b32_e32 v4, s54
	v_mov_b32_e32 v5, s55
	v_mov_b32_e32 v6, s38
	v_mov_b32_e32 v7, s39
	v_mov_b32_e32 v9, v40
	v_mov_b32_e32 v10, s34
	v_mov_b32_e32 v11, s35
	s_swappc_b64 s[30:31], s[4:5]
.LBB1650_6:
	s_endpgm
	.section	.rodata,"a",@progbits
	.p2align	6, 0x0
	.amdhsa_kernel _ZN7rocprim17ROCPRIM_400000_NS6detail17trampoline_kernelINS0_14default_configENS1_36segmented_radix_sort_config_selectorIblEEZNS1_25segmented_radix_sort_implIS3_Lb0EPKbPbPKlPlN2at6native12_GLOBAL__N_18offset_tEEE10hipError_tPvRmT1_PNSt15iterator_traitsISK_E10value_typeET2_T3_PNSL_ISQ_E10value_typeET4_jRbjT5_SW_jjP12ihipStream_tbEUlT_E0_NS1_11comp_targetILNS1_3genE2ELNS1_11target_archE906ELNS1_3gpuE6ELNS1_3repE0EEENS1_60segmented_radix_sort_warp_sort_medium_config_static_selectorELNS0_4arch9wavefront6targetE1EEEvSK_
		.amdhsa_group_segment_fixed_size 18432
		.amdhsa_private_segment_fixed_size 12
		.amdhsa_kernarg_size 344
		.amdhsa_user_sgpr_count 6
		.amdhsa_user_sgpr_private_segment_buffer 1
		.amdhsa_user_sgpr_dispatch_ptr 0
		.amdhsa_user_sgpr_queue_ptr 0
		.amdhsa_user_sgpr_kernarg_segment_ptr 1
		.amdhsa_user_sgpr_dispatch_id 0
		.amdhsa_user_sgpr_flat_scratch_init 0
		.amdhsa_user_sgpr_private_segment_size 0
		.amdhsa_uses_dynamic_stack 0
		.amdhsa_system_sgpr_private_segment_wavefront_offset 1
		.amdhsa_system_sgpr_workgroup_id_x 1
		.amdhsa_system_sgpr_workgroup_id_y 1
		.amdhsa_system_sgpr_workgroup_id_z 0
		.amdhsa_system_sgpr_workgroup_info 0
		.amdhsa_system_vgpr_workitem_id 2
		.amdhsa_next_free_vgpr 69
		.amdhsa_next_free_sgpr 98
		.amdhsa_reserve_vcc 1
		.amdhsa_reserve_flat_scratch 0
		.amdhsa_float_round_mode_32 0
		.amdhsa_float_round_mode_16_64 0
		.amdhsa_float_denorm_mode_32 3
		.amdhsa_float_denorm_mode_16_64 3
		.amdhsa_dx10_clamp 1
		.amdhsa_ieee_mode 1
		.amdhsa_fp16_overflow 0
		.amdhsa_exception_fp_ieee_invalid_op 0
		.amdhsa_exception_fp_denorm_src 0
		.amdhsa_exception_fp_ieee_div_zero 0
		.amdhsa_exception_fp_ieee_overflow 0
		.amdhsa_exception_fp_ieee_underflow 0
		.amdhsa_exception_fp_ieee_inexact 0
		.amdhsa_exception_int_div_zero 0
	.end_amdhsa_kernel
	.section	.text._ZN7rocprim17ROCPRIM_400000_NS6detail17trampoline_kernelINS0_14default_configENS1_36segmented_radix_sort_config_selectorIblEEZNS1_25segmented_radix_sort_implIS3_Lb0EPKbPbPKlPlN2at6native12_GLOBAL__N_18offset_tEEE10hipError_tPvRmT1_PNSt15iterator_traitsISK_E10value_typeET2_T3_PNSL_ISQ_E10value_typeET4_jRbjT5_SW_jjP12ihipStream_tbEUlT_E0_NS1_11comp_targetILNS1_3genE2ELNS1_11target_archE906ELNS1_3gpuE6ELNS1_3repE0EEENS1_60segmented_radix_sort_warp_sort_medium_config_static_selectorELNS0_4arch9wavefront6targetE1EEEvSK_,"axG",@progbits,_ZN7rocprim17ROCPRIM_400000_NS6detail17trampoline_kernelINS0_14default_configENS1_36segmented_radix_sort_config_selectorIblEEZNS1_25segmented_radix_sort_implIS3_Lb0EPKbPbPKlPlN2at6native12_GLOBAL__N_18offset_tEEE10hipError_tPvRmT1_PNSt15iterator_traitsISK_E10value_typeET2_T3_PNSL_ISQ_E10value_typeET4_jRbjT5_SW_jjP12ihipStream_tbEUlT_E0_NS1_11comp_targetILNS1_3genE2ELNS1_11target_archE906ELNS1_3gpuE6ELNS1_3repE0EEENS1_60segmented_radix_sort_warp_sort_medium_config_static_selectorELNS0_4arch9wavefront6targetE1EEEvSK_,comdat
.Lfunc_end1650:
	.size	_ZN7rocprim17ROCPRIM_400000_NS6detail17trampoline_kernelINS0_14default_configENS1_36segmented_radix_sort_config_selectorIblEEZNS1_25segmented_radix_sort_implIS3_Lb0EPKbPbPKlPlN2at6native12_GLOBAL__N_18offset_tEEE10hipError_tPvRmT1_PNSt15iterator_traitsISK_E10value_typeET2_T3_PNSL_ISQ_E10value_typeET4_jRbjT5_SW_jjP12ihipStream_tbEUlT_E0_NS1_11comp_targetILNS1_3genE2ELNS1_11target_archE906ELNS1_3gpuE6ELNS1_3repE0EEENS1_60segmented_radix_sort_warp_sort_medium_config_static_selectorELNS0_4arch9wavefront6targetE1EEEvSK_, .Lfunc_end1650-_ZN7rocprim17ROCPRIM_400000_NS6detail17trampoline_kernelINS0_14default_configENS1_36segmented_radix_sort_config_selectorIblEEZNS1_25segmented_radix_sort_implIS3_Lb0EPKbPbPKlPlN2at6native12_GLOBAL__N_18offset_tEEE10hipError_tPvRmT1_PNSt15iterator_traitsISK_E10value_typeET2_T3_PNSL_ISQ_E10value_typeET4_jRbjT5_SW_jjP12ihipStream_tbEUlT_E0_NS1_11comp_targetILNS1_3genE2ELNS1_11target_archE906ELNS1_3gpuE6ELNS1_3repE0EEENS1_60segmented_radix_sort_warp_sort_medium_config_static_selectorELNS0_4arch9wavefront6targetE1EEEvSK_
                                        ; -- End function
	.set _ZN7rocprim17ROCPRIM_400000_NS6detail17trampoline_kernelINS0_14default_configENS1_36segmented_radix_sort_config_selectorIblEEZNS1_25segmented_radix_sort_implIS3_Lb0EPKbPbPKlPlN2at6native12_GLOBAL__N_18offset_tEEE10hipError_tPvRmT1_PNSt15iterator_traitsISK_E10value_typeET2_T3_PNSL_ISQ_E10value_typeET4_jRbjT5_SW_jjP12ihipStream_tbEUlT_E0_NS1_11comp_targetILNS1_3genE2ELNS1_11target_archE906ELNS1_3gpuE6ELNS1_3repE0EEENS1_60segmented_radix_sort_warp_sort_medium_config_static_selectorELNS0_4arch9wavefront6targetE1EEEvSK_.num_vgpr, max(44, .L_ZN7rocprim17ROCPRIM_400000_NS6detail26segmented_warp_sort_helperINS1_20WarpSortHelperConfigILj16ELj8ELj256EEEblLi256ELb0EvE4sortIPKbPbPKlPlEEvT_T0_T1_T2_jjjjRNS5_12storage_typeE.num_vgpr)
	.set _ZN7rocprim17ROCPRIM_400000_NS6detail17trampoline_kernelINS0_14default_configENS1_36segmented_radix_sort_config_selectorIblEEZNS1_25segmented_radix_sort_implIS3_Lb0EPKbPbPKlPlN2at6native12_GLOBAL__N_18offset_tEEE10hipError_tPvRmT1_PNSt15iterator_traitsISK_E10value_typeET2_T3_PNSL_ISQ_E10value_typeET4_jRbjT5_SW_jjP12ihipStream_tbEUlT_E0_NS1_11comp_targetILNS1_3genE2ELNS1_11target_archE906ELNS1_3gpuE6ELNS1_3repE0EEENS1_60segmented_radix_sort_warp_sort_medium_config_static_selectorELNS0_4arch9wavefront6targetE1EEEvSK_.num_agpr, max(0, .L_ZN7rocprim17ROCPRIM_400000_NS6detail26segmented_warp_sort_helperINS1_20WarpSortHelperConfigILj16ELj8ELj256EEEblLi256ELb0EvE4sortIPKbPbPKlPlEEvT_T0_T1_T2_jjjjRNS5_12storage_typeE.num_agpr)
	.set _ZN7rocprim17ROCPRIM_400000_NS6detail17trampoline_kernelINS0_14default_configENS1_36segmented_radix_sort_config_selectorIblEEZNS1_25segmented_radix_sort_implIS3_Lb0EPKbPbPKlPlN2at6native12_GLOBAL__N_18offset_tEEE10hipError_tPvRmT1_PNSt15iterator_traitsISK_E10value_typeET2_T3_PNSL_ISQ_E10value_typeET4_jRbjT5_SW_jjP12ihipStream_tbEUlT_E0_NS1_11comp_targetILNS1_3genE2ELNS1_11target_archE906ELNS1_3gpuE6ELNS1_3repE0EEENS1_60segmented_radix_sort_warp_sort_medium_config_static_selectorELNS0_4arch9wavefront6targetE1EEEvSK_.numbered_sgpr, max(56, .L_ZN7rocprim17ROCPRIM_400000_NS6detail26segmented_warp_sort_helperINS1_20WarpSortHelperConfigILj16ELj8ELj256EEEblLi256ELb0EvE4sortIPKbPbPKlPlEEvT_T0_T1_T2_jjjjRNS5_12storage_typeE.numbered_sgpr)
	.set _ZN7rocprim17ROCPRIM_400000_NS6detail17trampoline_kernelINS0_14default_configENS1_36segmented_radix_sort_config_selectorIblEEZNS1_25segmented_radix_sort_implIS3_Lb0EPKbPbPKlPlN2at6native12_GLOBAL__N_18offset_tEEE10hipError_tPvRmT1_PNSt15iterator_traitsISK_E10value_typeET2_T3_PNSL_ISQ_E10value_typeET4_jRbjT5_SW_jjP12ihipStream_tbEUlT_E0_NS1_11comp_targetILNS1_3genE2ELNS1_11target_archE906ELNS1_3gpuE6ELNS1_3repE0EEENS1_60segmented_radix_sort_warp_sort_medium_config_static_selectorELNS0_4arch9wavefront6targetE1EEEvSK_.num_named_barrier, max(0, .L_ZN7rocprim17ROCPRIM_400000_NS6detail26segmented_warp_sort_helperINS1_20WarpSortHelperConfigILj16ELj8ELj256EEEblLi256ELb0EvE4sortIPKbPbPKlPlEEvT_T0_T1_T2_jjjjRNS5_12storage_typeE.num_named_barrier)
	.set _ZN7rocprim17ROCPRIM_400000_NS6detail17trampoline_kernelINS0_14default_configENS1_36segmented_radix_sort_config_selectorIblEEZNS1_25segmented_radix_sort_implIS3_Lb0EPKbPbPKlPlN2at6native12_GLOBAL__N_18offset_tEEE10hipError_tPvRmT1_PNSt15iterator_traitsISK_E10value_typeET2_T3_PNSL_ISQ_E10value_typeET4_jRbjT5_SW_jjP12ihipStream_tbEUlT_E0_NS1_11comp_targetILNS1_3genE2ELNS1_11target_archE906ELNS1_3gpuE6ELNS1_3repE0EEENS1_60segmented_radix_sort_warp_sort_medium_config_static_selectorELNS0_4arch9wavefront6targetE1EEEvSK_.private_seg_size, 0+max(.L_ZN7rocprim17ROCPRIM_400000_NS6detail26segmented_warp_sort_helperINS1_20WarpSortHelperConfigILj16ELj8ELj256EEEblLi256ELb0EvE4sortIPKbPbPKlPlEEvT_T0_T1_T2_jjjjRNS5_12storage_typeE.private_seg_size)
	.set _ZN7rocprim17ROCPRIM_400000_NS6detail17trampoline_kernelINS0_14default_configENS1_36segmented_radix_sort_config_selectorIblEEZNS1_25segmented_radix_sort_implIS3_Lb0EPKbPbPKlPlN2at6native12_GLOBAL__N_18offset_tEEE10hipError_tPvRmT1_PNSt15iterator_traitsISK_E10value_typeET2_T3_PNSL_ISQ_E10value_typeET4_jRbjT5_SW_jjP12ihipStream_tbEUlT_E0_NS1_11comp_targetILNS1_3genE2ELNS1_11target_archE906ELNS1_3gpuE6ELNS1_3repE0EEENS1_60segmented_radix_sort_warp_sort_medium_config_static_selectorELNS0_4arch9wavefront6targetE1EEEvSK_.uses_vcc, or(1, .L_ZN7rocprim17ROCPRIM_400000_NS6detail26segmented_warp_sort_helperINS1_20WarpSortHelperConfigILj16ELj8ELj256EEEblLi256ELb0EvE4sortIPKbPbPKlPlEEvT_T0_T1_T2_jjjjRNS5_12storage_typeE.uses_vcc)
	.set _ZN7rocprim17ROCPRIM_400000_NS6detail17trampoline_kernelINS0_14default_configENS1_36segmented_radix_sort_config_selectorIblEEZNS1_25segmented_radix_sort_implIS3_Lb0EPKbPbPKlPlN2at6native12_GLOBAL__N_18offset_tEEE10hipError_tPvRmT1_PNSt15iterator_traitsISK_E10value_typeET2_T3_PNSL_ISQ_E10value_typeET4_jRbjT5_SW_jjP12ihipStream_tbEUlT_E0_NS1_11comp_targetILNS1_3genE2ELNS1_11target_archE906ELNS1_3gpuE6ELNS1_3repE0EEENS1_60segmented_radix_sort_warp_sort_medium_config_static_selectorELNS0_4arch9wavefront6targetE1EEEvSK_.uses_flat_scratch, or(0, .L_ZN7rocprim17ROCPRIM_400000_NS6detail26segmented_warp_sort_helperINS1_20WarpSortHelperConfigILj16ELj8ELj256EEEblLi256ELb0EvE4sortIPKbPbPKlPlEEvT_T0_T1_T2_jjjjRNS5_12storage_typeE.uses_flat_scratch)
	.set _ZN7rocprim17ROCPRIM_400000_NS6detail17trampoline_kernelINS0_14default_configENS1_36segmented_radix_sort_config_selectorIblEEZNS1_25segmented_radix_sort_implIS3_Lb0EPKbPbPKlPlN2at6native12_GLOBAL__N_18offset_tEEE10hipError_tPvRmT1_PNSt15iterator_traitsISK_E10value_typeET2_T3_PNSL_ISQ_E10value_typeET4_jRbjT5_SW_jjP12ihipStream_tbEUlT_E0_NS1_11comp_targetILNS1_3genE2ELNS1_11target_archE906ELNS1_3gpuE6ELNS1_3repE0EEENS1_60segmented_radix_sort_warp_sort_medium_config_static_selectorELNS0_4arch9wavefront6targetE1EEEvSK_.has_dyn_sized_stack, or(0, .L_ZN7rocprim17ROCPRIM_400000_NS6detail26segmented_warp_sort_helperINS1_20WarpSortHelperConfigILj16ELj8ELj256EEEblLi256ELb0EvE4sortIPKbPbPKlPlEEvT_T0_T1_T2_jjjjRNS5_12storage_typeE.has_dyn_sized_stack)
	.set _ZN7rocprim17ROCPRIM_400000_NS6detail17trampoline_kernelINS0_14default_configENS1_36segmented_radix_sort_config_selectorIblEEZNS1_25segmented_radix_sort_implIS3_Lb0EPKbPbPKlPlN2at6native12_GLOBAL__N_18offset_tEEE10hipError_tPvRmT1_PNSt15iterator_traitsISK_E10value_typeET2_T3_PNSL_ISQ_E10value_typeET4_jRbjT5_SW_jjP12ihipStream_tbEUlT_E0_NS1_11comp_targetILNS1_3genE2ELNS1_11target_archE906ELNS1_3gpuE6ELNS1_3repE0EEENS1_60segmented_radix_sort_warp_sort_medium_config_static_selectorELNS0_4arch9wavefront6targetE1EEEvSK_.has_recursion, or(0, .L_ZN7rocprim17ROCPRIM_400000_NS6detail26segmented_warp_sort_helperINS1_20WarpSortHelperConfigILj16ELj8ELj256EEEblLi256ELb0EvE4sortIPKbPbPKlPlEEvT_T0_T1_T2_jjjjRNS5_12storage_typeE.has_recursion)
	.set _ZN7rocprim17ROCPRIM_400000_NS6detail17trampoline_kernelINS0_14default_configENS1_36segmented_radix_sort_config_selectorIblEEZNS1_25segmented_radix_sort_implIS3_Lb0EPKbPbPKlPlN2at6native12_GLOBAL__N_18offset_tEEE10hipError_tPvRmT1_PNSt15iterator_traitsISK_E10value_typeET2_T3_PNSL_ISQ_E10value_typeET4_jRbjT5_SW_jjP12ihipStream_tbEUlT_E0_NS1_11comp_targetILNS1_3genE2ELNS1_11target_archE906ELNS1_3gpuE6ELNS1_3repE0EEENS1_60segmented_radix_sort_warp_sort_medium_config_static_selectorELNS0_4arch9wavefront6targetE1EEEvSK_.has_indirect_call, or(0, .L_ZN7rocprim17ROCPRIM_400000_NS6detail26segmented_warp_sort_helperINS1_20WarpSortHelperConfigILj16ELj8ELj256EEEblLi256ELb0EvE4sortIPKbPbPKlPlEEvT_T0_T1_T2_jjjjRNS5_12storage_typeE.has_indirect_call)
	.section	.AMDGPU.csdata,"",@progbits
; Kernel info:
; codeLenInByte = 476
; TotalNumSgprs: 62
; NumVgprs: 69
; ScratchSize: 12
; MemoryBound: 0
; FloatMode: 240
; IeeeMode: 1
; LDSByteSize: 18432 bytes/workgroup (compile time only)
; SGPRBlocks: 12
; VGPRBlocks: 17
; NumSGPRsForWavesPerEU: 102
; NumVGPRsForWavesPerEU: 69
; Occupancy: 3
; WaveLimiterHint : 0
; COMPUTE_PGM_RSRC2:SCRATCH_EN: 1
; COMPUTE_PGM_RSRC2:USER_SGPR: 6
; COMPUTE_PGM_RSRC2:TRAP_HANDLER: 0
; COMPUTE_PGM_RSRC2:TGID_X_EN: 1
; COMPUTE_PGM_RSRC2:TGID_Y_EN: 1
; COMPUTE_PGM_RSRC2:TGID_Z_EN: 0
; COMPUTE_PGM_RSRC2:TIDIG_COMP_CNT: 2
	.section	.text._ZN7rocprim17ROCPRIM_400000_NS6detail17trampoline_kernelINS0_14default_configENS1_36segmented_radix_sort_config_selectorIblEEZNS1_25segmented_radix_sort_implIS3_Lb0EPKbPbPKlPlN2at6native12_GLOBAL__N_18offset_tEEE10hipError_tPvRmT1_PNSt15iterator_traitsISK_E10value_typeET2_T3_PNSL_ISQ_E10value_typeET4_jRbjT5_SW_jjP12ihipStream_tbEUlT_E0_NS1_11comp_targetILNS1_3genE10ELNS1_11target_archE1201ELNS1_3gpuE5ELNS1_3repE0EEENS1_60segmented_radix_sort_warp_sort_medium_config_static_selectorELNS0_4arch9wavefront6targetE1EEEvSK_,"axG",@progbits,_ZN7rocprim17ROCPRIM_400000_NS6detail17trampoline_kernelINS0_14default_configENS1_36segmented_radix_sort_config_selectorIblEEZNS1_25segmented_radix_sort_implIS3_Lb0EPKbPbPKlPlN2at6native12_GLOBAL__N_18offset_tEEE10hipError_tPvRmT1_PNSt15iterator_traitsISK_E10value_typeET2_T3_PNSL_ISQ_E10value_typeET4_jRbjT5_SW_jjP12ihipStream_tbEUlT_E0_NS1_11comp_targetILNS1_3genE10ELNS1_11target_archE1201ELNS1_3gpuE5ELNS1_3repE0EEENS1_60segmented_radix_sort_warp_sort_medium_config_static_selectorELNS0_4arch9wavefront6targetE1EEEvSK_,comdat
	.globl	_ZN7rocprim17ROCPRIM_400000_NS6detail17trampoline_kernelINS0_14default_configENS1_36segmented_radix_sort_config_selectorIblEEZNS1_25segmented_radix_sort_implIS3_Lb0EPKbPbPKlPlN2at6native12_GLOBAL__N_18offset_tEEE10hipError_tPvRmT1_PNSt15iterator_traitsISK_E10value_typeET2_T3_PNSL_ISQ_E10value_typeET4_jRbjT5_SW_jjP12ihipStream_tbEUlT_E0_NS1_11comp_targetILNS1_3genE10ELNS1_11target_archE1201ELNS1_3gpuE5ELNS1_3repE0EEENS1_60segmented_radix_sort_warp_sort_medium_config_static_selectorELNS0_4arch9wavefront6targetE1EEEvSK_ ; -- Begin function _ZN7rocprim17ROCPRIM_400000_NS6detail17trampoline_kernelINS0_14default_configENS1_36segmented_radix_sort_config_selectorIblEEZNS1_25segmented_radix_sort_implIS3_Lb0EPKbPbPKlPlN2at6native12_GLOBAL__N_18offset_tEEE10hipError_tPvRmT1_PNSt15iterator_traitsISK_E10value_typeET2_T3_PNSL_ISQ_E10value_typeET4_jRbjT5_SW_jjP12ihipStream_tbEUlT_E0_NS1_11comp_targetILNS1_3genE10ELNS1_11target_archE1201ELNS1_3gpuE5ELNS1_3repE0EEENS1_60segmented_radix_sort_warp_sort_medium_config_static_selectorELNS0_4arch9wavefront6targetE1EEEvSK_
	.p2align	8
	.type	_ZN7rocprim17ROCPRIM_400000_NS6detail17trampoline_kernelINS0_14default_configENS1_36segmented_radix_sort_config_selectorIblEEZNS1_25segmented_radix_sort_implIS3_Lb0EPKbPbPKlPlN2at6native12_GLOBAL__N_18offset_tEEE10hipError_tPvRmT1_PNSt15iterator_traitsISK_E10value_typeET2_T3_PNSL_ISQ_E10value_typeET4_jRbjT5_SW_jjP12ihipStream_tbEUlT_E0_NS1_11comp_targetILNS1_3genE10ELNS1_11target_archE1201ELNS1_3gpuE5ELNS1_3repE0EEENS1_60segmented_radix_sort_warp_sort_medium_config_static_selectorELNS0_4arch9wavefront6targetE1EEEvSK_,@function
_ZN7rocprim17ROCPRIM_400000_NS6detail17trampoline_kernelINS0_14default_configENS1_36segmented_radix_sort_config_selectorIblEEZNS1_25segmented_radix_sort_implIS3_Lb0EPKbPbPKlPlN2at6native12_GLOBAL__N_18offset_tEEE10hipError_tPvRmT1_PNSt15iterator_traitsISK_E10value_typeET2_T3_PNSL_ISQ_E10value_typeET4_jRbjT5_SW_jjP12ihipStream_tbEUlT_E0_NS1_11comp_targetILNS1_3genE10ELNS1_11target_archE1201ELNS1_3gpuE5ELNS1_3repE0EEENS1_60segmented_radix_sort_warp_sort_medium_config_static_selectorELNS0_4arch9wavefront6targetE1EEEvSK_: ; @_ZN7rocprim17ROCPRIM_400000_NS6detail17trampoline_kernelINS0_14default_configENS1_36segmented_radix_sort_config_selectorIblEEZNS1_25segmented_radix_sort_implIS3_Lb0EPKbPbPKlPlN2at6native12_GLOBAL__N_18offset_tEEE10hipError_tPvRmT1_PNSt15iterator_traitsISK_E10value_typeET2_T3_PNSL_ISQ_E10value_typeET4_jRbjT5_SW_jjP12ihipStream_tbEUlT_E0_NS1_11comp_targetILNS1_3genE10ELNS1_11target_archE1201ELNS1_3gpuE5ELNS1_3repE0EEENS1_60segmented_radix_sort_warp_sort_medium_config_static_selectorELNS0_4arch9wavefront6targetE1EEEvSK_
; %bb.0:
	.section	.rodata,"a",@progbits
	.p2align	6, 0x0
	.amdhsa_kernel _ZN7rocprim17ROCPRIM_400000_NS6detail17trampoline_kernelINS0_14default_configENS1_36segmented_radix_sort_config_selectorIblEEZNS1_25segmented_radix_sort_implIS3_Lb0EPKbPbPKlPlN2at6native12_GLOBAL__N_18offset_tEEE10hipError_tPvRmT1_PNSt15iterator_traitsISK_E10value_typeET2_T3_PNSL_ISQ_E10value_typeET4_jRbjT5_SW_jjP12ihipStream_tbEUlT_E0_NS1_11comp_targetILNS1_3genE10ELNS1_11target_archE1201ELNS1_3gpuE5ELNS1_3repE0EEENS1_60segmented_radix_sort_warp_sort_medium_config_static_selectorELNS0_4arch9wavefront6targetE1EEEvSK_
		.amdhsa_group_segment_fixed_size 0
		.amdhsa_private_segment_fixed_size 0
		.amdhsa_kernarg_size 88
		.amdhsa_user_sgpr_count 6
		.amdhsa_user_sgpr_private_segment_buffer 1
		.amdhsa_user_sgpr_dispatch_ptr 0
		.amdhsa_user_sgpr_queue_ptr 0
		.amdhsa_user_sgpr_kernarg_segment_ptr 1
		.amdhsa_user_sgpr_dispatch_id 0
		.amdhsa_user_sgpr_flat_scratch_init 0
		.amdhsa_user_sgpr_private_segment_size 0
		.amdhsa_uses_dynamic_stack 0
		.amdhsa_system_sgpr_private_segment_wavefront_offset 0
		.amdhsa_system_sgpr_workgroup_id_x 1
		.amdhsa_system_sgpr_workgroup_id_y 0
		.amdhsa_system_sgpr_workgroup_id_z 0
		.amdhsa_system_sgpr_workgroup_info 0
		.amdhsa_system_vgpr_workitem_id 0
		.amdhsa_next_free_vgpr 1
		.amdhsa_next_free_sgpr 0
		.amdhsa_reserve_vcc 0
		.amdhsa_reserve_flat_scratch 0
		.amdhsa_float_round_mode_32 0
		.amdhsa_float_round_mode_16_64 0
		.amdhsa_float_denorm_mode_32 3
		.amdhsa_float_denorm_mode_16_64 3
		.amdhsa_dx10_clamp 1
		.amdhsa_ieee_mode 1
		.amdhsa_fp16_overflow 0
		.amdhsa_exception_fp_ieee_invalid_op 0
		.amdhsa_exception_fp_denorm_src 0
		.amdhsa_exception_fp_ieee_div_zero 0
		.amdhsa_exception_fp_ieee_overflow 0
		.amdhsa_exception_fp_ieee_underflow 0
		.amdhsa_exception_fp_ieee_inexact 0
		.amdhsa_exception_int_div_zero 0
	.end_amdhsa_kernel
	.section	.text._ZN7rocprim17ROCPRIM_400000_NS6detail17trampoline_kernelINS0_14default_configENS1_36segmented_radix_sort_config_selectorIblEEZNS1_25segmented_radix_sort_implIS3_Lb0EPKbPbPKlPlN2at6native12_GLOBAL__N_18offset_tEEE10hipError_tPvRmT1_PNSt15iterator_traitsISK_E10value_typeET2_T3_PNSL_ISQ_E10value_typeET4_jRbjT5_SW_jjP12ihipStream_tbEUlT_E0_NS1_11comp_targetILNS1_3genE10ELNS1_11target_archE1201ELNS1_3gpuE5ELNS1_3repE0EEENS1_60segmented_radix_sort_warp_sort_medium_config_static_selectorELNS0_4arch9wavefront6targetE1EEEvSK_,"axG",@progbits,_ZN7rocprim17ROCPRIM_400000_NS6detail17trampoline_kernelINS0_14default_configENS1_36segmented_radix_sort_config_selectorIblEEZNS1_25segmented_radix_sort_implIS3_Lb0EPKbPbPKlPlN2at6native12_GLOBAL__N_18offset_tEEE10hipError_tPvRmT1_PNSt15iterator_traitsISK_E10value_typeET2_T3_PNSL_ISQ_E10value_typeET4_jRbjT5_SW_jjP12ihipStream_tbEUlT_E0_NS1_11comp_targetILNS1_3genE10ELNS1_11target_archE1201ELNS1_3gpuE5ELNS1_3repE0EEENS1_60segmented_radix_sort_warp_sort_medium_config_static_selectorELNS0_4arch9wavefront6targetE1EEEvSK_,comdat
.Lfunc_end1651:
	.size	_ZN7rocprim17ROCPRIM_400000_NS6detail17trampoline_kernelINS0_14default_configENS1_36segmented_radix_sort_config_selectorIblEEZNS1_25segmented_radix_sort_implIS3_Lb0EPKbPbPKlPlN2at6native12_GLOBAL__N_18offset_tEEE10hipError_tPvRmT1_PNSt15iterator_traitsISK_E10value_typeET2_T3_PNSL_ISQ_E10value_typeET4_jRbjT5_SW_jjP12ihipStream_tbEUlT_E0_NS1_11comp_targetILNS1_3genE10ELNS1_11target_archE1201ELNS1_3gpuE5ELNS1_3repE0EEENS1_60segmented_radix_sort_warp_sort_medium_config_static_selectorELNS0_4arch9wavefront6targetE1EEEvSK_, .Lfunc_end1651-_ZN7rocprim17ROCPRIM_400000_NS6detail17trampoline_kernelINS0_14default_configENS1_36segmented_radix_sort_config_selectorIblEEZNS1_25segmented_radix_sort_implIS3_Lb0EPKbPbPKlPlN2at6native12_GLOBAL__N_18offset_tEEE10hipError_tPvRmT1_PNSt15iterator_traitsISK_E10value_typeET2_T3_PNSL_ISQ_E10value_typeET4_jRbjT5_SW_jjP12ihipStream_tbEUlT_E0_NS1_11comp_targetILNS1_3genE10ELNS1_11target_archE1201ELNS1_3gpuE5ELNS1_3repE0EEENS1_60segmented_radix_sort_warp_sort_medium_config_static_selectorELNS0_4arch9wavefront6targetE1EEEvSK_
                                        ; -- End function
	.set _ZN7rocprim17ROCPRIM_400000_NS6detail17trampoline_kernelINS0_14default_configENS1_36segmented_radix_sort_config_selectorIblEEZNS1_25segmented_radix_sort_implIS3_Lb0EPKbPbPKlPlN2at6native12_GLOBAL__N_18offset_tEEE10hipError_tPvRmT1_PNSt15iterator_traitsISK_E10value_typeET2_T3_PNSL_ISQ_E10value_typeET4_jRbjT5_SW_jjP12ihipStream_tbEUlT_E0_NS1_11comp_targetILNS1_3genE10ELNS1_11target_archE1201ELNS1_3gpuE5ELNS1_3repE0EEENS1_60segmented_radix_sort_warp_sort_medium_config_static_selectorELNS0_4arch9wavefront6targetE1EEEvSK_.num_vgpr, 0
	.set _ZN7rocprim17ROCPRIM_400000_NS6detail17trampoline_kernelINS0_14default_configENS1_36segmented_radix_sort_config_selectorIblEEZNS1_25segmented_radix_sort_implIS3_Lb0EPKbPbPKlPlN2at6native12_GLOBAL__N_18offset_tEEE10hipError_tPvRmT1_PNSt15iterator_traitsISK_E10value_typeET2_T3_PNSL_ISQ_E10value_typeET4_jRbjT5_SW_jjP12ihipStream_tbEUlT_E0_NS1_11comp_targetILNS1_3genE10ELNS1_11target_archE1201ELNS1_3gpuE5ELNS1_3repE0EEENS1_60segmented_radix_sort_warp_sort_medium_config_static_selectorELNS0_4arch9wavefront6targetE1EEEvSK_.num_agpr, 0
	.set _ZN7rocprim17ROCPRIM_400000_NS6detail17trampoline_kernelINS0_14default_configENS1_36segmented_radix_sort_config_selectorIblEEZNS1_25segmented_radix_sort_implIS3_Lb0EPKbPbPKlPlN2at6native12_GLOBAL__N_18offset_tEEE10hipError_tPvRmT1_PNSt15iterator_traitsISK_E10value_typeET2_T3_PNSL_ISQ_E10value_typeET4_jRbjT5_SW_jjP12ihipStream_tbEUlT_E0_NS1_11comp_targetILNS1_3genE10ELNS1_11target_archE1201ELNS1_3gpuE5ELNS1_3repE0EEENS1_60segmented_radix_sort_warp_sort_medium_config_static_selectorELNS0_4arch9wavefront6targetE1EEEvSK_.numbered_sgpr, 0
	.set _ZN7rocprim17ROCPRIM_400000_NS6detail17trampoline_kernelINS0_14default_configENS1_36segmented_radix_sort_config_selectorIblEEZNS1_25segmented_radix_sort_implIS3_Lb0EPKbPbPKlPlN2at6native12_GLOBAL__N_18offset_tEEE10hipError_tPvRmT1_PNSt15iterator_traitsISK_E10value_typeET2_T3_PNSL_ISQ_E10value_typeET4_jRbjT5_SW_jjP12ihipStream_tbEUlT_E0_NS1_11comp_targetILNS1_3genE10ELNS1_11target_archE1201ELNS1_3gpuE5ELNS1_3repE0EEENS1_60segmented_radix_sort_warp_sort_medium_config_static_selectorELNS0_4arch9wavefront6targetE1EEEvSK_.num_named_barrier, 0
	.set _ZN7rocprim17ROCPRIM_400000_NS6detail17trampoline_kernelINS0_14default_configENS1_36segmented_radix_sort_config_selectorIblEEZNS1_25segmented_radix_sort_implIS3_Lb0EPKbPbPKlPlN2at6native12_GLOBAL__N_18offset_tEEE10hipError_tPvRmT1_PNSt15iterator_traitsISK_E10value_typeET2_T3_PNSL_ISQ_E10value_typeET4_jRbjT5_SW_jjP12ihipStream_tbEUlT_E0_NS1_11comp_targetILNS1_3genE10ELNS1_11target_archE1201ELNS1_3gpuE5ELNS1_3repE0EEENS1_60segmented_radix_sort_warp_sort_medium_config_static_selectorELNS0_4arch9wavefront6targetE1EEEvSK_.private_seg_size, 0
	.set _ZN7rocprim17ROCPRIM_400000_NS6detail17trampoline_kernelINS0_14default_configENS1_36segmented_radix_sort_config_selectorIblEEZNS1_25segmented_radix_sort_implIS3_Lb0EPKbPbPKlPlN2at6native12_GLOBAL__N_18offset_tEEE10hipError_tPvRmT1_PNSt15iterator_traitsISK_E10value_typeET2_T3_PNSL_ISQ_E10value_typeET4_jRbjT5_SW_jjP12ihipStream_tbEUlT_E0_NS1_11comp_targetILNS1_3genE10ELNS1_11target_archE1201ELNS1_3gpuE5ELNS1_3repE0EEENS1_60segmented_radix_sort_warp_sort_medium_config_static_selectorELNS0_4arch9wavefront6targetE1EEEvSK_.uses_vcc, 0
	.set _ZN7rocprim17ROCPRIM_400000_NS6detail17trampoline_kernelINS0_14default_configENS1_36segmented_radix_sort_config_selectorIblEEZNS1_25segmented_radix_sort_implIS3_Lb0EPKbPbPKlPlN2at6native12_GLOBAL__N_18offset_tEEE10hipError_tPvRmT1_PNSt15iterator_traitsISK_E10value_typeET2_T3_PNSL_ISQ_E10value_typeET4_jRbjT5_SW_jjP12ihipStream_tbEUlT_E0_NS1_11comp_targetILNS1_3genE10ELNS1_11target_archE1201ELNS1_3gpuE5ELNS1_3repE0EEENS1_60segmented_radix_sort_warp_sort_medium_config_static_selectorELNS0_4arch9wavefront6targetE1EEEvSK_.uses_flat_scratch, 0
	.set _ZN7rocprim17ROCPRIM_400000_NS6detail17trampoline_kernelINS0_14default_configENS1_36segmented_radix_sort_config_selectorIblEEZNS1_25segmented_radix_sort_implIS3_Lb0EPKbPbPKlPlN2at6native12_GLOBAL__N_18offset_tEEE10hipError_tPvRmT1_PNSt15iterator_traitsISK_E10value_typeET2_T3_PNSL_ISQ_E10value_typeET4_jRbjT5_SW_jjP12ihipStream_tbEUlT_E0_NS1_11comp_targetILNS1_3genE10ELNS1_11target_archE1201ELNS1_3gpuE5ELNS1_3repE0EEENS1_60segmented_radix_sort_warp_sort_medium_config_static_selectorELNS0_4arch9wavefront6targetE1EEEvSK_.has_dyn_sized_stack, 0
	.set _ZN7rocprim17ROCPRIM_400000_NS6detail17trampoline_kernelINS0_14default_configENS1_36segmented_radix_sort_config_selectorIblEEZNS1_25segmented_radix_sort_implIS3_Lb0EPKbPbPKlPlN2at6native12_GLOBAL__N_18offset_tEEE10hipError_tPvRmT1_PNSt15iterator_traitsISK_E10value_typeET2_T3_PNSL_ISQ_E10value_typeET4_jRbjT5_SW_jjP12ihipStream_tbEUlT_E0_NS1_11comp_targetILNS1_3genE10ELNS1_11target_archE1201ELNS1_3gpuE5ELNS1_3repE0EEENS1_60segmented_radix_sort_warp_sort_medium_config_static_selectorELNS0_4arch9wavefront6targetE1EEEvSK_.has_recursion, 0
	.set _ZN7rocprim17ROCPRIM_400000_NS6detail17trampoline_kernelINS0_14default_configENS1_36segmented_radix_sort_config_selectorIblEEZNS1_25segmented_radix_sort_implIS3_Lb0EPKbPbPKlPlN2at6native12_GLOBAL__N_18offset_tEEE10hipError_tPvRmT1_PNSt15iterator_traitsISK_E10value_typeET2_T3_PNSL_ISQ_E10value_typeET4_jRbjT5_SW_jjP12ihipStream_tbEUlT_E0_NS1_11comp_targetILNS1_3genE10ELNS1_11target_archE1201ELNS1_3gpuE5ELNS1_3repE0EEENS1_60segmented_radix_sort_warp_sort_medium_config_static_selectorELNS0_4arch9wavefront6targetE1EEEvSK_.has_indirect_call, 0
	.section	.AMDGPU.csdata,"",@progbits
; Kernel info:
; codeLenInByte = 0
; TotalNumSgprs: 4
; NumVgprs: 0
; ScratchSize: 0
; MemoryBound: 0
; FloatMode: 240
; IeeeMode: 1
; LDSByteSize: 0 bytes/workgroup (compile time only)
; SGPRBlocks: 0
; VGPRBlocks: 0
; NumSGPRsForWavesPerEU: 4
; NumVGPRsForWavesPerEU: 1
; Occupancy: 10
; WaveLimiterHint : 0
; COMPUTE_PGM_RSRC2:SCRATCH_EN: 0
; COMPUTE_PGM_RSRC2:USER_SGPR: 6
; COMPUTE_PGM_RSRC2:TRAP_HANDLER: 0
; COMPUTE_PGM_RSRC2:TGID_X_EN: 1
; COMPUTE_PGM_RSRC2:TGID_Y_EN: 0
; COMPUTE_PGM_RSRC2:TGID_Z_EN: 0
; COMPUTE_PGM_RSRC2:TIDIG_COMP_CNT: 0
	.section	.text._ZN7rocprim17ROCPRIM_400000_NS6detail17trampoline_kernelINS0_14default_configENS1_36segmented_radix_sort_config_selectorIblEEZNS1_25segmented_radix_sort_implIS3_Lb0EPKbPbPKlPlN2at6native12_GLOBAL__N_18offset_tEEE10hipError_tPvRmT1_PNSt15iterator_traitsISK_E10value_typeET2_T3_PNSL_ISQ_E10value_typeET4_jRbjT5_SW_jjP12ihipStream_tbEUlT_E0_NS1_11comp_targetILNS1_3genE10ELNS1_11target_archE1200ELNS1_3gpuE4ELNS1_3repE0EEENS1_60segmented_radix_sort_warp_sort_medium_config_static_selectorELNS0_4arch9wavefront6targetE1EEEvSK_,"axG",@progbits,_ZN7rocprim17ROCPRIM_400000_NS6detail17trampoline_kernelINS0_14default_configENS1_36segmented_radix_sort_config_selectorIblEEZNS1_25segmented_radix_sort_implIS3_Lb0EPKbPbPKlPlN2at6native12_GLOBAL__N_18offset_tEEE10hipError_tPvRmT1_PNSt15iterator_traitsISK_E10value_typeET2_T3_PNSL_ISQ_E10value_typeET4_jRbjT5_SW_jjP12ihipStream_tbEUlT_E0_NS1_11comp_targetILNS1_3genE10ELNS1_11target_archE1200ELNS1_3gpuE4ELNS1_3repE0EEENS1_60segmented_radix_sort_warp_sort_medium_config_static_selectorELNS0_4arch9wavefront6targetE1EEEvSK_,comdat
	.globl	_ZN7rocprim17ROCPRIM_400000_NS6detail17trampoline_kernelINS0_14default_configENS1_36segmented_radix_sort_config_selectorIblEEZNS1_25segmented_radix_sort_implIS3_Lb0EPKbPbPKlPlN2at6native12_GLOBAL__N_18offset_tEEE10hipError_tPvRmT1_PNSt15iterator_traitsISK_E10value_typeET2_T3_PNSL_ISQ_E10value_typeET4_jRbjT5_SW_jjP12ihipStream_tbEUlT_E0_NS1_11comp_targetILNS1_3genE10ELNS1_11target_archE1200ELNS1_3gpuE4ELNS1_3repE0EEENS1_60segmented_radix_sort_warp_sort_medium_config_static_selectorELNS0_4arch9wavefront6targetE1EEEvSK_ ; -- Begin function _ZN7rocprim17ROCPRIM_400000_NS6detail17trampoline_kernelINS0_14default_configENS1_36segmented_radix_sort_config_selectorIblEEZNS1_25segmented_radix_sort_implIS3_Lb0EPKbPbPKlPlN2at6native12_GLOBAL__N_18offset_tEEE10hipError_tPvRmT1_PNSt15iterator_traitsISK_E10value_typeET2_T3_PNSL_ISQ_E10value_typeET4_jRbjT5_SW_jjP12ihipStream_tbEUlT_E0_NS1_11comp_targetILNS1_3genE10ELNS1_11target_archE1200ELNS1_3gpuE4ELNS1_3repE0EEENS1_60segmented_radix_sort_warp_sort_medium_config_static_selectorELNS0_4arch9wavefront6targetE1EEEvSK_
	.p2align	8
	.type	_ZN7rocprim17ROCPRIM_400000_NS6detail17trampoline_kernelINS0_14default_configENS1_36segmented_radix_sort_config_selectorIblEEZNS1_25segmented_radix_sort_implIS3_Lb0EPKbPbPKlPlN2at6native12_GLOBAL__N_18offset_tEEE10hipError_tPvRmT1_PNSt15iterator_traitsISK_E10value_typeET2_T3_PNSL_ISQ_E10value_typeET4_jRbjT5_SW_jjP12ihipStream_tbEUlT_E0_NS1_11comp_targetILNS1_3genE10ELNS1_11target_archE1200ELNS1_3gpuE4ELNS1_3repE0EEENS1_60segmented_radix_sort_warp_sort_medium_config_static_selectorELNS0_4arch9wavefront6targetE1EEEvSK_,@function
_ZN7rocprim17ROCPRIM_400000_NS6detail17trampoline_kernelINS0_14default_configENS1_36segmented_radix_sort_config_selectorIblEEZNS1_25segmented_radix_sort_implIS3_Lb0EPKbPbPKlPlN2at6native12_GLOBAL__N_18offset_tEEE10hipError_tPvRmT1_PNSt15iterator_traitsISK_E10value_typeET2_T3_PNSL_ISQ_E10value_typeET4_jRbjT5_SW_jjP12ihipStream_tbEUlT_E0_NS1_11comp_targetILNS1_3genE10ELNS1_11target_archE1200ELNS1_3gpuE4ELNS1_3repE0EEENS1_60segmented_radix_sort_warp_sort_medium_config_static_selectorELNS0_4arch9wavefront6targetE1EEEvSK_: ; @_ZN7rocprim17ROCPRIM_400000_NS6detail17trampoline_kernelINS0_14default_configENS1_36segmented_radix_sort_config_selectorIblEEZNS1_25segmented_radix_sort_implIS3_Lb0EPKbPbPKlPlN2at6native12_GLOBAL__N_18offset_tEEE10hipError_tPvRmT1_PNSt15iterator_traitsISK_E10value_typeET2_T3_PNSL_ISQ_E10value_typeET4_jRbjT5_SW_jjP12ihipStream_tbEUlT_E0_NS1_11comp_targetILNS1_3genE10ELNS1_11target_archE1200ELNS1_3gpuE4ELNS1_3repE0EEENS1_60segmented_radix_sort_warp_sort_medium_config_static_selectorELNS0_4arch9wavefront6targetE1EEEvSK_
; %bb.0:
	.section	.rodata,"a",@progbits
	.p2align	6, 0x0
	.amdhsa_kernel _ZN7rocprim17ROCPRIM_400000_NS6detail17trampoline_kernelINS0_14default_configENS1_36segmented_radix_sort_config_selectorIblEEZNS1_25segmented_radix_sort_implIS3_Lb0EPKbPbPKlPlN2at6native12_GLOBAL__N_18offset_tEEE10hipError_tPvRmT1_PNSt15iterator_traitsISK_E10value_typeET2_T3_PNSL_ISQ_E10value_typeET4_jRbjT5_SW_jjP12ihipStream_tbEUlT_E0_NS1_11comp_targetILNS1_3genE10ELNS1_11target_archE1200ELNS1_3gpuE4ELNS1_3repE0EEENS1_60segmented_radix_sort_warp_sort_medium_config_static_selectorELNS0_4arch9wavefront6targetE1EEEvSK_
		.amdhsa_group_segment_fixed_size 0
		.amdhsa_private_segment_fixed_size 0
		.amdhsa_kernarg_size 88
		.amdhsa_user_sgpr_count 6
		.amdhsa_user_sgpr_private_segment_buffer 1
		.amdhsa_user_sgpr_dispatch_ptr 0
		.amdhsa_user_sgpr_queue_ptr 0
		.amdhsa_user_sgpr_kernarg_segment_ptr 1
		.amdhsa_user_sgpr_dispatch_id 0
		.amdhsa_user_sgpr_flat_scratch_init 0
		.amdhsa_user_sgpr_private_segment_size 0
		.amdhsa_uses_dynamic_stack 0
		.amdhsa_system_sgpr_private_segment_wavefront_offset 0
		.amdhsa_system_sgpr_workgroup_id_x 1
		.amdhsa_system_sgpr_workgroup_id_y 0
		.amdhsa_system_sgpr_workgroup_id_z 0
		.amdhsa_system_sgpr_workgroup_info 0
		.amdhsa_system_vgpr_workitem_id 0
		.amdhsa_next_free_vgpr 1
		.amdhsa_next_free_sgpr 0
		.amdhsa_reserve_vcc 0
		.amdhsa_reserve_flat_scratch 0
		.amdhsa_float_round_mode_32 0
		.amdhsa_float_round_mode_16_64 0
		.amdhsa_float_denorm_mode_32 3
		.amdhsa_float_denorm_mode_16_64 3
		.amdhsa_dx10_clamp 1
		.amdhsa_ieee_mode 1
		.amdhsa_fp16_overflow 0
		.amdhsa_exception_fp_ieee_invalid_op 0
		.amdhsa_exception_fp_denorm_src 0
		.amdhsa_exception_fp_ieee_div_zero 0
		.amdhsa_exception_fp_ieee_overflow 0
		.amdhsa_exception_fp_ieee_underflow 0
		.amdhsa_exception_fp_ieee_inexact 0
		.amdhsa_exception_int_div_zero 0
	.end_amdhsa_kernel
	.section	.text._ZN7rocprim17ROCPRIM_400000_NS6detail17trampoline_kernelINS0_14default_configENS1_36segmented_radix_sort_config_selectorIblEEZNS1_25segmented_radix_sort_implIS3_Lb0EPKbPbPKlPlN2at6native12_GLOBAL__N_18offset_tEEE10hipError_tPvRmT1_PNSt15iterator_traitsISK_E10value_typeET2_T3_PNSL_ISQ_E10value_typeET4_jRbjT5_SW_jjP12ihipStream_tbEUlT_E0_NS1_11comp_targetILNS1_3genE10ELNS1_11target_archE1200ELNS1_3gpuE4ELNS1_3repE0EEENS1_60segmented_radix_sort_warp_sort_medium_config_static_selectorELNS0_4arch9wavefront6targetE1EEEvSK_,"axG",@progbits,_ZN7rocprim17ROCPRIM_400000_NS6detail17trampoline_kernelINS0_14default_configENS1_36segmented_radix_sort_config_selectorIblEEZNS1_25segmented_radix_sort_implIS3_Lb0EPKbPbPKlPlN2at6native12_GLOBAL__N_18offset_tEEE10hipError_tPvRmT1_PNSt15iterator_traitsISK_E10value_typeET2_T3_PNSL_ISQ_E10value_typeET4_jRbjT5_SW_jjP12ihipStream_tbEUlT_E0_NS1_11comp_targetILNS1_3genE10ELNS1_11target_archE1200ELNS1_3gpuE4ELNS1_3repE0EEENS1_60segmented_radix_sort_warp_sort_medium_config_static_selectorELNS0_4arch9wavefront6targetE1EEEvSK_,comdat
.Lfunc_end1652:
	.size	_ZN7rocprim17ROCPRIM_400000_NS6detail17trampoline_kernelINS0_14default_configENS1_36segmented_radix_sort_config_selectorIblEEZNS1_25segmented_radix_sort_implIS3_Lb0EPKbPbPKlPlN2at6native12_GLOBAL__N_18offset_tEEE10hipError_tPvRmT1_PNSt15iterator_traitsISK_E10value_typeET2_T3_PNSL_ISQ_E10value_typeET4_jRbjT5_SW_jjP12ihipStream_tbEUlT_E0_NS1_11comp_targetILNS1_3genE10ELNS1_11target_archE1200ELNS1_3gpuE4ELNS1_3repE0EEENS1_60segmented_radix_sort_warp_sort_medium_config_static_selectorELNS0_4arch9wavefront6targetE1EEEvSK_, .Lfunc_end1652-_ZN7rocprim17ROCPRIM_400000_NS6detail17trampoline_kernelINS0_14default_configENS1_36segmented_radix_sort_config_selectorIblEEZNS1_25segmented_radix_sort_implIS3_Lb0EPKbPbPKlPlN2at6native12_GLOBAL__N_18offset_tEEE10hipError_tPvRmT1_PNSt15iterator_traitsISK_E10value_typeET2_T3_PNSL_ISQ_E10value_typeET4_jRbjT5_SW_jjP12ihipStream_tbEUlT_E0_NS1_11comp_targetILNS1_3genE10ELNS1_11target_archE1200ELNS1_3gpuE4ELNS1_3repE0EEENS1_60segmented_radix_sort_warp_sort_medium_config_static_selectorELNS0_4arch9wavefront6targetE1EEEvSK_
                                        ; -- End function
	.set _ZN7rocprim17ROCPRIM_400000_NS6detail17trampoline_kernelINS0_14default_configENS1_36segmented_radix_sort_config_selectorIblEEZNS1_25segmented_radix_sort_implIS3_Lb0EPKbPbPKlPlN2at6native12_GLOBAL__N_18offset_tEEE10hipError_tPvRmT1_PNSt15iterator_traitsISK_E10value_typeET2_T3_PNSL_ISQ_E10value_typeET4_jRbjT5_SW_jjP12ihipStream_tbEUlT_E0_NS1_11comp_targetILNS1_3genE10ELNS1_11target_archE1200ELNS1_3gpuE4ELNS1_3repE0EEENS1_60segmented_radix_sort_warp_sort_medium_config_static_selectorELNS0_4arch9wavefront6targetE1EEEvSK_.num_vgpr, 0
	.set _ZN7rocprim17ROCPRIM_400000_NS6detail17trampoline_kernelINS0_14default_configENS1_36segmented_radix_sort_config_selectorIblEEZNS1_25segmented_radix_sort_implIS3_Lb0EPKbPbPKlPlN2at6native12_GLOBAL__N_18offset_tEEE10hipError_tPvRmT1_PNSt15iterator_traitsISK_E10value_typeET2_T3_PNSL_ISQ_E10value_typeET4_jRbjT5_SW_jjP12ihipStream_tbEUlT_E0_NS1_11comp_targetILNS1_3genE10ELNS1_11target_archE1200ELNS1_3gpuE4ELNS1_3repE0EEENS1_60segmented_radix_sort_warp_sort_medium_config_static_selectorELNS0_4arch9wavefront6targetE1EEEvSK_.num_agpr, 0
	.set _ZN7rocprim17ROCPRIM_400000_NS6detail17trampoline_kernelINS0_14default_configENS1_36segmented_radix_sort_config_selectorIblEEZNS1_25segmented_radix_sort_implIS3_Lb0EPKbPbPKlPlN2at6native12_GLOBAL__N_18offset_tEEE10hipError_tPvRmT1_PNSt15iterator_traitsISK_E10value_typeET2_T3_PNSL_ISQ_E10value_typeET4_jRbjT5_SW_jjP12ihipStream_tbEUlT_E0_NS1_11comp_targetILNS1_3genE10ELNS1_11target_archE1200ELNS1_3gpuE4ELNS1_3repE0EEENS1_60segmented_radix_sort_warp_sort_medium_config_static_selectorELNS0_4arch9wavefront6targetE1EEEvSK_.numbered_sgpr, 0
	.set _ZN7rocprim17ROCPRIM_400000_NS6detail17trampoline_kernelINS0_14default_configENS1_36segmented_radix_sort_config_selectorIblEEZNS1_25segmented_radix_sort_implIS3_Lb0EPKbPbPKlPlN2at6native12_GLOBAL__N_18offset_tEEE10hipError_tPvRmT1_PNSt15iterator_traitsISK_E10value_typeET2_T3_PNSL_ISQ_E10value_typeET4_jRbjT5_SW_jjP12ihipStream_tbEUlT_E0_NS1_11comp_targetILNS1_3genE10ELNS1_11target_archE1200ELNS1_3gpuE4ELNS1_3repE0EEENS1_60segmented_radix_sort_warp_sort_medium_config_static_selectorELNS0_4arch9wavefront6targetE1EEEvSK_.num_named_barrier, 0
	.set _ZN7rocprim17ROCPRIM_400000_NS6detail17trampoline_kernelINS0_14default_configENS1_36segmented_radix_sort_config_selectorIblEEZNS1_25segmented_radix_sort_implIS3_Lb0EPKbPbPKlPlN2at6native12_GLOBAL__N_18offset_tEEE10hipError_tPvRmT1_PNSt15iterator_traitsISK_E10value_typeET2_T3_PNSL_ISQ_E10value_typeET4_jRbjT5_SW_jjP12ihipStream_tbEUlT_E0_NS1_11comp_targetILNS1_3genE10ELNS1_11target_archE1200ELNS1_3gpuE4ELNS1_3repE0EEENS1_60segmented_radix_sort_warp_sort_medium_config_static_selectorELNS0_4arch9wavefront6targetE1EEEvSK_.private_seg_size, 0
	.set _ZN7rocprim17ROCPRIM_400000_NS6detail17trampoline_kernelINS0_14default_configENS1_36segmented_radix_sort_config_selectorIblEEZNS1_25segmented_radix_sort_implIS3_Lb0EPKbPbPKlPlN2at6native12_GLOBAL__N_18offset_tEEE10hipError_tPvRmT1_PNSt15iterator_traitsISK_E10value_typeET2_T3_PNSL_ISQ_E10value_typeET4_jRbjT5_SW_jjP12ihipStream_tbEUlT_E0_NS1_11comp_targetILNS1_3genE10ELNS1_11target_archE1200ELNS1_3gpuE4ELNS1_3repE0EEENS1_60segmented_radix_sort_warp_sort_medium_config_static_selectorELNS0_4arch9wavefront6targetE1EEEvSK_.uses_vcc, 0
	.set _ZN7rocprim17ROCPRIM_400000_NS6detail17trampoline_kernelINS0_14default_configENS1_36segmented_radix_sort_config_selectorIblEEZNS1_25segmented_radix_sort_implIS3_Lb0EPKbPbPKlPlN2at6native12_GLOBAL__N_18offset_tEEE10hipError_tPvRmT1_PNSt15iterator_traitsISK_E10value_typeET2_T3_PNSL_ISQ_E10value_typeET4_jRbjT5_SW_jjP12ihipStream_tbEUlT_E0_NS1_11comp_targetILNS1_3genE10ELNS1_11target_archE1200ELNS1_3gpuE4ELNS1_3repE0EEENS1_60segmented_radix_sort_warp_sort_medium_config_static_selectorELNS0_4arch9wavefront6targetE1EEEvSK_.uses_flat_scratch, 0
	.set _ZN7rocprim17ROCPRIM_400000_NS6detail17trampoline_kernelINS0_14default_configENS1_36segmented_radix_sort_config_selectorIblEEZNS1_25segmented_radix_sort_implIS3_Lb0EPKbPbPKlPlN2at6native12_GLOBAL__N_18offset_tEEE10hipError_tPvRmT1_PNSt15iterator_traitsISK_E10value_typeET2_T3_PNSL_ISQ_E10value_typeET4_jRbjT5_SW_jjP12ihipStream_tbEUlT_E0_NS1_11comp_targetILNS1_3genE10ELNS1_11target_archE1200ELNS1_3gpuE4ELNS1_3repE0EEENS1_60segmented_radix_sort_warp_sort_medium_config_static_selectorELNS0_4arch9wavefront6targetE1EEEvSK_.has_dyn_sized_stack, 0
	.set _ZN7rocprim17ROCPRIM_400000_NS6detail17trampoline_kernelINS0_14default_configENS1_36segmented_radix_sort_config_selectorIblEEZNS1_25segmented_radix_sort_implIS3_Lb0EPKbPbPKlPlN2at6native12_GLOBAL__N_18offset_tEEE10hipError_tPvRmT1_PNSt15iterator_traitsISK_E10value_typeET2_T3_PNSL_ISQ_E10value_typeET4_jRbjT5_SW_jjP12ihipStream_tbEUlT_E0_NS1_11comp_targetILNS1_3genE10ELNS1_11target_archE1200ELNS1_3gpuE4ELNS1_3repE0EEENS1_60segmented_radix_sort_warp_sort_medium_config_static_selectorELNS0_4arch9wavefront6targetE1EEEvSK_.has_recursion, 0
	.set _ZN7rocprim17ROCPRIM_400000_NS6detail17trampoline_kernelINS0_14default_configENS1_36segmented_radix_sort_config_selectorIblEEZNS1_25segmented_radix_sort_implIS3_Lb0EPKbPbPKlPlN2at6native12_GLOBAL__N_18offset_tEEE10hipError_tPvRmT1_PNSt15iterator_traitsISK_E10value_typeET2_T3_PNSL_ISQ_E10value_typeET4_jRbjT5_SW_jjP12ihipStream_tbEUlT_E0_NS1_11comp_targetILNS1_3genE10ELNS1_11target_archE1200ELNS1_3gpuE4ELNS1_3repE0EEENS1_60segmented_radix_sort_warp_sort_medium_config_static_selectorELNS0_4arch9wavefront6targetE1EEEvSK_.has_indirect_call, 0
	.section	.AMDGPU.csdata,"",@progbits
; Kernel info:
; codeLenInByte = 0
; TotalNumSgprs: 4
; NumVgprs: 0
; ScratchSize: 0
; MemoryBound: 0
; FloatMode: 240
; IeeeMode: 1
; LDSByteSize: 0 bytes/workgroup (compile time only)
; SGPRBlocks: 0
; VGPRBlocks: 0
; NumSGPRsForWavesPerEU: 4
; NumVGPRsForWavesPerEU: 1
; Occupancy: 10
; WaveLimiterHint : 0
; COMPUTE_PGM_RSRC2:SCRATCH_EN: 0
; COMPUTE_PGM_RSRC2:USER_SGPR: 6
; COMPUTE_PGM_RSRC2:TRAP_HANDLER: 0
; COMPUTE_PGM_RSRC2:TGID_X_EN: 1
; COMPUTE_PGM_RSRC2:TGID_Y_EN: 0
; COMPUTE_PGM_RSRC2:TGID_Z_EN: 0
; COMPUTE_PGM_RSRC2:TIDIG_COMP_CNT: 0
	.section	.text._ZN7rocprim17ROCPRIM_400000_NS6detail17trampoline_kernelINS0_14default_configENS1_36segmented_radix_sort_config_selectorIblEEZNS1_25segmented_radix_sort_implIS3_Lb0EPKbPbPKlPlN2at6native12_GLOBAL__N_18offset_tEEE10hipError_tPvRmT1_PNSt15iterator_traitsISK_E10value_typeET2_T3_PNSL_ISQ_E10value_typeET4_jRbjT5_SW_jjP12ihipStream_tbEUlT_E0_NS1_11comp_targetILNS1_3genE9ELNS1_11target_archE1100ELNS1_3gpuE3ELNS1_3repE0EEENS1_60segmented_radix_sort_warp_sort_medium_config_static_selectorELNS0_4arch9wavefront6targetE1EEEvSK_,"axG",@progbits,_ZN7rocprim17ROCPRIM_400000_NS6detail17trampoline_kernelINS0_14default_configENS1_36segmented_radix_sort_config_selectorIblEEZNS1_25segmented_radix_sort_implIS3_Lb0EPKbPbPKlPlN2at6native12_GLOBAL__N_18offset_tEEE10hipError_tPvRmT1_PNSt15iterator_traitsISK_E10value_typeET2_T3_PNSL_ISQ_E10value_typeET4_jRbjT5_SW_jjP12ihipStream_tbEUlT_E0_NS1_11comp_targetILNS1_3genE9ELNS1_11target_archE1100ELNS1_3gpuE3ELNS1_3repE0EEENS1_60segmented_radix_sort_warp_sort_medium_config_static_selectorELNS0_4arch9wavefront6targetE1EEEvSK_,comdat
	.globl	_ZN7rocprim17ROCPRIM_400000_NS6detail17trampoline_kernelINS0_14default_configENS1_36segmented_radix_sort_config_selectorIblEEZNS1_25segmented_radix_sort_implIS3_Lb0EPKbPbPKlPlN2at6native12_GLOBAL__N_18offset_tEEE10hipError_tPvRmT1_PNSt15iterator_traitsISK_E10value_typeET2_T3_PNSL_ISQ_E10value_typeET4_jRbjT5_SW_jjP12ihipStream_tbEUlT_E0_NS1_11comp_targetILNS1_3genE9ELNS1_11target_archE1100ELNS1_3gpuE3ELNS1_3repE0EEENS1_60segmented_radix_sort_warp_sort_medium_config_static_selectorELNS0_4arch9wavefront6targetE1EEEvSK_ ; -- Begin function _ZN7rocprim17ROCPRIM_400000_NS6detail17trampoline_kernelINS0_14default_configENS1_36segmented_radix_sort_config_selectorIblEEZNS1_25segmented_radix_sort_implIS3_Lb0EPKbPbPKlPlN2at6native12_GLOBAL__N_18offset_tEEE10hipError_tPvRmT1_PNSt15iterator_traitsISK_E10value_typeET2_T3_PNSL_ISQ_E10value_typeET4_jRbjT5_SW_jjP12ihipStream_tbEUlT_E0_NS1_11comp_targetILNS1_3genE9ELNS1_11target_archE1100ELNS1_3gpuE3ELNS1_3repE0EEENS1_60segmented_radix_sort_warp_sort_medium_config_static_selectorELNS0_4arch9wavefront6targetE1EEEvSK_
	.p2align	8
	.type	_ZN7rocprim17ROCPRIM_400000_NS6detail17trampoline_kernelINS0_14default_configENS1_36segmented_radix_sort_config_selectorIblEEZNS1_25segmented_radix_sort_implIS3_Lb0EPKbPbPKlPlN2at6native12_GLOBAL__N_18offset_tEEE10hipError_tPvRmT1_PNSt15iterator_traitsISK_E10value_typeET2_T3_PNSL_ISQ_E10value_typeET4_jRbjT5_SW_jjP12ihipStream_tbEUlT_E0_NS1_11comp_targetILNS1_3genE9ELNS1_11target_archE1100ELNS1_3gpuE3ELNS1_3repE0EEENS1_60segmented_radix_sort_warp_sort_medium_config_static_selectorELNS0_4arch9wavefront6targetE1EEEvSK_,@function
_ZN7rocprim17ROCPRIM_400000_NS6detail17trampoline_kernelINS0_14default_configENS1_36segmented_radix_sort_config_selectorIblEEZNS1_25segmented_radix_sort_implIS3_Lb0EPKbPbPKlPlN2at6native12_GLOBAL__N_18offset_tEEE10hipError_tPvRmT1_PNSt15iterator_traitsISK_E10value_typeET2_T3_PNSL_ISQ_E10value_typeET4_jRbjT5_SW_jjP12ihipStream_tbEUlT_E0_NS1_11comp_targetILNS1_3genE9ELNS1_11target_archE1100ELNS1_3gpuE3ELNS1_3repE0EEENS1_60segmented_radix_sort_warp_sort_medium_config_static_selectorELNS0_4arch9wavefront6targetE1EEEvSK_: ; @_ZN7rocprim17ROCPRIM_400000_NS6detail17trampoline_kernelINS0_14default_configENS1_36segmented_radix_sort_config_selectorIblEEZNS1_25segmented_radix_sort_implIS3_Lb0EPKbPbPKlPlN2at6native12_GLOBAL__N_18offset_tEEE10hipError_tPvRmT1_PNSt15iterator_traitsISK_E10value_typeET2_T3_PNSL_ISQ_E10value_typeET4_jRbjT5_SW_jjP12ihipStream_tbEUlT_E0_NS1_11comp_targetILNS1_3genE9ELNS1_11target_archE1100ELNS1_3gpuE3ELNS1_3repE0EEENS1_60segmented_radix_sort_warp_sort_medium_config_static_selectorELNS0_4arch9wavefront6targetE1EEEvSK_
; %bb.0:
	.section	.rodata,"a",@progbits
	.p2align	6, 0x0
	.amdhsa_kernel _ZN7rocprim17ROCPRIM_400000_NS6detail17trampoline_kernelINS0_14default_configENS1_36segmented_radix_sort_config_selectorIblEEZNS1_25segmented_radix_sort_implIS3_Lb0EPKbPbPKlPlN2at6native12_GLOBAL__N_18offset_tEEE10hipError_tPvRmT1_PNSt15iterator_traitsISK_E10value_typeET2_T3_PNSL_ISQ_E10value_typeET4_jRbjT5_SW_jjP12ihipStream_tbEUlT_E0_NS1_11comp_targetILNS1_3genE9ELNS1_11target_archE1100ELNS1_3gpuE3ELNS1_3repE0EEENS1_60segmented_radix_sort_warp_sort_medium_config_static_selectorELNS0_4arch9wavefront6targetE1EEEvSK_
		.amdhsa_group_segment_fixed_size 0
		.amdhsa_private_segment_fixed_size 0
		.amdhsa_kernarg_size 88
		.amdhsa_user_sgpr_count 6
		.amdhsa_user_sgpr_private_segment_buffer 1
		.amdhsa_user_sgpr_dispatch_ptr 0
		.amdhsa_user_sgpr_queue_ptr 0
		.amdhsa_user_sgpr_kernarg_segment_ptr 1
		.amdhsa_user_sgpr_dispatch_id 0
		.amdhsa_user_sgpr_flat_scratch_init 0
		.amdhsa_user_sgpr_private_segment_size 0
		.amdhsa_uses_dynamic_stack 0
		.amdhsa_system_sgpr_private_segment_wavefront_offset 0
		.amdhsa_system_sgpr_workgroup_id_x 1
		.amdhsa_system_sgpr_workgroup_id_y 0
		.amdhsa_system_sgpr_workgroup_id_z 0
		.amdhsa_system_sgpr_workgroup_info 0
		.amdhsa_system_vgpr_workitem_id 0
		.amdhsa_next_free_vgpr 1
		.amdhsa_next_free_sgpr 0
		.amdhsa_reserve_vcc 0
		.amdhsa_reserve_flat_scratch 0
		.amdhsa_float_round_mode_32 0
		.amdhsa_float_round_mode_16_64 0
		.amdhsa_float_denorm_mode_32 3
		.amdhsa_float_denorm_mode_16_64 3
		.amdhsa_dx10_clamp 1
		.amdhsa_ieee_mode 1
		.amdhsa_fp16_overflow 0
		.amdhsa_exception_fp_ieee_invalid_op 0
		.amdhsa_exception_fp_denorm_src 0
		.amdhsa_exception_fp_ieee_div_zero 0
		.amdhsa_exception_fp_ieee_overflow 0
		.amdhsa_exception_fp_ieee_underflow 0
		.amdhsa_exception_fp_ieee_inexact 0
		.amdhsa_exception_int_div_zero 0
	.end_amdhsa_kernel
	.section	.text._ZN7rocprim17ROCPRIM_400000_NS6detail17trampoline_kernelINS0_14default_configENS1_36segmented_radix_sort_config_selectorIblEEZNS1_25segmented_radix_sort_implIS3_Lb0EPKbPbPKlPlN2at6native12_GLOBAL__N_18offset_tEEE10hipError_tPvRmT1_PNSt15iterator_traitsISK_E10value_typeET2_T3_PNSL_ISQ_E10value_typeET4_jRbjT5_SW_jjP12ihipStream_tbEUlT_E0_NS1_11comp_targetILNS1_3genE9ELNS1_11target_archE1100ELNS1_3gpuE3ELNS1_3repE0EEENS1_60segmented_radix_sort_warp_sort_medium_config_static_selectorELNS0_4arch9wavefront6targetE1EEEvSK_,"axG",@progbits,_ZN7rocprim17ROCPRIM_400000_NS6detail17trampoline_kernelINS0_14default_configENS1_36segmented_radix_sort_config_selectorIblEEZNS1_25segmented_radix_sort_implIS3_Lb0EPKbPbPKlPlN2at6native12_GLOBAL__N_18offset_tEEE10hipError_tPvRmT1_PNSt15iterator_traitsISK_E10value_typeET2_T3_PNSL_ISQ_E10value_typeET4_jRbjT5_SW_jjP12ihipStream_tbEUlT_E0_NS1_11comp_targetILNS1_3genE9ELNS1_11target_archE1100ELNS1_3gpuE3ELNS1_3repE0EEENS1_60segmented_radix_sort_warp_sort_medium_config_static_selectorELNS0_4arch9wavefront6targetE1EEEvSK_,comdat
.Lfunc_end1653:
	.size	_ZN7rocprim17ROCPRIM_400000_NS6detail17trampoline_kernelINS0_14default_configENS1_36segmented_radix_sort_config_selectorIblEEZNS1_25segmented_radix_sort_implIS3_Lb0EPKbPbPKlPlN2at6native12_GLOBAL__N_18offset_tEEE10hipError_tPvRmT1_PNSt15iterator_traitsISK_E10value_typeET2_T3_PNSL_ISQ_E10value_typeET4_jRbjT5_SW_jjP12ihipStream_tbEUlT_E0_NS1_11comp_targetILNS1_3genE9ELNS1_11target_archE1100ELNS1_3gpuE3ELNS1_3repE0EEENS1_60segmented_radix_sort_warp_sort_medium_config_static_selectorELNS0_4arch9wavefront6targetE1EEEvSK_, .Lfunc_end1653-_ZN7rocprim17ROCPRIM_400000_NS6detail17trampoline_kernelINS0_14default_configENS1_36segmented_radix_sort_config_selectorIblEEZNS1_25segmented_radix_sort_implIS3_Lb0EPKbPbPKlPlN2at6native12_GLOBAL__N_18offset_tEEE10hipError_tPvRmT1_PNSt15iterator_traitsISK_E10value_typeET2_T3_PNSL_ISQ_E10value_typeET4_jRbjT5_SW_jjP12ihipStream_tbEUlT_E0_NS1_11comp_targetILNS1_3genE9ELNS1_11target_archE1100ELNS1_3gpuE3ELNS1_3repE0EEENS1_60segmented_radix_sort_warp_sort_medium_config_static_selectorELNS0_4arch9wavefront6targetE1EEEvSK_
                                        ; -- End function
	.set _ZN7rocprim17ROCPRIM_400000_NS6detail17trampoline_kernelINS0_14default_configENS1_36segmented_radix_sort_config_selectorIblEEZNS1_25segmented_radix_sort_implIS3_Lb0EPKbPbPKlPlN2at6native12_GLOBAL__N_18offset_tEEE10hipError_tPvRmT1_PNSt15iterator_traitsISK_E10value_typeET2_T3_PNSL_ISQ_E10value_typeET4_jRbjT5_SW_jjP12ihipStream_tbEUlT_E0_NS1_11comp_targetILNS1_3genE9ELNS1_11target_archE1100ELNS1_3gpuE3ELNS1_3repE0EEENS1_60segmented_radix_sort_warp_sort_medium_config_static_selectorELNS0_4arch9wavefront6targetE1EEEvSK_.num_vgpr, 0
	.set _ZN7rocprim17ROCPRIM_400000_NS6detail17trampoline_kernelINS0_14default_configENS1_36segmented_radix_sort_config_selectorIblEEZNS1_25segmented_radix_sort_implIS3_Lb0EPKbPbPKlPlN2at6native12_GLOBAL__N_18offset_tEEE10hipError_tPvRmT1_PNSt15iterator_traitsISK_E10value_typeET2_T3_PNSL_ISQ_E10value_typeET4_jRbjT5_SW_jjP12ihipStream_tbEUlT_E0_NS1_11comp_targetILNS1_3genE9ELNS1_11target_archE1100ELNS1_3gpuE3ELNS1_3repE0EEENS1_60segmented_radix_sort_warp_sort_medium_config_static_selectorELNS0_4arch9wavefront6targetE1EEEvSK_.num_agpr, 0
	.set _ZN7rocprim17ROCPRIM_400000_NS6detail17trampoline_kernelINS0_14default_configENS1_36segmented_radix_sort_config_selectorIblEEZNS1_25segmented_radix_sort_implIS3_Lb0EPKbPbPKlPlN2at6native12_GLOBAL__N_18offset_tEEE10hipError_tPvRmT1_PNSt15iterator_traitsISK_E10value_typeET2_T3_PNSL_ISQ_E10value_typeET4_jRbjT5_SW_jjP12ihipStream_tbEUlT_E0_NS1_11comp_targetILNS1_3genE9ELNS1_11target_archE1100ELNS1_3gpuE3ELNS1_3repE0EEENS1_60segmented_radix_sort_warp_sort_medium_config_static_selectorELNS0_4arch9wavefront6targetE1EEEvSK_.numbered_sgpr, 0
	.set _ZN7rocprim17ROCPRIM_400000_NS6detail17trampoline_kernelINS0_14default_configENS1_36segmented_radix_sort_config_selectorIblEEZNS1_25segmented_radix_sort_implIS3_Lb0EPKbPbPKlPlN2at6native12_GLOBAL__N_18offset_tEEE10hipError_tPvRmT1_PNSt15iterator_traitsISK_E10value_typeET2_T3_PNSL_ISQ_E10value_typeET4_jRbjT5_SW_jjP12ihipStream_tbEUlT_E0_NS1_11comp_targetILNS1_3genE9ELNS1_11target_archE1100ELNS1_3gpuE3ELNS1_3repE0EEENS1_60segmented_radix_sort_warp_sort_medium_config_static_selectorELNS0_4arch9wavefront6targetE1EEEvSK_.num_named_barrier, 0
	.set _ZN7rocprim17ROCPRIM_400000_NS6detail17trampoline_kernelINS0_14default_configENS1_36segmented_radix_sort_config_selectorIblEEZNS1_25segmented_radix_sort_implIS3_Lb0EPKbPbPKlPlN2at6native12_GLOBAL__N_18offset_tEEE10hipError_tPvRmT1_PNSt15iterator_traitsISK_E10value_typeET2_T3_PNSL_ISQ_E10value_typeET4_jRbjT5_SW_jjP12ihipStream_tbEUlT_E0_NS1_11comp_targetILNS1_3genE9ELNS1_11target_archE1100ELNS1_3gpuE3ELNS1_3repE0EEENS1_60segmented_radix_sort_warp_sort_medium_config_static_selectorELNS0_4arch9wavefront6targetE1EEEvSK_.private_seg_size, 0
	.set _ZN7rocprim17ROCPRIM_400000_NS6detail17trampoline_kernelINS0_14default_configENS1_36segmented_radix_sort_config_selectorIblEEZNS1_25segmented_radix_sort_implIS3_Lb0EPKbPbPKlPlN2at6native12_GLOBAL__N_18offset_tEEE10hipError_tPvRmT1_PNSt15iterator_traitsISK_E10value_typeET2_T3_PNSL_ISQ_E10value_typeET4_jRbjT5_SW_jjP12ihipStream_tbEUlT_E0_NS1_11comp_targetILNS1_3genE9ELNS1_11target_archE1100ELNS1_3gpuE3ELNS1_3repE0EEENS1_60segmented_radix_sort_warp_sort_medium_config_static_selectorELNS0_4arch9wavefront6targetE1EEEvSK_.uses_vcc, 0
	.set _ZN7rocprim17ROCPRIM_400000_NS6detail17trampoline_kernelINS0_14default_configENS1_36segmented_radix_sort_config_selectorIblEEZNS1_25segmented_radix_sort_implIS3_Lb0EPKbPbPKlPlN2at6native12_GLOBAL__N_18offset_tEEE10hipError_tPvRmT1_PNSt15iterator_traitsISK_E10value_typeET2_T3_PNSL_ISQ_E10value_typeET4_jRbjT5_SW_jjP12ihipStream_tbEUlT_E0_NS1_11comp_targetILNS1_3genE9ELNS1_11target_archE1100ELNS1_3gpuE3ELNS1_3repE0EEENS1_60segmented_radix_sort_warp_sort_medium_config_static_selectorELNS0_4arch9wavefront6targetE1EEEvSK_.uses_flat_scratch, 0
	.set _ZN7rocprim17ROCPRIM_400000_NS6detail17trampoline_kernelINS0_14default_configENS1_36segmented_radix_sort_config_selectorIblEEZNS1_25segmented_radix_sort_implIS3_Lb0EPKbPbPKlPlN2at6native12_GLOBAL__N_18offset_tEEE10hipError_tPvRmT1_PNSt15iterator_traitsISK_E10value_typeET2_T3_PNSL_ISQ_E10value_typeET4_jRbjT5_SW_jjP12ihipStream_tbEUlT_E0_NS1_11comp_targetILNS1_3genE9ELNS1_11target_archE1100ELNS1_3gpuE3ELNS1_3repE0EEENS1_60segmented_radix_sort_warp_sort_medium_config_static_selectorELNS0_4arch9wavefront6targetE1EEEvSK_.has_dyn_sized_stack, 0
	.set _ZN7rocprim17ROCPRIM_400000_NS6detail17trampoline_kernelINS0_14default_configENS1_36segmented_radix_sort_config_selectorIblEEZNS1_25segmented_radix_sort_implIS3_Lb0EPKbPbPKlPlN2at6native12_GLOBAL__N_18offset_tEEE10hipError_tPvRmT1_PNSt15iterator_traitsISK_E10value_typeET2_T3_PNSL_ISQ_E10value_typeET4_jRbjT5_SW_jjP12ihipStream_tbEUlT_E0_NS1_11comp_targetILNS1_3genE9ELNS1_11target_archE1100ELNS1_3gpuE3ELNS1_3repE0EEENS1_60segmented_radix_sort_warp_sort_medium_config_static_selectorELNS0_4arch9wavefront6targetE1EEEvSK_.has_recursion, 0
	.set _ZN7rocprim17ROCPRIM_400000_NS6detail17trampoline_kernelINS0_14default_configENS1_36segmented_radix_sort_config_selectorIblEEZNS1_25segmented_radix_sort_implIS3_Lb0EPKbPbPKlPlN2at6native12_GLOBAL__N_18offset_tEEE10hipError_tPvRmT1_PNSt15iterator_traitsISK_E10value_typeET2_T3_PNSL_ISQ_E10value_typeET4_jRbjT5_SW_jjP12ihipStream_tbEUlT_E0_NS1_11comp_targetILNS1_3genE9ELNS1_11target_archE1100ELNS1_3gpuE3ELNS1_3repE0EEENS1_60segmented_radix_sort_warp_sort_medium_config_static_selectorELNS0_4arch9wavefront6targetE1EEEvSK_.has_indirect_call, 0
	.section	.AMDGPU.csdata,"",@progbits
; Kernel info:
; codeLenInByte = 0
; TotalNumSgprs: 4
; NumVgprs: 0
; ScratchSize: 0
; MemoryBound: 0
; FloatMode: 240
; IeeeMode: 1
; LDSByteSize: 0 bytes/workgroup (compile time only)
; SGPRBlocks: 0
; VGPRBlocks: 0
; NumSGPRsForWavesPerEU: 4
; NumVGPRsForWavesPerEU: 1
; Occupancy: 10
; WaveLimiterHint : 0
; COMPUTE_PGM_RSRC2:SCRATCH_EN: 0
; COMPUTE_PGM_RSRC2:USER_SGPR: 6
; COMPUTE_PGM_RSRC2:TRAP_HANDLER: 0
; COMPUTE_PGM_RSRC2:TGID_X_EN: 1
; COMPUTE_PGM_RSRC2:TGID_Y_EN: 0
; COMPUTE_PGM_RSRC2:TGID_Z_EN: 0
; COMPUTE_PGM_RSRC2:TIDIG_COMP_CNT: 0
	.section	.text._ZN7rocprim17ROCPRIM_400000_NS6detail17trampoline_kernelINS0_14default_configENS1_36segmented_radix_sort_config_selectorIblEEZNS1_25segmented_radix_sort_implIS3_Lb0EPKbPbPKlPlN2at6native12_GLOBAL__N_18offset_tEEE10hipError_tPvRmT1_PNSt15iterator_traitsISK_E10value_typeET2_T3_PNSL_ISQ_E10value_typeET4_jRbjT5_SW_jjP12ihipStream_tbEUlT_E0_NS1_11comp_targetILNS1_3genE8ELNS1_11target_archE1030ELNS1_3gpuE2ELNS1_3repE0EEENS1_60segmented_radix_sort_warp_sort_medium_config_static_selectorELNS0_4arch9wavefront6targetE1EEEvSK_,"axG",@progbits,_ZN7rocprim17ROCPRIM_400000_NS6detail17trampoline_kernelINS0_14default_configENS1_36segmented_radix_sort_config_selectorIblEEZNS1_25segmented_radix_sort_implIS3_Lb0EPKbPbPKlPlN2at6native12_GLOBAL__N_18offset_tEEE10hipError_tPvRmT1_PNSt15iterator_traitsISK_E10value_typeET2_T3_PNSL_ISQ_E10value_typeET4_jRbjT5_SW_jjP12ihipStream_tbEUlT_E0_NS1_11comp_targetILNS1_3genE8ELNS1_11target_archE1030ELNS1_3gpuE2ELNS1_3repE0EEENS1_60segmented_radix_sort_warp_sort_medium_config_static_selectorELNS0_4arch9wavefront6targetE1EEEvSK_,comdat
	.globl	_ZN7rocprim17ROCPRIM_400000_NS6detail17trampoline_kernelINS0_14default_configENS1_36segmented_radix_sort_config_selectorIblEEZNS1_25segmented_radix_sort_implIS3_Lb0EPKbPbPKlPlN2at6native12_GLOBAL__N_18offset_tEEE10hipError_tPvRmT1_PNSt15iterator_traitsISK_E10value_typeET2_T3_PNSL_ISQ_E10value_typeET4_jRbjT5_SW_jjP12ihipStream_tbEUlT_E0_NS1_11comp_targetILNS1_3genE8ELNS1_11target_archE1030ELNS1_3gpuE2ELNS1_3repE0EEENS1_60segmented_radix_sort_warp_sort_medium_config_static_selectorELNS0_4arch9wavefront6targetE1EEEvSK_ ; -- Begin function _ZN7rocprim17ROCPRIM_400000_NS6detail17trampoline_kernelINS0_14default_configENS1_36segmented_radix_sort_config_selectorIblEEZNS1_25segmented_radix_sort_implIS3_Lb0EPKbPbPKlPlN2at6native12_GLOBAL__N_18offset_tEEE10hipError_tPvRmT1_PNSt15iterator_traitsISK_E10value_typeET2_T3_PNSL_ISQ_E10value_typeET4_jRbjT5_SW_jjP12ihipStream_tbEUlT_E0_NS1_11comp_targetILNS1_3genE8ELNS1_11target_archE1030ELNS1_3gpuE2ELNS1_3repE0EEENS1_60segmented_radix_sort_warp_sort_medium_config_static_selectorELNS0_4arch9wavefront6targetE1EEEvSK_
	.p2align	8
	.type	_ZN7rocprim17ROCPRIM_400000_NS6detail17trampoline_kernelINS0_14default_configENS1_36segmented_radix_sort_config_selectorIblEEZNS1_25segmented_radix_sort_implIS3_Lb0EPKbPbPKlPlN2at6native12_GLOBAL__N_18offset_tEEE10hipError_tPvRmT1_PNSt15iterator_traitsISK_E10value_typeET2_T3_PNSL_ISQ_E10value_typeET4_jRbjT5_SW_jjP12ihipStream_tbEUlT_E0_NS1_11comp_targetILNS1_3genE8ELNS1_11target_archE1030ELNS1_3gpuE2ELNS1_3repE0EEENS1_60segmented_radix_sort_warp_sort_medium_config_static_selectorELNS0_4arch9wavefront6targetE1EEEvSK_,@function
_ZN7rocprim17ROCPRIM_400000_NS6detail17trampoline_kernelINS0_14default_configENS1_36segmented_radix_sort_config_selectorIblEEZNS1_25segmented_radix_sort_implIS3_Lb0EPKbPbPKlPlN2at6native12_GLOBAL__N_18offset_tEEE10hipError_tPvRmT1_PNSt15iterator_traitsISK_E10value_typeET2_T3_PNSL_ISQ_E10value_typeET4_jRbjT5_SW_jjP12ihipStream_tbEUlT_E0_NS1_11comp_targetILNS1_3genE8ELNS1_11target_archE1030ELNS1_3gpuE2ELNS1_3repE0EEENS1_60segmented_radix_sort_warp_sort_medium_config_static_selectorELNS0_4arch9wavefront6targetE1EEEvSK_: ; @_ZN7rocprim17ROCPRIM_400000_NS6detail17trampoline_kernelINS0_14default_configENS1_36segmented_radix_sort_config_selectorIblEEZNS1_25segmented_radix_sort_implIS3_Lb0EPKbPbPKlPlN2at6native12_GLOBAL__N_18offset_tEEE10hipError_tPvRmT1_PNSt15iterator_traitsISK_E10value_typeET2_T3_PNSL_ISQ_E10value_typeET4_jRbjT5_SW_jjP12ihipStream_tbEUlT_E0_NS1_11comp_targetILNS1_3genE8ELNS1_11target_archE1030ELNS1_3gpuE2ELNS1_3repE0EEENS1_60segmented_radix_sort_warp_sort_medium_config_static_selectorELNS0_4arch9wavefront6targetE1EEEvSK_
; %bb.0:
	.section	.rodata,"a",@progbits
	.p2align	6, 0x0
	.amdhsa_kernel _ZN7rocprim17ROCPRIM_400000_NS6detail17trampoline_kernelINS0_14default_configENS1_36segmented_radix_sort_config_selectorIblEEZNS1_25segmented_radix_sort_implIS3_Lb0EPKbPbPKlPlN2at6native12_GLOBAL__N_18offset_tEEE10hipError_tPvRmT1_PNSt15iterator_traitsISK_E10value_typeET2_T3_PNSL_ISQ_E10value_typeET4_jRbjT5_SW_jjP12ihipStream_tbEUlT_E0_NS1_11comp_targetILNS1_3genE8ELNS1_11target_archE1030ELNS1_3gpuE2ELNS1_3repE0EEENS1_60segmented_radix_sort_warp_sort_medium_config_static_selectorELNS0_4arch9wavefront6targetE1EEEvSK_
		.amdhsa_group_segment_fixed_size 0
		.amdhsa_private_segment_fixed_size 0
		.amdhsa_kernarg_size 88
		.amdhsa_user_sgpr_count 6
		.amdhsa_user_sgpr_private_segment_buffer 1
		.amdhsa_user_sgpr_dispatch_ptr 0
		.amdhsa_user_sgpr_queue_ptr 0
		.amdhsa_user_sgpr_kernarg_segment_ptr 1
		.amdhsa_user_sgpr_dispatch_id 0
		.amdhsa_user_sgpr_flat_scratch_init 0
		.amdhsa_user_sgpr_private_segment_size 0
		.amdhsa_uses_dynamic_stack 0
		.amdhsa_system_sgpr_private_segment_wavefront_offset 0
		.amdhsa_system_sgpr_workgroup_id_x 1
		.amdhsa_system_sgpr_workgroup_id_y 0
		.amdhsa_system_sgpr_workgroup_id_z 0
		.amdhsa_system_sgpr_workgroup_info 0
		.amdhsa_system_vgpr_workitem_id 0
		.amdhsa_next_free_vgpr 1
		.amdhsa_next_free_sgpr 0
		.amdhsa_reserve_vcc 0
		.amdhsa_reserve_flat_scratch 0
		.amdhsa_float_round_mode_32 0
		.amdhsa_float_round_mode_16_64 0
		.amdhsa_float_denorm_mode_32 3
		.amdhsa_float_denorm_mode_16_64 3
		.amdhsa_dx10_clamp 1
		.amdhsa_ieee_mode 1
		.amdhsa_fp16_overflow 0
		.amdhsa_exception_fp_ieee_invalid_op 0
		.amdhsa_exception_fp_denorm_src 0
		.amdhsa_exception_fp_ieee_div_zero 0
		.amdhsa_exception_fp_ieee_overflow 0
		.amdhsa_exception_fp_ieee_underflow 0
		.amdhsa_exception_fp_ieee_inexact 0
		.amdhsa_exception_int_div_zero 0
	.end_amdhsa_kernel
	.section	.text._ZN7rocprim17ROCPRIM_400000_NS6detail17trampoline_kernelINS0_14default_configENS1_36segmented_radix_sort_config_selectorIblEEZNS1_25segmented_radix_sort_implIS3_Lb0EPKbPbPKlPlN2at6native12_GLOBAL__N_18offset_tEEE10hipError_tPvRmT1_PNSt15iterator_traitsISK_E10value_typeET2_T3_PNSL_ISQ_E10value_typeET4_jRbjT5_SW_jjP12ihipStream_tbEUlT_E0_NS1_11comp_targetILNS1_3genE8ELNS1_11target_archE1030ELNS1_3gpuE2ELNS1_3repE0EEENS1_60segmented_radix_sort_warp_sort_medium_config_static_selectorELNS0_4arch9wavefront6targetE1EEEvSK_,"axG",@progbits,_ZN7rocprim17ROCPRIM_400000_NS6detail17trampoline_kernelINS0_14default_configENS1_36segmented_radix_sort_config_selectorIblEEZNS1_25segmented_radix_sort_implIS3_Lb0EPKbPbPKlPlN2at6native12_GLOBAL__N_18offset_tEEE10hipError_tPvRmT1_PNSt15iterator_traitsISK_E10value_typeET2_T3_PNSL_ISQ_E10value_typeET4_jRbjT5_SW_jjP12ihipStream_tbEUlT_E0_NS1_11comp_targetILNS1_3genE8ELNS1_11target_archE1030ELNS1_3gpuE2ELNS1_3repE0EEENS1_60segmented_radix_sort_warp_sort_medium_config_static_selectorELNS0_4arch9wavefront6targetE1EEEvSK_,comdat
.Lfunc_end1654:
	.size	_ZN7rocprim17ROCPRIM_400000_NS6detail17trampoline_kernelINS0_14default_configENS1_36segmented_radix_sort_config_selectorIblEEZNS1_25segmented_radix_sort_implIS3_Lb0EPKbPbPKlPlN2at6native12_GLOBAL__N_18offset_tEEE10hipError_tPvRmT1_PNSt15iterator_traitsISK_E10value_typeET2_T3_PNSL_ISQ_E10value_typeET4_jRbjT5_SW_jjP12ihipStream_tbEUlT_E0_NS1_11comp_targetILNS1_3genE8ELNS1_11target_archE1030ELNS1_3gpuE2ELNS1_3repE0EEENS1_60segmented_radix_sort_warp_sort_medium_config_static_selectorELNS0_4arch9wavefront6targetE1EEEvSK_, .Lfunc_end1654-_ZN7rocprim17ROCPRIM_400000_NS6detail17trampoline_kernelINS0_14default_configENS1_36segmented_radix_sort_config_selectorIblEEZNS1_25segmented_radix_sort_implIS3_Lb0EPKbPbPKlPlN2at6native12_GLOBAL__N_18offset_tEEE10hipError_tPvRmT1_PNSt15iterator_traitsISK_E10value_typeET2_T3_PNSL_ISQ_E10value_typeET4_jRbjT5_SW_jjP12ihipStream_tbEUlT_E0_NS1_11comp_targetILNS1_3genE8ELNS1_11target_archE1030ELNS1_3gpuE2ELNS1_3repE0EEENS1_60segmented_radix_sort_warp_sort_medium_config_static_selectorELNS0_4arch9wavefront6targetE1EEEvSK_
                                        ; -- End function
	.set _ZN7rocprim17ROCPRIM_400000_NS6detail17trampoline_kernelINS0_14default_configENS1_36segmented_radix_sort_config_selectorIblEEZNS1_25segmented_radix_sort_implIS3_Lb0EPKbPbPKlPlN2at6native12_GLOBAL__N_18offset_tEEE10hipError_tPvRmT1_PNSt15iterator_traitsISK_E10value_typeET2_T3_PNSL_ISQ_E10value_typeET4_jRbjT5_SW_jjP12ihipStream_tbEUlT_E0_NS1_11comp_targetILNS1_3genE8ELNS1_11target_archE1030ELNS1_3gpuE2ELNS1_3repE0EEENS1_60segmented_radix_sort_warp_sort_medium_config_static_selectorELNS0_4arch9wavefront6targetE1EEEvSK_.num_vgpr, 0
	.set _ZN7rocprim17ROCPRIM_400000_NS6detail17trampoline_kernelINS0_14default_configENS1_36segmented_radix_sort_config_selectorIblEEZNS1_25segmented_radix_sort_implIS3_Lb0EPKbPbPKlPlN2at6native12_GLOBAL__N_18offset_tEEE10hipError_tPvRmT1_PNSt15iterator_traitsISK_E10value_typeET2_T3_PNSL_ISQ_E10value_typeET4_jRbjT5_SW_jjP12ihipStream_tbEUlT_E0_NS1_11comp_targetILNS1_3genE8ELNS1_11target_archE1030ELNS1_3gpuE2ELNS1_3repE0EEENS1_60segmented_radix_sort_warp_sort_medium_config_static_selectorELNS0_4arch9wavefront6targetE1EEEvSK_.num_agpr, 0
	.set _ZN7rocprim17ROCPRIM_400000_NS6detail17trampoline_kernelINS0_14default_configENS1_36segmented_radix_sort_config_selectorIblEEZNS1_25segmented_radix_sort_implIS3_Lb0EPKbPbPKlPlN2at6native12_GLOBAL__N_18offset_tEEE10hipError_tPvRmT1_PNSt15iterator_traitsISK_E10value_typeET2_T3_PNSL_ISQ_E10value_typeET4_jRbjT5_SW_jjP12ihipStream_tbEUlT_E0_NS1_11comp_targetILNS1_3genE8ELNS1_11target_archE1030ELNS1_3gpuE2ELNS1_3repE0EEENS1_60segmented_radix_sort_warp_sort_medium_config_static_selectorELNS0_4arch9wavefront6targetE1EEEvSK_.numbered_sgpr, 0
	.set _ZN7rocprim17ROCPRIM_400000_NS6detail17trampoline_kernelINS0_14default_configENS1_36segmented_radix_sort_config_selectorIblEEZNS1_25segmented_radix_sort_implIS3_Lb0EPKbPbPKlPlN2at6native12_GLOBAL__N_18offset_tEEE10hipError_tPvRmT1_PNSt15iterator_traitsISK_E10value_typeET2_T3_PNSL_ISQ_E10value_typeET4_jRbjT5_SW_jjP12ihipStream_tbEUlT_E0_NS1_11comp_targetILNS1_3genE8ELNS1_11target_archE1030ELNS1_3gpuE2ELNS1_3repE0EEENS1_60segmented_radix_sort_warp_sort_medium_config_static_selectorELNS0_4arch9wavefront6targetE1EEEvSK_.num_named_barrier, 0
	.set _ZN7rocprim17ROCPRIM_400000_NS6detail17trampoline_kernelINS0_14default_configENS1_36segmented_radix_sort_config_selectorIblEEZNS1_25segmented_radix_sort_implIS3_Lb0EPKbPbPKlPlN2at6native12_GLOBAL__N_18offset_tEEE10hipError_tPvRmT1_PNSt15iterator_traitsISK_E10value_typeET2_T3_PNSL_ISQ_E10value_typeET4_jRbjT5_SW_jjP12ihipStream_tbEUlT_E0_NS1_11comp_targetILNS1_3genE8ELNS1_11target_archE1030ELNS1_3gpuE2ELNS1_3repE0EEENS1_60segmented_radix_sort_warp_sort_medium_config_static_selectorELNS0_4arch9wavefront6targetE1EEEvSK_.private_seg_size, 0
	.set _ZN7rocprim17ROCPRIM_400000_NS6detail17trampoline_kernelINS0_14default_configENS1_36segmented_radix_sort_config_selectorIblEEZNS1_25segmented_radix_sort_implIS3_Lb0EPKbPbPKlPlN2at6native12_GLOBAL__N_18offset_tEEE10hipError_tPvRmT1_PNSt15iterator_traitsISK_E10value_typeET2_T3_PNSL_ISQ_E10value_typeET4_jRbjT5_SW_jjP12ihipStream_tbEUlT_E0_NS1_11comp_targetILNS1_3genE8ELNS1_11target_archE1030ELNS1_3gpuE2ELNS1_3repE0EEENS1_60segmented_radix_sort_warp_sort_medium_config_static_selectorELNS0_4arch9wavefront6targetE1EEEvSK_.uses_vcc, 0
	.set _ZN7rocprim17ROCPRIM_400000_NS6detail17trampoline_kernelINS0_14default_configENS1_36segmented_radix_sort_config_selectorIblEEZNS1_25segmented_radix_sort_implIS3_Lb0EPKbPbPKlPlN2at6native12_GLOBAL__N_18offset_tEEE10hipError_tPvRmT1_PNSt15iterator_traitsISK_E10value_typeET2_T3_PNSL_ISQ_E10value_typeET4_jRbjT5_SW_jjP12ihipStream_tbEUlT_E0_NS1_11comp_targetILNS1_3genE8ELNS1_11target_archE1030ELNS1_3gpuE2ELNS1_3repE0EEENS1_60segmented_radix_sort_warp_sort_medium_config_static_selectorELNS0_4arch9wavefront6targetE1EEEvSK_.uses_flat_scratch, 0
	.set _ZN7rocprim17ROCPRIM_400000_NS6detail17trampoline_kernelINS0_14default_configENS1_36segmented_radix_sort_config_selectorIblEEZNS1_25segmented_radix_sort_implIS3_Lb0EPKbPbPKlPlN2at6native12_GLOBAL__N_18offset_tEEE10hipError_tPvRmT1_PNSt15iterator_traitsISK_E10value_typeET2_T3_PNSL_ISQ_E10value_typeET4_jRbjT5_SW_jjP12ihipStream_tbEUlT_E0_NS1_11comp_targetILNS1_3genE8ELNS1_11target_archE1030ELNS1_3gpuE2ELNS1_3repE0EEENS1_60segmented_radix_sort_warp_sort_medium_config_static_selectorELNS0_4arch9wavefront6targetE1EEEvSK_.has_dyn_sized_stack, 0
	.set _ZN7rocprim17ROCPRIM_400000_NS6detail17trampoline_kernelINS0_14default_configENS1_36segmented_radix_sort_config_selectorIblEEZNS1_25segmented_radix_sort_implIS3_Lb0EPKbPbPKlPlN2at6native12_GLOBAL__N_18offset_tEEE10hipError_tPvRmT1_PNSt15iterator_traitsISK_E10value_typeET2_T3_PNSL_ISQ_E10value_typeET4_jRbjT5_SW_jjP12ihipStream_tbEUlT_E0_NS1_11comp_targetILNS1_3genE8ELNS1_11target_archE1030ELNS1_3gpuE2ELNS1_3repE0EEENS1_60segmented_radix_sort_warp_sort_medium_config_static_selectorELNS0_4arch9wavefront6targetE1EEEvSK_.has_recursion, 0
	.set _ZN7rocprim17ROCPRIM_400000_NS6detail17trampoline_kernelINS0_14default_configENS1_36segmented_radix_sort_config_selectorIblEEZNS1_25segmented_radix_sort_implIS3_Lb0EPKbPbPKlPlN2at6native12_GLOBAL__N_18offset_tEEE10hipError_tPvRmT1_PNSt15iterator_traitsISK_E10value_typeET2_T3_PNSL_ISQ_E10value_typeET4_jRbjT5_SW_jjP12ihipStream_tbEUlT_E0_NS1_11comp_targetILNS1_3genE8ELNS1_11target_archE1030ELNS1_3gpuE2ELNS1_3repE0EEENS1_60segmented_radix_sort_warp_sort_medium_config_static_selectorELNS0_4arch9wavefront6targetE1EEEvSK_.has_indirect_call, 0
	.section	.AMDGPU.csdata,"",@progbits
; Kernel info:
; codeLenInByte = 0
; TotalNumSgprs: 4
; NumVgprs: 0
; ScratchSize: 0
; MemoryBound: 0
; FloatMode: 240
; IeeeMode: 1
; LDSByteSize: 0 bytes/workgroup (compile time only)
; SGPRBlocks: 0
; VGPRBlocks: 0
; NumSGPRsForWavesPerEU: 4
; NumVGPRsForWavesPerEU: 1
; Occupancy: 10
; WaveLimiterHint : 0
; COMPUTE_PGM_RSRC2:SCRATCH_EN: 0
; COMPUTE_PGM_RSRC2:USER_SGPR: 6
; COMPUTE_PGM_RSRC2:TRAP_HANDLER: 0
; COMPUTE_PGM_RSRC2:TGID_X_EN: 1
; COMPUTE_PGM_RSRC2:TGID_Y_EN: 0
; COMPUTE_PGM_RSRC2:TGID_Z_EN: 0
; COMPUTE_PGM_RSRC2:TIDIG_COMP_CNT: 0
	.section	.text._ZN7rocprim17ROCPRIM_400000_NS6detail17trampoline_kernelINS0_14default_configENS1_36segmented_radix_sort_config_selectorIblEEZNS1_25segmented_radix_sort_implIS3_Lb0EPKbPbPKlPlN2at6native12_GLOBAL__N_18offset_tEEE10hipError_tPvRmT1_PNSt15iterator_traitsISK_E10value_typeET2_T3_PNSL_ISQ_E10value_typeET4_jRbjT5_SW_jjP12ihipStream_tbEUlT_E1_NS1_11comp_targetILNS1_3genE0ELNS1_11target_archE4294967295ELNS1_3gpuE0ELNS1_3repE0EEENS1_59segmented_radix_sort_warp_sort_small_config_static_selectorELNS0_4arch9wavefront6targetE1EEEvSK_,"axG",@progbits,_ZN7rocprim17ROCPRIM_400000_NS6detail17trampoline_kernelINS0_14default_configENS1_36segmented_radix_sort_config_selectorIblEEZNS1_25segmented_radix_sort_implIS3_Lb0EPKbPbPKlPlN2at6native12_GLOBAL__N_18offset_tEEE10hipError_tPvRmT1_PNSt15iterator_traitsISK_E10value_typeET2_T3_PNSL_ISQ_E10value_typeET4_jRbjT5_SW_jjP12ihipStream_tbEUlT_E1_NS1_11comp_targetILNS1_3genE0ELNS1_11target_archE4294967295ELNS1_3gpuE0ELNS1_3repE0EEENS1_59segmented_radix_sort_warp_sort_small_config_static_selectorELNS0_4arch9wavefront6targetE1EEEvSK_,comdat
	.globl	_ZN7rocprim17ROCPRIM_400000_NS6detail17trampoline_kernelINS0_14default_configENS1_36segmented_radix_sort_config_selectorIblEEZNS1_25segmented_radix_sort_implIS3_Lb0EPKbPbPKlPlN2at6native12_GLOBAL__N_18offset_tEEE10hipError_tPvRmT1_PNSt15iterator_traitsISK_E10value_typeET2_T3_PNSL_ISQ_E10value_typeET4_jRbjT5_SW_jjP12ihipStream_tbEUlT_E1_NS1_11comp_targetILNS1_3genE0ELNS1_11target_archE4294967295ELNS1_3gpuE0ELNS1_3repE0EEENS1_59segmented_radix_sort_warp_sort_small_config_static_selectorELNS0_4arch9wavefront6targetE1EEEvSK_ ; -- Begin function _ZN7rocprim17ROCPRIM_400000_NS6detail17trampoline_kernelINS0_14default_configENS1_36segmented_radix_sort_config_selectorIblEEZNS1_25segmented_radix_sort_implIS3_Lb0EPKbPbPKlPlN2at6native12_GLOBAL__N_18offset_tEEE10hipError_tPvRmT1_PNSt15iterator_traitsISK_E10value_typeET2_T3_PNSL_ISQ_E10value_typeET4_jRbjT5_SW_jjP12ihipStream_tbEUlT_E1_NS1_11comp_targetILNS1_3genE0ELNS1_11target_archE4294967295ELNS1_3gpuE0ELNS1_3repE0EEENS1_59segmented_radix_sort_warp_sort_small_config_static_selectorELNS0_4arch9wavefront6targetE1EEEvSK_
	.p2align	8
	.type	_ZN7rocprim17ROCPRIM_400000_NS6detail17trampoline_kernelINS0_14default_configENS1_36segmented_radix_sort_config_selectorIblEEZNS1_25segmented_radix_sort_implIS3_Lb0EPKbPbPKlPlN2at6native12_GLOBAL__N_18offset_tEEE10hipError_tPvRmT1_PNSt15iterator_traitsISK_E10value_typeET2_T3_PNSL_ISQ_E10value_typeET4_jRbjT5_SW_jjP12ihipStream_tbEUlT_E1_NS1_11comp_targetILNS1_3genE0ELNS1_11target_archE4294967295ELNS1_3gpuE0ELNS1_3repE0EEENS1_59segmented_radix_sort_warp_sort_small_config_static_selectorELNS0_4arch9wavefront6targetE1EEEvSK_,@function
_ZN7rocprim17ROCPRIM_400000_NS6detail17trampoline_kernelINS0_14default_configENS1_36segmented_radix_sort_config_selectorIblEEZNS1_25segmented_radix_sort_implIS3_Lb0EPKbPbPKlPlN2at6native12_GLOBAL__N_18offset_tEEE10hipError_tPvRmT1_PNSt15iterator_traitsISK_E10value_typeET2_T3_PNSL_ISQ_E10value_typeET4_jRbjT5_SW_jjP12ihipStream_tbEUlT_E1_NS1_11comp_targetILNS1_3genE0ELNS1_11target_archE4294967295ELNS1_3gpuE0ELNS1_3repE0EEENS1_59segmented_radix_sort_warp_sort_small_config_static_selectorELNS0_4arch9wavefront6targetE1EEEvSK_: ; @_ZN7rocprim17ROCPRIM_400000_NS6detail17trampoline_kernelINS0_14default_configENS1_36segmented_radix_sort_config_selectorIblEEZNS1_25segmented_radix_sort_implIS3_Lb0EPKbPbPKlPlN2at6native12_GLOBAL__N_18offset_tEEE10hipError_tPvRmT1_PNSt15iterator_traitsISK_E10value_typeET2_T3_PNSL_ISQ_E10value_typeET4_jRbjT5_SW_jjP12ihipStream_tbEUlT_E1_NS1_11comp_targetILNS1_3genE0ELNS1_11target_archE4294967295ELNS1_3gpuE0ELNS1_3repE0EEENS1_59segmented_radix_sort_warp_sort_small_config_static_selectorELNS0_4arch9wavefront6targetE1EEEvSK_
; %bb.0:
	.section	.rodata,"a",@progbits
	.p2align	6, 0x0
	.amdhsa_kernel _ZN7rocprim17ROCPRIM_400000_NS6detail17trampoline_kernelINS0_14default_configENS1_36segmented_radix_sort_config_selectorIblEEZNS1_25segmented_radix_sort_implIS3_Lb0EPKbPbPKlPlN2at6native12_GLOBAL__N_18offset_tEEE10hipError_tPvRmT1_PNSt15iterator_traitsISK_E10value_typeET2_T3_PNSL_ISQ_E10value_typeET4_jRbjT5_SW_jjP12ihipStream_tbEUlT_E1_NS1_11comp_targetILNS1_3genE0ELNS1_11target_archE4294967295ELNS1_3gpuE0ELNS1_3repE0EEENS1_59segmented_radix_sort_warp_sort_small_config_static_selectorELNS0_4arch9wavefront6targetE1EEEvSK_
		.amdhsa_group_segment_fixed_size 0
		.amdhsa_private_segment_fixed_size 0
		.amdhsa_kernarg_size 88
		.amdhsa_user_sgpr_count 6
		.amdhsa_user_sgpr_private_segment_buffer 1
		.amdhsa_user_sgpr_dispatch_ptr 0
		.amdhsa_user_sgpr_queue_ptr 0
		.amdhsa_user_sgpr_kernarg_segment_ptr 1
		.amdhsa_user_sgpr_dispatch_id 0
		.amdhsa_user_sgpr_flat_scratch_init 0
		.amdhsa_user_sgpr_private_segment_size 0
		.amdhsa_uses_dynamic_stack 0
		.amdhsa_system_sgpr_private_segment_wavefront_offset 0
		.amdhsa_system_sgpr_workgroup_id_x 1
		.amdhsa_system_sgpr_workgroup_id_y 0
		.amdhsa_system_sgpr_workgroup_id_z 0
		.amdhsa_system_sgpr_workgroup_info 0
		.amdhsa_system_vgpr_workitem_id 0
		.amdhsa_next_free_vgpr 1
		.amdhsa_next_free_sgpr 0
		.amdhsa_reserve_vcc 0
		.amdhsa_reserve_flat_scratch 0
		.amdhsa_float_round_mode_32 0
		.amdhsa_float_round_mode_16_64 0
		.amdhsa_float_denorm_mode_32 3
		.amdhsa_float_denorm_mode_16_64 3
		.amdhsa_dx10_clamp 1
		.amdhsa_ieee_mode 1
		.amdhsa_fp16_overflow 0
		.amdhsa_exception_fp_ieee_invalid_op 0
		.amdhsa_exception_fp_denorm_src 0
		.amdhsa_exception_fp_ieee_div_zero 0
		.amdhsa_exception_fp_ieee_overflow 0
		.amdhsa_exception_fp_ieee_underflow 0
		.amdhsa_exception_fp_ieee_inexact 0
		.amdhsa_exception_int_div_zero 0
	.end_amdhsa_kernel
	.section	.text._ZN7rocprim17ROCPRIM_400000_NS6detail17trampoline_kernelINS0_14default_configENS1_36segmented_radix_sort_config_selectorIblEEZNS1_25segmented_radix_sort_implIS3_Lb0EPKbPbPKlPlN2at6native12_GLOBAL__N_18offset_tEEE10hipError_tPvRmT1_PNSt15iterator_traitsISK_E10value_typeET2_T3_PNSL_ISQ_E10value_typeET4_jRbjT5_SW_jjP12ihipStream_tbEUlT_E1_NS1_11comp_targetILNS1_3genE0ELNS1_11target_archE4294967295ELNS1_3gpuE0ELNS1_3repE0EEENS1_59segmented_radix_sort_warp_sort_small_config_static_selectorELNS0_4arch9wavefront6targetE1EEEvSK_,"axG",@progbits,_ZN7rocprim17ROCPRIM_400000_NS6detail17trampoline_kernelINS0_14default_configENS1_36segmented_radix_sort_config_selectorIblEEZNS1_25segmented_radix_sort_implIS3_Lb0EPKbPbPKlPlN2at6native12_GLOBAL__N_18offset_tEEE10hipError_tPvRmT1_PNSt15iterator_traitsISK_E10value_typeET2_T3_PNSL_ISQ_E10value_typeET4_jRbjT5_SW_jjP12ihipStream_tbEUlT_E1_NS1_11comp_targetILNS1_3genE0ELNS1_11target_archE4294967295ELNS1_3gpuE0ELNS1_3repE0EEENS1_59segmented_radix_sort_warp_sort_small_config_static_selectorELNS0_4arch9wavefront6targetE1EEEvSK_,comdat
.Lfunc_end1655:
	.size	_ZN7rocprim17ROCPRIM_400000_NS6detail17trampoline_kernelINS0_14default_configENS1_36segmented_radix_sort_config_selectorIblEEZNS1_25segmented_radix_sort_implIS3_Lb0EPKbPbPKlPlN2at6native12_GLOBAL__N_18offset_tEEE10hipError_tPvRmT1_PNSt15iterator_traitsISK_E10value_typeET2_T3_PNSL_ISQ_E10value_typeET4_jRbjT5_SW_jjP12ihipStream_tbEUlT_E1_NS1_11comp_targetILNS1_3genE0ELNS1_11target_archE4294967295ELNS1_3gpuE0ELNS1_3repE0EEENS1_59segmented_radix_sort_warp_sort_small_config_static_selectorELNS0_4arch9wavefront6targetE1EEEvSK_, .Lfunc_end1655-_ZN7rocprim17ROCPRIM_400000_NS6detail17trampoline_kernelINS0_14default_configENS1_36segmented_radix_sort_config_selectorIblEEZNS1_25segmented_radix_sort_implIS3_Lb0EPKbPbPKlPlN2at6native12_GLOBAL__N_18offset_tEEE10hipError_tPvRmT1_PNSt15iterator_traitsISK_E10value_typeET2_T3_PNSL_ISQ_E10value_typeET4_jRbjT5_SW_jjP12ihipStream_tbEUlT_E1_NS1_11comp_targetILNS1_3genE0ELNS1_11target_archE4294967295ELNS1_3gpuE0ELNS1_3repE0EEENS1_59segmented_radix_sort_warp_sort_small_config_static_selectorELNS0_4arch9wavefront6targetE1EEEvSK_
                                        ; -- End function
	.set _ZN7rocprim17ROCPRIM_400000_NS6detail17trampoline_kernelINS0_14default_configENS1_36segmented_radix_sort_config_selectorIblEEZNS1_25segmented_radix_sort_implIS3_Lb0EPKbPbPKlPlN2at6native12_GLOBAL__N_18offset_tEEE10hipError_tPvRmT1_PNSt15iterator_traitsISK_E10value_typeET2_T3_PNSL_ISQ_E10value_typeET4_jRbjT5_SW_jjP12ihipStream_tbEUlT_E1_NS1_11comp_targetILNS1_3genE0ELNS1_11target_archE4294967295ELNS1_3gpuE0ELNS1_3repE0EEENS1_59segmented_radix_sort_warp_sort_small_config_static_selectorELNS0_4arch9wavefront6targetE1EEEvSK_.num_vgpr, 0
	.set _ZN7rocprim17ROCPRIM_400000_NS6detail17trampoline_kernelINS0_14default_configENS1_36segmented_radix_sort_config_selectorIblEEZNS1_25segmented_radix_sort_implIS3_Lb0EPKbPbPKlPlN2at6native12_GLOBAL__N_18offset_tEEE10hipError_tPvRmT1_PNSt15iterator_traitsISK_E10value_typeET2_T3_PNSL_ISQ_E10value_typeET4_jRbjT5_SW_jjP12ihipStream_tbEUlT_E1_NS1_11comp_targetILNS1_3genE0ELNS1_11target_archE4294967295ELNS1_3gpuE0ELNS1_3repE0EEENS1_59segmented_radix_sort_warp_sort_small_config_static_selectorELNS0_4arch9wavefront6targetE1EEEvSK_.num_agpr, 0
	.set _ZN7rocprim17ROCPRIM_400000_NS6detail17trampoline_kernelINS0_14default_configENS1_36segmented_radix_sort_config_selectorIblEEZNS1_25segmented_radix_sort_implIS3_Lb0EPKbPbPKlPlN2at6native12_GLOBAL__N_18offset_tEEE10hipError_tPvRmT1_PNSt15iterator_traitsISK_E10value_typeET2_T3_PNSL_ISQ_E10value_typeET4_jRbjT5_SW_jjP12ihipStream_tbEUlT_E1_NS1_11comp_targetILNS1_3genE0ELNS1_11target_archE4294967295ELNS1_3gpuE0ELNS1_3repE0EEENS1_59segmented_radix_sort_warp_sort_small_config_static_selectorELNS0_4arch9wavefront6targetE1EEEvSK_.numbered_sgpr, 0
	.set _ZN7rocprim17ROCPRIM_400000_NS6detail17trampoline_kernelINS0_14default_configENS1_36segmented_radix_sort_config_selectorIblEEZNS1_25segmented_radix_sort_implIS3_Lb0EPKbPbPKlPlN2at6native12_GLOBAL__N_18offset_tEEE10hipError_tPvRmT1_PNSt15iterator_traitsISK_E10value_typeET2_T3_PNSL_ISQ_E10value_typeET4_jRbjT5_SW_jjP12ihipStream_tbEUlT_E1_NS1_11comp_targetILNS1_3genE0ELNS1_11target_archE4294967295ELNS1_3gpuE0ELNS1_3repE0EEENS1_59segmented_radix_sort_warp_sort_small_config_static_selectorELNS0_4arch9wavefront6targetE1EEEvSK_.num_named_barrier, 0
	.set _ZN7rocprim17ROCPRIM_400000_NS6detail17trampoline_kernelINS0_14default_configENS1_36segmented_radix_sort_config_selectorIblEEZNS1_25segmented_radix_sort_implIS3_Lb0EPKbPbPKlPlN2at6native12_GLOBAL__N_18offset_tEEE10hipError_tPvRmT1_PNSt15iterator_traitsISK_E10value_typeET2_T3_PNSL_ISQ_E10value_typeET4_jRbjT5_SW_jjP12ihipStream_tbEUlT_E1_NS1_11comp_targetILNS1_3genE0ELNS1_11target_archE4294967295ELNS1_3gpuE0ELNS1_3repE0EEENS1_59segmented_radix_sort_warp_sort_small_config_static_selectorELNS0_4arch9wavefront6targetE1EEEvSK_.private_seg_size, 0
	.set _ZN7rocprim17ROCPRIM_400000_NS6detail17trampoline_kernelINS0_14default_configENS1_36segmented_radix_sort_config_selectorIblEEZNS1_25segmented_radix_sort_implIS3_Lb0EPKbPbPKlPlN2at6native12_GLOBAL__N_18offset_tEEE10hipError_tPvRmT1_PNSt15iterator_traitsISK_E10value_typeET2_T3_PNSL_ISQ_E10value_typeET4_jRbjT5_SW_jjP12ihipStream_tbEUlT_E1_NS1_11comp_targetILNS1_3genE0ELNS1_11target_archE4294967295ELNS1_3gpuE0ELNS1_3repE0EEENS1_59segmented_radix_sort_warp_sort_small_config_static_selectorELNS0_4arch9wavefront6targetE1EEEvSK_.uses_vcc, 0
	.set _ZN7rocprim17ROCPRIM_400000_NS6detail17trampoline_kernelINS0_14default_configENS1_36segmented_radix_sort_config_selectorIblEEZNS1_25segmented_radix_sort_implIS3_Lb0EPKbPbPKlPlN2at6native12_GLOBAL__N_18offset_tEEE10hipError_tPvRmT1_PNSt15iterator_traitsISK_E10value_typeET2_T3_PNSL_ISQ_E10value_typeET4_jRbjT5_SW_jjP12ihipStream_tbEUlT_E1_NS1_11comp_targetILNS1_3genE0ELNS1_11target_archE4294967295ELNS1_3gpuE0ELNS1_3repE0EEENS1_59segmented_radix_sort_warp_sort_small_config_static_selectorELNS0_4arch9wavefront6targetE1EEEvSK_.uses_flat_scratch, 0
	.set _ZN7rocprim17ROCPRIM_400000_NS6detail17trampoline_kernelINS0_14default_configENS1_36segmented_radix_sort_config_selectorIblEEZNS1_25segmented_radix_sort_implIS3_Lb0EPKbPbPKlPlN2at6native12_GLOBAL__N_18offset_tEEE10hipError_tPvRmT1_PNSt15iterator_traitsISK_E10value_typeET2_T3_PNSL_ISQ_E10value_typeET4_jRbjT5_SW_jjP12ihipStream_tbEUlT_E1_NS1_11comp_targetILNS1_3genE0ELNS1_11target_archE4294967295ELNS1_3gpuE0ELNS1_3repE0EEENS1_59segmented_radix_sort_warp_sort_small_config_static_selectorELNS0_4arch9wavefront6targetE1EEEvSK_.has_dyn_sized_stack, 0
	.set _ZN7rocprim17ROCPRIM_400000_NS6detail17trampoline_kernelINS0_14default_configENS1_36segmented_radix_sort_config_selectorIblEEZNS1_25segmented_radix_sort_implIS3_Lb0EPKbPbPKlPlN2at6native12_GLOBAL__N_18offset_tEEE10hipError_tPvRmT1_PNSt15iterator_traitsISK_E10value_typeET2_T3_PNSL_ISQ_E10value_typeET4_jRbjT5_SW_jjP12ihipStream_tbEUlT_E1_NS1_11comp_targetILNS1_3genE0ELNS1_11target_archE4294967295ELNS1_3gpuE0ELNS1_3repE0EEENS1_59segmented_radix_sort_warp_sort_small_config_static_selectorELNS0_4arch9wavefront6targetE1EEEvSK_.has_recursion, 0
	.set _ZN7rocprim17ROCPRIM_400000_NS6detail17trampoline_kernelINS0_14default_configENS1_36segmented_radix_sort_config_selectorIblEEZNS1_25segmented_radix_sort_implIS3_Lb0EPKbPbPKlPlN2at6native12_GLOBAL__N_18offset_tEEE10hipError_tPvRmT1_PNSt15iterator_traitsISK_E10value_typeET2_T3_PNSL_ISQ_E10value_typeET4_jRbjT5_SW_jjP12ihipStream_tbEUlT_E1_NS1_11comp_targetILNS1_3genE0ELNS1_11target_archE4294967295ELNS1_3gpuE0ELNS1_3repE0EEENS1_59segmented_radix_sort_warp_sort_small_config_static_selectorELNS0_4arch9wavefront6targetE1EEEvSK_.has_indirect_call, 0
	.section	.AMDGPU.csdata,"",@progbits
; Kernel info:
; codeLenInByte = 0
; TotalNumSgprs: 4
; NumVgprs: 0
; ScratchSize: 0
; MemoryBound: 0
; FloatMode: 240
; IeeeMode: 1
; LDSByteSize: 0 bytes/workgroup (compile time only)
; SGPRBlocks: 0
; VGPRBlocks: 0
; NumSGPRsForWavesPerEU: 4
; NumVGPRsForWavesPerEU: 1
; Occupancy: 10
; WaveLimiterHint : 0
; COMPUTE_PGM_RSRC2:SCRATCH_EN: 0
; COMPUTE_PGM_RSRC2:USER_SGPR: 6
; COMPUTE_PGM_RSRC2:TRAP_HANDLER: 0
; COMPUTE_PGM_RSRC2:TGID_X_EN: 1
; COMPUTE_PGM_RSRC2:TGID_Y_EN: 0
; COMPUTE_PGM_RSRC2:TGID_Z_EN: 0
; COMPUTE_PGM_RSRC2:TIDIG_COMP_CNT: 0
	.section	.text._ZN7rocprim17ROCPRIM_400000_NS6detail17trampoline_kernelINS0_14default_configENS1_36segmented_radix_sort_config_selectorIblEEZNS1_25segmented_radix_sort_implIS3_Lb0EPKbPbPKlPlN2at6native12_GLOBAL__N_18offset_tEEE10hipError_tPvRmT1_PNSt15iterator_traitsISK_E10value_typeET2_T3_PNSL_ISQ_E10value_typeET4_jRbjT5_SW_jjP12ihipStream_tbEUlT_E1_NS1_11comp_targetILNS1_3genE5ELNS1_11target_archE942ELNS1_3gpuE9ELNS1_3repE0EEENS1_59segmented_radix_sort_warp_sort_small_config_static_selectorELNS0_4arch9wavefront6targetE1EEEvSK_,"axG",@progbits,_ZN7rocprim17ROCPRIM_400000_NS6detail17trampoline_kernelINS0_14default_configENS1_36segmented_radix_sort_config_selectorIblEEZNS1_25segmented_radix_sort_implIS3_Lb0EPKbPbPKlPlN2at6native12_GLOBAL__N_18offset_tEEE10hipError_tPvRmT1_PNSt15iterator_traitsISK_E10value_typeET2_T3_PNSL_ISQ_E10value_typeET4_jRbjT5_SW_jjP12ihipStream_tbEUlT_E1_NS1_11comp_targetILNS1_3genE5ELNS1_11target_archE942ELNS1_3gpuE9ELNS1_3repE0EEENS1_59segmented_radix_sort_warp_sort_small_config_static_selectorELNS0_4arch9wavefront6targetE1EEEvSK_,comdat
	.globl	_ZN7rocprim17ROCPRIM_400000_NS6detail17trampoline_kernelINS0_14default_configENS1_36segmented_radix_sort_config_selectorIblEEZNS1_25segmented_radix_sort_implIS3_Lb0EPKbPbPKlPlN2at6native12_GLOBAL__N_18offset_tEEE10hipError_tPvRmT1_PNSt15iterator_traitsISK_E10value_typeET2_T3_PNSL_ISQ_E10value_typeET4_jRbjT5_SW_jjP12ihipStream_tbEUlT_E1_NS1_11comp_targetILNS1_3genE5ELNS1_11target_archE942ELNS1_3gpuE9ELNS1_3repE0EEENS1_59segmented_radix_sort_warp_sort_small_config_static_selectorELNS0_4arch9wavefront6targetE1EEEvSK_ ; -- Begin function _ZN7rocprim17ROCPRIM_400000_NS6detail17trampoline_kernelINS0_14default_configENS1_36segmented_radix_sort_config_selectorIblEEZNS1_25segmented_radix_sort_implIS3_Lb0EPKbPbPKlPlN2at6native12_GLOBAL__N_18offset_tEEE10hipError_tPvRmT1_PNSt15iterator_traitsISK_E10value_typeET2_T3_PNSL_ISQ_E10value_typeET4_jRbjT5_SW_jjP12ihipStream_tbEUlT_E1_NS1_11comp_targetILNS1_3genE5ELNS1_11target_archE942ELNS1_3gpuE9ELNS1_3repE0EEENS1_59segmented_radix_sort_warp_sort_small_config_static_selectorELNS0_4arch9wavefront6targetE1EEEvSK_
	.p2align	8
	.type	_ZN7rocprim17ROCPRIM_400000_NS6detail17trampoline_kernelINS0_14default_configENS1_36segmented_radix_sort_config_selectorIblEEZNS1_25segmented_radix_sort_implIS3_Lb0EPKbPbPKlPlN2at6native12_GLOBAL__N_18offset_tEEE10hipError_tPvRmT1_PNSt15iterator_traitsISK_E10value_typeET2_T3_PNSL_ISQ_E10value_typeET4_jRbjT5_SW_jjP12ihipStream_tbEUlT_E1_NS1_11comp_targetILNS1_3genE5ELNS1_11target_archE942ELNS1_3gpuE9ELNS1_3repE0EEENS1_59segmented_radix_sort_warp_sort_small_config_static_selectorELNS0_4arch9wavefront6targetE1EEEvSK_,@function
_ZN7rocprim17ROCPRIM_400000_NS6detail17trampoline_kernelINS0_14default_configENS1_36segmented_radix_sort_config_selectorIblEEZNS1_25segmented_radix_sort_implIS3_Lb0EPKbPbPKlPlN2at6native12_GLOBAL__N_18offset_tEEE10hipError_tPvRmT1_PNSt15iterator_traitsISK_E10value_typeET2_T3_PNSL_ISQ_E10value_typeET4_jRbjT5_SW_jjP12ihipStream_tbEUlT_E1_NS1_11comp_targetILNS1_3genE5ELNS1_11target_archE942ELNS1_3gpuE9ELNS1_3repE0EEENS1_59segmented_radix_sort_warp_sort_small_config_static_selectorELNS0_4arch9wavefront6targetE1EEEvSK_: ; @_ZN7rocprim17ROCPRIM_400000_NS6detail17trampoline_kernelINS0_14default_configENS1_36segmented_radix_sort_config_selectorIblEEZNS1_25segmented_radix_sort_implIS3_Lb0EPKbPbPKlPlN2at6native12_GLOBAL__N_18offset_tEEE10hipError_tPvRmT1_PNSt15iterator_traitsISK_E10value_typeET2_T3_PNSL_ISQ_E10value_typeET4_jRbjT5_SW_jjP12ihipStream_tbEUlT_E1_NS1_11comp_targetILNS1_3genE5ELNS1_11target_archE942ELNS1_3gpuE9ELNS1_3repE0EEENS1_59segmented_radix_sort_warp_sort_small_config_static_selectorELNS0_4arch9wavefront6targetE1EEEvSK_
; %bb.0:
	.section	.rodata,"a",@progbits
	.p2align	6, 0x0
	.amdhsa_kernel _ZN7rocprim17ROCPRIM_400000_NS6detail17trampoline_kernelINS0_14default_configENS1_36segmented_radix_sort_config_selectorIblEEZNS1_25segmented_radix_sort_implIS3_Lb0EPKbPbPKlPlN2at6native12_GLOBAL__N_18offset_tEEE10hipError_tPvRmT1_PNSt15iterator_traitsISK_E10value_typeET2_T3_PNSL_ISQ_E10value_typeET4_jRbjT5_SW_jjP12ihipStream_tbEUlT_E1_NS1_11comp_targetILNS1_3genE5ELNS1_11target_archE942ELNS1_3gpuE9ELNS1_3repE0EEENS1_59segmented_radix_sort_warp_sort_small_config_static_selectorELNS0_4arch9wavefront6targetE1EEEvSK_
		.amdhsa_group_segment_fixed_size 0
		.amdhsa_private_segment_fixed_size 0
		.amdhsa_kernarg_size 88
		.amdhsa_user_sgpr_count 6
		.amdhsa_user_sgpr_private_segment_buffer 1
		.amdhsa_user_sgpr_dispatch_ptr 0
		.amdhsa_user_sgpr_queue_ptr 0
		.amdhsa_user_sgpr_kernarg_segment_ptr 1
		.amdhsa_user_sgpr_dispatch_id 0
		.amdhsa_user_sgpr_flat_scratch_init 0
		.amdhsa_user_sgpr_private_segment_size 0
		.amdhsa_uses_dynamic_stack 0
		.amdhsa_system_sgpr_private_segment_wavefront_offset 0
		.amdhsa_system_sgpr_workgroup_id_x 1
		.amdhsa_system_sgpr_workgroup_id_y 0
		.amdhsa_system_sgpr_workgroup_id_z 0
		.amdhsa_system_sgpr_workgroup_info 0
		.amdhsa_system_vgpr_workitem_id 0
		.amdhsa_next_free_vgpr 1
		.amdhsa_next_free_sgpr 0
		.amdhsa_reserve_vcc 0
		.amdhsa_reserve_flat_scratch 0
		.amdhsa_float_round_mode_32 0
		.amdhsa_float_round_mode_16_64 0
		.amdhsa_float_denorm_mode_32 3
		.amdhsa_float_denorm_mode_16_64 3
		.amdhsa_dx10_clamp 1
		.amdhsa_ieee_mode 1
		.amdhsa_fp16_overflow 0
		.amdhsa_exception_fp_ieee_invalid_op 0
		.amdhsa_exception_fp_denorm_src 0
		.amdhsa_exception_fp_ieee_div_zero 0
		.amdhsa_exception_fp_ieee_overflow 0
		.amdhsa_exception_fp_ieee_underflow 0
		.amdhsa_exception_fp_ieee_inexact 0
		.amdhsa_exception_int_div_zero 0
	.end_amdhsa_kernel
	.section	.text._ZN7rocprim17ROCPRIM_400000_NS6detail17trampoline_kernelINS0_14default_configENS1_36segmented_radix_sort_config_selectorIblEEZNS1_25segmented_radix_sort_implIS3_Lb0EPKbPbPKlPlN2at6native12_GLOBAL__N_18offset_tEEE10hipError_tPvRmT1_PNSt15iterator_traitsISK_E10value_typeET2_T3_PNSL_ISQ_E10value_typeET4_jRbjT5_SW_jjP12ihipStream_tbEUlT_E1_NS1_11comp_targetILNS1_3genE5ELNS1_11target_archE942ELNS1_3gpuE9ELNS1_3repE0EEENS1_59segmented_radix_sort_warp_sort_small_config_static_selectorELNS0_4arch9wavefront6targetE1EEEvSK_,"axG",@progbits,_ZN7rocprim17ROCPRIM_400000_NS6detail17trampoline_kernelINS0_14default_configENS1_36segmented_radix_sort_config_selectorIblEEZNS1_25segmented_radix_sort_implIS3_Lb0EPKbPbPKlPlN2at6native12_GLOBAL__N_18offset_tEEE10hipError_tPvRmT1_PNSt15iterator_traitsISK_E10value_typeET2_T3_PNSL_ISQ_E10value_typeET4_jRbjT5_SW_jjP12ihipStream_tbEUlT_E1_NS1_11comp_targetILNS1_3genE5ELNS1_11target_archE942ELNS1_3gpuE9ELNS1_3repE0EEENS1_59segmented_radix_sort_warp_sort_small_config_static_selectorELNS0_4arch9wavefront6targetE1EEEvSK_,comdat
.Lfunc_end1656:
	.size	_ZN7rocprim17ROCPRIM_400000_NS6detail17trampoline_kernelINS0_14default_configENS1_36segmented_radix_sort_config_selectorIblEEZNS1_25segmented_radix_sort_implIS3_Lb0EPKbPbPKlPlN2at6native12_GLOBAL__N_18offset_tEEE10hipError_tPvRmT1_PNSt15iterator_traitsISK_E10value_typeET2_T3_PNSL_ISQ_E10value_typeET4_jRbjT5_SW_jjP12ihipStream_tbEUlT_E1_NS1_11comp_targetILNS1_3genE5ELNS1_11target_archE942ELNS1_3gpuE9ELNS1_3repE0EEENS1_59segmented_radix_sort_warp_sort_small_config_static_selectorELNS0_4arch9wavefront6targetE1EEEvSK_, .Lfunc_end1656-_ZN7rocprim17ROCPRIM_400000_NS6detail17trampoline_kernelINS0_14default_configENS1_36segmented_radix_sort_config_selectorIblEEZNS1_25segmented_radix_sort_implIS3_Lb0EPKbPbPKlPlN2at6native12_GLOBAL__N_18offset_tEEE10hipError_tPvRmT1_PNSt15iterator_traitsISK_E10value_typeET2_T3_PNSL_ISQ_E10value_typeET4_jRbjT5_SW_jjP12ihipStream_tbEUlT_E1_NS1_11comp_targetILNS1_3genE5ELNS1_11target_archE942ELNS1_3gpuE9ELNS1_3repE0EEENS1_59segmented_radix_sort_warp_sort_small_config_static_selectorELNS0_4arch9wavefront6targetE1EEEvSK_
                                        ; -- End function
	.set _ZN7rocprim17ROCPRIM_400000_NS6detail17trampoline_kernelINS0_14default_configENS1_36segmented_radix_sort_config_selectorIblEEZNS1_25segmented_radix_sort_implIS3_Lb0EPKbPbPKlPlN2at6native12_GLOBAL__N_18offset_tEEE10hipError_tPvRmT1_PNSt15iterator_traitsISK_E10value_typeET2_T3_PNSL_ISQ_E10value_typeET4_jRbjT5_SW_jjP12ihipStream_tbEUlT_E1_NS1_11comp_targetILNS1_3genE5ELNS1_11target_archE942ELNS1_3gpuE9ELNS1_3repE0EEENS1_59segmented_radix_sort_warp_sort_small_config_static_selectorELNS0_4arch9wavefront6targetE1EEEvSK_.num_vgpr, 0
	.set _ZN7rocprim17ROCPRIM_400000_NS6detail17trampoline_kernelINS0_14default_configENS1_36segmented_radix_sort_config_selectorIblEEZNS1_25segmented_radix_sort_implIS3_Lb0EPKbPbPKlPlN2at6native12_GLOBAL__N_18offset_tEEE10hipError_tPvRmT1_PNSt15iterator_traitsISK_E10value_typeET2_T3_PNSL_ISQ_E10value_typeET4_jRbjT5_SW_jjP12ihipStream_tbEUlT_E1_NS1_11comp_targetILNS1_3genE5ELNS1_11target_archE942ELNS1_3gpuE9ELNS1_3repE0EEENS1_59segmented_radix_sort_warp_sort_small_config_static_selectorELNS0_4arch9wavefront6targetE1EEEvSK_.num_agpr, 0
	.set _ZN7rocprim17ROCPRIM_400000_NS6detail17trampoline_kernelINS0_14default_configENS1_36segmented_radix_sort_config_selectorIblEEZNS1_25segmented_radix_sort_implIS3_Lb0EPKbPbPKlPlN2at6native12_GLOBAL__N_18offset_tEEE10hipError_tPvRmT1_PNSt15iterator_traitsISK_E10value_typeET2_T3_PNSL_ISQ_E10value_typeET4_jRbjT5_SW_jjP12ihipStream_tbEUlT_E1_NS1_11comp_targetILNS1_3genE5ELNS1_11target_archE942ELNS1_3gpuE9ELNS1_3repE0EEENS1_59segmented_radix_sort_warp_sort_small_config_static_selectorELNS0_4arch9wavefront6targetE1EEEvSK_.numbered_sgpr, 0
	.set _ZN7rocprim17ROCPRIM_400000_NS6detail17trampoline_kernelINS0_14default_configENS1_36segmented_radix_sort_config_selectorIblEEZNS1_25segmented_radix_sort_implIS3_Lb0EPKbPbPKlPlN2at6native12_GLOBAL__N_18offset_tEEE10hipError_tPvRmT1_PNSt15iterator_traitsISK_E10value_typeET2_T3_PNSL_ISQ_E10value_typeET4_jRbjT5_SW_jjP12ihipStream_tbEUlT_E1_NS1_11comp_targetILNS1_3genE5ELNS1_11target_archE942ELNS1_3gpuE9ELNS1_3repE0EEENS1_59segmented_radix_sort_warp_sort_small_config_static_selectorELNS0_4arch9wavefront6targetE1EEEvSK_.num_named_barrier, 0
	.set _ZN7rocprim17ROCPRIM_400000_NS6detail17trampoline_kernelINS0_14default_configENS1_36segmented_radix_sort_config_selectorIblEEZNS1_25segmented_radix_sort_implIS3_Lb0EPKbPbPKlPlN2at6native12_GLOBAL__N_18offset_tEEE10hipError_tPvRmT1_PNSt15iterator_traitsISK_E10value_typeET2_T3_PNSL_ISQ_E10value_typeET4_jRbjT5_SW_jjP12ihipStream_tbEUlT_E1_NS1_11comp_targetILNS1_3genE5ELNS1_11target_archE942ELNS1_3gpuE9ELNS1_3repE0EEENS1_59segmented_radix_sort_warp_sort_small_config_static_selectorELNS0_4arch9wavefront6targetE1EEEvSK_.private_seg_size, 0
	.set _ZN7rocprim17ROCPRIM_400000_NS6detail17trampoline_kernelINS0_14default_configENS1_36segmented_radix_sort_config_selectorIblEEZNS1_25segmented_radix_sort_implIS3_Lb0EPKbPbPKlPlN2at6native12_GLOBAL__N_18offset_tEEE10hipError_tPvRmT1_PNSt15iterator_traitsISK_E10value_typeET2_T3_PNSL_ISQ_E10value_typeET4_jRbjT5_SW_jjP12ihipStream_tbEUlT_E1_NS1_11comp_targetILNS1_3genE5ELNS1_11target_archE942ELNS1_3gpuE9ELNS1_3repE0EEENS1_59segmented_radix_sort_warp_sort_small_config_static_selectorELNS0_4arch9wavefront6targetE1EEEvSK_.uses_vcc, 0
	.set _ZN7rocprim17ROCPRIM_400000_NS6detail17trampoline_kernelINS0_14default_configENS1_36segmented_radix_sort_config_selectorIblEEZNS1_25segmented_radix_sort_implIS3_Lb0EPKbPbPKlPlN2at6native12_GLOBAL__N_18offset_tEEE10hipError_tPvRmT1_PNSt15iterator_traitsISK_E10value_typeET2_T3_PNSL_ISQ_E10value_typeET4_jRbjT5_SW_jjP12ihipStream_tbEUlT_E1_NS1_11comp_targetILNS1_3genE5ELNS1_11target_archE942ELNS1_3gpuE9ELNS1_3repE0EEENS1_59segmented_radix_sort_warp_sort_small_config_static_selectorELNS0_4arch9wavefront6targetE1EEEvSK_.uses_flat_scratch, 0
	.set _ZN7rocprim17ROCPRIM_400000_NS6detail17trampoline_kernelINS0_14default_configENS1_36segmented_radix_sort_config_selectorIblEEZNS1_25segmented_radix_sort_implIS3_Lb0EPKbPbPKlPlN2at6native12_GLOBAL__N_18offset_tEEE10hipError_tPvRmT1_PNSt15iterator_traitsISK_E10value_typeET2_T3_PNSL_ISQ_E10value_typeET4_jRbjT5_SW_jjP12ihipStream_tbEUlT_E1_NS1_11comp_targetILNS1_3genE5ELNS1_11target_archE942ELNS1_3gpuE9ELNS1_3repE0EEENS1_59segmented_radix_sort_warp_sort_small_config_static_selectorELNS0_4arch9wavefront6targetE1EEEvSK_.has_dyn_sized_stack, 0
	.set _ZN7rocprim17ROCPRIM_400000_NS6detail17trampoline_kernelINS0_14default_configENS1_36segmented_radix_sort_config_selectorIblEEZNS1_25segmented_radix_sort_implIS3_Lb0EPKbPbPKlPlN2at6native12_GLOBAL__N_18offset_tEEE10hipError_tPvRmT1_PNSt15iterator_traitsISK_E10value_typeET2_T3_PNSL_ISQ_E10value_typeET4_jRbjT5_SW_jjP12ihipStream_tbEUlT_E1_NS1_11comp_targetILNS1_3genE5ELNS1_11target_archE942ELNS1_3gpuE9ELNS1_3repE0EEENS1_59segmented_radix_sort_warp_sort_small_config_static_selectorELNS0_4arch9wavefront6targetE1EEEvSK_.has_recursion, 0
	.set _ZN7rocprim17ROCPRIM_400000_NS6detail17trampoline_kernelINS0_14default_configENS1_36segmented_radix_sort_config_selectorIblEEZNS1_25segmented_radix_sort_implIS3_Lb0EPKbPbPKlPlN2at6native12_GLOBAL__N_18offset_tEEE10hipError_tPvRmT1_PNSt15iterator_traitsISK_E10value_typeET2_T3_PNSL_ISQ_E10value_typeET4_jRbjT5_SW_jjP12ihipStream_tbEUlT_E1_NS1_11comp_targetILNS1_3genE5ELNS1_11target_archE942ELNS1_3gpuE9ELNS1_3repE0EEENS1_59segmented_radix_sort_warp_sort_small_config_static_selectorELNS0_4arch9wavefront6targetE1EEEvSK_.has_indirect_call, 0
	.section	.AMDGPU.csdata,"",@progbits
; Kernel info:
; codeLenInByte = 0
; TotalNumSgprs: 4
; NumVgprs: 0
; ScratchSize: 0
; MemoryBound: 0
; FloatMode: 240
; IeeeMode: 1
; LDSByteSize: 0 bytes/workgroup (compile time only)
; SGPRBlocks: 0
; VGPRBlocks: 0
; NumSGPRsForWavesPerEU: 4
; NumVGPRsForWavesPerEU: 1
; Occupancy: 10
; WaveLimiterHint : 0
; COMPUTE_PGM_RSRC2:SCRATCH_EN: 0
; COMPUTE_PGM_RSRC2:USER_SGPR: 6
; COMPUTE_PGM_RSRC2:TRAP_HANDLER: 0
; COMPUTE_PGM_RSRC2:TGID_X_EN: 1
; COMPUTE_PGM_RSRC2:TGID_Y_EN: 0
; COMPUTE_PGM_RSRC2:TGID_Z_EN: 0
; COMPUTE_PGM_RSRC2:TIDIG_COMP_CNT: 0
	.section	.text._ZN7rocprim17ROCPRIM_400000_NS6detail17trampoline_kernelINS0_14default_configENS1_36segmented_radix_sort_config_selectorIblEEZNS1_25segmented_radix_sort_implIS3_Lb0EPKbPbPKlPlN2at6native12_GLOBAL__N_18offset_tEEE10hipError_tPvRmT1_PNSt15iterator_traitsISK_E10value_typeET2_T3_PNSL_ISQ_E10value_typeET4_jRbjT5_SW_jjP12ihipStream_tbEUlT_E1_NS1_11comp_targetILNS1_3genE4ELNS1_11target_archE910ELNS1_3gpuE8ELNS1_3repE0EEENS1_59segmented_radix_sort_warp_sort_small_config_static_selectorELNS0_4arch9wavefront6targetE1EEEvSK_,"axG",@progbits,_ZN7rocprim17ROCPRIM_400000_NS6detail17trampoline_kernelINS0_14default_configENS1_36segmented_radix_sort_config_selectorIblEEZNS1_25segmented_radix_sort_implIS3_Lb0EPKbPbPKlPlN2at6native12_GLOBAL__N_18offset_tEEE10hipError_tPvRmT1_PNSt15iterator_traitsISK_E10value_typeET2_T3_PNSL_ISQ_E10value_typeET4_jRbjT5_SW_jjP12ihipStream_tbEUlT_E1_NS1_11comp_targetILNS1_3genE4ELNS1_11target_archE910ELNS1_3gpuE8ELNS1_3repE0EEENS1_59segmented_radix_sort_warp_sort_small_config_static_selectorELNS0_4arch9wavefront6targetE1EEEvSK_,comdat
	.globl	_ZN7rocprim17ROCPRIM_400000_NS6detail17trampoline_kernelINS0_14default_configENS1_36segmented_radix_sort_config_selectorIblEEZNS1_25segmented_radix_sort_implIS3_Lb0EPKbPbPKlPlN2at6native12_GLOBAL__N_18offset_tEEE10hipError_tPvRmT1_PNSt15iterator_traitsISK_E10value_typeET2_T3_PNSL_ISQ_E10value_typeET4_jRbjT5_SW_jjP12ihipStream_tbEUlT_E1_NS1_11comp_targetILNS1_3genE4ELNS1_11target_archE910ELNS1_3gpuE8ELNS1_3repE0EEENS1_59segmented_radix_sort_warp_sort_small_config_static_selectorELNS0_4arch9wavefront6targetE1EEEvSK_ ; -- Begin function _ZN7rocprim17ROCPRIM_400000_NS6detail17trampoline_kernelINS0_14default_configENS1_36segmented_radix_sort_config_selectorIblEEZNS1_25segmented_radix_sort_implIS3_Lb0EPKbPbPKlPlN2at6native12_GLOBAL__N_18offset_tEEE10hipError_tPvRmT1_PNSt15iterator_traitsISK_E10value_typeET2_T3_PNSL_ISQ_E10value_typeET4_jRbjT5_SW_jjP12ihipStream_tbEUlT_E1_NS1_11comp_targetILNS1_3genE4ELNS1_11target_archE910ELNS1_3gpuE8ELNS1_3repE0EEENS1_59segmented_radix_sort_warp_sort_small_config_static_selectorELNS0_4arch9wavefront6targetE1EEEvSK_
	.p2align	8
	.type	_ZN7rocprim17ROCPRIM_400000_NS6detail17trampoline_kernelINS0_14default_configENS1_36segmented_radix_sort_config_selectorIblEEZNS1_25segmented_radix_sort_implIS3_Lb0EPKbPbPKlPlN2at6native12_GLOBAL__N_18offset_tEEE10hipError_tPvRmT1_PNSt15iterator_traitsISK_E10value_typeET2_T3_PNSL_ISQ_E10value_typeET4_jRbjT5_SW_jjP12ihipStream_tbEUlT_E1_NS1_11comp_targetILNS1_3genE4ELNS1_11target_archE910ELNS1_3gpuE8ELNS1_3repE0EEENS1_59segmented_radix_sort_warp_sort_small_config_static_selectorELNS0_4arch9wavefront6targetE1EEEvSK_,@function
_ZN7rocprim17ROCPRIM_400000_NS6detail17trampoline_kernelINS0_14default_configENS1_36segmented_radix_sort_config_selectorIblEEZNS1_25segmented_radix_sort_implIS3_Lb0EPKbPbPKlPlN2at6native12_GLOBAL__N_18offset_tEEE10hipError_tPvRmT1_PNSt15iterator_traitsISK_E10value_typeET2_T3_PNSL_ISQ_E10value_typeET4_jRbjT5_SW_jjP12ihipStream_tbEUlT_E1_NS1_11comp_targetILNS1_3genE4ELNS1_11target_archE910ELNS1_3gpuE8ELNS1_3repE0EEENS1_59segmented_radix_sort_warp_sort_small_config_static_selectorELNS0_4arch9wavefront6targetE1EEEvSK_: ; @_ZN7rocprim17ROCPRIM_400000_NS6detail17trampoline_kernelINS0_14default_configENS1_36segmented_radix_sort_config_selectorIblEEZNS1_25segmented_radix_sort_implIS3_Lb0EPKbPbPKlPlN2at6native12_GLOBAL__N_18offset_tEEE10hipError_tPvRmT1_PNSt15iterator_traitsISK_E10value_typeET2_T3_PNSL_ISQ_E10value_typeET4_jRbjT5_SW_jjP12ihipStream_tbEUlT_E1_NS1_11comp_targetILNS1_3genE4ELNS1_11target_archE910ELNS1_3gpuE8ELNS1_3repE0EEENS1_59segmented_radix_sort_warp_sort_small_config_static_selectorELNS0_4arch9wavefront6targetE1EEEvSK_
; %bb.0:
	.section	.rodata,"a",@progbits
	.p2align	6, 0x0
	.amdhsa_kernel _ZN7rocprim17ROCPRIM_400000_NS6detail17trampoline_kernelINS0_14default_configENS1_36segmented_radix_sort_config_selectorIblEEZNS1_25segmented_radix_sort_implIS3_Lb0EPKbPbPKlPlN2at6native12_GLOBAL__N_18offset_tEEE10hipError_tPvRmT1_PNSt15iterator_traitsISK_E10value_typeET2_T3_PNSL_ISQ_E10value_typeET4_jRbjT5_SW_jjP12ihipStream_tbEUlT_E1_NS1_11comp_targetILNS1_3genE4ELNS1_11target_archE910ELNS1_3gpuE8ELNS1_3repE0EEENS1_59segmented_radix_sort_warp_sort_small_config_static_selectorELNS0_4arch9wavefront6targetE1EEEvSK_
		.amdhsa_group_segment_fixed_size 0
		.amdhsa_private_segment_fixed_size 0
		.amdhsa_kernarg_size 88
		.amdhsa_user_sgpr_count 6
		.amdhsa_user_sgpr_private_segment_buffer 1
		.amdhsa_user_sgpr_dispatch_ptr 0
		.amdhsa_user_sgpr_queue_ptr 0
		.amdhsa_user_sgpr_kernarg_segment_ptr 1
		.amdhsa_user_sgpr_dispatch_id 0
		.amdhsa_user_sgpr_flat_scratch_init 0
		.amdhsa_user_sgpr_private_segment_size 0
		.amdhsa_uses_dynamic_stack 0
		.amdhsa_system_sgpr_private_segment_wavefront_offset 0
		.amdhsa_system_sgpr_workgroup_id_x 1
		.amdhsa_system_sgpr_workgroup_id_y 0
		.amdhsa_system_sgpr_workgroup_id_z 0
		.amdhsa_system_sgpr_workgroup_info 0
		.amdhsa_system_vgpr_workitem_id 0
		.amdhsa_next_free_vgpr 1
		.amdhsa_next_free_sgpr 0
		.amdhsa_reserve_vcc 0
		.amdhsa_reserve_flat_scratch 0
		.amdhsa_float_round_mode_32 0
		.amdhsa_float_round_mode_16_64 0
		.amdhsa_float_denorm_mode_32 3
		.amdhsa_float_denorm_mode_16_64 3
		.amdhsa_dx10_clamp 1
		.amdhsa_ieee_mode 1
		.amdhsa_fp16_overflow 0
		.amdhsa_exception_fp_ieee_invalid_op 0
		.amdhsa_exception_fp_denorm_src 0
		.amdhsa_exception_fp_ieee_div_zero 0
		.amdhsa_exception_fp_ieee_overflow 0
		.amdhsa_exception_fp_ieee_underflow 0
		.amdhsa_exception_fp_ieee_inexact 0
		.amdhsa_exception_int_div_zero 0
	.end_amdhsa_kernel
	.section	.text._ZN7rocprim17ROCPRIM_400000_NS6detail17trampoline_kernelINS0_14default_configENS1_36segmented_radix_sort_config_selectorIblEEZNS1_25segmented_radix_sort_implIS3_Lb0EPKbPbPKlPlN2at6native12_GLOBAL__N_18offset_tEEE10hipError_tPvRmT1_PNSt15iterator_traitsISK_E10value_typeET2_T3_PNSL_ISQ_E10value_typeET4_jRbjT5_SW_jjP12ihipStream_tbEUlT_E1_NS1_11comp_targetILNS1_3genE4ELNS1_11target_archE910ELNS1_3gpuE8ELNS1_3repE0EEENS1_59segmented_radix_sort_warp_sort_small_config_static_selectorELNS0_4arch9wavefront6targetE1EEEvSK_,"axG",@progbits,_ZN7rocprim17ROCPRIM_400000_NS6detail17trampoline_kernelINS0_14default_configENS1_36segmented_radix_sort_config_selectorIblEEZNS1_25segmented_radix_sort_implIS3_Lb0EPKbPbPKlPlN2at6native12_GLOBAL__N_18offset_tEEE10hipError_tPvRmT1_PNSt15iterator_traitsISK_E10value_typeET2_T3_PNSL_ISQ_E10value_typeET4_jRbjT5_SW_jjP12ihipStream_tbEUlT_E1_NS1_11comp_targetILNS1_3genE4ELNS1_11target_archE910ELNS1_3gpuE8ELNS1_3repE0EEENS1_59segmented_radix_sort_warp_sort_small_config_static_selectorELNS0_4arch9wavefront6targetE1EEEvSK_,comdat
.Lfunc_end1657:
	.size	_ZN7rocprim17ROCPRIM_400000_NS6detail17trampoline_kernelINS0_14default_configENS1_36segmented_radix_sort_config_selectorIblEEZNS1_25segmented_radix_sort_implIS3_Lb0EPKbPbPKlPlN2at6native12_GLOBAL__N_18offset_tEEE10hipError_tPvRmT1_PNSt15iterator_traitsISK_E10value_typeET2_T3_PNSL_ISQ_E10value_typeET4_jRbjT5_SW_jjP12ihipStream_tbEUlT_E1_NS1_11comp_targetILNS1_3genE4ELNS1_11target_archE910ELNS1_3gpuE8ELNS1_3repE0EEENS1_59segmented_radix_sort_warp_sort_small_config_static_selectorELNS0_4arch9wavefront6targetE1EEEvSK_, .Lfunc_end1657-_ZN7rocprim17ROCPRIM_400000_NS6detail17trampoline_kernelINS0_14default_configENS1_36segmented_radix_sort_config_selectorIblEEZNS1_25segmented_radix_sort_implIS3_Lb0EPKbPbPKlPlN2at6native12_GLOBAL__N_18offset_tEEE10hipError_tPvRmT1_PNSt15iterator_traitsISK_E10value_typeET2_T3_PNSL_ISQ_E10value_typeET4_jRbjT5_SW_jjP12ihipStream_tbEUlT_E1_NS1_11comp_targetILNS1_3genE4ELNS1_11target_archE910ELNS1_3gpuE8ELNS1_3repE0EEENS1_59segmented_radix_sort_warp_sort_small_config_static_selectorELNS0_4arch9wavefront6targetE1EEEvSK_
                                        ; -- End function
	.set _ZN7rocprim17ROCPRIM_400000_NS6detail17trampoline_kernelINS0_14default_configENS1_36segmented_radix_sort_config_selectorIblEEZNS1_25segmented_radix_sort_implIS3_Lb0EPKbPbPKlPlN2at6native12_GLOBAL__N_18offset_tEEE10hipError_tPvRmT1_PNSt15iterator_traitsISK_E10value_typeET2_T3_PNSL_ISQ_E10value_typeET4_jRbjT5_SW_jjP12ihipStream_tbEUlT_E1_NS1_11comp_targetILNS1_3genE4ELNS1_11target_archE910ELNS1_3gpuE8ELNS1_3repE0EEENS1_59segmented_radix_sort_warp_sort_small_config_static_selectorELNS0_4arch9wavefront6targetE1EEEvSK_.num_vgpr, 0
	.set _ZN7rocprim17ROCPRIM_400000_NS6detail17trampoline_kernelINS0_14default_configENS1_36segmented_radix_sort_config_selectorIblEEZNS1_25segmented_radix_sort_implIS3_Lb0EPKbPbPKlPlN2at6native12_GLOBAL__N_18offset_tEEE10hipError_tPvRmT1_PNSt15iterator_traitsISK_E10value_typeET2_T3_PNSL_ISQ_E10value_typeET4_jRbjT5_SW_jjP12ihipStream_tbEUlT_E1_NS1_11comp_targetILNS1_3genE4ELNS1_11target_archE910ELNS1_3gpuE8ELNS1_3repE0EEENS1_59segmented_radix_sort_warp_sort_small_config_static_selectorELNS0_4arch9wavefront6targetE1EEEvSK_.num_agpr, 0
	.set _ZN7rocprim17ROCPRIM_400000_NS6detail17trampoline_kernelINS0_14default_configENS1_36segmented_radix_sort_config_selectorIblEEZNS1_25segmented_radix_sort_implIS3_Lb0EPKbPbPKlPlN2at6native12_GLOBAL__N_18offset_tEEE10hipError_tPvRmT1_PNSt15iterator_traitsISK_E10value_typeET2_T3_PNSL_ISQ_E10value_typeET4_jRbjT5_SW_jjP12ihipStream_tbEUlT_E1_NS1_11comp_targetILNS1_3genE4ELNS1_11target_archE910ELNS1_3gpuE8ELNS1_3repE0EEENS1_59segmented_radix_sort_warp_sort_small_config_static_selectorELNS0_4arch9wavefront6targetE1EEEvSK_.numbered_sgpr, 0
	.set _ZN7rocprim17ROCPRIM_400000_NS6detail17trampoline_kernelINS0_14default_configENS1_36segmented_radix_sort_config_selectorIblEEZNS1_25segmented_radix_sort_implIS3_Lb0EPKbPbPKlPlN2at6native12_GLOBAL__N_18offset_tEEE10hipError_tPvRmT1_PNSt15iterator_traitsISK_E10value_typeET2_T3_PNSL_ISQ_E10value_typeET4_jRbjT5_SW_jjP12ihipStream_tbEUlT_E1_NS1_11comp_targetILNS1_3genE4ELNS1_11target_archE910ELNS1_3gpuE8ELNS1_3repE0EEENS1_59segmented_radix_sort_warp_sort_small_config_static_selectorELNS0_4arch9wavefront6targetE1EEEvSK_.num_named_barrier, 0
	.set _ZN7rocprim17ROCPRIM_400000_NS6detail17trampoline_kernelINS0_14default_configENS1_36segmented_radix_sort_config_selectorIblEEZNS1_25segmented_radix_sort_implIS3_Lb0EPKbPbPKlPlN2at6native12_GLOBAL__N_18offset_tEEE10hipError_tPvRmT1_PNSt15iterator_traitsISK_E10value_typeET2_T3_PNSL_ISQ_E10value_typeET4_jRbjT5_SW_jjP12ihipStream_tbEUlT_E1_NS1_11comp_targetILNS1_3genE4ELNS1_11target_archE910ELNS1_3gpuE8ELNS1_3repE0EEENS1_59segmented_radix_sort_warp_sort_small_config_static_selectorELNS0_4arch9wavefront6targetE1EEEvSK_.private_seg_size, 0
	.set _ZN7rocprim17ROCPRIM_400000_NS6detail17trampoline_kernelINS0_14default_configENS1_36segmented_radix_sort_config_selectorIblEEZNS1_25segmented_radix_sort_implIS3_Lb0EPKbPbPKlPlN2at6native12_GLOBAL__N_18offset_tEEE10hipError_tPvRmT1_PNSt15iterator_traitsISK_E10value_typeET2_T3_PNSL_ISQ_E10value_typeET4_jRbjT5_SW_jjP12ihipStream_tbEUlT_E1_NS1_11comp_targetILNS1_3genE4ELNS1_11target_archE910ELNS1_3gpuE8ELNS1_3repE0EEENS1_59segmented_radix_sort_warp_sort_small_config_static_selectorELNS0_4arch9wavefront6targetE1EEEvSK_.uses_vcc, 0
	.set _ZN7rocprim17ROCPRIM_400000_NS6detail17trampoline_kernelINS0_14default_configENS1_36segmented_radix_sort_config_selectorIblEEZNS1_25segmented_radix_sort_implIS3_Lb0EPKbPbPKlPlN2at6native12_GLOBAL__N_18offset_tEEE10hipError_tPvRmT1_PNSt15iterator_traitsISK_E10value_typeET2_T3_PNSL_ISQ_E10value_typeET4_jRbjT5_SW_jjP12ihipStream_tbEUlT_E1_NS1_11comp_targetILNS1_3genE4ELNS1_11target_archE910ELNS1_3gpuE8ELNS1_3repE0EEENS1_59segmented_radix_sort_warp_sort_small_config_static_selectorELNS0_4arch9wavefront6targetE1EEEvSK_.uses_flat_scratch, 0
	.set _ZN7rocprim17ROCPRIM_400000_NS6detail17trampoline_kernelINS0_14default_configENS1_36segmented_radix_sort_config_selectorIblEEZNS1_25segmented_radix_sort_implIS3_Lb0EPKbPbPKlPlN2at6native12_GLOBAL__N_18offset_tEEE10hipError_tPvRmT1_PNSt15iterator_traitsISK_E10value_typeET2_T3_PNSL_ISQ_E10value_typeET4_jRbjT5_SW_jjP12ihipStream_tbEUlT_E1_NS1_11comp_targetILNS1_3genE4ELNS1_11target_archE910ELNS1_3gpuE8ELNS1_3repE0EEENS1_59segmented_radix_sort_warp_sort_small_config_static_selectorELNS0_4arch9wavefront6targetE1EEEvSK_.has_dyn_sized_stack, 0
	.set _ZN7rocprim17ROCPRIM_400000_NS6detail17trampoline_kernelINS0_14default_configENS1_36segmented_radix_sort_config_selectorIblEEZNS1_25segmented_radix_sort_implIS3_Lb0EPKbPbPKlPlN2at6native12_GLOBAL__N_18offset_tEEE10hipError_tPvRmT1_PNSt15iterator_traitsISK_E10value_typeET2_T3_PNSL_ISQ_E10value_typeET4_jRbjT5_SW_jjP12ihipStream_tbEUlT_E1_NS1_11comp_targetILNS1_3genE4ELNS1_11target_archE910ELNS1_3gpuE8ELNS1_3repE0EEENS1_59segmented_radix_sort_warp_sort_small_config_static_selectorELNS0_4arch9wavefront6targetE1EEEvSK_.has_recursion, 0
	.set _ZN7rocprim17ROCPRIM_400000_NS6detail17trampoline_kernelINS0_14default_configENS1_36segmented_radix_sort_config_selectorIblEEZNS1_25segmented_radix_sort_implIS3_Lb0EPKbPbPKlPlN2at6native12_GLOBAL__N_18offset_tEEE10hipError_tPvRmT1_PNSt15iterator_traitsISK_E10value_typeET2_T3_PNSL_ISQ_E10value_typeET4_jRbjT5_SW_jjP12ihipStream_tbEUlT_E1_NS1_11comp_targetILNS1_3genE4ELNS1_11target_archE910ELNS1_3gpuE8ELNS1_3repE0EEENS1_59segmented_radix_sort_warp_sort_small_config_static_selectorELNS0_4arch9wavefront6targetE1EEEvSK_.has_indirect_call, 0
	.section	.AMDGPU.csdata,"",@progbits
; Kernel info:
; codeLenInByte = 0
; TotalNumSgprs: 4
; NumVgprs: 0
; ScratchSize: 0
; MemoryBound: 0
; FloatMode: 240
; IeeeMode: 1
; LDSByteSize: 0 bytes/workgroup (compile time only)
; SGPRBlocks: 0
; VGPRBlocks: 0
; NumSGPRsForWavesPerEU: 4
; NumVGPRsForWavesPerEU: 1
; Occupancy: 10
; WaveLimiterHint : 0
; COMPUTE_PGM_RSRC2:SCRATCH_EN: 0
; COMPUTE_PGM_RSRC2:USER_SGPR: 6
; COMPUTE_PGM_RSRC2:TRAP_HANDLER: 0
; COMPUTE_PGM_RSRC2:TGID_X_EN: 1
; COMPUTE_PGM_RSRC2:TGID_Y_EN: 0
; COMPUTE_PGM_RSRC2:TGID_Z_EN: 0
; COMPUTE_PGM_RSRC2:TIDIG_COMP_CNT: 0
	.section	.text._ZN7rocprim17ROCPRIM_400000_NS6detail17trampoline_kernelINS0_14default_configENS1_36segmented_radix_sort_config_selectorIblEEZNS1_25segmented_radix_sort_implIS3_Lb0EPKbPbPKlPlN2at6native12_GLOBAL__N_18offset_tEEE10hipError_tPvRmT1_PNSt15iterator_traitsISK_E10value_typeET2_T3_PNSL_ISQ_E10value_typeET4_jRbjT5_SW_jjP12ihipStream_tbEUlT_E1_NS1_11comp_targetILNS1_3genE3ELNS1_11target_archE908ELNS1_3gpuE7ELNS1_3repE0EEENS1_59segmented_radix_sort_warp_sort_small_config_static_selectorELNS0_4arch9wavefront6targetE1EEEvSK_,"axG",@progbits,_ZN7rocprim17ROCPRIM_400000_NS6detail17trampoline_kernelINS0_14default_configENS1_36segmented_radix_sort_config_selectorIblEEZNS1_25segmented_radix_sort_implIS3_Lb0EPKbPbPKlPlN2at6native12_GLOBAL__N_18offset_tEEE10hipError_tPvRmT1_PNSt15iterator_traitsISK_E10value_typeET2_T3_PNSL_ISQ_E10value_typeET4_jRbjT5_SW_jjP12ihipStream_tbEUlT_E1_NS1_11comp_targetILNS1_3genE3ELNS1_11target_archE908ELNS1_3gpuE7ELNS1_3repE0EEENS1_59segmented_radix_sort_warp_sort_small_config_static_selectorELNS0_4arch9wavefront6targetE1EEEvSK_,comdat
	.globl	_ZN7rocprim17ROCPRIM_400000_NS6detail17trampoline_kernelINS0_14default_configENS1_36segmented_radix_sort_config_selectorIblEEZNS1_25segmented_radix_sort_implIS3_Lb0EPKbPbPKlPlN2at6native12_GLOBAL__N_18offset_tEEE10hipError_tPvRmT1_PNSt15iterator_traitsISK_E10value_typeET2_T3_PNSL_ISQ_E10value_typeET4_jRbjT5_SW_jjP12ihipStream_tbEUlT_E1_NS1_11comp_targetILNS1_3genE3ELNS1_11target_archE908ELNS1_3gpuE7ELNS1_3repE0EEENS1_59segmented_radix_sort_warp_sort_small_config_static_selectorELNS0_4arch9wavefront6targetE1EEEvSK_ ; -- Begin function _ZN7rocprim17ROCPRIM_400000_NS6detail17trampoline_kernelINS0_14default_configENS1_36segmented_radix_sort_config_selectorIblEEZNS1_25segmented_radix_sort_implIS3_Lb0EPKbPbPKlPlN2at6native12_GLOBAL__N_18offset_tEEE10hipError_tPvRmT1_PNSt15iterator_traitsISK_E10value_typeET2_T3_PNSL_ISQ_E10value_typeET4_jRbjT5_SW_jjP12ihipStream_tbEUlT_E1_NS1_11comp_targetILNS1_3genE3ELNS1_11target_archE908ELNS1_3gpuE7ELNS1_3repE0EEENS1_59segmented_radix_sort_warp_sort_small_config_static_selectorELNS0_4arch9wavefront6targetE1EEEvSK_
	.p2align	8
	.type	_ZN7rocprim17ROCPRIM_400000_NS6detail17trampoline_kernelINS0_14default_configENS1_36segmented_radix_sort_config_selectorIblEEZNS1_25segmented_radix_sort_implIS3_Lb0EPKbPbPKlPlN2at6native12_GLOBAL__N_18offset_tEEE10hipError_tPvRmT1_PNSt15iterator_traitsISK_E10value_typeET2_T3_PNSL_ISQ_E10value_typeET4_jRbjT5_SW_jjP12ihipStream_tbEUlT_E1_NS1_11comp_targetILNS1_3genE3ELNS1_11target_archE908ELNS1_3gpuE7ELNS1_3repE0EEENS1_59segmented_radix_sort_warp_sort_small_config_static_selectorELNS0_4arch9wavefront6targetE1EEEvSK_,@function
_ZN7rocprim17ROCPRIM_400000_NS6detail17trampoline_kernelINS0_14default_configENS1_36segmented_radix_sort_config_selectorIblEEZNS1_25segmented_radix_sort_implIS3_Lb0EPKbPbPKlPlN2at6native12_GLOBAL__N_18offset_tEEE10hipError_tPvRmT1_PNSt15iterator_traitsISK_E10value_typeET2_T3_PNSL_ISQ_E10value_typeET4_jRbjT5_SW_jjP12ihipStream_tbEUlT_E1_NS1_11comp_targetILNS1_3genE3ELNS1_11target_archE908ELNS1_3gpuE7ELNS1_3repE0EEENS1_59segmented_radix_sort_warp_sort_small_config_static_selectorELNS0_4arch9wavefront6targetE1EEEvSK_: ; @_ZN7rocprim17ROCPRIM_400000_NS6detail17trampoline_kernelINS0_14default_configENS1_36segmented_radix_sort_config_selectorIblEEZNS1_25segmented_radix_sort_implIS3_Lb0EPKbPbPKlPlN2at6native12_GLOBAL__N_18offset_tEEE10hipError_tPvRmT1_PNSt15iterator_traitsISK_E10value_typeET2_T3_PNSL_ISQ_E10value_typeET4_jRbjT5_SW_jjP12ihipStream_tbEUlT_E1_NS1_11comp_targetILNS1_3genE3ELNS1_11target_archE908ELNS1_3gpuE7ELNS1_3repE0EEENS1_59segmented_radix_sort_warp_sort_small_config_static_selectorELNS0_4arch9wavefront6targetE1EEEvSK_
; %bb.0:
	.section	.rodata,"a",@progbits
	.p2align	6, 0x0
	.amdhsa_kernel _ZN7rocprim17ROCPRIM_400000_NS6detail17trampoline_kernelINS0_14default_configENS1_36segmented_radix_sort_config_selectorIblEEZNS1_25segmented_radix_sort_implIS3_Lb0EPKbPbPKlPlN2at6native12_GLOBAL__N_18offset_tEEE10hipError_tPvRmT1_PNSt15iterator_traitsISK_E10value_typeET2_T3_PNSL_ISQ_E10value_typeET4_jRbjT5_SW_jjP12ihipStream_tbEUlT_E1_NS1_11comp_targetILNS1_3genE3ELNS1_11target_archE908ELNS1_3gpuE7ELNS1_3repE0EEENS1_59segmented_radix_sort_warp_sort_small_config_static_selectorELNS0_4arch9wavefront6targetE1EEEvSK_
		.amdhsa_group_segment_fixed_size 0
		.amdhsa_private_segment_fixed_size 0
		.amdhsa_kernarg_size 88
		.amdhsa_user_sgpr_count 6
		.amdhsa_user_sgpr_private_segment_buffer 1
		.amdhsa_user_sgpr_dispatch_ptr 0
		.amdhsa_user_sgpr_queue_ptr 0
		.amdhsa_user_sgpr_kernarg_segment_ptr 1
		.amdhsa_user_sgpr_dispatch_id 0
		.amdhsa_user_sgpr_flat_scratch_init 0
		.amdhsa_user_sgpr_private_segment_size 0
		.amdhsa_uses_dynamic_stack 0
		.amdhsa_system_sgpr_private_segment_wavefront_offset 0
		.amdhsa_system_sgpr_workgroup_id_x 1
		.amdhsa_system_sgpr_workgroup_id_y 0
		.amdhsa_system_sgpr_workgroup_id_z 0
		.amdhsa_system_sgpr_workgroup_info 0
		.amdhsa_system_vgpr_workitem_id 0
		.amdhsa_next_free_vgpr 1
		.amdhsa_next_free_sgpr 0
		.amdhsa_reserve_vcc 0
		.amdhsa_reserve_flat_scratch 0
		.amdhsa_float_round_mode_32 0
		.amdhsa_float_round_mode_16_64 0
		.amdhsa_float_denorm_mode_32 3
		.amdhsa_float_denorm_mode_16_64 3
		.amdhsa_dx10_clamp 1
		.amdhsa_ieee_mode 1
		.amdhsa_fp16_overflow 0
		.amdhsa_exception_fp_ieee_invalid_op 0
		.amdhsa_exception_fp_denorm_src 0
		.amdhsa_exception_fp_ieee_div_zero 0
		.amdhsa_exception_fp_ieee_overflow 0
		.amdhsa_exception_fp_ieee_underflow 0
		.amdhsa_exception_fp_ieee_inexact 0
		.amdhsa_exception_int_div_zero 0
	.end_amdhsa_kernel
	.section	.text._ZN7rocprim17ROCPRIM_400000_NS6detail17trampoline_kernelINS0_14default_configENS1_36segmented_radix_sort_config_selectorIblEEZNS1_25segmented_radix_sort_implIS3_Lb0EPKbPbPKlPlN2at6native12_GLOBAL__N_18offset_tEEE10hipError_tPvRmT1_PNSt15iterator_traitsISK_E10value_typeET2_T3_PNSL_ISQ_E10value_typeET4_jRbjT5_SW_jjP12ihipStream_tbEUlT_E1_NS1_11comp_targetILNS1_3genE3ELNS1_11target_archE908ELNS1_3gpuE7ELNS1_3repE0EEENS1_59segmented_radix_sort_warp_sort_small_config_static_selectorELNS0_4arch9wavefront6targetE1EEEvSK_,"axG",@progbits,_ZN7rocprim17ROCPRIM_400000_NS6detail17trampoline_kernelINS0_14default_configENS1_36segmented_radix_sort_config_selectorIblEEZNS1_25segmented_radix_sort_implIS3_Lb0EPKbPbPKlPlN2at6native12_GLOBAL__N_18offset_tEEE10hipError_tPvRmT1_PNSt15iterator_traitsISK_E10value_typeET2_T3_PNSL_ISQ_E10value_typeET4_jRbjT5_SW_jjP12ihipStream_tbEUlT_E1_NS1_11comp_targetILNS1_3genE3ELNS1_11target_archE908ELNS1_3gpuE7ELNS1_3repE0EEENS1_59segmented_radix_sort_warp_sort_small_config_static_selectorELNS0_4arch9wavefront6targetE1EEEvSK_,comdat
.Lfunc_end1658:
	.size	_ZN7rocprim17ROCPRIM_400000_NS6detail17trampoline_kernelINS0_14default_configENS1_36segmented_radix_sort_config_selectorIblEEZNS1_25segmented_radix_sort_implIS3_Lb0EPKbPbPKlPlN2at6native12_GLOBAL__N_18offset_tEEE10hipError_tPvRmT1_PNSt15iterator_traitsISK_E10value_typeET2_T3_PNSL_ISQ_E10value_typeET4_jRbjT5_SW_jjP12ihipStream_tbEUlT_E1_NS1_11comp_targetILNS1_3genE3ELNS1_11target_archE908ELNS1_3gpuE7ELNS1_3repE0EEENS1_59segmented_radix_sort_warp_sort_small_config_static_selectorELNS0_4arch9wavefront6targetE1EEEvSK_, .Lfunc_end1658-_ZN7rocprim17ROCPRIM_400000_NS6detail17trampoline_kernelINS0_14default_configENS1_36segmented_radix_sort_config_selectorIblEEZNS1_25segmented_radix_sort_implIS3_Lb0EPKbPbPKlPlN2at6native12_GLOBAL__N_18offset_tEEE10hipError_tPvRmT1_PNSt15iterator_traitsISK_E10value_typeET2_T3_PNSL_ISQ_E10value_typeET4_jRbjT5_SW_jjP12ihipStream_tbEUlT_E1_NS1_11comp_targetILNS1_3genE3ELNS1_11target_archE908ELNS1_3gpuE7ELNS1_3repE0EEENS1_59segmented_radix_sort_warp_sort_small_config_static_selectorELNS0_4arch9wavefront6targetE1EEEvSK_
                                        ; -- End function
	.set _ZN7rocprim17ROCPRIM_400000_NS6detail17trampoline_kernelINS0_14default_configENS1_36segmented_radix_sort_config_selectorIblEEZNS1_25segmented_radix_sort_implIS3_Lb0EPKbPbPKlPlN2at6native12_GLOBAL__N_18offset_tEEE10hipError_tPvRmT1_PNSt15iterator_traitsISK_E10value_typeET2_T3_PNSL_ISQ_E10value_typeET4_jRbjT5_SW_jjP12ihipStream_tbEUlT_E1_NS1_11comp_targetILNS1_3genE3ELNS1_11target_archE908ELNS1_3gpuE7ELNS1_3repE0EEENS1_59segmented_radix_sort_warp_sort_small_config_static_selectorELNS0_4arch9wavefront6targetE1EEEvSK_.num_vgpr, 0
	.set _ZN7rocprim17ROCPRIM_400000_NS6detail17trampoline_kernelINS0_14default_configENS1_36segmented_radix_sort_config_selectorIblEEZNS1_25segmented_radix_sort_implIS3_Lb0EPKbPbPKlPlN2at6native12_GLOBAL__N_18offset_tEEE10hipError_tPvRmT1_PNSt15iterator_traitsISK_E10value_typeET2_T3_PNSL_ISQ_E10value_typeET4_jRbjT5_SW_jjP12ihipStream_tbEUlT_E1_NS1_11comp_targetILNS1_3genE3ELNS1_11target_archE908ELNS1_3gpuE7ELNS1_3repE0EEENS1_59segmented_radix_sort_warp_sort_small_config_static_selectorELNS0_4arch9wavefront6targetE1EEEvSK_.num_agpr, 0
	.set _ZN7rocprim17ROCPRIM_400000_NS6detail17trampoline_kernelINS0_14default_configENS1_36segmented_radix_sort_config_selectorIblEEZNS1_25segmented_radix_sort_implIS3_Lb0EPKbPbPKlPlN2at6native12_GLOBAL__N_18offset_tEEE10hipError_tPvRmT1_PNSt15iterator_traitsISK_E10value_typeET2_T3_PNSL_ISQ_E10value_typeET4_jRbjT5_SW_jjP12ihipStream_tbEUlT_E1_NS1_11comp_targetILNS1_3genE3ELNS1_11target_archE908ELNS1_3gpuE7ELNS1_3repE0EEENS1_59segmented_radix_sort_warp_sort_small_config_static_selectorELNS0_4arch9wavefront6targetE1EEEvSK_.numbered_sgpr, 0
	.set _ZN7rocprim17ROCPRIM_400000_NS6detail17trampoline_kernelINS0_14default_configENS1_36segmented_radix_sort_config_selectorIblEEZNS1_25segmented_radix_sort_implIS3_Lb0EPKbPbPKlPlN2at6native12_GLOBAL__N_18offset_tEEE10hipError_tPvRmT1_PNSt15iterator_traitsISK_E10value_typeET2_T3_PNSL_ISQ_E10value_typeET4_jRbjT5_SW_jjP12ihipStream_tbEUlT_E1_NS1_11comp_targetILNS1_3genE3ELNS1_11target_archE908ELNS1_3gpuE7ELNS1_3repE0EEENS1_59segmented_radix_sort_warp_sort_small_config_static_selectorELNS0_4arch9wavefront6targetE1EEEvSK_.num_named_barrier, 0
	.set _ZN7rocprim17ROCPRIM_400000_NS6detail17trampoline_kernelINS0_14default_configENS1_36segmented_radix_sort_config_selectorIblEEZNS1_25segmented_radix_sort_implIS3_Lb0EPKbPbPKlPlN2at6native12_GLOBAL__N_18offset_tEEE10hipError_tPvRmT1_PNSt15iterator_traitsISK_E10value_typeET2_T3_PNSL_ISQ_E10value_typeET4_jRbjT5_SW_jjP12ihipStream_tbEUlT_E1_NS1_11comp_targetILNS1_3genE3ELNS1_11target_archE908ELNS1_3gpuE7ELNS1_3repE0EEENS1_59segmented_radix_sort_warp_sort_small_config_static_selectorELNS0_4arch9wavefront6targetE1EEEvSK_.private_seg_size, 0
	.set _ZN7rocprim17ROCPRIM_400000_NS6detail17trampoline_kernelINS0_14default_configENS1_36segmented_radix_sort_config_selectorIblEEZNS1_25segmented_radix_sort_implIS3_Lb0EPKbPbPKlPlN2at6native12_GLOBAL__N_18offset_tEEE10hipError_tPvRmT1_PNSt15iterator_traitsISK_E10value_typeET2_T3_PNSL_ISQ_E10value_typeET4_jRbjT5_SW_jjP12ihipStream_tbEUlT_E1_NS1_11comp_targetILNS1_3genE3ELNS1_11target_archE908ELNS1_3gpuE7ELNS1_3repE0EEENS1_59segmented_radix_sort_warp_sort_small_config_static_selectorELNS0_4arch9wavefront6targetE1EEEvSK_.uses_vcc, 0
	.set _ZN7rocprim17ROCPRIM_400000_NS6detail17trampoline_kernelINS0_14default_configENS1_36segmented_radix_sort_config_selectorIblEEZNS1_25segmented_radix_sort_implIS3_Lb0EPKbPbPKlPlN2at6native12_GLOBAL__N_18offset_tEEE10hipError_tPvRmT1_PNSt15iterator_traitsISK_E10value_typeET2_T3_PNSL_ISQ_E10value_typeET4_jRbjT5_SW_jjP12ihipStream_tbEUlT_E1_NS1_11comp_targetILNS1_3genE3ELNS1_11target_archE908ELNS1_3gpuE7ELNS1_3repE0EEENS1_59segmented_radix_sort_warp_sort_small_config_static_selectorELNS0_4arch9wavefront6targetE1EEEvSK_.uses_flat_scratch, 0
	.set _ZN7rocprim17ROCPRIM_400000_NS6detail17trampoline_kernelINS0_14default_configENS1_36segmented_radix_sort_config_selectorIblEEZNS1_25segmented_radix_sort_implIS3_Lb0EPKbPbPKlPlN2at6native12_GLOBAL__N_18offset_tEEE10hipError_tPvRmT1_PNSt15iterator_traitsISK_E10value_typeET2_T3_PNSL_ISQ_E10value_typeET4_jRbjT5_SW_jjP12ihipStream_tbEUlT_E1_NS1_11comp_targetILNS1_3genE3ELNS1_11target_archE908ELNS1_3gpuE7ELNS1_3repE0EEENS1_59segmented_radix_sort_warp_sort_small_config_static_selectorELNS0_4arch9wavefront6targetE1EEEvSK_.has_dyn_sized_stack, 0
	.set _ZN7rocprim17ROCPRIM_400000_NS6detail17trampoline_kernelINS0_14default_configENS1_36segmented_radix_sort_config_selectorIblEEZNS1_25segmented_radix_sort_implIS3_Lb0EPKbPbPKlPlN2at6native12_GLOBAL__N_18offset_tEEE10hipError_tPvRmT1_PNSt15iterator_traitsISK_E10value_typeET2_T3_PNSL_ISQ_E10value_typeET4_jRbjT5_SW_jjP12ihipStream_tbEUlT_E1_NS1_11comp_targetILNS1_3genE3ELNS1_11target_archE908ELNS1_3gpuE7ELNS1_3repE0EEENS1_59segmented_radix_sort_warp_sort_small_config_static_selectorELNS0_4arch9wavefront6targetE1EEEvSK_.has_recursion, 0
	.set _ZN7rocprim17ROCPRIM_400000_NS6detail17trampoline_kernelINS0_14default_configENS1_36segmented_radix_sort_config_selectorIblEEZNS1_25segmented_radix_sort_implIS3_Lb0EPKbPbPKlPlN2at6native12_GLOBAL__N_18offset_tEEE10hipError_tPvRmT1_PNSt15iterator_traitsISK_E10value_typeET2_T3_PNSL_ISQ_E10value_typeET4_jRbjT5_SW_jjP12ihipStream_tbEUlT_E1_NS1_11comp_targetILNS1_3genE3ELNS1_11target_archE908ELNS1_3gpuE7ELNS1_3repE0EEENS1_59segmented_radix_sort_warp_sort_small_config_static_selectorELNS0_4arch9wavefront6targetE1EEEvSK_.has_indirect_call, 0
	.section	.AMDGPU.csdata,"",@progbits
; Kernel info:
; codeLenInByte = 0
; TotalNumSgprs: 4
; NumVgprs: 0
; ScratchSize: 0
; MemoryBound: 0
; FloatMode: 240
; IeeeMode: 1
; LDSByteSize: 0 bytes/workgroup (compile time only)
; SGPRBlocks: 0
; VGPRBlocks: 0
; NumSGPRsForWavesPerEU: 4
; NumVGPRsForWavesPerEU: 1
; Occupancy: 10
; WaveLimiterHint : 0
; COMPUTE_PGM_RSRC2:SCRATCH_EN: 0
; COMPUTE_PGM_RSRC2:USER_SGPR: 6
; COMPUTE_PGM_RSRC2:TRAP_HANDLER: 0
; COMPUTE_PGM_RSRC2:TGID_X_EN: 1
; COMPUTE_PGM_RSRC2:TGID_Y_EN: 0
; COMPUTE_PGM_RSRC2:TGID_Z_EN: 0
; COMPUTE_PGM_RSRC2:TIDIG_COMP_CNT: 0
	.text
	.p2align	2                               ; -- Begin function _ZN7rocprim17ROCPRIM_400000_NS6detail26segmented_warp_sort_helperINS1_20WarpSortHelperConfigILj8ELj4ELj256EEEblLi256ELb0EvE4sortIPKbPbPKlPlEEvT_T0_T1_T2_jjjjRNS5_12storage_typeE
	.type	_ZN7rocprim17ROCPRIM_400000_NS6detail26segmented_warp_sort_helperINS1_20WarpSortHelperConfigILj8ELj4ELj256EEEblLi256ELb0EvE4sortIPKbPbPKlPlEEvT_T0_T1_T2_jjjjRNS5_12storage_typeE,@function
_ZN7rocprim17ROCPRIM_400000_NS6detail26segmented_warp_sort_helperINS1_20WarpSortHelperConfigILj8ELj4ELj256EEEblLi256ELb0EvE4sortIPKbPbPKlPlEEvT_T0_T1_T2_jjjjRNS5_12storage_typeE: ; @_ZN7rocprim17ROCPRIM_400000_NS6detail26segmented_warp_sort_helperINS1_20WarpSortHelperConfigILj8ELj4ELj256EEEblLi256ELb0EvE4sortIPKbPbPKlPlEEvT_T0_T1_T2_jjjjRNS5_12storage_typeE
; %bb.0:
	s_waitcnt vmcnt(0) expcnt(0) lgkmcnt(0)
	v_mbcnt_lo_u32_b32 v15, -1, 0
	v_mbcnt_hi_u32_b32 v15, -1, v15
	v_add_co_u32_e32 v0, vcc, v0, v8
	v_lshlrev_b32_e32 v33, 2, v15
	v_addc_co_u32_e32 v1, vcc, 0, v1, vcc
	v_and_b32_e32 v30, 28, v33
	v_add_co_u32_e32 v0, vcc, v0, v30
	v_sub_u32_e32 v14, v9, v8
	v_addc_co_u32_e32 v1, vcc, 0, v1, vcc
	v_mov_b32_e32 v9, 0
	v_cmp_lt_u32_e32 vcc, v30, v14
	v_mov_b32_e32 v35, 1
	v_mov_b32_e32 v37, 1
	s_and_saveexec_b64 s[4:5], vcc
	s_cbranch_execz .LBB1659_2
; %bb.1:
	flat_load_ubyte v37, v[0:1]
.LBB1659_2:
	s_or_b64 exec, exec, s[4:5]
	v_or_b32_e32 v15, 1, v30
	v_cmp_lt_u32_e64 s[4:5], v15, v14
	s_and_saveexec_b64 s[6:7], s[4:5]
	s_cbranch_execz .LBB1659_4
; %bb.3:
	flat_load_ubyte v35, v[0:1] offset:1
.LBB1659_4:
	s_or_b64 exec, exec, s[6:7]
	v_or_b32_e32 v15, 2, v30
	v_cmp_lt_u32_e64 s[6:7], v15, v14
	v_mov_b32_e32 v36, 1
	v_mov_b32_e32 v34, 1
	s_and_saveexec_b64 s[10:11], s[6:7]
	s_cbranch_execz .LBB1659_6
; %bb.5:
	flat_load_ubyte v34, v[0:1] offset:2
.LBB1659_6:
	s_or_b64 exec, exec, s[10:11]
	v_or_b32_e32 v15, 3, v30
	v_cmp_lt_u32_e64 s[10:11], v15, v14
	s_and_saveexec_b64 s[14:15], s[10:11]
	s_cbranch_execz .LBB1659_8
; %bb.7:
	flat_load_ubyte v36, v[0:1] offset:3
.LBB1659_8:
	s_or_b64 exec, exec, s[14:15]
	v_lshlrev_b64 v[0:1], 3, v[8:9]
	v_lshlrev_b32_e32 v32, 3, v30
	v_add_co_u32_e64 v9, s[14:15], v4, v0
	v_addc_co_u32_e64 v14, s[14:15], v5, v1, s[14:15]
	v_mov_b32_e32 v22, 0
	v_mov_b32_e32 v4, 0
	v_add_co_u32_e64 v16, s[14:15], v9, v32
	v_mov_b32_e32 v23, 0
	v_mov_b32_e32 v5, 0
	v_addc_co_u32_e64 v17, s[14:15], 0, v14, s[14:15]
	; wave barrier
	s_and_saveexec_b64 s[14:15], vcc
	s_cbranch_execz .LBB1659_10
; %bb.9:
	flat_load_dwordx2 v[4:5], v[16:17]
.LBB1659_10:
	s_or_b64 exec, exec, s[14:15]
	s_mov_b32 s16, 0
	v_mov_b32_e32 v28, s16
	v_mov_b32_e32 v29, s16
	;; [unrolled: 1-line block ×6, first 2 shown]
	s_and_saveexec_b64 s[14:15], s[4:5]
	s_cbranch_execz .LBB1659_12
; %bb.11:
	flat_load_dwordx2 v[28:29], v[16:17] offset:8
	v_mov_b32_e32 v24, s16
	v_mov_b32_e32 v25, s16
	;; [unrolled: 1-line block ×4, first 2 shown]
	s_waitcnt vmcnt(0) lgkmcnt(0)
	v_mov_b32_e32 v22, v28
	v_mov_b32_e32 v23, v29
.LBB1659_12:
	s_or_b64 exec, exec, s[14:15]
	v_mov_b32_e32 v20, 0
	v_mov_b32_e32 v14, 0
	;; [unrolled: 1-line block ×4, first 2 shown]
	s_and_saveexec_b64 s[14:15], s[6:7]
	s_cbranch_execz .LBB1659_14
; %bb.13:
	flat_load_dwordx2 v[24:25], v[16:17] offset:16
	v_mov_b32_e32 v26, s16
	v_mov_b32_e32 v27, s16
	s_waitcnt vmcnt(0) lgkmcnt(0)
	v_mov_b32_e32 v14, v24
	v_mov_b32_e32 v15, v25
.LBB1659_14:
	s_or_b64 exec, exec, s[14:15]
	s_and_saveexec_b64 s[14:15], s[10:11]
	s_cbranch_execz .LBB1659_16
; %bb.15:
	flat_load_dwordx2 v[26:27], v[16:17] offset:24
	s_waitcnt vmcnt(0) lgkmcnt(0)
	v_mov_b32_e32 v20, v26
	v_mov_b32_e32 v21, v27
.LBB1659_16:
	s_or_b64 exec, exec, s[14:15]
	v_cmp_ne_u32_e64 s[14:15], 0, v10
	v_cmp_ne_u32_e64 s[16:17], 8, v11
	s_or_b64 s[14:15], s[14:15], s[16:17]
	v_bfe_u32 v9, v31, 10, 10
	v_bfe_u32 v16, v31, 20, 10
	; wave barrier
	s_and_saveexec_b64 s[16:17], s[14:15]
	s_xor_b64 s[24:25], exec, s[16:17]
	s_cbranch_execz .LBB1659_58
; %bb.17:
	s_load_dwordx2 s[18:19], s[8:9], 0x0
	v_cmp_ne_u32_e64 s[14:15], 0, v11
	v_cmp_ne_u32_e64 s[16:17], 0, v10
	s_xor_b64 s[14:15], s[16:17], s[14:15]
	v_cndmask_b32_e64 v10, 0, 1, s[14:15]
	s_waitcnt lgkmcnt(0)
	s_cmp_lt_u32 s13, s19
	s_cselect_b32 s14, 14, 20
	s_add_u32 s14, s8, s14
	s_addc_u32 s15, s9, 0
	s_cmp_lt_u32 s12, s18
	s_cselect_b32 s16, 12, 18
	buffer_store_byte v10, off, s[0:3], s32 offset:6
	v_mov_b32_e32 v11, 0
	s_add_u32 s16, s8, s16
	buffer_load_ubyte v10, off, s[0:3], s32 offset:6
	s_addc_u32 s17, s9, 0
	global_load_ushort v17, v11, s[14:15]
	global_load_ushort v18, v11, s[16:17]
	v_and_b32_e32 v11, 0x3ff, v31
	s_movk_i32 s14, 0x400
	s_waitcnt vmcnt(0)
	v_and_b32_e32 v10, 1, v10
	v_mad_u32_u24 v9, v16, v17, v9
	v_mul_lo_u32 v9, v9, v18
	buffer_store_byte v10, off, s[0:3], s32 offset:5
	v_cmp_eq_u32_e64 s[16:17], 1, v10
	v_and_b32_e32 v10, 1, v10
	v_add_lshl_u32 v9, v9, v11, 2
	v_cmp_gt_u32_e64 s[14:15], s14, v9
	buffer_store_byte v10, off, s[0:3], s32 offset:4
	s_and_saveexec_b64 s[20:21], s[14:15]
	s_cbranch_execz .LBB1659_27
; %bb.18:
	buffer_load_ubyte v10, off, s[0:3], s32 offset:4
	v_mov_b32_e32 v18, v24
	v_mov_b32_e32 v20, v26
	v_mov_b32_e32 v19, v25
	v_mov_b32_e32 v21, v27
	s_waitcnt vmcnt(0)
	v_and_b32_e32 v11, v10, v35
	v_and_b32_e32 v14, v10, v37
	;; [unrolled: 1-line block ×8, first 2 shown]
	v_cmp_gt_u16_e64 s[14:15], v14, v11
	v_cndmask_b32_e64 v17, v29, v5, s[14:15]
	v_cmp_gt_u16_e64 s[18:19], v16, v15
	v_cndmask_b32_e64 v16, v28, v4, s[14:15]
	v_cndmask_b32_e64 v15, v5, v29, s[14:15]
	;; [unrolled: 1-line block ×3, first 2 shown]
	s_and_saveexec_b64 s[22:23], s[18:19]
; %bb.19:
	v_mov_b32_e32 v18, v26
	v_mov_b32_e32 v20, v24
	;; [unrolled: 1-line block ×7, first 2 shown]
; %bb.20:
	s_or_b64 exec, exec, s[22:23]
	v_cndmask_b32_e64 v11, v35, 1, s[14:15]
	v_and_b32_e32 v4, v11, v10
	v_cmp_gt_u16_sdwa s[18:19], v4, v22 src0_sel:BYTE_0 src1_sel:BYTE_0
	s_and_saveexec_b64 s[22:23], s[18:19]
	s_xor_b64 s[18:19], exec, s[22:23]
	s_cbranch_execz .LBB1659_22
; %bb.21:
	v_mov_b32_e32 v29, v21
	v_mov_b32_e32 v28, v20
	;; [unrolled: 1-line block ×25, first 2 shown]
.LBB1659_22:
	s_or_b64 exec, exec, s[18:19]
	v_cndmask_b32_e64 v24, v37, v35, s[14:15]
	v_and_b32_e32 v5, v24, v10
	v_cmp_gt_u16_sdwa s[14:15], v5, v4 src0_sel:BYTE_0 src1_sel:BYTE_0
	v_cndmask_b32_e64 v23, v17, v15, s[14:15]
	v_cndmask_b32_e64 v22, v16, v14, s[14:15]
	;; [unrolled: 1-line block ×4, first 2 shown]
	v_and_b32_e32 v15, v36, v10
	v_and_b32_e32 v14, v34, v10
	v_cmp_gt_u16_sdwa s[22:23], v14, v15 src0_sel:BYTE_0 src1_sel:BYTE_0
	s_and_saveexec_b64 s[18:19], s[22:23]
; %bb.23:
	v_mov_b32_e32 v15, v18
	v_mov_b32_e32 v16, v19
	;; [unrolled: 1-line block ×9, first 2 shown]
; %bb.24:
	s_or_b64 exec, exec, s[18:19]
	v_cndmask_b32_e64 v35, v11, 1, s[14:15]
	v_and_b32_e32 v10, v35, v10
	v_cmp_gt_u16_sdwa s[22:23], v10, v14 src0_sel:BYTE_0 src1_sel:BYTE_0
	v_mov_b32_e32 v14, v18
	v_mov_b32_e32 v15, v19
	s_and_saveexec_b64 s[18:19], s[22:23]
; %bb.25:
	v_mov_b32_e32 v14, v22
	v_mov_b32_e32 v10, 1
	;; [unrolled: 1-line block ×7, first 2 shown]
; %bb.26:
	s_or_b64 exec, exec, s[18:19]
	v_cndmask_b32_e64 v37, v24, v11, s[14:15]
.LBB1659_27:
	s_or_b64 exec, exec, s[20:21]
	v_and_b32_e32 v17, 0xffffff00, v9
	v_add_co_u32_e64 v11, s[14:15], v12, v17
	v_addc_co_u32_e64 v12, s[14:15], 0, v13, s[14:15]
	v_mad_u64_u32 v[9:10], s[14:15], v17, 7, v[11:12]
	v_cndmask_b32_e64 v16, 0, 1, s[16:17]
	v_add_u32_e32 v12, v11, v33
	buffer_store_byte v16, off, s[0:3], s32 offset:3
	ds_write_b8 v12, v37
	v_lshl_add_u32 v25, v33, 3, v9
	ds_write_b8 v12, v35 offset:1
	ds_write2_b64 v25, v[4:5], v[22:23] offset0:128 offset1:129
	ds_write_b8 v12, v34 offset:2
	ds_write_b8 v12, v36 offset:3
	ds_write2_b64 v25, v[14:15], v[20:21] offset0:130 offset1:131
	; wave barrier
	buffer_load_ubyte v16, off, s[0:3], s32 offset:3
	s_movk_i32 s14, 0x400
	v_or_b32_e32 v13, 4, v33
	v_sub_u32_e64 v10, s14, v17 clamp
	v_min_u32_e32 v26, v10, v13
	v_and_b32_e32 v28, 0x1f8, v33
	v_and_b32_e32 v18, 4, v33
	v_add_u32_e32 v13, 4, v26
	v_min_u32_e32 v29, v10, v18
	v_sub_u32_e32 v17, v26, v28
	v_min_u32_e32 v27, v10, v13
	v_min_u32_e32 v13, v29, v17
	v_sub_u32_e32 v17, v27, v26
	v_sub_u32_e64 v38, v29, v17 clamp
	v_cmp_lt_u32_e64 s[16:17], v38, v13
	s_waitcnt vmcnt(0)
	v_and_b32_e32 v16, 1, v16
	v_cmp_eq_u32_e64 s[14:15], 1, v16
	buffer_store_byte v16, off, s[0:3], s32 offset:2
	s_and_saveexec_b64 s[18:19], s[16:17]
	s_cbranch_execz .LBB1659_31
; %bb.28:
	buffer_load_ubyte v16, off, s[0:3], s32 offset:2
	v_add_co_u32_e64 v17, s[16:17], v11, v28
	v_add_co_u32_e64 v18, s[16:17], v11, v26
	s_mov_b64 s[20:21], 0
.LBB1659_29:                            ; =>This Inner Loop Header: Depth=1
	v_add_u32_e32 v19, v13, v38
	v_lshrrev_b32_e32 v19, 1, v19
	v_not_b32_e32 v24, v19
	v_add_u32_e32 v31, v17, v19
	v_add3_u32 v24, v29, v24, v18
	ds_read_u8 v31, v31
	ds_read_u8 v24, v24
	v_add_u32_e32 v39, 1, v19
	s_waitcnt vmcnt(0) lgkmcnt(1)
	v_and_b32_e32 v31, v31, v16
	s_waitcnt lgkmcnt(0)
	v_and_b32_e32 v24, v24, v16
	v_and_b32_e32 v31, 1, v31
	;; [unrolled: 1-line block ×3, first 2 shown]
	v_cmp_gt_u16_e64 s[16:17], v31, v24
	v_cndmask_b32_e64 v13, v13, v19, s[16:17]
	v_cndmask_b32_e64 v38, v39, v38, s[16:17]
	v_cmp_ge_u32_e64 s[16:17], v38, v13
	s_or_b64 s[20:21], s[16:17], s[20:21]
	s_andn2_b64 exec, exec, s[20:21]
	s_cbranch_execnz .LBB1659_29
; %bb.30:
	s_or_b64 exec, exec, s[20:21]
.LBB1659_31:
	s_or_b64 exec, exec, s[18:19]
	v_cndmask_b32_e64 v31, 0, 1, s[14:15]
	buffer_store_byte v31, off, s[0:3], s32 offset:1
	buffer_load_ubyte v39, off, s[0:3], s32 offset:1
	v_add_u32_e32 v31, v38, v28
	v_add_u32_e32 v28, v26, v29
	v_sub_u32_e32 v38, v28, v38
	v_cmp_le_u32_e64 s[14:15], v31, v26
	v_cmp_le_u32_e64 s[16:17], v38, v27
	v_add_u32_e32 v13, 0x400, v25
	v_add_u32_e32 v16, 1, v12
	;; [unrolled: 1-line block ×7, first 2 shown]
	s_or_b64 s[14:15], s[14:15], s[16:17]
	s_waitcnt vmcnt(0)
	v_and_b32_e32 v28, 1, v39
	buffer_store_byte v28, off, s[0:3], s32
	s_and_saveexec_b64 s[26:27], s[14:15]
	s_cbranch_execz .LBB1659_37
; %bb.32:
	v_cmp_ge_u32_e64 s[16:17], v31, v26
	v_cmp_lt_u32_e64 s[14:15], v31, v26
                                        ; implicit-def: $vgpr28
	s_and_saveexec_b64 s[18:19], s[14:15]
; %bb.33:
	v_add_u32_e32 v4, v11, v31
	ds_read_u8 v28, v4
; %bb.34:
	s_or_b64 exec, exec, s[18:19]
	v_cmp_ge_u32_e64 s[14:15], v38, v27
	v_cmp_lt_u32_e64 s[18:19], v38, v27
                                        ; implicit-def: $vgpr29
	s_and_saveexec_b64 s[20:21], s[18:19]
; %bb.35:
	v_add_u32_e32 v4, v11, v38
	ds_read_u8 v29, v4
; %bb.36:
	s_or_b64 exec, exec, s[20:21]
	buffer_load_ubyte v20, off, s[0:3], s32
	v_cndmask_b32_e64 v4, 0, 1, s[14:15]
	s_or_b64 s[14:15], s[16:17], s[14:15]
	s_waitcnt vmcnt(0) lgkmcnt(0)
	v_and_b32_e32 v5, v20, v29
	v_and_b32_e32 v14, v20, v28
	;; [unrolled: 1-line block ×4, first 2 shown]
	v_cmp_le_u16_e64 s[18:19], v14, v5
	v_cndmask_b32_e64 v5, 0, 1, s[18:19]
	v_cndmask_b32_e64 v4, v5, v4, s[14:15]
	v_and_b32_e32 v4, 1, v4
	v_cmp_eq_u32_e64 s[14:15], 1, v4
	v_cndmask_b32_e64 v4, v38, v31, s[14:15]
	v_cndmask_b32_e64 v14, v27, v26, s[14:15]
	v_add_u32_e32 v15, 1, v4
	v_add_u32_e32 v14, -1, v14
	v_min_u32_e32 v14, v15, v14
	v_add_u32_e32 v14, v11, v14
	ds_read_u8 v14, v14
	v_cndmask_b32_e64 v21, v15, v38, s[14:15]
	v_cndmask_b32_e64 v15, v31, v15, s[14:15]
	v_cmp_lt_u32_e64 s[18:19], v15, v26
	v_cmp_ge_u32_e64 s[16:17], v21, v27
	s_waitcnt lgkmcnt(0)
	v_cndmask_b32_e64 v31, v14, v29, s[14:15]
	v_cndmask_b32_e64 v34, v28, v14, s[14:15]
	v_and_b32_e32 v14, v31, v20
	v_and_b32_e32 v22, v34, v20
	v_cmp_le_u16_sdwa s[20:21], v22, v14 src0_sel:BYTE_0 src1_sel:BYTE_0
	s_and_b64 s[18:19], s[18:19], s[20:21]
	s_or_b64 s[16:17], s[16:17], s[18:19]
	v_cndmask_b32_e64 v14, v21, v15, s[16:17]
	v_cndmask_b32_e64 v35, v27, v26, s[16:17]
	v_lshl_add_u32 v22, v14, 3, v9
	v_add_u32_e32 v14, 1, v14
	v_add_u32_e32 v35, -1, v35
	v_min_u32_e32 v35, v14, v35
	v_add_u32_e32 v35, v11, v35
	ds_read_u8 v35, v35
	v_cndmask_b32_e64 v21, v14, v21, s[16:17]
	v_cndmask_b32_e64 v36, v15, v14, s[16:17]
	v_cmp_lt_u32_e64 s[20:21], v36, v26
	v_cmp_ge_u32_e64 s[18:19], v21, v27
	s_waitcnt lgkmcnt(0)
	v_cndmask_b32_e64 v38, v35, v31, s[16:17]
	v_cndmask_b32_e64 v39, v34, v35, s[16:17]
	v_and_b32_e32 v14, v38, v20
	v_and_b32_e32 v15, v39, v20
	v_cmp_le_u16_sdwa s[22:23], v15, v14 src0_sel:BYTE_0 src1_sel:BYTE_0
	s_and_b64 s[20:21], s[20:21], s[22:23]
	s_or_b64 s[18:19], s[18:19], s[20:21]
	v_cndmask_b32_e64 v14, v21, v36, s[18:19]
	v_cndmask_b32_e64 v35, v27, v26, s[18:19]
	v_add_u32_e32 v37, 1, v14
	v_add_u32_e32 v35, -1, v35
	v_min_u32_e32 v35, v37, v35
	v_add_u32_e32 v35, v11, v35
	ds_read_u8 v35, v35
	v_cndmask_b32_e64 v21, v37, v21, s[18:19]
	v_cndmask_b32_e64 v36, v36, v37, s[18:19]
	v_cmp_ge_u32_e64 s[20:21], v21, v27
	v_cmp_lt_u32_e64 s[22:23], v36, v26
	s_waitcnt lgkmcnt(0)
	v_cndmask_b32_e64 v26, v35, v38, s[18:19]
	v_cndmask_b32_e64 v27, v39, v35, s[18:19]
	v_and_b32_e32 v35, v26, v20
	v_and_b32_e32 v20, v27, v20
	v_cmp_le_u16_sdwa s[28:29], v20, v35 src0_sel:BYTE_0 src1_sel:BYTE_0
	s_and_b64 s[22:23], s[22:23], s[28:29]
	s_or_b64 s[20:21], s[20:21], s[22:23]
	v_cndmask_b32_e64 v20, v21, v36, s[20:21]
	v_lshl_add_u32 v5, v4, 3, v9
	v_lshl_add_u32 v15, v14, 3, v9
	;; [unrolled: 1-line block ×3, first 2 shown]
	ds_read_b64 v[4:5], v5 offset:1024
	ds_read_b64 v[22:23], v22 offset:1024
	;; [unrolled: 1-line block ×4, first 2 shown]
	v_cndmask_b32_e64 v37, v29, v28, s[14:15]
	v_cndmask_b32_e64 v35, v31, v34, s[16:17]
	;; [unrolled: 1-line block ×4, first 2 shown]
.LBB1659_37:
	s_or_b64 exec, exec, s[26:27]
	; wave barrier
	ds_write_b8 v12, v37
	s_waitcnt lgkmcnt(4)
	ds_write_b64 v13, v[4:5]
	ds_write_b8 v16, v35
	s_waitcnt lgkmcnt(5)
	ds_write_b64 v17, v[22:23]
	ds_write_b8 v18, v34
	s_waitcnt lgkmcnt(6)
	ds_write_b64 v19, v[14:15]
	ds_write_b8 v24, v36
	s_waitcnt lgkmcnt(7)
	ds_write_b64 v25, v[20:21]
	; wave barrier
	buffer_load_ubyte v39, off, s[0:3], s32 offset:3
	v_and_b32_e32 v28, 0x1f0, v33
	v_and_b32_e32 v26, 12, v33
	v_or_b32_e32 v27, 8, v28
	v_min_u32_e32 v29, v10, v26
	v_min_u32_e32 v26, v10, v27
	v_add_u32_e32 v27, 8, v26
	v_min_u32_e32 v27, v10, v27
	v_sub_u32_e32 v31, v26, v28
	v_sub_u32_e32 v38, v27, v26
	v_min_u32_e32 v31, v29, v31
	v_sub_u32_e64 v38, v29, v38 clamp
	v_cmp_lt_u32_e64 s[16:17], v38, v31
	s_waitcnt vmcnt(0)
	v_and_b32_e32 v39, 1, v39
	v_cmp_eq_u32_e64 s[14:15], 1, v39
	buffer_store_byte v39, off, s[0:3], s32 offset:2
	s_and_saveexec_b64 s[18:19], s[16:17]
	s_cbranch_execz .LBB1659_41
; %bb.38:
	buffer_load_ubyte v39, off, s[0:3], s32 offset:2
	v_add_co_u32_e64 v48, s[16:17], v11, v28
	v_add_co_u32_e64 v49, s[16:17], v11, v26
	s_mov_b64 s[20:21], 0
.LBB1659_39:                            ; =>This Inner Loop Header: Depth=1
	v_add_u32_e32 v50, v31, v38
	v_lshrrev_b32_e32 v50, 1, v50
	v_not_b32_e32 v51, v50
	v_add_u32_e32 v52, v48, v50
	v_add3_u32 v51, v29, v51, v49
	ds_read_u8 v52, v52
	ds_read_u8 v51, v51
	v_add_u32_e32 v53, 1, v50
	s_waitcnt vmcnt(0) lgkmcnt(1)
	v_and_b32_e32 v52, v52, v39
	s_waitcnt lgkmcnt(0)
	v_and_b32_e32 v51, v51, v39
	v_and_b32_e32 v52, 1, v52
	v_and_b32_e32 v51, 1, v51
	v_cmp_gt_u16_e64 s[16:17], v52, v51
	v_cndmask_b32_e64 v31, v31, v50, s[16:17]
	v_cndmask_b32_e64 v38, v53, v38, s[16:17]
	v_cmp_ge_u32_e64 s[16:17], v38, v31
	s_or_b64 s[20:21], s[16:17], s[20:21]
	s_andn2_b64 exec, exec, s[20:21]
	s_cbranch_execnz .LBB1659_39
; %bb.40:
	s_or_b64 exec, exec, s[20:21]
.LBB1659_41:
	s_or_b64 exec, exec, s[18:19]
	v_cndmask_b32_e64 v31, 0, 1, s[14:15]
	buffer_store_byte v31, off, s[0:3], s32 offset:1
	buffer_load_ubyte v39, off, s[0:3], s32 offset:1
	v_add_u32_e32 v31, v38, v28
	v_add_u32_e32 v28, v26, v29
	v_sub_u32_e32 v38, v28, v38
	v_cmp_le_u32_e64 s[14:15], v31, v26
	v_cmp_le_u32_e64 s[16:17], v38, v27
	s_or_b64 s[14:15], s[14:15], s[16:17]
	s_waitcnt vmcnt(0)
	v_and_b32_e32 v28, 1, v39
	buffer_store_byte v28, off, s[0:3], s32
	s_and_saveexec_b64 s[26:27], s[14:15]
	s_cbranch_execz .LBB1659_47
; %bb.42:
	v_cmp_ge_u32_e64 s[16:17], v31, v26
	v_cmp_lt_u32_e64 s[14:15], v31, v26
                                        ; implicit-def: $vgpr28
	s_and_saveexec_b64 s[18:19], s[14:15]
; %bb.43:
	v_add_u32_e32 v4, v11, v31
	ds_read_u8 v28, v4
; %bb.44:
	s_or_b64 exec, exec, s[18:19]
	v_cmp_ge_u32_e64 s[14:15], v38, v27
	v_cmp_lt_u32_e64 s[18:19], v38, v27
                                        ; implicit-def: $vgpr29
	s_and_saveexec_b64 s[20:21], s[18:19]
; %bb.45:
	v_add_u32_e32 v4, v11, v38
	ds_read_u8 v29, v4
; %bb.46:
	s_or_b64 exec, exec, s[20:21]
	buffer_load_ubyte v20, off, s[0:3], s32
	v_cndmask_b32_e64 v4, 0, 1, s[14:15]
	s_or_b64 s[14:15], s[16:17], s[14:15]
	s_waitcnt vmcnt(0) lgkmcnt(0)
	v_and_b32_e32 v5, v20, v29
	v_and_b32_e32 v14, v20, v28
	;; [unrolled: 1-line block ×4, first 2 shown]
	v_cmp_le_u16_e64 s[18:19], v14, v5
	v_cndmask_b32_e64 v5, 0, 1, s[18:19]
	v_cndmask_b32_e64 v4, v5, v4, s[14:15]
	v_and_b32_e32 v4, 1, v4
	v_cmp_eq_u32_e64 s[14:15], 1, v4
	v_cndmask_b32_e64 v4, v38, v31, s[14:15]
	v_cndmask_b32_e64 v14, v27, v26, s[14:15]
	v_add_u32_e32 v15, 1, v4
	v_add_u32_e32 v14, -1, v14
	v_min_u32_e32 v14, v15, v14
	v_add_u32_e32 v14, v11, v14
	ds_read_u8 v14, v14
	v_cndmask_b32_e64 v21, v15, v38, s[14:15]
	v_cndmask_b32_e64 v15, v31, v15, s[14:15]
	v_cmp_lt_u32_e64 s[18:19], v15, v26
	v_cmp_ge_u32_e64 s[16:17], v21, v27
	s_waitcnt lgkmcnt(0)
	v_cndmask_b32_e64 v31, v14, v29, s[14:15]
	v_cndmask_b32_e64 v34, v28, v14, s[14:15]
	v_and_b32_e32 v14, v31, v20
	v_and_b32_e32 v22, v34, v20
	v_cmp_le_u16_sdwa s[20:21], v22, v14 src0_sel:BYTE_0 src1_sel:BYTE_0
	s_and_b64 s[18:19], s[18:19], s[20:21]
	s_or_b64 s[16:17], s[16:17], s[18:19]
	v_cndmask_b32_e64 v14, v21, v15, s[16:17]
	v_cndmask_b32_e64 v35, v27, v26, s[16:17]
	v_lshl_add_u32 v22, v14, 3, v9
	v_add_u32_e32 v14, 1, v14
	v_add_u32_e32 v35, -1, v35
	v_min_u32_e32 v35, v14, v35
	v_add_u32_e32 v35, v11, v35
	ds_read_u8 v35, v35
	v_cndmask_b32_e64 v21, v14, v21, s[16:17]
	v_cndmask_b32_e64 v36, v15, v14, s[16:17]
	v_cmp_lt_u32_e64 s[20:21], v36, v26
	v_cmp_ge_u32_e64 s[18:19], v21, v27
	s_waitcnt lgkmcnt(0)
	v_cndmask_b32_e64 v38, v35, v31, s[16:17]
	v_cndmask_b32_e64 v39, v34, v35, s[16:17]
	v_and_b32_e32 v14, v38, v20
	v_and_b32_e32 v15, v39, v20
	v_cmp_le_u16_sdwa s[22:23], v15, v14 src0_sel:BYTE_0 src1_sel:BYTE_0
	s_and_b64 s[20:21], s[20:21], s[22:23]
	s_or_b64 s[18:19], s[18:19], s[20:21]
	v_cndmask_b32_e64 v14, v21, v36, s[18:19]
	v_cndmask_b32_e64 v35, v27, v26, s[18:19]
	v_add_u32_e32 v37, 1, v14
	v_add_u32_e32 v35, -1, v35
	v_min_u32_e32 v35, v37, v35
	v_add_u32_e32 v35, v11, v35
	ds_read_u8 v35, v35
	v_cndmask_b32_e64 v21, v37, v21, s[18:19]
	v_cndmask_b32_e64 v36, v36, v37, s[18:19]
	v_cmp_ge_u32_e64 s[20:21], v21, v27
	v_cmp_lt_u32_e64 s[22:23], v36, v26
	s_waitcnt lgkmcnt(0)
	v_cndmask_b32_e64 v26, v35, v38, s[18:19]
	v_cndmask_b32_e64 v27, v39, v35, s[18:19]
	v_and_b32_e32 v35, v26, v20
	v_and_b32_e32 v20, v27, v20
	v_cmp_le_u16_sdwa s[28:29], v20, v35 src0_sel:BYTE_0 src1_sel:BYTE_0
	s_and_b64 s[22:23], s[22:23], s[28:29]
	s_or_b64 s[20:21], s[20:21], s[22:23]
	v_cndmask_b32_e64 v20, v21, v36, s[20:21]
	v_lshl_add_u32 v5, v4, 3, v9
	v_lshl_add_u32 v15, v14, 3, v9
	;; [unrolled: 1-line block ×3, first 2 shown]
	ds_read_b64 v[4:5], v5 offset:1024
	ds_read_b64 v[22:23], v22 offset:1024
	;; [unrolled: 1-line block ×4, first 2 shown]
	v_cndmask_b32_e64 v37, v29, v28, s[14:15]
	v_cndmask_b32_e64 v35, v31, v34, s[16:17]
	;; [unrolled: 1-line block ×4, first 2 shown]
.LBB1659_47:
	s_or_b64 exec, exec, s[26:27]
	; wave barrier
	ds_write_b8 v12, v37
	s_waitcnt lgkmcnt(4)
	ds_write_b64 v13, v[4:5]
	ds_write_b8 v16, v35
	s_waitcnt lgkmcnt(5)
	ds_write_b64 v17, v[22:23]
	;; [unrolled: 3-line block ×4, first 2 shown]
	; wave barrier
	buffer_load_ubyte v19, off, s[0:3], s32 offset:3
	v_and_b32_e32 v13, 0x1e0, v33
	v_or_b32_e32 v12, 16, v13
	v_min_u32_e32 v12, v10, v12
	v_add_u32_e32 v17, 16, v12
	v_min_u32_e32 v16, v10, v30
	v_sub_u32_e32 v18, v12, v13
	v_min_u32_e32 v10, v10, v17
	v_min_u32_e32 v17, v16, v18
	v_sub_u32_e32 v18, v10, v12
	v_sub_u32_e64 v18, v16, v18 clamp
	v_cmp_lt_u32_e64 s[16:17], v18, v17
	s_waitcnt vmcnt(0)
	v_and_b32_e32 v19, 1, v19
	v_cmp_eq_u32_e64 s[14:15], 1, v19
	buffer_store_byte v19, off, s[0:3], s32 offset:2
	s_and_saveexec_b64 s[18:19], s[16:17]
	s_cbranch_execz .LBB1659_51
; %bb.48:
	buffer_load_ubyte v19, off, s[0:3], s32 offset:2
	v_add_co_u32_e64 v24, s[16:17], v11, v13
	v_add_co_u32_e64 v25, s[16:17], v11, v12
	s_mov_b64 s[20:21], 0
.LBB1659_49:                            ; =>This Inner Loop Header: Depth=1
	v_add_u32_e32 v26, v17, v18
	v_lshrrev_b32_e32 v26, 1, v26
	v_not_b32_e32 v27, v26
	v_add_u32_e32 v28, v24, v26
	v_add3_u32 v27, v16, v27, v25
	ds_read_u8 v28, v28
	ds_read_u8 v27, v27
	v_add_u32_e32 v29, 1, v26
	s_waitcnt vmcnt(0) lgkmcnt(1)
	v_and_b32_e32 v28, v28, v19
	s_waitcnt lgkmcnt(0)
	v_and_b32_e32 v27, v27, v19
	v_and_b32_e32 v28, 1, v28
	;; [unrolled: 1-line block ×3, first 2 shown]
	v_cmp_gt_u16_e64 s[16:17], v28, v27
	v_cndmask_b32_e64 v17, v17, v26, s[16:17]
	v_cndmask_b32_e64 v18, v29, v18, s[16:17]
	v_cmp_ge_u32_e64 s[16:17], v18, v17
	s_or_b64 s[20:21], s[16:17], s[20:21]
	s_andn2_b64 exec, exec, s[20:21]
	s_cbranch_execnz .LBB1659_49
; %bb.50:
	s_or_b64 exec, exec, s[20:21]
.LBB1659_51:
	s_or_b64 exec, exec, s[18:19]
	v_cndmask_b32_e64 v17, 0, 1, s[14:15]
	buffer_store_byte v17, off, s[0:3], s32 offset:1
	buffer_load_ubyte v19, off, s[0:3], s32 offset:1
	v_add_u32_e32 v17, v18, v13
	v_add_u32_e32 v13, v12, v16
	v_sub_u32_e32 v18, v13, v18
	v_cmp_le_u32_e64 s[14:15], v17, v12
	v_cmp_le_u32_e64 s[16:17], v18, v10
	s_or_b64 s[14:15], s[14:15], s[16:17]
	s_waitcnt vmcnt(0)
	v_and_b32_e32 v13, 1, v19
	buffer_store_byte v13, off, s[0:3], s32
	s_and_saveexec_b64 s[26:27], s[14:15]
	s_cbranch_execz .LBB1659_57
; %bb.52:
	v_cmp_ge_u32_e64 s[16:17], v17, v12
	v_cmp_lt_u32_e64 s[14:15], v17, v12
                                        ; implicit-def: $vgpr13
	s_and_saveexec_b64 s[18:19], s[14:15]
; %bb.53:
	v_add_u32_e32 v4, v11, v17
	ds_read_u8 v13, v4
; %bb.54:
	s_or_b64 exec, exec, s[18:19]
	v_cmp_ge_u32_e64 s[14:15], v18, v10
	v_cmp_lt_u32_e64 s[18:19], v18, v10
                                        ; implicit-def: $vgpr16
	s_and_saveexec_b64 s[20:21], s[18:19]
; %bb.55:
	v_add_u32_e32 v4, v11, v18
	ds_read_u8 v16, v4
; %bb.56:
	s_or_b64 exec, exec, s[20:21]
	buffer_load_ubyte v19, off, s[0:3], s32
	v_cndmask_b32_e64 v4, 0, 1, s[14:15]
	s_or_b64 s[14:15], s[16:17], s[14:15]
	s_waitcnt vmcnt(0) lgkmcnt(0)
	v_and_b32_e32 v5, v19, v16
	v_and_b32_e32 v14, v19, v13
	;; [unrolled: 1-line block ×4, first 2 shown]
	v_cmp_le_u16_e64 s[18:19], v14, v5
	v_cndmask_b32_e64 v5, 0, 1, s[18:19]
	v_cndmask_b32_e64 v4, v5, v4, s[14:15]
	v_and_b32_e32 v4, 1, v4
	v_cmp_eq_u32_e64 s[14:15], 1, v4
	v_cndmask_b32_e64 v4, v18, v17, s[14:15]
	v_cndmask_b32_e64 v14, v10, v12, s[14:15]
	v_add_u32_e32 v15, 1, v4
	v_add_u32_e32 v14, -1, v14
	v_min_u32_e32 v14, v15, v14
	v_add_u32_e32 v14, v11, v14
	ds_read_u8 v14, v14
	v_cndmask_b32_e64 v18, v15, v18, s[14:15]
	v_cndmask_b32_e64 v15, v17, v15, s[14:15]
	v_cmp_lt_u32_e64 s[18:19], v15, v12
	v_cmp_ge_u32_e64 s[16:17], v18, v10
	s_waitcnt lgkmcnt(0)
	v_cndmask_b32_e64 v17, v14, v16, s[14:15]
	v_cndmask_b32_e64 v24, v13, v14, s[14:15]
	v_and_b32_e32 v14, v17, v19
	v_and_b32_e32 v20, v24, v19
	v_cmp_le_u16_sdwa s[20:21], v20, v14 src0_sel:BYTE_0 src1_sel:BYTE_0
	s_and_b64 s[18:19], s[18:19], s[20:21]
	s_or_b64 s[16:17], s[16:17], s[18:19]
	v_cndmask_b32_e64 v14, v18, v15, s[16:17]
	v_cndmask_b32_e64 v20, v10, v12, s[16:17]
	v_lshl_add_u32 v21, v14, 3, v9
	v_add_u32_e32 v14, 1, v14
	v_add_u32_e32 v20, -1, v20
	v_min_u32_e32 v20, v14, v20
	v_add_u32_e32 v20, v11, v20
	ds_read_u8 v20, v20
	ds_read_b64 v[22:23], v21 offset:1024
	v_cndmask_b32_e64 v18, v14, v18, s[16:17]
	v_cndmask_b32_e64 v21, v15, v14, s[16:17]
	v_cmp_lt_u32_e64 s[20:21], v21, v12
	s_waitcnt lgkmcnt(1)
	v_cndmask_b32_e64 v25, v20, v17, s[16:17]
	v_cndmask_b32_e64 v26, v24, v20, s[16:17]
	v_and_b32_e32 v14, v25, v19
	v_and_b32_e32 v15, v26, v19
	v_cmp_le_u16_sdwa s[22:23], v15, v14 src0_sel:BYTE_0 src1_sel:BYTE_0
	v_cmp_ge_u32_e64 s[18:19], v18, v10
	s_and_b64 s[20:21], s[20:21], s[22:23]
	s_or_b64 s[18:19], s[18:19], s[20:21]
	v_cndmask_b32_e64 v14, v18, v21, s[18:19]
	v_cndmask_b32_e64 v20, v10, v12, s[18:19]
	v_add_u32_e32 v27, 1, v14
	v_add_u32_e32 v20, -1, v20
	v_min_u32_e32 v20, v27, v20
	v_add_u32_e32 v11, v11, v20
	ds_read_u8 v11, v11
	v_cndmask_b32_e64 v18, v27, v18, s[18:19]
	v_cndmask_b32_e64 v20, v21, v27, s[18:19]
	v_cmp_ge_u32_e64 s[20:21], v18, v10
	v_cmp_lt_u32_e64 s[22:23], v20, v12
	s_waitcnt lgkmcnt(0)
	v_cndmask_b32_e64 v10, v11, v25, s[18:19]
	v_cndmask_b32_e64 v11, v26, v11, s[18:19]
	v_and_b32_e32 v12, v10, v19
	v_and_b32_e32 v19, v11, v19
	v_cmp_le_u16_sdwa s[28:29], v19, v12 src0_sel:BYTE_0 src1_sel:BYTE_0
	s_and_b64 s[22:23], s[22:23], s[28:29]
	s_or_b64 s[20:21], s[20:21], s[22:23]
	v_cndmask_b32_e64 v12, v18, v20, s[20:21]
	v_lshl_add_u32 v5, v4, 3, v9
	v_lshl_add_u32 v15, v14, 3, v9
	;; [unrolled: 1-line block ×3, first 2 shown]
	ds_read_b64 v[4:5], v5 offset:1024
	ds_read_b64 v[14:15], v15 offset:1024
	;; [unrolled: 1-line block ×3, first 2 shown]
	v_cndmask_b32_e64 v37, v16, v13, s[14:15]
	v_cndmask_b32_e64 v35, v17, v24, s[16:17]
	;; [unrolled: 1-line block ×4, first 2 shown]
.LBB1659_57:
	s_or_b64 exec, exec, s[26:27]
	; wave barrier
	s_waitcnt vmcnt(0) lgkmcnt(0)
	s_barrier
                                        ; implicit-def: $vgpr33
                                        ; implicit-def: $vgpr12
                                        ; implicit-def: $vgpr13
                                        ; implicit-def: $vgpr31
                                        ; implicit-def: $vgpr9
                                        ; implicit-def: $vgpr16
                                        ; implicit-def: $vgpr26_vgpr27
                                        ; implicit-def: $vgpr24_vgpr25
                                        ; implicit-def: $vgpr28_vgpr29
.LBB1659_58:
	s_andn2_saveexec_b64 s[20:21], s[24:25]
	s_cbranch_execz .LBB1659_94
; %bb.59:
	s_load_dwordx2 s[14:15], s[8:9], 0x0
	v_mov_b32_e32 v10, 0
	s_movk_i32 s18, 0x400
	s_waitcnt lgkmcnt(0)
	s_cmp_lt_u32 s13, s15
	s_cselect_b32 s13, 14, 20
	s_add_u32 s16, s8, s13
	s_addc_u32 s17, s9, 0
	s_cmp_lt_u32 s12, s14
	s_cselect_b32 s12, 12, 18
	s_add_u32 s8, s8, s12
	s_addc_u32 s9, s9, 0
	global_load_ushort v11, v10, s[16:17]
	global_load_ushort v17, v10, s[8:9]
	v_and_b32_e32 v10, 0x3ff, v31
	s_waitcnt vmcnt(0)
	v_mad_u32_u24 v9, v16, v11, v9
	v_mul_lo_u32 v9, v9, v17
	v_add_lshl_u32 v9, v9, v10, 2
	v_cmp_gt_u32_e64 s[8:9], s18, v9
	s_and_saveexec_b64 s[14:15], s[8:9]
	s_cbranch_execz .LBB1659_63
; %bb.60:
	v_cmp_gt_u16_sdwa s[8:9], v37, v35 src0_sel:BYTE_0 src1_sel:BYTE_0
	v_cndmask_b32_e64 v10, v37, 0, s[8:9]
	v_cndmask_b32_e64 v14, v35, 1, s[8:9]
	v_cndmask_b32_e64 v15, v4, v28, s[8:9]
	v_cndmask_b32_e64 v16, v5, v29, s[8:9]
	v_cndmask_b32_e64 v5, v29, v5, s[8:9]
	v_cndmask_b32_e64 v4, v28, v4, s[8:9]
	v_cmp_gt_u16_sdwa s[8:9], v34, v36 src0_sel:BYTE_0 src1_sel:BYTE_0
	v_cndmask_b32_e64 v17, v34, 0, s[8:9]
	v_cndmask_b32_e64 v11, v36, 1, s[8:9]
	v_cndmask_b32_e64 v18, v26, v24, s[8:9]
	v_cndmask_b32_e64 v19, v27, v25, s[8:9]
	v_cndmask_b32_e64 v20, v25, v27, s[8:9]
	v_cndmask_b32_e64 v21, v24, v26, s[8:9]
	;; [unrolled: 7-line block ×3, first 2 shown]
	v_cmp_gt_u16_sdwa s[8:9], v10, v14 src0_sel:BYTE_0 src1_sel:BYTE_0
	v_cmp_gt_u16_sdwa s[12:13], v17, v11 src0_sel:BYTE_0 src1_sel:BYTE_0
	v_cndmask_b32_e64 v35, v14, 1, s[8:9]
	v_cndmask_b32_e64 v34, v17, 0, s[12:13]
	;; [unrolled: 1-line block ×10, first 2 shown]
	v_cmp_gt_u16_sdwa s[22:23], v35, v34 src0_sel:BYTE_0 src1_sel:BYTE_0
	s_and_saveexec_b64 s[16:17], s[22:23]
; %bb.61:
	v_mov_b32_e32 v17, v15
	v_mov_b32_e32 v16, v14
	;; [unrolled: 1-line block ×8, first 2 shown]
; %bb.62:
	s_or_b64 exec, exec, s[16:17]
	v_cndmask_b32_e64 v37, v10, 0, s[8:9]
	v_cndmask_b32_e64 v36, v11, 1, s[12:13]
.LBB1659_63:
	s_or_b64 exec, exec, s[14:15]
	v_and_b32_e32 v16, 0xffffff00, v9
	v_add_co_u32_e64 v11, s[8:9], v12, v16
	v_addc_co_u32_e64 v12, s[8:9], 0, v13, s[8:9]
	v_mad_u64_u32 v[9:10], s[8:9], v16, 7, v[11:12]
	v_sub_u32_e64 v10, s18, v16 clamp
	v_or_b32_e32 v13, 4, v33
	v_min_u32_e32 v26, v10, v13
	v_add_u32_e32 v13, 4, v26
	v_and_b32_e32 v28, 0x1f8, v33
	v_min_u32_e32 v27, v10, v13
	v_and_b32_e32 v13, 4, v33
	v_min_u32_e32 v29, v10, v13
	v_sub_u32_e32 v13, v26, v28
	v_sub_u32_e32 v16, v27, v26
	v_sub_u32_e64 v38, v29, v16 clamp
	v_min_u32_e32 v13, v29, v13
	v_add_u32_e32 v12, v11, v33
	v_lshl_add_u32 v25, v33, 3, v9
	v_cmp_lt_u32_e64 s[8:9], v38, v13
	ds_write_b8 v12, v37
	ds_write_b8 v12, v35 offset:1
	ds_write2_b64 v25, v[4:5], v[22:23] offset0:128 offset1:129
	ds_write_b8 v12, v34 offset:2
	ds_write_b8 v12, v36 offset:3
	ds_write2_b64 v25, v[14:15], v[20:21] offset0:130 offset1:131
	; wave barrier
	s_and_saveexec_b64 s[12:13], s[8:9]
	s_cbranch_execz .LBB1659_67
; %bb.64:
	v_add_co_u32_e64 v16, s[8:9], v11, v28
	v_add_co_u32_e64 v17, s[8:9], v11, v26
	s_mov_b64 s[14:15], 0
.LBB1659_65:                            ; =>This Inner Loop Header: Depth=1
	v_add_u32_e32 v18, v13, v38
	v_lshrrev_b32_e32 v18, 1, v18
	v_not_b32_e32 v19, v18
	v_add_u32_e32 v24, v16, v18
	v_add3_u32 v19, v29, v19, v17
	ds_read_u8 v24, v24
	ds_read_u8 v19, v19
	v_add_u32_e32 v31, 1, v18
	s_waitcnt lgkmcnt(0)
	v_cmp_gt_u16_e64 s[8:9], v24, v19
	v_cndmask_b32_e64 v13, v13, v18, s[8:9]
	v_cndmask_b32_e64 v38, v31, v38, s[8:9]
	v_cmp_ge_u32_e64 s[8:9], v38, v13
	s_or_b64 s[14:15], s[8:9], s[14:15]
	s_andn2_b64 exec, exec, s[14:15]
	s_cbranch_execnz .LBB1659_65
; %bb.66:
	s_or_b64 exec, exec, s[14:15]
.LBB1659_67:
	s_or_b64 exec, exec, s[12:13]
	v_add_u32_e32 v31, v38, v28
	v_add_u32_e32 v28, v26, v29
	v_sub_u32_e32 v38, v28, v38
	v_cmp_le_u32_e64 s[8:9], v31, v26
	v_cmp_le_u32_e64 s[12:13], v38, v27
	v_add_u32_e32 v13, 0x400, v25
	v_add_u32_e32 v16, 1, v12
	;; [unrolled: 1-line block ×7, first 2 shown]
	s_or_b64 s[8:9], s[8:9], s[12:13]
	s_and_saveexec_b64 s[22:23], s[8:9]
	s_cbranch_execz .LBB1659_73
; %bb.68:
	v_cmp_lt_u32_e64 s[8:9], v31, v26
                                        ; implicit-def: $vgpr28
	s_and_saveexec_b64 s[12:13], s[8:9]
; %bb.69:
	v_add_u32_e32 v4, v11, v31
	ds_read_u8 v28, v4
; %bb.70:
	s_or_b64 exec, exec, s[12:13]
	v_cmp_ge_u32_e64 s[12:13], v38, v27
	v_cmp_lt_u32_e64 s[14:15], v38, v27
                                        ; implicit-def: $vgpr29
	s_and_saveexec_b64 s[16:17], s[14:15]
; %bb.71:
	v_add_u32_e32 v4, v11, v38
	ds_read_u8 v29, v4
; %bb.72:
	s_or_b64 exec, exec, s[16:17]
	s_waitcnt lgkmcnt(0)
	v_cmp_le_u16_sdwa s[14:15], v28, v29 src0_sel:BYTE_0 src1_sel:BYTE_0
	s_and_b64 s[8:9], s[8:9], s[14:15]
	s_or_b64 s[8:9], s[12:13], s[8:9]
	v_cndmask_b32_e64 v4, v38, v31, s[8:9]
	v_cndmask_b32_e64 v5, v27, v26, s[8:9]
	v_add_u32_e32 v14, 1, v4
	v_add_u32_e32 v5, -1, v5
	v_min_u32_e32 v5, v14, v5
	v_add_u32_e32 v5, v11, v5
	ds_read_u8 v5, v5
	v_cndmask_b32_e64 v15, v14, v38, s[8:9]
	v_cndmask_b32_e64 v14, v31, v14, s[8:9]
	v_cmp_lt_u32_e64 s[14:15], v14, v26
	v_cmp_ge_u32_e64 s[12:13], v15, v27
	s_waitcnt lgkmcnt(0)
	v_cndmask_b32_e64 v34, v5, v29, s[8:9]
	v_cndmask_b32_e64 v35, v28, v5, s[8:9]
	v_cmp_le_u16_sdwa s[16:17], v35, v34 src0_sel:BYTE_0 src1_sel:BYTE_0
	s_and_b64 s[14:15], s[14:15], s[16:17]
	s_or_b64 s[12:13], s[12:13], s[14:15]
	v_cndmask_b32_e64 v20, v15, v14, s[12:13]
	v_cndmask_b32_e64 v5, v27, v26, s[12:13]
	v_add_u32_e32 v21, 1, v20
	v_add_u32_e32 v5, -1, v5
	v_min_u32_e32 v5, v21, v5
	v_add_u32_e32 v5, v11, v5
	ds_read_u8 v22, v5
	v_cndmask_b32_e64 v37, v21, v15, s[12:13]
	v_cndmask_b32_e64 v21, v14, v21, s[12:13]
	v_cmp_lt_u32_e64 s[16:17], v21, v26
	v_cmp_ge_u32_e64 s[14:15], v37, v27
	s_waitcnt lgkmcnt(0)
	v_cndmask_b32_e64 v31, v22, v34, s[12:13]
	v_cndmask_b32_e64 v36, v35, v22, s[12:13]
	v_cmp_le_u16_sdwa s[18:19], v36, v31 src0_sel:BYTE_0 src1_sel:BYTE_0
	s_and_b64 s[16:17], s[16:17], s[18:19]
	s_or_b64 s[14:15], s[14:15], s[16:17]
	v_cndmask_b32_e64 v14, v37, v21, s[14:15]
	v_cndmask_b32_e64 v15, v27, v26, s[14:15]
	v_add_u32_e32 v38, 1, v14
	v_add_u32_e32 v15, -1, v15
	v_min_u32_e32 v15, v38, v15
	v_add_u32_e32 v15, v11, v15
	ds_read_u8 v39, v15
	v_cndmask_b32_e64 v21, v21, v38, s[14:15]
	v_lshl_add_u32 v15, v20, 3, v9
	v_cndmask_b32_e64 v20, v38, v37, s[14:15]
	v_cmp_lt_u32_e64 s[18:19], v21, v26
	s_waitcnt lgkmcnt(0)
	v_cndmask_b32_e64 v48, v39, v31, s[14:15]
	v_cndmask_b32_e64 v39, v36, v39, s[14:15]
	v_cmp_le_u16_sdwa s[24:25], v39, v48 src0_sel:BYTE_0 src1_sel:BYTE_0
	v_cmp_ge_u32_e64 s[16:17], v20, v27
	s_and_b64 s[18:19], s[18:19], s[24:25]
	s_or_b64 s[16:17], s[16:17], s[18:19]
	v_cndmask_b32_e64 v20, v20, v21, s[16:17]
	v_lshl_add_u32 v4, v4, 3, v9
	v_lshl_add_u32 v14, v14, 3, v9
	;; [unrolled: 1-line block ×3, first 2 shown]
	ds_read_b64 v[4:5], v4 offset:1024
	ds_read_b64 v[22:23], v15 offset:1024
	;; [unrolled: 1-line block ×4, first 2 shown]
	v_cndmask_b32_e64 v37, v29, v28, s[8:9]
	v_cndmask_b32_e64 v35, v34, v35, s[12:13]
	;; [unrolled: 1-line block ×4, first 2 shown]
.LBB1659_73:
	s_or_b64 exec, exec, s[22:23]
	v_and_b32_e32 v28, 0x1f0, v33
	v_or_b32_e32 v26, 8, v28
	v_min_u32_e32 v26, v10, v26
	v_add_u32_e32 v27, 8, v26
	v_min_u32_e32 v27, v10, v27
	v_and_b32_e32 v29, 12, v33
	v_min_u32_e32 v29, v10, v29
	v_sub_u32_e32 v31, v26, v28
	v_sub_u32_e32 v38, v27, v26
	v_sub_u32_e64 v38, v29, v38 clamp
	v_min_u32_e32 v31, v29, v31
	v_cmp_lt_u32_e64 s[8:9], v38, v31
	; wave barrier
	ds_write_b8 v12, v37
	s_waitcnt lgkmcnt(4)
	ds_write_b64 v13, v[4:5]
	ds_write_b8 v16, v35
	s_waitcnt lgkmcnt(5)
	ds_write_b64 v17, v[22:23]
	;; [unrolled: 3-line block ×4, first 2 shown]
	; wave barrier
	s_and_saveexec_b64 s[12:13], s[8:9]
	s_cbranch_execz .LBB1659_77
; %bb.74:
	v_add_co_u32_e64 v39, s[8:9], v11, v28
	v_add_co_u32_e64 v48, s[8:9], v11, v26
	s_mov_b64 s[14:15], 0
.LBB1659_75:                            ; =>This Inner Loop Header: Depth=1
	v_add_u32_e32 v49, v31, v38
	v_lshrrev_b32_e32 v49, 1, v49
	v_not_b32_e32 v50, v49
	v_add_u32_e32 v51, v39, v49
	v_add3_u32 v50, v29, v50, v48
	ds_read_u8 v51, v51
	ds_read_u8 v50, v50
	v_add_u32_e32 v52, 1, v49
	s_waitcnt lgkmcnt(0)
	v_cmp_gt_u16_e64 s[8:9], v51, v50
	v_cndmask_b32_e64 v31, v31, v49, s[8:9]
	v_cndmask_b32_e64 v38, v52, v38, s[8:9]
	v_cmp_ge_u32_e64 s[8:9], v38, v31
	s_or_b64 s[14:15], s[8:9], s[14:15]
	s_andn2_b64 exec, exec, s[14:15]
	s_cbranch_execnz .LBB1659_75
; %bb.76:
	s_or_b64 exec, exec, s[14:15]
.LBB1659_77:
	s_or_b64 exec, exec, s[12:13]
	v_add_u32_e32 v31, v38, v28
	v_add_u32_e32 v28, v26, v29
	v_sub_u32_e32 v38, v28, v38
	v_cmp_le_u32_e64 s[8:9], v31, v26
	v_cmp_le_u32_e64 s[12:13], v38, v27
	s_or_b64 s[8:9], s[8:9], s[12:13]
	s_and_saveexec_b64 s[22:23], s[8:9]
	s_cbranch_execz .LBB1659_83
; %bb.78:
	v_cmp_lt_u32_e64 s[8:9], v31, v26
                                        ; implicit-def: $vgpr28
	s_and_saveexec_b64 s[12:13], s[8:9]
; %bb.79:
	v_add_u32_e32 v4, v11, v31
	ds_read_u8 v28, v4
; %bb.80:
	s_or_b64 exec, exec, s[12:13]
	v_cmp_ge_u32_e64 s[12:13], v38, v27
	v_cmp_lt_u32_e64 s[14:15], v38, v27
                                        ; implicit-def: $vgpr29
	s_and_saveexec_b64 s[16:17], s[14:15]
; %bb.81:
	v_add_u32_e32 v4, v11, v38
	ds_read_u8 v29, v4
; %bb.82:
	s_or_b64 exec, exec, s[16:17]
	s_waitcnt lgkmcnt(0)
	v_cmp_le_u16_sdwa s[14:15], v28, v29 src0_sel:BYTE_0 src1_sel:BYTE_0
	s_and_b64 s[8:9], s[8:9], s[14:15]
	s_or_b64 s[8:9], s[12:13], s[8:9]
	v_cndmask_b32_e64 v4, v38, v31, s[8:9]
	v_cndmask_b32_e64 v5, v27, v26, s[8:9]
	v_add_u32_e32 v14, 1, v4
	v_add_u32_e32 v5, -1, v5
	v_min_u32_e32 v5, v14, v5
	v_add_u32_e32 v5, v11, v5
	ds_read_u8 v5, v5
	v_cndmask_b32_e64 v15, v14, v38, s[8:9]
	v_cndmask_b32_e64 v14, v31, v14, s[8:9]
	v_cmp_lt_u32_e64 s[14:15], v14, v26
	v_cmp_ge_u32_e64 s[12:13], v15, v27
	s_waitcnt lgkmcnt(0)
	v_cndmask_b32_e64 v34, v5, v29, s[8:9]
	v_cndmask_b32_e64 v35, v28, v5, s[8:9]
	v_cmp_le_u16_sdwa s[16:17], v35, v34 src0_sel:BYTE_0 src1_sel:BYTE_0
	s_and_b64 s[14:15], s[14:15], s[16:17]
	s_or_b64 s[12:13], s[12:13], s[14:15]
	v_cndmask_b32_e64 v20, v15, v14, s[12:13]
	v_cndmask_b32_e64 v5, v27, v26, s[12:13]
	v_add_u32_e32 v21, 1, v20
	v_add_u32_e32 v5, -1, v5
	v_min_u32_e32 v5, v21, v5
	v_add_u32_e32 v5, v11, v5
	ds_read_u8 v22, v5
	v_cndmask_b32_e64 v37, v21, v15, s[12:13]
	v_cndmask_b32_e64 v21, v14, v21, s[12:13]
	v_cmp_lt_u32_e64 s[16:17], v21, v26
	v_cmp_ge_u32_e64 s[14:15], v37, v27
	s_waitcnt lgkmcnt(0)
	v_cndmask_b32_e64 v31, v22, v34, s[12:13]
	v_cndmask_b32_e64 v36, v35, v22, s[12:13]
	v_cmp_le_u16_sdwa s[18:19], v36, v31 src0_sel:BYTE_0 src1_sel:BYTE_0
	s_and_b64 s[16:17], s[16:17], s[18:19]
	s_or_b64 s[14:15], s[14:15], s[16:17]
	v_cndmask_b32_e64 v14, v37, v21, s[14:15]
	v_cndmask_b32_e64 v15, v27, v26, s[14:15]
	v_add_u32_e32 v38, 1, v14
	v_add_u32_e32 v15, -1, v15
	v_min_u32_e32 v15, v38, v15
	v_add_u32_e32 v15, v11, v15
	ds_read_u8 v39, v15
	v_cndmask_b32_e64 v21, v21, v38, s[14:15]
	v_lshl_add_u32 v15, v20, 3, v9
	v_cndmask_b32_e64 v20, v38, v37, s[14:15]
	v_cmp_lt_u32_e64 s[18:19], v21, v26
	s_waitcnt lgkmcnt(0)
	v_cndmask_b32_e64 v48, v39, v31, s[14:15]
	v_cndmask_b32_e64 v39, v36, v39, s[14:15]
	v_cmp_le_u16_sdwa s[24:25], v39, v48 src0_sel:BYTE_0 src1_sel:BYTE_0
	v_cmp_ge_u32_e64 s[16:17], v20, v27
	s_and_b64 s[18:19], s[18:19], s[24:25]
	s_or_b64 s[16:17], s[16:17], s[18:19]
	v_cndmask_b32_e64 v20, v20, v21, s[16:17]
	v_lshl_add_u32 v4, v4, 3, v9
	v_lshl_add_u32 v14, v14, 3, v9
	;; [unrolled: 1-line block ×3, first 2 shown]
	ds_read_b64 v[4:5], v4 offset:1024
	ds_read_b64 v[22:23], v15 offset:1024
	;; [unrolled: 1-line block ×4, first 2 shown]
	v_cndmask_b32_e64 v37, v29, v28, s[8:9]
	v_cndmask_b32_e64 v35, v34, v35, s[12:13]
	;; [unrolled: 1-line block ×4, first 2 shown]
.LBB1659_83:
	s_or_b64 exec, exec, s[22:23]
	; wave barrier
	ds_write_b8 v12, v37
	s_waitcnt lgkmcnt(4)
	ds_write_b64 v13, v[4:5]
	ds_write_b8 v16, v35
	s_waitcnt lgkmcnt(5)
	ds_write_b64 v17, v[22:23]
	;; [unrolled: 3-line block ×4, first 2 shown]
	v_and_b32_e32 v16, 0x1e0, v33
	v_or_b32_e32 v12, 16, v16
	v_min_u32_e32 v12, v10, v12
	v_add_u32_e32 v13, 16, v12
	v_min_u32_e32 v13, v10, v13
	v_min_u32_e32 v10, v10, v30
	v_sub_u32_e32 v17, v12, v16
	v_sub_u32_e32 v18, v13, v12
	v_sub_u32_e64 v18, v10, v18 clamp
	v_min_u32_e32 v17, v10, v17
	v_cmp_lt_u32_e64 s[8:9], v18, v17
	; wave barrier
	s_and_saveexec_b64 s[12:13], s[8:9]
	s_cbranch_execz .LBB1659_87
; %bb.84:
	v_add_co_u32_e64 v19, s[8:9], v11, v16
	v_add_co_u32_e64 v24, s[8:9], v11, v12
	s_mov_b64 s[14:15], 0
.LBB1659_85:                            ; =>This Inner Loop Header: Depth=1
	v_add_u32_e32 v25, v17, v18
	v_lshrrev_b32_e32 v25, 1, v25
	v_not_b32_e32 v26, v25
	v_add_u32_e32 v27, v19, v25
	v_add3_u32 v26, v10, v26, v24
	ds_read_u8 v27, v27
	ds_read_u8 v26, v26
	v_add_u32_e32 v28, 1, v25
	s_waitcnt lgkmcnt(0)
	v_cmp_gt_u16_e64 s[8:9], v27, v26
	v_cndmask_b32_e64 v17, v17, v25, s[8:9]
	v_cndmask_b32_e64 v18, v28, v18, s[8:9]
	v_cmp_ge_u32_e64 s[8:9], v18, v17
	s_or_b64 s[14:15], s[8:9], s[14:15]
	s_andn2_b64 exec, exec, s[14:15]
	s_cbranch_execnz .LBB1659_85
; %bb.86:
	s_or_b64 exec, exec, s[14:15]
.LBB1659_87:
	s_or_b64 exec, exec, s[12:13]
	v_add_u32_e32 v10, v12, v10
	v_add_u32_e32 v17, v18, v16
	v_sub_u32_e32 v18, v10, v18
	v_cmp_le_u32_e64 s[8:9], v17, v12
	v_cmp_le_u32_e64 s[12:13], v18, v13
	s_or_b64 s[8:9], s[8:9], s[12:13]
	s_and_saveexec_b64 s[22:23], s[8:9]
	s_cbranch_execz .LBB1659_93
; %bb.88:
	v_cmp_lt_u32_e64 s[8:9], v17, v12
                                        ; implicit-def: $vgpr10
	s_and_saveexec_b64 s[12:13], s[8:9]
; %bb.89:
	v_add_u32_e32 v4, v11, v17
	ds_read_u8 v10, v4
; %bb.90:
	s_or_b64 exec, exec, s[12:13]
	v_cmp_ge_u32_e64 s[12:13], v18, v13
	v_cmp_lt_u32_e64 s[14:15], v18, v13
                                        ; implicit-def: $vgpr16
	s_and_saveexec_b64 s[16:17], s[14:15]
; %bb.91:
	v_add_u32_e32 v4, v11, v18
	ds_read_u8 v16, v4
; %bb.92:
	s_or_b64 exec, exec, s[16:17]
	s_waitcnt lgkmcnt(0)
	v_cmp_le_u16_sdwa s[14:15], v10, v16 src0_sel:BYTE_0 src1_sel:BYTE_0
	s_and_b64 s[8:9], s[8:9], s[14:15]
	s_or_b64 s[8:9], s[12:13], s[8:9]
	v_cndmask_b32_e64 v4, v18, v17, s[8:9]
	v_cndmask_b32_e64 v5, v13, v12, s[8:9]
	v_add_u32_e32 v14, 1, v4
	v_add_u32_e32 v5, -1, v5
	v_min_u32_e32 v5, v14, v5
	v_add_u32_e32 v5, v11, v5
	ds_read_u8 v5, v5
	v_cndmask_b32_e64 v15, v14, v18, s[8:9]
	v_cndmask_b32_e64 v14, v17, v14, s[8:9]
	v_cmp_lt_u32_e64 s[14:15], v14, v12
	v_cmp_ge_u32_e64 s[12:13], v15, v13
	s_waitcnt lgkmcnt(0)
	v_cndmask_b32_e64 v18, v5, v16, s[8:9]
	v_cndmask_b32_e64 v19, v10, v5, s[8:9]
	v_cmp_le_u16_sdwa s[16:17], v19, v18 src0_sel:BYTE_0 src1_sel:BYTE_0
	s_and_b64 s[14:15], s[14:15], s[16:17]
	s_or_b64 s[12:13], s[12:13], s[14:15]
	v_cndmask_b32_e64 v17, v15, v14, s[12:13]
	v_cndmask_b32_e64 v5, v13, v12, s[12:13]
	v_add_u32_e32 v20, 1, v17
	v_add_u32_e32 v5, -1, v5
	v_min_u32_e32 v5, v20, v5
	v_add_u32_e32 v5, v11, v5
	ds_read_u8 v21, v5
	v_lshl_add_u32 v4, v4, 3, v9
	ds_read_b64 v[4:5], v4 offset:1024
	v_cndmask_b32_e64 v37, v16, v10, s[8:9]
	v_cndmask_b32_e64 v35, v18, v19, s[12:13]
	s_waitcnt lgkmcnt(1)
	v_cndmask_b32_e64 v24, v21, v18, s[12:13]
	v_cndmask_b32_e64 v25, v19, v21, s[12:13]
	;; [unrolled: 1-line block ×4, first 2 shown]
	v_cmp_lt_u32_e64 s[16:17], v20, v12
	v_cmp_le_u16_sdwa s[18:19], v25, v24 src0_sel:BYTE_0 src1_sel:BYTE_0
	v_cmp_ge_u32_e64 s[14:15], v21, v13
	s_and_b64 s[16:17], s[16:17], s[18:19]
	s_or_b64 s[14:15], s[14:15], s[16:17]
	v_cndmask_b32_e64 v14, v21, v20, s[14:15]
	v_cndmask_b32_e64 v15, v13, v12, s[14:15]
	v_add_u32_e32 v26, 1, v14
	v_add_u32_e32 v15, -1, v15
	v_min_u32_e32 v15, v26, v15
	v_add_u32_e32 v11, v11, v15
	ds_read_u8 v11, v11
	v_lshl_add_u32 v15, v17, 3, v9
	v_cndmask_b32_e64 v20, v20, v26, s[14:15]
	v_cndmask_b32_e64 v21, v26, v21, s[14:15]
	v_cmp_lt_u32_e64 s[18:19], v20, v12
	s_waitcnt lgkmcnt(0)
	v_cndmask_b32_e64 v17, v11, v24, s[14:15]
	v_cndmask_b32_e64 v11, v25, v11, s[14:15]
	v_cmp_le_u16_sdwa s[24:25], v11, v17 src0_sel:BYTE_0 src1_sel:BYTE_0
	v_cmp_ge_u32_e64 s[16:17], v21, v13
	s_and_b64 s[18:19], s[18:19], s[24:25]
	s_or_b64 s[16:17], s[16:17], s[18:19]
	v_cndmask_b32_e64 v12, v21, v20, s[16:17]
	v_lshl_add_u32 v14, v14, 3, v9
	v_lshl_add_u32 v9, v12, 3, v9
	ds_read_b64 v[22:23], v15 offset:1024
	ds_read_b64 v[14:15], v14 offset:1024
	;; [unrolled: 1-line block ×3, first 2 shown]
	v_cndmask_b32_e64 v34, v24, v25, s[14:15]
	v_cndmask_b32_e64 v36, v17, v11, s[16:17]
.LBB1659_93:
	s_or_b64 exec, exec, s[22:23]
	; wave barrier
	s_waitcnt lgkmcnt(0)
	s_barrier
.LBB1659_94:
	s_or_b64 exec, exec, s[20:21]
	v_add_co_u32_e64 v2, s[8:9], v2, v8
	v_addc_co_u32_e64 v3, s[8:9], 0, v3, s[8:9]
	v_add_co_u32_e64 v2, s[8:9], v2, v30
	v_addc_co_u32_e64 v3, s[8:9], 0, v3, s[8:9]
	; wave barrier
	s_and_saveexec_b64 s[8:9], vcc
	s_cbranch_execnz .LBB1659_104
; %bb.95:
	s_or_b64 exec, exec, s[8:9]
	s_and_saveexec_b64 s[8:9], s[4:5]
	s_cbranch_execnz .LBB1659_105
.LBB1659_96:
	s_or_b64 exec, exec, s[8:9]
	s_and_saveexec_b64 s[8:9], s[6:7]
	s_cbranch_execnz .LBB1659_106
.LBB1659_97:
	s_or_b64 exec, exec, s[8:9]
	s_and_saveexec_b64 s[8:9], s[10:11]
	s_cbranch_execz .LBB1659_99
.LBB1659_98:
	s_waitcnt vmcnt(0) lgkmcnt(0)
	flat_store_byte v[2:3], v36 offset:3
.LBB1659_99:
	s_or_b64 exec, exec, s[8:9]
	v_add_co_u32_e64 v0, s[8:9], v6, v0
	v_addc_co_u32_e64 v1, s[8:9], v7, v1, s[8:9]
	v_add_co_u32_e64 v0, s[8:9], v0, v32
	v_addc_co_u32_e64 v1, s[8:9], 0, v1, s[8:9]
	; wave barrier
	s_and_saveexec_b64 s[8:9], vcc
	s_cbranch_execnz .LBB1659_107
; %bb.100:
	s_or_b64 exec, exec, s[8:9]
	s_and_saveexec_b64 s[8:9], s[4:5]
	s_cbranch_execnz .LBB1659_108
.LBB1659_101:
	s_or_b64 exec, exec, s[8:9]
	s_and_saveexec_b64 s[4:5], s[6:7]
	s_cbranch_execnz .LBB1659_109
.LBB1659_102:
	s_or_b64 exec, exec, s[4:5]
	s_and_saveexec_b64 s[4:5], s[10:11]
	s_cbranch_execnz .LBB1659_110
.LBB1659_103:
	s_or_b64 exec, exec, s[4:5]
	s_waitcnt vmcnt(0) lgkmcnt(0)
	s_setpc_b64 s[30:31]
.LBB1659_104:
	s_waitcnt vmcnt(0) lgkmcnt(0)
	flat_store_byte v[2:3], v37
	s_or_b64 exec, exec, s[8:9]
	s_and_saveexec_b64 s[8:9], s[4:5]
	s_cbranch_execz .LBB1659_96
.LBB1659_105:
	s_waitcnt vmcnt(0) lgkmcnt(0)
	flat_store_byte v[2:3], v35 offset:1
	s_or_b64 exec, exec, s[8:9]
	s_and_saveexec_b64 s[8:9], s[6:7]
	s_cbranch_execz .LBB1659_97
.LBB1659_106:
	s_waitcnt vmcnt(0) lgkmcnt(0)
	flat_store_byte v[2:3], v34 offset:2
	s_or_b64 exec, exec, s[8:9]
	s_and_saveexec_b64 s[8:9], s[10:11]
	s_cbranch_execnz .LBB1659_98
	s_branch .LBB1659_99
.LBB1659_107:
	s_waitcnt vmcnt(0) lgkmcnt(0)
	flat_store_dwordx2 v[0:1], v[4:5]
	s_or_b64 exec, exec, s[8:9]
	s_and_saveexec_b64 s[8:9], s[4:5]
	s_cbranch_execz .LBB1659_101
.LBB1659_108:
	flat_store_dwordx2 v[0:1], v[22:23] offset:8
	s_or_b64 exec, exec, s[8:9]
	s_and_saveexec_b64 s[4:5], s[6:7]
	s_cbranch_execz .LBB1659_102
.LBB1659_109:
	flat_store_dwordx2 v[0:1], v[14:15] offset:16
	s_or_b64 exec, exec, s[4:5]
	s_and_saveexec_b64 s[4:5], s[10:11]
	s_cbranch_execz .LBB1659_103
.LBB1659_110:
	flat_store_dwordx2 v[0:1], v[20:21] offset:24
	s_or_b64 exec, exec, s[4:5]
	s_waitcnt vmcnt(0) lgkmcnt(0)
	s_setpc_b64 s[30:31]
.Lfunc_end1659:
	.size	_ZN7rocprim17ROCPRIM_400000_NS6detail26segmented_warp_sort_helperINS1_20WarpSortHelperConfigILj8ELj4ELj256EEEblLi256ELb0EvE4sortIPKbPbPKlPlEEvT_T0_T1_T2_jjjjRNS5_12storage_typeE, .Lfunc_end1659-_ZN7rocprim17ROCPRIM_400000_NS6detail26segmented_warp_sort_helperINS1_20WarpSortHelperConfigILj8ELj4ELj256EEEblLi256ELb0EvE4sortIPKbPbPKlPlEEvT_T0_T1_T2_jjjjRNS5_12storage_typeE
                                        ; -- End function
	.set .L_ZN7rocprim17ROCPRIM_400000_NS6detail26segmented_warp_sort_helperINS1_20WarpSortHelperConfigILj8ELj4ELj256EEEblLi256ELb0EvE4sortIPKbPbPKlPlEEvT_T0_T1_T2_jjjjRNS5_12storage_typeE.num_vgpr, 54
	.set .L_ZN7rocprim17ROCPRIM_400000_NS6detail26segmented_warp_sort_helperINS1_20WarpSortHelperConfigILj8ELj4ELj256EEEblLi256ELb0EvE4sortIPKbPbPKlPlEEvT_T0_T1_T2_jjjjRNS5_12storage_typeE.num_agpr, 0
	.set .L_ZN7rocprim17ROCPRIM_400000_NS6detail26segmented_warp_sort_helperINS1_20WarpSortHelperConfigILj8ELj4ELj256EEEblLi256ELb0EvE4sortIPKbPbPKlPlEEvT_T0_T1_T2_jjjjRNS5_12storage_typeE.numbered_sgpr, 33
	.set .L_ZN7rocprim17ROCPRIM_400000_NS6detail26segmented_warp_sort_helperINS1_20WarpSortHelperConfigILj8ELj4ELj256EEEblLi256ELb0EvE4sortIPKbPbPKlPlEEvT_T0_T1_T2_jjjjRNS5_12storage_typeE.num_named_barrier, 0
	.set .L_ZN7rocprim17ROCPRIM_400000_NS6detail26segmented_warp_sort_helperINS1_20WarpSortHelperConfigILj8ELj4ELj256EEEblLi256ELb0EvE4sortIPKbPbPKlPlEEvT_T0_T1_T2_jjjjRNS5_12storage_typeE.private_seg_size, 12
	.set .L_ZN7rocprim17ROCPRIM_400000_NS6detail26segmented_warp_sort_helperINS1_20WarpSortHelperConfigILj8ELj4ELj256EEEblLi256ELb0EvE4sortIPKbPbPKlPlEEvT_T0_T1_T2_jjjjRNS5_12storage_typeE.uses_vcc, 1
	.set .L_ZN7rocprim17ROCPRIM_400000_NS6detail26segmented_warp_sort_helperINS1_20WarpSortHelperConfigILj8ELj4ELj256EEEblLi256ELb0EvE4sortIPKbPbPKlPlEEvT_T0_T1_T2_jjjjRNS5_12storage_typeE.uses_flat_scratch, 0
	.set .L_ZN7rocprim17ROCPRIM_400000_NS6detail26segmented_warp_sort_helperINS1_20WarpSortHelperConfigILj8ELj4ELj256EEEblLi256ELb0EvE4sortIPKbPbPKlPlEEvT_T0_T1_T2_jjjjRNS5_12storage_typeE.has_dyn_sized_stack, 0
	.set .L_ZN7rocprim17ROCPRIM_400000_NS6detail26segmented_warp_sort_helperINS1_20WarpSortHelperConfigILj8ELj4ELj256EEEblLi256ELb0EvE4sortIPKbPbPKlPlEEvT_T0_T1_T2_jjjjRNS5_12storage_typeE.has_recursion, 0
	.set .L_ZN7rocprim17ROCPRIM_400000_NS6detail26segmented_warp_sort_helperINS1_20WarpSortHelperConfigILj8ELj4ELj256EEEblLi256ELb0EvE4sortIPKbPbPKlPlEEvT_T0_T1_T2_jjjjRNS5_12storage_typeE.has_indirect_call, 0
	.section	.AMDGPU.csdata,"",@progbits
; Function info:
; codeLenInByte = 7612
; TotalNumSgprs: 37
; NumVgprs: 54
; ScratchSize: 12
; MemoryBound: 1
	.section	.text._ZN7rocprim17ROCPRIM_400000_NS6detail17trampoline_kernelINS0_14default_configENS1_36segmented_radix_sort_config_selectorIblEEZNS1_25segmented_radix_sort_implIS3_Lb0EPKbPbPKlPlN2at6native12_GLOBAL__N_18offset_tEEE10hipError_tPvRmT1_PNSt15iterator_traitsISK_E10value_typeET2_T3_PNSL_ISQ_E10value_typeET4_jRbjT5_SW_jjP12ihipStream_tbEUlT_E1_NS1_11comp_targetILNS1_3genE2ELNS1_11target_archE906ELNS1_3gpuE6ELNS1_3repE0EEENS1_59segmented_radix_sort_warp_sort_small_config_static_selectorELNS0_4arch9wavefront6targetE1EEEvSK_,"axG",@progbits,_ZN7rocprim17ROCPRIM_400000_NS6detail17trampoline_kernelINS0_14default_configENS1_36segmented_radix_sort_config_selectorIblEEZNS1_25segmented_radix_sort_implIS3_Lb0EPKbPbPKlPlN2at6native12_GLOBAL__N_18offset_tEEE10hipError_tPvRmT1_PNSt15iterator_traitsISK_E10value_typeET2_T3_PNSL_ISQ_E10value_typeET4_jRbjT5_SW_jjP12ihipStream_tbEUlT_E1_NS1_11comp_targetILNS1_3genE2ELNS1_11target_archE906ELNS1_3gpuE6ELNS1_3repE0EEENS1_59segmented_radix_sort_warp_sort_small_config_static_selectorELNS0_4arch9wavefront6targetE1EEEvSK_,comdat
	.globl	_ZN7rocprim17ROCPRIM_400000_NS6detail17trampoline_kernelINS0_14default_configENS1_36segmented_radix_sort_config_selectorIblEEZNS1_25segmented_radix_sort_implIS3_Lb0EPKbPbPKlPlN2at6native12_GLOBAL__N_18offset_tEEE10hipError_tPvRmT1_PNSt15iterator_traitsISK_E10value_typeET2_T3_PNSL_ISQ_E10value_typeET4_jRbjT5_SW_jjP12ihipStream_tbEUlT_E1_NS1_11comp_targetILNS1_3genE2ELNS1_11target_archE906ELNS1_3gpuE6ELNS1_3repE0EEENS1_59segmented_radix_sort_warp_sort_small_config_static_selectorELNS0_4arch9wavefront6targetE1EEEvSK_ ; -- Begin function _ZN7rocprim17ROCPRIM_400000_NS6detail17trampoline_kernelINS0_14default_configENS1_36segmented_radix_sort_config_selectorIblEEZNS1_25segmented_radix_sort_implIS3_Lb0EPKbPbPKlPlN2at6native12_GLOBAL__N_18offset_tEEE10hipError_tPvRmT1_PNSt15iterator_traitsISK_E10value_typeET2_T3_PNSL_ISQ_E10value_typeET4_jRbjT5_SW_jjP12ihipStream_tbEUlT_E1_NS1_11comp_targetILNS1_3genE2ELNS1_11target_archE906ELNS1_3gpuE6ELNS1_3repE0EEENS1_59segmented_radix_sort_warp_sort_small_config_static_selectorELNS0_4arch9wavefront6targetE1EEEvSK_
	.p2align	8
	.type	_ZN7rocprim17ROCPRIM_400000_NS6detail17trampoline_kernelINS0_14default_configENS1_36segmented_radix_sort_config_selectorIblEEZNS1_25segmented_radix_sort_implIS3_Lb0EPKbPbPKlPlN2at6native12_GLOBAL__N_18offset_tEEE10hipError_tPvRmT1_PNSt15iterator_traitsISK_E10value_typeET2_T3_PNSL_ISQ_E10value_typeET4_jRbjT5_SW_jjP12ihipStream_tbEUlT_E1_NS1_11comp_targetILNS1_3genE2ELNS1_11target_archE906ELNS1_3gpuE6ELNS1_3repE0EEENS1_59segmented_radix_sort_warp_sort_small_config_static_selectorELNS0_4arch9wavefront6targetE1EEEvSK_,@function
_ZN7rocprim17ROCPRIM_400000_NS6detail17trampoline_kernelINS0_14default_configENS1_36segmented_radix_sort_config_selectorIblEEZNS1_25segmented_radix_sort_implIS3_Lb0EPKbPbPKlPlN2at6native12_GLOBAL__N_18offset_tEEE10hipError_tPvRmT1_PNSt15iterator_traitsISK_E10value_typeET2_T3_PNSL_ISQ_E10value_typeET4_jRbjT5_SW_jjP12ihipStream_tbEUlT_E1_NS1_11comp_targetILNS1_3genE2ELNS1_11target_archE906ELNS1_3gpuE6ELNS1_3repE0EEENS1_59segmented_radix_sort_warp_sort_small_config_static_selectorELNS0_4arch9wavefront6targetE1EEEvSK_: ; @_ZN7rocprim17ROCPRIM_400000_NS6detail17trampoline_kernelINS0_14default_configENS1_36segmented_radix_sort_config_selectorIblEEZNS1_25segmented_radix_sort_implIS3_Lb0EPKbPbPKlPlN2at6native12_GLOBAL__N_18offset_tEEE10hipError_tPvRmT1_PNSt15iterator_traitsISK_E10value_typeET2_T3_PNSL_ISQ_E10value_typeET4_jRbjT5_SW_jjP12ihipStream_tbEUlT_E1_NS1_11comp_targetILNS1_3genE2ELNS1_11target_archE906ELNS1_3gpuE6ELNS1_3repE0EEENS1_59segmented_radix_sort_warp_sort_small_config_static_selectorELNS0_4arch9wavefront6targetE1EEEvSK_
; %bb.0:
	s_add_u32 s0, s0, s8
	s_load_dword s8, s[4:5], 0x64
	s_addc_u32 s1, s1, 0
	s_mov_b32 s32, 0
	s_waitcnt lgkmcnt(0)
	s_lshr_b32 s9, s8, 16
	s_and_b32 s8, s8, 0xffff
	v_mad_u32_u24 v3, v2, s9, v1
	v_mad_u64_u32 v[3:4], s[8:9], v3, s8, v[0:1]
	s_load_dword s8, s[4:5], 0x34
	v_lshrrev_b32_e32 v3, 3, v3
	v_lshl_add_u32 v3, s6, 5, v3
	s_waitcnt lgkmcnt(0)
	v_cmp_gt_u32_e32 vcc, s8, v3
	s_and_saveexec_b64 s[8:9], vcc
	s_cbranch_execz .LBB1660_6
; %bb.1:
	s_load_dwordx2 s[12:13], s[4:5], 0x38
	s_load_dwordx4 s[8:11], s[4:5], 0x40
	v_mov_b32_e32 v4, 0
	v_lshlrev_b64 v[3:4], 2, v[3:4]
	s_waitcnt lgkmcnt(0)
	v_mov_b32_e32 v5, s13
	v_sub_co_u32_e32 v3, vcc, s12, v3
	v_subb_co_u32_e32 v4, vcc, v5, v4, vcc
	global_load_dword v3, v[3:4], off offset:-4
	s_waitcnt vmcnt(0)
	v_add_u32_e32 v4, s9, v3
	v_add_u32_e32 v3, s11, v3
	v_mul_lo_u32 v8, v4, s8
	v_mul_lo_u32 v40, v3, s10
	v_cmp_gt_u32_e32 vcc, v40, v8
	s_and_b64 exec, exec, vcc
	s_cbranch_execz .LBB1660_6
; %bb.2:
	s_load_dword s10, s[4:5], 0x30
	s_load_dwordx4 s[44:47], s[4:5], 0x20
	s_load_dwordx8 s[36:43], s[4:5], 0x0
	s_load_dwordx2 s[34:35], s[4:5], 0x50
	s_mov_b64 s[8:9], -1
	s_waitcnt lgkmcnt(0)
	s_bitcmp0_b32 s10, 0
	v_lshlrev_b32_e32 v42, 20, v2
	v_lshlrev_b32_e32 v43, 10, v1
	s_cbranch_scc0 .LBB1660_4
; %bb.3:
	s_add_u32 s8, s4, 0x58
	s_mov_b64 s[10:11], src_shared_base
	s_addc_u32 s9, s5, 0
	s_getpc_b64 s[14:15]
	s_add_u32 s14, s14, _ZN7rocprim17ROCPRIM_400000_NS6detail26segmented_warp_sort_helperINS1_20WarpSortHelperConfigILj8ELj4ELj256EEEblLi256ELb0EvE4sortIPKbPbPKlPlEEvT_T0_T1_T2_jjjjRNS5_12storage_typeE@rel32@lo+4
	s_addc_u32 s15, s15, _ZN7rocprim17ROCPRIM_400000_NS6detail26segmented_warp_sort_helperINS1_20WarpSortHelperConfigILj8ELj4ELj256EEEblLi256ELb0EvE4sortIPKbPbPKlPlEEvT_T0_T1_T2_jjjjRNS5_12storage_typeE@rel32@hi+12
	v_or3_b32 v31, v0, v43, v42
	s_mov_b32 s12, s6
	s_mov_b32 s13, s7
	v_mov_b32_e32 v41, v0
	v_mov_b32_e32 v0, s36
	;; [unrolled: 1-line block ×14, first 2 shown]
	s_mov_b64 s[38:39], s[4:5]
	s_mov_b32 s44, s7
	s_mov_b32 s33, s6
	s_swappc_b64 s[30:31], s[14:15]
	v_mov_b32_e32 v0, v41
	s_mov_b32 s6, s33
	s_mov_b32 s7, s44
	s_mov_b64 s[4:5], s[38:39]
	s_mov_b64 s[8:9], 0
.LBB1660_4:
	s_andn2_b64 vcc, exec, s[8:9]
	s_cbranch_vccnz .LBB1660_6
; %bb.5:
	s_add_u32 s8, s4, 0x58
	s_mov_b64 s[10:11], src_shared_base
	s_addc_u32 s9, s5, 0
	s_getpc_b64 s[4:5]
	s_add_u32 s4, s4, _ZN7rocprim17ROCPRIM_400000_NS6detail26segmented_warp_sort_helperINS1_20WarpSortHelperConfigILj8ELj4ELj256EEEblLi256ELb0EvE4sortIPKbPbPKlPlEEvT_T0_T1_T2_jjjjRNS5_12storage_typeE@rel32@lo+4
	s_addc_u32 s5, s5, _ZN7rocprim17ROCPRIM_400000_NS6detail26segmented_warp_sort_helperINS1_20WarpSortHelperConfigILj8ELj4ELj256EEEblLi256ELb0EvE4sortIPKbPbPKlPlEEvT_T0_T1_T2_jjjjRNS5_12storage_typeE@rel32@hi+12
	v_or3_b32 v31, v0, v43, v42
	s_mov_b32 s12, s6
	s_mov_b32 s13, s7
	v_mov_b32_e32 v0, s36
	v_mov_b32_e32 v1, s37
	;; [unrolled: 1-line block ×13, first 2 shown]
	s_swappc_b64 s[30:31], s[4:5]
.LBB1660_6:
	s_endpgm
	.section	.rodata,"a",@progbits
	.p2align	6, 0x0
	.amdhsa_kernel _ZN7rocprim17ROCPRIM_400000_NS6detail17trampoline_kernelINS0_14default_configENS1_36segmented_radix_sort_config_selectorIblEEZNS1_25segmented_radix_sort_implIS3_Lb0EPKbPbPKlPlN2at6native12_GLOBAL__N_18offset_tEEE10hipError_tPvRmT1_PNSt15iterator_traitsISK_E10value_typeET2_T3_PNSL_ISQ_E10value_typeET4_jRbjT5_SW_jjP12ihipStream_tbEUlT_E1_NS1_11comp_targetILNS1_3genE2ELNS1_11target_archE906ELNS1_3gpuE6ELNS1_3repE0EEENS1_59segmented_radix_sort_warp_sort_small_config_static_selectorELNS0_4arch9wavefront6targetE1EEEvSK_
		.amdhsa_group_segment_fixed_size 9216
		.amdhsa_private_segment_fixed_size 12
		.amdhsa_kernarg_size 344
		.amdhsa_user_sgpr_count 6
		.amdhsa_user_sgpr_private_segment_buffer 1
		.amdhsa_user_sgpr_dispatch_ptr 0
		.amdhsa_user_sgpr_queue_ptr 0
		.amdhsa_user_sgpr_kernarg_segment_ptr 1
		.amdhsa_user_sgpr_dispatch_id 0
		.amdhsa_user_sgpr_flat_scratch_init 0
		.amdhsa_user_sgpr_private_segment_size 0
		.amdhsa_uses_dynamic_stack 0
		.amdhsa_system_sgpr_private_segment_wavefront_offset 1
		.amdhsa_system_sgpr_workgroup_id_x 1
		.amdhsa_system_sgpr_workgroup_id_y 1
		.amdhsa_system_sgpr_workgroup_id_z 0
		.amdhsa_system_sgpr_workgroup_info 0
		.amdhsa_system_vgpr_workitem_id 2
		.amdhsa_next_free_vgpr 54
		.amdhsa_next_free_sgpr 77
		.amdhsa_reserve_vcc 1
		.amdhsa_reserve_flat_scratch 0
		.amdhsa_float_round_mode_32 0
		.amdhsa_float_round_mode_16_64 0
		.amdhsa_float_denorm_mode_32 3
		.amdhsa_float_denorm_mode_16_64 3
		.amdhsa_dx10_clamp 1
		.amdhsa_ieee_mode 1
		.amdhsa_fp16_overflow 0
		.amdhsa_exception_fp_ieee_invalid_op 0
		.amdhsa_exception_fp_denorm_src 0
		.amdhsa_exception_fp_ieee_div_zero 0
		.amdhsa_exception_fp_ieee_overflow 0
		.amdhsa_exception_fp_ieee_underflow 0
		.amdhsa_exception_fp_ieee_inexact 0
		.amdhsa_exception_int_div_zero 0
	.end_amdhsa_kernel
	.section	.text._ZN7rocprim17ROCPRIM_400000_NS6detail17trampoline_kernelINS0_14default_configENS1_36segmented_radix_sort_config_selectorIblEEZNS1_25segmented_radix_sort_implIS3_Lb0EPKbPbPKlPlN2at6native12_GLOBAL__N_18offset_tEEE10hipError_tPvRmT1_PNSt15iterator_traitsISK_E10value_typeET2_T3_PNSL_ISQ_E10value_typeET4_jRbjT5_SW_jjP12ihipStream_tbEUlT_E1_NS1_11comp_targetILNS1_3genE2ELNS1_11target_archE906ELNS1_3gpuE6ELNS1_3repE0EEENS1_59segmented_radix_sort_warp_sort_small_config_static_selectorELNS0_4arch9wavefront6targetE1EEEvSK_,"axG",@progbits,_ZN7rocprim17ROCPRIM_400000_NS6detail17trampoline_kernelINS0_14default_configENS1_36segmented_radix_sort_config_selectorIblEEZNS1_25segmented_radix_sort_implIS3_Lb0EPKbPbPKlPlN2at6native12_GLOBAL__N_18offset_tEEE10hipError_tPvRmT1_PNSt15iterator_traitsISK_E10value_typeET2_T3_PNSL_ISQ_E10value_typeET4_jRbjT5_SW_jjP12ihipStream_tbEUlT_E1_NS1_11comp_targetILNS1_3genE2ELNS1_11target_archE906ELNS1_3gpuE6ELNS1_3repE0EEENS1_59segmented_radix_sort_warp_sort_small_config_static_selectorELNS0_4arch9wavefront6targetE1EEEvSK_,comdat
.Lfunc_end1660:
	.size	_ZN7rocprim17ROCPRIM_400000_NS6detail17trampoline_kernelINS0_14default_configENS1_36segmented_radix_sort_config_selectorIblEEZNS1_25segmented_radix_sort_implIS3_Lb0EPKbPbPKlPlN2at6native12_GLOBAL__N_18offset_tEEE10hipError_tPvRmT1_PNSt15iterator_traitsISK_E10value_typeET2_T3_PNSL_ISQ_E10value_typeET4_jRbjT5_SW_jjP12ihipStream_tbEUlT_E1_NS1_11comp_targetILNS1_3genE2ELNS1_11target_archE906ELNS1_3gpuE6ELNS1_3repE0EEENS1_59segmented_radix_sort_warp_sort_small_config_static_selectorELNS0_4arch9wavefront6targetE1EEEvSK_, .Lfunc_end1660-_ZN7rocprim17ROCPRIM_400000_NS6detail17trampoline_kernelINS0_14default_configENS1_36segmented_radix_sort_config_selectorIblEEZNS1_25segmented_radix_sort_implIS3_Lb0EPKbPbPKlPlN2at6native12_GLOBAL__N_18offset_tEEE10hipError_tPvRmT1_PNSt15iterator_traitsISK_E10value_typeET2_T3_PNSL_ISQ_E10value_typeET4_jRbjT5_SW_jjP12ihipStream_tbEUlT_E1_NS1_11comp_targetILNS1_3genE2ELNS1_11target_archE906ELNS1_3gpuE6ELNS1_3repE0EEENS1_59segmented_radix_sort_warp_sort_small_config_static_selectorELNS0_4arch9wavefront6targetE1EEEvSK_
                                        ; -- End function
	.set _ZN7rocprim17ROCPRIM_400000_NS6detail17trampoline_kernelINS0_14default_configENS1_36segmented_radix_sort_config_selectorIblEEZNS1_25segmented_radix_sort_implIS3_Lb0EPKbPbPKlPlN2at6native12_GLOBAL__N_18offset_tEEE10hipError_tPvRmT1_PNSt15iterator_traitsISK_E10value_typeET2_T3_PNSL_ISQ_E10value_typeET4_jRbjT5_SW_jjP12ihipStream_tbEUlT_E1_NS1_11comp_targetILNS1_3genE2ELNS1_11target_archE906ELNS1_3gpuE6ELNS1_3repE0EEENS1_59segmented_radix_sort_warp_sort_small_config_static_selectorELNS0_4arch9wavefront6targetE1EEEvSK_.num_vgpr, max(44, .L_ZN7rocprim17ROCPRIM_400000_NS6detail26segmented_warp_sort_helperINS1_20WarpSortHelperConfigILj8ELj4ELj256EEEblLi256ELb0EvE4sortIPKbPbPKlPlEEvT_T0_T1_T2_jjjjRNS5_12storage_typeE.num_vgpr)
	.set _ZN7rocprim17ROCPRIM_400000_NS6detail17trampoline_kernelINS0_14default_configENS1_36segmented_radix_sort_config_selectorIblEEZNS1_25segmented_radix_sort_implIS3_Lb0EPKbPbPKlPlN2at6native12_GLOBAL__N_18offset_tEEE10hipError_tPvRmT1_PNSt15iterator_traitsISK_E10value_typeET2_T3_PNSL_ISQ_E10value_typeET4_jRbjT5_SW_jjP12ihipStream_tbEUlT_E1_NS1_11comp_targetILNS1_3genE2ELNS1_11target_archE906ELNS1_3gpuE6ELNS1_3repE0EEENS1_59segmented_radix_sort_warp_sort_small_config_static_selectorELNS0_4arch9wavefront6targetE1EEEvSK_.num_agpr, max(0, .L_ZN7rocprim17ROCPRIM_400000_NS6detail26segmented_warp_sort_helperINS1_20WarpSortHelperConfigILj8ELj4ELj256EEEblLi256ELb0EvE4sortIPKbPbPKlPlEEvT_T0_T1_T2_jjjjRNS5_12storage_typeE.num_agpr)
	.set _ZN7rocprim17ROCPRIM_400000_NS6detail17trampoline_kernelINS0_14default_configENS1_36segmented_radix_sort_config_selectorIblEEZNS1_25segmented_radix_sort_implIS3_Lb0EPKbPbPKlPlN2at6native12_GLOBAL__N_18offset_tEEE10hipError_tPvRmT1_PNSt15iterator_traitsISK_E10value_typeET2_T3_PNSL_ISQ_E10value_typeET4_jRbjT5_SW_jjP12ihipStream_tbEUlT_E1_NS1_11comp_targetILNS1_3genE2ELNS1_11target_archE906ELNS1_3gpuE6ELNS1_3repE0EEENS1_59segmented_radix_sort_warp_sort_small_config_static_selectorELNS0_4arch9wavefront6targetE1EEEvSK_.numbered_sgpr, max(48, .L_ZN7rocprim17ROCPRIM_400000_NS6detail26segmented_warp_sort_helperINS1_20WarpSortHelperConfigILj8ELj4ELj256EEEblLi256ELb0EvE4sortIPKbPbPKlPlEEvT_T0_T1_T2_jjjjRNS5_12storage_typeE.numbered_sgpr)
	.set _ZN7rocprim17ROCPRIM_400000_NS6detail17trampoline_kernelINS0_14default_configENS1_36segmented_radix_sort_config_selectorIblEEZNS1_25segmented_radix_sort_implIS3_Lb0EPKbPbPKlPlN2at6native12_GLOBAL__N_18offset_tEEE10hipError_tPvRmT1_PNSt15iterator_traitsISK_E10value_typeET2_T3_PNSL_ISQ_E10value_typeET4_jRbjT5_SW_jjP12ihipStream_tbEUlT_E1_NS1_11comp_targetILNS1_3genE2ELNS1_11target_archE906ELNS1_3gpuE6ELNS1_3repE0EEENS1_59segmented_radix_sort_warp_sort_small_config_static_selectorELNS0_4arch9wavefront6targetE1EEEvSK_.num_named_barrier, max(0, .L_ZN7rocprim17ROCPRIM_400000_NS6detail26segmented_warp_sort_helperINS1_20WarpSortHelperConfigILj8ELj4ELj256EEEblLi256ELb0EvE4sortIPKbPbPKlPlEEvT_T0_T1_T2_jjjjRNS5_12storage_typeE.num_named_barrier)
	.set _ZN7rocprim17ROCPRIM_400000_NS6detail17trampoline_kernelINS0_14default_configENS1_36segmented_radix_sort_config_selectorIblEEZNS1_25segmented_radix_sort_implIS3_Lb0EPKbPbPKlPlN2at6native12_GLOBAL__N_18offset_tEEE10hipError_tPvRmT1_PNSt15iterator_traitsISK_E10value_typeET2_T3_PNSL_ISQ_E10value_typeET4_jRbjT5_SW_jjP12ihipStream_tbEUlT_E1_NS1_11comp_targetILNS1_3genE2ELNS1_11target_archE906ELNS1_3gpuE6ELNS1_3repE0EEENS1_59segmented_radix_sort_warp_sort_small_config_static_selectorELNS0_4arch9wavefront6targetE1EEEvSK_.private_seg_size, 0+max(.L_ZN7rocprim17ROCPRIM_400000_NS6detail26segmented_warp_sort_helperINS1_20WarpSortHelperConfigILj8ELj4ELj256EEEblLi256ELb0EvE4sortIPKbPbPKlPlEEvT_T0_T1_T2_jjjjRNS5_12storage_typeE.private_seg_size)
	.set _ZN7rocprim17ROCPRIM_400000_NS6detail17trampoline_kernelINS0_14default_configENS1_36segmented_radix_sort_config_selectorIblEEZNS1_25segmented_radix_sort_implIS3_Lb0EPKbPbPKlPlN2at6native12_GLOBAL__N_18offset_tEEE10hipError_tPvRmT1_PNSt15iterator_traitsISK_E10value_typeET2_T3_PNSL_ISQ_E10value_typeET4_jRbjT5_SW_jjP12ihipStream_tbEUlT_E1_NS1_11comp_targetILNS1_3genE2ELNS1_11target_archE906ELNS1_3gpuE6ELNS1_3repE0EEENS1_59segmented_radix_sort_warp_sort_small_config_static_selectorELNS0_4arch9wavefront6targetE1EEEvSK_.uses_vcc, or(1, .L_ZN7rocprim17ROCPRIM_400000_NS6detail26segmented_warp_sort_helperINS1_20WarpSortHelperConfigILj8ELj4ELj256EEEblLi256ELb0EvE4sortIPKbPbPKlPlEEvT_T0_T1_T2_jjjjRNS5_12storage_typeE.uses_vcc)
	.set _ZN7rocprim17ROCPRIM_400000_NS6detail17trampoline_kernelINS0_14default_configENS1_36segmented_radix_sort_config_selectorIblEEZNS1_25segmented_radix_sort_implIS3_Lb0EPKbPbPKlPlN2at6native12_GLOBAL__N_18offset_tEEE10hipError_tPvRmT1_PNSt15iterator_traitsISK_E10value_typeET2_T3_PNSL_ISQ_E10value_typeET4_jRbjT5_SW_jjP12ihipStream_tbEUlT_E1_NS1_11comp_targetILNS1_3genE2ELNS1_11target_archE906ELNS1_3gpuE6ELNS1_3repE0EEENS1_59segmented_radix_sort_warp_sort_small_config_static_selectorELNS0_4arch9wavefront6targetE1EEEvSK_.uses_flat_scratch, or(0, .L_ZN7rocprim17ROCPRIM_400000_NS6detail26segmented_warp_sort_helperINS1_20WarpSortHelperConfigILj8ELj4ELj256EEEblLi256ELb0EvE4sortIPKbPbPKlPlEEvT_T0_T1_T2_jjjjRNS5_12storage_typeE.uses_flat_scratch)
	.set _ZN7rocprim17ROCPRIM_400000_NS6detail17trampoline_kernelINS0_14default_configENS1_36segmented_radix_sort_config_selectorIblEEZNS1_25segmented_radix_sort_implIS3_Lb0EPKbPbPKlPlN2at6native12_GLOBAL__N_18offset_tEEE10hipError_tPvRmT1_PNSt15iterator_traitsISK_E10value_typeET2_T3_PNSL_ISQ_E10value_typeET4_jRbjT5_SW_jjP12ihipStream_tbEUlT_E1_NS1_11comp_targetILNS1_3genE2ELNS1_11target_archE906ELNS1_3gpuE6ELNS1_3repE0EEENS1_59segmented_radix_sort_warp_sort_small_config_static_selectorELNS0_4arch9wavefront6targetE1EEEvSK_.has_dyn_sized_stack, or(0, .L_ZN7rocprim17ROCPRIM_400000_NS6detail26segmented_warp_sort_helperINS1_20WarpSortHelperConfigILj8ELj4ELj256EEEblLi256ELb0EvE4sortIPKbPbPKlPlEEvT_T0_T1_T2_jjjjRNS5_12storage_typeE.has_dyn_sized_stack)
	.set _ZN7rocprim17ROCPRIM_400000_NS6detail17trampoline_kernelINS0_14default_configENS1_36segmented_radix_sort_config_selectorIblEEZNS1_25segmented_radix_sort_implIS3_Lb0EPKbPbPKlPlN2at6native12_GLOBAL__N_18offset_tEEE10hipError_tPvRmT1_PNSt15iterator_traitsISK_E10value_typeET2_T3_PNSL_ISQ_E10value_typeET4_jRbjT5_SW_jjP12ihipStream_tbEUlT_E1_NS1_11comp_targetILNS1_3genE2ELNS1_11target_archE906ELNS1_3gpuE6ELNS1_3repE0EEENS1_59segmented_radix_sort_warp_sort_small_config_static_selectorELNS0_4arch9wavefront6targetE1EEEvSK_.has_recursion, or(0, .L_ZN7rocprim17ROCPRIM_400000_NS6detail26segmented_warp_sort_helperINS1_20WarpSortHelperConfigILj8ELj4ELj256EEEblLi256ELb0EvE4sortIPKbPbPKlPlEEvT_T0_T1_T2_jjjjRNS5_12storage_typeE.has_recursion)
	.set _ZN7rocprim17ROCPRIM_400000_NS6detail17trampoline_kernelINS0_14default_configENS1_36segmented_radix_sort_config_selectorIblEEZNS1_25segmented_radix_sort_implIS3_Lb0EPKbPbPKlPlN2at6native12_GLOBAL__N_18offset_tEEE10hipError_tPvRmT1_PNSt15iterator_traitsISK_E10value_typeET2_T3_PNSL_ISQ_E10value_typeET4_jRbjT5_SW_jjP12ihipStream_tbEUlT_E1_NS1_11comp_targetILNS1_3genE2ELNS1_11target_archE906ELNS1_3gpuE6ELNS1_3repE0EEENS1_59segmented_radix_sort_warp_sort_small_config_static_selectorELNS0_4arch9wavefront6targetE1EEEvSK_.has_indirect_call, or(0, .L_ZN7rocprim17ROCPRIM_400000_NS6detail26segmented_warp_sort_helperINS1_20WarpSortHelperConfigILj8ELj4ELj256EEEblLi256ELb0EvE4sortIPKbPbPKlPlEEvT_T0_T1_T2_jjjjRNS5_12storage_typeE.has_indirect_call)
	.section	.AMDGPU.csdata,"",@progbits
; Kernel info:
; codeLenInByte = 500
; TotalNumSgprs: 52
; NumVgprs: 54
; ScratchSize: 12
; MemoryBound: 0
; FloatMode: 240
; IeeeMode: 1
; LDSByteSize: 9216 bytes/workgroup (compile time only)
; SGPRBlocks: 10
; VGPRBlocks: 13
; NumSGPRsForWavesPerEU: 81
; NumVGPRsForWavesPerEU: 54
; Occupancy: 4
; WaveLimiterHint : 0
; COMPUTE_PGM_RSRC2:SCRATCH_EN: 1
; COMPUTE_PGM_RSRC2:USER_SGPR: 6
; COMPUTE_PGM_RSRC2:TRAP_HANDLER: 0
; COMPUTE_PGM_RSRC2:TGID_X_EN: 1
; COMPUTE_PGM_RSRC2:TGID_Y_EN: 1
; COMPUTE_PGM_RSRC2:TGID_Z_EN: 0
; COMPUTE_PGM_RSRC2:TIDIG_COMP_CNT: 2
	.section	.text._ZN7rocprim17ROCPRIM_400000_NS6detail17trampoline_kernelINS0_14default_configENS1_36segmented_radix_sort_config_selectorIblEEZNS1_25segmented_radix_sort_implIS3_Lb0EPKbPbPKlPlN2at6native12_GLOBAL__N_18offset_tEEE10hipError_tPvRmT1_PNSt15iterator_traitsISK_E10value_typeET2_T3_PNSL_ISQ_E10value_typeET4_jRbjT5_SW_jjP12ihipStream_tbEUlT_E1_NS1_11comp_targetILNS1_3genE10ELNS1_11target_archE1201ELNS1_3gpuE5ELNS1_3repE0EEENS1_59segmented_radix_sort_warp_sort_small_config_static_selectorELNS0_4arch9wavefront6targetE1EEEvSK_,"axG",@progbits,_ZN7rocprim17ROCPRIM_400000_NS6detail17trampoline_kernelINS0_14default_configENS1_36segmented_radix_sort_config_selectorIblEEZNS1_25segmented_radix_sort_implIS3_Lb0EPKbPbPKlPlN2at6native12_GLOBAL__N_18offset_tEEE10hipError_tPvRmT1_PNSt15iterator_traitsISK_E10value_typeET2_T3_PNSL_ISQ_E10value_typeET4_jRbjT5_SW_jjP12ihipStream_tbEUlT_E1_NS1_11comp_targetILNS1_3genE10ELNS1_11target_archE1201ELNS1_3gpuE5ELNS1_3repE0EEENS1_59segmented_radix_sort_warp_sort_small_config_static_selectorELNS0_4arch9wavefront6targetE1EEEvSK_,comdat
	.globl	_ZN7rocprim17ROCPRIM_400000_NS6detail17trampoline_kernelINS0_14default_configENS1_36segmented_radix_sort_config_selectorIblEEZNS1_25segmented_radix_sort_implIS3_Lb0EPKbPbPKlPlN2at6native12_GLOBAL__N_18offset_tEEE10hipError_tPvRmT1_PNSt15iterator_traitsISK_E10value_typeET2_T3_PNSL_ISQ_E10value_typeET4_jRbjT5_SW_jjP12ihipStream_tbEUlT_E1_NS1_11comp_targetILNS1_3genE10ELNS1_11target_archE1201ELNS1_3gpuE5ELNS1_3repE0EEENS1_59segmented_radix_sort_warp_sort_small_config_static_selectorELNS0_4arch9wavefront6targetE1EEEvSK_ ; -- Begin function _ZN7rocprim17ROCPRIM_400000_NS6detail17trampoline_kernelINS0_14default_configENS1_36segmented_radix_sort_config_selectorIblEEZNS1_25segmented_radix_sort_implIS3_Lb0EPKbPbPKlPlN2at6native12_GLOBAL__N_18offset_tEEE10hipError_tPvRmT1_PNSt15iterator_traitsISK_E10value_typeET2_T3_PNSL_ISQ_E10value_typeET4_jRbjT5_SW_jjP12ihipStream_tbEUlT_E1_NS1_11comp_targetILNS1_3genE10ELNS1_11target_archE1201ELNS1_3gpuE5ELNS1_3repE0EEENS1_59segmented_radix_sort_warp_sort_small_config_static_selectorELNS0_4arch9wavefront6targetE1EEEvSK_
	.p2align	8
	.type	_ZN7rocprim17ROCPRIM_400000_NS6detail17trampoline_kernelINS0_14default_configENS1_36segmented_radix_sort_config_selectorIblEEZNS1_25segmented_radix_sort_implIS3_Lb0EPKbPbPKlPlN2at6native12_GLOBAL__N_18offset_tEEE10hipError_tPvRmT1_PNSt15iterator_traitsISK_E10value_typeET2_T3_PNSL_ISQ_E10value_typeET4_jRbjT5_SW_jjP12ihipStream_tbEUlT_E1_NS1_11comp_targetILNS1_3genE10ELNS1_11target_archE1201ELNS1_3gpuE5ELNS1_3repE0EEENS1_59segmented_radix_sort_warp_sort_small_config_static_selectorELNS0_4arch9wavefront6targetE1EEEvSK_,@function
_ZN7rocprim17ROCPRIM_400000_NS6detail17trampoline_kernelINS0_14default_configENS1_36segmented_radix_sort_config_selectorIblEEZNS1_25segmented_radix_sort_implIS3_Lb0EPKbPbPKlPlN2at6native12_GLOBAL__N_18offset_tEEE10hipError_tPvRmT1_PNSt15iterator_traitsISK_E10value_typeET2_T3_PNSL_ISQ_E10value_typeET4_jRbjT5_SW_jjP12ihipStream_tbEUlT_E1_NS1_11comp_targetILNS1_3genE10ELNS1_11target_archE1201ELNS1_3gpuE5ELNS1_3repE0EEENS1_59segmented_radix_sort_warp_sort_small_config_static_selectorELNS0_4arch9wavefront6targetE1EEEvSK_: ; @_ZN7rocprim17ROCPRIM_400000_NS6detail17trampoline_kernelINS0_14default_configENS1_36segmented_radix_sort_config_selectorIblEEZNS1_25segmented_radix_sort_implIS3_Lb0EPKbPbPKlPlN2at6native12_GLOBAL__N_18offset_tEEE10hipError_tPvRmT1_PNSt15iterator_traitsISK_E10value_typeET2_T3_PNSL_ISQ_E10value_typeET4_jRbjT5_SW_jjP12ihipStream_tbEUlT_E1_NS1_11comp_targetILNS1_3genE10ELNS1_11target_archE1201ELNS1_3gpuE5ELNS1_3repE0EEENS1_59segmented_radix_sort_warp_sort_small_config_static_selectorELNS0_4arch9wavefront6targetE1EEEvSK_
; %bb.0:
	.section	.rodata,"a",@progbits
	.p2align	6, 0x0
	.amdhsa_kernel _ZN7rocprim17ROCPRIM_400000_NS6detail17trampoline_kernelINS0_14default_configENS1_36segmented_radix_sort_config_selectorIblEEZNS1_25segmented_radix_sort_implIS3_Lb0EPKbPbPKlPlN2at6native12_GLOBAL__N_18offset_tEEE10hipError_tPvRmT1_PNSt15iterator_traitsISK_E10value_typeET2_T3_PNSL_ISQ_E10value_typeET4_jRbjT5_SW_jjP12ihipStream_tbEUlT_E1_NS1_11comp_targetILNS1_3genE10ELNS1_11target_archE1201ELNS1_3gpuE5ELNS1_3repE0EEENS1_59segmented_radix_sort_warp_sort_small_config_static_selectorELNS0_4arch9wavefront6targetE1EEEvSK_
		.amdhsa_group_segment_fixed_size 0
		.amdhsa_private_segment_fixed_size 0
		.amdhsa_kernarg_size 88
		.amdhsa_user_sgpr_count 6
		.amdhsa_user_sgpr_private_segment_buffer 1
		.amdhsa_user_sgpr_dispatch_ptr 0
		.amdhsa_user_sgpr_queue_ptr 0
		.amdhsa_user_sgpr_kernarg_segment_ptr 1
		.amdhsa_user_sgpr_dispatch_id 0
		.amdhsa_user_sgpr_flat_scratch_init 0
		.amdhsa_user_sgpr_private_segment_size 0
		.amdhsa_uses_dynamic_stack 0
		.amdhsa_system_sgpr_private_segment_wavefront_offset 0
		.amdhsa_system_sgpr_workgroup_id_x 1
		.amdhsa_system_sgpr_workgroup_id_y 0
		.amdhsa_system_sgpr_workgroup_id_z 0
		.amdhsa_system_sgpr_workgroup_info 0
		.amdhsa_system_vgpr_workitem_id 0
		.amdhsa_next_free_vgpr 1
		.amdhsa_next_free_sgpr 0
		.amdhsa_reserve_vcc 0
		.amdhsa_reserve_flat_scratch 0
		.amdhsa_float_round_mode_32 0
		.amdhsa_float_round_mode_16_64 0
		.amdhsa_float_denorm_mode_32 3
		.amdhsa_float_denorm_mode_16_64 3
		.amdhsa_dx10_clamp 1
		.amdhsa_ieee_mode 1
		.amdhsa_fp16_overflow 0
		.amdhsa_exception_fp_ieee_invalid_op 0
		.amdhsa_exception_fp_denorm_src 0
		.amdhsa_exception_fp_ieee_div_zero 0
		.amdhsa_exception_fp_ieee_overflow 0
		.amdhsa_exception_fp_ieee_underflow 0
		.amdhsa_exception_fp_ieee_inexact 0
		.amdhsa_exception_int_div_zero 0
	.end_amdhsa_kernel
	.section	.text._ZN7rocprim17ROCPRIM_400000_NS6detail17trampoline_kernelINS0_14default_configENS1_36segmented_radix_sort_config_selectorIblEEZNS1_25segmented_radix_sort_implIS3_Lb0EPKbPbPKlPlN2at6native12_GLOBAL__N_18offset_tEEE10hipError_tPvRmT1_PNSt15iterator_traitsISK_E10value_typeET2_T3_PNSL_ISQ_E10value_typeET4_jRbjT5_SW_jjP12ihipStream_tbEUlT_E1_NS1_11comp_targetILNS1_3genE10ELNS1_11target_archE1201ELNS1_3gpuE5ELNS1_3repE0EEENS1_59segmented_radix_sort_warp_sort_small_config_static_selectorELNS0_4arch9wavefront6targetE1EEEvSK_,"axG",@progbits,_ZN7rocprim17ROCPRIM_400000_NS6detail17trampoline_kernelINS0_14default_configENS1_36segmented_radix_sort_config_selectorIblEEZNS1_25segmented_radix_sort_implIS3_Lb0EPKbPbPKlPlN2at6native12_GLOBAL__N_18offset_tEEE10hipError_tPvRmT1_PNSt15iterator_traitsISK_E10value_typeET2_T3_PNSL_ISQ_E10value_typeET4_jRbjT5_SW_jjP12ihipStream_tbEUlT_E1_NS1_11comp_targetILNS1_3genE10ELNS1_11target_archE1201ELNS1_3gpuE5ELNS1_3repE0EEENS1_59segmented_radix_sort_warp_sort_small_config_static_selectorELNS0_4arch9wavefront6targetE1EEEvSK_,comdat
.Lfunc_end1661:
	.size	_ZN7rocprim17ROCPRIM_400000_NS6detail17trampoline_kernelINS0_14default_configENS1_36segmented_radix_sort_config_selectorIblEEZNS1_25segmented_radix_sort_implIS3_Lb0EPKbPbPKlPlN2at6native12_GLOBAL__N_18offset_tEEE10hipError_tPvRmT1_PNSt15iterator_traitsISK_E10value_typeET2_T3_PNSL_ISQ_E10value_typeET4_jRbjT5_SW_jjP12ihipStream_tbEUlT_E1_NS1_11comp_targetILNS1_3genE10ELNS1_11target_archE1201ELNS1_3gpuE5ELNS1_3repE0EEENS1_59segmented_radix_sort_warp_sort_small_config_static_selectorELNS0_4arch9wavefront6targetE1EEEvSK_, .Lfunc_end1661-_ZN7rocprim17ROCPRIM_400000_NS6detail17trampoline_kernelINS0_14default_configENS1_36segmented_radix_sort_config_selectorIblEEZNS1_25segmented_radix_sort_implIS3_Lb0EPKbPbPKlPlN2at6native12_GLOBAL__N_18offset_tEEE10hipError_tPvRmT1_PNSt15iterator_traitsISK_E10value_typeET2_T3_PNSL_ISQ_E10value_typeET4_jRbjT5_SW_jjP12ihipStream_tbEUlT_E1_NS1_11comp_targetILNS1_3genE10ELNS1_11target_archE1201ELNS1_3gpuE5ELNS1_3repE0EEENS1_59segmented_radix_sort_warp_sort_small_config_static_selectorELNS0_4arch9wavefront6targetE1EEEvSK_
                                        ; -- End function
	.set _ZN7rocprim17ROCPRIM_400000_NS6detail17trampoline_kernelINS0_14default_configENS1_36segmented_radix_sort_config_selectorIblEEZNS1_25segmented_radix_sort_implIS3_Lb0EPKbPbPKlPlN2at6native12_GLOBAL__N_18offset_tEEE10hipError_tPvRmT1_PNSt15iterator_traitsISK_E10value_typeET2_T3_PNSL_ISQ_E10value_typeET4_jRbjT5_SW_jjP12ihipStream_tbEUlT_E1_NS1_11comp_targetILNS1_3genE10ELNS1_11target_archE1201ELNS1_3gpuE5ELNS1_3repE0EEENS1_59segmented_radix_sort_warp_sort_small_config_static_selectorELNS0_4arch9wavefront6targetE1EEEvSK_.num_vgpr, 0
	.set _ZN7rocprim17ROCPRIM_400000_NS6detail17trampoline_kernelINS0_14default_configENS1_36segmented_radix_sort_config_selectorIblEEZNS1_25segmented_radix_sort_implIS3_Lb0EPKbPbPKlPlN2at6native12_GLOBAL__N_18offset_tEEE10hipError_tPvRmT1_PNSt15iterator_traitsISK_E10value_typeET2_T3_PNSL_ISQ_E10value_typeET4_jRbjT5_SW_jjP12ihipStream_tbEUlT_E1_NS1_11comp_targetILNS1_3genE10ELNS1_11target_archE1201ELNS1_3gpuE5ELNS1_3repE0EEENS1_59segmented_radix_sort_warp_sort_small_config_static_selectorELNS0_4arch9wavefront6targetE1EEEvSK_.num_agpr, 0
	.set _ZN7rocprim17ROCPRIM_400000_NS6detail17trampoline_kernelINS0_14default_configENS1_36segmented_radix_sort_config_selectorIblEEZNS1_25segmented_radix_sort_implIS3_Lb0EPKbPbPKlPlN2at6native12_GLOBAL__N_18offset_tEEE10hipError_tPvRmT1_PNSt15iterator_traitsISK_E10value_typeET2_T3_PNSL_ISQ_E10value_typeET4_jRbjT5_SW_jjP12ihipStream_tbEUlT_E1_NS1_11comp_targetILNS1_3genE10ELNS1_11target_archE1201ELNS1_3gpuE5ELNS1_3repE0EEENS1_59segmented_radix_sort_warp_sort_small_config_static_selectorELNS0_4arch9wavefront6targetE1EEEvSK_.numbered_sgpr, 0
	.set _ZN7rocprim17ROCPRIM_400000_NS6detail17trampoline_kernelINS0_14default_configENS1_36segmented_radix_sort_config_selectorIblEEZNS1_25segmented_radix_sort_implIS3_Lb0EPKbPbPKlPlN2at6native12_GLOBAL__N_18offset_tEEE10hipError_tPvRmT1_PNSt15iterator_traitsISK_E10value_typeET2_T3_PNSL_ISQ_E10value_typeET4_jRbjT5_SW_jjP12ihipStream_tbEUlT_E1_NS1_11comp_targetILNS1_3genE10ELNS1_11target_archE1201ELNS1_3gpuE5ELNS1_3repE0EEENS1_59segmented_radix_sort_warp_sort_small_config_static_selectorELNS0_4arch9wavefront6targetE1EEEvSK_.num_named_barrier, 0
	.set _ZN7rocprim17ROCPRIM_400000_NS6detail17trampoline_kernelINS0_14default_configENS1_36segmented_radix_sort_config_selectorIblEEZNS1_25segmented_radix_sort_implIS3_Lb0EPKbPbPKlPlN2at6native12_GLOBAL__N_18offset_tEEE10hipError_tPvRmT1_PNSt15iterator_traitsISK_E10value_typeET2_T3_PNSL_ISQ_E10value_typeET4_jRbjT5_SW_jjP12ihipStream_tbEUlT_E1_NS1_11comp_targetILNS1_3genE10ELNS1_11target_archE1201ELNS1_3gpuE5ELNS1_3repE0EEENS1_59segmented_radix_sort_warp_sort_small_config_static_selectorELNS0_4arch9wavefront6targetE1EEEvSK_.private_seg_size, 0
	.set _ZN7rocprim17ROCPRIM_400000_NS6detail17trampoline_kernelINS0_14default_configENS1_36segmented_radix_sort_config_selectorIblEEZNS1_25segmented_radix_sort_implIS3_Lb0EPKbPbPKlPlN2at6native12_GLOBAL__N_18offset_tEEE10hipError_tPvRmT1_PNSt15iterator_traitsISK_E10value_typeET2_T3_PNSL_ISQ_E10value_typeET4_jRbjT5_SW_jjP12ihipStream_tbEUlT_E1_NS1_11comp_targetILNS1_3genE10ELNS1_11target_archE1201ELNS1_3gpuE5ELNS1_3repE0EEENS1_59segmented_radix_sort_warp_sort_small_config_static_selectorELNS0_4arch9wavefront6targetE1EEEvSK_.uses_vcc, 0
	.set _ZN7rocprim17ROCPRIM_400000_NS6detail17trampoline_kernelINS0_14default_configENS1_36segmented_radix_sort_config_selectorIblEEZNS1_25segmented_radix_sort_implIS3_Lb0EPKbPbPKlPlN2at6native12_GLOBAL__N_18offset_tEEE10hipError_tPvRmT1_PNSt15iterator_traitsISK_E10value_typeET2_T3_PNSL_ISQ_E10value_typeET4_jRbjT5_SW_jjP12ihipStream_tbEUlT_E1_NS1_11comp_targetILNS1_3genE10ELNS1_11target_archE1201ELNS1_3gpuE5ELNS1_3repE0EEENS1_59segmented_radix_sort_warp_sort_small_config_static_selectorELNS0_4arch9wavefront6targetE1EEEvSK_.uses_flat_scratch, 0
	.set _ZN7rocprim17ROCPRIM_400000_NS6detail17trampoline_kernelINS0_14default_configENS1_36segmented_radix_sort_config_selectorIblEEZNS1_25segmented_radix_sort_implIS3_Lb0EPKbPbPKlPlN2at6native12_GLOBAL__N_18offset_tEEE10hipError_tPvRmT1_PNSt15iterator_traitsISK_E10value_typeET2_T3_PNSL_ISQ_E10value_typeET4_jRbjT5_SW_jjP12ihipStream_tbEUlT_E1_NS1_11comp_targetILNS1_3genE10ELNS1_11target_archE1201ELNS1_3gpuE5ELNS1_3repE0EEENS1_59segmented_radix_sort_warp_sort_small_config_static_selectorELNS0_4arch9wavefront6targetE1EEEvSK_.has_dyn_sized_stack, 0
	.set _ZN7rocprim17ROCPRIM_400000_NS6detail17trampoline_kernelINS0_14default_configENS1_36segmented_radix_sort_config_selectorIblEEZNS1_25segmented_radix_sort_implIS3_Lb0EPKbPbPKlPlN2at6native12_GLOBAL__N_18offset_tEEE10hipError_tPvRmT1_PNSt15iterator_traitsISK_E10value_typeET2_T3_PNSL_ISQ_E10value_typeET4_jRbjT5_SW_jjP12ihipStream_tbEUlT_E1_NS1_11comp_targetILNS1_3genE10ELNS1_11target_archE1201ELNS1_3gpuE5ELNS1_3repE0EEENS1_59segmented_radix_sort_warp_sort_small_config_static_selectorELNS0_4arch9wavefront6targetE1EEEvSK_.has_recursion, 0
	.set _ZN7rocprim17ROCPRIM_400000_NS6detail17trampoline_kernelINS0_14default_configENS1_36segmented_radix_sort_config_selectorIblEEZNS1_25segmented_radix_sort_implIS3_Lb0EPKbPbPKlPlN2at6native12_GLOBAL__N_18offset_tEEE10hipError_tPvRmT1_PNSt15iterator_traitsISK_E10value_typeET2_T3_PNSL_ISQ_E10value_typeET4_jRbjT5_SW_jjP12ihipStream_tbEUlT_E1_NS1_11comp_targetILNS1_3genE10ELNS1_11target_archE1201ELNS1_3gpuE5ELNS1_3repE0EEENS1_59segmented_radix_sort_warp_sort_small_config_static_selectorELNS0_4arch9wavefront6targetE1EEEvSK_.has_indirect_call, 0
	.section	.AMDGPU.csdata,"",@progbits
; Kernel info:
; codeLenInByte = 0
; TotalNumSgprs: 4
; NumVgprs: 0
; ScratchSize: 0
; MemoryBound: 0
; FloatMode: 240
; IeeeMode: 1
; LDSByteSize: 0 bytes/workgroup (compile time only)
; SGPRBlocks: 0
; VGPRBlocks: 0
; NumSGPRsForWavesPerEU: 4
; NumVGPRsForWavesPerEU: 1
; Occupancy: 10
; WaveLimiterHint : 0
; COMPUTE_PGM_RSRC2:SCRATCH_EN: 0
; COMPUTE_PGM_RSRC2:USER_SGPR: 6
; COMPUTE_PGM_RSRC2:TRAP_HANDLER: 0
; COMPUTE_PGM_RSRC2:TGID_X_EN: 1
; COMPUTE_PGM_RSRC2:TGID_Y_EN: 0
; COMPUTE_PGM_RSRC2:TGID_Z_EN: 0
; COMPUTE_PGM_RSRC2:TIDIG_COMP_CNT: 0
	.section	.text._ZN7rocprim17ROCPRIM_400000_NS6detail17trampoline_kernelINS0_14default_configENS1_36segmented_radix_sort_config_selectorIblEEZNS1_25segmented_radix_sort_implIS3_Lb0EPKbPbPKlPlN2at6native12_GLOBAL__N_18offset_tEEE10hipError_tPvRmT1_PNSt15iterator_traitsISK_E10value_typeET2_T3_PNSL_ISQ_E10value_typeET4_jRbjT5_SW_jjP12ihipStream_tbEUlT_E1_NS1_11comp_targetILNS1_3genE10ELNS1_11target_archE1200ELNS1_3gpuE4ELNS1_3repE0EEENS1_59segmented_radix_sort_warp_sort_small_config_static_selectorELNS0_4arch9wavefront6targetE1EEEvSK_,"axG",@progbits,_ZN7rocprim17ROCPRIM_400000_NS6detail17trampoline_kernelINS0_14default_configENS1_36segmented_radix_sort_config_selectorIblEEZNS1_25segmented_radix_sort_implIS3_Lb0EPKbPbPKlPlN2at6native12_GLOBAL__N_18offset_tEEE10hipError_tPvRmT1_PNSt15iterator_traitsISK_E10value_typeET2_T3_PNSL_ISQ_E10value_typeET4_jRbjT5_SW_jjP12ihipStream_tbEUlT_E1_NS1_11comp_targetILNS1_3genE10ELNS1_11target_archE1200ELNS1_3gpuE4ELNS1_3repE0EEENS1_59segmented_radix_sort_warp_sort_small_config_static_selectorELNS0_4arch9wavefront6targetE1EEEvSK_,comdat
	.globl	_ZN7rocprim17ROCPRIM_400000_NS6detail17trampoline_kernelINS0_14default_configENS1_36segmented_radix_sort_config_selectorIblEEZNS1_25segmented_radix_sort_implIS3_Lb0EPKbPbPKlPlN2at6native12_GLOBAL__N_18offset_tEEE10hipError_tPvRmT1_PNSt15iterator_traitsISK_E10value_typeET2_T3_PNSL_ISQ_E10value_typeET4_jRbjT5_SW_jjP12ihipStream_tbEUlT_E1_NS1_11comp_targetILNS1_3genE10ELNS1_11target_archE1200ELNS1_3gpuE4ELNS1_3repE0EEENS1_59segmented_radix_sort_warp_sort_small_config_static_selectorELNS0_4arch9wavefront6targetE1EEEvSK_ ; -- Begin function _ZN7rocprim17ROCPRIM_400000_NS6detail17trampoline_kernelINS0_14default_configENS1_36segmented_radix_sort_config_selectorIblEEZNS1_25segmented_radix_sort_implIS3_Lb0EPKbPbPKlPlN2at6native12_GLOBAL__N_18offset_tEEE10hipError_tPvRmT1_PNSt15iterator_traitsISK_E10value_typeET2_T3_PNSL_ISQ_E10value_typeET4_jRbjT5_SW_jjP12ihipStream_tbEUlT_E1_NS1_11comp_targetILNS1_3genE10ELNS1_11target_archE1200ELNS1_3gpuE4ELNS1_3repE0EEENS1_59segmented_radix_sort_warp_sort_small_config_static_selectorELNS0_4arch9wavefront6targetE1EEEvSK_
	.p2align	8
	.type	_ZN7rocprim17ROCPRIM_400000_NS6detail17trampoline_kernelINS0_14default_configENS1_36segmented_radix_sort_config_selectorIblEEZNS1_25segmented_radix_sort_implIS3_Lb0EPKbPbPKlPlN2at6native12_GLOBAL__N_18offset_tEEE10hipError_tPvRmT1_PNSt15iterator_traitsISK_E10value_typeET2_T3_PNSL_ISQ_E10value_typeET4_jRbjT5_SW_jjP12ihipStream_tbEUlT_E1_NS1_11comp_targetILNS1_3genE10ELNS1_11target_archE1200ELNS1_3gpuE4ELNS1_3repE0EEENS1_59segmented_radix_sort_warp_sort_small_config_static_selectorELNS0_4arch9wavefront6targetE1EEEvSK_,@function
_ZN7rocprim17ROCPRIM_400000_NS6detail17trampoline_kernelINS0_14default_configENS1_36segmented_radix_sort_config_selectorIblEEZNS1_25segmented_radix_sort_implIS3_Lb0EPKbPbPKlPlN2at6native12_GLOBAL__N_18offset_tEEE10hipError_tPvRmT1_PNSt15iterator_traitsISK_E10value_typeET2_T3_PNSL_ISQ_E10value_typeET4_jRbjT5_SW_jjP12ihipStream_tbEUlT_E1_NS1_11comp_targetILNS1_3genE10ELNS1_11target_archE1200ELNS1_3gpuE4ELNS1_3repE0EEENS1_59segmented_radix_sort_warp_sort_small_config_static_selectorELNS0_4arch9wavefront6targetE1EEEvSK_: ; @_ZN7rocprim17ROCPRIM_400000_NS6detail17trampoline_kernelINS0_14default_configENS1_36segmented_radix_sort_config_selectorIblEEZNS1_25segmented_radix_sort_implIS3_Lb0EPKbPbPKlPlN2at6native12_GLOBAL__N_18offset_tEEE10hipError_tPvRmT1_PNSt15iterator_traitsISK_E10value_typeET2_T3_PNSL_ISQ_E10value_typeET4_jRbjT5_SW_jjP12ihipStream_tbEUlT_E1_NS1_11comp_targetILNS1_3genE10ELNS1_11target_archE1200ELNS1_3gpuE4ELNS1_3repE0EEENS1_59segmented_radix_sort_warp_sort_small_config_static_selectorELNS0_4arch9wavefront6targetE1EEEvSK_
; %bb.0:
	.section	.rodata,"a",@progbits
	.p2align	6, 0x0
	.amdhsa_kernel _ZN7rocprim17ROCPRIM_400000_NS6detail17trampoline_kernelINS0_14default_configENS1_36segmented_radix_sort_config_selectorIblEEZNS1_25segmented_radix_sort_implIS3_Lb0EPKbPbPKlPlN2at6native12_GLOBAL__N_18offset_tEEE10hipError_tPvRmT1_PNSt15iterator_traitsISK_E10value_typeET2_T3_PNSL_ISQ_E10value_typeET4_jRbjT5_SW_jjP12ihipStream_tbEUlT_E1_NS1_11comp_targetILNS1_3genE10ELNS1_11target_archE1200ELNS1_3gpuE4ELNS1_3repE0EEENS1_59segmented_radix_sort_warp_sort_small_config_static_selectorELNS0_4arch9wavefront6targetE1EEEvSK_
		.amdhsa_group_segment_fixed_size 0
		.amdhsa_private_segment_fixed_size 0
		.amdhsa_kernarg_size 88
		.amdhsa_user_sgpr_count 6
		.amdhsa_user_sgpr_private_segment_buffer 1
		.amdhsa_user_sgpr_dispatch_ptr 0
		.amdhsa_user_sgpr_queue_ptr 0
		.amdhsa_user_sgpr_kernarg_segment_ptr 1
		.amdhsa_user_sgpr_dispatch_id 0
		.amdhsa_user_sgpr_flat_scratch_init 0
		.amdhsa_user_sgpr_private_segment_size 0
		.amdhsa_uses_dynamic_stack 0
		.amdhsa_system_sgpr_private_segment_wavefront_offset 0
		.amdhsa_system_sgpr_workgroup_id_x 1
		.amdhsa_system_sgpr_workgroup_id_y 0
		.amdhsa_system_sgpr_workgroup_id_z 0
		.amdhsa_system_sgpr_workgroup_info 0
		.amdhsa_system_vgpr_workitem_id 0
		.amdhsa_next_free_vgpr 1
		.amdhsa_next_free_sgpr 0
		.amdhsa_reserve_vcc 0
		.amdhsa_reserve_flat_scratch 0
		.amdhsa_float_round_mode_32 0
		.amdhsa_float_round_mode_16_64 0
		.amdhsa_float_denorm_mode_32 3
		.amdhsa_float_denorm_mode_16_64 3
		.amdhsa_dx10_clamp 1
		.amdhsa_ieee_mode 1
		.amdhsa_fp16_overflow 0
		.amdhsa_exception_fp_ieee_invalid_op 0
		.amdhsa_exception_fp_denorm_src 0
		.amdhsa_exception_fp_ieee_div_zero 0
		.amdhsa_exception_fp_ieee_overflow 0
		.amdhsa_exception_fp_ieee_underflow 0
		.amdhsa_exception_fp_ieee_inexact 0
		.amdhsa_exception_int_div_zero 0
	.end_amdhsa_kernel
	.section	.text._ZN7rocprim17ROCPRIM_400000_NS6detail17trampoline_kernelINS0_14default_configENS1_36segmented_radix_sort_config_selectorIblEEZNS1_25segmented_radix_sort_implIS3_Lb0EPKbPbPKlPlN2at6native12_GLOBAL__N_18offset_tEEE10hipError_tPvRmT1_PNSt15iterator_traitsISK_E10value_typeET2_T3_PNSL_ISQ_E10value_typeET4_jRbjT5_SW_jjP12ihipStream_tbEUlT_E1_NS1_11comp_targetILNS1_3genE10ELNS1_11target_archE1200ELNS1_3gpuE4ELNS1_3repE0EEENS1_59segmented_radix_sort_warp_sort_small_config_static_selectorELNS0_4arch9wavefront6targetE1EEEvSK_,"axG",@progbits,_ZN7rocprim17ROCPRIM_400000_NS6detail17trampoline_kernelINS0_14default_configENS1_36segmented_radix_sort_config_selectorIblEEZNS1_25segmented_radix_sort_implIS3_Lb0EPKbPbPKlPlN2at6native12_GLOBAL__N_18offset_tEEE10hipError_tPvRmT1_PNSt15iterator_traitsISK_E10value_typeET2_T3_PNSL_ISQ_E10value_typeET4_jRbjT5_SW_jjP12ihipStream_tbEUlT_E1_NS1_11comp_targetILNS1_3genE10ELNS1_11target_archE1200ELNS1_3gpuE4ELNS1_3repE0EEENS1_59segmented_radix_sort_warp_sort_small_config_static_selectorELNS0_4arch9wavefront6targetE1EEEvSK_,comdat
.Lfunc_end1662:
	.size	_ZN7rocprim17ROCPRIM_400000_NS6detail17trampoline_kernelINS0_14default_configENS1_36segmented_radix_sort_config_selectorIblEEZNS1_25segmented_radix_sort_implIS3_Lb0EPKbPbPKlPlN2at6native12_GLOBAL__N_18offset_tEEE10hipError_tPvRmT1_PNSt15iterator_traitsISK_E10value_typeET2_T3_PNSL_ISQ_E10value_typeET4_jRbjT5_SW_jjP12ihipStream_tbEUlT_E1_NS1_11comp_targetILNS1_3genE10ELNS1_11target_archE1200ELNS1_3gpuE4ELNS1_3repE0EEENS1_59segmented_radix_sort_warp_sort_small_config_static_selectorELNS0_4arch9wavefront6targetE1EEEvSK_, .Lfunc_end1662-_ZN7rocprim17ROCPRIM_400000_NS6detail17trampoline_kernelINS0_14default_configENS1_36segmented_radix_sort_config_selectorIblEEZNS1_25segmented_radix_sort_implIS3_Lb0EPKbPbPKlPlN2at6native12_GLOBAL__N_18offset_tEEE10hipError_tPvRmT1_PNSt15iterator_traitsISK_E10value_typeET2_T3_PNSL_ISQ_E10value_typeET4_jRbjT5_SW_jjP12ihipStream_tbEUlT_E1_NS1_11comp_targetILNS1_3genE10ELNS1_11target_archE1200ELNS1_3gpuE4ELNS1_3repE0EEENS1_59segmented_radix_sort_warp_sort_small_config_static_selectorELNS0_4arch9wavefront6targetE1EEEvSK_
                                        ; -- End function
	.set _ZN7rocprim17ROCPRIM_400000_NS6detail17trampoline_kernelINS0_14default_configENS1_36segmented_radix_sort_config_selectorIblEEZNS1_25segmented_radix_sort_implIS3_Lb0EPKbPbPKlPlN2at6native12_GLOBAL__N_18offset_tEEE10hipError_tPvRmT1_PNSt15iterator_traitsISK_E10value_typeET2_T3_PNSL_ISQ_E10value_typeET4_jRbjT5_SW_jjP12ihipStream_tbEUlT_E1_NS1_11comp_targetILNS1_3genE10ELNS1_11target_archE1200ELNS1_3gpuE4ELNS1_3repE0EEENS1_59segmented_radix_sort_warp_sort_small_config_static_selectorELNS0_4arch9wavefront6targetE1EEEvSK_.num_vgpr, 0
	.set _ZN7rocprim17ROCPRIM_400000_NS6detail17trampoline_kernelINS0_14default_configENS1_36segmented_radix_sort_config_selectorIblEEZNS1_25segmented_radix_sort_implIS3_Lb0EPKbPbPKlPlN2at6native12_GLOBAL__N_18offset_tEEE10hipError_tPvRmT1_PNSt15iterator_traitsISK_E10value_typeET2_T3_PNSL_ISQ_E10value_typeET4_jRbjT5_SW_jjP12ihipStream_tbEUlT_E1_NS1_11comp_targetILNS1_3genE10ELNS1_11target_archE1200ELNS1_3gpuE4ELNS1_3repE0EEENS1_59segmented_radix_sort_warp_sort_small_config_static_selectorELNS0_4arch9wavefront6targetE1EEEvSK_.num_agpr, 0
	.set _ZN7rocprim17ROCPRIM_400000_NS6detail17trampoline_kernelINS0_14default_configENS1_36segmented_radix_sort_config_selectorIblEEZNS1_25segmented_radix_sort_implIS3_Lb0EPKbPbPKlPlN2at6native12_GLOBAL__N_18offset_tEEE10hipError_tPvRmT1_PNSt15iterator_traitsISK_E10value_typeET2_T3_PNSL_ISQ_E10value_typeET4_jRbjT5_SW_jjP12ihipStream_tbEUlT_E1_NS1_11comp_targetILNS1_3genE10ELNS1_11target_archE1200ELNS1_3gpuE4ELNS1_3repE0EEENS1_59segmented_radix_sort_warp_sort_small_config_static_selectorELNS0_4arch9wavefront6targetE1EEEvSK_.numbered_sgpr, 0
	.set _ZN7rocprim17ROCPRIM_400000_NS6detail17trampoline_kernelINS0_14default_configENS1_36segmented_radix_sort_config_selectorIblEEZNS1_25segmented_radix_sort_implIS3_Lb0EPKbPbPKlPlN2at6native12_GLOBAL__N_18offset_tEEE10hipError_tPvRmT1_PNSt15iterator_traitsISK_E10value_typeET2_T3_PNSL_ISQ_E10value_typeET4_jRbjT5_SW_jjP12ihipStream_tbEUlT_E1_NS1_11comp_targetILNS1_3genE10ELNS1_11target_archE1200ELNS1_3gpuE4ELNS1_3repE0EEENS1_59segmented_radix_sort_warp_sort_small_config_static_selectorELNS0_4arch9wavefront6targetE1EEEvSK_.num_named_barrier, 0
	.set _ZN7rocprim17ROCPRIM_400000_NS6detail17trampoline_kernelINS0_14default_configENS1_36segmented_radix_sort_config_selectorIblEEZNS1_25segmented_radix_sort_implIS3_Lb0EPKbPbPKlPlN2at6native12_GLOBAL__N_18offset_tEEE10hipError_tPvRmT1_PNSt15iterator_traitsISK_E10value_typeET2_T3_PNSL_ISQ_E10value_typeET4_jRbjT5_SW_jjP12ihipStream_tbEUlT_E1_NS1_11comp_targetILNS1_3genE10ELNS1_11target_archE1200ELNS1_3gpuE4ELNS1_3repE0EEENS1_59segmented_radix_sort_warp_sort_small_config_static_selectorELNS0_4arch9wavefront6targetE1EEEvSK_.private_seg_size, 0
	.set _ZN7rocprim17ROCPRIM_400000_NS6detail17trampoline_kernelINS0_14default_configENS1_36segmented_radix_sort_config_selectorIblEEZNS1_25segmented_radix_sort_implIS3_Lb0EPKbPbPKlPlN2at6native12_GLOBAL__N_18offset_tEEE10hipError_tPvRmT1_PNSt15iterator_traitsISK_E10value_typeET2_T3_PNSL_ISQ_E10value_typeET4_jRbjT5_SW_jjP12ihipStream_tbEUlT_E1_NS1_11comp_targetILNS1_3genE10ELNS1_11target_archE1200ELNS1_3gpuE4ELNS1_3repE0EEENS1_59segmented_radix_sort_warp_sort_small_config_static_selectorELNS0_4arch9wavefront6targetE1EEEvSK_.uses_vcc, 0
	.set _ZN7rocprim17ROCPRIM_400000_NS6detail17trampoline_kernelINS0_14default_configENS1_36segmented_radix_sort_config_selectorIblEEZNS1_25segmented_radix_sort_implIS3_Lb0EPKbPbPKlPlN2at6native12_GLOBAL__N_18offset_tEEE10hipError_tPvRmT1_PNSt15iterator_traitsISK_E10value_typeET2_T3_PNSL_ISQ_E10value_typeET4_jRbjT5_SW_jjP12ihipStream_tbEUlT_E1_NS1_11comp_targetILNS1_3genE10ELNS1_11target_archE1200ELNS1_3gpuE4ELNS1_3repE0EEENS1_59segmented_radix_sort_warp_sort_small_config_static_selectorELNS0_4arch9wavefront6targetE1EEEvSK_.uses_flat_scratch, 0
	.set _ZN7rocprim17ROCPRIM_400000_NS6detail17trampoline_kernelINS0_14default_configENS1_36segmented_radix_sort_config_selectorIblEEZNS1_25segmented_radix_sort_implIS3_Lb0EPKbPbPKlPlN2at6native12_GLOBAL__N_18offset_tEEE10hipError_tPvRmT1_PNSt15iterator_traitsISK_E10value_typeET2_T3_PNSL_ISQ_E10value_typeET4_jRbjT5_SW_jjP12ihipStream_tbEUlT_E1_NS1_11comp_targetILNS1_3genE10ELNS1_11target_archE1200ELNS1_3gpuE4ELNS1_3repE0EEENS1_59segmented_radix_sort_warp_sort_small_config_static_selectorELNS0_4arch9wavefront6targetE1EEEvSK_.has_dyn_sized_stack, 0
	.set _ZN7rocprim17ROCPRIM_400000_NS6detail17trampoline_kernelINS0_14default_configENS1_36segmented_radix_sort_config_selectorIblEEZNS1_25segmented_radix_sort_implIS3_Lb0EPKbPbPKlPlN2at6native12_GLOBAL__N_18offset_tEEE10hipError_tPvRmT1_PNSt15iterator_traitsISK_E10value_typeET2_T3_PNSL_ISQ_E10value_typeET4_jRbjT5_SW_jjP12ihipStream_tbEUlT_E1_NS1_11comp_targetILNS1_3genE10ELNS1_11target_archE1200ELNS1_3gpuE4ELNS1_3repE0EEENS1_59segmented_radix_sort_warp_sort_small_config_static_selectorELNS0_4arch9wavefront6targetE1EEEvSK_.has_recursion, 0
	.set _ZN7rocprim17ROCPRIM_400000_NS6detail17trampoline_kernelINS0_14default_configENS1_36segmented_radix_sort_config_selectorIblEEZNS1_25segmented_radix_sort_implIS3_Lb0EPKbPbPKlPlN2at6native12_GLOBAL__N_18offset_tEEE10hipError_tPvRmT1_PNSt15iterator_traitsISK_E10value_typeET2_T3_PNSL_ISQ_E10value_typeET4_jRbjT5_SW_jjP12ihipStream_tbEUlT_E1_NS1_11comp_targetILNS1_3genE10ELNS1_11target_archE1200ELNS1_3gpuE4ELNS1_3repE0EEENS1_59segmented_radix_sort_warp_sort_small_config_static_selectorELNS0_4arch9wavefront6targetE1EEEvSK_.has_indirect_call, 0
	.section	.AMDGPU.csdata,"",@progbits
; Kernel info:
; codeLenInByte = 0
; TotalNumSgprs: 4
; NumVgprs: 0
; ScratchSize: 0
; MemoryBound: 0
; FloatMode: 240
; IeeeMode: 1
; LDSByteSize: 0 bytes/workgroup (compile time only)
; SGPRBlocks: 0
; VGPRBlocks: 0
; NumSGPRsForWavesPerEU: 4
; NumVGPRsForWavesPerEU: 1
; Occupancy: 10
; WaveLimiterHint : 0
; COMPUTE_PGM_RSRC2:SCRATCH_EN: 0
; COMPUTE_PGM_RSRC2:USER_SGPR: 6
; COMPUTE_PGM_RSRC2:TRAP_HANDLER: 0
; COMPUTE_PGM_RSRC2:TGID_X_EN: 1
; COMPUTE_PGM_RSRC2:TGID_Y_EN: 0
; COMPUTE_PGM_RSRC2:TGID_Z_EN: 0
; COMPUTE_PGM_RSRC2:TIDIG_COMP_CNT: 0
	.section	.text._ZN7rocprim17ROCPRIM_400000_NS6detail17trampoline_kernelINS0_14default_configENS1_36segmented_radix_sort_config_selectorIblEEZNS1_25segmented_radix_sort_implIS3_Lb0EPKbPbPKlPlN2at6native12_GLOBAL__N_18offset_tEEE10hipError_tPvRmT1_PNSt15iterator_traitsISK_E10value_typeET2_T3_PNSL_ISQ_E10value_typeET4_jRbjT5_SW_jjP12ihipStream_tbEUlT_E1_NS1_11comp_targetILNS1_3genE9ELNS1_11target_archE1100ELNS1_3gpuE3ELNS1_3repE0EEENS1_59segmented_radix_sort_warp_sort_small_config_static_selectorELNS0_4arch9wavefront6targetE1EEEvSK_,"axG",@progbits,_ZN7rocprim17ROCPRIM_400000_NS6detail17trampoline_kernelINS0_14default_configENS1_36segmented_radix_sort_config_selectorIblEEZNS1_25segmented_radix_sort_implIS3_Lb0EPKbPbPKlPlN2at6native12_GLOBAL__N_18offset_tEEE10hipError_tPvRmT1_PNSt15iterator_traitsISK_E10value_typeET2_T3_PNSL_ISQ_E10value_typeET4_jRbjT5_SW_jjP12ihipStream_tbEUlT_E1_NS1_11comp_targetILNS1_3genE9ELNS1_11target_archE1100ELNS1_3gpuE3ELNS1_3repE0EEENS1_59segmented_radix_sort_warp_sort_small_config_static_selectorELNS0_4arch9wavefront6targetE1EEEvSK_,comdat
	.globl	_ZN7rocprim17ROCPRIM_400000_NS6detail17trampoline_kernelINS0_14default_configENS1_36segmented_radix_sort_config_selectorIblEEZNS1_25segmented_radix_sort_implIS3_Lb0EPKbPbPKlPlN2at6native12_GLOBAL__N_18offset_tEEE10hipError_tPvRmT1_PNSt15iterator_traitsISK_E10value_typeET2_T3_PNSL_ISQ_E10value_typeET4_jRbjT5_SW_jjP12ihipStream_tbEUlT_E1_NS1_11comp_targetILNS1_3genE9ELNS1_11target_archE1100ELNS1_3gpuE3ELNS1_3repE0EEENS1_59segmented_radix_sort_warp_sort_small_config_static_selectorELNS0_4arch9wavefront6targetE1EEEvSK_ ; -- Begin function _ZN7rocprim17ROCPRIM_400000_NS6detail17trampoline_kernelINS0_14default_configENS1_36segmented_radix_sort_config_selectorIblEEZNS1_25segmented_radix_sort_implIS3_Lb0EPKbPbPKlPlN2at6native12_GLOBAL__N_18offset_tEEE10hipError_tPvRmT1_PNSt15iterator_traitsISK_E10value_typeET2_T3_PNSL_ISQ_E10value_typeET4_jRbjT5_SW_jjP12ihipStream_tbEUlT_E1_NS1_11comp_targetILNS1_3genE9ELNS1_11target_archE1100ELNS1_3gpuE3ELNS1_3repE0EEENS1_59segmented_radix_sort_warp_sort_small_config_static_selectorELNS0_4arch9wavefront6targetE1EEEvSK_
	.p2align	8
	.type	_ZN7rocprim17ROCPRIM_400000_NS6detail17trampoline_kernelINS0_14default_configENS1_36segmented_radix_sort_config_selectorIblEEZNS1_25segmented_radix_sort_implIS3_Lb0EPKbPbPKlPlN2at6native12_GLOBAL__N_18offset_tEEE10hipError_tPvRmT1_PNSt15iterator_traitsISK_E10value_typeET2_T3_PNSL_ISQ_E10value_typeET4_jRbjT5_SW_jjP12ihipStream_tbEUlT_E1_NS1_11comp_targetILNS1_3genE9ELNS1_11target_archE1100ELNS1_3gpuE3ELNS1_3repE0EEENS1_59segmented_radix_sort_warp_sort_small_config_static_selectorELNS0_4arch9wavefront6targetE1EEEvSK_,@function
_ZN7rocprim17ROCPRIM_400000_NS6detail17trampoline_kernelINS0_14default_configENS1_36segmented_radix_sort_config_selectorIblEEZNS1_25segmented_radix_sort_implIS3_Lb0EPKbPbPKlPlN2at6native12_GLOBAL__N_18offset_tEEE10hipError_tPvRmT1_PNSt15iterator_traitsISK_E10value_typeET2_T3_PNSL_ISQ_E10value_typeET4_jRbjT5_SW_jjP12ihipStream_tbEUlT_E1_NS1_11comp_targetILNS1_3genE9ELNS1_11target_archE1100ELNS1_3gpuE3ELNS1_3repE0EEENS1_59segmented_radix_sort_warp_sort_small_config_static_selectorELNS0_4arch9wavefront6targetE1EEEvSK_: ; @_ZN7rocprim17ROCPRIM_400000_NS6detail17trampoline_kernelINS0_14default_configENS1_36segmented_radix_sort_config_selectorIblEEZNS1_25segmented_radix_sort_implIS3_Lb0EPKbPbPKlPlN2at6native12_GLOBAL__N_18offset_tEEE10hipError_tPvRmT1_PNSt15iterator_traitsISK_E10value_typeET2_T3_PNSL_ISQ_E10value_typeET4_jRbjT5_SW_jjP12ihipStream_tbEUlT_E1_NS1_11comp_targetILNS1_3genE9ELNS1_11target_archE1100ELNS1_3gpuE3ELNS1_3repE0EEENS1_59segmented_radix_sort_warp_sort_small_config_static_selectorELNS0_4arch9wavefront6targetE1EEEvSK_
; %bb.0:
	.section	.rodata,"a",@progbits
	.p2align	6, 0x0
	.amdhsa_kernel _ZN7rocprim17ROCPRIM_400000_NS6detail17trampoline_kernelINS0_14default_configENS1_36segmented_radix_sort_config_selectorIblEEZNS1_25segmented_radix_sort_implIS3_Lb0EPKbPbPKlPlN2at6native12_GLOBAL__N_18offset_tEEE10hipError_tPvRmT1_PNSt15iterator_traitsISK_E10value_typeET2_T3_PNSL_ISQ_E10value_typeET4_jRbjT5_SW_jjP12ihipStream_tbEUlT_E1_NS1_11comp_targetILNS1_3genE9ELNS1_11target_archE1100ELNS1_3gpuE3ELNS1_3repE0EEENS1_59segmented_radix_sort_warp_sort_small_config_static_selectorELNS0_4arch9wavefront6targetE1EEEvSK_
		.amdhsa_group_segment_fixed_size 0
		.amdhsa_private_segment_fixed_size 0
		.amdhsa_kernarg_size 88
		.amdhsa_user_sgpr_count 6
		.amdhsa_user_sgpr_private_segment_buffer 1
		.amdhsa_user_sgpr_dispatch_ptr 0
		.amdhsa_user_sgpr_queue_ptr 0
		.amdhsa_user_sgpr_kernarg_segment_ptr 1
		.amdhsa_user_sgpr_dispatch_id 0
		.amdhsa_user_sgpr_flat_scratch_init 0
		.amdhsa_user_sgpr_private_segment_size 0
		.amdhsa_uses_dynamic_stack 0
		.amdhsa_system_sgpr_private_segment_wavefront_offset 0
		.amdhsa_system_sgpr_workgroup_id_x 1
		.amdhsa_system_sgpr_workgroup_id_y 0
		.amdhsa_system_sgpr_workgroup_id_z 0
		.amdhsa_system_sgpr_workgroup_info 0
		.amdhsa_system_vgpr_workitem_id 0
		.amdhsa_next_free_vgpr 1
		.amdhsa_next_free_sgpr 0
		.amdhsa_reserve_vcc 0
		.amdhsa_reserve_flat_scratch 0
		.amdhsa_float_round_mode_32 0
		.amdhsa_float_round_mode_16_64 0
		.amdhsa_float_denorm_mode_32 3
		.amdhsa_float_denorm_mode_16_64 3
		.amdhsa_dx10_clamp 1
		.amdhsa_ieee_mode 1
		.amdhsa_fp16_overflow 0
		.amdhsa_exception_fp_ieee_invalid_op 0
		.amdhsa_exception_fp_denorm_src 0
		.amdhsa_exception_fp_ieee_div_zero 0
		.amdhsa_exception_fp_ieee_overflow 0
		.amdhsa_exception_fp_ieee_underflow 0
		.amdhsa_exception_fp_ieee_inexact 0
		.amdhsa_exception_int_div_zero 0
	.end_amdhsa_kernel
	.section	.text._ZN7rocprim17ROCPRIM_400000_NS6detail17trampoline_kernelINS0_14default_configENS1_36segmented_radix_sort_config_selectorIblEEZNS1_25segmented_radix_sort_implIS3_Lb0EPKbPbPKlPlN2at6native12_GLOBAL__N_18offset_tEEE10hipError_tPvRmT1_PNSt15iterator_traitsISK_E10value_typeET2_T3_PNSL_ISQ_E10value_typeET4_jRbjT5_SW_jjP12ihipStream_tbEUlT_E1_NS1_11comp_targetILNS1_3genE9ELNS1_11target_archE1100ELNS1_3gpuE3ELNS1_3repE0EEENS1_59segmented_radix_sort_warp_sort_small_config_static_selectorELNS0_4arch9wavefront6targetE1EEEvSK_,"axG",@progbits,_ZN7rocprim17ROCPRIM_400000_NS6detail17trampoline_kernelINS0_14default_configENS1_36segmented_radix_sort_config_selectorIblEEZNS1_25segmented_radix_sort_implIS3_Lb0EPKbPbPKlPlN2at6native12_GLOBAL__N_18offset_tEEE10hipError_tPvRmT1_PNSt15iterator_traitsISK_E10value_typeET2_T3_PNSL_ISQ_E10value_typeET4_jRbjT5_SW_jjP12ihipStream_tbEUlT_E1_NS1_11comp_targetILNS1_3genE9ELNS1_11target_archE1100ELNS1_3gpuE3ELNS1_3repE0EEENS1_59segmented_radix_sort_warp_sort_small_config_static_selectorELNS0_4arch9wavefront6targetE1EEEvSK_,comdat
.Lfunc_end1663:
	.size	_ZN7rocprim17ROCPRIM_400000_NS6detail17trampoline_kernelINS0_14default_configENS1_36segmented_radix_sort_config_selectorIblEEZNS1_25segmented_radix_sort_implIS3_Lb0EPKbPbPKlPlN2at6native12_GLOBAL__N_18offset_tEEE10hipError_tPvRmT1_PNSt15iterator_traitsISK_E10value_typeET2_T3_PNSL_ISQ_E10value_typeET4_jRbjT5_SW_jjP12ihipStream_tbEUlT_E1_NS1_11comp_targetILNS1_3genE9ELNS1_11target_archE1100ELNS1_3gpuE3ELNS1_3repE0EEENS1_59segmented_radix_sort_warp_sort_small_config_static_selectorELNS0_4arch9wavefront6targetE1EEEvSK_, .Lfunc_end1663-_ZN7rocprim17ROCPRIM_400000_NS6detail17trampoline_kernelINS0_14default_configENS1_36segmented_radix_sort_config_selectorIblEEZNS1_25segmented_radix_sort_implIS3_Lb0EPKbPbPKlPlN2at6native12_GLOBAL__N_18offset_tEEE10hipError_tPvRmT1_PNSt15iterator_traitsISK_E10value_typeET2_T3_PNSL_ISQ_E10value_typeET4_jRbjT5_SW_jjP12ihipStream_tbEUlT_E1_NS1_11comp_targetILNS1_3genE9ELNS1_11target_archE1100ELNS1_3gpuE3ELNS1_3repE0EEENS1_59segmented_radix_sort_warp_sort_small_config_static_selectorELNS0_4arch9wavefront6targetE1EEEvSK_
                                        ; -- End function
	.set _ZN7rocprim17ROCPRIM_400000_NS6detail17trampoline_kernelINS0_14default_configENS1_36segmented_radix_sort_config_selectorIblEEZNS1_25segmented_radix_sort_implIS3_Lb0EPKbPbPKlPlN2at6native12_GLOBAL__N_18offset_tEEE10hipError_tPvRmT1_PNSt15iterator_traitsISK_E10value_typeET2_T3_PNSL_ISQ_E10value_typeET4_jRbjT5_SW_jjP12ihipStream_tbEUlT_E1_NS1_11comp_targetILNS1_3genE9ELNS1_11target_archE1100ELNS1_3gpuE3ELNS1_3repE0EEENS1_59segmented_radix_sort_warp_sort_small_config_static_selectorELNS0_4arch9wavefront6targetE1EEEvSK_.num_vgpr, 0
	.set _ZN7rocprim17ROCPRIM_400000_NS6detail17trampoline_kernelINS0_14default_configENS1_36segmented_radix_sort_config_selectorIblEEZNS1_25segmented_radix_sort_implIS3_Lb0EPKbPbPKlPlN2at6native12_GLOBAL__N_18offset_tEEE10hipError_tPvRmT1_PNSt15iterator_traitsISK_E10value_typeET2_T3_PNSL_ISQ_E10value_typeET4_jRbjT5_SW_jjP12ihipStream_tbEUlT_E1_NS1_11comp_targetILNS1_3genE9ELNS1_11target_archE1100ELNS1_3gpuE3ELNS1_3repE0EEENS1_59segmented_radix_sort_warp_sort_small_config_static_selectorELNS0_4arch9wavefront6targetE1EEEvSK_.num_agpr, 0
	.set _ZN7rocprim17ROCPRIM_400000_NS6detail17trampoline_kernelINS0_14default_configENS1_36segmented_radix_sort_config_selectorIblEEZNS1_25segmented_radix_sort_implIS3_Lb0EPKbPbPKlPlN2at6native12_GLOBAL__N_18offset_tEEE10hipError_tPvRmT1_PNSt15iterator_traitsISK_E10value_typeET2_T3_PNSL_ISQ_E10value_typeET4_jRbjT5_SW_jjP12ihipStream_tbEUlT_E1_NS1_11comp_targetILNS1_3genE9ELNS1_11target_archE1100ELNS1_3gpuE3ELNS1_3repE0EEENS1_59segmented_radix_sort_warp_sort_small_config_static_selectorELNS0_4arch9wavefront6targetE1EEEvSK_.numbered_sgpr, 0
	.set _ZN7rocprim17ROCPRIM_400000_NS6detail17trampoline_kernelINS0_14default_configENS1_36segmented_radix_sort_config_selectorIblEEZNS1_25segmented_radix_sort_implIS3_Lb0EPKbPbPKlPlN2at6native12_GLOBAL__N_18offset_tEEE10hipError_tPvRmT1_PNSt15iterator_traitsISK_E10value_typeET2_T3_PNSL_ISQ_E10value_typeET4_jRbjT5_SW_jjP12ihipStream_tbEUlT_E1_NS1_11comp_targetILNS1_3genE9ELNS1_11target_archE1100ELNS1_3gpuE3ELNS1_3repE0EEENS1_59segmented_radix_sort_warp_sort_small_config_static_selectorELNS0_4arch9wavefront6targetE1EEEvSK_.num_named_barrier, 0
	.set _ZN7rocprim17ROCPRIM_400000_NS6detail17trampoline_kernelINS0_14default_configENS1_36segmented_radix_sort_config_selectorIblEEZNS1_25segmented_radix_sort_implIS3_Lb0EPKbPbPKlPlN2at6native12_GLOBAL__N_18offset_tEEE10hipError_tPvRmT1_PNSt15iterator_traitsISK_E10value_typeET2_T3_PNSL_ISQ_E10value_typeET4_jRbjT5_SW_jjP12ihipStream_tbEUlT_E1_NS1_11comp_targetILNS1_3genE9ELNS1_11target_archE1100ELNS1_3gpuE3ELNS1_3repE0EEENS1_59segmented_radix_sort_warp_sort_small_config_static_selectorELNS0_4arch9wavefront6targetE1EEEvSK_.private_seg_size, 0
	.set _ZN7rocprim17ROCPRIM_400000_NS6detail17trampoline_kernelINS0_14default_configENS1_36segmented_radix_sort_config_selectorIblEEZNS1_25segmented_radix_sort_implIS3_Lb0EPKbPbPKlPlN2at6native12_GLOBAL__N_18offset_tEEE10hipError_tPvRmT1_PNSt15iterator_traitsISK_E10value_typeET2_T3_PNSL_ISQ_E10value_typeET4_jRbjT5_SW_jjP12ihipStream_tbEUlT_E1_NS1_11comp_targetILNS1_3genE9ELNS1_11target_archE1100ELNS1_3gpuE3ELNS1_3repE0EEENS1_59segmented_radix_sort_warp_sort_small_config_static_selectorELNS0_4arch9wavefront6targetE1EEEvSK_.uses_vcc, 0
	.set _ZN7rocprim17ROCPRIM_400000_NS6detail17trampoline_kernelINS0_14default_configENS1_36segmented_radix_sort_config_selectorIblEEZNS1_25segmented_radix_sort_implIS3_Lb0EPKbPbPKlPlN2at6native12_GLOBAL__N_18offset_tEEE10hipError_tPvRmT1_PNSt15iterator_traitsISK_E10value_typeET2_T3_PNSL_ISQ_E10value_typeET4_jRbjT5_SW_jjP12ihipStream_tbEUlT_E1_NS1_11comp_targetILNS1_3genE9ELNS1_11target_archE1100ELNS1_3gpuE3ELNS1_3repE0EEENS1_59segmented_radix_sort_warp_sort_small_config_static_selectorELNS0_4arch9wavefront6targetE1EEEvSK_.uses_flat_scratch, 0
	.set _ZN7rocprim17ROCPRIM_400000_NS6detail17trampoline_kernelINS0_14default_configENS1_36segmented_radix_sort_config_selectorIblEEZNS1_25segmented_radix_sort_implIS3_Lb0EPKbPbPKlPlN2at6native12_GLOBAL__N_18offset_tEEE10hipError_tPvRmT1_PNSt15iterator_traitsISK_E10value_typeET2_T3_PNSL_ISQ_E10value_typeET4_jRbjT5_SW_jjP12ihipStream_tbEUlT_E1_NS1_11comp_targetILNS1_3genE9ELNS1_11target_archE1100ELNS1_3gpuE3ELNS1_3repE0EEENS1_59segmented_radix_sort_warp_sort_small_config_static_selectorELNS0_4arch9wavefront6targetE1EEEvSK_.has_dyn_sized_stack, 0
	.set _ZN7rocprim17ROCPRIM_400000_NS6detail17trampoline_kernelINS0_14default_configENS1_36segmented_radix_sort_config_selectorIblEEZNS1_25segmented_radix_sort_implIS3_Lb0EPKbPbPKlPlN2at6native12_GLOBAL__N_18offset_tEEE10hipError_tPvRmT1_PNSt15iterator_traitsISK_E10value_typeET2_T3_PNSL_ISQ_E10value_typeET4_jRbjT5_SW_jjP12ihipStream_tbEUlT_E1_NS1_11comp_targetILNS1_3genE9ELNS1_11target_archE1100ELNS1_3gpuE3ELNS1_3repE0EEENS1_59segmented_radix_sort_warp_sort_small_config_static_selectorELNS0_4arch9wavefront6targetE1EEEvSK_.has_recursion, 0
	.set _ZN7rocprim17ROCPRIM_400000_NS6detail17trampoline_kernelINS0_14default_configENS1_36segmented_radix_sort_config_selectorIblEEZNS1_25segmented_radix_sort_implIS3_Lb0EPKbPbPKlPlN2at6native12_GLOBAL__N_18offset_tEEE10hipError_tPvRmT1_PNSt15iterator_traitsISK_E10value_typeET2_T3_PNSL_ISQ_E10value_typeET4_jRbjT5_SW_jjP12ihipStream_tbEUlT_E1_NS1_11comp_targetILNS1_3genE9ELNS1_11target_archE1100ELNS1_3gpuE3ELNS1_3repE0EEENS1_59segmented_radix_sort_warp_sort_small_config_static_selectorELNS0_4arch9wavefront6targetE1EEEvSK_.has_indirect_call, 0
	.section	.AMDGPU.csdata,"",@progbits
; Kernel info:
; codeLenInByte = 0
; TotalNumSgprs: 4
; NumVgprs: 0
; ScratchSize: 0
; MemoryBound: 0
; FloatMode: 240
; IeeeMode: 1
; LDSByteSize: 0 bytes/workgroup (compile time only)
; SGPRBlocks: 0
; VGPRBlocks: 0
; NumSGPRsForWavesPerEU: 4
; NumVGPRsForWavesPerEU: 1
; Occupancy: 10
; WaveLimiterHint : 0
; COMPUTE_PGM_RSRC2:SCRATCH_EN: 0
; COMPUTE_PGM_RSRC2:USER_SGPR: 6
; COMPUTE_PGM_RSRC2:TRAP_HANDLER: 0
; COMPUTE_PGM_RSRC2:TGID_X_EN: 1
; COMPUTE_PGM_RSRC2:TGID_Y_EN: 0
; COMPUTE_PGM_RSRC2:TGID_Z_EN: 0
; COMPUTE_PGM_RSRC2:TIDIG_COMP_CNT: 0
	.section	.text._ZN7rocprim17ROCPRIM_400000_NS6detail17trampoline_kernelINS0_14default_configENS1_36segmented_radix_sort_config_selectorIblEEZNS1_25segmented_radix_sort_implIS3_Lb0EPKbPbPKlPlN2at6native12_GLOBAL__N_18offset_tEEE10hipError_tPvRmT1_PNSt15iterator_traitsISK_E10value_typeET2_T3_PNSL_ISQ_E10value_typeET4_jRbjT5_SW_jjP12ihipStream_tbEUlT_E1_NS1_11comp_targetILNS1_3genE8ELNS1_11target_archE1030ELNS1_3gpuE2ELNS1_3repE0EEENS1_59segmented_radix_sort_warp_sort_small_config_static_selectorELNS0_4arch9wavefront6targetE1EEEvSK_,"axG",@progbits,_ZN7rocprim17ROCPRIM_400000_NS6detail17trampoline_kernelINS0_14default_configENS1_36segmented_radix_sort_config_selectorIblEEZNS1_25segmented_radix_sort_implIS3_Lb0EPKbPbPKlPlN2at6native12_GLOBAL__N_18offset_tEEE10hipError_tPvRmT1_PNSt15iterator_traitsISK_E10value_typeET2_T3_PNSL_ISQ_E10value_typeET4_jRbjT5_SW_jjP12ihipStream_tbEUlT_E1_NS1_11comp_targetILNS1_3genE8ELNS1_11target_archE1030ELNS1_3gpuE2ELNS1_3repE0EEENS1_59segmented_radix_sort_warp_sort_small_config_static_selectorELNS0_4arch9wavefront6targetE1EEEvSK_,comdat
	.globl	_ZN7rocprim17ROCPRIM_400000_NS6detail17trampoline_kernelINS0_14default_configENS1_36segmented_radix_sort_config_selectorIblEEZNS1_25segmented_radix_sort_implIS3_Lb0EPKbPbPKlPlN2at6native12_GLOBAL__N_18offset_tEEE10hipError_tPvRmT1_PNSt15iterator_traitsISK_E10value_typeET2_T3_PNSL_ISQ_E10value_typeET4_jRbjT5_SW_jjP12ihipStream_tbEUlT_E1_NS1_11comp_targetILNS1_3genE8ELNS1_11target_archE1030ELNS1_3gpuE2ELNS1_3repE0EEENS1_59segmented_radix_sort_warp_sort_small_config_static_selectorELNS0_4arch9wavefront6targetE1EEEvSK_ ; -- Begin function _ZN7rocprim17ROCPRIM_400000_NS6detail17trampoline_kernelINS0_14default_configENS1_36segmented_radix_sort_config_selectorIblEEZNS1_25segmented_radix_sort_implIS3_Lb0EPKbPbPKlPlN2at6native12_GLOBAL__N_18offset_tEEE10hipError_tPvRmT1_PNSt15iterator_traitsISK_E10value_typeET2_T3_PNSL_ISQ_E10value_typeET4_jRbjT5_SW_jjP12ihipStream_tbEUlT_E1_NS1_11comp_targetILNS1_3genE8ELNS1_11target_archE1030ELNS1_3gpuE2ELNS1_3repE0EEENS1_59segmented_radix_sort_warp_sort_small_config_static_selectorELNS0_4arch9wavefront6targetE1EEEvSK_
	.p2align	8
	.type	_ZN7rocprim17ROCPRIM_400000_NS6detail17trampoline_kernelINS0_14default_configENS1_36segmented_radix_sort_config_selectorIblEEZNS1_25segmented_radix_sort_implIS3_Lb0EPKbPbPKlPlN2at6native12_GLOBAL__N_18offset_tEEE10hipError_tPvRmT1_PNSt15iterator_traitsISK_E10value_typeET2_T3_PNSL_ISQ_E10value_typeET4_jRbjT5_SW_jjP12ihipStream_tbEUlT_E1_NS1_11comp_targetILNS1_3genE8ELNS1_11target_archE1030ELNS1_3gpuE2ELNS1_3repE0EEENS1_59segmented_radix_sort_warp_sort_small_config_static_selectorELNS0_4arch9wavefront6targetE1EEEvSK_,@function
_ZN7rocprim17ROCPRIM_400000_NS6detail17trampoline_kernelINS0_14default_configENS1_36segmented_radix_sort_config_selectorIblEEZNS1_25segmented_radix_sort_implIS3_Lb0EPKbPbPKlPlN2at6native12_GLOBAL__N_18offset_tEEE10hipError_tPvRmT1_PNSt15iterator_traitsISK_E10value_typeET2_T3_PNSL_ISQ_E10value_typeET4_jRbjT5_SW_jjP12ihipStream_tbEUlT_E1_NS1_11comp_targetILNS1_3genE8ELNS1_11target_archE1030ELNS1_3gpuE2ELNS1_3repE0EEENS1_59segmented_radix_sort_warp_sort_small_config_static_selectorELNS0_4arch9wavefront6targetE1EEEvSK_: ; @_ZN7rocprim17ROCPRIM_400000_NS6detail17trampoline_kernelINS0_14default_configENS1_36segmented_radix_sort_config_selectorIblEEZNS1_25segmented_radix_sort_implIS3_Lb0EPKbPbPKlPlN2at6native12_GLOBAL__N_18offset_tEEE10hipError_tPvRmT1_PNSt15iterator_traitsISK_E10value_typeET2_T3_PNSL_ISQ_E10value_typeET4_jRbjT5_SW_jjP12ihipStream_tbEUlT_E1_NS1_11comp_targetILNS1_3genE8ELNS1_11target_archE1030ELNS1_3gpuE2ELNS1_3repE0EEENS1_59segmented_radix_sort_warp_sort_small_config_static_selectorELNS0_4arch9wavefront6targetE1EEEvSK_
; %bb.0:
	.section	.rodata,"a",@progbits
	.p2align	6, 0x0
	.amdhsa_kernel _ZN7rocprim17ROCPRIM_400000_NS6detail17trampoline_kernelINS0_14default_configENS1_36segmented_radix_sort_config_selectorIblEEZNS1_25segmented_radix_sort_implIS3_Lb0EPKbPbPKlPlN2at6native12_GLOBAL__N_18offset_tEEE10hipError_tPvRmT1_PNSt15iterator_traitsISK_E10value_typeET2_T3_PNSL_ISQ_E10value_typeET4_jRbjT5_SW_jjP12ihipStream_tbEUlT_E1_NS1_11comp_targetILNS1_3genE8ELNS1_11target_archE1030ELNS1_3gpuE2ELNS1_3repE0EEENS1_59segmented_radix_sort_warp_sort_small_config_static_selectorELNS0_4arch9wavefront6targetE1EEEvSK_
		.amdhsa_group_segment_fixed_size 0
		.amdhsa_private_segment_fixed_size 0
		.amdhsa_kernarg_size 88
		.amdhsa_user_sgpr_count 6
		.amdhsa_user_sgpr_private_segment_buffer 1
		.amdhsa_user_sgpr_dispatch_ptr 0
		.amdhsa_user_sgpr_queue_ptr 0
		.amdhsa_user_sgpr_kernarg_segment_ptr 1
		.amdhsa_user_sgpr_dispatch_id 0
		.amdhsa_user_sgpr_flat_scratch_init 0
		.amdhsa_user_sgpr_private_segment_size 0
		.amdhsa_uses_dynamic_stack 0
		.amdhsa_system_sgpr_private_segment_wavefront_offset 0
		.amdhsa_system_sgpr_workgroup_id_x 1
		.amdhsa_system_sgpr_workgroup_id_y 0
		.amdhsa_system_sgpr_workgroup_id_z 0
		.amdhsa_system_sgpr_workgroup_info 0
		.amdhsa_system_vgpr_workitem_id 0
		.amdhsa_next_free_vgpr 1
		.amdhsa_next_free_sgpr 0
		.amdhsa_reserve_vcc 0
		.amdhsa_reserve_flat_scratch 0
		.amdhsa_float_round_mode_32 0
		.amdhsa_float_round_mode_16_64 0
		.amdhsa_float_denorm_mode_32 3
		.amdhsa_float_denorm_mode_16_64 3
		.amdhsa_dx10_clamp 1
		.amdhsa_ieee_mode 1
		.amdhsa_fp16_overflow 0
		.amdhsa_exception_fp_ieee_invalid_op 0
		.amdhsa_exception_fp_denorm_src 0
		.amdhsa_exception_fp_ieee_div_zero 0
		.amdhsa_exception_fp_ieee_overflow 0
		.amdhsa_exception_fp_ieee_underflow 0
		.amdhsa_exception_fp_ieee_inexact 0
		.amdhsa_exception_int_div_zero 0
	.end_amdhsa_kernel
	.section	.text._ZN7rocprim17ROCPRIM_400000_NS6detail17trampoline_kernelINS0_14default_configENS1_36segmented_radix_sort_config_selectorIblEEZNS1_25segmented_radix_sort_implIS3_Lb0EPKbPbPKlPlN2at6native12_GLOBAL__N_18offset_tEEE10hipError_tPvRmT1_PNSt15iterator_traitsISK_E10value_typeET2_T3_PNSL_ISQ_E10value_typeET4_jRbjT5_SW_jjP12ihipStream_tbEUlT_E1_NS1_11comp_targetILNS1_3genE8ELNS1_11target_archE1030ELNS1_3gpuE2ELNS1_3repE0EEENS1_59segmented_radix_sort_warp_sort_small_config_static_selectorELNS0_4arch9wavefront6targetE1EEEvSK_,"axG",@progbits,_ZN7rocprim17ROCPRIM_400000_NS6detail17trampoline_kernelINS0_14default_configENS1_36segmented_radix_sort_config_selectorIblEEZNS1_25segmented_radix_sort_implIS3_Lb0EPKbPbPKlPlN2at6native12_GLOBAL__N_18offset_tEEE10hipError_tPvRmT1_PNSt15iterator_traitsISK_E10value_typeET2_T3_PNSL_ISQ_E10value_typeET4_jRbjT5_SW_jjP12ihipStream_tbEUlT_E1_NS1_11comp_targetILNS1_3genE8ELNS1_11target_archE1030ELNS1_3gpuE2ELNS1_3repE0EEENS1_59segmented_radix_sort_warp_sort_small_config_static_selectorELNS0_4arch9wavefront6targetE1EEEvSK_,comdat
.Lfunc_end1664:
	.size	_ZN7rocprim17ROCPRIM_400000_NS6detail17trampoline_kernelINS0_14default_configENS1_36segmented_radix_sort_config_selectorIblEEZNS1_25segmented_radix_sort_implIS3_Lb0EPKbPbPKlPlN2at6native12_GLOBAL__N_18offset_tEEE10hipError_tPvRmT1_PNSt15iterator_traitsISK_E10value_typeET2_T3_PNSL_ISQ_E10value_typeET4_jRbjT5_SW_jjP12ihipStream_tbEUlT_E1_NS1_11comp_targetILNS1_3genE8ELNS1_11target_archE1030ELNS1_3gpuE2ELNS1_3repE0EEENS1_59segmented_radix_sort_warp_sort_small_config_static_selectorELNS0_4arch9wavefront6targetE1EEEvSK_, .Lfunc_end1664-_ZN7rocprim17ROCPRIM_400000_NS6detail17trampoline_kernelINS0_14default_configENS1_36segmented_radix_sort_config_selectorIblEEZNS1_25segmented_radix_sort_implIS3_Lb0EPKbPbPKlPlN2at6native12_GLOBAL__N_18offset_tEEE10hipError_tPvRmT1_PNSt15iterator_traitsISK_E10value_typeET2_T3_PNSL_ISQ_E10value_typeET4_jRbjT5_SW_jjP12ihipStream_tbEUlT_E1_NS1_11comp_targetILNS1_3genE8ELNS1_11target_archE1030ELNS1_3gpuE2ELNS1_3repE0EEENS1_59segmented_radix_sort_warp_sort_small_config_static_selectorELNS0_4arch9wavefront6targetE1EEEvSK_
                                        ; -- End function
	.set _ZN7rocprim17ROCPRIM_400000_NS6detail17trampoline_kernelINS0_14default_configENS1_36segmented_radix_sort_config_selectorIblEEZNS1_25segmented_radix_sort_implIS3_Lb0EPKbPbPKlPlN2at6native12_GLOBAL__N_18offset_tEEE10hipError_tPvRmT1_PNSt15iterator_traitsISK_E10value_typeET2_T3_PNSL_ISQ_E10value_typeET4_jRbjT5_SW_jjP12ihipStream_tbEUlT_E1_NS1_11comp_targetILNS1_3genE8ELNS1_11target_archE1030ELNS1_3gpuE2ELNS1_3repE0EEENS1_59segmented_radix_sort_warp_sort_small_config_static_selectorELNS0_4arch9wavefront6targetE1EEEvSK_.num_vgpr, 0
	.set _ZN7rocprim17ROCPRIM_400000_NS6detail17trampoline_kernelINS0_14default_configENS1_36segmented_radix_sort_config_selectorIblEEZNS1_25segmented_radix_sort_implIS3_Lb0EPKbPbPKlPlN2at6native12_GLOBAL__N_18offset_tEEE10hipError_tPvRmT1_PNSt15iterator_traitsISK_E10value_typeET2_T3_PNSL_ISQ_E10value_typeET4_jRbjT5_SW_jjP12ihipStream_tbEUlT_E1_NS1_11comp_targetILNS1_3genE8ELNS1_11target_archE1030ELNS1_3gpuE2ELNS1_3repE0EEENS1_59segmented_radix_sort_warp_sort_small_config_static_selectorELNS0_4arch9wavefront6targetE1EEEvSK_.num_agpr, 0
	.set _ZN7rocprim17ROCPRIM_400000_NS6detail17trampoline_kernelINS0_14default_configENS1_36segmented_radix_sort_config_selectorIblEEZNS1_25segmented_radix_sort_implIS3_Lb0EPKbPbPKlPlN2at6native12_GLOBAL__N_18offset_tEEE10hipError_tPvRmT1_PNSt15iterator_traitsISK_E10value_typeET2_T3_PNSL_ISQ_E10value_typeET4_jRbjT5_SW_jjP12ihipStream_tbEUlT_E1_NS1_11comp_targetILNS1_3genE8ELNS1_11target_archE1030ELNS1_3gpuE2ELNS1_3repE0EEENS1_59segmented_radix_sort_warp_sort_small_config_static_selectorELNS0_4arch9wavefront6targetE1EEEvSK_.numbered_sgpr, 0
	.set _ZN7rocprim17ROCPRIM_400000_NS6detail17trampoline_kernelINS0_14default_configENS1_36segmented_radix_sort_config_selectorIblEEZNS1_25segmented_radix_sort_implIS3_Lb0EPKbPbPKlPlN2at6native12_GLOBAL__N_18offset_tEEE10hipError_tPvRmT1_PNSt15iterator_traitsISK_E10value_typeET2_T3_PNSL_ISQ_E10value_typeET4_jRbjT5_SW_jjP12ihipStream_tbEUlT_E1_NS1_11comp_targetILNS1_3genE8ELNS1_11target_archE1030ELNS1_3gpuE2ELNS1_3repE0EEENS1_59segmented_radix_sort_warp_sort_small_config_static_selectorELNS0_4arch9wavefront6targetE1EEEvSK_.num_named_barrier, 0
	.set _ZN7rocprim17ROCPRIM_400000_NS6detail17trampoline_kernelINS0_14default_configENS1_36segmented_radix_sort_config_selectorIblEEZNS1_25segmented_radix_sort_implIS3_Lb0EPKbPbPKlPlN2at6native12_GLOBAL__N_18offset_tEEE10hipError_tPvRmT1_PNSt15iterator_traitsISK_E10value_typeET2_T3_PNSL_ISQ_E10value_typeET4_jRbjT5_SW_jjP12ihipStream_tbEUlT_E1_NS1_11comp_targetILNS1_3genE8ELNS1_11target_archE1030ELNS1_3gpuE2ELNS1_3repE0EEENS1_59segmented_radix_sort_warp_sort_small_config_static_selectorELNS0_4arch9wavefront6targetE1EEEvSK_.private_seg_size, 0
	.set _ZN7rocprim17ROCPRIM_400000_NS6detail17trampoline_kernelINS0_14default_configENS1_36segmented_radix_sort_config_selectorIblEEZNS1_25segmented_radix_sort_implIS3_Lb0EPKbPbPKlPlN2at6native12_GLOBAL__N_18offset_tEEE10hipError_tPvRmT1_PNSt15iterator_traitsISK_E10value_typeET2_T3_PNSL_ISQ_E10value_typeET4_jRbjT5_SW_jjP12ihipStream_tbEUlT_E1_NS1_11comp_targetILNS1_3genE8ELNS1_11target_archE1030ELNS1_3gpuE2ELNS1_3repE0EEENS1_59segmented_radix_sort_warp_sort_small_config_static_selectorELNS0_4arch9wavefront6targetE1EEEvSK_.uses_vcc, 0
	.set _ZN7rocprim17ROCPRIM_400000_NS6detail17trampoline_kernelINS0_14default_configENS1_36segmented_radix_sort_config_selectorIblEEZNS1_25segmented_radix_sort_implIS3_Lb0EPKbPbPKlPlN2at6native12_GLOBAL__N_18offset_tEEE10hipError_tPvRmT1_PNSt15iterator_traitsISK_E10value_typeET2_T3_PNSL_ISQ_E10value_typeET4_jRbjT5_SW_jjP12ihipStream_tbEUlT_E1_NS1_11comp_targetILNS1_3genE8ELNS1_11target_archE1030ELNS1_3gpuE2ELNS1_3repE0EEENS1_59segmented_radix_sort_warp_sort_small_config_static_selectorELNS0_4arch9wavefront6targetE1EEEvSK_.uses_flat_scratch, 0
	.set _ZN7rocprim17ROCPRIM_400000_NS6detail17trampoline_kernelINS0_14default_configENS1_36segmented_radix_sort_config_selectorIblEEZNS1_25segmented_radix_sort_implIS3_Lb0EPKbPbPKlPlN2at6native12_GLOBAL__N_18offset_tEEE10hipError_tPvRmT1_PNSt15iterator_traitsISK_E10value_typeET2_T3_PNSL_ISQ_E10value_typeET4_jRbjT5_SW_jjP12ihipStream_tbEUlT_E1_NS1_11comp_targetILNS1_3genE8ELNS1_11target_archE1030ELNS1_3gpuE2ELNS1_3repE0EEENS1_59segmented_radix_sort_warp_sort_small_config_static_selectorELNS0_4arch9wavefront6targetE1EEEvSK_.has_dyn_sized_stack, 0
	.set _ZN7rocprim17ROCPRIM_400000_NS6detail17trampoline_kernelINS0_14default_configENS1_36segmented_radix_sort_config_selectorIblEEZNS1_25segmented_radix_sort_implIS3_Lb0EPKbPbPKlPlN2at6native12_GLOBAL__N_18offset_tEEE10hipError_tPvRmT1_PNSt15iterator_traitsISK_E10value_typeET2_T3_PNSL_ISQ_E10value_typeET4_jRbjT5_SW_jjP12ihipStream_tbEUlT_E1_NS1_11comp_targetILNS1_3genE8ELNS1_11target_archE1030ELNS1_3gpuE2ELNS1_3repE0EEENS1_59segmented_radix_sort_warp_sort_small_config_static_selectorELNS0_4arch9wavefront6targetE1EEEvSK_.has_recursion, 0
	.set _ZN7rocprim17ROCPRIM_400000_NS6detail17trampoline_kernelINS0_14default_configENS1_36segmented_radix_sort_config_selectorIblEEZNS1_25segmented_radix_sort_implIS3_Lb0EPKbPbPKlPlN2at6native12_GLOBAL__N_18offset_tEEE10hipError_tPvRmT1_PNSt15iterator_traitsISK_E10value_typeET2_T3_PNSL_ISQ_E10value_typeET4_jRbjT5_SW_jjP12ihipStream_tbEUlT_E1_NS1_11comp_targetILNS1_3genE8ELNS1_11target_archE1030ELNS1_3gpuE2ELNS1_3repE0EEENS1_59segmented_radix_sort_warp_sort_small_config_static_selectorELNS0_4arch9wavefront6targetE1EEEvSK_.has_indirect_call, 0
	.section	.AMDGPU.csdata,"",@progbits
; Kernel info:
; codeLenInByte = 0
; TotalNumSgprs: 4
; NumVgprs: 0
; ScratchSize: 0
; MemoryBound: 0
; FloatMode: 240
; IeeeMode: 1
; LDSByteSize: 0 bytes/workgroup (compile time only)
; SGPRBlocks: 0
; VGPRBlocks: 0
; NumSGPRsForWavesPerEU: 4
; NumVGPRsForWavesPerEU: 1
; Occupancy: 10
; WaveLimiterHint : 0
; COMPUTE_PGM_RSRC2:SCRATCH_EN: 0
; COMPUTE_PGM_RSRC2:USER_SGPR: 6
; COMPUTE_PGM_RSRC2:TRAP_HANDLER: 0
; COMPUTE_PGM_RSRC2:TGID_X_EN: 1
; COMPUTE_PGM_RSRC2:TGID_Y_EN: 0
; COMPUTE_PGM_RSRC2:TGID_Z_EN: 0
; COMPUTE_PGM_RSRC2:TIDIG_COMP_CNT: 0
	.section	.text._ZN7rocprim17ROCPRIM_400000_NS6detail17trampoline_kernelINS0_14default_configENS1_36segmented_radix_sort_config_selectorIblEEZNS1_25segmented_radix_sort_implIS3_Lb0EPKbPbPKlPlN2at6native12_GLOBAL__N_18offset_tEEE10hipError_tPvRmT1_PNSt15iterator_traitsISK_E10value_typeET2_T3_PNSL_ISQ_E10value_typeET4_jRbjT5_SW_jjP12ihipStream_tbEUlT_E2_NS1_11comp_targetILNS1_3genE0ELNS1_11target_archE4294967295ELNS1_3gpuE0ELNS1_3repE0EEENS1_30default_config_static_selectorELNS0_4arch9wavefront6targetE1EEEvSK_,"axG",@progbits,_ZN7rocprim17ROCPRIM_400000_NS6detail17trampoline_kernelINS0_14default_configENS1_36segmented_radix_sort_config_selectorIblEEZNS1_25segmented_radix_sort_implIS3_Lb0EPKbPbPKlPlN2at6native12_GLOBAL__N_18offset_tEEE10hipError_tPvRmT1_PNSt15iterator_traitsISK_E10value_typeET2_T3_PNSL_ISQ_E10value_typeET4_jRbjT5_SW_jjP12ihipStream_tbEUlT_E2_NS1_11comp_targetILNS1_3genE0ELNS1_11target_archE4294967295ELNS1_3gpuE0ELNS1_3repE0EEENS1_30default_config_static_selectorELNS0_4arch9wavefront6targetE1EEEvSK_,comdat
	.globl	_ZN7rocprim17ROCPRIM_400000_NS6detail17trampoline_kernelINS0_14default_configENS1_36segmented_radix_sort_config_selectorIblEEZNS1_25segmented_radix_sort_implIS3_Lb0EPKbPbPKlPlN2at6native12_GLOBAL__N_18offset_tEEE10hipError_tPvRmT1_PNSt15iterator_traitsISK_E10value_typeET2_T3_PNSL_ISQ_E10value_typeET4_jRbjT5_SW_jjP12ihipStream_tbEUlT_E2_NS1_11comp_targetILNS1_3genE0ELNS1_11target_archE4294967295ELNS1_3gpuE0ELNS1_3repE0EEENS1_30default_config_static_selectorELNS0_4arch9wavefront6targetE1EEEvSK_ ; -- Begin function _ZN7rocprim17ROCPRIM_400000_NS6detail17trampoline_kernelINS0_14default_configENS1_36segmented_radix_sort_config_selectorIblEEZNS1_25segmented_radix_sort_implIS3_Lb0EPKbPbPKlPlN2at6native12_GLOBAL__N_18offset_tEEE10hipError_tPvRmT1_PNSt15iterator_traitsISK_E10value_typeET2_T3_PNSL_ISQ_E10value_typeET4_jRbjT5_SW_jjP12ihipStream_tbEUlT_E2_NS1_11comp_targetILNS1_3genE0ELNS1_11target_archE4294967295ELNS1_3gpuE0ELNS1_3repE0EEENS1_30default_config_static_selectorELNS0_4arch9wavefront6targetE1EEEvSK_
	.p2align	8
	.type	_ZN7rocprim17ROCPRIM_400000_NS6detail17trampoline_kernelINS0_14default_configENS1_36segmented_radix_sort_config_selectorIblEEZNS1_25segmented_radix_sort_implIS3_Lb0EPKbPbPKlPlN2at6native12_GLOBAL__N_18offset_tEEE10hipError_tPvRmT1_PNSt15iterator_traitsISK_E10value_typeET2_T3_PNSL_ISQ_E10value_typeET4_jRbjT5_SW_jjP12ihipStream_tbEUlT_E2_NS1_11comp_targetILNS1_3genE0ELNS1_11target_archE4294967295ELNS1_3gpuE0ELNS1_3repE0EEENS1_30default_config_static_selectorELNS0_4arch9wavefront6targetE1EEEvSK_,@function
_ZN7rocprim17ROCPRIM_400000_NS6detail17trampoline_kernelINS0_14default_configENS1_36segmented_radix_sort_config_selectorIblEEZNS1_25segmented_radix_sort_implIS3_Lb0EPKbPbPKlPlN2at6native12_GLOBAL__N_18offset_tEEE10hipError_tPvRmT1_PNSt15iterator_traitsISK_E10value_typeET2_T3_PNSL_ISQ_E10value_typeET4_jRbjT5_SW_jjP12ihipStream_tbEUlT_E2_NS1_11comp_targetILNS1_3genE0ELNS1_11target_archE4294967295ELNS1_3gpuE0ELNS1_3repE0EEENS1_30default_config_static_selectorELNS0_4arch9wavefront6targetE1EEEvSK_: ; @_ZN7rocprim17ROCPRIM_400000_NS6detail17trampoline_kernelINS0_14default_configENS1_36segmented_radix_sort_config_selectorIblEEZNS1_25segmented_radix_sort_implIS3_Lb0EPKbPbPKlPlN2at6native12_GLOBAL__N_18offset_tEEE10hipError_tPvRmT1_PNSt15iterator_traitsISK_E10value_typeET2_T3_PNSL_ISQ_E10value_typeET4_jRbjT5_SW_jjP12ihipStream_tbEUlT_E2_NS1_11comp_targetILNS1_3genE0ELNS1_11target_archE4294967295ELNS1_3gpuE0ELNS1_3repE0EEENS1_30default_config_static_selectorELNS0_4arch9wavefront6targetE1EEEvSK_
; %bb.0:
	.section	.rodata,"a",@progbits
	.p2align	6, 0x0
	.amdhsa_kernel _ZN7rocprim17ROCPRIM_400000_NS6detail17trampoline_kernelINS0_14default_configENS1_36segmented_radix_sort_config_selectorIblEEZNS1_25segmented_radix_sort_implIS3_Lb0EPKbPbPKlPlN2at6native12_GLOBAL__N_18offset_tEEE10hipError_tPvRmT1_PNSt15iterator_traitsISK_E10value_typeET2_T3_PNSL_ISQ_E10value_typeET4_jRbjT5_SW_jjP12ihipStream_tbEUlT_E2_NS1_11comp_targetILNS1_3genE0ELNS1_11target_archE4294967295ELNS1_3gpuE0ELNS1_3repE0EEENS1_30default_config_static_selectorELNS0_4arch9wavefront6targetE1EEEvSK_
		.amdhsa_group_segment_fixed_size 0
		.amdhsa_private_segment_fixed_size 0
		.amdhsa_kernarg_size 80
		.amdhsa_user_sgpr_count 6
		.amdhsa_user_sgpr_private_segment_buffer 1
		.amdhsa_user_sgpr_dispatch_ptr 0
		.amdhsa_user_sgpr_queue_ptr 0
		.amdhsa_user_sgpr_kernarg_segment_ptr 1
		.amdhsa_user_sgpr_dispatch_id 0
		.amdhsa_user_sgpr_flat_scratch_init 0
		.amdhsa_user_sgpr_private_segment_size 0
		.amdhsa_uses_dynamic_stack 0
		.amdhsa_system_sgpr_private_segment_wavefront_offset 0
		.amdhsa_system_sgpr_workgroup_id_x 1
		.amdhsa_system_sgpr_workgroup_id_y 0
		.amdhsa_system_sgpr_workgroup_id_z 0
		.amdhsa_system_sgpr_workgroup_info 0
		.amdhsa_system_vgpr_workitem_id 0
		.amdhsa_next_free_vgpr 1
		.amdhsa_next_free_sgpr 0
		.amdhsa_reserve_vcc 0
		.amdhsa_reserve_flat_scratch 0
		.amdhsa_float_round_mode_32 0
		.amdhsa_float_round_mode_16_64 0
		.amdhsa_float_denorm_mode_32 3
		.amdhsa_float_denorm_mode_16_64 3
		.amdhsa_dx10_clamp 1
		.amdhsa_ieee_mode 1
		.amdhsa_fp16_overflow 0
		.amdhsa_exception_fp_ieee_invalid_op 0
		.amdhsa_exception_fp_denorm_src 0
		.amdhsa_exception_fp_ieee_div_zero 0
		.amdhsa_exception_fp_ieee_overflow 0
		.amdhsa_exception_fp_ieee_underflow 0
		.amdhsa_exception_fp_ieee_inexact 0
		.amdhsa_exception_int_div_zero 0
	.end_amdhsa_kernel
	.section	.text._ZN7rocprim17ROCPRIM_400000_NS6detail17trampoline_kernelINS0_14default_configENS1_36segmented_radix_sort_config_selectorIblEEZNS1_25segmented_radix_sort_implIS3_Lb0EPKbPbPKlPlN2at6native12_GLOBAL__N_18offset_tEEE10hipError_tPvRmT1_PNSt15iterator_traitsISK_E10value_typeET2_T3_PNSL_ISQ_E10value_typeET4_jRbjT5_SW_jjP12ihipStream_tbEUlT_E2_NS1_11comp_targetILNS1_3genE0ELNS1_11target_archE4294967295ELNS1_3gpuE0ELNS1_3repE0EEENS1_30default_config_static_selectorELNS0_4arch9wavefront6targetE1EEEvSK_,"axG",@progbits,_ZN7rocprim17ROCPRIM_400000_NS6detail17trampoline_kernelINS0_14default_configENS1_36segmented_radix_sort_config_selectorIblEEZNS1_25segmented_radix_sort_implIS3_Lb0EPKbPbPKlPlN2at6native12_GLOBAL__N_18offset_tEEE10hipError_tPvRmT1_PNSt15iterator_traitsISK_E10value_typeET2_T3_PNSL_ISQ_E10value_typeET4_jRbjT5_SW_jjP12ihipStream_tbEUlT_E2_NS1_11comp_targetILNS1_3genE0ELNS1_11target_archE4294967295ELNS1_3gpuE0ELNS1_3repE0EEENS1_30default_config_static_selectorELNS0_4arch9wavefront6targetE1EEEvSK_,comdat
.Lfunc_end1665:
	.size	_ZN7rocprim17ROCPRIM_400000_NS6detail17trampoline_kernelINS0_14default_configENS1_36segmented_radix_sort_config_selectorIblEEZNS1_25segmented_radix_sort_implIS3_Lb0EPKbPbPKlPlN2at6native12_GLOBAL__N_18offset_tEEE10hipError_tPvRmT1_PNSt15iterator_traitsISK_E10value_typeET2_T3_PNSL_ISQ_E10value_typeET4_jRbjT5_SW_jjP12ihipStream_tbEUlT_E2_NS1_11comp_targetILNS1_3genE0ELNS1_11target_archE4294967295ELNS1_3gpuE0ELNS1_3repE0EEENS1_30default_config_static_selectorELNS0_4arch9wavefront6targetE1EEEvSK_, .Lfunc_end1665-_ZN7rocprim17ROCPRIM_400000_NS6detail17trampoline_kernelINS0_14default_configENS1_36segmented_radix_sort_config_selectorIblEEZNS1_25segmented_radix_sort_implIS3_Lb0EPKbPbPKlPlN2at6native12_GLOBAL__N_18offset_tEEE10hipError_tPvRmT1_PNSt15iterator_traitsISK_E10value_typeET2_T3_PNSL_ISQ_E10value_typeET4_jRbjT5_SW_jjP12ihipStream_tbEUlT_E2_NS1_11comp_targetILNS1_3genE0ELNS1_11target_archE4294967295ELNS1_3gpuE0ELNS1_3repE0EEENS1_30default_config_static_selectorELNS0_4arch9wavefront6targetE1EEEvSK_
                                        ; -- End function
	.set _ZN7rocprim17ROCPRIM_400000_NS6detail17trampoline_kernelINS0_14default_configENS1_36segmented_radix_sort_config_selectorIblEEZNS1_25segmented_radix_sort_implIS3_Lb0EPKbPbPKlPlN2at6native12_GLOBAL__N_18offset_tEEE10hipError_tPvRmT1_PNSt15iterator_traitsISK_E10value_typeET2_T3_PNSL_ISQ_E10value_typeET4_jRbjT5_SW_jjP12ihipStream_tbEUlT_E2_NS1_11comp_targetILNS1_3genE0ELNS1_11target_archE4294967295ELNS1_3gpuE0ELNS1_3repE0EEENS1_30default_config_static_selectorELNS0_4arch9wavefront6targetE1EEEvSK_.num_vgpr, 0
	.set _ZN7rocprim17ROCPRIM_400000_NS6detail17trampoline_kernelINS0_14default_configENS1_36segmented_radix_sort_config_selectorIblEEZNS1_25segmented_radix_sort_implIS3_Lb0EPKbPbPKlPlN2at6native12_GLOBAL__N_18offset_tEEE10hipError_tPvRmT1_PNSt15iterator_traitsISK_E10value_typeET2_T3_PNSL_ISQ_E10value_typeET4_jRbjT5_SW_jjP12ihipStream_tbEUlT_E2_NS1_11comp_targetILNS1_3genE0ELNS1_11target_archE4294967295ELNS1_3gpuE0ELNS1_3repE0EEENS1_30default_config_static_selectorELNS0_4arch9wavefront6targetE1EEEvSK_.num_agpr, 0
	.set _ZN7rocprim17ROCPRIM_400000_NS6detail17trampoline_kernelINS0_14default_configENS1_36segmented_radix_sort_config_selectorIblEEZNS1_25segmented_radix_sort_implIS3_Lb0EPKbPbPKlPlN2at6native12_GLOBAL__N_18offset_tEEE10hipError_tPvRmT1_PNSt15iterator_traitsISK_E10value_typeET2_T3_PNSL_ISQ_E10value_typeET4_jRbjT5_SW_jjP12ihipStream_tbEUlT_E2_NS1_11comp_targetILNS1_3genE0ELNS1_11target_archE4294967295ELNS1_3gpuE0ELNS1_3repE0EEENS1_30default_config_static_selectorELNS0_4arch9wavefront6targetE1EEEvSK_.numbered_sgpr, 0
	.set _ZN7rocprim17ROCPRIM_400000_NS6detail17trampoline_kernelINS0_14default_configENS1_36segmented_radix_sort_config_selectorIblEEZNS1_25segmented_radix_sort_implIS3_Lb0EPKbPbPKlPlN2at6native12_GLOBAL__N_18offset_tEEE10hipError_tPvRmT1_PNSt15iterator_traitsISK_E10value_typeET2_T3_PNSL_ISQ_E10value_typeET4_jRbjT5_SW_jjP12ihipStream_tbEUlT_E2_NS1_11comp_targetILNS1_3genE0ELNS1_11target_archE4294967295ELNS1_3gpuE0ELNS1_3repE0EEENS1_30default_config_static_selectorELNS0_4arch9wavefront6targetE1EEEvSK_.num_named_barrier, 0
	.set _ZN7rocprim17ROCPRIM_400000_NS6detail17trampoline_kernelINS0_14default_configENS1_36segmented_radix_sort_config_selectorIblEEZNS1_25segmented_radix_sort_implIS3_Lb0EPKbPbPKlPlN2at6native12_GLOBAL__N_18offset_tEEE10hipError_tPvRmT1_PNSt15iterator_traitsISK_E10value_typeET2_T3_PNSL_ISQ_E10value_typeET4_jRbjT5_SW_jjP12ihipStream_tbEUlT_E2_NS1_11comp_targetILNS1_3genE0ELNS1_11target_archE4294967295ELNS1_3gpuE0ELNS1_3repE0EEENS1_30default_config_static_selectorELNS0_4arch9wavefront6targetE1EEEvSK_.private_seg_size, 0
	.set _ZN7rocprim17ROCPRIM_400000_NS6detail17trampoline_kernelINS0_14default_configENS1_36segmented_radix_sort_config_selectorIblEEZNS1_25segmented_radix_sort_implIS3_Lb0EPKbPbPKlPlN2at6native12_GLOBAL__N_18offset_tEEE10hipError_tPvRmT1_PNSt15iterator_traitsISK_E10value_typeET2_T3_PNSL_ISQ_E10value_typeET4_jRbjT5_SW_jjP12ihipStream_tbEUlT_E2_NS1_11comp_targetILNS1_3genE0ELNS1_11target_archE4294967295ELNS1_3gpuE0ELNS1_3repE0EEENS1_30default_config_static_selectorELNS0_4arch9wavefront6targetE1EEEvSK_.uses_vcc, 0
	.set _ZN7rocprim17ROCPRIM_400000_NS6detail17trampoline_kernelINS0_14default_configENS1_36segmented_radix_sort_config_selectorIblEEZNS1_25segmented_radix_sort_implIS3_Lb0EPKbPbPKlPlN2at6native12_GLOBAL__N_18offset_tEEE10hipError_tPvRmT1_PNSt15iterator_traitsISK_E10value_typeET2_T3_PNSL_ISQ_E10value_typeET4_jRbjT5_SW_jjP12ihipStream_tbEUlT_E2_NS1_11comp_targetILNS1_3genE0ELNS1_11target_archE4294967295ELNS1_3gpuE0ELNS1_3repE0EEENS1_30default_config_static_selectorELNS0_4arch9wavefront6targetE1EEEvSK_.uses_flat_scratch, 0
	.set _ZN7rocprim17ROCPRIM_400000_NS6detail17trampoline_kernelINS0_14default_configENS1_36segmented_radix_sort_config_selectorIblEEZNS1_25segmented_radix_sort_implIS3_Lb0EPKbPbPKlPlN2at6native12_GLOBAL__N_18offset_tEEE10hipError_tPvRmT1_PNSt15iterator_traitsISK_E10value_typeET2_T3_PNSL_ISQ_E10value_typeET4_jRbjT5_SW_jjP12ihipStream_tbEUlT_E2_NS1_11comp_targetILNS1_3genE0ELNS1_11target_archE4294967295ELNS1_3gpuE0ELNS1_3repE0EEENS1_30default_config_static_selectorELNS0_4arch9wavefront6targetE1EEEvSK_.has_dyn_sized_stack, 0
	.set _ZN7rocprim17ROCPRIM_400000_NS6detail17trampoline_kernelINS0_14default_configENS1_36segmented_radix_sort_config_selectorIblEEZNS1_25segmented_radix_sort_implIS3_Lb0EPKbPbPKlPlN2at6native12_GLOBAL__N_18offset_tEEE10hipError_tPvRmT1_PNSt15iterator_traitsISK_E10value_typeET2_T3_PNSL_ISQ_E10value_typeET4_jRbjT5_SW_jjP12ihipStream_tbEUlT_E2_NS1_11comp_targetILNS1_3genE0ELNS1_11target_archE4294967295ELNS1_3gpuE0ELNS1_3repE0EEENS1_30default_config_static_selectorELNS0_4arch9wavefront6targetE1EEEvSK_.has_recursion, 0
	.set _ZN7rocprim17ROCPRIM_400000_NS6detail17trampoline_kernelINS0_14default_configENS1_36segmented_radix_sort_config_selectorIblEEZNS1_25segmented_radix_sort_implIS3_Lb0EPKbPbPKlPlN2at6native12_GLOBAL__N_18offset_tEEE10hipError_tPvRmT1_PNSt15iterator_traitsISK_E10value_typeET2_T3_PNSL_ISQ_E10value_typeET4_jRbjT5_SW_jjP12ihipStream_tbEUlT_E2_NS1_11comp_targetILNS1_3genE0ELNS1_11target_archE4294967295ELNS1_3gpuE0ELNS1_3repE0EEENS1_30default_config_static_selectorELNS0_4arch9wavefront6targetE1EEEvSK_.has_indirect_call, 0
	.section	.AMDGPU.csdata,"",@progbits
; Kernel info:
; codeLenInByte = 0
; TotalNumSgprs: 4
; NumVgprs: 0
; ScratchSize: 0
; MemoryBound: 0
; FloatMode: 240
; IeeeMode: 1
; LDSByteSize: 0 bytes/workgroup (compile time only)
; SGPRBlocks: 0
; VGPRBlocks: 0
; NumSGPRsForWavesPerEU: 4
; NumVGPRsForWavesPerEU: 1
; Occupancy: 10
; WaveLimiterHint : 0
; COMPUTE_PGM_RSRC2:SCRATCH_EN: 0
; COMPUTE_PGM_RSRC2:USER_SGPR: 6
; COMPUTE_PGM_RSRC2:TRAP_HANDLER: 0
; COMPUTE_PGM_RSRC2:TGID_X_EN: 1
; COMPUTE_PGM_RSRC2:TGID_Y_EN: 0
; COMPUTE_PGM_RSRC2:TGID_Z_EN: 0
; COMPUTE_PGM_RSRC2:TIDIG_COMP_CNT: 0
	.section	.text._ZN7rocprim17ROCPRIM_400000_NS6detail17trampoline_kernelINS0_14default_configENS1_36segmented_radix_sort_config_selectorIblEEZNS1_25segmented_radix_sort_implIS3_Lb0EPKbPbPKlPlN2at6native12_GLOBAL__N_18offset_tEEE10hipError_tPvRmT1_PNSt15iterator_traitsISK_E10value_typeET2_T3_PNSL_ISQ_E10value_typeET4_jRbjT5_SW_jjP12ihipStream_tbEUlT_E2_NS1_11comp_targetILNS1_3genE5ELNS1_11target_archE942ELNS1_3gpuE9ELNS1_3repE0EEENS1_30default_config_static_selectorELNS0_4arch9wavefront6targetE1EEEvSK_,"axG",@progbits,_ZN7rocprim17ROCPRIM_400000_NS6detail17trampoline_kernelINS0_14default_configENS1_36segmented_radix_sort_config_selectorIblEEZNS1_25segmented_radix_sort_implIS3_Lb0EPKbPbPKlPlN2at6native12_GLOBAL__N_18offset_tEEE10hipError_tPvRmT1_PNSt15iterator_traitsISK_E10value_typeET2_T3_PNSL_ISQ_E10value_typeET4_jRbjT5_SW_jjP12ihipStream_tbEUlT_E2_NS1_11comp_targetILNS1_3genE5ELNS1_11target_archE942ELNS1_3gpuE9ELNS1_3repE0EEENS1_30default_config_static_selectorELNS0_4arch9wavefront6targetE1EEEvSK_,comdat
	.globl	_ZN7rocprim17ROCPRIM_400000_NS6detail17trampoline_kernelINS0_14default_configENS1_36segmented_radix_sort_config_selectorIblEEZNS1_25segmented_radix_sort_implIS3_Lb0EPKbPbPKlPlN2at6native12_GLOBAL__N_18offset_tEEE10hipError_tPvRmT1_PNSt15iterator_traitsISK_E10value_typeET2_T3_PNSL_ISQ_E10value_typeET4_jRbjT5_SW_jjP12ihipStream_tbEUlT_E2_NS1_11comp_targetILNS1_3genE5ELNS1_11target_archE942ELNS1_3gpuE9ELNS1_3repE0EEENS1_30default_config_static_selectorELNS0_4arch9wavefront6targetE1EEEvSK_ ; -- Begin function _ZN7rocprim17ROCPRIM_400000_NS6detail17trampoline_kernelINS0_14default_configENS1_36segmented_radix_sort_config_selectorIblEEZNS1_25segmented_radix_sort_implIS3_Lb0EPKbPbPKlPlN2at6native12_GLOBAL__N_18offset_tEEE10hipError_tPvRmT1_PNSt15iterator_traitsISK_E10value_typeET2_T3_PNSL_ISQ_E10value_typeET4_jRbjT5_SW_jjP12ihipStream_tbEUlT_E2_NS1_11comp_targetILNS1_3genE5ELNS1_11target_archE942ELNS1_3gpuE9ELNS1_3repE0EEENS1_30default_config_static_selectorELNS0_4arch9wavefront6targetE1EEEvSK_
	.p2align	8
	.type	_ZN7rocprim17ROCPRIM_400000_NS6detail17trampoline_kernelINS0_14default_configENS1_36segmented_radix_sort_config_selectorIblEEZNS1_25segmented_radix_sort_implIS3_Lb0EPKbPbPKlPlN2at6native12_GLOBAL__N_18offset_tEEE10hipError_tPvRmT1_PNSt15iterator_traitsISK_E10value_typeET2_T3_PNSL_ISQ_E10value_typeET4_jRbjT5_SW_jjP12ihipStream_tbEUlT_E2_NS1_11comp_targetILNS1_3genE5ELNS1_11target_archE942ELNS1_3gpuE9ELNS1_3repE0EEENS1_30default_config_static_selectorELNS0_4arch9wavefront6targetE1EEEvSK_,@function
_ZN7rocprim17ROCPRIM_400000_NS6detail17trampoline_kernelINS0_14default_configENS1_36segmented_radix_sort_config_selectorIblEEZNS1_25segmented_radix_sort_implIS3_Lb0EPKbPbPKlPlN2at6native12_GLOBAL__N_18offset_tEEE10hipError_tPvRmT1_PNSt15iterator_traitsISK_E10value_typeET2_T3_PNSL_ISQ_E10value_typeET4_jRbjT5_SW_jjP12ihipStream_tbEUlT_E2_NS1_11comp_targetILNS1_3genE5ELNS1_11target_archE942ELNS1_3gpuE9ELNS1_3repE0EEENS1_30default_config_static_selectorELNS0_4arch9wavefront6targetE1EEEvSK_: ; @_ZN7rocprim17ROCPRIM_400000_NS6detail17trampoline_kernelINS0_14default_configENS1_36segmented_radix_sort_config_selectorIblEEZNS1_25segmented_radix_sort_implIS3_Lb0EPKbPbPKlPlN2at6native12_GLOBAL__N_18offset_tEEE10hipError_tPvRmT1_PNSt15iterator_traitsISK_E10value_typeET2_T3_PNSL_ISQ_E10value_typeET4_jRbjT5_SW_jjP12ihipStream_tbEUlT_E2_NS1_11comp_targetILNS1_3genE5ELNS1_11target_archE942ELNS1_3gpuE9ELNS1_3repE0EEENS1_30default_config_static_selectorELNS0_4arch9wavefront6targetE1EEEvSK_
; %bb.0:
	.section	.rodata,"a",@progbits
	.p2align	6, 0x0
	.amdhsa_kernel _ZN7rocprim17ROCPRIM_400000_NS6detail17trampoline_kernelINS0_14default_configENS1_36segmented_radix_sort_config_selectorIblEEZNS1_25segmented_radix_sort_implIS3_Lb0EPKbPbPKlPlN2at6native12_GLOBAL__N_18offset_tEEE10hipError_tPvRmT1_PNSt15iterator_traitsISK_E10value_typeET2_T3_PNSL_ISQ_E10value_typeET4_jRbjT5_SW_jjP12ihipStream_tbEUlT_E2_NS1_11comp_targetILNS1_3genE5ELNS1_11target_archE942ELNS1_3gpuE9ELNS1_3repE0EEENS1_30default_config_static_selectorELNS0_4arch9wavefront6targetE1EEEvSK_
		.amdhsa_group_segment_fixed_size 0
		.amdhsa_private_segment_fixed_size 0
		.amdhsa_kernarg_size 80
		.amdhsa_user_sgpr_count 6
		.amdhsa_user_sgpr_private_segment_buffer 1
		.amdhsa_user_sgpr_dispatch_ptr 0
		.amdhsa_user_sgpr_queue_ptr 0
		.amdhsa_user_sgpr_kernarg_segment_ptr 1
		.amdhsa_user_sgpr_dispatch_id 0
		.amdhsa_user_sgpr_flat_scratch_init 0
		.amdhsa_user_sgpr_private_segment_size 0
		.amdhsa_uses_dynamic_stack 0
		.amdhsa_system_sgpr_private_segment_wavefront_offset 0
		.amdhsa_system_sgpr_workgroup_id_x 1
		.amdhsa_system_sgpr_workgroup_id_y 0
		.amdhsa_system_sgpr_workgroup_id_z 0
		.amdhsa_system_sgpr_workgroup_info 0
		.amdhsa_system_vgpr_workitem_id 0
		.amdhsa_next_free_vgpr 1
		.amdhsa_next_free_sgpr 0
		.amdhsa_reserve_vcc 0
		.amdhsa_reserve_flat_scratch 0
		.amdhsa_float_round_mode_32 0
		.amdhsa_float_round_mode_16_64 0
		.amdhsa_float_denorm_mode_32 3
		.amdhsa_float_denorm_mode_16_64 3
		.amdhsa_dx10_clamp 1
		.amdhsa_ieee_mode 1
		.amdhsa_fp16_overflow 0
		.amdhsa_exception_fp_ieee_invalid_op 0
		.amdhsa_exception_fp_denorm_src 0
		.amdhsa_exception_fp_ieee_div_zero 0
		.amdhsa_exception_fp_ieee_overflow 0
		.amdhsa_exception_fp_ieee_underflow 0
		.amdhsa_exception_fp_ieee_inexact 0
		.amdhsa_exception_int_div_zero 0
	.end_amdhsa_kernel
	.section	.text._ZN7rocprim17ROCPRIM_400000_NS6detail17trampoline_kernelINS0_14default_configENS1_36segmented_radix_sort_config_selectorIblEEZNS1_25segmented_radix_sort_implIS3_Lb0EPKbPbPKlPlN2at6native12_GLOBAL__N_18offset_tEEE10hipError_tPvRmT1_PNSt15iterator_traitsISK_E10value_typeET2_T3_PNSL_ISQ_E10value_typeET4_jRbjT5_SW_jjP12ihipStream_tbEUlT_E2_NS1_11comp_targetILNS1_3genE5ELNS1_11target_archE942ELNS1_3gpuE9ELNS1_3repE0EEENS1_30default_config_static_selectorELNS0_4arch9wavefront6targetE1EEEvSK_,"axG",@progbits,_ZN7rocprim17ROCPRIM_400000_NS6detail17trampoline_kernelINS0_14default_configENS1_36segmented_radix_sort_config_selectorIblEEZNS1_25segmented_radix_sort_implIS3_Lb0EPKbPbPKlPlN2at6native12_GLOBAL__N_18offset_tEEE10hipError_tPvRmT1_PNSt15iterator_traitsISK_E10value_typeET2_T3_PNSL_ISQ_E10value_typeET4_jRbjT5_SW_jjP12ihipStream_tbEUlT_E2_NS1_11comp_targetILNS1_3genE5ELNS1_11target_archE942ELNS1_3gpuE9ELNS1_3repE0EEENS1_30default_config_static_selectorELNS0_4arch9wavefront6targetE1EEEvSK_,comdat
.Lfunc_end1666:
	.size	_ZN7rocprim17ROCPRIM_400000_NS6detail17trampoline_kernelINS0_14default_configENS1_36segmented_radix_sort_config_selectorIblEEZNS1_25segmented_radix_sort_implIS3_Lb0EPKbPbPKlPlN2at6native12_GLOBAL__N_18offset_tEEE10hipError_tPvRmT1_PNSt15iterator_traitsISK_E10value_typeET2_T3_PNSL_ISQ_E10value_typeET4_jRbjT5_SW_jjP12ihipStream_tbEUlT_E2_NS1_11comp_targetILNS1_3genE5ELNS1_11target_archE942ELNS1_3gpuE9ELNS1_3repE0EEENS1_30default_config_static_selectorELNS0_4arch9wavefront6targetE1EEEvSK_, .Lfunc_end1666-_ZN7rocprim17ROCPRIM_400000_NS6detail17trampoline_kernelINS0_14default_configENS1_36segmented_radix_sort_config_selectorIblEEZNS1_25segmented_radix_sort_implIS3_Lb0EPKbPbPKlPlN2at6native12_GLOBAL__N_18offset_tEEE10hipError_tPvRmT1_PNSt15iterator_traitsISK_E10value_typeET2_T3_PNSL_ISQ_E10value_typeET4_jRbjT5_SW_jjP12ihipStream_tbEUlT_E2_NS1_11comp_targetILNS1_3genE5ELNS1_11target_archE942ELNS1_3gpuE9ELNS1_3repE0EEENS1_30default_config_static_selectorELNS0_4arch9wavefront6targetE1EEEvSK_
                                        ; -- End function
	.set _ZN7rocprim17ROCPRIM_400000_NS6detail17trampoline_kernelINS0_14default_configENS1_36segmented_radix_sort_config_selectorIblEEZNS1_25segmented_radix_sort_implIS3_Lb0EPKbPbPKlPlN2at6native12_GLOBAL__N_18offset_tEEE10hipError_tPvRmT1_PNSt15iterator_traitsISK_E10value_typeET2_T3_PNSL_ISQ_E10value_typeET4_jRbjT5_SW_jjP12ihipStream_tbEUlT_E2_NS1_11comp_targetILNS1_3genE5ELNS1_11target_archE942ELNS1_3gpuE9ELNS1_3repE0EEENS1_30default_config_static_selectorELNS0_4arch9wavefront6targetE1EEEvSK_.num_vgpr, 0
	.set _ZN7rocprim17ROCPRIM_400000_NS6detail17trampoline_kernelINS0_14default_configENS1_36segmented_radix_sort_config_selectorIblEEZNS1_25segmented_radix_sort_implIS3_Lb0EPKbPbPKlPlN2at6native12_GLOBAL__N_18offset_tEEE10hipError_tPvRmT1_PNSt15iterator_traitsISK_E10value_typeET2_T3_PNSL_ISQ_E10value_typeET4_jRbjT5_SW_jjP12ihipStream_tbEUlT_E2_NS1_11comp_targetILNS1_3genE5ELNS1_11target_archE942ELNS1_3gpuE9ELNS1_3repE0EEENS1_30default_config_static_selectorELNS0_4arch9wavefront6targetE1EEEvSK_.num_agpr, 0
	.set _ZN7rocprim17ROCPRIM_400000_NS6detail17trampoline_kernelINS0_14default_configENS1_36segmented_radix_sort_config_selectorIblEEZNS1_25segmented_radix_sort_implIS3_Lb0EPKbPbPKlPlN2at6native12_GLOBAL__N_18offset_tEEE10hipError_tPvRmT1_PNSt15iterator_traitsISK_E10value_typeET2_T3_PNSL_ISQ_E10value_typeET4_jRbjT5_SW_jjP12ihipStream_tbEUlT_E2_NS1_11comp_targetILNS1_3genE5ELNS1_11target_archE942ELNS1_3gpuE9ELNS1_3repE0EEENS1_30default_config_static_selectorELNS0_4arch9wavefront6targetE1EEEvSK_.numbered_sgpr, 0
	.set _ZN7rocprim17ROCPRIM_400000_NS6detail17trampoline_kernelINS0_14default_configENS1_36segmented_radix_sort_config_selectorIblEEZNS1_25segmented_radix_sort_implIS3_Lb0EPKbPbPKlPlN2at6native12_GLOBAL__N_18offset_tEEE10hipError_tPvRmT1_PNSt15iterator_traitsISK_E10value_typeET2_T3_PNSL_ISQ_E10value_typeET4_jRbjT5_SW_jjP12ihipStream_tbEUlT_E2_NS1_11comp_targetILNS1_3genE5ELNS1_11target_archE942ELNS1_3gpuE9ELNS1_3repE0EEENS1_30default_config_static_selectorELNS0_4arch9wavefront6targetE1EEEvSK_.num_named_barrier, 0
	.set _ZN7rocprim17ROCPRIM_400000_NS6detail17trampoline_kernelINS0_14default_configENS1_36segmented_radix_sort_config_selectorIblEEZNS1_25segmented_radix_sort_implIS3_Lb0EPKbPbPKlPlN2at6native12_GLOBAL__N_18offset_tEEE10hipError_tPvRmT1_PNSt15iterator_traitsISK_E10value_typeET2_T3_PNSL_ISQ_E10value_typeET4_jRbjT5_SW_jjP12ihipStream_tbEUlT_E2_NS1_11comp_targetILNS1_3genE5ELNS1_11target_archE942ELNS1_3gpuE9ELNS1_3repE0EEENS1_30default_config_static_selectorELNS0_4arch9wavefront6targetE1EEEvSK_.private_seg_size, 0
	.set _ZN7rocprim17ROCPRIM_400000_NS6detail17trampoline_kernelINS0_14default_configENS1_36segmented_radix_sort_config_selectorIblEEZNS1_25segmented_radix_sort_implIS3_Lb0EPKbPbPKlPlN2at6native12_GLOBAL__N_18offset_tEEE10hipError_tPvRmT1_PNSt15iterator_traitsISK_E10value_typeET2_T3_PNSL_ISQ_E10value_typeET4_jRbjT5_SW_jjP12ihipStream_tbEUlT_E2_NS1_11comp_targetILNS1_3genE5ELNS1_11target_archE942ELNS1_3gpuE9ELNS1_3repE0EEENS1_30default_config_static_selectorELNS0_4arch9wavefront6targetE1EEEvSK_.uses_vcc, 0
	.set _ZN7rocprim17ROCPRIM_400000_NS6detail17trampoline_kernelINS0_14default_configENS1_36segmented_radix_sort_config_selectorIblEEZNS1_25segmented_radix_sort_implIS3_Lb0EPKbPbPKlPlN2at6native12_GLOBAL__N_18offset_tEEE10hipError_tPvRmT1_PNSt15iterator_traitsISK_E10value_typeET2_T3_PNSL_ISQ_E10value_typeET4_jRbjT5_SW_jjP12ihipStream_tbEUlT_E2_NS1_11comp_targetILNS1_3genE5ELNS1_11target_archE942ELNS1_3gpuE9ELNS1_3repE0EEENS1_30default_config_static_selectorELNS0_4arch9wavefront6targetE1EEEvSK_.uses_flat_scratch, 0
	.set _ZN7rocprim17ROCPRIM_400000_NS6detail17trampoline_kernelINS0_14default_configENS1_36segmented_radix_sort_config_selectorIblEEZNS1_25segmented_radix_sort_implIS3_Lb0EPKbPbPKlPlN2at6native12_GLOBAL__N_18offset_tEEE10hipError_tPvRmT1_PNSt15iterator_traitsISK_E10value_typeET2_T3_PNSL_ISQ_E10value_typeET4_jRbjT5_SW_jjP12ihipStream_tbEUlT_E2_NS1_11comp_targetILNS1_3genE5ELNS1_11target_archE942ELNS1_3gpuE9ELNS1_3repE0EEENS1_30default_config_static_selectorELNS0_4arch9wavefront6targetE1EEEvSK_.has_dyn_sized_stack, 0
	.set _ZN7rocprim17ROCPRIM_400000_NS6detail17trampoline_kernelINS0_14default_configENS1_36segmented_radix_sort_config_selectorIblEEZNS1_25segmented_radix_sort_implIS3_Lb0EPKbPbPKlPlN2at6native12_GLOBAL__N_18offset_tEEE10hipError_tPvRmT1_PNSt15iterator_traitsISK_E10value_typeET2_T3_PNSL_ISQ_E10value_typeET4_jRbjT5_SW_jjP12ihipStream_tbEUlT_E2_NS1_11comp_targetILNS1_3genE5ELNS1_11target_archE942ELNS1_3gpuE9ELNS1_3repE0EEENS1_30default_config_static_selectorELNS0_4arch9wavefront6targetE1EEEvSK_.has_recursion, 0
	.set _ZN7rocprim17ROCPRIM_400000_NS6detail17trampoline_kernelINS0_14default_configENS1_36segmented_radix_sort_config_selectorIblEEZNS1_25segmented_radix_sort_implIS3_Lb0EPKbPbPKlPlN2at6native12_GLOBAL__N_18offset_tEEE10hipError_tPvRmT1_PNSt15iterator_traitsISK_E10value_typeET2_T3_PNSL_ISQ_E10value_typeET4_jRbjT5_SW_jjP12ihipStream_tbEUlT_E2_NS1_11comp_targetILNS1_3genE5ELNS1_11target_archE942ELNS1_3gpuE9ELNS1_3repE0EEENS1_30default_config_static_selectorELNS0_4arch9wavefront6targetE1EEEvSK_.has_indirect_call, 0
	.section	.AMDGPU.csdata,"",@progbits
; Kernel info:
; codeLenInByte = 0
; TotalNumSgprs: 4
; NumVgprs: 0
; ScratchSize: 0
; MemoryBound: 0
; FloatMode: 240
; IeeeMode: 1
; LDSByteSize: 0 bytes/workgroup (compile time only)
; SGPRBlocks: 0
; VGPRBlocks: 0
; NumSGPRsForWavesPerEU: 4
; NumVGPRsForWavesPerEU: 1
; Occupancy: 10
; WaveLimiterHint : 0
; COMPUTE_PGM_RSRC2:SCRATCH_EN: 0
; COMPUTE_PGM_RSRC2:USER_SGPR: 6
; COMPUTE_PGM_RSRC2:TRAP_HANDLER: 0
; COMPUTE_PGM_RSRC2:TGID_X_EN: 1
; COMPUTE_PGM_RSRC2:TGID_Y_EN: 0
; COMPUTE_PGM_RSRC2:TGID_Z_EN: 0
; COMPUTE_PGM_RSRC2:TIDIG_COMP_CNT: 0
	.section	.text._ZN7rocprim17ROCPRIM_400000_NS6detail17trampoline_kernelINS0_14default_configENS1_36segmented_radix_sort_config_selectorIblEEZNS1_25segmented_radix_sort_implIS3_Lb0EPKbPbPKlPlN2at6native12_GLOBAL__N_18offset_tEEE10hipError_tPvRmT1_PNSt15iterator_traitsISK_E10value_typeET2_T3_PNSL_ISQ_E10value_typeET4_jRbjT5_SW_jjP12ihipStream_tbEUlT_E2_NS1_11comp_targetILNS1_3genE4ELNS1_11target_archE910ELNS1_3gpuE8ELNS1_3repE0EEENS1_30default_config_static_selectorELNS0_4arch9wavefront6targetE1EEEvSK_,"axG",@progbits,_ZN7rocprim17ROCPRIM_400000_NS6detail17trampoline_kernelINS0_14default_configENS1_36segmented_radix_sort_config_selectorIblEEZNS1_25segmented_radix_sort_implIS3_Lb0EPKbPbPKlPlN2at6native12_GLOBAL__N_18offset_tEEE10hipError_tPvRmT1_PNSt15iterator_traitsISK_E10value_typeET2_T3_PNSL_ISQ_E10value_typeET4_jRbjT5_SW_jjP12ihipStream_tbEUlT_E2_NS1_11comp_targetILNS1_3genE4ELNS1_11target_archE910ELNS1_3gpuE8ELNS1_3repE0EEENS1_30default_config_static_selectorELNS0_4arch9wavefront6targetE1EEEvSK_,comdat
	.globl	_ZN7rocprim17ROCPRIM_400000_NS6detail17trampoline_kernelINS0_14default_configENS1_36segmented_radix_sort_config_selectorIblEEZNS1_25segmented_radix_sort_implIS3_Lb0EPKbPbPKlPlN2at6native12_GLOBAL__N_18offset_tEEE10hipError_tPvRmT1_PNSt15iterator_traitsISK_E10value_typeET2_T3_PNSL_ISQ_E10value_typeET4_jRbjT5_SW_jjP12ihipStream_tbEUlT_E2_NS1_11comp_targetILNS1_3genE4ELNS1_11target_archE910ELNS1_3gpuE8ELNS1_3repE0EEENS1_30default_config_static_selectorELNS0_4arch9wavefront6targetE1EEEvSK_ ; -- Begin function _ZN7rocprim17ROCPRIM_400000_NS6detail17trampoline_kernelINS0_14default_configENS1_36segmented_radix_sort_config_selectorIblEEZNS1_25segmented_radix_sort_implIS3_Lb0EPKbPbPKlPlN2at6native12_GLOBAL__N_18offset_tEEE10hipError_tPvRmT1_PNSt15iterator_traitsISK_E10value_typeET2_T3_PNSL_ISQ_E10value_typeET4_jRbjT5_SW_jjP12ihipStream_tbEUlT_E2_NS1_11comp_targetILNS1_3genE4ELNS1_11target_archE910ELNS1_3gpuE8ELNS1_3repE0EEENS1_30default_config_static_selectorELNS0_4arch9wavefront6targetE1EEEvSK_
	.p2align	8
	.type	_ZN7rocprim17ROCPRIM_400000_NS6detail17trampoline_kernelINS0_14default_configENS1_36segmented_radix_sort_config_selectorIblEEZNS1_25segmented_radix_sort_implIS3_Lb0EPKbPbPKlPlN2at6native12_GLOBAL__N_18offset_tEEE10hipError_tPvRmT1_PNSt15iterator_traitsISK_E10value_typeET2_T3_PNSL_ISQ_E10value_typeET4_jRbjT5_SW_jjP12ihipStream_tbEUlT_E2_NS1_11comp_targetILNS1_3genE4ELNS1_11target_archE910ELNS1_3gpuE8ELNS1_3repE0EEENS1_30default_config_static_selectorELNS0_4arch9wavefront6targetE1EEEvSK_,@function
_ZN7rocprim17ROCPRIM_400000_NS6detail17trampoline_kernelINS0_14default_configENS1_36segmented_radix_sort_config_selectorIblEEZNS1_25segmented_radix_sort_implIS3_Lb0EPKbPbPKlPlN2at6native12_GLOBAL__N_18offset_tEEE10hipError_tPvRmT1_PNSt15iterator_traitsISK_E10value_typeET2_T3_PNSL_ISQ_E10value_typeET4_jRbjT5_SW_jjP12ihipStream_tbEUlT_E2_NS1_11comp_targetILNS1_3genE4ELNS1_11target_archE910ELNS1_3gpuE8ELNS1_3repE0EEENS1_30default_config_static_selectorELNS0_4arch9wavefront6targetE1EEEvSK_: ; @_ZN7rocprim17ROCPRIM_400000_NS6detail17trampoline_kernelINS0_14default_configENS1_36segmented_radix_sort_config_selectorIblEEZNS1_25segmented_radix_sort_implIS3_Lb0EPKbPbPKlPlN2at6native12_GLOBAL__N_18offset_tEEE10hipError_tPvRmT1_PNSt15iterator_traitsISK_E10value_typeET2_T3_PNSL_ISQ_E10value_typeET4_jRbjT5_SW_jjP12ihipStream_tbEUlT_E2_NS1_11comp_targetILNS1_3genE4ELNS1_11target_archE910ELNS1_3gpuE8ELNS1_3repE0EEENS1_30default_config_static_selectorELNS0_4arch9wavefront6targetE1EEEvSK_
; %bb.0:
	.section	.rodata,"a",@progbits
	.p2align	6, 0x0
	.amdhsa_kernel _ZN7rocprim17ROCPRIM_400000_NS6detail17trampoline_kernelINS0_14default_configENS1_36segmented_radix_sort_config_selectorIblEEZNS1_25segmented_radix_sort_implIS3_Lb0EPKbPbPKlPlN2at6native12_GLOBAL__N_18offset_tEEE10hipError_tPvRmT1_PNSt15iterator_traitsISK_E10value_typeET2_T3_PNSL_ISQ_E10value_typeET4_jRbjT5_SW_jjP12ihipStream_tbEUlT_E2_NS1_11comp_targetILNS1_3genE4ELNS1_11target_archE910ELNS1_3gpuE8ELNS1_3repE0EEENS1_30default_config_static_selectorELNS0_4arch9wavefront6targetE1EEEvSK_
		.amdhsa_group_segment_fixed_size 0
		.amdhsa_private_segment_fixed_size 0
		.amdhsa_kernarg_size 80
		.amdhsa_user_sgpr_count 6
		.amdhsa_user_sgpr_private_segment_buffer 1
		.amdhsa_user_sgpr_dispatch_ptr 0
		.amdhsa_user_sgpr_queue_ptr 0
		.amdhsa_user_sgpr_kernarg_segment_ptr 1
		.amdhsa_user_sgpr_dispatch_id 0
		.amdhsa_user_sgpr_flat_scratch_init 0
		.amdhsa_user_sgpr_private_segment_size 0
		.amdhsa_uses_dynamic_stack 0
		.amdhsa_system_sgpr_private_segment_wavefront_offset 0
		.amdhsa_system_sgpr_workgroup_id_x 1
		.amdhsa_system_sgpr_workgroup_id_y 0
		.amdhsa_system_sgpr_workgroup_id_z 0
		.amdhsa_system_sgpr_workgroup_info 0
		.amdhsa_system_vgpr_workitem_id 0
		.amdhsa_next_free_vgpr 1
		.amdhsa_next_free_sgpr 0
		.amdhsa_reserve_vcc 0
		.amdhsa_reserve_flat_scratch 0
		.amdhsa_float_round_mode_32 0
		.amdhsa_float_round_mode_16_64 0
		.amdhsa_float_denorm_mode_32 3
		.amdhsa_float_denorm_mode_16_64 3
		.amdhsa_dx10_clamp 1
		.amdhsa_ieee_mode 1
		.amdhsa_fp16_overflow 0
		.amdhsa_exception_fp_ieee_invalid_op 0
		.amdhsa_exception_fp_denorm_src 0
		.amdhsa_exception_fp_ieee_div_zero 0
		.amdhsa_exception_fp_ieee_overflow 0
		.amdhsa_exception_fp_ieee_underflow 0
		.amdhsa_exception_fp_ieee_inexact 0
		.amdhsa_exception_int_div_zero 0
	.end_amdhsa_kernel
	.section	.text._ZN7rocprim17ROCPRIM_400000_NS6detail17trampoline_kernelINS0_14default_configENS1_36segmented_radix_sort_config_selectorIblEEZNS1_25segmented_radix_sort_implIS3_Lb0EPKbPbPKlPlN2at6native12_GLOBAL__N_18offset_tEEE10hipError_tPvRmT1_PNSt15iterator_traitsISK_E10value_typeET2_T3_PNSL_ISQ_E10value_typeET4_jRbjT5_SW_jjP12ihipStream_tbEUlT_E2_NS1_11comp_targetILNS1_3genE4ELNS1_11target_archE910ELNS1_3gpuE8ELNS1_3repE0EEENS1_30default_config_static_selectorELNS0_4arch9wavefront6targetE1EEEvSK_,"axG",@progbits,_ZN7rocprim17ROCPRIM_400000_NS6detail17trampoline_kernelINS0_14default_configENS1_36segmented_radix_sort_config_selectorIblEEZNS1_25segmented_radix_sort_implIS3_Lb0EPKbPbPKlPlN2at6native12_GLOBAL__N_18offset_tEEE10hipError_tPvRmT1_PNSt15iterator_traitsISK_E10value_typeET2_T3_PNSL_ISQ_E10value_typeET4_jRbjT5_SW_jjP12ihipStream_tbEUlT_E2_NS1_11comp_targetILNS1_3genE4ELNS1_11target_archE910ELNS1_3gpuE8ELNS1_3repE0EEENS1_30default_config_static_selectorELNS0_4arch9wavefront6targetE1EEEvSK_,comdat
.Lfunc_end1667:
	.size	_ZN7rocprim17ROCPRIM_400000_NS6detail17trampoline_kernelINS0_14default_configENS1_36segmented_radix_sort_config_selectorIblEEZNS1_25segmented_radix_sort_implIS3_Lb0EPKbPbPKlPlN2at6native12_GLOBAL__N_18offset_tEEE10hipError_tPvRmT1_PNSt15iterator_traitsISK_E10value_typeET2_T3_PNSL_ISQ_E10value_typeET4_jRbjT5_SW_jjP12ihipStream_tbEUlT_E2_NS1_11comp_targetILNS1_3genE4ELNS1_11target_archE910ELNS1_3gpuE8ELNS1_3repE0EEENS1_30default_config_static_selectorELNS0_4arch9wavefront6targetE1EEEvSK_, .Lfunc_end1667-_ZN7rocprim17ROCPRIM_400000_NS6detail17trampoline_kernelINS0_14default_configENS1_36segmented_radix_sort_config_selectorIblEEZNS1_25segmented_radix_sort_implIS3_Lb0EPKbPbPKlPlN2at6native12_GLOBAL__N_18offset_tEEE10hipError_tPvRmT1_PNSt15iterator_traitsISK_E10value_typeET2_T3_PNSL_ISQ_E10value_typeET4_jRbjT5_SW_jjP12ihipStream_tbEUlT_E2_NS1_11comp_targetILNS1_3genE4ELNS1_11target_archE910ELNS1_3gpuE8ELNS1_3repE0EEENS1_30default_config_static_selectorELNS0_4arch9wavefront6targetE1EEEvSK_
                                        ; -- End function
	.set _ZN7rocprim17ROCPRIM_400000_NS6detail17trampoline_kernelINS0_14default_configENS1_36segmented_radix_sort_config_selectorIblEEZNS1_25segmented_radix_sort_implIS3_Lb0EPKbPbPKlPlN2at6native12_GLOBAL__N_18offset_tEEE10hipError_tPvRmT1_PNSt15iterator_traitsISK_E10value_typeET2_T3_PNSL_ISQ_E10value_typeET4_jRbjT5_SW_jjP12ihipStream_tbEUlT_E2_NS1_11comp_targetILNS1_3genE4ELNS1_11target_archE910ELNS1_3gpuE8ELNS1_3repE0EEENS1_30default_config_static_selectorELNS0_4arch9wavefront6targetE1EEEvSK_.num_vgpr, 0
	.set _ZN7rocprim17ROCPRIM_400000_NS6detail17trampoline_kernelINS0_14default_configENS1_36segmented_radix_sort_config_selectorIblEEZNS1_25segmented_radix_sort_implIS3_Lb0EPKbPbPKlPlN2at6native12_GLOBAL__N_18offset_tEEE10hipError_tPvRmT1_PNSt15iterator_traitsISK_E10value_typeET2_T3_PNSL_ISQ_E10value_typeET4_jRbjT5_SW_jjP12ihipStream_tbEUlT_E2_NS1_11comp_targetILNS1_3genE4ELNS1_11target_archE910ELNS1_3gpuE8ELNS1_3repE0EEENS1_30default_config_static_selectorELNS0_4arch9wavefront6targetE1EEEvSK_.num_agpr, 0
	.set _ZN7rocprim17ROCPRIM_400000_NS6detail17trampoline_kernelINS0_14default_configENS1_36segmented_radix_sort_config_selectorIblEEZNS1_25segmented_radix_sort_implIS3_Lb0EPKbPbPKlPlN2at6native12_GLOBAL__N_18offset_tEEE10hipError_tPvRmT1_PNSt15iterator_traitsISK_E10value_typeET2_T3_PNSL_ISQ_E10value_typeET4_jRbjT5_SW_jjP12ihipStream_tbEUlT_E2_NS1_11comp_targetILNS1_3genE4ELNS1_11target_archE910ELNS1_3gpuE8ELNS1_3repE0EEENS1_30default_config_static_selectorELNS0_4arch9wavefront6targetE1EEEvSK_.numbered_sgpr, 0
	.set _ZN7rocprim17ROCPRIM_400000_NS6detail17trampoline_kernelINS0_14default_configENS1_36segmented_radix_sort_config_selectorIblEEZNS1_25segmented_radix_sort_implIS3_Lb0EPKbPbPKlPlN2at6native12_GLOBAL__N_18offset_tEEE10hipError_tPvRmT1_PNSt15iterator_traitsISK_E10value_typeET2_T3_PNSL_ISQ_E10value_typeET4_jRbjT5_SW_jjP12ihipStream_tbEUlT_E2_NS1_11comp_targetILNS1_3genE4ELNS1_11target_archE910ELNS1_3gpuE8ELNS1_3repE0EEENS1_30default_config_static_selectorELNS0_4arch9wavefront6targetE1EEEvSK_.num_named_barrier, 0
	.set _ZN7rocprim17ROCPRIM_400000_NS6detail17trampoline_kernelINS0_14default_configENS1_36segmented_radix_sort_config_selectorIblEEZNS1_25segmented_radix_sort_implIS3_Lb0EPKbPbPKlPlN2at6native12_GLOBAL__N_18offset_tEEE10hipError_tPvRmT1_PNSt15iterator_traitsISK_E10value_typeET2_T3_PNSL_ISQ_E10value_typeET4_jRbjT5_SW_jjP12ihipStream_tbEUlT_E2_NS1_11comp_targetILNS1_3genE4ELNS1_11target_archE910ELNS1_3gpuE8ELNS1_3repE0EEENS1_30default_config_static_selectorELNS0_4arch9wavefront6targetE1EEEvSK_.private_seg_size, 0
	.set _ZN7rocprim17ROCPRIM_400000_NS6detail17trampoline_kernelINS0_14default_configENS1_36segmented_radix_sort_config_selectorIblEEZNS1_25segmented_radix_sort_implIS3_Lb0EPKbPbPKlPlN2at6native12_GLOBAL__N_18offset_tEEE10hipError_tPvRmT1_PNSt15iterator_traitsISK_E10value_typeET2_T3_PNSL_ISQ_E10value_typeET4_jRbjT5_SW_jjP12ihipStream_tbEUlT_E2_NS1_11comp_targetILNS1_3genE4ELNS1_11target_archE910ELNS1_3gpuE8ELNS1_3repE0EEENS1_30default_config_static_selectorELNS0_4arch9wavefront6targetE1EEEvSK_.uses_vcc, 0
	.set _ZN7rocprim17ROCPRIM_400000_NS6detail17trampoline_kernelINS0_14default_configENS1_36segmented_radix_sort_config_selectorIblEEZNS1_25segmented_radix_sort_implIS3_Lb0EPKbPbPKlPlN2at6native12_GLOBAL__N_18offset_tEEE10hipError_tPvRmT1_PNSt15iterator_traitsISK_E10value_typeET2_T3_PNSL_ISQ_E10value_typeET4_jRbjT5_SW_jjP12ihipStream_tbEUlT_E2_NS1_11comp_targetILNS1_3genE4ELNS1_11target_archE910ELNS1_3gpuE8ELNS1_3repE0EEENS1_30default_config_static_selectorELNS0_4arch9wavefront6targetE1EEEvSK_.uses_flat_scratch, 0
	.set _ZN7rocprim17ROCPRIM_400000_NS6detail17trampoline_kernelINS0_14default_configENS1_36segmented_radix_sort_config_selectorIblEEZNS1_25segmented_radix_sort_implIS3_Lb0EPKbPbPKlPlN2at6native12_GLOBAL__N_18offset_tEEE10hipError_tPvRmT1_PNSt15iterator_traitsISK_E10value_typeET2_T3_PNSL_ISQ_E10value_typeET4_jRbjT5_SW_jjP12ihipStream_tbEUlT_E2_NS1_11comp_targetILNS1_3genE4ELNS1_11target_archE910ELNS1_3gpuE8ELNS1_3repE0EEENS1_30default_config_static_selectorELNS0_4arch9wavefront6targetE1EEEvSK_.has_dyn_sized_stack, 0
	.set _ZN7rocprim17ROCPRIM_400000_NS6detail17trampoline_kernelINS0_14default_configENS1_36segmented_radix_sort_config_selectorIblEEZNS1_25segmented_radix_sort_implIS3_Lb0EPKbPbPKlPlN2at6native12_GLOBAL__N_18offset_tEEE10hipError_tPvRmT1_PNSt15iterator_traitsISK_E10value_typeET2_T3_PNSL_ISQ_E10value_typeET4_jRbjT5_SW_jjP12ihipStream_tbEUlT_E2_NS1_11comp_targetILNS1_3genE4ELNS1_11target_archE910ELNS1_3gpuE8ELNS1_3repE0EEENS1_30default_config_static_selectorELNS0_4arch9wavefront6targetE1EEEvSK_.has_recursion, 0
	.set _ZN7rocprim17ROCPRIM_400000_NS6detail17trampoline_kernelINS0_14default_configENS1_36segmented_radix_sort_config_selectorIblEEZNS1_25segmented_radix_sort_implIS3_Lb0EPKbPbPKlPlN2at6native12_GLOBAL__N_18offset_tEEE10hipError_tPvRmT1_PNSt15iterator_traitsISK_E10value_typeET2_T3_PNSL_ISQ_E10value_typeET4_jRbjT5_SW_jjP12ihipStream_tbEUlT_E2_NS1_11comp_targetILNS1_3genE4ELNS1_11target_archE910ELNS1_3gpuE8ELNS1_3repE0EEENS1_30default_config_static_selectorELNS0_4arch9wavefront6targetE1EEEvSK_.has_indirect_call, 0
	.section	.AMDGPU.csdata,"",@progbits
; Kernel info:
; codeLenInByte = 0
; TotalNumSgprs: 4
; NumVgprs: 0
; ScratchSize: 0
; MemoryBound: 0
; FloatMode: 240
; IeeeMode: 1
; LDSByteSize: 0 bytes/workgroup (compile time only)
; SGPRBlocks: 0
; VGPRBlocks: 0
; NumSGPRsForWavesPerEU: 4
; NumVGPRsForWavesPerEU: 1
; Occupancy: 10
; WaveLimiterHint : 0
; COMPUTE_PGM_RSRC2:SCRATCH_EN: 0
; COMPUTE_PGM_RSRC2:USER_SGPR: 6
; COMPUTE_PGM_RSRC2:TRAP_HANDLER: 0
; COMPUTE_PGM_RSRC2:TGID_X_EN: 1
; COMPUTE_PGM_RSRC2:TGID_Y_EN: 0
; COMPUTE_PGM_RSRC2:TGID_Z_EN: 0
; COMPUTE_PGM_RSRC2:TIDIG_COMP_CNT: 0
	.section	.text._ZN7rocprim17ROCPRIM_400000_NS6detail17trampoline_kernelINS0_14default_configENS1_36segmented_radix_sort_config_selectorIblEEZNS1_25segmented_radix_sort_implIS3_Lb0EPKbPbPKlPlN2at6native12_GLOBAL__N_18offset_tEEE10hipError_tPvRmT1_PNSt15iterator_traitsISK_E10value_typeET2_T3_PNSL_ISQ_E10value_typeET4_jRbjT5_SW_jjP12ihipStream_tbEUlT_E2_NS1_11comp_targetILNS1_3genE3ELNS1_11target_archE908ELNS1_3gpuE7ELNS1_3repE0EEENS1_30default_config_static_selectorELNS0_4arch9wavefront6targetE1EEEvSK_,"axG",@progbits,_ZN7rocprim17ROCPRIM_400000_NS6detail17trampoline_kernelINS0_14default_configENS1_36segmented_radix_sort_config_selectorIblEEZNS1_25segmented_radix_sort_implIS3_Lb0EPKbPbPKlPlN2at6native12_GLOBAL__N_18offset_tEEE10hipError_tPvRmT1_PNSt15iterator_traitsISK_E10value_typeET2_T3_PNSL_ISQ_E10value_typeET4_jRbjT5_SW_jjP12ihipStream_tbEUlT_E2_NS1_11comp_targetILNS1_3genE3ELNS1_11target_archE908ELNS1_3gpuE7ELNS1_3repE0EEENS1_30default_config_static_selectorELNS0_4arch9wavefront6targetE1EEEvSK_,comdat
	.globl	_ZN7rocprim17ROCPRIM_400000_NS6detail17trampoline_kernelINS0_14default_configENS1_36segmented_radix_sort_config_selectorIblEEZNS1_25segmented_radix_sort_implIS3_Lb0EPKbPbPKlPlN2at6native12_GLOBAL__N_18offset_tEEE10hipError_tPvRmT1_PNSt15iterator_traitsISK_E10value_typeET2_T3_PNSL_ISQ_E10value_typeET4_jRbjT5_SW_jjP12ihipStream_tbEUlT_E2_NS1_11comp_targetILNS1_3genE3ELNS1_11target_archE908ELNS1_3gpuE7ELNS1_3repE0EEENS1_30default_config_static_selectorELNS0_4arch9wavefront6targetE1EEEvSK_ ; -- Begin function _ZN7rocprim17ROCPRIM_400000_NS6detail17trampoline_kernelINS0_14default_configENS1_36segmented_radix_sort_config_selectorIblEEZNS1_25segmented_radix_sort_implIS3_Lb0EPKbPbPKlPlN2at6native12_GLOBAL__N_18offset_tEEE10hipError_tPvRmT1_PNSt15iterator_traitsISK_E10value_typeET2_T3_PNSL_ISQ_E10value_typeET4_jRbjT5_SW_jjP12ihipStream_tbEUlT_E2_NS1_11comp_targetILNS1_3genE3ELNS1_11target_archE908ELNS1_3gpuE7ELNS1_3repE0EEENS1_30default_config_static_selectorELNS0_4arch9wavefront6targetE1EEEvSK_
	.p2align	8
	.type	_ZN7rocprim17ROCPRIM_400000_NS6detail17trampoline_kernelINS0_14default_configENS1_36segmented_radix_sort_config_selectorIblEEZNS1_25segmented_radix_sort_implIS3_Lb0EPKbPbPKlPlN2at6native12_GLOBAL__N_18offset_tEEE10hipError_tPvRmT1_PNSt15iterator_traitsISK_E10value_typeET2_T3_PNSL_ISQ_E10value_typeET4_jRbjT5_SW_jjP12ihipStream_tbEUlT_E2_NS1_11comp_targetILNS1_3genE3ELNS1_11target_archE908ELNS1_3gpuE7ELNS1_3repE0EEENS1_30default_config_static_selectorELNS0_4arch9wavefront6targetE1EEEvSK_,@function
_ZN7rocprim17ROCPRIM_400000_NS6detail17trampoline_kernelINS0_14default_configENS1_36segmented_radix_sort_config_selectorIblEEZNS1_25segmented_radix_sort_implIS3_Lb0EPKbPbPKlPlN2at6native12_GLOBAL__N_18offset_tEEE10hipError_tPvRmT1_PNSt15iterator_traitsISK_E10value_typeET2_T3_PNSL_ISQ_E10value_typeET4_jRbjT5_SW_jjP12ihipStream_tbEUlT_E2_NS1_11comp_targetILNS1_3genE3ELNS1_11target_archE908ELNS1_3gpuE7ELNS1_3repE0EEENS1_30default_config_static_selectorELNS0_4arch9wavefront6targetE1EEEvSK_: ; @_ZN7rocprim17ROCPRIM_400000_NS6detail17trampoline_kernelINS0_14default_configENS1_36segmented_radix_sort_config_selectorIblEEZNS1_25segmented_radix_sort_implIS3_Lb0EPKbPbPKlPlN2at6native12_GLOBAL__N_18offset_tEEE10hipError_tPvRmT1_PNSt15iterator_traitsISK_E10value_typeET2_T3_PNSL_ISQ_E10value_typeET4_jRbjT5_SW_jjP12ihipStream_tbEUlT_E2_NS1_11comp_targetILNS1_3genE3ELNS1_11target_archE908ELNS1_3gpuE7ELNS1_3repE0EEENS1_30default_config_static_selectorELNS0_4arch9wavefront6targetE1EEEvSK_
; %bb.0:
	.section	.rodata,"a",@progbits
	.p2align	6, 0x0
	.amdhsa_kernel _ZN7rocprim17ROCPRIM_400000_NS6detail17trampoline_kernelINS0_14default_configENS1_36segmented_radix_sort_config_selectorIblEEZNS1_25segmented_radix_sort_implIS3_Lb0EPKbPbPKlPlN2at6native12_GLOBAL__N_18offset_tEEE10hipError_tPvRmT1_PNSt15iterator_traitsISK_E10value_typeET2_T3_PNSL_ISQ_E10value_typeET4_jRbjT5_SW_jjP12ihipStream_tbEUlT_E2_NS1_11comp_targetILNS1_3genE3ELNS1_11target_archE908ELNS1_3gpuE7ELNS1_3repE0EEENS1_30default_config_static_selectorELNS0_4arch9wavefront6targetE1EEEvSK_
		.amdhsa_group_segment_fixed_size 0
		.amdhsa_private_segment_fixed_size 0
		.amdhsa_kernarg_size 80
		.amdhsa_user_sgpr_count 6
		.amdhsa_user_sgpr_private_segment_buffer 1
		.amdhsa_user_sgpr_dispatch_ptr 0
		.amdhsa_user_sgpr_queue_ptr 0
		.amdhsa_user_sgpr_kernarg_segment_ptr 1
		.amdhsa_user_sgpr_dispatch_id 0
		.amdhsa_user_sgpr_flat_scratch_init 0
		.amdhsa_user_sgpr_private_segment_size 0
		.amdhsa_uses_dynamic_stack 0
		.amdhsa_system_sgpr_private_segment_wavefront_offset 0
		.amdhsa_system_sgpr_workgroup_id_x 1
		.amdhsa_system_sgpr_workgroup_id_y 0
		.amdhsa_system_sgpr_workgroup_id_z 0
		.amdhsa_system_sgpr_workgroup_info 0
		.amdhsa_system_vgpr_workitem_id 0
		.amdhsa_next_free_vgpr 1
		.amdhsa_next_free_sgpr 0
		.amdhsa_reserve_vcc 0
		.amdhsa_reserve_flat_scratch 0
		.amdhsa_float_round_mode_32 0
		.amdhsa_float_round_mode_16_64 0
		.amdhsa_float_denorm_mode_32 3
		.amdhsa_float_denorm_mode_16_64 3
		.amdhsa_dx10_clamp 1
		.amdhsa_ieee_mode 1
		.amdhsa_fp16_overflow 0
		.amdhsa_exception_fp_ieee_invalid_op 0
		.amdhsa_exception_fp_denorm_src 0
		.amdhsa_exception_fp_ieee_div_zero 0
		.amdhsa_exception_fp_ieee_overflow 0
		.amdhsa_exception_fp_ieee_underflow 0
		.amdhsa_exception_fp_ieee_inexact 0
		.amdhsa_exception_int_div_zero 0
	.end_amdhsa_kernel
	.section	.text._ZN7rocprim17ROCPRIM_400000_NS6detail17trampoline_kernelINS0_14default_configENS1_36segmented_radix_sort_config_selectorIblEEZNS1_25segmented_radix_sort_implIS3_Lb0EPKbPbPKlPlN2at6native12_GLOBAL__N_18offset_tEEE10hipError_tPvRmT1_PNSt15iterator_traitsISK_E10value_typeET2_T3_PNSL_ISQ_E10value_typeET4_jRbjT5_SW_jjP12ihipStream_tbEUlT_E2_NS1_11comp_targetILNS1_3genE3ELNS1_11target_archE908ELNS1_3gpuE7ELNS1_3repE0EEENS1_30default_config_static_selectorELNS0_4arch9wavefront6targetE1EEEvSK_,"axG",@progbits,_ZN7rocprim17ROCPRIM_400000_NS6detail17trampoline_kernelINS0_14default_configENS1_36segmented_radix_sort_config_selectorIblEEZNS1_25segmented_radix_sort_implIS3_Lb0EPKbPbPKlPlN2at6native12_GLOBAL__N_18offset_tEEE10hipError_tPvRmT1_PNSt15iterator_traitsISK_E10value_typeET2_T3_PNSL_ISQ_E10value_typeET4_jRbjT5_SW_jjP12ihipStream_tbEUlT_E2_NS1_11comp_targetILNS1_3genE3ELNS1_11target_archE908ELNS1_3gpuE7ELNS1_3repE0EEENS1_30default_config_static_selectorELNS0_4arch9wavefront6targetE1EEEvSK_,comdat
.Lfunc_end1668:
	.size	_ZN7rocprim17ROCPRIM_400000_NS6detail17trampoline_kernelINS0_14default_configENS1_36segmented_radix_sort_config_selectorIblEEZNS1_25segmented_radix_sort_implIS3_Lb0EPKbPbPKlPlN2at6native12_GLOBAL__N_18offset_tEEE10hipError_tPvRmT1_PNSt15iterator_traitsISK_E10value_typeET2_T3_PNSL_ISQ_E10value_typeET4_jRbjT5_SW_jjP12ihipStream_tbEUlT_E2_NS1_11comp_targetILNS1_3genE3ELNS1_11target_archE908ELNS1_3gpuE7ELNS1_3repE0EEENS1_30default_config_static_selectorELNS0_4arch9wavefront6targetE1EEEvSK_, .Lfunc_end1668-_ZN7rocprim17ROCPRIM_400000_NS6detail17trampoline_kernelINS0_14default_configENS1_36segmented_radix_sort_config_selectorIblEEZNS1_25segmented_radix_sort_implIS3_Lb0EPKbPbPKlPlN2at6native12_GLOBAL__N_18offset_tEEE10hipError_tPvRmT1_PNSt15iterator_traitsISK_E10value_typeET2_T3_PNSL_ISQ_E10value_typeET4_jRbjT5_SW_jjP12ihipStream_tbEUlT_E2_NS1_11comp_targetILNS1_3genE3ELNS1_11target_archE908ELNS1_3gpuE7ELNS1_3repE0EEENS1_30default_config_static_selectorELNS0_4arch9wavefront6targetE1EEEvSK_
                                        ; -- End function
	.set _ZN7rocprim17ROCPRIM_400000_NS6detail17trampoline_kernelINS0_14default_configENS1_36segmented_radix_sort_config_selectorIblEEZNS1_25segmented_radix_sort_implIS3_Lb0EPKbPbPKlPlN2at6native12_GLOBAL__N_18offset_tEEE10hipError_tPvRmT1_PNSt15iterator_traitsISK_E10value_typeET2_T3_PNSL_ISQ_E10value_typeET4_jRbjT5_SW_jjP12ihipStream_tbEUlT_E2_NS1_11comp_targetILNS1_3genE3ELNS1_11target_archE908ELNS1_3gpuE7ELNS1_3repE0EEENS1_30default_config_static_selectorELNS0_4arch9wavefront6targetE1EEEvSK_.num_vgpr, 0
	.set _ZN7rocprim17ROCPRIM_400000_NS6detail17trampoline_kernelINS0_14default_configENS1_36segmented_radix_sort_config_selectorIblEEZNS1_25segmented_radix_sort_implIS3_Lb0EPKbPbPKlPlN2at6native12_GLOBAL__N_18offset_tEEE10hipError_tPvRmT1_PNSt15iterator_traitsISK_E10value_typeET2_T3_PNSL_ISQ_E10value_typeET4_jRbjT5_SW_jjP12ihipStream_tbEUlT_E2_NS1_11comp_targetILNS1_3genE3ELNS1_11target_archE908ELNS1_3gpuE7ELNS1_3repE0EEENS1_30default_config_static_selectorELNS0_4arch9wavefront6targetE1EEEvSK_.num_agpr, 0
	.set _ZN7rocprim17ROCPRIM_400000_NS6detail17trampoline_kernelINS0_14default_configENS1_36segmented_radix_sort_config_selectorIblEEZNS1_25segmented_radix_sort_implIS3_Lb0EPKbPbPKlPlN2at6native12_GLOBAL__N_18offset_tEEE10hipError_tPvRmT1_PNSt15iterator_traitsISK_E10value_typeET2_T3_PNSL_ISQ_E10value_typeET4_jRbjT5_SW_jjP12ihipStream_tbEUlT_E2_NS1_11comp_targetILNS1_3genE3ELNS1_11target_archE908ELNS1_3gpuE7ELNS1_3repE0EEENS1_30default_config_static_selectorELNS0_4arch9wavefront6targetE1EEEvSK_.numbered_sgpr, 0
	.set _ZN7rocprim17ROCPRIM_400000_NS6detail17trampoline_kernelINS0_14default_configENS1_36segmented_radix_sort_config_selectorIblEEZNS1_25segmented_radix_sort_implIS3_Lb0EPKbPbPKlPlN2at6native12_GLOBAL__N_18offset_tEEE10hipError_tPvRmT1_PNSt15iterator_traitsISK_E10value_typeET2_T3_PNSL_ISQ_E10value_typeET4_jRbjT5_SW_jjP12ihipStream_tbEUlT_E2_NS1_11comp_targetILNS1_3genE3ELNS1_11target_archE908ELNS1_3gpuE7ELNS1_3repE0EEENS1_30default_config_static_selectorELNS0_4arch9wavefront6targetE1EEEvSK_.num_named_barrier, 0
	.set _ZN7rocprim17ROCPRIM_400000_NS6detail17trampoline_kernelINS0_14default_configENS1_36segmented_radix_sort_config_selectorIblEEZNS1_25segmented_radix_sort_implIS3_Lb0EPKbPbPKlPlN2at6native12_GLOBAL__N_18offset_tEEE10hipError_tPvRmT1_PNSt15iterator_traitsISK_E10value_typeET2_T3_PNSL_ISQ_E10value_typeET4_jRbjT5_SW_jjP12ihipStream_tbEUlT_E2_NS1_11comp_targetILNS1_3genE3ELNS1_11target_archE908ELNS1_3gpuE7ELNS1_3repE0EEENS1_30default_config_static_selectorELNS0_4arch9wavefront6targetE1EEEvSK_.private_seg_size, 0
	.set _ZN7rocprim17ROCPRIM_400000_NS6detail17trampoline_kernelINS0_14default_configENS1_36segmented_radix_sort_config_selectorIblEEZNS1_25segmented_radix_sort_implIS3_Lb0EPKbPbPKlPlN2at6native12_GLOBAL__N_18offset_tEEE10hipError_tPvRmT1_PNSt15iterator_traitsISK_E10value_typeET2_T3_PNSL_ISQ_E10value_typeET4_jRbjT5_SW_jjP12ihipStream_tbEUlT_E2_NS1_11comp_targetILNS1_3genE3ELNS1_11target_archE908ELNS1_3gpuE7ELNS1_3repE0EEENS1_30default_config_static_selectorELNS0_4arch9wavefront6targetE1EEEvSK_.uses_vcc, 0
	.set _ZN7rocprim17ROCPRIM_400000_NS6detail17trampoline_kernelINS0_14default_configENS1_36segmented_radix_sort_config_selectorIblEEZNS1_25segmented_radix_sort_implIS3_Lb0EPKbPbPKlPlN2at6native12_GLOBAL__N_18offset_tEEE10hipError_tPvRmT1_PNSt15iterator_traitsISK_E10value_typeET2_T3_PNSL_ISQ_E10value_typeET4_jRbjT5_SW_jjP12ihipStream_tbEUlT_E2_NS1_11comp_targetILNS1_3genE3ELNS1_11target_archE908ELNS1_3gpuE7ELNS1_3repE0EEENS1_30default_config_static_selectorELNS0_4arch9wavefront6targetE1EEEvSK_.uses_flat_scratch, 0
	.set _ZN7rocprim17ROCPRIM_400000_NS6detail17trampoline_kernelINS0_14default_configENS1_36segmented_radix_sort_config_selectorIblEEZNS1_25segmented_radix_sort_implIS3_Lb0EPKbPbPKlPlN2at6native12_GLOBAL__N_18offset_tEEE10hipError_tPvRmT1_PNSt15iterator_traitsISK_E10value_typeET2_T3_PNSL_ISQ_E10value_typeET4_jRbjT5_SW_jjP12ihipStream_tbEUlT_E2_NS1_11comp_targetILNS1_3genE3ELNS1_11target_archE908ELNS1_3gpuE7ELNS1_3repE0EEENS1_30default_config_static_selectorELNS0_4arch9wavefront6targetE1EEEvSK_.has_dyn_sized_stack, 0
	.set _ZN7rocprim17ROCPRIM_400000_NS6detail17trampoline_kernelINS0_14default_configENS1_36segmented_radix_sort_config_selectorIblEEZNS1_25segmented_radix_sort_implIS3_Lb0EPKbPbPKlPlN2at6native12_GLOBAL__N_18offset_tEEE10hipError_tPvRmT1_PNSt15iterator_traitsISK_E10value_typeET2_T3_PNSL_ISQ_E10value_typeET4_jRbjT5_SW_jjP12ihipStream_tbEUlT_E2_NS1_11comp_targetILNS1_3genE3ELNS1_11target_archE908ELNS1_3gpuE7ELNS1_3repE0EEENS1_30default_config_static_selectorELNS0_4arch9wavefront6targetE1EEEvSK_.has_recursion, 0
	.set _ZN7rocprim17ROCPRIM_400000_NS6detail17trampoline_kernelINS0_14default_configENS1_36segmented_radix_sort_config_selectorIblEEZNS1_25segmented_radix_sort_implIS3_Lb0EPKbPbPKlPlN2at6native12_GLOBAL__N_18offset_tEEE10hipError_tPvRmT1_PNSt15iterator_traitsISK_E10value_typeET2_T3_PNSL_ISQ_E10value_typeET4_jRbjT5_SW_jjP12ihipStream_tbEUlT_E2_NS1_11comp_targetILNS1_3genE3ELNS1_11target_archE908ELNS1_3gpuE7ELNS1_3repE0EEENS1_30default_config_static_selectorELNS0_4arch9wavefront6targetE1EEEvSK_.has_indirect_call, 0
	.section	.AMDGPU.csdata,"",@progbits
; Kernel info:
; codeLenInByte = 0
; TotalNumSgprs: 4
; NumVgprs: 0
; ScratchSize: 0
; MemoryBound: 0
; FloatMode: 240
; IeeeMode: 1
; LDSByteSize: 0 bytes/workgroup (compile time only)
; SGPRBlocks: 0
; VGPRBlocks: 0
; NumSGPRsForWavesPerEU: 4
; NumVGPRsForWavesPerEU: 1
; Occupancy: 10
; WaveLimiterHint : 0
; COMPUTE_PGM_RSRC2:SCRATCH_EN: 0
; COMPUTE_PGM_RSRC2:USER_SGPR: 6
; COMPUTE_PGM_RSRC2:TRAP_HANDLER: 0
; COMPUTE_PGM_RSRC2:TGID_X_EN: 1
; COMPUTE_PGM_RSRC2:TGID_Y_EN: 0
; COMPUTE_PGM_RSRC2:TGID_Z_EN: 0
; COMPUTE_PGM_RSRC2:TIDIG_COMP_CNT: 0
	.section	.text._ZN7rocprim17ROCPRIM_400000_NS6detail17trampoline_kernelINS0_14default_configENS1_36segmented_radix_sort_config_selectorIblEEZNS1_25segmented_radix_sort_implIS3_Lb0EPKbPbPKlPlN2at6native12_GLOBAL__N_18offset_tEEE10hipError_tPvRmT1_PNSt15iterator_traitsISK_E10value_typeET2_T3_PNSL_ISQ_E10value_typeET4_jRbjT5_SW_jjP12ihipStream_tbEUlT_E2_NS1_11comp_targetILNS1_3genE2ELNS1_11target_archE906ELNS1_3gpuE6ELNS1_3repE0EEENS1_30default_config_static_selectorELNS0_4arch9wavefront6targetE1EEEvSK_,"axG",@progbits,_ZN7rocprim17ROCPRIM_400000_NS6detail17trampoline_kernelINS0_14default_configENS1_36segmented_radix_sort_config_selectorIblEEZNS1_25segmented_radix_sort_implIS3_Lb0EPKbPbPKlPlN2at6native12_GLOBAL__N_18offset_tEEE10hipError_tPvRmT1_PNSt15iterator_traitsISK_E10value_typeET2_T3_PNSL_ISQ_E10value_typeET4_jRbjT5_SW_jjP12ihipStream_tbEUlT_E2_NS1_11comp_targetILNS1_3genE2ELNS1_11target_archE906ELNS1_3gpuE6ELNS1_3repE0EEENS1_30default_config_static_selectorELNS0_4arch9wavefront6targetE1EEEvSK_,comdat
	.globl	_ZN7rocprim17ROCPRIM_400000_NS6detail17trampoline_kernelINS0_14default_configENS1_36segmented_radix_sort_config_selectorIblEEZNS1_25segmented_radix_sort_implIS3_Lb0EPKbPbPKlPlN2at6native12_GLOBAL__N_18offset_tEEE10hipError_tPvRmT1_PNSt15iterator_traitsISK_E10value_typeET2_T3_PNSL_ISQ_E10value_typeET4_jRbjT5_SW_jjP12ihipStream_tbEUlT_E2_NS1_11comp_targetILNS1_3genE2ELNS1_11target_archE906ELNS1_3gpuE6ELNS1_3repE0EEENS1_30default_config_static_selectorELNS0_4arch9wavefront6targetE1EEEvSK_ ; -- Begin function _ZN7rocprim17ROCPRIM_400000_NS6detail17trampoline_kernelINS0_14default_configENS1_36segmented_radix_sort_config_selectorIblEEZNS1_25segmented_radix_sort_implIS3_Lb0EPKbPbPKlPlN2at6native12_GLOBAL__N_18offset_tEEE10hipError_tPvRmT1_PNSt15iterator_traitsISK_E10value_typeET2_T3_PNSL_ISQ_E10value_typeET4_jRbjT5_SW_jjP12ihipStream_tbEUlT_E2_NS1_11comp_targetILNS1_3genE2ELNS1_11target_archE906ELNS1_3gpuE6ELNS1_3repE0EEENS1_30default_config_static_selectorELNS0_4arch9wavefront6targetE1EEEvSK_
	.p2align	8
	.type	_ZN7rocprim17ROCPRIM_400000_NS6detail17trampoline_kernelINS0_14default_configENS1_36segmented_radix_sort_config_selectorIblEEZNS1_25segmented_radix_sort_implIS3_Lb0EPKbPbPKlPlN2at6native12_GLOBAL__N_18offset_tEEE10hipError_tPvRmT1_PNSt15iterator_traitsISK_E10value_typeET2_T3_PNSL_ISQ_E10value_typeET4_jRbjT5_SW_jjP12ihipStream_tbEUlT_E2_NS1_11comp_targetILNS1_3genE2ELNS1_11target_archE906ELNS1_3gpuE6ELNS1_3repE0EEENS1_30default_config_static_selectorELNS0_4arch9wavefront6targetE1EEEvSK_,@function
_ZN7rocprim17ROCPRIM_400000_NS6detail17trampoline_kernelINS0_14default_configENS1_36segmented_radix_sort_config_selectorIblEEZNS1_25segmented_radix_sort_implIS3_Lb0EPKbPbPKlPlN2at6native12_GLOBAL__N_18offset_tEEE10hipError_tPvRmT1_PNSt15iterator_traitsISK_E10value_typeET2_T3_PNSL_ISQ_E10value_typeET4_jRbjT5_SW_jjP12ihipStream_tbEUlT_E2_NS1_11comp_targetILNS1_3genE2ELNS1_11target_archE906ELNS1_3gpuE6ELNS1_3repE0EEENS1_30default_config_static_selectorELNS0_4arch9wavefront6targetE1EEEvSK_: ; @_ZN7rocprim17ROCPRIM_400000_NS6detail17trampoline_kernelINS0_14default_configENS1_36segmented_radix_sort_config_selectorIblEEZNS1_25segmented_radix_sort_implIS3_Lb0EPKbPbPKlPlN2at6native12_GLOBAL__N_18offset_tEEE10hipError_tPvRmT1_PNSt15iterator_traitsISK_E10value_typeET2_T3_PNSL_ISQ_E10value_typeET4_jRbjT5_SW_jjP12ihipStream_tbEUlT_E2_NS1_11comp_targetILNS1_3genE2ELNS1_11target_archE906ELNS1_3gpuE6ELNS1_3repE0EEENS1_30default_config_static_selectorELNS0_4arch9wavefront6targetE1EEEvSK_
; %bb.0:
	s_add_u32 s0, s0, s8
	s_load_dwordx4 s[8:11], s[4:5], 0x34
	s_addc_u32 s1, s1, 0
	s_mov_b32 s32, 0
	s_waitcnt lgkmcnt(0)
	s_add_i32 s49, s9, s6
	s_add_i32 s63, s11, s6
	s_mul_i32 s49, s49, s8
	s_mul_i32 s63, s63, s10
	s_cmp_le_u32 s63, s49
	s_cbranch_scc1 .LBB1669_422
; %bb.1:
	s_mov_b32 s48, s6
	s_load_dword s6, s[4:5], 0x30
	s_load_dwordx4 s[52:55], s[4:5], 0x20
	s_load_dwordx4 s[72:75], s[4:5], 0x44
	s_load_dwordx8 s[64:71], s[4:5], 0x0
	s_mov_b32 s33, s7
	s_waitcnt lgkmcnt(0)
	s_bitcmp1_b32 s6, 0
	s_cselect_b64 s[50:51], -1, 0
	s_sub_i32 s75, s63, s49
	s_cmpk_lt_u32 s75, 0x401
	s_mov_b64 s[6:7], -1
	s_cbranch_scc0 .LBB1669_15
; %bb.2:
	s_cmp_lt_u32 s75, 33
	s_cbranch_scc0 .LBB1669_9
; %bb.3:
	s_load_dword s6, s[4:5], 0x5c
	s_waitcnt lgkmcnt(0)
	s_lshr_b32 s7, s6, 16
	s_and_b32 s6, s6, 0xffff
	v_mad_u32_u24 v3, v2, s7, v1
	v_mad_u64_u32 v[3:4], s[6:7], v3, s6, v[0:1]
	v_cmp_gt_u32_e32 vcc, 8, v3
	s_and_saveexec_b64 s[34:35], vcc
	s_cbranch_execz .LBB1669_8
; %bb.4:
	s_and_b32 s6, s72, 1
	v_cndmask_b32_e64 v3, 0, 1, s[50:51]
	v_cmp_ne_u32_e32 vcc, s6, v3
	s_mov_b64 s[6:7], -1
	s_cbranch_vccnz .LBB1669_6
; %bb.5:
	s_add_u32 s8, s4, 0x50
	s_mov_b64 s[6:7], src_shared_base
	s_addc_u32 s9, s5, 0
	v_lshlrev_b32_e32 v3, 20, v2
	v_lshlrev_b32_e32 v4, 10, v1
	s_getpc_b64 s[10:11]
	s_add_u32 s10, s10, _ZN7rocprim17ROCPRIM_400000_NS6detail26segmented_warp_sort_helperINS1_20WarpSortHelperConfigILj8ELj4ELj256EEEblLi256ELb0EvE4sortIPKbPbPKlPlEEvT_T0_T1_T2_jjjjRNS5_12storage_typeE@rel32@lo+4
	s_addc_u32 s11, s11, _ZN7rocprim17ROCPRIM_400000_NS6detail26segmented_warp_sort_helperINS1_20WarpSortHelperConfigILj8ELj4ELj256EEEblLi256ELb0EvE4sortIPKbPbPKlPlEEvT_T0_T1_T2_jjjjRNS5_12storage_typeE@rel32@hi+12
	v_or3_b32 v31, v0, v4, v3
	s_mov_b32 s12, s48
	s_mov_b32 s13, s33
	v_mov_b32_e32 v40, v0
	v_mov_b32_e32 v0, s64
	;; [unrolled: 1-line block ×17, first 2 shown]
	s_mov_b64 s[36:37], s[4:5]
	s_swappc_b64 s[30:31], s[10:11]
	v_mov_b32_e32 v1, v41
	v_mov_b32_e32 v2, v42
	;; [unrolled: 1-line block ×3, first 2 shown]
	s_mov_b64 s[4:5], s[36:37]
	s_mov_b64 s[6:7], 0
.LBB1669_6:
	s_andn2_b64 vcc, exec, s[6:7]
	s_cbranch_vccnz .LBB1669_8
; %bb.7:
	s_add_u32 s8, s4, 0x50
	s_mov_b64 s[6:7], src_shared_base
	s_addc_u32 s9, s5, 0
	v_lshlrev_b32_e32 v3, 20, v2
	v_lshlrev_b32_e32 v4, 10, v1
	s_getpc_b64 s[10:11]
	s_add_u32 s10, s10, _ZN7rocprim17ROCPRIM_400000_NS6detail26segmented_warp_sort_helperINS1_20WarpSortHelperConfigILj8ELj4ELj256EEEblLi256ELb0EvE4sortIPKbPbPKlPlEEvT_T0_T1_T2_jjjjRNS5_12storage_typeE@rel32@lo+4
	s_addc_u32 s11, s11, _ZN7rocprim17ROCPRIM_400000_NS6detail26segmented_warp_sort_helperINS1_20WarpSortHelperConfigILj8ELj4ELj256EEEblLi256ELb0EvE4sortIPKbPbPKlPlEEvT_T0_T1_T2_jjjjRNS5_12storage_typeE@rel32@hi+12
	v_or3_b32 v31, v0, v4, v3
	s_mov_b32 s12, s48
	s_mov_b32 s13, s33
	v_mov_b32_e32 v40, v0
	v_mov_b32_e32 v0, s64
	;; [unrolled: 1-line block ×17, first 2 shown]
	s_mov_b64 s[36:37], s[4:5]
	s_swappc_b64 s[30:31], s[10:11]
	v_mov_b32_e32 v1, v41
	v_mov_b32_e32 v2, v42
	;; [unrolled: 1-line block ×3, first 2 shown]
	s_mov_b64 s[4:5], s[36:37]
.LBB1669_8:
	s_or_b64 exec, exec, s[34:35]
	s_mov_b64 s[6:7], 0
.LBB1669_9:
	s_andn2_b64 vcc, exec, s[6:7]
	s_cbranch_vccnz .LBB1669_14
; %bb.10:
	s_and_b32 s6, s72, 1
	v_cndmask_b32_e64 v3, 0, 1, s[50:51]
	v_cmp_ne_u32_e32 vcc, s6, v3
	s_mov_b64 s[6:7], -1
	v_lshlrev_b32_e32 v41, 20, v2
	v_lshlrev_b32_e32 v42, 10, v1
	s_cbranch_vccnz .LBB1669_12
; %bb.11:
	s_add_u32 s8, s4, 0x50
	s_mov_b64 s[6:7], src_shared_base
	s_addc_u32 s9, s5, 0
	s_getpc_b64 s[10:11]
	s_add_u32 s10, s10, _ZN7rocprim17ROCPRIM_400000_NS6detail40segmented_radix_sort_single_block_helperIblLj256ELj4ELb0EE4sortIPKbPbPKlPlEEbT_T0_T1_T2_jjjjRNS3_12storage_typeE@rel32@lo+4
	s_addc_u32 s11, s11, _ZN7rocprim17ROCPRIM_400000_NS6detail40segmented_radix_sort_single_block_helperIblLj256ELj4ELb0EE4sortIPKbPbPKlPlEEbT_T0_T1_T2_jjjjRNS3_12storage_typeE@rel32@hi+12
	v_or3_b32 v31, v0, v42, v41
	s_mov_b32 s12, s48
	s_mov_b32 s13, s33
	v_mov_b32_e32 v40, v0
	v_mov_b32_e32 v0, s64
	;; [unrolled: 1-line block ×17, first 2 shown]
	s_mov_b64 s[34:35], s[4:5]
	s_swappc_b64 s[30:31], s[10:11]
	v_mov_b32_e32 v1, v43
	v_mov_b32_e32 v2, v44
	;; [unrolled: 1-line block ×3, first 2 shown]
	s_mov_b64 s[4:5], s[34:35]
	s_mov_b64 s[6:7], 0
.LBB1669_12:
	s_andn2_b64 vcc, exec, s[6:7]
	s_cbranch_vccnz .LBB1669_14
; %bb.13:
	s_add_u32 s8, s4, 0x50
	s_mov_b64 s[6:7], src_shared_base
	s_addc_u32 s9, s5, 0
	s_getpc_b64 s[10:11]
	s_add_u32 s10, s10, _ZN7rocprim17ROCPRIM_400000_NS6detail40segmented_radix_sort_single_block_helperIblLj256ELj4ELb0EE4sortIPKbPbPKlPlEEbT_T0_T1_T2_jjjjRNS3_12storage_typeE@rel32@lo+4
	s_addc_u32 s11, s11, _ZN7rocprim17ROCPRIM_400000_NS6detail40segmented_radix_sort_single_block_helperIblLj256ELj4ELb0EE4sortIPKbPbPKlPlEEbT_T0_T1_T2_jjjjRNS3_12storage_typeE@rel32@hi+12
	v_or3_b32 v31, v0, v42, v41
	s_mov_b32 s12, s48
	s_mov_b32 s13, s33
	v_mov_b32_e32 v40, v0
	v_mov_b32_e32 v0, s64
	;; [unrolled: 1-line block ×17, first 2 shown]
	s_mov_b64 s[34:35], s[4:5]
	s_swappc_b64 s[30:31], s[10:11]
	v_mov_b32_e32 v1, v41
	v_mov_b32_e32 v2, v42
	;; [unrolled: 1-line block ×3, first 2 shown]
	s_mov_b64 s[4:5], s[34:35]
.LBB1669_14:
	s_mov_b64 s[6:7], 0
.LBB1669_15:
	s_andn2_b64 vcc, exec, s[6:7]
	s_cbranch_vccnz .LBB1669_422
; %bb.16:
	s_cmp_ge_u32 s73, s74
	s_cbranch_scc1 .LBB1669_422
; %bb.17:
	v_and_b32_e32 v3, 3, v0
	s_movk_i32 s6, 0x100
	v_lshlrev_b32_e32 v24, 2, v3
	v_or_b32_e32 v3, 63, v0
	v_lshlrev_b32_e32 v18, 2, v0
	s_mov_b64 s[12:13], s[4:5]
	v_cmp_gt_u32_e64 s[4:5], s6, v0
	v_cmp_eq_u32_e64 s[6:7], v0, v3
	v_lshrrev_b32_e32 v3, 4, v0
	v_mov_b32_e32 v4, s69
	v_add_co_u32_e32 v22, vcc, s68, v0
	v_and_b32_e32 v26, 12, v3
	v_and_b32_e32 v3, 0x300, v18
	v_addc_co_u32_e32 v23, vcc, 0, v4, vcc
	v_lshlrev_b32_e32 v5, 3, v3
	v_mov_b32_e32 v6, s55
	v_add_co_u32_e32 v28, vcc, s54, v5
	v_addc_co_u32_e32 v29, vcc, 0, v6, vcc
	v_mov_b32_e32 v6, s69
	v_add_co_u32_e32 v30, vcc, s68, v3
	v_addc_co_u32_e32 v31, vcc, 0, v6, vcc
	;; [unrolled: 3-line block ×8, first 2 shown]
	v_mbcnt_lo_u32_b32 v5, -1, 0
	v_mbcnt_hi_u32_b32 v44, -1, v5
	v_mad_u32_u24 v25, v0, 12, v18
	v_lshlrev_b32_e32 v4, 4, v0
	v_and_b32_e32 v45, 63, v44
	s_add_u32 s44, s12, 0x50
	v_add_u32_e32 v27, v25, v18
	v_sub_u32_e32 v4, 0, v4
	s_movk_i32 s14, 0xff
	v_or_b32_e32 v46, v45, v3
	v_or_b32_e32 v19, 0x100, v0
	;; [unrolled: 1-line block ×4, first 2 shown]
	v_cmp_gt_u32_e64 s[8:9], 4, v0
	v_cmp_lt_u32_e64 s[10:11], 63, v0
	s_addc_u32 s45, s13, 0
	s_mov_b32 s47, 0
	v_cmp_eq_u32_e64 s[12:13], 0, v0
	v_cmp_ne_u32_e64 s[14:15], s14, v0
	v_add_u32_e32 v47, v27, v4
	s_mov_b32 s58, s73
	v_or_b32_e32 v48, 0x2400, v26
	v_or_b32_e32 v49, 0x2400, v18
	v_add_u32_e32 v50, 0x23fc, v26
	v_mul_u32_u24_e32 v51, 7, v0
	v_mov_b32_e32 v52, 1
	v_add_u32_e32 v53, 0x410, v27
	v_add_u32_e32 v54, 0x418, v27
	v_and_b32_e32 v55, 15, v44
	v_bfe_i32 v56, v44, 4, 1
	v_and_b32_e32 v57, 16, v44
	v_and_b32_e32 v58, 3, v44
	;; [unrolled: 1-line block ×3, first 2 shown]
	v_lshlrev_b32_e32 v60, 3, v45
	v_or_b32_e32 v61, 64, v46
	v_or_b32_e32 v62, 0x80, v46
	;; [unrolled: 1-line block ×3, first 2 shown]
	v_mov_b32_e32 v4, 0
	s_branch .LBB1669_20
.LBB1669_18:                            ;   in Loop: Header=BB1669_20 Depth=1
	s_waitcnt lgkmcnt(0)
	s_barrier
.LBB1669_19:                            ;   in Loop: Header=BB1669_20 Depth=1
	s_add_i32 s58, s58, 8
	s_cmp_ge_u32 s58, s74
	s_cbranch_scc1 .LBB1669_422
.LBB1669_20:                            ; =>This Loop Header: Depth=1
                                        ;     Child Loop BB1669_24 Depth 2
                                        ;     Child Loop BB1669_56 Depth 2
                                        ;     Child Loop BB1669_124 Depth 2
                                        ;     Child Loop BB1669_156 Depth 2
                                        ;     Child Loop BB1669_226 Depth 2
                                        ;     Child Loop BB1669_258 Depth 2
                                        ;     Child Loop BB1669_326 Depth 2
                                        ;     Child Loop BB1669_358 Depth 2
	s_sub_i32 s16, s74, s58
	s_min_u32 s16, s16, 8
	s_lshl_b32 s16, -1, s16
	s_xor_b64 s[50:51], s[50:51], -1
	s_not_b32 s59, s16
	s_cmp_lg_u32 s58, s73
	s_mov_b64 s[16:17], -1
	ds_write2st64_b32 v18, v4, v4 offset1:4
	ds_write2st64_b32 v18, v4, v4 offset0:8 offset1:12
	s_waitcnt lgkmcnt(0)
	s_cbranch_scc0 .LBB1669_222
; %bb.21:                               ;   in Loop: Header=BB1669_20 Depth=1
	s_and_b64 vcc, exec, s[50:51]
	s_cbranch_vccz .LBB1669_121
; %bb.22:                               ;   in Loop: Header=BB1669_20 Depth=1
	v_mov_b32_e32 v3, 0
	s_mov_b32 s18, s75
	s_mov_b32 s20, s49
	v_mov_b32_e32 v7, 0
	v_mov_b32_e32 v6, 0
	v_mov_b32_e32 v5, 0
	s_barrier
	s_branch .LBB1669_24
.LBB1669_23:                            ;   in Loop: Header=BB1669_24 Depth=2
	s_or_b64 exec, exec, s[16:17]
	s_addk_i32 s18, 0xfc00
	s_cmp_ge_u32 s19, s63
	s_mov_b32 s20, s19
	s_cbranch_scc1 .LBB1669_44
.LBB1669_24:                            ;   Parent Loop BB1669_20 Depth=1
                                        ; =>  This Inner Loop Header: Depth=2
	s_add_i32 s19, s20, 0x400
	s_cmp_gt_u32 s19, s63
	s_mov_b64 s[16:17], -1
                                        ; implicit-def: $vgpr8
                                        ; implicit-def: $vgpr9
                                        ; implicit-def: $vgpr10
                                        ; implicit-def: $vgpr11
	s_cbranch_scc1 .LBB1669_26
; %bb.25:                               ;   in Loop: Header=BB1669_24 Depth=2
	v_add_co_u32_e32 v12, vcc, s20, v22
	v_addc_co_u32_e32 v13, vcc, 0, v23, vcc
	global_load_ubyte v11, v[12:13], off offset:768
	global_load_ubyte v10, v[12:13], off offset:512
	;; [unrolled: 1-line block ×3, first 2 shown]
	global_load_ubyte v8, v[12:13], off
	s_mov_b64 s[16:17], 0
.LBB1669_26:                            ;   in Loop: Header=BB1669_24 Depth=2
	s_andn2_b64 vcc, exec, s[16:17]
	s_movk_i32 s21, 0x400
	s_cbranch_vccnz .LBB1669_33
; %bb.27:                               ;   in Loop: Header=BB1669_24 Depth=2
	s_add_u32 s20, s68, s20
	s_addc_u32 s21, s69, 0
	v_cmp_gt_u32_e32 vcc, s18, v0
	s_and_saveexec_b64 s[16:17], vcc
	s_cbranch_execnz .LBB1669_41
; %bb.28:                               ;   in Loop: Header=BB1669_24 Depth=2
	s_or_b64 exec, exec, s[16:17]
	v_cmp_gt_u32_e32 vcc, s18, v19
	s_and_saveexec_b64 s[16:17], vcc
	s_cbranch_execnz .LBB1669_42
.LBB1669_29:                            ;   in Loop: Header=BB1669_24 Depth=2
	s_or_b64 exec, exec, s[16:17]
	v_cmp_gt_u32_e32 vcc, s18, v20
	s_and_saveexec_b64 s[16:17], vcc
	s_cbranch_execnz .LBB1669_43
.LBB1669_30:                            ;   in Loop: Header=BB1669_24 Depth=2
	s_or_b64 exec, exec, s[16:17]
	v_cmp_gt_u32_e32 vcc, s18, v21
	s_and_saveexec_b64 s[16:17], vcc
	s_cbranch_execz .LBB1669_32
.LBB1669_31:                            ;   in Loop: Header=BB1669_24 Depth=2
	v_mov_b32_e32 v5, s21
	s_waitcnt vmcnt(0)
	v_add_co_u32_e32 v8, vcc, s20, v0
	v_addc_co_u32_e32 v9, vcc, 0, v5, vcc
	global_load_ubyte v5, v[8:9], off offset:768
.LBB1669_32:                            ;   in Loop: Header=BB1669_24 Depth=2
	s_or_b64 exec, exec, s[16:17]
	s_mov_b32 s21, s18
	s_waitcnt vmcnt(0)
	v_mov_b32_e32 v8, v3
	v_mov_b32_e32 v9, v7
	;; [unrolled: 1-line block ×4, first 2 shown]
.LBB1669_33:                            ;   in Loop: Header=BB1669_24 Depth=2
	s_waitcnt vmcnt(3)
	v_mov_b32_e32 v5, v11
	s_waitcnt vmcnt(2)
	v_mov_b32_e32 v6, v10
	;; [unrolled: 2-line block ×4, first 2 shown]
	v_cmp_gt_u32_e32 vcc, s21, v0
	s_and_saveexec_b64 s[16:17], vcc
	s_cbranch_execnz .LBB1669_37
; %bb.34:                               ;   in Loop: Header=BB1669_24 Depth=2
	s_or_b64 exec, exec, s[16:17]
	v_cmp_gt_u32_e32 vcc, s21, v19
	s_and_saveexec_b64 s[16:17], vcc
	s_cbranch_execnz .LBB1669_38
.LBB1669_35:                            ;   in Loop: Header=BB1669_24 Depth=2
	s_or_b64 exec, exec, s[16:17]
	v_cmp_gt_u32_e32 vcc, s21, v20
	s_and_saveexec_b64 s[16:17], vcc
	s_cbranch_execnz .LBB1669_39
.LBB1669_36:                            ;   in Loop: Header=BB1669_24 Depth=2
	s_or_b64 exec, exec, s[16:17]
	v_cmp_gt_u32_e32 vcc, s21, v21
	s_and_saveexec_b64 s[16:17], vcc
	s_cbranch_execz .LBB1669_23
	s_branch .LBB1669_40
.LBB1669_37:                            ;   in Loop: Header=BB1669_24 Depth=2
	v_and_b32_e32 v8, 1, v3
	v_lshrrev_b32_e32 v8, s58, v8
	v_and_b32_e32 v8, s59, v8
	v_lshl_or_b32 v8, v8, 4, v24
	ds_add_u32 v8, v52
	s_or_b64 exec, exec, s[16:17]
	v_cmp_gt_u32_e32 vcc, s21, v19
	s_and_saveexec_b64 s[16:17], vcc
	s_cbranch_execz .LBB1669_35
.LBB1669_38:                            ;   in Loop: Header=BB1669_24 Depth=2
	v_and_b32_e32 v8, 1, v7
	v_lshrrev_b32_e32 v8, s58, v8
	v_and_b32_e32 v8, s59, v8
	v_lshl_or_b32 v8, v8, 4, v24
	ds_add_u32 v8, v52
	s_or_b64 exec, exec, s[16:17]
	v_cmp_gt_u32_e32 vcc, s21, v20
	s_and_saveexec_b64 s[16:17], vcc
	s_cbranch_execz .LBB1669_36
.LBB1669_39:                            ;   in Loop: Header=BB1669_24 Depth=2
	v_and_b32_e32 v8, 1, v6
	v_lshrrev_b32_e32 v8, s58, v8
	v_and_b32_e32 v8, s59, v8
	v_lshl_or_b32 v8, v8, 4, v24
	ds_add_u32 v8, v52
	s_or_b64 exec, exec, s[16:17]
	v_cmp_gt_u32_e32 vcc, s21, v21
	s_and_saveexec_b64 s[16:17], vcc
	s_cbranch_execz .LBB1669_23
.LBB1669_40:                            ;   in Loop: Header=BB1669_24 Depth=2
	v_and_b32_e32 v8, 1, v5
	v_lshrrev_b32_e32 v8, s58, v8
	v_and_b32_e32 v8, s59, v8
	v_lshl_or_b32 v8, v8, 4, v24
	ds_add_u32 v8, v52
	s_branch .LBB1669_23
.LBB1669_41:                            ;   in Loop: Header=BB1669_24 Depth=2
	v_mov_b32_e32 v3, s21
	s_waitcnt vmcnt(0)
	v_add_co_u32_e32 v8, vcc, s20, v0
	v_addc_co_u32_e32 v9, vcc, 0, v3, vcc
	global_load_ubyte v3, v[8:9], off
	s_or_b64 exec, exec, s[16:17]
	v_cmp_gt_u32_e32 vcc, s18, v19
	s_and_saveexec_b64 s[16:17], vcc
	s_cbranch_execz .LBB1669_29
.LBB1669_42:                            ;   in Loop: Header=BB1669_24 Depth=2
	s_waitcnt vmcnt(0)
	v_mov_b32_e32 v8, s21
	v_add_co_u32_e32 v7, vcc, s20, v0
	v_addc_co_u32_e32 v8, vcc, 0, v8, vcc
	global_load_ubyte v7, v[7:8], off offset:256
	s_or_b64 exec, exec, s[16:17]
	v_cmp_gt_u32_e32 vcc, s18, v20
	s_and_saveexec_b64 s[16:17], vcc
	s_cbranch_execz .LBB1669_30
.LBB1669_43:                            ;   in Loop: Header=BB1669_24 Depth=2
	v_mov_b32_e32 v6, s21
	s_waitcnt vmcnt(0)
	v_add_co_u32_e32 v8, vcc, s20, v0
	v_addc_co_u32_e32 v9, vcc, 0, v6, vcc
	global_load_ubyte v6, v[8:9], off offset:512
	s_or_b64 exec, exec, s[16:17]
	v_cmp_gt_u32_e32 vcc, s18, v21
	s_and_saveexec_b64 s[16:17], vcc
	s_cbranch_execnz .LBB1669_31
	s_branch .LBB1669_32
.LBB1669_44:                            ;   in Loop: Header=BB1669_20 Depth=1
	v_mov_b32_e32 v3, 0
	s_waitcnt lgkmcnt(0)
	s_barrier
	s_and_saveexec_b64 s[16:17], s[4:5]
	s_cbranch_execz .LBB1669_46
; %bb.45:                               ;   in Loop: Header=BB1669_20 Depth=1
	ds_read2_b64 v[5:8], v25 offset1:1
	s_waitcnt lgkmcnt(0)
	v_add_u32_e32 v3, v6, v5
	v_add3_u32 v3, v3, v7, v8
.LBB1669_46:                            ;   in Loop: Header=BB1669_20 Depth=1
	s_or_b64 exec, exec, s[16:17]
	s_nop 0
	v_mov_b32_dpp v5, v3 row_shr:1 row_mask:0xf bank_mask:0xf
	v_cmp_eq_u32_e64 s[16:17], 0, v55
	v_cndmask_b32_e64 v5, v5, 0, s[16:17]
	v_add_u32_e32 v3, v5, v3
	v_cmp_lt_u32_e64 s[18:19], 1, v55
	v_cmp_lt_u32_e64 s[20:21], 3, v55
	v_mov_b32_dpp v5, v3 row_shr:2 row_mask:0xf bank_mask:0xf
	v_cndmask_b32_e64 v5, 0, v5, s[18:19]
	v_add_u32_e32 v3, v3, v5
	v_cmp_lt_u32_e64 s[22:23], 7, v55
	v_cmp_lt_u32_e64 s[26:27], 31, v44
	v_mov_b32_dpp v5, v3 row_shr:4 row_mask:0xf bank_mask:0xf
	v_cndmask_b32_e64 v5, 0, v5, s[20:21]
	v_add_u32_e32 v3, v3, v5
	v_cmp_eq_u32_e64 s[24:25], 0, v57
	s_nop 0
	v_mov_b32_dpp v5, v3 row_shr:8 row_mask:0xf bank_mask:0xf
	v_cndmask_b32_e64 v5, 0, v5, s[22:23]
	v_add_u32_e32 v3, v3, v5
	s_nop 1
	v_mov_b32_dpp v5, v3 row_bcast:15 row_mask:0xf bank_mask:0xf
	v_and_b32_e32 v5, v56, v5
	v_add_u32_e32 v3, v3, v5
	s_nop 1
	v_mov_b32_dpp v5, v3 row_bcast:31 row_mask:0xf bank_mask:0xf
	v_cndmask_b32_e64 v5, 0, v5, s[26:27]
	v_add_u32_e32 v3, v3, v5
	s_and_saveexec_b64 s[28:29], s[6:7]
; %bb.47:                               ;   in Loop: Header=BB1669_20 Depth=1
	ds_write_b32 v48, v3
; %bb.48:                               ;   in Loop: Header=BB1669_20 Depth=1
	s_or_b64 exec, exec, s[28:29]
	s_waitcnt lgkmcnt(0)
	s_barrier
	s_and_saveexec_b64 s[28:29], s[8:9]
	s_cbranch_execz .LBB1669_50
; %bb.49:                               ;   in Loop: Header=BB1669_20 Depth=1
	ds_read_b32 v5, v49
	v_cmp_ne_u32_e32 vcc, 0, v58
	s_waitcnt lgkmcnt(0)
	v_mov_b32_dpp v6, v5 row_shr:1 row_mask:0xf bank_mask:0xf
	v_cndmask_b32_e32 v6, 0, v6, vcc
	v_add_u32_e32 v5, v6, v5
	v_cmp_lt_u32_e32 vcc, 1, v58
	s_nop 0
	v_mov_b32_dpp v6, v5 row_shr:2 row_mask:0xf bank_mask:0xf
	v_cndmask_b32_e32 v6, 0, v6, vcc
	v_add_u32_e32 v5, v5, v6
	ds_write_b32 v49, v5
.LBB1669_50:                            ;   in Loop: Header=BB1669_20 Depth=1
	s_or_b64 exec, exec, s[28:29]
	v_mov_b32_e32 v5, 0
	s_waitcnt lgkmcnt(0)
	s_barrier
	s_and_saveexec_b64 s[28:29], s[10:11]
; %bb.51:                               ;   in Loop: Header=BB1669_20 Depth=1
	ds_read_b32 v5, v50
; %bb.52:                               ;   in Loop: Header=BB1669_20 Depth=1
	s_or_b64 exec, exec, s[28:29]
	v_subrev_co_u32_e64 v6, s[28:29], 1, v44
	v_cmp_lt_i32_e32 vcc, v6, v59
	v_cndmask_b32_e32 v6, v6, v44, vcc
	s_waitcnt lgkmcnt(0)
	v_add_u32_e32 v3, v5, v3
	v_lshlrev_b32_e32 v64, 2, v6
	ds_bpermute_b32 v3, v64, v3
	s_waitcnt lgkmcnt(0)
	s_barrier
	s_and_saveexec_b64 s[30:31], s[4:5]
; %bb.53:                               ;   in Loop: Header=BB1669_20 Depth=1
	v_cndmask_b32_e64 v3, v3, v5, s[28:29]
	v_add_u32_e32 v3, s49, v3
	ds_write_b32 v18, v3
; %bb.54:                               ;   in Loop: Header=BB1669_20 Depth=1
	s_or_b64 exec, exec, s[30:31]
	s_load_dword s30, s[44:45], 0x4
	s_load_dword s36, s[44:45], 0xc
	v_add_co_u32_e32 v65, vcc, v28, v60
	v_addc_co_u32_e32 v66, vcc, 0, v29, vcc
	s_waitcnt lgkmcnt(0)
	s_cmp_lt_u32 s33, s30
	s_cselect_b32 s30, 14, 20
	s_add_u32 s30, s44, s30
	s_addc_u32 s31, s45, 0
	global_load_ushort v3, v4, s[30:31]
	s_and_b32 s36, s36, 0xffff
	v_add_co_u32_e32 v67, vcc, v30, v45
	v_cmp_eq_u32_e64 s[30:31], 0, v58
	v_cmp_lt_u32_e64 s[34:35], 1, v58
	v_addc_co_u32_e32 v68, vcc, 0, v31, vcc
	s_mov_b32 s60, s75
	s_mov_b32 s46, s49
                                        ; implicit-def: $vgpr5_vgpr6
                                        ; implicit-def: $vgpr7_vgpr8
                                        ; implicit-def: $vgpr9_vgpr10
                                        ; implicit-def: $vgpr11_vgpr12
                                        ; implicit-def: $vgpr69
                                        ; implicit-def: $vgpr70
                                        ; implicit-def: $vgpr72
                                        ; implicit-def: $vgpr73
	s_waitcnt vmcnt(0)
	v_mad_u32_u24 v3, v2, v3, v1
	v_mad_u64_u32 v[13:14], s[36:37], v3, s36, v[0:1]
	v_lshrrev_b32_e32 v3, 4, v13
	v_and_b32_e32 v71, 0xffffffc, v3
	s_branch .LBB1669_56
.LBB1669_55:                            ;   in Loop: Header=BB1669_56 Depth=2
	s_or_b64 exec, exec, s[36:37]
	s_addk_i32 s60, 0xfc00
	s_cmp_lt_u32 s61, s63
	s_mov_b32 s46, s61
	s_cbranch_scc0 .LBB1669_120
.LBB1669_56:                            ;   Parent Loop BB1669_20 Depth=1
                                        ; =>  This Inner Loop Header: Depth=2
	s_add_i32 s61, s46, 0x400
	s_cmp_gt_u32 s61, s63
	s_cbranch_scc1 .LBB1669_58
; %bb.57:                               ;   in Loop: Header=BB1669_56 Depth=2
	v_add_co_u32_e32 v13, vcc, s46, v67
	v_addc_co_u32_e32 v14, vcc, 0, v68, vcc
	global_load_ubyte v17, v[13:14], off
	global_load_ubyte v75, v[13:14], off offset:64
	global_load_ubyte v76, v[13:14], off offset:128
	s_mov_b64 s[36:37], -1
	s_movk_i32 s40, 0x400
	s_cbranch_execz .LBB1669_59
	s_branch .LBB1669_66
.LBB1669_58:                            ;   in Loop: Header=BB1669_56 Depth=2
	s_mov_b64 s[36:37], 0
                                        ; implicit-def: $vgpr17
                                        ; implicit-def: $vgpr75
                                        ; implicit-def: $vgpr76
	s_movk_i32 s40, 0x400
.LBB1669_59:                            ;   in Loop: Header=BB1669_56 Depth=2
	v_add_co_u32_e32 v13, vcc, s46, v67
	v_addc_co_u32_e32 v14, vcc, 0, v68, vcc
	v_cmp_gt_u32_e32 vcc, s60, v46
	s_waitcnt vmcnt(1)
	v_mov_b32_e32 v75, 1
	v_mov_b32_e32 v17, 1
	s_and_saveexec_b64 s[36:37], vcc
	s_cbranch_execz .LBB1669_61
; %bb.60:                               ;   in Loop: Header=BB1669_56 Depth=2
	global_load_ubyte v17, v[13:14], off
.LBB1669_61:                            ;   in Loop: Header=BB1669_56 Depth=2
	s_or_b64 exec, exec, s[36:37]
	v_cmp_gt_u32_e32 vcc, s60, v61
	s_and_saveexec_b64 s[36:37], vcc
	s_cbranch_execz .LBB1669_63
; %bb.62:                               ;   in Loop: Header=BB1669_56 Depth=2
	global_load_ubyte v75, v[13:14], off offset:64
.LBB1669_63:                            ;   in Loop: Header=BB1669_56 Depth=2
	s_or_b64 exec, exec, s[36:37]
	v_cmp_gt_u32_e32 vcc, s60, v62
	s_waitcnt vmcnt(0)
	v_mov_b32_e32 v76, 1
	s_and_saveexec_b64 s[36:37], vcc
	s_cbranch_execz .LBB1669_65
; %bb.64:                               ;   in Loop: Header=BB1669_56 Depth=2
	global_load_ubyte v76, v[13:14], off offset:128
.LBB1669_65:                            ;   in Loop: Header=BB1669_56 Depth=2
	s_or_b64 exec, exec, s[36:37]
	s_sub_i32 s40, s63, s46
	v_cmp_gt_u32_e64 s[36:37], s60, v63
.LBB1669_66:                            ;   in Loop: Header=BB1669_56 Depth=2
	v_mov_b32_e32 v78, 1
	v_mov_b32_e32 v74, s60
	s_and_saveexec_b64 s[38:39], s[36:37]
	s_cbranch_execz .LBB1669_68
; %bb.67:                               ;   in Loop: Header=BB1669_56 Depth=2
	v_mov_b32_e32 v3, s47
	v_add_co_u32_e32 v13, vcc, s46, v67
	v_addc_co_u32_e32 v14, vcc, v68, v3, vcc
	global_load_ubyte v78, v[13:14], off offset:192
	v_mov_b32_e32 v74, s40
.LBB1669_68:                            ;   in Loop: Header=BB1669_56 Depth=2
	s_or_b64 exec, exec, s[38:39]
	s_waitcnt vmcnt(2)
	v_lshrrev_b32_sdwa v3, s58, v17 dst_sel:DWORD dst_unused:UNUSED_PAD src0_sel:DWORD src1_sel:BYTE_0
	v_and_b32_e32 v3, s59, v3
	v_mul_u32_u24_e32 v15, 20, v3
	v_cmp_ne_u32_e32 vcc, 0, v3
	v_add_co_u32_e64 v3, s[36:37], -1, v3
	v_addc_co_u32_e64 v13, s[36:37], 0, -1, s[36:37]
	v_xor_b32_e32 v13, vcc_hi, v13
	v_xor_b32_e32 v3, vcc_lo, v3
	v_and_b32_e32 v14, exec_hi, v13
	v_and_b32_e32 v13, exec_lo, v3
	v_mbcnt_lo_u32_b32 v3, v13, 0
	v_mbcnt_hi_u32_b32 v3, v14, v3
	v_cmp_ne_u64_e32 vcc, 0, v[13:14]
	v_cmp_eq_u32_e64 s[36:37], 0, v3
	s_and_b64 s[38:39], vcc, s[36:37]
	v_add_u32_e32 v77, v71, v15
	ds_write2_b32 v53, v4, v4 offset1:1
	ds_write2_b32 v54, v4, v4 offset1:1
	ds_write_b32 v27, v4 offset:1056
	s_waitcnt vmcnt(0) lgkmcnt(0)
	s_barrier
	; wave barrier
	s_and_saveexec_b64 s[36:37], s[38:39]
; %bb.69:                               ;   in Loop: Header=BB1669_56 Depth=2
	v_bcnt_u32_b32 v13, v13, 0
	v_bcnt_u32_b32 v13, v14, v13
	ds_write_b32 v77, v13 offset:1040
; %bb.70:                               ;   in Loop: Header=BB1669_56 Depth=2
	s_or_b64 exec, exec, s[36:37]
	v_lshrrev_b32_sdwa v13, s58, v75 dst_sel:DWORD dst_unused:UNUSED_PAD src0_sel:DWORD src1_sel:BYTE_0
	v_and_b32_e32 v13, s59, v13
	v_mul_u32_u24_e32 v15, 20, v13
	v_mad_u32_u24 v14, v13, 20, v71
	v_cmp_ne_u32_e32 vcc, 0, v13
	v_add_co_u32_e64 v13, s[36:37], -1, v13
	; wave barrier
	ds_read_b32 v79, v14 offset:1040
	v_addc_co_u32_e64 v14, s[36:37], 0, -1, s[36:37]
	v_xor_b32_e32 v13, vcc_lo, v13
	v_xor_b32_e32 v14, vcc_hi, v14
	v_and_b32_e32 v13, exec_lo, v13
	v_and_b32_e32 v14, exec_hi, v14
	v_mbcnt_lo_u32_b32 v16, v13, 0
	v_mbcnt_hi_u32_b32 v80, v14, v16
	v_cmp_ne_u64_e32 vcc, 0, v[13:14]
	v_cmp_eq_u32_e64 s[36:37], 0, v80
	s_and_b64 s[38:39], vcc, s[36:37]
	v_add_u32_e32 v82, v71, v15
	; wave barrier
	s_and_saveexec_b64 s[36:37], s[38:39]
	s_cbranch_execz .LBB1669_72
; %bb.71:                               ;   in Loop: Header=BB1669_56 Depth=2
	v_bcnt_u32_b32 v13, v13, 0
	v_bcnt_u32_b32 v13, v14, v13
	s_waitcnt lgkmcnt(0)
	v_add_u32_e32 v13, v79, v13
	ds_write_b32 v82, v13 offset:1040
.LBB1669_72:                            ;   in Loop: Header=BB1669_56 Depth=2
	s_or_b64 exec, exec, s[36:37]
	v_lshrrev_b32_sdwa v13, s58, v76 dst_sel:DWORD dst_unused:UNUSED_PAD src0_sel:DWORD src1_sel:BYTE_0
	v_and_b32_e32 v13, s59, v13
	v_mul_u32_u24_e32 v15, 20, v13
	v_mad_u32_u24 v14, v13, 20, v71
	v_cmp_ne_u32_e32 vcc, 0, v13
	v_add_co_u32_e64 v13, s[36:37], -1, v13
	; wave barrier
	ds_read_b32 v81, v14 offset:1040
	v_addc_co_u32_e64 v14, s[36:37], 0, -1, s[36:37]
	v_xor_b32_e32 v13, vcc_lo, v13
	v_xor_b32_e32 v14, vcc_hi, v14
	v_and_b32_e32 v13, exec_lo, v13
	v_and_b32_e32 v14, exec_hi, v14
	v_mbcnt_lo_u32_b32 v16, v13, 0
	v_mbcnt_hi_u32_b32 v83, v14, v16
	v_cmp_ne_u64_e32 vcc, 0, v[13:14]
	v_cmp_eq_u32_e64 s[36:37], 0, v83
	s_and_b64 s[38:39], vcc, s[36:37]
	v_add_u32_e32 v85, v71, v15
	; wave barrier
	s_and_saveexec_b64 s[36:37], s[38:39]
	s_cbranch_execz .LBB1669_74
; %bb.73:                               ;   in Loop: Header=BB1669_56 Depth=2
	v_bcnt_u32_b32 v13, v13, 0
	v_bcnt_u32_b32 v13, v14, v13
	s_waitcnt lgkmcnt(0)
	v_add_u32_e32 v13, v81, v13
	ds_write_b32 v85, v13 offset:1040
.LBB1669_74:                            ;   in Loop: Header=BB1669_56 Depth=2
	;; [unrolled: 30-line block ×3, first 2 shown]
	s_or_b64 exec, exec, s[36:37]
	; wave barrier
	s_waitcnt lgkmcnt(0)
	s_barrier
	ds_read2_b32 v[15:16], v53 offset1:1
	ds_read2_b32 v[13:14], v54 offset1:1
	ds_read_b32 v88, v27 offset:1056
	s_waitcnt lgkmcnt(1)
	v_add3_u32 v89, v16, v15, v13
	s_waitcnt lgkmcnt(0)
	v_add3_u32 v88, v89, v14, v88
	s_nop 1
	v_mov_b32_dpp v89, v88 row_shr:1 row_mask:0xf bank_mask:0xf
	v_cndmask_b32_e64 v89, v89, 0, s[16:17]
	v_add_u32_e32 v88, v89, v88
	s_nop 1
	v_mov_b32_dpp v89, v88 row_shr:2 row_mask:0xf bank_mask:0xf
	v_cndmask_b32_e64 v89, 0, v89, s[18:19]
	v_add_u32_e32 v88, v88, v89
	;; [unrolled: 4-line block ×4, first 2 shown]
	s_nop 1
	v_mov_b32_dpp v89, v88 row_bcast:15 row_mask:0xf bank_mask:0xf
	v_cndmask_b32_e64 v89, v89, 0, s[24:25]
	v_add_u32_e32 v88, v88, v89
	s_nop 1
	v_mov_b32_dpp v89, v88 row_bcast:31 row_mask:0xf bank_mask:0xf
	v_cndmask_b32_e64 v89, 0, v89, s[26:27]
	v_add_u32_e32 v88, v88, v89
	s_and_saveexec_b64 s[36:37], s[6:7]
; %bb.77:                               ;   in Loop: Header=BB1669_56 Depth=2
	ds_write_b32 v26, v88 offset:1024
; %bb.78:                               ;   in Loop: Header=BB1669_56 Depth=2
	s_or_b64 exec, exec, s[36:37]
	s_waitcnt lgkmcnt(0)
	s_barrier
	s_and_saveexec_b64 s[36:37], s[8:9]
	s_cbranch_execz .LBB1669_80
; %bb.79:                               ;   in Loop: Header=BB1669_56 Depth=2
	ds_read_b32 v89, v47 offset:1024
	s_waitcnt lgkmcnt(0)
	s_nop 0
	v_mov_b32_dpp v90, v89 row_shr:1 row_mask:0xf bank_mask:0xf
	v_cndmask_b32_e64 v90, v90, 0, s[30:31]
	v_add_u32_e32 v89, v90, v89
	s_nop 1
	v_mov_b32_dpp v90, v89 row_shr:2 row_mask:0xf bank_mask:0xf
	v_cndmask_b32_e64 v90, 0, v90, s[34:35]
	v_add_u32_e32 v89, v89, v90
	ds_write_b32 v47, v89 offset:1024
.LBB1669_80:                            ;   in Loop: Header=BB1669_56 Depth=2
	s_or_b64 exec, exec, s[36:37]
	v_mov_b32_e32 v89, 0
	s_waitcnt lgkmcnt(0)
	s_barrier
	s_and_saveexec_b64 s[36:37], s[10:11]
; %bb.81:                               ;   in Loop: Header=BB1669_56 Depth=2
	ds_read_b32 v89, v26 offset:1020
; %bb.82:                               ;   in Loop: Header=BB1669_56 Depth=2
	s_or_b64 exec, exec, s[36:37]
	s_waitcnt lgkmcnt(0)
	v_add_u32_e32 v88, v89, v88
	ds_bpermute_b32 v88, v64, v88
	s_waitcnt lgkmcnt(0)
	v_cndmask_b32_e64 v88, v88, v89, s[28:29]
	v_cndmask_b32_e64 v88, v88, 0, s[12:13]
	v_add_u32_e32 v15, v88, v15
	v_add_u32_e32 v16, v15, v16
	;; [unrolled: 1-line block ×4, first 2 shown]
	ds_write2_b32 v53, v88, v15 offset1:1
	ds_write2_b32 v54, v16, v13 offset1:1
	ds_write_b32 v27, v14 offset:1056
	s_waitcnt lgkmcnt(0)
	s_barrier
	ds_read_b32 v13, v77 offset:1040
	ds_read_b32 v14, v82 offset:1040
	;; [unrolled: 1-line block ×5, first 2 shown]
	v_mov_b32_e32 v77, 0x400
	s_and_saveexec_b64 s[36:37], s[14:15]
; %bb.83:                               ;   in Loop: Header=BB1669_56 Depth=2
	ds_read_b32 v77, v27 offset:1060
; %bb.84:                               ;   in Loop: Header=BB1669_56 Depth=2
	s_or_b64 exec, exec, s[36:37]
	s_waitcnt lgkmcnt(0)
	s_barrier
	s_and_saveexec_b64 s[36:37], s[4:5]
	s_cbranch_execz .LBB1669_86
; %bb.85:                               ;   in Loop: Header=BB1669_56 Depth=2
	ds_read_b32 v85, v18
	s_waitcnt lgkmcnt(0)
	v_sub_u32_e32 v15, v85, v15
	ds_write_b32 v18, v15
.LBB1669_86:                            ;   in Loop: Header=BB1669_56 Depth=2
	s_or_b64 exec, exec, s[36:37]
	v_add_u32_e32 v15, v13, v3
	v_add3_u32 v14, v80, v79, v14
	v_add3_u32 v13, v83, v81, v16
	;; [unrolled: 1-line block ×3, first 2 shown]
	v_cmp_lt_u32_e64 s[40:41], v0, v74
	ds_write_b8 v15, v17 offset:1024
	ds_write_b8 v14, v75 offset:1024
	;; [unrolled: 1-line block ×4, first 2 shown]
	s_waitcnt lgkmcnt(0)
	s_barrier
	s_and_saveexec_b64 s[36:37], s[40:41]
	s_cbranch_execnz .LBB1669_107
; %bb.87:                               ;   in Loop: Header=BB1669_56 Depth=2
	s_or_b64 exec, exec, s[36:37]
	v_cmp_lt_u32_e64 s[38:39], v19, v74
	s_and_saveexec_b64 s[36:37], s[38:39]
	s_cbranch_execnz .LBB1669_108
.LBB1669_88:                            ;   in Loop: Header=BB1669_56 Depth=2
	s_or_b64 exec, exec, s[36:37]
	v_cmp_lt_u32_e64 s[36:37], v20, v74
	s_and_saveexec_b64 s[42:43], s[36:37]
	s_cbranch_execnz .LBB1669_109
.LBB1669_89:                            ;   in Loop: Header=BB1669_56 Depth=2
	s_or_b64 exec, exec, s[42:43]
	v_cmp_lt_u32_e32 vcc, v21, v74
	s_and_saveexec_b64 s[42:43], vcc
	s_cbranch_execz .LBB1669_91
.LBB1669_90:                            ;   in Loop: Header=BB1669_56 Depth=2
	ds_read_u8 v16, v0 offset:1792
	s_waitcnt lgkmcnt(0)
	v_and_b32_e32 v17, 1, v16
	v_lshrrev_b32_e32 v17, s58, v17
	v_and_b32_e32 v17, s59, v17
	v_lshlrev_b32_e32 v17, 2, v17
	ds_read_b32 v17, v17
	s_waitcnt lgkmcnt(0)
	v_add_u32_e32 v17, v17, v21
	global_store_byte v17, v16, s[66:67]
.LBB1669_91:                            ;   in Loop: Header=BB1669_56 Depth=2
	s_or_b64 exec, exec, s[42:43]
	s_lshl_b64 s[42:43], s[46:47], 3
	v_mov_b32_e32 v17, s43
	v_add_co_u32_e64 v16, s[42:43], s42, v65
	v_addc_co_u32_e64 v17, s[42:43], v66, v17, s[42:43]
	v_cmp_lt_u32_e64 s[42:43], v46, v74
	s_and_saveexec_b64 s[56:57], s[42:43]
	s_xor_b64 s[42:43], exec, s[56:57]
	s_cbranch_execnz .LBB1669_110
; %bb.92:                               ;   in Loop: Header=BB1669_56 Depth=2
	s_or_b64 exec, exec, s[42:43]
	v_cmp_lt_u32_e64 s[42:43], v61, v74
	s_and_saveexec_b64 s[56:57], s[42:43]
	s_cbranch_execnz .LBB1669_111
.LBB1669_93:                            ;   in Loop: Header=BB1669_56 Depth=2
	s_or_b64 exec, exec, s[56:57]
	v_cmp_lt_u32_e64 s[42:43], v62, v74
	s_and_saveexec_b64 s[56:57], s[42:43]
	s_cbranch_execnz .LBB1669_112
.LBB1669_94:                            ;   in Loop: Header=BB1669_56 Depth=2
	s_or_b64 exec, exec, s[56:57]
	v_cmp_lt_u32_e64 s[42:43], v63, v74
	s_and_saveexec_b64 s[56:57], s[42:43]
	s_cbranch_execnz .LBB1669_113
.LBB1669_95:                            ;   in Loop: Header=BB1669_56 Depth=2
	s_or_b64 exec, exec, s[56:57]
	s_and_saveexec_b64 s[42:43], s[40:41]
	s_cbranch_execnz .LBB1669_114
.LBB1669_96:                            ;   in Loop: Header=BB1669_56 Depth=2
	s_or_b64 exec, exec, s[42:43]
	s_and_saveexec_b64 s[42:43], s[38:39]
	s_cbranch_execnz .LBB1669_115
.LBB1669_97:                            ;   in Loop: Header=BB1669_56 Depth=2
	s_or_b64 exec, exec, s[42:43]
	s_and_saveexec_b64 s[42:43], s[36:37]
	s_cbranch_execnz .LBB1669_116
.LBB1669_98:                            ;   in Loop: Header=BB1669_56 Depth=2
	s_or_b64 exec, exec, s[42:43]
	s_and_saveexec_b64 s[42:43], vcc
	s_cbranch_execz .LBB1669_100
.LBB1669_99:                            ;   in Loop: Header=BB1669_56 Depth=2
	ds_read_u8 v16, v0 offset:1792
	s_waitcnt lgkmcnt(0)
	v_lshrrev_b32_e32 v16, s58, v16
	v_and_b32_e32 v69, s59, v16
.LBB1669_100:                           ;   in Loop: Header=BB1669_56 Depth=2
	s_or_b64 exec, exec, s[42:43]
	v_mad_u64_u32 v[15:16], s[42:43], v15, 7, v[15:16]
	v_mad_u64_u32 v[74:75], s[42:43], v3, 7, v[3:4]
	;; [unrolled: 1-line block ×4, first 2 shown]
	s_waitcnt vmcnt(0)
	s_barrier
	ds_write_b64 v15, v[11:12] offset:1024
	ds_write_b64 v16, v[9:10] offset:1024
	;; [unrolled: 1-line block ×4, first 2 shown]
	s_waitcnt lgkmcnt(0)
	s_barrier
	s_and_saveexec_b64 s[42:43], s[40:41]
	s_cbranch_execnz .LBB1669_117
; %bb.101:                              ;   in Loop: Header=BB1669_56 Depth=2
	s_or_b64 exec, exec, s[42:43]
	s_and_saveexec_b64 s[40:41], s[38:39]
	s_cbranch_execnz .LBB1669_118
.LBB1669_102:                           ;   in Loop: Header=BB1669_56 Depth=2
	s_or_b64 exec, exec, s[40:41]
	s_and_saveexec_b64 s[38:39], s[36:37]
	s_cbranch_execnz .LBB1669_119
.LBB1669_103:                           ;   in Loop: Header=BB1669_56 Depth=2
	s_or_b64 exec, exec, s[38:39]
	s_and_saveexec_b64 s[36:37], vcc
	s_cbranch_execz .LBB1669_105
.LBB1669_104:                           ;   in Loop: Header=BB1669_56 Depth=2
	v_lshlrev_b32_e32 v3, 2, v69
	ds_read_b32 v3, v3
	v_add_u32_e32 v13, v0, v51
	ds_read_b64 v[13:14], v13 offset:7168
	v_mov_b32_e32 v17, s53
	s_waitcnt lgkmcnt(1)
	v_add_u32_e32 v3, v3, v21
	v_lshlrev_b64 v[15:16], 3, v[3:4]
	v_add_co_u32_e32 v15, vcc, s52, v15
	v_addc_co_u32_e32 v16, vcc, v17, v16, vcc
	s_waitcnt lgkmcnt(0)
	global_store_dwordx2 v[15:16], v[13:14], off
.LBB1669_105:                           ;   in Loop: Header=BB1669_56 Depth=2
	s_or_b64 exec, exec, s[36:37]
	s_waitcnt vmcnt(0)
	s_barrier
	s_and_saveexec_b64 s[36:37], s[4:5]
	s_cbranch_execz .LBB1669_55
; %bb.106:                              ;   in Loop: Header=BB1669_56 Depth=2
	ds_read_b32 v3, v18
	s_waitcnt lgkmcnt(0)
	v_add_u32_e32 v3, v3, v77
	ds_write_b32 v18, v3
	s_branch .LBB1669_55
.LBB1669_107:                           ;   in Loop: Header=BB1669_56 Depth=2
	ds_read_u8 v16, v0 offset:1024
	s_waitcnt lgkmcnt(0)
	v_and_b32_e32 v17, 1, v16
	v_lshrrev_b32_e32 v17, s58, v17
	v_and_b32_e32 v17, s59, v17
	v_lshlrev_b32_e32 v17, 2, v17
	ds_read_b32 v17, v17
	s_waitcnt lgkmcnt(0)
	v_add_u32_e32 v17, v17, v0
	global_store_byte v17, v16, s[66:67]
	s_or_b64 exec, exec, s[36:37]
	v_cmp_lt_u32_e64 s[38:39], v19, v74
	s_and_saveexec_b64 s[36:37], s[38:39]
	s_cbranch_execz .LBB1669_88
.LBB1669_108:                           ;   in Loop: Header=BB1669_56 Depth=2
	ds_read_u8 v16, v0 offset:1280
	s_waitcnt lgkmcnt(0)
	v_and_b32_e32 v17, 1, v16
	v_lshrrev_b32_e32 v17, s58, v17
	v_and_b32_e32 v17, s59, v17
	v_lshlrev_b32_e32 v17, 2, v17
	ds_read_b32 v17, v17
	s_waitcnt lgkmcnt(0)
	v_add_u32_e32 v17, v17, v19
	global_store_byte v17, v16, s[66:67]
	s_or_b64 exec, exec, s[36:37]
	v_cmp_lt_u32_e64 s[36:37], v20, v74
	s_and_saveexec_b64 s[42:43], s[36:37]
	s_cbranch_execz .LBB1669_89
.LBB1669_109:                           ;   in Loop: Header=BB1669_56 Depth=2
	ds_read_u8 v16, v0 offset:1536
	s_waitcnt lgkmcnt(0)
	v_and_b32_e32 v17, 1, v16
	v_lshrrev_b32_e32 v17, s58, v17
	v_and_b32_e32 v17, s59, v17
	v_lshlrev_b32_e32 v17, 2, v17
	ds_read_b32 v17, v17
	s_waitcnt lgkmcnt(0)
	v_add_u32_e32 v17, v17, v20
	global_store_byte v17, v16, s[66:67]
	s_or_b64 exec, exec, s[42:43]
	v_cmp_lt_u32_e32 vcc, v21, v74
	s_and_saveexec_b64 s[42:43], vcc
	s_cbranch_execnz .LBB1669_90
	s_branch .LBB1669_91
.LBB1669_110:                           ;   in Loop: Header=BB1669_56 Depth=2
	global_load_dwordx2 v[11:12], v[16:17], off
	s_or_b64 exec, exec, s[42:43]
	v_cmp_lt_u32_e64 s[42:43], v61, v74
	s_and_saveexec_b64 s[56:57], s[42:43]
	s_cbranch_execz .LBB1669_93
.LBB1669_111:                           ;   in Loop: Header=BB1669_56 Depth=2
	global_load_dwordx2 v[9:10], v[16:17], off offset:512
	s_or_b64 exec, exec, s[56:57]
	v_cmp_lt_u32_e64 s[42:43], v62, v74
	s_and_saveexec_b64 s[56:57], s[42:43]
	s_cbranch_execz .LBB1669_94
.LBB1669_112:                           ;   in Loop: Header=BB1669_56 Depth=2
	global_load_dwordx2 v[7:8], v[16:17], off offset:1024
	s_or_b64 exec, exec, s[56:57]
	v_cmp_lt_u32_e64 s[42:43], v63, v74
	s_and_saveexec_b64 s[56:57], s[42:43]
	s_cbranch_execz .LBB1669_95
.LBB1669_113:                           ;   in Loop: Header=BB1669_56 Depth=2
	global_load_dwordx2 v[5:6], v[16:17], off offset:1536
	s_or_b64 exec, exec, s[56:57]
	s_and_saveexec_b64 s[42:43], s[40:41]
	s_cbranch_execz .LBB1669_96
.LBB1669_114:                           ;   in Loop: Header=BB1669_56 Depth=2
	ds_read_u8 v16, v0 offset:1024
	s_waitcnt lgkmcnt(0)
	v_lshrrev_b32_e32 v16, s58, v16
	v_and_b32_e32 v73, s59, v16
	s_or_b64 exec, exec, s[42:43]
	s_and_saveexec_b64 s[42:43], s[38:39]
	s_cbranch_execz .LBB1669_97
.LBB1669_115:                           ;   in Loop: Header=BB1669_56 Depth=2
	ds_read_u8 v16, v0 offset:1280
	s_waitcnt lgkmcnt(0)
	v_lshrrev_b32_e32 v16, s58, v16
	v_and_b32_e32 v72, s59, v16
	s_or_b64 exec, exec, s[42:43]
	s_and_saveexec_b64 s[42:43], s[36:37]
	s_cbranch_execz .LBB1669_98
.LBB1669_116:                           ;   in Loop: Header=BB1669_56 Depth=2
	ds_read_u8 v16, v0 offset:1536
	s_waitcnt lgkmcnt(0)
	v_lshrrev_b32_e32 v16, s58, v16
	v_and_b32_e32 v70, s59, v16
	s_or_b64 exec, exec, s[42:43]
	s_and_saveexec_b64 s[42:43], vcc
	s_cbranch_execnz .LBB1669_99
	s_branch .LBB1669_100
.LBB1669_117:                           ;   in Loop: Header=BB1669_56 Depth=2
	v_lshlrev_b32_e32 v3, 2, v73
	ds_read_b32 v3, v3
	v_add_u32_e32 v13, v0, v51
	ds_read_b64 v[13:14], v13 offset:1024
	v_mov_b32_e32 v17, s53
	s_waitcnt lgkmcnt(1)
	v_add_u32_e32 v3, v3, v0
	v_lshlrev_b64 v[15:16], 3, v[3:4]
	v_add_co_u32_e64 v15, s[40:41], s52, v15
	v_addc_co_u32_e64 v16, s[40:41], v17, v16, s[40:41]
	s_waitcnt lgkmcnt(0)
	global_store_dwordx2 v[15:16], v[13:14], off
	s_or_b64 exec, exec, s[42:43]
	s_and_saveexec_b64 s[40:41], s[38:39]
	s_cbranch_execz .LBB1669_102
.LBB1669_118:                           ;   in Loop: Header=BB1669_56 Depth=2
	v_lshlrev_b32_e32 v3, 2, v72
	ds_read_b32 v3, v3
	v_add_u32_e32 v13, v0, v51
	ds_read_b64 v[13:14], v13 offset:3072
	v_mov_b32_e32 v17, s53
	s_waitcnt lgkmcnt(1)
	v_add_u32_e32 v3, v3, v19
	v_lshlrev_b64 v[15:16], 3, v[3:4]
	v_add_co_u32_e64 v15, s[38:39], s52, v15
	v_addc_co_u32_e64 v16, s[38:39], v17, v16, s[38:39]
	s_waitcnt lgkmcnt(0)
	global_store_dwordx2 v[15:16], v[13:14], off
	s_or_b64 exec, exec, s[40:41]
	s_and_saveexec_b64 s[38:39], s[36:37]
	s_cbranch_execz .LBB1669_103
.LBB1669_119:                           ;   in Loop: Header=BB1669_56 Depth=2
	v_lshlrev_b32_e32 v3, 2, v70
	ds_read_b32 v3, v3
	v_add_u32_e32 v13, v0, v51
	ds_read_b64 v[13:14], v13 offset:5120
	v_mov_b32_e32 v17, s53
	s_waitcnt lgkmcnt(1)
	v_add_u32_e32 v3, v3, v20
	v_lshlrev_b64 v[15:16], 3, v[3:4]
	v_add_co_u32_e64 v15, s[36:37], s52, v15
	v_addc_co_u32_e64 v16, s[36:37], v17, v16, s[36:37]
	s_waitcnt lgkmcnt(0)
	global_store_dwordx2 v[15:16], v[13:14], off
	s_or_b64 exec, exec, s[38:39]
	s_and_saveexec_b64 s[36:37], vcc
	s_cbranch_execnz .LBB1669_104
	s_branch .LBB1669_105
.LBB1669_120:                           ;   in Loop: Header=BB1669_20 Depth=1
	s_waitcnt lgkmcnt(0)
	s_barrier
	s_mov_b64 s[16:17], 0
.LBB1669_121:                           ;   in Loop: Header=BB1669_20 Depth=1
	s_and_b64 vcc, exec, s[16:17]
	s_cbranch_vccz .LBB1669_221
; %bb.122:                              ;   in Loop: Header=BB1669_20 Depth=1
	v_mov_b32_e32 v3, 0
	s_mov_b32 s18, s75
	s_mov_b32 s20, s49
	v_mov_b32_e32 v7, 0
	v_mov_b32_e32 v6, 0
	;; [unrolled: 1-line block ×3, first 2 shown]
	s_barrier
	s_branch .LBB1669_124
.LBB1669_123:                           ;   in Loop: Header=BB1669_124 Depth=2
	s_or_b64 exec, exec, s[16:17]
	s_addk_i32 s18, 0xfc00
	s_cmp_ge_u32 s19, s63
	s_mov_b32 s20, s19
	s_cbranch_scc1 .LBB1669_144
.LBB1669_124:                           ;   Parent Loop BB1669_20 Depth=1
                                        ; =>  This Inner Loop Header: Depth=2
	s_add_i32 s19, s20, 0x400
	s_cmp_gt_u32 s19, s63
	s_mov_b64 s[16:17], -1
                                        ; implicit-def: $vgpr8
                                        ; implicit-def: $vgpr9
                                        ; implicit-def: $vgpr10
                                        ; implicit-def: $vgpr11
	s_cbranch_scc1 .LBB1669_126
; %bb.125:                              ;   in Loop: Header=BB1669_124 Depth=2
	v_add_co_u32_e32 v12, vcc, s20, v32
	v_addc_co_u32_e32 v13, vcc, 0, v33, vcc
	global_load_ubyte v11, v[12:13], off offset:768
	global_load_ubyte v10, v[12:13], off offset:512
	;; [unrolled: 1-line block ×3, first 2 shown]
	global_load_ubyte v8, v[12:13], off
	s_mov_b64 s[16:17], 0
.LBB1669_126:                           ;   in Loop: Header=BB1669_124 Depth=2
	s_andn2_b64 vcc, exec, s[16:17]
	s_movk_i32 s21, 0x400
	s_cbranch_vccnz .LBB1669_133
; %bb.127:                              ;   in Loop: Header=BB1669_124 Depth=2
	s_add_u32 s20, s66, s20
	s_addc_u32 s21, s67, 0
	v_cmp_gt_u32_e32 vcc, s18, v0
	s_and_saveexec_b64 s[16:17], vcc
	s_cbranch_execnz .LBB1669_141
; %bb.128:                              ;   in Loop: Header=BB1669_124 Depth=2
	s_or_b64 exec, exec, s[16:17]
	v_cmp_gt_u32_e32 vcc, s18, v19
	s_and_saveexec_b64 s[16:17], vcc
	s_cbranch_execnz .LBB1669_142
.LBB1669_129:                           ;   in Loop: Header=BB1669_124 Depth=2
	s_or_b64 exec, exec, s[16:17]
	v_cmp_gt_u32_e32 vcc, s18, v20
	s_and_saveexec_b64 s[16:17], vcc
	s_cbranch_execnz .LBB1669_143
.LBB1669_130:                           ;   in Loop: Header=BB1669_124 Depth=2
	s_or_b64 exec, exec, s[16:17]
	v_cmp_gt_u32_e32 vcc, s18, v21
	s_and_saveexec_b64 s[16:17], vcc
	s_cbranch_execz .LBB1669_132
.LBB1669_131:                           ;   in Loop: Header=BB1669_124 Depth=2
	v_mov_b32_e32 v5, s21
	s_waitcnt vmcnt(0)
	v_add_co_u32_e32 v8, vcc, s20, v0
	v_addc_co_u32_e32 v9, vcc, 0, v5, vcc
	global_load_ubyte v5, v[8:9], off offset:768
.LBB1669_132:                           ;   in Loop: Header=BB1669_124 Depth=2
	s_or_b64 exec, exec, s[16:17]
	s_mov_b32 s21, s18
	s_waitcnt vmcnt(0)
	v_mov_b32_e32 v8, v3
	v_mov_b32_e32 v9, v7
	;; [unrolled: 1-line block ×4, first 2 shown]
.LBB1669_133:                           ;   in Loop: Header=BB1669_124 Depth=2
	s_waitcnt vmcnt(3)
	v_mov_b32_e32 v5, v11
	s_waitcnt vmcnt(2)
	v_mov_b32_e32 v6, v10
	;; [unrolled: 2-line block ×4, first 2 shown]
	v_cmp_gt_u32_e32 vcc, s21, v0
	s_and_saveexec_b64 s[16:17], vcc
	s_cbranch_execnz .LBB1669_137
; %bb.134:                              ;   in Loop: Header=BB1669_124 Depth=2
	s_or_b64 exec, exec, s[16:17]
	v_cmp_gt_u32_e32 vcc, s21, v19
	s_and_saveexec_b64 s[16:17], vcc
	s_cbranch_execnz .LBB1669_138
.LBB1669_135:                           ;   in Loop: Header=BB1669_124 Depth=2
	s_or_b64 exec, exec, s[16:17]
	v_cmp_gt_u32_e32 vcc, s21, v20
	s_and_saveexec_b64 s[16:17], vcc
	s_cbranch_execnz .LBB1669_139
.LBB1669_136:                           ;   in Loop: Header=BB1669_124 Depth=2
	s_or_b64 exec, exec, s[16:17]
	v_cmp_gt_u32_e32 vcc, s21, v21
	s_and_saveexec_b64 s[16:17], vcc
	s_cbranch_execz .LBB1669_123
	s_branch .LBB1669_140
.LBB1669_137:                           ;   in Loop: Header=BB1669_124 Depth=2
	v_and_b32_e32 v8, 1, v3
	v_lshrrev_b32_e32 v8, s58, v8
	v_and_b32_e32 v8, s59, v8
	v_lshl_or_b32 v8, v8, 4, v24
	ds_add_u32 v8, v52
	s_or_b64 exec, exec, s[16:17]
	v_cmp_gt_u32_e32 vcc, s21, v19
	s_and_saveexec_b64 s[16:17], vcc
	s_cbranch_execz .LBB1669_135
.LBB1669_138:                           ;   in Loop: Header=BB1669_124 Depth=2
	v_and_b32_e32 v8, 1, v7
	v_lshrrev_b32_e32 v8, s58, v8
	v_and_b32_e32 v8, s59, v8
	v_lshl_or_b32 v8, v8, 4, v24
	ds_add_u32 v8, v52
	s_or_b64 exec, exec, s[16:17]
	v_cmp_gt_u32_e32 vcc, s21, v20
	s_and_saveexec_b64 s[16:17], vcc
	s_cbranch_execz .LBB1669_136
.LBB1669_139:                           ;   in Loop: Header=BB1669_124 Depth=2
	v_and_b32_e32 v8, 1, v6
	v_lshrrev_b32_e32 v8, s58, v8
	v_and_b32_e32 v8, s59, v8
	v_lshl_or_b32 v8, v8, 4, v24
	ds_add_u32 v8, v52
	s_or_b64 exec, exec, s[16:17]
	v_cmp_gt_u32_e32 vcc, s21, v21
	s_and_saveexec_b64 s[16:17], vcc
	s_cbranch_execz .LBB1669_123
.LBB1669_140:                           ;   in Loop: Header=BB1669_124 Depth=2
	v_and_b32_e32 v8, 1, v5
	v_lshrrev_b32_e32 v8, s58, v8
	v_and_b32_e32 v8, s59, v8
	v_lshl_or_b32 v8, v8, 4, v24
	ds_add_u32 v8, v52
	s_branch .LBB1669_123
.LBB1669_141:                           ;   in Loop: Header=BB1669_124 Depth=2
	v_mov_b32_e32 v3, s21
	s_waitcnt vmcnt(0)
	v_add_co_u32_e32 v8, vcc, s20, v0
	v_addc_co_u32_e32 v9, vcc, 0, v3, vcc
	global_load_ubyte v3, v[8:9], off
	s_or_b64 exec, exec, s[16:17]
	v_cmp_gt_u32_e32 vcc, s18, v19
	s_and_saveexec_b64 s[16:17], vcc
	s_cbranch_execz .LBB1669_129
.LBB1669_142:                           ;   in Loop: Header=BB1669_124 Depth=2
	s_waitcnt vmcnt(0)
	v_mov_b32_e32 v8, s21
	v_add_co_u32_e32 v7, vcc, s20, v0
	v_addc_co_u32_e32 v8, vcc, 0, v8, vcc
	global_load_ubyte v7, v[7:8], off offset:256
	s_or_b64 exec, exec, s[16:17]
	v_cmp_gt_u32_e32 vcc, s18, v20
	s_and_saveexec_b64 s[16:17], vcc
	s_cbranch_execz .LBB1669_130
.LBB1669_143:                           ;   in Loop: Header=BB1669_124 Depth=2
	v_mov_b32_e32 v6, s21
	s_waitcnt vmcnt(0)
	v_add_co_u32_e32 v8, vcc, s20, v0
	v_addc_co_u32_e32 v9, vcc, 0, v6, vcc
	global_load_ubyte v6, v[8:9], off offset:512
	s_or_b64 exec, exec, s[16:17]
	v_cmp_gt_u32_e32 vcc, s18, v21
	s_and_saveexec_b64 s[16:17], vcc
	s_cbranch_execnz .LBB1669_131
	s_branch .LBB1669_132
.LBB1669_144:                           ;   in Loop: Header=BB1669_20 Depth=1
	v_mov_b32_e32 v3, 0
	s_waitcnt lgkmcnt(0)
	s_barrier
	s_and_saveexec_b64 s[16:17], s[4:5]
	s_cbranch_execz .LBB1669_146
; %bb.145:                              ;   in Loop: Header=BB1669_20 Depth=1
	ds_read2_b64 v[5:8], v25 offset1:1
	s_waitcnt lgkmcnt(0)
	v_add_u32_e32 v3, v6, v5
	v_add3_u32 v3, v3, v7, v8
.LBB1669_146:                           ;   in Loop: Header=BB1669_20 Depth=1
	s_or_b64 exec, exec, s[16:17]
	s_nop 0
	v_mov_b32_dpp v5, v3 row_shr:1 row_mask:0xf bank_mask:0xf
	v_cmp_eq_u32_e64 s[16:17], 0, v55
	v_cndmask_b32_e64 v5, v5, 0, s[16:17]
	v_add_u32_e32 v3, v5, v3
	v_cmp_lt_u32_e64 s[18:19], 1, v55
	v_cmp_lt_u32_e64 s[20:21], 3, v55
	v_mov_b32_dpp v5, v3 row_shr:2 row_mask:0xf bank_mask:0xf
	v_cndmask_b32_e64 v5, 0, v5, s[18:19]
	v_add_u32_e32 v3, v3, v5
	v_cmp_lt_u32_e64 s[22:23], 7, v55
	v_cmp_lt_u32_e64 s[26:27], 31, v44
	v_mov_b32_dpp v5, v3 row_shr:4 row_mask:0xf bank_mask:0xf
	v_cndmask_b32_e64 v5, 0, v5, s[20:21]
	v_add_u32_e32 v3, v3, v5
	v_cmp_eq_u32_e64 s[24:25], 0, v57
	s_nop 0
	v_mov_b32_dpp v5, v3 row_shr:8 row_mask:0xf bank_mask:0xf
	v_cndmask_b32_e64 v5, 0, v5, s[22:23]
	v_add_u32_e32 v3, v3, v5
	s_nop 1
	v_mov_b32_dpp v5, v3 row_bcast:15 row_mask:0xf bank_mask:0xf
	v_and_b32_e32 v5, v56, v5
	v_add_u32_e32 v3, v3, v5
	s_nop 1
	v_mov_b32_dpp v5, v3 row_bcast:31 row_mask:0xf bank_mask:0xf
	v_cndmask_b32_e64 v5, 0, v5, s[26:27]
	v_add_u32_e32 v3, v3, v5
	s_and_saveexec_b64 s[28:29], s[6:7]
; %bb.147:                              ;   in Loop: Header=BB1669_20 Depth=1
	ds_write_b32 v48, v3
; %bb.148:                              ;   in Loop: Header=BB1669_20 Depth=1
	s_or_b64 exec, exec, s[28:29]
	s_waitcnt lgkmcnt(0)
	s_barrier
	s_and_saveexec_b64 s[28:29], s[8:9]
	s_cbranch_execz .LBB1669_150
; %bb.149:                              ;   in Loop: Header=BB1669_20 Depth=1
	ds_read_b32 v5, v49
	v_cmp_ne_u32_e32 vcc, 0, v58
	s_waitcnt lgkmcnt(0)
	v_mov_b32_dpp v6, v5 row_shr:1 row_mask:0xf bank_mask:0xf
	v_cndmask_b32_e32 v6, 0, v6, vcc
	v_add_u32_e32 v5, v6, v5
	v_cmp_lt_u32_e32 vcc, 1, v58
	s_nop 0
	v_mov_b32_dpp v6, v5 row_shr:2 row_mask:0xf bank_mask:0xf
	v_cndmask_b32_e32 v6, 0, v6, vcc
	v_add_u32_e32 v5, v5, v6
	ds_write_b32 v49, v5
.LBB1669_150:                           ;   in Loop: Header=BB1669_20 Depth=1
	s_or_b64 exec, exec, s[28:29]
	v_mov_b32_e32 v5, 0
	s_waitcnt lgkmcnt(0)
	s_barrier
	s_and_saveexec_b64 s[28:29], s[10:11]
; %bb.151:                              ;   in Loop: Header=BB1669_20 Depth=1
	ds_read_b32 v5, v50
; %bb.152:                              ;   in Loop: Header=BB1669_20 Depth=1
	s_or_b64 exec, exec, s[28:29]
	v_subrev_co_u32_e64 v6, s[28:29], 1, v44
	v_cmp_lt_i32_e32 vcc, v6, v59
	v_cndmask_b32_e32 v6, v6, v44, vcc
	s_waitcnt lgkmcnt(0)
	v_add_u32_e32 v3, v5, v3
	v_lshlrev_b32_e32 v64, 2, v6
	ds_bpermute_b32 v3, v64, v3
	s_waitcnt lgkmcnt(0)
	s_barrier
	s_and_saveexec_b64 s[30:31], s[4:5]
; %bb.153:                              ;   in Loop: Header=BB1669_20 Depth=1
	v_cndmask_b32_e64 v3, v3, v5, s[28:29]
	v_add_u32_e32 v3, s49, v3
	ds_write_b32 v18, v3
; %bb.154:                              ;   in Loop: Header=BB1669_20 Depth=1
	s_or_b64 exec, exec, s[30:31]
	s_load_dwordx2 s[30:31], s[44:45], 0x0
	v_add_co_u32_e32 v65, vcc, v34, v60
	v_addc_co_u32_e32 v66, vcc, 0, v35, vcc
	s_waitcnt lgkmcnt(0)
	s_cmp_lt_u32 s33, s31
	s_cselect_b32 s31, 14, 20
	s_add_u32 s34, s44, s31
	s_addc_u32 s35, s45, 0
	s_cmp_lt_u32 s48, s30
	s_cselect_b32 s30, 12, 18
	s_add_u32 s30, s44, s30
	global_load_ushort v3, v4, s[34:35]
	s_addc_u32 s31, s45, 0
	global_load_ushort v5, v4, s[30:31]
	v_add_co_u32_e32 v67, vcc, v36, v45
	v_cmp_eq_u32_e64 s[30:31], 0, v58
	v_cmp_lt_u32_e64 s[34:35], 1, v58
	v_addc_co_u32_e32 v68, vcc, 0, v37, vcc
	s_mov_b32 s60, s75
	s_mov_b32 s46, s49
                                        ; implicit-def: $vgpr7_vgpr8
                                        ; implicit-def: $vgpr9_vgpr10
                                        ; implicit-def: $vgpr11_vgpr12
                                        ; implicit-def: $vgpr69
                                        ; implicit-def: $vgpr70
                                        ; implicit-def: $vgpr72
                                        ; implicit-def: $vgpr73
	s_waitcnt vmcnt(1)
	v_mad_u32_u24 v3, v2, v3, v1
	s_waitcnt vmcnt(0)
	v_mad_u64_u32 v[13:14], s[36:37], v3, v5, v[0:1]
                                        ; implicit-def: $vgpr5_vgpr6
	v_lshrrev_b32_e32 v3, 4, v13
	v_and_b32_e32 v71, 0xffffffc, v3
	s_branch .LBB1669_156
.LBB1669_155:                           ;   in Loop: Header=BB1669_156 Depth=2
	s_or_b64 exec, exec, s[36:37]
	s_addk_i32 s60, 0xfc00
	s_cmp_lt_u32 s61, s63
	s_mov_b32 s46, s61
	s_cbranch_scc0 .LBB1669_220
.LBB1669_156:                           ;   Parent Loop BB1669_20 Depth=1
                                        ; =>  This Inner Loop Header: Depth=2
	s_add_i32 s61, s46, 0x400
	s_cmp_gt_u32 s61, s63
	s_cbranch_scc1 .LBB1669_158
; %bb.157:                              ;   in Loop: Header=BB1669_156 Depth=2
	v_add_co_u32_e32 v13, vcc, s46, v67
	v_addc_co_u32_e32 v14, vcc, 0, v68, vcc
	global_load_ubyte v17, v[13:14], off
	global_load_ubyte v75, v[13:14], off offset:64
	global_load_ubyte v76, v[13:14], off offset:128
	s_mov_b64 s[36:37], -1
	s_movk_i32 s40, 0x400
	s_cbranch_execz .LBB1669_159
	s_branch .LBB1669_166
.LBB1669_158:                           ;   in Loop: Header=BB1669_156 Depth=2
	s_mov_b64 s[36:37], 0
                                        ; implicit-def: $vgpr17
                                        ; implicit-def: $vgpr75
                                        ; implicit-def: $vgpr76
	s_movk_i32 s40, 0x400
.LBB1669_159:                           ;   in Loop: Header=BB1669_156 Depth=2
	v_add_co_u32_e32 v13, vcc, s46, v67
	v_addc_co_u32_e32 v14, vcc, 0, v68, vcc
	v_cmp_gt_u32_e32 vcc, s60, v46
	s_waitcnt vmcnt(1)
	v_mov_b32_e32 v75, 1
	v_mov_b32_e32 v17, 1
	s_and_saveexec_b64 s[36:37], vcc
	s_cbranch_execz .LBB1669_161
; %bb.160:                              ;   in Loop: Header=BB1669_156 Depth=2
	global_load_ubyte v17, v[13:14], off
.LBB1669_161:                           ;   in Loop: Header=BB1669_156 Depth=2
	s_or_b64 exec, exec, s[36:37]
	v_cmp_gt_u32_e32 vcc, s60, v61
	s_and_saveexec_b64 s[36:37], vcc
	s_cbranch_execz .LBB1669_163
; %bb.162:                              ;   in Loop: Header=BB1669_156 Depth=2
	global_load_ubyte v75, v[13:14], off offset:64
.LBB1669_163:                           ;   in Loop: Header=BB1669_156 Depth=2
	s_or_b64 exec, exec, s[36:37]
	v_cmp_gt_u32_e32 vcc, s60, v62
	s_waitcnt vmcnt(0)
	v_mov_b32_e32 v76, 1
	s_and_saveexec_b64 s[36:37], vcc
	s_cbranch_execz .LBB1669_165
; %bb.164:                              ;   in Loop: Header=BB1669_156 Depth=2
	global_load_ubyte v76, v[13:14], off offset:128
.LBB1669_165:                           ;   in Loop: Header=BB1669_156 Depth=2
	s_or_b64 exec, exec, s[36:37]
	s_sub_i32 s40, s63, s46
	v_cmp_gt_u32_e64 s[36:37], s60, v63
.LBB1669_166:                           ;   in Loop: Header=BB1669_156 Depth=2
	v_mov_b32_e32 v78, 1
	v_mov_b32_e32 v74, s60
	s_and_saveexec_b64 s[38:39], s[36:37]
	s_cbranch_execz .LBB1669_168
; %bb.167:                              ;   in Loop: Header=BB1669_156 Depth=2
	v_mov_b32_e32 v3, s47
	v_add_co_u32_e32 v13, vcc, s46, v67
	v_addc_co_u32_e32 v14, vcc, v68, v3, vcc
	global_load_ubyte v78, v[13:14], off offset:192
	v_mov_b32_e32 v74, s40
.LBB1669_168:                           ;   in Loop: Header=BB1669_156 Depth=2
	s_or_b64 exec, exec, s[38:39]
	s_waitcnt vmcnt(2)
	v_lshrrev_b32_sdwa v3, s58, v17 dst_sel:DWORD dst_unused:UNUSED_PAD src0_sel:DWORD src1_sel:BYTE_0
	v_and_b32_e32 v3, s59, v3
	v_mul_u32_u24_e32 v15, 20, v3
	v_cmp_ne_u32_e32 vcc, 0, v3
	v_add_co_u32_e64 v3, s[36:37], -1, v3
	v_addc_co_u32_e64 v13, s[36:37], 0, -1, s[36:37]
	v_xor_b32_e32 v13, vcc_hi, v13
	v_xor_b32_e32 v3, vcc_lo, v3
	v_and_b32_e32 v14, exec_hi, v13
	v_and_b32_e32 v13, exec_lo, v3
	v_mbcnt_lo_u32_b32 v3, v13, 0
	v_mbcnt_hi_u32_b32 v3, v14, v3
	v_cmp_ne_u64_e32 vcc, 0, v[13:14]
	v_cmp_eq_u32_e64 s[36:37], 0, v3
	s_and_b64 s[38:39], vcc, s[36:37]
	v_add_u32_e32 v77, v71, v15
	ds_write2_b32 v53, v4, v4 offset1:1
	ds_write2_b32 v54, v4, v4 offset1:1
	ds_write_b32 v27, v4 offset:1056
	s_waitcnt vmcnt(0) lgkmcnt(0)
	s_barrier
	; wave barrier
	s_and_saveexec_b64 s[36:37], s[38:39]
; %bb.169:                              ;   in Loop: Header=BB1669_156 Depth=2
	v_bcnt_u32_b32 v13, v13, 0
	v_bcnt_u32_b32 v13, v14, v13
	ds_write_b32 v77, v13 offset:1040
; %bb.170:                              ;   in Loop: Header=BB1669_156 Depth=2
	s_or_b64 exec, exec, s[36:37]
	v_lshrrev_b32_sdwa v13, s58, v75 dst_sel:DWORD dst_unused:UNUSED_PAD src0_sel:DWORD src1_sel:BYTE_0
	v_and_b32_e32 v13, s59, v13
	v_mul_u32_u24_e32 v15, 20, v13
	v_mad_u32_u24 v14, v13, 20, v71
	v_cmp_ne_u32_e32 vcc, 0, v13
	v_add_co_u32_e64 v13, s[36:37], -1, v13
	; wave barrier
	ds_read_b32 v79, v14 offset:1040
	v_addc_co_u32_e64 v14, s[36:37], 0, -1, s[36:37]
	v_xor_b32_e32 v13, vcc_lo, v13
	v_xor_b32_e32 v14, vcc_hi, v14
	v_and_b32_e32 v13, exec_lo, v13
	v_and_b32_e32 v14, exec_hi, v14
	v_mbcnt_lo_u32_b32 v16, v13, 0
	v_mbcnt_hi_u32_b32 v80, v14, v16
	v_cmp_ne_u64_e32 vcc, 0, v[13:14]
	v_cmp_eq_u32_e64 s[36:37], 0, v80
	s_and_b64 s[38:39], vcc, s[36:37]
	v_add_u32_e32 v82, v71, v15
	; wave barrier
	s_and_saveexec_b64 s[36:37], s[38:39]
	s_cbranch_execz .LBB1669_172
; %bb.171:                              ;   in Loop: Header=BB1669_156 Depth=2
	v_bcnt_u32_b32 v13, v13, 0
	v_bcnt_u32_b32 v13, v14, v13
	s_waitcnt lgkmcnt(0)
	v_add_u32_e32 v13, v79, v13
	ds_write_b32 v82, v13 offset:1040
.LBB1669_172:                           ;   in Loop: Header=BB1669_156 Depth=2
	s_or_b64 exec, exec, s[36:37]
	v_lshrrev_b32_sdwa v13, s58, v76 dst_sel:DWORD dst_unused:UNUSED_PAD src0_sel:DWORD src1_sel:BYTE_0
	v_and_b32_e32 v13, s59, v13
	v_mul_u32_u24_e32 v15, 20, v13
	v_mad_u32_u24 v14, v13, 20, v71
	v_cmp_ne_u32_e32 vcc, 0, v13
	v_add_co_u32_e64 v13, s[36:37], -1, v13
	; wave barrier
	ds_read_b32 v81, v14 offset:1040
	v_addc_co_u32_e64 v14, s[36:37], 0, -1, s[36:37]
	v_xor_b32_e32 v13, vcc_lo, v13
	v_xor_b32_e32 v14, vcc_hi, v14
	v_and_b32_e32 v13, exec_lo, v13
	v_and_b32_e32 v14, exec_hi, v14
	v_mbcnt_lo_u32_b32 v16, v13, 0
	v_mbcnt_hi_u32_b32 v83, v14, v16
	v_cmp_ne_u64_e32 vcc, 0, v[13:14]
	v_cmp_eq_u32_e64 s[36:37], 0, v83
	s_and_b64 s[38:39], vcc, s[36:37]
	v_add_u32_e32 v85, v71, v15
	; wave barrier
	s_and_saveexec_b64 s[36:37], s[38:39]
	s_cbranch_execz .LBB1669_174
; %bb.173:                              ;   in Loop: Header=BB1669_156 Depth=2
	v_bcnt_u32_b32 v13, v13, 0
	v_bcnt_u32_b32 v13, v14, v13
	s_waitcnt lgkmcnt(0)
	v_add_u32_e32 v13, v81, v13
	ds_write_b32 v85, v13 offset:1040
.LBB1669_174:                           ;   in Loop: Header=BB1669_156 Depth=2
	s_or_b64 exec, exec, s[36:37]
	v_lshrrev_b32_sdwa v13, s58, v78 dst_sel:DWORD dst_unused:UNUSED_PAD src0_sel:DWORD src1_sel:BYTE_0
	v_and_b32_e32 v13, s59, v13
	v_mul_u32_u24_e32 v15, 20, v13
	v_mad_u32_u24 v14, v13, 20, v71
	v_cmp_ne_u32_e32 vcc, 0, v13
	v_add_co_u32_e64 v13, s[36:37], -1, v13
	; wave barrier
	ds_read_b32 v84, v14 offset:1040
	v_addc_co_u32_e64 v14, s[36:37], 0, -1, s[36:37]
	v_xor_b32_e32 v13, vcc_lo, v13
	v_xor_b32_e32 v14, vcc_hi, v14
	v_and_b32_e32 v13, exec_lo, v13
	v_and_b32_e32 v14, exec_hi, v14
	v_mbcnt_lo_u32_b32 v16, v13, 0
	v_mbcnt_hi_u32_b32 v86, v14, v16
	v_cmp_ne_u64_e32 vcc, 0, v[13:14]
	v_cmp_eq_u32_e64 s[36:37], 0, v86
	s_and_b64 s[38:39], vcc, s[36:37]
	v_add_u32_e32 v87, v71, v15
	; wave barrier
	s_and_saveexec_b64 s[36:37], s[38:39]
	s_cbranch_execz .LBB1669_176
; %bb.175:                              ;   in Loop: Header=BB1669_156 Depth=2
	v_bcnt_u32_b32 v13, v13, 0
	v_bcnt_u32_b32 v13, v14, v13
	s_waitcnt lgkmcnt(0)
	v_add_u32_e32 v13, v84, v13
	ds_write_b32 v87, v13 offset:1040
.LBB1669_176:                           ;   in Loop: Header=BB1669_156 Depth=2
	s_or_b64 exec, exec, s[36:37]
	; wave barrier
	s_waitcnt lgkmcnt(0)
	s_barrier
	ds_read2_b32 v[15:16], v53 offset1:1
	ds_read2_b32 v[13:14], v54 offset1:1
	ds_read_b32 v88, v27 offset:1056
	s_waitcnt lgkmcnt(1)
	v_add3_u32 v89, v16, v15, v13
	s_waitcnt lgkmcnt(0)
	v_add3_u32 v88, v89, v14, v88
	s_nop 1
	v_mov_b32_dpp v89, v88 row_shr:1 row_mask:0xf bank_mask:0xf
	v_cndmask_b32_e64 v89, v89, 0, s[16:17]
	v_add_u32_e32 v88, v89, v88
	s_nop 1
	v_mov_b32_dpp v89, v88 row_shr:2 row_mask:0xf bank_mask:0xf
	v_cndmask_b32_e64 v89, 0, v89, s[18:19]
	v_add_u32_e32 v88, v88, v89
	;; [unrolled: 4-line block ×4, first 2 shown]
	s_nop 1
	v_mov_b32_dpp v89, v88 row_bcast:15 row_mask:0xf bank_mask:0xf
	v_cndmask_b32_e64 v89, v89, 0, s[24:25]
	v_add_u32_e32 v88, v88, v89
	s_nop 1
	v_mov_b32_dpp v89, v88 row_bcast:31 row_mask:0xf bank_mask:0xf
	v_cndmask_b32_e64 v89, 0, v89, s[26:27]
	v_add_u32_e32 v88, v88, v89
	s_and_saveexec_b64 s[36:37], s[6:7]
; %bb.177:                              ;   in Loop: Header=BB1669_156 Depth=2
	ds_write_b32 v26, v88 offset:1024
; %bb.178:                              ;   in Loop: Header=BB1669_156 Depth=2
	s_or_b64 exec, exec, s[36:37]
	s_waitcnt lgkmcnt(0)
	s_barrier
	s_and_saveexec_b64 s[36:37], s[8:9]
	s_cbranch_execz .LBB1669_180
; %bb.179:                              ;   in Loop: Header=BB1669_156 Depth=2
	ds_read_b32 v89, v47 offset:1024
	s_waitcnt lgkmcnt(0)
	s_nop 0
	v_mov_b32_dpp v90, v89 row_shr:1 row_mask:0xf bank_mask:0xf
	v_cndmask_b32_e64 v90, v90, 0, s[30:31]
	v_add_u32_e32 v89, v90, v89
	s_nop 1
	v_mov_b32_dpp v90, v89 row_shr:2 row_mask:0xf bank_mask:0xf
	v_cndmask_b32_e64 v90, 0, v90, s[34:35]
	v_add_u32_e32 v89, v89, v90
	ds_write_b32 v47, v89 offset:1024
.LBB1669_180:                           ;   in Loop: Header=BB1669_156 Depth=2
	s_or_b64 exec, exec, s[36:37]
	v_mov_b32_e32 v89, 0
	s_waitcnt lgkmcnt(0)
	s_barrier
	s_and_saveexec_b64 s[36:37], s[10:11]
; %bb.181:                              ;   in Loop: Header=BB1669_156 Depth=2
	ds_read_b32 v89, v26 offset:1020
; %bb.182:                              ;   in Loop: Header=BB1669_156 Depth=2
	s_or_b64 exec, exec, s[36:37]
	s_waitcnt lgkmcnt(0)
	v_add_u32_e32 v88, v89, v88
	ds_bpermute_b32 v88, v64, v88
	s_waitcnt lgkmcnt(0)
	v_cndmask_b32_e64 v88, v88, v89, s[28:29]
	v_cndmask_b32_e64 v88, v88, 0, s[12:13]
	v_add_u32_e32 v15, v88, v15
	v_add_u32_e32 v16, v15, v16
	;; [unrolled: 1-line block ×4, first 2 shown]
	ds_write2_b32 v53, v88, v15 offset1:1
	ds_write2_b32 v54, v16, v13 offset1:1
	ds_write_b32 v27, v14 offset:1056
	s_waitcnt lgkmcnt(0)
	s_barrier
	ds_read_b32 v13, v77 offset:1040
	ds_read_b32 v14, v82 offset:1040
	;; [unrolled: 1-line block ×5, first 2 shown]
	v_mov_b32_e32 v77, 0x400
	s_and_saveexec_b64 s[36:37], s[14:15]
; %bb.183:                              ;   in Loop: Header=BB1669_156 Depth=2
	ds_read_b32 v77, v27 offset:1060
; %bb.184:                              ;   in Loop: Header=BB1669_156 Depth=2
	s_or_b64 exec, exec, s[36:37]
	s_waitcnt lgkmcnt(0)
	s_barrier
	s_and_saveexec_b64 s[36:37], s[4:5]
	s_cbranch_execz .LBB1669_186
; %bb.185:                              ;   in Loop: Header=BB1669_156 Depth=2
	ds_read_b32 v85, v18
	s_waitcnt lgkmcnt(0)
	v_sub_u32_e32 v15, v85, v15
	ds_write_b32 v18, v15
.LBB1669_186:                           ;   in Loop: Header=BB1669_156 Depth=2
	s_or_b64 exec, exec, s[36:37]
	v_add_u32_e32 v15, v13, v3
	v_add3_u32 v14, v80, v79, v14
	v_add3_u32 v13, v83, v81, v16
	;; [unrolled: 1-line block ×3, first 2 shown]
	v_cmp_lt_u32_e64 s[40:41], v0, v74
	ds_write_b8 v15, v17 offset:1024
	ds_write_b8 v14, v75 offset:1024
	;; [unrolled: 1-line block ×4, first 2 shown]
	s_waitcnt lgkmcnt(0)
	s_barrier
	s_and_saveexec_b64 s[36:37], s[40:41]
	s_cbranch_execnz .LBB1669_207
; %bb.187:                              ;   in Loop: Header=BB1669_156 Depth=2
	s_or_b64 exec, exec, s[36:37]
	v_cmp_lt_u32_e64 s[38:39], v19, v74
	s_and_saveexec_b64 s[36:37], s[38:39]
	s_cbranch_execnz .LBB1669_208
.LBB1669_188:                           ;   in Loop: Header=BB1669_156 Depth=2
	s_or_b64 exec, exec, s[36:37]
	v_cmp_lt_u32_e64 s[36:37], v20, v74
	s_and_saveexec_b64 s[42:43], s[36:37]
	s_cbranch_execnz .LBB1669_209
.LBB1669_189:                           ;   in Loop: Header=BB1669_156 Depth=2
	s_or_b64 exec, exec, s[42:43]
	v_cmp_lt_u32_e32 vcc, v21, v74
	s_and_saveexec_b64 s[42:43], vcc
	s_cbranch_execz .LBB1669_191
.LBB1669_190:                           ;   in Loop: Header=BB1669_156 Depth=2
	ds_read_u8 v16, v0 offset:1792
	s_waitcnt lgkmcnt(0)
	v_and_b32_e32 v17, 1, v16
	v_lshrrev_b32_e32 v17, s58, v17
	v_and_b32_e32 v17, s59, v17
	v_lshlrev_b32_e32 v17, 2, v17
	ds_read_b32 v17, v17
	s_waitcnt lgkmcnt(0)
	v_add_u32_e32 v17, v17, v21
	global_store_byte v17, v16, s[68:69]
.LBB1669_191:                           ;   in Loop: Header=BB1669_156 Depth=2
	s_or_b64 exec, exec, s[42:43]
	s_lshl_b64 s[42:43], s[46:47], 3
	v_mov_b32_e32 v17, s43
	v_add_co_u32_e64 v16, s[42:43], s42, v65
	v_addc_co_u32_e64 v17, s[42:43], v66, v17, s[42:43]
	v_cmp_lt_u32_e64 s[42:43], v46, v74
	s_and_saveexec_b64 s[56:57], s[42:43]
	s_xor_b64 s[42:43], exec, s[56:57]
	s_cbranch_execnz .LBB1669_210
; %bb.192:                              ;   in Loop: Header=BB1669_156 Depth=2
	s_or_b64 exec, exec, s[42:43]
	v_cmp_lt_u32_e64 s[42:43], v61, v74
	s_and_saveexec_b64 s[56:57], s[42:43]
	s_cbranch_execnz .LBB1669_211
.LBB1669_193:                           ;   in Loop: Header=BB1669_156 Depth=2
	s_or_b64 exec, exec, s[56:57]
	v_cmp_lt_u32_e64 s[42:43], v62, v74
	s_and_saveexec_b64 s[56:57], s[42:43]
	s_cbranch_execnz .LBB1669_212
.LBB1669_194:                           ;   in Loop: Header=BB1669_156 Depth=2
	s_or_b64 exec, exec, s[56:57]
	v_cmp_lt_u32_e64 s[42:43], v63, v74
	s_and_saveexec_b64 s[56:57], s[42:43]
	s_cbranch_execnz .LBB1669_213
.LBB1669_195:                           ;   in Loop: Header=BB1669_156 Depth=2
	s_or_b64 exec, exec, s[56:57]
	s_and_saveexec_b64 s[42:43], s[40:41]
	s_cbranch_execnz .LBB1669_214
.LBB1669_196:                           ;   in Loop: Header=BB1669_156 Depth=2
	s_or_b64 exec, exec, s[42:43]
	s_and_saveexec_b64 s[42:43], s[38:39]
	s_cbranch_execnz .LBB1669_215
.LBB1669_197:                           ;   in Loop: Header=BB1669_156 Depth=2
	s_or_b64 exec, exec, s[42:43]
	s_and_saveexec_b64 s[42:43], s[36:37]
	s_cbranch_execnz .LBB1669_216
.LBB1669_198:                           ;   in Loop: Header=BB1669_156 Depth=2
	s_or_b64 exec, exec, s[42:43]
	s_and_saveexec_b64 s[42:43], vcc
	s_cbranch_execz .LBB1669_200
.LBB1669_199:                           ;   in Loop: Header=BB1669_156 Depth=2
	ds_read_u8 v16, v0 offset:1792
	s_waitcnt lgkmcnt(0)
	v_lshrrev_b32_e32 v16, s58, v16
	v_and_b32_e32 v69, s59, v16
.LBB1669_200:                           ;   in Loop: Header=BB1669_156 Depth=2
	s_or_b64 exec, exec, s[42:43]
	v_mad_u64_u32 v[15:16], s[42:43], v15, 7, v[15:16]
	v_mad_u64_u32 v[74:75], s[42:43], v3, 7, v[3:4]
	;; [unrolled: 1-line block ×4, first 2 shown]
	s_waitcnt vmcnt(0)
	s_barrier
	ds_write_b64 v15, v[11:12] offset:1024
	ds_write_b64 v16, v[9:10] offset:1024
	;; [unrolled: 1-line block ×4, first 2 shown]
	s_waitcnt lgkmcnt(0)
	s_barrier
	s_and_saveexec_b64 s[42:43], s[40:41]
	s_cbranch_execnz .LBB1669_217
; %bb.201:                              ;   in Loop: Header=BB1669_156 Depth=2
	s_or_b64 exec, exec, s[42:43]
	s_and_saveexec_b64 s[40:41], s[38:39]
	s_cbranch_execnz .LBB1669_218
.LBB1669_202:                           ;   in Loop: Header=BB1669_156 Depth=2
	s_or_b64 exec, exec, s[40:41]
	s_and_saveexec_b64 s[38:39], s[36:37]
	s_cbranch_execnz .LBB1669_219
.LBB1669_203:                           ;   in Loop: Header=BB1669_156 Depth=2
	s_or_b64 exec, exec, s[38:39]
	s_and_saveexec_b64 s[36:37], vcc
	s_cbranch_execz .LBB1669_205
.LBB1669_204:                           ;   in Loop: Header=BB1669_156 Depth=2
	v_lshlrev_b32_e32 v3, 2, v69
	ds_read_b32 v3, v3
	v_add_u32_e32 v13, v0, v51
	ds_read_b64 v[13:14], v13 offset:7168
	v_mov_b32_e32 v17, s55
	s_waitcnt lgkmcnt(1)
	v_add_u32_e32 v3, v3, v21
	v_lshlrev_b64 v[15:16], 3, v[3:4]
	v_add_co_u32_e32 v15, vcc, s54, v15
	v_addc_co_u32_e32 v16, vcc, v17, v16, vcc
	s_waitcnt lgkmcnt(0)
	global_store_dwordx2 v[15:16], v[13:14], off
.LBB1669_205:                           ;   in Loop: Header=BB1669_156 Depth=2
	s_or_b64 exec, exec, s[36:37]
	s_waitcnt vmcnt(0)
	s_barrier
	s_and_saveexec_b64 s[36:37], s[4:5]
	s_cbranch_execz .LBB1669_155
; %bb.206:                              ;   in Loop: Header=BB1669_156 Depth=2
	ds_read_b32 v3, v18
	s_waitcnt lgkmcnt(0)
	v_add_u32_e32 v3, v3, v77
	ds_write_b32 v18, v3
	s_branch .LBB1669_155
.LBB1669_207:                           ;   in Loop: Header=BB1669_156 Depth=2
	ds_read_u8 v16, v0 offset:1024
	s_waitcnt lgkmcnt(0)
	v_and_b32_e32 v17, 1, v16
	v_lshrrev_b32_e32 v17, s58, v17
	v_and_b32_e32 v17, s59, v17
	v_lshlrev_b32_e32 v17, 2, v17
	ds_read_b32 v17, v17
	s_waitcnt lgkmcnt(0)
	v_add_u32_e32 v17, v17, v0
	global_store_byte v17, v16, s[68:69]
	s_or_b64 exec, exec, s[36:37]
	v_cmp_lt_u32_e64 s[38:39], v19, v74
	s_and_saveexec_b64 s[36:37], s[38:39]
	s_cbranch_execz .LBB1669_188
.LBB1669_208:                           ;   in Loop: Header=BB1669_156 Depth=2
	ds_read_u8 v16, v0 offset:1280
	s_waitcnt lgkmcnt(0)
	v_and_b32_e32 v17, 1, v16
	v_lshrrev_b32_e32 v17, s58, v17
	v_and_b32_e32 v17, s59, v17
	v_lshlrev_b32_e32 v17, 2, v17
	ds_read_b32 v17, v17
	s_waitcnt lgkmcnt(0)
	v_add_u32_e32 v17, v17, v19
	global_store_byte v17, v16, s[68:69]
	s_or_b64 exec, exec, s[36:37]
	v_cmp_lt_u32_e64 s[36:37], v20, v74
	s_and_saveexec_b64 s[42:43], s[36:37]
	s_cbranch_execz .LBB1669_189
.LBB1669_209:                           ;   in Loop: Header=BB1669_156 Depth=2
	ds_read_u8 v16, v0 offset:1536
	s_waitcnt lgkmcnt(0)
	v_and_b32_e32 v17, 1, v16
	v_lshrrev_b32_e32 v17, s58, v17
	v_and_b32_e32 v17, s59, v17
	v_lshlrev_b32_e32 v17, 2, v17
	ds_read_b32 v17, v17
	s_waitcnt lgkmcnt(0)
	v_add_u32_e32 v17, v17, v20
	global_store_byte v17, v16, s[68:69]
	s_or_b64 exec, exec, s[42:43]
	v_cmp_lt_u32_e32 vcc, v21, v74
	s_and_saveexec_b64 s[42:43], vcc
	s_cbranch_execnz .LBB1669_190
	s_branch .LBB1669_191
.LBB1669_210:                           ;   in Loop: Header=BB1669_156 Depth=2
	global_load_dwordx2 v[11:12], v[16:17], off
	s_or_b64 exec, exec, s[42:43]
	v_cmp_lt_u32_e64 s[42:43], v61, v74
	s_and_saveexec_b64 s[56:57], s[42:43]
	s_cbranch_execz .LBB1669_193
.LBB1669_211:                           ;   in Loop: Header=BB1669_156 Depth=2
	global_load_dwordx2 v[9:10], v[16:17], off offset:512
	s_or_b64 exec, exec, s[56:57]
	v_cmp_lt_u32_e64 s[42:43], v62, v74
	s_and_saveexec_b64 s[56:57], s[42:43]
	s_cbranch_execz .LBB1669_194
.LBB1669_212:                           ;   in Loop: Header=BB1669_156 Depth=2
	global_load_dwordx2 v[7:8], v[16:17], off offset:1024
	s_or_b64 exec, exec, s[56:57]
	v_cmp_lt_u32_e64 s[42:43], v63, v74
	s_and_saveexec_b64 s[56:57], s[42:43]
	s_cbranch_execz .LBB1669_195
.LBB1669_213:                           ;   in Loop: Header=BB1669_156 Depth=2
	global_load_dwordx2 v[5:6], v[16:17], off offset:1536
	s_or_b64 exec, exec, s[56:57]
	s_and_saveexec_b64 s[42:43], s[40:41]
	s_cbranch_execz .LBB1669_196
.LBB1669_214:                           ;   in Loop: Header=BB1669_156 Depth=2
	ds_read_u8 v16, v0 offset:1024
	s_waitcnt lgkmcnt(0)
	v_lshrrev_b32_e32 v16, s58, v16
	v_and_b32_e32 v73, s59, v16
	s_or_b64 exec, exec, s[42:43]
	s_and_saveexec_b64 s[42:43], s[38:39]
	s_cbranch_execz .LBB1669_197
.LBB1669_215:                           ;   in Loop: Header=BB1669_156 Depth=2
	ds_read_u8 v16, v0 offset:1280
	s_waitcnt lgkmcnt(0)
	v_lshrrev_b32_e32 v16, s58, v16
	v_and_b32_e32 v72, s59, v16
	s_or_b64 exec, exec, s[42:43]
	s_and_saveexec_b64 s[42:43], s[36:37]
	s_cbranch_execz .LBB1669_198
.LBB1669_216:                           ;   in Loop: Header=BB1669_156 Depth=2
	ds_read_u8 v16, v0 offset:1536
	s_waitcnt lgkmcnt(0)
	v_lshrrev_b32_e32 v16, s58, v16
	v_and_b32_e32 v70, s59, v16
	s_or_b64 exec, exec, s[42:43]
	s_and_saveexec_b64 s[42:43], vcc
	s_cbranch_execnz .LBB1669_199
	s_branch .LBB1669_200
.LBB1669_217:                           ;   in Loop: Header=BB1669_156 Depth=2
	v_lshlrev_b32_e32 v3, 2, v73
	ds_read_b32 v3, v3
	v_add_u32_e32 v13, v0, v51
	ds_read_b64 v[13:14], v13 offset:1024
	v_mov_b32_e32 v17, s55
	s_waitcnt lgkmcnt(1)
	v_add_u32_e32 v3, v3, v0
	v_lshlrev_b64 v[15:16], 3, v[3:4]
	v_add_co_u32_e64 v15, s[40:41], s54, v15
	v_addc_co_u32_e64 v16, s[40:41], v17, v16, s[40:41]
	s_waitcnt lgkmcnt(0)
	global_store_dwordx2 v[15:16], v[13:14], off
	s_or_b64 exec, exec, s[42:43]
	s_and_saveexec_b64 s[40:41], s[38:39]
	s_cbranch_execz .LBB1669_202
.LBB1669_218:                           ;   in Loop: Header=BB1669_156 Depth=2
	v_lshlrev_b32_e32 v3, 2, v72
	ds_read_b32 v3, v3
	v_add_u32_e32 v13, v0, v51
	ds_read_b64 v[13:14], v13 offset:3072
	v_mov_b32_e32 v17, s55
	s_waitcnt lgkmcnt(1)
	v_add_u32_e32 v3, v3, v19
	v_lshlrev_b64 v[15:16], 3, v[3:4]
	v_add_co_u32_e64 v15, s[38:39], s54, v15
	v_addc_co_u32_e64 v16, s[38:39], v17, v16, s[38:39]
	s_waitcnt lgkmcnt(0)
	global_store_dwordx2 v[15:16], v[13:14], off
	s_or_b64 exec, exec, s[40:41]
	s_and_saveexec_b64 s[38:39], s[36:37]
	s_cbranch_execz .LBB1669_203
.LBB1669_219:                           ;   in Loop: Header=BB1669_156 Depth=2
	v_lshlrev_b32_e32 v3, 2, v70
	ds_read_b32 v3, v3
	v_add_u32_e32 v13, v0, v51
	ds_read_b64 v[13:14], v13 offset:5120
	v_mov_b32_e32 v17, s55
	s_waitcnt lgkmcnt(1)
	v_add_u32_e32 v3, v3, v20
	v_lshlrev_b64 v[15:16], 3, v[3:4]
	v_add_co_u32_e64 v15, s[36:37], s54, v15
	v_addc_co_u32_e64 v16, s[36:37], v17, v16, s[36:37]
	s_waitcnt lgkmcnt(0)
	global_store_dwordx2 v[15:16], v[13:14], off
	s_or_b64 exec, exec, s[38:39]
	s_and_saveexec_b64 s[36:37], vcc
	s_cbranch_execnz .LBB1669_204
	s_branch .LBB1669_205
.LBB1669_220:                           ;   in Loop: Header=BB1669_20 Depth=1
	s_waitcnt lgkmcnt(0)
	s_barrier
.LBB1669_221:                           ;   in Loop: Header=BB1669_20 Depth=1
	s_mov_b64 s[16:17], 0
.LBB1669_222:                           ;   in Loop: Header=BB1669_20 Depth=1
	s_andn2_b64 vcc, exec, s[16:17]
	s_cbranch_vccnz .LBB1669_19
; %bb.223:                              ;   in Loop: Header=BB1669_20 Depth=1
	s_mov_b64 s[16:17], -1
	s_and_b64 vcc, exec, s[50:51]
	s_cbranch_vccz .LBB1669_323
; %bb.224:                              ;   in Loop: Header=BB1669_20 Depth=1
	v_mov_b32_e32 v3, 0
	s_mov_b32 s18, s75
	s_mov_b32 s20, s49
	v_mov_b32_e32 v7, 0
	v_mov_b32_e32 v6, 0
	v_mov_b32_e32 v5, 0
	s_barrier
	s_branch .LBB1669_226
.LBB1669_225:                           ;   in Loop: Header=BB1669_226 Depth=2
	s_or_b64 exec, exec, s[16:17]
	s_addk_i32 s18, 0xfc00
	s_cmp_ge_u32 s19, s63
	s_mov_b32 s20, s19
	s_cbranch_scc1 .LBB1669_246
.LBB1669_226:                           ;   Parent Loop BB1669_20 Depth=1
                                        ; =>  This Inner Loop Header: Depth=2
	s_add_i32 s19, s20, 0x400
	s_cmp_gt_u32 s19, s63
	s_mov_b64 s[16:17], -1
                                        ; implicit-def: $vgpr8
                                        ; implicit-def: $vgpr9
                                        ; implicit-def: $vgpr10
                                        ; implicit-def: $vgpr11
	s_cbranch_scc1 .LBB1669_228
; %bb.227:                              ;   in Loop: Header=BB1669_226 Depth=2
	v_add_co_u32_e32 v12, vcc, s20, v38
	v_addc_co_u32_e32 v13, vcc, 0, v39, vcc
	global_load_ubyte v11, v[12:13], off offset:768
	global_load_ubyte v10, v[12:13], off offset:512
	;; [unrolled: 1-line block ×3, first 2 shown]
	global_load_ubyte v8, v[12:13], off
	s_mov_b64 s[16:17], 0
.LBB1669_228:                           ;   in Loop: Header=BB1669_226 Depth=2
	s_andn2_b64 vcc, exec, s[16:17]
	s_movk_i32 s21, 0x400
	s_cbranch_vccnz .LBB1669_235
; %bb.229:                              ;   in Loop: Header=BB1669_226 Depth=2
	s_add_u32 s20, s64, s20
	s_addc_u32 s21, s65, 0
	v_cmp_gt_u32_e32 vcc, s18, v0
	s_and_saveexec_b64 s[16:17], vcc
	s_cbranch_execnz .LBB1669_243
; %bb.230:                              ;   in Loop: Header=BB1669_226 Depth=2
	s_or_b64 exec, exec, s[16:17]
	v_cmp_gt_u32_e32 vcc, s18, v19
	s_and_saveexec_b64 s[16:17], vcc
	s_cbranch_execnz .LBB1669_244
.LBB1669_231:                           ;   in Loop: Header=BB1669_226 Depth=2
	s_or_b64 exec, exec, s[16:17]
	v_cmp_gt_u32_e32 vcc, s18, v20
	s_and_saveexec_b64 s[16:17], vcc
	s_cbranch_execnz .LBB1669_245
.LBB1669_232:                           ;   in Loop: Header=BB1669_226 Depth=2
	s_or_b64 exec, exec, s[16:17]
	v_cmp_gt_u32_e32 vcc, s18, v21
	s_and_saveexec_b64 s[16:17], vcc
	s_cbranch_execz .LBB1669_234
.LBB1669_233:                           ;   in Loop: Header=BB1669_226 Depth=2
	v_mov_b32_e32 v5, s21
	s_waitcnt vmcnt(0)
	v_add_co_u32_e32 v8, vcc, s20, v0
	v_addc_co_u32_e32 v9, vcc, 0, v5, vcc
	global_load_ubyte v5, v[8:9], off offset:768
.LBB1669_234:                           ;   in Loop: Header=BB1669_226 Depth=2
	s_or_b64 exec, exec, s[16:17]
	s_mov_b32 s21, s18
	s_waitcnt vmcnt(0)
	v_mov_b32_e32 v8, v3
	v_mov_b32_e32 v9, v7
	;; [unrolled: 1-line block ×4, first 2 shown]
.LBB1669_235:                           ;   in Loop: Header=BB1669_226 Depth=2
	s_waitcnt vmcnt(3)
	v_mov_b32_e32 v5, v11
	s_waitcnt vmcnt(2)
	v_mov_b32_e32 v6, v10
	;; [unrolled: 2-line block ×4, first 2 shown]
	v_cmp_gt_u32_e32 vcc, s21, v0
	s_and_saveexec_b64 s[16:17], vcc
	s_cbranch_execnz .LBB1669_239
; %bb.236:                              ;   in Loop: Header=BB1669_226 Depth=2
	s_or_b64 exec, exec, s[16:17]
	v_cmp_gt_u32_e32 vcc, s21, v19
	s_and_saveexec_b64 s[16:17], vcc
	s_cbranch_execnz .LBB1669_240
.LBB1669_237:                           ;   in Loop: Header=BB1669_226 Depth=2
	s_or_b64 exec, exec, s[16:17]
	v_cmp_gt_u32_e32 vcc, s21, v20
	s_and_saveexec_b64 s[16:17], vcc
	s_cbranch_execnz .LBB1669_241
.LBB1669_238:                           ;   in Loop: Header=BB1669_226 Depth=2
	s_or_b64 exec, exec, s[16:17]
	v_cmp_gt_u32_e32 vcc, s21, v21
	s_and_saveexec_b64 s[16:17], vcc
	s_cbranch_execz .LBB1669_225
	s_branch .LBB1669_242
.LBB1669_239:                           ;   in Loop: Header=BB1669_226 Depth=2
	v_and_b32_e32 v8, 1, v3
	v_lshrrev_b32_e32 v8, s73, v8
	v_and_b32_e32 v8, s59, v8
	v_lshl_or_b32 v8, v8, 4, v24
	ds_add_u32 v8, v52
	s_or_b64 exec, exec, s[16:17]
	v_cmp_gt_u32_e32 vcc, s21, v19
	s_and_saveexec_b64 s[16:17], vcc
	s_cbranch_execz .LBB1669_237
.LBB1669_240:                           ;   in Loop: Header=BB1669_226 Depth=2
	v_and_b32_e32 v8, 1, v7
	v_lshrrev_b32_e32 v8, s73, v8
	v_and_b32_e32 v8, s59, v8
	v_lshl_or_b32 v8, v8, 4, v24
	ds_add_u32 v8, v52
	s_or_b64 exec, exec, s[16:17]
	v_cmp_gt_u32_e32 vcc, s21, v20
	s_and_saveexec_b64 s[16:17], vcc
	s_cbranch_execz .LBB1669_238
.LBB1669_241:                           ;   in Loop: Header=BB1669_226 Depth=2
	v_and_b32_e32 v8, 1, v6
	v_lshrrev_b32_e32 v8, s73, v8
	v_and_b32_e32 v8, s59, v8
	v_lshl_or_b32 v8, v8, 4, v24
	ds_add_u32 v8, v52
	s_or_b64 exec, exec, s[16:17]
	v_cmp_gt_u32_e32 vcc, s21, v21
	s_and_saveexec_b64 s[16:17], vcc
	s_cbranch_execz .LBB1669_225
.LBB1669_242:                           ;   in Loop: Header=BB1669_226 Depth=2
	v_and_b32_e32 v8, 1, v5
	v_lshrrev_b32_e32 v8, s73, v8
	v_and_b32_e32 v8, s59, v8
	v_lshl_or_b32 v8, v8, 4, v24
	ds_add_u32 v8, v52
	s_branch .LBB1669_225
.LBB1669_243:                           ;   in Loop: Header=BB1669_226 Depth=2
	v_mov_b32_e32 v3, s21
	s_waitcnt vmcnt(0)
	v_add_co_u32_e32 v8, vcc, s20, v0
	v_addc_co_u32_e32 v9, vcc, 0, v3, vcc
	global_load_ubyte v3, v[8:9], off
	s_or_b64 exec, exec, s[16:17]
	v_cmp_gt_u32_e32 vcc, s18, v19
	s_and_saveexec_b64 s[16:17], vcc
	s_cbranch_execz .LBB1669_231
.LBB1669_244:                           ;   in Loop: Header=BB1669_226 Depth=2
	s_waitcnt vmcnt(0)
	v_mov_b32_e32 v8, s21
	v_add_co_u32_e32 v7, vcc, s20, v0
	v_addc_co_u32_e32 v8, vcc, 0, v8, vcc
	global_load_ubyte v7, v[7:8], off offset:256
	s_or_b64 exec, exec, s[16:17]
	v_cmp_gt_u32_e32 vcc, s18, v20
	s_and_saveexec_b64 s[16:17], vcc
	s_cbranch_execz .LBB1669_232
.LBB1669_245:                           ;   in Loop: Header=BB1669_226 Depth=2
	v_mov_b32_e32 v6, s21
	s_waitcnt vmcnt(0)
	v_add_co_u32_e32 v8, vcc, s20, v0
	v_addc_co_u32_e32 v9, vcc, 0, v6, vcc
	global_load_ubyte v6, v[8:9], off offset:512
	s_or_b64 exec, exec, s[16:17]
	v_cmp_gt_u32_e32 vcc, s18, v21
	s_and_saveexec_b64 s[16:17], vcc
	s_cbranch_execnz .LBB1669_233
	s_branch .LBB1669_234
.LBB1669_246:                           ;   in Loop: Header=BB1669_20 Depth=1
	v_mov_b32_e32 v3, 0
	s_waitcnt lgkmcnt(0)
	s_barrier
	s_and_saveexec_b64 s[16:17], s[4:5]
	s_cbranch_execz .LBB1669_248
; %bb.247:                              ;   in Loop: Header=BB1669_20 Depth=1
	ds_read2_b64 v[5:8], v25 offset1:1
	s_waitcnt lgkmcnt(0)
	v_add_u32_e32 v3, v6, v5
	v_add3_u32 v3, v3, v7, v8
.LBB1669_248:                           ;   in Loop: Header=BB1669_20 Depth=1
	s_or_b64 exec, exec, s[16:17]
	s_nop 0
	v_mov_b32_dpp v5, v3 row_shr:1 row_mask:0xf bank_mask:0xf
	v_cmp_eq_u32_e64 s[16:17], 0, v55
	v_cndmask_b32_e64 v5, v5, 0, s[16:17]
	v_add_u32_e32 v3, v5, v3
	v_cmp_lt_u32_e64 s[18:19], 1, v55
	v_cmp_lt_u32_e64 s[20:21], 3, v55
	v_mov_b32_dpp v5, v3 row_shr:2 row_mask:0xf bank_mask:0xf
	v_cndmask_b32_e64 v5, 0, v5, s[18:19]
	v_add_u32_e32 v3, v3, v5
	v_cmp_lt_u32_e64 s[22:23], 7, v55
	v_cmp_lt_u32_e64 s[26:27], 31, v44
	v_mov_b32_dpp v5, v3 row_shr:4 row_mask:0xf bank_mask:0xf
	v_cndmask_b32_e64 v5, 0, v5, s[20:21]
	v_add_u32_e32 v3, v3, v5
	v_cmp_eq_u32_e64 s[24:25], 0, v57
	s_nop 0
	v_mov_b32_dpp v5, v3 row_shr:8 row_mask:0xf bank_mask:0xf
	v_cndmask_b32_e64 v5, 0, v5, s[22:23]
	v_add_u32_e32 v3, v3, v5
	s_nop 1
	v_mov_b32_dpp v5, v3 row_bcast:15 row_mask:0xf bank_mask:0xf
	v_and_b32_e32 v5, v56, v5
	v_add_u32_e32 v3, v3, v5
	s_nop 1
	v_mov_b32_dpp v5, v3 row_bcast:31 row_mask:0xf bank_mask:0xf
	v_cndmask_b32_e64 v5, 0, v5, s[26:27]
	v_add_u32_e32 v3, v3, v5
	s_and_saveexec_b64 s[28:29], s[6:7]
; %bb.249:                              ;   in Loop: Header=BB1669_20 Depth=1
	ds_write_b32 v48, v3
; %bb.250:                              ;   in Loop: Header=BB1669_20 Depth=1
	s_or_b64 exec, exec, s[28:29]
	s_waitcnt lgkmcnt(0)
	s_barrier
	s_and_saveexec_b64 s[28:29], s[8:9]
	s_cbranch_execz .LBB1669_252
; %bb.251:                              ;   in Loop: Header=BB1669_20 Depth=1
	ds_read_b32 v5, v49
	v_cmp_ne_u32_e32 vcc, 0, v58
	s_waitcnt lgkmcnt(0)
	v_mov_b32_dpp v6, v5 row_shr:1 row_mask:0xf bank_mask:0xf
	v_cndmask_b32_e32 v6, 0, v6, vcc
	v_add_u32_e32 v5, v6, v5
	v_cmp_lt_u32_e32 vcc, 1, v58
	s_nop 0
	v_mov_b32_dpp v6, v5 row_shr:2 row_mask:0xf bank_mask:0xf
	v_cndmask_b32_e32 v6, 0, v6, vcc
	v_add_u32_e32 v5, v5, v6
	ds_write_b32 v49, v5
.LBB1669_252:                           ;   in Loop: Header=BB1669_20 Depth=1
	s_or_b64 exec, exec, s[28:29]
	v_mov_b32_e32 v5, 0
	s_waitcnt lgkmcnt(0)
	s_barrier
	s_and_saveexec_b64 s[28:29], s[10:11]
; %bb.253:                              ;   in Loop: Header=BB1669_20 Depth=1
	ds_read_b32 v5, v50
; %bb.254:                              ;   in Loop: Header=BB1669_20 Depth=1
	s_or_b64 exec, exec, s[28:29]
	v_subrev_co_u32_e64 v6, s[28:29], 1, v44
	v_cmp_lt_i32_e32 vcc, v6, v59
	v_cndmask_b32_e32 v6, v6, v44, vcc
	s_waitcnt lgkmcnt(0)
	v_add_u32_e32 v3, v5, v3
	v_lshlrev_b32_e32 v64, 2, v6
	ds_bpermute_b32 v3, v64, v3
	s_waitcnt lgkmcnt(0)
	s_barrier
	s_and_saveexec_b64 s[30:31], s[4:5]
; %bb.255:                              ;   in Loop: Header=BB1669_20 Depth=1
	v_cndmask_b32_e64 v3, v3, v5, s[28:29]
	v_add_u32_e32 v3, s49, v3
	ds_write_b32 v18, v3
; %bb.256:                              ;   in Loop: Header=BB1669_20 Depth=1
	s_or_b64 exec, exec, s[30:31]
	s_load_dwordx2 s[30:31], s[44:45], 0x0
	v_add_co_u32_e32 v65, vcc, v40, v60
	v_addc_co_u32_e32 v66, vcc, 0, v41, vcc
	s_waitcnt lgkmcnt(0)
	s_cmp_lt_u32 s33, s31
	s_cselect_b32 s31, 14, 20
	s_add_u32 s34, s44, s31
	s_addc_u32 s35, s45, 0
	s_cmp_lt_u32 s48, s30
	s_cselect_b32 s30, 12, 18
	s_add_u32 s30, s44, s30
	global_load_ushort v3, v4, s[34:35]
	s_addc_u32 s31, s45, 0
	global_load_ushort v5, v4, s[30:31]
	v_add_co_u32_e32 v67, vcc, v42, v45
	v_cmp_eq_u32_e64 s[30:31], 0, v58
	v_cmp_lt_u32_e64 s[34:35], 1, v58
	v_addc_co_u32_e32 v68, vcc, 0, v43, vcc
	s_mov_b32 s60, s75
	s_mov_b32 s46, s49
                                        ; implicit-def: $vgpr7_vgpr8
                                        ; implicit-def: $vgpr9_vgpr10
                                        ; implicit-def: $vgpr11_vgpr12
                                        ; implicit-def: $vgpr69
                                        ; implicit-def: $vgpr70
                                        ; implicit-def: $vgpr72
                                        ; implicit-def: $vgpr73
	s_waitcnt vmcnt(1)
	v_mad_u32_u24 v3, v2, v3, v1
	s_waitcnt vmcnt(0)
	v_mad_u64_u32 v[13:14], s[36:37], v3, v5, v[0:1]
                                        ; implicit-def: $vgpr5_vgpr6
	v_lshrrev_b32_e32 v3, 4, v13
	v_and_b32_e32 v71, 0xffffffc, v3
	s_branch .LBB1669_258
.LBB1669_257:                           ;   in Loop: Header=BB1669_258 Depth=2
	s_or_b64 exec, exec, s[36:37]
	s_addk_i32 s60, 0xfc00
	s_cmp_lt_u32 s61, s63
	s_mov_b32 s46, s61
	s_cbranch_scc0 .LBB1669_322
.LBB1669_258:                           ;   Parent Loop BB1669_20 Depth=1
                                        ; =>  This Inner Loop Header: Depth=2
	s_add_i32 s61, s46, 0x400
	s_cmp_gt_u32 s61, s63
	s_cbranch_scc1 .LBB1669_260
; %bb.259:                              ;   in Loop: Header=BB1669_258 Depth=2
	v_add_co_u32_e32 v13, vcc, s46, v67
	v_addc_co_u32_e32 v14, vcc, 0, v68, vcc
	global_load_ubyte v17, v[13:14], off
	global_load_ubyte v75, v[13:14], off offset:64
	global_load_ubyte v76, v[13:14], off offset:128
	s_mov_b64 s[36:37], -1
	s_movk_i32 s40, 0x400
	s_cbranch_execz .LBB1669_261
	s_branch .LBB1669_268
.LBB1669_260:                           ;   in Loop: Header=BB1669_258 Depth=2
	s_mov_b64 s[36:37], 0
                                        ; implicit-def: $vgpr17
                                        ; implicit-def: $vgpr75
                                        ; implicit-def: $vgpr76
	s_movk_i32 s40, 0x400
.LBB1669_261:                           ;   in Loop: Header=BB1669_258 Depth=2
	v_add_co_u32_e32 v13, vcc, s46, v67
	v_addc_co_u32_e32 v14, vcc, 0, v68, vcc
	v_cmp_gt_u32_e32 vcc, s60, v46
	s_waitcnt vmcnt(1)
	v_mov_b32_e32 v75, 1
	v_mov_b32_e32 v17, 1
	s_and_saveexec_b64 s[36:37], vcc
	s_cbranch_execz .LBB1669_263
; %bb.262:                              ;   in Loop: Header=BB1669_258 Depth=2
	global_load_ubyte v17, v[13:14], off
.LBB1669_263:                           ;   in Loop: Header=BB1669_258 Depth=2
	s_or_b64 exec, exec, s[36:37]
	v_cmp_gt_u32_e32 vcc, s60, v61
	s_and_saveexec_b64 s[36:37], vcc
	s_cbranch_execz .LBB1669_265
; %bb.264:                              ;   in Loop: Header=BB1669_258 Depth=2
	global_load_ubyte v75, v[13:14], off offset:64
.LBB1669_265:                           ;   in Loop: Header=BB1669_258 Depth=2
	s_or_b64 exec, exec, s[36:37]
	v_cmp_gt_u32_e32 vcc, s60, v62
	s_waitcnt vmcnt(0)
	v_mov_b32_e32 v76, 1
	s_and_saveexec_b64 s[36:37], vcc
	s_cbranch_execz .LBB1669_267
; %bb.266:                              ;   in Loop: Header=BB1669_258 Depth=2
	global_load_ubyte v76, v[13:14], off offset:128
.LBB1669_267:                           ;   in Loop: Header=BB1669_258 Depth=2
	s_or_b64 exec, exec, s[36:37]
	s_sub_i32 s40, s63, s46
	v_cmp_gt_u32_e64 s[36:37], s60, v63
.LBB1669_268:                           ;   in Loop: Header=BB1669_258 Depth=2
	v_mov_b32_e32 v78, 1
	v_mov_b32_e32 v74, s60
	s_and_saveexec_b64 s[38:39], s[36:37]
	s_cbranch_execz .LBB1669_270
; %bb.269:                              ;   in Loop: Header=BB1669_258 Depth=2
	v_mov_b32_e32 v3, s47
	v_add_co_u32_e32 v13, vcc, s46, v67
	v_addc_co_u32_e32 v14, vcc, v68, v3, vcc
	global_load_ubyte v78, v[13:14], off offset:192
	v_mov_b32_e32 v74, s40
.LBB1669_270:                           ;   in Loop: Header=BB1669_258 Depth=2
	s_or_b64 exec, exec, s[38:39]
	s_waitcnt vmcnt(2)
	v_lshrrev_b32_sdwa v3, s73, v17 dst_sel:DWORD dst_unused:UNUSED_PAD src0_sel:DWORD src1_sel:BYTE_0
	v_and_b32_e32 v3, s59, v3
	v_mul_u32_u24_e32 v15, 20, v3
	v_cmp_ne_u32_e32 vcc, 0, v3
	v_add_co_u32_e64 v3, s[36:37], -1, v3
	v_addc_co_u32_e64 v13, s[36:37], 0, -1, s[36:37]
	v_xor_b32_e32 v13, vcc_hi, v13
	v_xor_b32_e32 v3, vcc_lo, v3
	v_and_b32_e32 v14, exec_hi, v13
	v_and_b32_e32 v13, exec_lo, v3
	v_mbcnt_lo_u32_b32 v3, v13, 0
	v_mbcnt_hi_u32_b32 v3, v14, v3
	v_cmp_ne_u64_e32 vcc, 0, v[13:14]
	v_cmp_eq_u32_e64 s[36:37], 0, v3
	s_and_b64 s[38:39], vcc, s[36:37]
	v_add_u32_e32 v77, v71, v15
	ds_write2_b32 v53, v4, v4 offset1:1
	ds_write2_b32 v54, v4, v4 offset1:1
	ds_write_b32 v27, v4 offset:1056
	s_waitcnt vmcnt(0) lgkmcnt(0)
	s_barrier
	; wave barrier
	s_and_saveexec_b64 s[36:37], s[38:39]
; %bb.271:                              ;   in Loop: Header=BB1669_258 Depth=2
	v_bcnt_u32_b32 v13, v13, 0
	v_bcnt_u32_b32 v13, v14, v13
	ds_write_b32 v77, v13 offset:1040
; %bb.272:                              ;   in Loop: Header=BB1669_258 Depth=2
	s_or_b64 exec, exec, s[36:37]
	v_lshrrev_b32_sdwa v13, s73, v75 dst_sel:DWORD dst_unused:UNUSED_PAD src0_sel:DWORD src1_sel:BYTE_0
	v_and_b32_e32 v13, s59, v13
	v_mul_u32_u24_e32 v15, 20, v13
	v_mad_u32_u24 v14, v13, 20, v71
	v_cmp_ne_u32_e32 vcc, 0, v13
	v_add_co_u32_e64 v13, s[36:37], -1, v13
	; wave barrier
	ds_read_b32 v79, v14 offset:1040
	v_addc_co_u32_e64 v14, s[36:37], 0, -1, s[36:37]
	v_xor_b32_e32 v13, vcc_lo, v13
	v_xor_b32_e32 v14, vcc_hi, v14
	v_and_b32_e32 v13, exec_lo, v13
	v_and_b32_e32 v14, exec_hi, v14
	v_mbcnt_lo_u32_b32 v16, v13, 0
	v_mbcnt_hi_u32_b32 v80, v14, v16
	v_cmp_ne_u64_e32 vcc, 0, v[13:14]
	v_cmp_eq_u32_e64 s[36:37], 0, v80
	s_and_b64 s[38:39], vcc, s[36:37]
	v_add_u32_e32 v82, v71, v15
	; wave barrier
	s_and_saveexec_b64 s[36:37], s[38:39]
	s_cbranch_execz .LBB1669_274
; %bb.273:                              ;   in Loop: Header=BB1669_258 Depth=2
	v_bcnt_u32_b32 v13, v13, 0
	v_bcnt_u32_b32 v13, v14, v13
	s_waitcnt lgkmcnt(0)
	v_add_u32_e32 v13, v79, v13
	ds_write_b32 v82, v13 offset:1040
.LBB1669_274:                           ;   in Loop: Header=BB1669_258 Depth=2
	s_or_b64 exec, exec, s[36:37]
	v_lshrrev_b32_sdwa v13, s73, v76 dst_sel:DWORD dst_unused:UNUSED_PAD src0_sel:DWORD src1_sel:BYTE_0
	v_and_b32_e32 v13, s59, v13
	v_mul_u32_u24_e32 v15, 20, v13
	v_mad_u32_u24 v14, v13, 20, v71
	v_cmp_ne_u32_e32 vcc, 0, v13
	v_add_co_u32_e64 v13, s[36:37], -1, v13
	; wave barrier
	ds_read_b32 v81, v14 offset:1040
	v_addc_co_u32_e64 v14, s[36:37], 0, -1, s[36:37]
	v_xor_b32_e32 v13, vcc_lo, v13
	v_xor_b32_e32 v14, vcc_hi, v14
	v_and_b32_e32 v13, exec_lo, v13
	v_and_b32_e32 v14, exec_hi, v14
	v_mbcnt_lo_u32_b32 v16, v13, 0
	v_mbcnt_hi_u32_b32 v83, v14, v16
	v_cmp_ne_u64_e32 vcc, 0, v[13:14]
	v_cmp_eq_u32_e64 s[36:37], 0, v83
	s_and_b64 s[38:39], vcc, s[36:37]
	v_add_u32_e32 v85, v71, v15
	; wave barrier
	s_and_saveexec_b64 s[36:37], s[38:39]
	s_cbranch_execz .LBB1669_276
; %bb.275:                              ;   in Loop: Header=BB1669_258 Depth=2
	v_bcnt_u32_b32 v13, v13, 0
	v_bcnt_u32_b32 v13, v14, v13
	s_waitcnt lgkmcnt(0)
	v_add_u32_e32 v13, v81, v13
	ds_write_b32 v85, v13 offset:1040
.LBB1669_276:                           ;   in Loop: Header=BB1669_258 Depth=2
	;; [unrolled: 30-line block ×3, first 2 shown]
	s_or_b64 exec, exec, s[36:37]
	; wave barrier
	s_waitcnt lgkmcnt(0)
	s_barrier
	ds_read2_b32 v[15:16], v53 offset1:1
	ds_read2_b32 v[13:14], v54 offset1:1
	ds_read_b32 v88, v27 offset:1056
	s_waitcnt lgkmcnt(1)
	v_add3_u32 v89, v16, v15, v13
	s_waitcnt lgkmcnt(0)
	v_add3_u32 v88, v89, v14, v88
	s_nop 1
	v_mov_b32_dpp v89, v88 row_shr:1 row_mask:0xf bank_mask:0xf
	v_cndmask_b32_e64 v89, v89, 0, s[16:17]
	v_add_u32_e32 v88, v89, v88
	s_nop 1
	v_mov_b32_dpp v89, v88 row_shr:2 row_mask:0xf bank_mask:0xf
	v_cndmask_b32_e64 v89, 0, v89, s[18:19]
	v_add_u32_e32 v88, v88, v89
	s_nop 1
	v_mov_b32_dpp v89, v88 row_shr:4 row_mask:0xf bank_mask:0xf
	v_cndmask_b32_e64 v89, 0, v89, s[20:21]
	v_add_u32_e32 v88, v88, v89
	s_nop 1
	v_mov_b32_dpp v89, v88 row_shr:8 row_mask:0xf bank_mask:0xf
	v_cndmask_b32_e64 v89, 0, v89, s[22:23]
	v_add_u32_e32 v88, v88, v89
	s_nop 1
	v_mov_b32_dpp v89, v88 row_bcast:15 row_mask:0xf bank_mask:0xf
	v_cndmask_b32_e64 v89, v89, 0, s[24:25]
	v_add_u32_e32 v88, v88, v89
	s_nop 1
	v_mov_b32_dpp v89, v88 row_bcast:31 row_mask:0xf bank_mask:0xf
	v_cndmask_b32_e64 v89, 0, v89, s[26:27]
	v_add_u32_e32 v88, v88, v89
	s_and_saveexec_b64 s[36:37], s[6:7]
; %bb.279:                              ;   in Loop: Header=BB1669_258 Depth=2
	ds_write_b32 v26, v88 offset:1024
; %bb.280:                              ;   in Loop: Header=BB1669_258 Depth=2
	s_or_b64 exec, exec, s[36:37]
	s_waitcnt lgkmcnt(0)
	s_barrier
	s_and_saveexec_b64 s[36:37], s[8:9]
	s_cbranch_execz .LBB1669_282
; %bb.281:                              ;   in Loop: Header=BB1669_258 Depth=2
	ds_read_b32 v89, v47 offset:1024
	s_waitcnt lgkmcnt(0)
	s_nop 0
	v_mov_b32_dpp v90, v89 row_shr:1 row_mask:0xf bank_mask:0xf
	v_cndmask_b32_e64 v90, v90, 0, s[30:31]
	v_add_u32_e32 v89, v90, v89
	s_nop 1
	v_mov_b32_dpp v90, v89 row_shr:2 row_mask:0xf bank_mask:0xf
	v_cndmask_b32_e64 v90, 0, v90, s[34:35]
	v_add_u32_e32 v89, v89, v90
	ds_write_b32 v47, v89 offset:1024
.LBB1669_282:                           ;   in Loop: Header=BB1669_258 Depth=2
	s_or_b64 exec, exec, s[36:37]
	v_mov_b32_e32 v89, 0
	s_waitcnt lgkmcnt(0)
	s_barrier
	s_and_saveexec_b64 s[36:37], s[10:11]
; %bb.283:                              ;   in Loop: Header=BB1669_258 Depth=2
	ds_read_b32 v89, v26 offset:1020
; %bb.284:                              ;   in Loop: Header=BB1669_258 Depth=2
	s_or_b64 exec, exec, s[36:37]
	s_waitcnt lgkmcnt(0)
	v_add_u32_e32 v88, v89, v88
	ds_bpermute_b32 v88, v64, v88
	s_waitcnt lgkmcnt(0)
	v_cndmask_b32_e64 v88, v88, v89, s[28:29]
	v_cndmask_b32_e64 v88, v88, 0, s[12:13]
	v_add_u32_e32 v15, v88, v15
	v_add_u32_e32 v16, v15, v16
	v_add_u32_e32 v13, v16, v13
	v_add_u32_e32 v14, v13, v14
	ds_write2_b32 v53, v88, v15 offset1:1
	ds_write2_b32 v54, v16, v13 offset1:1
	ds_write_b32 v27, v14 offset:1056
	s_waitcnt lgkmcnt(0)
	s_barrier
	ds_read_b32 v13, v77 offset:1040
	ds_read_b32 v14, v82 offset:1040
	;; [unrolled: 1-line block ×5, first 2 shown]
	v_mov_b32_e32 v77, 0x400
	s_and_saveexec_b64 s[36:37], s[14:15]
; %bb.285:                              ;   in Loop: Header=BB1669_258 Depth=2
	ds_read_b32 v77, v27 offset:1060
; %bb.286:                              ;   in Loop: Header=BB1669_258 Depth=2
	s_or_b64 exec, exec, s[36:37]
	s_waitcnt lgkmcnt(0)
	s_barrier
	s_and_saveexec_b64 s[36:37], s[4:5]
	s_cbranch_execz .LBB1669_288
; %bb.287:                              ;   in Loop: Header=BB1669_258 Depth=2
	ds_read_b32 v85, v18
	s_waitcnt lgkmcnt(0)
	v_sub_u32_e32 v15, v85, v15
	ds_write_b32 v18, v15
.LBB1669_288:                           ;   in Loop: Header=BB1669_258 Depth=2
	s_or_b64 exec, exec, s[36:37]
	v_add_u32_e32 v15, v13, v3
	v_add3_u32 v14, v80, v79, v14
	v_add3_u32 v13, v83, v81, v16
	;; [unrolled: 1-line block ×3, first 2 shown]
	v_cmp_lt_u32_e64 s[40:41], v0, v74
	ds_write_b8 v15, v17 offset:1024
	ds_write_b8 v14, v75 offset:1024
	;; [unrolled: 1-line block ×4, first 2 shown]
	s_waitcnt lgkmcnt(0)
	s_barrier
	s_and_saveexec_b64 s[36:37], s[40:41]
	s_cbranch_execnz .LBB1669_309
; %bb.289:                              ;   in Loop: Header=BB1669_258 Depth=2
	s_or_b64 exec, exec, s[36:37]
	v_cmp_lt_u32_e64 s[38:39], v19, v74
	s_and_saveexec_b64 s[36:37], s[38:39]
	s_cbranch_execnz .LBB1669_310
.LBB1669_290:                           ;   in Loop: Header=BB1669_258 Depth=2
	s_or_b64 exec, exec, s[36:37]
	v_cmp_lt_u32_e64 s[36:37], v20, v74
	s_and_saveexec_b64 s[42:43], s[36:37]
	s_cbranch_execnz .LBB1669_311
.LBB1669_291:                           ;   in Loop: Header=BB1669_258 Depth=2
	s_or_b64 exec, exec, s[42:43]
	v_cmp_lt_u32_e32 vcc, v21, v74
	s_and_saveexec_b64 s[42:43], vcc
	s_cbranch_execz .LBB1669_293
.LBB1669_292:                           ;   in Loop: Header=BB1669_258 Depth=2
	ds_read_u8 v16, v0 offset:1792
	s_waitcnt lgkmcnt(0)
	v_and_b32_e32 v17, 1, v16
	v_lshrrev_b32_e32 v17, s73, v17
	v_and_b32_e32 v17, s59, v17
	v_lshlrev_b32_e32 v17, 2, v17
	ds_read_b32 v17, v17
	s_waitcnt lgkmcnt(0)
	v_add_u32_e32 v17, v17, v21
	global_store_byte v17, v16, s[66:67]
.LBB1669_293:                           ;   in Loop: Header=BB1669_258 Depth=2
	s_or_b64 exec, exec, s[42:43]
	s_lshl_b64 s[42:43], s[46:47], 3
	v_mov_b32_e32 v17, s43
	v_add_co_u32_e64 v16, s[42:43], s42, v65
	v_addc_co_u32_e64 v17, s[42:43], v66, v17, s[42:43]
	v_cmp_lt_u32_e64 s[42:43], v46, v74
	s_and_saveexec_b64 s[56:57], s[42:43]
	s_xor_b64 s[42:43], exec, s[56:57]
	s_cbranch_execnz .LBB1669_312
; %bb.294:                              ;   in Loop: Header=BB1669_258 Depth=2
	s_or_b64 exec, exec, s[42:43]
	v_cmp_lt_u32_e64 s[42:43], v61, v74
	s_and_saveexec_b64 s[56:57], s[42:43]
	s_cbranch_execnz .LBB1669_313
.LBB1669_295:                           ;   in Loop: Header=BB1669_258 Depth=2
	s_or_b64 exec, exec, s[56:57]
	v_cmp_lt_u32_e64 s[42:43], v62, v74
	s_and_saveexec_b64 s[56:57], s[42:43]
	s_cbranch_execnz .LBB1669_314
.LBB1669_296:                           ;   in Loop: Header=BB1669_258 Depth=2
	s_or_b64 exec, exec, s[56:57]
	v_cmp_lt_u32_e64 s[42:43], v63, v74
	s_and_saveexec_b64 s[56:57], s[42:43]
	s_cbranch_execnz .LBB1669_315
.LBB1669_297:                           ;   in Loop: Header=BB1669_258 Depth=2
	s_or_b64 exec, exec, s[56:57]
	s_and_saveexec_b64 s[42:43], s[40:41]
	s_cbranch_execnz .LBB1669_316
.LBB1669_298:                           ;   in Loop: Header=BB1669_258 Depth=2
	s_or_b64 exec, exec, s[42:43]
	s_and_saveexec_b64 s[42:43], s[38:39]
	s_cbranch_execnz .LBB1669_317
.LBB1669_299:                           ;   in Loop: Header=BB1669_258 Depth=2
	s_or_b64 exec, exec, s[42:43]
	s_and_saveexec_b64 s[42:43], s[36:37]
	s_cbranch_execnz .LBB1669_318
.LBB1669_300:                           ;   in Loop: Header=BB1669_258 Depth=2
	s_or_b64 exec, exec, s[42:43]
	s_and_saveexec_b64 s[42:43], vcc
	s_cbranch_execz .LBB1669_302
.LBB1669_301:                           ;   in Loop: Header=BB1669_258 Depth=2
	ds_read_u8 v16, v0 offset:1792
	s_waitcnt lgkmcnt(0)
	v_lshrrev_b32_e32 v16, s73, v16
	v_and_b32_e32 v69, s59, v16
.LBB1669_302:                           ;   in Loop: Header=BB1669_258 Depth=2
	s_or_b64 exec, exec, s[42:43]
	v_mad_u64_u32 v[15:16], s[42:43], v15, 7, v[15:16]
	v_mad_u64_u32 v[74:75], s[42:43], v3, 7, v[3:4]
	;; [unrolled: 1-line block ×4, first 2 shown]
	s_waitcnt vmcnt(0)
	s_barrier
	ds_write_b64 v15, v[11:12] offset:1024
	ds_write_b64 v16, v[9:10] offset:1024
	;; [unrolled: 1-line block ×4, first 2 shown]
	s_waitcnt lgkmcnt(0)
	s_barrier
	s_and_saveexec_b64 s[42:43], s[40:41]
	s_cbranch_execnz .LBB1669_319
; %bb.303:                              ;   in Loop: Header=BB1669_258 Depth=2
	s_or_b64 exec, exec, s[42:43]
	s_and_saveexec_b64 s[40:41], s[38:39]
	s_cbranch_execnz .LBB1669_320
.LBB1669_304:                           ;   in Loop: Header=BB1669_258 Depth=2
	s_or_b64 exec, exec, s[40:41]
	s_and_saveexec_b64 s[38:39], s[36:37]
	s_cbranch_execnz .LBB1669_321
.LBB1669_305:                           ;   in Loop: Header=BB1669_258 Depth=2
	s_or_b64 exec, exec, s[38:39]
	s_and_saveexec_b64 s[36:37], vcc
	s_cbranch_execz .LBB1669_307
.LBB1669_306:                           ;   in Loop: Header=BB1669_258 Depth=2
	v_lshlrev_b32_e32 v3, 2, v69
	ds_read_b32 v3, v3
	v_add_u32_e32 v13, v0, v51
	ds_read_b64 v[13:14], v13 offset:7168
	v_mov_b32_e32 v17, s53
	s_waitcnt lgkmcnt(1)
	v_add_u32_e32 v3, v3, v21
	v_lshlrev_b64 v[15:16], 3, v[3:4]
	v_add_co_u32_e32 v15, vcc, s52, v15
	v_addc_co_u32_e32 v16, vcc, v17, v16, vcc
	s_waitcnt lgkmcnt(0)
	global_store_dwordx2 v[15:16], v[13:14], off
.LBB1669_307:                           ;   in Loop: Header=BB1669_258 Depth=2
	s_or_b64 exec, exec, s[36:37]
	s_waitcnt vmcnt(0)
	s_barrier
	s_and_saveexec_b64 s[36:37], s[4:5]
	s_cbranch_execz .LBB1669_257
; %bb.308:                              ;   in Loop: Header=BB1669_258 Depth=2
	ds_read_b32 v3, v18
	s_waitcnt lgkmcnt(0)
	v_add_u32_e32 v3, v3, v77
	ds_write_b32 v18, v3
	s_branch .LBB1669_257
.LBB1669_309:                           ;   in Loop: Header=BB1669_258 Depth=2
	ds_read_u8 v16, v0 offset:1024
	s_waitcnt lgkmcnt(0)
	v_and_b32_e32 v17, 1, v16
	v_lshrrev_b32_e32 v17, s73, v17
	v_and_b32_e32 v17, s59, v17
	v_lshlrev_b32_e32 v17, 2, v17
	ds_read_b32 v17, v17
	s_waitcnt lgkmcnt(0)
	v_add_u32_e32 v17, v17, v0
	global_store_byte v17, v16, s[66:67]
	s_or_b64 exec, exec, s[36:37]
	v_cmp_lt_u32_e64 s[38:39], v19, v74
	s_and_saveexec_b64 s[36:37], s[38:39]
	s_cbranch_execz .LBB1669_290
.LBB1669_310:                           ;   in Loop: Header=BB1669_258 Depth=2
	ds_read_u8 v16, v0 offset:1280
	s_waitcnt lgkmcnt(0)
	v_and_b32_e32 v17, 1, v16
	v_lshrrev_b32_e32 v17, s73, v17
	v_and_b32_e32 v17, s59, v17
	v_lshlrev_b32_e32 v17, 2, v17
	ds_read_b32 v17, v17
	s_waitcnt lgkmcnt(0)
	v_add_u32_e32 v17, v17, v19
	global_store_byte v17, v16, s[66:67]
	s_or_b64 exec, exec, s[36:37]
	v_cmp_lt_u32_e64 s[36:37], v20, v74
	s_and_saveexec_b64 s[42:43], s[36:37]
	s_cbranch_execz .LBB1669_291
.LBB1669_311:                           ;   in Loop: Header=BB1669_258 Depth=2
	ds_read_u8 v16, v0 offset:1536
	s_waitcnt lgkmcnt(0)
	v_and_b32_e32 v17, 1, v16
	v_lshrrev_b32_e32 v17, s73, v17
	v_and_b32_e32 v17, s59, v17
	v_lshlrev_b32_e32 v17, 2, v17
	ds_read_b32 v17, v17
	s_waitcnt lgkmcnt(0)
	v_add_u32_e32 v17, v17, v20
	global_store_byte v17, v16, s[66:67]
	s_or_b64 exec, exec, s[42:43]
	v_cmp_lt_u32_e32 vcc, v21, v74
	s_and_saveexec_b64 s[42:43], vcc
	s_cbranch_execnz .LBB1669_292
	s_branch .LBB1669_293
.LBB1669_312:                           ;   in Loop: Header=BB1669_258 Depth=2
	global_load_dwordx2 v[11:12], v[16:17], off
	s_or_b64 exec, exec, s[42:43]
	v_cmp_lt_u32_e64 s[42:43], v61, v74
	s_and_saveexec_b64 s[56:57], s[42:43]
	s_cbranch_execz .LBB1669_295
.LBB1669_313:                           ;   in Loop: Header=BB1669_258 Depth=2
	global_load_dwordx2 v[9:10], v[16:17], off offset:512
	s_or_b64 exec, exec, s[56:57]
	v_cmp_lt_u32_e64 s[42:43], v62, v74
	s_and_saveexec_b64 s[56:57], s[42:43]
	s_cbranch_execz .LBB1669_296
.LBB1669_314:                           ;   in Loop: Header=BB1669_258 Depth=2
	global_load_dwordx2 v[7:8], v[16:17], off offset:1024
	s_or_b64 exec, exec, s[56:57]
	v_cmp_lt_u32_e64 s[42:43], v63, v74
	s_and_saveexec_b64 s[56:57], s[42:43]
	s_cbranch_execz .LBB1669_297
.LBB1669_315:                           ;   in Loop: Header=BB1669_258 Depth=2
	global_load_dwordx2 v[5:6], v[16:17], off offset:1536
	s_or_b64 exec, exec, s[56:57]
	s_and_saveexec_b64 s[42:43], s[40:41]
	s_cbranch_execz .LBB1669_298
.LBB1669_316:                           ;   in Loop: Header=BB1669_258 Depth=2
	ds_read_u8 v16, v0 offset:1024
	s_waitcnt lgkmcnt(0)
	v_lshrrev_b32_e32 v16, s73, v16
	v_and_b32_e32 v73, s59, v16
	s_or_b64 exec, exec, s[42:43]
	s_and_saveexec_b64 s[42:43], s[38:39]
	s_cbranch_execz .LBB1669_299
.LBB1669_317:                           ;   in Loop: Header=BB1669_258 Depth=2
	ds_read_u8 v16, v0 offset:1280
	s_waitcnt lgkmcnt(0)
	v_lshrrev_b32_e32 v16, s73, v16
	v_and_b32_e32 v72, s59, v16
	s_or_b64 exec, exec, s[42:43]
	s_and_saveexec_b64 s[42:43], s[36:37]
	s_cbranch_execz .LBB1669_300
.LBB1669_318:                           ;   in Loop: Header=BB1669_258 Depth=2
	ds_read_u8 v16, v0 offset:1536
	s_waitcnt lgkmcnt(0)
	v_lshrrev_b32_e32 v16, s73, v16
	v_and_b32_e32 v70, s59, v16
	s_or_b64 exec, exec, s[42:43]
	s_and_saveexec_b64 s[42:43], vcc
	s_cbranch_execnz .LBB1669_301
	s_branch .LBB1669_302
.LBB1669_319:                           ;   in Loop: Header=BB1669_258 Depth=2
	v_lshlrev_b32_e32 v3, 2, v73
	ds_read_b32 v3, v3
	v_add_u32_e32 v13, v0, v51
	ds_read_b64 v[13:14], v13 offset:1024
	v_mov_b32_e32 v17, s53
	s_waitcnt lgkmcnt(1)
	v_add_u32_e32 v3, v3, v0
	v_lshlrev_b64 v[15:16], 3, v[3:4]
	v_add_co_u32_e64 v15, s[40:41], s52, v15
	v_addc_co_u32_e64 v16, s[40:41], v17, v16, s[40:41]
	s_waitcnt lgkmcnt(0)
	global_store_dwordx2 v[15:16], v[13:14], off
	s_or_b64 exec, exec, s[42:43]
	s_and_saveexec_b64 s[40:41], s[38:39]
	s_cbranch_execz .LBB1669_304
.LBB1669_320:                           ;   in Loop: Header=BB1669_258 Depth=2
	v_lshlrev_b32_e32 v3, 2, v72
	ds_read_b32 v3, v3
	v_add_u32_e32 v13, v0, v51
	ds_read_b64 v[13:14], v13 offset:3072
	v_mov_b32_e32 v17, s53
	s_waitcnt lgkmcnt(1)
	v_add_u32_e32 v3, v3, v19
	v_lshlrev_b64 v[15:16], 3, v[3:4]
	v_add_co_u32_e64 v15, s[38:39], s52, v15
	v_addc_co_u32_e64 v16, s[38:39], v17, v16, s[38:39]
	s_waitcnt lgkmcnt(0)
	global_store_dwordx2 v[15:16], v[13:14], off
	s_or_b64 exec, exec, s[40:41]
	s_and_saveexec_b64 s[38:39], s[36:37]
	s_cbranch_execz .LBB1669_305
.LBB1669_321:                           ;   in Loop: Header=BB1669_258 Depth=2
	v_lshlrev_b32_e32 v3, 2, v70
	ds_read_b32 v3, v3
	v_add_u32_e32 v13, v0, v51
	ds_read_b64 v[13:14], v13 offset:5120
	v_mov_b32_e32 v17, s53
	s_waitcnt lgkmcnt(1)
	v_add_u32_e32 v3, v3, v20
	v_lshlrev_b64 v[15:16], 3, v[3:4]
	v_add_co_u32_e64 v15, s[36:37], s52, v15
	v_addc_co_u32_e64 v16, s[36:37], v17, v16, s[36:37]
	s_waitcnt lgkmcnt(0)
	global_store_dwordx2 v[15:16], v[13:14], off
	s_or_b64 exec, exec, s[38:39]
	s_and_saveexec_b64 s[36:37], vcc
	s_cbranch_execnz .LBB1669_306
	s_branch .LBB1669_307
.LBB1669_322:                           ;   in Loop: Header=BB1669_20 Depth=1
	s_waitcnt lgkmcnt(0)
	s_barrier
	s_mov_b64 s[16:17], 0
.LBB1669_323:                           ;   in Loop: Header=BB1669_20 Depth=1
	s_and_b64 vcc, exec, s[16:17]
	s_cbranch_vccz .LBB1669_19
; %bb.324:                              ;   in Loop: Header=BB1669_20 Depth=1
	v_mov_b32_e32 v3, 0
	s_mov_b32 s18, s75
	s_mov_b32 s20, s49
	v_mov_b32_e32 v7, 0
	v_mov_b32_e32 v6, 0
	;; [unrolled: 1-line block ×3, first 2 shown]
	s_barrier
	s_branch .LBB1669_326
.LBB1669_325:                           ;   in Loop: Header=BB1669_326 Depth=2
	s_or_b64 exec, exec, s[16:17]
	s_addk_i32 s18, 0xfc00
	s_cmp_ge_u32 s19, s63
	s_mov_b32 s20, s19
	s_cbranch_scc1 .LBB1669_346
.LBB1669_326:                           ;   Parent Loop BB1669_20 Depth=1
                                        ; =>  This Inner Loop Header: Depth=2
	s_add_i32 s19, s20, 0x400
	s_cmp_gt_u32 s19, s63
	s_mov_b64 s[16:17], -1
                                        ; implicit-def: $vgpr8
                                        ; implicit-def: $vgpr9
                                        ; implicit-def: $vgpr10
                                        ; implicit-def: $vgpr11
	s_cbranch_scc1 .LBB1669_328
; %bb.327:                              ;   in Loop: Header=BB1669_326 Depth=2
	v_add_co_u32_e32 v12, vcc, s20, v38
	v_addc_co_u32_e32 v13, vcc, 0, v39, vcc
	global_load_ubyte v11, v[12:13], off offset:768
	global_load_ubyte v10, v[12:13], off offset:512
	;; [unrolled: 1-line block ×3, first 2 shown]
	global_load_ubyte v8, v[12:13], off
	s_mov_b64 s[16:17], 0
.LBB1669_328:                           ;   in Loop: Header=BB1669_326 Depth=2
	s_andn2_b64 vcc, exec, s[16:17]
	s_movk_i32 s21, 0x400
	s_cbranch_vccnz .LBB1669_335
; %bb.329:                              ;   in Loop: Header=BB1669_326 Depth=2
	s_add_u32 s20, s64, s20
	s_addc_u32 s21, s65, 0
	v_cmp_gt_u32_e32 vcc, s18, v0
	s_and_saveexec_b64 s[16:17], vcc
	s_cbranch_execnz .LBB1669_343
; %bb.330:                              ;   in Loop: Header=BB1669_326 Depth=2
	s_or_b64 exec, exec, s[16:17]
	v_cmp_gt_u32_e32 vcc, s18, v19
	s_and_saveexec_b64 s[16:17], vcc
	s_cbranch_execnz .LBB1669_344
.LBB1669_331:                           ;   in Loop: Header=BB1669_326 Depth=2
	s_or_b64 exec, exec, s[16:17]
	v_cmp_gt_u32_e32 vcc, s18, v20
	s_and_saveexec_b64 s[16:17], vcc
	s_cbranch_execnz .LBB1669_345
.LBB1669_332:                           ;   in Loop: Header=BB1669_326 Depth=2
	s_or_b64 exec, exec, s[16:17]
	v_cmp_gt_u32_e32 vcc, s18, v21
	s_and_saveexec_b64 s[16:17], vcc
	s_cbranch_execz .LBB1669_334
.LBB1669_333:                           ;   in Loop: Header=BB1669_326 Depth=2
	v_mov_b32_e32 v5, s21
	s_waitcnt vmcnt(0)
	v_add_co_u32_e32 v8, vcc, s20, v0
	v_addc_co_u32_e32 v9, vcc, 0, v5, vcc
	global_load_ubyte v5, v[8:9], off offset:768
.LBB1669_334:                           ;   in Loop: Header=BB1669_326 Depth=2
	s_or_b64 exec, exec, s[16:17]
	s_mov_b32 s21, s18
	s_waitcnt vmcnt(0)
	v_mov_b32_e32 v8, v3
	v_mov_b32_e32 v9, v7
	v_mov_b32_e32 v10, v6
	v_mov_b32_e32 v11, v5
.LBB1669_335:                           ;   in Loop: Header=BB1669_326 Depth=2
	s_waitcnt vmcnt(3)
	v_mov_b32_e32 v5, v11
	s_waitcnt vmcnt(2)
	v_mov_b32_e32 v6, v10
	;; [unrolled: 2-line block ×4, first 2 shown]
	v_cmp_gt_u32_e32 vcc, s21, v0
	s_and_saveexec_b64 s[16:17], vcc
	s_cbranch_execnz .LBB1669_339
; %bb.336:                              ;   in Loop: Header=BB1669_326 Depth=2
	s_or_b64 exec, exec, s[16:17]
	v_cmp_gt_u32_e32 vcc, s21, v19
	s_and_saveexec_b64 s[16:17], vcc
	s_cbranch_execnz .LBB1669_340
.LBB1669_337:                           ;   in Loop: Header=BB1669_326 Depth=2
	s_or_b64 exec, exec, s[16:17]
	v_cmp_gt_u32_e32 vcc, s21, v20
	s_and_saveexec_b64 s[16:17], vcc
	s_cbranch_execnz .LBB1669_341
.LBB1669_338:                           ;   in Loop: Header=BB1669_326 Depth=2
	s_or_b64 exec, exec, s[16:17]
	v_cmp_gt_u32_e32 vcc, s21, v21
	s_and_saveexec_b64 s[16:17], vcc
	s_cbranch_execz .LBB1669_325
	s_branch .LBB1669_342
.LBB1669_339:                           ;   in Loop: Header=BB1669_326 Depth=2
	v_and_b32_e32 v8, 1, v3
	v_lshrrev_b32_e32 v8, s73, v8
	v_and_b32_e32 v8, s59, v8
	v_lshl_or_b32 v8, v8, 4, v24
	ds_add_u32 v8, v52
	s_or_b64 exec, exec, s[16:17]
	v_cmp_gt_u32_e32 vcc, s21, v19
	s_and_saveexec_b64 s[16:17], vcc
	s_cbranch_execz .LBB1669_337
.LBB1669_340:                           ;   in Loop: Header=BB1669_326 Depth=2
	v_and_b32_e32 v8, 1, v7
	v_lshrrev_b32_e32 v8, s73, v8
	v_and_b32_e32 v8, s59, v8
	v_lshl_or_b32 v8, v8, 4, v24
	ds_add_u32 v8, v52
	s_or_b64 exec, exec, s[16:17]
	v_cmp_gt_u32_e32 vcc, s21, v20
	s_and_saveexec_b64 s[16:17], vcc
	s_cbranch_execz .LBB1669_338
.LBB1669_341:                           ;   in Loop: Header=BB1669_326 Depth=2
	v_and_b32_e32 v8, 1, v6
	v_lshrrev_b32_e32 v8, s73, v8
	v_and_b32_e32 v8, s59, v8
	v_lshl_or_b32 v8, v8, 4, v24
	ds_add_u32 v8, v52
	s_or_b64 exec, exec, s[16:17]
	v_cmp_gt_u32_e32 vcc, s21, v21
	s_and_saveexec_b64 s[16:17], vcc
	s_cbranch_execz .LBB1669_325
.LBB1669_342:                           ;   in Loop: Header=BB1669_326 Depth=2
	v_and_b32_e32 v8, 1, v5
	v_lshrrev_b32_e32 v8, s73, v8
	v_and_b32_e32 v8, s59, v8
	v_lshl_or_b32 v8, v8, 4, v24
	ds_add_u32 v8, v52
	s_branch .LBB1669_325
.LBB1669_343:                           ;   in Loop: Header=BB1669_326 Depth=2
	v_mov_b32_e32 v3, s21
	s_waitcnt vmcnt(0)
	v_add_co_u32_e32 v8, vcc, s20, v0
	v_addc_co_u32_e32 v9, vcc, 0, v3, vcc
	global_load_ubyte v3, v[8:9], off
	s_or_b64 exec, exec, s[16:17]
	v_cmp_gt_u32_e32 vcc, s18, v19
	s_and_saveexec_b64 s[16:17], vcc
	s_cbranch_execz .LBB1669_331
.LBB1669_344:                           ;   in Loop: Header=BB1669_326 Depth=2
	s_waitcnt vmcnt(0)
	v_mov_b32_e32 v8, s21
	v_add_co_u32_e32 v7, vcc, s20, v0
	v_addc_co_u32_e32 v8, vcc, 0, v8, vcc
	global_load_ubyte v7, v[7:8], off offset:256
	s_or_b64 exec, exec, s[16:17]
	v_cmp_gt_u32_e32 vcc, s18, v20
	s_and_saveexec_b64 s[16:17], vcc
	s_cbranch_execz .LBB1669_332
.LBB1669_345:                           ;   in Loop: Header=BB1669_326 Depth=2
	v_mov_b32_e32 v6, s21
	s_waitcnt vmcnt(0)
	v_add_co_u32_e32 v8, vcc, s20, v0
	v_addc_co_u32_e32 v9, vcc, 0, v6, vcc
	global_load_ubyte v6, v[8:9], off offset:512
	s_or_b64 exec, exec, s[16:17]
	v_cmp_gt_u32_e32 vcc, s18, v21
	s_and_saveexec_b64 s[16:17], vcc
	s_cbranch_execnz .LBB1669_333
	s_branch .LBB1669_334
.LBB1669_346:                           ;   in Loop: Header=BB1669_20 Depth=1
	v_mov_b32_e32 v3, 0
	s_waitcnt lgkmcnt(0)
	s_barrier
	s_and_saveexec_b64 s[16:17], s[4:5]
	s_cbranch_execz .LBB1669_348
; %bb.347:                              ;   in Loop: Header=BB1669_20 Depth=1
	ds_read2_b64 v[5:8], v25 offset1:1
	s_waitcnt lgkmcnt(0)
	v_add_u32_e32 v3, v6, v5
	v_add3_u32 v3, v3, v7, v8
.LBB1669_348:                           ;   in Loop: Header=BB1669_20 Depth=1
	s_or_b64 exec, exec, s[16:17]
	s_nop 0
	v_mov_b32_dpp v5, v3 row_shr:1 row_mask:0xf bank_mask:0xf
	v_cmp_eq_u32_e64 s[16:17], 0, v55
	v_cndmask_b32_e64 v5, v5, 0, s[16:17]
	v_add_u32_e32 v3, v5, v3
	v_cmp_lt_u32_e64 s[18:19], 1, v55
	v_cmp_lt_u32_e64 s[20:21], 3, v55
	v_mov_b32_dpp v5, v3 row_shr:2 row_mask:0xf bank_mask:0xf
	v_cndmask_b32_e64 v5, 0, v5, s[18:19]
	v_add_u32_e32 v3, v3, v5
	v_cmp_lt_u32_e64 s[22:23], 7, v55
	v_cmp_lt_u32_e64 s[26:27], 31, v44
	v_mov_b32_dpp v5, v3 row_shr:4 row_mask:0xf bank_mask:0xf
	v_cndmask_b32_e64 v5, 0, v5, s[20:21]
	v_add_u32_e32 v3, v3, v5
	v_cmp_eq_u32_e64 s[24:25], 0, v57
	s_nop 0
	v_mov_b32_dpp v5, v3 row_shr:8 row_mask:0xf bank_mask:0xf
	v_cndmask_b32_e64 v5, 0, v5, s[22:23]
	v_add_u32_e32 v3, v3, v5
	s_nop 1
	v_mov_b32_dpp v5, v3 row_bcast:15 row_mask:0xf bank_mask:0xf
	v_and_b32_e32 v5, v56, v5
	v_add_u32_e32 v3, v3, v5
	s_nop 1
	v_mov_b32_dpp v5, v3 row_bcast:31 row_mask:0xf bank_mask:0xf
	v_cndmask_b32_e64 v5, 0, v5, s[26:27]
	v_add_u32_e32 v3, v3, v5
	s_and_saveexec_b64 s[28:29], s[6:7]
; %bb.349:                              ;   in Loop: Header=BB1669_20 Depth=1
	ds_write_b32 v48, v3
; %bb.350:                              ;   in Loop: Header=BB1669_20 Depth=1
	s_or_b64 exec, exec, s[28:29]
	s_waitcnt lgkmcnt(0)
	s_barrier
	s_and_saveexec_b64 s[28:29], s[8:9]
	s_cbranch_execz .LBB1669_352
; %bb.351:                              ;   in Loop: Header=BB1669_20 Depth=1
	ds_read_b32 v5, v49
	v_cmp_ne_u32_e32 vcc, 0, v58
	s_waitcnt lgkmcnt(0)
	v_mov_b32_dpp v6, v5 row_shr:1 row_mask:0xf bank_mask:0xf
	v_cndmask_b32_e32 v6, 0, v6, vcc
	v_add_u32_e32 v5, v6, v5
	v_cmp_lt_u32_e32 vcc, 1, v58
	s_nop 0
	v_mov_b32_dpp v6, v5 row_shr:2 row_mask:0xf bank_mask:0xf
	v_cndmask_b32_e32 v6, 0, v6, vcc
	v_add_u32_e32 v5, v5, v6
	ds_write_b32 v49, v5
.LBB1669_352:                           ;   in Loop: Header=BB1669_20 Depth=1
	s_or_b64 exec, exec, s[28:29]
	v_mov_b32_e32 v5, 0
	s_waitcnt lgkmcnt(0)
	s_barrier
	s_and_saveexec_b64 s[28:29], s[10:11]
; %bb.353:                              ;   in Loop: Header=BB1669_20 Depth=1
	ds_read_b32 v5, v50
; %bb.354:                              ;   in Loop: Header=BB1669_20 Depth=1
	s_or_b64 exec, exec, s[28:29]
	v_subrev_co_u32_e64 v6, s[28:29], 1, v44
	v_cmp_lt_i32_e32 vcc, v6, v59
	v_cndmask_b32_e32 v6, v6, v44, vcc
	s_waitcnt lgkmcnt(0)
	v_add_u32_e32 v3, v5, v3
	v_lshlrev_b32_e32 v64, 2, v6
	ds_bpermute_b32 v3, v64, v3
	s_waitcnt lgkmcnt(0)
	s_barrier
	s_and_saveexec_b64 s[30:31], s[4:5]
; %bb.355:                              ;   in Loop: Header=BB1669_20 Depth=1
	v_cndmask_b32_e64 v3, v3, v5, s[28:29]
	v_add_u32_e32 v3, s49, v3
	ds_write_b32 v18, v3
; %bb.356:                              ;   in Loop: Header=BB1669_20 Depth=1
	s_or_b64 exec, exec, s[30:31]
	s_load_dwordx2 s[30:31], s[44:45], 0x0
	v_add_co_u32_e32 v65, vcc, v40, v60
	v_addc_co_u32_e32 v66, vcc, 0, v41, vcc
	s_waitcnt lgkmcnt(0)
	s_cmp_lt_u32 s33, s31
	s_cselect_b32 s31, 14, 20
	s_add_u32 s34, s44, s31
	s_addc_u32 s35, s45, 0
	s_cmp_lt_u32 s48, s30
	s_cselect_b32 s30, 12, 18
	s_add_u32 s30, s44, s30
	global_load_ushort v3, v4, s[34:35]
	s_addc_u32 s31, s45, 0
	global_load_ushort v5, v4, s[30:31]
	v_add_co_u32_e32 v67, vcc, v42, v45
	v_cmp_eq_u32_e64 s[30:31], 0, v58
	v_cmp_lt_u32_e64 s[34:35], 1, v58
	v_addc_co_u32_e32 v68, vcc, 0, v43, vcc
	s_mov_b32 s60, s75
	s_mov_b32 s46, s49
                                        ; implicit-def: $vgpr7_vgpr8
                                        ; implicit-def: $vgpr9_vgpr10
                                        ; implicit-def: $vgpr11_vgpr12
                                        ; implicit-def: $vgpr69
                                        ; implicit-def: $vgpr70
                                        ; implicit-def: $vgpr72
                                        ; implicit-def: $vgpr73
	s_waitcnt vmcnt(1)
	v_mad_u32_u24 v3, v2, v3, v1
	s_waitcnt vmcnt(0)
	v_mad_u64_u32 v[13:14], s[36:37], v3, v5, v[0:1]
                                        ; implicit-def: $vgpr5_vgpr6
	v_lshrrev_b32_e32 v3, 4, v13
	v_and_b32_e32 v71, 0xffffffc, v3
	s_branch .LBB1669_358
.LBB1669_357:                           ;   in Loop: Header=BB1669_358 Depth=2
	s_or_b64 exec, exec, s[36:37]
	s_addk_i32 s60, 0xfc00
	s_cmp_lt_u32 s61, s63
	s_mov_b32 s46, s61
	s_cbranch_scc0 .LBB1669_18
.LBB1669_358:                           ;   Parent Loop BB1669_20 Depth=1
                                        ; =>  This Inner Loop Header: Depth=2
	s_add_i32 s61, s46, 0x400
	s_cmp_gt_u32 s61, s63
	s_cbranch_scc1 .LBB1669_360
; %bb.359:                              ;   in Loop: Header=BB1669_358 Depth=2
	v_add_co_u32_e32 v13, vcc, s46, v67
	v_addc_co_u32_e32 v14, vcc, 0, v68, vcc
	global_load_ubyte v17, v[13:14], off
	global_load_ubyte v75, v[13:14], off offset:64
	global_load_ubyte v76, v[13:14], off offset:128
	s_mov_b64 s[36:37], -1
	s_movk_i32 s40, 0x400
	s_cbranch_execz .LBB1669_361
	s_branch .LBB1669_368
.LBB1669_360:                           ;   in Loop: Header=BB1669_358 Depth=2
	s_mov_b64 s[36:37], 0
                                        ; implicit-def: $vgpr17
                                        ; implicit-def: $vgpr75
                                        ; implicit-def: $vgpr76
	s_movk_i32 s40, 0x400
.LBB1669_361:                           ;   in Loop: Header=BB1669_358 Depth=2
	v_add_co_u32_e32 v13, vcc, s46, v67
	v_addc_co_u32_e32 v14, vcc, 0, v68, vcc
	v_cmp_gt_u32_e32 vcc, s60, v46
	s_waitcnt vmcnt(1)
	v_mov_b32_e32 v75, 1
	v_mov_b32_e32 v17, 1
	s_and_saveexec_b64 s[36:37], vcc
	s_cbranch_execz .LBB1669_363
; %bb.362:                              ;   in Loop: Header=BB1669_358 Depth=2
	global_load_ubyte v17, v[13:14], off
.LBB1669_363:                           ;   in Loop: Header=BB1669_358 Depth=2
	s_or_b64 exec, exec, s[36:37]
	v_cmp_gt_u32_e32 vcc, s60, v61
	s_and_saveexec_b64 s[36:37], vcc
	s_cbranch_execz .LBB1669_365
; %bb.364:                              ;   in Loop: Header=BB1669_358 Depth=2
	global_load_ubyte v75, v[13:14], off offset:64
.LBB1669_365:                           ;   in Loop: Header=BB1669_358 Depth=2
	s_or_b64 exec, exec, s[36:37]
	v_cmp_gt_u32_e32 vcc, s60, v62
	s_waitcnt vmcnt(0)
	v_mov_b32_e32 v76, 1
	s_and_saveexec_b64 s[36:37], vcc
	s_cbranch_execz .LBB1669_367
; %bb.366:                              ;   in Loop: Header=BB1669_358 Depth=2
	global_load_ubyte v76, v[13:14], off offset:128
.LBB1669_367:                           ;   in Loop: Header=BB1669_358 Depth=2
	s_or_b64 exec, exec, s[36:37]
	s_sub_i32 s40, s63, s46
	v_cmp_gt_u32_e64 s[36:37], s60, v63
.LBB1669_368:                           ;   in Loop: Header=BB1669_358 Depth=2
	v_mov_b32_e32 v78, 1
	v_mov_b32_e32 v74, s60
	s_and_saveexec_b64 s[38:39], s[36:37]
	s_cbranch_execz .LBB1669_370
; %bb.369:                              ;   in Loop: Header=BB1669_358 Depth=2
	v_mov_b32_e32 v3, s47
	v_add_co_u32_e32 v13, vcc, s46, v67
	v_addc_co_u32_e32 v14, vcc, v68, v3, vcc
	global_load_ubyte v78, v[13:14], off offset:192
	v_mov_b32_e32 v74, s40
.LBB1669_370:                           ;   in Loop: Header=BB1669_358 Depth=2
	s_or_b64 exec, exec, s[38:39]
	s_waitcnt vmcnt(2)
	v_lshrrev_b32_sdwa v3, s73, v17 dst_sel:DWORD dst_unused:UNUSED_PAD src0_sel:DWORD src1_sel:BYTE_0
	v_and_b32_e32 v3, s59, v3
	v_mul_u32_u24_e32 v15, 20, v3
	v_cmp_ne_u32_e32 vcc, 0, v3
	v_add_co_u32_e64 v3, s[36:37], -1, v3
	v_addc_co_u32_e64 v13, s[36:37], 0, -1, s[36:37]
	v_xor_b32_e32 v13, vcc_hi, v13
	v_xor_b32_e32 v3, vcc_lo, v3
	v_and_b32_e32 v14, exec_hi, v13
	v_and_b32_e32 v13, exec_lo, v3
	v_mbcnt_lo_u32_b32 v3, v13, 0
	v_mbcnt_hi_u32_b32 v3, v14, v3
	v_cmp_ne_u64_e32 vcc, 0, v[13:14]
	v_cmp_eq_u32_e64 s[36:37], 0, v3
	s_and_b64 s[38:39], vcc, s[36:37]
	v_add_u32_e32 v77, v71, v15
	ds_write2_b32 v53, v4, v4 offset1:1
	ds_write2_b32 v54, v4, v4 offset1:1
	ds_write_b32 v27, v4 offset:1056
	s_waitcnt vmcnt(0) lgkmcnt(0)
	s_barrier
	; wave barrier
	s_and_saveexec_b64 s[36:37], s[38:39]
; %bb.371:                              ;   in Loop: Header=BB1669_358 Depth=2
	v_bcnt_u32_b32 v13, v13, 0
	v_bcnt_u32_b32 v13, v14, v13
	ds_write_b32 v77, v13 offset:1040
; %bb.372:                              ;   in Loop: Header=BB1669_358 Depth=2
	s_or_b64 exec, exec, s[36:37]
	v_lshrrev_b32_sdwa v13, s73, v75 dst_sel:DWORD dst_unused:UNUSED_PAD src0_sel:DWORD src1_sel:BYTE_0
	v_and_b32_e32 v13, s59, v13
	v_mul_u32_u24_e32 v15, 20, v13
	v_mad_u32_u24 v14, v13, 20, v71
	v_cmp_ne_u32_e32 vcc, 0, v13
	v_add_co_u32_e64 v13, s[36:37], -1, v13
	; wave barrier
	ds_read_b32 v79, v14 offset:1040
	v_addc_co_u32_e64 v14, s[36:37], 0, -1, s[36:37]
	v_xor_b32_e32 v13, vcc_lo, v13
	v_xor_b32_e32 v14, vcc_hi, v14
	v_and_b32_e32 v13, exec_lo, v13
	v_and_b32_e32 v14, exec_hi, v14
	v_mbcnt_lo_u32_b32 v16, v13, 0
	v_mbcnt_hi_u32_b32 v80, v14, v16
	v_cmp_ne_u64_e32 vcc, 0, v[13:14]
	v_cmp_eq_u32_e64 s[36:37], 0, v80
	s_and_b64 s[38:39], vcc, s[36:37]
	v_add_u32_e32 v82, v71, v15
	; wave barrier
	s_and_saveexec_b64 s[36:37], s[38:39]
	s_cbranch_execz .LBB1669_374
; %bb.373:                              ;   in Loop: Header=BB1669_358 Depth=2
	v_bcnt_u32_b32 v13, v13, 0
	v_bcnt_u32_b32 v13, v14, v13
	s_waitcnt lgkmcnt(0)
	v_add_u32_e32 v13, v79, v13
	ds_write_b32 v82, v13 offset:1040
.LBB1669_374:                           ;   in Loop: Header=BB1669_358 Depth=2
	s_or_b64 exec, exec, s[36:37]
	v_lshrrev_b32_sdwa v13, s73, v76 dst_sel:DWORD dst_unused:UNUSED_PAD src0_sel:DWORD src1_sel:BYTE_0
	v_and_b32_e32 v13, s59, v13
	v_mul_u32_u24_e32 v15, 20, v13
	v_mad_u32_u24 v14, v13, 20, v71
	v_cmp_ne_u32_e32 vcc, 0, v13
	v_add_co_u32_e64 v13, s[36:37], -1, v13
	; wave barrier
	ds_read_b32 v81, v14 offset:1040
	v_addc_co_u32_e64 v14, s[36:37], 0, -1, s[36:37]
	v_xor_b32_e32 v13, vcc_lo, v13
	v_xor_b32_e32 v14, vcc_hi, v14
	v_and_b32_e32 v13, exec_lo, v13
	v_and_b32_e32 v14, exec_hi, v14
	v_mbcnt_lo_u32_b32 v16, v13, 0
	v_mbcnt_hi_u32_b32 v83, v14, v16
	v_cmp_ne_u64_e32 vcc, 0, v[13:14]
	v_cmp_eq_u32_e64 s[36:37], 0, v83
	s_and_b64 s[38:39], vcc, s[36:37]
	v_add_u32_e32 v85, v71, v15
	; wave barrier
	s_and_saveexec_b64 s[36:37], s[38:39]
	s_cbranch_execz .LBB1669_376
; %bb.375:                              ;   in Loop: Header=BB1669_358 Depth=2
	v_bcnt_u32_b32 v13, v13, 0
	v_bcnt_u32_b32 v13, v14, v13
	s_waitcnt lgkmcnt(0)
	v_add_u32_e32 v13, v81, v13
	ds_write_b32 v85, v13 offset:1040
.LBB1669_376:                           ;   in Loop: Header=BB1669_358 Depth=2
	;; [unrolled: 30-line block ×3, first 2 shown]
	s_or_b64 exec, exec, s[36:37]
	; wave barrier
	s_waitcnt lgkmcnt(0)
	s_barrier
	ds_read2_b32 v[15:16], v53 offset1:1
	ds_read2_b32 v[13:14], v54 offset1:1
	ds_read_b32 v88, v27 offset:1056
	s_waitcnt lgkmcnt(1)
	v_add3_u32 v89, v16, v15, v13
	s_waitcnt lgkmcnt(0)
	v_add3_u32 v88, v89, v14, v88
	s_nop 1
	v_mov_b32_dpp v89, v88 row_shr:1 row_mask:0xf bank_mask:0xf
	v_cndmask_b32_e64 v89, v89, 0, s[16:17]
	v_add_u32_e32 v88, v89, v88
	s_nop 1
	v_mov_b32_dpp v89, v88 row_shr:2 row_mask:0xf bank_mask:0xf
	v_cndmask_b32_e64 v89, 0, v89, s[18:19]
	v_add_u32_e32 v88, v88, v89
	;; [unrolled: 4-line block ×4, first 2 shown]
	s_nop 1
	v_mov_b32_dpp v89, v88 row_bcast:15 row_mask:0xf bank_mask:0xf
	v_cndmask_b32_e64 v89, v89, 0, s[24:25]
	v_add_u32_e32 v88, v88, v89
	s_nop 1
	v_mov_b32_dpp v89, v88 row_bcast:31 row_mask:0xf bank_mask:0xf
	v_cndmask_b32_e64 v89, 0, v89, s[26:27]
	v_add_u32_e32 v88, v88, v89
	s_and_saveexec_b64 s[36:37], s[6:7]
; %bb.379:                              ;   in Loop: Header=BB1669_358 Depth=2
	ds_write_b32 v26, v88 offset:1024
; %bb.380:                              ;   in Loop: Header=BB1669_358 Depth=2
	s_or_b64 exec, exec, s[36:37]
	s_waitcnt lgkmcnt(0)
	s_barrier
	s_and_saveexec_b64 s[36:37], s[8:9]
	s_cbranch_execz .LBB1669_382
; %bb.381:                              ;   in Loop: Header=BB1669_358 Depth=2
	ds_read_b32 v89, v47 offset:1024
	s_waitcnt lgkmcnt(0)
	s_nop 0
	v_mov_b32_dpp v90, v89 row_shr:1 row_mask:0xf bank_mask:0xf
	v_cndmask_b32_e64 v90, v90, 0, s[30:31]
	v_add_u32_e32 v89, v90, v89
	s_nop 1
	v_mov_b32_dpp v90, v89 row_shr:2 row_mask:0xf bank_mask:0xf
	v_cndmask_b32_e64 v90, 0, v90, s[34:35]
	v_add_u32_e32 v89, v89, v90
	ds_write_b32 v47, v89 offset:1024
.LBB1669_382:                           ;   in Loop: Header=BB1669_358 Depth=2
	s_or_b64 exec, exec, s[36:37]
	v_mov_b32_e32 v89, 0
	s_waitcnt lgkmcnt(0)
	s_barrier
	s_and_saveexec_b64 s[36:37], s[10:11]
; %bb.383:                              ;   in Loop: Header=BB1669_358 Depth=2
	ds_read_b32 v89, v26 offset:1020
; %bb.384:                              ;   in Loop: Header=BB1669_358 Depth=2
	s_or_b64 exec, exec, s[36:37]
	s_waitcnt lgkmcnt(0)
	v_add_u32_e32 v88, v89, v88
	ds_bpermute_b32 v88, v64, v88
	s_waitcnt lgkmcnt(0)
	v_cndmask_b32_e64 v88, v88, v89, s[28:29]
	v_cndmask_b32_e64 v88, v88, 0, s[12:13]
	v_add_u32_e32 v15, v88, v15
	v_add_u32_e32 v16, v15, v16
	;; [unrolled: 1-line block ×4, first 2 shown]
	ds_write2_b32 v53, v88, v15 offset1:1
	ds_write2_b32 v54, v16, v13 offset1:1
	ds_write_b32 v27, v14 offset:1056
	s_waitcnt lgkmcnt(0)
	s_barrier
	ds_read_b32 v13, v77 offset:1040
	ds_read_b32 v14, v82 offset:1040
	;; [unrolled: 1-line block ×5, first 2 shown]
	v_mov_b32_e32 v77, 0x400
	s_and_saveexec_b64 s[36:37], s[14:15]
; %bb.385:                              ;   in Loop: Header=BB1669_358 Depth=2
	ds_read_b32 v77, v27 offset:1060
; %bb.386:                              ;   in Loop: Header=BB1669_358 Depth=2
	s_or_b64 exec, exec, s[36:37]
	s_waitcnt lgkmcnt(0)
	s_barrier
	s_and_saveexec_b64 s[36:37], s[4:5]
	s_cbranch_execz .LBB1669_388
; %bb.387:                              ;   in Loop: Header=BB1669_358 Depth=2
	ds_read_b32 v85, v18
	s_waitcnt lgkmcnt(0)
	v_sub_u32_e32 v15, v85, v15
	ds_write_b32 v18, v15
.LBB1669_388:                           ;   in Loop: Header=BB1669_358 Depth=2
	s_or_b64 exec, exec, s[36:37]
	v_add_u32_e32 v15, v13, v3
	v_add3_u32 v14, v80, v79, v14
	v_add3_u32 v13, v83, v81, v16
	;; [unrolled: 1-line block ×3, first 2 shown]
	v_cmp_lt_u32_e64 s[40:41], v0, v74
	ds_write_b8 v15, v17 offset:1024
	ds_write_b8 v14, v75 offset:1024
	;; [unrolled: 1-line block ×4, first 2 shown]
	s_waitcnt lgkmcnt(0)
	s_barrier
	s_and_saveexec_b64 s[36:37], s[40:41]
	s_cbranch_execnz .LBB1669_409
; %bb.389:                              ;   in Loop: Header=BB1669_358 Depth=2
	s_or_b64 exec, exec, s[36:37]
	v_cmp_lt_u32_e64 s[38:39], v19, v74
	s_and_saveexec_b64 s[36:37], s[38:39]
	s_cbranch_execnz .LBB1669_410
.LBB1669_390:                           ;   in Loop: Header=BB1669_358 Depth=2
	s_or_b64 exec, exec, s[36:37]
	v_cmp_lt_u32_e64 s[36:37], v20, v74
	s_and_saveexec_b64 s[42:43], s[36:37]
	s_cbranch_execnz .LBB1669_411
.LBB1669_391:                           ;   in Loop: Header=BB1669_358 Depth=2
	s_or_b64 exec, exec, s[42:43]
	v_cmp_lt_u32_e32 vcc, v21, v74
	s_and_saveexec_b64 s[42:43], vcc
	s_cbranch_execz .LBB1669_393
.LBB1669_392:                           ;   in Loop: Header=BB1669_358 Depth=2
	ds_read_u8 v16, v0 offset:1792
	s_waitcnt lgkmcnt(0)
	v_and_b32_e32 v17, 1, v16
	v_lshrrev_b32_e32 v17, s73, v17
	v_and_b32_e32 v17, s59, v17
	v_lshlrev_b32_e32 v17, 2, v17
	ds_read_b32 v17, v17
	s_waitcnt lgkmcnt(0)
	v_add_u32_e32 v17, v17, v21
	global_store_byte v17, v16, s[68:69]
.LBB1669_393:                           ;   in Loop: Header=BB1669_358 Depth=2
	s_or_b64 exec, exec, s[42:43]
	s_lshl_b64 s[42:43], s[46:47], 3
	v_mov_b32_e32 v17, s43
	v_add_co_u32_e64 v16, s[42:43], s42, v65
	v_addc_co_u32_e64 v17, s[42:43], v66, v17, s[42:43]
	v_cmp_lt_u32_e64 s[42:43], v46, v74
	s_and_saveexec_b64 s[56:57], s[42:43]
	s_xor_b64 s[42:43], exec, s[56:57]
	s_cbranch_execnz .LBB1669_412
; %bb.394:                              ;   in Loop: Header=BB1669_358 Depth=2
	s_or_b64 exec, exec, s[42:43]
	v_cmp_lt_u32_e64 s[42:43], v61, v74
	s_and_saveexec_b64 s[56:57], s[42:43]
	s_cbranch_execnz .LBB1669_413
.LBB1669_395:                           ;   in Loop: Header=BB1669_358 Depth=2
	s_or_b64 exec, exec, s[56:57]
	v_cmp_lt_u32_e64 s[42:43], v62, v74
	s_and_saveexec_b64 s[56:57], s[42:43]
	s_cbranch_execnz .LBB1669_414
.LBB1669_396:                           ;   in Loop: Header=BB1669_358 Depth=2
	s_or_b64 exec, exec, s[56:57]
	v_cmp_lt_u32_e64 s[42:43], v63, v74
	s_and_saveexec_b64 s[56:57], s[42:43]
	s_cbranch_execnz .LBB1669_415
.LBB1669_397:                           ;   in Loop: Header=BB1669_358 Depth=2
	s_or_b64 exec, exec, s[56:57]
	s_and_saveexec_b64 s[42:43], s[40:41]
	s_cbranch_execnz .LBB1669_416
.LBB1669_398:                           ;   in Loop: Header=BB1669_358 Depth=2
	s_or_b64 exec, exec, s[42:43]
	s_and_saveexec_b64 s[42:43], s[38:39]
	s_cbranch_execnz .LBB1669_417
.LBB1669_399:                           ;   in Loop: Header=BB1669_358 Depth=2
	s_or_b64 exec, exec, s[42:43]
	s_and_saveexec_b64 s[42:43], s[36:37]
	s_cbranch_execnz .LBB1669_418
.LBB1669_400:                           ;   in Loop: Header=BB1669_358 Depth=2
	s_or_b64 exec, exec, s[42:43]
	s_and_saveexec_b64 s[42:43], vcc
	s_cbranch_execz .LBB1669_402
.LBB1669_401:                           ;   in Loop: Header=BB1669_358 Depth=2
	ds_read_u8 v16, v0 offset:1792
	s_waitcnt lgkmcnt(0)
	v_lshrrev_b32_e32 v16, s73, v16
	v_and_b32_e32 v69, s59, v16
.LBB1669_402:                           ;   in Loop: Header=BB1669_358 Depth=2
	s_or_b64 exec, exec, s[42:43]
	v_mad_u64_u32 v[15:16], s[42:43], v15, 7, v[15:16]
	v_mad_u64_u32 v[74:75], s[42:43], v3, 7, v[3:4]
	;; [unrolled: 1-line block ×4, first 2 shown]
	s_waitcnt vmcnt(0)
	s_barrier
	ds_write_b64 v15, v[11:12] offset:1024
	ds_write_b64 v16, v[9:10] offset:1024
	;; [unrolled: 1-line block ×4, first 2 shown]
	v_add_u32_e32 v13, v0, v51
	s_waitcnt lgkmcnt(0)
	s_barrier
	s_and_saveexec_b64 s[42:43], s[40:41]
	s_cbranch_execnz .LBB1669_419
; %bb.403:                              ;   in Loop: Header=BB1669_358 Depth=2
	s_or_b64 exec, exec, s[42:43]
	s_and_saveexec_b64 s[40:41], s[38:39]
	s_cbranch_execnz .LBB1669_420
.LBB1669_404:                           ;   in Loop: Header=BB1669_358 Depth=2
	s_or_b64 exec, exec, s[40:41]
	s_and_saveexec_b64 s[38:39], s[36:37]
	s_cbranch_execnz .LBB1669_421
.LBB1669_405:                           ;   in Loop: Header=BB1669_358 Depth=2
	s_or_b64 exec, exec, s[38:39]
	s_and_saveexec_b64 s[36:37], vcc
	s_cbranch_execz .LBB1669_407
.LBB1669_406:                           ;   in Loop: Header=BB1669_358 Depth=2
	v_lshlrev_b32_e32 v3, 2, v69
	ds_read_b32 v3, v3
	ds_read_b64 v[13:14], v13 offset:7168
	v_mov_b32_e32 v17, s55
	s_waitcnt lgkmcnt(1)
	v_add_u32_e32 v3, v3, v21
	v_lshlrev_b64 v[15:16], 3, v[3:4]
	v_add_co_u32_e32 v15, vcc, s54, v15
	v_addc_co_u32_e32 v16, vcc, v17, v16, vcc
	s_waitcnt lgkmcnt(0)
	global_store_dwordx2 v[15:16], v[13:14], off
.LBB1669_407:                           ;   in Loop: Header=BB1669_358 Depth=2
	s_or_b64 exec, exec, s[36:37]
	s_waitcnt vmcnt(0)
	s_barrier
	s_and_saveexec_b64 s[36:37], s[4:5]
	s_cbranch_execz .LBB1669_357
; %bb.408:                              ;   in Loop: Header=BB1669_358 Depth=2
	ds_read_b32 v3, v18
	s_waitcnt lgkmcnt(0)
	v_add_u32_e32 v3, v3, v77
	ds_write_b32 v18, v3
	s_branch .LBB1669_357
.LBB1669_409:                           ;   in Loop: Header=BB1669_358 Depth=2
	ds_read_u8 v16, v0 offset:1024
	s_waitcnt lgkmcnt(0)
	v_and_b32_e32 v17, 1, v16
	v_lshrrev_b32_e32 v17, s73, v17
	v_and_b32_e32 v17, s59, v17
	v_lshlrev_b32_e32 v17, 2, v17
	ds_read_b32 v17, v17
	s_waitcnt lgkmcnt(0)
	v_add_u32_e32 v17, v17, v0
	global_store_byte v17, v16, s[68:69]
	s_or_b64 exec, exec, s[36:37]
	v_cmp_lt_u32_e64 s[38:39], v19, v74
	s_and_saveexec_b64 s[36:37], s[38:39]
	s_cbranch_execz .LBB1669_390
.LBB1669_410:                           ;   in Loop: Header=BB1669_358 Depth=2
	ds_read_u8 v16, v0 offset:1280
	s_waitcnt lgkmcnt(0)
	v_and_b32_e32 v17, 1, v16
	v_lshrrev_b32_e32 v17, s73, v17
	v_and_b32_e32 v17, s59, v17
	v_lshlrev_b32_e32 v17, 2, v17
	ds_read_b32 v17, v17
	s_waitcnt lgkmcnt(0)
	v_add_u32_e32 v17, v17, v19
	global_store_byte v17, v16, s[68:69]
	s_or_b64 exec, exec, s[36:37]
	v_cmp_lt_u32_e64 s[36:37], v20, v74
	s_and_saveexec_b64 s[42:43], s[36:37]
	s_cbranch_execz .LBB1669_391
.LBB1669_411:                           ;   in Loop: Header=BB1669_358 Depth=2
	ds_read_u8 v16, v0 offset:1536
	s_waitcnt lgkmcnt(0)
	v_and_b32_e32 v17, 1, v16
	v_lshrrev_b32_e32 v17, s73, v17
	v_and_b32_e32 v17, s59, v17
	v_lshlrev_b32_e32 v17, 2, v17
	ds_read_b32 v17, v17
	s_waitcnt lgkmcnt(0)
	v_add_u32_e32 v17, v17, v20
	global_store_byte v17, v16, s[68:69]
	s_or_b64 exec, exec, s[42:43]
	v_cmp_lt_u32_e32 vcc, v21, v74
	s_and_saveexec_b64 s[42:43], vcc
	s_cbranch_execnz .LBB1669_392
	s_branch .LBB1669_393
.LBB1669_412:                           ;   in Loop: Header=BB1669_358 Depth=2
	global_load_dwordx2 v[11:12], v[16:17], off
	s_or_b64 exec, exec, s[42:43]
	v_cmp_lt_u32_e64 s[42:43], v61, v74
	s_and_saveexec_b64 s[56:57], s[42:43]
	s_cbranch_execz .LBB1669_395
.LBB1669_413:                           ;   in Loop: Header=BB1669_358 Depth=2
	global_load_dwordx2 v[9:10], v[16:17], off offset:512
	s_or_b64 exec, exec, s[56:57]
	v_cmp_lt_u32_e64 s[42:43], v62, v74
	s_and_saveexec_b64 s[56:57], s[42:43]
	s_cbranch_execz .LBB1669_396
.LBB1669_414:                           ;   in Loop: Header=BB1669_358 Depth=2
	global_load_dwordx2 v[7:8], v[16:17], off offset:1024
	s_or_b64 exec, exec, s[56:57]
	v_cmp_lt_u32_e64 s[42:43], v63, v74
	s_and_saveexec_b64 s[56:57], s[42:43]
	s_cbranch_execz .LBB1669_397
.LBB1669_415:                           ;   in Loop: Header=BB1669_358 Depth=2
	global_load_dwordx2 v[5:6], v[16:17], off offset:1536
	s_or_b64 exec, exec, s[56:57]
	s_and_saveexec_b64 s[42:43], s[40:41]
	s_cbranch_execz .LBB1669_398
.LBB1669_416:                           ;   in Loop: Header=BB1669_358 Depth=2
	ds_read_u8 v16, v0 offset:1024
	s_waitcnt lgkmcnt(0)
	v_lshrrev_b32_e32 v16, s73, v16
	v_and_b32_e32 v73, s59, v16
	s_or_b64 exec, exec, s[42:43]
	s_and_saveexec_b64 s[42:43], s[38:39]
	s_cbranch_execz .LBB1669_399
.LBB1669_417:                           ;   in Loop: Header=BB1669_358 Depth=2
	ds_read_u8 v16, v0 offset:1280
	s_waitcnt lgkmcnt(0)
	v_lshrrev_b32_e32 v16, s73, v16
	v_and_b32_e32 v72, s59, v16
	s_or_b64 exec, exec, s[42:43]
	s_and_saveexec_b64 s[42:43], s[36:37]
	s_cbranch_execz .LBB1669_400
.LBB1669_418:                           ;   in Loop: Header=BB1669_358 Depth=2
	ds_read_u8 v16, v0 offset:1536
	s_waitcnt lgkmcnt(0)
	v_lshrrev_b32_e32 v16, s73, v16
	v_and_b32_e32 v70, s59, v16
	s_or_b64 exec, exec, s[42:43]
	s_and_saveexec_b64 s[42:43], vcc
	s_cbranch_execnz .LBB1669_401
	s_branch .LBB1669_402
.LBB1669_419:                           ;   in Loop: Header=BB1669_358 Depth=2
	v_lshlrev_b32_e32 v3, 2, v73
	ds_read_b32 v3, v3
	ds_read_b64 v[14:15], v13 offset:1024
	v_mov_b32_e32 v74, s55
	s_waitcnt lgkmcnt(1)
	v_add_u32_e32 v3, v3, v0
	v_lshlrev_b64 v[16:17], 3, v[3:4]
	v_add_co_u32_e64 v16, s[40:41], s54, v16
	v_addc_co_u32_e64 v17, s[40:41], v74, v17, s[40:41]
	s_waitcnt lgkmcnt(0)
	global_store_dwordx2 v[16:17], v[14:15], off
	s_or_b64 exec, exec, s[42:43]
	s_and_saveexec_b64 s[40:41], s[38:39]
	s_cbranch_execz .LBB1669_404
.LBB1669_420:                           ;   in Loop: Header=BB1669_358 Depth=2
	v_lshlrev_b32_e32 v3, 2, v72
	ds_read_b32 v3, v3
	ds_read_b64 v[14:15], v13 offset:3072
	v_mov_b32_e32 v74, s55
	s_waitcnt lgkmcnt(1)
	v_add_u32_e32 v3, v3, v19
	v_lshlrev_b64 v[16:17], 3, v[3:4]
	v_add_co_u32_e64 v16, s[38:39], s54, v16
	v_addc_co_u32_e64 v17, s[38:39], v74, v17, s[38:39]
	s_waitcnt lgkmcnt(0)
	global_store_dwordx2 v[16:17], v[14:15], off
	s_or_b64 exec, exec, s[40:41]
	s_and_saveexec_b64 s[38:39], s[36:37]
	s_cbranch_execz .LBB1669_405
.LBB1669_421:                           ;   in Loop: Header=BB1669_358 Depth=2
	v_lshlrev_b32_e32 v3, 2, v70
	ds_read_b32 v3, v3
	ds_read_b64 v[14:15], v13 offset:5120
	v_mov_b32_e32 v74, s55
	s_waitcnt lgkmcnt(1)
	v_add_u32_e32 v3, v3, v20
	v_lshlrev_b64 v[16:17], 3, v[3:4]
	v_add_co_u32_e64 v16, s[36:37], s54, v16
	v_addc_co_u32_e64 v17, s[36:37], v74, v17, s[36:37]
	s_waitcnt lgkmcnt(0)
	global_store_dwordx2 v[16:17], v[14:15], off
	s_or_b64 exec, exec, s[38:39]
	s_and_saveexec_b64 s[36:37], vcc
	s_cbranch_execnz .LBB1669_406
	s_branch .LBB1669_407
.LBB1669_422:
	s_endpgm
	.section	.rodata,"a",@progbits
	.p2align	6, 0x0
	.amdhsa_kernel _ZN7rocprim17ROCPRIM_400000_NS6detail17trampoline_kernelINS0_14default_configENS1_36segmented_radix_sort_config_selectorIblEEZNS1_25segmented_radix_sort_implIS3_Lb0EPKbPbPKlPlN2at6native12_GLOBAL__N_18offset_tEEE10hipError_tPvRmT1_PNSt15iterator_traitsISK_E10value_typeET2_T3_PNSL_ISQ_E10value_typeET4_jRbjT5_SW_jjP12ihipStream_tbEUlT_E2_NS1_11comp_targetILNS1_3genE2ELNS1_11target_archE906ELNS1_3gpuE6ELNS1_3repE0EEENS1_30default_config_static_selectorELNS0_4arch9wavefront6targetE1EEEvSK_
		.amdhsa_group_segment_fixed_size 9232
		.amdhsa_private_segment_fixed_size 12
		.amdhsa_kernarg_size 336
		.amdhsa_user_sgpr_count 6
		.amdhsa_user_sgpr_private_segment_buffer 1
		.amdhsa_user_sgpr_dispatch_ptr 0
		.amdhsa_user_sgpr_queue_ptr 0
		.amdhsa_user_sgpr_kernarg_segment_ptr 1
		.amdhsa_user_sgpr_dispatch_id 0
		.amdhsa_user_sgpr_flat_scratch_init 0
		.amdhsa_user_sgpr_private_segment_size 0
		.amdhsa_uses_dynamic_stack 0
		.amdhsa_system_sgpr_private_segment_wavefront_offset 1
		.amdhsa_system_sgpr_workgroup_id_x 1
		.amdhsa_system_sgpr_workgroup_id_y 1
		.amdhsa_system_sgpr_workgroup_id_z 0
		.amdhsa_system_sgpr_workgroup_info 0
		.amdhsa_system_vgpr_workitem_id 2
		.amdhsa_next_free_vgpr 97
		.amdhsa_next_free_sgpr 77
		.amdhsa_reserve_vcc 1
		.amdhsa_reserve_flat_scratch 0
		.amdhsa_float_round_mode_32 0
		.amdhsa_float_round_mode_16_64 0
		.amdhsa_float_denorm_mode_32 3
		.amdhsa_float_denorm_mode_16_64 3
		.amdhsa_dx10_clamp 1
		.amdhsa_ieee_mode 1
		.amdhsa_fp16_overflow 0
		.amdhsa_exception_fp_ieee_invalid_op 0
		.amdhsa_exception_fp_denorm_src 0
		.amdhsa_exception_fp_ieee_div_zero 0
		.amdhsa_exception_fp_ieee_overflow 0
		.amdhsa_exception_fp_ieee_underflow 0
		.amdhsa_exception_fp_ieee_inexact 0
		.amdhsa_exception_int_div_zero 0
	.end_amdhsa_kernel
	.section	.text._ZN7rocprim17ROCPRIM_400000_NS6detail17trampoline_kernelINS0_14default_configENS1_36segmented_radix_sort_config_selectorIblEEZNS1_25segmented_radix_sort_implIS3_Lb0EPKbPbPKlPlN2at6native12_GLOBAL__N_18offset_tEEE10hipError_tPvRmT1_PNSt15iterator_traitsISK_E10value_typeET2_T3_PNSL_ISQ_E10value_typeET4_jRbjT5_SW_jjP12ihipStream_tbEUlT_E2_NS1_11comp_targetILNS1_3genE2ELNS1_11target_archE906ELNS1_3gpuE6ELNS1_3repE0EEENS1_30default_config_static_selectorELNS0_4arch9wavefront6targetE1EEEvSK_,"axG",@progbits,_ZN7rocprim17ROCPRIM_400000_NS6detail17trampoline_kernelINS0_14default_configENS1_36segmented_radix_sort_config_selectorIblEEZNS1_25segmented_radix_sort_implIS3_Lb0EPKbPbPKlPlN2at6native12_GLOBAL__N_18offset_tEEE10hipError_tPvRmT1_PNSt15iterator_traitsISK_E10value_typeET2_T3_PNSL_ISQ_E10value_typeET4_jRbjT5_SW_jjP12ihipStream_tbEUlT_E2_NS1_11comp_targetILNS1_3genE2ELNS1_11target_archE906ELNS1_3gpuE6ELNS1_3repE0EEENS1_30default_config_static_selectorELNS0_4arch9wavefront6targetE1EEEvSK_,comdat
.Lfunc_end1669:
	.size	_ZN7rocprim17ROCPRIM_400000_NS6detail17trampoline_kernelINS0_14default_configENS1_36segmented_radix_sort_config_selectorIblEEZNS1_25segmented_radix_sort_implIS3_Lb0EPKbPbPKlPlN2at6native12_GLOBAL__N_18offset_tEEE10hipError_tPvRmT1_PNSt15iterator_traitsISK_E10value_typeET2_T3_PNSL_ISQ_E10value_typeET4_jRbjT5_SW_jjP12ihipStream_tbEUlT_E2_NS1_11comp_targetILNS1_3genE2ELNS1_11target_archE906ELNS1_3gpuE6ELNS1_3repE0EEENS1_30default_config_static_selectorELNS0_4arch9wavefront6targetE1EEEvSK_, .Lfunc_end1669-_ZN7rocprim17ROCPRIM_400000_NS6detail17trampoline_kernelINS0_14default_configENS1_36segmented_radix_sort_config_selectorIblEEZNS1_25segmented_radix_sort_implIS3_Lb0EPKbPbPKlPlN2at6native12_GLOBAL__N_18offset_tEEE10hipError_tPvRmT1_PNSt15iterator_traitsISK_E10value_typeET2_T3_PNSL_ISQ_E10value_typeET4_jRbjT5_SW_jjP12ihipStream_tbEUlT_E2_NS1_11comp_targetILNS1_3genE2ELNS1_11target_archE906ELNS1_3gpuE6ELNS1_3repE0EEENS1_30default_config_static_selectorELNS0_4arch9wavefront6targetE1EEEvSK_
                                        ; -- End function
	.set _ZN7rocprim17ROCPRIM_400000_NS6detail17trampoline_kernelINS0_14default_configENS1_36segmented_radix_sort_config_selectorIblEEZNS1_25segmented_radix_sort_implIS3_Lb0EPKbPbPKlPlN2at6native12_GLOBAL__N_18offset_tEEE10hipError_tPvRmT1_PNSt15iterator_traitsISK_E10value_typeET2_T3_PNSL_ISQ_E10value_typeET4_jRbjT5_SW_jjP12ihipStream_tbEUlT_E2_NS1_11comp_targetILNS1_3genE2ELNS1_11target_archE906ELNS1_3gpuE6ELNS1_3repE0EEENS1_30default_config_static_selectorELNS0_4arch9wavefront6targetE1EEEvSK_.num_vgpr, max(91, .L_ZN7rocprim17ROCPRIM_400000_NS6detail26segmented_warp_sort_helperINS1_20WarpSortHelperConfigILj8ELj4ELj256EEEblLi256ELb0EvE4sortIPKbPbPKlPlEEvT_T0_T1_T2_jjjjRNS5_12storage_typeE.num_vgpr, .L_ZN7rocprim17ROCPRIM_400000_NS6detail40segmented_radix_sort_single_block_helperIblLj256ELj4ELb0EE4sortIPKbPbPKlPlEEbT_T0_T1_T2_jjjjRNS3_12storage_typeE.num_vgpr)
	.set _ZN7rocprim17ROCPRIM_400000_NS6detail17trampoline_kernelINS0_14default_configENS1_36segmented_radix_sort_config_selectorIblEEZNS1_25segmented_radix_sort_implIS3_Lb0EPKbPbPKlPlN2at6native12_GLOBAL__N_18offset_tEEE10hipError_tPvRmT1_PNSt15iterator_traitsISK_E10value_typeET2_T3_PNSL_ISQ_E10value_typeET4_jRbjT5_SW_jjP12ihipStream_tbEUlT_E2_NS1_11comp_targetILNS1_3genE2ELNS1_11target_archE906ELNS1_3gpuE6ELNS1_3repE0EEENS1_30default_config_static_selectorELNS0_4arch9wavefront6targetE1EEEvSK_.num_agpr, max(0, .L_ZN7rocprim17ROCPRIM_400000_NS6detail26segmented_warp_sort_helperINS1_20WarpSortHelperConfigILj8ELj4ELj256EEEblLi256ELb0EvE4sortIPKbPbPKlPlEEvT_T0_T1_T2_jjjjRNS5_12storage_typeE.num_agpr, .L_ZN7rocprim17ROCPRIM_400000_NS6detail40segmented_radix_sort_single_block_helperIblLj256ELj4ELb0EE4sortIPKbPbPKlPlEEbT_T0_T1_T2_jjjjRNS3_12storage_typeE.num_agpr)
	.set _ZN7rocprim17ROCPRIM_400000_NS6detail17trampoline_kernelINS0_14default_configENS1_36segmented_radix_sort_config_selectorIblEEZNS1_25segmented_radix_sort_implIS3_Lb0EPKbPbPKlPlN2at6native12_GLOBAL__N_18offset_tEEE10hipError_tPvRmT1_PNSt15iterator_traitsISK_E10value_typeET2_T3_PNSL_ISQ_E10value_typeET4_jRbjT5_SW_jjP12ihipStream_tbEUlT_E2_NS1_11comp_targetILNS1_3genE2ELNS1_11target_archE906ELNS1_3gpuE6ELNS1_3repE0EEENS1_30default_config_static_selectorELNS0_4arch9wavefront6targetE1EEEvSK_.numbered_sgpr, max(76, .L_ZN7rocprim17ROCPRIM_400000_NS6detail26segmented_warp_sort_helperINS1_20WarpSortHelperConfigILj8ELj4ELj256EEEblLi256ELb0EvE4sortIPKbPbPKlPlEEvT_T0_T1_T2_jjjjRNS5_12storage_typeE.numbered_sgpr, .L_ZN7rocprim17ROCPRIM_400000_NS6detail40segmented_radix_sort_single_block_helperIblLj256ELj4ELb0EE4sortIPKbPbPKlPlEEbT_T0_T1_T2_jjjjRNS3_12storage_typeE.numbered_sgpr)
	.set _ZN7rocprim17ROCPRIM_400000_NS6detail17trampoline_kernelINS0_14default_configENS1_36segmented_radix_sort_config_selectorIblEEZNS1_25segmented_radix_sort_implIS3_Lb0EPKbPbPKlPlN2at6native12_GLOBAL__N_18offset_tEEE10hipError_tPvRmT1_PNSt15iterator_traitsISK_E10value_typeET2_T3_PNSL_ISQ_E10value_typeET4_jRbjT5_SW_jjP12ihipStream_tbEUlT_E2_NS1_11comp_targetILNS1_3genE2ELNS1_11target_archE906ELNS1_3gpuE6ELNS1_3repE0EEENS1_30default_config_static_selectorELNS0_4arch9wavefront6targetE1EEEvSK_.num_named_barrier, max(0, .L_ZN7rocprim17ROCPRIM_400000_NS6detail26segmented_warp_sort_helperINS1_20WarpSortHelperConfigILj8ELj4ELj256EEEblLi256ELb0EvE4sortIPKbPbPKlPlEEvT_T0_T1_T2_jjjjRNS5_12storage_typeE.num_named_barrier, .L_ZN7rocprim17ROCPRIM_400000_NS6detail40segmented_radix_sort_single_block_helperIblLj256ELj4ELb0EE4sortIPKbPbPKlPlEEbT_T0_T1_T2_jjjjRNS3_12storage_typeE.num_named_barrier)
	.set _ZN7rocprim17ROCPRIM_400000_NS6detail17trampoline_kernelINS0_14default_configENS1_36segmented_radix_sort_config_selectorIblEEZNS1_25segmented_radix_sort_implIS3_Lb0EPKbPbPKlPlN2at6native12_GLOBAL__N_18offset_tEEE10hipError_tPvRmT1_PNSt15iterator_traitsISK_E10value_typeET2_T3_PNSL_ISQ_E10value_typeET4_jRbjT5_SW_jjP12ihipStream_tbEUlT_E2_NS1_11comp_targetILNS1_3genE2ELNS1_11target_archE906ELNS1_3gpuE6ELNS1_3repE0EEENS1_30default_config_static_selectorELNS0_4arch9wavefront6targetE1EEEvSK_.private_seg_size, 0+max(.L_ZN7rocprim17ROCPRIM_400000_NS6detail26segmented_warp_sort_helperINS1_20WarpSortHelperConfigILj8ELj4ELj256EEEblLi256ELb0EvE4sortIPKbPbPKlPlEEvT_T0_T1_T2_jjjjRNS5_12storage_typeE.private_seg_size, .L_ZN7rocprim17ROCPRIM_400000_NS6detail40segmented_radix_sort_single_block_helperIblLj256ELj4ELb0EE4sortIPKbPbPKlPlEEbT_T0_T1_T2_jjjjRNS3_12storage_typeE.private_seg_size)
	.set _ZN7rocprim17ROCPRIM_400000_NS6detail17trampoline_kernelINS0_14default_configENS1_36segmented_radix_sort_config_selectorIblEEZNS1_25segmented_radix_sort_implIS3_Lb0EPKbPbPKlPlN2at6native12_GLOBAL__N_18offset_tEEE10hipError_tPvRmT1_PNSt15iterator_traitsISK_E10value_typeET2_T3_PNSL_ISQ_E10value_typeET4_jRbjT5_SW_jjP12ihipStream_tbEUlT_E2_NS1_11comp_targetILNS1_3genE2ELNS1_11target_archE906ELNS1_3gpuE6ELNS1_3repE0EEENS1_30default_config_static_selectorELNS0_4arch9wavefront6targetE1EEEvSK_.uses_vcc, or(1, .L_ZN7rocprim17ROCPRIM_400000_NS6detail26segmented_warp_sort_helperINS1_20WarpSortHelperConfigILj8ELj4ELj256EEEblLi256ELb0EvE4sortIPKbPbPKlPlEEvT_T0_T1_T2_jjjjRNS5_12storage_typeE.uses_vcc, .L_ZN7rocprim17ROCPRIM_400000_NS6detail40segmented_radix_sort_single_block_helperIblLj256ELj4ELb0EE4sortIPKbPbPKlPlEEbT_T0_T1_T2_jjjjRNS3_12storage_typeE.uses_vcc)
	.set _ZN7rocprim17ROCPRIM_400000_NS6detail17trampoline_kernelINS0_14default_configENS1_36segmented_radix_sort_config_selectorIblEEZNS1_25segmented_radix_sort_implIS3_Lb0EPKbPbPKlPlN2at6native12_GLOBAL__N_18offset_tEEE10hipError_tPvRmT1_PNSt15iterator_traitsISK_E10value_typeET2_T3_PNSL_ISQ_E10value_typeET4_jRbjT5_SW_jjP12ihipStream_tbEUlT_E2_NS1_11comp_targetILNS1_3genE2ELNS1_11target_archE906ELNS1_3gpuE6ELNS1_3repE0EEENS1_30default_config_static_selectorELNS0_4arch9wavefront6targetE1EEEvSK_.uses_flat_scratch, or(0, .L_ZN7rocprim17ROCPRIM_400000_NS6detail26segmented_warp_sort_helperINS1_20WarpSortHelperConfigILj8ELj4ELj256EEEblLi256ELb0EvE4sortIPKbPbPKlPlEEvT_T0_T1_T2_jjjjRNS5_12storage_typeE.uses_flat_scratch, .L_ZN7rocprim17ROCPRIM_400000_NS6detail40segmented_radix_sort_single_block_helperIblLj256ELj4ELb0EE4sortIPKbPbPKlPlEEbT_T0_T1_T2_jjjjRNS3_12storage_typeE.uses_flat_scratch)
	.set _ZN7rocprim17ROCPRIM_400000_NS6detail17trampoline_kernelINS0_14default_configENS1_36segmented_radix_sort_config_selectorIblEEZNS1_25segmented_radix_sort_implIS3_Lb0EPKbPbPKlPlN2at6native12_GLOBAL__N_18offset_tEEE10hipError_tPvRmT1_PNSt15iterator_traitsISK_E10value_typeET2_T3_PNSL_ISQ_E10value_typeET4_jRbjT5_SW_jjP12ihipStream_tbEUlT_E2_NS1_11comp_targetILNS1_3genE2ELNS1_11target_archE906ELNS1_3gpuE6ELNS1_3repE0EEENS1_30default_config_static_selectorELNS0_4arch9wavefront6targetE1EEEvSK_.has_dyn_sized_stack, or(0, .L_ZN7rocprim17ROCPRIM_400000_NS6detail26segmented_warp_sort_helperINS1_20WarpSortHelperConfigILj8ELj4ELj256EEEblLi256ELb0EvE4sortIPKbPbPKlPlEEvT_T0_T1_T2_jjjjRNS5_12storage_typeE.has_dyn_sized_stack, .L_ZN7rocprim17ROCPRIM_400000_NS6detail40segmented_radix_sort_single_block_helperIblLj256ELj4ELb0EE4sortIPKbPbPKlPlEEbT_T0_T1_T2_jjjjRNS3_12storage_typeE.has_dyn_sized_stack)
	.set _ZN7rocprim17ROCPRIM_400000_NS6detail17trampoline_kernelINS0_14default_configENS1_36segmented_radix_sort_config_selectorIblEEZNS1_25segmented_radix_sort_implIS3_Lb0EPKbPbPKlPlN2at6native12_GLOBAL__N_18offset_tEEE10hipError_tPvRmT1_PNSt15iterator_traitsISK_E10value_typeET2_T3_PNSL_ISQ_E10value_typeET4_jRbjT5_SW_jjP12ihipStream_tbEUlT_E2_NS1_11comp_targetILNS1_3genE2ELNS1_11target_archE906ELNS1_3gpuE6ELNS1_3repE0EEENS1_30default_config_static_selectorELNS0_4arch9wavefront6targetE1EEEvSK_.has_recursion, or(0, .L_ZN7rocprim17ROCPRIM_400000_NS6detail26segmented_warp_sort_helperINS1_20WarpSortHelperConfigILj8ELj4ELj256EEEblLi256ELb0EvE4sortIPKbPbPKlPlEEvT_T0_T1_T2_jjjjRNS5_12storage_typeE.has_recursion, .L_ZN7rocprim17ROCPRIM_400000_NS6detail40segmented_radix_sort_single_block_helperIblLj256ELj4ELb0EE4sortIPKbPbPKlPlEEbT_T0_T1_T2_jjjjRNS3_12storage_typeE.has_recursion)
	.set _ZN7rocprim17ROCPRIM_400000_NS6detail17trampoline_kernelINS0_14default_configENS1_36segmented_radix_sort_config_selectorIblEEZNS1_25segmented_radix_sort_implIS3_Lb0EPKbPbPKlPlN2at6native12_GLOBAL__N_18offset_tEEE10hipError_tPvRmT1_PNSt15iterator_traitsISK_E10value_typeET2_T3_PNSL_ISQ_E10value_typeET4_jRbjT5_SW_jjP12ihipStream_tbEUlT_E2_NS1_11comp_targetILNS1_3genE2ELNS1_11target_archE906ELNS1_3gpuE6ELNS1_3repE0EEENS1_30default_config_static_selectorELNS0_4arch9wavefront6targetE1EEEvSK_.has_indirect_call, or(0, .L_ZN7rocprim17ROCPRIM_400000_NS6detail26segmented_warp_sort_helperINS1_20WarpSortHelperConfigILj8ELj4ELj256EEEblLi256ELb0EvE4sortIPKbPbPKlPlEEvT_T0_T1_T2_jjjjRNS5_12storage_typeE.has_indirect_call, .L_ZN7rocprim17ROCPRIM_400000_NS6detail40segmented_radix_sort_single_block_helperIblLj256ELj4ELb0EE4sortIPKbPbPKlPlEEbT_T0_T1_T2_jjjjRNS3_12storage_typeE.has_indirect_call)
	.section	.AMDGPU.csdata,"",@progbits
; Kernel info:
; codeLenInByte = 16840
; TotalNumSgprs: 80
; NumVgprs: 97
; ScratchSize: 12
; MemoryBound: 0
; FloatMode: 240
; IeeeMode: 1
; LDSByteSize: 9232 bytes/workgroup (compile time only)
; SGPRBlocks: 10
; VGPRBlocks: 24
; NumSGPRsForWavesPerEU: 81
; NumVGPRsForWavesPerEU: 97
; Occupancy: 2
; WaveLimiterHint : 1
; COMPUTE_PGM_RSRC2:SCRATCH_EN: 1
; COMPUTE_PGM_RSRC2:USER_SGPR: 6
; COMPUTE_PGM_RSRC2:TRAP_HANDLER: 0
; COMPUTE_PGM_RSRC2:TGID_X_EN: 1
; COMPUTE_PGM_RSRC2:TGID_Y_EN: 1
; COMPUTE_PGM_RSRC2:TGID_Z_EN: 0
; COMPUTE_PGM_RSRC2:TIDIG_COMP_CNT: 2
	.section	.text._ZN7rocprim17ROCPRIM_400000_NS6detail17trampoline_kernelINS0_14default_configENS1_36segmented_radix_sort_config_selectorIblEEZNS1_25segmented_radix_sort_implIS3_Lb0EPKbPbPKlPlN2at6native12_GLOBAL__N_18offset_tEEE10hipError_tPvRmT1_PNSt15iterator_traitsISK_E10value_typeET2_T3_PNSL_ISQ_E10value_typeET4_jRbjT5_SW_jjP12ihipStream_tbEUlT_E2_NS1_11comp_targetILNS1_3genE10ELNS1_11target_archE1201ELNS1_3gpuE5ELNS1_3repE0EEENS1_30default_config_static_selectorELNS0_4arch9wavefront6targetE1EEEvSK_,"axG",@progbits,_ZN7rocprim17ROCPRIM_400000_NS6detail17trampoline_kernelINS0_14default_configENS1_36segmented_radix_sort_config_selectorIblEEZNS1_25segmented_radix_sort_implIS3_Lb0EPKbPbPKlPlN2at6native12_GLOBAL__N_18offset_tEEE10hipError_tPvRmT1_PNSt15iterator_traitsISK_E10value_typeET2_T3_PNSL_ISQ_E10value_typeET4_jRbjT5_SW_jjP12ihipStream_tbEUlT_E2_NS1_11comp_targetILNS1_3genE10ELNS1_11target_archE1201ELNS1_3gpuE5ELNS1_3repE0EEENS1_30default_config_static_selectorELNS0_4arch9wavefront6targetE1EEEvSK_,comdat
	.globl	_ZN7rocprim17ROCPRIM_400000_NS6detail17trampoline_kernelINS0_14default_configENS1_36segmented_radix_sort_config_selectorIblEEZNS1_25segmented_radix_sort_implIS3_Lb0EPKbPbPKlPlN2at6native12_GLOBAL__N_18offset_tEEE10hipError_tPvRmT1_PNSt15iterator_traitsISK_E10value_typeET2_T3_PNSL_ISQ_E10value_typeET4_jRbjT5_SW_jjP12ihipStream_tbEUlT_E2_NS1_11comp_targetILNS1_3genE10ELNS1_11target_archE1201ELNS1_3gpuE5ELNS1_3repE0EEENS1_30default_config_static_selectorELNS0_4arch9wavefront6targetE1EEEvSK_ ; -- Begin function _ZN7rocprim17ROCPRIM_400000_NS6detail17trampoline_kernelINS0_14default_configENS1_36segmented_radix_sort_config_selectorIblEEZNS1_25segmented_radix_sort_implIS3_Lb0EPKbPbPKlPlN2at6native12_GLOBAL__N_18offset_tEEE10hipError_tPvRmT1_PNSt15iterator_traitsISK_E10value_typeET2_T3_PNSL_ISQ_E10value_typeET4_jRbjT5_SW_jjP12ihipStream_tbEUlT_E2_NS1_11comp_targetILNS1_3genE10ELNS1_11target_archE1201ELNS1_3gpuE5ELNS1_3repE0EEENS1_30default_config_static_selectorELNS0_4arch9wavefront6targetE1EEEvSK_
	.p2align	8
	.type	_ZN7rocprim17ROCPRIM_400000_NS6detail17trampoline_kernelINS0_14default_configENS1_36segmented_radix_sort_config_selectorIblEEZNS1_25segmented_radix_sort_implIS3_Lb0EPKbPbPKlPlN2at6native12_GLOBAL__N_18offset_tEEE10hipError_tPvRmT1_PNSt15iterator_traitsISK_E10value_typeET2_T3_PNSL_ISQ_E10value_typeET4_jRbjT5_SW_jjP12ihipStream_tbEUlT_E2_NS1_11comp_targetILNS1_3genE10ELNS1_11target_archE1201ELNS1_3gpuE5ELNS1_3repE0EEENS1_30default_config_static_selectorELNS0_4arch9wavefront6targetE1EEEvSK_,@function
_ZN7rocprim17ROCPRIM_400000_NS6detail17trampoline_kernelINS0_14default_configENS1_36segmented_radix_sort_config_selectorIblEEZNS1_25segmented_radix_sort_implIS3_Lb0EPKbPbPKlPlN2at6native12_GLOBAL__N_18offset_tEEE10hipError_tPvRmT1_PNSt15iterator_traitsISK_E10value_typeET2_T3_PNSL_ISQ_E10value_typeET4_jRbjT5_SW_jjP12ihipStream_tbEUlT_E2_NS1_11comp_targetILNS1_3genE10ELNS1_11target_archE1201ELNS1_3gpuE5ELNS1_3repE0EEENS1_30default_config_static_selectorELNS0_4arch9wavefront6targetE1EEEvSK_: ; @_ZN7rocprim17ROCPRIM_400000_NS6detail17trampoline_kernelINS0_14default_configENS1_36segmented_radix_sort_config_selectorIblEEZNS1_25segmented_radix_sort_implIS3_Lb0EPKbPbPKlPlN2at6native12_GLOBAL__N_18offset_tEEE10hipError_tPvRmT1_PNSt15iterator_traitsISK_E10value_typeET2_T3_PNSL_ISQ_E10value_typeET4_jRbjT5_SW_jjP12ihipStream_tbEUlT_E2_NS1_11comp_targetILNS1_3genE10ELNS1_11target_archE1201ELNS1_3gpuE5ELNS1_3repE0EEENS1_30default_config_static_selectorELNS0_4arch9wavefront6targetE1EEEvSK_
; %bb.0:
	.section	.rodata,"a",@progbits
	.p2align	6, 0x0
	.amdhsa_kernel _ZN7rocprim17ROCPRIM_400000_NS6detail17trampoline_kernelINS0_14default_configENS1_36segmented_radix_sort_config_selectorIblEEZNS1_25segmented_radix_sort_implIS3_Lb0EPKbPbPKlPlN2at6native12_GLOBAL__N_18offset_tEEE10hipError_tPvRmT1_PNSt15iterator_traitsISK_E10value_typeET2_T3_PNSL_ISQ_E10value_typeET4_jRbjT5_SW_jjP12ihipStream_tbEUlT_E2_NS1_11comp_targetILNS1_3genE10ELNS1_11target_archE1201ELNS1_3gpuE5ELNS1_3repE0EEENS1_30default_config_static_selectorELNS0_4arch9wavefront6targetE1EEEvSK_
		.amdhsa_group_segment_fixed_size 0
		.amdhsa_private_segment_fixed_size 0
		.amdhsa_kernarg_size 80
		.amdhsa_user_sgpr_count 6
		.amdhsa_user_sgpr_private_segment_buffer 1
		.amdhsa_user_sgpr_dispatch_ptr 0
		.amdhsa_user_sgpr_queue_ptr 0
		.amdhsa_user_sgpr_kernarg_segment_ptr 1
		.amdhsa_user_sgpr_dispatch_id 0
		.amdhsa_user_sgpr_flat_scratch_init 0
		.amdhsa_user_sgpr_private_segment_size 0
		.amdhsa_uses_dynamic_stack 0
		.amdhsa_system_sgpr_private_segment_wavefront_offset 0
		.amdhsa_system_sgpr_workgroup_id_x 1
		.amdhsa_system_sgpr_workgroup_id_y 0
		.amdhsa_system_sgpr_workgroup_id_z 0
		.amdhsa_system_sgpr_workgroup_info 0
		.amdhsa_system_vgpr_workitem_id 0
		.amdhsa_next_free_vgpr 1
		.amdhsa_next_free_sgpr 0
		.amdhsa_reserve_vcc 0
		.amdhsa_reserve_flat_scratch 0
		.amdhsa_float_round_mode_32 0
		.amdhsa_float_round_mode_16_64 0
		.amdhsa_float_denorm_mode_32 3
		.amdhsa_float_denorm_mode_16_64 3
		.amdhsa_dx10_clamp 1
		.amdhsa_ieee_mode 1
		.amdhsa_fp16_overflow 0
		.amdhsa_exception_fp_ieee_invalid_op 0
		.amdhsa_exception_fp_denorm_src 0
		.amdhsa_exception_fp_ieee_div_zero 0
		.amdhsa_exception_fp_ieee_overflow 0
		.amdhsa_exception_fp_ieee_underflow 0
		.amdhsa_exception_fp_ieee_inexact 0
		.amdhsa_exception_int_div_zero 0
	.end_amdhsa_kernel
	.section	.text._ZN7rocprim17ROCPRIM_400000_NS6detail17trampoline_kernelINS0_14default_configENS1_36segmented_radix_sort_config_selectorIblEEZNS1_25segmented_radix_sort_implIS3_Lb0EPKbPbPKlPlN2at6native12_GLOBAL__N_18offset_tEEE10hipError_tPvRmT1_PNSt15iterator_traitsISK_E10value_typeET2_T3_PNSL_ISQ_E10value_typeET4_jRbjT5_SW_jjP12ihipStream_tbEUlT_E2_NS1_11comp_targetILNS1_3genE10ELNS1_11target_archE1201ELNS1_3gpuE5ELNS1_3repE0EEENS1_30default_config_static_selectorELNS0_4arch9wavefront6targetE1EEEvSK_,"axG",@progbits,_ZN7rocprim17ROCPRIM_400000_NS6detail17trampoline_kernelINS0_14default_configENS1_36segmented_radix_sort_config_selectorIblEEZNS1_25segmented_radix_sort_implIS3_Lb0EPKbPbPKlPlN2at6native12_GLOBAL__N_18offset_tEEE10hipError_tPvRmT1_PNSt15iterator_traitsISK_E10value_typeET2_T3_PNSL_ISQ_E10value_typeET4_jRbjT5_SW_jjP12ihipStream_tbEUlT_E2_NS1_11comp_targetILNS1_3genE10ELNS1_11target_archE1201ELNS1_3gpuE5ELNS1_3repE0EEENS1_30default_config_static_selectorELNS0_4arch9wavefront6targetE1EEEvSK_,comdat
.Lfunc_end1670:
	.size	_ZN7rocprim17ROCPRIM_400000_NS6detail17trampoline_kernelINS0_14default_configENS1_36segmented_radix_sort_config_selectorIblEEZNS1_25segmented_radix_sort_implIS3_Lb0EPKbPbPKlPlN2at6native12_GLOBAL__N_18offset_tEEE10hipError_tPvRmT1_PNSt15iterator_traitsISK_E10value_typeET2_T3_PNSL_ISQ_E10value_typeET4_jRbjT5_SW_jjP12ihipStream_tbEUlT_E2_NS1_11comp_targetILNS1_3genE10ELNS1_11target_archE1201ELNS1_3gpuE5ELNS1_3repE0EEENS1_30default_config_static_selectorELNS0_4arch9wavefront6targetE1EEEvSK_, .Lfunc_end1670-_ZN7rocprim17ROCPRIM_400000_NS6detail17trampoline_kernelINS0_14default_configENS1_36segmented_radix_sort_config_selectorIblEEZNS1_25segmented_radix_sort_implIS3_Lb0EPKbPbPKlPlN2at6native12_GLOBAL__N_18offset_tEEE10hipError_tPvRmT1_PNSt15iterator_traitsISK_E10value_typeET2_T3_PNSL_ISQ_E10value_typeET4_jRbjT5_SW_jjP12ihipStream_tbEUlT_E2_NS1_11comp_targetILNS1_3genE10ELNS1_11target_archE1201ELNS1_3gpuE5ELNS1_3repE0EEENS1_30default_config_static_selectorELNS0_4arch9wavefront6targetE1EEEvSK_
                                        ; -- End function
	.set _ZN7rocprim17ROCPRIM_400000_NS6detail17trampoline_kernelINS0_14default_configENS1_36segmented_radix_sort_config_selectorIblEEZNS1_25segmented_radix_sort_implIS3_Lb0EPKbPbPKlPlN2at6native12_GLOBAL__N_18offset_tEEE10hipError_tPvRmT1_PNSt15iterator_traitsISK_E10value_typeET2_T3_PNSL_ISQ_E10value_typeET4_jRbjT5_SW_jjP12ihipStream_tbEUlT_E2_NS1_11comp_targetILNS1_3genE10ELNS1_11target_archE1201ELNS1_3gpuE5ELNS1_3repE0EEENS1_30default_config_static_selectorELNS0_4arch9wavefront6targetE1EEEvSK_.num_vgpr, 0
	.set _ZN7rocprim17ROCPRIM_400000_NS6detail17trampoline_kernelINS0_14default_configENS1_36segmented_radix_sort_config_selectorIblEEZNS1_25segmented_radix_sort_implIS3_Lb0EPKbPbPKlPlN2at6native12_GLOBAL__N_18offset_tEEE10hipError_tPvRmT1_PNSt15iterator_traitsISK_E10value_typeET2_T3_PNSL_ISQ_E10value_typeET4_jRbjT5_SW_jjP12ihipStream_tbEUlT_E2_NS1_11comp_targetILNS1_3genE10ELNS1_11target_archE1201ELNS1_3gpuE5ELNS1_3repE0EEENS1_30default_config_static_selectorELNS0_4arch9wavefront6targetE1EEEvSK_.num_agpr, 0
	.set _ZN7rocprim17ROCPRIM_400000_NS6detail17trampoline_kernelINS0_14default_configENS1_36segmented_radix_sort_config_selectorIblEEZNS1_25segmented_radix_sort_implIS3_Lb0EPKbPbPKlPlN2at6native12_GLOBAL__N_18offset_tEEE10hipError_tPvRmT1_PNSt15iterator_traitsISK_E10value_typeET2_T3_PNSL_ISQ_E10value_typeET4_jRbjT5_SW_jjP12ihipStream_tbEUlT_E2_NS1_11comp_targetILNS1_3genE10ELNS1_11target_archE1201ELNS1_3gpuE5ELNS1_3repE0EEENS1_30default_config_static_selectorELNS0_4arch9wavefront6targetE1EEEvSK_.numbered_sgpr, 0
	.set _ZN7rocprim17ROCPRIM_400000_NS6detail17trampoline_kernelINS0_14default_configENS1_36segmented_radix_sort_config_selectorIblEEZNS1_25segmented_radix_sort_implIS3_Lb0EPKbPbPKlPlN2at6native12_GLOBAL__N_18offset_tEEE10hipError_tPvRmT1_PNSt15iterator_traitsISK_E10value_typeET2_T3_PNSL_ISQ_E10value_typeET4_jRbjT5_SW_jjP12ihipStream_tbEUlT_E2_NS1_11comp_targetILNS1_3genE10ELNS1_11target_archE1201ELNS1_3gpuE5ELNS1_3repE0EEENS1_30default_config_static_selectorELNS0_4arch9wavefront6targetE1EEEvSK_.num_named_barrier, 0
	.set _ZN7rocprim17ROCPRIM_400000_NS6detail17trampoline_kernelINS0_14default_configENS1_36segmented_radix_sort_config_selectorIblEEZNS1_25segmented_radix_sort_implIS3_Lb0EPKbPbPKlPlN2at6native12_GLOBAL__N_18offset_tEEE10hipError_tPvRmT1_PNSt15iterator_traitsISK_E10value_typeET2_T3_PNSL_ISQ_E10value_typeET4_jRbjT5_SW_jjP12ihipStream_tbEUlT_E2_NS1_11comp_targetILNS1_3genE10ELNS1_11target_archE1201ELNS1_3gpuE5ELNS1_3repE0EEENS1_30default_config_static_selectorELNS0_4arch9wavefront6targetE1EEEvSK_.private_seg_size, 0
	.set _ZN7rocprim17ROCPRIM_400000_NS6detail17trampoline_kernelINS0_14default_configENS1_36segmented_radix_sort_config_selectorIblEEZNS1_25segmented_radix_sort_implIS3_Lb0EPKbPbPKlPlN2at6native12_GLOBAL__N_18offset_tEEE10hipError_tPvRmT1_PNSt15iterator_traitsISK_E10value_typeET2_T3_PNSL_ISQ_E10value_typeET4_jRbjT5_SW_jjP12ihipStream_tbEUlT_E2_NS1_11comp_targetILNS1_3genE10ELNS1_11target_archE1201ELNS1_3gpuE5ELNS1_3repE0EEENS1_30default_config_static_selectorELNS0_4arch9wavefront6targetE1EEEvSK_.uses_vcc, 0
	.set _ZN7rocprim17ROCPRIM_400000_NS6detail17trampoline_kernelINS0_14default_configENS1_36segmented_radix_sort_config_selectorIblEEZNS1_25segmented_radix_sort_implIS3_Lb0EPKbPbPKlPlN2at6native12_GLOBAL__N_18offset_tEEE10hipError_tPvRmT1_PNSt15iterator_traitsISK_E10value_typeET2_T3_PNSL_ISQ_E10value_typeET4_jRbjT5_SW_jjP12ihipStream_tbEUlT_E2_NS1_11comp_targetILNS1_3genE10ELNS1_11target_archE1201ELNS1_3gpuE5ELNS1_3repE0EEENS1_30default_config_static_selectorELNS0_4arch9wavefront6targetE1EEEvSK_.uses_flat_scratch, 0
	.set _ZN7rocprim17ROCPRIM_400000_NS6detail17trampoline_kernelINS0_14default_configENS1_36segmented_radix_sort_config_selectorIblEEZNS1_25segmented_radix_sort_implIS3_Lb0EPKbPbPKlPlN2at6native12_GLOBAL__N_18offset_tEEE10hipError_tPvRmT1_PNSt15iterator_traitsISK_E10value_typeET2_T3_PNSL_ISQ_E10value_typeET4_jRbjT5_SW_jjP12ihipStream_tbEUlT_E2_NS1_11comp_targetILNS1_3genE10ELNS1_11target_archE1201ELNS1_3gpuE5ELNS1_3repE0EEENS1_30default_config_static_selectorELNS0_4arch9wavefront6targetE1EEEvSK_.has_dyn_sized_stack, 0
	.set _ZN7rocprim17ROCPRIM_400000_NS6detail17trampoline_kernelINS0_14default_configENS1_36segmented_radix_sort_config_selectorIblEEZNS1_25segmented_radix_sort_implIS3_Lb0EPKbPbPKlPlN2at6native12_GLOBAL__N_18offset_tEEE10hipError_tPvRmT1_PNSt15iterator_traitsISK_E10value_typeET2_T3_PNSL_ISQ_E10value_typeET4_jRbjT5_SW_jjP12ihipStream_tbEUlT_E2_NS1_11comp_targetILNS1_3genE10ELNS1_11target_archE1201ELNS1_3gpuE5ELNS1_3repE0EEENS1_30default_config_static_selectorELNS0_4arch9wavefront6targetE1EEEvSK_.has_recursion, 0
	.set _ZN7rocprim17ROCPRIM_400000_NS6detail17trampoline_kernelINS0_14default_configENS1_36segmented_radix_sort_config_selectorIblEEZNS1_25segmented_radix_sort_implIS3_Lb0EPKbPbPKlPlN2at6native12_GLOBAL__N_18offset_tEEE10hipError_tPvRmT1_PNSt15iterator_traitsISK_E10value_typeET2_T3_PNSL_ISQ_E10value_typeET4_jRbjT5_SW_jjP12ihipStream_tbEUlT_E2_NS1_11comp_targetILNS1_3genE10ELNS1_11target_archE1201ELNS1_3gpuE5ELNS1_3repE0EEENS1_30default_config_static_selectorELNS0_4arch9wavefront6targetE1EEEvSK_.has_indirect_call, 0
	.section	.AMDGPU.csdata,"",@progbits
; Kernel info:
; codeLenInByte = 0
; TotalNumSgprs: 4
; NumVgprs: 0
; ScratchSize: 0
; MemoryBound: 0
; FloatMode: 240
; IeeeMode: 1
; LDSByteSize: 0 bytes/workgroup (compile time only)
; SGPRBlocks: 0
; VGPRBlocks: 0
; NumSGPRsForWavesPerEU: 4
; NumVGPRsForWavesPerEU: 1
; Occupancy: 10
; WaveLimiterHint : 0
; COMPUTE_PGM_RSRC2:SCRATCH_EN: 0
; COMPUTE_PGM_RSRC2:USER_SGPR: 6
; COMPUTE_PGM_RSRC2:TRAP_HANDLER: 0
; COMPUTE_PGM_RSRC2:TGID_X_EN: 1
; COMPUTE_PGM_RSRC2:TGID_Y_EN: 0
; COMPUTE_PGM_RSRC2:TGID_Z_EN: 0
; COMPUTE_PGM_RSRC2:TIDIG_COMP_CNT: 0
	.section	.text._ZN7rocprim17ROCPRIM_400000_NS6detail17trampoline_kernelINS0_14default_configENS1_36segmented_radix_sort_config_selectorIblEEZNS1_25segmented_radix_sort_implIS3_Lb0EPKbPbPKlPlN2at6native12_GLOBAL__N_18offset_tEEE10hipError_tPvRmT1_PNSt15iterator_traitsISK_E10value_typeET2_T3_PNSL_ISQ_E10value_typeET4_jRbjT5_SW_jjP12ihipStream_tbEUlT_E2_NS1_11comp_targetILNS1_3genE10ELNS1_11target_archE1200ELNS1_3gpuE4ELNS1_3repE0EEENS1_30default_config_static_selectorELNS0_4arch9wavefront6targetE1EEEvSK_,"axG",@progbits,_ZN7rocprim17ROCPRIM_400000_NS6detail17trampoline_kernelINS0_14default_configENS1_36segmented_radix_sort_config_selectorIblEEZNS1_25segmented_radix_sort_implIS3_Lb0EPKbPbPKlPlN2at6native12_GLOBAL__N_18offset_tEEE10hipError_tPvRmT1_PNSt15iterator_traitsISK_E10value_typeET2_T3_PNSL_ISQ_E10value_typeET4_jRbjT5_SW_jjP12ihipStream_tbEUlT_E2_NS1_11comp_targetILNS1_3genE10ELNS1_11target_archE1200ELNS1_3gpuE4ELNS1_3repE0EEENS1_30default_config_static_selectorELNS0_4arch9wavefront6targetE1EEEvSK_,comdat
	.globl	_ZN7rocprim17ROCPRIM_400000_NS6detail17trampoline_kernelINS0_14default_configENS1_36segmented_radix_sort_config_selectorIblEEZNS1_25segmented_radix_sort_implIS3_Lb0EPKbPbPKlPlN2at6native12_GLOBAL__N_18offset_tEEE10hipError_tPvRmT1_PNSt15iterator_traitsISK_E10value_typeET2_T3_PNSL_ISQ_E10value_typeET4_jRbjT5_SW_jjP12ihipStream_tbEUlT_E2_NS1_11comp_targetILNS1_3genE10ELNS1_11target_archE1200ELNS1_3gpuE4ELNS1_3repE0EEENS1_30default_config_static_selectorELNS0_4arch9wavefront6targetE1EEEvSK_ ; -- Begin function _ZN7rocprim17ROCPRIM_400000_NS6detail17trampoline_kernelINS0_14default_configENS1_36segmented_radix_sort_config_selectorIblEEZNS1_25segmented_radix_sort_implIS3_Lb0EPKbPbPKlPlN2at6native12_GLOBAL__N_18offset_tEEE10hipError_tPvRmT1_PNSt15iterator_traitsISK_E10value_typeET2_T3_PNSL_ISQ_E10value_typeET4_jRbjT5_SW_jjP12ihipStream_tbEUlT_E2_NS1_11comp_targetILNS1_3genE10ELNS1_11target_archE1200ELNS1_3gpuE4ELNS1_3repE0EEENS1_30default_config_static_selectorELNS0_4arch9wavefront6targetE1EEEvSK_
	.p2align	8
	.type	_ZN7rocprim17ROCPRIM_400000_NS6detail17trampoline_kernelINS0_14default_configENS1_36segmented_radix_sort_config_selectorIblEEZNS1_25segmented_radix_sort_implIS3_Lb0EPKbPbPKlPlN2at6native12_GLOBAL__N_18offset_tEEE10hipError_tPvRmT1_PNSt15iterator_traitsISK_E10value_typeET2_T3_PNSL_ISQ_E10value_typeET4_jRbjT5_SW_jjP12ihipStream_tbEUlT_E2_NS1_11comp_targetILNS1_3genE10ELNS1_11target_archE1200ELNS1_3gpuE4ELNS1_3repE0EEENS1_30default_config_static_selectorELNS0_4arch9wavefront6targetE1EEEvSK_,@function
_ZN7rocprim17ROCPRIM_400000_NS6detail17trampoline_kernelINS0_14default_configENS1_36segmented_radix_sort_config_selectorIblEEZNS1_25segmented_radix_sort_implIS3_Lb0EPKbPbPKlPlN2at6native12_GLOBAL__N_18offset_tEEE10hipError_tPvRmT1_PNSt15iterator_traitsISK_E10value_typeET2_T3_PNSL_ISQ_E10value_typeET4_jRbjT5_SW_jjP12ihipStream_tbEUlT_E2_NS1_11comp_targetILNS1_3genE10ELNS1_11target_archE1200ELNS1_3gpuE4ELNS1_3repE0EEENS1_30default_config_static_selectorELNS0_4arch9wavefront6targetE1EEEvSK_: ; @_ZN7rocprim17ROCPRIM_400000_NS6detail17trampoline_kernelINS0_14default_configENS1_36segmented_radix_sort_config_selectorIblEEZNS1_25segmented_radix_sort_implIS3_Lb0EPKbPbPKlPlN2at6native12_GLOBAL__N_18offset_tEEE10hipError_tPvRmT1_PNSt15iterator_traitsISK_E10value_typeET2_T3_PNSL_ISQ_E10value_typeET4_jRbjT5_SW_jjP12ihipStream_tbEUlT_E2_NS1_11comp_targetILNS1_3genE10ELNS1_11target_archE1200ELNS1_3gpuE4ELNS1_3repE0EEENS1_30default_config_static_selectorELNS0_4arch9wavefront6targetE1EEEvSK_
; %bb.0:
	.section	.rodata,"a",@progbits
	.p2align	6, 0x0
	.amdhsa_kernel _ZN7rocprim17ROCPRIM_400000_NS6detail17trampoline_kernelINS0_14default_configENS1_36segmented_radix_sort_config_selectorIblEEZNS1_25segmented_radix_sort_implIS3_Lb0EPKbPbPKlPlN2at6native12_GLOBAL__N_18offset_tEEE10hipError_tPvRmT1_PNSt15iterator_traitsISK_E10value_typeET2_T3_PNSL_ISQ_E10value_typeET4_jRbjT5_SW_jjP12ihipStream_tbEUlT_E2_NS1_11comp_targetILNS1_3genE10ELNS1_11target_archE1200ELNS1_3gpuE4ELNS1_3repE0EEENS1_30default_config_static_selectorELNS0_4arch9wavefront6targetE1EEEvSK_
		.amdhsa_group_segment_fixed_size 0
		.amdhsa_private_segment_fixed_size 0
		.amdhsa_kernarg_size 80
		.amdhsa_user_sgpr_count 6
		.amdhsa_user_sgpr_private_segment_buffer 1
		.amdhsa_user_sgpr_dispatch_ptr 0
		.amdhsa_user_sgpr_queue_ptr 0
		.amdhsa_user_sgpr_kernarg_segment_ptr 1
		.amdhsa_user_sgpr_dispatch_id 0
		.amdhsa_user_sgpr_flat_scratch_init 0
		.amdhsa_user_sgpr_private_segment_size 0
		.amdhsa_uses_dynamic_stack 0
		.amdhsa_system_sgpr_private_segment_wavefront_offset 0
		.amdhsa_system_sgpr_workgroup_id_x 1
		.amdhsa_system_sgpr_workgroup_id_y 0
		.amdhsa_system_sgpr_workgroup_id_z 0
		.amdhsa_system_sgpr_workgroup_info 0
		.amdhsa_system_vgpr_workitem_id 0
		.amdhsa_next_free_vgpr 1
		.amdhsa_next_free_sgpr 0
		.amdhsa_reserve_vcc 0
		.amdhsa_reserve_flat_scratch 0
		.amdhsa_float_round_mode_32 0
		.amdhsa_float_round_mode_16_64 0
		.amdhsa_float_denorm_mode_32 3
		.amdhsa_float_denorm_mode_16_64 3
		.amdhsa_dx10_clamp 1
		.amdhsa_ieee_mode 1
		.amdhsa_fp16_overflow 0
		.amdhsa_exception_fp_ieee_invalid_op 0
		.amdhsa_exception_fp_denorm_src 0
		.amdhsa_exception_fp_ieee_div_zero 0
		.amdhsa_exception_fp_ieee_overflow 0
		.amdhsa_exception_fp_ieee_underflow 0
		.amdhsa_exception_fp_ieee_inexact 0
		.amdhsa_exception_int_div_zero 0
	.end_amdhsa_kernel
	.section	.text._ZN7rocprim17ROCPRIM_400000_NS6detail17trampoline_kernelINS0_14default_configENS1_36segmented_radix_sort_config_selectorIblEEZNS1_25segmented_radix_sort_implIS3_Lb0EPKbPbPKlPlN2at6native12_GLOBAL__N_18offset_tEEE10hipError_tPvRmT1_PNSt15iterator_traitsISK_E10value_typeET2_T3_PNSL_ISQ_E10value_typeET4_jRbjT5_SW_jjP12ihipStream_tbEUlT_E2_NS1_11comp_targetILNS1_3genE10ELNS1_11target_archE1200ELNS1_3gpuE4ELNS1_3repE0EEENS1_30default_config_static_selectorELNS0_4arch9wavefront6targetE1EEEvSK_,"axG",@progbits,_ZN7rocprim17ROCPRIM_400000_NS6detail17trampoline_kernelINS0_14default_configENS1_36segmented_radix_sort_config_selectorIblEEZNS1_25segmented_radix_sort_implIS3_Lb0EPKbPbPKlPlN2at6native12_GLOBAL__N_18offset_tEEE10hipError_tPvRmT1_PNSt15iterator_traitsISK_E10value_typeET2_T3_PNSL_ISQ_E10value_typeET4_jRbjT5_SW_jjP12ihipStream_tbEUlT_E2_NS1_11comp_targetILNS1_3genE10ELNS1_11target_archE1200ELNS1_3gpuE4ELNS1_3repE0EEENS1_30default_config_static_selectorELNS0_4arch9wavefront6targetE1EEEvSK_,comdat
.Lfunc_end1671:
	.size	_ZN7rocprim17ROCPRIM_400000_NS6detail17trampoline_kernelINS0_14default_configENS1_36segmented_radix_sort_config_selectorIblEEZNS1_25segmented_radix_sort_implIS3_Lb0EPKbPbPKlPlN2at6native12_GLOBAL__N_18offset_tEEE10hipError_tPvRmT1_PNSt15iterator_traitsISK_E10value_typeET2_T3_PNSL_ISQ_E10value_typeET4_jRbjT5_SW_jjP12ihipStream_tbEUlT_E2_NS1_11comp_targetILNS1_3genE10ELNS1_11target_archE1200ELNS1_3gpuE4ELNS1_3repE0EEENS1_30default_config_static_selectorELNS0_4arch9wavefront6targetE1EEEvSK_, .Lfunc_end1671-_ZN7rocprim17ROCPRIM_400000_NS6detail17trampoline_kernelINS0_14default_configENS1_36segmented_radix_sort_config_selectorIblEEZNS1_25segmented_radix_sort_implIS3_Lb0EPKbPbPKlPlN2at6native12_GLOBAL__N_18offset_tEEE10hipError_tPvRmT1_PNSt15iterator_traitsISK_E10value_typeET2_T3_PNSL_ISQ_E10value_typeET4_jRbjT5_SW_jjP12ihipStream_tbEUlT_E2_NS1_11comp_targetILNS1_3genE10ELNS1_11target_archE1200ELNS1_3gpuE4ELNS1_3repE0EEENS1_30default_config_static_selectorELNS0_4arch9wavefront6targetE1EEEvSK_
                                        ; -- End function
	.set _ZN7rocprim17ROCPRIM_400000_NS6detail17trampoline_kernelINS0_14default_configENS1_36segmented_radix_sort_config_selectorIblEEZNS1_25segmented_radix_sort_implIS3_Lb0EPKbPbPKlPlN2at6native12_GLOBAL__N_18offset_tEEE10hipError_tPvRmT1_PNSt15iterator_traitsISK_E10value_typeET2_T3_PNSL_ISQ_E10value_typeET4_jRbjT5_SW_jjP12ihipStream_tbEUlT_E2_NS1_11comp_targetILNS1_3genE10ELNS1_11target_archE1200ELNS1_3gpuE4ELNS1_3repE0EEENS1_30default_config_static_selectorELNS0_4arch9wavefront6targetE1EEEvSK_.num_vgpr, 0
	.set _ZN7rocprim17ROCPRIM_400000_NS6detail17trampoline_kernelINS0_14default_configENS1_36segmented_radix_sort_config_selectorIblEEZNS1_25segmented_radix_sort_implIS3_Lb0EPKbPbPKlPlN2at6native12_GLOBAL__N_18offset_tEEE10hipError_tPvRmT1_PNSt15iterator_traitsISK_E10value_typeET2_T3_PNSL_ISQ_E10value_typeET4_jRbjT5_SW_jjP12ihipStream_tbEUlT_E2_NS1_11comp_targetILNS1_3genE10ELNS1_11target_archE1200ELNS1_3gpuE4ELNS1_3repE0EEENS1_30default_config_static_selectorELNS0_4arch9wavefront6targetE1EEEvSK_.num_agpr, 0
	.set _ZN7rocprim17ROCPRIM_400000_NS6detail17trampoline_kernelINS0_14default_configENS1_36segmented_radix_sort_config_selectorIblEEZNS1_25segmented_radix_sort_implIS3_Lb0EPKbPbPKlPlN2at6native12_GLOBAL__N_18offset_tEEE10hipError_tPvRmT1_PNSt15iterator_traitsISK_E10value_typeET2_T3_PNSL_ISQ_E10value_typeET4_jRbjT5_SW_jjP12ihipStream_tbEUlT_E2_NS1_11comp_targetILNS1_3genE10ELNS1_11target_archE1200ELNS1_3gpuE4ELNS1_3repE0EEENS1_30default_config_static_selectorELNS0_4arch9wavefront6targetE1EEEvSK_.numbered_sgpr, 0
	.set _ZN7rocprim17ROCPRIM_400000_NS6detail17trampoline_kernelINS0_14default_configENS1_36segmented_radix_sort_config_selectorIblEEZNS1_25segmented_radix_sort_implIS3_Lb0EPKbPbPKlPlN2at6native12_GLOBAL__N_18offset_tEEE10hipError_tPvRmT1_PNSt15iterator_traitsISK_E10value_typeET2_T3_PNSL_ISQ_E10value_typeET4_jRbjT5_SW_jjP12ihipStream_tbEUlT_E2_NS1_11comp_targetILNS1_3genE10ELNS1_11target_archE1200ELNS1_3gpuE4ELNS1_3repE0EEENS1_30default_config_static_selectorELNS0_4arch9wavefront6targetE1EEEvSK_.num_named_barrier, 0
	.set _ZN7rocprim17ROCPRIM_400000_NS6detail17trampoline_kernelINS0_14default_configENS1_36segmented_radix_sort_config_selectorIblEEZNS1_25segmented_radix_sort_implIS3_Lb0EPKbPbPKlPlN2at6native12_GLOBAL__N_18offset_tEEE10hipError_tPvRmT1_PNSt15iterator_traitsISK_E10value_typeET2_T3_PNSL_ISQ_E10value_typeET4_jRbjT5_SW_jjP12ihipStream_tbEUlT_E2_NS1_11comp_targetILNS1_3genE10ELNS1_11target_archE1200ELNS1_3gpuE4ELNS1_3repE0EEENS1_30default_config_static_selectorELNS0_4arch9wavefront6targetE1EEEvSK_.private_seg_size, 0
	.set _ZN7rocprim17ROCPRIM_400000_NS6detail17trampoline_kernelINS0_14default_configENS1_36segmented_radix_sort_config_selectorIblEEZNS1_25segmented_radix_sort_implIS3_Lb0EPKbPbPKlPlN2at6native12_GLOBAL__N_18offset_tEEE10hipError_tPvRmT1_PNSt15iterator_traitsISK_E10value_typeET2_T3_PNSL_ISQ_E10value_typeET4_jRbjT5_SW_jjP12ihipStream_tbEUlT_E2_NS1_11comp_targetILNS1_3genE10ELNS1_11target_archE1200ELNS1_3gpuE4ELNS1_3repE0EEENS1_30default_config_static_selectorELNS0_4arch9wavefront6targetE1EEEvSK_.uses_vcc, 0
	.set _ZN7rocprim17ROCPRIM_400000_NS6detail17trampoline_kernelINS0_14default_configENS1_36segmented_radix_sort_config_selectorIblEEZNS1_25segmented_radix_sort_implIS3_Lb0EPKbPbPKlPlN2at6native12_GLOBAL__N_18offset_tEEE10hipError_tPvRmT1_PNSt15iterator_traitsISK_E10value_typeET2_T3_PNSL_ISQ_E10value_typeET4_jRbjT5_SW_jjP12ihipStream_tbEUlT_E2_NS1_11comp_targetILNS1_3genE10ELNS1_11target_archE1200ELNS1_3gpuE4ELNS1_3repE0EEENS1_30default_config_static_selectorELNS0_4arch9wavefront6targetE1EEEvSK_.uses_flat_scratch, 0
	.set _ZN7rocprim17ROCPRIM_400000_NS6detail17trampoline_kernelINS0_14default_configENS1_36segmented_radix_sort_config_selectorIblEEZNS1_25segmented_radix_sort_implIS3_Lb0EPKbPbPKlPlN2at6native12_GLOBAL__N_18offset_tEEE10hipError_tPvRmT1_PNSt15iterator_traitsISK_E10value_typeET2_T3_PNSL_ISQ_E10value_typeET4_jRbjT5_SW_jjP12ihipStream_tbEUlT_E2_NS1_11comp_targetILNS1_3genE10ELNS1_11target_archE1200ELNS1_3gpuE4ELNS1_3repE0EEENS1_30default_config_static_selectorELNS0_4arch9wavefront6targetE1EEEvSK_.has_dyn_sized_stack, 0
	.set _ZN7rocprim17ROCPRIM_400000_NS6detail17trampoline_kernelINS0_14default_configENS1_36segmented_radix_sort_config_selectorIblEEZNS1_25segmented_radix_sort_implIS3_Lb0EPKbPbPKlPlN2at6native12_GLOBAL__N_18offset_tEEE10hipError_tPvRmT1_PNSt15iterator_traitsISK_E10value_typeET2_T3_PNSL_ISQ_E10value_typeET4_jRbjT5_SW_jjP12ihipStream_tbEUlT_E2_NS1_11comp_targetILNS1_3genE10ELNS1_11target_archE1200ELNS1_3gpuE4ELNS1_3repE0EEENS1_30default_config_static_selectorELNS0_4arch9wavefront6targetE1EEEvSK_.has_recursion, 0
	.set _ZN7rocprim17ROCPRIM_400000_NS6detail17trampoline_kernelINS0_14default_configENS1_36segmented_radix_sort_config_selectorIblEEZNS1_25segmented_radix_sort_implIS3_Lb0EPKbPbPKlPlN2at6native12_GLOBAL__N_18offset_tEEE10hipError_tPvRmT1_PNSt15iterator_traitsISK_E10value_typeET2_T3_PNSL_ISQ_E10value_typeET4_jRbjT5_SW_jjP12ihipStream_tbEUlT_E2_NS1_11comp_targetILNS1_3genE10ELNS1_11target_archE1200ELNS1_3gpuE4ELNS1_3repE0EEENS1_30default_config_static_selectorELNS0_4arch9wavefront6targetE1EEEvSK_.has_indirect_call, 0
	.section	.AMDGPU.csdata,"",@progbits
; Kernel info:
; codeLenInByte = 0
; TotalNumSgprs: 4
; NumVgprs: 0
; ScratchSize: 0
; MemoryBound: 0
; FloatMode: 240
; IeeeMode: 1
; LDSByteSize: 0 bytes/workgroup (compile time only)
; SGPRBlocks: 0
; VGPRBlocks: 0
; NumSGPRsForWavesPerEU: 4
; NumVGPRsForWavesPerEU: 1
; Occupancy: 10
; WaveLimiterHint : 0
; COMPUTE_PGM_RSRC2:SCRATCH_EN: 0
; COMPUTE_PGM_RSRC2:USER_SGPR: 6
; COMPUTE_PGM_RSRC2:TRAP_HANDLER: 0
; COMPUTE_PGM_RSRC2:TGID_X_EN: 1
; COMPUTE_PGM_RSRC2:TGID_Y_EN: 0
; COMPUTE_PGM_RSRC2:TGID_Z_EN: 0
; COMPUTE_PGM_RSRC2:TIDIG_COMP_CNT: 0
	.section	.text._ZN7rocprim17ROCPRIM_400000_NS6detail17trampoline_kernelINS0_14default_configENS1_36segmented_radix_sort_config_selectorIblEEZNS1_25segmented_radix_sort_implIS3_Lb0EPKbPbPKlPlN2at6native12_GLOBAL__N_18offset_tEEE10hipError_tPvRmT1_PNSt15iterator_traitsISK_E10value_typeET2_T3_PNSL_ISQ_E10value_typeET4_jRbjT5_SW_jjP12ihipStream_tbEUlT_E2_NS1_11comp_targetILNS1_3genE9ELNS1_11target_archE1100ELNS1_3gpuE3ELNS1_3repE0EEENS1_30default_config_static_selectorELNS0_4arch9wavefront6targetE1EEEvSK_,"axG",@progbits,_ZN7rocprim17ROCPRIM_400000_NS6detail17trampoline_kernelINS0_14default_configENS1_36segmented_radix_sort_config_selectorIblEEZNS1_25segmented_radix_sort_implIS3_Lb0EPKbPbPKlPlN2at6native12_GLOBAL__N_18offset_tEEE10hipError_tPvRmT1_PNSt15iterator_traitsISK_E10value_typeET2_T3_PNSL_ISQ_E10value_typeET4_jRbjT5_SW_jjP12ihipStream_tbEUlT_E2_NS1_11comp_targetILNS1_3genE9ELNS1_11target_archE1100ELNS1_3gpuE3ELNS1_3repE0EEENS1_30default_config_static_selectorELNS0_4arch9wavefront6targetE1EEEvSK_,comdat
	.globl	_ZN7rocprim17ROCPRIM_400000_NS6detail17trampoline_kernelINS0_14default_configENS1_36segmented_radix_sort_config_selectorIblEEZNS1_25segmented_radix_sort_implIS3_Lb0EPKbPbPKlPlN2at6native12_GLOBAL__N_18offset_tEEE10hipError_tPvRmT1_PNSt15iterator_traitsISK_E10value_typeET2_T3_PNSL_ISQ_E10value_typeET4_jRbjT5_SW_jjP12ihipStream_tbEUlT_E2_NS1_11comp_targetILNS1_3genE9ELNS1_11target_archE1100ELNS1_3gpuE3ELNS1_3repE0EEENS1_30default_config_static_selectorELNS0_4arch9wavefront6targetE1EEEvSK_ ; -- Begin function _ZN7rocprim17ROCPRIM_400000_NS6detail17trampoline_kernelINS0_14default_configENS1_36segmented_radix_sort_config_selectorIblEEZNS1_25segmented_radix_sort_implIS3_Lb0EPKbPbPKlPlN2at6native12_GLOBAL__N_18offset_tEEE10hipError_tPvRmT1_PNSt15iterator_traitsISK_E10value_typeET2_T3_PNSL_ISQ_E10value_typeET4_jRbjT5_SW_jjP12ihipStream_tbEUlT_E2_NS1_11comp_targetILNS1_3genE9ELNS1_11target_archE1100ELNS1_3gpuE3ELNS1_3repE0EEENS1_30default_config_static_selectorELNS0_4arch9wavefront6targetE1EEEvSK_
	.p2align	8
	.type	_ZN7rocprim17ROCPRIM_400000_NS6detail17trampoline_kernelINS0_14default_configENS1_36segmented_radix_sort_config_selectorIblEEZNS1_25segmented_radix_sort_implIS3_Lb0EPKbPbPKlPlN2at6native12_GLOBAL__N_18offset_tEEE10hipError_tPvRmT1_PNSt15iterator_traitsISK_E10value_typeET2_T3_PNSL_ISQ_E10value_typeET4_jRbjT5_SW_jjP12ihipStream_tbEUlT_E2_NS1_11comp_targetILNS1_3genE9ELNS1_11target_archE1100ELNS1_3gpuE3ELNS1_3repE0EEENS1_30default_config_static_selectorELNS0_4arch9wavefront6targetE1EEEvSK_,@function
_ZN7rocprim17ROCPRIM_400000_NS6detail17trampoline_kernelINS0_14default_configENS1_36segmented_radix_sort_config_selectorIblEEZNS1_25segmented_radix_sort_implIS3_Lb0EPKbPbPKlPlN2at6native12_GLOBAL__N_18offset_tEEE10hipError_tPvRmT1_PNSt15iterator_traitsISK_E10value_typeET2_T3_PNSL_ISQ_E10value_typeET4_jRbjT5_SW_jjP12ihipStream_tbEUlT_E2_NS1_11comp_targetILNS1_3genE9ELNS1_11target_archE1100ELNS1_3gpuE3ELNS1_3repE0EEENS1_30default_config_static_selectorELNS0_4arch9wavefront6targetE1EEEvSK_: ; @_ZN7rocprim17ROCPRIM_400000_NS6detail17trampoline_kernelINS0_14default_configENS1_36segmented_radix_sort_config_selectorIblEEZNS1_25segmented_radix_sort_implIS3_Lb0EPKbPbPKlPlN2at6native12_GLOBAL__N_18offset_tEEE10hipError_tPvRmT1_PNSt15iterator_traitsISK_E10value_typeET2_T3_PNSL_ISQ_E10value_typeET4_jRbjT5_SW_jjP12ihipStream_tbEUlT_E2_NS1_11comp_targetILNS1_3genE9ELNS1_11target_archE1100ELNS1_3gpuE3ELNS1_3repE0EEENS1_30default_config_static_selectorELNS0_4arch9wavefront6targetE1EEEvSK_
; %bb.0:
	.section	.rodata,"a",@progbits
	.p2align	6, 0x0
	.amdhsa_kernel _ZN7rocprim17ROCPRIM_400000_NS6detail17trampoline_kernelINS0_14default_configENS1_36segmented_radix_sort_config_selectorIblEEZNS1_25segmented_radix_sort_implIS3_Lb0EPKbPbPKlPlN2at6native12_GLOBAL__N_18offset_tEEE10hipError_tPvRmT1_PNSt15iterator_traitsISK_E10value_typeET2_T3_PNSL_ISQ_E10value_typeET4_jRbjT5_SW_jjP12ihipStream_tbEUlT_E2_NS1_11comp_targetILNS1_3genE9ELNS1_11target_archE1100ELNS1_3gpuE3ELNS1_3repE0EEENS1_30default_config_static_selectorELNS0_4arch9wavefront6targetE1EEEvSK_
		.amdhsa_group_segment_fixed_size 0
		.amdhsa_private_segment_fixed_size 0
		.amdhsa_kernarg_size 80
		.amdhsa_user_sgpr_count 6
		.amdhsa_user_sgpr_private_segment_buffer 1
		.amdhsa_user_sgpr_dispatch_ptr 0
		.amdhsa_user_sgpr_queue_ptr 0
		.amdhsa_user_sgpr_kernarg_segment_ptr 1
		.amdhsa_user_sgpr_dispatch_id 0
		.amdhsa_user_sgpr_flat_scratch_init 0
		.amdhsa_user_sgpr_private_segment_size 0
		.amdhsa_uses_dynamic_stack 0
		.amdhsa_system_sgpr_private_segment_wavefront_offset 0
		.amdhsa_system_sgpr_workgroup_id_x 1
		.amdhsa_system_sgpr_workgroup_id_y 0
		.amdhsa_system_sgpr_workgroup_id_z 0
		.amdhsa_system_sgpr_workgroup_info 0
		.amdhsa_system_vgpr_workitem_id 0
		.amdhsa_next_free_vgpr 1
		.amdhsa_next_free_sgpr 0
		.amdhsa_reserve_vcc 0
		.amdhsa_reserve_flat_scratch 0
		.amdhsa_float_round_mode_32 0
		.amdhsa_float_round_mode_16_64 0
		.amdhsa_float_denorm_mode_32 3
		.amdhsa_float_denorm_mode_16_64 3
		.amdhsa_dx10_clamp 1
		.amdhsa_ieee_mode 1
		.amdhsa_fp16_overflow 0
		.amdhsa_exception_fp_ieee_invalid_op 0
		.amdhsa_exception_fp_denorm_src 0
		.amdhsa_exception_fp_ieee_div_zero 0
		.amdhsa_exception_fp_ieee_overflow 0
		.amdhsa_exception_fp_ieee_underflow 0
		.amdhsa_exception_fp_ieee_inexact 0
		.amdhsa_exception_int_div_zero 0
	.end_amdhsa_kernel
	.section	.text._ZN7rocprim17ROCPRIM_400000_NS6detail17trampoline_kernelINS0_14default_configENS1_36segmented_radix_sort_config_selectorIblEEZNS1_25segmented_radix_sort_implIS3_Lb0EPKbPbPKlPlN2at6native12_GLOBAL__N_18offset_tEEE10hipError_tPvRmT1_PNSt15iterator_traitsISK_E10value_typeET2_T3_PNSL_ISQ_E10value_typeET4_jRbjT5_SW_jjP12ihipStream_tbEUlT_E2_NS1_11comp_targetILNS1_3genE9ELNS1_11target_archE1100ELNS1_3gpuE3ELNS1_3repE0EEENS1_30default_config_static_selectorELNS0_4arch9wavefront6targetE1EEEvSK_,"axG",@progbits,_ZN7rocprim17ROCPRIM_400000_NS6detail17trampoline_kernelINS0_14default_configENS1_36segmented_radix_sort_config_selectorIblEEZNS1_25segmented_radix_sort_implIS3_Lb0EPKbPbPKlPlN2at6native12_GLOBAL__N_18offset_tEEE10hipError_tPvRmT1_PNSt15iterator_traitsISK_E10value_typeET2_T3_PNSL_ISQ_E10value_typeET4_jRbjT5_SW_jjP12ihipStream_tbEUlT_E2_NS1_11comp_targetILNS1_3genE9ELNS1_11target_archE1100ELNS1_3gpuE3ELNS1_3repE0EEENS1_30default_config_static_selectorELNS0_4arch9wavefront6targetE1EEEvSK_,comdat
.Lfunc_end1672:
	.size	_ZN7rocprim17ROCPRIM_400000_NS6detail17trampoline_kernelINS0_14default_configENS1_36segmented_radix_sort_config_selectorIblEEZNS1_25segmented_radix_sort_implIS3_Lb0EPKbPbPKlPlN2at6native12_GLOBAL__N_18offset_tEEE10hipError_tPvRmT1_PNSt15iterator_traitsISK_E10value_typeET2_T3_PNSL_ISQ_E10value_typeET4_jRbjT5_SW_jjP12ihipStream_tbEUlT_E2_NS1_11comp_targetILNS1_3genE9ELNS1_11target_archE1100ELNS1_3gpuE3ELNS1_3repE0EEENS1_30default_config_static_selectorELNS0_4arch9wavefront6targetE1EEEvSK_, .Lfunc_end1672-_ZN7rocprim17ROCPRIM_400000_NS6detail17trampoline_kernelINS0_14default_configENS1_36segmented_radix_sort_config_selectorIblEEZNS1_25segmented_radix_sort_implIS3_Lb0EPKbPbPKlPlN2at6native12_GLOBAL__N_18offset_tEEE10hipError_tPvRmT1_PNSt15iterator_traitsISK_E10value_typeET2_T3_PNSL_ISQ_E10value_typeET4_jRbjT5_SW_jjP12ihipStream_tbEUlT_E2_NS1_11comp_targetILNS1_3genE9ELNS1_11target_archE1100ELNS1_3gpuE3ELNS1_3repE0EEENS1_30default_config_static_selectorELNS0_4arch9wavefront6targetE1EEEvSK_
                                        ; -- End function
	.set _ZN7rocprim17ROCPRIM_400000_NS6detail17trampoline_kernelINS0_14default_configENS1_36segmented_radix_sort_config_selectorIblEEZNS1_25segmented_radix_sort_implIS3_Lb0EPKbPbPKlPlN2at6native12_GLOBAL__N_18offset_tEEE10hipError_tPvRmT1_PNSt15iterator_traitsISK_E10value_typeET2_T3_PNSL_ISQ_E10value_typeET4_jRbjT5_SW_jjP12ihipStream_tbEUlT_E2_NS1_11comp_targetILNS1_3genE9ELNS1_11target_archE1100ELNS1_3gpuE3ELNS1_3repE0EEENS1_30default_config_static_selectorELNS0_4arch9wavefront6targetE1EEEvSK_.num_vgpr, 0
	.set _ZN7rocprim17ROCPRIM_400000_NS6detail17trampoline_kernelINS0_14default_configENS1_36segmented_radix_sort_config_selectorIblEEZNS1_25segmented_radix_sort_implIS3_Lb0EPKbPbPKlPlN2at6native12_GLOBAL__N_18offset_tEEE10hipError_tPvRmT1_PNSt15iterator_traitsISK_E10value_typeET2_T3_PNSL_ISQ_E10value_typeET4_jRbjT5_SW_jjP12ihipStream_tbEUlT_E2_NS1_11comp_targetILNS1_3genE9ELNS1_11target_archE1100ELNS1_3gpuE3ELNS1_3repE0EEENS1_30default_config_static_selectorELNS0_4arch9wavefront6targetE1EEEvSK_.num_agpr, 0
	.set _ZN7rocprim17ROCPRIM_400000_NS6detail17trampoline_kernelINS0_14default_configENS1_36segmented_radix_sort_config_selectorIblEEZNS1_25segmented_radix_sort_implIS3_Lb0EPKbPbPKlPlN2at6native12_GLOBAL__N_18offset_tEEE10hipError_tPvRmT1_PNSt15iterator_traitsISK_E10value_typeET2_T3_PNSL_ISQ_E10value_typeET4_jRbjT5_SW_jjP12ihipStream_tbEUlT_E2_NS1_11comp_targetILNS1_3genE9ELNS1_11target_archE1100ELNS1_3gpuE3ELNS1_3repE0EEENS1_30default_config_static_selectorELNS0_4arch9wavefront6targetE1EEEvSK_.numbered_sgpr, 0
	.set _ZN7rocprim17ROCPRIM_400000_NS6detail17trampoline_kernelINS0_14default_configENS1_36segmented_radix_sort_config_selectorIblEEZNS1_25segmented_radix_sort_implIS3_Lb0EPKbPbPKlPlN2at6native12_GLOBAL__N_18offset_tEEE10hipError_tPvRmT1_PNSt15iterator_traitsISK_E10value_typeET2_T3_PNSL_ISQ_E10value_typeET4_jRbjT5_SW_jjP12ihipStream_tbEUlT_E2_NS1_11comp_targetILNS1_3genE9ELNS1_11target_archE1100ELNS1_3gpuE3ELNS1_3repE0EEENS1_30default_config_static_selectorELNS0_4arch9wavefront6targetE1EEEvSK_.num_named_barrier, 0
	.set _ZN7rocprim17ROCPRIM_400000_NS6detail17trampoline_kernelINS0_14default_configENS1_36segmented_radix_sort_config_selectorIblEEZNS1_25segmented_radix_sort_implIS3_Lb0EPKbPbPKlPlN2at6native12_GLOBAL__N_18offset_tEEE10hipError_tPvRmT1_PNSt15iterator_traitsISK_E10value_typeET2_T3_PNSL_ISQ_E10value_typeET4_jRbjT5_SW_jjP12ihipStream_tbEUlT_E2_NS1_11comp_targetILNS1_3genE9ELNS1_11target_archE1100ELNS1_3gpuE3ELNS1_3repE0EEENS1_30default_config_static_selectorELNS0_4arch9wavefront6targetE1EEEvSK_.private_seg_size, 0
	.set _ZN7rocprim17ROCPRIM_400000_NS6detail17trampoline_kernelINS0_14default_configENS1_36segmented_radix_sort_config_selectorIblEEZNS1_25segmented_radix_sort_implIS3_Lb0EPKbPbPKlPlN2at6native12_GLOBAL__N_18offset_tEEE10hipError_tPvRmT1_PNSt15iterator_traitsISK_E10value_typeET2_T3_PNSL_ISQ_E10value_typeET4_jRbjT5_SW_jjP12ihipStream_tbEUlT_E2_NS1_11comp_targetILNS1_3genE9ELNS1_11target_archE1100ELNS1_3gpuE3ELNS1_3repE0EEENS1_30default_config_static_selectorELNS0_4arch9wavefront6targetE1EEEvSK_.uses_vcc, 0
	.set _ZN7rocprim17ROCPRIM_400000_NS6detail17trampoline_kernelINS0_14default_configENS1_36segmented_radix_sort_config_selectorIblEEZNS1_25segmented_radix_sort_implIS3_Lb0EPKbPbPKlPlN2at6native12_GLOBAL__N_18offset_tEEE10hipError_tPvRmT1_PNSt15iterator_traitsISK_E10value_typeET2_T3_PNSL_ISQ_E10value_typeET4_jRbjT5_SW_jjP12ihipStream_tbEUlT_E2_NS1_11comp_targetILNS1_3genE9ELNS1_11target_archE1100ELNS1_3gpuE3ELNS1_3repE0EEENS1_30default_config_static_selectorELNS0_4arch9wavefront6targetE1EEEvSK_.uses_flat_scratch, 0
	.set _ZN7rocprim17ROCPRIM_400000_NS6detail17trampoline_kernelINS0_14default_configENS1_36segmented_radix_sort_config_selectorIblEEZNS1_25segmented_radix_sort_implIS3_Lb0EPKbPbPKlPlN2at6native12_GLOBAL__N_18offset_tEEE10hipError_tPvRmT1_PNSt15iterator_traitsISK_E10value_typeET2_T3_PNSL_ISQ_E10value_typeET4_jRbjT5_SW_jjP12ihipStream_tbEUlT_E2_NS1_11comp_targetILNS1_3genE9ELNS1_11target_archE1100ELNS1_3gpuE3ELNS1_3repE0EEENS1_30default_config_static_selectorELNS0_4arch9wavefront6targetE1EEEvSK_.has_dyn_sized_stack, 0
	.set _ZN7rocprim17ROCPRIM_400000_NS6detail17trampoline_kernelINS0_14default_configENS1_36segmented_radix_sort_config_selectorIblEEZNS1_25segmented_radix_sort_implIS3_Lb0EPKbPbPKlPlN2at6native12_GLOBAL__N_18offset_tEEE10hipError_tPvRmT1_PNSt15iterator_traitsISK_E10value_typeET2_T3_PNSL_ISQ_E10value_typeET4_jRbjT5_SW_jjP12ihipStream_tbEUlT_E2_NS1_11comp_targetILNS1_3genE9ELNS1_11target_archE1100ELNS1_3gpuE3ELNS1_3repE0EEENS1_30default_config_static_selectorELNS0_4arch9wavefront6targetE1EEEvSK_.has_recursion, 0
	.set _ZN7rocprim17ROCPRIM_400000_NS6detail17trampoline_kernelINS0_14default_configENS1_36segmented_radix_sort_config_selectorIblEEZNS1_25segmented_radix_sort_implIS3_Lb0EPKbPbPKlPlN2at6native12_GLOBAL__N_18offset_tEEE10hipError_tPvRmT1_PNSt15iterator_traitsISK_E10value_typeET2_T3_PNSL_ISQ_E10value_typeET4_jRbjT5_SW_jjP12ihipStream_tbEUlT_E2_NS1_11comp_targetILNS1_3genE9ELNS1_11target_archE1100ELNS1_3gpuE3ELNS1_3repE0EEENS1_30default_config_static_selectorELNS0_4arch9wavefront6targetE1EEEvSK_.has_indirect_call, 0
	.section	.AMDGPU.csdata,"",@progbits
; Kernel info:
; codeLenInByte = 0
; TotalNumSgprs: 4
; NumVgprs: 0
; ScratchSize: 0
; MemoryBound: 0
; FloatMode: 240
; IeeeMode: 1
; LDSByteSize: 0 bytes/workgroup (compile time only)
; SGPRBlocks: 0
; VGPRBlocks: 0
; NumSGPRsForWavesPerEU: 4
; NumVGPRsForWavesPerEU: 1
; Occupancy: 10
; WaveLimiterHint : 0
; COMPUTE_PGM_RSRC2:SCRATCH_EN: 0
; COMPUTE_PGM_RSRC2:USER_SGPR: 6
; COMPUTE_PGM_RSRC2:TRAP_HANDLER: 0
; COMPUTE_PGM_RSRC2:TGID_X_EN: 1
; COMPUTE_PGM_RSRC2:TGID_Y_EN: 0
; COMPUTE_PGM_RSRC2:TGID_Z_EN: 0
; COMPUTE_PGM_RSRC2:TIDIG_COMP_CNT: 0
	.section	.text._ZN7rocprim17ROCPRIM_400000_NS6detail17trampoline_kernelINS0_14default_configENS1_36segmented_radix_sort_config_selectorIblEEZNS1_25segmented_radix_sort_implIS3_Lb0EPKbPbPKlPlN2at6native12_GLOBAL__N_18offset_tEEE10hipError_tPvRmT1_PNSt15iterator_traitsISK_E10value_typeET2_T3_PNSL_ISQ_E10value_typeET4_jRbjT5_SW_jjP12ihipStream_tbEUlT_E2_NS1_11comp_targetILNS1_3genE8ELNS1_11target_archE1030ELNS1_3gpuE2ELNS1_3repE0EEENS1_30default_config_static_selectorELNS0_4arch9wavefront6targetE1EEEvSK_,"axG",@progbits,_ZN7rocprim17ROCPRIM_400000_NS6detail17trampoline_kernelINS0_14default_configENS1_36segmented_radix_sort_config_selectorIblEEZNS1_25segmented_radix_sort_implIS3_Lb0EPKbPbPKlPlN2at6native12_GLOBAL__N_18offset_tEEE10hipError_tPvRmT1_PNSt15iterator_traitsISK_E10value_typeET2_T3_PNSL_ISQ_E10value_typeET4_jRbjT5_SW_jjP12ihipStream_tbEUlT_E2_NS1_11comp_targetILNS1_3genE8ELNS1_11target_archE1030ELNS1_3gpuE2ELNS1_3repE0EEENS1_30default_config_static_selectorELNS0_4arch9wavefront6targetE1EEEvSK_,comdat
	.globl	_ZN7rocprim17ROCPRIM_400000_NS6detail17trampoline_kernelINS0_14default_configENS1_36segmented_radix_sort_config_selectorIblEEZNS1_25segmented_radix_sort_implIS3_Lb0EPKbPbPKlPlN2at6native12_GLOBAL__N_18offset_tEEE10hipError_tPvRmT1_PNSt15iterator_traitsISK_E10value_typeET2_T3_PNSL_ISQ_E10value_typeET4_jRbjT5_SW_jjP12ihipStream_tbEUlT_E2_NS1_11comp_targetILNS1_3genE8ELNS1_11target_archE1030ELNS1_3gpuE2ELNS1_3repE0EEENS1_30default_config_static_selectorELNS0_4arch9wavefront6targetE1EEEvSK_ ; -- Begin function _ZN7rocprim17ROCPRIM_400000_NS6detail17trampoline_kernelINS0_14default_configENS1_36segmented_radix_sort_config_selectorIblEEZNS1_25segmented_radix_sort_implIS3_Lb0EPKbPbPKlPlN2at6native12_GLOBAL__N_18offset_tEEE10hipError_tPvRmT1_PNSt15iterator_traitsISK_E10value_typeET2_T3_PNSL_ISQ_E10value_typeET4_jRbjT5_SW_jjP12ihipStream_tbEUlT_E2_NS1_11comp_targetILNS1_3genE8ELNS1_11target_archE1030ELNS1_3gpuE2ELNS1_3repE0EEENS1_30default_config_static_selectorELNS0_4arch9wavefront6targetE1EEEvSK_
	.p2align	8
	.type	_ZN7rocprim17ROCPRIM_400000_NS6detail17trampoline_kernelINS0_14default_configENS1_36segmented_radix_sort_config_selectorIblEEZNS1_25segmented_radix_sort_implIS3_Lb0EPKbPbPKlPlN2at6native12_GLOBAL__N_18offset_tEEE10hipError_tPvRmT1_PNSt15iterator_traitsISK_E10value_typeET2_T3_PNSL_ISQ_E10value_typeET4_jRbjT5_SW_jjP12ihipStream_tbEUlT_E2_NS1_11comp_targetILNS1_3genE8ELNS1_11target_archE1030ELNS1_3gpuE2ELNS1_3repE0EEENS1_30default_config_static_selectorELNS0_4arch9wavefront6targetE1EEEvSK_,@function
_ZN7rocprim17ROCPRIM_400000_NS6detail17trampoline_kernelINS0_14default_configENS1_36segmented_radix_sort_config_selectorIblEEZNS1_25segmented_radix_sort_implIS3_Lb0EPKbPbPKlPlN2at6native12_GLOBAL__N_18offset_tEEE10hipError_tPvRmT1_PNSt15iterator_traitsISK_E10value_typeET2_T3_PNSL_ISQ_E10value_typeET4_jRbjT5_SW_jjP12ihipStream_tbEUlT_E2_NS1_11comp_targetILNS1_3genE8ELNS1_11target_archE1030ELNS1_3gpuE2ELNS1_3repE0EEENS1_30default_config_static_selectorELNS0_4arch9wavefront6targetE1EEEvSK_: ; @_ZN7rocprim17ROCPRIM_400000_NS6detail17trampoline_kernelINS0_14default_configENS1_36segmented_radix_sort_config_selectorIblEEZNS1_25segmented_radix_sort_implIS3_Lb0EPKbPbPKlPlN2at6native12_GLOBAL__N_18offset_tEEE10hipError_tPvRmT1_PNSt15iterator_traitsISK_E10value_typeET2_T3_PNSL_ISQ_E10value_typeET4_jRbjT5_SW_jjP12ihipStream_tbEUlT_E2_NS1_11comp_targetILNS1_3genE8ELNS1_11target_archE1030ELNS1_3gpuE2ELNS1_3repE0EEENS1_30default_config_static_selectorELNS0_4arch9wavefront6targetE1EEEvSK_
; %bb.0:
	.section	.rodata,"a",@progbits
	.p2align	6, 0x0
	.amdhsa_kernel _ZN7rocprim17ROCPRIM_400000_NS6detail17trampoline_kernelINS0_14default_configENS1_36segmented_radix_sort_config_selectorIblEEZNS1_25segmented_radix_sort_implIS3_Lb0EPKbPbPKlPlN2at6native12_GLOBAL__N_18offset_tEEE10hipError_tPvRmT1_PNSt15iterator_traitsISK_E10value_typeET2_T3_PNSL_ISQ_E10value_typeET4_jRbjT5_SW_jjP12ihipStream_tbEUlT_E2_NS1_11comp_targetILNS1_3genE8ELNS1_11target_archE1030ELNS1_3gpuE2ELNS1_3repE0EEENS1_30default_config_static_selectorELNS0_4arch9wavefront6targetE1EEEvSK_
		.amdhsa_group_segment_fixed_size 0
		.amdhsa_private_segment_fixed_size 0
		.amdhsa_kernarg_size 80
		.amdhsa_user_sgpr_count 6
		.amdhsa_user_sgpr_private_segment_buffer 1
		.amdhsa_user_sgpr_dispatch_ptr 0
		.amdhsa_user_sgpr_queue_ptr 0
		.amdhsa_user_sgpr_kernarg_segment_ptr 1
		.amdhsa_user_sgpr_dispatch_id 0
		.amdhsa_user_sgpr_flat_scratch_init 0
		.amdhsa_user_sgpr_private_segment_size 0
		.amdhsa_uses_dynamic_stack 0
		.amdhsa_system_sgpr_private_segment_wavefront_offset 0
		.amdhsa_system_sgpr_workgroup_id_x 1
		.amdhsa_system_sgpr_workgroup_id_y 0
		.amdhsa_system_sgpr_workgroup_id_z 0
		.amdhsa_system_sgpr_workgroup_info 0
		.amdhsa_system_vgpr_workitem_id 0
		.amdhsa_next_free_vgpr 1
		.amdhsa_next_free_sgpr 0
		.amdhsa_reserve_vcc 0
		.amdhsa_reserve_flat_scratch 0
		.amdhsa_float_round_mode_32 0
		.amdhsa_float_round_mode_16_64 0
		.amdhsa_float_denorm_mode_32 3
		.amdhsa_float_denorm_mode_16_64 3
		.amdhsa_dx10_clamp 1
		.amdhsa_ieee_mode 1
		.amdhsa_fp16_overflow 0
		.amdhsa_exception_fp_ieee_invalid_op 0
		.amdhsa_exception_fp_denorm_src 0
		.amdhsa_exception_fp_ieee_div_zero 0
		.amdhsa_exception_fp_ieee_overflow 0
		.amdhsa_exception_fp_ieee_underflow 0
		.amdhsa_exception_fp_ieee_inexact 0
		.amdhsa_exception_int_div_zero 0
	.end_amdhsa_kernel
	.section	.text._ZN7rocprim17ROCPRIM_400000_NS6detail17trampoline_kernelINS0_14default_configENS1_36segmented_radix_sort_config_selectorIblEEZNS1_25segmented_radix_sort_implIS3_Lb0EPKbPbPKlPlN2at6native12_GLOBAL__N_18offset_tEEE10hipError_tPvRmT1_PNSt15iterator_traitsISK_E10value_typeET2_T3_PNSL_ISQ_E10value_typeET4_jRbjT5_SW_jjP12ihipStream_tbEUlT_E2_NS1_11comp_targetILNS1_3genE8ELNS1_11target_archE1030ELNS1_3gpuE2ELNS1_3repE0EEENS1_30default_config_static_selectorELNS0_4arch9wavefront6targetE1EEEvSK_,"axG",@progbits,_ZN7rocprim17ROCPRIM_400000_NS6detail17trampoline_kernelINS0_14default_configENS1_36segmented_radix_sort_config_selectorIblEEZNS1_25segmented_radix_sort_implIS3_Lb0EPKbPbPKlPlN2at6native12_GLOBAL__N_18offset_tEEE10hipError_tPvRmT1_PNSt15iterator_traitsISK_E10value_typeET2_T3_PNSL_ISQ_E10value_typeET4_jRbjT5_SW_jjP12ihipStream_tbEUlT_E2_NS1_11comp_targetILNS1_3genE8ELNS1_11target_archE1030ELNS1_3gpuE2ELNS1_3repE0EEENS1_30default_config_static_selectorELNS0_4arch9wavefront6targetE1EEEvSK_,comdat
.Lfunc_end1673:
	.size	_ZN7rocprim17ROCPRIM_400000_NS6detail17trampoline_kernelINS0_14default_configENS1_36segmented_radix_sort_config_selectorIblEEZNS1_25segmented_radix_sort_implIS3_Lb0EPKbPbPKlPlN2at6native12_GLOBAL__N_18offset_tEEE10hipError_tPvRmT1_PNSt15iterator_traitsISK_E10value_typeET2_T3_PNSL_ISQ_E10value_typeET4_jRbjT5_SW_jjP12ihipStream_tbEUlT_E2_NS1_11comp_targetILNS1_3genE8ELNS1_11target_archE1030ELNS1_3gpuE2ELNS1_3repE0EEENS1_30default_config_static_selectorELNS0_4arch9wavefront6targetE1EEEvSK_, .Lfunc_end1673-_ZN7rocprim17ROCPRIM_400000_NS6detail17trampoline_kernelINS0_14default_configENS1_36segmented_radix_sort_config_selectorIblEEZNS1_25segmented_radix_sort_implIS3_Lb0EPKbPbPKlPlN2at6native12_GLOBAL__N_18offset_tEEE10hipError_tPvRmT1_PNSt15iterator_traitsISK_E10value_typeET2_T3_PNSL_ISQ_E10value_typeET4_jRbjT5_SW_jjP12ihipStream_tbEUlT_E2_NS1_11comp_targetILNS1_3genE8ELNS1_11target_archE1030ELNS1_3gpuE2ELNS1_3repE0EEENS1_30default_config_static_selectorELNS0_4arch9wavefront6targetE1EEEvSK_
                                        ; -- End function
	.set _ZN7rocprim17ROCPRIM_400000_NS6detail17trampoline_kernelINS0_14default_configENS1_36segmented_radix_sort_config_selectorIblEEZNS1_25segmented_radix_sort_implIS3_Lb0EPKbPbPKlPlN2at6native12_GLOBAL__N_18offset_tEEE10hipError_tPvRmT1_PNSt15iterator_traitsISK_E10value_typeET2_T3_PNSL_ISQ_E10value_typeET4_jRbjT5_SW_jjP12ihipStream_tbEUlT_E2_NS1_11comp_targetILNS1_3genE8ELNS1_11target_archE1030ELNS1_3gpuE2ELNS1_3repE0EEENS1_30default_config_static_selectorELNS0_4arch9wavefront6targetE1EEEvSK_.num_vgpr, 0
	.set _ZN7rocprim17ROCPRIM_400000_NS6detail17trampoline_kernelINS0_14default_configENS1_36segmented_radix_sort_config_selectorIblEEZNS1_25segmented_radix_sort_implIS3_Lb0EPKbPbPKlPlN2at6native12_GLOBAL__N_18offset_tEEE10hipError_tPvRmT1_PNSt15iterator_traitsISK_E10value_typeET2_T3_PNSL_ISQ_E10value_typeET4_jRbjT5_SW_jjP12ihipStream_tbEUlT_E2_NS1_11comp_targetILNS1_3genE8ELNS1_11target_archE1030ELNS1_3gpuE2ELNS1_3repE0EEENS1_30default_config_static_selectorELNS0_4arch9wavefront6targetE1EEEvSK_.num_agpr, 0
	.set _ZN7rocprim17ROCPRIM_400000_NS6detail17trampoline_kernelINS0_14default_configENS1_36segmented_radix_sort_config_selectorIblEEZNS1_25segmented_radix_sort_implIS3_Lb0EPKbPbPKlPlN2at6native12_GLOBAL__N_18offset_tEEE10hipError_tPvRmT1_PNSt15iterator_traitsISK_E10value_typeET2_T3_PNSL_ISQ_E10value_typeET4_jRbjT5_SW_jjP12ihipStream_tbEUlT_E2_NS1_11comp_targetILNS1_3genE8ELNS1_11target_archE1030ELNS1_3gpuE2ELNS1_3repE0EEENS1_30default_config_static_selectorELNS0_4arch9wavefront6targetE1EEEvSK_.numbered_sgpr, 0
	.set _ZN7rocprim17ROCPRIM_400000_NS6detail17trampoline_kernelINS0_14default_configENS1_36segmented_radix_sort_config_selectorIblEEZNS1_25segmented_radix_sort_implIS3_Lb0EPKbPbPKlPlN2at6native12_GLOBAL__N_18offset_tEEE10hipError_tPvRmT1_PNSt15iterator_traitsISK_E10value_typeET2_T3_PNSL_ISQ_E10value_typeET4_jRbjT5_SW_jjP12ihipStream_tbEUlT_E2_NS1_11comp_targetILNS1_3genE8ELNS1_11target_archE1030ELNS1_3gpuE2ELNS1_3repE0EEENS1_30default_config_static_selectorELNS0_4arch9wavefront6targetE1EEEvSK_.num_named_barrier, 0
	.set _ZN7rocprim17ROCPRIM_400000_NS6detail17trampoline_kernelINS0_14default_configENS1_36segmented_radix_sort_config_selectorIblEEZNS1_25segmented_radix_sort_implIS3_Lb0EPKbPbPKlPlN2at6native12_GLOBAL__N_18offset_tEEE10hipError_tPvRmT1_PNSt15iterator_traitsISK_E10value_typeET2_T3_PNSL_ISQ_E10value_typeET4_jRbjT5_SW_jjP12ihipStream_tbEUlT_E2_NS1_11comp_targetILNS1_3genE8ELNS1_11target_archE1030ELNS1_3gpuE2ELNS1_3repE0EEENS1_30default_config_static_selectorELNS0_4arch9wavefront6targetE1EEEvSK_.private_seg_size, 0
	.set _ZN7rocprim17ROCPRIM_400000_NS6detail17trampoline_kernelINS0_14default_configENS1_36segmented_radix_sort_config_selectorIblEEZNS1_25segmented_radix_sort_implIS3_Lb0EPKbPbPKlPlN2at6native12_GLOBAL__N_18offset_tEEE10hipError_tPvRmT1_PNSt15iterator_traitsISK_E10value_typeET2_T3_PNSL_ISQ_E10value_typeET4_jRbjT5_SW_jjP12ihipStream_tbEUlT_E2_NS1_11comp_targetILNS1_3genE8ELNS1_11target_archE1030ELNS1_3gpuE2ELNS1_3repE0EEENS1_30default_config_static_selectorELNS0_4arch9wavefront6targetE1EEEvSK_.uses_vcc, 0
	.set _ZN7rocprim17ROCPRIM_400000_NS6detail17trampoline_kernelINS0_14default_configENS1_36segmented_radix_sort_config_selectorIblEEZNS1_25segmented_radix_sort_implIS3_Lb0EPKbPbPKlPlN2at6native12_GLOBAL__N_18offset_tEEE10hipError_tPvRmT1_PNSt15iterator_traitsISK_E10value_typeET2_T3_PNSL_ISQ_E10value_typeET4_jRbjT5_SW_jjP12ihipStream_tbEUlT_E2_NS1_11comp_targetILNS1_3genE8ELNS1_11target_archE1030ELNS1_3gpuE2ELNS1_3repE0EEENS1_30default_config_static_selectorELNS0_4arch9wavefront6targetE1EEEvSK_.uses_flat_scratch, 0
	.set _ZN7rocprim17ROCPRIM_400000_NS6detail17trampoline_kernelINS0_14default_configENS1_36segmented_radix_sort_config_selectorIblEEZNS1_25segmented_radix_sort_implIS3_Lb0EPKbPbPKlPlN2at6native12_GLOBAL__N_18offset_tEEE10hipError_tPvRmT1_PNSt15iterator_traitsISK_E10value_typeET2_T3_PNSL_ISQ_E10value_typeET4_jRbjT5_SW_jjP12ihipStream_tbEUlT_E2_NS1_11comp_targetILNS1_3genE8ELNS1_11target_archE1030ELNS1_3gpuE2ELNS1_3repE0EEENS1_30default_config_static_selectorELNS0_4arch9wavefront6targetE1EEEvSK_.has_dyn_sized_stack, 0
	.set _ZN7rocprim17ROCPRIM_400000_NS6detail17trampoline_kernelINS0_14default_configENS1_36segmented_radix_sort_config_selectorIblEEZNS1_25segmented_radix_sort_implIS3_Lb0EPKbPbPKlPlN2at6native12_GLOBAL__N_18offset_tEEE10hipError_tPvRmT1_PNSt15iterator_traitsISK_E10value_typeET2_T3_PNSL_ISQ_E10value_typeET4_jRbjT5_SW_jjP12ihipStream_tbEUlT_E2_NS1_11comp_targetILNS1_3genE8ELNS1_11target_archE1030ELNS1_3gpuE2ELNS1_3repE0EEENS1_30default_config_static_selectorELNS0_4arch9wavefront6targetE1EEEvSK_.has_recursion, 0
	.set _ZN7rocprim17ROCPRIM_400000_NS6detail17trampoline_kernelINS0_14default_configENS1_36segmented_radix_sort_config_selectorIblEEZNS1_25segmented_radix_sort_implIS3_Lb0EPKbPbPKlPlN2at6native12_GLOBAL__N_18offset_tEEE10hipError_tPvRmT1_PNSt15iterator_traitsISK_E10value_typeET2_T3_PNSL_ISQ_E10value_typeET4_jRbjT5_SW_jjP12ihipStream_tbEUlT_E2_NS1_11comp_targetILNS1_3genE8ELNS1_11target_archE1030ELNS1_3gpuE2ELNS1_3repE0EEENS1_30default_config_static_selectorELNS0_4arch9wavefront6targetE1EEEvSK_.has_indirect_call, 0
	.section	.AMDGPU.csdata,"",@progbits
; Kernel info:
; codeLenInByte = 0
; TotalNumSgprs: 4
; NumVgprs: 0
; ScratchSize: 0
; MemoryBound: 0
; FloatMode: 240
; IeeeMode: 1
; LDSByteSize: 0 bytes/workgroup (compile time only)
; SGPRBlocks: 0
; VGPRBlocks: 0
; NumSGPRsForWavesPerEU: 4
; NumVGPRsForWavesPerEU: 1
; Occupancy: 10
; WaveLimiterHint : 0
; COMPUTE_PGM_RSRC2:SCRATCH_EN: 0
; COMPUTE_PGM_RSRC2:USER_SGPR: 6
; COMPUTE_PGM_RSRC2:TRAP_HANDLER: 0
; COMPUTE_PGM_RSRC2:TGID_X_EN: 1
; COMPUTE_PGM_RSRC2:TGID_Y_EN: 0
; COMPUTE_PGM_RSRC2:TGID_Z_EN: 0
; COMPUTE_PGM_RSRC2:TIDIG_COMP_CNT: 0
	.section	.text._ZN2at6native12_GLOBAL__N_123sort_postprocess_kernelIN3c104HalfEEEvPKT_PS5_PlPK15HIP_vector_typeIiLj2EEii,"axG",@progbits,_ZN2at6native12_GLOBAL__N_123sort_postprocess_kernelIN3c104HalfEEEvPKT_PS5_PlPK15HIP_vector_typeIiLj2EEii,comdat
	.globl	_ZN2at6native12_GLOBAL__N_123sort_postprocess_kernelIN3c104HalfEEEvPKT_PS5_PlPK15HIP_vector_typeIiLj2EEii ; -- Begin function _ZN2at6native12_GLOBAL__N_123sort_postprocess_kernelIN3c104HalfEEEvPKT_PS5_PlPK15HIP_vector_typeIiLj2EEii
	.p2align	8
	.type	_ZN2at6native12_GLOBAL__N_123sort_postprocess_kernelIN3c104HalfEEEvPKT_PS5_PlPK15HIP_vector_typeIiLj2EEii,@function
_ZN2at6native12_GLOBAL__N_123sort_postprocess_kernelIN3c104HalfEEEvPKT_PS5_PlPK15HIP_vector_typeIiLj2EEii: ; @_ZN2at6native12_GLOBAL__N_123sort_postprocess_kernelIN3c104HalfEEEvPKT_PS5_PlPK15HIP_vector_typeIiLj2EEii
; %bb.0:
	s_load_dword s0, s[4:5], 0x34
	s_load_dwordx2 s[8:9], s[4:5], 0x20
	s_add_u32 s2, s4, 40
	s_addc_u32 s3, s5, 0
	s_waitcnt lgkmcnt(0)
	s_and_b32 s17, s0, 0xffff
	s_mul_hi_u32 s16, s17, s6
	s_mul_i32 s6, s17, s6
	v_mov_b32_e32 v2, s16
	v_add_co_u32_e32 v1, vcc, s6, v0
	s_mul_i32 s0, s9, s8
	v_addc_co_u32_e32 v2, vcc, 0, v2, vcc
	s_ashr_i32 s1, s0, 31
	v_cmp_gt_i64_e32 vcc, s[0:1], v[1:2]
	v_mov_b32_e32 v1, 0
	s_and_saveexec_b64 s[10:11], vcc
	s_cbranch_execz .LBB1674_3
; %bb.1:
	s_abs_i32 s7, s9
	v_cvt_f32_u32_e32 v2, s7
	s_load_dword s18, s[2:3], 0x0
	s_load_dwordx8 s[8:15], s[4:5], 0x0
	s_sub_i32 s2, 0, s7
	v_rcp_iflag_f32_e32 v2, v2
	s_waitcnt lgkmcnt(0)
	s_mul_i32 s4, s18, s17
	v_mov_b32_e32 v4, s13
	v_mov_b32_e32 v5, s15
	v_mul_f32_e32 v2, 0x4f7ffffe, v2
	v_cvt_u32_f32_e32 v6, v2
	v_mov_b32_e32 v2, s9
	v_mul_lo_u32 v3, s2, v6
	s_mov_b64 s[2:3], 0
	v_mul_hi_u32 v7, v6, v3
	v_mov_b32_e32 v3, s11
	v_add_u32_e32 v6, v6, v7
	v_mov_b32_e32 v7, s16
.LBB1674_2:                             ; =>This Inner Loop Header: Depth=1
	v_add_u32_e32 v8, s6, v0
	v_ashrrev_i32_e32 v9, 31, v8
	v_sub_u32_e32 v10, 0, v8
	v_add_u32_e32 v11, v8, v9
	v_max_i32_e32 v8, v8, v10
	v_mul_hi_u32 v10, v8, v6
	v_mul_lo_u32 v10, v10, s7
	v_sub_u32_e32 v8, v8, v10
	v_subrev_u32_e32 v10, s7, v8
	v_cmp_le_u32_e32 vcc, s7, v8
	v_cndmask_b32_e32 v8, v8, v10, vcc
	v_subrev_u32_e32 v10, s7, v8
	v_cmp_le_u32_e32 vcc, s7, v8
	v_cndmask_b32_e32 v8, v8, v10, vcc
	v_xor_b32_e32 v10, v8, v9
	v_sub_u32_e32 v8, v10, v9
	v_sub_u32_e32 v10, v11, v10
	v_ashrrev_i32_e32 v11, 31, v10
	v_lshlrev_b64 v[12:13], 3, v[10:11]
	v_ashrrev_i32_e32 v9, 31, v8
	v_lshlrev_b64 v[14:15], 3, v[8:9]
	v_add_co_u32_e32 v16, vcc, s14, v12
	v_addc_co_u32_e32 v17, vcc, v5, v13, vcc
	v_add_co_u32_e32 v16, vcc, v16, v14
	v_addc_co_u32_e32 v17, vcc, v17, v15, vcc
	global_load_dword v16, v[16:17], off offset:4
	v_lshlrev_b64 v[10:11], 1, v[10:11]
	v_lshlrev_b64 v[8:9], 1, v[8:9]
	v_add_co_u32_e32 v20, vcc, s8, v10
	v_addc_co_u32_e32 v21, vcc, v2, v11, vcc
	s_waitcnt vmcnt(0)
	v_ashrrev_i32_e32 v17, 31, v16
	v_lshlrev_b64 v[18:19], 1, v[16:17]
	v_add_co_u32_e32 v18, vcc, v20, v18
	v_addc_co_u32_e32 v19, vcc, v21, v19, vcc
	global_load_ushort v18, v[18:19], off
	v_add_co_u32_e32 v0, vcc, s4, v0
	v_addc_co_u32_e32 v1, vcc, 0, v1, vcc
	v_add_co_u32_e32 v20, vcc, s6, v0
	v_addc_co_u32_e32 v21, vcc, v7, v1, vcc
	v_cmp_le_i64_e32 vcc, s[0:1], v[20:21]
	s_or_b64 s[2:3], vcc, s[2:3]
	v_add_co_u32_e32 v19, vcc, s10, v10
	v_addc_co_u32_e32 v20, vcc, v3, v11, vcc
	v_add_co_u32_e32 v10, vcc, s12, v12
	v_addc_co_u32_e32 v11, vcc, v4, v13, vcc
	;; [unrolled: 2-line block ×4, first 2 shown]
	global_store_dwordx2 v[10:11], v[16:17], off
	s_waitcnt vmcnt(1)
	global_store_short v[8:9], v18, off
	s_andn2_b64 exec, exec, s[2:3]
	s_cbranch_execnz .LBB1674_2
.LBB1674_3:
	s_endpgm
	.section	.rodata,"a",@progbits
	.p2align	6, 0x0
	.amdhsa_kernel _ZN2at6native12_GLOBAL__N_123sort_postprocess_kernelIN3c104HalfEEEvPKT_PS5_PlPK15HIP_vector_typeIiLj2EEii
		.amdhsa_group_segment_fixed_size 0
		.amdhsa_private_segment_fixed_size 0
		.amdhsa_kernarg_size 296
		.amdhsa_user_sgpr_count 6
		.amdhsa_user_sgpr_private_segment_buffer 1
		.amdhsa_user_sgpr_dispatch_ptr 0
		.amdhsa_user_sgpr_queue_ptr 0
		.amdhsa_user_sgpr_kernarg_segment_ptr 1
		.amdhsa_user_sgpr_dispatch_id 0
		.amdhsa_user_sgpr_flat_scratch_init 0
		.amdhsa_user_sgpr_private_segment_size 0
		.amdhsa_uses_dynamic_stack 0
		.amdhsa_system_sgpr_private_segment_wavefront_offset 0
		.amdhsa_system_sgpr_workgroup_id_x 1
		.amdhsa_system_sgpr_workgroup_id_y 0
		.amdhsa_system_sgpr_workgroup_id_z 0
		.amdhsa_system_sgpr_workgroup_info 0
		.amdhsa_system_vgpr_workitem_id 0
		.amdhsa_next_free_vgpr 22
		.amdhsa_next_free_sgpr 19
		.amdhsa_reserve_vcc 1
		.amdhsa_reserve_flat_scratch 0
		.amdhsa_float_round_mode_32 0
		.amdhsa_float_round_mode_16_64 0
		.amdhsa_float_denorm_mode_32 3
		.amdhsa_float_denorm_mode_16_64 3
		.amdhsa_dx10_clamp 1
		.amdhsa_ieee_mode 1
		.amdhsa_fp16_overflow 0
		.amdhsa_exception_fp_ieee_invalid_op 0
		.amdhsa_exception_fp_denorm_src 0
		.amdhsa_exception_fp_ieee_div_zero 0
		.amdhsa_exception_fp_ieee_overflow 0
		.amdhsa_exception_fp_ieee_underflow 0
		.amdhsa_exception_fp_ieee_inexact 0
		.amdhsa_exception_int_div_zero 0
	.end_amdhsa_kernel
	.section	.text._ZN2at6native12_GLOBAL__N_123sort_postprocess_kernelIN3c104HalfEEEvPKT_PS5_PlPK15HIP_vector_typeIiLj2EEii,"axG",@progbits,_ZN2at6native12_GLOBAL__N_123sort_postprocess_kernelIN3c104HalfEEEvPKT_PS5_PlPK15HIP_vector_typeIiLj2EEii,comdat
.Lfunc_end1674:
	.size	_ZN2at6native12_GLOBAL__N_123sort_postprocess_kernelIN3c104HalfEEEvPKT_PS5_PlPK15HIP_vector_typeIiLj2EEii, .Lfunc_end1674-_ZN2at6native12_GLOBAL__N_123sort_postprocess_kernelIN3c104HalfEEEvPKT_PS5_PlPK15HIP_vector_typeIiLj2EEii
                                        ; -- End function
	.set _ZN2at6native12_GLOBAL__N_123sort_postprocess_kernelIN3c104HalfEEEvPKT_PS5_PlPK15HIP_vector_typeIiLj2EEii.num_vgpr, 22
	.set _ZN2at6native12_GLOBAL__N_123sort_postprocess_kernelIN3c104HalfEEEvPKT_PS5_PlPK15HIP_vector_typeIiLj2EEii.num_agpr, 0
	.set _ZN2at6native12_GLOBAL__N_123sort_postprocess_kernelIN3c104HalfEEEvPKT_PS5_PlPK15HIP_vector_typeIiLj2EEii.numbered_sgpr, 19
	.set _ZN2at6native12_GLOBAL__N_123sort_postprocess_kernelIN3c104HalfEEEvPKT_PS5_PlPK15HIP_vector_typeIiLj2EEii.num_named_barrier, 0
	.set _ZN2at6native12_GLOBAL__N_123sort_postprocess_kernelIN3c104HalfEEEvPKT_PS5_PlPK15HIP_vector_typeIiLj2EEii.private_seg_size, 0
	.set _ZN2at6native12_GLOBAL__N_123sort_postprocess_kernelIN3c104HalfEEEvPKT_PS5_PlPK15HIP_vector_typeIiLj2EEii.uses_vcc, 1
	.set _ZN2at6native12_GLOBAL__N_123sort_postprocess_kernelIN3c104HalfEEEvPKT_PS5_PlPK15HIP_vector_typeIiLj2EEii.uses_flat_scratch, 0
	.set _ZN2at6native12_GLOBAL__N_123sort_postprocess_kernelIN3c104HalfEEEvPKT_PS5_PlPK15HIP_vector_typeIiLj2EEii.has_dyn_sized_stack, 0
	.set _ZN2at6native12_GLOBAL__N_123sort_postprocess_kernelIN3c104HalfEEEvPKT_PS5_PlPK15HIP_vector_typeIiLj2EEii.has_recursion, 0
	.set _ZN2at6native12_GLOBAL__N_123sort_postprocess_kernelIN3c104HalfEEEvPKT_PS5_PlPK15HIP_vector_typeIiLj2EEii.has_indirect_call, 0
	.section	.AMDGPU.csdata,"",@progbits
; Kernel info:
; codeLenInByte = 444
; TotalNumSgprs: 23
; NumVgprs: 22
; ScratchSize: 0
; MemoryBound: 0
; FloatMode: 240
; IeeeMode: 1
; LDSByteSize: 0 bytes/workgroup (compile time only)
; SGPRBlocks: 2
; VGPRBlocks: 5
; NumSGPRsForWavesPerEU: 23
; NumVGPRsForWavesPerEU: 22
; Occupancy: 10
; WaveLimiterHint : 1
; COMPUTE_PGM_RSRC2:SCRATCH_EN: 0
; COMPUTE_PGM_RSRC2:USER_SGPR: 6
; COMPUTE_PGM_RSRC2:TRAP_HANDLER: 0
; COMPUTE_PGM_RSRC2:TGID_X_EN: 1
; COMPUTE_PGM_RSRC2:TGID_Y_EN: 0
; COMPUTE_PGM_RSRC2:TGID_Z_EN: 0
; COMPUTE_PGM_RSRC2:TIDIG_COMP_CNT: 0
	.section	.text._ZN7rocprim17ROCPRIM_400000_NS6detail17trampoline_kernelINS0_13select_configILj256ELj13ELNS0_17block_load_methodE3ELS4_3ELS4_3ELNS0_20block_scan_algorithmE0ELj4294967295EEENS1_25partition_config_selectorILNS1_17partition_subalgoE4EjNS0_10empty_typeEbEEZZNS1_14partition_implILS8_4ELb0ES6_15HIP_vector_typeIjLj2EENS0_17counting_iteratorIjlEEPS9_SG_NS0_5tupleIJPjSI_NS0_16reverse_iteratorISI_EEEEENSH_IJSG_SG_SG_EEES9_SI_JZNS1_25segmented_radix_sort_implINS0_14default_configELb1EPK6__halfPSP_PKlPlN2at6native12_GLOBAL__N_18offset_tEEE10hipError_tPvRmT1_PNSt15iterator_traitsIS13_E10value_typeET2_T3_PNS14_IS19_E10value_typeET4_jRbjT5_S1F_jjP12ihipStream_tbEUljE_ZNSN_ISO_Lb1ESR_SS_SU_SV_SZ_EES10_S11_S12_S13_S17_S18_S19_S1C_S1D_jS1E_jS1F_S1F_jjS1H_bEUljE0_EEES10_S11_S12_S19_S1D_S1F_T6_T7_T9_mT8_S1H_bDpT10_ENKUlT_T0_E_clISt17integral_constantIbLb0EES1V_EEDaS1Q_S1R_EUlS1Q_E_NS1_11comp_targetILNS1_3genE0ELNS1_11target_archE4294967295ELNS1_3gpuE0ELNS1_3repE0EEENS1_30default_config_static_selectorELNS0_4arch9wavefront6targetE1EEEvS13_,"axG",@progbits,_ZN7rocprim17ROCPRIM_400000_NS6detail17trampoline_kernelINS0_13select_configILj256ELj13ELNS0_17block_load_methodE3ELS4_3ELS4_3ELNS0_20block_scan_algorithmE0ELj4294967295EEENS1_25partition_config_selectorILNS1_17partition_subalgoE4EjNS0_10empty_typeEbEEZZNS1_14partition_implILS8_4ELb0ES6_15HIP_vector_typeIjLj2EENS0_17counting_iteratorIjlEEPS9_SG_NS0_5tupleIJPjSI_NS0_16reverse_iteratorISI_EEEEENSH_IJSG_SG_SG_EEES9_SI_JZNS1_25segmented_radix_sort_implINS0_14default_configELb1EPK6__halfPSP_PKlPlN2at6native12_GLOBAL__N_18offset_tEEE10hipError_tPvRmT1_PNSt15iterator_traitsIS13_E10value_typeET2_T3_PNS14_IS19_E10value_typeET4_jRbjT5_S1F_jjP12ihipStream_tbEUljE_ZNSN_ISO_Lb1ESR_SS_SU_SV_SZ_EES10_S11_S12_S13_S17_S18_S19_S1C_S1D_jS1E_jS1F_S1F_jjS1H_bEUljE0_EEES10_S11_S12_S19_S1D_S1F_T6_T7_T9_mT8_S1H_bDpT10_ENKUlT_T0_E_clISt17integral_constantIbLb0EES1V_EEDaS1Q_S1R_EUlS1Q_E_NS1_11comp_targetILNS1_3genE0ELNS1_11target_archE4294967295ELNS1_3gpuE0ELNS1_3repE0EEENS1_30default_config_static_selectorELNS0_4arch9wavefront6targetE1EEEvS13_,comdat
	.globl	_ZN7rocprim17ROCPRIM_400000_NS6detail17trampoline_kernelINS0_13select_configILj256ELj13ELNS0_17block_load_methodE3ELS4_3ELS4_3ELNS0_20block_scan_algorithmE0ELj4294967295EEENS1_25partition_config_selectorILNS1_17partition_subalgoE4EjNS0_10empty_typeEbEEZZNS1_14partition_implILS8_4ELb0ES6_15HIP_vector_typeIjLj2EENS0_17counting_iteratorIjlEEPS9_SG_NS0_5tupleIJPjSI_NS0_16reverse_iteratorISI_EEEEENSH_IJSG_SG_SG_EEES9_SI_JZNS1_25segmented_radix_sort_implINS0_14default_configELb1EPK6__halfPSP_PKlPlN2at6native12_GLOBAL__N_18offset_tEEE10hipError_tPvRmT1_PNSt15iterator_traitsIS13_E10value_typeET2_T3_PNS14_IS19_E10value_typeET4_jRbjT5_S1F_jjP12ihipStream_tbEUljE_ZNSN_ISO_Lb1ESR_SS_SU_SV_SZ_EES10_S11_S12_S13_S17_S18_S19_S1C_S1D_jS1E_jS1F_S1F_jjS1H_bEUljE0_EEES10_S11_S12_S19_S1D_S1F_T6_T7_T9_mT8_S1H_bDpT10_ENKUlT_T0_E_clISt17integral_constantIbLb0EES1V_EEDaS1Q_S1R_EUlS1Q_E_NS1_11comp_targetILNS1_3genE0ELNS1_11target_archE4294967295ELNS1_3gpuE0ELNS1_3repE0EEENS1_30default_config_static_selectorELNS0_4arch9wavefront6targetE1EEEvS13_ ; -- Begin function _ZN7rocprim17ROCPRIM_400000_NS6detail17trampoline_kernelINS0_13select_configILj256ELj13ELNS0_17block_load_methodE3ELS4_3ELS4_3ELNS0_20block_scan_algorithmE0ELj4294967295EEENS1_25partition_config_selectorILNS1_17partition_subalgoE4EjNS0_10empty_typeEbEEZZNS1_14partition_implILS8_4ELb0ES6_15HIP_vector_typeIjLj2EENS0_17counting_iteratorIjlEEPS9_SG_NS0_5tupleIJPjSI_NS0_16reverse_iteratorISI_EEEEENSH_IJSG_SG_SG_EEES9_SI_JZNS1_25segmented_radix_sort_implINS0_14default_configELb1EPK6__halfPSP_PKlPlN2at6native12_GLOBAL__N_18offset_tEEE10hipError_tPvRmT1_PNSt15iterator_traitsIS13_E10value_typeET2_T3_PNS14_IS19_E10value_typeET4_jRbjT5_S1F_jjP12ihipStream_tbEUljE_ZNSN_ISO_Lb1ESR_SS_SU_SV_SZ_EES10_S11_S12_S13_S17_S18_S19_S1C_S1D_jS1E_jS1F_S1F_jjS1H_bEUljE0_EEES10_S11_S12_S19_S1D_S1F_T6_T7_T9_mT8_S1H_bDpT10_ENKUlT_T0_E_clISt17integral_constantIbLb0EES1V_EEDaS1Q_S1R_EUlS1Q_E_NS1_11comp_targetILNS1_3genE0ELNS1_11target_archE4294967295ELNS1_3gpuE0ELNS1_3repE0EEENS1_30default_config_static_selectorELNS0_4arch9wavefront6targetE1EEEvS13_
	.p2align	8
	.type	_ZN7rocprim17ROCPRIM_400000_NS6detail17trampoline_kernelINS0_13select_configILj256ELj13ELNS0_17block_load_methodE3ELS4_3ELS4_3ELNS0_20block_scan_algorithmE0ELj4294967295EEENS1_25partition_config_selectorILNS1_17partition_subalgoE4EjNS0_10empty_typeEbEEZZNS1_14partition_implILS8_4ELb0ES6_15HIP_vector_typeIjLj2EENS0_17counting_iteratorIjlEEPS9_SG_NS0_5tupleIJPjSI_NS0_16reverse_iteratorISI_EEEEENSH_IJSG_SG_SG_EEES9_SI_JZNS1_25segmented_radix_sort_implINS0_14default_configELb1EPK6__halfPSP_PKlPlN2at6native12_GLOBAL__N_18offset_tEEE10hipError_tPvRmT1_PNSt15iterator_traitsIS13_E10value_typeET2_T3_PNS14_IS19_E10value_typeET4_jRbjT5_S1F_jjP12ihipStream_tbEUljE_ZNSN_ISO_Lb1ESR_SS_SU_SV_SZ_EES10_S11_S12_S13_S17_S18_S19_S1C_S1D_jS1E_jS1F_S1F_jjS1H_bEUljE0_EEES10_S11_S12_S19_S1D_S1F_T6_T7_T9_mT8_S1H_bDpT10_ENKUlT_T0_E_clISt17integral_constantIbLb0EES1V_EEDaS1Q_S1R_EUlS1Q_E_NS1_11comp_targetILNS1_3genE0ELNS1_11target_archE4294967295ELNS1_3gpuE0ELNS1_3repE0EEENS1_30default_config_static_selectorELNS0_4arch9wavefront6targetE1EEEvS13_,@function
_ZN7rocprim17ROCPRIM_400000_NS6detail17trampoline_kernelINS0_13select_configILj256ELj13ELNS0_17block_load_methodE3ELS4_3ELS4_3ELNS0_20block_scan_algorithmE0ELj4294967295EEENS1_25partition_config_selectorILNS1_17partition_subalgoE4EjNS0_10empty_typeEbEEZZNS1_14partition_implILS8_4ELb0ES6_15HIP_vector_typeIjLj2EENS0_17counting_iteratorIjlEEPS9_SG_NS0_5tupleIJPjSI_NS0_16reverse_iteratorISI_EEEEENSH_IJSG_SG_SG_EEES9_SI_JZNS1_25segmented_radix_sort_implINS0_14default_configELb1EPK6__halfPSP_PKlPlN2at6native12_GLOBAL__N_18offset_tEEE10hipError_tPvRmT1_PNSt15iterator_traitsIS13_E10value_typeET2_T3_PNS14_IS19_E10value_typeET4_jRbjT5_S1F_jjP12ihipStream_tbEUljE_ZNSN_ISO_Lb1ESR_SS_SU_SV_SZ_EES10_S11_S12_S13_S17_S18_S19_S1C_S1D_jS1E_jS1F_S1F_jjS1H_bEUljE0_EEES10_S11_S12_S19_S1D_S1F_T6_T7_T9_mT8_S1H_bDpT10_ENKUlT_T0_E_clISt17integral_constantIbLb0EES1V_EEDaS1Q_S1R_EUlS1Q_E_NS1_11comp_targetILNS1_3genE0ELNS1_11target_archE4294967295ELNS1_3gpuE0ELNS1_3repE0EEENS1_30default_config_static_selectorELNS0_4arch9wavefront6targetE1EEEvS13_: ; @_ZN7rocprim17ROCPRIM_400000_NS6detail17trampoline_kernelINS0_13select_configILj256ELj13ELNS0_17block_load_methodE3ELS4_3ELS4_3ELNS0_20block_scan_algorithmE0ELj4294967295EEENS1_25partition_config_selectorILNS1_17partition_subalgoE4EjNS0_10empty_typeEbEEZZNS1_14partition_implILS8_4ELb0ES6_15HIP_vector_typeIjLj2EENS0_17counting_iteratorIjlEEPS9_SG_NS0_5tupleIJPjSI_NS0_16reverse_iteratorISI_EEEEENSH_IJSG_SG_SG_EEES9_SI_JZNS1_25segmented_radix_sort_implINS0_14default_configELb1EPK6__halfPSP_PKlPlN2at6native12_GLOBAL__N_18offset_tEEE10hipError_tPvRmT1_PNSt15iterator_traitsIS13_E10value_typeET2_T3_PNS14_IS19_E10value_typeET4_jRbjT5_S1F_jjP12ihipStream_tbEUljE_ZNSN_ISO_Lb1ESR_SS_SU_SV_SZ_EES10_S11_S12_S13_S17_S18_S19_S1C_S1D_jS1E_jS1F_S1F_jjS1H_bEUljE0_EEES10_S11_S12_S19_S1D_S1F_T6_T7_T9_mT8_S1H_bDpT10_ENKUlT_T0_E_clISt17integral_constantIbLb0EES1V_EEDaS1Q_S1R_EUlS1Q_E_NS1_11comp_targetILNS1_3genE0ELNS1_11target_archE4294967295ELNS1_3gpuE0ELNS1_3repE0EEENS1_30default_config_static_selectorELNS0_4arch9wavefront6targetE1EEEvS13_
; %bb.0:
	.section	.rodata,"a",@progbits
	.p2align	6, 0x0
	.amdhsa_kernel _ZN7rocprim17ROCPRIM_400000_NS6detail17trampoline_kernelINS0_13select_configILj256ELj13ELNS0_17block_load_methodE3ELS4_3ELS4_3ELNS0_20block_scan_algorithmE0ELj4294967295EEENS1_25partition_config_selectorILNS1_17partition_subalgoE4EjNS0_10empty_typeEbEEZZNS1_14partition_implILS8_4ELb0ES6_15HIP_vector_typeIjLj2EENS0_17counting_iteratorIjlEEPS9_SG_NS0_5tupleIJPjSI_NS0_16reverse_iteratorISI_EEEEENSH_IJSG_SG_SG_EEES9_SI_JZNS1_25segmented_radix_sort_implINS0_14default_configELb1EPK6__halfPSP_PKlPlN2at6native12_GLOBAL__N_18offset_tEEE10hipError_tPvRmT1_PNSt15iterator_traitsIS13_E10value_typeET2_T3_PNS14_IS19_E10value_typeET4_jRbjT5_S1F_jjP12ihipStream_tbEUljE_ZNSN_ISO_Lb1ESR_SS_SU_SV_SZ_EES10_S11_S12_S13_S17_S18_S19_S1C_S1D_jS1E_jS1F_S1F_jjS1H_bEUljE0_EEES10_S11_S12_S19_S1D_S1F_T6_T7_T9_mT8_S1H_bDpT10_ENKUlT_T0_E_clISt17integral_constantIbLb0EES1V_EEDaS1Q_S1R_EUlS1Q_E_NS1_11comp_targetILNS1_3genE0ELNS1_11target_archE4294967295ELNS1_3gpuE0ELNS1_3repE0EEENS1_30default_config_static_selectorELNS0_4arch9wavefront6targetE1EEEvS13_
		.amdhsa_group_segment_fixed_size 0
		.amdhsa_private_segment_fixed_size 0
		.amdhsa_kernarg_size 176
		.amdhsa_user_sgpr_count 6
		.amdhsa_user_sgpr_private_segment_buffer 1
		.amdhsa_user_sgpr_dispatch_ptr 0
		.amdhsa_user_sgpr_queue_ptr 0
		.amdhsa_user_sgpr_kernarg_segment_ptr 1
		.amdhsa_user_sgpr_dispatch_id 0
		.amdhsa_user_sgpr_flat_scratch_init 0
		.amdhsa_user_sgpr_private_segment_size 0
		.amdhsa_uses_dynamic_stack 0
		.amdhsa_system_sgpr_private_segment_wavefront_offset 0
		.amdhsa_system_sgpr_workgroup_id_x 1
		.amdhsa_system_sgpr_workgroup_id_y 0
		.amdhsa_system_sgpr_workgroup_id_z 0
		.amdhsa_system_sgpr_workgroup_info 0
		.amdhsa_system_vgpr_workitem_id 0
		.amdhsa_next_free_vgpr 1
		.amdhsa_next_free_sgpr 0
		.amdhsa_reserve_vcc 0
		.amdhsa_reserve_flat_scratch 0
		.amdhsa_float_round_mode_32 0
		.amdhsa_float_round_mode_16_64 0
		.amdhsa_float_denorm_mode_32 3
		.amdhsa_float_denorm_mode_16_64 3
		.amdhsa_dx10_clamp 1
		.amdhsa_ieee_mode 1
		.amdhsa_fp16_overflow 0
		.amdhsa_exception_fp_ieee_invalid_op 0
		.amdhsa_exception_fp_denorm_src 0
		.amdhsa_exception_fp_ieee_div_zero 0
		.amdhsa_exception_fp_ieee_overflow 0
		.amdhsa_exception_fp_ieee_underflow 0
		.amdhsa_exception_fp_ieee_inexact 0
		.amdhsa_exception_int_div_zero 0
	.end_amdhsa_kernel
	.section	.text._ZN7rocprim17ROCPRIM_400000_NS6detail17trampoline_kernelINS0_13select_configILj256ELj13ELNS0_17block_load_methodE3ELS4_3ELS4_3ELNS0_20block_scan_algorithmE0ELj4294967295EEENS1_25partition_config_selectorILNS1_17partition_subalgoE4EjNS0_10empty_typeEbEEZZNS1_14partition_implILS8_4ELb0ES6_15HIP_vector_typeIjLj2EENS0_17counting_iteratorIjlEEPS9_SG_NS0_5tupleIJPjSI_NS0_16reverse_iteratorISI_EEEEENSH_IJSG_SG_SG_EEES9_SI_JZNS1_25segmented_radix_sort_implINS0_14default_configELb1EPK6__halfPSP_PKlPlN2at6native12_GLOBAL__N_18offset_tEEE10hipError_tPvRmT1_PNSt15iterator_traitsIS13_E10value_typeET2_T3_PNS14_IS19_E10value_typeET4_jRbjT5_S1F_jjP12ihipStream_tbEUljE_ZNSN_ISO_Lb1ESR_SS_SU_SV_SZ_EES10_S11_S12_S13_S17_S18_S19_S1C_S1D_jS1E_jS1F_S1F_jjS1H_bEUljE0_EEES10_S11_S12_S19_S1D_S1F_T6_T7_T9_mT8_S1H_bDpT10_ENKUlT_T0_E_clISt17integral_constantIbLb0EES1V_EEDaS1Q_S1R_EUlS1Q_E_NS1_11comp_targetILNS1_3genE0ELNS1_11target_archE4294967295ELNS1_3gpuE0ELNS1_3repE0EEENS1_30default_config_static_selectorELNS0_4arch9wavefront6targetE1EEEvS13_,"axG",@progbits,_ZN7rocprim17ROCPRIM_400000_NS6detail17trampoline_kernelINS0_13select_configILj256ELj13ELNS0_17block_load_methodE3ELS4_3ELS4_3ELNS0_20block_scan_algorithmE0ELj4294967295EEENS1_25partition_config_selectorILNS1_17partition_subalgoE4EjNS0_10empty_typeEbEEZZNS1_14partition_implILS8_4ELb0ES6_15HIP_vector_typeIjLj2EENS0_17counting_iteratorIjlEEPS9_SG_NS0_5tupleIJPjSI_NS0_16reverse_iteratorISI_EEEEENSH_IJSG_SG_SG_EEES9_SI_JZNS1_25segmented_radix_sort_implINS0_14default_configELb1EPK6__halfPSP_PKlPlN2at6native12_GLOBAL__N_18offset_tEEE10hipError_tPvRmT1_PNSt15iterator_traitsIS13_E10value_typeET2_T3_PNS14_IS19_E10value_typeET4_jRbjT5_S1F_jjP12ihipStream_tbEUljE_ZNSN_ISO_Lb1ESR_SS_SU_SV_SZ_EES10_S11_S12_S13_S17_S18_S19_S1C_S1D_jS1E_jS1F_S1F_jjS1H_bEUljE0_EEES10_S11_S12_S19_S1D_S1F_T6_T7_T9_mT8_S1H_bDpT10_ENKUlT_T0_E_clISt17integral_constantIbLb0EES1V_EEDaS1Q_S1R_EUlS1Q_E_NS1_11comp_targetILNS1_3genE0ELNS1_11target_archE4294967295ELNS1_3gpuE0ELNS1_3repE0EEENS1_30default_config_static_selectorELNS0_4arch9wavefront6targetE1EEEvS13_,comdat
.Lfunc_end1675:
	.size	_ZN7rocprim17ROCPRIM_400000_NS6detail17trampoline_kernelINS0_13select_configILj256ELj13ELNS0_17block_load_methodE3ELS4_3ELS4_3ELNS0_20block_scan_algorithmE0ELj4294967295EEENS1_25partition_config_selectorILNS1_17partition_subalgoE4EjNS0_10empty_typeEbEEZZNS1_14partition_implILS8_4ELb0ES6_15HIP_vector_typeIjLj2EENS0_17counting_iteratorIjlEEPS9_SG_NS0_5tupleIJPjSI_NS0_16reverse_iteratorISI_EEEEENSH_IJSG_SG_SG_EEES9_SI_JZNS1_25segmented_radix_sort_implINS0_14default_configELb1EPK6__halfPSP_PKlPlN2at6native12_GLOBAL__N_18offset_tEEE10hipError_tPvRmT1_PNSt15iterator_traitsIS13_E10value_typeET2_T3_PNS14_IS19_E10value_typeET4_jRbjT5_S1F_jjP12ihipStream_tbEUljE_ZNSN_ISO_Lb1ESR_SS_SU_SV_SZ_EES10_S11_S12_S13_S17_S18_S19_S1C_S1D_jS1E_jS1F_S1F_jjS1H_bEUljE0_EEES10_S11_S12_S19_S1D_S1F_T6_T7_T9_mT8_S1H_bDpT10_ENKUlT_T0_E_clISt17integral_constantIbLb0EES1V_EEDaS1Q_S1R_EUlS1Q_E_NS1_11comp_targetILNS1_3genE0ELNS1_11target_archE4294967295ELNS1_3gpuE0ELNS1_3repE0EEENS1_30default_config_static_selectorELNS0_4arch9wavefront6targetE1EEEvS13_, .Lfunc_end1675-_ZN7rocprim17ROCPRIM_400000_NS6detail17trampoline_kernelINS0_13select_configILj256ELj13ELNS0_17block_load_methodE3ELS4_3ELS4_3ELNS0_20block_scan_algorithmE0ELj4294967295EEENS1_25partition_config_selectorILNS1_17partition_subalgoE4EjNS0_10empty_typeEbEEZZNS1_14partition_implILS8_4ELb0ES6_15HIP_vector_typeIjLj2EENS0_17counting_iteratorIjlEEPS9_SG_NS0_5tupleIJPjSI_NS0_16reverse_iteratorISI_EEEEENSH_IJSG_SG_SG_EEES9_SI_JZNS1_25segmented_radix_sort_implINS0_14default_configELb1EPK6__halfPSP_PKlPlN2at6native12_GLOBAL__N_18offset_tEEE10hipError_tPvRmT1_PNSt15iterator_traitsIS13_E10value_typeET2_T3_PNS14_IS19_E10value_typeET4_jRbjT5_S1F_jjP12ihipStream_tbEUljE_ZNSN_ISO_Lb1ESR_SS_SU_SV_SZ_EES10_S11_S12_S13_S17_S18_S19_S1C_S1D_jS1E_jS1F_S1F_jjS1H_bEUljE0_EEES10_S11_S12_S19_S1D_S1F_T6_T7_T9_mT8_S1H_bDpT10_ENKUlT_T0_E_clISt17integral_constantIbLb0EES1V_EEDaS1Q_S1R_EUlS1Q_E_NS1_11comp_targetILNS1_3genE0ELNS1_11target_archE4294967295ELNS1_3gpuE0ELNS1_3repE0EEENS1_30default_config_static_selectorELNS0_4arch9wavefront6targetE1EEEvS13_
                                        ; -- End function
	.set _ZN7rocprim17ROCPRIM_400000_NS6detail17trampoline_kernelINS0_13select_configILj256ELj13ELNS0_17block_load_methodE3ELS4_3ELS4_3ELNS0_20block_scan_algorithmE0ELj4294967295EEENS1_25partition_config_selectorILNS1_17partition_subalgoE4EjNS0_10empty_typeEbEEZZNS1_14partition_implILS8_4ELb0ES6_15HIP_vector_typeIjLj2EENS0_17counting_iteratorIjlEEPS9_SG_NS0_5tupleIJPjSI_NS0_16reverse_iteratorISI_EEEEENSH_IJSG_SG_SG_EEES9_SI_JZNS1_25segmented_radix_sort_implINS0_14default_configELb1EPK6__halfPSP_PKlPlN2at6native12_GLOBAL__N_18offset_tEEE10hipError_tPvRmT1_PNSt15iterator_traitsIS13_E10value_typeET2_T3_PNS14_IS19_E10value_typeET4_jRbjT5_S1F_jjP12ihipStream_tbEUljE_ZNSN_ISO_Lb1ESR_SS_SU_SV_SZ_EES10_S11_S12_S13_S17_S18_S19_S1C_S1D_jS1E_jS1F_S1F_jjS1H_bEUljE0_EEES10_S11_S12_S19_S1D_S1F_T6_T7_T9_mT8_S1H_bDpT10_ENKUlT_T0_E_clISt17integral_constantIbLb0EES1V_EEDaS1Q_S1R_EUlS1Q_E_NS1_11comp_targetILNS1_3genE0ELNS1_11target_archE4294967295ELNS1_3gpuE0ELNS1_3repE0EEENS1_30default_config_static_selectorELNS0_4arch9wavefront6targetE1EEEvS13_.num_vgpr, 0
	.set _ZN7rocprim17ROCPRIM_400000_NS6detail17trampoline_kernelINS0_13select_configILj256ELj13ELNS0_17block_load_methodE3ELS4_3ELS4_3ELNS0_20block_scan_algorithmE0ELj4294967295EEENS1_25partition_config_selectorILNS1_17partition_subalgoE4EjNS0_10empty_typeEbEEZZNS1_14partition_implILS8_4ELb0ES6_15HIP_vector_typeIjLj2EENS0_17counting_iteratorIjlEEPS9_SG_NS0_5tupleIJPjSI_NS0_16reverse_iteratorISI_EEEEENSH_IJSG_SG_SG_EEES9_SI_JZNS1_25segmented_radix_sort_implINS0_14default_configELb1EPK6__halfPSP_PKlPlN2at6native12_GLOBAL__N_18offset_tEEE10hipError_tPvRmT1_PNSt15iterator_traitsIS13_E10value_typeET2_T3_PNS14_IS19_E10value_typeET4_jRbjT5_S1F_jjP12ihipStream_tbEUljE_ZNSN_ISO_Lb1ESR_SS_SU_SV_SZ_EES10_S11_S12_S13_S17_S18_S19_S1C_S1D_jS1E_jS1F_S1F_jjS1H_bEUljE0_EEES10_S11_S12_S19_S1D_S1F_T6_T7_T9_mT8_S1H_bDpT10_ENKUlT_T0_E_clISt17integral_constantIbLb0EES1V_EEDaS1Q_S1R_EUlS1Q_E_NS1_11comp_targetILNS1_3genE0ELNS1_11target_archE4294967295ELNS1_3gpuE0ELNS1_3repE0EEENS1_30default_config_static_selectorELNS0_4arch9wavefront6targetE1EEEvS13_.num_agpr, 0
	.set _ZN7rocprim17ROCPRIM_400000_NS6detail17trampoline_kernelINS0_13select_configILj256ELj13ELNS0_17block_load_methodE3ELS4_3ELS4_3ELNS0_20block_scan_algorithmE0ELj4294967295EEENS1_25partition_config_selectorILNS1_17partition_subalgoE4EjNS0_10empty_typeEbEEZZNS1_14partition_implILS8_4ELb0ES6_15HIP_vector_typeIjLj2EENS0_17counting_iteratorIjlEEPS9_SG_NS0_5tupleIJPjSI_NS0_16reverse_iteratorISI_EEEEENSH_IJSG_SG_SG_EEES9_SI_JZNS1_25segmented_radix_sort_implINS0_14default_configELb1EPK6__halfPSP_PKlPlN2at6native12_GLOBAL__N_18offset_tEEE10hipError_tPvRmT1_PNSt15iterator_traitsIS13_E10value_typeET2_T3_PNS14_IS19_E10value_typeET4_jRbjT5_S1F_jjP12ihipStream_tbEUljE_ZNSN_ISO_Lb1ESR_SS_SU_SV_SZ_EES10_S11_S12_S13_S17_S18_S19_S1C_S1D_jS1E_jS1F_S1F_jjS1H_bEUljE0_EEES10_S11_S12_S19_S1D_S1F_T6_T7_T9_mT8_S1H_bDpT10_ENKUlT_T0_E_clISt17integral_constantIbLb0EES1V_EEDaS1Q_S1R_EUlS1Q_E_NS1_11comp_targetILNS1_3genE0ELNS1_11target_archE4294967295ELNS1_3gpuE0ELNS1_3repE0EEENS1_30default_config_static_selectorELNS0_4arch9wavefront6targetE1EEEvS13_.numbered_sgpr, 0
	.set _ZN7rocprim17ROCPRIM_400000_NS6detail17trampoline_kernelINS0_13select_configILj256ELj13ELNS0_17block_load_methodE3ELS4_3ELS4_3ELNS0_20block_scan_algorithmE0ELj4294967295EEENS1_25partition_config_selectorILNS1_17partition_subalgoE4EjNS0_10empty_typeEbEEZZNS1_14partition_implILS8_4ELb0ES6_15HIP_vector_typeIjLj2EENS0_17counting_iteratorIjlEEPS9_SG_NS0_5tupleIJPjSI_NS0_16reverse_iteratorISI_EEEEENSH_IJSG_SG_SG_EEES9_SI_JZNS1_25segmented_radix_sort_implINS0_14default_configELb1EPK6__halfPSP_PKlPlN2at6native12_GLOBAL__N_18offset_tEEE10hipError_tPvRmT1_PNSt15iterator_traitsIS13_E10value_typeET2_T3_PNS14_IS19_E10value_typeET4_jRbjT5_S1F_jjP12ihipStream_tbEUljE_ZNSN_ISO_Lb1ESR_SS_SU_SV_SZ_EES10_S11_S12_S13_S17_S18_S19_S1C_S1D_jS1E_jS1F_S1F_jjS1H_bEUljE0_EEES10_S11_S12_S19_S1D_S1F_T6_T7_T9_mT8_S1H_bDpT10_ENKUlT_T0_E_clISt17integral_constantIbLb0EES1V_EEDaS1Q_S1R_EUlS1Q_E_NS1_11comp_targetILNS1_3genE0ELNS1_11target_archE4294967295ELNS1_3gpuE0ELNS1_3repE0EEENS1_30default_config_static_selectorELNS0_4arch9wavefront6targetE1EEEvS13_.num_named_barrier, 0
	.set _ZN7rocprim17ROCPRIM_400000_NS6detail17trampoline_kernelINS0_13select_configILj256ELj13ELNS0_17block_load_methodE3ELS4_3ELS4_3ELNS0_20block_scan_algorithmE0ELj4294967295EEENS1_25partition_config_selectorILNS1_17partition_subalgoE4EjNS0_10empty_typeEbEEZZNS1_14partition_implILS8_4ELb0ES6_15HIP_vector_typeIjLj2EENS0_17counting_iteratorIjlEEPS9_SG_NS0_5tupleIJPjSI_NS0_16reverse_iteratorISI_EEEEENSH_IJSG_SG_SG_EEES9_SI_JZNS1_25segmented_radix_sort_implINS0_14default_configELb1EPK6__halfPSP_PKlPlN2at6native12_GLOBAL__N_18offset_tEEE10hipError_tPvRmT1_PNSt15iterator_traitsIS13_E10value_typeET2_T3_PNS14_IS19_E10value_typeET4_jRbjT5_S1F_jjP12ihipStream_tbEUljE_ZNSN_ISO_Lb1ESR_SS_SU_SV_SZ_EES10_S11_S12_S13_S17_S18_S19_S1C_S1D_jS1E_jS1F_S1F_jjS1H_bEUljE0_EEES10_S11_S12_S19_S1D_S1F_T6_T7_T9_mT8_S1H_bDpT10_ENKUlT_T0_E_clISt17integral_constantIbLb0EES1V_EEDaS1Q_S1R_EUlS1Q_E_NS1_11comp_targetILNS1_3genE0ELNS1_11target_archE4294967295ELNS1_3gpuE0ELNS1_3repE0EEENS1_30default_config_static_selectorELNS0_4arch9wavefront6targetE1EEEvS13_.private_seg_size, 0
	.set _ZN7rocprim17ROCPRIM_400000_NS6detail17trampoline_kernelINS0_13select_configILj256ELj13ELNS0_17block_load_methodE3ELS4_3ELS4_3ELNS0_20block_scan_algorithmE0ELj4294967295EEENS1_25partition_config_selectorILNS1_17partition_subalgoE4EjNS0_10empty_typeEbEEZZNS1_14partition_implILS8_4ELb0ES6_15HIP_vector_typeIjLj2EENS0_17counting_iteratorIjlEEPS9_SG_NS0_5tupleIJPjSI_NS0_16reverse_iteratorISI_EEEEENSH_IJSG_SG_SG_EEES9_SI_JZNS1_25segmented_radix_sort_implINS0_14default_configELb1EPK6__halfPSP_PKlPlN2at6native12_GLOBAL__N_18offset_tEEE10hipError_tPvRmT1_PNSt15iterator_traitsIS13_E10value_typeET2_T3_PNS14_IS19_E10value_typeET4_jRbjT5_S1F_jjP12ihipStream_tbEUljE_ZNSN_ISO_Lb1ESR_SS_SU_SV_SZ_EES10_S11_S12_S13_S17_S18_S19_S1C_S1D_jS1E_jS1F_S1F_jjS1H_bEUljE0_EEES10_S11_S12_S19_S1D_S1F_T6_T7_T9_mT8_S1H_bDpT10_ENKUlT_T0_E_clISt17integral_constantIbLb0EES1V_EEDaS1Q_S1R_EUlS1Q_E_NS1_11comp_targetILNS1_3genE0ELNS1_11target_archE4294967295ELNS1_3gpuE0ELNS1_3repE0EEENS1_30default_config_static_selectorELNS0_4arch9wavefront6targetE1EEEvS13_.uses_vcc, 0
	.set _ZN7rocprim17ROCPRIM_400000_NS6detail17trampoline_kernelINS0_13select_configILj256ELj13ELNS0_17block_load_methodE3ELS4_3ELS4_3ELNS0_20block_scan_algorithmE0ELj4294967295EEENS1_25partition_config_selectorILNS1_17partition_subalgoE4EjNS0_10empty_typeEbEEZZNS1_14partition_implILS8_4ELb0ES6_15HIP_vector_typeIjLj2EENS0_17counting_iteratorIjlEEPS9_SG_NS0_5tupleIJPjSI_NS0_16reverse_iteratorISI_EEEEENSH_IJSG_SG_SG_EEES9_SI_JZNS1_25segmented_radix_sort_implINS0_14default_configELb1EPK6__halfPSP_PKlPlN2at6native12_GLOBAL__N_18offset_tEEE10hipError_tPvRmT1_PNSt15iterator_traitsIS13_E10value_typeET2_T3_PNS14_IS19_E10value_typeET4_jRbjT5_S1F_jjP12ihipStream_tbEUljE_ZNSN_ISO_Lb1ESR_SS_SU_SV_SZ_EES10_S11_S12_S13_S17_S18_S19_S1C_S1D_jS1E_jS1F_S1F_jjS1H_bEUljE0_EEES10_S11_S12_S19_S1D_S1F_T6_T7_T9_mT8_S1H_bDpT10_ENKUlT_T0_E_clISt17integral_constantIbLb0EES1V_EEDaS1Q_S1R_EUlS1Q_E_NS1_11comp_targetILNS1_3genE0ELNS1_11target_archE4294967295ELNS1_3gpuE0ELNS1_3repE0EEENS1_30default_config_static_selectorELNS0_4arch9wavefront6targetE1EEEvS13_.uses_flat_scratch, 0
	.set _ZN7rocprim17ROCPRIM_400000_NS6detail17trampoline_kernelINS0_13select_configILj256ELj13ELNS0_17block_load_methodE3ELS4_3ELS4_3ELNS0_20block_scan_algorithmE0ELj4294967295EEENS1_25partition_config_selectorILNS1_17partition_subalgoE4EjNS0_10empty_typeEbEEZZNS1_14partition_implILS8_4ELb0ES6_15HIP_vector_typeIjLj2EENS0_17counting_iteratorIjlEEPS9_SG_NS0_5tupleIJPjSI_NS0_16reverse_iteratorISI_EEEEENSH_IJSG_SG_SG_EEES9_SI_JZNS1_25segmented_radix_sort_implINS0_14default_configELb1EPK6__halfPSP_PKlPlN2at6native12_GLOBAL__N_18offset_tEEE10hipError_tPvRmT1_PNSt15iterator_traitsIS13_E10value_typeET2_T3_PNS14_IS19_E10value_typeET4_jRbjT5_S1F_jjP12ihipStream_tbEUljE_ZNSN_ISO_Lb1ESR_SS_SU_SV_SZ_EES10_S11_S12_S13_S17_S18_S19_S1C_S1D_jS1E_jS1F_S1F_jjS1H_bEUljE0_EEES10_S11_S12_S19_S1D_S1F_T6_T7_T9_mT8_S1H_bDpT10_ENKUlT_T0_E_clISt17integral_constantIbLb0EES1V_EEDaS1Q_S1R_EUlS1Q_E_NS1_11comp_targetILNS1_3genE0ELNS1_11target_archE4294967295ELNS1_3gpuE0ELNS1_3repE0EEENS1_30default_config_static_selectorELNS0_4arch9wavefront6targetE1EEEvS13_.has_dyn_sized_stack, 0
	.set _ZN7rocprim17ROCPRIM_400000_NS6detail17trampoline_kernelINS0_13select_configILj256ELj13ELNS0_17block_load_methodE3ELS4_3ELS4_3ELNS0_20block_scan_algorithmE0ELj4294967295EEENS1_25partition_config_selectorILNS1_17partition_subalgoE4EjNS0_10empty_typeEbEEZZNS1_14partition_implILS8_4ELb0ES6_15HIP_vector_typeIjLj2EENS0_17counting_iteratorIjlEEPS9_SG_NS0_5tupleIJPjSI_NS0_16reverse_iteratorISI_EEEEENSH_IJSG_SG_SG_EEES9_SI_JZNS1_25segmented_radix_sort_implINS0_14default_configELb1EPK6__halfPSP_PKlPlN2at6native12_GLOBAL__N_18offset_tEEE10hipError_tPvRmT1_PNSt15iterator_traitsIS13_E10value_typeET2_T3_PNS14_IS19_E10value_typeET4_jRbjT5_S1F_jjP12ihipStream_tbEUljE_ZNSN_ISO_Lb1ESR_SS_SU_SV_SZ_EES10_S11_S12_S13_S17_S18_S19_S1C_S1D_jS1E_jS1F_S1F_jjS1H_bEUljE0_EEES10_S11_S12_S19_S1D_S1F_T6_T7_T9_mT8_S1H_bDpT10_ENKUlT_T0_E_clISt17integral_constantIbLb0EES1V_EEDaS1Q_S1R_EUlS1Q_E_NS1_11comp_targetILNS1_3genE0ELNS1_11target_archE4294967295ELNS1_3gpuE0ELNS1_3repE0EEENS1_30default_config_static_selectorELNS0_4arch9wavefront6targetE1EEEvS13_.has_recursion, 0
	.set _ZN7rocprim17ROCPRIM_400000_NS6detail17trampoline_kernelINS0_13select_configILj256ELj13ELNS0_17block_load_methodE3ELS4_3ELS4_3ELNS0_20block_scan_algorithmE0ELj4294967295EEENS1_25partition_config_selectorILNS1_17partition_subalgoE4EjNS0_10empty_typeEbEEZZNS1_14partition_implILS8_4ELb0ES6_15HIP_vector_typeIjLj2EENS0_17counting_iteratorIjlEEPS9_SG_NS0_5tupleIJPjSI_NS0_16reverse_iteratorISI_EEEEENSH_IJSG_SG_SG_EEES9_SI_JZNS1_25segmented_radix_sort_implINS0_14default_configELb1EPK6__halfPSP_PKlPlN2at6native12_GLOBAL__N_18offset_tEEE10hipError_tPvRmT1_PNSt15iterator_traitsIS13_E10value_typeET2_T3_PNS14_IS19_E10value_typeET4_jRbjT5_S1F_jjP12ihipStream_tbEUljE_ZNSN_ISO_Lb1ESR_SS_SU_SV_SZ_EES10_S11_S12_S13_S17_S18_S19_S1C_S1D_jS1E_jS1F_S1F_jjS1H_bEUljE0_EEES10_S11_S12_S19_S1D_S1F_T6_T7_T9_mT8_S1H_bDpT10_ENKUlT_T0_E_clISt17integral_constantIbLb0EES1V_EEDaS1Q_S1R_EUlS1Q_E_NS1_11comp_targetILNS1_3genE0ELNS1_11target_archE4294967295ELNS1_3gpuE0ELNS1_3repE0EEENS1_30default_config_static_selectorELNS0_4arch9wavefront6targetE1EEEvS13_.has_indirect_call, 0
	.section	.AMDGPU.csdata,"",@progbits
; Kernel info:
; codeLenInByte = 0
; TotalNumSgprs: 4
; NumVgprs: 0
; ScratchSize: 0
; MemoryBound: 0
; FloatMode: 240
; IeeeMode: 1
; LDSByteSize: 0 bytes/workgroup (compile time only)
; SGPRBlocks: 0
; VGPRBlocks: 0
; NumSGPRsForWavesPerEU: 4
; NumVGPRsForWavesPerEU: 1
; Occupancy: 10
; WaveLimiterHint : 0
; COMPUTE_PGM_RSRC2:SCRATCH_EN: 0
; COMPUTE_PGM_RSRC2:USER_SGPR: 6
; COMPUTE_PGM_RSRC2:TRAP_HANDLER: 0
; COMPUTE_PGM_RSRC2:TGID_X_EN: 1
; COMPUTE_PGM_RSRC2:TGID_Y_EN: 0
; COMPUTE_PGM_RSRC2:TGID_Z_EN: 0
; COMPUTE_PGM_RSRC2:TIDIG_COMP_CNT: 0
	.section	.text._ZN7rocprim17ROCPRIM_400000_NS6detail17trampoline_kernelINS0_13select_configILj256ELj13ELNS0_17block_load_methodE3ELS4_3ELS4_3ELNS0_20block_scan_algorithmE0ELj4294967295EEENS1_25partition_config_selectorILNS1_17partition_subalgoE4EjNS0_10empty_typeEbEEZZNS1_14partition_implILS8_4ELb0ES6_15HIP_vector_typeIjLj2EENS0_17counting_iteratorIjlEEPS9_SG_NS0_5tupleIJPjSI_NS0_16reverse_iteratorISI_EEEEENSH_IJSG_SG_SG_EEES9_SI_JZNS1_25segmented_radix_sort_implINS0_14default_configELb1EPK6__halfPSP_PKlPlN2at6native12_GLOBAL__N_18offset_tEEE10hipError_tPvRmT1_PNSt15iterator_traitsIS13_E10value_typeET2_T3_PNS14_IS19_E10value_typeET4_jRbjT5_S1F_jjP12ihipStream_tbEUljE_ZNSN_ISO_Lb1ESR_SS_SU_SV_SZ_EES10_S11_S12_S13_S17_S18_S19_S1C_S1D_jS1E_jS1F_S1F_jjS1H_bEUljE0_EEES10_S11_S12_S19_S1D_S1F_T6_T7_T9_mT8_S1H_bDpT10_ENKUlT_T0_E_clISt17integral_constantIbLb0EES1V_EEDaS1Q_S1R_EUlS1Q_E_NS1_11comp_targetILNS1_3genE5ELNS1_11target_archE942ELNS1_3gpuE9ELNS1_3repE0EEENS1_30default_config_static_selectorELNS0_4arch9wavefront6targetE1EEEvS13_,"axG",@progbits,_ZN7rocprim17ROCPRIM_400000_NS6detail17trampoline_kernelINS0_13select_configILj256ELj13ELNS0_17block_load_methodE3ELS4_3ELS4_3ELNS0_20block_scan_algorithmE0ELj4294967295EEENS1_25partition_config_selectorILNS1_17partition_subalgoE4EjNS0_10empty_typeEbEEZZNS1_14partition_implILS8_4ELb0ES6_15HIP_vector_typeIjLj2EENS0_17counting_iteratorIjlEEPS9_SG_NS0_5tupleIJPjSI_NS0_16reverse_iteratorISI_EEEEENSH_IJSG_SG_SG_EEES9_SI_JZNS1_25segmented_radix_sort_implINS0_14default_configELb1EPK6__halfPSP_PKlPlN2at6native12_GLOBAL__N_18offset_tEEE10hipError_tPvRmT1_PNSt15iterator_traitsIS13_E10value_typeET2_T3_PNS14_IS19_E10value_typeET4_jRbjT5_S1F_jjP12ihipStream_tbEUljE_ZNSN_ISO_Lb1ESR_SS_SU_SV_SZ_EES10_S11_S12_S13_S17_S18_S19_S1C_S1D_jS1E_jS1F_S1F_jjS1H_bEUljE0_EEES10_S11_S12_S19_S1D_S1F_T6_T7_T9_mT8_S1H_bDpT10_ENKUlT_T0_E_clISt17integral_constantIbLb0EES1V_EEDaS1Q_S1R_EUlS1Q_E_NS1_11comp_targetILNS1_3genE5ELNS1_11target_archE942ELNS1_3gpuE9ELNS1_3repE0EEENS1_30default_config_static_selectorELNS0_4arch9wavefront6targetE1EEEvS13_,comdat
	.globl	_ZN7rocprim17ROCPRIM_400000_NS6detail17trampoline_kernelINS0_13select_configILj256ELj13ELNS0_17block_load_methodE3ELS4_3ELS4_3ELNS0_20block_scan_algorithmE0ELj4294967295EEENS1_25partition_config_selectorILNS1_17partition_subalgoE4EjNS0_10empty_typeEbEEZZNS1_14partition_implILS8_4ELb0ES6_15HIP_vector_typeIjLj2EENS0_17counting_iteratorIjlEEPS9_SG_NS0_5tupleIJPjSI_NS0_16reverse_iteratorISI_EEEEENSH_IJSG_SG_SG_EEES9_SI_JZNS1_25segmented_radix_sort_implINS0_14default_configELb1EPK6__halfPSP_PKlPlN2at6native12_GLOBAL__N_18offset_tEEE10hipError_tPvRmT1_PNSt15iterator_traitsIS13_E10value_typeET2_T3_PNS14_IS19_E10value_typeET4_jRbjT5_S1F_jjP12ihipStream_tbEUljE_ZNSN_ISO_Lb1ESR_SS_SU_SV_SZ_EES10_S11_S12_S13_S17_S18_S19_S1C_S1D_jS1E_jS1F_S1F_jjS1H_bEUljE0_EEES10_S11_S12_S19_S1D_S1F_T6_T7_T9_mT8_S1H_bDpT10_ENKUlT_T0_E_clISt17integral_constantIbLb0EES1V_EEDaS1Q_S1R_EUlS1Q_E_NS1_11comp_targetILNS1_3genE5ELNS1_11target_archE942ELNS1_3gpuE9ELNS1_3repE0EEENS1_30default_config_static_selectorELNS0_4arch9wavefront6targetE1EEEvS13_ ; -- Begin function _ZN7rocprim17ROCPRIM_400000_NS6detail17trampoline_kernelINS0_13select_configILj256ELj13ELNS0_17block_load_methodE3ELS4_3ELS4_3ELNS0_20block_scan_algorithmE0ELj4294967295EEENS1_25partition_config_selectorILNS1_17partition_subalgoE4EjNS0_10empty_typeEbEEZZNS1_14partition_implILS8_4ELb0ES6_15HIP_vector_typeIjLj2EENS0_17counting_iteratorIjlEEPS9_SG_NS0_5tupleIJPjSI_NS0_16reverse_iteratorISI_EEEEENSH_IJSG_SG_SG_EEES9_SI_JZNS1_25segmented_radix_sort_implINS0_14default_configELb1EPK6__halfPSP_PKlPlN2at6native12_GLOBAL__N_18offset_tEEE10hipError_tPvRmT1_PNSt15iterator_traitsIS13_E10value_typeET2_T3_PNS14_IS19_E10value_typeET4_jRbjT5_S1F_jjP12ihipStream_tbEUljE_ZNSN_ISO_Lb1ESR_SS_SU_SV_SZ_EES10_S11_S12_S13_S17_S18_S19_S1C_S1D_jS1E_jS1F_S1F_jjS1H_bEUljE0_EEES10_S11_S12_S19_S1D_S1F_T6_T7_T9_mT8_S1H_bDpT10_ENKUlT_T0_E_clISt17integral_constantIbLb0EES1V_EEDaS1Q_S1R_EUlS1Q_E_NS1_11comp_targetILNS1_3genE5ELNS1_11target_archE942ELNS1_3gpuE9ELNS1_3repE0EEENS1_30default_config_static_selectorELNS0_4arch9wavefront6targetE1EEEvS13_
	.p2align	8
	.type	_ZN7rocprim17ROCPRIM_400000_NS6detail17trampoline_kernelINS0_13select_configILj256ELj13ELNS0_17block_load_methodE3ELS4_3ELS4_3ELNS0_20block_scan_algorithmE0ELj4294967295EEENS1_25partition_config_selectorILNS1_17partition_subalgoE4EjNS0_10empty_typeEbEEZZNS1_14partition_implILS8_4ELb0ES6_15HIP_vector_typeIjLj2EENS0_17counting_iteratorIjlEEPS9_SG_NS0_5tupleIJPjSI_NS0_16reverse_iteratorISI_EEEEENSH_IJSG_SG_SG_EEES9_SI_JZNS1_25segmented_radix_sort_implINS0_14default_configELb1EPK6__halfPSP_PKlPlN2at6native12_GLOBAL__N_18offset_tEEE10hipError_tPvRmT1_PNSt15iterator_traitsIS13_E10value_typeET2_T3_PNS14_IS19_E10value_typeET4_jRbjT5_S1F_jjP12ihipStream_tbEUljE_ZNSN_ISO_Lb1ESR_SS_SU_SV_SZ_EES10_S11_S12_S13_S17_S18_S19_S1C_S1D_jS1E_jS1F_S1F_jjS1H_bEUljE0_EEES10_S11_S12_S19_S1D_S1F_T6_T7_T9_mT8_S1H_bDpT10_ENKUlT_T0_E_clISt17integral_constantIbLb0EES1V_EEDaS1Q_S1R_EUlS1Q_E_NS1_11comp_targetILNS1_3genE5ELNS1_11target_archE942ELNS1_3gpuE9ELNS1_3repE0EEENS1_30default_config_static_selectorELNS0_4arch9wavefront6targetE1EEEvS13_,@function
_ZN7rocprim17ROCPRIM_400000_NS6detail17trampoline_kernelINS0_13select_configILj256ELj13ELNS0_17block_load_methodE3ELS4_3ELS4_3ELNS0_20block_scan_algorithmE0ELj4294967295EEENS1_25partition_config_selectorILNS1_17partition_subalgoE4EjNS0_10empty_typeEbEEZZNS1_14partition_implILS8_4ELb0ES6_15HIP_vector_typeIjLj2EENS0_17counting_iteratorIjlEEPS9_SG_NS0_5tupleIJPjSI_NS0_16reverse_iteratorISI_EEEEENSH_IJSG_SG_SG_EEES9_SI_JZNS1_25segmented_radix_sort_implINS0_14default_configELb1EPK6__halfPSP_PKlPlN2at6native12_GLOBAL__N_18offset_tEEE10hipError_tPvRmT1_PNSt15iterator_traitsIS13_E10value_typeET2_T3_PNS14_IS19_E10value_typeET4_jRbjT5_S1F_jjP12ihipStream_tbEUljE_ZNSN_ISO_Lb1ESR_SS_SU_SV_SZ_EES10_S11_S12_S13_S17_S18_S19_S1C_S1D_jS1E_jS1F_S1F_jjS1H_bEUljE0_EEES10_S11_S12_S19_S1D_S1F_T6_T7_T9_mT8_S1H_bDpT10_ENKUlT_T0_E_clISt17integral_constantIbLb0EES1V_EEDaS1Q_S1R_EUlS1Q_E_NS1_11comp_targetILNS1_3genE5ELNS1_11target_archE942ELNS1_3gpuE9ELNS1_3repE0EEENS1_30default_config_static_selectorELNS0_4arch9wavefront6targetE1EEEvS13_: ; @_ZN7rocprim17ROCPRIM_400000_NS6detail17trampoline_kernelINS0_13select_configILj256ELj13ELNS0_17block_load_methodE3ELS4_3ELS4_3ELNS0_20block_scan_algorithmE0ELj4294967295EEENS1_25partition_config_selectorILNS1_17partition_subalgoE4EjNS0_10empty_typeEbEEZZNS1_14partition_implILS8_4ELb0ES6_15HIP_vector_typeIjLj2EENS0_17counting_iteratorIjlEEPS9_SG_NS0_5tupleIJPjSI_NS0_16reverse_iteratorISI_EEEEENSH_IJSG_SG_SG_EEES9_SI_JZNS1_25segmented_radix_sort_implINS0_14default_configELb1EPK6__halfPSP_PKlPlN2at6native12_GLOBAL__N_18offset_tEEE10hipError_tPvRmT1_PNSt15iterator_traitsIS13_E10value_typeET2_T3_PNS14_IS19_E10value_typeET4_jRbjT5_S1F_jjP12ihipStream_tbEUljE_ZNSN_ISO_Lb1ESR_SS_SU_SV_SZ_EES10_S11_S12_S13_S17_S18_S19_S1C_S1D_jS1E_jS1F_S1F_jjS1H_bEUljE0_EEES10_S11_S12_S19_S1D_S1F_T6_T7_T9_mT8_S1H_bDpT10_ENKUlT_T0_E_clISt17integral_constantIbLb0EES1V_EEDaS1Q_S1R_EUlS1Q_E_NS1_11comp_targetILNS1_3genE5ELNS1_11target_archE942ELNS1_3gpuE9ELNS1_3repE0EEENS1_30default_config_static_selectorELNS0_4arch9wavefront6targetE1EEEvS13_
; %bb.0:
	.section	.rodata,"a",@progbits
	.p2align	6, 0x0
	.amdhsa_kernel _ZN7rocprim17ROCPRIM_400000_NS6detail17trampoline_kernelINS0_13select_configILj256ELj13ELNS0_17block_load_methodE3ELS4_3ELS4_3ELNS0_20block_scan_algorithmE0ELj4294967295EEENS1_25partition_config_selectorILNS1_17partition_subalgoE4EjNS0_10empty_typeEbEEZZNS1_14partition_implILS8_4ELb0ES6_15HIP_vector_typeIjLj2EENS0_17counting_iteratorIjlEEPS9_SG_NS0_5tupleIJPjSI_NS0_16reverse_iteratorISI_EEEEENSH_IJSG_SG_SG_EEES9_SI_JZNS1_25segmented_radix_sort_implINS0_14default_configELb1EPK6__halfPSP_PKlPlN2at6native12_GLOBAL__N_18offset_tEEE10hipError_tPvRmT1_PNSt15iterator_traitsIS13_E10value_typeET2_T3_PNS14_IS19_E10value_typeET4_jRbjT5_S1F_jjP12ihipStream_tbEUljE_ZNSN_ISO_Lb1ESR_SS_SU_SV_SZ_EES10_S11_S12_S13_S17_S18_S19_S1C_S1D_jS1E_jS1F_S1F_jjS1H_bEUljE0_EEES10_S11_S12_S19_S1D_S1F_T6_T7_T9_mT8_S1H_bDpT10_ENKUlT_T0_E_clISt17integral_constantIbLb0EES1V_EEDaS1Q_S1R_EUlS1Q_E_NS1_11comp_targetILNS1_3genE5ELNS1_11target_archE942ELNS1_3gpuE9ELNS1_3repE0EEENS1_30default_config_static_selectorELNS0_4arch9wavefront6targetE1EEEvS13_
		.amdhsa_group_segment_fixed_size 0
		.amdhsa_private_segment_fixed_size 0
		.amdhsa_kernarg_size 176
		.amdhsa_user_sgpr_count 6
		.amdhsa_user_sgpr_private_segment_buffer 1
		.amdhsa_user_sgpr_dispatch_ptr 0
		.amdhsa_user_sgpr_queue_ptr 0
		.amdhsa_user_sgpr_kernarg_segment_ptr 1
		.amdhsa_user_sgpr_dispatch_id 0
		.amdhsa_user_sgpr_flat_scratch_init 0
		.amdhsa_user_sgpr_private_segment_size 0
		.amdhsa_uses_dynamic_stack 0
		.amdhsa_system_sgpr_private_segment_wavefront_offset 0
		.amdhsa_system_sgpr_workgroup_id_x 1
		.amdhsa_system_sgpr_workgroup_id_y 0
		.amdhsa_system_sgpr_workgroup_id_z 0
		.amdhsa_system_sgpr_workgroup_info 0
		.amdhsa_system_vgpr_workitem_id 0
		.amdhsa_next_free_vgpr 1
		.amdhsa_next_free_sgpr 0
		.amdhsa_reserve_vcc 0
		.amdhsa_reserve_flat_scratch 0
		.amdhsa_float_round_mode_32 0
		.amdhsa_float_round_mode_16_64 0
		.amdhsa_float_denorm_mode_32 3
		.amdhsa_float_denorm_mode_16_64 3
		.amdhsa_dx10_clamp 1
		.amdhsa_ieee_mode 1
		.amdhsa_fp16_overflow 0
		.amdhsa_exception_fp_ieee_invalid_op 0
		.amdhsa_exception_fp_denorm_src 0
		.amdhsa_exception_fp_ieee_div_zero 0
		.amdhsa_exception_fp_ieee_overflow 0
		.amdhsa_exception_fp_ieee_underflow 0
		.amdhsa_exception_fp_ieee_inexact 0
		.amdhsa_exception_int_div_zero 0
	.end_amdhsa_kernel
	.section	.text._ZN7rocprim17ROCPRIM_400000_NS6detail17trampoline_kernelINS0_13select_configILj256ELj13ELNS0_17block_load_methodE3ELS4_3ELS4_3ELNS0_20block_scan_algorithmE0ELj4294967295EEENS1_25partition_config_selectorILNS1_17partition_subalgoE4EjNS0_10empty_typeEbEEZZNS1_14partition_implILS8_4ELb0ES6_15HIP_vector_typeIjLj2EENS0_17counting_iteratorIjlEEPS9_SG_NS0_5tupleIJPjSI_NS0_16reverse_iteratorISI_EEEEENSH_IJSG_SG_SG_EEES9_SI_JZNS1_25segmented_radix_sort_implINS0_14default_configELb1EPK6__halfPSP_PKlPlN2at6native12_GLOBAL__N_18offset_tEEE10hipError_tPvRmT1_PNSt15iterator_traitsIS13_E10value_typeET2_T3_PNS14_IS19_E10value_typeET4_jRbjT5_S1F_jjP12ihipStream_tbEUljE_ZNSN_ISO_Lb1ESR_SS_SU_SV_SZ_EES10_S11_S12_S13_S17_S18_S19_S1C_S1D_jS1E_jS1F_S1F_jjS1H_bEUljE0_EEES10_S11_S12_S19_S1D_S1F_T6_T7_T9_mT8_S1H_bDpT10_ENKUlT_T0_E_clISt17integral_constantIbLb0EES1V_EEDaS1Q_S1R_EUlS1Q_E_NS1_11comp_targetILNS1_3genE5ELNS1_11target_archE942ELNS1_3gpuE9ELNS1_3repE0EEENS1_30default_config_static_selectorELNS0_4arch9wavefront6targetE1EEEvS13_,"axG",@progbits,_ZN7rocprim17ROCPRIM_400000_NS6detail17trampoline_kernelINS0_13select_configILj256ELj13ELNS0_17block_load_methodE3ELS4_3ELS4_3ELNS0_20block_scan_algorithmE0ELj4294967295EEENS1_25partition_config_selectorILNS1_17partition_subalgoE4EjNS0_10empty_typeEbEEZZNS1_14partition_implILS8_4ELb0ES6_15HIP_vector_typeIjLj2EENS0_17counting_iteratorIjlEEPS9_SG_NS0_5tupleIJPjSI_NS0_16reverse_iteratorISI_EEEEENSH_IJSG_SG_SG_EEES9_SI_JZNS1_25segmented_radix_sort_implINS0_14default_configELb1EPK6__halfPSP_PKlPlN2at6native12_GLOBAL__N_18offset_tEEE10hipError_tPvRmT1_PNSt15iterator_traitsIS13_E10value_typeET2_T3_PNS14_IS19_E10value_typeET4_jRbjT5_S1F_jjP12ihipStream_tbEUljE_ZNSN_ISO_Lb1ESR_SS_SU_SV_SZ_EES10_S11_S12_S13_S17_S18_S19_S1C_S1D_jS1E_jS1F_S1F_jjS1H_bEUljE0_EEES10_S11_S12_S19_S1D_S1F_T6_T7_T9_mT8_S1H_bDpT10_ENKUlT_T0_E_clISt17integral_constantIbLb0EES1V_EEDaS1Q_S1R_EUlS1Q_E_NS1_11comp_targetILNS1_3genE5ELNS1_11target_archE942ELNS1_3gpuE9ELNS1_3repE0EEENS1_30default_config_static_selectorELNS0_4arch9wavefront6targetE1EEEvS13_,comdat
.Lfunc_end1676:
	.size	_ZN7rocprim17ROCPRIM_400000_NS6detail17trampoline_kernelINS0_13select_configILj256ELj13ELNS0_17block_load_methodE3ELS4_3ELS4_3ELNS0_20block_scan_algorithmE0ELj4294967295EEENS1_25partition_config_selectorILNS1_17partition_subalgoE4EjNS0_10empty_typeEbEEZZNS1_14partition_implILS8_4ELb0ES6_15HIP_vector_typeIjLj2EENS0_17counting_iteratorIjlEEPS9_SG_NS0_5tupleIJPjSI_NS0_16reverse_iteratorISI_EEEEENSH_IJSG_SG_SG_EEES9_SI_JZNS1_25segmented_radix_sort_implINS0_14default_configELb1EPK6__halfPSP_PKlPlN2at6native12_GLOBAL__N_18offset_tEEE10hipError_tPvRmT1_PNSt15iterator_traitsIS13_E10value_typeET2_T3_PNS14_IS19_E10value_typeET4_jRbjT5_S1F_jjP12ihipStream_tbEUljE_ZNSN_ISO_Lb1ESR_SS_SU_SV_SZ_EES10_S11_S12_S13_S17_S18_S19_S1C_S1D_jS1E_jS1F_S1F_jjS1H_bEUljE0_EEES10_S11_S12_S19_S1D_S1F_T6_T7_T9_mT8_S1H_bDpT10_ENKUlT_T0_E_clISt17integral_constantIbLb0EES1V_EEDaS1Q_S1R_EUlS1Q_E_NS1_11comp_targetILNS1_3genE5ELNS1_11target_archE942ELNS1_3gpuE9ELNS1_3repE0EEENS1_30default_config_static_selectorELNS0_4arch9wavefront6targetE1EEEvS13_, .Lfunc_end1676-_ZN7rocprim17ROCPRIM_400000_NS6detail17trampoline_kernelINS0_13select_configILj256ELj13ELNS0_17block_load_methodE3ELS4_3ELS4_3ELNS0_20block_scan_algorithmE0ELj4294967295EEENS1_25partition_config_selectorILNS1_17partition_subalgoE4EjNS0_10empty_typeEbEEZZNS1_14partition_implILS8_4ELb0ES6_15HIP_vector_typeIjLj2EENS0_17counting_iteratorIjlEEPS9_SG_NS0_5tupleIJPjSI_NS0_16reverse_iteratorISI_EEEEENSH_IJSG_SG_SG_EEES9_SI_JZNS1_25segmented_radix_sort_implINS0_14default_configELb1EPK6__halfPSP_PKlPlN2at6native12_GLOBAL__N_18offset_tEEE10hipError_tPvRmT1_PNSt15iterator_traitsIS13_E10value_typeET2_T3_PNS14_IS19_E10value_typeET4_jRbjT5_S1F_jjP12ihipStream_tbEUljE_ZNSN_ISO_Lb1ESR_SS_SU_SV_SZ_EES10_S11_S12_S13_S17_S18_S19_S1C_S1D_jS1E_jS1F_S1F_jjS1H_bEUljE0_EEES10_S11_S12_S19_S1D_S1F_T6_T7_T9_mT8_S1H_bDpT10_ENKUlT_T0_E_clISt17integral_constantIbLb0EES1V_EEDaS1Q_S1R_EUlS1Q_E_NS1_11comp_targetILNS1_3genE5ELNS1_11target_archE942ELNS1_3gpuE9ELNS1_3repE0EEENS1_30default_config_static_selectorELNS0_4arch9wavefront6targetE1EEEvS13_
                                        ; -- End function
	.set _ZN7rocprim17ROCPRIM_400000_NS6detail17trampoline_kernelINS0_13select_configILj256ELj13ELNS0_17block_load_methodE3ELS4_3ELS4_3ELNS0_20block_scan_algorithmE0ELj4294967295EEENS1_25partition_config_selectorILNS1_17partition_subalgoE4EjNS0_10empty_typeEbEEZZNS1_14partition_implILS8_4ELb0ES6_15HIP_vector_typeIjLj2EENS0_17counting_iteratorIjlEEPS9_SG_NS0_5tupleIJPjSI_NS0_16reverse_iteratorISI_EEEEENSH_IJSG_SG_SG_EEES9_SI_JZNS1_25segmented_radix_sort_implINS0_14default_configELb1EPK6__halfPSP_PKlPlN2at6native12_GLOBAL__N_18offset_tEEE10hipError_tPvRmT1_PNSt15iterator_traitsIS13_E10value_typeET2_T3_PNS14_IS19_E10value_typeET4_jRbjT5_S1F_jjP12ihipStream_tbEUljE_ZNSN_ISO_Lb1ESR_SS_SU_SV_SZ_EES10_S11_S12_S13_S17_S18_S19_S1C_S1D_jS1E_jS1F_S1F_jjS1H_bEUljE0_EEES10_S11_S12_S19_S1D_S1F_T6_T7_T9_mT8_S1H_bDpT10_ENKUlT_T0_E_clISt17integral_constantIbLb0EES1V_EEDaS1Q_S1R_EUlS1Q_E_NS1_11comp_targetILNS1_3genE5ELNS1_11target_archE942ELNS1_3gpuE9ELNS1_3repE0EEENS1_30default_config_static_selectorELNS0_4arch9wavefront6targetE1EEEvS13_.num_vgpr, 0
	.set _ZN7rocprim17ROCPRIM_400000_NS6detail17trampoline_kernelINS0_13select_configILj256ELj13ELNS0_17block_load_methodE3ELS4_3ELS4_3ELNS0_20block_scan_algorithmE0ELj4294967295EEENS1_25partition_config_selectorILNS1_17partition_subalgoE4EjNS0_10empty_typeEbEEZZNS1_14partition_implILS8_4ELb0ES6_15HIP_vector_typeIjLj2EENS0_17counting_iteratorIjlEEPS9_SG_NS0_5tupleIJPjSI_NS0_16reverse_iteratorISI_EEEEENSH_IJSG_SG_SG_EEES9_SI_JZNS1_25segmented_radix_sort_implINS0_14default_configELb1EPK6__halfPSP_PKlPlN2at6native12_GLOBAL__N_18offset_tEEE10hipError_tPvRmT1_PNSt15iterator_traitsIS13_E10value_typeET2_T3_PNS14_IS19_E10value_typeET4_jRbjT5_S1F_jjP12ihipStream_tbEUljE_ZNSN_ISO_Lb1ESR_SS_SU_SV_SZ_EES10_S11_S12_S13_S17_S18_S19_S1C_S1D_jS1E_jS1F_S1F_jjS1H_bEUljE0_EEES10_S11_S12_S19_S1D_S1F_T6_T7_T9_mT8_S1H_bDpT10_ENKUlT_T0_E_clISt17integral_constantIbLb0EES1V_EEDaS1Q_S1R_EUlS1Q_E_NS1_11comp_targetILNS1_3genE5ELNS1_11target_archE942ELNS1_3gpuE9ELNS1_3repE0EEENS1_30default_config_static_selectorELNS0_4arch9wavefront6targetE1EEEvS13_.num_agpr, 0
	.set _ZN7rocprim17ROCPRIM_400000_NS6detail17trampoline_kernelINS0_13select_configILj256ELj13ELNS0_17block_load_methodE3ELS4_3ELS4_3ELNS0_20block_scan_algorithmE0ELj4294967295EEENS1_25partition_config_selectorILNS1_17partition_subalgoE4EjNS0_10empty_typeEbEEZZNS1_14partition_implILS8_4ELb0ES6_15HIP_vector_typeIjLj2EENS0_17counting_iteratorIjlEEPS9_SG_NS0_5tupleIJPjSI_NS0_16reverse_iteratorISI_EEEEENSH_IJSG_SG_SG_EEES9_SI_JZNS1_25segmented_radix_sort_implINS0_14default_configELb1EPK6__halfPSP_PKlPlN2at6native12_GLOBAL__N_18offset_tEEE10hipError_tPvRmT1_PNSt15iterator_traitsIS13_E10value_typeET2_T3_PNS14_IS19_E10value_typeET4_jRbjT5_S1F_jjP12ihipStream_tbEUljE_ZNSN_ISO_Lb1ESR_SS_SU_SV_SZ_EES10_S11_S12_S13_S17_S18_S19_S1C_S1D_jS1E_jS1F_S1F_jjS1H_bEUljE0_EEES10_S11_S12_S19_S1D_S1F_T6_T7_T9_mT8_S1H_bDpT10_ENKUlT_T0_E_clISt17integral_constantIbLb0EES1V_EEDaS1Q_S1R_EUlS1Q_E_NS1_11comp_targetILNS1_3genE5ELNS1_11target_archE942ELNS1_3gpuE9ELNS1_3repE0EEENS1_30default_config_static_selectorELNS0_4arch9wavefront6targetE1EEEvS13_.numbered_sgpr, 0
	.set _ZN7rocprim17ROCPRIM_400000_NS6detail17trampoline_kernelINS0_13select_configILj256ELj13ELNS0_17block_load_methodE3ELS4_3ELS4_3ELNS0_20block_scan_algorithmE0ELj4294967295EEENS1_25partition_config_selectorILNS1_17partition_subalgoE4EjNS0_10empty_typeEbEEZZNS1_14partition_implILS8_4ELb0ES6_15HIP_vector_typeIjLj2EENS0_17counting_iteratorIjlEEPS9_SG_NS0_5tupleIJPjSI_NS0_16reverse_iteratorISI_EEEEENSH_IJSG_SG_SG_EEES9_SI_JZNS1_25segmented_radix_sort_implINS0_14default_configELb1EPK6__halfPSP_PKlPlN2at6native12_GLOBAL__N_18offset_tEEE10hipError_tPvRmT1_PNSt15iterator_traitsIS13_E10value_typeET2_T3_PNS14_IS19_E10value_typeET4_jRbjT5_S1F_jjP12ihipStream_tbEUljE_ZNSN_ISO_Lb1ESR_SS_SU_SV_SZ_EES10_S11_S12_S13_S17_S18_S19_S1C_S1D_jS1E_jS1F_S1F_jjS1H_bEUljE0_EEES10_S11_S12_S19_S1D_S1F_T6_T7_T9_mT8_S1H_bDpT10_ENKUlT_T0_E_clISt17integral_constantIbLb0EES1V_EEDaS1Q_S1R_EUlS1Q_E_NS1_11comp_targetILNS1_3genE5ELNS1_11target_archE942ELNS1_3gpuE9ELNS1_3repE0EEENS1_30default_config_static_selectorELNS0_4arch9wavefront6targetE1EEEvS13_.num_named_barrier, 0
	.set _ZN7rocprim17ROCPRIM_400000_NS6detail17trampoline_kernelINS0_13select_configILj256ELj13ELNS0_17block_load_methodE3ELS4_3ELS4_3ELNS0_20block_scan_algorithmE0ELj4294967295EEENS1_25partition_config_selectorILNS1_17partition_subalgoE4EjNS0_10empty_typeEbEEZZNS1_14partition_implILS8_4ELb0ES6_15HIP_vector_typeIjLj2EENS0_17counting_iteratorIjlEEPS9_SG_NS0_5tupleIJPjSI_NS0_16reverse_iteratorISI_EEEEENSH_IJSG_SG_SG_EEES9_SI_JZNS1_25segmented_radix_sort_implINS0_14default_configELb1EPK6__halfPSP_PKlPlN2at6native12_GLOBAL__N_18offset_tEEE10hipError_tPvRmT1_PNSt15iterator_traitsIS13_E10value_typeET2_T3_PNS14_IS19_E10value_typeET4_jRbjT5_S1F_jjP12ihipStream_tbEUljE_ZNSN_ISO_Lb1ESR_SS_SU_SV_SZ_EES10_S11_S12_S13_S17_S18_S19_S1C_S1D_jS1E_jS1F_S1F_jjS1H_bEUljE0_EEES10_S11_S12_S19_S1D_S1F_T6_T7_T9_mT8_S1H_bDpT10_ENKUlT_T0_E_clISt17integral_constantIbLb0EES1V_EEDaS1Q_S1R_EUlS1Q_E_NS1_11comp_targetILNS1_3genE5ELNS1_11target_archE942ELNS1_3gpuE9ELNS1_3repE0EEENS1_30default_config_static_selectorELNS0_4arch9wavefront6targetE1EEEvS13_.private_seg_size, 0
	.set _ZN7rocprim17ROCPRIM_400000_NS6detail17trampoline_kernelINS0_13select_configILj256ELj13ELNS0_17block_load_methodE3ELS4_3ELS4_3ELNS0_20block_scan_algorithmE0ELj4294967295EEENS1_25partition_config_selectorILNS1_17partition_subalgoE4EjNS0_10empty_typeEbEEZZNS1_14partition_implILS8_4ELb0ES6_15HIP_vector_typeIjLj2EENS0_17counting_iteratorIjlEEPS9_SG_NS0_5tupleIJPjSI_NS0_16reverse_iteratorISI_EEEEENSH_IJSG_SG_SG_EEES9_SI_JZNS1_25segmented_radix_sort_implINS0_14default_configELb1EPK6__halfPSP_PKlPlN2at6native12_GLOBAL__N_18offset_tEEE10hipError_tPvRmT1_PNSt15iterator_traitsIS13_E10value_typeET2_T3_PNS14_IS19_E10value_typeET4_jRbjT5_S1F_jjP12ihipStream_tbEUljE_ZNSN_ISO_Lb1ESR_SS_SU_SV_SZ_EES10_S11_S12_S13_S17_S18_S19_S1C_S1D_jS1E_jS1F_S1F_jjS1H_bEUljE0_EEES10_S11_S12_S19_S1D_S1F_T6_T7_T9_mT8_S1H_bDpT10_ENKUlT_T0_E_clISt17integral_constantIbLb0EES1V_EEDaS1Q_S1R_EUlS1Q_E_NS1_11comp_targetILNS1_3genE5ELNS1_11target_archE942ELNS1_3gpuE9ELNS1_3repE0EEENS1_30default_config_static_selectorELNS0_4arch9wavefront6targetE1EEEvS13_.uses_vcc, 0
	.set _ZN7rocprim17ROCPRIM_400000_NS6detail17trampoline_kernelINS0_13select_configILj256ELj13ELNS0_17block_load_methodE3ELS4_3ELS4_3ELNS0_20block_scan_algorithmE0ELj4294967295EEENS1_25partition_config_selectorILNS1_17partition_subalgoE4EjNS0_10empty_typeEbEEZZNS1_14partition_implILS8_4ELb0ES6_15HIP_vector_typeIjLj2EENS0_17counting_iteratorIjlEEPS9_SG_NS0_5tupleIJPjSI_NS0_16reverse_iteratorISI_EEEEENSH_IJSG_SG_SG_EEES9_SI_JZNS1_25segmented_radix_sort_implINS0_14default_configELb1EPK6__halfPSP_PKlPlN2at6native12_GLOBAL__N_18offset_tEEE10hipError_tPvRmT1_PNSt15iterator_traitsIS13_E10value_typeET2_T3_PNS14_IS19_E10value_typeET4_jRbjT5_S1F_jjP12ihipStream_tbEUljE_ZNSN_ISO_Lb1ESR_SS_SU_SV_SZ_EES10_S11_S12_S13_S17_S18_S19_S1C_S1D_jS1E_jS1F_S1F_jjS1H_bEUljE0_EEES10_S11_S12_S19_S1D_S1F_T6_T7_T9_mT8_S1H_bDpT10_ENKUlT_T0_E_clISt17integral_constantIbLb0EES1V_EEDaS1Q_S1R_EUlS1Q_E_NS1_11comp_targetILNS1_3genE5ELNS1_11target_archE942ELNS1_3gpuE9ELNS1_3repE0EEENS1_30default_config_static_selectorELNS0_4arch9wavefront6targetE1EEEvS13_.uses_flat_scratch, 0
	.set _ZN7rocprim17ROCPRIM_400000_NS6detail17trampoline_kernelINS0_13select_configILj256ELj13ELNS0_17block_load_methodE3ELS4_3ELS4_3ELNS0_20block_scan_algorithmE0ELj4294967295EEENS1_25partition_config_selectorILNS1_17partition_subalgoE4EjNS0_10empty_typeEbEEZZNS1_14partition_implILS8_4ELb0ES6_15HIP_vector_typeIjLj2EENS0_17counting_iteratorIjlEEPS9_SG_NS0_5tupleIJPjSI_NS0_16reverse_iteratorISI_EEEEENSH_IJSG_SG_SG_EEES9_SI_JZNS1_25segmented_radix_sort_implINS0_14default_configELb1EPK6__halfPSP_PKlPlN2at6native12_GLOBAL__N_18offset_tEEE10hipError_tPvRmT1_PNSt15iterator_traitsIS13_E10value_typeET2_T3_PNS14_IS19_E10value_typeET4_jRbjT5_S1F_jjP12ihipStream_tbEUljE_ZNSN_ISO_Lb1ESR_SS_SU_SV_SZ_EES10_S11_S12_S13_S17_S18_S19_S1C_S1D_jS1E_jS1F_S1F_jjS1H_bEUljE0_EEES10_S11_S12_S19_S1D_S1F_T6_T7_T9_mT8_S1H_bDpT10_ENKUlT_T0_E_clISt17integral_constantIbLb0EES1V_EEDaS1Q_S1R_EUlS1Q_E_NS1_11comp_targetILNS1_3genE5ELNS1_11target_archE942ELNS1_3gpuE9ELNS1_3repE0EEENS1_30default_config_static_selectorELNS0_4arch9wavefront6targetE1EEEvS13_.has_dyn_sized_stack, 0
	.set _ZN7rocprim17ROCPRIM_400000_NS6detail17trampoline_kernelINS0_13select_configILj256ELj13ELNS0_17block_load_methodE3ELS4_3ELS4_3ELNS0_20block_scan_algorithmE0ELj4294967295EEENS1_25partition_config_selectorILNS1_17partition_subalgoE4EjNS0_10empty_typeEbEEZZNS1_14partition_implILS8_4ELb0ES6_15HIP_vector_typeIjLj2EENS0_17counting_iteratorIjlEEPS9_SG_NS0_5tupleIJPjSI_NS0_16reverse_iteratorISI_EEEEENSH_IJSG_SG_SG_EEES9_SI_JZNS1_25segmented_radix_sort_implINS0_14default_configELb1EPK6__halfPSP_PKlPlN2at6native12_GLOBAL__N_18offset_tEEE10hipError_tPvRmT1_PNSt15iterator_traitsIS13_E10value_typeET2_T3_PNS14_IS19_E10value_typeET4_jRbjT5_S1F_jjP12ihipStream_tbEUljE_ZNSN_ISO_Lb1ESR_SS_SU_SV_SZ_EES10_S11_S12_S13_S17_S18_S19_S1C_S1D_jS1E_jS1F_S1F_jjS1H_bEUljE0_EEES10_S11_S12_S19_S1D_S1F_T6_T7_T9_mT8_S1H_bDpT10_ENKUlT_T0_E_clISt17integral_constantIbLb0EES1V_EEDaS1Q_S1R_EUlS1Q_E_NS1_11comp_targetILNS1_3genE5ELNS1_11target_archE942ELNS1_3gpuE9ELNS1_3repE0EEENS1_30default_config_static_selectorELNS0_4arch9wavefront6targetE1EEEvS13_.has_recursion, 0
	.set _ZN7rocprim17ROCPRIM_400000_NS6detail17trampoline_kernelINS0_13select_configILj256ELj13ELNS0_17block_load_methodE3ELS4_3ELS4_3ELNS0_20block_scan_algorithmE0ELj4294967295EEENS1_25partition_config_selectorILNS1_17partition_subalgoE4EjNS0_10empty_typeEbEEZZNS1_14partition_implILS8_4ELb0ES6_15HIP_vector_typeIjLj2EENS0_17counting_iteratorIjlEEPS9_SG_NS0_5tupleIJPjSI_NS0_16reverse_iteratorISI_EEEEENSH_IJSG_SG_SG_EEES9_SI_JZNS1_25segmented_radix_sort_implINS0_14default_configELb1EPK6__halfPSP_PKlPlN2at6native12_GLOBAL__N_18offset_tEEE10hipError_tPvRmT1_PNSt15iterator_traitsIS13_E10value_typeET2_T3_PNS14_IS19_E10value_typeET4_jRbjT5_S1F_jjP12ihipStream_tbEUljE_ZNSN_ISO_Lb1ESR_SS_SU_SV_SZ_EES10_S11_S12_S13_S17_S18_S19_S1C_S1D_jS1E_jS1F_S1F_jjS1H_bEUljE0_EEES10_S11_S12_S19_S1D_S1F_T6_T7_T9_mT8_S1H_bDpT10_ENKUlT_T0_E_clISt17integral_constantIbLb0EES1V_EEDaS1Q_S1R_EUlS1Q_E_NS1_11comp_targetILNS1_3genE5ELNS1_11target_archE942ELNS1_3gpuE9ELNS1_3repE0EEENS1_30default_config_static_selectorELNS0_4arch9wavefront6targetE1EEEvS13_.has_indirect_call, 0
	.section	.AMDGPU.csdata,"",@progbits
; Kernel info:
; codeLenInByte = 0
; TotalNumSgprs: 4
; NumVgprs: 0
; ScratchSize: 0
; MemoryBound: 0
; FloatMode: 240
; IeeeMode: 1
; LDSByteSize: 0 bytes/workgroup (compile time only)
; SGPRBlocks: 0
; VGPRBlocks: 0
; NumSGPRsForWavesPerEU: 4
; NumVGPRsForWavesPerEU: 1
; Occupancy: 10
; WaveLimiterHint : 0
; COMPUTE_PGM_RSRC2:SCRATCH_EN: 0
; COMPUTE_PGM_RSRC2:USER_SGPR: 6
; COMPUTE_PGM_RSRC2:TRAP_HANDLER: 0
; COMPUTE_PGM_RSRC2:TGID_X_EN: 1
; COMPUTE_PGM_RSRC2:TGID_Y_EN: 0
; COMPUTE_PGM_RSRC2:TGID_Z_EN: 0
; COMPUTE_PGM_RSRC2:TIDIG_COMP_CNT: 0
	.section	.text._ZN7rocprim17ROCPRIM_400000_NS6detail17trampoline_kernelINS0_13select_configILj256ELj13ELNS0_17block_load_methodE3ELS4_3ELS4_3ELNS0_20block_scan_algorithmE0ELj4294967295EEENS1_25partition_config_selectorILNS1_17partition_subalgoE4EjNS0_10empty_typeEbEEZZNS1_14partition_implILS8_4ELb0ES6_15HIP_vector_typeIjLj2EENS0_17counting_iteratorIjlEEPS9_SG_NS0_5tupleIJPjSI_NS0_16reverse_iteratorISI_EEEEENSH_IJSG_SG_SG_EEES9_SI_JZNS1_25segmented_radix_sort_implINS0_14default_configELb1EPK6__halfPSP_PKlPlN2at6native12_GLOBAL__N_18offset_tEEE10hipError_tPvRmT1_PNSt15iterator_traitsIS13_E10value_typeET2_T3_PNS14_IS19_E10value_typeET4_jRbjT5_S1F_jjP12ihipStream_tbEUljE_ZNSN_ISO_Lb1ESR_SS_SU_SV_SZ_EES10_S11_S12_S13_S17_S18_S19_S1C_S1D_jS1E_jS1F_S1F_jjS1H_bEUljE0_EEES10_S11_S12_S19_S1D_S1F_T6_T7_T9_mT8_S1H_bDpT10_ENKUlT_T0_E_clISt17integral_constantIbLb0EES1V_EEDaS1Q_S1R_EUlS1Q_E_NS1_11comp_targetILNS1_3genE4ELNS1_11target_archE910ELNS1_3gpuE8ELNS1_3repE0EEENS1_30default_config_static_selectorELNS0_4arch9wavefront6targetE1EEEvS13_,"axG",@progbits,_ZN7rocprim17ROCPRIM_400000_NS6detail17trampoline_kernelINS0_13select_configILj256ELj13ELNS0_17block_load_methodE3ELS4_3ELS4_3ELNS0_20block_scan_algorithmE0ELj4294967295EEENS1_25partition_config_selectorILNS1_17partition_subalgoE4EjNS0_10empty_typeEbEEZZNS1_14partition_implILS8_4ELb0ES6_15HIP_vector_typeIjLj2EENS0_17counting_iteratorIjlEEPS9_SG_NS0_5tupleIJPjSI_NS0_16reverse_iteratorISI_EEEEENSH_IJSG_SG_SG_EEES9_SI_JZNS1_25segmented_radix_sort_implINS0_14default_configELb1EPK6__halfPSP_PKlPlN2at6native12_GLOBAL__N_18offset_tEEE10hipError_tPvRmT1_PNSt15iterator_traitsIS13_E10value_typeET2_T3_PNS14_IS19_E10value_typeET4_jRbjT5_S1F_jjP12ihipStream_tbEUljE_ZNSN_ISO_Lb1ESR_SS_SU_SV_SZ_EES10_S11_S12_S13_S17_S18_S19_S1C_S1D_jS1E_jS1F_S1F_jjS1H_bEUljE0_EEES10_S11_S12_S19_S1D_S1F_T6_T7_T9_mT8_S1H_bDpT10_ENKUlT_T0_E_clISt17integral_constantIbLb0EES1V_EEDaS1Q_S1R_EUlS1Q_E_NS1_11comp_targetILNS1_3genE4ELNS1_11target_archE910ELNS1_3gpuE8ELNS1_3repE0EEENS1_30default_config_static_selectorELNS0_4arch9wavefront6targetE1EEEvS13_,comdat
	.globl	_ZN7rocprim17ROCPRIM_400000_NS6detail17trampoline_kernelINS0_13select_configILj256ELj13ELNS0_17block_load_methodE3ELS4_3ELS4_3ELNS0_20block_scan_algorithmE0ELj4294967295EEENS1_25partition_config_selectorILNS1_17partition_subalgoE4EjNS0_10empty_typeEbEEZZNS1_14partition_implILS8_4ELb0ES6_15HIP_vector_typeIjLj2EENS0_17counting_iteratorIjlEEPS9_SG_NS0_5tupleIJPjSI_NS0_16reverse_iteratorISI_EEEEENSH_IJSG_SG_SG_EEES9_SI_JZNS1_25segmented_radix_sort_implINS0_14default_configELb1EPK6__halfPSP_PKlPlN2at6native12_GLOBAL__N_18offset_tEEE10hipError_tPvRmT1_PNSt15iterator_traitsIS13_E10value_typeET2_T3_PNS14_IS19_E10value_typeET4_jRbjT5_S1F_jjP12ihipStream_tbEUljE_ZNSN_ISO_Lb1ESR_SS_SU_SV_SZ_EES10_S11_S12_S13_S17_S18_S19_S1C_S1D_jS1E_jS1F_S1F_jjS1H_bEUljE0_EEES10_S11_S12_S19_S1D_S1F_T6_T7_T9_mT8_S1H_bDpT10_ENKUlT_T0_E_clISt17integral_constantIbLb0EES1V_EEDaS1Q_S1R_EUlS1Q_E_NS1_11comp_targetILNS1_3genE4ELNS1_11target_archE910ELNS1_3gpuE8ELNS1_3repE0EEENS1_30default_config_static_selectorELNS0_4arch9wavefront6targetE1EEEvS13_ ; -- Begin function _ZN7rocprim17ROCPRIM_400000_NS6detail17trampoline_kernelINS0_13select_configILj256ELj13ELNS0_17block_load_methodE3ELS4_3ELS4_3ELNS0_20block_scan_algorithmE0ELj4294967295EEENS1_25partition_config_selectorILNS1_17partition_subalgoE4EjNS0_10empty_typeEbEEZZNS1_14partition_implILS8_4ELb0ES6_15HIP_vector_typeIjLj2EENS0_17counting_iteratorIjlEEPS9_SG_NS0_5tupleIJPjSI_NS0_16reverse_iteratorISI_EEEEENSH_IJSG_SG_SG_EEES9_SI_JZNS1_25segmented_radix_sort_implINS0_14default_configELb1EPK6__halfPSP_PKlPlN2at6native12_GLOBAL__N_18offset_tEEE10hipError_tPvRmT1_PNSt15iterator_traitsIS13_E10value_typeET2_T3_PNS14_IS19_E10value_typeET4_jRbjT5_S1F_jjP12ihipStream_tbEUljE_ZNSN_ISO_Lb1ESR_SS_SU_SV_SZ_EES10_S11_S12_S13_S17_S18_S19_S1C_S1D_jS1E_jS1F_S1F_jjS1H_bEUljE0_EEES10_S11_S12_S19_S1D_S1F_T6_T7_T9_mT8_S1H_bDpT10_ENKUlT_T0_E_clISt17integral_constantIbLb0EES1V_EEDaS1Q_S1R_EUlS1Q_E_NS1_11comp_targetILNS1_3genE4ELNS1_11target_archE910ELNS1_3gpuE8ELNS1_3repE0EEENS1_30default_config_static_selectorELNS0_4arch9wavefront6targetE1EEEvS13_
	.p2align	8
	.type	_ZN7rocprim17ROCPRIM_400000_NS6detail17trampoline_kernelINS0_13select_configILj256ELj13ELNS0_17block_load_methodE3ELS4_3ELS4_3ELNS0_20block_scan_algorithmE0ELj4294967295EEENS1_25partition_config_selectorILNS1_17partition_subalgoE4EjNS0_10empty_typeEbEEZZNS1_14partition_implILS8_4ELb0ES6_15HIP_vector_typeIjLj2EENS0_17counting_iteratorIjlEEPS9_SG_NS0_5tupleIJPjSI_NS0_16reverse_iteratorISI_EEEEENSH_IJSG_SG_SG_EEES9_SI_JZNS1_25segmented_radix_sort_implINS0_14default_configELb1EPK6__halfPSP_PKlPlN2at6native12_GLOBAL__N_18offset_tEEE10hipError_tPvRmT1_PNSt15iterator_traitsIS13_E10value_typeET2_T3_PNS14_IS19_E10value_typeET4_jRbjT5_S1F_jjP12ihipStream_tbEUljE_ZNSN_ISO_Lb1ESR_SS_SU_SV_SZ_EES10_S11_S12_S13_S17_S18_S19_S1C_S1D_jS1E_jS1F_S1F_jjS1H_bEUljE0_EEES10_S11_S12_S19_S1D_S1F_T6_T7_T9_mT8_S1H_bDpT10_ENKUlT_T0_E_clISt17integral_constantIbLb0EES1V_EEDaS1Q_S1R_EUlS1Q_E_NS1_11comp_targetILNS1_3genE4ELNS1_11target_archE910ELNS1_3gpuE8ELNS1_3repE0EEENS1_30default_config_static_selectorELNS0_4arch9wavefront6targetE1EEEvS13_,@function
_ZN7rocprim17ROCPRIM_400000_NS6detail17trampoline_kernelINS0_13select_configILj256ELj13ELNS0_17block_load_methodE3ELS4_3ELS4_3ELNS0_20block_scan_algorithmE0ELj4294967295EEENS1_25partition_config_selectorILNS1_17partition_subalgoE4EjNS0_10empty_typeEbEEZZNS1_14partition_implILS8_4ELb0ES6_15HIP_vector_typeIjLj2EENS0_17counting_iteratorIjlEEPS9_SG_NS0_5tupleIJPjSI_NS0_16reverse_iteratorISI_EEEEENSH_IJSG_SG_SG_EEES9_SI_JZNS1_25segmented_radix_sort_implINS0_14default_configELb1EPK6__halfPSP_PKlPlN2at6native12_GLOBAL__N_18offset_tEEE10hipError_tPvRmT1_PNSt15iterator_traitsIS13_E10value_typeET2_T3_PNS14_IS19_E10value_typeET4_jRbjT5_S1F_jjP12ihipStream_tbEUljE_ZNSN_ISO_Lb1ESR_SS_SU_SV_SZ_EES10_S11_S12_S13_S17_S18_S19_S1C_S1D_jS1E_jS1F_S1F_jjS1H_bEUljE0_EEES10_S11_S12_S19_S1D_S1F_T6_T7_T9_mT8_S1H_bDpT10_ENKUlT_T0_E_clISt17integral_constantIbLb0EES1V_EEDaS1Q_S1R_EUlS1Q_E_NS1_11comp_targetILNS1_3genE4ELNS1_11target_archE910ELNS1_3gpuE8ELNS1_3repE0EEENS1_30default_config_static_selectorELNS0_4arch9wavefront6targetE1EEEvS13_: ; @_ZN7rocprim17ROCPRIM_400000_NS6detail17trampoline_kernelINS0_13select_configILj256ELj13ELNS0_17block_load_methodE3ELS4_3ELS4_3ELNS0_20block_scan_algorithmE0ELj4294967295EEENS1_25partition_config_selectorILNS1_17partition_subalgoE4EjNS0_10empty_typeEbEEZZNS1_14partition_implILS8_4ELb0ES6_15HIP_vector_typeIjLj2EENS0_17counting_iteratorIjlEEPS9_SG_NS0_5tupleIJPjSI_NS0_16reverse_iteratorISI_EEEEENSH_IJSG_SG_SG_EEES9_SI_JZNS1_25segmented_radix_sort_implINS0_14default_configELb1EPK6__halfPSP_PKlPlN2at6native12_GLOBAL__N_18offset_tEEE10hipError_tPvRmT1_PNSt15iterator_traitsIS13_E10value_typeET2_T3_PNS14_IS19_E10value_typeET4_jRbjT5_S1F_jjP12ihipStream_tbEUljE_ZNSN_ISO_Lb1ESR_SS_SU_SV_SZ_EES10_S11_S12_S13_S17_S18_S19_S1C_S1D_jS1E_jS1F_S1F_jjS1H_bEUljE0_EEES10_S11_S12_S19_S1D_S1F_T6_T7_T9_mT8_S1H_bDpT10_ENKUlT_T0_E_clISt17integral_constantIbLb0EES1V_EEDaS1Q_S1R_EUlS1Q_E_NS1_11comp_targetILNS1_3genE4ELNS1_11target_archE910ELNS1_3gpuE8ELNS1_3repE0EEENS1_30default_config_static_selectorELNS0_4arch9wavefront6targetE1EEEvS13_
; %bb.0:
	.section	.rodata,"a",@progbits
	.p2align	6, 0x0
	.amdhsa_kernel _ZN7rocprim17ROCPRIM_400000_NS6detail17trampoline_kernelINS0_13select_configILj256ELj13ELNS0_17block_load_methodE3ELS4_3ELS4_3ELNS0_20block_scan_algorithmE0ELj4294967295EEENS1_25partition_config_selectorILNS1_17partition_subalgoE4EjNS0_10empty_typeEbEEZZNS1_14partition_implILS8_4ELb0ES6_15HIP_vector_typeIjLj2EENS0_17counting_iteratorIjlEEPS9_SG_NS0_5tupleIJPjSI_NS0_16reverse_iteratorISI_EEEEENSH_IJSG_SG_SG_EEES9_SI_JZNS1_25segmented_radix_sort_implINS0_14default_configELb1EPK6__halfPSP_PKlPlN2at6native12_GLOBAL__N_18offset_tEEE10hipError_tPvRmT1_PNSt15iterator_traitsIS13_E10value_typeET2_T3_PNS14_IS19_E10value_typeET4_jRbjT5_S1F_jjP12ihipStream_tbEUljE_ZNSN_ISO_Lb1ESR_SS_SU_SV_SZ_EES10_S11_S12_S13_S17_S18_S19_S1C_S1D_jS1E_jS1F_S1F_jjS1H_bEUljE0_EEES10_S11_S12_S19_S1D_S1F_T6_T7_T9_mT8_S1H_bDpT10_ENKUlT_T0_E_clISt17integral_constantIbLb0EES1V_EEDaS1Q_S1R_EUlS1Q_E_NS1_11comp_targetILNS1_3genE4ELNS1_11target_archE910ELNS1_3gpuE8ELNS1_3repE0EEENS1_30default_config_static_selectorELNS0_4arch9wavefront6targetE1EEEvS13_
		.amdhsa_group_segment_fixed_size 0
		.amdhsa_private_segment_fixed_size 0
		.amdhsa_kernarg_size 176
		.amdhsa_user_sgpr_count 6
		.amdhsa_user_sgpr_private_segment_buffer 1
		.amdhsa_user_sgpr_dispatch_ptr 0
		.amdhsa_user_sgpr_queue_ptr 0
		.amdhsa_user_sgpr_kernarg_segment_ptr 1
		.amdhsa_user_sgpr_dispatch_id 0
		.amdhsa_user_sgpr_flat_scratch_init 0
		.amdhsa_user_sgpr_private_segment_size 0
		.amdhsa_uses_dynamic_stack 0
		.amdhsa_system_sgpr_private_segment_wavefront_offset 0
		.amdhsa_system_sgpr_workgroup_id_x 1
		.amdhsa_system_sgpr_workgroup_id_y 0
		.amdhsa_system_sgpr_workgroup_id_z 0
		.amdhsa_system_sgpr_workgroup_info 0
		.amdhsa_system_vgpr_workitem_id 0
		.amdhsa_next_free_vgpr 1
		.amdhsa_next_free_sgpr 0
		.amdhsa_reserve_vcc 0
		.amdhsa_reserve_flat_scratch 0
		.amdhsa_float_round_mode_32 0
		.amdhsa_float_round_mode_16_64 0
		.amdhsa_float_denorm_mode_32 3
		.amdhsa_float_denorm_mode_16_64 3
		.amdhsa_dx10_clamp 1
		.amdhsa_ieee_mode 1
		.amdhsa_fp16_overflow 0
		.amdhsa_exception_fp_ieee_invalid_op 0
		.amdhsa_exception_fp_denorm_src 0
		.amdhsa_exception_fp_ieee_div_zero 0
		.amdhsa_exception_fp_ieee_overflow 0
		.amdhsa_exception_fp_ieee_underflow 0
		.amdhsa_exception_fp_ieee_inexact 0
		.amdhsa_exception_int_div_zero 0
	.end_amdhsa_kernel
	.section	.text._ZN7rocprim17ROCPRIM_400000_NS6detail17trampoline_kernelINS0_13select_configILj256ELj13ELNS0_17block_load_methodE3ELS4_3ELS4_3ELNS0_20block_scan_algorithmE0ELj4294967295EEENS1_25partition_config_selectorILNS1_17partition_subalgoE4EjNS0_10empty_typeEbEEZZNS1_14partition_implILS8_4ELb0ES6_15HIP_vector_typeIjLj2EENS0_17counting_iteratorIjlEEPS9_SG_NS0_5tupleIJPjSI_NS0_16reverse_iteratorISI_EEEEENSH_IJSG_SG_SG_EEES9_SI_JZNS1_25segmented_radix_sort_implINS0_14default_configELb1EPK6__halfPSP_PKlPlN2at6native12_GLOBAL__N_18offset_tEEE10hipError_tPvRmT1_PNSt15iterator_traitsIS13_E10value_typeET2_T3_PNS14_IS19_E10value_typeET4_jRbjT5_S1F_jjP12ihipStream_tbEUljE_ZNSN_ISO_Lb1ESR_SS_SU_SV_SZ_EES10_S11_S12_S13_S17_S18_S19_S1C_S1D_jS1E_jS1F_S1F_jjS1H_bEUljE0_EEES10_S11_S12_S19_S1D_S1F_T6_T7_T9_mT8_S1H_bDpT10_ENKUlT_T0_E_clISt17integral_constantIbLb0EES1V_EEDaS1Q_S1R_EUlS1Q_E_NS1_11comp_targetILNS1_3genE4ELNS1_11target_archE910ELNS1_3gpuE8ELNS1_3repE0EEENS1_30default_config_static_selectorELNS0_4arch9wavefront6targetE1EEEvS13_,"axG",@progbits,_ZN7rocprim17ROCPRIM_400000_NS6detail17trampoline_kernelINS0_13select_configILj256ELj13ELNS0_17block_load_methodE3ELS4_3ELS4_3ELNS0_20block_scan_algorithmE0ELj4294967295EEENS1_25partition_config_selectorILNS1_17partition_subalgoE4EjNS0_10empty_typeEbEEZZNS1_14partition_implILS8_4ELb0ES6_15HIP_vector_typeIjLj2EENS0_17counting_iteratorIjlEEPS9_SG_NS0_5tupleIJPjSI_NS0_16reverse_iteratorISI_EEEEENSH_IJSG_SG_SG_EEES9_SI_JZNS1_25segmented_radix_sort_implINS0_14default_configELb1EPK6__halfPSP_PKlPlN2at6native12_GLOBAL__N_18offset_tEEE10hipError_tPvRmT1_PNSt15iterator_traitsIS13_E10value_typeET2_T3_PNS14_IS19_E10value_typeET4_jRbjT5_S1F_jjP12ihipStream_tbEUljE_ZNSN_ISO_Lb1ESR_SS_SU_SV_SZ_EES10_S11_S12_S13_S17_S18_S19_S1C_S1D_jS1E_jS1F_S1F_jjS1H_bEUljE0_EEES10_S11_S12_S19_S1D_S1F_T6_T7_T9_mT8_S1H_bDpT10_ENKUlT_T0_E_clISt17integral_constantIbLb0EES1V_EEDaS1Q_S1R_EUlS1Q_E_NS1_11comp_targetILNS1_3genE4ELNS1_11target_archE910ELNS1_3gpuE8ELNS1_3repE0EEENS1_30default_config_static_selectorELNS0_4arch9wavefront6targetE1EEEvS13_,comdat
.Lfunc_end1677:
	.size	_ZN7rocprim17ROCPRIM_400000_NS6detail17trampoline_kernelINS0_13select_configILj256ELj13ELNS0_17block_load_methodE3ELS4_3ELS4_3ELNS0_20block_scan_algorithmE0ELj4294967295EEENS1_25partition_config_selectorILNS1_17partition_subalgoE4EjNS0_10empty_typeEbEEZZNS1_14partition_implILS8_4ELb0ES6_15HIP_vector_typeIjLj2EENS0_17counting_iteratorIjlEEPS9_SG_NS0_5tupleIJPjSI_NS0_16reverse_iteratorISI_EEEEENSH_IJSG_SG_SG_EEES9_SI_JZNS1_25segmented_radix_sort_implINS0_14default_configELb1EPK6__halfPSP_PKlPlN2at6native12_GLOBAL__N_18offset_tEEE10hipError_tPvRmT1_PNSt15iterator_traitsIS13_E10value_typeET2_T3_PNS14_IS19_E10value_typeET4_jRbjT5_S1F_jjP12ihipStream_tbEUljE_ZNSN_ISO_Lb1ESR_SS_SU_SV_SZ_EES10_S11_S12_S13_S17_S18_S19_S1C_S1D_jS1E_jS1F_S1F_jjS1H_bEUljE0_EEES10_S11_S12_S19_S1D_S1F_T6_T7_T9_mT8_S1H_bDpT10_ENKUlT_T0_E_clISt17integral_constantIbLb0EES1V_EEDaS1Q_S1R_EUlS1Q_E_NS1_11comp_targetILNS1_3genE4ELNS1_11target_archE910ELNS1_3gpuE8ELNS1_3repE0EEENS1_30default_config_static_selectorELNS0_4arch9wavefront6targetE1EEEvS13_, .Lfunc_end1677-_ZN7rocprim17ROCPRIM_400000_NS6detail17trampoline_kernelINS0_13select_configILj256ELj13ELNS0_17block_load_methodE3ELS4_3ELS4_3ELNS0_20block_scan_algorithmE0ELj4294967295EEENS1_25partition_config_selectorILNS1_17partition_subalgoE4EjNS0_10empty_typeEbEEZZNS1_14partition_implILS8_4ELb0ES6_15HIP_vector_typeIjLj2EENS0_17counting_iteratorIjlEEPS9_SG_NS0_5tupleIJPjSI_NS0_16reverse_iteratorISI_EEEEENSH_IJSG_SG_SG_EEES9_SI_JZNS1_25segmented_radix_sort_implINS0_14default_configELb1EPK6__halfPSP_PKlPlN2at6native12_GLOBAL__N_18offset_tEEE10hipError_tPvRmT1_PNSt15iterator_traitsIS13_E10value_typeET2_T3_PNS14_IS19_E10value_typeET4_jRbjT5_S1F_jjP12ihipStream_tbEUljE_ZNSN_ISO_Lb1ESR_SS_SU_SV_SZ_EES10_S11_S12_S13_S17_S18_S19_S1C_S1D_jS1E_jS1F_S1F_jjS1H_bEUljE0_EEES10_S11_S12_S19_S1D_S1F_T6_T7_T9_mT8_S1H_bDpT10_ENKUlT_T0_E_clISt17integral_constantIbLb0EES1V_EEDaS1Q_S1R_EUlS1Q_E_NS1_11comp_targetILNS1_3genE4ELNS1_11target_archE910ELNS1_3gpuE8ELNS1_3repE0EEENS1_30default_config_static_selectorELNS0_4arch9wavefront6targetE1EEEvS13_
                                        ; -- End function
	.set _ZN7rocprim17ROCPRIM_400000_NS6detail17trampoline_kernelINS0_13select_configILj256ELj13ELNS0_17block_load_methodE3ELS4_3ELS4_3ELNS0_20block_scan_algorithmE0ELj4294967295EEENS1_25partition_config_selectorILNS1_17partition_subalgoE4EjNS0_10empty_typeEbEEZZNS1_14partition_implILS8_4ELb0ES6_15HIP_vector_typeIjLj2EENS0_17counting_iteratorIjlEEPS9_SG_NS0_5tupleIJPjSI_NS0_16reverse_iteratorISI_EEEEENSH_IJSG_SG_SG_EEES9_SI_JZNS1_25segmented_radix_sort_implINS0_14default_configELb1EPK6__halfPSP_PKlPlN2at6native12_GLOBAL__N_18offset_tEEE10hipError_tPvRmT1_PNSt15iterator_traitsIS13_E10value_typeET2_T3_PNS14_IS19_E10value_typeET4_jRbjT5_S1F_jjP12ihipStream_tbEUljE_ZNSN_ISO_Lb1ESR_SS_SU_SV_SZ_EES10_S11_S12_S13_S17_S18_S19_S1C_S1D_jS1E_jS1F_S1F_jjS1H_bEUljE0_EEES10_S11_S12_S19_S1D_S1F_T6_T7_T9_mT8_S1H_bDpT10_ENKUlT_T0_E_clISt17integral_constantIbLb0EES1V_EEDaS1Q_S1R_EUlS1Q_E_NS1_11comp_targetILNS1_3genE4ELNS1_11target_archE910ELNS1_3gpuE8ELNS1_3repE0EEENS1_30default_config_static_selectorELNS0_4arch9wavefront6targetE1EEEvS13_.num_vgpr, 0
	.set _ZN7rocprim17ROCPRIM_400000_NS6detail17trampoline_kernelINS0_13select_configILj256ELj13ELNS0_17block_load_methodE3ELS4_3ELS4_3ELNS0_20block_scan_algorithmE0ELj4294967295EEENS1_25partition_config_selectorILNS1_17partition_subalgoE4EjNS0_10empty_typeEbEEZZNS1_14partition_implILS8_4ELb0ES6_15HIP_vector_typeIjLj2EENS0_17counting_iteratorIjlEEPS9_SG_NS0_5tupleIJPjSI_NS0_16reverse_iteratorISI_EEEEENSH_IJSG_SG_SG_EEES9_SI_JZNS1_25segmented_radix_sort_implINS0_14default_configELb1EPK6__halfPSP_PKlPlN2at6native12_GLOBAL__N_18offset_tEEE10hipError_tPvRmT1_PNSt15iterator_traitsIS13_E10value_typeET2_T3_PNS14_IS19_E10value_typeET4_jRbjT5_S1F_jjP12ihipStream_tbEUljE_ZNSN_ISO_Lb1ESR_SS_SU_SV_SZ_EES10_S11_S12_S13_S17_S18_S19_S1C_S1D_jS1E_jS1F_S1F_jjS1H_bEUljE0_EEES10_S11_S12_S19_S1D_S1F_T6_T7_T9_mT8_S1H_bDpT10_ENKUlT_T0_E_clISt17integral_constantIbLb0EES1V_EEDaS1Q_S1R_EUlS1Q_E_NS1_11comp_targetILNS1_3genE4ELNS1_11target_archE910ELNS1_3gpuE8ELNS1_3repE0EEENS1_30default_config_static_selectorELNS0_4arch9wavefront6targetE1EEEvS13_.num_agpr, 0
	.set _ZN7rocprim17ROCPRIM_400000_NS6detail17trampoline_kernelINS0_13select_configILj256ELj13ELNS0_17block_load_methodE3ELS4_3ELS4_3ELNS0_20block_scan_algorithmE0ELj4294967295EEENS1_25partition_config_selectorILNS1_17partition_subalgoE4EjNS0_10empty_typeEbEEZZNS1_14partition_implILS8_4ELb0ES6_15HIP_vector_typeIjLj2EENS0_17counting_iteratorIjlEEPS9_SG_NS0_5tupleIJPjSI_NS0_16reverse_iteratorISI_EEEEENSH_IJSG_SG_SG_EEES9_SI_JZNS1_25segmented_radix_sort_implINS0_14default_configELb1EPK6__halfPSP_PKlPlN2at6native12_GLOBAL__N_18offset_tEEE10hipError_tPvRmT1_PNSt15iterator_traitsIS13_E10value_typeET2_T3_PNS14_IS19_E10value_typeET4_jRbjT5_S1F_jjP12ihipStream_tbEUljE_ZNSN_ISO_Lb1ESR_SS_SU_SV_SZ_EES10_S11_S12_S13_S17_S18_S19_S1C_S1D_jS1E_jS1F_S1F_jjS1H_bEUljE0_EEES10_S11_S12_S19_S1D_S1F_T6_T7_T9_mT8_S1H_bDpT10_ENKUlT_T0_E_clISt17integral_constantIbLb0EES1V_EEDaS1Q_S1R_EUlS1Q_E_NS1_11comp_targetILNS1_3genE4ELNS1_11target_archE910ELNS1_3gpuE8ELNS1_3repE0EEENS1_30default_config_static_selectorELNS0_4arch9wavefront6targetE1EEEvS13_.numbered_sgpr, 0
	.set _ZN7rocprim17ROCPRIM_400000_NS6detail17trampoline_kernelINS0_13select_configILj256ELj13ELNS0_17block_load_methodE3ELS4_3ELS4_3ELNS0_20block_scan_algorithmE0ELj4294967295EEENS1_25partition_config_selectorILNS1_17partition_subalgoE4EjNS0_10empty_typeEbEEZZNS1_14partition_implILS8_4ELb0ES6_15HIP_vector_typeIjLj2EENS0_17counting_iteratorIjlEEPS9_SG_NS0_5tupleIJPjSI_NS0_16reverse_iteratorISI_EEEEENSH_IJSG_SG_SG_EEES9_SI_JZNS1_25segmented_radix_sort_implINS0_14default_configELb1EPK6__halfPSP_PKlPlN2at6native12_GLOBAL__N_18offset_tEEE10hipError_tPvRmT1_PNSt15iterator_traitsIS13_E10value_typeET2_T3_PNS14_IS19_E10value_typeET4_jRbjT5_S1F_jjP12ihipStream_tbEUljE_ZNSN_ISO_Lb1ESR_SS_SU_SV_SZ_EES10_S11_S12_S13_S17_S18_S19_S1C_S1D_jS1E_jS1F_S1F_jjS1H_bEUljE0_EEES10_S11_S12_S19_S1D_S1F_T6_T7_T9_mT8_S1H_bDpT10_ENKUlT_T0_E_clISt17integral_constantIbLb0EES1V_EEDaS1Q_S1R_EUlS1Q_E_NS1_11comp_targetILNS1_3genE4ELNS1_11target_archE910ELNS1_3gpuE8ELNS1_3repE0EEENS1_30default_config_static_selectorELNS0_4arch9wavefront6targetE1EEEvS13_.num_named_barrier, 0
	.set _ZN7rocprim17ROCPRIM_400000_NS6detail17trampoline_kernelINS0_13select_configILj256ELj13ELNS0_17block_load_methodE3ELS4_3ELS4_3ELNS0_20block_scan_algorithmE0ELj4294967295EEENS1_25partition_config_selectorILNS1_17partition_subalgoE4EjNS0_10empty_typeEbEEZZNS1_14partition_implILS8_4ELb0ES6_15HIP_vector_typeIjLj2EENS0_17counting_iteratorIjlEEPS9_SG_NS0_5tupleIJPjSI_NS0_16reverse_iteratorISI_EEEEENSH_IJSG_SG_SG_EEES9_SI_JZNS1_25segmented_radix_sort_implINS0_14default_configELb1EPK6__halfPSP_PKlPlN2at6native12_GLOBAL__N_18offset_tEEE10hipError_tPvRmT1_PNSt15iterator_traitsIS13_E10value_typeET2_T3_PNS14_IS19_E10value_typeET4_jRbjT5_S1F_jjP12ihipStream_tbEUljE_ZNSN_ISO_Lb1ESR_SS_SU_SV_SZ_EES10_S11_S12_S13_S17_S18_S19_S1C_S1D_jS1E_jS1F_S1F_jjS1H_bEUljE0_EEES10_S11_S12_S19_S1D_S1F_T6_T7_T9_mT8_S1H_bDpT10_ENKUlT_T0_E_clISt17integral_constantIbLb0EES1V_EEDaS1Q_S1R_EUlS1Q_E_NS1_11comp_targetILNS1_3genE4ELNS1_11target_archE910ELNS1_3gpuE8ELNS1_3repE0EEENS1_30default_config_static_selectorELNS0_4arch9wavefront6targetE1EEEvS13_.private_seg_size, 0
	.set _ZN7rocprim17ROCPRIM_400000_NS6detail17trampoline_kernelINS0_13select_configILj256ELj13ELNS0_17block_load_methodE3ELS4_3ELS4_3ELNS0_20block_scan_algorithmE0ELj4294967295EEENS1_25partition_config_selectorILNS1_17partition_subalgoE4EjNS0_10empty_typeEbEEZZNS1_14partition_implILS8_4ELb0ES6_15HIP_vector_typeIjLj2EENS0_17counting_iteratorIjlEEPS9_SG_NS0_5tupleIJPjSI_NS0_16reverse_iteratorISI_EEEEENSH_IJSG_SG_SG_EEES9_SI_JZNS1_25segmented_radix_sort_implINS0_14default_configELb1EPK6__halfPSP_PKlPlN2at6native12_GLOBAL__N_18offset_tEEE10hipError_tPvRmT1_PNSt15iterator_traitsIS13_E10value_typeET2_T3_PNS14_IS19_E10value_typeET4_jRbjT5_S1F_jjP12ihipStream_tbEUljE_ZNSN_ISO_Lb1ESR_SS_SU_SV_SZ_EES10_S11_S12_S13_S17_S18_S19_S1C_S1D_jS1E_jS1F_S1F_jjS1H_bEUljE0_EEES10_S11_S12_S19_S1D_S1F_T6_T7_T9_mT8_S1H_bDpT10_ENKUlT_T0_E_clISt17integral_constantIbLb0EES1V_EEDaS1Q_S1R_EUlS1Q_E_NS1_11comp_targetILNS1_3genE4ELNS1_11target_archE910ELNS1_3gpuE8ELNS1_3repE0EEENS1_30default_config_static_selectorELNS0_4arch9wavefront6targetE1EEEvS13_.uses_vcc, 0
	.set _ZN7rocprim17ROCPRIM_400000_NS6detail17trampoline_kernelINS0_13select_configILj256ELj13ELNS0_17block_load_methodE3ELS4_3ELS4_3ELNS0_20block_scan_algorithmE0ELj4294967295EEENS1_25partition_config_selectorILNS1_17partition_subalgoE4EjNS0_10empty_typeEbEEZZNS1_14partition_implILS8_4ELb0ES6_15HIP_vector_typeIjLj2EENS0_17counting_iteratorIjlEEPS9_SG_NS0_5tupleIJPjSI_NS0_16reverse_iteratorISI_EEEEENSH_IJSG_SG_SG_EEES9_SI_JZNS1_25segmented_radix_sort_implINS0_14default_configELb1EPK6__halfPSP_PKlPlN2at6native12_GLOBAL__N_18offset_tEEE10hipError_tPvRmT1_PNSt15iterator_traitsIS13_E10value_typeET2_T3_PNS14_IS19_E10value_typeET4_jRbjT5_S1F_jjP12ihipStream_tbEUljE_ZNSN_ISO_Lb1ESR_SS_SU_SV_SZ_EES10_S11_S12_S13_S17_S18_S19_S1C_S1D_jS1E_jS1F_S1F_jjS1H_bEUljE0_EEES10_S11_S12_S19_S1D_S1F_T6_T7_T9_mT8_S1H_bDpT10_ENKUlT_T0_E_clISt17integral_constantIbLb0EES1V_EEDaS1Q_S1R_EUlS1Q_E_NS1_11comp_targetILNS1_3genE4ELNS1_11target_archE910ELNS1_3gpuE8ELNS1_3repE0EEENS1_30default_config_static_selectorELNS0_4arch9wavefront6targetE1EEEvS13_.uses_flat_scratch, 0
	.set _ZN7rocprim17ROCPRIM_400000_NS6detail17trampoline_kernelINS0_13select_configILj256ELj13ELNS0_17block_load_methodE3ELS4_3ELS4_3ELNS0_20block_scan_algorithmE0ELj4294967295EEENS1_25partition_config_selectorILNS1_17partition_subalgoE4EjNS0_10empty_typeEbEEZZNS1_14partition_implILS8_4ELb0ES6_15HIP_vector_typeIjLj2EENS0_17counting_iteratorIjlEEPS9_SG_NS0_5tupleIJPjSI_NS0_16reverse_iteratorISI_EEEEENSH_IJSG_SG_SG_EEES9_SI_JZNS1_25segmented_radix_sort_implINS0_14default_configELb1EPK6__halfPSP_PKlPlN2at6native12_GLOBAL__N_18offset_tEEE10hipError_tPvRmT1_PNSt15iterator_traitsIS13_E10value_typeET2_T3_PNS14_IS19_E10value_typeET4_jRbjT5_S1F_jjP12ihipStream_tbEUljE_ZNSN_ISO_Lb1ESR_SS_SU_SV_SZ_EES10_S11_S12_S13_S17_S18_S19_S1C_S1D_jS1E_jS1F_S1F_jjS1H_bEUljE0_EEES10_S11_S12_S19_S1D_S1F_T6_T7_T9_mT8_S1H_bDpT10_ENKUlT_T0_E_clISt17integral_constantIbLb0EES1V_EEDaS1Q_S1R_EUlS1Q_E_NS1_11comp_targetILNS1_3genE4ELNS1_11target_archE910ELNS1_3gpuE8ELNS1_3repE0EEENS1_30default_config_static_selectorELNS0_4arch9wavefront6targetE1EEEvS13_.has_dyn_sized_stack, 0
	.set _ZN7rocprim17ROCPRIM_400000_NS6detail17trampoline_kernelINS0_13select_configILj256ELj13ELNS0_17block_load_methodE3ELS4_3ELS4_3ELNS0_20block_scan_algorithmE0ELj4294967295EEENS1_25partition_config_selectorILNS1_17partition_subalgoE4EjNS0_10empty_typeEbEEZZNS1_14partition_implILS8_4ELb0ES6_15HIP_vector_typeIjLj2EENS0_17counting_iteratorIjlEEPS9_SG_NS0_5tupleIJPjSI_NS0_16reverse_iteratorISI_EEEEENSH_IJSG_SG_SG_EEES9_SI_JZNS1_25segmented_radix_sort_implINS0_14default_configELb1EPK6__halfPSP_PKlPlN2at6native12_GLOBAL__N_18offset_tEEE10hipError_tPvRmT1_PNSt15iterator_traitsIS13_E10value_typeET2_T3_PNS14_IS19_E10value_typeET4_jRbjT5_S1F_jjP12ihipStream_tbEUljE_ZNSN_ISO_Lb1ESR_SS_SU_SV_SZ_EES10_S11_S12_S13_S17_S18_S19_S1C_S1D_jS1E_jS1F_S1F_jjS1H_bEUljE0_EEES10_S11_S12_S19_S1D_S1F_T6_T7_T9_mT8_S1H_bDpT10_ENKUlT_T0_E_clISt17integral_constantIbLb0EES1V_EEDaS1Q_S1R_EUlS1Q_E_NS1_11comp_targetILNS1_3genE4ELNS1_11target_archE910ELNS1_3gpuE8ELNS1_3repE0EEENS1_30default_config_static_selectorELNS0_4arch9wavefront6targetE1EEEvS13_.has_recursion, 0
	.set _ZN7rocprim17ROCPRIM_400000_NS6detail17trampoline_kernelINS0_13select_configILj256ELj13ELNS0_17block_load_methodE3ELS4_3ELS4_3ELNS0_20block_scan_algorithmE0ELj4294967295EEENS1_25partition_config_selectorILNS1_17partition_subalgoE4EjNS0_10empty_typeEbEEZZNS1_14partition_implILS8_4ELb0ES6_15HIP_vector_typeIjLj2EENS0_17counting_iteratorIjlEEPS9_SG_NS0_5tupleIJPjSI_NS0_16reverse_iteratorISI_EEEEENSH_IJSG_SG_SG_EEES9_SI_JZNS1_25segmented_radix_sort_implINS0_14default_configELb1EPK6__halfPSP_PKlPlN2at6native12_GLOBAL__N_18offset_tEEE10hipError_tPvRmT1_PNSt15iterator_traitsIS13_E10value_typeET2_T3_PNS14_IS19_E10value_typeET4_jRbjT5_S1F_jjP12ihipStream_tbEUljE_ZNSN_ISO_Lb1ESR_SS_SU_SV_SZ_EES10_S11_S12_S13_S17_S18_S19_S1C_S1D_jS1E_jS1F_S1F_jjS1H_bEUljE0_EEES10_S11_S12_S19_S1D_S1F_T6_T7_T9_mT8_S1H_bDpT10_ENKUlT_T0_E_clISt17integral_constantIbLb0EES1V_EEDaS1Q_S1R_EUlS1Q_E_NS1_11comp_targetILNS1_3genE4ELNS1_11target_archE910ELNS1_3gpuE8ELNS1_3repE0EEENS1_30default_config_static_selectorELNS0_4arch9wavefront6targetE1EEEvS13_.has_indirect_call, 0
	.section	.AMDGPU.csdata,"",@progbits
; Kernel info:
; codeLenInByte = 0
; TotalNumSgprs: 4
; NumVgprs: 0
; ScratchSize: 0
; MemoryBound: 0
; FloatMode: 240
; IeeeMode: 1
; LDSByteSize: 0 bytes/workgroup (compile time only)
; SGPRBlocks: 0
; VGPRBlocks: 0
; NumSGPRsForWavesPerEU: 4
; NumVGPRsForWavesPerEU: 1
; Occupancy: 10
; WaveLimiterHint : 0
; COMPUTE_PGM_RSRC2:SCRATCH_EN: 0
; COMPUTE_PGM_RSRC2:USER_SGPR: 6
; COMPUTE_PGM_RSRC2:TRAP_HANDLER: 0
; COMPUTE_PGM_RSRC2:TGID_X_EN: 1
; COMPUTE_PGM_RSRC2:TGID_Y_EN: 0
; COMPUTE_PGM_RSRC2:TGID_Z_EN: 0
; COMPUTE_PGM_RSRC2:TIDIG_COMP_CNT: 0
	.section	.text._ZN7rocprim17ROCPRIM_400000_NS6detail17trampoline_kernelINS0_13select_configILj256ELj13ELNS0_17block_load_methodE3ELS4_3ELS4_3ELNS0_20block_scan_algorithmE0ELj4294967295EEENS1_25partition_config_selectorILNS1_17partition_subalgoE4EjNS0_10empty_typeEbEEZZNS1_14partition_implILS8_4ELb0ES6_15HIP_vector_typeIjLj2EENS0_17counting_iteratorIjlEEPS9_SG_NS0_5tupleIJPjSI_NS0_16reverse_iteratorISI_EEEEENSH_IJSG_SG_SG_EEES9_SI_JZNS1_25segmented_radix_sort_implINS0_14default_configELb1EPK6__halfPSP_PKlPlN2at6native12_GLOBAL__N_18offset_tEEE10hipError_tPvRmT1_PNSt15iterator_traitsIS13_E10value_typeET2_T3_PNS14_IS19_E10value_typeET4_jRbjT5_S1F_jjP12ihipStream_tbEUljE_ZNSN_ISO_Lb1ESR_SS_SU_SV_SZ_EES10_S11_S12_S13_S17_S18_S19_S1C_S1D_jS1E_jS1F_S1F_jjS1H_bEUljE0_EEES10_S11_S12_S19_S1D_S1F_T6_T7_T9_mT8_S1H_bDpT10_ENKUlT_T0_E_clISt17integral_constantIbLb0EES1V_EEDaS1Q_S1R_EUlS1Q_E_NS1_11comp_targetILNS1_3genE3ELNS1_11target_archE908ELNS1_3gpuE7ELNS1_3repE0EEENS1_30default_config_static_selectorELNS0_4arch9wavefront6targetE1EEEvS13_,"axG",@progbits,_ZN7rocprim17ROCPRIM_400000_NS6detail17trampoline_kernelINS0_13select_configILj256ELj13ELNS0_17block_load_methodE3ELS4_3ELS4_3ELNS0_20block_scan_algorithmE0ELj4294967295EEENS1_25partition_config_selectorILNS1_17partition_subalgoE4EjNS0_10empty_typeEbEEZZNS1_14partition_implILS8_4ELb0ES6_15HIP_vector_typeIjLj2EENS0_17counting_iteratorIjlEEPS9_SG_NS0_5tupleIJPjSI_NS0_16reverse_iteratorISI_EEEEENSH_IJSG_SG_SG_EEES9_SI_JZNS1_25segmented_radix_sort_implINS0_14default_configELb1EPK6__halfPSP_PKlPlN2at6native12_GLOBAL__N_18offset_tEEE10hipError_tPvRmT1_PNSt15iterator_traitsIS13_E10value_typeET2_T3_PNS14_IS19_E10value_typeET4_jRbjT5_S1F_jjP12ihipStream_tbEUljE_ZNSN_ISO_Lb1ESR_SS_SU_SV_SZ_EES10_S11_S12_S13_S17_S18_S19_S1C_S1D_jS1E_jS1F_S1F_jjS1H_bEUljE0_EEES10_S11_S12_S19_S1D_S1F_T6_T7_T9_mT8_S1H_bDpT10_ENKUlT_T0_E_clISt17integral_constantIbLb0EES1V_EEDaS1Q_S1R_EUlS1Q_E_NS1_11comp_targetILNS1_3genE3ELNS1_11target_archE908ELNS1_3gpuE7ELNS1_3repE0EEENS1_30default_config_static_selectorELNS0_4arch9wavefront6targetE1EEEvS13_,comdat
	.globl	_ZN7rocprim17ROCPRIM_400000_NS6detail17trampoline_kernelINS0_13select_configILj256ELj13ELNS0_17block_load_methodE3ELS4_3ELS4_3ELNS0_20block_scan_algorithmE0ELj4294967295EEENS1_25partition_config_selectorILNS1_17partition_subalgoE4EjNS0_10empty_typeEbEEZZNS1_14partition_implILS8_4ELb0ES6_15HIP_vector_typeIjLj2EENS0_17counting_iteratorIjlEEPS9_SG_NS0_5tupleIJPjSI_NS0_16reverse_iteratorISI_EEEEENSH_IJSG_SG_SG_EEES9_SI_JZNS1_25segmented_radix_sort_implINS0_14default_configELb1EPK6__halfPSP_PKlPlN2at6native12_GLOBAL__N_18offset_tEEE10hipError_tPvRmT1_PNSt15iterator_traitsIS13_E10value_typeET2_T3_PNS14_IS19_E10value_typeET4_jRbjT5_S1F_jjP12ihipStream_tbEUljE_ZNSN_ISO_Lb1ESR_SS_SU_SV_SZ_EES10_S11_S12_S13_S17_S18_S19_S1C_S1D_jS1E_jS1F_S1F_jjS1H_bEUljE0_EEES10_S11_S12_S19_S1D_S1F_T6_T7_T9_mT8_S1H_bDpT10_ENKUlT_T0_E_clISt17integral_constantIbLb0EES1V_EEDaS1Q_S1R_EUlS1Q_E_NS1_11comp_targetILNS1_3genE3ELNS1_11target_archE908ELNS1_3gpuE7ELNS1_3repE0EEENS1_30default_config_static_selectorELNS0_4arch9wavefront6targetE1EEEvS13_ ; -- Begin function _ZN7rocprim17ROCPRIM_400000_NS6detail17trampoline_kernelINS0_13select_configILj256ELj13ELNS0_17block_load_methodE3ELS4_3ELS4_3ELNS0_20block_scan_algorithmE0ELj4294967295EEENS1_25partition_config_selectorILNS1_17partition_subalgoE4EjNS0_10empty_typeEbEEZZNS1_14partition_implILS8_4ELb0ES6_15HIP_vector_typeIjLj2EENS0_17counting_iteratorIjlEEPS9_SG_NS0_5tupleIJPjSI_NS0_16reverse_iteratorISI_EEEEENSH_IJSG_SG_SG_EEES9_SI_JZNS1_25segmented_radix_sort_implINS0_14default_configELb1EPK6__halfPSP_PKlPlN2at6native12_GLOBAL__N_18offset_tEEE10hipError_tPvRmT1_PNSt15iterator_traitsIS13_E10value_typeET2_T3_PNS14_IS19_E10value_typeET4_jRbjT5_S1F_jjP12ihipStream_tbEUljE_ZNSN_ISO_Lb1ESR_SS_SU_SV_SZ_EES10_S11_S12_S13_S17_S18_S19_S1C_S1D_jS1E_jS1F_S1F_jjS1H_bEUljE0_EEES10_S11_S12_S19_S1D_S1F_T6_T7_T9_mT8_S1H_bDpT10_ENKUlT_T0_E_clISt17integral_constantIbLb0EES1V_EEDaS1Q_S1R_EUlS1Q_E_NS1_11comp_targetILNS1_3genE3ELNS1_11target_archE908ELNS1_3gpuE7ELNS1_3repE0EEENS1_30default_config_static_selectorELNS0_4arch9wavefront6targetE1EEEvS13_
	.p2align	8
	.type	_ZN7rocprim17ROCPRIM_400000_NS6detail17trampoline_kernelINS0_13select_configILj256ELj13ELNS0_17block_load_methodE3ELS4_3ELS4_3ELNS0_20block_scan_algorithmE0ELj4294967295EEENS1_25partition_config_selectorILNS1_17partition_subalgoE4EjNS0_10empty_typeEbEEZZNS1_14partition_implILS8_4ELb0ES6_15HIP_vector_typeIjLj2EENS0_17counting_iteratorIjlEEPS9_SG_NS0_5tupleIJPjSI_NS0_16reverse_iteratorISI_EEEEENSH_IJSG_SG_SG_EEES9_SI_JZNS1_25segmented_radix_sort_implINS0_14default_configELb1EPK6__halfPSP_PKlPlN2at6native12_GLOBAL__N_18offset_tEEE10hipError_tPvRmT1_PNSt15iterator_traitsIS13_E10value_typeET2_T3_PNS14_IS19_E10value_typeET4_jRbjT5_S1F_jjP12ihipStream_tbEUljE_ZNSN_ISO_Lb1ESR_SS_SU_SV_SZ_EES10_S11_S12_S13_S17_S18_S19_S1C_S1D_jS1E_jS1F_S1F_jjS1H_bEUljE0_EEES10_S11_S12_S19_S1D_S1F_T6_T7_T9_mT8_S1H_bDpT10_ENKUlT_T0_E_clISt17integral_constantIbLb0EES1V_EEDaS1Q_S1R_EUlS1Q_E_NS1_11comp_targetILNS1_3genE3ELNS1_11target_archE908ELNS1_3gpuE7ELNS1_3repE0EEENS1_30default_config_static_selectorELNS0_4arch9wavefront6targetE1EEEvS13_,@function
_ZN7rocprim17ROCPRIM_400000_NS6detail17trampoline_kernelINS0_13select_configILj256ELj13ELNS0_17block_load_methodE3ELS4_3ELS4_3ELNS0_20block_scan_algorithmE0ELj4294967295EEENS1_25partition_config_selectorILNS1_17partition_subalgoE4EjNS0_10empty_typeEbEEZZNS1_14partition_implILS8_4ELb0ES6_15HIP_vector_typeIjLj2EENS0_17counting_iteratorIjlEEPS9_SG_NS0_5tupleIJPjSI_NS0_16reverse_iteratorISI_EEEEENSH_IJSG_SG_SG_EEES9_SI_JZNS1_25segmented_radix_sort_implINS0_14default_configELb1EPK6__halfPSP_PKlPlN2at6native12_GLOBAL__N_18offset_tEEE10hipError_tPvRmT1_PNSt15iterator_traitsIS13_E10value_typeET2_T3_PNS14_IS19_E10value_typeET4_jRbjT5_S1F_jjP12ihipStream_tbEUljE_ZNSN_ISO_Lb1ESR_SS_SU_SV_SZ_EES10_S11_S12_S13_S17_S18_S19_S1C_S1D_jS1E_jS1F_S1F_jjS1H_bEUljE0_EEES10_S11_S12_S19_S1D_S1F_T6_T7_T9_mT8_S1H_bDpT10_ENKUlT_T0_E_clISt17integral_constantIbLb0EES1V_EEDaS1Q_S1R_EUlS1Q_E_NS1_11comp_targetILNS1_3genE3ELNS1_11target_archE908ELNS1_3gpuE7ELNS1_3repE0EEENS1_30default_config_static_selectorELNS0_4arch9wavefront6targetE1EEEvS13_: ; @_ZN7rocprim17ROCPRIM_400000_NS6detail17trampoline_kernelINS0_13select_configILj256ELj13ELNS0_17block_load_methodE3ELS4_3ELS4_3ELNS0_20block_scan_algorithmE0ELj4294967295EEENS1_25partition_config_selectorILNS1_17partition_subalgoE4EjNS0_10empty_typeEbEEZZNS1_14partition_implILS8_4ELb0ES6_15HIP_vector_typeIjLj2EENS0_17counting_iteratorIjlEEPS9_SG_NS0_5tupleIJPjSI_NS0_16reverse_iteratorISI_EEEEENSH_IJSG_SG_SG_EEES9_SI_JZNS1_25segmented_radix_sort_implINS0_14default_configELb1EPK6__halfPSP_PKlPlN2at6native12_GLOBAL__N_18offset_tEEE10hipError_tPvRmT1_PNSt15iterator_traitsIS13_E10value_typeET2_T3_PNS14_IS19_E10value_typeET4_jRbjT5_S1F_jjP12ihipStream_tbEUljE_ZNSN_ISO_Lb1ESR_SS_SU_SV_SZ_EES10_S11_S12_S13_S17_S18_S19_S1C_S1D_jS1E_jS1F_S1F_jjS1H_bEUljE0_EEES10_S11_S12_S19_S1D_S1F_T6_T7_T9_mT8_S1H_bDpT10_ENKUlT_T0_E_clISt17integral_constantIbLb0EES1V_EEDaS1Q_S1R_EUlS1Q_E_NS1_11comp_targetILNS1_3genE3ELNS1_11target_archE908ELNS1_3gpuE7ELNS1_3repE0EEENS1_30default_config_static_selectorELNS0_4arch9wavefront6targetE1EEEvS13_
; %bb.0:
	.section	.rodata,"a",@progbits
	.p2align	6, 0x0
	.amdhsa_kernel _ZN7rocprim17ROCPRIM_400000_NS6detail17trampoline_kernelINS0_13select_configILj256ELj13ELNS0_17block_load_methodE3ELS4_3ELS4_3ELNS0_20block_scan_algorithmE0ELj4294967295EEENS1_25partition_config_selectorILNS1_17partition_subalgoE4EjNS0_10empty_typeEbEEZZNS1_14partition_implILS8_4ELb0ES6_15HIP_vector_typeIjLj2EENS0_17counting_iteratorIjlEEPS9_SG_NS0_5tupleIJPjSI_NS0_16reverse_iteratorISI_EEEEENSH_IJSG_SG_SG_EEES9_SI_JZNS1_25segmented_radix_sort_implINS0_14default_configELb1EPK6__halfPSP_PKlPlN2at6native12_GLOBAL__N_18offset_tEEE10hipError_tPvRmT1_PNSt15iterator_traitsIS13_E10value_typeET2_T3_PNS14_IS19_E10value_typeET4_jRbjT5_S1F_jjP12ihipStream_tbEUljE_ZNSN_ISO_Lb1ESR_SS_SU_SV_SZ_EES10_S11_S12_S13_S17_S18_S19_S1C_S1D_jS1E_jS1F_S1F_jjS1H_bEUljE0_EEES10_S11_S12_S19_S1D_S1F_T6_T7_T9_mT8_S1H_bDpT10_ENKUlT_T0_E_clISt17integral_constantIbLb0EES1V_EEDaS1Q_S1R_EUlS1Q_E_NS1_11comp_targetILNS1_3genE3ELNS1_11target_archE908ELNS1_3gpuE7ELNS1_3repE0EEENS1_30default_config_static_selectorELNS0_4arch9wavefront6targetE1EEEvS13_
		.amdhsa_group_segment_fixed_size 0
		.amdhsa_private_segment_fixed_size 0
		.amdhsa_kernarg_size 176
		.amdhsa_user_sgpr_count 6
		.amdhsa_user_sgpr_private_segment_buffer 1
		.amdhsa_user_sgpr_dispatch_ptr 0
		.amdhsa_user_sgpr_queue_ptr 0
		.amdhsa_user_sgpr_kernarg_segment_ptr 1
		.amdhsa_user_sgpr_dispatch_id 0
		.amdhsa_user_sgpr_flat_scratch_init 0
		.amdhsa_user_sgpr_private_segment_size 0
		.amdhsa_uses_dynamic_stack 0
		.amdhsa_system_sgpr_private_segment_wavefront_offset 0
		.amdhsa_system_sgpr_workgroup_id_x 1
		.amdhsa_system_sgpr_workgroup_id_y 0
		.amdhsa_system_sgpr_workgroup_id_z 0
		.amdhsa_system_sgpr_workgroup_info 0
		.amdhsa_system_vgpr_workitem_id 0
		.amdhsa_next_free_vgpr 1
		.amdhsa_next_free_sgpr 0
		.amdhsa_reserve_vcc 0
		.amdhsa_reserve_flat_scratch 0
		.amdhsa_float_round_mode_32 0
		.amdhsa_float_round_mode_16_64 0
		.amdhsa_float_denorm_mode_32 3
		.amdhsa_float_denorm_mode_16_64 3
		.amdhsa_dx10_clamp 1
		.amdhsa_ieee_mode 1
		.amdhsa_fp16_overflow 0
		.amdhsa_exception_fp_ieee_invalid_op 0
		.amdhsa_exception_fp_denorm_src 0
		.amdhsa_exception_fp_ieee_div_zero 0
		.amdhsa_exception_fp_ieee_overflow 0
		.amdhsa_exception_fp_ieee_underflow 0
		.amdhsa_exception_fp_ieee_inexact 0
		.amdhsa_exception_int_div_zero 0
	.end_amdhsa_kernel
	.section	.text._ZN7rocprim17ROCPRIM_400000_NS6detail17trampoline_kernelINS0_13select_configILj256ELj13ELNS0_17block_load_methodE3ELS4_3ELS4_3ELNS0_20block_scan_algorithmE0ELj4294967295EEENS1_25partition_config_selectorILNS1_17partition_subalgoE4EjNS0_10empty_typeEbEEZZNS1_14partition_implILS8_4ELb0ES6_15HIP_vector_typeIjLj2EENS0_17counting_iteratorIjlEEPS9_SG_NS0_5tupleIJPjSI_NS0_16reverse_iteratorISI_EEEEENSH_IJSG_SG_SG_EEES9_SI_JZNS1_25segmented_radix_sort_implINS0_14default_configELb1EPK6__halfPSP_PKlPlN2at6native12_GLOBAL__N_18offset_tEEE10hipError_tPvRmT1_PNSt15iterator_traitsIS13_E10value_typeET2_T3_PNS14_IS19_E10value_typeET4_jRbjT5_S1F_jjP12ihipStream_tbEUljE_ZNSN_ISO_Lb1ESR_SS_SU_SV_SZ_EES10_S11_S12_S13_S17_S18_S19_S1C_S1D_jS1E_jS1F_S1F_jjS1H_bEUljE0_EEES10_S11_S12_S19_S1D_S1F_T6_T7_T9_mT8_S1H_bDpT10_ENKUlT_T0_E_clISt17integral_constantIbLb0EES1V_EEDaS1Q_S1R_EUlS1Q_E_NS1_11comp_targetILNS1_3genE3ELNS1_11target_archE908ELNS1_3gpuE7ELNS1_3repE0EEENS1_30default_config_static_selectorELNS0_4arch9wavefront6targetE1EEEvS13_,"axG",@progbits,_ZN7rocprim17ROCPRIM_400000_NS6detail17trampoline_kernelINS0_13select_configILj256ELj13ELNS0_17block_load_methodE3ELS4_3ELS4_3ELNS0_20block_scan_algorithmE0ELj4294967295EEENS1_25partition_config_selectorILNS1_17partition_subalgoE4EjNS0_10empty_typeEbEEZZNS1_14partition_implILS8_4ELb0ES6_15HIP_vector_typeIjLj2EENS0_17counting_iteratorIjlEEPS9_SG_NS0_5tupleIJPjSI_NS0_16reverse_iteratorISI_EEEEENSH_IJSG_SG_SG_EEES9_SI_JZNS1_25segmented_radix_sort_implINS0_14default_configELb1EPK6__halfPSP_PKlPlN2at6native12_GLOBAL__N_18offset_tEEE10hipError_tPvRmT1_PNSt15iterator_traitsIS13_E10value_typeET2_T3_PNS14_IS19_E10value_typeET4_jRbjT5_S1F_jjP12ihipStream_tbEUljE_ZNSN_ISO_Lb1ESR_SS_SU_SV_SZ_EES10_S11_S12_S13_S17_S18_S19_S1C_S1D_jS1E_jS1F_S1F_jjS1H_bEUljE0_EEES10_S11_S12_S19_S1D_S1F_T6_T7_T9_mT8_S1H_bDpT10_ENKUlT_T0_E_clISt17integral_constantIbLb0EES1V_EEDaS1Q_S1R_EUlS1Q_E_NS1_11comp_targetILNS1_3genE3ELNS1_11target_archE908ELNS1_3gpuE7ELNS1_3repE0EEENS1_30default_config_static_selectorELNS0_4arch9wavefront6targetE1EEEvS13_,comdat
.Lfunc_end1678:
	.size	_ZN7rocprim17ROCPRIM_400000_NS6detail17trampoline_kernelINS0_13select_configILj256ELj13ELNS0_17block_load_methodE3ELS4_3ELS4_3ELNS0_20block_scan_algorithmE0ELj4294967295EEENS1_25partition_config_selectorILNS1_17partition_subalgoE4EjNS0_10empty_typeEbEEZZNS1_14partition_implILS8_4ELb0ES6_15HIP_vector_typeIjLj2EENS0_17counting_iteratorIjlEEPS9_SG_NS0_5tupleIJPjSI_NS0_16reverse_iteratorISI_EEEEENSH_IJSG_SG_SG_EEES9_SI_JZNS1_25segmented_radix_sort_implINS0_14default_configELb1EPK6__halfPSP_PKlPlN2at6native12_GLOBAL__N_18offset_tEEE10hipError_tPvRmT1_PNSt15iterator_traitsIS13_E10value_typeET2_T3_PNS14_IS19_E10value_typeET4_jRbjT5_S1F_jjP12ihipStream_tbEUljE_ZNSN_ISO_Lb1ESR_SS_SU_SV_SZ_EES10_S11_S12_S13_S17_S18_S19_S1C_S1D_jS1E_jS1F_S1F_jjS1H_bEUljE0_EEES10_S11_S12_S19_S1D_S1F_T6_T7_T9_mT8_S1H_bDpT10_ENKUlT_T0_E_clISt17integral_constantIbLb0EES1V_EEDaS1Q_S1R_EUlS1Q_E_NS1_11comp_targetILNS1_3genE3ELNS1_11target_archE908ELNS1_3gpuE7ELNS1_3repE0EEENS1_30default_config_static_selectorELNS0_4arch9wavefront6targetE1EEEvS13_, .Lfunc_end1678-_ZN7rocprim17ROCPRIM_400000_NS6detail17trampoline_kernelINS0_13select_configILj256ELj13ELNS0_17block_load_methodE3ELS4_3ELS4_3ELNS0_20block_scan_algorithmE0ELj4294967295EEENS1_25partition_config_selectorILNS1_17partition_subalgoE4EjNS0_10empty_typeEbEEZZNS1_14partition_implILS8_4ELb0ES6_15HIP_vector_typeIjLj2EENS0_17counting_iteratorIjlEEPS9_SG_NS0_5tupleIJPjSI_NS0_16reverse_iteratorISI_EEEEENSH_IJSG_SG_SG_EEES9_SI_JZNS1_25segmented_radix_sort_implINS0_14default_configELb1EPK6__halfPSP_PKlPlN2at6native12_GLOBAL__N_18offset_tEEE10hipError_tPvRmT1_PNSt15iterator_traitsIS13_E10value_typeET2_T3_PNS14_IS19_E10value_typeET4_jRbjT5_S1F_jjP12ihipStream_tbEUljE_ZNSN_ISO_Lb1ESR_SS_SU_SV_SZ_EES10_S11_S12_S13_S17_S18_S19_S1C_S1D_jS1E_jS1F_S1F_jjS1H_bEUljE0_EEES10_S11_S12_S19_S1D_S1F_T6_T7_T9_mT8_S1H_bDpT10_ENKUlT_T0_E_clISt17integral_constantIbLb0EES1V_EEDaS1Q_S1R_EUlS1Q_E_NS1_11comp_targetILNS1_3genE3ELNS1_11target_archE908ELNS1_3gpuE7ELNS1_3repE0EEENS1_30default_config_static_selectorELNS0_4arch9wavefront6targetE1EEEvS13_
                                        ; -- End function
	.set _ZN7rocprim17ROCPRIM_400000_NS6detail17trampoline_kernelINS0_13select_configILj256ELj13ELNS0_17block_load_methodE3ELS4_3ELS4_3ELNS0_20block_scan_algorithmE0ELj4294967295EEENS1_25partition_config_selectorILNS1_17partition_subalgoE4EjNS0_10empty_typeEbEEZZNS1_14partition_implILS8_4ELb0ES6_15HIP_vector_typeIjLj2EENS0_17counting_iteratorIjlEEPS9_SG_NS0_5tupleIJPjSI_NS0_16reverse_iteratorISI_EEEEENSH_IJSG_SG_SG_EEES9_SI_JZNS1_25segmented_radix_sort_implINS0_14default_configELb1EPK6__halfPSP_PKlPlN2at6native12_GLOBAL__N_18offset_tEEE10hipError_tPvRmT1_PNSt15iterator_traitsIS13_E10value_typeET2_T3_PNS14_IS19_E10value_typeET4_jRbjT5_S1F_jjP12ihipStream_tbEUljE_ZNSN_ISO_Lb1ESR_SS_SU_SV_SZ_EES10_S11_S12_S13_S17_S18_S19_S1C_S1D_jS1E_jS1F_S1F_jjS1H_bEUljE0_EEES10_S11_S12_S19_S1D_S1F_T6_T7_T9_mT8_S1H_bDpT10_ENKUlT_T0_E_clISt17integral_constantIbLb0EES1V_EEDaS1Q_S1R_EUlS1Q_E_NS1_11comp_targetILNS1_3genE3ELNS1_11target_archE908ELNS1_3gpuE7ELNS1_3repE0EEENS1_30default_config_static_selectorELNS0_4arch9wavefront6targetE1EEEvS13_.num_vgpr, 0
	.set _ZN7rocprim17ROCPRIM_400000_NS6detail17trampoline_kernelINS0_13select_configILj256ELj13ELNS0_17block_load_methodE3ELS4_3ELS4_3ELNS0_20block_scan_algorithmE0ELj4294967295EEENS1_25partition_config_selectorILNS1_17partition_subalgoE4EjNS0_10empty_typeEbEEZZNS1_14partition_implILS8_4ELb0ES6_15HIP_vector_typeIjLj2EENS0_17counting_iteratorIjlEEPS9_SG_NS0_5tupleIJPjSI_NS0_16reverse_iteratorISI_EEEEENSH_IJSG_SG_SG_EEES9_SI_JZNS1_25segmented_radix_sort_implINS0_14default_configELb1EPK6__halfPSP_PKlPlN2at6native12_GLOBAL__N_18offset_tEEE10hipError_tPvRmT1_PNSt15iterator_traitsIS13_E10value_typeET2_T3_PNS14_IS19_E10value_typeET4_jRbjT5_S1F_jjP12ihipStream_tbEUljE_ZNSN_ISO_Lb1ESR_SS_SU_SV_SZ_EES10_S11_S12_S13_S17_S18_S19_S1C_S1D_jS1E_jS1F_S1F_jjS1H_bEUljE0_EEES10_S11_S12_S19_S1D_S1F_T6_T7_T9_mT8_S1H_bDpT10_ENKUlT_T0_E_clISt17integral_constantIbLb0EES1V_EEDaS1Q_S1R_EUlS1Q_E_NS1_11comp_targetILNS1_3genE3ELNS1_11target_archE908ELNS1_3gpuE7ELNS1_3repE0EEENS1_30default_config_static_selectorELNS0_4arch9wavefront6targetE1EEEvS13_.num_agpr, 0
	.set _ZN7rocprim17ROCPRIM_400000_NS6detail17trampoline_kernelINS0_13select_configILj256ELj13ELNS0_17block_load_methodE3ELS4_3ELS4_3ELNS0_20block_scan_algorithmE0ELj4294967295EEENS1_25partition_config_selectorILNS1_17partition_subalgoE4EjNS0_10empty_typeEbEEZZNS1_14partition_implILS8_4ELb0ES6_15HIP_vector_typeIjLj2EENS0_17counting_iteratorIjlEEPS9_SG_NS0_5tupleIJPjSI_NS0_16reverse_iteratorISI_EEEEENSH_IJSG_SG_SG_EEES9_SI_JZNS1_25segmented_radix_sort_implINS0_14default_configELb1EPK6__halfPSP_PKlPlN2at6native12_GLOBAL__N_18offset_tEEE10hipError_tPvRmT1_PNSt15iterator_traitsIS13_E10value_typeET2_T3_PNS14_IS19_E10value_typeET4_jRbjT5_S1F_jjP12ihipStream_tbEUljE_ZNSN_ISO_Lb1ESR_SS_SU_SV_SZ_EES10_S11_S12_S13_S17_S18_S19_S1C_S1D_jS1E_jS1F_S1F_jjS1H_bEUljE0_EEES10_S11_S12_S19_S1D_S1F_T6_T7_T9_mT8_S1H_bDpT10_ENKUlT_T0_E_clISt17integral_constantIbLb0EES1V_EEDaS1Q_S1R_EUlS1Q_E_NS1_11comp_targetILNS1_3genE3ELNS1_11target_archE908ELNS1_3gpuE7ELNS1_3repE0EEENS1_30default_config_static_selectorELNS0_4arch9wavefront6targetE1EEEvS13_.numbered_sgpr, 0
	.set _ZN7rocprim17ROCPRIM_400000_NS6detail17trampoline_kernelINS0_13select_configILj256ELj13ELNS0_17block_load_methodE3ELS4_3ELS4_3ELNS0_20block_scan_algorithmE0ELj4294967295EEENS1_25partition_config_selectorILNS1_17partition_subalgoE4EjNS0_10empty_typeEbEEZZNS1_14partition_implILS8_4ELb0ES6_15HIP_vector_typeIjLj2EENS0_17counting_iteratorIjlEEPS9_SG_NS0_5tupleIJPjSI_NS0_16reverse_iteratorISI_EEEEENSH_IJSG_SG_SG_EEES9_SI_JZNS1_25segmented_radix_sort_implINS0_14default_configELb1EPK6__halfPSP_PKlPlN2at6native12_GLOBAL__N_18offset_tEEE10hipError_tPvRmT1_PNSt15iterator_traitsIS13_E10value_typeET2_T3_PNS14_IS19_E10value_typeET4_jRbjT5_S1F_jjP12ihipStream_tbEUljE_ZNSN_ISO_Lb1ESR_SS_SU_SV_SZ_EES10_S11_S12_S13_S17_S18_S19_S1C_S1D_jS1E_jS1F_S1F_jjS1H_bEUljE0_EEES10_S11_S12_S19_S1D_S1F_T6_T7_T9_mT8_S1H_bDpT10_ENKUlT_T0_E_clISt17integral_constantIbLb0EES1V_EEDaS1Q_S1R_EUlS1Q_E_NS1_11comp_targetILNS1_3genE3ELNS1_11target_archE908ELNS1_3gpuE7ELNS1_3repE0EEENS1_30default_config_static_selectorELNS0_4arch9wavefront6targetE1EEEvS13_.num_named_barrier, 0
	.set _ZN7rocprim17ROCPRIM_400000_NS6detail17trampoline_kernelINS0_13select_configILj256ELj13ELNS0_17block_load_methodE3ELS4_3ELS4_3ELNS0_20block_scan_algorithmE0ELj4294967295EEENS1_25partition_config_selectorILNS1_17partition_subalgoE4EjNS0_10empty_typeEbEEZZNS1_14partition_implILS8_4ELb0ES6_15HIP_vector_typeIjLj2EENS0_17counting_iteratorIjlEEPS9_SG_NS0_5tupleIJPjSI_NS0_16reverse_iteratorISI_EEEEENSH_IJSG_SG_SG_EEES9_SI_JZNS1_25segmented_radix_sort_implINS0_14default_configELb1EPK6__halfPSP_PKlPlN2at6native12_GLOBAL__N_18offset_tEEE10hipError_tPvRmT1_PNSt15iterator_traitsIS13_E10value_typeET2_T3_PNS14_IS19_E10value_typeET4_jRbjT5_S1F_jjP12ihipStream_tbEUljE_ZNSN_ISO_Lb1ESR_SS_SU_SV_SZ_EES10_S11_S12_S13_S17_S18_S19_S1C_S1D_jS1E_jS1F_S1F_jjS1H_bEUljE0_EEES10_S11_S12_S19_S1D_S1F_T6_T7_T9_mT8_S1H_bDpT10_ENKUlT_T0_E_clISt17integral_constantIbLb0EES1V_EEDaS1Q_S1R_EUlS1Q_E_NS1_11comp_targetILNS1_3genE3ELNS1_11target_archE908ELNS1_3gpuE7ELNS1_3repE0EEENS1_30default_config_static_selectorELNS0_4arch9wavefront6targetE1EEEvS13_.private_seg_size, 0
	.set _ZN7rocprim17ROCPRIM_400000_NS6detail17trampoline_kernelINS0_13select_configILj256ELj13ELNS0_17block_load_methodE3ELS4_3ELS4_3ELNS0_20block_scan_algorithmE0ELj4294967295EEENS1_25partition_config_selectorILNS1_17partition_subalgoE4EjNS0_10empty_typeEbEEZZNS1_14partition_implILS8_4ELb0ES6_15HIP_vector_typeIjLj2EENS0_17counting_iteratorIjlEEPS9_SG_NS0_5tupleIJPjSI_NS0_16reverse_iteratorISI_EEEEENSH_IJSG_SG_SG_EEES9_SI_JZNS1_25segmented_radix_sort_implINS0_14default_configELb1EPK6__halfPSP_PKlPlN2at6native12_GLOBAL__N_18offset_tEEE10hipError_tPvRmT1_PNSt15iterator_traitsIS13_E10value_typeET2_T3_PNS14_IS19_E10value_typeET4_jRbjT5_S1F_jjP12ihipStream_tbEUljE_ZNSN_ISO_Lb1ESR_SS_SU_SV_SZ_EES10_S11_S12_S13_S17_S18_S19_S1C_S1D_jS1E_jS1F_S1F_jjS1H_bEUljE0_EEES10_S11_S12_S19_S1D_S1F_T6_T7_T9_mT8_S1H_bDpT10_ENKUlT_T0_E_clISt17integral_constantIbLb0EES1V_EEDaS1Q_S1R_EUlS1Q_E_NS1_11comp_targetILNS1_3genE3ELNS1_11target_archE908ELNS1_3gpuE7ELNS1_3repE0EEENS1_30default_config_static_selectorELNS0_4arch9wavefront6targetE1EEEvS13_.uses_vcc, 0
	.set _ZN7rocprim17ROCPRIM_400000_NS6detail17trampoline_kernelINS0_13select_configILj256ELj13ELNS0_17block_load_methodE3ELS4_3ELS4_3ELNS0_20block_scan_algorithmE0ELj4294967295EEENS1_25partition_config_selectorILNS1_17partition_subalgoE4EjNS0_10empty_typeEbEEZZNS1_14partition_implILS8_4ELb0ES6_15HIP_vector_typeIjLj2EENS0_17counting_iteratorIjlEEPS9_SG_NS0_5tupleIJPjSI_NS0_16reverse_iteratorISI_EEEEENSH_IJSG_SG_SG_EEES9_SI_JZNS1_25segmented_radix_sort_implINS0_14default_configELb1EPK6__halfPSP_PKlPlN2at6native12_GLOBAL__N_18offset_tEEE10hipError_tPvRmT1_PNSt15iterator_traitsIS13_E10value_typeET2_T3_PNS14_IS19_E10value_typeET4_jRbjT5_S1F_jjP12ihipStream_tbEUljE_ZNSN_ISO_Lb1ESR_SS_SU_SV_SZ_EES10_S11_S12_S13_S17_S18_S19_S1C_S1D_jS1E_jS1F_S1F_jjS1H_bEUljE0_EEES10_S11_S12_S19_S1D_S1F_T6_T7_T9_mT8_S1H_bDpT10_ENKUlT_T0_E_clISt17integral_constantIbLb0EES1V_EEDaS1Q_S1R_EUlS1Q_E_NS1_11comp_targetILNS1_3genE3ELNS1_11target_archE908ELNS1_3gpuE7ELNS1_3repE0EEENS1_30default_config_static_selectorELNS0_4arch9wavefront6targetE1EEEvS13_.uses_flat_scratch, 0
	.set _ZN7rocprim17ROCPRIM_400000_NS6detail17trampoline_kernelINS0_13select_configILj256ELj13ELNS0_17block_load_methodE3ELS4_3ELS4_3ELNS0_20block_scan_algorithmE0ELj4294967295EEENS1_25partition_config_selectorILNS1_17partition_subalgoE4EjNS0_10empty_typeEbEEZZNS1_14partition_implILS8_4ELb0ES6_15HIP_vector_typeIjLj2EENS0_17counting_iteratorIjlEEPS9_SG_NS0_5tupleIJPjSI_NS0_16reverse_iteratorISI_EEEEENSH_IJSG_SG_SG_EEES9_SI_JZNS1_25segmented_radix_sort_implINS0_14default_configELb1EPK6__halfPSP_PKlPlN2at6native12_GLOBAL__N_18offset_tEEE10hipError_tPvRmT1_PNSt15iterator_traitsIS13_E10value_typeET2_T3_PNS14_IS19_E10value_typeET4_jRbjT5_S1F_jjP12ihipStream_tbEUljE_ZNSN_ISO_Lb1ESR_SS_SU_SV_SZ_EES10_S11_S12_S13_S17_S18_S19_S1C_S1D_jS1E_jS1F_S1F_jjS1H_bEUljE0_EEES10_S11_S12_S19_S1D_S1F_T6_T7_T9_mT8_S1H_bDpT10_ENKUlT_T0_E_clISt17integral_constantIbLb0EES1V_EEDaS1Q_S1R_EUlS1Q_E_NS1_11comp_targetILNS1_3genE3ELNS1_11target_archE908ELNS1_3gpuE7ELNS1_3repE0EEENS1_30default_config_static_selectorELNS0_4arch9wavefront6targetE1EEEvS13_.has_dyn_sized_stack, 0
	.set _ZN7rocprim17ROCPRIM_400000_NS6detail17trampoline_kernelINS0_13select_configILj256ELj13ELNS0_17block_load_methodE3ELS4_3ELS4_3ELNS0_20block_scan_algorithmE0ELj4294967295EEENS1_25partition_config_selectorILNS1_17partition_subalgoE4EjNS0_10empty_typeEbEEZZNS1_14partition_implILS8_4ELb0ES6_15HIP_vector_typeIjLj2EENS0_17counting_iteratorIjlEEPS9_SG_NS0_5tupleIJPjSI_NS0_16reverse_iteratorISI_EEEEENSH_IJSG_SG_SG_EEES9_SI_JZNS1_25segmented_radix_sort_implINS0_14default_configELb1EPK6__halfPSP_PKlPlN2at6native12_GLOBAL__N_18offset_tEEE10hipError_tPvRmT1_PNSt15iterator_traitsIS13_E10value_typeET2_T3_PNS14_IS19_E10value_typeET4_jRbjT5_S1F_jjP12ihipStream_tbEUljE_ZNSN_ISO_Lb1ESR_SS_SU_SV_SZ_EES10_S11_S12_S13_S17_S18_S19_S1C_S1D_jS1E_jS1F_S1F_jjS1H_bEUljE0_EEES10_S11_S12_S19_S1D_S1F_T6_T7_T9_mT8_S1H_bDpT10_ENKUlT_T0_E_clISt17integral_constantIbLb0EES1V_EEDaS1Q_S1R_EUlS1Q_E_NS1_11comp_targetILNS1_3genE3ELNS1_11target_archE908ELNS1_3gpuE7ELNS1_3repE0EEENS1_30default_config_static_selectorELNS0_4arch9wavefront6targetE1EEEvS13_.has_recursion, 0
	.set _ZN7rocprim17ROCPRIM_400000_NS6detail17trampoline_kernelINS0_13select_configILj256ELj13ELNS0_17block_load_methodE3ELS4_3ELS4_3ELNS0_20block_scan_algorithmE0ELj4294967295EEENS1_25partition_config_selectorILNS1_17partition_subalgoE4EjNS0_10empty_typeEbEEZZNS1_14partition_implILS8_4ELb0ES6_15HIP_vector_typeIjLj2EENS0_17counting_iteratorIjlEEPS9_SG_NS0_5tupleIJPjSI_NS0_16reverse_iteratorISI_EEEEENSH_IJSG_SG_SG_EEES9_SI_JZNS1_25segmented_radix_sort_implINS0_14default_configELb1EPK6__halfPSP_PKlPlN2at6native12_GLOBAL__N_18offset_tEEE10hipError_tPvRmT1_PNSt15iterator_traitsIS13_E10value_typeET2_T3_PNS14_IS19_E10value_typeET4_jRbjT5_S1F_jjP12ihipStream_tbEUljE_ZNSN_ISO_Lb1ESR_SS_SU_SV_SZ_EES10_S11_S12_S13_S17_S18_S19_S1C_S1D_jS1E_jS1F_S1F_jjS1H_bEUljE0_EEES10_S11_S12_S19_S1D_S1F_T6_T7_T9_mT8_S1H_bDpT10_ENKUlT_T0_E_clISt17integral_constantIbLb0EES1V_EEDaS1Q_S1R_EUlS1Q_E_NS1_11comp_targetILNS1_3genE3ELNS1_11target_archE908ELNS1_3gpuE7ELNS1_3repE0EEENS1_30default_config_static_selectorELNS0_4arch9wavefront6targetE1EEEvS13_.has_indirect_call, 0
	.section	.AMDGPU.csdata,"",@progbits
; Kernel info:
; codeLenInByte = 0
; TotalNumSgprs: 4
; NumVgprs: 0
; ScratchSize: 0
; MemoryBound: 0
; FloatMode: 240
; IeeeMode: 1
; LDSByteSize: 0 bytes/workgroup (compile time only)
; SGPRBlocks: 0
; VGPRBlocks: 0
; NumSGPRsForWavesPerEU: 4
; NumVGPRsForWavesPerEU: 1
; Occupancy: 10
; WaveLimiterHint : 0
; COMPUTE_PGM_RSRC2:SCRATCH_EN: 0
; COMPUTE_PGM_RSRC2:USER_SGPR: 6
; COMPUTE_PGM_RSRC2:TRAP_HANDLER: 0
; COMPUTE_PGM_RSRC2:TGID_X_EN: 1
; COMPUTE_PGM_RSRC2:TGID_Y_EN: 0
; COMPUTE_PGM_RSRC2:TGID_Z_EN: 0
; COMPUTE_PGM_RSRC2:TIDIG_COMP_CNT: 0
	.section	.text._ZN7rocprim17ROCPRIM_400000_NS6detail17trampoline_kernelINS0_13select_configILj256ELj13ELNS0_17block_load_methodE3ELS4_3ELS4_3ELNS0_20block_scan_algorithmE0ELj4294967295EEENS1_25partition_config_selectorILNS1_17partition_subalgoE4EjNS0_10empty_typeEbEEZZNS1_14partition_implILS8_4ELb0ES6_15HIP_vector_typeIjLj2EENS0_17counting_iteratorIjlEEPS9_SG_NS0_5tupleIJPjSI_NS0_16reverse_iteratorISI_EEEEENSH_IJSG_SG_SG_EEES9_SI_JZNS1_25segmented_radix_sort_implINS0_14default_configELb1EPK6__halfPSP_PKlPlN2at6native12_GLOBAL__N_18offset_tEEE10hipError_tPvRmT1_PNSt15iterator_traitsIS13_E10value_typeET2_T3_PNS14_IS19_E10value_typeET4_jRbjT5_S1F_jjP12ihipStream_tbEUljE_ZNSN_ISO_Lb1ESR_SS_SU_SV_SZ_EES10_S11_S12_S13_S17_S18_S19_S1C_S1D_jS1E_jS1F_S1F_jjS1H_bEUljE0_EEES10_S11_S12_S19_S1D_S1F_T6_T7_T9_mT8_S1H_bDpT10_ENKUlT_T0_E_clISt17integral_constantIbLb0EES1V_EEDaS1Q_S1R_EUlS1Q_E_NS1_11comp_targetILNS1_3genE2ELNS1_11target_archE906ELNS1_3gpuE6ELNS1_3repE0EEENS1_30default_config_static_selectorELNS0_4arch9wavefront6targetE1EEEvS13_,"axG",@progbits,_ZN7rocprim17ROCPRIM_400000_NS6detail17trampoline_kernelINS0_13select_configILj256ELj13ELNS0_17block_load_methodE3ELS4_3ELS4_3ELNS0_20block_scan_algorithmE0ELj4294967295EEENS1_25partition_config_selectorILNS1_17partition_subalgoE4EjNS0_10empty_typeEbEEZZNS1_14partition_implILS8_4ELb0ES6_15HIP_vector_typeIjLj2EENS0_17counting_iteratorIjlEEPS9_SG_NS0_5tupleIJPjSI_NS0_16reverse_iteratorISI_EEEEENSH_IJSG_SG_SG_EEES9_SI_JZNS1_25segmented_radix_sort_implINS0_14default_configELb1EPK6__halfPSP_PKlPlN2at6native12_GLOBAL__N_18offset_tEEE10hipError_tPvRmT1_PNSt15iterator_traitsIS13_E10value_typeET2_T3_PNS14_IS19_E10value_typeET4_jRbjT5_S1F_jjP12ihipStream_tbEUljE_ZNSN_ISO_Lb1ESR_SS_SU_SV_SZ_EES10_S11_S12_S13_S17_S18_S19_S1C_S1D_jS1E_jS1F_S1F_jjS1H_bEUljE0_EEES10_S11_S12_S19_S1D_S1F_T6_T7_T9_mT8_S1H_bDpT10_ENKUlT_T0_E_clISt17integral_constantIbLb0EES1V_EEDaS1Q_S1R_EUlS1Q_E_NS1_11comp_targetILNS1_3genE2ELNS1_11target_archE906ELNS1_3gpuE6ELNS1_3repE0EEENS1_30default_config_static_selectorELNS0_4arch9wavefront6targetE1EEEvS13_,comdat
	.globl	_ZN7rocprim17ROCPRIM_400000_NS6detail17trampoline_kernelINS0_13select_configILj256ELj13ELNS0_17block_load_methodE3ELS4_3ELS4_3ELNS0_20block_scan_algorithmE0ELj4294967295EEENS1_25partition_config_selectorILNS1_17partition_subalgoE4EjNS0_10empty_typeEbEEZZNS1_14partition_implILS8_4ELb0ES6_15HIP_vector_typeIjLj2EENS0_17counting_iteratorIjlEEPS9_SG_NS0_5tupleIJPjSI_NS0_16reverse_iteratorISI_EEEEENSH_IJSG_SG_SG_EEES9_SI_JZNS1_25segmented_radix_sort_implINS0_14default_configELb1EPK6__halfPSP_PKlPlN2at6native12_GLOBAL__N_18offset_tEEE10hipError_tPvRmT1_PNSt15iterator_traitsIS13_E10value_typeET2_T3_PNS14_IS19_E10value_typeET4_jRbjT5_S1F_jjP12ihipStream_tbEUljE_ZNSN_ISO_Lb1ESR_SS_SU_SV_SZ_EES10_S11_S12_S13_S17_S18_S19_S1C_S1D_jS1E_jS1F_S1F_jjS1H_bEUljE0_EEES10_S11_S12_S19_S1D_S1F_T6_T7_T9_mT8_S1H_bDpT10_ENKUlT_T0_E_clISt17integral_constantIbLb0EES1V_EEDaS1Q_S1R_EUlS1Q_E_NS1_11comp_targetILNS1_3genE2ELNS1_11target_archE906ELNS1_3gpuE6ELNS1_3repE0EEENS1_30default_config_static_selectorELNS0_4arch9wavefront6targetE1EEEvS13_ ; -- Begin function _ZN7rocprim17ROCPRIM_400000_NS6detail17trampoline_kernelINS0_13select_configILj256ELj13ELNS0_17block_load_methodE3ELS4_3ELS4_3ELNS0_20block_scan_algorithmE0ELj4294967295EEENS1_25partition_config_selectorILNS1_17partition_subalgoE4EjNS0_10empty_typeEbEEZZNS1_14partition_implILS8_4ELb0ES6_15HIP_vector_typeIjLj2EENS0_17counting_iteratorIjlEEPS9_SG_NS0_5tupleIJPjSI_NS0_16reverse_iteratorISI_EEEEENSH_IJSG_SG_SG_EEES9_SI_JZNS1_25segmented_radix_sort_implINS0_14default_configELb1EPK6__halfPSP_PKlPlN2at6native12_GLOBAL__N_18offset_tEEE10hipError_tPvRmT1_PNSt15iterator_traitsIS13_E10value_typeET2_T3_PNS14_IS19_E10value_typeET4_jRbjT5_S1F_jjP12ihipStream_tbEUljE_ZNSN_ISO_Lb1ESR_SS_SU_SV_SZ_EES10_S11_S12_S13_S17_S18_S19_S1C_S1D_jS1E_jS1F_S1F_jjS1H_bEUljE0_EEES10_S11_S12_S19_S1D_S1F_T6_T7_T9_mT8_S1H_bDpT10_ENKUlT_T0_E_clISt17integral_constantIbLb0EES1V_EEDaS1Q_S1R_EUlS1Q_E_NS1_11comp_targetILNS1_3genE2ELNS1_11target_archE906ELNS1_3gpuE6ELNS1_3repE0EEENS1_30default_config_static_selectorELNS0_4arch9wavefront6targetE1EEEvS13_
	.p2align	8
	.type	_ZN7rocprim17ROCPRIM_400000_NS6detail17trampoline_kernelINS0_13select_configILj256ELj13ELNS0_17block_load_methodE3ELS4_3ELS4_3ELNS0_20block_scan_algorithmE0ELj4294967295EEENS1_25partition_config_selectorILNS1_17partition_subalgoE4EjNS0_10empty_typeEbEEZZNS1_14partition_implILS8_4ELb0ES6_15HIP_vector_typeIjLj2EENS0_17counting_iteratorIjlEEPS9_SG_NS0_5tupleIJPjSI_NS0_16reverse_iteratorISI_EEEEENSH_IJSG_SG_SG_EEES9_SI_JZNS1_25segmented_radix_sort_implINS0_14default_configELb1EPK6__halfPSP_PKlPlN2at6native12_GLOBAL__N_18offset_tEEE10hipError_tPvRmT1_PNSt15iterator_traitsIS13_E10value_typeET2_T3_PNS14_IS19_E10value_typeET4_jRbjT5_S1F_jjP12ihipStream_tbEUljE_ZNSN_ISO_Lb1ESR_SS_SU_SV_SZ_EES10_S11_S12_S13_S17_S18_S19_S1C_S1D_jS1E_jS1F_S1F_jjS1H_bEUljE0_EEES10_S11_S12_S19_S1D_S1F_T6_T7_T9_mT8_S1H_bDpT10_ENKUlT_T0_E_clISt17integral_constantIbLb0EES1V_EEDaS1Q_S1R_EUlS1Q_E_NS1_11comp_targetILNS1_3genE2ELNS1_11target_archE906ELNS1_3gpuE6ELNS1_3repE0EEENS1_30default_config_static_selectorELNS0_4arch9wavefront6targetE1EEEvS13_,@function
_ZN7rocprim17ROCPRIM_400000_NS6detail17trampoline_kernelINS0_13select_configILj256ELj13ELNS0_17block_load_methodE3ELS4_3ELS4_3ELNS0_20block_scan_algorithmE0ELj4294967295EEENS1_25partition_config_selectorILNS1_17partition_subalgoE4EjNS0_10empty_typeEbEEZZNS1_14partition_implILS8_4ELb0ES6_15HIP_vector_typeIjLj2EENS0_17counting_iteratorIjlEEPS9_SG_NS0_5tupleIJPjSI_NS0_16reverse_iteratorISI_EEEEENSH_IJSG_SG_SG_EEES9_SI_JZNS1_25segmented_radix_sort_implINS0_14default_configELb1EPK6__halfPSP_PKlPlN2at6native12_GLOBAL__N_18offset_tEEE10hipError_tPvRmT1_PNSt15iterator_traitsIS13_E10value_typeET2_T3_PNS14_IS19_E10value_typeET4_jRbjT5_S1F_jjP12ihipStream_tbEUljE_ZNSN_ISO_Lb1ESR_SS_SU_SV_SZ_EES10_S11_S12_S13_S17_S18_S19_S1C_S1D_jS1E_jS1F_S1F_jjS1H_bEUljE0_EEES10_S11_S12_S19_S1D_S1F_T6_T7_T9_mT8_S1H_bDpT10_ENKUlT_T0_E_clISt17integral_constantIbLb0EES1V_EEDaS1Q_S1R_EUlS1Q_E_NS1_11comp_targetILNS1_3genE2ELNS1_11target_archE906ELNS1_3gpuE6ELNS1_3repE0EEENS1_30default_config_static_selectorELNS0_4arch9wavefront6targetE1EEEvS13_: ; @_ZN7rocprim17ROCPRIM_400000_NS6detail17trampoline_kernelINS0_13select_configILj256ELj13ELNS0_17block_load_methodE3ELS4_3ELS4_3ELNS0_20block_scan_algorithmE0ELj4294967295EEENS1_25partition_config_selectorILNS1_17partition_subalgoE4EjNS0_10empty_typeEbEEZZNS1_14partition_implILS8_4ELb0ES6_15HIP_vector_typeIjLj2EENS0_17counting_iteratorIjlEEPS9_SG_NS0_5tupleIJPjSI_NS0_16reverse_iteratorISI_EEEEENSH_IJSG_SG_SG_EEES9_SI_JZNS1_25segmented_radix_sort_implINS0_14default_configELb1EPK6__halfPSP_PKlPlN2at6native12_GLOBAL__N_18offset_tEEE10hipError_tPvRmT1_PNSt15iterator_traitsIS13_E10value_typeET2_T3_PNS14_IS19_E10value_typeET4_jRbjT5_S1F_jjP12ihipStream_tbEUljE_ZNSN_ISO_Lb1ESR_SS_SU_SV_SZ_EES10_S11_S12_S13_S17_S18_S19_S1C_S1D_jS1E_jS1F_S1F_jjS1H_bEUljE0_EEES10_S11_S12_S19_S1D_S1F_T6_T7_T9_mT8_S1H_bDpT10_ENKUlT_T0_E_clISt17integral_constantIbLb0EES1V_EEDaS1Q_S1R_EUlS1Q_E_NS1_11comp_targetILNS1_3genE2ELNS1_11target_archE906ELNS1_3gpuE6ELNS1_3repE0EEENS1_30default_config_static_selectorELNS0_4arch9wavefront6targetE1EEEvS13_
; %bb.0:
	s_load_dwordx2 s[0:1], s[4:5], 0x68
	s_load_dwordx4 s[44:47], s[4:5], 0x58
	s_load_dword s8, s[4:5], 0x8
	s_load_dwordx2 s[56:57], s[4:5], 0x10
	s_load_dword s7, s[4:5], 0x80
	s_load_dwordx2 s[58:59], s[4:5], 0xa8
	s_load_dwordx8 s[36:43], s[4:5], 0x88
	s_waitcnt lgkmcnt(0)
	s_load_dwordx4 s[48:51], s[46:47], 0x0
	s_mul_i32 s33, s6, 0xd00
	s_add_i32 s9, s7, -1
	s_mulk_i32 s7, 0xd00
	s_add_u32 s2, s56, s7
	s_addc_u32 s3, s57, 0
	v_mov_b32_e32 v1, s2
	v_mov_b32_e32 v2, s3
	s_cmp_eq_u32 s6, s9
	v_cmp_gt_u64_e32 vcc, s[0:1], v[1:2]
	s_cselect_b64 s[34:35], -1, 0
	s_cmp_lg_u32 s6, s9
	s_cselect_b64 s[2:3], -1, 0
	s_add_i32 s1, s8, s33
	s_or_b64 s[2:3], s[2:3], vcc
	s_add_i32 s1, s1, s56
	s_mov_b64 s[8:9], -1
	s_and_b64 vcc, exec, s[2:3]
	v_add_u32_e32 v1, s1, v0
	s_cbranch_vccz .LBB1679_2
; %bb.1:
	v_add_u32_e32 v2, 0x100, v1
	v_lshlrev_b32_e32 v14, 2, v0
	v_add_u32_e32 v3, 0x200, v1
	v_add_u32_e32 v4, 0x300, v1
	;; [unrolled: 1-line block ×11, first 2 shown]
	ds_write2st64_b32 v14, v1, v2 offset1:4
	ds_write2st64_b32 v14, v3, v4 offset0:8 offset1:12
	ds_write2st64_b32 v14, v5, v6 offset0:16 offset1:20
	;; [unrolled: 1-line block ×5, first 2 shown]
	ds_write_b32 v14, v13 offset:12288
	s_waitcnt lgkmcnt(0)
	s_barrier
	s_mov_b64 s[8:9], 0
.LBB1679_2:
	s_andn2_b64 vcc, exec, s[8:9]
	s_add_i32 s7, s7, s56
	s_cbranch_vccnz .LBB1679_4
; %bb.3:
	v_add_u32_e32 v2, 0x100, v1
	v_lshlrev_b32_e32 v14, 2, v0
	v_add_u32_e32 v3, 0x200, v1
	v_add_u32_e32 v4, 0x300, v1
	;; [unrolled: 1-line block ×11, first 2 shown]
	ds_write2st64_b32 v14, v1, v2 offset1:4
	ds_write2st64_b32 v14, v3, v4 offset0:8 offset1:12
	ds_write2st64_b32 v14, v5, v6 offset0:16 offset1:20
	;; [unrolled: 1-line block ×5, first 2 shown]
	ds_write_b32 v14, v13 offset:12288
	s_waitcnt lgkmcnt(0)
	s_barrier
.LBB1679_4:
	v_mul_u32_u24_e32 v30, 13, v0
	v_lshlrev_b32_e32 v1, 2, v30
	s_load_dwordx4 s[52:55], s[4:5], 0x28
	s_load_dwordx2 s[46:47], s[4:5], 0x38
	s_waitcnt lgkmcnt(0)
	ds_read_b32 v29, v1 offset:48
	ds_read2_b32 v[9:10], v1 offset0:10 offset1:11
	ds_read2_b32 v[11:12], v1 offset0:8 offset1:9
	;; [unrolled: 1-line block ×4, first 2 shown]
	ds_read2_b32 v[19:20], v1 offset1:1
	ds_read2_b32 v[17:18], v1 offset0:2 offset1:3
	v_cndmask_b32_e64 v1, 0, 1, s[2:3]
	s_sub_i32 s7, s0, s7
	v_cmp_ne_u32_e64 s[0:1], 1, v1
	s_andn2_b64 vcc, exec, s[2:3]
	s_waitcnt lgkmcnt(0)
	s_barrier
	s_cbranch_vccnz .LBB1679_32
; %bb.5:
	v_add_u32_e32 v1, s37, v19
	v_add_u32_e32 v2, s39, v19
	v_mul_lo_u32 v1, v1, s36
	v_mul_lo_u32 v2, v2, s38
	s_mov_b64 s[62:63], 0
	s_mov_b64 s[60:61], 0
	v_sub_u32_e32 v1, v1, v2
	v_cmp_lt_u32_e32 vcc, s40, v1
	v_cmp_ge_u32_e64 s[2:3], s40, v1
	s_and_saveexec_b64 s[8:9], s[2:3]
	s_cbranch_execz .LBB1679_7
; %bb.6:
	v_add_u32_e32 v1, s42, v19
	v_add_u32_e32 v2, s58, v19
	v_mul_lo_u32 v1, v1, s41
	v_mul_lo_u32 v2, v2, s43
	v_sub_u32_e32 v1, v1, v2
	v_cmp_lt_u32_e64 s[2:3], s59, v1
	s_and_b64 s[60:61], s[2:3], exec
.LBB1679_7:
	s_or_b64 exec, exec, s[8:9]
	v_add_u32_e32 v1, s37, v20
	v_add_u32_e32 v2, s39, v20
	v_mul_lo_u32 v1, v1, s36
	v_mul_lo_u32 v2, v2, s38
	v_sub_u32_e32 v1, v1, v2
	v_cmp_lt_u32_e64 s[2:3], s40, v1
	v_cmp_ge_u32_e64 s[8:9], s40, v1
	s_and_saveexec_b64 s[10:11], s[8:9]
	s_cbranch_execz .LBB1679_9
; %bb.8:
	v_add_u32_e32 v1, s42, v20
	v_add_u32_e32 v2, s58, v20
	v_mul_lo_u32 v1, v1, s41
	v_mul_lo_u32 v2, v2, s43
	v_sub_u32_e32 v1, v1, v2
	v_cmp_lt_u32_e64 s[8:9], s59, v1
	s_and_b64 s[62:63], s[8:9], exec
.LBB1679_9:
	s_or_b64 exec, exec, s[10:11]
	v_add_u32_e32 v1, s37, v17
	v_add_u32_e32 v2, s39, v17
	v_mul_lo_u32 v1, v1, s36
	v_mul_lo_u32 v2, v2, s38
	s_mov_b64 s[66:67], 0
	s_mov_b64 s[64:65], 0
	v_sub_u32_e32 v1, v1, v2
	v_cmp_lt_u32_e64 s[28:29], s40, v1
	v_cmp_ge_u32_e64 s[8:9], s40, v1
	s_and_saveexec_b64 s[10:11], s[8:9]
	s_cbranch_execz .LBB1679_11
; %bb.10:
	v_add_u32_e32 v1, s42, v17
	v_add_u32_e32 v2, s58, v17
	v_mul_lo_u32 v1, v1, s41
	v_mul_lo_u32 v2, v2, s43
	v_sub_u32_e32 v1, v1, v2
	v_cmp_lt_u32_e64 s[8:9], s59, v1
	s_and_b64 s[64:65], s[8:9], exec
.LBB1679_11:
	s_or_b64 exec, exec, s[10:11]
	v_add_u32_e32 v1, s37, v18
	v_add_u32_e32 v2, s39, v18
	v_mul_lo_u32 v1, v1, s36
	v_mul_lo_u32 v2, v2, s38
	v_sub_u32_e32 v1, v1, v2
	v_cmp_lt_u32_e64 s[8:9], s40, v1
	v_cmp_ge_u32_e64 s[10:11], s40, v1
	s_and_saveexec_b64 s[12:13], s[10:11]
	s_cbranch_execz .LBB1679_13
; %bb.12:
	v_add_u32_e32 v1, s42, v18
	v_add_u32_e32 v2, s58, v18
	v_mul_lo_u32 v1, v1, s41
	v_mul_lo_u32 v2, v2, s43
	v_sub_u32_e32 v1, v1, v2
	v_cmp_lt_u32_e64 s[10:11], s59, v1
	s_and_b64 s[66:67], s[10:11], exec
.LBB1679_13:
	s_or_b64 exec, exec, s[12:13]
	v_add_u32_e32 v1, s37, v15
	v_add_u32_e32 v2, s39, v15
	v_mul_lo_u32 v1, v1, s36
	v_mul_lo_u32 v2, v2, s38
	s_mov_b64 s[70:71], 0
	s_mov_b64 s[68:69], 0
	v_sub_u32_e32 v1, v1, v2
	v_cmp_lt_u32_e64 s[10:11], s40, v1
	;; [unrolled: 40-line block ×6, first 2 shown]
	v_cmp_ge_u32_e64 s[30:31], s40, v1
	s_and_saveexec_b64 s[88:89], s[30:31]
	s_cbranch_execz .LBB1679_31
; %bb.30:
	v_add_u32_e32 v1, s42, v29
	v_add_u32_e32 v2, s58, v29
	v_mul_lo_u32 v1, v1, s41
	v_mul_lo_u32 v2, v2, s43
	v_sub_u32_e32 v1, v1, v2
	v_cmp_lt_u32_e64 s[30:31], s59, v1
	s_and_b64 s[86:87], s[30:31], exec
.LBB1679_31:
	s_or_b64 exec, exec, s[88:89]
	v_cndmask_b32_e64 v2, 0, 1, s[2:3]
	v_cndmask_b32_e64 v1, 0, 1, vcc
	v_cndmask_b32_e64 v4, 0, 1, s[8:9]
	v_lshlrev_b16_e32 v2, 8, v2
	v_cndmask_b32_e64 v3, 0, 1, s[28:29]
	v_or_b32_e32 v1, v1, v2
	v_lshlrev_b16_e32 v2, 8, v4
	v_cndmask_b32_e64 v6, 0, 1, s[12:13]
	v_cndmask_b32_e64 v8, 0, 1, s[16:17]
	v_or_b32_sdwa v2, v3, v2 dst_sel:WORD_1 dst_unused:UNUSED_PAD src0_sel:DWORD src1_sel:DWORD
	v_cndmask_b32_e64 v5, 0, 1, s[10:11]
	v_cndmask_b32_e64 v7, 0, 1, s[14:15]
	v_or_b32_sdwa v31, v1, v2 dst_sel:DWORD dst_unused:UNUSED_PAD src0_sel:WORD_0 src1_sel:DWORD
	v_lshlrev_b16_e32 v1, 8, v6
	v_lshlrev_b16_e32 v2, 8, v8
	v_cndmask_b32_e64 v22, 0, 1, s[20:21]
	v_cndmask_b32_e64 v25, 0, 1, s[24:25]
	v_or_b32_e32 v1, v5, v1
	v_or_b32_sdwa v2, v7, v2 dst_sel:WORD_1 dst_unused:UNUSED_PAD src0_sel:DWORD src1_sel:DWORD
	v_cndmask_b32_e64 v21, 0, 1, s[18:19]
	v_cndmask_b32_e64 v23, 0, 1, s[22:23]
	v_or_b32_sdwa v33, v1, v2 dst_sel:DWORD dst_unused:UNUSED_PAD src0_sel:WORD_0 src1_sel:DWORD
	v_lshlrev_b16_e32 v1, 8, v22
	v_lshlrev_b16_e32 v2, 8, v25
	v_cndmask_b32_e64 v37, 0, 1, s[64:65]
	v_cndmask_b32_e64 v42, 0, 1, s[60:61]
	v_or_b32_e32 v1, v21, v1
	;; [unrolled: 9-line block ×4, first 2 shown]
	v_or_b32_sdwa v2, v34, v2 dst_sel:WORD_1 dst_unused:UNUSED_PAD src0_sel:DWORD src1_sel:DWORD
	v_cndmask_b32_e64 v26, 0, 1, s[78:79]
	v_cndmask_b32_e64 v28, 0, 1, s[74:75]
	v_or_b32_sdwa v32, v1, v2 dst_sel:DWORD dst_unused:UNUSED_PAD src0_sel:WORD_0 src1_sel:DWORD
	v_lshlrev_b16_e32 v1, 8, v27
	v_lshlrev_b16_e32 v2, 8, v24
	v_or_b32_e32 v1, v28, v1
	v_or_b32_sdwa v2, v26, v2 dst_sel:WORD_1 dst_unused:UNUSED_PAD src0_sel:DWORD src1_sel:DWORD
	v_cndmask_b32_e64 v35, 0, 1, s[82:83]
	v_cndmask_b32_e64 v38, 0, 1, s[86:87]
	v_or_b32_sdwa v34, v1, v2 dst_sel:DWORD dst_unused:UNUSED_PAD src0_sel:WORD_0 src1_sel:DWORD
	s_load_dwordx2 s[12:13], s[4:5], 0x78
	s_add_i32 s18, s7, 0xd00
	s_and_b64 vcc, exec, s[80:81]
	s_cbranch_vccnz .LBB1679_33
	s_branch .LBB1679_110
.LBB1679_32:
                                        ; implicit-def: $vgpr38
                                        ; implicit-def: $vgpr35
                                        ; implicit-def: $vgpr34
                                        ; implicit-def: $vgpr32
                                        ; implicit-def: $vgpr37
                                        ; implicit-def: $vgpr36
                                        ; implicit-def: $vgpr33
                                        ; implicit-def: $vgpr31
	s_load_dwordx2 s[12:13], s[4:5], 0x78
	s_add_i32 s18, s7, 0xd00
	s_cbranch_execz .LBB1679_110
.LBB1679_33:
	v_cmp_gt_u32_e32 vcc, s18, v30
	v_mov_b32_e32 v2, 0
	v_mov_b32_e32 v1, 0
	s_and_saveexec_b64 s[4:5], vcc
	s_cbranch_execz .LBB1679_37
; %bb.34:
	v_add_u32_e32 v1, s37, v19
	v_add_u32_e32 v2, s39, v19
	v_mul_lo_u32 v1, v1, s36
	v_mul_lo_u32 v2, v2, s38
	s_mov_b64 s[10:11], 0
	v_sub_u32_e32 v1, v1, v2
	v_cmp_lt_u32_e32 vcc, s40, v1
	v_cmp_ge_u32_e64 s[2:3], s40, v1
	s_and_saveexec_b64 s[8:9], s[2:3]
	s_cbranch_execz .LBB1679_36
; %bb.35:
	v_add_u32_e32 v1, s42, v19
	v_add_u32_e32 v2, s58, v19
	v_mul_lo_u32 v1, v1, s41
	v_mul_lo_u32 v2, v2, s43
	v_sub_u32_e32 v1, v1, v2
	v_cmp_lt_u32_e64 s[2:3], s59, v1
	s_and_b64 s[10:11], s[2:3], exec
.LBB1679_36:
	s_or_b64 exec, exec, s[8:9]
	v_cndmask_b32_e64 v2, 0, 1, s[10:11]
	v_cndmask_b32_e64 v1, 0, 1, vcc
.LBB1679_37:
	s_or_b64 exec, exec, s[4:5]
	v_lshlrev_b16_e32 v7, 8, v2
	v_add_u32_e32 v2, 1, v30
	v_cmp_le_u32_e32 vcc, s18, v2
	v_lshlrev_b16_e64 v4, 8, 0
                                        ; implicit-def: $vgpr3
                                        ; implicit-def: $vgpr5
                                        ; implicit-def: $vgpr6
                                        ; implicit-def: $vgpr2
                                        ; implicit-def: $vgpr8
	s_and_saveexec_b64 s[2:3], vcc
	s_xor_b64 s[2:3], exec, s[2:3]
; %bb.38:
	v_mov_b32_e32 v2, 8
	v_lshrrev_b32_sdwa v3, v2, v7 dst_sel:BYTE_1 dst_unused:UNUSED_PAD src0_sel:DWORD src1_sel:DWORD
	v_and_b32_e32 v8, 0xff, v1
	v_or_b32_sdwa v1, v7, v3 dst_sel:DWORD dst_unused:UNUSED_PAD src0_sel:BYTE_0 src1_sel:DWORD
	v_mov_b32_e32 v5, 0
	v_lshlrev_b16_e64 v4, 8, 0
	v_lshlrev_b16_e64 v2, 8, 0
	v_and_b32_e32 v6, 0xffff, v1
	v_lshlrev_b16_e64 v3, 8, 0
                                        ; implicit-def: $vgpr1
                                        ; implicit-def: $vgpr7
; %bb.39:
	s_andn2_saveexec_b64 s[4:5], s[2:3]
	s_cbranch_execz .LBB1679_43
; %bb.40:
	v_add_u32_e32 v2, s37, v20
	v_add_u32_e32 v3, s39, v20
	v_mul_lo_u32 v2, v2, s36
	v_mul_lo_u32 v3, v3, s38
	s_mov_b64 s[8:9], 0
	v_sub_u32_e32 v2, v2, v3
	v_cmp_lt_u32_e32 vcc, s40, v2
	v_cmp_ge_u32_e64 s[2:3], s40, v2
	s_and_saveexec_b64 s[10:11], s[2:3]
	s_cbranch_execz .LBB1679_42
; %bb.41:
	v_add_u32_e32 v2, s42, v20
	v_add_u32_e32 v3, s58, v20
	v_mul_lo_u32 v2, v2, s41
	v_mul_lo_u32 v3, v3, s43
	v_sub_u32_e32 v2, v2, v3
	v_cmp_lt_u32_e64 s[2:3], s59, v2
	s_and_b64 s[8:9], s[2:3], exec
.LBB1679_42:
	s_or_b64 exec, exec, s[10:11]
	v_cndmask_b32_e64 v3, 0, 1, vcc
	v_lshlrev_b16_e32 v3, 8, v3
	v_or_b32_sdwa v1, v1, v3 dst_sel:DWORD dst_unused:UNUSED_PAD src0_sel:BYTE_0 src1_sel:DWORD
	v_and_b32_e32 v8, 0xffff, v1
	v_mov_b32_e32 v1, 8
	v_lshrrev_b32_sdwa v1, v1, v7 dst_sel:BYTE_1 dst_unused:UNUSED_PAD src0_sel:DWORD src1_sel:DWORD
	v_or_b32_sdwa v1, v7, v1 dst_sel:DWORD dst_unused:UNUSED_PAD src0_sel:BYTE_0 src1_sel:DWORD
	v_and_b32_e32 v1, 0xffff, v1
	v_cndmask_b32_e64 v3, 0, 1, s[8:9]
	v_mov_b32_e32 v2, 0
	v_mov_b32_e32 v5, 0
	v_lshl_or_b32 v6, v3, 16, v1
	v_lshlrev_b16_e64 v3, 8, 0
.LBB1679_43:
	s_or_b64 exec, exec, s[4:5]
	v_add_u32_e32 v1, 2, v30
	v_cmp_le_u32_e32 vcc, s18, v1
	v_lshrrev_b32_e32 v21, 24, v8
                                        ; implicit-def: $vgpr1
                                        ; implicit-def: $vgpr7
	s_and_saveexec_b64 s[2:3], vcc
	s_xor_b64 s[2:3], exec, s[2:3]
	s_cbranch_execz .LBB1679_45
; %bb.44:
	s_mov_b32 s4, 0x40c0100
	v_perm_b32 v7, v21, v8, s4
	v_mov_b32_e32 v8, 8
	v_lshrrev_b32_sdwa v8, v8, v7 dst_sel:BYTE_1 dst_unused:UNUSED_PAD src0_sel:DWORD src1_sel:DWORD
	v_or_b32_sdwa v8, v7, v8 dst_sel:DWORD dst_unused:UNUSED_PAD src0_sel:BYTE_0 src1_sel:DWORD
	v_and_b32_e32 v8, 0xffff, v8
	s_mov_b32 s4, 0xff000000
	v_and_or_b32 v7, v7, s4, v8
	s_mov_b32 s4, 0x3060504
	v_and_b32_e32 v1, 0xff0000, v6
	v_perm_b32 v4, v4, v4, s4
	s_mov_b32 s4, 0x3020504
	v_perm_b32 v1, v6, v1, s4
                                        ; implicit-def: $vgpr8
                                        ; implicit-def: $vgpr21
                                        ; implicit-def: $vgpr6
.LBB1679_45:
	s_andn2_saveexec_b64 s[4:5], s[2:3]
	s_cbranch_execz .LBB1679_49
; %bb.46:
	v_add_u32_e32 v1, s37, v17
	v_add_u32_e32 v7, s39, v17
	v_mul_lo_u32 v1, v1, s36
	v_mul_lo_u32 v7, v7, s38
	s_mov_b64 s[8:9], 0
	v_sub_u32_e32 v1, v1, v7
	v_cmp_lt_u32_e32 vcc, s40, v1
	v_cmp_ge_u32_e64 s[2:3], s40, v1
	s_and_saveexec_b64 s[10:11], s[2:3]
	s_cbranch_execz .LBB1679_48
; %bb.47:
	v_add_u32_e32 v1, s42, v17
	v_add_u32_e32 v7, s58, v17
	v_mul_lo_u32 v1, v1, s41
	v_mul_lo_u32 v7, v7, s43
	v_sub_u32_e32 v1, v1, v7
	v_cmp_lt_u32_e64 s[2:3], s59, v1
	s_and_b64 s[8:9], s[2:3], exec
.LBB1679_48:
	s_or_b64 exec, exec, s[10:11]
	v_mov_b32_e32 v23, 8
	v_lshrrev_b32_sdwa v7, v23, v8 dst_sel:BYTE_1 dst_unused:UNUSED_PAD src0_sel:DWORD src1_sel:DWORD
	v_cndmask_b32_e64 v1, 0, 1, vcc
	v_or_b32_sdwa v7, v8, v7 dst_sel:DWORD dst_unused:UNUSED_PAD src0_sel:BYTE_0 src1_sel:DWORD
	v_lshlrev_b16_e32 v8, 8, v21
	v_or_b32_sdwa v1, v1, v8 dst_sel:WORD_1 dst_unused:UNUSED_PAD src0_sel:DWORD src1_sel:DWORD
	v_cndmask_b32_e64 v22, 0, 1, s[8:9]
	s_movk_i32 s2, 0xff
	v_or_b32_sdwa v7, v7, v1 dst_sel:DWORD dst_unused:UNUSED_PAD src0_sel:WORD_0 src1_sel:DWORD
	v_lshrrev_b32_sdwa v1, v23, v6 dst_sel:BYTE_1 dst_unused:UNUSED_PAD src0_sel:DWORD src1_sel:DWORD
	v_or_b32_sdwa v1, v6, v1 dst_sel:DWORD dst_unused:UNUSED_PAD src0_sel:BYTE_0 src1_sel:DWORD
	v_lshlrev_b16_e32 v8, 8, v22
	v_and_b32_sdwa v6, v6, s2 dst_sel:DWORD dst_unused:UNUSED_PAD src0_sel:WORD_1 src1_sel:DWORD
	v_or_b32_sdwa v6, v6, v8 dst_sel:WORD_1 dst_unused:UNUSED_PAD src0_sel:DWORD src1_sel:DWORD
	v_or_b32_sdwa v1, v1, v6 dst_sel:DWORD dst_unused:UNUSED_PAD src0_sel:WORD_0 src1_sel:DWORD
.LBB1679_49:
	s_or_b64 exec, exec, s[4:5]
	v_add_u32_e32 v6, 3, v30
	v_cmp_le_u32_e32 vcc, s18, v6
	v_lshrrev_b32_e32 v8, 24, v5
                                        ; implicit-def: $vgpr6
                                        ; implicit-def: $vgpr31
	s_and_saveexec_b64 s[2:3], vcc
	s_xor_b64 s[2:3], exec, s[2:3]
	s_cbranch_execz .LBB1679_51
; %bb.50:
	v_and_b32_e32 v6, 0xff0000, v7
	s_mov_b32 s4, 0x3020504
	s_movk_i32 s5, 0xff
	v_perm_b32 v31, v7, v6, s4
	v_lshlrev_b16_e32 v6, 8, v8
	v_and_b32_sdwa v7, v5, s5 dst_sel:DWORD dst_unused:UNUSED_PAD src0_sel:WORD_1 src1_sel:DWORD
	s_mov_b32 s4, 0x3060504
	v_or_b32_sdwa v6, v7, v6 dst_sel:WORD_1 dst_unused:UNUSED_PAD src0_sel:DWORD src1_sel:DWORD
	v_mov_b32_e32 v7, 8
	v_perm_b32 v4, v4, v4, s4
	v_lshrrev_b32_sdwa v6, v7, v5 dst_sel:BYTE_1 dst_unused:UNUSED_PRESERVE src0_sel:DWORD src1_sel:DWORD
	v_perm_b32 v3, v3, v3, s4
                                        ; implicit-def: $vgpr7
                                        ; implicit-def: $vgpr8
                                        ; implicit-def: $vgpr5
.LBB1679_51:
	s_andn2_saveexec_b64 s[4:5], s[2:3]
	s_cbranch_execz .LBB1679_55
; %bb.52:
	v_add_u32_e32 v6, s37, v18
	v_add_u32_e32 v21, s39, v18
	v_mul_lo_u32 v6, v6, s36
	v_mul_lo_u32 v21, v21, s38
	s_mov_b64 s[8:9], 0
	v_sub_u32_e32 v6, v6, v21
	v_cmp_lt_u32_e32 vcc, s40, v6
	v_cmp_ge_u32_e64 s[2:3], s40, v6
	s_and_saveexec_b64 s[10:11], s[2:3]
	s_cbranch_execz .LBB1679_54
; %bb.53:
	v_add_u32_e32 v6, s42, v18
	v_add_u32_e32 v21, s58, v18
	v_mul_lo_u32 v6, v6, s41
	v_mul_lo_u32 v21, v21, s43
	v_sub_u32_e32 v6, v6, v21
	v_cmp_lt_u32_e64 s[2:3], s59, v6
	s_and_b64 s[8:9], s[2:3], exec
.LBB1679_54:
	s_or_b64 exec, exec, s[10:11]
	v_mov_b32_e32 v22, 8
	v_cndmask_b32_e64 v6, 0, 1, vcc
	s_movk_i32 s2, 0xff
	v_lshrrev_b32_sdwa v23, v22, v7 dst_sel:BYTE_1 dst_unused:UNUSED_PAD src0_sel:DWORD src1_sel:DWORD
	v_or_b32_sdwa v23, v7, v23 dst_sel:DWORD dst_unused:UNUSED_PAD src0_sel:BYTE_0 src1_sel:DWORD
	v_lshlrev_b16_e32 v6, 8, v6
	v_and_b32_sdwa v7, v7, s2 dst_sel:DWORD dst_unused:UNUSED_PAD src0_sel:WORD_1 src1_sel:DWORD
	v_or_b32_sdwa v6, v7, v6 dst_sel:WORD_1 dst_unused:UNUSED_PAD src0_sel:DWORD src1_sel:DWORD
	v_cndmask_b32_e64 v21, 0, 1, s[8:9]
	v_or_b32_sdwa v31, v23, v6 dst_sel:DWORD dst_unused:UNUSED_PAD src0_sel:WORD_0 src1_sel:DWORD
	v_lshlrev_b16_e32 v6, 8, v8
	v_and_b32_sdwa v7, v5, s2 dst_sel:DWORD dst_unused:UNUSED_PAD src0_sel:WORD_1 src1_sel:DWORD
	v_lshrrev_b32_sdwa v5, v22, v5 dst_sel:BYTE_1 dst_unused:UNUSED_PAD src0_sel:DWORD src1_sel:DWORD
	v_or_b32_sdwa v6, v7, v6 dst_sel:WORD_1 dst_unused:UNUSED_PAD src0_sel:DWORD src1_sel:DWORD
	v_or_b32_e32 v5, v21, v5
	v_or_b32_sdwa v6, v5, v6 dst_sel:DWORD dst_unused:UNUSED_PAD src0_sel:WORD_0 src1_sel:DWORD
.LBB1679_55:
	s_or_b64 exec, exec, s[4:5]
	v_add_u32_e32 v5, 4, v30
	v_cmp_le_u32_e32 vcc, s18, v5
	v_lshrrev_b32_e32 v21, 24, v4
	v_lshrrev_b32_e32 v8, 24, v6
                                        ; implicit-def: $vgpr7
                                        ; implicit-def: $vgpr5
	s_and_saveexec_b64 s[2:3], vcc
	s_xor_b64 s[2:3], exec, s[2:3]
	s_cbranch_execz .LBB1679_57
; %bb.56:
	s_movk_i32 s4, 0xff
	v_lshlrev_b16_e32 v5, 8, v21
	v_and_b32_sdwa v21, v4, s4 dst_sel:DWORD dst_unused:UNUSED_PAD src0_sel:WORD_1 src1_sel:DWORD
	v_mov_b32_e32 v7, 8
	v_or_b32_sdwa v5, v21, v5 dst_sel:WORD_1 dst_unused:UNUSED_PAD src0_sel:DWORD src1_sel:DWORD
	v_lshrrev_b32_sdwa v5, v7, v4 dst_sel:BYTE_1 dst_unused:UNUSED_PRESERVE src0_sel:DWORD src1_sel:DWORD
	v_lshlrev_b16_e32 v4, 8, v8
	v_and_b32_sdwa v7, v6, s4 dst_sel:DWORD dst_unused:UNUSED_PAD src0_sel:WORD_1 src1_sel:DWORD
	v_or_b32_e32 v4, v7, v4
	s_mov_b32 s4, 0x5040c00
	v_perm_b32 v7, v4, v6, s4
	s_mov_b32 s4, 0x3060504
	v_perm_b32 v3, v3, v3, s4
                                        ; implicit-def: $vgpr21
                                        ; implicit-def: $vgpr4
                                        ; implicit-def: $vgpr6
                                        ; implicit-def: $vgpr8
.LBB1679_57:
	s_andn2_saveexec_b64 s[4:5], s[2:3]
	s_cbranch_execz .LBB1679_61
; %bb.58:
	v_add_u32_e32 v5, s37, v15
	v_add_u32_e32 v7, s39, v15
	v_mul_lo_u32 v5, v5, s36
	v_mul_lo_u32 v7, v7, s38
	s_mov_b64 s[8:9], 0
	v_sub_u32_e32 v5, v5, v7
	v_cmp_lt_u32_e32 vcc, s40, v5
	v_cmp_ge_u32_e64 s[2:3], s40, v5
	s_and_saveexec_b64 s[10:11], s[2:3]
	s_cbranch_execz .LBB1679_60
; %bb.59:
	v_add_u32_e32 v5, s42, v15
	v_add_u32_e32 v7, s58, v15
	v_mul_lo_u32 v5, v5, s41
	v_mul_lo_u32 v7, v7, s43
	v_sub_u32_e32 v5, v5, v7
	v_cmp_lt_u32_e64 s[2:3], s59, v5
	s_and_b64 s[8:9], s[2:3], exec
.LBB1679_60:
	s_or_b64 exec, exec, s[10:11]
	s_movk_i32 s2, 0xff
	v_lshlrev_b16_e32 v21, 8, v21
	v_and_b32_sdwa v22, v4, s2 dst_sel:DWORD dst_unused:UNUSED_PAD src0_sel:WORD_1 src1_sel:DWORD
	v_or_b32_sdwa v21, v22, v21 dst_sel:WORD_1 dst_unused:UNUSED_PAD src0_sel:DWORD src1_sel:DWORD
	v_mov_b32_e32 v22, 8
	v_cndmask_b32_e64 v5, 0, 1, vcc
	v_lshrrev_b32_sdwa v4, v22, v4 dst_sel:BYTE_1 dst_unused:UNUSED_PAD src0_sel:DWORD src1_sel:DWORD
	v_cndmask_b32_e64 v7, 0, 1, s[8:9]
	v_or_b32_e32 v4, v5, v4
	v_or_b32_sdwa v5, v4, v21 dst_sel:DWORD dst_unused:UNUSED_PAD src0_sel:WORD_0 src1_sel:DWORD
	v_lshlrev_b16_e32 v4, 8, v7
	v_or_b32_sdwa v4, v6, v4 dst_sel:DWORD dst_unused:UNUSED_PAD src0_sel:BYTE_0 src1_sel:DWORD
	v_lshlrev_b16_e32 v7, 8, v8
	v_and_b32_sdwa v6, v6, s2 dst_sel:DWORD dst_unused:UNUSED_PAD src0_sel:WORD_1 src1_sel:DWORD
	v_or_b32_sdwa v6, v6, v7 dst_sel:WORD_1 dst_unused:UNUSED_PAD src0_sel:DWORD src1_sel:DWORD
	v_or_b32_sdwa v7, v4, v6 dst_sel:DWORD dst_unused:UNUSED_PAD src0_sel:WORD_0 src1_sel:DWORD
.LBB1679_61:
	s_or_b64 exec, exec, s[4:5]
	v_add_u32_e32 v4, 5, v30
	v_cmp_le_u32_e32 vcc, s18, v4
	v_lshrrev_b32_e32 v8, 24, v7
	v_lshrrev_b32_e32 v21, 24, v5
                                        ; implicit-def: $vgpr4
                                        ; implicit-def: $vgpr6
	s_and_saveexec_b64 s[2:3], vcc
	s_xor_b64 s[2:3], exec, s[2:3]
	s_cbranch_execz .LBB1679_63
; %bb.62:
	s_mov_b32 s4, 0x40c0100
	v_perm_b32 v4, v8, v7, s4
	s_movk_i32 s4, 0xff
	v_lshlrev_b16_e32 v6, 8, v21
	v_and_b32_sdwa v7, v5, s4 dst_sel:DWORD dst_unused:UNUSED_PAD src0_sel:WORD_1 src1_sel:DWORD
	v_or_b32_e32 v6, v7, v6
	s_mov_b32 s4, 0x5040c00
	v_perm_b32 v6, v6, v5, s4
	v_mov_b32_e32 v5, 8
	v_lshrrev_b32_sdwa v5, v5, v4 dst_sel:BYTE_1 dst_unused:UNUSED_PAD src0_sel:DWORD src1_sel:DWORD
	v_or_b32_sdwa v5, v4, v5 dst_sel:DWORD dst_unused:UNUSED_PAD src0_sel:BYTE_0 src1_sel:DWORD
	v_and_b32_e32 v5, 0xffff, v5
	s_mov_b32 s4, 0xff000000
	v_and_or_b32 v4, v4, s4, v5
	s_mov_b32 s4, 0x3060504
	v_perm_b32 v3, v3, v3, s4
                                        ; implicit-def: $vgpr5
                                        ; implicit-def: $vgpr21
                                        ; implicit-def: $vgpr7
                                        ; implicit-def: $vgpr8
.LBB1679_63:
	s_andn2_saveexec_b64 s[4:5], s[2:3]
	s_cbranch_execz .LBB1679_67
; %bb.64:
	v_add_u32_e32 v4, s37, v16
	v_add_u32_e32 v6, s39, v16
	v_mul_lo_u32 v4, v4, s36
	v_mul_lo_u32 v6, v6, s38
	s_mov_b64 s[8:9], 0
	v_sub_u32_e32 v4, v4, v6
	v_cmp_lt_u32_e32 vcc, s40, v4
	v_cmp_ge_u32_e64 s[2:3], s40, v4
	s_and_saveexec_b64 s[10:11], s[2:3]
	s_cbranch_execz .LBB1679_66
; %bb.65:
	v_add_u32_e32 v4, s42, v16
	v_add_u32_e32 v6, s58, v16
	v_mul_lo_u32 v4, v4, s41
	v_mul_lo_u32 v6, v6, s43
	v_sub_u32_e32 v4, v4, v6
	v_cmp_lt_u32_e64 s[2:3], s59, v4
	s_and_b64 s[8:9], s[2:3], exec
.LBB1679_66:
	s_or_b64 exec, exec, s[10:11]
	v_cndmask_b32_e64 v4, 0, 1, vcc
	v_lshlrev_b16_e32 v4, 8, v4
	s_movk_i32 s2, 0xff
	v_or_b32_sdwa v4, v5, v4 dst_sel:DWORD dst_unused:UNUSED_PAD src0_sel:BYTE_0 src1_sel:DWORD
	v_lshlrev_b16_e32 v6, 8, v21
	v_and_b32_sdwa v5, v5, s2 dst_sel:DWORD dst_unused:UNUSED_PAD src0_sel:WORD_1 src1_sel:DWORD
	v_or_b32_sdwa v5, v5, v6 dst_sel:WORD_1 dst_unused:UNUSED_PAD src0_sel:DWORD src1_sel:DWORD
	v_or_b32_sdwa v6, v4, v5 dst_sel:DWORD dst_unused:UNUSED_PAD src0_sel:WORD_0 src1_sel:DWORD
	v_mov_b32_e32 v4, 8
	v_cndmask_b32_e64 v22, 0, 1, s[8:9]
	v_lshrrev_b32_sdwa v4, v4, v7 dst_sel:BYTE_1 dst_unused:UNUSED_PAD src0_sel:DWORD src1_sel:DWORD
	v_lshlrev_b16_e32 v5, 8, v8
	v_or_b32_sdwa v4, v7, v4 dst_sel:DWORD dst_unused:UNUSED_PAD src0_sel:BYTE_0 src1_sel:DWORD
	v_or_b32_sdwa v5, v22, v5 dst_sel:WORD_1 dst_unused:UNUSED_PAD src0_sel:DWORD src1_sel:DWORD
	v_or_b32_sdwa v4, v4, v5 dst_sel:DWORD dst_unused:UNUSED_PAD src0_sel:WORD_0 src1_sel:DWORD
.LBB1679_67:
	s_or_b64 exec, exec, s[4:5]
	v_add_u32_e32 v5, 6, v30
	v_cmp_le_u32_e32 vcc, s18, v5
	v_lshrrev_b32_e32 v7, 24, v6
                                        ; implicit-def: $vgpr32
                                        ; implicit-def: $vgpr5
	s_and_saveexec_b64 s[2:3], vcc
	s_xor_b64 s[2:3], exec, s[2:3]
	s_cbranch_execz .LBB1679_69
; %bb.68:
	s_mov_b32 s4, 0x40c0100
	v_perm_b32 v5, v7, v6, s4
	v_mov_b32_e32 v6, 8
	v_lshrrev_b32_sdwa v6, v6, v5 dst_sel:BYTE_1 dst_unused:UNUSED_PAD src0_sel:DWORD src1_sel:DWORD
	v_or_b32_sdwa v6, v5, v6 dst_sel:DWORD dst_unused:UNUSED_PAD src0_sel:BYTE_0 src1_sel:DWORD
	v_and_b32_e32 v6, 0xffff, v6
	s_mov_b32 s4, 0xff000000
	v_and_b32_e32 v8, 0xff0000, v4
	v_and_or_b32 v5, v5, s4, v6
	s_mov_b32 s4, 0x3020504
	v_perm_b32 v32, v4, v8, s4
	s_mov_b32 s4, 0x3060504
	v_perm_b32 v3, v3, v3, s4
                                        ; implicit-def: $vgpr6
                                        ; implicit-def: $vgpr7
                                        ; implicit-def: $vgpr4
.LBB1679_69:
	s_andn2_saveexec_b64 s[4:5], s[2:3]
	s_cbranch_execz .LBB1679_73
; %bb.70:
	v_add_u32_e32 v5, s37, v13
	v_add_u32_e32 v8, s39, v13
	v_mul_lo_u32 v5, v5, s36
	v_mul_lo_u32 v8, v8, s38
	s_mov_b64 s[8:9], 0
	v_sub_u32_e32 v5, v5, v8
	v_cmp_lt_u32_e32 vcc, s40, v5
	v_cmp_ge_u32_e64 s[2:3], s40, v5
	s_and_saveexec_b64 s[10:11], s[2:3]
	s_cbranch_execz .LBB1679_72
; %bb.71:
	v_add_u32_e32 v5, s42, v13
	v_add_u32_e32 v8, s58, v13
	v_mul_lo_u32 v5, v5, s41
	v_mul_lo_u32 v8, v8, s43
	v_sub_u32_e32 v5, v5, v8
	v_cmp_lt_u32_e64 s[2:3], s59, v5
	s_and_b64 s[8:9], s[2:3], exec
.LBB1679_72:
	s_or_b64 exec, exec, s[10:11]
	v_mov_b32_e32 v21, 8
	v_cndmask_b32_e64 v5, 0, 1, vcc
	v_lshrrev_b32_sdwa v22, v21, v6 dst_sel:BYTE_1 dst_unused:UNUSED_PAD src0_sel:DWORD src1_sel:DWORD
	v_lshlrev_b16_e32 v7, 8, v7
	v_or_b32_sdwa v6, v6, v22 dst_sel:DWORD dst_unused:UNUSED_PAD src0_sel:BYTE_0 src1_sel:DWORD
	v_or_b32_sdwa v5, v5, v7 dst_sel:WORD_1 dst_unused:UNUSED_PAD src0_sel:DWORD src1_sel:DWORD
	v_cndmask_b32_e64 v8, 0, 1, s[8:9]
	s_movk_i32 s2, 0xff
	v_or_b32_sdwa v5, v6, v5 dst_sel:DWORD dst_unused:UNUSED_PAD src0_sel:WORD_0 src1_sel:DWORD
	v_lshrrev_b32_sdwa v6, v21, v4 dst_sel:BYTE_1 dst_unused:UNUSED_PAD src0_sel:DWORD src1_sel:DWORD
	v_or_b32_sdwa v6, v4, v6 dst_sel:DWORD dst_unused:UNUSED_PAD src0_sel:BYTE_0 src1_sel:DWORD
	v_lshlrev_b16_e32 v7, 8, v8
	v_and_b32_sdwa v4, v4, s2 dst_sel:DWORD dst_unused:UNUSED_PAD src0_sel:WORD_1 src1_sel:DWORD
	v_or_b32_sdwa v4, v4, v7 dst_sel:WORD_1 dst_unused:UNUSED_PAD src0_sel:DWORD src1_sel:DWORD
	v_or_b32_sdwa v32, v6, v4 dst_sel:DWORD dst_unused:UNUSED_PAD src0_sel:WORD_0 src1_sel:DWORD
.LBB1679_73:
	s_or_b64 exec, exec, s[4:5]
	v_add_u32_e32 v4, 7, v30
	v_cmp_le_u32_e32 vcc, s18, v4
	v_lshrrev_b32_e32 v6, 24, v3
                                        ; implicit-def: $vgpr4
                                        ; implicit-def: $vgpr33
	s_and_saveexec_b64 s[2:3], vcc
	s_xor_b64 s[2:3], exec, s[2:3]
; %bb.74:
	v_and_b32_e32 v4, 0xff0000, v5
	s_mov_b32 s4, 0x3020504
	v_perm_b32 v33, v5, v4, s4
	s_movk_i32 s4, 0xff
	v_lshlrev_b16_e32 v4, 8, v6
	v_and_b32_sdwa v5, v3, s4 dst_sel:DWORD dst_unused:UNUSED_PAD src0_sel:WORD_1 src1_sel:DWORD
	v_mov_b32_e32 v7, 8
	v_or_b32_sdwa v4, v5, v4 dst_sel:WORD_1 dst_unused:UNUSED_PAD src0_sel:DWORD src1_sel:DWORD
	v_lshrrev_b32_sdwa v4, v7, v3 dst_sel:BYTE_1 dst_unused:UNUSED_PRESERVE src0_sel:DWORD src1_sel:DWORD
                                        ; implicit-def: $vgpr5
                                        ; implicit-def: $vgpr6
                                        ; implicit-def: $vgpr3
; %bb.75:
	s_andn2_saveexec_b64 s[4:5], s[2:3]
	s_cbranch_execz .LBB1679_79
; %bb.76:
	v_add_u32_e32 v4, s37, v14
	v_add_u32_e32 v7, s39, v14
	v_mul_lo_u32 v4, v4, s36
	v_mul_lo_u32 v7, v7, s38
	s_mov_b64 s[8:9], 0
	v_sub_u32_e32 v4, v4, v7
	v_cmp_lt_u32_e32 vcc, s40, v4
	v_cmp_ge_u32_e64 s[2:3], s40, v4
	s_and_saveexec_b64 s[10:11], s[2:3]
	s_cbranch_execz .LBB1679_78
; %bb.77:
	v_add_u32_e32 v4, s42, v14
	v_add_u32_e32 v7, s58, v14
	v_mul_lo_u32 v4, v4, s41
	v_mul_lo_u32 v7, v7, s43
	v_sub_u32_e32 v4, v4, v7
	v_cmp_lt_u32_e64 s[2:3], s59, v4
	s_and_b64 s[8:9], s[2:3], exec
.LBB1679_78:
	s_or_b64 exec, exec, s[10:11]
	v_mov_b32_e32 v8, 8
	v_cndmask_b32_e64 v4, 0, 1, vcc
	s_movk_i32 s2, 0xff
	v_lshrrev_b32_sdwa v21, v8, v5 dst_sel:BYTE_1 dst_unused:UNUSED_PAD src0_sel:DWORD src1_sel:DWORD
	v_or_b32_sdwa v21, v5, v21 dst_sel:DWORD dst_unused:UNUSED_PAD src0_sel:BYTE_0 src1_sel:DWORD
	v_lshlrev_b16_e32 v4, 8, v4
	v_and_b32_sdwa v5, v5, s2 dst_sel:DWORD dst_unused:UNUSED_PAD src0_sel:WORD_1 src1_sel:DWORD
	v_or_b32_sdwa v4, v5, v4 dst_sel:WORD_1 dst_unused:UNUSED_PAD src0_sel:DWORD src1_sel:DWORD
	v_cndmask_b32_e64 v7, 0, 1, s[8:9]
	v_or_b32_sdwa v33, v21, v4 dst_sel:DWORD dst_unused:UNUSED_PAD src0_sel:WORD_0 src1_sel:DWORD
	v_lshlrev_b16_e32 v4, 8, v6
	v_and_b32_sdwa v5, v3, s2 dst_sel:DWORD dst_unused:UNUSED_PAD src0_sel:WORD_1 src1_sel:DWORD
	v_lshrrev_b32_sdwa v3, v8, v3 dst_sel:BYTE_1 dst_unused:UNUSED_PAD src0_sel:DWORD src1_sel:DWORD
	v_or_b32_sdwa v4, v5, v4 dst_sel:WORD_1 dst_unused:UNUSED_PAD src0_sel:DWORD src1_sel:DWORD
	v_or_b32_e32 v3, v7, v3
	v_or_b32_sdwa v4, v3, v4 dst_sel:DWORD dst_unused:UNUSED_PAD src0_sel:WORD_0 src1_sel:DWORD
.LBB1679_79:
	s_or_b64 exec, exec, s[4:5]
	v_add_u32_e32 v3, 8, v30
	v_cmp_le_u32_e32 vcc, s18, v3
	v_lshrrev_b32_e32 v6, 24, v4
	v_lshrrev_b32_e32 v7, 24, v2
                                        ; implicit-def: $vgpr5
                                        ; implicit-def: $vgpr3
	s_and_saveexec_b64 s[2:3], vcc
	s_xor_b64 s[2:3], exec, s[2:3]
	s_cbranch_execz .LBB1679_81
; %bb.80:
	s_movk_i32 s4, 0xff
	v_lshlrev_b16_e32 v3, 8, v7
	v_and_b32_sdwa v5, v2, s4 dst_sel:DWORD dst_unused:UNUSED_PAD src0_sel:WORD_1 src1_sel:DWORD
	v_or_b32_sdwa v3, v5, v3 dst_sel:WORD_1 dst_unused:UNUSED_PAD src0_sel:DWORD src1_sel:DWORD
	v_mov_b32_e32 v5, 8
	v_lshrrev_b32_sdwa v3, v5, v2 dst_sel:BYTE_1 dst_unused:UNUSED_PRESERVE src0_sel:DWORD src1_sel:DWORD
	v_lshlrev_b16_e32 v2, 8, v6
	v_and_b32_sdwa v5, v4, s4 dst_sel:DWORD dst_unused:UNUSED_PAD src0_sel:WORD_1 src1_sel:DWORD
	s_mov_b32 s5, 0x3060504
	v_or_b32_e32 v2, v5, v2
	s_mov_b32 s4, 0x5040c00
	v_perm_b32 v1, v1, v1, s5
	v_perm_b32 v5, v2, v4, s4
                                        ; implicit-def: $vgpr7
                                        ; implicit-def: $vgpr2
                                        ; implicit-def: $vgpr4
                                        ; implicit-def: $vgpr6
.LBB1679_81:
	s_andn2_saveexec_b64 s[4:5], s[2:3]
	s_cbranch_execz .LBB1679_85
; %bb.82:
	v_add_u32_e32 v3, s37, v11
	v_add_u32_e32 v5, s39, v11
	v_mul_lo_u32 v3, v3, s36
	v_mul_lo_u32 v5, v5, s38
	s_mov_b64 s[8:9], 0
	v_sub_u32_e32 v3, v3, v5
	v_cmp_lt_u32_e32 vcc, s40, v3
	v_cmp_ge_u32_e64 s[2:3], s40, v3
	s_and_saveexec_b64 s[10:11], s[2:3]
	s_cbranch_execz .LBB1679_84
; %bb.83:
	v_add_u32_e32 v3, s42, v11
	v_add_u32_e32 v5, s58, v11
	v_mul_lo_u32 v3, v3, s41
	v_mul_lo_u32 v5, v5, s43
	v_sub_u32_e32 v3, v3, v5
	v_cmp_lt_u32_e64 s[2:3], s59, v3
	s_and_b64 s[8:9], s[2:3], exec
.LBB1679_84:
	s_or_b64 exec, exec, s[10:11]
	s_movk_i32 s2, 0xff
	v_lshlrev_b16_e32 v7, 8, v7
	v_and_b32_sdwa v8, v2, s2 dst_sel:DWORD dst_unused:UNUSED_PAD src0_sel:WORD_1 src1_sel:DWORD
	v_or_b32_sdwa v7, v8, v7 dst_sel:WORD_1 dst_unused:UNUSED_PAD src0_sel:DWORD src1_sel:DWORD
	v_mov_b32_e32 v8, 8
	v_cndmask_b32_e64 v3, 0, 1, vcc
	v_lshrrev_b32_sdwa v2, v8, v2 dst_sel:BYTE_1 dst_unused:UNUSED_PAD src0_sel:DWORD src1_sel:DWORD
	v_cndmask_b32_e64 v5, 0, 1, s[8:9]
	v_or_b32_e32 v2, v3, v2
	v_or_b32_sdwa v3, v2, v7 dst_sel:DWORD dst_unused:UNUSED_PAD src0_sel:WORD_0 src1_sel:DWORD
	v_lshlrev_b16_e32 v2, 8, v5
	v_or_b32_sdwa v2, v4, v2 dst_sel:DWORD dst_unused:UNUSED_PAD src0_sel:BYTE_0 src1_sel:DWORD
	v_lshlrev_b16_e32 v5, 8, v6
	v_and_b32_sdwa v4, v4, s2 dst_sel:DWORD dst_unused:UNUSED_PAD src0_sel:WORD_1 src1_sel:DWORD
	v_or_b32_sdwa v4, v4, v5 dst_sel:WORD_1 dst_unused:UNUSED_PAD src0_sel:DWORD src1_sel:DWORD
	v_or_b32_sdwa v5, v2, v4 dst_sel:DWORD dst_unused:UNUSED_PAD src0_sel:WORD_0 src1_sel:DWORD
.LBB1679_85:
	s_or_b64 exec, exec, s[4:5]
	v_add_u32_e32 v2, 9, v30
	v_cmp_le_u32_e32 vcc, s18, v2
	v_lshrrev_b32_e32 v6, 24, v5
	v_lshrrev_b32_e32 v7, 24, v3
                                        ; implicit-def: $vgpr2
                                        ; implicit-def: $vgpr4
	s_and_saveexec_b64 s[2:3], vcc
	s_xor_b64 s[2:3], exec, s[2:3]
	s_cbranch_execz .LBB1679_87
; %bb.86:
	s_mov_b32 s4, 0x40c0100
	v_perm_b32 v2, v6, v5, s4
	v_mov_b32_e32 v4, 8
	s_movk_i32 s4, 0xff
	v_lshrrev_b32_sdwa v5, v4, v2 dst_sel:BYTE_1 dst_unused:UNUSED_PAD src0_sel:DWORD src1_sel:DWORD
	v_lshlrev_b16_e32 v4, 8, v7
	v_and_b32_sdwa v6, v3, s4 dst_sel:DWORD dst_unused:UNUSED_PAD src0_sel:WORD_1 src1_sel:DWORD
	v_or_b32_e32 v4, v6, v4
	s_mov_b32 s4, 0x5040c00
	v_perm_b32 v4, v4, v3, s4
	s_mov_b32 s4, 0x3060504
	v_or_b32_sdwa v3, v2, v5 dst_sel:DWORD dst_unused:UNUSED_PAD src0_sel:BYTE_0 src1_sel:DWORD
	v_perm_b32 v1, v1, v1, s4
	v_and_b32_e32 v3, 0xffff, v3
	s_mov_b32 s4, 0xff000000
	v_and_or_b32 v2, v2, s4, v3
                                        ; implicit-def: $vgpr3
                                        ; implicit-def: $vgpr7
                                        ; implicit-def: $vgpr5
                                        ; implicit-def: $vgpr6
.LBB1679_87:
	s_andn2_saveexec_b64 s[4:5], s[2:3]
	s_cbranch_execz .LBB1679_91
; %bb.88:
	v_add_u32_e32 v2, s37, v12
	v_add_u32_e32 v4, s39, v12
	v_mul_lo_u32 v2, v2, s36
	v_mul_lo_u32 v4, v4, s38
	s_mov_b64 s[8:9], 0
	v_sub_u32_e32 v2, v2, v4
	v_cmp_lt_u32_e32 vcc, s40, v2
	v_cmp_ge_u32_e64 s[2:3], s40, v2
	s_and_saveexec_b64 s[10:11], s[2:3]
	s_cbranch_execz .LBB1679_90
; %bb.89:
	v_add_u32_e32 v2, s42, v12
	v_add_u32_e32 v4, s58, v12
	v_mul_lo_u32 v2, v2, s41
	v_mul_lo_u32 v4, v4, s43
	v_sub_u32_e32 v2, v2, v4
	v_cmp_lt_u32_e64 s[2:3], s59, v2
	s_and_b64 s[8:9], s[2:3], exec
.LBB1679_90:
	s_or_b64 exec, exec, s[10:11]
	v_cndmask_b32_e64 v2, 0, 1, vcc
	v_lshlrev_b16_e32 v2, 8, v2
	s_movk_i32 s2, 0xff
	v_or_b32_sdwa v2, v3, v2 dst_sel:DWORD dst_unused:UNUSED_PAD src0_sel:BYTE_0 src1_sel:DWORD
	v_lshlrev_b16_e32 v4, 8, v7
	v_and_b32_sdwa v3, v3, s2 dst_sel:DWORD dst_unused:UNUSED_PAD src0_sel:WORD_1 src1_sel:DWORD
	v_or_b32_sdwa v3, v3, v4 dst_sel:WORD_1 dst_unused:UNUSED_PAD src0_sel:DWORD src1_sel:DWORD
	v_or_b32_sdwa v4, v2, v3 dst_sel:DWORD dst_unused:UNUSED_PAD src0_sel:WORD_0 src1_sel:DWORD
	v_mov_b32_e32 v2, 8
	v_cndmask_b32_e64 v8, 0, 1, s[8:9]
	v_lshrrev_b32_sdwa v2, v2, v5 dst_sel:BYTE_1 dst_unused:UNUSED_PAD src0_sel:DWORD src1_sel:DWORD
	v_lshlrev_b16_e32 v3, 8, v6
	v_or_b32_sdwa v2, v5, v2 dst_sel:DWORD dst_unused:UNUSED_PAD src0_sel:BYTE_0 src1_sel:DWORD
	v_or_b32_sdwa v3, v8, v3 dst_sel:WORD_1 dst_unused:UNUSED_PAD src0_sel:DWORD src1_sel:DWORD
	v_or_b32_sdwa v2, v2, v3 dst_sel:DWORD dst_unused:UNUSED_PAD src0_sel:WORD_0 src1_sel:DWORD
.LBB1679_91:
	s_or_b64 exec, exec, s[4:5]
	v_add_u32_e32 v3, 10, v30
	v_cmp_le_u32_e32 vcc, s18, v3
	v_lshrrev_b32_e32 v5, 24, v4
                                        ; implicit-def: $vgpr34
                                        ; implicit-def: $vgpr3
	s_and_saveexec_b64 s[2:3], vcc
	s_xor_b64 s[2:3], exec, s[2:3]
	s_cbranch_execz .LBB1679_93
; %bb.92:
	s_mov_b32 s4, 0x40c0100
	v_perm_b32 v3, v5, v4, s4
	v_mov_b32_e32 v4, 8
	v_lshrrev_b32_sdwa v4, v4, v3 dst_sel:BYTE_1 dst_unused:UNUSED_PAD src0_sel:DWORD src1_sel:DWORD
	v_or_b32_sdwa v4, v3, v4 dst_sel:DWORD dst_unused:UNUSED_PAD src0_sel:BYTE_0 src1_sel:DWORD
	v_and_b32_e32 v4, 0xffff, v4
	s_mov_b32 s4, 0xff000000
	v_and_or_b32 v3, v3, s4, v4
	s_mov_b32 s4, 0x3060504
	v_and_b32_e32 v6, 0xff0000, v2
	v_perm_b32 v1, v1, v1, s4
	s_mov_b32 s4, 0x3020504
	v_perm_b32 v34, v2, v6, s4
                                        ; implicit-def: $vgpr4
                                        ; implicit-def: $vgpr5
                                        ; implicit-def: $vgpr2
.LBB1679_93:
	s_andn2_saveexec_b64 s[4:5], s[2:3]
	s_cbranch_execz .LBB1679_97
; %bb.94:
	v_add_u32_e32 v3, s37, v9
	v_add_u32_e32 v6, s39, v9
	v_mul_lo_u32 v3, v3, s36
	v_mul_lo_u32 v6, v6, s38
	s_mov_b64 s[8:9], 0
	v_sub_u32_e32 v3, v3, v6
	v_cmp_lt_u32_e32 vcc, s40, v3
	v_cmp_ge_u32_e64 s[2:3], s40, v3
	s_and_saveexec_b64 s[10:11], s[2:3]
	s_cbranch_execz .LBB1679_96
; %bb.95:
	v_add_u32_e32 v3, s42, v9
	v_add_u32_e32 v6, s58, v9
	v_mul_lo_u32 v3, v3, s41
	v_mul_lo_u32 v6, v6, s43
	v_sub_u32_e32 v3, v3, v6
	v_cmp_lt_u32_e64 s[2:3], s59, v3
	s_and_b64 s[8:9], s[2:3], exec
.LBB1679_96:
	s_or_b64 exec, exec, s[10:11]
	v_mov_b32_e32 v7, 8
	v_cndmask_b32_e64 v3, 0, 1, vcc
	v_lshrrev_b32_sdwa v8, v7, v4 dst_sel:BYTE_1 dst_unused:UNUSED_PAD src0_sel:DWORD src1_sel:DWORD
	v_lshlrev_b16_e32 v5, 8, v5
	v_or_b32_sdwa v4, v4, v8 dst_sel:DWORD dst_unused:UNUSED_PAD src0_sel:BYTE_0 src1_sel:DWORD
	v_or_b32_sdwa v3, v3, v5 dst_sel:WORD_1 dst_unused:UNUSED_PAD src0_sel:DWORD src1_sel:DWORD
	v_cndmask_b32_e64 v6, 0, 1, s[8:9]
	s_movk_i32 s2, 0xff
	v_or_b32_sdwa v3, v4, v3 dst_sel:DWORD dst_unused:UNUSED_PAD src0_sel:WORD_0 src1_sel:DWORD
	v_lshrrev_b32_sdwa v4, v7, v2 dst_sel:BYTE_1 dst_unused:UNUSED_PAD src0_sel:DWORD src1_sel:DWORD
	v_or_b32_sdwa v4, v2, v4 dst_sel:DWORD dst_unused:UNUSED_PAD src0_sel:BYTE_0 src1_sel:DWORD
	v_lshlrev_b16_e32 v5, 8, v6
	v_and_b32_sdwa v2, v2, s2 dst_sel:DWORD dst_unused:UNUSED_PAD src0_sel:WORD_1 src1_sel:DWORD
	v_or_b32_sdwa v2, v2, v5 dst_sel:WORD_1 dst_unused:UNUSED_PAD src0_sel:DWORD src1_sel:DWORD
	v_or_b32_sdwa v34, v4, v2 dst_sel:DWORD dst_unused:UNUSED_PAD src0_sel:WORD_0 src1_sel:DWORD
.LBB1679_97:
	s_or_b64 exec, exec, s[4:5]
	v_add_u32_e32 v2, 11, v30
	v_mov_b32_e32 v35, 0
	v_cmp_le_u32_e32 vcc, s18, v2
                                        ; implicit-def: $vgpr36
	s_and_saveexec_b64 s[2:3], vcc
	s_xor_b64 s[2:3], exec, s[2:3]
; %bb.98:
	v_and_b32_e32 v2, 0xff0000, v3
	s_mov_b32 s4, 0x3020504
	v_perm_b32 v36, v3, v2, s4
	s_mov_b32 s4, 0x3060504
	v_perm_b32 v1, v1, v1, s4
                                        ; implicit-def: $vgpr3
; %bb.99:
	s_andn2_saveexec_b64 s[4:5], s[2:3]
	s_cbranch_execz .LBB1679_103
; %bb.100:
	v_add_u32_e32 v2, s37, v10
	v_add_u32_e32 v4, s39, v10
	v_mul_lo_u32 v2, v2, s36
	v_mul_lo_u32 v4, v4, s38
	s_mov_b64 s[8:9], 0
	v_sub_u32_e32 v2, v2, v4
	v_cmp_lt_u32_e32 vcc, s40, v2
	v_cmp_ge_u32_e64 s[2:3], s40, v2
	s_and_saveexec_b64 s[10:11], s[2:3]
	s_cbranch_execz .LBB1679_102
; %bb.101:
	v_add_u32_e32 v2, s42, v10
	v_add_u32_e32 v4, s58, v10
	v_mul_lo_u32 v2, v2, s41
	v_mul_lo_u32 v4, v4, s43
	v_sub_u32_e32 v2, v2, v4
	v_cmp_lt_u32_e64 s[2:3], s59, v2
	s_and_b64 s[8:9], s[2:3], exec
.LBB1679_102:
	s_or_b64 exec, exec, s[10:11]
	v_mov_b32_e32 v4, 8
	v_cndmask_b32_e64 v2, 0, 1, vcc
	s_movk_i32 s2, 0xff
	v_lshrrev_b32_sdwa v4, v4, v3 dst_sel:BYTE_1 dst_unused:UNUSED_PAD src0_sel:DWORD src1_sel:DWORD
	v_or_b32_sdwa v4, v3, v4 dst_sel:DWORD dst_unused:UNUSED_PAD src0_sel:BYTE_0 src1_sel:DWORD
	v_lshlrev_b16_e32 v2, 8, v2
	v_and_b32_sdwa v3, v3, s2 dst_sel:DWORD dst_unused:UNUSED_PAD src0_sel:WORD_1 src1_sel:DWORD
	v_or_b32_sdwa v2, v3, v2 dst_sel:WORD_1 dst_unused:UNUSED_PAD src0_sel:DWORD src1_sel:DWORD
	v_cndmask_b32_e64 v35, 0, 1, s[8:9]
	v_or_b32_sdwa v36, v4, v2 dst_sel:DWORD dst_unused:UNUSED_PAD src0_sel:WORD_0 src1_sel:DWORD
.LBB1679_103:
	s_or_b64 exec, exec, s[4:5]
	v_add_u32_e32 v2, 12, v30
	v_cmp_le_u32_e32 vcc, s18, v2
	v_lshrrev_b32_e32 v2, 24, v1
                                        ; implicit-def: $vgpr37
	s_and_saveexec_b64 s[2:3], vcc
	s_xor_b64 s[2:3], exec, s[2:3]
; %bb.104:
	s_movk_i32 s4, 0xff
	v_lshlrev_b16_e32 v2, 8, v2
	v_and_b32_sdwa v4, v1, s4 dst_sel:DWORD dst_unused:UNUSED_PAD src0_sel:WORD_1 src1_sel:DWORD
	v_mov_b32_e32 v3, 8
	v_or_b32_sdwa v37, v4, v2 dst_sel:WORD_1 dst_unused:UNUSED_PAD src0_sel:DWORD src1_sel:DWORD
	v_lshrrev_b32_sdwa v37, v3, v1 dst_sel:BYTE_1 dst_unused:UNUSED_PRESERVE src0_sel:DWORD src1_sel:DWORD
                                        ; implicit-def: $vgpr2
                                        ; implicit-def: $vgpr1
; %bb.105:
	s_or_saveexec_b64 s[4:5], s[2:3]
	v_mov_b32_e32 v38, 0
	s_xor_b64 exec, exec, s[4:5]
	s_cbranch_execz .LBB1679_109
; %bb.106:
	v_add_u32_e32 v3, s37, v29
	v_add_u32_e32 v4, s39, v29
	v_mul_lo_u32 v3, v3, s36
	v_mul_lo_u32 v4, v4, s38
	s_mov_b64 s[8:9], 0
	v_sub_u32_e32 v3, v3, v4
	v_cmp_lt_u32_e32 vcc, s40, v3
	v_cmp_ge_u32_e64 s[2:3], s40, v3
	s_and_saveexec_b64 s[10:11], s[2:3]
	s_cbranch_execz .LBB1679_108
; %bb.107:
	v_add_u32_e32 v3, s42, v29
	v_add_u32_e32 v4, s58, v29
	v_mul_lo_u32 v3, v3, s41
	v_mul_lo_u32 v4, v4, s43
	v_sub_u32_e32 v3, v3, v4
	v_cmp_lt_u32_e64 s[2:3], s59, v3
	s_and_b64 s[8:9], s[2:3], exec
.LBB1679_108:
	s_or_b64 exec, exec, s[10:11]
	s_movk_i32 s2, 0xff
	v_lshlrev_b16_e32 v2, 8, v2
	v_and_b32_sdwa v4, v1, s2 dst_sel:DWORD dst_unused:UNUSED_PAD src0_sel:WORD_1 src1_sel:DWORD
	v_or_b32_sdwa v2, v4, v2 dst_sel:WORD_1 dst_unused:UNUSED_PAD src0_sel:DWORD src1_sel:DWORD
	v_mov_b32_e32 v4, 8
	v_cndmask_b32_e64 v3, 0, 1, vcc
	v_lshrrev_b32_sdwa v1, v4, v1 dst_sel:BYTE_1 dst_unused:UNUSED_PAD src0_sel:DWORD src1_sel:DWORD
	v_or_b32_e32 v1, v3, v1
	v_cndmask_b32_e64 v38, 0, 1, s[8:9]
	v_or_b32_sdwa v37, v1, v2 dst_sel:DWORD dst_unused:UNUSED_PAD src0_sel:WORD_0 src1_sel:DWORD
.LBB1679_109:
	s_or_b64 exec, exec, s[4:5]
.LBB1679_110:
	v_and_b32_e32 v48, 0xff, v31
	v_bfe_u32 v45, v31, 8, 8
	v_bfe_u32 v50, v31, 16, 8
	v_lshrrev_b32_e32 v43, 24, v31
	v_and_b32_e32 v51, 0xff, v33
	v_add3_u32 v4, v45, v48, v50
	v_bfe_u32 v46, v33, 8, 8
	v_bfe_u32 v53, v33, 16, 8
	v_add3_u32 v4, v4, v43, v51
	v_bfe_u32 v49, v37, 8, 8
	v_bfe_u32 v57, v37, 16, 8
	v_lshrrev_b32_e32 v44, 24, v37
	v_lshrrev_b32_e32 v41, 24, v33
	v_and_b32_e32 v54, 0xff, v36
	v_add3_u32 v4, v4, v46, v53
	v_and_b32_e32 v58, 0xff, v32
	v_bfe_u32 v52, v32, 8, 8
	v_bfe_u32 v47, v36, 8, 8
	;; [unrolled: 1-line block ×3, first 2 shown]
	v_add3_u32 v3, v57, v49, v44
	v_add3_u32 v4, v4, v41, v54
	v_bfe_u32 v59, v32, 16, 8
	v_lshrrev_b32_e32 v42, 24, v32
	v_lshrrev_b32_e32 v39, 24, v36
	v_and_b32_e32 v1, 0xff, v37
	v_add3_u32 v3, v3, v58, v52
	v_add3_u32 v4, v4, v47, v56
	v_and_b32_e32 v60, 0xff, v34
	v_bfe_u32 v55, v34, 8, 8
	v_add3_u32 v3, v3, v59, v42
	v_add3_u32 v68, v4, v39, v1
	v_mbcnt_lo_u32_b32 v1, -1, 0
	v_bfe_u32 v61, v34, 16, 8
	v_lshrrev_b32_e32 v40, 24, v34
	v_add3_u32 v3, v3, v60, v55
	v_mbcnt_hi_u32_b32 v63, -1, v1
	v_and_b32_e32 v62, 0xff, v35
	v_and_b32_e32 v2, 0xff, v38
	v_add3_u32 v3, v3, v61, v40
	v_and_b32_e32 v67, 15, v63
	s_cmp_lg_u32 s6, 0
	v_add3_u32 v69, v3, v62, v2
	v_cmp_eq_u32_e64 s[4:5], 0, v67
	v_cmp_lt_u32_e64 s[2:3], 1, v67
	v_cmp_lt_u32_e64 s[8:9], 3, v67
	v_cmp_lt_u32_e64 s[10:11], 7, v67
	v_and_b32_e32 v66, 16, v63
	v_cmp_lt_u32_e32 vcc, 31, v63
	v_lshrrev_b32_e32 v64, 6, v0
	v_or_b32_e32 v65, 63, v0
	s_cbranch_scc0 .LBB1679_132
; %bb.111:
	v_mov_b32_dpp v1, v68 row_shr:1 row_mask:0xf bank_mask:0xf
	v_mov_b32_dpp v2, v69 row_shr:1 row_mask:0xf bank_mask:0xf
	v_add_u32_e32 v1, v1, v68
	v_add_u32_e32 v2, v2, v69
	v_cndmask_b32_e64 v2, v2, v69, s[4:5]
	v_cndmask_b32_e64 v1, v1, v68, s[4:5]
	s_nop 0
	v_mov_b32_dpp v4, v2 row_shr:2 row_mask:0xf bank_mask:0xf
	v_mov_b32_dpp v3, v1 row_shr:2 row_mask:0xf bank_mask:0xf
	v_add_u32_e32 v3, v1, v3
	v_add_u32_e32 v4, v2, v4
	v_cndmask_b32_e64 v2, v2, v4, s[2:3]
	v_cndmask_b32_e64 v1, v1, v3, s[2:3]
	s_nop 0
	v_mov_b32_dpp v4, v2 row_shr:4 row_mask:0xf bank_mask:0xf
	v_mov_b32_dpp v3, v1 row_shr:4 row_mask:0xf bank_mask:0xf
	v_add_u32_e32 v3, v1, v3
	v_add_u32_e32 v4, v2, v4
	v_cndmask_b32_e64 v2, v2, v4, s[8:9]
	v_cndmask_b32_e64 v1, v1, v3, s[8:9]
	v_cmp_eq_u32_e64 s[8:9], 0, v66
	v_mov_b32_dpp v4, v2 row_shr:8 row_mask:0xf bank_mask:0xf
	v_mov_b32_dpp v3, v1 row_shr:8 row_mask:0xf bank_mask:0xf
	v_add_u32_e32 v3, v1, v3
	v_add_u32_e32 v4, v2, v4
	v_cndmask_b32_e64 v2, v2, v4, s[10:11]
	v_cndmask_b32_e64 v3, v1, v3, s[10:11]
	s_nop 0
	v_mov_b32_dpp v4, v2 row_bcast:15 row_mask:0xf bank_mask:0xf
	v_mov_b32_dpp v1, v3 row_bcast:15 row_mask:0xf bank_mask:0xf
	v_add_u32_e32 v5, v3, v1
	v_add_u32_e32 v1, v2, v4
	v_cndmask_b32_e64 v1, v1, v2, s[8:9]
	v_cndmask_b32_e64 v2, v5, v3, s[8:9]
	v_cmp_eq_u32_e64 s[8:9], v0, v65
	v_mov_b32_dpp v3, v1 row_bcast:31 row_mask:0xf bank_mask:0xf
	v_mov_b32_dpp v4, v2 row_bcast:31 row_mask:0xf bank_mask:0xf
	v_add_u32_e32 v3, v1, v3
	v_add_u32_e32 v4, v2, v4
	s_and_saveexec_b64 s[10:11], s[8:9]
; %bb.112:
	v_lshlrev_b32_e32 v7, 3, v64
	v_cndmask_b32_e32 v6, v1, v3, vcc
	v_cndmask_b32_e32 v5, v2, v4, vcc
	ds_write_b64 v7, v[5:6]
; %bb.113:
	s_or_b64 exec, exec, s[10:11]
	v_cmp_gt_u32_e64 s[8:9], 4, v0
	s_waitcnt lgkmcnt(0)
	s_barrier
	s_and_saveexec_b64 s[10:11], s[8:9]
	s_cbranch_execz .LBB1679_115
; %bb.114:
	v_lshlrev_b32_e32 v7, 3, v0
	ds_read_b64 v[5:6], v7
	v_and_b32_e32 v8, 3, v63
	v_cmp_eq_u32_e64 s[8:9], 0, v8
	s_waitcnt lgkmcnt(0)
	v_mov_b32_dpp v21, v5 row_shr:1 row_mask:0xf bank_mask:0xf
	v_mov_b32_dpp v22, v6 row_shr:1 row_mask:0xf bank_mask:0xf
	v_add_u32_e32 v21, v21, v5
	v_add_u32_e32 v22, v22, v6
	v_cndmask_b32_e64 v6, v22, v6, s[8:9]
	v_cndmask_b32_e64 v5, v21, v5, s[8:9]
	v_cmp_lt_u32_e64 s[8:9], 1, v8
	v_mov_b32_dpp v22, v6 row_shr:2 row_mask:0xf bank_mask:0xf
	v_mov_b32_dpp v21, v5 row_shr:2 row_mask:0xf bank_mask:0xf
	v_cndmask_b32_e64 v8, 0, v21, s[8:9]
	v_cndmask_b32_e64 v21, 0, v22, s[8:9]
	v_add_u32_e32 v6, v21, v6
	v_add_u32_e32 v5, v8, v5
	ds_write_b64 v7, v[5:6]
.LBB1679_115:
	s_or_b64 exec, exec, s[10:11]
	v_cndmask_b32_e32 v1, v1, v3, vcc
	v_cndmask_b32_e32 v2, v2, v4, vcc
	v_cmp_gt_u32_e32 vcc, 64, v0
	v_cmp_lt_u32_e64 s[8:9], 63, v0
	s_waitcnt lgkmcnt(0)
	s_barrier
                                        ; implicit-def: $vgpr21
	s_and_saveexec_b64 s[10:11], s[8:9]
	s_cbranch_execz .LBB1679_117
; %bb.116:
	v_lshl_add_u32 v3, v64, 3, -8
	ds_read_b64 v[21:22], v3
	s_waitcnt lgkmcnt(0)
	v_add_u32_e32 v1, v22, v1
	v_add_u32_e32 v2, v21, v2
.LBB1679_117:
	s_or_b64 exec, exec, s[10:11]
	v_subrev_co_u32_e64 v3, s[8:9], 1, v63
	v_and_b32_e32 v4, 64, v63
	v_cmp_lt_i32_e64 s[10:11], v3, v4
	v_cndmask_b32_e64 v3, v3, v63, s[10:11]
	v_lshlrev_b32_e32 v3, 2, v3
	ds_bpermute_b32 v70, v3, v2
	ds_bpermute_b32 v71, v3, v1
	s_and_saveexec_b64 s[10:11], vcc
	s_cbranch_execz .LBB1679_137
; %bb.118:
	v_mov_b32_e32 v4, 0
	ds_read_b64 v[1:2], v4 offset:24
	s_and_saveexec_b64 s[14:15], s[8:9]
	s_cbranch_execz .LBB1679_120
; %bb.119:
	s_add_i32 s16, s6, 64
	s_mov_b32 s17, 0
	s_lshl_b64 s[16:17], s[16:17], 4
	s_add_u32 s16, s12, s16
	s_addc_u32 s17, s13, s17
	v_mov_b32_e32 v5, s16
	v_mov_b32_e32 v3, 1
	;; [unrolled: 1-line block ×3, first 2 shown]
	s_waitcnt lgkmcnt(0)
	;;#ASMSTART
	global_store_dwordx4 v[5:6], v[1:4] off	
s_waitcnt vmcnt(0)
	;;#ASMEND
.LBB1679_120:
	s_or_b64 exec, exec, s[14:15]
	v_xad_u32 v23, v63, -1, s6
	v_add_u32_e32 v3, 64, v23
	v_lshlrev_b64 v[5:6], 4, v[3:4]
	v_mov_b32_e32 v3, s13
	v_add_co_u32_e32 v24, vcc, s12, v5
	v_addc_co_u32_e32 v25, vcc, v3, v6, vcc
	;;#ASMSTART
	global_load_dwordx4 v[5:8], v[24:25] off glc	
s_waitcnt vmcnt(0)
	;;#ASMEND
	v_cmp_eq_u16_sdwa s[16:17], v7, v4 src0_sel:BYTE_0 src1_sel:DWORD
	s_and_saveexec_b64 s[14:15], s[16:17]
	s_cbranch_execz .LBB1679_124
; %bb.121:
	s_mov_b64 s[16:17], 0
	v_mov_b32_e32 v3, 0
.LBB1679_122:                           ; =>This Inner Loop Header: Depth=1
	;;#ASMSTART
	global_load_dwordx4 v[5:8], v[24:25] off glc	
s_waitcnt vmcnt(0)
	;;#ASMEND
	v_cmp_ne_u16_sdwa s[20:21], v7, v3 src0_sel:BYTE_0 src1_sel:DWORD
	s_or_b64 s[16:17], s[20:21], s[16:17]
	s_andn2_b64 exec, exec, s[16:17]
	s_cbranch_execnz .LBB1679_122
; %bb.123:
	s_or_b64 exec, exec, s[16:17]
.LBB1679_124:
	s_or_b64 exec, exec, s[14:15]
	v_and_b32_e32 v73, 63, v63
	v_cmp_ne_u32_e32 vcc, 63, v73
	v_mov_b32_e32 v72, 2
	v_lshlrev_b64 v[25:26], v63, -1
	v_addc_co_u32_e32 v8, vcc, 0, v63, vcc
	v_cmp_eq_u16_sdwa s[14:15], v7, v72 src0_sel:BYTE_0 src1_sel:DWORD
	v_lshlrev_b32_e32 v74, 2, v8
	v_and_b32_e32 v3, s15, v26
	ds_bpermute_b32 v8, v74, v5
	ds_bpermute_b32 v24, v74, v6
	v_or_b32_e32 v3, 0x80000000, v3
	v_and_b32_e32 v4, s14, v25
	v_ffbl_b32_e32 v3, v3
	v_add_u32_e32 v3, 32, v3
	v_ffbl_b32_e32 v4, v4
	v_min_u32_e32 v3, v4, v3
	s_waitcnt lgkmcnt(1)
	v_add_u32_e32 v4, v8, v5
	s_waitcnt lgkmcnt(0)
	v_add_u32_e32 v8, v24, v6
	v_cmp_lt_u32_e32 vcc, v73, v3
	v_cndmask_b32_e32 v6, v6, v8, vcc
	v_cndmask_b32_e32 v4, v5, v4, vcc
	v_cmp_gt_u32_e32 vcc, 62, v73
	v_cndmask_b32_e64 v5, 0, 2, vcc
	v_add_lshl_u32 v75, v5, v63, 2
	ds_bpermute_b32 v5, v75, v4
	ds_bpermute_b32 v8, v75, v6
	v_add_u32_e32 v76, 2, v73
	v_cmp_gt_u32_e32 vcc, v76, v3
	v_add_u32_e32 v78, 4, v73
	s_waitcnt lgkmcnt(1)
	v_add_u32_e32 v5, v4, v5
	s_waitcnt lgkmcnt(0)
	v_add_u32_e32 v8, v6, v8
	v_cndmask_b32_e32 v6, v8, v6, vcc
	v_cndmask_b32_e32 v4, v5, v4, vcc
	v_cmp_gt_u32_e32 vcc, 60, v73
	v_cndmask_b32_e64 v5, 0, 4, vcc
	v_add_lshl_u32 v77, v5, v63, 2
	ds_bpermute_b32 v5, v77, v4
	ds_bpermute_b32 v8, v77, v6
	v_cmp_gt_u32_e32 vcc, v78, v3
	v_add_u32_e32 v80, 8, v73
	v_add_u32_e32 v82, 16, v73
	s_waitcnt lgkmcnt(1)
	v_add_u32_e32 v5, v4, v5
	s_waitcnt lgkmcnt(0)
	v_add_u32_e32 v8, v6, v8
	v_cndmask_b32_e32 v6, v8, v6, vcc
	v_cndmask_b32_e32 v4, v5, v4, vcc
	v_cmp_gt_u32_e32 vcc, 56, v73
	v_cndmask_b32_e64 v5, 0, 8, vcc
	v_add_lshl_u32 v79, v5, v63, 2
	ds_bpermute_b32 v5, v79, v4
	ds_bpermute_b32 v8, v79, v6
	v_cmp_gt_u32_e32 vcc, v80, v3
	v_add_u32_e32 v84, 32, v73
	v_mov_b32_e32 v24, 0
	s_waitcnt lgkmcnt(1)
	v_add_u32_e32 v5, v4, v5
	s_waitcnt lgkmcnt(0)
	v_add_u32_e32 v8, v6, v8
	v_cndmask_b32_e32 v6, v8, v6, vcc
	v_cndmask_b32_e32 v4, v5, v4, vcc
	v_cmp_gt_u32_e32 vcc, 48, v73
	v_cndmask_b32_e64 v5, 0, 16, vcc
	v_add_lshl_u32 v81, v5, v63, 2
	ds_bpermute_b32 v5, v81, v4
	ds_bpermute_b32 v8, v81, v6
	v_cmp_gt_u32_e32 vcc, v82, v3
	s_waitcnt lgkmcnt(1)
	v_add_u32_e32 v5, v4, v5
	s_waitcnt lgkmcnt(0)
	v_add_u32_e32 v8, v6, v8
	v_cndmask_b32_e32 v4, v5, v4, vcc
	v_mov_b32_e32 v5, 0x80
	v_cndmask_b32_e32 v6, v8, v6, vcc
	v_lshl_or_b32 v83, v63, 2, v5
	ds_bpermute_b32 v5, v83, v4
	ds_bpermute_b32 v8, v83, v6
	v_cmp_le_u32_e32 vcc, v84, v3
	s_waitcnt lgkmcnt(1)
	v_cndmask_b32_e32 v3, 0, v5, vcc
	s_waitcnt lgkmcnt(0)
	v_cndmask_b32_e32 v5, 0, v8, vcc
	v_add_u32_e32 v6, v6, v5
	v_add_u32_e32 v5, v4, v3
	s_branch .LBB1679_128
.LBB1679_125:                           ;   in Loop: Header=BB1679_128 Depth=1
	s_or_b64 exec, exec, s[16:17]
.LBB1679_126:                           ;   in Loop: Header=BB1679_128 Depth=1
	s_or_b64 exec, exec, s[14:15]
	v_cmp_eq_u16_sdwa s[14:15], v7, v72 src0_sel:BYTE_0 src1_sel:DWORD
	v_and_b32_e32 v8, s15, v26
	ds_bpermute_b32 v28, v74, v5
	ds_bpermute_b32 v85, v74, v6
	v_or_b32_e32 v8, 0x80000000, v8
	v_and_b32_e32 v27, s14, v25
	v_ffbl_b32_e32 v8, v8
	v_add_u32_e32 v8, 32, v8
	v_ffbl_b32_e32 v27, v27
	v_min_u32_e32 v8, v27, v8
	s_waitcnt lgkmcnt(1)
	v_add_u32_e32 v27, v28, v5
	s_waitcnt lgkmcnt(0)
	v_add_u32_e32 v28, v85, v6
	v_cmp_lt_u32_e32 vcc, v73, v8
	v_cndmask_b32_e32 v6, v6, v28, vcc
	v_cndmask_b32_e32 v5, v5, v27, vcc
	ds_bpermute_b32 v27, v75, v5
	ds_bpermute_b32 v28, v75, v6
	v_cmp_gt_u32_e32 vcc, v76, v8
	v_subrev_u32_e32 v23, 64, v23
	s_mov_b64 s[14:15], 0
	s_waitcnt lgkmcnt(1)
	v_add_u32_e32 v27, v5, v27
	s_waitcnt lgkmcnt(0)
	v_add_u32_e32 v28, v6, v28
	v_cndmask_b32_e32 v6, v28, v6, vcc
	v_cndmask_b32_e32 v5, v27, v5, vcc
	ds_bpermute_b32 v27, v77, v5
	ds_bpermute_b32 v28, v77, v6
	v_cmp_gt_u32_e32 vcc, v78, v8
	s_waitcnt lgkmcnt(1)
	v_add_u32_e32 v27, v5, v27
	s_waitcnt lgkmcnt(0)
	v_add_u32_e32 v28, v6, v28
	v_cndmask_b32_e32 v6, v28, v6, vcc
	v_cndmask_b32_e32 v5, v27, v5, vcc
	ds_bpermute_b32 v27, v79, v5
	ds_bpermute_b32 v28, v79, v6
	v_cmp_gt_u32_e32 vcc, v80, v8
	;; [unrolled: 9-line block ×3, first 2 shown]
	s_waitcnt lgkmcnt(1)
	v_add_u32_e32 v27, v5, v27
	s_waitcnt lgkmcnt(0)
	v_add_u32_e32 v28, v6, v28
	v_cndmask_b32_e32 v6, v28, v6, vcc
	v_cndmask_b32_e32 v5, v27, v5, vcc
	ds_bpermute_b32 v27, v83, v5
	ds_bpermute_b32 v28, v83, v6
	v_cmp_le_u32_e32 vcc, v84, v8
	s_waitcnt lgkmcnt(1)
	v_cndmask_b32_e32 v8, 0, v27, vcc
	s_waitcnt lgkmcnt(0)
	v_cndmask_b32_e32 v27, 0, v28, vcc
	v_add3_u32 v6, v27, v4, v6
	v_add3_u32 v5, v8, v3, v5
.LBB1679_127:                           ;   in Loop: Header=BB1679_128 Depth=1
	s_and_b64 vcc, exec, s[14:15]
	s_cbranch_vccnz .LBB1679_133
.LBB1679_128:                           ; =>This Loop Header: Depth=1
                                        ;     Child Loop BB1679_131 Depth 2
	v_mov_b32_e32 v3, v5
	v_cmp_ne_u16_sdwa s[14:15], v7, v72 src0_sel:BYTE_0 src1_sel:DWORD
	v_mov_b32_e32 v4, v6
	s_cmp_lg_u64 s[14:15], exec
	s_mov_b64 s[14:15], -1
                                        ; implicit-def: $vgpr7
                                        ; implicit-def: $vgpr5_vgpr6
	s_cbranch_scc1 .LBB1679_127
; %bb.129:                              ;   in Loop: Header=BB1679_128 Depth=1
	v_lshlrev_b64 v[5:6], 4, v[23:24]
	v_mov_b32_e32 v7, s13
	v_add_co_u32_e32 v27, vcc, s12, v5
	v_addc_co_u32_e32 v28, vcc, v7, v6, vcc
	;;#ASMSTART
	global_load_dwordx4 v[5:8], v[27:28] off glc	
s_waitcnt vmcnt(0)
	;;#ASMEND
	v_cmp_eq_u16_sdwa s[16:17], v7, v24 src0_sel:BYTE_0 src1_sel:DWORD
	s_and_saveexec_b64 s[14:15], s[16:17]
	s_cbranch_execz .LBB1679_126
; %bb.130:                              ;   in Loop: Header=BB1679_128 Depth=1
	s_mov_b64 s[16:17], 0
.LBB1679_131:                           ;   Parent Loop BB1679_128 Depth=1
                                        ; =>  This Inner Loop Header: Depth=2
	;;#ASMSTART
	global_load_dwordx4 v[5:8], v[27:28] off glc	
s_waitcnt vmcnt(0)
	;;#ASMEND
	v_cmp_ne_u16_sdwa s[20:21], v7, v24 src0_sel:BYTE_0 src1_sel:DWORD
	s_or_b64 s[16:17], s[20:21], s[16:17]
	s_andn2_b64 exec, exec, s[16:17]
	s_cbranch_execnz .LBB1679_131
	s_branch .LBB1679_125
.LBB1679_132:
                                        ; implicit-def: $vgpr22
                                        ; implicit-def: $vgpr3
                                        ; implicit-def: $vgpr23
	s_cbranch_execnz .LBB1679_138
	s_branch .LBB1679_147
.LBB1679_133:
	s_and_saveexec_b64 s[14:15], s[8:9]
	s_cbranch_execnz .LBB1679_375
; %bb.134:
	s_or_b64 exec, exec, s[14:15]
	s_and_saveexec_b64 s[6:7], s[8:9]
	s_cbranch_execnz .LBB1679_376
.LBB1679_135:
	s_or_b64 exec, exec, s[6:7]
	v_cmp_eq_u32_e32 vcc, 0, v0
	s_and_b64 exec, exec, vcc
.LBB1679_136:
	v_mov_b32_e32 v1, 0
	ds_write_b64 v1, v[3:4] offset:24
.LBB1679_137:
	s_or_b64 exec, exec, s[10:11]
	v_mov_b32_e32 v1, 0
	s_waitcnt lgkmcnt(0)
	s_barrier
	ds_read_b64 v[5:6], v1 offset:24
	v_cndmask_b32_e64 v2, v71, v22, s[8:9]
	v_cndmask_b32_e64 v3, v70, v21, s[8:9]
	s_waitcnt lgkmcnt(0)
	s_barrier
	v_add_u32_e32 v7, v5, v3
	v_add_u32_e32 v8, v6, v2
	ds_read_b128 v[1:4], v1 offset:13312
	v_cmp_eq_u32_e32 vcc, 0, v0
	v_cndmask_b32_e32 v22, v8, v6, vcc
	v_cndmask_b32_e32 v23, v7, v5, vcc
	s_branch .LBB1679_147
.LBB1679_138:
	s_waitcnt lgkmcnt(0)
	v_mov_b32_dpp v1, v68 row_shr:1 row_mask:0xf bank_mask:0xf
	v_mov_b32_dpp v2, v69 row_shr:1 row_mask:0xf bank_mask:0xf
	v_add_u32_e32 v1, v1, v68
	v_add_u32_e32 v2, v2, v69
	v_cndmask_b32_e64 v2, v2, v69, s[4:5]
	v_cndmask_b32_e64 v1, v1, v68, s[4:5]
	v_cmp_lt_u32_e32 vcc, 3, v67
	v_mov_b32_dpp v4, v2 row_shr:2 row_mask:0xf bank_mask:0xf
	v_mov_b32_dpp v3, v1 row_shr:2 row_mask:0xf bank_mask:0xf
	v_add_u32_e32 v3, v1, v3
	v_add_u32_e32 v4, v2, v4
	v_cndmask_b32_e64 v2, v2, v4, s[2:3]
	v_cndmask_b32_e64 v1, v1, v3, s[2:3]
	v_cmp_eq_u32_e64 s[2:3], v0, v65
	v_mov_b32_dpp v4, v2 row_shr:4 row_mask:0xf bank_mask:0xf
	v_mov_b32_dpp v3, v1 row_shr:4 row_mask:0xf bank_mask:0xf
	v_add_u32_e32 v3, v1, v3
	v_add_u32_e32 v4, v2, v4
	v_cndmask_b32_e32 v2, v2, v4, vcc
	v_cndmask_b32_e32 v1, v1, v3, vcc
	v_cmp_lt_u32_e32 vcc, 7, v67
	v_mov_b32_dpp v4, v2 row_shr:8 row_mask:0xf bank_mask:0xf
	v_mov_b32_dpp v3, v1 row_shr:8 row_mask:0xf bank_mask:0xf
	v_add_u32_e32 v3, v1, v3
	v_add_u32_e32 v4, v2, v4
	v_cndmask_b32_e32 v2, v2, v4, vcc
	v_cndmask_b32_e32 v3, v1, v3, vcc
	v_cmp_eq_u32_e32 vcc, 0, v66
	v_mov_b32_dpp v4, v2 row_bcast:15 row_mask:0xf bank_mask:0xf
	v_mov_b32_dpp v1, v3 row_bcast:15 row_mask:0xf bank_mask:0xf
	v_add_u32_e32 v5, v3, v1
	v_add_u32_e32 v1, v2, v4
	v_cndmask_b32_e32 v1, v1, v2, vcc
	v_cndmask_b32_e32 v2, v5, v3, vcc
	v_cmp_lt_u32_e32 vcc, 31, v63
	v_mov_b32_dpp v3, v1 row_bcast:31 row_mask:0xf bank_mask:0xf
	v_mov_b32_dpp v4, v2 row_bcast:31 row_mask:0xf bank_mask:0xf
	v_add_u32_e32 v3, v1, v3
	v_add_u32_e32 v4, v2, v4
	s_and_saveexec_b64 s[4:5], s[2:3]
; %bb.139:
	v_cndmask_b32_e32 v5, v2, v4, vcc
	v_cndmask_b32_e32 v6, v1, v3, vcc
	v_lshlrev_b32_e32 v7, 3, v64
	ds_write_b64 v7, v[5:6]
; %bb.140:
	s_or_b64 exec, exec, s[4:5]
	v_cmp_gt_u32_e64 s[2:3], 4, v0
	s_waitcnt lgkmcnt(0)
	s_barrier
	s_and_saveexec_b64 s[4:5], s[2:3]
	s_cbranch_execz .LBB1679_142
; %bb.141:
	v_lshlrev_b32_e32 v7, 3, v0
	ds_read_b64 v[5:6], v7
	v_and_b32_e32 v8, 3, v63
	v_cmp_eq_u32_e64 s[2:3], 0, v8
	s_waitcnt lgkmcnt(0)
	v_mov_b32_dpp v21, v5 row_shr:1 row_mask:0xf bank_mask:0xf
	v_mov_b32_dpp v22, v6 row_shr:1 row_mask:0xf bank_mask:0xf
	v_add_u32_e32 v21, v21, v5
	v_add_u32_e32 v22, v22, v6
	v_cndmask_b32_e64 v6, v22, v6, s[2:3]
	v_cndmask_b32_e64 v5, v21, v5, s[2:3]
	v_cmp_lt_u32_e64 s[2:3], 1, v8
	v_mov_b32_dpp v22, v6 row_shr:2 row_mask:0xf bank_mask:0xf
	v_mov_b32_dpp v21, v5 row_shr:2 row_mask:0xf bank_mask:0xf
	v_cndmask_b32_e64 v8, 0, v21, s[2:3]
	v_cndmask_b32_e64 v21, 0, v22, s[2:3]
	v_add_u32_e32 v6, v21, v6
	v_add_u32_e32 v5, v8, v5
	ds_write_b64 v7, v[5:6]
.LBB1679_142:
	s_or_b64 exec, exec, s[4:5]
	v_cmp_lt_u32_e64 s[2:3], 63, v0
	v_mov_b32_e32 v7, 0
	v_mov_b32_e32 v5, 0
	;; [unrolled: 1-line block ×3, first 2 shown]
	s_waitcnt lgkmcnt(0)
	s_barrier
	s_and_saveexec_b64 s[4:5], s[2:3]
; %bb.143:
	v_lshl_add_u32 v5, v64, 3, -8
	ds_read_b64 v[5:6], v5
; %bb.144:
	s_or_b64 exec, exec, s[4:5]
	v_cndmask_b32_e32 v2, v2, v4, vcc
	v_cndmask_b32_e32 v1, v1, v3, vcc
	v_subrev_co_u32_e32 v3, vcc, 1, v63
	v_and_b32_e32 v4, 64, v63
	v_cmp_lt_i32_e64 s[2:3], v3, v4
	v_cndmask_b32_e64 v3, v3, v63, s[2:3]
	s_waitcnt lgkmcnt(0)
	v_add_u32_e32 v1, v6, v1
	v_add_u32_e32 v2, v5, v2
	v_lshlrev_b32_e32 v3, 2, v3
	ds_bpermute_b32 v8, v3, v2
	ds_bpermute_b32 v21, v3, v1
	ds_read_b64 v[1:2], v7 offset:24
	v_cmp_eq_u32_e64 s[2:3], 0, v0
	s_and_saveexec_b64 s[4:5], s[2:3]
	s_cbranch_execz .LBB1679_146
; %bb.145:
	s_add_u32 s6, s12, 0x400
	s_addc_u32 s7, s13, 0
	v_mov_b32_e32 v23, s7
	v_mov_b32_e32 v3, 2
	;; [unrolled: 1-line block ×4, first 2 shown]
	s_waitcnt lgkmcnt(0)
	;;#ASMSTART
	global_store_dwordx4 v[22:23], v[1:4] off	
s_waitcnt vmcnt(0)
	;;#ASMEND
.LBB1679_146:
	s_or_b64 exec, exec, s[4:5]
	s_waitcnt lgkmcnt(2)
	v_cndmask_b32_e32 v3, v8, v5, vcc
	s_waitcnt lgkmcnt(1)
	v_cndmask_b32_e32 v4, v21, v6, vcc
	v_cndmask_b32_e64 v22, v4, 0, s[2:3]
	v_cndmask_b32_e64 v23, v3, 0, s[2:3]
	v_mov_b32_e32 v4, 0
	v_mov_b32_e32 v3, 0
	s_waitcnt lgkmcnt(0)
	s_barrier
.LBB1679_147:
	v_mov_b32_e32 v6, s49
	s_waitcnt lgkmcnt(0)
	v_add_co_u32_e32 v5, vcc, s48, v3
	v_addc_co_u32_e32 v6, vcc, 0, v6, vcc
	v_mov_b32_e32 v27, s51
	v_sub_co_u32_e32 v28, vcc, s50, v1
	v_subbrev_co_u32_e32 v69, vcc, 0, v27, vcc
	v_add_co_u32_e32 v27, vcc, v28, v4
	v_add_u32_e32 v49, v22, v49
	v_addc_co_u32_e32 v28, vcc, 0, v69, vcc
	v_lshlrev_b32_e32 v69, 1, v1
	v_sub_u32_e32 v22, v22, v4
	v_lshrrev_b32_e32 v26, 8, v37
	v_add_u32_e32 v48, v23, v48
	v_add_u32_e32 v70, v69, v2
	v_sub_u32_e32 v23, v23, v3
	v_add_u32_e32 v22, v22, v1
	v_add_u32_e32 v30, v70, v30
	v_and_b32_e32 v26, 1, v26
	v_add_u32_e32 v71, v23, v22
	v_and_b32_e32 v70, 1, v31
	v_sub_u32_e32 v71, v30, v71
	v_cmp_eq_u32_e32 vcc, 1, v26
	v_cndmask_b32_e32 v22, v71, v22, vcc
	v_cmp_eq_u32_e32 vcc, 1, v70
	v_cndmask_b32_e32 v22, v22, v23, vcc
	v_lshlrev_b32_e32 v22, 2, v22
	v_sub_u32_e32 v23, v49, v4
	v_lshrrev_b32_e32 v25, 8, v31
	ds_write_b32 v22, v19
	v_sub_u32_e32 v19, v48, v3
	v_add_u32_e32 v23, v23, v1
	v_add_u32_e32 v45, v48, v45
	v_and_b32_e32 v22, 1, v25
	v_mov_b32_e32 v25, 1
	v_add_u32_e32 v48, v23, v19
	v_and_b32_sdwa v26, v25, v37 dst_sel:DWORD dst_unused:UNUSED_PAD src0_sel:DWORD src1_sel:WORD_1
	v_sub_u32_e32 v48, v30, v48
	v_add_u32_e32 v48, 1, v48
	v_cmp_eq_u32_e32 vcc, 1, v26
	v_cndmask_b32_e32 v23, v48, v23, vcc
	v_cmp_eq_u32_e32 vcc, 1, v22
	v_add_u32_e32 v57, v49, v57
	v_cndmask_b32_e32 v19, v23, v19, vcc
	v_lshlrev_b32_e32 v19, 2, v19
	v_sub_u32_e32 v22, v57, v4
	ds_write_b32 v19, v20
	v_sub_u32_e32 v19, v45, v3
	v_add_u32_e32 v22, v22, v1
	v_add_u32_e32 v26, v22, v19
	v_and_b32_e32 v23, 1, v44
	v_sub_u32_e32 v26, v30, v26
	v_and_b32_sdwa v20, v25, v31 dst_sel:DWORD dst_unused:UNUSED_PAD src0_sel:DWORD src1_sel:WORD_1
	v_add_u32_e32 v26, 2, v26
	v_cmp_eq_u32_e32 vcc, 1, v23
	v_cndmask_b32_e32 v22, v26, v22, vcc
	v_cmp_eq_u32_e32 vcc, 1, v20
	v_add_u32_e32 v63, v57, v44
	v_cndmask_b32_e32 v19, v22, v19, vcc
	v_add_u32_e32 v50, v45, v50
	v_lshlrev_b32_e32 v19, 2, v19
	v_sub_u32_e32 v20, v63, v4
	ds_write_b32 v19, v17
	v_sub_u32_e32 v17, v50, v3
	v_add_u32_e32 v20, v20, v1
	v_add_u32_e32 v23, v17, v20
	v_and_b32_e32 v22, 1, v32
	v_sub_u32_e32 v23, v30, v23
	v_and_b32_e32 v19, 1, v43
	v_add_u32_e32 v23, 3, v23
	v_cmp_eq_u32_e32 vcc, 1, v22
	v_cndmask_b32_e32 v20, v23, v20, vcc
	v_cmp_eq_u32_e32 vcc, 1, v19
	v_add_u32_e32 v58, v63, v58
	v_cndmask_b32_e32 v17, v20, v17, vcc
	v_add_u32_e32 v64, v50, v43
	v_lshlrev_b32_e32 v17, 2, v17
	v_sub_u32_e32 v19, v58, v4
	ds_write_b32 v17, v18
	v_sub_u32_e32 v17, v64, v3
	v_add_u32_e32 v19, v19, v1
	v_lshrrev_b32_e32 v24, 8, v32
	v_add_u32_e32 v22, v17, v19
	v_and_b32_e32 v20, 1, v24
	v_sub_u32_e32 v22, v30, v22
	v_and_b32_e32 v18, 1, v33
	v_add_u32_e32 v22, 4, v22
	v_cmp_eq_u32_e32 vcc, 1, v20
	v_cndmask_b32_e32 v19, v22, v19, vcc
	v_cmp_eq_u32_e32 vcc, 1, v18
	v_add_u32_e32 v52, v58, v52
	v_cndmask_b32_e32 v17, v19, v17, vcc
	v_add_u32_e32 v51, v64, v51
	v_lshlrev_b32_e32 v17, 2, v17
	v_sub_u32_e32 v18, v52, v4
	ds_write_b32 v17, v15
	v_sub_u32_e32 v15, v51, v3
	v_add_u32_e32 v18, v18, v1
	v_add_u32_e32 v20, v15, v18
	v_lshrrev_b32_e32 v21, 8, v33
	v_and_b32_sdwa v19, v25, v32 dst_sel:DWORD dst_unused:UNUSED_PAD src0_sel:DWORD src1_sel:WORD_1
	v_sub_u32_e32 v20, v30, v20
	v_and_b32_e32 v17, 1, v21
	v_add_u32_e32 v20, 5, v20
	v_cmp_eq_u32_e32 vcc, 1, v19
	v_cndmask_b32_e32 v18, v20, v18, vcc
	v_cmp_eq_u32_e32 vcc, 1, v17
	v_add_u32_e32 v59, v52, v59
	v_cndmask_b32_e32 v15, v18, v15, vcc
	v_add_u32_e32 v46, v51, v46
	v_lshlrev_b32_e32 v15, 2, v15
	v_sub_u32_e32 v17, v59, v4
	ds_write_b32 v15, v16
	v_sub_u32_e32 v15, v46, v3
	v_add_u32_e32 v17, v17, v1
	v_add_u32_e32 v19, v15, v17
	v_and_b32_e32 v18, 1, v42
	v_sub_u32_e32 v19, v30, v19
	v_and_b32_sdwa v16, v25, v33 dst_sel:DWORD dst_unused:UNUSED_PAD src0_sel:DWORD src1_sel:WORD_1
	v_add_u32_e32 v19, 6, v19
	v_cmp_eq_u32_e32 vcc, 1, v18
	v_cndmask_b32_e32 v17, v19, v17, vcc
	v_cmp_eq_u32_e32 vcc, 1, v16
	v_add_u32_e32 v65, v59, v42
	v_cndmask_b32_e32 v15, v17, v15, vcc
	v_add_u32_e32 v53, v46, v53
	v_lshlrev_b32_e32 v15, 2, v15
	v_sub_u32_e32 v16, v65, v4
	ds_write_b32 v15, v13
	v_sub_u32_e32 v13, v53, v3
	v_add_u32_e32 v16, v16, v1
	v_add_u32_e32 v18, v13, v16
	v_and_b32_e32 v17, 1, v34
	v_sub_u32_e32 v18, v30, v18
	v_and_b32_e32 v15, 1, v41
	v_add_u32_e32 v18, 7, v18
	v_cmp_eq_u32_e32 vcc, 1, v17
	v_cndmask_b32_e32 v16, v18, v16, vcc
	v_cmp_eq_u32_e32 vcc, 1, v15
	v_add_u32_e32 v60, v65, v60
	v_cndmask_b32_e32 v13, v16, v13, vcc
	v_add_u32_e32 v66, v53, v41
	v_lshlrev_b32_e32 v13, 2, v13
	v_sub_u32_e32 v15, v60, v4
	ds_write_b32 v13, v14
	v_sub_u32_e32 v13, v66, v3
	v_add_u32_e32 v15, v15, v1
	v_lshrrev_b32_e32 v8, 8, v34
	v_add_u32_e32 v16, v13, v15
	v_and_b32_e32 v8, 1, v8
	v_sub_u32_e32 v16, v30, v16
	v_and_b32_e32 v14, 1, v36
	v_add_u32_e32 v16, 8, v16
	v_cmp_eq_u32_e32 vcc, 1, v8
	v_cndmask_b32_e32 v8, v16, v15, vcc
	v_cmp_eq_u32_e32 vcc, 1, v14
	v_cndmask_b32_e32 v8, v8, v13, vcc
	v_add_u32_e32 v55, v60, v55
	v_lshlrev_b32_e32 v8, 2, v8
	v_add_u32_e32 v54, v66, v54
	ds_write_b32 v8, v11
	v_sub_u32_e32 v11, v55, v4
	v_sub_u32_e32 v8, v54, v3
	v_add_u32_e32 v11, v11, v1
	v_add_u32_e32 v14, v8, v11
	v_lshrrev_b32_e32 v7, 8, v36
	v_and_b32_sdwa v13, v25, v34 dst_sel:DWORD dst_unused:UNUSED_PAD src0_sel:DWORD src1_sel:WORD_1
	v_sub_u32_e32 v14, v30, v14
	v_and_b32_e32 v7, 1, v7
	v_add_u32_e32 v14, 9, v14
	v_cmp_eq_u32_e32 vcc, 1, v13
	v_cndmask_b32_e32 v11, v14, v11, vcc
	v_cmp_eq_u32_e32 vcc, 1, v7
	v_add_u32_e32 v61, v55, v61
	v_cndmask_b32_e32 v7, v11, v8, vcc
	v_add_u32_e32 v47, v54, v47
	v_lshlrev_b32_e32 v7, 2, v7
	v_sub_u32_e32 v11, v61, v4
	ds_write_b32 v7, v12
	v_sub_u32_e32 v7, v47, v3
	v_add_u32_e32 v11, v11, v1
	v_add_u32_e32 v13, v7, v11
	v_and_b32_e32 v12, 1, v40
	v_sub_u32_e32 v13, v30, v13
	v_and_b32_sdwa v8, v25, v36 dst_sel:DWORD dst_unused:UNUSED_PAD src0_sel:DWORD src1_sel:WORD_1
	v_add_u32_e32 v13, 10, v13
	v_cmp_eq_u32_e32 vcc, 1, v12
	v_cndmask_b32_e32 v11, v13, v11, vcc
	v_cmp_eq_u32_e32 vcc, 1, v8
	v_cndmask_b32_e32 v7, v11, v7, vcc
	v_add_u32_e32 v67, v61, v40
	v_lshlrev_b32_e32 v7, 2, v7
	v_add_u32_e32 v56, v47, v56
	ds_write_b32 v7, v9
	v_sub_u32_e32 v9, v67, v4
	v_sub_u32_e32 v7, v56, v3
	v_add_u32_e32 v9, v9, v1
	v_add_u32_e32 v12, v7, v9
	v_and_b32_e32 v11, 1, v35
	v_sub_u32_e32 v12, v30, v12
	v_and_b32_e32 v8, 1, v39
	v_add_u32_e32 v12, 11, v12
	v_cmp_eq_u32_e32 vcc, 1, v11
	v_add_u32_e32 v62, v67, v62
	v_cndmask_b32_e32 v9, v12, v9, vcc
	v_cmp_eq_u32_e32 vcc, 1, v8
	v_add_u32_e32 v68, v56, v39
	v_cndmask_b32_e32 v7, v9, v7, vcc
	v_sub_u32_e32 v8, v62, v4
	v_lshlrev_b32_e32 v7, 2, v7
	v_sub_u32_e32 v3, v68, v3
	v_add_u32_e32 v8, v8, v1
	ds_write_b32 v7, v10
	v_add_u32_e32 v10, v3, v8
	v_and_b32_e32 v9, 1, v38
	v_sub_u32_e32 v10, v30, v10
	v_and_b32_e32 v7, 1, v37
	v_add_u32_e32 v10, 12, v10
	v_cmp_eq_u32_e32 vcc, 1, v9
	v_cndmask_b32_e32 v8, v10, v8, vcc
	v_cmp_eq_u32_e32 vcc, 1, v7
	v_cndmask_b32_e32 v3, v8, v3, vcc
	v_lshlrev_b32_e32 v3, 2, v3
	ds_write_b32 v3, v29
	v_add_co_u32_e32 v3, vcc, v2, v69
	v_addc_co_u32_e64 v7, s[2:3], 0, 0, vcc
	v_add_co_u32_e32 v3, vcc, v3, v27
	v_addc_co_u32_e32 v7, vcc, v7, v28, vcc
	s_add_u32 s4, s56, s33
	v_add_co_u32_e32 v3, vcc, v3, v5
	s_addc_u32 s5, s57, 0
	v_addc_co_u32_e32 v7, vcc, v7, v6, vcc
	v_mov_b32_e32 v8, s5
	v_sub_co_u32_e32 v3, vcc, s4, v3
	v_subb_co_u32_e32 v11, vcc, v8, v7, vcc
	v_lshlrev_b64 v[7:8], 2, v[27:28]
	v_mov_b32_e32 v9, s55
	v_add_co_u32_e32 v7, vcc, s54, v7
	v_addc_co_u32_e32 v8, vcc, v9, v8, vcc
	v_lshlrev_b64 v[9:10], 2, v[5:6]
	v_mov_b32_e32 v13, s53
	v_add_co_u32_e32 v9, vcc, s52, v9
	v_addc_co_u32_e32 v10, vcc, v13, v10, vcc
	v_add_u32_e32 v12, v1, v2
	s_and_b64 vcc, exec, s[0:1]
	s_mov_b64 s[0:1], -1
	s_waitcnt lgkmcnt(0)
	s_barrier
	s_cbranch_vccz .LBB1679_151
; %bb.148:
	s_and_b64 vcc, exec, s[0:1]
	s_cbranch_vccnz .LBB1679_256
.LBB1679_149:
	v_cmp_eq_u32_e32 vcc, 0, v0
	s_and_b64 s[0:1], vcc, s[34:35]
	s_and_saveexec_b64 s[2:3], s[0:1]
	s_cbranch_execnz .LBB1679_374
.LBB1679_150:
	s_endpgm
.LBB1679_151:
	v_cmp_ge_u32_e32 vcc, v0, v1
	s_and_saveexec_b64 s[0:1], vcc
	s_xor_b64 s[0:1], exec, s[0:1]
	s_cbranch_execz .LBB1679_157
; %bb.152:
	v_cmp_ge_u32_e32 vcc, v0, v12
	s_and_saveexec_b64 s[2:3], vcc
	s_xor_b64 s[2:3], exec, s[2:3]
	s_cbranch_execz .LBB1679_154
; %bb.153:
	v_add_co_u32_e32 v13, vcc, v3, v0
	v_lshlrev_b32_e32 v15, 2, v0
	v_addc_co_u32_e32 v14, vcc, 0, v11, vcc
	ds_read_b32 v15, v15
	v_lshlrev_b64 v[13:14], 2, v[13:14]
	v_mov_b32_e32 v16, s47
	v_sub_co_u32_e32 v13, vcc, s46, v13
	v_subb_co_u32_e32 v14, vcc, v16, v14, vcc
	s_waitcnt lgkmcnt(0)
	global_store_dword v[13:14], v15, off offset:-4
.LBB1679_154:
	s_andn2_saveexec_b64 s[2:3], s[2:3]
	s_cbranch_execz .LBB1679_156
; %bb.155:
	v_lshlrev_b32_e32 v13, 2, v0
	ds_read_b32 v14, v13
	v_readfirstlane_b32 s4, v7
	v_readfirstlane_b32 s5, v8
	s_waitcnt lgkmcnt(0)
	s_nop 3
	global_store_dword v13, v14, s[4:5]
.LBB1679_156:
	s_or_b64 exec, exec, s[2:3]
.LBB1679_157:
	s_andn2_saveexec_b64 s[0:1], s[0:1]
	s_cbranch_execz .LBB1679_159
; %bb.158:
	v_lshlrev_b32_e32 v13, 2, v0
	ds_read_b32 v14, v13
	v_readfirstlane_b32 s2, v9
	v_readfirstlane_b32 s3, v10
	s_waitcnt lgkmcnt(0)
	s_nop 3
	global_store_dword v13, v14, s[2:3]
.LBB1679_159:
	s_or_b64 exec, exec, s[0:1]
	v_or_b32_e32 v13, 0x100, v0
	v_cmp_ge_u32_e32 vcc, v13, v1
	s_and_saveexec_b64 s[0:1], vcc
	s_xor_b64 s[0:1], exec, s[0:1]
	s_cbranch_execz .LBB1679_165
; %bb.160:
	v_cmp_ge_u32_e32 vcc, v13, v12
	s_and_saveexec_b64 s[2:3], vcc
	s_xor_b64 s[2:3], exec, s[2:3]
	s_cbranch_execz .LBB1679_162
; %bb.161:
	v_lshlrev_b32_e32 v13, 2, v0
	ds_read_b32 v15, v13 offset:1024
	v_add_co_u32_e32 v13, vcc, v3, v0
	v_addc_co_u32_e32 v14, vcc, 0, v11, vcc
	v_lshlrev_b64 v[13:14], 2, v[13:14]
	v_mov_b32_e32 v16, s47
	v_sub_co_u32_e32 v13, vcc, s46, v13
	v_subb_co_u32_e32 v14, vcc, v16, v14, vcc
	s_waitcnt lgkmcnt(0)
	global_store_dword v[13:14], v15, off offset:-1028
.LBB1679_162:
	s_andn2_saveexec_b64 s[2:3], s[2:3]
	s_cbranch_execz .LBB1679_164
; %bb.163:
	v_lshlrev_b32_e32 v13, 2, v0
	ds_read_b32 v14, v13 offset:1024
	v_readfirstlane_b32 s4, v7
	v_readfirstlane_b32 s5, v8
	s_waitcnt lgkmcnt(0)
	s_nop 3
	global_store_dword v13, v14, s[4:5] offset:1024
.LBB1679_164:
	s_or_b64 exec, exec, s[2:3]
.LBB1679_165:
	s_andn2_saveexec_b64 s[0:1], s[0:1]
	s_cbranch_execz .LBB1679_167
; %bb.166:
	v_lshlrev_b32_e32 v13, 2, v0
	ds_read_b32 v14, v13 offset:1024
	v_readfirstlane_b32 s2, v9
	v_readfirstlane_b32 s3, v10
	s_waitcnt lgkmcnt(0)
	s_nop 3
	global_store_dword v13, v14, s[2:3] offset:1024
.LBB1679_167:
	s_or_b64 exec, exec, s[0:1]
	v_or_b32_e32 v13, 0x200, v0
	v_cmp_ge_u32_e32 vcc, v13, v1
	s_and_saveexec_b64 s[0:1], vcc
	s_xor_b64 s[0:1], exec, s[0:1]
	s_cbranch_execz .LBB1679_173
; %bb.168:
	v_cmp_ge_u32_e32 vcc, v13, v12
	s_and_saveexec_b64 s[2:3], vcc
	s_xor_b64 s[2:3], exec, s[2:3]
	s_cbranch_execz .LBB1679_170
; %bb.169:
	v_lshlrev_b32_e32 v13, 2, v0
	ds_read_b32 v15, v13 offset:2048
	v_add_co_u32_e32 v13, vcc, v3, v0
	v_addc_co_u32_e32 v14, vcc, 0, v11, vcc
	v_lshlrev_b64 v[13:14], 2, v[13:14]
	v_mov_b32_e32 v16, s47
	v_sub_co_u32_e32 v13, vcc, s46, v13
	v_subb_co_u32_e32 v14, vcc, v16, v14, vcc
	s_waitcnt lgkmcnt(0)
	global_store_dword v[13:14], v15, off offset:-2052
.LBB1679_170:
	s_andn2_saveexec_b64 s[2:3], s[2:3]
	s_cbranch_execz .LBB1679_172
; %bb.171:
	v_lshlrev_b32_e32 v13, 2, v0
	ds_read_b32 v14, v13 offset:2048
	v_readfirstlane_b32 s4, v7
	v_readfirstlane_b32 s5, v8
	s_waitcnt lgkmcnt(0)
	s_nop 3
	global_store_dword v13, v14, s[4:5] offset:2048
.LBB1679_172:
	s_or_b64 exec, exec, s[2:3]
.LBB1679_173:
	s_andn2_saveexec_b64 s[0:1], s[0:1]
	s_cbranch_execz .LBB1679_175
; %bb.174:
	v_lshlrev_b32_e32 v13, 2, v0
	ds_read_b32 v14, v13 offset:2048
	v_readfirstlane_b32 s2, v9
	v_readfirstlane_b32 s3, v10
	s_waitcnt lgkmcnt(0)
	s_nop 3
	global_store_dword v13, v14, s[2:3] offset:2048
.LBB1679_175:
	;; [unrolled: 47-line block ×3, first 2 shown]
	s_or_b64 exec, exec, s[0:1]
	v_or_b32_e32 v13, 0x400, v0
	v_cmp_ge_u32_e32 vcc, v13, v1
	s_and_saveexec_b64 s[0:1], vcc
	s_xor_b64 s[0:1], exec, s[0:1]
	s_cbranch_execz .LBB1679_189
; %bb.184:
	v_cmp_ge_u32_e32 vcc, v13, v12
	s_and_saveexec_b64 s[2:3], vcc
	s_xor_b64 s[2:3], exec, s[2:3]
	s_cbranch_execz .LBB1679_186
; %bb.185:
	v_lshlrev_b32_e32 v13, 2, v0
	ds_read_b32 v15, v13 offset:4096
	v_add_co_u32_e32 v13, vcc, v3, v0
	v_addc_co_u32_e32 v14, vcc, 0, v11, vcc
	v_lshlrev_b64 v[13:14], 2, v[13:14]
	v_mov_b32_e32 v16, s47
	v_sub_co_u32_e32 v13, vcc, s46, v13
	v_subb_co_u32_e32 v14, vcc, v16, v14, vcc
	v_add_co_u32_e32 v13, vcc, 0xfffff000, v13
	v_addc_co_u32_e32 v14, vcc, -1, v14, vcc
	s_waitcnt lgkmcnt(0)
	global_store_dword v[13:14], v15, off offset:-4
                                        ; implicit-def: $vgpr13
.LBB1679_186:
	s_andn2_saveexec_b64 s[2:3], s[2:3]
	s_cbranch_execz .LBB1679_188
; %bb.187:
	v_lshlrev_b32_e32 v14, 2, v0
	ds_read_b32 v14, v14 offset:4096
	v_lshlrev_b32_e32 v13, 2, v13
	v_readfirstlane_b32 s4, v7
	v_readfirstlane_b32 s5, v8
	s_waitcnt lgkmcnt(0)
	s_nop 3
	global_store_dword v13, v14, s[4:5]
.LBB1679_188:
	s_or_b64 exec, exec, s[2:3]
                                        ; implicit-def: $vgpr13
.LBB1679_189:
	s_andn2_saveexec_b64 s[0:1], s[0:1]
	s_cbranch_execz .LBB1679_191
; %bb.190:
	v_lshlrev_b32_e32 v14, 2, v0
	ds_read_b32 v14, v14 offset:4096
	v_lshlrev_b32_e32 v13, 2, v13
	v_readfirstlane_b32 s2, v9
	v_readfirstlane_b32 s3, v10
	s_waitcnt lgkmcnt(0)
	s_nop 3
	global_store_dword v13, v14, s[2:3]
.LBB1679_191:
	s_or_b64 exec, exec, s[0:1]
	v_or_b32_e32 v13, 0x500, v0
	v_cmp_ge_u32_e32 vcc, v13, v1
	s_and_saveexec_b64 s[0:1], vcc
	s_xor_b64 s[0:1], exec, s[0:1]
	s_cbranch_execz .LBB1679_197
; %bb.192:
	v_cmp_ge_u32_e32 vcc, v13, v12
	s_and_saveexec_b64 s[2:3], vcc
	s_xor_b64 s[2:3], exec, s[2:3]
	s_cbranch_execz .LBB1679_194
; %bb.193:
	v_add_co_u32_e32 v13, vcc, v3, v13
	v_lshlrev_b32_e32 v15, 2, v0
	v_addc_co_u32_e32 v14, vcc, 0, v11, vcc
	ds_read_b32 v15, v15 offset:5120
	v_lshlrev_b64 v[13:14], 2, v[13:14]
	v_mov_b32_e32 v16, s47
	v_sub_co_u32_e32 v13, vcc, s46, v13
	v_subb_co_u32_e32 v14, vcc, v16, v14, vcc
	s_waitcnt lgkmcnt(0)
	global_store_dword v[13:14], v15, off offset:-4
                                        ; implicit-def: $vgpr13
.LBB1679_194:
	s_andn2_saveexec_b64 s[2:3], s[2:3]
	s_cbranch_execz .LBB1679_196
; %bb.195:
	v_lshlrev_b32_e32 v14, 2, v0
	ds_read_b32 v14, v14 offset:5120
	v_lshlrev_b32_e32 v13, 2, v13
	v_readfirstlane_b32 s4, v7
	v_readfirstlane_b32 s5, v8
	s_waitcnt lgkmcnt(0)
	s_nop 3
	global_store_dword v13, v14, s[4:5]
.LBB1679_196:
	s_or_b64 exec, exec, s[2:3]
                                        ; implicit-def: $vgpr13
.LBB1679_197:
	s_andn2_saveexec_b64 s[0:1], s[0:1]
	s_cbranch_execz .LBB1679_199
; %bb.198:
	v_lshlrev_b32_e32 v14, 2, v0
	ds_read_b32 v14, v14 offset:5120
	v_lshlrev_b32_e32 v13, 2, v13
	v_readfirstlane_b32 s2, v9
	v_readfirstlane_b32 s3, v10
	s_waitcnt lgkmcnt(0)
	s_nop 3
	global_store_dword v13, v14, s[2:3]
.LBB1679_199:
	s_or_b64 exec, exec, s[0:1]
	v_or_b32_e32 v13, 0x600, v0
	v_cmp_ge_u32_e32 vcc, v13, v1
	s_and_saveexec_b64 s[0:1], vcc
	s_xor_b64 s[0:1], exec, s[0:1]
	s_cbranch_execz .LBB1679_205
; %bb.200:
	v_cmp_ge_u32_e32 vcc, v13, v12
	s_and_saveexec_b64 s[2:3], vcc
	s_xor_b64 s[2:3], exec, s[2:3]
	s_cbranch_execz .LBB1679_202
; %bb.201:
	v_add_co_u32_e32 v13, vcc, v3, v13
	v_lshlrev_b32_e32 v15, 2, v0
	v_addc_co_u32_e32 v14, vcc, 0, v11, vcc
	ds_read_b32 v15, v15 offset:6144
	v_lshlrev_b64 v[13:14], 2, v[13:14]
	v_mov_b32_e32 v16, s47
	v_sub_co_u32_e32 v13, vcc, s46, v13
	v_subb_co_u32_e32 v14, vcc, v16, v14, vcc
	s_waitcnt lgkmcnt(0)
	global_store_dword v[13:14], v15, off offset:-4
                                        ; implicit-def: $vgpr13
.LBB1679_202:
	s_andn2_saveexec_b64 s[2:3], s[2:3]
	s_cbranch_execz .LBB1679_204
; %bb.203:
	v_lshlrev_b32_e32 v14, 2, v0
	ds_read_b32 v14, v14 offset:6144
	v_lshlrev_b32_e32 v13, 2, v13
	v_readfirstlane_b32 s4, v7
	v_readfirstlane_b32 s5, v8
	s_waitcnt lgkmcnt(0)
	s_nop 3
	global_store_dword v13, v14, s[4:5]
.LBB1679_204:
	s_or_b64 exec, exec, s[2:3]
                                        ; implicit-def: $vgpr13
.LBB1679_205:
	;; [unrolled: 51-line block ×8, first 2 shown]
	s_andn2_saveexec_b64 s[0:1], s[0:1]
	s_cbranch_execz .LBB1679_255
; %bb.254:
	v_lshlrev_b32_e32 v14, 2, v0
	ds_read_b32 v14, v14 offset:12288
	v_lshlrev_b32_e32 v13, 2, v13
	v_readfirstlane_b32 s2, v9
	v_readfirstlane_b32 s3, v10
	s_waitcnt lgkmcnt(0)
	s_nop 3
	global_store_dword v13, v14, s[2:3]
.LBB1679_255:
	s_or_b64 exec, exec, s[0:1]
	s_branch .LBB1679_149
.LBB1679_256:
	v_cmp_gt_u32_e32 vcc, s18, v0
	s_and_saveexec_b64 s[0:1], vcc
	s_cbranch_execz .LBB1679_265
; %bb.257:
	v_cmp_ge_u32_e32 vcc, v0, v1
	s_and_saveexec_b64 s[2:3], vcc
	s_xor_b64 s[2:3], exec, s[2:3]
	s_cbranch_execz .LBB1679_263
; %bb.258:
	v_cmp_ge_u32_e32 vcc, v0, v12
	s_and_saveexec_b64 s[4:5], vcc
	s_xor_b64 s[4:5], exec, s[4:5]
	s_cbranch_execz .LBB1679_260
; %bb.259:
	v_add_co_u32_e32 v13, vcc, v3, v0
	v_lshlrev_b32_e32 v15, 2, v0
	v_addc_co_u32_e32 v14, vcc, 0, v11, vcc
	ds_read_b32 v15, v15
	v_lshlrev_b64 v[13:14], 2, v[13:14]
	v_mov_b32_e32 v16, s47
	v_sub_co_u32_e32 v13, vcc, s46, v13
	v_subb_co_u32_e32 v14, vcc, v16, v14, vcc
	s_waitcnt lgkmcnt(0)
	global_store_dword v[13:14], v15, off offset:-4
.LBB1679_260:
	s_andn2_saveexec_b64 s[4:5], s[4:5]
	s_cbranch_execz .LBB1679_262
; %bb.261:
	v_lshlrev_b32_e32 v13, 2, v0
	ds_read_b32 v14, v13
	v_readfirstlane_b32 s6, v7
	v_readfirstlane_b32 s7, v8
	s_waitcnt lgkmcnt(0)
	s_nop 3
	global_store_dword v13, v14, s[6:7]
.LBB1679_262:
	s_or_b64 exec, exec, s[4:5]
.LBB1679_263:
	s_andn2_saveexec_b64 s[2:3], s[2:3]
	s_cbranch_execz .LBB1679_265
; %bb.264:
	v_lshlrev_b32_e32 v13, 2, v0
	ds_read_b32 v14, v13
	v_readfirstlane_b32 s2, v9
	v_readfirstlane_b32 s3, v10
	s_waitcnt lgkmcnt(0)
	s_nop 3
	global_store_dword v13, v14, s[2:3]
.LBB1679_265:
	s_or_b64 exec, exec, s[0:1]
	v_or_b32_e32 v13, 0x100, v0
	v_cmp_gt_u32_e32 vcc, s18, v13
	s_and_saveexec_b64 s[0:1], vcc
	s_cbranch_execz .LBB1679_274
; %bb.266:
	v_cmp_ge_u32_e32 vcc, v13, v1
	s_and_saveexec_b64 s[2:3], vcc
	s_xor_b64 s[2:3], exec, s[2:3]
	s_cbranch_execz .LBB1679_272
; %bb.267:
	v_cmp_ge_u32_e32 vcc, v13, v12
	s_and_saveexec_b64 s[4:5], vcc
	s_xor_b64 s[4:5], exec, s[4:5]
	s_cbranch_execz .LBB1679_269
; %bb.268:
	v_lshlrev_b32_e32 v13, 2, v0
	ds_read_b32 v15, v13 offset:1024
	v_add_co_u32_e32 v13, vcc, v3, v0
	v_addc_co_u32_e32 v14, vcc, 0, v11, vcc
	v_lshlrev_b64 v[13:14], 2, v[13:14]
	v_mov_b32_e32 v16, s47
	v_sub_co_u32_e32 v13, vcc, s46, v13
	v_subb_co_u32_e32 v14, vcc, v16, v14, vcc
	s_waitcnt lgkmcnt(0)
	global_store_dword v[13:14], v15, off offset:-1028
.LBB1679_269:
	s_andn2_saveexec_b64 s[4:5], s[4:5]
	s_cbranch_execz .LBB1679_271
; %bb.270:
	v_lshlrev_b32_e32 v13, 2, v0
	ds_read_b32 v14, v13 offset:1024
	v_readfirstlane_b32 s6, v7
	v_readfirstlane_b32 s7, v8
	s_waitcnt lgkmcnt(0)
	s_nop 3
	global_store_dword v13, v14, s[6:7] offset:1024
.LBB1679_271:
	s_or_b64 exec, exec, s[4:5]
.LBB1679_272:
	s_andn2_saveexec_b64 s[2:3], s[2:3]
	s_cbranch_execz .LBB1679_274
; %bb.273:
	v_lshlrev_b32_e32 v13, 2, v0
	ds_read_b32 v14, v13 offset:1024
	v_readfirstlane_b32 s2, v9
	v_readfirstlane_b32 s3, v10
	s_waitcnt lgkmcnt(0)
	s_nop 3
	global_store_dword v13, v14, s[2:3] offset:1024
.LBB1679_274:
	s_or_b64 exec, exec, s[0:1]
	v_or_b32_e32 v13, 0x200, v0
	v_cmp_gt_u32_e32 vcc, s18, v13
	s_and_saveexec_b64 s[0:1], vcc
	s_cbranch_execz .LBB1679_283
; %bb.275:
	v_cmp_ge_u32_e32 vcc, v13, v1
	s_and_saveexec_b64 s[2:3], vcc
	s_xor_b64 s[2:3], exec, s[2:3]
	s_cbranch_execz .LBB1679_281
; %bb.276:
	v_cmp_ge_u32_e32 vcc, v13, v12
	s_and_saveexec_b64 s[4:5], vcc
	s_xor_b64 s[4:5], exec, s[4:5]
	s_cbranch_execz .LBB1679_278
; %bb.277:
	v_lshlrev_b32_e32 v13, 2, v0
	ds_read_b32 v15, v13 offset:2048
	v_add_co_u32_e32 v13, vcc, v3, v0
	v_addc_co_u32_e32 v14, vcc, 0, v11, vcc
	v_lshlrev_b64 v[13:14], 2, v[13:14]
	v_mov_b32_e32 v16, s47
	v_sub_co_u32_e32 v13, vcc, s46, v13
	v_subb_co_u32_e32 v14, vcc, v16, v14, vcc
	s_waitcnt lgkmcnt(0)
	global_store_dword v[13:14], v15, off offset:-2052
.LBB1679_278:
	s_andn2_saveexec_b64 s[4:5], s[4:5]
	s_cbranch_execz .LBB1679_280
; %bb.279:
	v_lshlrev_b32_e32 v13, 2, v0
	ds_read_b32 v14, v13 offset:2048
	v_readfirstlane_b32 s6, v7
	v_readfirstlane_b32 s7, v8
	s_waitcnt lgkmcnt(0)
	s_nop 3
	global_store_dword v13, v14, s[6:7] offset:2048
.LBB1679_280:
	s_or_b64 exec, exec, s[4:5]
.LBB1679_281:
	s_andn2_saveexec_b64 s[2:3], s[2:3]
	s_cbranch_execz .LBB1679_283
; %bb.282:
	v_lshlrev_b32_e32 v13, 2, v0
	ds_read_b32 v14, v13 offset:2048
	v_readfirstlane_b32 s2, v9
	v_readfirstlane_b32 s3, v10
	s_waitcnt lgkmcnt(0)
	s_nop 3
	global_store_dword v13, v14, s[2:3] offset:2048
.LBB1679_283:
	;; [unrolled: 51-line block ×3, first 2 shown]
	s_or_b64 exec, exec, s[0:1]
	v_or_b32_e32 v13, 0x400, v0
	v_cmp_gt_u32_e32 vcc, s18, v13
	s_and_saveexec_b64 s[0:1], vcc
	s_cbranch_execz .LBB1679_301
; %bb.293:
	v_cmp_ge_u32_e32 vcc, v13, v1
	s_and_saveexec_b64 s[2:3], vcc
	s_xor_b64 s[2:3], exec, s[2:3]
	s_cbranch_execz .LBB1679_299
; %bb.294:
	v_cmp_ge_u32_e32 vcc, v13, v12
	s_and_saveexec_b64 s[4:5], vcc
	s_xor_b64 s[4:5], exec, s[4:5]
	s_cbranch_execz .LBB1679_296
; %bb.295:
	v_lshlrev_b32_e32 v13, 2, v0
	ds_read_b32 v15, v13 offset:4096
	v_add_co_u32_e32 v13, vcc, v3, v0
	v_addc_co_u32_e32 v14, vcc, 0, v11, vcc
	v_lshlrev_b64 v[13:14], 2, v[13:14]
	v_mov_b32_e32 v16, s47
	v_sub_co_u32_e32 v13, vcc, s46, v13
	v_subb_co_u32_e32 v14, vcc, v16, v14, vcc
	v_add_co_u32_e32 v13, vcc, 0xfffff000, v13
	v_addc_co_u32_e32 v14, vcc, -1, v14, vcc
	s_waitcnt lgkmcnt(0)
	global_store_dword v[13:14], v15, off offset:-4
                                        ; implicit-def: $vgpr13
.LBB1679_296:
	s_andn2_saveexec_b64 s[4:5], s[4:5]
	s_cbranch_execz .LBB1679_298
; %bb.297:
	v_lshlrev_b32_e32 v14, 2, v0
	ds_read_b32 v14, v14 offset:4096
	v_lshlrev_b32_e32 v13, 2, v13
	v_readfirstlane_b32 s6, v7
	v_readfirstlane_b32 s7, v8
	s_waitcnt lgkmcnt(0)
	s_nop 3
	global_store_dword v13, v14, s[6:7]
.LBB1679_298:
	s_or_b64 exec, exec, s[4:5]
                                        ; implicit-def: $vgpr13
.LBB1679_299:
	s_andn2_saveexec_b64 s[2:3], s[2:3]
	s_cbranch_execz .LBB1679_301
; %bb.300:
	v_lshlrev_b32_e32 v14, 2, v0
	ds_read_b32 v14, v14 offset:4096
	v_lshlrev_b32_e32 v13, 2, v13
	v_readfirstlane_b32 s2, v9
	v_readfirstlane_b32 s3, v10
	s_waitcnt lgkmcnt(0)
	s_nop 3
	global_store_dword v13, v14, s[2:3]
.LBB1679_301:
	s_or_b64 exec, exec, s[0:1]
	v_or_b32_e32 v13, 0x500, v0
	v_cmp_gt_u32_e32 vcc, s18, v13
	s_and_saveexec_b64 s[0:1], vcc
	s_cbranch_execz .LBB1679_310
; %bb.302:
	v_cmp_ge_u32_e32 vcc, v13, v1
	s_and_saveexec_b64 s[2:3], vcc
	s_xor_b64 s[2:3], exec, s[2:3]
	s_cbranch_execz .LBB1679_308
; %bb.303:
	v_cmp_ge_u32_e32 vcc, v13, v12
	s_and_saveexec_b64 s[4:5], vcc
	s_xor_b64 s[4:5], exec, s[4:5]
	s_cbranch_execz .LBB1679_305
; %bb.304:
	v_add_co_u32_e32 v13, vcc, v3, v13
	v_lshlrev_b32_e32 v15, 2, v0
	v_addc_co_u32_e32 v14, vcc, 0, v11, vcc
	ds_read_b32 v15, v15 offset:5120
	v_lshlrev_b64 v[13:14], 2, v[13:14]
	v_mov_b32_e32 v16, s47
	v_sub_co_u32_e32 v13, vcc, s46, v13
	v_subb_co_u32_e32 v14, vcc, v16, v14, vcc
	s_waitcnt lgkmcnt(0)
	global_store_dword v[13:14], v15, off offset:-4
                                        ; implicit-def: $vgpr13
.LBB1679_305:
	s_andn2_saveexec_b64 s[4:5], s[4:5]
	s_cbranch_execz .LBB1679_307
; %bb.306:
	v_lshlrev_b32_e32 v14, 2, v0
	ds_read_b32 v14, v14 offset:5120
	v_lshlrev_b32_e32 v13, 2, v13
	v_readfirstlane_b32 s6, v7
	v_readfirstlane_b32 s7, v8
	s_waitcnt lgkmcnt(0)
	s_nop 3
	global_store_dword v13, v14, s[6:7]
.LBB1679_307:
	s_or_b64 exec, exec, s[4:5]
                                        ; implicit-def: $vgpr13
.LBB1679_308:
	s_andn2_saveexec_b64 s[2:3], s[2:3]
	s_cbranch_execz .LBB1679_310
; %bb.309:
	v_lshlrev_b32_e32 v14, 2, v0
	ds_read_b32 v14, v14 offset:5120
	v_lshlrev_b32_e32 v13, 2, v13
	v_readfirstlane_b32 s2, v9
	v_readfirstlane_b32 s3, v10
	s_waitcnt lgkmcnt(0)
	s_nop 3
	global_store_dword v13, v14, s[2:3]
.LBB1679_310:
	s_or_b64 exec, exec, s[0:1]
	v_or_b32_e32 v13, 0x600, v0
	v_cmp_gt_u32_e32 vcc, s18, v13
	s_and_saveexec_b64 s[0:1], vcc
	s_cbranch_execz .LBB1679_319
; %bb.311:
	v_cmp_ge_u32_e32 vcc, v13, v1
	s_and_saveexec_b64 s[2:3], vcc
	s_xor_b64 s[2:3], exec, s[2:3]
	s_cbranch_execz .LBB1679_317
; %bb.312:
	v_cmp_ge_u32_e32 vcc, v13, v12
	s_and_saveexec_b64 s[4:5], vcc
	s_xor_b64 s[4:5], exec, s[4:5]
	s_cbranch_execz .LBB1679_314
; %bb.313:
	v_add_co_u32_e32 v13, vcc, v3, v13
	v_lshlrev_b32_e32 v15, 2, v0
	v_addc_co_u32_e32 v14, vcc, 0, v11, vcc
	ds_read_b32 v15, v15 offset:6144
	v_lshlrev_b64 v[13:14], 2, v[13:14]
	v_mov_b32_e32 v16, s47
	v_sub_co_u32_e32 v13, vcc, s46, v13
	v_subb_co_u32_e32 v14, vcc, v16, v14, vcc
	s_waitcnt lgkmcnt(0)
	global_store_dword v[13:14], v15, off offset:-4
                                        ; implicit-def: $vgpr13
.LBB1679_314:
	s_andn2_saveexec_b64 s[4:5], s[4:5]
	s_cbranch_execz .LBB1679_316
; %bb.315:
	v_lshlrev_b32_e32 v14, 2, v0
	ds_read_b32 v14, v14 offset:6144
	v_lshlrev_b32_e32 v13, 2, v13
	v_readfirstlane_b32 s6, v7
	v_readfirstlane_b32 s7, v8
	s_waitcnt lgkmcnt(0)
	s_nop 3
	global_store_dword v13, v14, s[6:7]
.LBB1679_316:
	s_or_b64 exec, exec, s[4:5]
                                        ; implicit-def: $vgpr13
.LBB1679_317:
	s_andn2_saveexec_b64 s[2:3], s[2:3]
	s_cbranch_execz .LBB1679_319
; %bb.318:
	v_lshlrev_b32_e32 v14, 2, v0
	ds_read_b32 v14, v14 offset:6144
	v_lshlrev_b32_e32 v13, 2, v13
	v_readfirstlane_b32 s2, v9
	v_readfirstlane_b32 s3, v10
	s_waitcnt lgkmcnt(0)
	s_nop 3
	global_store_dword v13, v14, s[2:3]
.LBB1679_319:
	;; [unrolled: 55-line block ×7, first 2 shown]
	s_or_b64 exec, exec, s[0:1]
	v_or_b32_e32 v13, 0xc00, v0
	v_cmp_gt_u32_e32 vcc, s18, v13
	s_and_saveexec_b64 s[0:1], vcc
	s_cbranch_execz .LBB1679_373
; %bb.365:
	v_cmp_ge_u32_e32 vcc, v13, v1
	s_and_saveexec_b64 s[2:3], vcc
	s_xor_b64 s[2:3], exec, s[2:3]
	s_cbranch_execz .LBB1679_371
; %bb.366:
	v_cmp_ge_u32_e32 vcc, v13, v12
	s_and_saveexec_b64 s[4:5], vcc
	s_xor_b64 s[4:5], exec, s[4:5]
	s_cbranch_execz .LBB1679_368
; %bb.367:
	v_add_co_u32_e32 v7, vcc, v3, v13
	v_lshlrev_b32_e32 v3, 2, v0
	v_addc_co_u32_e32 v8, vcc, 0, v11, vcc
	ds_read_b32 v3, v3 offset:12288
	v_lshlrev_b64 v[7:8], 2, v[7:8]
	v_mov_b32_e32 v9, s47
	v_sub_co_u32_e32 v7, vcc, s46, v7
	v_subb_co_u32_e32 v8, vcc, v9, v8, vcc
	s_waitcnt lgkmcnt(0)
	global_store_dword v[7:8], v3, off offset:-4
                                        ; implicit-def: $vgpr13
                                        ; implicit-def: $vgpr7_vgpr8
.LBB1679_368:
	s_andn2_saveexec_b64 s[4:5], s[4:5]
	s_cbranch_execz .LBB1679_370
; %bb.369:
	v_lshlrev_b32_e32 v3, 2, v0
	ds_read_b32 v3, v3 offset:12288
	v_lshlrev_b32_e32 v9, 2, v13
	v_readfirstlane_b32 s6, v7
	v_readfirstlane_b32 s7, v8
	s_waitcnt lgkmcnt(0)
	s_nop 3
	global_store_dword v9, v3, s[6:7]
.LBB1679_370:
	s_or_b64 exec, exec, s[4:5]
                                        ; implicit-def: $vgpr13
                                        ; implicit-def: $vgpr9_vgpr10
.LBB1679_371:
	s_andn2_saveexec_b64 s[2:3], s[2:3]
	s_cbranch_execz .LBB1679_373
; %bb.372:
	v_lshlrev_b32_e32 v3, 2, v0
	ds_read_b32 v3, v3 offset:12288
	v_lshlrev_b32_e32 v7, 2, v13
	v_readfirstlane_b32 s2, v9
	v_readfirstlane_b32 s3, v10
	s_waitcnt lgkmcnt(0)
	s_nop 3
	global_store_dword v7, v3, s[2:3]
.LBB1679_373:
	s_or_b64 exec, exec, s[0:1]
	v_cmp_eq_u32_e32 vcc, 0, v0
	s_and_b64 s[0:1], vcc, s[34:35]
	s_and_saveexec_b64 s[2:3], s[0:1]
	s_cbranch_execz .LBB1679_150
.LBB1679_374:
	v_mov_b32_e32 v0, s51
	v_add_co_u32_e32 v2, vcc, s50, v2
	v_addc_co_u32_e32 v0, vcc, 0, v0, vcc
	v_add_co_u32_e32 v2, vcc, v2, v4
	v_addc_co_u32_e32 v3, vcc, 0, v0, vcc
	v_add_co_u32_e32 v0, vcc, v5, v1
	v_mov_b32_e32 v7, 0
	v_addc_co_u32_e32 v1, vcc, 0, v6, vcc
	global_store_dwordx4 v7, v[0:3], s[44:45]
	s_endpgm
.LBB1679_375:
	s_add_i32 s6, s6, 64
	s_mov_b32 s7, 0
	s_lshl_b64 s[6:7], s[6:7], 4
	s_add_u32 s6, s12, s6
	s_addc_u32 s7, s13, s7
	v_mov_b32_e32 v24, s7
	v_add_u32_e32 v6, v4, v2
	v_add_u32_e32 v5, v3, v1
	v_mov_b32_e32 v7, 2
	v_mov_b32_e32 v8, 0
	v_mov_b32_e32 v23, s6
	;;#ASMSTART
	global_store_dwordx4 v[23:24], v[5:8] off	
s_waitcnt vmcnt(0)
	;;#ASMEND
	s_or_b64 exec, exec, s[14:15]
	s_and_saveexec_b64 s[6:7], s[8:9]
	s_cbranch_execz .LBB1679_135
.LBB1679_376:
	v_mov_b32_e32 v5, 0
	ds_write_b128 v5, v[1:4] offset:13312
	s_or_b64 exec, exec, s[6:7]
	v_cmp_eq_u32_e32 vcc, 0, v0
	s_and_b64 exec, exec, vcc
	s_cbranch_execnz .LBB1679_136
	s_branch .LBB1679_137
	.section	.rodata,"a",@progbits
	.p2align	6, 0x0
	.amdhsa_kernel _ZN7rocprim17ROCPRIM_400000_NS6detail17trampoline_kernelINS0_13select_configILj256ELj13ELNS0_17block_load_methodE3ELS4_3ELS4_3ELNS0_20block_scan_algorithmE0ELj4294967295EEENS1_25partition_config_selectorILNS1_17partition_subalgoE4EjNS0_10empty_typeEbEEZZNS1_14partition_implILS8_4ELb0ES6_15HIP_vector_typeIjLj2EENS0_17counting_iteratorIjlEEPS9_SG_NS0_5tupleIJPjSI_NS0_16reverse_iteratorISI_EEEEENSH_IJSG_SG_SG_EEES9_SI_JZNS1_25segmented_radix_sort_implINS0_14default_configELb1EPK6__halfPSP_PKlPlN2at6native12_GLOBAL__N_18offset_tEEE10hipError_tPvRmT1_PNSt15iterator_traitsIS13_E10value_typeET2_T3_PNS14_IS19_E10value_typeET4_jRbjT5_S1F_jjP12ihipStream_tbEUljE_ZNSN_ISO_Lb1ESR_SS_SU_SV_SZ_EES10_S11_S12_S13_S17_S18_S19_S1C_S1D_jS1E_jS1F_S1F_jjS1H_bEUljE0_EEES10_S11_S12_S19_S1D_S1F_T6_T7_T9_mT8_S1H_bDpT10_ENKUlT_T0_E_clISt17integral_constantIbLb0EES1V_EEDaS1Q_S1R_EUlS1Q_E_NS1_11comp_targetILNS1_3genE2ELNS1_11target_archE906ELNS1_3gpuE6ELNS1_3repE0EEENS1_30default_config_static_selectorELNS0_4arch9wavefront6targetE1EEEvS13_
		.amdhsa_group_segment_fixed_size 13328
		.amdhsa_private_segment_fixed_size 0
		.amdhsa_kernarg_size 176
		.amdhsa_user_sgpr_count 6
		.amdhsa_user_sgpr_private_segment_buffer 1
		.amdhsa_user_sgpr_dispatch_ptr 0
		.amdhsa_user_sgpr_queue_ptr 0
		.amdhsa_user_sgpr_kernarg_segment_ptr 1
		.amdhsa_user_sgpr_dispatch_id 0
		.amdhsa_user_sgpr_flat_scratch_init 0
		.amdhsa_user_sgpr_private_segment_size 0
		.amdhsa_uses_dynamic_stack 0
		.amdhsa_system_sgpr_private_segment_wavefront_offset 0
		.amdhsa_system_sgpr_workgroup_id_x 1
		.amdhsa_system_sgpr_workgroup_id_y 0
		.amdhsa_system_sgpr_workgroup_id_z 0
		.amdhsa_system_sgpr_workgroup_info 0
		.amdhsa_system_vgpr_workitem_id 0
		.amdhsa_next_free_vgpr 86
		.amdhsa_next_free_sgpr 98
		.amdhsa_reserve_vcc 1
		.amdhsa_reserve_flat_scratch 0
		.amdhsa_float_round_mode_32 0
		.amdhsa_float_round_mode_16_64 0
		.amdhsa_float_denorm_mode_32 3
		.amdhsa_float_denorm_mode_16_64 3
		.amdhsa_dx10_clamp 1
		.amdhsa_ieee_mode 1
		.amdhsa_fp16_overflow 0
		.amdhsa_exception_fp_ieee_invalid_op 0
		.amdhsa_exception_fp_denorm_src 0
		.amdhsa_exception_fp_ieee_div_zero 0
		.amdhsa_exception_fp_ieee_overflow 0
		.amdhsa_exception_fp_ieee_underflow 0
		.amdhsa_exception_fp_ieee_inexact 0
		.amdhsa_exception_int_div_zero 0
	.end_amdhsa_kernel
	.section	.text._ZN7rocprim17ROCPRIM_400000_NS6detail17trampoline_kernelINS0_13select_configILj256ELj13ELNS0_17block_load_methodE3ELS4_3ELS4_3ELNS0_20block_scan_algorithmE0ELj4294967295EEENS1_25partition_config_selectorILNS1_17partition_subalgoE4EjNS0_10empty_typeEbEEZZNS1_14partition_implILS8_4ELb0ES6_15HIP_vector_typeIjLj2EENS0_17counting_iteratorIjlEEPS9_SG_NS0_5tupleIJPjSI_NS0_16reverse_iteratorISI_EEEEENSH_IJSG_SG_SG_EEES9_SI_JZNS1_25segmented_radix_sort_implINS0_14default_configELb1EPK6__halfPSP_PKlPlN2at6native12_GLOBAL__N_18offset_tEEE10hipError_tPvRmT1_PNSt15iterator_traitsIS13_E10value_typeET2_T3_PNS14_IS19_E10value_typeET4_jRbjT5_S1F_jjP12ihipStream_tbEUljE_ZNSN_ISO_Lb1ESR_SS_SU_SV_SZ_EES10_S11_S12_S13_S17_S18_S19_S1C_S1D_jS1E_jS1F_S1F_jjS1H_bEUljE0_EEES10_S11_S12_S19_S1D_S1F_T6_T7_T9_mT8_S1H_bDpT10_ENKUlT_T0_E_clISt17integral_constantIbLb0EES1V_EEDaS1Q_S1R_EUlS1Q_E_NS1_11comp_targetILNS1_3genE2ELNS1_11target_archE906ELNS1_3gpuE6ELNS1_3repE0EEENS1_30default_config_static_selectorELNS0_4arch9wavefront6targetE1EEEvS13_,"axG",@progbits,_ZN7rocprim17ROCPRIM_400000_NS6detail17trampoline_kernelINS0_13select_configILj256ELj13ELNS0_17block_load_methodE3ELS4_3ELS4_3ELNS0_20block_scan_algorithmE0ELj4294967295EEENS1_25partition_config_selectorILNS1_17partition_subalgoE4EjNS0_10empty_typeEbEEZZNS1_14partition_implILS8_4ELb0ES6_15HIP_vector_typeIjLj2EENS0_17counting_iteratorIjlEEPS9_SG_NS0_5tupleIJPjSI_NS0_16reverse_iteratorISI_EEEEENSH_IJSG_SG_SG_EEES9_SI_JZNS1_25segmented_radix_sort_implINS0_14default_configELb1EPK6__halfPSP_PKlPlN2at6native12_GLOBAL__N_18offset_tEEE10hipError_tPvRmT1_PNSt15iterator_traitsIS13_E10value_typeET2_T3_PNS14_IS19_E10value_typeET4_jRbjT5_S1F_jjP12ihipStream_tbEUljE_ZNSN_ISO_Lb1ESR_SS_SU_SV_SZ_EES10_S11_S12_S13_S17_S18_S19_S1C_S1D_jS1E_jS1F_S1F_jjS1H_bEUljE0_EEES10_S11_S12_S19_S1D_S1F_T6_T7_T9_mT8_S1H_bDpT10_ENKUlT_T0_E_clISt17integral_constantIbLb0EES1V_EEDaS1Q_S1R_EUlS1Q_E_NS1_11comp_targetILNS1_3genE2ELNS1_11target_archE906ELNS1_3gpuE6ELNS1_3repE0EEENS1_30default_config_static_selectorELNS0_4arch9wavefront6targetE1EEEvS13_,comdat
.Lfunc_end1679:
	.size	_ZN7rocprim17ROCPRIM_400000_NS6detail17trampoline_kernelINS0_13select_configILj256ELj13ELNS0_17block_load_methodE3ELS4_3ELS4_3ELNS0_20block_scan_algorithmE0ELj4294967295EEENS1_25partition_config_selectorILNS1_17partition_subalgoE4EjNS0_10empty_typeEbEEZZNS1_14partition_implILS8_4ELb0ES6_15HIP_vector_typeIjLj2EENS0_17counting_iteratorIjlEEPS9_SG_NS0_5tupleIJPjSI_NS0_16reverse_iteratorISI_EEEEENSH_IJSG_SG_SG_EEES9_SI_JZNS1_25segmented_radix_sort_implINS0_14default_configELb1EPK6__halfPSP_PKlPlN2at6native12_GLOBAL__N_18offset_tEEE10hipError_tPvRmT1_PNSt15iterator_traitsIS13_E10value_typeET2_T3_PNS14_IS19_E10value_typeET4_jRbjT5_S1F_jjP12ihipStream_tbEUljE_ZNSN_ISO_Lb1ESR_SS_SU_SV_SZ_EES10_S11_S12_S13_S17_S18_S19_S1C_S1D_jS1E_jS1F_S1F_jjS1H_bEUljE0_EEES10_S11_S12_S19_S1D_S1F_T6_T7_T9_mT8_S1H_bDpT10_ENKUlT_T0_E_clISt17integral_constantIbLb0EES1V_EEDaS1Q_S1R_EUlS1Q_E_NS1_11comp_targetILNS1_3genE2ELNS1_11target_archE906ELNS1_3gpuE6ELNS1_3repE0EEENS1_30default_config_static_selectorELNS0_4arch9wavefront6targetE1EEEvS13_, .Lfunc_end1679-_ZN7rocprim17ROCPRIM_400000_NS6detail17trampoline_kernelINS0_13select_configILj256ELj13ELNS0_17block_load_methodE3ELS4_3ELS4_3ELNS0_20block_scan_algorithmE0ELj4294967295EEENS1_25partition_config_selectorILNS1_17partition_subalgoE4EjNS0_10empty_typeEbEEZZNS1_14partition_implILS8_4ELb0ES6_15HIP_vector_typeIjLj2EENS0_17counting_iteratorIjlEEPS9_SG_NS0_5tupleIJPjSI_NS0_16reverse_iteratorISI_EEEEENSH_IJSG_SG_SG_EEES9_SI_JZNS1_25segmented_radix_sort_implINS0_14default_configELb1EPK6__halfPSP_PKlPlN2at6native12_GLOBAL__N_18offset_tEEE10hipError_tPvRmT1_PNSt15iterator_traitsIS13_E10value_typeET2_T3_PNS14_IS19_E10value_typeET4_jRbjT5_S1F_jjP12ihipStream_tbEUljE_ZNSN_ISO_Lb1ESR_SS_SU_SV_SZ_EES10_S11_S12_S13_S17_S18_S19_S1C_S1D_jS1E_jS1F_S1F_jjS1H_bEUljE0_EEES10_S11_S12_S19_S1D_S1F_T6_T7_T9_mT8_S1H_bDpT10_ENKUlT_T0_E_clISt17integral_constantIbLb0EES1V_EEDaS1Q_S1R_EUlS1Q_E_NS1_11comp_targetILNS1_3genE2ELNS1_11target_archE906ELNS1_3gpuE6ELNS1_3repE0EEENS1_30default_config_static_selectorELNS0_4arch9wavefront6targetE1EEEvS13_
                                        ; -- End function
	.set _ZN7rocprim17ROCPRIM_400000_NS6detail17trampoline_kernelINS0_13select_configILj256ELj13ELNS0_17block_load_methodE3ELS4_3ELS4_3ELNS0_20block_scan_algorithmE0ELj4294967295EEENS1_25partition_config_selectorILNS1_17partition_subalgoE4EjNS0_10empty_typeEbEEZZNS1_14partition_implILS8_4ELb0ES6_15HIP_vector_typeIjLj2EENS0_17counting_iteratorIjlEEPS9_SG_NS0_5tupleIJPjSI_NS0_16reverse_iteratorISI_EEEEENSH_IJSG_SG_SG_EEES9_SI_JZNS1_25segmented_radix_sort_implINS0_14default_configELb1EPK6__halfPSP_PKlPlN2at6native12_GLOBAL__N_18offset_tEEE10hipError_tPvRmT1_PNSt15iterator_traitsIS13_E10value_typeET2_T3_PNS14_IS19_E10value_typeET4_jRbjT5_S1F_jjP12ihipStream_tbEUljE_ZNSN_ISO_Lb1ESR_SS_SU_SV_SZ_EES10_S11_S12_S13_S17_S18_S19_S1C_S1D_jS1E_jS1F_S1F_jjS1H_bEUljE0_EEES10_S11_S12_S19_S1D_S1F_T6_T7_T9_mT8_S1H_bDpT10_ENKUlT_T0_E_clISt17integral_constantIbLb0EES1V_EEDaS1Q_S1R_EUlS1Q_E_NS1_11comp_targetILNS1_3genE2ELNS1_11target_archE906ELNS1_3gpuE6ELNS1_3repE0EEENS1_30default_config_static_selectorELNS0_4arch9wavefront6targetE1EEEvS13_.num_vgpr, 86
	.set _ZN7rocprim17ROCPRIM_400000_NS6detail17trampoline_kernelINS0_13select_configILj256ELj13ELNS0_17block_load_methodE3ELS4_3ELS4_3ELNS0_20block_scan_algorithmE0ELj4294967295EEENS1_25partition_config_selectorILNS1_17partition_subalgoE4EjNS0_10empty_typeEbEEZZNS1_14partition_implILS8_4ELb0ES6_15HIP_vector_typeIjLj2EENS0_17counting_iteratorIjlEEPS9_SG_NS0_5tupleIJPjSI_NS0_16reverse_iteratorISI_EEEEENSH_IJSG_SG_SG_EEES9_SI_JZNS1_25segmented_radix_sort_implINS0_14default_configELb1EPK6__halfPSP_PKlPlN2at6native12_GLOBAL__N_18offset_tEEE10hipError_tPvRmT1_PNSt15iterator_traitsIS13_E10value_typeET2_T3_PNS14_IS19_E10value_typeET4_jRbjT5_S1F_jjP12ihipStream_tbEUljE_ZNSN_ISO_Lb1ESR_SS_SU_SV_SZ_EES10_S11_S12_S13_S17_S18_S19_S1C_S1D_jS1E_jS1F_S1F_jjS1H_bEUljE0_EEES10_S11_S12_S19_S1D_S1F_T6_T7_T9_mT8_S1H_bDpT10_ENKUlT_T0_E_clISt17integral_constantIbLb0EES1V_EEDaS1Q_S1R_EUlS1Q_E_NS1_11comp_targetILNS1_3genE2ELNS1_11target_archE906ELNS1_3gpuE6ELNS1_3repE0EEENS1_30default_config_static_selectorELNS0_4arch9wavefront6targetE1EEEvS13_.num_agpr, 0
	.set _ZN7rocprim17ROCPRIM_400000_NS6detail17trampoline_kernelINS0_13select_configILj256ELj13ELNS0_17block_load_methodE3ELS4_3ELS4_3ELNS0_20block_scan_algorithmE0ELj4294967295EEENS1_25partition_config_selectorILNS1_17partition_subalgoE4EjNS0_10empty_typeEbEEZZNS1_14partition_implILS8_4ELb0ES6_15HIP_vector_typeIjLj2EENS0_17counting_iteratorIjlEEPS9_SG_NS0_5tupleIJPjSI_NS0_16reverse_iteratorISI_EEEEENSH_IJSG_SG_SG_EEES9_SI_JZNS1_25segmented_radix_sort_implINS0_14default_configELb1EPK6__halfPSP_PKlPlN2at6native12_GLOBAL__N_18offset_tEEE10hipError_tPvRmT1_PNSt15iterator_traitsIS13_E10value_typeET2_T3_PNS14_IS19_E10value_typeET4_jRbjT5_S1F_jjP12ihipStream_tbEUljE_ZNSN_ISO_Lb1ESR_SS_SU_SV_SZ_EES10_S11_S12_S13_S17_S18_S19_S1C_S1D_jS1E_jS1F_S1F_jjS1H_bEUljE0_EEES10_S11_S12_S19_S1D_S1F_T6_T7_T9_mT8_S1H_bDpT10_ENKUlT_T0_E_clISt17integral_constantIbLb0EES1V_EEDaS1Q_S1R_EUlS1Q_E_NS1_11comp_targetILNS1_3genE2ELNS1_11target_archE906ELNS1_3gpuE6ELNS1_3repE0EEENS1_30default_config_static_selectorELNS0_4arch9wavefront6targetE1EEEvS13_.numbered_sgpr, 90
	.set _ZN7rocprim17ROCPRIM_400000_NS6detail17trampoline_kernelINS0_13select_configILj256ELj13ELNS0_17block_load_methodE3ELS4_3ELS4_3ELNS0_20block_scan_algorithmE0ELj4294967295EEENS1_25partition_config_selectorILNS1_17partition_subalgoE4EjNS0_10empty_typeEbEEZZNS1_14partition_implILS8_4ELb0ES6_15HIP_vector_typeIjLj2EENS0_17counting_iteratorIjlEEPS9_SG_NS0_5tupleIJPjSI_NS0_16reverse_iteratorISI_EEEEENSH_IJSG_SG_SG_EEES9_SI_JZNS1_25segmented_radix_sort_implINS0_14default_configELb1EPK6__halfPSP_PKlPlN2at6native12_GLOBAL__N_18offset_tEEE10hipError_tPvRmT1_PNSt15iterator_traitsIS13_E10value_typeET2_T3_PNS14_IS19_E10value_typeET4_jRbjT5_S1F_jjP12ihipStream_tbEUljE_ZNSN_ISO_Lb1ESR_SS_SU_SV_SZ_EES10_S11_S12_S13_S17_S18_S19_S1C_S1D_jS1E_jS1F_S1F_jjS1H_bEUljE0_EEES10_S11_S12_S19_S1D_S1F_T6_T7_T9_mT8_S1H_bDpT10_ENKUlT_T0_E_clISt17integral_constantIbLb0EES1V_EEDaS1Q_S1R_EUlS1Q_E_NS1_11comp_targetILNS1_3genE2ELNS1_11target_archE906ELNS1_3gpuE6ELNS1_3repE0EEENS1_30default_config_static_selectorELNS0_4arch9wavefront6targetE1EEEvS13_.num_named_barrier, 0
	.set _ZN7rocprim17ROCPRIM_400000_NS6detail17trampoline_kernelINS0_13select_configILj256ELj13ELNS0_17block_load_methodE3ELS4_3ELS4_3ELNS0_20block_scan_algorithmE0ELj4294967295EEENS1_25partition_config_selectorILNS1_17partition_subalgoE4EjNS0_10empty_typeEbEEZZNS1_14partition_implILS8_4ELb0ES6_15HIP_vector_typeIjLj2EENS0_17counting_iteratorIjlEEPS9_SG_NS0_5tupleIJPjSI_NS0_16reverse_iteratorISI_EEEEENSH_IJSG_SG_SG_EEES9_SI_JZNS1_25segmented_radix_sort_implINS0_14default_configELb1EPK6__halfPSP_PKlPlN2at6native12_GLOBAL__N_18offset_tEEE10hipError_tPvRmT1_PNSt15iterator_traitsIS13_E10value_typeET2_T3_PNS14_IS19_E10value_typeET4_jRbjT5_S1F_jjP12ihipStream_tbEUljE_ZNSN_ISO_Lb1ESR_SS_SU_SV_SZ_EES10_S11_S12_S13_S17_S18_S19_S1C_S1D_jS1E_jS1F_S1F_jjS1H_bEUljE0_EEES10_S11_S12_S19_S1D_S1F_T6_T7_T9_mT8_S1H_bDpT10_ENKUlT_T0_E_clISt17integral_constantIbLb0EES1V_EEDaS1Q_S1R_EUlS1Q_E_NS1_11comp_targetILNS1_3genE2ELNS1_11target_archE906ELNS1_3gpuE6ELNS1_3repE0EEENS1_30default_config_static_selectorELNS0_4arch9wavefront6targetE1EEEvS13_.private_seg_size, 0
	.set _ZN7rocprim17ROCPRIM_400000_NS6detail17trampoline_kernelINS0_13select_configILj256ELj13ELNS0_17block_load_methodE3ELS4_3ELS4_3ELNS0_20block_scan_algorithmE0ELj4294967295EEENS1_25partition_config_selectorILNS1_17partition_subalgoE4EjNS0_10empty_typeEbEEZZNS1_14partition_implILS8_4ELb0ES6_15HIP_vector_typeIjLj2EENS0_17counting_iteratorIjlEEPS9_SG_NS0_5tupleIJPjSI_NS0_16reverse_iteratorISI_EEEEENSH_IJSG_SG_SG_EEES9_SI_JZNS1_25segmented_radix_sort_implINS0_14default_configELb1EPK6__halfPSP_PKlPlN2at6native12_GLOBAL__N_18offset_tEEE10hipError_tPvRmT1_PNSt15iterator_traitsIS13_E10value_typeET2_T3_PNS14_IS19_E10value_typeET4_jRbjT5_S1F_jjP12ihipStream_tbEUljE_ZNSN_ISO_Lb1ESR_SS_SU_SV_SZ_EES10_S11_S12_S13_S17_S18_S19_S1C_S1D_jS1E_jS1F_S1F_jjS1H_bEUljE0_EEES10_S11_S12_S19_S1D_S1F_T6_T7_T9_mT8_S1H_bDpT10_ENKUlT_T0_E_clISt17integral_constantIbLb0EES1V_EEDaS1Q_S1R_EUlS1Q_E_NS1_11comp_targetILNS1_3genE2ELNS1_11target_archE906ELNS1_3gpuE6ELNS1_3repE0EEENS1_30default_config_static_selectorELNS0_4arch9wavefront6targetE1EEEvS13_.uses_vcc, 1
	.set _ZN7rocprim17ROCPRIM_400000_NS6detail17trampoline_kernelINS0_13select_configILj256ELj13ELNS0_17block_load_methodE3ELS4_3ELS4_3ELNS0_20block_scan_algorithmE0ELj4294967295EEENS1_25partition_config_selectorILNS1_17partition_subalgoE4EjNS0_10empty_typeEbEEZZNS1_14partition_implILS8_4ELb0ES6_15HIP_vector_typeIjLj2EENS0_17counting_iteratorIjlEEPS9_SG_NS0_5tupleIJPjSI_NS0_16reverse_iteratorISI_EEEEENSH_IJSG_SG_SG_EEES9_SI_JZNS1_25segmented_radix_sort_implINS0_14default_configELb1EPK6__halfPSP_PKlPlN2at6native12_GLOBAL__N_18offset_tEEE10hipError_tPvRmT1_PNSt15iterator_traitsIS13_E10value_typeET2_T3_PNS14_IS19_E10value_typeET4_jRbjT5_S1F_jjP12ihipStream_tbEUljE_ZNSN_ISO_Lb1ESR_SS_SU_SV_SZ_EES10_S11_S12_S13_S17_S18_S19_S1C_S1D_jS1E_jS1F_S1F_jjS1H_bEUljE0_EEES10_S11_S12_S19_S1D_S1F_T6_T7_T9_mT8_S1H_bDpT10_ENKUlT_T0_E_clISt17integral_constantIbLb0EES1V_EEDaS1Q_S1R_EUlS1Q_E_NS1_11comp_targetILNS1_3genE2ELNS1_11target_archE906ELNS1_3gpuE6ELNS1_3repE0EEENS1_30default_config_static_selectorELNS0_4arch9wavefront6targetE1EEEvS13_.uses_flat_scratch, 0
	.set _ZN7rocprim17ROCPRIM_400000_NS6detail17trampoline_kernelINS0_13select_configILj256ELj13ELNS0_17block_load_methodE3ELS4_3ELS4_3ELNS0_20block_scan_algorithmE0ELj4294967295EEENS1_25partition_config_selectorILNS1_17partition_subalgoE4EjNS0_10empty_typeEbEEZZNS1_14partition_implILS8_4ELb0ES6_15HIP_vector_typeIjLj2EENS0_17counting_iteratorIjlEEPS9_SG_NS0_5tupleIJPjSI_NS0_16reverse_iteratorISI_EEEEENSH_IJSG_SG_SG_EEES9_SI_JZNS1_25segmented_radix_sort_implINS0_14default_configELb1EPK6__halfPSP_PKlPlN2at6native12_GLOBAL__N_18offset_tEEE10hipError_tPvRmT1_PNSt15iterator_traitsIS13_E10value_typeET2_T3_PNS14_IS19_E10value_typeET4_jRbjT5_S1F_jjP12ihipStream_tbEUljE_ZNSN_ISO_Lb1ESR_SS_SU_SV_SZ_EES10_S11_S12_S13_S17_S18_S19_S1C_S1D_jS1E_jS1F_S1F_jjS1H_bEUljE0_EEES10_S11_S12_S19_S1D_S1F_T6_T7_T9_mT8_S1H_bDpT10_ENKUlT_T0_E_clISt17integral_constantIbLb0EES1V_EEDaS1Q_S1R_EUlS1Q_E_NS1_11comp_targetILNS1_3genE2ELNS1_11target_archE906ELNS1_3gpuE6ELNS1_3repE0EEENS1_30default_config_static_selectorELNS0_4arch9wavefront6targetE1EEEvS13_.has_dyn_sized_stack, 0
	.set _ZN7rocprim17ROCPRIM_400000_NS6detail17trampoline_kernelINS0_13select_configILj256ELj13ELNS0_17block_load_methodE3ELS4_3ELS4_3ELNS0_20block_scan_algorithmE0ELj4294967295EEENS1_25partition_config_selectorILNS1_17partition_subalgoE4EjNS0_10empty_typeEbEEZZNS1_14partition_implILS8_4ELb0ES6_15HIP_vector_typeIjLj2EENS0_17counting_iteratorIjlEEPS9_SG_NS0_5tupleIJPjSI_NS0_16reverse_iteratorISI_EEEEENSH_IJSG_SG_SG_EEES9_SI_JZNS1_25segmented_radix_sort_implINS0_14default_configELb1EPK6__halfPSP_PKlPlN2at6native12_GLOBAL__N_18offset_tEEE10hipError_tPvRmT1_PNSt15iterator_traitsIS13_E10value_typeET2_T3_PNS14_IS19_E10value_typeET4_jRbjT5_S1F_jjP12ihipStream_tbEUljE_ZNSN_ISO_Lb1ESR_SS_SU_SV_SZ_EES10_S11_S12_S13_S17_S18_S19_S1C_S1D_jS1E_jS1F_S1F_jjS1H_bEUljE0_EEES10_S11_S12_S19_S1D_S1F_T6_T7_T9_mT8_S1H_bDpT10_ENKUlT_T0_E_clISt17integral_constantIbLb0EES1V_EEDaS1Q_S1R_EUlS1Q_E_NS1_11comp_targetILNS1_3genE2ELNS1_11target_archE906ELNS1_3gpuE6ELNS1_3repE0EEENS1_30default_config_static_selectorELNS0_4arch9wavefront6targetE1EEEvS13_.has_recursion, 0
	.set _ZN7rocprim17ROCPRIM_400000_NS6detail17trampoline_kernelINS0_13select_configILj256ELj13ELNS0_17block_load_methodE3ELS4_3ELS4_3ELNS0_20block_scan_algorithmE0ELj4294967295EEENS1_25partition_config_selectorILNS1_17partition_subalgoE4EjNS0_10empty_typeEbEEZZNS1_14partition_implILS8_4ELb0ES6_15HIP_vector_typeIjLj2EENS0_17counting_iteratorIjlEEPS9_SG_NS0_5tupleIJPjSI_NS0_16reverse_iteratorISI_EEEEENSH_IJSG_SG_SG_EEES9_SI_JZNS1_25segmented_radix_sort_implINS0_14default_configELb1EPK6__halfPSP_PKlPlN2at6native12_GLOBAL__N_18offset_tEEE10hipError_tPvRmT1_PNSt15iterator_traitsIS13_E10value_typeET2_T3_PNS14_IS19_E10value_typeET4_jRbjT5_S1F_jjP12ihipStream_tbEUljE_ZNSN_ISO_Lb1ESR_SS_SU_SV_SZ_EES10_S11_S12_S13_S17_S18_S19_S1C_S1D_jS1E_jS1F_S1F_jjS1H_bEUljE0_EEES10_S11_S12_S19_S1D_S1F_T6_T7_T9_mT8_S1H_bDpT10_ENKUlT_T0_E_clISt17integral_constantIbLb0EES1V_EEDaS1Q_S1R_EUlS1Q_E_NS1_11comp_targetILNS1_3genE2ELNS1_11target_archE906ELNS1_3gpuE6ELNS1_3repE0EEENS1_30default_config_static_selectorELNS0_4arch9wavefront6targetE1EEEvS13_.has_indirect_call, 0
	.section	.AMDGPU.csdata,"",@progbits
; Kernel info:
; codeLenInByte = 15480
; TotalNumSgprs: 94
; NumVgprs: 86
; ScratchSize: 0
; MemoryBound: 0
; FloatMode: 240
; IeeeMode: 1
; LDSByteSize: 13328 bytes/workgroup (compile time only)
; SGPRBlocks: 12
; VGPRBlocks: 21
; NumSGPRsForWavesPerEU: 102
; NumVGPRsForWavesPerEU: 86
; Occupancy: 2
; WaveLimiterHint : 1
; COMPUTE_PGM_RSRC2:SCRATCH_EN: 0
; COMPUTE_PGM_RSRC2:USER_SGPR: 6
; COMPUTE_PGM_RSRC2:TRAP_HANDLER: 0
; COMPUTE_PGM_RSRC2:TGID_X_EN: 1
; COMPUTE_PGM_RSRC2:TGID_Y_EN: 0
; COMPUTE_PGM_RSRC2:TGID_Z_EN: 0
; COMPUTE_PGM_RSRC2:TIDIG_COMP_CNT: 0
	.section	.text._ZN7rocprim17ROCPRIM_400000_NS6detail17trampoline_kernelINS0_13select_configILj256ELj13ELNS0_17block_load_methodE3ELS4_3ELS4_3ELNS0_20block_scan_algorithmE0ELj4294967295EEENS1_25partition_config_selectorILNS1_17partition_subalgoE4EjNS0_10empty_typeEbEEZZNS1_14partition_implILS8_4ELb0ES6_15HIP_vector_typeIjLj2EENS0_17counting_iteratorIjlEEPS9_SG_NS0_5tupleIJPjSI_NS0_16reverse_iteratorISI_EEEEENSH_IJSG_SG_SG_EEES9_SI_JZNS1_25segmented_radix_sort_implINS0_14default_configELb1EPK6__halfPSP_PKlPlN2at6native12_GLOBAL__N_18offset_tEEE10hipError_tPvRmT1_PNSt15iterator_traitsIS13_E10value_typeET2_T3_PNS14_IS19_E10value_typeET4_jRbjT5_S1F_jjP12ihipStream_tbEUljE_ZNSN_ISO_Lb1ESR_SS_SU_SV_SZ_EES10_S11_S12_S13_S17_S18_S19_S1C_S1D_jS1E_jS1F_S1F_jjS1H_bEUljE0_EEES10_S11_S12_S19_S1D_S1F_T6_T7_T9_mT8_S1H_bDpT10_ENKUlT_T0_E_clISt17integral_constantIbLb0EES1V_EEDaS1Q_S1R_EUlS1Q_E_NS1_11comp_targetILNS1_3genE10ELNS1_11target_archE1200ELNS1_3gpuE4ELNS1_3repE0EEENS1_30default_config_static_selectorELNS0_4arch9wavefront6targetE1EEEvS13_,"axG",@progbits,_ZN7rocprim17ROCPRIM_400000_NS6detail17trampoline_kernelINS0_13select_configILj256ELj13ELNS0_17block_load_methodE3ELS4_3ELS4_3ELNS0_20block_scan_algorithmE0ELj4294967295EEENS1_25partition_config_selectorILNS1_17partition_subalgoE4EjNS0_10empty_typeEbEEZZNS1_14partition_implILS8_4ELb0ES6_15HIP_vector_typeIjLj2EENS0_17counting_iteratorIjlEEPS9_SG_NS0_5tupleIJPjSI_NS0_16reverse_iteratorISI_EEEEENSH_IJSG_SG_SG_EEES9_SI_JZNS1_25segmented_radix_sort_implINS0_14default_configELb1EPK6__halfPSP_PKlPlN2at6native12_GLOBAL__N_18offset_tEEE10hipError_tPvRmT1_PNSt15iterator_traitsIS13_E10value_typeET2_T3_PNS14_IS19_E10value_typeET4_jRbjT5_S1F_jjP12ihipStream_tbEUljE_ZNSN_ISO_Lb1ESR_SS_SU_SV_SZ_EES10_S11_S12_S13_S17_S18_S19_S1C_S1D_jS1E_jS1F_S1F_jjS1H_bEUljE0_EEES10_S11_S12_S19_S1D_S1F_T6_T7_T9_mT8_S1H_bDpT10_ENKUlT_T0_E_clISt17integral_constantIbLb0EES1V_EEDaS1Q_S1R_EUlS1Q_E_NS1_11comp_targetILNS1_3genE10ELNS1_11target_archE1200ELNS1_3gpuE4ELNS1_3repE0EEENS1_30default_config_static_selectorELNS0_4arch9wavefront6targetE1EEEvS13_,comdat
	.globl	_ZN7rocprim17ROCPRIM_400000_NS6detail17trampoline_kernelINS0_13select_configILj256ELj13ELNS0_17block_load_methodE3ELS4_3ELS4_3ELNS0_20block_scan_algorithmE0ELj4294967295EEENS1_25partition_config_selectorILNS1_17partition_subalgoE4EjNS0_10empty_typeEbEEZZNS1_14partition_implILS8_4ELb0ES6_15HIP_vector_typeIjLj2EENS0_17counting_iteratorIjlEEPS9_SG_NS0_5tupleIJPjSI_NS0_16reverse_iteratorISI_EEEEENSH_IJSG_SG_SG_EEES9_SI_JZNS1_25segmented_radix_sort_implINS0_14default_configELb1EPK6__halfPSP_PKlPlN2at6native12_GLOBAL__N_18offset_tEEE10hipError_tPvRmT1_PNSt15iterator_traitsIS13_E10value_typeET2_T3_PNS14_IS19_E10value_typeET4_jRbjT5_S1F_jjP12ihipStream_tbEUljE_ZNSN_ISO_Lb1ESR_SS_SU_SV_SZ_EES10_S11_S12_S13_S17_S18_S19_S1C_S1D_jS1E_jS1F_S1F_jjS1H_bEUljE0_EEES10_S11_S12_S19_S1D_S1F_T6_T7_T9_mT8_S1H_bDpT10_ENKUlT_T0_E_clISt17integral_constantIbLb0EES1V_EEDaS1Q_S1R_EUlS1Q_E_NS1_11comp_targetILNS1_3genE10ELNS1_11target_archE1200ELNS1_3gpuE4ELNS1_3repE0EEENS1_30default_config_static_selectorELNS0_4arch9wavefront6targetE1EEEvS13_ ; -- Begin function _ZN7rocprim17ROCPRIM_400000_NS6detail17trampoline_kernelINS0_13select_configILj256ELj13ELNS0_17block_load_methodE3ELS4_3ELS4_3ELNS0_20block_scan_algorithmE0ELj4294967295EEENS1_25partition_config_selectorILNS1_17partition_subalgoE4EjNS0_10empty_typeEbEEZZNS1_14partition_implILS8_4ELb0ES6_15HIP_vector_typeIjLj2EENS0_17counting_iteratorIjlEEPS9_SG_NS0_5tupleIJPjSI_NS0_16reverse_iteratorISI_EEEEENSH_IJSG_SG_SG_EEES9_SI_JZNS1_25segmented_radix_sort_implINS0_14default_configELb1EPK6__halfPSP_PKlPlN2at6native12_GLOBAL__N_18offset_tEEE10hipError_tPvRmT1_PNSt15iterator_traitsIS13_E10value_typeET2_T3_PNS14_IS19_E10value_typeET4_jRbjT5_S1F_jjP12ihipStream_tbEUljE_ZNSN_ISO_Lb1ESR_SS_SU_SV_SZ_EES10_S11_S12_S13_S17_S18_S19_S1C_S1D_jS1E_jS1F_S1F_jjS1H_bEUljE0_EEES10_S11_S12_S19_S1D_S1F_T6_T7_T9_mT8_S1H_bDpT10_ENKUlT_T0_E_clISt17integral_constantIbLb0EES1V_EEDaS1Q_S1R_EUlS1Q_E_NS1_11comp_targetILNS1_3genE10ELNS1_11target_archE1200ELNS1_3gpuE4ELNS1_3repE0EEENS1_30default_config_static_selectorELNS0_4arch9wavefront6targetE1EEEvS13_
	.p2align	8
	.type	_ZN7rocprim17ROCPRIM_400000_NS6detail17trampoline_kernelINS0_13select_configILj256ELj13ELNS0_17block_load_methodE3ELS4_3ELS4_3ELNS0_20block_scan_algorithmE0ELj4294967295EEENS1_25partition_config_selectorILNS1_17partition_subalgoE4EjNS0_10empty_typeEbEEZZNS1_14partition_implILS8_4ELb0ES6_15HIP_vector_typeIjLj2EENS0_17counting_iteratorIjlEEPS9_SG_NS0_5tupleIJPjSI_NS0_16reverse_iteratorISI_EEEEENSH_IJSG_SG_SG_EEES9_SI_JZNS1_25segmented_radix_sort_implINS0_14default_configELb1EPK6__halfPSP_PKlPlN2at6native12_GLOBAL__N_18offset_tEEE10hipError_tPvRmT1_PNSt15iterator_traitsIS13_E10value_typeET2_T3_PNS14_IS19_E10value_typeET4_jRbjT5_S1F_jjP12ihipStream_tbEUljE_ZNSN_ISO_Lb1ESR_SS_SU_SV_SZ_EES10_S11_S12_S13_S17_S18_S19_S1C_S1D_jS1E_jS1F_S1F_jjS1H_bEUljE0_EEES10_S11_S12_S19_S1D_S1F_T6_T7_T9_mT8_S1H_bDpT10_ENKUlT_T0_E_clISt17integral_constantIbLb0EES1V_EEDaS1Q_S1R_EUlS1Q_E_NS1_11comp_targetILNS1_3genE10ELNS1_11target_archE1200ELNS1_3gpuE4ELNS1_3repE0EEENS1_30default_config_static_selectorELNS0_4arch9wavefront6targetE1EEEvS13_,@function
_ZN7rocprim17ROCPRIM_400000_NS6detail17trampoline_kernelINS0_13select_configILj256ELj13ELNS0_17block_load_methodE3ELS4_3ELS4_3ELNS0_20block_scan_algorithmE0ELj4294967295EEENS1_25partition_config_selectorILNS1_17partition_subalgoE4EjNS0_10empty_typeEbEEZZNS1_14partition_implILS8_4ELb0ES6_15HIP_vector_typeIjLj2EENS0_17counting_iteratorIjlEEPS9_SG_NS0_5tupleIJPjSI_NS0_16reverse_iteratorISI_EEEEENSH_IJSG_SG_SG_EEES9_SI_JZNS1_25segmented_radix_sort_implINS0_14default_configELb1EPK6__halfPSP_PKlPlN2at6native12_GLOBAL__N_18offset_tEEE10hipError_tPvRmT1_PNSt15iterator_traitsIS13_E10value_typeET2_T3_PNS14_IS19_E10value_typeET4_jRbjT5_S1F_jjP12ihipStream_tbEUljE_ZNSN_ISO_Lb1ESR_SS_SU_SV_SZ_EES10_S11_S12_S13_S17_S18_S19_S1C_S1D_jS1E_jS1F_S1F_jjS1H_bEUljE0_EEES10_S11_S12_S19_S1D_S1F_T6_T7_T9_mT8_S1H_bDpT10_ENKUlT_T0_E_clISt17integral_constantIbLb0EES1V_EEDaS1Q_S1R_EUlS1Q_E_NS1_11comp_targetILNS1_3genE10ELNS1_11target_archE1200ELNS1_3gpuE4ELNS1_3repE0EEENS1_30default_config_static_selectorELNS0_4arch9wavefront6targetE1EEEvS13_: ; @_ZN7rocprim17ROCPRIM_400000_NS6detail17trampoline_kernelINS0_13select_configILj256ELj13ELNS0_17block_load_methodE3ELS4_3ELS4_3ELNS0_20block_scan_algorithmE0ELj4294967295EEENS1_25partition_config_selectorILNS1_17partition_subalgoE4EjNS0_10empty_typeEbEEZZNS1_14partition_implILS8_4ELb0ES6_15HIP_vector_typeIjLj2EENS0_17counting_iteratorIjlEEPS9_SG_NS0_5tupleIJPjSI_NS0_16reverse_iteratorISI_EEEEENSH_IJSG_SG_SG_EEES9_SI_JZNS1_25segmented_radix_sort_implINS0_14default_configELb1EPK6__halfPSP_PKlPlN2at6native12_GLOBAL__N_18offset_tEEE10hipError_tPvRmT1_PNSt15iterator_traitsIS13_E10value_typeET2_T3_PNS14_IS19_E10value_typeET4_jRbjT5_S1F_jjP12ihipStream_tbEUljE_ZNSN_ISO_Lb1ESR_SS_SU_SV_SZ_EES10_S11_S12_S13_S17_S18_S19_S1C_S1D_jS1E_jS1F_S1F_jjS1H_bEUljE0_EEES10_S11_S12_S19_S1D_S1F_T6_T7_T9_mT8_S1H_bDpT10_ENKUlT_T0_E_clISt17integral_constantIbLb0EES1V_EEDaS1Q_S1R_EUlS1Q_E_NS1_11comp_targetILNS1_3genE10ELNS1_11target_archE1200ELNS1_3gpuE4ELNS1_3repE0EEENS1_30default_config_static_selectorELNS0_4arch9wavefront6targetE1EEEvS13_
; %bb.0:
	.section	.rodata,"a",@progbits
	.p2align	6, 0x0
	.amdhsa_kernel _ZN7rocprim17ROCPRIM_400000_NS6detail17trampoline_kernelINS0_13select_configILj256ELj13ELNS0_17block_load_methodE3ELS4_3ELS4_3ELNS0_20block_scan_algorithmE0ELj4294967295EEENS1_25partition_config_selectorILNS1_17partition_subalgoE4EjNS0_10empty_typeEbEEZZNS1_14partition_implILS8_4ELb0ES6_15HIP_vector_typeIjLj2EENS0_17counting_iteratorIjlEEPS9_SG_NS0_5tupleIJPjSI_NS0_16reverse_iteratorISI_EEEEENSH_IJSG_SG_SG_EEES9_SI_JZNS1_25segmented_radix_sort_implINS0_14default_configELb1EPK6__halfPSP_PKlPlN2at6native12_GLOBAL__N_18offset_tEEE10hipError_tPvRmT1_PNSt15iterator_traitsIS13_E10value_typeET2_T3_PNS14_IS19_E10value_typeET4_jRbjT5_S1F_jjP12ihipStream_tbEUljE_ZNSN_ISO_Lb1ESR_SS_SU_SV_SZ_EES10_S11_S12_S13_S17_S18_S19_S1C_S1D_jS1E_jS1F_S1F_jjS1H_bEUljE0_EEES10_S11_S12_S19_S1D_S1F_T6_T7_T9_mT8_S1H_bDpT10_ENKUlT_T0_E_clISt17integral_constantIbLb0EES1V_EEDaS1Q_S1R_EUlS1Q_E_NS1_11comp_targetILNS1_3genE10ELNS1_11target_archE1200ELNS1_3gpuE4ELNS1_3repE0EEENS1_30default_config_static_selectorELNS0_4arch9wavefront6targetE1EEEvS13_
		.amdhsa_group_segment_fixed_size 0
		.amdhsa_private_segment_fixed_size 0
		.amdhsa_kernarg_size 176
		.amdhsa_user_sgpr_count 6
		.amdhsa_user_sgpr_private_segment_buffer 1
		.amdhsa_user_sgpr_dispatch_ptr 0
		.amdhsa_user_sgpr_queue_ptr 0
		.amdhsa_user_sgpr_kernarg_segment_ptr 1
		.amdhsa_user_sgpr_dispatch_id 0
		.amdhsa_user_sgpr_flat_scratch_init 0
		.amdhsa_user_sgpr_private_segment_size 0
		.amdhsa_uses_dynamic_stack 0
		.amdhsa_system_sgpr_private_segment_wavefront_offset 0
		.amdhsa_system_sgpr_workgroup_id_x 1
		.amdhsa_system_sgpr_workgroup_id_y 0
		.amdhsa_system_sgpr_workgroup_id_z 0
		.amdhsa_system_sgpr_workgroup_info 0
		.amdhsa_system_vgpr_workitem_id 0
		.amdhsa_next_free_vgpr 1
		.amdhsa_next_free_sgpr 0
		.amdhsa_reserve_vcc 0
		.amdhsa_reserve_flat_scratch 0
		.amdhsa_float_round_mode_32 0
		.amdhsa_float_round_mode_16_64 0
		.amdhsa_float_denorm_mode_32 3
		.amdhsa_float_denorm_mode_16_64 3
		.amdhsa_dx10_clamp 1
		.amdhsa_ieee_mode 1
		.amdhsa_fp16_overflow 0
		.amdhsa_exception_fp_ieee_invalid_op 0
		.amdhsa_exception_fp_denorm_src 0
		.amdhsa_exception_fp_ieee_div_zero 0
		.amdhsa_exception_fp_ieee_overflow 0
		.amdhsa_exception_fp_ieee_underflow 0
		.amdhsa_exception_fp_ieee_inexact 0
		.amdhsa_exception_int_div_zero 0
	.end_amdhsa_kernel
	.section	.text._ZN7rocprim17ROCPRIM_400000_NS6detail17trampoline_kernelINS0_13select_configILj256ELj13ELNS0_17block_load_methodE3ELS4_3ELS4_3ELNS0_20block_scan_algorithmE0ELj4294967295EEENS1_25partition_config_selectorILNS1_17partition_subalgoE4EjNS0_10empty_typeEbEEZZNS1_14partition_implILS8_4ELb0ES6_15HIP_vector_typeIjLj2EENS0_17counting_iteratorIjlEEPS9_SG_NS0_5tupleIJPjSI_NS0_16reverse_iteratorISI_EEEEENSH_IJSG_SG_SG_EEES9_SI_JZNS1_25segmented_radix_sort_implINS0_14default_configELb1EPK6__halfPSP_PKlPlN2at6native12_GLOBAL__N_18offset_tEEE10hipError_tPvRmT1_PNSt15iterator_traitsIS13_E10value_typeET2_T3_PNS14_IS19_E10value_typeET4_jRbjT5_S1F_jjP12ihipStream_tbEUljE_ZNSN_ISO_Lb1ESR_SS_SU_SV_SZ_EES10_S11_S12_S13_S17_S18_S19_S1C_S1D_jS1E_jS1F_S1F_jjS1H_bEUljE0_EEES10_S11_S12_S19_S1D_S1F_T6_T7_T9_mT8_S1H_bDpT10_ENKUlT_T0_E_clISt17integral_constantIbLb0EES1V_EEDaS1Q_S1R_EUlS1Q_E_NS1_11comp_targetILNS1_3genE10ELNS1_11target_archE1200ELNS1_3gpuE4ELNS1_3repE0EEENS1_30default_config_static_selectorELNS0_4arch9wavefront6targetE1EEEvS13_,"axG",@progbits,_ZN7rocprim17ROCPRIM_400000_NS6detail17trampoline_kernelINS0_13select_configILj256ELj13ELNS0_17block_load_methodE3ELS4_3ELS4_3ELNS0_20block_scan_algorithmE0ELj4294967295EEENS1_25partition_config_selectorILNS1_17partition_subalgoE4EjNS0_10empty_typeEbEEZZNS1_14partition_implILS8_4ELb0ES6_15HIP_vector_typeIjLj2EENS0_17counting_iteratorIjlEEPS9_SG_NS0_5tupleIJPjSI_NS0_16reverse_iteratorISI_EEEEENSH_IJSG_SG_SG_EEES9_SI_JZNS1_25segmented_radix_sort_implINS0_14default_configELb1EPK6__halfPSP_PKlPlN2at6native12_GLOBAL__N_18offset_tEEE10hipError_tPvRmT1_PNSt15iterator_traitsIS13_E10value_typeET2_T3_PNS14_IS19_E10value_typeET4_jRbjT5_S1F_jjP12ihipStream_tbEUljE_ZNSN_ISO_Lb1ESR_SS_SU_SV_SZ_EES10_S11_S12_S13_S17_S18_S19_S1C_S1D_jS1E_jS1F_S1F_jjS1H_bEUljE0_EEES10_S11_S12_S19_S1D_S1F_T6_T7_T9_mT8_S1H_bDpT10_ENKUlT_T0_E_clISt17integral_constantIbLb0EES1V_EEDaS1Q_S1R_EUlS1Q_E_NS1_11comp_targetILNS1_3genE10ELNS1_11target_archE1200ELNS1_3gpuE4ELNS1_3repE0EEENS1_30default_config_static_selectorELNS0_4arch9wavefront6targetE1EEEvS13_,comdat
.Lfunc_end1680:
	.size	_ZN7rocprim17ROCPRIM_400000_NS6detail17trampoline_kernelINS0_13select_configILj256ELj13ELNS0_17block_load_methodE3ELS4_3ELS4_3ELNS0_20block_scan_algorithmE0ELj4294967295EEENS1_25partition_config_selectorILNS1_17partition_subalgoE4EjNS0_10empty_typeEbEEZZNS1_14partition_implILS8_4ELb0ES6_15HIP_vector_typeIjLj2EENS0_17counting_iteratorIjlEEPS9_SG_NS0_5tupleIJPjSI_NS0_16reverse_iteratorISI_EEEEENSH_IJSG_SG_SG_EEES9_SI_JZNS1_25segmented_radix_sort_implINS0_14default_configELb1EPK6__halfPSP_PKlPlN2at6native12_GLOBAL__N_18offset_tEEE10hipError_tPvRmT1_PNSt15iterator_traitsIS13_E10value_typeET2_T3_PNS14_IS19_E10value_typeET4_jRbjT5_S1F_jjP12ihipStream_tbEUljE_ZNSN_ISO_Lb1ESR_SS_SU_SV_SZ_EES10_S11_S12_S13_S17_S18_S19_S1C_S1D_jS1E_jS1F_S1F_jjS1H_bEUljE0_EEES10_S11_S12_S19_S1D_S1F_T6_T7_T9_mT8_S1H_bDpT10_ENKUlT_T0_E_clISt17integral_constantIbLb0EES1V_EEDaS1Q_S1R_EUlS1Q_E_NS1_11comp_targetILNS1_3genE10ELNS1_11target_archE1200ELNS1_3gpuE4ELNS1_3repE0EEENS1_30default_config_static_selectorELNS0_4arch9wavefront6targetE1EEEvS13_, .Lfunc_end1680-_ZN7rocprim17ROCPRIM_400000_NS6detail17trampoline_kernelINS0_13select_configILj256ELj13ELNS0_17block_load_methodE3ELS4_3ELS4_3ELNS0_20block_scan_algorithmE0ELj4294967295EEENS1_25partition_config_selectorILNS1_17partition_subalgoE4EjNS0_10empty_typeEbEEZZNS1_14partition_implILS8_4ELb0ES6_15HIP_vector_typeIjLj2EENS0_17counting_iteratorIjlEEPS9_SG_NS0_5tupleIJPjSI_NS0_16reverse_iteratorISI_EEEEENSH_IJSG_SG_SG_EEES9_SI_JZNS1_25segmented_radix_sort_implINS0_14default_configELb1EPK6__halfPSP_PKlPlN2at6native12_GLOBAL__N_18offset_tEEE10hipError_tPvRmT1_PNSt15iterator_traitsIS13_E10value_typeET2_T3_PNS14_IS19_E10value_typeET4_jRbjT5_S1F_jjP12ihipStream_tbEUljE_ZNSN_ISO_Lb1ESR_SS_SU_SV_SZ_EES10_S11_S12_S13_S17_S18_S19_S1C_S1D_jS1E_jS1F_S1F_jjS1H_bEUljE0_EEES10_S11_S12_S19_S1D_S1F_T6_T7_T9_mT8_S1H_bDpT10_ENKUlT_T0_E_clISt17integral_constantIbLb0EES1V_EEDaS1Q_S1R_EUlS1Q_E_NS1_11comp_targetILNS1_3genE10ELNS1_11target_archE1200ELNS1_3gpuE4ELNS1_3repE0EEENS1_30default_config_static_selectorELNS0_4arch9wavefront6targetE1EEEvS13_
                                        ; -- End function
	.set _ZN7rocprim17ROCPRIM_400000_NS6detail17trampoline_kernelINS0_13select_configILj256ELj13ELNS0_17block_load_methodE3ELS4_3ELS4_3ELNS0_20block_scan_algorithmE0ELj4294967295EEENS1_25partition_config_selectorILNS1_17partition_subalgoE4EjNS0_10empty_typeEbEEZZNS1_14partition_implILS8_4ELb0ES6_15HIP_vector_typeIjLj2EENS0_17counting_iteratorIjlEEPS9_SG_NS0_5tupleIJPjSI_NS0_16reverse_iteratorISI_EEEEENSH_IJSG_SG_SG_EEES9_SI_JZNS1_25segmented_radix_sort_implINS0_14default_configELb1EPK6__halfPSP_PKlPlN2at6native12_GLOBAL__N_18offset_tEEE10hipError_tPvRmT1_PNSt15iterator_traitsIS13_E10value_typeET2_T3_PNS14_IS19_E10value_typeET4_jRbjT5_S1F_jjP12ihipStream_tbEUljE_ZNSN_ISO_Lb1ESR_SS_SU_SV_SZ_EES10_S11_S12_S13_S17_S18_S19_S1C_S1D_jS1E_jS1F_S1F_jjS1H_bEUljE0_EEES10_S11_S12_S19_S1D_S1F_T6_T7_T9_mT8_S1H_bDpT10_ENKUlT_T0_E_clISt17integral_constantIbLb0EES1V_EEDaS1Q_S1R_EUlS1Q_E_NS1_11comp_targetILNS1_3genE10ELNS1_11target_archE1200ELNS1_3gpuE4ELNS1_3repE0EEENS1_30default_config_static_selectorELNS0_4arch9wavefront6targetE1EEEvS13_.num_vgpr, 0
	.set _ZN7rocprim17ROCPRIM_400000_NS6detail17trampoline_kernelINS0_13select_configILj256ELj13ELNS0_17block_load_methodE3ELS4_3ELS4_3ELNS0_20block_scan_algorithmE0ELj4294967295EEENS1_25partition_config_selectorILNS1_17partition_subalgoE4EjNS0_10empty_typeEbEEZZNS1_14partition_implILS8_4ELb0ES6_15HIP_vector_typeIjLj2EENS0_17counting_iteratorIjlEEPS9_SG_NS0_5tupleIJPjSI_NS0_16reverse_iteratorISI_EEEEENSH_IJSG_SG_SG_EEES9_SI_JZNS1_25segmented_radix_sort_implINS0_14default_configELb1EPK6__halfPSP_PKlPlN2at6native12_GLOBAL__N_18offset_tEEE10hipError_tPvRmT1_PNSt15iterator_traitsIS13_E10value_typeET2_T3_PNS14_IS19_E10value_typeET4_jRbjT5_S1F_jjP12ihipStream_tbEUljE_ZNSN_ISO_Lb1ESR_SS_SU_SV_SZ_EES10_S11_S12_S13_S17_S18_S19_S1C_S1D_jS1E_jS1F_S1F_jjS1H_bEUljE0_EEES10_S11_S12_S19_S1D_S1F_T6_T7_T9_mT8_S1H_bDpT10_ENKUlT_T0_E_clISt17integral_constantIbLb0EES1V_EEDaS1Q_S1R_EUlS1Q_E_NS1_11comp_targetILNS1_3genE10ELNS1_11target_archE1200ELNS1_3gpuE4ELNS1_3repE0EEENS1_30default_config_static_selectorELNS0_4arch9wavefront6targetE1EEEvS13_.num_agpr, 0
	.set _ZN7rocprim17ROCPRIM_400000_NS6detail17trampoline_kernelINS0_13select_configILj256ELj13ELNS0_17block_load_methodE3ELS4_3ELS4_3ELNS0_20block_scan_algorithmE0ELj4294967295EEENS1_25partition_config_selectorILNS1_17partition_subalgoE4EjNS0_10empty_typeEbEEZZNS1_14partition_implILS8_4ELb0ES6_15HIP_vector_typeIjLj2EENS0_17counting_iteratorIjlEEPS9_SG_NS0_5tupleIJPjSI_NS0_16reverse_iteratorISI_EEEEENSH_IJSG_SG_SG_EEES9_SI_JZNS1_25segmented_radix_sort_implINS0_14default_configELb1EPK6__halfPSP_PKlPlN2at6native12_GLOBAL__N_18offset_tEEE10hipError_tPvRmT1_PNSt15iterator_traitsIS13_E10value_typeET2_T3_PNS14_IS19_E10value_typeET4_jRbjT5_S1F_jjP12ihipStream_tbEUljE_ZNSN_ISO_Lb1ESR_SS_SU_SV_SZ_EES10_S11_S12_S13_S17_S18_S19_S1C_S1D_jS1E_jS1F_S1F_jjS1H_bEUljE0_EEES10_S11_S12_S19_S1D_S1F_T6_T7_T9_mT8_S1H_bDpT10_ENKUlT_T0_E_clISt17integral_constantIbLb0EES1V_EEDaS1Q_S1R_EUlS1Q_E_NS1_11comp_targetILNS1_3genE10ELNS1_11target_archE1200ELNS1_3gpuE4ELNS1_3repE0EEENS1_30default_config_static_selectorELNS0_4arch9wavefront6targetE1EEEvS13_.numbered_sgpr, 0
	.set _ZN7rocprim17ROCPRIM_400000_NS6detail17trampoline_kernelINS0_13select_configILj256ELj13ELNS0_17block_load_methodE3ELS4_3ELS4_3ELNS0_20block_scan_algorithmE0ELj4294967295EEENS1_25partition_config_selectorILNS1_17partition_subalgoE4EjNS0_10empty_typeEbEEZZNS1_14partition_implILS8_4ELb0ES6_15HIP_vector_typeIjLj2EENS0_17counting_iteratorIjlEEPS9_SG_NS0_5tupleIJPjSI_NS0_16reverse_iteratorISI_EEEEENSH_IJSG_SG_SG_EEES9_SI_JZNS1_25segmented_radix_sort_implINS0_14default_configELb1EPK6__halfPSP_PKlPlN2at6native12_GLOBAL__N_18offset_tEEE10hipError_tPvRmT1_PNSt15iterator_traitsIS13_E10value_typeET2_T3_PNS14_IS19_E10value_typeET4_jRbjT5_S1F_jjP12ihipStream_tbEUljE_ZNSN_ISO_Lb1ESR_SS_SU_SV_SZ_EES10_S11_S12_S13_S17_S18_S19_S1C_S1D_jS1E_jS1F_S1F_jjS1H_bEUljE0_EEES10_S11_S12_S19_S1D_S1F_T6_T7_T9_mT8_S1H_bDpT10_ENKUlT_T0_E_clISt17integral_constantIbLb0EES1V_EEDaS1Q_S1R_EUlS1Q_E_NS1_11comp_targetILNS1_3genE10ELNS1_11target_archE1200ELNS1_3gpuE4ELNS1_3repE0EEENS1_30default_config_static_selectorELNS0_4arch9wavefront6targetE1EEEvS13_.num_named_barrier, 0
	.set _ZN7rocprim17ROCPRIM_400000_NS6detail17trampoline_kernelINS0_13select_configILj256ELj13ELNS0_17block_load_methodE3ELS4_3ELS4_3ELNS0_20block_scan_algorithmE0ELj4294967295EEENS1_25partition_config_selectorILNS1_17partition_subalgoE4EjNS0_10empty_typeEbEEZZNS1_14partition_implILS8_4ELb0ES6_15HIP_vector_typeIjLj2EENS0_17counting_iteratorIjlEEPS9_SG_NS0_5tupleIJPjSI_NS0_16reverse_iteratorISI_EEEEENSH_IJSG_SG_SG_EEES9_SI_JZNS1_25segmented_radix_sort_implINS0_14default_configELb1EPK6__halfPSP_PKlPlN2at6native12_GLOBAL__N_18offset_tEEE10hipError_tPvRmT1_PNSt15iterator_traitsIS13_E10value_typeET2_T3_PNS14_IS19_E10value_typeET4_jRbjT5_S1F_jjP12ihipStream_tbEUljE_ZNSN_ISO_Lb1ESR_SS_SU_SV_SZ_EES10_S11_S12_S13_S17_S18_S19_S1C_S1D_jS1E_jS1F_S1F_jjS1H_bEUljE0_EEES10_S11_S12_S19_S1D_S1F_T6_T7_T9_mT8_S1H_bDpT10_ENKUlT_T0_E_clISt17integral_constantIbLb0EES1V_EEDaS1Q_S1R_EUlS1Q_E_NS1_11comp_targetILNS1_3genE10ELNS1_11target_archE1200ELNS1_3gpuE4ELNS1_3repE0EEENS1_30default_config_static_selectorELNS0_4arch9wavefront6targetE1EEEvS13_.private_seg_size, 0
	.set _ZN7rocprim17ROCPRIM_400000_NS6detail17trampoline_kernelINS0_13select_configILj256ELj13ELNS0_17block_load_methodE3ELS4_3ELS4_3ELNS0_20block_scan_algorithmE0ELj4294967295EEENS1_25partition_config_selectorILNS1_17partition_subalgoE4EjNS0_10empty_typeEbEEZZNS1_14partition_implILS8_4ELb0ES6_15HIP_vector_typeIjLj2EENS0_17counting_iteratorIjlEEPS9_SG_NS0_5tupleIJPjSI_NS0_16reverse_iteratorISI_EEEEENSH_IJSG_SG_SG_EEES9_SI_JZNS1_25segmented_radix_sort_implINS0_14default_configELb1EPK6__halfPSP_PKlPlN2at6native12_GLOBAL__N_18offset_tEEE10hipError_tPvRmT1_PNSt15iterator_traitsIS13_E10value_typeET2_T3_PNS14_IS19_E10value_typeET4_jRbjT5_S1F_jjP12ihipStream_tbEUljE_ZNSN_ISO_Lb1ESR_SS_SU_SV_SZ_EES10_S11_S12_S13_S17_S18_S19_S1C_S1D_jS1E_jS1F_S1F_jjS1H_bEUljE0_EEES10_S11_S12_S19_S1D_S1F_T6_T7_T9_mT8_S1H_bDpT10_ENKUlT_T0_E_clISt17integral_constantIbLb0EES1V_EEDaS1Q_S1R_EUlS1Q_E_NS1_11comp_targetILNS1_3genE10ELNS1_11target_archE1200ELNS1_3gpuE4ELNS1_3repE0EEENS1_30default_config_static_selectorELNS0_4arch9wavefront6targetE1EEEvS13_.uses_vcc, 0
	.set _ZN7rocprim17ROCPRIM_400000_NS6detail17trampoline_kernelINS0_13select_configILj256ELj13ELNS0_17block_load_methodE3ELS4_3ELS4_3ELNS0_20block_scan_algorithmE0ELj4294967295EEENS1_25partition_config_selectorILNS1_17partition_subalgoE4EjNS0_10empty_typeEbEEZZNS1_14partition_implILS8_4ELb0ES6_15HIP_vector_typeIjLj2EENS0_17counting_iteratorIjlEEPS9_SG_NS0_5tupleIJPjSI_NS0_16reverse_iteratorISI_EEEEENSH_IJSG_SG_SG_EEES9_SI_JZNS1_25segmented_radix_sort_implINS0_14default_configELb1EPK6__halfPSP_PKlPlN2at6native12_GLOBAL__N_18offset_tEEE10hipError_tPvRmT1_PNSt15iterator_traitsIS13_E10value_typeET2_T3_PNS14_IS19_E10value_typeET4_jRbjT5_S1F_jjP12ihipStream_tbEUljE_ZNSN_ISO_Lb1ESR_SS_SU_SV_SZ_EES10_S11_S12_S13_S17_S18_S19_S1C_S1D_jS1E_jS1F_S1F_jjS1H_bEUljE0_EEES10_S11_S12_S19_S1D_S1F_T6_T7_T9_mT8_S1H_bDpT10_ENKUlT_T0_E_clISt17integral_constantIbLb0EES1V_EEDaS1Q_S1R_EUlS1Q_E_NS1_11comp_targetILNS1_3genE10ELNS1_11target_archE1200ELNS1_3gpuE4ELNS1_3repE0EEENS1_30default_config_static_selectorELNS0_4arch9wavefront6targetE1EEEvS13_.uses_flat_scratch, 0
	.set _ZN7rocprim17ROCPRIM_400000_NS6detail17trampoline_kernelINS0_13select_configILj256ELj13ELNS0_17block_load_methodE3ELS4_3ELS4_3ELNS0_20block_scan_algorithmE0ELj4294967295EEENS1_25partition_config_selectorILNS1_17partition_subalgoE4EjNS0_10empty_typeEbEEZZNS1_14partition_implILS8_4ELb0ES6_15HIP_vector_typeIjLj2EENS0_17counting_iteratorIjlEEPS9_SG_NS0_5tupleIJPjSI_NS0_16reverse_iteratorISI_EEEEENSH_IJSG_SG_SG_EEES9_SI_JZNS1_25segmented_radix_sort_implINS0_14default_configELb1EPK6__halfPSP_PKlPlN2at6native12_GLOBAL__N_18offset_tEEE10hipError_tPvRmT1_PNSt15iterator_traitsIS13_E10value_typeET2_T3_PNS14_IS19_E10value_typeET4_jRbjT5_S1F_jjP12ihipStream_tbEUljE_ZNSN_ISO_Lb1ESR_SS_SU_SV_SZ_EES10_S11_S12_S13_S17_S18_S19_S1C_S1D_jS1E_jS1F_S1F_jjS1H_bEUljE0_EEES10_S11_S12_S19_S1D_S1F_T6_T7_T9_mT8_S1H_bDpT10_ENKUlT_T0_E_clISt17integral_constantIbLb0EES1V_EEDaS1Q_S1R_EUlS1Q_E_NS1_11comp_targetILNS1_3genE10ELNS1_11target_archE1200ELNS1_3gpuE4ELNS1_3repE0EEENS1_30default_config_static_selectorELNS0_4arch9wavefront6targetE1EEEvS13_.has_dyn_sized_stack, 0
	.set _ZN7rocprim17ROCPRIM_400000_NS6detail17trampoline_kernelINS0_13select_configILj256ELj13ELNS0_17block_load_methodE3ELS4_3ELS4_3ELNS0_20block_scan_algorithmE0ELj4294967295EEENS1_25partition_config_selectorILNS1_17partition_subalgoE4EjNS0_10empty_typeEbEEZZNS1_14partition_implILS8_4ELb0ES6_15HIP_vector_typeIjLj2EENS0_17counting_iteratorIjlEEPS9_SG_NS0_5tupleIJPjSI_NS0_16reverse_iteratorISI_EEEEENSH_IJSG_SG_SG_EEES9_SI_JZNS1_25segmented_radix_sort_implINS0_14default_configELb1EPK6__halfPSP_PKlPlN2at6native12_GLOBAL__N_18offset_tEEE10hipError_tPvRmT1_PNSt15iterator_traitsIS13_E10value_typeET2_T3_PNS14_IS19_E10value_typeET4_jRbjT5_S1F_jjP12ihipStream_tbEUljE_ZNSN_ISO_Lb1ESR_SS_SU_SV_SZ_EES10_S11_S12_S13_S17_S18_S19_S1C_S1D_jS1E_jS1F_S1F_jjS1H_bEUljE0_EEES10_S11_S12_S19_S1D_S1F_T6_T7_T9_mT8_S1H_bDpT10_ENKUlT_T0_E_clISt17integral_constantIbLb0EES1V_EEDaS1Q_S1R_EUlS1Q_E_NS1_11comp_targetILNS1_3genE10ELNS1_11target_archE1200ELNS1_3gpuE4ELNS1_3repE0EEENS1_30default_config_static_selectorELNS0_4arch9wavefront6targetE1EEEvS13_.has_recursion, 0
	.set _ZN7rocprim17ROCPRIM_400000_NS6detail17trampoline_kernelINS0_13select_configILj256ELj13ELNS0_17block_load_methodE3ELS4_3ELS4_3ELNS0_20block_scan_algorithmE0ELj4294967295EEENS1_25partition_config_selectorILNS1_17partition_subalgoE4EjNS0_10empty_typeEbEEZZNS1_14partition_implILS8_4ELb0ES6_15HIP_vector_typeIjLj2EENS0_17counting_iteratorIjlEEPS9_SG_NS0_5tupleIJPjSI_NS0_16reverse_iteratorISI_EEEEENSH_IJSG_SG_SG_EEES9_SI_JZNS1_25segmented_radix_sort_implINS0_14default_configELb1EPK6__halfPSP_PKlPlN2at6native12_GLOBAL__N_18offset_tEEE10hipError_tPvRmT1_PNSt15iterator_traitsIS13_E10value_typeET2_T3_PNS14_IS19_E10value_typeET4_jRbjT5_S1F_jjP12ihipStream_tbEUljE_ZNSN_ISO_Lb1ESR_SS_SU_SV_SZ_EES10_S11_S12_S13_S17_S18_S19_S1C_S1D_jS1E_jS1F_S1F_jjS1H_bEUljE0_EEES10_S11_S12_S19_S1D_S1F_T6_T7_T9_mT8_S1H_bDpT10_ENKUlT_T0_E_clISt17integral_constantIbLb0EES1V_EEDaS1Q_S1R_EUlS1Q_E_NS1_11comp_targetILNS1_3genE10ELNS1_11target_archE1200ELNS1_3gpuE4ELNS1_3repE0EEENS1_30default_config_static_selectorELNS0_4arch9wavefront6targetE1EEEvS13_.has_indirect_call, 0
	.section	.AMDGPU.csdata,"",@progbits
; Kernel info:
; codeLenInByte = 0
; TotalNumSgprs: 4
; NumVgprs: 0
; ScratchSize: 0
; MemoryBound: 0
; FloatMode: 240
; IeeeMode: 1
; LDSByteSize: 0 bytes/workgroup (compile time only)
; SGPRBlocks: 0
; VGPRBlocks: 0
; NumSGPRsForWavesPerEU: 4
; NumVGPRsForWavesPerEU: 1
; Occupancy: 10
; WaveLimiterHint : 0
; COMPUTE_PGM_RSRC2:SCRATCH_EN: 0
; COMPUTE_PGM_RSRC2:USER_SGPR: 6
; COMPUTE_PGM_RSRC2:TRAP_HANDLER: 0
; COMPUTE_PGM_RSRC2:TGID_X_EN: 1
; COMPUTE_PGM_RSRC2:TGID_Y_EN: 0
; COMPUTE_PGM_RSRC2:TGID_Z_EN: 0
; COMPUTE_PGM_RSRC2:TIDIG_COMP_CNT: 0
	.section	.text._ZN7rocprim17ROCPRIM_400000_NS6detail17trampoline_kernelINS0_13select_configILj256ELj13ELNS0_17block_load_methodE3ELS4_3ELS4_3ELNS0_20block_scan_algorithmE0ELj4294967295EEENS1_25partition_config_selectorILNS1_17partition_subalgoE4EjNS0_10empty_typeEbEEZZNS1_14partition_implILS8_4ELb0ES6_15HIP_vector_typeIjLj2EENS0_17counting_iteratorIjlEEPS9_SG_NS0_5tupleIJPjSI_NS0_16reverse_iteratorISI_EEEEENSH_IJSG_SG_SG_EEES9_SI_JZNS1_25segmented_radix_sort_implINS0_14default_configELb1EPK6__halfPSP_PKlPlN2at6native12_GLOBAL__N_18offset_tEEE10hipError_tPvRmT1_PNSt15iterator_traitsIS13_E10value_typeET2_T3_PNS14_IS19_E10value_typeET4_jRbjT5_S1F_jjP12ihipStream_tbEUljE_ZNSN_ISO_Lb1ESR_SS_SU_SV_SZ_EES10_S11_S12_S13_S17_S18_S19_S1C_S1D_jS1E_jS1F_S1F_jjS1H_bEUljE0_EEES10_S11_S12_S19_S1D_S1F_T6_T7_T9_mT8_S1H_bDpT10_ENKUlT_T0_E_clISt17integral_constantIbLb0EES1V_EEDaS1Q_S1R_EUlS1Q_E_NS1_11comp_targetILNS1_3genE9ELNS1_11target_archE1100ELNS1_3gpuE3ELNS1_3repE0EEENS1_30default_config_static_selectorELNS0_4arch9wavefront6targetE1EEEvS13_,"axG",@progbits,_ZN7rocprim17ROCPRIM_400000_NS6detail17trampoline_kernelINS0_13select_configILj256ELj13ELNS0_17block_load_methodE3ELS4_3ELS4_3ELNS0_20block_scan_algorithmE0ELj4294967295EEENS1_25partition_config_selectorILNS1_17partition_subalgoE4EjNS0_10empty_typeEbEEZZNS1_14partition_implILS8_4ELb0ES6_15HIP_vector_typeIjLj2EENS0_17counting_iteratorIjlEEPS9_SG_NS0_5tupleIJPjSI_NS0_16reverse_iteratorISI_EEEEENSH_IJSG_SG_SG_EEES9_SI_JZNS1_25segmented_radix_sort_implINS0_14default_configELb1EPK6__halfPSP_PKlPlN2at6native12_GLOBAL__N_18offset_tEEE10hipError_tPvRmT1_PNSt15iterator_traitsIS13_E10value_typeET2_T3_PNS14_IS19_E10value_typeET4_jRbjT5_S1F_jjP12ihipStream_tbEUljE_ZNSN_ISO_Lb1ESR_SS_SU_SV_SZ_EES10_S11_S12_S13_S17_S18_S19_S1C_S1D_jS1E_jS1F_S1F_jjS1H_bEUljE0_EEES10_S11_S12_S19_S1D_S1F_T6_T7_T9_mT8_S1H_bDpT10_ENKUlT_T0_E_clISt17integral_constantIbLb0EES1V_EEDaS1Q_S1R_EUlS1Q_E_NS1_11comp_targetILNS1_3genE9ELNS1_11target_archE1100ELNS1_3gpuE3ELNS1_3repE0EEENS1_30default_config_static_selectorELNS0_4arch9wavefront6targetE1EEEvS13_,comdat
	.globl	_ZN7rocprim17ROCPRIM_400000_NS6detail17trampoline_kernelINS0_13select_configILj256ELj13ELNS0_17block_load_methodE3ELS4_3ELS4_3ELNS0_20block_scan_algorithmE0ELj4294967295EEENS1_25partition_config_selectorILNS1_17partition_subalgoE4EjNS0_10empty_typeEbEEZZNS1_14partition_implILS8_4ELb0ES6_15HIP_vector_typeIjLj2EENS0_17counting_iteratorIjlEEPS9_SG_NS0_5tupleIJPjSI_NS0_16reverse_iteratorISI_EEEEENSH_IJSG_SG_SG_EEES9_SI_JZNS1_25segmented_radix_sort_implINS0_14default_configELb1EPK6__halfPSP_PKlPlN2at6native12_GLOBAL__N_18offset_tEEE10hipError_tPvRmT1_PNSt15iterator_traitsIS13_E10value_typeET2_T3_PNS14_IS19_E10value_typeET4_jRbjT5_S1F_jjP12ihipStream_tbEUljE_ZNSN_ISO_Lb1ESR_SS_SU_SV_SZ_EES10_S11_S12_S13_S17_S18_S19_S1C_S1D_jS1E_jS1F_S1F_jjS1H_bEUljE0_EEES10_S11_S12_S19_S1D_S1F_T6_T7_T9_mT8_S1H_bDpT10_ENKUlT_T0_E_clISt17integral_constantIbLb0EES1V_EEDaS1Q_S1R_EUlS1Q_E_NS1_11comp_targetILNS1_3genE9ELNS1_11target_archE1100ELNS1_3gpuE3ELNS1_3repE0EEENS1_30default_config_static_selectorELNS0_4arch9wavefront6targetE1EEEvS13_ ; -- Begin function _ZN7rocprim17ROCPRIM_400000_NS6detail17trampoline_kernelINS0_13select_configILj256ELj13ELNS0_17block_load_methodE3ELS4_3ELS4_3ELNS0_20block_scan_algorithmE0ELj4294967295EEENS1_25partition_config_selectorILNS1_17partition_subalgoE4EjNS0_10empty_typeEbEEZZNS1_14partition_implILS8_4ELb0ES6_15HIP_vector_typeIjLj2EENS0_17counting_iteratorIjlEEPS9_SG_NS0_5tupleIJPjSI_NS0_16reverse_iteratorISI_EEEEENSH_IJSG_SG_SG_EEES9_SI_JZNS1_25segmented_radix_sort_implINS0_14default_configELb1EPK6__halfPSP_PKlPlN2at6native12_GLOBAL__N_18offset_tEEE10hipError_tPvRmT1_PNSt15iterator_traitsIS13_E10value_typeET2_T3_PNS14_IS19_E10value_typeET4_jRbjT5_S1F_jjP12ihipStream_tbEUljE_ZNSN_ISO_Lb1ESR_SS_SU_SV_SZ_EES10_S11_S12_S13_S17_S18_S19_S1C_S1D_jS1E_jS1F_S1F_jjS1H_bEUljE0_EEES10_S11_S12_S19_S1D_S1F_T6_T7_T9_mT8_S1H_bDpT10_ENKUlT_T0_E_clISt17integral_constantIbLb0EES1V_EEDaS1Q_S1R_EUlS1Q_E_NS1_11comp_targetILNS1_3genE9ELNS1_11target_archE1100ELNS1_3gpuE3ELNS1_3repE0EEENS1_30default_config_static_selectorELNS0_4arch9wavefront6targetE1EEEvS13_
	.p2align	8
	.type	_ZN7rocprim17ROCPRIM_400000_NS6detail17trampoline_kernelINS0_13select_configILj256ELj13ELNS0_17block_load_methodE3ELS4_3ELS4_3ELNS0_20block_scan_algorithmE0ELj4294967295EEENS1_25partition_config_selectorILNS1_17partition_subalgoE4EjNS0_10empty_typeEbEEZZNS1_14partition_implILS8_4ELb0ES6_15HIP_vector_typeIjLj2EENS0_17counting_iteratorIjlEEPS9_SG_NS0_5tupleIJPjSI_NS0_16reverse_iteratorISI_EEEEENSH_IJSG_SG_SG_EEES9_SI_JZNS1_25segmented_radix_sort_implINS0_14default_configELb1EPK6__halfPSP_PKlPlN2at6native12_GLOBAL__N_18offset_tEEE10hipError_tPvRmT1_PNSt15iterator_traitsIS13_E10value_typeET2_T3_PNS14_IS19_E10value_typeET4_jRbjT5_S1F_jjP12ihipStream_tbEUljE_ZNSN_ISO_Lb1ESR_SS_SU_SV_SZ_EES10_S11_S12_S13_S17_S18_S19_S1C_S1D_jS1E_jS1F_S1F_jjS1H_bEUljE0_EEES10_S11_S12_S19_S1D_S1F_T6_T7_T9_mT8_S1H_bDpT10_ENKUlT_T0_E_clISt17integral_constantIbLb0EES1V_EEDaS1Q_S1R_EUlS1Q_E_NS1_11comp_targetILNS1_3genE9ELNS1_11target_archE1100ELNS1_3gpuE3ELNS1_3repE0EEENS1_30default_config_static_selectorELNS0_4arch9wavefront6targetE1EEEvS13_,@function
_ZN7rocprim17ROCPRIM_400000_NS6detail17trampoline_kernelINS0_13select_configILj256ELj13ELNS0_17block_load_methodE3ELS4_3ELS4_3ELNS0_20block_scan_algorithmE0ELj4294967295EEENS1_25partition_config_selectorILNS1_17partition_subalgoE4EjNS0_10empty_typeEbEEZZNS1_14partition_implILS8_4ELb0ES6_15HIP_vector_typeIjLj2EENS0_17counting_iteratorIjlEEPS9_SG_NS0_5tupleIJPjSI_NS0_16reverse_iteratorISI_EEEEENSH_IJSG_SG_SG_EEES9_SI_JZNS1_25segmented_radix_sort_implINS0_14default_configELb1EPK6__halfPSP_PKlPlN2at6native12_GLOBAL__N_18offset_tEEE10hipError_tPvRmT1_PNSt15iterator_traitsIS13_E10value_typeET2_T3_PNS14_IS19_E10value_typeET4_jRbjT5_S1F_jjP12ihipStream_tbEUljE_ZNSN_ISO_Lb1ESR_SS_SU_SV_SZ_EES10_S11_S12_S13_S17_S18_S19_S1C_S1D_jS1E_jS1F_S1F_jjS1H_bEUljE0_EEES10_S11_S12_S19_S1D_S1F_T6_T7_T9_mT8_S1H_bDpT10_ENKUlT_T0_E_clISt17integral_constantIbLb0EES1V_EEDaS1Q_S1R_EUlS1Q_E_NS1_11comp_targetILNS1_3genE9ELNS1_11target_archE1100ELNS1_3gpuE3ELNS1_3repE0EEENS1_30default_config_static_selectorELNS0_4arch9wavefront6targetE1EEEvS13_: ; @_ZN7rocprim17ROCPRIM_400000_NS6detail17trampoline_kernelINS0_13select_configILj256ELj13ELNS0_17block_load_methodE3ELS4_3ELS4_3ELNS0_20block_scan_algorithmE0ELj4294967295EEENS1_25partition_config_selectorILNS1_17partition_subalgoE4EjNS0_10empty_typeEbEEZZNS1_14partition_implILS8_4ELb0ES6_15HIP_vector_typeIjLj2EENS0_17counting_iteratorIjlEEPS9_SG_NS0_5tupleIJPjSI_NS0_16reverse_iteratorISI_EEEEENSH_IJSG_SG_SG_EEES9_SI_JZNS1_25segmented_radix_sort_implINS0_14default_configELb1EPK6__halfPSP_PKlPlN2at6native12_GLOBAL__N_18offset_tEEE10hipError_tPvRmT1_PNSt15iterator_traitsIS13_E10value_typeET2_T3_PNS14_IS19_E10value_typeET4_jRbjT5_S1F_jjP12ihipStream_tbEUljE_ZNSN_ISO_Lb1ESR_SS_SU_SV_SZ_EES10_S11_S12_S13_S17_S18_S19_S1C_S1D_jS1E_jS1F_S1F_jjS1H_bEUljE0_EEES10_S11_S12_S19_S1D_S1F_T6_T7_T9_mT8_S1H_bDpT10_ENKUlT_T0_E_clISt17integral_constantIbLb0EES1V_EEDaS1Q_S1R_EUlS1Q_E_NS1_11comp_targetILNS1_3genE9ELNS1_11target_archE1100ELNS1_3gpuE3ELNS1_3repE0EEENS1_30default_config_static_selectorELNS0_4arch9wavefront6targetE1EEEvS13_
; %bb.0:
	.section	.rodata,"a",@progbits
	.p2align	6, 0x0
	.amdhsa_kernel _ZN7rocprim17ROCPRIM_400000_NS6detail17trampoline_kernelINS0_13select_configILj256ELj13ELNS0_17block_load_methodE3ELS4_3ELS4_3ELNS0_20block_scan_algorithmE0ELj4294967295EEENS1_25partition_config_selectorILNS1_17partition_subalgoE4EjNS0_10empty_typeEbEEZZNS1_14partition_implILS8_4ELb0ES6_15HIP_vector_typeIjLj2EENS0_17counting_iteratorIjlEEPS9_SG_NS0_5tupleIJPjSI_NS0_16reverse_iteratorISI_EEEEENSH_IJSG_SG_SG_EEES9_SI_JZNS1_25segmented_radix_sort_implINS0_14default_configELb1EPK6__halfPSP_PKlPlN2at6native12_GLOBAL__N_18offset_tEEE10hipError_tPvRmT1_PNSt15iterator_traitsIS13_E10value_typeET2_T3_PNS14_IS19_E10value_typeET4_jRbjT5_S1F_jjP12ihipStream_tbEUljE_ZNSN_ISO_Lb1ESR_SS_SU_SV_SZ_EES10_S11_S12_S13_S17_S18_S19_S1C_S1D_jS1E_jS1F_S1F_jjS1H_bEUljE0_EEES10_S11_S12_S19_S1D_S1F_T6_T7_T9_mT8_S1H_bDpT10_ENKUlT_T0_E_clISt17integral_constantIbLb0EES1V_EEDaS1Q_S1R_EUlS1Q_E_NS1_11comp_targetILNS1_3genE9ELNS1_11target_archE1100ELNS1_3gpuE3ELNS1_3repE0EEENS1_30default_config_static_selectorELNS0_4arch9wavefront6targetE1EEEvS13_
		.amdhsa_group_segment_fixed_size 0
		.amdhsa_private_segment_fixed_size 0
		.amdhsa_kernarg_size 176
		.amdhsa_user_sgpr_count 6
		.amdhsa_user_sgpr_private_segment_buffer 1
		.amdhsa_user_sgpr_dispatch_ptr 0
		.amdhsa_user_sgpr_queue_ptr 0
		.amdhsa_user_sgpr_kernarg_segment_ptr 1
		.amdhsa_user_sgpr_dispatch_id 0
		.amdhsa_user_sgpr_flat_scratch_init 0
		.amdhsa_user_sgpr_private_segment_size 0
		.amdhsa_uses_dynamic_stack 0
		.amdhsa_system_sgpr_private_segment_wavefront_offset 0
		.amdhsa_system_sgpr_workgroup_id_x 1
		.amdhsa_system_sgpr_workgroup_id_y 0
		.amdhsa_system_sgpr_workgroup_id_z 0
		.amdhsa_system_sgpr_workgroup_info 0
		.amdhsa_system_vgpr_workitem_id 0
		.amdhsa_next_free_vgpr 1
		.amdhsa_next_free_sgpr 0
		.amdhsa_reserve_vcc 0
		.amdhsa_reserve_flat_scratch 0
		.amdhsa_float_round_mode_32 0
		.amdhsa_float_round_mode_16_64 0
		.amdhsa_float_denorm_mode_32 3
		.amdhsa_float_denorm_mode_16_64 3
		.amdhsa_dx10_clamp 1
		.amdhsa_ieee_mode 1
		.amdhsa_fp16_overflow 0
		.amdhsa_exception_fp_ieee_invalid_op 0
		.amdhsa_exception_fp_denorm_src 0
		.amdhsa_exception_fp_ieee_div_zero 0
		.amdhsa_exception_fp_ieee_overflow 0
		.amdhsa_exception_fp_ieee_underflow 0
		.amdhsa_exception_fp_ieee_inexact 0
		.amdhsa_exception_int_div_zero 0
	.end_amdhsa_kernel
	.section	.text._ZN7rocprim17ROCPRIM_400000_NS6detail17trampoline_kernelINS0_13select_configILj256ELj13ELNS0_17block_load_methodE3ELS4_3ELS4_3ELNS0_20block_scan_algorithmE0ELj4294967295EEENS1_25partition_config_selectorILNS1_17partition_subalgoE4EjNS0_10empty_typeEbEEZZNS1_14partition_implILS8_4ELb0ES6_15HIP_vector_typeIjLj2EENS0_17counting_iteratorIjlEEPS9_SG_NS0_5tupleIJPjSI_NS0_16reverse_iteratorISI_EEEEENSH_IJSG_SG_SG_EEES9_SI_JZNS1_25segmented_radix_sort_implINS0_14default_configELb1EPK6__halfPSP_PKlPlN2at6native12_GLOBAL__N_18offset_tEEE10hipError_tPvRmT1_PNSt15iterator_traitsIS13_E10value_typeET2_T3_PNS14_IS19_E10value_typeET4_jRbjT5_S1F_jjP12ihipStream_tbEUljE_ZNSN_ISO_Lb1ESR_SS_SU_SV_SZ_EES10_S11_S12_S13_S17_S18_S19_S1C_S1D_jS1E_jS1F_S1F_jjS1H_bEUljE0_EEES10_S11_S12_S19_S1D_S1F_T6_T7_T9_mT8_S1H_bDpT10_ENKUlT_T0_E_clISt17integral_constantIbLb0EES1V_EEDaS1Q_S1R_EUlS1Q_E_NS1_11comp_targetILNS1_3genE9ELNS1_11target_archE1100ELNS1_3gpuE3ELNS1_3repE0EEENS1_30default_config_static_selectorELNS0_4arch9wavefront6targetE1EEEvS13_,"axG",@progbits,_ZN7rocprim17ROCPRIM_400000_NS6detail17trampoline_kernelINS0_13select_configILj256ELj13ELNS0_17block_load_methodE3ELS4_3ELS4_3ELNS0_20block_scan_algorithmE0ELj4294967295EEENS1_25partition_config_selectorILNS1_17partition_subalgoE4EjNS0_10empty_typeEbEEZZNS1_14partition_implILS8_4ELb0ES6_15HIP_vector_typeIjLj2EENS0_17counting_iteratorIjlEEPS9_SG_NS0_5tupleIJPjSI_NS0_16reverse_iteratorISI_EEEEENSH_IJSG_SG_SG_EEES9_SI_JZNS1_25segmented_radix_sort_implINS0_14default_configELb1EPK6__halfPSP_PKlPlN2at6native12_GLOBAL__N_18offset_tEEE10hipError_tPvRmT1_PNSt15iterator_traitsIS13_E10value_typeET2_T3_PNS14_IS19_E10value_typeET4_jRbjT5_S1F_jjP12ihipStream_tbEUljE_ZNSN_ISO_Lb1ESR_SS_SU_SV_SZ_EES10_S11_S12_S13_S17_S18_S19_S1C_S1D_jS1E_jS1F_S1F_jjS1H_bEUljE0_EEES10_S11_S12_S19_S1D_S1F_T6_T7_T9_mT8_S1H_bDpT10_ENKUlT_T0_E_clISt17integral_constantIbLb0EES1V_EEDaS1Q_S1R_EUlS1Q_E_NS1_11comp_targetILNS1_3genE9ELNS1_11target_archE1100ELNS1_3gpuE3ELNS1_3repE0EEENS1_30default_config_static_selectorELNS0_4arch9wavefront6targetE1EEEvS13_,comdat
.Lfunc_end1681:
	.size	_ZN7rocprim17ROCPRIM_400000_NS6detail17trampoline_kernelINS0_13select_configILj256ELj13ELNS0_17block_load_methodE3ELS4_3ELS4_3ELNS0_20block_scan_algorithmE0ELj4294967295EEENS1_25partition_config_selectorILNS1_17partition_subalgoE4EjNS0_10empty_typeEbEEZZNS1_14partition_implILS8_4ELb0ES6_15HIP_vector_typeIjLj2EENS0_17counting_iteratorIjlEEPS9_SG_NS0_5tupleIJPjSI_NS0_16reverse_iteratorISI_EEEEENSH_IJSG_SG_SG_EEES9_SI_JZNS1_25segmented_radix_sort_implINS0_14default_configELb1EPK6__halfPSP_PKlPlN2at6native12_GLOBAL__N_18offset_tEEE10hipError_tPvRmT1_PNSt15iterator_traitsIS13_E10value_typeET2_T3_PNS14_IS19_E10value_typeET4_jRbjT5_S1F_jjP12ihipStream_tbEUljE_ZNSN_ISO_Lb1ESR_SS_SU_SV_SZ_EES10_S11_S12_S13_S17_S18_S19_S1C_S1D_jS1E_jS1F_S1F_jjS1H_bEUljE0_EEES10_S11_S12_S19_S1D_S1F_T6_T7_T9_mT8_S1H_bDpT10_ENKUlT_T0_E_clISt17integral_constantIbLb0EES1V_EEDaS1Q_S1R_EUlS1Q_E_NS1_11comp_targetILNS1_3genE9ELNS1_11target_archE1100ELNS1_3gpuE3ELNS1_3repE0EEENS1_30default_config_static_selectorELNS0_4arch9wavefront6targetE1EEEvS13_, .Lfunc_end1681-_ZN7rocprim17ROCPRIM_400000_NS6detail17trampoline_kernelINS0_13select_configILj256ELj13ELNS0_17block_load_methodE3ELS4_3ELS4_3ELNS0_20block_scan_algorithmE0ELj4294967295EEENS1_25partition_config_selectorILNS1_17partition_subalgoE4EjNS0_10empty_typeEbEEZZNS1_14partition_implILS8_4ELb0ES6_15HIP_vector_typeIjLj2EENS0_17counting_iteratorIjlEEPS9_SG_NS0_5tupleIJPjSI_NS0_16reverse_iteratorISI_EEEEENSH_IJSG_SG_SG_EEES9_SI_JZNS1_25segmented_radix_sort_implINS0_14default_configELb1EPK6__halfPSP_PKlPlN2at6native12_GLOBAL__N_18offset_tEEE10hipError_tPvRmT1_PNSt15iterator_traitsIS13_E10value_typeET2_T3_PNS14_IS19_E10value_typeET4_jRbjT5_S1F_jjP12ihipStream_tbEUljE_ZNSN_ISO_Lb1ESR_SS_SU_SV_SZ_EES10_S11_S12_S13_S17_S18_S19_S1C_S1D_jS1E_jS1F_S1F_jjS1H_bEUljE0_EEES10_S11_S12_S19_S1D_S1F_T6_T7_T9_mT8_S1H_bDpT10_ENKUlT_T0_E_clISt17integral_constantIbLb0EES1V_EEDaS1Q_S1R_EUlS1Q_E_NS1_11comp_targetILNS1_3genE9ELNS1_11target_archE1100ELNS1_3gpuE3ELNS1_3repE0EEENS1_30default_config_static_selectorELNS0_4arch9wavefront6targetE1EEEvS13_
                                        ; -- End function
	.set _ZN7rocprim17ROCPRIM_400000_NS6detail17trampoline_kernelINS0_13select_configILj256ELj13ELNS0_17block_load_methodE3ELS4_3ELS4_3ELNS0_20block_scan_algorithmE0ELj4294967295EEENS1_25partition_config_selectorILNS1_17partition_subalgoE4EjNS0_10empty_typeEbEEZZNS1_14partition_implILS8_4ELb0ES6_15HIP_vector_typeIjLj2EENS0_17counting_iteratorIjlEEPS9_SG_NS0_5tupleIJPjSI_NS0_16reverse_iteratorISI_EEEEENSH_IJSG_SG_SG_EEES9_SI_JZNS1_25segmented_radix_sort_implINS0_14default_configELb1EPK6__halfPSP_PKlPlN2at6native12_GLOBAL__N_18offset_tEEE10hipError_tPvRmT1_PNSt15iterator_traitsIS13_E10value_typeET2_T3_PNS14_IS19_E10value_typeET4_jRbjT5_S1F_jjP12ihipStream_tbEUljE_ZNSN_ISO_Lb1ESR_SS_SU_SV_SZ_EES10_S11_S12_S13_S17_S18_S19_S1C_S1D_jS1E_jS1F_S1F_jjS1H_bEUljE0_EEES10_S11_S12_S19_S1D_S1F_T6_T7_T9_mT8_S1H_bDpT10_ENKUlT_T0_E_clISt17integral_constantIbLb0EES1V_EEDaS1Q_S1R_EUlS1Q_E_NS1_11comp_targetILNS1_3genE9ELNS1_11target_archE1100ELNS1_3gpuE3ELNS1_3repE0EEENS1_30default_config_static_selectorELNS0_4arch9wavefront6targetE1EEEvS13_.num_vgpr, 0
	.set _ZN7rocprim17ROCPRIM_400000_NS6detail17trampoline_kernelINS0_13select_configILj256ELj13ELNS0_17block_load_methodE3ELS4_3ELS4_3ELNS0_20block_scan_algorithmE0ELj4294967295EEENS1_25partition_config_selectorILNS1_17partition_subalgoE4EjNS0_10empty_typeEbEEZZNS1_14partition_implILS8_4ELb0ES6_15HIP_vector_typeIjLj2EENS0_17counting_iteratorIjlEEPS9_SG_NS0_5tupleIJPjSI_NS0_16reverse_iteratorISI_EEEEENSH_IJSG_SG_SG_EEES9_SI_JZNS1_25segmented_radix_sort_implINS0_14default_configELb1EPK6__halfPSP_PKlPlN2at6native12_GLOBAL__N_18offset_tEEE10hipError_tPvRmT1_PNSt15iterator_traitsIS13_E10value_typeET2_T3_PNS14_IS19_E10value_typeET4_jRbjT5_S1F_jjP12ihipStream_tbEUljE_ZNSN_ISO_Lb1ESR_SS_SU_SV_SZ_EES10_S11_S12_S13_S17_S18_S19_S1C_S1D_jS1E_jS1F_S1F_jjS1H_bEUljE0_EEES10_S11_S12_S19_S1D_S1F_T6_T7_T9_mT8_S1H_bDpT10_ENKUlT_T0_E_clISt17integral_constantIbLb0EES1V_EEDaS1Q_S1R_EUlS1Q_E_NS1_11comp_targetILNS1_3genE9ELNS1_11target_archE1100ELNS1_3gpuE3ELNS1_3repE0EEENS1_30default_config_static_selectorELNS0_4arch9wavefront6targetE1EEEvS13_.num_agpr, 0
	.set _ZN7rocprim17ROCPRIM_400000_NS6detail17trampoline_kernelINS0_13select_configILj256ELj13ELNS0_17block_load_methodE3ELS4_3ELS4_3ELNS0_20block_scan_algorithmE0ELj4294967295EEENS1_25partition_config_selectorILNS1_17partition_subalgoE4EjNS0_10empty_typeEbEEZZNS1_14partition_implILS8_4ELb0ES6_15HIP_vector_typeIjLj2EENS0_17counting_iteratorIjlEEPS9_SG_NS0_5tupleIJPjSI_NS0_16reverse_iteratorISI_EEEEENSH_IJSG_SG_SG_EEES9_SI_JZNS1_25segmented_radix_sort_implINS0_14default_configELb1EPK6__halfPSP_PKlPlN2at6native12_GLOBAL__N_18offset_tEEE10hipError_tPvRmT1_PNSt15iterator_traitsIS13_E10value_typeET2_T3_PNS14_IS19_E10value_typeET4_jRbjT5_S1F_jjP12ihipStream_tbEUljE_ZNSN_ISO_Lb1ESR_SS_SU_SV_SZ_EES10_S11_S12_S13_S17_S18_S19_S1C_S1D_jS1E_jS1F_S1F_jjS1H_bEUljE0_EEES10_S11_S12_S19_S1D_S1F_T6_T7_T9_mT8_S1H_bDpT10_ENKUlT_T0_E_clISt17integral_constantIbLb0EES1V_EEDaS1Q_S1R_EUlS1Q_E_NS1_11comp_targetILNS1_3genE9ELNS1_11target_archE1100ELNS1_3gpuE3ELNS1_3repE0EEENS1_30default_config_static_selectorELNS0_4arch9wavefront6targetE1EEEvS13_.numbered_sgpr, 0
	.set _ZN7rocprim17ROCPRIM_400000_NS6detail17trampoline_kernelINS0_13select_configILj256ELj13ELNS0_17block_load_methodE3ELS4_3ELS4_3ELNS0_20block_scan_algorithmE0ELj4294967295EEENS1_25partition_config_selectorILNS1_17partition_subalgoE4EjNS0_10empty_typeEbEEZZNS1_14partition_implILS8_4ELb0ES6_15HIP_vector_typeIjLj2EENS0_17counting_iteratorIjlEEPS9_SG_NS0_5tupleIJPjSI_NS0_16reverse_iteratorISI_EEEEENSH_IJSG_SG_SG_EEES9_SI_JZNS1_25segmented_radix_sort_implINS0_14default_configELb1EPK6__halfPSP_PKlPlN2at6native12_GLOBAL__N_18offset_tEEE10hipError_tPvRmT1_PNSt15iterator_traitsIS13_E10value_typeET2_T3_PNS14_IS19_E10value_typeET4_jRbjT5_S1F_jjP12ihipStream_tbEUljE_ZNSN_ISO_Lb1ESR_SS_SU_SV_SZ_EES10_S11_S12_S13_S17_S18_S19_S1C_S1D_jS1E_jS1F_S1F_jjS1H_bEUljE0_EEES10_S11_S12_S19_S1D_S1F_T6_T7_T9_mT8_S1H_bDpT10_ENKUlT_T0_E_clISt17integral_constantIbLb0EES1V_EEDaS1Q_S1R_EUlS1Q_E_NS1_11comp_targetILNS1_3genE9ELNS1_11target_archE1100ELNS1_3gpuE3ELNS1_3repE0EEENS1_30default_config_static_selectorELNS0_4arch9wavefront6targetE1EEEvS13_.num_named_barrier, 0
	.set _ZN7rocprim17ROCPRIM_400000_NS6detail17trampoline_kernelINS0_13select_configILj256ELj13ELNS0_17block_load_methodE3ELS4_3ELS4_3ELNS0_20block_scan_algorithmE0ELj4294967295EEENS1_25partition_config_selectorILNS1_17partition_subalgoE4EjNS0_10empty_typeEbEEZZNS1_14partition_implILS8_4ELb0ES6_15HIP_vector_typeIjLj2EENS0_17counting_iteratorIjlEEPS9_SG_NS0_5tupleIJPjSI_NS0_16reverse_iteratorISI_EEEEENSH_IJSG_SG_SG_EEES9_SI_JZNS1_25segmented_radix_sort_implINS0_14default_configELb1EPK6__halfPSP_PKlPlN2at6native12_GLOBAL__N_18offset_tEEE10hipError_tPvRmT1_PNSt15iterator_traitsIS13_E10value_typeET2_T3_PNS14_IS19_E10value_typeET4_jRbjT5_S1F_jjP12ihipStream_tbEUljE_ZNSN_ISO_Lb1ESR_SS_SU_SV_SZ_EES10_S11_S12_S13_S17_S18_S19_S1C_S1D_jS1E_jS1F_S1F_jjS1H_bEUljE0_EEES10_S11_S12_S19_S1D_S1F_T6_T7_T9_mT8_S1H_bDpT10_ENKUlT_T0_E_clISt17integral_constantIbLb0EES1V_EEDaS1Q_S1R_EUlS1Q_E_NS1_11comp_targetILNS1_3genE9ELNS1_11target_archE1100ELNS1_3gpuE3ELNS1_3repE0EEENS1_30default_config_static_selectorELNS0_4arch9wavefront6targetE1EEEvS13_.private_seg_size, 0
	.set _ZN7rocprim17ROCPRIM_400000_NS6detail17trampoline_kernelINS0_13select_configILj256ELj13ELNS0_17block_load_methodE3ELS4_3ELS4_3ELNS0_20block_scan_algorithmE0ELj4294967295EEENS1_25partition_config_selectorILNS1_17partition_subalgoE4EjNS0_10empty_typeEbEEZZNS1_14partition_implILS8_4ELb0ES6_15HIP_vector_typeIjLj2EENS0_17counting_iteratorIjlEEPS9_SG_NS0_5tupleIJPjSI_NS0_16reverse_iteratorISI_EEEEENSH_IJSG_SG_SG_EEES9_SI_JZNS1_25segmented_radix_sort_implINS0_14default_configELb1EPK6__halfPSP_PKlPlN2at6native12_GLOBAL__N_18offset_tEEE10hipError_tPvRmT1_PNSt15iterator_traitsIS13_E10value_typeET2_T3_PNS14_IS19_E10value_typeET4_jRbjT5_S1F_jjP12ihipStream_tbEUljE_ZNSN_ISO_Lb1ESR_SS_SU_SV_SZ_EES10_S11_S12_S13_S17_S18_S19_S1C_S1D_jS1E_jS1F_S1F_jjS1H_bEUljE0_EEES10_S11_S12_S19_S1D_S1F_T6_T7_T9_mT8_S1H_bDpT10_ENKUlT_T0_E_clISt17integral_constantIbLb0EES1V_EEDaS1Q_S1R_EUlS1Q_E_NS1_11comp_targetILNS1_3genE9ELNS1_11target_archE1100ELNS1_3gpuE3ELNS1_3repE0EEENS1_30default_config_static_selectorELNS0_4arch9wavefront6targetE1EEEvS13_.uses_vcc, 0
	.set _ZN7rocprim17ROCPRIM_400000_NS6detail17trampoline_kernelINS0_13select_configILj256ELj13ELNS0_17block_load_methodE3ELS4_3ELS4_3ELNS0_20block_scan_algorithmE0ELj4294967295EEENS1_25partition_config_selectorILNS1_17partition_subalgoE4EjNS0_10empty_typeEbEEZZNS1_14partition_implILS8_4ELb0ES6_15HIP_vector_typeIjLj2EENS0_17counting_iteratorIjlEEPS9_SG_NS0_5tupleIJPjSI_NS0_16reverse_iteratorISI_EEEEENSH_IJSG_SG_SG_EEES9_SI_JZNS1_25segmented_radix_sort_implINS0_14default_configELb1EPK6__halfPSP_PKlPlN2at6native12_GLOBAL__N_18offset_tEEE10hipError_tPvRmT1_PNSt15iterator_traitsIS13_E10value_typeET2_T3_PNS14_IS19_E10value_typeET4_jRbjT5_S1F_jjP12ihipStream_tbEUljE_ZNSN_ISO_Lb1ESR_SS_SU_SV_SZ_EES10_S11_S12_S13_S17_S18_S19_S1C_S1D_jS1E_jS1F_S1F_jjS1H_bEUljE0_EEES10_S11_S12_S19_S1D_S1F_T6_T7_T9_mT8_S1H_bDpT10_ENKUlT_T0_E_clISt17integral_constantIbLb0EES1V_EEDaS1Q_S1R_EUlS1Q_E_NS1_11comp_targetILNS1_3genE9ELNS1_11target_archE1100ELNS1_3gpuE3ELNS1_3repE0EEENS1_30default_config_static_selectorELNS0_4arch9wavefront6targetE1EEEvS13_.uses_flat_scratch, 0
	.set _ZN7rocprim17ROCPRIM_400000_NS6detail17trampoline_kernelINS0_13select_configILj256ELj13ELNS0_17block_load_methodE3ELS4_3ELS4_3ELNS0_20block_scan_algorithmE0ELj4294967295EEENS1_25partition_config_selectorILNS1_17partition_subalgoE4EjNS0_10empty_typeEbEEZZNS1_14partition_implILS8_4ELb0ES6_15HIP_vector_typeIjLj2EENS0_17counting_iteratorIjlEEPS9_SG_NS0_5tupleIJPjSI_NS0_16reverse_iteratorISI_EEEEENSH_IJSG_SG_SG_EEES9_SI_JZNS1_25segmented_radix_sort_implINS0_14default_configELb1EPK6__halfPSP_PKlPlN2at6native12_GLOBAL__N_18offset_tEEE10hipError_tPvRmT1_PNSt15iterator_traitsIS13_E10value_typeET2_T3_PNS14_IS19_E10value_typeET4_jRbjT5_S1F_jjP12ihipStream_tbEUljE_ZNSN_ISO_Lb1ESR_SS_SU_SV_SZ_EES10_S11_S12_S13_S17_S18_S19_S1C_S1D_jS1E_jS1F_S1F_jjS1H_bEUljE0_EEES10_S11_S12_S19_S1D_S1F_T6_T7_T9_mT8_S1H_bDpT10_ENKUlT_T0_E_clISt17integral_constantIbLb0EES1V_EEDaS1Q_S1R_EUlS1Q_E_NS1_11comp_targetILNS1_3genE9ELNS1_11target_archE1100ELNS1_3gpuE3ELNS1_3repE0EEENS1_30default_config_static_selectorELNS0_4arch9wavefront6targetE1EEEvS13_.has_dyn_sized_stack, 0
	.set _ZN7rocprim17ROCPRIM_400000_NS6detail17trampoline_kernelINS0_13select_configILj256ELj13ELNS0_17block_load_methodE3ELS4_3ELS4_3ELNS0_20block_scan_algorithmE0ELj4294967295EEENS1_25partition_config_selectorILNS1_17partition_subalgoE4EjNS0_10empty_typeEbEEZZNS1_14partition_implILS8_4ELb0ES6_15HIP_vector_typeIjLj2EENS0_17counting_iteratorIjlEEPS9_SG_NS0_5tupleIJPjSI_NS0_16reverse_iteratorISI_EEEEENSH_IJSG_SG_SG_EEES9_SI_JZNS1_25segmented_radix_sort_implINS0_14default_configELb1EPK6__halfPSP_PKlPlN2at6native12_GLOBAL__N_18offset_tEEE10hipError_tPvRmT1_PNSt15iterator_traitsIS13_E10value_typeET2_T3_PNS14_IS19_E10value_typeET4_jRbjT5_S1F_jjP12ihipStream_tbEUljE_ZNSN_ISO_Lb1ESR_SS_SU_SV_SZ_EES10_S11_S12_S13_S17_S18_S19_S1C_S1D_jS1E_jS1F_S1F_jjS1H_bEUljE0_EEES10_S11_S12_S19_S1D_S1F_T6_T7_T9_mT8_S1H_bDpT10_ENKUlT_T0_E_clISt17integral_constantIbLb0EES1V_EEDaS1Q_S1R_EUlS1Q_E_NS1_11comp_targetILNS1_3genE9ELNS1_11target_archE1100ELNS1_3gpuE3ELNS1_3repE0EEENS1_30default_config_static_selectorELNS0_4arch9wavefront6targetE1EEEvS13_.has_recursion, 0
	.set _ZN7rocprim17ROCPRIM_400000_NS6detail17trampoline_kernelINS0_13select_configILj256ELj13ELNS0_17block_load_methodE3ELS4_3ELS4_3ELNS0_20block_scan_algorithmE0ELj4294967295EEENS1_25partition_config_selectorILNS1_17partition_subalgoE4EjNS0_10empty_typeEbEEZZNS1_14partition_implILS8_4ELb0ES6_15HIP_vector_typeIjLj2EENS0_17counting_iteratorIjlEEPS9_SG_NS0_5tupleIJPjSI_NS0_16reverse_iteratorISI_EEEEENSH_IJSG_SG_SG_EEES9_SI_JZNS1_25segmented_radix_sort_implINS0_14default_configELb1EPK6__halfPSP_PKlPlN2at6native12_GLOBAL__N_18offset_tEEE10hipError_tPvRmT1_PNSt15iterator_traitsIS13_E10value_typeET2_T3_PNS14_IS19_E10value_typeET4_jRbjT5_S1F_jjP12ihipStream_tbEUljE_ZNSN_ISO_Lb1ESR_SS_SU_SV_SZ_EES10_S11_S12_S13_S17_S18_S19_S1C_S1D_jS1E_jS1F_S1F_jjS1H_bEUljE0_EEES10_S11_S12_S19_S1D_S1F_T6_T7_T9_mT8_S1H_bDpT10_ENKUlT_T0_E_clISt17integral_constantIbLb0EES1V_EEDaS1Q_S1R_EUlS1Q_E_NS1_11comp_targetILNS1_3genE9ELNS1_11target_archE1100ELNS1_3gpuE3ELNS1_3repE0EEENS1_30default_config_static_selectorELNS0_4arch9wavefront6targetE1EEEvS13_.has_indirect_call, 0
	.section	.AMDGPU.csdata,"",@progbits
; Kernel info:
; codeLenInByte = 0
; TotalNumSgprs: 4
; NumVgprs: 0
; ScratchSize: 0
; MemoryBound: 0
; FloatMode: 240
; IeeeMode: 1
; LDSByteSize: 0 bytes/workgroup (compile time only)
; SGPRBlocks: 0
; VGPRBlocks: 0
; NumSGPRsForWavesPerEU: 4
; NumVGPRsForWavesPerEU: 1
; Occupancy: 10
; WaveLimiterHint : 0
; COMPUTE_PGM_RSRC2:SCRATCH_EN: 0
; COMPUTE_PGM_RSRC2:USER_SGPR: 6
; COMPUTE_PGM_RSRC2:TRAP_HANDLER: 0
; COMPUTE_PGM_RSRC2:TGID_X_EN: 1
; COMPUTE_PGM_RSRC2:TGID_Y_EN: 0
; COMPUTE_PGM_RSRC2:TGID_Z_EN: 0
; COMPUTE_PGM_RSRC2:TIDIG_COMP_CNT: 0
	.section	.text._ZN7rocprim17ROCPRIM_400000_NS6detail17trampoline_kernelINS0_13select_configILj256ELj13ELNS0_17block_load_methodE3ELS4_3ELS4_3ELNS0_20block_scan_algorithmE0ELj4294967295EEENS1_25partition_config_selectorILNS1_17partition_subalgoE4EjNS0_10empty_typeEbEEZZNS1_14partition_implILS8_4ELb0ES6_15HIP_vector_typeIjLj2EENS0_17counting_iteratorIjlEEPS9_SG_NS0_5tupleIJPjSI_NS0_16reverse_iteratorISI_EEEEENSH_IJSG_SG_SG_EEES9_SI_JZNS1_25segmented_radix_sort_implINS0_14default_configELb1EPK6__halfPSP_PKlPlN2at6native12_GLOBAL__N_18offset_tEEE10hipError_tPvRmT1_PNSt15iterator_traitsIS13_E10value_typeET2_T3_PNS14_IS19_E10value_typeET4_jRbjT5_S1F_jjP12ihipStream_tbEUljE_ZNSN_ISO_Lb1ESR_SS_SU_SV_SZ_EES10_S11_S12_S13_S17_S18_S19_S1C_S1D_jS1E_jS1F_S1F_jjS1H_bEUljE0_EEES10_S11_S12_S19_S1D_S1F_T6_T7_T9_mT8_S1H_bDpT10_ENKUlT_T0_E_clISt17integral_constantIbLb0EES1V_EEDaS1Q_S1R_EUlS1Q_E_NS1_11comp_targetILNS1_3genE8ELNS1_11target_archE1030ELNS1_3gpuE2ELNS1_3repE0EEENS1_30default_config_static_selectorELNS0_4arch9wavefront6targetE1EEEvS13_,"axG",@progbits,_ZN7rocprim17ROCPRIM_400000_NS6detail17trampoline_kernelINS0_13select_configILj256ELj13ELNS0_17block_load_methodE3ELS4_3ELS4_3ELNS0_20block_scan_algorithmE0ELj4294967295EEENS1_25partition_config_selectorILNS1_17partition_subalgoE4EjNS0_10empty_typeEbEEZZNS1_14partition_implILS8_4ELb0ES6_15HIP_vector_typeIjLj2EENS0_17counting_iteratorIjlEEPS9_SG_NS0_5tupleIJPjSI_NS0_16reverse_iteratorISI_EEEEENSH_IJSG_SG_SG_EEES9_SI_JZNS1_25segmented_radix_sort_implINS0_14default_configELb1EPK6__halfPSP_PKlPlN2at6native12_GLOBAL__N_18offset_tEEE10hipError_tPvRmT1_PNSt15iterator_traitsIS13_E10value_typeET2_T3_PNS14_IS19_E10value_typeET4_jRbjT5_S1F_jjP12ihipStream_tbEUljE_ZNSN_ISO_Lb1ESR_SS_SU_SV_SZ_EES10_S11_S12_S13_S17_S18_S19_S1C_S1D_jS1E_jS1F_S1F_jjS1H_bEUljE0_EEES10_S11_S12_S19_S1D_S1F_T6_T7_T9_mT8_S1H_bDpT10_ENKUlT_T0_E_clISt17integral_constantIbLb0EES1V_EEDaS1Q_S1R_EUlS1Q_E_NS1_11comp_targetILNS1_3genE8ELNS1_11target_archE1030ELNS1_3gpuE2ELNS1_3repE0EEENS1_30default_config_static_selectorELNS0_4arch9wavefront6targetE1EEEvS13_,comdat
	.globl	_ZN7rocprim17ROCPRIM_400000_NS6detail17trampoline_kernelINS0_13select_configILj256ELj13ELNS0_17block_load_methodE3ELS4_3ELS4_3ELNS0_20block_scan_algorithmE0ELj4294967295EEENS1_25partition_config_selectorILNS1_17partition_subalgoE4EjNS0_10empty_typeEbEEZZNS1_14partition_implILS8_4ELb0ES6_15HIP_vector_typeIjLj2EENS0_17counting_iteratorIjlEEPS9_SG_NS0_5tupleIJPjSI_NS0_16reverse_iteratorISI_EEEEENSH_IJSG_SG_SG_EEES9_SI_JZNS1_25segmented_radix_sort_implINS0_14default_configELb1EPK6__halfPSP_PKlPlN2at6native12_GLOBAL__N_18offset_tEEE10hipError_tPvRmT1_PNSt15iterator_traitsIS13_E10value_typeET2_T3_PNS14_IS19_E10value_typeET4_jRbjT5_S1F_jjP12ihipStream_tbEUljE_ZNSN_ISO_Lb1ESR_SS_SU_SV_SZ_EES10_S11_S12_S13_S17_S18_S19_S1C_S1D_jS1E_jS1F_S1F_jjS1H_bEUljE0_EEES10_S11_S12_S19_S1D_S1F_T6_T7_T9_mT8_S1H_bDpT10_ENKUlT_T0_E_clISt17integral_constantIbLb0EES1V_EEDaS1Q_S1R_EUlS1Q_E_NS1_11comp_targetILNS1_3genE8ELNS1_11target_archE1030ELNS1_3gpuE2ELNS1_3repE0EEENS1_30default_config_static_selectorELNS0_4arch9wavefront6targetE1EEEvS13_ ; -- Begin function _ZN7rocprim17ROCPRIM_400000_NS6detail17trampoline_kernelINS0_13select_configILj256ELj13ELNS0_17block_load_methodE3ELS4_3ELS4_3ELNS0_20block_scan_algorithmE0ELj4294967295EEENS1_25partition_config_selectorILNS1_17partition_subalgoE4EjNS0_10empty_typeEbEEZZNS1_14partition_implILS8_4ELb0ES6_15HIP_vector_typeIjLj2EENS0_17counting_iteratorIjlEEPS9_SG_NS0_5tupleIJPjSI_NS0_16reverse_iteratorISI_EEEEENSH_IJSG_SG_SG_EEES9_SI_JZNS1_25segmented_radix_sort_implINS0_14default_configELb1EPK6__halfPSP_PKlPlN2at6native12_GLOBAL__N_18offset_tEEE10hipError_tPvRmT1_PNSt15iterator_traitsIS13_E10value_typeET2_T3_PNS14_IS19_E10value_typeET4_jRbjT5_S1F_jjP12ihipStream_tbEUljE_ZNSN_ISO_Lb1ESR_SS_SU_SV_SZ_EES10_S11_S12_S13_S17_S18_S19_S1C_S1D_jS1E_jS1F_S1F_jjS1H_bEUljE0_EEES10_S11_S12_S19_S1D_S1F_T6_T7_T9_mT8_S1H_bDpT10_ENKUlT_T0_E_clISt17integral_constantIbLb0EES1V_EEDaS1Q_S1R_EUlS1Q_E_NS1_11comp_targetILNS1_3genE8ELNS1_11target_archE1030ELNS1_3gpuE2ELNS1_3repE0EEENS1_30default_config_static_selectorELNS0_4arch9wavefront6targetE1EEEvS13_
	.p2align	8
	.type	_ZN7rocprim17ROCPRIM_400000_NS6detail17trampoline_kernelINS0_13select_configILj256ELj13ELNS0_17block_load_methodE3ELS4_3ELS4_3ELNS0_20block_scan_algorithmE0ELj4294967295EEENS1_25partition_config_selectorILNS1_17partition_subalgoE4EjNS0_10empty_typeEbEEZZNS1_14partition_implILS8_4ELb0ES6_15HIP_vector_typeIjLj2EENS0_17counting_iteratorIjlEEPS9_SG_NS0_5tupleIJPjSI_NS0_16reverse_iteratorISI_EEEEENSH_IJSG_SG_SG_EEES9_SI_JZNS1_25segmented_radix_sort_implINS0_14default_configELb1EPK6__halfPSP_PKlPlN2at6native12_GLOBAL__N_18offset_tEEE10hipError_tPvRmT1_PNSt15iterator_traitsIS13_E10value_typeET2_T3_PNS14_IS19_E10value_typeET4_jRbjT5_S1F_jjP12ihipStream_tbEUljE_ZNSN_ISO_Lb1ESR_SS_SU_SV_SZ_EES10_S11_S12_S13_S17_S18_S19_S1C_S1D_jS1E_jS1F_S1F_jjS1H_bEUljE0_EEES10_S11_S12_S19_S1D_S1F_T6_T7_T9_mT8_S1H_bDpT10_ENKUlT_T0_E_clISt17integral_constantIbLb0EES1V_EEDaS1Q_S1R_EUlS1Q_E_NS1_11comp_targetILNS1_3genE8ELNS1_11target_archE1030ELNS1_3gpuE2ELNS1_3repE0EEENS1_30default_config_static_selectorELNS0_4arch9wavefront6targetE1EEEvS13_,@function
_ZN7rocprim17ROCPRIM_400000_NS6detail17trampoline_kernelINS0_13select_configILj256ELj13ELNS0_17block_load_methodE3ELS4_3ELS4_3ELNS0_20block_scan_algorithmE0ELj4294967295EEENS1_25partition_config_selectorILNS1_17partition_subalgoE4EjNS0_10empty_typeEbEEZZNS1_14partition_implILS8_4ELb0ES6_15HIP_vector_typeIjLj2EENS0_17counting_iteratorIjlEEPS9_SG_NS0_5tupleIJPjSI_NS0_16reverse_iteratorISI_EEEEENSH_IJSG_SG_SG_EEES9_SI_JZNS1_25segmented_radix_sort_implINS0_14default_configELb1EPK6__halfPSP_PKlPlN2at6native12_GLOBAL__N_18offset_tEEE10hipError_tPvRmT1_PNSt15iterator_traitsIS13_E10value_typeET2_T3_PNS14_IS19_E10value_typeET4_jRbjT5_S1F_jjP12ihipStream_tbEUljE_ZNSN_ISO_Lb1ESR_SS_SU_SV_SZ_EES10_S11_S12_S13_S17_S18_S19_S1C_S1D_jS1E_jS1F_S1F_jjS1H_bEUljE0_EEES10_S11_S12_S19_S1D_S1F_T6_T7_T9_mT8_S1H_bDpT10_ENKUlT_T0_E_clISt17integral_constantIbLb0EES1V_EEDaS1Q_S1R_EUlS1Q_E_NS1_11comp_targetILNS1_3genE8ELNS1_11target_archE1030ELNS1_3gpuE2ELNS1_3repE0EEENS1_30default_config_static_selectorELNS0_4arch9wavefront6targetE1EEEvS13_: ; @_ZN7rocprim17ROCPRIM_400000_NS6detail17trampoline_kernelINS0_13select_configILj256ELj13ELNS0_17block_load_methodE3ELS4_3ELS4_3ELNS0_20block_scan_algorithmE0ELj4294967295EEENS1_25partition_config_selectorILNS1_17partition_subalgoE4EjNS0_10empty_typeEbEEZZNS1_14partition_implILS8_4ELb0ES6_15HIP_vector_typeIjLj2EENS0_17counting_iteratorIjlEEPS9_SG_NS0_5tupleIJPjSI_NS0_16reverse_iteratorISI_EEEEENSH_IJSG_SG_SG_EEES9_SI_JZNS1_25segmented_radix_sort_implINS0_14default_configELb1EPK6__halfPSP_PKlPlN2at6native12_GLOBAL__N_18offset_tEEE10hipError_tPvRmT1_PNSt15iterator_traitsIS13_E10value_typeET2_T3_PNS14_IS19_E10value_typeET4_jRbjT5_S1F_jjP12ihipStream_tbEUljE_ZNSN_ISO_Lb1ESR_SS_SU_SV_SZ_EES10_S11_S12_S13_S17_S18_S19_S1C_S1D_jS1E_jS1F_S1F_jjS1H_bEUljE0_EEES10_S11_S12_S19_S1D_S1F_T6_T7_T9_mT8_S1H_bDpT10_ENKUlT_T0_E_clISt17integral_constantIbLb0EES1V_EEDaS1Q_S1R_EUlS1Q_E_NS1_11comp_targetILNS1_3genE8ELNS1_11target_archE1030ELNS1_3gpuE2ELNS1_3repE0EEENS1_30default_config_static_selectorELNS0_4arch9wavefront6targetE1EEEvS13_
; %bb.0:
	.section	.rodata,"a",@progbits
	.p2align	6, 0x0
	.amdhsa_kernel _ZN7rocprim17ROCPRIM_400000_NS6detail17trampoline_kernelINS0_13select_configILj256ELj13ELNS0_17block_load_methodE3ELS4_3ELS4_3ELNS0_20block_scan_algorithmE0ELj4294967295EEENS1_25partition_config_selectorILNS1_17partition_subalgoE4EjNS0_10empty_typeEbEEZZNS1_14partition_implILS8_4ELb0ES6_15HIP_vector_typeIjLj2EENS0_17counting_iteratorIjlEEPS9_SG_NS0_5tupleIJPjSI_NS0_16reverse_iteratorISI_EEEEENSH_IJSG_SG_SG_EEES9_SI_JZNS1_25segmented_radix_sort_implINS0_14default_configELb1EPK6__halfPSP_PKlPlN2at6native12_GLOBAL__N_18offset_tEEE10hipError_tPvRmT1_PNSt15iterator_traitsIS13_E10value_typeET2_T3_PNS14_IS19_E10value_typeET4_jRbjT5_S1F_jjP12ihipStream_tbEUljE_ZNSN_ISO_Lb1ESR_SS_SU_SV_SZ_EES10_S11_S12_S13_S17_S18_S19_S1C_S1D_jS1E_jS1F_S1F_jjS1H_bEUljE0_EEES10_S11_S12_S19_S1D_S1F_T6_T7_T9_mT8_S1H_bDpT10_ENKUlT_T0_E_clISt17integral_constantIbLb0EES1V_EEDaS1Q_S1R_EUlS1Q_E_NS1_11comp_targetILNS1_3genE8ELNS1_11target_archE1030ELNS1_3gpuE2ELNS1_3repE0EEENS1_30default_config_static_selectorELNS0_4arch9wavefront6targetE1EEEvS13_
		.amdhsa_group_segment_fixed_size 0
		.amdhsa_private_segment_fixed_size 0
		.amdhsa_kernarg_size 176
		.amdhsa_user_sgpr_count 6
		.amdhsa_user_sgpr_private_segment_buffer 1
		.amdhsa_user_sgpr_dispatch_ptr 0
		.amdhsa_user_sgpr_queue_ptr 0
		.amdhsa_user_sgpr_kernarg_segment_ptr 1
		.amdhsa_user_sgpr_dispatch_id 0
		.amdhsa_user_sgpr_flat_scratch_init 0
		.amdhsa_user_sgpr_private_segment_size 0
		.amdhsa_uses_dynamic_stack 0
		.amdhsa_system_sgpr_private_segment_wavefront_offset 0
		.amdhsa_system_sgpr_workgroup_id_x 1
		.amdhsa_system_sgpr_workgroup_id_y 0
		.amdhsa_system_sgpr_workgroup_id_z 0
		.amdhsa_system_sgpr_workgroup_info 0
		.amdhsa_system_vgpr_workitem_id 0
		.amdhsa_next_free_vgpr 1
		.amdhsa_next_free_sgpr 0
		.amdhsa_reserve_vcc 0
		.amdhsa_reserve_flat_scratch 0
		.amdhsa_float_round_mode_32 0
		.amdhsa_float_round_mode_16_64 0
		.amdhsa_float_denorm_mode_32 3
		.amdhsa_float_denorm_mode_16_64 3
		.amdhsa_dx10_clamp 1
		.amdhsa_ieee_mode 1
		.amdhsa_fp16_overflow 0
		.amdhsa_exception_fp_ieee_invalid_op 0
		.amdhsa_exception_fp_denorm_src 0
		.amdhsa_exception_fp_ieee_div_zero 0
		.amdhsa_exception_fp_ieee_overflow 0
		.amdhsa_exception_fp_ieee_underflow 0
		.amdhsa_exception_fp_ieee_inexact 0
		.amdhsa_exception_int_div_zero 0
	.end_amdhsa_kernel
	.section	.text._ZN7rocprim17ROCPRIM_400000_NS6detail17trampoline_kernelINS0_13select_configILj256ELj13ELNS0_17block_load_methodE3ELS4_3ELS4_3ELNS0_20block_scan_algorithmE0ELj4294967295EEENS1_25partition_config_selectorILNS1_17partition_subalgoE4EjNS0_10empty_typeEbEEZZNS1_14partition_implILS8_4ELb0ES6_15HIP_vector_typeIjLj2EENS0_17counting_iteratorIjlEEPS9_SG_NS0_5tupleIJPjSI_NS0_16reverse_iteratorISI_EEEEENSH_IJSG_SG_SG_EEES9_SI_JZNS1_25segmented_radix_sort_implINS0_14default_configELb1EPK6__halfPSP_PKlPlN2at6native12_GLOBAL__N_18offset_tEEE10hipError_tPvRmT1_PNSt15iterator_traitsIS13_E10value_typeET2_T3_PNS14_IS19_E10value_typeET4_jRbjT5_S1F_jjP12ihipStream_tbEUljE_ZNSN_ISO_Lb1ESR_SS_SU_SV_SZ_EES10_S11_S12_S13_S17_S18_S19_S1C_S1D_jS1E_jS1F_S1F_jjS1H_bEUljE0_EEES10_S11_S12_S19_S1D_S1F_T6_T7_T9_mT8_S1H_bDpT10_ENKUlT_T0_E_clISt17integral_constantIbLb0EES1V_EEDaS1Q_S1R_EUlS1Q_E_NS1_11comp_targetILNS1_3genE8ELNS1_11target_archE1030ELNS1_3gpuE2ELNS1_3repE0EEENS1_30default_config_static_selectorELNS0_4arch9wavefront6targetE1EEEvS13_,"axG",@progbits,_ZN7rocprim17ROCPRIM_400000_NS6detail17trampoline_kernelINS0_13select_configILj256ELj13ELNS0_17block_load_methodE3ELS4_3ELS4_3ELNS0_20block_scan_algorithmE0ELj4294967295EEENS1_25partition_config_selectorILNS1_17partition_subalgoE4EjNS0_10empty_typeEbEEZZNS1_14partition_implILS8_4ELb0ES6_15HIP_vector_typeIjLj2EENS0_17counting_iteratorIjlEEPS9_SG_NS0_5tupleIJPjSI_NS0_16reverse_iteratorISI_EEEEENSH_IJSG_SG_SG_EEES9_SI_JZNS1_25segmented_radix_sort_implINS0_14default_configELb1EPK6__halfPSP_PKlPlN2at6native12_GLOBAL__N_18offset_tEEE10hipError_tPvRmT1_PNSt15iterator_traitsIS13_E10value_typeET2_T3_PNS14_IS19_E10value_typeET4_jRbjT5_S1F_jjP12ihipStream_tbEUljE_ZNSN_ISO_Lb1ESR_SS_SU_SV_SZ_EES10_S11_S12_S13_S17_S18_S19_S1C_S1D_jS1E_jS1F_S1F_jjS1H_bEUljE0_EEES10_S11_S12_S19_S1D_S1F_T6_T7_T9_mT8_S1H_bDpT10_ENKUlT_T0_E_clISt17integral_constantIbLb0EES1V_EEDaS1Q_S1R_EUlS1Q_E_NS1_11comp_targetILNS1_3genE8ELNS1_11target_archE1030ELNS1_3gpuE2ELNS1_3repE0EEENS1_30default_config_static_selectorELNS0_4arch9wavefront6targetE1EEEvS13_,comdat
.Lfunc_end1682:
	.size	_ZN7rocprim17ROCPRIM_400000_NS6detail17trampoline_kernelINS0_13select_configILj256ELj13ELNS0_17block_load_methodE3ELS4_3ELS4_3ELNS0_20block_scan_algorithmE0ELj4294967295EEENS1_25partition_config_selectorILNS1_17partition_subalgoE4EjNS0_10empty_typeEbEEZZNS1_14partition_implILS8_4ELb0ES6_15HIP_vector_typeIjLj2EENS0_17counting_iteratorIjlEEPS9_SG_NS0_5tupleIJPjSI_NS0_16reverse_iteratorISI_EEEEENSH_IJSG_SG_SG_EEES9_SI_JZNS1_25segmented_radix_sort_implINS0_14default_configELb1EPK6__halfPSP_PKlPlN2at6native12_GLOBAL__N_18offset_tEEE10hipError_tPvRmT1_PNSt15iterator_traitsIS13_E10value_typeET2_T3_PNS14_IS19_E10value_typeET4_jRbjT5_S1F_jjP12ihipStream_tbEUljE_ZNSN_ISO_Lb1ESR_SS_SU_SV_SZ_EES10_S11_S12_S13_S17_S18_S19_S1C_S1D_jS1E_jS1F_S1F_jjS1H_bEUljE0_EEES10_S11_S12_S19_S1D_S1F_T6_T7_T9_mT8_S1H_bDpT10_ENKUlT_T0_E_clISt17integral_constantIbLb0EES1V_EEDaS1Q_S1R_EUlS1Q_E_NS1_11comp_targetILNS1_3genE8ELNS1_11target_archE1030ELNS1_3gpuE2ELNS1_3repE0EEENS1_30default_config_static_selectorELNS0_4arch9wavefront6targetE1EEEvS13_, .Lfunc_end1682-_ZN7rocprim17ROCPRIM_400000_NS6detail17trampoline_kernelINS0_13select_configILj256ELj13ELNS0_17block_load_methodE3ELS4_3ELS4_3ELNS0_20block_scan_algorithmE0ELj4294967295EEENS1_25partition_config_selectorILNS1_17partition_subalgoE4EjNS0_10empty_typeEbEEZZNS1_14partition_implILS8_4ELb0ES6_15HIP_vector_typeIjLj2EENS0_17counting_iteratorIjlEEPS9_SG_NS0_5tupleIJPjSI_NS0_16reverse_iteratorISI_EEEEENSH_IJSG_SG_SG_EEES9_SI_JZNS1_25segmented_radix_sort_implINS0_14default_configELb1EPK6__halfPSP_PKlPlN2at6native12_GLOBAL__N_18offset_tEEE10hipError_tPvRmT1_PNSt15iterator_traitsIS13_E10value_typeET2_T3_PNS14_IS19_E10value_typeET4_jRbjT5_S1F_jjP12ihipStream_tbEUljE_ZNSN_ISO_Lb1ESR_SS_SU_SV_SZ_EES10_S11_S12_S13_S17_S18_S19_S1C_S1D_jS1E_jS1F_S1F_jjS1H_bEUljE0_EEES10_S11_S12_S19_S1D_S1F_T6_T7_T9_mT8_S1H_bDpT10_ENKUlT_T0_E_clISt17integral_constantIbLb0EES1V_EEDaS1Q_S1R_EUlS1Q_E_NS1_11comp_targetILNS1_3genE8ELNS1_11target_archE1030ELNS1_3gpuE2ELNS1_3repE0EEENS1_30default_config_static_selectorELNS0_4arch9wavefront6targetE1EEEvS13_
                                        ; -- End function
	.set _ZN7rocprim17ROCPRIM_400000_NS6detail17trampoline_kernelINS0_13select_configILj256ELj13ELNS0_17block_load_methodE3ELS4_3ELS4_3ELNS0_20block_scan_algorithmE0ELj4294967295EEENS1_25partition_config_selectorILNS1_17partition_subalgoE4EjNS0_10empty_typeEbEEZZNS1_14partition_implILS8_4ELb0ES6_15HIP_vector_typeIjLj2EENS0_17counting_iteratorIjlEEPS9_SG_NS0_5tupleIJPjSI_NS0_16reverse_iteratorISI_EEEEENSH_IJSG_SG_SG_EEES9_SI_JZNS1_25segmented_radix_sort_implINS0_14default_configELb1EPK6__halfPSP_PKlPlN2at6native12_GLOBAL__N_18offset_tEEE10hipError_tPvRmT1_PNSt15iterator_traitsIS13_E10value_typeET2_T3_PNS14_IS19_E10value_typeET4_jRbjT5_S1F_jjP12ihipStream_tbEUljE_ZNSN_ISO_Lb1ESR_SS_SU_SV_SZ_EES10_S11_S12_S13_S17_S18_S19_S1C_S1D_jS1E_jS1F_S1F_jjS1H_bEUljE0_EEES10_S11_S12_S19_S1D_S1F_T6_T7_T9_mT8_S1H_bDpT10_ENKUlT_T0_E_clISt17integral_constantIbLb0EES1V_EEDaS1Q_S1R_EUlS1Q_E_NS1_11comp_targetILNS1_3genE8ELNS1_11target_archE1030ELNS1_3gpuE2ELNS1_3repE0EEENS1_30default_config_static_selectorELNS0_4arch9wavefront6targetE1EEEvS13_.num_vgpr, 0
	.set _ZN7rocprim17ROCPRIM_400000_NS6detail17trampoline_kernelINS0_13select_configILj256ELj13ELNS0_17block_load_methodE3ELS4_3ELS4_3ELNS0_20block_scan_algorithmE0ELj4294967295EEENS1_25partition_config_selectorILNS1_17partition_subalgoE4EjNS0_10empty_typeEbEEZZNS1_14partition_implILS8_4ELb0ES6_15HIP_vector_typeIjLj2EENS0_17counting_iteratorIjlEEPS9_SG_NS0_5tupleIJPjSI_NS0_16reverse_iteratorISI_EEEEENSH_IJSG_SG_SG_EEES9_SI_JZNS1_25segmented_radix_sort_implINS0_14default_configELb1EPK6__halfPSP_PKlPlN2at6native12_GLOBAL__N_18offset_tEEE10hipError_tPvRmT1_PNSt15iterator_traitsIS13_E10value_typeET2_T3_PNS14_IS19_E10value_typeET4_jRbjT5_S1F_jjP12ihipStream_tbEUljE_ZNSN_ISO_Lb1ESR_SS_SU_SV_SZ_EES10_S11_S12_S13_S17_S18_S19_S1C_S1D_jS1E_jS1F_S1F_jjS1H_bEUljE0_EEES10_S11_S12_S19_S1D_S1F_T6_T7_T9_mT8_S1H_bDpT10_ENKUlT_T0_E_clISt17integral_constantIbLb0EES1V_EEDaS1Q_S1R_EUlS1Q_E_NS1_11comp_targetILNS1_3genE8ELNS1_11target_archE1030ELNS1_3gpuE2ELNS1_3repE0EEENS1_30default_config_static_selectorELNS0_4arch9wavefront6targetE1EEEvS13_.num_agpr, 0
	.set _ZN7rocprim17ROCPRIM_400000_NS6detail17trampoline_kernelINS0_13select_configILj256ELj13ELNS0_17block_load_methodE3ELS4_3ELS4_3ELNS0_20block_scan_algorithmE0ELj4294967295EEENS1_25partition_config_selectorILNS1_17partition_subalgoE4EjNS0_10empty_typeEbEEZZNS1_14partition_implILS8_4ELb0ES6_15HIP_vector_typeIjLj2EENS0_17counting_iteratorIjlEEPS9_SG_NS0_5tupleIJPjSI_NS0_16reverse_iteratorISI_EEEEENSH_IJSG_SG_SG_EEES9_SI_JZNS1_25segmented_radix_sort_implINS0_14default_configELb1EPK6__halfPSP_PKlPlN2at6native12_GLOBAL__N_18offset_tEEE10hipError_tPvRmT1_PNSt15iterator_traitsIS13_E10value_typeET2_T3_PNS14_IS19_E10value_typeET4_jRbjT5_S1F_jjP12ihipStream_tbEUljE_ZNSN_ISO_Lb1ESR_SS_SU_SV_SZ_EES10_S11_S12_S13_S17_S18_S19_S1C_S1D_jS1E_jS1F_S1F_jjS1H_bEUljE0_EEES10_S11_S12_S19_S1D_S1F_T6_T7_T9_mT8_S1H_bDpT10_ENKUlT_T0_E_clISt17integral_constantIbLb0EES1V_EEDaS1Q_S1R_EUlS1Q_E_NS1_11comp_targetILNS1_3genE8ELNS1_11target_archE1030ELNS1_3gpuE2ELNS1_3repE0EEENS1_30default_config_static_selectorELNS0_4arch9wavefront6targetE1EEEvS13_.numbered_sgpr, 0
	.set _ZN7rocprim17ROCPRIM_400000_NS6detail17trampoline_kernelINS0_13select_configILj256ELj13ELNS0_17block_load_methodE3ELS4_3ELS4_3ELNS0_20block_scan_algorithmE0ELj4294967295EEENS1_25partition_config_selectorILNS1_17partition_subalgoE4EjNS0_10empty_typeEbEEZZNS1_14partition_implILS8_4ELb0ES6_15HIP_vector_typeIjLj2EENS0_17counting_iteratorIjlEEPS9_SG_NS0_5tupleIJPjSI_NS0_16reverse_iteratorISI_EEEEENSH_IJSG_SG_SG_EEES9_SI_JZNS1_25segmented_radix_sort_implINS0_14default_configELb1EPK6__halfPSP_PKlPlN2at6native12_GLOBAL__N_18offset_tEEE10hipError_tPvRmT1_PNSt15iterator_traitsIS13_E10value_typeET2_T3_PNS14_IS19_E10value_typeET4_jRbjT5_S1F_jjP12ihipStream_tbEUljE_ZNSN_ISO_Lb1ESR_SS_SU_SV_SZ_EES10_S11_S12_S13_S17_S18_S19_S1C_S1D_jS1E_jS1F_S1F_jjS1H_bEUljE0_EEES10_S11_S12_S19_S1D_S1F_T6_T7_T9_mT8_S1H_bDpT10_ENKUlT_T0_E_clISt17integral_constantIbLb0EES1V_EEDaS1Q_S1R_EUlS1Q_E_NS1_11comp_targetILNS1_3genE8ELNS1_11target_archE1030ELNS1_3gpuE2ELNS1_3repE0EEENS1_30default_config_static_selectorELNS0_4arch9wavefront6targetE1EEEvS13_.num_named_barrier, 0
	.set _ZN7rocprim17ROCPRIM_400000_NS6detail17trampoline_kernelINS0_13select_configILj256ELj13ELNS0_17block_load_methodE3ELS4_3ELS4_3ELNS0_20block_scan_algorithmE0ELj4294967295EEENS1_25partition_config_selectorILNS1_17partition_subalgoE4EjNS0_10empty_typeEbEEZZNS1_14partition_implILS8_4ELb0ES6_15HIP_vector_typeIjLj2EENS0_17counting_iteratorIjlEEPS9_SG_NS0_5tupleIJPjSI_NS0_16reverse_iteratorISI_EEEEENSH_IJSG_SG_SG_EEES9_SI_JZNS1_25segmented_radix_sort_implINS0_14default_configELb1EPK6__halfPSP_PKlPlN2at6native12_GLOBAL__N_18offset_tEEE10hipError_tPvRmT1_PNSt15iterator_traitsIS13_E10value_typeET2_T3_PNS14_IS19_E10value_typeET4_jRbjT5_S1F_jjP12ihipStream_tbEUljE_ZNSN_ISO_Lb1ESR_SS_SU_SV_SZ_EES10_S11_S12_S13_S17_S18_S19_S1C_S1D_jS1E_jS1F_S1F_jjS1H_bEUljE0_EEES10_S11_S12_S19_S1D_S1F_T6_T7_T9_mT8_S1H_bDpT10_ENKUlT_T0_E_clISt17integral_constantIbLb0EES1V_EEDaS1Q_S1R_EUlS1Q_E_NS1_11comp_targetILNS1_3genE8ELNS1_11target_archE1030ELNS1_3gpuE2ELNS1_3repE0EEENS1_30default_config_static_selectorELNS0_4arch9wavefront6targetE1EEEvS13_.private_seg_size, 0
	.set _ZN7rocprim17ROCPRIM_400000_NS6detail17trampoline_kernelINS0_13select_configILj256ELj13ELNS0_17block_load_methodE3ELS4_3ELS4_3ELNS0_20block_scan_algorithmE0ELj4294967295EEENS1_25partition_config_selectorILNS1_17partition_subalgoE4EjNS0_10empty_typeEbEEZZNS1_14partition_implILS8_4ELb0ES6_15HIP_vector_typeIjLj2EENS0_17counting_iteratorIjlEEPS9_SG_NS0_5tupleIJPjSI_NS0_16reverse_iteratorISI_EEEEENSH_IJSG_SG_SG_EEES9_SI_JZNS1_25segmented_radix_sort_implINS0_14default_configELb1EPK6__halfPSP_PKlPlN2at6native12_GLOBAL__N_18offset_tEEE10hipError_tPvRmT1_PNSt15iterator_traitsIS13_E10value_typeET2_T3_PNS14_IS19_E10value_typeET4_jRbjT5_S1F_jjP12ihipStream_tbEUljE_ZNSN_ISO_Lb1ESR_SS_SU_SV_SZ_EES10_S11_S12_S13_S17_S18_S19_S1C_S1D_jS1E_jS1F_S1F_jjS1H_bEUljE0_EEES10_S11_S12_S19_S1D_S1F_T6_T7_T9_mT8_S1H_bDpT10_ENKUlT_T0_E_clISt17integral_constantIbLb0EES1V_EEDaS1Q_S1R_EUlS1Q_E_NS1_11comp_targetILNS1_3genE8ELNS1_11target_archE1030ELNS1_3gpuE2ELNS1_3repE0EEENS1_30default_config_static_selectorELNS0_4arch9wavefront6targetE1EEEvS13_.uses_vcc, 0
	.set _ZN7rocprim17ROCPRIM_400000_NS6detail17trampoline_kernelINS0_13select_configILj256ELj13ELNS0_17block_load_methodE3ELS4_3ELS4_3ELNS0_20block_scan_algorithmE0ELj4294967295EEENS1_25partition_config_selectorILNS1_17partition_subalgoE4EjNS0_10empty_typeEbEEZZNS1_14partition_implILS8_4ELb0ES6_15HIP_vector_typeIjLj2EENS0_17counting_iteratorIjlEEPS9_SG_NS0_5tupleIJPjSI_NS0_16reverse_iteratorISI_EEEEENSH_IJSG_SG_SG_EEES9_SI_JZNS1_25segmented_radix_sort_implINS0_14default_configELb1EPK6__halfPSP_PKlPlN2at6native12_GLOBAL__N_18offset_tEEE10hipError_tPvRmT1_PNSt15iterator_traitsIS13_E10value_typeET2_T3_PNS14_IS19_E10value_typeET4_jRbjT5_S1F_jjP12ihipStream_tbEUljE_ZNSN_ISO_Lb1ESR_SS_SU_SV_SZ_EES10_S11_S12_S13_S17_S18_S19_S1C_S1D_jS1E_jS1F_S1F_jjS1H_bEUljE0_EEES10_S11_S12_S19_S1D_S1F_T6_T7_T9_mT8_S1H_bDpT10_ENKUlT_T0_E_clISt17integral_constantIbLb0EES1V_EEDaS1Q_S1R_EUlS1Q_E_NS1_11comp_targetILNS1_3genE8ELNS1_11target_archE1030ELNS1_3gpuE2ELNS1_3repE0EEENS1_30default_config_static_selectorELNS0_4arch9wavefront6targetE1EEEvS13_.uses_flat_scratch, 0
	.set _ZN7rocprim17ROCPRIM_400000_NS6detail17trampoline_kernelINS0_13select_configILj256ELj13ELNS0_17block_load_methodE3ELS4_3ELS4_3ELNS0_20block_scan_algorithmE0ELj4294967295EEENS1_25partition_config_selectorILNS1_17partition_subalgoE4EjNS0_10empty_typeEbEEZZNS1_14partition_implILS8_4ELb0ES6_15HIP_vector_typeIjLj2EENS0_17counting_iteratorIjlEEPS9_SG_NS0_5tupleIJPjSI_NS0_16reverse_iteratorISI_EEEEENSH_IJSG_SG_SG_EEES9_SI_JZNS1_25segmented_radix_sort_implINS0_14default_configELb1EPK6__halfPSP_PKlPlN2at6native12_GLOBAL__N_18offset_tEEE10hipError_tPvRmT1_PNSt15iterator_traitsIS13_E10value_typeET2_T3_PNS14_IS19_E10value_typeET4_jRbjT5_S1F_jjP12ihipStream_tbEUljE_ZNSN_ISO_Lb1ESR_SS_SU_SV_SZ_EES10_S11_S12_S13_S17_S18_S19_S1C_S1D_jS1E_jS1F_S1F_jjS1H_bEUljE0_EEES10_S11_S12_S19_S1D_S1F_T6_T7_T9_mT8_S1H_bDpT10_ENKUlT_T0_E_clISt17integral_constantIbLb0EES1V_EEDaS1Q_S1R_EUlS1Q_E_NS1_11comp_targetILNS1_3genE8ELNS1_11target_archE1030ELNS1_3gpuE2ELNS1_3repE0EEENS1_30default_config_static_selectorELNS0_4arch9wavefront6targetE1EEEvS13_.has_dyn_sized_stack, 0
	.set _ZN7rocprim17ROCPRIM_400000_NS6detail17trampoline_kernelINS0_13select_configILj256ELj13ELNS0_17block_load_methodE3ELS4_3ELS4_3ELNS0_20block_scan_algorithmE0ELj4294967295EEENS1_25partition_config_selectorILNS1_17partition_subalgoE4EjNS0_10empty_typeEbEEZZNS1_14partition_implILS8_4ELb0ES6_15HIP_vector_typeIjLj2EENS0_17counting_iteratorIjlEEPS9_SG_NS0_5tupleIJPjSI_NS0_16reverse_iteratorISI_EEEEENSH_IJSG_SG_SG_EEES9_SI_JZNS1_25segmented_radix_sort_implINS0_14default_configELb1EPK6__halfPSP_PKlPlN2at6native12_GLOBAL__N_18offset_tEEE10hipError_tPvRmT1_PNSt15iterator_traitsIS13_E10value_typeET2_T3_PNS14_IS19_E10value_typeET4_jRbjT5_S1F_jjP12ihipStream_tbEUljE_ZNSN_ISO_Lb1ESR_SS_SU_SV_SZ_EES10_S11_S12_S13_S17_S18_S19_S1C_S1D_jS1E_jS1F_S1F_jjS1H_bEUljE0_EEES10_S11_S12_S19_S1D_S1F_T6_T7_T9_mT8_S1H_bDpT10_ENKUlT_T0_E_clISt17integral_constantIbLb0EES1V_EEDaS1Q_S1R_EUlS1Q_E_NS1_11comp_targetILNS1_3genE8ELNS1_11target_archE1030ELNS1_3gpuE2ELNS1_3repE0EEENS1_30default_config_static_selectorELNS0_4arch9wavefront6targetE1EEEvS13_.has_recursion, 0
	.set _ZN7rocprim17ROCPRIM_400000_NS6detail17trampoline_kernelINS0_13select_configILj256ELj13ELNS0_17block_load_methodE3ELS4_3ELS4_3ELNS0_20block_scan_algorithmE0ELj4294967295EEENS1_25partition_config_selectorILNS1_17partition_subalgoE4EjNS0_10empty_typeEbEEZZNS1_14partition_implILS8_4ELb0ES6_15HIP_vector_typeIjLj2EENS0_17counting_iteratorIjlEEPS9_SG_NS0_5tupleIJPjSI_NS0_16reverse_iteratorISI_EEEEENSH_IJSG_SG_SG_EEES9_SI_JZNS1_25segmented_radix_sort_implINS0_14default_configELb1EPK6__halfPSP_PKlPlN2at6native12_GLOBAL__N_18offset_tEEE10hipError_tPvRmT1_PNSt15iterator_traitsIS13_E10value_typeET2_T3_PNS14_IS19_E10value_typeET4_jRbjT5_S1F_jjP12ihipStream_tbEUljE_ZNSN_ISO_Lb1ESR_SS_SU_SV_SZ_EES10_S11_S12_S13_S17_S18_S19_S1C_S1D_jS1E_jS1F_S1F_jjS1H_bEUljE0_EEES10_S11_S12_S19_S1D_S1F_T6_T7_T9_mT8_S1H_bDpT10_ENKUlT_T0_E_clISt17integral_constantIbLb0EES1V_EEDaS1Q_S1R_EUlS1Q_E_NS1_11comp_targetILNS1_3genE8ELNS1_11target_archE1030ELNS1_3gpuE2ELNS1_3repE0EEENS1_30default_config_static_selectorELNS0_4arch9wavefront6targetE1EEEvS13_.has_indirect_call, 0
	.section	.AMDGPU.csdata,"",@progbits
; Kernel info:
; codeLenInByte = 0
; TotalNumSgprs: 4
; NumVgprs: 0
; ScratchSize: 0
; MemoryBound: 0
; FloatMode: 240
; IeeeMode: 1
; LDSByteSize: 0 bytes/workgroup (compile time only)
; SGPRBlocks: 0
; VGPRBlocks: 0
; NumSGPRsForWavesPerEU: 4
; NumVGPRsForWavesPerEU: 1
; Occupancy: 10
; WaveLimiterHint : 0
; COMPUTE_PGM_RSRC2:SCRATCH_EN: 0
; COMPUTE_PGM_RSRC2:USER_SGPR: 6
; COMPUTE_PGM_RSRC2:TRAP_HANDLER: 0
; COMPUTE_PGM_RSRC2:TGID_X_EN: 1
; COMPUTE_PGM_RSRC2:TGID_Y_EN: 0
; COMPUTE_PGM_RSRC2:TGID_Z_EN: 0
; COMPUTE_PGM_RSRC2:TIDIG_COMP_CNT: 0
	.section	.text._ZN7rocprim17ROCPRIM_400000_NS6detail17trampoline_kernelINS0_13select_configILj256ELj13ELNS0_17block_load_methodE3ELS4_3ELS4_3ELNS0_20block_scan_algorithmE0ELj4294967295EEENS1_25partition_config_selectorILNS1_17partition_subalgoE4EjNS0_10empty_typeEbEEZZNS1_14partition_implILS8_4ELb0ES6_15HIP_vector_typeIjLj2EENS0_17counting_iteratorIjlEEPS9_SG_NS0_5tupleIJPjSI_NS0_16reverse_iteratorISI_EEEEENSH_IJSG_SG_SG_EEES9_SI_JZNS1_25segmented_radix_sort_implINS0_14default_configELb1EPK6__halfPSP_PKlPlN2at6native12_GLOBAL__N_18offset_tEEE10hipError_tPvRmT1_PNSt15iterator_traitsIS13_E10value_typeET2_T3_PNS14_IS19_E10value_typeET4_jRbjT5_S1F_jjP12ihipStream_tbEUljE_ZNSN_ISO_Lb1ESR_SS_SU_SV_SZ_EES10_S11_S12_S13_S17_S18_S19_S1C_S1D_jS1E_jS1F_S1F_jjS1H_bEUljE0_EEES10_S11_S12_S19_S1D_S1F_T6_T7_T9_mT8_S1H_bDpT10_ENKUlT_T0_E_clISt17integral_constantIbLb1EES1V_EEDaS1Q_S1R_EUlS1Q_E_NS1_11comp_targetILNS1_3genE0ELNS1_11target_archE4294967295ELNS1_3gpuE0ELNS1_3repE0EEENS1_30default_config_static_selectorELNS0_4arch9wavefront6targetE1EEEvS13_,"axG",@progbits,_ZN7rocprim17ROCPRIM_400000_NS6detail17trampoline_kernelINS0_13select_configILj256ELj13ELNS0_17block_load_methodE3ELS4_3ELS4_3ELNS0_20block_scan_algorithmE0ELj4294967295EEENS1_25partition_config_selectorILNS1_17partition_subalgoE4EjNS0_10empty_typeEbEEZZNS1_14partition_implILS8_4ELb0ES6_15HIP_vector_typeIjLj2EENS0_17counting_iteratorIjlEEPS9_SG_NS0_5tupleIJPjSI_NS0_16reverse_iteratorISI_EEEEENSH_IJSG_SG_SG_EEES9_SI_JZNS1_25segmented_radix_sort_implINS0_14default_configELb1EPK6__halfPSP_PKlPlN2at6native12_GLOBAL__N_18offset_tEEE10hipError_tPvRmT1_PNSt15iterator_traitsIS13_E10value_typeET2_T3_PNS14_IS19_E10value_typeET4_jRbjT5_S1F_jjP12ihipStream_tbEUljE_ZNSN_ISO_Lb1ESR_SS_SU_SV_SZ_EES10_S11_S12_S13_S17_S18_S19_S1C_S1D_jS1E_jS1F_S1F_jjS1H_bEUljE0_EEES10_S11_S12_S19_S1D_S1F_T6_T7_T9_mT8_S1H_bDpT10_ENKUlT_T0_E_clISt17integral_constantIbLb1EES1V_EEDaS1Q_S1R_EUlS1Q_E_NS1_11comp_targetILNS1_3genE0ELNS1_11target_archE4294967295ELNS1_3gpuE0ELNS1_3repE0EEENS1_30default_config_static_selectorELNS0_4arch9wavefront6targetE1EEEvS13_,comdat
	.globl	_ZN7rocprim17ROCPRIM_400000_NS6detail17trampoline_kernelINS0_13select_configILj256ELj13ELNS0_17block_load_methodE3ELS4_3ELS4_3ELNS0_20block_scan_algorithmE0ELj4294967295EEENS1_25partition_config_selectorILNS1_17partition_subalgoE4EjNS0_10empty_typeEbEEZZNS1_14partition_implILS8_4ELb0ES6_15HIP_vector_typeIjLj2EENS0_17counting_iteratorIjlEEPS9_SG_NS0_5tupleIJPjSI_NS0_16reverse_iteratorISI_EEEEENSH_IJSG_SG_SG_EEES9_SI_JZNS1_25segmented_radix_sort_implINS0_14default_configELb1EPK6__halfPSP_PKlPlN2at6native12_GLOBAL__N_18offset_tEEE10hipError_tPvRmT1_PNSt15iterator_traitsIS13_E10value_typeET2_T3_PNS14_IS19_E10value_typeET4_jRbjT5_S1F_jjP12ihipStream_tbEUljE_ZNSN_ISO_Lb1ESR_SS_SU_SV_SZ_EES10_S11_S12_S13_S17_S18_S19_S1C_S1D_jS1E_jS1F_S1F_jjS1H_bEUljE0_EEES10_S11_S12_S19_S1D_S1F_T6_T7_T9_mT8_S1H_bDpT10_ENKUlT_T0_E_clISt17integral_constantIbLb1EES1V_EEDaS1Q_S1R_EUlS1Q_E_NS1_11comp_targetILNS1_3genE0ELNS1_11target_archE4294967295ELNS1_3gpuE0ELNS1_3repE0EEENS1_30default_config_static_selectorELNS0_4arch9wavefront6targetE1EEEvS13_ ; -- Begin function _ZN7rocprim17ROCPRIM_400000_NS6detail17trampoline_kernelINS0_13select_configILj256ELj13ELNS0_17block_load_methodE3ELS4_3ELS4_3ELNS0_20block_scan_algorithmE0ELj4294967295EEENS1_25partition_config_selectorILNS1_17partition_subalgoE4EjNS0_10empty_typeEbEEZZNS1_14partition_implILS8_4ELb0ES6_15HIP_vector_typeIjLj2EENS0_17counting_iteratorIjlEEPS9_SG_NS0_5tupleIJPjSI_NS0_16reverse_iteratorISI_EEEEENSH_IJSG_SG_SG_EEES9_SI_JZNS1_25segmented_radix_sort_implINS0_14default_configELb1EPK6__halfPSP_PKlPlN2at6native12_GLOBAL__N_18offset_tEEE10hipError_tPvRmT1_PNSt15iterator_traitsIS13_E10value_typeET2_T3_PNS14_IS19_E10value_typeET4_jRbjT5_S1F_jjP12ihipStream_tbEUljE_ZNSN_ISO_Lb1ESR_SS_SU_SV_SZ_EES10_S11_S12_S13_S17_S18_S19_S1C_S1D_jS1E_jS1F_S1F_jjS1H_bEUljE0_EEES10_S11_S12_S19_S1D_S1F_T6_T7_T9_mT8_S1H_bDpT10_ENKUlT_T0_E_clISt17integral_constantIbLb1EES1V_EEDaS1Q_S1R_EUlS1Q_E_NS1_11comp_targetILNS1_3genE0ELNS1_11target_archE4294967295ELNS1_3gpuE0ELNS1_3repE0EEENS1_30default_config_static_selectorELNS0_4arch9wavefront6targetE1EEEvS13_
	.p2align	8
	.type	_ZN7rocprim17ROCPRIM_400000_NS6detail17trampoline_kernelINS0_13select_configILj256ELj13ELNS0_17block_load_methodE3ELS4_3ELS4_3ELNS0_20block_scan_algorithmE0ELj4294967295EEENS1_25partition_config_selectorILNS1_17partition_subalgoE4EjNS0_10empty_typeEbEEZZNS1_14partition_implILS8_4ELb0ES6_15HIP_vector_typeIjLj2EENS0_17counting_iteratorIjlEEPS9_SG_NS0_5tupleIJPjSI_NS0_16reverse_iteratorISI_EEEEENSH_IJSG_SG_SG_EEES9_SI_JZNS1_25segmented_radix_sort_implINS0_14default_configELb1EPK6__halfPSP_PKlPlN2at6native12_GLOBAL__N_18offset_tEEE10hipError_tPvRmT1_PNSt15iterator_traitsIS13_E10value_typeET2_T3_PNS14_IS19_E10value_typeET4_jRbjT5_S1F_jjP12ihipStream_tbEUljE_ZNSN_ISO_Lb1ESR_SS_SU_SV_SZ_EES10_S11_S12_S13_S17_S18_S19_S1C_S1D_jS1E_jS1F_S1F_jjS1H_bEUljE0_EEES10_S11_S12_S19_S1D_S1F_T6_T7_T9_mT8_S1H_bDpT10_ENKUlT_T0_E_clISt17integral_constantIbLb1EES1V_EEDaS1Q_S1R_EUlS1Q_E_NS1_11comp_targetILNS1_3genE0ELNS1_11target_archE4294967295ELNS1_3gpuE0ELNS1_3repE0EEENS1_30default_config_static_selectorELNS0_4arch9wavefront6targetE1EEEvS13_,@function
_ZN7rocprim17ROCPRIM_400000_NS6detail17trampoline_kernelINS0_13select_configILj256ELj13ELNS0_17block_load_methodE3ELS4_3ELS4_3ELNS0_20block_scan_algorithmE0ELj4294967295EEENS1_25partition_config_selectorILNS1_17partition_subalgoE4EjNS0_10empty_typeEbEEZZNS1_14partition_implILS8_4ELb0ES6_15HIP_vector_typeIjLj2EENS0_17counting_iteratorIjlEEPS9_SG_NS0_5tupleIJPjSI_NS0_16reverse_iteratorISI_EEEEENSH_IJSG_SG_SG_EEES9_SI_JZNS1_25segmented_radix_sort_implINS0_14default_configELb1EPK6__halfPSP_PKlPlN2at6native12_GLOBAL__N_18offset_tEEE10hipError_tPvRmT1_PNSt15iterator_traitsIS13_E10value_typeET2_T3_PNS14_IS19_E10value_typeET4_jRbjT5_S1F_jjP12ihipStream_tbEUljE_ZNSN_ISO_Lb1ESR_SS_SU_SV_SZ_EES10_S11_S12_S13_S17_S18_S19_S1C_S1D_jS1E_jS1F_S1F_jjS1H_bEUljE0_EEES10_S11_S12_S19_S1D_S1F_T6_T7_T9_mT8_S1H_bDpT10_ENKUlT_T0_E_clISt17integral_constantIbLb1EES1V_EEDaS1Q_S1R_EUlS1Q_E_NS1_11comp_targetILNS1_3genE0ELNS1_11target_archE4294967295ELNS1_3gpuE0ELNS1_3repE0EEENS1_30default_config_static_selectorELNS0_4arch9wavefront6targetE1EEEvS13_: ; @_ZN7rocprim17ROCPRIM_400000_NS6detail17trampoline_kernelINS0_13select_configILj256ELj13ELNS0_17block_load_methodE3ELS4_3ELS4_3ELNS0_20block_scan_algorithmE0ELj4294967295EEENS1_25partition_config_selectorILNS1_17partition_subalgoE4EjNS0_10empty_typeEbEEZZNS1_14partition_implILS8_4ELb0ES6_15HIP_vector_typeIjLj2EENS0_17counting_iteratorIjlEEPS9_SG_NS0_5tupleIJPjSI_NS0_16reverse_iteratorISI_EEEEENSH_IJSG_SG_SG_EEES9_SI_JZNS1_25segmented_radix_sort_implINS0_14default_configELb1EPK6__halfPSP_PKlPlN2at6native12_GLOBAL__N_18offset_tEEE10hipError_tPvRmT1_PNSt15iterator_traitsIS13_E10value_typeET2_T3_PNS14_IS19_E10value_typeET4_jRbjT5_S1F_jjP12ihipStream_tbEUljE_ZNSN_ISO_Lb1ESR_SS_SU_SV_SZ_EES10_S11_S12_S13_S17_S18_S19_S1C_S1D_jS1E_jS1F_S1F_jjS1H_bEUljE0_EEES10_S11_S12_S19_S1D_S1F_T6_T7_T9_mT8_S1H_bDpT10_ENKUlT_T0_E_clISt17integral_constantIbLb1EES1V_EEDaS1Q_S1R_EUlS1Q_E_NS1_11comp_targetILNS1_3genE0ELNS1_11target_archE4294967295ELNS1_3gpuE0ELNS1_3repE0EEENS1_30default_config_static_selectorELNS0_4arch9wavefront6targetE1EEEvS13_
; %bb.0:
	.section	.rodata,"a",@progbits
	.p2align	6, 0x0
	.amdhsa_kernel _ZN7rocprim17ROCPRIM_400000_NS6detail17trampoline_kernelINS0_13select_configILj256ELj13ELNS0_17block_load_methodE3ELS4_3ELS4_3ELNS0_20block_scan_algorithmE0ELj4294967295EEENS1_25partition_config_selectorILNS1_17partition_subalgoE4EjNS0_10empty_typeEbEEZZNS1_14partition_implILS8_4ELb0ES6_15HIP_vector_typeIjLj2EENS0_17counting_iteratorIjlEEPS9_SG_NS0_5tupleIJPjSI_NS0_16reverse_iteratorISI_EEEEENSH_IJSG_SG_SG_EEES9_SI_JZNS1_25segmented_radix_sort_implINS0_14default_configELb1EPK6__halfPSP_PKlPlN2at6native12_GLOBAL__N_18offset_tEEE10hipError_tPvRmT1_PNSt15iterator_traitsIS13_E10value_typeET2_T3_PNS14_IS19_E10value_typeET4_jRbjT5_S1F_jjP12ihipStream_tbEUljE_ZNSN_ISO_Lb1ESR_SS_SU_SV_SZ_EES10_S11_S12_S13_S17_S18_S19_S1C_S1D_jS1E_jS1F_S1F_jjS1H_bEUljE0_EEES10_S11_S12_S19_S1D_S1F_T6_T7_T9_mT8_S1H_bDpT10_ENKUlT_T0_E_clISt17integral_constantIbLb1EES1V_EEDaS1Q_S1R_EUlS1Q_E_NS1_11comp_targetILNS1_3genE0ELNS1_11target_archE4294967295ELNS1_3gpuE0ELNS1_3repE0EEENS1_30default_config_static_selectorELNS0_4arch9wavefront6targetE1EEEvS13_
		.amdhsa_group_segment_fixed_size 0
		.amdhsa_private_segment_fixed_size 0
		.amdhsa_kernarg_size 184
		.amdhsa_user_sgpr_count 6
		.amdhsa_user_sgpr_private_segment_buffer 1
		.amdhsa_user_sgpr_dispatch_ptr 0
		.amdhsa_user_sgpr_queue_ptr 0
		.amdhsa_user_sgpr_kernarg_segment_ptr 1
		.amdhsa_user_sgpr_dispatch_id 0
		.amdhsa_user_sgpr_flat_scratch_init 0
		.amdhsa_user_sgpr_private_segment_size 0
		.amdhsa_uses_dynamic_stack 0
		.amdhsa_system_sgpr_private_segment_wavefront_offset 0
		.amdhsa_system_sgpr_workgroup_id_x 1
		.amdhsa_system_sgpr_workgroup_id_y 0
		.amdhsa_system_sgpr_workgroup_id_z 0
		.amdhsa_system_sgpr_workgroup_info 0
		.amdhsa_system_vgpr_workitem_id 0
		.amdhsa_next_free_vgpr 1
		.amdhsa_next_free_sgpr 0
		.amdhsa_reserve_vcc 0
		.amdhsa_reserve_flat_scratch 0
		.amdhsa_float_round_mode_32 0
		.amdhsa_float_round_mode_16_64 0
		.amdhsa_float_denorm_mode_32 3
		.amdhsa_float_denorm_mode_16_64 3
		.amdhsa_dx10_clamp 1
		.amdhsa_ieee_mode 1
		.amdhsa_fp16_overflow 0
		.amdhsa_exception_fp_ieee_invalid_op 0
		.amdhsa_exception_fp_denorm_src 0
		.amdhsa_exception_fp_ieee_div_zero 0
		.amdhsa_exception_fp_ieee_overflow 0
		.amdhsa_exception_fp_ieee_underflow 0
		.amdhsa_exception_fp_ieee_inexact 0
		.amdhsa_exception_int_div_zero 0
	.end_amdhsa_kernel
	.section	.text._ZN7rocprim17ROCPRIM_400000_NS6detail17trampoline_kernelINS0_13select_configILj256ELj13ELNS0_17block_load_methodE3ELS4_3ELS4_3ELNS0_20block_scan_algorithmE0ELj4294967295EEENS1_25partition_config_selectorILNS1_17partition_subalgoE4EjNS0_10empty_typeEbEEZZNS1_14partition_implILS8_4ELb0ES6_15HIP_vector_typeIjLj2EENS0_17counting_iteratorIjlEEPS9_SG_NS0_5tupleIJPjSI_NS0_16reverse_iteratorISI_EEEEENSH_IJSG_SG_SG_EEES9_SI_JZNS1_25segmented_radix_sort_implINS0_14default_configELb1EPK6__halfPSP_PKlPlN2at6native12_GLOBAL__N_18offset_tEEE10hipError_tPvRmT1_PNSt15iterator_traitsIS13_E10value_typeET2_T3_PNS14_IS19_E10value_typeET4_jRbjT5_S1F_jjP12ihipStream_tbEUljE_ZNSN_ISO_Lb1ESR_SS_SU_SV_SZ_EES10_S11_S12_S13_S17_S18_S19_S1C_S1D_jS1E_jS1F_S1F_jjS1H_bEUljE0_EEES10_S11_S12_S19_S1D_S1F_T6_T7_T9_mT8_S1H_bDpT10_ENKUlT_T0_E_clISt17integral_constantIbLb1EES1V_EEDaS1Q_S1R_EUlS1Q_E_NS1_11comp_targetILNS1_3genE0ELNS1_11target_archE4294967295ELNS1_3gpuE0ELNS1_3repE0EEENS1_30default_config_static_selectorELNS0_4arch9wavefront6targetE1EEEvS13_,"axG",@progbits,_ZN7rocprim17ROCPRIM_400000_NS6detail17trampoline_kernelINS0_13select_configILj256ELj13ELNS0_17block_load_methodE3ELS4_3ELS4_3ELNS0_20block_scan_algorithmE0ELj4294967295EEENS1_25partition_config_selectorILNS1_17partition_subalgoE4EjNS0_10empty_typeEbEEZZNS1_14partition_implILS8_4ELb0ES6_15HIP_vector_typeIjLj2EENS0_17counting_iteratorIjlEEPS9_SG_NS0_5tupleIJPjSI_NS0_16reverse_iteratorISI_EEEEENSH_IJSG_SG_SG_EEES9_SI_JZNS1_25segmented_radix_sort_implINS0_14default_configELb1EPK6__halfPSP_PKlPlN2at6native12_GLOBAL__N_18offset_tEEE10hipError_tPvRmT1_PNSt15iterator_traitsIS13_E10value_typeET2_T3_PNS14_IS19_E10value_typeET4_jRbjT5_S1F_jjP12ihipStream_tbEUljE_ZNSN_ISO_Lb1ESR_SS_SU_SV_SZ_EES10_S11_S12_S13_S17_S18_S19_S1C_S1D_jS1E_jS1F_S1F_jjS1H_bEUljE0_EEES10_S11_S12_S19_S1D_S1F_T6_T7_T9_mT8_S1H_bDpT10_ENKUlT_T0_E_clISt17integral_constantIbLb1EES1V_EEDaS1Q_S1R_EUlS1Q_E_NS1_11comp_targetILNS1_3genE0ELNS1_11target_archE4294967295ELNS1_3gpuE0ELNS1_3repE0EEENS1_30default_config_static_selectorELNS0_4arch9wavefront6targetE1EEEvS13_,comdat
.Lfunc_end1683:
	.size	_ZN7rocprim17ROCPRIM_400000_NS6detail17trampoline_kernelINS0_13select_configILj256ELj13ELNS0_17block_load_methodE3ELS4_3ELS4_3ELNS0_20block_scan_algorithmE0ELj4294967295EEENS1_25partition_config_selectorILNS1_17partition_subalgoE4EjNS0_10empty_typeEbEEZZNS1_14partition_implILS8_4ELb0ES6_15HIP_vector_typeIjLj2EENS0_17counting_iteratorIjlEEPS9_SG_NS0_5tupleIJPjSI_NS0_16reverse_iteratorISI_EEEEENSH_IJSG_SG_SG_EEES9_SI_JZNS1_25segmented_radix_sort_implINS0_14default_configELb1EPK6__halfPSP_PKlPlN2at6native12_GLOBAL__N_18offset_tEEE10hipError_tPvRmT1_PNSt15iterator_traitsIS13_E10value_typeET2_T3_PNS14_IS19_E10value_typeET4_jRbjT5_S1F_jjP12ihipStream_tbEUljE_ZNSN_ISO_Lb1ESR_SS_SU_SV_SZ_EES10_S11_S12_S13_S17_S18_S19_S1C_S1D_jS1E_jS1F_S1F_jjS1H_bEUljE0_EEES10_S11_S12_S19_S1D_S1F_T6_T7_T9_mT8_S1H_bDpT10_ENKUlT_T0_E_clISt17integral_constantIbLb1EES1V_EEDaS1Q_S1R_EUlS1Q_E_NS1_11comp_targetILNS1_3genE0ELNS1_11target_archE4294967295ELNS1_3gpuE0ELNS1_3repE0EEENS1_30default_config_static_selectorELNS0_4arch9wavefront6targetE1EEEvS13_, .Lfunc_end1683-_ZN7rocprim17ROCPRIM_400000_NS6detail17trampoline_kernelINS0_13select_configILj256ELj13ELNS0_17block_load_methodE3ELS4_3ELS4_3ELNS0_20block_scan_algorithmE0ELj4294967295EEENS1_25partition_config_selectorILNS1_17partition_subalgoE4EjNS0_10empty_typeEbEEZZNS1_14partition_implILS8_4ELb0ES6_15HIP_vector_typeIjLj2EENS0_17counting_iteratorIjlEEPS9_SG_NS0_5tupleIJPjSI_NS0_16reverse_iteratorISI_EEEEENSH_IJSG_SG_SG_EEES9_SI_JZNS1_25segmented_radix_sort_implINS0_14default_configELb1EPK6__halfPSP_PKlPlN2at6native12_GLOBAL__N_18offset_tEEE10hipError_tPvRmT1_PNSt15iterator_traitsIS13_E10value_typeET2_T3_PNS14_IS19_E10value_typeET4_jRbjT5_S1F_jjP12ihipStream_tbEUljE_ZNSN_ISO_Lb1ESR_SS_SU_SV_SZ_EES10_S11_S12_S13_S17_S18_S19_S1C_S1D_jS1E_jS1F_S1F_jjS1H_bEUljE0_EEES10_S11_S12_S19_S1D_S1F_T6_T7_T9_mT8_S1H_bDpT10_ENKUlT_T0_E_clISt17integral_constantIbLb1EES1V_EEDaS1Q_S1R_EUlS1Q_E_NS1_11comp_targetILNS1_3genE0ELNS1_11target_archE4294967295ELNS1_3gpuE0ELNS1_3repE0EEENS1_30default_config_static_selectorELNS0_4arch9wavefront6targetE1EEEvS13_
                                        ; -- End function
	.set _ZN7rocprim17ROCPRIM_400000_NS6detail17trampoline_kernelINS0_13select_configILj256ELj13ELNS0_17block_load_methodE3ELS4_3ELS4_3ELNS0_20block_scan_algorithmE0ELj4294967295EEENS1_25partition_config_selectorILNS1_17partition_subalgoE4EjNS0_10empty_typeEbEEZZNS1_14partition_implILS8_4ELb0ES6_15HIP_vector_typeIjLj2EENS0_17counting_iteratorIjlEEPS9_SG_NS0_5tupleIJPjSI_NS0_16reverse_iteratorISI_EEEEENSH_IJSG_SG_SG_EEES9_SI_JZNS1_25segmented_radix_sort_implINS0_14default_configELb1EPK6__halfPSP_PKlPlN2at6native12_GLOBAL__N_18offset_tEEE10hipError_tPvRmT1_PNSt15iterator_traitsIS13_E10value_typeET2_T3_PNS14_IS19_E10value_typeET4_jRbjT5_S1F_jjP12ihipStream_tbEUljE_ZNSN_ISO_Lb1ESR_SS_SU_SV_SZ_EES10_S11_S12_S13_S17_S18_S19_S1C_S1D_jS1E_jS1F_S1F_jjS1H_bEUljE0_EEES10_S11_S12_S19_S1D_S1F_T6_T7_T9_mT8_S1H_bDpT10_ENKUlT_T0_E_clISt17integral_constantIbLb1EES1V_EEDaS1Q_S1R_EUlS1Q_E_NS1_11comp_targetILNS1_3genE0ELNS1_11target_archE4294967295ELNS1_3gpuE0ELNS1_3repE0EEENS1_30default_config_static_selectorELNS0_4arch9wavefront6targetE1EEEvS13_.num_vgpr, 0
	.set _ZN7rocprim17ROCPRIM_400000_NS6detail17trampoline_kernelINS0_13select_configILj256ELj13ELNS0_17block_load_methodE3ELS4_3ELS4_3ELNS0_20block_scan_algorithmE0ELj4294967295EEENS1_25partition_config_selectorILNS1_17partition_subalgoE4EjNS0_10empty_typeEbEEZZNS1_14partition_implILS8_4ELb0ES6_15HIP_vector_typeIjLj2EENS0_17counting_iteratorIjlEEPS9_SG_NS0_5tupleIJPjSI_NS0_16reverse_iteratorISI_EEEEENSH_IJSG_SG_SG_EEES9_SI_JZNS1_25segmented_radix_sort_implINS0_14default_configELb1EPK6__halfPSP_PKlPlN2at6native12_GLOBAL__N_18offset_tEEE10hipError_tPvRmT1_PNSt15iterator_traitsIS13_E10value_typeET2_T3_PNS14_IS19_E10value_typeET4_jRbjT5_S1F_jjP12ihipStream_tbEUljE_ZNSN_ISO_Lb1ESR_SS_SU_SV_SZ_EES10_S11_S12_S13_S17_S18_S19_S1C_S1D_jS1E_jS1F_S1F_jjS1H_bEUljE0_EEES10_S11_S12_S19_S1D_S1F_T6_T7_T9_mT8_S1H_bDpT10_ENKUlT_T0_E_clISt17integral_constantIbLb1EES1V_EEDaS1Q_S1R_EUlS1Q_E_NS1_11comp_targetILNS1_3genE0ELNS1_11target_archE4294967295ELNS1_3gpuE0ELNS1_3repE0EEENS1_30default_config_static_selectorELNS0_4arch9wavefront6targetE1EEEvS13_.num_agpr, 0
	.set _ZN7rocprim17ROCPRIM_400000_NS6detail17trampoline_kernelINS0_13select_configILj256ELj13ELNS0_17block_load_methodE3ELS4_3ELS4_3ELNS0_20block_scan_algorithmE0ELj4294967295EEENS1_25partition_config_selectorILNS1_17partition_subalgoE4EjNS0_10empty_typeEbEEZZNS1_14partition_implILS8_4ELb0ES6_15HIP_vector_typeIjLj2EENS0_17counting_iteratorIjlEEPS9_SG_NS0_5tupleIJPjSI_NS0_16reverse_iteratorISI_EEEEENSH_IJSG_SG_SG_EEES9_SI_JZNS1_25segmented_radix_sort_implINS0_14default_configELb1EPK6__halfPSP_PKlPlN2at6native12_GLOBAL__N_18offset_tEEE10hipError_tPvRmT1_PNSt15iterator_traitsIS13_E10value_typeET2_T3_PNS14_IS19_E10value_typeET4_jRbjT5_S1F_jjP12ihipStream_tbEUljE_ZNSN_ISO_Lb1ESR_SS_SU_SV_SZ_EES10_S11_S12_S13_S17_S18_S19_S1C_S1D_jS1E_jS1F_S1F_jjS1H_bEUljE0_EEES10_S11_S12_S19_S1D_S1F_T6_T7_T9_mT8_S1H_bDpT10_ENKUlT_T0_E_clISt17integral_constantIbLb1EES1V_EEDaS1Q_S1R_EUlS1Q_E_NS1_11comp_targetILNS1_3genE0ELNS1_11target_archE4294967295ELNS1_3gpuE0ELNS1_3repE0EEENS1_30default_config_static_selectorELNS0_4arch9wavefront6targetE1EEEvS13_.numbered_sgpr, 0
	.set _ZN7rocprim17ROCPRIM_400000_NS6detail17trampoline_kernelINS0_13select_configILj256ELj13ELNS0_17block_load_methodE3ELS4_3ELS4_3ELNS0_20block_scan_algorithmE0ELj4294967295EEENS1_25partition_config_selectorILNS1_17partition_subalgoE4EjNS0_10empty_typeEbEEZZNS1_14partition_implILS8_4ELb0ES6_15HIP_vector_typeIjLj2EENS0_17counting_iteratorIjlEEPS9_SG_NS0_5tupleIJPjSI_NS0_16reverse_iteratorISI_EEEEENSH_IJSG_SG_SG_EEES9_SI_JZNS1_25segmented_radix_sort_implINS0_14default_configELb1EPK6__halfPSP_PKlPlN2at6native12_GLOBAL__N_18offset_tEEE10hipError_tPvRmT1_PNSt15iterator_traitsIS13_E10value_typeET2_T3_PNS14_IS19_E10value_typeET4_jRbjT5_S1F_jjP12ihipStream_tbEUljE_ZNSN_ISO_Lb1ESR_SS_SU_SV_SZ_EES10_S11_S12_S13_S17_S18_S19_S1C_S1D_jS1E_jS1F_S1F_jjS1H_bEUljE0_EEES10_S11_S12_S19_S1D_S1F_T6_T7_T9_mT8_S1H_bDpT10_ENKUlT_T0_E_clISt17integral_constantIbLb1EES1V_EEDaS1Q_S1R_EUlS1Q_E_NS1_11comp_targetILNS1_3genE0ELNS1_11target_archE4294967295ELNS1_3gpuE0ELNS1_3repE0EEENS1_30default_config_static_selectorELNS0_4arch9wavefront6targetE1EEEvS13_.num_named_barrier, 0
	.set _ZN7rocprim17ROCPRIM_400000_NS6detail17trampoline_kernelINS0_13select_configILj256ELj13ELNS0_17block_load_methodE3ELS4_3ELS4_3ELNS0_20block_scan_algorithmE0ELj4294967295EEENS1_25partition_config_selectorILNS1_17partition_subalgoE4EjNS0_10empty_typeEbEEZZNS1_14partition_implILS8_4ELb0ES6_15HIP_vector_typeIjLj2EENS0_17counting_iteratorIjlEEPS9_SG_NS0_5tupleIJPjSI_NS0_16reverse_iteratorISI_EEEEENSH_IJSG_SG_SG_EEES9_SI_JZNS1_25segmented_radix_sort_implINS0_14default_configELb1EPK6__halfPSP_PKlPlN2at6native12_GLOBAL__N_18offset_tEEE10hipError_tPvRmT1_PNSt15iterator_traitsIS13_E10value_typeET2_T3_PNS14_IS19_E10value_typeET4_jRbjT5_S1F_jjP12ihipStream_tbEUljE_ZNSN_ISO_Lb1ESR_SS_SU_SV_SZ_EES10_S11_S12_S13_S17_S18_S19_S1C_S1D_jS1E_jS1F_S1F_jjS1H_bEUljE0_EEES10_S11_S12_S19_S1D_S1F_T6_T7_T9_mT8_S1H_bDpT10_ENKUlT_T0_E_clISt17integral_constantIbLb1EES1V_EEDaS1Q_S1R_EUlS1Q_E_NS1_11comp_targetILNS1_3genE0ELNS1_11target_archE4294967295ELNS1_3gpuE0ELNS1_3repE0EEENS1_30default_config_static_selectorELNS0_4arch9wavefront6targetE1EEEvS13_.private_seg_size, 0
	.set _ZN7rocprim17ROCPRIM_400000_NS6detail17trampoline_kernelINS0_13select_configILj256ELj13ELNS0_17block_load_methodE3ELS4_3ELS4_3ELNS0_20block_scan_algorithmE0ELj4294967295EEENS1_25partition_config_selectorILNS1_17partition_subalgoE4EjNS0_10empty_typeEbEEZZNS1_14partition_implILS8_4ELb0ES6_15HIP_vector_typeIjLj2EENS0_17counting_iteratorIjlEEPS9_SG_NS0_5tupleIJPjSI_NS0_16reverse_iteratorISI_EEEEENSH_IJSG_SG_SG_EEES9_SI_JZNS1_25segmented_radix_sort_implINS0_14default_configELb1EPK6__halfPSP_PKlPlN2at6native12_GLOBAL__N_18offset_tEEE10hipError_tPvRmT1_PNSt15iterator_traitsIS13_E10value_typeET2_T3_PNS14_IS19_E10value_typeET4_jRbjT5_S1F_jjP12ihipStream_tbEUljE_ZNSN_ISO_Lb1ESR_SS_SU_SV_SZ_EES10_S11_S12_S13_S17_S18_S19_S1C_S1D_jS1E_jS1F_S1F_jjS1H_bEUljE0_EEES10_S11_S12_S19_S1D_S1F_T6_T7_T9_mT8_S1H_bDpT10_ENKUlT_T0_E_clISt17integral_constantIbLb1EES1V_EEDaS1Q_S1R_EUlS1Q_E_NS1_11comp_targetILNS1_3genE0ELNS1_11target_archE4294967295ELNS1_3gpuE0ELNS1_3repE0EEENS1_30default_config_static_selectorELNS0_4arch9wavefront6targetE1EEEvS13_.uses_vcc, 0
	.set _ZN7rocprim17ROCPRIM_400000_NS6detail17trampoline_kernelINS0_13select_configILj256ELj13ELNS0_17block_load_methodE3ELS4_3ELS4_3ELNS0_20block_scan_algorithmE0ELj4294967295EEENS1_25partition_config_selectorILNS1_17partition_subalgoE4EjNS0_10empty_typeEbEEZZNS1_14partition_implILS8_4ELb0ES6_15HIP_vector_typeIjLj2EENS0_17counting_iteratorIjlEEPS9_SG_NS0_5tupleIJPjSI_NS0_16reverse_iteratorISI_EEEEENSH_IJSG_SG_SG_EEES9_SI_JZNS1_25segmented_radix_sort_implINS0_14default_configELb1EPK6__halfPSP_PKlPlN2at6native12_GLOBAL__N_18offset_tEEE10hipError_tPvRmT1_PNSt15iterator_traitsIS13_E10value_typeET2_T3_PNS14_IS19_E10value_typeET4_jRbjT5_S1F_jjP12ihipStream_tbEUljE_ZNSN_ISO_Lb1ESR_SS_SU_SV_SZ_EES10_S11_S12_S13_S17_S18_S19_S1C_S1D_jS1E_jS1F_S1F_jjS1H_bEUljE0_EEES10_S11_S12_S19_S1D_S1F_T6_T7_T9_mT8_S1H_bDpT10_ENKUlT_T0_E_clISt17integral_constantIbLb1EES1V_EEDaS1Q_S1R_EUlS1Q_E_NS1_11comp_targetILNS1_3genE0ELNS1_11target_archE4294967295ELNS1_3gpuE0ELNS1_3repE0EEENS1_30default_config_static_selectorELNS0_4arch9wavefront6targetE1EEEvS13_.uses_flat_scratch, 0
	.set _ZN7rocprim17ROCPRIM_400000_NS6detail17trampoline_kernelINS0_13select_configILj256ELj13ELNS0_17block_load_methodE3ELS4_3ELS4_3ELNS0_20block_scan_algorithmE0ELj4294967295EEENS1_25partition_config_selectorILNS1_17partition_subalgoE4EjNS0_10empty_typeEbEEZZNS1_14partition_implILS8_4ELb0ES6_15HIP_vector_typeIjLj2EENS0_17counting_iteratorIjlEEPS9_SG_NS0_5tupleIJPjSI_NS0_16reverse_iteratorISI_EEEEENSH_IJSG_SG_SG_EEES9_SI_JZNS1_25segmented_radix_sort_implINS0_14default_configELb1EPK6__halfPSP_PKlPlN2at6native12_GLOBAL__N_18offset_tEEE10hipError_tPvRmT1_PNSt15iterator_traitsIS13_E10value_typeET2_T3_PNS14_IS19_E10value_typeET4_jRbjT5_S1F_jjP12ihipStream_tbEUljE_ZNSN_ISO_Lb1ESR_SS_SU_SV_SZ_EES10_S11_S12_S13_S17_S18_S19_S1C_S1D_jS1E_jS1F_S1F_jjS1H_bEUljE0_EEES10_S11_S12_S19_S1D_S1F_T6_T7_T9_mT8_S1H_bDpT10_ENKUlT_T0_E_clISt17integral_constantIbLb1EES1V_EEDaS1Q_S1R_EUlS1Q_E_NS1_11comp_targetILNS1_3genE0ELNS1_11target_archE4294967295ELNS1_3gpuE0ELNS1_3repE0EEENS1_30default_config_static_selectorELNS0_4arch9wavefront6targetE1EEEvS13_.has_dyn_sized_stack, 0
	.set _ZN7rocprim17ROCPRIM_400000_NS6detail17trampoline_kernelINS0_13select_configILj256ELj13ELNS0_17block_load_methodE3ELS4_3ELS4_3ELNS0_20block_scan_algorithmE0ELj4294967295EEENS1_25partition_config_selectorILNS1_17partition_subalgoE4EjNS0_10empty_typeEbEEZZNS1_14partition_implILS8_4ELb0ES6_15HIP_vector_typeIjLj2EENS0_17counting_iteratorIjlEEPS9_SG_NS0_5tupleIJPjSI_NS0_16reverse_iteratorISI_EEEEENSH_IJSG_SG_SG_EEES9_SI_JZNS1_25segmented_radix_sort_implINS0_14default_configELb1EPK6__halfPSP_PKlPlN2at6native12_GLOBAL__N_18offset_tEEE10hipError_tPvRmT1_PNSt15iterator_traitsIS13_E10value_typeET2_T3_PNS14_IS19_E10value_typeET4_jRbjT5_S1F_jjP12ihipStream_tbEUljE_ZNSN_ISO_Lb1ESR_SS_SU_SV_SZ_EES10_S11_S12_S13_S17_S18_S19_S1C_S1D_jS1E_jS1F_S1F_jjS1H_bEUljE0_EEES10_S11_S12_S19_S1D_S1F_T6_T7_T9_mT8_S1H_bDpT10_ENKUlT_T0_E_clISt17integral_constantIbLb1EES1V_EEDaS1Q_S1R_EUlS1Q_E_NS1_11comp_targetILNS1_3genE0ELNS1_11target_archE4294967295ELNS1_3gpuE0ELNS1_3repE0EEENS1_30default_config_static_selectorELNS0_4arch9wavefront6targetE1EEEvS13_.has_recursion, 0
	.set _ZN7rocprim17ROCPRIM_400000_NS6detail17trampoline_kernelINS0_13select_configILj256ELj13ELNS0_17block_load_methodE3ELS4_3ELS4_3ELNS0_20block_scan_algorithmE0ELj4294967295EEENS1_25partition_config_selectorILNS1_17partition_subalgoE4EjNS0_10empty_typeEbEEZZNS1_14partition_implILS8_4ELb0ES6_15HIP_vector_typeIjLj2EENS0_17counting_iteratorIjlEEPS9_SG_NS0_5tupleIJPjSI_NS0_16reverse_iteratorISI_EEEEENSH_IJSG_SG_SG_EEES9_SI_JZNS1_25segmented_radix_sort_implINS0_14default_configELb1EPK6__halfPSP_PKlPlN2at6native12_GLOBAL__N_18offset_tEEE10hipError_tPvRmT1_PNSt15iterator_traitsIS13_E10value_typeET2_T3_PNS14_IS19_E10value_typeET4_jRbjT5_S1F_jjP12ihipStream_tbEUljE_ZNSN_ISO_Lb1ESR_SS_SU_SV_SZ_EES10_S11_S12_S13_S17_S18_S19_S1C_S1D_jS1E_jS1F_S1F_jjS1H_bEUljE0_EEES10_S11_S12_S19_S1D_S1F_T6_T7_T9_mT8_S1H_bDpT10_ENKUlT_T0_E_clISt17integral_constantIbLb1EES1V_EEDaS1Q_S1R_EUlS1Q_E_NS1_11comp_targetILNS1_3genE0ELNS1_11target_archE4294967295ELNS1_3gpuE0ELNS1_3repE0EEENS1_30default_config_static_selectorELNS0_4arch9wavefront6targetE1EEEvS13_.has_indirect_call, 0
	.section	.AMDGPU.csdata,"",@progbits
; Kernel info:
; codeLenInByte = 0
; TotalNumSgprs: 4
; NumVgprs: 0
; ScratchSize: 0
; MemoryBound: 0
; FloatMode: 240
; IeeeMode: 1
; LDSByteSize: 0 bytes/workgroup (compile time only)
; SGPRBlocks: 0
; VGPRBlocks: 0
; NumSGPRsForWavesPerEU: 4
; NumVGPRsForWavesPerEU: 1
; Occupancy: 10
; WaveLimiterHint : 0
; COMPUTE_PGM_RSRC2:SCRATCH_EN: 0
; COMPUTE_PGM_RSRC2:USER_SGPR: 6
; COMPUTE_PGM_RSRC2:TRAP_HANDLER: 0
; COMPUTE_PGM_RSRC2:TGID_X_EN: 1
; COMPUTE_PGM_RSRC2:TGID_Y_EN: 0
; COMPUTE_PGM_RSRC2:TGID_Z_EN: 0
; COMPUTE_PGM_RSRC2:TIDIG_COMP_CNT: 0
	.section	.text._ZN7rocprim17ROCPRIM_400000_NS6detail17trampoline_kernelINS0_13select_configILj256ELj13ELNS0_17block_load_methodE3ELS4_3ELS4_3ELNS0_20block_scan_algorithmE0ELj4294967295EEENS1_25partition_config_selectorILNS1_17partition_subalgoE4EjNS0_10empty_typeEbEEZZNS1_14partition_implILS8_4ELb0ES6_15HIP_vector_typeIjLj2EENS0_17counting_iteratorIjlEEPS9_SG_NS0_5tupleIJPjSI_NS0_16reverse_iteratorISI_EEEEENSH_IJSG_SG_SG_EEES9_SI_JZNS1_25segmented_radix_sort_implINS0_14default_configELb1EPK6__halfPSP_PKlPlN2at6native12_GLOBAL__N_18offset_tEEE10hipError_tPvRmT1_PNSt15iterator_traitsIS13_E10value_typeET2_T3_PNS14_IS19_E10value_typeET4_jRbjT5_S1F_jjP12ihipStream_tbEUljE_ZNSN_ISO_Lb1ESR_SS_SU_SV_SZ_EES10_S11_S12_S13_S17_S18_S19_S1C_S1D_jS1E_jS1F_S1F_jjS1H_bEUljE0_EEES10_S11_S12_S19_S1D_S1F_T6_T7_T9_mT8_S1H_bDpT10_ENKUlT_T0_E_clISt17integral_constantIbLb1EES1V_EEDaS1Q_S1R_EUlS1Q_E_NS1_11comp_targetILNS1_3genE5ELNS1_11target_archE942ELNS1_3gpuE9ELNS1_3repE0EEENS1_30default_config_static_selectorELNS0_4arch9wavefront6targetE1EEEvS13_,"axG",@progbits,_ZN7rocprim17ROCPRIM_400000_NS6detail17trampoline_kernelINS0_13select_configILj256ELj13ELNS0_17block_load_methodE3ELS4_3ELS4_3ELNS0_20block_scan_algorithmE0ELj4294967295EEENS1_25partition_config_selectorILNS1_17partition_subalgoE4EjNS0_10empty_typeEbEEZZNS1_14partition_implILS8_4ELb0ES6_15HIP_vector_typeIjLj2EENS0_17counting_iteratorIjlEEPS9_SG_NS0_5tupleIJPjSI_NS0_16reverse_iteratorISI_EEEEENSH_IJSG_SG_SG_EEES9_SI_JZNS1_25segmented_radix_sort_implINS0_14default_configELb1EPK6__halfPSP_PKlPlN2at6native12_GLOBAL__N_18offset_tEEE10hipError_tPvRmT1_PNSt15iterator_traitsIS13_E10value_typeET2_T3_PNS14_IS19_E10value_typeET4_jRbjT5_S1F_jjP12ihipStream_tbEUljE_ZNSN_ISO_Lb1ESR_SS_SU_SV_SZ_EES10_S11_S12_S13_S17_S18_S19_S1C_S1D_jS1E_jS1F_S1F_jjS1H_bEUljE0_EEES10_S11_S12_S19_S1D_S1F_T6_T7_T9_mT8_S1H_bDpT10_ENKUlT_T0_E_clISt17integral_constantIbLb1EES1V_EEDaS1Q_S1R_EUlS1Q_E_NS1_11comp_targetILNS1_3genE5ELNS1_11target_archE942ELNS1_3gpuE9ELNS1_3repE0EEENS1_30default_config_static_selectorELNS0_4arch9wavefront6targetE1EEEvS13_,comdat
	.globl	_ZN7rocprim17ROCPRIM_400000_NS6detail17trampoline_kernelINS0_13select_configILj256ELj13ELNS0_17block_load_methodE3ELS4_3ELS4_3ELNS0_20block_scan_algorithmE0ELj4294967295EEENS1_25partition_config_selectorILNS1_17partition_subalgoE4EjNS0_10empty_typeEbEEZZNS1_14partition_implILS8_4ELb0ES6_15HIP_vector_typeIjLj2EENS0_17counting_iteratorIjlEEPS9_SG_NS0_5tupleIJPjSI_NS0_16reverse_iteratorISI_EEEEENSH_IJSG_SG_SG_EEES9_SI_JZNS1_25segmented_radix_sort_implINS0_14default_configELb1EPK6__halfPSP_PKlPlN2at6native12_GLOBAL__N_18offset_tEEE10hipError_tPvRmT1_PNSt15iterator_traitsIS13_E10value_typeET2_T3_PNS14_IS19_E10value_typeET4_jRbjT5_S1F_jjP12ihipStream_tbEUljE_ZNSN_ISO_Lb1ESR_SS_SU_SV_SZ_EES10_S11_S12_S13_S17_S18_S19_S1C_S1D_jS1E_jS1F_S1F_jjS1H_bEUljE0_EEES10_S11_S12_S19_S1D_S1F_T6_T7_T9_mT8_S1H_bDpT10_ENKUlT_T0_E_clISt17integral_constantIbLb1EES1V_EEDaS1Q_S1R_EUlS1Q_E_NS1_11comp_targetILNS1_3genE5ELNS1_11target_archE942ELNS1_3gpuE9ELNS1_3repE0EEENS1_30default_config_static_selectorELNS0_4arch9wavefront6targetE1EEEvS13_ ; -- Begin function _ZN7rocprim17ROCPRIM_400000_NS6detail17trampoline_kernelINS0_13select_configILj256ELj13ELNS0_17block_load_methodE3ELS4_3ELS4_3ELNS0_20block_scan_algorithmE0ELj4294967295EEENS1_25partition_config_selectorILNS1_17partition_subalgoE4EjNS0_10empty_typeEbEEZZNS1_14partition_implILS8_4ELb0ES6_15HIP_vector_typeIjLj2EENS0_17counting_iteratorIjlEEPS9_SG_NS0_5tupleIJPjSI_NS0_16reverse_iteratorISI_EEEEENSH_IJSG_SG_SG_EEES9_SI_JZNS1_25segmented_radix_sort_implINS0_14default_configELb1EPK6__halfPSP_PKlPlN2at6native12_GLOBAL__N_18offset_tEEE10hipError_tPvRmT1_PNSt15iterator_traitsIS13_E10value_typeET2_T3_PNS14_IS19_E10value_typeET4_jRbjT5_S1F_jjP12ihipStream_tbEUljE_ZNSN_ISO_Lb1ESR_SS_SU_SV_SZ_EES10_S11_S12_S13_S17_S18_S19_S1C_S1D_jS1E_jS1F_S1F_jjS1H_bEUljE0_EEES10_S11_S12_S19_S1D_S1F_T6_T7_T9_mT8_S1H_bDpT10_ENKUlT_T0_E_clISt17integral_constantIbLb1EES1V_EEDaS1Q_S1R_EUlS1Q_E_NS1_11comp_targetILNS1_3genE5ELNS1_11target_archE942ELNS1_3gpuE9ELNS1_3repE0EEENS1_30default_config_static_selectorELNS0_4arch9wavefront6targetE1EEEvS13_
	.p2align	8
	.type	_ZN7rocprim17ROCPRIM_400000_NS6detail17trampoline_kernelINS0_13select_configILj256ELj13ELNS0_17block_load_methodE3ELS4_3ELS4_3ELNS0_20block_scan_algorithmE0ELj4294967295EEENS1_25partition_config_selectorILNS1_17partition_subalgoE4EjNS0_10empty_typeEbEEZZNS1_14partition_implILS8_4ELb0ES6_15HIP_vector_typeIjLj2EENS0_17counting_iteratorIjlEEPS9_SG_NS0_5tupleIJPjSI_NS0_16reverse_iteratorISI_EEEEENSH_IJSG_SG_SG_EEES9_SI_JZNS1_25segmented_radix_sort_implINS0_14default_configELb1EPK6__halfPSP_PKlPlN2at6native12_GLOBAL__N_18offset_tEEE10hipError_tPvRmT1_PNSt15iterator_traitsIS13_E10value_typeET2_T3_PNS14_IS19_E10value_typeET4_jRbjT5_S1F_jjP12ihipStream_tbEUljE_ZNSN_ISO_Lb1ESR_SS_SU_SV_SZ_EES10_S11_S12_S13_S17_S18_S19_S1C_S1D_jS1E_jS1F_S1F_jjS1H_bEUljE0_EEES10_S11_S12_S19_S1D_S1F_T6_T7_T9_mT8_S1H_bDpT10_ENKUlT_T0_E_clISt17integral_constantIbLb1EES1V_EEDaS1Q_S1R_EUlS1Q_E_NS1_11comp_targetILNS1_3genE5ELNS1_11target_archE942ELNS1_3gpuE9ELNS1_3repE0EEENS1_30default_config_static_selectorELNS0_4arch9wavefront6targetE1EEEvS13_,@function
_ZN7rocprim17ROCPRIM_400000_NS6detail17trampoline_kernelINS0_13select_configILj256ELj13ELNS0_17block_load_methodE3ELS4_3ELS4_3ELNS0_20block_scan_algorithmE0ELj4294967295EEENS1_25partition_config_selectorILNS1_17partition_subalgoE4EjNS0_10empty_typeEbEEZZNS1_14partition_implILS8_4ELb0ES6_15HIP_vector_typeIjLj2EENS0_17counting_iteratorIjlEEPS9_SG_NS0_5tupleIJPjSI_NS0_16reverse_iteratorISI_EEEEENSH_IJSG_SG_SG_EEES9_SI_JZNS1_25segmented_radix_sort_implINS0_14default_configELb1EPK6__halfPSP_PKlPlN2at6native12_GLOBAL__N_18offset_tEEE10hipError_tPvRmT1_PNSt15iterator_traitsIS13_E10value_typeET2_T3_PNS14_IS19_E10value_typeET4_jRbjT5_S1F_jjP12ihipStream_tbEUljE_ZNSN_ISO_Lb1ESR_SS_SU_SV_SZ_EES10_S11_S12_S13_S17_S18_S19_S1C_S1D_jS1E_jS1F_S1F_jjS1H_bEUljE0_EEES10_S11_S12_S19_S1D_S1F_T6_T7_T9_mT8_S1H_bDpT10_ENKUlT_T0_E_clISt17integral_constantIbLb1EES1V_EEDaS1Q_S1R_EUlS1Q_E_NS1_11comp_targetILNS1_3genE5ELNS1_11target_archE942ELNS1_3gpuE9ELNS1_3repE0EEENS1_30default_config_static_selectorELNS0_4arch9wavefront6targetE1EEEvS13_: ; @_ZN7rocprim17ROCPRIM_400000_NS6detail17trampoline_kernelINS0_13select_configILj256ELj13ELNS0_17block_load_methodE3ELS4_3ELS4_3ELNS0_20block_scan_algorithmE0ELj4294967295EEENS1_25partition_config_selectorILNS1_17partition_subalgoE4EjNS0_10empty_typeEbEEZZNS1_14partition_implILS8_4ELb0ES6_15HIP_vector_typeIjLj2EENS0_17counting_iteratorIjlEEPS9_SG_NS0_5tupleIJPjSI_NS0_16reverse_iteratorISI_EEEEENSH_IJSG_SG_SG_EEES9_SI_JZNS1_25segmented_radix_sort_implINS0_14default_configELb1EPK6__halfPSP_PKlPlN2at6native12_GLOBAL__N_18offset_tEEE10hipError_tPvRmT1_PNSt15iterator_traitsIS13_E10value_typeET2_T3_PNS14_IS19_E10value_typeET4_jRbjT5_S1F_jjP12ihipStream_tbEUljE_ZNSN_ISO_Lb1ESR_SS_SU_SV_SZ_EES10_S11_S12_S13_S17_S18_S19_S1C_S1D_jS1E_jS1F_S1F_jjS1H_bEUljE0_EEES10_S11_S12_S19_S1D_S1F_T6_T7_T9_mT8_S1H_bDpT10_ENKUlT_T0_E_clISt17integral_constantIbLb1EES1V_EEDaS1Q_S1R_EUlS1Q_E_NS1_11comp_targetILNS1_3genE5ELNS1_11target_archE942ELNS1_3gpuE9ELNS1_3repE0EEENS1_30default_config_static_selectorELNS0_4arch9wavefront6targetE1EEEvS13_
; %bb.0:
	.section	.rodata,"a",@progbits
	.p2align	6, 0x0
	.amdhsa_kernel _ZN7rocprim17ROCPRIM_400000_NS6detail17trampoline_kernelINS0_13select_configILj256ELj13ELNS0_17block_load_methodE3ELS4_3ELS4_3ELNS0_20block_scan_algorithmE0ELj4294967295EEENS1_25partition_config_selectorILNS1_17partition_subalgoE4EjNS0_10empty_typeEbEEZZNS1_14partition_implILS8_4ELb0ES6_15HIP_vector_typeIjLj2EENS0_17counting_iteratorIjlEEPS9_SG_NS0_5tupleIJPjSI_NS0_16reverse_iteratorISI_EEEEENSH_IJSG_SG_SG_EEES9_SI_JZNS1_25segmented_radix_sort_implINS0_14default_configELb1EPK6__halfPSP_PKlPlN2at6native12_GLOBAL__N_18offset_tEEE10hipError_tPvRmT1_PNSt15iterator_traitsIS13_E10value_typeET2_T3_PNS14_IS19_E10value_typeET4_jRbjT5_S1F_jjP12ihipStream_tbEUljE_ZNSN_ISO_Lb1ESR_SS_SU_SV_SZ_EES10_S11_S12_S13_S17_S18_S19_S1C_S1D_jS1E_jS1F_S1F_jjS1H_bEUljE0_EEES10_S11_S12_S19_S1D_S1F_T6_T7_T9_mT8_S1H_bDpT10_ENKUlT_T0_E_clISt17integral_constantIbLb1EES1V_EEDaS1Q_S1R_EUlS1Q_E_NS1_11comp_targetILNS1_3genE5ELNS1_11target_archE942ELNS1_3gpuE9ELNS1_3repE0EEENS1_30default_config_static_selectorELNS0_4arch9wavefront6targetE1EEEvS13_
		.amdhsa_group_segment_fixed_size 0
		.amdhsa_private_segment_fixed_size 0
		.amdhsa_kernarg_size 184
		.amdhsa_user_sgpr_count 6
		.amdhsa_user_sgpr_private_segment_buffer 1
		.amdhsa_user_sgpr_dispatch_ptr 0
		.amdhsa_user_sgpr_queue_ptr 0
		.amdhsa_user_sgpr_kernarg_segment_ptr 1
		.amdhsa_user_sgpr_dispatch_id 0
		.amdhsa_user_sgpr_flat_scratch_init 0
		.amdhsa_user_sgpr_private_segment_size 0
		.amdhsa_uses_dynamic_stack 0
		.amdhsa_system_sgpr_private_segment_wavefront_offset 0
		.amdhsa_system_sgpr_workgroup_id_x 1
		.amdhsa_system_sgpr_workgroup_id_y 0
		.amdhsa_system_sgpr_workgroup_id_z 0
		.amdhsa_system_sgpr_workgroup_info 0
		.amdhsa_system_vgpr_workitem_id 0
		.amdhsa_next_free_vgpr 1
		.amdhsa_next_free_sgpr 0
		.amdhsa_reserve_vcc 0
		.amdhsa_reserve_flat_scratch 0
		.amdhsa_float_round_mode_32 0
		.amdhsa_float_round_mode_16_64 0
		.amdhsa_float_denorm_mode_32 3
		.amdhsa_float_denorm_mode_16_64 3
		.amdhsa_dx10_clamp 1
		.amdhsa_ieee_mode 1
		.amdhsa_fp16_overflow 0
		.amdhsa_exception_fp_ieee_invalid_op 0
		.amdhsa_exception_fp_denorm_src 0
		.amdhsa_exception_fp_ieee_div_zero 0
		.amdhsa_exception_fp_ieee_overflow 0
		.amdhsa_exception_fp_ieee_underflow 0
		.amdhsa_exception_fp_ieee_inexact 0
		.amdhsa_exception_int_div_zero 0
	.end_amdhsa_kernel
	.section	.text._ZN7rocprim17ROCPRIM_400000_NS6detail17trampoline_kernelINS0_13select_configILj256ELj13ELNS0_17block_load_methodE3ELS4_3ELS4_3ELNS0_20block_scan_algorithmE0ELj4294967295EEENS1_25partition_config_selectorILNS1_17partition_subalgoE4EjNS0_10empty_typeEbEEZZNS1_14partition_implILS8_4ELb0ES6_15HIP_vector_typeIjLj2EENS0_17counting_iteratorIjlEEPS9_SG_NS0_5tupleIJPjSI_NS0_16reverse_iteratorISI_EEEEENSH_IJSG_SG_SG_EEES9_SI_JZNS1_25segmented_radix_sort_implINS0_14default_configELb1EPK6__halfPSP_PKlPlN2at6native12_GLOBAL__N_18offset_tEEE10hipError_tPvRmT1_PNSt15iterator_traitsIS13_E10value_typeET2_T3_PNS14_IS19_E10value_typeET4_jRbjT5_S1F_jjP12ihipStream_tbEUljE_ZNSN_ISO_Lb1ESR_SS_SU_SV_SZ_EES10_S11_S12_S13_S17_S18_S19_S1C_S1D_jS1E_jS1F_S1F_jjS1H_bEUljE0_EEES10_S11_S12_S19_S1D_S1F_T6_T7_T9_mT8_S1H_bDpT10_ENKUlT_T0_E_clISt17integral_constantIbLb1EES1V_EEDaS1Q_S1R_EUlS1Q_E_NS1_11comp_targetILNS1_3genE5ELNS1_11target_archE942ELNS1_3gpuE9ELNS1_3repE0EEENS1_30default_config_static_selectorELNS0_4arch9wavefront6targetE1EEEvS13_,"axG",@progbits,_ZN7rocprim17ROCPRIM_400000_NS6detail17trampoline_kernelINS0_13select_configILj256ELj13ELNS0_17block_load_methodE3ELS4_3ELS4_3ELNS0_20block_scan_algorithmE0ELj4294967295EEENS1_25partition_config_selectorILNS1_17partition_subalgoE4EjNS0_10empty_typeEbEEZZNS1_14partition_implILS8_4ELb0ES6_15HIP_vector_typeIjLj2EENS0_17counting_iteratorIjlEEPS9_SG_NS0_5tupleIJPjSI_NS0_16reverse_iteratorISI_EEEEENSH_IJSG_SG_SG_EEES9_SI_JZNS1_25segmented_radix_sort_implINS0_14default_configELb1EPK6__halfPSP_PKlPlN2at6native12_GLOBAL__N_18offset_tEEE10hipError_tPvRmT1_PNSt15iterator_traitsIS13_E10value_typeET2_T3_PNS14_IS19_E10value_typeET4_jRbjT5_S1F_jjP12ihipStream_tbEUljE_ZNSN_ISO_Lb1ESR_SS_SU_SV_SZ_EES10_S11_S12_S13_S17_S18_S19_S1C_S1D_jS1E_jS1F_S1F_jjS1H_bEUljE0_EEES10_S11_S12_S19_S1D_S1F_T6_T7_T9_mT8_S1H_bDpT10_ENKUlT_T0_E_clISt17integral_constantIbLb1EES1V_EEDaS1Q_S1R_EUlS1Q_E_NS1_11comp_targetILNS1_3genE5ELNS1_11target_archE942ELNS1_3gpuE9ELNS1_3repE0EEENS1_30default_config_static_selectorELNS0_4arch9wavefront6targetE1EEEvS13_,comdat
.Lfunc_end1684:
	.size	_ZN7rocprim17ROCPRIM_400000_NS6detail17trampoline_kernelINS0_13select_configILj256ELj13ELNS0_17block_load_methodE3ELS4_3ELS4_3ELNS0_20block_scan_algorithmE0ELj4294967295EEENS1_25partition_config_selectorILNS1_17partition_subalgoE4EjNS0_10empty_typeEbEEZZNS1_14partition_implILS8_4ELb0ES6_15HIP_vector_typeIjLj2EENS0_17counting_iteratorIjlEEPS9_SG_NS0_5tupleIJPjSI_NS0_16reverse_iteratorISI_EEEEENSH_IJSG_SG_SG_EEES9_SI_JZNS1_25segmented_radix_sort_implINS0_14default_configELb1EPK6__halfPSP_PKlPlN2at6native12_GLOBAL__N_18offset_tEEE10hipError_tPvRmT1_PNSt15iterator_traitsIS13_E10value_typeET2_T3_PNS14_IS19_E10value_typeET4_jRbjT5_S1F_jjP12ihipStream_tbEUljE_ZNSN_ISO_Lb1ESR_SS_SU_SV_SZ_EES10_S11_S12_S13_S17_S18_S19_S1C_S1D_jS1E_jS1F_S1F_jjS1H_bEUljE0_EEES10_S11_S12_S19_S1D_S1F_T6_T7_T9_mT8_S1H_bDpT10_ENKUlT_T0_E_clISt17integral_constantIbLb1EES1V_EEDaS1Q_S1R_EUlS1Q_E_NS1_11comp_targetILNS1_3genE5ELNS1_11target_archE942ELNS1_3gpuE9ELNS1_3repE0EEENS1_30default_config_static_selectorELNS0_4arch9wavefront6targetE1EEEvS13_, .Lfunc_end1684-_ZN7rocprim17ROCPRIM_400000_NS6detail17trampoline_kernelINS0_13select_configILj256ELj13ELNS0_17block_load_methodE3ELS4_3ELS4_3ELNS0_20block_scan_algorithmE0ELj4294967295EEENS1_25partition_config_selectorILNS1_17partition_subalgoE4EjNS0_10empty_typeEbEEZZNS1_14partition_implILS8_4ELb0ES6_15HIP_vector_typeIjLj2EENS0_17counting_iteratorIjlEEPS9_SG_NS0_5tupleIJPjSI_NS0_16reverse_iteratorISI_EEEEENSH_IJSG_SG_SG_EEES9_SI_JZNS1_25segmented_radix_sort_implINS0_14default_configELb1EPK6__halfPSP_PKlPlN2at6native12_GLOBAL__N_18offset_tEEE10hipError_tPvRmT1_PNSt15iterator_traitsIS13_E10value_typeET2_T3_PNS14_IS19_E10value_typeET4_jRbjT5_S1F_jjP12ihipStream_tbEUljE_ZNSN_ISO_Lb1ESR_SS_SU_SV_SZ_EES10_S11_S12_S13_S17_S18_S19_S1C_S1D_jS1E_jS1F_S1F_jjS1H_bEUljE0_EEES10_S11_S12_S19_S1D_S1F_T6_T7_T9_mT8_S1H_bDpT10_ENKUlT_T0_E_clISt17integral_constantIbLb1EES1V_EEDaS1Q_S1R_EUlS1Q_E_NS1_11comp_targetILNS1_3genE5ELNS1_11target_archE942ELNS1_3gpuE9ELNS1_3repE0EEENS1_30default_config_static_selectorELNS0_4arch9wavefront6targetE1EEEvS13_
                                        ; -- End function
	.set _ZN7rocprim17ROCPRIM_400000_NS6detail17trampoline_kernelINS0_13select_configILj256ELj13ELNS0_17block_load_methodE3ELS4_3ELS4_3ELNS0_20block_scan_algorithmE0ELj4294967295EEENS1_25partition_config_selectorILNS1_17partition_subalgoE4EjNS0_10empty_typeEbEEZZNS1_14partition_implILS8_4ELb0ES6_15HIP_vector_typeIjLj2EENS0_17counting_iteratorIjlEEPS9_SG_NS0_5tupleIJPjSI_NS0_16reverse_iteratorISI_EEEEENSH_IJSG_SG_SG_EEES9_SI_JZNS1_25segmented_radix_sort_implINS0_14default_configELb1EPK6__halfPSP_PKlPlN2at6native12_GLOBAL__N_18offset_tEEE10hipError_tPvRmT1_PNSt15iterator_traitsIS13_E10value_typeET2_T3_PNS14_IS19_E10value_typeET4_jRbjT5_S1F_jjP12ihipStream_tbEUljE_ZNSN_ISO_Lb1ESR_SS_SU_SV_SZ_EES10_S11_S12_S13_S17_S18_S19_S1C_S1D_jS1E_jS1F_S1F_jjS1H_bEUljE0_EEES10_S11_S12_S19_S1D_S1F_T6_T7_T9_mT8_S1H_bDpT10_ENKUlT_T0_E_clISt17integral_constantIbLb1EES1V_EEDaS1Q_S1R_EUlS1Q_E_NS1_11comp_targetILNS1_3genE5ELNS1_11target_archE942ELNS1_3gpuE9ELNS1_3repE0EEENS1_30default_config_static_selectorELNS0_4arch9wavefront6targetE1EEEvS13_.num_vgpr, 0
	.set _ZN7rocprim17ROCPRIM_400000_NS6detail17trampoline_kernelINS0_13select_configILj256ELj13ELNS0_17block_load_methodE3ELS4_3ELS4_3ELNS0_20block_scan_algorithmE0ELj4294967295EEENS1_25partition_config_selectorILNS1_17partition_subalgoE4EjNS0_10empty_typeEbEEZZNS1_14partition_implILS8_4ELb0ES6_15HIP_vector_typeIjLj2EENS0_17counting_iteratorIjlEEPS9_SG_NS0_5tupleIJPjSI_NS0_16reverse_iteratorISI_EEEEENSH_IJSG_SG_SG_EEES9_SI_JZNS1_25segmented_radix_sort_implINS0_14default_configELb1EPK6__halfPSP_PKlPlN2at6native12_GLOBAL__N_18offset_tEEE10hipError_tPvRmT1_PNSt15iterator_traitsIS13_E10value_typeET2_T3_PNS14_IS19_E10value_typeET4_jRbjT5_S1F_jjP12ihipStream_tbEUljE_ZNSN_ISO_Lb1ESR_SS_SU_SV_SZ_EES10_S11_S12_S13_S17_S18_S19_S1C_S1D_jS1E_jS1F_S1F_jjS1H_bEUljE0_EEES10_S11_S12_S19_S1D_S1F_T6_T7_T9_mT8_S1H_bDpT10_ENKUlT_T0_E_clISt17integral_constantIbLb1EES1V_EEDaS1Q_S1R_EUlS1Q_E_NS1_11comp_targetILNS1_3genE5ELNS1_11target_archE942ELNS1_3gpuE9ELNS1_3repE0EEENS1_30default_config_static_selectorELNS0_4arch9wavefront6targetE1EEEvS13_.num_agpr, 0
	.set _ZN7rocprim17ROCPRIM_400000_NS6detail17trampoline_kernelINS0_13select_configILj256ELj13ELNS0_17block_load_methodE3ELS4_3ELS4_3ELNS0_20block_scan_algorithmE0ELj4294967295EEENS1_25partition_config_selectorILNS1_17partition_subalgoE4EjNS0_10empty_typeEbEEZZNS1_14partition_implILS8_4ELb0ES6_15HIP_vector_typeIjLj2EENS0_17counting_iteratorIjlEEPS9_SG_NS0_5tupleIJPjSI_NS0_16reverse_iteratorISI_EEEEENSH_IJSG_SG_SG_EEES9_SI_JZNS1_25segmented_radix_sort_implINS0_14default_configELb1EPK6__halfPSP_PKlPlN2at6native12_GLOBAL__N_18offset_tEEE10hipError_tPvRmT1_PNSt15iterator_traitsIS13_E10value_typeET2_T3_PNS14_IS19_E10value_typeET4_jRbjT5_S1F_jjP12ihipStream_tbEUljE_ZNSN_ISO_Lb1ESR_SS_SU_SV_SZ_EES10_S11_S12_S13_S17_S18_S19_S1C_S1D_jS1E_jS1F_S1F_jjS1H_bEUljE0_EEES10_S11_S12_S19_S1D_S1F_T6_T7_T9_mT8_S1H_bDpT10_ENKUlT_T0_E_clISt17integral_constantIbLb1EES1V_EEDaS1Q_S1R_EUlS1Q_E_NS1_11comp_targetILNS1_3genE5ELNS1_11target_archE942ELNS1_3gpuE9ELNS1_3repE0EEENS1_30default_config_static_selectorELNS0_4arch9wavefront6targetE1EEEvS13_.numbered_sgpr, 0
	.set _ZN7rocprim17ROCPRIM_400000_NS6detail17trampoline_kernelINS0_13select_configILj256ELj13ELNS0_17block_load_methodE3ELS4_3ELS4_3ELNS0_20block_scan_algorithmE0ELj4294967295EEENS1_25partition_config_selectorILNS1_17partition_subalgoE4EjNS0_10empty_typeEbEEZZNS1_14partition_implILS8_4ELb0ES6_15HIP_vector_typeIjLj2EENS0_17counting_iteratorIjlEEPS9_SG_NS0_5tupleIJPjSI_NS0_16reverse_iteratorISI_EEEEENSH_IJSG_SG_SG_EEES9_SI_JZNS1_25segmented_radix_sort_implINS0_14default_configELb1EPK6__halfPSP_PKlPlN2at6native12_GLOBAL__N_18offset_tEEE10hipError_tPvRmT1_PNSt15iterator_traitsIS13_E10value_typeET2_T3_PNS14_IS19_E10value_typeET4_jRbjT5_S1F_jjP12ihipStream_tbEUljE_ZNSN_ISO_Lb1ESR_SS_SU_SV_SZ_EES10_S11_S12_S13_S17_S18_S19_S1C_S1D_jS1E_jS1F_S1F_jjS1H_bEUljE0_EEES10_S11_S12_S19_S1D_S1F_T6_T7_T9_mT8_S1H_bDpT10_ENKUlT_T0_E_clISt17integral_constantIbLb1EES1V_EEDaS1Q_S1R_EUlS1Q_E_NS1_11comp_targetILNS1_3genE5ELNS1_11target_archE942ELNS1_3gpuE9ELNS1_3repE0EEENS1_30default_config_static_selectorELNS0_4arch9wavefront6targetE1EEEvS13_.num_named_barrier, 0
	.set _ZN7rocprim17ROCPRIM_400000_NS6detail17trampoline_kernelINS0_13select_configILj256ELj13ELNS0_17block_load_methodE3ELS4_3ELS4_3ELNS0_20block_scan_algorithmE0ELj4294967295EEENS1_25partition_config_selectorILNS1_17partition_subalgoE4EjNS0_10empty_typeEbEEZZNS1_14partition_implILS8_4ELb0ES6_15HIP_vector_typeIjLj2EENS0_17counting_iteratorIjlEEPS9_SG_NS0_5tupleIJPjSI_NS0_16reverse_iteratorISI_EEEEENSH_IJSG_SG_SG_EEES9_SI_JZNS1_25segmented_radix_sort_implINS0_14default_configELb1EPK6__halfPSP_PKlPlN2at6native12_GLOBAL__N_18offset_tEEE10hipError_tPvRmT1_PNSt15iterator_traitsIS13_E10value_typeET2_T3_PNS14_IS19_E10value_typeET4_jRbjT5_S1F_jjP12ihipStream_tbEUljE_ZNSN_ISO_Lb1ESR_SS_SU_SV_SZ_EES10_S11_S12_S13_S17_S18_S19_S1C_S1D_jS1E_jS1F_S1F_jjS1H_bEUljE0_EEES10_S11_S12_S19_S1D_S1F_T6_T7_T9_mT8_S1H_bDpT10_ENKUlT_T0_E_clISt17integral_constantIbLb1EES1V_EEDaS1Q_S1R_EUlS1Q_E_NS1_11comp_targetILNS1_3genE5ELNS1_11target_archE942ELNS1_3gpuE9ELNS1_3repE0EEENS1_30default_config_static_selectorELNS0_4arch9wavefront6targetE1EEEvS13_.private_seg_size, 0
	.set _ZN7rocprim17ROCPRIM_400000_NS6detail17trampoline_kernelINS0_13select_configILj256ELj13ELNS0_17block_load_methodE3ELS4_3ELS4_3ELNS0_20block_scan_algorithmE0ELj4294967295EEENS1_25partition_config_selectorILNS1_17partition_subalgoE4EjNS0_10empty_typeEbEEZZNS1_14partition_implILS8_4ELb0ES6_15HIP_vector_typeIjLj2EENS0_17counting_iteratorIjlEEPS9_SG_NS0_5tupleIJPjSI_NS0_16reverse_iteratorISI_EEEEENSH_IJSG_SG_SG_EEES9_SI_JZNS1_25segmented_radix_sort_implINS0_14default_configELb1EPK6__halfPSP_PKlPlN2at6native12_GLOBAL__N_18offset_tEEE10hipError_tPvRmT1_PNSt15iterator_traitsIS13_E10value_typeET2_T3_PNS14_IS19_E10value_typeET4_jRbjT5_S1F_jjP12ihipStream_tbEUljE_ZNSN_ISO_Lb1ESR_SS_SU_SV_SZ_EES10_S11_S12_S13_S17_S18_S19_S1C_S1D_jS1E_jS1F_S1F_jjS1H_bEUljE0_EEES10_S11_S12_S19_S1D_S1F_T6_T7_T9_mT8_S1H_bDpT10_ENKUlT_T0_E_clISt17integral_constantIbLb1EES1V_EEDaS1Q_S1R_EUlS1Q_E_NS1_11comp_targetILNS1_3genE5ELNS1_11target_archE942ELNS1_3gpuE9ELNS1_3repE0EEENS1_30default_config_static_selectorELNS0_4arch9wavefront6targetE1EEEvS13_.uses_vcc, 0
	.set _ZN7rocprim17ROCPRIM_400000_NS6detail17trampoline_kernelINS0_13select_configILj256ELj13ELNS0_17block_load_methodE3ELS4_3ELS4_3ELNS0_20block_scan_algorithmE0ELj4294967295EEENS1_25partition_config_selectorILNS1_17partition_subalgoE4EjNS0_10empty_typeEbEEZZNS1_14partition_implILS8_4ELb0ES6_15HIP_vector_typeIjLj2EENS0_17counting_iteratorIjlEEPS9_SG_NS0_5tupleIJPjSI_NS0_16reverse_iteratorISI_EEEEENSH_IJSG_SG_SG_EEES9_SI_JZNS1_25segmented_radix_sort_implINS0_14default_configELb1EPK6__halfPSP_PKlPlN2at6native12_GLOBAL__N_18offset_tEEE10hipError_tPvRmT1_PNSt15iterator_traitsIS13_E10value_typeET2_T3_PNS14_IS19_E10value_typeET4_jRbjT5_S1F_jjP12ihipStream_tbEUljE_ZNSN_ISO_Lb1ESR_SS_SU_SV_SZ_EES10_S11_S12_S13_S17_S18_S19_S1C_S1D_jS1E_jS1F_S1F_jjS1H_bEUljE0_EEES10_S11_S12_S19_S1D_S1F_T6_T7_T9_mT8_S1H_bDpT10_ENKUlT_T0_E_clISt17integral_constantIbLb1EES1V_EEDaS1Q_S1R_EUlS1Q_E_NS1_11comp_targetILNS1_3genE5ELNS1_11target_archE942ELNS1_3gpuE9ELNS1_3repE0EEENS1_30default_config_static_selectorELNS0_4arch9wavefront6targetE1EEEvS13_.uses_flat_scratch, 0
	.set _ZN7rocprim17ROCPRIM_400000_NS6detail17trampoline_kernelINS0_13select_configILj256ELj13ELNS0_17block_load_methodE3ELS4_3ELS4_3ELNS0_20block_scan_algorithmE0ELj4294967295EEENS1_25partition_config_selectorILNS1_17partition_subalgoE4EjNS0_10empty_typeEbEEZZNS1_14partition_implILS8_4ELb0ES6_15HIP_vector_typeIjLj2EENS0_17counting_iteratorIjlEEPS9_SG_NS0_5tupleIJPjSI_NS0_16reverse_iteratorISI_EEEEENSH_IJSG_SG_SG_EEES9_SI_JZNS1_25segmented_radix_sort_implINS0_14default_configELb1EPK6__halfPSP_PKlPlN2at6native12_GLOBAL__N_18offset_tEEE10hipError_tPvRmT1_PNSt15iterator_traitsIS13_E10value_typeET2_T3_PNS14_IS19_E10value_typeET4_jRbjT5_S1F_jjP12ihipStream_tbEUljE_ZNSN_ISO_Lb1ESR_SS_SU_SV_SZ_EES10_S11_S12_S13_S17_S18_S19_S1C_S1D_jS1E_jS1F_S1F_jjS1H_bEUljE0_EEES10_S11_S12_S19_S1D_S1F_T6_T7_T9_mT8_S1H_bDpT10_ENKUlT_T0_E_clISt17integral_constantIbLb1EES1V_EEDaS1Q_S1R_EUlS1Q_E_NS1_11comp_targetILNS1_3genE5ELNS1_11target_archE942ELNS1_3gpuE9ELNS1_3repE0EEENS1_30default_config_static_selectorELNS0_4arch9wavefront6targetE1EEEvS13_.has_dyn_sized_stack, 0
	.set _ZN7rocprim17ROCPRIM_400000_NS6detail17trampoline_kernelINS0_13select_configILj256ELj13ELNS0_17block_load_methodE3ELS4_3ELS4_3ELNS0_20block_scan_algorithmE0ELj4294967295EEENS1_25partition_config_selectorILNS1_17partition_subalgoE4EjNS0_10empty_typeEbEEZZNS1_14partition_implILS8_4ELb0ES6_15HIP_vector_typeIjLj2EENS0_17counting_iteratorIjlEEPS9_SG_NS0_5tupleIJPjSI_NS0_16reverse_iteratorISI_EEEEENSH_IJSG_SG_SG_EEES9_SI_JZNS1_25segmented_radix_sort_implINS0_14default_configELb1EPK6__halfPSP_PKlPlN2at6native12_GLOBAL__N_18offset_tEEE10hipError_tPvRmT1_PNSt15iterator_traitsIS13_E10value_typeET2_T3_PNS14_IS19_E10value_typeET4_jRbjT5_S1F_jjP12ihipStream_tbEUljE_ZNSN_ISO_Lb1ESR_SS_SU_SV_SZ_EES10_S11_S12_S13_S17_S18_S19_S1C_S1D_jS1E_jS1F_S1F_jjS1H_bEUljE0_EEES10_S11_S12_S19_S1D_S1F_T6_T7_T9_mT8_S1H_bDpT10_ENKUlT_T0_E_clISt17integral_constantIbLb1EES1V_EEDaS1Q_S1R_EUlS1Q_E_NS1_11comp_targetILNS1_3genE5ELNS1_11target_archE942ELNS1_3gpuE9ELNS1_3repE0EEENS1_30default_config_static_selectorELNS0_4arch9wavefront6targetE1EEEvS13_.has_recursion, 0
	.set _ZN7rocprim17ROCPRIM_400000_NS6detail17trampoline_kernelINS0_13select_configILj256ELj13ELNS0_17block_load_methodE3ELS4_3ELS4_3ELNS0_20block_scan_algorithmE0ELj4294967295EEENS1_25partition_config_selectorILNS1_17partition_subalgoE4EjNS0_10empty_typeEbEEZZNS1_14partition_implILS8_4ELb0ES6_15HIP_vector_typeIjLj2EENS0_17counting_iteratorIjlEEPS9_SG_NS0_5tupleIJPjSI_NS0_16reverse_iteratorISI_EEEEENSH_IJSG_SG_SG_EEES9_SI_JZNS1_25segmented_radix_sort_implINS0_14default_configELb1EPK6__halfPSP_PKlPlN2at6native12_GLOBAL__N_18offset_tEEE10hipError_tPvRmT1_PNSt15iterator_traitsIS13_E10value_typeET2_T3_PNS14_IS19_E10value_typeET4_jRbjT5_S1F_jjP12ihipStream_tbEUljE_ZNSN_ISO_Lb1ESR_SS_SU_SV_SZ_EES10_S11_S12_S13_S17_S18_S19_S1C_S1D_jS1E_jS1F_S1F_jjS1H_bEUljE0_EEES10_S11_S12_S19_S1D_S1F_T6_T7_T9_mT8_S1H_bDpT10_ENKUlT_T0_E_clISt17integral_constantIbLb1EES1V_EEDaS1Q_S1R_EUlS1Q_E_NS1_11comp_targetILNS1_3genE5ELNS1_11target_archE942ELNS1_3gpuE9ELNS1_3repE0EEENS1_30default_config_static_selectorELNS0_4arch9wavefront6targetE1EEEvS13_.has_indirect_call, 0
	.section	.AMDGPU.csdata,"",@progbits
; Kernel info:
; codeLenInByte = 0
; TotalNumSgprs: 4
; NumVgprs: 0
; ScratchSize: 0
; MemoryBound: 0
; FloatMode: 240
; IeeeMode: 1
; LDSByteSize: 0 bytes/workgroup (compile time only)
; SGPRBlocks: 0
; VGPRBlocks: 0
; NumSGPRsForWavesPerEU: 4
; NumVGPRsForWavesPerEU: 1
; Occupancy: 10
; WaveLimiterHint : 0
; COMPUTE_PGM_RSRC2:SCRATCH_EN: 0
; COMPUTE_PGM_RSRC2:USER_SGPR: 6
; COMPUTE_PGM_RSRC2:TRAP_HANDLER: 0
; COMPUTE_PGM_RSRC2:TGID_X_EN: 1
; COMPUTE_PGM_RSRC2:TGID_Y_EN: 0
; COMPUTE_PGM_RSRC2:TGID_Z_EN: 0
; COMPUTE_PGM_RSRC2:TIDIG_COMP_CNT: 0
	.section	.text._ZN7rocprim17ROCPRIM_400000_NS6detail17trampoline_kernelINS0_13select_configILj256ELj13ELNS0_17block_load_methodE3ELS4_3ELS4_3ELNS0_20block_scan_algorithmE0ELj4294967295EEENS1_25partition_config_selectorILNS1_17partition_subalgoE4EjNS0_10empty_typeEbEEZZNS1_14partition_implILS8_4ELb0ES6_15HIP_vector_typeIjLj2EENS0_17counting_iteratorIjlEEPS9_SG_NS0_5tupleIJPjSI_NS0_16reverse_iteratorISI_EEEEENSH_IJSG_SG_SG_EEES9_SI_JZNS1_25segmented_radix_sort_implINS0_14default_configELb1EPK6__halfPSP_PKlPlN2at6native12_GLOBAL__N_18offset_tEEE10hipError_tPvRmT1_PNSt15iterator_traitsIS13_E10value_typeET2_T3_PNS14_IS19_E10value_typeET4_jRbjT5_S1F_jjP12ihipStream_tbEUljE_ZNSN_ISO_Lb1ESR_SS_SU_SV_SZ_EES10_S11_S12_S13_S17_S18_S19_S1C_S1D_jS1E_jS1F_S1F_jjS1H_bEUljE0_EEES10_S11_S12_S19_S1D_S1F_T6_T7_T9_mT8_S1H_bDpT10_ENKUlT_T0_E_clISt17integral_constantIbLb1EES1V_EEDaS1Q_S1R_EUlS1Q_E_NS1_11comp_targetILNS1_3genE4ELNS1_11target_archE910ELNS1_3gpuE8ELNS1_3repE0EEENS1_30default_config_static_selectorELNS0_4arch9wavefront6targetE1EEEvS13_,"axG",@progbits,_ZN7rocprim17ROCPRIM_400000_NS6detail17trampoline_kernelINS0_13select_configILj256ELj13ELNS0_17block_load_methodE3ELS4_3ELS4_3ELNS0_20block_scan_algorithmE0ELj4294967295EEENS1_25partition_config_selectorILNS1_17partition_subalgoE4EjNS0_10empty_typeEbEEZZNS1_14partition_implILS8_4ELb0ES6_15HIP_vector_typeIjLj2EENS0_17counting_iteratorIjlEEPS9_SG_NS0_5tupleIJPjSI_NS0_16reverse_iteratorISI_EEEEENSH_IJSG_SG_SG_EEES9_SI_JZNS1_25segmented_radix_sort_implINS0_14default_configELb1EPK6__halfPSP_PKlPlN2at6native12_GLOBAL__N_18offset_tEEE10hipError_tPvRmT1_PNSt15iterator_traitsIS13_E10value_typeET2_T3_PNS14_IS19_E10value_typeET4_jRbjT5_S1F_jjP12ihipStream_tbEUljE_ZNSN_ISO_Lb1ESR_SS_SU_SV_SZ_EES10_S11_S12_S13_S17_S18_S19_S1C_S1D_jS1E_jS1F_S1F_jjS1H_bEUljE0_EEES10_S11_S12_S19_S1D_S1F_T6_T7_T9_mT8_S1H_bDpT10_ENKUlT_T0_E_clISt17integral_constantIbLb1EES1V_EEDaS1Q_S1R_EUlS1Q_E_NS1_11comp_targetILNS1_3genE4ELNS1_11target_archE910ELNS1_3gpuE8ELNS1_3repE0EEENS1_30default_config_static_selectorELNS0_4arch9wavefront6targetE1EEEvS13_,comdat
	.globl	_ZN7rocprim17ROCPRIM_400000_NS6detail17trampoline_kernelINS0_13select_configILj256ELj13ELNS0_17block_load_methodE3ELS4_3ELS4_3ELNS0_20block_scan_algorithmE0ELj4294967295EEENS1_25partition_config_selectorILNS1_17partition_subalgoE4EjNS0_10empty_typeEbEEZZNS1_14partition_implILS8_4ELb0ES6_15HIP_vector_typeIjLj2EENS0_17counting_iteratorIjlEEPS9_SG_NS0_5tupleIJPjSI_NS0_16reverse_iteratorISI_EEEEENSH_IJSG_SG_SG_EEES9_SI_JZNS1_25segmented_radix_sort_implINS0_14default_configELb1EPK6__halfPSP_PKlPlN2at6native12_GLOBAL__N_18offset_tEEE10hipError_tPvRmT1_PNSt15iterator_traitsIS13_E10value_typeET2_T3_PNS14_IS19_E10value_typeET4_jRbjT5_S1F_jjP12ihipStream_tbEUljE_ZNSN_ISO_Lb1ESR_SS_SU_SV_SZ_EES10_S11_S12_S13_S17_S18_S19_S1C_S1D_jS1E_jS1F_S1F_jjS1H_bEUljE0_EEES10_S11_S12_S19_S1D_S1F_T6_T7_T9_mT8_S1H_bDpT10_ENKUlT_T0_E_clISt17integral_constantIbLb1EES1V_EEDaS1Q_S1R_EUlS1Q_E_NS1_11comp_targetILNS1_3genE4ELNS1_11target_archE910ELNS1_3gpuE8ELNS1_3repE0EEENS1_30default_config_static_selectorELNS0_4arch9wavefront6targetE1EEEvS13_ ; -- Begin function _ZN7rocprim17ROCPRIM_400000_NS6detail17trampoline_kernelINS0_13select_configILj256ELj13ELNS0_17block_load_methodE3ELS4_3ELS4_3ELNS0_20block_scan_algorithmE0ELj4294967295EEENS1_25partition_config_selectorILNS1_17partition_subalgoE4EjNS0_10empty_typeEbEEZZNS1_14partition_implILS8_4ELb0ES6_15HIP_vector_typeIjLj2EENS0_17counting_iteratorIjlEEPS9_SG_NS0_5tupleIJPjSI_NS0_16reverse_iteratorISI_EEEEENSH_IJSG_SG_SG_EEES9_SI_JZNS1_25segmented_radix_sort_implINS0_14default_configELb1EPK6__halfPSP_PKlPlN2at6native12_GLOBAL__N_18offset_tEEE10hipError_tPvRmT1_PNSt15iterator_traitsIS13_E10value_typeET2_T3_PNS14_IS19_E10value_typeET4_jRbjT5_S1F_jjP12ihipStream_tbEUljE_ZNSN_ISO_Lb1ESR_SS_SU_SV_SZ_EES10_S11_S12_S13_S17_S18_S19_S1C_S1D_jS1E_jS1F_S1F_jjS1H_bEUljE0_EEES10_S11_S12_S19_S1D_S1F_T6_T7_T9_mT8_S1H_bDpT10_ENKUlT_T0_E_clISt17integral_constantIbLb1EES1V_EEDaS1Q_S1R_EUlS1Q_E_NS1_11comp_targetILNS1_3genE4ELNS1_11target_archE910ELNS1_3gpuE8ELNS1_3repE0EEENS1_30default_config_static_selectorELNS0_4arch9wavefront6targetE1EEEvS13_
	.p2align	8
	.type	_ZN7rocprim17ROCPRIM_400000_NS6detail17trampoline_kernelINS0_13select_configILj256ELj13ELNS0_17block_load_methodE3ELS4_3ELS4_3ELNS0_20block_scan_algorithmE0ELj4294967295EEENS1_25partition_config_selectorILNS1_17partition_subalgoE4EjNS0_10empty_typeEbEEZZNS1_14partition_implILS8_4ELb0ES6_15HIP_vector_typeIjLj2EENS0_17counting_iteratorIjlEEPS9_SG_NS0_5tupleIJPjSI_NS0_16reverse_iteratorISI_EEEEENSH_IJSG_SG_SG_EEES9_SI_JZNS1_25segmented_radix_sort_implINS0_14default_configELb1EPK6__halfPSP_PKlPlN2at6native12_GLOBAL__N_18offset_tEEE10hipError_tPvRmT1_PNSt15iterator_traitsIS13_E10value_typeET2_T3_PNS14_IS19_E10value_typeET4_jRbjT5_S1F_jjP12ihipStream_tbEUljE_ZNSN_ISO_Lb1ESR_SS_SU_SV_SZ_EES10_S11_S12_S13_S17_S18_S19_S1C_S1D_jS1E_jS1F_S1F_jjS1H_bEUljE0_EEES10_S11_S12_S19_S1D_S1F_T6_T7_T9_mT8_S1H_bDpT10_ENKUlT_T0_E_clISt17integral_constantIbLb1EES1V_EEDaS1Q_S1R_EUlS1Q_E_NS1_11comp_targetILNS1_3genE4ELNS1_11target_archE910ELNS1_3gpuE8ELNS1_3repE0EEENS1_30default_config_static_selectorELNS0_4arch9wavefront6targetE1EEEvS13_,@function
_ZN7rocprim17ROCPRIM_400000_NS6detail17trampoline_kernelINS0_13select_configILj256ELj13ELNS0_17block_load_methodE3ELS4_3ELS4_3ELNS0_20block_scan_algorithmE0ELj4294967295EEENS1_25partition_config_selectorILNS1_17partition_subalgoE4EjNS0_10empty_typeEbEEZZNS1_14partition_implILS8_4ELb0ES6_15HIP_vector_typeIjLj2EENS0_17counting_iteratorIjlEEPS9_SG_NS0_5tupleIJPjSI_NS0_16reverse_iteratorISI_EEEEENSH_IJSG_SG_SG_EEES9_SI_JZNS1_25segmented_radix_sort_implINS0_14default_configELb1EPK6__halfPSP_PKlPlN2at6native12_GLOBAL__N_18offset_tEEE10hipError_tPvRmT1_PNSt15iterator_traitsIS13_E10value_typeET2_T3_PNS14_IS19_E10value_typeET4_jRbjT5_S1F_jjP12ihipStream_tbEUljE_ZNSN_ISO_Lb1ESR_SS_SU_SV_SZ_EES10_S11_S12_S13_S17_S18_S19_S1C_S1D_jS1E_jS1F_S1F_jjS1H_bEUljE0_EEES10_S11_S12_S19_S1D_S1F_T6_T7_T9_mT8_S1H_bDpT10_ENKUlT_T0_E_clISt17integral_constantIbLb1EES1V_EEDaS1Q_S1R_EUlS1Q_E_NS1_11comp_targetILNS1_3genE4ELNS1_11target_archE910ELNS1_3gpuE8ELNS1_3repE0EEENS1_30default_config_static_selectorELNS0_4arch9wavefront6targetE1EEEvS13_: ; @_ZN7rocprim17ROCPRIM_400000_NS6detail17trampoline_kernelINS0_13select_configILj256ELj13ELNS0_17block_load_methodE3ELS4_3ELS4_3ELNS0_20block_scan_algorithmE0ELj4294967295EEENS1_25partition_config_selectorILNS1_17partition_subalgoE4EjNS0_10empty_typeEbEEZZNS1_14partition_implILS8_4ELb0ES6_15HIP_vector_typeIjLj2EENS0_17counting_iteratorIjlEEPS9_SG_NS0_5tupleIJPjSI_NS0_16reverse_iteratorISI_EEEEENSH_IJSG_SG_SG_EEES9_SI_JZNS1_25segmented_radix_sort_implINS0_14default_configELb1EPK6__halfPSP_PKlPlN2at6native12_GLOBAL__N_18offset_tEEE10hipError_tPvRmT1_PNSt15iterator_traitsIS13_E10value_typeET2_T3_PNS14_IS19_E10value_typeET4_jRbjT5_S1F_jjP12ihipStream_tbEUljE_ZNSN_ISO_Lb1ESR_SS_SU_SV_SZ_EES10_S11_S12_S13_S17_S18_S19_S1C_S1D_jS1E_jS1F_S1F_jjS1H_bEUljE0_EEES10_S11_S12_S19_S1D_S1F_T6_T7_T9_mT8_S1H_bDpT10_ENKUlT_T0_E_clISt17integral_constantIbLb1EES1V_EEDaS1Q_S1R_EUlS1Q_E_NS1_11comp_targetILNS1_3genE4ELNS1_11target_archE910ELNS1_3gpuE8ELNS1_3repE0EEENS1_30default_config_static_selectorELNS0_4arch9wavefront6targetE1EEEvS13_
; %bb.0:
	.section	.rodata,"a",@progbits
	.p2align	6, 0x0
	.amdhsa_kernel _ZN7rocprim17ROCPRIM_400000_NS6detail17trampoline_kernelINS0_13select_configILj256ELj13ELNS0_17block_load_methodE3ELS4_3ELS4_3ELNS0_20block_scan_algorithmE0ELj4294967295EEENS1_25partition_config_selectorILNS1_17partition_subalgoE4EjNS0_10empty_typeEbEEZZNS1_14partition_implILS8_4ELb0ES6_15HIP_vector_typeIjLj2EENS0_17counting_iteratorIjlEEPS9_SG_NS0_5tupleIJPjSI_NS0_16reverse_iteratorISI_EEEEENSH_IJSG_SG_SG_EEES9_SI_JZNS1_25segmented_radix_sort_implINS0_14default_configELb1EPK6__halfPSP_PKlPlN2at6native12_GLOBAL__N_18offset_tEEE10hipError_tPvRmT1_PNSt15iterator_traitsIS13_E10value_typeET2_T3_PNS14_IS19_E10value_typeET4_jRbjT5_S1F_jjP12ihipStream_tbEUljE_ZNSN_ISO_Lb1ESR_SS_SU_SV_SZ_EES10_S11_S12_S13_S17_S18_S19_S1C_S1D_jS1E_jS1F_S1F_jjS1H_bEUljE0_EEES10_S11_S12_S19_S1D_S1F_T6_T7_T9_mT8_S1H_bDpT10_ENKUlT_T0_E_clISt17integral_constantIbLb1EES1V_EEDaS1Q_S1R_EUlS1Q_E_NS1_11comp_targetILNS1_3genE4ELNS1_11target_archE910ELNS1_3gpuE8ELNS1_3repE0EEENS1_30default_config_static_selectorELNS0_4arch9wavefront6targetE1EEEvS13_
		.amdhsa_group_segment_fixed_size 0
		.amdhsa_private_segment_fixed_size 0
		.amdhsa_kernarg_size 184
		.amdhsa_user_sgpr_count 6
		.amdhsa_user_sgpr_private_segment_buffer 1
		.amdhsa_user_sgpr_dispatch_ptr 0
		.amdhsa_user_sgpr_queue_ptr 0
		.amdhsa_user_sgpr_kernarg_segment_ptr 1
		.amdhsa_user_sgpr_dispatch_id 0
		.amdhsa_user_sgpr_flat_scratch_init 0
		.amdhsa_user_sgpr_private_segment_size 0
		.amdhsa_uses_dynamic_stack 0
		.amdhsa_system_sgpr_private_segment_wavefront_offset 0
		.amdhsa_system_sgpr_workgroup_id_x 1
		.amdhsa_system_sgpr_workgroup_id_y 0
		.amdhsa_system_sgpr_workgroup_id_z 0
		.amdhsa_system_sgpr_workgroup_info 0
		.amdhsa_system_vgpr_workitem_id 0
		.amdhsa_next_free_vgpr 1
		.amdhsa_next_free_sgpr 0
		.amdhsa_reserve_vcc 0
		.amdhsa_reserve_flat_scratch 0
		.amdhsa_float_round_mode_32 0
		.amdhsa_float_round_mode_16_64 0
		.amdhsa_float_denorm_mode_32 3
		.amdhsa_float_denorm_mode_16_64 3
		.amdhsa_dx10_clamp 1
		.amdhsa_ieee_mode 1
		.amdhsa_fp16_overflow 0
		.amdhsa_exception_fp_ieee_invalid_op 0
		.amdhsa_exception_fp_denorm_src 0
		.amdhsa_exception_fp_ieee_div_zero 0
		.amdhsa_exception_fp_ieee_overflow 0
		.amdhsa_exception_fp_ieee_underflow 0
		.amdhsa_exception_fp_ieee_inexact 0
		.amdhsa_exception_int_div_zero 0
	.end_amdhsa_kernel
	.section	.text._ZN7rocprim17ROCPRIM_400000_NS6detail17trampoline_kernelINS0_13select_configILj256ELj13ELNS0_17block_load_methodE3ELS4_3ELS4_3ELNS0_20block_scan_algorithmE0ELj4294967295EEENS1_25partition_config_selectorILNS1_17partition_subalgoE4EjNS0_10empty_typeEbEEZZNS1_14partition_implILS8_4ELb0ES6_15HIP_vector_typeIjLj2EENS0_17counting_iteratorIjlEEPS9_SG_NS0_5tupleIJPjSI_NS0_16reverse_iteratorISI_EEEEENSH_IJSG_SG_SG_EEES9_SI_JZNS1_25segmented_radix_sort_implINS0_14default_configELb1EPK6__halfPSP_PKlPlN2at6native12_GLOBAL__N_18offset_tEEE10hipError_tPvRmT1_PNSt15iterator_traitsIS13_E10value_typeET2_T3_PNS14_IS19_E10value_typeET4_jRbjT5_S1F_jjP12ihipStream_tbEUljE_ZNSN_ISO_Lb1ESR_SS_SU_SV_SZ_EES10_S11_S12_S13_S17_S18_S19_S1C_S1D_jS1E_jS1F_S1F_jjS1H_bEUljE0_EEES10_S11_S12_S19_S1D_S1F_T6_T7_T9_mT8_S1H_bDpT10_ENKUlT_T0_E_clISt17integral_constantIbLb1EES1V_EEDaS1Q_S1R_EUlS1Q_E_NS1_11comp_targetILNS1_3genE4ELNS1_11target_archE910ELNS1_3gpuE8ELNS1_3repE0EEENS1_30default_config_static_selectorELNS0_4arch9wavefront6targetE1EEEvS13_,"axG",@progbits,_ZN7rocprim17ROCPRIM_400000_NS6detail17trampoline_kernelINS0_13select_configILj256ELj13ELNS0_17block_load_methodE3ELS4_3ELS4_3ELNS0_20block_scan_algorithmE0ELj4294967295EEENS1_25partition_config_selectorILNS1_17partition_subalgoE4EjNS0_10empty_typeEbEEZZNS1_14partition_implILS8_4ELb0ES6_15HIP_vector_typeIjLj2EENS0_17counting_iteratorIjlEEPS9_SG_NS0_5tupleIJPjSI_NS0_16reverse_iteratorISI_EEEEENSH_IJSG_SG_SG_EEES9_SI_JZNS1_25segmented_radix_sort_implINS0_14default_configELb1EPK6__halfPSP_PKlPlN2at6native12_GLOBAL__N_18offset_tEEE10hipError_tPvRmT1_PNSt15iterator_traitsIS13_E10value_typeET2_T3_PNS14_IS19_E10value_typeET4_jRbjT5_S1F_jjP12ihipStream_tbEUljE_ZNSN_ISO_Lb1ESR_SS_SU_SV_SZ_EES10_S11_S12_S13_S17_S18_S19_S1C_S1D_jS1E_jS1F_S1F_jjS1H_bEUljE0_EEES10_S11_S12_S19_S1D_S1F_T6_T7_T9_mT8_S1H_bDpT10_ENKUlT_T0_E_clISt17integral_constantIbLb1EES1V_EEDaS1Q_S1R_EUlS1Q_E_NS1_11comp_targetILNS1_3genE4ELNS1_11target_archE910ELNS1_3gpuE8ELNS1_3repE0EEENS1_30default_config_static_selectorELNS0_4arch9wavefront6targetE1EEEvS13_,comdat
.Lfunc_end1685:
	.size	_ZN7rocprim17ROCPRIM_400000_NS6detail17trampoline_kernelINS0_13select_configILj256ELj13ELNS0_17block_load_methodE3ELS4_3ELS4_3ELNS0_20block_scan_algorithmE0ELj4294967295EEENS1_25partition_config_selectorILNS1_17partition_subalgoE4EjNS0_10empty_typeEbEEZZNS1_14partition_implILS8_4ELb0ES6_15HIP_vector_typeIjLj2EENS0_17counting_iteratorIjlEEPS9_SG_NS0_5tupleIJPjSI_NS0_16reverse_iteratorISI_EEEEENSH_IJSG_SG_SG_EEES9_SI_JZNS1_25segmented_radix_sort_implINS0_14default_configELb1EPK6__halfPSP_PKlPlN2at6native12_GLOBAL__N_18offset_tEEE10hipError_tPvRmT1_PNSt15iterator_traitsIS13_E10value_typeET2_T3_PNS14_IS19_E10value_typeET4_jRbjT5_S1F_jjP12ihipStream_tbEUljE_ZNSN_ISO_Lb1ESR_SS_SU_SV_SZ_EES10_S11_S12_S13_S17_S18_S19_S1C_S1D_jS1E_jS1F_S1F_jjS1H_bEUljE0_EEES10_S11_S12_S19_S1D_S1F_T6_T7_T9_mT8_S1H_bDpT10_ENKUlT_T0_E_clISt17integral_constantIbLb1EES1V_EEDaS1Q_S1R_EUlS1Q_E_NS1_11comp_targetILNS1_3genE4ELNS1_11target_archE910ELNS1_3gpuE8ELNS1_3repE0EEENS1_30default_config_static_selectorELNS0_4arch9wavefront6targetE1EEEvS13_, .Lfunc_end1685-_ZN7rocprim17ROCPRIM_400000_NS6detail17trampoline_kernelINS0_13select_configILj256ELj13ELNS0_17block_load_methodE3ELS4_3ELS4_3ELNS0_20block_scan_algorithmE0ELj4294967295EEENS1_25partition_config_selectorILNS1_17partition_subalgoE4EjNS0_10empty_typeEbEEZZNS1_14partition_implILS8_4ELb0ES6_15HIP_vector_typeIjLj2EENS0_17counting_iteratorIjlEEPS9_SG_NS0_5tupleIJPjSI_NS0_16reverse_iteratorISI_EEEEENSH_IJSG_SG_SG_EEES9_SI_JZNS1_25segmented_radix_sort_implINS0_14default_configELb1EPK6__halfPSP_PKlPlN2at6native12_GLOBAL__N_18offset_tEEE10hipError_tPvRmT1_PNSt15iterator_traitsIS13_E10value_typeET2_T3_PNS14_IS19_E10value_typeET4_jRbjT5_S1F_jjP12ihipStream_tbEUljE_ZNSN_ISO_Lb1ESR_SS_SU_SV_SZ_EES10_S11_S12_S13_S17_S18_S19_S1C_S1D_jS1E_jS1F_S1F_jjS1H_bEUljE0_EEES10_S11_S12_S19_S1D_S1F_T6_T7_T9_mT8_S1H_bDpT10_ENKUlT_T0_E_clISt17integral_constantIbLb1EES1V_EEDaS1Q_S1R_EUlS1Q_E_NS1_11comp_targetILNS1_3genE4ELNS1_11target_archE910ELNS1_3gpuE8ELNS1_3repE0EEENS1_30default_config_static_selectorELNS0_4arch9wavefront6targetE1EEEvS13_
                                        ; -- End function
	.set _ZN7rocprim17ROCPRIM_400000_NS6detail17trampoline_kernelINS0_13select_configILj256ELj13ELNS0_17block_load_methodE3ELS4_3ELS4_3ELNS0_20block_scan_algorithmE0ELj4294967295EEENS1_25partition_config_selectorILNS1_17partition_subalgoE4EjNS0_10empty_typeEbEEZZNS1_14partition_implILS8_4ELb0ES6_15HIP_vector_typeIjLj2EENS0_17counting_iteratorIjlEEPS9_SG_NS0_5tupleIJPjSI_NS0_16reverse_iteratorISI_EEEEENSH_IJSG_SG_SG_EEES9_SI_JZNS1_25segmented_radix_sort_implINS0_14default_configELb1EPK6__halfPSP_PKlPlN2at6native12_GLOBAL__N_18offset_tEEE10hipError_tPvRmT1_PNSt15iterator_traitsIS13_E10value_typeET2_T3_PNS14_IS19_E10value_typeET4_jRbjT5_S1F_jjP12ihipStream_tbEUljE_ZNSN_ISO_Lb1ESR_SS_SU_SV_SZ_EES10_S11_S12_S13_S17_S18_S19_S1C_S1D_jS1E_jS1F_S1F_jjS1H_bEUljE0_EEES10_S11_S12_S19_S1D_S1F_T6_T7_T9_mT8_S1H_bDpT10_ENKUlT_T0_E_clISt17integral_constantIbLb1EES1V_EEDaS1Q_S1R_EUlS1Q_E_NS1_11comp_targetILNS1_3genE4ELNS1_11target_archE910ELNS1_3gpuE8ELNS1_3repE0EEENS1_30default_config_static_selectorELNS0_4arch9wavefront6targetE1EEEvS13_.num_vgpr, 0
	.set _ZN7rocprim17ROCPRIM_400000_NS6detail17trampoline_kernelINS0_13select_configILj256ELj13ELNS0_17block_load_methodE3ELS4_3ELS4_3ELNS0_20block_scan_algorithmE0ELj4294967295EEENS1_25partition_config_selectorILNS1_17partition_subalgoE4EjNS0_10empty_typeEbEEZZNS1_14partition_implILS8_4ELb0ES6_15HIP_vector_typeIjLj2EENS0_17counting_iteratorIjlEEPS9_SG_NS0_5tupleIJPjSI_NS0_16reverse_iteratorISI_EEEEENSH_IJSG_SG_SG_EEES9_SI_JZNS1_25segmented_radix_sort_implINS0_14default_configELb1EPK6__halfPSP_PKlPlN2at6native12_GLOBAL__N_18offset_tEEE10hipError_tPvRmT1_PNSt15iterator_traitsIS13_E10value_typeET2_T3_PNS14_IS19_E10value_typeET4_jRbjT5_S1F_jjP12ihipStream_tbEUljE_ZNSN_ISO_Lb1ESR_SS_SU_SV_SZ_EES10_S11_S12_S13_S17_S18_S19_S1C_S1D_jS1E_jS1F_S1F_jjS1H_bEUljE0_EEES10_S11_S12_S19_S1D_S1F_T6_T7_T9_mT8_S1H_bDpT10_ENKUlT_T0_E_clISt17integral_constantIbLb1EES1V_EEDaS1Q_S1R_EUlS1Q_E_NS1_11comp_targetILNS1_3genE4ELNS1_11target_archE910ELNS1_3gpuE8ELNS1_3repE0EEENS1_30default_config_static_selectorELNS0_4arch9wavefront6targetE1EEEvS13_.num_agpr, 0
	.set _ZN7rocprim17ROCPRIM_400000_NS6detail17trampoline_kernelINS0_13select_configILj256ELj13ELNS0_17block_load_methodE3ELS4_3ELS4_3ELNS0_20block_scan_algorithmE0ELj4294967295EEENS1_25partition_config_selectorILNS1_17partition_subalgoE4EjNS0_10empty_typeEbEEZZNS1_14partition_implILS8_4ELb0ES6_15HIP_vector_typeIjLj2EENS0_17counting_iteratorIjlEEPS9_SG_NS0_5tupleIJPjSI_NS0_16reverse_iteratorISI_EEEEENSH_IJSG_SG_SG_EEES9_SI_JZNS1_25segmented_radix_sort_implINS0_14default_configELb1EPK6__halfPSP_PKlPlN2at6native12_GLOBAL__N_18offset_tEEE10hipError_tPvRmT1_PNSt15iterator_traitsIS13_E10value_typeET2_T3_PNS14_IS19_E10value_typeET4_jRbjT5_S1F_jjP12ihipStream_tbEUljE_ZNSN_ISO_Lb1ESR_SS_SU_SV_SZ_EES10_S11_S12_S13_S17_S18_S19_S1C_S1D_jS1E_jS1F_S1F_jjS1H_bEUljE0_EEES10_S11_S12_S19_S1D_S1F_T6_T7_T9_mT8_S1H_bDpT10_ENKUlT_T0_E_clISt17integral_constantIbLb1EES1V_EEDaS1Q_S1R_EUlS1Q_E_NS1_11comp_targetILNS1_3genE4ELNS1_11target_archE910ELNS1_3gpuE8ELNS1_3repE0EEENS1_30default_config_static_selectorELNS0_4arch9wavefront6targetE1EEEvS13_.numbered_sgpr, 0
	.set _ZN7rocprim17ROCPRIM_400000_NS6detail17trampoline_kernelINS0_13select_configILj256ELj13ELNS0_17block_load_methodE3ELS4_3ELS4_3ELNS0_20block_scan_algorithmE0ELj4294967295EEENS1_25partition_config_selectorILNS1_17partition_subalgoE4EjNS0_10empty_typeEbEEZZNS1_14partition_implILS8_4ELb0ES6_15HIP_vector_typeIjLj2EENS0_17counting_iteratorIjlEEPS9_SG_NS0_5tupleIJPjSI_NS0_16reverse_iteratorISI_EEEEENSH_IJSG_SG_SG_EEES9_SI_JZNS1_25segmented_radix_sort_implINS0_14default_configELb1EPK6__halfPSP_PKlPlN2at6native12_GLOBAL__N_18offset_tEEE10hipError_tPvRmT1_PNSt15iterator_traitsIS13_E10value_typeET2_T3_PNS14_IS19_E10value_typeET4_jRbjT5_S1F_jjP12ihipStream_tbEUljE_ZNSN_ISO_Lb1ESR_SS_SU_SV_SZ_EES10_S11_S12_S13_S17_S18_S19_S1C_S1D_jS1E_jS1F_S1F_jjS1H_bEUljE0_EEES10_S11_S12_S19_S1D_S1F_T6_T7_T9_mT8_S1H_bDpT10_ENKUlT_T0_E_clISt17integral_constantIbLb1EES1V_EEDaS1Q_S1R_EUlS1Q_E_NS1_11comp_targetILNS1_3genE4ELNS1_11target_archE910ELNS1_3gpuE8ELNS1_3repE0EEENS1_30default_config_static_selectorELNS0_4arch9wavefront6targetE1EEEvS13_.num_named_barrier, 0
	.set _ZN7rocprim17ROCPRIM_400000_NS6detail17trampoline_kernelINS0_13select_configILj256ELj13ELNS0_17block_load_methodE3ELS4_3ELS4_3ELNS0_20block_scan_algorithmE0ELj4294967295EEENS1_25partition_config_selectorILNS1_17partition_subalgoE4EjNS0_10empty_typeEbEEZZNS1_14partition_implILS8_4ELb0ES6_15HIP_vector_typeIjLj2EENS0_17counting_iteratorIjlEEPS9_SG_NS0_5tupleIJPjSI_NS0_16reverse_iteratorISI_EEEEENSH_IJSG_SG_SG_EEES9_SI_JZNS1_25segmented_radix_sort_implINS0_14default_configELb1EPK6__halfPSP_PKlPlN2at6native12_GLOBAL__N_18offset_tEEE10hipError_tPvRmT1_PNSt15iterator_traitsIS13_E10value_typeET2_T3_PNS14_IS19_E10value_typeET4_jRbjT5_S1F_jjP12ihipStream_tbEUljE_ZNSN_ISO_Lb1ESR_SS_SU_SV_SZ_EES10_S11_S12_S13_S17_S18_S19_S1C_S1D_jS1E_jS1F_S1F_jjS1H_bEUljE0_EEES10_S11_S12_S19_S1D_S1F_T6_T7_T9_mT8_S1H_bDpT10_ENKUlT_T0_E_clISt17integral_constantIbLb1EES1V_EEDaS1Q_S1R_EUlS1Q_E_NS1_11comp_targetILNS1_3genE4ELNS1_11target_archE910ELNS1_3gpuE8ELNS1_3repE0EEENS1_30default_config_static_selectorELNS0_4arch9wavefront6targetE1EEEvS13_.private_seg_size, 0
	.set _ZN7rocprim17ROCPRIM_400000_NS6detail17trampoline_kernelINS0_13select_configILj256ELj13ELNS0_17block_load_methodE3ELS4_3ELS4_3ELNS0_20block_scan_algorithmE0ELj4294967295EEENS1_25partition_config_selectorILNS1_17partition_subalgoE4EjNS0_10empty_typeEbEEZZNS1_14partition_implILS8_4ELb0ES6_15HIP_vector_typeIjLj2EENS0_17counting_iteratorIjlEEPS9_SG_NS0_5tupleIJPjSI_NS0_16reverse_iteratorISI_EEEEENSH_IJSG_SG_SG_EEES9_SI_JZNS1_25segmented_radix_sort_implINS0_14default_configELb1EPK6__halfPSP_PKlPlN2at6native12_GLOBAL__N_18offset_tEEE10hipError_tPvRmT1_PNSt15iterator_traitsIS13_E10value_typeET2_T3_PNS14_IS19_E10value_typeET4_jRbjT5_S1F_jjP12ihipStream_tbEUljE_ZNSN_ISO_Lb1ESR_SS_SU_SV_SZ_EES10_S11_S12_S13_S17_S18_S19_S1C_S1D_jS1E_jS1F_S1F_jjS1H_bEUljE0_EEES10_S11_S12_S19_S1D_S1F_T6_T7_T9_mT8_S1H_bDpT10_ENKUlT_T0_E_clISt17integral_constantIbLb1EES1V_EEDaS1Q_S1R_EUlS1Q_E_NS1_11comp_targetILNS1_3genE4ELNS1_11target_archE910ELNS1_3gpuE8ELNS1_3repE0EEENS1_30default_config_static_selectorELNS0_4arch9wavefront6targetE1EEEvS13_.uses_vcc, 0
	.set _ZN7rocprim17ROCPRIM_400000_NS6detail17trampoline_kernelINS0_13select_configILj256ELj13ELNS0_17block_load_methodE3ELS4_3ELS4_3ELNS0_20block_scan_algorithmE0ELj4294967295EEENS1_25partition_config_selectorILNS1_17partition_subalgoE4EjNS0_10empty_typeEbEEZZNS1_14partition_implILS8_4ELb0ES6_15HIP_vector_typeIjLj2EENS0_17counting_iteratorIjlEEPS9_SG_NS0_5tupleIJPjSI_NS0_16reverse_iteratorISI_EEEEENSH_IJSG_SG_SG_EEES9_SI_JZNS1_25segmented_radix_sort_implINS0_14default_configELb1EPK6__halfPSP_PKlPlN2at6native12_GLOBAL__N_18offset_tEEE10hipError_tPvRmT1_PNSt15iterator_traitsIS13_E10value_typeET2_T3_PNS14_IS19_E10value_typeET4_jRbjT5_S1F_jjP12ihipStream_tbEUljE_ZNSN_ISO_Lb1ESR_SS_SU_SV_SZ_EES10_S11_S12_S13_S17_S18_S19_S1C_S1D_jS1E_jS1F_S1F_jjS1H_bEUljE0_EEES10_S11_S12_S19_S1D_S1F_T6_T7_T9_mT8_S1H_bDpT10_ENKUlT_T0_E_clISt17integral_constantIbLb1EES1V_EEDaS1Q_S1R_EUlS1Q_E_NS1_11comp_targetILNS1_3genE4ELNS1_11target_archE910ELNS1_3gpuE8ELNS1_3repE0EEENS1_30default_config_static_selectorELNS0_4arch9wavefront6targetE1EEEvS13_.uses_flat_scratch, 0
	.set _ZN7rocprim17ROCPRIM_400000_NS6detail17trampoline_kernelINS0_13select_configILj256ELj13ELNS0_17block_load_methodE3ELS4_3ELS4_3ELNS0_20block_scan_algorithmE0ELj4294967295EEENS1_25partition_config_selectorILNS1_17partition_subalgoE4EjNS0_10empty_typeEbEEZZNS1_14partition_implILS8_4ELb0ES6_15HIP_vector_typeIjLj2EENS0_17counting_iteratorIjlEEPS9_SG_NS0_5tupleIJPjSI_NS0_16reverse_iteratorISI_EEEEENSH_IJSG_SG_SG_EEES9_SI_JZNS1_25segmented_radix_sort_implINS0_14default_configELb1EPK6__halfPSP_PKlPlN2at6native12_GLOBAL__N_18offset_tEEE10hipError_tPvRmT1_PNSt15iterator_traitsIS13_E10value_typeET2_T3_PNS14_IS19_E10value_typeET4_jRbjT5_S1F_jjP12ihipStream_tbEUljE_ZNSN_ISO_Lb1ESR_SS_SU_SV_SZ_EES10_S11_S12_S13_S17_S18_S19_S1C_S1D_jS1E_jS1F_S1F_jjS1H_bEUljE0_EEES10_S11_S12_S19_S1D_S1F_T6_T7_T9_mT8_S1H_bDpT10_ENKUlT_T0_E_clISt17integral_constantIbLb1EES1V_EEDaS1Q_S1R_EUlS1Q_E_NS1_11comp_targetILNS1_3genE4ELNS1_11target_archE910ELNS1_3gpuE8ELNS1_3repE0EEENS1_30default_config_static_selectorELNS0_4arch9wavefront6targetE1EEEvS13_.has_dyn_sized_stack, 0
	.set _ZN7rocprim17ROCPRIM_400000_NS6detail17trampoline_kernelINS0_13select_configILj256ELj13ELNS0_17block_load_methodE3ELS4_3ELS4_3ELNS0_20block_scan_algorithmE0ELj4294967295EEENS1_25partition_config_selectorILNS1_17partition_subalgoE4EjNS0_10empty_typeEbEEZZNS1_14partition_implILS8_4ELb0ES6_15HIP_vector_typeIjLj2EENS0_17counting_iteratorIjlEEPS9_SG_NS0_5tupleIJPjSI_NS0_16reverse_iteratorISI_EEEEENSH_IJSG_SG_SG_EEES9_SI_JZNS1_25segmented_radix_sort_implINS0_14default_configELb1EPK6__halfPSP_PKlPlN2at6native12_GLOBAL__N_18offset_tEEE10hipError_tPvRmT1_PNSt15iterator_traitsIS13_E10value_typeET2_T3_PNS14_IS19_E10value_typeET4_jRbjT5_S1F_jjP12ihipStream_tbEUljE_ZNSN_ISO_Lb1ESR_SS_SU_SV_SZ_EES10_S11_S12_S13_S17_S18_S19_S1C_S1D_jS1E_jS1F_S1F_jjS1H_bEUljE0_EEES10_S11_S12_S19_S1D_S1F_T6_T7_T9_mT8_S1H_bDpT10_ENKUlT_T0_E_clISt17integral_constantIbLb1EES1V_EEDaS1Q_S1R_EUlS1Q_E_NS1_11comp_targetILNS1_3genE4ELNS1_11target_archE910ELNS1_3gpuE8ELNS1_3repE0EEENS1_30default_config_static_selectorELNS0_4arch9wavefront6targetE1EEEvS13_.has_recursion, 0
	.set _ZN7rocprim17ROCPRIM_400000_NS6detail17trampoline_kernelINS0_13select_configILj256ELj13ELNS0_17block_load_methodE3ELS4_3ELS4_3ELNS0_20block_scan_algorithmE0ELj4294967295EEENS1_25partition_config_selectorILNS1_17partition_subalgoE4EjNS0_10empty_typeEbEEZZNS1_14partition_implILS8_4ELb0ES6_15HIP_vector_typeIjLj2EENS0_17counting_iteratorIjlEEPS9_SG_NS0_5tupleIJPjSI_NS0_16reverse_iteratorISI_EEEEENSH_IJSG_SG_SG_EEES9_SI_JZNS1_25segmented_radix_sort_implINS0_14default_configELb1EPK6__halfPSP_PKlPlN2at6native12_GLOBAL__N_18offset_tEEE10hipError_tPvRmT1_PNSt15iterator_traitsIS13_E10value_typeET2_T3_PNS14_IS19_E10value_typeET4_jRbjT5_S1F_jjP12ihipStream_tbEUljE_ZNSN_ISO_Lb1ESR_SS_SU_SV_SZ_EES10_S11_S12_S13_S17_S18_S19_S1C_S1D_jS1E_jS1F_S1F_jjS1H_bEUljE0_EEES10_S11_S12_S19_S1D_S1F_T6_T7_T9_mT8_S1H_bDpT10_ENKUlT_T0_E_clISt17integral_constantIbLb1EES1V_EEDaS1Q_S1R_EUlS1Q_E_NS1_11comp_targetILNS1_3genE4ELNS1_11target_archE910ELNS1_3gpuE8ELNS1_3repE0EEENS1_30default_config_static_selectorELNS0_4arch9wavefront6targetE1EEEvS13_.has_indirect_call, 0
	.section	.AMDGPU.csdata,"",@progbits
; Kernel info:
; codeLenInByte = 0
; TotalNumSgprs: 4
; NumVgprs: 0
; ScratchSize: 0
; MemoryBound: 0
; FloatMode: 240
; IeeeMode: 1
; LDSByteSize: 0 bytes/workgroup (compile time only)
; SGPRBlocks: 0
; VGPRBlocks: 0
; NumSGPRsForWavesPerEU: 4
; NumVGPRsForWavesPerEU: 1
; Occupancy: 10
; WaveLimiterHint : 0
; COMPUTE_PGM_RSRC2:SCRATCH_EN: 0
; COMPUTE_PGM_RSRC2:USER_SGPR: 6
; COMPUTE_PGM_RSRC2:TRAP_HANDLER: 0
; COMPUTE_PGM_RSRC2:TGID_X_EN: 1
; COMPUTE_PGM_RSRC2:TGID_Y_EN: 0
; COMPUTE_PGM_RSRC2:TGID_Z_EN: 0
; COMPUTE_PGM_RSRC2:TIDIG_COMP_CNT: 0
	.section	.text._ZN7rocprim17ROCPRIM_400000_NS6detail17trampoline_kernelINS0_13select_configILj256ELj13ELNS0_17block_load_methodE3ELS4_3ELS4_3ELNS0_20block_scan_algorithmE0ELj4294967295EEENS1_25partition_config_selectorILNS1_17partition_subalgoE4EjNS0_10empty_typeEbEEZZNS1_14partition_implILS8_4ELb0ES6_15HIP_vector_typeIjLj2EENS0_17counting_iteratorIjlEEPS9_SG_NS0_5tupleIJPjSI_NS0_16reverse_iteratorISI_EEEEENSH_IJSG_SG_SG_EEES9_SI_JZNS1_25segmented_radix_sort_implINS0_14default_configELb1EPK6__halfPSP_PKlPlN2at6native12_GLOBAL__N_18offset_tEEE10hipError_tPvRmT1_PNSt15iterator_traitsIS13_E10value_typeET2_T3_PNS14_IS19_E10value_typeET4_jRbjT5_S1F_jjP12ihipStream_tbEUljE_ZNSN_ISO_Lb1ESR_SS_SU_SV_SZ_EES10_S11_S12_S13_S17_S18_S19_S1C_S1D_jS1E_jS1F_S1F_jjS1H_bEUljE0_EEES10_S11_S12_S19_S1D_S1F_T6_T7_T9_mT8_S1H_bDpT10_ENKUlT_T0_E_clISt17integral_constantIbLb1EES1V_EEDaS1Q_S1R_EUlS1Q_E_NS1_11comp_targetILNS1_3genE3ELNS1_11target_archE908ELNS1_3gpuE7ELNS1_3repE0EEENS1_30default_config_static_selectorELNS0_4arch9wavefront6targetE1EEEvS13_,"axG",@progbits,_ZN7rocprim17ROCPRIM_400000_NS6detail17trampoline_kernelINS0_13select_configILj256ELj13ELNS0_17block_load_methodE3ELS4_3ELS4_3ELNS0_20block_scan_algorithmE0ELj4294967295EEENS1_25partition_config_selectorILNS1_17partition_subalgoE4EjNS0_10empty_typeEbEEZZNS1_14partition_implILS8_4ELb0ES6_15HIP_vector_typeIjLj2EENS0_17counting_iteratorIjlEEPS9_SG_NS0_5tupleIJPjSI_NS0_16reverse_iteratorISI_EEEEENSH_IJSG_SG_SG_EEES9_SI_JZNS1_25segmented_radix_sort_implINS0_14default_configELb1EPK6__halfPSP_PKlPlN2at6native12_GLOBAL__N_18offset_tEEE10hipError_tPvRmT1_PNSt15iterator_traitsIS13_E10value_typeET2_T3_PNS14_IS19_E10value_typeET4_jRbjT5_S1F_jjP12ihipStream_tbEUljE_ZNSN_ISO_Lb1ESR_SS_SU_SV_SZ_EES10_S11_S12_S13_S17_S18_S19_S1C_S1D_jS1E_jS1F_S1F_jjS1H_bEUljE0_EEES10_S11_S12_S19_S1D_S1F_T6_T7_T9_mT8_S1H_bDpT10_ENKUlT_T0_E_clISt17integral_constantIbLb1EES1V_EEDaS1Q_S1R_EUlS1Q_E_NS1_11comp_targetILNS1_3genE3ELNS1_11target_archE908ELNS1_3gpuE7ELNS1_3repE0EEENS1_30default_config_static_selectorELNS0_4arch9wavefront6targetE1EEEvS13_,comdat
	.globl	_ZN7rocprim17ROCPRIM_400000_NS6detail17trampoline_kernelINS0_13select_configILj256ELj13ELNS0_17block_load_methodE3ELS4_3ELS4_3ELNS0_20block_scan_algorithmE0ELj4294967295EEENS1_25partition_config_selectorILNS1_17partition_subalgoE4EjNS0_10empty_typeEbEEZZNS1_14partition_implILS8_4ELb0ES6_15HIP_vector_typeIjLj2EENS0_17counting_iteratorIjlEEPS9_SG_NS0_5tupleIJPjSI_NS0_16reverse_iteratorISI_EEEEENSH_IJSG_SG_SG_EEES9_SI_JZNS1_25segmented_radix_sort_implINS0_14default_configELb1EPK6__halfPSP_PKlPlN2at6native12_GLOBAL__N_18offset_tEEE10hipError_tPvRmT1_PNSt15iterator_traitsIS13_E10value_typeET2_T3_PNS14_IS19_E10value_typeET4_jRbjT5_S1F_jjP12ihipStream_tbEUljE_ZNSN_ISO_Lb1ESR_SS_SU_SV_SZ_EES10_S11_S12_S13_S17_S18_S19_S1C_S1D_jS1E_jS1F_S1F_jjS1H_bEUljE0_EEES10_S11_S12_S19_S1D_S1F_T6_T7_T9_mT8_S1H_bDpT10_ENKUlT_T0_E_clISt17integral_constantIbLb1EES1V_EEDaS1Q_S1R_EUlS1Q_E_NS1_11comp_targetILNS1_3genE3ELNS1_11target_archE908ELNS1_3gpuE7ELNS1_3repE0EEENS1_30default_config_static_selectorELNS0_4arch9wavefront6targetE1EEEvS13_ ; -- Begin function _ZN7rocprim17ROCPRIM_400000_NS6detail17trampoline_kernelINS0_13select_configILj256ELj13ELNS0_17block_load_methodE3ELS4_3ELS4_3ELNS0_20block_scan_algorithmE0ELj4294967295EEENS1_25partition_config_selectorILNS1_17partition_subalgoE4EjNS0_10empty_typeEbEEZZNS1_14partition_implILS8_4ELb0ES6_15HIP_vector_typeIjLj2EENS0_17counting_iteratorIjlEEPS9_SG_NS0_5tupleIJPjSI_NS0_16reverse_iteratorISI_EEEEENSH_IJSG_SG_SG_EEES9_SI_JZNS1_25segmented_radix_sort_implINS0_14default_configELb1EPK6__halfPSP_PKlPlN2at6native12_GLOBAL__N_18offset_tEEE10hipError_tPvRmT1_PNSt15iterator_traitsIS13_E10value_typeET2_T3_PNS14_IS19_E10value_typeET4_jRbjT5_S1F_jjP12ihipStream_tbEUljE_ZNSN_ISO_Lb1ESR_SS_SU_SV_SZ_EES10_S11_S12_S13_S17_S18_S19_S1C_S1D_jS1E_jS1F_S1F_jjS1H_bEUljE0_EEES10_S11_S12_S19_S1D_S1F_T6_T7_T9_mT8_S1H_bDpT10_ENKUlT_T0_E_clISt17integral_constantIbLb1EES1V_EEDaS1Q_S1R_EUlS1Q_E_NS1_11comp_targetILNS1_3genE3ELNS1_11target_archE908ELNS1_3gpuE7ELNS1_3repE0EEENS1_30default_config_static_selectorELNS0_4arch9wavefront6targetE1EEEvS13_
	.p2align	8
	.type	_ZN7rocprim17ROCPRIM_400000_NS6detail17trampoline_kernelINS0_13select_configILj256ELj13ELNS0_17block_load_methodE3ELS4_3ELS4_3ELNS0_20block_scan_algorithmE0ELj4294967295EEENS1_25partition_config_selectorILNS1_17partition_subalgoE4EjNS0_10empty_typeEbEEZZNS1_14partition_implILS8_4ELb0ES6_15HIP_vector_typeIjLj2EENS0_17counting_iteratorIjlEEPS9_SG_NS0_5tupleIJPjSI_NS0_16reverse_iteratorISI_EEEEENSH_IJSG_SG_SG_EEES9_SI_JZNS1_25segmented_radix_sort_implINS0_14default_configELb1EPK6__halfPSP_PKlPlN2at6native12_GLOBAL__N_18offset_tEEE10hipError_tPvRmT1_PNSt15iterator_traitsIS13_E10value_typeET2_T3_PNS14_IS19_E10value_typeET4_jRbjT5_S1F_jjP12ihipStream_tbEUljE_ZNSN_ISO_Lb1ESR_SS_SU_SV_SZ_EES10_S11_S12_S13_S17_S18_S19_S1C_S1D_jS1E_jS1F_S1F_jjS1H_bEUljE0_EEES10_S11_S12_S19_S1D_S1F_T6_T7_T9_mT8_S1H_bDpT10_ENKUlT_T0_E_clISt17integral_constantIbLb1EES1V_EEDaS1Q_S1R_EUlS1Q_E_NS1_11comp_targetILNS1_3genE3ELNS1_11target_archE908ELNS1_3gpuE7ELNS1_3repE0EEENS1_30default_config_static_selectorELNS0_4arch9wavefront6targetE1EEEvS13_,@function
_ZN7rocprim17ROCPRIM_400000_NS6detail17trampoline_kernelINS0_13select_configILj256ELj13ELNS0_17block_load_methodE3ELS4_3ELS4_3ELNS0_20block_scan_algorithmE0ELj4294967295EEENS1_25partition_config_selectorILNS1_17partition_subalgoE4EjNS0_10empty_typeEbEEZZNS1_14partition_implILS8_4ELb0ES6_15HIP_vector_typeIjLj2EENS0_17counting_iteratorIjlEEPS9_SG_NS0_5tupleIJPjSI_NS0_16reverse_iteratorISI_EEEEENSH_IJSG_SG_SG_EEES9_SI_JZNS1_25segmented_radix_sort_implINS0_14default_configELb1EPK6__halfPSP_PKlPlN2at6native12_GLOBAL__N_18offset_tEEE10hipError_tPvRmT1_PNSt15iterator_traitsIS13_E10value_typeET2_T3_PNS14_IS19_E10value_typeET4_jRbjT5_S1F_jjP12ihipStream_tbEUljE_ZNSN_ISO_Lb1ESR_SS_SU_SV_SZ_EES10_S11_S12_S13_S17_S18_S19_S1C_S1D_jS1E_jS1F_S1F_jjS1H_bEUljE0_EEES10_S11_S12_S19_S1D_S1F_T6_T7_T9_mT8_S1H_bDpT10_ENKUlT_T0_E_clISt17integral_constantIbLb1EES1V_EEDaS1Q_S1R_EUlS1Q_E_NS1_11comp_targetILNS1_3genE3ELNS1_11target_archE908ELNS1_3gpuE7ELNS1_3repE0EEENS1_30default_config_static_selectorELNS0_4arch9wavefront6targetE1EEEvS13_: ; @_ZN7rocprim17ROCPRIM_400000_NS6detail17trampoline_kernelINS0_13select_configILj256ELj13ELNS0_17block_load_methodE3ELS4_3ELS4_3ELNS0_20block_scan_algorithmE0ELj4294967295EEENS1_25partition_config_selectorILNS1_17partition_subalgoE4EjNS0_10empty_typeEbEEZZNS1_14partition_implILS8_4ELb0ES6_15HIP_vector_typeIjLj2EENS0_17counting_iteratorIjlEEPS9_SG_NS0_5tupleIJPjSI_NS0_16reverse_iteratorISI_EEEEENSH_IJSG_SG_SG_EEES9_SI_JZNS1_25segmented_radix_sort_implINS0_14default_configELb1EPK6__halfPSP_PKlPlN2at6native12_GLOBAL__N_18offset_tEEE10hipError_tPvRmT1_PNSt15iterator_traitsIS13_E10value_typeET2_T3_PNS14_IS19_E10value_typeET4_jRbjT5_S1F_jjP12ihipStream_tbEUljE_ZNSN_ISO_Lb1ESR_SS_SU_SV_SZ_EES10_S11_S12_S13_S17_S18_S19_S1C_S1D_jS1E_jS1F_S1F_jjS1H_bEUljE0_EEES10_S11_S12_S19_S1D_S1F_T6_T7_T9_mT8_S1H_bDpT10_ENKUlT_T0_E_clISt17integral_constantIbLb1EES1V_EEDaS1Q_S1R_EUlS1Q_E_NS1_11comp_targetILNS1_3genE3ELNS1_11target_archE908ELNS1_3gpuE7ELNS1_3repE0EEENS1_30default_config_static_selectorELNS0_4arch9wavefront6targetE1EEEvS13_
; %bb.0:
	.section	.rodata,"a",@progbits
	.p2align	6, 0x0
	.amdhsa_kernel _ZN7rocprim17ROCPRIM_400000_NS6detail17trampoline_kernelINS0_13select_configILj256ELj13ELNS0_17block_load_methodE3ELS4_3ELS4_3ELNS0_20block_scan_algorithmE0ELj4294967295EEENS1_25partition_config_selectorILNS1_17partition_subalgoE4EjNS0_10empty_typeEbEEZZNS1_14partition_implILS8_4ELb0ES6_15HIP_vector_typeIjLj2EENS0_17counting_iteratorIjlEEPS9_SG_NS0_5tupleIJPjSI_NS0_16reverse_iteratorISI_EEEEENSH_IJSG_SG_SG_EEES9_SI_JZNS1_25segmented_radix_sort_implINS0_14default_configELb1EPK6__halfPSP_PKlPlN2at6native12_GLOBAL__N_18offset_tEEE10hipError_tPvRmT1_PNSt15iterator_traitsIS13_E10value_typeET2_T3_PNS14_IS19_E10value_typeET4_jRbjT5_S1F_jjP12ihipStream_tbEUljE_ZNSN_ISO_Lb1ESR_SS_SU_SV_SZ_EES10_S11_S12_S13_S17_S18_S19_S1C_S1D_jS1E_jS1F_S1F_jjS1H_bEUljE0_EEES10_S11_S12_S19_S1D_S1F_T6_T7_T9_mT8_S1H_bDpT10_ENKUlT_T0_E_clISt17integral_constantIbLb1EES1V_EEDaS1Q_S1R_EUlS1Q_E_NS1_11comp_targetILNS1_3genE3ELNS1_11target_archE908ELNS1_3gpuE7ELNS1_3repE0EEENS1_30default_config_static_selectorELNS0_4arch9wavefront6targetE1EEEvS13_
		.amdhsa_group_segment_fixed_size 0
		.amdhsa_private_segment_fixed_size 0
		.amdhsa_kernarg_size 184
		.amdhsa_user_sgpr_count 6
		.amdhsa_user_sgpr_private_segment_buffer 1
		.amdhsa_user_sgpr_dispatch_ptr 0
		.amdhsa_user_sgpr_queue_ptr 0
		.amdhsa_user_sgpr_kernarg_segment_ptr 1
		.amdhsa_user_sgpr_dispatch_id 0
		.amdhsa_user_sgpr_flat_scratch_init 0
		.amdhsa_user_sgpr_private_segment_size 0
		.amdhsa_uses_dynamic_stack 0
		.amdhsa_system_sgpr_private_segment_wavefront_offset 0
		.amdhsa_system_sgpr_workgroup_id_x 1
		.amdhsa_system_sgpr_workgroup_id_y 0
		.amdhsa_system_sgpr_workgroup_id_z 0
		.amdhsa_system_sgpr_workgroup_info 0
		.amdhsa_system_vgpr_workitem_id 0
		.amdhsa_next_free_vgpr 1
		.amdhsa_next_free_sgpr 0
		.amdhsa_reserve_vcc 0
		.amdhsa_reserve_flat_scratch 0
		.amdhsa_float_round_mode_32 0
		.amdhsa_float_round_mode_16_64 0
		.amdhsa_float_denorm_mode_32 3
		.amdhsa_float_denorm_mode_16_64 3
		.amdhsa_dx10_clamp 1
		.amdhsa_ieee_mode 1
		.amdhsa_fp16_overflow 0
		.amdhsa_exception_fp_ieee_invalid_op 0
		.amdhsa_exception_fp_denorm_src 0
		.amdhsa_exception_fp_ieee_div_zero 0
		.amdhsa_exception_fp_ieee_overflow 0
		.amdhsa_exception_fp_ieee_underflow 0
		.amdhsa_exception_fp_ieee_inexact 0
		.amdhsa_exception_int_div_zero 0
	.end_amdhsa_kernel
	.section	.text._ZN7rocprim17ROCPRIM_400000_NS6detail17trampoline_kernelINS0_13select_configILj256ELj13ELNS0_17block_load_methodE3ELS4_3ELS4_3ELNS0_20block_scan_algorithmE0ELj4294967295EEENS1_25partition_config_selectorILNS1_17partition_subalgoE4EjNS0_10empty_typeEbEEZZNS1_14partition_implILS8_4ELb0ES6_15HIP_vector_typeIjLj2EENS0_17counting_iteratorIjlEEPS9_SG_NS0_5tupleIJPjSI_NS0_16reverse_iteratorISI_EEEEENSH_IJSG_SG_SG_EEES9_SI_JZNS1_25segmented_radix_sort_implINS0_14default_configELb1EPK6__halfPSP_PKlPlN2at6native12_GLOBAL__N_18offset_tEEE10hipError_tPvRmT1_PNSt15iterator_traitsIS13_E10value_typeET2_T3_PNS14_IS19_E10value_typeET4_jRbjT5_S1F_jjP12ihipStream_tbEUljE_ZNSN_ISO_Lb1ESR_SS_SU_SV_SZ_EES10_S11_S12_S13_S17_S18_S19_S1C_S1D_jS1E_jS1F_S1F_jjS1H_bEUljE0_EEES10_S11_S12_S19_S1D_S1F_T6_T7_T9_mT8_S1H_bDpT10_ENKUlT_T0_E_clISt17integral_constantIbLb1EES1V_EEDaS1Q_S1R_EUlS1Q_E_NS1_11comp_targetILNS1_3genE3ELNS1_11target_archE908ELNS1_3gpuE7ELNS1_3repE0EEENS1_30default_config_static_selectorELNS0_4arch9wavefront6targetE1EEEvS13_,"axG",@progbits,_ZN7rocprim17ROCPRIM_400000_NS6detail17trampoline_kernelINS0_13select_configILj256ELj13ELNS0_17block_load_methodE3ELS4_3ELS4_3ELNS0_20block_scan_algorithmE0ELj4294967295EEENS1_25partition_config_selectorILNS1_17partition_subalgoE4EjNS0_10empty_typeEbEEZZNS1_14partition_implILS8_4ELb0ES6_15HIP_vector_typeIjLj2EENS0_17counting_iteratorIjlEEPS9_SG_NS0_5tupleIJPjSI_NS0_16reverse_iteratorISI_EEEEENSH_IJSG_SG_SG_EEES9_SI_JZNS1_25segmented_radix_sort_implINS0_14default_configELb1EPK6__halfPSP_PKlPlN2at6native12_GLOBAL__N_18offset_tEEE10hipError_tPvRmT1_PNSt15iterator_traitsIS13_E10value_typeET2_T3_PNS14_IS19_E10value_typeET4_jRbjT5_S1F_jjP12ihipStream_tbEUljE_ZNSN_ISO_Lb1ESR_SS_SU_SV_SZ_EES10_S11_S12_S13_S17_S18_S19_S1C_S1D_jS1E_jS1F_S1F_jjS1H_bEUljE0_EEES10_S11_S12_S19_S1D_S1F_T6_T7_T9_mT8_S1H_bDpT10_ENKUlT_T0_E_clISt17integral_constantIbLb1EES1V_EEDaS1Q_S1R_EUlS1Q_E_NS1_11comp_targetILNS1_3genE3ELNS1_11target_archE908ELNS1_3gpuE7ELNS1_3repE0EEENS1_30default_config_static_selectorELNS0_4arch9wavefront6targetE1EEEvS13_,comdat
.Lfunc_end1686:
	.size	_ZN7rocprim17ROCPRIM_400000_NS6detail17trampoline_kernelINS0_13select_configILj256ELj13ELNS0_17block_load_methodE3ELS4_3ELS4_3ELNS0_20block_scan_algorithmE0ELj4294967295EEENS1_25partition_config_selectorILNS1_17partition_subalgoE4EjNS0_10empty_typeEbEEZZNS1_14partition_implILS8_4ELb0ES6_15HIP_vector_typeIjLj2EENS0_17counting_iteratorIjlEEPS9_SG_NS0_5tupleIJPjSI_NS0_16reverse_iteratorISI_EEEEENSH_IJSG_SG_SG_EEES9_SI_JZNS1_25segmented_radix_sort_implINS0_14default_configELb1EPK6__halfPSP_PKlPlN2at6native12_GLOBAL__N_18offset_tEEE10hipError_tPvRmT1_PNSt15iterator_traitsIS13_E10value_typeET2_T3_PNS14_IS19_E10value_typeET4_jRbjT5_S1F_jjP12ihipStream_tbEUljE_ZNSN_ISO_Lb1ESR_SS_SU_SV_SZ_EES10_S11_S12_S13_S17_S18_S19_S1C_S1D_jS1E_jS1F_S1F_jjS1H_bEUljE0_EEES10_S11_S12_S19_S1D_S1F_T6_T7_T9_mT8_S1H_bDpT10_ENKUlT_T0_E_clISt17integral_constantIbLb1EES1V_EEDaS1Q_S1R_EUlS1Q_E_NS1_11comp_targetILNS1_3genE3ELNS1_11target_archE908ELNS1_3gpuE7ELNS1_3repE0EEENS1_30default_config_static_selectorELNS0_4arch9wavefront6targetE1EEEvS13_, .Lfunc_end1686-_ZN7rocprim17ROCPRIM_400000_NS6detail17trampoline_kernelINS0_13select_configILj256ELj13ELNS0_17block_load_methodE3ELS4_3ELS4_3ELNS0_20block_scan_algorithmE0ELj4294967295EEENS1_25partition_config_selectorILNS1_17partition_subalgoE4EjNS0_10empty_typeEbEEZZNS1_14partition_implILS8_4ELb0ES6_15HIP_vector_typeIjLj2EENS0_17counting_iteratorIjlEEPS9_SG_NS0_5tupleIJPjSI_NS0_16reverse_iteratorISI_EEEEENSH_IJSG_SG_SG_EEES9_SI_JZNS1_25segmented_radix_sort_implINS0_14default_configELb1EPK6__halfPSP_PKlPlN2at6native12_GLOBAL__N_18offset_tEEE10hipError_tPvRmT1_PNSt15iterator_traitsIS13_E10value_typeET2_T3_PNS14_IS19_E10value_typeET4_jRbjT5_S1F_jjP12ihipStream_tbEUljE_ZNSN_ISO_Lb1ESR_SS_SU_SV_SZ_EES10_S11_S12_S13_S17_S18_S19_S1C_S1D_jS1E_jS1F_S1F_jjS1H_bEUljE0_EEES10_S11_S12_S19_S1D_S1F_T6_T7_T9_mT8_S1H_bDpT10_ENKUlT_T0_E_clISt17integral_constantIbLb1EES1V_EEDaS1Q_S1R_EUlS1Q_E_NS1_11comp_targetILNS1_3genE3ELNS1_11target_archE908ELNS1_3gpuE7ELNS1_3repE0EEENS1_30default_config_static_selectorELNS0_4arch9wavefront6targetE1EEEvS13_
                                        ; -- End function
	.set _ZN7rocprim17ROCPRIM_400000_NS6detail17trampoline_kernelINS0_13select_configILj256ELj13ELNS0_17block_load_methodE3ELS4_3ELS4_3ELNS0_20block_scan_algorithmE0ELj4294967295EEENS1_25partition_config_selectorILNS1_17partition_subalgoE4EjNS0_10empty_typeEbEEZZNS1_14partition_implILS8_4ELb0ES6_15HIP_vector_typeIjLj2EENS0_17counting_iteratorIjlEEPS9_SG_NS0_5tupleIJPjSI_NS0_16reverse_iteratorISI_EEEEENSH_IJSG_SG_SG_EEES9_SI_JZNS1_25segmented_radix_sort_implINS0_14default_configELb1EPK6__halfPSP_PKlPlN2at6native12_GLOBAL__N_18offset_tEEE10hipError_tPvRmT1_PNSt15iterator_traitsIS13_E10value_typeET2_T3_PNS14_IS19_E10value_typeET4_jRbjT5_S1F_jjP12ihipStream_tbEUljE_ZNSN_ISO_Lb1ESR_SS_SU_SV_SZ_EES10_S11_S12_S13_S17_S18_S19_S1C_S1D_jS1E_jS1F_S1F_jjS1H_bEUljE0_EEES10_S11_S12_S19_S1D_S1F_T6_T7_T9_mT8_S1H_bDpT10_ENKUlT_T0_E_clISt17integral_constantIbLb1EES1V_EEDaS1Q_S1R_EUlS1Q_E_NS1_11comp_targetILNS1_3genE3ELNS1_11target_archE908ELNS1_3gpuE7ELNS1_3repE0EEENS1_30default_config_static_selectorELNS0_4arch9wavefront6targetE1EEEvS13_.num_vgpr, 0
	.set _ZN7rocprim17ROCPRIM_400000_NS6detail17trampoline_kernelINS0_13select_configILj256ELj13ELNS0_17block_load_methodE3ELS4_3ELS4_3ELNS0_20block_scan_algorithmE0ELj4294967295EEENS1_25partition_config_selectorILNS1_17partition_subalgoE4EjNS0_10empty_typeEbEEZZNS1_14partition_implILS8_4ELb0ES6_15HIP_vector_typeIjLj2EENS0_17counting_iteratorIjlEEPS9_SG_NS0_5tupleIJPjSI_NS0_16reverse_iteratorISI_EEEEENSH_IJSG_SG_SG_EEES9_SI_JZNS1_25segmented_radix_sort_implINS0_14default_configELb1EPK6__halfPSP_PKlPlN2at6native12_GLOBAL__N_18offset_tEEE10hipError_tPvRmT1_PNSt15iterator_traitsIS13_E10value_typeET2_T3_PNS14_IS19_E10value_typeET4_jRbjT5_S1F_jjP12ihipStream_tbEUljE_ZNSN_ISO_Lb1ESR_SS_SU_SV_SZ_EES10_S11_S12_S13_S17_S18_S19_S1C_S1D_jS1E_jS1F_S1F_jjS1H_bEUljE0_EEES10_S11_S12_S19_S1D_S1F_T6_T7_T9_mT8_S1H_bDpT10_ENKUlT_T0_E_clISt17integral_constantIbLb1EES1V_EEDaS1Q_S1R_EUlS1Q_E_NS1_11comp_targetILNS1_3genE3ELNS1_11target_archE908ELNS1_3gpuE7ELNS1_3repE0EEENS1_30default_config_static_selectorELNS0_4arch9wavefront6targetE1EEEvS13_.num_agpr, 0
	.set _ZN7rocprim17ROCPRIM_400000_NS6detail17trampoline_kernelINS0_13select_configILj256ELj13ELNS0_17block_load_methodE3ELS4_3ELS4_3ELNS0_20block_scan_algorithmE0ELj4294967295EEENS1_25partition_config_selectorILNS1_17partition_subalgoE4EjNS0_10empty_typeEbEEZZNS1_14partition_implILS8_4ELb0ES6_15HIP_vector_typeIjLj2EENS0_17counting_iteratorIjlEEPS9_SG_NS0_5tupleIJPjSI_NS0_16reverse_iteratorISI_EEEEENSH_IJSG_SG_SG_EEES9_SI_JZNS1_25segmented_radix_sort_implINS0_14default_configELb1EPK6__halfPSP_PKlPlN2at6native12_GLOBAL__N_18offset_tEEE10hipError_tPvRmT1_PNSt15iterator_traitsIS13_E10value_typeET2_T3_PNS14_IS19_E10value_typeET4_jRbjT5_S1F_jjP12ihipStream_tbEUljE_ZNSN_ISO_Lb1ESR_SS_SU_SV_SZ_EES10_S11_S12_S13_S17_S18_S19_S1C_S1D_jS1E_jS1F_S1F_jjS1H_bEUljE0_EEES10_S11_S12_S19_S1D_S1F_T6_T7_T9_mT8_S1H_bDpT10_ENKUlT_T0_E_clISt17integral_constantIbLb1EES1V_EEDaS1Q_S1R_EUlS1Q_E_NS1_11comp_targetILNS1_3genE3ELNS1_11target_archE908ELNS1_3gpuE7ELNS1_3repE0EEENS1_30default_config_static_selectorELNS0_4arch9wavefront6targetE1EEEvS13_.numbered_sgpr, 0
	.set _ZN7rocprim17ROCPRIM_400000_NS6detail17trampoline_kernelINS0_13select_configILj256ELj13ELNS0_17block_load_methodE3ELS4_3ELS4_3ELNS0_20block_scan_algorithmE0ELj4294967295EEENS1_25partition_config_selectorILNS1_17partition_subalgoE4EjNS0_10empty_typeEbEEZZNS1_14partition_implILS8_4ELb0ES6_15HIP_vector_typeIjLj2EENS0_17counting_iteratorIjlEEPS9_SG_NS0_5tupleIJPjSI_NS0_16reverse_iteratorISI_EEEEENSH_IJSG_SG_SG_EEES9_SI_JZNS1_25segmented_radix_sort_implINS0_14default_configELb1EPK6__halfPSP_PKlPlN2at6native12_GLOBAL__N_18offset_tEEE10hipError_tPvRmT1_PNSt15iterator_traitsIS13_E10value_typeET2_T3_PNS14_IS19_E10value_typeET4_jRbjT5_S1F_jjP12ihipStream_tbEUljE_ZNSN_ISO_Lb1ESR_SS_SU_SV_SZ_EES10_S11_S12_S13_S17_S18_S19_S1C_S1D_jS1E_jS1F_S1F_jjS1H_bEUljE0_EEES10_S11_S12_S19_S1D_S1F_T6_T7_T9_mT8_S1H_bDpT10_ENKUlT_T0_E_clISt17integral_constantIbLb1EES1V_EEDaS1Q_S1R_EUlS1Q_E_NS1_11comp_targetILNS1_3genE3ELNS1_11target_archE908ELNS1_3gpuE7ELNS1_3repE0EEENS1_30default_config_static_selectorELNS0_4arch9wavefront6targetE1EEEvS13_.num_named_barrier, 0
	.set _ZN7rocprim17ROCPRIM_400000_NS6detail17trampoline_kernelINS0_13select_configILj256ELj13ELNS0_17block_load_methodE3ELS4_3ELS4_3ELNS0_20block_scan_algorithmE0ELj4294967295EEENS1_25partition_config_selectorILNS1_17partition_subalgoE4EjNS0_10empty_typeEbEEZZNS1_14partition_implILS8_4ELb0ES6_15HIP_vector_typeIjLj2EENS0_17counting_iteratorIjlEEPS9_SG_NS0_5tupleIJPjSI_NS0_16reverse_iteratorISI_EEEEENSH_IJSG_SG_SG_EEES9_SI_JZNS1_25segmented_radix_sort_implINS0_14default_configELb1EPK6__halfPSP_PKlPlN2at6native12_GLOBAL__N_18offset_tEEE10hipError_tPvRmT1_PNSt15iterator_traitsIS13_E10value_typeET2_T3_PNS14_IS19_E10value_typeET4_jRbjT5_S1F_jjP12ihipStream_tbEUljE_ZNSN_ISO_Lb1ESR_SS_SU_SV_SZ_EES10_S11_S12_S13_S17_S18_S19_S1C_S1D_jS1E_jS1F_S1F_jjS1H_bEUljE0_EEES10_S11_S12_S19_S1D_S1F_T6_T7_T9_mT8_S1H_bDpT10_ENKUlT_T0_E_clISt17integral_constantIbLb1EES1V_EEDaS1Q_S1R_EUlS1Q_E_NS1_11comp_targetILNS1_3genE3ELNS1_11target_archE908ELNS1_3gpuE7ELNS1_3repE0EEENS1_30default_config_static_selectorELNS0_4arch9wavefront6targetE1EEEvS13_.private_seg_size, 0
	.set _ZN7rocprim17ROCPRIM_400000_NS6detail17trampoline_kernelINS0_13select_configILj256ELj13ELNS0_17block_load_methodE3ELS4_3ELS4_3ELNS0_20block_scan_algorithmE0ELj4294967295EEENS1_25partition_config_selectorILNS1_17partition_subalgoE4EjNS0_10empty_typeEbEEZZNS1_14partition_implILS8_4ELb0ES6_15HIP_vector_typeIjLj2EENS0_17counting_iteratorIjlEEPS9_SG_NS0_5tupleIJPjSI_NS0_16reverse_iteratorISI_EEEEENSH_IJSG_SG_SG_EEES9_SI_JZNS1_25segmented_radix_sort_implINS0_14default_configELb1EPK6__halfPSP_PKlPlN2at6native12_GLOBAL__N_18offset_tEEE10hipError_tPvRmT1_PNSt15iterator_traitsIS13_E10value_typeET2_T3_PNS14_IS19_E10value_typeET4_jRbjT5_S1F_jjP12ihipStream_tbEUljE_ZNSN_ISO_Lb1ESR_SS_SU_SV_SZ_EES10_S11_S12_S13_S17_S18_S19_S1C_S1D_jS1E_jS1F_S1F_jjS1H_bEUljE0_EEES10_S11_S12_S19_S1D_S1F_T6_T7_T9_mT8_S1H_bDpT10_ENKUlT_T0_E_clISt17integral_constantIbLb1EES1V_EEDaS1Q_S1R_EUlS1Q_E_NS1_11comp_targetILNS1_3genE3ELNS1_11target_archE908ELNS1_3gpuE7ELNS1_3repE0EEENS1_30default_config_static_selectorELNS0_4arch9wavefront6targetE1EEEvS13_.uses_vcc, 0
	.set _ZN7rocprim17ROCPRIM_400000_NS6detail17trampoline_kernelINS0_13select_configILj256ELj13ELNS0_17block_load_methodE3ELS4_3ELS4_3ELNS0_20block_scan_algorithmE0ELj4294967295EEENS1_25partition_config_selectorILNS1_17partition_subalgoE4EjNS0_10empty_typeEbEEZZNS1_14partition_implILS8_4ELb0ES6_15HIP_vector_typeIjLj2EENS0_17counting_iteratorIjlEEPS9_SG_NS0_5tupleIJPjSI_NS0_16reverse_iteratorISI_EEEEENSH_IJSG_SG_SG_EEES9_SI_JZNS1_25segmented_radix_sort_implINS0_14default_configELb1EPK6__halfPSP_PKlPlN2at6native12_GLOBAL__N_18offset_tEEE10hipError_tPvRmT1_PNSt15iterator_traitsIS13_E10value_typeET2_T3_PNS14_IS19_E10value_typeET4_jRbjT5_S1F_jjP12ihipStream_tbEUljE_ZNSN_ISO_Lb1ESR_SS_SU_SV_SZ_EES10_S11_S12_S13_S17_S18_S19_S1C_S1D_jS1E_jS1F_S1F_jjS1H_bEUljE0_EEES10_S11_S12_S19_S1D_S1F_T6_T7_T9_mT8_S1H_bDpT10_ENKUlT_T0_E_clISt17integral_constantIbLb1EES1V_EEDaS1Q_S1R_EUlS1Q_E_NS1_11comp_targetILNS1_3genE3ELNS1_11target_archE908ELNS1_3gpuE7ELNS1_3repE0EEENS1_30default_config_static_selectorELNS0_4arch9wavefront6targetE1EEEvS13_.uses_flat_scratch, 0
	.set _ZN7rocprim17ROCPRIM_400000_NS6detail17trampoline_kernelINS0_13select_configILj256ELj13ELNS0_17block_load_methodE3ELS4_3ELS4_3ELNS0_20block_scan_algorithmE0ELj4294967295EEENS1_25partition_config_selectorILNS1_17partition_subalgoE4EjNS0_10empty_typeEbEEZZNS1_14partition_implILS8_4ELb0ES6_15HIP_vector_typeIjLj2EENS0_17counting_iteratorIjlEEPS9_SG_NS0_5tupleIJPjSI_NS0_16reverse_iteratorISI_EEEEENSH_IJSG_SG_SG_EEES9_SI_JZNS1_25segmented_radix_sort_implINS0_14default_configELb1EPK6__halfPSP_PKlPlN2at6native12_GLOBAL__N_18offset_tEEE10hipError_tPvRmT1_PNSt15iterator_traitsIS13_E10value_typeET2_T3_PNS14_IS19_E10value_typeET4_jRbjT5_S1F_jjP12ihipStream_tbEUljE_ZNSN_ISO_Lb1ESR_SS_SU_SV_SZ_EES10_S11_S12_S13_S17_S18_S19_S1C_S1D_jS1E_jS1F_S1F_jjS1H_bEUljE0_EEES10_S11_S12_S19_S1D_S1F_T6_T7_T9_mT8_S1H_bDpT10_ENKUlT_T0_E_clISt17integral_constantIbLb1EES1V_EEDaS1Q_S1R_EUlS1Q_E_NS1_11comp_targetILNS1_3genE3ELNS1_11target_archE908ELNS1_3gpuE7ELNS1_3repE0EEENS1_30default_config_static_selectorELNS0_4arch9wavefront6targetE1EEEvS13_.has_dyn_sized_stack, 0
	.set _ZN7rocprim17ROCPRIM_400000_NS6detail17trampoline_kernelINS0_13select_configILj256ELj13ELNS0_17block_load_methodE3ELS4_3ELS4_3ELNS0_20block_scan_algorithmE0ELj4294967295EEENS1_25partition_config_selectorILNS1_17partition_subalgoE4EjNS0_10empty_typeEbEEZZNS1_14partition_implILS8_4ELb0ES6_15HIP_vector_typeIjLj2EENS0_17counting_iteratorIjlEEPS9_SG_NS0_5tupleIJPjSI_NS0_16reverse_iteratorISI_EEEEENSH_IJSG_SG_SG_EEES9_SI_JZNS1_25segmented_radix_sort_implINS0_14default_configELb1EPK6__halfPSP_PKlPlN2at6native12_GLOBAL__N_18offset_tEEE10hipError_tPvRmT1_PNSt15iterator_traitsIS13_E10value_typeET2_T3_PNS14_IS19_E10value_typeET4_jRbjT5_S1F_jjP12ihipStream_tbEUljE_ZNSN_ISO_Lb1ESR_SS_SU_SV_SZ_EES10_S11_S12_S13_S17_S18_S19_S1C_S1D_jS1E_jS1F_S1F_jjS1H_bEUljE0_EEES10_S11_S12_S19_S1D_S1F_T6_T7_T9_mT8_S1H_bDpT10_ENKUlT_T0_E_clISt17integral_constantIbLb1EES1V_EEDaS1Q_S1R_EUlS1Q_E_NS1_11comp_targetILNS1_3genE3ELNS1_11target_archE908ELNS1_3gpuE7ELNS1_3repE0EEENS1_30default_config_static_selectorELNS0_4arch9wavefront6targetE1EEEvS13_.has_recursion, 0
	.set _ZN7rocprim17ROCPRIM_400000_NS6detail17trampoline_kernelINS0_13select_configILj256ELj13ELNS0_17block_load_methodE3ELS4_3ELS4_3ELNS0_20block_scan_algorithmE0ELj4294967295EEENS1_25partition_config_selectorILNS1_17partition_subalgoE4EjNS0_10empty_typeEbEEZZNS1_14partition_implILS8_4ELb0ES6_15HIP_vector_typeIjLj2EENS0_17counting_iteratorIjlEEPS9_SG_NS0_5tupleIJPjSI_NS0_16reverse_iteratorISI_EEEEENSH_IJSG_SG_SG_EEES9_SI_JZNS1_25segmented_radix_sort_implINS0_14default_configELb1EPK6__halfPSP_PKlPlN2at6native12_GLOBAL__N_18offset_tEEE10hipError_tPvRmT1_PNSt15iterator_traitsIS13_E10value_typeET2_T3_PNS14_IS19_E10value_typeET4_jRbjT5_S1F_jjP12ihipStream_tbEUljE_ZNSN_ISO_Lb1ESR_SS_SU_SV_SZ_EES10_S11_S12_S13_S17_S18_S19_S1C_S1D_jS1E_jS1F_S1F_jjS1H_bEUljE0_EEES10_S11_S12_S19_S1D_S1F_T6_T7_T9_mT8_S1H_bDpT10_ENKUlT_T0_E_clISt17integral_constantIbLb1EES1V_EEDaS1Q_S1R_EUlS1Q_E_NS1_11comp_targetILNS1_3genE3ELNS1_11target_archE908ELNS1_3gpuE7ELNS1_3repE0EEENS1_30default_config_static_selectorELNS0_4arch9wavefront6targetE1EEEvS13_.has_indirect_call, 0
	.section	.AMDGPU.csdata,"",@progbits
; Kernel info:
; codeLenInByte = 0
; TotalNumSgprs: 4
; NumVgprs: 0
; ScratchSize: 0
; MemoryBound: 0
; FloatMode: 240
; IeeeMode: 1
; LDSByteSize: 0 bytes/workgroup (compile time only)
; SGPRBlocks: 0
; VGPRBlocks: 0
; NumSGPRsForWavesPerEU: 4
; NumVGPRsForWavesPerEU: 1
; Occupancy: 10
; WaveLimiterHint : 0
; COMPUTE_PGM_RSRC2:SCRATCH_EN: 0
; COMPUTE_PGM_RSRC2:USER_SGPR: 6
; COMPUTE_PGM_RSRC2:TRAP_HANDLER: 0
; COMPUTE_PGM_RSRC2:TGID_X_EN: 1
; COMPUTE_PGM_RSRC2:TGID_Y_EN: 0
; COMPUTE_PGM_RSRC2:TGID_Z_EN: 0
; COMPUTE_PGM_RSRC2:TIDIG_COMP_CNT: 0
	.section	.text._ZN7rocprim17ROCPRIM_400000_NS6detail17trampoline_kernelINS0_13select_configILj256ELj13ELNS0_17block_load_methodE3ELS4_3ELS4_3ELNS0_20block_scan_algorithmE0ELj4294967295EEENS1_25partition_config_selectorILNS1_17partition_subalgoE4EjNS0_10empty_typeEbEEZZNS1_14partition_implILS8_4ELb0ES6_15HIP_vector_typeIjLj2EENS0_17counting_iteratorIjlEEPS9_SG_NS0_5tupleIJPjSI_NS0_16reverse_iteratorISI_EEEEENSH_IJSG_SG_SG_EEES9_SI_JZNS1_25segmented_radix_sort_implINS0_14default_configELb1EPK6__halfPSP_PKlPlN2at6native12_GLOBAL__N_18offset_tEEE10hipError_tPvRmT1_PNSt15iterator_traitsIS13_E10value_typeET2_T3_PNS14_IS19_E10value_typeET4_jRbjT5_S1F_jjP12ihipStream_tbEUljE_ZNSN_ISO_Lb1ESR_SS_SU_SV_SZ_EES10_S11_S12_S13_S17_S18_S19_S1C_S1D_jS1E_jS1F_S1F_jjS1H_bEUljE0_EEES10_S11_S12_S19_S1D_S1F_T6_T7_T9_mT8_S1H_bDpT10_ENKUlT_T0_E_clISt17integral_constantIbLb1EES1V_EEDaS1Q_S1R_EUlS1Q_E_NS1_11comp_targetILNS1_3genE2ELNS1_11target_archE906ELNS1_3gpuE6ELNS1_3repE0EEENS1_30default_config_static_selectorELNS0_4arch9wavefront6targetE1EEEvS13_,"axG",@progbits,_ZN7rocprim17ROCPRIM_400000_NS6detail17trampoline_kernelINS0_13select_configILj256ELj13ELNS0_17block_load_methodE3ELS4_3ELS4_3ELNS0_20block_scan_algorithmE0ELj4294967295EEENS1_25partition_config_selectorILNS1_17partition_subalgoE4EjNS0_10empty_typeEbEEZZNS1_14partition_implILS8_4ELb0ES6_15HIP_vector_typeIjLj2EENS0_17counting_iteratorIjlEEPS9_SG_NS0_5tupleIJPjSI_NS0_16reverse_iteratorISI_EEEEENSH_IJSG_SG_SG_EEES9_SI_JZNS1_25segmented_radix_sort_implINS0_14default_configELb1EPK6__halfPSP_PKlPlN2at6native12_GLOBAL__N_18offset_tEEE10hipError_tPvRmT1_PNSt15iterator_traitsIS13_E10value_typeET2_T3_PNS14_IS19_E10value_typeET4_jRbjT5_S1F_jjP12ihipStream_tbEUljE_ZNSN_ISO_Lb1ESR_SS_SU_SV_SZ_EES10_S11_S12_S13_S17_S18_S19_S1C_S1D_jS1E_jS1F_S1F_jjS1H_bEUljE0_EEES10_S11_S12_S19_S1D_S1F_T6_T7_T9_mT8_S1H_bDpT10_ENKUlT_T0_E_clISt17integral_constantIbLb1EES1V_EEDaS1Q_S1R_EUlS1Q_E_NS1_11comp_targetILNS1_3genE2ELNS1_11target_archE906ELNS1_3gpuE6ELNS1_3repE0EEENS1_30default_config_static_selectorELNS0_4arch9wavefront6targetE1EEEvS13_,comdat
	.globl	_ZN7rocprim17ROCPRIM_400000_NS6detail17trampoline_kernelINS0_13select_configILj256ELj13ELNS0_17block_load_methodE3ELS4_3ELS4_3ELNS0_20block_scan_algorithmE0ELj4294967295EEENS1_25partition_config_selectorILNS1_17partition_subalgoE4EjNS0_10empty_typeEbEEZZNS1_14partition_implILS8_4ELb0ES6_15HIP_vector_typeIjLj2EENS0_17counting_iteratorIjlEEPS9_SG_NS0_5tupleIJPjSI_NS0_16reverse_iteratorISI_EEEEENSH_IJSG_SG_SG_EEES9_SI_JZNS1_25segmented_radix_sort_implINS0_14default_configELb1EPK6__halfPSP_PKlPlN2at6native12_GLOBAL__N_18offset_tEEE10hipError_tPvRmT1_PNSt15iterator_traitsIS13_E10value_typeET2_T3_PNS14_IS19_E10value_typeET4_jRbjT5_S1F_jjP12ihipStream_tbEUljE_ZNSN_ISO_Lb1ESR_SS_SU_SV_SZ_EES10_S11_S12_S13_S17_S18_S19_S1C_S1D_jS1E_jS1F_S1F_jjS1H_bEUljE0_EEES10_S11_S12_S19_S1D_S1F_T6_T7_T9_mT8_S1H_bDpT10_ENKUlT_T0_E_clISt17integral_constantIbLb1EES1V_EEDaS1Q_S1R_EUlS1Q_E_NS1_11comp_targetILNS1_3genE2ELNS1_11target_archE906ELNS1_3gpuE6ELNS1_3repE0EEENS1_30default_config_static_selectorELNS0_4arch9wavefront6targetE1EEEvS13_ ; -- Begin function _ZN7rocprim17ROCPRIM_400000_NS6detail17trampoline_kernelINS0_13select_configILj256ELj13ELNS0_17block_load_methodE3ELS4_3ELS4_3ELNS0_20block_scan_algorithmE0ELj4294967295EEENS1_25partition_config_selectorILNS1_17partition_subalgoE4EjNS0_10empty_typeEbEEZZNS1_14partition_implILS8_4ELb0ES6_15HIP_vector_typeIjLj2EENS0_17counting_iteratorIjlEEPS9_SG_NS0_5tupleIJPjSI_NS0_16reverse_iteratorISI_EEEEENSH_IJSG_SG_SG_EEES9_SI_JZNS1_25segmented_radix_sort_implINS0_14default_configELb1EPK6__halfPSP_PKlPlN2at6native12_GLOBAL__N_18offset_tEEE10hipError_tPvRmT1_PNSt15iterator_traitsIS13_E10value_typeET2_T3_PNS14_IS19_E10value_typeET4_jRbjT5_S1F_jjP12ihipStream_tbEUljE_ZNSN_ISO_Lb1ESR_SS_SU_SV_SZ_EES10_S11_S12_S13_S17_S18_S19_S1C_S1D_jS1E_jS1F_S1F_jjS1H_bEUljE0_EEES10_S11_S12_S19_S1D_S1F_T6_T7_T9_mT8_S1H_bDpT10_ENKUlT_T0_E_clISt17integral_constantIbLb1EES1V_EEDaS1Q_S1R_EUlS1Q_E_NS1_11comp_targetILNS1_3genE2ELNS1_11target_archE906ELNS1_3gpuE6ELNS1_3repE0EEENS1_30default_config_static_selectorELNS0_4arch9wavefront6targetE1EEEvS13_
	.p2align	8
	.type	_ZN7rocprim17ROCPRIM_400000_NS6detail17trampoline_kernelINS0_13select_configILj256ELj13ELNS0_17block_load_methodE3ELS4_3ELS4_3ELNS0_20block_scan_algorithmE0ELj4294967295EEENS1_25partition_config_selectorILNS1_17partition_subalgoE4EjNS0_10empty_typeEbEEZZNS1_14partition_implILS8_4ELb0ES6_15HIP_vector_typeIjLj2EENS0_17counting_iteratorIjlEEPS9_SG_NS0_5tupleIJPjSI_NS0_16reverse_iteratorISI_EEEEENSH_IJSG_SG_SG_EEES9_SI_JZNS1_25segmented_radix_sort_implINS0_14default_configELb1EPK6__halfPSP_PKlPlN2at6native12_GLOBAL__N_18offset_tEEE10hipError_tPvRmT1_PNSt15iterator_traitsIS13_E10value_typeET2_T3_PNS14_IS19_E10value_typeET4_jRbjT5_S1F_jjP12ihipStream_tbEUljE_ZNSN_ISO_Lb1ESR_SS_SU_SV_SZ_EES10_S11_S12_S13_S17_S18_S19_S1C_S1D_jS1E_jS1F_S1F_jjS1H_bEUljE0_EEES10_S11_S12_S19_S1D_S1F_T6_T7_T9_mT8_S1H_bDpT10_ENKUlT_T0_E_clISt17integral_constantIbLb1EES1V_EEDaS1Q_S1R_EUlS1Q_E_NS1_11comp_targetILNS1_3genE2ELNS1_11target_archE906ELNS1_3gpuE6ELNS1_3repE0EEENS1_30default_config_static_selectorELNS0_4arch9wavefront6targetE1EEEvS13_,@function
_ZN7rocprim17ROCPRIM_400000_NS6detail17trampoline_kernelINS0_13select_configILj256ELj13ELNS0_17block_load_methodE3ELS4_3ELS4_3ELNS0_20block_scan_algorithmE0ELj4294967295EEENS1_25partition_config_selectorILNS1_17partition_subalgoE4EjNS0_10empty_typeEbEEZZNS1_14partition_implILS8_4ELb0ES6_15HIP_vector_typeIjLj2EENS0_17counting_iteratorIjlEEPS9_SG_NS0_5tupleIJPjSI_NS0_16reverse_iteratorISI_EEEEENSH_IJSG_SG_SG_EEES9_SI_JZNS1_25segmented_radix_sort_implINS0_14default_configELb1EPK6__halfPSP_PKlPlN2at6native12_GLOBAL__N_18offset_tEEE10hipError_tPvRmT1_PNSt15iterator_traitsIS13_E10value_typeET2_T3_PNS14_IS19_E10value_typeET4_jRbjT5_S1F_jjP12ihipStream_tbEUljE_ZNSN_ISO_Lb1ESR_SS_SU_SV_SZ_EES10_S11_S12_S13_S17_S18_S19_S1C_S1D_jS1E_jS1F_S1F_jjS1H_bEUljE0_EEES10_S11_S12_S19_S1D_S1F_T6_T7_T9_mT8_S1H_bDpT10_ENKUlT_T0_E_clISt17integral_constantIbLb1EES1V_EEDaS1Q_S1R_EUlS1Q_E_NS1_11comp_targetILNS1_3genE2ELNS1_11target_archE906ELNS1_3gpuE6ELNS1_3repE0EEENS1_30default_config_static_selectorELNS0_4arch9wavefront6targetE1EEEvS13_: ; @_ZN7rocprim17ROCPRIM_400000_NS6detail17trampoline_kernelINS0_13select_configILj256ELj13ELNS0_17block_load_methodE3ELS4_3ELS4_3ELNS0_20block_scan_algorithmE0ELj4294967295EEENS1_25partition_config_selectorILNS1_17partition_subalgoE4EjNS0_10empty_typeEbEEZZNS1_14partition_implILS8_4ELb0ES6_15HIP_vector_typeIjLj2EENS0_17counting_iteratorIjlEEPS9_SG_NS0_5tupleIJPjSI_NS0_16reverse_iteratorISI_EEEEENSH_IJSG_SG_SG_EEES9_SI_JZNS1_25segmented_radix_sort_implINS0_14default_configELb1EPK6__halfPSP_PKlPlN2at6native12_GLOBAL__N_18offset_tEEE10hipError_tPvRmT1_PNSt15iterator_traitsIS13_E10value_typeET2_T3_PNS14_IS19_E10value_typeET4_jRbjT5_S1F_jjP12ihipStream_tbEUljE_ZNSN_ISO_Lb1ESR_SS_SU_SV_SZ_EES10_S11_S12_S13_S17_S18_S19_S1C_S1D_jS1E_jS1F_S1F_jjS1H_bEUljE0_EEES10_S11_S12_S19_S1D_S1F_T6_T7_T9_mT8_S1H_bDpT10_ENKUlT_T0_E_clISt17integral_constantIbLb1EES1V_EEDaS1Q_S1R_EUlS1Q_E_NS1_11comp_targetILNS1_3genE2ELNS1_11target_archE906ELNS1_3gpuE6ELNS1_3repE0EEENS1_30default_config_static_selectorELNS0_4arch9wavefront6targetE1EEEvS13_
; %bb.0:
	s_endpgm
	.section	.rodata,"a",@progbits
	.p2align	6, 0x0
	.amdhsa_kernel _ZN7rocprim17ROCPRIM_400000_NS6detail17trampoline_kernelINS0_13select_configILj256ELj13ELNS0_17block_load_methodE3ELS4_3ELS4_3ELNS0_20block_scan_algorithmE0ELj4294967295EEENS1_25partition_config_selectorILNS1_17partition_subalgoE4EjNS0_10empty_typeEbEEZZNS1_14partition_implILS8_4ELb0ES6_15HIP_vector_typeIjLj2EENS0_17counting_iteratorIjlEEPS9_SG_NS0_5tupleIJPjSI_NS0_16reverse_iteratorISI_EEEEENSH_IJSG_SG_SG_EEES9_SI_JZNS1_25segmented_radix_sort_implINS0_14default_configELb1EPK6__halfPSP_PKlPlN2at6native12_GLOBAL__N_18offset_tEEE10hipError_tPvRmT1_PNSt15iterator_traitsIS13_E10value_typeET2_T3_PNS14_IS19_E10value_typeET4_jRbjT5_S1F_jjP12ihipStream_tbEUljE_ZNSN_ISO_Lb1ESR_SS_SU_SV_SZ_EES10_S11_S12_S13_S17_S18_S19_S1C_S1D_jS1E_jS1F_S1F_jjS1H_bEUljE0_EEES10_S11_S12_S19_S1D_S1F_T6_T7_T9_mT8_S1H_bDpT10_ENKUlT_T0_E_clISt17integral_constantIbLb1EES1V_EEDaS1Q_S1R_EUlS1Q_E_NS1_11comp_targetILNS1_3genE2ELNS1_11target_archE906ELNS1_3gpuE6ELNS1_3repE0EEENS1_30default_config_static_selectorELNS0_4arch9wavefront6targetE1EEEvS13_
		.amdhsa_group_segment_fixed_size 0
		.amdhsa_private_segment_fixed_size 0
		.amdhsa_kernarg_size 184
		.amdhsa_user_sgpr_count 6
		.amdhsa_user_sgpr_private_segment_buffer 1
		.amdhsa_user_sgpr_dispatch_ptr 0
		.amdhsa_user_sgpr_queue_ptr 0
		.amdhsa_user_sgpr_kernarg_segment_ptr 1
		.amdhsa_user_sgpr_dispatch_id 0
		.amdhsa_user_sgpr_flat_scratch_init 0
		.amdhsa_user_sgpr_private_segment_size 0
		.amdhsa_uses_dynamic_stack 0
		.amdhsa_system_sgpr_private_segment_wavefront_offset 0
		.amdhsa_system_sgpr_workgroup_id_x 1
		.amdhsa_system_sgpr_workgroup_id_y 0
		.amdhsa_system_sgpr_workgroup_id_z 0
		.amdhsa_system_sgpr_workgroup_info 0
		.amdhsa_system_vgpr_workitem_id 0
		.amdhsa_next_free_vgpr 1
		.amdhsa_next_free_sgpr 0
		.amdhsa_reserve_vcc 0
		.amdhsa_reserve_flat_scratch 0
		.amdhsa_float_round_mode_32 0
		.amdhsa_float_round_mode_16_64 0
		.amdhsa_float_denorm_mode_32 3
		.amdhsa_float_denorm_mode_16_64 3
		.amdhsa_dx10_clamp 1
		.amdhsa_ieee_mode 1
		.amdhsa_fp16_overflow 0
		.amdhsa_exception_fp_ieee_invalid_op 0
		.amdhsa_exception_fp_denorm_src 0
		.amdhsa_exception_fp_ieee_div_zero 0
		.amdhsa_exception_fp_ieee_overflow 0
		.amdhsa_exception_fp_ieee_underflow 0
		.amdhsa_exception_fp_ieee_inexact 0
		.amdhsa_exception_int_div_zero 0
	.end_amdhsa_kernel
	.section	.text._ZN7rocprim17ROCPRIM_400000_NS6detail17trampoline_kernelINS0_13select_configILj256ELj13ELNS0_17block_load_methodE3ELS4_3ELS4_3ELNS0_20block_scan_algorithmE0ELj4294967295EEENS1_25partition_config_selectorILNS1_17partition_subalgoE4EjNS0_10empty_typeEbEEZZNS1_14partition_implILS8_4ELb0ES6_15HIP_vector_typeIjLj2EENS0_17counting_iteratorIjlEEPS9_SG_NS0_5tupleIJPjSI_NS0_16reverse_iteratorISI_EEEEENSH_IJSG_SG_SG_EEES9_SI_JZNS1_25segmented_radix_sort_implINS0_14default_configELb1EPK6__halfPSP_PKlPlN2at6native12_GLOBAL__N_18offset_tEEE10hipError_tPvRmT1_PNSt15iterator_traitsIS13_E10value_typeET2_T3_PNS14_IS19_E10value_typeET4_jRbjT5_S1F_jjP12ihipStream_tbEUljE_ZNSN_ISO_Lb1ESR_SS_SU_SV_SZ_EES10_S11_S12_S13_S17_S18_S19_S1C_S1D_jS1E_jS1F_S1F_jjS1H_bEUljE0_EEES10_S11_S12_S19_S1D_S1F_T6_T7_T9_mT8_S1H_bDpT10_ENKUlT_T0_E_clISt17integral_constantIbLb1EES1V_EEDaS1Q_S1R_EUlS1Q_E_NS1_11comp_targetILNS1_3genE2ELNS1_11target_archE906ELNS1_3gpuE6ELNS1_3repE0EEENS1_30default_config_static_selectorELNS0_4arch9wavefront6targetE1EEEvS13_,"axG",@progbits,_ZN7rocprim17ROCPRIM_400000_NS6detail17trampoline_kernelINS0_13select_configILj256ELj13ELNS0_17block_load_methodE3ELS4_3ELS4_3ELNS0_20block_scan_algorithmE0ELj4294967295EEENS1_25partition_config_selectorILNS1_17partition_subalgoE4EjNS0_10empty_typeEbEEZZNS1_14partition_implILS8_4ELb0ES6_15HIP_vector_typeIjLj2EENS0_17counting_iteratorIjlEEPS9_SG_NS0_5tupleIJPjSI_NS0_16reverse_iteratorISI_EEEEENSH_IJSG_SG_SG_EEES9_SI_JZNS1_25segmented_radix_sort_implINS0_14default_configELb1EPK6__halfPSP_PKlPlN2at6native12_GLOBAL__N_18offset_tEEE10hipError_tPvRmT1_PNSt15iterator_traitsIS13_E10value_typeET2_T3_PNS14_IS19_E10value_typeET4_jRbjT5_S1F_jjP12ihipStream_tbEUljE_ZNSN_ISO_Lb1ESR_SS_SU_SV_SZ_EES10_S11_S12_S13_S17_S18_S19_S1C_S1D_jS1E_jS1F_S1F_jjS1H_bEUljE0_EEES10_S11_S12_S19_S1D_S1F_T6_T7_T9_mT8_S1H_bDpT10_ENKUlT_T0_E_clISt17integral_constantIbLb1EES1V_EEDaS1Q_S1R_EUlS1Q_E_NS1_11comp_targetILNS1_3genE2ELNS1_11target_archE906ELNS1_3gpuE6ELNS1_3repE0EEENS1_30default_config_static_selectorELNS0_4arch9wavefront6targetE1EEEvS13_,comdat
.Lfunc_end1687:
	.size	_ZN7rocprim17ROCPRIM_400000_NS6detail17trampoline_kernelINS0_13select_configILj256ELj13ELNS0_17block_load_methodE3ELS4_3ELS4_3ELNS0_20block_scan_algorithmE0ELj4294967295EEENS1_25partition_config_selectorILNS1_17partition_subalgoE4EjNS0_10empty_typeEbEEZZNS1_14partition_implILS8_4ELb0ES6_15HIP_vector_typeIjLj2EENS0_17counting_iteratorIjlEEPS9_SG_NS0_5tupleIJPjSI_NS0_16reverse_iteratorISI_EEEEENSH_IJSG_SG_SG_EEES9_SI_JZNS1_25segmented_radix_sort_implINS0_14default_configELb1EPK6__halfPSP_PKlPlN2at6native12_GLOBAL__N_18offset_tEEE10hipError_tPvRmT1_PNSt15iterator_traitsIS13_E10value_typeET2_T3_PNS14_IS19_E10value_typeET4_jRbjT5_S1F_jjP12ihipStream_tbEUljE_ZNSN_ISO_Lb1ESR_SS_SU_SV_SZ_EES10_S11_S12_S13_S17_S18_S19_S1C_S1D_jS1E_jS1F_S1F_jjS1H_bEUljE0_EEES10_S11_S12_S19_S1D_S1F_T6_T7_T9_mT8_S1H_bDpT10_ENKUlT_T0_E_clISt17integral_constantIbLb1EES1V_EEDaS1Q_S1R_EUlS1Q_E_NS1_11comp_targetILNS1_3genE2ELNS1_11target_archE906ELNS1_3gpuE6ELNS1_3repE0EEENS1_30default_config_static_selectorELNS0_4arch9wavefront6targetE1EEEvS13_, .Lfunc_end1687-_ZN7rocprim17ROCPRIM_400000_NS6detail17trampoline_kernelINS0_13select_configILj256ELj13ELNS0_17block_load_methodE3ELS4_3ELS4_3ELNS0_20block_scan_algorithmE0ELj4294967295EEENS1_25partition_config_selectorILNS1_17partition_subalgoE4EjNS0_10empty_typeEbEEZZNS1_14partition_implILS8_4ELb0ES6_15HIP_vector_typeIjLj2EENS0_17counting_iteratorIjlEEPS9_SG_NS0_5tupleIJPjSI_NS0_16reverse_iteratorISI_EEEEENSH_IJSG_SG_SG_EEES9_SI_JZNS1_25segmented_radix_sort_implINS0_14default_configELb1EPK6__halfPSP_PKlPlN2at6native12_GLOBAL__N_18offset_tEEE10hipError_tPvRmT1_PNSt15iterator_traitsIS13_E10value_typeET2_T3_PNS14_IS19_E10value_typeET4_jRbjT5_S1F_jjP12ihipStream_tbEUljE_ZNSN_ISO_Lb1ESR_SS_SU_SV_SZ_EES10_S11_S12_S13_S17_S18_S19_S1C_S1D_jS1E_jS1F_S1F_jjS1H_bEUljE0_EEES10_S11_S12_S19_S1D_S1F_T6_T7_T9_mT8_S1H_bDpT10_ENKUlT_T0_E_clISt17integral_constantIbLb1EES1V_EEDaS1Q_S1R_EUlS1Q_E_NS1_11comp_targetILNS1_3genE2ELNS1_11target_archE906ELNS1_3gpuE6ELNS1_3repE0EEENS1_30default_config_static_selectorELNS0_4arch9wavefront6targetE1EEEvS13_
                                        ; -- End function
	.set _ZN7rocprim17ROCPRIM_400000_NS6detail17trampoline_kernelINS0_13select_configILj256ELj13ELNS0_17block_load_methodE3ELS4_3ELS4_3ELNS0_20block_scan_algorithmE0ELj4294967295EEENS1_25partition_config_selectorILNS1_17partition_subalgoE4EjNS0_10empty_typeEbEEZZNS1_14partition_implILS8_4ELb0ES6_15HIP_vector_typeIjLj2EENS0_17counting_iteratorIjlEEPS9_SG_NS0_5tupleIJPjSI_NS0_16reverse_iteratorISI_EEEEENSH_IJSG_SG_SG_EEES9_SI_JZNS1_25segmented_radix_sort_implINS0_14default_configELb1EPK6__halfPSP_PKlPlN2at6native12_GLOBAL__N_18offset_tEEE10hipError_tPvRmT1_PNSt15iterator_traitsIS13_E10value_typeET2_T3_PNS14_IS19_E10value_typeET4_jRbjT5_S1F_jjP12ihipStream_tbEUljE_ZNSN_ISO_Lb1ESR_SS_SU_SV_SZ_EES10_S11_S12_S13_S17_S18_S19_S1C_S1D_jS1E_jS1F_S1F_jjS1H_bEUljE0_EEES10_S11_S12_S19_S1D_S1F_T6_T7_T9_mT8_S1H_bDpT10_ENKUlT_T0_E_clISt17integral_constantIbLb1EES1V_EEDaS1Q_S1R_EUlS1Q_E_NS1_11comp_targetILNS1_3genE2ELNS1_11target_archE906ELNS1_3gpuE6ELNS1_3repE0EEENS1_30default_config_static_selectorELNS0_4arch9wavefront6targetE1EEEvS13_.num_vgpr, 0
	.set _ZN7rocprim17ROCPRIM_400000_NS6detail17trampoline_kernelINS0_13select_configILj256ELj13ELNS0_17block_load_methodE3ELS4_3ELS4_3ELNS0_20block_scan_algorithmE0ELj4294967295EEENS1_25partition_config_selectorILNS1_17partition_subalgoE4EjNS0_10empty_typeEbEEZZNS1_14partition_implILS8_4ELb0ES6_15HIP_vector_typeIjLj2EENS0_17counting_iteratorIjlEEPS9_SG_NS0_5tupleIJPjSI_NS0_16reverse_iteratorISI_EEEEENSH_IJSG_SG_SG_EEES9_SI_JZNS1_25segmented_radix_sort_implINS0_14default_configELb1EPK6__halfPSP_PKlPlN2at6native12_GLOBAL__N_18offset_tEEE10hipError_tPvRmT1_PNSt15iterator_traitsIS13_E10value_typeET2_T3_PNS14_IS19_E10value_typeET4_jRbjT5_S1F_jjP12ihipStream_tbEUljE_ZNSN_ISO_Lb1ESR_SS_SU_SV_SZ_EES10_S11_S12_S13_S17_S18_S19_S1C_S1D_jS1E_jS1F_S1F_jjS1H_bEUljE0_EEES10_S11_S12_S19_S1D_S1F_T6_T7_T9_mT8_S1H_bDpT10_ENKUlT_T0_E_clISt17integral_constantIbLb1EES1V_EEDaS1Q_S1R_EUlS1Q_E_NS1_11comp_targetILNS1_3genE2ELNS1_11target_archE906ELNS1_3gpuE6ELNS1_3repE0EEENS1_30default_config_static_selectorELNS0_4arch9wavefront6targetE1EEEvS13_.num_agpr, 0
	.set _ZN7rocprim17ROCPRIM_400000_NS6detail17trampoline_kernelINS0_13select_configILj256ELj13ELNS0_17block_load_methodE3ELS4_3ELS4_3ELNS0_20block_scan_algorithmE0ELj4294967295EEENS1_25partition_config_selectorILNS1_17partition_subalgoE4EjNS0_10empty_typeEbEEZZNS1_14partition_implILS8_4ELb0ES6_15HIP_vector_typeIjLj2EENS0_17counting_iteratorIjlEEPS9_SG_NS0_5tupleIJPjSI_NS0_16reverse_iteratorISI_EEEEENSH_IJSG_SG_SG_EEES9_SI_JZNS1_25segmented_radix_sort_implINS0_14default_configELb1EPK6__halfPSP_PKlPlN2at6native12_GLOBAL__N_18offset_tEEE10hipError_tPvRmT1_PNSt15iterator_traitsIS13_E10value_typeET2_T3_PNS14_IS19_E10value_typeET4_jRbjT5_S1F_jjP12ihipStream_tbEUljE_ZNSN_ISO_Lb1ESR_SS_SU_SV_SZ_EES10_S11_S12_S13_S17_S18_S19_S1C_S1D_jS1E_jS1F_S1F_jjS1H_bEUljE0_EEES10_S11_S12_S19_S1D_S1F_T6_T7_T9_mT8_S1H_bDpT10_ENKUlT_T0_E_clISt17integral_constantIbLb1EES1V_EEDaS1Q_S1R_EUlS1Q_E_NS1_11comp_targetILNS1_3genE2ELNS1_11target_archE906ELNS1_3gpuE6ELNS1_3repE0EEENS1_30default_config_static_selectorELNS0_4arch9wavefront6targetE1EEEvS13_.numbered_sgpr, 0
	.set _ZN7rocprim17ROCPRIM_400000_NS6detail17trampoline_kernelINS0_13select_configILj256ELj13ELNS0_17block_load_methodE3ELS4_3ELS4_3ELNS0_20block_scan_algorithmE0ELj4294967295EEENS1_25partition_config_selectorILNS1_17partition_subalgoE4EjNS0_10empty_typeEbEEZZNS1_14partition_implILS8_4ELb0ES6_15HIP_vector_typeIjLj2EENS0_17counting_iteratorIjlEEPS9_SG_NS0_5tupleIJPjSI_NS0_16reverse_iteratorISI_EEEEENSH_IJSG_SG_SG_EEES9_SI_JZNS1_25segmented_radix_sort_implINS0_14default_configELb1EPK6__halfPSP_PKlPlN2at6native12_GLOBAL__N_18offset_tEEE10hipError_tPvRmT1_PNSt15iterator_traitsIS13_E10value_typeET2_T3_PNS14_IS19_E10value_typeET4_jRbjT5_S1F_jjP12ihipStream_tbEUljE_ZNSN_ISO_Lb1ESR_SS_SU_SV_SZ_EES10_S11_S12_S13_S17_S18_S19_S1C_S1D_jS1E_jS1F_S1F_jjS1H_bEUljE0_EEES10_S11_S12_S19_S1D_S1F_T6_T7_T9_mT8_S1H_bDpT10_ENKUlT_T0_E_clISt17integral_constantIbLb1EES1V_EEDaS1Q_S1R_EUlS1Q_E_NS1_11comp_targetILNS1_3genE2ELNS1_11target_archE906ELNS1_3gpuE6ELNS1_3repE0EEENS1_30default_config_static_selectorELNS0_4arch9wavefront6targetE1EEEvS13_.num_named_barrier, 0
	.set _ZN7rocprim17ROCPRIM_400000_NS6detail17trampoline_kernelINS0_13select_configILj256ELj13ELNS0_17block_load_methodE3ELS4_3ELS4_3ELNS0_20block_scan_algorithmE0ELj4294967295EEENS1_25partition_config_selectorILNS1_17partition_subalgoE4EjNS0_10empty_typeEbEEZZNS1_14partition_implILS8_4ELb0ES6_15HIP_vector_typeIjLj2EENS0_17counting_iteratorIjlEEPS9_SG_NS0_5tupleIJPjSI_NS0_16reverse_iteratorISI_EEEEENSH_IJSG_SG_SG_EEES9_SI_JZNS1_25segmented_radix_sort_implINS0_14default_configELb1EPK6__halfPSP_PKlPlN2at6native12_GLOBAL__N_18offset_tEEE10hipError_tPvRmT1_PNSt15iterator_traitsIS13_E10value_typeET2_T3_PNS14_IS19_E10value_typeET4_jRbjT5_S1F_jjP12ihipStream_tbEUljE_ZNSN_ISO_Lb1ESR_SS_SU_SV_SZ_EES10_S11_S12_S13_S17_S18_S19_S1C_S1D_jS1E_jS1F_S1F_jjS1H_bEUljE0_EEES10_S11_S12_S19_S1D_S1F_T6_T7_T9_mT8_S1H_bDpT10_ENKUlT_T0_E_clISt17integral_constantIbLb1EES1V_EEDaS1Q_S1R_EUlS1Q_E_NS1_11comp_targetILNS1_3genE2ELNS1_11target_archE906ELNS1_3gpuE6ELNS1_3repE0EEENS1_30default_config_static_selectorELNS0_4arch9wavefront6targetE1EEEvS13_.private_seg_size, 0
	.set _ZN7rocprim17ROCPRIM_400000_NS6detail17trampoline_kernelINS0_13select_configILj256ELj13ELNS0_17block_load_methodE3ELS4_3ELS4_3ELNS0_20block_scan_algorithmE0ELj4294967295EEENS1_25partition_config_selectorILNS1_17partition_subalgoE4EjNS0_10empty_typeEbEEZZNS1_14partition_implILS8_4ELb0ES6_15HIP_vector_typeIjLj2EENS0_17counting_iteratorIjlEEPS9_SG_NS0_5tupleIJPjSI_NS0_16reverse_iteratorISI_EEEEENSH_IJSG_SG_SG_EEES9_SI_JZNS1_25segmented_radix_sort_implINS0_14default_configELb1EPK6__halfPSP_PKlPlN2at6native12_GLOBAL__N_18offset_tEEE10hipError_tPvRmT1_PNSt15iterator_traitsIS13_E10value_typeET2_T3_PNS14_IS19_E10value_typeET4_jRbjT5_S1F_jjP12ihipStream_tbEUljE_ZNSN_ISO_Lb1ESR_SS_SU_SV_SZ_EES10_S11_S12_S13_S17_S18_S19_S1C_S1D_jS1E_jS1F_S1F_jjS1H_bEUljE0_EEES10_S11_S12_S19_S1D_S1F_T6_T7_T9_mT8_S1H_bDpT10_ENKUlT_T0_E_clISt17integral_constantIbLb1EES1V_EEDaS1Q_S1R_EUlS1Q_E_NS1_11comp_targetILNS1_3genE2ELNS1_11target_archE906ELNS1_3gpuE6ELNS1_3repE0EEENS1_30default_config_static_selectorELNS0_4arch9wavefront6targetE1EEEvS13_.uses_vcc, 0
	.set _ZN7rocprim17ROCPRIM_400000_NS6detail17trampoline_kernelINS0_13select_configILj256ELj13ELNS0_17block_load_methodE3ELS4_3ELS4_3ELNS0_20block_scan_algorithmE0ELj4294967295EEENS1_25partition_config_selectorILNS1_17partition_subalgoE4EjNS0_10empty_typeEbEEZZNS1_14partition_implILS8_4ELb0ES6_15HIP_vector_typeIjLj2EENS0_17counting_iteratorIjlEEPS9_SG_NS0_5tupleIJPjSI_NS0_16reverse_iteratorISI_EEEEENSH_IJSG_SG_SG_EEES9_SI_JZNS1_25segmented_radix_sort_implINS0_14default_configELb1EPK6__halfPSP_PKlPlN2at6native12_GLOBAL__N_18offset_tEEE10hipError_tPvRmT1_PNSt15iterator_traitsIS13_E10value_typeET2_T3_PNS14_IS19_E10value_typeET4_jRbjT5_S1F_jjP12ihipStream_tbEUljE_ZNSN_ISO_Lb1ESR_SS_SU_SV_SZ_EES10_S11_S12_S13_S17_S18_S19_S1C_S1D_jS1E_jS1F_S1F_jjS1H_bEUljE0_EEES10_S11_S12_S19_S1D_S1F_T6_T7_T9_mT8_S1H_bDpT10_ENKUlT_T0_E_clISt17integral_constantIbLb1EES1V_EEDaS1Q_S1R_EUlS1Q_E_NS1_11comp_targetILNS1_3genE2ELNS1_11target_archE906ELNS1_3gpuE6ELNS1_3repE0EEENS1_30default_config_static_selectorELNS0_4arch9wavefront6targetE1EEEvS13_.uses_flat_scratch, 0
	.set _ZN7rocprim17ROCPRIM_400000_NS6detail17trampoline_kernelINS0_13select_configILj256ELj13ELNS0_17block_load_methodE3ELS4_3ELS4_3ELNS0_20block_scan_algorithmE0ELj4294967295EEENS1_25partition_config_selectorILNS1_17partition_subalgoE4EjNS0_10empty_typeEbEEZZNS1_14partition_implILS8_4ELb0ES6_15HIP_vector_typeIjLj2EENS0_17counting_iteratorIjlEEPS9_SG_NS0_5tupleIJPjSI_NS0_16reverse_iteratorISI_EEEEENSH_IJSG_SG_SG_EEES9_SI_JZNS1_25segmented_radix_sort_implINS0_14default_configELb1EPK6__halfPSP_PKlPlN2at6native12_GLOBAL__N_18offset_tEEE10hipError_tPvRmT1_PNSt15iterator_traitsIS13_E10value_typeET2_T3_PNS14_IS19_E10value_typeET4_jRbjT5_S1F_jjP12ihipStream_tbEUljE_ZNSN_ISO_Lb1ESR_SS_SU_SV_SZ_EES10_S11_S12_S13_S17_S18_S19_S1C_S1D_jS1E_jS1F_S1F_jjS1H_bEUljE0_EEES10_S11_S12_S19_S1D_S1F_T6_T7_T9_mT8_S1H_bDpT10_ENKUlT_T0_E_clISt17integral_constantIbLb1EES1V_EEDaS1Q_S1R_EUlS1Q_E_NS1_11comp_targetILNS1_3genE2ELNS1_11target_archE906ELNS1_3gpuE6ELNS1_3repE0EEENS1_30default_config_static_selectorELNS0_4arch9wavefront6targetE1EEEvS13_.has_dyn_sized_stack, 0
	.set _ZN7rocprim17ROCPRIM_400000_NS6detail17trampoline_kernelINS0_13select_configILj256ELj13ELNS0_17block_load_methodE3ELS4_3ELS4_3ELNS0_20block_scan_algorithmE0ELj4294967295EEENS1_25partition_config_selectorILNS1_17partition_subalgoE4EjNS0_10empty_typeEbEEZZNS1_14partition_implILS8_4ELb0ES6_15HIP_vector_typeIjLj2EENS0_17counting_iteratorIjlEEPS9_SG_NS0_5tupleIJPjSI_NS0_16reverse_iteratorISI_EEEEENSH_IJSG_SG_SG_EEES9_SI_JZNS1_25segmented_radix_sort_implINS0_14default_configELb1EPK6__halfPSP_PKlPlN2at6native12_GLOBAL__N_18offset_tEEE10hipError_tPvRmT1_PNSt15iterator_traitsIS13_E10value_typeET2_T3_PNS14_IS19_E10value_typeET4_jRbjT5_S1F_jjP12ihipStream_tbEUljE_ZNSN_ISO_Lb1ESR_SS_SU_SV_SZ_EES10_S11_S12_S13_S17_S18_S19_S1C_S1D_jS1E_jS1F_S1F_jjS1H_bEUljE0_EEES10_S11_S12_S19_S1D_S1F_T6_T7_T9_mT8_S1H_bDpT10_ENKUlT_T0_E_clISt17integral_constantIbLb1EES1V_EEDaS1Q_S1R_EUlS1Q_E_NS1_11comp_targetILNS1_3genE2ELNS1_11target_archE906ELNS1_3gpuE6ELNS1_3repE0EEENS1_30default_config_static_selectorELNS0_4arch9wavefront6targetE1EEEvS13_.has_recursion, 0
	.set _ZN7rocprim17ROCPRIM_400000_NS6detail17trampoline_kernelINS0_13select_configILj256ELj13ELNS0_17block_load_methodE3ELS4_3ELS4_3ELNS0_20block_scan_algorithmE0ELj4294967295EEENS1_25partition_config_selectorILNS1_17partition_subalgoE4EjNS0_10empty_typeEbEEZZNS1_14partition_implILS8_4ELb0ES6_15HIP_vector_typeIjLj2EENS0_17counting_iteratorIjlEEPS9_SG_NS0_5tupleIJPjSI_NS0_16reverse_iteratorISI_EEEEENSH_IJSG_SG_SG_EEES9_SI_JZNS1_25segmented_radix_sort_implINS0_14default_configELb1EPK6__halfPSP_PKlPlN2at6native12_GLOBAL__N_18offset_tEEE10hipError_tPvRmT1_PNSt15iterator_traitsIS13_E10value_typeET2_T3_PNS14_IS19_E10value_typeET4_jRbjT5_S1F_jjP12ihipStream_tbEUljE_ZNSN_ISO_Lb1ESR_SS_SU_SV_SZ_EES10_S11_S12_S13_S17_S18_S19_S1C_S1D_jS1E_jS1F_S1F_jjS1H_bEUljE0_EEES10_S11_S12_S19_S1D_S1F_T6_T7_T9_mT8_S1H_bDpT10_ENKUlT_T0_E_clISt17integral_constantIbLb1EES1V_EEDaS1Q_S1R_EUlS1Q_E_NS1_11comp_targetILNS1_3genE2ELNS1_11target_archE906ELNS1_3gpuE6ELNS1_3repE0EEENS1_30default_config_static_selectorELNS0_4arch9wavefront6targetE1EEEvS13_.has_indirect_call, 0
	.section	.AMDGPU.csdata,"",@progbits
; Kernel info:
; codeLenInByte = 4
; TotalNumSgprs: 4
; NumVgprs: 0
; ScratchSize: 0
; MemoryBound: 0
; FloatMode: 240
; IeeeMode: 1
; LDSByteSize: 0 bytes/workgroup (compile time only)
; SGPRBlocks: 0
; VGPRBlocks: 0
; NumSGPRsForWavesPerEU: 4
; NumVGPRsForWavesPerEU: 1
; Occupancy: 10
; WaveLimiterHint : 0
; COMPUTE_PGM_RSRC2:SCRATCH_EN: 0
; COMPUTE_PGM_RSRC2:USER_SGPR: 6
; COMPUTE_PGM_RSRC2:TRAP_HANDLER: 0
; COMPUTE_PGM_RSRC2:TGID_X_EN: 1
; COMPUTE_PGM_RSRC2:TGID_Y_EN: 0
; COMPUTE_PGM_RSRC2:TGID_Z_EN: 0
; COMPUTE_PGM_RSRC2:TIDIG_COMP_CNT: 0
	.section	.text._ZN7rocprim17ROCPRIM_400000_NS6detail17trampoline_kernelINS0_13select_configILj256ELj13ELNS0_17block_load_methodE3ELS4_3ELS4_3ELNS0_20block_scan_algorithmE0ELj4294967295EEENS1_25partition_config_selectorILNS1_17partition_subalgoE4EjNS0_10empty_typeEbEEZZNS1_14partition_implILS8_4ELb0ES6_15HIP_vector_typeIjLj2EENS0_17counting_iteratorIjlEEPS9_SG_NS0_5tupleIJPjSI_NS0_16reverse_iteratorISI_EEEEENSH_IJSG_SG_SG_EEES9_SI_JZNS1_25segmented_radix_sort_implINS0_14default_configELb1EPK6__halfPSP_PKlPlN2at6native12_GLOBAL__N_18offset_tEEE10hipError_tPvRmT1_PNSt15iterator_traitsIS13_E10value_typeET2_T3_PNS14_IS19_E10value_typeET4_jRbjT5_S1F_jjP12ihipStream_tbEUljE_ZNSN_ISO_Lb1ESR_SS_SU_SV_SZ_EES10_S11_S12_S13_S17_S18_S19_S1C_S1D_jS1E_jS1F_S1F_jjS1H_bEUljE0_EEES10_S11_S12_S19_S1D_S1F_T6_T7_T9_mT8_S1H_bDpT10_ENKUlT_T0_E_clISt17integral_constantIbLb1EES1V_EEDaS1Q_S1R_EUlS1Q_E_NS1_11comp_targetILNS1_3genE10ELNS1_11target_archE1200ELNS1_3gpuE4ELNS1_3repE0EEENS1_30default_config_static_selectorELNS0_4arch9wavefront6targetE1EEEvS13_,"axG",@progbits,_ZN7rocprim17ROCPRIM_400000_NS6detail17trampoline_kernelINS0_13select_configILj256ELj13ELNS0_17block_load_methodE3ELS4_3ELS4_3ELNS0_20block_scan_algorithmE0ELj4294967295EEENS1_25partition_config_selectorILNS1_17partition_subalgoE4EjNS0_10empty_typeEbEEZZNS1_14partition_implILS8_4ELb0ES6_15HIP_vector_typeIjLj2EENS0_17counting_iteratorIjlEEPS9_SG_NS0_5tupleIJPjSI_NS0_16reverse_iteratorISI_EEEEENSH_IJSG_SG_SG_EEES9_SI_JZNS1_25segmented_radix_sort_implINS0_14default_configELb1EPK6__halfPSP_PKlPlN2at6native12_GLOBAL__N_18offset_tEEE10hipError_tPvRmT1_PNSt15iterator_traitsIS13_E10value_typeET2_T3_PNS14_IS19_E10value_typeET4_jRbjT5_S1F_jjP12ihipStream_tbEUljE_ZNSN_ISO_Lb1ESR_SS_SU_SV_SZ_EES10_S11_S12_S13_S17_S18_S19_S1C_S1D_jS1E_jS1F_S1F_jjS1H_bEUljE0_EEES10_S11_S12_S19_S1D_S1F_T6_T7_T9_mT8_S1H_bDpT10_ENKUlT_T0_E_clISt17integral_constantIbLb1EES1V_EEDaS1Q_S1R_EUlS1Q_E_NS1_11comp_targetILNS1_3genE10ELNS1_11target_archE1200ELNS1_3gpuE4ELNS1_3repE0EEENS1_30default_config_static_selectorELNS0_4arch9wavefront6targetE1EEEvS13_,comdat
	.globl	_ZN7rocprim17ROCPRIM_400000_NS6detail17trampoline_kernelINS0_13select_configILj256ELj13ELNS0_17block_load_methodE3ELS4_3ELS4_3ELNS0_20block_scan_algorithmE0ELj4294967295EEENS1_25partition_config_selectorILNS1_17partition_subalgoE4EjNS0_10empty_typeEbEEZZNS1_14partition_implILS8_4ELb0ES6_15HIP_vector_typeIjLj2EENS0_17counting_iteratorIjlEEPS9_SG_NS0_5tupleIJPjSI_NS0_16reverse_iteratorISI_EEEEENSH_IJSG_SG_SG_EEES9_SI_JZNS1_25segmented_radix_sort_implINS0_14default_configELb1EPK6__halfPSP_PKlPlN2at6native12_GLOBAL__N_18offset_tEEE10hipError_tPvRmT1_PNSt15iterator_traitsIS13_E10value_typeET2_T3_PNS14_IS19_E10value_typeET4_jRbjT5_S1F_jjP12ihipStream_tbEUljE_ZNSN_ISO_Lb1ESR_SS_SU_SV_SZ_EES10_S11_S12_S13_S17_S18_S19_S1C_S1D_jS1E_jS1F_S1F_jjS1H_bEUljE0_EEES10_S11_S12_S19_S1D_S1F_T6_T7_T9_mT8_S1H_bDpT10_ENKUlT_T0_E_clISt17integral_constantIbLb1EES1V_EEDaS1Q_S1R_EUlS1Q_E_NS1_11comp_targetILNS1_3genE10ELNS1_11target_archE1200ELNS1_3gpuE4ELNS1_3repE0EEENS1_30default_config_static_selectorELNS0_4arch9wavefront6targetE1EEEvS13_ ; -- Begin function _ZN7rocprim17ROCPRIM_400000_NS6detail17trampoline_kernelINS0_13select_configILj256ELj13ELNS0_17block_load_methodE3ELS4_3ELS4_3ELNS0_20block_scan_algorithmE0ELj4294967295EEENS1_25partition_config_selectorILNS1_17partition_subalgoE4EjNS0_10empty_typeEbEEZZNS1_14partition_implILS8_4ELb0ES6_15HIP_vector_typeIjLj2EENS0_17counting_iteratorIjlEEPS9_SG_NS0_5tupleIJPjSI_NS0_16reverse_iteratorISI_EEEEENSH_IJSG_SG_SG_EEES9_SI_JZNS1_25segmented_radix_sort_implINS0_14default_configELb1EPK6__halfPSP_PKlPlN2at6native12_GLOBAL__N_18offset_tEEE10hipError_tPvRmT1_PNSt15iterator_traitsIS13_E10value_typeET2_T3_PNS14_IS19_E10value_typeET4_jRbjT5_S1F_jjP12ihipStream_tbEUljE_ZNSN_ISO_Lb1ESR_SS_SU_SV_SZ_EES10_S11_S12_S13_S17_S18_S19_S1C_S1D_jS1E_jS1F_S1F_jjS1H_bEUljE0_EEES10_S11_S12_S19_S1D_S1F_T6_T7_T9_mT8_S1H_bDpT10_ENKUlT_T0_E_clISt17integral_constantIbLb1EES1V_EEDaS1Q_S1R_EUlS1Q_E_NS1_11comp_targetILNS1_3genE10ELNS1_11target_archE1200ELNS1_3gpuE4ELNS1_3repE0EEENS1_30default_config_static_selectorELNS0_4arch9wavefront6targetE1EEEvS13_
	.p2align	8
	.type	_ZN7rocprim17ROCPRIM_400000_NS6detail17trampoline_kernelINS0_13select_configILj256ELj13ELNS0_17block_load_methodE3ELS4_3ELS4_3ELNS0_20block_scan_algorithmE0ELj4294967295EEENS1_25partition_config_selectorILNS1_17partition_subalgoE4EjNS0_10empty_typeEbEEZZNS1_14partition_implILS8_4ELb0ES6_15HIP_vector_typeIjLj2EENS0_17counting_iteratorIjlEEPS9_SG_NS0_5tupleIJPjSI_NS0_16reverse_iteratorISI_EEEEENSH_IJSG_SG_SG_EEES9_SI_JZNS1_25segmented_radix_sort_implINS0_14default_configELb1EPK6__halfPSP_PKlPlN2at6native12_GLOBAL__N_18offset_tEEE10hipError_tPvRmT1_PNSt15iterator_traitsIS13_E10value_typeET2_T3_PNS14_IS19_E10value_typeET4_jRbjT5_S1F_jjP12ihipStream_tbEUljE_ZNSN_ISO_Lb1ESR_SS_SU_SV_SZ_EES10_S11_S12_S13_S17_S18_S19_S1C_S1D_jS1E_jS1F_S1F_jjS1H_bEUljE0_EEES10_S11_S12_S19_S1D_S1F_T6_T7_T9_mT8_S1H_bDpT10_ENKUlT_T0_E_clISt17integral_constantIbLb1EES1V_EEDaS1Q_S1R_EUlS1Q_E_NS1_11comp_targetILNS1_3genE10ELNS1_11target_archE1200ELNS1_3gpuE4ELNS1_3repE0EEENS1_30default_config_static_selectorELNS0_4arch9wavefront6targetE1EEEvS13_,@function
_ZN7rocprim17ROCPRIM_400000_NS6detail17trampoline_kernelINS0_13select_configILj256ELj13ELNS0_17block_load_methodE3ELS4_3ELS4_3ELNS0_20block_scan_algorithmE0ELj4294967295EEENS1_25partition_config_selectorILNS1_17partition_subalgoE4EjNS0_10empty_typeEbEEZZNS1_14partition_implILS8_4ELb0ES6_15HIP_vector_typeIjLj2EENS0_17counting_iteratorIjlEEPS9_SG_NS0_5tupleIJPjSI_NS0_16reverse_iteratorISI_EEEEENSH_IJSG_SG_SG_EEES9_SI_JZNS1_25segmented_radix_sort_implINS0_14default_configELb1EPK6__halfPSP_PKlPlN2at6native12_GLOBAL__N_18offset_tEEE10hipError_tPvRmT1_PNSt15iterator_traitsIS13_E10value_typeET2_T3_PNS14_IS19_E10value_typeET4_jRbjT5_S1F_jjP12ihipStream_tbEUljE_ZNSN_ISO_Lb1ESR_SS_SU_SV_SZ_EES10_S11_S12_S13_S17_S18_S19_S1C_S1D_jS1E_jS1F_S1F_jjS1H_bEUljE0_EEES10_S11_S12_S19_S1D_S1F_T6_T7_T9_mT8_S1H_bDpT10_ENKUlT_T0_E_clISt17integral_constantIbLb1EES1V_EEDaS1Q_S1R_EUlS1Q_E_NS1_11comp_targetILNS1_3genE10ELNS1_11target_archE1200ELNS1_3gpuE4ELNS1_3repE0EEENS1_30default_config_static_selectorELNS0_4arch9wavefront6targetE1EEEvS13_: ; @_ZN7rocprim17ROCPRIM_400000_NS6detail17trampoline_kernelINS0_13select_configILj256ELj13ELNS0_17block_load_methodE3ELS4_3ELS4_3ELNS0_20block_scan_algorithmE0ELj4294967295EEENS1_25partition_config_selectorILNS1_17partition_subalgoE4EjNS0_10empty_typeEbEEZZNS1_14partition_implILS8_4ELb0ES6_15HIP_vector_typeIjLj2EENS0_17counting_iteratorIjlEEPS9_SG_NS0_5tupleIJPjSI_NS0_16reverse_iteratorISI_EEEEENSH_IJSG_SG_SG_EEES9_SI_JZNS1_25segmented_radix_sort_implINS0_14default_configELb1EPK6__halfPSP_PKlPlN2at6native12_GLOBAL__N_18offset_tEEE10hipError_tPvRmT1_PNSt15iterator_traitsIS13_E10value_typeET2_T3_PNS14_IS19_E10value_typeET4_jRbjT5_S1F_jjP12ihipStream_tbEUljE_ZNSN_ISO_Lb1ESR_SS_SU_SV_SZ_EES10_S11_S12_S13_S17_S18_S19_S1C_S1D_jS1E_jS1F_S1F_jjS1H_bEUljE0_EEES10_S11_S12_S19_S1D_S1F_T6_T7_T9_mT8_S1H_bDpT10_ENKUlT_T0_E_clISt17integral_constantIbLb1EES1V_EEDaS1Q_S1R_EUlS1Q_E_NS1_11comp_targetILNS1_3genE10ELNS1_11target_archE1200ELNS1_3gpuE4ELNS1_3repE0EEENS1_30default_config_static_selectorELNS0_4arch9wavefront6targetE1EEEvS13_
; %bb.0:
	.section	.rodata,"a",@progbits
	.p2align	6, 0x0
	.amdhsa_kernel _ZN7rocprim17ROCPRIM_400000_NS6detail17trampoline_kernelINS0_13select_configILj256ELj13ELNS0_17block_load_methodE3ELS4_3ELS4_3ELNS0_20block_scan_algorithmE0ELj4294967295EEENS1_25partition_config_selectorILNS1_17partition_subalgoE4EjNS0_10empty_typeEbEEZZNS1_14partition_implILS8_4ELb0ES6_15HIP_vector_typeIjLj2EENS0_17counting_iteratorIjlEEPS9_SG_NS0_5tupleIJPjSI_NS0_16reverse_iteratorISI_EEEEENSH_IJSG_SG_SG_EEES9_SI_JZNS1_25segmented_radix_sort_implINS0_14default_configELb1EPK6__halfPSP_PKlPlN2at6native12_GLOBAL__N_18offset_tEEE10hipError_tPvRmT1_PNSt15iterator_traitsIS13_E10value_typeET2_T3_PNS14_IS19_E10value_typeET4_jRbjT5_S1F_jjP12ihipStream_tbEUljE_ZNSN_ISO_Lb1ESR_SS_SU_SV_SZ_EES10_S11_S12_S13_S17_S18_S19_S1C_S1D_jS1E_jS1F_S1F_jjS1H_bEUljE0_EEES10_S11_S12_S19_S1D_S1F_T6_T7_T9_mT8_S1H_bDpT10_ENKUlT_T0_E_clISt17integral_constantIbLb1EES1V_EEDaS1Q_S1R_EUlS1Q_E_NS1_11comp_targetILNS1_3genE10ELNS1_11target_archE1200ELNS1_3gpuE4ELNS1_3repE0EEENS1_30default_config_static_selectorELNS0_4arch9wavefront6targetE1EEEvS13_
		.amdhsa_group_segment_fixed_size 0
		.amdhsa_private_segment_fixed_size 0
		.amdhsa_kernarg_size 184
		.amdhsa_user_sgpr_count 6
		.amdhsa_user_sgpr_private_segment_buffer 1
		.amdhsa_user_sgpr_dispatch_ptr 0
		.amdhsa_user_sgpr_queue_ptr 0
		.amdhsa_user_sgpr_kernarg_segment_ptr 1
		.amdhsa_user_sgpr_dispatch_id 0
		.amdhsa_user_sgpr_flat_scratch_init 0
		.amdhsa_user_sgpr_private_segment_size 0
		.amdhsa_uses_dynamic_stack 0
		.amdhsa_system_sgpr_private_segment_wavefront_offset 0
		.amdhsa_system_sgpr_workgroup_id_x 1
		.amdhsa_system_sgpr_workgroup_id_y 0
		.amdhsa_system_sgpr_workgroup_id_z 0
		.amdhsa_system_sgpr_workgroup_info 0
		.amdhsa_system_vgpr_workitem_id 0
		.amdhsa_next_free_vgpr 1
		.amdhsa_next_free_sgpr 0
		.amdhsa_reserve_vcc 0
		.amdhsa_reserve_flat_scratch 0
		.amdhsa_float_round_mode_32 0
		.amdhsa_float_round_mode_16_64 0
		.amdhsa_float_denorm_mode_32 3
		.amdhsa_float_denorm_mode_16_64 3
		.amdhsa_dx10_clamp 1
		.amdhsa_ieee_mode 1
		.amdhsa_fp16_overflow 0
		.amdhsa_exception_fp_ieee_invalid_op 0
		.amdhsa_exception_fp_denorm_src 0
		.amdhsa_exception_fp_ieee_div_zero 0
		.amdhsa_exception_fp_ieee_overflow 0
		.amdhsa_exception_fp_ieee_underflow 0
		.amdhsa_exception_fp_ieee_inexact 0
		.amdhsa_exception_int_div_zero 0
	.end_amdhsa_kernel
	.section	.text._ZN7rocprim17ROCPRIM_400000_NS6detail17trampoline_kernelINS0_13select_configILj256ELj13ELNS0_17block_load_methodE3ELS4_3ELS4_3ELNS0_20block_scan_algorithmE0ELj4294967295EEENS1_25partition_config_selectorILNS1_17partition_subalgoE4EjNS0_10empty_typeEbEEZZNS1_14partition_implILS8_4ELb0ES6_15HIP_vector_typeIjLj2EENS0_17counting_iteratorIjlEEPS9_SG_NS0_5tupleIJPjSI_NS0_16reverse_iteratorISI_EEEEENSH_IJSG_SG_SG_EEES9_SI_JZNS1_25segmented_radix_sort_implINS0_14default_configELb1EPK6__halfPSP_PKlPlN2at6native12_GLOBAL__N_18offset_tEEE10hipError_tPvRmT1_PNSt15iterator_traitsIS13_E10value_typeET2_T3_PNS14_IS19_E10value_typeET4_jRbjT5_S1F_jjP12ihipStream_tbEUljE_ZNSN_ISO_Lb1ESR_SS_SU_SV_SZ_EES10_S11_S12_S13_S17_S18_S19_S1C_S1D_jS1E_jS1F_S1F_jjS1H_bEUljE0_EEES10_S11_S12_S19_S1D_S1F_T6_T7_T9_mT8_S1H_bDpT10_ENKUlT_T0_E_clISt17integral_constantIbLb1EES1V_EEDaS1Q_S1R_EUlS1Q_E_NS1_11comp_targetILNS1_3genE10ELNS1_11target_archE1200ELNS1_3gpuE4ELNS1_3repE0EEENS1_30default_config_static_selectorELNS0_4arch9wavefront6targetE1EEEvS13_,"axG",@progbits,_ZN7rocprim17ROCPRIM_400000_NS6detail17trampoline_kernelINS0_13select_configILj256ELj13ELNS0_17block_load_methodE3ELS4_3ELS4_3ELNS0_20block_scan_algorithmE0ELj4294967295EEENS1_25partition_config_selectorILNS1_17partition_subalgoE4EjNS0_10empty_typeEbEEZZNS1_14partition_implILS8_4ELb0ES6_15HIP_vector_typeIjLj2EENS0_17counting_iteratorIjlEEPS9_SG_NS0_5tupleIJPjSI_NS0_16reverse_iteratorISI_EEEEENSH_IJSG_SG_SG_EEES9_SI_JZNS1_25segmented_radix_sort_implINS0_14default_configELb1EPK6__halfPSP_PKlPlN2at6native12_GLOBAL__N_18offset_tEEE10hipError_tPvRmT1_PNSt15iterator_traitsIS13_E10value_typeET2_T3_PNS14_IS19_E10value_typeET4_jRbjT5_S1F_jjP12ihipStream_tbEUljE_ZNSN_ISO_Lb1ESR_SS_SU_SV_SZ_EES10_S11_S12_S13_S17_S18_S19_S1C_S1D_jS1E_jS1F_S1F_jjS1H_bEUljE0_EEES10_S11_S12_S19_S1D_S1F_T6_T7_T9_mT8_S1H_bDpT10_ENKUlT_T0_E_clISt17integral_constantIbLb1EES1V_EEDaS1Q_S1R_EUlS1Q_E_NS1_11comp_targetILNS1_3genE10ELNS1_11target_archE1200ELNS1_3gpuE4ELNS1_3repE0EEENS1_30default_config_static_selectorELNS0_4arch9wavefront6targetE1EEEvS13_,comdat
.Lfunc_end1688:
	.size	_ZN7rocprim17ROCPRIM_400000_NS6detail17trampoline_kernelINS0_13select_configILj256ELj13ELNS0_17block_load_methodE3ELS4_3ELS4_3ELNS0_20block_scan_algorithmE0ELj4294967295EEENS1_25partition_config_selectorILNS1_17partition_subalgoE4EjNS0_10empty_typeEbEEZZNS1_14partition_implILS8_4ELb0ES6_15HIP_vector_typeIjLj2EENS0_17counting_iteratorIjlEEPS9_SG_NS0_5tupleIJPjSI_NS0_16reverse_iteratorISI_EEEEENSH_IJSG_SG_SG_EEES9_SI_JZNS1_25segmented_radix_sort_implINS0_14default_configELb1EPK6__halfPSP_PKlPlN2at6native12_GLOBAL__N_18offset_tEEE10hipError_tPvRmT1_PNSt15iterator_traitsIS13_E10value_typeET2_T3_PNS14_IS19_E10value_typeET4_jRbjT5_S1F_jjP12ihipStream_tbEUljE_ZNSN_ISO_Lb1ESR_SS_SU_SV_SZ_EES10_S11_S12_S13_S17_S18_S19_S1C_S1D_jS1E_jS1F_S1F_jjS1H_bEUljE0_EEES10_S11_S12_S19_S1D_S1F_T6_T7_T9_mT8_S1H_bDpT10_ENKUlT_T0_E_clISt17integral_constantIbLb1EES1V_EEDaS1Q_S1R_EUlS1Q_E_NS1_11comp_targetILNS1_3genE10ELNS1_11target_archE1200ELNS1_3gpuE4ELNS1_3repE0EEENS1_30default_config_static_selectorELNS0_4arch9wavefront6targetE1EEEvS13_, .Lfunc_end1688-_ZN7rocprim17ROCPRIM_400000_NS6detail17trampoline_kernelINS0_13select_configILj256ELj13ELNS0_17block_load_methodE3ELS4_3ELS4_3ELNS0_20block_scan_algorithmE0ELj4294967295EEENS1_25partition_config_selectorILNS1_17partition_subalgoE4EjNS0_10empty_typeEbEEZZNS1_14partition_implILS8_4ELb0ES6_15HIP_vector_typeIjLj2EENS0_17counting_iteratorIjlEEPS9_SG_NS0_5tupleIJPjSI_NS0_16reverse_iteratorISI_EEEEENSH_IJSG_SG_SG_EEES9_SI_JZNS1_25segmented_radix_sort_implINS0_14default_configELb1EPK6__halfPSP_PKlPlN2at6native12_GLOBAL__N_18offset_tEEE10hipError_tPvRmT1_PNSt15iterator_traitsIS13_E10value_typeET2_T3_PNS14_IS19_E10value_typeET4_jRbjT5_S1F_jjP12ihipStream_tbEUljE_ZNSN_ISO_Lb1ESR_SS_SU_SV_SZ_EES10_S11_S12_S13_S17_S18_S19_S1C_S1D_jS1E_jS1F_S1F_jjS1H_bEUljE0_EEES10_S11_S12_S19_S1D_S1F_T6_T7_T9_mT8_S1H_bDpT10_ENKUlT_T0_E_clISt17integral_constantIbLb1EES1V_EEDaS1Q_S1R_EUlS1Q_E_NS1_11comp_targetILNS1_3genE10ELNS1_11target_archE1200ELNS1_3gpuE4ELNS1_3repE0EEENS1_30default_config_static_selectorELNS0_4arch9wavefront6targetE1EEEvS13_
                                        ; -- End function
	.set _ZN7rocprim17ROCPRIM_400000_NS6detail17trampoline_kernelINS0_13select_configILj256ELj13ELNS0_17block_load_methodE3ELS4_3ELS4_3ELNS0_20block_scan_algorithmE0ELj4294967295EEENS1_25partition_config_selectorILNS1_17partition_subalgoE4EjNS0_10empty_typeEbEEZZNS1_14partition_implILS8_4ELb0ES6_15HIP_vector_typeIjLj2EENS0_17counting_iteratorIjlEEPS9_SG_NS0_5tupleIJPjSI_NS0_16reverse_iteratorISI_EEEEENSH_IJSG_SG_SG_EEES9_SI_JZNS1_25segmented_radix_sort_implINS0_14default_configELb1EPK6__halfPSP_PKlPlN2at6native12_GLOBAL__N_18offset_tEEE10hipError_tPvRmT1_PNSt15iterator_traitsIS13_E10value_typeET2_T3_PNS14_IS19_E10value_typeET4_jRbjT5_S1F_jjP12ihipStream_tbEUljE_ZNSN_ISO_Lb1ESR_SS_SU_SV_SZ_EES10_S11_S12_S13_S17_S18_S19_S1C_S1D_jS1E_jS1F_S1F_jjS1H_bEUljE0_EEES10_S11_S12_S19_S1D_S1F_T6_T7_T9_mT8_S1H_bDpT10_ENKUlT_T0_E_clISt17integral_constantIbLb1EES1V_EEDaS1Q_S1R_EUlS1Q_E_NS1_11comp_targetILNS1_3genE10ELNS1_11target_archE1200ELNS1_3gpuE4ELNS1_3repE0EEENS1_30default_config_static_selectorELNS0_4arch9wavefront6targetE1EEEvS13_.num_vgpr, 0
	.set _ZN7rocprim17ROCPRIM_400000_NS6detail17trampoline_kernelINS0_13select_configILj256ELj13ELNS0_17block_load_methodE3ELS4_3ELS4_3ELNS0_20block_scan_algorithmE0ELj4294967295EEENS1_25partition_config_selectorILNS1_17partition_subalgoE4EjNS0_10empty_typeEbEEZZNS1_14partition_implILS8_4ELb0ES6_15HIP_vector_typeIjLj2EENS0_17counting_iteratorIjlEEPS9_SG_NS0_5tupleIJPjSI_NS0_16reverse_iteratorISI_EEEEENSH_IJSG_SG_SG_EEES9_SI_JZNS1_25segmented_radix_sort_implINS0_14default_configELb1EPK6__halfPSP_PKlPlN2at6native12_GLOBAL__N_18offset_tEEE10hipError_tPvRmT1_PNSt15iterator_traitsIS13_E10value_typeET2_T3_PNS14_IS19_E10value_typeET4_jRbjT5_S1F_jjP12ihipStream_tbEUljE_ZNSN_ISO_Lb1ESR_SS_SU_SV_SZ_EES10_S11_S12_S13_S17_S18_S19_S1C_S1D_jS1E_jS1F_S1F_jjS1H_bEUljE0_EEES10_S11_S12_S19_S1D_S1F_T6_T7_T9_mT8_S1H_bDpT10_ENKUlT_T0_E_clISt17integral_constantIbLb1EES1V_EEDaS1Q_S1R_EUlS1Q_E_NS1_11comp_targetILNS1_3genE10ELNS1_11target_archE1200ELNS1_3gpuE4ELNS1_3repE0EEENS1_30default_config_static_selectorELNS0_4arch9wavefront6targetE1EEEvS13_.num_agpr, 0
	.set _ZN7rocprim17ROCPRIM_400000_NS6detail17trampoline_kernelINS0_13select_configILj256ELj13ELNS0_17block_load_methodE3ELS4_3ELS4_3ELNS0_20block_scan_algorithmE0ELj4294967295EEENS1_25partition_config_selectorILNS1_17partition_subalgoE4EjNS0_10empty_typeEbEEZZNS1_14partition_implILS8_4ELb0ES6_15HIP_vector_typeIjLj2EENS0_17counting_iteratorIjlEEPS9_SG_NS0_5tupleIJPjSI_NS0_16reverse_iteratorISI_EEEEENSH_IJSG_SG_SG_EEES9_SI_JZNS1_25segmented_radix_sort_implINS0_14default_configELb1EPK6__halfPSP_PKlPlN2at6native12_GLOBAL__N_18offset_tEEE10hipError_tPvRmT1_PNSt15iterator_traitsIS13_E10value_typeET2_T3_PNS14_IS19_E10value_typeET4_jRbjT5_S1F_jjP12ihipStream_tbEUljE_ZNSN_ISO_Lb1ESR_SS_SU_SV_SZ_EES10_S11_S12_S13_S17_S18_S19_S1C_S1D_jS1E_jS1F_S1F_jjS1H_bEUljE0_EEES10_S11_S12_S19_S1D_S1F_T6_T7_T9_mT8_S1H_bDpT10_ENKUlT_T0_E_clISt17integral_constantIbLb1EES1V_EEDaS1Q_S1R_EUlS1Q_E_NS1_11comp_targetILNS1_3genE10ELNS1_11target_archE1200ELNS1_3gpuE4ELNS1_3repE0EEENS1_30default_config_static_selectorELNS0_4arch9wavefront6targetE1EEEvS13_.numbered_sgpr, 0
	.set _ZN7rocprim17ROCPRIM_400000_NS6detail17trampoline_kernelINS0_13select_configILj256ELj13ELNS0_17block_load_methodE3ELS4_3ELS4_3ELNS0_20block_scan_algorithmE0ELj4294967295EEENS1_25partition_config_selectorILNS1_17partition_subalgoE4EjNS0_10empty_typeEbEEZZNS1_14partition_implILS8_4ELb0ES6_15HIP_vector_typeIjLj2EENS0_17counting_iteratorIjlEEPS9_SG_NS0_5tupleIJPjSI_NS0_16reverse_iteratorISI_EEEEENSH_IJSG_SG_SG_EEES9_SI_JZNS1_25segmented_radix_sort_implINS0_14default_configELb1EPK6__halfPSP_PKlPlN2at6native12_GLOBAL__N_18offset_tEEE10hipError_tPvRmT1_PNSt15iterator_traitsIS13_E10value_typeET2_T3_PNS14_IS19_E10value_typeET4_jRbjT5_S1F_jjP12ihipStream_tbEUljE_ZNSN_ISO_Lb1ESR_SS_SU_SV_SZ_EES10_S11_S12_S13_S17_S18_S19_S1C_S1D_jS1E_jS1F_S1F_jjS1H_bEUljE0_EEES10_S11_S12_S19_S1D_S1F_T6_T7_T9_mT8_S1H_bDpT10_ENKUlT_T0_E_clISt17integral_constantIbLb1EES1V_EEDaS1Q_S1R_EUlS1Q_E_NS1_11comp_targetILNS1_3genE10ELNS1_11target_archE1200ELNS1_3gpuE4ELNS1_3repE0EEENS1_30default_config_static_selectorELNS0_4arch9wavefront6targetE1EEEvS13_.num_named_barrier, 0
	.set _ZN7rocprim17ROCPRIM_400000_NS6detail17trampoline_kernelINS0_13select_configILj256ELj13ELNS0_17block_load_methodE3ELS4_3ELS4_3ELNS0_20block_scan_algorithmE0ELj4294967295EEENS1_25partition_config_selectorILNS1_17partition_subalgoE4EjNS0_10empty_typeEbEEZZNS1_14partition_implILS8_4ELb0ES6_15HIP_vector_typeIjLj2EENS0_17counting_iteratorIjlEEPS9_SG_NS0_5tupleIJPjSI_NS0_16reverse_iteratorISI_EEEEENSH_IJSG_SG_SG_EEES9_SI_JZNS1_25segmented_radix_sort_implINS0_14default_configELb1EPK6__halfPSP_PKlPlN2at6native12_GLOBAL__N_18offset_tEEE10hipError_tPvRmT1_PNSt15iterator_traitsIS13_E10value_typeET2_T3_PNS14_IS19_E10value_typeET4_jRbjT5_S1F_jjP12ihipStream_tbEUljE_ZNSN_ISO_Lb1ESR_SS_SU_SV_SZ_EES10_S11_S12_S13_S17_S18_S19_S1C_S1D_jS1E_jS1F_S1F_jjS1H_bEUljE0_EEES10_S11_S12_S19_S1D_S1F_T6_T7_T9_mT8_S1H_bDpT10_ENKUlT_T0_E_clISt17integral_constantIbLb1EES1V_EEDaS1Q_S1R_EUlS1Q_E_NS1_11comp_targetILNS1_3genE10ELNS1_11target_archE1200ELNS1_3gpuE4ELNS1_3repE0EEENS1_30default_config_static_selectorELNS0_4arch9wavefront6targetE1EEEvS13_.private_seg_size, 0
	.set _ZN7rocprim17ROCPRIM_400000_NS6detail17trampoline_kernelINS0_13select_configILj256ELj13ELNS0_17block_load_methodE3ELS4_3ELS4_3ELNS0_20block_scan_algorithmE0ELj4294967295EEENS1_25partition_config_selectorILNS1_17partition_subalgoE4EjNS0_10empty_typeEbEEZZNS1_14partition_implILS8_4ELb0ES6_15HIP_vector_typeIjLj2EENS0_17counting_iteratorIjlEEPS9_SG_NS0_5tupleIJPjSI_NS0_16reverse_iteratorISI_EEEEENSH_IJSG_SG_SG_EEES9_SI_JZNS1_25segmented_radix_sort_implINS0_14default_configELb1EPK6__halfPSP_PKlPlN2at6native12_GLOBAL__N_18offset_tEEE10hipError_tPvRmT1_PNSt15iterator_traitsIS13_E10value_typeET2_T3_PNS14_IS19_E10value_typeET4_jRbjT5_S1F_jjP12ihipStream_tbEUljE_ZNSN_ISO_Lb1ESR_SS_SU_SV_SZ_EES10_S11_S12_S13_S17_S18_S19_S1C_S1D_jS1E_jS1F_S1F_jjS1H_bEUljE0_EEES10_S11_S12_S19_S1D_S1F_T6_T7_T9_mT8_S1H_bDpT10_ENKUlT_T0_E_clISt17integral_constantIbLb1EES1V_EEDaS1Q_S1R_EUlS1Q_E_NS1_11comp_targetILNS1_3genE10ELNS1_11target_archE1200ELNS1_3gpuE4ELNS1_3repE0EEENS1_30default_config_static_selectorELNS0_4arch9wavefront6targetE1EEEvS13_.uses_vcc, 0
	.set _ZN7rocprim17ROCPRIM_400000_NS6detail17trampoline_kernelINS0_13select_configILj256ELj13ELNS0_17block_load_methodE3ELS4_3ELS4_3ELNS0_20block_scan_algorithmE0ELj4294967295EEENS1_25partition_config_selectorILNS1_17partition_subalgoE4EjNS0_10empty_typeEbEEZZNS1_14partition_implILS8_4ELb0ES6_15HIP_vector_typeIjLj2EENS0_17counting_iteratorIjlEEPS9_SG_NS0_5tupleIJPjSI_NS0_16reverse_iteratorISI_EEEEENSH_IJSG_SG_SG_EEES9_SI_JZNS1_25segmented_radix_sort_implINS0_14default_configELb1EPK6__halfPSP_PKlPlN2at6native12_GLOBAL__N_18offset_tEEE10hipError_tPvRmT1_PNSt15iterator_traitsIS13_E10value_typeET2_T3_PNS14_IS19_E10value_typeET4_jRbjT5_S1F_jjP12ihipStream_tbEUljE_ZNSN_ISO_Lb1ESR_SS_SU_SV_SZ_EES10_S11_S12_S13_S17_S18_S19_S1C_S1D_jS1E_jS1F_S1F_jjS1H_bEUljE0_EEES10_S11_S12_S19_S1D_S1F_T6_T7_T9_mT8_S1H_bDpT10_ENKUlT_T0_E_clISt17integral_constantIbLb1EES1V_EEDaS1Q_S1R_EUlS1Q_E_NS1_11comp_targetILNS1_3genE10ELNS1_11target_archE1200ELNS1_3gpuE4ELNS1_3repE0EEENS1_30default_config_static_selectorELNS0_4arch9wavefront6targetE1EEEvS13_.uses_flat_scratch, 0
	.set _ZN7rocprim17ROCPRIM_400000_NS6detail17trampoline_kernelINS0_13select_configILj256ELj13ELNS0_17block_load_methodE3ELS4_3ELS4_3ELNS0_20block_scan_algorithmE0ELj4294967295EEENS1_25partition_config_selectorILNS1_17partition_subalgoE4EjNS0_10empty_typeEbEEZZNS1_14partition_implILS8_4ELb0ES6_15HIP_vector_typeIjLj2EENS0_17counting_iteratorIjlEEPS9_SG_NS0_5tupleIJPjSI_NS0_16reverse_iteratorISI_EEEEENSH_IJSG_SG_SG_EEES9_SI_JZNS1_25segmented_radix_sort_implINS0_14default_configELb1EPK6__halfPSP_PKlPlN2at6native12_GLOBAL__N_18offset_tEEE10hipError_tPvRmT1_PNSt15iterator_traitsIS13_E10value_typeET2_T3_PNS14_IS19_E10value_typeET4_jRbjT5_S1F_jjP12ihipStream_tbEUljE_ZNSN_ISO_Lb1ESR_SS_SU_SV_SZ_EES10_S11_S12_S13_S17_S18_S19_S1C_S1D_jS1E_jS1F_S1F_jjS1H_bEUljE0_EEES10_S11_S12_S19_S1D_S1F_T6_T7_T9_mT8_S1H_bDpT10_ENKUlT_T0_E_clISt17integral_constantIbLb1EES1V_EEDaS1Q_S1R_EUlS1Q_E_NS1_11comp_targetILNS1_3genE10ELNS1_11target_archE1200ELNS1_3gpuE4ELNS1_3repE0EEENS1_30default_config_static_selectorELNS0_4arch9wavefront6targetE1EEEvS13_.has_dyn_sized_stack, 0
	.set _ZN7rocprim17ROCPRIM_400000_NS6detail17trampoline_kernelINS0_13select_configILj256ELj13ELNS0_17block_load_methodE3ELS4_3ELS4_3ELNS0_20block_scan_algorithmE0ELj4294967295EEENS1_25partition_config_selectorILNS1_17partition_subalgoE4EjNS0_10empty_typeEbEEZZNS1_14partition_implILS8_4ELb0ES6_15HIP_vector_typeIjLj2EENS0_17counting_iteratorIjlEEPS9_SG_NS0_5tupleIJPjSI_NS0_16reverse_iteratorISI_EEEEENSH_IJSG_SG_SG_EEES9_SI_JZNS1_25segmented_radix_sort_implINS0_14default_configELb1EPK6__halfPSP_PKlPlN2at6native12_GLOBAL__N_18offset_tEEE10hipError_tPvRmT1_PNSt15iterator_traitsIS13_E10value_typeET2_T3_PNS14_IS19_E10value_typeET4_jRbjT5_S1F_jjP12ihipStream_tbEUljE_ZNSN_ISO_Lb1ESR_SS_SU_SV_SZ_EES10_S11_S12_S13_S17_S18_S19_S1C_S1D_jS1E_jS1F_S1F_jjS1H_bEUljE0_EEES10_S11_S12_S19_S1D_S1F_T6_T7_T9_mT8_S1H_bDpT10_ENKUlT_T0_E_clISt17integral_constantIbLb1EES1V_EEDaS1Q_S1R_EUlS1Q_E_NS1_11comp_targetILNS1_3genE10ELNS1_11target_archE1200ELNS1_3gpuE4ELNS1_3repE0EEENS1_30default_config_static_selectorELNS0_4arch9wavefront6targetE1EEEvS13_.has_recursion, 0
	.set _ZN7rocprim17ROCPRIM_400000_NS6detail17trampoline_kernelINS0_13select_configILj256ELj13ELNS0_17block_load_methodE3ELS4_3ELS4_3ELNS0_20block_scan_algorithmE0ELj4294967295EEENS1_25partition_config_selectorILNS1_17partition_subalgoE4EjNS0_10empty_typeEbEEZZNS1_14partition_implILS8_4ELb0ES6_15HIP_vector_typeIjLj2EENS0_17counting_iteratorIjlEEPS9_SG_NS0_5tupleIJPjSI_NS0_16reverse_iteratorISI_EEEEENSH_IJSG_SG_SG_EEES9_SI_JZNS1_25segmented_radix_sort_implINS0_14default_configELb1EPK6__halfPSP_PKlPlN2at6native12_GLOBAL__N_18offset_tEEE10hipError_tPvRmT1_PNSt15iterator_traitsIS13_E10value_typeET2_T3_PNS14_IS19_E10value_typeET4_jRbjT5_S1F_jjP12ihipStream_tbEUljE_ZNSN_ISO_Lb1ESR_SS_SU_SV_SZ_EES10_S11_S12_S13_S17_S18_S19_S1C_S1D_jS1E_jS1F_S1F_jjS1H_bEUljE0_EEES10_S11_S12_S19_S1D_S1F_T6_T7_T9_mT8_S1H_bDpT10_ENKUlT_T0_E_clISt17integral_constantIbLb1EES1V_EEDaS1Q_S1R_EUlS1Q_E_NS1_11comp_targetILNS1_3genE10ELNS1_11target_archE1200ELNS1_3gpuE4ELNS1_3repE0EEENS1_30default_config_static_selectorELNS0_4arch9wavefront6targetE1EEEvS13_.has_indirect_call, 0
	.section	.AMDGPU.csdata,"",@progbits
; Kernel info:
; codeLenInByte = 0
; TotalNumSgprs: 4
; NumVgprs: 0
; ScratchSize: 0
; MemoryBound: 0
; FloatMode: 240
; IeeeMode: 1
; LDSByteSize: 0 bytes/workgroup (compile time only)
; SGPRBlocks: 0
; VGPRBlocks: 0
; NumSGPRsForWavesPerEU: 4
; NumVGPRsForWavesPerEU: 1
; Occupancy: 10
; WaveLimiterHint : 0
; COMPUTE_PGM_RSRC2:SCRATCH_EN: 0
; COMPUTE_PGM_RSRC2:USER_SGPR: 6
; COMPUTE_PGM_RSRC2:TRAP_HANDLER: 0
; COMPUTE_PGM_RSRC2:TGID_X_EN: 1
; COMPUTE_PGM_RSRC2:TGID_Y_EN: 0
; COMPUTE_PGM_RSRC2:TGID_Z_EN: 0
; COMPUTE_PGM_RSRC2:TIDIG_COMP_CNT: 0
	.section	.text._ZN7rocprim17ROCPRIM_400000_NS6detail17trampoline_kernelINS0_13select_configILj256ELj13ELNS0_17block_load_methodE3ELS4_3ELS4_3ELNS0_20block_scan_algorithmE0ELj4294967295EEENS1_25partition_config_selectorILNS1_17partition_subalgoE4EjNS0_10empty_typeEbEEZZNS1_14partition_implILS8_4ELb0ES6_15HIP_vector_typeIjLj2EENS0_17counting_iteratorIjlEEPS9_SG_NS0_5tupleIJPjSI_NS0_16reverse_iteratorISI_EEEEENSH_IJSG_SG_SG_EEES9_SI_JZNS1_25segmented_radix_sort_implINS0_14default_configELb1EPK6__halfPSP_PKlPlN2at6native12_GLOBAL__N_18offset_tEEE10hipError_tPvRmT1_PNSt15iterator_traitsIS13_E10value_typeET2_T3_PNS14_IS19_E10value_typeET4_jRbjT5_S1F_jjP12ihipStream_tbEUljE_ZNSN_ISO_Lb1ESR_SS_SU_SV_SZ_EES10_S11_S12_S13_S17_S18_S19_S1C_S1D_jS1E_jS1F_S1F_jjS1H_bEUljE0_EEES10_S11_S12_S19_S1D_S1F_T6_T7_T9_mT8_S1H_bDpT10_ENKUlT_T0_E_clISt17integral_constantIbLb1EES1V_EEDaS1Q_S1R_EUlS1Q_E_NS1_11comp_targetILNS1_3genE9ELNS1_11target_archE1100ELNS1_3gpuE3ELNS1_3repE0EEENS1_30default_config_static_selectorELNS0_4arch9wavefront6targetE1EEEvS13_,"axG",@progbits,_ZN7rocprim17ROCPRIM_400000_NS6detail17trampoline_kernelINS0_13select_configILj256ELj13ELNS0_17block_load_methodE3ELS4_3ELS4_3ELNS0_20block_scan_algorithmE0ELj4294967295EEENS1_25partition_config_selectorILNS1_17partition_subalgoE4EjNS0_10empty_typeEbEEZZNS1_14partition_implILS8_4ELb0ES6_15HIP_vector_typeIjLj2EENS0_17counting_iteratorIjlEEPS9_SG_NS0_5tupleIJPjSI_NS0_16reverse_iteratorISI_EEEEENSH_IJSG_SG_SG_EEES9_SI_JZNS1_25segmented_radix_sort_implINS0_14default_configELb1EPK6__halfPSP_PKlPlN2at6native12_GLOBAL__N_18offset_tEEE10hipError_tPvRmT1_PNSt15iterator_traitsIS13_E10value_typeET2_T3_PNS14_IS19_E10value_typeET4_jRbjT5_S1F_jjP12ihipStream_tbEUljE_ZNSN_ISO_Lb1ESR_SS_SU_SV_SZ_EES10_S11_S12_S13_S17_S18_S19_S1C_S1D_jS1E_jS1F_S1F_jjS1H_bEUljE0_EEES10_S11_S12_S19_S1D_S1F_T6_T7_T9_mT8_S1H_bDpT10_ENKUlT_T0_E_clISt17integral_constantIbLb1EES1V_EEDaS1Q_S1R_EUlS1Q_E_NS1_11comp_targetILNS1_3genE9ELNS1_11target_archE1100ELNS1_3gpuE3ELNS1_3repE0EEENS1_30default_config_static_selectorELNS0_4arch9wavefront6targetE1EEEvS13_,comdat
	.globl	_ZN7rocprim17ROCPRIM_400000_NS6detail17trampoline_kernelINS0_13select_configILj256ELj13ELNS0_17block_load_methodE3ELS4_3ELS4_3ELNS0_20block_scan_algorithmE0ELj4294967295EEENS1_25partition_config_selectorILNS1_17partition_subalgoE4EjNS0_10empty_typeEbEEZZNS1_14partition_implILS8_4ELb0ES6_15HIP_vector_typeIjLj2EENS0_17counting_iteratorIjlEEPS9_SG_NS0_5tupleIJPjSI_NS0_16reverse_iteratorISI_EEEEENSH_IJSG_SG_SG_EEES9_SI_JZNS1_25segmented_radix_sort_implINS0_14default_configELb1EPK6__halfPSP_PKlPlN2at6native12_GLOBAL__N_18offset_tEEE10hipError_tPvRmT1_PNSt15iterator_traitsIS13_E10value_typeET2_T3_PNS14_IS19_E10value_typeET4_jRbjT5_S1F_jjP12ihipStream_tbEUljE_ZNSN_ISO_Lb1ESR_SS_SU_SV_SZ_EES10_S11_S12_S13_S17_S18_S19_S1C_S1D_jS1E_jS1F_S1F_jjS1H_bEUljE0_EEES10_S11_S12_S19_S1D_S1F_T6_T7_T9_mT8_S1H_bDpT10_ENKUlT_T0_E_clISt17integral_constantIbLb1EES1V_EEDaS1Q_S1R_EUlS1Q_E_NS1_11comp_targetILNS1_3genE9ELNS1_11target_archE1100ELNS1_3gpuE3ELNS1_3repE0EEENS1_30default_config_static_selectorELNS0_4arch9wavefront6targetE1EEEvS13_ ; -- Begin function _ZN7rocprim17ROCPRIM_400000_NS6detail17trampoline_kernelINS0_13select_configILj256ELj13ELNS0_17block_load_methodE3ELS4_3ELS4_3ELNS0_20block_scan_algorithmE0ELj4294967295EEENS1_25partition_config_selectorILNS1_17partition_subalgoE4EjNS0_10empty_typeEbEEZZNS1_14partition_implILS8_4ELb0ES6_15HIP_vector_typeIjLj2EENS0_17counting_iteratorIjlEEPS9_SG_NS0_5tupleIJPjSI_NS0_16reverse_iteratorISI_EEEEENSH_IJSG_SG_SG_EEES9_SI_JZNS1_25segmented_radix_sort_implINS0_14default_configELb1EPK6__halfPSP_PKlPlN2at6native12_GLOBAL__N_18offset_tEEE10hipError_tPvRmT1_PNSt15iterator_traitsIS13_E10value_typeET2_T3_PNS14_IS19_E10value_typeET4_jRbjT5_S1F_jjP12ihipStream_tbEUljE_ZNSN_ISO_Lb1ESR_SS_SU_SV_SZ_EES10_S11_S12_S13_S17_S18_S19_S1C_S1D_jS1E_jS1F_S1F_jjS1H_bEUljE0_EEES10_S11_S12_S19_S1D_S1F_T6_T7_T9_mT8_S1H_bDpT10_ENKUlT_T0_E_clISt17integral_constantIbLb1EES1V_EEDaS1Q_S1R_EUlS1Q_E_NS1_11comp_targetILNS1_3genE9ELNS1_11target_archE1100ELNS1_3gpuE3ELNS1_3repE0EEENS1_30default_config_static_selectorELNS0_4arch9wavefront6targetE1EEEvS13_
	.p2align	8
	.type	_ZN7rocprim17ROCPRIM_400000_NS6detail17trampoline_kernelINS0_13select_configILj256ELj13ELNS0_17block_load_methodE3ELS4_3ELS4_3ELNS0_20block_scan_algorithmE0ELj4294967295EEENS1_25partition_config_selectorILNS1_17partition_subalgoE4EjNS0_10empty_typeEbEEZZNS1_14partition_implILS8_4ELb0ES6_15HIP_vector_typeIjLj2EENS0_17counting_iteratorIjlEEPS9_SG_NS0_5tupleIJPjSI_NS0_16reverse_iteratorISI_EEEEENSH_IJSG_SG_SG_EEES9_SI_JZNS1_25segmented_radix_sort_implINS0_14default_configELb1EPK6__halfPSP_PKlPlN2at6native12_GLOBAL__N_18offset_tEEE10hipError_tPvRmT1_PNSt15iterator_traitsIS13_E10value_typeET2_T3_PNS14_IS19_E10value_typeET4_jRbjT5_S1F_jjP12ihipStream_tbEUljE_ZNSN_ISO_Lb1ESR_SS_SU_SV_SZ_EES10_S11_S12_S13_S17_S18_S19_S1C_S1D_jS1E_jS1F_S1F_jjS1H_bEUljE0_EEES10_S11_S12_S19_S1D_S1F_T6_T7_T9_mT8_S1H_bDpT10_ENKUlT_T0_E_clISt17integral_constantIbLb1EES1V_EEDaS1Q_S1R_EUlS1Q_E_NS1_11comp_targetILNS1_3genE9ELNS1_11target_archE1100ELNS1_3gpuE3ELNS1_3repE0EEENS1_30default_config_static_selectorELNS0_4arch9wavefront6targetE1EEEvS13_,@function
_ZN7rocprim17ROCPRIM_400000_NS6detail17trampoline_kernelINS0_13select_configILj256ELj13ELNS0_17block_load_methodE3ELS4_3ELS4_3ELNS0_20block_scan_algorithmE0ELj4294967295EEENS1_25partition_config_selectorILNS1_17partition_subalgoE4EjNS0_10empty_typeEbEEZZNS1_14partition_implILS8_4ELb0ES6_15HIP_vector_typeIjLj2EENS0_17counting_iteratorIjlEEPS9_SG_NS0_5tupleIJPjSI_NS0_16reverse_iteratorISI_EEEEENSH_IJSG_SG_SG_EEES9_SI_JZNS1_25segmented_radix_sort_implINS0_14default_configELb1EPK6__halfPSP_PKlPlN2at6native12_GLOBAL__N_18offset_tEEE10hipError_tPvRmT1_PNSt15iterator_traitsIS13_E10value_typeET2_T3_PNS14_IS19_E10value_typeET4_jRbjT5_S1F_jjP12ihipStream_tbEUljE_ZNSN_ISO_Lb1ESR_SS_SU_SV_SZ_EES10_S11_S12_S13_S17_S18_S19_S1C_S1D_jS1E_jS1F_S1F_jjS1H_bEUljE0_EEES10_S11_S12_S19_S1D_S1F_T6_T7_T9_mT8_S1H_bDpT10_ENKUlT_T0_E_clISt17integral_constantIbLb1EES1V_EEDaS1Q_S1R_EUlS1Q_E_NS1_11comp_targetILNS1_3genE9ELNS1_11target_archE1100ELNS1_3gpuE3ELNS1_3repE0EEENS1_30default_config_static_selectorELNS0_4arch9wavefront6targetE1EEEvS13_: ; @_ZN7rocprim17ROCPRIM_400000_NS6detail17trampoline_kernelINS0_13select_configILj256ELj13ELNS0_17block_load_methodE3ELS4_3ELS4_3ELNS0_20block_scan_algorithmE0ELj4294967295EEENS1_25partition_config_selectorILNS1_17partition_subalgoE4EjNS0_10empty_typeEbEEZZNS1_14partition_implILS8_4ELb0ES6_15HIP_vector_typeIjLj2EENS0_17counting_iteratorIjlEEPS9_SG_NS0_5tupleIJPjSI_NS0_16reverse_iteratorISI_EEEEENSH_IJSG_SG_SG_EEES9_SI_JZNS1_25segmented_radix_sort_implINS0_14default_configELb1EPK6__halfPSP_PKlPlN2at6native12_GLOBAL__N_18offset_tEEE10hipError_tPvRmT1_PNSt15iterator_traitsIS13_E10value_typeET2_T3_PNS14_IS19_E10value_typeET4_jRbjT5_S1F_jjP12ihipStream_tbEUljE_ZNSN_ISO_Lb1ESR_SS_SU_SV_SZ_EES10_S11_S12_S13_S17_S18_S19_S1C_S1D_jS1E_jS1F_S1F_jjS1H_bEUljE0_EEES10_S11_S12_S19_S1D_S1F_T6_T7_T9_mT8_S1H_bDpT10_ENKUlT_T0_E_clISt17integral_constantIbLb1EES1V_EEDaS1Q_S1R_EUlS1Q_E_NS1_11comp_targetILNS1_3genE9ELNS1_11target_archE1100ELNS1_3gpuE3ELNS1_3repE0EEENS1_30default_config_static_selectorELNS0_4arch9wavefront6targetE1EEEvS13_
; %bb.0:
	.section	.rodata,"a",@progbits
	.p2align	6, 0x0
	.amdhsa_kernel _ZN7rocprim17ROCPRIM_400000_NS6detail17trampoline_kernelINS0_13select_configILj256ELj13ELNS0_17block_load_methodE3ELS4_3ELS4_3ELNS0_20block_scan_algorithmE0ELj4294967295EEENS1_25partition_config_selectorILNS1_17partition_subalgoE4EjNS0_10empty_typeEbEEZZNS1_14partition_implILS8_4ELb0ES6_15HIP_vector_typeIjLj2EENS0_17counting_iteratorIjlEEPS9_SG_NS0_5tupleIJPjSI_NS0_16reverse_iteratorISI_EEEEENSH_IJSG_SG_SG_EEES9_SI_JZNS1_25segmented_radix_sort_implINS0_14default_configELb1EPK6__halfPSP_PKlPlN2at6native12_GLOBAL__N_18offset_tEEE10hipError_tPvRmT1_PNSt15iterator_traitsIS13_E10value_typeET2_T3_PNS14_IS19_E10value_typeET4_jRbjT5_S1F_jjP12ihipStream_tbEUljE_ZNSN_ISO_Lb1ESR_SS_SU_SV_SZ_EES10_S11_S12_S13_S17_S18_S19_S1C_S1D_jS1E_jS1F_S1F_jjS1H_bEUljE0_EEES10_S11_S12_S19_S1D_S1F_T6_T7_T9_mT8_S1H_bDpT10_ENKUlT_T0_E_clISt17integral_constantIbLb1EES1V_EEDaS1Q_S1R_EUlS1Q_E_NS1_11comp_targetILNS1_3genE9ELNS1_11target_archE1100ELNS1_3gpuE3ELNS1_3repE0EEENS1_30default_config_static_selectorELNS0_4arch9wavefront6targetE1EEEvS13_
		.amdhsa_group_segment_fixed_size 0
		.amdhsa_private_segment_fixed_size 0
		.amdhsa_kernarg_size 184
		.amdhsa_user_sgpr_count 6
		.amdhsa_user_sgpr_private_segment_buffer 1
		.amdhsa_user_sgpr_dispatch_ptr 0
		.amdhsa_user_sgpr_queue_ptr 0
		.amdhsa_user_sgpr_kernarg_segment_ptr 1
		.amdhsa_user_sgpr_dispatch_id 0
		.amdhsa_user_sgpr_flat_scratch_init 0
		.amdhsa_user_sgpr_private_segment_size 0
		.amdhsa_uses_dynamic_stack 0
		.amdhsa_system_sgpr_private_segment_wavefront_offset 0
		.amdhsa_system_sgpr_workgroup_id_x 1
		.amdhsa_system_sgpr_workgroup_id_y 0
		.amdhsa_system_sgpr_workgroup_id_z 0
		.amdhsa_system_sgpr_workgroup_info 0
		.amdhsa_system_vgpr_workitem_id 0
		.amdhsa_next_free_vgpr 1
		.amdhsa_next_free_sgpr 0
		.amdhsa_reserve_vcc 0
		.amdhsa_reserve_flat_scratch 0
		.amdhsa_float_round_mode_32 0
		.amdhsa_float_round_mode_16_64 0
		.amdhsa_float_denorm_mode_32 3
		.amdhsa_float_denorm_mode_16_64 3
		.amdhsa_dx10_clamp 1
		.amdhsa_ieee_mode 1
		.amdhsa_fp16_overflow 0
		.amdhsa_exception_fp_ieee_invalid_op 0
		.amdhsa_exception_fp_denorm_src 0
		.amdhsa_exception_fp_ieee_div_zero 0
		.amdhsa_exception_fp_ieee_overflow 0
		.amdhsa_exception_fp_ieee_underflow 0
		.amdhsa_exception_fp_ieee_inexact 0
		.amdhsa_exception_int_div_zero 0
	.end_amdhsa_kernel
	.section	.text._ZN7rocprim17ROCPRIM_400000_NS6detail17trampoline_kernelINS0_13select_configILj256ELj13ELNS0_17block_load_methodE3ELS4_3ELS4_3ELNS0_20block_scan_algorithmE0ELj4294967295EEENS1_25partition_config_selectorILNS1_17partition_subalgoE4EjNS0_10empty_typeEbEEZZNS1_14partition_implILS8_4ELb0ES6_15HIP_vector_typeIjLj2EENS0_17counting_iteratorIjlEEPS9_SG_NS0_5tupleIJPjSI_NS0_16reverse_iteratorISI_EEEEENSH_IJSG_SG_SG_EEES9_SI_JZNS1_25segmented_radix_sort_implINS0_14default_configELb1EPK6__halfPSP_PKlPlN2at6native12_GLOBAL__N_18offset_tEEE10hipError_tPvRmT1_PNSt15iterator_traitsIS13_E10value_typeET2_T3_PNS14_IS19_E10value_typeET4_jRbjT5_S1F_jjP12ihipStream_tbEUljE_ZNSN_ISO_Lb1ESR_SS_SU_SV_SZ_EES10_S11_S12_S13_S17_S18_S19_S1C_S1D_jS1E_jS1F_S1F_jjS1H_bEUljE0_EEES10_S11_S12_S19_S1D_S1F_T6_T7_T9_mT8_S1H_bDpT10_ENKUlT_T0_E_clISt17integral_constantIbLb1EES1V_EEDaS1Q_S1R_EUlS1Q_E_NS1_11comp_targetILNS1_3genE9ELNS1_11target_archE1100ELNS1_3gpuE3ELNS1_3repE0EEENS1_30default_config_static_selectorELNS0_4arch9wavefront6targetE1EEEvS13_,"axG",@progbits,_ZN7rocprim17ROCPRIM_400000_NS6detail17trampoline_kernelINS0_13select_configILj256ELj13ELNS0_17block_load_methodE3ELS4_3ELS4_3ELNS0_20block_scan_algorithmE0ELj4294967295EEENS1_25partition_config_selectorILNS1_17partition_subalgoE4EjNS0_10empty_typeEbEEZZNS1_14partition_implILS8_4ELb0ES6_15HIP_vector_typeIjLj2EENS0_17counting_iteratorIjlEEPS9_SG_NS0_5tupleIJPjSI_NS0_16reverse_iteratorISI_EEEEENSH_IJSG_SG_SG_EEES9_SI_JZNS1_25segmented_radix_sort_implINS0_14default_configELb1EPK6__halfPSP_PKlPlN2at6native12_GLOBAL__N_18offset_tEEE10hipError_tPvRmT1_PNSt15iterator_traitsIS13_E10value_typeET2_T3_PNS14_IS19_E10value_typeET4_jRbjT5_S1F_jjP12ihipStream_tbEUljE_ZNSN_ISO_Lb1ESR_SS_SU_SV_SZ_EES10_S11_S12_S13_S17_S18_S19_S1C_S1D_jS1E_jS1F_S1F_jjS1H_bEUljE0_EEES10_S11_S12_S19_S1D_S1F_T6_T7_T9_mT8_S1H_bDpT10_ENKUlT_T0_E_clISt17integral_constantIbLb1EES1V_EEDaS1Q_S1R_EUlS1Q_E_NS1_11comp_targetILNS1_3genE9ELNS1_11target_archE1100ELNS1_3gpuE3ELNS1_3repE0EEENS1_30default_config_static_selectorELNS0_4arch9wavefront6targetE1EEEvS13_,comdat
.Lfunc_end1689:
	.size	_ZN7rocprim17ROCPRIM_400000_NS6detail17trampoline_kernelINS0_13select_configILj256ELj13ELNS0_17block_load_methodE3ELS4_3ELS4_3ELNS0_20block_scan_algorithmE0ELj4294967295EEENS1_25partition_config_selectorILNS1_17partition_subalgoE4EjNS0_10empty_typeEbEEZZNS1_14partition_implILS8_4ELb0ES6_15HIP_vector_typeIjLj2EENS0_17counting_iteratorIjlEEPS9_SG_NS0_5tupleIJPjSI_NS0_16reverse_iteratorISI_EEEEENSH_IJSG_SG_SG_EEES9_SI_JZNS1_25segmented_radix_sort_implINS0_14default_configELb1EPK6__halfPSP_PKlPlN2at6native12_GLOBAL__N_18offset_tEEE10hipError_tPvRmT1_PNSt15iterator_traitsIS13_E10value_typeET2_T3_PNS14_IS19_E10value_typeET4_jRbjT5_S1F_jjP12ihipStream_tbEUljE_ZNSN_ISO_Lb1ESR_SS_SU_SV_SZ_EES10_S11_S12_S13_S17_S18_S19_S1C_S1D_jS1E_jS1F_S1F_jjS1H_bEUljE0_EEES10_S11_S12_S19_S1D_S1F_T6_T7_T9_mT8_S1H_bDpT10_ENKUlT_T0_E_clISt17integral_constantIbLb1EES1V_EEDaS1Q_S1R_EUlS1Q_E_NS1_11comp_targetILNS1_3genE9ELNS1_11target_archE1100ELNS1_3gpuE3ELNS1_3repE0EEENS1_30default_config_static_selectorELNS0_4arch9wavefront6targetE1EEEvS13_, .Lfunc_end1689-_ZN7rocprim17ROCPRIM_400000_NS6detail17trampoline_kernelINS0_13select_configILj256ELj13ELNS0_17block_load_methodE3ELS4_3ELS4_3ELNS0_20block_scan_algorithmE0ELj4294967295EEENS1_25partition_config_selectorILNS1_17partition_subalgoE4EjNS0_10empty_typeEbEEZZNS1_14partition_implILS8_4ELb0ES6_15HIP_vector_typeIjLj2EENS0_17counting_iteratorIjlEEPS9_SG_NS0_5tupleIJPjSI_NS0_16reverse_iteratorISI_EEEEENSH_IJSG_SG_SG_EEES9_SI_JZNS1_25segmented_radix_sort_implINS0_14default_configELb1EPK6__halfPSP_PKlPlN2at6native12_GLOBAL__N_18offset_tEEE10hipError_tPvRmT1_PNSt15iterator_traitsIS13_E10value_typeET2_T3_PNS14_IS19_E10value_typeET4_jRbjT5_S1F_jjP12ihipStream_tbEUljE_ZNSN_ISO_Lb1ESR_SS_SU_SV_SZ_EES10_S11_S12_S13_S17_S18_S19_S1C_S1D_jS1E_jS1F_S1F_jjS1H_bEUljE0_EEES10_S11_S12_S19_S1D_S1F_T6_T7_T9_mT8_S1H_bDpT10_ENKUlT_T0_E_clISt17integral_constantIbLb1EES1V_EEDaS1Q_S1R_EUlS1Q_E_NS1_11comp_targetILNS1_3genE9ELNS1_11target_archE1100ELNS1_3gpuE3ELNS1_3repE0EEENS1_30default_config_static_selectorELNS0_4arch9wavefront6targetE1EEEvS13_
                                        ; -- End function
	.set _ZN7rocprim17ROCPRIM_400000_NS6detail17trampoline_kernelINS0_13select_configILj256ELj13ELNS0_17block_load_methodE3ELS4_3ELS4_3ELNS0_20block_scan_algorithmE0ELj4294967295EEENS1_25partition_config_selectorILNS1_17partition_subalgoE4EjNS0_10empty_typeEbEEZZNS1_14partition_implILS8_4ELb0ES6_15HIP_vector_typeIjLj2EENS0_17counting_iteratorIjlEEPS9_SG_NS0_5tupleIJPjSI_NS0_16reverse_iteratorISI_EEEEENSH_IJSG_SG_SG_EEES9_SI_JZNS1_25segmented_radix_sort_implINS0_14default_configELb1EPK6__halfPSP_PKlPlN2at6native12_GLOBAL__N_18offset_tEEE10hipError_tPvRmT1_PNSt15iterator_traitsIS13_E10value_typeET2_T3_PNS14_IS19_E10value_typeET4_jRbjT5_S1F_jjP12ihipStream_tbEUljE_ZNSN_ISO_Lb1ESR_SS_SU_SV_SZ_EES10_S11_S12_S13_S17_S18_S19_S1C_S1D_jS1E_jS1F_S1F_jjS1H_bEUljE0_EEES10_S11_S12_S19_S1D_S1F_T6_T7_T9_mT8_S1H_bDpT10_ENKUlT_T0_E_clISt17integral_constantIbLb1EES1V_EEDaS1Q_S1R_EUlS1Q_E_NS1_11comp_targetILNS1_3genE9ELNS1_11target_archE1100ELNS1_3gpuE3ELNS1_3repE0EEENS1_30default_config_static_selectorELNS0_4arch9wavefront6targetE1EEEvS13_.num_vgpr, 0
	.set _ZN7rocprim17ROCPRIM_400000_NS6detail17trampoline_kernelINS0_13select_configILj256ELj13ELNS0_17block_load_methodE3ELS4_3ELS4_3ELNS0_20block_scan_algorithmE0ELj4294967295EEENS1_25partition_config_selectorILNS1_17partition_subalgoE4EjNS0_10empty_typeEbEEZZNS1_14partition_implILS8_4ELb0ES6_15HIP_vector_typeIjLj2EENS0_17counting_iteratorIjlEEPS9_SG_NS0_5tupleIJPjSI_NS0_16reverse_iteratorISI_EEEEENSH_IJSG_SG_SG_EEES9_SI_JZNS1_25segmented_radix_sort_implINS0_14default_configELb1EPK6__halfPSP_PKlPlN2at6native12_GLOBAL__N_18offset_tEEE10hipError_tPvRmT1_PNSt15iterator_traitsIS13_E10value_typeET2_T3_PNS14_IS19_E10value_typeET4_jRbjT5_S1F_jjP12ihipStream_tbEUljE_ZNSN_ISO_Lb1ESR_SS_SU_SV_SZ_EES10_S11_S12_S13_S17_S18_S19_S1C_S1D_jS1E_jS1F_S1F_jjS1H_bEUljE0_EEES10_S11_S12_S19_S1D_S1F_T6_T7_T9_mT8_S1H_bDpT10_ENKUlT_T0_E_clISt17integral_constantIbLb1EES1V_EEDaS1Q_S1R_EUlS1Q_E_NS1_11comp_targetILNS1_3genE9ELNS1_11target_archE1100ELNS1_3gpuE3ELNS1_3repE0EEENS1_30default_config_static_selectorELNS0_4arch9wavefront6targetE1EEEvS13_.num_agpr, 0
	.set _ZN7rocprim17ROCPRIM_400000_NS6detail17trampoline_kernelINS0_13select_configILj256ELj13ELNS0_17block_load_methodE3ELS4_3ELS4_3ELNS0_20block_scan_algorithmE0ELj4294967295EEENS1_25partition_config_selectorILNS1_17partition_subalgoE4EjNS0_10empty_typeEbEEZZNS1_14partition_implILS8_4ELb0ES6_15HIP_vector_typeIjLj2EENS0_17counting_iteratorIjlEEPS9_SG_NS0_5tupleIJPjSI_NS0_16reverse_iteratorISI_EEEEENSH_IJSG_SG_SG_EEES9_SI_JZNS1_25segmented_radix_sort_implINS0_14default_configELb1EPK6__halfPSP_PKlPlN2at6native12_GLOBAL__N_18offset_tEEE10hipError_tPvRmT1_PNSt15iterator_traitsIS13_E10value_typeET2_T3_PNS14_IS19_E10value_typeET4_jRbjT5_S1F_jjP12ihipStream_tbEUljE_ZNSN_ISO_Lb1ESR_SS_SU_SV_SZ_EES10_S11_S12_S13_S17_S18_S19_S1C_S1D_jS1E_jS1F_S1F_jjS1H_bEUljE0_EEES10_S11_S12_S19_S1D_S1F_T6_T7_T9_mT8_S1H_bDpT10_ENKUlT_T0_E_clISt17integral_constantIbLb1EES1V_EEDaS1Q_S1R_EUlS1Q_E_NS1_11comp_targetILNS1_3genE9ELNS1_11target_archE1100ELNS1_3gpuE3ELNS1_3repE0EEENS1_30default_config_static_selectorELNS0_4arch9wavefront6targetE1EEEvS13_.numbered_sgpr, 0
	.set _ZN7rocprim17ROCPRIM_400000_NS6detail17trampoline_kernelINS0_13select_configILj256ELj13ELNS0_17block_load_methodE3ELS4_3ELS4_3ELNS0_20block_scan_algorithmE0ELj4294967295EEENS1_25partition_config_selectorILNS1_17partition_subalgoE4EjNS0_10empty_typeEbEEZZNS1_14partition_implILS8_4ELb0ES6_15HIP_vector_typeIjLj2EENS0_17counting_iteratorIjlEEPS9_SG_NS0_5tupleIJPjSI_NS0_16reverse_iteratorISI_EEEEENSH_IJSG_SG_SG_EEES9_SI_JZNS1_25segmented_radix_sort_implINS0_14default_configELb1EPK6__halfPSP_PKlPlN2at6native12_GLOBAL__N_18offset_tEEE10hipError_tPvRmT1_PNSt15iterator_traitsIS13_E10value_typeET2_T3_PNS14_IS19_E10value_typeET4_jRbjT5_S1F_jjP12ihipStream_tbEUljE_ZNSN_ISO_Lb1ESR_SS_SU_SV_SZ_EES10_S11_S12_S13_S17_S18_S19_S1C_S1D_jS1E_jS1F_S1F_jjS1H_bEUljE0_EEES10_S11_S12_S19_S1D_S1F_T6_T7_T9_mT8_S1H_bDpT10_ENKUlT_T0_E_clISt17integral_constantIbLb1EES1V_EEDaS1Q_S1R_EUlS1Q_E_NS1_11comp_targetILNS1_3genE9ELNS1_11target_archE1100ELNS1_3gpuE3ELNS1_3repE0EEENS1_30default_config_static_selectorELNS0_4arch9wavefront6targetE1EEEvS13_.num_named_barrier, 0
	.set _ZN7rocprim17ROCPRIM_400000_NS6detail17trampoline_kernelINS0_13select_configILj256ELj13ELNS0_17block_load_methodE3ELS4_3ELS4_3ELNS0_20block_scan_algorithmE0ELj4294967295EEENS1_25partition_config_selectorILNS1_17partition_subalgoE4EjNS0_10empty_typeEbEEZZNS1_14partition_implILS8_4ELb0ES6_15HIP_vector_typeIjLj2EENS0_17counting_iteratorIjlEEPS9_SG_NS0_5tupleIJPjSI_NS0_16reverse_iteratorISI_EEEEENSH_IJSG_SG_SG_EEES9_SI_JZNS1_25segmented_radix_sort_implINS0_14default_configELb1EPK6__halfPSP_PKlPlN2at6native12_GLOBAL__N_18offset_tEEE10hipError_tPvRmT1_PNSt15iterator_traitsIS13_E10value_typeET2_T3_PNS14_IS19_E10value_typeET4_jRbjT5_S1F_jjP12ihipStream_tbEUljE_ZNSN_ISO_Lb1ESR_SS_SU_SV_SZ_EES10_S11_S12_S13_S17_S18_S19_S1C_S1D_jS1E_jS1F_S1F_jjS1H_bEUljE0_EEES10_S11_S12_S19_S1D_S1F_T6_T7_T9_mT8_S1H_bDpT10_ENKUlT_T0_E_clISt17integral_constantIbLb1EES1V_EEDaS1Q_S1R_EUlS1Q_E_NS1_11comp_targetILNS1_3genE9ELNS1_11target_archE1100ELNS1_3gpuE3ELNS1_3repE0EEENS1_30default_config_static_selectorELNS0_4arch9wavefront6targetE1EEEvS13_.private_seg_size, 0
	.set _ZN7rocprim17ROCPRIM_400000_NS6detail17trampoline_kernelINS0_13select_configILj256ELj13ELNS0_17block_load_methodE3ELS4_3ELS4_3ELNS0_20block_scan_algorithmE0ELj4294967295EEENS1_25partition_config_selectorILNS1_17partition_subalgoE4EjNS0_10empty_typeEbEEZZNS1_14partition_implILS8_4ELb0ES6_15HIP_vector_typeIjLj2EENS0_17counting_iteratorIjlEEPS9_SG_NS0_5tupleIJPjSI_NS0_16reverse_iteratorISI_EEEEENSH_IJSG_SG_SG_EEES9_SI_JZNS1_25segmented_radix_sort_implINS0_14default_configELb1EPK6__halfPSP_PKlPlN2at6native12_GLOBAL__N_18offset_tEEE10hipError_tPvRmT1_PNSt15iterator_traitsIS13_E10value_typeET2_T3_PNS14_IS19_E10value_typeET4_jRbjT5_S1F_jjP12ihipStream_tbEUljE_ZNSN_ISO_Lb1ESR_SS_SU_SV_SZ_EES10_S11_S12_S13_S17_S18_S19_S1C_S1D_jS1E_jS1F_S1F_jjS1H_bEUljE0_EEES10_S11_S12_S19_S1D_S1F_T6_T7_T9_mT8_S1H_bDpT10_ENKUlT_T0_E_clISt17integral_constantIbLb1EES1V_EEDaS1Q_S1R_EUlS1Q_E_NS1_11comp_targetILNS1_3genE9ELNS1_11target_archE1100ELNS1_3gpuE3ELNS1_3repE0EEENS1_30default_config_static_selectorELNS0_4arch9wavefront6targetE1EEEvS13_.uses_vcc, 0
	.set _ZN7rocprim17ROCPRIM_400000_NS6detail17trampoline_kernelINS0_13select_configILj256ELj13ELNS0_17block_load_methodE3ELS4_3ELS4_3ELNS0_20block_scan_algorithmE0ELj4294967295EEENS1_25partition_config_selectorILNS1_17partition_subalgoE4EjNS0_10empty_typeEbEEZZNS1_14partition_implILS8_4ELb0ES6_15HIP_vector_typeIjLj2EENS0_17counting_iteratorIjlEEPS9_SG_NS0_5tupleIJPjSI_NS0_16reverse_iteratorISI_EEEEENSH_IJSG_SG_SG_EEES9_SI_JZNS1_25segmented_radix_sort_implINS0_14default_configELb1EPK6__halfPSP_PKlPlN2at6native12_GLOBAL__N_18offset_tEEE10hipError_tPvRmT1_PNSt15iterator_traitsIS13_E10value_typeET2_T3_PNS14_IS19_E10value_typeET4_jRbjT5_S1F_jjP12ihipStream_tbEUljE_ZNSN_ISO_Lb1ESR_SS_SU_SV_SZ_EES10_S11_S12_S13_S17_S18_S19_S1C_S1D_jS1E_jS1F_S1F_jjS1H_bEUljE0_EEES10_S11_S12_S19_S1D_S1F_T6_T7_T9_mT8_S1H_bDpT10_ENKUlT_T0_E_clISt17integral_constantIbLb1EES1V_EEDaS1Q_S1R_EUlS1Q_E_NS1_11comp_targetILNS1_3genE9ELNS1_11target_archE1100ELNS1_3gpuE3ELNS1_3repE0EEENS1_30default_config_static_selectorELNS0_4arch9wavefront6targetE1EEEvS13_.uses_flat_scratch, 0
	.set _ZN7rocprim17ROCPRIM_400000_NS6detail17trampoline_kernelINS0_13select_configILj256ELj13ELNS0_17block_load_methodE3ELS4_3ELS4_3ELNS0_20block_scan_algorithmE0ELj4294967295EEENS1_25partition_config_selectorILNS1_17partition_subalgoE4EjNS0_10empty_typeEbEEZZNS1_14partition_implILS8_4ELb0ES6_15HIP_vector_typeIjLj2EENS0_17counting_iteratorIjlEEPS9_SG_NS0_5tupleIJPjSI_NS0_16reverse_iteratorISI_EEEEENSH_IJSG_SG_SG_EEES9_SI_JZNS1_25segmented_radix_sort_implINS0_14default_configELb1EPK6__halfPSP_PKlPlN2at6native12_GLOBAL__N_18offset_tEEE10hipError_tPvRmT1_PNSt15iterator_traitsIS13_E10value_typeET2_T3_PNS14_IS19_E10value_typeET4_jRbjT5_S1F_jjP12ihipStream_tbEUljE_ZNSN_ISO_Lb1ESR_SS_SU_SV_SZ_EES10_S11_S12_S13_S17_S18_S19_S1C_S1D_jS1E_jS1F_S1F_jjS1H_bEUljE0_EEES10_S11_S12_S19_S1D_S1F_T6_T7_T9_mT8_S1H_bDpT10_ENKUlT_T0_E_clISt17integral_constantIbLb1EES1V_EEDaS1Q_S1R_EUlS1Q_E_NS1_11comp_targetILNS1_3genE9ELNS1_11target_archE1100ELNS1_3gpuE3ELNS1_3repE0EEENS1_30default_config_static_selectorELNS0_4arch9wavefront6targetE1EEEvS13_.has_dyn_sized_stack, 0
	.set _ZN7rocprim17ROCPRIM_400000_NS6detail17trampoline_kernelINS0_13select_configILj256ELj13ELNS0_17block_load_methodE3ELS4_3ELS4_3ELNS0_20block_scan_algorithmE0ELj4294967295EEENS1_25partition_config_selectorILNS1_17partition_subalgoE4EjNS0_10empty_typeEbEEZZNS1_14partition_implILS8_4ELb0ES6_15HIP_vector_typeIjLj2EENS0_17counting_iteratorIjlEEPS9_SG_NS0_5tupleIJPjSI_NS0_16reverse_iteratorISI_EEEEENSH_IJSG_SG_SG_EEES9_SI_JZNS1_25segmented_radix_sort_implINS0_14default_configELb1EPK6__halfPSP_PKlPlN2at6native12_GLOBAL__N_18offset_tEEE10hipError_tPvRmT1_PNSt15iterator_traitsIS13_E10value_typeET2_T3_PNS14_IS19_E10value_typeET4_jRbjT5_S1F_jjP12ihipStream_tbEUljE_ZNSN_ISO_Lb1ESR_SS_SU_SV_SZ_EES10_S11_S12_S13_S17_S18_S19_S1C_S1D_jS1E_jS1F_S1F_jjS1H_bEUljE0_EEES10_S11_S12_S19_S1D_S1F_T6_T7_T9_mT8_S1H_bDpT10_ENKUlT_T0_E_clISt17integral_constantIbLb1EES1V_EEDaS1Q_S1R_EUlS1Q_E_NS1_11comp_targetILNS1_3genE9ELNS1_11target_archE1100ELNS1_3gpuE3ELNS1_3repE0EEENS1_30default_config_static_selectorELNS0_4arch9wavefront6targetE1EEEvS13_.has_recursion, 0
	.set _ZN7rocprim17ROCPRIM_400000_NS6detail17trampoline_kernelINS0_13select_configILj256ELj13ELNS0_17block_load_methodE3ELS4_3ELS4_3ELNS0_20block_scan_algorithmE0ELj4294967295EEENS1_25partition_config_selectorILNS1_17partition_subalgoE4EjNS0_10empty_typeEbEEZZNS1_14partition_implILS8_4ELb0ES6_15HIP_vector_typeIjLj2EENS0_17counting_iteratorIjlEEPS9_SG_NS0_5tupleIJPjSI_NS0_16reverse_iteratorISI_EEEEENSH_IJSG_SG_SG_EEES9_SI_JZNS1_25segmented_radix_sort_implINS0_14default_configELb1EPK6__halfPSP_PKlPlN2at6native12_GLOBAL__N_18offset_tEEE10hipError_tPvRmT1_PNSt15iterator_traitsIS13_E10value_typeET2_T3_PNS14_IS19_E10value_typeET4_jRbjT5_S1F_jjP12ihipStream_tbEUljE_ZNSN_ISO_Lb1ESR_SS_SU_SV_SZ_EES10_S11_S12_S13_S17_S18_S19_S1C_S1D_jS1E_jS1F_S1F_jjS1H_bEUljE0_EEES10_S11_S12_S19_S1D_S1F_T6_T7_T9_mT8_S1H_bDpT10_ENKUlT_T0_E_clISt17integral_constantIbLb1EES1V_EEDaS1Q_S1R_EUlS1Q_E_NS1_11comp_targetILNS1_3genE9ELNS1_11target_archE1100ELNS1_3gpuE3ELNS1_3repE0EEENS1_30default_config_static_selectorELNS0_4arch9wavefront6targetE1EEEvS13_.has_indirect_call, 0
	.section	.AMDGPU.csdata,"",@progbits
; Kernel info:
; codeLenInByte = 0
; TotalNumSgprs: 4
; NumVgprs: 0
; ScratchSize: 0
; MemoryBound: 0
; FloatMode: 240
; IeeeMode: 1
; LDSByteSize: 0 bytes/workgroup (compile time only)
; SGPRBlocks: 0
; VGPRBlocks: 0
; NumSGPRsForWavesPerEU: 4
; NumVGPRsForWavesPerEU: 1
; Occupancy: 10
; WaveLimiterHint : 0
; COMPUTE_PGM_RSRC2:SCRATCH_EN: 0
; COMPUTE_PGM_RSRC2:USER_SGPR: 6
; COMPUTE_PGM_RSRC2:TRAP_HANDLER: 0
; COMPUTE_PGM_RSRC2:TGID_X_EN: 1
; COMPUTE_PGM_RSRC2:TGID_Y_EN: 0
; COMPUTE_PGM_RSRC2:TGID_Z_EN: 0
; COMPUTE_PGM_RSRC2:TIDIG_COMP_CNT: 0
	.section	.text._ZN7rocprim17ROCPRIM_400000_NS6detail17trampoline_kernelINS0_13select_configILj256ELj13ELNS0_17block_load_methodE3ELS4_3ELS4_3ELNS0_20block_scan_algorithmE0ELj4294967295EEENS1_25partition_config_selectorILNS1_17partition_subalgoE4EjNS0_10empty_typeEbEEZZNS1_14partition_implILS8_4ELb0ES6_15HIP_vector_typeIjLj2EENS0_17counting_iteratorIjlEEPS9_SG_NS0_5tupleIJPjSI_NS0_16reverse_iteratorISI_EEEEENSH_IJSG_SG_SG_EEES9_SI_JZNS1_25segmented_radix_sort_implINS0_14default_configELb1EPK6__halfPSP_PKlPlN2at6native12_GLOBAL__N_18offset_tEEE10hipError_tPvRmT1_PNSt15iterator_traitsIS13_E10value_typeET2_T3_PNS14_IS19_E10value_typeET4_jRbjT5_S1F_jjP12ihipStream_tbEUljE_ZNSN_ISO_Lb1ESR_SS_SU_SV_SZ_EES10_S11_S12_S13_S17_S18_S19_S1C_S1D_jS1E_jS1F_S1F_jjS1H_bEUljE0_EEES10_S11_S12_S19_S1D_S1F_T6_T7_T9_mT8_S1H_bDpT10_ENKUlT_T0_E_clISt17integral_constantIbLb1EES1V_EEDaS1Q_S1R_EUlS1Q_E_NS1_11comp_targetILNS1_3genE8ELNS1_11target_archE1030ELNS1_3gpuE2ELNS1_3repE0EEENS1_30default_config_static_selectorELNS0_4arch9wavefront6targetE1EEEvS13_,"axG",@progbits,_ZN7rocprim17ROCPRIM_400000_NS6detail17trampoline_kernelINS0_13select_configILj256ELj13ELNS0_17block_load_methodE3ELS4_3ELS4_3ELNS0_20block_scan_algorithmE0ELj4294967295EEENS1_25partition_config_selectorILNS1_17partition_subalgoE4EjNS0_10empty_typeEbEEZZNS1_14partition_implILS8_4ELb0ES6_15HIP_vector_typeIjLj2EENS0_17counting_iteratorIjlEEPS9_SG_NS0_5tupleIJPjSI_NS0_16reverse_iteratorISI_EEEEENSH_IJSG_SG_SG_EEES9_SI_JZNS1_25segmented_radix_sort_implINS0_14default_configELb1EPK6__halfPSP_PKlPlN2at6native12_GLOBAL__N_18offset_tEEE10hipError_tPvRmT1_PNSt15iterator_traitsIS13_E10value_typeET2_T3_PNS14_IS19_E10value_typeET4_jRbjT5_S1F_jjP12ihipStream_tbEUljE_ZNSN_ISO_Lb1ESR_SS_SU_SV_SZ_EES10_S11_S12_S13_S17_S18_S19_S1C_S1D_jS1E_jS1F_S1F_jjS1H_bEUljE0_EEES10_S11_S12_S19_S1D_S1F_T6_T7_T9_mT8_S1H_bDpT10_ENKUlT_T0_E_clISt17integral_constantIbLb1EES1V_EEDaS1Q_S1R_EUlS1Q_E_NS1_11comp_targetILNS1_3genE8ELNS1_11target_archE1030ELNS1_3gpuE2ELNS1_3repE0EEENS1_30default_config_static_selectorELNS0_4arch9wavefront6targetE1EEEvS13_,comdat
	.globl	_ZN7rocprim17ROCPRIM_400000_NS6detail17trampoline_kernelINS0_13select_configILj256ELj13ELNS0_17block_load_methodE3ELS4_3ELS4_3ELNS0_20block_scan_algorithmE0ELj4294967295EEENS1_25partition_config_selectorILNS1_17partition_subalgoE4EjNS0_10empty_typeEbEEZZNS1_14partition_implILS8_4ELb0ES6_15HIP_vector_typeIjLj2EENS0_17counting_iteratorIjlEEPS9_SG_NS0_5tupleIJPjSI_NS0_16reverse_iteratorISI_EEEEENSH_IJSG_SG_SG_EEES9_SI_JZNS1_25segmented_radix_sort_implINS0_14default_configELb1EPK6__halfPSP_PKlPlN2at6native12_GLOBAL__N_18offset_tEEE10hipError_tPvRmT1_PNSt15iterator_traitsIS13_E10value_typeET2_T3_PNS14_IS19_E10value_typeET4_jRbjT5_S1F_jjP12ihipStream_tbEUljE_ZNSN_ISO_Lb1ESR_SS_SU_SV_SZ_EES10_S11_S12_S13_S17_S18_S19_S1C_S1D_jS1E_jS1F_S1F_jjS1H_bEUljE0_EEES10_S11_S12_S19_S1D_S1F_T6_T7_T9_mT8_S1H_bDpT10_ENKUlT_T0_E_clISt17integral_constantIbLb1EES1V_EEDaS1Q_S1R_EUlS1Q_E_NS1_11comp_targetILNS1_3genE8ELNS1_11target_archE1030ELNS1_3gpuE2ELNS1_3repE0EEENS1_30default_config_static_selectorELNS0_4arch9wavefront6targetE1EEEvS13_ ; -- Begin function _ZN7rocprim17ROCPRIM_400000_NS6detail17trampoline_kernelINS0_13select_configILj256ELj13ELNS0_17block_load_methodE3ELS4_3ELS4_3ELNS0_20block_scan_algorithmE0ELj4294967295EEENS1_25partition_config_selectorILNS1_17partition_subalgoE4EjNS0_10empty_typeEbEEZZNS1_14partition_implILS8_4ELb0ES6_15HIP_vector_typeIjLj2EENS0_17counting_iteratorIjlEEPS9_SG_NS0_5tupleIJPjSI_NS0_16reverse_iteratorISI_EEEEENSH_IJSG_SG_SG_EEES9_SI_JZNS1_25segmented_radix_sort_implINS0_14default_configELb1EPK6__halfPSP_PKlPlN2at6native12_GLOBAL__N_18offset_tEEE10hipError_tPvRmT1_PNSt15iterator_traitsIS13_E10value_typeET2_T3_PNS14_IS19_E10value_typeET4_jRbjT5_S1F_jjP12ihipStream_tbEUljE_ZNSN_ISO_Lb1ESR_SS_SU_SV_SZ_EES10_S11_S12_S13_S17_S18_S19_S1C_S1D_jS1E_jS1F_S1F_jjS1H_bEUljE0_EEES10_S11_S12_S19_S1D_S1F_T6_T7_T9_mT8_S1H_bDpT10_ENKUlT_T0_E_clISt17integral_constantIbLb1EES1V_EEDaS1Q_S1R_EUlS1Q_E_NS1_11comp_targetILNS1_3genE8ELNS1_11target_archE1030ELNS1_3gpuE2ELNS1_3repE0EEENS1_30default_config_static_selectorELNS0_4arch9wavefront6targetE1EEEvS13_
	.p2align	8
	.type	_ZN7rocprim17ROCPRIM_400000_NS6detail17trampoline_kernelINS0_13select_configILj256ELj13ELNS0_17block_load_methodE3ELS4_3ELS4_3ELNS0_20block_scan_algorithmE0ELj4294967295EEENS1_25partition_config_selectorILNS1_17partition_subalgoE4EjNS0_10empty_typeEbEEZZNS1_14partition_implILS8_4ELb0ES6_15HIP_vector_typeIjLj2EENS0_17counting_iteratorIjlEEPS9_SG_NS0_5tupleIJPjSI_NS0_16reverse_iteratorISI_EEEEENSH_IJSG_SG_SG_EEES9_SI_JZNS1_25segmented_radix_sort_implINS0_14default_configELb1EPK6__halfPSP_PKlPlN2at6native12_GLOBAL__N_18offset_tEEE10hipError_tPvRmT1_PNSt15iterator_traitsIS13_E10value_typeET2_T3_PNS14_IS19_E10value_typeET4_jRbjT5_S1F_jjP12ihipStream_tbEUljE_ZNSN_ISO_Lb1ESR_SS_SU_SV_SZ_EES10_S11_S12_S13_S17_S18_S19_S1C_S1D_jS1E_jS1F_S1F_jjS1H_bEUljE0_EEES10_S11_S12_S19_S1D_S1F_T6_T7_T9_mT8_S1H_bDpT10_ENKUlT_T0_E_clISt17integral_constantIbLb1EES1V_EEDaS1Q_S1R_EUlS1Q_E_NS1_11comp_targetILNS1_3genE8ELNS1_11target_archE1030ELNS1_3gpuE2ELNS1_3repE0EEENS1_30default_config_static_selectorELNS0_4arch9wavefront6targetE1EEEvS13_,@function
_ZN7rocprim17ROCPRIM_400000_NS6detail17trampoline_kernelINS0_13select_configILj256ELj13ELNS0_17block_load_methodE3ELS4_3ELS4_3ELNS0_20block_scan_algorithmE0ELj4294967295EEENS1_25partition_config_selectorILNS1_17partition_subalgoE4EjNS0_10empty_typeEbEEZZNS1_14partition_implILS8_4ELb0ES6_15HIP_vector_typeIjLj2EENS0_17counting_iteratorIjlEEPS9_SG_NS0_5tupleIJPjSI_NS0_16reverse_iteratorISI_EEEEENSH_IJSG_SG_SG_EEES9_SI_JZNS1_25segmented_radix_sort_implINS0_14default_configELb1EPK6__halfPSP_PKlPlN2at6native12_GLOBAL__N_18offset_tEEE10hipError_tPvRmT1_PNSt15iterator_traitsIS13_E10value_typeET2_T3_PNS14_IS19_E10value_typeET4_jRbjT5_S1F_jjP12ihipStream_tbEUljE_ZNSN_ISO_Lb1ESR_SS_SU_SV_SZ_EES10_S11_S12_S13_S17_S18_S19_S1C_S1D_jS1E_jS1F_S1F_jjS1H_bEUljE0_EEES10_S11_S12_S19_S1D_S1F_T6_T7_T9_mT8_S1H_bDpT10_ENKUlT_T0_E_clISt17integral_constantIbLb1EES1V_EEDaS1Q_S1R_EUlS1Q_E_NS1_11comp_targetILNS1_3genE8ELNS1_11target_archE1030ELNS1_3gpuE2ELNS1_3repE0EEENS1_30default_config_static_selectorELNS0_4arch9wavefront6targetE1EEEvS13_: ; @_ZN7rocprim17ROCPRIM_400000_NS6detail17trampoline_kernelINS0_13select_configILj256ELj13ELNS0_17block_load_methodE3ELS4_3ELS4_3ELNS0_20block_scan_algorithmE0ELj4294967295EEENS1_25partition_config_selectorILNS1_17partition_subalgoE4EjNS0_10empty_typeEbEEZZNS1_14partition_implILS8_4ELb0ES6_15HIP_vector_typeIjLj2EENS0_17counting_iteratorIjlEEPS9_SG_NS0_5tupleIJPjSI_NS0_16reverse_iteratorISI_EEEEENSH_IJSG_SG_SG_EEES9_SI_JZNS1_25segmented_radix_sort_implINS0_14default_configELb1EPK6__halfPSP_PKlPlN2at6native12_GLOBAL__N_18offset_tEEE10hipError_tPvRmT1_PNSt15iterator_traitsIS13_E10value_typeET2_T3_PNS14_IS19_E10value_typeET4_jRbjT5_S1F_jjP12ihipStream_tbEUljE_ZNSN_ISO_Lb1ESR_SS_SU_SV_SZ_EES10_S11_S12_S13_S17_S18_S19_S1C_S1D_jS1E_jS1F_S1F_jjS1H_bEUljE0_EEES10_S11_S12_S19_S1D_S1F_T6_T7_T9_mT8_S1H_bDpT10_ENKUlT_T0_E_clISt17integral_constantIbLb1EES1V_EEDaS1Q_S1R_EUlS1Q_E_NS1_11comp_targetILNS1_3genE8ELNS1_11target_archE1030ELNS1_3gpuE2ELNS1_3repE0EEENS1_30default_config_static_selectorELNS0_4arch9wavefront6targetE1EEEvS13_
; %bb.0:
	.section	.rodata,"a",@progbits
	.p2align	6, 0x0
	.amdhsa_kernel _ZN7rocprim17ROCPRIM_400000_NS6detail17trampoline_kernelINS0_13select_configILj256ELj13ELNS0_17block_load_methodE3ELS4_3ELS4_3ELNS0_20block_scan_algorithmE0ELj4294967295EEENS1_25partition_config_selectorILNS1_17partition_subalgoE4EjNS0_10empty_typeEbEEZZNS1_14partition_implILS8_4ELb0ES6_15HIP_vector_typeIjLj2EENS0_17counting_iteratorIjlEEPS9_SG_NS0_5tupleIJPjSI_NS0_16reverse_iteratorISI_EEEEENSH_IJSG_SG_SG_EEES9_SI_JZNS1_25segmented_radix_sort_implINS0_14default_configELb1EPK6__halfPSP_PKlPlN2at6native12_GLOBAL__N_18offset_tEEE10hipError_tPvRmT1_PNSt15iterator_traitsIS13_E10value_typeET2_T3_PNS14_IS19_E10value_typeET4_jRbjT5_S1F_jjP12ihipStream_tbEUljE_ZNSN_ISO_Lb1ESR_SS_SU_SV_SZ_EES10_S11_S12_S13_S17_S18_S19_S1C_S1D_jS1E_jS1F_S1F_jjS1H_bEUljE0_EEES10_S11_S12_S19_S1D_S1F_T6_T7_T9_mT8_S1H_bDpT10_ENKUlT_T0_E_clISt17integral_constantIbLb1EES1V_EEDaS1Q_S1R_EUlS1Q_E_NS1_11comp_targetILNS1_3genE8ELNS1_11target_archE1030ELNS1_3gpuE2ELNS1_3repE0EEENS1_30default_config_static_selectorELNS0_4arch9wavefront6targetE1EEEvS13_
		.amdhsa_group_segment_fixed_size 0
		.amdhsa_private_segment_fixed_size 0
		.amdhsa_kernarg_size 184
		.amdhsa_user_sgpr_count 6
		.amdhsa_user_sgpr_private_segment_buffer 1
		.amdhsa_user_sgpr_dispatch_ptr 0
		.amdhsa_user_sgpr_queue_ptr 0
		.amdhsa_user_sgpr_kernarg_segment_ptr 1
		.amdhsa_user_sgpr_dispatch_id 0
		.amdhsa_user_sgpr_flat_scratch_init 0
		.amdhsa_user_sgpr_private_segment_size 0
		.amdhsa_uses_dynamic_stack 0
		.amdhsa_system_sgpr_private_segment_wavefront_offset 0
		.amdhsa_system_sgpr_workgroup_id_x 1
		.amdhsa_system_sgpr_workgroup_id_y 0
		.amdhsa_system_sgpr_workgroup_id_z 0
		.amdhsa_system_sgpr_workgroup_info 0
		.amdhsa_system_vgpr_workitem_id 0
		.amdhsa_next_free_vgpr 1
		.amdhsa_next_free_sgpr 0
		.amdhsa_reserve_vcc 0
		.amdhsa_reserve_flat_scratch 0
		.amdhsa_float_round_mode_32 0
		.amdhsa_float_round_mode_16_64 0
		.amdhsa_float_denorm_mode_32 3
		.amdhsa_float_denorm_mode_16_64 3
		.amdhsa_dx10_clamp 1
		.amdhsa_ieee_mode 1
		.amdhsa_fp16_overflow 0
		.amdhsa_exception_fp_ieee_invalid_op 0
		.amdhsa_exception_fp_denorm_src 0
		.amdhsa_exception_fp_ieee_div_zero 0
		.amdhsa_exception_fp_ieee_overflow 0
		.amdhsa_exception_fp_ieee_underflow 0
		.amdhsa_exception_fp_ieee_inexact 0
		.amdhsa_exception_int_div_zero 0
	.end_amdhsa_kernel
	.section	.text._ZN7rocprim17ROCPRIM_400000_NS6detail17trampoline_kernelINS0_13select_configILj256ELj13ELNS0_17block_load_methodE3ELS4_3ELS4_3ELNS0_20block_scan_algorithmE0ELj4294967295EEENS1_25partition_config_selectorILNS1_17partition_subalgoE4EjNS0_10empty_typeEbEEZZNS1_14partition_implILS8_4ELb0ES6_15HIP_vector_typeIjLj2EENS0_17counting_iteratorIjlEEPS9_SG_NS0_5tupleIJPjSI_NS0_16reverse_iteratorISI_EEEEENSH_IJSG_SG_SG_EEES9_SI_JZNS1_25segmented_radix_sort_implINS0_14default_configELb1EPK6__halfPSP_PKlPlN2at6native12_GLOBAL__N_18offset_tEEE10hipError_tPvRmT1_PNSt15iterator_traitsIS13_E10value_typeET2_T3_PNS14_IS19_E10value_typeET4_jRbjT5_S1F_jjP12ihipStream_tbEUljE_ZNSN_ISO_Lb1ESR_SS_SU_SV_SZ_EES10_S11_S12_S13_S17_S18_S19_S1C_S1D_jS1E_jS1F_S1F_jjS1H_bEUljE0_EEES10_S11_S12_S19_S1D_S1F_T6_T7_T9_mT8_S1H_bDpT10_ENKUlT_T0_E_clISt17integral_constantIbLb1EES1V_EEDaS1Q_S1R_EUlS1Q_E_NS1_11comp_targetILNS1_3genE8ELNS1_11target_archE1030ELNS1_3gpuE2ELNS1_3repE0EEENS1_30default_config_static_selectorELNS0_4arch9wavefront6targetE1EEEvS13_,"axG",@progbits,_ZN7rocprim17ROCPRIM_400000_NS6detail17trampoline_kernelINS0_13select_configILj256ELj13ELNS0_17block_load_methodE3ELS4_3ELS4_3ELNS0_20block_scan_algorithmE0ELj4294967295EEENS1_25partition_config_selectorILNS1_17partition_subalgoE4EjNS0_10empty_typeEbEEZZNS1_14partition_implILS8_4ELb0ES6_15HIP_vector_typeIjLj2EENS0_17counting_iteratorIjlEEPS9_SG_NS0_5tupleIJPjSI_NS0_16reverse_iteratorISI_EEEEENSH_IJSG_SG_SG_EEES9_SI_JZNS1_25segmented_radix_sort_implINS0_14default_configELb1EPK6__halfPSP_PKlPlN2at6native12_GLOBAL__N_18offset_tEEE10hipError_tPvRmT1_PNSt15iterator_traitsIS13_E10value_typeET2_T3_PNS14_IS19_E10value_typeET4_jRbjT5_S1F_jjP12ihipStream_tbEUljE_ZNSN_ISO_Lb1ESR_SS_SU_SV_SZ_EES10_S11_S12_S13_S17_S18_S19_S1C_S1D_jS1E_jS1F_S1F_jjS1H_bEUljE0_EEES10_S11_S12_S19_S1D_S1F_T6_T7_T9_mT8_S1H_bDpT10_ENKUlT_T0_E_clISt17integral_constantIbLb1EES1V_EEDaS1Q_S1R_EUlS1Q_E_NS1_11comp_targetILNS1_3genE8ELNS1_11target_archE1030ELNS1_3gpuE2ELNS1_3repE0EEENS1_30default_config_static_selectorELNS0_4arch9wavefront6targetE1EEEvS13_,comdat
.Lfunc_end1690:
	.size	_ZN7rocprim17ROCPRIM_400000_NS6detail17trampoline_kernelINS0_13select_configILj256ELj13ELNS0_17block_load_methodE3ELS4_3ELS4_3ELNS0_20block_scan_algorithmE0ELj4294967295EEENS1_25partition_config_selectorILNS1_17partition_subalgoE4EjNS0_10empty_typeEbEEZZNS1_14partition_implILS8_4ELb0ES6_15HIP_vector_typeIjLj2EENS0_17counting_iteratorIjlEEPS9_SG_NS0_5tupleIJPjSI_NS0_16reverse_iteratorISI_EEEEENSH_IJSG_SG_SG_EEES9_SI_JZNS1_25segmented_radix_sort_implINS0_14default_configELb1EPK6__halfPSP_PKlPlN2at6native12_GLOBAL__N_18offset_tEEE10hipError_tPvRmT1_PNSt15iterator_traitsIS13_E10value_typeET2_T3_PNS14_IS19_E10value_typeET4_jRbjT5_S1F_jjP12ihipStream_tbEUljE_ZNSN_ISO_Lb1ESR_SS_SU_SV_SZ_EES10_S11_S12_S13_S17_S18_S19_S1C_S1D_jS1E_jS1F_S1F_jjS1H_bEUljE0_EEES10_S11_S12_S19_S1D_S1F_T6_T7_T9_mT8_S1H_bDpT10_ENKUlT_T0_E_clISt17integral_constantIbLb1EES1V_EEDaS1Q_S1R_EUlS1Q_E_NS1_11comp_targetILNS1_3genE8ELNS1_11target_archE1030ELNS1_3gpuE2ELNS1_3repE0EEENS1_30default_config_static_selectorELNS0_4arch9wavefront6targetE1EEEvS13_, .Lfunc_end1690-_ZN7rocprim17ROCPRIM_400000_NS6detail17trampoline_kernelINS0_13select_configILj256ELj13ELNS0_17block_load_methodE3ELS4_3ELS4_3ELNS0_20block_scan_algorithmE0ELj4294967295EEENS1_25partition_config_selectorILNS1_17partition_subalgoE4EjNS0_10empty_typeEbEEZZNS1_14partition_implILS8_4ELb0ES6_15HIP_vector_typeIjLj2EENS0_17counting_iteratorIjlEEPS9_SG_NS0_5tupleIJPjSI_NS0_16reverse_iteratorISI_EEEEENSH_IJSG_SG_SG_EEES9_SI_JZNS1_25segmented_radix_sort_implINS0_14default_configELb1EPK6__halfPSP_PKlPlN2at6native12_GLOBAL__N_18offset_tEEE10hipError_tPvRmT1_PNSt15iterator_traitsIS13_E10value_typeET2_T3_PNS14_IS19_E10value_typeET4_jRbjT5_S1F_jjP12ihipStream_tbEUljE_ZNSN_ISO_Lb1ESR_SS_SU_SV_SZ_EES10_S11_S12_S13_S17_S18_S19_S1C_S1D_jS1E_jS1F_S1F_jjS1H_bEUljE0_EEES10_S11_S12_S19_S1D_S1F_T6_T7_T9_mT8_S1H_bDpT10_ENKUlT_T0_E_clISt17integral_constantIbLb1EES1V_EEDaS1Q_S1R_EUlS1Q_E_NS1_11comp_targetILNS1_3genE8ELNS1_11target_archE1030ELNS1_3gpuE2ELNS1_3repE0EEENS1_30default_config_static_selectorELNS0_4arch9wavefront6targetE1EEEvS13_
                                        ; -- End function
	.set _ZN7rocprim17ROCPRIM_400000_NS6detail17trampoline_kernelINS0_13select_configILj256ELj13ELNS0_17block_load_methodE3ELS4_3ELS4_3ELNS0_20block_scan_algorithmE0ELj4294967295EEENS1_25partition_config_selectorILNS1_17partition_subalgoE4EjNS0_10empty_typeEbEEZZNS1_14partition_implILS8_4ELb0ES6_15HIP_vector_typeIjLj2EENS0_17counting_iteratorIjlEEPS9_SG_NS0_5tupleIJPjSI_NS0_16reverse_iteratorISI_EEEEENSH_IJSG_SG_SG_EEES9_SI_JZNS1_25segmented_radix_sort_implINS0_14default_configELb1EPK6__halfPSP_PKlPlN2at6native12_GLOBAL__N_18offset_tEEE10hipError_tPvRmT1_PNSt15iterator_traitsIS13_E10value_typeET2_T3_PNS14_IS19_E10value_typeET4_jRbjT5_S1F_jjP12ihipStream_tbEUljE_ZNSN_ISO_Lb1ESR_SS_SU_SV_SZ_EES10_S11_S12_S13_S17_S18_S19_S1C_S1D_jS1E_jS1F_S1F_jjS1H_bEUljE0_EEES10_S11_S12_S19_S1D_S1F_T6_T7_T9_mT8_S1H_bDpT10_ENKUlT_T0_E_clISt17integral_constantIbLb1EES1V_EEDaS1Q_S1R_EUlS1Q_E_NS1_11comp_targetILNS1_3genE8ELNS1_11target_archE1030ELNS1_3gpuE2ELNS1_3repE0EEENS1_30default_config_static_selectorELNS0_4arch9wavefront6targetE1EEEvS13_.num_vgpr, 0
	.set _ZN7rocprim17ROCPRIM_400000_NS6detail17trampoline_kernelINS0_13select_configILj256ELj13ELNS0_17block_load_methodE3ELS4_3ELS4_3ELNS0_20block_scan_algorithmE0ELj4294967295EEENS1_25partition_config_selectorILNS1_17partition_subalgoE4EjNS0_10empty_typeEbEEZZNS1_14partition_implILS8_4ELb0ES6_15HIP_vector_typeIjLj2EENS0_17counting_iteratorIjlEEPS9_SG_NS0_5tupleIJPjSI_NS0_16reverse_iteratorISI_EEEEENSH_IJSG_SG_SG_EEES9_SI_JZNS1_25segmented_radix_sort_implINS0_14default_configELb1EPK6__halfPSP_PKlPlN2at6native12_GLOBAL__N_18offset_tEEE10hipError_tPvRmT1_PNSt15iterator_traitsIS13_E10value_typeET2_T3_PNS14_IS19_E10value_typeET4_jRbjT5_S1F_jjP12ihipStream_tbEUljE_ZNSN_ISO_Lb1ESR_SS_SU_SV_SZ_EES10_S11_S12_S13_S17_S18_S19_S1C_S1D_jS1E_jS1F_S1F_jjS1H_bEUljE0_EEES10_S11_S12_S19_S1D_S1F_T6_T7_T9_mT8_S1H_bDpT10_ENKUlT_T0_E_clISt17integral_constantIbLb1EES1V_EEDaS1Q_S1R_EUlS1Q_E_NS1_11comp_targetILNS1_3genE8ELNS1_11target_archE1030ELNS1_3gpuE2ELNS1_3repE0EEENS1_30default_config_static_selectorELNS0_4arch9wavefront6targetE1EEEvS13_.num_agpr, 0
	.set _ZN7rocprim17ROCPRIM_400000_NS6detail17trampoline_kernelINS0_13select_configILj256ELj13ELNS0_17block_load_methodE3ELS4_3ELS4_3ELNS0_20block_scan_algorithmE0ELj4294967295EEENS1_25partition_config_selectorILNS1_17partition_subalgoE4EjNS0_10empty_typeEbEEZZNS1_14partition_implILS8_4ELb0ES6_15HIP_vector_typeIjLj2EENS0_17counting_iteratorIjlEEPS9_SG_NS0_5tupleIJPjSI_NS0_16reverse_iteratorISI_EEEEENSH_IJSG_SG_SG_EEES9_SI_JZNS1_25segmented_radix_sort_implINS0_14default_configELb1EPK6__halfPSP_PKlPlN2at6native12_GLOBAL__N_18offset_tEEE10hipError_tPvRmT1_PNSt15iterator_traitsIS13_E10value_typeET2_T3_PNS14_IS19_E10value_typeET4_jRbjT5_S1F_jjP12ihipStream_tbEUljE_ZNSN_ISO_Lb1ESR_SS_SU_SV_SZ_EES10_S11_S12_S13_S17_S18_S19_S1C_S1D_jS1E_jS1F_S1F_jjS1H_bEUljE0_EEES10_S11_S12_S19_S1D_S1F_T6_T7_T9_mT8_S1H_bDpT10_ENKUlT_T0_E_clISt17integral_constantIbLb1EES1V_EEDaS1Q_S1R_EUlS1Q_E_NS1_11comp_targetILNS1_3genE8ELNS1_11target_archE1030ELNS1_3gpuE2ELNS1_3repE0EEENS1_30default_config_static_selectorELNS0_4arch9wavefront6targetE1EEEvS13_.numbered_sgpr, 0
	.set _ZN7rocprim17ROCPRIM_400000_NS6detail17trampoline_kernelINS0_13select_configILj256ELj13ELNS0_17block_load_methodE3ELS4_3ELS4_3ELNS0_20block_scan_algorithmE0ELj4294967295EEENS1_25partition_config_selectorILNS1_17partition_subalgoE4EjNS0_10empty_typeEbEEZZNS1_14partition_implILS8_4ELb0ES6_15HIP_vector_typeIjLj2EENS0_17counting_iteratorIjlEEPS9_SG_NS0_5tupleIJPjSI_NS0_16reverse_iteratorISI_EEEEENSH_IJSG_SG_SG_EEES9_SI_JZNS1_25segmented_radix_sort_implINS0_14default_configELb1EPK6__halfPSP_PKlPlN2at6native12_GLOBAL__N_18offset_tEEE10hipError_tPvRmT1_PNSt15iterator_traitsIS13_E10value_typeET2_T3_PNS14_IS19_E10value_typeET4_jRbjT5_S1F_jjP12ihipStream_tbEUljE_ZNSN_ISO_Lb1ESR_SS_SU_SV_SZ_EES10_S11_S12_S13_S17_S18_S19_S1C_S1D_jS1E_jS1F_S1F_jjS1H_bEUljE0_EEES10_S11_S12_S19_S1D_S1F_T6_T7_T9_mT8_S1H_bDpT10_ENKUlT_T0_E_clISt17integral_constantIbLb1EES1V_EEDaS1Q_S1R_EUlS1Q_E_NS1_11comp_targetILNS1_3genE8ELNS1_11target_archE1030ELNS1_3gpuE2ELNS1_3repE0EEENS1_30default_config_static_selectorELNS0_4arch9wavefront6targetE1EEEvS13_.num_named_barrier, 0
	.set _ZN7rocprim17ROCPRIM_400000_NS6detail17trampoline_kernelINS0_13select_configILj256ELj13ELNS0_17block_load_methodE3ELS4_3ELS4_3ELNS0_20block_scan_algorithmE0ELj4294967295EEENS1_25partition_config_selectorILNS1_17partition_subalgoE4EjNS0_10empty_typeEbEEZZNS1_14partition_implILS8_4ELb0ES6_15HIP_vector_typeIjLj2EENS0_17counting_iteratorIjlEEPS9_SG_NS0_5tupleIJPjSI_NS0_16reverse_iteratorISI_EEEEENSH_IJSG_SG_SG_EEES9_SI_JZNS1_25segmented_radix_sort_implINS0_14default_configELb1EPK6__halfPSP_PKlPlN2at6native12_GLOBAL__N_18offset_tEEE10hipError_tPvRmT1_PNSt15iterator_traitsIS13_E10value_typeET2_T3_PNS14_IS19_E10value_typeET4_jRbjT5_S1F_jjP12ihipStream_tbEUljE_ZNSN_ISO_Lb1ESR_SS_SU_SV_SZ_EES10_S11_S12_S13_S17_S18_S19_S1C_S1D_jS1E_jS1F_S1F_jjS1H_bEUljE0_EEES10_S11_S12_S19_S1D_S1F_T6_T7_T9_mT8_S1H_bDpT10_ENKUlT_T0_E_clISt17integral_constantIbLb1EES1V_EEDaS1Q_S1R_EUlS1Q_E_NS1_11comp_targetILNS1_3genE8ELNS1_11target_archE1030ELNS1_3gpuE2ELNS1_3repE0EEENS1_30default_config_static_selectorELNS0_4arch9wavefront6targetE1EEEvS13_.private_seg_size, 0
	.set _ZN7rocprim17ROCPRIM_400000_NS6detail17trampoline_kernelINS0_13select_configILj256ELj13ELNS0_17block_load_methodE3ELS4_3ELS4_3ELNS0_20block_scan_algorithmE0ELj4294967295EEENS1_25partition_config_selectorILNS1_17partition_subalgoE4EjNS0_10empty_typeEbEEZZNS1_14partition_implILS8_4ELb0ES6_15HIP_vector_typeIjLj2EENS0_17counting_iteratorIjlEEPS9_SG_NS0_5tupleIJPjSI_NS0_16reverse_iteratorISI_EEEEENSH_IJSG_SG_SG_EEES9_SI_JZNS1_25segmented_radix_sort_implINS0_14default_configELb1EPK6__halfPSP_PKlPlN2at6native12_GLOBAL__N_18offset_tEEE10hipError_tPvRmT1_PNSt15iterator_traitsIS13_E10value_typeET2_T3_PNS14_IS19_E10value_typeET4_jRbjT5_S1F_jjP12ihipStream_tbEUljE_ZNSN_ISO_Lb1ESR_SS_SU_SV_SZ_EES10_S11_S12_S13_S17_S18_S19_S1C_S1D_jS1E_jS1F_S1F_jjS1H_bEUljE0_EEES10_S11_S12_S19_S1D_S1F_T6_T7_T9_mT8_S1H_bDpT10_ENKUlT_T0_E_clISt17integral_constantIbLb1EES1V_EEDaS1Q_S1R_EUlS1Q_E_NS1_11comp_targetILNS1_3genE8ELNS1_11target_archE1030ELNS1_3gpuE2ELNS1_3repE0EEENS1_30default_config_static_selectorELNS0_4arch9wavefront6targetE1EEEvS13_.uses_vcc, 0
	.set _ZN7rocprim17ROCPRIM_400000_NS6detail17trampoline_kernelINS0_13select_configILj256ELj13ELNS0_17block_load_methodE3ELS4_3ELS4_3ELNS0_20block_scan_algorithmE0ELj4294967295EEENS1_25partition_config_selectorILNS1_17partition_subalgoE4EjNS0_10empty_typeEbEEZZNS1_14partition_implILS8_4ELb0ES6_15HIP_vector_typeIjLj2EENS0_17counting_iteratorIjlEEPS9_SG_NS0_5tupleIJPjSI_NS0_16reverse_iteratorISI_EEEEENSH_IJSG_SG_SG_EEES9_SI_JZNS1_25segmented_radix_sort_implINS0_14default_configELb1EPK6__halfPSP_PKlPlN2at6native12_GLOBAL__N_18offset_tEEE10hipError_tPvRmT1_PNSt15iterator_traitsIS13_E10value_typeET2_T3_PNS14_IS19_E10value_typeET4_jRbjT5_S1F_jjP12ihipStream_tbEUljE_ZNSN_ISO_Lb1ESR_SS_SU_SV_SZ_EES10_S11_S12_S13_S17_S18_S19_S1C_S1D_jS1E_jS1F_S1F_jjS1H_bEUljE0_EEES10_S11_S12_S19_S1D_S1F_T6_T7_T9_mT8_S1H_bDpT10_ENKUlT_T0_E_clISt17integral_constantIbLb1EES1V_EEDaS1Q_S1R_EUlS1Q_E_NS1_11comp_targetILNS1_3genE8ELNS1_11target_archE1030ELNS1_3gpuE2ELNS1_3repE0EEENS1_30default_config_static_selectorELNS0_4arch9wavefront6targetE1EEEvS13_.uses_flat_scratch, 0
	.set _ZN7rocprim17ROCPRIM_400000_NS6detail17trampoline_kernelINS0_13select_configILj256ELj13ELNS0_17block_load_methodE3ELS4_3ELS4_3ELNS0_20block_scan_algorithmE0ELj4294967295EEENS1_25partition_config_selectorILNS1_17partition_subalgoE4EjNS0_10empty_typeEbEEZZNS1_14partition_implILS8_4ELb0ES6_15HIP_vector_typeIjLj2EENS0_17counting_iteratorIjlEEPS9_SG_NS0_5tupleIJPjSI_NS0_16reverse_iteratorISI_EEEEENSH_IJSG_SG_SG_EEES9_SI_JZNS1_25segmented_radix_sort_implINS0_14default_configELb1EPK6__halfPSP_PKlPlN2at6native12_GLOBAL__N_18offset_tEEE10hipError_tPvRmT1_PNSt15iterator_traitsIS13_E10value_typeET2_T3_PNS14_IS19_E10value_typeET4_jRbjT5_S1F_jjP12ihipStream_tbEUljE_ZNSN_ISO_Lb1ESR_SS_SU_SV_SZ_EES10_S11_S12_S13_S17_S18_S19_S1C_S1D_jS1E_jS1F_S1F_jjS1H_bEUljE0_EEES10_S11_S12_S19_S1D_S1F_T6_T7_T9_mT8_S1H_bDpT10_ENKUlT_T0_E_clISt17integral_constantIbLb1EES1V_EEDaS1Q_S1R_EUlS1Q_E_NS1_11comp_targetILNS1_3genE8ELNS1_11target_archE1030ELNS1_3gpuE2ELNS1_3repE0EEENS1_30default_config_static_selectorELNS0_4arch9wavefront6targetE1EEEvS13_.has_dyn_sized_stack, 0
	.set _ZN7rocprim17ROCPRIM_400000_NS6detail17trampoline_kernelINS0_13select_configILj256ELj13ELNS0_17block_load_methodE3ELS4_3ELS4_3ELNS0_20block_scan_algorithmE0ELj4294967295EEENS1_25partition_config_selectorILNS1_17partition_subalgoE4EjNS0_10empty_typeEbEEZZNS1_14partition_implILS8_4ELb0ES6_15HIP_vector_typeIjLj2EENS0_17counting_iteratorIjlEEPS9_SG_NS0_5tupleIJPjSI_NS0_16reverse_iteratorISI_EEEEENSH_IJSG_SG_SG_EEES9_SI_JZNS1_25segmented_radix_sort_implINS0_14default_configELb1EPK6__halfPSP_PKlPlN2at6native12_GLOBAL__N_18offset_tEEE10hipError_tPvRmT1_PNSt15iterator_traitsIS13_E10value_typeET2_T3_PNS14_IS19_E10value_typeET4_jRbjT5_S1F_jjP12ihipStream_tbEUljE_ZNSN_ISO_Lb1ESR_SS_SU_SV_SZ_EES10_S11_S12_S13_S17_S18_S19_S1C_S1D_jS1E_jS1F_S1F_jjS1H_bEUljE0_EEES10_S11_S12_S19_S1D_S1F_T6_T7_T9_mT8_S1H_bDpT10_ENKUlT_T0_E_clISt17integral_constantIbLb1EES1V_EEDaS1Q_S1R_EUlS1Q_E_NS1_11comp_targetILNS1_3genE8ELNS1_11target_archE1030ELNS1_3gpuE2ELNS1_3repE0EEENS1_30default_config_static_selectorELNS0_4arch9wavefront6targetE1EEEvS13_.has_recursion, 0
	.set _ZN7rocprim17ROCPRIM_400000_NS6detail17trampoline_kernelINS0_13select_configILj256ELj13ELNS0_17block_load_methodE3ELS4_3ELS4_3ELNS0_20block_scan_algorithmE0ELj4294967295EEENS1_25partition_config_selectorILNS1_17partition_subalgoE4EjNS0_10empty_typeEbEEZZNS1_14partition_implILS8_4ELb0ES6_15HIP_vector_typeIjLj2EENS0_17counting_iteratorIjlEEPS9_SG_NS0_5tupleIJPjSI_NS0_16reverse_iteratorISI_EEEEENSH_IJSG_SG_SG_EEES9_SI_JZNS1_25segmented_radix_sort_implINS0_14default_configELb1EPK6__halfPSP_PKlPlN2at6native12_GLOBAL__N_18offset_tEEE10hipError_tPvRmT1_PNSt15iterator_traitsIS13_E10value_typeET2_T3_PNS14_IS19_E10value_typeET4_jRbjT5_S1F_jjP12ihipStream_tbEUljE_ZNSN_ISO_Lb1ESR_SS_SU_SV_SZ_EES10_S11_S12_S13_S17_S18_S19_S1C_S1D_jS1E_jS1F_S1F_jjS1H_bEUljE0_EEES10_S11_S12_S19_S1D_S1F_T6_T7_T9_mT8_S1H_bDpT10_ENKUlT_T0_E_clISt17integral_constantIbLb1EES1V_EEDaS1Q_S1R_EUlS1Q_E_NS1_11comp_targetILNS1_3genE8ELNS1_11target_archE1030ELNS1_3gpuE2ELNS1_3repE0EEENS1_30default_config_static_selectorELNS0_4arch9wavefront6targetE1EEEvS13_.has_indirect_call, 0
	.section	.AMDGPU.csdata,"",@progbits
; Kernel info:
; codeLenInByte = 0
; TotalNumSgprs: 4
; NumVgprs: 0
; ScratchSize: 0
; MemoryBound: 0
; FloatMode: 240
; IeeeMode: 1
; LDSByteSize: 0 bytes/workgroup (compile time only)
; SGPRBlocks: 0
; VGPRBlocks: 0
; NumSGPRsForWavesPerEU: 4
; NumVGPRsForWavesPerEU: 1
; Occupancy: 10
; WaveLimiterHint : 0
; COMPUTE_PGM_RSRC2:SCRATCH_EN: 0
; COMPUTE_PGM_RSRC2:USER_SGPR: 6
; COMPUTE_PGM_RSRC2:TRAP_HANDLER: 0
; COMPUTE_PGM_RSRC2:TGID_X_EN: 1
; COMPUTE_PGM_RSRC2:TGID_Y_EN: 0
; COMPUTE_PGM_RSRC2:TGID_Z_EN: 0
; COMPUTE_PGM_RSRC2:TIDIG_COMP_CNT: 0
	.section	.text._ZN7rocprim17ROCPRIM_400000_NS6detail17trampoline_kernelINS0_13select_configILj256ELj13ELNS0_17block_load_methodE3ELS4_3ELS4_3ELNS0_20block_scan_algorithmE0ELj4294967295EEENS1_25partition_config_selectorILNS1_17partition_subalgoE4EjNS0_10empty_typeEbEEZZNS1_14partition_implILS8_4ELb0ES6_15HIP_vector_typeIjLj2EENS0_17counting_iteratorIjlEEPS9_SG_NS0_5tupleIJPjSI_NS0_16reverse_iteratorISI_EEEEENSH_IJSG_SG_SG_EEES9_SI_JZNS1_25segmented_radix_sort_implINS0_14default_configELb1EPK6__halfPSP_PKlPlN2at6native12_GLOBAL__N_18offset_tEEE10hipError_tPvRmT1_PNSt15iterator_traitsIS13_E10value_typeET2_T3_PNS14_IS19_E10value_typeET4_jRbjT5_S1F_jjP12ihipStream_tbEUljE_ZNSN_ISO_Lb1ESR_SS_SU_SV_SZ_EES10_S11_S12_S13_S17_S18_S19_S1C_S1D_jS1E_jS1F_S1F_jjS1H_bEUljE0_EEES10_S11_S12_S19_S1D_S1F_T6_T7_T9_mT8_S1H_bDpT10_ENKUlT_T0_E_clISt17integral_constantIbLb1EES1U_IbLb0EEEEDaS1Q_S1R_EUlS1Q_E_NS1_11comp_targetILNS1_3genE0ELNS1_11target_archE4294967295ELNS1_3gpuE0ELNS1_3repE0EEENS1_30default_config_static_selectorELNS0_4arch9wavefront6targetE1EEEvS13_,"axG",@progbits,_ZN7rocprim17ROCPRIM_400000_NS6detail17trampoline_kernelINS0_13select_configILj256ELj13ELNS0_17block_load_methodE3ELS4_3ELS4_3ELNS0_20block_scan_algorithmE0ELj4294967295EEENS1_25partition_config_selectorILNS1_17partition_subalgoE4EjNS0_10empty_typeEbEEZZNS1_14partition_implILS8_4ELb0ES6_15HIP_vector_typeIjLj2EENS0_17counting_iteratorIjlEEPS9_SG_NS0_5tupleIJPjSI_NS0_16reverse_iteratorISI_EEEEENSH_IJSG_SG_SG_EEES9_SI_JZNS1_25segmented_radix_sort_implINS0_14default_configELb1EPK6__halfPSP_PKlPlN2at6native12_GLOBAL__N_18offset_tEEE10hipError_tPvRmT1_PNSt15iterator_traitsIS13_E10value_typeET2_T3_PNS14_IS19_E10value_typeET4_jRbjT5_S1F_jjP12ihipStream_tbEUljE_ZNSN_ISO_Lb1ESR_SS_SU_SV_SZ_EES10_S11_S12_S13_S17_S18_S19_S1C_S1D_jS1E_jS1F_S1F_jjS1H_bEUljE0_EEES10_S11_S12_S19_S1D_S1F_T6_T7_T9_mT8_S1H_bDpT10_ENKUlT_T0_E_clISt17integral_constantIbLb1EES1U_IbLb0EEEEDaS1Q_S1R_EUlS1Q_E_NS1_11comp_targetILNS1_3genE0ELNS1_11target_archE4294967295ELNS1_3gpuE0ELNS1_3repE0EEENS1_30default_config_static_selectorELNS0_4arch9wavefront6targetE1EEEvS13_,comdat
	.globl	_ZN7rocprim17ROCPRIM_400000_NS6detail17trampoline_kernelINS0_13select_configILj256ELj13ELNS0_17block_load_methodE3ELS4_3ELS4_3ELNS0_20block_scan_algorithmE0ELj4294967295EEENS1_25partition_config_selectorILNS1_17partition_subalgoE4EjNS0_10empty_typeEbEEZZNS1_14partition_implILS8_4ELb0ES6_15HIP_vector_typeIjLj2EENS0_17counting_iteratorIjlEEPS9_SG_NS0_5tupleIJPjSI_NS0_16reverse_iteratorISI_EEEEENSH_IJSG_SG_SG_EEES9_SI_JZNS1_25segmented_radix_sort_implINS0_14default_configELb1EPK6__halfPSP_PKlPlN2at6native12_GLOBAL__N_18offset_tEEE10hipError_tPvRmT1_PNSt15iterator_traitsIS13_E10value_typeET2_T3_PNS14_IS19_E10value_typeET4_jRbjT5_S1F_jjP12ihipStream_tbEUljE_ZNSN_ISO_Lb1ESR_SS_SU_SV_SZ_EES10_S11_S12_S13_S17_S18_S19_S1C_S1D_jS1E_jS1F_S1F_jjS1H_bEUljE0_EEES10_S11_S12_S19_S1D_S1F_T6_T7_T9_mT8_S1H_bDpT10_ENKUlT_T0_E_clISt17integral_constantIbLb1EES1U_IbLb0EEEEDaS1Q_S1R_EUlS1Q_E_NS1_11comp_targetILNS1_3genE0ELNS1_11target_archE4294967295ELNS1_3gpuE0ELNS1_3repE0EEENS1_30default_config_static_selectorELNS0_4arch9wavefront6targetE1EEEvS13_ ; -- Begin function _ZN7rocprim17ROCPRIM_400000_NS6detail17trampoline_kernelINS0_13select_configILj256ELj13ELNS0_17block_load_methodE3ELS4_3ELS4_3ELNS0_20block_scan_algorithmE0ELj4294967295EEENS1_25partition_config_selectorILNS1_17partition_subalgoE4EjNS0_10empty_typeEbEEZZNS1_14partition_implILS8_4ELb0ES6_15HIP_vector_typeIjLj2EENS0_17counting_iteratorIjlEEPS9_SG_NS0_5tupleIJPjSI_NS0_16reverse_iteratorISI_EEEEENSH_IJSG_SG_SG_EEES9_SI_JZNS1_25segmented_radix_sort_implINS0_14default_configELb1EPK6__halfPSP_PKlPlN2at6native12_GLOBAL__N_18offset_tEEE10hipError_tPvRmT1_PNSt15iterator_traitsIS13_E10value_typeET2_T3_PNS14_IS19_E10value_typeET4_jRbjT5_S1F_jjP12ihipStream_tbEUljE_ZNSN_ISO_Lb1ESR_SS_SU_SV_SZ_EES10_S11_S12_S13_S17_S18_S19_S1C_S1D_jS1E_jS1F_S1F_jjS1H_bEUljE0_EEES10_S11_S12_S19_S1D_S1F_T6_T7_T9_mT8_S1H_bDpT10_ENKUlT_T0_E_clISt17integral_constantIbLb1EES1U_IbLb0EEEEDaS1Q_S1R_EUlS1Q_E_NS1_11comp_targetILNS1_3genE0ELNS1_11target_archE4294967295ELNS1_3gpuE0ELNS1_3repE0EEENS1_30default_config_static_selectorELNS0_4arch9wavefront6targetE1EEEvS13_
	.p2align	8
	.type	_ZN7rocprim17ROCPRIM_400000_NS6detail17trampoline_kernelINS0_13select_configILj256ELj13ELNS0_17block_load_methodE3ELS4_3ELS4_3ELNS0_20block_scan_algorithmE0ELj4294967295EEENS1_25partition_config_selectorILNS1_17partition_subalgoE4EjNS0_10empty_typeEbEEZZNS1_14partition_implILS8_4ELb0ES6_15HIP_vector_typeIjLj2EENS0_17counting_iteratorIjlEEPS9_SG_NS0_5tupleIJPjSI_NS0_16reverse_iteratorISI_EEEEENSH_IJSG_SG_SG_EEES9_SI_JZNS1_25segmented_radix_sort_implINS0_14default_configELb1EPK6__halfPSP_PKlPlN2at6native12_GLOBAL__N_18offset_tEEE10hipError_tPvRmT1_PNSt15iterator_traitsIS13_E10value_typeET2_T3_PNS14_IS19_E10value_typeET4_jRbjT5_S1F_jjP12ihipStream_tbEUljE_ZNSN_ISO_Lb1ESR_SS_SU_SV_SZ_EES10_S11_S12_S13_S17_S18_S19_S1C_S1D_jS1E_jS1F_S1F_jjS1H_bEUljE0_EEES10_S11_S12_S19_S1D_S1F_T6_T7_T9_mT8_S1H_bDpT10_ENKUlT_T0_E_clISt17integral_constantIbLb1EES1U_IbLb0EEEEDaS1Q_S1R_EUlS1Q_E_NS1_11comp_targetILNS1_3genE0ELNS1_11target_archE4294967295ELNS1_3gpuE0ELNS1_3repE0EEENS1_30default_config_static_selectorELNS0_4arch9wavefront6targetE1EEEvS13_,@function
_ZN7rocprim17ROCPRIM_400000_NS6detail17trampoline_kernelINS0_13select_configILj256ELj13ELNS0_17block_load_methodE3ELS4_3ELS4_3ELNS0_20block_scan_algorithmE0ELj4294967295EEENS1_25partition_config_selectorILNS1_17partition_subalgoE4EjNS0_10empty_typeEbEEZZNS1_14partition_implILS8_4ELb0ES6_15HIP_vector_typeIjLj2EENS0_17counting_iteratorIjlEEPS9_SG_NS0_5tupleIJPjSI_NS0_16reverse_iteratorISI_EEEEENSH_IJSG_SG_SG_EEES9_SI_JZNS1_25segmented_radix_sort_implINS0_14default_configELb1EPK6__halfPSP_PKlPlN2at6native12_GLOBAL__N_18offset_tEEE10hipError_tPvRmT1_PNSt15iterator_traitsIS13_E10value_typeET2_T3_PNS14_IS19_E10value_typeET4_jRbjT5_S1F_jjP12ihipStream_tbEUljE_ZNSN_ISO_Lb1ESR_SS_SU_SV_SZ_EES10_S11_S12_S13_S17_S18_S19_S1C_S1D_jS1E_jS1F_S1F_jjS1H_bEUljE0_EEES10_S11_S12_S19_S1D_S1F_T6_T7_T9_mT8_S1H_bDpT10_ENKUlT_T0_E_clISt17integral_constantIbLb1EES1U_IbLb0EEEEDaS1Q_S1R_EUlS1Q_E_NS1_11comp_targetILNS1_3genE0ELNS1_11target_archE4294967295ELNS1_3gpuE0ELNS1_3repE0EEENS1_30default_config_static_selectorELNS0_4arch9wavefront6targetE1EEEvS13_: ; @_ZN7rocprim17ROCPRIM_400000_NS6detail17trampoline_kernelINS0_13select_configILj256ELj13ELNS0_17block_load_methodE3ELS4_3ELS4_3ELNS0_20block_scan_algorithmE0ELj4294967295EEENS1_25partition_config_selectorILNS1_17partition_subalgoE4EjNS0_10empty_typeEbEEZZNS1_14partition_implILS8_4ELb0ES6_15HIP_vector_typeIjLj2EENS0_17counting_iteratorIjlEEPS9_SG_NS0_5tupleIJPjSI_NS0_16reverse_iteratorISI_EEEEENSH_IJSG_SG_SG_EEES9_SI_JZNS1_25segmented_radix_sort_implINS0_14default_configELb1EPK6__halfPSP_PKlPlN2at6native12_GLOBAL__N_18offset_tEEE10hipError_tPvRmT1_PNSt15iterator_traitsIS13_E10value_typeET2_T3_PNS14_IS19_E10value_typeET4_jRbjT5_S1F_jjP12ihipStream_tbEUljE_ZNSN_ISO_Lb1ESR_SS_SU_SV_SZ_EES10_S11_S12_S13_S17_S18_S19_S1C_S1D_jS1E_jS1F_S1F_jjS1H_bEUljE0_EEES10_S11_S12_S19_S1D_S1F_T6_T7_T9_mT8_S1H_bDpT10_ENKUlT_T0_E_clISt17integral_constantIbLb1EES1U_IbLb0EEEEDaS1Q_S1R_EUlS1Q_E_NS1_11comp_targetILNS1_3genE0ELNS1_11target_archE4294967295ELNS1_3gpuE0ELNS1_3repE0EEENS1_30default_config_static_selectorELNS0_4arch9wavefront6targetE1EEEvS13_
; %bb.0:
	.section	.rodata,"a",@progbits
	.p2align	6, 0x0
	.amdhsa_kernel _ZN7rocprim17ROCPRIM_400000_NS6detail17trampoline_kernelINS0_13select_configILj256ELj13ELNS0_17block_load_methodE3ELS4_3ELS4_3ELNS0_20block_scan_algorithmE0ELj4294967295EEENS1_25partition_config_selectorILNS1_17partition_subalgoE4EjNS0_10empty_typeEbEEZZNS1_14partition_implILS8_4ELb0ES6_15HIP_vector_typeIjLj2EENS0_17counting_iteratorIjlEEPS9_SG_NS0_5tupleIJPjSI_NS0_16reverse_iteratorISI_EEEEENSH_IJSG_SG_SG_EEES9_SI_JZNS1_25segmented_radix_sort_implINS0_14default_configELb1EPK6__halfPSP_PKlPlN2at6native12_GLOBAL__N_18offset_tEEE10hipError_tPvRmT1_PNSt15iterator_traitsIS13_E10value_typeET2_T3_PNS14_IS19_E10value_typeET4_jRbjT5_S1F_jjP12ihipStream_tbEUljE_ZNSN_ISO_Lb1ESR_SS_SU_SV_SZ_EES10_S11_S12_S13_S17_S18_S19_S1C_S1D_jS1E_jS1F_S1F_jjS1H_bEUljE0_EEES10_S11_S12_S19_S1D_S1F_T6_T7_T9_mT8_S1H_bDpT10_ENKUlT_T0_E_clISt17integral_constantIbLb1EES1U_IbLb0EEEEDaS1Q_S1R_EUlS1Q_E_NS1_11comp_targetILNS1_3genE0ELNS1_11target_archE4294967295ELNS1_3gpuE0ELNS1_3repE0EEENS1_30default_config_static_selectorELNS0_4arch9wavefront6targetE1EEEvS13_
		.amdhsa_group_segment_fixed_size 0
		.amdhsa_private_segment_fixed_size 0
		.amdhsa_kernarg_size 176
		.amdhsa_user_sgpr_count 6
		.amdhsa_user_sgpr_private_segment_buffer 1
		.amdhsa_user_sgpr_dispatch_ptr 0
		.amdhsa_user_sgpr_queue_ptr 0
		.amdhsa_user_sgpr_kernarg_segment_ptr 1
		.amdhsa_user_sgpr_dispatch_id 0
		.amdhsa_user_sgpr_flat_scratch_init 0
		.amdhsa_user_sgpr_private_segment_size 0
		.amdhsa_uses_dynamic_stack 0
		.amdhsa_system_sgpr_private_segment_wavefront_offset 0
		.amdhsa_system_sgpr_workgroup_id_x 1
		.amdhsa_system_sgpr_workgroup_id_y 0
		.amdhsa_system_sgpr_workgroup_id_z 0
		.amdhsa_system_sgpr_workgroup_info 0
		.amdhsa_system_vgpr_workitem_id 0
		.amdhsa_next_free_vgpr 1
		.amdhsa_next_free_sgpr 0
		.amdhsa_reserve_vcc 0
		.amdhsa_reserve_flat_scratch 0
		.amdhsa_float_round_mode_32 0
		.amdhsa_float_round_mode_16_64 0
		.amdhsa_float_denorm_mode_32 3
		.amdhsa_float_denorm_mode_16_64 3
		.amdhsa_dx10_clamp 1
		.amdhsa_ieee_mode 1
		.amdhsa_fp16_overflow 0
		.amdhsa_exception_fp_ieee_invalid_op 0
		.amdhsa_exception_fp_denorm_src 0
		.amdhsa_exception_fp_ieee_div_zero 0
		.amdhsa_exception_fp_ieee_overflow 0
		.amdhsa_exception_fp_ieee_underflow 0
		.amdhsa_exception_fp_ieee_inexact 0
		.amdhsa_exception_int_div_zero 0
	.end_amdhsa_kernel
	.section	.text._ZN7rocprim17ROCPRIM_400000_NS6detail17trampoline_kernelINS0_13select_configILj256ELj13ELNS0_17block_load_methodE3ELS4_3ELS4_3ELNS0_20block_scan_algorithmE0ELj4294967295EEENS1_25partition_config_selectorILNS1_17partition_subalgoE4EjNS0_10empty_typeEbEEZZNS1_14partition_implILS8_4ELb0ES6_15HIP_vector_typeIjLj2EENS0_17counting_iteratorIjlEEPS9_SG_NS0_5tupleIJPjSI_NS0_16reverse_iteratorISI_EEEEENSH_IJSG_SG_SG_EEES9_SI_JZNS1_25segmented_radix_sort_implINS0_14default_configELb1EPK6__halfPSP_PKlPlN2at6native12_GLOBAL__N_18offset_tEEE10hipError_tPvRmT1_PNSt15iterator_traitsIS13_E10value_typeET2_T3_PNS14_IS19_E10value_typeET4_jRbjT5_S1F_jjP12ihipStream_tbEUljE_ZNSN_ISO_Lb1ESR_SS_SU_SV_SZ_EES10_S11_S12_S13_S17_S18_S19_S1C_S1D_jS1E_jS1F_S1F_jjS1H_bEUljE0_EEES10_S11_S12_S19_S1D_S1F_T6_T7_T9_mT8_S1H_bDpT10_ENKUlT_T0_E_clISt17integral_constantIbLb1EES1U_IbLb0EEEEDaS1Q_S1R_EUlS1Q_E_NS1_11comp_targetILNS1_3genE0ELNS1_11target_archE4294967295ELNS1_3gpuE0ELNS1_3repE0EEENS1_30default_config_static_selectorELNS0_4arch9wavefront6targetE1EEEvS13_,"axG",@progbits,_ZN7rocprim17ROCPRIM_400000_NS6detail17trampoline_kernelINS0_13select_configILj256ELj13ELNS0_17block_load_methodE3ELS4_3ELS4_3ELNS0_20block_scan_algorithmE0ELj4294967295EEENS1_25partition_config_selectorILNS1_17partition_subalgoE4EjNS0_10empty_typeEbEEZZNS1_14partition_implILS8_4ELb0ES6_15HIP_vector_typeIjLj2EENS0_17counting_iteratorIjlEEPS9_SG_NS0_5tupleIJPjSI_NS0_16reverse_iteratorISI_EEEEENSH_IJSG_SG_SG_EEES9_SI_JZNS1_25segmented_radix_sort_implINS0_14default_configELb1EPK6__halfPSP_PKlPlN2at6native12_GLOBAL__N_18offset_tEEE10hipError_tPvRmT1_PNSt15iterator_traitsIS13_E10value_typeET2_T3_PNS14_IS19_E10value_typeET4_jRbjT5_S1F_jjP12ihipStream_tbEUljE_ZNSN_ISO_Lb1ESR_SS_SU_SV_SZ_EES10_S11_S12_S13_S17_S18_S19_S1C_S1D_jS1E_jS1F_S1F_jjS1H_bEUljE0_EEES10_S11_S12_S19_S1D_S1F_T6_T7_T9_mT8_S1H_bDpT10_ENKUlT_T0_E_clISt17integral_constantIbLb1EES1U_IbLb0EEEEDaS1Q_S1R_EUlS1Q_E_NS1_11comp_targetILNS1_3genE0ELNS1_11target_archE4294967295ELNS1_3gpuE0ELNS1_3repE0EEENS1_30default_config_static_selectorELNS0_4arch9wavefront6targetE1EEEvS13_,comdat
.Lfunc_end1691:
	.size	_ZN7rocprim17ROCPRIM_400000_NS6detail17trampoline_kernelINS0_13select_configILj256ELj13ELNS0_17block_load_methodE3ELS4_3ELS4_3ELNS0_20block_scan_algorithmE0ELj4294967295EEENS1_25partition_config_selectorILNS1_17partition_subalgoE4EjNS0_10empty_typeEbEEZZNS1_14partition_implILS8_4ELb0ES6_15HIP_vector_typeIjLj2EENS0_17counting_iteratorIjlEEPS9_SG_NS0_5tupleIJPjSI_NS0_16reverse_iteratorISI_EEEEENSH_IJSG_SG_SG_EEES9_SI_JZNS1_25segmented_radix_sort_implINS0_14default_configELb1EPK6__halfPSP_PKlPlN2at6native12_GLOBAL__N_18offset_tEEE10hipError_tPvRmT1_PNSt15iterator_traitsIS13_E10value_typeET2_T3_PNS14_IS19_E10value_typeET4_jRbjT5_S1F_jjP12ihipStream_tbEUljE_ZNSN_ISO_Lb1ESR_SS_SU_SV_SZ_EES10_S11_S12_S13_S17_S18_S19_S1C_S1D_jS1E_jS1F_S1F_jjS1H_bEUljE0_EEES10_S11_S12_S19_S1D_S1F_T6_T7_T9_mT8_S1H_bDpT10_ENKUlT_T0_E_clISt17integral_constantIbLb1EES1U_IbLb0EEEEDaS1Q_S1R_EUlS1Q_E_NS1_11comp_targetILNS1_3genE0ELNS1_11target_archE4294967295ELNS1_3gpuE0ELNS1_3repE0EEENS1_30default_config_static_selectorELNS0_4arch9wavefront6targetE1EEEvS13_, .Lfunc_end1691-_ZN7rocprim17ROCPRIM_400000_NS6detail17trampoline_kernelINS0_13select_configILj256ELj13ELNS0_17block_load_methodE3ELS4_3ELS4_3ELNS0_20block_scan_algorithmE0ELj4294967295EEENS1_25partition_config_selectorILNS1_17partition_subalgoE4EjNS0_10empty_typeEbEEZZNS1_14partition_implILS8_4ELb0ES6_15HIP_vector_typeIjLj2EENS0_17counting_iteratorIjlEEPS9_SG_NS0_5tupleIJPjSI_NS0_16reverse_iteratorISI_EEEEENSH_IJSG_SG_SG_EEES9_SI_JZNS1_25segmented_radix_sort_implINS0_14default_configELb1EPK6__halfPSP_PKlPlN2at6native12_GLOBAL__N_18offset_tEEE10hipError_tPvRmT1_PNSt15iterator_traitsIS13_E10value_typeET2_T3_PNS14_IS19_E10value_typeET4_jRbjT5_S1F_jjP12ihipStream_tbEUljE_ZNSN_ISO_Lb1ESR_SS_SU_SV_SZ_EES10_S11_S12_S13_S17_S18_S19_S1C_S1D_jS1E_jS1F_S1F_jjS1H_bEUljE0_EEES10_S11_S12_S19_S1D_S1F_T6_T7_T9_mT8_S1H_bDpT10_ENKUlT_T0_E_clISt17integral_constantIbLb1EES1U_IbLb0EEEEDaS1Q_S1R_EUlS1Q_E_NS1_11comp_targetILNS1_3genE0ELNS1_11target_archE4294967295ELNS1_3gpuE0ELNS1_3repE0EEENS1_30default_config_static_selectorELNS0_4arch9wavefront6targetE1EEEvS13_
                                        ; -- End function
	.set _ZN7rocprim17ROCPRIM_400000_NS6detail17trampoline_kernelINS0_13select_configILj256ELj13ELNS0_17block_load_methodE3ELS4_3ELS4_3ELNS0_20block_scan_algorithmE0ELj4294967295EEENS1_25partition_config_selectorILNS1_17partition_subalgoE4EjNS0_10empty_typeEbEEZZNS1_14partition_implILS8_4ELb0ES6_15HIP_vector_typeIjLj2EENS0_17counting_iteratorIjlEEPS9_SG_NS0_5tupleIJPjSI_NS0_16reverse_iteratorISI_EEEEENSH_IJSG_SG_SG_EEES9_SI_JZNS1_25segmented_radix_sort_implINS0_14default_configELb1EPK6__halfPSP_PKlPlN2at6native12_GLOBAL__N_18offset_tEEE10hipError_tPvRmT1_PNSt15iterator_traitsIS13_E10value_typeET2_T3_PNS14_IS19_E10value_typeET4_jRbjT5_S1F_jjP12ihipStream_tbEUljE_ZNSN_ISO_Lb1ESR_SS_SU_SV_SZ_EES10_S11_S12_S13_S17_S18_S19_S1C_S1D_jS1E_jS1F_S1F_jjS1H_bEUljE0_EEES10_S11_S12_S19_S1D_S1F_T6_T7_T9_mT8_S1H_bDpT10_ENKUlT_T0_E_clISt17integral_constantIbLb1EES1U_IbLb0EEEEDaS1Q_S1R_EUlS1Q_E_NS1_11comp_targetILNS1_3genE0ELNS1_11target_archE4294967295ELNS1_3gpuE0ELNS1_3repE0EEENS1_30default_config_static_selectorELNS0_4arch9wavefront6targetE1EEEvS13_.num_vgpr, 0
	.set _ZN7rocprim17ROCPRIM_400000_NS6detail17trampoline_kernelINS0_13select_configILj256ELj13ELNS0_17block_load_methodE3ELS4_3ELS4_3ELNS0_20block_scan_algorithmE0ELj4294967295EEENS1_25partition_config_selectorILNS1_17partition_subalgoE4EjNS0_10empty_typeEbEEZZNS1_14partition_implILS8_4ELb0ES6_15HIP_vector_typeIjLj2EENS0_17counting_iteratorIjlEEPS9_SG_NS0_5tupleIJPjSI_NS0_16reverse_iteratorISI_EEEEENSH_IJSG_SG_SG_EEES9_SI_JZNS1_25segmented_radix_sort_implINS0_14default_configELb1EPK6__halfPSP_PKlPlN2at6native12_GLOBAL__N_18offset_tEEE10hipError_tPvRmT1_PNSt15iterator_traitsIS13_E10value_typeET2_T3_PNS14_IS19_E10value_typeET4_jRbjT5_S1F_jjP12ihipStream_tbEUljE_ZNSN_ISO_Lb1ESR_SS_SU_SV_SZ_EES10_S11_S12_S13_S17_S18_S19_S1C_S1D_jS1E_jS1F_S1F_jjS1H_bEUljE0_EEES10_S11_S12_S19_S1D_S1F_T6_T7_T9_mT8_S1H_bDpT10_ENKUlT_T0_E_clISt17integral_constantIbLb1EES1U_IbLb0EEEEDaS1Q_S1R_EUlS1Q_E_NS1_11comp_targetILNS1_3genE0ELNS1_11target_archE4294967295ELNS1_3gpuE0ELNS1_3repE0EEENS1_30default_config_static_selectorELNS0_4arch9wavefront6targetE1EEEvS13_.num_agpr, 0
	.set _ZN7rocprim17ROCPRIM_400000_NS6detail17trampoline_kernelINS0_13select_configILj256ELj13ELNS0_17block_load_methodE3ELS4_3ELS4_3ELNS0_20block_scan_algorithmE0ELj4294967295EEENS1_25partition_config_selectorILNS1_17partition_subalgoE4EjNS0_10empty_typeEbEEZZNS1_14partition_implILS8_4ELb0ES6_15HIP_vector_typeIjLj2EENS0_17counting_iteratorIjlEEPS9_SG_NS0_5tupleIJPjSI_NS0_16reverse_iteratorISI_EEEEENSH_IJSG_SG_SG_EEES9_SI_JZNS1_25segmented_radix_sort_implINS0_14default_configELb1EPK6__halfPSP_PKlPlN2at6native12_GLOBAL__N_18offset_tEEE10hipError_tPvRmT1_PNSt15iterator_traitsIS13_E10value_typeET2_T3_PNS14_IS19_E10value_typeET4_jRbjT5_S1F_jjP12ihipStream_tbEUljE_ZNSN_ISO_Lb1ESR_SS_SU_SV_SZ_EES10_S11_S12_S13_S17_S18_S19_S1C_S1D_jS1E_jS1F_S1F_jjS1H_bEUljE0_EEES10_S11_S12_S19_S1D_S1F_T6_T7_T9_mT8_S1H_bDpT10_ENKUlT_T0_E_clISt17integral_constantIbLb1EES1U_IbLb0EEEEDaS1Q_S1R_EUlS1Q_E_NS1_11comp_targetILNS1_3genE0ELNS1_11target_archE4294967295ELNS1_3gpuE0ELNS1_3repE0EEENS1_30default_config_static_selectorELNS0_4arch9wavefront6targetE1EEEvS13_.numbered_sgpr, 0
	.set _ZN7rocprim17ROCPRIM_400000_NS6detail17trampoline_kernelINS0_13select_configILj256ELj13ELNS0_17block_load_methodE3ELS4_3ELS4_3ELNS0_20block_scan_algorithmE0ELj4294967295EEENS1_25partition_config_selectorILNS1_17partition_subalgoE4EjNS0_10empty_typeEbEEZZNS1_14partition_implILS8_4ELb0ES6_15HIP_vector_typeIjLj2EENS0_17counting_iteratorIjlEEPS9_SG_NS0_5tupleIJPjSI_NS0_16reverse_iteratorISI_EEEEENSH_IJSG_SG_SG_EEES9_SI_JZNS1_25segmented_radix_sort_implINS0_14default_configELb1EPK6__halfPSP_PKlPlN2at6native12_GLOBAL__N_18offset_tEEE10hipError_tPvRmT1_PNSt15iterator_traitsIS13_E10value_typeET2_T3_PNS14_IS19_E10value_typeET4_jRbjT5_S1F_jjP12ihipStream_tbEUljE_ZNSN_ISO_Lb1ESR_SS_SU_SV_SZ_EES10_S11_S12_S13_S17_S18_S19_S1C_S1D_jS1E_jS1F_S1F_jjS1H_bEUljE0_EEES10_S11_S12_S19_S1D_S1F_T6_T7_T9_mT8_S1H_bDpT10_ENKUlT_T0_E_clISt17integral_constantIbLb1EES1U_IbLb0EEEEDaS1Q_S1R_EUlS1Q_E_NS1_11comp_targetILNS1_3genE0ELNS1_11target_archE4294967295ELNS1_3gpuE0ELNS1_3repE0EEENS1_30default_config_static_selectorELNS0_4arch9wavefront6targetE1EEEvS13_.num_named_barrier, 0
	.set _ZN7rocprim17ROCPRIM_400000_NS6detail17trampoline_kernelINS0_13select_configILj256ELj13ELNS0_17block_load_methodE3ELS4_3ELS4_3ELNS0_20block_scan_algorithmE0ELj4294967295EEENS1_25partition_config_selectorILNS1_17partition_subalgoE4EjNS0_10empty_typeEbEEZZNS1_14partition_implILS8_4ELb0ES6_15HIP_vector_typeIjLj2EENS0_17counting_iteratorIjlEEPS9_SG_NS0_5tupleIJPjSI_NS0_16reverse_iteratorISI_EEEEENSH_IJSG_SG_SG_EEES9_SI_JZNS1_25segmented_radix_sort_implINS0_14default_configELb1EPK6__halfPSP_PKlPlN2at6native12_GLOBAL__N_18offset_tEEE10hipError_tPvRmT1_PNSt15iterator_traitsIS13_E10value_typeET2_T3_PNS14_IS19_E10value_typeET4_jRbjT5_S1F_jjP12ihipStream_tbEUljE_ZNSN_ISO_Lb1ESR_SS_SU_SV_SZ_EES10_S11_S12_S13_S17_S18_S19_S1C_S1D_jS1E_jS1F_S1F_jjS1H_bEUljE0_EEES10_S11_S12_S19_S1D_S1F_T6_T7_T9_mT8_S1H_bDpT10_ENKUlT_T0_E_clISt17integral_constantIbLb1EES1U_IbLb0EEEEDaS1Q_S1R_EUlS1Q_E_NS1_11comp_targetILNS1_3genE0ELNS1_11target_archE4294967295ELNS1_3gpuE0ELNS1_3repE0EEENS1_30default_config_static_selectorELNS0_4arch9wavefront6targetE1EEEvS13_.private_seg_size, 0
	.set _ZN7rocprim17ROCPRIM_400000_NS6detail17trampoline_kernelINS0_13select_configILj256ELj13ELNS0_17block_load_methodE3ELS4_3ELS4_3ELNS0_20block_scan_algorithmE0ELj4294967295EEENS1_25partition_config_selectorILNS1_17partition_subalgoE4EjNS0_10empty_typeEbEEZZNS1_14partition_implILS8_4ELb0ES6_15HIP_vector_typeIjLj2EENS0_17counting_iteratorIjlEEPS9_SG_NS0_5tupleIJPjSI_NS0_16reverse_iteratorISI_EEEEENSH_IJSG_SG_SG_EEES9_SI_JZNS1_25segmented_radix_sort_implINS0_14default_configELb1EPK6__halfPSP_PKlPlN2at6native12_GLOBAL__N_18offset_tEEE10hipError_tPvRmT1_PNSt15iterator_traitsIS13_E10value_typeET2_T3_PNS14_IS19_E10value_typeET4_jRbjT5_S1F_jjP12ihipStream_tbEUljE_ZNSN_ISO_Lb1ESR_SS_SU_SV_SZ_EES10_S11_S12_S13_S17_S18_S19_S1C_S1D_jS1E_jS1F_S1F_jjS1H_bEUljE0_EEES10_S11_S12_S19_S1D_S1F_T6_T7_T9_mT8_S1H_bDpT10_ENKUlT_T0_E_clISt17integral_constantIbLb1EES1U_IbLb0EEEEDaS1Q_S1R_EUlS1Q_E_NS1_11comp_targetILNS1_3genE0ELNS1_11target_archE4294967295ELNS1_3gpuE0ELNS1_3repE0EEENS1_30default_config_static_selectorELNS0_4arch9wavefront6targetE1EEEvS13_.uses_vcc, 0
	.set _ZN7rocprim17ROCPRIM_400000_NS6detail17trampoline_kernelINS0_13select_configILj256ELj13ELNS0_17block_load_methodE3ELS4_3ELS4_3ELNS0_20block_scan_algorithmE0ELj4294967295EEENS1_25partition_config_selectorILNS1_17partition_subalgoE4EjNS0_10empty_typeEbEEZZNS1_14partition_implILS8_4ELb0ES6_15HIP_vector_typeIjLj2EENS0_17counting_iteratorIjlEEPS9_SG_NS0_5tupleIJPjSI_NS0_16reverse_iteratorISI_EEEEENSH_IJSG_SG_SG_EEES9_SI_JZNS1_25segmented_radix_sort_implINS0_14default_configELb1EPK6__halfPSP_PKlPlN2at6native12_GLOBAL__N_18offset_tEEE10hipError_tPvRmT1_PNSt15iterator_traitsIS13_E10value_typeET2_T3_PNS14_IS19_E10value_typeET4_jRbjT5_S1F_jjP12ihipStream_tbEUljE_ZNSN_ISO_Lb1ESR_SS_SU_SV_SZ_EES10_S11_S12_S13_S17_S18_S19_S1C_S1D_jS1E_jS1F_S1F_jjS1H_bEUljE0_EEES10_S11_S12_S19_S1D_S1F_T6_T7_T9_mT8_S1H_bDpT10_ENKUlT_T0_E_clISt17integral_constantIbLb1EES1U_IbLb0EEEEDaS1Q_S1R_EUlS1Q_E_NS1_11comp_targetILNS1_3genE0ELNS1_11target_archE4294967295ELNS1_3gpuE0ELNS1_3repE0EEENS1_30default_config_static_selectorELNS0_4arch9wavefront6targetE1EEEvS13_.uses_flat_scratch, 0
	.set _ZN7rocprim17ROCPRIM_400000_NS6detail17trampoline_kernelINS0_13select_configILj256ELj13ELNS0_17block_load_methodE3ELS4_3ELS4_3ELNS0_20block_scan_algorithmE0ELj4294967295EEENS1_25partition_config_selectorILNS1_17partition_subalgoE4EjNS0_10empty_typeEbEEZZNS1_14partition_implILS8_4ELb0ES6_15HIP_vector_typeIjLj2EENS0_17counting_iteratorIjlEEPS9_SG_NS0_5tupleIJPjSI_NS0_16reverse_iteratorISI_EEEEENSH_IJSG_SG_SG_EEES9_SI_JZNS1_25segmented_radix_sort_implINS0_14default_configELb1EPK6__halfPSP_PKlPlN2at6native12_GLOBAL__N_18offset_tEEE10hipError_tPvRmT1_PNSt15iterator_traitsIS13_E10value_typeET2_T3_PNS14_IS19_E10value_typeET4_jRbjT5_S1F_jjP12ihipStream_tbEUljE_ZNSN_ISO_Lb1ESR_SS_SU_SV_SZ_EES10_S11_S12_S13_S17_S18_S19_S1C_S1D_jS1E_jS1F_S1F_jjS1H_bEUljE0_EEES10_S11_S12_S19_S1D_S1F_T6_T7_T9_mT8_S1H_bDpT10_ENKUlT_T0_E_clISt17integral_constantIbLb1EES1U_IbLb0EEEEDaS1Q_S1R_EUlS1Q_E_NS1_11comp_targetILNS1_3genE0ELNS1_11target_archE4294967295ELNS1_3gpuE0ELNS1_3repE0EEENS1_30default_config_static_selectorELNS0_4arch9wavefront6targetE1EEEvS13_.has_dyn_sized_stack, 0
	.set _ZN7rocprim17ROCPRIM_400000_NS6detail17trampoline_kernelINS0_13select_configILj256ELj13ELNS0_17block_load_methodE3ELS4_3ELS4_3ELNS0_20block_scan_algorithmE0ELj4294967295EEENS1_25partition_config_selectorILNS1_17partition_subalgoE4EjNS0_10empty_typeEbEEZZNS1_14partition_implILS8_4ELb0ES6_15HIP_vector_typeIjLj2EENS0_17counting_iteratorIjlEEPS9_SG_NS0_5tupleIJPjSI_NS0_16reverse_iteratorISI_EEEEENSH_IJSG_SG_SG_EEES9_SI_JZNS1_25segmented_radix_sort_implINS0_14default_configELb1EPK6__halfPSP_PKlPlN2at6native12_GLOBAL__N_18offset_tEEE10hipError_tPvRmT1_PNSt15iterator_traitsIS13_E10value_typeET2_T3_PNS14_IS19_E10value_typeET4_jRbjT5_S1F_jjP12ihipStream_tbEUljE_ZNSN_ISO_Lb1ESR_SS_SU_SV_SZ_EES10_S11_S12_S13_S17_S18_S19_S1C_S1D_jS1E_jS1F_S1F_jjS1H_bEUljE0_EEES10_S11_S12_S19_S1D_S1F_T6_T7_T9_mT8_S1H_bDpT10_ENKUlT_T0_E_clISt17integral_constantIbLb1EES1U_IbLb0EEEEDaS1Q_S1R_EUlS1Q_E_NS1_11comp_targetILNS1_3genE0ELNS1_11target_archE4294967295ELNS1_3gpuE0ELNS1_3repE0EEENS1_30default_config_static_selectorELNS0_4arch9wavefront6targetE1EEEvS13_.has_recursion, 0
	.set _ZN7rocprim17ROCPRIM_400000_NS6detail17trampoline_kernelINS0_13select_configILj256ELj13ELNS0_17block_load_methodE3ELS4_3ELS4_3ELNS0_20block_scan_algorithmE0ELj4294967295EEENS1_25partition_config_selectorILNS1_17partition_subalgoE4EjNS0_10empty_typeEbEEZZNS1_14partition_implILS8_4ELb0ES6_15HIP_vector_typeIjLj2EENS0_17counting_iteratorIjlEEPS9_SG_NS0_5tupleIJPjSI_NS0_16reverse_iteratorISI_EEEEENSH_IJSG_SG_SG_EEES9_SI_JZNS1_25segmented_radix_sort_implINS0_14default_configELb1EPK6__halfPSP_PKlPlN2at6native12_GLOBAL__N_18offset_tEEE10hipError_tPvRmT1_PNSt15iterator_traitsIS13_E10value_typeET2_T3_PNS14_IS19_E10value_typeET4_jRbjT5_S1F_jjP12ihipStream_tbEUljE_ZNSN_ISO_Lb1ESR_SS_SU_SV_SZ_EES10_S11_S12_S13_S17_S18_S19_S1C_S1D_jS1E_jS1F_S1F_jjS1H_bEUljE0_EEES10_S11_S12_S19_S1D_S1F_T6_T7_T9_mT8_S1H_bDpT10_ENKUlT_T0_E_clISt17integral_constantIbLb1EES1U_IbLb0EEEEDaS1Q_S1R_EUlS1Q_E_NS1_11comp_targetILNS1_3genE0ELNS1_11target_archE4294967295ELNS1_3gpuE0ELNS1_3repE0EEENS1_30default_config_static_selectorELNS0_4arch9wavefront6targetE1EEEvS13_.has_indirect_call, 0
	.section	.AMDGPU.csdata,"",@progbits
; Kernel info:
; codeLenInByte = 0
; TotalNumSgprs: 4
; NumVgprs: 0
; ScratchSize: 0
; MemoryBound: 0
; FloatMode: 240
; IeeeMode: 1
; LDSByteSize: 0 bytes/workgroup (compile time only)
; SGPRBlocks: 0
; VGPRBlocks: 0
; NumSGPRsForWavesPerEU: 4
; NumVGPRsForWavesPerEU: 1
; Occupancy: 10
; WaveLimiterHint : 0
; COMPUTE_PGM_RSRC2:SCRATCH_EN: 0
; COMPUTE_PGM_RSRC2:USER_SGPR: 6
; COMPUTE_PGM_RSRC2:TRAP_HANDLER: 0
; COMPUTE_PGM_RSRC2:TGID_X_EN: 1
; COMPUTE_PGM_RSRC2:TGID_Y_EN: 0
; COMPUTE_PGM_RSRC2:TGID_Z_EN: 0
; COMPUTE_PGM_RSRC2:TIDIG_COMP_CNT: 0
	.section	.text._ZN7rocprim17ROCPRIM_400000_NS6detail17trampoline_kernelINS0_13select_configILj256ELj13ELNS0_17block_load_methodE3ELS4_3ELS4_3ELNS0_20block_scan_algorithmE0ELj4294967295EEENS1_25partition_config_selectorILNS1_17partition_subalgoE4EjNS0_10empty_typeEbEEZZNS1_14partition_implILS8_4ELb0ES6_15HIP_vector_typeIjLj2EENS0_17counting_iteratorIjlEEPS9_SG_NS0_5tupleIJPjSI_NS0_16reverse_iteratorISI_EEEEENSH_IJSG_SG_SG_EEES9_SI_JZNS1_25segmented_radix_sort_implINS0_14default_configELb1EPK6__halfPSP_PKlPlN2at6native12_GLOBAL__N_18offset_tEEE10hipError_tPvRmT1_PNSt15iterator_traitsIS13_E10value_typeET2_T3_PNS14_IS19_E10value_typeET4_jRbjT5_S1F_jjP12ihipStream_tbEUljE_ZNSN_ISO_Lb1ESR_SS_SU_SV_SZ_EES10_S11_S12_S13_S17_S18_S19_S1C_S1D_jS1E_jS1F_S1F_jjS1H_bEUljE0_EEES10_S11_S12_S19_S1D_S1F_T6_T7_T9_mT8_S1H_bDpT10_ENKUlT_T0_E_clISt17integral_constantIbLb1EES1U_IbLb0EEEEDaS1Q_S1R_EUlS1Q_E_NS1_11comp_targetILNS1_3genE5ELNS1_11target_archE942ELNS1_3gpuE9ELNS1_3repE0EEENS1_30default_config_static_selectorELNS0_4arch9wavefront6targetE1EEEvS13_,"axG",@progbits,_ZN7rocprim17ROCPRIM_400000_NS6detail17trampoline_kernelINS0_13select_configILj256ELj13ELNS0_17block_load_methodE3ELS4_3ELS4_3ELNS0_20block_scan_algorithmE0ELj4294967295EEENS1_25partition_config_selectorILNS1_17partition_subalgoE4EjNS0_10empty_typeEbEEZZNS1_14partition_implILS8_4ELb0ES6_15HIP_vector_typeIjLj2EENS0_17counting_iteratorIjlEEPS9_SG_NS0_5tupleIJPjSI_NS0_16reverse_iteratorISI_EEEEENSH_IJSG_SG_SG_EEES9_SI_JZNS1_25segmented_radix_sort_implINS0_14default_configELb1EPK6__halfPSP_PKlPlN2at6native12_GLOBAL__N_18offset_tEEE10hipError_tPvRmT1_PNSt15iterator_traitsIS13_E10value_typeET2_T3_PNS14_IS19_E10value_typeET4_jRbjT5_S1F_jjP12ihipStream_tbEUljE_ZNSN_ISO_Lb1ESR_SS_SU_SV_SZ_EES10_S11_S12_S13_S17_S18_S19_S1C_S1D_jS1E_jS1F_S1F_jjS1H_bEUljE0_EEES10_S11_S12_S19_S1D_S1F_T6_T7_T9_mT8_S1H_bDpT10_ENKUlT_T0_E_clISt17integral_constantIbLb1EES1U_IbLb0EEEEDaS1Q_S1R_EUlS1Q_E_NS1_11comp_targetILNS1_3genE5ELNS1_11target_archE942ELNS1_3gpuE9ELNS1_3repE0EEENS1_30default_config_static_selectorELNS0_4arch9wavefront6targetE1EEEvS13_,comdat
	.globl	_ZN7rocprim17ROCPRIM_400000_NS6detail17trampoline_kernelINS0_13select_configILj256ELj13ELNS0_17block_load_methodE3ELS4_3ELS4_3ELNS0_20block_scan_algorithmE0ELj4294967295EEENS1_25partition_config_selectorILNS1_17partition_subalgoE4EjNS0_10empty_typeEbEEZZNS1_14partition_implILS8_4ELb0ES6_15HIP_vector_typeIjLj2EENS0_17counting_iteratorIjlEEPS9_SG_NS0_5tupleIJPjSI_NS0_16reverse_iteratorISI_EEEEENSH_IJSG_SG_SG_EEES9_SI_JZNS1_25segmented_radix_sort_implINS0_14default_configELb1EPK6__halfPSP_PKlPlN2at6native12_GLOBAL__N_18offset_tEEE10hipError_tPvRmT1_PNSt15iterator_traitsIS13_E10value_typeET2_T3_PNS14_IS19_E10value_typeET4_jRbjT5_S1F_jjP12ihipStream_tbEUljE_ZNSN_ISO_Lb1ESR_SS_SU_SV_SZ_EES10_S11_S12_S13_S17_S18_S19_S1C_S1D_jS1E_jS1F_S1F_jjS1H_bEUljE0_EEES10_S11_S12_S19_S1D_S1F_T6_T7_T9_mT8_S1H_bDpT10_ENKUlT_T0_E_clISt17integral_constantIbLb1EES1U_IbLb0EEEEDaS1Q_S1R_EUlS1Q_E_NS1_11comp_targetILNS1_3genE5ELNS1_11target_archE942ELNS1_3gpuE9ELNS1_3repE0EEENS1_30default_config_static_selectorELNS0_4arch9wavefront6targetE1EEEvS13_ ; -- Begin function _ZN7rocprim17ROCPRIM_400000_NS6detail17trampoline_kernelINS0_13select_configILj256ELj13ELNS0_17block_load_methodE3ELS4_3ELS4_3ELNS0_20block_scan_algorithmE0ELj4294967295EEENS1_25partition_config_selectorILNS1_17partition_subalgoE4EjNS0_10empty_typeEbEEZZNS1_14partition_implILS8_4ELb0ES6_15HIP_vector_typeIjLj2EENS0_17counting_iteratorIjlEEPS9_SG_NS0_5tupleIJPjSI_NS0_16reverse_iteratorISI_EEEEENSH_IJSG_SG_SG_EEES9_SI_JZNS1_25segmented_radix_sort_implINS0_14default_configELb1EPK6__halfPSP_PKlPlN2at6native12_GLOBAL__N_18offset_tEEE10hipError_tPvRmT1_PNSt15iterator_traitsIS13_E10value_typeET2_T3_PNS14_IS19_E10value_typeET4_jRbjT5_S1F_jjP12ihipStream_tbEUljE_ZNSN_ISO_Lb1ESR_SS_SU_SV_SZ_EES10_S11_S12_S13_S17_S18_S19_S1C_S1D_jS1E_jS1F_S1F_jjS1H_bEUljE0_EEES10_S11_S12_S19_S1D_S1F_T6_T7_T9_mT8_S1H_bDpT10_ENKUlT_T0_E_clISt17integral_constantIbLb1EES1U_IbLb0EEEEDaS1Q_S1R_EUlS1Q_E_NS1_11comp_targetILNS1_3genE5ELNS1_11target_archE942ELNS1_3gpuE9ELNS1_3repE0EEENS1_30default_config_static_selectorELNS0_4arch9wavefront6targetE1EEEvS13_
	.p2align	8
	.type	_ZN7rocprim17ROCPRIM_400000_NS6detail17trampoline_kernelINS0_13select_configILj256ELj13ELNS0_17block_load_methodE3ELS4_3ELS4_3ELNS0_20block_scan_algorithmE0ELj4294967295EEENS1_25partition_config_selectorILNS1_17partition_subalgoE4EjNS0_10empty_typeEbEEZZNS1_14partition_implILS8_4ELb0ES6_15HIP_vector_typeIjLj2EENS0_17counting_iteratorIjlEEPS9_SG_NS0_5tupleIJPjSI_NS0_16reverse_iteratorISI_EEEEENSH_IJSG_SG_SG_EEES9_SI_JZNS1_25segmented_radix_sort_implINS0_14default_configELb1EPK6__halfPSP_PKlPlN2at6native12_GLOBAL__N_18offset_tEEE10hipError_tPvRmT1_PNSt15iterator_traitsIS13_E10value_typeET2_T3_PNS14_IS19_E10value_typeET4_jRbjT5_S1F_jjP12ihipStream_tbEUljE_ZNSN_ISO_Lb1ESR_SS_SU_SV_SZ_EES10_S11_S12_S13_S17_S18_S19_S1C_S1D_jS1E_jS1F_S1F_jjS1H_bEUljE0_EEES10_S11_S12_S19_S1D_S1F_T6_T7_T9_mT8_S1H_bDpT10_ENKUlT_T0_E_clISt17integral_constantIbLb1EES1U_IbLb0EEEEDaS1Q_S1R_EUlS1Q_E_NS1_11comp_targetILNS1_3genE5ELNS1_11target_archE942ELNS1_3gpuE9ELNS1_3repE0EEENS1_30default_config_static_selectorELNS0_4arch9wavefront6targetE1EEEvS13_,@function
_ZN7rocprim17ROCPRIM_400000_NS6detail17trampoline_kernelINS0_13select_configILj256ELj13ELNS0_17block_load_methodE3ELS4_3ELS4_3ELNS0_20block_scan_algorithmE0ELj4294967295EEENS1_25partition_config_selectorILNS1_17partition_subalgoE4EjNS0_10empty_typeEbEEZZNS1_14partition_implILS8_4ELb0ES6_15HIP_vector_typeIjLj2EENS0_17counting_iteratorIjlEEPS9_SG_NS0_5tupleIJPjSI_NS0_16reverse_iteratorISI_EEEEENSH_IJSG_SG_SG_EEES9_SI_JZNS1_25segmented_radix_sort_implINS0_14default_configELb1EPK6__halfPSP_PKlPlN2at6native12_GLOBAL__N_18offset_tEEE10hipError_tPvRmT1_PNSt15iterator_traitsIS13_E10value_typeET2_T3_PNS14_IS19_E10value_typeET4_jRbjT5_S1F_jjP12ihipStream_tbEUljE_ZNSN_ISO_Lb1ESR_SS_SU_SV_SZ_EES10_S11_S12_S13_S17_S18_S19_S1C_S1D_jS1E_jS1F_S1F_jjS1H_bEUljE0_EEES10_S11_S12_S19_S1D_S1F_T6_T7_T9_mT8_S1H_bDpT10_ENKUlT_T0_E_clISt17integral_constantIbLb1EES1U_IbLb0EEEEDaS1Q_S1R_EUlS1Q_E_NS1_11comp_targetILNS1_3genE5ELNS1_11target_archE942ELNS1_3gpuE9ELNS1_3repE0EEENS1_30default_config_static_selectorELNS0_4arch9wavefront6targetE1EEEvS13_: ; @_ZN7rocprim17ROCPRIM_400000_NS6detail17trampoline_kernelINS0_13select_configILj256ELj13ELNS0_17block_load_methodE3ELS4_3ELS4_3ELNS0_20block_scan_algorithmE0ELj4294967295EEENS1_25partition_config_selectorILNS1_17partition_subalgoE4EjNS0_10empty_typeEbEEZZNS1_14partition_implILS8_4ELb0ES6_15HIP_vector_typeIjLj2EENS0_17counting_iteratorIjlEEPS9_SG_NS0_5tupleIJPjSI_NS0_16reverse_iteratorISI_EEEEENSH_IJSG_SG_SG_EEES9_SI_JZNS1_25segmented_radix_sort_implINS0_14default_configELb1EPK6__halfPSP_PKlPlN2at6native12_GLOBAL__N_18offset_tEEE10hipError_tPvRmT1_PNSt15iterator_traitsIS13_E10value_typeET2_T3_PNS14_IS19_E10value_typeET4_jRbjT5_S1F_jjP12ihipStream_tbEUljE_ZNSN_ISO_Lb1ESR_SS_SU_SV_SZ_EES10_S11_S12_S13_S17_S18_S19_S1C_S1D_jS1E_jS1F_S1F_jjS1H_bEUljE0_EEES10_S11_S12_S19_S1D_S1F_T6_T7_T9_mT8_S1H_bDpT10_ENKUlT_T0_E_clISt17integral_constantIbLb1EES1U_IbLb0EEEEDaS1Q_S1R_EUlS1Q_E_NS1_11comp_targetILNS1_3genE5ELNS1_11target_archE942ELNS1_3gpuE9ELNS1_3repE0EEENS1_30default_config_static_selectorELNS0_4arch9wavefront6targetE1EEEvS13_
; %bb.0:
	.section	.rodata,"a",@progbits
	.p2align	6, 0x0
	.amdhsa_kernel _ZN7rocprim17ROCPRIM_400000_NS6detail17trampoline_kernelINS0_13select_configILj256ELj13ELNS0_17block_load_methodE3ELS4_3ELS4_3ELNS0_20block_scan_algorithmE0ELj4294967295EEENS1_25partition_config_selectorILNS1_17partition_subalgoE4EjNS0_10empty_typeEbEEZZNS1_14partition_implILS8_4ELb0ES6_15HIP_vector_typeIjLj2EENS0_17counting_iteratorIjlEEPS9_SG_NS0_5tupleIJPjSI_NS0_16reverse_iteratorISI_EEEEENSH_IJSG_SG_SG_EEES9_SI_JZNS1_25segmented_radix_sort_implINS0_14default_configELb1EPK6__halfPSP_PKlPlN2at6native12_GLOBAL__N_18offset_tEEE10hipError_tPvRmT1_PNSt15iterator_traitsIS13_E10value_typeET2_T3_PNS14_IS19_E10value_typeET4_jRbjT5_S1F_jjP12ihipStream_tbEUljE_ZNSN_ISO_Lb1ESR_SS_SU_SV_SZ_EES10_S11_S12_S13_S17_S18_S19_S1C_S1D_jS1E_jS1F_S1F_jjS1H_bEUljE0_EEES10_S11_S12_S19_S1D_S1F_T6_T7_T9_mT8_S1H_bDpT10_ENKUlT_T0_E_clISt17integral_constantIbLb1EES1U_IbLb0EEEEDaS1Q_S1R_EUlS1Q_E_NS1_11comp_targetILNS1_3genE5ELNS1_11target_archE942ELNS1_3gpuE9ELNS1_3repE0EEENS1_30default_config_static_selectorELNS0_4arch9wavefront6targetE1EEEvS13_
		.amdhsa_group_segment_fixed_size 0
		.amdhsa_private_segment_fixed_size 0
		.amdhsa_kernarg_size 176
		.amdhsa_user_sgpr_count 6
		.amdhsa_user_sgpr_private_segment_buffer 1
		.amdhsa_user_sgpr_dispatch_ptr 0
		.amdhsa_user_sgpr_queue_ptr 0
		.amdhsa_user_sgpr_kernarg_segment_ptr 1
		.amdhsa_user_sgpr_dispatch_id 0
		.amdhsa_user_sgpr_flat_scratch_init 0
		.amdhsa_user_sgpr_private_segment_size 0
		.amdhsa_uses_dynamic_stack 0
		.amdhsa_system_sgpr_private_segment_wavefront_offset 0
		.amdhsa_system_sgpr_workgroup_id_x 1
		.amdhsa_system_sgpr_workgroup_id_y 0
		.amdhsa_system_sgpr_workgroup_id_z 0
		.amdhsa_system_sgpr_workgroup_info 0
		.amdhsa_system_vgpr_workitem_id 0
		.amdhsa_next_free_vgpr 1
		.amdhsa_next_free_sgpr 0
		.amdhsa_reserve_vcc 0
		.amdhsa_reserve_flat_scratch 0
		.amdhsa_float_round_mode_32 0
		.amdhsa_float_round_mode_16_64 0
		.amdhsa_float_denorm_mode_32 3
		.amdhsa_float_denorm_mode_16_64 3
		.amdhsa_dx10_clamp 1
		.amdhsa_ieee_mode 1
		.amdhsa_fp16_overflow 0
		.amdhsa_exception_fp_ieee_invalid_op 0
		.amdhsa_exception_fp_denorm_src 0
		.amdhsa_exception_fp_ieee_div_zero 0
		.amdhsa_exception_fp_ieee_overflow 0
		.amdhsa_exception_fp_ieee_underflow 0
		.amdhsa_exception_fp_ieee_inexact 0
		.amdhsa_exception_int_div_zero 0
	.end_amdhsa_kernel
	.section	.text._ZN7rocprim17ROCPRIM_400000_NS6detail17trampoline_kernelINS0_13select_configILj256ELj13ELNS0_17block_load_methodE3ELS4_3ELS4_3ELNS0_20block_scan_algorithmE0ELj4294967295EEENS1_25partition_config_selectorILNS1_17partition_subalgoE4EjNS0_10empty_typeEbEEZZNS1_14partition_implILS8_4ELb0ES6_15HIP_vector_typeIjLj2EENS0_17counting_iteratorIjlEEPS9_SG_NS0_5tupleIJPjSI_NS0_16reverse_iteratorISI_EEEEENSH_IJSG_SG_SG_EEES9_SI_JZNS1_25segmented_radix_sort_implINS0_14default_configELb1EPK6__halfPSP_PKlPlN2at6native12_GLOBAL__N_18offset_tEEE10hipError_tPvRmT1_PNSt15iterator_traitsIS13_E10value_typeET2_T3_PNS14_IS19_E10value_typeET4_jRbjT5_S1F_jjP12ihipStream_tbEUljE_ZNSN_ISO_Lb1ESR_SS_SU_SV_SZ_EES10_S11_S12_S13_S17_S18_S19_S1C_S1D_jS1E_jS1F_S1F_jjS1H_bEUljE0_EEES10_S11_S12_S19_S1D_S1F_T6_T7_T9_mT8_S1H_bDpT10_ENKUlT_T0_E_clISt17integral_constantIbLb1EES1U_IbLb0EEEEDaS1Q_S1R_EUlS1Q_E_NS1_11comp_targetILNS1_3genE5ELNS1_11target_archE942ELNS1_3gpuE9ELNS1_3repE0EEENS1_30default_config_static_selectorELNS0_4arch9wavefront6targetE1EEEvS13_,"axG",@progbits,_ZN7rocprim17ROCPRIM_400000_NS6detail17trampoline_kernelINS0_13select_configILj256ELj13ELNS0_17block_load_methodE3ELS4_3ELS4_3ELNS0_20block_scan_algorithmE0ELj4294967295EEENS1_25partition_config_selectorILNS1_17partition_subalgoE4EjNS0_10empty_typeEbEEZZNS1_14partition_implILS8_4ELb0ES6_15HIP_vector_typeIjLj2EENS0_17counting_iteratorIjlEEPS9_SG_NS0_5tupleIJPjSI_NS0_16reverse_iteratorISI_EEEEENSH_IJSG_SG_SG_EEES9_SI_JZNS1_25segmented_radix_sort_implINS0_14default_configELb1EPK6__halfPSP_PKlPlN2at6native12_GLOBAL__N_18offset_tEEE10hipError_tPvRmT1_PNSt15iterator_traitsIS13_E10value_typeET2_T3_PNS14_IS19_E10value_typeET4_jRbjT5_S1F_jjP12ihipStream_tbEUljE_ZNSN_ISO_Lb1ESR_SS_SU_SV_SZ_EES10_S11_S12_S13_S17_S18_S19_S1C_S1D_jS1E_jS1F_S1F_jjS1H_bEUljE0_EEES10_S11_S12_S19_S1D_S1F_T6_T7_T9_mT8_S1H_bDpT10_ENKUlT_T0_E_clISt17integral_constantIbLb1EES1U_IbLb0EEEEDaS1Q_S1R_EUlS1Q_E_NS1_11comp_targetILNS1_3genE5ELNS1_11target_archE942ELNS1_3gpuE9ELNS1_3repE0EEENS1_30default_config_static_selectorELNS0_4arch9wavefront6targetE1EEEvS13_,comdat
.Lfunc_end1692:
	.size	_ZN7rocprim17ROCPRIM_400000_NS6detail17trampoline_kernelINS0_13select_configILj256ELj13ELNS0_17block_load_methodE3ELS4_3ELS4_3ELNS0_20block_scan_algorithmE0ELj4294967295EEENS1_25partition_config_selectorILNS1_17partition_subalgoE4EjNS0_10empty_typeEbEEZZNS1_14partition_implILS8_4ELb0ES6_15HIP_vector_typeIjLj2EENS0_17counting_iteratorIjlEEPS9_SG_NS0_5tupleIJPjSI_NS0_16reverse_iteratorISI_EEEEENSH_IJSG_SG_SG_EEES9_SI_JZNS1_25segmented_radix_sort_implINS0_14default_configELb1EPK6__halfPSP_PKlPlN2at6native12_GLOBAL__N_18offset_tEEE10hipError_tPvRmT1_PNSt15iterator_traitsIS13_E10value_typeET2_T3_PNS14_IS19_E10value_typeET4_jRbjT5_S1F_jjP12ihipStream_tbEUljE_ZNSN_ISO_Lb1ESR_SS_SU_SV_SZ_EES10_S11_S12_S13_S17_S18_S19_S1C_S1D_jS1E_jS1F_S1F_jjS1H_bEUljE0_EEES10_S11_S12_S19_S1D_S1F_T6_T7_T9_mT8_S1H_bDpT10_ENKUlT_T0_E_clISt17integral_constantIbLb1EES1U_IbLb0EEEEDaS1Q_S1R_EUlS1Q_E_NS1_11comp_targetILNS1_3genE5ELNS1_11target_archE942ELNS1_3gpuE9ELNS1_3repE0EEENS1_30default_config_static_selectorELNS0_4arch9wavefront6targetE1EEEvS13_, .Lfunc_end1692-_ZN7rocprim17ROCPRIM_400000_NS6detail17trampoline_kernelINS0_13select_configILj256ELj13ELNS0_17block_load_methodE3ELS4_3ELS4_3ELNS0_20block_scan_algorithmE0ELj4294967295EEENS1_25partition_config_selectorILNS1_17partition_subalgoE4EjNS0_10empty_typeEbEEZZNS1_14partition_implILS8_4ELb0ES6_15HIP_vector_typeIjLj2EENS0_17counting_iteratorIjlEEPS9_SG_NS0_5tupleIJPjSI_NS0_16reverse_iteratorISI_EEEEENSH_IJSG_SG_SG_EEES9_SI_JZNS1_25segmented_radix_sort_implINS0_14default_configELb1EPK6__halfPSP_PKlPlN2at6native12_GLOBAL__N_18offset_tEEE10hipError_tPvRmT1_PNSt15iterator_traitsIS13_E10value_typeET2_T3_PNS14_IS19_E10value_typeET4_jRbjT5_S1F_jjP12ihipStream_tbEUljE_ZNSN_ISO_Lb1ESR_SS_SU_SV_SZ_EES10_S11_S12_S13_S17_S18_S19_S1C_S1D_jS1E_jS1F_S1F_jjS1H_bEUljE0_EEES10_S11_S12_S19_S1D_S1F_T6_T7_T9_mT8_S1H_bDpT10_ENKUlT_T0_E_clISt17integral_constantIbLb1EES1U_IbLb0EEEEDaS1Q_S1R_EUlS1Q_E_NS1_11comp_targetILNS1_3genE5ELNS1_11target_archE942ELNS1_3gpuE9ELNS1_3repE0EEENS1_30default_config_static_selectorELNS0_4arch9wavefront6targetE1EEEvS13_
                                        ; -- End function
	.set _ZN7rocprim17ROCPRIM_400000_NS6detail17trampoline_kernelINS0_13select_configILj256ELj13ELNS0_17block_load_methodE3ELS4_3ELS4_3ELNS0_20block_scan_algorithmE0ELj4294967295EEENS1_25partition_config_selectorILNS1_17partition_subalgoE4EjNS0_10empty_typeEbEEZZNS1_14partition_implILS8_4ELb0ES6_15HIP_vector_typeIjLj2EENS0_17counting_iteratorIjlEEPS9_SG_NS0_5tupleIJPjSI_NS0_16reverse_iteratorISI_EEEEENSH_IJSG_SG_SG_EEES9_SI_JZNS1_25segmented_radix_sort_implINS0_14default_configELb1EPK6__halfPSP_PKlPlN2at6native12_GLOBAL__N_18offset_tEEE10hipError_tPvRmT1_PNSt15iterator_traitsIS13_E10value_typeET2_T3_PNS14_IS19_E10value_typeET4_jRbjT5_S1F_jjP12ihipStream_tbEUljE_ZNSN_ISO_Lb1ESR_SS_SU_SV_SZ_EES10_S11_S12_S13_S17_S18_S19_S1C_S1D_jS1E_jS1F_S1F_jjS1H_bEUljE0_EEES10_S11_S12_S19_S1D_S1F_T6_T7_T9_mT8_S1H_bDpT10_ENKUlT_T0_E_clISt17integral_constantIbLb1EES1U_IbLb0EEEEDaS1Q_S1R_EUlS1Q_E_NS1_11comp_targetILNS1_3genE5ELNS1_11target_archE942ELNS1_3gpuE9ELNS1_3repE0EEENS1_30default_config_static_selectorELNS0_4arch9wavefront6targetE1EEEvS13_.num_vgpr, 0
	.set _ZN7rocprim17ROCPRIM_400000_NS6detail17trampoline_kernelINS0_13select_configILj256ELj13ELNS0_17block_load_methodE3ELS4_3ELS4_3ELNS0_20block_scan_algorithmE0ELj4294967295EEENS1_25partition_config_selectorILNS1_17partition_subalgoE4EjNS0_10empty_typeEbEEZZNS1_14partition_implILS8_4ELb0ES6_15HIP_vector_typeIjLj2EENS0_17counting_iteratorIjlEEPS9_SG_NS0_5tupleIJPjSI_NS0_16reverse_iteratorISI_EEEEENSH_IJSG_SG_SG_EEES9_SI_JZNS1_25segmented_radix_sort_implINS0_14default_configELb1EPK6__halfPSP_PKlPlN2at6native12_GLOBAL__N_18offset_tEEE10hipError_tPvRmT1_PNSt15iterator_traitsIS13_E10value_typeET2_T3_PNS14_IS19_E10value_typeET4_jRbjT5_S1F_jjP12ihipStream_tbEUljE_ZNSN_ISO_Lb1ESR_SS_SU_SV_SZ_EES10_S11_S12_S13_S17_S18_S19_S1C_S1D_jS1E_jS1F_S1F_jjS1H_bEUljE0_EEES10_S11_S12_S19_S1D_S1F_T6_T7_T9_mT8_S1H_bDpT10_ENKUlT_T0_E_clISt17integral_constantIbLb1EES1U_IbLb0EEEEDaS1Q_S1R_EUlS1Q_E_NS1_11comp_targetILNS1_3genE5ELNS1_11target_archE942ELNS1_3gpuE9ELNS1_3repE0EEENS1_30default_config_static_selectorELNS0_4arch9wavefront6targetE1EEEvS13_.num_agpr, 0
	.set _ZN7rocprim17ROCPRIM_400000_NS6detail17trampoline_kernelINS0_13select_configILj256ELj13ELNS0_17block_load_methodE3ELS4_3ELS4_3ELNS0_20block_scan_algorithmE0ELj4294967295EEENS1_25partition_config_selectorILNS1_17partition_subalgoE4EjNS0_10empty_typeEbEEZZNS1_14partition_implILS8_4ELb0ES6_15HIP_vector_typeIjLj2EENS0_17counting_iteratorIjlEEPS9_SG_NS0_5tupleIJPjSI_NS0_16reverse_iteratorISI_EEEEENSH_IJSG_SG_SG_EEES9_SI_JZNS1_25segmented_radix_sort_implINS0_14default_configELb1EPK6__halfPSP_PKlPlN2at6native12_GLOBAL__N_18offset_tEEE10hipError_tPvRmT1_PNSt15iterator_traitsIS13_E10value_typeET2_T3_PNS14_IS19_E10value_typeET4_jRbjT5_S1F_jjP12ihipStream_tbEUljE_ZNSN_ISO_Lb1ESR_SS_SU_SV_SZ_EES10_S11_S12_S13_S17_S18_S19_S1C_S1D_jS1E_jS1F_S1F_jjS1H_bEUljE0_EEES10_S11_S12_S19_S1D_S1F_T6_T7_T9_mT8_S1H_bDpT10_ENKUlT_T0_E_clISt17integral_constantIbLb1EES1U_IbLb0EEEEDaS1Q_S1R_EUlS1Q_E_NS1_11comp_targetILNS1_3genE5ELNS1_11target_archE942ELNS1_3gpuE9ELNS1_3repE0EEENS1_30default_config_static_selectorELNS0_4arch9wavefront6targetE1EEEvS13_.numbered_sgpr, 0
	.set _ZN7rocprim17ROCPRIM_400000_NS6detail17trampoline_kernelINS0_13select_configILj256ELj13ELNS0_17block_load_methodE3ELS4_3ELS4_3ELNS0_20block_scan_algorithmE0ELj4294967295EEENS1_25partition_config_selectorILNS1_17partition_subalgoE4EjNS0_10empty_typeEbEEZZNS1_14partition_implILS8_4ELb0ES6_15HIP_vector_typeIjLj2EENS0_17counting_iteratorIjlEEPS9_SG_NS0_5tupleIJPjSI_NS0_16reverse_iteratorISI_EEEEENSH_IJSG_SG_SG_EEES9_SI_JZNS1_25segmented_radix_sort_implINS0_14default_configELb1EPK6__halfPSP_PKlPlN2at6native12_GLOBAL__N_18offset_tEEE10hipError_tPvRmT1_PNSt15iterator_traitsIS13_E10value_typeET2_T3_PNS14_IS19_E10value_typeET4_jRbjT5_S1F_jjP12ihipStream_tbEUljE_ZNSN_ISO_Lb1ESR_SS_SU_SV_SZ_EES10_S11_S12_S13_S17_S18_S19_S1C_S1D_jS1E_jS1F_S1F_jjS1H_bEUljE0_EEES10_S11_S12_S19_S1D_S1F_T6_T7_T9_mT8_S1H_bDpT10_ENKUlT_T0_E_clISt17integral_constantIbLb1EES1U_IbLb0EEEEDaS1Q_S1R_EUlS1Q_E_NS1_11comp_targetILNS1_3genE5ELNS1_11target_archE942ELNS1_3gpuE9ELNS1_3repE0EEENS1_30default_config_static_selectorELNS0_4arch9wavefront6targetE1EEEvS13_.num_named_barrier, 0
	.set _ZN7rocprim17ROCPRIM_400000_NS6detail17trampoline_kernelINS0_13select_configILj256ELj13ELNS0_17block_load_methodE3ELS4_3ELS4_3ELNS0_20block_scan_algorithmE0ELj4294967295EEENS1_25partition_config_selectorILNS1_17partition_subalgoE4EjNS0_10empty_typeEbEEZZNS1_14partition_implILS8_4ELb0ES6_15HIP_vector_typeIjLj2EENS0_17counting_iteratorIjlEEPS9_SG_NS0_5tupleIJPjSI_NS0_16reverse_iteratorISI_EEEEENSH_IJSG_SG_SG_EEES9_SI_JZNS1_25segmented_radix_sort_implINS0_14default_configELb1EPK6__halfPSP_PKlPlN2at6native12_GLOBAL__N_18offset_tEEE10hipError_tPvRmT1_PNSt15iterator_traitsIS13_E10value_typeET2_T3_PNS14_IS19_E10value_typeET4_jRbjT5_S1F_jjP12ihipStream_tbEUljE_ZNSN_ISO_Lb1ESR_SS_SU_SV_SZ_EES10_S11_S12_S13_S17_S18_S19_S1C_S1D_jS1E_jS1F_S1F_jjS1H_bEUljE0_EEES10_S11_S12_S19_S1D_S1F_T6_T7_T9_mT8_S1H_bDpT10_ENKUlT_T0_E_clISt17integral_constantIbLb1EES1U_IbLb0EEEEDaS1Q_S1R_EUlS1Q_E_NS1_11comp_targetILNS1_3genE5ELNS1_11target_archE942ELNS1_3gpuE9ELNS1_3repE0EEENS1_30default_config_static_selectorELNS0_4arch9wavefront6targetE1EEEvS13_.private_seg_size, 0
	.set _ZN7rocprim17ROCPRIM_400000_NS6detail17trampoline_kernelINS0_13select_configILj256ELj13ELNS0_17block_load_methodE3ELS4_3ELS4_3ELNS0_20block_scan_algorithmE0ELj4294967295EEENS1_25partition_config_selectorILNS1_17partition_subalgoE4EjNS0_10empty_typeEbEEZZNS1_14partition_implILS8_4ELb0ES6_15HIP_vector_typeIjLj2EENS0_17counting_iteratorIjlEEPS9_SG_NS0_5tupleIJPjSI_NS0_16reverse_iteratorISI_EEEEENSH_IJSG_SG_SG_EEES9_SI_JZNS1_25segmented_radix_sort_implINS0_14default_configELb1EPK6__halfPSP_PKlPlN2at6native12_GLOBAL__N_18offset_tEEE10hipError_tPvRmT1_PNSt15iterator_traitsIS13_E10value_typeET2_T3_PNS14_IS19_E10value_typeET4_jRbjT5_S1F_jjP12ihipStream_tbEUljE_ZNSN_ISO_Lb1ESR_SS_SU_SV_SZ_EES10_S11_S12_S13_S17_S18_S19_S1C_S1D_jS1E_jS1F_S1F_jjS1H_bEUljE0_EEES10_S11_S12_S19_S1D_S1F_T6_T7_T9_mT8_S1H_bDpT10_ENKUlT_T0_E_clISt17integral_constantIbLb1EES1U_IbLb0EEEEDaS1Q_S1R_EUlS1Q_E_NS1_11comp_targetILNS1_3genE5ELNS1_11target_archE942ELNS1_3gpuE9ELNS1_3repE0EEENS1_30default_config_static_selectorELNS0_4arch9wavefront6targetE1EEEvS13_.uses_vcc, 0
	.set _ZN7rocprim17ROCPRIM_400000_NS6detail17trampoline_kernelINS0_13select_configILj256ELj13ELNS0_17block_load_methodE3ELS4_3ELS4_3ELNS0_20block_scan_algorithmE0ELj4294967295EEENS1_25partition_config_selectorILNS1_17partition_subalgoE4EjNS0_10empty_typeEbEEZZNS1_14partition_implILS8_4ELb0ES6_15HIP_vector_typeIjLj2EENS0_17counting_iteratorIjlEEPS9_SG_NS0_5tupleIJPjSI_NS0_16reverse_iteratorISI_EEEEENSH_IJSG_SG_SG_EEES9_SI_JZNS1_25segmented_radix_sort_implINS0_14default_configELb1EPK6__halfPSP_PKlPlN2at6native12_GLOBAL__N_18offset_tEEE10hipError_tPvRmT1_PNSt15iterator_traitsIS13_E10value_typeET2_T3_PNS14_IS19_E10value_typeET4_jRbjT5_S1F_jjP12ihipStream_tbEUljE_ZNSN_ISO_Lb1ESR_SS_SU_SV_SZ_EES10_S11_S12_S13_S17_S18_S19_S1C_S1D_jS1E_jS1F_S1F_jjS1H_bEUljE0_EEES10_S11_S12_S19_S1D_S1F_T6_T7_T9_mT8_S1H_bDpT10_ENKUlT_T0_E_clISt17integral_constantIbLb1EES1U_IbLb0EEEEDaS1Q_S1R_EUlS1Q_E_NS1_11comp_targetILNS1_3genE5ELNS1_11target_archE942ELNS1_3gpuE9ELNS1_3repE0EEENS1_30default_config_static_selectorELNS0_4arch9wavefront6targetE1EEEvS13_.uses_flat_scratch, 0
	.set _ZN7rocprim17ROCPRIM_400000_NS6detail17trampoline_kernelINS0_13select_configILj256ELj13ELNS0_17block_load_methodE3ELS4_3ELS4_3ELNS0_20block_scan_algorithmE0ELj4294967295EEENS1_25partition_config_selectorILNS1_17partition_subalgoE4EjNS0_10empty_typeEbEEZZNS1_14partition_implILS8_4ELb0ES6_15HIP_vector_typeIjLj2EENS0_17counting_iteratorIjlEEPS9_SG_NS0_5tupleIJPjSI_NS0_16reverse_iteratorISI_EEEEENSH_IJSG_SG_SG_EEES9_SI_JZNS1_25segmented_radix_sort_implINS0_14default_configELb1EPK6__halfPSP_PKlPlN2at6native12_GLOBAL__N_18offset_tEEE10hipError_tPvRmT1_PNSt15iterator_traitsIS13_E10value_typeET2_T3_PNS14_IS19_E10value_typeET4_jRbjT5_S1F_jjP12ihipStream_tbEUljE_ZNSN_ISO_Lb1ESR_SS_SU_SV_SZ_EES10_S11_S12_S13_S17_S18_S19_S1C_S1D_jS1E_jS1F_S1F_jjS1H_bEUljE0_EEES10_S11_S12_S19_S1D_S1F_T6_T7_T9_mT8_S1H_bDpT10_ENKUlT_T0_E_clISt17integral_constantIbLb1EES1U_IbLb0EEEEDaS1Q_S1R_EUlS1Q_E_NS1_11comp_targetILNS1_3genE5ELNS1_11target_archE942ELNS1_3gpuE9ELNS1_3repE0EEENS1_30default_config_static_selectorELNS0_4arch9wavefront6targetE1EEEvS13_.has_dyn_sized_stack, 0
	.set _ZN7rocprim17ROCPRIM_400000_NS6detail17trampoline_kernelINS0_13select_configILj256ELj13ELNS0_17block_load_methodE3ELS4_3ELS4_3ELNS0_20block_scan_algorithmE0ELj4294967295EEENS1_25partition_config_selectorILNS1_17partition_subalgoE4EjNS0_10empty_typeEbEEZZNS1_14partition_implILS8_4ELb0ES6_15HIP_vector_typeIjLj2EENS0_17counting_iteratorIjlEEPS9_SG_NS0_5tupleIJPjSI_NS0_16reverse_iteratorISI_EEEEENSH_IJSG_SG_SG_EEES9_SI_JZNS1_25segmented_radix_sort_implINS0_14default_configELb1EPK6__halfPSP_PKlPlN2at6native12_GLOBAL__N_18offset_tEEE10hipError_tPvRmT1_PNSt15iterator_traitsIS13_E10value_typeET2_T3_PNS14_IS19_E10value_typeET4_jRbjT5_S1F_jjP12ihipStream_tbEUljE_ZNSN_ISO_Lb1ESR_SS_SU_SV_SZ_EES10_S11_S12_S13_S17_S18_S19_S1C_S1D_jS1E_jS1F_S1F_jjS1H_bEUljE0_EEES10_S11_S12_S19_S1D_S1F_T6_T7_T9_mT8_S1H_bDpT10_ENKUlT_T0_E_clISt17integral_constantIbLb1EES1U_IbLb0EEEEDaS1Q_S1R_EUlS1Q_E_NS1_11comp_targetILNS1_3genE5ELNS1_11target_archE942ELNS1_3gpuE9ELNS1_3repE0EEENS1_30default_config_static_selectorELNS0_4arch9wavefront6targetE1EEEvS13_.has_recursion, 0
	.set _ZN7rocprim17ROCPRIM_400000_NS6detail17trampoline_kernelINS0_13select_configILj256ELj13ELNS0_17block_load_methodE3ELS4_3ELS4_3ELNS0_20block_scan_algorithmE0ELj4294967295EEENS1_25partition_config_selectorILNS1_17partition_subalgoE4EjNS0_10empty_typeEbEEZZNS1_14partition_implILS8_4ELb0ES6_15HIP_vector_typeIjLj2EENS0_17counting_iteratorIjlEEPS9_SG_NS0_5tupleIJPjSI_NS0_16reverse_iteratorISI_EEEEENSH_IJSG_SG_SG_EEES9_SI_JZNS1_25segmented_radix_sort_implINS0_14default_configELb1EPK6__halfPSP_PKlPlN2at6native12_GLOBAL__N_18offset_tEEE10hipError_tPvRmT1_PNSt15iterator_traitsIS13_E10value_typeET2_T3_PNS14_IS19_E10value_typeET4_jRbjT5_S1F_jjP12ihipStream_tbEUljE_ZNSN_ISO_Lb1ESR_SS_SU_SV_SZ_EES10_S11_S12_S13_S17_S18_S19_S1C_S1D_jS1E_jS1F_S1F_jjS1H_bEUljE0_EEES10_S11_S12_S19_S1D_S1F_T6_T7_T9_mT8_S1H_bDpT10_ENKUlT_T0_E_clISt17integral_constantIbLb1EES1U_IbLb0EEEEDaS1Q_S1R_EUlS1Q_E_NS1_11comp_targetILNS1_3genE5ELNS1_11target_archE942ELNS1_3gpuE9ELNS1_3repE0EEENS1_30default_config_static_selectorELNS0_4arch9wavefront6targetE1EEEvS13_.has_indirect_call, 0
	.section	.AMDGPU.csdata,"",@progbits
; Kernel info:
; codeLenInByte = 0
; TotalNumSgprs: 4
; NumVgprs: 0
; ScratchSize: 0
; MemoryBound: 0
; FloatMode: 240
; IeeeMode: 1
; LDSByteSize: 0 bytes/workgroup (compile time only)
; SGPRBlocks: 0
; VGPRBlocks: 0
; NumSGPRsForWavesPerEU: 4
; NumVGPRsForWavesPerEU: 1
; Occupancy: 10
; WaveLimiterHint : 0
; COMPUTE_PGM_RSRC2:SCRATCH_EN: 0
; COMPUTE_PGM_RSRC2:USER_SGPR: 6
; COMPUTE_PGM_RSRC2:TRAP_HANDLER: 0
; COMPUTE_PGM_RSRC2:TGID_X_EN: 1
; COMPUTE_PGM_RSRC2:TGID_Y_EN: 0
; COMPUTE_PGM_RSRC2:TGID_Z_EN: 0
; COMPUTE_PGM_RSRC2:TIDIG_COMP_CNT: 0
	.section	.text._ZN7rocprim17ROCPRIM_400000_NS6detail17trampoline_kernelINS0_13select_configILj256ELj13ELNS0_17block_load_methodE3ELS4_3ELS4_3ELNS0_20block_scan_algorithmE0ELj4294967295EEENS1_25partition_config_selectorILNS1_17partition_subalgoE4EjNS0_10empty_typeEbEEZZNS1_14partition_implILS8_4ELb0ES6_15HIP_vector_typeIjLj2EENS0_17counting_iteratorIjlEEPS9_SG_NS0_5tupleIJPjSI_NS0_16reverse_iteratorISI_EEEEENSH_IJSG_SG_SG_EEES9_SI_JZNS1_25segmented_radix_sort_implINS0_14default_configELb1EPK6__halfPSP_PKlPlN2at6native12_GLOBAL__N_18offset_tEEE10hipError_tPvRmT1_PNSt15iterator_traitsIS13_E10value_typeET2_T3_PNS14_IS19_E10value_typeET4_jRbjT5_S1F_jjP12ihipStream_tbEUljE_ZNSN_ISO_Lb1ESR_SS_SU_SV_SZ_EES10_S11_S12_S13_S17_S18_S19_S1C_S1D_jS1E_jS1F_S1F_jjS1H_bEUljE0_EEES10_S11_S12_S19_S1D_S1F_T6_T7_T9_mT8_S1H_bDpT10_ENKUlT_T0_E_clISt17integral_constantIbLb1EES1U_IbLb0EEEEDaS1Q_S1R_EUlS1Q_E_NS1_11comp_targetILNS1_3genE4ELNS1_11target_archE910ELNS1_3gpuE8ELNS1_3repE0EEENS1_30default_config_static_selectorELNS0_4arch9wavefront6targetE1EEEvS13_,"axG",@progbits,_ZN7rocprim17ROCPRIM_400000_NS6detail17trampoline_kernelINS0_13select_configILj256ELj13ELNS0_17block_load_methodE3ELS4_3ELS4_3ELNS0_20block_scan_algorithmE0ELj4294967295EEENS1_25partition_config_selectorILNS1_17partition_subalgoE4EjNS0_10empty_typeEbEEZZNS1_14partition_implILS8_4ELb0ES6_15HIP_vector_typeIjLj2EENS0_17counting_iteratorIjlEEPS9_SG_NS0_5tupleIJPjSI_NS0_16reverse_iteratorISI_EEEEENSH_IJSG_SG_SG_EEES9_SI_JZNS1_25segmented_radix_sort_implINS0_14default_configELb1EPK6__halfPSP_PKlPlN2at6native12_GLOBAL__N_18offset_tEEE10hipError_tPvRmT1_PNSt15iterator_traitsIS13_E10value_typeET2_T3_PNS14_IS19_E10value_typeET4_jRbjT5_S1F_jjP12ihipStream_tbEUljE_ZNSN_ISO_Lb1ESR_SS_SU_SV_SZ_EES10_S11_S12_S13_S17_S18_S19_S1C_S1D_jS1E_jS1F_S1F_jjS1H_bEUljE0_EEES10_S11_S12_S19_S1D_S1F_T6_T7_T9_mT8_S1H_bDpT10_ENKUlT_T0_E_clISt17integral_constantIbLb1EES1U_IbLb0EEEEDaS1Q_S1R_EUlS1Q_E_NS1_11comp_targetILNS1_3genE4ELNS1_11target_archE910ELNS1_3gpuE8ELNS1_3repE0EEENS1_30default_config_static_selectorELNS0_4arch9wavefront6targetE1EEEvS13_,comdat
	.globl	_ZN7rocprim17ROCPRIM_400000_NS6detail17trampoline_kernelINS0_13select_configILj256ELj13ELNS0_17block_load_methodE3ELS4_3ELS4_3ELNS0_20block_scan_algorithmE0ELj4294967295EEENS1_25partition_config_selectorILNS1_17partition_subalgoE4EjNS0_10empty_typeEbEEZZNS1_14partition_implILS8_4ELb0ES6_15HIP_vector_typeIjLj2EENS0_17counting_iteratorIjlEEPS9_SG_NS0_5tupleIJPjSI_NS0_16reverse_iteratorISI_EEEEENSH_IJSG_SG_SG_EEES9_SI_JZNS1_25segmented_radix_sort_implINS0_14default_configELb1EPK6__halfPSP_PKlPlN2at6native12_GLOBAL__N_18offset_tEEE10hipError_tPvRmT1_PNSt15iterator_traitsIS13_E10value_typeET2_T3_PNS14_IS19_E10value_typeET4_jRbjT5_S1F_jjP12ihipStream_tbEUljE_ZNSN_ISO_Lb1ESR_SS_SU_SV_SZ_EES10_S11_S12_S13_S17_S18_S19_S1C_S1D_jS1E_jS1F_S1F_jjS1H_bEUljE0_EEES10_S11_S12_S19_S1D_S1F_T6_T7_T9_mT8_S1H_bDpT10_ENKUlT_T0_E_clISt17integral_constantIbLb1EES1U_IbLb0EEEEDaS1Q_S1R_EUlS1Q_E_NS1_11comp_targetILNS1_3genE4ELNS1_11target_archE910ELNS1_3gpuE8ELNS1_3repE0EEENS1_30default_config_static_selectorELNS0_4arch9wavefront6targetE1EEEvS13_ ; -- Begin function _ZN7rocprim17ROCPRIM_400000_NS6detail17trampoline_kernelINS0_13select_configILj256ELj13ELNS0_17block_load_methodE3ELS4_3ELS4_3ELNS0_20block_scan_algorithmE0ELj4294967295EEENS1_25partition_config_selectorILNS1_17partition_subalgoE4EjNS0_10empty_typeEbEEZZNS1_14partition_implILS8_4ELb0ES6_15HIP_vector_typeIjLj2EENS0_17counting_iteratorIjlEEPS9_SG_NS0_5tupleIJPjSI_NS0_16reverse_iteratorISI_EEEEENSH_IJSG_SG_SG_EEES9_SI_JZNS1_25segmented_radix_sort_implINS0_14default_configELb1EPK6__halfPSP_PKlPlN2at6native12_GLOBAL__N_18offset_tEEE10hipError_tPvRmT1_PNSt15iterator_traitsIS13_E10value_typeET2_T3_PNS14_IS19_E10value_typeET4_jRbjT5_S1F_jjP12ihipStream_tbEUljE_ZNSN_ISO_Lb1ESR_SS_SU_SV_SZ_EES10_S11_S12_S13_S17_S18_S19_S1C_S1D_jS1E_jS1F_S1F_jjS1H_bEUljE0_EEES10_S11_S12_S19_S1D_S1F_T6_T7_T9_mT8_S1H_bDpT10_ENKUlT_T0_E_clISt17integral_constantIbLb1EES1U_IbLb0EEEEDaS1Q_S1R_EUlS1Q_E_NS1_11comp_targetILNS1_3genE4ELNS1_11target_archE910ELNS1_3gpuE8ELNS1_3repE0EEENS1_30default_config_static_selectorELNS0_4arch9wavefront6targetE1EEEvS13_
	.p2align	8
	.type	_ZN7rocprim17ROCPRIM_400000_NS6detail17trampoline_kernelINS0_13select_configILj256ELj13ELNS0_17block_load_methodE3ELS4_3ELS4_3ELNS0_20block_scan_algorithmE0ELj4294967295EEENS1_25partition_config_selectorILNS1_17partition_subalgoE4EjNS0_10empty_typeEbEEZZNS1_14partition_implILS8_4ELb0ES6_15HIP_vector_typeIjLj2EENS0_17counting_iteratorIjlEEPS9_SG_NS0_5tupleIJPjSI_NS0_16reverse_iteratorISI_EEEEENSH_IJSG_SG_SG_EEES9_SI_JZNS1_25segmented_radix_sort_implINS0_14default_configELb1EPK6__halfPSP_PKlPlN2at6native12_GLOBAL__N_18offset_tEEE10hipError_tPvRmT1_PNSt15iterator_traitsIS13_E10value_typeET2_T3_PNS14_IS19_E10value_typeET4_jRbjT5_S1F_jjP12ihipStream_tbEUljE_ZNSN_ISO_Lb1ESR_SS_SU_SV_SZ_EES10_S11_S12_S13_S17_S18_S19_S1C_S1D_jS1E_jS1F_S1F_jjS1H_bEUljE0_EEES10_S11_S12_S19_S1D_S1F_T6_T7_T9_mT8_S1H_bDpT10_ENKUlT_T0_E_clISt17integral_constantIbLb1EES1U_IbLb0EEEEDaS1Q_S1R_EUlS1Q_E_NS1_11comp_targetILNS1_3genE4ELNS1_11target_archE910ELNS1_3gpuE8ELNS1_3repE0EEENS1_30default_config_static_selectorELNS0_4arch9wavefront6targetE1EEEvS13_,@function
_ZN7rocprim17ROCPRIM_400000_NS6detail17trampoline_kernelINS0_13select_configILj256ELj13ELNS0_17block_load_methodE3ELS4_3ELS4_3ELNS0_20block_scan_algorithmE0ELj4294967295EEENS1_25partition_config_selectorILNS1_17partition_subalgoE4EjNS0_10empty_typeEbEEZZNS1_14partition_implILS8_4ELb0ES6_15HIP_vector_typeIjLj2EENS0_17counting_iteratorIjlEEPS9_SG_NS0_5tupleIJPjSI_NS0_16reverse_iteratorISI_EEEEENSH_IJSG_SG_SG_EEES9_SI_JZNS1_25segmented_radix_sort_implINS0_14default_configELb1EPK6__halfPSP_PKlPlN2at6native12_GLOBAL__N_18offset_tEEE10hipError_tPvRmT1_PNSt15iterator_traitsIS13_E10value_typeET2_T3_PNS14_IS19_E10value_typeET4_jRbjT5_S1F_jjP12ihipStream_tbEUljE_ZNSN_ISO_Lb1ESR_SS_SU_SV_SZ_EES10_S11_S12_S13_S17_S18_S19_S1C_S1D_jS1E_jS1F_S1F_jjS1H_bEUljE0_EEES10_S11_S12_S19_S1D_S1F_T6_T7_T9_mT8_S1H_bDpT10_ENKUlT_T0_E_clISt17integral_constantIbLb1EES1U_IbLb0EEEEDaS1Q_S1R_EUlS1Q_E_NS1_11comp_targetILNS1_3genE4ELNS1_11target_archE910ELNS1_3gpuE8ELNS1_3repE0EEENS1_30default_config_static_selectorELNS0_4arch9wavefront6targetE1EEEvS13_: ; @_ZN7rocprim17ROCPRIM_400000_NS6detail17trampoline_kernelINS0_13select_configILj256ELj13ELNS0_17block_load_methodE3ELS4_3ELS4_3ELNS0_20block_scan_algorithmE0ELj4294967295EEENS1_25partition_config_selectorILNS1_17partition_subalgoE4EjNS0_10empty_typeEbEEZZNS1_14partition_implILS8_4ELb0ES6_15HIP_vector_typeIjLj2EENS0_17counting_iteratorIjlEEPS9_SG_NS0_5tupleIJPjSI_NS0_16reverse_iteratorISI_EEEEENSH_IJSG_SG_SG_EEES9_SI_JZNS1_25segmented_radix_sort_implINS0_14default_configELb1EPK6__halfPSP_PKlPlN2at6native12_GLOBAL__N_18offset_tEEE10hipError_tPvRmT1_PNSt15iterator_traitsIS13_E10value_typeET2_T3_PNS14_IS19_E10value_typeET4_jRbjT5_S1F_jjP12ihipStream_tbEUljE_ZNSN_ISO_Lb1ESR_SS_SU_SV_SZ_EES10_S11_S12_S13_S17_S18_S19_S1C_S1D_jS1E_jS1F_S1F_jjS1H_bEUljE0_EEES10_S11_S12_S19_S1D_S1F_T6_T7_T9_mT8_S1H_bDpT10_ENKUlT_T0_E_clISt17integral_constantIbLb1EES1U_IbLb0EEEEDaS1Q_S1R_EUlS1Q_E_NS1_11comp_targetILNS1_3genE4ELNS1_11target_archE910ELNS1_3gpuE8ELNS1_3repE0EEENS1_30default_config_static_selectorELNS0_4arch9wavefront6targetE1EEEvS13_
; %bb.0:
	.section	.rodata,"a",@progbits
	.p2align	6, 0x0
	.amdhsa_kernel _ZN7rocprim17ROCPRIM_400000_NS6detail17trampoline_kernelINS0_13select_configILj256ELj13ELNS0_17block_load_methodE3ELS4_3ELS4_3ELNS0_20block_scan_algorithmE0ELj4294967295EEENS1_25partition_config_selectorILNS1_17partition_subalgoE4EjNS0_10empty_typeEbEEZZNS1_14partition_implILS8_4ELb0ES6_15HIP_vector_typeIjLj2EENS0_17counting_iteratorIjlEEPS9_SG_NS0_5tupleIJPjSI_NS0_16reverse_iteratorISI_EEEEENSH_IJSG_SG_SG_EEES9_SI_JZNS1_25segmented_radix_sort_implINS0_14default_configELb1EPK6__halfPSP_PKlPlN2at6native12_GLOBAL__N_18offset_tEEE10hipError_tPvRmT1_PNSt15iterator_traitsIS13_E10value_typeET2_T3_PNS14_IS19_E10value_typeET4_jRbjT5_S1F_jjP12ihipStream_tbEUljE_ZNSN_ISO_Lb1ESR_SS_SU_SV_SZ_EES10_S11_S12_S13_S17_S18_S19_S1C_S1D_jS1E_jS1F_S1F_jjS1H_bEUljE0_EEES10_S11_S12_S19_S1D_S1F_T6_T7_T9_mT8_S1H_bDpT10_ENKUlT_T0_E_clISt17integral_constantIbLb1EES1U_IbLb0EEEEDaS1Q_S1R_EUlS1Q_E_NS1_11comp_targetILNS1_3genE4ELNS1_11target_archE910ELNS1_3gpuE8ELNS1_3repE0EEENS1_30default_config_static_selectorELNS0_4arch9wavefront6targetE1EEEvS13_
		.amdhsa_group_segment_fixed_size 0
		.amdhsa_private_segment_fixed_size 0
		.amdhsa_kernarg_size 176
		.amdhsa_user_sgpr_count 6
		.amdhsa_user_sgpr_private_segment_buffer 1
		.amdhsa_user_sgpr_dispatch_ptr 0
		.amdhsa_user_sgpr_queue_ptr 0
		.amdhsa_user_sgpr_kernarg_segment_ptr 1
		.amdhsa_user_sgpr_dispatch_id 0
		.amdhsa_user_sgpr_flat_scratch_init 0
		.amdhsa_user_sgpr_private_segment_size 0
		.amdhsa_uses_dynamic_stack 0
		.amdhsa_system_sgpr_private_segment_wavefront_offset 0
		.amdhsa_system_sgpr_workgroup_id_x 1
		.amdhsa_system_sgpr_workgroup_id_y 0
		.amdhsa_system_sgpr_workgroup_id_z 0
		.amdhsa_system_sgpr_workgroup_info 0
		.amdhsa_system_vgpr_workitem_id 0
		.amdhsa_next_free_vgpr 1
		.amdhsa_next_free_sgpr 0
		.amdhsa_reserve_vcc 0
		.amdhsa_reserve_flat_scratch 0
		.amdhsa_float_round_mode_32 0
		.amdhsa_float_round_mode_16_64 0
		.amdhsa_float_denorm_mode_32 3
		.amdhsa_float_denorm_mode_16_64 3
		.amdhsa_dx10_clamp 1
		.amdhsa_ieee_mode 1
		.amdhsa_fp16_overflow 0
		.amdhsa_exception_fp_ieee_invalid_op 0
		.amdhsa_exception_fp_denorm_src 0
		.amdhsa_exception_fp_ieee_div_zero 0
		.amdhsa_exception_fp_ieee_overflow 0
		.amdhsa_exception_fp_ieee_underflow 0
		.amdhsa_exception_fp_ieee_inexact 0
		.amdhsa_exception_int_div_zero 0
	.end_amdhsa_kernel
	.section	.text._ZN7rocprim17ROCPRIM_400000_NS6detail17trampoline_kernelINS0_13select_configILj256ELj13ELNS0_17block_load_methodE3ELS4_3ELS4_3ELNS0_20block_scan_algorithmE0ELj4294967295EEENS1_25partition_config_selectorILNS1_17partition_subalgoE4EjNS0_10empty_typeEbEEZZNS1_14partition_implILS8_4ELb0ES6_15HIP_vector_typeIjLj2EENS0_17counting_iteratorIjlEEPS9_SG_NS0_5tupleIJPjSI_NS0_16reverse_iteratorISI_EEEEENSH_IJSG_SG_SG_EEES9_SI_JZNS1_25segmented_radix_sort_implINS0_14default_configELb1EPK6__halfPSP_PKlPlN2at6native12_GLOBAL__N_18offset_tEEE10hipError_tPvRmT1_PNSt15iterator_traitsIS13_E10value_typeET2_T3_PNS14_IS19_E10value_typeET4_jRbjT5_S1F_jjP12ihipStream_tbEUljE_ZNSN_ISO_Lb1ESR_SS_SU_SV_SZ_EES10_S11_S12_S13_S17_S18_S19_S1C_S1D_jS1E_jS1F_S1F_jjS1H_bEUljE0_EEES10_S11_S12_S19_S1D_S1F_T6_T7_T9_mT8_S1H_bDpT10_ENKUlT_T0_E_clISt17integral_constantIbLb1EES1U_IbLb0EEEEDaS1Q_S1R_EUlS1Q_E_NS1_11comp_targetILNS1_3genE4ELNS1_11target_archE910ELNS1_3gpuE8ELNS1_3repE0EEENS1_30default_config_static_selectorELNS0_4arch9wavefront6targetE1EEEvS13_,"axG",@progbits,_ZN7rocprim17ROCPRIM_400000_NS6detail17trampoline_kernelINS0_13select_configILj256ELj13ELNS0_17block_load_methodE3ELS4_3ELS4_3ELNS0_20block_scan_algorithmE0ELj4294967295EEENS1_25partition_config_selectorILNS1_17partition_subalgoE4EjNS0_10empty_typeEbEEZZNS1_14partition_implILS8_4ELb0ES6_15HIP_vector_typeIjLj2EENS0_17counting_iteratorIjlEEPS9_SG_NS0_5tupleIJPjSI_NS0_16reverse_iteratorISI_EEEEENSH_IJSG_SG_SG_EEES9_SI_JZNS1_25segmented_radix_sort_implINS0_14default_configELb1EPK6__halfPSP_PKlPlN2at6native12_GLOBAL__N_18offset_tEEE10hipError_tPvRmT1_PNSt15iterator_traitsIS13_E10value_typeET2_T3_PNS14_IS19_E10value_typeET4_jRbjT5_S1F_jjP12ihipStream_tbEUljE_ZNSN_ISO_Lb1ESR_SS_SU_SV_SZ_EES10_S11_S12_S13_S17_S18_S19_S1C_S1D_jS1E_jS1F_S1F_jjS1H_bEUljE0_EEES10_S11_S12_S19_S1D_S1F_T6_T7_T9_mT8_S1H_bDpT10_ENKUlT_T0_E_clISt17integral_constantIbLb1EES1U_IbLb0EEEEDaS1Q_S1R_EUlS1Q_E_NS1_11comp_targetILNS1_3genE4ELNS1_11target_archE910ELNS1_3gpuE8ELNS1_3repE0EEENS1_30default_config_static_selectorELNS0_4arch9wavefront6targetE1EEEvS13_,comdat
.Lfunc_end1693:
	.size	_ZN7rocprim17ROCPRIM_400000_NS6detail17trampoline_kernelINS0_13select_configILj256ELj13ELNS0_17block_load_methodE3ELS4_3ELS4_3ELNS0_20block_scan_algorithmE0ELj4294967295EEENS1_25partition_config_selectorILNS1_17partition_subalgoE4EjNS0_10empty_typeEbEEZZNS1_14partition_implILS8_4ELb0ES6_15HIP_vector_typeIjLj2EENS0_17counting_iteratorIjlEEPS9_SG_NS0_5tupleIJPjSI_NS0_16reverse_iteratorISI_EEEEENSH_IJSG_SG_SG_EEES9_SI_JZNS1_25segmented_radix_sort_implINS0_14default_configELb1EPK6__halfPSP_PKlPlN2at6native12_GLOBAL__N_18offset_tEEE10hipError_tPvRmT1_PNSt15iterator_traitsIS13_E10value_typeET2_T3_PNS14_IS19_E10value_typeET4_jRbjT5_S1F_jjP12ihipStream_tbEUljE_ZNSN_ISO_Lb1ESR_SS_SU_SV_SZ_EES10_S11_S12_S13_S17_S18_S19_S1C_S1D_jS1E_jS1F_S1F_jjS1H_bEUljE0_EEES10_S11_S12_S19_S1D_S1F_T6_T7_T9_mT8_S1H_bDpT10_ENKUlT_T0_E_clISt17integral_constantIbLb1EES1U_IbLb0EEEEDaS1Q_S1R_EUlS1Q_E_NS1_11comp_targetILNS1_3genE4ELNS1_11target_archE910ELNS1_3gpuE8ELNS1_3repE0EEENS1_30default_config_static_selectorELNS0_4arch9wavefront6targetE1EEEvS13_, .Lfunc_end1693-_ZN7rocprim17ROCPRIM_400000_NS6detail17trampoline_kernelINS0_13select_configILj256ELj13ELNS0_17block_load_methodE3ELS4_3ELS4_3ELNS0_20block_scan_algorithmE0ELj4294967295EEENS1_25partition_config_selectorILNS1_17partition_subalgoE4EjNS0_10empty_typeEbEEZZNS1_14partition_implILS8_4ELb0ES6_15HIP_vector_typeIjLj2EENS0_17counting_iteratorIjlEEPS9_SG_NS0_5tupleIJPjSI_NS0_16reverse_iteratorISI_EEEEENSH_IJSG_SG_SG_EEES9_SI_JZNS1_25segmented_radix_sort_implINS0_14default_configELb1EPK6__halfPSP_PKlPlN2at6native12_GLOBAL__N_18offset_tEEE10hipError_tPvRmT1_PNSt15iterator_traitsIS13_E10value_typeET2_T3_PNS14_IS19_E10value_typeET4_jRbjT5_S1F_jjP12ihipStream_tbEUljE_ZNSN_ISO_Lb1ESR_SS_SU_SV_SZ_EES10_S11_S12_S13_S17_S18_S19_S1C_S1D_jS1E_jS1F_S1F_jjS1H_bEUljE0_EEES10_S11_S12_S19_S1D_S1F_T6_T7_T9_mT8_S1H_bDpT10_ENKUlT_T0_E_clISt17integral_constantIbLb1EES1U_IbLb0EEEEDaS1Q_S1R_EUlS1Q_E_NS1_11comp_targetILNS1_3genE4ELNS1_11target_archE910ELNS1_3gpuE8ELNS1_3repE0EEENS1_30default_config_static_selectorELNS0_4arch9wavefront6targetE1EEEvS13_
                                        ; -- End function
	.set _ZN7rocprim17ROCPRIM_400000_NS6detail17trampoline_kernelINS0_13select_configILj256ELj13ELNS0_17block_load_methodE3ELS4_3ELS4_3ELNS0_20block_scan_algorithmE0ELj4294967295EEENS1_25partition_config_selectorILNS1_17partition_subalgoE4EjNS0_10empty_typeEbEEZZNS1_14partition_implILS8_4ELb0ES6_15HIP_vector_typeIjLj2EENS0_17counting_iteratorIjlEEPS9_SG_NS0_5tupleIJPjSI_NS0_16reverse_iteratorISI_EEEEENSH_IJSG_SG_SG_EEES9_SI_JZNS1_25segmented_radix_sort_implINS0_14default_configELb1EPK6__halfPSP_PKlPlN2at6native12_GLOBAL__N_18offset_tEEE10hipError_tPvRmT1_PNSt15iterator_traitsIS13_E10value_typeET2_T3_PNS14_IS19_E10value_typeET4_jRbjT5_S1F_jjP12ihipStream_tbEUljE_ZNSN_ISO_Lb1ESR_SS_SU_SV_SZ_EES10_S11_S12_S13_S17_S18_S19_S1C_S1D_jS1E_jS1F_S1F_jjS1H_bEUljE0_EEES10_S11_S12_S19_S1D_S1F_T6_T7_T9_mT8_S1H_bDpT10_ENKUlT_T0_E_clISt17integral_constantIbLb1EES1U_IbLb0EEEEDaS1Q_S1R_EUlS1Q_E_NS1_11comp_targetILNS1_3genE4ELNS1_11target_archE910ELNS1_3gpuE8ELNS1_3repE0EEENS1_30default_config_static_selectorELNS0_4arch9wavefront6targetE1EEEvS13_.num_vgpr, 0
	.set _ZN7rocprim17ROCPRIM_400000_NS6detail17trampoline_kernelINS0_13select_configILj256ELj13ELNS0_17block_load_methodE3ELS4_3ELS4_3ELNS0_20block_scan_algorithmE0ELj4294967295EEENS1_25partition_config_selectorILNS1_17partition_subalgoE4EjNS0_10empty_typeEbEEZZNS1_14partition_implILS8_4ELb0ES6_15HIP_vector_typeIjLj2EENS0_17counting_iteratorIjlEEPS9_SG_NS0_5tupleIJPjSI_NS0_16reverse_iteratorISI_EEEEENSH_IJSG_SG_SG_EEES9_SI_JZNS1_25segmented_radix_sort_implINS0_14default_configELb1EPK6__halfPSP_PKlPlN2at6native12_GLOBAL__N_18offset_tEEE10hipError_tPvRmT1_PNSt15iterator_traitsIS13_E10value_typeET2_T3_PNS14_IS19_E10value_typeET4_jRbjT5_S1F_jjP12ihipStream_tbEUljE_ZNSN_ISO_Lb1ESR_SS_SU_SV_SZ_EES10_S11_S12_S13_S17_S18_S19_S1C_S1D_jS1E_jS1F_S1F_jjS1H_bEUljE0_EEES10_S11_S12_S19_S1D_S1F_T6_T7_T9_mT8_S1H_bDpT10_ENKUlT_T0_E_clISt17integral_constantIbLb1EES1U_IbLb0EEEEDaS1Q_S1R_EUlS1Q_E_NS1_11comp_targetILNS1_3genE4ELNS1_11target_archE910ELNS1_3gpuE8ELNS1_3repE0EEENS1_30default_config_static_selectorELNS0_4arch9wavefront6targetE1EEEvS13_.num_agpr, 0
	.set _ZN7rocprim17ROCPRIM_400000_NS6detail17trampoline_kernelINS0_13select_configILj256ELj13ELNS0_17block_load_methodE3ELS4_3ELS4_3ELNS0_20block_scan_algorithmE0ELj4294967295EEENS1_25partition_config_selectorILNS1_17partition_subalgoE4EjNS0_10empty_typeEbEEZZNS1_14partition_implILS8_4ELb0ES6_15HIP_vector_typeIjLj2EENS0_17counting_iteratorIjlEEPS9_SG_NS0_5tupleIJPjSI_NS0_16reverse_iteratorISI_EEEEENSH_IJSG_SG_SG_EEES9_SI_JZNS1_25segmented_radix_sort_implINS0_14default_configELb1EPK6__halfPSP_PKlPlN2at6native12_GLOBAL__N_18offset_tEEE10hipError_tPvRmT1_PNSt15iterator_traitsIS13_E10value_typeET2_T3_PNS14_IS19_E10value_typeET4_jRbjT5_S1F_jjP12ihipStream_tbEUljE_ZNSN_ISO_Lb1ESR_SS_SU_SV_SZ_EES10_S11_S12_S13_S17_S18_S19_S1C_S1D_jS1E_jS1F_S1F_jjS1H_bEUljE0_EEES10_S11_S12_S19_S1D_S1F_T6_T7_T9_mT8_S1H_bDpT10_ENKUlT_T0_E_clISt17integral_constantIbLb1EES1U_IbLb0EEEEDaS1Q_S1R_EUlS1Q_E_NS1_11comp_targetILNS1_3genE4ELNS1_11target_archE910ELNS1_3gpuE8ELNS1_3repE0EEENS1_30default_config_static_selectorELNS0_4arch9wavefront6targetE1EEEvS13_.numbered_sgpr, 0
	.set _ZN7rocprim17ROCPRIM_400000_NS6detail17trampoline_kernelINS0_13select_configILj256ELj13ELNS0_17block_load_methodE3ELS4_3ELS4_3ELNS0_20block_scan_algorithmE0ELj4294967295EEENS1_25partition_config_selectorILNS1_17partition_subalgoE4EjNS0_10empty_typeEbEEZZNS1_14partition_implILS8_4ELb0ES6_15HIP_vector_typeIjLj2EENS0_17counting_iteratorIjlEEPS9_SG_NS0_5tupleIJPjSI_NS0_16reverse_iteratorISI_EEEEENSH_IJSG_SG_SG_EEES9_SI_JZNS1_25segmented_radix_sort_implINS0_14default_configELb1EPK6__halfPSP_PKlPlN2at6native12_GLOBAL__N_18offset_tEEE10hipError_tPvRmT1_PNSt15iterator_traitsIS13_E10value_typeET2_T3_PNS14_IS19_E10value_typeET4_jRbjT5_S1F_jjP12ihipStream_tbEUljE_ZNSN_ISO_Lb1ESR_SS_SU_SV_SZ_EES10_S11_S12_S13_S17_S18_S19_S1C_S1D_jS1E_jS1F_S1F_jjS1H_bEUljE0_EEES10_S11_S12_S19_S1D_S1F_T6_T7_T9_mT8_S1H_bDpT10_ENKUlT_T0_E_clISt17integral_constantIbLb1EES1U_IbLb0EEEEDaS1Q_S1R_EUlS1Q_E_NS1_11comp_targetILNS1_3genE4ELNS1_11target_archE910ELNS1_3gpuE8ELNS1_3repE0EEENS1_30default_config_static_selectorELNS0_4arch9wavefront6targetE1EEEvS13_.num_named_barrier, 0
	.set _ZN7rocprim17ROCPRIM_400000_NS6detail17trampoline_kernelINS0_13select_configILj256ELj13ELNS0_17block_load_methodE3ELS4_3ELS4_3ELNS0_20block_scan_algorithmE0ELj4294967295EEENS1_25partition_config_selectorILNS1_17partition_subalgoE4EjNS0_10empty_typeEbEEZZNS1_14partition_implILS8_4ELb0ES6_15HIP_vector_typeIjLj2EENS0_17counting_iteratorIjlEEPS9_SG_NS0_5tupleIJPjSI_NS0_16reverse_iteratorISI_EEEEENSH_IJSG_SG_SG_EEES9_SI_JZNS1_25segmented_radix_sort_implINS0_14default_configELb1EPK6__halfPSP_PKlPlN2at6native12_GLOBAL__N_18offset_tEEE10hipError_tPvRmT1_PNSt15iterator_traitsIS13_E10value_typeET2_T3_PNS14_IS19_E10value_typeET4_jRbjT5_S1F_jjP12ihipStream_tbEUljE_ZNSN_ISO_Lb1ESR_SS_SU_SV_SZ_EES10_S11_S12_S13_S17_S18_S19_S1C_S1D_jS1E_jS1F_S1F_jjS1H_bEUljE0_EEES10_S11_S12_S19_S1D_S1F_T6_T7_T9_mT8_S1H_bDpT10_ENKUlT_T0_E_clISt17integral_constantIbLb1EES1U_IbLb0EEEEDaS1Q_S1R_EUlS1Q_E_NS1_11comp_targetILNS1_3genE4ELNS1_11target_archE910ELNS1_3gpuE8ELNS1_3repE0EEENS1_30default_config_static_selectorELNS0_4arch9wavefront6targetE1EEEvS13_.private_seg_size, 0
	.set _ZN7rocprim17ROCPRIM_400000_NS6detail17trampoline_kernelINS0_13select_configILj256ELj13ELNS0_17block_load_methodE3ELS4_3ELS4_3ELNS0_20block_scan_algorithmE0ELj4294967295EEENS1_25partition_config_selectorILNS1_17partition_subalgoE4EjNS0_10empty_typeEbEEZZNS1_14partition_implILS8_4ELb0ES6_15HIP_vector_typeIjLj2EENS0_17counting_iteratorIjlEEPS9_SG_NS0_5tupleIJPjSI_NS0_16reverse_iteratorISI_EEEEENSH_IJSG_SG_SG_EEES9_SI_JZNS1_25segmented_radix_sort_implINS0_14default_configELb1EPK6__halfPSP_PKlPlN2at6native12_GLOBAL__N_18offset_tEEE10hipError_tPvRmT1_PNSt15iterator_traitsIS13_E10value_typeET2_T3_PNS14_IS19_E10value_typeET4_jRbjT5_S1F_jjP12ihipStream_tbEUljE_ZNSN_ISO_Lb1ESR_SS_SU_SV_SZ_EES10_S11_S12_S13_S17_S18_S19_S1C_S1D_jS1E_jS1F_S1F_jjS1H_bEUljE0_EEES10_S11_S12_S19_S1D_S1F_T6_T7_T9_mT8_S1H_bDpT10_ENKUlT_T0_E_clISt17integral_constantIbLb1EES1U_IbLb0EEEEDaS1Q_S1R_EUlS1Q_E_NS1_11comp_targetILNS1_3genE4ELNS1_11target_archE910ELNS1_3gpuE8ELNS1_3repE0EEENS1_30default_config_static_selectorELNS0_4arch9wavefront6targetE1EEEvS13_.uses_vcc, 0
	.set _ZN7rocprim17ROCPRIM_400000_NS6detail17trampoline_kernelINS0_13select_configILj256ELj13ELNS0_17block_load_methodE3ELS4_3ELS4_3ELNS0_20block_scan_algorithmE0ELj4294967295EEENS1_25partition_config_selectorILNS1_17partition_subalgoE4EjNS0_10empty_typeEbEEZZNS1_14partition_implILS8_4ELb0ES6_15HIP_vector_typeIjLj2EENS0_17counting_iteratorIjlEEPS9_SG_NS0_5tupleIJPjSI_NS0_16reverse_iteratorISI_EEEEENSH_IJSG_SG_SG_EEES9_SI_JZNS1_25segmented_radix_sort_implINS0_14default_configELb1EPK6__halfPSP_PKlPlN2at6native12_GLOBAL__N_18offset_tEEE10hipError_tPvRmT1_PNSt15iterator_traitsIS13_E10value_typeET2_T3_PNS14_IS19_E10value_typeET4_jRbjT5_S1F_jjP12ihipStream_tbEUljE_ZNSN_ISO_Lb1ESR_SS_SU_SV_SZ_EES10_S11_S12_S13_S17_S18_S19_S1C_S1D_jS1E_jS1F_S1F_jjS1H_bEUljE0_EEES10_S11_S12_S19_S1D_S1F_T6_T7_T9_mT8_S1H_bDpT10_ENKUlT_T0_E_clISt17integral_constantIbLb1EES1U_IbLb0EEEEDaS1Q_S1R_EUlS1Q_E_NS1_11comp_targetILNS1_3genE4ELNS1_11target_archE910ELNS1_3gpuE8ELNS1_3repE0EEENS1_30default_config_static_selectorELNS0_4arch9wavefront6targetE1EEEvS13_.uses_flat_scratch, 0
	.set _ZN7rocprim17ROCPRIM_400000_NS6detail17trampoline_kernelINS0_13select_configILj256ELj13ELNS0_17block_load_methodE3ELS4_3ELS4_3ELNS0_20block_scan_algorithmE0ELj4294967295EEENS1_25partition_config_selectorILNS1_17partition_subalgoE4EjNS0_10empty_typeEbEEZZNS1_14partition_implILS8_4ELb0ES6_15HIP_vector_typeIjLj2EENS0_17counting_iteratorIjlEEPS9_SG_NS0_5tupleIJPjSI_NS0_16reverse_iteratorISI_EEEEENSH_IJSG_SG_SG_EEES9_SI_JZNS1_25segmented_radix_sort_implINS0_14default_configELb1EPK6__halfPSP_PKlPlN2at6native12_GLOBAL__N_18offset_tEEE10hipError_tPvRmT1_PNSt15iterator_traitsIS13_E10value_typeET2_T3_PNS14_IS19_E10value_typeET4_jRbjT5_S1F_jjP12ihipStream_tbEUljE_ZNSN_ISO_Lb1ESR_SS_SU_SV_SZ_EES10_S11_S12_S13_S17_S18_S19_S1C_S1D_jS1E_jS1F_S1F_jjS1H_bEUljE0_EEES10_S11_S12_S19_S1D_S1F_T6_T7_T9_mT8_S1H_bDpT10_ENKUlT_T0_E_clISt17integral_constantIbLb1EES1U_IbLb0EEEEDaS1Q_S1R_EUlS1Q_E_NS1_11comp_targetILNS1_3genE4ELNS1_11target_archE910ELNS1_3gpuE8ELNS1_3repE0EEENS1_30default_config_static_selectorELNS0_4arch9wavefront6targetE1EEEvS13_.has_dyn_sized_stack, 0
	.set _ZN7rocprim17ROCPRIM_400000_NS6detail17trampoline_kernelINS0_13select_configILj256ELj13ELNS0_17block_load_methodE3ELS4_3ELS4_3ELNS0_20block_scan_algorithmE0ELj4294967295EEENS1_25partition_config_selectorILNS1_17partition_subalgoE4EjNS0_10empty_typeEbEEZZNS1_14partition_implILS8_4ELb0ES6_15HIP_vector_typeIjLj2EENS0_17counting_iteratorIjlEEPS9_SG_NS0_5tupleIJPjSI_NS0_16reverse_iteratorISI_EEEEENSH_IJSG_SG_SG_EEES9_SI_JZNS1_25segmented_radix_sort_implINS0_14default_configELb1EPK6__halfPSP_PKlPlN2at6native12_GLOBAL__N_18offset_tEEE10hipError_tPvRmT1_PNSt15iterator_traitsIS13_E10value_typeET2_T3_PNS14_IS19_E10value_typeET4_jRbjT5_S1F_jjP12ihipStream_tbEUljE_ZNSN_ISO_Lb1ESR_SS_SU_SV_SZ_EES10_S11_S12_S13_S17_S18_S19_S1C_S1D_jS1E_jS1F_S1F_jjS1H_bEUljE0_EEES10_S11_S12_S19_S1D_S1F_T6_T7_T9_mT8_S1H_bDpT10_ENKUlT_T0_E_clISt17integral_constantIbLb1EES1U_IbLb0EEEEDaS1Q_S1R_EUlS1Q_E_NS1_11comp_targetILNS1_3genE4ELNS1_11target_archE910ELNS1_3gpuE8ELNS1_3repE0EEENS1_30default_config_static_selectorELNS0_4arch9wavefront6targetE1EEEvS13_.has_recursion, 0
	.set _ZN7rocprim17ROCPRIM_400000_NS6detail17trampoline_kernelINS0_13select_configILj256ELj13ELNS0_17block_load_methodE3ELS4_3ELS4_3ELNS0_20block_scan_algorithmE0ELj4294967295EEENS1_25partition_config_selectorILNS1_17partition_subalgoE4EjNS0_10empty_typeEbEEZZNS1_14partition_implILS8_4ELb0ES6_15HIP_vector_typeIjLj2EENS0_17counting_iteratorIjlEEPS9_SG_NS0_5tupleIJPjSI_NS0_16reverse_iteratorISI_EEEEENSH_IJSG_SG_SG_EEES9_SI_JZNS1_25segmented_radix_sort_implINS0_14default_configELb1EPK6__halfPSP_PKlPlN2at6native12_GLOBAL__N_18offset_tEEE10hipError_tPvRmT1_PNSt15iterator_traitsIS13_E10value_typeET2_T3_PNS14_IS19_E10value_typeET4_jRbjT5_S1F_jjP12ihipStream_tbEUljE_ZNSN_ISO_Lb1ESR_SS_SU_SV_SZ_EES10_S11_S12_S13_S17_S18_S19_S1C_S1D_jS1E_jS1F_S1F_jjS1H_bEUljE0_EEES10_S11_S12_S19_S1D_S1F_T6_T7_T9_mT8_S1H_bDpT10_ENKUlT_T0_E_clISt17integral_constantIbLb1EES1U_IbLb0EEEEDaS1Q_S1R_EUlS1Q_E_NS1_11comp_targetILNS1_3genE4ELNS1_11target_archE910ELNS1_3gpuE8ELNS1_3repE0EEENS1_30default_config_static_selectorELNS0_4arch9wavefront6targetE1EEEvS13_.has_indirect_call, 0
	.section	.AMDGPU.csdata,"",@progbits
; Kernel info:
; codeLenInByte = 0
; TotalNumSgprs: 4
; NumVgprs: 0
; ScratchSize: 0
; MemoryBound: 0
; FloatMode: 240
; IeeeMode: 1
; LDSByteSize: 0 bytes/workgroup (compile time only)
; SGPRBlocks: 0
; VGPRBlocks: 0
; NumSGPRsForWavesPerEU: 4
; NumVGPRsForWavesPerEU: 1
; Occupancy: 10
; WaveLimiterHint : 0
; COMPUTE_PGM_RSRC2:SCRATCH_EN: 0
; COMPUTE_PGM_RSRC2:USER_SGPR: 6
; COMPUTE_PGM_RSRC2:TRAP_HANDLER: 0
; COMPUTE_PGM_RSRC2:TGID_X_EN: 1
; COMPUTE_PGM_RSRC2:TGID_Y_EN: 0
; COMPUTE_PGM_RSRC2:TGID_Z_EN: 0
; COMPUTE_PGM_RSRC2:TIDIG_COMP_CNT: 0
	.section	.text._ZN7rocprim17ROCPRIM_400000_NS6detail17trampoline_kernelINS0_13select_configILj256ELj13ELNS0_17block_load_methodE3ELS4_3ELS4_3ELNS0_20block_scan_algorithmE0ELj4294967295EEENS1_25partition_config_selectorILNS1_17partition_subalgoE4EjNS0_10empty_typeEbEEZZNS1_14partition_implILS8_4ELb0ES6_15HIP_vector_typeIjLj2EENS0_17counting_iteratorIjlEEPS9_SG_NS0_5tupleIJPjSI_NS0_16reverse_iteratorISI_EEEEENSH_IJSG_SG_SG_EEES9_SI_JZNS1_25segmented_radix_sort_implINS0_14default_configELb1EPK6__halfPSP_PKlPlN2at6native12_GLOBAL__N_18offset_tEEE10hipError_tPvRmT1_PNSt15iterator_traitsIS13_E10value_typeET2_T3_PNS14_IS19_E10value_typeET4_jRbjT5_S1F_jjP12ihipStream_tbEUljE_ZNSN_ISO_Lb1ESR_SS_SU_SV_SZ_EES10_S11_S12_S13_S17_S18_S19_S1C_S1D_jS1E_jS1F_S1F_jjS1H_bEUljE0_EEES10_S11_S12_S19_S1D_S1F_T6_T7_T9_mT8_S1H_bDpT10_ENKUlT_T0_E_clISt17integral_constantIbLb1EES1U_IbLb0EEEEDaS1Q_S1R_EUlS1Q_E_NS1_11comp_targetILNS1_3genE3ELNS1_11target_archE908ELNS1_3gpuE7ELNS1_3repE0EEENS1_30default_config_static_selectorELNS0_4arch9wavefront6targetE1EEEvS13_,"axG",@progbits,_ZN7rocprim17ROCPRIM_400000_NS6detail17trampoline_kernelINS0_13select_configILj256ELj13ELNS0_17block_load_methodE3ELS4_3ELS4_3ELNS0_20block_scan_algorithmE0ELj4294967295EEENS1_25partition_config_selectorILNS1_17partition_subalgoE4EjNS0_10empty_typeEbEEZZNS1_14partition_implILS8_4ELb0ES6_15HIP_vector_typeIjLj2EENS0_17counting_iteratorIjlEEPS9_SG_NS0_5tupleIJPjSI_NS0_16reverse_iteratorISI_EEEEENSH_IJSG_SG_SG_EEES9_SI_JZNS1_25segmented_radix_sort_implINS0_14default_configELb1EPK6__halfPSP_PKlPlN2at6native12_GLOBAL__N_18offset_tEEE10hipError_tPvRmT1_PNSt15iterator_traitsIS13_E10value_typeET2_T3_PNS14_IS19_E10value_typeET4_jRbjT5_S1F_jjP12ihipStream_tbEUljE_ZNSN_ISO_Lb1ESR_SS_SU_SV_SZ_EES10_S11_S12_S13_S17_S18_S19_S1C_S1D_jS1E_jS1F_S1F_jjS1H_bEUljE0_EEES10_S11_S12_S19_S1D_S1F_T6_T7_T9_mT8_S1H_bDpT10_ENKUlT_T0_E_clISt17integral_constantIbLb1EES1U_IbLb0EEEEDaS1Q_S1R_EUlS1Q_E_NS1_11comp_targetILNS1_3genE3ELNS1_11target_archE908ELNS1_3gpuE7ELNS1_3repE0EEENS1_30default_config_static_selectorELNS0_4arch9wavefront6targetE1EEEvS13_,comdat
	.globl	_ZN7rocprim17ROCPRIM_400000_NS6detail17trampoline_kernelINS0_13select_configILj256ELj13ELNS0_17block_load_methodE3ELS4_3ELS4_3ELNS0_20block_scan_algorithmE0ELj4294967295EEENS1_25partition_config_selectorILNS1_17partition_subalgoE4EjNS0_10empty_typeEbEEZZNS1_14partition_implILS8_4ELb0ES6_15HIP_vector_typeIjLj2EENS0_17counting_iteratorIjlEEPS9_SG_NS0_5tupleIJPjSI_NS0_16reverse_iteratorISI_EEEEENSH_IJSG_SG_SG_EEES9_SI_JZNS1_25segmented_radix_sort_implINS0_14default_configELb1EPK6__halfPSP_PKlPlN2at6native12_GLOBAL__N_18offset_tEEE10hipError_tPvRmT1_PNSt15iterator_traitsIS13_E10value_typeET2_T3_PNS14_IS19_E10value_typeET4_jRbjT5_S1F_jjP12ihipStream_tbEUljE_ZNSN_ISO_Lb1ESR_SS_SU_SV_SZ_EES10_S11_S12_S13_S17_S18_S19_S1C_S1D_jS1E_jS1F_S1F_jjS1H_bEUljE0_EEES10_S11_S12_S19_S1D_S1F_T6_T7_T9_mT8_S1H_bDpT10_ENKUlT_T0_E_clISt17integral_constantIbLb1EES1U_IbLb0EEEEDaS1Q_S1R_EUlS1Q_E_NS1_11comp_targetILNS1_3genE3ELNS1_11target_archE908ELNS1_3gpuE7ELNS1_3repE0EEENS1_30default_config_static_selectorELNS0_4arch9wavefront6targetE1EEEvS13_ ; -- Begin function _ZN7rocprim17ROCPRIM_400000_NS6detail17trampoline_kernelINS0_13select_configILj256ELj13ELNS0_17block_load_methodE3ELS4_3ELS4_3ELNS0_20block_scan_algorithmE0ELj4294967295EEENS1_25partition_config_selectorILNS1_17partition_subalgoE4EjNS0_10empty_typeEbEEZZNS1_14partition_implILS8_4ELb0ES6_15HIP_vector_typeIjLj2EENS0_17counting_iteratorIjlEEPS9_SG_NS0_5tupleIJPjSI_NS0_16reverse_iteratorISI_EEEEENSH_IJSG_SG_SG_EEES9_SI_JZNS1_25segmented_radix_sort_implINS0_14default_configELb1EPK6__halfPSP_PKlPlN2at6native12_GLOBAL__N_18offset_tEEE10hipError_tPvRmT1_PNSt15iterator_traitsIS13_E10value_typeET2_T3_PNS14_IS19_E10value_typeET4_jRbjT5_S1F_jjP12ihipStream_tbEUljE_ZNSN_ISO_Lb1ESR_SS_SU_SV_SZ_EES10_S11_S12_S13_S17_S18_S19_S1C_S1D_jS1E_jS1F_S1F_jjS1H_bEUljE0_EEES10_S11_S12_S19_S1D_S1F_T6_T7_T9_mT8_S1H_bDpT10_ENKUlT_T0_E_clISt17integral_constantIbLb1EES1U_IbLb0EEEEDaS1Q_S1R_EUlS1Q_E_NS1_11comp_targetILNS1_3genE3ELNS1_11target_archE908ELNS1_3gpuE7ELNS1_3repE0EEENS1_30default_config_static_selectorELNS0_4arch9wavefront6targetE1EEEvS13_
	.p2align	8
	.type	_ZN7rocprim17ROCPRIM_400000_NS6detail17trampoline_kernelINS0_13select_configILj256ELj13ELNS0_17block_load_methodE3ELS4_3ELS4_3ELNS0_20block_scan_algorithmE0ELj4294967295EEENS1_25partition_config_selectorILNS1_17partition_subalgoE4EjNS0_10empty_typeEbEEZZNS1_14partition_implILS8_4ELb0ES6_15HIP_vector_typeIjLj2EENS0_17counting_iteratorIjlEEPS9_SG_NS0_5tupleIJPjSI_NS0_16reverse_iteratorISI_EEEEENSH_IJSG_SG_SG_EEES9_SI_JZNS1_25segmented_radix_sort_implINS0_14default_configELb1EPK6__halfPSP_PKlPlN2at6native12_GLOBAL__N_18offset_tEEE10hipError_tPvRmT1_PNSt15iterator_traitsIS13_E10value_typeET2_T3_PNS14_IS19_E10value_typeET4_jRbjT5_S1F_jjP12ihipStream_tbEUljE_ZNSN_ISO_Lb1ESR_SS_SU_SV_SZ_EES10_S11_S12_S13_S17_S18_S19_S1C_S1D_jS1E_jS1F_S1F_jjS1H_bEUljE0_EEES10_S11_S12_S19_S1D_S1F_T6_T7_T9_mT8_S1H_bDpT10_ENKUlT_T0_E_clISt17integral_constantIbLb1EES1U_IbLb0EEEEDaS1Q_S1R_EUlS1Q_E_NS1_11comp_targetILNS1_3genE3ELNS1_11target_archE908ELNS1_3gpuE7ELNS1_3repE0EEENS1_30default_config_static_selectorELNS0_4arch9wavefront6targetE1EEEvS13_,@function
_ZN7rocprim17ROCPRIM_400000_NS6detail17trampoline_kernelINS0_13select_configILj256ELj13ELNS0_17block_load_methodE3ELS4_3ELS4_3ELNS0_20block_scan_algorithmE0ELj4294967295EEENS1_25partition_config_selectorILNS1_17partition_subalgoE4EjNS0_10empty_typeEbEEZZNS1_14partition_implILS8_4ELb0ES6_15HIP_vector_typeIjLj2EENS0_17counting_iteratorIjlEEPS9_SG_NS0_5tupleIJPjSI_NS0_16reverse_iteratorISI_EEEEENSH_IJSG_SG_SG_EEES9_SI_JZNS1_25segmented_radix_sort_implINS0_14default_configELb1EPK6__halfPSP_PKlPlN2at6native12_GLOBAL__N_18offset_tEEE10hipError_tPvRmT1_PNSt15iterator_traitsIS13_E10value_typeET2_T3_PNS14_IS19_E10value_typeET4_jRbjT5_S1F_jjP12ihipStream_tbEUljE_ZNSN_ISO_Lb1ESR_SS_SU_SV_SZ_EES10_S11_S12_S13_S17_S18_S19_S1C_S1D_jS1E_jS1F_S1F_jjS1H_bEUljE0_EEES10_S11_S12_S19_S1D_S1F_T6_T7_T9_mT8_S1H_bDpT10_ENKUlT_T0_E_clISt17integral_constantIbLb1EES1U_IbLb0EEEEDaS1Q_S1R_EUlS1Q_E_NS1_11comp_targetILNS1_3genE3ELNS1_11target_archE908ELNS1_3gpuE7ELNS1_3repE0EEENS1_30default_config_static_selectorELNS0_4arch9wavefront6targetE1EEEvS13_: ; @_ZN7rocprim17ROCPRIM_400000_NS6detail17trampoline_kernelINS0_13select_configILj256ELj13ELNS0_17block_load_methodE3ELS4_3ELS4_3ELNS0_20block_scan_algorithmE0ELj4294967295EEENS1_25partition_config_selectorILNS1_17partition_subalgoE4EjNS0_10empty_typeEbEEZZNS1_14partition_implILS8_4ELb0ES6_15HIP_vector_typeIjLj2EENS0_17counting_iteratorIjlEEPS9_SG_NS0_5tupleIJPjSI_NS0_16reverse_iteratorISI_EEEEENSH_IJSG_SG_SG_EEES9_SI_JZNS1_25segmented_radix_sort_implINS0_14default_configELb1EPK6__halfPSP_PKlPlN2at6native12_GLOBAL__N_18offset_tEEE10hipError_tPvRmT1_PNSt15iterator_traitsIS13_E10value_typeET2_T3_PNS14_IS19_E10value_typeET4_jRbjT5_S1F_jjP12ihipStream_tbEUljE_ZNSN_ISO_Lb1ESR_SS_SU_SV_SZ_EES10_S11_S12_S13_S17_S18_S19_S1C_S1D_jS1E_jS1F_S1F_jjS1H_bEUljE0_EEES10_S11_S12_S19_S1D_S1F_T6_T7_T9_mT8_S1H_bDpT10_ENKUlT_T0_E_clISt17integral_constantIbLb1EES1U_IbLb0EEEEDaS1Q_S1R_EUlS1Q_E_NS1_11comp_targetILNS1_3genE3ELNS1_11target_archE908ELNS1_3gpuE7ELNS1_3repE0EEENS1_30default_config_static_selectorELNS0_4arch9wavefront6targetE1EEEvS13_
; %bb.0:
	.section	.rodata,"a",@progbits
	.p2align	6, 0x0
	.amdhsa_kernel _ZN7rocprim17ROCPRIM_400000_NS6detail17trampoline_kernelINS0_13select_configILj256ELj13ELNS0_17block_load_methodE3ELS4_3ELS4_3ELNS0_20block_scan_algorithmE0ELj4294967295EEENS1_25partition_config_selectorILNS1_17partition_subalgoE4EjNS0_10empty_typeEbEEZZNS1_14partition_implILS8_4ELb0ES6_15HIP_vector_typeIjLj2EENS0_17counting_iteratorIjlEEPS9_SG_NS0_5tupleIJPjSI_NS0_16reverse_iteratorISI_EEEEENSH_IJSG_SG_SG_EEES9_SI_JZNS1_25segmented_radix_sort_implINS0_14default_configELb1EPK6__halfPSP_PKlPlN2at6native12_GLOBAL__N_18offset_tEEE10hipError_tPvRmT1_PNSt15iterator_traitsIS13_E10value_typeET2_T3_PNS14_IS19_E10value_typeET4_jRbjT5_S1F_jjP12ihipStream_tbEUljE_ZNSN_ISO_Lb1ESR_SS_SU_SV_SZ_EES10_S11_S12_S13_S17_S18_S19_S1C_S1D_jS1E_jS1F_S1F_jjS1H_bEUljE0_EEES10_S11_S12_S19_S1D_S1F_T6_T7_T9_mT8_S1H_bDpT10_ENKUlT_T0_E_clISt17integral_constantIbLb1EES1U_IbLb0EEEEDaS1Q_S1R_EUlS1Q_E_NS1_11comp_targetILNS1_3genE3ELNS1_11target_archE908ELNS1_3gpuE7ELNS1_3repE0EEENS1_30default_config_static_selectorELNS0_4arch9wavefront6targetE1EEEvS13_
		.amdhsa_group_segment_fixed_size 0
		.amdhsa_private_segment_fixed_size 0
		.amdhsa_kernarg_size 176
		.amdhsa_user_sgpr_count 6
		.amdhsa_user_sgpr_private_segment_buffer 1
		.amdhsa_user_sgpr_dispatch_ptr 0
		.amdhsa_user_sgpr_queue_ptr 0
		.amdhsa_user_sgpr_kernarg_segment_ptr 1
		.amdhsa_user_sgpr_dispatch_id 0
		.amdhsa_user_sgpr_flat_scratch_init 0
		.amdhsa_user_sgpr_private_segment_size 0
		.amdhsa_uses_dynamic_stack 0
		.amdhsa_system_sgpr_private_segment_wavefront_offset 0
		.amdhsa_system_sgpr_workgroup_id_x 1
		.amdhsa_system_sgpr_workgroup_id_y 0
		.amdhsa_system_sgpr_workgroup_id_z 0
		.amdhsa_system_sgpr_workgroup_info 0
		.amdhsa_system_vgpr_workitem_id 0
		.amdhsa_next_free_vgpr 1
		.amdhsa_next_free_sgpr 0
		.amdhsa_reserve_vcc 0
		.amdhsa_reserve_flat_scratch 0
		.amdhsa_float_round_mode_32 0
		.amdhsa_float_round_mode_16_64 0
		.amdhsa_float_denorm_mode_32 3
		.amdhsa_float_denorm_mode_16_64 3
		.amdhsa_dx10_clamp 1
		.amdhsa_ieee_mode 1
		.amdhsa_fp16_overflow 0
		.amdhsa_exception_fp_ieee_invalid_op 0
		.amdhsa_exception_fp_denorm_src 0
		.amdhsa_exception_fp_ieee_div_zero 0
		.amdhsa_exception_fp_ieee_overflow 0
		.amdhsa_exception_fp_ieee_underflow 0
		.amdhsa_exception_fp_ieee_inexact 0
		.amdhsa_exception_int_div_zero 0
	.end_amdhsa_kernel
	.section	.text._ZN7rocprim17ROCPRIM_400000_NS6detail17trampoline_kernelINS0_13select_configILj256ELj13ELNS0_17block_load_methodE3ELS4_3ELS4_3ELNS0_20block_scan_algorithmE0ELj4294967295EEENS1_25partition_config_selectorILNS1_17partition_subalgoE4EjNS0_10empty_typeEbEEZZNS1_14partition_implILS8_4ELb0ES6_15HIP_vector_typeIjLj2EENS0_17counting_iteratorIjlEEPS9_SG_NS0_5tupleIJPjSI_NS0_16reverse_iteratorISI_EEEEENSH_IJSG_SG_SG_EEES9_SI_JZNS1_25segmented_radix_sort_implINS0_14default_configELb1EPK6__halfPSP_PKlPlN2at6native12_GLOBAL__N_18offset_tEEE10hipError_tPvRmT1_PNSt15iterator_traitsIS13_E10value_typeET2_T3_PNS14_IS19_E10value_typeET4_jRbjT5_S1F_jjP12ihipStream_tbEUljE_ZNSN_ISO_Lb1ESR_SS_SU_SV_SZ_EES10_S11_S12_S13_S17_S18_S19_S1C_S1D_jS1E_jS1F_S1F_jjS1H_bEUljE0_EEES10_S11_S12_S19_S1D_S1F_T6_T7_T9_mT8_S1H_bDpT10_ENKUlT_T0_E_clISt17integral_constantIbLb1EES1U_IbLb0EEEEDaS1Q_S1R_EUlS1Q_E_NS1_11comp_targetILNS1_3genE3ELNS1_11target_archE908ELNS1_3gpuE7ELNS1_3repE0EEENS1_30default_config_static_selectorELNS0_4arch9wavefront6targetE1EEEvS13_,"axG",@progbits,_ZN7rocprim17ROCPRIM_400000_NS6detail17trampoline_kernelINS0_13select_configILj256ELj13ELNS0_17block_load_methodE3ELS4_3ELS4_3ELNS0_20block_scan_algorithmE0ELj4294967295EEENS1_25partition_config_selectorILNS1_17partition_subalgoE4EjNS0_10empty_typeEbEEZZNS1_14partition_implILS8_4ELb0ES6_15HIP_vector_typeIjLj2EENS0_17counting_iteratorIjlEEPS9_SG_NS0_5tupleIJPjSI_NS0_16reverse_iteratorISI_EEEEENSH_IJSG_SG_SG_EEES9_SI_JZNS1_25segmented_radix_sort_implINS0_14default_configELb1EPK6__halfPSP_PKlPlN2at6native12_GLOBAL__N_18offset_tEEE10hipError_tPvRmT1_PNSt15iterator_traitsIS13_E10value_typeET2_T3_PNS14_IS19_E10value_typeET4_jRbjT5_S1F_jjP12ihipStream_tbEUljE_ZNSN_ISO_Lb1ESR_SS_SU_SV_SZ_EES10_S11_S12_S13_S17_S18_S19_S1C_S1D_jS1E_jS1F_S1F_jjS1H_bEUljE0_EEES10_S11_S12_S19_S1D_S1F_T6_T7_T9_mT8_S1H_bDpT10_ENKUlT_T0_E_clISt17integral_constantIbLb1EES1U_IbLb0EEEEDaS1Q_S1R_EUlS1Q_E_NS1_11comp_targetILNS1_3genE3ELNS1_11target_archE908ELNS1_3gpuE7ELNS1_3repE0EEENS1_30default_config_static_selectorELNS0_4arch9wavefront6targetE1EEEvS13_,comdat
.Lfunc_end1694:
	.size	_ZN7rocprim17ROCPRIM_400000_NS6detail17trampoline_kernelINS0_13select_configILj256ELj13ELNS0_17block_load_methodE3ELS4_3ELS4_3ELNS0_20block_scan_algorithmE0ELj4294967295EEENS1_25partition_config_selectorILNS1_17partition_subalgoE4EjNS0_10empty_typeEbEEZZNS1_14partition_implILS8_4ELb0ES6_15HIP_vector_typeIjLj2EENS0_17counting_iteratorIjlEEPS9_SG_NS0_5tupleIJPjSI_NS0_16reverse_iteratorISI_EEEEENSH_IJSG_SG_SG_EEES9_SI_JZNS1_25segmented_radix_sort_implINS0_14default_configELb1EPK6__halfPSP_PKlPlN2at6native12_GLOBAL__N_18offset_tEEE10hipError_tPvRmT1_PNSt15iterator_traitsIS13_E10value_typeET2_T3_PNS14_IS19_E10value_typeET4_jRbjT5_S1F_jjP12ihipStream_tbEUljE_ZNSN_ISO_Lb1ESR_SS_SU_SV_SZ_EES10_S11_S12_S13_S17_S18_S19_S1C_S1D_jS1E_jS1F_S1F_jjS1H_bEUljE0_EEES10_S11_S12_S19_S1D_S1F_T6_T7_T9_mT8_S1H_bDpT10_ENKUlT_T0_E_clISt17integral_constantIbLb1EES1U_IbLb0EEEEDaS1Q_S1R_EUlS1Q_E_NS1_11comp_targetILNS1_3genE3ELNS1_11target_archE908ELNS1_3gpuE7ELNS1_3repE0EEENS1_30default_config_static_selectorELNS0_4arch9wavefront6targetE1EEEvS13_, .Lfunc_end1694-_ZN7rocprim17ROCPRIM_400000_NS6detail17trampoline_kernelINS0_13select_configILj256ELj13ELNS0_17block_load_methodE3ELS4_3ELS4_3ELNS0_20block_scan_algorithmE0ELj4294967295EEENS1_25partition_config_selectorILNS1_17partition_subalgoE4EjNS0_10empty_typeEbEEZZNS1_14partition_implILS8_4ELb0ES6_15HIP_vector_typeIjLj2EENS0_17counting_iteratorIjlEEPS9_SG_NS0_5tupleIJPjSI_NS0_16reverse_iteratorISI_EEEEENSH_IJSG_SG_SG_EEES9_SI_JZNS1_25segmented_radix_sort_implINS0_14default_configELb1EPK6__halfPSP_PKlPlN2at6native12_GLOBAL__N_18offset_tEEE10hipError_tPvRmT1_PNSt15iterator_traitsIS13_E10value_typeET2_T3_PNS14_IS19_E10value_typeET4_jRbjT5_S1F_jjP12ihipStream_tbEUljE_ZNSN_ISO_Lb1ESR_SS_SU_SV_SZ_EES10_S11_S12_S13_S17_S18_S19_S1C_S1D_jS1E_jS1F_S1F_jjS1H_bEUljE0_EEES10_S11_S12_S19_S1D_S1F_T6_T7_T9_mT8_S1H_bDpT10_ENKUlT_T0_E_clISt17integral_constantIbLb1EES1U_IbLb0EEEEDaS1Q_S1R_EUlS1Q_E_NS1_11comp_targetILNS1_3genE3ELNS1_11target_archE908ELNS1_3gpuE7ELNS1_3repE0EEENS1_30default_config_static_selectorELNS0_4arch9wavefront6targetE1EEEvS13_
                                        ; -- End function
	.set _ZN7rocprim17ROCPRIM_400000_NS6detail17trampoline_kernelINS0_13select_configILj256ELj13ELNS0_17block_load_methodE3ELS4_3ELS4_3ELNS0_20block_scan_algorithmE0ELj4294967295EEENS1_25partition_config_selectorILNS1_17partition_subalgoE4EjNS0_10empty_typeEbEEZZNS1_14partition_implILS8_4ELb0ES6_15HIP_vector_typeIjLj2EENS0_17counting_iteratorIjlEEPS9_SG_NS0_5tupleIJPjSI_NS0_16reverse_iteratorISI_EEEEENSH_IJSG_SG_SG_EEES9_SI_JZNS1_25segmented_radix_sort_implINS0_14default_configELb1EPK6__halfPSP_PKlPlN2at6native12_GLOBAL__N_18offset_tEEE10hipError_tPvRmT1_PNSt15iterator_traitsIS13_E10value_typeET2_T3_PNS14_IS19_E10value_typeET4_jRbjT5_S1F_jjP12ihipStream_tbEUljE_ZNSN_ISO_Lb1ESR_SS_SU_SV_SZ_EES10_S11_S12_S13_S17_S18_S19_S1C_S1D_jS1E_jS1F_S1F_jjS1H_bEUljE0_EEES10_S11_S12_S19_S1D_S1F_T6_T7_T9_mT8_S1H_bDpT10_ENKUlT_T0_E_clISt17integral_constantIbLb1EES1U_IbLb0EEEEDaS1Q_S1R_EUlS1Q_E_NS1_11comp_targetILNS1_3genE3ELNS1_11target_archE908ELNS1_3gpuE7ELNS1_3repE0EEENS1_30default_config_static_selectorELNS0_4arch9wavefront6targetE1EEEvS13_.num_vgpr, 0
	.set _ZN7rocprim17ROCPRIM_400000_NS6detail17trampoline_kernelINS0_13select_configILj256ELj13ELNS0_17block_load_methodE3ELS4_3ELS4_3ELNS0_20block_scan_algorithmE0ELj4294967295EEENS1_25partition_config_selectorILNS1_17partition_subalgoE4EjNS0_10empty_typeEbEEZZNS1_14partition_implILS8_4ELb0ES6_15HIP_vector_typeIjLj2EENS0_17counting_iteratorIjlEEPS9_SG_NS0_5tupleIJPjSI_NS0_16reverse_iteratorISI_EEEEENSH_IJSG_SG_SG_EEES9_SI_JZNS1_25segmented_radix_sort_implINS0_14default_configELb1EPK6__halfPSP_PKlPlN2at6native12_GLOBAL__N_18offset_tEEE10hipError_tPvRmT1_PNSt15iterator_traitsIS13_E10value_typeET2_T3_PNS14_IS19_E10value_typeET4_jRbjT5_S1F_jjP12ihipStream_tbEUljE_ZNSN_ISO_Lb1ESR_SS_SU_SV_SZ_EES10_S11_S12_S13_S17_S18_S19_S1C_S1D_jS1E_jS1F_S1F_jjS1H_bEUljE0_EEES10_S11_S12_S19_S1D_S1F_T6_T7_T9_mT8_S1H_bDpT10_ENKUlT_T0_E_clISt17integral_constantIbLb1EES1U_IbLb0EEEEDaS1Q_S1R_EUlS1Q_E_NS1_11comp_targetILNS1_3genE3ELNS1_11target_archE908ELNS1_3gpuE7ELNS1_3repE0EEENS1_30default_config_static_selectorELNS0_4arch9wavefront6targetE1EEEvS13_.num_agpr, 0
	.set _ZN7rocprim17ROCPRIM_400000_NS6detail17trampoline_kernelINS0_13select_configILj256ELj13ELNS0_17block_load_methodE3ELS4_3ELS4_3ELNS0_20block_scan_algorithmE0ELj4294967295EEENS1_25partition_config_selectorILNS1_17partition_subalgoE4EjNS0_10empty_typeEbEEZZNS1_14partition_implILS8_4ELb0ES6_15HIP_vector_typeIjLj2EENS0_17counting_iteratorIjlEEPS9_SG_NS0_5tupleIJPjSI_NS0_16reverse_iteratorISI_EEEEENSH_IJSG_SG_SG_EEES9_SI_JZNS1_25segmented_radix_sort_implINS0_14default_configELb1EPK6__halfPSP_PKlPlN2at6native12_GLOBAL__N_18offset_tEEE10hipError_tPvRmT1_PNSt15iterator_traitsIS13_E10value_typeET2_T3_PNS14_IS19_E10value_typeET4_jRbjT5_S1F_jjP12ihipStream_tbEUljE_ZNSN_ISO_Lb1ESR_SS_SU_SV_SZ_EES10_S11_S12_S13_S17_S18_S19_S1C_S1D_jS1E_jS1F_S1F_jjS1H_bEUljE0_EEES10_S11_S12_S19_S1D_S1F_T6_T7_T9_mT8_S1H_bDpT10_ENKUlT_T0_E_clISt17integral_constantIbLb1EES1U_IbLb0EEEEDaS1Q_S1R_EUlS1Q_E_NS1_11comp_targetILNS1_3genE3ELNS1_11target_archE908ELNS1_3gpuE7ELNS1_3repE0EEENS1_30default_config_static_selectorELNS0_4arch9wavefront6targetE1EEEvS13_.numbered_sgpr, 0
	.set _ZN7rocprim17ROCPRIM_400000_NS6detail17trampoline_kernelINS0_13select_configILj256ELj13ELNS0_17block_load_methodE3ELS4_3ELS4_3ELNS0_20block_scan_algorithmE0ELj4294967295EEENS1_25partition_config_selectorILNS1_17partition_subalgoE4EjNS0_10empty_typeEbEEZZNS1_14partition_implILS8_4ELb0ES6_15HIP_vector_typeIjLj2EENS0_17counting_iteratorIjlEEPS9_SG_NS0_5tupleIJPjSI_NS0_16reverse_iteratorISI_EEEEENSH_IJSG_SG_SG_EEES9_SI_JZNS1_25segmented_radix_sort_implINS0_14default_configELb1EPK6__halfPSP_PKlPlN2at6native12_GLOBAL__N_18offset_tEEE10hipError_tPvRmT1_PNSt15iterator_traitsIS13_E10value_typeET2_T3_PNS14_IS19_E10value_typeET4_jRbjT5_S1F_jjP12ihipStream_tbEUljE_ZNSN_ISO_Lb1ESR_SS_SU_SV_SZ_EES10_S11_S12_S13_S17_S18_S19_S1C_S1D_jS1E_jS1F_S1F_jjS1H_bEUljE0_EEES10_S11_S12_S19_S1D_S1F_T6_T7_T9_mT8_S1H_bDpT10_ENKUlT_T0_E_clISt17integral_constantIbLb1EES1U_IbLb0EEEEDaS1Q_S1R_EUlS1Q_E_NS1_11comp_targetILNS1_3genE3ELNS1_11target_archE908ELNS1_3gpuE7ELNS1_3repE0EEENS1_30default_config_static_selectorELNS0_4arch9wavefront6targetE1EEEvS13_.num_named_barrier, 0
	.set _ZN7rocprim17ROCPRIM_400000_NS6detail17trampoline_kernelINS0_13select_configILj256ELj13ELNS0_17block_load_methodE3ELS4_3ELS4_3ELNS0_20block_scan_algorithmE0ELj4294967295EEENS1_25partition_config_selectorILNS1_17partition_subalgoE4EjNS0_10empty_typeEbEEZZNS1_14partition_implILS8_4ELb0ES6_15HIP_vector_typeIjLj2EENS0_17counting_iteratorIjlEEPS9_SG_NS0_5tupleIJPjSI_NS0_16reverse_iteratorISI_EEEEENSH_IJSG_SG_SG_EEES9_SI_JZNS1_25segmented_radix_sort_implINS0_14default_configELb1EPK6__halfPSP_PKlPlN2at6native12_GLOBAL__N_18offset_tEEE10hipError_tPvRmT1_PNSt15iterator_traitsIS13_E10value_typeET2_T3_PNS14_IS19_E10value_typeET4_jRbjT5_S1F_jjP12ihipStream_tbEUljE_ZNSN_ISO_Lb1ESR_SS_SU_SV_SZ_EES10_S11_S12_S13_S17_S18_S19_S1C_S1D_jS1E_jS1F_S1F_jjS1H_bEUljE0_EEES10_S11_S12_S19_S1D_S1F_T6_T7_T9_mT8_S1H_bDpT10_ENKUlT_T0_E_clISt17integral_constantIbLb1EES1U_IbLb0EEEEDaS1Q_S1R_EUlS1Q_E_NS1_11comp_targetILNS1_3genE3ELNS1_11target_archE908ELNS1_3gpuE7ELNS1_3repE0EEENS1_30default_config_static_selectorELNS0_4arch9wavefront6targetE1EEEvS13_.private_seg_size, 0
	.set _ZN7rocprim17ROCPRIM_400000_NS6detail17trampoline_kernelINS0_13select_configILj256ELj13ELNS0_17block_load_methodE3ELS4_3ELS4_3ELNS0_20block_scan_algorithmE0ELj4294967295EEENS1_25partition_config_selectorILNS1_17partition_subalgoE4EjNS0_10empty_typeEbEEZZNS1_14partition_implILS8_4ELb0ES6_15HIP_vector_typeIjLj2EENS0_17counting_iteratorIjlEEPS9_SG_NS0_5tupleIJPjSI_NS0_16reverse_iteratorISI_EEEEENSH_IJSG_SG_SG_EEES9_SI_JZNS1_25segmented_radix_sort_implINS0_14default_configELb1EPK6__halfPSP_PKlPlN2at6native12_GLOBAL__N_18offset_tEEE10hipError_tPvRmT1_PNSt15iterator_traitsIS13_E10value_typeET2_T3_PNS14_IS19_E10value_typeET4_jRbjT5_S1F_jjP12ihipStream_tbEUljE_ZNSN_ISO_Lb1ESR_SS_SU_SV_SZ_EES10_S11_S12_S13_S17_S18_S19_S1C_S1D_jS1E_jS1F_S1F_jjS1H_bEUljE0_EEES10_S11_S12_S19_S1D_S1F_T6_T7_T9_mT8_S1H_bDpT10_ENKUlT_T0_E_clISt17integral_constantIbLb1EES1U_IbLb0EEEEDaS1Q_S1R_EUlS1Q_E_NS1_11comp_targetILNS1_3genE3ELNS1_11target_archE908ELNS1_3gpuE7ELNS1_3repE0EEENS1_30default_config_static_selectorELNS0_4arch9wavefront6targetE1EEEvS13_.uses_vcc, 0
	.set _ZN7rocprim17ROCPRIM_400000_NS6detail17trampoline_kernelINS0_13select_configILj256ELj13ELNS0_17block_load_methodE3ELS4_3ELS4_3ELNS0_20block_scan_algorithmE0ELj4294967295EEENS1_25partition_config_selectorILNS1_17partition_subalgoE4EjNS0_10empty_typeEbEEZZNS1_14partition_implILS8_4ELb0ES6_15HIP_vector_typeIjLj2EENS0_17counting_iteratorIjlEEPS9_SG_NS0_5tupleIJPjSI_NS0_16reverse_iteratorISI_EEEEENSH_IJSG_SG_SG_EEES9_SI_JZNS1_25segmented_radix_sort_implINS0_14default_configELb1EPK6__halfPSP_PKlPlN2at6native12_GLOBAL__N_18offset_tEEE10hipError_tPvRmT1_PNSt15iterator_traitsIS13_E10value_typeET2_T3_PNS14_IS19_E10value_typeET4_jRbjT5_S1F_jjP12ihipStream_tbEUljE_ZNSN_ISO_Lb1ESR_SS_SU_SV_SZ_EES10_S11_S12_S13_S17_S18_S19_S1C_S1D_jS1E_jS1F_S1F_jjS1H_bEUljE0_EEES10_S11_S12_S19_S1D_S1F_T6_T7_T9_mT8_S1H_bDpT10_ENKUlT_T0_E_clISt17integral_constantIbLb1EES1U_IbLb0EEEEDaS1Q_S1R_EUlS1Q_E_NS1_11comp_targetILNS1_3genE3ELNS1_11target_archE908ELNS1_3gpuE7ELNS1_3repE0EEENS1_30default_config_static_selectorELNS0_4arch9wavefront6targetE1EEEvS13_.uses_flat_scratch, 0
	.set _ZN7rocprim17ROCPRIM_400000_NS6detail17trampoline_kernelINS0_13select_configILj256ELj13ELNS0_17block_load_methodE3ELS4_3ELS4_3ELNS0_20block_scan_algorithmE0ELj4294967295EEENS1_25partition_config_selectorILNS1_17partition_subalgoE4EjNS0_10empty_typeEbEEZZNS1_14partition_implILS8_4ELb0ES6_15HIP_vector_typeIjLj2EENS0_17counting_iteratorIjlEEPS9_SG_NS0_5tupleIJPjSI_NS0_16reverse_iteratorISI_EEEEENSH_IJSG_SG_SG_EEES9_SI_JZNS1_25segmented_radix_sort_implINS0_14default_configELb1EPK6__halfPSP_PKlPlN2at6native12_GLOBAL__N_18offset_tEEE10hipError_tPvRmT1_PNSt15iterator_traitsIS13_E10value_typeET2_T3_PNS14_IS19_E10value_typeET4_jRbjT5_S1F_jjP12ihipStream_tbEUljE_ZNSN_ISO_Lb1ESR_SS_SU_SV_SZ_EES10_S11_S12_S13_S17_S18_S19_S1C_S1D_jS1E_jS1F_S1F_jjS1H_bEUljE0_EEES10_S11_S12_S19_S1D_S1F_T6_T7_T9_mT8_S1H_bDpT10_ENKUlT_T0_E_clISt17integral_constantIbLb1EES1U_IbLb0EEEEDaS1Q_S1R_EUlS1Q_E_NS1_11comp_targetILNS1_3genE3ELNS1_11target_archE908ELNS1_3gpuE7ELNS1_3repE0EEENS1_30default_config_static_selectorELNS0_4arch9wavefront6targetE1EEEvS13_.has_dyn_sized_stack, 0
	.set _ZN7rocprim17ROCPRIM_400000_NS6detail17trampoline_kernelINS0_13select_configILj256ELj13ELNS0_17block_load_methodE3ELS4_3ELS4_3ELNS0_20block_scan_algorithmE0ELj4294967295EEENS1_25partition_config_selectorILNS1_17partition_subalgoE4EjNS0_10empty_typeEbEEZZNS1_14partition_implILS8_4ELb0ES6_15HIP_vector_typeIjLj2EENS0_17counting_iteratorIjlEEPS9_SG_NS0_5tupleIJPjSI_NS0_16reverse_iteratorISI_EEEEENSH_IJSG_SG_SG_EEES9_SI_JZNS1_25segmented_radix_sort_implINS0_14default_configELb1EPK6__halfPSP_PKlPlN2at6native12_GLOBAL__N_18offset_tEEE10hipError_tPvRmT1_PNSt15iterator_traitsIS13_E10value_typeET2_T3_PNS14_IS19_E10value_typeET4_jRbjT5_S1F_jjP12ihipStream_tbEUljE_ZNSN_ISO_Lb1ESR_SS_SU_SV_SZ_EES10_S11_S12_S13_S17_S18_S19_S1C_S1D_jS1E_jS1F_S1F_jjS1H_bEUljE0_EEES10_S11_S12_S19_S1D_S1F_T6_T7_T9_mT8_S1H_bDpT10_ENKUlT_T0_E_clISt17integral_constantIbLb1EES1U_IbLb0EEEEDaS1Q_S1R_EUlS1Q_E_NS1_11comp_targetILNS1_3genE3ELNS1_11target_archE908ELNS1_3gpuE7ELNS1_3repE0EEENS1_30default_config_static_selectorELNS0_4arch9wavefront6targetE1EEEvS13_.has_recursion, 0
	.set _ZN7rocprim17ROCPRIM_400000_NS6detail17trampoline_kernelINS0_13select_configILj256ELj13ELNS0_17block_load_methodE3ELS4_3ELS4_3ELNS0_20block_scan_algorithmE0ELj4294967295EEENS1_25partition_config_selectorILNS1_17partition_subalgoE4EjNS0_10empty_typeEbEEZZNS1_14partition_implILS8_4ELb0ES6_15HIP_vector_typeIjLj2EENS0_17counting_iteratorIjlEEPS9_SG_NS0_5tupleIJPjSI_NS0_16reverse_iteratorISI_EEEEENSH_IJSG_SG_SG_EEES9_SI_JZNS1_25segmented_radix_sort_implINS0_14default_configELb1EPK6__halfPSP_PKlPlN2at6native12_GLOBAL__N_18offset_tEEE10hipError_tPvRmT1_PNSt15iterator_traitsIS13_E10value_typeET2_T3_PNS14_IS19_E10value_typeET4_jRbjT5_S1F_jjP12ihipStream_tbEUljE_ZNSN_ISO_Lb1ESR_SS_SU_SV_SZ_EES10_S11_S12_S13_S17_S18_S19_S1C_S1D_jS1E_jS1F_S1F_jjS1H_bEUljE0_EEES10_S11_S12_S19_S1D_S1F_T6_T7_T9_mT8_S1H_bDpT10_ENKUlT_T0_E_clISt17integral_constantIbLb1EES1U_IbLb0EEEEDaS1Q_S1R_EUlS1Q_E_NS1_11comp_targetILNS1_3genE3ELNS1_11target_archE908ELNS1_3gpuE7ELNS1_3repE0EEENS1_30default_config_static_selectorELNS0_4arch9wavefront6targetE1EEEvS13_.has_indirect_call, 0
	.section	.AMDGPU.csdata,"",@progbits
; Kernel info:
; codeLenInByte = 0
; TotalNumSgprs: 4
; NumVgprs: 0
; ScratchSize: 0
; MemoryBound: 0
; FloatMode: 240
; IeeeMode: 1
; LDSByteSize: 0 bytes/workgroup (compile time only)
; SGPRBlocks: 0
; VGPRBlocks: 0
; NumSGPRsForWavesPerEU: 4
; NumVGPRsForWavesPerEU: 1
; Occupancy: 10
; WaveLimiterHint : 0
; COMPUTE_PGM_RSRC2:SCRATCH_EN: 0
; COMPUTE_PGM_RSRC2:USER_SGPR: 6
; COMPUTE_PGM_RSRC2:TRAP_HANDLER: 0
; COMPUTE_PGM_RSRC2:TGID_X_EN: 1
; COMPUTE_PGM_RSRC2:TGID_Y_EN: 0
; COMPUTE_PGM_RSRC2:TGID_Z_EN: 0
; COMPUTE_PGM_RSRC2:TIDIG_COMP_CNT: 0
	.section	.text._ZN7rocprim17ROCPRIM_400000_NS6detail17trampoline_kernelINS0_13select_configILj256ELj13ELNS0_17block_load_methodE3ELS4_3ELS4_3ELNS0_20block_scan_algorithmE0ELj4294967295EEENS1_25partition_config_selectorILNS1_17partition_subalgoE4EjNS0_10empty_typeEbEEZZNS1_14partition_implILS8_4ELb0ES6_15HIP_vector_typeIjLj2EENS0_17counting_iteratorIjlEEPS9_SG_NS0_5tupleIJPjSI_NS0_16reverse_iteratorISI_EEEEENSH_IJSG_SG_SG_EEES9_SI_JZNS1_25segmented_radix_sort_implINS0_14default_configELb1EPK6__halfPSP_PKlPlN2at6native12_GLOBAL__N_18offset_tEEE10hipError_tPvRmT1_PNSt15iterator_traitsIS13_E10value_typeET2_T3_PNS14_IS19_E10value_typeET4_jRbjT5_S1F_jjP12ihipStream_tbEUljE_ZNSN_ISO_Lb1ESR_SS_SU_SV_SZ_EES10_S11_S12_S13_S17_S18_S19_S1C_S1D_jS1E_jS1F_S1F_jjS1H_bEUljE0_EEES10_S11_S12_S19_S1D_S1F_T6_T7_T9_mT8_S1H_bDpT10_ENKUlT_T0_E_clISt17integral_constantIbLb1EES1U_IbLb0EEEEDaS1Q_S1R_EUlS1Q_E_NS1_11comp_targetILNS1_3genE2ELNS1_11target_archE906ELNS1_3gpuE6ELNS1_3repE0EEENS1_30default_config_static_selectorELNS0_4arch9wavefront6targetE1EEEvS13_,"axG",@progbits,_ZN7rocprim17ROCPRIM_400000_NS6detail17trampoline_kernelINS0_13select_configILj256ELj13ELNS0_17block_load_methodE3ELS4_3ELS4_3ELNS0_20block_scan_algorithmE0ELj4294967295EEENS1_25partition_config_selectorILNS1_17partition_subalgoE4EjNS0_10empty_typeEbEEZZNS1_14partition_implILS8_4ELb0ES6_15HIP_vector_typeIjLj2EENS0_17counting_iteratorIjlEEPS9_SG_NS0_5tupleIJPjSI_NS0_16reverse_iteratorISI_EEEEENSH_IJSG_SG_SG_EEES9_SI_JZNS1_25segmented_radix_sort_implINS0_14default_configELb1EPK6__halfPSP_PKlPlN2at6native12_GLOBAL__N_18offset_tEEE10hipError_tPvRmT1_PNSt15iterator_traitsIS13_E10value_typeET2_T3_PNS14_IS19_E10value_typeET4_jRbjT5_S1F_jjP12ihipStream_tbEUljE_ZNSN_ISO_Lb1ESR_SS_SU_SV_SZ_EES10_S11_S12_S13_S17_S18_S19_S1C_S1D_jS1E_jS1F_S1F_jjS1H_bEUljE0_EEES10_S11_S12_S19_S1D_S1F_T6_T7_T9_mT8_S1H_bDpT10_ENKUlT_T0_E_clISt17integral_constantIbLb1EES1U_IbLb0EEEEDaS1Q_S1R_EUlS1Q_E_NS1_11comp_targetILNS1_3genE2ELNS1_11target_archE906ELNS1_3gpuE6ELNS1_3repE0EEENS1_30default_config_static_selectorELNS0_4arch9wavefront6targetE1EEEvS13_,comdat
	.globl	_ZN7rocprim17ROCPRIM_400000_NS6detail17trampoline_kernelINS0_13select_configILj256ELj13ELNS0_17block_load_methodE3ELS4_3ELS4_3ELNS0_20block_scan_algorithmE0ELj4294967295EEENS1_25partition_config_selectorILNS1_17partition_subalgoE4EjNS0_10empty_typeEbEEZZNS1_14partition_implILS8_4ELb0ES6_15HIP_vector_typeIjLj2EENS0_17counting_iteratorIjlEEPS9_SG_NS0_5tupleIJPjSI_NS0_16reverse_iteratorISI_EEEEENSH_IJSG_SG_SG_EEES9_SI_JZNS1_25segmented_radix_sort_implINS0_14default_configELb1EPK6__halfPSP_PKlPlN2at6native12_GLOBAL__N_18offset_tEEE10hipError_tPvRmT1_PNSt15iterator_traitsIS13_E10value_typeET2_T3_PNS14_IS19_E10value_typeET4_jRbjT5_S1F_jjP12ihipStream_tbEUljE_ZNSN_ISO_Lb1ESR_SS_SU_SV_SZ_EES10_S11_S12_S13_S17_S18_S19_S1C_S1D_jS1E_jS1F_S1F_jjS1H_bEUljE0_EEES10_S11_S12_S19_S1D_S1F_T6_T7_T9_mT8_S1H_bDpT10_ENKUlT_T0_E_clISt17integral_constantIbLb1EES1U_IbLb0EEEEDaS1Q_S1R_EUlS1Q_E_NS1_11comp_targetILNS1_3genE2ELNS1_11target_archE906ELNS1_3gpuE6ELNS1_3repE0EEENS1_30default_config_static_selectorELNS0_4arch9wavefront6targetE1EEEvS13_ ; -- Begin function _ZN7rocprim17ROCPRIM_400000_NS6detail17trampoline_kernelINS0_13select_configILj256ELj13ELNS0_17block_load_methodE3ELS4_3ELS4_3ELNS0_20block_scan_algorithmE0ELj4294967295EEENS1_25partition_config_selectorILNS1_17partition_subalgoE4EjNS0_10empty_typeEbEEZZNS1_14partition_implILS8_4ELb0ES6_15HIP_vector_typeIjLj2EENS0_17counting_iteratorIjlEEPS9_SG_NS0_5tupleIJPjSI_NS0_16reverse_iteratorISI_EEEEENSH_IJSG_SG_SG_EEES9_SI_JZNS1_25segmented_radix_sort_implINS0_14default_configELb1EPK6__halfPSP_PKlPlN2at6native12_GLOBAL__N_18offset_tEEE10hipError_tPvRmT1_PNSt15iterator_traitsIS13_E10value_typeET2_T3_PNS14_IS19_E10value_typeET4_jRbjT5_S1F_jjP12ihipStream_tbEUljE_ZNSN_ISO_Lb1ESR_SS_SU_SV_SZ_EES10_S11_S12_S13_S17_S18_S19_S1C_S1D_jS1E_jS1F_S1F_jjS1H_bEUljE0_EEES10_S11_S12_S19_S1D_S1F_T6_T7_T9_mT8_S1H_bDpT10_ENKUlT_T0_E_clISt17integral_constantIbLb1EES1U_IbLb0EEEEDaS1Q_S1R_EUlS1Q_E_NS1_11comp_targetILNS1_3genE2ELNS1_11target_archE906ELNS1_3gpuE6ELNS1_3repE0EEENS1_30default_config_static_selectorELNS0_4arch9wavefront6targetE1EEEvS13_
	.p2align	8
	.type	_ZN7rocprim17ROCPRIM_400000_NS6detail17trampoline_kernelINS0_13select_configILj256ELj13ELNS0_17block_load_methodE3ELS4_3ELS4_3ELNS0_20block_scan_algorithmE0ELj4294967295EEENS1_25partition_config_selectorILNS1_17partition_subalgoE4EjNS0_10empty_typeEbEEZZNS1_14partition_implILS8_4ELb0ES6_15HIP_vector_typeIjLj2EENS0_17counting_iteratorIjlEEPS9_SG_NS0_5tupleIJPjSI_NS0_16reverse_iteratorISI_EEEEENSH_IJSG_SG_SG_EEES9_SI_JZNS1_25segmented_radix_sort_implINS0_14default_configELb1EPK6__halfPSP_PKlPlN2at6native12_GLOBAL__N_18offset_tEEE10hipError_tPvRmT1_PNSt15iterator_traitsIS13_E10value_typeET2_T3_PNS14_IS19_E10value_typeET4_jRbjT5_S1F_jjP12ihipStream_tbEUljE_ZNSN_ISO_Lb1ESR_SS_SU_SV_SZ_EES10_S11_S12_S13_S17_S18_S19_S1C_S1D_jS1E_jS1F_S1F_jjS1H_bEUljE0_EEES10_S11_S12_S19_S1D_S1F_T6_T7_T9_mT8_S1H_bDpT10_ENKUlT_T0_E_clISt17integral_constantIbLb1EES1U_IbLb0EEEEDaS1Q_S1R_EUlS1Q_E_NS1_11comp_targetILNS1_3genE2ELNS1_11target_archE906ELNS1_3gpuE6ELNS1_3repE0EEENS1_30default_config_static_selectorELNS0_4arch9wavefront6targetE1EEEvS13_,@function
_ZN7rocprim17ROCPRIM_400000_NS6detail17trampoline_kernelINS0_13select_configILj256ELj13ELNS0_17block_load_methodE3ELS4_3ELS4_3ELNS0_20block_scan_algorithmE0ELj4294967295EEENS1_25partition_config_selectorILNS1_17partition_subalgoE4EjNS0_10empty_typeEbEEZZNS1_14partition_implILS8_4ELb0ES6_15HIP_vector_typeIjLj2EENS0_17counting_iteratorIjlEEPS9_SG_NS0_5tupleIJPjSI_NS0_16reverse_iteratorISI_EEEEENSH_IJSG_SG_SG_EEES9_SI_JZNS1_25segmented_radix_sort_implINS0_14default_configELb1EPK6__halfPSP_PKlPlN2at6native12_GLOBAL__N_18offset_tEEE10hipError_tPvRmT1_PNSt15iterator_traitsIS13_E10value_typeET2_T3_PNS14_IS19_E10value_typeET4_jRbjT5_S1F_jjP12ihipStream_tbEUljE_ZNSN_ISO_Lb1ESR_SS_SU_SV_SZ_EES10_S11_S12_S13_S17_S18_S19_S1C_S1D_jS1E_jS1F_S1F_jjS1H_bEUljE0_EEES10_S11_S12_S19_S1D_S1F_T6_T7_T9_mT8_S1H_bDpT10_ENKUlT_T0_E_clISt17integral_constantIbLb1EES1U_IbLb0EEEEDaS1Q_S1R_EUlS1Q_E_NS1_11comp_targetILNS1_3genE2ELNS1_11target_archE906ELNS1_3gpuE6ELNS1_3repE0EEENS1_30default_config_static_selectorELNS0_4arch9wavefront6targetE1EEEvS13_: ; @_ZN7rocprim17ROCPRIM_400000_NS6detail17trampoline_kernelINS0_13select_configILj256ELj13ELNS0_17block_load_methodE3ELS4_3ELS4_3ELNS0_20block_scan_algorithmE0ELj4294967295EEENS1_25partition_config_selectorILNS1_17partition_subalgoE4EjNS0_10empty_typeEbEEZZNS1_14partition_implILS8_4ELb0ES6_15HIP_vector_typeIjLj2EENS0_17counting_iteratorIjlEEPS9_SG_NS0_5tupleIJPjSI_NS0_16reverse_iteratorISI_EEEEENSH_IJSG_SG_SG_EEES9_SI_JZNS1_25segmented_radix_sort_implINS0_14default_configELb1EPK6__halfPSP_PKlPlN2at6native12_GLOBAL__N_18offset_tEEE10hipError_tPvRmT1_PNSt15iterator_traitsIS13_E10value_typeET2_T3_PNS14_IS19_E10value_typeET4_jRbjT5_S1F_jjP12ihipStream_tbEUljE_ZNSN_ISO_Lb1ESR_SS_SU_SV_SZ_EES10_S11_S12_S13_S17_S18_S19_S1C_S1D_jS1E_jS1F_S1F_jjS1H_bEUljE0_EEES10_S11_S12_S19_S1D_S1F_T6_T7_T9_mT8_S1H_bDpT10_ENKUlT_T0_E_clISt17integral_constantIbLb1EES1U_IbLb0EEEEDaS1Q_S1R_EUlS1Q_E_NS1_11comp_targetILNS1_3genE2ELNS1_11target_archE906ELNS1_3gpuE6ELNS1_3repE0EEENS1_30default_config_static_selectorELNS0_4arch9wavefront6targetE1EEEvS13_
; %bb.0:
	s_endpgm
	.section	.rodata,"a",@progbits
	.p2align	6, 0x0
	.amdhsa_kernel _ZN7rocprim17ROCPRIM_400000_NS6detail17trampoline_kernelINS0_13select_configILj256ELj13ELNS0_17block_load_methodE3ELS4_3ELS4_3ELNS0_20block_scan_algorithmE0ELj4294967295EEENS1_25partition_config_selectorILNS1_17partition_subalgoE4EjNS0_10empty_typeEbEEZZNS1_14partition_implILS8_4ELb0ES6_15HIP_vector_typeIjLj2EENS0_17counting_iteratorIjlEEPS9_SG_NS0_5tupleIJPjSI_NS0_16reverse_iteratorISI_EEEEENSH_IJSG_SG_SG_EEES9_SI_JZNS1_25segmented_radix_sort_implINS0_14default_configELb1EPK6__halfPSP_PKlPlN2at6native12_GLOBAL__N_18offset_tEEE10hipError_tPvRmT1_PNSt15iterator_traitsIS13_E10value_typeET2_T3_PNS14_IS19_E10value_typeET4_jRbjT5_S1F_jjP12ihipStream_tbEUljE_ZNSN_ISO_Lb1ESR_SS_SU_SV_SZ_EES10_S11_S12_S13_S17_S18_S19_S1C_S1D_jS1E_jS1F_S1F_jjS1H_bEUljE0_EEES10_S11_S12_S19_S1D_S1F_T6_T7_T9_mT8_S1H_bDpT10_ENKUlT_T0_E_clISt17integral_constantIbLb1EES1U_IbLb0EEEEDaS1Q_S1R_EUlS1Q_E_NS1_11comp_targetILNS1_3genE2ELNS1_11target_archE906ELNS1_3gpuE6ELNS1_3repE0EEENS1_30default_config_static_selectorELNS0_4arch9wavefront6targetE1EEEvS13_
		.amdhsa_group_segment_fixed_size 0
		.amdhsa_private_segment_fixed_size 0
		.amdhsa_kernarg_size 176
		.amdhsa_user_sgpr_count 6
		.amdhsa_user_sgpr_private_segment_buffer 1
		.amdhsa_user_sgpr_dispatch_ptr 0
		.amdhsa_user_sgpr_queue_ptr 0
		.amdhsa_user_sgpr_kernarg_segment_ptr 1
		.amdhsa_user_sgpr_dispatch_id 0
		.amdhsa_user_sgpr_flat_scratch_init 0
		.amdhsa_user_sgpr_private_segment_size 0
		.amdhsa_uses_dynamic_stack 0
		.amdhsa_system_sgpr_private_segment_wavefront_offset 0
		.amdhsa_system_sgpr_workgroup_id_x 1
		.amdhsa_system_sgpr_workgroup_id_y 0
		.amdhsa_system_sgpr_workgroup_id_z 0
		.amdhsa_system_sgpr_workgroup_info 0
		.amdhsa_system_vgpr_workitem_id 0
		.amdhsa_next_free_vgpr 1
		.amdhsa_next_free_sgpr 0
		.amdhsa_reserve_vcc 0
		.amdhsa_reserve_flat_scratch 0
		.amdhsa_float_round_mode_32 0
		.amdhsa_float_round_mode_16_64 0
		.amdhsa_float_denorm_mode_32 3
		.amdhsa_float_denorm_mode_16_64 3
		.amdhsa_dx10_clamp 1
		.amdhsa_ieee_mode 1
		.amdhsa_fp16_overflow 0
		.amdhsa_exception_fp_ieee_invalid_op 0
		.amdhsa_exception_fp_denorm_src 0
		.amdhsa_exception_fp_ieee_div_zero 0
		.amdhsa_exception_fp_ieee_overflow 0
		.amdhsa_exception_fp_ieee_underflow 0
		.amdhsa_exception_fp_ieee_inexact 0
		.amdhsa_exception_int_div_zero 0
	.end_amdhsa_kernel
	.section	.text._ZN7rocprim17ROCPRIM_400000_NS6detail17trampoline_kernelINS0_13select_configILj256ELj13ELNS0_17block_load_methodE3ELS4_3ELS4_3ELNS0_20block_scan_algorithmE0ELj4294967295EEENS1_25partition_config_selectorILNS1_17partition_subalgoE4EjNS0_10empty_typeEbEEZZNS1_14partition_implILS8_4ELb0ES6_15HIP_vector_typeIjLj2EENS0_17counting_iteratorIjlEEPS9_SG_NS0_5tupleIJPjSI_NS0_16reverse_iteratorISI_EEEEENSH_IJSG_SG_SG_EEES9_SI_JZNS1_25segmented_radix_sort_implINS0_14default_configELb1EPK6__halfPSP_PKlPlN2at6native12_GLOBAL__N_18offset_tEEE10hipError_tPvRmT1_PNSt15iterator_traitsIS13_E10value_typeET2_T3_PNS14_IS19_E10value_typeET4_jRbjT5_S1F_jjP12ihipStream_tbEUljE_ZNSN_ISO_Lb1ESR_SS_SU_SV_SZ_EES10_S11_S12_S13_S17_S18_S19_S1C_S1D_jS1E_jS1F_S1F_jjS1H_bEUljE0_EEES10_S11_S12_S19_S1D_S1F_T6_T7_T9_mT8_S1H_bDpT10_ENKUlT_T0_E_clISt17integral_constantIbLb1EES1U_IbLb0EEEEDaS1Q_S1R_EUlS1Q_E_NS1_11comp_targetILNS1_3genE2ELNS1_11target_archE906ELNS1_3gpuE6ELNS1_3repE0EEENS1_30default_config_static_selectorELNS0_4arch9wavefront6targetE1EEEvS13_,"axG",@progbits,_ZN7rocprim17ROCPRIM_400000_NS6detail17trampoline_kernelINS0_13select_configILj256ELj13ELNS0_17block_load_methodE3ELS4_3ELS4_3ELNS0_20block_scan_algorithmE0ELj4294967295EEENS1_25partition_config_selectorILNS1_17partition_subalgoE4EjNS0_10empty_typeEbEEZZNS1_14partition_implILS8_4ELb0ES6_15HIP_vector_typeIjLj2EENS0_17counting_iteratorIjlEEPS9_SG_NS0_5tupleIJPjSI_NS0_16reverse_iteratorISI_EEEEENSH_IJSG_SG_SG_EEES9_SI_JZNS1_25segmented_radix_sort_implINS0_14default_configELb1EPK6__halfPSP_PKlPlN2at6native12_GLOBAL__N_18offset_tEEE10hipError_tPvRmT1_PNSt15iterator_traitsIS13_E10value_typeET2_T3_PNS14_IS19_E10value_typeET4_jRbjT5_S1F_jjP12ihipStream_tbEUljE_ZNSN_ISO_Lb1ESR_SS_SU_SV_SZ_EES10_S11_S12_S13_S17_S18_S19_S1C_S1D_jS1E_jS1F_S1F_jjS1H_bEUljE0_EEES10_S11_S12_S19_S1D_S1F_T6_T7_T9_mT8_S1H_bDpT10_ENKUlT_T0_E_clISt17integral_constantIbLb1EES1U_IbLb0EEEEDaS1Q_S1R_EUlS1Q_E_NS1_11comp_targetILNS1_3genE2ELNS1_11target_archE906ELNS1_3gpuE6ELNS1_3repE0EEENS1_30default_config_static_selectorELNS0_4arch9wavefront6targetE1EEEvS13_,comdat
.Lfunc_end1695:
	.size	_ZN7rocprim17ROCPRIM_400000_NS6detail17trampoline_kernelINS0_13select_configILj256ELj13ELNS0_17block_load_methodE3ELS4_3ELS4_3ELNS0_20block_scan_algorithmE0ELj4294967295EEENS1_25partition_config_selectorILNS1_17partition_subalgoE4EjNS0_10empty_typeEbEEZZNS1_14partition_implILS8_4ELb0ES6_15HIP_vector_typeIjLj2EENS0_17counting_iteratorIjlEEPS9_SG_NS0_5tupleIJPjSI_NS0_16reverse_iteratorISI_EEEEENSH_IJSG_SG_SG_EEES9_SI_JZNS1_25segmented_radix_sort_implINS0_14default_configELb1EPK6__halfPSP_PKlPlN2at6native12_GLOBAL__N_18offset_tEEE10hipError_tPvRmT1_PNSt15iterator_traitsIS13_E10value_typeET2_T3_PNS14_IS19_E10value_typeET4_jRbjT5_S1F_jjP12ihipStream_tbEUljE_ZNSN_ISO_Lb1ESR_SS_SU_SV_SZ_EES10_S11_S12_S13_S17_S18_S19_S1C_S1D_jS1E_jS1F_S1F_jjS1H_bEUljE0_EEES10_S11_S12_S19_S1D_S1F_T6_T7_T9_mT8_S1H_bDpT10_ENKUlT_T0_E_clISt17integral_constantIbLb1EES1U_IbLb0EEEEDaS1Q_S1R_EUlS1Q_E_NS1_11comp_targetILNS1_3genE2ELNS1_11target_archE906ELNS1_3gpuE6ELNS1_3repE0EEENS1_30default_config_static_selectorELNS0_4arch9wavefront6targetE1EEEvS13_, .Lfunc_end1695-_ZN7rocprim17ROCPRIM_400000_NS6detail17trampoline_kernelINS0_13select_configILj256ELj13ELNS0_17block_load_methodE3ELS4_3ELS4_3ELNS0_20block_scan_algorithmE0ELj4294967295EEENS1_25partition_config_selectorILNS1_17partition_subalgoE4EjNS0_10empty_typeEbEEZZNS1_14partition_implILS8_4ELb0ES6_15HIP_vector_typeIjLj2EENS0_17counting_iteratorIjlEEPS9_SG_NS0_5tupleIJPjSI_NS0_16reverse_iteratorISI_EEEEENSH_IJSG_SG_SG_EEES9_SI_JZNS1_25segmented_radix_sort_implINS0_14default_configELb1EPK6__halfPSP_PKlPlN2at6native12_GLOBAL__N_18offset_tEEE10hipError_tPvRmT1_PNSt15iterator_traitsIS13_E10value_typeET2_T3_PNS14_IS19_E10value_typeET4_jRbjT5_S1F_jjP12ihipStream_tbEUljE_ZNSN_ISO_Lb1ESR_SS_SU_SV_SZ_EES10_S11_S12_S13_S17_S18_S19_S1C_S1D_jS1E_jS1F_S1F_jjS1H_bEUljE0_EEES10_S11_S12_S19_S1D_S1F_T6_T7_T9_mT8_S1H_bDpT10_ENKUlT_T0_E_clISt17integral_constantIbLb1EES1U_IbLb0EEEEDaS1Q_S1R_EUlS1Q_E_NS1_11comp_targetILNS1_3genE2ELNS1_11target_archE906ELNS1_3gpuE6ELNS1_3repE0EEENS1_30default_config_static_selectorELNS0_4arch9wavefront6targetE1EEEvS13_
                                        ; -- End function
	.set _ZN7rocprim17ROCPRIM_400000_NS6detail17trampoline_kernelINS0_13select_configILj256ELj13ELNS0_17block_load_methodE3ELS4_3ELS4_3ELNS0_20block_scan_algorithmE0ELj4294967295EEENS1_25partition_config_selectorILNS1_17partition_subalgoE4EjNS0_10empty_typeEbEEZZNS1_14partition_implILS8_4ELb0ES6_15HIP_vector_typeIjLj2EENS0_17counting_iteratorIjlEEPS9_SG_NS0_5tupleIJPjSI_NS0_16reverse_iteratorISI_EEEEENSH_IJSG_SG_SG_EEES9_SI_JZNS1_25segmented_radix_sort_implINS0_14default_configELb1EPK6__halfPSP_PKlPlN2at6native12_GLOBAL__N_18offset_tEEE10hipError_tPvRmT1_PNSt15iterator_traitsIS13_E10value_typeET2_T3_PNS14_IS19_E10value_typeET4_jRbjT5_S1F_jjP12ihipStream_tbEUljE_ZNSN_ISO_Lb1ESR_SS_SU_SV_SZ_EES10_S11_S12_S13_S17_S18_S19_S1C_S1D_jS1E_jS1F_S1F_jjS1H_bEUljE0_EEES10_S11_S12_S19_S1D_S1F_T6_T7_T9_mT8_S1H_bDpT10_ENKUlT_T0_E_clISt17integral_constantIbLb1EES1U_IbLb0EEEEDaS1Q_S1R_EUlS1Q_E_NS1_11comp_targetILNS1_3genE2ELNS1_11target_archE906ELNS1_3gpuE6ELNS1_3repE0EEENS1_30default_config_static_selectorELNS0_4arch9wavefront6targetE1EEEvS13_.num_vgpr, 0
	.set _ZN7rocprim17ROCPRIM_400000_NS6detail17trampoline_kernelINS0_13select_configILj256ELj13ELNS0_17block_load_methodE3ELS4_3ELS4_3ELNS0_20block_scan_algorithmE0ELj4294967295EEENS1_25partition_config_selectorILNS1_17partition_subalgoE4EjNS0_10empty_typeEbEEZZNS1_14partition_implILS8_4ELb0ES6_15HIP_vector_typeIjLj2EENS0_17counting_iteratorIjlEEPS9_SG_NS0_5tupleIJPjSI_NS0_16reverse_iteratorISI_EEEEENSH_IJSG_SG_SG_EEES9_SI_JZNS1_25segmented_radix_sort_implINS0_14default_configELb1EPK6__halfPSP_PKlPlN2at6native12_GLOBAL__N_18offset_tEEE10hipError_tPvRmT1_PNSt15iterator_traitsIS13_E10value_typeET2_T3_PNS14_IS19_E10value_typeET4_jRbjT5_S1F_jjP12ihipStream_tbEUljE_ZNSN_ISO_Lb1ESR_SS_SU_SV_SZ_EES10_S11_S12_S13_S17_S18_S19_S1C_S1D_jS1E_jS1F_S1F_jjS1H_bEUljE0_EEES10_S11_S12_S19_S1D_S1F_T6_T7_T9_mT8_S1H_bDpT10_ENKUlT_T0_E_clISt17integral_constantIbLb1EES1U_IbLb0EEEEDaS1Q_S1R_EUlS1Q_E_NS1_11comp_targetILNS1_3genE2ELNS1_11target_archE906ELNS1_3gpuE6ELNS1_3repE0EEENS1_30default_config_static_selectorELNS0_4arch9wavefront6targetE1EEEvS13_.num_agpr, 0
	.set _ZN7rocprim17ROCPRIM_400000_NS6detail17trampoline_kernelINS0_13select_configILj256ELj13ELNS0_17block_load_methodE3ELS4_3ELS4_3ELNS0_20block_scan_algorithmE0ELj4294967295EEENS1_25partition_config_selectorILNS1_17partition_subalgoE4EjNS0_10empty_typeEbEEZZNS1_14partition_implILS8_4ELb0ES6_15HIP_vector_typeIjLj2EENS0_17counting_iteratorIjlEEPS9_SG_NS0_5tupleIJPjSI_NS0_16reverse_iteratorISI_EEEEENSH_IJSG_SG_SG_EEES9_SI_JZNS1_25segmented_radix_sort_implINS0_14default_configELb1EPK6__halfPSP_PKlPlN2at6native12_GLOBAL__N_18offset_tEEE10hipError_tPvRmT1_PNSt15iterator_traitsIS13_E10value_typeET2_T3_PNS14_IS19_E10value_typeET4_jRbjT5_S1F_jjP12ihipStream_tbEUljE_ZNSN_ISO_Lb1ESR_SS_SU_SV_SZ_EES10_S11_S12_S13_S17_S18_S19_S1C_S1D_jS1E_jS1F_S1F_jjS1H_bEUljE0_EEES10_S11_S12_S19_S1D_S1F_T6_T7_T9_mT8_S1H_bDpT10_ENKUlT_T0_E_clISt17integral_constantIbLb1EES1U_IbLb0EEEEDaS1Q_S1R_EUlS1Q_E_NS1_11comp_targetILNS1_3genE2ELNS1_11target_archE906ELNS1_3gpuE6ELNS1_3repE0EEENS1_30default_config_static_selectorELNS0_4arch9wavefront6targetE1EEEvS13_.numbered_sgpr, 0
	.set _ZN7rocprim17ROCPRIM_400000_NS6detail17trampoline_kernelINS0_13select_configILj256ELj13ELNS0_17block_load_methodE3ELS4_3ELS4_3ELNS0_20block_scan_algorithmE0ELj4294967295EEENS1_25partition_config_selectorILNS1_17partition_subalgoE4EjNS0_10empty_typeEbEEZZNS1_14partition_implILS8_4ELb0ES6_15HIP_vector_typeIjLj2EENS0_17counting_iteratorIjlEEPS9_SG_NS0_5tupleIJPjSI_NS0_16reverse_iteratorISI_EEEEENSH_IJSG_SG_SG_EEES9_SI_JZNS1_25segmented_radix_sort_implINS0_14default_configELb1EPK6__halfPSP_PKlPlN2at6native12_GLOBAL__N_18offset_tEEE10hipError_tPvRmT1_PNSt15iterator_traitsIS13_E10value_typeET2_T3_PNS14_IS19_E10value_typeET4_jRbjT5_S1F_jjP12ihipStream_tbEUljE_ZNSN_ISO_Lb1ESR_SS_SU_SV_SZ_EES10_S11_S12_S13_S17_S18_S19_S1C_S1D_jS1E_jS1F_S1F_jjS1H_bEUljE0_EEES10_S11_S12_S19_S1D_S1F_T6_T7_T9_mT8_S1H_bDpT10_ENKUlT_T0_E_clISt17integral_constantIbLb1EES1U_IbLb0EEEEDaS1Q_S1R_EUlS1Q_E_NS1_11comp_targetILNS1_3genE2ELNS1_11target_archE906ELNS1_3gpuE6ELNS1_3repE0EEENS1_30default_config_static_selectorELNS0_4arch9wavefront6targetE1EEEvS13_.num_named_barrier, 0
	.set _ZN7rocprim17ROCPRIM_400000_NS6detail17trampoline_kernelINS0_13select_configILj256ELj13ELNS0_17block_load_methodE3ELS4_3ELS4_3ELNS0_20block_scan_algorithmE0ELj4294967295EEENS1_25partition_config_selectorILNS1_17partition_subalgoE4EjNS0_10empty_typeEbEEZZNS1_14partition_implILS8_4ELb0ES6_15HIP_vector_typeIjLj2EENS0_17counting_iteratorIjlEEPS9_SG_NS0_5tupleIJPjSI_NS0_16reverse_iteratorISI_EEEEENSH_IJSG_SG_SG_EEES9_SI_JZNS1_25segmented_radix_sort_implINS0_14default_configELb1EPK6__halfPSP_PKlPlN2at6native12_GLOBAL__N_18offset_tEEE10hipError_tPvRmT1_PNSt15iterator_traitsIS13_E10value_typeET2_T3_PNS14_IS19_E10value_typeET4_jRbjT5_S1F_jjP12ihipStream_tbEUljE_ZNSN_ISO_Lb1ESR_SS_SU_SV_SZ_EES10_S11_S12_S13_S17_S18_S19_S1C_S1D_jS1E_jS1F_S1F_jjS1H_bEUljE0_EEES10_S11_S12_S19_S1D_S1F_T6_T7_T9_mT8_S1H_bDpT10_ENKUlT_T0_E_clISt17integral_constantIbLb1EES1U_IbLb0EEEEDaS1Q_S1R_EUlS1Q_E_NS1_11comp_targetILNS1_3genE2ELNS1_11target_archE906ELNS1_3gpuE6ELNS1_3repE0EEENS1_30default_config_static_selectorELNS0_4arch9wavefront6targetE1EEEvS13_.private_seg_size, 0
	.set _ZN7rocprim17ROCPRIM_400000_NS6detail17trampoline_kernelINS0_13select_configILj256ELj13ELNS0_17block_load_methodE3ELS4_3ELS4_3ELNS0_20block_scan_algorithmE0ELj4294967295EEENS1_25partition_config_selectorILNS1_17partition_subalgoE4EjNS0_10empty_typeEbEEZZNS1_14partition_implILS8_4ELb0ES6_15HIP_vector_typeIjLj2EENS0_17counting_iteratorIjlEEPS9_SG_NS0_5tupleIJPjSI_NS0_16reverse_iteratorISI_EEEEENSH_IJSG_SG_SG_EEES9_SI_JZNS1_25segmented_radix_sort_implINS0_14default_configELb1EPK6__halfPSP_PKlPlN2at6native12_GLOBAL__N_18offset_tEEE10hipError_tPvRmT1_PNSt15iterator_traitsIS13_E10value_typeET2_T3_PNS14_IS19_E10value_typeET4_jRbjT5_S1F_jjP12ihipStream_tbEUljE_ZNSN_ISO_Lb1ESR_SS_SU_SV_SZ_EES10_S11_S12_S13_S17_S18_S19_S1C_S1D_jS1E_jS1F_S1F_jjS1H_bEUljE0_EEES10_S11_S12_S19_S1D_S1F_T6_T7_T9_mT8_S1H_bDpT10_ENKUlT_T0_E_clISt17integral_constantIbLb1EES1U_IbLb0EEEEDaS1Q_S1R_EUlS1Q_E_NS1_11comp_targetILNS1_3genE2ELNS1_11target_archE906ELNS1_3gpuE6ELNS1_3repE0EEENS1_30default_config_static_selectorELNS0_4arch9wavefront6targetE1EEEvS13_.uses_vcc, 0
	.set _ZN7rocprim17ROCPRIM_400000_NS6detail17trampoline_kernelINS0_13select_configILj256ELj13ELNS0_17block_load_methodE3ELS4_3ELS4_3ELNS0_20block_scan_algorithmE0ELj4294967295EEENS1_25partition_config_selectorILNS1_17partition_subalgoE4EjNS0_10empty_typeEbEEZZNS1_14partition_implILS8_4ELb0ES6_15HIP_vector_typeIjLj2EENS0_17counting_iteratorIjlEEPS9_SG_NS0_5tupleIJPjSI_NS0_16reverse_iteratorISI_EEEEENSH_IJSG_SG_SG_EEES9_SI_JZNS1_25segmented_radix_sort_implINS0_14default_configELb1EPK6__halfPSP_PKlPlN2at6native12_GLOBAL__N_18offset_tEEE10hipError_tPvRmT1_PNSt15iterator_traitsIS13_E10value_typeET2_T3_PNS14_IS19_E10value_typeET4_jRbjT5_S1F_jjP12ihipStream_tbEUljE_ZNSN_ISO_Lb1ESR_SS_SU_SV_SZ_EES10_S11_S12_S13_S17_S18_S19_S1C_S1D_jS1E_jS1F_S1F_jjS1H_bEUljE0_EEES10_S11_S12_S19_S1D_S1F_T6_T7_T9_mT8_S1H_bDpT10_ENKUlT_T0_E_clISt17integral_constantIbLb1EES1U_IbLb0EEEEDaS1Q_S1R_EUlS1Q_E_NS1_11comp_targetILNS1_3genE2ELNS1_11target_archE906ELNS1_3gpuE6ELNS1_3repE0EEENS1_30default_config_static_selectorELNS0_4arch9wavefront6targetE1EEEvS13_.uses_flat_scratch, 0
	.set _ZN7rocprim17ROCPRIM_400000_NS6detail17trampoline_kernelINS0_13select_configILj256ELj13ELNS0_17block_load_methodE3ELS4_3ELS4_3ELNS0_20block_scan_algorithmE0ELj4294967295EEENS1_25partition_config_selectorILNS1_17partition_subalgoE4EjNS0_10empty_typeEbEEZZNS1_14partition_implILS8_4ELb0ES6_15HIP_vector_typeIjLj2EENS0_17counting_iteratorIjlEEPS9_SG_NS0_5tupleIJPjSI_NS0_16reverse_iteratorISI_EEEEENSH_IJSG_SG_SG_EEES9_SI_JZNS1_25segmented_radix_sort_implINS0_14default_configELb1EPK6__halfPSP_PKlPlN2at6native12_GLOBAL__N_18offset_tEEE10hipError_tPvRmT1_PNSt15iterator_traitsIS13_E10value_typeET2_T3_PNS14_IS19_E10value_typeET4_jRbjT5_S1F_jjP12ihipStream_tbEUljE_ZNSN_ISO_Lb1ESR_SS_SU_SV_SZ_EES10_S11_S12_S13_S17_S18_S19_S1C_S1D_jS1E_jS1F_S1F_jjS1H_bEUljE0_EEES10_S11_S12_S19_S1D_S1F_T6_T7_T9_mT8_S1H_bDpT10_ENKUlT_T0_E_clISt17integral_constantIbLb1EES1U_IbLb0EEEEDaS1Q_S1R_EUlS1Q_E_NS1_11comp_targetILNS1_3genE2ELNS1_11target_archE906ELNS1_3gpuE6ELNS1_3repE0EEENS1_30default_config_static_selectorELNS0_4arch9wavefront6targetE1EEEvS13_.has_dyn_sized_stack, 0
	.set _ZN7rocprim17ROCPRIM_400000_NS6detail17trampoline_kernelINS0_13select_configILj256ELj13ELNS0_17block_load_methodE3ELS4_3ELS4_3ELNS0_20block_scan_algorithmE0ELj4294967295EEENS1_25partition_config_selectorILNS1_17partition_subalgoE4EjNS0_10empty_typeEbEEZZNS1_14partition_implILS8_4ELb0ES6_15HIP_vector_typeIjLj2EENS0_17counting_iteratorIjlEEPS9_SG_NS0_5tupleIJPjSI_NS0_16reverse_iteratorISI_EEEEENSH_IJSG_SG_SG_EEES9_SI_JZNS1_25segmented_radix_sort_implINS0_14default_configELb1EPK6__halfPSP_PKlPlN2at6native12_GLOBAL__N_18offset_tEEE10hipError_tPvRmT1_PNSt15iterator_traitsIS13_E10value_typeET2_T3_PNS14_IS19_E10value_typeET4_jRbjT5_S1F_jjP12ihipStream_tbEUljE_ZNSN_ISO_Lb1ESR_SS_SU_SV_SZ_EES10_S11_S12_S13_S17_S18_S19_S1C_S1D_jS1E_jS1F_S1F_jjS1H_bEUljE0_EEES10_S11_S12_S19_S1D_S1F_T6_T7_T9_mT8_S1H_bDpT10_ENKUlT_T0_E_clISt17integral_constantIbLb1EES1U_IbLb0EEEEDaS1Q_S1R_EUlS1Q_E_NS1_11comp_targetILNS1_3genE2ELNS1_11target_archE906ELNS1_3gpuE6ELNS1_3repE0EEENS1_30default_config_static_selectorELNS0_4arch9wavefront6targetE1EEEvS13_.has_recursion, 0
	.set _ZN7rocprim17ROCPRIM_400000_NS6detail17trampoline_kernelINS0_13select_configILj256ELj13ELNS0_17block_load_methodE3ELS4_3ELS4_3ELNS0_20block_scan_algorithmE0ELj4294967295EEENS1_25partition_config_selectorILNS1_17partition_subalgoE4EjNS0_10empty_typeEbEEZZNS1_14partition_implILS8_4ELb0ES6_15HIP_vector_typeIjLj2EENS0_17counting_iteratorIjlEEPS9_SG_NS0_5tupleIJPjSI_NS0_16reverse_iteratorISI_EEEEENSH_IJSG_SG_SG_EEES9_SI_JZNS1_25segmented_radix_sort_implINS0_14default_configELb1EPK6__halfPSP_PKlPlN2at6native12_GLOBAL__N_18offset_tEEE10hipError_tPvRmT1_PNSt15iterator_traitsIS13_E10value_typeET2_T3_PNS14_IS19_E10value_typeET4_jRbjT5_S1F_jjP12ihipStream_tbEUljE_ZNSN_ISO_Lb1ESR_SS_SU_SV_SZ_EES10_S11_S12_S13_S17_S18_S19_S1C_S1D_jS1E_jS1F_S1F_jjS1H_bEUljE0_EEES10_S11_S12_S19_S1D_S1F_T6_T7_T9_mT8_S1H_bDpT10_ENKUlT_T0_E_clISt17integral_constantIbLb1EES1U_IbLb0EEEEDaS1Q_S1R_EUlS1Q_E_NS1_11comp_targetILNS1_3genE2ELNS1_11target_archE906ELNS1_3gpuE6ELNS1_3repE0EEENS1_30default_config_static_selectorELNS0_4arch9wavefront6targetE1EEEvS13_.has_indirect_call, 0
	.section	.AMDGPU.csdata,"",@progbits
; Kernel info:
; codeLenInByte = 4
; TotalNumSgprs: 4
; NumVgprs: 0
; ScratchSize: 0
; MemoryBound: 0
; FloatMode: 240
; IeeeMode: 1
; LDSByteSize: 0 bytes/workgroup (compile time only)
; SGPRBlocks: 0
; VGPRBlocks: 0
; NumSGPRsForWavesPerEU: 4
; NumVGPRsForWavesPerEU: 1
; Occupancy: 10
; WaveLimiterHint : 0
; COMPUTE_PGM_RSRC2:SCRATCH_EN: 0
; COMPUTE_PGM_RSRC2:USER_SGPR: 6
; COMPUTE_PGM_RSRC2:TRAP_HANDLER: 0
; COMPUTE_PGM_RSRC2:TGID_X_EN: 1
; COMPUTE_PGM_RSRC2:TGID_Y_EN: 0
; COMPUTE_PGM_RSRC2:TGID_Z_EN: 0
; COMPUTE_PGM_RSRC2:TIDIG_COMP_CNT: 0
	.section	.text._ZN7rocprim17ROCPRIM_400000_NS6detail17trampoline_kernelINS0_13select_configILj256ELj13ELNS0_17block_load_methodE3ELS4_3ELS4_3ELNS0_20block_scan_algorithmE0ELj4294967295EEENS1_25partition_config_selectorILNS1_17partition_subalgoE4EjNS0_10empty_typeEbEEZZNS1_14partition_implILS8_4ELb0ES6_15HIP_vector_typeIjLj2EENS0_17counting_iteratorIjlEEPS9_SG_NS0_5tupleIJPjSI_NS0_16reverse_iteratorISI_EEEEENSH_IJSG_SG_SG_EEES9_SI_JZNS1_25segmented_radix_sort_implINS0_14default_configELb1EPK6__halfPSP_PKlPlN2at6native12_GLOBAL__N_18offset_tEEE10hipError_tPvRmT1_PNSt15iterator_traitsIS13_E10value_typeET2_T3_PNS14_IS19_E10value_typeET4_jRbjT5_S1F_jjP12ihipStream_tbEUljE_ZNSN_ISO_Lb1ESR_SS_SU_SV_SZ_EES10_S11_S12_S13_S17_S18_S19_S1C_S1D_jS1E_jS1F_S1F_jjS1H_bEUljE0_EEES10_S11_S12_S19_S1D_S1F_T6_T7_T9_mT8_S1H_bDpT10_ENKUlT_T0_E_clISt17integral_constantIbLb1EES1U_IbLb0EEEEDaS1Q_S1R_EUlS1Q_E_NS1_11comp_targetILNS1_3genE10ELNS1_11target_archE1200ELNS1_3gpuE4ELNS1_3repE0EEENS1_30default_config_static_selectorELNS0_4arch9wavefront6targetE1EEEvS13_,"axG",@progbits,_ZN7rocprim17ROCPRIM_400000_NS6detail17trampoline_kernelINS0_13select_configILj256ELj13ELNS0_17block_load_methodE3ELS4_3ELS4_3ELNS0_20block_scan_algorithmE0ELj4294967295EEENS1_25partition_config_selectorILNS1_17partition_subalgoE4EjNS0_10empty_typeEbEEZZNS1_14partition_implILS8_4ELb0ES6_15HIP_vector_typeIjLj2EENS0_17counting_iteratorIjlEEPS9_SG_NS0_5tupleIJPjSI_NS0_16reverse_iteratorISI_EEEEENSH_IJSG_SG_SG_EEES9_SI_JZNS1_25segmented_radix_sort_implINS0_14default_configELb1EPK6__halfPSP_PKlPlN2at6native12_GLOBAL__N_18offset_tEEE10hipError_tPvRmT1_PNSt15iterator_traitsIS13_E10value_typeET2_T3_PNS14_IS19_E10value_typeET4_jRbjT5_S1F_jjP12ihipStream_tbEUljE_ZNSN_ISO_Lb1ESR_SS_SU_SV_SZ_EES10_S11_S12_S13_S17_S18_S19_S1C_S1D_jS1E_jS1F_S1F_jjS1H_bEUljE0_EEES10_S11_S12_S19_S1D_S1F_T6_T7_T9_mT8_S1H_bDpT10_ENKUlT_T0_E_clISt17integral_constantIbLb1EES1U_IbLb0EEEEDaS1Q_S1R_EUlS1Q_E_NS1_11comp_targetILNS1_3genE10ELNS1_11target_archE1200ELNS1_3gpuE4ELNS1_3repE0EEENS1_30default_config_static_selectorELNS0_4arch9wavefront6targetE1EEEvS13_,comdat
	.globl	_ZN7rocprim17ROCPRIM_400000_NS6detail17trampoline_kernelINS0_13select_configILj256ELj13ELNS0_17block_load_methodE3ELS4_3ELS4_3ELNS0_20block_scan_algorithmE0ELj4294967295EEENS1_25partition_config_selectorILNS1_17partition_subalgoE4EjNS0_10empty_typeEbEEZZNS1_14partition_implILS8_4ELb0ES6_15HIP_vector_typeIjLj2EENS0_17counting_iteratorIjlEEPS9_SG_NS0_5tupleIJPjSI_NS0_16reverse_iteratorISI_EEEEENSH_IJSG_SG_SG_EEES9_SI_JZNS1_25segmented_radix_sort_implINS0_14default_configELb1EPK6__halfPSP_PKlPlN2at6native12_GLOBAL__N_18offset_tEEE10hipError_tPvRmT1_PNSt15iterator_traitsIS13_E10value_typeET2_T3_PNS14_IS19_E10value_typeET4_jRbjT5_S1F_jjP12ihipStream_tbEUljE_ZNSN_ISO_Lb1ESR_SS_SU_SV_SZ_EES10_S11_S12_S13_S17_S18_S19_S1C_S1D_jS1E_jS1F_S1F_jjS1H_bEUljE0_EEES10_S11_S12_S19_S1D_S1F_T6_T7_T9_mT8_S1H_bDpT10_ENKUlT_T0_E_clISt17integral_constantIbLb1EES1U_IbLb0EEEEDaS1Q_S1R_EUlS1Q_E_NS1_11comp_targetILNS1_3genE10ELNS1_11target_archE1200ELNS1_3gpuE4ELNS1_3repE0EEENS1_30default_config_static_selectorELNS0_4arch9wavefront6targetE1EEEvS13_ ; -- Begin function _ZN7rocprim17ROCPRIM_400000_NS6detail17trampoline_kernelINS0_13select_configILj256ELj13ELNS0_17block_load_methodE3ELS4_3ELS4_3ELNS0_20block_scan_algorithmE0ELj4294967295EEENS1_25partition_config_selectorILNS1_17partition_subalgoE4EjNS0_10empty_typeEbEEZZNS1_14partition_implILS8_4ELb0ES6_15HIP_vector_typeIjLj2EENS0_17counting_iteratorIjlEEPS9_SG_NS0_5tupleIJPjSI_NS0_16reverse_iteratorISI_EEEEENSH_IJSG_SG_SG_EEES9_SI_JZNS1_25segmented_radix_sort_implINS0_14default_configELb1EPK6__halfPSP_PKlPlN2at6native12_GLOBAL__N_18offset_tEEE10hipError_tPvRmT1_PNSt15iterator_traitsIS13_E10value_typeET2_T3_PNS14_IS19_E10value_typeET4_jRbjT5_S1F_jjP12ihipStream_tbEUljE_ZNSN_ISO_Lb1ESR_SS_SU_SV_SZ_EES10_S11_S12_S13_S17_S18_S19_S1C_S1D_jS1E_jS1F_S1F_jjS1H_bEUljE0_EEES10_S11_S12_S19_S1D_S1F_T6_T7_T9_mT8_S1H_bDpT10_ENKUlT_T0_E_clISt17integral_constantIbLb1EES1U_IbLb0EEEEDaS1Q_S1R_EUlS1Q_E_NS1_11comp_targetILNS1_3genE10ELNS1_11target_archE1200ELNS1_3gpuE4ELNS1_3repE0EEENS1_30default_config_static_selectorELNS0_4arch9wavefront6targetE1EEEvS13_
	.p2align	8
	.type	_ZN7rocprim17ROCPRIM_400000_NS6detail17trampoline_kernelINS0_13select_configILj256ELj13ELNS0_17block_load_methodE3ELS4_3ELS4_3ELNS0_20block_scan_algorithmE0ELj4294967295EEENS1_25partition_config_selectorILNS1_17partition_subalgoE4EjNS0_10empty_typeEbEEZZNS1_14partition_implILS8_4ELb0ES6_15HIP_vector_typeIjLj2EENS0_17counting_iteratorIjlEEPS9_SG_NS0_5tupleIJPjSI_NS0_16reverse_iteratorISI_EEEEENSH_IJSG_SG_SG_EEES9_SI_JZNS1_25segmented_radix_sort_implINS0_14default_configELb1EPK6__halfPSP_PKlPlN2at6native12_GLOBAL__N_18offset_tEEE10hipError_tPvRmT1_PNSt15iterator_traitsIS13_E10value_typeET2_T3_PNS14_IS19_E10value_typeET4_jRbjT5_S1F_jjP12ihipStream_tbEUljE_ZNSN_ISO_Lb1ESR_SS_SU_SV_SZ_EES10_S11_S12_S13_S17_S18_S19_S1C_S1D_jS1E_jS1F_S1F_jjS1H_bEUljE0_EEES10_S11_S12_S19_S1D_S1F_T6_T7_T9_mT8_S1H_bDpT10_ENKUlT_T0_E_clISt17integral_constantIbLb1EES1U_IbLb0EEEEDaS1Q_S1R_EUlS1Q_E_NS1_11comp_targetILNS1_3genE10ELNS1_11target_archE1200ELNS1_3gpuE4ELNS1_3repE0EEENS1_30default_config_static_selectorELNS0_4arch9wavefront6targetE1EEEvS13_,@function
_ZN7rocprim17ROCPRIM_400000_NS6detail17trampoline_kernelINS0_13select_configILj256ELj13ELNS0_17block_load_methodE3ELS4_3ELS4_3ELNS0_20block_scan_algorithmE0ELj4294967295EEENS1_25partition_config_selectorILNS1_17partition_subalgoE4EjNS0_10empty_typeEbEEZZNS1_14partition_implILS8_4ELb0ES6_15HIP_vector_typeIjLj2EENS0_17counting_iteratorIjlEEPS9_SG_NS0_5tupleIJPjSI_NS0_16reverse_iteratorISI_EEEEENSH_IJSG_SG_SG_EEES9_SI_JZNS1_25segmented_radix_sort_implINS0_14default_configELb1EPK6__halfPSP_PKlPlN2at6native12_GLOBAL__N_18offset_tEEE10hipError_tPvRmT1_PNSt15iterator_traitsIS13_E10value_typeET2_T3_PNS14_IS19_E10value_typeET4_jRbjT5_S1F_jjP12ihipStream_tbEUljE_ZNSN_ISO_Lb1ESR_SS_SU_SV_SZ_EES10_S11_S12_S13_S17_S18_S19_S1C_S1D_jS1E_jS1F_S1F_jjS1H_bEUljE0_EEES10_S11_S12_S19_S1D_S1F_T6_T7_T9_mT8_S1H_bDpT10_ENKUlT_T0_E_clISt17integral_constantIbLb1EES1U_IbLb0EEEEDaS1Q_S1R_EUlS1Q_E_NS1_11comp_targetILNS1_3genE10ELNS1_11target_archE1200ELNS1_3gpuE4ELNS1_3repE0EEENS1_30default_config_static_selectorELNS0_4arch9wavefront6targetE1EEEvS13_: ; @_ZN7rocprim17ROCPRIM_400000_NS6detail17trampoline_kernelINS0_13select_configILj256ELj13ELNS0_17block_load_methodE3ELS4_3ELS4_3ELNS0_20block_scan_algorithmE0ELj4294967295EEENS1_25partition_config_selectorILNS1_17partition_subalgoE4EjNS0_10empty_typeEbEEZZNS1_14partition_implILS8_4ELb0ES6_15HIP_vector_typeIjLj2EENS0_17counting_iteratorIjlEEPS9_SG_NS0_5tupleIJPjSI_NS0_16reverse_iteratorISI_EEEEENSH_IJSG_SG_SG_EEES9_SI_JZNS1_25segmented_radix_sort_implINS0_14default_configELb1EPK6__halfPSP_PKlPlN2at6native12_GLOBAL__N_18offset_tEEE10hipError_tPvRmT1_PNSt15iterator_traitsIS13_E10value_typeET2_T3_PNS14_IS19_E10value_typeET4_jRbjT5_S1F_jjP12ihipStream_tbEUljE_ZNSN_ISO_Lb1ESR_SS_SU_SV_SZ_EES10_S11_S12_S13_S17_S18_S19_S1C_S1D_jS1E_jS1F_S1F_jjS1H_bEUljE0_EEES10_S11_S12_S19_S1D_S1F_T6_T7_T9_mT8_S1H_bDpT10_ENKUlT_T0_E_clISt17integral_constantIbLb1EES1U_IbLb0EEEEDaS1Q_S1R_EUlS1Q_E_NS1_11comp_targetILNS1_3genE10ELNS1_11target_archE1200ELNS1_3gpuE4ELNS1_3repE0EEENS1_30default_config_static_selectorELNS0_4arch9wavefront6targetE1EEEvS13_
; %bb.0:
	.section	.rodata,"a",@progbits
	.p2align	6, 0x0
	.amdhsa_kernel _ZN7rocprim17ROCPRIM_400000_NS6detail17trampoline_kernelINS0_13select_configILj256ELj13ELNS0_17block_load_methodE3ELS4_3ELS4_3ELNS0_20block_scan_algorithmE0ELj4294967295EEENS1_25partition_config_selectorILNS1_17partition_subalgoE4EjNS0_10empty_typeEbEEZZNS1_14partition_implILS8_4ELb0ES6_15HIP_vector_typeIjLj2EENS0_17counting_iteratorIjlEEPS9_SG_NS0_5tupleIJPjSI_NS0_16reverse_iteratorISI_EEEEENSH_IJSG_SG_SG_EEES9_SI_JZNS1_25segmented_radix_sort_implINS0_14default_configELb1EPK6__halfPSP_PKlPlN2at6native12_GLOBAL__N_18offset_tEEE10hipError_tPvRmT1_PNSt15iterator_traitsIS13_E10value_typeET2_T3_PNS14_IS19_E10value_typeET4_jRbjT5_S1F_jjP12ihipStream_tbEUljE_ZNSN_ISO_Lb1ESR_SS_SU_SV_SZ_EES10_S11_S12_S13_S17_S18_S19_S1C_S1D_jS1E_jS1F_S1F_jjS1H_bEUljE0_EEES10_S11_S12_S19_S1D_S1F_T6_T7_T9_mT8_S1H_bDpT10_ENKUlT_T0_E_clISt17integral_constantIbLb1EES1U_IbLb0EEEEDaS1Q_S1R_EUlS1Q_E_NS1_11comp_targetILNS1_3genE10ELNS1_11target_archE1200ELNS1_3gpuE4ELNS1_3repE0EEENS1_30default_config_static_selectorELNS0_4arch9wavefront6targetE1EEEvS13_
		.amdhsa_group_segment_fixed_size 0
		.amdhsa_private_segment_fixed_size 0
		.amdhsa_kernarg_size 176
		.amdhsa_user_sgpr_count 6
		.amdhsa_user_sgpr_private_segment_buffer 1
		.amdhsa_user_sgpr_dispatch_ptr 0
		.amdhsa_user_sgpr_queue_ptr 0
		.amdhsa_user_sgpr_kernarg_segment_ptr 1
		.amdhsa_user_sgpr_dispatch_id 0
		.amdhsa_user_sgpr_flat_scratch_init 0
		.amdhsa_user_sgpr_private_segment_size 0
		.amdhsa_uses_dynamic_stack 0
		.amdhsa_system_sgpr_private_segment_wavefront_offset 0
		.amdhsa_system_sgpr_workgroup_id_x 1
		.amdhsa_system_sgpr_workgroup_id_y 0
		.amdhsa_system_sgpr_workgroup_id_z 0
		.amdhsa_system_sgpr_workgroup_info 0
		.amdhsa_system_vgpr_workitem_id 0
		.amdhsa_next_free_vgpr 1
		.amdhsa_next_free_sgpr 0
		.amdhsa_reserve_vcc 0
		.amdhsa_reserve_flat_scratch 0
		.amdhsa_float_round_mode_32 0
		.amdhsa_float_round_mode_16_64 0
		.amdhsa_float_denorm_mode_32 3
		.amdhsa_float_denorm_mode_16_64 3
		.amdhsa_dx10_clamp 1
		.amdhsa_ieee_mode 1
		.amdhsa_fp16_overflow 0
		.amdhsa_exception_fp_ieee_invalid_op 0
		.amdhsa_exception_fp_denorm_src 0
		.amdhsa_exception_fp_ieee_div_zero 0
		.amdhsa_exception_fp_ieee_overflow 0
		.amdhsa_exception_fp_ieee_underflow 0
		.amdhsa_exception_fp_ieee_inexact 0
		.amdhsa_exception_int_div_zero 0
	.end_amdhsa_kernel
	.section	.text._ZN7rocprim17ROCPRIM_400000_NS6detail17trampoline_kernelINS0_13select_configILj256ELj13ELNS0_17block_load_methodE3ELS4_3ELS4_3ELNS0_20block_scan_algorithmE0ELj4294967295EEENS1_25partition_config_selectorILNS1_17partition_subalgoE4EjNS0_10empty_typeEbEEZZNS1_14partition_implILS8_4ELb0ES6_15HIP_vector_typeIjLj2EENS0_17counting_iteratorIjlEEPS9_SG_NS0_5tupleIJPjSI_NS0_16reverse_iteratorISI_EEEEENSH_IJSG_SG_SG_EEES9_SI_JZNS1_25segmented_radix_sort_implINS0_14default_configELb1EPK6__halfPSP_PKlPlN2at6native12_GLOBAL__N_18offset_tEEE10hipError_tPvRmT1_PNSt15iterator_traitsIS13_E10value_typeET2_T3_PNS14_IS19_E10value_typeET4_jRbjT5_S1F_jjP12ihipStream_tbEUljE_ZNSN_ISO_Lb1ESR_SS_SU_SV_SZ_EES10_S11_S12_S13_S17_S18_S19_S1C_S1D_jS1E_jS1F_S1F_jjS1H_bEUljE0_EEES10_S11_S12_S19_S1D_S1F_T6_T7_T9_mT8_S1H_bDpT10_ENKUlT_T0_E_clISt17integral_constantIbLb1EES1U_IbLb0EEEEDaS1Q_S1R_EUlS1Q_E_NS1_11comp_targetILNS1_3genE10ELNS1_11target_archE1200ELNS1_3gpuE4ELNS1_3repE0EEENS1_30default_config_static_selectorELNS0_4arch9wavefront6targetE1EEEvS13_,"axG",@progbits,_ZN7rocprim17ROCPRIM_400000_NS6detail17trampoline_kernelINS0_13select_configILj256ELj13ELNS0_17block_load_methodE3ELS4_3ELS4_3ELNS0_20block_scan_algorithmE0ELj4294967295EEENS1_25partition_config_selectorILNS1_17partition_subalgoE4EjNS0_10empty_typeEbEEZZNS1_14partition_implILS8_4ELb0ES6_15HIP_vector_typeIjLj2EENS0_17counting_iteratorIjlEEPS9_SG_NS0_5tupleIJPjSI_NS0_16reverse_iteratorISI_EEEEENSH_IJSG_SG_SG_EEES9_SI_JZNS1_25segmented_radix_sort_implINS0_14default_configELb1EPK6__halfPSP_PKlPlN2at6native12_GLOBAL__N_18offset_tEEE10hipError_tPvRmT1_PNSt15iterator_traitsIS13_E10value_typeET2_T3_PNS14_IS19_E10value_typeET4_jRbjT5_S1F_jjP12ihipStream_tbEUljE_ZNSN_ISO_Lb1ESR_SS_SU_SV_SZ_EES10_S11_S12_S13_S17_S18_S19_S1C_S1D_jS1E_jS1F_S1F_jjS1H_bEUljE0_EEES10_S11_S12_S19_S1D_S1F_T6_T7_T9_mT8_S1H_bDpT10_ENKUlT_T0_E_clISt17integral_constantIbLb1EES1U_IbLb0EEEEDaS1Q_S1R_EUlS1Q_E_NS1_11comp_targetILNS1_3genE10ELNS1_11target_archE1200ELNS1_3gpuE4ELNS1_3repE0EEENS1_30default_config_static_selectorELNS0_4arch9wavefront6targetE1EEEvS13_,comdat
.Lfunc_end1696:
	.size	_ZN7rocprim17ROCPRIM_400000_NS6detail17trampoline_kernelINS0_13select_configILj256ELj13ELNS0_17block_load_methodE3ELS4_3ELS4_3ELNS0_20block_scan_algorithmE0ELj4294967295EEENS1_25partition_config_selectorILNS1_17partition_subalgoE4EjNS0_10empty_typeEbEEZZNS1_14partition_implILS8_4ELb0ES6_15HIP_vector_typeIjLj2EENS0_17counting_iteratorIjlEEPS9_SG_NS0_5tupleIJPjSI_NS0_16reverse_iteratorISI_EEEEENSH_IJSG_SG_SG_EEES9_SI_JZNS1_25segmented_radix_sort_implINS0_14default_configELb1EPK6__halfPSP_PKlPlN2at6native12_GLOBAL__N_18offset_tEEE10hipError_tPvRmT1_PNSt15iterator_traitsIS13_E10value_typeET2_T3_PNS14_IS19_E10value_typeET4_jRbjT5_S1F_jjP12ihipStream_tbEUljE_ZNSN_ISO_Lb1ESR_SS_SU_SV_SZ_EES10_S11_S12_S13_S17_S18_S19_S1C_S1D_jS1E_jS1F_S1F_jjS1H_bEUljE0_EEES10_S11_S12_S19_S1D_S1F_T6_T7_T9_mT8_S1H_bDpT10_ENKUlT_T0_E_clISt17integral_constantIbLb1EES1U_IbLb0EEEEDaS1Q_S1R_EUlS1Q_E_NS1_11comp_targetILNS1_3genE10ELNS1_11target_archE1200ELNS1_3gpuE4ELNS1_3repE0EEENS1_30default_config_static_selectorELNS0_4arch9wavefront6targetE1EEEvS13_, .Lfunc_end1696-_ZN7rocprim17ROCPRIM_400000_NS6detail17trampoline_kernelINS0_13select_configILj256ELj13ELNS0_17block_load_methodE3ELS4_3ELS4_3ELNS0_20block_scan_algorithmE0ELj4294967295EEENS1_25partition_config_selectorILNS1_17partition_subalgoE4EjNS0_10empty_typeEbEEZZNS1_14partition_implILS8_4ELb0ES6_15HIP_vector_typeIjLj2EENS0_17counting_iteratorIjlEEPS9_SG_NS0_5tupleIJPjSI_NS0_16reverse_iteratorISI_EEEEENSH_IJSG_SG_SG_EEES9_SI_JZNS1_25segmented_radix_sort_implINS0_14default_configELb1EPK6__halfPSP_PKlPlN2at6native12_GLOBAL__N_18offset_tEEE10hipError_tPvRmT1_PNSt15iterator_traitsIS13_E10value_typeET2_T3_PNS14_IS19_E10value_typeET4_jRbjT5_S1F_jjP12ihipStream_tbEUljE_ZNSN_ISO_Lb1ESR_SS_SU_SV_SZ_EES10_S11_S12_S13_S17_S18_S19_S1C_S1D_jS1E_jS1F_S1F_jjS1H_bEUljE0_EEES10_S11_S12_S19_S1D_S1F_T6_T7_T9_mT8_S1H_bDpT10_ENKUlT_T0_E_clISt17integral_constantIbLb1EES1U_IbLb0EEEEDaS1Q_S1R_EUlS1Q_E_NS1_11comp_targetILNS1_3genE10ELNS1_11target_archE1200ELNS1_3gpuE4ELNS1_3repE0EEENS1_30default_config_static_selectorELNS0_4arch9wavefront6targetE1EEEvS13_
                                        ; -- End function
	.set _ZN7rocprim17ROCPRIM_400000_NS6detail17trampoline_kernelINS0_13select_configILj256ELj13ELNS0_17block_load_methodE3ELS4_3ELS4_3ELNS0_20block_scan_algorithmE0ELj4294967295EEENS1_25partition_config_selectorILNS1_17partition_subalgoE4EjNS0_10empty_typeEbEEZZNS1_14partition_implILS8_4ELb0ES6_15HIP_vector_typeIjLj2EENS0_17counting_iteratorIjlEEPS9_SG_NS0_5tupleIJPjSI_NS0_16reverse_iteratorISI_EEEEENSH_IJSG_SG_SG_EEES9_SI_JZNS1_25segmented_radix_sort_implINS0_14default_configELb1EPK6__halfPSP_PKlPlN2at6native12_GLOBAL__N_18offset_tEEE10hipError_tPvRmT1_PNSt15iterator_traitsIS13_E10value_typeET2_T3_PNS14_IS19_E10value_typeET4_jRbjT5_S1F_jjP12ihipStream_tbEUljE_ZNSN_ISO_Lb1ESR_SS_SU_SV_SZ_EES10_S11_S12_S13_S17_S18_S19_S1C_S1D_jS1E_jS1F_S1F_jjS1H_bEUljE0_EEES10_S11_S12_S19_S1D_S1F_T6_T7_T9_mT8_S1H_bDpT10_ENKUlT_T0_E_clISt17integral_constantIbLb1EES1U_IbLb0EEEEDaS1Q_S1R_EUlS1Q_E_NS1_11comp_targetILNS1_3genE10ELNS1_11target_archE1200ELNS1_3gpuE4ELNS1_3repE0EEENS1_30default_config_static_selectorELNS0_4arch9wavefront6targetE1EEEvS13_.num_vgpr, 0
	.set _ZN7rocprim17ROCPRIM_400000_NS6detail17trampoline_kernelINS0_13select_configILj256ELj13ELNS0_17block_load_methodE3ELS4_3ELS4_3ELNS0_20block_scan_algorithmE0ELj4294967295EEENS1_25partition_config_selectorILNS1_17partition_subalgoE4EjNS0_10empty_typeEbEEZZNS1_14partition_implILS8_4ELb0ES6_15HIP_vector_typeIjLj2EENS0_17counting_iteratorIjlEEPS9_SG_NS0_5tupleIJPjSI_NS0_16reverse_iteratorISI_EEEEENSH_IJSG_SG_SG_EEES9_SI_JZNS1_25segmented_radix_sort_implINS0_14default_configELb1EPK6__halfPSP_PKlPlN2at6native12_GLOBAL__N_18offset_tEEE10hipError_tPvRmT1_PNSt15iterator_traitsIS13_E10value_typeET2_T3_PNS14_IS19_E10value_typeET4_jRbjT5_S1F_jjP12ihipStream_tbEUljE_ZNSN_ISO_Lb1ESR_SS_SU_SV_SZ_EES10_S11_S12_S13_S17_S18_S19_S1C_S1D_jS1E_jS1F_S1F_jjS1H_bEUljE0_EEES10_S11_S12_S19_S1D_S1F_T6_T7_T9_mT8_S1H_bDpT10_ENKUlT_T0_E_clISt17integral_constantIbLb1EES1U_IbLb0EEEEDaS1Q_S1R_EUlS1Q_E_NS1_11comp_targetILNS1_3genE10ELNS1_11target_archE1200ELNS1_3gpuE4ELNS1_3repE0EEENS1_30default_config_static_selectorELNS0_4arch9wavefront6targetE1EEEvS13_.num_agpr, 0
	.set _ZN7rocprim17ROCPRIM_400000_NS6detail17trampoline_kernelINS0_13select_configILj256ELj13ELNS0_17block_load_methodE3ELS4_3ELS4_3ELNS0_20block_scan_algorithmE0ELj4294967295EEENS1_25partition_config_selectorILNS1_17partition_subalgoE4EjNS0_10empty_typeEbEEZZNS1_14partition_implILS8_4ELb0ES6_15HIP_vector_typeIjLj2EENS0_17counting_iteratorIjlEEPS9_SG_NS0_5tupleIJPjSI_NS0_16reverse_iteratorISI_EEEEENSH_IJSG_SG_SG_EEES9_SI_JZNS1_25segmented_radix_sort_implINS0_14default_configELb1EPK6__halfPSP_PKlPlN2at6native12_GLOBAL__N_18offset_tEEE10hipError_tPvRmT1_PNSt15iterator_traitsIS13_E10value_typeET2_T3_PNS14_IS19_E10value_typeET4_jRbjT5_S1F_jjP12ihipStream_tbEUljE_ZNSN_ISO_Lb1ESR_SS_SU_SV_SZ_EES10_S11_S12_S13_S17_S18_S19_S1C_S1D_jS1E_jS1F_S1F_jjS1H_bEUljE0_EEES10_S11_S12_S19_S1D_S1F_T6_T7_T9_mT8_S1H_bDpT10_ENKUlT_T0_E_clISt17integral_constantIbLb1EES1U_IbLb0EEEEDaS1Q_S1R_EUlS1Q_E_NS1_11comp_targetILNS1_3genE10ELNS1_11target_archE1200ELNS1_3gpuE4ELNS1_3repE0EEENS1_30default_config_static_selectorELNS0_4arch9wavefront6targetE1EEEvS13_.numbered_sgpr, 0
	.set _ZN7rocprim17ROCPRIM_400000_NS6detail17trampoline_kernelINS0_13select_configILj256ELj13ELNS0_17block_load_methodE3ELS4_3ELS4_3ELNS0_20block_scan_algorithmE0ELj4294967295EEENS1_25partition_config_selectorILNS1_17partition_subalgoE4EjNS0_10empty_typeEbEEZZNS1_14partition_implILS8_4ELb0ES6_15HIP_vector_typeIjLj2EENS0_17counting_iteratorIjlEEPS9_SG_NS0_5tupleIJPjSI_NS0_16reverse_iteratorISI_EEEEENSH_IJSG_SG_SG_EEES9_SI_JZNS1_25segmented_radix_sort_implINS0_14default_configELb1EPK6__halfPSP_PKlPlN2at6native12_GLOBAL__N_18offset_tEEE10hipError_tPvRmT1_PNSt15iterator_traitsIS13_E10value_typeET2_T3_PNS14_IS19_E10value_typeET4_jRbjT5_S1F_jjP12ihipStream_tbEUljE_ZNSN_ISO_Lb1ESR_SS_SU_SV_SZ_EES10_S11_S12_S13_S17_S18_S19_S1C_S1D_jS1E_jS1F_S1F_jjS1H_bEUljE0_EEES10_S11_S12_S19_S1D_S1F_T6_T7_T9_mT8_S1H_bDpT10_ENKUlT_T0_E_clISt17integral_constantIbLb1EES1U_IbLb0EEEEDaS1Q_S1R_EUlS1Q_E_NS1_11comp_targetILNS1_3genE10ELNS1_11target_archE1200ELNS1_3gpuE4ELNS1_3repE0EEENS1_30default_config_static_selectorELNS0_4arch9wavefront6targetE1EEEvS13_.num_named_barrier, 0
	.set _ZN7rocprim17ROCPRIM_400000_NS6detail17trampoline_kernelINS0_13select_configILj256ELj13ELNS0_17block_load_methodE3ELS4_3ELS4_3ELNS0_20block_scan_algorithmE0ELj4294967295EEENS1_25partition_config_selectorILNS1_17partition_subalgoE4EjNS0_10empty_typeEbEEZZNS1_14partition_implILS8_4ELb0ES6_15HIP_vector_typeIjLj2EENS0_17counting_iteratorIjlEEPS9_SG_NS0_5tupleIJPjSI_NS0_16reverse_iteratorISI_EEEEENSH_IJSG_SG_SG_EEES9_SI_JZNS1_25segmented_radix_sort_implINS0_14default_configELb1EPK6__halfPSP_PKlPlN2at6native12_GLOBAL__N_18offset_tEEE10hipError_tPvRmT1_PNSt15iterator_traitsIS13_E10value_typeET2_T3_PNS14_IS19_E10value_typeET4_jRbjT5_S1F_jjP12ihipStream_tbEUljE_ZNSN_ISO_Lb1ESR_SS_SU_SV_SZ_EES10_S11_S12_S13_S17_S18_S19_S1C_S1D_jS1E_jS1F_S1F_jjS1H_bEUljE0_EEES10_S11_S12_S19_S1D_S1F_T6_T7_T9_mT8_S1H_bDpT10_ENKUlT_T0_E_clISt17integral_constantIbLb1EES1U_IbLb0EEEEDaS1Q_S1R_EUlS1Q_E_NS1_11comp_targetILNS1_3genE10ELNS1_11target_archE1200ELNS1_3gpuE4ELNS1_3repE0EEENS1_30default_config_static_selectorELNS0_4arch9wavefront6targetE1EEEvS13_.private_seg_size, 0
	.set _ZN7rocprim17ROCPRIM_400000_NS6detail17trampoline_kernelINS0_13select_configILj256ELj13ELNS0_17block_load_methodE3ELS4_3ELS4_3ELNS0_20block_scan_algorithmE0ELj4294967295EEENS1_25partition_config_selectorILNS1_17partition_subalgoE4EjNS0_10empty_typeEbEEZZNS1_14partition_implILS8_4ELb0ES6_15HIP_vector_typeIjLj2EENS0_17counting_iteratorIjlEEPS9_SG_NS0_5tupleIJPjSI_NS0_16reverse_iteratorISI_EEEEENSH_IJSG_SG_SG_EEES9_SI_JZNS1_25segmented_radix_sort_implINS0_14default_configELb1EPK6__halfPSP_PKlPlN2at6native12_GLOBAL__N_18offset_tEEE10hipError_tPvRmT1_PNSt15iterator_traitsIS13_E10value_typeET2_T3_PNS14_IS19_E10value_typeET4_jRbjT5_S1F_jjP12ihipStream_tbEUljE_ZNSN_ISO_Lb1ESR_SS_SU_SV_SZ_EES10_S11_S12_S13_S17_S18_S19_S1C_S1D_jS1E_jS1F_S1F_jjS1H_bEUljE0_EEES10_S11_S12_S19_S1D_S1F_T6_T7_T9_mT8_S1H_bDpT10_ENKUlT_T0_E_clISt17integral_constantIbLb1EES1U_IbLb0EEEEDaS1Q_S1R_EUlS1Q_E_NS1_11comp_targetILNS1_3genE10ELNS1_11target_archE1200ELNS1_3gpuE4ELNS1_3repE0EEENS1_30default_config_static_selectorELNS0_4arch9wavefront6targetE1EEEvS13_.uses_vcc, 0
	.set _ZN7rocprim17ROCPRIM_400000_NS6detail17trampoline_kernelINS0_13select_configILj256ELj13ELNS0_17block_load_methodE3ELS4_3ELS4_3ELNS0_20block_scan_algorithmE0ELj4294967295EEENS1_25partition_config_selectorILNS1_17partition_subalgoE4EjNS0_10empty_typeEbEEZZNS1_14partition_implILS8_4ELb0ES6_15HIP_vector_typeIjLj2EENS0_17counting_iteratorIjlEEPS9_SG_NS0_5tupleIJPjSI_NS0_16reverse_iteratorISI_EEEEENSH_IJSG_SG_SG_EEES9_SI_JZNS1_25segmented_radix_sort_implINS0_14default_configELb1EPK6__halfPSP_PKlPlN2at6native12_GLOBAL__N_18offset_tEEE10hipError_tPvRmT1_PNSt15iterator_traitsIS13_E10value_typeET2_T3_PNS14_IS19_E10value_typeET4_jRbjT5_S1F_jjP12ihipStream_tbEUljE_ZNSN_ISO_Lb1ESR_SS_SU_SV_SZ_EES10_S11_S12_S13_S17_S18_S19_S1C_S1D_jS1E_jS1F_S1F_jjS1H_bEUljE0_EEES10_S11_S12_S19_S1D_S1F_T6_T7_T9_mT8_S1H_bDpT10_ENKUlT_T0_E_clISt17integral_constantIbLb1EES1U_IbLb0EEEEDaS1Q_S1R_EUlS1Q_E_NS1_11comp_targetILNS1_3genE10ELNS1_11target_archE1200ELNS1_3gpuE4ELNS1_3repE0EEENS1_30default_config_static_selectorELNS0_4arch9wavefront6targetE1EEEvS13_.uses_flat_scratch, 0
	.set _ZN7rocprim17ROCPRIM_400000_NS6detail17trampoline_kernelINS0_13select_configILj256ELj13ELNS0_17block_load_methodE3ELS4_3ELS4_3ELNS0_20block_scan_algorithmE0ELj4294967295EEENS1_25partition_config_selectorILNS1_17partition_subalgoE4EjNS0_10empty_typeEbEEZZNS1_14partition_implILS8_4ELb0ES6_15HIP_vector_typeIjLj2EENS0_17counting_iteratorIjlEEPS9_SG_NS0_5tupleIJPjSI_NS0_16reverse_iteratorISI_EEEEENSH_IJSG_SG_SG_EEES9_SI_JZNS1_25segmented_radix_sort_implINS0_14default_configELb1EPK6__halfPSP_PKlPlN2at6native12_GLOBAL__N_18offset_tEEE10hipError_tPvRmT1_PNSt15iterator_traitsIS13_E10value_typeET2_T3_PNS14_IS19_E10value_typeET4_jRbjT5_S1F_jjP12ihipStream_tbEUljE_ZNSN_ISO_Lb1ESR_SS_SU_SV_SZ_EES10_S11_S12_S13_S17_S18_S19_S1C_S1D_jS1E_jS1F_S1F_jjS1H_bEUljE0_EEES10_S11_S12_S19_S1D_S1F_T6_T7_T9_mT8_S1H_bDpT10_ENKUlT_T0_E_clISt17integral_constantIbLb1EES1U_IbLb0EEEEDaS1Q_S1R_EUlS1Q_E_NS1_11comp_targetILNS1_3genE10ELNS1_11target_archE1200ELNS1_3gpuE4ELNS1_3repE0EEENS1_30default_config_static_selectorELNS0_4arch9wavefront6targetE1EEEvS13_.has_dyn_sized_stack, 0
	.set _ZN7rocprim17ROCPRIM_400000_NS6detail17trampoline_kernelINS0_13select_configILj256ELj13ELNS0_17block_load_methodE3ELS4_3ELS4_3ELNS0_20block_scan_algorithmE0ELj4294967295EEENS1_25partition_config_selectorILNS1_17partition_subalgoE4EjNS0_10empty_typeEbEEZZNS1_14partition_implILS8_4ELb0ES6_15HIP_vector_typeIjLj2EENS0_17counting_iteratorIjlEEPS9_SG_NS0_5tupleIJPjSI_NS0_16reverse_iteratorISI_EEEEENSH_IJSG_SG_SG_EEES9_SI_JZNS1_25segmented_radix_sort_implINS0_14default_configELb1EPK6__halfPSP_PKlPlN2at6native12_GLOBAL__N_18offset_tEEE10hipError_tPvRmT1_PNSt15iterator_traitsIS13_E10value_typeET2_T3_PNS14_IS19_E10value_typeET4_jRbjT5_S1F_jjP12ihipStream_tbEUljE_ZNSN_ISO_Lb1ESR_SS_SU_SV_SZ_EES10_S11_S12_S13_S17_S18_S19_S1C_S1D_jS1E_jS1F_S1F_jjS1H_bEUljE0_EEES10_S11_S12_S19_S1D_S1F_T6_T7_T9_mT8_S1H_bDpT10_ENKUlT_T0_E_clISt17integral_constantIbLb1EES1U_IbLb0EEEEDaS1Q_S1R_EUlS1Q_E_NS1_11comp_targetILNS1_3genE10ELNS1_11target_archE1200ELNS1_3gpuE4ELNS1_3repE0EEENS1_30default_config_static_selectorELNS0_4arch9wavefront6targetE1EEEvS13_.has_recursion, 0
	.set _ZN7rocprim17ROCPRIM_400000_NS6detail17trampoline_kernelINS0_13select_configILj256ELj13ELNS0_17block_load_methodE3ELS4_3ELS4_3ELNS0_20block_scan_algorithmE0ELj4294967295EEENS1_25partition_config_selectorILNS1_17partition_subalgoE4EjNS0_10empty_typeEbEEZZNS1_14partition_implILS8_4ELb0ES6_15HIP_vector_typeIjLj2EENS0_17counting_iteratorIjlEEPS9_SG_NS0_5tupleIJPjSI_NS0_16reverse_iteratorISI_EEEEENSH_IJSG_SG_SG_EEES9_SI_JZNS1_25segmented_radix_sort_implINS0_14default_configELb1EPK6__halfPSP_PKlPlN2at6native12_GLOBAL__N_18offset_tEEE10hipError_tPvRmT1_PNSt15iterator_traitsIS13_E10value_typeET2_T3_PNS14_IS19_E10value_typeET4_jRbjT5_S1F_jjP12ihipStream_tbEUljE_ZNSN_ISO_Lb1ESR_SS_SU_SV_SZ_EES10_S11_S12_S13_S17_S18_S19_S1C_S1D_jS1E_jS1F_S1F_jjS1H_bEUljE0_EEES10_S11_S12_S19_S1D_S1F_T6_T7_T9_mT8_S1H_bDpT10_ENKUlT_T0_E_clISt17integral_constantIbLb1EES1U_IbLb0EEEEDaS1Q_S1R_EUlS1Q_E_NS1_11comp_targetILNS1_3genE10ELNS1_11target_archE1200ELNS1_3gpuE4ELNS1_3repE0EEENS1_30default_config_static_selectorELNS0_4arch9wavefront6targetE1EEEvS13_.has_indirect_call, 0
	.section	.AMDGPU.csdata,"",@progbits
; Kernel info:
; codeLenInByte = 0
; TotalNumSgprs: 4
; NumVgprs: 0
; ScratchSize: 0
; MemoryBound: 0
; FloatMode: 240
; IeeeMode: 1
; LDSByteSize: 0 bytes/workgroup (compile time only)
; SGPRBlocks: 0
; VGPRBlocks: 0
; NumSGPRsForWavesPerEU: 4
; NumVGPRsForWavesPerEU: 1
; Occupancy: 10
; WaveLimiterHint : 0
; COMPUTE_PGM_RSRC2:SCRATCH_EN: 0
; COMPUTE_PGM_RSRC2:USER_SGPR: 6
; COMPUTE_PGM_RSRC2:TRAP_HANDLER: 0
; COMPUTE_PGM_RSRC2:TGID_X_EN: 1
; COMPUTE_PGM_RSRC2:TGID_Y_EN: 0
; COMPUTE_PGM_RSRC2:TGID_Z_EN: 0
; COMPUTE_PGM_RSRC2:TIDIG_COMP_CNT: 0
	.section	.text._ZN7rocprim17ROCPRIM_400000_NS6detail17trampoline_kernelINS0_13select_configILj256ELj13ELNS0_17block_load_methodE3ELS4_3ELS4_3ELNS0_20block_scan_algorithmE0ELj4294967295EEENS1_25partition_config_selectorILNS1_17partition_subalgoE4EjNS0_10empty_typeEbEEZZNS1_14partition_implILS8_4ELb0ES6_15HIP_vector_typeIjLj2EENS0_17counting_iteratorIjlEEPS9_SG_NS0_5tupleIJPjSI_NS0_16reverse_iteratorISI_EEEEENSH_IJSG_SG_SG_EEES9_SI_JZNS1_25segmented_radix_sort_implINS0_14default_configELb1EPK6__halfPSP_PKlPlN2at6native12_GLOBAL__N_18offset_tEEE10hipError_tPvRmT1_PNSt15iterator_traitsIS13_E10value_typeET2_T3_PNS14_IS19_E10value_typeET4_jRbjT5_S1F_jjP12ihipStream_tbEUljE_ZNSN_ISO_Lb1ESR_SS_SU_SV_SZ_EES10_S11_S12_S13_S17_S18_S19_S1C_S1D_jS1E_jS1F_S1F_jjS1H_bEUljE0_EEES10_S11_S12_S19_S1D_S1F_T6_T7_T9_mT8_S1H_bDpT10_ENKUlT_T0_E_clISt17integral_constantIbLb1EES1U_IbLb0EEEEDaS1Q_S1R_EUlS1Q_E_NS1_11comp_targetILNS1_3genE9ELNS1_11target_archE1100ELNS1_3gpuE3ELNS1_3repE0EEENS1_30default_config_static_selectorELNS0_4arch9wavefront6targetE1EEEvS13_,"axG",@progbits,_ZN7rocprim17ROCPRIM_400000_NS6detail17trampoline_kernelINS0_13select_configILj256ELj13ELNS0_17block_load_methodE3ELS4_3ELS4_3ELNS0_20block_scan_algorithmE0ELj4294967295EEENS1_25partition_config_selectorILNS1_17partition_subalgoE4EjNS0_10empty_typeEbEEZZNS1_14partition_implILS8_4ELb0ES6_15HIP_vector_typeIjLj2EENS0_17counting_iteratorIjlEEPS9_SG_NS0_5tupleIJPjSI_NS0_16reverse_iteratorISI_EEEEENSH_IJSG_SG_SG_EEES9_SI_JZNS1_25segmented_radix_sort_implINS0_14default_configELb1EPK6__halfPSP_PKlPlN2at6native12_GLOBAL__N_18offset_tEEE10hipError_tPvRmT1_PNSt15iterator_traitsIS13_E10value_typeET2_T3_PNS14_IS19_E10value_typeET4_jRbjT5_S1F_jjP12ihipStream_tbEUljE_ZNSN_ISO_Lb1ESR_SS_SU_SV_SZ_EES10_S11_S12_S13_S17_S18_S19_S1C_S1D_jS1E_jS1F_S1F_jjS1H_bEUljE0_EEES10_S11_S12_S19_S1D_S1F_T6_T7_T9_mT8_S1H_bDpT10_ENKUlT_T0_E_clISt17integral_constantIbLb1EES1U_IbLb0EEEEDaS1Q_S1R_EUlS1Q_E_NS1_11comp_targetILNS1_3genE9ELNS1_11target_archE1100ELNS1_3gpuE3ELNS1_3repE0EEENS1_30default_config_static_selectorELNS0_4arch9wavefront6targetE1EEEvS13_,comdat
	.globl	_ZN7rocprim17ROCPRIM_400000_NS6detail17trampoline_kernelINS0_13select_configILj256ELj13ELNS0_17block_load_methodE3ELS4_3ELS4_3ELNS0_20block_scan_algorithmE0ELj4294967295EEENS1_25partition_config_selectorILNS1_17partition_subalgoE4EjNS0_10empty_typeEbEEZZNS1_14partition_implILS8_4ELb0ES6_15HIP_vector_typeIjLj2EENS0_17counting_iteratorIjlEEPS9_SG_NS0_5tupleIJPjSI_NS0_16reverse_iteratorISI_EEEEENSH_IJSG_SG_SG_EEES9_SI_JZNS1_25segmented_radix_sort_implINS0_14default_configELb1EPK6__halfPSP_PKlPlN2at6native12_GLOBAL__N_18offset_tEEE10hipError_tPvRmT1_PNSt15iterator_traitsIS13_E10value_typeET2_T3_PNS14_IS19_E10value_typeET4_jRbjT5_S1F_jjP12ihipStream_tbEUljE_ZNSN_ISO_Lb1ESR_SS_SU_SV_SZ_EES10_S11_S12_S13_S17_S18_S19_S1C_S1D_jS1E_jS1F_S1F_jjS1H_bEUljE0_EEES10_S11_S12_S19_S1D_S1F_T6_T7_T9_mT8_S1H_bDpT10_ENKUlT_T0_E_clISt17integral_constantIbLb1EES1U_IbLb0EEEEDaS1Q_S1R_EUlS1Q_E_NS1_11comp_targetILNS1_3genE9ELNS1_11target_archE1100ELNS1_3gpuE3ELNS1_3repE0EEENS1_30default_config_static_selectorELNS0_4arch9wavefront6targetE1EEEvS13_ ; -- Begin function _ZN7rocprim17ROCPRIM_400000_NS6detail17trampoline_kernelINS0_13select_configILj256ELj13ELNS0_17block_load_methodE3ELS4_3ELS4_3ELNS0_20block_scan_algorithmE0ELj4294967295EEENS1_25partition_config_selectorILNS1_17partition_subalgoE4EjNS0_10empty_typeEbEEZZNS1_14partition_implILS8_4ELb0ES6_15HIP_vector_typeIjLj2EENS0_17counting_iteratorIjlEEPS9_SG_NS0_5tupleIJPjSI_NS0_16reverse_iteratorISI_EEEEENSH_IJSG_SG_SG_EEES9_SI_JZNS1_25segmented_radix_sort_implINS0_14default_configELb1EPK6__halfPSP_PKlPlN2at6native12_GLOBAL__N_18offset_tEEE10hipError_tPvRmT1_PNSt15iterator_traitsIS13_E10value_typeET2_T3_PNS14_IS19_E10value_typeET4_jRbjT5_S1F_jjP12ihipStream_tbEUljE_ZNSN_ISO_Lb1ESR_SS_SU_SV_SZ_EES10_S11_S12_S13_S17_S18_S19_S1C_S1D_jS1E_jS1F_S1F_jjS1H_bEUljE0_EEES10_S11_S12_S19_S1D_S1F_T6_T7_T9_mT8_S1H_bDpT10_ENKUlT_T0_E_clISt17integral_constantIbLb1EES1U_IbLb0EEEEDaS1Q_S1R_EUlS1Q_E_NS1_11comp_targetILNS1_3genE9ELNS1_11target_archE1100ELNS1_3gpuE3ELNS1_3repE0EEENS1_30default_config_static_selectorELNS0_4arch9wavefront6targetE1EEEvS13_
	.p2align	8
	.type	_ZN7rocprim17ROCPRIM_400000_NS6detail17trampoline_kernelINS0_13select_configILj256ELj13ELNS0_17block_load_methodE3ELS4_3ELS4_3ELNS0_20block_scan_algorithmE0ELj4294967295EEENS1_25partition_config_selectorILNS1_17partition_subalgoE4EjNS0_10empty_typeEbEEZZNS1_14partition_implILS8_4ELb0ES6_15HIP_vector_typeIjLj2EENS0_17counting_iteratorIjlEEPS9_SG_NS0_5tupleIJPjSI_NS0_16reverse_iteratorISI_EEEEENSH_IJSG_SG_SG_EEES9_SI_JZNS1_25segmented_radix_sort_implINS0_14default_configELb1EPK6__halfPSP_PKlPlN2at6native12_GLOBAL__N_18offset_tEEE10hipError_tPvRmT1_PNSt15iterator_traitsIS13_E10value_typeET2_T3_PNS14_IS19_E10value_typeET4_jRbjT5_S1F_jjP12ihipStream_tbEUljE_ZNSN_ISO_Lb1ESR_SS_SU_SV_SZ_EES10_S11_S12_S13_S17_S18_S19_S1C_S1D_jS1E_jS1F_S1F_jjS1H_bEUljE0_EEES10_S11_S12_S19_S1D_S1F_T6_T7_T9_mT8_S1H_bDpT10_ENKUlT_T0_E_clISt17integral_constantIbLb1EES1U_IbLb0EEEEDaS1Q_S1R_EUlS1Q_E_NS1_11comp_targetILNS1_3genE9ELNS1_11target_archE1100ELNS1_3gpuE3ELNS1_3repE0EEENS1_30default_config_static_selectorELNS0_4arch9wavefront6targetE1EEEvS13_,@function
_ZN7rocprim17ROCPRIM_400000_NS6detail17trampoline_kernelINS0_13select_configILj256ELj13ELNS0_17block_load_methodE3ELS4_3ELS4_3ELNS0_20block_scan_algorithmE0ELj4294967295EEENS1_25partition_config_selectorILNS1_17partition_subalgoE4EjNS0_10empty_typeEbEEZZNS1_14partition_implILS8_4ELb0ES6_15HIP_vector_typeIjLj2EENS0_17counting_iteratorIjlEEPS9_SG_NS0_5tupleIJPjSI_NS0_16reverse_iteratorISI_EEEEENSH_IJSG_SG_SG_EEES9_SI_JZNS1_25segmented_radix_sort_implINS0_14default_configELb1EPK6__halfPSP_PKlPlN2at6native12_GLOBAL__N_18offset_tEEE10hipError_tPvRmT1_PNSt15iterator_traitsIS13_E10value_typeET2_T3_PNS14_IS19_E10value_typeET4_jRbjT5_S1F_jjP12ihipStream_tbEUljE_ZNSN_ISO_Lb1ESR_SS_SU_SV_SZ_EES10_S11_S12_S13_S17_S18_S19_S1C_S1D_jS1E_jS1F_S1F_jjS1H_bEUljE0_EEES10_S11_S12_S19_S1D_S1F_T6_T7_T9_mT8_S1H_bDpT10_ENKUlT_T0_E_clISt17integral_constantIbLb1EES1U_IbLb0EEEEDaS1Q_S1R_EUlS1Q_E_NS1_11comp_targetILNS1_3genE9ELNS1_11target_archE1100ELNS1_3gpuE3ELNS1_3repE0EEENS1_30default_config_static_selectorELNS0_4arch9wavefront6targetE1EEEvS13_: ; @_ZN7rocprim17ROCPRIM_400000_NS6detail17trampoline_kernelINS0_13select_configILj256ELj13ELNS0_17block_load_methodE3ELS4_3ELS4_3ELNS0_20block_scan_algorithmE0ELj4294967295EEENS1_25partition_config_selectorILNS1_17partition_subalgoE4EjNS0_10empty_typeEbEEZZNS1_14partition_implILS8_4ELb0ES6_15HIP_vector_typeIjLj2EENS0_17counting_iteratorIjlEEPS9_SG_NS0_5tupleIJPjSI_NS0_16reverse_iteratorISI_EEEEENSH_IJSG_SG_SG_EEES9_SI_JZNS1_25segmented_radix_sort_implINS0_14default_configELb1EPK6__halfPSP_PKlPlN2at6native12_GLOBAL__N_18offset_tEEE10hipError_tPvRmT1_PNSt15iterator_traitsIS13_E10value_typeET2_T3_PNS14_IS19_E10value_typeET4_jRbjT5_S1F_jjP12ihipStream_tbEUljE_ZNSN_ISO_Lb1ESR_SS_SU_SV_SZ_EES10_S11_S12_S13_S17_S18_S19_S1C_S1D_jS1E_jS1F_S1F_jjS1H_bEUljE0_EEES10_S11_S12_S19_S1D_S1F_T6_T7_T9_mT8_S1H_bDpT10_ENKUlT_T0_E_clISt17integral_constantIbLb1EES1U_IbLb0EEEEDaS1Q_S1R_EUlS1Q_E_NS1_11comp_targetILNS1_3genE9ELNS1_11target_archE1100ELNS1_3gpuE3ELNS1_3repE0EEENS1_30default_config_static_selectorELNS0_4arch9wavefront6targetE1EEEvS13_
; %bb.0:
	.section	.rodata,"a",@progbits
	.p2align	6, 0x0
	.amdhsa_kernel _ZN7rocprim17ROCPRIM_400000_NS6detail17trampoline_kernelINS0_13select_configILj256ELj13ELNS0_17block_load_methodE3ELS4_3ELS4_3ELNS0_20block_scan_algorithmE0ELj4294967295EEENS1_25partition_config_selectorILNS1_17partition_subalgoE4EjNS0_10empty_typeEbEEZZNS1_14partition_implILS8_4ELb0ES6_15HIP_vector_typeIjLj2EENS0_17counting_iteratorIjlEEPS9_SG_NS0_5tupleIJPjSI_NS0_16reverse_iteratorISI_EEEEENSH_IJSG_SG_SG_EEES9_SI_JZNS1_25segmented_radix_sort_implINS0_14default_configELb1EPK6__halfPSP_PKlPlN2at6native12_GLOBAL__N_18offset_tEEE10hipError_tPvRmT1_PNSt15iterator_traitsIS13_E10value_typeET2_T3_PNS14_IS19_E10value_typeET4_jRbjT5_S1F_jjP12ihipStream_tbEUljE_ZNSN_ISO_Lb1ESR_SS_SU_SV_SZ_EES10_S11_S12_S13_S17_S18_S19_S1C_S1D_jS1E_jS1F_S1F_jjS1H_bEUljE0_EEES10_S11_S12_S19_S1D_S1F_T6_T7_T9_mT8_S1H_bDpT10_ENKUlT_T0_E_clISt17integral_constantIbLb1EES1U_IbLb0EEEEDaS1Q_S1R_EUlS1Q_E_NS1_11comp_targetILNS1_3genE9ELNS1_11target_archE1100ELNS1_3gpuE3ELNS1_3repE0EEENS1_30default_config_static_selectorELNS0_4arch9wavefront6targetE1EEEvS13_
		.amdhsa_group_segment_fixed_size 0
		.amdhsa_private_segment_fixed_size 0
		.amdhsa_kernarg_size 176
		.amdhsa_user_sgpr_count 6
		.amdhsa_user_sgpr_private_segment_buffer 1
		.amdhsa_user_sgpr_dispatch_ptr 0
		.amdhsa_user_sgpr_queue_ptr 0
		.amdhsa_user_sgpr_kernarg_segment_ptr 1
		.amdhsa_user_sgpr_dispatch_id 0
		.amdhsa_user_sgpr_flat_scratch_init 0
		.amdhsa_user_sgpr_private_segment_size 0
		.amdhsa_uses_dynamic_stack 0
		.amdhsa_system_sgpr_private_segment_wavefront_offset 0
		.amdhsa_system_sgpr_workgroup_id_x 1
		.amdhsa_system_sgpr_workgroup_id_y 0
		.amdhsa_system_sgpr_workgroup_id_z 0
		.amdhsa_system_sgpr_workgroup_info 0
		.amdhsa_system_vgpr_workitem_id 0
		.amdhsa_next_free_vgpr 1
		.amdhsa_next_free_sgpr 0
		.amdhsa_reserve_vcc 0
		.amdhsa_reserve_flat_scratch 0
		.amdhsa_float_round_mode_32 0
		.amdhsa_float_round_mode_16_64 0
		.amdhsa_float_denorm_mode_32 3
		.amdhsa_float_denorm_mode_16_64 3
		.amdhsa_dx10_clamp 1
		.amdhsa_ieee_mode 1
		.amdhsa_fp16_overflow 0
		.amdhsa_exception_fp_ieee_invalid_op 0
		.amdhsa_exception_fp_denorm_src 0
		.amdhsa_exception_fp_ieee_div_zero 0
		.amdhsa_exception_fp_ieee_overflow 0
		.amdhsa_exception_fp_ieee_underflow 0
		.amdhsa_exception_fp_ieee_inexact 0
		.amdhsa_exception_int_div_zero 0
	.end_amdhsa_kernel
	.section	.text._ZN7rocprim17ROCPRIM_400000_NS6detail17trampoline_kernelINS0_13select_configILj256ELj13ELNS0_17block_load_methodE3ELS4_3ELS4_3ELNS0_20block_scan_algorithmE0ELj4294967295EEENS1_25partition_config_selectorILNS1_17partition_subalgoE4EjNS0_10empty_typeEbEEZZNS1_14partition_implILS8_4ELb0ES6_15HIP_vector_typeIjLj2EENS0_17counting_iteratorIjlEEPS9_SG_NS0_5tupleIJPjSI_NS0_16reverse_iteratorISI_EEEEENSH_IJSG_SG_SG_EEES9_SI_JZNS1_25segmented_radix_sort_implINS0_14default_configELb1EPK6__halfPSP_PKlPlN2at6native12_GLOBAL__N_18offset_tEEE10hipError_tPvRmT1_PNSt15iterator_traitsIS13_E10value_typeET2_T3_PNS14_IS19_E10value_typeET4_jRbjT5_S1F_jjP12ihipStream_tbEUljE_ZNSN_ISO_Lb1ESR_SS_SU_SV_SZ_EES10_S11_S12_S13_S17_S18_S19_S1C_S1D_jS1E_jS1F_S1F_jjS1H_bEUljE0_EEES10_S11_S12_S19_S1D_S1F_T6_T7_T9_mT8_S1H_bDpT10_ENKUlT_T0_E_clISt17integral_constantIbLb1EES1U_IbLb0EEEEDaS1Q_S1R_EUlS1Q_E_NS1_11comp_targetILNS1_3genE9ELNS1_11target_archE1100ELNS1_3gpuE3ELNS1_3repE0EEENS1_30default_config_static_selectorELNS0_4arch9wavefront6targetE1EEEvS13_,"axG",@progbits,_ZN7rocprim17ROCPRIM_400000_NS6detail17trampoline_kernelINS0_13select_configILj256ELj13ELNS0_17block_load_methodE3ELS4_3ELS4_3ELNS0_20block_scan_algorithmE0ELj4294967295EEENS1_25partition_config_selectorILNS1_17partition_subalgoE4EjNS0_10empty_typeEbEEZZNS1_14partition_implILS8_4ELb0ES6_15HIP_vector_typeIjLj2EENS0_17counting_iteratorIjlEEPS9_SG_NS0_5tupleIJPjSI_NS0_16reverse_iteratorISI_EEEEENSH_IJSG_SG_SG_EEES9_SI_JZNS1_25segmented_radix_sort_implINS0_14default_configELb1EPK6__halfPSP_PKlPlN2at6native12_GLOBAL__N_18offset_tEEE10hipError_tPvRmT1_PNSt15iterator_traitsIS13_E10value_typeET2_T3_PNS14_IS19_E10value_typeET4_jRbjT5_S1F_jjP12ihipStream_tbEUljE_ZNSN_ISO_Lb1ESR_SS_SU_SV_SZ_EES10_S11_S12_S13_S17_S18_S19_S1C_S1D_jS1E_jS1F_S1F_jjS1H_bEUljE0_EEES10_S11_S12_S19_S1D_S1F_T6_T7_T9_mT8_S1H_bDpT10_ENKUlT_T0_E_clISt17integral_constantIbLb1EES1U_IbLb0EEEEDaS1Q_S1R_EUlS1Q_E_NS1_11comp_targetILNS1_3genE9ELNS1_11target_archE1100ELNS1_3gpuE3ELNS1_3repE0EEENS1_30default_config_static_selectorELNS0_4arch9wavefront6targetE1EEEvS13_,comdat
.Lfunc_end1697:
	.size	_ZN7rocprim17ROCPRIM_400000_NS6detail17trampoline_kernelINS0_13select_configILj256ELj13ELNS0_17block_load_methodE3ELS4_3ELS4_3ELNS0_20block_scan_algorithmE0ELj4294967295EEENS1_25partition_config_selectorILNS1_17partition_subalgoE4EjNS0_10empty_typeEbEEZZNS1_14partition_implILS8_4ELb0ES6_15HIP_vector_typeIjLj2EENS0_17counting_iteratorIjlEEPS9_SG_NS0_5tupleIJPjSI_NS0_16reverse_iteratorISI_EEEEENSH_IJSG_SG_SG_EEES9_SI_JZNS1_25segmented_radix_sort_implINS0_14default_configELb1EPK6__halfPSP_PKlPlN2at6native12_GLOBAL__N_18offset_tEEE10hipError_tPvRmT1_PNSt15iterator_traitsIS13_E10value_typeET2_T3_PNS14_IS19_E10value_typeET4_jRbjT5_S1F_jjP12ihipStream_tbEUljE_ZNSN_ISO_Lb1ESR_SS_SU_SV_SZ_EES10_S11_S12_S13_S17_S18_S19_S1C_S1D_jS1E_jS1F_S1F_jjS1H_bEUljE0_EEES10_S11_S12_S19_S1D_S1F_T6_T7_T9_mT8_S1H_bDpT10_ENKUlT_T0_E_clISt17integral_constantIbLb1EES1U_IbLb0EEEEDaS1Q_S1R_EUlS1Q_E_NS1_11comp_targetILNS1_3genE9ELNS1_11target_archE1100ELNS1_3gpuE3ELNS1_3repE0EEENS1_30default_config_static_selectorELNS0_4arch9wavefront6targetE1EEEvS13_, .Lfunc_end1697-_ZN7rocprim17ROCPRIM_400000_NS6detail17trampoline_kernelINS0_13select_configILj256ELj13ELNS0_17block_load_methodE3ELS4_3ELS4_3ELNS0_20block_scan_algorithmE0ELj4294967295EEENS1_25partition_config_selectorILNS1_17partition_subalgoE4EjNS0_10empty_typeEbEEZZNS1_14partition_implILS8_4ELb0ES6_15HIP_vector_typeIjLj2EENS0_17counting_iteratorIjlEEPS9_SG_NS0_5tupleIJPjSI_NS0_16reverse_iteratorISI_EEEEENSH_IJSG_SG_SG_EEES9_SI_JZNS1_25segmented_radix_sort_implINS0_14default_configELb1EPK6__halfPSP_PKlPlN2at6native12_GLOBAL__N_18offset_tEEE10hipError_tPvRmT1_PNSt15iterator_traitsIS13_E10value_typeET2_T3_PNS14_IS19_E10value_typeET4_jRbjT5_S1F_jjP12ihipStream_tbEUljE_ZNSN_ISO_Lb1ESR_SS_SU_SV_SZ_EES10_S11_S12_S13_S17_S18_S19_S1C_S1D_jS1E_jS1F_S1F_jjS1H_bEUljE0_EEES10_S11_S12_S19_S1D_S1F_T6_T7_T9_mT8_S1H_bDpT10_ENKUlT_T0_E_clISt17integral_constantIbLb1EES1U_IbLb0EEEEDaS1Q_S1R_EUlS1Q_E_NS1_11comp_targetILNS1_3genE9ELNS1_11target_archE1100ELNS1_3gpuE3ELNS1_3repE0EEENS1_30default_config_static_selectorELNS0_4arch9wavefront6targetE1EEEvS13_
                                        ; -- End function
	.set _ZN7rocprim17ROCPRIM_400000_NS6detail17trampoline_kernelINS0_13select_configILj256ELj13ELNS0_17block_load_methodE3ELS4_3ELS4_3ELNS0_20block_scan_algorithmE0ELj4294967295EEENS1_25partition_config_selectorILNS1_17partition_subalgoE4EjNS0_10empty_typeEbEEZZNS1_14partition_implILS8_4ELb0ES6_15HIP_vector_typeIjLj2EENS0_17counting_iteratorIjlEEPS9_SG_NS0_5tupleIJPjSI_NS0_16reverse_iteratorISI_EEEEENSH_IJSG_SG_SG_EEES9_SI_JZNS1_25segmented_radix_sort_implINS0_14default_configELb1EPK6__halfPSP_PKlPlN2at6native12_GLOBAL__N_18offset_tEEE10hipError_tPvRmT1_PNSt15iterator_traitsIS13_E10value_typeET2_T3_PNS14_IS19_E10value_typeET4_jRbjT5_S1F_jjP12ihipStream_tbEUljE_ZNSN_ISO_Lb1ESR_SS_SU_SV_SZ_EES10_S11_S12_S13_S17_S18_S19_S1C_S1D_jS1E_jS1F_S1F_jjS1H_bEUljE0_EEES10_S11_S12_S19_S1D_S1F_T6_T7_T9_mT8_S1H_bDpT10_ENKUlT_T0_E_clISt17integral_constantIbLb1EES1U_IbLb0EEEEDaS1Q_S1R_EUlS1Q_E_NS1_11comp_targetILNS1_3genE9ELNS1_11target_archE1100ELNS1_3gpuE3ELNS1_3repE0EEENS1_30default_config_static_selectorELNS0_4arch9wavefront6targetE1EEEvS13_.num_vgpr, 0
	.set _ZN7rocprim17ROCPRIM_400000_NS6detail17trampoline_kernelINS0_13select_configILj256ELj13ELNS0_17block_load_methodE3ELS4_3ELS4_3ELNS0_20block_scan_algorithmE0ELj4294967295EEENS1_25partition_config_selectorILNS1_17partition_subalgoE4EjNS0_10empty_typeEbEEZZNS1_14partition_implILS8_4ELb0ES6_15HIP_vector_typeIjLj2EENS0_17counting_iteratorIjlEEPS9_SG_NS0_5tupleIJPjSI_NS0_16reverse_iteratorISI_EEEEENSH_IJSG_SG_SG_EEES9_SI_JZNS1_25segmented_radix_sort_implINS0_14default_configELb1EPK6__halfPSP_PKlPlN2at6native12_GLOBAL__N_18offset_tEEE10hipError_tPvRmT1_PNSt15iterator_traitsIS13_E10value_typeET2_T3_PNS14_IS19_E10value_typeET4_jRbjT5_S1F_jjP12ihipStream_tbEUljE_ZNSN_ISO_Lb1ESR_SS_SU_SV_SZ_EES10_S11_S12_S13_S17_S18_S19_S1C_S1D_jS1E_jS1F_S1F_jjS1H_bEUljE0_EEES10_S11_S12_S19_S1D_S1F_T6_T7_T9_mT8_S1H_bDpT10_ENKUlT_T0_E_clISt17integral_constantIbLb1EES1U_IbLb0EEEEDaS1Q_S1R_EUlS1Q_E_NS1_11comp_targetILNS1_3genE9ELNS1_11target_archE1100ELNS1_3gpuE3ELNS1_3repE0EEENS1_30default_config_static_selectorELNS0_4arch9wavefront6targetE1EEEvS13_.num_agpr, 0
	.set _ZN7rocprim17ROCPRIM_400000_NS6detail17trampoline_kernelINS0_13select_configILj256ELj13ELNS0_17block_load_methodE3ELS4_3ELS4_3ELNS0_20block_scan_algorithmE0ELj4294967295EEENS1_25partition_config_selectorILNS1_17partition_subalgoE4EjNS0_10empty_typeEbEEZZNS1_14partition_implILS8_4ELb0ES6_15HIP_vector_typeIjLj2EENS0_17counting_iteratorIjlEEPS9_SG_NS0_5tupleIJPjSI_NS0_16reverse_iteratorISI_EEEEENSH_IJSG_SG_SG_EEES9_SI_JZNS1_25segmented_radix_sort_implINS0_14default_configELb1EPK6__halfPSP_PKlPlN2at6native12_GLOBAL__N_18offset_tEEE10hipError_tPvRmT1_PNSt15iterator_traitsIS13_E10value_typeET2_T3_PNS14_IS19_E10value_typeET4_jRbjT5_S1F_jjP12ihipStream_tbEUljE_ZNSN_ISO_Lb1ESR_SS_SU_SV_SZ_EES10_S11_S12_S13_S17_S18_S19_S1C_S1D_jS1E_jS1F_S1F_jjS1H_bEUljE0_EEES10_S11_S12_S19_S1D_S1F_T6_T7_T9_mT8_S1H_bDpT10_ENKUlT_T0_E_clISt17integral_constantIbLb1EES1U_IbLb0EEEEDaS1Q_S1R_EUlS1Q_E_NS1_11comp_targetILNS1_3genE9ELNS1_11target_archE1100ELNS1_3gpuE3ELNS1_3repE0EEENS1_30default_config_static_selectorELNS0_4arch9wavefront6targetE1EEEvS13_.numbered_sgpr, 0
	.set _ZN7rocprim17ROCPRIM_400000_NS6detail17trampoline_kernelINS0_13select_configILj256ELj13ELNS0_17block_load_methodE3ELS4_3ELS4_3ELNS0_20block_scan_algorithmE0ELj4294967295EEENS1_25partition_config_selectorILNS1_17partition_subalgoE4EjNS0_10empty_typeEbEEZZNS1_14partition_implILS8_4ELb0ES6_15HIP_vector_typeIjLj2EENS0_17counting_iteratorIjlEEPS9_SG_NS0_5tupleIJPjSI_NS0_16reverse_iteratorISI_EEEEENSH_IJSG_SG_SG_EEES9_SI_JZNS1_25segmented_radix_sort_implINS0_14default_configELb1EPK6__halfPSP_PKlPlN2at6native12_GLOBAL__N_18offset_tEEE10hipError_tPvRmT1_PNSt15iterator_traitsIS13_E10value_typeET2_T3_PNS14_IS19_E10value_typeET4_jRbjT5_S1F_jjP12ihipStream_tbEUljE_ZNSN_ISO_Lb1ESR_SS_SU_SV_SZ_EES10_S11_S12_S13_S17_S18_S19_S1C_S1D_jS1E_jS1F_S1F_jjS1H_bEUljE0_EEES10_S11_S12_S19_S1D_S1F_T6_T7_T9_mT8_S1H_bDpT10_ENKUlT_T0_E_clISt17integral_constantIbLb1EES1U_IbLb0EEEEDaS1Q_S1R_EUlS1Q_E_NS1_11comp_targetILNS1_3genE9ELNS1_11target_archE1100ELNS1_3gpuE3ELNS1_3repE0EEENS1_30default_config_static_selectorELNS0_4arch9wavefront6targetE1EEEvS13_.num_named_barrier, 0
	.set _ZN7rocprim17ROCPRIM_400000_NS6detail17trampoline_kernelINS0_13select_configILj256ELj13ELNS0_17block_load_methodE3ELS4_3ELS4_3ELNS0_20block_scan_algorithmE0ELj4294967295EEENS1_25partition_config_selectorILNS1_17partition_subalgoE4EjNS0_10empty_typeEbEEZZNS1_14partition_implILS8_4ELb0ES6_15HIP_vector_typeIjLj2EENS0_17counting_iteratorIjlEEPS9_SG_NS0_5tupleIJPjSI_NS0_16reverse_iteratorISI_EEEEENSH_IJSG_SG_SG_EEES9_SI_JZNS1_25segmented_radix_sort_implINS0_14default_configELb1EPK6__halfPSP_PKlPlN2at6native12_GLOBAL__N_18offset_tEEE10hipError_tPvRmT1_PNSt15iterator_traitsIS13_E10value_typeET2_T3_PNS14_IS19_E10value_typeET4_jRbjT5_S1F_jjP12ihipStream_tbEUljE_ZNSN_ISO_Lb1ESR_SS_SU_SV_SZ_EES10_S11_S12_S13_S17_S18_S19_S1C_S1D_jS1E_jS1F_S1F_jjS1H_bEUljE0_EEES10_S11_S12_S19_S1D_S1F_T6_T7_T9_mT8_S1H_bDpT10_ENKUlT_T0_E_clISt17integral_constantIbLb1EES1U_IbLb0EEEEDaS1Q_S1R_EUlS1Q_E_NS1_11comp_targetILNS1_3genE9ELNS1_11target_archE1100ELNS1_3gpuE3ELNS1_3repE0EEENS1_30default_config_static_selectorELNS0_4arch9wavefront6targetE1EEEvS13_.private_seg_size, 0
	.set _ZN7rocprim17ROCPRIM_400000_NS6detail17trampoline_kernelINS0_13select_configILj256ELj13ELNS0_17block_load_methodE3ELS4_3ELS4_3ELNS0_20block_scan_algorithmE0ELj4294967295EEENS1_25partition_config_selectorILNS1_17partition_subalgoE4EjNS0_10empty_typeEbEEZZNS1_14partition_implILS8_4ELb0ES6_15HIP_vector_typeIjLj2EENS0_17counting_iteratorIjlEEPS9_SG_NS0_5tupleIJPjSI_NS0_16reverse_iteratorISI_EEEEENSH_IJSG_SG_SG_EEES9_SI_JZNS1_25segmented_radix_sort_implINS0_14default_configELb1EPK6__halfPSP_PKlPlN2at6native12_GLOBAL__N_18offset_tEEE10hipError_tPvRmT1_PNSt15iterator_traitsIS13_E10value_typeET2_T3_PNS14_IS19_E10value_typeET4_jRbjT5_S1F_jjP12ihipStream_tbEUljE_ZNSN_ISO_Lb1ESR_SS_SU_SV_SZ_EES10_S11_S12_S13_S17_S18_S19_S1C_S1D_jS1E_jS1F_S1F_jjS1H_bEUljE0_EEES10_S11_S12_S19_S1D_S1F_T6_T7_T9_mT8_S1H_bDpT10_ENKUlT_T0_E_clISt17integral_constantIbLb1EES1U_IbLb0EEEEDaS1Q_S1R_EUlS1Q_E_NS1_11comp_targetILNS1_3genE9ELNS1_11target_archE1100ELNS1_3gpuE3ELNS1_3repE0EEENS1_30default_config_static_selectorELNS0_4arch9wavefront6targetE1EEEvS13_.uses_vcc, 0
	.set _ZN7rocprim17ROCPRIM_400000_NS6detail17trampoline_kernelINS0_13select_configILj256ELj13ELNS0_17block_load_methodE3ELS4_3ELS4_3ELNS0_20block_scan_algorithmE0ELj4294967295EEENS1_25partition_config_selectorILNS1_17partition_subalgoE4EjNS0_10empty_typeEbEEZZNS1_14partition_implILS8_4ELb0ES6_15HIP_vector_typeIjLj2EENS0_17counting_iteratorIjlEEPS9_SG_NS0_5tupleIJPjSI_NS0_16reverse_iteratorISI_EEEEENSH_IJSG_SG_SG_EEES9_SI_JZNS1_25segmented_radix_sort_implINS0_14default_configELb1EPK6__halfPSP_PKlPlN2at6native12_GLOBAL__N_18offset_tEEE10hipError_tPvRmT1_PNSt15iterator_traitsIS13_E10value_typeET2_T3_PNS14_IS19_E10value_typeET4_jRbjT5_S1F_jjP12ihipStream_tbEUljE_ZNSN_ISO_Lb1ESR_SS_SU_SV_SZ_EES10_S11_S12_S13_S17_S18_S19_S1C_S1D_jS1E_jS1F_S1F_jjS1H_bEUljE0_EEES10_S11_S12_S19_S1D_S1F_T6_T7_T9_mT8_S1H_bDpT10_ENKUlT_T0_E_clISt17integral_constantIbLb1EES1U_IbLb0EEEEDaS1Q_S1R_EUlS1Q_E_NS1_11comp_targetILNS1_3genE9ELNS1_11target_archE1100ELNS1_3gpuE3ELNS1_3repE0EEENS1_30default_config_static_selectorELNS0_4arch9wavefront6targetE1EEEvS13_.uses_flat_scratch, 0
	.set _ZN7rocprim17ROCPRIM_400000_NS6detail17trampoline_kernelINS0_13select_configILj256ELj13ELNS0_17block_load_methodE3ELS4_3ELS4_3ELNS0_20block_scan_algorithmE0ELj4294967295EEENS1_25partition_config_selectorILNS1_17partition_subalgoE4EjNS0_10empty_typeEbEEZZNS1_14partition_implILS8_4ELb0ES6_15HIP_vector_typeIjLj2EENS0_17counting_iteratorIjlEEPS9_SG_NS0_5tupleIJPjSI_NS0_16reverse_iteratorISI_EEEEENSH_IJSG_SG_SG_EEES9_SI_JZNS1_25segmented_radix_sort_implINS0_14default_configELb1EPK6__halfPSP_PKlPlN2at6native12_GLOBAL__N_18offset_tEEE10hipError_tPvRmT1_PNSt15iterator_traitsIS13_E10value_typeET2_T3_PNS14_IS19_E10value_typeET4_jRbjT5_S1F_jjP12ihipStream_tbEUljE_ZNSN_ISO_Lb1ESR_SS_SU_SV_SZ_EES10_S11_S12_S13_S17_S18_S19_S1C_S1D_jS1E_jS1F_S1F_jjS1H_bEUljE0_EEES10_S11_S12_S19_S1D_S1F_T6_T7_T9_mT8_S1H_bDpT10_ENKUlT_T0_E_clISt17integral_constantIbLb1EES1U_IbLb0EEEEDaS1Q_S1R_EUlS1Q_E_NS1_11comp_targetILNS1_3genE9ELNS1_11target_archE1100ELNS1_3gpuE3ELNS1_3repE0EEENS1_30default_config_static_selectorELNS0_4arch9wavefront6targetE1EEEvS13_.has_dyn_sized_stack, 0
	.set _ZN7rocprim17ROCPRIM_400000_NS6detail17trampoline_kernelINS0_13select_configILj256ELj13ELNS0_17block_load_methodE3ELS4_3ELS4_3ELNS0_20block_scan_algorithmE0ELj4294967295EEENS1_25partition_config_selectorILNS1_17partition_subalgoE4EjNS0_10empty_typeEbEEZZNS1_14partition_implILS8_4ELb0ES6_15HIP_vector_typeIjLj2EENS0_17counting_iteratorIjlEEPS9_SG_NS0_5tupleIJPjSI_NS0_16reverse_iteratorISI_EEEEENSH_IJSG_SG_SG_EEES9_SI_JZNS1_25segmented_radix_sort_implINS0_14default_configELb1EPK6__halfPSP_PKlPlN2at6native12_GLOBAL__N_18offset_tEEE10hipError_tPvRmT1_PNSt15iterator_traitsIS13_E10value_typeET2_T3_PNS14_IS19_E10value_typeET4_jRbjT5_S1F_jjP12ihipStream_tbEUljE_ZNSN_ISO_Lb1ESR_SS_SU_SV_SZ_EES10_S11_S12_S13_S17_S18_S19_S1C_S1D_jS1E_jS1F_S1F_jjS1H_bEUljE0_EEES10_S11_S12_S19_S1D_S1F_T6_T7_T9_mT8_S1H_bDpT10_ENKUlT_T0_E_clISt17integral_constantIbLb1EES1U_IbLb0EEEEDaS1Q_S1R_EUlS1Q_E_NS1_11comp_targetILNS1_3genE9ELNS1_11target_archE1100ELNS1_3gpuE3ELNS1_3repE0EEENS1_30default_config_static_selectorELNS0_4arch9wavefront6targetE1EEEvS13_.has_recursion, 0
	.set _ZN7rocprim17ROCPRIM_400000_NS6detail17trampoline_kernelINS0_13select_configILj256ELj13ELNS0_17block_load_methodE3ELS4_3ELS4_3ELNS0_20block_scan_algorithmE0ELj4294967295EEENS1_25partition_config_selectorILNS1_17partition_subalgoE4EjNS0_10empty_typeEbEEZZNS1_14partition_implILS8_4ELb0ES6_15HIP_vector_typeIjLj2EENS0_17counting_iteratorIjlEEPS9_SG_NS0_5tupleIJPjSI_NS0_16reverse_iteratorISI_EEEEENSH_IJSG_SG_SG_EEES9_SI_JZNS1_25segmented_radix_sort_implINS0_14default_configELb1EPK6__halfPSP_PKlPlN2at6native12_GLOBAL__N_18offset_tEEE10hipError_tPvRmT1_PNSt15iterator_traitsIS13_E10value_typeET2_T3_PNS14_IS19_E10value_typeET4_jRbjT5_S1F_jjP12ihipStream_tbEUljE_ZNSN_ISO_Lb1ESR_SS_SU_SV_SZ_EES10_S11_S12_S13_S17_S18_S19_S1C_S1D_jS1E_jS1F_S1F_jjS1H_bEUljE0_EEES10_S11_S12_S19_S1D_S1F_T6_T7_T9_mT8_S1H_bDpT10_ENKUlT_T0_E_clISt17integral_constantIbLb1EES1U_IbLb0EEEEDaS1Q_S1R_EUlS1Q_E_NS1_11comp_targetILNS1_3genE9ELNS1_11target_archE1100ELNS1_3gpuE3ELNS1_3repE0EEENS1_30default_config_static_selectorELNS0_4arch9wavefront6targetE1EEEvS13_.has_indirect_call, 0
	.section	.AMDGPU.csdata,"",@progbits
; Kernel info:
; codeLenInByte = 0
; TotalNumSgprs: 4
; NumVgprs: 0
; ScratchSize: 0
; MemoryBound: 0
; FloatMode: 240
; IeeeMode: 1
; LDSByteSize: 0 bytes/workgroup (compile time only)
; SGPRBlocks: 0
; VGPRBlocks: 0
; NumSGPRsForWavesPerEU: 4
; NumVGPRsForWavesPerEU: 1
; Occupancy: 10
; WaveLimiterHint : 0
; COMPUTE_PGM_RSRC2:SCRATCH_EN: 0
; COMPUTE_PGM_RSRC2:USER_SGPR: 6
; COMPUTE_PGM_RSRC2:TRAP_HANDLER: 0
; COMPUTE_PGM_RSRC2:TGID_X_EN: 1
; COMPUTE_PGM_RSRC2:TGID_Y_EN: 0
; COMPUTE_PGM_RSRC2:TGID_Z_EN: 0
; COMPUTE_PGM_RSRC2:TIDIG_COMP_CNT: 0
	.section	.text._ZN7rocprim17ROCPRIM_400000_NS6detail17trampoline_kernelINS0_13select_configILj256ELj13ELNS0_17block_load_methodE3ELS4_3ELS4_3ELNS0_20block_scan_algorithmE0ELj4294967295EEENS1_25partition_config_selectorILNS1_17partition_subalgoE4EjNS0_10empty_typeEbEEZZNS1_14partition_implILS8_4ELb0ES6_15HIP_vector_typeIjLj2EENS0_17counting_iteratorIjlEEPS9_SG_NS0_5tupleIJPjSI_NS0_16reverse_iteratorISI_EEEEENSH_IJSG_SG_SG_EEES9_SI_JZNS1_25segmented_radix_sort_implINS0_14default_configELb1EPK6__halfPSP_PKlPlN2at6native12_GLOBAL__N_18offset_tEEE10hipError_tPvRmT1_PNSt15iterator_traitsIS13_E10value_typeET2_T3_PNS14_IS19_E10value_typeET4_jRbjT5_S1F_jjP12ihipStream_tbEUljE_ZNSN_ISO_Lb1ESR_SS_SU_SV_SZ_EES10_S11_S12_S13_S17_S18_S19_S1C_S1D_jS1E_jS1F_S1F_jjS1H_bEUljE0_EEES10_S11_S12_S19_S1D_S1F_T6_T7_T9_mT8_S1H_bDpT10_ENKUlT_T0_E_clISt17integral_constantIbLb1EES1U_IbLb0EEEEDaS1Q_S1R_EUlS1Q_E_NS1_11comp_targetILNS1_3genE8ELNS1_11target_archE1030ELNS1_3gpuE2ELNS1_3repE0EEENS1_30default_config_static_selectorELNS0_4arch9wavefront6targetE1EEEvS13_,"axG",@progbits,_ZN7rocprim17ROCPRIM_400000_NS6detail17trampoline_kernelINS0_13select_configILj256ELj13ELNS0_17block_load_methodE3ELS4_3ELS4_3ELNS0_20block_scan_algorithmE0ELj4294967295EEENS1_25partition_config_selectorILNS1_17partition_subalgoE4EjNS0_10empty_typeEbEEZZNS1_14partition_implILS8_4ELb0ES6_15HIP_vector_typeIjLj2EENS0_17counting_iteratorIjlEEPS9_SG_NS0_5tupleIJPjSI_NS0_16reverse_iteratorISI_EEEEENSH_IJSG_SG_SG_EEES9_SI_JZNS1_25segmented_radix_sort_implINS0_14default_configELb1EPK6__halfPSP_PKlPlN2at6native12_GLOBAL__N_18offset_tEEE10hipError_tPvRmT1_PNSt15iterator_traitsIS13_E10value_typeET2_T3_PNS14_IS19_E10value_typeET4_jRbjT5_S1F_jjP12ihipStream_tbEUljE_ZNSN_ISO_Lb1ESR_SS_SU_SV_SZ_EES10_S11_S12_S13_S17_S18_S19_S1C_S1D_jS1E_jS1F_S1F_jjS1H_bEUljE0_EEES10_S11_S12_S19_S1D_S1F_T6_T7_T9_mT8_S1H_bDpT10_ENKUlT_T0_E_clISt17integral_constantIbLb1EES1U_IbLb0EEEEDaS1Q_S1R_EUlS1Q_E_NS1_11comp_targetILNS1_3genE8ELNS1_11target_archE1030ELNS1_3gpuE2ELNS1_3repE0EEENS1_30default_config_static_selectorELNS0_4arch9wavefront6targetE1EEEvS13_,comdat
	.globl	_ZN7rocprim17ROCPRIM_400000_NS6detail17trampoline_kernelINS0_13select_configILj256ELj13ELNS0_17block_load_methodE3ELS4_3ELS4_3ELNS0_20block_scan_algorithmE0ELj4294967295EEENS1_25partition_config_selectorILNS1_17partition_subalgoE4EjNS0_10empty_typeEbEEZZNS1_14partition_implILS8_4ELb0ES6_15HIP_vector_typeIjLj2EENS0_17counting_iteratorIjlEEPS9_SG_NS0_5tupleIJPjSI_NS0_16reverse_iteratorISI_EEEEENSH_IJSG_SG_SG_EEES9_SI_JZNS1_25segmented_radix_sort_implINS0_14default_configELb1EPK6__halfPSP_PKlPlN2at6native12_GLOBAL__N_18offset_tEEE10hipError_tPvRmT1_PNSt15iterator_traitsIS13_E10value_typeET2_T3_PNS14_IS19_E10value_typeET4_jRbjT5_S1F_jjP12ihipStream_tbEUljE_ZNSN_ISO_Lb1ESR_SS_SU_SV_SZ_EES10_S11_S12_S13_S17_S18_S19_S1C_S1D_jS1E_jS1F_S1F_jjS1H_bEUljE0_EEES10_S11_S12_S19_S1D_S1F_T6_T7_T9_mT8_S1H_bDpT10_ENKUlT_T0_E_clISt17integral_constantIbLb1EES1U_IbLb0EEEEDaS1Q_S1R_EUlS1Q_E_NS1_11comp_targetILNS1_3genE8ELNS1_11target_archE1030ELNS1_3gpuE2ELNS1_3repE0EEENS1_30default_config_static_selectorELNS0_4arch9wavefront6targetE1EEEvS13_ ; -- Begin function _ZN7rocprim17ROCPRIM_400000_NS6detail17trampoline_kernelINS0_13select_configILj256ELj13ELNS0_17block_load_methodE3ELS4_3ELS4_3ELNS0_20block_scan_algorithmE0ELj4294967295EEENS1_25partition_config_selectorILNS1_17partition_subalgoE4EjNS0_10empty_typeEbEEZZNS1_14partition_implILS8_4ELb0ES6_15HIP_vector_typeIjLj2EENS0_17counting_iteratorIjlEEPS9_SG_NS0_5tupleIJPjSI_NS0_16reverse_iteratorISI_EEEEENSH_IJSG_SG_SG_EEES9_SI_JZNS1_25segmented_radix_sort_implINS0_14default_configELb1EPK6__halfPSP_PKlPlN2at6native12_GLOBAL__N_18offset_tEEE10hipError_tPvRmT1_PNSt15iterator_traitsIS13_E10value_typeET2_T3_PNS14_IS19_E10value_typeET4_jRbjT5_S1F_jjP12ihipStream_tbEUljE_ZNSN_ISO_Lb1ESR_SS_SU_SV_SZ_EES10_S11_S12_S13_S17_S18_S19_S1C_S1D_jS1E_jS1F_S1F_jjS1H_bEUljE0_EEES10_S11_S12_S19_S1D_S1F_T6_T7_T9_mT8_S1H_bDpT10_ENKUlT_T0_E_clISt17integral_constantIbLb1EES1U_IbLb0EEEEDaS1Q_S1R_EUlS1Q_E_NS1_11comp_targetILNS1_3genE8ELNS1_11target_archE1030ELNS1_3gpuE2ELNS1_3repE0EEENS1_30default_config_static_selectorELNS0_4arch9wavefront6targetE1EEEvS13_
	.p2align	8
	.type	_ZN7rocprim17ROCPRIM_400000_NS6detail17trampoline_kernelINS0_13select_configILj256ELj13ELNS0_17block_load_methodE3ELS4_3ELS4_3ELNS0_20block_scan_algorithmE0ELj4294967295EEENS1_25partition_config_selectorILNS1_17partition_subalgoE4EjNS0_10empty_typeEbEEZZNS1_14partition_implILS8_4ELb0ES6_15HIP_vector_typeIjLj2EENS0_17counting_iteratorIjlEEPS9_SG_NS0_5tupleIJPjSI_NS0_16reverse_iteratorISI_EEEEENSH_IJSG_SG_SG_EEES9_SI_JZNS1_25segmented_radix_sort_implINS0_14default_configELb1EPK6__halfPSP_PKlPlN2at6native12_GLOBAL__N_18offset_tEEE10hipError_tPvRmT1_PNSt15iterator_traitsIS13_E10value_typeET2_T3_PNS14_IS19_E10value_typeET4_jRbjT5_S1F_jjP12ihipStream_tbEUljE_ZNSN_ISO_Lb1ESR_SS_SU_SV_SZ_EES10_S11_S12_S13_S17_S18_S19_S1C_S1D_jS1E_jS1F_S1F_jjS1H_bEUljE0_EEES10_S11_S12_S19_S1D_S1F_T6_T7_T9_mT8_S1H_bDpT10_ENKUlT_T0_E_clISt17integral_constantIbLb1EES1U_IbLb0EEEEDaS1Q_S1R_EUlS1Q_E_NS1_11comp_targetILNS1_3genE8ELNS1_11target_archE1030ELNS1_3gpuE2ELNS1_3repE0EEENS1_30default_config_static_selectorELNS0_4arch9wavefront6targetE1EEEvS13_,@function
_ZN7rocprim17ROCPRIM_400000_NS6detail17trampoline_kernelINS0_13select_configILj256ELj13ELNS0_17block_load_methodE3ELS4_3ELS4_3ELNS0_20block_scan_algorithmE0ELj4294967295EEENS1_25partition_config_selectorILNS1_17partition_subalgoE4EjNS0_10empty_typeEbEEZZNS1_14partition_implILS8_4ELb0ES6_15HIP_vector_typeIjLj2EENS0_17counting_iteratorIjlEEPS9_SG_NS0_5tupleIJPjSI_NS0_16reverse_iteratorISI_EEEEENSH_IJSG_SG_SG_EEES9_SI_JZNS1_25segmented_radix_sort_implINS0_14default_configELb1EPK6__halfPSP_PKlPlN2at6native12_GLOBAL__N_18offset_tEEE10hipError_tPvRmT1_PNSt15iterator_traitsIS13_E10value_typeET2_T3_PNS14_IS19_E10value_typeET4_jRbjT5_S1F_jjP12ihipStream_tbEUljE_ZNSN_ISO_Lb1ESR_SS_SU_SV_SZ_EES10_S11_S12_S13_S17_S18_S19_S1C_S1D_jS1E_jS1F_S1F_jjS1H_bEUljE0_EEES10_S11_S12_S19_S1D_S1F_T6_T7_T9_mT8_S1H_bDpT10_ENKUlT_T0_E_clISt17integral_constantIbLb1EES1U_IbLb0EEEEDaS1Q_S1R_EUlS1Q_E_NS1_11comp_targetILNS1_3genE8ELNS1_11target_archE1030ELNS1_3gpuE2ELNS1_3repE0EEENS1_30default_config_static_selectorELNS0_4arch9wavefront6targetE1EEEvS13_: ; @_ZN7rocprim17ROCPRIM_400000_NS6detail17trampoline_kernelINS0_13select_configILj256ELj13ELNS0_17block_load_methodE3ELS4_3ELS4_3ELNS0_20block_scan_algorithmE0ELj4294967295EEENS1_25partition_config_selectorILNS1_17partition_subalgoE4EjNS0_10empty_typeEbEEZZNS1_14partition_implILS8_4ELb0ES6_15HIP_vector_typeIjLj2EENS0_17counting_iteratorIjlEEPS9_SG_NS0_5tupleIJPjSI_NS0_16reverse_iteratorISI_EEEEENSH_IJSG_SG_SG_EEES9_SI_JZNS1_25segmented_radix_sort_implINS0_14default_configELb1EPK6__halfPSP_PKlPlN2at6native12_GLOBAL__N_18offset_tEEE10hipError_tPvRmT1_PNSt15iterator_traitsIS13_E10value_typeET2_T3_PNS14_IS19_E10value_typeET4_jRbjT5_S1F_jjP12ihipStream_tbEUljE_ZNSN_ISO_Lb1ESR_SS_SU_SV_SZ_EES10_S11_S12_S13_S17_S18_S19_S1C_S1D_jS1E_jS1F_S1F_jjS1H_bEUljE0_EEES10_S11_S12_S19_S1D_S1F_T6_T7_T9_mT8_S1H_bDpT10_ENKUlT_T0_E_clISt17integral_constantIbLb1EES1U_IbLb0EEEEDaS1Q_S1R_EUlS1Q_E_NS1_11comp_targetILNS1_3genE8ELNS1_11target_archE1030ELNS1_3gpuE2ELNS1_3repE0EEENS1_30default_config_static_selectorELNS0_4arch9wavefront6targetE1EEEvS13_
; %bb.0:
	.section	.rodata,"a",@progbits
	.p2align	6, 0x0
	.amdhsa_kernel _ZN7rocprim17ROCPRIM_400000_NS6detail17trampoline_kernelINS0_13select_configILj256ELj13ELNS0_17block_load_methodE3ELS4_3ELS4_3ELNS0_20block_scan_algorithmE0ELj4294967295EEENS1_25partition_config_selectorILNS1_17partition_subalgoE4EjNS0_10empty_typeEbEEZZNS1_14partition_implILS8_4ELb0ES6_15HIP_vector_typeIjLj2EENS0_17counting_iteratorIjlEEPS9_SG_NS0_5tupleIJPjSI_NS0_16reverse_iteratorISI_EEEEENSH_IJSG_SG_SG_EEES9_SI_JZNS1_25segmented_radix_sort_implINS0_14default_configELb1EPK6__halfPSP_PKlPlN2at6native12_GLOBAL__N_18offset_tEEE10hipError_tPvRmT1_PNSt15iterator_traitsIS13_E10value_typeET2_T3_PNS14_IS19_E10value_typeET4_jRbjT5_S1F_jjP12ihipStream_tbEUljE_ZNSN_ISO_Lb1ESR_SS_SU_SV_SZ_EES10_S11_S12_S13_S17_S18_S19_S1C_S1D_jS1E_jS1F_S1F_jjS1H_bEUljE0_EEES10_S11_S12_S19_S1D_S1F_T6_T7_T9_mT8_S1H_bDpT10_ENKUlT_T0_E_clISt17integral_constantIbLb1EES1U_IbLb0EEEEDaS1Q_S1R_EUlS1Q_E_NS1_11comp_targetILNS1_3genE8ELNS1_11target_archE1030ELNS1_3gpuE2ELNS1_3repE0EEENS1_30default_config_static_selectorELNS0_4arch9wavefront6targetE1EEEvS13_
		.amdhsa_group_segment_fixed_size 0
		.amdhsa_private_segment_fixed_size 0
		.amdhsa_kernarg_size 176
		.amdhsa_user_sgpr_count 6
		.amdhsa_user_sgpr_private_segment_buffer 1
		.amdhsa_user_sgpr_dispatch_ptr 0
		.amdhsa_user_sgpr_queue_ptr 0
		.amdhsa_user_sgpr_kernarg_segment_ptr 1
		.amdhsa_user_sgpr_dispatch_id 0
		.amdhsa_user_sgpr_flat_scratch_init 0
		.amdhsa_user_sgpr_private_segment_size 0
		.amdhsa_uses_dynamic_stack 0
		.amdhsa_system_sgpr_private_segment_wavefront_offset 0
		.amdhsa_system_sgpr_workgroup_id_x 1
		.amdhsa_system_sgpr_workgroup_id_y 0
		.amdhsa_system_sgpr_workgroup_id_z 0
		.amdhsa_system_sgpr_workgroup_info 0
		.amdhsa_system_vgpr_workitem_id 0
		.amdhsa_next_free_vgpr 1
		.amdhsa_next_free_sgpr 0
		.amdhsa_reserve_vcc 0
		.amdhsa_reserve_flat_scratch 0
		.amdhsa_float_round_mode_32 0
		.amdhsa_float_round_mode_16_64 0
		.amdhsa_float_denorm_mode_32 3
		.amdhsa_float_denorm_mode_16_64 3
		.amdhsa_dx10_clamp 1
		.amdhsa_ieee_mode 1
		.amdhsa_fp16_overflow 0
		.amdhsa_exception_fp_ieee_invalid_op 0
		.amdhsa_exception_fp_denorm_src 0
		.amdhsa_exception_fp_ieee_div_zero 0
		.amdhsa_exception_fp_ieee_overflow 0
		.amdhsa_exception_fp_ieee_underflow 0
		.amdhsa_exception_fp_ieee_inexact 0
		.amdhsa_exception_int_div_zero 0
	.end_amdhsa_kernel
	.section	.text._ZN7rocprim17ROCPRIM_400000_NS6detail17trampoline_kernelINS0_13select_configILj256ELj13ELNS0_17block_load_methodE3ELS4_3ELS4_3ELNS0_20block_scan_algorithmE0ELj4294967295EEENS1_25partition_config_selectorILNS1_17partition_subalgoE4EjNS0_10empty_typeEbEEZZNS1_14partition_implILS8_4ELb0ES6_15HIP_vector_typeIjLj2EENS0_17counting_iteratorIjlEEPS9_SG_NS0_5tupleIJPjSI_NS0_16reverse_iteratorISI_EEEEENSH_IJSG_SG_SG_EEES9_SI_JZNS1_25segmented_radix_sort_implINS0_14default_configELb1EPK6__halfPSP_PKlPlN2at6native12_GLOBAL__N_18offset_tEEE10hipError_tPvRmT1_PNSt15iterator_traitsIS13_E10value_typeET2_T3_PNS14_IS19_E10value_typeET4_jRbjT5_S1F_jjP12ihipStream_tbEUljE_ZNSN_ISO_Lb1ESR_SS_SU_SV_SZ_EES10_S11_S12_S13_S17_S18_S19_S1C_S1D_jS1E_jS1F_S1F_jjS1H_bEUljE0_EEES10_S11_S12_S19_S1D_S1F_T6_T7_T9_mT8_S1H_bDpT10_ENKUlT_T0_E_clISt17integral_constantIbLb1EES1U_IbLb0EEEEDaS1Q_S1R_EUlS1Q_E_NS1_11comp_targetILNS1_3genE8ELNS1_11target_archE1030ELNS1_3gpuE2ELNS1_3repE0EEENS1_30default_config_static_selectorELNS0_4arch9wavefront6targetE1EEEvS13_,"axG",@progbits,_ZN7rocprim17ROCPRIM_400000_NS6detail17trampoline_kernelINS0_13select_configILj256ELj13ELNS0_17block_load_methodE3ELS4_3ELS4_3ELNS0_20block_scan_algorithmE0ELj4294967295EEENS1_25partition_config_selectorILNS1_17partition_subalgoE4EjNS0_10empty_typeEbEEZZNS1_14partition_implILS8_4ELb0ES6_15HIP_vector_typeIjLj2EENS0_17counting_iteratorIjlEEPS9_SG_NS0_5tupleIJPjSI_NS0_16reverse_iteratorISI_EEEEENSH_IJSG_SG_SG_EEES9_SI_JZNS1_25segmented_radix_sort_implINS0_14default_configELb1EPK6__halfPSP_PKlPlN2at6native12_GLOBAL__N_18offset_tEEE10hipError_tPvRmT1_PNSt15iterator_traitsIS13_E10value_typeET2_T3_PNS14_IS19_E10value_typeET4_jRbjT5_S1F_jjP12ihipStream_tbEUljE_ZNSN_ISO_Lb1ESR_SS_SU_SV_SZ_EES10_S11_S12_S13_S17_S18_S19_S1C_S1D_jS1E_jS1F_S1F_jjS1H_bEUljE0_EEES10_S11_S12_S19_S1D_S1F_T6_T7_T9_mT8_S1H_bDpT10_ENKUlT_T0_E_clISt17integral_constantIbLb1EES1U_IbLb0EEEEDaS1Q_S1R_EUlS1Q_E_NS1_11comp_targetILNS1_3genE8ELNS1_11target_archE1030ELNS1_3gpuE2ELNS1_3repE0EEENS1_30default_config_static_selectorELNS0_4arch9wavefront6targetE1EEEvS13_,comdat
.Lfunc_end1698:
	.size	_ZN7rocprim17ROCPRIM_400000_NS6detail17trampoline_kernelINS0_13select_configILj256ELj13ELNS0_17block_load_methodE3ELS4_3ELS4_3ELNS0_20block_scan_algorithmE0ELj4294967295EEENS1_25partition_config_selectorILNS1_17partition_subalgoE4EjNS0_10empty_typeEbEEZZNS1_14partition_implILS8_4ELb0ES6_15HIP_vector_typeIjLj2EENS0_17counting_iteratorIjlEEPS9_SG_NS0_5tupleIJPjSI_NS0_16reverse_iteratorISI_EEEEENSH_IJSG_SG_SG_EEES9_SI_JZNS1_25segmented_radix_sort_implINS0_14default_configELb1EPK6__halfPSP_PKlPlN2at6native12_GLOBAL__N_18offset_tEEE10hipError_tPvRmT1_PNSt15iterator_traitsIS13_E10value_typeET2_T3_PNS14_IS19_E10value_typeET4_jRbjT5_S1F_jjP12ihipStream_tbEUljE_ZNSN_ISO_Lb1ESR_SS_SU_SV_SZ_EES10_S11_S12_S13_S17_S18_S19_S1C_S1D_jS1E_jS1F_S1F_jjS1H_bEUljE0_EEES10_S11_S12_S19_S1D_S1F_T6_T7_T9_mT8_S1H_bDpT10_ENKUlT_T0_E_clISt17integral_constantIbLb1EES1U_IbLb0EEEEDaS1Q_S1R_EUlS1Q_E_NS1_11comp_targetILNS1_3genE8ELNS1_11target_archE1030ELNS1_3gpuE2ELNS1_3repE0EEENS1_30default_config_static_selectorELNS0_4arch9wavefront6targetE1EEEvS13_, .Lfunc_end1698-_ZN7rocprim17ROCPRIM_400000_NS6detail17trampoline_kernelINS0_13select_configILj256ELj13ELNS0_17block_load_methodE3ELS4_3ELS4_3ELNS0_20block_scan_algorithmE0ELj4294967295EEENS1_25partition_config_selectorILNS1_17partition_subalgoE4EjNS0_10empty_typeEbEEZZNS1_14partition_implILS8_4ELb0ES6_15HIP_vector_typeIjLj2EENS0_17counting_iteratorIjlEEPS9_SG_NS0_5tupleIJPjSI_NS0_16reverse_iteratorISI_EEEEENSH_IJSG_SG_SG_EEES9_SI_JZNS1_25segmented_radix_sort_implINS0_14default_configELb1EPK6__halfPSP_PKlPlN2at6native12_GLOBAL__N_18offset_tEEE10hipError_tPvRmT1_PNSt15iterator_traitsIS13_E10value_typeET2_T3_PNS14_IS19_E10value_typeET4_jRbjT5_S1F_jjP12ihipStream_tbEUljE_ZNSN_ISO_Lb1ESR_SS_SU_SV_SZ_EES10_S11_S12_S13_S17_S18_S19_S1C_S1D_jS1E_jS1F_S1F_jjS1H_bEUljE0_EEES10_S11_S12_S19_S1D_S1F_T6_T7_T9_mT8_S1H_bDpT10_ENKUlT_T0_E_clISt17integral_constantIbLb1EES1U_IbLb0EEEEDaS1Q_S1R_EUlS1Q_E_NS1_11comp_targetILNS1_3genE8ELNS1_11target_archE1030ELNS1_3gpuE2ELNS1_3repE0EEENS1_30default_config_static_selectorELNS0_4arch9wavefront6targetE1EEEvS13_
                                        ; -- End function
	.set _ZN7rocprim17ROCPRIM_400000_NS6detail17trampoline_kernelINS0_13select_configILj256ELj13ELNS0_17block_load_methodE3ELS4_3ELS4_3ELNS0_20block_scan_algorithmE0ELj4294967295EEENS1_25partition_config_selectorILNS1_17partition_subalgoE4EjNS0_10empty_typeEbEEZZNS1_14partition_implILS8_4ELb0ES6_15HIP_vector_typeIjLj2EENS0_17counting_iteratorIjlEEPS9_SG_NS0_5tupleIJPjSI_NS0_16reverse_iteratorISI_EEEEENSH_IJSG_SG_SG_EEES9_SI_JZNS1_25segmented_radix_sort_implINS0_14default_configELb1EPK6__halfPSP_PKlPlN2at6native12_GLOBAL__N_18offset_tEEE10hipError_tPvRmT1_PNSt15iterator_traitsIS13_E10value_typeET2_T3_PNS14_IS19_E10value_typeET4_jRbjT5_S1F_jjP12ihipStream_tbEUljE_ZNSN_ISO_Lb1ESR_SS_SU_SV_SZ_EES10_S11_S12_S13_S17_S18_S19_S1C_S1D_jS1E_jS1F_S1F_jjS1H_bEUljE0_EEES10_S11_S12_S19_S1D_S1F_T6_T7_T9_mT8_S1H_bDpT10_ENKUlT_T0_E_clISt17integral_constantIbLb1EES1U_IbLb0EEEEDaS1Q_S1R_EUlS1Q_E_NS1_11comp_targetILNS1_3genE8ELNS1_11target_archE1030ELNS1_3gpuE2ELNS1_3repE0EEENS1_30default_config_static_selectorELNS0_4arch9wavefront6targetE1EEEvS13_.num_vgpr, 0
	.set _ZN7rocprim17ROCPRIM_400000_NS6detail17trampoline_kernelINS0_13select_configILj256ELj13ELNS0_17block_load_methodE3ELS4_3ELS4_3ELNS0_20block_scan_algorithmE0ELj4294967295EEENS1_25partition_config_selectorILNS1_17partition_subalgoE4EjNS0_10empty_typeEbEEZZNS1_14partition_implILS8_4ELb0ES6_15HIP_vector_typeIjLj2EENS0_17counting_iteratorIjlEEPS9_SG_NS0_5tupleIJPjSI_NS0_16reverse_iteratorISI_EEEEENSH_IJSG_SG_SG_EEES9_SI_JZNS1_25segmented_radix_sort_implINS0_14default_configELb1EPK6__halfPSP_PKlPlN2at6native12_GLOBAL__N_18offset_tEEE10hipError_tPvRmT1_PNSt15iterator_traitsIS13_E10value_typeET2_T3_PNS14_IS19_E10value_typeET4_jRbjT5_S1F_jjP12ihipStream_tbEUljE_ZNSN_ISO_Lb1ESR_SS_SU_SV_SZ_EES10_S11_S12_S13_S17_S18_S19_S1C_S1D_jS1E_jS1F_S1F_jjS1H_bEUljE0_EEES10_S11_S12_S19_S1D_S1F_T6_T7_T9_mT8_S1H_bDpT10_ENKUlT_T0_E_clISt17integral_constantIbLb1EES1U_IbLb0EEEEDaS1Q_S1R_EUlS1Q_E_NS1_11comp_targetILNS1_3genE8ELNS1_11target_archE1030ELNS1_3gpuE2ELNS1_3repE0EEENS1_30default_config_static_selectorELNS0_4arch9wavefront6targetE1EEEvS13_.num_agpr, 0
	.set _ZN7rocprim17ROCPRIM_400000_NS6detail17trampoline_kernelINS0_13select_configILj256ELj13ELNS0_17block_load_methodE3ELS4_3ELS4_3ELNS0_20block_scan_algorithmE0ELj4294967295EEENS1_25partition_config_selectorILNS1_17partition_subalgoE4EjNS0_10empty_typeEbEEZZNS1_14partition_implILS8_4ELb0ES6_15HIP_vector_typeIjLj2EENS0_17counting_iteratorIjlEEPS9_SG_NS0_5tupleIJPjSI_NS0_16reverse_iteratorISI_EEEEENSH_IJSG_SG_SG_EEES9_SI_JZNS1_25segmented_radix_sort_implINS0_14default_configELb1EPK6__halfPSP_PKlPlN2at6native12_GLOBAL__N_18offset_tEEE10hipError_tPvRmT1_PNSt15iterator_traitsIS13_E10value_typeET2_T3_PNS14_IS19_E10value_typeET4_jRbjT5_S1F_jjP12ihipStream_tbEUljE_ZNSN_ISO_Lb1ESR_SS_SU_SV_SZ_EES10_S11_S12_S13_S17_S18_S19_S1C_S1D_jS1E_jS1F_S1F_jjS1H_bEUljE0_EEES10_S11_S12_S19_S1D_S1F_T6_T7_T9_mT8_S1H_bDpT10_ENKUlT_T0_E_clISt17integral_constantIbLb1EES1U_IbLb0EEEEDaS1Q_S1R_EUlS1Q_E_NS1_11comp_targetILNS1_3genE8ELNS1_11target_archE1030ELNS1_3gpuE2ELNS1_3repE0EEENS1_30default_config_static_selectorELNS0_4arch9wavefront6targetE1EEEvS13_.numbered_sgpr, 0
	.set _ZN7rocprim17ROCPRIM_400000_NS6detail17trampoline_kernelINS0_13select_configILj256ELj13ELNS0_17block_load_methodE3ELS4_3ELS4_3ELNS0_20block_scan_algorithmE0ELj4294967295EEENS1_25partition_config_selectorILNS1_17partition_subalgoE4EjNS0_10empty_typeEbEEZZNS1_14partition_implILS8_4ELb0ES6_15HIP_vector_typeIjLj2EENS0_17counting_iteratorIjlEEPS9_SG_NS0_5tupleIJPjSI_NS0_16reverse_iteratorISI_EEEEENSH_IJSG_SG_SG_EEES9_SI_JZNS1_25segmented_radix_sort_implINS0_14default_configELb1EPK6__halfPSP_PKlPlN2at6native12_GLOBAL__N_18offset_tEEE10hipError_tPvRmT1_PNSt15iterator_traitsIS13_E10value_typeET2_T3_PNS14_IS19_E10value_typeET4_jRbjT5_S1F_jjP12ihipStream_tbEUljE_ZNSN_ISO_Lb1ESR_SS_SU_SV_SZ_EES10_S11_S12_S13_S17_S18_S19_S1C_S1D_jS1E_jS1F_S1F_jjS1H_bEUljE0_EEES10_S11_S12_S19_S1D_S1F_T6_T7_T9_mT8_S1H_bDpT10_ENKUlT_T0_E_clISt17integral_constantIbLb1EES1U_IbLb0EEEEDaS1Q_S1R_EUlS1Q_E_NS1_11comp_targetILNS1_3genE8ELNS1_11target_archE1030ELNS1_3gpuE2ELNS1_3repE0EEENS1_30default_config_static_selectorELNS0_4arch9wavefront6targetE1EEEvS13_.num_named_barrier, 0
	.set _ZN7rocprim17ROCPRIM_400000_NS6detail17trampoline_kernelINS0_13select_configILj256ELj13ELNS0_17block_load_methodE3ELS4_3ELS4_3ELNS0_20block_scan_algorithmE0ELj4294967295EEENS1_25partition_config_selectorILNS1_17partition_subalgoE4EjNS0_10empty_typeEbEEZZNS1_14partition_implILS8_4ELb0ES6_15HIP_vector_typeIjLj2EENS0_17counting_iteratorIjlEEPS9_SG_NS0_5tupleIJPjSI_NS0_16reverse_iteratorISI_EEEEENSH_IJSG_SG_SG_EEES9_SI_JZNS1_25segmented_radix_sort_implINS0_14default_configELb1EPK6__halfPSP_PKlPlN2at6native12_GLOBAL__N_18offset_tEEE10hipError_tPvRmT1_PNSt15iterator_traitsIS13_E10value_typeET2_T3_PNS14_IS19_E10value_typeET4_jRbjT5_S1F_jjP12ihipStream_tbEUljE_ZNSN_ISO_Lb1ESR_SS_SU_SV_SZ_EES10_S11_S12_S13_S17_S18_S19_S1C_S1D_jS1E_jS1F_S1F_jjS1H_bEUljE0_EEES10_S11_S12_S19_S1D_S1F_T6_T7_T9_mT8_S1H_bDpT10_ENKUlT_T0_E_clISt17integral_constantIbLb1EES1U_IbLb0EEEEDaS1Q_S1R_EUlS1Q_E_NS1_11comp_targetILNS1_3genE8ELNS1_11target_archE1030ELNS1_3gpuE2ELNS1_3repE0EEENS1_30default_config_static_selectorELNS0_4arch9wavefront6targetE1EEEvS13_.private_seg_size, 0
	.set _ZN7rocprim17ROCPRIM_400000_NS6detail17trampoline_kernelINS0_13select_configILj256ELj13ELNS0_17block_load_methodE3ELS4_3ELS4_3ELNS0_20block_scan_algorithmE0ELj4294967295EEENS1_25partition_config_selectorILNS1_17partition_subalgoE4EjNS0_10empty_typeEbEEZZNS1_14partition_implILS8_4ELb0ES6_15HIP_vector_typeIjLj2EENS0_17counting_iteratorIjlEEPS9_SG_NS0_5tupleIJPjSI_NS0_16reverse_iteratorISI_EEEEENSH_IJSG_SG_SG_EEES9_SI_JZNS1_25segmented_radix_sort_implINS0_14default_configELb1EPK6__halfPSP_PKlPlN2at6native12_GLOBAL__N_18offset_tEEE10hipError_tPvRmT1_PNSt15iterator_traitsIS13_E10value_typeET2_T3_PNS14_IS19_E10value_typeET4_jRbjT5_S1F_jjP12ihipStream_tbEUljE_ZNSN_ISO_Lb1ESR_SS_SU_SV_SZ_EES10_S11_S12_S13_S17_S18_S19_S1C_S1D_jS1E_jS1F_S1F_jjS1H_bEUljE0_EEES10_S11_S12_S19_S1D_S1F_T6_T7_T9_mT8_S1H_bDpT10_ENKUlT_T0_E_clISt17integral_constantIbLb1EES1U_IbLb0EEEEDaS1Q_S1R_EUlS1Q_E_NS1_11comp_targetILNS1_3genE8ELNS1_11target_archE1030ELNS1_3gpuE2ELNS1_3repE0EEENS1_30default_config_static_selectorELNS0_4arch9wavefront6targetE1EEEvS13_.uses_vcc, 0
	.set _ZN7rocprim17ROCPRIM_400000_NS6detail17trampoline_kernelINS0_13select_configILj256ELj13ELNS0_17block_load_methodE3ELS4_3ELS4_3ELNS0_20block_scan_algorithmE0ELj4294967295EEENS1_25partition_config_selectorILNS1_17partition_subalgoE4EjNS0_10empty_typeEbEEZZNS1_14partition_implILS8_4ELb0ES6_15HIP_vector_typeIjLj2EENS0_17counting_iteratorIjlEEPS9_SG_NS0_5tupleIJPjSI_NS0_16reverse_iteratorISI_EEEEENSH_IJSG_SG_SG_EEES9_SI_JZNS1_25segmented_radix_sort_implINS0_14default_configELb1EPK6__halfPSP_PKlPlN2at6native12_GLOBAL__N_18offset_tEEE10hipError_tPvRmT1_PNSt15iterator_traitsIS13_E10value_typeET2_T3_PNS14_IS19_E10value_typeET4_jRbjT5_S1F_jjP12ihipStream_tbEUljE_ZNSN_ISO_Lb1ESR_SS_SU_SV_SZ_EES10_S11_S12_S13_S17_S18_S19_S1C_S1D_jS1E_jS1F_S1F_jjS1H_bEUljE0_EEES10_S11_S12_S19_S1D_S1F_T6_T7_T9_mT8_S1H_bDpT10_ENKUlT_T0_E_clISt17integral_constantIbLb1EES1U_IbLb0EEEEDaS1Q_S1R_EUlS1Q_E_NS1_11comp_targetILNS1_3genE8ELNS1_11target_archE1030ELNS1_3gpuE2ELNS1_3repE0EEENS1_30default_config_static_selectorELNS0_4arch9wavefront6targetE1EEEvS13_.uses_flat_scratch, 0
	.set _ZN7rocprim17ROCPRIM_400000_NS6detail17trampoline_kernelINS0_13select_configILj256ELj13ELNS0_17block_load_methodE3ELS4_3ELS4_3ELNS0_20block_scan_algorithmE0ELj4294967295EEENS1_25partition_config_selectorILNS1_17partition_subalgoE4EjNS0_10empty_typeEbEEZZNS1_14partition_implILS8_4ELb0ES6_15HIP_vector_typeIjLj2EENS0_17counting_iteratorIjlEEPS9_SG_NS0_5tupleIJPjSI_NS0_16reverse_iteratorISI_EEEEENSH_IJSG_SG_SG_EEES9_SI_JZNS1_25segmented_radix_sort_implINS0_14default_configELb1EPK6__halfPSP_PKlPlN2at6native12_GLOBAL__N_18offset_tEEE10hipError_tPvRmT1_PNSt15iterator_traitsIS13_E10value_typeET2_T3_PNS14_IS19_E10value_typeET4_jRbjT5_S1F_jjP12ihipStream_tbEUljE_ZNSN_ISO_Lb1ESR_SS_SU_SV_SZ_EES10_S11_S12_S13_S17_S18_S19_S1C_S1D_jS1E_jS1F_S1F_jjS1H_bEUljE0_EEES10_S11_S12_S19_S1D_S1F_T6_T7_T9_mT8_S1H_bDpT10_ENKUlT_T0_E_clISt17integral_constantIbLb1EES1U_IbLb0EEEEDaS1Q_S1R_EUlS1Q_E_NS1_11comp_targetILNS1_3genE8ELNS1_11target_archE1030ELNS1_3gpuE2ELNS1_3repE0EEENS1_30default_config_static_selectorELNS0_4arch9wavefront6targetE1EEEvS13_.has_dyn_sized_stack, 0
	.set _ZN7rocprim17ROCPRIM_400000_NS6detail17trampoline_kernelINS0_13select_configILj256ELj13ELNS0_17block_load_methodE3ELS4_3ELS4_3ELNS0_20block_scan_algorithmE0ELj4294967295EEENS1_25partition_config_selectorILNS1_17partition_subalgoE4EjNS0_10empty_typeEbEEZZNS1_14partition_implILS8_4ELb0ES6_15HIP_vector_typeIjLj2EENS0_17counting_iteratorIjlEEPS9_SG_NS0_5tupleIJPjSI_NS0_16reverse_iteratorISI_EEEEENSH_IJSG_SG_SG_EEES9_SI_JZNS1_25segmented_radix_sort_implINS0_14default_configELb1EPK6__halfPSP_PKlPlN2at6native12_GLOBAL__N_18offset_tEEE10hipError_tPvRmT1_PNSt15iterator_traitsIS13_E10value_typeET2_T3_PNS14_IS19_E10value_typeET4_jRbjT5_S1F_jjP12ihipStream_tbEUljE_ZNSN_ISO_Lb1ESR_SS_SU_SV_SZ_EES10_S11_S12_S13_S17_S18_S19_S1C_S1D_jS1E_jS1F_S1F_jjS1H_bEUljE0_EEES10_S11_S12_S19_S1D_S1F_T6_T7_T9_mT8_S1H_bDpT10_ENKUlT_T0_E_clISt17integral_constantIbLb1EES1U_IbLb0EEEEDaS1Q_S1R_EUlS1Q_E_NS1_11comp_targetILNS1_3genE8ELNS1_11target_archE1030ELNS1_3gpuE2ELNS1_3repE0EEENS1_30default_config_static_selectorELNS0_4arch9wavefront6targetE1EEEvS13_.has_recursion, 0
	.set _ZN7rocprim17ROCPRIM_400000_NS6detail17trampoline_kernelINS0_13select_configILj256ELj13ELNS0_17block_load_methodE3ELS4_3ELS4_3ELNS0_20block_scan_algorithmE0ELj4294967295EEENS1_25partition_config_selectorILNS1_17partition_subalgoE4EjNS0_10empty_typeEbEEZZNS1_14partition_implILS8_4ELb0ES6_15HIP_vector_typeIjLj2EENS0_17counting_iteratorIjlEEPS9_SG_NS0_5tupleIJPjSI_NS0_16reverse_iteratorISI_EEEEENSH_IJSG_SG_SG_EEES9_SI_JZNS1_25segmented_radix_sort_implINS0_14default_configELb1EPK6__halfPSP_PKlPlN2at6native12_GLOBAL__N_18offset_tEEE10hipError_tPvRmT1_PNSt15iterator_traitsIS13_E10value_typeET2_T3_PNS14_IS19_E10value_typeET4_jRbjT5_S1F_jjP12ihipStream_tbEUljE_ZNSN_ISO_Lb1ESR_SS_SU_SV_SZ_EES10_S11_S12_S13_S17_S18_S19_S1C_S1D_jS1E_jS1F_S1F_jjS1H_bEUljE0_EEES10_S11_S12_S19_S1D_S1F_T6_T7_T9_mT8_S1H_bDpT10_ENKUlT_T0_E_clISt17integral_constantIbLb1EES1U_IbLb0EEEEDaS1Q_S1R_EUlS1Q_E_NS1_11comp_targetILNS1_3genE8ELNS1_11target_archE1030ELNS1_3gpuE2ELNS1_3repE0EEENS1_30default_config_static_selectorELNS0_4arch9wavefront6targetE1EEEvS13_.has_indirect_call, 0
	.section	.AMDGPU.csdata,"",@progbits
; Kernel info:
; codeLenInByte = 0
; TotalNumSgprs: 4
; NumVgprs: 0
; ScratchSize: 0
; MemoryBound: 0
; FloatMode: 240
; IeeeMode: 1
; LDSByteSize: 0 bytes/workgroup (compile time only)
; SGPRBlocks: 0
; VGPRBlocks: 0
; NumSGPRsForWavesPerEU: 4
; NumVGPRsForWavesPerEU: 1
; Occupancy: 10
; WaveLimiterHint : 0
; COMPUTE_PGM_RSRC2:SCRATCH_EN: 0
; COMPUTE_PGM_RSRC2:USER_SGPR: 6
; COMPUTE_PGM_RSRC2:TRAP_HANDLER: 0
; COMPUTE_PGM_RSRC2:TGID_X_EN: 1
; COMPUTE_PGM_RSRC2:TGID_Y_EN: 0
; COMPUTE_PGM_RSRC2:TGID_Z_EN: 0
; COMPUTE_PGM_RSRC2:TIDIG_COMP_CNT: 0
	.section	.text._ZN7rocprim17ROCPRIM_400000_NS6detail17trampoline_kernelINS0_13select_configILj256ELj13ELNS0_17block_load_methodE3ELS4_3ELS4_3ELNS0_20block_scan_algorithmE0ELj4294967295EEENS1_25partition_config_selectorILNS1_17partition_subalgoE4EjNS0_10empty_typeEbEEZZNS1_14partition_implILS8_4ELb0ES6_15HIP_vector_typeIjLj2EENS0_17counting_iteratorIjlEEPS9_SG_NS0_5tupleIJPjSI_NS0_16reverse_iteratorISI_EEEEENSH_IJSG_SG_SG_EEES9_SI_JZNS1_25segmented_radix_sort_implINS0_14default_configELb1EPK6__halfPSP_PKlPlN2at6native12_GLOBAL__N_18offset_tEEE10hipError_tPvRmT1_PNSt15iterator_traitsIS13_E10value_typeET2_T3_PNS14_IS19_E10value_typeET4_jRbjT5_S1F_jjP12ihipStream_tbEUljE_ZNSN_ISO_Lb1ESR_SS_SU_SV_SZ_EES10_S11_S12_S13_S17_S18_S19_S1C_S1D_jS1E_jS1F_S1F_jjS1H_bEUljE0_EEES10_S11_S12_S19_S1D_S1F_T6_T7_T9_mT8_S1H_bDpT10_ENKUlT_T0_E_clISt17integral_constantIbLb0EES1U_IbLb1EEEEDaS1Q_S1R_EUlS1Q_E_NS1_11comp_targetILNS1_3genE0ELNS1_11target_archE4294967295ELNS1_3gpuE0ELNS1_3repE0EEENS1_30default_config_static_selectorELNS0_4arch9wavefront6targetE1EEEvS13_,"axG",@progbits,_ZN7rocprim17ROCPRIM_400000_NS6detail17trampoline_kernelINS0_13select_configILj256ELj13ELNS0_17block_load_methodE3ELS4_3ELS4_3ELNS0_20block_scan_algorithmE0ELj4294967295EEENS1_25partition_config_selectorILNS1_17partition_subalgoE4EjNS0_10empty_typeEbEEZZNS1_14partition_implILS8_4ELb0ES6_15HIP_vector_typeIjLj2EENS0_17counting_iteratorIjlEEPS9_SG_NS0_5tupleIJPjSI_NS0_16reverse_iteratorISI_EEEEENSH_IJSG_SG_SG_EEES9_SI_JZNS1_25segmented_radix_sort_implINS0_14default_configELb1EPK6__halfPSP_PKlPlN2at6native12_GLOBAL__N_18offset_tEEE10hipError_tPvRmT1_PNSt15iterator_traitsIS13_E10value_typeET2_T3_PNS14_IS19_E10value_typeET4_jRbjT5_S1F_jjP12ihipStream_tbEUljE_ZNSN_ISO_Lb1ESR_SS_SU_SV_SZ_EES10_S11_S12_S13_S17_S18_S19_S1C_S1D_jS1E_jS1F_S1F_jjS1H_bEUljE0_EEES10_S11_S12_S19_S1D_S1F_T6_T7_T9_mT8_S1H_bDpT10_ENKUlT_T0_E_clISt17integral_constantIbLb0EES1U_IbLb1EEEEDaS1Q_S1R_EUlS1Q_E_NS1_11comp_targetILNS1_3genE0ELNS1_11target_archE4294967295ELNS1_3gpuE0ELNS1_3repE0EEENS1_30default_config_static_selectorELNS0_4arch9wavefront6targetE1EEEvS13_,comdat
	.globl	_ZN7rocprim17ROCPRIM_400000_NS6detail17trampoline_kernelINS0_13select_configILj256ELj13ELNS0_17block_load_methodE3ELS4_3ELS4_3ELNS0_20block_scan_algorithmE0ELj4294967295EEENS1_25partition_config_selectorILNS1_17partition_subalgoE4EjNS0_10empty_typeEbEEZZNS1_14partition_implILS8_4ELb0ES6_15HIP_vector_typeIjLj2EENS0_17counting_iteratorIjlEEPS9_SG_NS0_5tupleIJPjSI_NS0_16reverse_iteratorISI_EEEEENSH_IJSG_SG_SG_EEES9_SI_JZNS1_25segmented_radix_sort_implINS0_14default_configELb1EPK6__halfPSP_PKlPlN2at6native12_GLOBAL__N_18offset_tEEE10hipError_tPvRmT1_PNSt15iterator_traitsIS13_E10value_typeET2_T3_PNS14_IS19_E10value_typeET4_jRbjT5_S1F_jjP12ihipStream_tbEUljE_ZNSN_ISO_Lb1ESR_SS_SU_SV_SZ_EES10_S11_S12_S13_S17_S18_S19_S1C_S1D_jS1E_jS1F_S1F_jjS1H_bEUljE0_EEES10_S11_S12_S19_S1D_S1F_T6_T7_T9_mT8_S1H_bDpT10_ENKUlT_T0_E_clISt17integral_constantIbLb0EES1U_IbLb1EEEEDaS1Q_S1R_EUlS1Q_E_NS1_11comp_targetILNS1_3genE0ELNS1_11target_archE4294967295ELNS1_3gpuE0ELNS1_3repE0EEENS1_30default_config_static_selectorELNS0_4arch9wavefront6targetE1EEEvS13_ ; -- Begin function _ZN7rocprim17ROCPRIM_400000_NS6detail17trampoline_kernelINS0_13select_configILj256ELj13ELNS0_17block_load_methodE3ELS4_3ELS4_3ELNS0_20block_scan_algorithmE0ELj4294967295EEENS1_25partition_config_selectorILNS1_17partition_subalgoE4EjNS0_10empty_typeEbEEZZNS1_14partition_implILS8_4ELb0ES6_15HIP_vector_typeIjLj2EENS0_17counting_iteratorIjlEEPS9_SG_NS0_5tupleIJPjSI_NS0_16reverse_iteratorISI_EEEEENSH_IJSG_SG_SG_EEES9_SI_JZNS1_25segmented_radix_sort_implINS0_14default_configELb1EPK6__halfPSP_PKlPlN2at6native12_GLOBAL__N_18offset_tEEE10hipError_tPvRmT1_PNSt15iterator_traitsIS13_E10value_typeET2_T3_PNS14_IS19_E10value_typeET4_jRbjT5_S1F_jjP12ihipStream_tbEUljE_ZNSN_ISO_Lb1ESR_SS_SU_SV_SZ_EES10_S11_S12_S13_S17_S18_S19_S1C_S1D_jS1E_jS1F_S1F_jjS1H_bEUljE0_EEES10_S11_S12_S19_S1D_S1F_T6_T7_T9_mT8_S1H_bDpT10_ENKUlT_T0_E_clISt17integral_constantIbLb0EES1U_IbLb1EEEEDaS1Q_S1R_EUlS1Q_E_NS1_11comp_targetILNS1_3genE0ELNS1_11target_archE4294967295ELNS1_3gpuE0ELNS1_3repE0EEENS1_30default_config_static_selectorELNS0_4arch9wavefront6targetE1EEEvS13_
	.p2align	8
	.type	_ZN7rocprim17ROCPRIM_400000_NS6detail17trampoline_kernelINS0_13select_configILj256ELj13ELNS0_17block_load_methodE3ELS4_3ELS4_3ELNS0_20block_scan_algorithmE0ELj4294967295EEENS1_25partition_config_selectorILNS1_17partition_subalgoE4EjNS0_10empty_typeEbEEZZNS1_14partition_implILS8_4ELb0ES6_15HIP_vector_typeIjLj2EENS0_17counting_iteratorIjlEEPS9_SG_NS0_5tupleIJPjSI_NS0_16reverse_iteratorISI_EEEEENSH_IJSG_SG_SG_EEES9_SI_JZNS1_25segmented_radix_sort_implINS0_14default_configELb1EPK6__halfPSP_PKlPlN2at6native12_GLOBAL__N_18offset_tEEE10hipError_tPvRmT1_PNSt15iterator_traitsIS13_E10value_typeET2_T3_PNS14_IS19_E10value_typeET4_jRbjT5_S1F_jjP12ihipStream_tbEUljE_ZNSN_ISO_Lb1ESR_SS_SU_SV_SZ_EES10_S11_S12_S13_S17_S18_S19_S1C_S1D_jS1E_jS1F_S1F_jjS1H_bEUljE0_EEES10_S11_S12_S19_S1D_S1F_T6_T7_T9_mT8_S1H_bDpT10_ENKUlT_T0_E_clISt17integral_constantIbLb0EES1U_IbLb1EEEEDaS1Q_S1R_EUlS1Q_E_NS1_11comp_targetILNS1_3genE0ELNS1_11target_archE4294967295ELNS1_3gpuE0ELNS1_3repE0EEENS1_30default_config_static_selectorELNS0_4arch9wavefront6targetE1EEEvS13_,@function
_ZN7rocprim17ROCPRIM_400000_NS6detail17trampoline_kernelINS0_13select_configILj256ELj13ELNS0_17block_load_methodE3ELS4_3ELS4_3ELNS0_20block_scan_algorithmE0ELj4294967295EEENS1_25partition_config_selectorILNS1_17partition_subalgoE4EjNS0_10empty_typeEbEEZZNS1_14partition_implILS8_4ELb0ES6_15HIP_vector_typeIjLj2EENS0_17counting_iteratorIjlEEPS9_SG_NS0_5tupleIJPjSI_NS0_16reverse_iteratorISI_EEEEENSH_IJSG_SG_SG_EEES9_SI_JZNS1_25segmented_radix_sort_implINS0_14default_configELb1EPK6__halfPSP_PKlPlN2at6native12_GLOBAL__N_18offset_tEEE10hipError_tPvRmT1_PNSt15iterator_traitsIS13_E10value_typeET2_T3_PNS14_IS19_E10value_typeET4_jRbjT5_S1F_jjP12ihipStream_tbEUljE_ZNSN_ISO_Lb1ESR_SS_SU_SV_SZ_EES10_S11_S12_S13_S17_S18_S19_S1C_S1D_jS1E_jS1F_S1F_jjS1H_bEUljE0_EEES10_S11_S12_S19_S1D_S1F_T6_T7_T9_mT8_S1H_bDpT10_ENKUlT_T0_E_clISt17integral_constantIbLb0EES1U_IbLb1EEEEDaS1Q_S1R_EUlS1Q_E_NS1_11comp_targetILNS1_3genE0ELNS1_11target_archE4294967295ELNS1_3gpuE0ELNS1_3repE0EEENS1_30default_config_static_selectorELNS0_4arch9wavefront6targetE1EEEvS13_: ; @_ZN7rocprim17ROCPRIM_400000_NS6detail17trampoline_kernelINS0_13select_configILj256ELj13ELNS0_17block_load_methodE3ELS4_3ELS4_3ELNS0_20block_scan_algorithmE0ELj4294967295EEENS1_25partition_config_selectorILNS1_17partition_subalgoE4EjNS0_10empty_typeEbEEZZNS1_14partition_implILS8_4ELb0ES6_15HIP_vector_typeIjLj2EENS0_17counting_iteratorIjlEEPS9_SG_NS0_5tupleIJPjSI_NS0_16reverse_iteratorISI_EEEEENSH_IJSG_SG_SG_EEES9_SI_JZNS1_25segmented_radix_sort_implINS0_14default_configELb1EPK6__halfPSP_PKlPlN2at6native12_GLOBAL__N_18offset_tEEE10hipError_tPvRmT1_PNSt15iterator_traitsIS13_E10value_typeET2_T3_PNS14_IS19_E10value_typeET4_jRbjT5_S1F_jjP12ihipStream_tbEUljE_ZNSN_ISO_Lb1ESR_SS_SU_SV_SZ_EES10_S11_S12_S13_S17_S18_S19_S1C_S1D_jS1E_jS1F_S1F_jjS1H_bEUljE0_EEES10_S11_S12_S19_S1D_S1F_T6_T7_T9_mT8_S1H_bDpT10_ENKUlT_T0_E_clISt17integral_constantIbLb0EES1U_IbLb1EEEEDaS1Q_S1R_EUlS1Q_E_NS1_11comp_targetILNS1_3genE0ELNS1_11target_archE4294967295ELNS1_3gpuE0ELNS1_3repE0EEENS1_30default_config_static_selectorELNS0_4arch9wavefront6targetE1EEEvS13_
; %bb.0:
	.section	.rodata,"a",@progbits
	.p2align	6, 0x0
	.amdhsa_kernel _ZN7rocprim17ROCPRIM_400000_NS6detail17trampoline_kernelINS0_13select_configILj256ELj13ELNS0_17block_load_methodE3ELS4_3ELS4_3ELNS0_20block_scan_algorithmE0ELj4294967295EEENS1_25partition_config_selectorILNS1_17partition_subalgoE4EjNS0_10empty_typeEbEEZZNS1_14partition_implILS8_4ELb0ES6_15HIP_vector_typeIjLj2EENS0_17counting_iteratorIjlEEPS9_SG_NS0_5tupleIJPjSI_NS0_16reverse_iteratorISI_EEEEENSH_IJSG_SG_SG_EEES9_SI_JZNS1_25segmented_radix_sort_implINS0_14default_configELb1EPK6__halfPSP_PKlPlN2at6native12_GLOBAL__N_18offset_tEEE10hipError_tPvRmT1_PNSt15iterator_traitsIS13_E10value_typeET2_T3_PNS14_IS19_E10value_typeET4_jRbjT5_S1F_jjP12ihipStream_tbEUljE_ZNSN_ISO_Lb1ESR_SS_SU_SV_SZ_EES10_S11_S12_S13_S17_S18_S19_S1C_S1D_jS1E_jS1F_S1F_jjS1H_bEUljE0_EEES10_S11_S12_S19_S1D_S1F_T6_T7_T9_mT8_S1H_bDpT10_ENKUlT_T0_E_clISt17integral_constantIbLb0EES1U_IbLb1EEEEDaS1Q_S1R_EUlS1Q_E_NS1_11comp_targetILNS1_3genE0ELNS1_11target_archE4294967295ELNS1_3gpuE0ELNS1_3repE0EEENS1_30default_config_static_selectorELNS0_4arch9wavefront6targetE1EEEvS13_
		.amdhsa_group_segment_fixed_size 0
		.amdhsa_private_segment_fixed_size 0
		.amdhsa_kernarg_size 184
		.amdhsa_user_sgpr_count 6
		.amdhsa_user_sgpr_private_segment_buffer 1
		.amdhsa_user_sgpr_dispatch_ptr 0
		.amdhsa_user_sgpr_queue_ptr 0
		.amdhsa_user_sgpr_kernarg_segment_ptr 1
		.amdhsa_user_sgpr_dispatch_id 0
		.amdhsa_user_sgpr_flat_scratch_init 0
		.amdhsa_user_sgpr_private_segment_size 0
		.amdhsa_uses_dynamic_stack 0
		.amdhsa_system_sgpr_private_segment_wavefront_offset 0
		.amdhsa_system_sgpr_workgroup_id_x 1
		.amdhsa_system_sgpr_workgroup_id_y 0
		.amdhsa_system_sgpr_workgroup_id_z 0
		.amdhsa_system_sgpr_workgroup_info 0
		.amdhsa_system_vgpr_workitem_id 0
		.amdhsa_next_free_vgpr 1
		.amdhsa_next_free_sgpr 0
		.amdhsa_reserve_vcc 0
		.amdhsa_reserve_flat_scratch 0
		.amdhsa_float_round_mode_32 0
		.amdhsa_float_round_mode_16_64 0
		.amdhsa_float_denorm_mode_32 3
		.amdhsa_float_denorm_mode_16_64 3
		.amdhsa_dx10_clamp 1
		.amdhsa_ieee_mode 1
		.amdhsa_fp16_overflow 0
		.amdhsa_exception_fp_ieee_invalid_op 0
		.amdhsa_exception_fp_denorm_src 0
		.amdhsa_exception_fp_ieee_div_zero 0
		.amdhsa_exception_fp_ieee_overflow 0
		.amdhsa_exception_fp_ieee_underflow 0
		.amdhsa_exception_fp_ieee_inexact 0
		.amdhsa_exception_int_div_zero 0
	.end_amdhsa_kernel
	.section	.text._ZN7rocprim17ROCPRIM_400000_NS6detail17trampoline_kernelINS0_13select_configILj256ELj13ELNS0_17block_load_methodE3ELS4_3ELS4_3ELNS0_20block_scan_algorithmE0ELj4294967295EEENS1_25partition_config_selectorILNS1_17partition_subalgoE4EjNS0_10empty_typeEbEEZZNS1_14partition_implILS8_4ELb0ES6_15HIP_vector_typeIjLj2EENS0_17counting_iteratorIjlEEPS9_SG_NS0_5tupleIJPjSI_NS0_16reverse_iteratorISI_EEEEENSH_IJSG_SG_SG_EEES9_SI_JZNS1_25segmented_radix_sort_implINS0_14default_configELb1EPK6__halfPSP_PKlPlN2at6native12_GLOBAL__N_18offset_tEEE10hipError_tPvRmT1_PNSt15iterator_traitsIS13_E10value_typeET2_T3_PNS14_IS19_E10value_typeET4_jRbjT5_S1F_jjP12ihipStream_tbEUljE_ZNSN_ISO_Lb1ESR_SS_SU_SV_SZ_EES10_S11_S12_S13_S17_S18_S19_S1C_S1D_jS1E_jS1F_S1F_jjS1H_bEUljE0_EEES10_S11_S12_S19_S1D_S1F_T6_T7_T9_mT8_S1H_bDpT10_ENKUlT_T0_E_clISt17integral_constantIbLb0EES1U_IbLb1EEEEDaS1Q_S1R_EUlS1Q_E_NS1_11comp_targetILNS1_3genE0ELNS1_11target_archE4294967295ELNS1_3gpuE0ELNS1_3repE0EEENS1_30default_config_static_selectorELNS0_4arch9wavefront6targetE1EEEvS13_,"axG",@progbits,_ZN7rocprim17ROCPRIM_400000_NS6detail17trampoline_kernelINS0_13select_configILj256ELj13ELNS0_17block_load_methodE3ELS4_3ELS4_3ELNS0_20block_scan_algorithmE0ELj4294967295EEENS1_25partition_config_selectorILNS1_17partition_subalgoE4EjNS0_10empty_typeEbEEZZNS1_14partition_implILS8_4ELb0ES6_15HIP_vector_typeIjLj2EENS0_17counting_iteratorIjlEEPS9_SG_NS0_5tupleIJPjSI_NS0_16reverse_iteratorISI_EEEEENSH_IJSG_SG_SG_EEES9_SI_JZNS1_25segmented_radix_sort_implINS0_14default_configELb1EPK6__halfPSP_PKlPlN2at6native12_GLOBAL__N_18offset_tEEE10hipError_tPvRmT1_PNSt15iterator_traitsIS13_E10value_typeET2_T3_PNS14_IS19_E10value_typeET4_jRbjT5_S1F_jjP12ihipStream_tbEUljE_ZNSN_ISO_Lb1ESR_SS_SU_SV_SZ_EES10_S11_S12_S13_S17_S18_S19_S1C_S1D_jS1E_jS1F_S1F_jjS1H_bEUljE0_EEES10_S11_S12_S19_S1D_S1F_T6_T7_T9_mT8_S1H_bDpT10_ENKUlT_T0_E_clISt17integral_constantIbLb0EES1U_IbLb1EEEEDaS1Q_S1R_EUlS1Q_E_NS1_11comp_targetILNS1_3genE0ELNS1_11target_archE4294967295ELNS1_3gpuE0ELNS1_3repE0EEENS1_30default_config_static_selectorELNS0_4arch9wavefront6targetE1EEEvS13_,comdat
.Lfunc_end1699:
	.size	_ZN7rocprim17ROCPRIM_400000_NS6detail17trampoline_kernelINS0_13select_configILj256ELj13ELNS0_17block_load_methodE3ELS4_3ELS4_3ELNS0_20block_scan_algorithmE0ELj4294967295EEENS1_25partition_config_selectorILNS1_17partition_subalgoE4EjNS0_10empty_typeEbEEZZNS1_14partition_implILS8_4ELb0ES6_15HIP_vector_typeIjLj2EENS0_17counting_iteratorIjlEEPS9_SG_NS0_5tupleIJPjSI_NS0_16reverse_iteratorISI_EEEEENSH_IJSG_SG_SG_EEES9_SI_JZNS1_25segmented_radix_sort_implINS0_14default_configELb1EPK6__halfPSP_PKlPlN2at6native12_GLOBAL__N_18offset_tEEE10hipError_tPvRmT1_PNSt15iterator_traitsIS13_E10value_typeET2_T3_PNS14_IS19_E10value_typeET4_jRbjT5_S1F_jjP12ihipStream_tbEUljE_ZNSN_ISO_Lb1ESR_SS_SU_SV_SZ_EES10_S11_S12_S13_S17_S18_S19_S1C_S1D_jS1E_jS1F_S1F_jjS1H_bEUljE0_EEES10_S11_S12_S19_S1D_S1F_T6_T7_T9_mT8_S1H_bDpT10_ENKUlT_T0_E_clISt17integral_constantIbLb0EES1U_IbLb1EEEEDaS1Q_S1R_EUlS1Q_E_NS1_11comp_targetILNS1_3genE0ELNS1_11target_archE4294967295ELNS1_3gpuE0ELNS1_3repE0EEENS1_30default_config_static_selectorELNS0_4arch9wavefront6targetE1EEEvS13_, .Lfunc_end1699-_ZN7rocprim17ROCPRIM_400000_NS6detail17trampoline_kernelINS0_13select_configILj256ELj13ELNS0_17block_load_methodE3ELS4_3ELS4_3ELNS0_20block_scan_algorithmE0ELj4294967295EEENS1_25partition_config_selectorILNS1_17partition_subalgoE4EjNS0_10empty_typeEbEEZZNS1_14partition_implILS8_4ELb0ES6_15HIP_vector_typeIjLj2EENS0_17counting_iteratorIjlEEPS9_SG_NS0_5tupleIJPjSI_NS0_16reverse_iteratorISI_EEEEENSH_IJSG_SG_SG_EEES9_SI_JZNS1_25segmented_radix_sort_implINS0_14default_configELb1EPK6__halfPSP_PKlPlN2at6native12_GLOBAL__N_18offset_tEEE10hipError_tPvRmT1_PNSt15iterator_traitsIS13_E10value_typeET2_T3_PNS14_IS19_E10value_typeET4_jRbjT5_S1F_jjP12ihipStream_tbEUljE_ZNSN_ISO_Lb1ESR_SS_SU_SV_SZ_EES10_S11_S12_S13_S17_S18_S19_S1C_S1D_jS1E_jS1F_S1F_jjS1H_bEUljE0_EEES10_S11_S12_S19_S1D_S1F_T6_T7_T9_mT8_S1H_bDpT10_ENKUlT_T0_E_clISt17integral_constantIbLb0EES1U_IbLb1EEEEDaS1Q_S1R_EUlS1Q_E_NS1_11comp_targetILNS1_3genE0ELNS1_11target_archE4294967295ELNS1_3gpuE0ELNS1_3repE0EEENS1_30default_config_static_selectorELNS0_4arch9wavefront6targetE1EEEvS13_
                                        ; -- End function
	.set _ZN7rocprim17ROCPRIM_400000_NS6detail17trampoline_kernelINS0_13select_configILj256ELj13ELNS0_17block_load_methodE3ELS4_3ELS4_3ELNS0_20block_scan_algorithmE0ELj4294967295EEENS1_25partition_config_selectorILNS1_17partition_subalgoE4EjNS0_10empty_typeEbEEZZNS1_14partition_implILS8_4ELb0ES6_15HIP_vector_typeIjLj2EENS0_17counting_iteratorIjlEEPS9_SG_NS0_5tupleIJPjSI_NS0_16reverse_iteratorISI_EEEEENSH_IJSG_SG_SG_EEES9_SI_JZNS1_25segmented_radix_sort_implINS0_14default_configELb1EPK6__halfPSP_PKlPlN2at6native12_GLOBAL__N_18offset_tEEE10hipError_tPvRmT1_PNSt15iterator_traitsIS13_E10value_typeET2_T3_PNS14_IS19_E10value_typeET4_jRbjT5_S1F_jjP12ihipStream_tbEUljE_ZNSN_ISO_Lb1ESR_SS_SU_SV_SZ_EES10_S11_S12_S13_S17_S18_S19_S1C_S1D_jS1E_jS1F_S1F_jjS1H_bEUljE0_EEES10_S11_S12_S19_S1D_S1F_T6_T7_T9_mT8_S1H_bDpT10_ENKUlT_T0_E_clISt17integral_constantIbLb0EES1U_IbLb1EEEEDaS1Q_S1R_EUlS1Q_E_NS1_11comp_targetILNS1_3genE0ELNS1_11target_archE4294967295ELNS1_3gpuE0ELNS1_3repE0EEENS1_30default_config_static_selectorELNS0_4arch9wavefront6targetE1EEEvS13_.num_vgpr, 0
	.set _ZN7rocprim17ROCPRIM_400000_NS6detail17trampoline_kernelINS0_13select_configILj256ELj13ELNS0_17block_load_methodE3ELS4_3ELS4_3ELNS0_20block_scan_algorithmE0ELj4294967295EEENS1_25partition_config_selectorILNS1_17partition_subalgoE4EjNS0_10empty_typeEbEEZZNS1_14partition_implILS8_4ELb0ES6_15HIP_vector_typeIjLj2EENS0_17counting_iteratorIjlEEPS9_SG_NS0_5tupleIJPjSI_NS0_16reverse_iteratorISI_EEEEENSH_IJSG_SG_SG_EEES9_SI_JZNS1_25segmented_radix_sort_implINS0_14default_configELb1EPK6__halfPSP_PKlPlN2at6native12_GLOBAL__N_18offset_tEEE10hipError_tPvRmT1_PNSt15iterator_traitsIS13_E10value_typeET2_T3_PNS14_IS19_E10value_typeET4_jRbjT5_S1F_jjP12ihipStream_tbEUljE_ZNSN_ISO_Lb1ESR_SS_SU_SV_SZ_EES10_S11_S12_S13_S17_S18_S19_S1C_S1D_jS1E_jS1F_S1F_jjS1H_bEUljE0_EEES10_S11_S12_S19_S1D_S1F_T6_T7_T9_mT8_S1H_bDpT10_ENKUlT_T0_E_clISt17integral_constantIbLb0EES1U_IbLb1EEEEDaS1Q_S1R_EUlS1Q_E_NS1_11comp_targetILNS1_3genE0ELNS1_11target_archE4294967295ELNS1_3gpuE0ELNS1_3repE0EEENS1_30default_config_static_selectorELNS0_4arch9wavefront6targetE1EEEvS13_.num_agpr, 0
	.set _ZN7rocprim17ROCPRIM_400000_NS6detail17trampoline_kernelINS0_13select_configILj256ELj13ELNS0_17block_load_methodE3ELS4_3ELS4_3ELNS0_20block_scan_algorithmE0ELj4294967295EEENS1_25partition_config_selectorILNS1_17partition_subalgoE4EjNS0_10empty_typeEbEEZZNS1_14partition_implILS8_4ELb0ES6_15HIP_vector_typeIjLj2EENS0_17counting_iteratorIjlEEPS9_SG_NS0_5tupleIJPjSI_NS0_16reverse_iteratorISI_EEEEENSH_IJSG_SG_SG_EEES9_SI_JZNS1_25segmented_radix_sort_implINS0_14default_configELb1EPK6__halfPSP_PKlPlN2at6native12_GLOBAL__N_18offset_tEEE10hipError_tPvRmT1_PNSt15iterator_traitsIS13_E10value_typeET2_T3_PNS14_IS19_E10value_typeET4_jRbjT5_S1F_jjP12ihipStream_tbEUljE_ZNSN_ISO_Lb1ESR_SS_SU_SV_SZ_EES10_S11_S12_S13_S17_S18_S19_S1C_S1D_jS1E_jS1F_S1F_jjS1H_bEUljE0_EEES10_S11_S12_S19_S1D_S1F_T6_T7_T9_mT8_S1H_bDpT10_ENKUlT_T0_E_clISt17integral_constantIbLb0EES1U_IbLb1EEEEDaS1Q_S1R_EUlS1Q_E_NS1_11comp_targetILNS1_3genE0ELNS1_11target_archE4294967295ELNS1_3gpuE0ELNS1_3repE0EEENS1_30default_config_static_selectorELNS0_4arch9wavefront6targetE1EEEvS13_.numbered_sgpr, 0
	.set _ZN7rocprim17ROCPRIM_400000_NS6detail17trampoline_kernelINS0_13select_configILj256ELj13ELNS0_17block_load_methodE3ELS4_3ELS4_3ELNS0_20block_scan_algorithmE0ELj4294967295EEENS1_25partition_config_selectorILNS1_17partition_subalgoE4EjNS0_10empty_typeEbEEZZNS1_14partition_implILS8_4ELb0ES6_15HIP_vector_typeIjLj2EENS0_17counting_iteratorIjlEEPS9_SG_NS0_5tupleIJPjSI_NS0_16reverse_iteratorISI_EEEEENSH_IJSG_SG_SG_EEES9_SI_JZNS1_25segmented_radix_sort_implINS0_14default_configELb1EPK6__halfPSP_PKlPlN2at6native12_GLOBAL__N_18offset_tEEE10hipError_tPvRmT1_PNSt15iterator_traitsIS13_E10value_typeET2_T3_PNS14_IS19_E10value_typeET4_jRbjT5_S1F_jjP12ihipStream_tbEUljE_ZNSN_ISO_Lb1ESR_SS_SU_SV_SZ_EES10_S11_S12_S13_S17_S18_S19_S1C_S1D_jS1E_jS1F_S1F_jjS1H_bEUljE0_EEES10_S11_S12_S19_S1D_S1F_T6_T7_T9_mT8_S1H_bDpT10_ENKUlT_T0_E_clISt17integral_constantIbLb0EES1U_IbLb1EEEEDaS1Q_S1R_EUlS1Q_E_NS1_11comp_targetILNS1_3genE0ELNS1_11target_archE4294967295ELNS1_3gpuE0ELNS1_3repE0EEENS1_30default_config_static_selectorELNS0_4arch9wavefront6targetE1EEEvS13_.num_named_barrier, 0
	.set _ZN7rocprim17ROCPRIM_400000_NS6detail17trampoline_kernelINS0_13select_configILj256ELj13ELNS0_17block_load_methodE3ELS4_3ELS4_3ELNS0_20block_scan_algorithmE0ELj4294967295EEENS1_25partition_config_selectorILNS1_17partition_subalgoE4EjNS0_10empty_typeEbEEZZNS1_14partition_implILS8_4ELb0ES6_15HIP_vector_typeIjLj2EENS0_17counting_iteratorIjlEEPS9_SG_NS0_5tupleIJPjSI_NS0_16reverse_iteratorISI_EEEEENSH_IJSG_SG_SG_EEES9_SI_JZNS1_25segmented_radix_sort_implINS0_14default_configELb1EPK6__halfPSP_PKlPlN2at6native12_GLOBAL__N_18offset_tEEE10hipError_tPvRmT1_PNSt15iterator_traitsIS13_E10value_typeET2_T3_PNS14_IS19_E10value_typeET4_jRbjT5_S1F_jjP12ihipStream_tbEUljE_ZNSN_ISO_Lb1ESR_SS_SU_SV_SZ_EES10_S11_S12_S13_S17_S18_S19_S1C_S1D_jS1E_jS1F_S1F_jjS1H_bEUljE0_EEES10_S11_S12_S19_S1D_S1F_T6_T7_T9_mT8_S1H_bDpT10_ENKUlT_T0_E_clISt17integral_constantIbLb0EES1U_IbLb1EEEEDaS1Q_S1R_EUlS1Q_E_NS1_11comp_targetILNS1_3genE0ELNS1_11target_archE4294967295ELNS1_3gpuE0ELNS1_3repE0EEENS1_30default_config_static_selectorELNS0_4arch9wavefront6targetE1EEEvS13_.private_seg_size, 0
	.set _ZN7rocprim17ROCPRIM_400000_NS6detail17trampoline_kernelINS0_13select_configILj256ELj13ELNS0_17block_load_methodE3ELS4_3ELS4_3ELNS0_20block_scan_algorithmE0ELj4294967295EEENS1_25partition_config_selectorILNS1_17partition_subalgoE4EjNS0_10empty_typeEbEEZZNS1_14partition_implILS8_4ELb0ES6_15HIP_vector_typeIjLj2EENS0_17counting_iteratorIjlEEPS9_SG_NS0_5tupleIJPjSI_NS0_16reverse_iteratorISI_EEEEENSH_IJSG_SG_SG_EEES9_SI_JZNS1_25segmented_radix_sort_implINS0_14default_configELb1EPK6__halfPSP_PKlPlN2at6native12_GLOBAL__N_18offset_tEEE10hipError_tPvRmT1_PNSt15iterator_traitsIS13_E10value_typeET2_T3_PNS14_IS19_E10value_typeET4_jRbjT5_S1F_jjP12ihipStream_tbEUljE_ZNSN_ISO_Lb1ESR_SS_SU_SV_SZ_EES10_S11_S12_S13_S17_S18_S19_S1C_S1D_jS1E_jS1F_S1F_jjS1H_bEUljE0_EEES10_S11_S12_S19_S1D_S1F_T6_T7_T9_mT8_S1H_bDpT10_ENKUlT_T0_E_clISt17integral_constantIbLb0EES1U_IbLb1EEEEDaS1Q_S1R_EUlS1Q_E_NS1_11comp_targetILNS1_3genE0ELNS1_11target_archE4294967295ELNS1_3gpuE0ELNS1_3repE0EEENS1_30default_config_static_selectorELNS0_4arch9wavefront6targetE1EEEvS13_.uses_vcc, 0
	.set _ZN7rocprim17ROCPRIM_400000_NS6detail17trampoline_kernelINS0_13select_configILj256ELj13ELNS0_17block_load_methodE3ELS4_3ELS4_3ELNS0_20block_scan_algorithmE0ELj4294967295EEENS1_25partition_config_selectorILNS1_17partition_subalgoE4EjNS0_10empty_typeEbEEZZNS1_14partition_implILS8_4ELb0ES6_15HIP_vector_typeIjLj2EENS0_17counting_iteratorIjlEEPS9_SG_NS0_5tupleIJPjSI_NS0_16reverse_iteratorISI_EEEEENSH_IJSG_SG_SG_EEES9_SI_JZNS1_25segmented_radix_sort_implINS0_14default_configELb1EPK6__halfPSP_PKlPlN2at6native12_GLOBAL__N_18offset_tEEE10hipError_tPvRmT1_PNSt15iterator_traitsIS13_E10value_typeET2_T3_PNS14_IS19_E10value_typeET4_jRbjT5_S1F_jjP12ihipStream_tbEUljE_ZNSN_ISO_Lb1ESR_SS_SU_SV_SZ_EES10_S11_S12_S13_S17_S18_S19_S1C_S1D_jS1E_jS1F_S1F_jjS1H_bEUljE0_EEES10_S11_S12_S19_S1D_S1F_T6_T7_T9_mT8_S1H_bDpT10_ENKUlT_T0_E_clISt17integral_constantIbLb0EES1U_IbLb1EEEEDaS1Q_S1R_EUlS1Q_E_NS1_11comp_targetILNS1_3genE0ELNS1_11target_archE4294967295ELNS1_3gpuE0ELNS1_3repE0EEENS1_30default_config_static_selectorELNS0_4arch9wavefront6targetE1EEEvS13_.uses_flat_scratch, 0
	.set _ZN7rocprim17ROCPRIM_400000_NS6detail17trampoline_kernelINS0_13select_configILj256ELj13ELNS0_17block_load_methodE3ELS4_3ELS4_3ELNS0_20block_scan_algorithmE0ELj4294967295EEENS1_25partition_config_selectorILNS1_17partition_subalgoE4EjNS0_10empty_typeEbEEZZNS1_14partition_implILS8_4ELb0ES6_15HIP_vector_typeIjLj2EENS0_17counting_iteratorIjlEEPS9_SG_NS0_5tupleIJPjSI_NS0_16reverse_iteratorISI_EEEEENSH_IJSG_SG_SG_EEES9_SI_JZNS1_25segmented_radix_sort_implINS0_14default_configELb1EPK6__halfPSP_PKlPlN2at6native12_GLOBAL__N_18offset_tEEE10hipError_tPvRmT1_PNSt15iterator_traitsIS13_E10value_typeET2_T3_PNS14_IS19_E10value_typeET4_jRbjT5_S1F_jjP12ihipStream_tbEUljE_ZNSN_ISO_Lb1ESR_SS_SU_SV_SZ_EES10_S11_S12_S13_S17_S18_S19_S1C_S1D_jS1E_jS1F_S1F_jjS1H_bEUljE0_EEES10_S11_S12_S19_S1D_S1F_T6_T7_T9_mT8_S1H_bDpT10_ENKUlT_T0_E_clISt17integral_constantIbLb0EES1U_IbLb1EEEEDaS1Q_S1R_EUlS1Q_E_NS1_11comp_targetILNS1_3genE0ELNS1_11target_archE4294967295ELNS1_3gpuE0ELNS1_3repE0EEENS1_30default_config_static_selectorELNS0_4arch9wavefront6targetE1EEEvS13_.has_dyn_sized_stack, 0
	.set _ZN7rocprim17ROCPRIM_400000_NS6detail17trampoline_kernelINS0_13select_configILj256ELj13ELNS0_17block_load_methodE3ELS4_3ELS4_3ELNS0_20block_scan_algorithmE0ELj4294967295EEENS1_25partition_config_selectorILNS1_17partition_subalgoE4EjNS0_10empty_typeEbEEZZNS1_14partition_implILS8_4ELb0ES6_15HIP_vector_typeIjLj2EENS0_17counting_iteratorIjlEEPS9_SG_NS0_5tupleIJPjSI_NS0_16reverse_iteratorISI_EEEEENSH_IJSG_SG_SG_EEES9_SI_JZNS1_25segmented_radix_sort_implINS0_14default_configELb1EPK6__halfPSP_PKlPlN2at6native12_GLOBAL__N_18offset_tEEE10hipError_tPvRmT1_PNSt15iterator_traitsIS13_E10value_typeET2_T3_PNS14_IS19_E10value_typeET4_jRbjT5_S1F_jjP12ihipStream_tbEUljE_ZNSN_ISO_Lb1ESR_SS_SU_SV_SZ_EES10_S11_S12_S13_S17_S18_S19_S1C_S1D_jS1E_jS1F_S1F_jjS1H_bEUljE0_EEES10_S11_S12_S19_S1D_S1F_T6_T7_T9_mT8_S1H_bDpT10_ENKUlT_T0_E_clISt17integral_constantIbLb0EES1U_IbLb1EEEEDaS1Q_S1R_EUlS1Q_E_NS1_11comp_targetILNS1_3genE0ELNS1_11target_archE4294967295ELNS1_3gpuE0ELNS1_3repE0EEENS1_30default_config_static_selectorELNS0_4arch9wavefront6targetE1EEEvS13_.has_recursion, 0
	.set _ZN7rocprim17ROCPRIM_400000_NS6detail17trampoline_kernelINS0_13select_configILj256ELj13ELNS0_17block_load_methodE3ELS4_3ELS4_3ELNS0_20block_scan_algorithmE0ELj4294967295EEENS1_25partition_config_selectorILNS1_17partition_subalgoE4EjNS0_10empty_typeEbEEZZNS1_14partition_implILS8_4ELb0ES6_15HIP_vector_typeIjLj2EENS0_17counting_iteratorIjlEEPS9_SG_NS0_5tupleIJPjSI_NS0_16reverse_iteratorISI_EEEEENSH_IJSG_SG_SG_EEES9_SI_JZNS1_25segmented_radix_sort_implINS0_14default_configELb1EPK6__halfPSP_PKlPlN2at6native12_GLOBAL__N_18offset_tEEE10hipError_tPvRmT1_PNSt15iterator_traitsIS13_E10value_typeET2_T3_PNS14_IS19_E10value_typeET4_jRbjT5_S1F_jjP12ihipStream_tbEUljE_ZNSN_ISO_Lb1ESR_SS_SU_SV_SZ_EES10_S11_S12_S13_S17_S18_S19_S1C_S1D_jS1E_jS1F_S1F_jjS1H_bEUljE0_EEES10_S11_S12_S19_S1D_S1F_T6_T7_T9_mT8_S1H_bDpT10_ENKUlT_T0_E_clISt17integral_constantIbLb0EES1U_IbLb1EEEEDaS1Q_S1R_EUlS1Q_E_NS1_11comp_targetILNS1_3genE0ELNS1_11target_archE4294967295ELNS1_3gpuE0ELNS1_3repE0EEENS1_30default_config_static_selectorELNS0_4arch9wavefront6targetE1EEEvS13_.has_indirect_call, 0
	.section	.AMDGPU.csdata,"",@progbits
; Kernel info:
; codeLenInByte = 0
; TotalNumSgprs: 4
; NumVgprs: 0
; ScratchSize: 0
; MemoryBound: 0
; FloatMode: 240
; IeeeMode: 1
; LDSByteSize: 0 bytes/workgroup (compile time only)
; SGPRBlocks: 0
; VGPRBlocks: 0
; NumSGPRsForWavesPerEU: 4
; NumVGPRsForWavesPerEU: 1
; Occupancy: 10
; WaveLimiterHint : 0
; COMPUTE_PGM_RSRC2:SCRATCH_EN: 0
; COMPUTE_PGM_RSRC2:USER_SGPR: 6
; COMPUTE_PGM_RSRC2:TRAP_HANDLER: 0
; COMPUTE_PGM_RSRC2:TGID_X_EN: 1
; COMPUTE_PGM_RSRC2:TGID_Y_EN: 0
; COMPUTE_PGM_RSRC2:TGID_Z_EN: 0
; COMPUTE_PGM_RSRC2:TIDIG_COMP_CNT: 0
	.section	.text._ZN7rocprim17ROCPRIM_400000_NS6detail17trampoline_kernelINS0_13select_configILj256ELj13ELNS0_17block_load_methodE3ELS4_3ELS4_3ELNS0_20block_scan_algorithmE0ELj4294967295EEENS1_25partition_config_selectorILNS1_17partition_subalgoE4EjNS0_10empty_typeEbEEZZNS1_14partition_implILS8_4ELb0ES6_15HIP_vector_typeIjLj2EENS0_17counting_iteratorIjlEEPS9_SG_NS0_5tupleIJPjSI_NS0_16reverse_iteratorISI_EEEEENSH_IJSG_SG_SG_EEES9_SI_JZNS1_25segmented_radix_sort_implINS0_14default_configELb1EPK6__halfPSP_PKlPlN2at6native12_GLOBAL__N_18offset_tEEE10hipError_tPvRmT1_PNSt15iterator_traitsIS13_E10value_typeET2_T3_PNS14_IS19_E10value_typeET4_jRbjT5_S1F_jjP12ihipStream_tbEUljE_ZNSN_ISO_Lb1ESR_SS_SU_SV_SZ_EES10_S11_S12_S13_S17_S18_S19_S1C_S1D_jS1E_jS1F_S1F_jjS1H_bEUljE0_EEES10_S11_S12_S19_S1D_S1F_T6_T7_T9_mT8_S1H_bDpT10_ENKUlT_T0_E_clISt17integral_constantIbLb0EES1U_IbLb1EEEEDaS1Q_S1R_EUlS1Q_E_NS1_11comp_targetILNS1_3genE5ELNS1_11target_archE942ELNS1_3gpuE9ELNS1_3repE0EEENS1_30default_config_static_selectorELNS0_4arch9wavefront6targetE1EEEvS13_,"axG",@progbits,_ZN7rocprim17ROCPRIM_400000_NS6detail17trampoline_kernelINS0_13select_configILj256ELj13ELNS0_17block_load_methodE3ELS4_3ELS4_3ELNS0_20block_scan_algorithmE0ELj4294967295EEENS1_25partition_config_selectorILNS1_17partition_subalgoE4EjNS0_10empty_typeEbEEZZNS1_14partition_implILS8_4ELb0ES6_15HIP_vector_typeIjLj2EENS0_17counting_iteratorIjlEEPS9_SG_NS0_5tupleIJPjSI_NS0_16reverse_iteratorISI_EEEEENSH_IJSG_SG_SG_EEES9_SI_JZNS1_25segmented_radix_sort_implINS0_14default_configELb1EPK6__halfPSP_PKlPlN2at6native12_GLOBAL__N_18offset_tEEE10hipError_tPvRmT1_PNSt15iterator_traitsIS13_E10value_typeET2_T3_PNS14_IS19_E10value_typeET4_jRbjT5_S1F_jjP12ihipStream_tbEUljE_ZNSN_ISO_Lb1ESR_SS_SU_SV_SZ_EES10_S11_S12_S13_S17_S18_S19_S1C_S1D_jS1E_jS1F_S1F_jjS1H_bEUljE0_EEES10_S11_S12_S19_S1D_S1F_T6_T7_T9_mT8_S1H_bDpT10_ENKUlT_T0_E_clISt17integral_constantIbLb0EES1U_IbLb1EEEEDaS1Q_S1R_EUlS1Q_E_NS1_11comp_targetILNS1_3genE5ELNS1_11target_archE942ELNS1_3gpuE9ELNS1_3repE0EEENS1_30default_config_static_selectorELNS0_4arch9wavefront6targetE1EEEvS13_,comdat
	.globl	_ZN7rocprim17ROCPRIM_400000_NS6detail17trampoline_kernelINS0_13select_configILj256ELj13ELNS0_17block_load_methodE3ELS4_3ELS4_3ELNS0_20block_scan_algorithmE0ELj4294967295EEENS1_25partition_config_selectorILNS1_17partition_subalgoE4EjNS0_10empty_typeEbEEZZNS1_14partition_implILS8_4ELb0ES6_15HIP_vector_typeIjLj2EENS0_17counting_iteratorIjlEEPS9_SG_NS0_5tupleIJPjSI_NS0_16reverse_iteratorISI_EEEEENSH_IJSG_SG_SG_EEES9_SI_JZNS1_25segmented_radix_sort_implINS0_14default_configELb1EPK6__halfPSP_PKlPlN2at6native12_GLOBAL__N_18offset_tEEE10hipError_tPvRmT1_PNSt15iterator_traitsIS13_E10value_typeET2_T3_PNS14_IS19_E10value_typeET4_jRbjT5_S1F_jjP12ihipStream_tbEUljE_ZNSN_ISO_Lb1ESR_SS_SU_SV_SZ_EES10_S11_S12_S13_S17_S18_S19_S1C_S1D_jS1E_jS1F_S1F_jjS1H_bEUljE0_EEES10_S11_S12_S19_S1D_S1F_T6_T7_T9_mT8_S1H_bDpT10_ENKUlT_T0_E_clISt17integral_constantIbLb0EES1U_IbLb1EEEEDaS1Q_S1R_EUlS1Q_E_NS1_11comp_targetILNS1_3genE5ELNS1_11target_archE942ELNS1_3gpuE9ELNS1_3repE0EEENS1_30default_config_static_selectorELNS0_4arch9wavefront6targetE1EEEvS13_ ; -- Begin function _ZN7rocprim17ROCPRIM_400000_NS6detail17trampoline_kernelINS0_13select_configILj256ELj13ELNS0_17block_load_methodE3ELS4_3ELS4_3ELNS0_20block_scan_algorithmE0ELj4294967295EEENS1_25partition_config_selectorILNS1_17partition_subalgoE4EjNS0_10empty_typeEbEEZZNS1_14partition_implILS8_4ELb0ES6_15HIP_vector_typeIjLj2EENS0_17counting_iteratorIjlEEPS9_SG_NS0_5tupleIJPjSI_NS0_16reverse_iteratorISI_EEEEENSH_IJSG_SG_SG_EEES9_SI_JZNS1_25segmented_radix_sort_implINS0_14default_configELb1EPK6__halfPSP_PKlPlN2at6native12_GLOBAL__N_18offset_tEEE10hipError_tPvRmT1_PNSt15iterator_traitsIS13_E10value_typeET2_T3_PNS14_IS19_E10value_typeET4_jRbjT5_S1F_jjP12ihipStream_tbEUljE_ZNSN_ISO_Lb1ESR_SS_SU_SV_SZ_EES10_S11_S12_S13_S17_S18_S19_S1C_S1D_jS1E_jS1F_S1F_jjS1H_bEUljE0_EEES10_S11_S12_S19_S1D_S1F_T6_T7_T9_mT8_S1H_bDpT10_ENKUlT_T0_E_clISt17integral_constantIbLb0EES1U_IbLb1EEEEDaS1Q_S1R_EUlS1Q_E_NS1_11comp_targetILNS1_3genE5ELNS1_11target_archE942ELNS1_3gpuE9ELNS1_3repE0EEENS1_30default_config_static_selectorELNS0_4arch9wavefront6targetE1EEEvS13_
	.p2align	8
	.type	_ZN7rocprim17ROCPRIM_400000_NS6detail17trampoline_kernelINS0_13select_configILj256ELj13ELNS0_17block_load_methodE3ELS4_3ELS4_3ELNS0_20block_scan_algorithmE0ELj4294967295EEENS1_25partition_config_selectorILNS1_17partition_subalgoE4EjNS0_10empty_typeEbEEZZNS1_14partition_implILS8_4ELb0ES6_15HIP_vector_typeIjLj2EENS0_17counting_iteratorIjlEEPS9_SG_NS0_5tupleIJPjSI_NS0_16reverse_iteratorISI_EEEEENSH_IJSG_SG_SG_EEES9_SI_JZNS1_25segmented_radix_sort_implINS0_14default_configELb1EPK6__halfPSP_PKlPlN2at6native12_GLOBAL__N_18offset_tEEE10hipError_tPvRmT1_PNSt15iterator_traitsIS13_E10value_typeET2_T3_PNS14_IS19_E10value_typeET4_jRbjT5_S1F_jjP12ihipStream_tbEUljE_ZNSN_ISO_Lb1ESR_SS_SU_SV_SZ_EES10_S11_S12_S13_S17_S18_S19_S1C_S1D_jS1E_jS1F_S1F_jjS1H_bEUljE0_EEES10_S11_S12_S19_S1D_S1F_T6_T7_T9_mT8_S1H_bDpT10_ENKUlT_T0_E_clISt17integral_constantIbLb0EES1U_IbLb1EEEEDaS1Q_S1R_EUlS1Q_E_NS1_11comp_targetILNS1_3genE5ELNS1_11target_archE942ELNS1_3gpuE9ELNS1_3repE0EEENS1_30default_config_static_selectorELNS0_4arch9wavefront6targetE1EEEvS13_,@function
_ZN7rocprim17ROCPRIM_400000_NS6detail17trampoline_kernelINS0_13select_configILj256ELj13ELNS0_17block_load_methodE3ELS4_3ELS4_3ELNS0_20block_scan_algorithmE0ELj4294967295EEENS1_25partition_config_selectorILNS1_17partition_subalgoE4EjNS0_10empty_typeEbEEZZNS1_14partition_implILS8_4ELb0ES6_15HIP_vector_typeIjLj2EENS0_17counting_iteratorIjlEEPS9_SG_NS0_5tupleIJPjSI_NS0_16reverse_iteratorISI_EEEEENSH_IJSG_SG_SG_EEES9_SI_JZNS1_25segmented_radix_sort_implINS0_14default_configELb1EPK6__halfPSP_PKlPlN2at6native12_GLOBAL__N_18offset_tEEE10hipError_tPvRmT1_PNSt15iterator_traitsIS13_E10value_typeET2_T3_PNS14_IS19_E10value_typeET4_jRbjT5_S1F_jjP12ihipStream_tbEUljE_ZNSN_ISO_Lb1ESR_SS_SU_SV_SZ_EES10_S11_S12_S13_S17_S18_S19_S1C_S1D_jS1E_jS1F_S1F_jjS1H_bEUljE0_EEES10_S11_S12_S19_S1D_S1F_T6_T7_T9_mT8_S1H_bDpT10_ENKUlT_T0_E_clISt17integral_constantIbLb0EES1U_IbLb1EEEEDaS1Q_S1R_EUlS1Q_E_NS1_11comp_targetILNS1_3genE5ELNS1_11target_archE942ELNS1_3gpuE9ELNS1_3repE0EEENS1_30default_config_static_selectorELNS0_4arch9wavefront6targetE1EEEvS13_: ; @_ZN7rocprim17ROCPRIM_400000_NS6detail17trampoline_kernelINS0_13select_configILj256ELj13ELNS0_17block_load_methodE3ELS4_3ELS4_3ELNS0_20block_scan_algorithmE0ELj4294967295EEENS1_25partition_config_selectorILNS1_17partition_subalgoE4EjNS0_10empty_typeEbEEZZNS1_14partition_implILS8_4ELb0ES6_15HIP_vector_typeIjLj2EENS0_17counting_iteratorIjlEEPS9_SG_NS0_5tupleIJPjSI_NS0_16reverse_iteratorISI_EEEEENSH_IJSG_SG_SG_EEES9_SI_JZNS1_25segmented_radix_sort_implINS0_14default_configELb1EPK6__halfPSP_PKlPlN2at6native12_GLOBAL__N_18offset_tEEE10hipError_tPvRmT1_PNSt15iterator_traitsIS13_E10value_typeET2_T3_PNS14_IS19_E10value_typeET4_jRbjT5_S1F_jjP12ihipStream_tbEUljE_ZNSN_ISO_Lb1ESR_SS_SU_SV_SZ_EES10_S11_S12_S13_S17_S18_S19_S1C_S1D_jS1E_jS1F_S1F_jjS1H_bEUljE0_EEES10_S11_S12_S19_S1D_S1F_T6_T7_T9_mT8_S1H_bDpT10_ENKUlT_T0_E_clISt17integral_constantIbLb0EES1U_IbLb1EEEEDaS1Q_S1R_EUlS1Q_E_NS1_11comp_targetILNS1_3genE5ELNS1_11target_archE942ELNS1_3gpuE9ELNS1_3repE0EEENS1_30default_config_static_selectorELNS0_4arch9wavefront6targetE1EEEvS13_
; %bb.0:
	.section	.rodata,"a",@progbits
	.p2align	6, 0x0
	.amdhsa_kernel _ZN7rocprim17ROCPRIM_400000_NS6detail17trampoline_kernelINS0_13select_configILj256ELj13ELNS0_17block_load_methodE3ELS4_3ELS4_3ELNS0_20block_scan_algorithmE0ELj4294967295EEENS1_25partition_config_selectorILNS1_17partition_subalgoE4EjNS0_10empty_typeEbEEZZNS1_14partition_implILS8_4ELb0ES6_15HIP_vector_typeIjLj2EENS0_17counting_iteratorIjlEEPS9_SG_NS0_5tupleIJPjSI_NS0_16reverse_iteratorISI_EEEEENSH_IJSG_SG_SG_EEES9_SI_JZNS1_25segmented_radix_sort_implINS0_14default_configELb1EPK6__halfPSP_PKlPlN2at6native12_GLOBAL__N_18offset_tEEE10hipError_tPvRmT1_PNSt15iterator_traitsIS13_E10value_typeET2_T3_PNS14_IS19_E10value_typeET4_jRbjT5_S1F_jjP12ihipStream_tbEUljE_ZNSN_ISO_Lb1ESR_SS_SU_SV_SZ_EES10_S11_S12_S13_S17_S18_S19_S1C_S1D_jS1E_jS1F_S1F_jjS1H_bEUljE0_EEES10_S11_S12_S19_S1D_S1F_T6_T7_T9_mT8_S1H_bDpT10_ENKUlT_T0_E_clISt17integral_constantIbLb0EES1U_IbLb1EEEEDaS1Q_S1R_EUlS1Q_E_NS1_11comp_targetILNS1_3genE5ELNS1_11target_archE942ELNS1_3gpuE9ELNS1_3repE0EEENS1_30default_config_static_selectorELNS0_4arch9wavefront6targetE1EEEvS13_
		.amdhsa_group_segment_fixed_size 0
		.amdhsa_private_segment_fixed_size 0
		.amdhsa_kernarg_size 184
		.amdhsa_user_sgpr_count 6
		.amdhsa_user_sgpr_private_segment_buffer 1
		.amdhsa_user_sgpr_dispatch_ptr 0
		.amdhsa_user_sgpr_queue_ptr 0
		.amdhsa_user_sgpr_kernarg_segment_ptr 1
		.amdhsa_user_sgpr_dispatch_id 0
		.amdhsa_user_sgpr_flat_scratch_init 0
		.amdhsa_user_sgpr_private_segment_size 0
		.amdhsa_uses_dynamic_stack 0
		.amdhsa_system_sgpr_private_segment_wavefront_offset 0
		.amdhsa_system_sgpr_workgroup_id_x 1
		.amdhsa_system_sgpr_workgroup_id_y 0
		.amdhsa_system_sgpr_workgroup_id_z 0
		.amdhsa_system_sgpr_workgroup_info 0
		.amdhsa_system_vgpr_workitem_id 0
		.amdhsa_next_free_vgpr 1
		.amdhsa_next_free_sgpr 0
		.amdhsa_reserve_vcc 0
		.amdhsa_reserve_flat_scratch 0
		.amdhsa_float_round_mode_32 0
		.amdhsa_float_round_mode_16_64 0
		.amdhsa_float_denorm_mode_32 3
		.amdhsa_float_denorm_mode_16_64 3
		.amdhsa_dx10_clamp 1
		.amdhsa_ieee_mode 1
		.amdhsa_fp16_overflow 0
		.amdhsa_exception_fp_ieee_invalid_op 0
		.amdhsa_exception_fp_denorm_src 0
		.amdhsa_exception_fp_ieee_div_zero 0
		.amdhsa_exception_fp_ieee_overflow 0
		.amdhsa_exception_fp_ieee_underflow 0
		.amdhsa_exception_fp_ieee_inexact 0
		.amdhsa_exception_int_div_zero 0
	.end_amdhsa_kernel
	.section	.text._ZN7rocprim17ROCPRIM_400000_NS6detail17trampoline_kernelINS0_13select_configILj256ELj13ELNS0_17block_load_methodE3ELS4_3ELS4_3ELNS0_20block_scan_algorithmE0ELj4294967295EEENS1_25partition_config_selectorILNS1_17partition_subalgoE4EjNS0_10empty_typeEbEEZZNS1_14partition_implILS8_4ELb0ES6_15HIP_vector_typeIjLj2EENS0_17counting_iteratorIjlEEPS9_SG_NS0_5tupleIJPjSI_NS0_16reverse_iteratorISI_EEEEENSH_IJSG_SG_SG_EEES9_SI_JZNS1_25segmented_radix_sort_implINS0_14default_configELb1EPK6__halfPSP_PKlPlN2at6native12_GLOBAL__N_18offset_tEEE10hipError_tPvRmT1_PNSt15iterator_traitsIS13_E10value_typeET2_T3_PNS14_IS19_E10value_typeET4_jRbjT5_S1F_jjP12ihipStream_tbEUljE_ZNSN_ISO_Lb1ESR_SS_SU_SV_SZ_EES10_S11_S12_S13_S17_S18_S19_S1C_S1D_jS1E_jS1F_S1F_jjS1H_bEUljE0_EEES10_S11_S12_S19_S1D_S1F_T6_T7_T9_mT8_S1H_bDpT10_ENKUlT_T0_E_clISt17integral_constantIbLb0EES1U_IbLb1EEEEDaS1Q_S1R_EUlS1Q_E_NS1_11comp_targetILNS1_3genE5ELNS1_11target_archE942ELNS1_3gpuE9ELNS1_3repE0EEENS1_30default_config_static_selectorELNS0_4arch9wavefront6targetE1EEEvS13_,"axG",@progbits,_ZN7rocprim17ROCPRIM_400000_NS6detail17trampoline_kernelINS0_13select_configILj256ELj13ELNS0_17block_load_methodE3ELS4_3ELS4_3ELNS0_20block_scan_algorithmE0ELj4294967295EEENS1_25partition_config_selectorILNS1_17partition_subalgoE4EjNS0_10empty_typeEbEEZZNS1_14partition_implILS8_4ELb0ES6_15HIP_vector_typeIjLj2EENS0_17counting_iteratorIjlEEPS9_SG_NS0_5tupleIJPjSI_NS0_16reverse_iteratorISI_EEEEENSH_IJSG_SG_SG_EEES9_SI_JZNS1_25segmented_radix_sort_implINS0_14default_configELb1EPK6__halfPSP_PKlPlN2at6native12_GLOBAL__N_18offset_tEEE10hipError_tPvRmT1_PNSt15iterator_traitsIS13_E10value_typeET2_T3_PNS14_IS19_E10value_typeET4_jRbjT5_S1F_jjP12ihipStream_tbEUljE_ZNSN_ISO_Lb1ESR_SS_SU_SV_SZ_EES10_S11_S12_S13_S17_S18_S19_S1C_S1D_jS1E_jS1F_S1F_jjS1H_bEUljE0_EEES10_S11_S12_S19_S1D_S1F_T6_T7_T9_mT8_S1H_bDpT10_ENKUlT_T0_E_clISt17integral_constantIbLb0EES1U_IbLb1EEEEDaS1Q_S1R_EUlS1Q_E_NS1_11comp_targetILNS1_3genE5ELNS1_11target_archE942ELNS1_3gpuE9ELNS1_3repE0EEENS1_30default_config_static_selectorELNS0_4arch9wavefront6targetE1EEEvS13_,comdat
.Lfunc_end1700:
	.size	_ZN7rocprim17ROCPRIM_400000_NS6detail17trampoline_kernelINS0_13select_configILj256ELj13ELNS0_17block_load_methodE3ELS4_3ELS4_3ELNS0_20block_scan_algorithmE0ELj4294967295EEENS1_25partition_config_selectorILNS1_17partition_subalgoE4EjNS0_10empty_typeEbEEZZNS1_14partition_implILS8_4ELb0ES6_15HIP_vector_typeIjLj2EENS0_17counting_iteratorIjlEEPS9_SG_NS0_5tupleIJPjSI_NS0_16reverse_iteratorISI_EEEEENSH_IJSG_SG_SG_EEES9_SI_JZNS1_25segmented_radix_sort_implINS0_14default_configELb1EPK6__halfPSP_PKlPlN2at6native12_GLOBAL__N_18offset_tEEE10hipError_tPvRmT1_PNSt15iterator_traitsIS13_E10value_typeET2_T3_PNS14_IS19_E10value_typeET4_jRbjT5_S1F_jjP12ihipStream_tbEUljE_ZNSN_ISO_Lb1ESR_SS_SU_SV_SZ_EES10_S11_S12_S13_S17_S18_S19_S1C_S1D_jS1E_jS1F_S1F_jjS1H_bEUljE0_EEES10_S11_S12_S19_S1D_S1F_T6_T7_T9_mT8_S1H_bDpT10_ENKUlT_T0_E_clISt17integral_constantIbLb0EES1U_IbLb1EEEEDaS1Q_S1R_EUlS1Q_E_NS1_11comp_targetILNS1_3genE5ELNS1_11target_archE942ELNS1_3gpuE9ELNS1_3repE0EEENS1_30default_config_static_selectorELNS0_4arch9wavefront6targetE1EEEvS13_, .Lfunc_end1700-_ZN7rocprim17ROCPRIM_400000_NS6detail17trampoline_kernelINS0_13select_configILj256ELj13ELNS0_17block_load_methodE3ELS4_3ELS4_3ELNS0_20block_scan_algorithmE0ELj4294967295EEENS1_25partition_config_selectorILNS1_17partition_subalgoE4EjNS0_10empty_typeEbEEZZNS1_14partition_implILS8_4ELb0ES6_15HIP_vector_typeIjLj2EENS0_17counting_iteratorIjlEEPS9_SG_NS0_5tupleIJPjSI_NS0_16reverse_iteratorISI_EEEEENSH_IJSG_SG_SG_EEES9_SI_JZNS1_25segmented_radix_sort_implINS0_14default_configELb1EPK6__halfPSP_PKlPlN2at6native12_GLOBAL__N_18offset_tEEE10hipError_tPvRmT1_PNSt15iterator_traitsIS13_E10value_typeET2_T3_PNS14_IS19_E10value_typeET4_jRbjT5_S1F_jjP12ihipStream_tbEUljE_ZNSN_ISO_Lb1ESR_SS_SU_SV_SZ_EES10_S11_S12_S13_S17_S18_S19_S1C_S1D_jS1E_jS1F_S1F_jjS1H_bEUljE0_EEES10_S11_S12_S19_S1D_S1F_T6_T7_T9_mT8_S1H_bDpT10_ENKUlT_T0_E_clISt17integral_constantIbLb0EES1U_IbLb1EEEEDaS1Q_S1R_EUlS1Q_E_NS1_11comp_targetILNS1_3genE5ELNS1_11target_archE942ELNS1_3gpuE9ELNS1_3repE0EEENS1_30default_config_static_selectorELNS0_4arch9wavefront6targetE1EEEvS13_
                                        ; -- End function
	.set _ZN7rocprim17ROCPRIM_400000_NS6detail17trampoline_kernelINS0_13select_configILj256ELj13ELNS0_17block_load_methodE3ELS4_3ELS4_3ELNS0_20block_scan_algorithmE0ELj4294967295EEENS1_25partition_config_selectorILNS1_17partition_subalgoE4EjNS0_10empty_typeEbEEZZNS1_14partition_implILS8_4ELb0ES6_15HIP_vector_typeIjLj2EENS0_17counting_iteratorIjlEEPS9_SG_NS0_5tupleIJPjSI_NS0_16reverse_iteratorISI_EEEEENSH_IJSG_SG_SG_EEES9_SI_JZNS1_25segmented_radix_sort_implINS0_14default_configELb1EPK6__halfPSP_PKlPlN2at6native12_GLOBAL__N_18offset_tEEE10hipError_tPvRmT1_PNSt15iterator_traitsIS13_E10value_typeET2_T3_PNS14_IS19_E10value_typeET4_jRbjT5_S1F_jjP12ihipStream_tbEUljE_ZNSN_ISO_Lb1ESR_SS_SU_SV_SZ_EES10_S11_S12_S13_S17_S18_S19_S1C_S1D_jS1E_jS1F_S1F_jjS1H_bEUljE0_EEES10_S11_S12_S19_S1D_S1F_T6_T7_T9_mT8_S1H_bDpT10_ENKUlT_T0_E_clISt17integral_constantIbLb0EES1U_IbLb1EEEEDaS1Q_S1R_EUlS1Q_E_NS1_11comp_targetILNS1_3genE5ELNS1_11target_archE942ELNS1_3gpuE9ELNS1_3repE0EEENS1_30default_config_static_selectorELNS0_4arch9wavefront6targetE1EEEvS13_.num_vgpr, 0
	.set _ZN7rocprim17ROCPRIM_400000_NS6detail17trampoline_kernelINS0_13select_configILj256ELj13ELNS0_17block_load_methodE3ELS4_3ELS4_3ELNS0_20block_scan_algorithmE0ELj4294967295EEENS1_25partition_config_selectorILNS1_17partition_subalgoE4EjNS0_10empty_typeEbEEZZNS1_14partition_implILS8_4ELb0ES6_15HIP_vector_typeIjLj2EENS0_17counting_iteratorIjlEEPS9_SG_NS0_5tupleIJPjSI_NS0_16reverse_iteratorISI_EEEEENSH_IJSG_SG_SG_EEES9_SI_JZNS1_25segmented_radix_sort_implINS0_14default_configELb1EPK6__halfPSP_PKlPlN2at6native12_GLOBAL__N_18offset_tEEE10hipError_tPvRmT1_PNSt15iterator_traitsIS13_E10value_typeET2_T3_PNS14_IS19_E10value_typeET4_jRbjT5_S1F_jjP12ihipStream_tbEUljE_ZNSN_ISO_Lb1ESR_SS_SU_SV_SZ_EES10_S11_S12_S13_S17_S18_S19_S1C_S1D_jS1E_jS1F_S1F_jjS1H_bEUljE0_EEES10_S11_S12_S19_S1D_S1F_T6_T7_T9_mT8_S1H_bDpT10_ENKUlT_T0_E_clISt17integral_constantIbLb0EES1U_IbLb1EEEEDaS1Q_S1R_EUlS1Q_E_NS1_11comp_targetILNS1_3genE5ELNS1_11target_archE942ELNS1_3gpuE9ELNS1_3repE0EEENS1_30default_config_static_selectorELNS0_4arch9wavefront6targetE1EEEvS13_.num_agpr, 0
	.set _ZN7rocprim17ROCPRIM_400000_NS6detail17trampoline_kernelINS0_13select_configILj256ELj13ELNS0_17block_load_methodE3ELS4_3ELS4_3ELNS0_20block_scan_algorithmE0ELj4294967295EEENS1_25partition_config_selectorILNS1_17partition_subalgoE4EjNS0_10empty_typeEbEEZZNS1_14partition_implILS8_4ELb0ES6_15HIP_vector_typeIjLj2EENS0_17counting_iteratorIjlEEPS9_SG_NS0_5tupleIJPjSI_NS0_16reverse_iteratorISI_EEEEENSH_IJSG_SG_SG_EEES9_SI_JZNS1_25segmented_radix_sort_implINS0_14default_configELb1EPK6__halfPSP_PKlPlN2at6native12_GLOBAL__N_18offset_tEEE10hipError_tPvRmT1_PNSt15iterator_traitsIS13_E10value_typeET2_T3_PNS14_IS19_E10value_typeET4_jRbjT5_S1F_jjP12ihipStream_tbEUljE_ZNSN_ISO_Lb1ESR_SS_SU_SV_SZ_EES10_S11_S12_S13_S17_S18_S19_S1C_S1D_jS1E_jS1F_S1F_jjS1H_bEUljE0_EEES10_S11_S12_S19_S1D_S1F_T6_T7_T9_mT8_S1H_bDpT10_ENKUlT_T0_E_clISt17integral_constantIbLb0EES1U_IbLb1EEEEDaS1Q_S1R_EUlS1Q_E_NS1_11comp_targetILNS1_3genE5ELNS1_11target_archE942ELNS1_3gpuE9ELNS1_3repE0EEENS1_30default_config_static_selectorELNS0_4arch9wavefront6targetE1EEEvS13_.numbered_sgpr, 0
	.set _ZN7rocprim17ROCPRIM_400000_NS6detail17trampoline_kernelINS0_13select_configILj256ELj13ELNS0_17block_load_methodE3ELS4_3ELS4_3ELNS0_20block_scan_algorithmE0ELj4294967295EEENS1_25partition_config_selectorILNS1_17partition_subalgoE4EjNS0_10empty_typeEbEEZZNS1_14partition_implILS8_4ELb0ES6_15HIP_vector_typeIjLj2EENS0_17counting_iteratorIjlEEPS9_SG_NS0_5tupleIJPjSI_NS0_16reverse_iteratorISI_EEEEENSH_IJSG_SG_SG_EEES9_SI_JZNS1_25segmented_radix_sort_implINS0_14default_configELb1EPK6__halfPSP_PKlPlN2at6native12_GLOBAL__N_18offset_tEEE10hipError_tPvRmT1_PNSt15iterator_traitsIS13_E10value_typeET2_T3_PNS14_IS19_E10value_typeET4_jRbjT5_S1F_jjP12ihipStream_tbEUljE_ZNSN_ISO_Lb1ESR_SS_SU_SV_SZ_EES10_S11_S12_S13_S17_S18_S19_S1C_S1D_jS1E_jS1F_S1F_jjS1H_bEUljE0_EEES10_S11_S12_S19_S1D_S1F_T6_T7_T9_mT8_S1H_bDpT10_ENKUlT_T0_E_clISt17integral_constantIbLb0EES1U_IbLb1EEEEDaS1Q_S1R_EUlS1Q_E_NS1_11comp_targetILNS1_3genE5ELNS1_11target_archE942ELNS1_3gpuE9ELNS1_3repE0EEENS1_30default_config_static_selectorELNS0_4arch9wavefront6targetE1EEEvS13_.num_named_barrier, 0
	.set _ZN7rocprim17ROCPRIM_400000_NS6detail17trampoline_kernelINS0_13select_configILj256ELj13ELNS0_17block_load_methodE3ELS4_3ELS4_3ELNS0_20block_scan_algorithmE0ELj4294967295EEENS1_25partition_config_selectorILNS1_17partition_subalgoE4EjNS0_10empty_typeEbEEZZNS1_14partition_implILS8_4ELb0ES6_15HIP_vector_typeIjLj2EENS0_17counting_iteratorIjlEEPS9_SG_NS0_5tupleIJPjSI_NS0_16reverse_iteratorISI_EEEEENSH_IJSG_SG_SG_EEES9_SI_JZNS1_25segmented_radix_sort_implINS0_14default_configELb1EPK6__halfPSP_PKlPlN2at6native12_GLOBAL__N_18offset_tEEE10hipError_tPvRmT1_PNSt15iterator_traitsIS13_E10value_typeET2_T3_PNS14_IS19_E10value_typeET4_jRbjT5_S1F_jjP12ihipStream_tbEUljE_ZNSN_ISO_Lb1ESR_SS_SU_SV_SZ_EES10_S11_S12_S13_S17_S18_S19_S1C_S1D_jS1E_jS1F_S1F_jjS1H_bEUljE0_EEES10_S11_S12_S19_S1D_S1F_T6_T7_T9_mT8_S1H_bDpT10_ENKUlT_T0_E_clISt17integral_constantIbLb0EES1U_IbLb1EEEEDaS1Q_S1R_EUlS1Q_E_NS1_11comp_targetILNS1_3genE5ELNS1_11target_archE942ELNS1_3gpuE9ELNS1_3repE0EEENS1_30default_config_static_selectorELNS0_4arch9wavefront6targetE1EEEvS13_.private_seg_size, 0
	.set _ZN7rocprim17ROCPRIM_400000_NS6detail17trampoline_kernelINS0_13select_configILj256ELj13ELNS0_17block_load_methodE3ELS4_3ELS4_3ELNS0_20block_scan_algorithmE0ELj4294967295EEENS1_25partition_config_selectorILNS1_17partition_subalgoE4EjNS0_10empty_typeEbEEZZNS1_14partition_implILS8_4ELb0ES6_15HIP_vector_typeIjLj2EENS0_17counting_iteratorIjlEEPS9_SG_NS0_5tupleIJPjSI_NS0_16reverse_iteratorISI_EEEEENSH_IJSG_SG_SG_EEES9_SI_JZNS1_25segmented_radix_sort_implINS0_14default_configELb1EPK6__halfPSP_PKlPlN2at6native12_GLOBAL__N_18offset_tEEE10hipError_tPvRmT1_PNSt15iterator_traitsIS13_E10value_typeET2_T3_PNS14_IS19_E10value_typeET4_jRbjT5_S1F_jjP12ihipStream_tbEUljE_ZNSN_ISO_Lb1ESR_SS_SU_SV_SZ_EES10_S11_S12_S13_S17_S18_S19_S1C_S1D_jS1E_jS1F_S1F_jjS1H_bEUljE0_EEES10_S11_S12_S19_S1D_S1F_T6_T7_T9_mT8_S1H_bDpT10_ENKUlT_T0_E_clISt17integral_constantIbLb0EES1U_IbLb1EEEEDaS1Q_S1R_EUlS1Q_E_NS1_11comp_targetILNS1_3genE5ELNS1_11target_archE942ELNS1_3gpuE9ELNS1_3repE0EEENS1_30default_config_static_selectorELNS0_4arch9wavefront6targetE1EEEvS13_.uses_vcc, 0
	.set _ZN7rocprim17ROCPRIM_400000_NS6detail17trampoline_kernelINS0_13select_configILj256ELj13ELNS0_17block_load_methodE3ELS4_3ELS4_3ELNS0_20block_scan_algorithmE0ELj4294967295EEENS1_25partition_config_selectorILNS1_17partition_subalgoE4EjNS0_10empty_typeEbEEZZNS1_14partition_implILS8_4ELb0ES6_15HIP_vector_typeIjLj2EENS0_17counting_iteratorIjlEEPS9_SG_NS0_5tupleIJPjSI_NS0_16reverse_iteratorISI_EEEEENSH_IJSG_SG_SG_EEES9_SI_JZNS1_25segmented_radix_sort_implINS0_14default_configELb1EPK6__halfPSP_PKlPlN2at6native12_GLOBAL__N_18offset_tEEE10hipError_tPvRmT1_PNSt15iterator_traitsIS13_E10value_typeET2_T3_PNS14_IS19_E10value_typeET4_jRbjT5_S1F_jjP12ihipStream_tbEUljE_ZNSN_ISO_Lb1ESR_SS_SU_SV_SZ_EES10_S11_S12_S13_S17_S18_S19_S1C_S1D_jS1E_jS1F_S1F_jjS1H_bEUljE0_EEES10_S11_S12_S19_S1D_S1F_T6_T7_T9_mT8_S1H_bDpT10_ENKUlT_T0_E_clISt17integral_constantIbLb0EES1U_IbLb1EEEEDaS1Q_S1R_EUlS1Q_E_NS1_11comp_targetILNS1_3genE5ELNS1_11target_archE942ELNS1_3gpuE9ELNS1_3repE0EEENS1_30default_config_static_selectorELNS0_4arch9wavefront6targetE1EEEvS13_.uses_flat_scratch, 0
	.set _ZN7rocprim17ROCPRIM_400000_NS6detail17trampoline_kernelINS0_13select_configILj256ELj13ELNS0_17block_load_methodE3ELS4_3ELS4_3ELNS0_20block_scan_algorithmE0ELj4294967295EEENS1_25partition_config_selectorILNS1_17partition_subalgoE4EjNS0_10empty_typeEbEEZZNS1_14partition_implILS8_4ELb0ES6_15HIP_vector_typeIjLj2EENS0_17counting_iteratorIjlEEPS9_SG_NS0_5tupleIJPjSI_NS0_16reverse_iteratorISI_EEEEENSH_IJSG_SG_SG_EEES9_SI_JZNS1_25segmented_radix_sort_implINS0_14default_configELb1EPK6__halfPSP_PKlPlN2at6native12_GLOBAL__N_18offset_tEEE10hipError_tPvRmT1_PNSt15iterator_traitsIS13_E10value_typeET2_T3_PNS14_IS19_E10value_typeET4_jRbjT5_S1F_jjP12ihipStream_tbEUljE_ZNSN_ISO_Lb1ESR_SS_SU_SV_SZ_EES10_S11_S12_S13_S17_S18_S19_S1C_S1D_jS1E_jS1F_S1F_jjS1H_bEUljE0_EEES10_S11_S12_S19_S1D_S1F_T6_T7_T9_mT8_S1H_bDpT10_ENKUlT_T0_E_clISt17integral_constantIbLb0EES1U_IbLb1EEEEDaS1Q_S1R_EUlS1Q_E_NS1_11comp_targetILNS1_3genE5ELNS1_11target_archE942ELNS1_3gpuE9ELNS1_3repE0EEENS1_30default_config_static_selectorELNS0_4arch9wavefront6targetE1EEEvS13_.has_dyn_sized_stack, 0
	.set _ZN7rocprim17ROCPRIM_400000_NS6detail17trampoline_kernelINS0_13select_configILj256ELj13ELNS0_17block_load_methodE3ELS4_3ELS4_3ELNS0_20block_scan_algorithmE0ELj4294967295EEENS1_25partition_config_selectorILNS1_17partition_subalgoE4EjNS0_10empty_typeEbEEZZNS1_14partition_implILS8_4ELb0ES6_15HIP_vector_typeIjLj2EENS0_17counting_iteratorIjlEEPS9_SG_NS0_5tupleIJPjSI_NS0_16reverse_iteratorISI_EEEEENSH_IJSG_SG_SG_EEES9_SI_JZNS1_25segmented_radix_sort_implINS0_14default_configELb1EPK6__halfPSP_PKlPlN2at6native12_GLOBAL__N_18offset_tEEE10hipError_tPvRmT1_PNSt15iterator_traitsIS13_E10value_typeET2_T3_PNS14_IS19_E10value_typeET4_jRbjT5_S1F_jjP12ihipStream_tbEUljE_ZNSN_ISO_Lb1ESR_SS_SU_SV_SZ_EES10_S11_S12_S13_S17_S18_S19_S1C_S1D_jS1E_jS1F_S1F_jjS1H_bEUljE0_EEES10_S11_S12_S19_S1D_S1F_T6_T7_T9_mT8_S1H_bDpT10_ENKUlT_T0_E_clISt17integral_constantIbLb0EES1U_IbLb1EEEEDaS1Q_S1R_EUlS1Q_E_NS1_11comp_targetILNS1_3genE5ELNS1_11target_archE942ELNS1_3gpuE9ELNS1_3repE0EEENS1_30default_config_static_selectorELNS0_4arch9wavefront6targetE1EEEvS13_.has_recursion, 0
	.set _ZN7rocprim17ROCPRIM_400000_NS6detail17trampoline_kernelINS0_13select_configILj256ELj13ELNS0_17block_load_methodE3ELS4_3ELS4_3ELNS0_20block_scan_algorithmE0ELj4294967295EEENS1_25partition_config_selectorILNS1_17partition_subalgoE4EjNS0_10empty_typeEbEEZZNS1_14partition_implILS8_4ELb0ES6_15HIP_vector_typeIjLj2EENS0_17counting_iteratorIjlEEPS9_SG_NS0_5tupleIJPjSI_NS0_16reverse_iteratorISI_EEEEENSH_IJSG_SG_SG_EEES9_SI_JZNS1_25segmented_radix_sort_implINS0_14default_configELb1EPK6__halfPSP_PKlPlN2at6native12_GLOBAL__N_18offset_tEEE10hipError_tPvRmT1_PNSt15iterator_traitsIS13_E10value_typeET2_T3_PNS14_IS19_E10value_typeET4_jRbjT5_S1F_jjP12ihipStream_tbEUljE_ZNSN_ISO_Lb1ESR_SS_SU_SV_SZ_EES10_S11_S12_S13_S17_S18_S19_S1C_S1D_jS1E_jS1F_S1F_jjS1H_bEUljE0_EEES10_S11_S12_S19_S1D_S1F_T6_T7_T9_mT8_S1H_bDpT10_ENKUlT_T0_E_clISt17integral_constantIbLb0EES1U_IbLb1EEEEDaS1Q_S1R_EUlS1Q_E_NS1_11comp_targetILNS1_3genE5ELNS1_11target_archE942ELNS1_3gpuE9ELNS1_3repE0EEENS1_30default_config_static_selectorELNS0_4arch9wavefront6targetE1EEEvS13_.has_indirect_call, 0
	.section	.AMDGPU.csdata,"",@progbits
; Kernel info:
; codeLenInByte = 0
; TotalNumSgprs: 4
; NumVgprs: 0
; ScratchSize: 0
; MemoryBound: 0
; FloatMode: 240
; IeeeMode: 1
; LDSByteSize: 0 bytes/workgroup (compile time only)
; SGPRBlocks: 0
; VGPRBlocks: 0
; NumSGPRsForWavesPerEU: 4
; NumVGPRsForWavesPerEU: 1
; Occupancy: 10
; WaveLimiterHint : 0
; COMPUTE_PGM_RSRC2:SCRATCH_EN: 0
; COMPUTE_PGM_RSRC2:USER_SGPR: 6
; COMPUTE_PGM_RSRC2:TRAP_HANDLER: 0
; COMPUTE_PGM_RSRC2:TGID_X_EN: 1
; COMPUTE_PGM_RSRC2:TGID_Y_EN: 0
; COMPUTE_PGM_RSRC2:TGID_Z_EN: 0
; COMPUTE_PGM_RSRC2:TIDIG_COMP_CNT: 0
	.section	.text._ZN7rocprim17ROCPRIM_400000_NS6detail17trampoline_kernelINS0_13select_configILj256ELj13ELNS0_17block_load_methodE3ELS4_3ELS4_3ELNS0_20block_scan_algorithmE0ELj4294967295EEENS1_25partition_config_selectorILNS1_17partition_subalgoE4EjNS0_10empty_typeEbEEZZNS1_14partition_implILS8_4ELb0ES6_15HIP_vector_typeIjLj2EENS0_17counting_iteratorIjlEEPS9_SG_NS0_5tupleIJPjSI_NS0_16reverse_iteratorISI_EEEEENSH_IJSG_SG_SG_EEES9_SI_JZNS1_25segmented_radix_sort_implINS0_14default_configELb1EPK6__halfPSP_PKlPlN2at6native12_GLOBAL__N_18offset_tEEE10hipError_tPvRmT1_PNSt15iterator_traitsIS13_E10value_typeET2_T3_PNS14_IS19_E10value_typeET4_jRbjT5_S1F_jjP12ihipStream_tbEUljE_ZNSN_ISO_Lb1ESR_SS_SU_SV_SZ_EES10_S11_S12_S13_S17_S18_S19_S1C_S1D_jS1E_jS1F_S1F_jjS1H_bEUljE0_EEES10_S11_S12_S19_S1D_S1F_T6_T7_T9_mT8_S1H_bDpT10_ENKUlT_T0_E_clISt17integral_constantIbLb0EES1U_IbLb1EEEEDaS1Q_S1R_EUlS1Q_E_NS1_11comp_targetILNS1_3genE4ELNS1_11target_archE910ELNS1_3gpuE8ELNS1_3repE0EEENS1_30default_config_static_selectorELNS0_4arch9wavefront6targetE1EEEvS13_,"axG",@progbits,_ZN7rocprim17ROCPRIM_400000_NS6detail17trampoline_kernelINS0_13select_configILj256ELj13ELNS0_17block_load_methodE3ELS4_3ELS4_3ELNS0_20block_scan_algorithmE0ELj4294967295EEENS1_25partition_config_selectorILNS1_17partition_subalgoE4EjNS0_10empty_typeEbEEZZNS1_14partition_implILS8_4ELb0ES6_15HIP_vector_typeIjLj2EENS0_17counting_iteratorIjlEEPS9_SG_NS0_5tupleIJPjSI_NS0_16reverse_iteratorISI_EEEEENSH_IJSG_SG_SG_EEES9_SI_JZNS1_25segmented_radix_sort_implINS0_14default_configELb1EPK6__halfPSP_PKlPlN2at6native12_GLOBAL__N_18offset_tEEE10hipError_tPvRmT1_PNSt15iterator_traitsIS13_E10value_typeET2_T3_PNS14_IS19_E10value_typeET4_jRbjT5_S1F_jjP12ihipStream_tbEUljE_ZNSN_ISO_Lb1ESR_SS_SU_SV_SZ_EES10_S11_S12_S13_S17_S18_S19_S1C_S1D_jS1E_jS1F_S1F_jjS1H_bEUljE0_EEES10_S11_S12_S19_S1D_S1F_T6_T7_T9_mT8_S1H_bDpT10_ENKUlT_T0_E_clISt17integral_constantIbLb0EES1U_IbLb1EEEEDaS1Q_S1R_EUlS1Q_E_NS1_11comp_targetILNS1_3genE4ELNS1_11target_archE910ELNS1_3gpuE8ELNS1_3repE0EEENS1_30default_config_static_selectorELNS0_4arch9wavefront6targetE1EEEvS13_,comdat
	.globl	_ZN7rocprim17ROCPRIM_400000_NS6detail17trampoline_kernelINS0_13select_configILj256ELj13ELNS0_17block_load_methodE3ELS4_3ELS4_3ELNS0_20block_scan_algorithmE0ELj4294967295EEENS1_25partition_config_selectorILNS1_17partition_subalgoE4EjNS0_10empty_typeEbEEZZNS1_14partition_implILS8_4ELb0ES6_15HIP_vector_typeIjLj2EENS0_17counting_iteratorIjlEEPS9_SG_NS0_5tupleIJPjSI_NS0_16reverse_iteratorISI_EEEEENSH_IJSG_SG_SG_EEES9_SI_JZNS1_25segmented_radix_sort_implINS0_14default_configELb1EPK6__halfPSP_PKlPlN2at6native12_GLOBAL__N_18offset_tEEE10hipError_tPvRmT1_PNSt15iterator_traitsIS13_E10value_typeET2_T3_PNS14_IS19_E10value_typeET4_jRbjT5_S1F_jjP12ihipStream_tbEUljE_ZNSN_ISO_Lb1ESR_SS_SU_SV_SZ_EES10_S11_S12_S13_S17_S18_S19_S1C_S1D_jS1E_jS1F_S1F_jjS1H_bEUljE0_EEES10_S11_S12_S19_S1D_S1F_T6_T7_T9_mT8_S1H_bDpT10_ENKUlT_T0_E_clISt17integral_constantIbLb0EES1U_IbLb1EEEEDaS1Q_S1R_EUlS1Q_E_NS1_11comp_targetILNS1_3genE4ELNS1_11target_archE910ELNS1_3gpuE8ELNS1_3repE0EEENS1_30default_config_static_selectorELNS0_4arch9wavefront6targetE1EEEvS13_ ; -- Begin function _ZN7rocprim17ROCPRIM_400000_NS6detail17trampoline_kernelINS0_13select_configILj256ELj13ELNS0_17block_load_methodE3ELS4_3ELS4_3ELNS0_20block_scan_algorithmE0ELj4294967295EEENS1_25partition_config_selectorILNS1_17partition_subalgoE4EjNS0_10empty_typeEbEEZZNS1_14partition_implILS8_4ELb0ES6_15HIP_vector_typeIjLj2EENS0_17counting_iteratorIjlEEPS9_SG_NS0_5tupleIJPjSI_NS0_16reverse_iteratorISI_EEEEENSH_IJSG_SG_SG_EEES9_SI_JZNS1_25segmented_radix_sort_implINS0_14default_configELb1EPK6__halfPSP_PKlPlN2at6native12_GLOBAL__N_18offset_tEEE10hipError_tPvRmT1_PNSt15iterator_traitsIS13_E10value_typeET2_T3_PNS14_IS19_E10value_typeET4_jRbjT5_S1F_jjP12ihipStream_tbEUljE_ZNSN_ISO_Lb1ESR_SS_SU_SV_SZ_EES10_S11_S12_S13_S17_S18_S19_S1C_S1D_jS1E_jS1F_S1F_jjS1H_bEUljE0_EEES10_S11_S12_S19_S1D_S1F_T6_T7_T9_mT8_S1H_bDpT10_ENKUlT_T0_E_clISt17integral_constantIbLb0EES1U_IbLb1EEEEDaS1Q_S1R_EUlS1Q_E_NS1_11comp_targetILNS1_3genE4ELNS1_11target_archE910ELNS1_3gpuE8ELNS1_3repE0EEENS1_30default_config_static_selectorELNS0_4arch9wavefront6targetE1EEEvS13_
	.p2align	8
	.type	_ZN7rocprim17ROCPRIM_400000_NS6detail17trampoline_kernelINS0_13select_configILj256ELj13ELNS0_17block_load_methodE3ELS4_3ELS4_3ELNS0_20block_scan_algorithmE0ELj4294967295EEENS1_25partition_config_selectorILNS1_17partition_subalgoE4EjNS0_10empty_typeEbEEZZNS1_14partition_implILS8_4ELb0ES6_15HIP_vector_typeIjLj2EENS0_17counting_iteratorIjlEEPS9_SG_NS0_5tupleIJPjSI_NS0_16reverse_iteratorISI_EEEEENSH_IJSG_SG_SG_EEES9_SI_JZNS1_25segmented_radix_sort_implINS0_14default_configELb1EPK6__halfPSP_PKlPlN2at6native12_GLOBAL__N_18offset_tEEE10hipError_tPvRmT1_PNSt15iterator_traitsIS13_E10value_typeET2_T3_PNS14_IS19_E10value_typeET4_jRbjT5_S1F_jjP12ihipStream_tbEUljE_ZNSN_ISO_Lb1ESR_SS_SU_SV_SZ_EES10_S11_S12_S13_S17_S18_S19_S1C_S1D_jS1E_jS1F_S1F_jjS1H_bEUljE0_EEES10_S11_S12_S19_S1D_S1F_T6_T7_T9_mT8_S1H_bDpT10_ENKUlT_T0_E_clISt17integral_constantIbLb0EES1U_IbLb1EEEEDaS1Q_S1R_EUlS1Q_E_NS1_11comp_targetILNS1_3genE4ELNS1_11target_archE910ELNS1_3gpuE8ELNS1_3repE0EEENS1_30default_config_static_selectorELNS0_4arch9wavefront6targetE1EEEvS13_,@function
_ZN7rocprim17ROCPRIM_400000_NS6detail17trampoline_kernelINS0_13select_configILj256ELj13ELNS0_17block_load_methodE3ELS4_3ELS4_3ELNS0_20block_scan_algorithmE0ELj4294967295EEENS1_25partition_config_selectorILNS1_17partition_subalgoE4EjNS0_10empty_typeEbEEZZNS1_14partition_implILS8_4ELb0ES6_15HIP_vector_typeIjLj2EENS0_17counting_iteratorIjlEEPS9_SG_NS0_5tupleIJPjSI_NS0_16reverse_iteratorISI_EEEEENSH_IJSG_SG_SG_EEES9_SI_JZNS1_25segmented_radix_sort_implINS0_14default_configELb1EPK6__halfPSP_PKlPlN2at6native12_GLOBAL__N_18offset_tEEE10hipError_tPvRmT1_PNSt15iterator_traitsIS13_E10value_typeET2_T3_PNS14_IS19_E10value_typeET4_jRbjT5_S1F_jjP12ihipStream_tbEUljE_ZNSN_ISO_Lb1ESR_SS_SU_SV_SZ_EES10_S11_S12_S13_S17_S18_S19_S1C_S1D_jS1E_jS1F_S1F_jjS1H_bEUljE0_EEES10_S11_S12_S19_S1D_S1F_T6_T7_T9_mT8_S1H_bDpT10_ENKUlT_T0_E_clISt17integral_constantIbLb0EES1U_IbLb1EEEEDaS1Q_S1R_EUlS1Q_E_NS1_11comp_targetILNS1_3genE4ELNS1_11target_archE910ELNS1_3gpuE8ELNS1_3repE0EEENS1_30default_config_static_selectorELNS0_4arch9wavefront6targetE1EEEvS13_: ; @_ZN7rocprim17ROCPRIM_400000_NS6detail17trampoline_kernelINS0_13select_configILj256ELj13ELNS0_17block_load_methodE3ELS4_3ELS4_3ELNS0_20block_scan_algorithmE0ELj4294967295EEENS1_25partition_config_selectorILNS1_17partition_subalgoE4EjNS0_10empty_typeEbEEZZNS1_14partition_implILS8_4ELb0ES6_15HIP_vector_typeIjLj2EENS0_17counting_iteratorIjlEEPS9_SG_NS0_5tupleIJPjSI_NS0_16reverse_iteratorISI_EEEEENSH_IJSG_SG_SG_EEES9_SI_JZNS1_25segmented_radix_sort_implINS0_14default_configELb1EPK6__halfPSP_PKlPlN2at6native12_GLOBAL__N_18offset_tEEE10hipError_tPvRmT1_PNSt15iterator_traitsIS13_E10value_typeET2_T3_PNS14_IS19_E10value_typeET4_jRbjT5_S1F_jjP12ihipStream_tbEUljE_ZNSN_ISO_Lb1ESR_SS_SU_SV_SZ_EES10_S11_S12_S13_S17_S18_S19_S1C_S1D_jS1E_jS1F_S1F_jjS1H_bEUljE0_EEES10_S11_S12_S19_S1D_S1F_T6_T7_T9_mT8_S1H_bDpT10_ENKUlT_T0_E_clISt17integral_constantIbLb0EES1U_IbLb1EEEEDaS1Q_S1R_EUlS1Q_E_NS1_11comp_targetILNS1_3genE4ELNS1_11target_archE910ELNS1_3gpuE8ELNS1_3repE0EEENS1_30default_config_static_selectorELNS0_4arch9wavefront6targetE1EEEvS13_
; %bb.0:
	.section	.rodata,"a",@progbits
	.p2align	6, 0x0
	.amdhsa_kernel _ZN7rocprim17ROCPRIM_400000_NS6detail17trampoline_kernelINS0_13select_configILj256ELj13ELNS0_17block_load_methodE3ELS4_3ELS4_3ELNS0_20block_scan_algorithmE0ELj4294967295EEENS1_25partition_config_selectorILNS1_17partition_subalgoE4EjNS0_10empty_typeEbEEZZNS1_14partition_implILS8_4ELb0ES6_15HIP_vector_typeIjLj2EENS0_17counting_iteratorIjlEEPS9_SG_NS0_5tupleIJPjSI_NS0_16reverse_iteratorISI_EEEEENSH_IJSG_SG_SG_EEES9_SI_JZNS1_25segmented_radix_sort_implINS0_14default_configELb1EPK6__halfPSP_PKlPlN2at6native12_GLOBAL__N_18offset_tEEE10hipError_tPvRmT1_PNSt15iterator_traitsIS13_E10value_typeET2_T3_PNS14_IS19_E10value_typeET4_jRbjT5_S1F_jjP12ihipStream_tbEUljE_ZNSN_ISO_Lb1ESR_SS_SU_SV_SZ_EES10_S11_S12_S13_S17_S18_S19_S1C_S1D_jS1E_jS1F_S1F_jjS1H_bEUljE0_EEES10_S11_S12_S19_S1D_S1F_T6_T7_T9_mT8_S1H_bDpT10_ENKUlT_T0_E_clISt17integral_constantIbLb0EES1U_IbLb1EEEEDaS1Q_S1R_EUlS1Q_E_NS1_11comp_targetILNS1_3genE4ELNS1_11target_archE910ELNS1_3gpuE8ELNS1_3repE0EEENS1_30default_config_static_selectorELNS0_4arch9wavefront6targetE1EEEvS13_
		.amdhsa_group_segment_fixed_size 0
		.amdhsa_private_segment_fixed_size 0
		.amdhsa_kernarg_size 184
		.amdhsa_user_sgpr_count 6
		.amdhsa_user_sgpr_private_segment_buffer 1
		.amdhsa_user_sgpr_dispatch_ptr 0
		.amdhsa_user_sgpr_queue_ptr 0
		.amdhsa_user_sgpr_kernarg_segment_ptr 1
		.amdhsa_user_sgpr_dispatch_id 0
		.amdhsa_user_sgpr_flat_scratch_init 0
		.amdhsa_user_sgpr_private_segment_size 0
		.amdhsa_uses_dynamic_stack 0
		.amdhsa_system_sgpr_private_segment_wavefront_offset 0
		.amdhsa_system_sgpr_workgroup_id_x 1
		.amdhsa_system_sgpr_workgroup_id_y 0
		.amdhsa_system_sgpr_workgroup_id_z 0
		.amdhsa_system_sgpr_workgroup_info 0
		.amdhsa_system_vgpr_workitem_id 0
		.amdhsa_next_free_vgpr 1
		.amdhsa_next_free_sgpr 0
		.amdhsa_reserve_vcc 0
		.amdhsa_reserve_flat_scratch 0
		.amdhsa_float_round_mode_32 0
		.amdhsa_float_round_mode_16_64 0
		.amdhsa_float_denorm_mode_32 3
		.amdhsa_float_denorm_mode_16_64 3
		.amdhsa_dx10_clamp 1
		.amdhsa_ieee_mode 1
		.amdhsa_fp16_overflow 0
		.amdhsa_exception_fp_ieee_invalid_op 0
		.amdhsa_exception_fp_denorm_src 0
		.amdhsa_exception_fp_ieee_div_zero 0
		.amdhsa_exception_fp_ieee_overflow 0
		.amdhsa_exception_fp_ieee_underflow 0
		.amdhsa_exception_fp_ieee_inexact 0
		.amdhsa_exception_int_div_zero 0
	.end_amdhsa_kernel
	.section	.text._ZN7rocprim17ROCPRIM_400000_NS6detail17trampoline_kernelINS0_13select_configILj256ELj13ELNS0_17block_load_methodE3ELS4_3ELS4_3ELNS0_20block_scan_algorithmE0ELj4294967295EEENS1_25partition_config_selectorILNS1_17partition_subalgoE4EjNS0_10empty_typeEbEEZZNS1_14partition_implILS8_4ELb0ES6_15HIP_vector_typeIjLj2EENS0_17counting_iteratorIjlEEPS9_SG_NS0_5tupleIJPjSI_NS0_16reverse_iteratorISI_EEEEENSH_IJSG_SG_SG_EEES9_SI_JZNS1_25segmented_radix_sort_implINS0_14default_configELb1EPK6__halfPSP_PKlPlN2at6native12_GLOBAL__N_18offset_tEEE10hipError_tPvRmT1_PNSt15iterator_traitsIS13_E10value_typeET2_T3_PNS14_IS19_E10value_typeET4_jRbjT5_S1F_jjP12ihipStream_tbEUljE_ZNSN_ISO_Lb1ESR_SS_SU_SV_SZ_EES10_S11_S12_S13_S17_S18_S19_S1C_S1D_jS1E_jS1F_S1F_jjS1H_bEUljE0_EEES10_S11_S12_S19_S1D_S1F_T6_T7_T9_mT8_S1H_bDpT10_ENKUlT_T0_E_clISt17integral_constantIbLb0EES1U_IbLb1EEEEDaS1Q_S1R_EUlS1Q_E_NS1_11comp_targetILNS1_3genE4ELNS1_11target_archE910ELNS1_3gpuE8ELNS1_3repE0EEENS1_30default_config_static_selectorELNS0_4arch9wavefront6targetE1EEEvS13_,"axG",@progbits,_ZN7rocprim17ROCPRIM_400000_NS6detail17trampoline_kernelINS0_13select_configILj256ELj13ELNS0_17block_load_methodE3ELS4_3ELS4_3ELNS0_20block_scan_algorithmE0ELj4294967295EEENS1_25partition_config_selectorILNS1_17partition_subalgoE4EjNS0_10empty_typeEbEEZZNS1_14partition_implILS8_4ELb0ES6_15HIP_vector_typeIjLj2EENS0_17counting_iteratorIjlEEPS9_SG_NS0_5tupleIJPjSI_NS0_16reverse_iteratorISI_EEEEENSH_IJSG_SG_SG_EEES9_SI_JZNS1_25segmented_radix_sort_implINS0_14default_configELb1EPK6__halfPSP_PKlPlN2at6native12_GLOBAL__N_18offset_tEEE10hipError_tPvRmT1_PNSt15iterator_traitsIS13_E10value_typeET2_T3_PNS14_IS19_E10value_typeET4_jRbjT5_S1F_jjP12ihipStream_tbEUljE_ZNSN_ISO_Lb1ESR_SS_SU_SV_SZ_EES10_S11_S12_S13_S17_S18_S19_S1C_S1D_jS1E_jS1F_S1F_jjS1H_bEUljE0_EEES10_S11_S12_S19_S1D_S1F_T6_T7_T9_mT8_S1H_bDpT10_ENKUlT_T0_E_clISt17integral_constantIbLb0EES1U_IbLb1EEEEDaS1Q_S1R_EUlS1Q_E_NS1_11comp_targetILNS1_3genE4ELNS1_11target_archE910ELNS1_3gpuE8ELNS1_3repE0EEENS1_30default_config_static_selectorELNS0_4arch9wavefront6targetE1EEEvS13_,comdat
.Lfunc_end1701:
	.size	_ZN7rocprim17ROCPRIM_400000_NS6detail17trampoline_kernelINS0_13select_configILj256ELj13ELNS0_17block_load_methodE3ELS4_3ELS4_3ELNS0_20block_scan_algorithmE0ELj4294967295EEENS1_25partition_config_selectorILNS1_17partition_subalgoE4EjNS0_10empty_typeEbEEZZNS1_14partition_implILS8_4ELb0ES6_15HIP_vector_typeIjLj2EENS0_17counting_iteratorIjlEEPS9_SG_NS0_5tupleIJPjSI_NS0_16reverse_iteratorISI_EEEEENSH_IJSG_SG_SG_EEES9_SI_JZNS1_25segmented_radix_sort_implINS0_14default_configELb1EPK6__halfPSP_PKlPlN2at6native12_GLOBAL__N_18offset_tEEE10hipError_tPvRmT1_PNSt15iterator_traitsIS13_E10value_typeET2_T3_PNS14_IS19_E10value_typeET4_jRbjT5_S1F_jjP12ihipStream_tbEUljE_ZNSN_ISO_Lb1ESR_SS_SU_SV_SZ_EES10_S11_S12_S13_S17_S18_S19_S1C_S1D_jS1E_jS1F_S1F_jjS1H_bEUljE0_EEES10_S11_S12_S19_S1D_S1F_T6_T7_T9_mT8_S1H_bDpT10_ENKUlT_T0_E_clISt17integral_constantIbLb0EES1U_IbLb1EEEEDaS1Q_S1R_EUlS1Q_E_NS1_11comp_targetILNS1_3genE4ELNS1_11target_archE910ELNS1_3gpuE8ELNS1_3repE0EEENS1_30default_config_static_selectorELNS0_4arch9wavefront6targetE1EEEvS13_, .Lfunc_end1701-_ZN7rocprim17ROCPRIM_400000_NS6detail17trampoline_kernelINS0_13select_configILj256ELj13ELNS0_17block_load_methodE3ELS4_3ELS4_3ELNS0_20block_scan_algorithmE0ELj4294967295EEENS1_25partition_config_selectorILNS1_17partition_subalgoE4EjNS0_10empty_typeEbEEZZNS1_14partition_implILS8_4ELb0ES6_15HIP_vector_typeIjLj2EENS0_17counting_iteratorIjlEEPS9_SG_NS0_5tupleIJPjSI_NS0_16reverse_iteratorISI_EEEEENSH_IJSG_SG_SG_EEES9_SI_JZNS1_25segmented_radix_sort_implINS0_14default_configELb1EPK6__halfPSP_PKlPlN2at6native12_GLOBAL__N_18offset_tEEE10hipError_tPvRmT1_PNSt15iterator_traitsIS13_E10value_typeET2_T3_PNS14_IS19_E10value_typeET4_jRbjT5_S1F_jjP12ihipStream_tbEUljE_ZNSN_ISO_Lb1ESR_SS_SU_SV_SZ_EES10_S11_S12_S13_S17_S18_S19_S1C_S1D_jS1E_jS1F_S1F_jjS1H_bEUljE0_EEES10_S11_S12_S19_S1D_S1F_T6_T7_T9_mT8_S1H_bDpT10_ENKUlT_T0_E_clISt17integral_constantIbLb0EES1U_IbLb1EEEEDaS1Q_S1R_EUlS1Q_E_NS1_11comp_targetILNS1_3genE4ELNS1_11target_archE910ELNS1_3gpuE8ELNS1_3repE0EEENS1_30default_config_static_selectorELNS0_4arch9wavefront6targetE1EEEvS13_
                                        ; -- End function
	.set _ZN7rocprim17ROCPRIM_400000_NS6detail17trampoline_kernelINS0_13select_configILj256ELj13ELNS0_17block_load_methodE3ELS4_3ELS4_3ELNS0_20block_scan_algorithmE0ELj4294967295EEENS1_25partition_config_selectorILNS1_17partition_subalgoE4EjNS0_10empty_typeEbEEZZNS1_14partition_implILS8_4ELb0ES6_15HIP_vector_typeIjLj2EENS0_17counting_iteratorIjlEEPS9_SG_NS0_5tupleIJPjSI_NS0_16reverse_iteratorISI_EEEEENSH_IJSG_SG_SG_EEES9_SI_JZNS1_25segmented_radix_sort_implINS0_14default_configELb1EPK6__halfPSP_PKlPlN2at6native12_GLOBAL__N_18offset_tEEE10hipError_tPvRmT1_PNSt15iterator_traitsIS13_E10value_typeET2_T3_PNS14_IS19_E10value_typeET4_jRbjT5_S1F_jjP12ihipStream_tbEUljE_ZNSN_ISO_Lb1ESR_SS_SU_SV_SZ_EES10_S11_S12_S13_S17_S18_S19_S1C_S1D_jS1E_jS1F_S1F_jjS1H_bEUljE0_EEES10_S11_S12_S19_S1D_S1F_T6_T7_T9_mT8_S1H_bDpT10_ENKUlT_T0_E_clISt17integral_constantIbLb0EES1U_IbLb1EEEEDaS1Q_S1R_EUlS1Q_E_NS1_11comp_targetILNS1_3genE4ELNS1_11target_archE910ELNS1_3gpuE8ELNS1_3repE0EEENS1_30default_config_static_selectorELNS0_4arch9wavefront6targetE1EEEvS13_.num_vgpr, 0
	.set _ZN7rocprim17ROCPRIM_400000_NS6detail17trampoline_kernelINS0_13select_configILj256ELj13ELNS0_17block_load_methodE3ELS4_3ELS4_3ELNS0_20block_scan_algorithmE0ELj4294967295EEENS1_25partition_config_selectorILNS1_17partition_subalgoE4EjNS0_10empty_typeEbEEZZNS1_14partition_implILS8_4ELb0ES6_15HIP_vector_typeIjLj2EENS0_17counting_iteratorIjlEEPS9_SG_NS0_5tupleIJPjSI_NS0_16reverse_iteratorISI_EEEEENSH_IJSG_SG_SG_EEES9_SI_JZNS1_25segmented_radix_sort_implINS0_14default_configELb1EPK6__halfPSP_PKlPlN2at6native12_GLOBAL__N_18offset_tEEE10hipError_tPvRmT1_PNSt15iterator_traitsIS13_E10value_typeET2_T3_PNS14_IS19_E10value_typeET4_jRbjT5_S1F_jjP12ihipStream_tbEUljE_ZNSN_ISO_Lb1ESR_SS_SU_SV_SZ_EES10_S11_S12_S13_S17_S18_S19_S1C_S1D_jS1E_jS1F_S1F_jjS1H_bEUljE0_EEES10_S11_S12_S19_S1D_S1F_T6_T7_T9_mT8_S1H_bDpT10_ENKUlT_T0_E_clISt17integral_constantIbLb0EES1U_IbLb1EEEEDaS1Q_S1R_EUlS1Q_E_NS1_11comp_targetILNS1_3genE4ELNS1_11target_archE910ELNS1_3gpuE8ELNS1_3repE0EEENS1_30default_config_static_selectorELNS0_4arch9wavefront6targetE1EEEvS13_.num_agpr, 0
	.set _ZN7rocprim17ROCPRIM_400000_NS6detail17trampoline_kernelINS0_13select_configILj256ELj13ELNS0_17block_load_methodE3ELS4_3ELS4_3ELNS0_20block_scan_algorithmE0ELj4294967295EEENS1_25partition_config_selectorILNS1_17partition_subalgoE4EjNS0_10empty_typeEbEEZZNS1_14partition_implILS8_4ELb0ES6_15HIP_vector_typeIjLj2EENS0_17counting_iteratorIjlEEPS9_SG_NS0_5tupleIJPjSI_NS0_16reverse_iteratorISI_EEEEENSH_IJSG_SG_SG_EEES9_SI_JZNS1_25segmented_radix_sort_implINS0_14default_configELb1EPK6__halfPSP_PKlPlN2at6native12_GLOBAL__N_18offset_tEEE10hipError_tPvRmT1_PNSt15iterator_traitsIS13_E10value_typeET2_T3_PNS14_IS19_E10value_typeET4_jRbjT5_S1F_jjP12ihipStream_tbEUljE_ZNSN_ISO_Lb1ESR_SS_SU_SV_SZ_EES10_S11_S12_S13_S17_S18_S19_S1C_S1D_jS1E_jS1F_S1F_jjS1H_bEUljE0_EEES10_S11_S12_S19_S1D_S1F_T6_T7_T9_mT8_S1H_bDpT10_ENKUlT_T0_E_clISt17integral_constantIbLb0EES1U_IbLb1EEEEDaS1Q_S1R_EUlS1Q_E_NS1_11comp_targetILNS1_3genE4ELNS1_11target_archE910ELNS1_3gpuE8ELNS1_3repE0EEENS1_30default_config_static_selectorELNS0_4arch9wavefront6targetE1EEEvS13_.numbered_sgpr, 0
	.set _ZN7rocprim17ROCPRIM_400000_NS6detail17trampoline_kernelINS0_13select_configILj256ELj13ELNS0_17block_load_methodE3ELS4_3ELS4_3ELNS0_20block_scan_algorithmE0ELj4294967295EEENS1_25partition_config_selectorILNS1_17partition_subalgoE4EjNS0_10empty_typeEbEEZZNS1_14partition_implILS8_4ELb0ES6_15HIP_vector_typeIjLj2EENS0_17counting_iteratorIjlEEPS9_SG_NS0_5tupleIJPjSI_NS0_16reverse_iteratorISI_EEEEENSH_IJSG_SG_SG_EEES9_SI_JZNS1_25segmented_radix_sort_implINS0_14default_configELb1EPK6__halfPSP_PKlPlN2at6native12_GLOBAL__N_18offset_tEEE10hipError_tPvRmT1_PNSt15iterator_traitsIS13_E10value_typeET2_T3_PNS14_IS19_E10value_typeET4_jRbjT5_S1F_jjP12ihipStream_tbEUljE_ZNSN_ISO_Lb1ESR_SS_SU_SV_SZ_EES10_S11_S12_S13_S17_S18_S19_S1C_S1D_jS1E_jS1F_S1F_jjS1H_bEUljE0_EEES10_S11_S12_S19_S1D_S1F_T6_T7_T9_mT8_S1H_bDpT10_ENKUlT_T0_E_clISt17integral_constantIbLb0EES1U_IbLb1EEEEDaS1Q_S1R_EUlS1Q_E_NS1_11comp_targetILNS1_3genE4ELNS1_11target_archE910ELNS1_3gpuE8ELNS1_3repE0EEENS1_30default_config_static_selectorELNS0_4arch9wavefront6targetE1EEEvS13_.num_named_barrier, 0
	.set _ZN7rocprim17ROCPRIM_400000_NS6detail17trampoline_kernelINS0_13select_configILj256ELj13ELNS0_17block_load_methodE3ELS4_3ELS4_3ELNS0_20block_scan_algorithmE0ELj4294967295EEENS1_25partition_config_selectorILNS1_17partition_subalgoE4EjNS0_10empty_typeEbEEZZNS1_14partition_implILS8_4ELb0ES6_15HIP_vector_typeIjLj2EENS0_17counting_iteratorIjlEEPS9_SG_NS0_5tupleIJPjSI_NS0_16reverse_iteratorISI_EEEEENSH_IJSG_SG_SG_EEES9_SI_JZNS1_25segmented_radix_sort_implINS0_14default_configELb1EPK6__halfPSP_PKlPlN2at6native12_GLOBAL__N_18offset_tEEE10hipError_tPvRmT1_PNSt15iterator_traitsIS13_E10value_typeET2_T3_PNS14_IS19_E10value_typeET4_jRbjT5_S1F_jjP12ihipStream_tbEUljE_ZNSN_ISO_Lb1ESR_SS_SU_SV_SZ_EES10_S11_S12_S13_S17_S18_S19_S1C_S1D_jS1E_jS1F_S1F_jjS1H_bEUljE0_EEES10_S11_S12_S19_S1D_S1F_T6_T7_T9_mT8_S1H_bDpT10_ENKUlT_T0_E_clISt17integral_constantIbLb0EES1U_IbLb1EEEEDaS1Q_S1R_EUlS1Q_E_NS1_11comp_targetILNS1_3genE4ELNS1_11target_archE910ELNS1_3gpuE8ELNS1_3repE0EEENS1_30default_config_static_selectorELNS0_4arch9wavefront6targetE1EEEvS13_.private_seg_size, 0
	.set _ZN7rocprim17ROCPRIM_400000_NS6detail17trampoline_kernelINS0_13select_configILj256ELj13ELNS0_17block_load_methodE3ELS4_3ELS4_3ELNS0_20block_scan_algorithmE0ELj4294967295EEENS1_25partition_config_selectorILNS1_17partition_subalgoE4EjNS0_10empty_typeEbEEZZNS1_14partition_implILS8_4ELb0ES6_15HIP_vector_typeIjLj2EENS0_17counting_iteratorIjlEEPS9_SG_NS0_5tupleIJPjSI_NS0_16reverse_iteratorISI_EEEEENSH_IJSG_SG_SG_EEES9_SI_JZNS1_25segmented_radix_sort_implINS0_14default_configELb1EPK6__halfPSP_PKlPlN2at6native12_GLOBAL__N_18offset_tEEE10hipError_tPvRmT1_PNSt15iterator_traitsIS13_E10value_typeET2_T3_PNS14_IS19_E10value_typeET4_jRbjT5_S1F_jjP12ihipStream_tbEUljE_ZNSN_ISO_Lb1ESR_SS_SU_SV_SZ_EES10_S11_S12_S13_S17_S18_S19_S1C_S1D_jS1E_jS1F_S1F_jjS1H_bEUljE0_EEES10_S11_S12_S19_S1D_S1F_T6_T7_T9_mT8_S1H_bDpT10_ENKUlT_T0_E_clISt17integral_constantIbLb0EES1U_IbLb1EEEEDaS1Q_S1R_EUlS1Q_E_NS1_11comp_targetILNS1_3genE4ELNS1_11target_archE910ELNS1_3gpuE8ELNS1_3repE0EEENS1_30default_config_static_selectorELNS0_4arch9wavefront6targetE1EEEvS13_.uses_vcc, 0
	.set _ZN7rocprim17ROCPRIM_400000_NS6detail17trampoline_kernelINS0_13select_configILj256ELj13ELNS0_17block_load_methodE3ELS4_3ELS4_3ELNS0_20block_scan_algorithmE0ELj4294967295EEENS1_25partition_config_selectorILNS1_17partition_subalgoE4EjNS0_10empty_typeEbEEZZNS1_14partition_implILS8_4ELb0ES6_15HIP_vector_typeIjLj2EENS0_17counting_iteratorIjlEEPS9_SG_NS0_5tupleIJPjSI_NS0_16reverse_iteratorISI_EEEEENSH_IJSG_SG_SG_EEES9_SI_JZNS1_25segmented_radix_sort_implINS0_14default_configELb1EPK6__halfPSP_PKlPlN2at6native12_GLOBAL__N_18offset_tEEE10hipError_tPvRmT1_PNSt15iterator_traitsIS13_E10value_typeET2_T3_PNS14_IS19_E10value_typeET4_jRbjT5_S1F_jjP12ihipStream_tbEUljE_ZNSN_ISO_Lb1ESR_SS_SU_SV_SZ_EES10_S11_S12_S13_S17_S18_S19_S1C_S1D_jS1E_jS1F_S1F_jjS1H_bEUljE0_EEES10_S11_S12_S19_S1D_S1F_T6_T7_T9_mT8_S1H_bDpT10_ENKUlT_T0_E_clISt17integral_constantIbLb0EES1U_IbLb1EEEEDaS1Q_S1R_EUlS1Q_E_NS1_11comp_targetILNS1_3genE4ELNS1_11target_archE910ELNS1_3gpuE8ELNS1_3repE0EEENS1_30default_config_static_selectorELNS0_4arch9wavefront6targetE1EEEvS13_.uses_flat_scratch, 0
	.set _ZN7rocprim17ROCPRIM_400000_NS6detail17trampoline_kernelINS0_13select_configILj256ELj13ELNS0_17block_load_methodE3ELS4_3ELS4_3ELNS0_20block_scan_algorithmE0ELj4294967295EEENS1_25partition_config_selectorILNS1_17partition_subalgoE4EjNS0_10empty_typeEbEEZZNS1_14partition_implILS8_4ELb0ES6_15HIP_vector_typeIjLj2EENS0_17counting_iteratorIjlEEPS9_SG_NS0_5tupleIJPjSI_NS0_16reverse_iteratorISI_EEEEENSH_IJSG_SG_SG_EEES9_SI_JZNS1_25segmented_radix_sort_implINS0_14default_configELb1EPK6__halfPSP_PKlPlN2at6native12_GLOBAL__N_18offset_tEEE10hipError_tPvRmT1_PNSt15iterator_traitsIS13_E10value_typeET2_T3_PNS14_IS19_E10value_typeET4_jRbjT5_S1F_jjP12ihipStream_tbEUljE_ZNSN_ISO_Lb1ESR_SS_SU_SV_SZ_EES10_S11_S12_S13_S17_S18_S19_S1C_S1D_jS1E_jS1F_S1F_jjS1H_bEUljE0_EEES10_S11_S12_S19_S1D_S1F_T6_T7_T9_mT8_S1H_bDpT10_ENKUlT_T0_E_clISt17integral_constantIbLb0EES1U_IbLb1EEEEDaS1Q_S1R_EUlS1Q_E_NS1_11comp_targetILNS1_3genE4ELNS1_11target_archE910ELNS1_3gpuE8ELNS1_3repE0EEENS1_30default_config_static_selectorELNS0_4arch9wavefront6targetE1EEEvS13_.has_dyn_sized_stack, 0
	.set _ZN7rocprim17ROCPRIM_400000_NS6detail17trampoline_kernelINS0_13select_configILj256ELj13ELNS0_17block_load_methodE3ELS4_3ELS4_3ELNS0_20block_scan_algorithmE0ELj4294967295EEENS1_25partition_config_selectorILNS1_17partition_subalgoE4EjNS0_10empty_typeEbEEZZNS1_14partition_implILS8_4ELb0ES6_15HIP_vector_typeIjLj2EENS0_17counting_iteratorIjlEEPS9_SG_NS0_5tupleIJPjSI_NS0_16reverse_iteratorISI_EEEEENSH_IJSG_SG_SG_EEES9_SI_JZNS1_25segmented_radix_sort_implINS0_14default_configELb1EPK6__halfPSP_PKlPlN2at6native12_GLOBAL__N_18offset_tEEE10hipError_tPvRmT1_PNSt15iterator_traitsIS13_E10value_typeET2_T3_PNS14_IS19_E10value_typeET4_jRbjT5_S1F_jjP12ihipStream_tbEUljE_ZNSN_ISO_Lb1ESR_SS_SU_SV_SZ_EES10_S11_S12_S13_S17_S18_S19_S1C_S1D_jS1E_jS1F_S1F_jjS1H_bEUljE0_EEES10_S11_S12_S19_S1D_S1F_T6_T7_T9_mT8_S1H_bDpT10_ENKUlT_T0_E_clISt17integral_constantIbLb0EES1U_IbLb1EEEEDaS1Q_S1R_EUlS1Q_E_NS1_11comp_targetILNS1_3genE4ELNS1_11target_archE910ELNS1_3gpuE8ELNS1_3repE0EEENS1_30default_config_static_selectorELNS0_4arch9wavefront6targetE1EEEvS13_.has_recursion, 0
	.set _ZN7rocprim17ROCPRIM_400000_NS6detail17trampoline_kernelINS0_13select_configILj256ELj13ELNS0_17block_load_methodE3ELS4_3ELS4_3ELNS0_20block_scan_algorithmE0ELj4294967295EEENS1_25partition_config_selectorILNS1_17partition_subalgoE4EjNS0_10empty_typeEbEEZZNS1_14partition_implILS8_4ELb0ES6_15HIP_vector_typeIjLj2EENS0_17counting_iteratorIjlEEPS9_SG_NS0_5tupleIJPjSI_NS0_16reverse_iteratorISI_EEEEENSH_IJSG_SG_SG_EEES9_SI_JZNS1_25segmented_radix_sort_implINS0_14default_configELb1EPK6__halfPSP_PKlPlN2at6native12_GLOBAL__N_18offset_tEEE10hipError_tPvRmT1_PNSt15iterator_traitsIS13_E10value_typeET2_T3_PNS14_IS19_E10value_typeET4_jRbjT5_S1F_jjP12ihipStream_tbEUljE_ZNSN_ISO_Lb1ESR_SS_SU_SV_SZ_EES10_S11_S12_S13_S17_S18_S19_S1C_S1D_jS1E_jS1F_S1F_jjS1H_bEUljE0_EEES10_S11_S12_S19_S1D_S1F_T6_T7_T9_mT8_S1H_bDpT10_ENKUlT_T0_E_clISt17integral_constantIbLb0EES1U_IbLb1EEEEDaS1Q_S1R_EUlS1Q_E_NS1_11comp_targetILNS1_3genE4ELNS1_11target_archE910ELNS1_3gpuE8ELNS1_3repE0EEENS1_30default_config_static_selectorELNS0_4arch9wavefront6targetE1EEEvS13_.has_indirect_call, 0
	.section	.AMDGPU.csdata,"",@progbits
; Kernel info:
; codeLenInByte = 0
; TotalNumSgprs: 4
; NumVgprs: 0
; ScratchSize: 0
; MemoryBound: 0
; FloatMode: 240
; IeeeMode: 1
; LDSByteSize: 0 bytes/workgroup (compile time only)
; SGPRBlocks: 0
; VGPRBlocks: 0
; NumSGPRsForWavesPerEU: 4
; NumVGPRsForWavesPerEU: 1
; Occupancy: 10
; WaveLimiterHint : 0
; COMPUTE_PGM_RSRC2:SCRATCH_EN: 0
; COMPUTE_PGM_RSRC2:USER_SGPR: 6
; COMPUTE_PGM_RSRC2:TRAP_HANDLER: 0
; COMPUTE_PGM_RSRC2:TGID_X_EN: 1
; COMPUTE_PGM_RSRC2:TGID_Y_EN: 0
; COMPUTE_PGM_RSRC2:TGID_Z_EN: 0
; COMPUTE_PGM_RSRC2:TIDIG_COMP_CNT: 0
	.section	.text._ZN7rocprim17ROCPRIM_400000_NS6detail17trampoline_kernelINS0_13select_configILj256ELj13ELNS0_17block_load_methodE3ELS4_3ELS4_3ELNS0_20block_scan_algorithmE0ELj4294967295EEENS1_25partition_config_selectorILNS1_17partition_subalgoE4EjNS0_10empty_typeEbEEZZNS1_14partition_implILS8_4ELb0ES6_15HIP_vector_typeIjLj2EENS0_17counting_iteratorIjlEEPS9_SG_NS0_5tupleIJPjSI_NS0_16reverse_iteratorISI_EEEEENSH_IJSG_SG_SG_EEES9_SI_JZNS1_25segmented_radix_sort_implINS0_14default_configELb1EPK6__halfPSP_PKlPlN2at6native12_GLOBAL__N_18offset_tEEE10hipError_tPvRmT1_PNSt15iterator_traitsIS13_E10value_typeET2_T3_PNS14_IS19_E10value_typeET4_jRbjT5_S1F_jjP12ihipStream_tbEUljE_ZNSN_ISO_Lb1ESR_SS_SU_SV_SZ_EES10_S11_S12_S13_S17_S18_S19_S1C_S1D_jS1E_jS1F_S1F_jjS1H_bEUljE0_EEES10_S11_S12_S19_S1D_S1F_T6_T7_T9_mT8_S1H_bDpT10_ENKUlT_T0_E_clISt17integral_constantIbLb0EES1U_IbLb1EEEEDaS1Q_S1R_EUlS1Q_E_NS1_11comp_targetILNS1_3genE3ELNS1_11target_archE908ELNS1_3gpuE7ELNS1_3repE0EEENS1_30default_config_static_selectorELNS0_4arch9wavefront6targetE1EEEvS13_,"axG",@progbits,_ZN7rocprim17ROCPRIM_400000_NS6detail17trampoline_kernelINS0_13select_configILj256ELj13ELNS0_17block_load_methodE3ELS4_3ELS4_3ELNS0_20block_scan_algorithmE0ELj4294967295EEENS1_25partition_config_selectorILNS1_17partition_subalgoE4EjNS0_10empty_typeEbEEZZNS1_14partition_implILS8_4ELb0ES6_15HIP_vector_typeIjLj2EENS0_17counting_iteratorIjlEEPS9_SG_NS0_5tupleIJPjSI_NS0_16reverse_iteratorISI_EEEEENSH_IJSG_SG_SG_EEES9_SI_JZNS1_25segmented_radix_sort_implINS0_14default_configELb1EPK6__halfPSP_PKlPlN2at6native12_GLOBAL__N_18offset_tEEE10hipError_tPvRmT1_PNSt15iterator_traitsIS13_E10value_typeET2_T3_PNS14_IS19_E10value_typeET4_jRbjT5_S1F_jjP12ihipStream_tbEUljE_ZNSN_ISO_Lb1ESR_SS_SU_SV_SZ_EES10_S11_S12_S13_S17_S18_S19_S1C_S1D_jS1E_jS1F_S1F_jjS1H_bEUljE0_EEES10_S11_S12_S19_S1D_S1F_T6_T7_T9_mT8_S1H_bDpT10_ENKUlT_T0_E_clISt17integral_constantIbLb0EES1U_IbLb1EEEEDaS1Q_S1R_EUlS1Q_E_NS1_11comp_targetILNS1_3genE3ELNS1_11target_archE908ELNS1_3gpuE7ELNS1_3repE0EEENS1_30default_config_static_selectorELNS0_4arch9wavefront6targetE1EEEvS13_,comdat
	.globl	_ZN7rocprim17ROCPRIM_400000_NS6detail17trampoline_kernelINS0_13select_configILj256ELj13ELNS0_17block_load_methodE3ELS4_3ELS4_3ELNS0_20block_scan_algorithmE0ELj4294967295EEENS1_25partition_config_selectorILNS1_17partition_subalgoE4EjNS0_10empty_typeEbEEZZNS1_14partition_implILS8_4ELb0ES6_15HIP_vector_typeIjLj2EENS0_17counting_iteratorIjlEEPS9_SG_NS0_5tupleIJPjSI_NS0_16reverse_iteratorISI_EEEEENSH_IJSG_SG_SG_EEES9_SI_JZNS1_25segmented_radix_sort_implINS0_14default_configELb1EPK6__halfPSP_PKlPlN2at6native12_GLOBAL__N_18offset_tEEE10hipError_tPvRmT1_PNSt15iterator_traitsIS13_E10value_typeET2_T3_PNS14_IS19_E10value_typeET4_jRbjT5_S1F_jjP12ihipStream_tbEUljE_ZNSN_ISO_Lb1ESR_SS_SU_SV_SZ_EES10_S11_S12_S13_S17_S18_S19_S1C_S1D_jS1E_jS1F_S1F_jjS1H_bEUljE0_EEES10_S11_S12_S19_S1D_S1F_T6_T7_T9_mT8_S1H_bDpT10_ENKUlT_T0_E_clISt17integral_constantIbLb0EES1U_IbLb1EEEEDaS1Q_S1R_EUlS1Q_E_NS1_11comp_targetILNS1_3genE3ELNS1_11target_archE908ELNS1_3gpuE7ELNS1_3repE0EEENS1_30default_config_static_selectorELNS0_4arch9wavefront6targetE1EEEvS13_ ; -- Begin function _ZN7rocprim17ROCPRIM_400000_NS6detail17trampoline_kernelINS0_13select_configILj256ELj13ELNS0_17block_load_methodE3ELS4_3ELS4_3ELNS0_20block_scan_algorithmE0ELj4294967295EEENS1_25partition_config_selectorILNS1_17partition_subalgoE4EjNS0_10empty_typeEbEEZZNS1_14partition_implILS8_4ELb0ES6_15HIP_vector_typeIjLj2EENS0_17counting_iteratorIjlEEPS9_SG_NS0_5tupleIJPjSI_NS0_16reverse_iteratorISI_EEEEENSH_IJSG_SG_SG_EEES9_SI_JZNS1_25segmented_radix_sort_implINS0_14default_configELb1EPK6__halfPSP_PKlPlN2at6native12_GLOBAL__N_18offset_tEEE10hipError_tPvRmT1_PNSt15iterator_traitsIS13_E10value_typeET2_T3_PNS14_IS19_E10value_typeET4_jRbjT5_S1F_jjP12ihipStream_tbEUljE_ZNSN_ISO_Lb1ESR_SS_SU_SV_SZ_EES10_S11_S12_S13_S17_S18_S19_S1C_S1D_jS1E_jS1F_S1F_jjS1H_bEUljE0_EEES10_S11_S12_S19_S1D_S1F_T6_T7_T9_mT8_S1H_bDpT10_ENKUlT_T0_E_clISt17integral_constantIbLb0EES1U_IbLb1EEEEDaS1Q_S1R_EUlS1Q_E_NS1_11comp_targetILNS1_3genE3ELNS1_11target_archE908ELNS1_3gpuE7ELNS1_3repE0EEENS1_30default_config_static_selectorELNS0_4arch9wavefront6targetE1EEEvS13_
	.p2align	8
	.type	_ZN7rocprim17ROCPRIM_400000_NS6detail17trampoline_kernelINS0_13select_configILj256ELj13ELNS0_17block_load_methodE3ELS4_3ELS4_3ELNS0_20block_scan_algorithmE0ELj4294967295EEENS1_25partition_config_selectorILNS1_17partition_subalgoE4EjNS0_10empty_typeEbEEZZNS1_14partition_implILS8_4ELb0ES6_15HIP_vector_typeIjLj2EENS0_17counting_iteratorIjlEEPS9_SG_NS0_5tupleIJPjSI_NS0_16reverse_iteratorISI_EEEEENSH_IJSG_SG_SG_EEES9_SI_JZNS1_25segmented_radix_sort_implINS0_14default_configELb1EPK6__halfPSP_PKlPlN2at6native12_GLOBAL__N_18offset_tEEE10hipError_tPvRmT1_PNSt15iterator_traitsIS13_E10value_typeET2_T3_PNS14_IS19_E10value_typeET4_jRbjT5_S1F_jjP12ihipStream_tbEUljE_ZNSN_ISO_Lb1ESR_SS_SU_SV_SZ_EES10_S11_S12_S13_S17_S18_S19_S1C_S1D_jS1E_jS1F_S1F_jjS1H_bEUljE0_EEES10_S11_S12_S19_S1D_S1F_T6_T7_T9_mT8_S1H_bDpT10_ENKUlT_T0_E_clISt17integral_constantIbLb0EES1U_IbLb1EEEEDaS1Q_S1R_EUlS1Q_E_NS1_11comp_targetILNS1_3genE3ELNS1_11target_archE908ELNS1_3gpuE7ELNS1_3repE0EEENS1_30default_config_static_selectorELNS0_4arch9wavefront6targetE1EEEvS13_,@function
_ZN7rocprim17ROCPRIM_400000_NS6detail17trampoline_kernelINS0_13select_configILj256ELj13ELNS0_17block_load_methodE3ELS4_3ELS4_3ELNS0_20block_scan_algorithmE0ELj4294967295EEENS1_25partition_config_selectorILNS1_17partition_subalgoE4EjNS0_10empty_typeEbEEZZNS1_14partition_implILS8_4ELb0ES6_15HIP_vector_typeIjLj2EENS0_17counting_iteratorIjlEEPS9_SG_NS0_5tupleIJPjSI_NS0_16reverse_iteratorISI_EEEEENSH_IJSG_SG_SG_EEES9_SI_JZNS1_25segmented_radix_sort_implINS0_14default_configELb1EPK6__halfPSP_PKlPlN2at6native12_GLOBAL__N_18offset_tEEE10hipError_tPvRmT1_PNSt15iterator_traitsIS13_E10value_typeET2_T3_PNS14_IS19_E10value_typeET4_jRbjT5_S1F_jjP12ihipStream_tbEUljE_ZNSN_ISO_Lb1ESR_SS_SU_SV_SZ_EES10_S11_S12_S13_S17_S18_S19_S1C_S1D_jS1E_jS1F_S1F_jjS1H_bEUljE0_EEES10_S11_S12_S19_S1D_S1F_T6_T7_T9_mT8_S1H_bDpT10_ENKUlT_T0_E_clISt17integral_constantIbLb0EES1U_IbLb1EEEEDaS1Q_S1R_EUlS1Q_E_NS1_11comp_targetILNS1_3genE3ELNS1_11target_archE908ELNS1_3gpuE7ELNS1_3repE0EEENS1_30default_config_static_selectorELNS0_4arch9wavefront6targetE1EEEvS13_: ; @_ZN7rocprim17ROCPRIM_400000_NS6detail17trampoline_kernelINS0_13select_configILj256ELj13ELNS0_17block_load_methodE3ELS4_3ELS4_3ELNS0_20block_scan_algorithmE0ELj4294967295EEENS1_25partition_config_selectorILNS1_17partition_subalgoE4EjNS0_10empty_typeEbEEZZNS1_14partition_implILS8_4ELb0ES6_15HIP_vector_typeIjLj2EENS0_17counting_iteratorIjlEEPS9_SG_NS0_5tupleIJPjSI_NS0_16reverse_iteratorISI_EEEEENSH_IJSG_SG_SG_EEES9_SI_JZNS1_25segmented_radix_sort_implINS0_14default_configELb1EPK6__halfPSP_PKlPlN2at6native12_GLOBAL__N_18offset_tEEE10hipError_tPvRmT1_PNSt15iterator_traitsIS13_E10value_typeET2_T3_PNS14_IS19_E10value_typeET4_jRbjT5_S1F_jjP12ihipStream_tbEUljE_ZNSN_ISO_Lb1ESR_SS_SU_SV_SZ_EES10_S11_S12_S13_S17_S18_S19_S1C_S1D_jS1E_jS1F_S1F_jjS1H_bEUljE0_EEES10_S11_S12_S19_S1D_S1F_T6_T7_T9_mT8_S1H_bDpT10_ENKUlT_T0_E_clISt17integral_constantIbLb0EES1U_IbLb1EEEEDaS1Q_S1R_EUlS1Q_E_NS1_11comp_targetILNS1_3genE3ELNS1_11target_archE908ELNS1_3gpuE7ELNS1_3repE0EEENS1_30default_config_static_selectorELNS0_4arch9wavefront6targetE1EEEvS13_
; %bb.0:
	.section	.rodata,"a",@progbits
	.p2align	6, 0x0
	.amdhsa_kernel _ZN7rocprim17ROCPRIM_400000_NS6detail17trampoline_kernelINS0_13select_configILj256ELj13ELNS0_17block_load_methodE3ELS4_3ELS4_3ELNS0_20block_scan_algorithmE0ELj4294967295EEENS1_25partition_config_selectorILNS1_17partition_subalgoE4EjNS0_10empty_typeEbEEZZNS1_14partition_implILS8_4ELb0ES6_15HIP_vector_typeIjLj2EENS0_17counting_iteratorIjlEEPS9_SG_NS0_5tupleIJPjSI_NS0_16reverse_iteratorISI_EEEEENSH_IJSG_SG_SG_EEES9_SI_JZNS1_25segmented_radix_sort_implINS0_14default_configELb1EPK6__halfPSP_PKlPlN2at6native12_GLOBAL__N_18offset_tEEE10hipError_tPvRmT1_PNSt15iterator_traitsIS13_E10value_typeET2_T3_PNS14_IS19_E10value_typeET4_jRbjT5_S1F_jjP12ihipStream_tbEUljE_ZNSN_ISO_Lb1ESR_SS_SU_SV_SZ_EES10_S11_S12_S13_S17_S18_S19_S1C_S1D_jS1E_jS1F_S1F_jjS1H_bEUljE0_EEES10_S11_S12_S19_S1D_S1F_T6_T7_T9_mT8_S1H_bDpT10_ENKUlT_T0_E_clISt17integral_constantIbLb0EES1U_IbLb1EEEEDaS1Q_S1R_EUlS1Q_E_NS1_11comp_targetILNS1_3genE3ELNS1_11target_archE908ELNS1_3gpuE7ELNS1_3repE0EEENS1_30default_config_static_selectorELNS0_4arch9wavefront6targetE1EEEvS13_
		.amdhsa_group_segment_fixed_size 0
		.amdhsa_private_segment_fixed_size 0
		.amdhsa_kernarg_size 184
		.amdhsa_user_sgpr_count 6
		.amdhsa_user_sgpr_private_segment_buffer 1
		.amdhsa_user_sgpr_dispatch_ptr 0
		.amdhsa_user_sgpr_queue_ptr 0
		.amdhsa_user_sgpr_kernarg_segment_ptr 1
		.amdhsa_user_sgpr_dispatch_id 0
		.amdhsa_user_sgpr_flat_scratch_init 0
		.amdhsa_user_sgpr_private_segment_size 0
		.amdhsa_uses_dynamic_stack 0
		.amdhsa_system_sgpr_private_segment_wavefront_offset 0
		.amdhsa_system_sgpr_workgroup_id_x 1
		.amdhsa_system_sgpr_workgroup_id_y 0
		.amdhsa_system_sgpr_workgroup_id_z 0
		.amdhsa_system_sgpr_workgroup_info 0
		.amdhsa_system_vgpr_workitem_id 0
		.amdhsa_next_free_vgpr 1
		.amdhsa_next_free_sgpr 0
		.amdhsa_reserve_vcc 0
		.amdhsa_reserve_flat_scratch 0
		.amdhsa_float_round_mode_32 0
		.amdhsa_float_round_mode_16_64 0
		.amdhsa_float_denorm_mode_32 3
		.amdhsa_float_denorm_mode_16_64 3
		.amdhsa_dx10_clamp 1
		.amdhsa_ieee_mode 1
		.amdhsa_fp16_overflow 0
		.amdhsa_exception_fp_ieee_invalid_op 0
		.amdhsa_exception_fp_denorm_src 0
		.amdhsa_exception_fp_ieee_div_zero 0
		.amdhsa_exception_fp_ieee_overflow 0
		.amdhsa_exception_fp_ieee_underflow 0
		.amdhsa_exception_fp_ieee_inexact 0
		.amdhsa_exception_int_div_zero 0
	.end_amdhsa_kernel
	.section	.text._ZN7rocprim17ROCPRIM_400000_NS6detail17trampoline_kernelINS0_13select_configILj256ELj13ELNS0_17block_load_methodE3ELS4_3ELS4_3ELNS0_20block_scan_algorithmE0ELj4294967295EEENS1_25partition_config_selectorILNS1_17partition_subalgoE4EjNS0_10empty_typeEbEEZZNS1_14partition_implILS8_4ELb0ES6_15HIP_vector_typeIjLj2EENS0_17counting_iteratorIjlEEPS9_SG_NS0_5tupleIJPjSI_NS0_16reverse_iteratorISI_EEEEENSH_IJSG_SG_SG_EEES9_SI_JZNS1_25segmented_radix_sort_implINS0_14default_configELb1EPK6__halfPSP_PKlPlN2at6native12_GLOBAL__N_18offset_tEEE10hipError_tPvRmT1_PNSt15iterator_traitsIS13_E10value_typeET2_T3_PNS14_IS19_E10value_typeET4_jRbjT5_S1F_jjP12ihipStream_tbEUljE_ZNSN_ISO_Lb1ESR_SS_SU_SV_SZ_EES10_S11_S12_S13_S17_S18_S19_S1C_S1D_jS1E_jS1F_S1F_jjS1H_bEUljE0_EEES10_S11_S12_S19_S1D_S1F_T6_T7_T9_mT8_S1H_bDpT10_ENKUlT_T0_E_clISt17integral_constantIbLb0EES1U_IbLb1EEEEDaS1Q_S1R_EUlS1Q_E_NS1_11comp_targetILNS1_3genE3ELNS1_11target_archE908ELNS1_3gpuE7ELNS1_3repE0EEENS1_30default_config_static_selectorELNS0_4arch9wavefront6targetE1EEEvS13_,"axG",@progbits,_ZN7rocprim17ROCPRIM_400000_NS6detail17trampoline_kernelINS0_13select_configILj256ELj13ELNS0_17block_load_methodE3ELS4_3ELS4_3ELNS0_20block_scan_algorithmE0ELj4294967295EEENS1_25partition_config_selectorILNS1_17partition_subalgoE4EjNS0_10empty_typeEbEEZZNS1_14partition_implILS8_4ELb0ES6_15HIP_vector_typeIjLj2EENS0_17counting_iteratorIjlEEPS9_SG_NS0_5tupleIJPjSI_NS0_16reverse_iteratorISI_EEEEENSH_IJSG_SG_SG_EEES9_SI_JZNS1_25segmented_radix_sort_implINS0_14default_configELb1EPK6__halfPSP_PKlPlN2at6native12_GLOBAL__N_18offset_tEEE10hipError_tPvRmT1_PNSt15iterator_traitsIS13_E10value_typeET2_T3_PNS14_IS19_E10value_typeET4_jRbjT5_S1F_jjP12ihipStream_tbEUljE_ZNSN_ISO_Lb1ESR_SS_SU_SV_SZ_EES10_S11_S12_S13_S17_S18_S19_S1C_S1D_jS1E_jS1F_S1F_jjS1H_bEUljE0_EEES10_S11_S12_S19_S1D_S1F_T6_T7_T9_mT8_S1H_bDpT10_ENKUlT_T0_E_clISt17integral_constantIbLb0EES1U_IbLb1EEEEDaS1Q_S1R_EUlS1Q_E_NS1_11comp_targetILNS1_3genE3ELNS1_11target_archE908ELNS1_3gpuE7ELNS1_3repE0EEENS1_30default_config_static_selectorELNS0_4arch9wavefront6targetE1EEEvS13_,comdat
.Lfunc_end1702:
	.size	_ZN7rocprim17ROCPRIM_400000_NS6detail17trampoline_kernelINS0_13select_configILj256ELj13ELNS0_17block_load_methodE3ELS4_3ELS4_3ELNS0_20block_scan_algorithmE0ELj4294967295EEENS1_25partition_config_selectorILNS1_17partition_subalgoE4EjNS0_10empty_typeEbEEZZNS1_14partition_implILS8_4ELb0ES6_15HIP_vector_typeIjLj2EENS0_17counting_iteratorIjlEEPS9_SG_NS0_5tupleIJPjSI_NS0_16reverse_iteratorISI_EEEEENSH_IJSG_SG_SG_EEES9_SI_JZNS1_25segmented_radix_sort_implINS0_14default_configELb1EPK6__halfPSP_PKlPlN2at6native12_GLOBAL__N_18offset_tEEE10hipError_tPvRmT1_PNSt15iterator_traitsIS13_E10value_typeET2_T3_PNS14_IS19_E10value_typeET4_jRbjT5_S1F_jjP12ihipStream_tbEUljE_ZNSN_ISO_Lb1ESR_SS_SU_SV_SZ_EES10_S11_S12_S13_S17_S18_S19_S1C_S1D_jS1E_jS1F_S1F_jjS1H_bEUljE0_EEES10_S11_S12_S19_S1D_S1F_T6_T7_T9_mT8_S1H_bDpT10_ENKUlT_T0_E_clISt17integral_constantIbLb0EES1U_IbLb1EEEEDaS1Q_S1R_EUlS1Q_E_NS1_11comp_targetILNS1_3genE3ELNS1_11target_archE908ELNS1_3gpuE7ELNS1_3repE0EEENS1_30default_config_static_selectorELNS0_4arch9wavefront6targetE1EEEvS13_, .Lfunc_end1702-_ZN7rocprim17ROCPRIM_400000_NS6detail17trampoline_kernelINS0_13select_configILj256ELj13ELNS0_17block_load_methodE3ELS4_3ELS4_3ELNS0_20block_scan_algorithmE0ELj4294967295EEENS1_25partition_config_selectorILNS1_17partition_subalgoE4EjNS0_10empty_typeEbEEZZNS1_14partition_implILS8_4ELb0ES6_15HIP_vector_typeIjLj2EENS0_17counting_iteratorIjlEEPS9_SG_NS0_5tupleIJPjSI_NS0_16reverse_iteratorISI_EEEEENSH_IJSG_SG_SG_EEES9_SI_JZNS1_25segmented_radix_sort_implINS0_14default_configELb1EPK6__halfPSP_PKlPlN2at6native12_GLOBAL__N_18offset_tEEE10hipError_tPvRmT1_PNSt15iterator_traitsIS13_E10value_typeET2_T3_PNS14_IS19_E10value_typeET4_jRbjT5_S1F_jjP12ihipStream_tbEUljE_ZNSN_ISO_Lb1ESR_SS_SU_SV_SZ_EES10_S11_S12_S13_S17_S18_S19_S1C_S1D_jS1E_jS1F_S1F_jjS1H_bEUljE0_EEES10_S11_S12_S19_S1D_S1F_T6_T7_T9_mT8_S1H_bDpT10_ENKUlT_T0_E_clISt17integral_constantIbLb0EES1U_IbLb1EEEEDaS1Q_S1R_EUlS1Q_E_NS1_11comp_targetILNS1_3genE3ELNS1_11target_archE908ELNS1_3gpuE7ELNS1_3repE0EEENS1_30default_config_static_selectorELNS0_4arch9wavefront6targetE1EEEvS13_
                                        ; -- End function
	.set _ZN7rocprim17ROCPRIM_400000_NS6detail17trampoline_kernelINS0_13select_configILj256ELj13ELNS0_17block_load_methodE3ELS4_3ELS4_3ELNS0_20block_scan_algorithmE0ELj4294967295EEENS1_25partition_config_selectorILNS1_17partition_subalgoE4EjNS0_10empty_typeEbEEZZNS1_14partition_implILS8_4ELb0ES6_15HIP_vector_typeIjLj2EENS0_17counting_iteratorIjlEEPS9_SG_NS0_5tupleIJPjSI_NS0_16reverse_iteratorISI_EEEEENSH_IJSG_SG_SG_EEES9_SI_JZNS1_25segmented_radix_sort_implINS0_14default_configELb1EPK6__halfPSP_PKlPlN2at6native12_GLOBAL__N_18offset_tEEE10hipError_tPvRmT1_PNSt15iterator_traitsIS13_E10value_typeET2_T3_PNS14_IS19_E10value_typeET4_jRbjT5_S1F_jjP12ihipStream_tbEUljE_ZNSN_ISO_Lb1ESR_SS_SU_SV_SZ_EES10_S11_S12_S13_S17_S18_S19_S1C_S1D_jS1E_jS1F_S1F_jjS1H_bEUljE0_EEES10_S11_S12_S19_S1D_S1F_T6_T7_T9_mT8_S1H_bDpT10_ENKUlT_T0_E_clISt17integral_constantIbLb0EES1U_IbLb1EEEEDaS1Q_S1R_EUlS1Q_E_NS1_11comp_targetILNS1_3genE3ELNS1_11target_archE908ELNS1_3gpuE7ELNS1_3repE0EEENS1_30default_config_static_selectorELNS0_4arch9wavefront6targetE1EEEvS13_.num_vgpr, 0
	.set _ZN7rocprim17ROCPRIM_400000_NS6detail17trampoline_kernelINS0_13select_configILj256ELj13ELNS0_17block_load_methodE3ELS4_3ELS4_3ELNS0_20block_scan_algorithmE0ELj4294967295EEENS1_25partition_config_selectorILNS1_17partition_subalgoE4EjNS0_10empty_typeEbEEZZNS1_14partition_implILS8_4ELb0ES6_15HIP_vector_typeIjLj2EENS0_17counting_iteratorIjlEEPS9_SG_NS0_5tupleIJPjSI_NS0_16reverse_iteratorISI_EEEEENSH_IJSG_SG_SG_EEES9_SI_JZNS1_25segmented_radix_sort_implINS0_14default_configELb1EPK6__halfPSP_PKlPlN2at6native12_GLOBAL__N_18offset_tEEE10hipError_tPvRmT1_PNSt15iterator_traitsIS13_E10value_typeET2_T3_PNS14_IS19_E10value_typeET4_jRbjT5_S1F_jjP12ihipStream_tbEUljE_ZNSN_ISO_Lb1ESR_SS_SU_SV_SZ_EES10_S11_S12_S13_S17_S18_S19_S1C_S1D_jS1E_jS1F_S1F_jjS1H_bEUljE0_EEES10_S11_S12_S19_S1D_S1F_T6_T7_T9_mT8_S1H_bDpT10_ENKUlT_T0_E_clISt17integral_constantIbLb0EES1U_IbLb1EEEEDaS1Q_S1R_EUlS1Q_E_NS1_11comp_targetILNS1_3genE3ELNS1_11target_archE908ELNS1_3gpuE7ELNS1_3repE0EEENS1_30default_config_static_selectorELNS0_4arch9wavefront6targetE1EEEvS13_.num_agpr, 0
	.set _ZN7rocprim17ROCPRIM_400000_NS6detail17trampoline_kernelINS0_13select_configILj256ELj13ELNS0_17block_load_methodE3ELS4_3ELS4_3ELNS0_20block_scan_algorithmE0ELj4294967295EEENS1_25partition_config_selectorILNS1_17partition_subalgoE4EjNS0_10empty_typeEbEEZZNS1_14partition_implILS8_4ELb0ES6_15HIP_vector_typeIjLj2EENS0_17counting_iteratorIjlEEPS9_SG_NS0_5tupleIJPjSI_NS0_16reverse_iteratorISI_EEEEENSH_IJSG_SG_SG_EEES9_SI_JZNS1_25segmented_radix_sort_implINS0_14default_configELb1EPK6__halfPSP_PKlPlN2at6native12_GLOBAL__N_18offset_tEEE10hipError_tPvRmT1_PNSt15iterator_traitsIS13_E10value_typeET2_T3_PNS14_IS19_E10value_typeET4_jRbjT5_S1F_jjP12ihipStream_tbEUljE_ZNSN_ISO_Lb1ESR_SS_SU_SV_SZ_EES10_S11_S12_S13_S17_S18_S19_S1C_S1D_jS1E_jS1F_S1F_jjS1H_bEUljE0_EEES10_S11_S12_S19_S1D_S1F_T6_T7_T9_mT8_S1H_bDpT10_ENKUlT_T0_E_clISt17integral_constantIbLb0EES1U_IbLb1EEEEDaS1Q_S1R_EUlS1Q_E_NS1_11comp_targetILNS1_3genE3ELNS1_11target_archE908ELNS1_3gpuE7ELNS1_3repE0EEENS1_30default_config_static_selectorELNS0_4arch9wavefront6targetE1EEEvS13_.numbered_sgpr, 0
	.set _ZN7rocprim17ROCPRIM_400000_NS6detail17trampoline_kernelINS0_13select_configILj256ELj13ELNS0_17block_load_methodE3ELS4_3ELS4_3ELNS0_20block_scan_algorithmE0ELj4294967295EEENS1_25partition_config_selectorILNS1_17partition_subalgoE4EjNS0_10empty_typeEbEEZZNS1_14partition_implILS8_4ELb0ES6_15HIP_vector_typeIjLj2EENS0_17counting_iteratorIjlEEPS9_SG_NS0_5tupleIJPjSI_NS0_16reverse_iteratorISI_EEEEENSH_IJSG_SG_SG_EEES9_SI_JZNS1_25segmented_radix_sort_implINS0_14default_configELb1EPK6__halfPSP_PKlPlN2at6native12_GLOBAL__N_18offset_tEEE10hipError_tPvRmT1_PNSt15iterator_traitsIS13_E10value_typeET2_T3_PNS14_IS19_E10value_typeET4_jRbjT5_S1F_jjP12ihipStream_tbEUljE_ZNSN_ISO_Lb1ESR_SS_SU_SV_SZ_EES10_S11_S12_S13_S17_S18_S19_S1C_S1D_jS1E_jS1F_S1F_jjS1H_bEUljE0_EEES10_S11_S12_S19_S1D_S1F_T6_T7_T9_mT8_S1H_bDpT10_ENKUlT_T0_E_clISt17integral_constantIbLb0EES1U_IbLb1EEEEDaS1Q_S1R_EUlS1Q_E_NS1_11comp_targetILNS1_3genE3ELNS1_11target_archE908ELNS1_3gpuE7ELNS1_3repE0EEENS1_30default_config_static_selectorELNS0_4arch9wavefront6targetE1EEEvS13_.num_named_barrier, 0
	.set _ZN7rocprim17ROCPRIM_400000_NS6detail17trampoline_kernelINS0_13select_configILj256ELj13ELNS0_17block_load_methodE3ELS4_3ELS4_3ELNS0_20block_scan_algorithmE0ELj4294967295EEENS1_25partition_config_selectorILNS1_17partition_subalgoE4EjNS0_10empty_typeEbEEZZNS1_14partition_implILS8_4ELb0ES6_15HIP_vector_typeIjLj2EENS0_17counting_iteratorIjlEEPS9_SG_NS0_5tupleIJPjSI_NS0_16reverse_iteratorISI_EEEEENSH_IJSG_SG_SG_EEES9_SI_JZNS1_25segmented_radix_sort_implINS0_14default_configELb1EPK6__halfPSP_PKlPlN2at6native12_GLOBAL__N_18offset_tEEE10hipError_tPvRmT1_PNSt15iterator_traitsIS13_E10value_typeET2_T3_PNS14_IS19_E10value_typeET4_jRbjT5_S1F_jjP12ihipStream_tbEUljE_ZNSN_ISO_Lb1ESR_SS_SU_SV_SZ_EES10_S11_S12_S13_S17_S18_S19_S1C_S1D_jS1E_jS1F_S1F_jjS1H_bEUljE0_EEES10_S11_S12_S19_S1D_S1F_T6_T7_T9_mT8_S1H_bDpT10_ENKUlT_T0_E_clISt17integral_constantIbLb0EES1U_IbLb1EEEEDaS1Q_S1R_EUlS1Q_E_NS1_11comp_targetILNS1_3genE3ELNS1_11target_archE908ELNS1_3gpuE7ELNS1_3repE0EEENS1_30default_config_static_selectorELNS0_4arch9wavefront6targetE1EEEvS13_.private_seg_size, 0
	.set _ZN7rocprim17ROCPRIM_400000_NS6detail17trampoline_kernelINS0_13select_configILj256ELj13ELNS0_17block_load_methodE3ELS4_3ELS4_3ELNS0_20block_scan_algorithmE0ELj4294967295EEENS1_25partition_config_selectorILNS1_17partition_subalgoE4EjNS0_10empty_typeEbEEZZNS1_14partition_implILS8_4ELb0ES6_15HIP_vector_typeIjLj2EENS0_17counting_iteratorIjlEEPS9_SG_NS0_5tupleIJPjSI_NS0_16reverse_iteratorISI_EEEEENSH_IJSG_SG_SG_EEES9_SI_JZNS1_25segmented_radix_sort_implINS0_14default_configELb1EPK6__halfPSP_PKlPlN2at6native12_GLOBAL__N_18offset_tEEE10hipError_tPvRmT1_PNSt15iterator_traitsIS13_E10value_typeET2_T3_PNS14_IS19_E10value_typeET4_jRbjT5_S1F_jjP12ihipStream_tbEUljE_ZNSN_ISO_Lb1ESR_SS_SU_SV_SZ_EES10_S11_S12_S13_S17_S18_S19_S1C_S1D_jS1E_jS1F_S1F_jjS1H_bEUljE0_EEES10_S11_S12_S19_S1D_S1F_T6_T7_T9_mT8_S1H_bDpT10_ENKUlT_T0_E_clISt17integral_constantIbLb0EES1U_IbLb1EEEEDaS1Q_S1R_EUlS1Q_E_NS1_11comp_targetILNS1_3genE3ELNS1_11target_archE908ELNS1_3gpuE7ELNS1_3repE0EEENS1_30default_config_static_selectorELNS0_4arch9wavefront6targetE1EEEvS13_.uses_vcc, 0
	.set _ZN7rocprim17ROCPRIM_400000_NS6detail17trampoline_kernelINS0_13select_configILj256ELj13ELNS0_17block_load_methodE3ELS4_3ELS4_3ELNS0_20block_scan_algorithmE0ELj4294967295EEENS1_25partition_config_selectorILNS1_17partition_subalgoE4EjNS0_10empty_typeEbEEZZNS1_14partition_implILS8_4ELb0ES6_15HIP_vector_typeIjLj2EENS0_17counting_iteratorIjlEEPS9_SG_NS0_5tupleIJPjSI_NS0_16reverse_iteratorISI_EEEEENSH_IJSG_SG_SG_EEES9_SI_JZNS1_25segmented_radix_sort_implINS0_14default_configELb1EPK6__halfPSP_PKlPlN2at6native12_GLOBAL__N_18offset_tEEE10hipError_tPvRmT1_PNSt15iterator_traitsIS13_E10value_typeET2_T3_PNS14_IS19_E10value_typeET4_jRbjT5_S1F_jjP12ihipStream_tbEUljE_ZNSN_ISO_Lb1ESR_SS_SU_SV_SZ_EES10_S11_S12_S13_S17_S18_S19_S1C_S1D_jS1E_jS1F_S1F_jjS1H_bEUljE0_EEES10_S11_S12_S19_S1D_S1F_T6_T7_T9_mT8_S1H_bDpT10_ENKUlT_T0_E_clISt17integral_constantIbLb0EES1U_IbLb1EEEEDaS1Q_S1R_EUlS1Q_E_NS1_11comp_targetILNS1_3genE3ELNS1_11target_archE908ELNS1_3gpuE7ELNS1_3repE0EEENS1_30default_config_static_selectorELNS0_4arch9wavefront6targetE1EEEvS13_.uses_flat_scratch, 0
	.set _ZN7rocprim17ROCPRIM_400000_NS6detail17trampoline_kernelINS0_13select_configILj256ELj13ELNS0_17block_load_methodE3ELS4_3ELS4_3ELNS0_20block_scan_algorithmE0ELj4294967295EEENS1_25partition_config_selectorILNS1_17partition_subalgoE4EjNS0_10empty_typeEbEEZZNS1_14partition_implILS8_4ELb0ES6_15HIP_vector_typeIjLj2EENS0_17counting_iteratorIjlEEPS9_SG_NS0_5tupleIJPjSI_NS0_16reverse_iteratorISI_EEEEENSH_IJSG_SG_SG_EEES9_SI_JZNS1_25segmented_radix_sort_implINS0_14default_configELb1EPK6__halfPSP_PKlPlN2at6native12_GLOBAL__N_18offset_tEEE10hipError_tPvRmT1_PNSt15iterator_traitsIS13_E10value_typeET2_T3_PNS14_IS19_E10value_typeET4_jRbjT5_S1F_jjP12ihipStream_tbEUljE_ZNSN_ISO_Lb1ESR_SS_SU_SV_SZ_EES10_S11_S12_S13_S17_S18_S19_S1C_S1D_jS1E_jS1F_S1F_jjS1H_bEUljE0_EEES10_S11_S12_S19_S1D_S1F_T6_T7_T9_mT8_S1H_bDpT10_ENKUlT_T0_E_clISt17integral_constantIbLb0EES1U_IbLb1EEEEDaS1Q_S1R_EUlS1Q_E_NS1_11comp_targetILNS1_3genE3ELNS1_11target_archE908ELNS1_3gpuE7ELNS1_3repE0EEENS1_30default_config_static_selectorELNS0_4arch9wavefront6targetE1EEEvS13_.has_dyn_sized_stack, 0
	.set _ZN7rocprim17ROCPRIM_400000_NS6detail17trampoline_kernelINS0_13select_configILj256ELj13ELNS0_17block_load_methodE3ELS4_3ELS4_3ELNS0_20block_scan_algorithmE0ELj4294967295EEENS1_25partition_config_selectorILNS1_17partition_subalgoE4EjNS0_10empty_typeEbEEZZNS1_14partition_implILS8_4ELb0ES6_15HIP_vector_typeIjLj2EENS0_17counting_iteratorIjlEEPS9_SG_NS0_5tupleIJPjSI_NS0_16reverse_iteratorISI_EEEEENSH_IJSG_SG_SG_EEES9_SI_JZNS1_25segmented_radix_sort_implINS0_14default_configELb1EPK6__halfPSP_PKlPlN2at6native12_GLOBAL__N_18offset_tEEE10hipError_tPvRmT1_PNSt15iterator_traitsIS13_E10value_typeET2_T3_PNS14_IS19_E10value_typeET4_jRbjT5_S1F_jjP12ihipStream_tbEUljE_ZNSN_ISO_Lb1ESR_SS_SU_SV_SZ_EES10_S11_S12_S13_S17_S18_S19_S1C_S1D_jS1E_jS1F_S1F_jjS1H_bEUljE0_EEES10_S11_S12_S19_S1D_S1F_T6_T7_T9_mT8_S1H_bDpT10_ENKUlT_T0_E_clISt17integral_constantIbLb0EES1U_IbLb1EEEEDaS1Q_S1R_EUlS1Q_E_NS1_11comp_targetILNS1_3genE3ELNS1_11target_archE908ELNS1_3gpuE7ELNS1_3repE0EEENS1_30default_config_static_selectorELNS0_4arch9wavefront6targetE1EEEvS13_.has_recursion, 0
	.set _ZN7rocprim17ROCPRIM_400000_NS6detail17trampoline_kernelINS0_13select_configILj256ELj13ELNS0_17block_load_methodE3ELS4_3ELS4_3ELNS0_20block_scan_algorithmE0ELj4294967295EEENS1_25partition_config_selectorILNS1_17partition_subalgoE4EjNS0_10empty_typeEbEEZZNS1_14partition_implILS8_4ELb0ES6_15HIP_vector_typeIjLj2EENS0_17counting_iteratorIjlEEPS9_SG_NS0_5tupleIJPjSI_NS0_16reverse_iteratorISI_EEEEENSH_IJSG_SG_SG_EEES9_SI_JZNS1_25segmented_radix_sort_implINS0_14default_configELb1EPK6__halfPSP_PKlPlN2at6native12_GLOBAL__N_18offset_tEEE10hipError_tPvRmT1_PNSt15iterator_traitsIS13_E10value_typeET2_T3_PNS14_IS19_E10value_typeET4_jRbjT5_S1F_jjP12ihipStream_tbEUljE_ZNSN_ISO_Lb1ESR_SS_SU_SV_SZ_EES10_S11_S12_S13_S17_S18_S19_S1C_S1D_jS1E_jS1F_S1F_jjS1H_bEUljE0_EEES10_S11_S12_S19_S1D_S1F_T6_T7_T9_mT8_S1H_bDpT10_ENKUlT_T0_E_clISt17integral_constantIbLb0EES1U_IbLb1EEEEDaS1Q_S1R_EUlS1Q_E_NS1_11comp_targetILNS1_3genE3ELNS1_11target_archE908ELNS1_3gpuE7ELNS1_3repE0EEENS1_30default_config_static_selectorELNS0_4arch9wavefront6targetE1EEEvS13_.has_indirect_call, 0
	.section	.AMDGPU.csdata,"",@progbits
; Kernel info:
; codeLenInByte = 0
; TotalNumSgprs: 4
; NumVgprs: 0
; ScratchSize: 0
; MemoryBound: 0
; FloatMode: 240
; IeeeMode: 1
; LDSByteSize: 0 bytes/workgroup (compile time only)
; SGPRBlocks: 0
; VGPRBlocks: 0
; NumSGPRsForWavesPerEU: 4
; NumVGPRsForWavesPerEU: 1
; Occupancy: 10
; WaveLimiterHint : 0
; COMPUTE_PGM_RSRC2:SCRATCH_EN: 0
; COMPUTE_PGM_RSRC2:USER_SGPR: 6
; COMPUTE_PGM_RSRC2:TRAP_HANDLER: 0
; COMPUTE_PGM_RSRC2:TGID_X_EN: 1
; COMPUTE_PGM_RSRC2:TGID_Y_EN: 0
; COMPUTE_PGM_RSRC2:TGID_Z_EN: 0
; COMPUTE_PGM_RSRC2:TIDIG_COMP_CNT: 0
	.section	.text._ZN7rocprim17ROCPRIM_400000_NS6detail17trampoline_kernelINS0_13select_configILj256ELj13ELNS0_17block_load_methodE3ELS4_3ELS4_3ELNS0_20block_scan_algorithmE0ELj4294967295EEENS1_25partition_config_selectorILNS1_17partition_subalgoE4EjNS0_10empty_typeEbEEZZNS1_14partition_implILS8_4ELb0ES6_15HIP_vector_typeIjLj2EENS0_17counting_iteratorIjlEEPS9_SG_NS0_5tupleIJPjSI_NS0_16reverse_iteratorISI_EEEEENSH_IJSG_SG_SG_EEES9_SI_JZNS1_25segmented_radix_sort_implINS0_14default_configELb1EPK6__halfPSP_PKlPlN2at6native12_GLOBAL__N_18offset_tEEE10hipError_tPvRmT1_PNSt15iterator_traitsIS13_E10value_typeET2_T3_PNS14_IS19_E10value_typeET4_jRbjT5_S1F_jjP12ihipStream_tbEUljE_ZNSN_ISO_Lb1ESR_SS_SU_SV_SZ_EES10_S11_S12_S13_S17_S18_S19_S1C_S1D_jS1E_jS1F_S1F_jjS1H_bEUljE0_EEES10_S11_S12_S19_S1D_S1F_T6_T7_T9_mT8_S1H_bDpT10_ENKUlT_T0_E_clISt17integral_constantIbLb0EES1U_IbLb1EEEEDaS1Q_S1R_EUlS1Q_E_NS1_11comp_targetILNS1_3genE2ELNS1_11target_archE906ELNS1_3gpuE6ELNS1_3repE0EEENS1_30default_config_static_selectorELNS0_4arch9wavefront6targetE1EEEvS13_,"axG",@progbits,_ZN7rocprim17ROCPRIM_400000_NS6detail17trampoline_kernelINS0_13select_configILj256ELj13ELNS0_17block_load_methodE3ELS4_3ELS4_3ELNS0_20block_scan_algorithmE0ELj4294967295EEENS1_25partition_config_selectorILNS1_17partition_subalgoE4EjNS0_10empty_typeEbEEZZNS1_14partition_implILS8_4ELb0ES6_15HIP_vector_typeIjLj2EENS0_17counting_iteratorIjlEEPS9_SG_NS0_5tupleIJPjSI_NS0_16reverse_iteratorISI_EEEEENSH_IJSG_SG_SG_EEES9_SI_JZNS1_25segmented_radix_sort_implINS0_14default_configELb1EPK6__halfPSP_PKlPlN2at6native12_GLOBAL__N_18offset_tEEE10hipError_tPvRmT1_PNSt15iterator_traitsIS13_E10value_typeET2_T3_PNS14_IS19_E10value_typeET4_jRbjT5_S1F_jjP12ihipStream_tbEUljE_ZNSN_ISO_Lb1ESR_SS_SU_SV_SZ_EES10_S11_S12_S13_S17_S18_S19_S1C_S1D_jS1E_jS1F_S1F_jjS1H_bEUljE0_EEES10_S11_S12_S19_S1D_S1F_T6_T7_T9_mT8_S1H_bDpT10_ENKUlT_T0_E_clISt17integral_constantIbLb0EES1U_IbLb1EEEEDaS1Q_S1R_EUlS1Q_E_NS1_11comp_targetILNS1_3genE2ELNS1_11target_archE906ELNS1_3gpuE6ELNS1_3repE0EEENS1_30default_config_static_selectorELNS0_4arch9wavefront6targetE1EEEvS13_,comdat
	.globl	_ZN7rocprim17ROCPRIM_400000_NS6detail17trampoline_kernelINS0_13select_configILj256ELj13ELNS0_17block_load_methodE3ELS4_3ELS4_3ELNS0_20block_scan_algorithmE0ELj4294967295EEENS1_25partition_config_selectorILNS1_17partition_subalgoE4EjNS0_10empty_typeEbEEZZNS1_14partition_implILS8_4ELb0ES6_15HIP_vector_typeIjLj2EENS0_17counting_iteratorIjlEEPS9_SG_NS0_5tupleIJPjSI_NS0_16reverse_iteratorISI_EEEEENSH_IJSG_SG_SG_EEES9_SI_JZNS1_25segmented_radix_sort_implINS0_14default_configELb1EPK6__halfPSP_PKlPlN2at6native12_GLOBAL__N_18offset_tEEE10hipError_tPvRmT1_PNSt15iterator_traitsIS13_E10value_typeET2_T3_PNS14_IS19_E10value_typeET4_jRbjT5_S1F_jjP12ihipStream_tbEUljE_ZNSN_ISO_Lb1ESR_SS_SU_SV_SZ_EES10_S11_S12_S13_S17_S18_S19_S1C_S1D_jS1E_jS1F_S1F_jjS1H_bEUljE0_EEES10_S11_S12_S19_S1D_S1F_T6_T7_T9_mT8_S1H_bDpT10_ENKUlT_T0_E_clISt17integral_constantIbLb0EES1U_IbLb1EEEEDaS1Q_S1R_EUlS1Q_E_NS1_11comp_targetILNS1_3genE2ELNS1_11target_archE906ELNS1_3gpuE6ELNS1_3repE0EEENS1_30default_config_static_selectorELNS0_4arch9wavefront6targetE1EEEvS13_ ; -- Begin function _ZN7rocprim17ROCPRIM_400000_NS6detail17trampoline_kernelINS0_13select_configILj256ELj13ELNS0_17block_load_methodE3ELS4_3ELS4_3ELNS0_20block_scan_algorithmE0ELj4294967295EEENS1_25partition_config_selectorILNS1_17partition_subalgoE4EjNS0_10empty_typeEbEEZZNS1_14partition_implILS8_4ELb0ES6_15HIP_vector_typeIjLj2EENS0_17counting_iteratorIjlEEPS9_SG_NS0_5tupleIJPjSI_NS0_16reverse_iteratorISI_EEEEENSH_IJSG_SG_SG_EEES9_SI_JZNS1_25segmented_radix_sort_implINS0_14default_configELb1EPK6__halfPSP_PKlPlN2at6native12_GLOBAL__N_18offset_tEEE10hipError_tPvRmT1_PNSt15iterator_traitsIS13_E10value_typeET2_T3_PNS14_IS19_E10value_typeET4_jRbjT5_S1F_jjP12ihipStream_tbEUljE_ZNSN_ISO_Lb1ESR_SS_SU_SV_SZ_EES10_S11_S12_S13_S17_S18_S19_S1C_S1D_jS1E_jS1F_S1F_jjS1H_bEUljE0_EEES10_S11_S12_S19_S1D_S1F_T6_T7_T9_mT8_S1H_bDpT10_ENKUlT_T0_E_clISt17integral_constantIbLb0EES1U_IbLb1EEEEDaS1Q_S1R_EUlS1Q_E_NS1_11comp_targetILNS1_3genE2ELNS1_11target_archE906ELNS1_3gpuE6ELNS1_3repE0EEENS1_30default_config_static_selectorELNS0_4arch9wavefront6targetE1EEEvS13_
	.p2align	8
	.type	_ZN7rocprim17ROCPRIM_400000_NS6detail17trampoline_kernelINS0_13select_configILj256ELj13ELNS0_17block_load_methodE3ELS4_3ELS4_3ELNS0_20block_scan_algorithmE0ELj4294967295EEENS1_25partition_config_selectorILNS1_17partition_subalgoE4EjNS0_10empty_typeEbEEZZNS1_14partition_implILS8_4ELb0ES6_15HIP_vector_typeIjLj2EENS0_17counting_iteratorIjlEEPS9_SG_NS0_5tupleIJPjSI_NS0_16reverse_iteratorISI_EEEEENSH_IJSG_SG_SG_EEES9_SI_JZNS1_25segmented_radix_sort_implINS0_14default_configELb1EPK6__halfPSP_PKlPlN2at6native12_GLOBAL__N_18offset_tEEE10hipError_tPvRmT1_PNSt15iterator_traitsIS13_E10value_typeET2_T3_PNS14_IS19_E10value_typeET4_jRbjT5_S1F_jjP12ihipStream_tbEUljE_ZNSN_ISO_Lb1ESR_SS_SU_SV_SZ_EES10_S11_S12_S13_S17_S18_S19_S1C_S1D_jS1E_jS1F_S1F_jjS1H_bEUljE0_EEES10_S11_S12_S19_S1D_S1F_T6_T7_T9_mT8_S1H_bDpT10_ENKUlT_T0_E_clISt17integral_constantIbLb0EES1U_IbLb1EEEEDaS1Q_S1R_EUlS1Q_E_NS1_11comp_targetILNS1_3genE2ELNS1_11target_archE906ELNS1_3gpuE6ELNS1_3repE0EEENS1_30default_config_static_selectorELNS0_4arch9wavefront6targetE1EEEvS13_,@function
_ZN7rocprim17ROCPRIM_400000_NS6detail17trampoline_kernelINS0_13select_configILj256ELj13ELNS0_17block_load_methodE3ELS4_3ELS4_3ELNS0_20block_scan_algorithmE0ELj4294967295EEENS1_25partition_config_selectorILNS1_17partition_subalgoE4EjNS0_10empty_typeEbEEZZNS1_14partition_implILS8_4ELb0ES6_15HIP_vector_typeIjLj2EENS0_17counting_iteratorIjlEEPS9_SG_NS0_5tupleIJPjSI_NS0_16reverse_iteratorISI_EEEEENSH_IJSG_SG_SG_EEES9_SI_JZNS1_25segmented_radix_sort_implINS0_14default_configELb1EPK6__halfPSP_PKlPlN2at6native12_GLOBAL__N_18offset_tEEE10hipError_tPvRmT1_PNSt15iterator_traitsIS13_E10value_typeET2_T3_PNS14_IS19_E10value_typeET4_jRbjT5_S1F_jjP12ihipStream_tbEUljE_ZNSN_ISO_Lb1ESR_SS_SU_SV_SZ_EES10_S11_S12_S13_S17_S18_S19_S1C_S1D_jS1E_jS1F_S1F_jjS1H_bEUljE0_EEES10_S11_S12_S19_S1D_S1F_T6_T7_T9_mT8_S1H_bDpT10_ENKUlT_T0_E_clISt17integral_constantIbLb0EES1U_IbLb1EEEEDaS1Q_S1R_EUlS1Q_E_NS1_11comp_targetILNS1_3genE2ELNS1_11target_archE906ELNS1_3gpuE6ELNS1_3repE0EEENS1_30default_config_static_selectorELNS0_4arch9wavefront6targetE1EEEvS13_: ; @_ZN7rocprim17ROCPRIM_400000_NS6detail17trampoline_kernelINS0_13select_configILj256ELj13ELNS0_17block_load_methodE3ELS4_3ELS4_3ELNS0_20block_scan_algorithmE0ELj4294967295EEENS1_25partition_config_selectorILNS1_17partition_subalgoE4EjNS0_10empty_typeEbEEZZNS1_14partition_implILS8_4ELb0ES6_15HIP_vector_typeIjLj2EENS0_17counting_iteratorIjlEEPS9_SG_NS0_5tupleIJPjSI_NS0_16reverse_iteratorISI_EEEEENSH_IJSG_SG_SG_EEES9_SI_JZNS1_25segmented_radix_sort_implINS0_14default_configELb1EPK6__halfPSP_PKlPlN2at6native12_GLOBAL__N_18offset_tEEE10hipError_tPvRmT1_PNSt15iterator_traitsIS13_E10value_typeET2_T3_PNS14_IS19_E10value_typeET4_jRbjT5_S1F_jjP12ihipStream_tbEUljE_ZNSN_ISO_Lb1ESR_SS_SU_SV_SZ_EES10_S11_S12_S13_S17_S18_S19_S1C_S1D_jS1E_jS1F_S1F_jjS1H_bEUljE0_EEES10_S11_S12_S19_S1D_S1F_T6_T7_T9_mT8_S1H_bDpT10_ENKUlT_T0_E_clISt17integral_constantIbLb0EES1U_IbLb1EEEEDaS1Q_S1R_EUlS1Q_E_NS1_11comp_targetILNS1_3genE2ELNS1_11target_archE906ELNS1_3gpuE6ELNS1_3repE0EEENS1_30default_config_static_selectorELNS0_4arch9wavefront6targetE1EEEvS13_
; %bb.0:
	s_load_dwordx2 s[52:53], s[4:5], 0x10
	s_load_dwordx4 s[48:51], s[4:5], 0x28
	s_load_dwordx2 s[30:31], s[4:5], 0x38
	s_load_dwordx4 s[44:47], s[4:5], 0x58
	s_load_dwordx2 s[6:7], s[4:5], 0x68
	s_load_dwordx2 s[54:55], s[4:5], 0x78
	;; [unrolled: 1-line block ×3, first 2 shown]
	s_load_dwordx8 s[36:43], s[4:5], 0x90
	v_cmp_eq_u32_e64 s[0:1], 0, v0
	s_and_saveexec_b64 s[2:3], s[0:1]
	s_cbranch_execz .LBB1703_4
; %bb.1:
	s_mov_b64 s[10:11], exec
	v_mbcnt_lo_u32_b32 v1, s10, 0
	v_mbcnt_hi_u32_b32 v1, s11, v1
	v_cmp_eq_u32_e32 vcc, 0, v1
                                        ; implicit-def: $vgpr2
	s_and_saveexec_b64 s[8:9], vcc
	s_cbranch_execz .LBB1703_3
; %bb.2:
	s_load_dwordx2 s[12:13], s[4:5], 0x88
	s_bcnt1_i32_b64 s10, s[10:11]
	v_mov_b32_e32 v2, 0
	v_mov_b32_e32 v3, s10
	s_waitcnt lgkmcnt(0)
	global_atomic_add v2, v2, v3, s[12:13] glc
.LBB1703_3:
	s_or_b64 exec, exec, s[8:9]
	s_waitcnt vmcnt(0)
	v_readfirstlane_b32 s8, v2
	v_add_u32_e32 v1, s8, v1
	v_mov_b32_e32 v2, 0
	ds_write_b32 v2, v1
.LBB1703_4:
	s_or_b64 exec, exec, s[2:3]
	v_mov_b32_e32 v1, 0
	s_load_dword s2, s[4:5], 0x8
	s_load_dword s8, s[4:5], 0x80
	s_waitcnt lgkmcnt(0)
	s_barrier
	ds_read_b32 v7, v1
	s_waitcnt lgkmcnt(0)
	s_barrier
	global_load_dwordx4 v[1:4], v1, s[46:47]
	s_add_i32 s9, s2, s52
	s_movk_i32 s2, 0xd00
	s_add_i32 s4, s8, -1
	s_mulk_i32 s8, 0xd00
	v_mul_lo_u32 v33, v7, s2
	s_add_u32 s2, s52, s8
	s_addc_u32 s3, s53, 0
	v_mov_b32_e32 v6, s3
	v_mov_b32_e32 v5, s2
	v_readfirstlane_b32 s33, v7
	v_cmp_gt_u64_e32 vcc, s[6:7], v[5:6]
	s_cmp_eq_u32 s33, s4
	v_cmp_ne_u32_e64 s[2:3], s4, v7
	s_cselect_b64 s[34:35], -1, 0
	s_or_b64 s[4:5], vcc, s[2:3]
	v_add_u32_e32 v5, s9, v33
	s_mov_b64 s[2:3], -1
	s_and_b64 vcc, exec, s[4:5]
	v_add_u32_e32 v5, v5, v0
	s_cbranch_vccz .LBB1703_6
; %bb.5:
	v_add_u32_e32 v6, 0x100, v5
	v_lshlrev_b32_e32 v18, 2, v0
	v_add_u32_e32 v7, 0x200, v5
	v_add_u32_e32 v8, 0x300, v5
	;; [unrolled: 1-line block ×11, first 2 shown]
	ds_write2st64_b32 v18, v5, v6 offset1:4
	ds_write2st64_b32 v18, v7, v8 offset0:8 offset1:12
	ds_write2st64_b32 v18, v9, v10 offset0:16 offset1:20
	;; [unrolled: 1-line block ×5, first 2 shown]
	ds_write_b32 v18, v17 offset:12288
	s_waitcnt vmcnt(0) lgkmcnt(0)
	s_barrier
	s_mov_b64 s[2:3], 0
.LBB1703_6:
	s_andn2_b64 vcc, exec, s[2:3]
	s_add_i32 s8, s8, s52
	s_cbranch_vccnz .LBB1703_8
; %bb.7:
	v_add_u32_e32 v6, 0x100, v5
	v_lshlrev_b32_e32 v18, 2, v0
	v_add_u32_e32 v7, 0x200, v5
	v_add_u32_e32 v8, 0x300, v5
	;; [unrolled: 1-line block ×11, first 2 shown]
	ds_write2st64_b32 v18, v5, v6 offset1:4
	ds_write2st64_b32 v18, v7, v8 offset0:8 offset1:12
	ds_write2st64_b32 v18, v9, v10 offset0:16 offset1:20
	;; [unrolled: 1-line block ×5, first 2 shown]
	ds_write_b32 v18, v17 offset:12288
	s_waitcnt vmcnt(0) lgkmcnt(0)
	s_barrier
.LBB1703_8:
	v_mul_u32_u24_e32 v35, 13, v0
	v_lshlrev_b32_e32 v5, 2, v35
	ds_read_b32 v34, v5 offset:48
	ds_read2_b32 v[13:14], v5 offset0:10 offset1:11
	ds_read2_b32 v[15:16], v5 offset0:8 offset1:9
	;; [unrolled: 1-line block ×4, first 2 shown]
	ds_read2_b32 v[23:24], v5 offset1:1
	ds_read2_b32 v[21:22], v5 offset0:2 offset1:3
	v_cndmask_b32_e64 v5, 0, 1, s[4:5]
	s_sub_i32 s86, s6, s8
	v_cmp_ne_u32_e64 s[2:3], 1, v5
	s_andn2_b64 vcc, exec, s[4:5]
	s_waitcnt vmcnt(0) lgkmcnt(0)
	s_barrier
	s_cbranch_vccnz .LBB1703_36
; %bb.9:
	v_add_u32_e32 v5, s37, v23
	v_add_u32_e32 v6, s39, v23
	v_mul_lo_u32 v5, v5, s36
	v_mul_lo_u32 v6, v6, s38
	s_mov_b64 s[58:59], 0
	s_mov_b64 s[46:47], 0
	v_sub_u32_e32 v5, v5, v6
	v_cmp_lt_u32_e32 vcc, s40, v5
	v_cmp_ge_u32_e64 s[4:5], s40, v5
	s_and_saveexec_b64 s[6:7], s[4:5]
	s_cbranch_execz .LBB1703_11
; %bb.10:
	v_add_u32_e32 v5, s42, v23
	v_add_u32_e32 v6, s56, v23
	v_mul_lo_u32 v5, v5, s41
	v_mul_lo_u32 v6, v6, s43
	v_sub_u32_e32 v5, v5, v6
	v_cmp_lt_u32_e64 s[4:5], s57, v5
	s_and_b64 s[46:47], s[4:5], exec
.LBB1703_11:
	s_or_b64 exec, exec, s[6:7]
	v_add_u32_e32 v5, s37, v24
	v_add_u32_e32 v6, s39, v24
	v_mul_lo_u32 v5, v5, s36
	v_mul_lo_u32 v6, v6, s38
	v_sub_u32_e32 v5, v5, v6
	v_cmp_lt_u32_e64 s[4:5], s40, v5
	v_cmp_ge_u32_e64 s[6:7], s40, v5
	s_and_saveexec_b64 s[8:9], s[6:7]
	s_cbranch_execz .LBB1703_13
; %bb.12:
	v_add_u32_e32 v5, s42, v24
	v_add_u32_e32 v6, s56, v24
	v_mul_lo_u32 v5, v5, s41
	v_mul_lo_u32 v6, v6, s43
	v_sub_u32_e32 v5, v5, v6
	v_cmp_lt_u32_e64 s[6:7], s57, v5
	s_and_b64 s[58:59], s[6:7], exec
.LBB1703_13:
	s_or_b64 exec, exec, s[8:9]
	v_add_u32_e32 v5, s37, v21
	v_add_u32_e32 v6, s39, v21
	v_mul_lo_u32 v5, v5, s36
	v_mul_lo_u32 v6, v6, s38
	s_mov_b64 s[62:63], 0
	s_mov_b64 s[60:61], 0
	v_sub_u32_e32 v5, v5, v6
	v_cmp_lt_u32_e64 s[6:7], s40, v5
	v_cmp_ge_u32_e64 s[8:9], s40, v5
	s_and_saveexec_b64 s[10:11], s[8:9]
	s_cbranch_execz .LBB1703_15
; %bb.14:
	v_add_u32_e32 v5, s42, v21
	v_add_u32_e32 v6, s56, v21
	v_mul_lo_u32 v5, v5, s41
	v_mul_lo_u32 v6, v6, s43
	v_sub_u32_e32 v5, v5, v6
	v_cmp_lt_u32_e64 s[8:9], s57, v5
	s_and_b64 s[60:61], s[8:9], exec
.LBB1703_15:
	s_or_b64 exec, exec, s[10:11]
	v_add_u32_e32 v5, s37, v22
	v_add_u32_e32 v6, s39, v22
	v_mul_lo_u32 v5, v5, s36
	v_mul_lo_u32 v6, v6, s38
	v_sub_u32_e32 v5, v5, v6
	v_cmp_lt_u32_e64 s[8:9], s40, v5
	v_cmp_ge_u32_e64 s[10:11], s40, v5
	s_and_saveexec_b64 s[12:13], s[10:11]
	s_cbranch_execz .LBB1703_17
; %bb.16:
	v_add_u32_e32 v5, s42, v22
	v_add_u32_e32 v6, s56, v22
	v_mul_lo_u32 v5, v5, s41
	v_mul_lo_u32 v6, v6, s43
	v_sub_u32_e32 v5, v5, v6
	v_cmp_lt_u32_e64 s[10:11], s57, v5
	s_and_b64 s[62:63], s[10:11], exec
.LBB1703_17:
	s_or_b64 exec, exec, s[12:13]
	v_add_u32_e32 v5, s37, v19
	v_add_u32_e32 v6, s39, v19
	v_mul_lo_u32 v5, v5, s36
	v_mul_lo_u32 v6, v6, s38
	s_mov_b64 s[66:67], 0
	s_mov_b64 s[64:65], 0
	v_sub_u32_e32 v5, v5, v6
	v_cmp_lt_u32_e64 s[10:11], s40, v5
	;; [unrolled: 40-line block ×6, first 2 shown]
	v_cmp_ge_u32_e64 s[28:29], s40, v5
	s_and_saveexec_b64 s[84:85], s[28:29]
	s_cbranch_execz .LBB1703_35
; %bb.34:
	v_add_u32_e32 v5, s42, v34
	v_add_u32_e32 v6, s56, v34
	v_mul_lo_u32 v5, v5, s41
	v_mul_lo_u32 v6, v6, s43
	v_sub_u32_e32 v5, v5, v6
	v_cmp_lt_u32_e64 s[28:29], s57, v5
	s_and_b64 s[82:83], s[28:29], exec
.LBB1703_35:
	s_or_b64 exec, exec, s[84:85]
	v_cndmask_b32_e64 v6, 0, 1, s[4:5]
	v_cndmask_b32_e64 v5, 0, 1, vcc
	v_cndmask_b32_e64 v8, 0, 1, s[8:9]
	v_lshlrev_b16_e32 v6, 8, v6
	v_cndmask_b32_e64 v7, 0, 1, s[6:7]
	v_or_b32_e32 v5, v5, v6
	v_lshlrev_b16_e32 v6, 8, v8
	v_cndmask_b32_e64 v10, 0, 1, s[12:13]
	v_cndmask_b32_e64 v12, 0, 1, s[16:17]
	v_or_b32_sdwa v6, v7, v6 dst_sel:WORD_1 dst_unused:UNUSED_PAD src0_sel:DWORD src1_sel:DWORD
	v_cndmask_b32_e64 v9, 0, 1, s[10:11]
	v_cndmask_b32_e64 v11, 0, 1, s[14:15]
	v_or_b32_sdwa v36, v5, v6 dst_sel:DWORD dst_unused:UNUSED_PAD src0_sel:WORD_0 src1_sel:DWORD
	v_lshlrev_b16_e32 v5, 8, v10
	v_lshlrev_b16_e32 v6, 8, v12
	v_cndmask_b32_e64 v26, 0, 1, s[20:21]
	v_cndmask_b32_e64 v29, 0, 1, s[24:25]
	v_or_b32_e32 v5, v9, v5
	v_or_b32_sdwa v6, v11, v6 dst_sel:WORD_1 dst_unused:UNUSED_PAD src0_sel:DWORD src1_sel:DWORD
	v_cndmask_b32_e64 v25, 0, 1, s[18:19]
	v_cndmask_b32_e64 v27, 0, 1, s[22:23]
	v_or_b32_sdwa v38, v5, v6 dst_sel:DWORD dst_unused:UNUSED_PAD src0_sel:WORD_0 src1_sel:DWORD
	v_lshlrev_b16_e32 v5, 8, v26
	v_lshlrev_b16_e32 v6, 8, v29
	v_cndmask_b32_e64 v42, 0, 1, s[60:61]
	v_cndmask_b32_e64 v47, 0, 1, s[46:47]
	v_or_b32_e32 v5, v25, v5
	;; [unrolled: 9-line block ×4, first 2 shown]
	v_or_b32_sdwa v6, v39, v6 dst_sel:WORD_1 dst_unused:UNUSED_PAD src0_sel:DWORD src1_sel:DWORD
	v_cndmask_b32_e64 v30, 0, 1, s[74:75]
	v_cndmask_b32_e64 v32, 0, 1, s[70:71]
	v_or_b32_sdwa v37, v5, v6 dst_sel:DWORD dst_unused:UNUSED_PAD src0_sel:WORD_0 src1_sel:DWORD
	v_lshlrev_b16_e32 v5, 8, v31
	v_lshlrev_b16_e32 v6, 8, v28
	v_or_b32_e32 v5, v32, v5
	v_or_b32_sdwa v6, v30, v6 dst_sel:WORD_1 dst_unused:UNUSED_PAD src0_sel:DWORD src1_sel:DWORD
	v_cndmask_b32_e64 v40, 0, 1, s[78:79]
	v_cndmask_b32_e64 v43, 0, 1, s[82:83]
	v_or_b32_sdwa v39, v5, v6 dst_sel:DWORD dst_unused:UNUSED_PAD src0_sel:WORD_0 src1_sel:DWORD
	s_add_i32 s16, s86, 0xd00
	s_and_b64 vcc, exec, s[76:77]
	s_cbranch_vccnz .LBB1703_37
	s_branch .LBB1703_114
.LBB1703_36:
                                        ; implicit-def: $vgpr43
                                        ; implicit-def: $vgpr40
                                        ; implicit-def: $vgpr39
                                        ; implicit-def: $vgpr37
                                        ; implicit-def: $vgpr42
                                        ; implicit-def: $vgpr41
                                        ; implicit-def: $vgpr38
                                        ; implicit-def: $vgpr36
	s_add_i32 s16, s86, 0xd00
	s_cbranch_execz .LBB1703_114
.LBB1703_37:
	v_cmp_gt_u32_e32 vcc, s16, v35
	v_mov_b32_e32 v6, 0
	v_mov_b32_e32 v5, 0
	s_and_saveexec_b64 s[6:7], vcc
	s_cbranch_execz .LBB1703_41
; %bb.38:
	v_add_u32_e32 v5, s37, v23
	v_add_u32_e32 v6, s39, v23
	v_mul_lo_u32 v5, v5, s36
	v_mul_lo_u32 v6, v6, s38
	s_mov_b64 s[10:11], 0
	v_sub_u32_e32 v5, v5, v6
	v_cmp_lt_u32_e32 vcc, s40, v5
	v_cmp_ge_u32_e64 s[4:5], s40, v5
	s_and_saveexec_b64 s[8:9], s[4:5]
	s_cbranch_execz .LBB1703_40
; %bb.39:
	v_add_u32_e32 v5, s42, v23
	v_add_u32_e32 v6, s56, v23
	v_mul_lo_u32 v5, v5, s41
	v_mul_lo_u32 v6, v6, s43
	v_sub_u32_e32 v5, v5, v6
	v_cmp_lt_u32_e64 s[4:5], s57, v5
	s_and_b64 s[10:11], s[4:5], exec
.LBB1703_40:
	s_or_b64 exec, exec, s[8:9]
	v_cndmask_b32_e64 v6, 0, 1, s[10:11]
	v_cndmask_b32_e64 v5, 0, 1, vcc
.LBB1703_41:
	s_or_b64 exec, exec, s[6:7]
	v_lshlrev_b16_e32 v11, 8, v6
	v_add_u32_e32 v6, 1, v35
	v_cmp_le_u32_e32 vcc, s16, v6
	v_lshlrev_b16_e64 v8, 8, 0
                                        ; implicit-def: $vgpr7
                                        ; implicit-def: $vgpr9
                                        ; implicit-def: $vgpr10
                                        ; implicit-def: $vgpr6
                                        ; implicit-def: $vgpr12
	s_and_saveexec_b64 s[4:5], vcc
	s_xor_b64 s[4:5], exec, s[4:5]
; %bb.42:
	v_mov_b32_e32 v6, 8
	v_lshrrev_b32_sdwa v7, v6, v11 dst_sel:BYTE_1 dst_unused:UNUSED_PAD src0_sel:DWORD src1_sel:DWORD
	v_and_b32_e32 v12, 0xff, v5
	v_or_b32_sdwa v5, v11, v7 dst_sel:DWORD dst_unused:UNUSED_PAD src0_sel:BYTE_0 src1_sel:DWORD
	v_mov_b32_e32 v9, 0
	v_lshlrev_b16_e64 v8, 8, 0
	v_lshlrev_b16_e64 v6, 8, 0
	v_and_b32_e32 v10, 0xffff, v5
	v_lshlrev_b16_e64 v7, 8, 0
                                        ; implicit-def: $vgpr5
                                        ; implicit-def: $vgpr11
; %bb.43:
	s_andn2_saveexec_b64 s[6:7], s[4:5]
	s_cbranch_execz .LBB1703_47
; %bb.44:
	v_add_u32_e32 v6, s37, v24
	v_add_u32_e32 v7, s39, v24
	v_mul_lo_u32 v6, v6, s36
	v_mul_lo_u32 v7, v7, s38
	s_mov_b64 s[8:9], 0
	v_sub_u32_e32 v6, v6, v7
	v_cmp_lt_u32_e32 vcc, s40, v6
	v_cmp_ge_u32_e64 s[4:5], s40, v6
	s_and_saveexec_b64 s[10:11], s[4:5]
	s_cbranch_execz .LBB1703_46
; %bb.45:
	v_add_u32_e32 v6, s42, v24
	v_add_u32_e32 v7, s56, v24
	v_mul_lo_u32 v6, v6, s41
	v_mul_lo_u32 v7, v7, s43
	v_sub_u32_e32 v6, v6, v7
	v_cmp_lt_u32_e64 s[4:5], s57, v6
	s_and_b64 s[8:9], s[4:5], exec
.LBB1703_46:
	s_or_b64 exec, exec, s[10:11]
	v_cndmask_b32_e64 v7, 0, 1, vcc
	v_lshlrev_b16_e32 v7, 8, v7
	v_or_b32_sdwa v5, v5, v7 dst_sel:DWORD dst_unused:UNUSED_PAD src0_sel:BYTE_0 src1_sel:DWORD
	v_and_b32_e32 v12, 0xffff, v5
	v_mov_b32_e32 v5, 8
	v_lshrrev_b32_sdwa v5, v5, v11 dst_sel:BYTE_1 dst_unused:UNUSED_PAD src0_sel:DWORD src1_sel:DWORD
	v_or_b32_sdwa v5, v11, v5 dst_sel:DWORD dst_unused:UNUSED_PAD src0_sel:BYTE_0 src1_sel:DWORD
	v_and_b32_e32 v5, 0xffff, v5
	v_cndmask_b32_e64 v7, 0, 1, s[8:9]
	v_mov_b32_e32 v6, 0
	v_mov_b32_e32 v9, 0
	v_lshl_or_b32 v10, v7, 16, v5
	v_lshlrev_b16_e64 v7, 8, 0
.LBB1703_47:
	s_or_b64 exec, exec, s[6:7]
	v_add_u32_e32 v5, 2, v35
	v_cmp_le_u32_e32 vcc, s16, v5
	v_lshrrev_b32_e32 v25, 24, v12
                                        ; implicit-def: $vgpr5
                                        ; implicit-def: $vgpr11
	s_and_saveexec_b64 s[4:5], vcc
	s_xor_b64 s[4:5], exec, s[4:5]
	s_cbranch_execz .LBB1703_49
; %bb.48:
	s_mov_b32 s6, 0x40c0100
	v_perm_b32 v11, v25, v12, s6
	v_mov_b32_e32 v12, 8
	v_lshrrev_b32_sdwa v12, v12, v11 dst_sel:BYTE_1 dst_unused:UNUSED_PAD src0_sel:DWORD src1_sel:DWORD
	v_or_b32_sdwa v12, v11, v12 dst_sel:DWORD dst_unused:UNUSED_PAD src0_sel:BYTE_0 src1_sel:DWORD
	v_and_b32_e32 v12, 0xffff, v12
	s_mov_b32 s6, 0xff000000
	v_and_or_b32 v11, v11, s6, v12
	s_mov_b32 s6, 0x3060504
	v_and_b32_e32 v5, 0xff0000, v10
	v_perm_b32 v8, v8, v8, s6
	s_mov_b32 s6, 0x3020504
	v_perm_b32 v5, v10, v5, s6
                                        ; implicit-def: $vgpr12
                                        ; implicit-def: $vgpr25
                                        ; implicit-def: $vgpr10
.LBB1703_49:
	s_andn2_saveexec_b64 s[6:7], s[4:5]
	s_cbranch_execz .LBB1703_53
; %bb.50:
	v_add_u32_e32 v5, s37, v21
	v_add_u32_e32 v11, s39, v21
	v_mul_lo_u32 v5, v5, s36
	v_mul_lo_u32 v11, v11, s38
	s_mov_b64 s[8:9], 0
	v_sub_u32_e32 v5, v5, v11
	v_cmp_lt_u32_e32 vcc, s40, v5
	v_cmp_ge_u32_e64 s[4:5], s40, v5
	s_and_saveexec_b64 s[10:11], s[4:5]
	s_cbranch_execz .LBB1703_52
; %bb.51:
	v_add_u32_e32 v5, s42, v21
	v_add_u32_e32 v11, s56, v21
	v_mul_lo_u32 v5, v5, s41
	v_mul_lo_u32 v11, v11, s43
	v_sub_u32_e32 v5, v5, v11
	v_cmp_lt_u32_e64 s[4:5], s57, v5
	s_and_b64 s[8:9], s[4:5], exec
.LBB1703_52:
	s_or_b64 exec, exec, s[10:11]
	v_mov_b32_e32 v27, 8
	v_lshrrev_b32_sdwa v11, v27, v12 dst_sel:BYTE_1 dst_unused:UNUSED_PAD src0_sel:DWORD src1_sel:DWORD
	v_cndmask_b32_e64 v5, 0, 1, vcc
	v_or_b32_sdwa v11, v12, v11 dst_sel:DWORD dst_unused:UNUSED_PAD src0_sel:BYTE_0 src1_sel:DWORD
	v_lshlrev_b16_e32 v12, 8, v25
	v_or_b32_sdwa v5, v5, v12 dst_sel:WORD_1 dst_unused:UNUSED_PAD src0_sel:DWORD src1_sel:DWORD
	v_cndmask_b32_e64 v26, 0, 1, s[8:9]
	s_movk_i32 s4, 0xff
	v_or_b32_sdwa v11, v11, v5 dst_sel:DWORD dst_unused:UNUSED_PAD src0_sel:WORD_0 src1_sel:DWORD
	v_lshrrev_b32_sdwa v5, v27, v10 dst_sel:BYTE_1 dst_unused:UNUSED_PAD src0_sel:DWORD src1_sel:DWORD
	v_or_b32_sdwa v5, v10, v5 dst_sel:DWORD dst_unused:UNUSED_PAD src0_sel:BYTE_0 src1_sel:DWORD
	v_lshlrev_b16_e32 v12, 8, v26
	v_and_b32_sdwa v10, v10, s4 dst_sel:DWORD dst_unused:UNUSED_PAD src0_sel:WORD_1 src1_sel:DWORD
	v_or_b32_sdwa v10, v10, v12 dst_sel:WORD_1 dst_unused:UNUSED_PAD src0_sel:DWORD src1_sel:DWORD
	v_or_b32_sdwa v5, v5, v10 dst_sel:DWORD dst_unused:UNUSED_PAD src0_sel:WORD_0 src1_sel:DWORD
.LBB1703_53:
	s_or_b64 exec, exec, s[6:7]
	v_add_u32_e32 v10, 3, v35
	v_cmp_le_u32_e32 vcc, s16, v10
	v_lshrrev_b32_e32 v12, 24, v9
                                        ; implicit-def: $vgpr10
                                        ; implicit-def: $vgpr36
	s_and_saveexec_b64 s[4:5], vcc
	s_xor_b64 s[4:5], exec, s[4:5]
	s_cbranch_execz .LBB1703_55
; %bb.54:
	v_and_b32_e32 v10, 0xff0000, v11
	s_mov_b32 s6, 0x3020504
	s_movk_i32 s7, 0xff
	v_perm_b32 v36, v11, v10, s6
	v_lshlrev_b16_e32 v10, 8, v12
	v_and_b32_sdwa v11, v9, s7 dst_sel:DWORD dst_unused:UNUSED_PAD src0_sel:WORD_1 src1_sel:DWORD
	s_mov_b32 s6, 0x3060504
	v_or_b32_sdwa v10, v11, v10 dst_sel:WORD_1 dst_unused:UNUSED_PAD src0_sel:DWORD src1_sel:DWORD
	v_mov_b32_e32 v11, 8
	v_perm_b32 v8, v8, v8, s6
	v_lshrrev_b32_sdwa v10, v11, v9 dst_sel:BYTE_1 dst_unused:UNUSED_PRESERVE src0_sel:DWORD src1_sel:DWORD
	v_perm_b32 v7, v7, v7, s6
                                        ; implicit-def: $vgpr11
                                        ; implicit-def: $vgpr12
                                        ; implicit-def: $vgpr9
.LBB1703_55:
	s_andn2_saveexec_b64 s[6:7], s[4:5]
	s_cbranch_execz .LBB1703_59
; %bb.56:
	v_add_u32_e32 v10, s37, v22
	v_add_u32_e32 v25, s39, v22
	v_mul_lo_u32 v10, v10, s36
	v_mul_lo_u32 v25, v25, s38
	s_mov_b64 s[8:9], 0
	v_sub_u32_e32 v10, v10, v25
	v_cmp_lt_u32_e32 vcc, s40, v10
	v_cmp_ge_u32_e64 s[4:5], s40, v10
	s_and_saveexec_b64 s[10:11], s[4:5]
	s_cbranch_execz .LBB1703_58
; %bb.57:
	v_add_u32_e32 v10, s42, v22
	v_add_u32_e32 v25, s56, v22
	v_mul_lo_u32 v10, v10, s41
	v_mul_lo_u32 v25, v25, s43
	v_sub_u32_e32 v10, v10, v25
	v_cmp_lt_u32_e64 s[4:5], s57, v10
	s_and_b64 s[8:9], s[4:5], exec
.LBB1703_58:
	s_or_b64 exec, exec, s[10:11]
	v_mov_b32_e32 v26, 8
	v_cndmask_b32_e64 v10, 0, 1, vcc
	s_movk_i32 s4, 0xff
	v_lshrrev_b32_sdwa v27, v26, v11 dst_sel:BYTE_1 dst_unused:UNUSED_PAD src0_sel:DWORD src1_sel:DWORD
	v_or_b32_sdwa v27, v11, v27 dst_sel:DWORD dst_unused:UNUSED_PAD src0_sel:BYTE_0 src1_sel:DWORD
	v_lshlrev_b16_e32 v10, 8, v10
	v_and_b32_sdwa v11, v11, s4 dst_sel:DWORD dst_unused:UNUSED_PAD src0_sel:WORD_1 src1_sel:DWORD
	v_or_b32_sdwa v10, v11, v10 dst_sel:WORD_1 dst_unused:UNUSED_PAD src0_sel:DWORD src1_sel:DWORD
	v_cndmask_b32_e64 v25, 0, 1, s[8:9]
	v_or_b32_sdwa v36, v27, v10 dst_sel:DWORD dst_unused:UNUSED_PAD src0_sel:WORD_0 src1_sel:DWORD
	v_lshlrev_b16_e32 v10, 8, v12
	v_and_b32_sdwa v11, v9, s4 dst_sel:DWORD dst_unused:UNUSED_PAD src0_sel:WORD_1 src1_sel:DWORD
	v_lshrrev_b32_sdwa v9, v26, v9 dst_sel:BYTE_1 dst_unused:UNUSED_PAD src0_sel:DWORD src1_sel:DWORD
	v_or_b32_sdwa v10, v11, v10 dst_sel:WORD_1 dst_unused:UNUSED_PAD src0_sel:DWORD src1_sel:DWORD
	v_or_b32_e32 v9, v25, v9
	v_or_b32_sdwa v10, v9, v10 dst_sel:DWORD dst_unused:UNUSED_PAD src0_sel:WORD_0 src1_sel:DWORD
.LBB1703_59:
	s_or_b64 exec, exec, s[6:7]
	v_add_u32_e32 v9, 4, v35
	v_cmp_le_u32_e32 vcc, s16, v9
	v_lshrrev_b32_e32 v25, 24, v8
	v_lshrrev_b32_e32 v12, 24, v10
                                        ; implicit-def: $vgpr11
                                        ; implicit-def: $vgpr9
	s_and_saveexec_b64 s[4:5], vcc
	s_xor_b64 s[4:5], exec, s[4:5]
	s_cbranch_execz .LBB1703_61
; %bb.60:
	s_movk_i32 s6, 0xff
	v_lshlrev_b16_e32 v9, 8, v25
	v_and_b32_sdwa v25, v8, s6 dst_sel:DWORD dst_unused:UNUSED_PAD src0_sel:WORD_1 src1_sel:DWORD
	v_mov_b32_e32 v11, 8
	v_or_b32_sdwa v9, v25, v9 dst_sel:WORD_1 dst_unused:UNUSED_PAD src0_sel:DWORD src1_sel:DWORD
	v_lshrrev_b32_sdwa v9, v11, v8 dst_sel:BYTE_1 dst_unused:UNUSED_PRESERVE src0_sel:DWORD src1_sel:DWORD
	v_lshlrev_b16_e32 v8, 8, v12
	v_and_b32_sdwa v11, v10, s6 dst_sel:DWORD dst_unused:UNUSED_PAD src0_sel:WORD_1 src1_sel:DWORD
	v_or_b32_e32 v8, v11, v8
	s_mov_b32 s6, 0x5040c00
	v_perm_b32 v11, v8, v10, s6
	s_mov_b32 s6, 0x3060504
	v_perm_b32 v7, v7, v7, s6
                                        ; implicit-def: $vgpr25
                                        ; implicit-def: $vgpr8
                                        ; implicit-def: $vgpr10
                                        ; implicit-def: $vgpr12
.LBB1703_61:
	s_andn2_saveexec_b64 s[6:7], s[4:5]
	s_cbranch_execz .LBB1703_65
; %bb.62:
	v_add_u32_e32 v9, s37, v19
	v_add_u32_e32 v11, s39, v19
	v_mul_lo_u32 v9, v9, s36
	v_mul_lo_u32 v11, v11, s38
	s_mov_b64 s[8:9], 0
	v_sub_u32_e32 v9, v9, v11
	v_cmp_lt_u32_e32 vcc, s40, v9
	v_cmp_ge_u32_e64 s[4:5], s40, v9
	s_and_saveexec_b64 s[10:11], s[4:5]
	s_cbranch_execz .LBB1703_64
; %bb.63:
	v_add_u32_e32 v9, s42, v19
	v_add_u32_e32 v11, s56, v19
	v_mul_lo_u32 v9, v9, s41
	v_mul_lo_u32 v11, v11, s43
	v_sub_u32_e32 v9, v9, v11
	v_cmp_lt_u32_e64 s[4:5], s57, v9
	s_and_b64 s[8:9], s[4:5], exec
.LBB1703_64:
	s_or_b64 exec, exec, s[10:11]
	s_movk_i32 s4, 0xff
	v_lshlrev_b16_e32 v25, 8, v25
	v_and_b32_sdwa v26, v8, s4 dst_sel:DWORD dst_unused:UNUSED_PAD src0_sel:WORD_1 src1_sel:DWORD
	v_or_b32_sdwa v25, v26, v25 dst_sel:WORD_1 dst_unused:UNUSED_PAD src0_sel:DWORD src1_sel:DWORD
	v_mov_b32_e32 v26, 8
	v_cndmask_b32_e64 v9, 0, 1, vcc
	v_lshrrev_b32_sdwa v8, v26, v8 dst_sel:BYTE_1 dst_unused:UNUSED_PAD src0_sel:DWORD src1_sel:DWORD
	v_cndmask_b32_e64 v11, 0, 1, s[8:9]
	v_or_b32_e32 v8, v9, v8
	v_or_b32_sdwa v9, v8, v25 dst_sel:DWORD dst_unused:UNUSED_PAD src0_sel:WORD_0 src1_sel:DWORD
	v_lshlrev_b16_e32 v8, 8, v11
	v_or_b32_sdwa v8, v10, v8 dst_sel:DWORD dst_unused:UNUSED_PAD src0_sel:BYTE_0 src1_sel:DWORD
	v_lshlrev_b16_e32 v11, 8, v12
	v_and_b32_sdwa v10, v10, s4 dst_sel:DWORD dst_unused:UNUSED_PAD src0_sel:WORD_1 src1_sel:DWORD
	v_or_b32_sdwa v10, v10, v11 dst_sel:WORD_1 dst_unused:UNUSED_PAD src0_sel:DWORD src1_sel:DWORD
	v_or_b32_sdwa v11, v8, v10 dst_sel:DWORD dst_unused:UNUSED_PAD src0_sel:WORD_0 src1_sel:DWORD
.LBB1703_65:
	s_or_b64 exec, exec, s[6:7]
	v_add_u32_e32 v8, 5, v35
	v_cmp_le_u32_e32 vcc, s16, v8
	v_lshrrev_b32_e32 v12, 24, v11
	v_lshrrev_b32_e32 v25, 24, v9
                                        ; implicit-def: $vgpr8
                                        ; implicit-def: $vgpr10
	s_and_saveexec_b64 s[4:5], vcc
	s_xor_b64 s[4:5], exec, s[4:5]
	s_cbranch_execz .LBB1703_67
; %bb.66:
	s_mov_b32 s6, 0x40c0100
	v_perm_b32 v8, v12, v11, s6
	s_movk_i32 s6, 0xff
	v_lshlrev_b16_e32 v10, 8, v25
	v_and_b32_sdwa v11, v9, s6 dst_sel:DWORD dst_unused:UNUSED_PAD src0_sel:WORD_1 src1_sel:DWORD
	v_or_b32_e32 v10, v11, v10
	s_mov_b32 s6, 0x5040c00
	v_perm_b32 v10, v10, v9, s6
	v_mov_b32_e32 v9, 8
	v_lshrrev_b32_sdwa v9, v9, v8 dst_sel:BYTE_1 dst_unused:UNUSED_PAD src0_sel:DWORD src1_sel:DWORD
	v_or_b32_sdwa v9, v8, v9 dst_sel:DWORD dst_unused:UNUSED_PAD src0_sel:BYTE_0 src1_sel:DWORD
	v_and_b32_e32 v9, 0xffff, v9
	s_mov_b32 s6, 0xff000000
	v_and_or_b32 v8, v8, s6, v9
	s_mov_b32 s6, 0x3060504
	v_perm_b32 v7, v7, v7, s6
                                        ; implicit-def: $vgpr9
                                        ; implicit-def: $vgpr25
                                        ; implicit-def: $vgpr11
                                        ; implicit-def: $vgpr12
.LBB1703_67:
	s_andn2_saveexec_b64 s[6:7], s[4:5]
	s_cbranch_execz .LBB1703_71
; %bb.68:
	v_add_u32_e32 v8, s37, v20
	v_add_u32_e32 v10, s39, v20
	v_mul_lo_u32 v8, v8, s36
	v_mul_lo_u32 v10, v10, s38
	s_mov_b64 s[8:9], 0
	v_sub_u32_e32 v8, v8, v10
	v_cmp_lt_u32_e32 vcc, s40, v8
	v_cmp_ge_u32_e64 s[4:5], s40, v8
	s_and_saveexec_b64 s[10:11], s[4:5]
	s_cbranch_execz .LBB1703_70
; %bb.69:
	v_add_u32_e32 v8, s42, v20
	v_add_u32_e32 v10, s56, v20
	v_mul_lo_u32 v8, v8, s41
	v_mul_lo_u32 v10, v10, s43
	v_sub_u32_e32 v8, v8, v10
	v_cmp_lt_u32_e64 s[4:5], s57, v8
	s_and_b64 s[8:9], s[4:5], exec
.LBB1703_70:
	s_or_b64 exec, exec, s[10:11]
	v_cndmask_b32_e64 v8, 0, 1, vcc
	v_lshlrev_b16_e32 v8, 8, v8
	s_movk_i32 s4, 0xff
	v_or_b32_sdwa v8, v9, v8 dst_sel:DWORD dst_unused:UNUSED_PAD src0_sel:BYTE_0 src1_sel:DWORD
	v_lshlrev_b16_e32 v10, 8, v25
	v_and_b32_sdwa v9, v9, s4 dst_sel:DWORD dst_unused:UNUSED_PAD src0_sel:WORD_1 src1_sel:DWORD
	v_or_b32_sdwa v9, v9, v10 dst_sel:WORD_1 dst_unused:UNUSED_PAD src0_sel:DWORD src1_sel:DWORD
	v_or_b32_sdwa v10, v8, v9 dst_sel:DWORD dst_unused:UNUSED_PAD src0_sel:WORD_0 src1_sel:DWORD
	v_mov_b32_e32 v8, 8
	v_cndmask_b32_e64 v26, 0, 1, s[8:9]
	v_lshrrev_b32_sdwa v8, v8, v11 dst_sel:BYTE_1 dst_unused:UNUSED_PAD src0_sel:DWORD src1_sel:DWORD
	v_lshlrev_b16_e32 v9, 8, v12
	v_or_b32_sdwa v8, v11, v8 dst_sel:DWORD dst_unused:UNUSED_PAD src0_sel:BYTE_0 src1_sel:DWORD
	v_or_b32_sdwa v9, v26, v9 dst_sel:WORD_1 dst_unused:UNUSED_PAD src0_sel:DWORD src1_sel:DWORD
	v_or_b32_sdwa v8, v8, v9 dst_sel:DWORD dst_unused:UNUSED_PAD src0_sel:WORD_0 src1_sel:DWORD
.LBB1703_71:
	s_or_b64 exec, exec, s[6:7]
	v_add_u32_e32 v9, 6, v35
	v_cmp_le_u32_e32 vcc, s16, v9
	v_lshrrev_b32_e32 v11, 24, v10
                                        ; implicit-def: $vgpr37
                                        ; implicit-def: $vgpr9
	s_and_saveexec_b64 s[4:5], vcc
	s_xor_b64 s[4:5], exec, s[4:5]
	s_cbranch_execz .LBB1703_73
; %bb.72:
	s_mov_b32 s6, 0x40c0100
	v_perm_b32 v9, v11, v10, s6
	v_mov_b32_e32 v10, 8
	v_lshrrev_b32_sdwa v10, v10, v9 dst_sel:BYTE_1 dst_unused:UNUSED_PAD src0_sel:DWORD src1_sel:DWORD
	v_or_b32_sdwa v10, v9, v10 dst_sel:DWORD dst_unused:UNUSED_PAD src0_sel:BYTE_0 src1_sel:DWORD
	v_and_b32_e32 v10, 0xffff, v10
	s_mov_b32 s6, 0xff000000
	v_and_b32_e32 v12, 0xff0000, v8
	v_and_or_b32 v9, v9, s6, v10
	s_mov_b32 s6, 0x3020504
	v_perm_b32 v37, v8, v12, s6
	s_mov_b32 s6, 0x3060504
	v_perm_b32 v7, v7, v7, s6
                                        ; implicit-def: $vgpr10
                                        ; implicit-def: $vgpr11
                                        ; implicit-def: $vgpr8
.LBB1703_73:
	s_andn2_saveexec_b64 s[6:7], s[4:5]
	s_cbranch_execz .LBB1703_77
; %bb.74:
	v_add_u32_e32 v9, s37, v17
	v_add_u32_e32 v12, s39, v17
	v_mul_lo_u32 v9, v9, s36
	v_mul_lo_u32 v12, v12, s38
	s_mov_b64 s[8:9], 0
	v_sub_u32_e32 v9, v9, v12
	v_cmp_lt_u32_e32 vcc, s40, v9
	v_cmp_ge_u32_e64 s[4:5], s40, v9
	s_and_saveexec_b64 s[10:11], s[4:5]
	s_cbranch_execz .LBB1703_76
; %bb.75:
	v_add_u32_e32 v9, s42, v17
	v_add_u32_e32 v12, s56, v17
	v_mul_lo_u32 v9, v9, s41
	v_mul_lo_u32 v12, v12, s43
	v_sub_u32_e32 v9, v9, v12
	v_cmp_lt_u32_e64 s[4:5], s57, v9
	s_and_b64 s[8:9], s[4:5], exec
.LBB1703_76:
	s_or_b64 exec, exec, s[10:11]
	v_mov_b32_e32 v25, 8
	v_cndmask_b32_e64 v9, 0, 1, vcc
	v_lshrrev_b32_sdwa v26, v25, v10 dst_sel:BYTE_1 dst_unused:UNUSED_PAD src0_sel:DWORD src1_sel:DWORD
	v_lshlrev_b16_e32 v11, 8, v11
	v_or_b32_sdwa v10, v10, v26 dst_sel:DWORD dst_unused:UNUSED_PAD src0_sel:BYTE_0 src1_sel:DWORD
	v_or_b32_sdwa v9, v9, v11 dst_sel:WORD_1 dst_unused:UNUSED_PAD src0_sel:DWORD src1_sel:DWORD
	v_cndmask_b32_e64 v12, 0, 1, s[8:9]
	s_movk_i32 s4, 0xff
	v_or_b32_sdwa v9, v10, v9 dst_sel:DWORD dst_unused:UNUSED_PAD src0_sel:WORD_0 src1_sel:DWORD
	v_lshrrev_b32_sdwa v10, v25, v8 dst_sel:BYTE_1 dst_unused:UNUSED_PAD src0_sel:DWORD src1_sel:DWORD
	v_or_b32_sdwa v10, v8, v10 dst_sel:DWORD dst_unused:UNUSED_PAD src0_sel:BYTE_0 src1_sel:DWORD
	v_lshlrev_b16_e32 v11, 8, v12
	v_and_b32_sdwa v8, v8, s4 dst_sel:DWORD dst_unused:UNUSED_PAD src0_sel:WORD_1 src1_sel:DWORD
	v_or_b32_sdwa v8, v8, v11 dst_sel:WORD_1 dst_unused:UNUSED_PAD src0_sel:DWORD src1_sel:DWORD
	v_or_b32_sdwa v37, v10, v8 dst_sel:DWORD dst_unused:UNUSED_PAD src0_sel:WORD_0 src1_sel:DWORD
.LBB1703_77:
	s_or_b64 exec, exec, s[6:7]
	v_add_u32_e32 v8, 7, v35
	v_cmp_le_u32_e32 vcc, s16, v8
	v_lshrrev_b32_e32 v10, 24, v7
                                        ; implicit-def: $vgpr8
                                        ; implicit-def: $vgpr38
	s_and_saveexec_b64 s[4:5], vcc
	s_xor_b64 s[4:5], exec, s[4:5]
; %bb.78:
	v_and_b32_e32 v8, 0xff0000, v9
	s_mov_b32 s6, 0x3020504
	v_perm_b32 v38, v9, v8, s6
	s_movk_i32 s6, 0xff
	v_lshlrev_b16_e32 v8, 8, v10
	v_and_b32_sdwa v9, v7, s6 dst_sel:DWORD dst_unused:UNUSED_PAD src0_sel:WORD_1 src1_sel:DWORD
	v_mov_b32_e32 v11, 8
	v_or_b32_sdwa v8, v9, v8 dst_sel:WORD_1 dst_unused:UNUSED_PAD src0_sel:DWORD src1_sel:DWORD
	v_lshrrev_b32_sdwa v8, v11, v7 dst_sel:BYTE_1 dst_unused:UNUSED_PRESERVE src0_sel:DWORD src1_sel:DWORD
                                        ; implicit-def: $vgpr9
                                        ; implicit-def: $vgpr10
                                        ; implicit-def: $vgpr7
; %bb.79:
	s_andn2_saveexec_b64 s[6:7], s[4:5]
	s_cbranch_execz .LBB1703_83
; %bb.80:
	v_add_u32_e32 v8, s37, v18
	v_add_u32_e32 v11, s39, v18
	v_mul_lo_u32 v8, v8, s36
	v_mul_lo_u32 v11, v11, s38
	s_mov_b64 s[8:9], 0
	v_sub_u32_e32 v8, v8, v11
	v_cmp_lt_u32_e32 vcc, s40, v8
	v_cmp_ge_u32_e64 s[4:5], s40, v8
	s_and_saveexec_b64 s[10:11], s[4:5]
	s_cbranch_execz .LBB1703_82
; %bb.81:
	v_add_u32_e32 v8, s42, v18
	v_add_u32_e32 v11, s56, v18
	v_mul_lo_u32 v8, v8, s41
	v_mul_lo_u32 v11, v11, s43
	v_sub_u32_e32 v8, v8, v11
	v_cmp_lt_u32_e64 s[4:5], s57, v8
	s_and_b64 s[8:9], s[4:5], exec
.LBB1703_82:
	s_or_b64 exec, exec, s[10:11]
	v_mov_b32_e32 v12, 8
	v_cndmask_b32_e64 v8, 0, 1, vcc
	s_movk_i32 s4, 0xff
	v_lshrrev_b32_sdwa v25, v12, v9 dst_sel:BYTE_1 dst_unused:UNUSED_PAD src0_sel:DWORD src1_sel:DWORD
	v_or_b32_sdwa v25, v9, v25 dst_sel:DWORD dst_unused:UNUSED_PAD src0_sel:BYTE_0 src1_sel:DWORD
	v_lshlrev_b16_e32 v8, 8, v8
	v_and_b32_sdwa v9, v9, s4 dst_sel:DWORD dst_unused:UNUSED_PAD src0_sel:WORD_1 src1_sel:DWORD
	v_or_b32_sdwa v8, v9, v8 dst_sel:WORD_1 dst_unused:UNUSED_PAD src0_sel:DWORD src1_sel:DWORD
	v_cndmask_b32_e64 v11, 0, 1, s[8:9]
	v_or_b32_sdwa v38, v25, v8 dst_sel:DWORD dst_unused:UNUSED_PAD src0_sel:WORD_0 src1_sel:DWORD
	v_lshlrev_b16_e32 v8, 8, v10
	v_and_b32_sdwa v9, v7, s4 dst_sel:DWORD dst_unused:UNUSED_PAD src0_sel:WORD_1 src1_sel:DWORD
	v_lshrrev_b32_sdwa v7, v12, v7 dst_sel:BYTE_1 dst_unused:UNUSED_PAD src0_sel:DWORD src1_sel:DWORD
	v_or_b32_sdwa v8, v9, v8 dst_sel:WORD_1 dst_unused:UNUSED_PAD src0_sel:DWORD src1_sel:DWORD
	v_or_b32_e32 v7, v11, v7
	v_or_b32_sdwa v8, v7, v8 dst_sel:DWORD dst_unused:UNUSED_PAD src0_sel:WORD_0 src1_sel:DWORD
.LBB1703_83:
	s_or_b64 exec, exec, s[6:7]
	v_add_u32_e32 v7, 8, v35
	v_cmp_le_u32_e32 vcc, s16, v7
	v_lshrrev_b32_e32 v10, 24, v8
	v_lshrrev_b32_e32 v11, 24, v6
                                        ; implicit-def: $vgpr9
                                        ; implicit-def: $vgpr7
	s_and_saveexec_b64 s[4:5], vcc
	s_xor_b64 s[4:5], exec, s[4:5]
	s_cbranch_execz .LBB1703_85
; %bb.84:
	s_movk_i32 s6, 0xff
	v_lshlrev_b16_e32 v7, 8, v11
	v_and_b32_sdwa v9, v6, s6 dst_sel:DWORD dst_unused:UNUSED_PAD src0_sel:WORD_1 src1_sel:DWORD
	v_or_b32_sdwa v7, v9, v7 dst_sel:WORD_1 dst_unused:UNUSED_PAD src0_sel:DWORD src1_sel:DWORD
	v_mov_b32_e32 v9, 8
	v_lshrrev_b32_sdwa v7, v9, v6 dst_sel:BYTE_1 dst_unused:UNUSED_PRESERVE src0_sel:DWORD src1_sel:DWORD
	v_lshlrev_b16_e32 v6, 8, v10
	v_and_b32_sdwa v9, v8, s6 dst_sel:DWORD dst_unused:UNUSED_PAD src0_sel:WORD_1 src1_sel:DWORD
	s_mov_b32 s7, 0x3060504
	v_or_b32_e32 v6, v9, v6
	s_mov_b32 s6, 0x5040c00
	v_perm_b32 v5, v5, v5, s7
	v_perm_b32 v9, v6, v8, s6
                                        ; implicit-def: $vgpr11
                                        ; implicit-def: $vgpr6
                                        ; implicit-def: $vgpr8
                                        ; implicit-def: $vgpr10
.LBB1703_85:
	s_andn2_saveexec_b64 s[6:7], s[4:5]
	s_cbranch_execz .LBB1703_89
; %bb.86:
	v_add_u32_e32 v7, s37, v15
	v_add_u32_e32 v9, s39, v15
	v_mul_lo_u32 v7, v7, s36
	v_mul_lo_u32 v9, v9, s38
	s_mov_b64 s[8:9], 0
	v_sub_u32_e32 v7, v7, v9
	v_cmp_lt_u32_e32 vcc, s40, v7
	v_cmp_ge_u32_e64 s[4:5], s40, v7
	s_and_saveexec_b64 s[10:11], s[4:5]
	s_cbranch_execz .LBB1703_88
; %bb.87:
	v_add_u32_e32 v7, s42, v15
	v_add_u32_e32 v9, s56, v15
	v_mul_lo_u32 v7, v7, s41
	v_mul_lo_u32 v9, v9, s43
	v_sub_u32_e32 v7, v7, v9
	v_cmp_lt_u32_e64 s[4:5], s57, v7
	s_and_b64 s[8:9], s[4:5], exec
.LBB1703_88:
	s_or_b64 exec, exec, s[10:11]
	s_movk_i32 s4, 0xff
	v_lshlrev_b16_e32 v11, 8, v11
	v_and_b32_sdwa v12, v6, s4 dst_sel:DWORD dst_unused:UNUSED_PAD src0_sel:WORD_1 src1_sel:DWORD
	v_or_b32_sdwa v11, v12, v11 dst_sel:WORD_1 dst_unused:UNUSED_PAD src0_sel:DWORD src1_sel:DWORD
	v_mov_b32_e32 v12, 8
	v_cndmask_b32_e64 v7, 0, 1, vcc
	v_lshrrev_b32_sdwa v6, v12, v6 dst_sel:BYTE_1 dst_unused:UNUSED_PAD src0_sel:DWORD src1_sel:DWORD
	v_cndmask_b32_e64 v9, 0, 1, s[8:9]
	v_or_b32_e32 v6, v7, v6
	v_or_b32_sdwa v7, v6, v11 dst_sel:DWORD dst_unused:UNUSED_PAD src0_sel:WORD_0 src1_sel:DWORD
	v_lshlrev_b16_e32 v6, 8, v9
	v_or_b32_sdwa v6, v8, v6 dst_sel:DWORD dst_unused:UNUSED_PAD src0_sel:BYTE_0 src1_sel:DWORD
	v_lshlrev_b16_e32 v9, 8, v10
	v_and_b32_sdwa v8, v8, s4 dst_sel:DWORD dst_unused:UNUSED_PAD src0_sel:WORD_1 src1_sel:DWORD
	v_or_b32_sdwa v8, v8, v9 dst_sel:WORD_1 dst_unused:UNUSED_PAD src0_sel:DWORD src1_sel:DWORD
	v_or_b32_sdwa v9, v6, v8 dst_sel:DWORD dst_unused:UNUSED_PAD src0_sel:WORD_0 src1_sel:DWORD
.LBB1703_89:
	s_or_b64 exec, exec, s[6:7]
	v_add_u32_e32 v6, 9, v35
	v_cmp_le_u32_e32 vcc, s16, v6
	v_lshrrev_b32_e32 v10, 24, v9
	v_lshrrev_b32_e32 v11, 24, v7
                                        ; implicit-def: $vgpr6
                                        ; implicit-def: $vgpr8
	s_and_saveexec_b64 s[4:5], vcc
	s_xor_b64 s[4:5], exec, s[4:5]
	s_cbranch_execz .LBB1703_91
; %bb.90:
	s_mov_b32 s6, 0x40c0100
	v_perm_b32 v6, v10, v9, s6
	v_mov_b32_e32 v8, 8
	s_movk_i32 s6, 0xff
	v_lshrrev_b32_sdwa v9, v8, v6 dst_sel:BYTE_1 dst_unused:UNUSED_PAD src0_sel:DWORD src1_sel:DWORD
	v_lshlrev_b16_e32 v8, 8, v11
	v_and_b32_sdwa v10, v7, s6 dst_sel:DWORD dst_unused:UNUSED_PAD src0_sel:WORD_1 src1_sel:DWORD
	v_or_b32_e32 v8, v10, v8
	s_mov_b32 s6, 0x5040c00
	v_perm_b32 v8, v8, v7, s6
	s_mov_b32 s6, 0x3060504
	v_or_b32_sdwa v7, v6, v9 dst_sel:DWORD dst_unused:UNUSED_PAD src0_sel:BYTE_0 src1_sel:DWORD
	v_perm_b32 v5, v5, v5, s6
	v_and_b32_e32 v7, 0xffff, v7
	s_mov_b32 s6, 0xff000000
	v_and_or_b32 v6, v6, s6, v7
                                        ; implicit-def: $vgpr7
                                        ; implicit-def: $vgpr11
                                        ; implicit-def: $vgpr9
                                        ; implicit-def: $vgpr10
.LBB1703_91:
	s_andn2_saveexec_b64 s[6:7], s[4:5]
	s_cbranch_execz .LBB1703_95
; %bb.92:
	v_add_u32_e32 v6, s37, v16
	v_add_u32_e32 v8, s39, v16
	v_mul_lo_u32 v6, v6, s36
	v_mul_lo_u32 v8, v8, s38
	s_mov_b64 s[8:9], 0
	v_sub_u32_e32 v6, v6, v8
	v_cmp_lt_u32_e32 vcc, s40, v6
	v_cmp_ge_u32_e64 s[4:5], s40, v6
	s_and_saveexec_b64 s[10:11], s[4:5]
	s_cbranch_execz .LBB1703_94
; %bb.93:
	v_add_u32_e32 v6, s42, v16
	v_add_u32_e32 v8, s56, v16
	v_mul_lo_u32 v6, v6, s41
	v_mul_lo_u32 v8, v8, s43
	v_sub_u32_e32 v6, v6, v8
	v_cmp_lt_u32_e64 s[4:5], s57, v6
	s_and_b64 s[8:9], s[4:5], exec
.LBB1703_94:
	s_or_b64 exec, exec, s[10:11]
	v_cndmask_b32_e64 v6, 0, 1, vcc
	v_lshlrev_b16_e32 v6, 8, v6
	s_movk_i32 s4, 0xff
	v_or_b32_sdwa v6, v7, v6 dst_sel:DWORD dst_unused:UNUSED_PAD src0_sel:BYTE_0 src1_sel:DWORD
	v_lshlrev_b16_e32 v8, 8, v11
	v_and_b32_sdwa v7, v7, s4 dst_sel:DWORD dst_unused:UNUSED_PAD src0_sel:WORD_1 src1_sel:DWORD
	v_or_b32_sdwa v7, v7, v8 dst_sel:WORD_1 dst_unused:UNUSED_PAD src0_sel:DWORD src1_sel:DWORD
	v_or_b32_sdwa v8, v6, v7 dst_sel:DWORD dst_unused:UNUSED_PAD src0_sel:WORD_0 src1_sel:DWORD
	v_mov_b32_e32 v6, 8
	v_cndmask_b32_e64 v12, 0, 1, s[8:9]
	v_lshrrev_b32_sdwa v6, v6, v9 dst_sel:BYTE_1 dst_unused:UNUSED_PAD src0_sel:DWORD src1_sel:DWORD
	v_lshlrev_b16_e32 v7, 8, v10
	v_or_b32_sdwa v6, v9, v6 dst_sel:DWORD dst_unused:UNUSED_PAD src0_sel:BYTE_0 src1_sel:DWORD
	v_or_b32_sdwa v7, v12, v7 dst_sel:WORD_1 dst_unused:UNUSED_PAD src0_sel:DWORD src1_sel:DWORD
	v_or_b32_sdwa v6, v6, v7 dst_sel:DWORD dst_unused:UNUSED_PAD src0_sel:WORD_0 src1_sel:DWORD
.LBB1703_95:
	s_or_b64 exec, exec, s[6:7]
	v_add_u32_e32 v7, 10, v35
	v_cmp_le_u32_e32 vcc, s16, v7
	v_lshrrev_b32_e32 v9, 24, v8
                                        ; implicit-def: $vgpr39
                                        ; implicit-def: $vgpr7
	s_and_saveexec_b64 s[4:5], vcc
	s_xor_b64 s[4:5], exec, s[4:5]
	s_cbranch_execz .LBB1703_97
; %bb.96:
	s_mov_b32 s6, 0x40c0100
	v_perm_b32 v7, v9, v8, s6
	v_mov_b32_e32 v8, 8
	v_lshrrev_b32_sdwa v8, v8, v7 dst_sel:BYTE_1 dst_unused:UNUSED_PAD src0_sel:DWORD src1_sel:DWORD
	v_or_b32_sdwa v8, v7, v8 dst_sel:DWORD dst_unused:UNUSED_PAD src0_sel:BYTE_0 src1_sel:DWORD
	v_and_b32_e32 v8, 0xffff, v8
	s_mov_b32 s6, 0xff000000
	v_and_or_b32 v7, v7, s6, v8
	s_mov_b32 s6, 0x3060504
	v_and_b32_e32 v10, 0xff0000, v6
	v_perm_b32 v5, v5, v5, s6
	s_mov_b32 s6, 0x3020504
	v_perm_b32 v39, v6, v10, s6
                                        ; implicit-def: $vgpr8
                                        ; implicit-def: $vgpr9
                                        ; implicit-def: $vgpr6
.LBB1703_97:
	s_andn2_saveexec_b64 s[6:7], s[4:5]
	s_cbranch_execz .LBB1703_101
; %bb.98:
	v_add_u32_e32 v7, s37, v13
	v_add_u32_e32 v10, s39, v13
	v_mul_lo_u32 v7, v7, s36
	v_mul_lo_u32 v10, v10, s38
	s_mov_b64 s[8:9], 0
	v_sub_u32_e32 v7, v7, v10
	v_cmp_lt_u32_e32 vcc, s40, v7
	v_cmp_ge_u32_e64 s[4:5], s40, v7
	s_and_saveexec_b64 s[10:11], s[4:5]
	s_cbranch_execz .LBB1703_100
; %bb.99:
	v_add_u32_e32 v7, s42, v13
	v_add_u32_e32 v10, s56, v13
	v_mul_lo_u32 v7, v7, s41
	v_mul_lo_u32 v10, v10, s43
	v_sub_u32_e32 v7, v7, v10
	v_cmp_lt_u32_e64 s[4:5], s57, v7
	s_and_b64 s[8:9], s[4:5], exec
.LBB1703_100:
	s_or_b64 exec, exec, s[10:11]
	v_mov_b32_e32 v11, 8
	v_cndmask_b32_e64 v7, 0, 1, vcc
	v_lshrrev_b32_sdwa v12, v11, v8 dst_sel:BYTE_1 dst_unused:UNUSED_PAD src0_sel:DWORD src1_sel:DWORD
	v_lshlrev_b16_e32 v9, 8, v9
	v_or_b32_sdwa v8, v8, v12 dst_sel:DWORD dst_unused:UNUSED_PAD src0_sel:BYTE_0 src1_sel:DWORD
	v_or_b32_sdwa v7, v7, v9 dst_sel:WORD_1 dst_unused:UNUSED_PAD src0_sel:DWORD src1_sel:DWORD
	v_cndmask_b32_e64 v10, 0, 1, s[8:9]
	s_movk_i32 s4, 0xff
	v_or_b32_sdwa v7, v8, v7 dst_sel:DWORD dst_unused:UNUSED_PAD src0_sel:WORD_0 src1_sel:DWORD
	v_lshrrev_b32_sdwa v8, v11, v6 dst_sel:BYTE_1 dst_unused:UNUSED_PAD src0_sel:DWORD src1_sel:DWORD
	v_or_b32_sdwa v8, v6, v8 dst_sel:DWORD dst_unused:UNUSED_PAD src0_sel:BYTE_0 src1_sel:DWORD
	v_lshlrev_b16_e32 v9, 8, v10
	v_and_b32_sdwa v6, v6, s4 dst_sel:DWORD dst_unused:UNUSED_PAD src0_sel:WORD_1 src1_sel:DWORD
	v_or_b32_sdwa v6, v6, v9 dst_sel:WORD_1 dst_unused:UNUSED_PAD src0_sel:DWORD src1_sel:DWORD
	v_or_b32_sdwa v39, v8, v6 dst_sel:DWORD dst_unused:UNUSED_PAD src0_sel:WORD_0 src1_sel:DWORD
.LBB1703_101:
	s_or_b64 exec, exec, s[6:7]
	v_add_u32_e32 v6, 11, v35
	v_mov_b32_e32 v40, 0
	v_cmp_le_u32_e32 vcc, s16, v6
                                        ; implicit-def: $vgpr41
	s_and_saveexec_b64 s[4:5], vcc
	s_xor_b64 s[4:5], exec, s[4:5]
; %bb.102:
	v_and_b32_e32 v6, 0xff0000, v7
	s_mov_b32 s6, 0x3020504
	v_perm_b32 v41, v7, v6, s6
	s_mov_b32 s6, 0x3060504
	v_perm_b32 v5, v5, v5, s6
                                        ; implicit-def: $vgpr7
; %bb.103:
	s_andn2_saveexec_b64 s[6:7], s[4:5]
	s_cbranch_execz .LBB1703_107
; %bb.104:
	v_add_u32_e32 v6, s37, v14
	v_add_u32_e32 v8, s39, v14
	v_mul_lo_u32 v6, v6, s36
	v_mul_lo_u32 v8, v8, s38
	s_mov_b64 s[8:9], 0
	v_sub_u32_e32 v6, v6, v8
	v_cmp_lt_u32_e32 vcc, s40, v6
	v_cmp_ge_u32_e64 s[4:5], s40, v6
	s_and_saveexec_b64 s[10:11], s[4:5]
	s_cbranch_execz .LBB1703_106
; %bb.105:
	v_add_u32_e32 v6, s42, v14
	v_add_u32_e32 v8, s56, v14
	v_mul_lo_u32 v6, v6, s41
	v_mul_lo_u32 v8, v8, s43
	v_sub_u32_e32 v6, v6, v8
	v_cmp_lt_u32_e64 s[4:5], s57, v6
	s_and_b64 s[8:9], s[4:5], exec
.LBB1703_106:
	s_or_b64 exec, exec, s[10:11]
	v_mov_b32_e32 v8, 8
	v_cndmask_b32_e64 v6, 0, 1, vcc
	s_movk_i32 s4, 0xff
	v_lshrrev_b32_sdwa v8, v8, v7 dst_sel:BYTE_1 dst_unused:UNUSED_PAD src0_sel:DWORD src1_sel:DWORD
	v_or_b32_sdwa v8, v7, v8 dst_sel:DWORD dst_unused:UNUSED_PAD src0_sel:BYTE_0 src1_sel:DWORD
	v_lshlrev_b16_e32 v6, 8, v6
	v_and_b32_sdwa v7, v7, s4 dst_sel:DWORD dst_unused:UNUSED_PAD src0_sel:WORD_1 src1_sel:DWORD
	v_or_b32_sdwa v6, v7, v6 dst_sel:WORD_1 dst_unused:UNUSED_PAD src0_sel:DWORD src1_sel:DWORD
	v_cndmask_b32_e64 v40, 0, 1, s[8:9]
	v_or_b32_sdwa v41, v8, v6 dst_sel:DWORD dst_unused:UNUSED_PAD src0_sel:WORD_0 src1_sel:DWORD
.LBB1703_107:
	s_or_b64 exec, exec, s[6:7]
	v_add_u32_e32 v6, 12, v35
	v_cmp_le_u32_e32 vcc, s16, v6
	v_lshrrev_b32_e32 v6, 24, v5
                                        ; implicit-def: $vgpr42
	s_and_saveexec_b64 s[4:5], vcc
	s_xor_b64 s[4:5], exec, s[4:5]
; %bb.108:
	s_movk_i32 s6, 0xff
	v_lshlrev_b16_e32 v6, 8, v6
	v_and_b32_sdwa v8, v5, s6 dst_sel:DWORD dst_unused:UNUSED_PAD src0_sel:WORD_1 src1_sel:DWORD
	v_mov_b32_e32 v7, 8
	v_or_b32_sdwa v42, v8, v6 dst_sel:WORD_1 dst_unused:UNUSED_PAD src0_sel:DWORD src1_sel:DWORD
	v_lshrrev_b32_sdwa v42, v7, v5 dst_sel:BYTE_1 dst_unused:UNUSED_PRESERVE src0_sel:DWORD src1_sel:DWORD
                                        ; implicit-def: $vgpr6
                                        ; implicit-def: $vgpr5
; %bb.109:
	s_or_saveexec_b64 s[6:7], s[4:5]
	v_mov_b32_e32 v43, 0
	s_xor_b64 exec, exec, s[6:7]
	s_cbranch_execz .LBB1703_113
; %bb.110:
	v_add_u32_e32 v7, s37, v34
	v_add_u32_e32 v8, s39, v34
	v_mul_lo_u32 v7, v7, s36
	v_mul_lo_u32 v8, v8, s38
	s_mov_b64 s[8:9], 0
	v_sub_u32_e32 v7, v7, v8
	v_cmp_lt_u32_e32 vcc, s40, v7
	v_cmp_ge_u32_e64 s[4:5], s40, v7
	s_and_saveexec_b64 s[10:11], s[4:5]
	s_cbranch_execz .LBB1703_112
; %bb.111:
	v_add_u32_e32 v7, s42, v34
	v_add_u32_e32 v8, s56, v34
	v_mul_lo_u32 v7, v7, s41
	v_mul_lo_u32 v8, v8, s43
	v_sub_u32_e32 v7, v7, v8
	v_cmp_lt_u32_e64 s[4:5], s57, v7
	s_and_b64 s[8:9], s[4:5], exec
.LBB1703_112:
	s_or_b64 exec, exec, s[10:11]
	s_movk_i32 s4, 0xff
	v_lshlrev_b16_e32 v6, 8, v6
	v_and_b32_sdwa v8, v5, s4 dst_sel:DWORD dst_unused:UNUSED_PAD src0_sel:WORD_1 src1_sel:DWORD
	v_or_b32_sdwa v6, v8, v6 dst_sel:WORD_1 dst_unused:UNUSED_PAD src0_sel:DWORD src1_sel:DWORD
	v_mov_b32_e32 v8, 8
	v_cndmask_b32_e64 v7, 0, 1, vcc
	v_lshrrev_b32_sdwa v5, v8, v5 dst_sel:BYTE_1 dst_unused:UNUSED_PAD src0_sel:DWORD src1_sel:DWORD
	v_or_b32_e32 v5, v7, v5
	v_cndmask_b32_e64 v43, 0, 1, s[8:9]
	v_or_b32_sdwa v42, v5, v6 dst_sel:DWORD dst_unused:UNUSED_PAD src0_sel:WORD_0 src1_sel:DWORD
.LBB1703_113:
	s_or_b64 exec, exec, s[6:7]
.LBB1703_114:
	v_and_b32_e32 v53, 0xff, v36
	v_bfe_u32 v50, v36, 8, 8
	v_bfe_u32 v55, v36, 16, 8
	v_lshrrev_b32_e32 v48, 24, v36
	v_and_b32_e32 v56, 0xff, v38
	v_add3_u32 v8, v50, v53, v55
	v_bfe_u32 v51, v38, 8, 8
	v_bfe_u32 v58, v38, 16, 8
	v_add3_u32 v8, v8, v48, v56
	v_bfe_u32 v54, v42, 8, 8
	v_bfe_u32 v62, v42, 16, 8
	v_lshrrev_b32_e32 v49, 24, v42
	v_lshrrev_b32_e32 v46, 24, v38
	v_and_b32_e32 v59, 0xff, v41
	v_add3_u32 v8, v8, v51, v58
	v_and_b32_e32 v63, 0xff, v37
	v_bfe_u32 v57, v37, 8, 8
	v_bfe_u32 v52, v41, 8, 8
	;; [unrolled: 1-line block ×3, first 2 shown]
	v_add3_u32 v7, v62, v54, v49
	v_add3_u32 v8, v8, v46, v59
	v_bfe_u32 v64, v37, 16, 8
	v_lshrrev_b32_e32 v47, 24, v37
	v_lshrrev_b32_e32 v44, 24, v41
	v_and_b32_e32 v5, 0xff, v42
	v_add3_u32 v7, v7, v63, v57
	v_add3_u32 v8, v8, v52, v61
	v_and_b32_e32 v65, 0xff, v39
	v_bfe_u32 v60, v39, 8, 8
	v_add3_u32 v7, v7, v64, v47
	v_add3_u32 v73, v8, v44, v5
	v_mbcnt_lo_u32_b32 v5, -1, 0
	v_bfe_u32 v66, v39, 16, 8
	v_lshrrev_b32_e32 v45, 24, v39
	v_add3_u32 v7, v7, v65, v60
	v_mbcnt_hi_u32_b32 v68, -1, v5
	v_and_b32_e32 v67, 0xff, v40
	v_and_b32_e32 v6, 0xff, v43
	v_add3_u32 v7, v7, v66, v45
	v_and_b32_e32 v72, 15, v68
	s_cmp_lg_u32 s33, 0
	v_add3_u32 v74, v7, v67, v6
	v_cmp_eq_u32_e64 s[6:7], 0, v72
	v_cmp_lt_u32_e64 s[4:5], 1, v72
	v_cmp_lt_u32_e64 s[10:11], 3, v72
	;; [unrolled: 1-line block ×3, first 2 shown]
	v_and_b32_e32 v71, 16, v68
	v_cmp_lt_u32_e32 vcc, 31, v68
	v_lshrrev_b32_e32 v69, 6, v0
	v_or_b32_e32 v70, 63, v0
	s_cbranch_scc0 .LBB1703_136
; %bb.115:
	v_mov_b32_dpp v5, v73 row_shr:1 row_mask:0xf bank_mask:0xf
	v_mov_b32_dpp v6, v74 row_shr:1 row_mask:0xf bank_mask:0xf
	v_add_u32_e32 v5, v5, v73
	v_add_u32_e32 v6, v6, v74
	v_cndmask_b32_e64 v6, v6, v74, s[6:7]
	v_cndmask_b32_e64 v5, v5, v73, s[6:7]
	s_nop 0
	v_mov_b32_dpp v8, v6 row_shr:2 row_mask:0xf bank_mask:0xf
	v_mov_b32_dpp v7, v5 row_shr:2 row_mask:0xf bank_mask:0xf
	v_add_u32_e32 v7, v5, v7
	v_add_u32_e32 v8, v6, v8
	v_cndmask_b32_e64 v6, v6, v8, s[4:5]
	v_cndmask_b32_e64 v5, v5, v7, s[4:5]
	s_nop 0
	;; [unrolled: 7-line block ×3, first 2 shown]
	v_mov_b32_dpp v8, v6 row_shr:8 row_mask:0xf bank_mask:0xf
	v_mov_b32_dpp v7, v5 row_shr:8 row_mask:0xf bank_mask:0xf
	v_add_u32_e32 v7, v5, v7
	v_add_u32_e32 v8, v6, v8
	v_cndmask_b32_e64 v6, v6, v8, s[8:9]
	v_cndmask_b32_e64 v7, v5, v7, s[8:9]
	v_cmp_eq_u32_e64 s[8:9], 0, v71
	v_mov_b32_dpp v8, v6 row_bcast:15 row_mask:0xf bank_mask:0xf
	v_mov_b32_dpp v5, v7 row_bcast:15 row_mask:0xf bank_mask:0xf
	v_add_u32_e32 v9, v7, v5
	v_add_u32_e32 v5, v6, v8
	v_cndmask_b32_e64 v5, v5, v6, s[8:9]
	v_cndmask_b32_e64 v6, v9, v7, s[8:9]
	v_cmp_eq_u32_e64 s[8:9], v0, v70
	v_mov_b32_dpp v7, v5 row_bcast:31 row_mask:0xf bank_mask:0xf
	v_mov_b32_dpp v8, v6 row_bcast:31 row_mask:0xf bank_mask:0xf
	v_add_u32_e32 v7, v5, v7
	v_add_u32_e32 v8, v6, v8
	s_and_saveexec_b64 s[10:11], s[8:9]
; %bb.116:
	v_lshlrev_b32_e32 v11, 3, v69
	v_cndmask_b32_e32 v10, v5, v7, vcc
	v_cndmask_b32_e32 v9, v6, v8, vcc
	ds_write_b64 v11, v[9:10]
; %bb.117:
	s_or_b64 exec, exec, s[10:11]
	v_cmp_gt_u32_e64 s[8:9], 4, v0
	s_waitcnt lgkmcnt(0)
	s_barrier
	s_and_saveexec_b64 s[10:11], s[8:9]
	s_cbranch_execz .LBB1703_119
; %bb.118:
	v_lshlrev_b32_e32 v11, 3, v0
	ds_read_b64 v[9:10], v11
	v_and_b32_e32 v12, 3, v68
	v_cmp_eq_u32_e64 s[8:9], 0, v12
	s_waitcnt lgkmcnt(0)
	v_mov_b32_dpp v25, v9 row_shr:1 row_mask:0xf bank_mask:0xf
	v_mov_b32_dpp v26, v10 row_shr:1 row_mask:0xf bank_mask:0xf
	v_add_u32_e32 v25, v25, v9
	v_add_u32_e32 v26, v26, v10
	v_cndmask_b32_e64 v10, v26, v10, s[8:9]
	v_cndmask_b32_e64 v9, v25, v9, s[8:9]
	v_cmp_lt_u32_e64 s[8:9], 1, v12
	v_mov_b32_dpp v26, v10 row_shr:2 row_mask:0xf bank_mask:0xf
	v_mov_b32_dpp v25, v9 row_shr:2 row_mask:0xf bank_mask:0xf
	v_cndmask_b32_e64 v12, 0, v25, s[8:9]
	v_cndmask_b32_e64 v25, 0, v26, s[8:9]
	v_add_u32_e32 v10, v25, v10
	v_add_u32_e32 v9, v12, v9
	ds_write_b64 v11, v[9:10]
.LBB1703_119:
	s_or_b64 exec, exec, s[10:11]
	v_cndmask_b32_e32 v5, v5, v7, vcc
	v_cndmask_b32_e32 v6, v6, v8, vcc
	v_cmp_gt_u32_e32 vcc, 64, v0
	v_cmp_lt_u32_e64 s[8:9], 63, v0
	s_waitcnt lgkmcnt(0)
	s_barrier
                                        ; implicit-def: $vgpr25
	s_and_saveexec_b64 s[10:11], s[8:9]
	s_cbranch_execz .LBB1703_121
; %bb.120:
	v_lshl_add_u32 v7, v69, 3, -8
	ds_read_b64 v[25:26], v7
	s_waitcnt lgkmcnt(0)
	v_add_u32_e32 v5, v26, v5
	v_add_u32_e32 v6, v25, v6
.LBB1703_121:
	s_or_b64 exec, exec, s[10:11]
	v_subrev_co_u32_e64 v7, s[8:9], 1, v68
	v_and_b32_e32 v8, 64, v68
	v_cmp_lt_i32_e64 s[10:11], v7, v8
	v_cndmask_b32_e64 v7, v7, v68, s[10:11]
	v_lshlrev_b32_e32 v7, 2, v7
	ds_bpermute_b32 v75, v7, v6
	ds_bpermute_b32 v76, v7, v5
	s_and_saveexec_b64 s[10:11], vcc
	s_cbranch_execz .LBB1703_141
; %bb.122:
	v_mov_b32_e32 v8, 0
	ds_read_b64 v[5:6], v8 offset:24
	s_and_saveexec_b64 s[12:13], s[8:9]
	s_cbranch_execz .LBB1703_124
; %bb.123:
	s_add_i32 s14, s33, 64
	s_mov_b32 s15, 0
	s_lshl_b64 s[14:15], s[14:15], 4
	s_add_u32 s14, s54, s14
	s_addc_u32 s15, s55, s15
	v_mov_b32_e32 v9, s14
	v_mov_b32_e32 v7, 1
	;; [unrolled: 1-line block ×3, first 2 shown]
	s_waitcnt lgkmcnt(0)
	;;#ASMSTART
	global_store_dwordx4 v[9:10], v[5:8] off	
s_waitcnt vmcnt(0)
	;;#ASMEND
.LBB1703_124:
	s_or_b64 exec, exec, s[12:13]
	v_xad_u32 v27, v68, -1, s33
	v_add_u32_e32 v7, 64, v27
	v_lshlrev_b64 v[9:10], 4, v[7:8]
	v_mov_b32_e32 v7, s55
	v_add_co_u32_e32 v28, vcc, s54, v9
	v_addc_co_u32_e32 v29, vcc, v7, v10, vcc
	;;#ASMSTART
	global_load_dwordx4 v[9:12], v[28:29] off glc	
s_waitcnt vmcnt(0)
	;;#ASMEND
	v_cmp_eq_u16_sdwa s[14:15], v11, v8 src0_sel:BYTE_0 src1_sel:DWORD
	s_and_saveexec_b64 s[12:13], s[14:15]
	s_cbranch_execz .LBB1703_128
; %bb.125:
	s_mov_b64 s[14:15], 0
	v_mov_b32_e32 v7, 0
.LBB1703_126:                           ; =>This Inner Loop Header: Depth=1
	;;#ASMSTART
	global_load_dwordx4 v[9:12], v[28:29] off glc	
s_waitcnt vmcnt(0)
	;;#ASMEND
	v_cmp_ne_u16_sdwa s[18:19], v11, v7 src0_sel:BYTE_0 src1_sel:DWORD
	s_or_b64 s[14:15], s[18:19], s[14:15]
	s_andn2_b64 exec, exec, s[14:15]
	s_cbranch_execnz .LBB1703_126
; %bb.127:
	s_or_b64 exec, exec, s[14:15]
.LBB1703_128:
	s_or_b64 exec, exec, s[12:13]
	v_and_b32_e32 v78, 63, v68
	v_cmp_ne_u32_e32 vcc, 63, v78
	v_mov_b32_e32 v77, 2
	v_lshlrev_b64 v[29:30], v68, -1
	v_addc_co_u32_e32 v12, vcc, 0, v68, vcc
	v_cmp_eq_u16_sdwa s[12:13], v11, v77 src0_sel:BYTE_0 src1_sel:DWORD
	v_lshlrev_b32_e32 v79, 2, v12
	v_and_b32_e32 v7, s13, v30
	ds_bpermute_b32 v12, v79, v9
	ds_bpermute_b32 v28, v79, v10
	v_or_b32_e32 v7, 0x80000000, v7
	v_and_b32_e32 v8, s12, v29
	v_ffbl_b32_e32 v7, v7
	v_add_u32_e32 v7, 32, v7
	v_ffbl_b32_e32 v8, v8
	v_min_u32_e32 v7, v8, v7
	s_waitcnt lgkmcnt(1)
	v_add_u32_e32 v8, v12, v9
	s_waitcnt lgkmcnt(0)
	v_add_u32_e32 v12, v28, v10
	v_cmp_lt_u32_e32 vcc, v78, v7
	v_cndmask_b32_e32 v10, v10, v12, vcc
	v_cndmask_b32_e32 v8, v9, v8, vcc
	v_cmp_gt_u32_e32 vcc, 62, v78
	v_cndmask_b32_e64 v9, 0, 2, vcc
	v_add_lshl_u32 v80, v9, v68, 2
	ds_bpermute_b32 v9, v80, v8
	ds_bpermute_b32 v12, v80, v10
	v_add_u32_e32 v81, 2, v78
	v_cmp_gt_u32_e32 vcc, v81, v7
	v_add_u32_e32 v83, 4, v78
	s_waitcnt lgkmcnt(1)
	v_add_u32_e32 v9, v8, v9
	s_waitcnt lgkmcnt(0)
	v_add_u32_e32 v12, v10, v12
	v_cndmask_b32_e32 v10, v12, v10, vcc
	v_cndmask_b32_e32 v8, v9, v8, vcc
	v_cmp_gt_u32_e32 vcc, 60, v78
	v_cndmask_b32_e64 v9, 0, 4, vcc
	v_add_lshl_u32 v82, v9, v68, 2
	ds_bpermute_b32 v9, v82, v8
	ds_bpermute_b32 v12, v82, v10
	v_cmp_gt_u32_e32 vcc, v83, v7
	v_add_u32_e32 v85, 8, v78
	v_add_u32_e32 v87, 16, v78
	s_waitcnt lgkmcnt(1)
	v_add_u32_e32 v9, v8, v9
	s_waitcnt lgkmcnt(0)
	v_add_u32_e32 v12, v10, v12
	v_cndmask_b32_e32 v10, v12, v10, vcc
	v_cndmask_b32_e32 v8, v9, v8, vcc
	v_cmp_gt_u32_e32 vcc, 56, v78
	v_cndmask_b32_e64 v9, 0, 8, vcc
	v_add_lshl_u32 v84, v9, v68, 2
	ds_bpermute_b32 v9, v84, v8
	ds_bpermute_b32 v12, v84, v10
	v_cmp_gt_u32_e32 vcc, v85, v7
	v_add_u32_e32 v89, 32, v78
	v_mov_b32_e32 v28, 0
	s_waitcnt lgkmcnt(1)
	v_add_u32_e32 v9, v8, v9
	s_waitcnt lgkmcnt(0)
	v_add_u32_e32 v12, v10, v12
	v_cndmask_b32_e32 v10, v12, v10, vcc
	v_cndmask_b32_e32 v8, v9, v8, vcc
	v_cmp_gt_u32_e32 vcc, 48, v78
	v_cndmask_b32_e64 v9, 0, 16, vcc
	v_add_lshl_u32 v86, v9, v68, 2
	ds_bpermute_b32 v9, v86, v8
	ds_bpermute_b32 v12, v86, v10
	v_cmp_gt_u32_e32 vcc, v87, v7
	s_waitcnt lgkmcnt(1)
	v_add_u32_e32 v9, v8, v9
	s_waitcnt lgkmcnt(0)
	v_add_u32_e32 v12, v10, v12
	v_cndmask_b32_e32 v8, v9, v8, vcc
	v_mov_b32_e32 v9, 0x80
	v_cndmask_b32_e32 v10, v12, v10, vcc
	v_lshl_or_b32 v88, v68, 2, v9
	ds_bpermute_b32 v9, v88, v8
	ds_bpermute_b32 v12, v88, v10
	v_cmp_le_u32_e32 vcc, v89, v7
	s_waitcnt lgkmcnt(1)
	v_cndmask_b32_e32 v7, 0, v9, vcc
	s_waitcnt lgkmcnt(0)
	v_cndmask_b32_e32 v9, 0, v12, vcc
	v_add_u32_e32 v10, v10, v9
	v_add_u32_e32 v9, v8, v7
	s_branch .LBB1703_132
.LBB1703_129:                           ;   in Loop: Header=BB1703_132 Depth=1
	s_or_b64 exec, exec, s[14:15]
.LBB1703_130:                           ;   in Loop: Header=BB1703_132 Depth=1
	s_or_b64 exec, exec, s[12:13]
	v_cmp_eq_u16_sdwa s[12:13], v11, v77 src0_sel:BYTE_0 src1_sel:DWORD
	v_and_b32_e32 v12, s13, v30
	ds_bpermute_b32 v32, v79, v9
	ds_bpermute_b32 v90, v79, v10
	v_or_b32_e32 v12, 0x80000000, v12
	v_and_b32_e32 v31, s12, v29
	v_ffbl_b32_e32 v12, v12
	v_add_u32_e32 v12, 32, v12
	v_ffbl_b32_e32 v31, v31
	v_min_u32_e32 v12, v31, v12
	s_waitcnt lgkmcnt(1)
	v_add_u32_e32 v31, v32, v9
	s_waitcnt lgkmcnt(0)
	v_add_u32_e32 v32, v90, v10
	v_cmp_lt_u32_e32 vcc, v78, v12
	v_cndmask_b32_e32 v10, v10, v32, vcc
	v_cndmask_b32_e32 v9, v9, v31, vcc
	ds_bpermute_b32 v31, v80, v9
	ds_bpermute_b32 v32, v80, v10
	v_cmp_gt_u32_e32 vcc, v81, v12
	v_subrev_u32_e32 v27, 64, v27
	s_mov_b64 s[12:13], 0
	s_waitcnt lgkmcnt(1)
	v_add_u32_e32 v31, v9, v31
	s_waitcnt lgkmcnt(0)
	v_add_u32_e32 v32, v10, v32
	v_cndmask_b32_e32 v10, v32, v10, vcc
	v_cndmask_b32_e32 v9, v31, v9, vcc
	ds_bpermute_b32 v31, v82, v9
	ds_bpermute_b32 v32, v82, v10
	v_cmp_gt_u32_e32 vcc, v83, v12
	s_waitcnt lgkmcnt(1)
	v_add_u32_e32 v31, v9, v31
	s_waitcnt lgkmcnt(0)
	v_add_u32_e32 v32, v10, v32
	v_cndmask_b32_e32 v10, v32, v10, vcc
	v_cndmask_b32_e32 v9, v31, v9, vcc
	ds_bpermute_b32 v31, v84, v9
	ds_bpermute_b32 v32, v84, v10
	v_cmp_gt_u32_e32 vcc, v85, v12
	;; [unrolled: 9-line block ×3, first 2 shown]
	s_waitcnt lgkmcnt(1)
	v_add_u32_e32 v31, v9, v31
	s_waitcnt lgkmcnt(0)
	v_add_u32_e32 v32, v10, v32
	v_cndmask_b32_e32 v10, v32, v10, vcc
	v_cndmask_b32_e32 v9, v31, v9, vcc
	ds_bpermute_b32 v31, v88, v9
	ds_bpermute_b32 v32, v88, v10
	v_cmp_le_u32_e32 vcc, v89, v12
	s_waitcnt lgkmcnt(1)
	v_cndmask_b32_e32 v12, 0, v31, vcc
	s_waitcnt lgkmcnt(0)
	v_cndmask_b32_e32 v31, 0, v32, vcc
	v_add3_u32 v10, v31, v8, v10
	v_add3_u32 v9, v12, v7, v9
.LBB1703_131:                           ;   in Loop: Header=BB1703_132 Depth=1
	s_and_b64 vcc, exec, s[12:13]
	s_cbranch_vccnz .LBB1703_137
.LBB1703_132:                           ; =>This Loop Header: Depth=1
                                        ;     Child Loop BB1703_135 Depth 2
	v_mov_b32_e32 v7, v9
	v_cmp_ne_u16_sdwa s[12:13], v11, v77 src0_sel:BYTE_0 src1_sel:DWORD
	v_mov_b32_e32 v8, v10
	s_cmp_lg_u64 s[12:13], exec
	s_mov_b64 s[12:13], -1
                                        ; implicit-def: $vgpr11
                                        ; implicit-def: $vgpr9_vgpr10
	s_cbranch_scc1 .LBB1703_131
; %bb.133:                              ;   in Loop: Header=BB1703_132 Depth=1
	v_lshlrev_b64 v[9:10], 4, v[27:28]
	v_mov_b32_e32 v11, s55
	v_add_co_u32_e32 v31, vcc, s54, v9
	v_addc_co_u32_e32 v32, vcc, v11, v10, vcc
	;;#ASMSTART
	global_load_dwordx4 v[9:12], v[31:32] off glc	
s_waitcnt vmcnt(0)
	;;#ASMEND
	v_cmp_eq_u16_sdwa s[14:15], v11, v28 src0_sel:BYTE_0 src1_sel:DWORD
	s_and_saveexec_b64 s[12:13], s[14:15]
	s_cbranch_execz .LBB1703_130
; %bb.134:                              ;   in Loop: Header=BB1703_132 Depth=1
	s_mov_b64 s[14:15], 0
.LBB1703_135:                           ;   Parent Loop BB1703_132 Depth=1
                                        ; =>  This Inner Loop Header: Depth=2
	;;#ASMSTART
	global_load_dwordx4 v[9:12], v[31:32] off glc	
s_waitcnt vmcnt(0)
	;;#ASMEND
	v_cmp_ne_u16_sdwa s[18:19], v11, v28 src0_sel:BYTE_0 src1_sel:DWORD
	s_or_b64 s[14:15], s[18:19], s[14:15]
	s_andn2_b64 exec, exec, s[14:15]
	s_cbranch_execnz .LBB1703_135
	s_branch .LBB1703_129
.LBB1703_136:
                                        ; implicit-def: $vgpr12
                                        ; implicit-def: $vgpr7
                                        ; implicit-def: $vgpr25
	s_cbranch_execnz .LBB1703_142
	s_branch .LBB1703_151
.LBB1703_137:
	s_and_saveexec_b64 s[12:13], s[8:9]
	s_cbranch_execnz .LBB1703_379
; %bb.138:
	s_or_b64 exec, exec, s[12:13]
	s_and_saveexec_b64 s[12:13], s[8:9]
	s_cbranch_execnz .LBB1703_380
.LBB1703_139:
	s_or_b64 exec, exec, s[12:13]
	s_and_b64 exec, exec, s[0:1]
.LBB1703_140:
	v_mov_b32_e32 v5, 0
	ds_write_b64 v5, v[7:8] offset:24
.LBB1703_141:
	s_or_b64 exec, exec, s[10:11]
	v_mov_b32_e32 v5, 0
	s_waitcnt lgkmcnt(0)
	s_barrier
	ds_read_b64 v[9:10], v5 offset:24
	v_cndmask_b32_e64 v6, v75, v25, s[8:9]
	s_waitcnt lgkmcnt(0)
	s_barrier
	v_add_u32_e32 v25, v9, v6
	ds_read_b128 v[5:8], v5 offset:13312
	v_cndmask_b32_e64 v11, v76, v26, s[8:9]
	v_add_u32_e32 v11, v10, v11
	v_cndmask_b32_e64 v12, v11, v10, s[0:1]
	v_cndmask_b32_e64 v25, v25, v9, s[0:1]
	s_branch .LBB1703_151
.LBB1703_142:
	s_waitcnt lgkmcnt(0)
	v_mov_b32_dpp v5, v73 row_shr:1 row_mask:0xf bank_mask:0xf
	v_mov_b32_dpp v6, v74 row_shr:1 row_mask:0xf bank_mask:0xf
	v_add_u32_e32 v5, v5, v73
	v_add_u32_e32 v6, v6, v74
	v_cndmask_b32_e64 v6, v6, v74, s[6:7]
	v_cndmask_b32_e64 v5, v5, v73, s[6:7]
	v_cmp_lt_u32_e32 vcc, 3, v72
	v_mov_b32_dpp v8, v6 row_shr:2 row_mask:0xf bank_mask:0xf
	v_mov_b32_dpp v7, v5 row_shr:2 row_mask:0xf bank_mask:0xf
	v_add_u32_e32 v7, v5, v7
	v_add_u32_e32 v8, v6, v8
	v_cndmask_b32_e64 v6, v6, v8, s[4:5]
	v_cndmask_b32_e64 v5, v5, v7, s[4:5]
	v_cmp_eq_u32_e64 s[4:5], v0, v70
	v_mov_b32_dpp v8, v6 row_shr:4 row_mask:0xf bank_mask:0xf
	v_mov_b32_dpp v7, v5 row_shr:4 row_mask:0xf bank_mask:0xf
	v_add_u32_e32 v7, v5, v7
	v_add_u32_e32 v8, v6, v8
	v_cndmask_b32_e32 v6, v6, v8, vcc
	v_cndmask_b32_e32 v5, v5, v7, vcc
	v_cmp_lt_u32_e32 vcc, 7, v72
	v_mov_b32_dpp v8, v6 row_shr:8 row_mask:0xf bank_mask:0xf
	v_mov_b32_dpp v7, v5 row_shr:8 row_mask:0xf bank_mask:0xf
	v_add_u32_e32 v7, v5, v7
	v_add_u32_e32 v8, v6, v8
	v_cndmask_b32_e32 v6, v6, v8, vcc
	v_cndmask_b32_e32 v7, v5, v7, vcc
	v_cmp_eq_u32_e32 vcc, 0, v71
	v_mov_b32_dpp v8, v6 row_bcast:15 row_mask:0xf bank_mask:0xf
	v_mov_b32_dpp v5, v7 row_bcast:15 row_mask:0xf bank_mask:0xf
	v_add_u32_e32 v9, v7, v5
	v_add_u32_e32 v5, v6, v8
	v_cndmask_b32_e32 v5, v5, v6, vcc
	v_cndmask_b32_e32 v6, v9, v7, vcc
	v_cmp_lt_u32_e32 vcc, 31, v68
	v_mov_b32_dpp v7, v5 row_bcast:31 row_mask:0xf bank_mask:0xf
	v_mov_b32_dpp v8, v6 row_bcast:31 row_mask:0xf bank_mask:0xf
	v_add_u32_e32 v7, v5, v7
	v_add_u32_e32 v8, v6, v8
	s_and_saveexec_b64 s[6:7], s[4:5]
; %bb.143:
	v_cndmask_b32_e32 v9, v6, v8, vcc
	v_cndmask_b32_e32 v10, v5, v7, vcc
	v_lshlrev_b32_e32 v11, 3, v69
	ds_write_b64 v11, v[9:10]
; %bb.144:
	s_or_b64 exec, exec, s[6:7]
	v_cmp_gt_u32_e64 s[4:5], 4, v0
	s_waitcnt lgkmcnt(0)
	s_barrier
	s_and_saveexec_b64 s[6:7], s[4:5]
	s_cbranch_execz .LBB1703_146
; %bb.145:
	v_lshlrev_b32_e32 v11, 3, v0
	ds_read_b64 v[9:10], v11
	v_and_b32_e32 v12, 3, v68
	v_cmp_eq_u32_e64 s[4:5], 0, v12
	s_waitcnt lgkmcnt(0)
	v_mov_b32_dpp v25, v9 row_shr:1 row_mask:0xf bank_mask:0xf
	v_mov_b32_dpp v26, v10 row_shr:1 row_mask:0xf bank_mask:0xf
	v_add_u32_e32 v25, v25, v9
	v_add_u32_e32 v26, v26, v10
	v_cndmask_b32_e64 v10, v26, v10, s[4:5]
	v_cndmask_b32_e64 v9, v25, v9, s[4:5]
	v_cmp_lt_u32_e64 s[4:5], 1, v12
	v_mov_b32_dpp v26, v10 row_shr:2 row_mask:0xf bank_mask:0xf
	v_mov_b32_dpp v25, v9 row_shr:2 row_mask:0xf bank_mask:0xf
	v_cndmask_b32_e64 v12, 0, v25, s[4:5]
	v_cndmask_b32_e64 v25, 0, v26, s[4:5]
	v_add_u32_e32 v10, v25, v10
	v_add_u32_e32 v9, v12, v9
	ds_write_b64 v11, v[9:10]
.LBB1703_146:
	s_or_b64 exec, exec, s[6:7]
	v_cmp_lt_u32_e64 s[4:5], 63, v0
	v_mov_b32_e32 v11, 0
	v_mov_b32_e32 v9, 0
	;; [unrolled: 1-line block ×3, first 2 shown]
	s_waitcnt lgkmcnt(0)
	s_barrier
	s_and_saveexec_b64 s[6:7], s[4:5]
; %bb.147:
	v_lshl_add_u32 v9, v69, 3, -8
	ds_read_b64 v[9:10], v9
; %bb.148:
	s_or_b64 exec, exec, s[6:7]
	v_cndmask_b32_e32 v6, v6, v8, vcc
	v_cndmask_b32_e32 v5, v5, v7, vcc
	v_subrev_co_u32_e32 v7, vcc, 1, v68
	v_and_b32_e32 v8, 64, v68
	v_cmp_lt_i32_e64 s[4:5], v7, v8
	v_cndmask_b32_e64 v7, v7, v68, s[4:5]
	s_waitcnt lgkmcnt(0)
	v_add_u32_e32 v5, v10, v5
	v_add_u32_e32 v6, v9, v6
	v_lshlrev_b32_e32 v7, 2, v7
	ds_bpermute_b32 v12, v7, v6
	ds_bpermute_b32 v25, v7, v5
	ds_read_b64 v[5:6], v11 offset:24
	s_and_saveexec_b64 s[4:5], s[0:1]
	s_cbranch_execz .LBB1703_150
; %bb.149:
	s_add_u32 s6, s54, 0x400
	s_addc_u32 s7, s55, 0
	v_mov_b32_e32 v27, s7
	v_mov_b32_e32 v7, 2
	;; [unrolled: 1-line block ×4, first 2 shown]
	s_waitcnt lgkmcnt(0)
	;;#ASMSTART
	global_store_dwordx4 v[26:27], v[5:8] off	
s_waitcnt vmcnt(0)
	;;#ASMEND
.LBB1703_150:
	s_or_b64 exec, exec, s[4:5]
	s_waitcnt lgkmcnt(2)
	v_cndmask_b32_e32 v7, v12, v9, vcc
	s_waitcnt lgkmcnt(1)
	v_cndmask_b32_e32 v8, v25, v10, vcc
	v_cndmask_b32_e64 v12, v8, 0, s[0:1]
	v_cndmask_b32_e64 v25, v7, 0, s[0:1]
	v_mov_b32_e32 v8, 0
	v_mov_b32_e32 v7, 0
	s_waitcnt lgkmcnt(0)
	s_barrier
.LBB1703_151:
	s_waitcnt lgkmcnt(0)
	v_add_co_u32_e32 v1, vcc, v1, v7
	v_addc_co_u32_e32 v2, vcc, 0, v2, vcc
	v_sub_co_u32_e32 v29, vcc, v3, v5
	v_add_u32_e32 v32, v12, v54
	v_subbrev_co_u32_e32 v30, vcc, 0, v4, vcc
	v_lshlrev_b32_e32 v72, 1, v5
	v_sub_u32_e32 v12, v12, v8
	v_lshrrev_b32_e32 v28, 8, v42
	v_add_u32_e32 v31, v25, v53
	v_add_co_u32_e32 v29, vcc, v29, v8
	v_add_u32_e32 v73, v72, v6
	v_sub_u32_e32 v25, v25, v7
	v_add_u32_e32 v12, v12, v5
	v_addc_co_u32_e32 v30, vcc, 0, v30, vcc
	v_add_u32_e32 v35, v73, v35
	v_and_b32_e32 v28, 1, v28
	v_add_u32_e32 v74, v25, v12
	v_and_b32_e32 v73, 1, v36
	v_sub_u32_e32 v74, v35, v74
	v_cmp_eq_u32_e32 vcc, 1, v28
	v_cndmask_b32_e32 v12, v74, v12, vcc
	v_cmp_eq_u32_e32 vcc, 1, v73
	v_cndmask_b32_e32 v12, v12, v25, vcc
	v_lshlrev_b32_e32 v12, 2, v12
	v_sub_u32_e32 v25, v32, v8
	v_lshrrev_b32_e32 v27, 8, v36
	ds_write_b32 v12, v23
	v_sub_u32_e32 v12, v31, v7
	v_add_u32_e32 v25, v25, v5
	v_add_u32_e32 v50, v31, v50
	v_and_b32_e32 v23, 1, v27
	v_mov_b32_e32 v27, 1
	v_add_u32_e32 v31, v25, v12
	v_and_b32_sdwa v28, v27, v42 dst_sel:DWORD dst_unused:UNUSED_PAD src0_sel:DWORD src1_sel:WORD_1
	v_sub_u32_e32 v31, v35, v31
	v_add_u32_e32 v31, 1, v31
	v_cmp_eq_u32_e32 vcc, 1, v28
	v_cndmask_b32_e32 v25, v31, v25, vcc
	v_cmp_eq_u32_e32 vcc, 1, v23
	v_cndmask_b32_e32 v12, v25, v12, vcc
	v_add_u32_e32 v53, v32, v62
	v_lshlrev_b32_e32 v12, 2, v12
	ds_write_b32 v12, v24
	v_sub_u32_e32 v24, v53, v8
	v_sub_u32_e32 v12, v50, v7
	v_add_u32_e32 v24, v24, v5
	v_add_u32_e32 v28, v24, v12
	v_and_b32_e32 v25, 1, v49
	v_sub_u32_e32 v28, v35, v28
	v_and_b32_sdwa v23, v27, v36 dst_sel:DWORD dst_unused:UNUSED_PAD src0_sel:DWORD src1_sel:WORD_1
	v_add_u32_e32 v28, 2, v28
	v_cmp_eq_u32_e32 vcc, 1, v25
	v_cndmask_b32_e32 v24, v28, v24, vcc
	v_cmp_eq_u32_e32 vcc, 1, v23
	v_add_u32_e32 v54, v50, v55
	v_add_u32_e32 v55, v53, v49
	v_cndmask_b32_e32 v12, v24, v12, vcc
	v_lshlrev_b32_e32 v12, 2, v12
	v_sub_u32_e32 v23, v55, v8
	ds_write_b32 v12, v21
	v_sub_u32_e32 v12, v54, v7
	v_add_u32_e32 v23, v23, v5
	v_add_u32_e32 v25, v12, v23
	v_and_b32_e32 v24, 1, v37
	v_sub_u32_e32 v25, v35, v25
	v_and_b32_e32 v21, 1, v48
	v_add_u32_e32 v25, 3, v25
	v_cmp_eq_u32_e32 vcc, 1, v24
	v_cndmask_b32_e32 v23, v25, v23, vcc
	v_cmp_eq_u32_e32 vcc, 1, v21
	v_cndmask_b32_e32 v12, v23, v12, vcc
	v_add_u32_e32 v62, v55, v63
	v_lshlrev_b32_e32 v12, 2, v12
	v_add_u32_e32 v63, v54, v48
	ds_write_b32 v12, v22
	v_sub_u32_e32 v22, v62, v8
	v_sub_u32_e32 v12, v63, v7
	v_add_u32_e32 v22, v22, v5
	v_lshrrev_b32_e32 v26, 8, v37
	v_add_u32_e32 v24, v12, v22
	v_and_b32_e32 v23, 1, v26
	v_sub_u32_e32 v24, v35, v24
	v_and_b32_e32 v21, 1, v38
	v_add_u32_e32 v24, 4, v24
	v_cmp_eq_u32_e32 vcc, 1, v23
	v_cndmask_b32_e32 v22, v24, v22, vcc
	v_cmp_eq_u32_e32 vcc, 1, v21
	v_cndmask_b32_e32 v12, v22, v12, vcc
	v_add_u32_e32 v57, v62, v57
	v_lshlrev_b32_e32 v12, 2, v12
	v_add_u32_e32 v56, v63, v56
	ds_write_b32 v12, v19
	v_sub_u32_e32 v19, v57, v8
	v_sub_u32_e32 v12, v56, v7
	v_add_u32_e32 v19, v19, v5
	v_add_u32_e32 v22, v12, v19
	v_lshrrev_b32_e32 v11, 8, v38
	v_and_b32_sdwa v21, v27, v37 dst_sel:DWORD dst_unused:UNUSED_PAD src0_sel:DWORD src1_sel:WORD_1
	v_sub_u32_e32 v22, v35, v22
	v_and_b32_e32 v11, 1, v11
	v_add_u32_e32 v22, 5, v22
	v_cmp_eq_u32_e32 vcc, 1, v21
	v_cndmask_b32_e32 v19, v22, v19, vcc
	v_cmp_eq_u32_e32 vcc, 1, v11
	v_add_u32_e32 v64, v57, v64
	v_cndmask_b32_e32 v11, v19, v12, vcc
	v_add_u32_e32 v51, v56, v51
	v_lshlrev_b32_e32 v11, 2, v11
	v_sub_u32_e32 v19, v64, v8
	ds_write_b32 v11, v20
	v_sub_u32_e32 v11, v51, v7
	v_add_u32_e32 v19, v19, v5
	v_add_u32_e32 v21, v11, v19
	v_and_b32_e32 v20, 1, v47
	v_sub_u32_e32 v21, v35, v21
	v_and_b32_sdwa v12, v27, v38 dst_sel:DWORD dst_unused:UNUSED_PAD src0_sel:DWORD src1_sel:WORD_1
	v_add_u32_e32 v21, 6, v21
	v_cmp_eq_u32_e32 vcc, 1, v20
	v_cndmask_b32_e32 v19, v21, v19, vcc
	v_cmp_eq_u32_e32 vcc, 1, v12
	v_cndmask_b32_e32 v11, v19, v11, vcc
	v_add_u32_e32 v68, v64, v47
	v_lshlrev_b32_e32 v11, 2, v11
	v_add_u32_e32 v58, v51, v58
	ds_write_b32 v11, v17
	v_sub_u32_e32 v17, v68, v8
	v_sub_u32_e32 v11, v58, v7
	v_add_u32_e32 v17, v17, v5
	v_add_u32_e32 v20, v11, v17
	v_and_b32_e32 v19, 1, v39
	v_sub_u32_e32 v20, v35, v20
	v_and_b32_e32 v12, 1, v46
	v_add_u32_e32 v20, 7, v20
	v_cmp_eq_u32_e32 vcc, 1, v19
	v_cndmask_b32_e32 v17, v20, v17, vcc
	v_cmp_eq_u32_e32 vcc, 1, v12
	v_add_u32_e32 v65, v68, v65
	v_cndmask_b32_e32 v11, v17, v11, vcc
	v_add_u32_e32 v69, v58, v46
	v_lshlrev_b32_e32 v11, 2, v11
	v_sub_u32_e32 v17, v65, v8
	ds_write_b32 v11, v18
	v_sub_u32_e32 v11, v69, v7
	v_add_u32_e32 v17, v17, v5
	v_lshrrev_b32_e32 v10, 8, v39
	v_add_u32_e32 v18, v11, v17
	v_and_b32_e32 v10, 1, v10
	v_sub_u32_e32 v18, v35, v18
	v_and_b32_e32 v12, 1, v41
	v_add_u32_e32 v18, 8, v18
	v_cmp_eq_u32_e32 vcc, 1, v10
	v_cndmask_b32_e32 v10, v18, v17, vcc
	v_cmp_eq_u32_e32 vcc, 1, v12
	v_add_u32_e32 v60, v65, v60
	v_cndmask_b32_e32 v10, v10, v11, vcc
	v_add_u32_e32 v59, v69, v59
	v_lshlrev_b32_e32 v10, 2, v10
	v_sub_u32_e32 v11, v60, v8
	ds_write_b32 v10, v15
	v_sub_u32_e32 v10, v59, v7
	v_add_u32_e32 v11, v11, v5
	v_add_u32_e32 v15, v10, v11
	v_lshrrev_b32_e32 v9, 8, v41
	v_and_b32_sdwa v12, v27, v39 dst_sel:DWORD dst_unused:UNUSED_PAD src0_sel:DWORD src1_sel:WORD_1
	v_sub_u32_e32 v15, v35, v15
	v_and_b32_e32 v9, 1, v9
	v_add_u32_e32 v15, 9, v15
	v_cmp_eq_u32_e32 vcc, 1, v12
	v_cndmask_b32_e32 v11, v15, v11, vcc
	v_cmp_eq_u32_e32 vcc, 1, v9
	v_add_u32_e32 v66, v60, v66
	v_cndmask_b32_e32 v9, v11, v10, vcc
	v_add_u32_e32 v52, v59, v52
	v_lshlrev_b32_e32 v9, 2, v9
	v_sub_u32_e32 v11, v66, v8
	ds_write_b32 v9, v16
	v_sub_u32_e32 v9, v52, v7
	v_add_u32_e32 v11, v11, v5
	v_add_u32_e32 v15, v9, v11
	v_and_b32_e32 v12, 1, v45
	v_sub_u32_e32 v15, v35, v15
	v_and_b32_sdwa v10, v27, v41 dst_sel:DWORD dst_unused:UNUSED_PAD src0_sel:DWORD src1_sel:WORD_1
	v_add_u32_e32 v15, 10, v15
	v_cmp_eq_u32_e32 vcc, 1, v12
	v_cndmask_b32_e32 v11, v15, v11, vcc
	v_cmp_eq_u32_e32 vcc, 1, v10
	v_add_u32_e32 v70, v66, v45
	v_cndmask_b32_e32 v9, v11, v9, vcc
	v_add_u32_e32 v61, v52, v61
	v_lshlrev_b32_e32 v9, 2, v9
	v_sub_u32_e32 v11, v70, v8
	ds_write_b32 v9, v13
	v_sub_u32_e32 v9, v61, v7
	v_add_u32_e32 v11, v11, v5
	v_add_u32_e32 v13, v9, v11
	v_and_b32_e32 v12, 1, v40
	v_sub_u32_e32 v13, v35, v13
	v_add_u32_e32 v67, v70, v67
	v_and_b32_e32 v10, 1, v44
	v_add_u32_e32 v13, 11, v13
	v_cmp_eq_u32_e32 vcc, 1, v12
	v_add_u32_e32 v71, v61, v44
	v_cndmask_b32_e32 v11, v13, v11, vcc
	v_cmp_eq_u32_e32 vcc, 1, v10
	v_sub_u32_e32 v10, v67, v8
	v_sub_u32_e32 v7, v71, v7
	v_add_u32_e32 v10, v10, v5
	v_cndmask_b32_e32 v9, v11, v9, vcc
	v_add_u32_e32 v12, v7, v10
	v_lshlrev_b32_e32 v9, 2, v9
	v_and_b32_e32 v11, 1, v43
	v_sub_u32_e32 v12, v35, v12
	ds_write_b32 v9, v14
	v_and_b32_e32 v9, 1, v42
	v_add_u32_e32 v12, 12, v12
	v_cmp_eq_u32_e32 vcc, 1, v11
	v_cndmask_b32_e32 v10, v12, v10, vcc
	v_cmp_eq_u32_e32 vcc, 1, v9
	v_cndmask_b32_e32 v7, v10, v7, vcc
	v_lshlrev_b32_e32 v7, 2, v7
	ds_write_b32 v7, v34
	v_mov_b32_e32 v7, s53
	v_add_co_u32_e32 v9, vcc, s52, v33
	v_addc_co_u32_e32 v10, vcc, 0, v7, vcc
	v_add_co_u32_e32 v7, vcc, v6, v72
	v_addc_co_u32_e64 v11, s[4:5], 0, 0, vcc
	v_add_co_u32_e32 v7, vcc, v7, v29
	v_addc_co_u32_e32 v11, vcc, v11, v30, vcc
	v_add_co_u32_e32 v7, vcc, v7, v1
	v_addc_co_u32_e32 v11, vcc, v11, v2, vcc
	v_sub_co_u32_e32 v7, vcc, v9, v7
	v_subb_co_u32_e32 v13, vcc, v10, v11, vcc
	v_lshlrev_b64 v[9:10], 2, v[29:30]
	v_mov_b32_e32 v11, s51
	v_add_co_u32_e32 v9, vcc, s50, v9
	v_addc_co_u32_e32 v10, vcc, v11, v10, vcc
	v_lshlrev_b64 v[11:12], 2, v[1:2]
	v_mov_b32_e32 v15, s49
	v_add_co_u32_e32 v11, vcc, s48, v11
	v_addc_co_u32_e32 v12, vcc, v15, v12, vcc
	v_add_u32_e32 v14, v5, v6
	s_and_b64 vcc, exec, s[2:3]
	s_mov_b64 s[2:3], -1
	s_waitcnt lgkmcnt(0)
	s_barrier
	s_cbranch_vccz .LBB1703_155
; %bb.152:
	s_and_b64 vcc, exec, s[2:3]
	s_cbranch_vccnz .LBB1703_260
.LBB1703_153:
	s_and_b64 s[0:1], s[0:1], s[34:35]
	s_and_saveexec_b64 s[2:3], s[0:1]
	s_cbranch_execnz .LBB1703_378
.LBB1703_154:
	s_endpgm
.LBB1703_155:
	v_cmp_ge_u32_e32 vcc, v0, v5
	s_and_saveexec_b64 s[2:3], vcc
	s_xor_b64 s[2:3], exec, s[2:3]
	s_cbranch_execz .LBB1703_161
; %bb.156:
	v_cmp_ge_u32_e32 vcc, v0, v14
	s_and_saveexec_b64 s[4:5], vcc
	s_xor_b64 s[4:5], exec, s[4:5]
	s_cbranch_execz .LBB1703_158
; %bb.157:
	v_add_co_u32_e32 v15, vcc, v7, v0
	v_lshlrev_b32_e32 v17, 2, v0
	v_addc_co_u32_e32 v16, vcc, 0, v13, vcc
	ds_read_b32 v17, v17
	v_lshlrev_b64 v[15:16], 2, v[15:16]
	v_mov_b32_e32 v18, s31
	v_sub_co_u32_e32 v15, vcc, s30, v15
	v_subb_co_u32_e32 v16, vcc, v18, v16, vcc
	s_waitcnt lgkmcnt(0)
	global_store_dword v[15:16], v17, off offset:-4
.LBB1703_158:
	s_andn2_saveexec_b64 s[4:5], s[4:5]
	s_cbranch_execz .LBB1703_160
; %bb.159:
	v_lshlrev_b32_e32 v15, 2, v0
	ds_read_b32 v16, v15
	v_readfirstlane_b32 s6, v9
	v_readfirstlane_b32 s7, v10
	s_waitcnt lgkmcnt(0)
	s_nop 3
	global_store_dword v15, v16, s[6:7]
.LBB1703_160:
	s_or_b64 exec, exec, s[4:5]
.LBB1703_161:
	s_andn2_saveexec_b64 s[2:3], s[2:3]
	s_cbranch_execz .LBB1703_163
; %bb.162:
	v_lshlrev_b32_e32 v15, 2, v0
	ds_read_b32 v16, v15
	v_readfirstlane_b32 s4, v11
	v_readfirstlane_b32 s5, v12
	s_waitcnt lgkmcnt(0)
	s_nop 3
	global_store_dword v15, v16, s[4:5]
.LBB1703_163:
	s_or_b64 exec, exec, s[2:3]
	v_or_b32_e32 v15, 0x100, v0
	v_cmp_ge_u32_e32 vcc, v15, v5
	s_and_saveexec_b64 s[2:3], vcc
	s_xor_b64 s[2:3], exec, s[2:3]
	s_cbranch_execz .LBB1703_169
; %bb.164:
	v_cmp_ge_u32_e32 vcc, v15, v14
	s_and_saveexec_b64 s[4:5], vcc
	s_xor_b64 s[4:5], exec, s[4:5]
	s_cbranch_execz .LBB1703_166
; %bb.165:
	v_lshlrev_b32_e32 v15, 2, v0
	ds_read_b32 v17, v15 offset:1024
	v_add_co_u32_e32 v15, vcc, v7, v0
	v_addc_co_u32_e32 v16, vcc, 0, v13, vcc
	v_lshlrev_b64 v[15:16], 2, v[15:16]
	v_mov_b32_e32 v18, s31
	v_sub_co_u32_e32 v15, vcc, s30, v15
	v_subb_co_u32_e32 v16, vcc, v18, v16, vcc
	s_waitcnt lgkmcnt(0)
	global_store_dword v[15:16], v17, off offset:-1028
.LBB1703_166:
	s_andn2_saveexec_b64 s[4:5], s[4:5]
	s_cbranch_execz .LBB1703_168
; %bb.167:
	v_lshlrev_b32_e32 v15, 2, v0
	ds_read_b32 v16, v15 offset:1024
	v_readfirstlane_b32 s6, v9
	v_readfirstlane_b32 s7, v10
	s_waitcnt lgkmcnt(0)
	s_nop 3
	global_store_dword v15, v16, s[6:7] offset:1024
.LBB1703_168:
	s_or_b64 exec, exec, s[4:5]
.LBB1703_169:
	s_andn2_saveexec_b64 s[2:3], s[2:3]
	s_cbranch_execz .LBB1703_171
; %bb.170:
	v_lshlrev_b32_e32 v15, 2, v0
	ds_read_b32 v16, v15 offset:1024
	v_readfirstlane_b32 s4, v11
	v_readfirstlane_b32 s5, v12
	s_waitcnt lgkmcnt(0)
	s_nop 3
	global_store_dword v15, v16, s[4:5] offset:1024
.LBB1703_171:
	s_or_b64 exec, exec, s[2:3]
	v_or_b32_e32 v15, 0x200, v0
	v_cmp_ge_u32_e32 vcc, v15, v5
	s_and_saveexec_b64 s[2:3], vcc
	s_xor_b64 s[2:3], exec, s[2:3]
	s_cbranch_execz .LBB1703_177
; %bb.172:
	v_cmp_ge_u32_e32 vcc, v15, v14
	s_and_saveexec_b64 s[4:5], vcc
	s_xor_b64 s[4:5], exec, s[4:5]
	s_cbranch_execz .LBB1703_174
; %bb.173:
	v_lshlrev_b32_e32 v15, 2, v0
	ds_read_b32 v17, v15 offset:2048
	v_add_co_u32_e32 v15, vcc, v7, v0
	v_addc_co_u32_e32 v16, vcc, 0, v13, vcc
	v_lshlrev_b64 v[15:16], 2, v[15:16]
	v_mov_b32_e32 v18, s31
	v_sub_co_u32_e32 v15, vcc, s30, v15
	v_subb_co_u32_e32 v16, vcc, v18, v16, vcc
	s_waitcnt lgkmcnt(0)
	global_store_dword v[15:16], v17, off offset:-2052
.LBB1703_174:
	s_andn2_saveexec_b64 s[4:5], s[4:5]
	s_cbranch_execz .LBB1703_176
; %bb.175:
	v_lshlrev_b32_e32 v15, 2, v0
	ds_read_b32 v16, v15 offset:2048
	v_readfirstlane_b32 s6, v9
	v_readfirstlane_b32 s7, v10
	s_waitcnt lgkmcnt(0)
	s_nop 3
	global_store_dword v15, v16, s[6:7] offset:2048
.LBB1703_176:
	s_or_b64 exec, exec, s[4:5]
.LBB1703_177:
	s_andn2_saveexec_b64 s[2:3], s[2:3]
	s_cbranch_execz .LBB1703_179
; %bb.178:
	v_lshlrev_b32_e32 v15, 2, v0
	ds_read_b32 v16, v15 offset:2048
	v_readfirstlane_b32 s4, v11
	v_readfirstlane_b32 s5, v12
	s_waitcnt lgkmcnt(0)
	s_nop 3
	global_store_dword v15, v16, s[4:5] offset:2048
.LBB1703_179:
	;; [unrolled: 47-line block ×3, first 2 shown]
	s_or_b64 exec, exec, s[2:3]
	v_or_b32_e32 v15, 0x400, v0
	v_cmp_ge_u32_e32 vcc, v15, v5
	s_and_saveexec_b64 s[2:3], vcc
	s_xor_b64 s[2:3], exec, s[2:3]
	s_cbranch_execz .LBB1703_193
; %bb.188:
	v_cmp_ge_u32_e32 vcc, v15, v14
	s_and_saveexec_b64 s[4:5], vcc
	s_xor_b64 s[4:5], exec, s[4:5]
	s_cbranch_execz .LBB1703_190
; %bb.189:
	v_lshlrev_b32_e32 v15, 2, v0
	ds_read_b32 v17, v15 offset:4096
	v_add_co_u32_e32 v15, vcc, v7, v0
	v_addc_co_u32_e32 v16, vcc, 0, v13, vcc
	v_lshlrev_b64 v[15:16], 2, v[15:16]
	v_mov_b32_e32 v18, s31
	v_sub_co_u32_e32 v15, vcc, s30, v15
	v_subb_co_u32_e32 v16, vcc, v18, v16, vcc
	v_add_co_u32_e32 v15, vcc, 0xfffff000, v15
	v_addc_co_u32_e32 v16, vcc, -1, v16, vcc
	s_waitcnt lgkmcnt(0)
	global_store_dword v[15:16], v17, off offset:-4
                                        ; implicit-def: $vgpr15
.LBB1703_190:
	s_andn2_saveexec_b64 s[4:5], s[4:5]
	s_cbranch_execz .LBB1703_192
; %bb.191:
	v_lshlrev_b32_e32 v16, 2, v0
	ds_read_b32 v16, v16 offset:4096
	v_lshlrev_b32_e32 v15, 2, v15
	v_readfirstlane_b32 s6, v9
	v_readfirstlane_b32 s7, v10
	s_waitcnt lgkmcnt(0)
	s_nop 3
	global_store_dword v15, v16, s[6:7]
.LBB1703_192:
	s_or_b64 exec, exec, s[4:5]
                                        ; implicit-def: $vgpr15
.LBB1703_193:
	s_andn2_saveexec_b64 s[2:3], s[2:3]
	s_cbranch_execz .LBB1703_195
; %bb.194:
	v_lshlrev_b32_e32 v16, 2, v0
	ds_read_b32 v16, v16 offset:4096
	v_lshlrev_b32_e32 v15, 2, v15
	v_readfirstlane_b32 s4, v11
	v_readfirstlane_b32 s5, v12
	s_waitcnt lgkmcnt(0)
	s_nop 3
	global_store_dword v15, v16, s[4:5]
.LBB1703_195:
	s_or_b64 exec, exec, s[2:3]
	v_or_b32_e32 v15, 0x500, v0
	v_cmp_ge_u32_e32 vcc, v15, v5
	s_and_saveexec_b64 s[2:3], vcc
	s_xor_b64 s[2:3], exec, s[2:3]
	s_cbranch_execz .LBB1703_201
; %bb.196:
	v_cmp_ge_u32_e32 vcc, v15, v14
	s_and_saveexec_b64 s[4:5], vcc
	s_xor_b64 s[4:5], exec, s[4:5]
	s_cbranch_execz .LBB1703_198
; %bb.197:
	v_add_co_u32_e32 v15, vcc, v7, v15
	v_lshlrev_b32_e32 v17, 2, v0
	v_addc_co_u32_e32 v16, vcc, 0, v13, vcc
	ds_read_b32 v17, v17 offset:5120
	v_lshlrev_b64 v[15:16], 2, v[15:16]
	v_mov_b32_e32 v18, s31
	v_sub_co_u32_e32 v15, vcc, s30, v15
	v_subb_co_u32_e32 v16, vcc, v18, v16, vcc
	s_waitcnt lgkmcnt(0)
	global_store_dword v[15:16], v17, off offset:-4
                                        ; implicit-def: $vgpr15
.LBB1703_198:
	s_andn2_saveexec_b64 s[4:5], s[4:5]
	s_cbranch_execz .LBB1703_200
; %bb.199:
	v_lshlrev_b32_e32 v16, 2, v0
	ds_read_b32 v16, v16 offset:5120
	v_lshlrev_b32_e32 v15, 2, v15
	v_readfirstlane_b32 s6, v9
	v_readfirstlane_b32 s7, v10
	s_waitcnt lgkmcnt(0)
	s_nop 3
	global_store_dword v15, v16, s[6:7]
.LBB1703_200:
	s_or_b64 exec, exec, s[4:5]
                                        ; implicit-def: $vgpr15
.LBB1703_201:
	s_andn2_saveexec_b64 s[2:3], s[2:3]
	s_cbranch_execz .LBB1703_203
; %bb.202:
	v_lshlrev_b32_e32 v16, 2, v0
	ds_read_b32 v16, v16 offset:5120
	v_lshlrev_b32_e32 v15, 2, v15
	v_readfirstlane_b32 s4, v11
	v_readfirstlane_b32 s5, v12
	s_waitcnt lgkmcnt(0)
	s_nop 3
	global_store_dword v15, v16, s[4:5]
.LBB1703_203:
	s_or_b64 exec, exec, s[2:3]
	v_or_b32_e32 v15, 0x600, v0
	v_cmp_ge_u32_e32 vcc, v15, v5
	s_and_saveexec_b64 s[2:3], vcc
	s_xor_b64 s[2:3], exec, s[2:3]
	s_cbranch_execz .LBB1703_209
; %bb.204:
	v_cmp_ge_u32_e32 vcc, v15, v14
	s_and_saveexec_b64 s[4:5], vcc
	s_xor_b64 s[4:5], exec, s[4:5]
	s_cbranch_execz .LBB1703_206
; %bb.205:
	v_add_co_u32_e32 v15, vcc, v7, v15
	v_lshlrev_b32_e32 v17, 2, v0
	v_addc_co_u32_e32 v16, vcc, 0, v13, vcc
	ds_read_b32 v17, v17 offset:6144
	v_lshlrev_b64 v[15:16], 2, v[15:16]
	v_mov_b32_e32 v18, s31
	v_sub_co_u32_e32 v15, vcc, s30, v15
	v_subb_co_u32_e32 v16, vcc, v18, v16, vcc
	s_waitcnt lgkmcnt(0)
	global_store_dword v[15:16], v17, off offset:-4
                                        ; implicit-def: $vgpr15
.LBB1703_206:
	s_andn2_saveexec_b64 s[4:5], s[4:5]
	s_cbranch_execz .LBB1703_208
; %bb.207:
	v_lshlrev_b32_e32 v16, 2, v0
	ds_read_b32 v16, v16 offset:6144
	v_lshlrev_b32_e32 v15, 2, v15
	v_readfirstlane_b32 s6, v9
	v_readfirstlane_b32 s7, v10
	s_waitcnt lgkmcnt(0)
	s_nop 3
	global_store_dword v15, v16, s[6:7]
.LBB1703_208:
	s_or_b64 exec, exec, s[4:5]
                                        ; implicit-def: $vgpr15
.LBB1703_209:
	;; [unrolled: 51-line block ×8, first 2 shown]
	s_andn2_saveexec_b64 s[2:3], s[2:3]
	s_cbranch_execz .LBB1703_259
; %bb.258:
	v_lshlrev_b32_e32 v16, 2, v0
	ds_read_b32 v16, v16 offset:12288
	v_lshlrev_b32_e32 v15, 2, v15
	v_readfirstlane_b32 s4, v11
	v_readfirstlane_b32 s5, v12
	s_waitcnt lgkmcnt(0)
	s_nop 3
	global_store_dword v15, v16, s[4:5]
.LBB1703_259:
	s_or_b64 exec, exec, s[2:3]
	s_branch .LBB1703_153
.LBB1703_260:
	v_cmp_gt_u32_e32 vcc, s16, v0
	s_and_saveexec_b64 s[2:3], vcc
	s_cbranch_execz .LBB1703_269
; %bb.261:
	v_cmp_ge_u32_e32 vcc, v0, v5
	s_and_saveexec_b64 s[4:5], vcc
	s_xor_b64 s[4:5], exec, s[4:5]
	s_cbranch_execz .LBB1703_267
; %bb.262:
	v_cmp_ge_u32_e32 vcc, v0, v14
	s_and_saveexec_b64 s[6:7], vcc
	s_xor_b64 s[6:7], exec, s[6:7]
	s_cbranch_execz .LBB1703_264
; %bb.263:
	v_add_co_u32_e32 v15, vcc, v7, v0
	v_lshlrev_b32_e32 v17, 2, v0
	v_addc_co_u32_e32 v16, vcc, 0, v13, vcc
	ds_read_b32 v17, v17
	v_lshlrev_b64 v[15:16], 2, v[15:16]
	v_mov_b32_e32 v18, s31
	v_sub_co_u32_e32 v15, vcc, s30, v15
	v_subb_co_u32_e32 v16, vcc, v18, v16, vcc
	s_waitcnt lgkmcnt(0)
	global_store_dword v[15:16], v17, off offset:-4
.LBB1703_264:
	s_andn2_saveexec_b64 s[6:7], s[6:7]
	s_cbranch_execz .LBB1703_266
; %bb.265:
	v_lshlrev_b32_e32 v15, 2, v0
	ds_read_b32 v16, v15
	v_readfirstlane_b32 s8, v9
	v_readfirstlane_b32 s9, v10
	s_waitcnt lgkmcnt(0)
	s_nop 3
	global_store_dword v15, v16, s[8:9]
.LBB1703_266:
	s_or_b64 exec, exec, s[6:7]
.LBB1703_267:
	s_andn2_saveexec_b64 s[4:5], s[4:5]
	s_cbranch_execz .LBB1703_269
; %bb.268:
	v_lshlrev_b32_e32 v15, 2, v0
	ds_read_b32 v16, v15
	v_readfirstlane_b32 s4, v11
	v_readfirstlane_b32 s5, v12
	s_waitcnt lgkmcnt(0)
	s_nop 3
	global_store_dword v15, v16, s[4:5]
.LBB1703_269:
	s_or_b64 exec, exec, s[2:3]
	v_or_b32_e32 v15, 0x100, v0
	v_cmp_gt_u32_e32 vcc, s16, v15
	s_and_saveexec_b64 s[2:3], vcc
	s_cbranch_execz .LBB1703_278
; %bb.270:
	v_cmp_ge_u32_e32 vcc, v15, v5
	s_and_saveexec_b64 s[4:5], vcc
	s_xor_b64 s[4:5], exec, s[4:5]
	s_cbranch_execz .LBB1703_276
; %bb.271:
	v_cmp_ge_u32_e32 vcc, v15, v14
	s_and_saveexec_b64 s[6:7], vcc
	s_xor_b64 s[6:7], exec, s[6:7]
	s_cbranch_execz .LBB1703_273
; %bb.272:
	v_lshlrev_b32_e32 v15, 2, v0
	ds_read_b32 v17, v15 offset:1024
	v_add_co_u32_e32 v15, vcc, v7, v0
	v_addc_co_u32_e32 v16, vcc, 0, v13, vcc
	v_lshlrev_b64 v[15:16], 2, v[15:16]
	v_mov_b32_e32 v18, s31
	v_sub_co_u32_e32 v15, vcc, s30, v15
	v_subb_co_u32_e32 v16, vcc, v18, v16, vcc
	s_waitcnt lgkmcnt(0)
	global_store_dword v[15:16], v17, off offset:-1028
.LBB1703_273:
	s_andn2_saveexec_b64 s[6:7], s[6:7]
	s_cbranch_execz .LBB1703_275
; %bb.274:
	v_lshlrev_b32_e32 v15, 2, v0
	ds_read_b32 v16, v15 offset:1024
	v_readfirstlane_b32 s8, v9
	v_readfirstlane_b32 s9, v10
	s_waitcnt lgkmcnt(0)
	s_nop 3
	global_store_dword v15, v16, s[8:9] offset:1024
.LBB1703_275:
	s_or_b64 exec, exec, s[6:7]
.LBB1703_276:
	s_andn2_saveexec_b64 s[4:5], s[4:5]
	s_cbranch_execz .LBB1703_278
; %bb.277:
	v_lshlrev_b32_e32 v15, 2, v0
	ds_read_b32 v16, v15 offset:1024
	v_readfirstlane_b32 s4, v11
	v_readfirstlane_b32 s5, v12
	s_waitcnt lgkmcnt(0)
	s_nop 3
	global_store_dword v15, v16, s[4:5] offset:1024
.LBB1703_278:
	s_or_b64 exec, exec, s[2:3]
	v_or_b32_e32 v15, 0x200, v0
	v_cmp_gt_u32_e32 vcc, s16, v15
	s_and_saveexec_b64 s[2:3], vcc
	s_cbranch_execz .LBB1703_287
; %bb.279:
	v_cmp_ge_u32_e32 vcc, v15, v5
	s_and_saveexec_b64 s[4:5], vcc
	s_xor_b64 s[4:5], exec, s[4:5]
	s_cbranch_execz .LBB1703_285
; %bb.280:
	v_cmp_ge_u32_e32 vcc, v15, v14
	s_and_saveexec_b64 s[6:7], vcc
	s_xor_b64 s[6:7], exec, s[6:7]
	s_cbranch_execz .LBB1703_282
; %bb.281:
	v_lshlrev_b32_e32 v15, 2, v0
	ds_read_b32 v17, v15 offset:2048
	v_add_co_u32_e32 v15, vcc, v7, v0
	v_addc_co_u32_e32 v16, vcc, 0, v13, vcc
	v_lshlrev_b64 v[15:16], 2, v[15:16]
	v_mov_b32_e32 v18, s31
	v_sub_co_u32_e32 v15, vcc, s30, v15
	v_subb_co_u32_e32 v16, vcc, v18, v16, vcc
	s_waitcnt lgkmcnt(0)
	global_store_dword v[15:16], v17, off offset:-2052
.LBB1703_282:
	s_andn2_saveexec_b64 s[6:7], s[6:7]
	s_cbranch_execz .LBB1703_284
; %bb.283:
	v_lshlrev_b32_e32 v15, 2, v0
	ds_read_b32 v16, v15 offset:2048
	v_readfirstlane_b32 s8, v9
	v_readfirstlane_b32 s9, v10
	s_waitcnt lgkmcnt(0)
	s_nop 3
	global_store_dword v15, v16, s[8:9] offset:2048
.LBB1703_284:
	s_or_b64 exec, exec, s[6:7]
.LBB1703_285:
	s_andn2_saveexec_b64 s[4:5], s[4:5]
	s_cbranch_execz .LBB1703_287
; %bb.286:
	v_lshlrev_b32_e32 v15, 2, v0
	ds_read_b32 v16, v15 offset:2048
	v_readfirstlane_b32 s4, v11
	v_readfirstlane_b32 s5, v12
	s_waitcnt lgkmcnt(0)
	s_nop 3
	global_store_dword v15, v16, s[4:5] offset:2048
.LBB1703_287:
	;; [unrolled: 51-line block ×3, first 2 shown]
	s_or_b64 exec, exec, s[2:3]
	v_or_b32_e32 v15, 0x400, v0
	v_cmp_gt_u32_e32 vcc, s16, v15
	s_and_saveexec_b64 s[2:3], vcc
	s_cbranch_execz .LBB1703_305
; %bb.297:
	v_cmp_ge_u32_e32 vcc, v15, v5
	s_and_saveexec_b64 s[4:5], vcc
	s_xor_b64 s[4:5], exec, s[4:5]
	s_cbranch_execz .LBB1703_303
; %bb.298:
	v_cmp_ge_u32_e32 vcc, v15, v14
	s_and_saveexec_b64 s[6:7], vcc
	s_xor_b64 s[6:7], exec, s[6:7]
	s_cbranch_execz .LBB1703_300
; %bb.299:
	v_lshlrev_b32_e32 v15, 2, v0
	ds_read_b32 v17, v15 offset:4096
	v_add_co_u32_e32 v15, vcc, v7, v0
	v_addc_co_u32_e32 v16, vcc, 0, v13, vcc
	v_lshlrev_b64 v[15:16], 2, v[15:16]
	v_mov_b32_e32 v18, s31
	v_sub_co_u32_e32 v15, vcc, s30, v15
	v_subb_co_u32_e32 v16, vcc, v18, v16, vcc
	v_add_co_u32_e32 v15, vcc, 0xfffff000, v15
	v_addc_co_u32_e32 v16, vcc, -1, v16, vcc
	s_waitcnt lgkmcnt(0)
	global_store_dword v[15:16], v17, off offset:-4
                                        ; implicit-def: $vgpr15
.LBB1703_300:
	s_andn2_saveexec_b64 s[6:7], s[6:7]
	s_cbranch_execz .LBB1703_302
; %bb.301:
	v_lshlrev_b32_e32 v16, 2, v0
	ds_read_b32 v16, v16 offset:4096
	v_lshlrev_b32_e32 v15, 2, v15
	v_readfirstlane_b32 s8, v9
	v_readfirstlane_b32 s9, v10
	s_waitcnt lgkmcnt(0)
	s_nop 3
	global_store_dword v15, v16, s[8:9]
.LBB1703_302:
	s_or_b64 exec, exec, s[6:7]
                                        ; implicit-def: $vgpr15
.LBB1703_303:
	s_andn2_saveexec_b64 s[4:5], s[4:5]
	s_cbranch_execz .LBB1703_305
; %bb.304:
	v_lshlrev_b32_e32 v16, 2, v0
	ds_read_b32 v16, v16 offset:4096
	v_lshlrev_b32_e32 v15, 2, v15
	v_readfirstlane_b32 s4, v11
	v_readfirstlane_b32 s5, v12
	s_waitcnt lgkmcnt(0)
	s_nop 3
	global_store_dword v15, v16, s[4:5]
.LBB1703_305:
	s_or_b64 exec, exec, s[2:3]
	v_or_b32_e32 v15, 0x500, v0
	v_cmp_gt_u32_e32 vcc, s16, v15
	s_and_saveexec_b64 s[2:3], vcc
	s_cbranch_execz .LBB1703_314
; %bb.306:
	v_cmp_ge_u32_e32 vcc, v15, v5
	s_and_saveexec_b64 s[4:5], vcc
	s_xor_b64 s[4:5], exec, s[4:5]
	s_cbranch_execz .LBB1703_312
; %bb.307:
	v_cmp_ge_u32_e32 vcc, v15, v14
	s_and_saveexec_b64 s[6:7], vcc
	s_xor_b64 s[6:7], exec, s[6:7]
	s_cbranch_execz .LBB1703_309
; %bb.308:
	v_add_co_u32_e32 v15, vcc, v7, v15
	v_lshlrev_b32_e32 v17, 2, v0
	v_addc_co_u32_e32 v16, vcc, 0, v13, vcc
	ds_read_b32 v17, v17 offset:5120
	v_lshlrev_b64 v[15:16], 2, v[15:16]
	v_mov_b32_e32 v18, s31
	v_sub_co_u32_e32 v15, vcc, s30, v15
	v_subb_co_u32_e32 v16, vcc, v18, v16, vcc
	s_waitcnt lgkmcnt(0)
	global_store_dword v[15:16], v17, off offset:-4
                                        ; implicit-def: $vgpr15
.LBB1703_309:
	s_andn2_saveexec_b64 s[6:7], s[6:7]
	s_cbranch_execz .LBB1703_311
; %bb.310:
	v_lshlrev_b32_e32 v16, 2, v0
	ds_read_b32 v16, v16 offset:5120
	v_lshlrev_b32_e32 v15, 2, v15
	v_readfirstlane_b32 s8, v9
	v_readfirstlane_b32 s9, v10
	s_waitcnt lgkmcnt(0)
	s_nop 3
	global_store_dword v15, v16, s[8:9]
.LBB1703_311:
	s_or_b64 exec, exec, s[6:7]
                                        ; implicit-def: $vgpr15
.LBB1703_312:
	s_andn2_saveexec_b64 s[4:5], s[4:5]
	s_cbranch_execz .LBB1703_314
; %bb.313:
	v_lshlrev_b32_e32 v16, 2, v0
	ds_read_b32 v16, v16 offset:5120
	v_lshlrev_b32_e32 v15, 2, v15
	v_readfirstlane_b32 s4, v11
	v_readfirstlane_b32 s5, v12
	s_waitcnt lgkmcnt(0)
	s_nop 3
	global_store_dword v15, v16, s[4:5]
.LBB1703_314:
	s_or_b64 exec, exec, s[2:3]
	v_or_b32_e32 v15, 0x600, v0
	v_cmp_gt_u32_e32 vcc, s16, v15
	s_and_saveexec_b64 s[2:3], vcc
	s_cbranch_execz .LBB1703_323
; %bb.315:
	v_cmp_ge_u32_e32 vcc, v15, v5
	s_and_saveexec_b64 s[4:5], vcc
	s_xor_b64 s[4:5], exec, s[4:5]
	s_cbranch_execz .LBB1703_321
; %bb.316:
	v_cmp_ge_u32_e32 vcc, v15, v14
	s_and_saveexec_b64 s[6:7], vcc
	s_xor_b64 s[6:7], exec, s[6:7]
	s_cbranch_execz .LBB1703_318
; %bb.317:
	v_add_co_u32_e32 v15, vcc, v7, v15
	v_lshlrev_b32_e32 v17, 2, v0
	v_addc_co_u32_e32 v16, vcc, 0, v13, vcc
	ds_read_b32 v17, v17 offset:6144
	v_lshlrev_b64 v[15:16], 2, v[15:16]
	v_mov_b32_e32 v18, s31
	v_sub_co_u32_e32 v15, vcc, s30, v15
	v_subb_co_u32_e32 v16, vcc, v18, v16, vcc
	s_waitcnt lgkmcnt(0)
	global_store_dword v[15:16], v17, off offset:-4
                                        ; implicit-def: $vgpr15
.LBB1703_318:
	s_andn2_saveexec_b64 s[6:7], s[6:7]
	s_cbranch_execz .LBB1703_320
; %bb.319:
	v_lshlrev_b32_e32 v16, 2, v0
	ds_read_b32 v16, v16 offset:6144
	v_lshlrev_b32_e32 v15, 2, v15
	v_readfirstlane_b32 s8, v9
	v_readfirstlane_b32 s9, v10
	s_waitcnt lgkmcnt(0)
	s_nop 3
	global_store_dword v15, v16, s[8:9]
.LBB1703_320:
	s_or_b64 exec, exec, s[6:7]
                                        ; implicit-def: $vgpr15
.LBB1703_321:
	s_andn2_saveexec_b64 s[4:5], s[4:5]
	s_cbranch_execz .LBB1703_323
; %bb.322:
	v_lshlrev_b32_e32 v16, 2, v0
	ds_read_b32 v16, v16 offset:6144
	v_lshlrev_b32_e32 v15, 2, v15
	v_readfirstlane_b32 s4, v11
	v_readfirstlane_b32 s5, v12
	s_waitcnt lgkmcnt(0)
	s_nop 3
	global_store_dword v15, v16, s[4:5]
.LBB1703_323:
	;; [unrolled: 55-line block ×7, first 2 shown]
	s_or_b64 exec, exec, s[2:3]
	v_or_b32_e32 v15, 0xc00, v0
	v_cmp_gt_u32_e32 vcc, s16, v15
	s_and_saveexec_b64 s[2:3], vcc
	s_cbranch_execz .LBB1703_377
; %bb.369:
	v_cmp_ge_u32_e32 vcc, v15, v5
	s_and_saveexec_b64 s[4:5], vcc
	s_xor_b64 s[4:5], exec, s[4:5]
	s_cbranch_execz .LBB1703_375
; %bb.370:
	v_cmp_ge_u32_e32 vcc, v15, v14
	s_and_saveexec_b64 s[6:7], vcc
	s_xor_b64 s[6:7], exec, s[6:7]
	s_cbranch_execz .LBB1703_372
; %bb.371:
	v_add_co_u32_e32 v9, vcc, v7, v15
	v_lshlrev_b32_e32 v0, 2, v0
	v_addc_co_u32_e32 v10, vcc, 0, v13, vcc
	ds_read_b32 v0, v0 offset:12288
	v_lshlrev_b64 v[9:10], 2, v[9:10]
	v_mov_b32_e32 v7, s31
	v_sub_co_u32_e32 v9, vcc, s30, v9
	v_subb_co_u32_e32 v10, vcc, v7, v10, vcc
	s_waitcnt lgkmcnt(0)
	global_store_dword v[9:10], v0, off offset:-4
                                        ; implicit-def: $vgpr0
                                        ; implicit-def: $vgpr15
                                        ; implicit-def: $vgpr9_vgpr10
.LBB1703_372:
	s_andn2_saveexec_b64 s[6:7], s[6:7]
	s_cbranch_execz .LBB1703_374
; %bb.373:
	v_lshlrev_b32_e32 v0, 2, v0
	ds_read_b32 v0, v0 offset:12288
	v_lshlrev_b32_e32 v7, 2, v15
	v_readfirstlane_b32 s8, v9
	v_readfirstlane_b32 s9, v10
	s_waitcnt lgkmcnt(0)
	s_nop 3
	global_store_dword v7, v0, s[8:9]
.LBB1703_374:
	s_or_b64 exec, exec, s[6:7]
                                        ; implicit-def: $vgpr0
                                        ; implicit-def: $vgpr15
                                        ; implicit-def: $vgpr11_vgpr12
.LBB1703_375:
	s_andn2_saveexec_b64 s[4:5], s[4:5]
	s_cbranch_execz .LBB1703_377
; %bb.376:
	v_lshlrev_b32_e32 v0, 2, v0
	ds_read_b32 v0, v0 offset:12288
	v_lshlrev_b32_e32 v7, 2, v15
	v_readfirstlane_b32 s4, v11
	v_readfirstlane_b32 s5, v12
	s_waitcnt lgkmcnt(0)
	s_nop 3
	global_store_dword v7, v0, s[4:5]
.LBB1703_377:
	s_or_b64 exec, exec, s[2:3]
	s_and_b64 s[0:1], s[0:1], s[34:35]
	s_and_saveexec_b64 s[2:3], s[0:1]
	s_cbranch_execz .LBB1703_154
.LBB1703_378:
	v_add_co_u32_e32 v3, vcc, v3, v6
	v_addc_co_u32_e32 v4, vcc, 0, v4, vcc
	v_add_co_u32_e32 v3, vcc, v3, v8
	v_addc_co_u32_e32 v4, vcc, 0, v4, vcc
	v_add_co_u32_e32 v1, vcc, v1, v5
	v_mov_b32_e32 v0, 0
	v_addc_co_u32_e32 v2, vcc, 0, v2, vcc
	global_store_dwordx4 v0, v[1:4], s[44:45]
	s_endpgm
.LBB1703_379:
	s_add_i32 s14, s33, 64
	s_mov_b32 s15, 0
	s_lshl_b64 s[14:15], s[14:15], 4
	s_add_u32 s14, s54, s14
	s_addc_u32 s15, s55, s15
	v_mov_b32_e32 v28, s15
	v_add_u32_e32 v10, v8, v6
	v_add_u32_e32 v9, v7, v5
	v_mov_b32_e32 v11, 2
	v_mov_b32_e32 v12, 0
	;; [unrolled: 1-line block ×3, first 2 shown]
	;;#ASMSTART
	global_store_dwordx4 v[27:28], v[9:12] off	
s_waitcnt vmcnt(0)
	;;#ASMEND
	s_or_b64 exec, exec, s[12:13]
	s_and_saveexec_b64 s[12:13], s[8:9]
	s_cbranch_execz .LBB1703_139
.LBB1703_380:
	v_mov_b32_e32 v9, 0
	ds_write_b128 v9, v[5:8] offset:13312
	s_or_b64 exec, exec, s[12:13]
	s_and_b64 exec, exec, s[0:1]
	s_cbranch_execnz .LBB1703_140
	s_branch .LBB1703_141
	.section	.rodata,"a",@progbits
	.p2align	6, 0x0
	.amdhsa_kernel _ZN7rocprim17ROCPRIM_400000_NS6detail17trampoline_kernelINS0_13select_configILj256ELj13ELNS0_17block_load_methodE3ELS4_3ELS4_3ELNS0_20block_scan_algorithmE0ELj4294967295EEENS1_25partition_config_selectorILNS1_17partition_subalgoE4EjNS0_10empty_typeEbEEZZNS1_14partition_implILS8_4ELb0ES6_15HIP_vector_typeIjLj2EENS0_17counting_iteratorIjlEEPS9_SG_NS0_5tupleIJPjSI_NS0_16reverse_iteratorISI_EEEEENSH_IJSG_SG_SG_EEES9_SI_JZNS1_25segmented_radix_sort_implINS0_14default_configELb1EPK6__halfPSP_PKlPlN2at6native12_GLOBAL__N_18offset_tEEE10hipError_tPvRmT1_PNSt15iterator_traitsIS13_E10value_typeET2_T3_PNS14_IS19_E10value_typeET4_jRbjT5_S1F_jjP12ihipStream_tbEUljE_ZNSN_ISO_Lb1ESR_SS_SU_SV_SZ_EES10_S11_S12_S13_S17_S18_S19_S1C_S1D_jS1E_jS1F_S1F_jjS1H_bEUljE0_EEES10_S11_S12_S19_S1D_S1F_T6_T7_T9_mT8_S1H_bDpT10_ENKUlT_T0_E_clISt17integral_constantIbLb0EES1U_IbLb1EEEEDaS1Q_S1R_EUlS1Q_E_NS1_11comp_targetILNS1_3genE2ELNS1_11target_archE906ELNS1_3gpuE6ELNS1_3repE0EEENS1_30default_config_static_selectorELNS0_4arch9wavefront6targetE1EEEvS13_
		.amdhsa_group_segment_fixed_size 13328
		.amdhsa_private_segment_fixed_size 0
		.amdhsa_kernarg_size 184
		.amdhsa_user_sgpr_count 6
		.amdhsa_user_sgpr_private_segment_buffer 1
		.amdhsa_user_sgpr_dispatch_ptr 0
		.amdhsa_user_sgpr_queue_ptr 0
		.amdhsa_user_sgpr_kernarg_segment_ptr 1
		.amdhsa_user_sgpr_dispatch_id 0
		.amdhsa_user_sgpr_flat_scratch_init 0
		.amdhsa_user_sgpr_private_segment_size 0
		.amdhsa_uses_dynamic_stack 0
		.amdhsa_system_sgpr_private_segment_wavefront_offset 0
		.amdhsa_system_sgpr_workgroup_id_x 1
		.amdhsa_system_sgpr_workgroup_id_y 0
		.amdhsa_system_sgpr_workgroup_id_z 0
		.amdhsa_system_sgpr_workgroup_info 0
		.amdhsa_system_vgpr_workitem_id 0
		.amdhsa_next_free_vgpr 91
		.amdhsa_next_free_sgpr 98
		.amdhsa_reserve_vcc 1
		.amdhsa_reserve_flat_scratch 0
		.amdhsa_float_round_mode_32 0
		.amdhsa_float_round_mode_16_64 0
		.amdhsa_float_denorm_mode_32 3
		.amdhsa_float_denorm_mode_16_64 3
		.amdhsa_dx10_clamp 1
		.amdhsa_ieee_mode 1
		.amdhsa_fp16_overflow 0
		.amdhsa_exception_fp_ieee_invalid_op 0
		.amdhsa_exception_fp_denorm_src 0
		.amdhsa_exception_fp_ieee_div_zero 0
		.amdhsa_exception_fp_ieee_overflow 0
		.amdhsa_exception_fp_ieee_underflow 0
		.amdhsa_exception_fp_ieee_inexact 0
		.amdhsa_exception_int_div_zero 0
	.end_amdhsa_kernel
	.section	.text._ZN7rocprim17ROCPRIM_400000_NS6detail17trampoline_kernelINS0_13select_configILj256ELj13ELNS0_17block_load_methodE3ELS4_3ELS4_3ELNS0_20block_scan_algorithmE0ELj4294967295EEENS1_25partition_config_selectorILNS1_17partition_subalgoE4EjNS0_10empty_typeEbEEZZNS1_14partition_implILS8_4ELb0ES6_15HIP_vector_typeIjLj2EENS0_17counting_iteratorIjlEEPS9_SG_NS0_5tupleIJPjSI_NS0_16reverse_iteratorISI_EEEEENSH_IJSG_SG_SG_EEES9_SI_JZNS1_25segmented_radix_sort_implINS0_14default_configELb1EPK6__halfPSP_PKlPlN2at6native12_GLOBAL__N_18offset_tEEE10hipError_tPvRmT1_PNSt15iterator_traitsIS13_E10value_typeET2_T3_PNS14_IS19_E10value_typeET4_jRbjT5_S1F_jjP12ihipStream_tbEUljE_ZNSN_ISO_Lb1ESR_SS_SU_SV_SZ_EES10_S11_S12_S13_S17_S18_S19_S1C_S1D_jS1E_jS1F_S1F_jjS1H_bEUljE0_EEES10_S11_S12_S19_S1D_S1F_T6_T7_T9_mT8_S1H_bDpT10_ENKUlT_T0_E_clISt17integral_constantIbLb0EES1U_IbLb1EEEEDaS1Q_S1R_EUlS1Q_E_NS1_11comp_targetILNS1_3genE2ELNS1_11target_archE906ELNS1_3gpuE6ELNS1_3repE0EEENS1_30default_config_static_selectorELNS0_4arch9wavefront6targetE1EEEvS13_,"axG",@progbits,_ZN7rocprim17ROCPRIM_400000_NS6detail17trampoline_kernelINS0_13select_configILj256ELj13ELNS0_17block_load_methodE3ELS4_3ELS4_3ELNS0_20block_scan_algorithmE0ELj4294967295EEENS1_25partition_config_selectorILNS1_17partition_subalgoE4EjNS0_10empty_typeEbEEZZNS1_14partition_implILS8_4ELb0ES6_15HIP_vector_typeIjLj2EENS0_17counting_iteratorIjlEEPS9_SG_NS0_5tupleIJPjSI_NS0_16reverse_iteratorISI_EEEEENSH_IJSG_SG_SG_EEES9_SI_JZNS1_25segmented_radix_sort_implINS0_14default_configELb1EPK6__halfPSP_PKlPlN2at6native12_GLOBAL__N_18offset_tEEE10hipError_tPvRmT1_PNSt15iterator_traitsIS13_E10value_typeET2_T3_PNS14_IS19_E10value_typeET4_jRbjT5_S1F_jjP12ihipStream_tbEUljE_ZNSN_ISO_Lb1ESR_SS_SU_SV_SZ_EES10_S11_S12_S13_S17_S18_S19_S1C_S1D_jS1E_jS1F_S1F_jjS1H_bEUljE0_EEES10_S11_S12_S19_S1D_S1F_T6_T7_T9_mT8_S1H_bDpT10_ENKUlT_T0_E_clISt17integral_constantIbLb0EES1U_IbLb1EEEEDaS1Q_S1R_EUlS1Q_E_NS1_11comp_targetILNS1_3genE2ELNS1_11target_archE906ELNS1_3gpuE6ELNS1_3repE0EEENS1_30default_config_static_selectorELNS0_4arch9wavefront6targetE1EEEvS13_,comdat
.Lfunc_end1703:
	.size	_ZN7rocprim17ROCPRIM_400000_NS6detail17trampoline_kernelINS0_13select_configILj256ELj13ELNS0_17block_load_methodE3ELS4_3ELS4_3ELNS0_20block_scan_algorithmE0ELj4294967295EEENS1_25partition_config_selectorILNS1_17partition_subalgoE4EjNS0_10empty_typeEbEEZZNS1_14partition_implILS8_4ELb0ES6_15HIP_vector_typeIjLj2EENS0_17counting_iteratorIjlEEPS9_SG_NS0_5tupleIJPjSI_NS0_16reverse_iteratorISI_EEEEENSH_IJSG_SG_SG_EEES9_SI_JZNS1_25segmented_radix_sort_implINS0_14default_configELb1EPK6__halfPSP_PKlPlN2at6native12_GLOBAL__N_18offset_tEEE10hipError_tPvRmT1_PNSt15iterator_traitsIS13_E10value_typeET2_T3_PNS14_IS19_E10value_typeET4_jRbjT5_S1F_jjP12ihipStream_tbEUljE_ZNSN_ISO_Lb1ESR_SS_SU_SV_SZ_EES10_S11_S12_S13_S17_S18_S19_S1C_S1D_jS1E_jS1F_S1F_jjS1H_bEUljE0_EEES10_S11_S12_S19_S1D_S1F_T6_T7_T9_mT8_S1H_bDpT10_ENKUlT_T0_E_clISt17integral_constantIbLb0EES1U_IbLb1EEEEDaS1Q_S1R_EUlS1Q_E_NS1_11comp_targetILNS1_3genE2ELNS1_11target_archE906ELNS1_3gpuE6ELNS1_3repE0EEENS1_30default_config_static_selectorELNS0_4arch9wavefront6targetE1EEEvS13_, .Lfunc_end1703-_ZN7rocprim17ROCPRIM_400000_NS6detail17trampoline_kernelINS0_13select_configILj256ELj13ELNS0_17block_load_methodE3ELS4_3ELS4_3ELNS0_20block_scan_algorithmE0ELj4294967295EEENS1_25partition_config_selectorILNS1_17partition_subalgoE4EjNS0_10empty_typeEbEEZZNS1_14partition_implILS8_4ELb0ES6_15HIP_vector_typeIjLj2EENS0_17counting_iteratorIjlEEPS9_SG_NS0_5tupleIJPjSI_NS0_16reverse_iteratorISI_EEEEENSH_IJSG_SG_SG_EEES9_SI_JZNS1_25segmented_radix_sort_implINS0_14default_configELb1EPK6__halfPSP_PKlPlN2at6native12_GLOBAL__N_18offset_tEEE10hipError_tPvRmT1_PNSt15iterator_traitsIS13_E10value_typeET2_T3_PNS14_IS19_E10value_typeET4_jRbjT5_S1F_jjP12ihipStream_tbEUljE_ZNSN_ISO_Lb1ESR_SS_SU_SV_SZ_EES10_S11_S12_S13_S17_S18_S19_S1C_S1D_jS1E_jS1F_S1F_jjS1H_bEUljE0_EEES10_S11_S12_S19_S1D_S1F_T6_T7_T9_mT8_S1H_bDpT10_ENKUlT_T0_E_clISt17integral_constantIbLb0EES1U_IbLb1EEEEDaS1Q_S1R_EUlS1Q_E_NS1_11comp_targetILNS1_3genE2ELNS1_11target_archE906ELNS1_3gpuE6ELNS1_3repE0EEENS1_30default_config_static_selectorELNS0_4arch9wavefront6targetE1EEEvS13_
                                        ; -- End function
	.set _ZN7rocprim17ROCPRIM_400000_NS6detail17trampoline_kernelINS0_13select_configILj256ELj13ELNS0_17block_load_methodE3ELS4_3ELS4_3ELNS0_20block_scan_algorithmE0ELj4294967295EEENS1_25partition_config_selectorILNS1_17partition_subalgoE4EjNS0_10empty_typeEbEEZZNS1_14partition_implILS8_4ELb0ES6_15HIP_vector_typeIjLj2EENS0_17counting_iteratorIjlEEPS9_SG_NS0_5tupleIJPjSI_NS0_16reverse_iteratorISI_EEEEENSH_IJSG_SG_SG_EEES9_SI_JZNS1_25segmented_radix_sort_implINS0_14default_configELb1EPK6__halfPSP_PKlPlN2at6native12_GLOBAL__N_18offset_tEEE10hipError_tPvRmT1_PNSt15iterator_traitsIS13_E10value_typeET2_T3_PNS14_IS19_E10value_typeET4_jRbjT5_S1F_jjP12ihipStream_tbEUljE_ZNSN_ISO_Lb1ESR_SS_SU_SV_SZ_EES10_S11_S12_S13_S17_S18_S19_S1C_S1D_jS1E_jS1F_S1F_jjS1H_bEUljE0_EEES10_S11_S12_S19_S1D_S1F_T6_T7_T9_mT8_S1H_bDpT10_ENKUlT_T0_E_clISt17integral_constantIbLb0EES1U_IbLb1EEEEDaS1Q_S1R_EUlS1Q_E_NS1_11comp_targetILNS1_3genE2ELNS1_11target_archE906ELNS1_3gpuE6ELNS1_3repE0EEENS1_30default_config_static_selectorELNS0_4arch9wavefront6targetE1EEEvS13_.num_vgpr, 91
	.set _ZN7rocprim17ROCPRIM_400000_NS6detail17trampoline_kernelINS0_13select_configILj256ELj13ELNS0_17block_load_methodE3ELS4_3ELS4_3ELNS0_20block_scan_algorithmE0ELj4294967295EEENS1_25partition_config_selectorILNS1_17partition_subalgoE4EjNS0_10empty_typeEbEEZZNS1_14partition_implILS8_4ELb0ES6_15HIP_vector_typeIjLj2EENS0_17counting_iteratorIjlEEPS9_SG_NS0_5tupleIJPjSI_NS0_16reverse_iteratorISI_EEEEENSH_IJSG_SG_SG_EEES9_SI_JZNS1_25segmented_radix_sort_implINS0_14default_configELb1EPK6__halfPSP_PKlPlN2at6native12_GLOBAL__N_18offset_tEEE10hipError_tPvRmT1_PNSt15iterator_traitsIS13_E10value_typeET2_T3_PNS14_IS19_E10value_typeET4_jRbjT5_S1F_jjP12ihipStream_tbEUljE_ZNSN_ISO_Lb1ESR_SS_SU_SV_SZ_EES10_S11_S12_S13_S17_S18_S19_S1C_S1D_jS1E_jS1F_S1F_jjS1H_bEUljE0_EEES10_S11_S12_S19_S1D_S1F_T6_T7_T9_mT8_S1H_bDpT10_ENKUlT_T0_E_clISt17integral_constantIbLb0EES1U_IbLb1EEEEDaS1Q_S1R_EUlS1Q_E_NS1_11comp_targetILNS1_3genE2ELNS1_11target_archE906ELNS1_3gpuE6ELNS1_3repE0EEENS1_30default_config_static_selectorELNS0_4arch9wavefront6targetE1EEEvS13_.num_agpr, 0
	.set _ZN7rocprim17ROCPRIM_400000_NS6detail17trampoline_kernelINS0_13select_configILj256ELj13ELNS0_17block_load_methodE3ELS4_3ELS4_3ELNS0_20block_scan_algorithmE0ELj4294967295EEENS1_25partition_config_selectorILNS1_17partition_subalgoE4EjNS0_10empty_typeEbEEZZNS1_14partition_implILS8_4ELb0ES6_15HIP_vector_typeIjLj2EENS0_17counting_iteratorIjlEEPS9_SG_NS0_5tupleIJPjSI_NS0_16reverse_iteratorISI_EEEEENSH_IJSG_SG_SG_EEES9_SI_JZNS1_25segmented_radix_sort_implINS0_14default_configELb1EPK6__halfPSP_PKlPlN2at6native12_GLOBAL__N_18offset_tEEE10hipError_tPvRmT1_PNSt15iterator_traitsIS13_E10value_typeET2_T3_PNS14_IS19_E10value_typeET4_jRbjT5_S1F_jjP12ihipStream_tbEUljE_ZNSN_ISO_Lb1ESR_SS_SU_SV_SZ_EES10_S11_S12_S13_S17_S18_S19_S1C_S1D_jS1E_jS1F_S1F_jjS1H_bEUljE0_EEES10_S11_S12_S19_S1D_S1F_T6_T7_T9_mT8_S1H_bDpT10_ENKUlT_T0_E_clISt17integral_constantIbLb0EES1U_IbLb1EEEEDaS1Q_S1R_EUlS1Q_E_NS1_11comp_targetILNS1_3genE2ELNS1_11target_archE906ELNS1_3gpuE6ELNS1_3repE0EEENS1_30default_config_static_selectorELNS0_4arch9wavefront6targetE1EEEvS13_.numbered_sgpr, 87
	.set _ZN7rocprim17ROCPRIM_400000_NS6detail17trampoline_kernelINS0_13select_configILj256ELj13ELNS0_17block_load_methodE3ELS4_3ELS4_3ELNS0_20block_scan_algorithmE0ELj4294967295EEENS1_25partition_config_selectorILNS1_17partition_subalgoE4EjNS0_10empty_typeEbEEZZNS1_14partition_implILS8_4ELb0ES6_15HIP_vector_typeIjLj2EENS0_17counting_iteratorIjlEEPS9_SG_NS0_5tupleIJPjSI_NS0_16reverse_iteratorISI_EEEEENSH_IJSG_SG_SG_EEES9_SI_JZNS1_25segmented_radix_sort_implINS0_14default_configELb1EPK6__halfPSP_PKlPlN2at6native12_GLOBAL__N_18offset_tEEE10hipError_tPvRmT1_PNSt15iterator_traitsIS13_E10value_typeET2_T3_PNS14_IS19_E10value_typeET4_jRbjT5_S1F_jjP12ihipStream_tbEUljE_ZNSN_ISO_Lb1ESR_SS_SU_SV_SZ_EES10_S11_S12_S13_S17_S18_S19_S1C_S1D_jS1E_jS1F_S1F_jjS1H_bEUljE0_EEES10_S11_S12_S19_S1D_S1F_T6_T7_T9_mT8_S1H_bDpT10_ENKUlT_T0_E_clISt17integral_constantIbLb0EES1U_IbLb1EEEEDaS1Q_S1R_EUlS1Q_E_NS1_11comp_targetILNS1_3genE2ELNS1_11target_archE906ELNS1_3gpuE6ELNS1_3repE0EEENS1_30default_config_static_selectorELNS0_4arch9wavefront6targetE1EEEvS13_.num_named_barrier, 0
	.set _ZN7rocprim17ROCPRIM_400000_NS6detail17trampoline_kernelINS0_13select_configILj256ELj13ELNS0_17block_load_methodE3ELS4_3ELS4_3ELNS0_20block_scan_algorithmE0ELj4294967295EEENS1_25partition_config_selectorILNS1_17partition_subalgoE4EjNS0_10empty_typeEbEEZZNS1_14partition_implILS8_4ELb0ES6_15HIP_vector_typeIjLj2EENS0_17counting_iteratorIjlEEPS9_SG_NS0_5tupleIJPjSI_NS0_16reverse_iteratorISI_EEEEENSH_IJSG_SG_SG_EEES9_SI_JZNS1_25segmented_radix_sort_implINS0_14default_configELb1EPK6__halfPSP_PKlPlN2at6native12_GLOBAL__N_18offset_tEEE10hipError_tPvRmT1_PNSt15iterator_traitsIS13_E10value_typeET2_T3_PNS14_IS19_E10value_typeET4_jRbjT5_S1F_jjP12ihipStream_tbEUljE_ZNSN_ISO_Lb1ESR_SS_SU_SV_SZ_EES10_S11_S12_S13_S17_S18_S19_S1C_S1D_jS1E_jS1F_S1F_jjS1H_bEUljE0_EEES10_S11_S12_S19_S1D_S1F_T6_T7_T9_mT8_S1H_bDpT10_ENKUlT_T0_E_clISt17integral_constantIbLb0EES1U_IbLb1EEEEDaS1Q_S1R_EUlS1Q_E_NS1_11comp_targetILNS1_3genE2ELNS1_11target_archE906ELNS1_3gpuE6ELNS1_3repE0EEENS1_30default_config_static_selectorELNS0_4arch9wavefront6targetE1EEEvS13_.private_seg_size, 0
	.set _ZN7rocprim17ROCPRIM_400000_NS6detail17trampoline_kernelINS0_13select_configILj256ELj13ELNS0_17block_load_methodE3ELS4_3ELS4_3ELNS0_20block_scan_algorithmE0ELj4294967295EEENS1_25partition_config_selectorILNS1_17partition_subalgoE4EjNS0_10empty_typeEbEEZZNS1_14partition_implILS8_4ELb0ES6_15HIP_vector_typeIjLj2EENS0_17counting_iteratorIjlEEPS9_SG_NS0_5tupleIJPjSI_NS0_16reverse_iteratorISI_EEEEENSH_IJSG_SG_SG_EEES9_SI_JZNS1_25segmented_radix_sort_implINS0_14default_configELb1EPK6__halfPSP_PKlPlN2at6native12_GLOBAL__N_18offset_tEEE10hipError_tPvRmT1_PNSt15iterator_traitsIS13_E10value_typeET2_T3_PNS14_IS19_E10value_typeET4_jRbjT5_S1F_jjP12ihipStream_tbEUljE_ZNSN_ISO_Lb1ESR_SS_SU_SV_SZ_EES10_S11_S12_S13_S17_S18_S19_S1C_S1D_jS1E_jS1F_S1F_jjS1H_bEUljE0_EEES10_S11_S12_S19_S1D_S1F_T6_T7_T9_mT8_S1H_bDpT10_ENKUlT_T0_E_clISt17integral_constantIbLb0EES1U_IbLb1EEEEDaS1Q_S1R_EUlS1Q_E_NS1_11comp_targetILNS1_3genE2ELNS1_11target_archE906ELNS1_3gpuE6ELNS1_3repE0EEENS1_30default_config_static_selectorELNS0_4arch9wavefront6targetE1EEEvS13_.uses_vcc, 1
	.set _ZN7rocprim17ROCPRIM_400000_NS6detail17trampoline_kernelINS0_13select_configILj256ELj13ELNS0_17block_load_methodE3ELS4_3ELS4_3ELNS0_20block_scan_algorithmE0ELj4294967295EEENS1_25partition_config_selectorILNS1_17partition_subalgoE4EjNS0_10empty_typeEbEEZZNS1_14partition_implILS8_4ELb0ES6_15HIP_vector_typeIjLj2EENS0_17counting_iteratorIjlEEPS9_SG_NS0_5tupleIJPjSI_NS0_16reverse_iteratorISI_EEEEENSH_IJSG_SG_SG_EEES9_SI_JZNS1_25segmented_radix_sort_implINS0_14default_configELb1EPK6__halfPSP_PKlPlN2at6native12_GLOBAL__N_18offset_tEEE10hipError_tPvRmT1_PNSt15iterator_traitsIS13_E10value_typeET2_T3_PNS14_IS19_E10value_typeET4_jRbjT5_S1F_jjP12ihipStream_tbEUljE_ZNSN_ISO_Lb1ESR_SS_SU_SV_SZ_EES10_S11_S12_S13_S17_S18_S19_S1C_S1D_jS1E_jS1F_S1F_jjS1H_bEUljE0_EEES10_S11_S12_S19_S1D_S1F_T6_T7_T9_mT8_S1H_bDpT10_ENKUlT_T0_E_clISt17integral_constantIbLb0EES1U_IbLb1EEEEDaS1Q_S1R_EUlS1Q_E_NS1_11comp_targetILNS1_3genE2ELNS1_11target_archE906ELNS1_3gpuE6ELNS1_3repE0EEENS1_30default_config_static_selectorELNS0_4arch9wavefront6targetE1EEEvS13_.uses_flat_scratch, 0
	.set _ZN7rocprim17ROCPRIM_400000_NS6detail17trampoline_kernelINS0_13select_configILj256ELj13ELNS0_17block_load_methodE3ELS4_3ELS4_3ELNS0_20block_scan_algorithmE0ELj4294967295EEENS1_25partition_config_selectorILNS1_17partition_subalgoE4EjNS0_10empty_typeEbEEZZNS1_14partition_implILS8_4ELb0ES6_15HIP_vector_typeIjLj2EENS0_17counting_iteratorIjlEEPS9_SG_NS0_5tupleIJPjSI_NS0_16reverse_iteratorISI_EEEEENSH_IJSG_SG_SG_EEES9_SI_JZNS1_25segmented_radix_sort_implINS0_14default_configELb1EPK6__halfPSP_PKlPlN2at6native12_GLOBAL__N_18offset_tEEE10hipError_tPvRmT1_PNSt15iterator_traitsIS13_E10value_typeET2_T3_PNS14_IS19_E10value_typeET4_jRbjT5_S1F_jjP12ihipStream_tbEUljE_ZNSN_ISO_Lb1ESR_SS_SU_SV_SZ_EES10_S11_S12_S13_S17_S18_S19_S1C_S1D_jS1E_jS1F_S1F_jjS1H_bEUljE0_EEES10_S11_S12_S19_S1D_S1F_T6_T7_T9_mT8_S1H_bDpT10_ENKUlT_T0_E_clISt17integral_constantIbLb0EES1U_IbLb1EEEEDaS1Q_S1R_EUlS1Q_E_NS1_11comp_targetILNS1_3genE2ELNS1_11target_archE906ELNS1_3gpuE6ELNS1_3repE0EEENS1_30default_config_static_selectorELNS0_4arch9wavefront6targetE1EEEvS13_.has_dyn_sized_stack, 0
	.set _ZN7rocprim17ROCPRIM_400000_NS6detail17trampoline_kernelINS0_13select_configILj256ELj13ELNS0_17block_load_methodE3ELS4_3ELS4_3ELNS0_20block_scan_algorithmE0ELj4294967295EEENS1_25partition_config_selectorILNS1_17partition_subalgoE4EjNS0_10empty_typeEbEEZZNS1_14partition_implILS8_4ELb0ES6_15HIP_vector_typeIjLj2EENS0_17counting_iteratorIjlEEPS9_SG_NS0_5tupleIJPjSI_NS0_16reverse_iteratorISI_EEEEENSH_IJSG_SG_SG_EEES9_SI_JZNS1_25segmented_radix_sort_implINS0_14default_configELb1EPK6__halfPSP_PKlPlN2at6native12_GLOBAL__N_18offset_tEEE10hipError_tPvRmT1_PNSt15iterator_traitsIS13_E10value_typeET2_T3_PNS14_IS19_E10value_typeET4_jRbjT5_S1F_jjP12ihipStream_tbEUljE_ZNSN_ISO_Lb1ESR_SS_SU_SV_SZ_EES10_S11_S12_S13_S17_S18_S19_S1C_S1D_jS1E_jS1F_S1F_jjS1H_bEUljE0_EEES10_S11_S12_S19_S1D_S1F_T6_T7_T9_mT8_S1H_bDpT10_ENKUlT_T0_E_clISt17integral_constantIbLb0EES1U_IbLb1EEEEDaS1Q_S1R_EUlS1Q_E_NS1_11comp_targetILNS1_3genE2ELNS1_11target_archE906ELNS1_3gpuE6ELNS1_3repE0EEENS1_30default_config_static_selectorELNS0_4arch9wavefront6targetE1EEEvS13_.has_recursion, 0
	.set _ZN7rocprim17ROCPRIM_400000_NS6detail17trampoline_kernelINS0_13select_configILj256ELj13ELNS0_17block_load_methodE3ELS4_3ELS4_3ELNS0_20block_scan_algorithmE0ELj4294967295EEENS1_25partition_config_selectorILNS1_17partition_subalgoE4EjNS0_10empty_typeEbEEZZNS1_14partition_implILS8_4ELb0ES6_15HIP_vector_typeIjLj2EENS0_17counting_iteratorIjlEEPS9_SG_NS0_5tupleIJPjSI_NS0_16reverse_iteratorISI_EEEEENSH_IJSG_SG_SG_EEES9_SI_JZNS1_25segmented_radix_sort_implINS0_14default_configELb1EPK6__halfPSP_PKlPlN2at6native12_GLOBAL__N_18offset_tEEE10hipError_tPvRmT1_PNSt15iterator_traitsIS13_E10value_typeET2_T3_PNS14_IS19_E10value_typeET4_jRbjT5_S1F_jjP12ihipStream_tbEUljE_ZNSN_ISO_Lb1ESR_SS_SU_SV_SZ_EES10_S11_S12_S13_S17_S18_S19_S1C_S1D_jS1E_jS1F_S1F_jjS1H_bEUljE0_EEES10_S11_S12_S19_S1D_S1F_T6_T7_T9_mT8_S1H_bDpT10_ENKUlT_T0_E_clISt17integral_constantIbLb0EES1U_IbLb1EEEEDaS1Q_S1R_EUlS1Q_E_NS1_11comp_targetILNS1_3genE2ELNS1_11target_archE906ELNS1_3gpuE6ELNS1_3repE0EEENS1_30default_config_static_selectorELNS0_4arch9wavefront6targetE1EEEvS13_.has_indirect_call, 0
	.section	.AMDGPU.csdata,"",@progbits
; Kernel info:
; codeLenInByte = 15580
; TotalNumSgprs: 91
; NumVgprs: 91
; ScratchSize: 0
; MemoryBound: 0
; FloatMode: 240
; IeeeMode: 1
; LDSByteSize: 13328 bytes/workgroup (compile time only)
; SGPRBlocks: 12
; VGPRBlocks: 22
; NumSGPRsForWavesPerEU: 102
; NumVGPRsForWavesPerEU: 91
; Occupancy: 2
; WaveLimiterHint : 1
; COMPUTE_PGM_RSRC2:SCRATCH_EN: 0
; COMPUTE_PGM_RSRC2:USER_SGPR: 6
; COMPUTE_PGM_RSRC2:TRAP_HANDLER: 0
; COMPUTE_PGM_RSRC2:TGID_X_EN: 1
; COMPUTE_PGM_RSRC2:TGID_Y_EN: 0
; COMPUTE_PGM_RSRC2:TGID_Z_EN: 0
; COMPUTE_PGM_RSRC2:TIDIG_COMP_CNT: 0
	.section	.text._ZN7rocprim17ROCPRIM_400000_NS6detail17trampoline_kernelINS0_13select_configILj256ELj13ELNS0_17block_load_methodE3ELS4_3ELS4_3ELNS0_20block_scan_algorithmE0ELj4294967295EEENS1_25partition_config_selectorILNS1_17partition_subalgoE4EjNS0_10empty_typeEbEEZZNS1_14partition_implILS8_4ELb0ES6_15HIP_vector_typeIjLj2EENS0_17counting_iteratorIjlEEPS9_SG_NS0_5tupleIJPjSI_NS0_16reverse_iteratorISI_EEEEENSH_IJSG_SG_SG_EEES9_SI_JZNS1_25segmented_radix_sort_implINS0_14default_configELb1EPK6__halfPSP_PKlPlN2at6native12_GLOBAL__N_18offset_tEEE10hipError_tPvRmT1_PNSt15iterator_traitsIS13_E10value_typeET2_T3_PNS14_IS19_E10value_typeET4_jRbjT5_S1F_jjP12ihipStream_tbEUljE_ZNSN_ISO_Lb1ESR_SS_SU_SV_SZ_EES10_S11_S12_S13_S17_S18_S19_S1C_S1D_jS1E_jS1F_S1F_jjS1H_bEUljE0_EEES10_S11_S12_S19_S1D_S1F_T6_T7_T9_mT8_S1H_bDpT10_ENKUlT_T0_E_clISt17integral_constantIbLb0EES1U_IbLb1EEEEDaS1Q_S1R_EUlS1Q_E_NS1_11comp_targetILNS1_3genE10ELNS1_11target_archE1200ELNS1_3gpuE4ELNS1_3repE0EEENS1_30default_config_static_selectorELNS0_4arch9wavefront6targetE1EEEvS13_,"axG",@progbits,_ZN7rocprim17ROCPRIM_400000_NS6detail17trampoline_kernelINS0_13select_configILj256ELj13ELNS0_17block_load_methodE3ELS4_3ELS4_3ELNS0_20block_scan_algorithmE0ELj4294967295EEENS1_25partition_config_selectorILNS1_17partition_subalgoE4EjNS0_10empty_typeEbEEZZNS1_14partition_implILS8_4ELb0ES6_15HIP_vector_typeIjLj2EENS0_17counting_iteratorIjlEEPS9_SG_NS0_5tupleIJPjSI_NS0_16reverse_iteratorISI_EEEEENSH_IJSG_SG_SG_EEES9_SI_JZNS1_25segmented_radix_sort_implINS0_14default_configELb1EPK6__halfPSP_PKlPlN2at6native12_GLOBAL__N_18offset_tEEE10hipError_tPvRmT1_PNSt15iterator_traitsIS13_E10value_typeET2_T3_PNS14_IS19_E10value_typeET4_jRbjT5_S1F_jjP12ihipStream_tbEUljE_ZNSN_ISO_Lb1ESR_SS_SU_SV_SZ_EES10_S11_S12_S13_S17_S18_S19_S1C_S1D_jS1E_jS1F_S1F_jjS1H_bEUljE0_EEES10_S11_S12_S19_S1D_S1F_T6_T7_T9_mT8_S1H_bDpT10_ENKUlT_T0_E_clISt17integral_constantIbLb0EES1U_IbLb1EEEEDaS1Q_S1R_EUlS1Q_E_NS1_11comp_targetILNS1_3genE10ELNS1_11target_archE1200ELNS1_3gpuE4ELNS1_3repE0EEENS1_30default_config_static_selectorELNS0_4arch9wavefront6targetE1EEEvS13_,comdat
	.globl	_ZN7rocprim17ROCPRIM_400000_NS6detail17trampoline_kernelINS0_13select_configILj256ELj13ELNS0_17block_load_methodE3ELS4_3ELS4_3ELNS0_20block_scan_algorithmE0ELj4294967295EEENS1_25partition_config_selectorILNS1_17partition_subalgoE4EjNS0_10empty_typeEbEEZZNS1_14partition_implILS8_4ELb0ES6_15HIP_vector_typeIjLj2EENS0_17counting_iteratorIjlEEPS9_SG_NS0_5tupleIJPjSI_NS0_16reverse_iteratorISI_EEEEENSH_IJSG_SG_SG_EEES9_SI_JZNS1_25segmented_radix_sort_implINS0_14default_configELb1EPK6__halfPSP_PKlPlN2at6native12_GLOBAL__N_18offset_tEEE10hipError_tPvRmT1_PNSt15iterator_traitsIS13_E10value_typeET2_T3_PNS14_IS19_E10value_typeET4_jRbjT5_S1F_jjP12ihipStream_tbEUljE_ZNSN_ISO_Lb1ESR_SS_SU_SV_SZ_EES10_S11_S12_S13_S17_S18_S19_S1C_S1D_jS1E_jS1F_S1F_jjS1H_bEUljE0_EEES10_S11_S12_S19_S1D_S1F_T6_T7_T9_mT8_S1H_bDpT10_ENKUlT_T0_E_clISt17integral_constantIbLb0EES1U_IbLb1EEEEDaS1Q_S1R_EUlS1Q_E_NS1_11comp_targetILNS1_3genE10ELNS1_11target_archE1200ELNS1_3gpuE4ELNS1_3repE0EEENS1_30default_config_static_selectorELNS0_4arch9wavefront6targetE1EEEvS13_ ; -- Begin function _ZN7rocprim17ROCPRIM_400000_NS6detail17trampoline_kernelINS0_13select_configILj256ELj13ELNS0_17block_load_methodE3ELS4_3ELS4_3ELNS0_20block_scan_algorithmE0ELj4294967295EEENS1_25partition_config_selectorILNS1_17partition_subalgoE4EjNS0_10empty_typeEbEEZZNS1_14partition_implILS8_4ELb0ES6_15HIP_vector_typeIjLj2EENS0_17counting_iteratorIjlEEPS9_SG_NS0_5tupleIJPjSI_NS0_16reverse_iteratorISI_EEEEENSH_IJSG_SG_SG_EEES9_SI_JZNS1_25segmented_radix_sort_implINS0_14default_configELb1EPK6__halfPSP_PKlPlN2at6native12_GLOBAL__N_18offset_tEEE10hipError_tPvRmT1_PNSt15iterator_traitsIS13_E10value_typeET2_T3_PNS14_IS19_E10value_typeET4_jRbjT5_S1F_jjP12ihipStream_tbEUljE_ZNSN_ISO_Lb1ESR_SS_SU_SV_SZ_EES10_S11_S12_S13_S17_S18_S19_S1C_S1D_jS1E_jS1F_S1F_jjS1H_bEUljE0_EEES10_S11_S12_S19_S1D_S1F_T6_T7_T9_mT8_S1H_bDpT10_ENKUlT_T0_E_clISt17integral_constantIbLb0EES1U_IbLb1EEEEDaS1Q_S1R_EUlS1Q_E_NS1_11comp_targetILNS1_3genE10ELNS1_11target_archE1200ELNS1_3gpuE4ELNS1_3repE0EEENS1_30default_config_static_selectorELNS0_4arch9wavefront6targetE1EEEvS13_
	.p2align	8
	.type	_ZN7rocprim17ROCPRIM_400000_NS6detail17trampoline_kernelINS0_13select_configILj256ELj13ELNS0_17block_load_methodE3ELS4_3ELS4_3ELNS0_20block_scan_algorithmE0ELj4294967295EEENS1_25partition_config_selectorILNS1_17partition_subalgoE4EjNS0_10empty_typeEbEEZZNS1_14partition_implILS8_4ELb0ES6_15HIP_vector_typeIjLj2EENS0_17counting_iteratorIjlEEPS9_SG_NS0_5tupleIJPjSI_NS0_16reverse_iteratorISI_EEEEENSH_IJSG_SG_SG_EEES9_SI_JZNS1_25segmented_radix_sort_implINS0_14default_configELb1EPK6__halfPSP_PKlPlN2at6native12_GLOBAL__N_18offset_tEEE10hipError_tPvRmT1_PNSt15iterator_traitsIS13_E10value_typeET2_T3_PNS14_IS19_E10value_typeET4_jRbjT5_S1F_jjP12ihipStream_tbEUljE_ZNSN_ISO_Lb1ESR_SS_SU_SV_SZ_EES10_S11_S12_S13_S17_S18_S19_S1C_S1D_jS1E_jS1F_S1F_jjS1H_bEUljE0_EEES10_S11_S12_S19_S1D_S1F_T6_T7_T9_mT8_S1H_bDpT10_ENKUlT_T0_E_clISt17integral_constantIbLb0EES1U_IbLb1EEEEDaS1Q_S1R_EUlS1Q_E_NS1_11comp_targetILNS1_3genE10ELNS1_11target_archE1200ELNS1_3gpuE4ELNS1_3repE0EEENS1_30default_config_static_selectorELNS0_4arch9wavefront6targetE1EEEvS13_,@function
_ZN7rocprim17ROCPRIM_400000_NS6detail17trampoline_kernelINS0_13select_configILj256ELj13ELNS0_17block_load_methodE3ELS4_3ELS4_3ELNS0_20block_scan_algorithmE0ELj4294967295EEENS1_25partition_config_selectorILNS1_17partition_subalgoE4EjNS0_10empty_typeEbEEZZNS1_14partition_implILS8_4ELb0ES6_15HIP_vector_typeIjLj2EENS0_17counting_iteratorIjlEEPS9_SG_NS0_5tupleIJPjSI_NS0_16reverse_iteratorISI_EEEEENSH_IJSG_SG_SG_EEES9_SI_JZNS1_25segmented_radix_sort_implINS0_14default_configELb1EPK6__halfPSP_PKlPlN2at6native12_GLOBAL__N_18offset_tEEE10hipError_tPvRmT1_PNSt15iterator_traitsIS13_E10value_typeET2_T3_PNS14_IS19_E10value_typeET4_jRbjT5_S1F_jjP12ihipStream_tbEUljE_ZNSN_ISO_Lb1ESR_SS_SU_SV_SZ_EES10_S11_S12_S13_S17_S18_S19_S1C_S1D_jS1E_jS1F_S1F_jjS1H_bEUljE0_EEES10_S11_S12_S19_S1D_S1F_T6_T7_T9_mT8_S1H_bDpT10_ENKUlT_T0_E_clISt17integral_constantIbLb0EES1U_IbLb1EEEEDaS1Q_S1R_EUlS1Q_E_NS1_11comp_targetILNS1_3genE10ELNS1_11target_archE1200ELNS1_3gpuE4ELNS1_3repE0EEENS1_30default_config_static_selectorELNS0_4arch9wavefront6targetE1EEEvS13_: ; @_ZN7rocprim17ROCPRIM_400000_NS6detail17trampoline_kernelINS0_13select_configILj256ELj13ELNS0_17block_load_methodE3ELS4_3ELS4_3ELNS0_20block_scan_algorithmE0ELj4294967295EEENS1_25partition_config_selectorILNS1_17partition_subalgoE4EjNS0_10empty_typeEbEEZZNS1_14partition_implILS8_4ELb0ES6_15HIP_vector_typeIjLj2EENS0_17counting_iteratorIjlEEPS9_SG_NS0_5tupleIJPjSI_NS0_16reverse_iteratorISI_EEEEENSH_IJSG_SG_SG_EEES9_SI_JZNS1_25segmented_radix_sort_implINS0_14default_configELb1EPK6__halfPSP_PKlPlN2at6native12_GLOBAL__N_18offset_tEEE10hipError_tPvRmT1_PNSt15iterator_traitsIS13_E10value_typeET2_T3_PNS14_IS19_E10value_typeET4_jRbjT5_S1F_jjP12ihipStream_tbEUljE_ZNSN_ISO_Lb1ESR_SS_SU_SV_SZ_EES10_S11_S12_S13_S17_S18_S19_S1C_S1D_jS1E_jS1F_S1F_jjS1H_bEUljE0_EEES10_S11_S12_S19_S1D_S1F_T6_T7_T9_mT8_S1H_bDpT10_ENKUlT_T0_E_clISt17integral_constantIbLb0EES1U_IbLb1EEEEDaS1Q_S1R_EUlS1Q_E_NS1_11comp_targetILNS1_3genE10ELNS1_11target_archE1200ELNS1_3gpuE4ELNS1_3repE0EEENS1_30default_config_static_selectorELNS0_4arch9wavefront6targetE1EEEvS13_
; %bb.0:
	.section	.rodata,"a",@progbits
	.p2align	6, 0x0
	.amdhsa_kernel _ZN7rocprim17ROCPRIM_400000_NS6detail17trampoline_kernelINS0_13select_configILj256ELj13ELNS0_17block_load_methodE3ELS4_3ELS4_3ELNS0_20block_scan_algorithmE0ELj4294967295EEENS1_25partition_config_selectorILNS1_17partition_subalgoE4EjNS0_10empty_typeEbEEZZNS1_14partition_implILS8_4ELb0ES6_15HIP_vector_typeIjLj2EENS0_17counting_iteratorIjlEEPS9_SG_NS0_5tupleIJPjSI_NS0_16reverse_iteratorISI_EEEEENSH_IJSG_SG_SG_EEES9_SI_JZNS1_25segmented_radix_sort_implINS0_14default_configELb1EPK6__halfPSP_PKlPlN2at6native12_GLOBAL__N_18offset_tEEE10hipError_tPvRmT1_PNSt15iterator_traitsIS13_E10value_typeET2_T3_PNS14_IS19_E10value_typeET4_jRbjT5_S1F_jjP12ihipStream_tbEUljE_ZNSN_ISO_Lb1ESR_SS_SU_SV_SZ_EES10_S11_S12_S13_S17_S18_S19_S1C_S1D_jS1E_jS1F_S1F_jjS1H_bEUljE0_EEES10_S11_S12_S19_S1D_S1F_T6_T7_T9_mT8_S1H_bDpT10_ENKUlT_T0_E_clISt17integral_constantIbLb0EES1U_IbLb1EEEEDaS1Q_S1R_EUlS1Q_E_NS1_11comp_targetILNS1_3genE10ELNS1_11target_archE1200ELNS1_3gpuE4ELNS1_3repE0EEENS1_30default_config_static_selectorELNS0_4arch9wavefront6targetE1EEEvS13_
		.amdhsa_group_segment_fixed_size 0
		.amdhsa_private_segment_fixed_size 0
		.amdhsa_kernarg_size 184
		.amdhsa_user_sgpr_count 6
		.amdhsa_user_sgpr_private_segment_buffer 1
		.amdhsa_user_sgpr_dispatch_ptr 0
		.amdhsa_user_sgpr_queue_ptr 0
		.amdhsa_user_sgpr_kernarg_segment_ptr 1
		.amdhsa_user_sgpr_dispatch_id 0
		.amdhsa_user_sgpr_flat_scratch_init 0
		.amdhsa_user_sgpr_private_segment_size 0
		.amdhsa_uses_dynamic_stack 0
		.amdhsa_system_sgpr_private_segment_wavefront_offset 0
		.amdhsa_system_sgpr_workgroup_id_x 1
		.amdhsa_system_sgpr_workgroup_id_y 0
		.amdhsa_system_sgpr_workgroup_id_z 0
		.amdhsa_system_sgpr_workgroup_info 0
		.amdhsa_system_vgpr_workitem_id 0
		.amdhsa_next_free_vgpr 1
		.amdhsa_next_free_sgpr 0
		.amdhsa_reserve_vcc 0
		.amdhsa_reserve_flat_scratch 0
		.amdhsa_float_round_mode_32 0
		.amdhsa_float_round_mode_16_64 0
		.amdhsa_float_denorm_mode_32 3
		.amdhsa_float_denorm_mode_16_64 3
		.amdhsa_dx10_clamp 1
		.amdhsa_ieee_mode 1
		.amdhsa_fp16_overflow 0
		.amdhsa_exception_fp_ieee_invalid_op 0
		.amdhsa_exception_fp_denorm_src 0
		.amdhsa_exception_fp_ieee_div_zero 0
		.amdhsa_exception_fp_ieee_overflow 0
		.amdhsa_exception_fp_ieee_underflow 0
		.amdhsa_exception_fp_ieee_inexact 0
		.amdhsa_exception_int_div_zero 0
	.end_amdhsa_kernel
	.section	.text._ZN7rocprim17ROCPRIM_400000_NS6detail17trampoline_kernelINS0_13select_configILj256ELj13ELNS0_17block_load_methodE3ELS4_3ELS4_3ELNS0_20block_scan_algorithmE0ELj4294967295EEENS1_25partition_config_selectorILNS1_17partition_subalgoE4EjNS0_10empty_typeEbEEZZNS1_14partition_implILS8_4ELb0ES6_15HIP_vector_typeIjLj2EENS0_17counting_iteratorIjlEEPS9_SG_NS0_5tupleIJPjSI_NS0_16reverse_iteratorISI_EEEEENSH_IJSG_SG_SG_EEES9_SI_JZNS1_25segmented_radix_sort_implINS0_14default_configELb1EPK6__halfPSP_PKlPlN2at6native12_GLOBAL__N_18offset_tEEE10hipError_tPvRmT1_PNSt15iterator_traitsIS13_E10value_typeET2_T3_PNS14_IS19_E10value_typeET4_jRbjT5_S1F_jjP12ihipStream_tbEUljE_ZNSN_ISO_Lb1ESR_SS_SU_SV_SZ_EES10_S11_S12_S13_S17_S18_S19_S1C_S1D_jS1E_jS1F_S1F_jjS1H_bEUljE0_EEES10_S11_S12_S19_S1D_S1F_T6_T7_T9_mT8_S1H_bDpT10_ENKUlT_T0_E_clISt17integral_constantIbLb0EES1U_IbLb1EEEEDaS1Q_S1R_EUlS1Q_E_NS1_11comp_targetILNS1_3genE10ELNS1_11target_archE1200ELNS1_3gpuE4ELNS1_3repE0EEENS1_30default_config_static_selectorELNS0_4arch9wavefront6targetE1EEEvS13_,"axG",@progbits,_ZN7rocprim17ROCPRIM_400000_NS6detail17trampoline_kernelINS0_13select_configILj256ELj13ELNS0_17block_load_methodE3ELS4_3ELS4_3ELNS0_20block_scan_algorithmE0ELj4294967295EEENS1_25partition_config_selectorILNS1_17partition_subalgoE4EjNS0_10empty_typeEbEEZZNS1_14partition_implILS8_4ELb0ES6_15HIP_vector_typeIjLj2EENS0_17counting_iteratorIjlEEPS9_SG_NS0_5tupleIJPjSI_NS0_16reverse_iteratorISI_EEEEENSH_IJSG_SG_SG_EEES9_SI_JZNS1_25segmented_radix_sort_implINS0_14default_configELb1EPK6__halfPSP_PKlPlN2at6native12_GLOBAL__N_18offset_tEEE10hipError_tPvRmT1_PNSt15iterator_traitsIS13_E10value_typeET2_T3_PNS14_IS19_E10value_typeET4_jRbjT5_S1F_jjP12ihipStream_tbEUljE_ZNSN_ISO_Lb1ESR_SS_SU_SV_SZ_EES10_S11_S12_S13_S17_S18_S19_S1C_S1D_jS1E_jS1F_S1F_jjS1H_bEUljE0_EEES10_S11_S12_S19_S1D_S1F_T6_T7_T9_mT8_S1H_bDpT10_ENKUlT_T0_E_clISt17integral_constantIbLb0EES1U_IbLb1EEEEDaS1Q_S1R_EUlS1Q_E_NS1_11comp_targetILNS1_3genE10ELNS1_11target_archE1200ELNS1_3gpuE4ELNS1_3repE0EEENS1_30default_config_static_selectorELNS0_4arch9wavefront6targetE1EEEvS13_,comdat
.Lfunc_end1704:
	.size	_ZN7rocprim17ROCPRIM_400000_NS6detail17trampoline_kernelINS0_13select_configILj256ELj13ELNS0_17block_load_methodE3ELS4_3ELS4_3ELNS0_20block_scan_algorithmE0ELj4294967295EEENS1_25partition_config_selectorILNS1_17partition_subalgoE4EjNS0_10empty_typeEbEEZZNS1_14partition_implILS8_4ELb0ES6_15HIP_vector_typeIjLj2EENS0_17counting_iteratorIjlEEPS9_SG_NS0_5tupleIJPjSI_NS0_16reverse_iteratorISI_EEEEENSH_IJSG_SG_SG_EEES9_SI_JZNS1_25segmented_radix_sort_implINS0_14default_configELb1EPK6__halfPSP_PKlPlN2at6native12_GLOBAL__N_18offset_tEEE10hipError_tPvRmT1_PNSt15iterator_traitsIS13_E10value_typeET2_T3_PNS14_IS19_E10value_typeET4_jRbjT5_S1F_jjP12ihipStream_tbEUljE_ZNSN_ISO_Lb1ESR_SS_SU_SV_SZ_EES10_S11_S12_S13_S17_S18_S19_S1C_S1D_jS1E_jS1F_S1F_jjS1H_bEUljE0_EEES10_S11_S12_S19_S1D_S1F_T6_T7_T9_mT8_S1H_bDpT10_ENKUlT_T0_E_clISt17integral_constantIbLb0EES1U_IbLb1EEEEDaS1Q_S1R_EUlS1Q_E_NS1_11comp_targetILNS1_3genE10ELNS1_11target_archE1200ELNS1_3gpuE4ELNS1_3repE0EEENS1_30default_config_static_selectorELNS0_4arch9wavefront6targetE1EEEvS13_, .Lfunc_end1704-_ZN7rocprim17ROCPRIM_400000_NS6detail17trampoline_kernelINS0_13select_configILj256ELj13ELNS0_17block_load_methodE3ELS4_3ELS4_3ELNS0_20block_scan_algorithmE0ELj4294967295EEENS1_25partition_config_selectorILNS1_17partition_subalgoE4EjNS0_10empty_typeEbEEZZNS1_14partition_implILS8_4ELb0ES6_15HIP_vector_typeIjLj2EENS0_17counting_iteratorIjlEEPS9_SG_NS0_5tupleIJPjSI_NS0_16reverse_iteratorISI_EEEEENSH_IJSG_SG_SG_EEES9_SI_JZNS1_25segmented_radix_sort_implINS0_14default_configELb1EPK6__halfPSP_PKlPlN2at6native12_GLOBAL__N_18offset_tEEE10hipError_tPvRmT1_PNSt15iterator_traitsIS13_E10value_typeET2_T3_PNS14_IS19_E10value_typeET4_jRbjT5_S1F_jjP12ihipStream_tbEUljE_ZNSN_ISO_Lb1ESR_SS_SU_SV_SZ_EES10_S11_S12_S13_S17_S18_S19_S1C_S1D_jS1E_jS1F_S1F_jjS1H_bEUljE0_EEES10_S11_S12_S19_S1D_S1F_T6_T7_T9_mT8_S1H_bDpT10_ENKUlT_T0_E_clISt17integral_constantIbLb0EES1U_IbLb1EEEEDaS1Q_S1R_EUlS1Q_E_NS1_11comp_targetILNS1_3genE10ELNS1_11target_archE1200ELNS1_3gpuE4ELNS1_3repE0EEENS1_30default_config_static_selectorELNS0_4arch9wavefront6targetE1EEEvS13_
                                        ; -- End function
	.set _ZN7rocprim17ROCPRIM_400000_NS6detail17trampoline_kernelINS0_13select_configILj256ELj13ELNS0_17block_load_methodE3ELS4_3ELS4_3ELNS0_20block_scan_algorithmE0ELj4294967295EEENS1_25partition_config_selectorILNS1_17partition_subalgoE4EjNS0_10empty_typeEbEEZZNS1_14partition_implILS8_4ELb0ES6_15HIP_vector_typeIjLj2EENS0_17counting_iteratorIjlEEPS9_SG_NS0_5tupleIJPjSI_NS0_16reverse_iteratorISI_EEEEENSH_IJSG_SG_SG_EEES9_SI_JZNS1_25segmented_radix_sort_implINS0_14default_configELb1EPK6__halfPSP_PKlPlN2at6native12_GLOBAL__N_18offset_tEEE10hipError_tPvRmT1_PNSt15iterator_traitsIS13_E10value_typeET2_T3_PNS14_IS19_E10value_typeET4_jRbjT5_S1F_jjP12ihipStream_tbEUljE_ZNSN_ISO_Lb1ESR_SS_SU_SV_SZ_EES10_S11_S12_S13_S17_S18_S19_S1C_S1D_jS1E_jS1F_S1F_jjS1H_bEUljE0_EEES10_S11_S12_S19_S1D_S1F_T6_T7_T9_mT8_S1H_bDpT10_ENKUlT_T0_E_clISt17integral_constantIbLb0EES1U_IbLb1EEEEDaS1Q_S1R_EUlS1Q_E_NS1_11comp_targetILNS1_3genE10ELNS1_11target_archE1200ELNS1_3gpuE4ELNS1_3repE0EEENS1_30default_config_static_selectorELNS0_4arch9wavefront6targetE1EEEvS13_.num_vgpr, 0
	.set _ZN7rocprim17ROCPRIM_400000_NS6detail17trampoline_kernelINS0_13select_configILj256ELj13ELNS0_17block_load_methodE3ELS4_3ELS4_3ELNS0_20block_scan_algorithmE0ELj4294967295EEENS1_25partition_config_selectorILNS1_17partition_subalgoE4EjNS0_10empty_typeEbEEZZNS1_14partition_implILS8_4ELb0ES6_15HIP_vector_typeIjLj2EENS0_17counting_iteratorIjlEEPS9_SG_NS0_5tupleIJPjSI_NS0_16reverse_iteratorISI_EEEEENSH_IJSG_SG_SG_EEES9_SI_JZNS1_25segmented_radix_sort_implINS0_14default_configELb1EPK6__halfPSP_PKlPlN2at6native12_GLOBAL__N_18offset_tEEE10hipError_tPvRmT1_PNSt15iterator_traitsIS13_E10value_typeET2_T3_PNS14_IS19_E10value_typeET4_jRbjT5_S1F_jjP12ihipStream_tbEUljE_ZNSN_ISO_Lb1ESR_SS_SU_SV_SZ_EES10_S11_S12_S13_S17_S18_S19_S1C_S1D_jS1E_jS1F_S1F_jjS1H_bEUljE0_EEES10_S11_S12_S19_S1D_S1F_T6_T7_T9_mT8_S1H_bDpT10_ENKUlT_T0_E_clISt17integral_constantIbLb0EES1U_IbLb1EEEEDaS1Q_S1R_EUlS1Q_E_NS1_11comp_targetILNS1_3genE10ELNS1_11target_archE1200ELNS1_3gpuE4ELNS1_3repE0EEENS1_30default_config_static_selectorELNS0_4arch9wavefront6targetE1EEEvS13_.num_agpr, 0
	.set _ZN7rocprim17ROCPRIM_400000_NS6detail17trampoline_kernelINS0_13select_configILj256ELj13ELNS0_17block_load_methodE3ELS4_3ELS4_3ELNS0_20block_scan_algorithmE0ELj4294967295EEENS1_25partition_config_selectorILNS1_17partition_subalgoE4EjNS0_10empty_typeEbEEZZNS1_14partition_implILS8_4ELb0ES6_15HIP_vector_typeIjLj2EENS0_17counting_iteratorIjlEEPS9_SG_NS0_5tupleIJPjSI_NS0_16reverse_iteratorISI_EEEEENSH_IJSG_SG_SG_EEES9_SI_JZNS1_25segmented_radix_sort_implINS0_14default_configELb1EPK6__halfPSP_PKlPlN2at6native12_GLOBAL__N_18offset_tEEE10hipError_tPvRmT1_PNSt15iterator_traitsIS13_E10value_typeET2_T3_PNS14_IS19_E10value_typeET4_jRbjT5_S1F_jjP12ihipStream_tbEUljE_ZNSN_ISO_Lb1ESR_SS_SU_SV_SZ_EES10_S11_S12_S13_S17_S18_S19_S1C_S1D_jS1E_jS1F_S1F_jjS1H_bEUljE0_EEES10_S11_S12_S19_S1D_S1F_T6_T7_T9_mT8_S1H_bDpT10_ENKUlT_T0_E_clISt17integral_constantIbLb0EES1U_IbLb1EEEEDaS1Q_S1R_EUlS1Q_E_NS1_11comp_targetILNS1_3genE10ELNS1_11target_archE1200ELNS1_3gpuE4ELNS1_3repE0EEENS1_30default_config_static_selectorELNS0_4arch9wavefront6targetE1EEEvS13_.numbered_sgpr, 0
	.set _ZN7rocprim17ROCPRIM_400000_NS6detail17trampoline_kernelINS0_13select_configILj256ELj13ELNS0_17block_load_methodE3ELS4_3ELS4_3ELNS0_20block_scan_algorithmE0ELj4294967295EEENS1_25partition_config_selectorILNS1_17partition_subalgoE4EjNS0_10empty_typeEbEEZZNS1_14partition_implILS8_4ELb0ES6_15HIP_vector_typeIjLj2EENS0_17counting_iteratorIjlEEPS9_SG_NS0_5tupleIJPjSI_NS0_16reverse_iteratorISI_EEEEENSH_IJSG_SG_SG_EEES9_SI_JZNS1_25segmented_radix_sort_implINS0_14default_configELb1EPK6__halfPSP_PKlPlN2at6native12_GLOBAL__N_18offset_tEEE10hipError_tPvRmT1_PNSt15iterator_traitsIS13_E10value_typeET2_T3_PNS14_IS19_E10value_typeET4_jRbjT5_S1F_jjP12ihipStream_tbEUljE_ZNSN_ISO_Lb1ESR_SS_SU_SV_SZ_EES10_S11_S12_S13_S17_S18_S19_S1C_S1D_jS1E_jS1F_S1F_jjS1H_bEUljE0_EEES10_S11_S12_S19_S1D_S1F_T6_T7_T9_mT8_S1H_bDpT10_ENKUlT_T0_E_clISt17integral_constantIbLb0EES1U_IbLb1EEEEDaS1Q_S1R_EUlS1Q_E_NS1_11comp_targetILNS1_3genE10ELNS1_11target_archE1200ELNS1_3gpuE4ELNS1_3repE0EEENS1_30default_config_static_selectorELNS0_4arch9wavefront6targetE1EEEvS13_.num_named_barrier, 0
	.set _ZN7rocprim17ROCPRIM_400000_NS6detail17trampoline_kernelINS0_13select_configILj256ELj13ELNS0_17block_load_methodE3ELS4_3ELS4_3ELNS0_20block_scan_algorithmE0ELj4294967295EEENS1_25partition_config_selectorILNS1_17partition_subalgoE4EjNS0_10empty_typeEbEEZZNS1_14partition_implILS8_4ELb0ES6_15HIP_vector_typeIjLj2EENS0_17counting_iteratorIjlEEPS9_SG_NS0_5tupleIJPjSI_NS0_16reverse_iteratorISI_EEEEENSH_IJSG_SG_SG_EEES9_SI_JZNS1_25segmented_radix_sort_implINS0_14default_configELb1EPK6__halfPSP_PKlPlN2at6native12_GLOBAL__N_18offset_tEEE10hipError_tPvRmT1_PNSt15iterator_traitsIS13_E10value_typeET2_T3_PNS14_IS19_E10value_typeET4_jRbjT5_S1F_jjP12ihipStream_tbEUljE_ZNSN_ISO_Lb1ESR_SS_SU_SV_SZ_EES10_S11_S12_S13_S17_S18_S19_S1C_S1D_jS1E_jS1F_S1F_jjS1H_bEUljE0_EEES10_S11_S12_S19_S1D_S1F_T6_T7_T9_mT8_S1H_bDpT10_ENKUlT_T0_E_clISt17integral_constantIbLb0EES1U_IbLb1EEEEDaS1Q_S1R_EUlS1Q_E_NS1_11comp_targetILNS1_3genE10ELNS1_11target_archE1200ELNS1_3gpuE4ELNS1_3repE0EEENS1_30default_config_static_selectorELNS0_4arch9wavefront6targetE1EEEvS13_.private_seg_size, 0
	.set _ZN7rocprim17ROCPRIM_400000_NS6detail17trampoline_kernelINS0_13select_configILj256ELj13ELNS0_17block_load_methodE3ELS4_3ELS4_3ELNS0_20block_scan_algorithmE0ELj4294967295EEENS1_25partition_config_selectorILNS1_17partition_subalgoE4EjNS0_10empty_typeEbEEZZNS1_14partition_implILS8_4ELb0ES6_15HIP_vector_typeIjLj2EENS0_17counting_iteratorIjlEEPS9_SG_NS0_5tupleIJPjSI_NS0_16reverse_iteratorISI_EEEEENSH_IJSG_SG_SG_EEES9_SI_JZNS1_25segmented_radix_sort_implINS0_14default_configELb1EPK6__halfPSP_PKlPlN2at6native12_GLOBAL__N_18offset_tEEE10hipError_tPvRmT1_PNSt15iterator_traitsIS13_E10value_typeET2_T3_PNS14_IS19_E10value_typeET4_jRbjT5_S1F_jjP12ihipStream_tbEUljE_ZNSN_ISO_Lb1ESR_SS_SU_SV_SZ_EES10_S11_S12_S13_S17_S18_S19_S1C_S1D_jS1E_jS1F_S1F_jjS1H_bEUljE0_EEES10_S11_S12_S19_S1D_S1F_T6_T7_T9_mT8_S1H_bDpT10_ENKUlT_T0_E_clISt17integral_constantIbLb0EES1U_IbLb1EEEEDaS1Q_S1R_EUlS1Q_E_NS1_11comp_targetILNS1_3genE10ELNS1_11target_archE1200ELNS1_3gpuE4ELNS1_3repE0EEENS1_30default_config_static_selectorELNS0_4arch9wavefront6targetE1EEEvS13_.uses_vcc, 0
	.set _ZN7rocprim17ROCPRIM_400000_NS6detail17trampoline_kernelINS0_13select_configILj256ELj13ELNS0_17block_load_methodE3ELS4_3ELS4_3ELNS0_20block_scan_algorithmE0ELj4294967295EEENS1_25partition_config_selectorILNS1_17partition_subalgoE4EjNS0_10empty_typeEbEEZZNS1_14partition_implILS8_4ELb0ES6_15HIP_vector_typeIjLj2EENS0_17counting_iteratorIjlEEPS9_SG_NS0_5tupleIJPjSI_NS0_16reverse_iteratorISI_EEEEENSH_IJSG_SG_SG_EEES9_SI_JZNS1_25segmented_radix_sort_implINS0_14default_configELb1EPK6__halfPSP_PKlPlN2at6native12_GLOBAL__N_18offset_tEEE10hipError_tPvRmT1_PNSt15iterator_traitsIS13_E10value_typeET2_T3_PNS14_IS19_E10value_typeET4_jRbjT5_S1F_jjP12ihipStream_tbEUljE_ZNSN_ISO_Lb1ESR_SS_SU_SV_SZ_EES10_S11_S12_S13_S17_S18_S19_S1C_S1D_jS1E_jS1F_S1F_jjS1H_bEUljE0_EEES10_S11_S12_S19_S1D_S1F_T6_T7_T9_mT8_S1H_bDpT10_ENKUlT_T0_E_clISt17integral_constantIbLb0EES1U_IbLb1EEEEDaS1Q_S1R_EUlS1Q_E_NS1_11comp_targetILNS1_3genE10ELNS1_11target_archE1200ELNS1_3gpuE4ELNS1_3repE0EEENS1_30default_config_static_selectorELNS0_4arch9wavefront6targetE1EEEvS13_.uses_flat_scratch, 0
	.set _ZN7rocprim17ROCPRIM_400000_NS6detail17trampoline_kernelINS0_13select_configILj256ELj13ELNS0_17block_load_methodE3ELS4_3ELS4_3ELNS0_20block_scan_algorithmE0ELj4294967295EEENS1_25partition_config_selectorILNS1_17partition_subalgoE4EjNS0_10empty_typeEbEEZZNS1_14partition_implILS8_4ELb0ES6_15HIP_vector_typeIjLj2EENS0_17counting_iteratorIjlEEPS9_SG_NS0_5tupleIJPjSI_NS0_16reverse_iteratorISI_EEEEENSH_IJSG_SG_SG_EEES9_SI_JZNS1_25segmented_radix_sort_implINS0_14default_configELb1EPK6__halfPSP_PKlPlN2at6native12_GLOBAL__N_18offset_tEEE10hipError_tPvRmT1_PNSt15iterator_traitsIS13_E10value_typeET2_T3_PNS14_IS19_E10value_typeET4_jRbjT5_S1F_jjP12ihipStream_tbEUljE_ZNSN_ISO_Lb1ESR_SS_SU_SV_SZ_EES10_S11_S12_S13_S17_S18_S19_S1C_S1D_jS1E_jS1F_S1F_jjS1H_bEUljE0_EEES10_S11_S12_S19_S1D_S1F_T6_T7_T9_mT8_S1H_bDpT10_ENKUlT_T0_E_clISt17integral_constantIbLb0EES1U_IbLb1EEEEDaS1Q_S1R_EUlS1Q_E_NS1_11comp_targetILNS1_3genE10ELNS1_11target_archE1200ELNS1_3gpuE4ELNS1_3repE0EEENS1_30default_config_static_selectorELNS0_4arch9wavefront6targetE1EEEvS13_.has_dyn_sized_stack, 0
	.set _ZN7rocprim17ROCPRIM_400000_NS6detail17trampoline_kernelINS0_13select_configILj256ELj13ELNS0_17block_load_methodE3ELS4_3ELS4_3ELNS0_20block_scan_algorithmE0ELj4294967295EEENS1_25partition_config_selectorILNS1_17partition_subalgoE4EjNS0_10empty_typeEbEEZZNS1_14partition_implILS8_4ELb0ES6_15HIP_vector_typeIjLj2EENS0_17counting_iteratorIjlEEPS9_SG_NS0_5tupleIJPjSI_NS0_16reverse_iteratorISI_EEEEENSH_IJSG_SG_SG_EEES9_SI_JZNS1_25segmented_radix_sort_implINS0_14default_configELb1EPK6__halfPSP_PKlPlN2at6native12_GLOBAL__N_18offset_tEEE10hipError_tPvRmT1_PNSt15iterator_traitsIS13_E10value_typeET2_T3_PNS14_IS19_E10value_typeET4_jRbjT5_S1F_jjP12ihipStream_tbEUljE_ZNSN_ISO_Lb1ESR_SS_SU_SV_SZ_EES10_S11_S12_S13_S17_S18_S19_S1C_S1D_jS1E_jS1F_S1F_jjS1H_bEUljE0_EEES10_S11_S12_S19_S1D_S1F_T6_T7_T9_mT8_S1H_bDpT10_ENKUlT_T0_E_clISt17integral_constantIbLb0EES1U_IbLb1EEEEDaS1Q_S1R_EUlS1Q_E_NS1_11comp_targetILNS1_3genE10ELNS1_11target_archE1200ELNS1_3gpuE4ELNS1_3repE0EEENS1_30default_config_static_selectorELNS0_4arch9wavefront6targetE1EEEvS13_.has_recursion, 0
	.set _ZN7rocprim17ROCPRIM_400000_NS6detail17trampoline_kernelINS0_13select_configILj256ELj13ELNS0_17block_load_methodE3ELS4_3ELS4_3ELNS0_20block_scan_algorithmE0ELj4294967295EEENS1_25partition_config_selectorILNS1_17partition_subalgoE4EjNS0_10empty_typeEbEEZZNS1_14partition_implILS8_4ELb0ES6_15HIP_vector_typeIjLj2EENS0_17counting_iteratorIjlEEPS9_SG_NS0_5tupleIJPjSI_NS0_16reverse_iteratorISI_EEEEENSH_IJSG_SG_SG_EEES9_SI_JZNS1_25segmented_radix_sort_implINS0_14default_configELb1EPK6__halfPSP_PKlPlN2at6native12_GLOBAL__N_18offset_tEEE10hipError_tPvRmT1_PNSt15iterator_traitsIS13_E10value_typeET2_T3_PNS14_IS19_E10value_typeET4_jRbjT5_S1F_jjP12ihipStream_tbEUljE_ZNSN_ISO_Lb1ESR_SS_SU_SV_SZ_EES10_S11_S12_S13_S17_S18_S19_S1C_S1D_jS1E_jS1F_S1F_jjS1H_bEUljE0_EEES10_S11_S12_S19_S1D_S1F_T6_T7_T9_mT8_S1H_bDpT10_ENKUlT_T0_E_clISt17integral_constantIbLb0EES1U_IbLb1EEEEDaS1Q_S1R_EUlS1Q_E_NS1_11comp_targetILNS1_3genE10ELNS1_11target_archE1200ELNS1_3gpuE4ELNS1_3repE0EEENS1_30default_config_static_selectorELNS0_4arch9wavefront6targetE1EEEvS13_.has_indirect_call, 0
	.section	.AMDGPU.csdata,"",@progbits
; Kernel info:
; codeLenInByte = 0
; TotalNumSgprs: 4
; NumVgprs: 0
; ScratchSize: 0
; MemoryBound: 0
; FloatMode: 240
; IeeeMode: 1
; LDSByteSize: 0 bytes/workgroup (compile time only)
; SGPRBlocks: 0
; VGPRBlocks: 0
; NumSGPRsForWavesPerEU: 4
; NumVGPRsForWavesPerEU: 1
; Occupancy: 10
; WaveLimiterHint : 0
; COMPUTE_PGM_RSRC2:SCRATCH_EN: 0
; COMPUTE_PGM_RSRC2:USER_SGPR: 6
; COMPUTE_PGM_RSRC2:TRAP_HANDLER: 0
; COMPUTE_PGM_RSRC2:TGID_X_EN: 1
; COMPUTE_PGM_RSRC2:TGID_Y_EN: 0
; COMPUTE_PGM_RSRC2:TGID_Z_EN: 0
; COMPUTE_PGM_RSRC2:TIDIG_COMP_CNT: 0
	.section	.text._ZN7rocprim17ROCPRIM_400000_NS6detail17trampoline_kernelINS0_13select_configILj256ELj13ELNS0_17block_load_methodE3ELS4_3ELS4_3ELNS0_20block_scan_algorithmE0ELj4294967295EEENS1_25partition_config_selectorILNS1_17partition_subalgoE4EjNS0_10empty_typeEbEEZZNS1_14partition_implILS8_4ELb0ES6_15HIP_vector_typeIjLj2EENS0_17counting_iteratorIjlEEPS9_SG_NS0_5tupleIJPjSI_NS0_16reverse_iteratorISI_EEEEENSH_IJSG_SG_SG_EEES9_SI_JZNS1_25segmented_radix_sort_implINS0_14default_configELb1EPK6__halfPSP_PKlPlN2at6native12_GLOBAL__N_18offset_tEEE10hipError_tPvRmT1_PNSt15iterator_traitsIS13_E10value_typeET2_T3_PNS14_IS19_E10value_typeET4_jRbjT5_S1F_jjP12ihipStream_tbEUljE_ZNSN_ISO_Lb1ESR_SS_SU_SV_SZ_EES10_S11_S12_S13_S17_S18_S19_S1C_S1D_jS1E_jS1F_S1F_jjS1H_bEUljE0_EEES10_S11_S12_S19_S1D_S1F_T6_T7_T9_mT8_S1H_bDpT10_ENKUlT_T0_E_clISt17integral_constantIbLb0EES1U_IbLb1EEEEDaS1Q_S1R_EUlS1Q_E_NS1_11comp_targetILNS1_3genE9ELNS1_11target_archE1100ELNS1_3gpuE3ELNS1_3repE0EEENS1_30default_config_static_selectorELNS0_4arch9wavefront6targetE1EEEvS13_,"axG",@progbits,_ZN7rocprim17ROCPRIM_400000_NS6detail17trampoline_kernelINS0_13select_configILj256ELj13ELNS0_17block_load_methodE3ELS4_3ELS4_3ELNS0_20block_scan_algorithmE0ELj4294967295EEENS1_25partition_config_selectorILNS1_17partition_subalgoE4EjNS0_10empty_typeEbEEZZNS1_14partition_implILS8_4ELb0ES6_15HIP_vector_typeIjLj2EENS0_17counting_iteratorIjlEEPS9_SG_NS0_5tupleIJPjSI_NS0_16reverse_iteratorISI_EEEEENSH_IJSG_SG_SG_EEES9_SI_JZNS1_25segmented_radix_sort_implINS0_14default_configELb1EPK6__halfPSP_PKlPlN2at6native12_GLOBAL__N_18offset_tEEE10hipError_tPvRmT1_PNSt15iterator_traitsIS13_E10value_typeET2_T3_PNS14_IS19_E10value_typeET4_jRbjT5_S1F_jjP12ihipStream_tbEUljE_ZNSN_ISO_Lb1ESR_SS_SU_SV_SZ_EES10_S11_S12_S13_S17_S18_S19_S1C_S1D_jS1E_jS1F_S1F_jjS1H_bEUljE0_EEES10_S11_S12_S19_S1D_S1F_T6_T7_T9_mT8_S1H_bDpT10_ENKUlT_T0_E_clISt17integral_constantIbLb0EES1U_IbLb1EEEEDaS1Q_S1R_EUlS1Q_E_NS1_11comp_targetILNS1_3genE9ELNS1_11target_archE1100ELNS1_3gpuE3ELNS1_3repE0EEENS1_30default_config_static_selectorELNS0_4arch9wavefront6targetE1EEEvS13_,comdat
	.globl	_ZN7rocprim17ROCPRIM_400000_NS6detail17trampoline_kernelINS0_13select_configILj256ELj13ELNS0_17block_load_methodE3ELS4_3ELS4_3ELNS0_20block_scan_algorithmE0ELj4294967295EEENS1_25partition_config_selectorILNS1_17partition_subalgoE4EjNS0_10empty_typeEbEEZZNS1_14partition_implILS8_4ELb0ES6_15HIP_vector_typeIjLj2EENS0_17counting_iteratorIjlEEPS9_SG_NS0_5tupleIJPjSI_NS0_16reverse_iteratorISI_EEEEENSH_IJSG_SG_SG_EEES9_SI_JZNS1_25segmented_radix_sort_implINS0_14default_configELb1EPK6__halfPSP_PKlPlN2at6native12_GLOBAL__N_18offset_tEEE10hipError_tPvRmT1_PNSt15iterator_traitsIS13_E10value_typeET2_T3_PNS14_IS19_E10value_typeET4_jRbjT5_S1F_jjP12ihipStream_tbEUljE_ZNSN_ISO_Lb1ESR_SS_SU_SV_SZ_EES10_S11_S12_S13_S17_S18_S19_S1C_S1D_jS1E_jS1F_S1F_jjS1H_bEUljE0_EEES10_S11_S12_S19_S1D_S1F_T6_T7_T9_mT8_S1H_bDpT10_ENKUlT_T0_E_clISt17integral_constantIbLb0EES1U_IbLb1EEEEDaS1Q_S1R_EUlS1Q_E_NS1_11comp_targetILNS1_3genE9ELNS1_11target_archE1100ELNS1_3gpuE3ELNS1_3repE0EEENS1_30default_config_static_selectorELNS0_4arch9wavefront6targetE1EEEvS13_ ; -- Begin function _ZN7rocprim17ROCPRIM_400000_NS6detail17trampoline_kernelINS0_13select_configILj256ELj13ELNS0_17block_load_methodE3ELS4_3ELS4_3ELNS0_20block_scan_algorithmE0ELj4294967295EEENS1_25partition_config_selectorILNS1_17partition_subalgoE4EjNS0_10empty_typeEbEEZZNS1_14partition_implILS8_4ELb0ES6_15HIP_vector_typeIjLj2EENS0_17counting_iteratorIjlEEPS9_SG_NS0_5tupleIJPjSI_NS0_16reverse_iteratorISI_EEEEENSH_IJSG_SG_SG_EEES9_SI_JZNS1_25segmented_radix_sort_implINS0_14default_configELb1EPK6__halfPSP_PKlPlN2at6native12_GLOBAL__N_18offset_tEEE10hipError_tPvRmT1_PNSt15iterator_traitsIS13_E10value_typeET2_T3_PNS14_IS19_E10value_typeET4_jRbjT5_S1F_jjP12ihipStream_tbEUljE_ZNSN_ISO_Lb1ESR_SS_SU_SV_SZ_EES10_S11_S12_S13_S17_S18_S19_S1C_S1D_jS1E_jS1F_S1F_jjS1H_bEUljE0_EEES10_S11_S12_S19_S1D_S1F_T6_T7_T9_mT8_S1H_bDpT10_ENKUlT_T0_E_clISt17integral_constantIbLb0EES1U_IbLb1EEEEDaS1Q_S1R_EUlS1Q_E_NS1_11comp_targetILNS1_3genE9ELNS1_11target_archE1100ELNS1_3gpuE3ELNS1_3repE0EEENS1_30default_config_static_selectorELNS0_4arch9wavefront6targetE1EEEvS13_
	.p2align	8
	.type	_ZN7rocprim17ROCPRIM_400000_NS6detail17trampoline_kernelINS0_13select_configILj256ELj13ELNS0_17block_load_methodE3ELS4_3ELS4_3ELNS0_20block_scan_algorithmE0ELj4294967295EEENS1_25partition_config_selectorILNS1_17partition_subalgoE4EjNS0_10empty_typeEbEEZZNS1_14partition_implILS8_4ELb0ES6_15HIP_vector_typeIjLj2EENS0_17counting_iteratorIjlEEPS9_SG_NS0_5tupleIJPjSI_NS0_16reverse_iteratorISI_EEEEENSH_IJSG_SG_SG_EEES9_SI_JZNS1_25segmented_radix_sort_implINS0_14default_configELb1EPK6__halfPSP_PKlPlN2at6native12_GLOBAL__N_18offset_tEEE10hipError_tPvRmT1_PNSt15iterator_traitsIS13_E10value_typeET2_T3_PNS14_IS19_E10value_typeET4_jRbjT5_S1F_jjP12ihipStream_tbEUljE_ZNSN_ISO_Lb1ESR_SS_SU_SV_SZ_EES10_S11_S12_S13_S17_S18_S19_S1C_S1D_jS1E_jS1F_S1F_jjS1H_bEUljE0_EEES10_S11_S12_S19_S1D_S1F_T6_T7_T9_mT8_S1H_bDpT10_ENKUlT_T0_E_clISt17integral_constantIbLb0EES1U_IbLb1EEEEDaS1Q_S1R_EUlS1Q_E_NS1_11comp_targetILNS1_3genE9ELNS1_11target_archE1100ELNS1_3gpuE3ELNS1_3repE0EEENS1_30default_config_static_selectorELNS0_4arch9wavefront6targetE1EEEvS13_,@function
_ZN7rocprim17ROCPRIM_400000_NS6detail17trampoline_kernelINS0_13select_configILj256ELj13ELNS0_17block_load_methodE3ELS4_3ELS4_3ELNS0_20block_scan_algorithmE0ELj4294967295EEENS1_25partition_config_selectorILNS1_17partition_subalgoE4EjNS0_10empty_typeEbEEZZNS1_14partition_implILS8_4ELb0ES6_15HIP_vector_typeIjLj2EENS0_17counting_iteratorIjlEEPS9_SG_NS0_5tupleIJPjSI_NS0_16reverse_iteratorISI_EEEEENSH_IJSG_SG_SG_EEES9_SI_JZNS1_25segmented_radix_sort_implINS0_14default_configELb1EPK6__halfPSP_PKlPlN2at6native12_GLOBAL__N_18offset_tEEE10hipError_tPvRmT1_PNSt15iterator_traitsIS13_E10value_typeET2_T3_PNS14_IS19_E10value_typeET4_jRbjT5_S1F_jjP12ihipStream_tbEUljE_ZNSN_ISO_Lb1ESR_SS_SU_SV_SZ_EES10_S11_S12_S13_S17_S18_S19_S1C_S1D_jS1E_jS1F_S1F_jjS1H_bEUljE0_EEES10_S11_S12_S19_S1D_S1F_T6_T7_T9_mT8_S1H_bDpT10_ENKUlT_T0_E_clISt17integral_constantIbLb0EES1U_IbLb1EEEEDaS1Q_S1R_EUlS1Q_E_NS1_11comp_targetILNS1_3genE9ELNS1_11target_archE1100ELNS1_3gpuE3ELNS1_3repE0EEENS1_30default_config_static_selectorELNS0_4arch9wavefront6targetE1EEEvS13_: ; @_ZN7rocprim17ROCPRIM_400000_NS6detail17trampoline_kernelINS0_13select_configILj256ELj13ELNS0_17block_load_methodE3ELS4_3ELS4_3ELNS0_20block_scan_algorithmE0ELj4294967295EEENS1_25partition_config_selectorILNS1_17partition_subalgoE4EjNS0_10empty_typeEbEEZZNS1_14partition_implILS8_4ELb0ES6_15HIP_vector_typeIjLj2EENS0_17counting_iteratorIjlEEPS9_SG_NS0_5tupleIJPjSI_NS0_16reverse_iteratorISI_EEEEENSH_IJSG_SG_SG_EEES9_SI_JZNS1_25segmented_radix_sort_implINS0_14default_configELb1EPK6__halfPSP_PKlPlN2at6native12_GLOBAL__N_18offset_tEEE10hipError_tPvRmT1_PNSt15iterator_traitsIS13_E10value_typeET2_T3_PNS14_IS19_E10value_typeET4_jRbjT5_S1F_jjP12ihipStream_tbEUljE_ZNSN_ISO_Lb1ESR_SS_SU_SV_SZ_EES10_S11_S12_S13_S17_S18_S19_S1C_S1D_jS1E_jS1F_S1F_jjS1H_bEUljE0_EEES10_S11_S12_S19_S1D_S1F_T6_T7_T9_mT8_S1H_bDpT10_ENKUlT_T0_E_clISt17integral_constantIbLb0EES1U_IbLb1EEEEDaS1Q_S1R_EUlS1Q_E_NS1_11comp_targetILNS1_3genE9ELNS1_11target_archE1100ELNS1_3gpuE3ELNS1_3repE0EEENS1_30default_config_static_selectorELNS0_4arch9wavefront6targetE1EEEvS13_
; %bb.0:
	.section	.rodata,"a",@progbits
	.p2align	6, 0x0
	.amdhsa_kernel _ZN7rocprim17ROCPRIM_400000_NS6detail17trampoline_kernelINS0_13select_configILj256ELj13ELNS0_17block_load_methodE3ELS4_3ELS4_3ELNS0_20block_scan_algorithmE0ELj4294967295EEENS1_25partition_config_selectorILNS1_17partition_subalgoE4EjNS0_10empty_typeEbEEZZNS1_14partition_implILS8_4ELb0ES6_15HIP_vector_typeIjLj2EENS0_17counting_iteratorIjlEEPS9_SG_NS0_5tupleIJPjSI_NS0_16reverse_iteratorISI_EEEEENSH_IJSG_SG_SG_EEES9_SI_JZNS1_25segmented_radix_sort_implINS0_14default_configELb1EPK6__halfPSP_PKlPlN2at6native12_GLOBAL__N_18offset_tEEE10hipError_tPvRmT1_PNSt15iterator_traitsIS13_E10value_typeET2_T3_PNS14_IS19_E10value_typeET4_jRbjT5_S1F_jjP12ihipStream_tbEUljE_ZNSN_ISO_Lb1ESR_SS_SU_SV_SZ_EES10_S11_S12_S13_S17_S18_S19_S1C_S1D_jS1E_jS1F_S1F_jjS1H_bEUljE0_EEES10_S11_S12_S19_S1D_S1F_T6_T7_T9_mT8_S1H_bDpT10_ENKUlT_T0_E_clISt17integral_constantIbLb0EES1U_IbLb1EEEEDaS1Q_S1R_EUlS1Q_E_NS1_11comp_targetILNS1_3genE9ELNS1_11target_archE1100ELNS1_3gpuE3ELNS1_3repE0EEENS1_30default_config_static_selectorELNS0_4arch9wavefront6targetE1EEEvS13_
		.amdhsa_group_segment_fixed_size 0
		.amdhsa_private_segment_fixed_size 0
		.amdhsa_kernarg_size 184
		.amdhsa_user_sgpr_count 6
		.amdhsa_user_sgpr_private_segment_buffer 1
		.amdhsa_user_sgpr_dispatch_ptr 0
		.amdhsa_user_sgpr_queue_ptr 0
		.amdhsa_user_sgpr_kernarg_segment_ptr 1
		.amdhsa_user_sgpr_dispatch_id 0
		.amdhsa_user_sgpr_flat_scratch_init 0
		.amdhsa_user_sgpr_private_segment_size 0
		.amdhsa_uses_dynamic_stack 0
		.amdhsa_system_sgpr_private_segment_wavefront_offset 0
		.amdhsa_system_sgpr_workgroup_id_x 1
		.amdhsa_system_sgpr_workgroup_id_y 0
		.amdhsa_system_sgpr_workgroup_id_z 0
		.amdhsa_system_sgpr_workgroup_info 0
		.amdhsa_system_vgpr_workitem_id 0
		.amdhsa_next_free_vgpr 1
		.amdhsa_next_free_sgpr 0
		.amdhsa_reserve_vcc 0
		.amdhsa_reserve_flat_scratch 0
		.amdhsa_float_round_mode_32 0
		.amdhsa_float_round_mode_16_64 0
		.amdhsa_float_denorm_mode_32 3
		.amdhsa_float_denorm_mode_16_64 3
		.amdhsa_dx10_clamp 1
		.amdhsa_ieee_mode 1
		.amdhsa_fp16_overflow 0
		.amdhsa_exception_fp_ieee_invalid_op 0
		.amdhsa_exception_fp_denorm_src 0
		.amdhsa_exception_fp_ieee_div_zero 0
		.amdhsa_exception_fp_ieee_overflow 0
		.amdhsa_exception_fp_ieee_underflow 0
		.amdhsa_exception_fp_ieee_inexact 0
		.amdhsa_exception_int_div_zero 0
	.end_amdhsa_kernel
	.section	.text._ZN7rocprim17ROCPRIM_400000_NS6detail17trampoline_kernelINS0_13select_configILj256ELj13ELNS0_17block_load_methodE3ELS4_3ELS4_3ELNS0_20block_scan_algorithmE0ELj4294967295EEENS1_25partition_config_selectorILNS1_17partition_subalgoE4EjNS0_10empty_typeEbEEZZNS1_14partition_implILS8_4ELb0ES6_15HIP_vector_typeIjLj2EENS0_17counting_iteratorIjlEEPS9_SG_NS0_5tupleIJPjSI_NS0_16reverse_iteratorISI_EEEEENSH_IJSG_SG_SG_EEES9_SI_JZNS1_25segmented_radix_sort_implINS0_14default_configELb1EPK6__halfPSP_PKlPlN2at6native12_GLOBAL__N_18offset_tEEE10hipError_tPvRmT1_PNSt15iterator_traitsIS13_E10value_typeET2_T3_PNS14_IS19_E10value_typeET4_jRbjT5_S1F_jjP12ihipStream_tbEUljE_ZNSN_ISO_Lb1ESR_SS_SU_SV_SZ_EES10_S11_S12_S13_S17_S18_S19_S1C_S1D_jS1E_jS1F_S1F_jjS1H_bEUljE0_EEES10_S11_S12_S19_S1D_S1F_T6_T7_T9_mT8_S1H_bDpT10_ENKUlT_T0_E_clISt17integral_constantIbLb0EES1U_IbLb1EEEEDaS1Q_S1R_EUlS1Q_E_NS1_11comp_targetILNS1_3genE9ELNS1_11target_archE1100ELNS1_3gpuE3ELNS1_3repE0EEENS1_30default_config_static_selectorELNS0_4arch9wavefront6targetE1EEEvS13_,"axG",@progbits,_ZN7rocprim17ROCPRIM_400000_NS6detail17trampoline_kernelINS0_13select_configILj256ELj13ELNS0_17block_load_methodE3ELS4_3ELS4_3ELNS0_20block_scan_algorithmE0ELj4294967295EEENS1_25partition_config_selectorILNS1_17partition_subalgoE4EjNS0_10empty_typeEbEEZZNS1_14partition_implILS8_4ELb0ES6_15HIP_vector_typeIjLj2EENS0_17counting_iteratorIjlEEPS9_SG_NS0_5tupleIJPjSI_NS0_16reverse_iteratorISI_EEEEENSH_IJSG_SG_SG_EEES9_SI_JZNS1_25segmented_radix_sort_implINS0_14default_configELb1EPK6__halfPSP_PKlPlN2at6native12_GLOBAL__N_18offset_tEEE10hipError_tPvRmT1_PNSt15iterator_traitsIS13_E10value_typeET2_T3_PNS14_IS19_E10value_typeET4_jRbjT5_S1F_jjP12ihipStream_tbEUljE_ZNSN_ISO_Lb1ESR_SS_SU_SV_SZ_EES10_S11_S12_S13_S17_S18_S19_S1C_S1D_jS1E_jS1F_S1F_jjS1H_bEUljE0_EEES10_S11_S12_S19_S1D_S1F_T6_T7_T9_mT8_S1H_bDpT10_ENKUlT_T0_E_clISt17integral_constantIbLb0EES1U_IbLb1EEEEDaS1Q_S1R_EUlS1Q_E_NS1_11comp_targetILNS1_3genE9ELNS1_11target_archE1100ELNS1_3gpuE3ELNS1_3repE0EEENS1_30default_config_static_selectorELNS0_4arch9wavefront6targetE1EEEvS13_,comdat
.Lfunc_end1705:
	.size	_ZN7rocprim17ROCPRIM_400000_NS6detail17trampoline_kernelINS0_13select_configILj256ELj13ELNS0_17block_load_methodE3ELS4_3ELS4_3ELNS0_20block_scan_algorithmE0ELj4294967295EEENS1_25partition_config_selectorILNS1_17partition_subalgoE4EjNS0_10empty_typeEbEEZZNS1_14partition_implILS8_4ELb0ES6_15HIP_vector_typeIjLj2EENS0_17counting_iteratorIjlEEPS9_SG_NS0_5tupleIJPjSI_NS0_16reverse_iteratorISI_EEEEENSH_IJSG_SG_SG_EEES9_SI_JZNS1_25segmented_radix_sort_implINS0_14default_configELb1EPK6__halfPSP_PKlPlN2at6native12_GLOBAL__N_18offset_tEEE10hipError_tPvRmT1_PNSt15iterator_traitsIS13_E10value_typeET2_T3_PNS14_IS19_E10value_typeET4_jRbjT5_S1F_jjP12ihipStream_tbEUljE_ZNSN_ISO_Lb1ESR_SS_SU_SV_SZ_EES10_S11_S12_S13_S17_S18_S19_S1C_S1D_jS1E_jS1F_S1F_jjS1H_bEUljE0_EEES10_S11_S12_S19_S1D_S1F_T6_T7_T9_mT8_S1H_bDpT10_ENKUlT_T0_E_clISt17integral_constantIbLb0EES1U_IbLb1EEEEDaS1Q_S1R_EUlS1Q_E_NS1_11comp_targetILNS1_3genE9ELNS1_11target_archE1100ELNS1_3gpuE3ELNS1_3repE0EEENS1_30default_config_static_selectorELNS0_4arch9wavefront6targetE1EEEvS13_, .Lfunc_end1705-_ZN7rocprim17ROCPRIM_400000_NS6detail17trampoline_kernelINS0_13select_configILj256ELj13ELNS0_17block_load_methodE3ELS4_3ELS4_3ELNS0_20block_scan_algorithmE0ELj4294967295EEENS1_25partition_config_selectorILNS1_17partition_subalgoE4EjNS0_10empty_typeEbEEZZNS1_14partition_implILS8_4ELb0ES6_15HIP_vector_typeIjLj2EENS0_17counting_iteratorIjlEEPS9_SG_NS0_5tupleIJPjSI_NS0_16reverse_iteratorISI_EEEEENSH_IJSG_SG_SG_EEES9_SI_JZNS1_25segmented_radix_sort_implINS0_14default_configELb1EPK6__halfPSP_PKlPlN2at6native12_GLOBAL__N_18offset_tEEE10hipError_tPvRmT1_PNSt15iterator_traitsIS13_E10value_typeET2_T3_PNS14_IS19_E10value_typeET4_jRbjT5_S1F_jjP12ihipStream_tbEUljE_ZNSN_ISO_Lb1ESR_SS_SU_SV_SZ_EES10_S11_S12_S13_S17_S18_S19_S1C_S1D_jS1E_jS1F_S1F_jjS1H_bEUljE0_EEES10_S11_S12_S19_S1D_S1F_T6_T7_T9_mT8_S1H_bDpT10_ENKUlT_T0_E_clISt17integral_constantIbLb0EES1U_IbLb1EEEEDaS1Q_S1R_EUlS1Q_E_NS1_11comp_targetILNS1_3genE9ELNS1_11target_archE1100ELNS1_3gpuE3ELNS1_3repE0EEENS1_30default_config_static_selectorELNS0_4arch9wavefront6targetE1EEEvS13_
                                        ; -- End function
	.set _ZN7rocprim17ROCPRIM_400000_NS6detail17trampoline_kernelINS0_13select_configILj256ELj13ELNS0_17block_load_methodE3ELS4_3ELS4_3ELNS0_20block_scan_algorithmE0ELj4294967295EEENS1_25partition_config_selectorILNS1_17partition_subalgoE4EjNS0_10empty_typeEbEEZZNS1_14partition_implILS8_4ELb0ES6_15HIP_vector_typeIjLj2EENS0_17counting_iteratorIjlEEPS9_SG_NS0_5tupleIJPjSI_NS0_16reverse_iteratorISI_EEEEENSH_IJSG_SG_SG_EEES9_SI_JZNS1_25segmented_radix_sort_implINS0_14default_configELb1EPK6__halfPSP_PKlPlN2at6native12_GLOBAL__N_18offset_tEEE10hipError_tPvRmT1_PNSt15iterator_traitsIS13_E10value_typeET2_T3_PNS14_IS19_E10value_typeET4_jRbjT5_S1F_jjP12ihipStream_tbEUljE_ZNSN_ISO_Lb1ESR_SS_SU_SV_SZ_EES10_S11_S12_S13_S17_S18_S19_S1C_S1D_jS1E_jS1F_S1F_jjS1H_bEUljE0_EEES10_S11_S12_S19_S1D_S1F_T6_T7_T9_mT8_S1H_bDpT10_ENKUlT_T0_E_clISt17integral_constantIbLb0EES1U_IbLb1EEEEDaS1Q_S1R_EUlS1Q_E_NS1_11comp_targetILNS1_3genE9ELNS1_11target_archE1100ELNS1_3gpuE3ELNS1_3repE0EEENS1_30default_config_static_selectorELNS0_4arch9wavefront6targetE1EEEvS13_.num_vgpr, 0
	.set _ZN7rocprim17ROCPRIM_400000_NS6detail17trampoline_kernelINS0_13select_configILj256ELj13ELNS0_17block_load_methodE3ELS4_3ELS4_3ELNS0_20block_scan_algorithmE0ELj4294967295EEENS1_25partition_config_selectorILNS1_17partition_subalgoE4EjNS0_10empty_typeEbEEZZNS1_14partition_implILS8_4ELb0ES6_15HIP_vector_typeIjLj2EENS0_17counting_iteratorIjlEEPS9_SG_NS0_5tupleIJPjSI_NS0_16reverse_iteratorISI_EEEEENSH_IJSG_SG_SG_EEES9_SI_JZNS1_25segmented_radix_sort_implINS0_14default_configELb1EPK6__halfPSP_PKlPlN2at6native12_GLOBAL__N_18offset_tEEE10hipError_tPvRmT1_PNSt15iterator_traitsIS13_E10value_typeET2_T3_PNS14_IS19_E10value_typeET4_jRbjT5_S1F_jjP12ihipStream_tbEUljE_ZNSN_ISO_Lb1ESR_SS_SU_SV_SZ_EES10_S11_S12_S13_S17_S18_S19_S1C_S1D_jS1E_jS1F_S1F_jjS1H_bEUljE0_EEES10_S11_S12_S19_S1D_S1F_T6_T7_T9_mT8_S1H_bDpT10_ENKUlT_T0_E_clISt17integral_constantIbLb0EES1U_IbLb1EEEEDaS1Q_S1R_EUlS1Q_E_NS1_11comp_targetILNS1_3genE9ELNS1_11target_archE1100ELNS1_3gpuE3ELNS1_3repE0EEENS1_30default_config_static_selectorELNS0_4arch9wavefront6targetE1EEEvS13_.num_agpr, 0
	.set _ZN7rocprim17ROCPRIM_400000_NS6detail17trampoline_kernelINS0_13select_configILj256ELj13ELNS0_17block_load_methodE3ELS4_3ELS4_3ELNS0_20block_scan_algorithmE0ELj4294967295EEENS1_25partition_config_selectorILNS1_17partition_subalgoE4EjNS0_10empty_typeEbEEZZNS1_14partition_implILS8_4ELb0ES6_15HIP_vector_typeIjLj2EENS0_17counting_iteratorIjlEEPS9_SG_NS0_5tupleIJPjSI_NS0_16reverse_iteratorISI_EEEEENSH_IJSG_SG_SG_EEES9_SI_JZNS1_25segmented_radix_sort_implINS0_14default_configELb1EPK6__halfPSP_PKlPlN2at6native12_GLOBAL__N_18offset_tEEE10hipError_tPvRmT1_PNSt15iterator_traitsIS13_E10value_typeET2_T3_PNS14_IS19_E10value_typeET4_jRbjT5_S1F_jjP12ihipStream_tbEUljE_ZNSN_ISO_Lb1ESR_SS_SU_SV_SZ_EES10_S11_S12_S13_S17_S18_S19_S1C_S1D_jS1E_jS1F_S1F_jjS1H_bEUljE0_EEES10_S11_S12_S19_S1D_S1F_T6_T7_T9_mT8_S1H_bDpT10_ENKUlT_T0_E_clISt17integral_constantIbLb0EES1U_IbLb1EEEEDaS1Q_S1R_EUlS1Q_E_NS1_11comp_targetILNS1_3genE9ELNS1_11target_archE1100ELNS1_3gpuE3ELNS1_3repE0EEENS1_30default_config_static_selectorELNS0_4arch9wavefront6targetE1EEEvS13_.numbered_sgpr, 0
	.set _ZN7rocprim17ROCPRIM_400000_NS6detail17trampoline_kernelINS0_13select_configILj256ELj13ELNS0_17block_load_methodE3ELS4_3ELS4_3ELNS0_20block_scan_algorithmE0ELj4294967295EEENS1_25partition_config_selectorILNS1_17partition_subalgoE4EjNS0_10empty_typeEbEEZZNS1_14partition_implILS8_4ELb0ES6_15HIP_vector_typeIjLj2EENS0_17counting_iteratorIjlEEPS9_SG_NS0_5tupleIJPjSI_NS0_16reverse_iteratorISI_EEEEENSH_IJSG_SG_SG_EEES9_SI_JZNS1_25segmented_radix_sort_implINS0_14default_configELb1EPK6__halfPSP_PKlPlN2at6native12_GLOBAL__N_18offset_tEEE10hipError_tPvRmT1_PNSt15iterator_traitsIS13_E10value_typeET2_T3_PNS14_IS19_E10value_typeET4_jRbjT5_S1F_jjP12ihipStream_tbEUljE_ZNSN_ISO_Lb1ESR_SS_SU_SV_SZ_EES10_S11_S12_S13_S17_S18_S19_S1C_S1D_jS1E_jS1F_S1F_jjS1H_bEUljE0_EEES10_S11_S12_S19_S1D_S1F_T6_T7_T9_mT8_S1H_bDpT10_ENKUlT_T0_E_clISt17integral_constantIbLb0EES1U_IbLb1EEEEDaS1Q_S1R_EUlS1Q_E_NS1_11comp_targetILNS1_3genE9ELNS1_11target_archE1100ELNS1_3gpuE3ELNS1_3repE0EEENS1_30default_config_static_selectorELNS0_4arch9wavefront6targetE1EEEvS13_.num_named_barrier, 0
	.set _ZN7rocprim17ROCPRIM_400000_NS6detail17trampoline_kernelINS0_13select_configILj256ELj13ELNS0_17block_load_methodE3ELS4_3ELS4_3ELNS0_20block_scan_algorithmE0ELj4294967295EEENS1_25partition_config_selectorILNS1_17partition_subalgoE4EjNS0_10empty_typeEbEEZZNS1_14partition_implILS8_4ELb0ES6_15HIP_vector_typeIjLj2EENS0_17counting_iteratorIjlEEPS9_SG_NS0_5tupleIJPjSI_NS0_16reverse_iteratorISI_EEEEENSH_IJSG_SG_SG_EEES9_SI_JZNS1_25segmented_radix_sort_implINS0_14default_configELb1EPK6__halfPSP_PKlPlN2at6native12_GLOBAL__N_18offset_tEEE10hipError_tPvRmT1_PNSt15iterator_traitsIS13_E10value_typeET2_T3_PNS14_IS19_E10value_typeET4_jRbjT5_S1F_jjP12ihipStream_tbEUljE_ZNSN_ISO_Lb1ESR_SS_SU_SV_SZ_EES10_S11_S12_S13_S17_S18_S19_S1C_S1D_jS1E_jS1F_S1F_jjS1H_bEUljE0_EEES10_S11_S12_S19_S1D_S1F_T6_T7_T9_mT8_S1H_bDpT10_ENKUlT_T0_E_clISt17integral_constantIbLb0EES1U_IbLb1EEEEDaS1Q_S1R_EUlS1Q_E_NS1_11comp_targetILNS1_3genE9ELNS1_11target_archE1100ELNS1_3gpuE3ELNS1_3repE0EEENS1_30default_config_static_selectorELNS0_4arch9wavefront6targetE1EEEvS13_.private_seg_size, 0
	.set _ZN7rocprim17ROCPRIM_400000_NS6detail17trampoline_kernelINS0_13select_configILj256ELj13ELNS0_17block_load_methodE3ELS4_3ELS4_3ELNS0_20block_scan_algorithmE0ELj4294967295EEENS1_25partition_config_selectorILNS1_17partition_subalgoE4EjNS0_10empty_typeEbEEZZNS1_14partition_implILS8_4ELb0ES6_15HIP_vector_typeIjLj2EENS0_17counting_iteratorIjlEEPS9_SG_NS0_5tupleIJPjSI_NS0_16reverse_iteratorISI_EEEEENSH_IJSG_SG_SG_EEES9_SI_JZNS1_25segmented_radix_sort_implINS0_14default_configELb1EPK6__halfPSP_PKlPlN2at6native12_GLOBAL__N_18offset_tEEE10hipError_tPvRmT1_PNSt15iterator_traitsIS13_E10value_typeET2_T3_PNS14_IS19_E10value_typeET4_jRbjT5_S1F_jjP12ihipStream_tbEUljE_ZNSN_ISO_Lb1ESR_SS_SU_SV_SZ_EES10_S11_S12_S13_S17_S18_S19_S1C_S1D_jS1E_jS1F_S1F_jjS1H_bEUljE0_EEES10_S11_S12_S19_S1D_S1F_T6_T7_T9_mT8_S1H_bDpT10_ENKUlT_T0_E_clISt17integral_constantIbLb0EES1U_IbLb1EEEEDaS1Q_S1R_EUlS1Q_E_NS1_11comp_targetILNS1_3genE9ELNS1_11target_archE1100ELNS1_3gpuE3ELNS1_3repE0EEENS1_30default_config_static_selectorELNS0_4arch9wavefront6targetE1EEEvS13_.uses_vcc, 0
	.set _ZN7rocprim17ROCPRIM_400000_NS6detail17trampoline_kernelINS0_13select_configILj256ELj13ELNS0_17block_load_methodE3ELS4_3ELS4_3ELNS0_20block_scan_algorithmE0ELj4294967295EEENS1_25partition_config_selectorILNS1_17partition_subalgoE4EjNS0_10empty_typeEbEEZZNS1_14partition_implILS8_4ELb0ES6_15HIP_vector_typeIjLj2EENS0_17counting_iteratorIjlEEPS9_SG_NS0_5tupleIJPjSI_NS0_16reverse_iteratorISI_EEEEENSH_IJSG_SG_SG_EEES9_SI_JZNS1_25segmented_radix_sort_implINS0_14default_configELb1EPK6__halfPSP_PKlPlN2at6native12_GLOBAL__N_18offset_tEEE10hipError_tPvRmT1_PNSt15iterator_traitsIS13_E10value_typeET2_T3_PNS14_IS19_E10value_typeET4_jRbjT5_S1F_jjP12ihipStream_tbEUljE_ZNSN_ISO_Lb1ESR_SS_SU_SV_SZ_EES10_S11_S12_S13_S17_S18_S19_S1C_S1D_jS1E_jS1F_S1F_jjS1H_bEUljE0_EEES10_S11_S12_S19_S1D_S1F_T6_T7_T9_mT8_S1H_bDpT10_ENKUlT_T0_E_clISt17integral_constantIbLb0EES1U_IbLb1EEEEDaS1Q_S1R_EUlS1Q_E_NS1_11comp_targetILNS1_3genE9ELNS1_11target_archE1100ELNS1_3gpuE3ELNS1_3repE0EEENS1_30default_config_static_selectorELNS0_4arch9wavefront6targetE1EEEvS13_.uses_flat_scratch, 0
	.set _ZN7rocprim17ROCPRIM_400000_NS6detail17trampoline_kernelINS0_13select_configILj256ELj13ELNS0_17block_load_methodE3ELS4_3ELS4_3ELNS0_20block_scan_algorithmE0ELj4294967295EEENS1_25partition_config_selectorILNS1_17partition_subalgoE4EjNS0_10empty_typeEbEEZZNS1_14partition_implILS8_4ELb0ES6_15HIP_vector_typeIjLj2EENS0_17counting_iteratorIjlEEPS9_SG_NS0_5tupleIJPjSI_NS0_16reverse_iteratorISI_EEEEENSH_IJSG_SG_SG_EEES9_SI_JZNS1_25segmented_radix_sort_implINS0_14default_configELb1EPK6__halfPSP_PKlPlN2at6native12_GLOBAL__N_18offset_tEEE10hipError_tPvRmT1_PNSt15iterator_traitsIS13_E10value_typeET2_T3_PNS14_IS19_E10value_typeET4_jRbjT5_S1F_jjP12ihipStream_tbEUljE_ZNSN_ISO_Lb1ESR_SS_SU_SV_SZ_EES10_S11_S12_S13_S17_S18_S19_S1C_S1D_jS1E_jS1F_S1F_jjS1H_bEUljE0_EEES10_S11_S12_S19_S1D_S1F_T6_T7_T9_mT8_S1H_bDpT10_ENKUlT_T0_E_clISt17integral_constantIbLb0EES1U_IbLb1EEEEDaS1Q_S1R_EUlS1Q_E_NS1_11comp_targetILNS1_3genE9ELNS1_11target_archE1100ELNS1_3gpuE3ELNS1_3repE0EEENS1_30default_config_static_selectorELNS0_4arch9wavefront6targetE1EEEvS13_.has_dyn_sized_stack, 0
	.set _ZN7rocprim17ROCPRIM_400000_NS6detail17trampoline_kernelINS0_13select_configILj256ELj13ELNS0_17block_load_methodE3ELS4_3ELS4_3ELNS0_20block_scan_algorithmE0ELj4294967295EEENS1_25partition_config_selectorILNS1_17partition_subalgoE4EjNS0_10empty_typeEbEEZZNS1_14partition_implILS8_4ELb0ES6_15HIP_vector_typeIjLj2EENS0_17counting_iteratorIjlEEPS9_SG_NS0_5tupleIJPjSI_NS0_16reverse_iteratorISI_EEEEENSH_IJSG_SG_SG_EEES9_SI_JZNS1_25segmented_radix_sort_implINS0_14default_configELb1EPK6__halfPSP_PKlPlN2at6native12_GLOBAL__N_18offset_tEEE10hipError_tPvRmT1_PNSt15iterator_traitsIS13_E10value_typeET2_T3_PNS14_IS19_E10value_typeET4_jRbjT5_S1F_jjP12ihipStream_tbEUljE_ZNSN_ISO_Lb1ESR_SS_SU_SV_SZ_EES10_S11_S12_S13_S17_S18_S19_S1C_S1D_jS1E_jS1F_S1F_jjS1H_bEUljE0_EEES10_S11_S12_S19_S1D_S1F_T6_T7_T9_mT8_S1H_bDpT10_ENKUlT_T0_E_clISt17integral_constantIbLb0EES1U_IbLb1EEEEDaS1Q_S1R_EUlS1Q_E_NS1_11comp_targetILNS1_3genE9ELNS1_11target_archE1100ELNS1_3gpuE3ELNS1_3repE0EEENS1_30default_config_static_selectorELNS0_4arch9wavefront6targetE1EEEvS13_.has_recursion, 0
	.set _ZN7rocprim17ROCPRIM_400000_NS6detail17trampoline_kernelINS0_13select_configILj256ELj13ELNS0_17block_load_methodE3ELS4_3ELS4_3ELNS0_20block_scan_algorithmE0ELj4294967295EEENS1_25partition_config_selectorILNS1_17partition_subalgoE4EjNS0_10empty_typeEbEEZZNS1_14partition_implILS8_4ELb0ES6_15HIP_vector_typeIjLj2EENS0_17counting_iteratorIjlEEPS9_SG_NS0_5tupleIJPjSI_NS0_16reverse_iteratorISI_EEEEENSH_IJSG_SG_SG_EEES9_SI_JZNS1_25segmented_radix_sort_implINS0_14default_configELb1EPK6__halfPSP_PKlPlN2at6native12_GLOBAL__N_18offset_tEEE10hipError_tPvRmT1_PNSt15iterator_traitsIS13_E10value_typeET2_T3_PNS14_IS19_E10value_typeET4_jRbjT5_S1F_jjP12ihipStream_tbEUljE_ZNSN_ISO_Lb1ESR_SS_SU_SV_SZ_EES10_S11_S12_S13_S17_S18_S19_S1C_S1D_jS1E_jS1F_S1F_jjS1H_bEUljE0_EEES10_S11_S12_S19_S1D_S1F_T6_T7_T9_mT8_S1H_bDpT10_ENKUlT_T0_E_clISt17integral_constantIbLb0EES1U_IbLb1EEEEDaS1Q_S1R_EUlS1Q_E_NS1_11comp_targetILNS1_3genE9ELNS1_11target_archE1100ELNS1_3gpuE3ELNS1_3repE0EEENS1_30default_config_static_selectorELNS0_4arch9wavefront6targetE1EEEvS13_.has_indirect_call, 0
	.section	.AMDGPU.csdata,"",@progbits
; Kernel info:
; codeLenInByte = 0
; TotalNumSgprs: 4
; NumVgprs: 0
; ScratchSize: 0
; MemoryBound: 0
; FloatMode: 240
; IeeeMode: 1
; LDSByteSize: 0 bytes/workgroup (compile time only)
; SGPRBlocks: 0
; VGPRBlocks: 0
; NumSGPRsForWavesPerEU: 4
; NumVGPRsForWavesPerEU: 1
; Occupancy: 10
; WaveLimiterHint : 0
; COMPUTE_PGM_RSRC2:SCRATCH_EN: 0
; COMPUTE_PGM_RSRC2:USER_SGPR: 6
; COMPUTE_PGM_RSRC2:TRAP_HANDLER: 0
; COMPUTE_PGM_RSRC2:TGID_X_EN: 1
; COMPUTE_PGM_RSRC2:TGID_Y_EN: 0
; COMPUTE_PGM_RSRC2:TGID_Z_EN: 0
; COMPUTE_PGM_RSRC2:TIDIG_COMP_CNT: 0
	.section	.text._ZN7rocprim17ROCPRIM_400000_NS6detail17trampoline_kernelINS0_13select_configILj256ELj13ELNS0_17block_load_methodE3ELS4_3ELS4_3ELNS0_20block_scan_algorithmE0ELj4294967295EEENS1_25partition_config_selectorILNS1_17partition_subalgoE4EjNS0_10empty_typeEbEEZZNS1_14partition_implILS8_4ELb0ES6_15HIP_vector_typeIjLj2EENS0_17counting_iteratorIjlEEPS9_SG_NS0_5tupleIJPjSI_NS0_16reverse_iteratorISI_EEEEENSH_IJSG_SG_SG_EEES9_SI_JZNS1_25segmented_radix_sort_implINS0_14default_configELb1EPK6__halfPSP_PKlPlN2at6native12_GLOBAL__N_18offset_tEEE10hipError_tPvRmT1_PNSt15iterator_traitsIS13_E10value_typeET2_T3_PNS14_IS19_E10value_typeET4_jRbjT5_S1F_jjP12ihipStream_tbEUljE_ZNSN_ISO_Lb1ESR_SS_SU_SV_SZ_EES10_S11_S12_S13_S17_S18_S19_S1C_S1D_jS1E_jS1F_S1F_jjS1H_bEUljE0_EEES10_S11_S12_S19_S1D_S1F_T6_T7_T9_mT8_S1H_bDpT10_ENKUlT_T0_E_clISt17integral_constantIbLb0EES1U_IbLb1EEEEDaS1Q_S1R_EUlS1Q_E_NS1_11comp_targetILNS1_3genE8ELNS1_11target_archE1030ELNS1_3gpuE2ELNS1_3repE0EEENS1_30default_config_static_selectorELNS0_4arch9wavefront6targetE1EEEvS13_,"axG",@progbits,_ZN7rocprim17ROCPRIM_400000_NS6detail17trampoline_kernelINS0_13select_configILj256ELj13ELNS0_17block_load_methodE3ELS4_3ELS4_3ELNS0_20block_scan_algorithmE0ELj4294967295EEENS1_25partition_config_selectorILNS1_17partition_subalgoE4EjNS0_10empty_typeEbEEZZNS1_14partition_implILS8_4ELb0ES6_15HIP_vector_typeIjLj2EENS0_17counting_iteratorIjlEEPS9_SG_NS0_5tupleIJPjSI_NS0_16reverse_iteratorISI_EEEEENSH_IJSG_SG_SG_EEES9_SI_JZNS1_25segmented_radix_sort_implINS0_14default_configELb1EPK6__halfPSP_PKlPlN2at6native12_GLOBAL__N_18offset_tEEE10hipError_tPvRmT1_PNSt15iterator_traitsIS13_E10value_typeET2_T3_PNS14_IS19_E10value_typeET4_jRbjT5_S1F_jjP12ihipStream_tbEUljE_ZNSN_ISO_Lb1ESR_SS_SU_SV_SZ_EES10_S11_S12_S13_S17_S18_S19_S1C_S1D_jS1E_jS1F_S1F_jjS1H_bEUljE0_EEES10_S11_S12_S19_S1D_S1F_T6_T7_T9_mT8_S1H_bDpT10_ENKUlT_T0_E_clISt17integral_constantIbLb0EES1U_IbLb1EEEEDaS1Q_S1R_EUlS1Q_E_NS1_11comp_targetILNS1_3genE8ELNS1_11target_archE1030ELNS1_3gpuE2ELNS1_3repE0EEENS1_30default_config_static_selectorELNS0_4arch9wavefront6targetE1EEEvS13_,comdat
	.globl	_ZN7rocprim17ROCPRIM_400000_NS6detail17trampoline_kernelINS0_13select_configILj256ELj13ELNS0_17block_load_methodE3ELS4_3ELS4_3ELNS0_20block_scan_algorithmE0ELj4294967295EEENS1_25partition_config_selectorILNS1_17partition_subalgoE4EjNS0_10empty_typeEbEEZZNS1_14partition_implILS8_4ELb0ES6_15HIP_vector_typeIjLj2EENS0_17counting_iteratorIjlEEPS9_SG_NS0_5tupleIJPjSI_NS0_16reverse_iteratorISI_EEEEENSH_IJSG_SG_SG_EEES9_SI_JZNS1_25segmented_radix_sort_implINS0_14default_configELb1EPK6__halfPSP_PKlPlN2at6native12_GLOBAL__N_18offset_tEEE10hipError_tPvRmT1_PNSt15iterator_traitsIS13_E10value_typeET2_T3_PNS14_IS19_E10value_typeET4_jRbjT5_S1F_jjP12ihipStream_tbEUljE_ZNSN_ISO_Lb1ESR_SS_SU_SV_SZ_EES10_S11_S12_S13_S17_S18_S19_S1C_S1D_jS1E_jS1F_S1F_jjS1H_bEUljE0_EEES10_S11_S12_S19_S1D_S1F_T6_T7_T9_mT8_S1H_bDpT10_ENKUlT_T0_E_clISt17integral_constantIbLb0EES1U_IbLb1EEEEDaS1Q_S1R_EUlS1Q_E_NS1_11comp_targetILNS1_3genE8ELNS1_11target_archE1030ELNS1_3gpuE2ELNS1_3repE0EEENS1_30default_config_static_selectorELNS0_4arch9wavefront6targetE1EEEvS13_ ; -- Begin function _ZN7rocprim17ROCPRIM_400000_NS6detail17trampoline_kernelINS0_13select_configILj256ELj13ELNS0_17block_load_methodE3ELS4_3ELS4_3ELNS0_20block_scan_algorithmE0ELj4294967295EEENS1_25partition_config_selectorILNS1_17partition_subalgoE4EjNS0_10empty_typeEbEEZZNS1_14partition_implILS8_4ELb0ES6_15HIP_vector_typeIjLj2EENS0_17counting_iteratorIjlEEPS9_SG_NS0_5tupleIJPjSI_NS0_16reverse_iteratorISI_EEEEENSH_IJSG_SG_SG_EEES9_SI_JZNS1_25segmented_radix_sort_implINS0_14default_configELb1EPK6__halfPSP_PKlPlN2at6native12_GLOBAL__N_18offset_tEEE10hipError_tPvRmT1_PNSt15iterator_traitsIS13_E10value_typeET2_T3_PNS14_IS19_E10value_typeET4_jRbjT5_S1F_jjP12ihipStream_tbEUljE_ZNSN_ISO_Lb1ESR_SS_SU_SV_SZ_EES10_S11_S12_S13_S17_S18_S19_S1C_S1D_jS1E_jS1F_S1F_jjS1H_bEUljE0_EEES10_S11_S12_S19_S1D_S1F_T6_T7_T9_mT8_S1H_bDpT10_ENKUlT_T0_E_clISt17integral_constantIbLb0EES1U_IbLb1EEEEDaS1Q_S1R_EUlS1Q_E_NS1_11comp_targetILNS1_3genE8ELNS1_11target_archE1030ELNS1_3gpuE2ELNS1_3repE0EEENS1_30default_config_static_selectorELNS0_4arch9wavefront6targetE1EEEvS13_
	.p2align	8
	.type	_ZN7rocprim17ROCPRIM_400000_NS6detail17trampoline_kernelINS0_13select_configILj256ELj13ELNS0_17block_load_methodE3ELS4_3ELS4_3ELNS0_20block_scan_algorithmE0ELj4294967295EEENS1_25partition_config_selectorILNS1_17partition_subalgoE4EjNS0_10empty_typeEbEEZZNS1_14partition_implILS8_4ELb0ES6_15HIP_vector_typeIjLj2EENS0_17counting_iteratorIjlEEPS9_SG_NS0_5tupleIJPjSI_NS0_16reverse_iteratorISI_EEEEENSH_IJSG_SG_SG_EEES9_SI_JZNS1_25segmented_radix_sort_implINS0_14default_configELb1EPK6__halfPSP_PKlPlN2at6native12_GLOBAL__N_18offset_tEEE10hipError_tPvRmT1_PNSt15iterator_traitsIS13_E10value_typeET2_T3_PNS14_IS19_E10value_typeET4_jRbjT5_S1F_jjP12ihipStream_tbEUljE_ZNSN_ISO_Lb1ESR_SS_SU_SV_SZ_EES10_S11_S12_S13_S17_S18_S19_S1C_S1D_jS1E_jS1F_S1F_jjS1H_bEUljE0_EEES10_S11_S12_S19_S1D_S1F_T6_T7_T9_mT8_S1H_bDpT10_ENKUlT_T0_E_clISt17integral_constantIbLb0EES1U_IbLb1EEEEDaS1Q_S1R_EUlS1Q_E_NS1_11comp_targetILNS1_3genE8ELNS1_11target_archE1030ELNS1_3gpuE2ELNS1_3repE0EEENS1_30default_config_static_selectorELNS0_4arch9wavefront6targetE1EEEvS13_,@function
_ZN7rocprim17ROCPRIM_400000_NS6detail17trampoline_kernelINS0_13select_configILj256ELj13ELNS0_17block_load_methodE3ELS4_3ELS4_3ELNS0_20block_scan_algorithmE0ELj4294967295EEENS1_25partition_config_selectorILNS1_17partition_subalgoE4EjNS0_10empty_typeEbEEZZNS1_14partition_implILS8_4ELb0ES6_15HIP_vector_typeIjLj2EENS0_17counting_iteratorIjlEEPS9_SG_NS0_5tupleIJPjSI_NS0_16reverse_iteratorISI_EEEEENSH_IJSG_SG_SG_EEES9_SI_JZNS1_25segmented_radix_sort_implINS0_14default_configELb1EPK6__halfPSP_PKlPlN2at6native12_GLOBAL__N_18offset_tEEE10hipError_tPvRmT1_PNSt15iterator_traitsIS13_E10value_typeET2_T3_PNS14_IS19_E10value_typeET4_jRbjT5_S1F_jjP12ihipStream_tbEUljE_ZNSN_ISO_Lb1ESR_SS_SU_SV_SZ_EES10_S11_S12_S13_S17_S18_S19_S1C_S1D_jS1E_jS1F_S1F_jjS1H_bEUljE0_EEES10_S11_S12_S19_S1D_S1F_T6_T7_T9_mT8_S1H_bDpT10_ENKUlT_T0_E_clISt17integral_constantIbLb0EES1U_IbLb1EEEEDaS1Q_S1R_EUlS1Q_E_NS1_11comp_targetILNS1_3genE8ELNS1_11target_archE1030ELNS1_3gpuE2ELNS1_3repE0EEENS1_30default_config_static_selectorELNS0_4arch9wavefront6targetE1EEEvS13_: ; @_ZN7rocprim17ROCPRIM_400000_NS6detail17trampoline_kernelINS0_13select_configILj256ELj13ELNS0_17block_load_methodE3ELS4_3ELS4_3ELNS0_20block_scan_algorithmE0ELj4294967295EEENS1_25partition_config_selectorILNS1_17partition_subalgoE4EjNS0_10empty_typeEbEEZZNS1_14partition_implILS8_4ELb0ES6_15HIP_vector_typeIjLj2EENS0_17counting_iteratorIjlEEPS9_SG_NS0_5tupleIJPjSI_NS0_16reverse_iteratorISI_EEEEENSH_IJSG_SG_SG_EEES9_SI_JZNS1_25segmented_radix_sort_implINS0_14default_configELb1EPK6__halfPSP_PKlPlN2at6native12_GLOBAL__N_18offset_tEEE10hipError_tPvRmT1_PNSt15iterator_traitsIS13_E10value_typeET2_T3_PNS14_IS19_E10value_typeET4_jRbjT5_S1F_jjP12ihipStream_tbEUljE_ZNSN_ISO_Lb1ESR_SS_SU_SV_SZ_EES10_S11_S12_S13_S17_S18_S19_S1C_S1D_jS1E_jS1F_S1F_jjS1H_bEUljE0_EEES10_S11_S12_S19_S1D_S1F_T6_T7_T9_mT8_S1H_bDpT10_ENKUlT_T0_E_clISt17integral_constantIbLb0EES1U_IbLb1EEEEDaS1Q_S1R_EUlS1Q_E_NS1_11comp_targetILNS1_3genE8ELNS1_11target_archE1030ELNS1_3gpuE2ELNS1_3repE0EEENS1_30default_config_static_selectorELNS0_4arch9wavefront6targetE1EEEvS13_
; %bb.0:
	.section	.rodata,"a",@progbits
	.p2align	6, 0x0
	.amdhsa_kernel _ZN7rocprim17ROCPRIM_400000_NS6detail17trampoline_kernelINS0_13select_configILj256ELj13ELNS0_17block_load_methodE3ELS4_3ELS4_3ELNS0_20block_scan_algorithmE0ELj4294967295EEENS1_25partition_config_selectorILNS1_17partition_subalgoE4EjNS0_10empty_typeEbEEZZNS1_14partition_implILS8_4ELb0ES6_15HIP_vector_typeIjLj2EENS0_17counting_iteratorIjlEEPS9_SG_NS0_5tupleIJPjSI_NS0_16reverse_iteratorISI_EEEEENSH_IJSG_SG_SG_EEES9_SI_JZNS1_25segmented_radix_sort_implINS0_14default_configELb1EPK6__halfPSP_PKlPlN2at6native12_GLOBAL__N_18offset_tEEE10hipError_tPvRmT1_PNSt15iterator_traitsIS13_E10value_typeET2_T3_PNS14_IS19_E10value_typeET4_jRbjT5_S1F_jjP12ihipStream_tbEUljE_ZNSN_ISO_Lb1ESR_SS_SU_SV_SZ_EES10_S11_S12_S13_S17_S18_S19_S1C_S1D_jS1E_jS1F_S1F_jjS1H_bEUljE0_EEES10_S11_S12_S19_S1D_S1F_T6_T7_T9_mT8_S1H_bDpT10_ENKUlT_T0_E_clISt17integral_constantIbLb0EES1U_IbLb1EEEEDaS1Q_S1R_EUlS1Q_E_NS1_11comp_targetILNS1_3genE8ELNS1_11target_archE1030ELNS1_3gpuE2ELNS1_3repE0EEENS1_30default_config_static_selectorELNS0_4arch9wavefront6targetE1EEEvS13_
		.amdhsa_group_segment_fixed_size 0
		.amdhsa_private_segment_fixed_size 0
		.amdhsa_kernarg_size 184
		.amdhsa_user_sgpr_count 6
		.amdhsa_user_sgpr_private_segment_buffer 1
		.amdhsa_user_sgpr_dispatch_ptr 0
		.amdhsa_user_sgpr_queue_ptr 0
		.amdhsa_user_sgpr_kernarg_segment_ptr 1
		.amdhsa_user_sgpr_dispatch_id 0
		.amdhsa_user_sgpr_flat_scratch_init 0
		.amdhsa_user_sgpr_private_segment_size 0
		.amdhsa_uses_dynamic_stack 0
		.amdhsa_system_sgpr_private_segment_wavefront_offset 0
		.amdhsa_system_sgpr_workgroup_id_x 1
		.amdhsa_system_sgpr_workgroup_id_y 0
		.amdhsa_system_sgpr_workgroup_id_z 0
		.amdhsa_system_sgpr_workgroup_info 0
		.amdhsa_system_vgpr_workitem_id 0
		.amdhsa_next_free_vgpr 1
		.amdhsa_next_free_sgpr 0
		.amdhsa_reserve_vcc 0
		.amdhsa_reserve_flat_scratch 0
		.amdhsa_float_round_mode_32 0
		.amdhsa_float_round_mode_16_64 0
		.amdhsa_float_denorm_mode_32 3
		.amdhsa_float_denorm_mode_16_64 3
		.amdhsa_dx10_clamp 1
		.amdhsa_ieee_mode 1
		.amdhsa_fp16_overflow 0
		.amdhsa_exception_fp_ieee_invalid_op 0
		.amdhsa_exception_fp_denorm_src 0
		.amdhsa_exception_fp_ieee_div_zero 0
		.amdhsa_exception_fp_ieee_overflow 0
		.amdhsa_exception_fp_ieee_underflow 0
		.amdhsa_exception_fp_ieee_inexact 0
		.amdhsa_exception_int_div_zero 0
	.end_amdhsa_kernel
	.section	.text._ZN7rocprim17ROCPRIM_400000_NS6detail17trampoline_kernelINS0_13select_configILj256ELj13ELNS0_17block_load_methodE3ELS4_3ELS4_3ELNS0_20block_scan_algorithmE0ELj4294967295EEENS1_25partition_config_selectorILNS1_17partition_subalgoE4EjNS0_10empty_typeEbEEZZNS1_14partition_implILS8_4ELb0ES6_15HIP_vector_typeIjLj2EENS0_17counting_iteratorIjlEEPS9_SG_NS0_5tupleIJPjSI_NS0_16reverse_iteratorISI_EEEEENSH_IJSG_SG_SG_EEES9_SI_JZNS1_25segmented_radix_sort_implINS0_14default_configELb1EPK6__halfPSP_PKlPlN2at6native12_GLOBAL__N_18offset_tEEE10hipError_tPvRmT1_PNSt15iterator_traitsIS13_E10value_typeET2_T3_PNS14_IS19_E10value_typeET4_jRbjT5_S1F_jjP12ihipStream_tbEUljE_ZNSN_ISO_Lb1ESR_SS_SU_SV_SZ_EES10_S11_S12_S13_S17_S18_S19_S1C_S1D_jS1E_jS1F_S1F_jjS1H_bEUljE0_EEES10_S11_S12_S19_S1D_S1F_T6_T7_T9_mT8_S1H_bDpT10_ENKUlT_T0_E_clISt17integral_constantIbLb0EES1U_IbLb1EEEEDaS1Q_S1R_EUlS1Q_E_NS1_11comp_targetILNS1_3genE8ELNS1_11target_archE1030ELNS1_3gpuE2ELNS1_3repE0EEENS1_30default_config_static_selectorELNS0_4arch9wavefront6targetE1EEEvS13_,"axG",@progbits,_ZN7rocprim17ROCPRIM_400000_NS6detail17trampoline_kernelINS0_13select_configILj256ELj13ELNS0_17block_load_methodE3ELS4_3ELS4_3ELNS0_20block_scan_algorithmE0ELj4294967295EEENS1_25partition_config_selectorILNS1_17partition_subalgoE4EjNS0_10empty_typeEbEEZZNS1_14partition_implILS8_4ELb0ES6_15HIP_vector_typeIjLj2EENS0_17counting_iteratorIjlEEPS9_SG_NS0_5tupleIJPjSI_NS0_16reverse_iteratorISI_EEEEENSH_IJSG_SG_SG_EEES9_SI_JZNS1_25segmented_radix_sort_implINS0_14default_configELb1EPK6__halfPSP_PKlPlN2at6native12_GLOBAL__N_18offset_tEEE10hipError_tPvRmT1_PNSt15iterator_traitsIS13_E10value_typeET2_T3_PNS14_IS19_E10value_typeET4_jRbjT5_S1F_jjP12ihipStream_tbEUljE_ZNSN_ISO_Lb1ESR_SS_SU_SV_SZ_EES10_S11_S12_S13_S17_S18_S19_S1C_S1D_jS1E_jS1F_S1F_jjS1H_bEUljE0_EEES10_S11_S12_S19_S1D_S1F_T6_T7_T9_mT8_S1H_bDpT10_ENKUlT_T0_E_clISt17integral_constantIbLb0EES1U_IbLb1EEEEDaS1Q_S1R_EUlS1Q_E_NS1_11comp_targetILNS1_3genE8ELNS1_11target_archE1030ELNS1_3gpuE2ELNS1_3repE0EEENS1_30default_config_static_selectorELNS0_4arch9wavefront6targetE1EEEvS13_,comdat
.Lfunc_end1706:
	.size	_ZN7rocprim17ROCPRIM_400000_NS6detail17trampoline_kernelINS0_13select_configILj256ELj13ELNS0_17block_load_methodE3ELS4_3ELS4_3ELNS0_20block_scan_algorithmE0ELj4294967295EEENS1_25partition_config_selectorILNS1_17partition_subalgoE4EjNS0_10empty_typeEbEEZZNS1_14partition_implILS8_4ELb0ES6_15HIP_vector_typeIjLj2EENS0_17counting_iteratorIjlEEPS9_SG_NS0_5tupleIJPjSI_NS0_16reverse_iteratorISI_EEEEENSH_IJSG_SG_SG_EEES9_SI_JZNS1_25segmented_radix_sort_implINS0_14default_configELb1EPK6__halfPSP_PKlPlN2at6native12_GLOBAL__N_18offset_tEEE10hipError_tPvRmT1_PNSt15iterator_traitsIS13_E10value_typeET2_T3_PNS14_IS19_E10value_typeET4_jRbjT5_S1F_jjP12ihipStream_tbEUljE_ZNSN_ISO_Lb1ESR_SS_SU_SV_SZ_EES10_S11_S12_S13_S17_S18_S19_S1C_S1D_jS1E_jS1F_S1F_jjS1H_bEUljE0_EEES10_S11_S12_S19_S1D_S1F_T6_T7_T9_mT8_S1H_bDpT10_ENKUlT_T0_E_clISt17integral_constantIbLb0EES1U_IbLb1EEEEDaS1Q_S1R_EUlS1Q_E_NS1_11comp_targetILNS1_3genE8ELNS1_11target_archE1030ELNS1_3gpuE2ELNS1_3repE0EEENS1_30default_config_static_selectorELNS0_4arch9wavefront6targetE1EEEvS13_, .Lfunc_end1706-_ZN7rocprim17ROCPRIM_400000_NS6detail17trampoline_kernelINS0_13select_configILj256ELj13ELNS0_17block_load_methodE3ELS4_3ELS4_3ELNS0_20block_scan_algorithmE0ELj4294967295EEENS1_25partition_config_selectorILNS1_17partition_subalgoE4EjNS0_10empty_typeEbEEZZNS1_14partition_implILS8_4ELb0ES6_15HIP_vector_typeIjLj2EENS0_17counting_iteratorIjlEEPS9_SG_NS0_5tupleIJPjSI_NS0_16reverse_iteratorISI_EEEEENSH_IJSG_SG_SG_EEES9_SI_JZNS1_25segmented_radix_sort_implINS0_14default_configELb1EPK6__halfPSP_PKlPlN2at6native12_GLOBAL__N_18offset_tEEE10hipError_tPvRmT1_PNSt15iterator_traitsIS13_E10value_typeET2_T3_PNS14_IS19_E10value_typeET4_jRbjT5_S1F_jjP12ihipStream_tbEUljE_ZNSN_ISO_Lb1ESR_SS_SU_SV_SZ_EES10_S11_S12_S13_S17_S18_S19_S1C_S1D_jS1E_jS1F_S1F_jjS1H_bEUljE0_EEES10_S11_S12_S19_S1D_S1F_T6_T7_T9_mT8_S1H_bDpT10_ENKUlT_T0_E_clISt17integral_constantIbLb0EES1U_IbLb1EEEEDaS1Q_S1R_EUlS1Q_E_NS1_11comp_targetILNS1_3genE8ELNS1_11target_archE1030ELNS1_3gpuE2ELNS1_3repE0EEENS1_30default_config_static_selectorELNS0_4arch9wavefront6targetE1EEEvS13_
                                        ; -- End function
	.set _ZN7rocprim17ROCPRIM_400000_NS6detail17trampoline_kernelINS0_13select_configILj256ELj13ELNS0_17block_load_methodE3ELS4_3ELS4_3ELNS0_20block_scan_algorithmE0ELj4294967295EEENS1_25partition_config_selectorILNS1_17partition_subalgoE4EjNS0_10empty_typeEbEEZZNS1_14partition_implILS8_4ELb0ES6_15HIP_vector_typeIjLj2EENS0_17counting_iteratorIjlEEPS9_SG_NS0_5tupleIJPjSI_NS0_16reverse_iteratorISI_EEEEENSH_IJSG_SG_SG_EEES9_SI_JZNS1_25segmented_radix_sort_implINS0_14default_configELb1EPK6__halfPSP_PKlPlN2at6native12_GLOBAL__N_18offset_tEEE10hipError_tPvRmT1_PNSt15iterator_traitsIS13_E10value_typeET2_T3_PNS14_IS19_E10value_typeET4_jRbjT5_S1F_jjP12ihipStream_tbEUljE_ZNSN_ISO_Lb1ESR_SS_SU_SV_SZ_EES10_S11_S12_S13_S17_S18_S19_S1C_S1D_jS1E_jS1F_S1F_jjS1H_bEUljE0_EEES10_S11_S12_S19_S1D_S1F_T6_T7_T9_mT8_S1H_bDpT10_ENKUlT_T0_E_clISt17integral_constantIbLb0EES1U_IbLb1EEEEDaS1Q_S1R_EUlS1Q_E_NS1_11comp_targetILNS1_3genE8ELNS1_11target_archE1030ELNS1_3gpuE2ELNS1_3repE0EEENS1_30default_config_static_selectorELNS0_4arch9wavefront6targetE1EEEvS13_.num_vgpr, 0
	.set _ZN7rocprim17ROCPRIM_400000_NS6detail17trampoline_kernelINS0_13select_configILj256ELj13ELNS0_17block_load_methodE3ELS4_3ELS4_3ELNS0_20block_scan_algorithmE0ELj4294967295EEENS1_25partition_config_selectorILNS1_17partition_subalgoE4EjNS0_10empty_typeEbEEZZNS1_14partition_implILS8_4ELb0ES6_15HIP_vector_typeIjLj2EENS0_17counting_iteratorIjlEEPS9_SG_NS0_5tupleIJPjSI_NS0_16reverse_iteratorISI_EEEEENSH_IJSG_SG_SG_EEES9_SI_JZNS1_25segmented_radix_sort_implINS0_14default_configELb1EPK6__halfPSP_PKlPlN2at6native12_GLOBAL__N_18offset_tEEE10hipError_tPvRmT1_PNSt15iterator_traitsIS13_E10value_typeET2_T3_PNS14_IS19_E10value_typeET4_jRbjT5_S1F_jjP12ihipStream_tbEUljE_ZNSN_ISO_Lb1ESR_SS_SU_SV_SZ_EES10_S11_S12_S13_S17_S18_S19_S1C_S1D_jS1E_jS1F_S1F_jjS1H_bEUljE0_EEES10_S11_S12_S19_S1D_S1F_T6_T7_T9_mT8_S1H_bDpT10_ENKUlT_T0_E_clISt17integral_constantIbLb0EES1U_IbLb1EEEEDaS1Q_S1R_EUlS1Q_E_NS1_11comp_targetILNS1_3genE8ELNS1_11target_archE1030ELNS1_3gpuE2ELNS1_3repE0EEENS1_30default_config_static_selectorELNS0_4arch9wavefront6targetE1EEEvS13_.num_agpr, 0
	.set _ZN7rocprim17ROCPRIM_400000_NS6detail17trampoline_kernelINS0_13select_configILj256ELj13ELNS0_17block_load_methodE3ELS4_3ELS4_3ELNS0_20block_scan_algorithmE0ELj4294967295EEENS1_25partition_config_selectorILNS1_17partition_subalgoE4EjNS0_10empty_typeEbEEZZNS1_14partition_implILS8_4ELb0ES6_15HIP_vector_typeIjLj2EENS0_17counting_iteratorIjlEEPS9_SG_NS0_5tupleIJPjSI_NS0_16reverse_iteratorISI_EEEEENSH_IJSG_SG_SG_EEES9_SI_JZNS1_25segmented_radix_sort_implINS0_14default_configELb1EPK6__halfPSP_PKlPlN2at6native12_GLOBAL__N_18offset_tEEE10hipError_tPvRmT1_PNSt15iterator_traitsIS13_E10value_typeET2_T3_PNS14_IS19_E10value_typeET4_jRbjT5_S1F_jjP12ihipStream_tbEUljE_ZNSN_ISO_Lb1ESR_SS_SU_SV_SZ_EES10_S11_S12_S13_S17_S18_S19_S1C_S1D_jS1E_jS1F_S1F_jjS1H_bEUljE0_EEES10_S11_S12_S19_S1D_S1F_T6_T7_T9_mT8_S1H_bDpT10_ENKUlT_T0_E_clISt17integral_constantIbLb0EES1U_IbLb1EEEEDaS1Q_S1R_EUlS1Q_E_NS1_11comp_targetILNS1_3genE8ELNS1_11target_archE1030ELNS1_3gpuE2ELNS1_3repE0EEENS1_30default_config_static_selectorELNS0_4arch9wavefront6targetE1EEEvS13_.numbered_sgpr, 0
	.set _ZN7rocprim17ROCPRIM_400000_NS6detail17trampoline_kernelINS0_13select_configILj256ELj13ELNS0_17block_load_methodE3ELS4_3ELS4_3ELNS0_20block_scan_algorithmE0ELj4294967295EEENS1_25partition_config_selectorILNS1_17partition_subalgoE4EjNS0_10empty_typeEbEEZZNS1_14partition_implILS8_4ELb0ES6_15HIP_vector_typeIjLj2EENS0_17counting_iteratorIjlEEPS9_SG_NS0_5tupleIJPjSI_NS0_16reverse_iteratorISI_EEEEENSH_IJSG_SG_SG_EEES9_SI_JZNS1_25segmented_radix_sort_implINS0_14default_configELb1EPK6__halfPSP_PKlPlN2at6native12_GLOBAL__N_18offset_tEEE10hipError_tPvRmT1_PNSt15iterator_traitsIS13_E10value_typeET2_T3_PNS14_IS19_E10value_typeET4_jRbjT5_S1F_jjP12ihipStream_tbEUljE_ZNSN_ISO_Lb1ESR_SS_SU_SV_SZ_EES10_S11_S12_S13_S17_S18_S19_S1C_S1D_jS1E_jS1F_S1F_jjS1H_bEUljE0_EEES10_S11_S12_S19_S1D_S1F_T6_T7_T9_mT8_S1H_bDpT10_ENKUlT_T0_E_clISt17integral_constantIbLb0EES1U_IbLb1EEEEDaS1Q_S1R_EUlS1Q_E_NS1_11comp_targetILNS1_3genE8ELNS1_11target_archE1030ELNS1_3gpuE2ELNS1_3repE0EEENS1_30default_config_static_selectorELNS0_4arch9wavefront6targetE1EEEvS13_.num_named_barrier, 0
	.set _ZN7rocprim17ROCPRIM_400000_NS6detail17trampoline_kernelINS0_13select_configILj256ELj13ELNS0_17block_load_methodE3ELS4_3ELS4_3ELNS0_20block_scan_algorithmE0ELj4294967295EEENS1_25partition_config_selectorILNS1_17partition_subalgoE4EjNS0_10empty_typeEbEEZZNS1_14partition_implILS8_4ELb0ES6_15HIP_vector_typeIjLj2EENS0_17counting_iteratorIjlEEPS9_SG_NS0_5tupleIJPjSI_NS0_16reverse_iteratorISI_EEEEENSH_IJSG_SG_SG_EEES9_SI_JZNS1_25segmented_radix_sort_implINS0_14default_configELb1EPK6__halfPSP_PKlPlN2at6native12_GLOBAL__N_18offset_tEEE10hipError_tPvRmT1_PNSt15iterator_traitsIS13_E10value_typeET2_T3_PNS14_IS19_E10value_typeET4_jRbjT5_S1F_jjP12ihipStream_tbEUljE_ZNSN_ISO_Lb1ESR_SS_SU_SV_SZ_EES10_S11_S12_S13_S17_S18_S19_S1C_S1D_jS1E_jS1F_S1F_jjS1H_bEUljE0_EEES10_S11_S12_S19_S1D_S1F_T6_T7_T9_mT8_S1H_bDpT10_ENKUlT_T0_E_clISt17integral_constantIbLb0EES1U_IbLb1EEEEDaS1Q_S1R_EUlS1Q_E_NS1_11comp_targetILNS1_3genE8ELNS1_11target_archE1030ELNS1_3gpuE2ELNS1_3repE0EEENS1_30default_config_static_selectorELNS0_4arch9wavefront6targetE1EEEvS13_.private_seg_size, 0
	.set _ZN7rocprim17ROCPRIM_400000_NS6detail17trampoline_kernelINS0_13select_configILj256ELj13ELNS0_17block_load_methodE3ELS4_3ELS4_3ELNS0_20block_scan_algorithmE0ELj4294967295EEENS1_25partition_config_selectorILNS1_17partition_subalgoE4EjNS0_10empty_typeEbEEZZNS1_14partition_implILS8_4ELb0ES6_15HIP_vector_typeIjLj2EENS0_17counting_iteratorIjlEEPS9_SG_NS0_5tupleIJPjSI_NS0_16reverse_iteratorISI_EEEEENSH_IJSG_SG_SG_EEES9_SI_JZNS1_25segmented_radix_sort_implINS0_14default_configELb1EPK6__halfPSP_PKlPlN2at6native12_GLOBAL__N_18offset_tEEE10hipError_tPvRmT1_PNSt15iterator_traitsIS13_E10value_typeET2_T3_PNS14_IS19_E10value_typeET4_jRbjT5_S1F_jjP12ihipStream_tbEUljE_ZNSN_ISO_Lb1ESR_SS_SU_SV_SZ_EES10_S11_S12_S13_S17_S18_S19_S1C_S1D_jS1E_jS1F_S1F_jjS1H_bEUljE0_EEES10_S11_S12_S19_S1D_S1F_T6_T7_T9_mT8_S1H_bDpT10_ENKUlT_T0_E_clISt17integral_constantIbLb0EES1U_IbLb1EEEEDaS1Q_S1R_EUlS1Q_E_NS1_11comp_targetILNS1_3genE8ELNS1_11target_archE1030ELNS1_3gpuE2ELNS1_3repE0EEENS1_30default_config_static_selectorELNS0_4arch9wavefront6targetE1EEEvS13_.uses_vcc, 0
	.set _ZN7rocprim17ROCPRIM_400000_NS6detail17trampoline_kernelINS0_13select_configILj256ELj13ELNS0_17block_load_methodE3ELS4_3ELS4_3ELNS0_20block_scan_algorithmE0ELj4294967295EEENS1_25partition_config_selectorILNS1_17partition_subalgoE4EjNS0_10empty_typeEbEEZZNS1_14partition_implILS8_4ELb0ES6_15HIP_vector_typeIjLj2EENS0_17counting_iteratorIjlEEPS9_SG_NS0_5tupleIJPjSI_NS0_16reverse_iteratorISI_EEEEENSH_IJSG_SG_SG_EEES9_SI_JZNS1_25segmented_radix_sort_implINS0_14default_configELb1EPK6__halfPSP_PKlPlN2at6native12_GLOBAL__N_18offset_tEEE10hipError_tPvRmT1_PNSt15iterator_traitsIS13_E10value_typeET2_T3_PNS14_IS19_E10value_typeET4_jRbjT5_S1F_jjP12ihipStream_tbEUljE_ZNSN_ISO_Lb1ESR_SS_SU_SV_SZ_EES10_S11_S12_S13_S17_S18_S19_S1C_S1D_jS1E_jS1F_S1F_jjS1H_bEUljE0_EEES10_S11_S12_S19_S1D_S1F_T6_T7_T9_mT8_S1H_bDpT10_ENKUlT_T0_E_clISt17integral_constantIbLb0EES1U_IbLb1EEEEDaS1Q_S1R_EUlS1Q_E_NS1_11comp_targetILNS1_3genE8ELNS1_11target_archE1030ELNS1_3gpuE2ELNS1_3repE0EEENS1_30default_config_static_selectorELNS0_4arch9wavefront6targetE1EEEvS13_.uses_flat_scratch, 0
	.set _ZN7rocprim17ROCPRIM_400000_NS6detail17trampoline_kernelINS0_13select_configILj256ELj13ELNS0_17block_load_methodE3ELS4_3ELS4_3ELNS0_20block_scan_algorithmE0ELj4294967295EEENS1_25partition_config_selectorILNS1_17partition_subalgoE4EjNS0_10empty_typeEbEEZZNS1_14partition_implILS8_4ELb0ES6_15HIP_vector_typeIjLj2EENS0_17counting_iteratorIjlEEPS9_SG_NS0_5tupleIJPjSI_NS0_16reverse_iteratorISI_EEEEENSH_IJSG_SG_SG_EEES9_SI_JZNS1_25segmented_radix_sort_implINS0_14default_configELb1EPK6__halfPSP_PKlPlN2at6native12_GLOBAL__N_18offset_tEEE10hipError_tPvRmT1_PNSt15iterator_traitsIS13_E10value_typeET2_T3_PNS14_IS19_E10value_typeET4_jRbjT5_S1F_jjP12ihipStream_tbEUljE_ZNSN_ISO_Lb1ESR_SS_SU_SV_SZ_EES10_S11_S12_S13_S17_S18_S19_S1C_S1D_jS1E_jS1F_S1F_jjS1H_bEUljE0_EEES10_S11_S12_S19_S1D_S1F_T6_T7_T9_mT8_S1H_bDpT10_ENKUlT_T0_E_clISt17integral_constantIbLb0EES1U_IbLb1EEEEDaS1Q_S1R_EUlS1Q_E_NS1_11comp_targetILNS1_3genE8ELNS1_11target_archE1030ELNS1_3gpuE2ELNS1_3repE0EEENS1_30default_config_static_selectorELNS0_4arch9wavefront6targetE1EEEvS13_.has_dyn_sized_stack, 0
	.set _ZN7rocprim17ROCPRIM_400000_NS6detail17trampoline_kernelINS0_13select_configILj256ELj13ELNS0_17block_load_methodE3ELS4_3ELS4_3ELNS0_20block_scan_algorithmE0ELj4294967295EEENS1_25partition_config_selectorILNS1_17partition_subalgoE4EjNS0_10empty_typeEbEEZZNS1_14partition_implILS8_4ELb0ES6_15HIP_vector_typeIjLj2EENS0_17counting_iteratorIjlEEPS9_SG_NS0_5tupleIJPjSI_NS0_16reverse_iteratorISI_EEEEENSH_IJSG_SG_SG_EEES9_SI_JZNS1_25segmented_radix_sort_implINS0_14default_configELb1EPK6__halfPSP_PKlPlN2at6native12_GLOBAL__N_18offset_tEEE10hipError_tPvRmT1_PNSt15iterator_traitsIS13_E10value_typeET2_T3_PNS14_IS19_E10value_typeET4_jRbjT5_S1F_jjP12ihipStream_tbEUljE_ZNSN_ISO_Lb1ESR_SS_SU_SV_SZ_EES10_S11_S12_S13_S17_S18_S19_S1C_S1D_jS1E_jS1F_S1F_jjS1H_bEUljE0_EEES10_S11_S12_S19_S1D_S1F_T6_T7_T9_mT8_S1H_bDpT10_ENKUlT_T0_E_clISt17integral_constantIbLb0EES1U_IbLb1EEEEDaS1Q_S1R_EUlS1Q_E_NS1_11comp_targetILNS1_3genE8ELNS1_11target_archE1030ELNS1_3gpuE2ELNS1_3repE0EEENS1_30default_config_static_selectorELNS0_4arch9wavefront6targetE1EEEvS13_.has_recursion, 0
	.set _ZN7rocprim17ROCPRIM_400000_NS6detail17trampoline_kernelINS0_13select_configILj256ELj13ELNS0_17block_load_methodE3ELS4_3ELS4_3ELNS0_20block_scan_algorithmE0ELj4294967295EEENS1_25partition_config_selectorILNS1_17partition_subalgoE4EjNS0_10empty_typeEbEEZZNS1_14partition_implILS8_4ELb0ES6_15HIP_vector_typeIjLj2EENS0_17counting_iteratorIjlEEPS9_SG_NS0_5tupleIJPjSI_NS0_16reverse_iteratorISI_EEEEENSH_IJSG_SG_SG_EEES9_SI_JZNS1_25segmented_radix_sort_implINS0_14default_configELb1EPK6__halfPSP_PKlPlN2at6native12_GLOBAL__N_18offset_tEEE10hipError_tPvRmT1_PNSt15iterator_traitsIS13_E10value_typeET2_T3_PNS14_IS19_E10value_typeET4_jRbjT5_S1F_jjP12ihipStream_tbEUljE_ZNSN_ISO_Lb1ESR_SS_SU_SV_SZ_EES10_S11_S12_S13_S17_S18_S19_S1C_S1D_jS1E_jS1F_S1F_jjS1H_bEUljE0_EEES10_S11_S12_S19_S1D_S1F_T6_T7_T9_mT8_S1H_bDpT10_ENKUlT_T0_E_clISt17integral_constantIbLb0EES1U_IbLb1EEEEDaS1Q_S1R_EUlS1Q_E_NS1_11comp_targetILNS1_3genE8ELNS1_11target_archE1030ELNS1_3gpuE2ELNS1_3repE0EEENS1_30default_config_static_selectorELNS0_4arch9wavefront6targetE1EEEvS13_.has_indirect_call, 0
	.section	.AMDGPU.csdata,"",@progbits
; Kernel info:
; codeLenInByte = 0
; TotalNumSgprs: 4
; NumVgprs: 0
; ScratchSize: 0
; MemoryBound: 0
; FloatMode: 240
; IeeeMode: 1
; LDSByteSize: 0 bytes/workgroup (compile time only)
; SGPRBlocks: 0
; VGPRBlocks: 0
; NumSGPRsForWavesPerEU: 4
; NumVGPRsForWavesPerEU: 1
; Occupancy: 10
; WaveLimiterHint : 0
; COMPUTE_PGM_RSRC2:SCRATCH_EN: 0
; COMPUTE_PGM_RSRC2:USER_SGPR: 6
; COMPUTE_PGM_RSRC2:TRAP_HANDLER: 0
; COMPUTE_PGM_RSRC2:TGID_X_EN: 1
; COMPUTE_PGM_RSRC2:TGID_Y_EN: 0
; COMPUTE_PGM_RSRC2:TGID_Z_EN: 0
; COMPUTE_PGM_RSRC2:TIDIG_COMP_CNT: 0
	.section	.text._ZN7rocprim17ROCPRIM_400000_NS6detail17trampoline_kernelINS0_13select_configILj256ELj13ELNS0_17block_load_methodE3ELS4_3ELS4_3ELNS0_20block_scan_algorithmE0ELj4294967295EEENS1_25partition_config_selectorILNS1_17partition_subalgoE3EjNS0_10empty_typeEbEEZZNS1_14partition_implILS8_3ELb0ES6_jNS0_17counting_iteratorIjlEEPS9_SE_NS0_5tupleIJPjSE_EEENSF_IJSE_SE_EEES9_SG_JZNS1_25segmented_radix_sort_implINS0_14default_configELb1EPK6__halfPSL_PKlPlN2at6native12_GLOBAL__N_18offset_tEEE10hipError_tPvRmT1_PNSt15iterator_traitsISZ_E10value_typeET2_T3_PNS10_IS15_E10value_typeET4_jRbjT5_S1B_jjP12ihipStream_tbEUljE_EEESW_SX_SY_S15_S19_S1B_T6_T7_T9_mT8_S1D_bDpT10_ENKUlT_T0_E_clISt17integral_constantIbLb0EES1Q_EEDaS1L_S1M_EUlS1L_E_NS1_11comp_targetILNS1_3genE0ELNS1_11target_archE4294967295ELNS1_3gpuE0ELNS1_3repE0EEENS1_30default_config_static_selectorELNS0_4arch9wavefront6targetE1EEEvSZ_,"axG",@progbits,_ZN7rocprim17ROCPRIM_400000_NS6detail17trampoline_kernelINS0_13select_configILj256ELj13ELNS0_17block_load_methodE3ELS4_3ELS4_3ELNS0_20block_scan_algorithmE0ELj4294967295EEENS1_25partition_config_selectorILNS1_17partition_subalgoE3EjNS0_10empty_typeEbEEZZNS1_14partition_implILS8_3ELb0ES6_jNS0_17counting_iteratorIjlEEPS9_SE_NS0_5tupleIJPjSE_EEENSF_IJSE_SE_EEES9_SG_JZNS1_25segmented_radix_sort_implINS0_14default_configELb1EPK6__halfPSL_PKlPlN2at6native12_GLOBAL__N_18offset_tEEE10hipError_tPvRmT1_PNSt15iterator_traitsISZ_E10value_typeET2_T3_PNS10_IS15_E10value_typeET4_jRbjT5_S1B_jjP12ihipStream_tbEUljE_EEESW_SX_SY_S15_S19_S1B_T6_T7_T9_mT8_S1D_bDpT10_ENKUlT_T0_E_clISt17integral_constantIbLb0EES1Q_EEDaS1L_S1M_EUlS1L_E_NS1_11comp_targetILNS1_3genE0ELNS1_11target_archE4294967295ELNS1_3gpuE0ELNS1_3repE0EEENS1_30default_config_static_selectorELNS0_4arch9wavefront6targetE1EEEvSZ_,comdat
	.globl	_ZN7rocprim17ROCPRIM_400000_NS6detail17trampoline_kernelINS0_13select_configILj256ELj13ELNS0_17block_load_methodE3ELS4_3ELS4_3ELNS0_20block_scan_algorithmE0ELj4294967295EEENS1_25partition_config_selectorILNS1_17partition_subalgoE3EjNS0_10empty_typeEbEEZZNS1_14partition_implILS8_3ELb0ES6_jNS0_17counting_iteratorIjlEEPS9_SE_NS0_5tupleIJPjSE_EEENSF_IJSE_SE_EEES9_SG_JZNS1_25segmented_radix_sort_implINS0_14default_configELb1EPK6__halfPSL_PKlPlN2at6native12_GLOBAL__N_18offset_tEEE10hipError_tPvRmT1_PNSt15iterator_traitsISZ_E10value_typeET2_T3_PNS10_IS15_E10value_typeET4_jRbjT5_S1B_jjP12ihipStream_tbEUljE_EEESW_SX_SY_S15_S19_S1B_T6_T7_T9_mT8_S1D_bDpT10_ENKUlT_T0_E_clISt17integral_constantIbLb0EES1Q_EEDaS1L_S1M_EUlS1L_E_NS1_11comp_targetILNS1_3genE0ELNS1_11target_archE4294967295ELNS1_3gpuE0ELNS1_3repE0EEENS1_30default_config_static_selectorELNS0_4arch9wavefront6targetE1EEEvSZ_ ; -- Begin function _ZN7rocprim17ROCPRIM_400000_NS6detail17trampoline_kernelINS0_13select_configILj256ELj13ELNS0_17block_load_methodE3ELS4_3ELS4_3ELNS0_20block_scan_algorithmE0ELj4294967295EEENS1_25partition_config_selectorILNS1_17partition_subalgoE3EjNS0_10empty_typeEbEEZZNS1_14partition_implILS8_3ELb0ES6_jNS0_17counting_iteratorIjlEEPS9_SE_NS0_5tupleIJPjSE_EEENSF_IJSE_SE_EEES9_SG_JZNS1_25segmented_radix_sort_implINS0_14default_configELb1EPK6__halfPSL_PKlPlN2at6native12_GLOBAL__N_18offset_tEEE10hipError_tPvRmT1_PNSt15iterator_traitsISZ_E10value_typeET2_T3_PNS10_IS15_E10value_typeET4_jRbjT5_S1B_jjP12ihipStream_tbEUljE_EEESW_SX_SY_S15_S19_S1B_T6_T7_T9_mT8_S1D_bDpT10_ENKUlT_T0_E_clISt17integral_constantIbLb0EES1Q_EEDaS1L_S1M_EUlS1L_E_NS1_11comp_targetILNS1_3genE0ELNS1_11target_archE4294967295ELNS1_3gpuE0ELNS1_3repE0EEENS1_30default_config_static_selectorELNS0_4arch9wavefront6targetE1EEEvSZ_
	.p2align	8
	.type	_ZN7rocprim17ROCPRIM_400000_NS6detail17trampoline_kernelINS0_13select_configILj256ELj13ELNS0_17block_load_methodE3ELS4_3ELS4_3ELNS0_20block_scan_algorithmE0ELj4294967295EEENS1_25partition_config_selectorILNS1_17partition_subalgoE3EjNS0_10empty_typeEbEEZZNS1_14partition_implILS8_3ELb0ES6_jNS0_17counting_iteratorIjlEEPS9_SE_NS0_5tupleIJPjSE_EEENSF_IJSE_SE_EEES9_SG_JZNS1_25segmented_radix_sort_implINS0_14default_configELb1EPK6__halfPSL_PKlPlN2at6native12_GLOBAL__N_18offset_tEEE10hipError_tPvRmT1_PNSt15iterator_traitsISZ_E10value_typeET2_T3_PNS10_IS15_E10value_typeET4_jRbjT5_S1B_jjP12ihipStream_tbEUljE_EEESW_SX_SY_S15_S19_S1B_T6_T7_T9_mT8_S1D_bDpT10_ENKUlT_T0_E_clISt17integral_constantIbLb0EES1Q_EEDaS1L_S1M_EUlS1L_E_NS1_11comp_targetILNS1_3genE0ELNS1_11target_archE4294967295ELNS1_3gpuE0ELNS1_3repE0EEENS1_30default_config_static_selectorELNS0_4arch9wavefront6targetE1EEEvSZ_,@function
_ZN7rocprim17ROCPRIM_400000_NS6detail17trampoline_kernelINS0_13select_configILj256ELj13ELNS0_17block_load_methodE3ELS4_3ELS4_3ELNS0_20block_scan_algorithmE0ELj4294967295EEENS1_25partition_config_selectorILNS1_17partition_subalgoE3EjNS0_10empty_typeEbEEZZNS1_14partition_implILS8_3ELb0ES6_jNS0_17counting_iteratorIjlEEPS9_SE_NS0_5tupleIJPjSE_EEENSF_IJSE_SE_EEES9_SG_JZNS1_25segmented_radix_sort_implINS0_14default_configELb1EPK6__halfPSL_PKlPlN2at6native12_GLOBAL__N_18offset_tEEE10hipError_tPvRmT1_PNSt15iterator_traitsISZ_E10value_typeET2_T3_PNS10_IS15_E10value_typeET4_jRbjT5_S1B_jjP12ihipStream_tbEUljE_EEESW_SX_SY_S15_S19_S1B_T6_T7_T9_mT8_S1D_bDpT10_ENKUlT_T0_E_clISt17integral_constantIbLb0EES1Q_EEDaS1L_S1M_EUlS1L_E_NS1_11comp_targetILNS1_3genE0ELNS1_11target_archE4294967295ELNS1_3gpuE0ELNS1_3repE0EEENS1_30default_config_static_selectorELNS0_4arch9wavefront6targetE1EEEvSZ_: ; @_ZN7rocprim17ROCPRIM_400000_NS6detail17trampoline_kernelINS0_13select_configILj256ELj13ELNS0_17block_load_methodE3ELS4_3ELS4_3ELNS0_20block_scan_algorithmE0ELj4294967295EEENS1_25partition_config_selectorILNS1_17partition_subalgoE3EjNS0_10empty_typeEbEEZZNS1_14partition_implILS8_3ELb0ES6_jNS0_17counting_iteratorIjlEEPS9_SE_NS0_5tupleIJPjSE_EEENSF_IJSE_SE_EEES9_SG_JZNS1_25segmented_radix_sort_implINS0_14default_configELb1EPK6__halfPSL_PKlPlN2at6native12_GLOBAL__N_18offset_tEEE10hipError_tPvRmT1_PNSt15iterator_traitsISZ_E10value_typeET2_T3_PNS10_IS15_E10value_typeET4_jRbjT5_S1B_jjP12ihipStream_tbEUljE_EEESW_SX_SY_S15_S19_S1B_T6_T7_T9_mT8_S1D_bDpT10_ENKUlT_T0_E_clISt17integral_constantIbLb0EES1Q_EEDaS1L_S1M_EUlS1L_E_NS1_11comp_targetILNS1_3genE0ELNS1_11target_archE4294967295ELNS1_3gpuE0ELNS1_3repE0EEENS1_30default_config_static_selectorELNS0_4arch9wavefront6targetE1EEEvSZ_
; %bb.0:
	.section	.rodata,"a",@progbits
	.p2align	6, 0x0
	.amdhsa_kernel _ZN7rocprim17ROCPRIM_400000_NS6detail17trampoline_kernelINS0_13select_configILj256ELj13ELNS0_17block_load_methodE3ELS4_3ELS4_3ELNS0_20block_scan_algorithmE0ELj4294967295EEENS1_25partition_config_selectorILNS1_17partition_subalgoE3EjNS0_10empty_typeEbEEZZNS1_14partition_implILS8_3ELb0ES6_jNS0_17counting_iteratorIjlEEPS9_SE_NS0_5tupleIJPjSE_EEENSF_IJSE_SE_EEES9_SG_JZNS1_25segmented_radix_sort_implINS0_14default_configELb1EPK6__halfPSL_PKlPlN2at6native12_GLOBAL__N_18offset_tEEE10hipError_tPvRmT1_PNSt15iterator_traitsISZ_E10value_typeET2_T3_PNS10_IS15_E10value_typeET4_jRbjT5_S1B_jjP12ihipStream_tbEUljE_EEESW_SX_SY_S15_S19_S1B_T6_T7_T9_mT8_S1D_bDpT10_ENKUlT_T0_E_clISt17integral_constantIbLb0EES1Q_EEDaS1L_S1M_EUlS1L_E_NS1_11comp_targetILNS1_3genE0ELNS1_11target_archE4294967295ELNS1_3gpuE0ELNS1_3repE0EEENS1_30default_config_static_selectorELNS0_4arch9wavefront6targetE1EEEvSZ_
		.amdhsa_group_segment_fixed_size 0
		.amdhsa_private_segment_fixed_size 0
		.amdhsa_kernarg_size 144
		.amdhsa_user_sgpr_count 6
		.amdhsa_user_sgpr_private_segment_buffer 1
		.amdhsa_user_sgpr_dispatch_ptr 0
		.amdhsa_user_sgpr_queue_ptr 0
		.amdhsa_user_sgpr_kernarg_segment_ptr 1
		.amdhsa_user_sgpr_dispatch_id 0
		.amdhsa_user_sgpr_flat_scratch_init 0
		.amdhsa_user_sgpr_private_segment_size 0
		.amdhsa_uses_dynamic_stack 0
		.amdhsa_system_sgpr_private_segment_wavefront_offset 0
		.amdhsa_system_sgpr_workgroup_id_x 1
		.amdhsa_system_sgpr_workgroup_id_y 0
		.amdhsa_system_sgpr_workgroup_id_z 0
		.amdhsa_system_sgpr_workgroup_info 0
		.amdhsa_system_vgpr_workitem_id 0
		.amdhsa_next_free_vgpr 1
		.amdhsa_next_free_sgpr 0
		.amdhsa_reserve_vcc 0
		.amdhsa_reserve_flat_scratch 0
		.amdhsa_float_round_mode_32 0
		.amdhsa_float_round_mode_16_64 0
		.amdhsa_float_denorm_mode_32 3
		.amdhsa_float_denorm_mode_16_64 3
		.amdhsa_dx10_clamp 1
		.amdhsa_ieee_mode 1
		.amdhsa_fp16_overflow 0
		.amdhsa_exception_fp_ieee_invalid_op 0
		.amdhsa_exception_fp_denorm_src 0
		.amdhsa_exception_fp_ieee_div_zero 0
		.amdhsa_exception_fp_ieee_overflow 0
		.amdhsa_exception_fp_ieee_underflow 0
		.amdhsa_exception_fp_ieee_inexact 0
		.amdhsa_exception_int_div_zero 0
	.end_amdhsa_kernel
	.section	.text._ZN7rocprim17ROCPRIM_400000_NS6detail17trampoline_kernelINS0_13select_configILj256ELj13ELNS0_17block_load_methodE3ELS4_3ELS4_3ELNS0_20block_scan_algorithmE0ELj4294967295EEENS1_25partition_config_selectorILNS1_17partition_subalgoE3EjNS0_10empty_typeEbEEZZNS1_14partition_implILS8_3ELb0ES6_jNS0_17counting_iteratorIjlEEPS9_SE_NS0_5tupleIJPjSE_EEENSF_IJSE_SE_EEES9_SG_JZNS1_25segmented_radix_sort_implINS0_14default_configELb1EPK6__halfPSL_PKlPlN2at6native12_GLOBAL__N_18offset_tEEE10hipError_tPvRmT1_PNSt15iterator_traitsISZ_E10value_typeET2_T3_PNS10_IS15_E10value_typeET4_jRbjT5_S1B_jjP12ihipStream_tbEUljE_EEESW_SX_SY_S15_S19_S1B_T6_T7_T9_mT8_S1D_bDpT10_ENKUlT_T0_E_clISt17integral_constantIbLb0EES1Q_EEDaS1L_S1M_EUlS1L_E_NS1_11comp_targetILNS1_3genE0ELNS1_11target_archE4294967295ELNS1_3gpuE0ELNS1_3repE0EEENS1_30default_config_static_selectorELNS0_4arch9wavefront6targetE1EEEvSZ_,"axG",@progbits,_ZN7rocprim17ROCPRIM_400000_NS6detail17trampoline_kernelINS0_13select_configILj256ELj13ELNS0_17block_load_methodE3ELS4_3ELS4_3ELNS0_20block_scan_algorithmE0ELj4294967295EEENS1_25partition_config_selectorILNS1_17partition_subalgoE3EjNS0_10empty_typeEbEEZZNS1_14partition_implILS8_3ELb0ES6_jNS0_17counting_iteratorIjlEEPS9_SE_NS0_5tupleIJPjSE_EEENSF_IJSE_SE_EEES9_SG_JZNS1_25segmented_radix_sort_implINS0_14default_configELb1EPK6__halfPSL_PKlPlN2at6native12_GLOBAL__N_18offset_tEEE10hipError_tPvRmT1_PNSt15iterator_traitsISZ_E10value_typeET2_T3_PNS10_IS15_E10value_typeET4_jRbjT5_S1B_jjP12ihipStream_tbEUljE_EEESW_SX_SY_S15_S19_S1B_T6_T7_T9_mT8_S1D_bDpT10_ENKUlT_T0_E_clISt17integral_constantIbLb0EES1Q_EEDaS1L_S1M_EUlS1L_E_NS1_11comp_targetILNS1_3genE0ELNS1_11target_archE4294967295ELNS1_3gpuE0ELNS1_3repE0EEENS1_30default_config_static_selectorELNS0_4arch9wavefront6targetE1EEEvSZ_,comdat
.Lfunc_end1707:
	.size	_ZN7rocprim17ROCPRIM_400000_NS6detail17trampoline_kernelINS0_13select_configILj256ELj13ELNS0_17block_load_methodE3ELS4_3ELS4_3ELNS0_20block_scan_algorithmE0ELj4294967295EEENS1_25partition_config_selectorILNS1_17partition_subalgoE3EjNS0_10empty_typeEbEEZZNS1_14partition_implILS8_3ELb0ES6_jNS0_17counting_iteratorIjlEEPS9_SE_NS0_5tupleIJPjSE_EEENSF_IJSE_SE_EEES9_SG_JZNS1_25segmented_radix_sort_implINS0_14default_configELb1EPK6__halfPSL_PKlPlN2at6native12_GLOBAL__N_18offset_tEEE10hipError_tPvRmT1_PNSt15iterator_traitsISZ_E10value_typeET2_T3_PNS10_IS15_E10value_typeET4_jRbjT5_S1B_jjP12ihipStream_tbEUljE_EEESW_SX_SY_S15_S19_S1B_T6_T7_T9_mT8_S1D_bDpT10_ENKUlT_T0_E_clISt17integral_constantIbLb0EES1Q_EEDaS1L_S1M_EUlS1L_E_NS1_11comp_targetILNS1_3genE0ELNS1_11target_archE4294967295ELNS1_3gpuE0ELNS1_3repE0EEENS1_30default_config_static_selectorELNS0_4arch9wavefront6targetE1EEEvSZ_, .Lfunc_end1707-_ZN7rocprim17ROCPRIM_400000_NS6detail17trampoline_kernelINS0_13select_configILj256ELj13ELNS0_17block_load_methodE3ELS4_3ELS4_3ELNS0_20block_scan_algorithmE0ELj4294967295EEENS1_25partition_config_selectorILNS1_17partition_subalgoE3EjNS0_10empty_typeEbEEZZNS1_14partition_implILS8_3ELb0ES6_jNS0_17counting_iteratorIjlEEPS9_SE_NS0_5tupleIJPjSE_EEENSF_IJSE_SE_EEES9_SG_JZNS1_25segmented_radix_sort_implINS0_14default_configELb1EPK6__halfPSL_PKlPlN2at6native12_GLOBAL__N_18offset_tEEE10hipError_tPvRmT1_PNSt15iterator_traitsISZ_E10value_typeET2_T3_PNS10_IS15_E10value_typeET4_jRbjT5_S1B_jjP12ihipStream_tbEUljE_EEESW_SX_SY_S15_S19_S1B_T6_T7_T9_mT8_S1D_bDpT10_ENKUlT_T0_E_clISt17integral_constantIbLb0EES1Q_EEDaS1L_S1M_EUlS1L_E_NS1_11comp_targetILNS1_3genE0ELNS1_11target_archE4294967295ELNS1_3gpuE0ELNS1_3repE0EEENS1_30default_config_static_selectorELNS0_4arch9wavefront6targetE1EEEvSZ_
                                        ; -- End function
	.set _ZN7rocprim17ROCPRIM_400000_NS6detail17trampoline_kernelINS0_13select_configILj256ELj13ELNS0_17block_load_methodE3ELS4_3ELS4_3ELNS0_20block_scan_algorithmE0ELj4294967295EEENS1_25partition_config_selectorILNS1_17partition_subalgoE3EjNS0_10empty_typeEbEEZZNS1_14partition_implILS8_3ELb0ES6_jNS0_17counting_iteratorIjlEEPS9_SE_NS0_5tupleIJPjSE_EEENSF_IJSE_SE_EEES9_SG_JZNS1_25segmented_radix_sort_implINS0_14default_configELb1EPK6__halfPSL_PKlPlN2at6native12_GLOBAL__N_18offset_tEEE10hipError_tPvRmT1_PNSt15iterator_traitsISZ_E10value_typeET2_T3_PNS10_IS15_E10value_typeET4_jRbjT5_S1B_jjP12ihipStream_tbEUljE_EEESW_SX_SY_S15_S19_S1B_T6_T7_T9_mT8_S1D_bDpT10_ENKUlT_T0_E_clISt17integral_constantIbLb0EES1Q_EEDaS1L_S1M_EUlS1L_E_NS1_11comp_targetILNS1_3genE0ELNS1_11target_archE4294967295ELNS1_3gpuE0ELNS1_3repE0EEENS1_30default_config_static_selectorELNS0_4arch9wavefront6targetE1EEEvSZ_.num_vgpr, 0
	.set _ZN7rocprim17ROCPRIM_400000_NS6detail17trampoline_kernelINS0_13select_configILj256ELj13ELNS0_17block_load_methodE3ELS4_3ELS4_3ELNS0_20block_scan_algorithmE0ELj4294967295EEENS1_25partition_config_selectorILNS1_17partition_subalgoE3EjNS0_10empty_typeEbEEZZNS1_14partition_implILS8_3ELb0ES6_jNS0_17counting_iteratorIjlEEPS9_SE_NS0_5tupleIJPjSE_EEENSF_IJSE_SE_EEES9_SG_JZNS1_25segmented_radix_sort_implINS0_14default_configELb1EPK6__halfPSL_PKlPlN2at6native12_GLOBAL__N_18offset_tEEE10hipError_tPvRmT1_PNSt15iterator_traitsISZ_E10value_typeET2_T3_PNS10_IS15_E10value_typeET4_jRbjT5_S1B_jjP12ihipStream_tbEUljE_EEESW_SX_SY_S15_S19_S1B_T6_T7_T9_mT8_S1D_bDpT10_ENKUlT_T0_E_clISt17integral_constantIbLb0EES1Q_EEDaS1L_S1M_EUlS1L_E_NS1_11comp_targetILNS1_3genE0ELNS1_11target_archE4294967295ELNS1_3gpuE0ELNS1_3repE0EEENS1_30default_config_static_selectorELNS0_4arch9wavefront6targetE1EEEvSZ_.num_agpr, 0
	.set _ZN7rocprim17ROCPRIM_400000_NS6detail17trampoline_kernelINS0_13select_configILj256ELj13ELNS0_17block_load_methodE3ELS4_3ELS4_3ELNS0_20block_scan_algorithmE0ELj4294967295EEENS1_25partition_config_selectorILNS1_17partition_subalgoE3EjNS0_10empty_typeEbEEZZNS1_14partition_implILS8_3ELb0ES6_jNS0_17counting_iteratorIjlEEPS9_SE_NS0_5tupleIJPjSE_EEENSF_IJSE_SE_EEES9_SG_JZNS1_25segmented_radix_sort_implINS0_14default_configELb1EPK6__halfPSL_PKlPlN2at6native12_GLOBAL__N_18offset_tEEE10hipError_tPvRmT1_PNSt15iterator_traitsISZ_E10value_typeET2_T3_PNS10_IS15_E10value_typeET4_jRbjT5_S1B_jjP12ihipStream_tbEUljE_EEESW_SX_SY_S15_S19_S1B_T6_T7_T9_mT8_S1D_bDpT10_ENKUlT_T0_E_clISt17integral_constantIbLb0EES1Q_EEDaS1L_S1M_EUlS1L_E_NS1_11comp_targetILNS1_3genE0ELNS1_11target_archE4294967295ELNS1_3gpuE0ELNS1_3repE0EEENS1_30default_config_static_selectorELNS0_4arch9wavefront6targetE1EEEvSZ_.numbered_sgpr, 0
	.set _ZN7rocprim17ROCPRIM_400000_NS6detail17trampoline_kernelINS0_13select_configILj256ELj13ELNS0_17block_load_methodE3ELS4_3ELS4_3ELNS0_20block_scan_algorithmE0ELj4294967295EEENS1_25partition_config_selectorILNS1_17partition_subalgoE3EjNS0_10empty_typeEbEEZZNS1_14partition_implILS8_3ELb0ES6_jNS0_17counting_iteratorIjlEEPS9_SE_NS0_5tupleIJPjSE_EEENSF_IJSE_SE_EEES9_SG_JZNS1_25segmented_radix_sort_implINS0_14default_configELb1EPK6__halfPSL_PKlPlN2at6native12_GLOBAL__N_18offset_tEEE10hipError_tPvRmT1_PNSt15iterator_traitsISZ_E10value_typeET2_T3_PNS10_IS15_E10value_typeET4_jRbjT5_S1B_jjP12ihipStream_tbEUljE_EEESW_SX_SY_S15_S19_S1B_T6_T7_T9_mT8_S1D_bDpT10_ENKUlT_T0_E_clISt17integral_constantIbLb0EES1Q_EEDaS1L_S1M_EUlS1L_E_NS1_11comp_targetILNS1_3genE0ELNS1_11target_archE4294967295ELNS1_3gpuE0ELNS1_3repE0EEENS1_30default_config_static_selectorELNS0_4arch9wavefront6targetE1EEEvSZ_.num_named_barrier, 0
	.set _ZN7rocprim17ROCPRIM_400000_NS6detail17trampoline_kernelINS0_13select_configILj256ELj13ELNS0_17block_load_methodE3ELS4_3ELS4_3ELNS0_20block_scan_algorithmE0ELj4294967295EEENS1_25partition_config_selectorILNS1_17partition_subalgoE3EjNS0_10empty_typeEbEEZZNS1_14partition_implILS8_3ELb0ES6_jNS0_17counting_iteratorIjlEEPS9_SE_NS0_5tupleIJPjSE_EEENSF_IJSE_SE_EEES9_SG_JZNS1_25segmented_radix_sort_implINS0_14default_configELb1EPK6__halfPSL_PKlPlN2at6native12_GLOBAL__N_18offset_tEEE10hipError_tPvRmT1_PNSt15iterator_traitsISZ_E10value_typeET2_T3_PNS10_IS15_E10value_typeET4_jRbjT5_S1B_jjP12ihipStream_tbEUljE_EEESW_SX_SY_S15_S19_S1B_T6_T7_T9_mT8_S1D_bDpT10_ENKUlT_T0_E_clISt17integral_constantIbLb0EES1Q_EEDaS1L_S1M_EUlS1L_E_NS1_11comp_targetILNS1_3genE0ELNS1_11target_archE4294967295ELNS1_3gpuE0ELNS1_3repE0EEENS1_30default_config_static_selectorELNS0_4arch9wavefront6targetE1EEEvSZ_.private_seg_size, 0
	.set _ZN7rocprim17ROCPRIM_400000_NS6detail17trampoline_kernelINS0_13select_configILj256ELj13ELNS0_17block_load_methodE3ELS4_3ELS4_3ELNS0_20block_scan_algorithmE0ELj4294967295EEENS1_25partition_config_selectorILNS1_17partition_subalgoE3EjNS0_10empty_typeEbEEZZNS1_14partition_implILS8_3ELb0ES6_jNS0_17counting_iteratorIjlEEPS9_SE_NS0_5tupleIJPjSE_EEENSF_IJSE_SE_EEES9_SG_JZNS1_25segmented_radix_sort_implINS0_14default_configELb1EPK6__halfPSL_PKlPlN2at6native12_GLOBAL__N_18offset_tEEE10hipError_tPvRmT1_PNSt15iterator_traitsISZ_E10value_typeET2_T3_PNS10_IS15_E10value_typeET4_jRbjT5_S1B_jjP12ihipStream_tbEUljE_EEESW_SX_SY_S15_S19_S1B_T6_T7_T9_mT8_S1D_bDpT10_ENKUlT_T0_E_clISt17integral_constantIbLb0EES1Q_EEDaS1L_S1M_EUlS1L_E_NS1_11comp_targetILNS1_3genE0ELNS1_11target_archE4294967295ELNS1_3gpuE0ELNS1_3repE0EEENS1_30default_config_static_selectorELNS0_4arch9wavefront6targetE1EEEvSZ_.uses_vcc, 0
	.set _ZN7rocprim17ROCPRIM_400000_NS6detail17trampoline_kernelINS0_13select_configILj256ELj13ELNS0_17block_load_methodE3ELS4_3ELS4_3ELNS0_20block_scan_algorithmE0ELj4294967295EEENS1_25partition_config_selectorILNS1_17partition_subalgoE3EjNS0_10empty_typeEbEEZZNS1_14partition_implILS8_3ELb0ES6_jNS0_17counting_iteratorIjlEEPS9_SE_NS0_5tupleIJPjSE_EEENSF_IJSE_SE_EEES9_SG_JZNS1_25segmented_radix_sort_implINS0_14default_configELb1EPK6__halfPSL_PKlPlN2at6native12_GLOBAL__N_18offset_tEEE10hipError_tPvRmT1_PNSt15iterator_traitsISZ_E10value_typeET2_T3_PNS10_IS15_E10value_typeET4_jRbjT5_S1B_jjP12ihipStream_tbEUljE_EEESW_SX_SY_S15_S19_S1B_T6_T7_T9_mT8_S1D_bDpT10_ENKUlT_T0_E_clISt17integral_constantIbLb0EES1Q_EEDaS1L_S1M_EUlS1L_E_NS1_11comp_targetILNS1_3genE0ELNS1_11target_archE4294967295ELNS1_3gpuE0ELNS1_3repE0EEENS1_30default_config_static_selectorELNS0_4arch9wavefront6targetE1EEEvSZ_.uses_flat_scratch, 0
	.set _ZN7rocprim17ROCPRIM_400000_NS6detail17trampoline_kernelINS0_13select_configILj256ELj13ELNS0_17block_load_methodE3ELS4_3ELS4_3ELNS0_20block_scan_algorithmE0ELj4294967295EEENS1_25partition_config_selectorILNS1_17partition_subalgoE3EjNS0_10empty_typeEbEEZZNS1_14partition_implILS8_3ELb0ES6_jNS0_17counting_iteratorIjlEEPS9_SE_NS0_5tupleIJPjSE_EEENSF_IJSE_SE_EEES9_SG_JZNS1_25segmented_radix_sort_implINS0_14default_configELb1EPK6__halfPSL_PKlPlN2at6native12_GLOBAL__N_18offset_tEEE10hipError_tPvRmT1_PNSt15iterator_traitsISZ_E10value_typeET2_T3_PNS10_IS15_E10value_typeET4_jRbjT5_S1B_jjP12ihipStream_tbEUljE_EEESW_SX_SY_S15_S19_S1B_T6_T7_T9_mT8_S1D_bDpT10_ENKUlT_T0_E_clISt17integral_constantIbLb0EES1Q_EEDaS1L_S1M_EUlS1L_E_NS1_11comp_targetILNS1_3genE0ELNS1_11target_archE4294967295ELNS1_3gpuE0ELNS1_3repE0EEENS1_30default_config_static_selectorELNS0_4arch9wavefront6targetE1EEEvSZ_.has_dyn_sized_stack, 0
	.set _ZN7rocprim17ROCPRIM_400000_NS6detail17trampoline_kernelINS0_13select_configILj256ELj13ELNS0_17block_load_methodE3ELS4_3ELS4_3ELNS0_20block_scan_algorithmE0ELj4294967295EEENS1_25partition_config_selectorILNS1_17partition_subalgoE3EjNS0_10empty_typeEbEEZZNS1_14partition_implILS8_3ELb0ES6_jNS0_17counting_iteratorIjlEEPS9_SE_NS0_5tupleIJPjSE_EEENSF_IJSE_SE_EEES9_SG_JZNS1_25segmented_radix_sort_implINS0_14default_configELb1EPK6__halfPSL_PKlPlN2at6native12_GLOBAL__N_18offset_tEEE10hipError_tPvRmT1_PNSt15iterator_traitsISZ_E10value_typeET2_T3_PNS10_IS15_E10value_typeET4_jRbjT5_S1B_jjP12ihipStream_tbEUljE_EEESW_SX_SY_S15_S19_S1B_T6_T7_T9_mT8_S1D_bDpT10_ENKUlT_T0_E_clISt17integral_constantIbLb0EES1Q_EEDaS1L_S1M_EUlS1L_E_NS1_11comp_targetILNS1_3genE0ELNS1_11target_archE4294967295ELNS1_3gpuE0ELNS1_3repE0EEENS1_30default_config_static_selectorELNS0_4arch9wavefront6targetE1EEEvSZ_.has_recursion, 0
	.set _ZN7rocprim17ROCPRIM_400000_NS6detail17trampoline_kernelINS0_13select_configILj256ELj13ELNS0_17block_load_methodE3ELS4_3ELS4_3ELNS0_20block_scan_algorithmE0ELj4294967295EEENS1_25partition_config_selectorILNS1_17partition_subalgoE3EjNS0_10empty_typeEbEEZZNS1_14partition_implILS8_3ELb0ES6_jNS0_17counting_iteratorIjlEEPS9_SE_NS0_5tupleIJPjSE_EEENSF_IJSE_SE_EEES9_SG_JZNS1_25segmented_radix_sort_implINS0_14default_configELb1EPK6__halfPSL_PKlPlN2at6native12_GLOBAL__N_18offset_tEEE10hipError_tPvRmT1_PNSt15iterator_traitsISZ_E10value_typeET2_T3_PNS10_IS15_E10value_typeET4_jRbjT5_S1B_jjP12ihipStream_tbEUljE_EEESW_SX_SY_S15_S19_S1B_T6_T7_T9_mT8_S1D_bDpT10_ENKUlT_T0_E_clISt17integral_constantIbLb0EES1Q_EEDaS1L_S1M_EUlS1L_E_NS1_11comp_targetILNS1_3genE0ELNS1_11target_archE4294967295ELNS1_3gpuE0ELNS1_3repE0EEENS1_30default_config_static_selectorELNS0_4arch9wavefront6targetE1EEEvSZ_.has_indirect_call, 0
	.section	.AMDGPU.csdata,"",@progbits
; Kernel info:
; codeLenInByte = 0
; TotalNumSgprs: 4
; NumVgprs: 0
; ScratchSize: 0
; MemoryBound: 0
; FloatMode: 240
; IeeeMode: 1
; LDSByteSize: 0 bytes/workgroup (compile time only)
; SGPRBlocks: 0
; VGPRBlocks: 0
; NumSGPRsForWavesPerEU: 4
; NumVGPRsForWavesPerEU: 1
; Occupancy: 10
; WaveLimiterHint : 0
; COMPUTE_PGM_RSRC2:SCRATCH_EN: 0
; COMPUTE_PGM_RSRC2:USER_SGPR: 6
; COMPUTE_PGM_RSRC2:TRAP_HANDLER: 0
; COMPUTE_PGM_RSRC2:TGID_X_EN: 1
; COMPUTE_PGM_RSRC2:TGID_Y_EN: 0
; COMPUTE_PGM_RSRC2:TGID_Z_EN: 0
; COMPUTE_PGM_RSRC2:TIDIG_COMP_CNT: 0
	.section	.text._ZN7rocprim17ROCPRIM_400000_NS6detail17trampoline_kernelINS0_13select_configILj256ELj13ELNS0_17block_load_methodE3ELS4_3ELS4_3ELNS0_20block_scan_algorithmE0ELj4294967295EEENS1_25partition_config_selectorILNS1_17partition_subalgoE3EjNS0_10empty_typeEbEEZZNS1_14partition_implILS8_3ELb0ES6_jNS0_17counting_iteratorIjlEEPS9_SE_NS0_5tupleIJPjSE_EEENSF_IJSE_SE_EEES9_SG_JZNS1_25segmented_radix_sort_implINS0_14default_configELb1EPK6__halfPSL_PKlPlN2at6native12_GLOBAL__N_18offset_tEEE10hipError_tPvRmT1_PNSt15iterator_traitsISZ_E10value_typeET2_T3_PNS10_IS15_E10value_typeET4_jRbjT5_S1B_jjP12ihipStream_tbEUljE_EEESW_SX_SY_S15_S19_S1B_T6_T7_T9_mT8_S1D_bDpT10_ENKUlT_T0_E_clISt17integral_constantIbLb0EES1Q_EEDaS1L_S1M_EUlS1L_E_NS1_11comp_targetILNS1_3genE5ELNS1_11target_archE942ELNS1_3gpuE9ELNS1_3repE0EEENS1_30default_config_static_selectorELNS0_4arch9wavefront6targetE1EEEvSZ_,"axG",@progbits,_ZN7rocprim17ROCPRIM_400000_NS6detail17trampoline_kernelINS0_13select_configILj256ELj13ELNS0_17block_load_methodE3ELS4_3ELS4_3ELNS0_20block_scan_algorithmE0ELj4294967295EEENS1_25partition_config_selectorILNS1_17partition_subalgoE3EjNS0_10empty_typeEbEEZZNS1_14partition_implILS8_3ELb0ES6_jNS0_17counting_iteratorIjlEEPS9_SE_NS0_5tupleIJPjSE_EEENSF_IJSE_SE_EEES9_SG_JZNS1_25segmented_radix_sort_implINS0_14default_configELb1EPK6__halfPSL_PKlPlN2at6native12_GLOBAL__N_18offset_tEEE10hipError_tPvRmT1_PNSt15iterator_traitsISZ_E10value_typeET2_T3_PNS10_IS15_E10value_typeET4_jRbjT5_S1B_jjP12ihipStream_tbEUljE_EEESW_SX_SY_S15_S19_S1B_T6_T7_T9_mT8_S1D_bDpT10_ENKUlT_T0_E_clISt17integral_constantIbLb0EES1Q_EEDaS1L_S1M_EUlS1L_E_NS1_11comp_targetILNS1_3genE5ELNS1_11target_archE942ELNS1_3gpuE9ELNS1_3repE0EEENS1_30default_config_static_selectorELNS0_4arch9wavefront6targetE1EEEvSZ_,comdat
	.globl	_ZN7rocprim17ROCPRIM_400000_NS6detail17trampoline_kernelINS0_13select_configILj256ELj13ELNS0_17block_load_methodE3ELS4_3ELS4_3ELNS0_20block_scan_algorithmE0ELj4294967295EEENS1_25partition_config_selectorILNS1_17partition_subalgoE3EjNS0_10empty_typeEbEEZZNS1_14partition_implILS8_3ELb0ES6_jNS0_17counting_iteratorIjlEEPS9_SE_NS0_5tupleIJPjSE_EEENSF_IJSE_SE_EEES9_SG_JZNS1_25segmented_radix_sort_implINS0_14default_configELb1EPK6__halfPSL_PKlPlN2at6native12_GLOBAL__N_18offset_tEEE10hipError_tPvRmT1_PNSt15iterator_traitsISZ_E10value_typeET2_T3_PNS10_IS15_E10value_typeET4_jRbjT5_S1B_jjP12ihipStream_tbEUljE_EEESW_SX_SY_S15_S19_S1B_T6_T7_T9_mT8_S1D_bDpT10_ENKUlT_T0_E_clISt17integral_constantIbLb0EES1Q_EEDaS1L_S1M_EUlS1L_E_NS1_11comp_targetILNS1_3genE5ELNS1_11target_archE942ELNS1_3gpuE9ELNS1_3repE0EEENS1_30default_config_static_selectorELNS0_4arch9wavefront6targetE1EEEvSZ_ ; -- Begin function _ZN7rocprim17ROCPRIM_400000_NS6detail17trampoline_kernelINS0_13select_configILj256ELj13ELNS0_17block_load_methodE3ELS4_3ELS4_3ELNS0_20block_scan_algorithmE0ELj4294967295EEENS1_25partition_config_selectorILNS1_17partition_subalgoE3EjNS0_10empty_typeEbEEZZNS1_14partition_implILS8_3ELb0ES6_jNS0_17counting_iteratorIjlEEPS9_SE_NS0_5tupleIJPjSE_EEENSF_IJSE_SE_EEES9_SG_JZNS1_25segmented_radix_sort_implINS0_14default_configELb1EPK6__halfPSL_PKlPlN2at6native12_GLOBAL__N_18offset_tEEE10hipError_tPvRmT1_PNSt15iterator_traitsISZ_E10value_typeET2_T3_PNS10_IS15_E10value_typeET4_jRbjT5_S1B_jjP12ihipStream_tbEUljE_EEESW_SX_SY_S15_S19_S1B_T6_T7_T9_mT8_S1D_bDpT10_ENKUlT_T0_E_clISt17integral_constantIbLb0EES1Q_EEDaS1L_S1M_EUlS1L_E_NS1_11comp_targetILNS1_3genE5ELNS1_11target_archE942ELNS1_3gpuE9ELNS1_3repE0EEENS1_30default_config_static_selectorELNS0_4arch9wavefront6targetE1EEEvSZ_
	.p2align	8
	.type	_ZN7rocprim17ROCPRIM_400000_NS6detail17trampoline_kernelINS0_13select_configILj256ELj13ELNS0_17block_load_methodE3ELS4_3ELS4_3ELNS0_20block_scan_algorithmE0ELj4294967295EEENS1_25partition_config_selectorILNS1_17partition_subalgoE3EjNS0_10empty_typeEbEEZZNS1_14partition_implILS8_3ELb0ES6_jNS0_17counting_iteratorIjlEEPS9_SE_NS0_5tupleIJPjSE_EEENSF_IJSE_SE_EEES9_SG_JZNS1_25segmented_radix_sort_implINS0_14default_configELb1EPK6__halfPSL_PKlPlN2at6native12_GLOBAL__N_18offset_tEEE10hipError_tPvRmT1_PNSt15iterator_traitsISZ_E10value_typeET2_T3_PNS10_IS15_E10value_typeET4_jRbjT5_S1B_jjP12ihipStream_tbEUljE_EEESW_SX_SY_S15_S19_S1B_T6_T7_T9_mT8_S1D_bDpT10_ENKUlT_T0_E_clISt17integral_constantIbLb0EES1Q_EEDaS1L_S1M_EUlS1L_E_NS1_11comp_targetILNS1_3genE5ELNS1_11target_archE942ELNS1_3gpuE9ELNS1_3repE0EEENS1_30default_config_static_selectorELNS0_4arch9wavefront6targetE1EEEvSZ_,@function
_ZN7rocprim17ROCPRIM_400000_NS6detail17trampoline_kernelINS0_13select_configILj256ELj13ELNS0_17block_load_methodE3ELS4_3ELS4_3ELNS0_20block_scan_algorithmE0ELj4294967295EEENS1_25partition_config_selectorILNS1_17partition_subalgoE3EjNS0_10empty_typeEbEEZZNS1_14partition_implILS8_3ELb0ES6_jNS0_17counting_iteratorIjlEEPS9_SE_NS0_5tupleIJPjSE_EEENSF_IJSE_SE_EEES9_SG_JZNS1_25segmented_radix_sort_implINS0_14default_configELb1EPK6__halfPSL_PKlPlN2at6native12_GLOBAL__N_18offset_tEEE10hipError_tPvRmT1_PNSt15iterator_traitsISZ_E10value_typeET2_T3_PNS10_IS15_E10value_typeET4_jRbjT5_S1B_jjP12ihipStream_tbEUljE_EEESW_SX_SY_S15_S19_S1B_T6_T7_T9_mT8_S1D_bDpT10_ENKUlT_T0_E_clISt17integral_constantIbLb0EES1Q_EEDaS1L_S1M_EUlS1L_E_NS1_11comp_targetILNS1_3genE5ELNS1_11target_archE942ELNS1_3gpuE9ELNS1_3repE0EEENS1_30default_config_static_selectorELNS0_4arch9wavefront6targetE1EEEvSZ_: ; @_ZN7rocprim17ROCPRIM_400000_NS6detail17trampoline_kernelINS0_13select_configILj256ELj13ELNS0_17block_load_methodE3ELS4_3ELS4_3ELNS0_20block_scan_algorithmE0ELj4294967295EEENS1_25partition_config_selectorILNS1_17partition_subalgoE3EjNS0_10empty_typeEbEEZZNS1_14partition_implILS8_3ELb0ES6_jNS0_17counting_iteratorIjlEEPS9_SE_NS0_5tupleIJPjSE_EEENSF_IJSE_SE_EEES9_SG_JZNS1_25segmented_radix_sort_implINS0_14default_configELb1EPK6__halfPSL_PKlPlN2at6native12_GLOBAL__N_18offset_tEEE10hipError_tPvRmT1_PNSt15iterator_traitsISZ_E10value_typeET2_T3_PNS10_IS15_E10value_typeET4_jRbjT5_S1B_jjP12ihipStream_tbEUljE_EEESW_SX_SY_S15_S19_S1B_T6_T7_T9_mT8_S1D_bDpT10_ENKUlT_T0_E_clISt17integral_constantIbLb0EES1Q_EEDaS1L_S1M_EUlS1L_E_NS1_11comp_targetILNS1_3genE5ELNS1_11target_archE942ELNS1_3gpuE9ELNS1_3repE0EEENS1_30default_config_static_selectorELNS0_4arch9wavefront6targetE1EEEvSZ_
; %bb.0:
	.section	.rodata,"a",@progbits
	.p2align	6, 0x0
	.amdhsa_kernel _ZN7rocprim17ROCPRIM_400000_NS6detail17trampoline_kernelINS0_13select_configILj256ELj13ELNS0_17block_load_methodE3ELS4_3ELS4_3ELNS0_20block_scan_algorithmE0ELj4294967295EEENS1_25partition_config_selectorILNS1_17partition_subalgoE3EjNS0_10empty_typeEbEEZZNS1_14partition_implILS8_3ELb0ES6_jNS0_17counting_iteratorIjlEEPS9_SE_NS0_5tupleIJPjSE_EEENSF_IJSE_SE_EEES9_SG_JZNS1_25segmented_radix_sort_implINS0_14default_configELb1EPK6__halfPSL_PKlPlN2at6native12_GLOBAL__N_18offset_tEEE10hipError_tPvRmT1_PNSt15iterator_traitsISZ_E10value_typeET2_T3_PNS10_IS15_E10value_typeET4_jRbjT5_S1B_jjP12ihipStream_tbEUljE_EEESW_SX_SY_S15_S19_S1B_T6_T7_T9_mT8_S1D_bDpT10_ENKUlT_T0_E_clISt17integral_constantIbLb0EES1Q_EEDaS1L_S1M_EUlS1L_E_NS1_11comp_targetILNS1_3genE5ELNS1_11target_archE942ELNS1_3gpuE9ELNS1_3repE0EEENS1_30default_config_static_selectorELNS0_4arch9wavefront6targetE1EEEvSZ_
		.amdhsa_group_segment_fixed_size 0
		.amdhsa_private_segment_fixed_size 0
		.amdhsa_kernarg_size 144
		.amdhsa_user_sgpr_count 6
		.amdhsa_user_sgpr_private_segment_buffer 1
		.amdhsa_user_sgpr_dispatch_ptr 0
		.amdhsa_user_sgpr_queue_ptr 0
		.amdhsa_user_sgpr_kernarg_segment_ptr 1
		.amdhsa_user_sgpr_dispatch_id 0
		.amdhsa_user_sgpr_flat_scratch_init 0
		.amdhsa_user_sgpr_private_segment_size 0
		.amdhsa_uses_dynamic_stack 0
		.amdhsa_system_sgpr_private_segment_wavefront_offset 0
		.amdhsa_system_sgpr_workgroup_id_x 1
		.amdhsa_system_sgpr_workgroup_id_y 0
		.amdhsa_system_sgpr_workgroup_id_z 0
		.amdhsa_system_sgpr_workgroup_info 0
		.amdhsa_system_vgpr_workitem_id 0
		.amdhsa_next_free_vgpr 1
		.amdhsa_next_free_sgpr 0
		.amdhsa_reserve_vcc 0
		.amdhsa_reserve_flat_scratch 0
		.amdhsa_float_round_mode_32 0
		.amdhsa_float_round_mode_16_64 0
		.amdhsa_float_denorm_mode_32 3
		.amdhsa_float_denorm_mode_16_64 3
		.amdhsa_dx10_clamp 1
		.amdhsa_ieee_mode 1
		.amdhsa_fp16_overflow 0
		.amdhsa_exception_fp_ieee_invalid_op 0
		.amdhsa_exception_fp_denorm_src 0
		.amdhsa_exception_fp_ieee_div_zero 0
		.amdhsa_exception_fp_ieee_overflow 0
		.amdhsa_exception_fp_ieee_underflow 0
		.amdhsa_exception_fp_ieee_inexact 0
		.amdhsa_exception_int_div_zero 0
	.end_amdhsa_kernel
	.section	.text._ZN7rocprim17ROCPRIM_400000_NS6detail17trampoline_kernelINS0_13select_configILj256ELj13ELNS0_17block_load_methodE3ELS4_3ELS4_3ELNS0_20block_scan_algorithmE0ELj4294967295EEENS1_25partition_config_selectorILNS1_17partition_subalgoE3EjNS0_10empty_typeEbEEZZNS1_14partition_implILS8_3ELb0ES6_jNS0_17counting_iteratorIjlEEPS9_SE_NS0_5tupleIJPjSE_EEENSF_IJSE_SE_EEES9_SG_JZNS1_25segmented_radix_sort_implINS0_14default_configELb1EPK6__halfPSL_PKlPlN2at6native12_GLOBAL__N_18offset_tEEE10hipError_tPvRmT1_PNSt15iterator_traitsISZ_E10value_typeET2_T3_PNS10_IS15_E10value_typeET4_jRbjT5_S1B_jjP12ihipStream_tbEUljE_EEESW_SX_SY_S15_S19_S1B_T6_T7_T9_mT8_S1D_bDpT10_ENKUlT_T0_E_clISt17integral_constantIbLb0EES1Q_EEDaS1L_S1M_EUlS1L_E_NS1_11comp_targetILNS1_3genE5ELNS1_11target_archE942ELNS1_3gpuE9ELNS1_3repE0EEENS1_30default_config_static_selectorELNS0_4arch9wavefront6targetE1EEEvSZ_,"axG",@progbits,_ZN7rocprim17ROCPRIM_400000_NS6detail17trampoline_kernelINS0_13select_configILj256ELj13ELNS0_17block_load_methodE3ELS4_3ELS4_3ELNS0_20block_scan_algorithmE0ELj4294967295EEENS1_25partition_config_selectorILNS1_17partition_subalgoE3EjNS0_10empty_typeEbEEZZNS1_14partition_implILS8_3ELb0ES6_jNS0_17counting_iteratorIjlEEPS9_SE_NS0_5tupleIJPjSE_EEENSF_IJSE_SE_EEES9_SG_JZNS1_25segmented_radix_sort_implINS0_14default_configELb1EPK6__halfPSL_PKlPlN2at6native12_GLOBAL__N_18offset_tEEE10hipError_tPvRmT1_PNSt15iterator_traitsISZ_E10value_typeET2_T3_PNS10_IS15_E10value_typeET4_jRbjT5_S1B_jjP12ihipStream_tbEUljE_EEESW_SX_SY_S15_S19_S1B_T6_T7_T9_mT8_S1D_bDpT10_ENKUlT_T0_E_clISt17integral_constantIbLb0EES1Q_EEDaS1L_S1M_EUlS1L_E_NS1_11comp_targetILNS1_3genE5ELNS1_11target_archE942ELNS1_3gpuE9ELNS1_3repE0EEENS1_30default_config_static_selectorELNS0_4arch9wavefront6targetE1EEEvSZ_,comdat
.Lfunc_end1708:
	.size	_ZN7rocprim17ROCPRIM_400000_NS6detail17trampoline_kernelINS0_13select_configILj256ELj13ELNS0_17block_load_methodE3ELS4_3ELS4_3ELNS0_20block_scan_algorithmE0ELj4294967295EEENS1_25partition_config_selectorILNS1_17partition_subalgoE3EjNS0_10empty_typeEbEEZZNS1_14partition_implILS8_3ELb0ES6_jNS0_17counting_iteratorIjlEEPS9_SE_NS0_5tupleIJPjSE_EEENSF_IJSE_SE_EEES9_SG_JZNS1_25segmented_radix_sort_implINS0_14default_configELb1EPK6__halfPSL_PKlPlN2at6native12_GLOBAL__N_18offset_tEEE10hipError_tPvRmT1_PNSt15iterator_traitsISZ_E10value_typeET2_T3_PNS10_IS15_E10value_typeET4_jRbjT5_S1B_jjP12ihipStream_tbEUljE_EEESW_SX_SY_S15_S19_S1B_T6_T7_T9_mT8_S1D_bDpT10_ENKUlT_T0_E_clISt17integral_constantIbLb0EES1Q_EEDaS1L_S1M_EUlS1L_E_NS1_11comp_targetILNS1_3genE5ELNS1_11target_archE942ELNS1_3gpuE9ELNS1_3repE0EEENS1_30default_config_static_selectorELNS0_4arch9wavefront6targetE1EEEvSZ_, .Lfunc_end1708-_ZN7rocprim17ROCPRIM_400000_NS6detail17trampoline_kernelINS0_13select_configILj256ELj13ELNS0_17block_load_methodE3ELS4_3ELS4_3ELNS0_20block_scan_algorithmE0ELj4294967295EEENS1_25partition_config_selectorILNS1_17partition_subalgoE3EjNS0_10empty_typeEbEEZZNS1_14partition_implILS8_3ELb0ES6_jNS0_17counting_iteratorIjlEEPS9_SE_NS0_5tupleIJPjSE_EEENSF_IJSE_SE_EEES9_SG_JZNS1_25segmented_radix_sort_implINS0_14default_configELb1EPK6__halfPSL_PKlPlN2at6native12_GLOBAL__N_18offset_tEEE10hipError_tPvRmT1_PNSt15iterator_traitsISZ_E10value_typeET2_T3_PNS10_IS15_E10value_typeET4_jRbjT5_S1B_jjP12ihipStream_tbEUljE_EEESW_SX_SY_S15_S19_S1B_T6_T7_T9_mT8_S1D_bDpT10_ENKUlT_T0_E_clISt17integral_constantIbLb0EES1Q_EEDaS1L_S1M_EUlS1L_E_NS1_11comp_targetILNS1_3genE5ELNS1_11target_archE942ELNS1_3gpuE9ELNS1_3repE0EEENS1_30default_config_static_selectorELNS0_4arch9wavefront6targetE1EEEvSZ_
                                        ; -- End function
	.set _ZN7rocprim17ROCPRIM_400000_NS6detail17trampoline_kernelINS0_13select_configILj256ELj13ELNS0_17block_load_methodE3ELS4_3ELS4_3ELNS0_20block_scan_algorithmE0ELj4294967295EEENS1_25partition_config_selectorILNS1_17partition_subalgoE3EjNS0_10empty_typeEbEEZZNS1_14partition_implILS8_3ELb0ES6_jNS0_17counting_iteratorIjlEEPS9_SE_NS0_5tupleIJPjSE_EEENSF_IJSE_SE_EEES9_SG_JZNS1_25segmented_radix_sort_implINS0_14default_configELb1EPK6__halfPSL_PKlPlN2at6native12_GLOBAL__N_18offset_tEEE10hipError_tPvRmT1_PNSt15iterator_traitsISZ_E10value_typeET2_T3_PNS10_IS15_E10value_typeET4_jRbjT5_S1B_jjP12ihipStream_tbEUljE_EEESW_SX_SY_S15_S19_S1B_T6_T7_T9_mT8_S1D_bDpT10_ENKUlT_T0_E_clISt17integral_constantIbLb0EES1Q_EEDaS1L_S1M_EUlS1L_E_NS1_11comp_targetILNS1_3genE5ELNS1_11target_archE942ELNS1_3gpuE9ELNS1_3repE0EEENS1_30default_config_static_selectorELNS0_4arch9wavefront6targetE1EEEvSZ_.num_vgpr, 0
	.set _ZN7rocprim17ROCPRIM_400000_NS6detail17trampoline_kernelINS0_13select_configILj256ELj13ELNS0_17block_load_methodE3ELS4_3ELS4_3ELNS0_20block_scan_algorithmE0ELj4294967295EEENS1_25partition_config_selectorILNS1_17partition_subalgoE3EjNS0_10empty_typeEbEEZZNS1_14partition_implILS8_3ELb0ES6_jNS0_17counting_iteratorIjlEEPS9_SE_NS0_5tupleIJPjSE_EEENSF_IJSE_SE_EEES9_SG_JZNS1_25segmented_radix_sort_implINS0_14default_configELb1EPK6__halfPSL_PKlPlN2at6native12_GLOBAL__N_18offset_tEEE10hipError_tPvRmT1_PNSt15iterator_traitsISZ_E10value_typeET2_T3_PNS10_IS15_E10value_typeET4_jRbjT5_S1B_jjP12ihipStream_tbEUljE_EEESW_SX_SY_S15_S19_S1B_T6_T7_T9_mT8_S1D_bDpT10_ENKUlT_T0_E_clISt17integral_constantIbLb0EES1Q_EEDaS1L_S1M_EUlS1L_E_NS1_11comp_targetILNS1_3genE5ELNS1_11target_archE942ELNS1_3gpuE9ELNS1_3repE0EEENS1_30default_config_static_selectorELNS0_4arch9wavefront6targetE1EEEvSZ_.num_agpr, 0
	.set _ZN7rocprim17ROCPRIM_400000_NS6detail17trampoline_kernelINS0_13select_configILj256ELj13ELNS0_17block_load_methodE3ELS4_3ELS4_3ELNS0_20block_scan_algorithmE0ELj4294967295EEENS1_25partition_config_selectorILNS1_17partition_subalgoE3EjNS0_10empty_typeEbEEZZNS1_14partition_implILS8_3ELb0ES6_jNS0_17counting_iteratorIjlEEPS9_SE_NS0_5tupleIJPjSE_EEENSF_IJSE_SE_EEES9_SG_JZNS1_25segmented_radix_sort_implINS0_14default_configELb1EPK6__halfPSL_PKlPlN2at6native12_GLOBAL__N_18offset_tEEE10hipError_tPvRmT1_PNSt15iterator_traitsISZ_E10value_typeET2_T3_PNS10_IS15_E10value_typeET4_jRbjT5_S1B_jjP12ihipStream_tbEUljE_EEESW_SX_SY_S15_S19_S1B_T6_T7_T9_mT8_S1D_bDpT10_ENKUlT_T0_E_clISt17integral_constantIbLb0EES1Q_EEDaS1L_S1M_EUlS1L_E_NS1_11comp_targetILNS1_3genE5ELNS1_11target_archE942ELNS1_3gpuE9ELNS1_3repE0EEENS1_30default_config_static_selectorELNS0_4arch9wavefront6targetE1EEEvSZ_.numbered_sgpr, 0
	.set _ZN7rocprim17ROCPRIM_400000_NS6detail17trampoline_kernelINS0_13select_configILj256ELj13ELNS0_17block_load_methodE3ELS4_3ELS4_3ELNS0_20block_scan_algorithmE0ELj4294967295EEENS1_25partition_config_selectorILNS1_17partition_subalgoE3EjNS0_10empty_typeEbEEZZNS1_14partition_implILS8_3ELb0ES6_jNS0_17counting_iteratorIjlEEPS9_SE_NS0_5tupleIJPjSE_EEENSF_IJSE_SE_EEES9_SG_JZNS1_25segmented_radix_sort_implINS0_14default_configELb1EPK6__halfPSL_PKlPlN2at6native12_GLOBAL__N_18offset_tEEE10hipError_tPvRmT1_PNSt15iterator_traitsISZ_E10value_typeET2_T3_PNS10_IS15_E10value_typeET4_jRbjT5_S1B_jjP12ihipStream_tbEUljE_EEESW_SX_SY_S15_S19_S1B_T6_T7_T9_mT8_S1D_bDpT10_ENKUlT_T0_E_clISt17integral_constantIbLb0EES1Q_EEDaS1L_S1M_EUlS1L_E_NS1_11comp_targetILNS1_3genE5ELNS1_11target_archE942ELNS1_3gpuE9ELNS1_3repE0EEENS1_30default_config_static_selectorELNS0_4arch9wavefront6targetE1EEEvSZ_.num_named_barrier, 0
	.set _ZN7rocprim17ROCPRIM_400000_NS6detail17trampoline_kernelINS0_13select_configILj256ELj13ELNS0_17block_load_methodE3ELS4_3ELS4_3ELNS0_20block_scan_algorithmE0ELj4294967295EEENS1_25partition_config_selectorILNS1_17partition_subalgoE3EjNS0_10empty_typeEbEEZZNS1_14partition_implILS8_3ELb0ES6_jNS0_17counting_iteratorIjlEEPS9_SE_NS0_5tupleIJPjSE_EEENSF_IJSE_SE_EEES9_SG_JZNS1_25segmented_radix_sort_implINS0_14default_configELb1EPK6__halfPSL_PKlPlN2at6native12_GLOBAL__N_18offset_tEEE10hipError_tPvRmT1_PNSt15iterator_traitsISZ_E10value_typeET2_T3_PNS10_IS15_E10value_typeET4_jRbjT5_S1B_jjP12ihipStream_tbEUljE_EEESW_SX_SY_S15_S19_S1B_T6_T7_T9_mT8_S1D_bDpT10_ENKUlT_T0_E_clISt17integral_constantIbLb0EES1Q_EEDaS1L_S1M_EUlS1L_E_NS1_11comp_targetILNS1_3genE5ELNS1_11target_archE942ELNS1_3gpuE9ELNS1_3repE0EEENS1_30default_config_static_selectorELNS0_4arch9wavefront6targetE1EEEvSZ_.private_seg_size, 0
	.set _ZN7rocprim17ROCPRIM_400000_NS6detail17trampoline_kernelINS0_13select_configILj256ELj13ELNS0_17block_load_methodE3ELS4_3ELS4_3ELNS0_20block_scan_algorithmE0ELj4294967295EEENS1_25partition_config_selectorILNS1_17partition_subalgoE3EjNS0_10empty_typeEbEEZZNS1_14partition_implILS8_3ELb0ES6_jNS0_17counting_iteratorIjlEEPS9_SE_NS0_5tupleIJPjSE_EEENSF_IJSE_SE_EEES9_SG_JZNS1_25segmented_radix_sort_implINS0_14default_configELb1EPK6__halfPSL_PKlPlN2at6native12_GLOBAL__N_18offset_tEEE10hipError_tPvRmT1_PNSt15iterator_traitsISZ_E10value_typeET2_T3_PNS10_IS15_E10value_typeET4_jRbjT5_S1B_jjP12ihipStream_tbEUljE_EEESW_SX_SY_S15_S19_S1B_T6_T7_T9_mT8_S1D_bDpT10_ENKUlT_T0_E_clISt17integral_constantIbLb0EES1Q_EEDaS1L_S1M_EUlS1L_E_NS1_11comp_targetILNS1_3genE5ELNS1_11target_archE942ELNS1_3gpuE9ELNS1_3repE0EEENS1_30default_config_static_selectorELNS0_4arch9wavefront6targetE1EEEvSZ_.uses_vcc, 0
	.set _ZN7rocprim17ROCPRIM_400000_NS6detail17trampoline_kernelINS0_13select_configILj256ELj13ELNS0_17block_load_methodE3ELS4_3ELS4_3ELNS0_20block_scan_algorithmE0ELj4294967295EEENS1_25partition_config_selectorILNS1_17partition_subalgoE3EjNS0_10empty_typeEbEEZZNS1_14partition_implILS8_3ELb0ES6_jNS0_17counting_iteratorIjlEEPS9_SE_NS0_5tupleIJPjSE_EEENSF_IJSE_SE_EEES9_SG_JZNS1_25segmented_radix_sort_implINS0_14default_configELb1EPK6__halfPSL_PKlPlN2at6native12_GLOBAL__N_18offset_tEEE10hipError_tPvRmT1_PNSt15iterator_traitsISZ_E10value_typeET2_T3_PNS10_IS15_E10value_typeET4_jRbjT5_S1B_jjP12ihipStream_tbEUljE_EEESW_SX_SY_S15_S19_S1B_T6_T7_T9_mT8_S1D_bDpT10_ENKUlT_T0_E_clISt17integral_constantIbLb0EES1Q_EEDaS1L_S1M_EUlS1L_E_NS1_11comp_targetILNS1_3genE5ELNS1_11target_archE942ELNS1_3gpuE9ELNS1_3repE0EEENS1_30default_config_static_selectorELNS0_4arch9wavefront6targetE1EEEvSZ_.uses_flat_scratch, 0
	.set _ZN7rocprim17ROCPRIM_400000_NS6detail17trampoline_kernelINS0_13select_configILj256ELj13ELNS0_17block_load_methodE3ELS4_3ELS4_3ELNS0_20block_scan_algorithmE0ELj4294967295EEENS1_25partition_config_selectorILNS1_17partition_subalgoE3EjNS0_10empty_typeEbEEZZNS1_14partition_implILS8_3ELb0ES6_jNS0_17counting_iteratorIjlEEPS9_SE_NS0_5tupleIJPjSE_EEENSF_IJSE_SE_EEES9_SG_JZNS1_25segmented_radix_sort_implINS0_14default_configELb1EPK6__halfPSL_PKlPlN2at6native12_GLOBAL__N_18offset_tEEE10hipError_tPvRmT1_PNSt15iterator_traitsISZ_E10value_typeET2_T3_PNS10_IS15_E10value_typeET4_jRbjT5_S1B_jjP12ihipStream_tbEUljE_EEESW_SX_SY_S15_S19_S1B_T6_T7_T9_mT8_S1D_bDpT10_ENKUlT_T0_E_clISt17integral_constantIbLb0EES1Q_EEDaS1L_S1M_EUlS1L_E_NS1_11comp_targetILNS1_3genE5ELNS1_11target_archE942ELNS1_3gpuE9ELNS1_3repE0EEENS1_30default_config_static_selectorELNS0_4arch9wavefront6targetE1EEEvSZ_.has_dyn_sized_stack, 0
	.set _ZN7rocprim17ROCPRIM_400000_NS6detail17trampoline_kernelINS0_13select_configILj256ELj13ELNS0_17block_load_methodE3ELS4_3ELS4_3ELNS0_20block_scan_algorithmE0ELj4294967295EEENS1_25partition_config_selectorILNS1_17partition_subalgoE3EjNS0_10empty_typeEbEEZZNS1_14partition_implILS8_3ELb0ES6_jNS0_17counting_iteratorIjlEEPS9_SE_NS0_5tupleIJPjSE_EEENSF_IJSE_SE_EEES9_SG_JZNS1_25segmented_radix_sort_implINS0_14default_configELb1EPK6__halfPSL_PKlPlN2at6native12_GLOBAL__N_18offset_tEEE10hipError_tPvRmT1_PNSt15iterator_traitsISZ_E10value_typeET2_T3_PNS10_IS15_E10value_typeET4_jRbjT5_S1B_jjP12ihipStream_tbEUljE_EEESW_SX_SY_S15_S19_S1B_T6_T7_T9_mT8_S1D_bDpT10_ENKUlT_T0_E_clISt17integral_constantIbLb0EES1Q_EEDaS1L_S1M_EUlS1L_E_NS1_11comp_targetILNS1_3genE5ELNS1_11target_archE942ELNS1_3gpuE9ELNS1_3repE0EEENS1_30default_config_static_selectorELNS0_4arch9wavefront6targetE1EEEvSZ_.has_recursion, 0
	.set _ZN7rocprim17ROCPRIM_400000_NS6detail17trampoline_kernelINS0_13select_configILj256ELj13ELNS0_17block_load_methodE3ELS4_3ELS4_3ELNS0_20block_scan_algorithmE0ELj4294967295EEENS1_25partition_config_selectorILNS1_17partition_subalgoE3EjNS0_10empty_typeEbEEZZNS1_14partition_implILS8_3ELb0ES6_jNS0_17counting_iteratorIjlEEPS9_SE_NS0_5tupleIJPjSE_EEENSF_IJSE_SE_EEES9_SG_JZNS1_25segmented_radix_sort_implINS0_14default_configELb1EPK6__halfPSL_PKlPlN2at6native12_GLOBAL__N_18offset_tEEE10hipError_tPvRmT1_PNSt15iterator_traitsISZ_E10value_typeET2_T3_PNS10_IS15_E10value_typeET4_jRbjT5_S1B_jjP12ihipStream_tbEUljE_EEESW_SX_SY_S15_S19_S1B_T6_T7_T9_mT8_S1D_bDpT10_ENKUlT_T0_E_clISt17integral_constantIbLb0EES1Q_EEDaS1L_S1M_EUlS1L_E_NS1_11comp_targetILNS1_3genE5ELNS1_11target_archE942ELNS1_3gpuE9ELNS1_3repE0EEENS1_30default_config_static_selectorELNS0_4arch9wavefront6targetE1EEEvSZ_.has_indirect_call, 0
	.section	.AMDGPU.csdata,"",@progbits
; Kernel info:
; codeLenInByte = 0
; TotalNumSgprs: 4
; NumVgprs: 0
; ScratchSize: 0
; MemoryBound: 0
; FloatMode: 240
; IeeeMode: 1
; LDSByteSize: 0 bytes/workgroup (compile time only)
; SGPRBlocks: 0
; VGPRBlocks: 0
; NumSGPRsForWavesPerEU: 4
; NumVGPRsForWavesPerEU: 1
; Occupancy: 10
; WaveLimiterHint : 0
; COMPUTE_PGM_RSRC2:SCRATCH_EN: 0
; COMPUTE_PGM_RSRC2:USER_SGPR: 6
; COMPUTE_PGM_RSRC2:TRAP_HANDLER: 0
; COMPUTE_PGM_RSRC2:TGID_X_EN: 1
; COMPUTE_PGM_RSRC2:TGID_Y_EN: 0
; COMPUTE_PGM_RSRC2:TGID_Z_EN: 0
; COMPUTE_PGM_RSRC2:TIDIG_COMP_CNT: 0
	.section	.text._ZN7rocprim17ROCPRIM_400000_NS6detail17trampoline_kernelINS0_13select_configILj256ELj13ELNS0_17block_load_methodE3ELS4_3ELS4_3ELNS0_20block_scan_algorithmE0ELj4294967295EEENS1_25partition_config_selectorILNS1_17partition_subalgoE3EjNS0_10empty_typeEbEEZZNS1_14partition_implILS8_3ELb0ES6_jNS0_17counting_iteratorIjlEEPS9_SE_NS0_5tupleIJPjSE_EEENSF_IJSE_SE_EEES9_SG_JZNS1_25segmented_radix_sort_implINS0_14default_configELb1EPK6__halfPSL_PKlPlN2at6native12_GLOBAL__N_18offset_tEEE10hipError_tPvRmT1_PNSt15iterator_traitsISZ_E10value_typeET2_T3_PNS10_IS15_E10value_typeET4_jRbjT5_S1B_jjP12ihipStream_tbEUljE_EEESW_SX_SY_S15_S19_S1B_T6_T7_T9_mT8_S1D_bDpT10_ENKUlT_T0_E_clISt17integral_constantIbLb0EES1Q_EEDaS1L_S1M_EUlS1L_E_NS1_11comp_targetILNS1_3genE4ELNS1_11target_archE910ELNS1_3gpuE8ELNS1_3repE0EEENS1_30default_config_static_selectorELNS0_4arch9wavefront6targetE1EEEvSZ_,"axG",@progbits,_ZN7rocprim17ROCPRIM_400000_NS6detail17trampoline_kernelINS0_13select_configILj256ELj13ELNS0_17block_load_methodE3ELS4_3ELS4_3ELNS0_20block_scan_algorithmE0ELj4294967295EEENS1_25partition_config_selectorILNS1_17partition_subalgoE3EjNS0_10empty_typeEbEEZZNS1_14partition_implILS8_3ELb0ES6_jNS0_17counting_iteratorIjlEEPS9_SE_NS0_5tupleIJPjSE_EEENSF_IJSE_SE_EEES9_SG_JZNS1_25segmented_radix_sort_implINS0_14default_configELb1EPK6__halfPSL_PKlPlN2at6native12_GLOBAL__N_18offset_tEEE10hipError_tPvRmT1_PNSt15iterator_traitsISZ_E10value_typeET2_T3_PNS10_IS15_E10value_typeET4_jRbjT5_S1B_jjP12ihipStream_tbEUljE_EEESW_SX_SY_S15_S19_S1B_T6_T7_T9_mT8_S1D_bDpT10_ENKUlT_T0_E_clISt17integral_constantIbLb0EES1Q_EEDaS1L_S1M_EUlS1L_E_NS1_11comp_targetILNS1_3genE4ELNS1_11target_archE910ELNS1_3gpuE8ELNS1_3repE0EEENS1_30default_config_static_selectorELNS0_4arch9wavefront6targetE1EEEvSZ_,comdat
	.globl	_ZN7rocprim17ROCPRIM_400000_NS6detail17trampoline_kernelINS0_13select_configILj256ELj13ELNS0_17block_load_methodE3ELS4_3ELS4_3ELNS0_20block_scan_algorithmE0ELj4294967295EEENS1_25partition_config_selectorILNS1_17partition_subalgoE3EjNS0_10empty_typeEbEEZZNS1_14partition_implILS8_3ELb0ES6_jNS0_17counting_iteratorIjlEEPS9_SE_NS0_5tupleIJPjSE_EEENSF_IJSE_SE_EEES9_SG_JZNS1_25segmented_radix_sort_implINS0_14default_configELb1EPK6__halfPSL_PKlPlN2at6native12_GLOBAL__N_18offset_tEEE10hipError_tPvRmT1_PNSt15iterator_traitsISZ_E10value_typeET2_T3_PNS10_IS15_E10value_typeET4_jRbjT5_S1B_jjP12ihipStream_tbEUljE_EEESW_SX_SY_S15_S19_S1B_T6_T7_T9_mT8_S1D_bDpT10_ENKUlT_T0_E_clISt17integral_constantIbLb0EES1Q_EEDaS1L_S1M_EUlS1L_E_NS1_11comp_targetILNS1_3genE4ELNS1_11target_archE910ELNS1_3gpuE8ELNS1_3repE0EEENS1_30default_config_static_selectorELNS0_4arch9wavefront6targetE1EEEvSZ_ ; -- Begin function _ZN7rocprim17ROCPRIM_400000_NS6detail17trampoline_kernelINS0_13select_configILj256ELj13ELNS0_17block_load_methodE3ELS4_3ELS4_3ELNS0_20block_scan_algorithmE0ELj4294967295EEENS1_25partition_config_selectorILNS1_17partition_subalgoE3EjNS0_10empty_typeEbEEZZNS1_14partition_implILS8_3ELb0ES6_jNS0_17counting_iteratorIjlEEPS9_SE_NS0_5tupleIJPjSE_EEENSF_IJSE_SE_EEES9_SG_JZNS1_25segmented_radix_sort_implINS0_14default_configELb1EPK6__halfPSL_PKlPlN2at6native12_GLOBAL__N_18offset_tEEE10hipError_tPvRmT1_PNSt15iterator_traitsISZ_E10value_typeET2_T3_PNS10_IS15_E10value_typeET4_jRbjT5_S1B_jjP12ihipStream_tbEUljE_EEESW_SX_SY_S15_S19_S1B_T6_T7_T9_mT8_S1D_bDpT10_ENKUlT_T0_E_clISt17integral_constantIbLb0EES1Q_EEDaS1L_S1M_EUlS1L_E_NS1_11comp_targetILNS1_3genE4ELNS1_11target_archE910ELNS1_3gpuE8ELNS1_3repE0EEENS1_30default_config_static_selectorELNS0_4arch9wavefront6targetE1EEEvSZ_
	.p2align	8
	.type	_ZN7rocprim17ROCPRIM_400000_NS6detail17trampoline_kernelINS0_13select_configILj256ELj13ELNS0_17block_load_methodE3ELS4_3ELS4_3ELNS0_20block_scan_algorithmE0ELj4294967295EEENS1_25partition_config_selectorILNS1_17partition_subalgoE3EjNS0_10empty_typeEbEEZZNS1_14partition_implILS8_3ELb0ES6_jNS0_17counting_iteratorIjlEEPS9_SE_NS0_5tupleIJPjSE_EEENSF_IJSE_SE_EEES9_SG_JZNS1_25segmented_radix_sort_implINS0_14default_configELb1EPK6__halfPSL_PKlPlN2at6native12_GLOBAL__N_18offset_tEEE10hipError_tPvRmT1_PNSt15iterator_traitsISZ_E10value_typeET2_T3_PNS10_IS15_E10value_typeET4_jRbjT5_S1B_jjP12ihipStream_tbEUljE_EEESW_SX_SY_S15_S19_S1B_T6_T7_T9_mT8_S1D_bDpT10_ENKUlT_T0_E_clISt17integral_constantIbLb0EES1Q_EEDaS1L_S1M_EUlS1L_E_NS1_11comp_targetILNS1_3genE4ELNS1_11target_archE910ELNS1_3gpuE8ELNS1_3repE0EEENS1_30default_config_static_selectorELNS0_4arch9wavefront6targetE1EEEvSZ_,@function
_ZN7rocprim17ROCPRIM_400000_NS6detail17trampoline_kernelINS0_13select_configILj256ELj13ELNS0_17block_load_methodE3ELS4_3ELS4_3ELNS0_20block_scan_algorithmE0ELj4294967295EEENS1_25partition_config_selectorILNS1_17partition_subalgoE3EjNS0_10empty_typeEbEEZZNS1_14partition_implILS8_3ELb0ES6_jNS0_17counting_iteratorIjlEEPS9_SE_NS0_5tupleIJPjSE_EEENSF_IJSE_SE_EEES9_SG_JZNS1_25segmented_radix_sort_implINS0_14default_configELb1EPK6__halfPSL_PKlPlN2at6native12_GLOBAL__N_18offset_tEEE10hipError_tPvRmT1_PNSt15iterator_traitsISZ_E10value_typeET2_T3_PNS10_IS15_E10value_typeET4_jRbjT5_S1B_jjP12ihipStream_tbEUljE_EEESW_SX_SY_S15_S19_S1B_T6_T7_T9_mT8_S1D_bDpT10_ENKUlT_T0_E_clISt17integral_constantIbLb0EES1Q_EEDaS1L_S1M_EUlS1L_E_NS1_11comp_targetILNS1_3genE4ELNS1_11target_archE910ELNS1_3gpuE8ELNS1_3repE0EEENS1_30default_config_static_selectorELNS0_4arch9wavefront6targetE1EEEvSZ_: ; @_ZN7rocprim17ROCPRIM_400000_NS6detail17trampoline_kernelINS0_13select_configILj256ELj13ELNS0_17block_load_methodE3ELS4_3ELS4_3ELNS0_20block_scan_algorithmE0ELj4294967295EEENS1_25partition_config_selectorILNS1_17partition_subalgoE3EjNS0_10empty_typeEbEEZZNS1_14partition_implILS8_3ELb0ES6_jNS0_17counting_iteratorIjlEEPS9_SE_NS0_5tupleIJPjSE_EEENSF_IJSE_SE_EEES9_SG_JZNS1_25segmented_radix_sort_implINS0_14default_configELb1EPK6__halfPSL_PKlPlN2at6native12_GLOBAL__N_18offset_tEEE10hipError_tPvRmT1_PNSt15iterator_traitsISZ_E10value_typeET2_T3_PNS10_IS15_E10value_typeET4_jRbjT5_S1B_jjP12ihipStream_tbEUljE_EEESW_SX_SY_S15_S19_S1B_T6_T7_T9_mT8_S1D_bDpT10_ENKUlT_T0_E_clISt17integral_constantIbLb0EES1Q_EEDaS1L_S1M_EUlS1L_E_NS1_11comp_targetILNS1_3genE4ELNS1_11target_archE910ELNS1_3gpuE8ELNS1_3repE0EEENS1_30default_config_static_selectorELNS0_4arch9wavefront6targetE1EEEvSZ_
; %bb.0:
	.section	.rodata,"a",@progbits
	.p2align	6, 0x0
	.amdhsa_kernel _ZN7rocprim17ROCPRIM_400000_NS6detail17trampoline_kernelINS0_13select_configILj256ELj13ELNS0_17block_load_methodE3ELS4_3ELS4_3ELNS0_20block_scan_algorithmE0ELj4294967295EEENS1_25partition_config_selectorILNS1_17partition_subalgoE3EjNS0_10empty_typeEbEEZZNS1_14partition_implILS8_3ELb0ES6_jNS0_17counting_iteratorIjlEEPS9_SE_NS0_5tupleIJPjSE_EEENSF_IJSE_SE_EEES9_SG_JZNS1_25segmented_radix_sort_implINS0_14default_configELb1EPK6__halfPSL_PKlPlN2at6native12_GLOBAL__N_18offset_tEEE10hipError_tPvRmT1_PNSt15iterator_traitsISZ_E10value_typeET2_T3_PNS10_IS15_E10value_typeET4_jRbjT5_S1B_jjP12ihipStream_tbEUljE_EEESW_SX_SY_S15_S19_S1B_T6_T7_T9_mT8_S1D_bDpT10_ENKUlT_T0_E_clISt17integral_constantIbLb0EES1Q_EEDaS1L_S1M_EUlS1L_E_NS1_11comp_targetILNS1_3genE4ELNS1_11target_archE910ELNS1_3gpuE8ELNS1_3repE0EEENS1_30default_config_static_selectorELNS0_4arch9wavefront6targetE1EEEvSZ_
		.amdhsa_group_segment_fixed_size 0
		.amdhsa_private_segment_fixed_size 0
		.amdhsa_kernarg_size 144
		.amdhsa_user_sgpr_count 6
		.amdhsa_user_sgpr_private_segment_buffer 1
		.amdhsa_user_sgpr_dispatch_ptr 0
		.amdhsa_user_sgpr_queue_ptr 0
		.amdhsa_user_sgpr_kernarg_segment_ptr 1
		.amdhsa_user_sgpr_dispatch_id 0
		.amdhsa_user_sgpr_flat_scratch_init 0
		.amdhsa_user_sgpr_private_segment_size 0
		.amdhsa_uses_dynamic_stack 0
		.amdhsa_system_sgpr_private_segment_wavefront_offset 0
		.amdhsa_system_sgpr_workgroup_id_x 1
		.amdhsa_system_sgpr_workgroup_id_y 0
		.amdhsa_system_sgpr_workgroup_id_z 0
		.amdhsa_system_sgpr_workgroup_info 0
		.amdhsa_system_vgpr_workitem_id 0
		.amdhsa_next_free_vgpr 1
		.amdhsa_next_free_sgpr 0
		.amdhsa_reserve_vcc 0
		.amdhsa_reserve_flat_scratch 0
		.amdhsa_float_round_mode_32 0
		.amdhsa_float_round_mode_16_64 0
		.amdhsa_float_denorm_mode_32 3
		.amdhsa_float_denorm_mode_16_64 3
		.amdhsa_dx10_clamp 1
		.amdhsa_ieee_mode 1
		.amdhsa_fp16_overflow 0
		.amdhsa_exception_fp_ieee_invalid_op 0
		.amdhsa_exception_fp_denorm_src 0
		.amdhsa_exception_fp_ieee_div_zero 0
		.amdhsa_exception_fp_ieee_overflow 0
		.amdhsa_exception_fp_ieee_underflow 0
		.amdhsa_exception_fp_ieee_inexact 0
		.amdhsa_exception_int_div_zero 0
	.end_amdhsa_kernel
	.section	.text._ZN7rocprim17ROCPRIM_400000_NS6detail17trampoline_kernelINS0_13select_configILj256ELj13ELNS0_17block_load_methodE3ELS4_3ELS4_3ELNS0_20block_scan_algorithmE0ELj4294967295EEENS1_25partition_config_selectorILNS1_17partition_subalgoE3EjNS0_10empty_typeEbEEZZNS1_14partition_implILS8_3ELb0ES6_jNS0_17counting_iteratorIjlEEPS9_SE_NS0_5tupleIJPjSE_EEENSF_IJSE_SE_EEES9_SG_JZNS1_25segmented_radix_sort_implINS0_14default_configELb1EPK6__halfPSL_PKlPlN2at6native12_GLOBAL__N_18offset_tEEE10hipError_tPvRmT1_PNSt15iterator_traitsISZ_E10value_typeET2_T3_PNS10_IS15_E10value_typeET4_jRbjT5_S1B_jjP12ihipStream_tbEUljE_EEESW_SX_SY_S15_S19_S1B_T6_T7_T9_mT8_S1D_bDpT10_ENKUlT_T0_E_clISt17integral_constantIbLb0EES1Q_EEDaS1L_S1M_EUlS1L_E_NS1_11comp_targetILNS1_3genE4ELNS1_11target_archE910ELNS1_3gpuE8ELNS1_3repE0EEENS1_30default_config_static_selectorELNS0_4arch9wavefront6targetE1EEEvSZ_,"axG",@progbits,_ZN7rocprim17ROCPRIM_400000_NS6detail17trampoline_kernelINS0_13select_configILj256ELj13ELNS0_17block_load_methodE3ELS4_3ELS4_3ELNS0_20block_scan_algorithmE0ELj4294967295EEENS1_25partition_config_selectorILNS1_17partition_subalgoE3EjNS0_10empty_typeEbEEZZNS1_14partition_implILS8_3ELb0ES6_jNS0_17counting_iteratorIjlEEPS9_SE_NS0_5tupleIJPjSE_EEENSF_IJSE_SE_EEES9_SG_JZNS1_25segmented_radix_sort_implINS0_14default_configELb1EPK6__halfPSL_PKlPlN2at6native12_GLOBAL__N_18offset_tEEE10hipError_tPvRmT1_PNSt15iterator_traitsISZ_E10value_typeET2_T3_PNS10_IS15_E10value_typeET4_jRbjT5_S1B_jjP12ihipStream_tbEUljE_EEESW_SX_SY_S15_S19_S1B_T6_T7_T9_mT8_S1D_bDpT10_ENKUlT_T0_E_clISt17integral_constantIbLb0EES1Q_EEDaS1L_S1M_EUlS1L_E_NS1_11comp_targetILNS1_3genE4ELNS1_11target_archE910ELNS1_3gpuE8ELNS1_3repE0EEENS1_30default_config_static_selectorELNS0_4arch9wavefront6targetE1EEEvSZ_,comdat
.Lfunc_end1709:
	.size	_ZN7rocprim17ROCPRIM_400000_NS6detail17trampoline_kernelINS0_13select_configILj256ELj13ELNS0_17block_load_methodE3ELS4_3ELS4_3ELNS0_20block_scan_algorithmE0ELj4294967295EEENS1_25partition_config_selectorILNS1_17partition_subalgoE3EjNS0_10empty_typeEbEEZZNS1_14partition_implILS8_3ELb0ES6_jNS0_17counting_iteratorIjlEEPS9_SE_NS0_5tupleIJPjSE_EEENSF_IJSE_SE_EEES9_SG_JZNS1_25segmented_radix_sort_implINS0_14default_configELb1EPK6__halfPSL_PKlPlN2at6native12_GLOBAL__N_18offset_tEEE10hipError_tPvRmT1_PNSt15iterator_traitsISZ_E10value_typeET2_T3_PNS10_IS15_E10value_typeET4_jRbjT5_S1B_jjP12ihipStream_tbEUljE_EEESW_SX_SY_S15_S19_S1B_T6_T7_T9_mT8_S1D_bDpT10_ENKUlT_T0_E_clISt17integral_constantIbLb0EES1Q_EEDaS1L_S1M_EUlS1L_E_NS1_11comp_targetILNS1_3genE4ELNS1_11target_archE910ELNS1_3gpuE8ELNS1_3repE0EEENS1_30default_config_static_selectorELNS0_4arch9wavefront6targetE1EEEvSZ_, .Lfunc_end1709-_ZN7rocprim17ROCPRIM_400000_NS6detail17trampoline_kernelINS0_13select_configILj256ELj13ELNS0_17block_load_methodE3ELS4_3ELS4_3ELNS0_20block_scan_algorithmE0ELj4294967295EEENS1_25partition_config_selectorILNS1_17partition_subalgoE3EjNS0_10empty_typeEbEEZZNS1_14partition_implILS8_3ELb0ES6_jNS0_17counting_iteratorIjlEEPS9_SE_NS0_5tupleIJPjSE_EEENSF_IJSE_SE_EEES9_SG_JZNS1_25segmented_radix_sort_implINS0_14default_configELb1EPK6__halfPSL_PKlPlN2at6native12_GLOBAL__N_18offset_tEEE10hipError_tPvRmT1_PNSt15iterator_traitsISZ_E10value_typeET2_T3_PNS10_IS15_E10value_typeET4_jRbjT5_S1B_jjP12ihipStream_tbEUljE_EEESW_SX_SY_S15_S19_S1B_T6_T7_T9_mT8_S1D_bDpT10_ENKUlT_T0_E_clISt17integral_constantIbLb0EES1Q_EEDaS1L_S1M_EUlS1L_E_NS1_11comp_targetILNS1_3genE4ELNS1_11target_archE910ELNS1_3gpuE8ELNS1_3repE0EEENS1_30default_config_static_selectorELNS0_4arch9wavefront6targetE1EEEvSZ_
                                        ; -- End function
	.set _ZN7rocprim17ROCPRIM_400000_NS6detail17trampoline_kernelINS0_13select_configILj256ELj13ELNS0_17block_load_methodE3ELS4_3ELS4_3ELNS0_20block_scan_algorithmE0ELj4294967295EEENS1_25partition_config_selectorILNS1_17partition_subalgoE3EjNS0_10empty_typeEbEEZZNS1_14partition_implILS8_3ELb0ES6_jNS0_17counting_iteratorIjlEEPS9_SE_NS0_5tupleIJPjSE_EEENSF_IJSE_SE_EEES9_SG_JZNS1_25segmented_radix_sort_implINS0_14default_configELb1EPK6__halfPSL_PKlPlN2at6native12_GLOBAL__N_18offset_tEEE10hipError_tPvRmT1_PNSt15iterator_traitsISZ_E10value_typeET2_T3_PNS10_IS15_E10value_typeET4_jRbjT5_S1B_jjP12ihipStream_tbEUljE_EEESW_SX_SY_S15_S19_S1B_T6_T7_T9_mT8_S1D_bDpT10_ENKUlT_T0_E_clISt17integral_constantIbLb0EES1Q_EEDaS1L_S1M_EUlS1L_E_NS1_11comp_targetILNS1_3genE4ELNS1_11target_archE910ELNS1_3gpuE8ELNS1_3repE0EEENS1_30default_config_static_selectorELNS0_4arch9wavefront6targetE1EEEvSZ_.num_vgpr, 0
	.set _ZN7rocprim17ROCPRIM_400000_NS6detail17trampoline_kernelINS0_13select_configILj256ELj13ELNS0_17block_load_methodE3ELS4_3ELS4_3ELNS0_20block_scan_algorithmE0ELj4294967295EEENS1_25partition_config_selectorILNS1_17partition_subalgoE3EjNS0_10empty_typeEbEEZZNS1_14partition_implILS8_3ELb0ES6_jNS0_17counting_iteratorIjlEEPS9_SE_NS0_5tupleIJPjSE_EEENSF_IJSE_SE_EEES9_SG_JZNS1_25segmented_radix_sort_implINS0_14default_configELb1EPK6__halfPSL_PKlPlN2at6native12_GLOBAL__N_18offset_tEEE10hipError_tPvRmT1_PNSt15iterator_traitsISZ_E10value_typeET2_T3_PNS10_IS15_E10value_typeET4_jRbjT5_S1B_jjP12ihipStream_tbEUljE_EEESW_SX_SY_S15_S19_S1B_T6_T7_T9_mT8_S1D_bDpT10_ENKUlT_T0_E_clISt17integral_constantIbLb0EES1Q_EEDaS1L_S1M_EUlS1L_E_NS1_11comp_targetILNS1_3genE4ELNS1_11target_archE910ELNS1_3gpuE8ELNS1_3repE0EEENS1_30default_config_static_selectorELNS0_4arch9wavefront6targetE1EEEvSZ_.num_agpr, 0
	.set _ZN7rocprim17ROCPRIM_400000_NS6detail17trampoline_kernelINS0_13select_configILj256ELj13ELNS0_17block_load_methodE3ELS4_3ELS4_3ELNS0_20block_scan_algorithmE0ELj4294967295EEENS1_25partition_config_selectorILNS1_17partition_subalgoE3EjNS0_10empty_typeEbEEZZNS1_14partition_implILS8_3ELb0ES6_jNS0_17counting_iteratorIjlEEPS9_SE_NS0_5tupleIJPjSE_EEENSF_IJSE_SE_EEES9_SG_JZNS1_25segmented_radix_sort_implINS0_14default_configELb1EPK6__halfPSL_PKlPlN2at6native12_GLOBAL__N_18offset_tEEE10hipError_tPvRmT1_PNSt15iterator_traitsISZ_E10value_typeET2_T3_PNS10_IS15_E10value_typeET4_jRbjT5_S1B_jjP12ihipStream_tbEUljE_EEESW_SX_SY_S15_S19_S1B_T6_T7_T9_mT8_S1D_bDpT10_ENKUlT_T0_E_clISt17integral_constantIbLb0EES1Q_EEDaS1L_S1M_EUlS1L_E_NS1_11comp_targetILNS1_3genE4ELNS1_11target_archE910ELNS1_3gpuE8ELNS1_3repE0EEENS1_30default_config_static_selectorELNS0_4arch9wavefront6targetE1EEEvSZ_.numbered_sgpr, 0
	.set _ZN7rocprim17ROCPRIM_400000_NS6detail17trampoline_kernelINS0_13select_configILj256ELj13ELNS0_17block_load_methodE3ELS4_3ELS4_3ELNS0_20block_scan_algorithmE0ELj4294967295EEENS1_25partition_config_selectorILNS1_17partition_subalgoE3EjNS0_10empty_typeEbEEZZNS1_14partition_implILS8_3ELb0ES6_jNS0_17counting_iteratorIjlEEPS9_SE_NS0_5tupleIJPjSE_EEENSF_IJSE_SE_EEES9_SG_JZNS1_25segmented_radix_sort_implINS0_14default_configELb1EPK6__halfPSL_PKlPlN2at6native12_GLOBAL__N_18offset_tEEE10hipError_tPvRmT1_PNSt15iterator_traitsISZ_E10value_typeET2_T3_PNS10_IS15_E10value_typeET4_jRbjT5_S1B_jjP12ihipStream_tbEUljE_EEESW_SX_SY_S15_S19_S1B_T6_T7_T9_mT8_S1D_bDpT10_ENKUlT_T0_E_clISt17integral_constantIbLb0EES1Q_EEDaS1L_S1M_EUlS1L_E_NS1_11comp_targetILNS1_3genE4ELNS1_11target_archE910ELNS1_3gpuE8ELNS1_3repE0EEENS1_30default_config_static_selectorELNS0_4arch9wavefront6targetE1EEEvSZ_.num_named_barrier, 0
	.set _ZN7rocprim17ROCPRIM_400000_NS6detail17trampoline_kernelINS0_13select_configILj256ELj13ELNS0_17block_load_methodE3ELS4_3ELS4_3ELNS0_20block_scan_algorithmE0ELj4294967295EEENS1_25partition_config_selectorILNS1_17partition_subalgoE3EjNS0_10empty_typeEbEEZZNS1_14partition_implILS8_3ELb0ES6_jNS0_17counting_iteratorIjlEEPS9_SE_NS0_5tupleIJPjSE_EEENSF_IJSE_SE_EEES9_SG_JZNS1_25segmented_radix_sort_implINS0_14default_configELb1EPK6__halfPSL_PKlPlN2at6native12_GLOBAL__N_18offset_tEEE10hipError_tPvRmT1_PNSt15iterator_traitsISZ_E10value_typeET2_T3_PNS10_IS15_E10value_typeET4_jRbjT5_S1B_jjP12ihipStream_tbEUljE_EEESW_SX_SY_S15_S19_S1B_T6_T7_T9_mT8_S1D_bDpT10_ENKUlT_T0_E_clISt17integral_constantIbLb0EES1Q_EEDaS1L_S1M_EUlS1L_E_NS1_11comp_targetILNS1_3genE4ELNS1_11target_archE910ELNS1_3gpuE8ELNS1_3repE0EEENS1_30default_config_static_selectorELNS0_4arch9wavefront6targetE1EEEvSZ_.private_seg_size, 0
	.set _ZN7rocprim17ROCPRIM_400000_NS6detail17trampoline_kernelINS0_13select_configILj256ELj13ELNS0_17block_load_methodE3ELS4_3ELS4_3ELNS0_20block_scan_algorithmE0ELj4294967295EEENS1_25partition_config_selectorILNS1_17partition_subalgoE3EjNS0_10empty_typeEbEEZZNS1_14partition_implILS8_3ELb0ES6_jNS0_17counting_iteratorIjlEEPS9_SE_NS0_5tupleIJPjSE_EEENSF_IJSE_SE_EEES9_SG_JZNS1_25segmented_radix_sort_implINS0_14default_configELb1EPK6__halfPSL_PKlPlN2at6native12_GLOBAL__N_18offset_tEEE10hipError_tPvRmT1_PNSt15iterator_traitsISZ_E10value_typeET2_T3_PNS10_IS15_E10value_typeET4_jRbjT5_S1B_jjP12ihipStream_tbEUljE_EEESW_SX_SY_S15_S19_S1B_T6_T7_T9_mT8_S1D_bDpT10_ENKUlT_T0_E_clISt17integral_constantIbLb0EES1Q_EEDaS1L_S1M_EUlS1L_E_NS1_11comp_targetILNS1_3genE4ELNS1_11target_archE910ELNS1_3gpuE8ELNS1_3repE0EEENS1_30default_config_static_selectorELNS0_4arch9wavefront6targetE1EEEvSZ_.uses_vcc, 0
	.set _ZN7rocprim17ROCPRIM_400000_NS6detail17trampoline_kernelINS0_13select_configILj256ELj13ELNS0_17block_load_methodE3ELS4_3ELS4_3ELNS0_20block_scan_algorithmE0ELj4294967295EEENS1_25partition_config_selectorILNS1_17partition_subalgoE3EjNS0_10empty_typeEbEEZZNS1_14partition_implILS8_3ELb0ES6_jNS0_17counting_iteratorIjlEEPS9_SE_NS0_5tupleIJPjSE_EEENSF_IJSE_SE_EEES9_SG_JZNS1_25segmented_radix_sort_implINS0_14default_configELb1EPK6__halfPSL_PKlPlN2at6native12_GLOBAL__N_18offset_tEEE10hipError_tPvRmT1_PNSt15iterator_traitsISZ_E10value_typeET2_T3_PNS10_IS15_E10value_typeET4_jRbjT5_S1B_jjP12ihipStream_tbEUljE_EEESW_SX_SY_S15_S19_S1B_T6_T7_T9_mT8_S1D_bDpT10_ENKUlT_T0_E_clISt17integral_constantIbLb0EES1Q_EEDaS1L_S1M_EUlS1L_E_NS1_11comp_targetILNS1_3genE4ELNS1_11target_archE910ELNS1_3gpuE8ELNS1_3repE0EEENS1_30default_config_static_selectorELNS0_4arch9wavefront6targetE1EEEvSZ_.uses_flat_scratch, 0
	.set _ZN7rocprim17ROCPRIM_400000_NS6detail17trampoline_kernelINS0_13select_configILj256ELj13ELNS0_17block_load_methodE3ELS4_3ELS4_3ELNS0_20block_scan_algorithmE0ELj4294967295EEENS1_25partition_config_selectorILNS1_17partition_subalgoE3EjNS0_10empty_typeEbEEZZNS1_14partition_implILS8_3ELb0ES6_jNS0_17counting_iteratorIjlEEPS9_SE_NS0_5tupleIJPjSE_EEENSF_IJSE_SE_EEES9_SG_JZNS1_25segmented_radix_sort_implINS0_14default_configELb1EPK6__halfPSL_PKlPlN2at6native12_GLOBAL__N_18offset_tEEE10hipError_tPvRmT1_PNSt15iterator_traitsISZ_E10value_typeET2_T3_PNS10_IS15_E10value_typeET4_jRbjT5_S1B_jjP12ihipStream_tbEUljE_EEESW_SX_SY_S15_S19_S1B_T6_T7_T9_mT8_S1D_bDpT10_ENKUlT_T0_E_clISt17integral_constantIbLb0EES1Q_EEDaS1L_S1M_EUlS1L_E_NS1_11comp_targetILNS1_3genE4ELNS1_11target_archE910ELNS1_3gpuE8ELNS1_3repE0EEENS1_30default_config_static_selectorELNS0_4arch9wavefront6targetE1EEEvSZ_.has_dyn_sized_stack, 0
	.set _ZN7rocprim17ROCPRIM_400000_NS6detail17trampoline_kernelINS0_13select_configILj256ELj13ELNS0_17block_load_methodE3ELS4_3ELS4_3ELNS0_20block_scan_algorithmE0ELj4294967295EEENS1_25partition_config_selectorILNS1_17partition_subalgoE3EjNS0_10empty_typeEbEEZZNS1_14partition_implILS8_3ELb0ES6_jNS0_17counting_iteratorIjlEEPS9_SE_NS0_5tupleIJPjSE_EEENSF_IJSE_SE_EEES9_SG_JZNS1_25segmented_radix_sort_implINS0_14default_configELb1EPK6__halfPSL_PKlPlN2at6native12_GLOBAL__N_18offset_tEEE10hipError_tPvRmT1_PNSt15iterator_traitsISZ_E10value_typeET2_T3_PNS10_IS15_E10value_typeET4_jRbjT5_S1B_jjP12ihipStream_tbEUljE_EEESW_SX_SY_S15_S19_S1B_T6_T7_T9_mT8_S1D_bDpT10_ENKUlT_T0_E_clISt17integral_constantIbLb0EES1Q_EEDaS1L_S1M_EUlS1L_E_NS1_11comp_targetILNS1_3genE4ELNS1_11target_archE910ELNS1_3gpuE8ELNS1_3repE0EEENS1_30default_config_static_selectorELNS0_4arch9wavefront6targetE1EEEvSZ_.has_recursion, 0
	.set _ZN7rocprim17ROCPRIM_400000_NS6detail17trampoline_kernelINS0_13select_configILj256ELj13ELNS0_17block_load_methodE3ELS4_3ELS4_3ELNS0_20block_scan_algorithmE0ELj4294967295EEENS1_25partition_config_selectorILNS1_17partition_subalgoE3EjNS0_10empty_typeEbEEZZNS1_14partition_implILS8_3ELb0ES6_jNS0_17counting_iteratorIjlEEPS9_SE_NS0_5tupleIJPjSE_EEENSF_IJSE_SE_EEES9_SG_JZNS1_25segmented_radix_sort_implINS0_14default_configELb1EPK6__halfPSL_PKlPlN2at6native12_GLOBAL__N_18offset_tEEE10hipError_tPvRmT1_PNSt15iterator_traitsISZ_E10value_typeET2_T3_PNS10_IS15_E10value_typeET4_jRbjT5_S1B_jjP12ihipStream_tbEUljE_EEESW_SX_SY_S15_S19_S1B_T6_T7_T9_mT8_S1D_bDpT10_ENKUlT_T0_E_clISt17integral_constantIbLb0EES1Q_EEDaS1L_S1M_EUlS1L_E_NS1_11comp_targetILNS1_3genE4ELNS1_11target_archE910ELNS1_3gpuE8ELNS1_3repE0EEENS1_30default_config_static_selectorELNS0_4arch9wavefront6targetE1EEEvSZ_.has_indirect_call, 0
	.section	.AMDGPU.csdata,"",@progbits
; Kernel info:
; codeLenInByte = 0
; TotalNumSgprs: 4
; NumVgprs: 0
; ScratchSize: 0
; MemoryBound: 0
; FloatMode: 240
; IeeeMode: 1
; LDSByteSize: 0 bytes/workgroup (compile time only)
; SGPRBlocks: 0
; VGPRBlocks: 0
; NumSGPRsForWavesPerEU: 4
; NumVGPRsForWavesPerEU: 1
; Occupancy: 10
; WaveLimiterHint : 0
; COMPUTE_PGM_RSRC2:SCRATCH_EN: 0
; COMPUTE_PGM_RSRC2:USER_SGPR: 6
; COMPUTE_PGM_RSRC2:TRAP_HANDLER: 0
; COMPUTE_PGM_RSRC2:TGID_X_EN: 1
; COMPUTE_PGM_RSRC2:TGID_Y_EN: 0
; COMPUTE_PGM_RSRC2:TGID_Z_EN: 0
; COMPUTE_PGM_RSRC2:TIDIG_COMP_CNT: 0
	.section	.text._ZN7rocprim17ROCPRIM_400000_NS6detail17trampoline_kernelINS0_13select_configILj256ELj13ELNS0_17block_load_methodE3ELS4_3ELS4_3ELNS0_20block_scan_algorithmE0ELj4294967295EEENS1_25partition_config_selectorILNS1_17partition_subalgoE3EjNS0_10empty_typeEbEEZZNS1_14partition_implILS8_3ELb0ES6_jNS0_17counting_iteratorIjlEEPS9_SE_NS0_5tupleIJPjSE_EEENSF_IJSE_SE_EEES9_SG_JZNS1_25segmented_radix_sort_implINS0_14default_configELb1EPK6__halfPSL_PKlPlN2at6native12_GLOBAL__N_18offset_tEEE10hipError_tPvRmT1_PNSt15iterator_traitsISZ_E10value_typeET2_T3_PNS10_IS15_E10value_typeET4_jRbjT5_S1B_jjP12ihipStream_tbEUljE_EEESW_SX_SY_S15_S19_S1B_T6_T7_T9_mT8_S1D_bDpT10_ENKUlT_T0_E_clISt17integral_constantIbLb0EES1Q_EEDaS1L_S1M_EUlS1L_E_NS1_11comp_targetILNS1_3genE3ELNS1_11target_archE908ELNS1_3gpuE7ELNS1_3repE0EEENS1_30default_config_static_selectorELNS0_4arch9wavefront6targetE1EEEvSZ_,"axG",@progbits,_ZN7rocprim17ROCPRIM_400000_NS6detail17trampoline_kernelINS0_13select_configILj256ELj13ELNS0_17block_load_methodE3ELS4_3ELS4_3ELNS0_20block_scan_algorithmE0ELj4294967295EEENS1_25partition_config_selectorILNS1_17partition_subalgoE3EjNS0_10empty_typeEbEEZZNS1_14partition_implILS8_3ELb0ES6_jNS0_17counting_iteratorIjlEEPS9_SE_NS0_5tupleIJPjSE_EEENSF_IJSE_SE_EEES9_SG_JZNS1_25segmented_radix_sort_implINS0_14default_configELb1EPK6__halfPSL_PKlPlN2at6native12_GLOBAL__N_18offset_tEEE10hipError_tPvRmT1_PNSt15iterator_traitsISZ_E10value_typeET2_T3_PNS10_IS15_E10value_typeET4_jRbjT5_S1B_jjP12ihipStream_tbEUljE_EEESW_SX_SY_S15_S19_S1B_T6_T7_T9_mT8_S1D_bDpT10_ENKUlT_T0_E_clISt17integral_constantIbLb0EES1Q_EEDaS1L_S1M_EUlS1L_E_NS1_11comp_targetILNS1_3genE3ELNS1_11target_archE908ELNS1_3gpuE7ELNS1_3repE0EEENS1_30default_config_static_selectorELNS0_4arch9wavefront6targetE1EEEvSZ_,comdat
	.globl	_ZN7rocprim17ROCPRIM_400000_NS6detail17trampoline_kernelINS0_13select_configILj256ELj13ELNS0_17block_load_methodE3ELS4_3ELS4_3ELNS0_20block_scan_algorithmE0ELj4294967295EEENS1_25partition_config_selectorILNS1_17partition_subalgoE3EjNS0_10empty_typeEbEEZZNS1_14partition_implILS8_3ELb0ES6_jNS0_17counting_iteratorIjlEEPS9_SE_NS0_5tupleIJPjSE_EEENSF_IJSE_SE_EEES9_SG_JZNS1_25segmented_radix_sort_implINS0_14default_configELb1EPK6__halfPSL_PKlPlN2at6native12_GLOBAL__N_18offset_tEEE10hipError_tPvRmT1_PNSt15iterator_traitsISZ_E10value_typeET2_T3_PNS10_IS15_E10value_typeET4_jRbjT5_S1B_jjP12ihipStream_tbEUljE_EEESW_SX_SY_S15_S19_S1B_T6_T7_T9_mT8_S1D_bDpT10_ENKUlT_T0_E_clISt17integral_constantIbLb0EES1Q_EEDaS1L_S1M_EUlS1L_E_NS1_11comp_targetILNS1_3genE3ELNS1_11target_archE908ELNS1_3gpuE7ELNS1_3repE0EEENS1_30default_config_static_selectorELNS0_4arch9wavefront6targetE1EEEvSZ_ ; -- Begin function _ZN7rocprim17ROCPRIM_400000_NS6detail17trampoline_kernelINS0_13select_configILj256ELj13ELNS0_17block_load_methodE3ELS4_3ELS4_3ELNS0_20block_scan_algorithmE0ELj4294967295EEENS1_25partition_config_selectorILNS1_17partition_subalgoE3EjNS0_10empty_typeEbEEZZNS1_14partition_implILS8_3ELb0ES6_jNS0_17counting_iteratorIjlEEPS9_SE_NS0_5tupleIJPjSE_EEENSF_IJSE_SE_EEES9_SG_JZNS1_25segmented_radix_sort_implINS0_14default_configELb1EPK6__halfPSL_PKlPlN2at6native12_GLOBAL__N_18offset_tEEE10hipError_tPvRmT1_PNSt15iterator_traitsISZ_E10value_typeET2_T3_PNS10_IS15_E10value_typeET4_jRbjT5_S1B_jjP12ihipStream_tbEUljE_EEESW_SX_SY_S15_S19_S1B_T6_T7_T9_mT8_S1D_bDpT10_ENKUlT_T0_E_clISt17integral_constantIbLb0EES1Q_EEDaS1L_S1M_EUlS1L_E_NS1_11comp_targetILNS1_3genE3ELNS1_11target_archE908ELNS1_3gpuE7ELNS1_3repE0EEENS1_30default_config_static_selectorELNS0_4arch9wavefront6targetE1EEEvSZ_
	.p2align	8
	.type	_ZN7rocprim17ROCPRIM_400000_NS6detail17trampoline_kernelINS0_13select_configILj256ELj13ELNS0_17block_load_methodE3ELS4_3ELS4_3ELNS0_20block_scan_algorithmE0ELj4294967295EEENS1_25partition_config_selectorILNS1_17partition_subalgoE3EjNS0_10empty_typeEbEEZZNS1_14partition_implILS8_3ELb0ES6_jNS0_17counting_iteratorIjlEEPS9_SE_NS0_5tupleIJPjSE_EEENSF_IJSE_SE_EEES9_SG_JZNS1_25segmented_radix_sort_implINS0_14default_configELb1EPK6__halfPSL_PKlPlN2at6native12_GLOBAL__N_18offset_tEEE10hipError_tPvRmT1_PNSt15iterator_traitsISZ_E10value_typeET2_T3_PNS10_IS15_E10value_typeET4_jRbjT5_S1B_jjP12ihipStream_tbEUljE_EEESW_SX_SY_S15_S19_S1B_T6_T7_T9_mT8_S1D_bDpT10_ENKUlT_T0_E_clISt17integral_constantIbLb0EES1Q_EEDaS1L_S1M_EUlS1L_E_NS1_11comp_targetILNS1_3genE3ELNS1_11target_archE908ELNS1_3gpuE7ELNS1_3repE0EEENS1_30default_config_static_selectorELNS0_4arch9wavefront6targetE1EEEvSZ_,@function
_ZN7rocprim17ROCPRIM_400000_NS6detail17trampoline_kernelINS0_13select_configILj256ELj13ELNS0_17block_load_methodE3ELS4_3ELS4_3ELNS0_20block_scan_algorithmE0ELj4294967295EEENS1_25partition_config_selectorILNS1_17partition_subalgoE3EjNS0_10empty_typeEbEEZZNS1_14partition_implILS8_3ELb0ES6_jNS0_17counting_iteratorIjlEEPS9_SE_NS0_5tupleIJPjSE_EEENSF_IJSE_SE_EEES9_SG_JZNS1_25segmented_radix_sort_implINS0_14default_configELb1EPK6__halfPSL_PKlPlN2at6native12_GLOBAL__N_18offset_tEEE10hipError_tPvRmT1_PNSt15iterator_traitsISZ_E10value_typeET2_T3_PNS10_IS15_E10value_typeET4_jRbjT5_S1B_jjP12ihipStream_tbEUljE_EEESW_SX_SY_S15_S19_S1B_T6_T7_T9_mT8_S1D_bDpT10_ENKUlT_T0_E_clISt17integral_constantIbLb0EES1Q_EEDaS1L_S1M_EUlS1L_E_NS1_11comp_targetILNS1_3genE3ELNS1_11target_archE908ELNS1_3gpuE7ELNS1_3repE0EEENS1_30default_config_static_selectorELNS0_4arch9wavefront6targetE1EEEvSZ_: ; @_ZN7rocprim17ROCPRIM_400000_NS6detail17trampoline_kernelINS0_13select_configILj256ELj13ELNS0_17block_load_methodE3ELS4_3ELS4_3ELNS0_20block_scan_algorithmE0ELj4294967295EEENS1_25partition_config_selectorILNS1_17partition_subalgoE3EjNS0_10empty_typeEbEEZZNS1_14partition_implILS8_3ELb0ES6_jNS0_17counting_iteratorIjlEEPS9_SE_NS0_5tupleIJPjSE_EEENSF_IJSE_SE_EEES9_SG_JZNS1_25segmented_radix_sort_implINS0_14default_configELb1EPK6__halfPSL_PKlPlN2at6native12_GLOBAL__N_18offset_tEEE10hipError_tPvRmT1_PNSt15iterator_traitsISZ_E10value_typeET2_T3_PNS10_IS15_E10value_typeET4_jRbjT5_S1B_jjP12ihipStream_tbEUljE_EEESW_SX_SY_S15_S19_S1B_T6_T7_T9_mT8_S1D_bDpT10_ENKUlT_T0_E_clISt17integral_constantIbLb0EES1Q_EEDaS1L_S1M_EUlS1L_E_NS1_11comp_targetILNS1_3genE3ELNS1_11target_archE908ELNS1_3gpuE7ELNS1_3repE0EEENS1_30default_config_static_selectorELNS0_4arch9wavefront6targetE1EEEvSZ_
; %bb.0:
	.section	.rodata,"a",@progbits
	.p2align	6, 0x0
	.amdhsa_kernel _ZN7rocprim17ROCPRIM_400000_NS6detail17trampoline_kernelINS0_13select_configILj256ELj13ELNS0_17block_load_methodE3ELS4_3ELS4_3ELNS0_20block_scan_algorithmE0ELj4294967295EEENS1_25partition_config_selectorILNS1_17partition_subalgoE3EjNS0_10empty_typeEbEEZZNS1_14partition_implILS8_3ELb0ES6_jNS0_17counting_iteratorIjlEEPS9_SE_NS0_5tupleIJPjSE_EEENSF_IJSE_SE_EEES9_SG_JZNS1_25segmented_radix_sort_implINS0_14default_configELb1EPK6__halfPSL_PKlPlN2at6native12_GLOBAL__N_18offset_tEEE10hipError_tPvRmT1_PNSt15iterator_traitsISZ_E10value_typeET2_T3_PNS10_IS15_E10value_typeET4_jRbjT5_S1B_jjP12ihipStream_tbEUljE_EEESW_SX_SY_S15_S19_S1B_T6_T7_T9_mT8_S1D_bDpT10_ENKUlT_T0_E_clISt17integral_constantIbLb0EES1Q_EEDaS1L_S1M_EUlS1L_E_NS1_11comp_targetILNS1_3genE3ELNS1_11target_archE908ELNS1_3gpuE7ELNS1_3repE0EEENS1_30default_config_static_selectorELNS0_4arch9wavefront6targetE1EEEvSZ_
		.amdhsa_group_segment_fixed_size 0
		.amdhsa_private_segment_fixed_size 0
		.amdhsa_kernarg_size 144
		.amdhsa_user_sgpr_count 6
		.amdhsa_user_sgpr_private_segment_buffer 1
		.amdhsa_user_sgpr_dispatch_ptr 0
		.amdhsa_user_sgpr_queue_ptr 0
		.amdhsa_user_sgpr_kernarg_segment_ptr 1
		.amdhsa_user_sgpr_dispatch_id 0
		.amdhsa_user_sgpr_flat_scratch_init 0
		.amdhsa_user_sgpr_private_segment_size 0
		.amdhsa_uses_dynamic_stack 0
		.amdhsa_system_sgpr_private_segment_wavefront_offset 0
		.amdhsa_system_sgpr_workgroup_id_x 1
		.amdhsa_system_sgpr_workgroup_id_y 0
		.amdhsa_system_sgpr_workgroup_id_z 0
		.amdhsa_system_sgpr_workgroup_info 0
		.amdhsa_system_vgpr_workitem_id 0
		.amdhsa_next_free_vgpr 1
		.amdhsa_next_free_sgpr 0
		.amdhsa_reserve_vcc 0
		.amdhsa_reserve_flat_scratch 0
		.amdhsa_float_round_mode_32 0
		.amdhsa_float_round_mode_16_64 0
		.amdhsa_float_denorm_mode_32 3
		.amdhsa_float_denorm_mode_16_64 3
		.amdhsa_dx10_clamp 1
		.amdhsa_ieee_mode 1
		.amdhsa_fp16_overflow 0
		.amdhsa_exception_fp_ieee_invalid_op 0
		.amdhsa_exception_fp_denorm_src 0
		.amdhsa_exception_fp_ieee_div_zero 0
		.amdhsa_exception_fp_ieee_overflow 0
		.amdhsa_exception_fp_ieee_underflow 0
		.amdhsa_exception_fp_ieee_inexact 0
		.amdhsa_exception_int_div_zero 0
	.end_amdhsa_kernel
	.section	.text._ZN7rocprim17ROCPRIM_400000_NS6detail17trampoline_kernelINS0_13select_configILj256ELj13ELNS0_17block_load_methodE3ELS4_3ELS4_3ELNS0_20block_scan_algorithmE0ELj4294967295EEENS1_25partition_config_selectorILNS1_17partition_subalgoE3EjNS0_10empty_typeEbEEZZNS1_14partition_implILS8_3ELb0ES6_jNS0_17counting_iteratorIjlEEPS9_SE_NS0_5tupleIJPjSE_EEENSF_IJSE_SE_EEES9_SG_JZNS1_25segmented_radix_sort_implINS0_14default_configELb1EPK6__halfPSL_PKlPlN2at6native12_GLOBAL__N_18offset_tEEE10hipError_tPvRmT1_PNSt15iterator_traitsISZ_E10value_typeET2_T3_PNS10_IS15_E10value_typeET4_jRbjT5_S1B_jjP12ihipStream_tbEUljE_EEESW_SX_SY_S15_S19_S1B_T6_T7_T9_mT8_S1D_bDpT10_ENKUlT_T0_E_clISt17integral_constantIbLb0EES1Q_EEDaS1L_S1M_EUlS1L_E_NS1_11comp_targetILNS1_3genE3ELNS1_11target_archE908ELNS1_3gpuE7ELNS1_3repE0EEENS1_30default_config_static_selectorELNS0_4arch9wavefront6targetE1EEEvSZ_,"axG",@progbits,_ZN7rocprim17ROCPRIM_400000_NS6detail17trampoline_kernelINS0_13select_configILj256ELj13ELNS0_17block_load_methodE3ELS4_3ELS4_3ELNS0_20block_scan_algorithmE0ELj4294967295EEENS1_25partition_config_selectorILNS1_17partition_subalgoE3EjNS0_10empty_typeEbEEZZNS1_14partition_implILS8_3ELb0ES6_jNS0_17counting_iteratorIjlEEPS9_SE_NS0_5tupleIJPjSE_EEENSF_IJSE_SE_EEES9_SG_JZNS1_25segmented_radix_sort_implINS0_14default_configELb1EPK6__halfPSL_PKlPlN2at6native12_GLOBAL__N_18offset_tEEE10hipError_tPvRmT1_PNSt15iterator_traitsISZ_E10value_typeET2_T3_PNS10_IS15_E10value_typeET4_jRbjT5_S1B_jjP12ihipStream_tbEUljE_EEESW_SX_SY_S15_S19_S1B_T6_T7_T9_mT8_S1D_bDpT10_ENKUlT_T0_E_clISt17integral_constantIbLb0EES1Q_EEDaS1L_S1M_EUlS1L_E_NS1_11comp_targetILNS1_3genE3ELNS1_11target_archE908ELNS1_3gpuE7ELNS1_3repE0EEENS1_30default_config_static_selectorELNS0_4arch9wavefront6targetE1EEEvSZ_,comdat
.Lfunc_end1710:
	.size	_ZN7rocprim17ROCPRIM_400000_NS6detail17trampoline_kernelINS0_13select_configILj256ELj13ELNS0_17block_load_methodE3ELS4_3ELS4_3ELNS0_20block_scan_algorithmE0ELj4294967295EEENS1_25partition_config_selectorILNS1_17partition_subalgoE3EjNS0_10empty_typeEbEEZZNS1_14partition_implILS8_3ELb0ES6_jNS0_17counting_iteratorIjlEEPS9_SE_NS0_5tupleIJPjSE_EEENSF_IJSE_SE_EEES9_SG_JZNS1_25segmented_radix_sort_implINS0_14default_configELb1EPK6__halfPSL_PKlPlN2at6native12_GLOBAL__N_18offset_tEEE10hipError_tPvRmT1_PNSt15iterator_traitsISZ_E10value_typeET2_T3_PNS10_IS15_E10value_typeET4_jRbjT5_S1B_jjP12ihipStream_tbEUljE_EEESW_SX_SY_S15_S19_S1B_T6_T7_T9_mT8_S1D_bDpT10_ENKUlT_T0_E_clISt17integral_constantIbLb0EES1Q_EEDaS1L_S1M_EUlS1L_E_NS1_11comp_targetILNS1_3genE3ELNS1_11target_archE908ELNS1_3gpuE7ELNS1_3repE0EEENS1_30default_config_static_selectorELNS0_4arch9wavefront6targetE1EEEvSZ_, .Lfunc_end1710-_ZN7rocprim17ROCPRIM_400000_NS6detail17trampoline_kernelINS0_13select_configILj256ELj13ELNS0_17block_load_methodE3ELS4_3ELS4_3ELNS0_20block_scan_algorithmE0ELj4294967295EEENS1_25partition_config_selectorILNS1_17partition_subalgoE3EjNS0_10empty_typeEbEEZZNS1_14partition_implILS8_3ELb0ES6_jNS0_17counting_iteratorIjlEEPS9_SE_NS0_5tupleIJPjSE_EEENSF_IJSE_SE_EEES9_SG_JZNS1_25segmented_radix_sort_implINS0_14default_configELb1EPK6__halfPSL_PKlPlN2at6native12_GLOBAL__N_18offset_tEEE10hipError_tPvRmT1_PNSt15iterator_traitsISZ_E10value_typeET2_T3_PNS10_IS15_E10value_typeET4_jRbjT5_S1B_jjP12ihipStream_tbEUljE_EEESW_SX_SY_S15_S19_S1B_T6_T7_T9_mT8_S1D_bDpT10_ENKUlT_T0_E_clISt17integral_constantIbLb0EES1Q_EEDaS1L_S1M_EUlS1L_E_NS1_11comp_targetILNS1_3genE3ELNS1_11target_archE908ELNS1_3gpuE7ELNS1_3repE0EEENS1_30default_config_static_selectorELNS0_4arch9wavefront6targetE1EEEvSZ_
                                        ; -- End function
	.set _ZN7rocprim17ROCPRIM_400000_NS6detail17trampoline_kernelINS0_13select_configILj256ELj13ELNS0_17block_load_methodE3ELS4_3ELS4_3ELNS0_20block_scan_algorithmE0ELj4294967295EEENS1_25partition_config_selectorILNS1_17partition_subalgoE3EjNS0_10empty_typeEbEEZZNS1_14partition_implILS8_3ELb0ES6_jNS0_17counting_iteratorIjlEEPS9_SE_NS0_5tupleIJPjSE_EEENSF_IJSE_SE_EEES9_SG_JZNS1_25segmented_radix_sort_implINS0_14default_configELb1EPK6__halfPSL_PKlPlN2at6native12_GLOBAL__N_18offset_tEEE10hipError_tPvRmT1_PNSt15iterator_traitsISZ_E10value_typeET2_T3_PNS10_IS15_E10value_typeET4_jRbjT5_S1B_jjP12ihipStream_tbEUljE_EEESW_SX_SY_S15_S19_S1B_T6_T7_T9_mT8_S1D_bDpT10_ENKUlT_T0_E_clISt17integral_constantIbLb0EES1Q_EEDaS1L_S1M_EUlS1L_E_NS1_11comp_targetILNS1_3genE3ELNS1_11target_archE908ELNS1_3gpuE7ELNS1_3repE0EEENS1_30default_config_static_selectorELNS0_4arch9wavefront6targetE1EEEvSZ_.num_vgpr, 0
	.set _ZN7rocprim17ROCPRIM_400000_NS6detail17trampoline_kernelINS0_13select_configILj256ELj13ELNS0_17block_load_methodE3ELS4_3ELS4_3ELNS0_20block_scan_algorithmE0ELj4294967295EEENS1_25partition_config_selectorILNS1_17partition_subalgoE3EjNS0_10empty_typeEbEEZZNS1_14partition_implILS8_3ELb0ES6_jNS0_17counting_iteratorIjlEEPS9_SE_NS0_5tupleIJPjSE_EEENSF_IJSE_SE_EEES9_SG_JZNS1_25segmented_radix_sort_implINS0_14default_configELb1EPK6__halfPSL_PKlPlN2at6native12_GLOBAL__N_18offset_tEEE10hipError_tPvRmT1_PNSt15iterator_traitsISZ_E10value_typeET2_T3_PNS10_IS15_E10value_typeET4_jRbjT5_S1B_jjP12ihipStream_tbEUljE_EEESW_SX_SY_S15_S19_S1B_T6_T7_T9_mT8_S1D_bDpT10_ENKUlT_T0_E_clISt17integral_constantIbLb0EES1Q_EEDaS1L_S1M_EUlS1L_E_NS1_11comp_targetILNS1_3genE3ELNS1_11target_archE908ELNS1_3gpuE7ELNS1_3repE0EEENS1_30default_config_static_selectorELNS0_4arch9wavefront6targetE1EEEvSZ_.num_agpr, 0
	.set _ZN7rocprim17ROCPRIM_400000_NS6detail17trampoline_kernelINS0_13select_configILj256ELj13ELNS0_17block_load_methodE3ELS4_3ELS4_3ELNS0_20block_scan_algorithmE0ELj4294967295EEENS1_25partition_config_selectorILNS1_17partition_subalgoE3EjNS0_10empty_typeEbEEZZNS1_14partition_implILS8_3ELb0ES6_jNS0_17counting_iteratorIjlEEPS9_SE_NS0_5tupleIJPjSE_EEENSF_IJSE_SE_EEES9_SG_JZNS1_25segmented_radix_sort_implINS0_14default_configELb1EPK6__halfPSL_PKlPlN2at6native12_GLOBAL__N_18offset_tEEE10hipError_tPvRmT1_PNSt15iterator_traitsISZ_E10value_typeET2_T3_PNS10_IS15_E10value_typeET4_jRbjT5_S1B_jjP12ihipStream_tbEUljE_EEESW_SX_SY_S15_S19_S1B_T6_T7_T9_mT8_S1D_bDpT10_ENKUlT_T0_E_clISt17integral_constantIbLb0EES1Q_EEDaS1L_S1M_EUlS1L_E_NS1_11comp_targetILNS1_3genE3ELNS1_11target_archE908ELNS1_3gpuE7ELNS1_3repE0EEENS1_30default_config_static_selectorELNS0_4arch9wavefront6targetE1EEEvSZ_.numbered_sgpr, 0
	.set _ZN7rocprim17ROCPRIM_400000_NS6detail17trampoline_kernelINS0_13select_configILj256ELj13ELNS0_17block_load_methodE3ELS4_3ELS4_3ELNS0_20block_scan_algorithmE0ELj4294967295EEENS1_25partition_config_selectorILNS1_17partition_subalgoE3EjNS0_10empty_typeEbEEZZNS1_14partition_implILS8_3ELb0ES6_jNS0_17counting_iteratorIjlEEPS9_SE_NS0_5tupleIJPjSE_EEENSF_IJSE_SE_EEES9_SG_JZNS1_25segmented_radix_sort_implINS0_14default_configELb1EPK6__halfPSL_PKlPlN2at6native12_GLOBAL__N_18offset_tEEE10hipError_tPvRmT1_PNSt15iterator_traitsISZ_E10value_typeET2_T3_PNS10_IS15_E10value_typeET4_jRbjT5_S1B_jjP12ihipStream_tbEUljE_EEESW_SX_SY_S15_S19_S1B_T6_T7_T9_mT8_S1D_bDpT10_ENKUlT_T0_E_clISt17integral_constantIbLb0EES1Q_EEDaS1L_S1M_EUlS1L_E_NS1_11comp_targetILNS1_3genE3ELNS1_11target_archE908ELNS1_3gpuE7ELNS1_3repE0EEENS1_30default_config_static_selectorELNS0_4arch9wavefront6targetE1EEEvSZ_.num_named_barrier, 0
	.set _ZN7rocprim17ROCPRIM_400000_NS6detail17trampoline_kernelINS0_13select_configILj256ELj13ELNS0_17block_load_methodE3ELS4_3ELS4_3ELNS0_20block_scan_algorithmE0ELj4294967295EEENS1_25partition_config_selectorILNS1_17partition_subalgoE3EjNS0_10empty_typeEbEEZZNS1_14partition_implILS8_3ELb0ES6_jNS0_17counting_iteratorIjlEEPS9_SE_NS0_5tupleIJPjSE_EEENSF_IJSE_SE_EEES9_SG_JZNS1_25segmented_radix_sort_implINS0_14default_configELb1EPK6__halfPSL_PKlPlN2at6native12_GLOBAL__N_18offset_tEEE10hipError_tPvRmT1_PNSt15iterator_traitsISZ_E10value_typeET2_T3_PNS10_IS15_E10value_typeET4_jRbjT5_S1B_jjP12ihipStream_tbEUljE_EEESW_SX_SY_S15_S19_S1B_T6_T7_T9_mT8_S1D_bDpT10_ENKUlT_T0_E_clISt17integral_constantIbLb0EES1Q_EEDaS1L_S1M_EUlS1L_E_NS1_11comp_targetILNS1_3genE3ELNS1_11target_archE908ELNS1_3gpuE7ELNS1_3repE0EEENS1_30default_config_static_selectorELNS0_4arch9wavefront6targetE1EEEvSZ_.private_seg_size, 0
	.set _ZN7rocprim17ROCPRIM_400000_NS6detail17trampoline_kernelINS0_13select_configILj256ELj13ELNS0_17block_load_methodE3ELS4_3ELS4_3ELNS0_20block_scan_algorithmE0ELj4294967295EEENS1_25partition_config_selectorILNS1_17partition_subalgoE3EjNS0_10empty_typeEbEEZZNS1_14partition_implILS8_3ELb0ES6_jNS0_17counting_iteratorIjlEEPS9_SE_NS0_5tupleIJPjSE_EEENSF_IJSE_SE_EEES9_SG_JZNS1_25segmented_radix_sort_implINS0_14default_configELb1EPK6__halfPSL_PKlPlN2at6native12_GLOBAL__N_18offset_tEEE10hipError_tPvRmT1_PNSt15iterator_traitsISZ_E10value_typeET2_T3_PNS10_IS15_E10value_typeET4_jRbjT5_S1B_jjP12ihipStream_tbEUljE_EEESW_SX_SY_S15_S19_S1B_T6_T7_T9_mT8_S1D_bDpT10_ENKUlT_T0_E_clISt17integral_constantIbLb0EES1Q_EEDaS1L_S1M_EUlS1L_E_NS1_11comp_targetILNS1_3genE3ELNS1_11target_archE908ELNS1_3gpuE7ELNS1_3repE0EEENS1_30default_config_static_selectorELNS0_4arch9wavefront6targetE1EEEvSZ_.uses_vcc, 0
	.set _ZN7rocprim17ROCPRIM_400000_NS6detail17trampoline_kernelINS0_13select_configILj256ELj13ELNS0_17block_load_methodE3ELS4_3ELS4_3ELNS0_20block_scan_algorithmE0ELj4294967295EEENS1_25partition_config_selectorILNS1_17partition_subalgoE3EjNS0_10empty_typeEbEEZZNS1_14partition_implILS8_3ELb0ES6_jNS0_17counting_iteratorIjlEEPS9_SE_NS0_5tupleIJPjSE_EEENSF_IJSE_SE_EEES9_SG_JZNS1_25segmented_radix_sort_implINS0_14default_configELb1EPK6__halfPSL_PKlPlN2at6native12_GLOBAL__N_18offset_tEEE10hipError_tPvRmT1_PNSt15iterator_traitsISZ_E10value_typeET2_T3_PNS10_IS15_E10value_typeET4_jRbjT5_S1B_jjP12ihipStream_tbEUljE_EEESW_SX_SY_S15_S19_S1B_T6_T7_T9_mT8_S1D_bDpT10_ENKUlT_T0_E_clISt17integral_constantIbLb0EES1Q_EEDaS1L_S1M_EUlS1L_E_NS1_11comp_targetILNS1_3genE3ELNS1_11target_archE908ELNS1_3gpuE7ELNS1_3repE0EEENS1_30default_config_static_selectorELNS0_4arch9wavefront6targetE1EEEvSZ_.uses_flat_scratch, 0
	.set _ZN7rocprim17ROCPRIM_400000_NS6detail17trampoline_kernelINS0_13select_configILj256ELj13ELNS0_17block_load_methodE3ELS4_3ELS4_3ELNS0_20block_scan_algorithmE0ELj4294967295EEENS1_25partition_config_selectorILNS1_17partition_subalgoE3EjNS0_10empty_typeEbEEZZNS1_14partition_implILS8_3ELb0ES6_jNS0_17counting_iteratorIjlEEPS9_SE_NS0_5tupleIJPjSE_EEENSF_IJSE_SE_EEES9_SG_JZNS1_25segmented_radix_sort_implINS0_14default_configELb1EPK6__halfPSL_PKlPlN2at6native12_GLOBAL__N_18offset_tEEE10hipError_tPvRmT1_PNSt15iterator_traitsISZ_E10value_typeET2_T3_PNS10_IS15_E10value_typeET4_jRbjT5_S1B_jjP12ihipStream_tbEUljE_EEESW_SX_SY_S15_S19_S1B_T6_T7_T9_mT8_S1D_bDpT10_ENKUlT_T0_E_clISt17integral_constantIbLb0EES1Q_EEDaS1L_S1M_EUlS1L_E_NS1_11comp_targetILNS1_3genE3ELNS1_11target_archE908ELNS1_3gpuE7ELNS1_3repE0EEENS1_30default_config_static_selectorELNS0_4arch9wavefront6targetE1EEEvSZ_.has_dyn_sized_stack, 0
	.set _ZN7rocprim17ROCPRIM_400000_NS6detail17trampoline_kernelINS0_13select_configILj256ELj13ELNS0_17block_load_methodE3ELS4_3ELS4_3ELNS0_20block_scan_algorithmE0ELj4294967295EEENS1_25partition_config_selectorILNS1_17partition_subalgoE3EjNS0_10empty_typeEbEEZZNS1_14partition_implILS8_3ELb0ES6_jNS0_17counting_iteratorIjlEEPS9_SE_NS0_5tupleIJPjSE_EEENSF_IJSE_SE_EEES9_SG_JZNS1_25segmented_radix_sort_implINS0_14default_configELb1EPK6__halfPSL_PKlPlN2at6native12_GLOBAL__N_18offset_tEEE10hipError_tPvRmT1_PNSt15iterator_traitsISZ_E10value_typeET2_T3_PNS10_IS15_E10value_typeET4_jRbjT5_S1B_jjP12ihipStream_tbEUljE_EEESW_SX_SY_S15_S19_S1B_T6_T7_T9_mT8_S1D_bDpT10_ENKUlT_T0_E_clISt17integral_constantIbLb0EES1Q_EEDaS1L_S1M_EUlS1L_E_NS1_11comp_targetILNS1_3genE3ELNS1_11target_archE908ELNS1_3gpuE7ELNS1_3repE0EEENS1_30default_config_static_selectorELNS0_4arch9wavefront6targetE1EEEvSZ_.has_recursion, 0
	.set _ZN7rocprim17ROCPRIM_400000_NS6detail17trampoline_kernelINS0_13select_configILj256ELj13ELNS0_17block_load_methodE3ELS4_3ELS4_3ELNS0_20block_scan_algorithmE0ELj4294967295EEENS1_25partition_config_selectorILNS1_17partition_subalgoE3EjNS0_10empty_typeEbEEZZNS1_14partition_implILS8_3ELb0ES6_jNS0_17counting_iteratorIjlEEPS9_SE_NS0_5tupleIJPjSE_EEENSF_IJSE_SE_EEES9_SG_JZNS1_25segmented_radix_sort_implINS0_14default_configELb1EPK6__halfPSL_PKlPlN2at6native12_GLOBAL__N_18offset_tEEE10hipError_tPvRmT1_PNSt15iterator_traitsISZ_E10value_typeET2_T3_PNS10_IS15_E10value_typeET4_jRbjT5_S1B_jjP12ihipStream_tbEUljE_EEESW_SX_SY_S15_S19_S1B_T6_T7_T9_mT8_S1D_bDpT10_ENKUlT_T0_E_clISt17integral_constantIbLb0EES1Q_EEDaS1L_S1M_EUlS1L_E_NS1_11comp_targetILNS1_3genE3ELNS1_11target_archE908ELNS1_3gpuE7ELNS1_3repE0EEENS1_30default_config_static_selectorELNS0_4arch9wavefront6targetE1EEEvSZ_.has_indirect_call, 0
	.section	.AMDGPU.csdata,"",@progbits
; Kernel info:
; codeLenInByte = 0
; TotalNumSgprs: 4
; NumVgprs: 0
; ScratchSize: 0
; MemoryBound: 0
; FloatMode: 240
; IeeeMode: 1
; LDSByteSize: 0 bytes/workgroup (compile time only)
; SGPRBlocks: 0
; VGPRBlocks: 0
; NumSGPRsForWavesPerEU: 4
; NumVGPRsForWavesPerEU: 1
; Occupancy: 10
; WaveLimiterHint : 0
; COMPUTE_PGM_RSRC2:SCRATCH_EN: 0
; COMPUTE_PGM_RSRC2:USER_SGPR: 6
; COMPUTE_PGM_RSRC2:TRAP_HANDLER: 0
; COMPUTE_PGM_RSRC2:TGID_X_EN: 1
; COMPUTE_PGM_RSRC2:TGID_Y_EN: 0
; COMPUTE_PGM_RSRC2:TGID_Z_EN: 0
; COMPUTE_PGM_RSRC2:TIDIG_COMP_CNT: 0
	.section	.text._ZN7rocprim17ROCPRIM_400000_NS6detail17trampoline_kernelINS0_13select_configILj256ELj13ELNS0_17block_load_methodE3ELS4_3ELS4_3ELNS0_20block_scan_algorithmE0ELj4294967295EEENS1_25partition_config_selectorILNS1_17partition_subalgoE3EjNS0_10empty_typeEbEEZZNS1_14partition_implILS8_3ELb0ES6_jNS0_17counting_iteratorIjlEEPS9_SE_NS0_5tupleIJPjSE_EEENSF_IJSE_SE_EEES9_SG_JZNS1_25segmented_radix_sort_implINS0_14default_configELb1EPK6__halfPSL_PKlPlN2at6native12_GLOBAL__N_18offset_tEEE10hipError_tPvRmT1_PNSt15iterator_traitsISZ_E10value_typeET2_T3_PNS10_IS15_E10value_typeET4_jRbjT5_S1B_jjP12ihipStream_tbEUljE_EEESW_SX_SY_S15_S19_S1B_T6_T7_T9_mT8_S1D_bDpT10_ENKUlT_T0_E_clISt17integral_constantIbLb0EES1Q_EEDaS1L_S1M_EUlS1L_E_NS1_11comp_targetILNS1_3genE2ELNS1_11target_archE906ELNS1_3gpuE6ELNS1_3repE0EEENS1_30default_config_static_selectorELNS0_4arch9wavefront6targetE1EEEvSZ_,"axG",@progbits,_ZN7rocprim17ROCPRIM_400000_NS6detail17trampoline_kernelINS0_13select_configILj256ELj13ELNS0_17block_load_methodE3ELS4_3ELS4_3ELNS0_20block_scan_algorithmE0ELj4294967295EEENS1_25partition_config_selectorILNS1_17partition_subalgoE3EjNS0_10empty_typeEbEEZZNS1_14partition_implILS8_3ELb0ES6_jNS0_17counting_iteratorIjlEEPS9_SE_NS0_5tupleIJPjSE_EEENSF_IJSE_SE_EEES9_SG_JZNS1_25segmented_radix_sort_implINS0_14default_configELb1EPK6__halfPSL_PKlPlN2at6native12_GLOBAL__N_18offset_tEEE10hipError_tPvRmT1_PNSt15iterator_traitsISZ_E10value_typeET2_T3_PNS10_IS15_E10value_typeET4_jRbjT5_S1B_jjP12ihipStream_tbEUljE_EEESW_SX_SY_S15_S19_S1B_T6_T7_T9_mT8_S1D_bDpT10_ENKUlT_T0_E_clISt17integral_constantIbLb0EES1Q_EEDaS1L_S1M_EUlS1L_E_NS1_11comp_targetILNS1_3genE2ELNS1_11target_archE906ELNS1_3gpuE6ELNS1_3repE0EEENS1_30default_config_static_selectorELNS0_4arch9wavefront6targetE1EEEvSZ_,comdat
	.globl	_ZN7rocprim17ROCPRIM_400000_NS6detail17trampoline_kernelINS0_13select_configILj256ELj13ELNS0_17block_load_methodE3ELS4_3ELS4_3ELNS0_20block_scan_algorithmE0ELj4294967295EEENS1_25partition_config_selectorILNS1_17partition_subalgoE3EjNS0_10empty_typeEbEEZZNS1_14partition_implILS8_3ELb0ES6_jNS0_17counting_iteratorIjlEEPS9_SE_NS0_5tupleIJPjSE_EEENSF_IJSE_SE_EEES9_SG_JZNS1_25segmented_radix_sort_implINS0_14default_configELb1EPK6__halfPSL_PKlPlN2at6native12_GLOBAL__N_18offset_tEEE10hipError_tPvRmT1_PNSt15iterator_traitsISZ_E10value_typeET2_T3_PNS10_IS15_E10value_typeET4_jRbjT5_S1B_jjP12ihipStream_tbEUljE_EEESW_SX_SY_S15_S19_S1B_T6_T7_T9_mT8_S1D_bDpT10_ENKUlT_T0_E_clISt17integral_constantIbLb0EES1Q_EEDaS1L_S1M_EUlS1L_E_NS1_11comp_targetILNS1_3genE2ELNS1_11target_archE906ELNS1_3gpuE6ELNS1_3repE0EEENS1_30default_config_static_selectorELNS0_4arch9wavefront6targetE1EEEvSZ_ ; -- Begin function _ZN7rocprim17ROCPRIM_400000_NS6detail17trampoline_kernelINS0_13select_configILj256ELj13ELNS0_17block_load_methodE3ELS4_3ELS4_3ELNS0_20block_scan_algorithmE0ELj4294967295EEENS1_25partition_config_selectorILNS1_17partition_subalgoE3EjNS0_10empty_typeEbEEZZNS1_14partition_implILS8_3ELb0ES6_jNS0_17counting_iteratorIjlEEPS9_SE_NS0_5tupleIJPjSE_EEENSF_IJSE_SE_EEES9_SG_JZNS1_25segmented_radix_sort_implINS0_14default_configELb1EPK6__halfPSL_PKlPlN2at6native12_GLOBAL__N_18offset_tEEE10hipError_tPvRmT1_PNSt15iterator_traitsISZ_E10value_typeET2_T3_PNS10_IS15_E10value_typeET4_jRbjT5_S1B_jjP12ihipStream_tbEUljE_EEESW_SX_SY_S15_S19_S1B_T6_T7_T9_mT8_S1D_bDpT10_ENKUlT_T0_E_clISt17integral_constantIbLb0EES1Q_EEDaS1L_S1M_EUlS1L_E_NS1_11comp_targetILNS1_3genE2ELNS1_11target_archE906ELNS1_3gpuE6ELNS1_3repE0EEENS1_30default_config_static_selectorELNS0_4arch9wavefront6targetE1EEEvSZ_
	.p2align	8
	.type	_ZN7rocprim17ROCPRIM_400000_NS6detail17trampoline_kernelINS0_13select_configILj256ELj13ELNS0_17block_load_methodE3ELS4_3ELS4_3ELNS0_20block_scan_algorithmE0ELj4294967295EEENS1_25partition_config_selectorILNS1_17partition_subalgoE3EjNS0_10empty_typeEbEEZZNS1_14partition_implILS8_3ELb0ES6_jNS0_17counting_iteratorIjlEEPS9_SE_NS0_5tupleIJPjSE_EEENSF_IJSE_SE_EEES9_SG_JZNS1_25segmented_radix_sort_implINS0_14default_configELb1EPK6__halfPSL_PKlPlN2at6native12_GLOBAL__N_18offset_tEEE10hipError_tPvRmT1_PNSt15iterator_traitsISZ_E10value_typeET2_T3_PNS10_IS15_E10value_typeET4_jRbjT5_S1B_jjP12ihipStream_tbEUljE_EEESW_SX_SY_S15_S19_S1B_T6_T7_T9_mT8_S1D_bDpT10_ENKUlT_T0_E_clISt17integral_constantIbLb0EES1Q_EEDaS1L_S1M_EUlS1L_E_NS1_11comp_targetILNS1_3genE2ELNS1_11target_archE906ELNS1_3gpuE6ELNS1_3repE0EEENS1_30default_config_static_selectorELNS0_4arch9wavefront6targetE1EEEvSZ_,@function
_ZN7rocprim17ROCPRIM_400000_NS6detail17trampoline_kernelINS0_13select_configILj256ELj13ELNS0_17block_load_methodE3ELS4_3ELS4_3ELNS0_20block_scan_algorithmE0ELj4294967295EEENS1_25partition_config_selectorILNS1_17partition_subalgoE3EjNS0_10empty_typeEbEEZZNS1_14partition_implILS8_3ELb0ES6_jNS0_17counting_iteratorIjlEEPS9_SE_NS0_5tupleIJPjSE_EEENSF_IJSE_SE_EEES9_SG_JZNS1_25segmented_radix_sort_implINS0_14default_configELb1EPK6__halfPSL_PKlPlN2at6native12_GLOBAL__N_18offset_tEEE10hipError_tPvRmT1_PNSt15iterator_traitsISZ_E10value_typeET2_T3_PNS10_IS15_E10value_typeET4_jRbjT5_S1B_jjP12ihipStream_tbEUljE_EEESW_SX_SY_S15_S19_S1B_T6_T7_T9_mT8_S1D_bDpT10_ENKUlT_T0_E_clISt17integral_constantIbLb0EES1Q_EEDaS1L_S1M_EUlS1L_E_NS1_11comp_targetILNS1_3genE2ELNS1_11target_archE906ELNS1_3gpuE6ELNS1_3repE0EEENS1_30default_config_static_selectorELNS0_4arch9wavefront6targetE1EEEvSZ_: ; @_ZN7rocprim17ROCPRIM_400000_NS6detail17trampoline_kernelINS0_13select_configILj256ELj13ELNS0_17block_load_methodE3ELS4_3ELS4_3ELNS0_20block_scan_algorithmE0ELj4294967295EEENS1_25partition_config_selectorILNS1_17partition_subalgoE3EjNS0_10empty_typeEbEEZZNS1_14partition_implILS8_3ELb0ES6_jNS0_17counting_iteratorIjlEEPS9_SE_NS0_5tupleIJPjSE_EEENSF_IJSE_SE_EEES9_SG_JZNS1_25segmented_radix_sort_implINS0_14default_configELb1EPK6__halfPSL_PKlPlN2at6native12_GLOBAL__N_18offset_tEEE10hipError_tPvRmT1_PNSt15iterator_traitsISZ_E10value_typeET2_T3_PNS10_IS15_E10value_typeET4_jRbjT5_S1B_jjP12ihipStream_tbEUljE_EEESW_SX_SY_S15_S19_S1B_T6_T7_T9_mT8_S1D_bDpT10_ENKUlT_T0_E_clISt17integral_constantIbLb0EES1Q_EEDaS1L_S1M_EUlS1L_E_NS1_11comp_targetILNS1_3genE2ELNS1_11target_archE906ELNS1_3gpuE6ELNS1_3repE0EEENS1_30default_config_static_selectorELNS0_4arch9wavefront6targetE1EEEvSZ_
; %bb.0:
	s_load_dwordx2 s[28:29], s[4:5], 0x58
	s_load_dwordx4 s[24:27], s[4:5], 0x48
	s_load_dword s12, s[4:5], 0x8
	s_load_dwordx2 s[30:31], s[4:5], 0x10
	s_load_dword s0, s[4:5], 0x70
	s_load_dword s7, s[4:5], 0x88
	s_load_dwordx4 s[8:11], s[4:5], 0x78
	s_waitcnt lgkmcnt(0)
	s_load_dwordx2 s[34:35], s[26:27], 0x0
	s_mul_i32 s44, s6, 0xd00
	s_add_i32 s2, s0, -1
	s_mulk_i32 s0, 0xd00
	s_add_i32 s1, s0, s30
	s_sub_i32 s33, s28, s1
	s_addk_i32 s33, 0xd00
	s_add_u32 s0, s30, s0
	s_addc_u32 s1, s31, 0
	v_mov_b32_e32 v2, s1
	v_mov_b32_e32 v1, s0
	s_cmp_eq_u32 s6, s2
	v_cmp_gt_u64_e32 vcc, s[28:29], v[1:2]
	s_cselect_b64 s[22:23], -1, 0
	s_cmp_lg_u32 s6, s2
	s_cselect_b64 s[0:1], -1, 0
	s_add_i32 s12, s12, s44
	s_or_b64 s[2:3], s[0:1], vcc
	s_add_i32 s12, s12, s30
	s_mov_b64 s[0:1], -1
	s_and_b64 vcc, exec, s[2:3]
	v_add_u32_e32 v1, s12, v0
	v_lshlrev_b32_e32 v23, 2, v0
	s_cbranch_vccz .LBB1711_2
; %bb.1:
	v_add_u32_e32 v2, 0x100, v1
	v_add_u32_e32 v3, 0x200, v1
	;; [unrolled: 1-line block ×12, first 2 shown]
	ds_write2st64_b32 v23, v1, v2 offset1:4
	ds_write2st64_b32 v23, v3, v4 offset0:8 offset1:12
	ds_write2st64_b32 v23, v5, v6 offset0:16 offset1:20
	;; [unrolled: 1-line block ×5, first 2 shown]
	ds_write_b32 v23, v13 offset:12288
	s_waitcnt lgkmcnt(0)
	s_barrier
	s_mov_b64 s[0:1], 0
.LBB1711_2:
	s_andn2_b64 vcc, exec, s[0:1]
	v_cmp_gt_u32_e64 s[0:1], s33, v0
	s_cbranch_vccnz .LBB1711_4
; %bb.3:
	v_or_b32_e32 v2, 0x100, v0
	v_add_u32_e32 v3, s12, v2
	v_cmp_gt_u32_e32 vcc, s33, v2
	v_cndmask_b32_e32 v2, 0, v3, vcc
	v_or_b32_e32 v3, 0x200, v0
	v_add_u32_e32 v4, s12, v3
	v_cmp_gt_u32_e32 vcc, s33, v3
	v_cndmask_b32_e32 v3, 0, v4, vcc
	v_or_b32_e32 v4, 0x300, v0
	v_add_u32_e32 v5, s12, v4
	v_cmp_gt_u32_e32 vcc, s33, v4
	v_cndmask_b32_e32 v4, 0, v5, vcc
	v_or_b32_e32 v5, 0x400, v0
	v_add_u32_e32 v6, s12, v5
	v_cmp_gt_u32_e32 vcc, s33, v5
	v_cndmask_b32_e32 v5, 0, v6, vcc
	v_or_b32_e32 v6, 0x500, v0
	v_add_u32_e32 v7, s12, v6
	v_cmp_gt_u32_e32 vcc, s33, v6
	v_cndmask_b32_e32 v6, 0, v7, vcc
	v_or_b32_e32 v7, 0x600, v0
	v_add_u32_e32 v8, s12, v7
	v_cmp_gt_u32_e32 vcc, s33, v7
	v_cndmask_b32_e32 v7, 0, v8, vcc
	v_or_b32_e32 v8, 0x700, v0
	v_add_u32_e32 v9, s12, v8
	v_cmp_gt_u32_e32 vcc, s33, v8
	v_cndmask_b32_e32 v8, 0, v9, vcc
	v_or_b32_e32 v9, 0x800, v0
	v_add_u32_e32 v10, s12, v9
	v_cmp_gt_u32_e32 vcc, s33, v9
	v_cndmask_b32_e32 v9, 0, v10, vcc
	v_or_b32_e32 v10, 0x900, v0
	v_add_u32_e32 v11, s12, v10
	v_cmp_gt_u32_e32 vcc, s33, v10
	v_cndmask_b32_e32 v10, 0, v11, vcc
	v_or_b32_e32 v11, 0xa00, v0
	v_add_u32_e32 v12, s12, v11
	v_cmp_gt_u32_e32 vcc, s33, v11
	v_cndmask_b32_e32 v11, 0, v12, vcc
	v_or_b32_e32 v12, 0xb00, v0
	v_add_u32_e32 v13, s12, v12
	v_cmp_gt_u32_e32 vcc, s33, v12
	v_cndmask_b32_e32 v12, 0, v13, vcc
	v_or_b32_e32 v13, 0xc00, v0
	v_cndmask_b32_e64 v1, 0, v1, s[0:1]
	v_add_u32_e32 v14, s12, v13
	v_cmp_gt_u32_e32 vcc, s33, v13
	v_cndmask_b32_e32 v13, 0, v14, vcc
	ds_write2st64_b32 v23, v1, v2 offset1:4
	ds_write2st64_b32 v23, v3, v4 offset0:8 offset1:12
	ds_write2st64_b32 v23, v5, v6 offset0:16 offset1:20
	;; [unrolled: 1-line block ×5, first 2 shown]
	ds_write_b32 v23, v13 offset:12288
	s_waitcnt lgkmcnt(0)
	s_barrier
.LBB1711_4:
	v_mul_u32_u24_e32 v25, 13, v0
	v_lshlrev_b32_e32 v1, 2, v25
	s_waitcnt lgkmcnt(0)
	ds_read2_b32 v[13:14], v1 offset1:1
	ds_read2_b32 v[11:12], v1 offset0:2 offset1:3
	ds_read2_b32 v[9:10], v1 offset0:4 offset1:5
	ds_read2_b32 v[7:8], v1 offset0:6 offset1:7
	ds_read2_b32 v[5:6], v1 offset0:8 offset1:9
	ds_read2_b32 v[3:4], v1 offset0:10 offset1:11
	ds_read_b32 v24, v1 offset:48
	v_cndmask_b32_e64 v1, 0, 1, s[2:3]
	v_cmp_ne_u32_e64 s[0:1], 1, v1
	s_andn2_b64 vcc, exec, s[2:3]
	s_waitcnt lgkmcnt(0)
	s_barrier
	s_cbranch_vccnz .LBB1711_6
; %bb.5:
	v_add_u32_e32 v1, s9, v13
	v_add_u32_e32 v2, s11, v13
	v_mul_lo_u32 v1, v1, s8
	v_mul_lo_u32 v2, v2, s10
	v_add_u32_e32 v15, s9, v11
	v_add_u32_e32 v16, s11, v11
	v_mul_lo_u32 v15, v15, s8
	v_sub_u32_e32 v1, v1, v2
	v_cmp_lt_u32_e32 vcc, s7, v1
	v_add_u32_e32 v1, s9, v14
	v_add_u32_e32 v2, s11, v14
	v_mul_lo_u32 v1, v1, s8
	v_mul_lo_u32 v2, v2, s10
	;; [unrolled: 1-line block ×3, first 2 shown]
	v_cndmask_b32_e64 v26, 0, 1, vcc
	v_sub_u32_e32 v1, v1, v2
	v_cmp_lt_u32_e32 vcc, s7, v1
	v_sub_u32_e32 v1, v15, v16
	v_cndmask_b32_e64 v27, 0, 1, vcc
	v_cmp_lt_u32_e32 vcc, s7, v1
	v_add_u32_e32 v1, s9, v12
	v_add_u32_e32 v2, s11, v12
	v_mul_lo_u32 v1, v1, s8
	v_mul_lo_u32 v2, v2, s10
	v_add_u32_e32 v15, s9, v9
	v_add_u32_e32 v16, s11, v9
	v_mul_lo_u32 v15, v15, s8
	v_mul_lo_u32 v16, v16, s10
	v_sub_u32_e32 v1, v1, v2
	v_cndmask_b32_e64 v28, 0, 1, vcc
	v_cmp_lt_u32_e32 vcc, s7, v1
	v_sub_u32_e32 v1, v15, v16
	v_cndmask_b32_e64 v29, 0, 1, vcc
	v_cmp_lt_u32_e32 vcc, s7, v1
	v_add_u32_e32 v1, s9, v10
	v_add_u32_e32 v2, s11, v10
	v_mul_lo_u32 v1, v1, s8
	v_mul_lo_u32 v2, v2, s10
	v_add_u32_e32 v15, s9, v7
	v_add_u32_e32 v16, s11, v7
	v_mul_lo_u32 v15, v15, s8
	v_mul_lo_u32 v16, v16, s10
	v_sub_u32_e32 v1, v1, v2
	v_cndmask_b32_e64 v30, 0, 1, vcc
	;; [unrolled: 14-line block ×5, first 2 shown]
	v_cmp_lt_u32_e32 vcc, s7, v1
	v_sub_u32_e32 v1, v15, v16
	v_cndmask_b32_e64 v37, 0, 1, vcc
	v_cmp_lt_u32_e64 s[38:39], s7, v1
	s_load_dwordx2 s[26:27], s[4:5], 0x28
	s_load_dwordx2 s[36:37], s[4:5], 0x68
	s_cbranch_execz .LBB1711_7
	s_branch .LBB1711_34
.LBB1711_6:
                                        ; implicit-def: $sgpr38_sgpr39
                                        ; implicit-def: $vgpr37
                                        ; implicit-def: $vgpr36
                                        ; implicit-def: $vgpr35
                                        ; implicit-def: $vgpr34
                                        ; implicit-def: $vgpr33
                                        ; implicit-def: $vgpr32
                                        ; implicit-def: $vgpr31
                                        ; implicit-def: $vgpr30
                                        ; implicit-def: $vgpr26
                                        ; implicit-def: $vgpr27
                                        ; implicit-def: $vgpr28
                                        ; implicit-def: $vgpr29
	s_load_dwordx2 s[26:27], s[4:5], 0x28
	s_load_dwordx2 s[36:37], s[4:5], 0x68
.LBB1711_7:
	v_cmp_gt_u32_e32 vcc, s33, v25
	v_mov_b32_e32 v27, 0
	v_mov_b32_e32 v26, 0
	s_and_saveexec_b64 s[2:3], vcc
	s_cbranch_execz .LBB1711_9
; %bb.8:
	v_add_u32_e32 v1, s9, v13
	v_add_u32_e32 v2, s11, v13
	v_mul_lo_u32 v1, v1, s8
	v_mul_lo_u32 v2, v2, s10
	v_sub_u32_e32 v1, v1, v2
	v_cmp_lt_u32_e32 vcc, s7, v1
	v_cndmask_b32_e64 v26, 0, 1, vcc
.LBB1711_9:
	s_or_b64 exec, exec, s[2:3]
	v_add_u32_e32 v1, 1, v25
	v_cmp_gt_u32_e32 vcc, s33, v1
	s_and_saveexec_b64 s[2:3], vcc
	s_cbranch_execz .LBB1711_11
; %bb.10:
	v_add_u32_e32 v1, s9, v14
	v_add_u32_e32 v2, s11, v14
	v_mul_lo_u32 v1, v1, s8
	v_mul_lo_u32 v2, v2, s10
	v_sub_u32_e32 v1, v1, v2
	v_cmp_lt_u32_e32 vcc, s7, v1
	v_cndmask_b32_e64 v27, 0, 1, vcc
.LBB1711_11:
	s_or_b64 exec, exec, s[2:3]
	v_add_u32_e32 v1, 2, v25
	v_cmp_gt_u32_e32 vcc, s33, v1
	v_mov_b32_e32 v29, 0
	v_mov_b32_e32 v28, 0
	s_and_saveexec_b64 s[2:3], vcc
	s_cbranch_execz .LBB1711_13
; %bb.12:
	v_add_u32_e32 v1, s9, v11
	v_add_u32_e32 v2, s11, v11
	v_mul_lo_u32 v1, v1, s8
	v_mul_lo_u32 v2, v2, s10
	v_sub_u32_e32 v1, v1, v2
	v_cmp_lt_u32_e32 vcc, s7, v1
	v_cndmask_b32_e64 v28, 0, 1, vcc
.LBB1711_13:
	s_or_b64 exec, exec, s[2:3]
	v_add_u32_e32 v1, 3, v25
	v_cmp_gt_u32_e32 vcc, s33, v1
	s_and_saveexec_b64 s[2:3], vcc
	s_cbranch_execz .LBB1711_15
; %bb.14:
	v_add_u32_e32 v1, s9, v12
	v_add_u32_e32 v2, s11, v12
	v_mul_lo_u32 v1, v1, s8
	v_mul_lo_u32 v2, v2, s10
	v_sub_u32_e32 v1, v1, v2
	v_cmp_lt_u32_e32 vcc, s7, v1
	v_cndmask_b32_e64 v29, 0, 1, vcc
.LBB1711_15:
	s_or_b64 exec, exec, s[2:3]
	v_add_u32_e32 v1, 4, v25
	;; [unrolled: 30-line block ×6, first 2 shown]
	v_cmp_gt_u32_e32 vcc, s33, v1
	s_mov_b64 s[38:39], 0
	s_and_saveexec_b64 s[2:3], vcc
	s_cbranch_execz .LBB1711_33
; %bb.32:
	v_add_u32_e32 v1, s9, v24
	v_add_u32_e32 v2, s11, v24
	v_mul_lo_u32 v1, v1, s8
	v_mul_lo_u32 v2, v2, s10
	v_sub_u32_e32 v1, v1, v2
	v_cmp_lt_u32_e32 vcc, s7, v1
	s_and_b64 s[38:39], vcc, exec
.LBB1711_33:
	s_or_b64 exec, exec, s[2:3]
.LBB1711_34:
	v_and_b32_e32 v40, 0xff, v27
	v_and_b32_e32 v41, 0xff, v28
	;; [unrolled: 1-line block ×5, first 2 shown]
	v_add3_u32 v2, v41, v42, v40
	v_and_b32_e32 v44, 0xff, v31
	v_and_b32_e32 v45, 0xff, v32
	v_add3_u32 v2, v2, v39, v43
	v_and_b32_e32 v46, 0xff, v33
	v_and_b32_e32 v47, 0xff, v34
	;; [unrolled: 3-line block ×3, first 2 shown]
	v_add3_u32 v2, v2, v46, v47
	v_and_b32_e32 v38, 0xff, v37
	v_cndmask_b32_e64 v1, 0, 1, s[38:39]
	v_add3_u32 v2, v2, v48, v49
	v_add3_u32 v52, v2, v38, v1
	v_mbcnt_lo_u32_b32 v1, -1, 0
	v_mbcnt_hi_u32_b32 v50, -1, v1
	v_and_b32_e32 v1, 15, v50
	v_cmp_eq_u32_e64 s[14:15], 0, v1
	v_cmp_lt_u32_e64 s[12:13], 1, v1
	v_cmp_lt_u32_e64 s[10:11], 3, v1
	;; [unrolled: 1-line block ×3, first 2 shown]
	v_and_b32_e32 v1, 16, v50
	v_cmp_eq_u32_e64 s[18:19], 0, v1
	v_or_b32_e32 v1, 63, v0
	s_cmp_lg_u32 s6, 0
	v_cmp_lt_u32_e64 s[2:3], 31, v50
	v_lshrrev_b32_e32 v51, 6, v0
	v_cmp_eq_u32_e64 s[4:5], v0, v1
	s_cbranch_scc0 .LBB1711_56
; %bb.35:
	v_mov_b32_dpp v1, v52 row_shr:1 row_mask:0xf bank_mask:0xf
	v_cndmask_b32_e64 v1, v1, 0, s[14:15]
	v_add_u32_e32 v1, v1, v52
	s_nop 1
	v_mov_b32_dpp v2, v1 row_shr:2 row_mask:0xf bank_mask:0xf
	v_cndmask_b32_e64 v2, 0, v2, s[12:13]
	v_add_u32_e32 v1, v1, v2
	s_nop 1
	;; [unrolled: 4-line block ×4, first 2 shown]
	v_mov_b32_dpp v2, v1 row_bcast:15 row_mask:0xf bank_mask:0xf
	v_cndmask_b32_e64 v2, v2, 0, s[18:19]
	v_add_u32_e32 v1, v1, v2
	s_nop 1
	v_mov_b32_dpp v2, v1 row_bcast:31 row_mask:0xf bank_mask:0xf
	v_cndmask_b32_e64 v2, 0, v2, s[2:3]
	v_add_u32_e32 v1, v1, v2
	s_and_saveexec_b64 s[16:17], s[4:5]
; %bb.36:
	v_lshlrev_b32_e32 v2, 2, v51
	ds_write_b32 v2, v1
; %bb.37:
	s_or_b64 exec, exec, s[16:17]
	v_cmp_gt_u32_e32 vcc, 4, v0
	s_waitcnt lgkmcnt(0)
	s_barrier
	s_and_saveexec_b64 s[16:17], vcc
	s_cbranch_execz .LBB1711_39
; %bb.38:
	ds_read_b32 v2, v23
	v_and_b32_e32 v15, 3, v50
	v_cmp_ne_u32_e32 vcc, 0, v15
	s_waitcnt lgkmcnt(0)
	v_mov_b32_dpp v16, v2 row_shr:1 row_mask:0xf bank_mask:0xf
	v_cndmask_b32_e32 v16, 0, v16, vcc
	v_add_u32_e32 v2, v16, v2
	v_cmp_lt_u32_e32 vcc, 1, v15
	s_nop 0
	v_mov_b32_dpp v16, v2 row_shr:2 row_mask:0xf bank_mask:0xf
	v_cndmask_b32_e32 v15, 0, v16, vcc
	v_add_u32_e32 v2, v2, v15
	ds_write_b32 v23, v2
.LBB1711_39:
	s_or_b64 exec, exec, s[16:17]
	v_cmp_gt_u32_e32 vcc, 64, v0
	v_cmp_lt_u32_e64 s[16:17], 63, v0
	s_waitcnt lgkmcnt(0)
	s_barrier
                                        ; implicit-def: $vgpr53
	s_and_saveexec_b64 s[20:21], s[16:17]
	s_cbranch_execz .LBB1711_41
; %bb.40:
	v_lshl_add_u32 v2, v51, 2, -4
	ds_read_b32 v53, v2
	s_waitcnt lgkmcnt(0)
	v_add_u32_e32 v1, v53, v1
.LBB1711_41:
	s_or_b64 exec, exec, s[20:21]
	v_subrev_co_u32_e64 v2, s[16:17], 1, v50
	v_and_b32_e32 v15, 64, v50
	v_cmp_lt_i32_e64 s[20:21], v2, v15
	v_cndmask_b32_e64 v2, v2, v50, s[20:21]
	v_lshlrev_b32_e32 v2, 2, v2
	ds_bpermute_b32 v54, v2, v1
	s_and_saveexec_b64 s[20:21], vcc
	s_cbranch_execz .LBB1711_61
; %bb.42:
	v_mov_b32_e32 v19, 0
	ds_read_b32 v1, v19 offset:12
	s_and_saveexec_b64 s[40:41], s[16:17]
	s_cbranch_execz .LBB1711_44
; %bb.43:
	s_add_i32 s42, s6, 64
	s_mov_b32 s43, 0
	s_lshl_b64 s[42:43], s[42:43], 3
	s_add_u32 s42, s36, s42
	v_mov_b32_e32 v2, 1
	s_addc_u32 s43, s37, s43
	s_waitcnt lgkmcnt(0)
	global_store_dwordx2 v19, v[1:2], s[42:43]
.LBB1711_44:
	s_or_b64 exec, exec, s[40:41]
	v_xad_u32 v15, v50, -1, s6
	v_add_u32_e32 v18, 64, v15
	v_lshlrev_b64 v[16:17], 3, v[18:19]
	v_mov_b32_e32 v2, s37
	v_add_co_u32_e32 v20, vcc, s36, v16
	v_addc_co_u32_e32 v21, vcc, v2, v17, vcc
	global_load_dwordx2 v[17:18], v[20:21], off glc
	s_waitcnt vmcnt(0)
	v_cmp_eq_u16_sdwa s[42:43], v18, v19 src0_sel:BYTE_0 src1_sel:DWORD
	s_and_saveexec_b64 s[40:41], s[42:43]
	s_cbranch_execz .LBB1711_48
; %bb.45:
	s_mov_b64 s[42:43], 0
	v_mov_b32_e32 v2, 0
.LBB1711_46:                            ; =>This Inner Loop Header: Depth=1
	global_load_dwordx2 v[17:18], v[20:21], off glc
	s_waitcnt vmcnt(0)
	v_cmp_ne_u16_sdwa s[46:47], v18, v2 src0_sel:BYTE_0 src1_sel:DWORD
	s_or_b64 s[42:43], s[46:47], s[42:43]
	s_andn2_b64 exec, exec, s[42:43]
	s_cbranch_execnz .LBB1711_46
; %bb.47:
	s_or_b64 exec, exec, s[42:43]
.LBB1711_48:
	s_or_b64 exec, exec, s[40:41]
	v_and_b32_e32 v56, 63, v50
	v_mov_b32_e32 v55, 2
	v_lshlrev_b64 v[19:20], v50, -1
	v_cmp_ne_u32_e32 vcc, 63, v56
	v_cmp_eq_u16_sdwa s[40:41], v18, v55 src0_sel:BYTE_0 src1_sel:DWORD
	v_addc_co_u32_e32 v21, vcc, 0, v50, vcc
	v_and_b32_e32 v2, s41, v20
	v_lshlrev_b32_e32 v57, 2, v21
	v_or_b32_e32 v2, 0x80000000, v2
	ds_bpermute_b32 v21, v57, v17
	v_and_b32_e32 v16, s40, v19
	v_ffbl_b32_e32 v2, v2
	v_add_u32_e32 v2, 32, v2
	v_ffbl_b32_e32 v16, v16
	v_min_u32_e32 v2, v16, v2
	v_cmp_lt_u32_e32 vcc, v56, v2
	s_waitcnt lgkmcnt(0)
	v_cndmask_b32_e32 v16, 0, v21, vcc
	v_cmp_gt_u32_e32 vcc, 62, v56
	v_add_u32_e32 v16, v16, v17
	v_cndmask_b32_e64 v17, 0, 2, vcc
	v_add_lshl_u32 v58, v17, v50, 2
	ds_bpermute_b32 v17, v58, v16
	v_add_u32_e32 v59, 2, v56
	v_cmp_le_u32_e32 vcc, v59, v2
	v_add_u32_e32 v61, 4, v56
	v_add_u32_e32 v63, 8, v56
	s_waitcnt lgkmcnt(0)
	v_cndmask_b32_e32 v17, 0, v17, vcc
	v_cmp_gt_u32_e32 vcc, 60, v56
	v_add_u32_e32 v16, v16, v17
	v_cndmask_b32_e64 v17, 0, 4, vcc
	v_add_lshl_u32 v60, v17, v50, 2
	ds_bpermute_b32 v17, v60, v16
	v_cmp_le_u32_e32 vcc, v61, v2
	v_add_u32_e32 v65, 16, v56
	v_add_u32_e32 v67, 32, v56
	s_waitcnt lgkmcnt(0)
	v_cndmask_b32_e32 v17, 0, v17, vcc
	v_cmp_gt_u32_e32 vcc, 56, v56
	v_add_u32_e32 v16, v16, v17
	v_cndmask_b32_e64 v17, 0, 8, vcc
	v_add_lshl_u32 v62, v17, v50, 2
	ds_bpermute_b32 v17, v62, v16
	v_cmp_le_u32_e32 vcc, v63, v2
	s_waitcnt lgkmcnt(0)
	v_cndmask_b32_e32 v17, 0, v17, vcc
	v_cmp_gt_u32_e32 vcc, 48, v56
	v_add_u32_e32 v16, v16, v17
	v_cndmask_b32_e64 v17, 0, 16, vcc
	v_add_lshl_u32 v64, v17, v50, 2
	ds_bpermute_b32 v17, v64, v16
	v_cmp_le_u32_e32 vcc, v65, v2
	s_waitcnt lgkmcnt(0)
	v_cndmask_b32_e32 v17, 0, v17, vcc
	v_add_u32_e32 v16, v16, v17
	v_mov_b32_e32 v17, 0x80
	v_lshl_or_b32 v66, v50, 2, v17
	ds_bpermute_b32 v17, v66, v16
	v_cmp_le_u32_e32 vcc, v67, v2
	s_waitcnt lgkmcnt(0)
	v_cndmask_b32_e32 v2, 0, v17, vcc
	v_add_u32_e32 v17, v16, v2
	v_mov_b32_e32 v16, 0
	s_branch .LBB1711_52
.LBB1711_49:                            ;   in Loop: Header=BB1711_52 Depth=1
	s_or_b64 exec, exec, s[42:43]
.LBB1711_50:                            ;   in Loop: Header=BB1711_52 Depth=1
	s_or_b64 exec, exec, s[40:41]
	v_cmp_eq_u16_sdwa s[40:41], v18, v55 src0_sel:BYTE_0 src1_sel:DWORD
	v_and_b32_e32 v21, s41, v20
	v_or_b32_e32 v21, 0x80000000, v21
	ds_bpermute_b32 v68, v57, v17
	v_and_b32_e32 v22, s40, v19
	v_ffbl_b32_e32 v21, v21
	v_add_u32_e32 v21, 32, v21
	v_ffbl_b32_e32 v22, v22
	v_min_u32_e32 v21, v22, v21
	v_cmp_lt_u32_e32 vcc, v56, v21
	s_waitcnt lgkmcnt(0)
	v_cndmask_b32_e32 v22, 0, v68, vcc
	v_add_u32_e32 v17, v22, v17
	ds_bpermute_b32 v22, v58, v17
	v_cmp_le_u32_e32 vcc, v59, v21
	v_subrev_u32_e32 v15, 64, v15
	s_mov_b64 s[40:41], 0
	s_waitcnt lgkmcnt(0)
	v_cndmask_b32_e32 v22, 0, v22, vcc
	v_add_u32_e32 v17, v17, v22
	ds_bpermute_b32 v22, v60, v17
	v_cmp_le_u32_e32 vcc, v61, v21
	s_waitcnt lgkmcnt(0)
	v_cndmask_b32_e32 v22, 0, v22, vcc
	v_add_u32_e32 v17, v17, v22
	ds_bpermute_b32 v22, v62, v17
	v_cmp_le_u32_e32 vcc, v63, v21
	;; [unrolled: 5-line block ×4, first 2 shown]
	s_waitcnt lgkmcnt(0)
	v_cndmask_b32_e32 v21, 0, v22, vcc
	v_add3_u32 v17, v21, v2, v17
.LBB1711_51:                            ;   in Loop: Header=BB1711_52 Depth=1
	s_and_b64 vcc, exec, s[40:41]
	s_cbranch_vccnz .LBB1711_57
.LBB1711_52:                            ; =>This Loop Header: Depth=1
                                        ;     Child Loop BB1711_55 Depth 2
	v_cmp_ne_u16_sdwa s[40:41], v18, v55 src0_sel:BYTE_0 src1_sel:DWORD
	v_mov_b32_e32 v2, v17
	s_cmp_lg_u64 s[40:41], exec
	s_mov_b64 s[40:41], -1
                                        ; implicit-def: $vgpr17
                                        ; implicit-def: $vgpr18
	s_cbranch_scc1 .LBB1711_51
; %bb.53:                               ;   in Loop: Header=BB1711_52 Depth=1
	v_lshlrev_b64 v[17:18], 3, v[15:16]
	v_mov_b32_e32 v22, s37
	v_add_co_u32_e32 v21, vcc, s36, v17
	v_addc_co_u32_e32 v22, vcc, v22, v18, vcc
	global_load_dwordx2 v[17:18], v[21:22], off glc
	s_waitcnt vmcnt(0)
	v_cmp_eq_u16_sdwa s[42:43], v18, v16 src0_sel:BYTE_0 src1_sel:DWORD
	s_and_saveexec_b64 s[40:41], s[42:43]
	s_cbranch_execz .LBB1711_50
; %bb.54:                               ;   in Loop: Header=BB1711_52 Depth=1
	s_mov_b64 s[42:43], 0
.LBB1711_55:                            ;   Parent Loop BB1711_52 Depth=1
                                        ; =>  This Inner Loop Header: Depth=2
	global_load_dwordx2 v[17:18], v[21:22], off glc
	s_waitcnt vmcnt(0)
	v_cmp_ne_u16_sdwa s[46:47], v18, v16 src0_sel:BYTE_0 src1_sel:DWORD
	s_or_b64 s[42:43], s[46:47], s[42:43]
	s_andn2_b64 exec, exec, s[42:43]
	s_cbranch_execnz .LBB1711_55
	s_branch .LBB1711_49
.LBB1711_56:
                                        ; implicit-def: $vgpr2
                                        ; implicit-def: $vgpr15
	s_cbranch_execnz .LBB1711_62
	s_branch .LBB1711_71
.LBB1711_57:
	s_and_saveexec_b64 s[40:41], s[16:17]
	s_cbranch_execz .LBB1711_59
; %bb.58:
	s_add_i32 s6, s6, 64
	s_mov_b32 s7, 0
	s_lshl_b64 s[6:7], s[6:7], 3
	s_add_u32 s6, s36, s6
	v_add_u32_e32 v15, v2, v1
	v_mov_b32_e32 v16, 2
	s_addc_u32 s7, s37, s7
	v_mov_b32_e32 v17, 0
	global_store_dwordx2 v17, v[15:16], s[6:7]
	ds_write_b64 v17, v[1:2] offset:13312
.LBB1711_59:
	s_or_b64 exec, exec, s[40:41]
	v_cmp_eq_u32_e32 vcc, 0, v0
	s_and_b64 exec, exec, vcc
; %bb.60:
	v_mov_b32_e32 v1, 0
	ds_write_b32 v1, v2 offset:12
.LBB1711_61:
	s_or_b64 exec, exec, s[20:21]
	v_mov_b32_e32 v1, 0
	s_waitcnt vmcnt(0) lgkmcnt(0)
	s_barrier
	ds_read_b32 v16, v1 offset:12
	s_waitcnt lgkmcnt(0)
	s_barrier
	ds_read_b64 v[1:2], v1 offset:13312
	v_cndmask_b32_e64 v15, v54, v53, s[16:17]
	v_cmp_ne_u32_e32 vcc, 0, v0
	v_cndmask_b32_e32 v15, 0, v15, vcc
	v_add_u32_e32 v15, v16, v15
	s_branch .LBB1711_71
.LBB1711_62:
	s_waitcnt lgkmcnt(0)
	v_mov_b32_dpp v1, v52 row_shr:1 row_mask:0xf bank_mask:0xf
	v_cndmask_b32_e64 v1, v1, 0, s[14:15]
	v_add_u32_e32 v1, v1, v52
	s_nop 1
	v_mov_b32_dpp v2, v1 row_shr:2 row_mask:0xf bank_mask:0xf
	v_cndmask_b32_e64 v2, 0, v2, s[12:13]
	v_add_u32_e32 v1, v1, v2
	s_nop 1
	;; [unrolled: 4-line block ×4, first 2 shown]
	v_mov_b32_dpp v2, v1 row_bcast:15 row_mask:0xf bank_mask:0xf
	v_cndmask_b32_e64 v2, v2, 0, s[18:19]
	v_add_u32_e32 v1, v1, v2
	s_nop 1
	v_mov_b32_dpp v2, v1 row_bcast:31 row_mask:0xf bank_mask:0xf
	v_cndmask_b32_e64 v2, 0, v2, s[2:3]
	v_add_u32_e32 v1, v1, v2
	s_and_saveexec_b64 s[2:3], s[4:5]
; %bb.63:
	v_lshlrev_b32_e32 v2, 2, v51
	ds_write_b32 v2, v1
; %bb.64:
	s_or_b64 exec, exec, s[2:3]
	v_cmp_gt_u32_e32 vcc, 4, v0
	s_waitcnt lgkmcnt(0)
	s_barrier
	s_and_saveexec_b64 s[2:3], vcc
	s_cbranch_execz .LBB1711_66
; %bb.65:
	ds_read_b32 v2, v23
	v_and_b32_e32 v15, 3, v50
	v_cmp_ne_u32_e32 vcc, 0, v15
	s_waitcnt lgkmcnt(0)
	v_mov_b32_dpp v16, v2 row_shr:1 row_mask:0xf bank_mask:0xf
	v_cndmask_b32_e32 v16, 0, v16, vcc
	v_add_u32_e32 v2, v16, v2
	v_cmp_lt_u32_e32 vcc, 1, v15
	s_nop 0
	v_mov_b32_dpp v16, v2 row_shr:2 row_mask:0xf bank_mask:0xf
	v_cndmask_b32_e32 v15, 0, v16, vcc
	v_add_u32_e32 v2, v2, v15
	ds_write_b32 v23, v2
.LBB1711_66:
	s_or_b64 exec, exec, s[2:3]
	v_cmp_lt_u32_e32 vcc, 63, v0
	v_mov_b32_e32 v2, 0
	v_mov_b32_e32 v15, 0
	s_waitcnt lgkmcnt(0)
	s_barrier
	s_and_saveexec_b64 s[2:3], vcc
; %bb.67:
	v_lshl_add_u32 v15, v51, 2, -4
	ds_read_b32 v15, v15
; %bb.68:
	s_or_b64 exec, exec, s[2:3]
	v_subrev_co_u32_e32 v16, vcc, 1, v50
	v_and_b32_e32 v17, 64, v50
	v_cmp_lt_i32_e64 s[2:3], v16, v17
	v_cndmask_b32_e64 v16, v16, v50, s[2:3]
	s_waitcnt lgkmcnt(0)
	v_add_u32_e32 v1, v15, v1
	v_lshlrev_b32_e32 v16, 2, v16
	ds_bpermute_b32 v16, v16, v1
	ds_read_b32 v1, v2 offset:12
	v_cmp_eq_u32_e64 s[2:3], 0, v0
	s_and_saveexec_b64 s[4:5], s[2:3]
	s_cbranch_execz .LBB1711_70
; %bb.69:
	v_mov_b32_e32 v17, 0
	v_mov_b32_e32 v2, 2
	s_waitcnt lgkmcnt(0)
	global_store_dwordx2 v17, v[1:2], s[36:37] offset:512
.LBB1711_70:
	s_or_b64 exec, exec, s[4:5]
	s_waitcnt lgkmcnt(1)
	v_cndmask_b32_e32 v2, v16, v15, vcc
	v_cndmask_b32_e64 v15, v2, 0, s[2:3]
	s_waitcnt vmcnt(0) lgkmcnt(0)
	s_barrier
	v_mov_b32_e32 v2, 0
.LBB1711_71:
	v_add_u32_e32 v16, v15, v39
	v_add_u32_e32 v17, v16, v40
	;; [unrolled: 1-line block ×4, first 2 shown]
	s_waitcnt lgkmcnt(0)
	v_add_u32_e32 v25, v1, v25
	v_sub_u32_e32 v15, v15, v2
	v_and_b32_e32 v26, 1, v26
	v_add_u32_e32 v20, v19, v43
	v_sub_u32_e32 v43, v25, v15
	v_cmp_eq_u32_e32 vcc, 1, v26
	v_cndmask_b32_e32 v15, v43, v15, vcc
	v_lshlrev_b32_e32 v15, 2, v15
	ds_write_b32 v15, v13
	v_sub_u32_e32 v13, v16, v2
	v_sub_u32_e32 v15, v25, v13
	v_and_b32_e32 v16, 1, v27
	v_add_u32_e32 v15, 1, v15
	v_cmp_eq_u32_e32 vcc, 1, v16
	v_cndmask_b32_e32 v13, v15, v13, vcc
	v_lshlrev_b32_e32 v13, 2, v13
	ds_write_b32 v13, v14
	v_sub_u32_e32 v13, v17, v2
	v_sub_u32_e32 v14, v25, v13
	v_and_b32_e32 v15, 1, v28
	v_add_u32_e32 v14, 2, v14
	;; [unrolled: 8-line block ×5, first 2 shown]
	v_cmp_eq_u32_e32 vcc, 1, v12
	v_cndmask_b32_e32 v9, v11, v9, vcc
	v_add_u32_e32 v21, v20, v44
	v_lshlrev_b32_e32 v9, 2, v9
	ds_write_b32 v9, v10
	v_sub_u32_e32 v9, v21, v2
	v_sub_u32_e32 v10, v25, v9
	v_and_b32_e32 v11, 1, v32
	v_add_u32_e32 v10, 6, v10
	v_cmp_eq_u32_e32 vcc, 1, v11
	v_cndmask_b32_e32 v9, v10, v9, vcc
	v_add_u32_e32 v22, v21, v45
	v_lshlrev_b32_e32 v9, 2, v9
	ds_write_b32 v9, v7
	v_sub_u32_e32 v7, v22, v2
	v_sub_u32_e32 v9, v25, v7
	v_and_b32_e32 v10, 1, v33
	v_add_u32_e32 v9, 7, v9
	;; [unrolled: 9-line block ×6, first 2 shown]
	v_cmp_eq_u32_e32 vcc, 1, v6
	v_cndmask_b32_e32 v3, v5, v3, vcc
	v_lshlrev_b32_e32 v3, 2, v3
	ds_write_b32 v3, v4
	v_sub_u32_e32 v3, v38, v2
	v_add_u32_e32 v3, v42, v3
	v_sub_u32_e32 v4, v25, v3
	v_add_u32_e32 v4, 12, v4
	v_cndmask_b32_e64 v3, v4, v3, s[38:39]
	v_lshlrev_b32_e32 v3, 2, v3
	ds_write_b32 v3, v24
	s_waitcnt lgkmcnt(0)
	s_barrier
	ds_read2st64_b32 v[13:14], v23 offset1:4
	ds_read2st64_b32 v[11:12], v23 offset0:8 offset1:12
	ds_read2st64_b32 v[9:10], v23 offset0:16 offset1:20
	;; [unrolled: 1-line block ×5, first 2 shown]
	ds_read_b32 v19, v23 offset:12288
	v_mov_b32_e32 v15, s35
	s_and_b64 vcc, exec, s[0:1]
	v_add_co_u32_e64 v17, s[0:1], s34, v2
	v_or_b32_e32 v33, 0x100, v0
	v_or_b32_e32 v31, 0x200, v0
	;; [unrolled: 1-line block ×12, first 2 shown]
	v_addc_co_u32_e64 v18, s[0:1], 0, v15, s[0:1]
	s_cbranch_vccnz .LBB1711_125
; %bb.72:
	v_mov_b32_e32 v2, s31
	v_subrev_co_u32_e32 v15, vcc, s30, v17
	s_sub_u32 s0, s28, s44
	v_subb_co_u32_e32 v16, vcc, v18, v2, vcc
	s_subb_u32 s1, s29, 0
	v_mov_b32_e32 v2, s1
	v_add_co_u32_e32 v23, vcc, s0, v1
	v_addc_co_u32_e32 v32, vcc, 0, v2, vcc
	v_add_co_u32_e32 v2, vcc, v23, v15
	v_addc_co_u32_e32 v23, vcc, v32, v16, vcc
	v_cmp_ge_u32_e32 vcc, v0, v1
                                        ; implicit-def: $vgpr15_vgpr16
	s_and_saveexec_b64 s[0:1], vcc
	s_xor_b64 s[0:1], exec, s[0:1]
; %bb.73:
	v_not_b32_e32 v15, v0
	v_ashrrev_i32_e32 v16, 31, v15
	v_add_co_u32_e32 v15, vcc, v2, v15
	v_addc_co_u32_e32 v16, vcc, v23, v16, vcc
; %bb.74:
	s_andn2_saveexec_b64 s[0:1], s[0:1]
; %bb.75:
	v_add_co_u32_e32 v15, vcc, v17, v0
	v_addc_co_u32_e32 v16, vcc, 0, v18, vcc
; %bb.76:
	s_or_b64 exec, exec, s[0:1]
	v_lshlrev_b64 v[15:16], 2, v[15:16]
	v_mov_b32_e32 v32, s27
	v_add_co_u32_e32 v15, vcc, s26, v15
	v_addc_co_u32_e32 v16, vcc, v32, v16, vcc
	v_cmp_ge_u32_e32 vcc, v33, v1
	s_waitcnt lgkmcnt(6)
	global_store_dword v[15:16], v13, off
                                        ; implicit-def: $vgpr15_vgpr16
	s_and_saveexec_b64 s[0:1], vcc
	s_xor_b64 s[0:1], exec, s[0:1]
; %bb.77:
	v_xor_b32_e32 v15, 0xfffffeff, v0
	v_ashrrev_i32_e32 v16, 31, v15
	v_add_co_u32_e32 v15, vcc, v2, v15
	v_addc_co_u32_e32 v16, vcc, v23, v16, vcc
; %bb.78:
	s_andn2_saveexec_b64 s[0:1], s[0:1]
; %bb.79:
	v_add_co_u32_e32 v15, vcc, v17, v33
	v_addc_co_u32_e32 v16, vcc, 0, v18, vcc
; %bb.80:
	s_or_b64 exec, exec, s[0:1]
	v_lshlrev_b64 v[15:16], 2, v[15:16]
	v_mov_b32_e32 v32, s27
	v_add_co_u32_e32 v15, vcc, s26, v15
	v_addc_co_u32_e32 v16, vcc, v32, v16, vcc
	v_cmp_ge_u32_e32 vcc, v31, v1
	global_store_dword v[15:16], v14, off
                                        ; implicit-def: $vgpr15_vgpr16
	s_and_saveexec_b64 s[0:1], vcc
	s_xor_b64 s[0:1], exec, s[0:1]
; %bb.81:
	v_xor_b32_e32 v15, 0xfffffdff, v0
	v_ashrrev_i32_e32 v16, 31, v15
	v_add_co_u32_e32 v15, vcc, v2, v15
	v_addc_co_u32_e32 v16, vcc, v23, v16, vcc
; %bb.82:
	s_andn2_saveexec_b64 s[0:1], s[0:1]
; %bb.83:
	v_add_co_u32_e32 v15, vcc, v17, v31
	v_addc_co_u32_e32 v16, vcc, 0, v18, vcc
; %bb.84:
	s_or_b64 exec, exec, s[0:1]
	v_lshlrev_b64 v[15:16], 2, v[15:16]
	v_mov_b32_e32 v32, s27
	v_add_co_u32_e32 v15, vcc, s26, v15
	v_addc_co_u32_e32 v16, vcc, v32, v16, vcc
	v_cmp_ge_u32_e32 vcc, v30, v1
	s_waitcnt lgkmcnt(5)
	global_store_dword v[15:16], v11, off
                                        ; implicit-def: $vgpr15_vgpr16
	s_and_saveexec_b64 s[0:1], vcc
	s_xor_b64 s[0:1], exec, s[0:1]
; %bb.85:
	v_xor_b32_e32 v15, 0xfffffcff, v0
	v_ashrrev_i32_e32 v16, 31, v15
	v_add_co_u32_e32 v15, vcc, v2, v15
	v_addc_co_u32_e32 v16, vcc, v23, v16, vcc
; %bb.86:
	s_andn2_saveexec_b64 s[0:1], s[0:1]
; %bb.87:
	v_add_co_u32_e32 v15, vcc, v17, v30
	v_addc_co_u32_e32 v16, vcc, 0, v18, vcc
; %bb.88:
	s_or_b64 exec, exec, s[0:1]
	v_lshlrev_b64 v[15:16], 2, v[15:16]
	v_mov_b32_e32 v32, s27
	v_add_co_u32_e32 v15, vcc, s26, v15
	v_addc_co_u32_e32 v16, vcc, v32, v16, vcc
	v_cmp_ge_u32_e32 vcc, v29, v1
	global_store_dword v[15:16], v12, off
                                        ; implicit-def: $vgpr15_vgpr16
	s_and_saveexec_b64 s[0:1], vcc
	s_xor_b64 s[0:1], exec, s[0:1]
; %bb.89:
	v_xor_b32_e32 v15, 0xfffffbff, v0
	;; [unrolled: 43-line block ×6, first 2 shown]
	v_ashrrev_i32_e32 v16, 31, v15
	v_add_co_u32_e32 v15, vcc, v2, v15
	v_addc_co_u32_e32 v16, vcc, v23, v16, vcc
; %bb.122:
	s_andn2_saveexec_b64 s[0:1], s[0:1]
; %bb.123:
	v_add_co_u32_e32 v15, vcc, v17, v20
	v_addc_co_u32_e32 v16, vcc, 0, v18, vcc
; %bb.124:
	s_or_b64 exec, exec, s[0:1]
	s_mov_b64 s[0:1], -1
	s_branch .LBB1711_205
.LBB1711_125:
	s_mov_b64 s[0:1], 0
                                        ; implicit-def: $vgpr15_vgpr16
	s_cbranch_execz .LBB1711_205
; %bb.126:
	s_add_u32 s2, s30, s44
	s_addc_u32 s3, s31, 0
	s_sub_u32 s2, s28, s2
	s_subb_u32 s3, s29, s3
	v_mov_b32_e32 v2, s3
	v_add_co_u32_e32 v15, vcc, s2, v1
	v_addc_co_u32_e32 v2, vcc, 0, v2, vcc
	v_add_co_u32_e32 v23, vcc, v15, v17
	v_addc_co_u32_e32 v32, vcc, v2, v18, vcc
	v_cmp_gt_u32_e32 vcc, s33, v0
	s_and_saveexec_b64 s[2:3], vcc
	s_cbranch_execz .LBB1711_162
; %bb.127:
	v_cmp_ge_u32_e32 vcc, v0, v1
                                        ; implicit-def: $vgpr15_vgpr16
	s_and_saveexec_b64 s[4:5], vcc
	s_xor_b64 s[4:5], exec, s[4:5]
; %bb.128:
	v_not_b32_e32 v2, v0
	v_ashrrev_i32_e32 v16, 31, v2
	v_add_co_u32_e32 v15, vcc, v23, v2
	v_addc_co_u32_e32 v16, vcc, v32, v16, vcc
; %bb.129:
	s_andn2_saveexec_b64 s[4:5], s[4:5]
; %bb.130:
	v_add_co_u32_e32 v15, vcc, v17, v0
	v_addc_co_u32_e32 v16, vcc, 0, v18, vcc
; %bb.131:
	s_or_b64 exec, exec, s[4:5]
	v_lshlrev_b64 v[15:16], 2, v[15:16]
	v_mov_b32_e32 v2, s27
	v_add_co_u32_e32 v15, vcc, s26, v15
	v_addc_co_u32_e32 v16, vcc, v2, v16, vcc
	s_waitcnt lgkmcnt(6)
	global_store_dword v[15:16], v13, off
	s_or_b64 exec, exec, s[2:3]
	v_cmp_gt_u32_e32 vcc, s33, v33
	s_and_saveexec_b64 s[2:3], vcc
	s_cbranch_execnz .LBB1711_163
.LBB1711_132:
	s_or_b64 exec, exec, s[2:3]
	v_cmp_gt_u32_e32 vcc, s33, v31
	s_and_saveexec_b64 s[2:3], vcc
	s_cbranch_execz .LBB1711_168
.LBB1711_133:
	v_cmp_ge_u32_e32 vcc, v31, v1
                                        ; implicit-def: $vgpr13_vgpr14
	s_and_saveexec_b64 s[4:5], vcc
	s_xor_b64 s[4:5], exec, s[4:5]
	s_cbranch_execz .LBB1711_135
; %bb.134:
	v_xor_b32_e32 v2, 0xfffffdff, v0
	s_waitcnt lgkmcnt(6)
	v_ashrrev_i32_e32 v14, 31, v2
	v_add_co_u32_e32 v13, vcc, v23, v2
	v_addc_co_u32_e32 v14, vcc, v32, v14, vcc
                                        ; implicit-def: $vgpr31
.LBB1711_135:
	s_andn2_saveexec_b64 s[4:5], s[4:5]
	s_cbranch_execz .LBB1711_137
; %bb.136:
	s_waitcnt lgkmcnt(6)
	v_add_co_u32_e32 v13, vcc, v17, v31
	v_addc_co_u32_e32 v14, vcc, 0, v18, vcc
.LBB1711_137:
	s_or_b64 exec, exec, s[4:5]
	s_waitcnt lgkmcnt(6)
	v_lshlrev_b64 v[13:14], 2, v[13:14]
	v_mov_b32_e32 v2, s27
	v_add_co_u32_e32 v13, vcc, s26, v13
	v_addc_co_u32_e32 v14, vcc, v2, v14, vcc
	s_waitcnt lgkmcnt(5)
	global_store_dword v[13:14], v11, off
	s_or_b64 exec, exec, s[2:3]
	v_cmp_gt_u32_e32 vcc, s33, v30
	s_and_saveexec_b64 s[2:3], vcc
	s_cbranch_execnz .LBB1711_169
.LBB1711_138:
	s_or_b64 exec, exec, s[2:3]
	v_cmp_gt_u32_e32 vcc, s33, v29
	s_and_saveexec_b64 s[2:3], vcc
	s_cbranch_execz .LBB1711_174
.LBB1711_139:
	v_cmp_ge_u32_e32 vcc, v29, v1
                                        ; implicit-def: $vgpr11_vgpr12
	s_and_saveexec_b64 s[4:5], vcc
	s_xor_b64 s[4:5], exec, s[4:5]
	s_cbranch_execz .LBB1711_141
; %bb.140:
	v_xor_b32_e32 v2, 0xfffffbff, v0
	s_waitcnt lgkmcnt(5)
	v_ashrrev_i32_e32 v12, 31, v2
	v_add_co_u32_e32 v11, vcc, v23, v2
	v_addc_co_u32_e32 v12, vcc, v32, v12, vcc
                                        ; implicit-def: $vgpr29
.LBB1711_141:
	s_andn2_saveexec_b64 s[4:5], s[4:5]
	s_cbranch_execz .LBB1711_143
; %bb.142:
	s_waitcnt lgkmcnt(5)
	v_add_co_u32_e32 v11, vcc, v17, v29
	v_addc_co_u32_e32 v12, vcc, 0, v18, vcc
.LBB1711_143:
	s_or_b64 exec, exec, s[4:5]
	s_waitcnt lgkmcnt(5)
	v_lshlrev_b64 v[11:12], 2, v[11:12]
	v_mov_b32_e32 v2, s27
	v_add_co_u32_e32 v11, vcc, s26, v11
	v_addc_co_u32_e32 v12, vcc, v2, v12, vcc
	s_waitcnt lgkmcnt(4)
	global_store_dword v[11:12], v9, off
	s_or_b64 exec, exec, s[2:3]
	v_cmp_gt_u32_e32 vcc, s33, v28
	s_and_saveexec_b64 s[2:3], vcc
	s_cbranch_execnz .LBB1711_175
.LBB1711_144:
	s_or_b64 exec, exec, s[2:3]
	v_cmp_gt_u32_e32 vcc, s33, v27
	s_and_saveexec_b64 s[2:3], vcc
	s_cbranch_execz .LBB1711_180
.LBB1711_145:
	v_cmp_ge_u32_e32 vcc, v27, v1
                                        ; implicit-def: $vgpr9_vgpr10
	s_and_saveexec_b64 s[4:5], vcc
	s_xor_b64 s[4:5], exec, s[4:5]
	s_cbranch_execz .LBB1711_147
; %bb.146:
	v_xor_b32_e32 v2, 0xfffff9ff, v0
	s_waitcnt lgkmcnt(4)
	v_ashrrev_i32_e32 v10, 31, v2
	v_add_co_u32_e32 v9, vcc, v23, v2
	v_addc_co_u32_e32 v10, vcc, v32, v10, vcc
                                        ; implicit-def: $vgpr27
.LBB1711_147:
	s_andn2_saveexec_b64 s[4:5], s[4:5]
	s_cbranch_execz .LBB1711_149
; %bb.148:
	s_waitcnt lgkmcnt(4)
	v_add_co_u32_e32 v9, vcc, v17, v27
	v_addc_co_u32_e32 v10, vcc, 0, v18, vcc
.LBB1711_149:
	s_or_b64 exec, exec, s[4:5]
	s_waitcnt lgkmcnt(4)
	v_lshlrev_b64 v[9:10], 2, v[9:10]
	v_mov_b32_e32 v2, s27
	v_add_co_u32_e32 v9, vcc, s26, v9
	v_addc_co_u32_e32 v10, vcc, v2, v10, vcc
	s_waitcnt lgkmcnt(3)
	global_store_dword v[9:10], v7, off
	s_or_b64 exec, exec, s[2:3]
	v_cmp_gt_u32_e32 vcc, s33, v26
	s_and_saveexec_b64 s[2:3], vcc
	s_cbranch_execnz .LBB1711_181
.LBB1711_150:
	s_or_b64 exec, exec, s[2:3]
	v_cmp_gt_u32_e32 vcc, s33, v25
	s_and_saveexec_b64 s[2:3], vcc
	s_cbranch_execz .LBB1711_186
.LBB1711_151:
	v_cmp_ge_u32_e32 vcc, v25, v1
                                        ; implicit-def: $vgpr7_vgpr8
	s_and_saveexec_b64 s[4:5], vcc
	s_xor_b64 s[4:5], exec, s[4:5]
	s_cbranch_execz .LBB1711_153
; %bb.152:
	v_xor_b32_e32 v2, 0xfffff7ff, v0
	s_waitcnt lgkmcnt(3)
	v_ashrrev_i32_e32 v8, 31, v2
	v_add_co_u32_e32 v7, vcc, v23, v2
	v_addc_co_u32_e32 v8, vcc, v32, v8, vcc
                                        ; implicit-def: $vgpr25
.LBB1711_153:
	s_andn2_saveexec_b64 s[4:5], s[4:5]
	s_cbranch_execz .LBB1711_155
; %bb.154:
	s_waitcnt lgkmcnt(3)
	v_add_co_u32_e32 v7, vcc, v17, v25
	v_addc_co_u32_e32 v8, vcc, 0, v18, vcc
.LBB1711_155:
	s_or_b64 exec, exec, s[4:5]
	s_waitcnt lgkmcnt(3)
	v_lshlrev_b64 v[7:8], 2, v[7:8]
	v_mov_b32_e32 v2, s27
	v_add_co_u32_e32 v7, vcc, s26, v7
	v_addc_co_u32_e32 v8, vcc, v2, v8, vcc
	s_waitcnt lgkmcnt(2)
	global_store_dword v[7:8], v5, off
	s_or_b64 exec, exec, s[2:3]
	v_cmp_gt_u32_e32 vcc, s33, v24
	s_and_saveexec_b64 s[2:3], vcc
	s_cbranch_execnz .LBB1711_187
.LBB1711_156:
	s_or_b64 exec, exec, s[2:3]
	v_cmp_gt_u32_e32 vcc, s33, v22
	s_and_saveexec_b64 s[2:3], vcc
	s_cbranch_execz .LBB1711_192
.LBB1711_157:
	v_cmp_ge_u32_e32 vcc, v22, v1
                                        ; implicit-def: $vgpr5_vgpr6
	s_and_saveexec_b64 s[4:5], vcc
	s_xor_b64 s[4:5], exec, s[4:5]
	s_cbranch_execz .LBB1711_159
; %bb.158:
	v_xor_b32_e32 v2, 0xfffff5ff, v0
	s_waitcnt lgkmcnt(2)
	v_ashrrev_i32_e32 v6, 31, v2
	v_add_co_u32_e32 v5, vcc, v23, v2
	v_addc_co_u32_e32 v6, vcc, v32, v6, vcc
                                        ; implicit-def: $vgpr22
.LBB1711_159:
	s_andn2_saveexec_b64 s[4:5], s[4:5]
	s_cbranch_execz .LBB1711_161
; %bb.160:
	s_waitcnt lgkmcnt(2)
	v_add_co_u32_e32 v5, vcc, v17, v22
	v_addc_co_u32_e32 v6, vcc, 0, v18, vcc
.LBB1711_161:
	s_or_b64 exec, exec, s[4:5]
	s_waitcnt lgkmcnt(2)
	v_lshlrev_b64 v[5:6], 2, v[5:6]
	v_mov_b32_e32 v2, s27
	v_add_co_u32_e32 v5, vcc, s26, v5
	v_addc_co_u32_e32 v6, vcc, v2, v6, vcc
	s_waitcnt lgkmcnt(1)
	global_store_dword v[5:6], v3, off
	s_or_b64 exec, exec, s[2:3]
	v_cmp_gt_u32_e32 vcc, s33, v21
	s_and_saveexec_b64 s[2:3], vcc
	s_cbranch_execz .LBB1711_198
	s_branch .LBB1711_193
.LBB1711_162:
	s_or_b64 exec, exec, s[2:3]
	v_cmp_gt_u32_e32 vcc, s33, v33
	s_and_saveexec_b64 s[2:3], vcc
	s_cbranch_execz .LBB1711_132
.LBB1711_163:
	v_cmp_ge_u32_e32 vcc, v33, v1
                                        ; implicit-def: $vgpr15_vgpr16
	s_and_saveexec_b64 s[4:5], vcc
	s_xor_b64 s[4:5], exec, s[4:5]
	s_cbranch_execz .LBB1711_165
; %bb.164:
	v_xor_b32_e32 v2, 0xfffffeff, v0
	s_waitcnt lgkmcnt(6)
	v_ashrrev_i32_e32 v13, 31, v2
	v_add_co_u32_e32 v15, vcc, v23, v2
	v_addc_co_u32_e32 v16, vcc, v32, v13, vcc
                                        ; implicit-def: $vgpr33
.LBB1711_165:
	s_andn2_saveexec_b64 s[4:5], s[4:5]
; %bb.166:
	v_add_co_u32_e32 v15, vcc, v17, v33
	v_addc_co_u32_e32 v16, vcc, 0, v18, vcc
; %bb.167:
	s_or_b64 exec, exec, s[4:5]
	v_lshlrev_b64 v[15:16], 2, v[15:16]
	v_mov_b32_e32 v2, s27
	v_add_co_u32_e32 v15, vcc, s26, v15
	v_addc_co_u32_e32 v16, vcc, v2, v16, vcc
	s_waitcnt lgkmcnt(6)
	global_store_dword v[15:16], v14, off
	s_or_b64 exec, exec, s[2:3]
	v_cmp_gt_u32_e32 vcc, s33, v31
	s_and_saveexec_b64 s[2:3], vcc
	s_cbranch_execnz .LBB1711_133
.LBB1711_168:
	s_or_b64 exec, exec, s[2:3]
	v_cmp_gt_u32_e32 vcc, s33, v30
	s_and_saveexec_b64 s[2:3], vcc
	s_cbranch_execz .LBB1711_138
.LBB1711_169:
	v_cmp_ge_u32_e32 vcc, v30, v1
                                        ; implicit-def: $vgpr13_vgpr14
	s_and_saveexec_b64 s[4:5], vcc
	s_xor_b64 s[4:5], exec, s[4:5]
	s_cbranch_execz .LBB1711_171
; %bb.170:
	v_xor_b32_e32 v2, 0xfffffcff, v0
	s_waitcnt lgkmcnt(5)
	v_ashrrev_i32_e32 v11, 31, v2
	v_add_co_u32_e32 v13, vcc, v23, v2
	v_addc_co_u32_e32 v14, vcc, v32, v11, vcc
                                        ; implicit-def: $vgpr30
.LBB1711_171:
	s_andn2_saveexec_b64 s[4:5], s[4:5]
	s_cbranch_execz .LBB1711_173
; %bb.172:
	s_waitcnt lgkmcnt(6)
	v_add_co_u32_e32 v13, vcc, v17, v30
	v_addc_co_u32_e32 v14, vcc, 0, v18, vcc
.LBB1711_173:
	s_or_b64 exec, exec, s[4:5]
	s_waitcnt lgkmcnt(6)
	v_lshlrev_b64 v[13:14], 2, v[13:14]
	v_mov_b32_e32 v2, s27
	v_add_co_u32_e32 v13, vcc, s26, v13
	v_addc_co_u32_e32 v14, vcc, v2, v14, vcc
	s_waitcnt lgkmcnt(5)
	global_store_dword v[13:14], v12, off
	s_or_b64 exec, exec, s[2:3]
	v_cmp_gt_u32_e32 vcc, s33, v29
	s_and_saveexec_b64 s[2:3], vcc
	s_cbranch_execnz .LBB1711_139
.LBB1711_174:
	s_or_b64 exec, exec, s[2:3]
	v_cmp_gt_u32_e32 vcc, s33, v28
	s_and_saveexec_b64 s[2:3], vcc
	s_cbranch_execz .LBB1711_144
.LBB1711_175:
	v_cmp_ge_u32_e32 vcc, v28, v1
                                        ; implicit-def: $vgpr11_vgpr12
	s_and_saveexec_b64 s[4:5], vcc
	s_xor_b64 s[4:5], exec, s[4:5]
	s_cbranch_execz .LBB1711_177
; %bb.176:
	v_xor_b32_e32 v2, 0xfffffaff, v0
	s_waitcnt lgkmcnt(4)
	v_ashrrev_i32_e32 v9, 31, v2
	v_add_co_u32_e32 v11, vcc, v23, v2
	v_addc_co_u32_e32 v12, vcc, v32, v9, vcc
                                        ; implicit-def: $vgpr28
.LBB1711_177:
	s_andn2_saveexec_b64 s[4:5], s[4:5]
	s_cbranch_execz .LBB1711_179
; %bb.178:
	s_waitcnt lgkmcnt(5)
	v_add_co_u32_e32 v11, vcc, v17, v28
	v_addc_co_u32_e32 v12, vcc, 0, v18, vcc
.LBB1711_179:
	s_or_b64 exec, exec, s[4:5]
	s_waitcnt lgkmcnt(5)
	v_lshlrev_b64 v[11:12], 2, v[11:12]
	v_mov_b32_e32 v2, s27
	v_add_co_u32_e32 v11, vcc, s26, v11
	v_addc_co_u32_e32 v12, vcc, v2, v12, vcc
	s_waitcnt lgkmcnt(4)
	global_store_dword v[11:12], v10, off
	s_or_b64 exec, exec, s[2:3]
	v_cmp_gt_u32_e32 vcc, s33, v27
	s_and_saveexec_b64 s[2:3], vcc
	s_cbranch_execnz .LBB1711_145
.LBB1711_180:
	s_or_b64 exec, exec, s[2:3]
	v_cmp_gt_u32_e32 vcc, s33, v26
	s_and_saveexec_b64 s[2:3], vcc
	s_cbranch_execz .LBB1711_150
.LBB1711_181:
	v_cmp_ge_u32_e32 vcc, v26, v1
                                        ; implicit-def: $vgpr9_vgpr10
	s_and_saveexec_b64 s[4:5], vcc
	s_xor_b64 s[4:5], exec, s[4:5]
	s_cbranch_execz .LBB1711_183
; %bb.182:
	v_xor_b32_e32 v2, 0xfffff8ff, v0
	s_waitcnt lgkmcnt(3)
	v_ashrrev_i32_e32 v7, 31, v2
	v_add_co_u32_e32 v9, vcc, v23, v2
	v_addc_co_u32_e32 v10, vcc, v32, v7, vcc
                                        ; implicit-def: $vgpr26
.LBB1711_183:
	s_andn2_saveexec_b64 s[4:5], s[4:5]
	s_cbranch_execz .LBB1711_185
; %bb.184:
	s_waitcnt lgkmcnt(4)
	v_add_co_u32_e32 v9, vcc, v17, v26
	v_addc_co_u32_e32 v10, vcc, 0, v18, vcc
.LBB1711_185:
	s_or_b64 exec, exec, s[4:5]
	s_waitcnt lgkmcnt(4)
	v_lshlrev_b64 v[9:10], 2, v[9:10]
	v_mov_b32_e32 v2, s27
	v_add_co_u32_e32 v9, vcc, s26, v9
	v_addc_co_u32_e32 v10, vcc, v2, v10, vcc
	s_waitcnt lgkmcnt(3)
	global_store_dword v[9:10], v8, off
	s_or_b64 exec, exec, s[2:3]
	v_cmp_gt_u32_e32 vcc, s33, v25
	s_and_saveexec_b64 s[2:3], vcc
	s_cbranch_execnz .LBB1711_151
.LBB1711_186:
	s_or_b64 exec, exec, s[2:3]
	v_cmp_gt_u32_e32 vcc, s33, v24
	s_and_saveexec_b64 s[2:3], vcc
	s_cbranch_execz .LBB1711_156
.LBB1711_187:
	v_cmp_ge_u32_e32 vcc, v24, v1
                                        ; implicit-def: $vgpr7_vgpr8
	s_and_saveexec_b64 s[4:5], vcc
	s_xor_b64 s[4:5], exec, s[4:5]
	s_cbranch_execz .LBB1711_189
; %bb.188:
	v_xor_b32_e32 v2, 0xfffff6ff, v0
	s_waitcnt lgkmcnt(2)
	v_ashrrev_i32_e32 v5, 31, v2
	v_add_co_u32_e32 v7, vcc, v23, v2
	v_addc_co_u32_e32 v8, vcc, v32, v5, vcc
                                        ; implicit-def: $vgpr24
.LBB1711_189:
	s_andn2_saveexec_b64 s[4:5], s[4:5]
	s_cbranch_execz .LBB1711_191
; %bb.190:
	s_waitcnt lgkmcnt(3)
	v_add_co_u32_e32 v7, vcc, v17, v24
	v_addc_co_u32_e32 v8, vcc, 0, v18, vcc
.LBB1711_191:
	s_or_b64 exec, exec, s[4:5]
	s_waitcnt lgkmcnt(3)
	v_lshlrev_b64 v[7:8], 2, v[7:8]
	v_mov_b32_e32 v2, s27
	v_add_co_u32_e32 v7, vcc, s26, v7
	v_addc_co_u32_e32 v8, vcc, v2, v8, vcc
	s_waitcnt lgkmcnt(2)
	global_store_dword v[7:8], v6, off
	s_or_b64 exec, exec, s[2:3]
	v_cmp_gt_u32_e32 vcc, s33, v22
	s_and_saveexec_b64 s[2:3], vcc
	s_cbranch_execnz .LBB1711_157
.LBB1711_192:
	s_or_b64 exec, exec, s[2:3]
	v_cmp_gt_u32_e32 vcc, s33, v21
	s_and_saveexec_b64 s[2:3], vcc
	s_cbranch_execz .LBB1711_198
.LBB1711_193:
	v_cmp_ge_u32_e32 vcc, v21, v1
                                        ; implicit-def: $vgpr2_vgpr3
	s_and_saveexec_b64 s[4:5], vcc
	s_xor_b64 s[4:5], exec, s[4:5]
	s_cbranch_execz .LBB1711_195
; %bb.194:
	v_xor_b32_e32 v2, 0xfffff4ff, v0
	s_waitcnt lgkmcnt(1)
	v_ashrrev_i32_e32 v3, 31, v2
	v_add_co_u32_e32 v2, vcc, v23, v2
	v_addc_co_u32_e32 v3, vcc, v32, v3, vcc
                                        ; implicit-def: $vgpr21
.LBB1711_195:
	s_andn2_saveexec_b64 s[4:5], s[4:5]
	s_cbranch_execz .LBB1711_197
; %bb.196:
	v_add_co_u32_e32 v2, vcc, v17, v21
	s_waitcnt lgkmcnt(1)
	v_addc_co_u32_e32 v3, vcc, 0, v18, vcc
.LBB1711_197:
	s_or_b64 exec, exec, s[4:5]
	s_waitcnt lgkmcnt(1)
	v_lshlrev_b64 v[2:3], 2, v[2:3]
	v_mov_b32_e32 v5, s27
	v_add_co_u32_e32 v2, vcc, s26, v2
	v_addc_co_u32_e32 v3, vcc, v5, v3, vcc
	global_store_dword v[2:3], v4, off
.LBB1711_198:
	s_or_b64 exec, exec, s[2:3]
	v_cmp_gt_u32_e32 vcc, s33, v20
                                        ; implicit-def: $vgpr15_vgpr16
	s_and_saveexec_b64 s[2:3], vcc
	s_cbranch_execz .LBB1711_204
; %bb.199:
	v_cmp_ge_u32_e32 vcc, v20, v1
                                        ; implicit-def: $vgpr15_vgpr16
	s_and_saveexec_b64 s[4:5], vcc
	s_xor_b64 s[4:5], exec, s[4:5]
	s_cbranch_execz .LBB1711_201
; %bb.200:
	v_xor_b32_e32 v2, 0xfffff3ff, v0
	s_waitcnt lgkmcnt(1)
	v_ashrrev_i32_e32 v3, 31, v2
	v_add_co_u32_e32 v15, vcc, v23, v2
	v_addc_co_u32_e32 v16, vcc, v32, v3, vcc
                                        ; implicit-def: $vgpr20
.LBB1711_201:
	s_andn2_saveexec_b64 s[4:5], s[4:5]
; %bb.202:
	v_add_co_u32_e32 v15, vcc, v17, v20
	v_addc_co_u32_e32 v16, vcc, 0, v18, vcc
; %bb.203:
	s_or_b64 exec, exec, s[4:5]
	s_or_b64 s[0:1], s[0:1], exec
.LBB1711_204:
	s_or_b64 exec, exec, s[2:3]
.LBB1711_205:
	s_and_saveexec_b64 s[2:3], s[0:1]
	s_cbranch_execz .LBB1711_207
; %bb.206:
	s_waitcnt lgkmcnt(1)
	v_lshlrev_b64 v[2:3], 2, v[15:16]
	v_mov_b32_e32 v4, s27
	v_add_co_u32_e32 v2, vcc, s26, v2
	v_addc_co_u32_e32 v3, vcc, v4, v3, vcc
	s_waitcnt lgkmcnt(0)
	global_store_dword v[2:3], v19, off
.LBB1711_207:
	s_or_b64 exec, exec, s[2:3]
	v_cmp_eq_u32_e32 vcc, 0, v0
	s_and_b64 s[0:1], vcc, s[22:23]
	s_and_saveexec_b64 s[2:3], s[0:1]
	s_cbranch_execz .LBB1711_209
; %bb.208:
	v_add_co_u32_e32 v0, vcc, v17, v1
	v_mov_b32_e32 v2, 0
	v_addc_co_u32_e32 v1, vcc, 0, v18, vcc
	global_store_dwordx2 v2, v[0:1], s[24:25]
.LBB1711_209:
	s_endpgm
	.section	.rodata,"a",@progbits
	.p2align	6, 0x0
	.amdhsa_kernel _ZN7rocprim17ROCPRIM_400000_NS6detail17trampoline_kernelINS0_13select_configILj256ELj13ELNS0_17block_load_methodE3ELS4_3ELS4_3ELNS0_20block_scan_algorithmE0ELj4294967295EEENS1_25partition_config_selectorILNS1_17partition_subalgoE3EjNS0_10empty_typeEbEEZZNS1_14partition_implILS8_3ELb0ES6_jNS0_17counting_iteratorIjlEEPS9_SE_NS0_5tupleIJPjSE_EEENSF_IJSE_SE_EEES9_SG_JZNS1_25segmented_radix_sort_implINS0_14default_configELb1EPK6__halfPSL_PKlPlN2at6native12_GLOBAL__N_18offset_tEEE10hipError_tPvRmT1_PNSt15iterator_traitsISZ_E10value_typeET2_T3_PNS10_IS15_E10value_typeET4_jRbjT5_S1B_jjP12ihipStream_tbEUljE_EEESW_SX_SY_S15_S19_S1B_T6_T7_T9_mT8_S1D_bDpT10_ENKUlT_T0_E_clISt17integral_constantIbLb0EES1Q_EEDaS1L_S1M_EUlS1L_E_NS1_11comp_targetILNS1_3genE2ELNS1_11target_archE906ELNS1_3gpuE6ELNS1_3repE0EEENS1_30default_config_static_selectorELNS0_4arch9wavefront6targetE1EEEvSZ_
		.amdhsa_group_segment_fixed_size 13320
		.amdhsa_private_segment_fixed_size 0
		.amdhsa_kernarg_size 144
		.amdhsa_user_sgpr_count 6
		.amdhsa_user_sgpr_private_segment_buffer 1
		.amdhsa_user_sgpr_dispatch_ptr 0
		.amdhsa_user_sgpr_queue_ptr 0
		.amdhsa_user_sgpr_kernarg_segment_ptr 1
		.amdhsa_user_sgpr_dispatch_id 0
		.amdhsa_user_sgpr_flat_scratch_init 0
		.amdhsa_user_sgpr_private_segment_size 0
		.amdhsa_uses_dynamic_stack 0
		.amdhsa_system_sgpr_private_segment_wavefront_offset 0
		.amdhsa_system_sgpr_workgroup_id_x 1
		.amdhsa_system_sgpr_workgroup_id_y 0
		.amdhsa_system_sgpr_workgroup_id_z 0
		.amdhsa_system_sgpr_workgroup_info 0
		.amdhsa_system_vgpr_workitem_id 0
		.amdhsa_next_free_vgpr 69
		.amdhsa_next_free_sgpr 98
		.amdhsa_reserve_vcc 1
		.amdhsa_reserve_flat_scratch 0
		.amdhsa_float_round_mode_32 0
		.amdhsa_float_round_mode_16_64 0
		.amdhsa_float_denorm_mode_32 3
		.amdhsa_float_denorm_mode_16_64 3
		.amdhsa_dx10_clamp 1
		.amdhsa_ieee_mode 1
		.amdhsa_fp16_overflow 0
		.amdhsa_exception_fp_ieee_invalid_op 0
		.amdhsa_exception_fp_denorm_src 0
		.amdhsa_exception_fp_ieee_div_zero 0
		.amdhsa_exception_fp_ieee_overflow 0
		.amdhsa_exception_fp_ieee_underflow 0
		.amdhsa_exception_fp_ieee_inexact 0
		.amdhsa_exception_int_div_zero 0
	.end_amdhsa_kernel
	.section	.text._ZN7rocprim17ROCPRIM_400000_NS6detail17trampoline_kernelINS0_13select_configILj256ELj13ELNS0_17block_load_methodE3ELS4_3ELS4_3ELNS0_20block_scan_algorithmE0ELj4294967295EEENS1_25partition_config_selectorILNS1_17partition_subalgoE3EjNS0_10empty_typeEbEEZZNS1_14partition_implILS8_3ELb0ES6_jNS0_17counting_iteratorIjlEEPS9_SE_NS0_5tupleIJPjSE_EEENSF_IJSE_SE_EEES9_SG_JZNS1_25segmented_radix_sort_implINS0_14default_configELb1EPK6__halfPSL_PKlPlN2at6native12_GLOBAL__N_18offset_tEEE10hipError_tPvRmT1_PNSt15iterator_traitsISZ_E10value_typeET2_T3_PNS10_IS15_E10value_typeET4_jRbjT5_S1B_jjP12ihipStream_tbEUljE_EEESW_SX_SY_S15_S19_S1B_T6_T7_T9_mT8_S1D_bDpT10_ENKUlT_T0_E_clISt17integral_constantIbLb0EES1Q_EEDaS1L_S1M_EUlS1L_E_NS1_11comp_targetILNS1_3genE2ELNS1_11target_archE906ELNS1_3gpuE6ELNS1_3repE0EEENS1_30default_config_static_selectorELNS0_4arch9wavefront6targetE1EEEvSZ_,"axG",@progbits,_ZN7rocprim17ROCPRIM_400000_NS6detail17trampoline_kernelINS0_13select_configILj256ELj13ELNS0_17block_load_methodE3ELS4_3ELS4_3ELNS0_20block_scan_algorithmE0ELj4294967295EEENS1_25partition_config_selectorILNS1_17partition_subalgoE3EjNS0_10empty_typeEbEEZZNS1_14partition_implILS8_3ELb0ES6_jNS0_17counting_iteratorIjlEEPS9_SE_NS0_5tupleIJPjSE_EEENSF_IJSE_SE_EEES9_SG_JZNS1_25segmented_radix_sort_implINS0_14default_configELb1EPK6__halfPSL_PKlPlN2at6native12_GLOBAL__N_18offset_tEEE10hipError_tPvRmT1_PNSt15iterator_traitsISZ_E10value_typeET2_T3_PNS10_IS15_E10value_typeET4_jRbjT5_S1B_jjP12ihipStream_tbEUljE_EEESW_SX_SY_S15_S19_S1B_T6_T7_T9_mT8_S1D_bDpT10_ENKUlT_T0_E_clISt17integral_constantIbLb0EES1Q_EEDaS1L_S1M_EUlS1L_E_NS1_11comp_targetILNS1_3genE2ELNS1_11target_archE906ELNS1_3gpuE6ELNS1_3repE0EEENS1_30default_config_static_selectorELNS0_4arch9wavefront6targetE1EEEvSZ_,comdat
.Lfunc_end1711:
	.size	_ZN7rocprim17ROCPRIM_400000_NS6detail17trampoline_kernelINS0_13select_configILj256ELj13ELNS0_17block_load_methodE3ELS4_3ELS4_3ELNS0_20block_scan_algorithmE0ELj4294967295EEENS1_25partition_config_selectorILNS1_17partition_subalgoE3EjNS0_10empty_typeEbEEZZNS1_14partition_implILS8_3ELb0ES6_jNS0_17counting_iteratorIjlEEPS9_SE_NS0_5tupleIJPjSE_EEENSF_IJSE_SE_EEES9_SG_JZNS1_25segmented_radix_sort_implINS0_14default_configELb1EPK6__halfPSL_PKlPlN2at6native12_GLOBAL__N_18offset_tEEE10hipError_tPvRmT1_PNSt15iterator_traitsISZ_E10value_typeET2_T3_PNS10_IS15_E10value_typeET4_jRbjT5_S1B_jjP12ihipStream_tbEUljE_EEESW_SX_SY_S15_S19_S1B_T6_T7_T9_mT8_S1D_bDpT10_ENKUlT_T0_E_clISt17integral_constantIbLb0EES1Q_EEDaS1L_S1M_EUlS1L_E_NS1_11comp_targetILNS1_3genE2ELNS1_11target_archE906ELNS1_3gpuE6ELNS1_3repE0EEENS1_30default_config_static_selectorELNS0_4arch9wavefront6targetE1EEEvSZ_, .Lfunc_end1711-_ZN7rocprim17ROCPRIM_400000_NS6detail17trampoline_kernelINS0_13select_configILj256ELj13ELNS0_17block_load_methodE3ELS4_3ELS4_3ELNS0_20block_scan_algorithmE0ELj4294967295EEENS1_25partition_config_selectorILNS1_17partition_subalgoE3EjNS0_10empty_typeEbEEZZNS1_14partition_implILS8_3ELb0ES6_jNS0_17counting_iteratorIjlEEPS9_SE_NS0_5tupleIJPjSE_EEENSF_IJSE_SE_EEES9_SG_JZNS1_25segmented_radix_sort_implINS0_14default_configELb1EPK6__halfPSL_PKlPlN2at6native12_GLOBAL__N_18offset_tEEE10hipError_tPvRmT1_PNSt15iterator_traitsISZ_E10value_typeET2_T3_PNS10_IS15_E10value_typeET4_jRbjT5_S1B_jjP12ihipStream_tbEUljE_EEESW_SX_SY_S15_S19_S1B_T6_T7_T9_mT8_S1D_bDpT10_ENKUlT_T0_E_clISt17integral_constantIbLb0EES1Q_EEDaS1L_S1M_EUlS1L_E_NS1_11comp_targetILNS1_3genE2ELNS1_11target_archE906ELNS1_3gpuE6ELNS1_3repE0EEENS1_30default_config_static_selectorELNS0_4arch9wavefront6targetE1EEEvSZ_
                                        ; -- End function
	.set _ZN7rocprim17ROCPRIM_400000_NS6detail17trampoline_kernelINS0_13select_configILj256ELj13ELNS0_17block_load_methodE3ELS4_3ELS4_3ELNS0_20block_scan_algorithmE0ELj4294967295EEENS1_25partition_config_selectorILNS1_17partition_subalgoE3EjNS0_10empty_typeEbEEZZNS1_14partition_implILS8_3ELb0ES6_jNS0_17counting_iteratorIjlEEPS9_SE_NS0_5tupleIJPjSE_EEENSF_IJSE_SE_EEES9_SG_JZNS1_25segmented_radix_sort_implINS0_14default_configELb1EPK6__halfPSL_PKlPlN2at6native12_GLOBAL__N_18offset_tEEE10hipError_tPvRmT1_PNSt15iterator_traitsISZ_E10value_typeET2_T3_PNS10_IS15_E10value_typeET4_jRbjT5_S1B_jjP12ihipStream_tbEUljE_EEESW_SX_SY_S15_S19_S1B_T6_T7_T9_mT8_S1D_bDpT10_ENKUlT_T0_E_clISt17integral_constantIbLb0EES1Q_EEDaS1L_S1M_EUlS1L_E_NS1_11comp_targetILNS1_3genE2ELNS1_11target_archE906ELNS1_3gpuE6ELNS1_3repE0EEENS1_30default_config_static_selectorELNS0_4arch9wavefront6targetE1EEEvSZ_.num_vgpr, 69
	.set _ZN7rocprim17ROCPRIM_400000_NS6detail17trampoline_kernelINS0_13select_configILj256ELj13ELNS0_17block_load_methodE3ELS4_3ELS4_3ELNS0_20block_scan_algorithmE0ELj4294967295EEENS1_25partition_config_selectorILNS1_17partition_subalgoE3EjNS0_10empty_typeEbEEZZNS1_14partition_implILS8_3ELb0ES6_jNS0_17counting_iteratorIjlEEPS9_SE_NS0_5tupleIJPjSE_EEENSF_IJSE_SE_EEES9_SG_JZNS1_25segmented_radix_sort_implINS0_14default_configELb1EPK6__halfPSL_PKlPlN2at6native12_GLOBAL__N_18offset_tEEE10hipError_tPvRmT1_PNSt15iterator_traitsISZ_E10value_typeET2_T3_PNS10_IS15_E10value_typeET4_jRbjT5_S1B_jjP12ihipStream_tbEUljE_EEESW_SX_SY_S15_S19_S1B_T6_T7_T9_mT8_S1D_bDpT10_ENKUlT_T0_E_clISt17integral_constantIbLb0EES1Q_EEDaS1L_S1M_EUlS1L_E_NS1_11comp_targetILNS1_3genE2ELNS1_11target_archE906ELNS1_3gpuE6ELNS1_3repE0EEENS1_30default_config_static_selectorELNS0_4arch9wavefront6targetE1EEEvSZ_.num_agpr, 0
	.set _ZN7rocprim17ROCPRIM_400000_NS6detail17trampoline_kernelINS0_13select_configILj256ELj13ELNS0_17block_load_methodE3ELS4_3ELS4_3ELNS0_20block_scan_algorithmE0ELj4294967295EEENS1_25partition_config_selectorILNS1_17partition_subalgoE3EjNS0_10empty_typeEbEEZZNS1_14partition_implILS8_3ELb0ES6_jNS0_17counting_iteratorIjlEEPS9_SE_NS0_5tupleIJPjSE_EEENSF_IJSE_SE_EEES9_SG_JZNS1_25segmented_radix_sort_implINS0_14default_configELb1EPK6__halfPSL_PKlPlN2at6native12_GLOBAL__N_18offset_tEEE10hipError_tPvRmT1_PNSt15iterator_traitsISZ_E10value_typeET2_T3_PNS10_IS15_E10value_typeET4_jRbjT5_S1B_jjP12ihipStream_tbEUljE_EEESW_SX_SY_S15_S19_S1B_T6_T7_T9_mT8_S1D_bDpT10_ENKUlT_T0_E_clISt17integral_constantIbLb0EES1Q_EEDaS1L_S1M_EUlS1L_E_NS1_11comp_targetILNS1_3genE2ELNS1_11target_archE906ELNS1_3gpuE6ELNS1_3repE0EEENS1_30default_config_static_selectorELNS0_4arch9wavefront6targetE1EEEvSZ_.numbered_sgpr, 48
	.set _ZN7rocprim17ROCPRIM_400000_NS6detail17trampoline_kernelINS0_13select_configILj256ELj13ELNS0_17block_load_methodE3ELS4_3ELS4_3ELNS0_20block_scan_algorithmE0ELj4294967295EEENS1_25partition_config_selectorILNS1_17partition_subalgoE3EjNS0_10empty_typeEbEEZZNS1_14partition_implILS8_3ELb0ES6_jNS0_17counting_iteratorIjlEEPS9_SE_NS0_5tupleIJPjSE_EEENSF_IJSE_SE_EEES9_SG_JZNS1_25segmented_radix_sort_implINS0_14default_configELb1EPK6__halfPSL_PKlPlN2at6native12_GLOBAL__N_18offset_tEEE10hipError_tPvRmT1_PNSt15iterator_traitsISZ_E10value_typeET2_T3_PNS10_IS15_E10value_typeET4_jRbjT5_S1B_jjP12ihipStream_tbEUljE_EEESW_SX_SY_S15_S19_S1B_T6_T7_T9_mT8_S1D_bDpT10_ENKUlT_T0_E_clISt17integral_constantIbLb0EES1Q_EEDaS1L_S1M_EUlS1L_E_NS1_11comp_targetILNS1_3genE2ELNS1_11target_archE906ELNS1_3gpuE6ELNS1_3repE0EEENS1_30default_config_static_selectorELNS0_4arch9wavefront6targetE1EEEvSZ_.num_named_barrier, 0
	.set _ZN7rocprim17ROCPRIM_400000_NS6detail17trampoline_kernelINS0_13select_configILj256ELj13ELNS0_17block_load_methodE3ELS4_3ELS4_3ELNS0_20block_scan_algorithmE0ELj4294967295EEENS1_25partition_config_selectorILNS1_17partition_subalgoE3EjNS0_10empty_typeEbEEZZNS1_14partition_implILS8_3ELb0ES6_jNS0_17counting_iteratorIjlEEPS9_SE_NS0_5tupleIJPjSE_EEENSF_IJSE_SE_EEES9_SG_JZNS1_25segmented_radix_sort_implINS0_14default_configELb1EPK6__halfPSL_PKlPlN2at6native12_GLOBAL__N_18offset_tEEE10hipError_tPvRmT1_PNSt15iterator_traitsISZ_E10value_typeET2_T3_PNS10_IS15_E10value_typeET4_jRbjT5_S1B_jjP12ihipStream_tbEUljE_EEESW_SX_SY_S15_S19_S1B_T6_T7_T9_mT8_S1D_bDpT10_ENKUlT_T0_E_clISt17integral_constantIbLb0EES1Q_EEDaS1L_S1M_EUlS1L_E_NS1_11comp_targetILNS1_3genE2ELNS1_11target_archE906ELNS1_3gpuE6ELNS1_3repE0EEENS1_30default_config_static_selectorELNS0_4arch9wavefront6targetE1EEEvSZ_.private_seg_size, 0
	.set _ZN7rocprim17ROCPRIM_400000_NS6detail17trampoline_kernelINS0_13select_configILj256ELj13ELNS0_17block_load_methodE3ELS4_3ELS4_3ELNS0_20block_scan_algorithmE0ELj4294967295EEENS1_25partition_config_selectorILNS1_17partition_subalgoE3EjNS0_10empty_typeEbEEZZNS1_14partition_implILS8_3ELb0ES6_jNS0_17counting_iteratorIjlEEPS9_SE_NS0_5tupleIJPjSE_EEENSF_IJSE_SE_EEES9_SG_JZNS1_25segmented_radix_sort_implINS0_14default_configELb1EPK6__halfPSL_PKlPlN2at6native12_GLOBAL__N_18offset_tEEE10hipError_tPvRmT1_PNSt15iterator_traitsISZ_E10value_typeET2_T3_PNS10_IS15_E10value_typeET4_jRbjT5_S1B_jjP12ihipStream_tbEUljE_EEESW_SX_SY_S15_S19_S1B_T6_T7_T9_mT8_S1D_bDpT10_ENKUlT_T0_E_clISt17integral_constantIbLb0EES1Q_EEDaS1L_S1M_EUlS1L_E_NS1_11comp_targetILNS1_3genE2ELNS1_11target_archE906ELNS1_3gpuE6ELNS1_3repE0EEENS1_30default_config_static_selectorELNS0_4arch9wavefront6targetE1EEEvSZ_.uses_vcc, 1
	.set _ZN7rocprim17ROCPRIM_400000_NS6detail17trampoline_kernelINS0_13select_configILj256ELj13ELNS0_17block_load_methodE3ELS4_3ELS4_3ELNS0_20block_scan_algorithmE0ELj4294967295EEENS1_25partition_config_selectorILNS1_17partition_subalgoE3EjNS0_10empty_typeEbEEZZNS1_14partition_implILS8_3ELb0ES6_jNS0_17counting_iteratorIjlEEPS9_SE_NS0_5tupleIJPjSE_EEENSF_IJSE_SE_EEES9_SG_JZNS1_25segmented_radix_sort_implINS0_14default_configELb1EPK6__halfPSL_PKlPlN2at6native12_GLOBAL__N_18offset_tEEE10hipError_tPvRmT1_PNSt15iterator_traitsISZ_E10value_typeET2_T3_PNS10_IS15_E10value_typeET4_jRbjT5_S1B_jjP12ihipStream_tbEUljE_EEESW_SX_SY_S15_S19_S1B_T6_T7_T9_mT8_S1D_bDpT10_ENKUlT_T0_E_clISt17integral_constantIbLb0EES1Q_EEDaS1L_S1M_EUlS1L_E_NS1_11comp_targetILNS1_3genE2ELNS1_11target_archE906ELNS1_3gpuE6ELNS1_3repE0EEENS1_30default_config_static_selectorELNS0_4arch9wavefront6targetE1EEEvSZ_.uses_flat_scratch, 0
	.set _ZN7rocprim17ROCPRIM_400000_NS6detail17trampoline_kernelINS0_13select_configILj256ELj13ELNS0_17block_load_methodE3ELS4_3ELS4_3ELNS0_20block_scan_algorithmE0ELj4294967295EEENS1_25partition_config_selectorILNS1_17partition_subalgoE3EjNS0_10empty_typeEbEEZZNS1_14partition_implILS8_3ELb0ES6_jNS0_17counting_iteratorIjlEEPS9_SE_NS0_5tupleIJPjSE_EEENSF_IJSE_SE_EEES9_SG_JZNS1_25segmented_radix_sort_implINS0_14default_configELb1EPK6__halfPSL_PKlPlN2at6native12_GLOBAL__N_18offset_tEEE10hipError_tPvRmT1_PNSt15iterator_traitsISZ_E10value_typeET2_T3_PNS10_IS15_E10value_typeET4_jRbjT5_S1B_jjP12ihipStream_tbEUljE_EEESW_SX_SY_S15_S19_S1B_T6_T7_T9_mT8_S1D_bDpT10_ENKUlT_T0_E_clISt17integral_constantIbLb0EES1Q_EEDaS1L_S1M_EUlS1L_E_NS1_11comp_targetILNS1_3genE2ELNS1_11target_archE906ELNS1_3gpuE6ELNS1_3repE0EEENS1_30default_config_static_selectorELNS0_4arch9wavefront6targetE1EEEvSZ_.has_dyn_sized_stack, 0
	.set _ZN7rocprim17ROCPRIM_400000_NS6detail17trampoline_kernelINS0_13select_configILj256ELj13ELNS0_17block_load_methodE3ELS4_3ELS4_3ELNS0_20block_scan_algorithmE0ELj4294967295EEENS1_25partition_config_selectorILNS1_17partition_subalgoE3EjNS0_10empty_typeEbEEZZNS1_14partition_implILS8_3ELb0ES6_jNS0_17counting_iteratorIjlEEPS9_SE_NS0_5tupleIJPjSE_EEENSF_IJSE_SE_EEES9_SG_JZNS1_25segmented_radix_sort_implINS0_14default_configELb1EPK6__halfPSL_PKlPlN2at6native12_GLOBAL__N_18offset_tEEE10hipError_tPvRmT1_PNSt15iterator_traitsISZ_E10value_typeET2_T3_PNS10_IS15_E10value_typeET4_jRbjT5_S1B_jjP12ihipStream_tbEUljE_EEESW_SX_SY_S15_S19_S1B_T6_T7_T9_mT8_S1D_bDpT10_ENKUlT_T0_E_clISt17integral_constantIbLb0EES1Q_EEDaS1L_S1M_EUlS1L_E_NS1_11comp_targetILNS1_3genE2ELNS1_11target_archE906ELNS1_3gpuE6ELNS1_3repE0EEENS1_30default_config_static_selectorELNS0_4arch9wavefront6targetE1EEEvSZ_.has_recursion, 0
	.set _ZN7rocprim17ROCPRIM_400000_NS6detail17trampoline_kernelINS0_13select_configILj256ELj13ELNS0_17block_load_methodE3ELS4_3ELS4_3ELNS0_20block_scan_algorithmE0ELj4294967295EEENS1_25partition_config_selectorILNS1_17partition_subalgoE3EjNS0_10empty_typeEbEEZZNS1_14partition_implILS8_3ELb0ES6_jNS0_17counting_iteratorIjlEEPS9_SE_NS0_5tupleIJPjSE_EEENSF_IJSE_SE_EEES9_SG_JZNS1_25segmented_radix_sort_implINS0_14default_configELb1EPK6__halfPSL_PKlPlN2at6native12_GLOBAL__N_18offset_tEEE10hipError_tPvRmT1_PNSt15iterator_traitsISZ_E10value_typeET2_T3_PNS10_IS15_E10value_typeET4_jRbjT5_S1B_jjP12ihipStream_tbEUljE_EEESW_SX_SY_S15_S19_S1B_T6_T7_T9_mT8_S1D_bDpT10_ENKUlT_T0_E_clISt17integral_constantIbLb0EES1Q_EEDaS1L_S1M_EUlS1L_E_NS1_11comp_targetILNS1_3genE2ELNS1_11target_archE906ELNS1_3gpuE6ELNS1_3repE0EEENS1_30default_config_static_selectorELNS0_4arch9wavefront6targetE1EEEvSZ_.has_indirect_call, 0
	.section	.AMDGPU.csdata,"",@progbits
; Kernel info:
; codeLenInByte = 7612
; TotalNumSgprs: 52
; NumVgprs: 69
; ScratchSize: 0
; MemoryBound: 0
; FloatMode: 240
; IeeeMode: 1
; LDSByteSize: 13320 bytes/workgroup (compile time only)
; SGPRBlocks: 12
; VGPRBlocks: 17
; NumSGPRsForWavesPerEU: 102
; NumVGPRsForWavesPerEU: 69
; Occupancy: 3
; WaveLimiterHint : 0
; COMPUTE_PGM_RSRC2:SCRATCH_EN: 0
; COMPUTE_PGM_RSRC2:USER_SGPR: 6
; COMPUTE_PGM_RSRC2:TRAP_HANDLER: 0
; COMPUTE_PGM_RSRC2:TGID_X_EN: 1
; COMPUTE_PGM_RSRC2:TGID_Y_EN: 0
; COMPUTE_PGM_RSRC2:TGID_Z_EN: 0
; COMPUTE_PGM_RSRC2:TIDIG_COMP_CNT: 0
	.section	.text._ZN7rocprim17ROCPRIM_400000_NS6detail17trampoline_kernelINS0_13select_configILj256ELj13ELNS0_17block_load_methodE3ELS4_3ELS4_3ELNS0_20block_scan_algorithmE0ELj4294967295EEENS1_25partition_config_selectorILNS1_17partition_subalgoE3EjNS0_10empty_typeEbEEZZNS1_14partition_implILS8_3ELb0ES6_jNS0_17counting_iteratorIjlEEPS9_SE_NS0_5tupleIJPjSE_EEENSF_IJSE_SE_EEES9_SG_JZNS1_25segmented_radix_sort_implINS0_14default_configELb1EPK6__halfPSL_PKlPlN2at6native12_GLOBAL__N_18offset_tEEE10hipError_tPvRmT1_PNSt15iterator_traitsISZ_E10value_typeET2_T3_PNS10_IS15_E10value_typeET4_jRbjT5_S1B_jjP12ihipStream_tbEUljE_EEESW_SX_SY_S15_S19_S1B_T6_T7_T9_mT8_S1D_bDpT10_ENKUlT_T0_E_clISt17integral_constantIbLb0EES1Q_EEDaS1L_S1M_EUlS1L_E_NS1_11comp_targetILNS1_3genE10ELNS1_11target_archE1200ELNS1_3gpuE4ELNS1_3repE0EEENS1_30default_config_static_selectorELNS0_4arch9wavefront6targetE1EEEvSZ_,"axG",@progbits,_ZN7rocprim17ROCPRIM_400000_NS6detail17trampoline_kernelINS0_13select_configILj256ELj13ELNS0_17block_load_methodE3ELS4_3ELS4_3ELNS0_20block_scan_algorithmE0ELj4294967295EEENS1_25partition_config_selectorILNS1_17partition_subalgoE3EjNS0_10empty_typeEbEEZZNS1_14partition_implILS8_3ELb0ES6_jNS0_17counting_iteratorIjlEEPS9_SE_NS0_5tupleIJPjSE_EEENSF_IJSE_SE_EEES9_SG_JZNS1_25segmented_radix_sort_implINS0_14default_configELb1EPK6__halfPSL_PKlPlN2at6native12_GLOBAL__N_18offset_tEEE10hipError_tPvRmT1_PNSt15iterator_traitsISZ_E10value_typeET2_T3_PNS10_IS15_E10value_typeET4_jRbjT5_S1B_jjP12ihipStream_tbEUljE_EEESW_SX_SY_S15_S19_S1B_T6_T7_T9_mT8_S1D_bDpT10_ENKUlT_T0_E_clISt17integral_constantIbLb0EES1Q_EEDaS1L_S1M_EUlS1L_E_NS1_11comp_targetILNS1_3genE10ELNS1_11target_archE1200ELNS1_3gpuE4ELNS1_3repE0EEENS1_30default_config_static_selectorELNS0_4arch9wavefront6targetE1EEEvSZ_,comdat
	.globl	_ZN7rocprim17ROCPRIM_400000_NS6detail17trampoline_kernelINS0_13select_configILj256ELj13ELNS0_17block_load_methodE3ELS4_3ELS4_3ELNS0_20block_scan_algorithmE0ELj4294967295EEENS1_25partition_config_selectorILNS1_17partition_subalgoE3EjNS0_10empty_typeEbEEZZNS1_14partition_implILS8_3ELb0ES6_jNS0_17counting_iteratorIjlEEPS9_SE_NS0_5tupleIJPjSE_EEENSF_IJSE_SE_EEES9_SG_JZNS1_25segmented_radix_sort_implINS0_14default_configELb1EPK6__halfPSL_PKlPlN2at6native12_GLOBAL__N_18offset_tEEE10hipError_tPvRmT1_PNSt15iterator_traitsISZ_E10value_typeET2_T3_PNS10_IS15_E10value_typeET4_jRbjT5_S1B_jjP12ihipStream_tbEUljE_EEESW_SX_SY_S15_S19_S1B_T6_T7_T9_mT8_S1D_bDpT10_ENKUlT_T0_E_clISt17integral_constantIbLb0EES1Q_EEDaS1L_S1M_EUlS1L_E_NS1_11comp_targetILNS1_3genE10ELNS1_11target_archE1200ELNS1_3gpuE4ELNS1_3repE0EEENS1_30default_config_static_selectorELNS0_4arch9wavefront6targetE1EEEvSZ_ ; -- Begin function _ZN7rocprim17ROCPRIM_400000_NS6detail17trampoline_kernelINS0_13select_configILj256ELj13ELNS0_17block_load_methodE3ELS4_3ELS4_3ELNS0_20block_scan_algorithmE0ELj4294967295EEENS1_25partition_config_selectorILNS1_17partition_subalgoE3EjNS0_10empty_typeEbEEZZNS1_14partition_implILS8_3ELb0ES6_jNS0_17counting_iteratorIjlEEPS9_SE_NS0_5tupleIJPjSE_EEENSF_IJSE_SE_EEES9_SG_JZNS1_25segmented_radix_sort_implINS0_14default_configELb1EPK6__halfPSL_PKlPlN2at6native12_GLOBAL__N_18offset_tEEE10hipError_tPvRmT1_PNSt15iterator_traitsISZ_E10value_typeET2_T3_PNS10_IS15_E10value_typeET4_jRbjT5_S1B_jjP12ihipStream_tbEUljE_EEESW_SX_SY_S15_S19_S1B_T6_T7_T9_mT8_S1D_bDpT10_ENKUlT_T0_E_clISt17integral_constantIbLb0EES1Q_EEDaS1L_S1M_EUlS1L_E_NS1_11comp_targetILNS1_3genE10ELNS1_11target_archE1200ELNS1_3gpuE4ELNS1_3repE0EEENS1_30default_config_static_selectorELNS0_4arch9wavefront6targetE1EEEvSZ_
	.p2align	8
	.type	_ZN7rocprim17ROCPRIM_400000_NS6detail17trampoline_kernelINS0_13select_configILj256ELj13ELNS0_17block_load_methodE3ELS4_3ELS4_3ELNS0_20block_scan_algorithmE0ELj4294967295EEENS1_25partition_config_selectorILNS1_17partition_subalgoE3EjNS0_10empty_typeEbEEZZNS1_14partition_implILS8_3ELb0ES6_jNS0_17counting_iteratorIjlEEPS9_SE_NS0_5tupleIJPjSE_EEENSF_IJSE_SE_EEES9_SG_JZNS1_25segmented_radix_sort_implINS0_14default_configELb1EPK6__halfPSL_PKlPlN2at6native12_GLOBAL__N_18offset_tEEE10hipError_tPvRmT1_PNSt15iterator_traitsISZ_E10value_typeET2_T3_PNS10_IS15_E10value_typeET4_jRbjT5_S1B_jjP12ihipStream_tbEUljE_EEESW_SX_SY_S15_S19_S1B_T6_T7_T9_mT8_S1D_bDpT10_ENKUlT_T0_E_clISt17integral_constantIbLb0EES1Q_EEDaS1L_S1M_EUlS1L_E_NS1_11comp_targetILNS1_3genE10ELNS1_11target_archE1200ELNS1_3gpuE4ELNS1_3repE0EEENS1_30default_config_static_selectorELNS0_4arch9wavefront6targetE1EEEvSZ_,@function
_ZN7rocprim17ROCPRIM_400000_NS6detail17trampoline_kernelINS0_13select_configILj256ELj13ELNS0_17block_load_methodE3ELS4_3ELS4_3ELNS0_20block_scan_algorithmE0ELj4294967295EEENS1_25partition_config_selectorILNS1_17partition_subalgoE3EjNS0_10empty_typeEbEEZZNS1_14partition_implILS8_3ELb0ES6_jNS0_17counting_iteratorIjlEEPS9_SE_NS0_5tupleIJPjSE_EEENSF_IJSE_SE_EEES9_SG_JZNS1_25segmented_radix_sort_implINS0_14default_configELb1EPK6__halfPSL_PKlPlN2at6native12_GLOBAL__N_18offset_tEEE10hipError_tPvRmT1_PNSt15iterator_traitsISZ_E10value_typeET2_T3_PNS10_IS15_E10value_typeET4_jRbjT5_S1B_jjP12ihipStream_tbEUljE_EEESW_SX_SY_S15_S19_S1B_T6_T7_T9_mT8_S1D_bDpT10_ENKUlT_T0_E_clISt17integral_constantIbLb0EES1Q_EEDaS1L_S1M_EUlS1L_E_NS1_11comp_targetILNS1_3genE10ELNS1_11target_archE1200ELNS1_3gpuE4ELNS1_3repE0EEENS1_30default_config_static_selectorELNS0_4arch9wavefront6targetE1EEEvSZ_: ; @_ZN7rocprim17ROCPRIM_400000_NS6detail17trampoline_kernelINS0_13select_configILj256ELj13ELNS0_17block_load_methodE3ELS4_3ELS4_3ELNS0_20block_scan_algorithmE0ELj4294967295EEENS1_25partition_config_selectorILNS1_17partition_subalgoE3EjNS0_10empty_typeEbEEZZNS1_14partition_implILS8_3ELb0ES6_jNS0_17counting_iteratorIjlEEPS9_SE_NS0_5tupleIJPjSE_EEENSF_IJSE_SE_EEES9_SG_JZNS1_25segmented_radix_sort_implINS0_14default_configELb1EPK6__halfPSL_PKlPlN2at6native12_GLOBAL__N_18offset_tEEE10hipError_tPvRmT1_PNSt15iterator_traitsISZ_E10value_typeET2_T3_PNS10_IS15_E10value_typeET4_jRbjT5_S1B_jjP12ihipStream_tbEUljE_EEESW_SX_SY_S15_S19_S1B_T6_T7_T9_mT8_S1D_bDpT10_ENKUlT_T0_E_clISt17integral_constantIbLb0EES1Q_EEDaS1L_S1M_EUlS1L_E_NS1_11comp_targetILNS1_3genE10ELNS1_11target_archE1200ELNS1_3gpuE4ELNS1_3repE0EEENS1_30default_config_static_selectorELNS0_4arch9wavefront6targetE1EEEvSZ_
; %bb.0:
	.section	.rodata,"a",@progbits
	.p2align	6, 0x0
	.amdhsa_kernel _ZN7rocprim17ROCPRIM_400000_NS6detail17trampoline_kernelINS0_13select_configILj256ELj13ELNS0_17block_load_methodE3ELS4_3ELS4_3ELNS0_20block_scan_algorithmE0ELj4294967295EEENS1_25partition_config_selectorILNS1_17partition_subalgoE3EjNS0_10empty_typeEbEEZZNS1_14partition_implILS8_3ELb0ES6_jNS0_17counting_iteratorIjlEEPS9_SE_NS0_5tupleIJPjSE_EEENSF_IJSE_SE_EEES9_SG_JZNS1_25segmented_radix_sort_implINS0_14default_configELb1EPK6__halfPSL_PKlPlN2at6native12_GLOBAL__N_18offset_tEEE10hipError_tPvRmT1_PNSt15iterator_traitsISZ_E10value_typeET2_T3_PNS10_IS15_E10value_typeET4_jRbjT5_S1B_jjP12ihipStream_tbEUljE_EEESW_SX_SY_S15_S19_S1B_T6_T7_T9_mT8_S1D_bDpT10_ENKUlT_T0_E_clISt17integral_constantIbLb0EES1Q_EEDaS1L_S1M_EUlS1L_E_NS1_11comp_targetILNS1_3genE10ELNS1_11target_archE1200ELNS1_3gpuE4ELNS1_3repE0EEENS1_30default_config_static_selectorELNS0_4arch9wavefront6targetE1EEEvSZ_
		.amdhsa_group_segment_fixed_size 0
		.amdhsa_private_segment_fixed_size 0
		.amdhsa_kernarg_size 144
		.amdhsa_user_sgpr_count 6
		.amdhsa_user_sgpr_private_segment_buffer 1
		.amdhsa_user_sgpr_dispatch_ptr 0
		.amdhsa_user_sgpr_queue_ptr 0
		.amdhsa_user_sgpr_kernarg_segment_ptr 1
		.amdhsa_user_sgpr_dispatch_id 0
		.amdhsa_user_sgpr_flat_scratch_init 0
		.amdhsa_user_sgpr_private_segment_size 0
		.amdhsa_uses_dynamic_stack 0
		.amdhsa_system_sgpr_private_segment_wavefront_offset 0
		.amdhsa_system_sgpr_workgroup_id_x 1
		.amdhsa_system_sgpr_workgroup_id_y 0
		.amdhsa_system_sgpr_workgroup_id_z 0
		.amdhsa_system_sgpr_workgroup_info 0
		.amdhsa_system_vgpr_workitem_id 0
		.amdhsa_next_free_vgpr 1
		.amdhsa_next_free_sgpr 0
		.amdhsa_reserve_vcc 0
		.amdhsa_reserve_flat_scratch 0
		.amdhsa_float_round_mode_32 0
		.amdhsa_float_round_mode_16_64 0
		.amdhsa_float_denorm_mode_32 3
		.amdhsa_float_denorm_mode_16_64 3
		.amdhsa_dx10_clamp 1
		.amdhsa_ieee_mode 1
		.amdhsa_fp16_overflow 0
		.amdhsa_exception_fp_ieee_invalid_op 0
		.amdhsa_exception_fp_denorm_src 0
		.amdhsa_exception_fp_ieee_div_zero 0
		.amdhsa_exception_fp_ieee_overflow 0
		.amdhsa_exception_fp_ieee_underflow 0
		.amdhsa_exception_fp_ieee_inexact 0
		.amdhsa_exception_int_div_zero 0
	.end_amdhsa_kernel
	.section	.text._ZN7rocprim17ROCPRIM_400000_NS6detail17trampoline_kernelINS0_13select_configILj256ELj13ELNS0_17block_load_methodE3ELS4_3ELS4_3ELNS0_20block_scan_algorithmE0ELj4294967295EEENS1_25partition_config_selectorILNS1_17partition_subalgoE3EjNS0_10empty_typeEbEEZZNS1_14partition_implILS8_3ELb0ES6_jNS0_17counting_iteratorIjlEEPS9_SE_NS0_5tupleIJPjSE_EEENSF_IJSE_SE_EEES9_SG_JZNS1_25segmented_radix_sort_implINS0_14default_configELb1EPK6__halfPSL_PKlPlN2at6native12_GLOBAL__N_18offset_tEEE10hipError_tPvRmT1_PNSt15iterator_traitsISZ_E10value_typeET2_T3_PNS10_IS15_E10value_typeET4_jRbjT5_S1B_jjP12ihipStream_tbEUljE_EEESW_SX_SY_S15_S19_S1B_T6_T7_T9_mT8_S1D_bDpT10_ENKUlT_T0_E_clISt17integral_constantIbLb0EES1Q_EEDaS1L_S1M_EUlS1L_E_NS1_11comp_targetILNS1_3genE10ELNS1_11target_archE1200ELNS1_3gpuE4ELNS1_3repE0EEENS1_30default_config_static_selectorELNS0_4arch9wavefront6targetE1EEEvSZ_,"axG",@progbits,_ZN7rocprim17ROCPRIM_400000_NS6detail17trampoline_kernelINS0_13select_configILj256ELj13ELNS0_17block_load_methodE3ELS4_3ELS4_3ELNS0_20block_scan_algorithmE0ELj4294967295EEENS1_25partition_config_selectorILNS1_17partition_subalgoE3EjNS0_10empty_typeEbEEZZNS1_14partition_implILS8_3ELb0ES6_jNS0_17counting_iteratorIjlEEPS9_SE_NS0_5tupleIJPjSE_EEENSF_IJSE_SE_EEES9_SG_JZNS1_25segmented_radix_sort_implINS0_14default_configELb1EPK6__halfPSL_PKlPlN2at6native12_GLOBAL__N_18offset_tEEE10hipError_tPvRmT1_PNSt15iterator_traitsISZ_E10value_typeET2_T3_PNS10_IS15_E10value_typeET4_jRbjT5_S1B_jjP12ihipStream_tbEUljE_EEESW_SX_SY_S15_S19_S1B_T6_T7_T9_mT8_S1D_bDpT10_ENKUlT_T0_E_clISt17integral_constantIbLb0EES1Q_EEDaS1L_S1M_EUlS1L_E_NS1_11comp_targetILNS1_3genE10ELNS1_11target_archE1200ELNS1_3gpuE4ELNS1_3repE0EEENS1_30default_config_static_selectorELNS0_4arch9wavefront6targetE1EEEvSZ_,comdat
.Lfunc_end1712:
	.size	_ZN7rocprim17ROCPRIM_400000_NS6detail17trampoline_kernelINS0_13select_configILj256ELj13ELNS0_17block_load_methodE3ELS4_3ELS4_3ELNS0_20block_scan_algorithmE0ELj4294967295EEENS1_25partition_config_selectorILNS1_17partition_subalgoE3EjNS0_10empty_typeEbEEZZNS1_14partition_implILS8_3ELb0ES6_jNS0_17counting_iteratorIjlEEPS9_SE_NS0_5tupleIJPjSE_EEENSF_IJSE_SE_EEES9_SG_JZNS1_25segmented_radix_sort_implINS0_14default_configELb1EPK6__halfPSL_PKlPlN2at6native12_GLOBAL__N_18offset_tEEE10hipError_tPvRmT1_PNSt15iterator_traitsISZ_E10value_typeET2_T3_PNS10_IS15_E10value_typeET4_jRbjT5_S1B_jjP12ihipStream_tbEUljE_EEESW_SX_SY_S15_S19_S1B_T6_T7_T9_mT8_S1D_bDpT10_ENKUlT_T0_E_clISt17integral_constantIbLb0EES1Q_EEDaS1L_S1M_EUlS1L_E_NS1_11comp_targetILNS1_3genE10ELNS1_11target_archE1200ELNS1_3gpuE4ELNS1_3repE0EEENS1_30default_config_static_selectorELNS0_4arch9wavefront6targetE1EEEvSZ_, .Lfunc_end1712-_ZN7rocprim17ROCPRIM_400000_NS6detail17trampoline_kernelINS0_13select_configILj256ELj13ELNS0_17block_load_methodE3ELS4_3ELS4_3ELNS0_20block_scan_algorithmE0ELj4294967295EEENS1_25partition_config_selectorILNS1_17partition_subalgoE3EjNS0_10empty_typeEbEEZZNS1_14partition_implILS8_3ELb0ES6_jNS0_17counting_iteratorIjlEEPS9_SE_NS0_5tupleIJPjSE_EEENSF_IJSE_SE_EEES9_SG_JZNS1_25segmented_radix_sort_implINS0_14default_configELb1EPK6__halfPSL_PKlPlN2at6native12_GLOBAL__N_18offset_tEEE10hipError_tPvRmT1_PNSt15iterator_traitsISZ_E10value_typeET2_T3_PNS10_IS15_E10value_typeET4_jRbjT5_S1B_jjP12ihipStream_tbEUljE_EEESW_SX_SY_S15_S19_S1B_T6_T7_T9_mT8_S1D_bDpT10_ENKUlT_T0_E_clISt17integral_constantIbLb0EES1Q_EEDaS1L_S1M_EUlS1L_E_NS1_11comp_targetILNS1_3genE10ELNS1_11target_archE1200ELNS1_3gpuE4ELNS1_3repE0EEENS1_30default_config_static_selectorELNS0_4arch9wavefront6targetE1EEEvSZ_
                                        ; -- End function
	.set _ZN7rocprim17ROCPRIM_400000_NS6detail17trampoline_kernelINS0_13select_configILj256ELj13ELNS0_17block_load_methodE3ELS4_3ELS4_3ELNS0_20block_scan_algorithmE0ELj4294967295EEENS1_25partition_config_selectorILNS1_17partition_subalgoE3EjNS0_10empty_typeEbEEZZNS1_14partition_implILS8_3ELb0ES6_jNS0_17counting_iteratorIjlEEPS9_SE_NS0_5tupleIJPjSE_EEENSF_IJSE_SE_EEES9_SG_JZNS1_25segmented_radix_sort_implINS0_14default_configELb1EPK6__halfPSL_PKlPlN2at6native12_GLOBAL__N_18offset_tEEE10hipError_tPvRmT1_PNSt15iterator_traitsISZ_E10value_typeET2_T3_PNS10_IS15_E10value_typeET4_jRbjT5_S1B_jjP12ihipStream_tbEUljE_EEESW_SX_SY_S15_S19_S1B_T6_T7_T9_mT8_S1D_bDpT10_ENKUlT_T0_E_clISt17integral_constantIbLb0EES1Q_EEDaS1L_S1M_EUlS1L_E_NS1_11comp_targetILNS1_3genE10ELNS1_11target_archE1200ELNS1_3gpuE4ELNS1_3repE0EEENS1_30default_config_static_selectorELNS0_4arch9wavefront6targetE1EEEvSZ_.num_vgpr, 0
	.set _ZN7rocprim17ROCPRIM_400000_NS6detail17trampoline_kernelINS0_13select_configILj256ELj13ELNS0_17block_load_methodE3ELS4_3ELS4_3ELNS0_20block_scan_algorithmE0ELj4294967295EEENS1_25partition_config_selectorILNS1_17partition_subalgoE3EjNS0_10empty_typeEbEEZZNS1_14partition_implILS8_3ELb0ES6_jNS0_17counting_iteratorIjlEEPS9_SE_NS0_5tupleIJPjSE_EEENSF_IJSE_SE_EEES9_SG_JZNS1_25segmented_radix_sort_implINS0_14default_configELb1EPK6__halfPSL_PKlPlN2at6native12_GLOBAL__N_18offset_tEEE10hipError_tPvRmT1_PNSt15iterator_traitsISZ_E10value_typeET2_T3_PNS10_IS15_E10value_typeET4_jRbjT5_S1B_jjP12ihipStream_tbEUljE_EEESW_SX_SY_S15_S19_S1B_T6_T7_T9_mT8_S1D_bDpT10_ENKUlT_T0_E_clISt17integral_constantIbLb0EES1Q_EEDaS1L_S1M_EUlS1L_E_NS1_11comp_targetILNS1_3genE10ELNS1_11target_archE1200ELNS1_3gpuE4ELNS1_3repE0EEENS1_30default_config_static_selectorELNS0_4arch9wavefront6targetE1EEEvSZ_.num_agpr, 0
	.set _ZN7rocprim17ROCPRIM_400000_NS6detail17trampoline_kernelINS0_13select_configILj256ELj13ELNS0_17block_load_methodE3ELS4_3ELS4_3ELNS0_20block_scan_algorithmE0ELj4294967295EEENS1_25partition_config_selectorILNS1_17partition_subalgoE3EjNS0_10empty_typeEbEEZZNS1_14partition_implILS8_3ELb0ES6_jNS0_17counting_iteratorIjlEEPS9_SE_NS0_5tupleIJPjSE_EEENSF_IJSE_SE_EEES9_SG_JZNS1_25segmented_radix_sort_implINS0_14default_configELb1EPK6__halfPSL_PKlPlN2at6native12_GLOBAL__N_18offset_tEEE10hipError_tPvRmT1_PNSt15iterator_traitsISZ_E10value_typeET2_T3_PNS10_IS15_E10value_typeET4_jRbjT5_S1B_jjP12ihipStream_tbEUljE_EEESW_SX_SY_S15_S19_S1B_T6_T7_T9_mT8_S1D_bDpT10_ENKUlT_T0_E_clISt17integral_constantIbLb0EES1Q_EEDaS1L_S1M_EUlS1L_E_NS1_11comp_targetILNS1_3genE10ELNS1_11target_archE1200ELNS1_3gpuE4ELNS1_3repE0EEENS1_30default_config_static_selectorELNS0_4arch9wavefront6targetE1EEEvSZ_.numbered_sgpr, 0
	.set _ZN7rocprim17ROCPRIM_400000_NS6detail17trampoline_kernelINS0_13select_configILj256ELj13ELNS0_17block_load_methodE3ELS4_3ELS4_3ELNS0_20block_scan_algorithmE0ELj4294967295EEENS1_25partition_config_selectorILNS1_17partition_subalgoE3EjNS0_10empty_typeEbEEZZNS1_14partition_implILS8_3ELb0ES6_jNS0_17counting_iteratorIjlEEPS9_SE_NS0_5tupleIJPjSE_EEENSF_IJSE_SE_EEES9_SG_JZNS1_25segmented_radix_sort_implINS0_14default_configELb1EPK6__halfPSL_PKlPlN2at6native12_GLOBAL__N_18offset_tEEE10hipError_tPvRmT1_PNSt15iterator_traitsISZ_E10value_typeET2_T3_PNS10_IS15_E10value_typeET4_jRbjT5_S1B_jjP12ihipStream_tbEUljE_EEESW_SX_SY_S15_S19_S1B_T6_T7_T9_mT8_S1D_bDpT10_ENKUlT_T0_E_clISt17integral_constantIbLb0EES1Q_EEDaS1L_S1M_EUlS1L_E_NS1_11comp_targetILNS1_3genE10ELNS1_11target_archE1200ELNS1_3gpuE4ELNS1_3repE0EEENS1_30default_config_static_selectorELNS0_4arch9wavefront6targetE1EEEvSZ_.num_named_barrier, 0
	.set _ZN7rocprim17ROCPRIM_400000_NS6detail17trampoline_kernelINS0_13select_configILj256ELj13ELNS0_17block_load_methodE3ELS4_3ELS4_3ELNS0_20block_scan_algorithmE0ELj4294967295EEENS1_25partition_config_selectorILNS1_17partition_subalgoE3EjNS0_10empty_typeEbEEZZNS1_14partition_implILS8_3ELb0ES6_jNS0_17counting_iteratorIjlEEPS9_SE_NS0_5tupleIJPjSE_EEENSF_IJSE_SE_EEES9_SG_JZNS1_25segmented_radix_sort_implINS0_14default_configELb1EPK6__halfPSL_PKlPlN2at6native12_GLOBAL__N_18offset_tEEE10hipError_tPvRmT1_PNSt15iterator_traitsISZ_E10value_typeET2_T3_PNS10_IS15_E10value_typeET4_jRbjT5_S1B_jjP12ihipStream_tbEUljE_EEESW_SX_SY_S15_S19_S1B_T6_T7_T9_mT8_S1D_bDpT10_ENKUlT_T0_E_clISt17integral_constantIbLb0EES1Q_EEDaS1L_S1M_EUlS1L_E_NS1_11comp_targetILNS1_3genE10ELNS1_11target_archE1200ELNS1_3gpuE4ELNS1_3repE0EEENS1_30default_config_static_selectorELNS0_4arch9wavefront6targetE1EEEvSZ_.private_seg_size, 0
	.set _ZN7rocprim17ROCPRIM_400000_NS6detail17trampoline_kernelINS0_13select_configILj256ELj13ELNS0_17block_load_methodE3ELS4_3ELS4_3ELNS0_20block_scan_algorithmE0ELj4294967295EEENS1_25partition_config_selectorILNS1_17partition_subalgoE3EjNS0_10empty_typeEbEEZZNS1_14partition_implILS8_3ELb0ES6_jNS0_17counting_iteratorIjlEEPS9_SE_NS0_5tupleIJPjSE_EEENSF_IJSE_SE_EEES9_SG_JZNS1_25segmented_radix_sort_implINS0_14default_configELb1EPK6__halfPSL_PKlPlN2at6native12_GLOBAL__N_18offset_tEEE10hipError_tPvRmT1_PNSt15iterator_traitsISZ_E10value_typeET2_T3_PNS10_IS15_E10value_typeET4_jRbjT5_S1B_jjP12ihipStream_tbEUljE_EEESW_SX_SY_S15_S19_S1B_T6_T7_T9_mT8_S1D_bDpT10_ENKUlT_T0_E_clISt17integral_constantIbLb0EES1Q_EEDaS1L_S1M_EUlS1L_E_NS1_11comp_targetILNS1_3genE10ELNS1_11target_archE1200ELNS1_3gpuE4ELNS1_3repE0EEENS1_30default_config_static_selectorELNS0_4arch9wavefront6targetE1EEEvSZ_.uses_vcc, 0
	.set _ZN7rocprim17ROCPRIM_400000_NS6detail17trampoline_kernelINS0_13select_configILj256ELj13ELNS0_17block_load_methodE3ELS4_3ELS4_3ELNS0_20block_scan_algorithmE0ELj4294967295EEENS1_25partition_config_selectorILNS1_17partition_subalgoE3EjNS0_10empty_typeEbEEZZNS1_14partition_implILS8_3ELb0ES6_jNS0_17counting_iteratorIjlEEPS9_SE_NS0_5tupleIJPjSE_EEENSF_IJSE_SE_EEES9_SG_JZNS1_25segmented_radix_sort_implINS0_14default_configELb1EPK6__halfPSL_PKlPlN2at6native12_GLOBAL__N_18offset_tEEE10hipError_tPvRmT1_PNSt15iterator_traitsISZ_E10value_typeET2_T3_PNS10_IS15_E10value_typeET4_jRbjT5_S1B_jjP12ihipStream_tbEUljE_EEESW_SX_SY_S15_S19_S1B_T6_T7_T9_mT8_S1D_bDpT10_ENKUlT_T0_E_clISt17integral_constantIbLb0EES1Q_EEDaS1L_S1M_EUlS1L_E_NS1_11comp_targetILNS1_3genE10ELNS1_11target_archE1200ELNS1_3gpuE4ELNS1_3repE0EEENS1_30default_config_static_selectorELNS0_4arch9wavefront6targetE1EEEvSZ_.uses_flat_scratch, 0
	.set _ZN7rocprim17ROCPRIM_400000_NS6detail17trampoline_kernelINS0_13select_configILj256ELj13ELNS0_17block_load_methodE3ELS4_3ELS4_3ELNS0_20block_scan_algorithmE0ELj4294967295EEENS1_25partition_config_selectorILNS1_17partition_subalgoE3EjNS0_10empty_typeEbEEZZNS1_14partition_implILS8_3ELb0ES6_jNS0_17counting_iteratorIjlEEPS9_SE_NS0_5tupleIJPjSE_EEENSF_IJSE_SE_EEES9_SG_JZNS1_25segmented_radix_sort_implINS0_14default_configELb1EPK6__halfPSL_PKlPlN2at6native12_GLOBAL__N_18offset_tEEE10hipError_tPvRmT1_PNSt15iterator_traitsISZ_E10value_typeET2_T3_PNS10_IS15_E10value_typeET4_jRbjT5_S1B_jjP12ihipStream_tbEUljE_EEESW_SX_SY_S15_S19_S1B_T6_T7_T9_mT8_S1D_bDpT10_ENKUlT_T0_E_clISt17integral_constantIbLb0EES1Q_EEDaS1L_S1M_EUlS1L_E_NS1_11comp_targetILNS1_3genE10ELNS1_11target_archE1200ELNS1_3gpuE4ELNS1_3repE0EEENS1_30default_config_static_selectorELNS0_4arch9wavefront6targetE1EEEvSZ_.has_dyn_sized_stack, 0
	.set _ZN7rocprim17ROCPRIM_400000_NS6detail17trampoline_kernelINS0_13select_configILj256ELj13ELNS0_17block_load_methodE3ELS4_3ELS4_3ELNS0_20block_scan_algorithmE0ELj4294967295EEENS1_25partition_config_selectorILNS1_17partition_subalgoE3EjNS0_10empty_typeEbEEZZNS1_14partition_implILS8_3ELb0ES6_jNS0_17counting_iteratorIjlEEPS9_SE_NS0_5tupleIJPjSE_EEENSF_IJSE_SE_EEES9_SG_JZNS1_25segmented_radix_sort_implINS0_14default_configELb1EPK6__halfPSL_PKlPlN2at6native12_GLOBAL__N_18offset_tEEE10hipError_tPvRmT1_PNSt15iterator_traitsISZ_E10value_typeET2_T3_PNS10_IS15_E10value_typeET4_jRbjT5_S1B_jjP12ihipStream_tbEUljE_EEESW_SX_SY_S15_S19_S1B_T6_T7_T9_mT8_S1D_bDpT10_ENKUlT_T0_E_clISt17integral_constantIbLb0EES1Q_EEDaS1L_S1M_EUlS1L_E_NS1_11comp_targetILNS1_3genE10ELNS1_11target_archE1200ELNS1_3gpuE4ELNS1_3repE0EEENS1_30default_config_static_selectorELNS0_4arch9wavefront6targetE1EEEvSZ_.has_recursion, 0
	.set _ZN7rocprim17ROCPRIM_400000_NS6detail17trampoline_kernelINS0_13select_configILj256ELj13ELNS0_17block_load_methodE3ELS4_3ELS4_3ELNS0_20block_scan_algorithmE0ELj4294967295EEENS1_25partition_config_selectorILNS1_17partition_subalgoE3EjNS0_10empty_typeEbEEZZNS1_14partition_implILS8_3ELb0ES6_jNS0_17counting_iteratorIjlEEPS9_SE_NS0_5tupleIJPjSE_EEENSF_IJSE_SE_EEES9_SG_JZNS1_25segmented_radix_sort_implINS0_14default_configELb1EPK6__halfPSL_PKlPlN2at6native12_GLOBAL__N_18offset_tEEE10hipError_tPvRmT1_PNSt15iterator_traitsISZ_E10value_typeET2_T3_PNS10_IS15_E10value_typeET4_jRbjT5_S1B_jjP12ihipStream_tbEUljE_EEESW_SX_SY_S15_S19_S1B_T6_T7_T9_mT8_S1D_bDpT10_ENKUlT_T0_E_clISt17integral_constantIbLb0EES1Q_EEDaS1L_S1M_EUlS1L_E_NS1_11comp_targetILNS1_3genE10ELNS1_11target_archE1200ELNS1_3gpuE4ELNS1_3repE0EEENS1_30default_config_static_selectorELNS0_4arch9wavefront6targetE1EEEvSZ_.has_indirect_call, 0
	.section	.AMDGPU.csdata,"",@progbits
; Kernel info:
; codeLenInByte = 0
; TotalNumSgprs: 4
; NumVgprs: 0
; ScratchSize: 0
; MemoryBound: 0
; FloatMode: 240
; IeeeMode: 1
; LDSByteSize: 0 bytes/workgroup (compile time only)
; SGPRBlocks: 0
; VGPRBlocks: 0
; NumSGPRsForWavesPerEU: 4
; NumVGPRsForWavesPerEU: 1
; Occupancy: 10
; WaveLimiterHint : 0
; COMPUTE_PGM_RSRC2:SCRATCH_EN: 0
; COMPUTE_PGM_RSRC2:USER_SGPR: 6
; COMPUTE_PGM_RSRC2:TRAP_HANDLER: 0
; COMPUTE_PGM_RSRC2:TGID_X_EN: 1
; COMPUTE_PGM_RSRC2:TGID_Y_EN: 0
; COMPUTE_PGM_RSRC2:TGID_Z_EN: 0
; COMPUTE_PGM_RSRC2:TIDIG_COMP_CNT: 0
	.section	.text._ZN7rocprim17ROCPRIM_400000_NS6detail17trampoline_kernelINS0_13select_configILj256ELj13ELNS0_17block_load_methodE3ELS4_3ELS4_3ELNS0_20block_scan_algorithmE0ELj4294967295EEENS1_25partition_config_selectorILNS1_17partition_subalgoE3EjNS0_10empty_typeEbEEZZNS1_14partition_implILS8_3ELb0ES6_jNS0_17counting_iteratorIjlEEPS9_SE_NS0_5tupleIJPjSE_EEENSF_IJSE_SE_EEES9_SG_JZNS1_25segmented_radix_sort_implINS0_14default_configELb1EPK6__halfPSL_PKlPlN2at6native12_GLOBAL__N_18offset_tEEE10hipError_tPvRmT1_PNSt15iterator_traitsISZ_E10value_typeET2_T3_PNS10_IS15_E10value_typeET4_jRbjT5_S1B_jjP12ihipStream_tbEUljE_EEESW_SX_SY_S15_S19_S1B_T6_T7_T9_mT8_S1D_bDpT10_ENKUlT_T0_E_clISt17integral_constantIbLb0EES1Q_EEDaS1L_S1M_EUlS1L_E_NS1_11comp_targetILNS1_3genE9ELNS1_11target_archE1100ELNS1_3gpuE3ELNS1_3repE0EEENS1_30default_config_static_selectorELNS0_4arch9wavefront6targetE1EEEvSZ_,"axG",@progbits,_ZN7rocprim17ROCPRIM_400000_NS6detail17trampoline_kernelINS0_13select_configILj256ELj13ELNS0_17block_load_methodE3ELS4_3ELS4_3ELNS0_20block_scan_algorithmE0ELj4294967295EEENS1_25partition_config_selectorILNS1_17partition_subalgoE3EjNS0_10empty_typeEbEEZZNS1_14partition_implILS8_3ELb0ES6_jNS0_17counting_iteratorIjlEEPS9_SE_NS0_5tupleIJPjSE_EEENSF_IJSE_SE_EEES9_SG_JZNS1_25segmented_radix_sort_implINS0_14default_configELb1EPK6__halfPSL_PKlPlN2at6native12_GLOBAL__N_18offset_tEEE10hipError_tPvRmT1_PNSt15iterator_traitsISZ_E10value_typeET2_T3_PNS10_IS15_E10value_typeET4_jRbjT5_S1B_jjP12ihipStream_tbEUljE_EEESW_SX_SY_S15_S19_S1B_T6_T7_T9_mT8_S1D_bDpT10_ENKUlT_T0_E_clISt17integral_constantIbLb0EES1Q_EEDaS1L_S1M_EUlS1L_E_NS1_11comp_targetILNS1_3genE9ELNS1_11target_archE1100ELNS1_3gpuE3ELNS1_3repE0EEENS1_30default_config_static_selectorELNS0_4arch9wavefront6targetE1EEEvSZ_,comdat
	.globl	_ZN7rocprim17ROCPRIM_400000_NS6detail17trampoline_kernelINS0_13select_configILj256ELj13ELNS0_17block_load_methodE3ELS4_3ELS4_3ELNS0_20block_scan_algorithmE0ELj4294967295EEENS1_25partition_config_selectorILNS1_17partition_subalgoE3EjNS0_10empty_typeEbEEZZNS1_14partition_implILS8_3ELb0ES6_jNS0_17counting_iteratorIjlEEPS9_SE_NS0_5tupleIJPjSE_EEENSF_IJSE_SE_EEES9_SG_JZNS1_25segmented_radix_sort_implINS0_14default_configELb1EPK6__halfPSL_PKlPlN2at6native12_GLOBAL__N_18offset_tEEE10hipError_tPvRmT1_PNSt15iterator_traitsISZ_E10value_typeET2_T3_PNS10_IS15_E10value_typeET4_jRbjT5_S1B_jjP12ihipStream_tbEUljE_EEESW_SX_SY_S15_S19_S1B_T6_T7_T9_mT8_S1D_bDpT10_ENKUlT_T0_E_clISt17integral_constantIbLb0EES1Q_EEDaS1L_S1M_EUlS1L_E_NS1_11comp_targetILNS1_3genE9ELNS1_11target_archE1100ELNS1_3gpuE3ELNS1_3repE0EEENS1_30default_config_static_selectorELNS0_4arch9wavefront6targetE1EEEvSZ_ ; -- Begin function _ZN7rocprim17ROCPRIM_400000_NS6detail17trampoline_kernelINS0_13select_configILj256ELj13ELNS0_17block_load_methodE3ELS4_3ELS4_3ELNS0_20block_scan_algorithmE0ELj4294967295EEENS1_25partition_config_selectorILNS1_17partition_subalgoE3EjNS0_10empty_typeEbEEZZNS1_14partition_implILS8_3ELb0ES6_jNS0_17counting_iteratorIjlEEPS9_SE_NS0_5tupleIJPjSE_EEENSF_IJSE_SE_EEES9_SG_JZNS1_25segmented_radix_sort_implINS0_14default_configELb1EPK6__halfPSL_PKlPlN2at6native12_GLOBAL__N_18offset_tEEE10hipError_tPvRmT1_PNSt15iterator_traitsISZ_E10value_typeET2_T3_PNS10_IS15_E10value_typeET4_jRbjT5_S1B_jjP12ihipStream_tbEUljE_EEESW_SX_SY_S15_S19_S1B_T6_T7_T9_mT8_S1D_bDpT10_ENKUlT_T0_E_clISt17integral_constantIbLb0EES1Q_EEDaS1L_S1M_EUlS1L_E_NS1_11comp_targetILNS1_3genE9ELNS1_11target_archE1100ELNS1_3gpuE3ELNS1_3repE0EEENS1_30default_config_static_selectorELNS0_4arch9wavefront6targetE1EEEvSZ_
	.p2align	8
	.type	_ZN7rocprim17ROCPRIM_400000_NS6detail17trampoline_kernelINS0_13select_configILj256ELj13ELNS0_17block_load_methodE3ELS4_3ELS4_3ELNS0_20block_scan_algorithmE0ELj4294967295EEENS1_25partition_config_selectorILNS1_17partition_subalgoE3EjNS0_10empty_typeEbEEZZNS1_14partition_implILS8_3ELb0ES6_jNS0_17counting_iteratorIjlEEPS9_SE_NS0_5tupleIJPjSE_EEENSF_IJSE_SE_EEES9_SG_JZNS1_25segmented_radix_sort_implINS0_14default_configELb1EPK6__halfPSL_PKlPlN2at6native12_GLOBAL__N_18offset_tEEE10hipError_tPvRmT1_PNSt15iterator_traitsISZ_E10value_typeET2_T3_PNS10_IS15_E10value_typeET4_jRbjT5_S1B_jjP12ihipStream_tbEUljE_EEESW_SX_SY_S15_S19_S1B_T6_T7_T9_mT8_S1D_bDpT10_ENKUlT_T0_E_clISt17integral_constantIbLb0EES1Q_EEDaS1L_S1M_EUlS1L_E_NS1_11comp_targetILNS1_3genE9ELNS1_11target_archE1100ELNS1_3gpuE3ELNS1_3repE0EEENS1_30default_config_static_selectorELNS0_4arch9wavefront6targetE1EEEvSZ_,@function
_ZN7rocprim17ROCPRIM_400000_NS6detail17trampoline_kernelINS0_13select_configILj256ELj13ELNS0_17block_load_methodE3ELS4_3ELS4_3ELNS0_20block_scan_algorithmE0ELj4294967295EEENS1_25partition_config_selectorILNS1_17partition_subalgoE3EjNS0_10empty_typeEbEEZZNS1_14partition_implILS8_3ELb0ES6_jNS0_17counting_iteratorIjlEEPS9_SE_NS0_5tupleIJPjSE_EEENSF_IJSE_SE_EEES9_SG_JZNS1_25segmented_radix_sort_implINS0_14default_configELb1EPK6__halfPSL_PKlPlN2at6native12_GLOBAL__N_18offset_tEEE10hipError_tPvRmT1_PNSt15iterator_traitsISZ_E10value_typeET2_T3_PNS10_IS15_E10value_typeET4_jRbjT5_S1B_jjP12ihipStream_tbEUljE_EEESW_SX_SY_S15_S19_S1B_T6_T7_T9_mT8_S1D_bDpT10_ENKUlT_T0_E_clISt17integral_constantIbLb0EES1Q_EEDaS1L_S1M_EUlS1L_E_NS1_11comp_targetILNS1_3genE9ELNS1_11target_archE1100ELNS1_3gpuE3ELNS1_3repE0EEENS1_30default_config_static_selectorELNS0_4arch9wavefront6targetE1EEEvSZ_: ; @_ZN7rocprim17ROCPRIM_400000_NS6detail17trampoline_kernelINS0_13select_configILj256ELj13ELNS0_17block_load_methodE3ELS4_3ELS4_3ELNS0_20block_scan_algorithmE0ELj4294967295EEENS1_25partition_config_selectorILNS1_17partition_subalgoE3EjNS0_10empty_typeEbEEZZNS1_14partition_implILS8_3ELb0ES6_jNS0_17counting_iteratorIjlEEPS9_SE_NS0_5tupleIJPjSE_EEENSF_IJSE_SE_EEES9_SG_JZNS1_25segmented_radix_sort_implINS0_14default_configELb1EPK6__halfPSL_PKlPlN2at6native12_GLOBAL__N_18offset_tEEE10hipError_tPvRmT1_PNSt15iterator_traitsISZ_E10value_typeET2_T3_PNS10_IS15_E10value_typeET4_jRbjT5_S1B_jjP12ihipStream_tbEUljE_EEESW_SX_SY_S15_S19_S1B_T6_T7_T9_mT8_S1D_bDpT10_ENKUlT_T0_E_clISt17integral_constantIbLb0EES1Q_EEDaS1L_S1M_EUlS1L_E_NS1_11comp_targetILNS1_3genE9ELNS1_11target_archE1100ELNS1_3gpuE3ELNS1_3repE0EEENS1_30default_config_static_selectorELNS0_4arch9wavefront6targetE1EEEvSZ_
; %bb.0:
	.section	.rodata,"a",@progbits
	.p2align	6, 0x0
	.amdhsa_kernel _ZN7rocprim17ROCPRIM_400000_NS6detail17trampoline_kernelINS0_13select_configILj256ELj13ELNS0_17block_load_methodE3ELS4_3ELS4_3ELNS0_20block_scan_algorithmE0ELj4294967295EEENS1_25partition_config_selectorILNS1_17partition_subalgoE3EjNS0_10empty_typeEbEEZZNS1_14partition_implILS8_3ELb0ES6_jNS0_17counting_iteratorIjlEEPS9_SE_NS0_5tupleIJPjSE_EEENSF_IJSE_SE_EEES9_SG_JZNS1_25segmented_radix_sort_implINS0_14default_configELb1EPK6__halfPSL_PKlPlN2at6native12_GLOBAL__N_18offset_tEEE10hipError_tPvRmT1_PNSt15iterator_traitsISZ_E10value_typeET2_T3_PNS10_IS15_E10value_typeET4_jRbjT5_S1B_jjP12ihipStream_tbEUljE_EEESW_SX_SY_S15_S19_S1B_T6_T7_T9_mT8_S1D_bDpT10_ENKUlT_T0_E_clISt17integral_constantIbLb0EES1Q_EEDaS1L_S1M_EUlS1L_E_NS1_11comp_targetILNS1_3genE9ELNS1_11target_archE1100ELNS1_3gpuE3ELNS1_3repE0EEENS1_30default_config_static_selectorELNS0_4arch9wavefront6targetE1EEEvSZ_
		.amdhsa_group_segment_fixed_size 0
		.amdhsa_private_segment_fixed_size 0
		.amdhsa_kernarg_size 144
		.amdhsa_user_sgpr_count 6
		.amdhsa_user_sgpr_private_segment_buffer 1
		.amdhsa_user_sgpr_dispatch_ptr 0
		.amdhsa_user_sgpr_queue_ptr 0
		.amdhsa_user_sgpr_kernarg_segment_ptr 1
		.amdhsa_user_sgpr_dispatch_id 0
		.amdhsa_user_sgpr_flat_scratch_init 0
		.amdhsa_user_sgpr_private_segment_size 0
		.amdhsa_uses_dynamic_stack 0
		.amdhsa_system_sgpr_private_segment_wavefront_offset 0
		.amdhsa_system_sgpr_workgroup_id_x 1
		.amdhsa_system_sgpr_workgroup_id_y 0
		.amdhsa_system_sgpr_workgroup_id_z 0
		.amdhsa_system_sgpr_workgroup_info 0
		.amdhsa_system_vgpr_workitem_id 0
		.amdhsa_next_free_vgpr 1
		.amdhsa_next_free_sgpr 0
		.amdhsa_reserve_vcc 0
		.amdhsa_reserve_flat_scratch 0
		.amdhsa_float_round_mode_32 0
		.amdhsa_float_round_mode_16_64 0
		.amdhsa_float_denorm_mode_32 3
		.amdhsa_float_denorm_mode_16_64 3
		.amdhsa_dx10_clamp 1
		.amdhsa_ieee_mode 1
		.amdhsa_fp16_overflow 0
		.amdhsa_exception_fp_ieee_invalid_op 0
		.amdhsa_exception_fp_denorm_src 0
		.amdhsa_exception_fp_ieee_div_zero 0
		.amdhsa_exception_fp_ieee_overflow 0
		.amdhsa_exception_fp_ieee_underflow 0
		.amdhsa_exception_fp_ieee_inexact 0
		.amdhsa_exception_int_div_zero 0
	.end_amdhsa_kernel
	.section	.text._ZN7rocprim17ROCPRIM_400000_NS6detail17trampoline_kernelINS0_13select_configILj256ELj13ELNS0_17block_load_methodE3ELS4_3ELS4_3ELNS0_20block_scan_algorithmE0ELj4294967295EEENS1_25partition_config_selectorILNS1_17partition_subalgoE3EjNS0_10empty_typeEbEEZZNS1_14partition_implILS8_3ELb0ES6_jNS0_17counting_iteratorIjlEEPS9_SE_NS0_5tupleIJPjSE_EEENSF_IJSE_SE_EEES9_SG_JZNS1_25segmented_radix_sort_implINS0_14default_configELb1EPK6__halfPSL_PKlPlN2at6native12_GLOBAL__N_18offset_tEEE10hipError_tPvRmT1_PNSt15iterator_traitsISZ_E10value_typeET2_T3_PNS10_IS15_E10value_typeET4_jRbjT5_S1B_jjP12ihipStream_tbEUljE_EEESW_SX_SY_S15_S19_S1B_T6_T7_T9_mT8_S1D_bDpT10_ENKUlT_T0_E_clISt17integral_constantIbLb0EES1Q_EEDaS1L_S1M_EUlS1L_E_NS1_11comp_targetILNS1_3genE9ELNS1_11target_archE1100ELNS1_3gpuE3ELNS1_3repE0EEENS1_30default_config_static_selectorELNS0_4arch9wavefront6targetE1EEEvSZ_,"axG",@progbits,_ZN7rocprim17ROCPRIM_400000_NS6detail17trampoline_kernelINS0_13select_configILj256ELj13ELNS0_17block_load_methodE3ELS4_3ELS4_3ELNS0_20block_scan_algorithmE0ELj4294967295EEENS1_25partition_config_selectorILNS1_17partition_subalgoE3EjNS0_10empty_typeEbEEZZNS1_14partition_implILS8_3ELb0ES6_jNS0_17counting_iteratorIjlEEPS9_SE_NS0_5tupleIJPjSE_EEENSF_IJSE_SE_EEES9_SG_JZNS1_25segmented_radix_sort_implINS0_14default_configELb1EPK6__halfPSL_PKlPlN2at6native12_GLOBAL__N_18offset_tEEE10hipError_tPvRmT1_PNSt15iterator_traitsISZ_E10value_typeET2_T3_PNS10_IS15_E10value_typeET4_jRbjT5_S1B_jjP12ihipStream_tbEUljE_EEESW_SX_SY_S15_S19_S1B_T6_T7_T9_mT8_S1D_bDpT10_ENKUlT_T0_E_clISt17integral_constantIbLb0EES1Q_EEDaS1L_S1M_EUlS1L_E_NS1_11comp_targetILNS1_3genE9ELNS1_11target_archE1100ELNS1_3gpuE3ELNS1_3repE0EEENS1_30default_config_static_selectorELNS0_4arch9wavefront6targetE1EEEvSZ_,comdat
.Lfunc_end1713:
	.size	_ZN7rocprim17ROCPRIM_400000_NS6detail17trampoline_kernelINS0_13select_configILj256ELj13ELNS0_17block_load_methodE3ELS4_3ELS4_3ELNS0_20block_scan_algorithmE0ELj4294967295EEENS1_25partition_config_selectorILNS1_17partition_subalgoE3EjNS0_10empty_typeEbEEZZNS1_14partition_implILS8_3ELb0ES6_jNS0_17counting_iteratorIjlEEPS9_SE_NS0_5tupleIJPjSE_EEENSF_IJSE_SE_EEES9_SG_JZNS1_25segmented_radix_sort_implINS0_14default_configELb1EPK6__halfPSL_PKlPlN2at6native12_GLOBAL__N_18offset_tEEE10hipError_tPvRmT1_PNSt15iterator_traitsISZ_E10value_typeET2_T3_PNS10_IS15_E10value_typeET4_jRbjT5_S1B_jjP12ihipStream_tbEUljE_EEESW_SX_SY_S15_S19_S1B_T6_T7_T9_mT8_S1D_bDpT10_ENKUlT_T0_E_clISt17integral_constantIbLb0EES1Q_EEDaS1L_S1M_EUlS1L_E_NS1_11comp_targetILNS1_3genE9ELNS1_11target_archE1100ELNS1_3gpuE3ELNS1_3repE0EEENS1_30default_config_static_selectorELNS0_4arch9wavefront6targetE1EEEvSZ_, .Lfunc_end1713-_ZN7rocprim17ROCPRIM_400000_NS6detail17trampoline_kernelINS0_13select_configILj256ELj13ELNS0_17block_load_methodE3ELS4_3ELS4_3ELNS0_20block_scan_algorithmE0ELj4294967295EEENS1_25partition_config_selectorILNS1_17partition_subalgoE3EjNS0_10empty_typeEbEEZZNS1_14partition_implILS8_3ELb0ES6_jNS0_17counting_iteratorIjlEEPS9_SE_NS0_5tupleIJPjSE_EEENSF_IJSE_SE_EEES9_SG_JZNS1_25segmented_radix_sort_implINS0_14default_configELb1EPK6__halfPSL_PKlPlN2at6native12_GLOBAL__N_18offset_tEEE10hipError_tPvRmT1_PNSt15iterator_traitsISZ_E10value_typeET2_T3_PNS10_IS15_E10value_typeET4_jRbjT5_S1B_jjP12ihipStream_tbEUljE_EEESW_SX_SY_S15_S19_S1B_T6_T7_T9_mT8_S1D_bDpT10_ENKUlT_T0_E_clISt17integral_constantIbLb0EES1Q_EEDaS1L_S1M_EUlS1L_E_NS1_11comp_targetILNS1_3genE9ELNS1_11target_archE1100ELNS1_3gpuE3ELNS1_3repE0EEENS1_30default_config_static_selectorELNS0_4arch9wavefront6targetE1EEEvSZ_
                                        ; -- End function
	.set _ZN7rocprim17ROCPRIM_400000_NS6detail17trampoline_kernelINS0_13select_configILj256ELj13ELNS0_17block_load_methodE3ELS4_3ELS4_3ELNS0_20block_scan_algorithmE0ELj4294967295EEENS1_25partition_config_selectorILNS1_17partition_subalgoE3EjNS0_10empty_typeEbEEZZNS1_14partition_implILS8_3ELb0ES6_jNS0_17counting_iteratorIjlEEPS9_SE_NS0_5tupleIJPjSE_EEENSF_IJSE_SE_EEES9_SG_JZNS1_25segmented_radix_sort_implINS0_14default_configELb1EPK6__halfPSL_PKlPlN2at6native12_GLOBAL__N_18offset_tEEE10hipError_tPvRmT1_PNSt15iterator_traitsISZ_E10value_typeET2_T3_PNS10_IS15_E10value_typeET4_jRbjT5_S1B_jjP12ihipStream_tbEUljE_EEESW_SX_SY_S15_S19_S1B_T6_T7_T9_mT8_S1D_bDpT10_ENKUlT_T0_E_clISt17integral_constantIbLb0EES1Q_EEDaS1L_S1M_EUlS1L_E_NS1_11comp_targetILNS1_3genE9ELNS1_11target_archE1100ELNS1_3gpuE3ELNS1_3repE0EEENS1_30default_config_static_selectorELNS0_4arch9wavefront6targetE1EEEvSZ_.num_vgpr, 0
	.set _ZN7rocprim17ROCPRIM_400000_NS6detail17trampoline_kernelINS0_13select_configILj256ELj13ELNS0_17block_load_methodE3ELS4_3ELS4_3ELNS0_20block_scan_algorithmE0ELj4294967295EEENS1_25partition_config_selectorILNS1_17partition_subalgoE3EjNS0_10empty_typeEbEEZZNS1_14partition_implILS8_3ELb0ES6_jNS0_17counting_iteratorIjlEEPS9_SE_NS0_5tupleIJPjSE_EEENSF_IJSE_SE_EEES9_SG_JZNS1_25segmented_radix_sort_implINS0_14default_configELb1EPK6__halfPSL_PKlPlN2at6native12_GLOBAL__N_18offset_tEEE10hipError_tPvRmT1_PNSt15iterator_traitsISZ_E10value_typeET2_T3_PNS10_IS15_E10value_typeET4_jRbjT5_S1B_jjP12ihipStream_tbEUljE_EEESW_SX_SY_S15_S19_S1B_T6_T7_T9_mT8_S1D_bDpT10_ENKUlT_T0_E_clISt17integral_constantIbLb0EES1Q_EEDaS1L_S1M_EUlS1L_E_NS1_11comp_targetILNS1_3genE9ELNS1_11target_archE1100ELNS1_3gpuE3ELNS1_3repE0EEENS1_30default_config_static_selectorELNS0_4arch9wavefront6targetE1EEEvSZ_.num_agpr, 0
	.set _ZN7rocprim17ROCPRIM_400000_NS6detail17trampoline_kernelINS0_13select_configILj256ELj13ELNS0_17block_load_methodE3ELS4_3ELS4_3ELNS0_20block_scan_algorithmE0ELj4294967295EEENS1_25partition_config_selectorILNS1_17partition_subalgoE3EjNS0_10empty_typeEbEEZZNS1_14partition_implILS8_3ELb0ES6_jNS0_17counting_iteratorIjlEEPS9_SE_NS0_5tupleIJPjSE_EEENSF_IJSE_SE_EEES9_SG_JZNS1_25segmented_radix_sort_implINS0_14default_configELb1EPK6__halfPSL_PKlPlN2at6native12_GLOBAL__N_18offset_tEEE10hipError_tPvRmT1_PNSt15iterator_traitsISZ_E10value_typeET2_T3_PNS10_IS15_E10value_typeET4_jRbjT5_S1B_jjP12ihipStream_tbEUljE_EEESW_SX_SY_S15_S19_S1B_T6_T7_T9_mT8_S1D_bDpT10_ENKUlT_T0_E_clISt17integral_constantIbLb0EES1Q_EEDaS1L_S1M_EUlS1L_E_NS1_11comp_targetILNS1_3genE9ELNS1_11target_archE1100ELNS1_3gpuE3ELNS1_3repE0EEENS1_30default_config_static_selectorELNS0_4arch9wavefront6targetE1EEEvSZ_.numbered_sgpr, 0
	.set _ZN7rocprim17ROCPRIM_400000_NS6detail17trampoline_kernelINS0_13select_configILj256ELj13ELNS0_17block_load_methodE3ELS4_3ELS4_3ELNS0_20block_scan_algorithmE0ELj4294967295EEENS1_25partition_config_selectorILNS1_17partition_subalgoE3EjNS0_10empty_typeEbEEZZNS1_14partition_implILS8_3ELb0ES6_jNS0_17counting_iteratorIjlEEPS9_SE_NS0_5tupleIJPjSE_EEENSF_IJSE_SE_EEES9_SG_JZNS1_25segmented_radix_sort_implINS0_14default_configELb1EPK6__halfPSL_PKlPlN2at6native12_GLOBAL__N_18offset_tEEE10hipError_tPvRmT1_PNSt15iterator_traitsISZ_E10value_typeET2_T3_PNS10_IS15_E10value_typeET4_jRbjT5_S1B_jjP12ihipStream_tbEUljE_EEESW_SX_SY_S15_S19_S1B_T6_T7_T9_mT8_S1D_bDpT10_ENKUlT_T0_E_clISt17integral_constantIbLb0EES1Q_EEDaS1L_S1M_EUlS1L_E_NS1_11comp_targetILNS1_3genE9ELNS1_11target_archE1100ELNS1_3gpuE3ELNS1_3repE0EEENS1_30default_config_static_selectorELNS0_4arch9wavefront6targetE1EEEvSZ_.num_named_barrier, 0
	.set _ZN7rocprim17ROCPRIM_400000_NS6detail17trampoline_kernelINS0_13select_configILj256ELj13ELNS0_17block_load_methodE3ELS4_3ELS4_3ELNS0_20block_scan_algorithmE0ELj4294967295EEENS1_25partition_config_selectorILNS1_17partition_subalgoE3EjNS0_10empty_typeEbEEZZNS1_14partition_implILS8_3ELb0ES6_jNS0_17counting_iteratorIjlEEPS9_SE_NS0_5tupleIJPjSE_EEENSF_IJSE_SE_EEES9_SG_JZNS1_25segmented_radix_sort_implINS0_14default_configELb1EPK6__halfPSL_PKlPlN2at6native12_GLOBAL__N_18offset_tEEE10hipError_tPvRmT1_PNSt15iterator_traitsISZ_E10value_typeET2_T3_PNS10_IS15_E10value_typeET4_jRbjT5_S1B_jjP12ihipStream_tbEUljE_EEESW_SX_SY_S15_S19_S1B_T6_T7_T9_mT8_S1D_bDpT10_ENKUlT_T0_E_clISt17integral_constantIbLb0EES1Q_EEDaS1L_S1M_EUlS1L_E_NS1_11comp_targetILNS1_3genE9ELNS1_11target_archE1100ELNS1_3gpuE3ELNS1_3repE0EEENS1_30default_config_static_selectorELNS0_4arch9wavefront6targetE1EEEvSZ_.private_seg_size, 0
	.set _ZN7rocprim17ROCPRIM_400000_NS6detail17trampoline_kernelINS0_13select_configILj256ELj13ELNS0_17block_load_methodE3ELS4_3ELS4_3ELNS0_20block_scan_algorithmE0ELj4294967295EEENS1_25partition_config_selectorILNS1_17partition_subalgoE3EjNS0_10empty_typeEbEEZZNS1_14partition_implILS8_3ELb0ES6_jNS0_17counting_iteratorIjlEEPS9_SE_NS0_5tupleIJPjSE_EEENSF_IJSE_SE_EEES9_SG_JZNS1_25segmented_radix_sort_implINS0_14default_configELb1EPK6__halfPSL_PKlPlN2at6native12_GLOBAL__N_18offset_tEEE10hipError_tPvRmT1_PNSt15iterator_traitsISZ_E10value_typeET2_T3_PNS10_IS15_E10value_typeET4_jRbjT5_S1B_jjP12ihipStream_tbEUljE_EEESW_SX_SY_S15_S19_S1B_T6_T7_T9_mT8_S1D_bDpT10_ENKUlT_T0_E_clISt17integral_constantIbLb0EES1Q_EEDaS1L_S1M_EUlS1L_E_NS1_11comp_targetILNS1_3genE9ELNS1_11target_archE1100ELNS1_3gpuE3ELNS1_3repE0EEENS1_30default_config_static_selectorELNS0_4arch9wavefront6targetE1EEEvSZ_.uses_vcc, 0
	.set _ZN7rocprim17ROCPRIM_400000_NS6detail17trampoline_kernelINS0_13select_configILj256ELj13ELNS0_17block_load_methodE3ELS4_3ELS4_3ELNS0_20block_scan_algorithmE0ELj4294967295EEENS1_25partition_config_selectorILNS1_17partition_subalgoE3EjNS0_10empty_typeEbEEZZNS1_14partition_implILS8_3ELb0ES6_jNS0_17counting_iteratorIjlEEPS9_SE_NS0_5tupleIJPjSE_EEENSF_IJSE_SE_EEES9_SG_JZNS1_25segmented_radix_sort_implINS0_14default_configELb1EPK6__halfPSL_PKlPlN2at6native12_GLOBAL__N_18offset_tEEE10hipError_tPvRmT1_PNSt15iterator_traitsISZ_E10value_typeET2_T3_PNS10_IS15_E10value_typeET4_jRbjT5_S1B_jjP12ihipStream_tbEUljE_EEESW_SX_SY_S15_S19_S1B_T6_T7_T9_mT8_S1D_bDpT10_ENKUlT_T0_E_clISt17integral_constantIbLb0EES1Q_EEDaS1L_S1M_EUlS1L_E_NS1_11comp_targetILNS1_3genE9ELNS1_11target_archE1100ELNS1_3gpuE3ELNS1_3repE0EEENS1_30default_config_static_selectorELNS0_4arch9wavefront6targetE1EEEvSZ_.uses_flat_scratch, 0
	.set _ZN7rocprim17ROCPRIM_400000_NS6detail17trampoline_kernelINS0_13select_configILj256ELj13ELNS0_17block_load_methodE3ELS4_3ELS4_3ELNS0_20block_scan_algorithmE0ELj4294967295EEENS1_25partition_config_selectorILNS1_17partition_subalgoE3EjNS0_10empty_typeEbEEZZNS1_14partition_implILS8_3ELb0ES6_jNS0_17counting_iteratorIjlEEPS9_SE_NS0_5tupleIJPjSE_EEENSF_IJSE_SE_EEES9_SG_JZNS1_25segmented_radix_sort_implINS0_14default_configELb1EPK6__halfPSL_PKlPlN2at6native12_GLOBAL__N_18offset_tEEE10hipError_tPvRmT1_PNSt15iterator_traitsISZ_E10value_typeET2_T3_PNS10_IS15_E10value_typeET4_jRbjT5_S1B_jjP12ihipStream_tbEUljE_EEESW_SX_SY_S15_S19_S1B_T6_T7_T9_mT8_S1D_bDpT10_ENKUlT_T0_E_clISt17integral_constantIbLb0EES1Q_EEDaS1L_S1M_EUlS1L_E_NS1_11comp_targetILNS1_3genE9ELNS1_11target_archE1100ELNS1_3gpuE3ELNS1_3repE0EEENS1_30default_config_static_selectorELNS0_4arch9wavefront6targetE1EEEvSZ_.has_dyn_sized_stack, 0
	.set _ZN7rocprim17ROCPRIM_400000_NS6detail17trampoline_kernelINS0_13select_configILj256ELj13ELNS0_17block_load_methodE3ELS4_3ELS4_3ELNS0_20block_scan_algorithmE0ELj4294967295EEENS1_25partition_config_selectorILNS1_17partition_subalgoE3EjNS0_10empty_typeEbEEZZNS1_14partition_implILS8_3ELb0ES6_jNS0_17counting_iteratorIjlEEPS9_SE_NS0_5tupleIJPjSE_EEENSF_IJSE_SE_EEES9_SG_JZNS1_25segmented_radix_sort_implINS0_14default_configELb1EPK6__halfPSL_PKlPlN2at6native12_GLOBAL__N_18offset_tEEE10hipError_tPvRmT1_PNSt15iterator_traitsISZ_E10value_typeET2_T3_PNS10_IS15_E10value_typeET4_jRbjT5_S1B_jjP12ihipStream_tbEUljE_EEESW_SX_SY_S15_S19_S1B_T6_T7_T9_mT8_S1D_bDpT10_ENKUlT_T0_E_clISt17integral_constantIbLb0EES1Q_EEDaS1L_S1M_EUlS1L_E_NS1_11comp_targetILNS1_3genE9ELNS1_11target_archE1100ELNS1_3gpuE3ELNS1_3repE0EEENS1_30default_config_static_selectorELNS0_4arch9wavefront6targetE1EEEvSZ_.has_recursion, 0
	.set _ZN7rocprim17ROCPRIM_400000_NS6detail17trampoline_kernelINS0_13select_configILj256ELj13ELNS0_17block_load_methodE3ELS4_3ELS4_3ELNS0_20block_scan_algorithmE0ELj4294967295EEENS1_25partition_config_selectorILNS1_17partition_subalgoE3EjNS0_10empty_typeEbEEZZNS1_14partition_implILS8_3ELb0ES6_jNS0_17counting_iteratorIjlEEPS9_SE_NS0_5tupleIJPjSE_EEENSF_IJSE_SE_EEES9_SG_JZNS1_25segmented_radix_sort_implINS0_14default_configELb1EPK6__halfPSL_PKlPlN2at6native12_GLOBAL__N_18offset_tEEE10hipError_tPvRmT1_PNSt15iterator_traitsISZ_E10value_typeET2_T3_PNS10_IS15_E10value_typeET4_jRbjT5_S1B_jjP12ihipStream_tbEUljE_EEESW_SX_SY_S15_S19_S1B_T6_T7_T9_mT8_S1D_bDpT10_ENKUlT_T0_E_clISt17integral_constantIbLb0EES1Q_EEDaS1L_S1M_EUlS1L_E_NS1_11comp_targetILNS1_3genE9ELNS1_11target_archE1100ELNS1_3gpuE3ELNS1_3repE0EEENS1_30default_config_static_selectorELNS0_4arch9wavefront6targetE1EEEvSZ_.has_indirect_call, 0
	.section	.AMDGPU.csdata,"",@progbits
; Kernel info:
; codeLenInByte = 0
; TotalNumSgprs: 4
; NumVgprs: 0
; ScratchSize: 0
; MemoryBound: 0
; FloatMode: 240
; IeeeMode: 1
; LDSByteSize: 0 bytes/workgroup (compile time only)
; SGPRBlocks: 0
; VGPRBlocks: 0
; NumSGPRsForWavesPerEU: 4
; NumVGPRsForWavesPerEU: 1
; Occupancy: 10
; WaveLimiterHint : 0
; COMPUTE_PGM_RSRC2:SCRATCH_EN: 0
; COMPUTE_PGM_RSRC2:USER_SGPR: 6
; COMPUTE_PGM_RSRC2:TRAP_HANDLER: 0
; COMPUTE_PGM_RSRC2:TGID_X_EN: 1
; COMPUTE_PGM_RSRC2:TGID_Y_EN: 0
; COMPUTE_PGM_RSRC2:TGID_Z_EN: 0
; COMPUTE_PGM_RSRC2:TIDIG_COMP_CNT: 0
	.section	.text._ZN7rocprim17ROCPRIM_400000_NS6detail17trampoline_kernelINS0_13select_configILj256ELj13ELNS0_17block_load_methodE3ELS4_3ELS4_3ELNS0_20block_scan_algorithmE0ELj4294967295EEENS1_25partition_config_selectorILNS1_17partition_subalgoE3EjNS0_10empty_typeEbEEZZNS1_14partition_implILS8_3ELb0ES6_jNS0_17counting_iteratorIjlEEPS9_SE_NS0_5tupleIJPjSE_EEENSF_IJSE_SE_EEES9_SG_JZNS1_25segmented_radix_sort_implINS0_14default_configELb1EPK6__halfPSL_PKlPlN2at6native12_GLOBAL__N_18offset_tEEE10hipError_tPvRmT1_PNSt15iterator_traitsISZ_E10value_typeET2_T3_PNS10_IS15_E10value_typeET4_jRbjT5_S1B_jjP12ihipStream_tbEUljE_EEESW_SX_SY_S15_S19_S1B_T6_T7_T9_mT8_S1D_bDpT10_ENKUlT_T0_E_clISt17integral_constantIbLb0EES1Q_EEDaS1L_S1M_EUlS1L_E_NS1_11comp_targetILNS1_3genE8ELNS1_11target_archE1030ELNS1_3gpuE2ELNS1_3repE0EEENS1_30default_config_static_selectorELNS0_4arch9wavefront6targetE1EEEvSZ_,"axG",@progbits,_ZN7rocprim17ROCPRIM_400000_NS6detail17trampoline_kernelINS0_13select_configILj256ELj13ELNS0_17block_load_methodE3ELS4_3ELS4_3ELNS0_20block_scan_algorithmE0ELj4294967295EEENS1_25partition_config_selectorILNS1_17partition_subalgoE3EjNS0_10empty_typeEbEEZZNS1_14partition_implILS8_3ELb0ES6_jNS0_17counting_iteratorIjlEEPS9_SE_NS0_5tupleIJPjSE_EEENSF_IJSE_SE_EEES9_SG_JZNS1_25segmented_radix_sort_implINS0_14default_configELb1EPK6__halfPSL_PKlPlN2at6native12_GLOBAL__N_18offset_tEEE10hipError_tPvRmT1_PNSt15iterator_traitsISZ_E10value_typeET2_T3_PNS10_IS15_E10value_typeET4_jRbjT5_S1B_jjP12ihipStream_tbEUljE_EEESW_SX_SY_S15_S19_S1B_T6_T7_T9_mT8_S1D_bDpT10_ENKUlT_T0_E_clISt17integral_constantIbLb0EES1Q_EEDaS1L_S1M_EUlS1L_E_NS1_11comp_targetILNS1_3genE8ELNS1_11target_archE1030ELNS1_3gpuE2ELNS1_3repE0EEENS1_30default_config_static_selectorELNS0_4arch9wavefront6targetE1EEEvSZ_,comdat
	.globl	_ZN7rocprim17ROCPRIM_400000_NS6detail17trampoline_kernelINS0_13select_configILj256ELj13ELNS0_17block_load_methodE3ELS4_3ELS4_3ELNS0_20block_scan_algorithmE0ELj4294967295EEENS1_25partition_config_selectorILNS1_17partition_subalgoE3EjNS0_10empty_typeEbEEZZNS1_14partition_implILS8_3ELb0ES6_jNS0_17counting_iteratorIjlEEPS9_SE_NS0_5tupleIJPjSE_EEENSF_IJSE_SE_EEES9_SG_JZNS1_25segmented_radix_sort_implINS0_14default_configELb1EPK6__halfPSL_PKlPlN2at6native12_GLOBAL__N_18offset_tEEE10hipError_tPvRmT1_PNSt15iterator_traitsISZ_E10value_typeET2_T3_PNS10_IS15_E10value_typeET4_jRbjT5_S1B_jjP12ihipStream_tbEUljE_EEESW_SX_SY_S15_S19_S1B_T6_T7_T9_mT8_S1D_bDpT10_ENKUlT_T0_E_clISt17integral_constantIbLb0EES1Q_EEDaS1L_S1M_EUlS1L_E_NS1_11comp_targetILNS1_3genE8ELNS1_11target_archE1030ELNS1_3gpuE2ELNS1_3repE0EEENS1_30default_config_static_selectorELNS0_4arch9wavefront6targetE1EEEvSZ_ ; -- Begin function _ZN7rocprim17ROCPRIM_400000_NS6detail17trampoline_kernelINS0_13select_configILj256ELj13ELNS0_17block_load_methodE3ELS4_3ELS4_3ELNS0_20block_scan_algorithmE0ELj4294967295EEENS1_25partition_config_selectorILNS1_17partition_subalgoE3EjNS0_10empty_typeEbEEZZNS1_14partition_implILS8_3ELb0ES6_jNS0_17counting_iteratorIjlEEPS9_SE_NS0_5tupleIJPjSE_EEENSF_IJSE_SE_EEES9_SG_JZNS1_25segmented_radix_sort_implINS0_14default_configELb1EPK6__halfPSL_PKlPlN2at6native12_GLOBAL__N_18offset_tEEE10hipError_tPvRmT1_PNSt15iterator_traitsISZ_E10value_typeET2_T3_PNS10_IS15_E10value_typeET4_jRbjT5_S1B_jjP12ihipStream_tbEUljE_EEESW_SX_SY_S15_S19_S1B_T6_T7_T9_mT8_S1D_bDpT10_ENKUlT_T0_E_clISt17integral_constantIbLb0EES1Q_EEDaS1L_S1M_EUlS1L_E_NS1_11comp_targetILNS1_3genE8ELNS1_11target_archE1030ELNS1_3gpuE2ELNS1_3repE0EEENS1_30default_config_static_selectorELNS0_4arch9wavefront6targetE1EEEvSZ_
	.p2align	8
	.type	_ZN7rocprim17ROCPRIM_400000_NS6detail17trampoline_kernelINS0_13select_configILj256ELj13ELNS0_17block_load_methodE3ELS4_3ELS4_3ELNS0_20block_scan_algorithmE0ELj4294967295EEENS1_25partition_config_selectorILNS1_17partition_subalgoE3EjNS0_10empty_typeEbEEZZNS1_14partition_implILS8_3ELb0ES6_jNS0_17counting_iteratorIjlEEPS9_SE_NS0_5tupleIJPjSE_EEENSF_IJSE_SE_EEES9_SG_JZNS1_25segmented_radix_sort_implINS0_14default_configELb1EPK6__halfPSL_PKlPlN2at6native12_GLOBAL__N_18offset_tEEE10hipError_tPvRmT1_PNSt15iterator_traitsISZ_E10value_typeET2_T3_PNS10_IS15_E10value_typeET4_jRbjT5_S1B_jjP12ihipStream_tbEUljE_EEESW_SX_SY_S15_S19_S1B_T6_T7_T9_mT8_S1D_bDpT10_ENKUlT_T0_E_clISt17integral_constantIbLb0EES1Q_EEDaS1L_S1M_EUlS1L_E_NS1_11comp_targetILNS1_3genE8ELNS1_11target_archE1030ELNS1_3gpuE2ELNS1_3repE0EEENS1_30default_config_static_selectorELNS0_4arch9wavefront6targetE1EEEvSZ_,@function
_ZN7rocprim17ROCPRIM_400000_NS6detail17trampoline_kernelINS0_13select_configILj256ELj13ELNS0_17block_load_methodE3ELS4_3ELS4_3ELNS0_20block_scan_algorithmE0ELj4294967295EEENS1_25partition_config_selectorILNS1_17partition_subalgoE3EjNS0_10empty_typeEbEEZZNS1_14partition_implILS8_3ELb0ES6_jNS0_17counting_iteratorIjlEEPS9_SE_NS0_5tupleIJPjSE_EEENSF_IJSE_SE_EEES9_SG_JZNS1_25segmented_radix_sort_implINS0_14default_configELb1EPK6__halfPSL_PKlPlN2at6native12_GLOBAL__N_18offset_tEEE10hipError_tPvRmT1_PNSt15iterator_traitsISZ_E10value_typeET2_T3_PNS10_IS15_E10value_typeET4_jRbjT5_S1B_jjP12ihipStream_tbEUljE_EEESW_SX_SY_S15_S19_S1B_T6_T7_T9_mT8_S1D_bDpT10_ENKUlT_T0_E_clISt17integral_constantIbLb0EES1Q_EEDaS1L_S1M_EUlS1L_E_NS1_11comp_targetILNS1_3genE8ELNS1_11target_archE1030ELNS1_3gpuE2ELNS1_3repE0EEENS1_30default_config_static_selectorELNS0_4arch9wavefront6targetE1EEEvSZ_: ; @_ZN7rocprim17ROCPRIM_400000_NS6detail17trampoline_kernelINS0_13select_configILj256ELj13ELNS0_17block_load_methodE3ELS4_3ELS4_3ELNS0_20block_scan_algorithmE0ELj4294967295EEENS1_25partition_config_selectorILNS1_17partition_subalgoE3EjNS0_10empty_typeEbEEZZNS1_14partition_implILS8_3ELb0ES6_jNS0_17counting_iteratorIjlEEPS9_SE_NS0_5tupleIJPjSE_EEENSF_IJSE_SE_EEES9_SG_JZNS1_25segmented_radix_sort_implINS0_14default_configELb1EPK6__halfPSL_PKlPlN2at6native12_GLOBAL__N_18offset_tEEE10hipError_tPvRmT1_PNSt15iterator_traitsISZ_E10value_typeET2_T3_PNS10_IS15_E10value_typeET4_jRbjT5_S1B_jjP12ihipStream_tbEUljE_EEESW_SX_SY_S15_S19_S1B_T6_T7_T9_mT8_S1D_bDpT10_ENKUlT_T0_E_clISt17integral_constantIbLb0EES1Q_EEDaS1L_S1M_EUlS1L_E_NS1_11comp_targetILNS1_3genE8ELNS1_11target_archE1030ELNS1_3gpuE2ELNS1_3repE0EEENS1_30default_config_static_selectorELNS0_4arch9wavefront6targetE1EEEvSZ_
; %bb.0:
	.section	.rodata,"a",@progbits
	.p2align	6, 0x0
	.amdhsa_kernel _ZN7rocprim17ROCPRIM_400000_NS6detail17trampoline_kernelINS0_13select_configILj256ELj13ELNS0_17block_load_methodE3ELS4_3ELS4_3ELNS0_20block_scan_algorithmE0ELj4294967295EEENS1_25partition_config_selectorILNS1_17partition_subalgoE3EjNS0_10empty_typeEbEEZZNS1_14partition_implILS8_3ELb0ES6_jNS0_17counting_iteratorIjlEEPS9_SE_NS0_5tupleIJPjSE_EEENSF_IJSE_SE_EEES9_SG_JZNS1_25segmented_radix_sort_implINS0_14default_configELb1EPK6__halfPSL_PKlPlN2at6native12_GLOBAL__N_18offset_tEEE10hipError_tPvRmT1_PNSt15iterator_traitsISZ_E10value_typeET2_T3_PNS10_IS15_E10value_typeET4_jRbjT5_S1B_jjP12ihipStream_tbEUljE_EEESW_SX_SY_S15_S19_S1B_T6_T7_T9_mT8_S1D_bDpT10_ENKUlT_T0_E_clISt17integral_constantIbLb0EES1Q_EEDaS1L_S1M_EUlS1L_E_NS1_11comp_targetILNS1_3genE8ELNS1_11target_archE1030ELNS1_3gpuE2ELNS1_3repE0EEENS1_30default_config_static_selectorELNS0_4arch9wavefront6targetE1EEEvSZ_
		.amdhsa_group_segment_fixed_size 0
		.amdhsa_private_segment_fixed_size 0
		.amdhsa_kernarg_size 144
		.amdhsa_user_sgpr_count 6
		.amdhsa_user_sgpr_private_segment_buffer 1
		.amdhsa_user_sgpr_dispatch_ptr 0
		.amdhsa_user_sgpr_queue_ptr 0
		.amdhsa_user_sgpr_kernarg_segment_ptr 1
		.amdhsa_user_sgpr_dispatch_id 0
		.amdhsa_user_sgpr_flat_scratch_init 0
		.amdhsa_user_sgpr_private_segment_size 0
		.amdhsa_uses_dynamic_stack 0
		.amdhsa_system_sgpr_private_segment_wavefront_offset 0
		.amdhsa_system_sgpr_workgroup_id_x 1
		.amdhsa_system_sgpr_workgroup_id_y 0
		.amdhsa_system_sgpr_workgroup_id_z 0
		.amdhsa_system_sgpr_workgroup_info 0
		.amdhsa_system_vgpr_workitem_id 0
		.amdhsa_next_free_vgpr 1
		.amdhsa_next_free_sgpr 0
		.amdhsa_reserve_vcc 0
		.amdhsa_reserve_flat_scratch 0
		.amdhsa_float_round_mode_32 0
		.amdhsa_float_round_mode_16_64 0
		.amdhsa_float_denorm_mode_32 3
		.amdhsa_float_denorm_mode_16_64 3
		.amdhsa_dx10_clamp 1
		.amdhsa_ieee_mode 1
		.amdhsa_fp16_overflow 0
		.amdhsa_exception_fp_ieee_invalid_op 0
		.amdhsa_exception_fp_denorm_src 0
		.amdhsa_exception_fp_ieee_div_zero 0
		.amdhsa_exception_fp_ieee_overflow 0
		.amdhsa_exception_fp_ieee_underflow 0
		.amdhsa_exception_fp_ieee_inexact 0
		.amdhsa_exception_int_div_zero 0
	.end_amdhsa_kernel
	.section	.text._ZN7rocprim17ROCPRIM_400000_NS6detail17trampoline_kernelINS0_13select_configILj256ELj13ELNS0_17block_load_methodE3ELS4_3ELS4_3ELNS0_20block_scan_algorithmE0ELj4294967295EEENS1_25partition_config_selectorILNS1_17partition_subalgoE3EjNS0_10empty_typeEbEEZZNS1_14partition_implILS8_3ELb0ES6_jNS0_17counting_iteratorIjlEEPS9_SE_NS0_5tupleIJPjSE_EEENSF_IJSE_SE_EEES9_SG_JZNS1_25segmented_radix_sort_implINS0_14default_configELb1EPK6__halfPSL_PKlPlN2at6native12_GLOBAL__N_18offset_tEEE10hipError_tPvRmT1_PNSt15iterator_traitsISZ_E10value_typeET2_T3_PNS10_IS15_E10value_typeET4_jRbjT5_S1B_jjP12ihipStream_tbEUljE_EEESW_SX_SY_S15_S19_S1B_T6_T7_T9_mT8_S1D_bDpT10_ENKUlT_T0_E_clISt17integral_constantIbLb0EES1Q_EEDaS1L_S1M_EUlS1L_E_NS1_11comp_targetILNS1_3genE8ELNS1_11target_archE1030ELNS1_3gpuE2ELNS1_3repE0EEENS1_30default_config_static_selectorELNS0_4arch9wavefront6targetE1EEEvSZ_,"axG",@progbits,_ZN7rocprim17ROCPRIM_400000_NS6detail17trampoline_kernelINS0_13select_configILj256ELj13ELNS0_17block_load_methodE3ELS4_3ELS4_3ELNS0_20block_scan_algorithmE0ELj4294967295EEENS1_25partition_config_selectorILNS1_17partition_subalgoE3EjNS0_10empty_typeEbEEZZNS1_14partition_implILS8_3ELb0ES6_jNS0_17counting_iteratorIjlEEPS9_SE_NS0_5tupleIJPjSE_EEENSF_IJSE_SE_EEES9_SG_JZNS1_25segmented_radix_sort_implINS0_14default_configELb1EPK6__halfPSL_PKlPlN2at6native12_GLOBAL__N_18offset_tEEE10hipError_tPvRmT1_PNSt15iterator_traitsISZ_E10value_typeET2_T3_PNS10_IS15_E10value_typeET4_jRbjT5_S1B_jjP12ihipStream_tbEUljE_EEESW_SX_SY_S15_S19_S1B_T6_T7_T9_mT8_S1D_bDpT10_ENKUlT_T0_E_clISt17integral_constantIbLb0EES1Q_EEDaS1L_S1M_EUlS1L_E_NS1_11comp_targetILNS1_3genE8ELNS1_11target_archE1030ELNS1_3gpuE2ELNS1_3repE0EEENS1_30default_config_static_selectorELNS0_4arch9wavefront6targetE1EEEvSZ_,comdat
.Lfunc_end1714:
	.size	_ZN7rocprim17ROCPRIM_400000_NS6detail17trampoline_kernelINS0_13select_configILj256ELj13ELNS0_17block_load_methodE3ELS4_3ELS4_3ELNS0_20block_scan_algorithmE0ELj4294967295EEENS1_25partition_config_selectorILNS1_17partition_subalgoE3EjNS0_10empty_typeEbEEZZNS1_14partition_implILS8_3ELb0ES6_jNS0_17counting_iteratorIjlEEPS9_SE_NS0_5tupleIJPjSE_EEENSF_IJSE_SE_EEES9_SG_JZNS1_25segmented_radix_sort_implINS0_14default_configELb1EPK6__halfPSL_PKlPlN2at6native12_GLOBAL__N_18offset_tEEE10hipError_tPvRmT1_PNSt15iterator_traitsISZ_E10value_typeET2_T3_PNS10_IS15_E10value_typeET4_jRbjT5_S1B_jjP12ihipStream_tbEUljE_EEESW_SX_SY_S15_S19_S1B_T6_T7_T9_mT8_S1D_bDpT10_ENKUlT_T0_E_clISt17integral_constantIbLb0EES1Q_EEDaS1L_S1M_EUlS1L_E_NS1_11comp_targetILNS1_3genE8ELNS1_11target_archE1030ELNS1_3gpuE2ELNS1_3repE0EEENS1_30default_config_static_selectorELNS0_4arch9wavefront6targetE1EEEvSZ_, .Lfunc_end1714-_ZN7rocprim17ROCPRIM_400000_NS6detail17trampoline_kernelINS0_13select_configILj256ELj13ELNS0_17block_load_methodE3ELS4_3ELS4_3ELNS0_20block_scan_algorithmE0ELj4294967295EEENS1_25partition_config_selectorILNS1_17partition_subalgoE3EjNS0_10empty_typeEbEEZZNS1_14partition_implILS8_3ELb0ES6_jNS0_17counting_iteratorIjlEEPS9_SE_NS0_5tupleIJPjSE_EEENSF_IJSE_SE_EEES9_SG_JZNS1_25segmented_radix_sort_implINS0_14default_configELb1EPK6__halfPSL_PKlPlN2at6native12_GLOBAL__N_18offset_tEEE10hipError_tPvRmT1_PNSt15iterator_traitsISZ_E10value_typeET2_T3_PNS10_IS15_E10value_typeET4_jRbjT5_S1B_jjP12ihipStream_tbEUljE_EEESW_SX_SY_S15_S19_S1B_T6_T7_T9_mT8_S1D_bDpT10_ENKUlT_T0_E_clISt17integral_constantIbLb0EES1Q_EEDaS1L_S1M_EUlS1L_E_NS1_11comp_targetILNS1_3genE8ELNS1_11target_archE1030ELNS1_3gpuE2ELNS1_3repE0EEENS1_30default_config_static_selectorELNS0_4arch9wavefront6targetE1EEEvSZ_
                                        ; -- End function
	.set _ZN7rocprim17ROCPRIM_400000_NS6detail17trampoline_kernelINS0_13select_configILj256ELj13ELNS0_17block_load_methodE3ELS4_3ELS4_3ELNS0_20block_scan_algorithmE0ELj4294967295EEENS1_25partition_config_selectorILNS1_17partition_subalgoE3EjNS0_10empty_typeEbEEZZNS1_14partition_implILS8_3ELb0ES6_jNS0_17counting_iteratorIjlEEPS9_SE_NS0_5tupleIJPjSE_EEENSF_IJSE_SE_EEES9_SG_JZNS1_25segmented_radix_sort_implINS0_14default_configELb1EPK6__halfPSL_PKlPlN2at6native12_GLOBAL__N_18offset_tEEE10hipError_tPvRmT1_PNSt15iterator_traitsISZ_E10value_typeET2_T3_PNS10_IS15_E10value_typeET4_jRbjT5_S1B_jjP12ihipStream_tbEUljE_EEESW_SX_SY_S15_S19_S1B_T6_T7_T9_mT8_S1D_bDpT10_ENKUlT_T0_E_clISt17integral_constantIbLb0EES1Q_EEDaS1L_S1M_EUlS1L_E_NS1_11comp_targetILNS1_3genE8ELNS1_11target_archE1030ELNS1_3gpuE2ELNS1_3repE0EEENS1_30default_config_static_selectorELNS0_4arch9wavefront6targetE1EEEvSZ_.num_vgpr, 0
	.set _ZN7rocprim17ROCPRIM_400000_NS6detail17trampoline_kernelINS0_13select_configILj256ELj13ELNS0_17block_load_methodE3ELS4_3ELS4_3ELNS0_20block_scan_algorithmE0ELj4294967295EEENS1_25partition_config_selectorILNS1_17partition_subalgoE3EjNS0_10empty_typeEbEEZZNS1_14partition_implILS8_3ELb0ES6_jNS0_17counting_iteratorIjlEEPS9_SE_NS0_5tupleIJPjSE_EEENSF_IJSE_SE_EEES9_SG_JZNS1_25segmented_radix_sort_implINS0_14default_configELb1EPK6__halfPSL_PKlPlN2at6native12_GLOBAL__N_18offset_tEEE10hipError_tPvRmT1_PNSt15iterator_traitsISZ_E10value_typeET2_T3_PNS10_IS15_E10value_typeET4_jRbjT5_S1B_jjP12ihipStream_tbEUljE_EEESW_SX_SY_S15_S19_S1B_T6_T7_T9_mT8_S1D_bDpT10_ENKUlT_T0_E_clISt17integral_constantIbLb0EES1Q_EEDaS1L_S1M_EUlS1L_E_NS1_11comp_targetILNS1_3genE8ELNS1_11target_archE1030ELNS1_3gpuE2ELNS1_3repE0EEENS1_30default_config_static_selectorELNS0_4arch9wavefront6targetE1EEEvSZ_.num_agpr, 0
	.set _ZN7rocprim17ROCPRIM_400000_NS6detail17trampoline_kernelINS0_13select_configILj256ELj13ELNS0_17block_load_methodE3ELS4_3ELS4_3ELNS0_20block_scan_algorithmE0ELj4294967295EEENS1_25partition_config_selectorILNS1_17partition_subalgoE3EjNS0_10empty_typeEbEEZZNS1_14partition_implILS8_3ELb0ES6_jNS0_17counting_iteratorIjlEEPS9_SE_NS0_5tupleIJPjSE_EEENSF_IJSE_SE_EEES9_SG_JZNS1_25segmented_radix_sort_implINS0_14default_configELb1EPK6__halfPSL_PKlPlN2at6native12_GLOBAL__N_18offset_tEEE10hipError_tPvRmT1_PNSt15iterator_traitsISZ_E10value_typeET2_T3_PNS10_IS15_E10value_typeET4_jRbjT5_S1B_jjP12ihipStream_tbEUljE_EEESW_SX_SY_S15_S19_S1B_T6_T7_T9_mT8_S1D_bDpT10_ENKUlT_T0_E_clISt17integral_constantIbLb0EES1Q_EEDaS1L_S1M_EUlS1L_E_NS1_11comp_targetILNS1_3genE8ELNS1_11target_archE1030ELNS1_3gpuE2ELNS1_3repE0EEENS1_30default_config_static_selectorELNS0_4arch9wavefront6targetE1EEEvSZ_.numbered_sgpr, 0
	.set _ZN7rocprim17ROCPRIM_400000_NS6detail17trampoline_kernelINS0_13select_configILj256ELj13ELNS0_17block_load_methodE3ELS4_3ELS4_3ELNS0_20block_scan_algorithmE0ELj4294967295EEENS1_25partition_config_selectorILNS1_17partition_subalgoE3EjNS0_10empty_typeEbEEZZNS1_14partition_implILS8_3ELb0ES6_jNS0_17counting_iteratorIjlEEPS9_SE_NS0_5tupleIJPjSE_EEENSF_IJSE_SE_EEES9_SG_JZNS1_25segmented_radix_sort_implINS0_14default_configELb1EPK6__halfPSL_PKlPlN2at6native12_GLOBAL__N_18offset_tEEE10hipError_tPvRmT1_PNSt15iterator_traitsISZ_E10value_typeET2_T3_PNS10_IS15_E10value_typeET4_jRbjT5_S1B_jjP12ihipStream_tbEUljE_EEESW_SX_SY_S15_S19_S1B_T6_T7_T9_mT8_S1D_bDpT10_ENKUlT_T0_E_clISt17integral_constantIbLb0EES1Q_EEDaS1L_S1M_EUlS1L_E_NS1_11comp_targetILNS1_3genE8ELNS1_11target_archE1030ELNS1_3gpuE2ELNS1_3repE0EEENS1_30default_config_static_selectorELNS0_4arch9wavefront6targetE1EEEvSZ_.num_named_barrier, 0
	.set _ZN7rocprim17ROCPRIM_400000_NS6detail17trampoline_kernelINS0_13select_configILj256ELj13ELNS0_17block_load_methodE3ELS4_3ELS4_3ELNS0_20block_scan_algorithmE0ELj4294967295EEENS1_25partition_config_selectorILNS1_17partition_subalgoE3EjNS0_10empty_typeEbEEZZNS1_14partition_implILS8_3ELb0ES6_jNS0_17counting_iteratorIjlEEPS9_SE_NS0_5tupleIJPjSE_EEENSF_IJSE_SE_EEES9_SG_JZNS1_25segmented_radix_sort_implINS0_14default_configELb1EPK6__halfPSL_PKlPlN2at6native12_GLOBAL__N_18offset_tEEE10hipError_tPvRmT1_PNSt15iterator_traitsISZ_E10value_typeET2_T3_PNS10_IS15_E10value_typeET4_jRbjT5_S1B_jjP12ihipStream_tbEUljE_EEESW_SX_SY_S15_S19_S1B_T6_T7_T9_mT8_S1D_bDpT10_ENKUlT_T0_E_clISt17integral_constantIbLb0EES1Q_EEDaS1L_S1M_EUlS1L_E_NS1_11comp_targetILNS1_3genE8ELNS1_11target_archE1030ELNS1_3gpuE2ELNS1_3repE0EEENS1_30default_config_static_selectorELNS0_4arch9wavefront6targetE1EEEvSZ_.private_seg_size, 0
	.set _ZN7rocprim17ROCPRIM_400000_NS6detail17trampoline_kernelINS0_13select_configILj256ELj13ELNS0_17block_load_methodE3ELS4_3ELS4_3ELNS0_20block_scan_algorithmE0ELj4294967295EEENS1_25partition_config_selectorILNS1_17partition_subalgoE3EjNS0_10empty_typeEbEEZZNS1_14partition_implILS8_3ELb0ES6_jNS0_17counting_iteratorIjlEEPS9_SE_NS0_5tupleIJPjSE_EEENSF_IJSE_SE_EEES9_SG_JZNS1_25segmented_radix_sort_implINS0_14default_configELb1EPK6__halfPSL_PKlPlN2at6native12_GLOBAL__N_18offset_tEEE10hipError_tPvRmT1_PNSt15iterator_traitsISZ_E10value_typeET2_T3_PNS10_IS15_E10value_typeET4_jRbjT5_S1B_jjP12ihipStream_tbEUljE_EEESW_SX_SY_S15_S19_S1B_T6_T7_T9_mT8_S1D_bDpT10_ENKUlT_T0_E_clISt17integral_constantIbLb0EES1Q_EEDaS1L_S1M_EUlS1L_E_NS1_11comp_targetILNS1_3genE8ELNS1_11target_archE1030ELNS1_3gpuE2ELNS1_3repE0EEENS1_30default_config_static_selectorELNS0_4arch9wavefront6targetE1EEEvSZ_.uses_vcc, 0
	.set _ZN7rocprim17ROCPRIM_400000_NS6detail17trampoline_kernelINS0_13select_configILj256ELj13ELNS0_17block_load_methodE3ELS4_3ELS4_3ELNS0_20block_scan_algorithmE0ELj4294967295EEENS1_25partition_config_selectorILNS1_17partition_subalgoE3EjNS0_10empty_typeEbEEZZNS1_14partition_implILS8_3ELb0ES6_jNS0_17counting_iteratorIjlEEPS9_SE_NS0_5tupleIJPjSE_EEENSF_IJSE_SE_EEES9_SG_JZNS1_25segmented_radix_sort_implINS0_14default_configELb1EPK6__halfPSL_PKlPlN2at6native12_GLOBAL__N_18offset_tEEE10hipError_tPvRmT1_PNSt15iterator_traitsISZ_E10value_typeET2_T3_PNS10_IS15_E10value_typeET4_jRbjT5_S1B_jjP12ihipStream_tbEUljE_EEESW_SX_SY_S15_S19_S1B_T6_T7_T9_mT8_S1D_bDpT10_ENKUlT_T0_E_clISt17integral_constantIbLb0EES1Q_EEDaS1L_S1M_EUlS1L_E_NS1_11comp_targetILNS1_3genE8ELNS1_11target_archE1030ELNS1_3gpuE2ELNS1_3repE0EEENS1_30default_config_static_selectorELNS0_4arch9wavefront6targetE1EEEvSZ_.uses_flat_scratch, 0
	.set _ZN7rocprim17ROCPRIM_400000_NS6detail17trampoline_kernelINS0_13select_configILj256ELj13ELNS0_17block_load_methodE3ELS4_3ELS4_3ELNS0_20block_scan_algorithmE0ELj4294967295EEENS1_25partition_config_selectorILNS1_17partition_subalgoE3EjNS0_10empty_typeEbEEZZNS1_14partition_implILS8_3ELb0ES6_jNS0_17counting_iteratorIjlEEPS9_SE_NS0_5tupleIJPjSE_EEENSF_IJSE_SE_EEES9_SG_JZNS1_25segmented_radix_sort_implINS0_14default_configELb1EPK6__halfPSL_PKlPlN2at6native12_GLOBAL__N_18offset_tEEE10hipError_tPvRmT1_PNSt15iterator_traitsISZ_E10value_typeET2_T3_PNS10_IS15_E10value_typeET4_jRbjT5_S1B_jjP12ihipStream_tbEUljE_EEESW_SX_SY_S15_S19_S1B_T6_T7_T9_mT8_S1D_bDpT10_ENKUlT_T0_E_clISt17integral_constantIbLb0EES1Q_EEDaS1L_S1M_EUlS1L_E_NS1_11comp_targetILNS1_3genE8ELNS1_11target_archE1030ELNS1_3gpuE2ELNS1_3repE0EEENS1_30default_config_static_selectorELNS0_4arch9wavefront6targetE1EEEvSZ_.has_dyn_sized_stack, 0
	.set _ZN7rocprim17ROCPRIM_400000_NS6detail17trampoline_kernelINS0_13select_configILj256ELj13ELNS0_17block_load_methodE3ELS4_3ELS4_3ELNS0_20block_scan_algorithmE0ELj4294967295EEENS1_25partition_config_selectorILNS1_17partition_subalgoE3EjNS0_10empty_typeEbEEZZNS1_14partition_implILS8_3ELb0ES6_jNS0_17counting_iteratorIjlEEPS9_SE_NS0_5tupleIJPjSE_EEENSF_IJSE_SE_EEES9_SG_JZNS1_25segmented_radix_sort_implINS0_14default_configELb1EPK6__halfPSL_PKlPlN2at6native12_GLOBAL__N_18offset_tEEE10hipError_tPvRmT1_PNSt15iterator_traitsISZ_E10value_typeET2_T3_PNS10_IS15_E10value_typeET4_jRbjT5_S1B_jjP12ihipStream_tbEUljE_EEESW_SX_SY_S15_S19_S1B_T6_T7_T9_mT8_S1D_bDpT10_ENKUlT_T0_E_clISt17integral_constantIbLb0EES1Q_EEDaS1L_S1M_EUlS1L_E_NS1_11comp_targetILNS1_3genE8ELNS1_11target_archE1030ELNS1_3gpuE2ELNS1_3repE0EEENS1_30default_config_static_selectorELNS0_4arch9wavefront6targetE1EEEvSZ_.has_recursion, 0
	.set _ZN7rocprim17ROCPRIM_400000_NS6detail17trampoline_kernelINS0_13select_configILj256ELj13ELNS0_17block_load_methodE3ELS4_3ELS4_3ELNS0_20block_scan_algorithmE0ELj4294967295EEENS1_25partition_config_selectorILNS1_17partition_subalgoE3EjNS0_10empty_typeEbEEZZNS1_14partition_implILS8_3ELb0ES6_jNS0_17counting_iteratorIjlEEPS9_SE_NS0_5tupleIJPjSE_EEENSF_IJSE_SE_EEES9_SG_JZNS1_25segmented_radix_sort_implINS0_14default_configELb1EPK6__halfPSL_PKlPlN2at6native12_GLOBAL__N_18offset_tEEE10hipError_tPvRmT1_PNSt15iterator_traitsISZ_E10value_typeET2_T3_PNS10_IS15_E10value_typeET4_jRbjT5_S1B_jjP12ihipStream_tbEUljE_EEESW_SX_SY_S15_S19_S1B_T6_T7_T9_mT8_S1D_bDpT10_ENKUlT_T0_E_clISt17integral_constantIbLb0EES1Q_EEDaS1L_S1M_EUlS1L_E_NS1_11comp_targetILNS1_3genE8ELNS1_11target_archE1030ELNS1_3gpuE2ELNS1_3repE0EEENS1_30default_config_static_selectorELNS0_4arch9wavefront6targetE1EEEvSZ_.has_indirect_call, 0
	.section	.AMDGPU.csdata,"",@progbits
; Kernel info:
; codeLenInByte = 0
; TotalNumSgprs: 4
; NumVgprs: 0
; ScratchSize: 0
; MemoryBound: 0
; FloatMode: 240
; IeeeMode: 1
; LDSByteSize: 0 bytes/workgroup (compile time only)
; SGPRBlocks: 0
; VGPRBlocks: 0
; NumSGPRsForWavesPerEU: 4
; NumVGPRsForWavesPerEU: 1
; Occupancy: 10
; WaveLimiterHint : 0
; COMPUTE_PGM_RSRC2:SCRATCH_EN: 0
; COMPUTE_PGM_RSRC2:USER_SGPR: 6
; COMPUTE_PGM_RSRC2:TRAP_HANDLER: 0
; COMPUTE_PGM_RSRC2:TGID_X_EN: 1
; COMPUTE_PGM_RSRC2:TGID_Y_EN: 0
; COMPUTE_PGM_RSRC2:TGID_Z_EN: 0
; COMPUTE_PGM_RSRC2:TIDIG_COMP_CNT: 0
	.section	.text._ZN7rocprim17ROCPRIM_400000_NS6detail17trampoline_kernelINS0_13select_configILj256ELj13ELNS0_17block_load_methodE3ELS4_3ELS4_3ELNS0_20block_scan_algorithmE0ELj4294967295EEENS1_25partition_config_selectorILNS1_17partition_subalgoE3EjNS0_10empty_typeEbEEZZNS1_14partition_implILS8_3ELb0ES6_jNS0_17counting_iteratorIjlEEPS9_SE_NS0_5tupleIJPjSE_EEENSF_IJSE_SE_EEES9_SG_JZNS1_25segmented_radix_sort_implINS0_14default_configELb1EPK6__halfPSL_PKlPlN2at6native12_GLOBAL__N_18offset_tEEE10hipError_tPvRmT1_PNSt15iterator_traitsISZ_E10value_typeET2_T3_PNS10_IS15_E10value_typeET4_jRbjT5_S1B_jjP12ihipStream_tbEUljE_EEESW_SX_SY_S15_S19_S1B_T6_T7_T9_mT8_S1D_bDpT10_ENKUlT_T0_E_clISt17integral_constantIbLb1EES1Q_EEDaS1L_S1M_EUlS1L_E_NS1_11comp_targetILNS1_3genE0ELNS1_11target_archE4294967295ELNS1_3gpuE0ELNS1_3repE0EEENS1_30default_config_static_selectorELNS0_4arch9wavefront6targetE1EEEvSZ_,"axG",@progbits,_ZN7rocprim17ROCPRIM_400000_NS6detail17trampoline_kernelINS0_13select_configILj256ELj13ELNS0_17block_load_methodE3ELS4_3ELS4_3ELNS0_20block_scan_algorithmE0ELj4294967295EEENS1_25partition_config_selectorILNS1_17partition_subalgoE3EjNS0_10empty_typeEbEEZZNS1_14partition_implILS8_3ELb0ES6_jNS0_17counting_iteratorIjlEEPS9_SE_NS0_5tupleIJPjSE_EEENSF_IJSE_SE_EEES9_SG_JZNS1_25segmented_radix_sort_implINS0_14default_configELb1EPK6__halfPSL_PKlPlN2at6native12_GLOBAL__N_18offset_tEEE10hipError_tPvRmT1_PNSt15iterator_traitsISZ_E10value_typeET2_T3_PNS10_IS15_E10value_typeET4_jRbjT5_S1B_jjP12ihipStream_tbEUljE_EEESW_SX_SY_S15_S19_S1B_T6_T7_T9_mT8_S1D_bDpT10_ENKUlT_T0_E_clISt17integral_constantIbLb1EES1Q_EEDaS1L_S1M_EUlS1L_E_NS1_11comp_targetILNS1_3genE0ELNS1_11target_archE4294967295ELNS1_3gpuE0ELNS1_3repE0EEENS1_30default_config_static_selectorELNS0_4arch9wavefront6targetE1EEEvSZ_,comdat
	.globl	_ZN7rocprim17ROCPRIM_400000_NS6detail17trampoline_kernelINS0_13select_configILj256ELj13ELNS0_17block_load_methodE3ELS4_3ELS4_3ELNS0_20block_scan_algorithmE0ELj4294967295EEENS1_25partition_config_selectorILNS1_17partition_subalgoE3EjNS0_10empty_typeEbEEZZNS1_14partition_implILS8_3ELb0ES6_jNS0_17counting_iteratorIjlEEPS9_SE_NS0_5tupleIJPjSE_EEENSF_IJSE_SE_EEES9_SG_JZNS1_25segmented_radix_sort_implINS0_14default_configELb1EPK6__halfPSL_PKlPlN2at6native12_GLOBAL__N_18offset_tEEE10hipError_tPvRmT1_PNSt15iterator_traitsISZ_E10value_typeET2_T3_PNS10_IS15_E10value_typeET4_jRbjT5_S1B_jjP12ihipStream_tbEUljE_EEESW_SX_SY_S15_S19_S1B_T6_T7_T9_mT8_S1D_bDpT10_ENKUlT_T0_E_clISt17integral_constantIbLb1EES1Q_EEDaS1L_S1M_EUlS1L_E_NS1_11comp_targetILNS1_3genE0ELNS1_11target_archE4294967295ELNS1_3gpuE0ELNS1_3repE0EEENS1_30default_config_static_selectorELNS0_4arch9wavefront6targetE1EEEvSZ_ ; -- Begin function _ZN7rocprim17ROCPRIM_400000_NS6detail17trampoline_kernelINS0_13select_configILj256ELj13ELNS0_17block_load_methodE3ELS4_3ELS4_3ELNS0_20block_scan_algorithmE0ELj4294967295EEENS1_25partition_config_selectorILNS1_17partition_subalgoE3EjNS0_10empty_typeEbEEZZNS1_14partition_implILS8_3ELb0ES6_jNS0_17counting_iteratorIjlEEPS9_SE_NS0_5tupleIJPjSE_EEENSF_IJSE_SE_EEES9_SG_JZNS1_25segmented_radix_sort_implINS0_14default_configELb1EPK6__halfPSL_PKlPlN2at6native12_GLOBAL__N_18offset_tEEE10hipError_tPvRmT1_PNSt15iterator_traitsISZ_E10value_typeET2_T3_PNS10_IS15_E10value_typeET4_jRbjT5_S1B_jjP12ihipStream_tbEUljE_EEESW_SX_SY_S15_S19_S1B_T6_T7_T9_mT8_S1D_bDpT10_ENKUlT_T0_E_clISt17integral_constantIbLb1EES1Q_EEDaS1L_S1M_EUlS1L_E_NS1_11comp_targetILNS1_3genE0ELNS1_11target_archE4294967295ELNS1_3gpuE0ELNS1_3repE0EEENS1_30default_config_static_selectorELNS0_4arch9wavefront6targetE1EEEvSZ_
	.p2align	8
	.type	_ZN7rocprim17ROCPRIM_400000_NS6detail17trampoline_kernelINS0_13select_configILj256ELj13ELNS0_17block_load_methodE3ELS4_3ELS4_3ELNS0_20block_scan_algorithmE0ELj4294967295EEENS1_25partition_config_selectorILNS1_17partition_subalgoE3EjNS0_10empty_typeEbEEZZNS1_14partition_implILS8_3ELb0ES6_jNS0_17counting_iteratorIjlEEPS9_SE_NS0_5tupleIJPjSE_EEENSF_IJSE_SE_EEES9_SG_JZNS1_25segmented_radix_sort_implINS0_14default_configELb1EPK6__halfPSL_PKlPlN2at6native12_GLOBAL__N_18offset_tEEE10hipError_tPvRmT1_PNSt15iterator_traitsISZ_E10value_typeET2_T3_PNS10_IS15_E10value_typeET4_jRbjT5_S1B_jjP12ihipStream_tbEUljE_EEESW_SX_SY_S15_S19_S1B_T6_T7_T9_mT8_S1D_bDpT10_ENKUlT_T0_E_clISt17integral_constantIbLb1EES1Q_EEDaS1L_S1M_EUlS1L_E_NS1_11comp_targetILNS1_3genE0ELNS1_11target_archE4294967295ELNS1_3gpuE0ELNS1_3repE0EEENS1_30default_config_static_selectorELNS0_4arch9wavefront6targetE1EEEvSZ_,@function
_ZN7rocprim17ROCPRIM_400000_NS6detail17trampoline_kernelINS0_13select_configILj256ELj13ELNS0_17block_load_methodE3ELS4_3ELS4_3ELNS0_20block_scan_algorithmE0ELj4294967295EEENS1_25partition_config_selectorILNS1_17partition_subalgoE3EjNS0_10empty_typeEbEEZZNS1_14partition_implILS8_3ELb0ES6_jNS0_17counting_iteratorIjlEEPS9_SE_NS0_5tupleIJPjSE_EEENSF_IJSE_SE_EEES9_SG_JZNS1_25segmented_radix_sort_implINS0_14default_configELb1EPK6__halfPSL_PKlPlN2at6native12_GLOBAL__N_18offset_tEEE10hipError_tPvRmT1_PNSt15iterator_traitsISZ_E10value_typeET2_T3_PNS10_IS15_E10value_typeET4_jRbjT5_S1B_jjP12ihipStream_tbEUljE_EEESW_SX_SY_S15_S19_S1B_T6_T7_T9_mT8_S1D_bDpT10_ENKUlT_T0_E_clISt17integral_constantIbLb1EES1Q_EEDaS1L_S1M_EUlS1L_E_NS1_11comp_targetILNS1_3genE0ELNS1_11target_archE4294967295ELNS1_3gpuE0ELNS1_3repE0EEENS1_30default_config_static_selectorELNS0_4arch9wavefront6targetE1EEEvSZ_: ; @_ZN7rocprim17ROCPRIM_400000_NS6detail17trampoline_kernelINS0_13select_configILj256ELj13ELNS0_17block_load_methodE3ELS4_3ELS4_3ELNS0_20block_scan_algorithmE0ELj4294967295EEENS1_25partition_config_selectorILNS1_17partition_subalgoE3EjNS0_10empty_typeEbEEZZNS1_14partition_implILS8_3ELb0ES6_jNS0_17counting_iteratorIjlEEPS9_SE_NS0_5tupleIJPjSE_EEENSF_IJSE_SE_EEES9_SG_JZNS1_25segmented_radix_sort_implINS0_14default_configELb1EPK6__halfPSL_PKlPlN2at6native12_GLOBAL__N_18offset_tEEE10hipError_tPvRmT1_PNSt15iterator_traitsISZ_E10value_typeET2_T3_PNS10_IS15_E10value_typeET4_jRbjT5_S1B_jjP12ihipStream_tbEUljE_EEESW_SX_SY_S15_S19_S1B_T6_T7_T9_mT8_S1D_bDpT10_ENKUlT_T0_E_clISt17integral_constantIbLb1EES1Q_EEDaS1L_S1M_EUlS1L_E_NS1_11comp_targetILNS1_3genE0ELNS1_11target_archE4294967295ELNS1_3gpuE0ELNS1_3repE0EEENS1_30default_config_static_selectorELNS0_4arch9wavefront6targetE1EEEvSZ_
; %bb.0:
	.section	.rodata,"a",@progbits
	.p2align	6, 0x0
	.amdhsa_kernel _ZN7rocprim17ROCPRIM_400000_NS6detail17trampoline_kernelINS0_13select_configILj256ELj13ELNS0_17block_load_methodE3ELS4_3ELS4_3ELNS0_20block_scan_algorithmE0ELj4294967295EEENS1_25partition_config_selectorILNS1_17partition_subalgoE3EjNS0_10empty_typeEbEEZZNS1_14partition_implILS8_3ELb0ES6_jNS0_17counting_iteratorIjlEEPS9_SE_NS0_5tupleIJPjSE_EEENSF_IJSE_SE_EEES9_SG_JZNS1_25segmented_radix_sort_implINS0_14default_configELb1EPK6__halfPSL_PKlPlN2at6native12_GLOBAL__N_18offset_tEEE10hipError_tPvRmT1_PNSt15iterator_traitsISZ_E10value_typeET2_T3_PNS10_IS15_E10value_typeET4_jRbjT5_S1B_jjP12ihipStream_tbEUljE_EEESW_SX_SY_S15_S19_S1B_T6_T7_T9_mT8_S1D_bDpT10_ENKUlT_T0_E_clISt17integral_constantIbLb1EES1Q_EEDaS1L_S1M_EUlS1L_E_NS1_11comp_targetILNS1_3genE0ELNS1_11target_archE4294967295ELNS1_3gpuE0ELNS1_3repE0EEENS1_30default_config_static_selectorELNS0_4arch9wavefront6targetE1EEEvSZ_
		.amdhsa_group_segment_fixed_size 0
		.amdhsa_private_segment_fixed_size 0
		.amdhsa_kernarg_size 152
		.amdhsa_user_sgpr_count 6
		.amdhsa_user_sgpr_private_segment_buffer 1
		.amdhsa_user_sgpr_dispatch_ptr 0
		.amdhsa_user_sgpr_queue_ptr 0
		.amdhsa_user_sgpr_kernarg_segment_ptr 1
		.amdhsa_user_sgpr_dispatch_id 0
		.amdhsa_user_sgpr_flat_scratch_init 0
		.amdhsa_user_sgpr_private_segment_size 0
		.amdhsa_uses_dynamic_stack 0
		.amdhsa_system_sgpr_private_segment_wavefront_offset 0
		.amdhsa_system_sgpr_workgroup_id_x 1
		.amdhsa_system_sgpr_workgroup_id_y 0
		.amdhsa_system_sgpr_workgroup_id_z 0
		.amdhsa_system_sgpr_workgroup_info 0
		.amdhsa_system_vgpr_workitem_id 0
		.amdhsa_next_free_vgpr 1
		.amdhsa_next_free_sgpr 0
		.amdhsa_reserve_vcc 0
		.amdhsa_reserve_flat_scratch 0
		.amdhsa_float_round_mode_32 0
		.amdhsa_float_round_mode_16_64 0
		.amdhsa_float_denorm_mode_32 3
		.amdhsa_float_denorm_mode_16_64 3
		.amdhsa_dx10_clamp 1
		.amdhsa_ieee_mode 1
		.amdhsa_fp16_overflow 0
		.amdhsa_exception_fp_ieee_invalid_op 0
		.amdhsa_exception_fp_denorm_src 0
		.amdhsa_exception_fp_ieee_div_zero 0
		.amdhsa_exception_fp_ieee_overflow 0
		.amdhsa_exception_fp_ieee_underflow 0
		.amdhsa_exception_fp_ieee_inexact 0
		.amdhsa_exception_int_div_zero 0
	.end_amdhsa_kernel
	.section	.text._ZN7rocprim17ROCPRIM_400000_NS6detail17trampoline_kernelINS0_13select_configILj256ELj13ELNS0_17block_load_methodE3ELS4_3ELS4_3ELNS0_20block_scan_algorithmE0ELj4294967295EEENS1_25partition_config_selectorILNS1_17partition_subalgoE3EjNS0_10empty_typeEbEEZZNS1_14partition_implILS8_3ELb0ES6_jNS0_17counting_iteratorIjlEEPS9_SE_NS0_5tupleIJPjSE_EEENSF_IJSE_SE_EEES9_SG_JZNS1_25segmented_radix_sort_implINS0_14default_configELb1EPK6__halfPSL_PKlPlN2at6native12_GLOBAL__N_18offset_tEEE10hipError_tPvRmT1_PNSt15iterator_traitsISZ_E10value_typeET2_T3_PNS10_IS15_E10value_typeET4_jRbjT5_S1B_jjP12ihipStream_tbEUljE_EEESW_SX_SY_S15_S19_S1B_T6_T7_T9_mT8_S1D_bDpT10_ENKUlT_T0_E_clISt17integral_constantIbLb1EES1Q_EEDaS1L_S1M_EUlS1L_E_NS1_11comp_targetILNS1_3genE0ELNS1_11target_archE4294967295ELNS1_3gpuE0ELNS1_3repE0EEENS1_30default_config_static_selectorELNS0_4arch9wavefront6targetE1EEEvSZ_,"axG",@progbits,_ZN7rocprim17ROCPRIM_400000_NS6detail17trampoline_kernelINS0_13select_configILj256ELj13ELNS0_17block_load_methodE3ELS4_3ELS4_3ELNS0_20block_scan_algorithmE0ELj4294967295EEENS1_25partition_config_selectorILNS1_17partition_subalgoE3EjNS0_10empty_typeEbEEZZNS1_14partition_implILS8_3ELb0ES6_jNS0_17counting_iteratorIjlEEPS9_SE_NS0_5tupleIJPjSE_EEENSF_IJSE_SE_EEES9_SG_JZNS1_25segmented_radix_sort_implINS0_14default_configELb1EPK6__halfPSL_PKlPlN2at6native12_GLOBAL__N_18offset_tEEE10hipError_tPvRmT1_PNSt15iterator_traitsISZ_E10value_typeET2_T3_PNS10_IS15_E10value_typeET4_jRbjT5_S1B_jjP12ihipStream_tbEUljE_EEESW_SX_SY_S15_S19_S1B_T6_T7_T9_mT8_S1D_bDpT10_ENKUlT_T0_E_clISt17integral_constantIbLb1EES1Q_EEDaS1L_S1M_EUlS1L_E_NS1_11comp_targetILNS1_3genE0ELNS1_11target_archE4294967295ELNS1_3gpuE0ELNS1_3repE0EEENS1_30default_config_static_selectorELNS0_4arch9wavefront6targetE1EEEvSZ_,comdat
.Lfunc_end1715:
	.size	_ZN7rocprim17ROCPRIM_400000_NS6detail17trampoline_kernelINS0_13select_configILj256ELj13ELNS0_17block_load_methodE3ELS4_3ELS4_3ELNS0_20block_scan_algorithmE0ELj4294967295EEENS1_25partition_config_selectorILNS1_17partition_subalgoE3EjNS0_10empty_typeEbEEZZNS1_14partition_implILS8_3ELb0ES6_jNS0_17counting_iteratorIjlEEPS9_SE_NS0_5tupleIJPjSE_EEENSF_IJSE_SE_EEES9_SG_JZNS1_25segmented_radix_sort_implINS0_14default_configELb1EPK6__halfPSL_PKlPlN2at6native12_GLOBAL__N_18offset_tEEE10hipError_tPvRmT1_PNSt15iterator_traitsISZ_E10value_typeET2_T3_PNS10_IS15_E10value_typeET4_jRbjT5_S1B_jjP12ihipStream_tbEUljE_EEESW_SX_SY_S15_S19_S1B_T6_T7_T9_mT8_S1D_bDpT10_ENKUlT_T0_E_clISt17integral_constantIbLb1EES1Q_EEDaS1L_S1M_EUlS1L_E_NS1_11comp_targetILNS1_3genE0ELNS1_11target_archE4294967295ELNS1_3gpuE0ELNS1_3repE0EEENS1_30default_config_static_selectorELNS0_4arch9wavefront6targetE1EEEvSZ_, .Lfunc_end1715-_ZN7rocprim17ROCPRIM_400000_NS6detail17trampoline_kernelINS0_13select_configILj256ELj13ELNS0_17block_load_methodE3ELS4_3ELS4_3ELNS0_20block_scan_algorithmE0ELj4294967295EEENS1_25partition_config_selectorILNS1_17partition_subalgoE3EjNS0_10empty_typeEbEEZZNS1_14partition_implILS8_3ELb0ES6_jNS0_17counting_iteratorIjlEEPS9_SE_NS0_5tupleIJPjSE_EEENSF_IJSE_SE_EEES9_SG_JZNS1_25segmented_radix_sort_implINS0_14default_configELb1EPK6__halfPSL_PKlPlN2at6native12_GLOBAL__N_18offset_tEEE10hipError_tPvRmT1_PNSt15iterator_traitsISZ_E10value_typeET2_T3_PNS10_IS15_E10value_typeET4_jRbjT5_S1B_jjP12ihipStream_tbEUljE_EEESW_SX_SY_S15_S19_S1B_T6_T7_T9_mT8_S1D_bDpT10_ENKUlT_T0_E_clISt17integral_constantIbLb1EES1Q_EEDaS1L_S1M_EUlS1L_E_NS1_11comp_targetILNS1_3genE0ELNS1_11target_archE4294967295ELNS1_3gpuE0ELNS1_3repE0EEENS1_30default_config_static_selectorELNS0_4arch9wavefront6targetE1EEEvSZ_
                                        ; -- End function
	.set _ZN7rocprim17ROCPRIM_400000_NS6detail17trampoline_kernelINS0_13select_configILj256ELj13ELNS0_17block_load_methodE3ELS4_3ELS4_3ELNS0_20block_scan_algorithmE0ELj4294967295EEENS1_25partition_config_selectorILNS1_17partition_subalgoE3EjNS0_10empty_typeEbEEZZNS1_14partition_implILS8_3ELb0ES6_jNS0_17counting_iteratorIjlEEPS9_SE_NS0_5tupleIJPjSE_EEENSF_IJSE_SE_EEES9_SG_JZNS1_25segmented_radix_sort_implINS0_14default_configELb1EPK6__halfPSL_PKlPlN2at6native12_GLOBAL__N_18offset_tEEE10hipError_tPvRmT1_PNSt15iterator_traitsISZ_E10value_typeET2_T3_PNS10_IS15_E10value_typeET4_jRbjT5_S1B_jjP12ihipStream_tbEUljE_EEESW_SX_SY_S15_S19_S1B_T6_T7_T9_mT8_S1D_bDpT10_ENKUlT_T0_E_clISt17integral_constantIbLb1EES1Q_EEDaS1L_S1M_EUlS1L_E_NS1_11comp_targetILNS1_3genE0ELNS1_11target_archE4294967295ELNS1_3gpuE0ELNS1_3repE0EEENS1_30default_config_static_selectorELNS0_4arch9wavefront6targetE1EEEvSZ_.num_vgpr, 0
	.set _ZN7rocprim17ROCPRIM_400000_NS6detail17trampoline_kernelINS0_13select_configILj256ELj13ELNS0_17block_load_methodE3ELS4_3ELS4_3ELNS0_20block_scan_algorithmE0ELj4294967295EEENS1_25partition_config_selectorILNS1_17partition_subalgoE3EjNS0_10empty_typeEbEEZZNS1_14partition_implILS8_3ELb0ES6_jNS0_17counting_iteratorIjlEEPS9_SE_NS0_5tupleIJPjSE_EEENSF_IJSE_SE_EEES9_SG_JZNS1_25segmented_radix_sort_implINS0_14default_configELb1EPK6__halfPSL_PKlPlN2at6native12_GLOBAL__N_18offset_tEEE10hipError_tPvRmT1_PNSt15iterator_traitsISZ_E10value_typeET2_T3_PNS10_IS15_E10value_typeET4_jRbjT5_S1B_jjP12ihipStream_tbEUljE_EEESW_SX_SY_S15_S19_S1B_T6_T7_T9_mT8_S1D_bDpT10_ENKUlT_T0_E_clISt17integral_constantIbLb1EES1Q_EEDaS1L_S1M_EUlS1L_E_NS1_11comp_targetILNS1_3genE0ELNS1_11target_archE4294967295ELNS1_3gpuE0ELNS1_3repE0EEENS1_30default_config_static_selectorELNS0_4arch9wavefront6targetE1EEEvSZ_.num_agpr, 0
	.set _ZN7rocprim17ROCPRIM_400000_NS6detail17trampoline_kernelINS0_13select_configILj256ELj13ELNS0_17block_load_methodE3ELS4_3ELS4_3ELNS0_20block_scan_algorithmE0ELj4294967295EEENS1_25partition_config_selectorILNS1_17partition_subalgoE3EjNS0_10empty_typeEbEEZZNS1_14partition_implILS8_3ELb0ES6_jNS0_17counting_iteratorIjlEEPS9_SE_NS0_5tupleIJPjSE_EEENSF_IJSE_SE_EEES9_SG_JZNS1_25segmented_radix_sort_implINS0_14default_configELb1EPK6__halfPSL_PKlPlN2at6native12_GLOBAL__N_18offset_tEEE10hipError_tPvRmT1_PNSt15iterator_traitsISZ_E10value_typeET2_T3_PNS10_IS15_E10value_typeET4_jRbjT5_S1B_jjP12ihipStream_tbEUljE_EEESW_SX_SY_S15_S19_S1B_T6_T7_T9_mT8_S1D_bDpT10_ENKUlT_T0_E_clISt17integral_constantIbLb1EES1Q_EEDaS1L_S1M_EUlS1L_E_NS1_11comp_targetILNS1_3genE0ELNS1_11target_archE4294967295ELNS1_3gpuE0ELNS1_3repE0EEENS1_30default_config_static_selectorELNS0_4arch9wavefront6targetE1EEEvSZ_.numbered_sgpr, 0
	.set _ZN7rocprim17ROCPRIM_400000_NS6detail17trampoline_kernelINS0_13select_configILj256ELj13ELNS0_17block_load_methodE3ELS4_3ELS4_3ELNS0_20block_scan_algorithmE0ELj4294967295EEENS1_25partition_config_selectorILNS1_17partition_subalgoE3EjNS0_10empty_typeEbEEZZNS1_14partition_implILS8_3ELb0ES6_jNS0_17counting_iteratorIjlEEPS9_SE_NS0_5tupleIJPjSE_EEENSF_IJSE_SE_EEES9_SG_JZNS1_25segmented_radix_sort_implINS0_14default_configELb1EPK6__halfPSL_PKlPlN2at6native12_GLOBAL__N_18offset_tEEE10hipError_tPvRmT1_PNSt15iterator_traitsISZ_E10value_typeET2_T3_PNS10_IS15_E10value_typeET4_jRbjT5_S1B_jjP12ihipStream_tbEUljE_EEESW_SX_SY_S15_S19_S1B_T6_T7_T9_mT8_S1D_bDpT10_ENKUlT_T0_E_clISt17integral_constantIbLb1EES1Q_EEDaS1L_S1M_EUlS1L_E_NS1_11comp_targetILNS1_3genE0ELNS1_11target_archE4294967295ELNS1_3gpuE0ELNS1_3repE0EEENS1_30default_config_static_selectorELNS0_4arch9wavefront6targetE1EEEvSZ_.num_named_barrier, 0
	.set _ZN7rocprim17ROCPRIM_400000_NS6detail17trampoline_kernelINS0_13select_configILj256ELj13ELNS0_17block_load_methodE3ELS4_3ELS4_3ELNS0_20block_scan_algorithmE0ELj4294967295EEENS1_25partition_config_selectorILNS1_17partition_subalgoE3EjNS0_10empty_typeEbEEZZNS1_14partition_implILS8_3ELb0ES6_jNS0_17counting_iteratorIjlEEPS9_SE_NS0_5tupleIJPjSE_EEENSF_IJSE_SE_EEES9_SG_JZNS1_25segmented_radix_sort_implINS0_14default_configELb1EPK6__halfPSL_PKlPlN2at6native12_GLOBAL__N_18offset_tEEE10hipError_tPvRmT1_PNSt15iterator_traitsISZ_E10value_typeET2_T3_PNS10_IS15_E10value_typeET4_jRbjT5_S1B_jjP12ihipStream_tbEUljE_EEESW_SX_SY_S15_S19_S1B_T6_T7_T9_mT8_S1D_bDpT10_ENKUlT_T0_E_clISt17integral_constantIbLb1EES1Q_EEDaS1L_S1M_EUlS1L_E_NS1_11comp_targetILNS1_3genE0ELNS1_11target_archE4294967295ELNS1_3gpuE0ELNS1_3repE0EEENS1_30default_config_static_selectorELNS0_4arch9wavefront6targetE1EEEvSZ_.private_seg_size, 0
	.set _ZN7rocprim17ROCPRIM_400000_NS6detail17trampoline_kernelINS0_13select_configILj256ELj13ELNS0_17block_load_methodE3ELS4_3ELS4_3ELNS0_20block_scan_algorithmE0ELj4294967295EEENS1_25partition_config_selectorILNS1_17partition_subalgoE3EjNS0_10empty_typeEbEEZZNS1_14partition_implILS8_3ELb0ES6_jNS0_17counting_iteratorIjlEEPS9_SE_NS0_5tupleIJPjSE_EEENSF_IJSE_SE_EEES9_SG_JZNS1_25segmented_radix_sort_implINS0_14default_configELb1EPK6__halfPSL_PKlPlN2at6native12_GLOBAL__N_18offset_tEEE10hipError_tPvRmT1_PNSt15iterator_traitsISZ_E10value_typeET2_T3_PNS10_IS15_E10value_typeET4_jRbjT5_S1B_jjP12ihipStream_tbEUljE_EEESW_SX_SY_S15_S19_S1B_T6_T7_T9_mT8_S1D_bDpT10_ENKUlT_T0_E_clISt17integral_constantIbLb1EES1Q_EEDaS1L_S1M_EUlS1L_E_NS1_11comp_targetILNS1_3genE0ELNS1_11target_archE4294967295ELNS1_3gpuE0ELNS1_3repE0EEENS1_30default_config_static_selectorELNS0_4arch9wavefront6targetE1EEEvSZ_.uses_vcc, 0
	.set _ZN7rocprim17ROCPRIM_400000_NS6detail17trampoline_kernelINS0_13select_configILj256ELj13ELNS0_17block_load_methodE3ELS4_3ELS4_3ELNS0_20block_scan_algorithmE0ELj4294967295EEENS1_25partition_config_selectorILNS1_17partition_subalgoE3EjNS0_10empty_typeEbEEZZNS1_14partition_implILS8_3ELb0ES6_jNS0_17counting_iteratorIjlEEPS9_SE_NS0_5tupleIJPjSE_EEENSF_IJSE_SE_EEES9_SG_JZNS1_25segmented_radix_sort_implINS0_14default_configELb1EPK6__halfPSL_PKlPlN2at6native12_GLOBAL__N_18offset_tEEE10hipError_tPvRmT1_PNSt15iterator_traitsISZ_E10value_typeET2_T3_PNS10_IS15_E10value_typeET4_jRbjT5_S1B_jjP12ihipStream_tbEUljE_EEESW_SX_SY_S15_S19_S1B_T6_T7_T9_mT8_S1D_bDpT10_ENKUlT_T0_E_clISt17integral_constantIbLb1EES1Q_EEDaS1L_S1M_EUlS1L_E_NS1_11comp_targetILNS1_3genE0ELNS1_11target_archE4294967295ELNS1_3gpuE0ELNS1_3repE0EEENS1_30default_config_static_selectorELNS0_4arch9wavefront6targetE1EEEvSZ_.uses_flat_scratch, 0
	.set _ZN7rocprim17ROCPRIM_400000_NS6detail17trampoline_kernelINS0_13select_configILj256ELj13ELNS0_17block_load_methodE3ELS4_3ELS4_3ELNS0_20block_scan_algorithmE0ELj4294967295EEENS1_25partition_config_selectorILNS1_17partition_subalgoE3EjNS0_10empty_typeEbEEZZNS1_14partition_implILS8_3ELb0ES6_jNS0_17counting_iteratorIjlEEPS9_SE_NS0_5tupleIJPjSE_EEENSF_IJSE_SE_EEES9_SG_JZNS1_25segmented_radix_sort_implINS0_14default_configELb1EPK6__halfPSL_PKlPlN2at6native12_GLOBAL__N_18offset_tEEE10hipError_tPvRmT1_PNSt15iterator_traitsISZ_E10value_typeET2_T3_PNS10_IS15_E10value_typeET4_jRbjT5_S1B_jjP12ihipStream_tbEUljE_EEESW_SX_SY_S15_S19_S1B_T6_T7_T9_mT8_S1D_bDpT10_ENKUlT_T0_E_clISt17integral_constantIbLb1EES1Q_EEDaS1L_S1M_EUlS1L_E_NS1_11comp_targetILNS1_3genE0ELNS1_11target_archE4294967295ELNS1_3gpuE0ELNS1_3repE0EEENS1_30default_config_static_selectorELNS0_4arch9wavefront6targetE1EEEvSZ_.has_dyn_sized_stack, 0
	.set _ZN7rocprim17ROCPRIM_400000_NS6detail17trampoline_kernelINS0_13select_configILj256ELj13ELNS0_17block_load_methodE3ELS4_3ELS4_3ELNS0_20block_scan_algorithmE0ELj4294967295EEENS1_25partition_config_selectorILNS1_17partition_subalgoE3EjNS0_10empty_typeEbEEZZNS1_14partition_implILS8_3ELb0ES6_jNS0_17counting_iteratorIjlEEPS9_SE_NS0_5tupleIJPjSE_EEENSF_IJSE_SE_EEES9_SG_JZNS1_25segmented_radix_sort_implINS0_14default_configELb1EPK6__halfPSL_PKlPlN2at6native12_GLOBAL__N_18offset_tEEE10hipError_tPvRmT1_PNSt15iterator_traitsISZ_E10value_typeET2_T3_PNS10_IS15_E10value_typeET4_jRbjT5_S1B_jjP12ihipStream_tbEUljE_EEESW_SX_SY_S15_S19_S1B_T6_T7_T9_mT8_S1D_bDpT10_ENKUlT_T0_E_clISt17integral_constantIbLb1EES1Q_EEDaS1L_S1M_EUlS1L_E_NS1_11comp_targetILNS1_3genE0ELNS1_11target_archE4294967295ELNS1_3gpuE0ELNS1_3repE0EEENS1_30default_config_static_selectorELNS0_4arch9wavefront6targetE1EEEvSZ_.has_recursion, 0
	.set _ZN7rocprim17ROCPRIM_400000_NS6detail17trampoline_kernelINS0_13select_configILj256ELj13ELNS0_17block_load_methodE3ELS4_3ELS4_3ELNS0_20block_scan_algorithmE0ELj4294967295EEENS1_25partition_config_selectorILNS1_17partition_subalgoE3EjNS0_10empty_typeEbEEZZNS1_14partition_implILS8_3ELb0ES6_jNS0_17counting_iteratorIjlEEPS9_SE_NS0_5tupleIJPjSE_EEENSF_IJSE_SE_EEES9_SG_JZNS1_25segmented_radix_sort_implINS0_14default_configELb1EPK6__halfPSL_PKlPlN2at6native12_GLOBAL__N_18offset_tEEE10hipError_tPvRmT1_PNSt15iterator_traitsISZ_E10value_typeET2_T3_PNS10_IS15_E10value_typeET4_jRbjT5_S1B_jjP12ihipStream_tbEUljE_EEESW_SX_SY_S15_S19_S1B_T6_T7_T9_mT8_S1D_bDpT10_ENKUlT_T0_E_clISt17integral_constantIbLb1EES1Q_EEDaS1L_S1M_EUlS1L_E_NS1_11comp_targetILNS1_3genE0ELNS1_11target_archE4294967295ELNS1_3gpuE0ELNS1_3repE0EEENS1_30default_config_static_selectorELNS0_4arch9wavefront6targetE1EEEvSZ_.has_indirect_call, 0
	.section	.AMDGPU.csdata,"",@progbits
; Kernel info:
; codeLenInByte = 0
; TotalNumSgprs: 4
; NumVgprs: 0
; ScratchSize: 0
; MemoryBound: 0
; FloatMode: 240
; IeeeMode: 1
; LDSByteSize: 0 bytes/workgroup (compile time only)
; SGPRBlocks: 0
; VGPRBlocks: 0
; NumSGPRsForWavesPerEU: 4
; NumVGPRsForWavesPerEU: 1
; Occupancy: 10
; WaveLimiterHint : 0
; COMPUTE_PGM_RSRC2:SCRATCH_EN: 0
; COMPUTE_PGM_RSRC2:USER_SGPR: 6
; COMPUTE_PGM_RSRC2:TRAP_HANDLER: 0
; COMPUTE_PGM_RSRC2:TGID_X_EN: 1
; COMPUTE_PGM_RSRC2:TGID_Y_EN: 0
; COMPUTE_PGM_RSRC2:TGID_Z_EN: 0
; COMPUTE_PGM_RSRC2:TIDIG_COMP_CNT: 0
	.section	.text._ZN7rocprim17ROCPRIM_400000_NS6detail17trampoline_kernelINS0_13select_configILj256ELj13ELNS0_17block_load_methodE3ELS4_3ELS4_3ELNS0_20block_scan_algorithmE0ELj4294967295EEENS1_25partition_config_selectorILNS1_17partition_subalgoE3EjNS0_10empty_typeEbEEZZNS1_14partition_implILS8_3ELb0ES6_jNS0_17counting_iteratorIjlEEPS9_SE_NS0_5tupleIJPjSE_EEENSF_IJSE_SE_EEES9_SG_JZNS1_25segmented_radix_sort_implINS0_14default_configELb1EPK6__halfPSL_PKlPlN2at6native12_GLOBAL__N_18offset_tEEE10hipError_tPvRmT1_PNSt15iterator_traitsISZ_E10value_typeET2_T3_PNS10_IS15_E10value_typeET4_jRbjT5_S1B_jjP12ihipStream_tbEUljE_EEESW_SX_SY_S15_S19_S1B_T6_T7_T9_mT8_S1D_bDpT10_ENKUlT_T0_E_clISt17integral_constantIbLb1EES1Q_EEDaS1L_S1M_EUlS1L_E_NS1_11comp_targetILNS1_3genE5ELNS1_11target_archE942ELNS1_3gpuE9ELNS1_3repE0EEENS1_30default_config_static_selectorELNS0_4arch9wavefront6targetE1EEEvSZ_,"axG",@progbits,_ZN7rocprim17ROCPRIM_400000_NS6detail17trampoline_kernelINS0_13select_configILj256ELj13ELNS0_17block_load_methodE3ELS4_3ELS4_3ELNS0_20block_scan_algorithmE0ELj4294967295EEENS1_25partition_config_selectorILNS1_17partition_subalgoE3EjNS0_10empty_typeEbEEZZNS1_14partition_implILS8_3ELb0ES6_jNS0_17counting_iteratorIjlEEPS9_SE_NS0_5tupleIJPjSE_EEENSF_IJSE_SE_EEES9_SG_JZNS1_25segmented_radix_sort_implINS0_14default_configELb1EPK6__halfPSL_PKlPlN2at6native12_GLOBAL__N_18offset_tEEE10hipError_tPvRmT1_PNSt15iterator_traitsISZ_E10value_typeET2_T3_PNS10_IS15_E10value_typeET4_jRbjT5_S1B_jjP12ihipStream_tbEUljE_EEESW_SX_SY_S15_S19_S1B_T6_T7_T9_mT8_S1D_bDpT10_ENKUlT_T0_E_clISt17integral_constantIbLb1EES1Q_EEDaS1L_S1M_EUlS1L_E_NS1_11comp_targetILNS1_3genE5ELNS1_11target_archE942ELNS1_3gpuE9ELNS1_3repE0EEENS1_30default_config_static_selectorELNS0_4arch9wavefront6targetE1EEEvSZ_,comdat
	.globl	_ZN7rocprim17ROCPRIM_400000_NS6detail17trampoline_kernelINS0_13select_configILj256ELj13ELNS0_17block_load_methodE3ELS4_3ELS4_3ELNS0_20block_scan_algorithmE0ELj4294967295EEENS1_25partition_config_selectorILNS1_17partition_subalgoE3EjNS0_10empty_typeEbEEZZNS1_14partition_implILS8_3ELb0ES6_jNS0_17counting_iteratorIjlEEPS9_SE_NS0_5tupleIJPjSE_EEENSF_IJSE_SE_EEES9_SG_JZNS1_25segmented_radix_sort_implINS0_14default_configELb1EPK6__halfPSL_PKlPlN2at6native12_GLOBAL__N_18offset_tEEE10hipError_tPvRmT1_PNSt15iterator_traitsISZ_E10value_typeET2_T3_PNS10_IS15_E10value_typeET4_jRbjT5_S1B_jjP12ihipStream_tbEUljE_EEESW_SX_SY_S15_S19_S1B_T6_T7_T9_mT8_S1D_bDpT10_ENKUlT_T0_E_clISt17integral_constantIbLb1EES1Q_EEDaS1L_S1M_EUlS1L_E_NS1_11comp_targetILNS1_3genE5ELNS1_11target_archE942ELNS1_3gpuE9ELNS1_3repE0EEENS1_30default_config_static_selectorELNS0_4arch9wavefront6targetE1EEEvSZ_ ; -- Begin function _ZN7rocprim17ROCPRIM_400000_NS6detail17trampoline_kernelINS0_13select_configILj256ELj13ELNS0_17block_load_methodE3ELS4_3ELS4_3ELNS0_20block_scan_algorithmE0ELj4294967295EEENS1_25partition_config_selectorILNS1_17partition_subalgoE3EjNS0_10empty_typeEbEEZZNS1_14partition_implILS8_3ELb0ES6_jNS0_17counting_iteratorIjlEEPS9_SE_NS0_5tupleIJPjSE_EEENSF_IJSE_SE_EEES9_SG_JZNS1_25segmented_radix_sort_implINS0_14default_configELb1EPK6__halfPSL_PKlPlN2at6native12_GLOBAL__N_18offset_tEEE10hipError_tPvRmT1_PNSt15iterator_traitsISZ_E10value_typeET2_T3_PNS10_IS15_E10value_typeET4_jRbjT5_S1B_jjP12ihipStream_tbEUljE_EEESW_SX_SY_S15_S19_S1B_T6_T7_T9_mT8_S1D_bDpT10_ENKUlT_T0_E_clISt17integral_constantIbLb1EES1Q_EEDaS1L_S1M_EUlS1L_E_NS1_11comp_targetILNS1_3genE5ELNS1_11target_archE942ELNS1_3gpuE9ELNS1_3repE0EEENS1_30default_config_static_selectorELNS0_4arch9wavefront6targetE1EEEvSZ_
	.p2align	8
	.type	_ZN7rocprim17ROCPRIM_400000_NS6detail17trampoline_kernelINS0_13select_configILj256ELj13ELNS0_17block_load_methodE3ELS4_3ELS4_3ELNS0_20block_scan_algorithmE0ELj4294967295EEENS1_25partition_config_selectorILNS1_17partition_subalgoE3EjNS0_10empty_typeEbEEZZNS1_14partition_implILS8_3ELb0ES6_jNS0_17counting_iteratorIjlEEPS9_SE_NS0_5tupleIJPjSE_EEENSF_IJSE_SE_EEES9_SG_JZNS1_25segmented_radix_sort_implINS0_14default_configELb1EPK6__halfPSL_PKlPlN2at6native12_GLOBAL__N_18offset_tEEE10hipError_tPvRmT1_PNSt15iterator_traitsISZ_E10value_typeET2_T3_PNS10_IS15_E10value_typeET4_jRbjT5_S1B_jjP12ihipStream_tbEUljE_EEESW_SX_SY_S15_S19_S1B_T6_T7_T9_mT8_S1D_bDpT10_ENKUlT_T0_E_clISt17integral_constantIbLb1EES1Q_EEDaS1L_S1M_EUlS1L_E_NS1_11comp_targetILNS1_3genE5ELNS1_11target_archE942ELNS1_3gpuE9ELNS1_3repE0EEENS1_30default_config_static_selectorELNS0_4arch9wavefront6targetE1EEEvSZ_,@function
_ZN7rocprim17ROCPRIM_400000_NS6detail17trampoline_kernelINS0_13select_configILj256ELj13ELNS0_17block_load_methodE3ELS4_3ELS4_3ELNS0_20block_scan_algorithmE0ELj4294967295EEENS1_25partition_config_selectorILNS1_17partition_subalgoE3EjNS0_10empty_typeEbEEZZNS1_14partition_implILS8_3ELb0ES6_jNS0_17counting_iteratorIjlEEPS9_SE_NS0_5tupleIJPjSE_EEENSF_IJSE_SE_EEES9_SG_JZNS1_25segmented_radix_sort_implINS0_14default_configELb1EPK6__halfPSL_PKlPlN2at6native12_GLOBAL__N_18offset_tEEE10hipError_tPvRmT1_PNSt15iterator_traitsISZ_E10value_typeET2_T3_PNS10_IS15_E10value_typeET4_jRbjT5_S1B_jjP12ihipStream_tbEUljE_EEESW_SX_SY_S15_S19_S1B_T6_T7_T9_mT8_S1D_bDpT10_ENKUlT_T0_E_clISt17integral_constantIbLb1EES1Q_EEDaS1L_S1M_EUlS1L_E_NS1_11comp_targetILNS1_3genE5ELNS1_11target_archE942ELNS1_3gpuE9ELNS1_3repE0EEENS1_30default_config_static_selectorELNS0_4arch9wavefront6targetE1EEEvSZ_: ; @_ZN7rocprim17ROCPRIM_400000_NS6detail17trampoline_kernelINS0_13select_configILj256ELj13ELNS0_17block_load_methodE3ELS4_3ELS4_3ELNS0_20block_scan_algorithmE0ELj4294967295EEENS1_25partition_config_selectorILNS1_17partition_subalgoE3EjNS0_10empty_typeEbEEZZNS1_14partition_implILS8_3ELb0ES6_jNS0_17counting_iteratorIjlEEPS9_SE_NS0_5tupleIJPjSE_EEENSF_IJSE_SE_EEES9_SG_JZNS1_25segmented_radix_sort_implINS0_14default_configELb1EPK6__halfPSL_PKlPlN2at6native12_GLOBAL__N_18offset_tEEE10hipError_tPvRmT1_PNSt15iterator_traitsISZ_E10value_typeET2_T3_PNS10_IS15_E10value_typeET4_jRbjT5_S1B_jjP12ihipStream_tbEUljE_EEESW_SX_SY_S15_S19_S1B_T6_T7_T9_mT8_S1D_bDpT10_ENKUlT_T0_E_clISt17integral_constantIbLb1EES1Q_EEDaS1L_S1M_EUlS1L_E_NS1_11comp_targetILNS1_3genE5ELNS1_11target_archE942ELNS1_3gpuE9ELNS1_3repE0EEENS1_30default_config_static_selectorELNS0_4arch9wavefront6targetE1EEEvSZ_
; %bb.0:
	.section	.rodata,"a",@progbits
	.p2align	6, 0x0
	.amdhsa_kernel _ZN7rocprim17ROCPRIM_400000_NS6detail17trampoline_kernelINS0_13select_configILj256ELj13ELNS0_17block_load_methodE3ELS4_3ELS4_3ELNS0_20block_scan_algorithmE0ELj4294967295EEENS1_25partition_config_selectorILNS1_17partition_subalgoE3EjNS0_10empty_typeEbEEZZNS1_14partition_implILS8_3ELb0ES6_jNS0_17counting_iteratorIjlEEPS9_SE_NS0_5tupleIJPjSE_EEENSF_IJSE_SE_EEES9_SG_JZNS1_25segmented_radix_sort_implINS0_14default_configELb1EPK6__halfPSL_PKlPlN2at6native12_GLOBAL__N_18offset_tEEE10hipError_tPvRmT1_PNSt15iterator_traitsISZ_E10value_typeET2_T3_PNS10_IS15_E10value_typeET4_jRbjT5_S1B_jjP12ihipStream_tbEUljE_EEESW_SX_SY_S15_S19_S1B_T6_T7_T9_mT8_S1D_bDpT10_ENKUlT_T0_E_clISt17integral_constantIbLb1EES1Q_EEDaS1L_S1M_EUlS1L_E_NS1_11comp_targetILNS1_3genE5ELNS1_11target_archE942ELNS1_3gpuE9ELNS1_3repE0EEENS1_30default_config_static_selectorELNS0_4arch9wavefront6targetE1EEEvSZ_
		.amdhsa_group_segment_fixed_size 0
		.amdhsa_private_segment_fixed_size 0
		.amdhsa_kernarg_size 152
		.amdhsa_user_sgpr_count 6
		.amdhsa_user_sgpr_private_segment_buffer 1
		.amdhsa_user_sgpr_dispatch_ptr 0
		.amdhsa_user_sgpr_queue_ptr 0
		.amdhsa_user_sgpr_kernarg_segment_ptr 1
		.amdhsa_user_sgpr_dispatch_id 0
		.amdhsa_user_sgpr_flat_scratch_init 0
		.amdhsa_user_sgpr_private_segment_size 0
		.amdhsa_uses_dynamic_stack 0
		.amdhsa_system_sgpr_private_segment_wavefront_offset 0
		.amdhsa_system_sgpr_workgroup_id_x 1
		.amdhsa_system_sgpr_workgroup_id_y 0
		.amdhsa_system_sgpr_workgroup_id_z 0
		.amdhsa_system_sgpr_workgroup_info 0
		.amdhsa_system_vgpr_workitem_id 0
		.amdhsa_next_free_vgpr 1
		.amdhsa_next_free_sgpr 0
		.amdhsa_reserve_vcc 0
		.amdhsa_reserve_flat_scratch 0
		.amdhsa_float_round_mode_32 0
		.amdhsa_float_round_mode_16_64 0
		.amdhsa_float_denorm_mode_32 3
		.amdhsa_float_denorm_mode_16_64 3
		.amdhsa_dx10_clamp 1
		.amdhsa_ieee_mode 1
		.amdhsa_fp16_overflow 0
		.amdhsa_exception_fp_ieee_invalid_op 0
		.amdhsa_exception_fp_denorm_src 0
		.amdhsa_exception_fp_ieee_div_zero 0
		.amdhsa_exception_fp_ieee_overflow 0
		.amdhsa_exception_fp_ieee_underflow 0
		.amdhsa_exception_fp_ieee_inexact 0
		.amdhsa_exception_int_div_zero 0
	.end_amdhsa_kernel
	.section	.text._ZN7rocprim17ROCPRIM_400000_NS6detail17trampoline_kernelINS0_13select_configILj256ELj13ELNS0_17block_load_methodE3ELS4_3ELS4_3ELNS0_20block_scan_algorithmE0ELj4294967295EEENS1_25partition_config_selectorILNS1_17partition_subalgoE3EjNS0_10empty_typeEbEEZZNS1_14partition_implILS8_3ELb0ES6_jNS0_17counting_iteratorIjlEEPS9_SE_NS0_5tupleIJPjSE_EEENSF_IJSE_SE_EEES9_SG_JZNS1_25segmented_radix_sort_implINS0_14default_configELb1EPK6__halfPSL_PKlPlN2at6native12_GLOBAL__N_18offset_tEEE10hipError_tPvRmT1_PNSt15iterator_traitsISZ_E10value_typeET2_T3_PNS10_IS15_E10value_typeET4_jRbjT5_S1B_jjP12ihipStream_tbEUljE_EEESW_SX_SY_S15_S19_S1B_T6_T7_T9_mT8_S1D_bDpT10_ENKUlT_T0_E_clISt17integral_constantIbLb1EES1Q_EEDaS1L_S1M_EUlS1L_E_NS1_11comp_targetILNS1_3genE5ELNS1_11target_archE942ELNS1_3gpuE9ELNS1_3repE0EEENS1_30default_config_static_selectorELNS0_4arch9wavefront6targetE1EEEvSZ_,"axG",@progbits,_ZN7rocprim17ROCPRIM_400000_NS6detail17trampoline_kernelINS0_13select_configILj256ELj13ELNS0_17block_load_methodE3ELS4_3ELS4_3ELNS0_20block_scan_algorithmE0ELj4294967295EEENS1_25partition_config_selectorILNS1_17partition_subalgoE3EjNS0_10empty_typeEbEEZZNS1_14partition_implILS8_3ELb0ES6_jNS0_17counting_iteratorIjlEEPS9_SE_NS0_5tupleIJPjSE_EEENSF_IJSE_SE_EEES9_SG_JZNS1_25segmented_radix_sort_implINS0_14default_configELb1EPK6__halfPSL_PKlPlN2at6native12_GLOBAL__N_18offset_tEEE10hipError_tPvRmT1_PNSt15iterator_traitsISZ_E10value_typeET2_T3_PNS10_IS15_E10value_typeET4_jRbjT5_S1B_jjP12ihipStream_tbEUljE_EEESW_SX_SY_S15_S19_S1B_T6_T7_T9_mT8_S1D_bDpT10_ENKUlT_T0_E_clISt17integral_constantIbLb1EES1Q_EEDaS1L_S1M_EUlS1L_E_NS1_11comp_targetILNS1_3genE5ELNS1_11target_archE942ELNS1_3gpuE9ELNS1_3repE0EEENS1_30default_config_static_selectorELNS0_4arch9wavefront6targetE1EEEvSZ_,comdat
.Lfunc_end1716:
	.size	_ZN7rocprim17ROCPRIM_400000_NS6detail17trampoline_kernelINS0_13select_configILj256ELj13ELNS0_17block_load_methodE3ELS4_3ELS4_3ELNS0_20block_scan_algorithmE0ELj4294967295EEENS1_25partition_config_selectorILNS1_17partition_subalgoE3EjNS0_10empty_typeEbEEZZNS1_14partition_implILS8_3ELb0ES6_jNS0_17counting_iteratorIjlEEPS9_SE_NS0_5tupleIJPjSE_EEENSF_IJSE_SE_EEES9_SG_JZNS1_25segmented_radix_sort_implINS0_14default_configELb1EPK6__halfPSL_PKlPlN2at6native12_GLOBAL__N_18offset_tEEE10hipError_tPvRmT1_PNSt15iterator_traitsISZ_E10value_typeET2_T3_PNS10_IS15_E10value_typeET4_jRbjT5_S1B_jjP12ihipStream_tbEUljE_EEESW_SX_SY_S15_S19_S1B_T6_T7_T9_mT8_S1D_bDpT10_ENKUlT_T0_E_clISt17integral_constantIbLb1EES1Q_EEDaS1L_S1M_EUlS1L_E_NS1_11comp_targetILNS1_3genE5ELNS1_11target_archE942ELNS1_3gpuE9ELNS1_3repE0EEENS1_30default_config_static_selectorELNS0_4arch9wavefront6targetE1EEEvSZ_, .Lfunc_end1716-_ZN7rocprim17ROCPRIM_400000_NS6detail17trampoline_kernelINS0_13select_configILj256ELj13ELNS0_17block_load_methodE3ELS4_3ELS4_3ELNS0_20block_scan_algorithmE0ELj4294967295EEENS1_25partition_config_selectorILNS1_17partition_subalgoE3EjNS0_10empty_typeEbEEZZNS1_14partition_implILS8_3ELb0ES6_jNS0_17counting_iteratorIjlEEPS9_SE_NS0_5tupleIJPjSE_EEENSF_IJSE_SE_EEES9_SG_JZNS1_25segmented_radix_sort_implINS0_14default_configELb1EPK6__halfPSL_PKlPlN2at6native12_GLOBAL__N_18offset_tEEE10hipError_tPvRmT1_PNSt15iterator_traitsISZ_E10value_typeET2_T3_PNS10_IS15_E10value_typeET4_jRbjT5_S1B_jjP12ihipStream_tbEUljE_EEESW_SX_SY_S15_S19_S1B_T6_T7_T9_mT8_S1D_bDpT10_ENKUlT_T0_E_clISt17integral_constantIbLb1EES1Q_EEDaS1L_S1M_EUlS1L_E_NS1_11comp_targetILNS1_3genE5ELNS1_11target_archE942ELNS1_3gpuE9ELNS1_3repE0EEENS1_30default_config_static_selectorELNS0_4arch9wavefront6targetE1EEEvSZ_
                                        ; -- End function
	.set _ZN7rocprim17ROCPRIM_400000_NS6detail17trampoline_kernelINS0_13select_configILj256ELj13ELNS0_17block_load_methodE3ELS4_3ELS4_3ELNS0_20block_scan_algorithmE0ELj4294967295EEENS1_25partition_config_selectorILNS1_17partition_subalgoE3EjNS0_10empty_typeEbEEZZNS1_14partition_implILS8_3ELb0ES6_jNS0_17counting_iteratorIjlEEPS9_SE_NS0_5tupleIJPjSE_EEENSF_IJSE_SE_EEES9_SG_JZNS1_25segmented_radix_sort_implINS0_14default_configELb1EPK6__halfPSL_PKlPlN2at6native12_GLOBAL__N_18offset_tEEE10hipError_tPvRmT1_PNSt15iterator_traitsISZ_E10value_typeET2_T3_PNS10_IS15_E10value_typeET4_jRbjT5_S1B_jjP12ihipStream_tbEUljE_EEESW_SX_SY_S15_S19_S1B_T6_T7_T9_mT8_S1D_bDpT10_ENKUlT_T0_E_clISt17integral_constantIbLb1EES1Q_EEDaS1L_S1M_EUlS1L_E_NS1_11comp_targetILNS1_3genE5ELNS1_11target_archE942ELNS1_3gpuE9ELNS1_3repE0EEENS1_30default_config_static_selectorELNS0_4arch9wavefront6targetE1EEEvSZ_.num_vgpr, 0
	.set _ZN7rocprim17ROCPRIM_400000_NS6detail17trampoline_kernelINS0_13select_configILj256ELj13ELNS0_17block_load_methodE3ELS4_3ELS4_3ELNS0_20block_scan_algorithmE0ELj4294967295EEENS1_25partition_config_selectorILNS1_17partition_subalgoE3EjNS0_10empty_typeEbEEZZNS1_14partition_implILS8_3ELb0ES6_jNS0_17counting_iteratorIjlEEPS9_SE_NS0_5tupleIJPjSE_EEENSF_IJSE_SE_EEES9_SG_JZNS1_25segmented_radix_sort_implINS0_14default_configELb1EPK6__halfPSL_PKlPlN2at6native12_GLOBAL__N_18offset_tEEE10hipError_tPvRmT1_PNSt15iterator_traitsISZ_E10value_typeET2_T3_PNS10_IS15_E10value_typeET4_jRbjT5_S1B_jjP12ihipStream_tbEUljE_EEESW_SX_SY_S15_S19_S1B_T6_T7_T9_mT8_S1D_bDpT10_ENKUlT_T0_E_clISt17integral_constantIbLb1EES1Q_EEDaS1L_S1M_EUlS1L_E_NS1_11comp_targetILNS1_3genE5ELNS1_11target_archE942ELNS1_3gpuE9ELNS1_3repE0EEENS1_30default_config_static_selectorELNS0_4arch9wavefront6targetE1EEEvSZ_.num_agpr, 0
	.set _ZN7rocprim17ROCPRIM_400000_NS6detail17trampoline_kernelINS0_13select_configILj256ELj13ELNS0_17block_load_methodE3ELS4_3ELS4_3ELNS0_20block_scan_algorithmE0ELj4294967295EEENS1_25partition_config_selectorILNS1_17partition_subalgoE3EjNS0_10empty_typeEbEEZZNS1_14partition_implILS8_3ELb0ES6_jNS0_17counting_iteratorIjlEEPS9_SE_NS0_5tupleIJPjSE_EEENSF_IJSE_SE_EEES9_SG_JZNS1_25segmented_radix_sort_implINS0_14default_configELb1EPK6__halfPSL_PKlPlN2at6native12_GLOBAL__N_18offset_tEEE10hipError_tPvRmT1_PNSt15iterator_traitsISZ_E10value_typeET2_T3_PNS10_IS15_E10value_typeET4_jRbjT5_S1B_jjP12ihipStream_tbEUljE_EEESW_SX_SY_S15_S19_S1B_T6_T7_T9_mT8_S1D_bDpT10_ENKUlT_T0_E_clISt17integral_constantIbLb1EES1Q_EEDaS1L_S1M_EUlS1L_E_NS1_11comp_targetILNS1_3genE5ELNS1_11target_archE942ELNS1_3gpuE9ELNS1_3repE0EEENS1_30default_config_static_selectorELNS0_4arch9wavefront6targetE1EEEvSZ_.numbered_sgpr, 0
	.set _ZN7rocprim17ROCPRIM_400000_NS6detail17trampoline_kernelINS0_13select_configILj256ELj13ELNS0_17block_load_methodE3ELS4_3ELS4_3ELNS0_20block_scan_algorithmE0ELj4294967295EEENS1_25partition_config_selectorILNS1_17partition_subalgoE3EjNS0_10empty_typeEbEEZZNS1_14partition_implILS8_3ELb0ES6_jNS0_17counting_iteratorIjlEEPS9_SE_NS0_5tupleIJPjSE_EEENSF_IJSE_SE_EEES9_SG_JZNS1_25segmented_radix_sort_implINS0_14default_configELb1EPK6__halfPSL_PKlPlN2at6native12_GLOBAL__N_18offset_tEEE10hipError_tPvRmT1_PNSt15iterator_traitsISZ_E10value_typeET2_T3_PNS10_IS15_E10value_typeET4_jRbjT5_S1B_jjP12ihipStream_tbEUljE_EEESW_SX_SY_S15_S19_S1B_T6_T7_T9_mT8_S1D_bDpT10_ENKUlT_T0_E_clISt17integral_constantIbLb1EES1Q_EEDaS1L_S1M_EUlS1L_E_NS1_11comp_targetILNS1_3genE5ELNS1_11target_archE942ELNS1_3gpuE9ELNS1_3repE0EEENS1_30default_config_static_selectorELNS0_4arch9wavefront6targetE1EEEvSZ_.num_named_barrier, 0
	.set _ZN7rocprim17ROCPRIM_400000_NS6detail17trampoline_kernelINS0_13select_configILj256ELj13ELNS0_17block_load_methodE3ELS4_3ELS4_3ELNS0_20block_scan_algorithmE0ELj4294967295EEENS1_25partition_config_selectorILNS1_17partition_subalgoE3EjNS0_10empty_typeEbEEZZNS1_14partition_implILS8_3ELb0ES6_jNS0_17counting_iteratorIjlEEPS9_SE_NS0_5tupleIJPjSE_EEENSF_IJSE_SE_EEES9_SG_JZNS1_25segmented_radix_sort_implINS0_14default_configELb1EPK6__halfPSL_PKlPlN2at6native12_GLOBAL__N_18offset_tEEE10hipError_tPvRmT1_PNSt15iterator_traitsISZ_E10value_typeET2_T3_PNS10_IS15_E10value_typeET4_jRbjT5_S1B_jjP12ihipStream_tbEUljE_EEESW_SX_SY_S15_S19_S1B_T6_T7_T9_mT8_S1D_bDpT10_ENKUlT_T0_E_clISt17integral_constantIbLb1EES1Q_EEDaS1L_S1M_EUlS1L_E_NS1_11comp_targetILNS1_3genE5ELNS1_11target_archE942ELNS1_3gpuE9ELNS1_3repE0EEENS1_30default_config_static_selectorELNS0_4arch9wavefront6targetE1EEEvSZ_.private_seg_size, 0
	.set _ZN7rocprim17ROCPRIM_400000_NS6detail17trampoline_kernelINS0_13select_configILj256ELj13ELNS0_17block_load_methodE3ELS4_3ELS4_3ELNS0_20block_scan_algorithmE0ELj4294967295EEENS1_25partition_config_selectorILNS1_17partition_subalgoE3EjNS0_10empty_typeEbEEZZNS1_14partition_implILS8_3ELb0ES6_jNS0_17counting_iteratorIjlEEPS9_SE_NS0_5tupleIJPjSE_EEENSF_IJSE_SE_EEES9_SG_JZNS1_25segmented_radix_sort_implINS0_14default_configELb1EPK6__halfPSL_PKlPlN2at6native12_GLOBAL__N_18offset_tEEE10hipError_tPvRmT1_PNSt15iterator_traitsISZ_E10value_typeET2_T3_PNS10_IS15_E10value_typeET4_jRbjT5_S1B_jjP12ihipStream_tbEUljE_EEESW_SX_SY_S15_S19_S1B_T6_T7_T9_mT8_S1D_bDpT10_ENKUlT_T0_E_clISt17integral_constantIbLb1EES1Q_EEDaS1L_S1M_EUlS1L_E_NS1_11comp_targetILNS1_3genE5ELNS1_11target_archE942ELNS1_3gpuE9ELNS1_3repE0EEENS1_30default_config_static_selectorELNS0_4arch9wavefront6targetE1EEEvSZ_.uses_vcc, 0
	.set _ZN7rocprim17ROCPRIM_400000_NS6detail17trampoline_kernelINS0_13select_configILj256ELj13ELNS0_17block_load_methodE3ELS4_3ELS4_3ELNS0_20block_scan_algorithmE0ELj4294967295EEENS1_25partition_config_selectorILNS1_17partition_subalgoE3EjNS0_10empty_typeEbEEZZNS1_14partition_implILS8_3ELb0ES6_jNS0_17counting_iteratorIjlEEPS9_SE_NS0_5tupleIJPjSE_EEENSF_IJSE_SE_EEES9_SG_JZNS1_25segmented_radix_sort_implINS0_14default_configELb1EPK6__halfPSL_PKlPlN2at6native12_GLOBAL__N_18offset_tEEE10hipError_tPvRmT1_PNSt15iterator_traitsISZ_E10value_typeET2_T3_PNS10_IS15_E10value_typeET4_jRbjT5_S1B_jjP12ihipStream_tbEUljE_EEESW_SX_SY_S15_S19_S1B_T6_T7_T9_mT8_S1D_bDpT10_ENKUlT_T0_E_clISt17integral_constantIbLb1EES1Q_EEDaS1L_S1M_EUlS1L_E_NS1_11comp_targetILNS1_3genE5ELNS1_11target_archE942ELNS1_3gpuE9ELNS1_3repE0EEENS1_30default_config_static_selectorELNS0_4arch9wavefront6targetE1EEEvSZ_.uses_flat_scratch, 0
	.set _ZN7rocprim17ROCPRIM_400000_NS6detail17trampoline_kernelINS0_13select_configILj256ELj13ELNS0_17block_load_methodE3ELS4_3ELS4_3ELNS0_20block_scan_algorithmE0ELj4294967295EEENS1_25partition_config_selectorILNS1_17partition_subalgoE3EjNS0_10empty_typeEbEEZZNS1_14partition_implILS8_3ELb0ES6_jNS0_17counting_iteratorIjlEEPS9_SE_NS0_5tupleIJPjSE_EEENSF_IJSE_SE_EEES9_SG_JZNS1_25segmented_radix_sort_implINS0_14default_configELb1EPK6__halfPSL_PKlPlN2at6native12_GLOBAL__N_18offset_tEEE10hipError_tPvRmT1_PNSt15iterator_traitsISZ_E10value_typeET2_T3_PNS10_IS15_E10value_typeET4_jRbjT5_S1B_jjP12ihipStream_tbEUljE_EEESW_SX_SY_S15_S19_S1B_T6_T7_T9_mT8_S1D_bDpT10_ENKUlT_T0_E_clISt17integral_constantIbLb1EES1Q_EEDaS1L_S1M_EUlS1L_E_NS1_11comp_targetILNS1_3genE5ELNS1_11target_archE942ELNS1_3gpuE9ELNS1_3repE0EEENS1_30default_config_static_selectorELNS0_4arch9wavefront6targetE1EEEvSZ_.has_dyn_sized_stack, 0
	.set _ZN7rocprim17ROCPRIM_400000_NS6detail17trampoline_kernelINS0_13select_configILj256ELj13ELNS0_17block_load_methodE3ELS4_3ELS4_3ELNS0_20block_scan_algorithmE0ELj4294967295EEENS1_25partition_config_selectorILNS1_17partition_subalgoE3EjNS0_10empty_typeEbEEZZNS1_14partition_implILS8_3ELb0ES6_jNS0_17counting_iteratorIjlEEPS9_SE_NS0_5tupleIJPjSE_EEENSF_IJSE_SE_EEES9_SG_JZNS1_25segmented_radix_sort_implINS0_14default_configELb1EPK6__halfPSL_PKlPlN2at6native12_GLOBAL__N_18offset_tEEE10hipError_tPvRmT1_PNSt15iterator_traitsISZ_E10value_typeET2_T3_PNS10_IS15_E10value_typeET4_jRbjT5_S1B_jjP12ihipStream_tbEUljE_EEESW_SX_SY_S15_S19_S1B_T6_T7_T9_mT8_S1D_bDpT10_ENKUlT_T0_E_clISt17integral_constantIbLb1EES1Q_EEDaS1L_S1M_EUlS1L_E_NS1_11comp_targetILNS1_3genE5ELNS1_11target_archE942ELNS1_3gpuE9ELNS1_3repE0EEENS1_30default_config_static_selectorELNS0_4arch9wavefront6targetE1EEEvSZ_.has_recursion, 0
	.set _ZN7rocprim17ROCPRIM_400000_NS6detail17trampoline_kernelINS0_13select_configILj256ELj13ELNS0_17block_load_methodE3ELS4_3ELS4_3ELNS0_20block_scan_algorithmE0ELj4294967295EEENS1_25partition_config_selectorILNS1_17partition_subalgoE3EjNS0_10empty_typeEbEEZZNS1_14partition_implILS8_3ELb0ES6_jNS0_17counting_iteratorIjlEEPS9_SE_NS0_5tupleIJPjSE_EEENSF_IJSE_SE_EEES9_SG_JZNS1_25segmented_radix_sort_implINS0_14default_configELb1EPK6__halfPSL_PKlPlN2at6native12_GLOBAL__N_18offset_tEEE10hipError_tPvRmT1_PNSt15iterator_traitsISZ_E10value_typeET2_T3_PNS10_IS15_E10value_typeET4_jRbjT5_S1B_jjP12ihipStream_tbEUljE_EEESW_SX_SY_S15_S19_S1B_T6_T7_T9_mT8_S1D_bDpT10_ENKUlT_T0_E_clISt17integral_constantIbLb1EES1Q_EEDaS1L_S1M_EUlS1L_E_NS1_11comp_targetILNS1_3genE5ELNS1_11target_archE942ELNS1_3gpuE9ELNS1_3repE0EEENS1_30default_config_static_selectorELNS0_4arch9wavefront6targetE1EEEvSZ_.has_indirect_call, 0
	.section	.AMDGPU.csdata,"",@progbits
; Kernel info:
; codeLenInByte = 0
; TotalNumSgprs: 4
; NumVgprs: 0
; ScratchSize: 0
; MemoryBound: 0
; FloatMode: 240
; IeeeMode: 1
; LDSByteSize: 0 bytes/workgroup (compile time only)
; SGPRBlocks: 0
; VGPRBlocks: 0
; NumSGPRsForWavesPerEU: 4
; NumVGPRsForWavesPerEU: 1
; Occupancy: 10
; WaveLimiterHint : 0
; COMPUTE_PGM_RSRC2:SCRATCH_EN: 0
; COMPUTE_PGM_RSRC2:USER_SGPR: 6
; COMPUTE_PGM_RSRC2:TRAP_HANDLER: 0
; COMPUTE_PGM_RSRC2:TGID_X_EN: 1
; COMPUTE_PGM_RSRC2:TGID_Y_EN: 0
; COMPUTE_PGM_RSRC2:TGID_Z_EN: 0
; COMPUTE_PGM_RSRC2:TIDIG_COMP_CNT: 0
	.section	.text._ZN7rocprim17ROCPRIM_400000_NS6detail17trampoline_kernelINS0_13select_configILj256ELj13ELNS0_17block_load_methodE3ELS4_3ELS4_3ELNS0_20block_scan_algorithmE0ELj4294967295EEENS1_25partition_config_selectorILNS1_17partition_subalgoE3EjNS0_10empty_typeEbEEZZNS1_14partition_implILS8_3ELb0ES6_jNS0_17counting_iteratorIjlEEPS9_SE_NS0_5tupleIJPjSE_EEENSF_IJSE_SE_EEES9_SG_JZNS1_25segmented_radix_sort_implINS0_14default_configELb1EPK6__halfPSL_PKlPlN2at6native12_GLOBAL__N_18offset_tEEE10hipError_tPvRmT1_PNSt15iterator_traitsISZ_E10value_typeET2_T3_PNS10_IS15_E10value_typeET4_jRbjT5_S1B_jjP12ihipStream_tbEUljE_EEESW_SX_SY_S15_S19_S1B_T6_T7_T9_mT8_S1D_bDpT10_ENKUlT_T0_E_clISt17integral_constantIbLb1EES1Q_EEDaS1L_S1M_EUlS1L_E_NS1_11comp_targetILNS1_3genE4ELNS1_11target_archE910ELNS1_3gpuE8ELNS1_3repE0EEENS1_30default_config_static_selectorELNS0_4arch9wavefront6targetE1EEEvSZ_,"axG",@progbits,_ZN7rocprim17ROCPRIM_400000_NS6detail17trampoline_kernelINS0_13select_configILj256ELj13ELNS0_17block_load_methodE3ELS4_3ELS4_3ELNS0_20block_scan_algorithmE0ELj4294967295EEENS1_25partition_config_selectorILNS1_17partition_subalgoE3EjNS0_10empty_typeEbEEZZNS1_14partition_implILS8_3ELb0ES6_jNS0_17counting_iteratorIjlEEPS9_SE_NS0_5tupleIJPjSE_EEENSF_IJSE_SE_EEES9_SG_JZNS1_25segmented_radix_sort_implINS0_14default_configELb1EPK6__halfPSL_PKlPlN2at6native12_GLOBAL__N_18offset_tEEE10hipError_tPvRmT1_PNSt15iterator_traitsISZ_E10value_typeET2_T3_PNS10_IS15_E10value_typeET4_jRbjT5_S1B_jjP12ihipStream_tbEUljE_EEESW_SX_SY_S15_S19_S1B_T6_T7_T9_mT8_S1D_bDpT10_ENKUlT_T0_E_clISt17integral_constantIbLb1EES1Q_EEDaS1L_S1M_EUlS1L_E_NS1_11comp_targetILNS1_3genE4ELNS1_11target_archE910ELNS1_3gpuE8ELNS1_3repE0EEENS1_30default_config_static_selectorELNS0_4arch9wavefront6targetE1EEEvSZ_,comdat
	.globl	_ZN7rocprim17ROCPRIM_400000_NS6detail17trampoline_kernelINS0_13select_configILj256ELj13ELNS0_17block_load_methodE3ELS4_3ELS4_3ELNS0_20block_scan_algorithmE0ELj4294967295EEENS1_25partition_config_selectorILNS1_17partition_subalgoE3EjNS0_10empty_typeEbEEZZNS1_14partition_implILS8_3ELb0ES6_jNS0_17counting_iteratorIjlEEPS9_SE_NS0_5tupleIJPjSE_EEENSF_IJSE_SE_EEES9_SG_JZNS1_25segmented_radix_sort_implINS0_14default_configELb1EPK6__halfPSL_PKlPlN2at6native12_GLOBAL__N_18offset_tEEE10hipError_tPvRmT1_PNSt15iterator_traitsISZ_E10value_typeET2_T3_PNS10_IS15_E10value_typeET4_jRbjT5_S1B_jjP12ihipStream_tbEUljE_EEESW_SX_SY_S15_S19_S1B_T6_T7_T9_mT8_S1D_bDpT10_ENKUlT_T0_E_clISt17integral_constantIbLb1EES1Q_EEDaS1L_S1M_EUlS1L_E_NS1_11comp_targetILNS1_3genE4ELNS1_11target_archE910ELNS1_3gpuE8ELNS1_3repE0EEENS1_30default_config_static_selectorELNS0_4arch9wavefront6targetE1EEEvSZ_ ; -- Begin function _ZN7rocprim17ROCPRIM_400000_NS6detail17trampoline_kernelINS0_13select_configILj256ELj13ELNS0_17block_load_methodE3ELS4_3ELS4_3ELNS0_20block_scan_algorithmE0ELj4294967295EEENS1_25partition_config_selectorILNS1_17partition_subalgoE3EjNS0_10empty_typeEbEEZZNS1_14partition_implILS8_3ELb0ES6_jNS0_17counting_iteratorIjlEEPS9_SE_NS0_5tupleIJPjSE_EEENSF_IJSE_SE_EEES9_SG_JZNS1_25segmented_radix_sort_implINS0_14default_configELb1EPK6__halfPSL_PKlPlN2at6native12_GLOBAL__N_18offset_tEEE10hipError_tPvRmT1_PNSt15iterator_traitsISZ_E10value_typeET2_T3_PNS10_IS15_E10value_typeET4_jRbjT5_S1B_jjP12ihipStream_tbEUljE_EEESW_SX_SY_S15_S19_S1B_T6_T7_T9_mT8_S1D_bDpT10_ENKUlT_T0_E_clISt17integral_constantIbLb1EES1Q_EEDaS1L_S1M_EUlS1L_E_NS1_11comp_targetILNS1_3genE4ELNS1_11target_archE910ELNS1_3gpuE8ELNS1_3repE0EEENS1_30default_config_static_selectorELNS0_4arch9wavefront6targetE1EEEvSZ_
	.p2align	8
	.type	_ZN7rocprim17ROCPRIM_400000_NS6detail17trampoline_kernelINS0_13select_configILj256ELj13ELNS0_17block_load_methodE3ELS4_3ELS4_3ELNS0_20block_scan_algorithmE0ELj4294967295EEENS1_25partition_config_selectorILNS1_17partition_subalgoE3EjNS0_10empty_typeEbEEZZNS1_14partition_implILS8_3ELb0ES6_jNS0_17counting_iteratorIjlEEPS9_SE_NS0_5tupleIJPjSE_EEENSF_IJSE_SE_EEES9_SG_JZNS1_25segmented_radix_sort_implINS0_14default_configELb1EPK6__halfPSL_PKlPlN2at6native12_GLOBAL__N_18offset_tEEE10hipError_tPvRmT1_PNSt15iterator_traitsISZ_E10value_typeET2_T3_PNS10_IS15_E10value_typeET4_jRbjT5_S1B_jjP12ihipStream_tbEUljE_EEESW_SX_SY_S15_S19_S1B_T6_T7_T9_mT8_S1D_bDpT10_ENKUlT_T0_E_clISt17integral_constantIbLb1EES1Q_EEDaS1L_S1M_EUlS1L_E_NS1_11comp_targetILNS1_3genE4ELNS1_11target_archE910ELNS1_3gpuE8ELNS1_3repE0EEENS1_30default_config_static_selectorELNS0_4arch9wavefront6targetE1EEEvSZ_,@function
_ZN7rocprim17ROCPRIM_400000_NS6detail17trampoline_kernelINS0_13select_configILj256ELj13ELNS0_17block_load_methodE3ELS4_3ELS4_3ELNS0_20block_scan_algorithmE0ELj4294967295EEENS1_25partition_config_selectorILNS1_17partition_subalgoE3EjNS0_10empty_typeEbEEZZNS1_14partition_implILS8_3ELb0ES6_jNS0_17counting_iteratorIjlEEPS9_SE_NS0_5tupleIJPjSE_EEENSF_IJSE_SE_EEES9_SG_JZNS1_25segmented_radix_sort_implINS0_14default_configELb1EPK6__halfPSL_PKlPlN2at6native12_GLOBAL__N_18offset_tEEE10hipError_tPvRmT1_PNSt15iterator_traitsISZ_E10value_typeET2_T3_PNS10_IS15_E10value_typeET4_jRbjT5_S1B_jjP12ihipStream_tbEUljE_EEESW_SX_SY_S15_S19_S1B_T6_T7_T9_mT8_S1D_bDpT10_ENKUlT_T0_E_clISt17integral_constantIbLb1EES1Q_EEDaS1L_S1M_EUlS1L_E_NS1_11comp_targetILNS1_3genE4ELNS1_11target_archE910ELNS1_3gpuE8ELNS1_3repE0EEENS1_30default_config_static_selectorELNS0_4arch9wavefront6targetE1EEEvSZ_: ; @_ZN7rocprim17ROCPRIM_400000_NS6detail17trampoline_kernelINS0_13select_configILj256ELj13ELNS0_17block_load_methodE3ELS4_3ELS4_3ELNS0_20block_scan_algorithmE0ELj4294967295EEENS1_25partition_config_selectorILNS1_17partition_subalgoE3EjNS0_10empty_typeEbEEZZNS1_14partition_implILS8_3ELb0ES6_jNS0_17counting_iteratorIjlEEPS9_SE_NS0_5tupleIJPjSE_EEENSF_IJSE_SE_EEES9_SG_JZNS1_25segmented_radix_sort_implINS0_14default_configELb1EPK6__halfPSL_PKlPlN2at6native12_GLOBAL__N_18offset_tEEE10hipError_tPvRmT1_PNSt15iterator_traitsISZ_E10value_typeET2_T3_PNS10_IS15_E10value_typeET4_jRbjT5_S1B_jjP12ihipStream_tbEUljE_EEESW_SX_SY_S15_S19_S1B_T6_T7_T9_mT8_S1D_bDpT10_ENKUlT_T0_E_clISt17integral_constantIbLb1EES1Q_EEDaS1L_S1M_EUlS1L_E_NS1_11comp_targetILNS1_3genE4ELNS1_11target_archE910ELNS1_3gpuE8ELNS1_3repE0EEENS1_30default_config_static_selectorELNS0_4arch9wavefront6targetE1EEEvSZ_
; %bb.0:
	.section	.rodata,"a",@progbits
	.p2align	6, 0x0
	.amdhsa_kernel _ZN7rocprim17ROCPRIM_400000_NS6detail17trampoline_kernelINS0_13select_configILj256ELj13ELNS0_17block_load_methodE3ELS4_3ELS4_3ELNS0_20block_scan_algorithmE0ELj4294967295EEENS1_25partition_config_selectorILNS1_17partition_subalgoE3EjNS0_10empty_typeEbEEZZNS1_14partition_implILS8_3ELb0ES6_jNS0_17counting_iteratorIjlEEPS9_SE_NS0_5tupleIJPjSE_EEENSF_IJSE_SE_EEES9_SG_JZNS1_25segmented_radix_sort_implINS0_14default_configELb1EPK6__halfPSL_PKlPlN2at6native12_GLOBAL__N_18offset_tEEE10hipError_tPvRmT1_PNSt15iterator_traitsISZ_E10value_typeET2_T3_PNS10_IS15_E10value_typeET4_jRbjT5_S1B_jjP12ihipStream_tbEUljE_EEESW_SX_SY_S15_S19_S1B_T6_T7_T9_mT8_S1D_bDpT10_ENKUlT_T0_E_clISt17integral_constantIbLb1EES1Q_EEDaS1L_S1M_EUlS1L_E_NS1_11comp_targetILNS1_3genE4ELNS1_11target_archE910ELNS1_3gpuE8ELNS1_3repE0EEENS1_30default_config_static_selectorELNS0_4arch9wavefront6targetE1EEEvSZ_
		.amdhsa_group_segment_fixed_size 0
		.amdhsa_private_segment_fixed_size 0
		.amdhsa_kernarg_size 152
		.amdhsa_user_sgpr_count 6
		.amdhsa_user_sgpr_private_segment_buffer 1
		.amdhsa_user_sgpr_dispatch_ptr 0
		.amdhsa_user_sgpr_queue_ptr 0
		.amdhsa_user_sgpr_kernarg_segment_ptr 1
		.amdhsa_user_sgpr_dispatch_id 0
		.amdhsa_user_sgpr_flat_scratch_init 0
		.amdhsa_user_sgpr_private_segment_size 0
		.amdhsa_uses_dynamic_stack 0
		.amdhsa_system_sgpr_private_segment_wavefront_offset 0
		.amdhsa_system_sgpr_workgroup_id_x 1
		.amdhsa_system_sgpr_workgroup_id_y 0
		.amdhsa_system_sgpr_workgroup_id_z 0
		.amdhsa_system_sgpr_workgroup_info 0
		.amdhsa_system_vgpr_workitem_id 0
		.amdhsa_next_free_vgpr 1
		.amdhsa_next_free_sgpr 0
		.amdhsa_reserve_vcc 0
		.amdhsa_reserve_flat_scratch 0
		.amdhsa_float_round_mode_32 0
		.amdhsa_float_round_mode_16_64 0
		.amdhsa_float_denorm_mode_32 3
		.amdhsa_float_denorm_mode_16_64 3
		.amdhsa_dx10_clamp 1
		.amdhsa_ieee_mode 1
		.amdhsa_fp16_overflow 0
		.amdhsa_exception_fp_ieee_invalid_op 0
		.amdhsa_exception_fp_denorm_src 0
		.amdhsa_exception_fp_ieee_div_zero 0
		.amdhsa_exception_fp_ieee_overflow 0
		.amdhsa_exception_fp_ieee_underflow 0
		.amdhsa_exception_fp_ieee_inexact 0
		.amdhsa_exception_int_div_zero 0
	.end_amdhsa_kernel
	.section	.text._ZN7rocprim17ROCPRIM_400000_NS6detail17trampoline_kernelINS0_13select_configILj256ELj13ELNS0_17block_load_methodE3ELS4_3ELS4_3ELNS0_20block_scan_algorithmE0ELj4294967295EEENS1_25partition_config_selectorILNS1_17partition_subalgoE3EjNS0_10empty_typeEbEEZZNS1_14partition_implILS8_3ELb0ES6_jNS0_17counting_iteratorIjlEEPS9_SE_NS0_5tupleIJPjSE_EEENSF_IJSE_SE_EEES9_SG_JZNS1_25segmented_radix_sort_implINS0_14default_configELb1EPK6__halfPSL_PKlPlN2at6native12_GLOBAL__N_18offset_tEEE10hipError_tPvRmT1_PNSt15iterator_traitsISZ_E10value_typeET2_T3_PNS10_IS15_E10value_typeET4_jRbjT5_S1B_jjP12ihipStream_tbEUljE_EEESW_SX_SY_S15_S19_S1B_T6_T7_T9_mT8_S1D_bDpT10_ENKUlT_T0_E_clISt17integral_constantIbLb1EES1Q_EEDaS1L_S1M_EUlS1L_E_NS1_11comp_targetILNS1_3genE4ELNS1_11target_archE910ELNS1_3gpuE8ELNS1_3repE0EEENS1_30default_config_static_selectorELNS0_4arch9wavefront6targetE1EEEvSZ_,"axG",@progbits,_ZN7rocprim17ROCPRIM_400000_NS6detail17trampoline_kernelINS0_13select_configILj256ELj13ELNS0_17block_load_methodE3ELS4_3ELS4_3ELNS0_20block_scan_algorithmE0ELj4294967295EEENS1_25partition_config_selectorILNS1_17partition_subalgoE3EjNS0_10empty_typeEbEEZZNS1_14partition_implILS8_3ELb0ES6_jNS0_17counting_iteratorIjlEEPS9_SE_NS0_5tupleIJPjSE_EEENSF_IJSE_SE_EEES9_SG_JZNS1_25segmented_radix_sort_implINS0_14default_configELb1EPK6__halfPSL_PKlPlN2at6native12_GLOBAL__N_18offset_tEEE10hipError_tPvRmT1_PNSt15iterator_traitsISZ_E10value_typeET2_T3_PNS10_IS15_E10value_typeET4_jRbjT5_S1B_jjP12ihipStream_tbEUljE_EEESW_SX_SY_S15_S19_S1B_T6_T7_T9_mT8_S1D_bDpT10_ENKUlT_T0_E_clISt17integral_constantIbLb1EES1Q_EEDaS1L_S1M_EUlS1L_E_NS1_11comp_targetILNS1_3genE4ELNS1_11target_archE910ELNS1_3gpuE8ELNS1_3repE0EEENS1_30default_config_static_selectorELNS0_4arch9wavefront6targetE1EEEvSZ_,comdat
.Lfunc_end1717:
	.size	_ZN7rocprim17ROCPRIM_400000_NS6detail17trampoline_kernelINS0_13select_configILj256ELj13ELNS0_17block_load_methodE3ELS4_3ELS4_3ELNS0_20block_scan_algorithmE0ELj4294967295EEENS1_25partition_config_selectorILNS1_17partition_subalgoE3EjNS0_10empty_typeEbEEZZNS1_14partition_implILS8_3ELb0ES6_jNS0_17counting_iteratorIjlEEPS9_SE_NS0_5tupleIJPjSE_EEENSF_IJSE_SE_EEES9_SG_JZNS1_25segmented_radix_sort_implINS0_14default_configELb1EPK6__halfPSL_PKlPlN2at6native12_GLOBAL__N_18offset_tEEE10hipError_tPvRmT1_PNSt15iterator_traitsISZ_E10value_typeET2_T3_PNS10_IS15_E10value_typeET4_jRbjT5_S1B_jjP12ihipStream_tbEUljE_EEESW_SX_SY_S15_S19_S1B_T6_T7_T9_mT8_S1D_bDpT10_ENKUlT_T0_E_clISt17integral_constantIbLb1EES1Q_EEDaS1L_S1M_EUlS1L_E_NS1_11comp_targetILNS1_3genE4ELNS1_11target_archE910ELNS1_3gpuE8ELNS1_3repE0EEENS1_30default_config_static_selectorELNS0_4arch9wavefront6targetE1EEEvSZ_, .Lfunc_end1717-_ZN7rocprim17ROCPRIM_400000_NS6detail17trampoline_kernelINS0_13select_configILj256ELj13ELNS0_17block_load_methodE3ELS4_3ELS4_3ELNS0_20block_scan_algorithmE0ELj4294967295EEENS1_25partition_config_selectorILNS1_17partition_subalgoE3EjNS0_10empty_typeEbEEZZNS1_14partition_implILS8_3ELb0ES6_jNS0_17counting_iteratorIjlEEPS9_SE_NS0_5tupleIJPjSE_EEENSF_IJSE_SE_EEES9_SG_JZNS1_25segmented_radix_sort_implINS0_14default_configELb1EPK6__halfPSL_PKlPlN2at6native12_GLOBAL__N_18offset_tEEE10hipError_tPvRmT1_PNSt15iterator_traitsISZ_E10value_typeET2_T3_PNS10_IS15_E10value_typeET4_jRbjT5_S1B_jjP12ihipStream_tbEUljE_EEESW_SX_SY_S15_S19_S1B_T6_T7_T9_mT8_S1D_bDpT10_ENKUlT_T0_E_clISt17integral_constantIbLb1EES1Q_EEDaS1L_S1M_EUlS1L_E_NS1_11comp_targetILNS1_3genE4ELNS1_11target_archE910ELNS1_3gpuE8ELNS1_3repE0EEENS1_30default_config_static_selectorELNS0_4arch9wavefront6targetE1EEEvSZ_
                                        ; -- End function
	.set _ZN7rocprim17ROCPRIM_400000_NS6detail17trampoline_kernelINS0_13select_configILj256ELj13ELNS0_17block_load_methodE3ELS4_3ELS4_3ELNS0_20block_scan_algorithmE0ELj4294967295EEENS1_25partition_config_selectorILNS1_17partition_subalgoE3EjNS0_10empty_typeEbEEZZNS1_14partition_implILS8_3ELb0ES6_jNS0_17counting_iteratorIjlEEPS9_SE_NS0_5tupleIJPjSE_EEENSF_IJSE_SE_EEES9_SG_JZNS1_25segmented_radix_sort_implINS0_14default_configELb1EPK6__halfPSL_PKlPlN2at6native12_GLOBAL__N_18offset_tEEE10hipError_tPvRmT1_PNSt15iterator_traitsISZ_E10value_typeET2_T3_PNS10_IS15_E10value_typeET4_jRbjT5_S1B_jjP12ihipStream_tbEUljE_EEESW_SX_SY_S15_S19_S1B_T6_T7_T9_mT8_S1D_bDpT10_ENKUlT_T0_E_clISt17integral_constantIbLb1EES1Q_EEDaS1L_S1M_EUlS1L_E_NS1_11comp_targetILNS1_3genE4ELNS1_11target_archE910ELNS1_3gpuE8ELNS1_3repE0EEENS1_30default_config_static_selectorELNS0_4arch9wavefront6targetE1EEEvSZ_.num_vgpr, 0
	.set _ZN7rocprim17ROCPRIM_400000_NS6detail17trampoline_kernelINS0_13select_configILj256ELj13ELNS0_17block_load_methodE3ELS4_3ELS4_3ELNS0_20block_scan_algorithmE0ELj4294967295EEENS1_25partition_config_selectorILNS1_17partition_subalgoE3EjNS0_10empty_typeEbEEZZNS1_14partition_implILS8_3ELb0ES6_jNS0_17counting_iteratorIjlEEPS9_SE_NS0_5tupleIJPjSE_EEENSF_IJSE_SE_EEES9_SG_JZNS1_25segmented_radix_sort_implINS0_14default_configELb1EPK6__halfPSL_PKlPlN2at6native12_GLOBAL__N_18offset_tEEE10hipError_tPvRmT1_PNSt15iterator_traitsISZ_E10value_typeET2_T3_PNS10_IS15_E10value_typeET4_jRbjT5_S1B_jjP12ihipStream_tbEUljE_EEESW_SX_SY_S15_S19_S1B_T6_T7_T9_mT8_S1D_bDpT10_ENKUlT_T0_E_clISt17integral_constantIbLb1EES1Q_EEDaS1L_S1M_EUlS1L_E_NS1_11comp_targetILNS1_3genE4ELNS1_11target_archE910ELNS1_3gpuE8ELNS1_3repE0EEENS1_30default_config_static_selectorELNS0_4arch9wavefront6targetE1EEEvSZ_.num_agpr, 0
	.set _ZN7rocprim17ROCPRIM_400000_NS6detail17trampoline_kernelINS0_13select_configILj256ELj13ELNS0_17block_load_methodE3ELS4_3ELS4_3ELNS0_20block_scan_algorithmE0ELj4294967295EEENS1_25partition_config_selectorILNS1_17partition_subalgoE3EjNS0_10empty_typeEbEEZZNS1_14partition_implILS8_3ELb0ES6_jNS0_17counting_iteratorIjlEEPS9_SE_NS0_5tupleIJPjSE_EEENSF_IJSE_SE_EEES9_SG_JZNS1_25segmented_radix_sort_implINS0_14default_configELb1EPK6__halfPSL_PKlPlN2at6native12_GLOBAL__N_18offset_tEEE10hipError_tPvRmT1_PNSt15iterator_traitsISZ_E10value_typeET2_T3_PNS10_IS15_E10value_typeET4_jRbjT5_S1B_jjP12ihipStream_tbEUljE_EEESW_SX_SY_S15_S19_S1B_T6_T7_T9_mT8_S1D_bDpT10_ENKUlT_T0_E_clISt17integral_constantIbLb1EES1Q_EEDaS1L_S1M_EUlS1L_E_NS1_11comp_targetILNS1_3genE4ELNS1_11target_archE910ELNS1_3gpuE8ELNS1_3repE0EEENS1_30default_config_static_selectorELNS0_4arch9wavefront6targetE1EEEvSZ_.numbered_sgpr, 0
	.set _ZN7rocprim17ROCPRIM_400000_NS6detail17trampoline_kernelINS0_13select_configILj256ELj13ELNS0_17block_load_methodE3ELS4_3ELS4_3ELNS0_20block_scan_algorithmE0ELj4294967295EEENS1_25partition_config_selectorILNS1_17partition_subalgoE3EjNS0_10empty_typeEbEEZZNS1_14partition_implILS8_3ELb0ES6_jNS0_17counting_iteratorIjlEEPS9_SE_NS0_5tupleIJPjSE_EEENSF_IJSE_SE_EEES9_SG_JZNS1_25segmented_radix_sort_implINS0_14default_configELb1EPK6__halfPSL_PKlPlN2at6native12_GLOBAL__N_18offset_tEEE10hipError_tPvRmT1_PNSt15iterator_traitsISZ_E10value_typeET2_T3_PNS10_IS15_E10value_typeET4_jRbjT5_S1B_jjP12ihipStream_tbEUljE_EEESW_SX_SY_S15_S19_S1B_T6_T7_T9_mT8_S1D_bDpT10_ENKUlT_T0_E_clISt17integral_constantIbLb1EES1Q_EEDaS1L_S1M_EUlS1L_E_NS1_11comp_targetILNS1_3genE4ELNS1_11target_archE910ELNS1_3gpuE8ELNS1_3repE0EEENS1_30default_config_static_selectorELNS0_4arch9wavefront6targetE1EEEvSZ_.num_named_barrier, 0
	.set _ZN7rocprim17ROCPRIM_400000_NS6detail17trampoline_kernelINS0_13select_configILj256ELj13ELNS0_17block_load_methodE3ELS4_3ELS4_3ELNS0_20block_scan_algorithmE0ELj4294967295EEENS1_25partition_config_selectorILNS1_17partition_subalgoE3EjNS0_10empty_typeEbEEZZNS1_14partition_implILS8_3ELb0ES6_jNS0_17counting_iteratorIjlEEPS9_SE_NS0_5tupleIJPjSE_EEENSF_IJSE_SE_EEES9_SG_JZNS1_25segmented_radix_sort_implINS0_14default_configELb1EPK6__halfPSL_PKlPlN2at6native12_GLOBAL__N_18offset_tEEE10hipError_tPvRmT1_PNSt15iterator_traitsISZ_E10value_typeET2_T3_PNS10_IS15_E10value_typeET4_jRbjT5_S1B_jjP12ihipStream_tbEUljE_EEESW_SX_SY_S15_S19_S1B_T6_T7_T9_mT8_S1D_bDpT10_ENKUlT_T0_E_clISt17integral_constantIbLb1EES1Q_EEDaS1L_S1M_EUlS1L_E_NS1_11comp_targetILNS1_3genE4ELNS1_11target_archE910ELNS1_3gpuE8ELNS1_3repE0EEENS1_30default_config_static_selectorELNS0_4arch9wavefront6targetE1EEEvSZ_.private_seg_size, 0
	.set _ZN7rocprim17ROCPRIM_400000_NS6detail17trampoline_kernelINS0_13select_configILj256ELj13ELNS0_17block_load_methodE3ELS4_3ELS4_3ELNS0_20block_scan_algorithmE0ELj4294967295EEENS1_25partition_config_selectorILNS1_17partition_subalgoE3EjNS0_10empty_typeEbEEZZNS1_14partition_implILS8_3ELb0ES6_jNS0_17counting_iteratorIjlEEPS9_SE_NS0_5tupleIJPjSE_EEENSF_IJSE_SE_EEES9_SG_JZNS1_25segmented_radix_sort_implINS0_14default_configELb1EPK6__halfPSL_PKlPlN2at6native12_GLOBAL__N_18offset_tEEE10hipError_tPvRmT1_PNSt15iterator_traitsISZ_E10value_typeET2_T3_PNS10_IS15_E10value_typeET4_jRbjT5_S1B_jjP12ihipStream_tbEUljE_EEESW_SX_SY_S15_S19_S1B_T6_T7_T9_mT8_S1D_bDpT10_ENKUlT_T0_E_clISt17integral_constantIbLb1EES1Q_EEDaS1L_S1M_EUlS1L_E_NS1_11comp_targetILNS1_3genE4ELNS1_11target_archE910ELNS1_3gpuE8ELNS1_3repE0EEENS1_30default_config_static_selectorELNS0_4arch9wavefront6targetE1EEEvSZ_.uses_vcc, 0
	.set _ZN7rocprim17ROCPRIM_400000_NS6detail17trampoline_kernelINS0_13select_configILj256ELj13ELNS0_17block_load_methodE3ELS4_3ELS4_3ELNS0_20block_scan_algorithmE0ELj4294967295EEENS1_25partition_config_selectorILNS1_17partition_subalgoE3EjNS0_10empty_typeEbEEZZNS1_14partition_implILS8_3ELb0ES6_jNS0_17counting_iteratorIjlEEPS9_SE_NS0_5tupleIJPjSE_EEENSF_IJSE_SE_EEES9_SG_JZNS1_25segmented_radix_sort_implINS0_14default_configELb1EPK6__halfPSL_PKlPlN2at6native12_GLOBAL__N_18offset_tEEE10hipError_tPvRmT1_PNSt15iterator_traitsISZ_E10value_typeET2_T3_PNS10_IS15_E10value_typeET4_jRbjT5_S1B_jjP12ihipStream_tbEUljE_EEESW_SX_SY_S15_S19_S1B_T6_T7_T9_mT8_S1D_bDpT10_ENKUlT_T0_E_clISt17integral_constantIbLb1EES1Q_EEDaS1L_S1M_EUlS1L_E_NS1_11comp_targetILNS1_3genE4ELNS1_11target_archE910ELNS1_3gpuE8ELNS1_3repE0EEENS1_30default_config_static_selectorELNS0_4arch9wavefront6targetE1EEEvSZ_.uses_flat_scratch, 0
	.set _ZN7rocprim17ROCPRIM_400000_NS6detail17trampoline_kernelINS0_13select_configILj256ELj13ELNS0_17block_load_methodE3ELS4_3ELS4_3ELNS0_20block_scan_algorithmE0ELj4294967295EEENS1_25partition_config_selectorILNS1_17partition_subalgoE3EjNS0_10empty_typeEbEEZZNS1_14partition_implILS8_3ELb0ES6_jNS0_17counting_iteratorIjlEEPS9_SE_NS0_5tupleIJPjSE_EEENSF_IJSE_SE_EEES9_SG_JZNS1_25segmented_radix_sort_implINS0_14default_configELb1EPK6__halfPSL_PKlPlN2at6native12_GLOBAL__N_18offset_tEEE10hipError_tPvRmT1_PNSt15iterator_traitsISZ_E10value_typeET2_T3_PNS10_IS15_E10value_typeET4_jRbjT5_S1B_jjP12ihipStream_tbEUljE_EEESW_SX_SY_S15_S19_S1B_T6_T7_T9_mT8_S1D_bDpT10_ENKUlT_T0_E_clISt17integral_constantIbLb1EES1Q_EEDaS1L_S1M_EUlS1L_E_NS1_11comp_targetILNS1_3genE4ELNS1_11target_archE910ELNS1_3gpuE8ELNS1_3repE0EEENS1_30default_config_static_selectorELNS0_4arch9wavefront6targetE1EEEvSZ_.has_dyn_sized_stack, 0
	.set _ZN7rocprim17ROCPRIM_400000_NS6detail17trampoline_kernelINS0_13select_configILj256ELj13ELNS0_17block_load_methodE3ELS4_3ELS4_3ELNS0_20block_scan_algorithmE0ELj4294967295EEENS1_25partition_config_selectorILNS1_17partition_subalgoE3EjNS0_10empty_typeEbEEZZNS1_14partition_implILS8_3ELb0ES6_jNS0_17counting_iteratorIjlEEPS9_SE_NS0_5tupleIJPjSE_EEENSF_IJSE_SE_EEES9_SG_JZNS1_25segmented_radix_sort_implINS0_14default_configELb1EPK6__halfPSL_PKlPlN2at6native12_GLOBAL__N_18offset_tEEE10hipError_tPvRmT1_PNSt15iterator_traitsISZ_E10value_typeET2_T3_PNS10_IS15_E10value_typeET4_jRbjT5_S1B_jjP12ihipStream_tbEUljE_EEESW_SX_SY_S15_S19_S1B_T6_T7_T9_mT8_S1D_bDpT10_ENKUlT_T0_E_clISt17integral_constantIbLb1EES1Q_EEDaS1L_S1M_EUlS1L_E_NS1_11comp_targetILNS1_3genE4ELNS1_11target_archE910ELNS1_3gpuE8ELNS1_3repE0EEENS1_30default_config_static_selectorELNS0_4arch9wavefront6targetE1EEEvSZ_.has_recursion, 0
	.set _ZN7rocprim17ROCPRIM_400000_NS6detail17trampoline_kernelINS0_13select_configILj256ELj13ELNS0_17block_load_methodE3ELS4_3ELS4_3ELNS0_20block_scan_algorithmE0ELj4294967295EEENS1_25partition_config_selectorILNS1_17partition_subalgoE3EjNS0_10empty_typeEbEEZZNS1_14partition_implILS8_3ELb0ES6_jNS0_17counting_iteratorIjlEEPS9_SE_NS0_5tupleIJPjSE_EEENSF_IJSE_SE_EEES9_SG_JZNS1_25segmented_radix_sort_implINS0_14default_configELb1EPK6__halfPSL_PKlPlN2at6native12_GLOBAL__N_18offset_tEEE10hipError_tPvRmT1_PNSt15iterator_traitsISZ_E10value_typeET2_T3_PNS10_IS15_E10value_typeET4_jRbjT5_S1B_jjP12ihipStream_tbEUljE_EEESW_SX_SY_S15_S19_S1B_T6_T7_T9_mT8_S1D_bDpT10_ENKUlT_T0_E_clISt17integral_constantIbLb1EES1Q_EEDaS1L_S1M_EUlS1L_E_NS1_11comp_targetILNS1_3genE4ELNS1_11target_archE910ELNS1_3gpuE8ELNS1_3repE0EEENS1_30default_config_static_selectorELNS0_4arch9wavefront6targetE1EEEvSZ_.has_indirect_call, 0
	.section	.AMDGPU.csdata,"",@progbits
; Kernel info:
; codeLenInByte = 0
; TotalNumSgprs: 4
; NumVgprs: 0
; ScratchSize: 0
; MemoryBound: 0
; FloatMode: 240
; IeeeMode: 1
; LDSByteSize: 0 bytes/workgroup (compile time only)
; SGPRBlocks: 0
; VGPRBlocks: 0
; NumSGPRsForWavesPerEU: 4
; NumVGPRsForWavesPerEU: 1
; Occupancy: 10
; WaveLimiterHint : 0
; COMPUTE_PGM_RSRC2:SCRATCH_EN: 0
; COMPUTE_PGM_RSRC2:USER_SGPR: 6
; COMPUTE_PGM_RSRC2:TRAP_HANDLER: 0
; COMPUTE_PGM_RSRC2:TGID_X_EN: 1
; COMPUTE_PGM_RSRC2:TGID_Y_EN: 0
; COMPUTE_PGM_RSRC2:TGID_Z_EN: 0
; COMPUTE_PGM_RSRC2:TIDIG_COMP_CNT: 0
	.section	.text._ZN7rocprim17ROCPRIM_400000_NS6detail17trampoline_kernelINS0_13select_configILj256ELj13ELNS0_17block_load_methodE3ELS4_3ELS4_3ELNS0_20block_scan_algorithmE0ELj4294967295EEENS1_25partition_config_selectorILNS1_17partition_subalgoE3EjNS0_10empty_typeEbEEZZNS1_14partition_implILS8_3ELb0ES6_jNS0_17counting_iteratorIjlEEPS9_SE_NS0_5tupleIJPjSE_EEENSF_IJSE_SE_EEES9_SG_JZNS1_25segmented_radix_sort_implINS0_14default_configELb1EPK6__halfPSL_PKlPlN2at6native12_GLOBAL__N_18offset_tEEE10hipError_tPvRmT1_PNSt15iterator_traitsISZ_E10value_typeET2_T3_PNS10_IS15_E10value_typeET4_jRbjT5_S1B_jjP12ihipStream_tbEUljE_EEESW_SX_SY_S15_S19_S1B_T6_T7_T9_mT8_S1D_bDpT10_ENKUlT_T0_E_clISt17integral_constantIbLb1EES1Q_EEDaS1L_S1M_EUlS1L_E_NS1_11comp_targetILNS1_3genE3ELNS1_11target_archE908ELNS1_3gpuE7ELNS1_3repE0EEENS1_30default_config_static_selectorELNS0_4arch9wavefront6targetE1EEEvSZ_,"axG",@progbits,_ZN7rocprim17ROCPRIM_400000_NS6detail17trampoline_kernelINS0_13select_configILj256ELj13ELNS0_17block_load_methodE3ELS4_3ELS4_3ELNS0_20block_scan_algorithmE0ELj4294967295EEENS1_25partition_config_selectorILNS1_17partition_subalgoE3EjNS0_10empty_typeEbEEZZNS1_14partition_implILS8_3ELb0ES6_jNS0_17counting_iteratorIjlEEPS9_SE_NS0_5tupleIJPjSE_EEENSF_IJSE_SE_EEES9_SG_JZNS1_25segmented_radix_sort_implINS0_14default_configELb1EPK6__halfPSL_PKlPlN2at6native12_GLOBAL__N_18offset_tEEE10hipError_tPvRmT1_PNSt15iterator_traitsISZ_E10value_typeET2_T3_PNS10_IS15_E10value_typeET4_jRbjT5_S1B_jjP12ihipStream_tbEUljE_EEESW_SX_SY_S15_S19_S1B_T6_T7_T9_mT8_S1D_bDpT10_ENKUlT_T0_E_clISt17integral_constantIbLb1EES1Q_EEDaS1L_S1M_EUlS1L_E_NS1_11comp_targetILNS1_3genE3ELNS1_11target_archE908ELNS1_3gpuE7ELNS1_3repE0EEENS1_30default_config_static_selectorELNS0_4arch9wavefront6targetE1EEEvSZ_,comdat
	.globl	_ZN7rocprim17ROCPRIM_400000_NS6detail17trampoline_kernelINS0_13select_configILj256ELj13ELNS0_17block_load_methodE3ELS4_3ELS4_3ELNS0_20block_scan_algorithmE0ELj4294967295EEENS1_25partition_config_selectorILNS1_17partition_subalgoE3EjNS0_10empty_typeEbEEZZNS1_14partition_implILS8_3ELb0ES6_jNS0_17counting_iteratorIjlEEPS9_SE_NS0_5tupleIJPjSE_EEENSF_IJSE_SE_EEES9_SG_JZNS1_25segmented_radix_sort_implINS0_14default_configELb1EPK6__halfPSL_PKlPlN2at6native12_GLOBAL__N_18offset_tEEE10hipError_tPvRmT1_PNSt15iterator_traitsISZ_E10value_typeET2_T3_PNS10_IS15_E10value_typeET4_jRbjT5_S1B_jjP12ihipStream_tbEUljE_EEESW_SX_SY_S15_S19_S1B_T6_T7_T9_mT8_S1D_bDpT10_ENKUlT_T0_E_clISt17integral_constantIbLb1EES1Q_EEDaS1L_S1M_EUlS1L_E_NS1_11comp_targetILNS1_3genE3ELNS1_11target_archE908ELNS1_3gpuE7ELNS1_3repE0EEENS1_30default_config_static_selectorELNS0_4arch9wavefront6targetE1EEEvSZ_ ; -- Begin function _ZN7rocprim17ROCPRIM_400000_NS6detail17trampoline_kernelINS0_13select_configILj256ELj13ELNS0_17block_load_methodE3ELS4_3ELS4_3ELNS0_20block_scan_algorithmE0ELj4294967295EEENS1_25partition_config_selectorILNS1_17partition_subalgoE3EjNS0_10empty_typeEbEEZZNS1_14partition_implILS8_3ELb0ES6_jNS0_17counting_iteratorIjlEEPS9_SE_NS0_5tupleIJPjSE_EEENSF_IJSE_SE_EEES9_SG_JZNS1_25segmented_radix_sort_implINS0_14default_configELb1EPK6__halfPSL_PKlPlN2at6native12_GLOBAL__N_18offset_tEEE10hipError_tPvRmT1_PNSt15iterator_traitsISZ_E10value_typeET2_T3_PNS10_IS15_E10value_typeET4_jRbjT5_S1B_jjP12ihipStream_tbEUljE_EEESW_SX_SY_S15_S19_S1B_T6_T7_T9_mT8_S1D_bDpT10_ENKUlT_T0_E_clISt17integral_constantIbLb1EES1Q_EEDaS1L_S1M_EUlS1L_E_NS1_11comp_targetILNS1_3genE3ELNS1_11target_archE908ELNS1_3gpuE7ELNS1_3repE0EEENS1_30default_config_static_selectorELNS0_4arch9wavefront6targetE1EEEvSZ_
	.p2align	8
	.type	_ZN7rocprim17ROCPRIM_400000_NS6detail17trampoline_kernelINS0_13select_configILj256ELj13ELNS0_17block_load_methodE3ELS4_3ELS4_3ELNS0_20block_scan_algorithmE0ELj4294967295EEENS1_25partition_config_selectorILNS1_17partition_subalgoE3EjNS0_10empty_typeEbEEZZNS1_14partition_implILS8_3ELb0ES6_jNS0_17counting_iteratorIjlEEPS9_SE_NS0_5tupleIJPjSE_EEENSF_IJSE_SE_EEES9_SG_JZNS1_25segmented_radix_sort_implINS0_14default_configELb1EPK6__halfPSL_PKlPlN2at6native12_GLOBAL__N_18offset_tEEE10hipError_tPvRmT1_PNSt15iterator_traitsISZ_E10value_typeET2_T3_PNS10_IS15_E10value_typeET4_jRbjT5_S1B_jjP12ihipStream_tbEUljE_EEESW_SX_SY_S15_S19_S1B_T6_T7_T9_mT8_S1D_bDpT10_ENKUlT_T0_E_clISt17integral_constantIbLb1EES1Q_EEDaS1L_S1M_EUlS1L_E_NS1_11comp_targetILNS1_3genE3ELNS1_11target_archE908ELNS1_3gpuE7ELNS1_3repE0EEENS1_30default_config_static_selectorELNS0_4arch9wavefront6targetE1EEEvSZ_,@function
_ZN7rocprim17ROCPRIM_400000_NS6detail17trampoline_kernelINS0_13select_configILj256ELj13ELNS0_17block_load_methodE3ELS4_3ELS4_3ELNS0_20block_scan_algorithmE0ELj4294967295EEENS1_25partition_config_selectorILNS1_17partition_subalgoE3EjNS0_10empty_typeEbEEZZNS1_14partition_implILS8_3ELb0ES6_jNS0_17counting_iteratorIjlEEPS9_SE_NS0_5tupleIJPjSE_EEENSF_IJSE_SE_EEES9_SG_JZNS1_25segmented_radix_sort_implINS0_14default_configELb1EPK6__halfPSL_PKlPlN2at6native12_GLOBAL__N_18offset_tEEE10hipError_tPvRmT1_PNSt15iterator_traitsISZ_E10value_typeET2_T3_PNS10_IS15_E10value_typeET4_jRbjT5_S1B_jjP12ihipStream_tbEUljE_EEESW_SX_SY_S15_S19_S1B_T6_T7_T9_mT8_S1D_bDpT10_ENKUlT_T0_E_clISt17integral_constantIbLb1EES1Q_EEDaS1L_S1M_EUlS1L_E_NS1_11comp_targetILNS1_3genE3ELNS1_11target_archE908ELNS1_3gpuE7ELNS1_3repE0EEENS1_30default_config_static_selectorELNS0_4arch9wavefront6targetE1EEEvSZ_: ; @_ZN7rocprim17ROCPRIM_400000_NS6detail17trampoline_kernelINS0_13select_configILj256ELj13ELNS0_17block_load_methodE3ELS4_3ELS4_3ELNS0_20block_scan_algorithmE0ELj4294967295EEENS1_25partition_config_selectorILNS1_17partition_subalgoE3EjNS0_10empty_typeEbEEZZNS1_14partition_implILS8_3ELb0ES6_jNS0_17counting_iteratorIjlEEPS9_SE_NS0_5tupleIJPjSE_EEENSF_IJSE_SE_EEES9_SG_JZNS1_25segmented_radix_sort_implINS0_14default_configELb1EPK6__halfPSL_PKlPlN2at6native12_GLOBAL__N_18offset_tEEE10hipError_tPvRmT1_PNSt15iterator_traitsISZ_E10value_typeET2_T3_PNS10_IS15_E10value_typeET4_jRbjT5_S1B_jjP12ihipStream_tbEUljE_EEESW_SX_SY_S15_S19_S1B_T6_T7_T9_mT8_S1D_bDpT10_ENKUlT_T0_E_clISt17integral_constantIbLb1EES1Q_EEDaS1L_S1M_EUlS1L_E_NS1_11comp_targetILNS1_3genE3ELNS1_11target_archE908ELNS1_3gpuE7ELNS1_3repE0EEENS1_30default_config_static_selectorELNS0_4arch9wavefront6targetE1EEEvSZ_
; %bb.0:
	.section	.rodata,"a",@progbits
	.p2align	6, 0x0
	.amdhsa_kernel _ZN7rocprim17ROCPRIM_400000_NS6detail17trampoline_kernelINS0_13select_configILj256ELj13ELNS0_17block_load_methodE3ELS4_3ELS4_3ELNS0_20block_scan_algorithmE0ELj4294967295EEENS1_25partition_config_selectorILNS1_17partition_subalgoE3EjNS0_10empty_typeEbEEZZNS1_14partition_implILS8_3ELb0ES6_jNS0_17counting_iteratorIjlEEPS9_SE_NS0_5tupleIJPjSE_EEENSF_IJSE_SE_EEES9_SG_JZNS1_25segmented_radix_sort_implINS0_14default_configELb1EPK6__halfPSL_PKlPlN2at6native12_GLOBAL__N_18offset_tEEE10hipError_tPvRmT1_PNSt15iterator_traitsISZ_E10value_typeET2_T3_PNS10_IS15_E10value_typeET4_jRbjT5_S1B_jjP12ihipStream_tbEUljE_EEESW_SX_SY_S15_S19_S1B_T6_T7_T9_mT8_S1D_bDpT10_ENKUlT_T0_E_clISt17integral_constantIbLb1EES1Q_EEDaS1L_S1M_EUlS1L_E_NS1_11comp_targetILNS1_3genE3ELNS1_11target_archE908ELNS1_3gpuE7ELNS1_3repE0EEENS1_30default_config_static_selectorELNS0_4arch9wavefront6targetE1EEEvSZ_
		.amdhsa_group_segment_fixed_size 0
		.amdhsa_private_segment_fixed_size 0
		.amdhsa_kernarg_size 152
		.amdhsa_user_sgpr_count 6
		.amdhsa_user_sgpr_private_segment_buffer 1
		.amdhsa_user_sgpr_dispatch_ptr 0
		.amdhsa_user_sgpr_queue_ptr 0
		.amdhsa_user_sgpr_kernarg_segment_ptr 1
		.amdhsa_user_sgpr_dispatch_id 0
		.amdhsa_user_sgpr_flat_scratch_init 0
		.amdhsa_user_sgpr_private_segment_size 0
		.amdhsa_uses_dynamic_stack 0
		.amdhsa_system_sgpr_private_segment_wavefront_offset 0
		.amdhsa_system_sgpr_workgroup_id_x 1
		.amdhsa_system_sgpr_workgroup_id_y 0
		.amdhsa_system_sgpr_workgroup_id_z 0
		.amdhsa_system_sgpr_workgroup_info 0
		.amdhsa_system_vgpr_workitem_id 0
		.amdhsa_next_free_vgpr 1
		.amdhsa_next_free_sgpr 0
		.amdhsa_reserve_vcc 0
		.amdhsa_reserve_flat_scratch 0
		.amdhsa_float_round_mode_32 0
		.amdhsa_float_round_mode_16_64 0
		.amdhsa_float_denorm_mode_32 3
		.amdhsa_float_denorm_mode_16_64 3
		.amdhsa_dx10_clamp 1
		.amdhsa_ieee_mode 1
		.amdhsa_fp16_overflow 0
		.amdhsa_exception_fp_ieee_invalid_op 0
		.amdhsa_exception_fp_denorm_src 0
		.amdhsa_exception_fp_ieee_div_zero 0
		.amdhsa_exception_fp_ieee_overflow 0
		.amdhsa_exception_fp_ieee_underflow 0
		.amdhsa_exception_fp_ieee_inexact 0
		.amdhsa_exception_int_div_zero 0
	.end_amdhsa_kernel
	.section	.text._ZN7rocprim17ROCPRIM_400000_NS6detail17trampoline_kernelINS0_13select_configILj256ELj13ELNS0_17block_load_methodE3ELS4_3ELS4_3ELNS0_20block_scan_algorithmE0ELj4294967295EEENS1_25partition_config_selectorILNS1_17partition_subalgoE3EjNS0_10empty_typeEbEEZZNS1_14partition_implILS8_3ELb0ES6_jNS0_17counting_iteratorIjlEEPS9_SE_NS0_5tupleIJPjSE_EEENSF_IJSE_SE_EEES9_SG_JZNS1_25segmented_radix_sort_implINS0_14default_configELb1EPK6__halfPSL_PKlPlN2at6native12_GLOBAL__N_18offset_tEEE10hipError_tPvRmT1_PNSt15iterator_traitsISZ_E10value_typeET2_T3_PNS10_IS15_E10value_typeET4_jRbjT5_S1B_jjP12ihipStream_tbEUljE_EEESW_SX_SY_S15_S19_S1B_T6_T7_T9_mT8_S1D_bDpT10_ENKUlT_T0_E_clISt17integral_constantIbLb1EES1Q_EEDaS1L_S1M_EUlS1L_E_NS1_11comp_targetILNS1_3genE3ELNS1_11target_archE908ELNS1_3gpuE7ELNS1_3repE0EEENS1_30default_config_static_selectorELNS0_4arch9wavefront6targetE1EEEvSZ_,"axG",@progbits,_ZN7rocprim17ROCPRIM_400000_NS6detail17trampoline_kernelINS0_13select_configILj256ELj13ELNS0_17block_load_methodE3ELS4_3ELS4_3ELNS0_20block_scan_algorithmE0ELj4294967295EEENS1_25partition_config_selectorILNS1_17partition_subalgoE3EjNS0_10empty_typeEbEEZZNS1_14partition_implILS8_3ELb0ES6_jNS0_17counting_iteratorIjlEEPS9_SE_NS0_5tupleIJPjSE_EEENSF_IJSE_SE_EEES9_SG_JZNS1_25segmented_radix_sort_implINS0_14default_configELb1EPK6__halfPSL_PKlPlN2at6native12_GLOBAL__N_18offset_tEEE10hipError_tPvRmT1_PNSt15iterator_traitsISZ_E10value_typeET2_T3_PNS10_IS15_E10value_typeET4_jRbjT5_S1B_jjP12ihipStream_tbEUljE_EEESW_SX_SY_S15_S19_S1B_T6_T7_T9_mT8_S1D_bDpT10_ENKUlT_T0_E_clISt17integral_constantIbLb1EES1Q_EEDaS1L_S1M_EUlS1L_E_NS1_11comp_targetILNS1_3genE3ELNS1_11target_archE908ELNS1_3gpuE7ELNS1_3repE0EEENS1_30default_config_static_selectorELNS0_4arch9wavefront6targetE1EEEvSZ_,comdat
.Lfunc_end1718:
	.size	_ZN7rocprim17ROCPRIM_400000_NS6detail17trampoline_kernelINS0_13select_configILj256ELj13ELNS0_17block_load_methodE3ELS4_3ELS4_3ELNS0_20block_scan_algorithmE0ELj4294967295EEENS1_25partition_config_selectorILNS1_17partition_subalgoE3EjNS0_10empty_typeEbEEZZNS1_14partition_implILS8_3ELb0ES6_jNS0_17counting_iteratorIjlEEPS9_SE_NS0_5tupleIJPjSE_EEENSF_IJSE_SE_EEES9_SG_JZNS1_25segmented_radix_sort_implINS0_14default_configELb1EPK6__halfPSL_PKlPlN2at6native12_GLOBAL__N_18offset_tEEE10hipError_tPvRmT1_PNSt15iterator_traitsISZ_E10value_typeET2_T3_PNS10_IS15_E10value_typeET4_jRbjT5_S1B_jjP12ihipStream_tbEUljE_EEESW_SX_SY_S15_S19_S1B_T6_T7_T9_mT8_S1D_bDpT10_ENKUlT_T0_E_clISt17integral_constantIbLb1EES1Q_EEDaS1L_S1M_EUlS1L_E_NS1_11comp_targetILNS1_3genE3ELNS1_11target_archE908ELNS1_3gpuE7ELNS1_3repE0EEENS1_30default_config_static_selectorELNS0_4arch9wavefront6targetE1EEEvSZ_, .Lfunc_end1718-_ZN7rocprim17ROCPRIM_400000_NS6detail17trampoline_kernelINS0_13select_configILj256ELj13ELNS0_17block_load_methodE3ELS4_3ELS4_3ELNS0_20block_scan_algorithmE0ELj4294967295EEENS1_25partition_config_selectorILNS1_17partition_subalgoE3EjNS0_10empty_typeEbEEZZNS1_14partition_implILS8_3ELb0ES6_jNS0_17counting_iteratorIjlEEPS9_SE_NS0_5tupleIJPjSE_EEENSF_IJSE_SE_EEES9_SG_JZNS1_25segmented_radix_sort_implINS0_14default_configELb1EPK6__halfPSL_PKlPlN2at6native12_GLOBAL__N_18offset_tEEE10hipError_tPvRmT1_PNSt15iterator_traitsISZ_E10value_typeET2_T3_PNS10_IS15_E10value_typeET4_jRbjT5_S1B_jjP12ihipStream_tbEUljE_EEESW_SX_SY_S15_S19_S1B_T6_T7_T9_mT8_S1D_bDpT10_ENKUlT_T0_E_clISt17integral_constantIbLb1EES1Q_EEDaS1L_S1M_EUlS1L_E_NS1_11comp_targetILNS1_3genE3ELNS1_11target_archE908ELNS1_3gpuE7ELNS1_3repE0EEENS1_30default_config_static_selectorELNS0_4arch9wavefront6targetE1EEEvSZ_
                                        ; -- End function
	.set _ZN7rocprim17ROCPRIM_400000_NS6detail17trampoline_kernelINS0_13select_configILj256ELj13ELNS0_17block_load_methodE3ELS4_3ELS4_3ELNS0_20block_scan_algorithmE0ELj4294967295EEENS1_25partition_config_selectorILNS1_17partition_subalgoE3EjNS0_10empty_typeEbEEZZNS1_14partition_implILS8_3ELb0ES6_jNS0_17counting_iteratorIjlEEPS9_SE_NS0_5tupleIJPjSE_EEENSF_IJSE_SE_EEES9_SG_JZNS1_25segmented_radix_sort_implINS0_14default_configELb1EPK6__halfPSL_PKlPlN2at6native12_GLOBAL__N_18offset_tEEE10hipError_tPvRmT1_PNSt15iterator_traitsISZ_E10value_typeET2_T3_PNS10_IS15_E10value_typeET4_jRbjT5_S1B_jjP12ihipStream_tbEUljE_EEESW_SX_SY_S15_S19_S1B_T6_T7_T9_mT8_S1D_bDpT10_ENKUlT_T0_E_clISt17integral_constantIbLb1EES1Q_EEDaS1L_S1M_EUlS1L_E_NS1_11comp_targetILNS1_3genE3ELNS1_11target_archE908ELNS1_3gpuE7ELNS1_3repE0EEENS1_30default_config_static_selectorELNS0_4arch9wavefront6targetE1EEEvSZ_.num_vgpr, 0
	.set _ZN7rocprim17ROCPRIM_400000_NS6detail17trampoline_kernelINS0_13select_configILj256ELj13ELNS0_17block_load_methodE3ELS4_3ELS4_3ELNS0_20block_scan_algorithmE0ELj4294967295EEENS1_25partition_config_selectorILNS1_17partition_subalgoE3EjNS0_10empty_typeEbEEZZNS1_14partition_implILS8_3ELb0ES6_jNS0_17counting_iteratorIjlEEPS9_SE_NS0_5tupleIJPjSE_EEENSF_IJSE_SE_EEES9_SG_JZNS1_25segmented_radix_sort_implINS0_14default_configELb1EPK6__halfPSL_PKlPlN2at6native12_GLOBAL__N_18offset_tEEE10hipError_tPvRmT1_PNSt15iterator_traitsISZ_E10value_typeET2_T3_PNS10_IS15_E10value_typeET4_jRbjT5_S1B_jjP12ihipStream_tbEUljE_EEESW_SX_SY_S15_S19_S1B_T6_T7_T9_mT8_S1D_bDpT10_ENKUlT_T0_E_clISt17integral_constantIbLb1EES1Q_EEDaS1L_S1M_EUlS1L_E_NS1_11comp_targetILNS1_3genE3ELNS1_11target_archE908ELNS1_3gpuE7ELNS1_3repE0EEENS1_30default_config_static_selectorELNS0_4arch9wavefront6targetE1EEEvSZ_.num_agpr, 0
	.set _ZN7rocprim17ROCPRIM_400000_NS6detail17trampoline_kernelINS0_13select_configILj256ELj13ELNS0_17block_load_methodE3ELS4_3ELS4_3ELNS0_20block_scan_algorithmE0ELj4294967295EEENS1_25partition_config_selectorILNS1_17partition_subalgoE3EjNS0_10empty_typeEbEEZZNS1_14partition_implILS8_3ELb0ES6_jNS0_17counting_iteratorIjlEEPS9_SE_NS0_5tupleIJPjSE_EEENSF_IJSE_SE_EEES9_SG_JZNS1_25segmented_radix_sort_implINS0_14default_configELb1EPK6__halfPSL_PKlPlN2at6native12_GLOBAL__N_18offset_tEEE10hipError_tPvRmT1_PNSt15iterator_traitsISZ_E10value_typeET2_T3_PNS10_IS15_E10value_typeET4_jRbjT5_S1B_jjP12ihipStream_tbEUljE_EEESW_SX_SY_S15_S19_S1B_T6_T7_T9_mT8_S1D_bDpT10_ENKUlT_T0_E_clISt17integral_constantIbLb1EES1Q_EEDaS1L_S1M_EUlS1L_E_NS1_11comp_targetILNS1_3genE3ELNS1_11target_archE908ELNS1_3gpuE7ELNS1_3repE0EEENS1_30default_config_static_selectorELNS0_4arch9wavefront6targetE1EEEvSZ_.numbered_sgpr, 0
	.set _ZN7rocprim17ROCPRIM_400000_NS6detail17trampoline_kernelINS0_13select_configILj256ELj13ELNS0_17block_load_methodE3ELS4_3ELS4_3ELNS0_20block_scan_algorithmE0ELj4294967295EEENS1_25partition_config_selectorILNS1_17partition_subalgoE3EjNS0_10empty_typeEbEEZZNS1_14partition_implILS8_3ELb0ES6_jNS0_17counting_iteratorIjlEEPS9_SE_NS0_5tupleIJPjSE_EEENSF_IJSE_SE_EEES9_SG_JZNS1_25segmented_radix_sort_implINS0_14default_configELb1EPK6__halfPSL_PKlPlN2at6native12_GLOBAL__N_18offset_tEEE10hipError_tPvRmT1_PNSt15iterator_traitsISZ_E10value_typeET2_T3_PNS10_IS15_E10value_typeET4_jRbjT5_S1B_jjP12ihipStream_tbEUljE_EEESW_SX_SY_S15_S19_S1B_T6_T7_T9_mT8_S1D_bDpT10_ENKUlT_T0_E_clISt17integral_constantIbLb1EES1Q_EEDaS1L_S1M_EUlS1L_E_NS1_11comp_targetILNS1_3genE3ELNS1_11target_archE908ELNS1_3gpuE7ELNS1_3repE0EEENS1_30default_config_static_selectorELNS0_4arch9wavefront6targetE1EEEvSZ_.num_named_barrier, 0
	.set _ZN7rocprim17ROCPRIM_400000_NS6detail17trampoline_kernelINS0_13select_configILj256ELj13ELNS0_17block_load_methodE3ELS4_3ELS4_3ELNS0_20block_scan_algorithmE0ELj4294967295EEENS1_25partition_config_selectorILNS1_17partition_subalgoE3EjNS0_10empty_typeEbEEZZNS1_14partition_implILS8_3ELb0ES6_jNS0_17counting_iteratorIjlEEPS9_SE_NS0_5tupleIJPjSE_EEENSF_IJSE_SE_EEES9_SG_JZNS1_25segmented_radix_sort_implINS0_14default_configELb1EPK6__halfPSL_PKlPlN2at6native12_GLOBAL__N_18offset_tEEE10hipError_tPvRmT1_PNSt15iterator_traitsISZ_E10value_typeET2_T3_PNS10_IS15_E10value_typeET4_jRbjT5_S1B_jjP12ihipStream_tbEUljE_EEESW_SX_SY_S15_S19_S1B_T6_T7_T9_mT8_S1D_bDpT10_ENKUlT_T0_E_clISt17integral_constantIbLb1EES1Q_EEDaS1L_S1M_EUlS1L_E_NS1_11comp_targetILNS1_3genE3ELNS1_11target_archE908ELNS1_3gpuE7ELNS1_3repE0EEENS1_30default_config_static_selectorELNS0_4arch9wavefront6targetE1EEEvSZ_.private_seg_size, 0
	.set _ZN7rocprim17ROCPRIM_400000_NS6detail17trampoline_kernelINS0_13select_configILj256ELj13ELNS0_17block_load_methodE3ELS4_3ELS4_3ELNS0_20block_scan_algorithmE0ELj4294967295EEENS1_25partition_config_selectorILNS1_17partition_subalgoE3EjNS0_10empty_typeEbEEZZNS1_14partition_implILS8_3ELb0ES6_jNS0_17counting_iteratorIjlEEPS9_SE_NS0_5tupleIJPjSE_EEENSF_IJSE_SE_EEES9_SG_JZNS1_25segmented_radix_sort_implINS0_14default_configELb1EPK6__halfPSL_PKlPlN2at6native12_GLOBAL__N_18offset_tEEE10hipError_tPvRmT1_PNSt15iterator_traitsISZ_E10value_typeET2_T3_PNS10_IS15_E10value_typeET4_jRbjT5_S1B_jjP12ihipStream_tbEUljE_EEESW_SX_SY_S15_S19_S1B_T6_T7_T9_mT8_S1D_bDpT10_ENKUlT_T0_E_clISt17integral_constantIbLb1EES1Q_EEDaS1L_S1M_EUlS1L_E_NS1_11comp_targetILNS1_3genE3ELNS1_11target_archE908ELNS1_3gpuE7ELNS1_3repE0EEENS1_30default_config_static_selectorELNS0_4arch9wavefront6targetE1EEEvSZ_.uses_vcc, 0
	.set _ZN7rocprim17ROCPRIM_400000_NS6detail17trampoline_kernelINS0_13select_configILj256ELj13ELNS0_17block_load_methodE3ELS4_3ELS4_3ELNS0_20block_scan_algorithmE0ELj4294967295EEENS1_25partition_config_selectorILNS1_17partition_subalgoE3EjNS0_10empty_typeEbEEZZNS1_14partition_implILS8_3ELb0ES6_jNS0_17counting_iteratorIjlEEPS9_SE_NS0_5tupleIJPjSE_EEENSF_IJSE_SE_EEES9_SG_JZNS1_25segmented_radix_sort_implINS0_14default_configELb1EPK6__halfPSL_PKlPlN2at6native12_GLOBAL__N_18offset_tEEE10hipError_tPvRmT1_PNSt15iterator_traitsISZ_E10value_typeET2_T3_PNS10_IS15_E10value_typeET4_jRbjT5_S1B_jjP12ihipStream_tbEUljE_EEESW_SX_SY_S15_S19_S1B_T6_T7_T9_mT8_S1D_bDpT10_ENKUlT_T0_E_clISt17integral_constantIbLb1EES1Q_EEDaS1L_S1M_EUlS1L_E_NS1_11comp_targetILNS1_3genE3ELNS1_11target_archE908ELNS1_3gpuE7ELNS1_3repE0EEENS1_30default_config_static_selectorELNS0_4arch9wavefront6targetE1EEEvSZ_.uses_flat_scratch, 0
	.set _ZN7rocprim17ROCPRIM_400000_NS6detail17trampoline_kernelINS0_13select_configILj256ELj13ELNS0_17block_load_methodE3ELS4_3ELS4_3ELNS0_20block_scan_algorithmE0ELj4294967295EEENS1_25partition_config_selectorILNS1_17partition_subalgoE3EjNS0_10empty_typeEbEEZZNS1_14partition_implILS8_3ELb0ES6_jNS0_17counting_iteratorIjlEEPS9_SE_NS0_5tupleIJPjSE_EEENSF_IJSE_SE_EEES9_SG_JZNS1_25segmented_radix_sort_implINS0_14default_configELb1EPK6__halfPSL_PKlPlN2at6native12_GLOBAL__N_18offset_tEEE10hipError_tPvRmT1_PNSt15iterator_traitsISZ_E10value_typeET2_T3_PNS10_IS15_E10value_typeET4_jRbjT5_S1B_jjP12ihipStream_tbEUljE_EEESW_SX_SY_S15_S19_S1B_T6_T7_T9_mT8_S1D_bDpT10_ENKUlT_T0_E_clISt17integral_constantIbLb1EES1Q_EEDaS1L_S1M_EUlS1L_E_NS1_11comp_targetILNS1_3genE3ELNS1_11target_archE908ELNS1_3gpuE7ELNS1_3repE0EEENS1_30default_config_static_selectorELNS0_4arch9wavefront6targetE1EEEvSZ_.has_dyn_sized_stack, 0
	.set _ZN7rocprim17ROCPRIM_400000_NS6detail17trampoline_kernelINS0_13select_configILj256ELj13ELNS0_17block_load_methodE3ELS4_3ELS4_3ELNS0_20block_scan_algorithmE0ELj4294967295EEENS1_25partition_config_selectorILNS1_17partition_subalgoE3EjNS0_10empty_typeEbEEZZNS1_14partition_implILS8_3ELb0ES6_jNS0_17counting_iteratorIjlEEPS9_SE_NS0_5tupleIJPjSE_EEENSF_IJSE_SE_EEES9_SG_JZNS1_25segmented_radix_sort_implINS0_14default_configELb1EPK6__halfPSL_PKlPlN2at6native12_GLOBAL__N_18offset_tEEE10hipError_tPvRmT1_PNSt15iterator_traitsISZ_E10value_typeET2_T3_PNS10_IS15_E10value_typeET4_jRbjT5_S1B_jjP12ihipStream_tbEUljE_EEESW_SX_SY_S15_S19_S1B_T6_T7_T9_mT8_S1D_bDpT10_ENKUlT_T0_E_clISt17integral_constantIbLb1EES1Q_EEDaS1L_S1M_EUlS1L_E_NS1_11comp_targetILNS1_3genE3ELNS1_11target_archE908ELNS1_3gpuE7ELNS1_3repE0EEENS1_30default_config_static_selectorELNS0_4arch9wavefront6targetE1EEEvSZ_.has_recursion, 0
	.set _ZN7rocprim17ROCPRIM_400000_NS6detail17trampoline_kernelINS0_13select_configILj256ELj13ELNS0_17block_load_methodE3ELS4_3ELS4_3ELNS0_20block_scan_algorithmE0ELj4294967295EEENS1_25partition_config_selectorILNS1_17partition_subalgoE3EjNS0_10empty_typeEbEEZZNS1_14partition_implILS8_3ELb0ES6_jNS0_17counting_iteratorIjlEEPS9_SE_NS0_5tupleIJPjSE_EEENSF_IJSE_SE_EEES9_SG_JZNS1_25segmented_radix_sort_implINS0_14default_configELb1EPK6__halfPSL_PKlPlN2at6native12_GLOBAL__N_18offset_tEEE10hipError_tPvRmT1_PNSt15iterator_traitsISZ_E10value_typeET2_T3_PNS10_IS15_E10value_typeET4_jRbjT5_S1B_jjP12ihipStream_tbEUljE_EEESW_SX_SY_S15_S19_S1B_T6_T7_T9_mT8_S1D_bDpT10_ENKUlT_T0_E_clISt17integral_constantIbLb1EES1Q_EEDaS1L_S1M_EUlS1L_E_NS1_11comp_targetILNS1_3genE3ELNS1_11target_archE908ELNS1_3gpuE7ELNS1_3repE0EEENS1_30default_config_static_selectorELNS0_4arch9wavefront6targetE1EEEvSZ_.has_indirect_call, 0
	.section	.AMDGPU.csdata,"",@progbits
; Kernel info:
; codeLenInByte = 0
; TotalNumSgprs: 4
; NumVgprs: 0
; ScratchSize: 0
; MemoryBound: 0
; FloatMode: 240
; IeeeMode: 1
; LDSByteSize: 0 bytes/workgroup (compile time only)
; SGPRBlocks: 0
; VGPRBlocks: 0
; NumSGPRsForWavesPerEU: 4
; NumVGPRsForWavesPerEU: 1
; Occupancy: 10
; WaveLimiterHint : 0
; COMPUTE_PGM_RSRC2:SCRATCH_EN: 0
; COMPUTE_PGM_RSRC2:USER_SGPR: 6
; COMPUTE_PGM_RSRC2:TRAP_HANDLER: 0
; COMPUTE_PGM_RSRC2:TGID_X_EN: 1
; COMPUTE_PGM_RSRC2:TGID_Y_EN: 0
; COMPUTE_PGM_RSRC2:TGID_Z_EN: 0
; COMPUTE_PGM_RSRC2:TIDIG_COMP_CNT: 0
	.section	.text._ZN7rocprim17ROCPRIM_400000_NS6detail17trampoline_kernelINS0_13select_configILj256ELj13ELNS0_17block_load_methodE3ELS4_3ELS4_3ELNS0_20block_scan_algorithmE0ELj4294967295EEENS1_25partition_config_selectorILNS1_17partition_subalgoE3EjNS0_10empty_typeEbEEZZNS1_14partition_implILS8_3ELb0ES6_jNS0_17counting_iteratorIjlEEPS9_SE_NS0_5tupleIJPjSE_EEENSF_IJSE_SE_EEES9_SG_JZNS1_25segmented_radix_sort_implINS0_14default_configELb1EPK6__halfPSL_PKlPlN2at6native12_GLOBAL__N_18offset_tEEE10hipError_tPvRmT1_PNSt15iterator_traitsISZ_E10value_typeET2_T3_PNS10_IS15_E10value_typeET4_jRbjT5_S1B_jjP12ihipStream_tbEUljE_EEESW_SX_SY_S15_S19_S1B_T6_T7_T9_mT8_S1D_bDpT10_ENKUlT_T0_E_clISt17integral_constantIbLb1EES1Q_EEDaS1L_S1M_EUlS1L_E_NS1_11comp_targetILNS1_3genE2ELNS1_11target_archE906ELNS1_3gpuE6ELNS1_3repE0EEENS1_30default_config_static_selectorELNS0_4arch9wavefront6targetE1EEEvSZ_,"axG",@progbits,_ZN7rocprim17ROCPRIM_400000_NS6detail17trampoline_kernelINS0_13select_configILj256ELj13ELNS0_17block_load_methodE3ELS4_3ELS4_3ELNS0_20block_scan_algorithmE0ELj4294967295EEENS1_25partition_config_selectorILNS1_17partition_subalgoE3EjNS0_10empty_typeEbEEZZNS1_14partition_implILS8_3ELb0ES6_jNS0_17counting_iteratorIjlEEPS9_SE_NS0_5tupleIJPjSE_EEENSF_IJSE_SE_EEES9_SG_JZNS1_25segmented_radix_sort_implINS0_14default_configELb1EPK6__halfPSL_PKlPlN2at6native12_GLOBAL__N_18offset_tEEE10hipError_tPvRmT1_PNSt15iterator_traitsISZ_E10value_typeET2_T3_PNS10_IS15_E10value_typeET4_jRbjT5_S1B_jjP12ihipStream_tbEUljE_EEESW_SX_SY_S15_S19_S1B_T6_T7_T9_mT8_S1D_bDpT10_ENKUlT_T0_E_clISt17integral_constantIbLb1EES1Q_EEDaS1L_S1M_EUlS1L_E_NS1_11comp_targetILNS1_3genE2ELNS1_11target_archE906ELNS1_3gpuE6ELNS1_3repE0EEENS1_30default_config_static_selectorELNS0_4arch9wavefront6targetE1EEEvSZ_,comdat
	.globl	_ZN7rocprim17ROCPRIM_400000_NS6detail17trampoline_kernelINS0_13select_configILj256ELj13ELNS0_17block_load_methodE3ELS4_3ELS4_3ELNS0_20block_scan_algorithmE0ELj4294967295EEENS1_25partition_config_selectorILNS1_17partition_subalgoE3EjNS0_10empty_typeEbEEZZNS1_14partition_implILS8_3ELb0ES6_jNS0_17counting_iteratorIjlEEPS9_SE_NS0_5tupleIJPjSE_EEENSF_IJSE_SE_EEES9_SG_JZNS1_25segmented_radix_sort_implINS0_14default_configELb1EPK6__halfPSL_PKlPlN2at6native12_GLOBAL__N_18offset_tEEE10hipError_tPvRmT1_PNSt15iterator_traitsISZ_E10value_typeET2_T3_PNS10_IS15_E10value_typeET4_jRbjT5_S1B_jjP12ihipStream_tbEUljE_EEESW_SX_SY_S15_S19_S1B_T6_T7_T9_mT8_S1D_bDpT10_ENKUlT_T0_E_clISt17integral_constantIbLb1EES1Q_EEDaS1L_S1M_EUlS1L_E_NS1_11comp_targetILNS1_3genE2ELNS1_11target_archE906ELNS1_3gpuE6ELNS1_3repE0EEENS1_30default_config_static_selectorELNS0_4arch9wavefront6targetE1EEEvSZ_ ; -- Begin function _ZN7rocprim17ROCPRIM_400000_NS6detail17trampoline_kernelINS0_13select_configILj256ELj13ELNS0_17block_load_methodE3ELS4_3ELS4_3ELNS0_20block_scan_algorithmE0ELj4294967295EEENS1_25partition_config_selectorILNS1_17partition_subalgoE3EjNS0_10empty_typeEbEEZZNS1_14partition_implILS8_3ELb0ES6_jNS0_17counting_iteratorIjlEEPS9_SE_NS0_5tupleIJPjSE_EEENSF_IJSE_SE_EEES9_SG_JZNS1_25segmented_radix_sort_implINS0_14default_configELb1EPK6__halfPSL_PKlPlN2at6native12_GLOBAL__N_18offset_tEEE10hipError_tPvRmT1_PNSt15iterator_traitsISZ_E10value_typeET2_T3_PNS10_IS15_E10value_typeET4_jRbjT5_S1B_jjP12ihipStream_tbEUljE_EEESW_SX_SY_S15_S19_S1B_T6_T7_T9_mT8_S1D_bDpT10_ENKUlT_T0_E_clISt17integral_constantIbLb1EES1Q_EEDaS1L_S1M_EUlS1L_E_NS1_11comp_targetILNS1_3genE2ELNS1_11target_archE906ELNS1_3gpuE6ELNS1_3repE0EEENS1_30default_config_static_selectorELNS0_4arch9wavefront6targetE1EEEvSZ_
	.p2align	8
	.type	_ZN7rocprim17ROCPRIM_400000_NS6detail17trampoline_kernelINS0_13select_configILj256ELj13ELNS0_17block_load_methodE3ELS4_3ELS4_3ELNS0_20block_scan_algorithmE0ELj4294967295EEENS1_25partition_config_selectorILNS1_17partition_subalgoE3EjNS0_10empty_typeEbEEZZNS1_14partition_implILS8_3ELb0ES6_jNS0_17counting_iteratorIjlEEPS9_SE_NS0_5tupleIJPjSE_EEENSF_IJSE_SE_EEES9_SG_JZNS1_25segmented_radix_sort_implINS0_14default_configELb1EPK6__halfPSL_PKlPlN2at6native12_GLOBAL__N_18offset_tEEE10hipError_tPvRmT1_PNSt15iterator_traitsISZ_E10value_typeET2_T3_PNS10_IS15_E10value_typeET4_jRbjT5_S1B_jjP12ihipStream_tbEUljE_EEESW_SX_SY_S15_S19_S1B_T6_T7_T9_mT8_S1D_bDpT10_ENKUlT_T0_E_clISt17integral_constantIbLb1EES1Q_EEDaS1L_S1M_EUlS1L_E_NS1_11comp_targetILNS1_3genE2ELNS1_11target_archE906ELNS1_3gpuE6ELNS1_3repE0EEENS1_30default_config_static_selectorELNS0_4arch9wavefront6targetE1EEEvSZ_,@function
_ZN7rocprim17ROCPRIM_400000_NS6detail17trampoline_kernelINS0_13select_configILj256ELj13ELNS0_17block_load_methodE3ELS4_3ELS4_3ELNS0_20block_scan_algorithmE0ELj4294967295EEENS1_25partition_config_selectorILNS1_17partition_subalgoE3EjNS0_10empty_typeEbEEZZNS1_14partition_implILS8_3ELb0ES6_jNS0_17counting_iteratorIjlEEPS9_SE_NS0_5tupleIJPjSE_EEENSF_IJSE_SE_EEES9_SG_JZNS1_25segmented_radix_sort_implINS0_14default_configELb1EPK6__halfPSL_PKlPlN2at6native12_GLOBAL__N_18offset_tEEE10hipError_tPvRmT1_PNSt15iterator_traitsISZ_E10value_typeET2_T3_PNS10_IS15_E10value_typeET4_jRbjT5_S1B_jjP12ihipStream_tbEUljE_EEESW_SX_SY_S15_S19_S1B_T6_T7_T9_mT8_S1D_bDpT10_ENKUlT_T0_E_clISt17integral_constantIbLb1EES1Q_EEDaS1L_S1M_EUlS1L_E_NS1_11comp_targetILNS1_3genE2ELNS1_11target_archE906ELNS1_3gpuE6ELNS1_3repE0EEENS1_30default_config_static_selectorELNS0_4arch9wavefront6targetE1EEEvSZ_: ; @_ZN7rocprim17ROCPRIM_400000_NS6detail17trampoline_kernelINS0_13select_configILj256ELj13ELNS0_17block_load_methodE3ELS4_3ELS4_3ELNS0_20block_scan_algorithmE0ELj4294967295EEENS1_25partition_config_selectorILNS1_17partition_subalgoE3EjNS0_10empty_typeEbEEZZNS1_14partition_implILS8_3ELb0ES6_jNS0_17counting_iteratorIjlEEPS9_SE_NS0_5tupleIJPjSE_EEENSF_IJSE_SE_EEES9_SG_JZNS1_25segmented_radix_sort_implINS0_14default_configELb1EPK6__halfPSL_PKlPlN2at6native12_GLOBAL__N_18offset_tEEE10hipError_tPvRmT1_PNSt15iterator_traitsISZ_E10value_typeET2_T3_PNS10_IS15_E10value_typeET4_jRbjT5_S1B_jjP12ihipStream_tbEUljE_EEESW_SX_SY_S15_S19_S1B_T6_T7_T9_mT8_S1D_bDpT10_ENKUlT_T0_E_clISt17integral_constantIbLb1EES1Q_EEDaS1L_S1M_EUlS1L_E_NS1_11comp_targetILNS1_3genE2ELNS1_11target_archE906ELNS1_3gpuE6ELNS1_3repE0EEENS1_30default_config_static_selectorELNS0_4arch9wavefront6targetE1EEEvSZ_
; %bb.0:
	s_endpgm
	.section	.rodata,"a",@progbits
	.p2align	6, 0x0
	.amdhsa_kernel _ZN7rocprim17ROCPRIM_400000_NS6detail17trampoline_kernelINS0_13select_configILj256ELj13ELNS0_17block_load_methodE3ELS4_3ELS4_3ELNS0_20block_scan_algorithmE0ELj4294967295EEENS1_25partition_config_selectorILNS1_17partition_subalgoE3EjNS0_10empty_typeEbEEZZNS1_14partition_implILS8_3ELb0ES6_jNS0_17counting_iteratorIjlEEPS9_SE_NS0_5tupleIJPjSE_EEENSF_IJSE_SE_EEES9_SG_JZNS1_25segmented_radix_sort_implINS0_14default_configELb1EPK6__halfPSL_PKlPlN2at6native12_GLOBAL__N_18offset_tEEE10hipError_tPvRmT1_PNSt15iterator_traitsISZ_E10value_typeET2_T3_PNS10_IS15_E10value_typeET4_jRbjT5_S1B_jjP12ihipStream_tbEUljE_EEESW_SX_SY_S15_S19_S1B_T6_T7_T9_mT8_S1D_bDpT10_ENKUlT_T0_E_clISt17integral_constantIbLb1EES1Q_EEDaS1L_S1M_EUlS1L_E_NS1_11comp_targetILNS1_3genE2ELNS1_11target_archE906ELNS1_3gpuE6ELNS1_3repE0EEENS1_30default_config_static_selectorELNS0_4arch9wavefront6targetE1EEEvSZ_
		.amdhsa_group_segment_fixed_size 0
		.amdhsa_private_segment_fixed_size 0
		.amdhsa_kernarg_size 152
		.amdhsa_user_sgpr_count 6
		.amdhsa_user_sgpr_private_segment_buffer 1
		.amdhsa_user_sgpr_dispatch_ptr 0
		.amdhsa_user_sgpr_queue_ptr 0
		.amdhsa_user_sgpr_kernarg_segment_ptr 1
		.amdhsa_user_sgpr_dispatch_id 0
		.amdhsa_user_sgpr_flat_scratch_init 0
		.amdhsa_user_sgpr_private_segment_size 0
		.amdhsa_uses_dynamic_stack 0
		.amdhsa_system_sgpr_private_segment_wavefront_offset 0
		.amdhsa_system_sgpr_workgroup_id_x 1
		.amdhsa_system_sgpr_workgroup_id_y 0
		.amdhsa_system_sgpr_workgroup_id_z 0
		.amdhsa_system_sgpr_workgroup_info 0
		.amdhsa_system_vgpr_workitem_id 0
		.amdhsa_next_free_vgpr 1
		.amdhsa_next_free_sgpr 0
		.amdhsa_reserve_vcc 0
		.amdhsa_reserve_flat_scratch 0
		.amdhsa_float_round_mode_32 0
		.amdhsa_float_round_mode_16_64 0
		.amdhsa_float_denorm_mode_32 3
		.amdhsa_float_denorm_mode_16_64 3
		.amdhsa_dx10_clamp 1
		.amdhsa_ieee_mode 1
		.amdhsa_fp16_overflow 0
		.amdhsa_exception_fp_ieee_invalid_op 0
		.amdhsa_exception_fp_denorm_src 0
		.amdhsa_exception_fp_ieee_div_zero 0
		.amdhsa_exception_fp_ieee_overflow 0
		.amdhsa_exception_fp_ieee_underflow 0
		.amdhsa_exception_fp_ieee_inexact 0
		.amdhsa_exception_int_div_zero 0
	.end_amdhsa_kernel
	.section	.text._ZN7rocprim17ROCPRIM_400000_NS6detail17trampoline_kernelINS0_13select_configILj256ELj13ELNS0_17block_load_methodE3ELS4_3ELS4_3ELNS0_20block_scan_algorithmE0ELj4294967295EEENS1_25partition_config_selectorILNS1_17partition_subalgoE3EjNS0_10empty_typeEbEEZZNS1_14partition_implILS8_3ELb0ES6_jNS0_17counting_iteratorIjlEEPS9_SE_NS0_5tupleIJPjSE_EEENSF_IJSE_SE_EEES9_SG_JZNS1_25segmented_radix_sort_implINS0_14default_configELb1EPK6__halfPSL_PKlPlN2at6native12_GLOBAL__N_18offset_tEEE10hipError_tPvRmT1_PNSt15iterator_traitsISZ_E10value_typeET2_T3_PNS10_IS15_E10value_typeET4_jRbjT5_S1B_jjP12ihipStream_tbEUljE_EEESW_SX_SY_S15_S19_S1B_T6_T7_T9_mT8_S1D_bDpT10_ENKUlT_T0_E_clISt17integral_constantIbLb1EES1Q_EEDaS1L_S1M_EUlS1L_E_NS1_11comp_targetILNS1_3genE2ELNS1_11target_archE906ELNS1_3gpuE6ELNS1_3repE0EEENS1_30default_config_static_selectorELNS0_4arch9wavefront6targetE1EEEvSZ_,"axG",@progbits,_ZN7rocprim17ROCPRIM_400000_NS6detail17trampoline_kernelINS0_13select_configILj256ELj13ELNS0_17block_load_methodE3ELS4_3ELS4_3ELNS0_20block_scan_algorithmE0ELj4294967295EEENS1_25partition_config_selectorILNS1_17partition_subalgoE3EjNS0_10empty_typeEbEEZZNS1_14partition_implILS8_3ELb0ES6_jNS0_17counting_iteratorIjlEEPS9_SE_NS0_5tupleIJPjSE_EEENSF_IJSE_SE_EEES9_SG_JZNS1_25segmented_radix_sort_implINS0_14default_configELb1EPK6__halfPSL_PKlPlN2at6native12_GLOBAL__N_18offset_tEEE10hipError_tPvRmT1_PNSt15iterator_traitsISZ_E10value_typeET2_T3_PNS10_IS15_E10value_typeET4_jRbjT5_S1B_jjP12ihipStream_tbEUljE_EEESW_SX_SY_S15_S19_S1B_T6_T7_T9_mT8_S1D_bDpT10_ENKUlT_T0_E_clISt17integral_constantIbLb1EES1Q_EEDaS1L_S1M_EUlS1L_E_NS1_11comp_targetILNS1_3genE2ELNS1_11target_archE906ELNS1_3gpuE6ELNS1_3repE0EEENS1_30default_config_static_selectorELNS0_4arch9wavefront6targetE1EEEvSZ_,comdat
.Lfunc_end1719:
	.size	_ZN7rocprim17ROCPRIM_400000_NS6detail17trampoline_kernelINS0_13select_configILj256ELj13ELNS0_17block_load_methodE3ELS4_3ELS4_3ELNS0_20block_scan_algorithmE0ELj4294967295EEENS1_25partition_config_selectorILNS1_17partition_subalgoE3EjNS0_10empty_typeEbEEZZNS1_14partition_implILS8_3ELb0ES6_jNS0_17counting_iteratorIjlEEPS9_SE_NS0_5tupleIJPjSE_EEENSF_IJSE_SE_EEES9_SG_JZNS1_25segmented_radix_sort_implINS0_14default_configELb1EPK6__halfPSL_PKlPlN2at6native12_GLOBAL__N_18offset_tEEE10hipError_tPvRmT1_PNSt15iterator_traitsISZ_E10value_typeET2_T3_PNS10_IS15_E10value_typeET4_jRbjT5_S1B_jjP12ihipStream_tbEUljE_EEESW_SX_SY_S15_S19_S1B_T6_T7_T9_mT8_S1D_bDpT10_ENKUlT_T0_E_clISt17integral_constantIbLb1EES1Q_EEDaS1L_S1M_EUlS1L_E_NS1_11comp_targetILNS1_3genE2ELNS1_11target_archE906ELNS1_3gpuE6ELNS1_3repE0EEENS1_30default_config_static_selectorELNS0_4arch9wavefront6targetE1EEEvSZ_, .Lfunc_end1719-_ZN7rocprim17ROCPRIM_400000_NS6detail17trampoline_kernelINS0_13select_configILj256ELj13ELNS0_17block_load_methodE3ELS4_3ELS4_3ELNS0_20block_scan_algorithmE0ELj4294967295EEENS1_25partition_config_selectorILNS1_17partition_subalgoE3EjNS0_10empty_typeEbEEZZNS1_14partition_implILS8_3ELb0ES6_jNS0_17counting_iteratorIjlEEPS9_SE_NS0_5tupleIJPjSE_EEENSF_IJSE_SE_EEES9_SG_JZNS1_25segmented_radix_sort_implINS0_14default_configELb1EPK6__halfPSL_PKlPlN2at6native12_GLOBAL__N_18offset_tEEE10hipError_tPvRmT1_PNSt15iterator_traitsISZ_E10value_typeET2_T3_PNS10_IS15_E10value_typeET4_jRbjT5_S1B_jjP12ihipStream_tbEUljE_EEESW_SX_SY_S15_S19_S1B_T6_T7_T9_mT8_S1D_bDpT10_ENKUlT_T0_E_clISt17integral_constantIbLb1EES1Q_EEDaS1L_S1M_EUlS1L_E_NS1_11comp_targetILNS1_3genE2ELNS1_11target_archE906ELNS1_3gpuE6ELNS1_3repE0EEENS1_30default_config_static_selectorELNS0_4arch9wavefront6targetE1EEEvSZ_
                                        ; -- End function
	.set _ZN7rocprim17ROCPRIM_400000_NS6detail17trampoline_kernelINS0_13select_configILj256ELj13ELNS0_17block_load_methodE3ELS4_3ELS4_3ELNS0_20block_scan_algorithmE0ELj4294967295EEENS1_25partition_config_selectorILNS1_17partition_subalgoE3EjNS0_10empty_typeEbEEZZNS1_14partition_implILS8_3ELb0ES6_jNS0_17counting_iteratorIjlEEPS9_SE_NS0_5tupleIJPjSE_EEENSF_IJSE_SE_EEES9_SG_JZNS1_25segmented_radix_sort_implINS0_14default_configELb1EPK6__halfPSL_PKlPlN2at6native12_GLOBAL__N_18offset_tEEE10hipError_tPvRmT1_PNSt15iterator_traitsISZ_E10value_typeET2_T3_PNS10_IS15_E10value_typeET4_jRbjT5_S1B_jjP12ihipStream_tbEUljE_EEESW_SX_SY_S15_S19_S1B_T6_T7_T9_mT8_S1D_bDpT10_ENKUlT_T0_E_clISt17integral_constantIbLb1EES1Q_EEDaS1L_S1M_EUlS1L_E_NS1_11comp_targetILNS1_3genE2ELNS1_11target_archE906ELNS1_3gpuE6ELNS1_3repE0EEENS1_30default_config_static_selectorELNS0_4arch9wavefront6targetE1EEEvSZ_.num_vgpr, 0
	.set _ZN7rocprim17ROCPRIM_400000_NS6detail17trampoline_kernelINS0_13select_configILj256ELj13ELNS0_17block_load_methodE3ELS4_3ELS4_3ELNS0_20block_scan_algorithmE0ELj4294967295EEENS1_25partition_config_selectorILNS1_17partition_subalgoE3EjNS0_10empty_typeEbEEZZNS1_14partition_implILS8_3ELb0ES6_jNS0_17counting_iteratorIjlEEPS9_SE_NS0_5tupleIJPjSE_EEENSF_IJSE_SE_EEES9_SG_JZNS1_25segmented_radix_sort_implINS0_14default_configELb1EPK6__halfPSL_PKlPlN2at6native12_GLOBAL__N_18offset_tEEE10hipError_tPvRmT1_PNSt15iterator_traitsISZ_E10value_typeET2_T3_PNS10_IS15_E10value_typeET4_jRbjT5_S1B_jjP12ihipStream_tbEUljE_EEESW_SX_SY_S15_S19_S1B_T6_T7_T9_mT8_S1D_bDpT10_ENKUlT_T0_E_clISt17integral_constantIbLb1EES1Q_EEDaS1L_S1M_EUlS1L_E_NS1_11comp_targetILNS1_3genE2ELNS1_11target_archE906ELNS1_3gpuE6ELNS1_3repE0EEENS1_30default_config_static_selectorELNS0_4arch9wavefront6targetE1EEEvSZ_.num_agpr, 0
	.set _ZN7rocprim17ROCPRIM_400000_NS6detail17trampoline_kernelINS0_13select_configILj256ELj13ELNS0_17block_load_methodE3ELS4_3ELS4_3ELNS0_20block_scan_algorithmE0ELj4294967295EEENS1_25partition_config_selectorILNS1_17partition_subalgoE3EjNS0_10empty_typeEbEEZZNS1_14partition_implILS8_3ELb0ES6_jNS0_17counting_iteratorIjlEEPS9_SE_NS0_5tupleIJPjSE_EEENSF_IJSE_SE_EEES9_SG_JZNS1_25segmented_radix_sort_implINS0_14default_configELb1EPK6__halfPSL_PKlPlN2at6native12_GLOBAL__N_18offset_tEEE10hipError_tPvRmT1_PNSt15iterator_traitsISZ_E10value_typeET2_T3_PNS10_IS15_E10value_typeET4_jRbjT5_S1B_jjP12ihipStream_tbEUljE_EEESW_SX_SY_S15_S19_S1B_T6_T7_T9_mT8_S1D_bDpT10_ENKUlT_T0_E_clISt17integral_constantIbLb1EES1Q_EEDaS1L_S1M_EUlS1L_E_NS1_11comp_targetILNS1_3genE2ELNS1_11target_archE906ELNS1_3gpuE6ELNS1_3repE0EEENS1_30default_config_static_selectorELNS0_4arch9wavefront6targetE1EEEvSZ_.numbered_sgpr, 0
	.set _ZN7rocprim17ROCPRIM_400000_NS6detail17trampoline_kernelINS0_13select_configILj256ELj13ELNS0_17block_load_methodE3ELS4_3ELS4_3ELNS0_20block_scan_algorithmE0ELj4294967295EEENS1_25partition_config_selectorILNS1_17partition_subalgoE3EjNS0_10empty_typeEbEEZZNS1_14partition_implILS8_3ELb0ES6_jNS0_17counting_iteratorIjlEEPS9_SE_NS0_5tupleIJPjSE_EEENSF_IJSE_SE_EEES9_SG_JZNS1_25segmented_radix_sort_implINS0_14default_configELb1EPK6__halfPSL_PKlPlN2at6native12_GLOBAL__N_18offset_tEEE10hipError_tPvRmT1_PNSt15iterator_traitsISZ_E10value_typeET2_T3_PNS10_IS15_E10value_typeET4_jRbjT5_S1B_jjP12ihipStream_tbEUljE_EEESW_SX_SY_S15_S19_S1B_T6_T7_T9_mT8_S1D_bDpT10_ENKUlT_T0_E_clISt17integral_constantIbLb1EES1Q_EEDaS1L_S1M_EUlS1L_E_NS1_11comp_targetILNS1_3genE2ELNS1_11target_archE906ELNS1_3gpuE6ELNS1_3repE0EEENS1_30default_config_static_selectorELNS0_4arch9wavefront6targetE1EEEvSZ_.num_named_barrier, 0
	.set _ZN7rocprim17ROCPRIM_400000_NS6detail17trampoline_kernelINS0_13select_configILj256ELj13ELNS0_17block_load_methodE3ELS4_3ELS4_3ELNS0_20block_scan_algorithmE0ELj4294967295EEENS1_25partition_config_selectorILNS1_17partition_subalgoE3EjNS0_10empty_typeEbEEZZNS1_14partition_implILS8_3ELb0ES6_jNS0_17counting_iteratorIjlEEPS9_SE_NS0_5tupleIJPjSE_EEENSF_IJSE_SE_EEES9_SG_JZNS1_25segmented_radix_sort_implINS0_14default_configELb1EPK6__halfPSL_PKlPlN2at6native12_GLOBAL__N_18offset_tEEE10hipError_tPvRmT1_PNSt15iterator_traitsISZ_E10value_typeET2_T3_PNS10_IS15_E10value_typeET4_jRbjT5_S1B_jjP12ihipStream_tbEUljE_EEESW_SX_SY_S15_S19_S1B_T6_T7_T9_mT8_S1D_bDpT10_ENKUlT_T0_E_clISt17integral_constantIbLb1EES1Q_EEDaS1L_S1M_EUlS1L_E_NS1_11comp_targetILNS1_3genE2ELNS1_11target_archE906ELNS1_3gpuE6ELNS1_3repE0EEENS1_30default_config_static_selectorELNS0_4arch9wavefront6targetE1EEEvSZ_.private_seg_size, 0
	.set _ZN7rocprim17ROCPRIM_400000_NS6detail17trampoline_kernelINS0_13select_configILj256ELj13ELNS0_17block_load_methodE3ELS4_3ELS4_3ELNS0_20block_scan_algorithmE0ELj4294967295EEENS1_25partition_config_selectorILNS1_17partition_subalgoE3EjNS0_10empty_typeEbEEZZNS1_14partition_implILS8_3ELb0ES6_jNS0_17counting_iteratorIjlEEPS9_SE_NS0_5tupleIJPjSE_EEENSF_IJSE_SE_EEES9_SG_JZNS1_25segmented_radix_sort_implINS0_14default_configELb1EPK6__halfPSL_PKlPlN2at6native12_GLOBAL__N_18offset_tEEE10hipError_tPvRmT1_PNSt15iterator_traitsISZ_E10value_typeET2_T3_PNS10_IS15_E10value_typeET4_jRbjT5_S1B_jjP12ihipStream_tbEUljE_EEESW_SX_SY_S15_S19_S1B_T6_T7_T9_mT8_S1D_bDpT10_ENKUlT_T0_E_clISt17integral_constantIbLb1EES1Q_EEDaS1L_S1M_EUlS1L_E_NS1_11comp_targetILNS1_3genE2ELNS1_11target_archE906ELNS1_3gpuE6ELNS1_3repE0EEENS1_30default_config_static_selectorELNS0_4arch9wavefront6targetE1EEEvSZ_.uses_vcc, 0
	.set _ZN7rocprim17ROCPRIM_400000_NS6detail17trampoline_kernelINS0_13select_configILj256ELj13ELNS0_17block_load_methodE3ELS4_3ELS4_3ELNS0_20block_scan_algorithmE0ELj4294967295EEENS1_25partition_config_selectorILNS1_17partition_subalgoE3EjNS0_10empty_typeEbEEZZNS1_14partition_implILS8_3ELb0ES6_jNS0_17counting_iteratorIjlEEPS9_SE_NS0_5tupleIJPjSE_EEENSF_IJSE_SE_EEES9_SG_JZNS1_25segmented_radix_sort_implINS0_14default_configELb1EPK6__halfPSL_PKlPlN2at6native12_GLOBAL__N_18offset_tEEE10hipError_tPvRmT1_PNSt15iterator_traitsISZ_E10value_typeET2_T3_PNS10_IS15_E10value_typeET4_jRbjT5_S1B_jjP12ihipStream_tbEUljE_EEESW_SX_SY_S15_S19_S1B_T6_T7_T9_mT8_S1D_bDpT10_ENKUlT_T0_E_clISt17integral_constantIbLb1EES1Q_EEDaS1L_S1M_EUlS1L_E_NS1_11comp_targetILNS1_3genE2ELNS1_11target_archE906ELNS1_3gpuE6ELNS1_3repE0EEENS1_30default_config_static_selectorELNS0_4arch9wavefront6targetE1EEEvSZ_.uses_flat_scratch, 0
	.set _ZN7rocprim17ROCPRIM_400000_NS6detail17trampoline_kernelINS0_13select_configILj256ELj13ELNS0_17block_load_methodE3ELS4_3ELS4_3ELNS0_20block_scan_algorithmE0ELj4294967295EEENS1_25partition_config_selectorILNS1_17partition_subalgoE3EjNS0_10empty_typeEbEEZZNS1_14partition_implILS8_3ELb0ES6_jNS0_17counting_iteratorIjlEEPS9_SE_NS0_5tupleIJPjSE_EEENSF_IJSE_SE_EEES9_SG_JZNS1_25segmented_radix_sort_implINS0_14default_configELb1EPK6__halfPSL_PKlPlN2at6native12_GLOBAL__N_18offset_tEEE10hipError_tPvRmT1_PNSt15iterator_traitsISZ_E10value_typeET2_T3_PNS10_IS15_E10value_typeET4_jRbjT5_S1B_jjP12ihipStream_tbEUljE_EEESW_SX_SY_S15_S19_S1B_T6_T7_T9_mT8_S1D_bDpT10_ENKUlT_T0_E_clISt17integral_constantIbLb1EES1Q_EEDaS1L_S1M_EUlS1L_E_NS1_11comp_targetILNS1_3genE2ELNS1_11target_archE906ELNS1_3gpuE6ELNS1_3repE0EEENS1_30default_config_static_selectorELNS0_4arch9wavefront6targetE1EEEvSZ_.has_dyn_sized_stack, 0
	.set _ZN7rocprim17ROCPRIM_400000_NS6detail17trampoline_kernelINS0_13select_configILj256ELj13ELNS0_17block_load_methodE3ELS4_3ELS4_3ELNS0_20block_scan_algorithmE0ELj4294967295EEENS1_25partition_config_selectorILNS1_17partition_subalgoE3EjNS0_10empty_typeEbEEZZNS1_14partition_implILS8_3ELb0ES6_jNS0_17counting_iteratorIjlEEPS9_SE_NS0_5tupleIJPjSE_EEENSF_IJSE_SE_EEES9_SG_JZNS1_25segmented_radix_sort_implINS0_14default_configELb1EPK6__halfPSL_PKlPlN2at6native12_GLOBAL__N_18offset_tEEE10hipError_tPvRmT1_PNSt15iterator_traitsISZ_E10value_typeET2_T3_PNS10_IS15_E10value_typeET4_jRbjT5_S1B_jjP12ihipStream_tbEUljE_EEESW_SX_SY_S15_S19_S1B_T6_T7_T9_mT8_S1D_bDpT10_ENKUlT_T0_E_clISt17integral_constantIbLb1EES1Q_EEDaS1L_S1M_EUlS1L_E_NS1_11comp_targetILNS1_3genE2ELNS1_11target_archE906ELNS1_3gpuE6ELNS1_3repE0EEENS1_30default_config_static_selectorELNS0_4arch9wavefront6targetE1EEEvSZ_.has_recursion, 0
	.set _ZN7rocprim17ROCPRIM_400000_NS6detail17trampoline_kernelINS0_13select_configILj256ELj13ELNS0_17block_load_methodE3ELS4_3ELS4_3ELNS0_20block_scan_algorithmE0ELj4294967295EEENS1_25partition_config_selectorILNS1_17partition_subalgoE3EjNS0_10empty_typeEbEEZZNS1_14partition_implILS8_3ELb0ES6_jNS0_17counting_iteratorIjlEEPS9_SE_NS0_5tupleIJPjSE_EEENSF_IJSE_SE_EEES9_SG_JZNS1_25segmented_radix_sort_implINS0_14default_configELb1EPK6__halfPSL_PKlPlN2at6native12_GLOBAL__N_18offset_tEEE10hipError_tPvRmT1_PNSt15iterator_traitsISZ_E10value_typeET2_T3_PNS10_IS15_E10value_typeET4_jRbjT5_S1B_jjP12ihipStream_tbEUljE_EEESW_SX_SY_S15_S19_S1B_T6_T7_T9_mT8_S1D_bDpT10_ENKUlT_T0_E_clISt17integral_constantIbLb1EES1Q_EEDaS1L_S1M_EUlS1L_E_NS1_11comp_targetILNS1_3genE2ELNS1_11target_archE906ELNS1_3gpuE6ELNS1_3repE0EEENS1_30default_config_static_selectorELNS0_4arch9wavefront6targetE1EEEvSZ_.has_indirect_call, 0
	.section	.AMDGPU.csdata,"",@progbits
; Kernel info:
; codeLenInByte = 4
; TotalNumSgprs: 4
; NumVgprs: 0
; ScratchSize: 0
; MemoryBound: 0
; FloatMode: 240
; IeeeMode: 1
; LDSByteSize: 0 bytes/workgroup (compile time only)
; SGPRBlocks: 0
; VGPRBlocks: 0
; NumSGPRsForWavesPerEU: 4
; NumVGPRsForWavesPerEU: 1
; Occupancy: 10
; WaveLimiterHint : 0
; COMPUTE_PGM_RSRC2:SCRATCH_EN: 0
; COMPUTE_PGM_RSRC2:USER_SGPR: 6
; COMPUTE_PGM_RSRC2:TRAP_HANDLER: 0
; COMPUTE_PGM_RSRC2:TGID_X_EN: 1
; COMPUTE_PGM_RSRC2:TGID_Y_EN: 0
; COMPUTE_PGM_RSRC2:TGID_Z_EN: 0
; COMPUTE_PGM_RSRC2:TIDIG_COMP_CNT: 0
	.section	.text._ZN7rocprim17ROCPRIM_400000_NS6detail17trampoline_kernelINS0_13select_configILj256ELj13ELNS0_17block_load_methodE3ELS4_3ELS4_3ELNS0_20block_scan_algorithmE0ELj4294967295EEENS1_25partition_config_selectorILNS1_17partition_subalgoE3EjNS0_10empty_typeEbEEZZNS1_14partition_implILS8_3ELb0ES6_jNS0_17counting_iteratorIjlEEPS9_SE_NS0_5tupleIJPjSE_EEENSF_IJSE_SE_EEES9_SG_JZNS1_25segmented_radix_sort_implINS0_14default_configELb1EPK6__halfPSL_PKlPlN2at6native12_GLOBAL__N_18offset_tEEE10hipError_tPvRmT1_PNSt15iterator_traitsISZ_E10value_typeET2_T3_PNS10_IS15_E10value_typeET4_jRbjT5_S1B_jjP12ihipStream_tbEUljE_EEESW_SX_SY_S15_S19_S1B_T6_T7_T9_mT8_S1D_bDpT10_ENKUlT_T0_E_clISt17integral_constantIbLb1EES1Q_EEDaS1L_S1M_EUlS1L_E_NS1_11comp_targetILNS1_3genE10ELNS1_11target_archE1200ELNS1_3gpuE4ELNS1_3repE0EEENS1_30default_config_static_selectorELNS0_4arch9wavefront6targetE1EEEvSZ_,"axG",@progbits,_ZN7rocprim17ROCPRIM_400000_NS6detail17trampoline_kernelINS0_13select_configILj256ELj13ELNS0_17block_load_methodE3ELS4_3ELS4_3ELNS0_20block_scan_algorithmE0ELj4294967295EEENS1_25partition_config_selectorILNS1_17partition_subalgoE3EjNS0_10empty_typeEbEEZZNS1_14partition_implILS8_3ELb0ES6_jNS0_17counting_iteratorIjlEEPS9_SE_NS0_5tupleIJPjSE_EEENSF_IJSE_SE_EEES9_SG_JZNS1_25segmented_radix_sort_implINS0_14default_configELb1EPK6__halfPSL_PKlPlN2at6native12_GLOBAL__N_18offset_tEEE10hipError_tPvRmT1_PNSt15iterator_traitsISZ_E10value_typeET2_T3_PNS10_IS15_E10value_typeET4_jRbjT5_S1B_jjP12ihipStream_tbEUljE_EEESW_SX_SY_S15_S19_S1B_T6_T7_T9_mT8_S1D_bDpT10_ENKUlT_T0_E_clISt17integral_constantIbLb1EES1Q_EEDaS1L_S1M_EUlS1L_E_NS1_11comp_targetILNS1_3genE10ELNS1_11target_archE1200ELNS1_3gpuE4ELNS1_3repE0EEENS1_30default_config_static_selectorELNS0_4arch9wavefront6targetE1EEEvSZ_,comdat
	.globl	_ZN7rocprim17ROCPRIM_400000_NS6detail17trampoline_kernelINS0_13select_configILj256ELj13ELNS0_17block_load_methodE3ELS4_3ELS4_3ELNS0_20block_scan_algorithmE0ELj4294967295EEENS1_25partition_config_selectorILNS1_17partition_subalgoE3EjNS0_10empty_typeEbEEZZNS1_14partition_implILS8_3ELb0ES6_jNS0_17counting_iteratorIjlEEPS9_SE_NS0_5tupleIJPjSE_EEENSF_IJSE_SE_EEES9_SG_JZNS1_25segmented_radix_sort_implINS0_14default_configELb1EPK6__halfPSL_PKlPlN2at6native12_GLOBAL__N_18offset_tEEE10hipError_tPvRmT1_PNSt15iterator_traitsISZ_E10value_typeET2_T3_PNS10_IS15_E10value_typeET4_jRbjT5_S1B_jjP12ihipStream_tbEUljE_EEESW_SX_SY_S15_S19_S1B_T6_T7_T9_mT8_S1D_bDpT10_ENKUlT_T0_E_clISt17integral_constantIbLb1EES1Q_EEDaS1L_S1M_EUlS1L_E_NS1_11comp_targetILNS1_3genE10ELNS1_11target_archE1200ELNS1_3gpuE4ELNS1_3repE0EEENS1_30default_config_static_selectorELNS0_4arch9wavefront6targetE1EEEvSZ_ ; -- Begin function _ZN7rocprim17ROCPRIM_400000_NS6detail17trampoline_kernelINS0_13select_configILj256ELj13ELNS0_17block_load_methodE3ELS4_3ELS4_3ELNS0_20block_scan_algorithmE0ELj4294967295EEENS1_25partition_config_selectorILNS1_17partition_subalgoE3EjNS0_10empty_typeEbEEZZNS1_14partition_implILS8_3ELb0ES6_jNS0_17counting_iteratorIjlEEPS9_SE_NS0_5tupleIJPjSE_EEENSF_IJSE_SE_EEES9_SG_JZNS1_25segmented_radix_sort_implINS0_14default_configELb1EPK6__halfPSL_PKlPlN2at6native12_GLOBAL__N_18offset_tEEE10hipError_tPvRmT1_PNSt15iterator_traitsISZ_E10value_typeET2_T3_PNS10_IS15_E10value_typeET4_jRbjT5_S1B_jjP12ihipStream_tbEUljE_EEESW_SX_SY_S15_S19_S1B_T6_T7_T9_mT8_S1D_bDpT10_ENKUlT_T0_E_clISt17integral_constantIbLb1EES1Q_EEDaS1L_S1M_EUlS1L_E_NS1_11comp_targetILNS1_3genE10ELNS1_11target_archE1200ELNS1_3gpuE4ELNS1_3repE0EEENS1_30default_config_static_selectorELNS0_4arch9wavefront6targetE1EEEvSZ_
	.p2align	8
	.type	_ZN7rocprim17ROCPRIM_400000_NS6detail17trampoline_kernelINS0_13select_configILj256ELj13ELNS0_17block_load_methodE3ELS4_3ELS4_3ELNS0_20block_scan_algorithmE0ELj4294967295EEENS1_25partition_config_selectorILNS1_17partition_subalgoE3EjNS0_10empty_typeEbEEZZNS1_14partition_implILS8_3ELb0ES6_jNS0_17counting_iteratorIjlEEPS9_SE_NS0_5tupleIJPjSE_EEENSF_IJSE_SE_EEES9_SG_JZNS1_25segmented_radix_sort_implINS0_14default_configELb1EPK6__halfPSL_PKlPlN2at6native12_GLOBAL__N_18offset_tEEE10hipError_tPvRmT1_PNSt15iterator_traitsISZ_E10value_typeET2_T3_PNS10_IS15_E10value_typeET4_jRbjT5_S1B_jjP12ihipStream_tbEUljE_EEESW_SX_SY_S15_S19_S1B_T6_T7_T9_mT8_S1D_bDpT10_ENKUlT_T0_E_clISt17integral_constantIbLb1EES1Q_EEDaS1L_S1M_EUlS1L_E_NS1_11comp_targetILNS1_3genE10ELNS1_11target_archE1200ELNS1_3gpuE4ELNS1_3repE0EEENS1_30default_config_static_selectorELNS0_4arch9wavefront6targetE1EEEvSZ_,@function
_ZN7rocprim17ROCPRIM_400000_NS6detail17trampoline_kernelINS0_13select_configILj256ELj13ELNS0_17block_load_methodE3ELS4_3ELS4_3ELNS0_20block_scan_algorithmE0ELj4294967295EEENS1_25partition_config_selectorILNS1_17partition_subalgoE3EjNS0_10empty_typeEbEEZZNS1_14partition_implILS8_3ELb0ES6_jNS0_17counting_iteratorIjlEEPS9_SE_NS0_5tupleIJPjSE_EEENSF_IJSE_SE_EEES9_SG_JZNS1_25segmented_radix_sort_implINS0_14default_configELb1EPK6__halfPSL_PKlPlN2at6native12_GLOBAL__N_18offset_tEEE10hipError_tPvRmT1_PNSt15iterator_traitsISZ_E10value_typeET2_T3_PNS10_IS15_E10value_typeET4_jRbjT5_S1B_jjP12ihipStream_tbEUljE_EEESW_SX_SY_S15_S19_S1B_T6_T7_T9_mT8_S1D_bDpT10_ENKUlT_T0_E_clISt17integral_constantIbLb1EES1Q_EEDaS1L_S1M_EUlS1L_E_NS1_11comp_targetILNS1_3genE10ELNS1_11target_archE1200ELNS1_3gpuE4ELNS1_3repE0EEENS1_30default_config_static_selectorELNS0_4arch9wavefront6targetE1EEEvSZ_: ; @_ZN7rocprim17ROCPRIM_400000_NS6detail17trampoline_kernelINS0_13select_configILj256ELj13ELNS0_17block_load_methodE3ELS4_3ELS4_3ELNS0_20block_scan_algorithmE0ELj4294967295EEENS1_25partition_config_selectorILNS1_17partition_subalgoE3EjNS0_10empty_typeEbEEZZNS1_14partition_implILS8_3ELb0ES6_jNS0_17counting_iteratorIjlEEPS9_SE_NS0_5tupleIJPjSE_EEENSF_IJSE_SE_EEES9_SG_JZNS1_25segmented_radix_sort_implINS0_14default_configELb1EPK6__halfPSL_PKlPlN2at6native12_GLOBAL__N_18offset_tEEE10hipError_tPvRmT1_PNSt15iterator_traitsISZ_E10value_typeET2_T3_PNS10_IS15_E10value_typeET4_jRbjT5_S1B_jjP12ihipStream_tbEUljE_EEESW_SX_SY_S15_S19_S1B_T6_T7_T9_mT8_S1D_bDpT10_ENKUlT_T0_E_clISt17integral_constantIbLb1EES1Q_EEDaS1L_S1M_EUlS1L_E_NS1_11comp_targetILNS1_3genE10ELNS1_11target_archE1200ELNS1_3gpuE4ELNS1_3repE0EEENS1_30default_config_static_selectorELNS0_4arch9wavefront6targetE1EEEvSZ_
; %bb.0:
	.section	.rodata,"a",@progbits
	.p2align	6, 0x0
	.amdhsa_kernel _ZN7rocprim17ROCPRIM_400000_NS6detail17trampoline_kernelINS0_13select_configILj256ELj13ELNS0_17block_load_methodE3ELS4_3ELS4_3ELNS0_20block_scan_algorithmE0ELj4294967295EEENS1_25partition_config_selectorILNS1_17partition_subalgoE3EjNS0_10empty_typeEbEEZZNS1_14partition_implILS8_3ELb0ES6_jNS0_17counting_iteratorIjlEEPS9_SE_NS0_5tupleIJPjSE_EEENSF_IJSE_SE_EEES9_SG_JZNS1_25segmented_radix_sort_implINS0_14default_configELb1EPK6__halfPSL_PKlPlN2at6native12_GLOBAL__N_18offset_tEEE10hipError_tPvRmT1_PNSt15iterator_traitsISZ_E10value_typeET2_T3_PNS10_IS15_E10value_typeET4_jRbjT5_S1B_jjP12ihipStream_tbEUljE_EEESW_SX_SY_S15_S19_S1B_T6_T7_T9_mT8_S1D_bDpT10_ENKUlT_T0_E_clISt17integral_constantIbLb1EES1Q_EEDaS1L_S1M_EUlS1L_E_NS1_11comp_targetILNS1_3genE10ELNS1_11target_archE1200ELNS1_3gpuE4ELNS1_3repE0EEENS1_30default_config_static_selectorELNS0_4arch9wavefront6targetE1EEEvSZ_
		.amdhsa_group_segment_fixed_size 0
		.amdhsa_private_segment_fixed_size 0
		.amdhsa_kernarg_size 152
		.amdhsa_user_sgpr_count 6
		.amdhsa_user_sgpr_private_segment_buffer 1
		.amdhsa_user_sgpr_dispatch_ptr 0
		.amdhsa_user_sgpr_queue_ptr 0
		.amdhsa_user_sgpr_kernarg_segment_ptr 1
		.amdhsa_user_sgpr_dispatch_id 0
		.amdhsa_user_sgpr_flat_scratch_init 0
		.amdhsa_user_sgpr_private_segment_size 0
		.amdhsa_uses_dynamic_stack 0
		.amdhsa_system_sgpr_private_segment_wavefront_offset 0
		.amdhsa_system_sgpr_workgroup_id_x 1
		.amdhsa_system_sgpr_workgroup_id_y 0
		.amdhsa_system_sgpr_workgroup_id_z 0
		.amdhsa_system_sgpr_workgroup_info 0
		.amdhsa_system_vgpr_workitem_id 0
		.amdhsa_next_free_vgpr 1
		.amdhsa_next_free_sgpr 0
		.amdhsa_reserve_vcc 0
		.amdhsa_reserve_flat_scratch 0
		.amdhsa_float_round_mode_32 0
		.amdhsa_float_round_mode_16_64 0
		.amdhsa_float_denorm_mode_32 3
		.amdhsa_float_denorm_mode_16_64 3
		.amdhsa_dx10_clamp 1
		.amdhsa_ieee_mode 1
		.amdhsa_fp16_overflow 0
		.amdhsa_exception_fp_ieee_invalid_op 0
		.amdhsa_exception_fp_denorm_src 0
		.amdhsa_exception_fp_ieee_div_zero 0
		.amdhsa_exception_fp_ieee_overflow 0
		.amdhsa_exception_fp_ieee_underflow 0
		.amdhsa_exception_fp_ieee_inexact 0
		.amdhsa_exception_int_div_zero 0
	.end_amdhsa_kernel
	.section	.text._ZN7rocprim17ROCPRIM_400000_NS6detail17trampoline_kernelINS0_13select_configILj256ELj13ELNS0_17block_load_methodE3ELS4_3ELS4_3ELNS0_20block_scan_algorithmE0ELj4294967295EEENS1_25partition_config_selectorILNS1_17partition_subalgoE3EjNS0_10empty_typeEbEEZZNS1_14partition_implILS8_3ELb0ES6_jNS0_17counting_iteratorIjlEEPS9_SE_NS0_5tupleIJPjSE_EEENSF_IJSE_SE_EEES9_SG_JZNS1_25segmented_radix_sort_implINS0_14default_configELb1EPK6__halfPSL_PKlPlN2at6native12_GLOBAL__N_18offset_tEEE10hipError_tPvRmT1_PNSt15iterator_traitsISZ_E10value_typeET2_T3_PNS10_IS15_E10value_typeET4_jRbjT5_S1B_jjP12ihipStream_tbEUljE_EEESW_SX_SY_S15_S19_S1B_T6_T7_T9_mT8_S1D_bDpT10_ENKUlT_T0_E_clISt17integral_constantIbLb1EES1Q_EEDaS1L_S1M_EUlS1L_E_NS1_11comp_targetILNS1_3genE10ELNS1_11target_archE1200ELNS1_3gpuE4ELNS1_3repE0EEENS1_30default_config_static_selectorELNS0_4arch9wavefront6targetE1EEEvSZ_,"axG",@progbits,_ZN7rocprim17ROCPRIM_400000_NS6detail17trampoline_kernelINS0_13select_configILj256ELj13ELNS0_17block_load_methodE3ELS4_3ELS4_3ELNS0_20block_scan_algorithmE0ELj4294967295EEENS1_25partition_config_selectorILNS1_17partition_subalgoE3EjNS0_10empty_typeEbEEZZNS1_14partition_implILS8_3ELb0ES6_jNS0_17counting_iteratorIjlEEPS9_SE_NS0_5tupleIJPjSE_EEENSF_IJSE_SE_EEES9_SG_JZNS1_25segmented_radix_sort_implINS0_14default_configELb1EPK6__halfPSL_PKlPlN2at6native12_GLOBAL__N_18offset_tEEE10hipError_tPvRmT1_PNSt15iterator_traitsISZ_E10value_typeET2_T3_PNS10_IS15_E10value_typeET4_jRbjT5_S1B_jjP12ihipStream_tbEUljE_EEESW_SX_SY_S15_S19_S1B_T6_T7_T9_mT8_S1D_bDpT10_ENKUlT_T0_E_clISt17integral_constantIbLb1EES1Q_EEDaS1L_S1M_EUlS1L_E_NS1_11comp_targetILNS1_3genE10ELNS1_11target_archE1200ELNS1_3gpuE4ELNS1_3repE0EEENS1_30default_config_static_selectorELNS0_4arch9wavefront6targetE1EEEvSZ_,comdat
.Lfunc_end1720:
	.size	_ZN7rocprim17ROCPRIM_400000_NS6detail17trampoline_kernelINS0_13select_configILj256ELj13ELNS0_17block_load_methodE3ELS4_3ELS4_3ELNS0_20block_scan_algorithmE0ELj4294967295EEENS1_25partition_config_selectorILNS1_17partition_subalgoE3EjNS0_10empty_typeEbEEZZNS1_14partition_implILS8_3ELb0ES6_jNS0_17counting_iteratorIjlEEPS9_SE_NS0_5tupleIJPjSE_EEENSF_IJSE_SE_EEES9_SG_JZNS1_25segmented_radix_sort_implINS0_14default_configELb1EPK6__halfPSL_PKlPlN2at6native12_GLOBAL__N_18offset_tEEE10hipError_tPvRmT1_PNSt15iterator_traitsISZ_E10value_typeET2_T3_PNS10_IS15_E10value_typeET4_jRbjT5_S1B_jjP12ihipStream_tbEUljE_EEESW_SX_SY_S15_S19_S1B_T6_T7_T9_mT8_S1D_bDpT10_ENKUlT_T0_E_clISt17integral_constantIbLb1EES1Q_EEDaS1L_S1M_EUlS1L_E_NS1_11comp_targetILNS1_3genE10ELNS1_11target_archE1200ELNS1_3gpuE4ELNS1_3repE0EEENS1_30default_config_static_selectorELNS0_4arch9wavefront6targetE1EEEvSZ_, .Lfunc_end1720-_ZN7rocprim17ROCPRIM_400000_NS6detail17trampoline_kernelINS0_13select_configILj256ELj13ELNS0_17block_load_methodE3ELS4_3ELS4_3ELNS0_20block_scan_algorithmE0ELj4294967295EEENS1_25partition_config_selectorILNS1_17partition_subalgoE3EjNS0_10empty_typeEbEEZZNS1_14partition_implILS8_3ELb0ES6_jNS0_17counting_iteratorIjlEEPS9_SE_NS0_5tupleIJPjSE_EEENSF_IJSE_SE_EEES9_SG_JZNS1_25segmented_radix_sort_implINS0_14default_configELb1EPK6__halfPSL_PKlPlN2at6native12_GLOBAL__N_18offset_tEEE10hipError_tPvRmT1_PNSt15iterator_traitsISZ_E10value_typeET2_T3_PNS10_IS15_E10value_typeET4_jRbjT5_S1B_jjP12ihipStream_tbEUljE_EEESW_SX_SY_S15_S19_S1B_T6_T7_T9_mT8_S1D_bDpT10_ENKUlT_T0_E_clISt17integral_constantIbLb1EES1Q_EEDaS1L_S1M_EUlS1L_E_NS1_11comp_targetILNS1_3genE10ELNS1_11target_archE1200ELNS1_3gpuE4ELNS1_3repE0EEENS1_30default_config_static_selectorELNS0_4arch9wavefront6targetE1EEEvSZ_
                                        ; -- End function
	.set _ZN7rocprim17ROCPRIM_400000_NS6detail17trampoline_kernelINS0_13select_configILj256ELj13ELNS0_17block_load_methodE3ELS4_3ELS4_3ELNS0_20block_scan_algorithmE0ELj4294967295EEENS1_25partition_config_selectorILNS1_17partition_subalgoE3EjNS0_10empty_typeEbEEZZNS1_14partition_implILS8_3ELb0ES6_jNS0_17counting_iteratorIjlEEPS9_SE_NS0_5tupleIJPjSE_EEENSF_IJSE_SE_EEES9_SG_JZNS1_25segmented_radix_sort_implINS0_14default_configELb1EPK6__halfPSL_PKlPlN2at6native12_GLOBAL__N_18offset_tEEE10hipError_tPvRmT1_PNSt15iterator_traitsISZ_E10value_typeET2_T3_PNS10_IS15_E10value_typeET4_jRbjT5_S1B_jjP12ihipStream_tbEUljE_EEESW_SX_SY_S15_S19_S1B_T6_T7_T9_mT8_S1D_bDpT10_ENKUlT_T0_E_clISt17integral_constantIbLb1EES1Q_EEDaS1L_S1M_EUlS1L_E_NS1_11comp_targetILNS1_3genE10ELNS1_11target_archE1200ELNS1_3gpuE4ELNS1_3repE0EEENS1_30default_config_static_selectorELNS0_4arch9wavefront6targetE1EEEvSZ_.num_vgpr, 0
	.set _ZN7rocprim17ROCPRIM_400000_NS6detail17trampoline_kernelINS0_13select_configILj256ELj13ELNS0_17block_load_methodE3ELS4_3ELS4_3ELNS0_20block_scan_algorithmE0ELj4294967295EEENS1_25partition_config_selectorILNS1_17partition_subalgoE3EjNS0_10empty_typeEbEEZZNS1_14partition_implILS8_3ELb0ES6_jNS0_17counting_iteratorIjlEEPS9_SE_NS0_5tupleIJPjSE_EEENSF_IJSE_SE_EEES9_SG_JZNS1_25segmented_radix_sort_implINS0_14default_configELb1EPK6__halfPSL_PKlPlN2at6native12_GLOBAL__N_18offset_tEEE10hipError_tPvRmT1_PNSt15iterator_traitsISZ_E10value_typeET2_T3_PNS10_IS15_E10value_typeET4_jRbjT5_S1B_jjP12ihipStream_tbEUljE_EEESW_SX_SY_S15_S19_S1B_T6_T7_T9_mT8_S1D_bDpT10_ENKUlT_T0_E_clISt17integral_constantIbLb1EES1Q_EEDaS1L_S1M_EUlS1L_E_NS1_11comp_targetILNS1_3genE10ELNS1_11target_archE1200ELNS1_3gpuE4ELNS1_3repE0EEENS1_30default_config_static_selectorELNS0_4arch9wavefront6targetE1EEEvSZ_.num_agpr, 0
	.set _ZN7rocprim17ROCPRIM_400000_NS6detail17trampoline_kernelINS0_13select_configILj256ELj13ELNS0_17block_load_methodE3ELS4_3ELS4_3ELNS0_20block_scan_algorithmE0ELj4294967295EEENS1_25partition_config_selectorILNS1_17partition_subalgoE3EjNS0_10empty_typeEbEEZZNS1_14partition_implILS8_3ELb0ES6_jNS0_17counting_iteratorIjlEEPS9_SE_NS0_5tupleIJPjSE_EEENSF_IJSE_SE_EEES9_SG_JZNS1_25segmented_radix_sort_implINS0_14default_configELb1EPK6__halfPSL_PKlPlN2at6native12_GLOBAL__N_18offset_tEEE10hipError_tPvRmT1_PNSt15iterator_traitsISZ_E10value_typeET2_T3_PNS10_IS15_E10value_typeET4_jRbjT5_S1B_jjP12ihipStream_tbEUljE_EEESW_SX_SY_S15_S19_S1B_T6_T7_T9_mT8_S1D_bDpT10_ENKUlT_T0_E_clISt17integral_constantIbLb1EES1Q_EEDaS1L_S1M_EUlS1L_E_NS1_11comp_targetILNS1_3genE10ELNS1_11target_archE1200ELNS1_3gpuE4ELNS1_3repE0EEENS1_30default_config_static_selectorELNS0_4arch9wavefront6targetE1EEEvSZ_.numbered_sgpr, 0
	.set _ZN7rocprim17ROCPRIM_400000_NS6detail17trampoline_kernelINS0_13select_configILj256ELj13ELNS0_17block_load_methodE3ELS4_3ELS4_3ELNS0_20block_scan_algorithmE0ELj4294967295EEENS1_25partition_config_selectorILNS1_17partition_subalgoE3EjNS0_10empty_typeEbEEZZNS1_14partition_implILS8_3ELb0ES6_jNS0_17counting_iteratorIjlEEPS9_SE_NS0_5tupleIJPjSE_EEENSF_IJSE_SE_EEES9_SG_JZNS1_25segmented_radix_sort_implINS0_14default_configELb1EPK6__halfPSL_PKlPlN2at6native12_GLOBAL__N_18offset_tEEE10hipError_tPvRmT1_PNSt15iterator_traitsISZ_E10value_typeET2_T3_PNS10_IS15_E10value_typeET4_jRbjT5_S1B_jjP12ihipStream_tbEUljE_EEESW_SX_SY_S15_S19_S1B_T6_T7_T9_mT8_S1D_bDpT10_ENKUlT_T0_E_clISt17integral_constantIbLb1EES1Q_EEDaS1L_S1M_EUlS1L_E_NS1_11comp_targetILNS1_3genE10ELNS1_11target_archE1200ELNS1_3gpuE4ELNS1_3repE0EEENS1_30default_config_static_selectorELNS0_4arch9wavefront6targetE1EEEvSZ_.num_named_barrier, 0
	.set _ZN7rocprim17ROCPRIM_400000_NS6detail17trampoline_kernelINS0_13select_configILj256ELj13ELNS0_17block_load_methodE3ELS4_3ELS4_3ELNS0_20block_scan_algorithmE0ELj4294967295EEENS1_25partition_config_selectorILNS1_17partition_subalgoE3EjNS0_10empty_typeEbEEZZNS1_14partition_implILS8_3ELb0ES6_jNS0_17counting_iteratorIjlEEPS9_SE_NS0_5tupleIJPjSE_EEENSF_IJSE_SE_EEES9_SG_JZNS1_25segmented_radix_sort_implINS0_14default_configELb1EPK6__halfPSL_PKlPlN2at6native12_GLOBAL__N_18offset_tEEE10hipError_tPvRmT1_PNSt15iterator_traitsISZ_E10value_typeET2_T3_PNS10_IS15_E10value_typeET4_jRbjT5_S1B_jjP12ihipStream_tbEUljE_EEESW_SX_SY_S15_S19_S1B_T6_T7_T9_mT8_S1D_bDpT10_ENKUlT_T0_E_clISt17integral_constantIbLb1EES1Q_EEDaS1L_S1M_EUlS1L_E_NS1_11comp_targetILNS1_3genE10ELNS1_11target_archE1200ELNS1_3gpuE4ELNS1_3repE0EEENS1_30default_config_static_selectorELNS0_4arch9wavefront6targetE1EEEvSZ_.private_seg_size, 0
	.set _ZN7rocprim17ROCPRIM_400000_NS6detail17trampoline_kernelINS0_13select_configILj256ELj13ELNS0_17block_load_methodE3ELS4_3ELS4_3ELNS0_20block_scan_algorithmE0ELj4294967295EEENS1_25partition_config_selectorILNS1_17partition_subalgoE3EjNS0_10empty_typeEbEEZZNS1_14partition_implILS8_3ELb0ES6_jNS0_17counting_iteratorIjlEEPS9_SE_NS0_5tupleIJPjSE_EEENSF_IJSE_SE_EEES9_SG_JZNS1_25segmented_radix_sort_implINS0_14default_configELb1EPK6__halfPSL_PKlPlN2at6native12_GLOBAL__N_18offset_tEEE10hipError_tPvRmT1_PNSt15iterator_traitsISZ_E10value_typeET2_T3_PNS10_IS15_E10value_typeET4_jRbjT5_S1B_jjP12ihipStream_tbEUljE_EEESW_SX_SY_S15_S19_S1B_T6_T7_T9_mT8_S1D_bDpT10_ENKUlT_T0_E_clISt17integral_constantIbLb1EES1Q_EEDaS1L_S1M_EUlS1L_E_NS1_11comp_targetILNS1_3genE10ELNS1_11target_archE1200ELNS1_3gpuE4ELNS1_3repE0EEENS1_30default_config_static_selectorELNS0_4arch9wavefront6targetE1EEEvSZ_.uses_vcc, 0
	.set _ZN7rocprim17ROCPRIM_400000_NS6detail17trampoline_kernelINS0_13select_configILj256ELj13ELNS0_17block_load_methodE3ELS4_3ELS4_3ELNS0_20block_scan_algorithmE0ELj4294967295EEENS1_25partition_config_selectorILNS1_17partition_subalgoE3EjNS0_10empty_typeEbEEZZNS1_14partition_implILS8_3ELb0ES6_jNS0_17counting_iteratorIjlEEPS9_SE_NS0_5tupleIJPjSE_EEENSF_IJSE_SE_EEES9_SG_JZNS1_25segmented_radix_sort_implINS0_14default_configELb1EPK6__halfPSL_PKlPlN2at6native12_GLOBAL__N_18offset_tEEE10hipError_tPvRmT1_PNSt15iterator_traitsISZ_E10value_typeET2_T3_PNS10_IS15_E10value_typeET4_jRbjT5_S1B_jjP12ihipStream_tbEUljE_EEESW_SX_SY_S15_S19_S1B_T6_T7_T9_mT8_S1D_bDpT10_ENKUlT_T0_E_clISt17integral_constantIbLb1EES1Q_EEDaS1L_S1M_EUlS1L_E_NS1_11comp_targetILNS1_3genE10ELNS1_11target_archE1200ELNS1_3gpuE4ELNS1_3repE0EEENS1_30default_config_static_selectorELNS0_4arch9wavefront6targetE1EEEvSZ_.uses_flat_scratch, 0
	.set _ZN7rocprim17ROCPRIM_400000_NS6detail17trampoline_kernelINS0_13select_configILj256ELj13ELNS0_17block_load_methodE3ELS4_3ELS4_3ELNS0_20block_scan_algorithmE0ELj4294967295EEENS1_25partition_config_selectorILNS1_17partition_subalgoE3EjNS0_10empty_typeEbEEZZNS1_14partition_implILS8_3ELb0ES6_jNS0_17counting_iteratorIjlEEPS9_SE_NS0_5tupleIJPjSE_EEENSF_IJSE_SE_EEES9_SG_JZNS1_25segmented_radix_sort_implINS0_14default_configELb1EPK6__halfPSL_PKlPlN2at6native12_GLOBAL__N_18offset_tEEE10hipError_tPvRmT1_PNSt15iterator_traitsISZ_E10value_typeET2_T3_PNS10_IS15_E10value_typeET4_jRbjT5_S1B_jjP12ihipStream_tbEUljE_EEESW_SX_SY_S15_S19_S1B_T6_T7_T9_mT8_S1D_bDpT10_ENKUlT_T0_E_clISt17integral_constantIbLb1EES1Q_EEDaS1L_S1M_EUlS1L_E_NS1_11comp_targetILNS1_3genE10ELNS1_11target_archE1200ELNS1_3gpuE4ELNS1_3repE0EEENS1_30default_config_static_selectorELNS0_4arch9wavefront6targetE1EEEvSZ_.has_dyn_sized_stack, 0
	.set _ZN7rocprim17ROCPRIM_400000_NS6detail17trampoline_kernelINS0_13select_configILj256ELj13ELNS0_17block_load_methodE3ELS4_3ELS4_3ELNS0_20block_scan_algorithmE0ELj4294967295EEENS1_25partition_config_selectorILNS1_17partition_subalgoE3EjNS0_10empty_typeEbEEZZNS1_14partition_implILS8_3ELb0ES6_jNS0_17counting_iteratorIjlEEPS9_SE_NS0_5tupleIJPjSE_EEENSF_IJSE_SE_EEES9_SG_JZNS1_25segmented_radix_sort_implINS0_14default_configELb1EPK6__halfPSL_PKlPlN2at6native12_GLOBAL__N_18offset_tEEE10hipError_tPvRmT1_PNSt15iterator_traitsISZ_E10value_typeET2_T3_PNS10_IS15_E10value_typeET4_jRbjT5_S1B_jjP12ihipStream_tbEUljE_EEESW_SX_SY_S15_S19_S1B_T6_T7_T9_mT8_S1D_bDpT10_ENKUlT_T0_E_clISt17integral_constantIbLb1EES1Q_EEDaS1L_S1M_EUlS1L_E_NS1_11comp_targetILNS1_3genE10ELNS1_11target_archE1200ELNS1_3gpuE4ELNS1_3repE0EEENS1_30default_config_static_selectorELNS0_4arch9wavefront6targetE1EEEvSZ_.has_recursion, 0
	.set _ZN7rocprim17ROCPRIM_400000_NS6detail17trampoline_kernelINS0_13select_configILj256ELj13ELNS0_17block_load_methodE3ELS4_3ELS4_3ELNS0_20block_scan_algorithmE0ELj4294967295EEENS1_25partition_config_selectorILNS1_17partition_subalgoE3EjNS0_10empty_typeEbEEZZNS1_14partition_implILS8_3ELb0ES6_jNS0_17counting_iteratorIjlEEPS9_SE_NS0_5tupleIJPjSE_EEENSF_IJSE_SE_EEES9_SG_JZNS1_25segmented_radix_sort_implINS0_14default_configELb1EPK6__halfPSL_PKlPlN2at6native12_GLOBAL__N_18offset_tEEE10hipError_tPvRmT1_PNSt15iterator_traitsISZ_E10value_typeET2_T3_PNS10_IS15_E10value_typeET4_jRbjT5_S1B_jjP12ihipStream_tbEUljE_EEESW_SX_SY_S15_S19_S1B_T6_T7_T9_mT8_S1D_bDpT10_ENKUlT_T0_E_clISt17integral_constantIbLb1EES1Q_EEDaS1L_S1M_EUlS1L_E_NS1_11comp_targetILNS1_3genE10ELNS1_11target_archE1200ELNS1_3gpuE4ELNS1_3repE0EEENS1_30default_config_static_selectorELNS0_4arch9wavefront6targetE1EEEvSZ_.has_indirect_call, 0
	.section	.AMDGPU.csdata,"",@progbits
; Kernel info:
; codeLenInByte = 0
; TotalNumSgprs: 4
; NumVgprs: 0
; ScratchSize: 0
; MemoryBound: 0
; FloatMode: 240
; IeeeMode: 1
; LDSByteSize: 0 bytes/workgroup (compile time only)
; SGPRBlocks: 0
; VGPRBlocks: 0
; NumSGPRsForWavesPerEU: 4
; NumVGPRsForWavesPerEU: 1
; Occupancy: 10
; WaveLimiterHint : 0
; COMPUTE_PGM_RSRC2:SCRATCH_EN: 0
; COMPUTE_PGM_RSRC2:USER_SGPR: 6
; COMPUTE_PGM_RSRC2:TRAP_HANDLER: 0
; COMPUTE_PGM_RSRC2:TGID_X_EN: 1
; COMPUTE_PGM_RSRC2:TGID_Y_EN: 0
; COMPUTE_PGM_RSRC2:TGID_Z_EN: 0
; COMPUTE_PGM_RSRC2:TIDIG_COMP_CNT: 0
	.section	.text._ZN7rocprim17ROCPRIM_400000_NS6detail17trampoline_kernelINS0_13select_configILj256ELj13ELNS0_17block_load_methodE3ELS4_3ELS4_3ELNS0_20block_scan_algorithmE0ELj4294967295EEENS1_25partition_config_selectorILNS1_17partition_subalgoE3EjNS0_10empty_typeEbEEZZNS1_14partition_implILS8_3ELb0ES6_jNS0_17counting_iteratorIjlEEPS9_SE_NS0_5tupleIJPjSE_EEENSF_IJSE_SE_EEES9_SG_JZNS1_25segmented_radix_sort_implINS0_14default_configELb1EPK6__halfPSL_PKlPlN2at6native12_GLOBAL__N_18offset_tEEE10hipError_tPvRmT1_PNSt15iterator_traitsISZ_E10value_typeET2_T3_PNS10_IS15_E10value_typeET4_jRbjT5_S1B_jjP12ihipStream_tbEUljE_EEESW_SX_SY_S15_S19_S1B_T6_T7_T9_mT8_S1D_bDpT10_ENKUlT_T0_E_clISt17integral_constantIbLb1EES1Q_EEDaS1L_S1M_EUlS1L_E_NS1_11comp_targetILNS1_3genE9ELNS1_11target_archE1100ELNS1_3gpuE3ELNS1_3repE0EEENS1_30default_config_static_selectorELNS0_4arch9wavefront6targetE1EEEvSZ_,"axG",@progbits,_ZN7rocprim17ROCPRIM_400000_NS6detail17trampoline_kernelINS0_13select_configILj256ELj13ELNS0_17block_load_methodE3ELS4_3ELS4_3ELNS0_20block_scan_algorithmE0ELj4294967295EEENS1_25partition_config_selectorILNS1_17partition_subalgoE3EjNS0_10empty_typeEbEEZZNS1_14partition_implILS8_3ELb0ES6_jNS0_17counting_iteratorIjlEEPS9_SE_NS0_5tupleIJPjSE_EEENSF_IJSE_SE_EEES9_SG_JZNS1_25segmented_radix_sort_implINS0_14default_configELb1EPK6__halfPSL_PKlPlN2at6native12_GLOBAL__N_18offset_tEEE10hipError_tPvRmT1_PNSt15iterator_traitsISZ_E10value_typeET2_T3_PNS10_IS15_E10value_typeET4_jRbjT5_S1B_jjP12ihipStream_tbEUljE_EEESW_SX_SY_S15_S19_S1B_T6_T7_T9_mT8_S1D_bDpT10_ENKUlT_T0_E_clISt17integral_constantIbLb1EES1Q_EEDaS1L_S1M_EUlS1L_E_NS1_11comp_targetILNS1_3genE9ELNS1_11target_archE1100ELNS1_3gpuE3ELNS1_3repE0EEENS1_30default_config_static_selectorELNS0_4arch9wavefront6targetE1EEEvSZ_,comdat
	.globl	_ZN7rocprim17ROCPRIM_400000_NS6detail17trampoline_kernelINS0_13select_configILj256ELj13ELNS0_17block_load_methodE3ELS4_3ELS4_3ELNS0_20block_scan_algorithmE0ELj4294967295EEENS1_25partition_config_selectorILNS1_17partition_subalgoE3EjNS0_10empty_typeEbEEZZNS1_14partition_implILS8_3ELb0ES6_jNS0_17counting_iteratorIjlEEPS9_SE_NS0_5tupleIJPjSE_EEENSF_IJSE_SE_EEES9_SG_JZNS1_25segmented_radix_sort_implINS0_14default_configELb1EPK6__halfPSL_PKlPlN2at6native12_GLOBAL__N_18offset_tEEE10hipError_tPvRmT1_PNSt15iterator_traitsISZ_E10value_typeET2_T3_PNS10_IS15_E10value_typeET4_jRbjT5_S1B_jjP12ihipStream_tbEUljE_EEESW_SX_SY_S15_S19_S1B_T6_T7_T9_mT8_S1D_bDpT10_ENKUlT_T0_E_clISt17integral_constantIbLb1EES1Q_EEDaS1L_S1M_EUlS1L_E_NS1_11comp_targetILNS1_3genE9ELNS1_11target_archE1100ELNS1_3gpuE3ELNS1_3repE0EEENS1_30default_config_static_selectorELNS0_4arch9wavefront6targetE1EEEvSZ_ ; -- Begin function _ZN7rocprim17ROCPRIM_400000_NS6detail17trampoline_kernelINS0_13select_configILj256ELj13ELNS0_17block_load_methodE3ELS4_3ELS4_3ELNS0_20block_scan_algorithmE0ELj4294967295EEENS1_25partition_config_selectorILNS1_17partition_subalgoE3EjNS0_10empty_typeEbEEZZNS1_14partition_implILS8_3ELb0ES6_jNS0_17counting_iteratorIjlEEPS9_SE_NS0_5tupleIJPjSE_EEENSF_IJSE_SE_EEES9_SG_JZNS1_25segmented_radix_sort_implINS0_14default_configELb1EPK6__halfPSL_PKlPlN2at6native12_GLOBAL__N_18offset_tEEE10hipError_tPvRmT1_PNSt15iterator_traitsISZ_E10value_typeET2_T3_PNS10_IS15_E10value_typeET4_jRbjT5_S1B_jjP12ihipStream_tbEUljE_EEESW_SX_SY_S15_S19_S1B_T6_T7_T9_mT8_S1D_bDpT10_ENKUlT_T0_E_clISt17integral_constantIbLb1EES1Q_EEDaS1L_S1M_EUlS1L_E_NS1_11comp_targetILNS1_3genE9ELNS1_11target_archE1100ELNS1_3gpuE3ELNS1_3repE0EEENS1_30default_config_static_selectorELNS0_4arch9wavefront6targetE1EEEvSZ_
	.p2align	8
	.type	_ZN7rocprim17ROCPRIM_400000_NS6detail17trampoline_kernelINS0_13select_configILj256ELj13ELNS0_17block_load_methodE3ELS4_3ELS4_3ELNS0_20block_scan_algorithmE0ELj4294967295EEENS1_25partition_config_selectorILNS1_17partition_subalgoE3EjNS0_10empty_typeEbEEZZNS1_14partition_implILS8_3ELb0ES6_jNS0_17counting_iteratorIjlEEPS9_SE_NS0_5tupleIJPjSE_EEENSF_IJSE_SE_EEES9_SG_JZNS1_25segmented_radix_sort_implINS0_14default_configELb1EPK6__halfPSL_PKlPlN2at6native12_GLOBAL__N_18offset_tEEE10hipError_tPvRmT1_PNSt15iterator_traitsISZ_E10value_typeET2_T3_PNS10_IS15_E10value_typeET4_jRbjT5_S1B_jjP12ihipStream_tbEUljE_EEESW_SX_SY_S15_S19_S1B_T6_T7_T9_mT8_S1D_bDpT10_ENKUlT_T0_E_clISt17integral_constantIbLb1EES1Q_EEDaS1L_S1M_EUlS1L_E_NS1_11comp_targetILNS1_3genE9ELNS1_11target_archE1100ELNS1_3gpuE3ELNS1_3repE0EEENS1_30default_config_static_selectorELNS0_4arch9wavefront6targetE1EEEvSZ_,@function
_ZN7rocprim17ROCPRIM_400000_NS6detail17trampoline_kernelINS0_13select_configILj256ELj13ELNS0_17block_load_methodE3ELS4_3ELS4_3ELNS0_20block_scan_algorithmE0ELj4294967295EEENS1_25partition_config_selectorILNS1_17partition_subalgoE3EjNS0_10empty_typeEbEEZZNS1_14partition_implILS8_3ELb0ES6_jNS0_17counting_iteratorIjlEEPS9_SE_NS0_5tupleIJPjSE_EEENSF_IJSE_SE_EEES9_SG_JZNS1_25segmented_radix_sort_implINS0_14default_configELb1EPK6__halfPSL_PKlPlN2at6native12_GLOBAL__N_18offset_tEEE10hipError_tPvRmT1_PNSt15iterator_traitsISZ_E10value_typeET2_T3_PNS10_IS15_E10value_typeET4_jRbjT5_S1B_jjP12ihipStream_tbEUljE_EEESW_SX_SY_S15_S19_S1B_T6_T7_T9_mT8_S1D_bDpT10_ENKUlT_T0_E_clISt17integral_constantIbLb1EES1Q_EEDaS1L_S1M_EUlS1L_E_NS1_11comp_targetILNS1_3genE9ELNS1_11target_archE1100ELNS1_3gpuE3ELNS1_3repE0EEENS1_30default_config_static_selectorELNS0_4arch9wavefront6targetE1EEEvSZ_: ; @_ZN7rocprim17ROCPRIM_400000_NS6detail17trampoline_kernelINS0_13select_configILj256ELj13ELNS0_17block_load_methodE3ELS4_3ELS4_3ELNS0_20block_scan_algorithmE0ELj4294967295EEENS1_25partition_config_selectorILNS1_17partition_subalgoE3EjNS0_10empty_typeEbEEZZNS1_14partition_implILS8_3ELb0ES6_jNS0_17counting_iteratorIjlEEPS9_SE_NS0_5tupleIJPjSE_EEENSF_IJSE_SE_EEES9_SG_JZNS1_25segmented_radix_sort_implINS0_14default_configELb1EPK6__halfPSL_PKlPlN2at6native12_GLOBAL__N_18offset_tEEE10hipError_tPvRmT1_PNSt15iterator_traitsISZ_E10value_typeET2_T3_PNS10_IS15_E10value_typeET4_jRbjT5_S1B_jjP12ihipStream_tbEUljE_EEESW_SX_SY_S15_S19_S1B_T6_T7_T9_mT8_S1D_bDpT10_ENKUlT_T0_E_clISt17integral_constantIbLb1EES1Q_EEDaS1L_S1M_EUlS1L_E_NS1_11comp_targetILNS1_3genE9ELNS1_11target_archE1100ELNS1_3gpuE3ELNS1_3repE0EEENS1_30default_config_static_selectorELNS0_4arch9wavefront6targetE1EEEvSZ_
; %bb.0:
	.section	.rodata,"a",@progbits
	.p2align	6, 0x0
	.amdhsa_kernel _ZN7rocprim17ROCPRIM_400000_NS6detail17trampoline_kernelINS0_13select_configILj256ELj13ELNS0_17block_load_methodE3ELS4_3ELS4_3ELNS0_20block_scan_algorithmE0ELj4294967295EEENS1_25partition_config_selectorILNS1_17partition_subalgoE3EjNS0_10empty_typeEbEEZZNS1_14partition_implILS8_3ELb0ES6_jNS0_17counting_iteratorIjlEEPS9_SE_NS0_5tupleIJPjSE_EEENSF_IJSE_SE_EEES9_SG_JZNS1_25segmented_radix_sort_implINS0_14default_configELb1EPK6__halfPSL_PKlPlN2at6native12_GLOBAL__N_18offset_tEEE10hipError_tPvRmT1_PNSt15iterator_traitsISZ_E10value_typeET2_T3_PNS10_IS15_E10value_typeET4_jRbjT5_S1B_jjP12ihipStream_tbEUljE_EEESW_SX_SY_S15_S19_S1B_T6_T7_T9_mT8_S1D_bDpT10_ENKUlT_T0_E_clISt17integral_constantIbLb1EES1Q_EEDaS1L_S1M_EUlS1L_E_NS1_11comp_targetILNS1_3genE9ELNS1_11target_archE1100ELNS1_3gpuE3ELNS1_3repE0EEENS1_30default_config_static_selectorELNS0_4arch9wavefront6targetE1EEEvSZ_
		.amdhsa_group_segment_fixed_size 0
		.amdhsa_private_segment_fixed_size 0
		.amdhsa_kernarg_size 152
		.amdhsa_user_sgpr_count 6
		.amdhsa_user_sgpr_private_segment_buffer 1
		.amdhsa_user_sgpr_dispatch_ptr 0
		.amdhsa_user_sgpr_queue_ptr 0
		.amdhsa_user_sgpr_kernarg_segment_ptr 1
		.amdhsa_user_sgpr_dispatch_id 0
		.amdhsa_user_sgpr_flat_scratch_init 0
		.amdhsa_user_sgpr_private_segment_size 0
		.amdhsa_uses_dynamic_stack 0
		.amdhsa_system_sgpr_private_segment_wavefront_offset 0
		.amdhsa_system_sgpr_workgroup_id_x 1
		.amdhsa_system_sgpr_workgroup_id_y 0
		.amdhsa_system_sgpr_workgroup_id_z 0
		.amdhsa_system_sgpr_workgroup_info 0
		.amdhsa_system_vgpr_workitem_id 0
		.amdhsa_next_free_vgpr 1
		.amdhsa_next_free_sgpr 0
		.amdhsa_reserve_vcc 0
		.amdhsa_reserve_flat_scratch 0
		.amdhsa_float_round_mode_32 0
		.amdhsa_float_round_mode_16_64 0
		.amdhsa_float_denorm_mode_32 3
		.amdhsa_float_denorm_mode_16_64 3
		.amdhsa_dx10_clamp 1
		.amdhsa_ieee_mode 1
		.amdhsa_fp16_overflow 0
		.amdhsa_exception_fp_ieee_invalid_op 0
		.amdhsa_exception_fp_denorm_src 0
		.amdhsa_exception_fp_ieee_div_zero 0
		.amdhsa_exception_fp_ieee_overflow 0
		.amdhsa_exception_fp_ieee_underflow 0
		.amdhsa_exception_fp_ieee_inexact 0
		.amdhsa_exception_int_div_zero 0
	.end_amdhsa_kernel
	.section	.text._ZN7rocprim17ROCPRIM_400000_NS6detail17trampoline_kernelINS0_13select_configILj256ELj13ELNS0_17block_load_methodE3ELS4_3ELS4_3ELNS0_20block_scan_algorithmE0ELj4294967295EEENS1_25partition_config_selectorILNS1_17partition_subalgoE3EjNS0_10empty_typeEbEEZZNS1_14partition_implILS8_3ELb0ES6_jNS0_17counting_iteratorIjlEEPS9_SE_NS0_5tupleIJPjSE_EEENSF_IJSE_SE_EEES9_SG_JZNS1_25segmented_radix_sort_implINS0_14default_configELb1EPK6__halfPSL_PKlPlN2at6native12_GLOBAL__N_18offset_tEEE10hipError_tPvRmT1_PNSt15iterator_traitsISZ_E10value_typeET2_T3_PNS10_IS15_E10value_typeET4_jRbjT5_S1B_jjP12ihipStream_tbEUljE_EEESW_SX_SY_S15_S19_S1B_T6_T7_T9_mT8_S1D_bDpT10_ENKUlT_T0_E_clISt17integral_constantIbLb1EES1Q_EEDaS1L_S1M_EUlS1L_E_NS1_11comp_targetILNS1_3genE9ELNS1_11target_archE1100ELNS1_3gpuE3ELNS1_3repE0EEENS1_30default_config_static_selectorELNS0_4arch9wavefront6targetE1EEEvSZ_,"axG",@progbits,_ZN7rocprim17ROCPRIM_400000_NS6detail17trampoline_kernelINS0_13select_configILj256ELj13ELNS0_17block_load_methodE3ELS4_3ELS4_3ELNS0_20block_scan_algorithmE0ELj4294967295EEENS1_25partition_config_selectorILNS1_17partition_subalgoE3EjNS0_10empty_typeEbEEZZNS1_14partition_implILS8_3ELb0ES6_jNS0_17counting_iteratorIjlEEPS9_SE_NS0_5tupleIJPjSE_EEENSF_IJSE_SE_EEES9_SG_JZNS1_25segmented_radix_sort_implINS0_14default_configELb1EPK6__halfPSL_PKlPlN2at6native12_GLOBAL__N_18offset_tEEE10hipError_tPvRmT1_PNSt15iterator_traitsISZ_E10value_typeET2_T3_PNS10_IS15_E10value_typeET4_jRbjT5_S1B_jjP12ihipStream_tbEUljE_EEESW_SX_SY_S15_S19_S1B_T6_T7_T9_mT8_S1D_bDpT10_ENKUlT_T0_E_clISt17integral_constantIbLb1EES1Q_EEDaS1L_S1M_EUlS1L_E_NS1_11comp_targetILNS1_3genE9ELNS1_11target_archE1100ELNS1_3gpuE3ELNS1_3repE0EEENS1_30default_config_static_selectorELNS0_4arch9wavefront6targetE1EEEvSZ_,comdat
.Lfunc_end1721:
	.size	_ZN7rocprim17ROCPRIM_400000_NS6detail17trampoline_kernelINS0_13select_configILj256ELj13ELNS0_17block_load_methodE3ELS4_3ELS4_3ELNS0_20block_scan_algorithmE0ELj4294967295EEENS1_25partition_config_selectorILNS1_17partition_subalgoE3EjNS0_10empty_typeEbEEZZNS1_14partition_implILS8_3ELb0ES6_jNS0_17counting_iteratorIjlEEPS9_SE_NS0_5tupleIJPjSE_EEENSF_IJSE_SE_EEES9_SG_JZNS1_25segmented_radix_sort_implINS0_14default_configELb1EPK6__halfPSL_PKlPlN2at6native12_GLOBAL__N_18offset_tEEE10hipError_tPvRmT1_PNSt15iterator_traitsISZ_E10value_typeET2_T3_PNS10_IS15_E10value_typeET4_jRbjT5_S1B_jjP12ihipStream_tbEUljE_EEESW_SX_SY_S15_S19_S1B_T6_T7_T9_mT8_S1D_bDpT10_ENKUlT_T0_E_clISt17integral_constantIbLb1EES1Q_EEDaS1L_S1M_EUlS1L_E_NS1_11comp_targetILNS1_3genE9ELNS1_11target_archE1100ELNS1_3gpuE3ELNS1_3repE0EEENS1_30default_config_static_selectorELNS0_4arch9wavefront6targetE1EEEvSZ_, .Lfunc_end1721-_ZN7rocprim17ROCPRIM_400000_NS6detail17trampoline_kernelINS0_13select_configILj256ELj13ELNS0_17block_load_methodE3ELS4_3ELS4_3ELNS0_20block_scan_algorithmE0ELj4294967295EEENS1_25partition_config_selectorILNS1_17partition_subalgoE3EjNS0_10empty_typeEbEEZZNS1_14partition_implILS8_3ELb0ES6_jNS0_17counting_iteratorIjlEEPS9_SE_NS0_5tupleIJPjSE_EEENSF_IJSE_SE_EEES9_SG_JZNS1_25segmented_radix_sort_implINS0_14default_configELb1EPK6__halfPSL_PKlPlN2at6native12_GLOBAL__N_18offset_tEEE10hipError_tPvRmT1_PNSt15iterator_traitsISZ_E10value_typeET2_T3_PNS10_IS15_E10value_typeET4_jRbjT5_S1B_jjP12ihipStream_tbEUljE_EEESW_SX_SY_S15_S19_S1B_T6_T7_T9_mT8_S1D_bDpT10_ENKUlT_T0_E_clISt17integral_constantIbLb1EES1Q_EEDaS1L_S1M_EUlS1L_E_NS1_11comp_targetILNS1_3genE9ELNS1_11target_archE1100ELNS1_3gpuE3ELNS1_3repE0EEENS1_30default_config_static_selectorELNS0_4arch9wavefront6targetE1EEEvSZ_
                                        ; -- End function
	.set _ZN7rocprim17ROCPRIM_400000_NS6detail17trampoline_kernelINS0_13select_configILj256ELj13ELNS0_17block_load_methodE3ELS4_3ELS4_3ELNS0_20block_scan_algorithmE0ELj4294967295EEENS1_25partition_config_selectorILNS1_17partition_subalgoE3EjNS0_10empty_typeEbEEZZNS1_14partition_implILS8_3ELb0ES6_jNS0_17counting_iteratorIjlEEPS9_SE_NS0_5tupleIJPjSE_EEENSF_IJSE_SE_EEES9_SG_JZNS1_25segmented_radix_sort_implINS0_14default_configELb1EPK6__halfPSL_PKlPlN2at6native12_GLOBAL__N_18offset_tEEE10hipError_tPvRmT1_PNSt15iterator_traitsISZ_E10value_typeET2_T3_PNS10_IS15_E10value_typeET4_jRbjT5_S1B_jjP12ihipStream_tbEUljE_EEESW_SX_SY_S15_S19_S1B_T6_T7_T9_mT8_S1D_bDpT10_ENKUlT_T0_E_clISt17integral_constantIbLb1EES1Q_EEDaS1L_S1M_EUlS1L_E_NS1_11comp_targetILNS1_3genE9ELNS1_11target_archE1100ELNS1_3gpuE3ELNS1_3repE0EEENS1_30default_config_static_selectorELNS0_4arch9wavefront6targetE1EEEvSZ_.num_vgpr, 0
	.set _ZN7rocprim17ROCPRIM_400000_NS6detail17trampoline_kernelINS0_13select_configILj256ELj13ELNS0_17block_load_methodE3ELS4_3ELS4_3ELNS0_20block_scan_algorithmE0ELj4294967295EEENS1_25partition_config_selectorILNS1_17partition_subalgoE3EjNS0_10empty_typeEbEEZZNS1_14partition_implILS8_3ELb0ES6_jNS0_17counting_iteratorIjlEEPS9_SE_NS0_5tupleIJPjSE_EEENSF_IJSE_SE_EEES9_SG_JZNS1_25segmented_radix_sort_implINS0_14default_configELb1EPK6__halfPSL_PKlPlN2at6native12_GLOBAL__N_18offset_tEEE10hipError_tPvRmT1_PNSt15iterator_traitsISZ_E10value_typeET2_T3_PNS10_IS15_E10value_typeET4_jRbjT5_S1B_jjP12ihipStream_tbEUljE_EEESW_SX_SY_S15_S19_S1B_T6_T7_T9_mT8_S1D_bDpT10_ENKUlT_T0_E_clISt17integral_constantIbLb1EES1Q_EEDaS1L_S1M_EUlS1L_E_NS1_11comp_targetILNS1_3genE9ELNS1_11target_archE1100ELNS1_3gpuE3ELNS1_3repE0EEENS1_30default_config_static_selectorELNS0_4arch9wavefront6targetE1EEEvSZ_.num_agpr, 0
	.set _ZN7rocprim17ROCPRIM_400000_NS6detail17trampoline_kernelINS0_13select_configILj256ELj13ELNS0_17block_load_methodE3ELS4_3ELS4_3ELNS0_20block_scan_algorithmE0ELj4294967295EEENS1_25partition_config_selectorILNS1_17partition_subalgoE3EjNS0_10empty_typeEbEEZZNS1_14partition_implILS8_3ELb0ES6_jNS0_17counting_iteratorIjlEEPS9_SE_NS0_5tupleIJPjSE_EEENSF_IJSE_SE_EEES9_SG_JZNS1_25segmented_radix_sort_implINS0_14default_configELb1EPK6__halfPSL_PKlPlN2at6native12_GLOBAL__N_18offset_tEEE10hipError_tPvRmT1_PNSt15iterator_traitsISZ_E10value_typeET2_T3_PNS10_IS15_E10value_typeET4_jRbjT5_S1B_jjP12ihipStream_tbEUljE_EEESW_SX_SY_S15_S19_S1B_T6_T7_T9_mT8_S1D_bDpT10_ENKUlT_T0_E_clISt17integral_constantIbLb1EES1Q_EEDaS1L_S1M_EUlS1L_E_NS1_11comp_targetILNS1_3genE9ELNS1_11target_archE1100ELNS1_3gpuE3ELNS1_3repE0EEENS1_30default_config_static_selectorELNS0_4arch9wavefront6targetE1EEEvSZ_.numbered_sgpr, 0
	.set _ZN7rocprim17ROCPRIM_400000_NS6detail17trampoline_kernelINS0_13select_configILj256ELj13ELNS0_17block_load_methodE3ELS4_3ELS4_3ELNS0_20block_scan_algorithmE0ELj4294967295EEENS1_25partition_config_selectorILNS1_17partition_subalgoE3EjNS0_10empty_typeEbEEZZNS1_14partition_implILS8_3ELb0ES6_jNS0_17counting_iteratorIjlEEPS9_SE_NS0_5tupleIJPjSE_EEENSF_IJSE_SE_EEES9_SG_JZNS1_25segmented_radix_sort_implINS0_14default_configELb1EPK6__halfPSL_PKlPlN2at6native12_GLOBAL__N_18offset_tEEE10hipError_tPvRmT1_PNSt15iterator_traitsISZ_E10value_typeET2_T3_PNS10_IS15_E10value_typeET4_jRbjT5_S1B_jjP12ihipStream_tbEUljE_EEESW_SX_SY_S15_S19_S1B_T6_T7_T9_mT8_S1D_bDpT10_ENKUlT_T0_E_clISt17integral_constantIbLb1EES1Q_EEDaS1L_S1M_EUlS1L_E_NS1_11comp_targetILNS1_3genE9ELNS1_11target_archE1100ELNS1_3gpuE3ELNS1_3repE0EEENS1_30default_config_static_selectorELNS0_4arch9wavefront6targetE1EEEvSZ_.num_named_barrier, 0
	.set _ZN7rocprim17ROCPRIM_400000_NS6detail17trampoline_kernelINS0_13select_configILj256ELj13ELNS0_17block_load_methodE3ELS4_3ELS4_3ELNS0_20block_scan_algorithmE0ELj4294967295EEENS1_25partition_config_selectorILNS1_17partition_subalgoE3EjNS0_10empty_typeEbEEZZNS1_14partition_implILS8_3ELb0ES6_jNS0_17counting_iteratorIjlEEPS9_SE_NS0_5tupleIJPjSE_EEENSF_IJSE_SE_EEES9_SG_JZNS1_25segmented_radix_sort_implINS0_14default_configELb1EPK6__halfPSL_PKlPlN2at6native12_GLOBAL__N_18offset_tEEE10hipError_tPvRmT1_PNSt15iterator_traitsISZ_E10value_typeET2_T3_PNS10_IS15_E10value_typeET4_jRbjT5_S1B_jjP12ihipStream_tbEUljE_EEESW_SX_SY_S15_S19_S1B_T6_T7_T9_mT8_S1D_bDpT10_ENKUlT_T0_E_clISt17integral_constantIbLb1EES1Q_EEDaS1L_S1M_EUlS1L_E_NS1_11comp_targetILNS1_3genE9ELNS1_11target_archE1100ELNS1_3gpuE3ELNS1_3repE0EEENS1_30default_config_static_selectorELNS0_4arch9wavefront6targetE1EEEvSZ_.private_seg_size, 0
	.set _ZN7rocprim17ROCPRIM_400000_NS6detail17trampoline_kernelINS0_13select_configILj256ELj13ELNS0_17block_load_methodE3ELS4_3ELS4_3ELNS0_20block_scan_algorithmE0ELj4294967295EEENS1_25partition_config_selectorILNS1_17partition_subalgoE3EjNS0_10empty_typeEbEEZZNS1_14partition_implILS8_3ELb0ES6_jNS0_17counting_iteratorIjlEEPS9_SE_NS0_5tupleIJPjSE_EEENSF_IJSE_SE_EEES9_SG_JZNS1_25segmented_radix_sort_implINS0_14default_configELb1EPK6__halfPSL_PKlPlN2at6native12_GLOBAL__N_18offset_tEEE10hipError_tPvRmT1_PNSt15iterator_traitsISZ_E10value_typeET2_T3_PNS10_IS15_E10value_typeET4_jRbjT5_S1B_jjP12ihipStream_tbEUljE_EEESW_SX_SY_S15_S19_S1B_T6_T7_T9_mT8_S1D_bDpT10_ENKUlT_T0_E_clISt17integral_constantIbLb1EES1Q_EEDaS1L_S1M_EUlS1L_E_NS1_11comp_targetILNS1_3genE9ELNS1_11target_archE1100ELNS1_3gpuE3ELNS1_3repE0EEENS1_30default_config_static_selectorELNS0_4arch9wavefront6targetE1EEEvSZ_.uses_vcc, 0
	.set _ZN7rocprim17ROCPRIM_400000_NS6detail17trampoline_kernelINS0_13select_configILj256ELj13ELNS0_17block_load_methodE3ELS4_3ELS4_3ELNS0_20block_scan_algorithmE0ELj4294967295EEENS1_25partition_config_selectorILNS1_17partition_subalgoE3EjNS0_10empty_typeEbEEZZNS1_14partition_implILS8_3ELb0ES6_jNS0_17counting_iteratorIjlEEPS9_SE_NS0_5tupleIJPjSE_EEENSF_IJSE_SE_EEES9_SG_JZNS1_25segmented_radix_sort_implINS0_14default_configELb1EPK6__halfPSL_PKlPlN2at6native12_GLOBAL__N_18offset_tEEE10hipError_tPvRmT1_PNSt15iterator_traitsISZ_E10value_typeET2_T3_PNS10_IS15_E10value_typeET4_jRbjT5_S1B_jjP12ihipStream_tbEUljE_EEESW_SX_SY_S15_S19_S1B_T6_T7_T9_mT8_S1D_bDpT10_ENKUlT_T0_E_clISt17integral_constantIbLb1EES1Q_EEDaS1L_S1M_EUlS1L_E_NS1_11comp_targetILNS1_3genE9ELNS1_11target_archE1100ELNS1_3gpuE3ELNS1_3repE0EEENS1_30default_config_static_selectorELNS0_4arch9wavefront6targetE1EEEvSZ_.uses_flat_scratch, 0
	.set _ZN7rocprim17ROCPRIM_400000_NS6detail17trampoline_kernelINS0_13select_configILj256ELj13ELNS0_17block_load_methodE3ELS4_3ELS4_3ELNS0_20block_scan_algorithmE0ELj4294967295EEENS1_25partition_config_selectorILNS1_17partition_subalgoE3EjNS0_10empty_typeEbEEZZNS1_14partition_implILS8_3ELb0ES6_jNS0_17counting_iteratorIjlEEPS9_SE_NS0_5tupleIJPjSE_EEENSF_IJSE_SE_EEES9_SG_JZNS1_25segmented_radix_sort_implINS0_14default_configELb1EPK6__halfPSL_PKlPlN2at6native12_GLOBAL__N_18offset_tEEE10hipError_tPvRmT1_PNSt15iterator_traitsISZ_E10value_typeET2_T3_PNS10_IS15_E10value_typeET4_jRbjT5_S1B_jjP12ihipStream_tbEUljE_EEESW_SX_SY_S15_S19_S1B_T6_T7_T9_mT8_S1D_bDpT10_ENKUlT_T0_E_clISt17integral_constantIbLb1EES1Q_EEDaS1L_S1M_EUlS1L_E_NS1_11comp_targetILNS1_3genE9ELNS1_11target_archE1100ELNS1_3gpuE3ELNS1_3repE0EEENS1_30default_config_static_selectorELNS0_4arch9wavefront6targetE1EEEvSZ_.has_dyn_sized_stack, 0
	.set _ZN7rocprim17ROCPRIM_400000_NS6detail17trampoline_kernelINS0_13select_configILj256ELj13ELNS0_17block_load_methodE3ELS4_3ELS4_3ELNS0_20block_scan_algorithmE0ELj4294967295EEENS1_25partition_config_selectorILNS1_17partition_subalgoE3EjNS0_10empty_typeEbEEZZNS1_14partition_implILS8_3ELb0ES6_jNS0_17counting_iteratorIjlEEPS9_SE_NS0_5tupleIJPjSE_EEENSF_IJSE_SE_EEES9_SG_JZNS1_25segmented_radix_sort_implINS0_14default_configELb1EPK6__halfPSL_PKlPlN2at6native12_GLOBAL__N_18offset_tEEE10hipError_tPvRmT1_PNSt15iterator_traitsISZ_E10value_typeET2_T3_PNS10_IS15_E10value_typeET4_jRbjT5_S1B_jjP12ihipStream_tbEUljE_EEESW_SX_SY_S15_S19_S1B_T6_T7_T9_mT8_S1D_bDpT10_ENKUlT_T0_E_clISt17integral_constantIbLb1EES1Q_EEDaS1L_S1M_EUlS1L_E_NS1_11comp_targetILNS1_3genE9ELNS1_11target_archE1100ELNS1_3gpuE3ELNS1_3repE0EEENS1_30default_config_static_selectorELNS0_4arch9wavefront6targetE1EEEvSZ_.has_recursion, 0
	.set _ZN7rocprim17ROCPRIM_400000_NS6detail17trampoline_kernelINS0_13select_configILj256ELj13ELNS0_17block_load_methodE3ELS4_3ELS4_3ELNS0_20block_scan_algorithmE0ELj4294967295EEENS1_25partition_config_selectorILNS1_17partition_subalgoE3EjNS0_10empty_typeEbEEZZNS1_14partition_implILS8_3ELb0ES6_jNS0_17counting_iteratorIjlEEPS9_SE_NS0_5tupleIJPjSE_EEENSF_IJSE_SE_EEES9_SG_JZNS1_25segmented_radix_sort_implINS0_14default_configELb1EPK6__halfPSL_PKlPlN2at6native12_GLOBAL__N_18offset_tEEE10hipError_tPvRmT1_PNSt15iterator_traitsISZ_E10value_typeET2_T3_PNS10_IS15_E10value_typeET4_jRbjT5_S1B_jjP12ihipStream_tbEUljE_EEESW_SX_SY_S15_S19_S1B_T6_T7_T9_mT8_S1D_bDpT10_ENKUlT_T0_E_clISt17integral_constantIbLb1EES1Q_EEDaS1L_S1M_EUlS1L_E_NS1_11comp_targetILNS1_3genE9ELNS1_11target_archE1100ELNS1_3gpuE3ELNS1_3repE0EEENS1_30default_config_static_selectorELNS0_4arch9wavefront6targetE1EEEvSZ_.has_indirect_call, 0
	.section	.AMDGPU.csdata,"",@progbits
; Kernel info:
; codeLenInByte = 0
; TotalNumSgprs: 4
; NumVgprs: 0
; ScratchSize: 0
; MemoryBound: 0
; FloatMode: 240
; IeeeMode: 1
; LDSByteSize: 0 bytes/workgroup (compile time only)
; SGPRBlocks: 0
; VGPRBlocks: 0
; NumSGPRsForWavesPerEU: 4
; NumVGPRsForWavesPerEU: 1
; Occupancy: 10
; WaveLimiterHint : 0
; COMPUTE_PGM_RSRC2:SCRATCH_EN: 0
; COMPUTE_PGM_RSRC2:USER_SGPR: 6
; COMPUTE_PGM_RSRC2:TRAP_HANDLER: 0
; COMPUTE_PGM_RSRC2:TGID_X_EN: 1
; COMPUTE_PGM_RSRC2:TGID_Y_EN: 0
; COMPUTE_PGM_RSRC2:TGID_Z_EN: 0
; COMPUTE_PGM_RSRC2:TIDIG_COMP_CNT: 0
	.section	.text._ZN7rocprim17ROCPRIM_400000_NS6detail17trampoline_kernelINS0_13select_configILj256ELj13ELNS0_17block_load_methodE3ELS4_3ELS4_3ELNS0_20block_scan_algorithmE0ELj4294967295EEENS1_25partition_config_selectorILNS1_17partition_subalgoE3EjNS0_10empty_typeEbEEZZNS1_14partition_implILS8_3ELb0ES6_jNS0_17counting_iteratorIjlEEPS9_SE_NS0_5tupleIJPjSE_EEENSF_IJSE_SE_EEES9_SG_JZNS1_25segmented_radix_sort_implINS0_14default_configELb1EPK6__halfPSL_PKlPlN2at6native12_GLOBAL__N_18offset_tEEE10hipError_tPvRmT1_PNSt15iterator_traitsISZ_E10value_typeET2_T3_PNS10_IS15_E10value_typeET4_jRbjT5_S1B_jjP12ihipStream_tbEUljE_EEESW_SX_SY_S15_S19_S1B_T6_T7_T9_mT8_S1D_bDpT10_ENKUlT_T0_E_clISt17integral_constantIbLb1EES1Q_EEDaS1L_S1M_EUlS1L_E_NS1_11comp_targetILNS1_3genE8ELNS1_11target_archE1030ELNS1_3gpuE2ELNS1_3repE0EEENS1_30default_config_static_selectorELNS0_4arch9wavefront6targetE1EEEvSZ_,"axG",@progbits,_ZN7rocprim17ROCPRIM_400000_NS6detail17trampoline_kernelINS0_13select_configILj256ELj13ELNS0_17block_load_methodE3ELS4_3ELS4_3ELNS0_20block_scan_algorithmE0ELj4294967295EEENS1_25partition_config_selectorILNS1_17partition_subalgoE3EjNS0_10empty_typeEbEEZZNS1_14partition_implILS8_3ELb0ES6_jNS0_17counting_iteratorIjlEEPS9_SE_NS0_5tupleIJPjSE_EEENSF_IJSE_SE_EEES9_SG_JZNS1_25segmented_radix_sort_implINS0_14default_configELb1EPK6__halfPSL_PKlPlN2at6native12_GLOBAL__N_18offset_tEEE10hipError_tPvRmT1_PNSt15iterator_traitsISZ_E10value_typeET2_T3_PNS10_IS15_E10value_typeET4_jRbjT5_S1B_jjP12ihipStream_tbEUljE_EEESW_SX_SY_S15_S19_S1B_T6_T7_T9_mT8_S1D_bDpT10_ENKUlT_T0_E_clISt17integral_constantIbLb1EES1Q_EEDaS1L_S1M_EUlS1L_E_NS1_11comp_targetILNS1_3genE8ELNS1_11target_archE1030ELNS1_3gpuE2ELNS1_3repE0EEENS1_30default_config_static_selectorELNS0_4arch9wavefront6targetE1EEEvSZ_,comdat
	.globl	_ZN7rocprim17ROCPRIM_400000_NS6detail17trampoline_kernelINS0_13select_configILj256ELj13ELNS0_17block_load_methodE3ELS4_3ELS4_3ELNS0_20block_scan_algorithmE0ELj4294967295EEENS1_25partition_config_selectorILNS1_17partition_subalgoE3EjNS0_10empty_typeEbEEZZNS1_14partition_implILS8_3ELb0ES6_jNS0_17counting_iteratorIjlEEPS9_SE_NS0_5tupleIJPjSE_EEENSF_IJSE_SE_EEES9_SG_JZNS1_25segmented_radix_sort_implINS0_14default_configELb1EPK6__halfPSL_PKlPlN2at6native12_GLOBAL__N_18offset_tEEE10hipError_tPvRmT1_PNSt15iterator_traitsISZ_E10value_typeET2_T3_PNS10_IS15_E10value_typeET4_jRbjT5_S1B_jjP12ihipStream_tbEUljE_EEESW_SX_SY_S15_S19_S1B_T6_T7_T9_mT8_S1D_bDpT10_ENKUlT_T0_E_clISt17integral_constantIbLb1EES1Q_EEDaS1L_S1M_EUlS1L_E_NS1_11comp_targetILNS1_3genE8ELNS1_11target_archE1030ELNS1_3gpuE2ELNS1_3repE0EEENS1_30default_config_static_selectorELNS0_4arch9wavefront6targetE1EEEvSZ_ ; -- Begin function _ZN7rocprim17ROCPRIM_400000_NS6detail17trampoline_kernelINS0_13select_configILj256ELj13ELNS0_17block_load_methodE3ELS4_3ELS4_3ELNS0_20block_scan_algorithmE0ELj4294967295EEENS1_25partition_config_selectorILNS1_17partition_subalgoE3EjNS0_10empty_typeEbEEZZNS1_14partition_implILS8_3ELb0ES6_jNS0_17counting_iteratorIjlEEPS9_SE_NS0_5tupleIJPjSE_EEENSF_IJSE_SE_EEES9_SG_JZNS1_25segmented_radix_sort_implINS0_14default_configELb1EPK6__halfPSL_PKlPlN2at6native12_GLOBAL__N_18offset_tEEE10hipError_tPvRmT1_PNSt15iterator_traitsISZ_E10value_typeET2_T3_PNS10_IS15_E10value_typeET4_jRbjT5_S1B_jjP12ihipStream_tbEUljE_EEESW_SX_SY_S15_S19_S1B_T6_T7_T9_mT8_S1D_bDpT10_ENKUlT_T0_E_clISt17integral_constantIbLb1EES1Q_EEDaS1L_S1M_EUlS1L_E_NS1_11comp_targetILNS1_3genE8ELNS1_11target_archE1030ELNS1_3gpuE2ELNS1_3repE0EEENS1_30default_config_static_selectorELNS0_4arch9wavefront6targetE1EEEvSZ_
	.p2align	8
	.type	_ZN7rocprim17ROCPRIM_400000_NS6detail17trampoline_kernelINS0_13select_configILj256ELj13ELNS0_17block_load_methodE3ELS4_3ELS4_3ELNS0_20block_scan_algorithmE0ELj4294967295EEENS1_25partition_config_selectorILNS1_17partition_subalgoE3EjNS0_10empty_typeEbEEZZNS1_14partition_implILS8_3ELb0ES6_jNS0_17counting_iteratorIjlEEPS9_SE_NS0_5tupleIJPjSE_EEENSF_IJSE_SE_EEES9_SG_JZNS1_25segmented_radix_sort_implINS0_14default_configELb1EPK6__halfPSL_PKlPlN2at6native12_GLOBAL__N_18offset_tEEE10hipError_tPvRmT1_PNSt15iterator_traitsISZ_E10value_typeET2_T3_PNS10_IS15_E10value_typeET4_jRbjT5_S1B_jjP12ihipStream_tbEUljE_EEESW_SX_SY_S15_S19_S1B_T6_T7_T9_mT8_S1D_bDpT10_ENKUlT_T0_E_clISt17integral_constantIbLb1EES1Q_EEDaS1L_S1M_EUlS1L_E_NS1_11comp_targetILNS1_3genE8ELNS1_11target_archE1030ELNS1_3gpuE2ELNS1_3repE0EEENS1_30default_config_static_selectorELNS0_4arch9wavefront6targetE1EEEvSZ_,@function
_ZN7rocprim17ROCPRIM_400000_NS6detail17trampoline_kernelINS0_13select_configILj256ELj13ELNS0_17block_load_methodE3ELS4_3ELS4_3ELNS0_20block_scan_algorithmE0ELj4294967295EEENS1_25partition_config_selectorILNS1_17partition_subalgoE3EjNS0_10empty_typeEbEEZZNS1_14partition_implILS8_3ELb0ES6_jNS0_17counting_iteratorIjlEEPS9_SE_NS0_5tupleIJPjSE_EEENSF_IJSE_SE_EEES9_SG_JZNS1_25segmented_radix_sort_implINS0_14default_configELb1EPK6__halfPSL_PKlPlN2at6native12_GLOBAL__N_18offset_tEEE10hipError_tPvRmT1_PNSt15iterator_traitsISZ_E10value_typeET2_T3_PNS10_IS15_E10value_typeET4_jRbjT5_S1B_jjP12ihipStream_tbEUljE_EEESW_SX_SY_S15_S19_S1B_T6_T7_T9_mT8_S1D_bDpT10_ENKUlT_T0_E_clISt17integral_constantIbLb1EES1Q_EEDaS1L_S1M_EUlS1L_E_NS1_11comp_targetILNS1_3genE8ELNS1_11target_archE1030ELNS1_3gpuE2ELNS1_3repE0EEENS1_30default_config_static_selectorELNS0_4arch9wavefront6targetE1EEEvSZ_: ; @_ZN7rocprim17ROCPRIM_400000_NS6detail17trampoline_kernelINS0_13select_configILj256ELj13ELNS0_17block_load_methodE3ELS4_3ELS4_3ELNS0_20block_scan_algorithmE0ELj4294967295EEENS1_25partition_config_selectorILNS1_17partition_subalgoE3EjNS0_10empty_typeEbEEZZNS1_14partition_implILS8_3ELb0ES6_jNS0_17counting_iteratorIjlEEPS9_SE_NS0_5tupleIJPjSE_EEENSF_IJSE_SE_EEES9_SG_JZNS1_25segmented_radix_sort_implINS0_14default_configELb1EPK6__halfPSL_PKlPlN2at6native12_GLOBAL__N_18offset_tEEE10hipError_tPvRmT1_PNSt15iterator_traitsISZ_E10value_typeET2_T3_PNS10_IS15_E10value_typeET4_jRbjT5_S1B_jjP12ihipStream_tbEUljE_EEESW_SX_SY_S15_S19_S1B_T6_T7_T9_mT8_S1D_bDpT10_ENKUlT_T0_E_clISt17integral_constantIbLb1EES1Q_EEDaS1L_S1M_EUlS1L_E_NS1_11comp_targetILNS1_3genE8ELNS1_11target_archE1030ELNS1_3gpuE2ELNS1_3repE0EEENS1_30default_config_static_selectorELNS0_4arch9wavefront6targetE1EEEvSZ_
; %bb.0:
	.section	.rodata,"a",@progbits
	.p2align	6, 0x0
	.amdhsa_kernel _ZN7rocprim17ROCPRIM_400000_NS6detail17trampoline_kernelINS0_13select_configILj256ELj13ELNS0_17block_load_methodE3ELS4_3ELS4_3ELNS0_20block_scan_algorithmE0ELj4294967295EEENS1_25partition_config_selectorILNS1_17partition_subalgoE3EjNS0_10empty_typeEbEEZZNS1_14partition_implILS8_3ELb0ES6_jNS0_17counting_iteratorIjlEEPS9_SE_NS0_5tupleIJPjSE_EEENSF_IJSE_SE_EEES9_SG_JZNS1_25segmented_radix_sort_implINS0_14default_configELb1EPK6__halfPSL_PKlPlN2at6native12_GLOBAL__N_18offset_tEEE10hipError_tPvRmT1_PNSt15iterator_traitsISZ_E10value_typeET2_T3_PNS10_IS15_E10value_typeET4_jRbjT5_S1B_jjP12ihipStream_tbEUljE_EEESW_SX_SY_S15_S19_S1B_T6_T7_T9_mT8_S1D_bDpT10_ENKUlT_T0_E_clISt17integral_constantIbLb1EES1Q_EEDaS1L_S1M_EUlS1L_E_NS1_11comp_targetILNS1_3genE8ELNS1_11target_archE1030ELNS1_3gpuE2ELNS1_3repE0EEENS1_30default_config_static_selectorELNS0_4arch9wavefront6targetE1EEEvSZ_
		.amdhsa_group_segment_fixed_size 0
		.amdhsa_private_segment_fixed_size 0
		.amdhsa_kernarg_size 152
		.amdhsa_user_sgpr_count 6
		.amdhsa_user_sgpr_private_segment_buffer 1
		.amdhsa_user_sgpr_dispatch_ptr 0
		.amdhsa_user_sgpr_queue_ptr 0
		.amdhsa_user_sgpr_kernarg_segment_ptr 1
		.amdhsa_user_sgpr_dispatch_id 0
		.amdhsa_user_sgpr_flat_scratch_init 0
		.amdhsa_user_sgpr_private_segment_size 0
		.amdhsa_uses_dynamic_stack 0
		.amdhsa_system_sgpr_private_segment_wavefront_offset 0
		.amdhsa_system_sgpr_workgroup_id_x 1
		.amdhsa_system_sgpr_workgroup_id_y 0
		.amdhsa_system_sgpr_workgroup_id_z 0
		.amdhsa_system_sgpr_workgroup_info 0
		.amdhsa_system_vgpr_workitem_id 0
		.amdhsa_next_free_vgpr 1
		.amdhsa_next_free_sgpr 0
		.amdhsa_reserve_vcc 0
		.amdhsa_reserve_flat_scratch 0
		.amdhsa_float_round_mode_32 0
		.amdhsa_float_round_mode_16_64 0
		.amdhsa_float_denorm_mode_32 3
		.amdhsa_float_denorm_mode_16_64 3
		.amdhsa_dx10_clamp 1
		.amdhsa_ieee_mode 1
		.amdhsa_fp16_overflow 0
		.amdhsa_exception_fp_ieee_invalid_op 0
		.amdhsa_exception_fp_denorm_src 0
		.amdhsa_exception_fp_ieee_div_zero 0
		.amdhsa_exception_fp_ieee_overflow 0
		.amdhsa_exception_fp_ieee_underflow 0
		.amdhsa_exception_fp_ieee_inexact 0
		.amdhsa_exception_int_div_zero 0
	.end_amdhsa_kernel
	.section	.text._ZN7rocprim17ROCPRIM_400000_NS6detail17trampoline_kernelINS0_13select_configILj256ELj13ELNS0_17block_load_methodE3ELS4_3ELS4_3ELNS0_20block_scan_algorithmE0ELj4294967295EEENS1_25partition_config_selectorILNS1_17partition_subalgoE3EjNS0_10empty_typeEbEEZZNS1_14partition_implILS8_3ELb0ES6_jNS0_17counting_iteratorIjlEEPS9_SE_NS0_5tupleIJPjSE_EEENSF_IJSE_SE_EEES9_SG_JZNS1_25segmented_radix_sort_implINS0_14default_configELb1EPK6__halfPSL_PKlPlN2at6native12_GLOBAL__N_18offset_tEEE10hipError_tPvRmT1_PNSt15iterator_traitsISZ_E10value_typeET2_T3_PNS10_IS15_E10value_typeET4_jRbjT5_S1B_jjP12ihipStream_tbEUljE_EEESW_SX_SY_S15_S19_S1B_T6_T7_T9_mT8_S1D_bDpT10_ENKUlT_T0_E_clISt17integral_constantIbLb1EES1Q_EEDaS1L_S1M_EUlS1L_E_NS1_11comp_targetILNS1_3genE8ELNS1_11target_archE1030ELNS1_3gpuE2ELNS1_3repE0EEENS1_30default_config_static_selectorELNS0_4arch9wavefront6targetE1EEEvSZ_,"axG",@progbits,_ZN7rocprim17ROCPRIM_400000_NS6detail17trampoline_kernelINS0_13select_configILj256ELj13ELNS0_17block_load_methodE3ELS4_3ELS4_3ELNS0_20block_scan_algorithmE0ELj4294967295EEENS1_25partition_config_selectorILNS1_17partition_subalgoE3EjNS0_10empty_typeEbEEZZNS1_14partition_implILS8_3ELb0ES6_jNS0_17counting_iteratorIjlEEPS9_SE_NS0_5tupleIJPjSE_EEENSF_IJSE_SE_EEES9_SG_JZNS1_25segmented_radix_sort_implINS0_14default_configELb1EPK6__halfPSL_PKlPlN2at6native12_GLOBAL__N_18offset_tEEE10hipError_tPvRmT1_PNSt15iterator_traitsISZ_E10value_typeET2_T3_PNS10_IS15_E10value_typeET4_jRbjT5_S1B_jjP12ihipStream_tbEUljE_EEESW_SX_SY_S15_S19_S1B_T6_T7_T9_mT8_S1D_bDpT10_ENKUlT_T0_E_clISt17integral_constantIbLb1EES1Q_EEDaS1L_S1M_EUlS1L_E_NS1_11comp_targetILNS1_3genE8ELNS1_11target_archE1030ELNS1_3gpuE2ELNS1_3repE0EEENS1_30default_config_static_selectorELNS0_4arch9wavefront6targetE1EEEvSZ_,comdat
.Lfunc_end1722:
	.size	_ZN7rocprim17ROCPRIM_400000_NS6detail17trampoline_kernelINS0_13select_configILj256ELj13ELNS0_17block_load_methodE3ELS4_3ELS4_3ELNS0_20block_scan_algorithmE0ELj4294967295EEENS1_25partition_config_selectorILNS1_17partition_subalgoE3EjNS0_10empty_typeEbEEZZNS1_14partition_implILS8_3ELb0ES6_jNS0_17counting_iteratorIjlEEPS9_SE_NS0_5tupleIJPjSE_EEENSF_IJSE_SE_EEES9_SG_JZNS1_25segmented_radix_sort_implINS0_14default_configELb1EPK6__halfPSL_PKlPlN2at6native12_GLOBAL__N_18offset_tEEE10hipError_tPvRmT1_PNSt15iterator_traitsISZ_E10value_typeET2_T3_PNS10_IS15_E10value_typeET4_jRbjT5_S1B_jjP12ihipStream_tbEUljE_EEESW_SX_SY_S15_S19_S1B_T6_T7_T9_mT8_S1D_bDpT10_ENKUlT_T0_E_clISt17integral_constantIbLb1EES1Q_EEDaS1L_S1M_EUlS1L_E_NS1_11comp_targetILNS1_3genE8ELNS1_11target_archE1030ELNS1_3gpuE2ELNS1_3repE0EEENS1_30default_config_static_selectorELNS0_4arch9wavefront6targetE1EEEvSZ_, .Lfunc_end1722-_ZN7rocprim17ROCPRIM_400000_NS6detail17trampoline_kernelINS0_13select_configILj256ELj13ELNS0_17block_load_methodE3ELS4_3ELS4_3ELNS0_20block_scan_algorithmE0ELj4294967295EEENS1_25partition_config_selectorILNS1_17partition_subalgoE3EjNS0_10empty_typeEbEEZZNS1_14partition_implILS8_3ELb0ES6_jNS0_17counting_iteratorIjlEEPS9_SE_NS0_5tupleIJPjSE_EEENSF_IJSE_SE_EEES9_SG_JZNS1_25segmented_radix_sort_implINS0_14default_configELb1EPK6__halfPSL_PKlPlN2at6native12_GLOBAL__N_18offset_tEEE10hipError_tPvRmT1_PNSt15iterator_traitsISZ_E10value_typeET2_T3_PNS10_IS15_E10value_typeET4_jRbjT5_S1B_jjP12ihipStream_tbEUljE_EEESW_SX_SY_S15_S19_S1B_T6_T7_T9_mT8_S1D_bDpT10_ENKUlT_T0_E_clISt17integral_constantIbLb1EES1Q_EEDaS1L_S1M_EUlS1L_E_NS1_11comp_targetILNS1_3genE8ELNS1_11target_archE1030ELNS1_3gpuE2ELNS1_3repE0EEENS1_30default_config_static_selectorELNS0_4arch9wavefront6targetE1EEEvSZ_
                                        ; -- End function
	.set _ZN7rocprim17ROCPRIM_400000_NS6detail17trampoline_kernelINS0_13select_configILj256ELj13ELNS0_17block_load_methodE3ELS4_3ELS4_3ELNS0_20block_scan_algorithmE0ELj4294967295EEENS1_25partition_config_selectorILNS1_17partition_subalgoE3EjNS0_10empty_typeEbEEZZNS1_14partition_implILS8_3ELb0ES6_jNS0_17counting_iteratorIjlEEPS9_SE_NS0_5tupleIJPjSE_EEENSF_IJSE_SE_EEES9_SG_JZNS1_25segmented_radix_sort_implINS0_14default_configELb1EPK6__halfPSL_PKlPlN2at6native12_GLOBAL__N_18offset_tEEE10hipError_tPvRmT1_PNSt15iterator_traitsISZ_E10value_typeET2_T3_PNS10_IS15_E10value_typeET4_jRbjT5_S1B_jjP12ihipStream_tbEUljE_EEESW_SX_SY_S15_S19_S1B_T6_T7_T9_mT8_S1D_bDpT10_ENKUlT_T0_E_clISt17integral_constantIbLb1EES1Q_EEDaS1L_S1M_EUlS1L_E_NS1_11comp_targetILNS1_3genE8ELNS1_11target_archE1030ELNS1_3gpuE2ELNS1_3repE0EEENS1_30default_config_static_selectorELNS0_4arch9wavefront6targetE1EEEvSZ_.num_vgpr, 0
	.set _ZN7rocprim17ROCPRIM_400000_NS6detail17trampoline_kernelINS0_13select_configILj256ELj13ELNS0_17block_load_methodE3ELS4_3ELS4_3ELNS0_20block_scan_algorithmE0ELj4294967295EEENS1_25partition_config_selectorILNS1_17partition_subalgoE3EjNS0_10empty_typeEbEEZZNS1_14partition_implILS8_3ELb0ES6_jNS0_17counting_iteratorIjlEEPS9_SE_NS0_5tupleIJPjSE_EEENSF_IJSE_SE_EEES9_SG_JZNS1_25segmented_radix_sort_implINS0_14default_configELb1EPK6__halfPSL_PKlPlN2at6native12_GLOBAL__N_18offset_tEEE10hipError_tPvRmT1_PNSt15iterator_traitsISZ_E10value_typeET2_T3_PNS10_IS15_E10value_typeET4_jRbjT5_S1B_jjP12ihipStream_tbEUljE_EEESW_SX_SY_S15_S19_S1B_T6_T7_T9_mT8_S1D_bDpT10_ENKUlT_T0_E_clISt17integral_constantIbLb1EES1Q_EEDaS1L_S1M_EUlS1L_E_NS1_11comp_targetILNS1_3genE8ELNS1_11target_archE1030ELNS1_3gpuE2ELNS1_3repE0EEENS1_30default_config_static_selectorELNS0_4arch9wavefront6targetE1EEEvSZ_.num_agpr, 0
	.set _ZN7rocprim17ROCPRIM_400000_NS6detail17trampoline_kernelINS0_13select_configILj256ELj13ELNS0_17block_load_methodE3ELS4_3ELS4_3ELNS0_20block_scan_algorithmE0ELj4294967295EEENS1_25partition_config_selectorILNS1_17partition_subalgoE3EjNS0_10empty_typeEbEEZZNS1_14partition_implILS8_3ELb0ES6_jNS0_17counting_iteratorIjlEEPS9_SE_NS0_5tupleIJPjSE_EEENSF_IJSE_SE_EEES9_SG_JZNS1_25segmented_radix_sort_implINS0_14default_configELb1EPK6__halfPSL_PKlPlN2at6native12_GLOBAL__N_18offset_tEEE10hipError_tPvRmT1_PNSt15iterator_traitsISZ_E10value_typeET2_T3_PNS10_IS15_E10value_typeET4_jRbjT5_S1B_jjP12ihipStream_tbEUljE_EEESW_SX_SY_S15_S19_S1B_T6_T7_T9_mT8_S1D_bDpT10_ENKUlT_T0_E_clISt17integral_constantIbLb1EES1Q_EEDaS1L_S1M_EUlS1L_E_NS1_11comp_targetILNS1_3genE8ELNS1_11target_archE1030ELNS1_3gpuE2ELNS1_3repE0EEENS1_30default_config_static_selectorELNS0_4arch9wavefront6targetE1EEEvSZ_.numbered_sgpr, 0
	.set _ZN7rocprim17ROCPRIM_400000_NS6detail17trampoline_kernelINS0_13select_configILj256ELj13ELNS0_17block_load_methodE3ELS4_3ELS4_3ELNS0_20block_scan_algorithmE0ELj4294967295EEENS1_25partition_config_selectorILNS1_17partition_subalgoE3EjNS0_10empty_typeEbEEZZNS1_14partition_implILS8_3ELb0ES6_jNS0_17counting_iteratorIjlEEPS9_SE_NS0_5tupleIJPjSE_EEENSF_IJSE_SE_EEES9_SG_JZNS1_25segmented_radix_sort_implINS0_14default_configELb1EPK6__halfPSL_PKlPlN2at6native12_GLOBAL__N_18offset_tEEE10hipError_tPvRmT1_PNSt15iterator_traitsISZ_E10value_typeET2_T3_PNS10_IS15_E10value_typeET4_jRbjT5_S1B_jjP12ihipStream_tbEUljE_EEESW_SX_SY_S15_S19_S1B_T6_T7_T9_mT8_S1D_bDpT10_ENKUlT_T0_E_clISt17integral_constantIbLb1EES1Q_EEDaS1L_S1M_EUlS1L_E_NS1_11comp_targetILNS1_3genE8ELNS1_11target_archE1030ELNS1_3gpuE2ELNS1_3repE0EEENS1_30default_config_static_selectorELNS0_4arch9wavefront6targetE1EEEvSZ_.num_named_barrier, 0
	.set _ZN7rocprim17ROCPRIM_400000_NS6detail17trampoline_kernelINS0_13select_configILj256ELj13ELNS0_17block_load_methodE3ELS4_3ELS4_3ELNS0_20block_scan_algorithmE0ELj4294967295EEENS1_25partition_config_selectorILNS1_17partition_subalgoE3EjNS0_10empty_typeEbEEZZNS1_14partition_implILS8_3ELb0ES6_jNS0_17counting_iteratorIjlEEPS9_SE_NS0_5tupleIJPjSE_EEENSF_IJSE_SE_EEES9_SG_JZNS1_25segmented_radix_sort_implINS0_14default_configELb1EPK6__halfPSL_PKlPlN2at6native12_GLOBAL__N_18offset_tEEE10hipError_tPvRmT1_PNSt15iterator_traitsISZ_E10value_typeET2_T3_PNS10_IS15_E10value_typeET4_jRbjT5_S1B_jjP12ihipStream_tbEUljE_EEESW_SX_SY_S15_S19_S1B_T6_T7_T9_mT8_S1D_bDpT10_ENKUlT_T0_E_clISt17integral_constantIbLb1EES1Q_EEDaS1L_S1M_EUlS1L_E_NS1_11comp_targetILNS1_3genE8ELNS1_11target_archE1030ELNS1_3gpuE2ELNS1_3repE0EEENS1_30default_config_static_selectorELNS0_4arch9wavefront6targetE1EEEvSZ_.private_seg_size, 0
	.set _ZN7rocprim17ROCPRIM_400000_NS6detail17trampoline_kernelINS0_13select_configILj256ELj13ELNS0_17block_load_methodE3ELS4_3ELS4_3ELNS0_20block_scan_algorithmE0ELj4294967295EEENS1_25partition_config_selectorILNS1_17partition_subalgoE3EjNS0_10empty_typeEbEEZZNS1_14partition_implILS8_3ELb0ES6_jNS0_17counting_iteratorIjlEEPS9_SE_NS0_5tupleIJPjSE_EEENSF_IJSE_SE_EEES9_SG_JZNS1_25segmented_radix_sort_implINS0_14default_configELb1EPK6__halfPSL_PKlPlN2at6native12_GLOBAL__N_18offset_tEEE10hipError_tPvRmT1_PNSt15iterator_traitsISZ_E10value_typeET2_T3_PNS10_IS15_E10value_typeET4_jRbjT5_S1B_jjP12ihipStream_tbEUljE_EEESW_SX_SY_S15_S19_S1B_T6_T7_T9_mT8_S1D_bDpT10_ENKUlT_T0_E_clISt17integral_constantIbLb1EES1Q_EEDaS1L_S1M_EUlS1L_E_NS1_11comp_targetILNS1_3genE8ELNS1_11target_archE1030ELNS1_3gpuE2ELNS1_3repE0EEENS1_30default_config_static_selectorELNS0_4arch9wavefront6targetE1EEEvSZ_.uses_vcc, 0
	.set _ZN7rocprim17ROCPRIM_400000_NS6detail17trampoline_kernelINS0_13select_configILj256ELj13ELNS0_17block_load_methodE3ELS4_3ELS4_3ELNS0_20block_scan_algorithmE0ELj4294967295EEENS1_25partition_config_selectorILNS1_17partition_subalgoE3EjNS0_10empty_typeEbEEZZNS1_14partition_implILS8_3ELb0ES6_jNS0_17counting_iteratorIjlEEPS9_SE_NS0_5tupleIJPjSE_EEENSF_IJSE_SE_EEES9_SG_JZNS1_25segmented_radix_sort_implINS0_14default_configELb1EPK6__halfPSL_PKlPlN2at6native12_GLOBAL__N_18offset_tEEE10hipError_tPvRmT1_PNSt15iterator_traitsISZ_E10value_typeET2_T3_PNS10_IS15_E10value_typeET4_jRbjT5_S1B_jjP12ihipStream_tbEUljE_EEESW_SX_SY_S15_S19_S1B_T6_T7_T9_mT8_S1D_bDpT10_ENKUlT_T0_E_clISt17integral_constantIbLb1EES1Q_EEDaS1L_S1M_EUlS1L_E_NS1_11comp_targetILNS1_3genE8ELNS1_11target_archE1030ELNS1_3gpuE2ELNS1_3repE0EEENS1_30default_config_static_selectorELNS0_4arch9wavefront6targetE1EEEvSZ_.uses_flat_scratch, 0
	.set _ZN7rocprim17ROCPRIM_400000_NS6detail17trampoline_kernelINS0_13select_configILj256ELj13ELNS0_17block_load_methodE3ELS4_3ELS4_3ELNS0_20block_scan_algorithmE0ELj4294967295EEENS1_25partition_config_selectorILNS1_17partition_subalgoE3EjNS0_10empty_typeEbEEZZNS1_14partition_implILS8_3ELb0ES6_jNS0_17counting_iteratorIjlEEPS9_SE_NS0_5tupleIJPjSE_EEENSF_IJSE_SE_EEES9_SG_JZNS1_25segmented_radix_sort_implINS0_14default_configELb1EPK6__halfPSL_PKlPlN2at6native12_GLOBAL__N_18offset_tEEE10hipError_tPvRmT1_PNSt15iterator_traitsISZ_E10value_typeET2_T3_PNS10_IS15_E10value_typeET4_jRbjT5_S1B_jjP12ihipStream_tbEUljE_EEESW_SX_SY_S15_S19_S1B_T6_T7_T9_mT8_S1D_bDpT10_ENKUlT_T0_E_clISt17integral_constantIbLb1EES1Q_EEDaS1L_S1M_EUlS1L_E_NS1_11comp_targetILNS1_3genE8ELNS1_11target_archE1030ELNS1_3gpuE2ELNS1_3repE0EEENS1_30default_config_static_selectorELNS0_4arch9wavefront6targetE1EEEvSZ_.has_dyn_sized_stack, 0
	.set _ZN7rocprim17ROCPRIM_400000_NS6detail17trampoline_kernelINS0_13select_configILj256ELj13ELNS0_17block_load_methodE3ELS4_3ELS4_3ELNS0_20block_scan_algorithmE0ELj4294967295EEENS1_25partition_config_selectorILNS1_17partition_subalgoE3EjNS0_10empty_typeEbEEZZNS1_14partition_implILS8_3ELb0ES6_jNS0_17counting_iteratorIjlEEPS9_SE_NS0_5tupleIJPjSE_EEENSF_IJSE_SE_EEES9_SG_JZNS1_25segmented_radix_sort_implINS0_14default_configELb1EPK6__halfPSL_PKlPlN2at6native12_GLOBAL__N_18offset_tEEE10hipError_tPvRmT1_PNSt15iterator_traitsISZ_E10value_typeET2_T3_PNS10_IS15_E10value_typeET4_jRbjT5_S1B_jjP12ihipStream_tbEUljE_EEESW_SX_SY_S15_S19_S1B_T6_T7_T9_mT8_S1D_bDpT10_ENKUlT_T0_E_clISt17integral_constantIbLb1EES1Q_EEDaS1L_S1M_EUlS1L_E_NS1_11comp_targetILNS1_3genE8ELNS1_11target_archE1030ELNS1_3gpuE2ELNS1_3repE0EEENS1_30default_config_static_selectorELNS0_4arch9wavefront6targetE1EEEvSZ_.has_recursion, 0
	.set _ZN7rocprim17ROCPRIM_400000_NS6detail17trampoline_kernelINS0_13select_configILj256ELj13ELNS0_17block_load_methodE3ELS4_3ELS4_3ELNS0_20block_scan_algorithmE0ELj4294967295EEENS1_25partition_config_selectorILNS1_17partition_subalgoE3EjNS0_10empty_typeEbEEZZNS1_14partition_implILS8_3ELb0ES6_jNS0_17counting_iteratorIjlEEPS9_SE_NS0_5tupleIJPjSE_EEENSF_IJSE_SE_EEES9_SG_JZNS1_25segmented_radix_sort_implINS0_14default_configELb1EPK6__halfPSL_PKlPlN2at6native12_GLOBAL__N_18offset_tEEE10hipError_tPvRmT1_PNSt15iterator_traitsISZ_E10value_typeET2_T3_PNS10_IS15_E10value_typeET4_jRbjT5_S1B_jjP12ihipStream_tbEUljE_EEESW_SX_SY_S15_S19_S1B_T6_T7_T9_mT8_S1D_bDpT10_ENKUlT_T0_E_clISt17integral_constantIbLb1EES1Q_EEDaS1L_S1M_EUlS1L_E_NS1_11comp_targetILNS1_3genE8ELNS1_11target_archE1030ELNS1_3gpuE2ELNS1_3repE0EEENS1_30default_config_static_selectorELNS0_4arch9wavefront6targetE1EEEvSZ_.has_indirect_call, 0
	.section	.AMDGPU.csdata,"",@progbits
; Kernel info:
; codeLenInByte = 0
; TotalNumSgprs: 4
; NumVgprs: 0
; ScratchSize: 0
; MemoryBound: 0
; FloatMode: 240
; IeeeMode: 1
; LDSByteSize: 0 bytes/workgroup (compile time only)
; SGPRBlocks: 0
; VGPRBlocks: 0
; NumSGPRsForWavesPerEU: 4
; NumVGPRsForWavesPerEU: 1
; Occupancy: 10
; WaveLimiterHint : 0
; COMPUTE_PGM_RSRC2:SCRATCH_EN: 0
; COMPUTE_PGM_RSRC2:USER_SGPR: 6
; COMPUTE_PGM_RSRC2:TRAP_HANDLER: 0
; COMPUTE_PGM_RSRC2:TGID_X_EN: 1
; COMPUTE_PGM_RSRC2:TGID_Y_EN: 0
; COMPUTE_PGM_RSRC2:TGID_Z_EN: 0
; COMPUTE_PGM_RSRC2:TIDIG_COMP_CNT: 0
	.section	.text._ZN7rocprim17ROCPRIM_400000_NS6detail17trampoline_kernelINS0_13select_configILj256ELj13ELNS0_17block_load_methodE3ELS4_3ELS4_3ELNS0_20block_scan_algorithmE0ELj4294967295EEENS1_25partition_config_selectorILNS1_17partition_subalgoE3EjNS0_10empty_typeEbEEZZNS1_14partition_implILS8_3ELb0ES6_jNS0_17counting_iteratorIjlEEPS9_SE_NS0_5tupleIJPjSE_EEENSF_IJSE_SE_EEES9_SG_JZNS1_25segmented_radix_sort_implINS0_14default_configELb1EPK6__halfPSL_PKlPlN2at6native12_GLOBAL__N_18offset_tEEE10hipError_tPvRmT1_PNSt15iterator_traitsISZ_E10value_typeET2_T3_PNS10_IS15_E10value_typeET4_jRbjT5_S1B_jjP12ihipStream_tbEUljE_EEESW_SX_SY_S15_S19_S1B_T6_T7_T9_mT8_S1D_bDpT10_ENKUlT_T0_E_clISt17integral_constantIbLb1EES1P_IbLb0EEEEDaS1L_S1M_EUlS1L_E_NS1_11comp_targetILNS1_3genE0ELNS1_11target_archE4294967295ELNS1_3gpuE0ELNS1_3repE0EEENS1_30default_config_static_selectorELNS0_4arch9wavefront6targetE1EEEvSZ_,"axG",@progbits,_ZN7rocprim17ROCPRIM_400000_NS6detail17trampoline_kernelINS0_13select_configILj256ELj13ELNS0_17block_load_methodE3ELS4_3ELS4_3ELNS0_20block_scan_algorithmE0ELj4294967295EEENS1_25partition_config_selectorILNS1_17partition_subalgoE3EjNS0_10empty_typeEbEEZZNS1_14partition_implILS8_3ELb0ES6_jNS0_17counting_iteratorIjlEEPS9_SE_NS0_5tupleIJPjSE_EEENSF_IJSE_SE_EEES9_SG_JZNS1_25segmented_radix_sort_implINS0_14default_configELb1EPK6__halfPSL_PKlPlN2at6native12_GLOBAL__N_18offset_tEEE10hipError_tPvRmT1_PNSt15iterator_traitsISZ_E10value_typeET2_T3_PNS10_IS15_E10value_typeET4_jRbjT5_S1B_jjP12ihipStream_tbEUljE_EEESW_SX_SY_S15_S19_S1B_T6_T7_T9_mT8_S1D_bDpT10_ENKUlT_T0_E_clISt17integral_constantIbLb1EES1P_IbLb0EEEEDaS1L_S1M_EUlS1L_E_NS1_11comp_targetILNS1_3genE0ELNS1_11target_archE4294967295ELNS1_3gpuE0ELNS1_3repE0EEENS1_30default_config_static_selectorELNS0_4arch9wavefront6targetE1EEEvSZ_,comdat
	.globl	_ZN7rocprim17ROCPRIM_400000_NS6detail17trampoline_kernelINS0_13select_configILj256ELj13ELNS0_17block_load_methodE3ELS4_3ELS4_3ELNS0_20block_scan_algorithmE0ELj4294967295EEENS1_25partition_config_selectorILNS1_17partition_subalgoE3EjNS0_10empty_typeEbEEZZNS1_14partition_implILS8_3ELb0ES6_jNS0_17counting_iteratorIjlEEPS9_SE_NS0_5tupleIJPjSE_EEENSF_IJSE_SE_EEES9_SG_JZNS1_25segmented_radix_sort_implINS0_14default_configELb1EPK6__halfPSL_PKlPlN2at6native12_GLOBAL__N_18offset_tEEE10hipError_tPvRmT1_PNSt15iterator_traitsISZ_E10value_typeET2_T3_PNS10_IS15_E10value_typeET4_jRbjT5_S1B_jjP12ihipStream_tbEUljE_EEESW_SX_SY_S15_S19_S1B_T6_T7_T9_mT8_S1D_bDpT10_ENKUlT_T0_E_clISt17integral_constantIbLb1EES1P_IbLb0EEEEDaS1L_S1M_EUlS1L_E_NS1_11comp_targetILNS1_3genE0ELNS1_11target_archE4294967295ELNS1_3gpuE0ELNS1_3repE0EEENS1_30default_config_static_selectorELNS0_4arch9wavefront6targetE1EEEvSZ_ ; -- Begin function _ZN7rocprim17ROCPRIM_400000_NS6detail17trampoline_kernelINS0_13select_configILj256ELj13ELNS0_17block_load_methodE3ELS4_3ELS4_3ELNS0_20block_scan_algorithmE0ELj4294967295EEENS1_25partition_config_selectorILNS1_17partition_subalgoE3EjNS0_10empty_typeEbEEZZNS1_14partition_implILS8_3ELb0ES6_jNS0_17counting_iteratorIjlEEPS9_SE_NS0_5tupleIJPjSE_EEENSF_IJSE_SE_EEES9_SG_JZNS1_25segmented_radix_sort_implINS0_14default_configELb1EPK6__halfPSL_PKlPlN2at6native12_GLOBAL__N_18offset_tEEE10hipError_tPvRmT1_PNSt15iterator_traitsISZ_E10value_typeET2_T3_PNS10_IS15_E10value_typeET4_jRbjT5_S1B_jjP12ihipStream_tbEUljE_EEESW_SX_SY_S15_S19_S1B_T6_T7_T9_mT8_S1D_bDpT10_ENKUlT_T0_E_clISt17integral_constantIbLb1EES1P_IbLb0EEEEDaS1L_S1M_EUlS1L_E_NS1_11comp_targetILNS1_3genE0ELNS1_11target_archE4294967295ELNS1_3gpuE0ELNS1_3repE0EEENS1_30default_config_static_selectorELNS0_4arch9wavefront6targetE1EEEvSZ_
	.p2align	8
	.type	_ZN7rocprim17ROCPRIM_400000_NS6detail17trampoline_kernelINS0_13select_configILj256ELj13ELNS0_17block_load_methodE3ELS4_3ELS4_3ELNS0_20block_scan_algorithmE0ELj4294967295EEENS1_25partition_config_selectorILNS1_17partition_subalgoE3EjNS0_10empty_typeEbEEZZNS1_14partition_implILS8_3ELb0ES6_jNS0_17counting_iteratorIjlEEPS9_SE_NS0_5tupleIJPjSE_EEENSF_IJSE_SE_EEES9_SG_JZNS1_25segmented_radix_sort_implINS0_14default_configELb1EPK6__halfPSL_PKlPlN2at6native12_GLOBAL__N_18offset_tEEE10hipError_tPvRmT1_PNSt15iterator_traitsISZ_E10value_typeET2_T3_PNS10_IS15_E10value_typeET4_jRbjT5_S1B_jjP12ihipStream_tbEUljE_EEESW_SX_SY_S15_S19_S1B_T6_T7_T9_mT8_S1D_bDpT10_ENKUlT_T0_E_clISt17integral_constantIbLb1EES1P_IbLb0EEEEDaS1L_S1M_EUlS1L_E_NS1_11comp_targetILNS1_3genE0ELNS1_11target_archE4294967295ELNS1_3gpuE0ELNS1_3repE0EEENS1_30default_config_static_selectorELNS0_4arch9wavefront6targetE1EEEvSZ_,@function
_ZN7rocprim17ROCPRIM_400000_NS6detail17trampoline_kernelINS0_13select_configILj256ELj13ELNS0_17block_load_methodE3ELS4_3ELS4_3ELNS0_20block_scan_algorithmE0ELj4294967295EEENS1_25partition_config_selectorILNS1_17partition_subalgoE3EjNS0_10empty_typeEbEEZZNS1_14partition_implILS8_3ELb0ES6_jNS0_17counting_iteratorIjlEEPS9_SE_NS0_5tupleIJPjSE_EEENSF_IJSE_SE_EEES9_SG_JZNS1_25segmented_radix_sort_implINS0_14default_configELb1EPK6__halfPSL_PKlPlN2at6native12_GLOBAL__N_18offset_tEEE10hipError_tPvRmT1_PNSt15iterator_traitsISZ_E10value_typeET2_T3_PNS10_IS15_E10value_typeET4_jRbjT5_S1B_jjP12ihipStream_tbEUljE_EEESW_SX_SY_S15_S19_S1B_T6_T7_T9_mT8_S1D_bDpT10_ENKUlT_T0_E_clISt17integral_constantIbLb1EES1P_IbLb0EEEEDaS1L_S1M_EUlS1L_E_NS1_11comp_targetILNS1_3genE0ELNS1_11target_archE4294967295ELNS1_3gpuE0ELNS1_3repE0EEENS1_30default_config_static_selectorELNS0_4arch9wavefront6targetE1EEEvSZ_: ; @_ZN7rocprim17ROCPRIM_400000_NS6detail17trampoline_kernelINS0_13select_configILj256ELj13ELNS0_17block_load_methodE3ELS4_3ELS4_3ELNS0_20block_scan_algorithmE0ELj4294967295EEENS1_25partition_config_selectorILNS1_17partition_subalgoE3EjNS0_10empty_typeEbEEZZNS1_14partition_implILS8_3ELb0ES6_jNS0_17counting_iteratorIjlEEPS9_SE_NS0_5tupleIJPjSE_EEENSF_IJSE_SE_EEES9_SG_JZNS1_25segmented_radix_sort_implINS0_14default_configELb1EPK6__halfPSL_PKlPlN2at6native12_GLOBAL__N_18offset_tEEE10hipError_tPvRmT1_PNSt15iterator_traitsISZ_E10value_typeET2_T3_PNS10_IS15_E10value_typeET4_jRbjT5_S1B_jjP12ihipStream_tbEUljE_EEESW_SX_SY_S15_S19_S1B_T6_T7_T9_mT8_S1D_bDpT10_ENKUlT_T0_E_clISt17integral_constantIbLb1EES1P_IbLb0EEEEDaS1L_S1M_EUlS1L_E_NS1_11comp_targetILNS1_3genE0ELNS1_11target_archE4294967295ELNS1_3gpuE0ELNS1_3repE0EEENS1_30default_config_static_selectorELNS0_4arch9wavefront6targetE1EEEvSZ_
; %bb.0:
	.section	.rodata,"a",@progbits
	.p2align	6, 0x0
	.amdhsa_kernel _ZN7rocprim17ROCPRIM_400000_NS6detail17trampoline_kernelINS0_13select_configILj256ELj13ELNS0_17block_load_methodE3ELS4_3ELS4_3ELNS0_20block_scan_algorithmE0ELj4294967295EEENS1_25partition_config_selectorILNS1_17partition_subalgoE3EjNS0_10empty_typeEbEEZZNS1_14partition_implILS8_3ELb0ES6_jNS0_17counting_iteratorIjlEEPS9_SE_NS0_5tupleIJPjSE_EEENSF_IJSE_SE_EEES9_SG_JZNS1_25segmented_radix_sort_implINS0_14default_configELb1EPK6__halfPSL_PKlPlN2at6native12_GLOBAL__N_18offset_tEEE10hipError_tPvRmT1_PNSt15iterator_traitsISZ_E10value_typeET2_T3_PNS10_IS15_E10value_typeET4_jRbjT5_S1B_jjP12ihipStream_tbEUljE_EEESW_SX_SY_S15_S19_S1B_T6_T7_T9_mT8_S1D_bDpT10_ENKUlT_T0_E_clISt17integral_constantIbLb1EES1P_IbLb0EEEEDaS1L_S1M_EUlS1L_E_NS1_11comp_targetILNS1_3genE0ELNS1_11target_archE4294967295ELNS1_3gpuE0ELNS1_3repE0EEENS1_30default_config_static_selectorELNS0_4arch9wavefront6targetE1EEEvSZ_
		.amdhsa_group_segment_fixed_size 0
		.amdhsa_private_segment_fixed_size 0
		.amdhsa_kernarg_size 144
		.amdhsa_user_sgpr_count 6
		.amdhsa_user_sgpr_private_segment_buffer 1
		.amdhsa_user_sgpr_dispatch_ptr 0
		.amdhsa_user_sgpr_queue_ptr 0
		.amdhsa_user_sgpr_kernarg_segment_ptr 1
		.amdhsa_user_sgpr_dispatch_id 0
		.amdhsa_user_sgpr_flat_scratch_init 0
		.amdhsa_user_sgpr_private_segment_size 0
		.amdhsa_uses_dynamic_stack 0
		.amdhsa_system_sgpr_private_segment_wavefront_offset 0
		.amdhsa_system_sgpr_workgroup_id_x 1
		.amdhsa_system_sgpr_workgroup_id_y 0
		.amdhsa_system_sgpr_workgroup_id_z 0
		.amdhsa_system_sgpr_workgroup_info 0
		.amdhsa_system_vgpr_workitem_id 0
		.amdhsa_next_free_vgpr 1
		.amdhsa_next_free_sgpr 0
		.amdhsa_reserve_vcc 0
		.amdhsa_reserve_flat_scratch 0
		.amdhsa_float_round_mode_32 0
		.amdhsa_float_round_mode_16_64 0
		.amdhsa_float_denorm_mode_32 3
		.amdhsa_float_denorm_mode_16_64 3
		.amdhsa_dx10_clamp 1
		.amdhsa_ieee_mode 1
		.amdhsa_fp16_overflow 0
		.amdhsa_exception_fp_ieee_invalid_op 0
		.amdhsa_exception_fp_denorm_src 0
		.amdhsa_exception_fp_ieee_div_zero 0
		.amdhsa_exception_fp_ieee_overflow 0
		.amdhsa_exception_fp_ieee_underflow 0
		.amdhsa_exception_fp_ieee_inexact 0
		.amdhsa_exception_int_div_zero 0
	.end_amdhsa_kernel
	.section	.text._ZN7rocprim17ROCPRIM_400000_NS6detail17trampoline_kernelINS0_13select_configILj256ELj13ELNS0_17block_load_methodE3ELS4_3ELS4_3ELNS0_20block_scan_algorithmE0ELj4294967295EEENS1_25partition_config_selectorILNS1_17partition_subalgoE3EjNS0_10empty_typeEbEEZZNS1_14partition_implILS8_3ELb0ES6_jNS0_17counting_iteratorIjlEEPS9_SE_NS0_5tupleIJPjSE_EEENSF_IJSE_SE_EEES9_SG_JZNS1_25segmented_radix_sort_implINS0_14default_configELb1EPK6__halfPSL_PKlPlN2at6native12_GLOBAL__N_18offset_tEEE10hipError_tPvRmT1_PNSt15iterator_traitsISZ_E10value_typeET2_T3_PNS10_IS15_E10value_typeET4_jRbjT5_S1B_jjP12ihipStream_tbEUljE_EEESW_SX_SY_S15_S19_S1B_T6_T7_T9_mT8_S1D_bDpT10_ENKUlT_T0_E_clISt17integral_constantIbLb1EES1P_IbLb0EEEEDaS1L_S1M_EUlS1L_E_NS1_11comp_targetILNS1_3genE0ELNS1_11target_archE4294967295ELNS1_3gpuE0ELNS1_3repE0EEENS1_30default_config_static_selectorELNS0_4arch9wavefront6targetE1EEEvSZ_,"axG",@progbits,_ZN7rocprim17ROCPRIM_400000_NS6detail17trampoline_kernelINS0_13select_configILj256ELj13ELNS0_17block_load_methodE3ELS4_3ELS4_3ELNS0_20block_scan_algorithmE0ELj4294967295EEENS1_25partition_config_selectorILNS1_17partition_subalgoE3EjNS0_10empty_typeEbEEZZNS1_14partition_implILS8_3ELb0ES6_jNS0_17counting_iteratorIjlEEPS9_SE_NS0_5tupleIJPjSE_EEENSF_IJSE_SE_EEES9_SG_JZNS1_25segmented_radix_sort_implINS0_14default_configELb1EPK6__halfPSL_PKlPlN2at6native12_GLOBAL__N_18offset_tEEE10hipError_tPvRmT1_PNSt15iterator_traitsISZ_E10value_typeET2_T3_PNS10_IS15_E10value_typeET4_jRbjT5_S1B_jjP12ihipStream_tbEUljE_EEESW_SX_SY_S15_S19_S1B_T6_T7_T9_mT8_S1D_bDpT10_ENKUlT_T0_E_clISt17integral_constantIbLb1EES1P_IbLb0EEEEDaS1L_S1M_EUlS1L_E_NS1_11comp_targetILNS1_3genE0ELNS1_11target_archE4294967295ELNS1_3gpuE0ELNS1_3repE0EEENS1_30default_config_static_selectorELNS0_4arch9wavefront6targetE1EEEvSZ_,comdat
.Lfunc_end1723:
	.size	_ZN7rocprim17ROCPRIM_400000_NS6detail17trampoline_kernelINS0_13select_configILj256ELj13ELNS0_17block_load_methodE3ELS4_3ELS4_3ELNS0_20block_scan_algorithmE0ELj4294967295EEENS1_25partition_config_selectorILNS1_17partition_subalgoE3EjNS0_10empty_typeEbEEZZNS1_14partition_implILS8_3ELb0ES6_jNS0_17counting_iteratorIjlEEPS9_SE_NS0_5tupleIJPjSE_EEENSF_IJSE_SE_EEES9_SG_JZNS1_25segmented_radix_sort_implINS0_14default_configELb1EPK6__halfPSL_PKlPlN2at6native12_GLOBAL__N_18offset_tEEE10hipError_tPvRmT1_PNSt15iterator_traitsISZ_E10value_typeET2_T3_PNS10_IS15_E10value_typeET4_jRbjT5_S1B_jjP12ihipStream_tbEUljE_EEESW_SX_SY_S15_S19_S1B_T6_T7_T9_mT8_S1D_bDpT10_ENKUlT_T0_E_clISt17integral_constantIbLb1EES1P_IbLb0EEEEDaS1L_S1M_EUlS1L_E_NS1_11comp_targetILNS1_3genE0ELNS1_11target_archE4294967295ELNS1_3gpuE0ELNS1_3repE0EEENS1_30default_config_static_selectorELNS0_4arch9wavefront6targetE1EEEvSZ_, .Lfunc_end1723-_ZN7rocprim17ROCPRIM_400000_NS6detail17trampoline_kernelINS0_13select_configILj256ELj13ELNS0_17block_load_methodE3ELS4_3ELS4_3ELNS0_20block_scan_algorithmE0ELj4294967295EEENS1_25partition_config_selectorILNS1_17partition_subalgoE3EjNS0_10empty_typeEbEEZZNS1_14partition_implILS8_3ELb0ES6_jNS0_17counting_iteratorIjlEEPS9_SE_NS0_5tupleIJPjSE_EEENSF_IJSE_SE_EEES9_SG_JZNS1_25segmented_radix_sort_implINS0_14default_configELb1EPK6__halfPSL_PKlPlN2at6native12_GLOBAL__N_18offset_tEEE10hipError_tPvRmT1_PNSt15iterator_traitsISZ_E10value_typeET2_T3_PNS10_IS15_E10value_typeET4_jRbjT5_S1B_jjP12ihipStream_tbEUljE_EEESW_SX_SY_S15_S19_S1B_T6_T7_T9_mT8_S1D_bDpT10_ENKUlT_T0_E_clISt17integral_constantIbLb1EES1P_IbLb0EEEEDaS1L_S1M_EUlS1L_E_NS1_11comp_targetILNS1_3genE0ELNS1_11target_archE4294967295ELNS1_3gpuE0ELNS1_3repE0EEENS1_30default_config_static_selectorELNS0_4arch9wavefront6targetE1EEEvSZ_
                                        ; -- End function
	.set _ZN7rocprim17ROCPRIM_400000_NS6detail17trampoline_kernelINS0_13select_configILj256ELj13ELNS0_17block_load_methodE3ELS4_3ELS4_3ELNS0_20block_scan_algorithmE0ELj4294967295EEENS1_25partition_config_selectorILNS1_17partition_subalgoE3EjNS0_10empty_typeEbEEZZNS1_14partition_implILS8_3ELb0ES6_jNS0_17counting_iteratorIjlEEPS9_SE_NS0_5tupleIJPjSE_EEENSF_IJSE_SE_EEES9_SG_JZNS1_25segmented_radix_sort_implINS0_14default_configELb1EPK6__halfPSL_PKlPlN2at6native12_GLOBAL__N_18offset_tEEE10hipError_tPvRmT1_PNSt15iterator_traitsISZ_E10value_typeET2_T3_PNS10_IS15_E10value_typeET4_jRbjT5_S1B_jjP12ihipStream_tbEUljE_EEESW_SX_SY_S15_S19_S1B_T6_T7_T9_mT8_S1D_bDpT10_ENKUlT_T0_E_clISt17integral_constantIbLb1EES1P_IbLb0EEEEDaS1L_S1M_EUlS1L_E_NS1_11comp_targetILNS1_3genE0ELNS1_11target_archE4294967295ELNS1_3gpuE0ELNS1_3repE0EEENS1_30default_config_static_selectorELNS0_4arch9wavefront6targetE1EEEvSZ_.num_vgpr, 0
	.set _ZN7rocprim17ROCPRIM_400000_NS6detail17trampoline_kernelINS0_13select_configILj256ELj13ELNS0_17block_load_methodE3ELS4_3ELS4_3ELNS0_20block_scan_algorithmE0ELj4294967295EEENS1_25partition_config_selectorILNS1_17partition_subalgoE3EjNS0_10empty_typeEbEEZZNS1_14partition_implILS8_3ELb0ES6_jNS0_17counting_iteratorIjlEEPS9_SE_NS0_5tupleIJPjSE_EEENSF_IJSE_SE_EEES9_SG_JZNS1_25segmented_radix_sort_implINS0_14default_configELb1EPK6__halfPSL_PKlPlN2at6native12_GLOBAL__N_18offset_tEEE10hipError_tPvRmT1_PNSt15iterator_traitsISZ_E10value_typeET2_T3_PNS10_IS15_E10value_typeET4_jRbjT5_S1B_jjP12ihipStream_tbEUljE_EEESW_SX_SY_S15_S19_S1B_T6_T7_T9_mT8_S1D_bDpT10_ENKUlT_T0_E_clISt17integral_constantIbLb1EES1P_IbLb0EEEEDaS1L_S1M_EUlS1L_E_NS1_11comp_targetILNS1_3genE0ELNS1_11target_archE4294967295ELNS1_3gpuE0ELNS1_3repE0EEENS1_30default_config_static_selectorELNS0_4arch9wavefront6targetE1EEEvSZ_.num_agpr, 0
	.set _ZN7rocprim17ROCPRIM_400000_NS6detail17trampoline_kernelINS0_13select_configILj256ELj13ELNS0_17block_load_methodE3ELS4_3ELS4_3ELNS0_20block_scan_algorithmE0ELj4294967295EEENS1_25partition_config_selectorILNS1_17partition_subalgoE3EjNS0_10empty_typeEbEEZZNS1_14partition_implILS8_3ELb0ES6_jNS0_17counting_iteratorIjlEEPS9_SE_NS0_5tupleIJPjSE_EEENSF_IJSE_SE_EEES9_SG_JZNS1_25segmented_radix_sort_implINS0_14default_configELb1EPK6__halfPSL_PKlPlN2at6native12_GLOBAL__N_18offset_tEEE10hipError_tPvRmT1_PNSt15iterator_traitsISZ_E10value_typeET2_T3_PNS10_IS15_E10value_typeET4_jRbjT5_S1B_jjP12ihipStream_tbEUljE_EEESW_SX_SY_S15_S19_S1B_T6_T7_T9_mT8_S1D_bDpT10_ENKUlT_T0_E_clISt17integral_constantIbLb1EES1P_IbLb0EEEEDaS1L_S1M_EUlS1L_E_NS1_11comp_targetILNS1_3genE0ELNS1_11target_archE4294967295ELNS1_3gpuE0ELNS1_3repE0EEENS1_30default_config_static_selectorELNS0_4arch9wavefront6targetE1EEEvSZ_.numbered_sgpr, 0
	.set _ZN7rocprim17ROCPRIM_400000_NS6detail17trampoline_kernelINS0_13select_configILj256ELj13ELNS0_17block_load_methodE3ELS4_3ELS4_3ELNS0_20block_scan_algorithmE0ELj4294967295EEENS1_25partition_config_selectorILNS1_17partition_subalgoE3EjNS0_10empty_typeEbEEZZNS1_14partition_implILS8_3ELb0ES6_jNS0_17counting_iteratorIjlEEPS9_SE_NS0_5tupleIJPjSE_EEENSF_IJSE_SE_EEES9_SG_JZNS1_25segmented_radix_sort_implINS0_14default_configELb1EPK6__halfPSL_PKlPlN2at6native12_GLOBAL__N_18offset_tEEE10hipError_tPvRmT1_PNSt15iterator_traitsISZ_E10value_typeET2_T3_PNS10_IS15_E10value_typeET4_jRbjT5_S1B_jjP12ihipStream_tbEUljE_EEESW_SX_SY_S15_S19_S1B_T6_T7_T9_mT8_S1D_bDpT10_ENKUlT_T0_E_clISt17integral_constantIbLb1EES1P_IbLb0EEEEDaS1L_S1M_EUlS1L_E_NS1_11comp_targetILNS1_3genE0ELNS1_11target_archE4294967295ELNS1_3gpuE0ELNS1_3repE0EEENS1_30default_config_static_selectorELNS0_4arch9wavefront6targetE1EEEvSZ_.num_named_barrier, 0
	.set _ZN7rocprim17ROCPRIM_400000_NS6detail17trampoline_kernelINS0_13select_configILj256ELj13ELNS0_17block_load_methodE3ELS4_3ELS4_3ELNS0_20block_scan_algorithmE0ELj4294967295EEENS1_25partition_config_selectorILNS1_17partition_subalgoE3EjNS0_10empty_typeEbEEZZNS1_14partition_implILS8_3ELb0ES6_jNS0_17counting_iteratorIjlEEPS9_SE_NS0_5tupleIJPjSE_EEENSF_IJSE_SE_EEES9_SG_JZNS1_25segmented_radix_sort_implINS0_14default_configELb1EPK6__halfPSL_PKlPlN2at6native12_GLOBAL__N_18offset_tEEE10hipError_tPvRmT1_PNSt15iterator_traitsISZ_E10value_typeET2_T3_PNS10_IS15_E10value_typeET4_jRbjT5_S1B_jjP12ihipStream_tbEUljE_EEESW_SX_SY_S15_S19_S1B_T6_T7_T9_mT8_S1D_bDpT10_ENKUlT_T0_E_clISt17integral_constantIbLb1EES1P_IbLb0EEEEDaS1L_S1M_EUlS1L_E_NS1_11comp_targetILNS1_3genE0ELNS1_11target_archE4294967295ELNS1_3gpuE0ELNS1_3repE0EEENS1_30default_config_static_selectorELNS0_4arch9wavefront6targetE1EEEvSZ_.private_seg_size, 0
	.set _ZN7rocprim17ROCPRIM_400000_NS6detail17trampoline_kernelINS0_13select_configILj256ELj13ELNS0_17block_load_methodE3ELS4_3ELS4_3ELNS0_20block_scan_algorithmE0ELj4294967295EEENS1_25partition_config_selectorILNS1_17partition_subalgoE3EjNS0_10empty_typeEbEEZZNS1_14partition_implILS8_3ELb0ES6_jNS0_17counting_iteratorIjlEEPS9_SE_NS0_5tupleIJPjSE_EEENSF_IJSE_SE_EEES9_SG_JZNS1_25segmented_radix_sort_implINS0_14default_configELb1EPK6__halfPSL_PKlPlN2at6native12_GLOBAL__N_18offset_tEEE10hipError_tPvRmT1_PNSt15iterator_traitsISZ_E10value_typeET2_T3_PNS10_IS15_E10value_typeET4_jRbjT5_S1B_jjP12ihipStream_tbEUljE_EEESW_SX_SY_S15_S19_S1B_T6_T7_T9_mT8_S1D_bDpT10_ENKUlT_T0_E_clISt17integral_constantIbLb1EES1P_IbLb0EEEEDaS1L_S1M_EUlS1L_E_NS1_11comp_targetILNS1_3genE0ELNS1_11target_archE4294967295ELNS1_3gpuE0ELNS1_3repE0EEENS1_30default_config_static_selectorELNS0_4arch9wavefront6targetE1EEEvSZ_.uses_vcc, 0
	.set _ZN7rocprim17ROCPRIM_400000_NS6detail17trampoline_kernelINS0_13select_configILj256ELj13ELNS0_17block_load_methodE3ELS4_3ELS4_3ELNS0_20block_scan_algorithmE0ELj4294967295EEENS1_25partition_config_selectorILNS1_17partition_subalgoE3EjNS0_10empty_typeEbEEZZNS1_14partition_implILS8_3ELb0ES6_jNS0_17counting_iteratorIjlEEPS9_SE_NS0_5tupleIJPjSE_EEENSF_IJSE_SE_EEES9_SG_JZNS1_25segmented_radix_sort_implINS0_14default_configELb1EPK6__halfPSL_PKlPlN2at6native12_GLOBAL__N_18offset_tEEE10hipError_tPvRmT1_PNSt15iterator_traitsISZ_E10value_typeET2_T3_PNS10_IS15_E10value_typeET4_jRbjT5_S1B_jjP12ihipStream_tbEUljE_EEESW_SX_SY_S15_S19_S1B_T6_T7_T9_mT8_S1D_bDpT10_ENKUlT_T0_E_clISt17integral_constantIbLb1EES1P_IbLb0EEEEDaS1L_S1M_EUlS1L_E_NS1_11comp_targetILNS1_3genE0ELNS1_11target_archE4294967295ELNS1_3gpuE0ELNS1_3repE0EEENS1_30default_config_static_selectorELNS0_4arch9wavefront6targetE1EEEvSZ_.uses_flat_scratch, 0
	.set _ZN7rocprim17ROCPRIM_400000_NS6detail17trampoline_kernelINS0_13select_configILj256ELj13ELNS0_17block_load_methodE3ELS4_3ELS4_3ELNS0_20block_scan_algorithmE0ELj4294967295EEENS1_25partition_config_selectorILNS1_17partition_subalgoE3EjNS0_10empty_typeEbEEZZNS1_14partition_implILS8_3ELb0ES6_jNS0_17counting_iteratorIjlEEPS9_SE_NS0_5tupleIJPjSE_EEENSF_IJSE_SE_EEES9_SG_JZNS1_25segmented_radix_sort_implINS0_14default_configELb1EPK6__halfPSL_PKlPlN2at6native12_GLOBAL__N_18offset_tEEE10hipError_tPvRmT1_PNSt15iterator_traitsISZ_E10value_typeET2_T3_PNS10_IS15_E10value_typeET4_jRbjT5_S1B_jjP12ihipStream_tbEUljE_EEESW_SX_SY_S15_S19_S1B_T6_T7_T9_mT8_S1D_bDpT10_ENKUlT_T0_E_clISt17integral_constantIbLb1EES1P_IbLb0EEEEDaS1L_S1M_EUlS1L_E_NS1_11comp_targetILNS1_3genE0ELNS1_11target_archE4294967295ELNS1_3gpuE0ELNS1_3repE0EEENS1_30default_config_static_selectorELNS0_4arch9wavefront6targetE1EEEvSZ_.has_dyn_sized_stack, 0
	.set _ZN7rocprim17ROCPRIM_400000_NS6detail17trampoline_kernelINS0_13select_configILj256ELj13ELNS0_17block_load_methodE3ELS4_3ELS4_3ELNS0_20block_scan_algorithmE0ELj4294967295EEENS1_25partition_config_selectorILNS1_17partition_subalgoE3EjNS0_10empty_typeEbEEZZNS1_14partition_implILS8_3ELb0ES6_jNS0_17counting_iteratorIjlEEPS9_SE_NS0_5tupleIJPjSE_EEENSF_IJSE_SE_EEES9_SG_JZNS1_25segmented_radix_sort_implINS0_14default_configELb1EPK6__halfPSL_PKlPlN2at6native12_GLOBAL__N_18offset_tEEE10hipError_tPvRmT1_PNSt15iterator_traitsISZ_E10value_typeET2_T3_PNS10_IS15_E10value_typeET4_jRbjT5_S1B_jjP12ihipStream_tbEUljE_EEESW_SX_SY_S15_S19_S1B_T6_T7_T9_mT8_S1D_bDpT10_ENKUlT_T0_E_clISt17integral_constantIbLb1EES1P_IbLb0EEEEDaS1L_S1M_EUlS1L_E_NS1_11comp_targetILNS1_3genE0ELNS1_11target_archE4294967295ELNS1_3gpuE0ELNS1_3repE0EEENS1_30default_config_static_selectorELNS0_4arch9wavefront6targetE1EEEvSZ_.has_recursion, 0
	.set _ZN7rocprim17ROCPRIM_400000_NS6detail17trampoline_kernelINS0_13select_configILj256ELj13ELNS0_17block_load_methodE3ELS4_3ELS4_3ELNS0_20block_scan_algorithmE0ELj4294967295EEENS1_25partition_config_selectorILNS1_17partition_subalgoE3EjNS0_10empty_typeEbEEZZNS1_14partition_implILS8_3ELb0ES6_jNS0_17counting_iteratorIjlEEPS9_SE_NS0_5tupleIJPjSE_EEENSF_IJSE_SE_EEES9_SG_JZNS1_25segmented_radix_sort_implINS0_14default_configELb1EPK6__halfPSL_PKlPlN2at6native12_GLOBAL__N_18offset_tEEE10hipError_tPvRmT1_PNSt15iterator_traitsISZ_E10value_typeET2_T3_PNS10_IS15_E10value_typeET4_jRbjT5_S1B_jjP12ihipStream_tbEUljE_EEESW_SX_SY_S15_S19_S1B_T6_T7_T9_mT8_S1D_bDpT10_ENKUlT_T0_E_clISt17integral_constantIbLb1EES1P_IbLb0EEEEDaS1L_S1M_EUlS1L_E_NS1_11comp_targetILNS1_3genE0ELNS1_11target_archE4294967295ELNS1_3gpuE0ELNS1_3repE0EEENS1_30default_config_static_selectorELNS0_4arch9wavefront6targetE1EEEvSZ_.has_indirect_call, 0
	.section	.AMDGPU.csdata,"",@progbits
; Kernel info:
; codeLenInByte = 0
; TotalNumSgprs: 4
; NumVgprs: 0
; ScratchSize: 0
; MemoryBound: 0
; FloatMode: 240
; IeeeMode: 1
; LDSByteSize: 0 bytes/workgroup (compile time only)
; SGPRBlocks: 0
; VGPRBlocks: 0
; NumSGPRsForWavesPerEU: 4
; NumVGPRsForWavesPerEU: 1
; Occupancy: 10
; WaveLimiterHint : 0
; COMPUTE_PGM_RSRC2:SCRATCH_EN: 0
; COMPUTE_PGM_RSRC2:USER_SGPR: 6
; COMPUTE_PGM_RSRC2:TRAP_HANDLER: 0
; COMPUTE_PGM_RSRC2:TGID_X_EN: 1
; COMPUTE_PGM_RSRC2:TGID_Y_EN: 0
; COMPUTE_PGM_RSRC2:TGID_Z_EN: 0
; COMPUTE_PGM_RSRC2:TIDIG_COMP_CNT: 0
	.section	.text._ZN7rocprim17ROCPRIM_400000_NS6detail17trampoline_kernelINS0_13select_configILj256ELj13ELNS0_17block_load_methodE3ELS4_3ELS4_3ELNS0_20block_scan_algorithmE0ELj4294967295EEENS1_25partition_config_selectorILNS1_17partition_subalgoE3EjNS0_10empty_typeEbEEZZNS1_14partition_implILS8_3ELb0ES6_jNS0_17counting_iteratorIjlEEPS9_SE_NS0_5tupleIJPjSE_EEENSF_IJSE_SE_EEES9_SG_JZNS1_25segmented_radix_sort_implINS0_14default_configELb1EPK6__halfPSL_PKlPlN2at6native12_GLOBAL__N_18offset_tEEE10hipError_tPvRmT1_PNSt15iterator_traitsISZ_E10value_typeET2_T3_PNS10_IS15_E10value_typeET4_jRbjT5_S1B_jjP12ihipStream_tbEUljE_EEESW_SX_SY_S15_S19_S1B_T6_T7_T9_mT8_S1D_bDpT10_ENKUlT_T0_E_clISt17integral_constantIbLb1EES1P_IbLb0EEEEDaS1L_S1M_EUlS1L_E_NS1_11comp_targetILNS1_3genE5ELNS1_11target_archE942ELNS1_3gpuE9ELNS1_3repE0EEENS1_30default_config_static_selectorELNS0_4arch9wavefront6targetE1EEEvSZ_,"axG",@progbits,_ZN7rocprim17ROCPRIM_400000_NS6detail17trampoline_kernelINS0_13select_configILj256ELj13ELNS0_17block_load_methodE3ELS4_3ELS4_3ELNS0_20block_scan_algorithmE0ELj4294967295EEENS1_25partition_config_selectorILNS1_17partition_subalgoE3EjNS0_10empty_typeEbEEZZNS1_14partition_implILS8_3ELb0ES6_jNS0_17counting_iteratorIjlEEPS9_SE_NS0_5tupleIJPjSE_EEENSF_IJSE_SE_EEES9_SG_JZNS1_25segmented_radix_sort_implINS0_14default_configELb1EPK6__halfPSL_PKlPlN2at6native12_GLOBAL__N_18offset_tEEE10hipError_tPvRmT1_PNSt15iterator_traitsISZ_E10value_typeET2_T3_PNS10_IS15_E10value_typeET4_jRbjT5_S1B_jjP12ihipStream_tbEUljE_EEESW_SX_SY_S15_S19_S1B_T6_T7_T9_mT8_S1D_bDpT10_ENKUlT_T0_E_clISt17integral_constantIbLb1EES1P_IbLb0EEEEDaS1L_S1M_EUlS1L_E_NS1_11comp_targetILNS1_3genE5ELNS1_11target_archE942ELNS1_3gpuE9ELNS1_3repE0EEENS1_30default_config_static_selectorELNS0_4arch9wavefront6targetE1EEEvSZ_,comdat
	.globl	_ZN7rocprim17ROCPRIM_400000_NS6detail17trampoline_kernelINS0_13select_configILj256ELj13ELNS0_17block_load_methodE3ELS4_3ELS4_3ELNS0_20block_scan_algorithmE0ELj4294967295EEENS1_25partition_config_selectorILNS1_17partition_subalgoE3EjNS0_10empty_typeEbEEZZNS1_14partition_implILS8_3ELb0ES6_jNS0_17counting_iteratorIjlEEPS9_SE_NS0_5tupleIJPjSE_EEENSF_IJSE_SE_EEES9_SG_JZNS1_25segmented_radix_sort_implINS0_14default_configELb1EPK6__halfPSL_PKlPlN2at6native12_GLOBAL__N_18offset_tEEE10hipError_tPvRmT1_PNSt15iterator_traitsISZ_E10value_typeET2_T3_PNS10_IS15_E10value_typeET4_jRbjT5_S1B_jjP12ihipStream_tbEUljE_EEESW_SX_SY_S15_S19_S1B_T6_T7_T9_mT8_S1D_bDpT10_ENKUlT_T0_E_clISt17integral_constantIbLb1EES1P_IbLb0EEEEDaS1L_S1M_EUlS1L_E_NS1_11comp_targetILNS1_3genE5ELNS1_11target_archE942ELNS1_3gpuE9ELNS1_3repE0EEENS1_30default_config_static_selectorELNS0_4arch9wavefront6targetE1EEEvSZ_ ; -- Begin function _ZN7rocprim17ROCPRIM_400000_NS6detail17trampoline_kernelINS0_13select_configILj256ELj13ELNS0_17block_load_methodE3ELS4_3ELS4_3ELNS0_20block_scan_algorithmE0ELj4294967295EEENS1_25partition_config_selectorILNS1_17partition_subalgoE3EjNS0_10empty_typeEbEEZZNS1_14partition_implILS8_3ELb0ES6_jNS0_17counting_iteratorIjlEEPS9_SE_NS0_5tupleIJPjSE_EEENSF_IJSE_SE_EEES9_SG_JZNS1_25segmented_radix_sort_implINS0_14default_configELb1EPK6__halfPSL_PKlPlN2at6native12_GLOBAL__N_18offset_tEEE10hipError_tPvRmT1_PNSt15iterator_traitsISZ_E10value_typeET2_T3_PNS10_IS15_E10value_typeET4_jRbjT5_S1B_jjP12ihipStream_tbEUljE_EEESW_SX_SY_S15_S19_S1B_T6_T7_T9_mT8_S1D_bDpT10_ENKUlT_T0_E_clISt17integral_constantIbLb1EES1P_IbLb0EEEEDaS1L_S1M_EUlS1L_E_NS1_11comp_targetILNS1_3genE5ELNS1_11target_archE942ELNS1_3gpuE9ELNS1_3repE0EEENS1_30default_config_static_selectorELNS0_4arch9wavefront6targetE1EEEvSZ_
	.p2align	8
	.type	_ZN7rocprim17ROCPRIM_400000_NS6detail17trampoline_kernelINS0_13select_configILj256ELj13ELNS0_17block_load_methodE3ELS4_3ELS4_3ELNS0_20block_scan_algorithmE0ELj4294967295EEENS1_25partition_config_selectorILNS1_17partition_subalgoE3EjNS0_10empty_typeEbEEZZNS1_14partition_implILS8_3ELb0ES6_jNS0_17counting_iteratorIjlEEPS9_SE_NS0_5tupleIJPjSE_EEENSF_IJSE_SE_EEES9_SG_JZNS1_25segmented_radix_sort_implINS0_14default_configELb1EPK6__halfPSL_PKlPlN2at6native12_GLOBAL__N_18offset_tEEE10hipError_tPvRmT1_PNSt15iterator_traitsISZ_E10value_typeET2_T3_PNS10_IS15_E10value_typeET4_jRbjT5_S1B_jjP12ihipStream_tbEUljE_EEESW_SX_SY_S15_S19_S1B_T6_T7_T9_mT8_S1D_bDpT10_ENKUlT_T0_E_clISt17integral_constantIbLb1EES1P_IbLb0EEEEDaS1L_S1M_EUlS1L_E_NS1_11comp_targetILNS1_3genE5ELNS1_11target_archE942ELNS1_3gpuE9ELNS1_3repE0EEENS1_30default_config_static_selectorELNS0_4arch9wavefront6targetE1EEEvSZ_,@function
_ZN7rocprim17ROCPRIM_400000_NS6detail17trampoline_kernelINS0_13select_configILj256ELj13ELNS0_17block_load_methodE3ELS4_3ELS4_3ELNS0_20block_scan_algorithmE0ELj4294967295EEENS1_25partition_config_selectorILNS1_17partition_subalgoE3EjNS0_10empty_typeEbEEZZNS1_14partition_implILS8_3ELb0ES6_jNS0_17counting_iteratorIjlEEPS9_SE_NS0_5tupleIJPjSE_EEENSF_IJSE_SE_EEES9_SG_JZNS1_25segmented_radix_sort_implINS0_14default_configELb1EPK6__halfPSL_PKlPlN2at6native12_GLOBAL__N_18offset_tEEE10hipError_tPvRmT1_PNSt15iterator_traitsISZ_E10value_typeET2_T3_PNS10_IS15_E10value_typeET4_jRbjT5_S1B_jjP12ihipStream_tbEUljE_EEESW_SX_SY_S15_S19_S1B_T6_T7_T9_mT8_S1D_bDpT10_ENKUlT_T0_E_clISt17integral_constantIbLb1EES1P_IbLb0EEEEDaS1L_S1M_EUlS1L_E_NS1_11comp_targetILNS1_3genE5ELNS1_11target_archE942ELNS1_3gpuE9ELNS1_3repE0EEENS1_30default_config_static_selectorELNS0_4arch9wavefront6targetE1EEEvSZ_: ; @_ZN7rocprim17ROCPRIM_400000_NS6detail17trampoline_kernelINS0_13select_configILj256ELj13ELNS0_17block_load_methodE3ELS4_3ELS4_3ELNS0_20block_scan_algorithmE0ELj4294967295EEENS1_25partition_config_selectorILNS1_17partition_subalgoE3EjNS0_10empty_typeEbEEZZNS1_14partition_implILS8_3ELb0ES6_jNS0_17counting_iteratorIjlEEPS9_SE_NS0_5tupleIJPjSE_EEENSF_IJSE_SE_EEES9_SG_JZNS1_25segmented_radix_sort_implINS0_14default_configELb1EPK6__halfPSL_PKlPlN2at6native12_GLOBAL__N_18offset_tEEE10hipError_tPvRmT1_PNSt15iterator_traitsISZ_E10value_typeET2_T3_PNS10_IS15_E10value_typeET4_jRbjT5_S1B_jjP12ihipStream_tbEUljE_EEESW_SX_SY_S15_S19_S1B_T6_T7_T9_mT8_S1D_bDpT10_ENKUlT_T0_E_clISt17integral_constantIbLb1EES1P_IbLb0EEEEDaS1L_S1M_EUlS1L_E_NS1_11comp_targetILNS1_3genE5ELNS1_11target_archE942ELNS1_3gpuE9ELNS1_3repE0EEENS1_30default_config_static_selectorELNS0_4arch9wavefront6targetE1EEEvSZ_
; %bb.0:
	.section	.rodata,"a",@progbits
	.p2align	6, 0x0
	.amdhsa_kernel _ZN7rocprim17ROCPRIM_400000_NS6detail17trampoline_kernelINS0_13select_configILj256ELj13ELNS0_17block_load_methodE3ELS4_3ELS4_3ELNS0_20block_scan_algorithmE0ELj4294967295EEENS1_25partition_config_selectorILNS1_17partition_subalgoE3EjNS0_10empty_typeEbEEZZNS1_14partition_implILS8_3ELb0ES6_jNS0_17counting_iteratorIjlEEPS9_SE_NS0_5tupleIJPjSE_EEENSF_IJSE_SE_EEES9_SG_JZNS1_25segmented_radix_sort_implINS0_14default_configELb1EPK6__halfPSL_PKlPlN2at6native12_GLOBAL__N_18offset_tEEE10hipError_tPvRmT1_PNSt15iterator_traitsISZ_E10value_typeET2_T3_PNS10_IS15_E10value_typeET4_jRbjT5_S1B_jjP12ihipStream_tbEUljE_EEESW_SX_SY_S15_S19_S1B_T6_T7_T9_mT8_S1D_bDpT10_ENKUlT_T0_E_clISt17integral_constantIbLb1EES1P_IbLb0EEEEDaS1L_S1M_EUlS1L_E_NS1_11comp_targetILNS1_3genE5ELNS1_11target_archE942ELNS1_3gpuE9ELNS1_3repE0EEENS1_30default_config_static_selectorELNS0_4arch9wavefront6targetE1EEEvSZ_
		.amdhsa_group_segment_fixed_size 0
		.amdhsa_private_segment_fixed_size 0
		.amdhsa_kernarg_size 144
		.amdhsa_user_sgpr_count 6
		.amdhsa_user_sgpr_private_segment_buffer 1
		.amdhsa_user_sgpr_dispatch_ptr 0
		.amdhsa_user_sgpr_queue_ptr 0
		.amdhsa_user_sgpr_kernarg_segment_ptr 1
		.amdhsa_user_sgpr_dispatch_id 0
		.amdhsa_user_sgpr_flat_scratch_init 0
		.amdhsa_user_sgpr_private_segment_size 0
		.amdhsa_uses_dynamic_stack 0
		.amdhsa_system_sgpr_private_segment_wavefront_offset 0
		.amdhsa_system_sgpr_workgroup_id_x 1
		.amdhsa_system_sgpr_workgroup_id_y 0
		.amdhsa_system_sgpr_workgroup_id_z 0
		.amdhsa_system_sgpr_workgroup_info 0
		.amdhsa_system_vgpr_workitem_id 0
		.amdhsa_next_free_vgpr 1
		.amdhsa_next_free_sgpr 0
		.amdhsa_reserve_vcc 0
		.amdhsa_reserve_flat_scratch 0
		.amdhsa_float_round_mode_32 0
		.amdhsa_float_round_mode_16_64 0
		.amdhsa_float_denorm_mode_32 3
		.amdhsa_float_denorm_mode_16_64 3
		.amdhsa_dx10_clamp 1
		.amdhsa_ieee_mode 1
		.amdhsa_fp16_overflow 0
		.amdhsa_exception_fp_ieee_invalid_op 0
		.amdhsa_exception_fp_denorm_src 0
		.amdhsa_exception_fp_ieee_div_zero 0
		.amdhsa_exception_fp_ieee_overflow 0
		.amdhsa_exception_fp_ieee_underflow 0
		.amdhsa_exception_fp_ieee_inexact 0
		.amdhsa_exception_int_div_zero 0
	.end_amdhsa_kernel
	.section	.text._ZN7rocprim17ROCPRIM_400000_NS6detail17trampoline_kernelINS0_13select_configILj256ELj13ELNS0_17block_load_methodE3ELS4_3ELS4_3ELNS0_20block_scan_algorithmE0ELj4294967295EEENS1_25partition_config_selectorILNS1_17partition_subalgoE3EjNS0_10empty_typeEbEEZZNS1_14partition_implILS8_3ELb0ES6_jNS0_17counting_iteratorIjlEEPS9_SE_NS0_5tupleIJPjSE_EEENSF_IJSE_SE_EEES9_SG_JZNS1_25segmented_radix_sort_implINS0_14default_configELb1EPK6__halfPSL_PKlPlN2at6native12_GLOBAL__N_18offset_tEEE10hipError_tPvRmT1_PNSt15iterator_traitsISZ_E10value_typeET2_T3_PNS10_IS15_E10value_typeET4_jRbjT5_S1B_jjP12ihipStream_tbEUljE_EEESW_SX_SY_S15_S19_S1B_T6_T7_T9_mT8_S1D_bDpT10_ENKUlT_T0_E_clISt17integral_constantIbLb1EES1P_IbLb0EEEEDaS1L_S1M_EUlS1L_E_NS1_11comp_targetILNS1_3genE5ELNS1_11target_archE942ELNS1_3gpuE9ELNS1_3repE0EEENS1_30default_config_static_selectorELNS0_4arch9wavefront6targetE1EEEvSZ_,"axG",@progbits,_ZN7rocprim17ROCPRIM_400000_NS6detail17trampoline_kernelINS0_13select_configILj256ELj13ELNS0_17block_load_methodE3ELS4_3ELS4_3ELNS0_20block_scan_algorithmE0ELj4294967295EEENS1_25partition_config_selectorILNS1_17partition_subalgoE3EjNS0_10empty_typeEbEEZZNS1_14partition_implILS8_3ELb0ES6_jNS0_17counting_iteratorIjlEEPS9_SE_NS0_5tupleIJPjSE_EEENSF_IJSE_SE_EEES9_SG_JZNS1_25segmented_radix_sort_implINS0_14default_configELb1EPK6__halfPSL_PKlPlN2at6native12_GLOBAL__N_18offset_tEEE10hipError_tPvRmT1_PNSt15iterator_traitsISZ_E10value_typeET2_T3_PNS10_IS15_E10value_typeET4_jRbjT5_S1B_jjP12ihipStream_tbEUljE_EEESW_SX_SY_S15_S19_S1B_T6_T7_T9_mT8_S1D_bDpT10_ENKUlT_T0_E_clISt17integral_constantIbLb1EES1P_IbLb0EEEEDaS1L_S1M_EUlS1L_E_NS1_11comp_targetILNS1_3genE5ELNS1_11target_archE942ELNS1_3gpuE9ELNS1_3repE0EEENS1_30default_config_static_selectorELNS0_4arch9wavefront6targetE1EEEvSZ_,comdat
.Lfunc_end1724:
	.size	_ZN7rocprim17ROCPRIM_400000_NS6detail17trampoline_kernelINS0_13select_configILj256ELj13ELNS0_17block_load_methodE3ELS4_3ELS4_3ELNS0_20block_scan_algorithmE0ELj4294967295EEENS1_25partition_config_selectorILNS1_17partition_subalgoE3EjNS0_10empty_typeEbEEZZNS1_14partition_implILS8_3ELb0ES6_jNS0_17counting_iteratorIjlEEPS9_SE_NS0_5tupleIJPjSE_EEENSF_IJSE_SE_EEES9_SG_JZNS1_25segmented_radix_sort_implINS0_14default_configELb1EPK6__halfPSL_PKlPlN2at6native12_GLOBAL__N_18offset_tEEE10hipError_tPvRmT1_PNSt15iterator_traitsISZ_E10value_typeET2_T3_PNS10_IS15_E10value_typeET4_jRbjT5_S1B_jjP12ihipStream_tbEUljE_EEESW_SX_SY_S15_S19_S1B_T6_T7_T9_mT8_S1D_bDpT10_ENKUlT_T0_E_clISt17integral_constantIbLb1EES1P_IbLb0EEEEDaS1L_S1M_EUlS1L_E_NS1_11comp_targetILNS1_3genE5ELNS1_11target_archE942ELNS1_3gpuE9ELNS1_3repE0EEENS1_30default_config_static_selectorELNS0_4arch9wavefront6targetE1EEEvSZ_, .Lfunc_end1724-_ZN7rocprim17ROCPRIM_400000_NS6detail17trampoline_kernelINS0_13select_configILj256ELj13ELNS0_17block_load_methodE3ELS4_3ELS4_3ELNS0_20block_scan_algorithmE0ELj4294967295EEENS1_25partition_config_selectorILNS1_17partition_subalgoE3EjNS0_10empty_typeEbEEZZNS1_14partition_implILS8_3ELb0ES6_jNS0_17counting_iteratorIjlEEPS9_SE_NS0_5tupleIJPjSE_EEENSF_IJSE_SE_EEES9_SG_JZNS1_25segmented_radix_sort_implINS0_14default_configELb1EPK6__halfPSL_PKlPlN2at6native12_GLOBAL__N_18offset_tEEE10hipError_tPvRmT1_PNSt15iterator_traitsISZ_E10value_typeET2_T3_PNS10_IS15_E10value_typeET4_jRbjT5_S1B_jjP12ihipStream_tbEUljE_EEESW_SX_SY_S15_S19_S1B_T6_T7_T9_mT8_S1D_bDpT10_ENKUlT_T0_E_clISt17integral_constantIbLb1EES1P_IbLb0EEEEDaS1L_S1M_EUlS1L_E_NS1_11comp_targetILNS1_3genE5ELNS1_11target_archE942ELNS1_3gpuE9ELNS1_3repE0EEENS1_30default_config_static_selectorELNS0_4arch9wavefront6targetE1EEEvSZ_
                                        ; -- End function
	.set _ZN7rocprim17ROCPRIM_400000_NS6detail17trampoline_kernelINS0_13select_configILj256ELj13ELNS0_17block_load_methodE3ELS4_3ELS4_3ELNS0_20block_scan_algorithmE0ELj4294967295EEENS1_25partition_config_selectorILNS1_17partition_subalgoE3EjNS0_10empty_typeEbEEZZNS1_14partition_implILS8_3ELb0ES6_jNS0_17counting_iteratorIjlEEPS9_SE_NS0_5tupleIJPjSE_EEENSF_IJSE_SE_EEES9_SG_JZNS1_25segmented_radix_sort_implINS0_14default_configELb1EPK6__halfPSL_PKlPlN2at6native12_GLOBAL__N_18offset_tEEE10hipError_tPvRmT1_PNSt15iterator_traitsISZ_E10value_typeET2_T3_PNS10_IS15_E10value_typeET4_jRbjT5_S1B_jjP12ihipStream_tbEUljE_EEESW_SX_SY_S15_S19_S1B_T6_T7_T9_mT8_S1D_bDpT10_ENKUlT_T0_E_clISt17integral_constantIbLb1EES1P_IbLb0EEEEDaS1L_S1M_EUlS1L_E_NS1_11comp_targetILNS1_3genE5ELNS1_11target_archE942ELNS1_3gpuE9ELNS1_3repE0EEENS1_30default_config_static_selectorELNS0_4arch9wavefront6targetE1EEEvSZ_.num_vgpr, 0
	.set _ZN7rocprim17ROCPRIM_400000_NS6detail17trampoline_kernelINS0_13select_configILj256ELj13ELNS0_17block_load_methodE3ELS4_3ELS4_3ELNS0_20block_scan_algorithmE0ELj4294967295EEENS1_25partition_config_selectorILNS1_17partition_subalgoE3EjNS0_10empty_typeEbEEZZNS1_14partition_implILS8_3ELb0ES6_jNS0_17counting_iteratorIjlEEPS9_SE_NS0_5tupleIJPjSE_EEENSF_IJSE_SE_EEES9_SG_JZNS1_25segmented_radix_sort_implINS0_14default_configELb1EPK6__halfPSL_PKlPlN2at6native12_GLOBAL__N_18offset_tEEE10hipError_tPvRmT1_PNSt15iterator_traitsISZ_E10value_typeET2_T3_PNS10_IS15_E10value_typeET4_jRbjT5_S1B_jjP12ihipStream_tbEUljE_EEESW_SX_SY_S15_S19_S1B_T6_T7_T9_mT8_S1D_bDpT10_ENKUlT_T0_E_clISt17integral_constantIbLb1EES1P_IbLb0EEEEDaS1L_S1M_EUlS1L_E_NS1_11comp_targetILNS1_3genE5ELNS1_11target_archE942ELNS1_3gpuE9ELNS1_3repE0EEENS1_30default_config_static_selectorELNS0_4arch9wavefront6targetE1EEEvSZ_.num_agpr, 0
	.set _ZN7rocprim17ROCPRIM_400000_NS6detail17trampoline_kernelINS0_13select_configILj256ELj13ELNS0_17block_load_methodE3ELS4_3ELS4_3ELNS0_20block_scan_algorithmE0ELj4294967295EEENS1_25partition_config_selectorILNS1_17partition_subalgoE3EjNS0_10empty_typeEbEEZZNS1_14partition_implILS8_3ELb0ES6_jNS0_17counting_iteratorIjlEEPS9_SE_NS0_5tupleIJPjSE_EEENSF_IJSE_SE_EEES9_SG_JZNS1_25segmented_radix_sort_implINS0_14default_configELb1EPK6__halfPSL_PKlPlN2at6native12_GLOBAL__N_18offset_tEEE10hipError_tPvRmT1_PNSt15iterator_traitsISZ_E10value_typeET2_T3_PNS10_IS15_E10value_typeET4_jRbjT5_S1B_jjP12ihipStream_tbEUljE_EEESW_SX_SY_S15_S19_S1B_T6_T7_T9_mT8_S1D_bDpT10_ENKUlT_T0_E_clISt17integral_constantIbLb1EES1P_IbLb0EEEEDaS1L_S1M_EUlS1L_E_NS1_11comp_targetILNS1_3genE5ELNS1_11target_archE942ELNS1_3gpuE9ELNS1_3repE0EEENS1_30default_config_static_selectorELNS0_4arch9wavefront6targetE1EEEvSZ_.numbered_sgpr, 0
	.set _ZN7rocprim17ROCPRIM_400000_NS6detail17trampoline_kernelINS0_13select_configILj256ELj13ELNS0_17block_load_methodE3ELS4_3ELS4_3ELNS0_20block_scan_algorithmE0ELj4294967295EEENS1_25partition_config_selectorILNS1_17partition_subalgoE3EjNS0_10empty_typeEbEEZZNS1_14partition_implILS8_3ELb0ES6_jNS0_17counting_iteratorIjlEEPS9_SE_NS0_5tupleIJPjSE_EEENSF_IJSE_SE_EEES9_SG_JZNS1_25segmented_radix_sort_implINS0_14default_configELb1EPK6__halfPSL_PKlPlN2at6native12_GLOBAL__N_18offset_tEEE10hipError_tPvRmT1_PNSt15iterator_traitsISZ_E10value_typeET2_T3_PNS10_IS15_E10value_typeET4_jRbjT5_S1B_jjP12ihipStream_tbEUljE_EEESW_SX_SY_S15_S19_S1B_T6_T7_T9_mT8_S1D_bDpT10_ENKUlT_T0_E_clISt17integral_constantIbLb1EES1P_IbLb0EEEEDaS1L_S1M_EUlS1L_E_NS1_11comp_targetILNS1_3genE5ELNS1_11target_archE942ELNS1_3gpuE9ELNS1_3repE0EEENS1_30default_config_static_selectorELNS0_4arch9wavefront6targetE1EEEvSZ_.num_named_barrier, 0
	.set _ZN7rocprim17ROCPRIM_400000_NS6detail17trampoline_kernelINS0_13select_configILj256ELj13ELNS0_17block_load_methodE3ELS4_3ELS4_3ELNS0_20block_scan_algorithmE0ELj4294967295EEENS1_25partition_config_selectorILNS1_17partition_subalgoE3EjNS0_10empty_typeEbEEZZNS1_14partition_implILS8_3ELb0ES6_jNS0_17counting_iteratorIjlEEPS9_SE_NS0_5tupleIJPjSE_EEENSF_IJSE_SE_EEES9_SG_JZNS1_25segmented_radix_sort_implINS0_14default_configELb1EPK6__halfPSL_PKlPlN2at6native12_GLOBAL__N_18offset_tEEE10hipError_tPvRmT1_PNSt15iterator_traitsISZ_E10value_typeET2_T3_PNS10_IS15_E10value_typeET4_jRbjT5_S1B_jjP12ihipStream_tbEUljE_EEESW_SX_SY_S15_S19_S1B_T6_T7_T9_mT8_S1D_bDpT10_ENKUlT_T0_E_clISt17integral_constantIbLb1EES1P_IbLb0EEEEDaS1L_S1M_EUlS1L_E_NS1_11comp_targetILNS1_3genE5ELNS1_11target_archE942ELNS1_3gpuE9ELNS1_3repE0EEENS1_30default_config_static_selectorELNS0_4arch9wavefront6targetE1EEEvSZ_.private_seg_size, 0
	.set _ZN7rocprim17ROCPRIM_400000_NS6detail17trampoline_kernelINS0_13select_configILj256ELj13ELNS0_17block_load_methodE3ELS4_3ELS4_3ELNS0_20block_scan_algorithmE0ELj4294967295EEENS1_25partition_config_selectorILNS1_17partition_subalgoE3EjNS0_10empty_typeEbEEZZNS1_14partition_implILS8_3ELb0ES6_jNS0_17counting_iteratorIjlEEPS9_SE_NS0_5tupleIJPjSE_EEENSF_IJSE_SE_EEES9_SG_JZNS1_25segmented_radix_sort_implINS0_14default_configELb1EPK6__halfPSL_PKlPlN2at6native12_GLOBAL__N_18offset_tEEE10hipError_tPvRmT1_PNSt15iterator_traitsISZ_E10value_typeET2_T3_PNS10_IS15_E10value_typeET4_jRbjT5_S1B_jjP12ihipStream_tbEUljE_EEESW_SX_SY_S15_S19_S1B_T6_T7_T9_mT8_S1D_bDpT10_ENKUlT_T0_E_clISt17integral_constantIbLb1EES1P_IbLb0EEEEDaS1L_S1M_EUlS1L_E_NS1_11comp_targetILNS1_3genE5ELNS1_11target_archE942ELNS1_3gpuE9ELNS1_3repE0EEENS1_30default_config_static_selectorELNS0_4arch9wavefront6targetE1EEEvSZ_.uses_vcc, 0
	.set _ZN7rocprim17ROCPRIM_400000_NS6detail17trampoline_kernelINS0_13select_configILj256ELj13ELNS0_17block_load_methodE3ELS4_3ELS4_3ELNS0_20block_scan_algorithmE0ELj4294967295EEENS1_25partition_config_selectorILNS1_17partition_subalgoE3EjNS0_10empty_typeEbEEZZNS1_14partition_implILS8_3ELb0ES6_jNS0_17counting_iteratorIjlEEPS9_SE_NS0_5tupleIJPjSE_EEENSF_IJSE_SE_EEES9_SG_JZNS1_25segmented_radix_sort_implINS0_14default_configELb1EPK6__halfPSL_PKlPlN2at6native12_GLOBAL__N_18offset_tEEE10hipError_tPvRmT1_PNSt15iterator_traitsISZ_E10value_typeET2_T3_PNS10_IS15_E10value_typeET4_jRbjT5_S1B_jjP12ihipStream_tbEUljE_EEESW_SX_SY_S15_S19_S1B_T6_T7_T9_mT8_S1D_bDpT10_ENKUlT_T0_E_clISt17integral_constantIbLb1EES1P_IbLb0EEEEDaS1L_S1M_EUlS1L_E_NS1_11comp_targetILNS1_3genE5ELNS1_11target_archE942ELNS1_3gpuE9ELNS1_3repE0EEENS1_30default_config_static_selectorELNS0_4arch9wavefront6targetE1EEEvSZ_.uses_flat_scratch, 0
	.set _ZN7rocprim17ROCPRIM_400000_NS6detail17trampoline_kernelINS0_13select_configILj256ELj13ELNS0_17block_load_methodE3ELS4_3ELS4_3ELNS0_20block_scan_algorithmE0ELj4294967295EEENS1_25partition_config_selectorILNS1_17partition_subalgoE3EjNS0_10empty_typeEbEEZZNS1_14partition_implILS8_3ELb0ES6_jNS0_17counting_iteratorIjlEEPS9_SE_NS0_5tupleIJPjSE_EEENSF_IJSE_SE_EEES9_SG_JZNS1_25segmented_radix_sort_implINS0_14default_configELb1EPK6__halfPSL_PKlPlN2at6native12_GLOBAL__N_18offset_tEEE10hipError_tPvRmT1_PNSt15iterator_traitsISZ_E10value_typeET2_T3_PNS10_IS15_E10value_typeET4_jRbjT5_S1B_jjP12ihipStream_tbEUljE_EEESW_SX_SY_S15_S19_S1B_T6_T7_T9_mT8_S1D_bDpT10_ENKUlT_T0_E_clISt17integral_constantIbLb1EES1P_IbLb0EEEEDaS1L_S1M_EUlS1L_E_NS1_11comp_targetILNS1_3genE5ELNS1_11target_archE942ELNS1_3gpuE9ELNS1_3repE0EEENS1_30default_config_static_selectorELNS0_4arch9wavefront6targetE1EEEvSZ_.has_dyn_sized_stack, 0
	.set _ZN7rocprim17ROCPRIM_400000_NS6detail17trampoline_kernelINS0_13select_configILj256ELj13ELNS0_17block_load_methodE3ELS4_3ELS4_3ELNS0_20block_scan_algorithmE0ELj4294967295EEENS1_25partition_config_selectorILNS1_17partition_subalgoE3EjNS0_10empty_typeEbEEZZNS1_14partition_implILS8_3ELb0ES6_jNS0_17counting_iteratorIjlEEPS9_SE_NS0_5tupleIJPjSE_EEENSF_IJSE_SE_EEES9_SG_JZNS1_25segmented_radix_sort_implINS0_14default_configELb1EPK6__halfPSL_PKlPlN2at6native12_GLOBAL__N_18offset_tEEE10hipError_tPvRmT1_PNSt15iterator_traitsISZ_E10value_typeET2_T3_PNS10_IS15_E10value_typeET4_jRbjT5_S1B_jjP12ihipStream_tbEUljE_EEESW_SX_SY_S15_S19_S1B_T6_T7_T9_mT8_S1D_bDpT10_ENKUlT_T0_E_clISt17integral_constantIbLb1EES1P_IbLb0EEEEDaS1L_S1M_EUlS1L_E_NS1_11comp_targetILNS1_3genE5ELNS1_11target_archE942ELNS1_3gpuE9ELNS1_3repE0EEENS1_30default_config_static_selectorELNS0_4arch9wavefront6targetE1EEEvSZ_.has_recursion, 0
	.set _ZN7rocprim17ROCPRIM_400000_NS6detail17trampoline_kernelINS0_13select_configILj256ELj13ELNS0_17block_load_methodE3ELS4_3ELS4_3ELNS0_20block_scan_algorithmE0ELj4294967295EEENS1_25partition_config_selectorILNS1_17partition_subalgoE3EjNS0_10empty_typeEbEEZZNS1_14partition_implILS8_3ELb0ES6_jNS0_17counting_iteratorIjlEEPS9_SE_NS0_5tupleIJPjSE_EEENSF_IJSE_SE_EEES9_SG_JZNS1_25segmented_radix_sort_implINS0_14default_configELb1EPK6__halfPSL_PKlPlN2at6native12_GLOBAL__N_18offset_tEEE10hipError_tPvRmT1_PNSt15iterator_traitsISZ_E10value_typeET2_T3_PNS10_IS15_E10value_typeET4_jRbjT5_S1B_jjP12ihipStream_tbEUljE_EEESW_SX_SY_S15_S19_S1B_T6_T7_T9_mT8_S1D_bDpT10_ENKUlT_T0_E_clISt17integral_constantIbLb1EES1P_IbLb0EEEEDaS1L_S1M_EUlS1L_E_NS1_11comp_targetILNS1_3genE5ELNS1_11target_archE942ELNS1_3gpuE9ELNS1_3repE0EEENS1_30default_config_static_selectorELNS0_4arch9wavefront6targetE1EEEvSZ_.has_indirect_call, 0
	.section	.AMDGPU.csdata,"",@progbits
; Kernel info:
; codeLenInByte = 0
; TotalNumSgprs: 4
; NumVgprs: 0
; ScratchSize: 0
; MemoryBound: 0
; FloatMode: 240
; IeeeMode: 1
; LDSByteSize: 0 bytes/workgroup (compile time only)
; SGPRBlocks: 0
; VGPRBlocks: 0
; NumSGPRsForWavesPerEU: 4
; NumVGPRsForWavesPerEU: 1
; Occupancy: 10
; WaveLimiterHint : 0
; COMPUTE_PGM_RSRC2:SCRATCH_EN: 0
; COMPUTE_PGM_RSRC2:USER_SGPR: 6
; COMPUTE_PGM_RSRC2:TRAP_HANDLER: 0
; COMPUTE_PGM_RSRC2:TGID_X_EN: 1
; COMPUTE_PGM_RSRC2:TGID_Y_EN: 0
; COMPUTE_PGM_RSRC2:TGID_Z_EN: 0
; COMPUTE_PGM_RSRC2:TIDIG_COMP_CNT: 0
	.section	.text._ZN7rocprim17ROCPRIM_400000_NS6detail17trampoline_kernelINS0_13select_configILj256ELj13ELNS0_17block_load_methodE3ELS4_3ELS4_3ELNS0_20block_scan_algorithmE0ELj4294967295EEENS1_25partition_config_selectorILNS1_17partition_subalgoE3EjNS0_10empty_typeEbEEZZNS1_14partition_implILS8_3ELb0ES6_jNS0_17counting_iteratorIjlEEPS9_SE_NS0_5tupleIJPjSE_EEENSF_IJSE_SE_EEES9_SG_JZNS1_25segmented_radix_sort_implINS0_14default_configELb1EPK6__halfPSL_PKlPlN2at6native12_GLOBAL__N_18offset_tEEE10hipError_tPvRmT1_PNSt15iterator_traitsISZ_E10value_typeET2_T3_PNS10_IS15_E10value_typeET4_jRbjT5_S1B_jjP12ihipStream_tbEUljE_EEESW_SX_SY_S15_S19_S1B_T6_T7_T9_mT8_S1D_bDpT10_ENKUlT_T0_E_clISt17integral_constantIbLb1EES1P_IbLb0EEEEDaS1L_S1M_EUlS1L_E_NS1_11comp_targetILNS1_3genE4ELNS1_11target_archE910ELNS1_3gpuE8ELNS1_3repE0EEENS1_30default_config_static_selectorELNS0_4arch9wavefront6targetE1EEEvSZ_,"axG",@progbits,_ZN7rocprim17ROCPRIM_400000_NS6detail17trampoline_kernelINS0_13select_configILj256ELj13ELNS0_17block_load_methodE3ELS4_3ELS4_3ELNS0_20block_scan_algorithmE0ELj4294967295EEENS1_25partition_config_selectorILNS1_17partition_subalgoE3EjNS0_10empty_typeEbEEZZNS1_14partition_implILS8_3ELb0ES6_jNS0_17counting_iteratorIjlEEPS9_SE_NS0_5tupleIJPjSE_EEENSF_IJSE_SE_EEES9_SG_JZNS1_25segmented_radix_sort_implINS0_14default_configELb1EPK6__halfPSL_PKlPlN2at6native12_GLOBAL__N_18offset_tEEE10hipError_tPvRmT1_PNSt15iterator_traitsISZ_E10value_typeET2_T3_PNS10_IS15_E10value_typeET4_jRbjT5_S1B_jjP12ihipStream_tbEUljE_EEESW_SX_SY_S15_S19_S1B_T6_T7_T9_mT8_S1D_bDpT10_ENKUlT_T0_E_clISt17integral_constantIbLb1EES1P_IbLb0EEEEDaS1L_S1M_EUlS1L_E_NS1_11comp_targetILNS1_3genE4ELNS1_11target_archE910ELNS1_3gpuE8ELNS1_3repE0EEENS1_30default_config_static_selectorELNS0_4arch9wavefront6targetE1EEEvSZ_,comdat
	.globl	_ZN7rocprim17ROCPRIM_400000_NS6detail17trampoline_kernelINS0_13select_configILj256ELj13ELNS0_17block_load_methodE3ELS4_3ELS4_3ELNS0_20block_scan_algorithmE0ELj4294967295EEENS1_25partition_config_selectorILNS1_17partition_subalgoE3EjNS0_10empty_typeEbEEZZNS1_14partition_implILS8_3ELb0ES6_jNS0_17counting_iteratorIjlEEPS9_SE_NS0_5tupleIJPjSE_EEENSF_IJSE_SE_EEES9_SG_JZNS1_25segmented_radix_sort_implINS0_14default_configELb1EPK6__halfPSL_PKlPlN2at6native12_GLOBAL__N_18offset_tEEE10hipError_tPvRmT1_PNSt15iterator_traitsISZ_E10value_typeET2_T3_PNS10_IS15_E10value_typeET4_jRbjT5_S1B_jjP12ihipStream_tbEUljE_EEESW_SX_SY_S15_S19_S1B_T6_T7_T9_mT8_S1D_bDpT10_ENKUlT_T0_E_clISt17integral_constantIbLb1EES1P_IbLb0EEEEDaS1L_S1M_EUlS1L_E_NS1_11comp_targetILNS1_3genE4ELNS1_11target_archE910ELNS1_3gpuE8ELNS1_3repE0EEENS1_30default_config_static_selectorELNS0_4arch9wavefront6targetE1EEEvSZ_ ; -- Begin function _ZN7rocprim17ROCPRIM_400000_NS6detail17trampoline_kernelINS0_13select_configILj256ELj13ELNS0_17block_load_methodE3ELS4_3ELS4_3ELNS0_20block_scan_algorithmE0ELj4294967295EEENS1_25partition_config_selectorILNS1_17partition_subalgoE3EjNS0_10empty_typeEbEEZZNS1_14partition_implILS8_3ELb0ES6_jNS0_17counting_iteratorIjlEEPS9_SE_NS0_5tupleIJPjSE_EEENSF_IJSE_SE_EEES9_SG_JZNS1_25segmented_radix_sort_implINS0_14default_configELb1EPK6__halfPSL_PKlPlN2at6native12_GLOBAL__N_18offset_tEEE10hipError_tPvRmT1_PNSt15iterator_traitsISZ_E10value_typeET2_T3_PNS10_IS15_E10value_typeET4_jRbjT5_S1B_jjP12ihipStream_tbEUljE_EEESW_SX_SY_S15_S19_S1B_T6_T7_T9_mT8_S1D_bDpT10_ENKUlT_T0_E_clISt17integral_constantIbLb1EES1P_IbLb0EEEEDaS1L_S1M_EUlS1L_E_NS1_11comp_targetILNS1_3genE4ELNS1_11target_archE910ELNS1_3gpuE8ELNS1_3repE0EEENS1_30default_config_static_selectorELNS0_4arch9wavefront6targetE1EEEvSZ_
	.p2align	8
	.type	_ZN7rocprim17ROCPRIM_400000_NS6detail17trampoline_kernelINS0_13select_configILj256ELj13ELNS0_17block_load_methodE3ELS4_3ELS4_3ELNS0_20block_scan_algorithmE0ELj4294967295EEENS1_25partition_config_selectorILNS1_17partition_subalgoE3EjNS0_10empty_typeEbEEZZNS1_14partition_implILS8_3ELb0ES6_jNS0_17counting_iteratorIjlEEPS9_SE_NS0_5tupleIJPjSE_EEENSF_IJSE_SE_EEES9_SG_JZNS1_25segmented_radix_sort_implINS0_14default_configELb1EPK6__halfPSL_PKlPlN2at6native12_GLOBAL__N_18offset_tEEE10hipError_tPvRmT1_PNSt15iterator_traitsISZ_E10value_typeET2_T3_PNS10_IS15_E10value_typeET4_jRbjT5_S1B_jjP12ihipStream_tbEUljE_EEESW_SX_SY_S15_S19_S1B_T6_T7_T9_mT8_S1D_bDpT10_ENKUlT_T0_E_clISt17integral_constantIbLb1EES1P_IbLb0EEEEDaS1L_S1M_EUlS1L_E_NS1_11comp_targetILNS1_3genE4ELNS1_11target_archE910ELNS1_3gpuE8ELNS1_3repE0EEENS1_30default_config_static_selectorELNS0_4arch9wavefront6targetE1EEEvSZ_,@function
_ZN7rocprim17ROCPRIM_400000_NS6detail17trampoline_kernelINS0_13select_configILj256ELj13ELNS0_17block_load_methodE3ELS4_3ELS4_3ELNS0_20block_scan_algorithmE0ELj4294967295EEENS1_25partition_config_selectorILNS1_17partition_subalgoE3EjNS0_10empty_typeEbEEZZNS1_14partition_implILS8_3ELb0ES6_jNS0_17counting_iteratorIjlEEPS9_SE_NS0_5tupleIJPjSE_EEENSF_IJSE_SE_EEES9_SG_JZNS1_25segmented_radix_sort_implINS0_14default_configELb1EPK6__halfPSL_PKlPlN2at6native12_GLOBAL__N_18offset_tEEE10hipError_tPvRmT1_PNSt15iterator_traitsISZ_E10value_typeET2_T3_PNS10_IS15_E10value_typeET4_jRbjT5_S1B_jjP12ihipStream_tbEUljE_EEESW_SX_SY_S15_S19_S1B_T6_T7_T9_mT8_S1D_bDpT10_ENKUlT_T0_E_clISt17integral_constantIbLb1EES1P_IbLb0EEEEDaS1L_S1M_EUlS1L_E_NS1_11comp_targetILNS1_3genE4ELNS1_11target_archE910ELNS1_3gpuE8ELNS1_3repE0EEENS1_30default_config_static_selectorELNS0_4arch9wavefront6targetE1EEEvSZ_: ; @_ZN7rocprim17ROCPRIM_400000_NS6detail17trampoline_kernelINS0_13select_configILj256ELj13ELNS0_17block_load_methodE3ELS4_3ELS4_3ELNS0_20block_scan_algorithmE0ELj4294967295EEENS1_25partition_config_selectorILNS1_17partition_subalgoE3EjNS0_10empty_typeEbEEZZNS1_14partition_implILS8_3ELb0ES6_jNS0_17counting_iteratorIjlEEPS9_SE_NS0_5tupleIJPjSE_EEENSF_IJSE_SE_EEES9_SG_JZNS1_25segmented_radix_sort_implINS0_14default_configELb1EPK6__halfPSL_PKlPlN2at6native12_GLOBAL__N_18offset_tEEE10hipError_tPvRmT1_PNSt15iterator_traitsISZ_E10value_typeET2_T3_PNS10_IS15_E10value_typeET4_jRbjT5_S1B_jjP12ihipStream_tbEUljE_EEESW_SX_SY_S15_S19_S1B_T6_T7_T9_mT8_S1D_bDpT10_ENKUlT_T0_E_clISt17integral_constantIbLb1EES1P_IbLb0EEEEDaS1L_S1M_EUlS1L_E_NS1_11comp_targetILNS1_3genE4ELNS1_11target_archE910ELNS1_3gpuE8ELNS1_3repE0EEENS1_30default_config_static_selectorELNS0_4arch9wavefront6targetE1EEEvSZ_
; %bb.0:
	.section	.rodata,"a",@progbits
	.p2align	6, 0x0
	.amdhsa_kernel _ZN7rocprim17ROCPRIM_400000_NS6detail17trampoline_kernelINS0_13select_configILj256ELj13ELNS0_17block_load_methodE3ELS4_3ELS4_3ELNS0_20block_scan_algorithmE0ELj4294967295EEENS1_25partition_config_selectorILNS1_17partition_subalgoE3EjNS0_10empty_typeEbEEZZNS1_14partition_implILS8_3ELb0ES6_jNS0_17counting_iteratorIjlEEPS9_SE_NS0_5tupleIJPjSE_EEENSF_IJSE_SE_EEES9_SG_JZNS1_25segmented_radix_sort_implINS0_14default_configELb1EPK6__halfPSL_PKlPlN2at6native12_GLOBAL__N_18offset_tEEE10hipError_tPvRmT1_PNSt15iterator_traitsISZ_E10value_typeET2_T3_PNS10_IS15_E10value_typeET4_jRbjT5_S1B_jjP12ihipStream_tbEUljE_EEESW_SX_SY_S15_S19_S1B_T6_T7_T9_mT8_S1D_bDpT10_ENKUlT_T0_E_clISt17integral_constantIbLb1EES1P_IbLb0EEEEDaS1L_S1M_EUlS1L_E_NS1_11comp_targetILNS1_3genE4ELNS1_11target_archE910ELNS1_3gpuE8ELNS1_3repE0EEENS1_30default_config_static_selectorELNS0_4arch9wavefront6targetE1EEEvSZ_
		.amdhsa_group_segment_fixed_size 0
		.amdhsa_private_segment_fixed_size 0
		.amdhsa_kernarg_size 144
		.amdhsa_user_sgpr_count 6
		.amdhsa_user_sgpr_private_segment_buffer 1
		.amdhsa_user_sgpr_dispatch_ptr 0
		.amdhsa_user_sgpr_queue_ptr 0
		.amdhsa_user_sgpr_kernarg_segment_ptr 1
		.amdhsa_user_sgpr_dispatch_id 0
		.amdhsa_user_sgpr_flat_scratch_init 0
		.amdhsa_user_sgpr_private_segment_size 0
		.amdhsa_uses_dynamic_stack 0
		.amdhsa_system_sgpr_private_segment_wavefront_offset 0
		.amdhsa_system_sgpr_workgroup_id_x 1
		.amdhsa_system_sgpr_workgroup_id_y 0
		.amdhsa_system_sgpr_workgroup_id_z 0
		.amdhsa_system_sgpr_workgroup_info 0
		.amdhsa_system_vgpr_workitem_id 0
		.amdhsa_next_free_vgpr 1
		.amdhsa_next_free_sgpr 0
		.amdhsa_reserve_vcc 0
		.amdhsa_reserve_flat_scratch 0
		.amdhsa_float_round_mode_32 0
		.amdhsa_float_round_mode_16_64 0
		.amdhsa_float_denorm_mode_32 3
		.amdhsa_float_denorm_mode_16_64 3
		.amdhsa_dx10_clamp 1
		.amdhsa_ieee_mode 1
		.amdhsa_fp16_overflow 0
		.amdhsa_exception_fp_ieee_invalid_op 0
		.amdhsa_exception_fp_denorm_src 0
		.amdhsa_exception_fp_ieee_div_zero 0
		.amdhsa_exception_fp_ieee_overflow 0
		.amdhsa_exception_fp_ieee_underflow 0
		.amdhsa_exception_fp_ieee_inexact 0
		.amdhsa_exception_int_div_zero 0
	.end_amdhsa_kernel
	.section	.text._ZN7rocprim17ROCPRIM_400000_NS6detail17trampoline_kernelINS0_13select_configILj256ELj13ELNS0_17block_load_methodE3ELS4_3ELS4_3ELNS0_20block_scan_algorithmE0ELj4294967295EEENS1_25partition_config_selectorILNS1_17partition_subalgoE3EjNS0_10empty_typeEbEEZZNS1_14partition_implILS8_3ELb0ES6_jNS0_17counting_iteratorIjlEEPS9_SE_NS0_5tupleIJPjSE_EEENSF_IJSE_SE_EEES9_SG_JZNS1_25segmented_radix_sort_implINS0_14default_configELb1EPK6__halfPSL_PKlPlN2at6native12_GLOBAL__N_18offset_tEEE10hipError_tPvRmT1_PNSt15iterator_traitsISZ_E10value_typeET2_T3_PNS10_IS15_E10value_typeET4_jRbjT5_S1B_jjP12ihipStream_tbEUljE_EEESW_SX_SY_S15_S19_S1B_T6_T7_T9_mT8_S1D_bDpT10_ENKUlT_T0_E_clISt17integral_constantIbLb1EES1P_IbLb0EEEEDaS1L_S1M_EUlS1L_E_NS1_11comp_targetILNS1_3genE4ELNS1_11target_archE910ELNS1_3gpuE8ELNS1_3repE0EEENS1_30default_config_static_selectorELNS0_4arch9wavefront6targetE1EEEvSZ_,"axG",@progbits,_ZN7rocprim17ROCPRIM_400000_NS6detail17trampoline_kernelINS0_13select_configILj256ELj13ELNS0_17block_load_methodE3ELS4_3ELS4_3ELNS0_20block_scan_algorithmE0ELj4294967295EEENS1_25partition_config_selectorILNS1_17partition_subalgoE3EjNS0_10empty_typeEbEEZZNS1_14partition_implILS8_3ELb0ES6_jNS0_17counting_iteratorIjlEEPS9_SE_NS0_5tupleIJPjSE_EEENSF_IJSE_SE_EEES9_SG_JZNS1_25segmented_radix_sort_implINS0_14default_configELb1EPK6__halfPSL_PKlPlN2at6native12_GLOBAL__N_18offset_tEEE10hipError_tPvRmT1_PNSt15iterator_traitsISZ_E10value_typeET2_T3_PNS10_IS15_E10value_typeET4_jRbjT5_S1B_jjP12ihipStream_tbEUljE_EEESW_SX_SY_S15_S19_S1B_T6_T7_T9_mT8_S1D_bDpT10_ENKUlT_T0_E_clISt17integral_constantIbLb1EES1P_IbLb0EEEEDaS1L_S1M_EUlS1L_E_NS1_11comp_targetILNS1_3genE4ELNS1_11target_archE910ELNS1_3gpuE8ELNS1_3repE0EEENS1_30default_config_static_selectorELNS0_4arch9wavefront6targetE1EEEvSZ_,comdat
.Lfunc_end1725:
	.size	_ZN7rocprim17ROCPRIM_400000_NS6detail17trampoline_kernelINS0_13select_configILj256ELj13ELNS0_17block_load_methodE3ELS4_3ELS4_3ELNS0_20block_scan_algorithmE0ELj4294967295EEENS1_25partition_config_selectorILNS1_17partition_subalgoE3EjNS0_10empty_typeEbEEZZNS1_14partition_implILS8_3ELb0ES6_jNS0_17counting_iteratorIjlEEPS9_SE_NS0_5tupleIJPjSE_EEENSF_IJSE_SE_EEES9_SG_JZNS1_25segmented_radix_sort_implINS0_14default_configELb1EPK6__halfPSL_PKlPlN2at6native12_GLOBAL__N_18offset_tEEE10hipError_tPvRmT1_PNSt15iterator_traitsISZ_E10value_typeET2_T3_PNS10_IS15_E10value_typeET4_jRbjT5_S1B_jjP12ihipStream_tbEUljE_EEESW_SX_SY_S15_S19_S1B_T6_T7_T9_mT8_S1D_bDpT10_ENKUlT_T0_E_clISt17integral_constantIbLb1EES1P_IbLb0EEEEDaS1L_S1M_EUlS1L_E_NS1_11comp_targetILNS1_3genE4ELNS1_11target_archE910ELNS1_3gpuE8ELNS1_3repE0EEENS1_30default_config_static_selectorELNS0_4arch9wavefront6targetE1EEEvSZ_, .Lfunc_end1725-_ZN7rocprim17ROCPRIM_400000_NS6detail17trampoline_kernelINS0_13select_configILj256ELj13ELNS0_17block_load_methodE3ELS4_3ELS4_3ELNS0_20block_scan_algorithmE0ELj4294967295EEENS1_25partition_config_selectorILNS1_17partition_subalgoE3EjNS0_10empty_typeEbEEZZNS1_14partition_implILS8_3ELb0ES6_jNS0_17counting_iteratorIjlEEPS9_SE_NS0_5tupleIJPjSE_EEENSF_IJSE_SE_EEES9_SG_JZNS1_25segmented_radix_sort_implINS0_14default_configELb1EPK6__halfPSL_PKlPlN2at6native12_GLOBAL__N_18offset_tEEE10hipError_tPvRmT1_PNSt15iterator_traitsISZ_E10value_typeET2_T3_PNS10_IS15_E10value_typeET4_jRbjT5_S1B_jjP12ihipStream_tbEUljE_EEESW_SX_SY_S15_S19_S1B_T6_T7_T9_mT8_S1D_bDpT10_ENKUlT_T0_E_clISt17integral_constantIbLb1EES1P_IbLb0EEEEDaS1L_S1M_EUlS1L_E_NS1_11comp_targetILNS1_3genE4ELNS1_11target_archE910ELNS1_3gpuE8ELNS1_3repE0EEENS1_30default_config_static_selectorELNS0_4arch9wavefront6targetE1EEEvSZ_
                                        ; -- End function
	.set _ZN7rocprim17ROCPRIM_400000_NS6detail17trampoline_kernelINS0_13select_configILj256ELj13ELNS0_17block_load_methodE3ELS4_3ELS4_3ELNS0_20block_scan_algorithmE0ELj4294967295EEENS1_25partition_config_selectorILNS1_17partition_subalgoE3EjNS0_10empty_typeEbEEZZNS1_14partition_implILS8_3ELb0ES6_jNS0_17counting_iteratorIjlEEPS9_SE_NS0_5tupleIJPjSE_EEENSF_IJSE_SE_EEES9_SG_JZNS1_25segmented_radix_sort_implINS0_14default_configELb1EPK6__halfPSL_PKlPlN2at6native12_GLOBAL__N_18offset_tEEE10hipError_tPvRmT1_PNSt15iterator_traitsISZ_E10value_typeET2_T3_PNS10_IS15_E10value_typeET4_jRbjT5_S1B_jjP12ihipStream_tbEUljE_EEESW_SX_SY_S15_S19_S1B_T6_T7_T9_mT8_S1D_bDpT10_ENKUlT_T0_E_clISt17integral_constantIbLb1EES1P_IbLb0EEEEDaS1L_S1M_EUlS1L_E_NS1_11comp_targetILNS1_3genE4ELNS1_11target_archE910ELNS1_3gpuE8ELNS1_3repE0EEENS1_30default_config_static_selectorELNS0_4arch9wavefront6targetE1EEEvSZ_.num_vgpr, 0
	.set _ZN7rocprim17ROCPRIM_400000_NS6detail17trampoline_kernelINS0_13select_configILj256ELj13ELNS0_17block_load_methodE3ELS4_3ELS4_3ELNS0_20block_scan_algorithmE0ELj4294967295EEENS1_25partition_config_selectorILNS1_17partition_subalgoE3EjNS0_10empty_typeEbEEZZNS1_14partition_implILS8_3ELb0ES6_jNS0_17counting_iteratorIjlEEPS9_SE_NS0_5tupleIJPjSE_EEENSF_IJSE_SE_EEES9_SG_JZNS1_25segmented_radix_sort_implINS0_14default_configELb1EPK6__halfPSL_PKlPlN2at6native12_GLOBAL__N_18offset_tEEE10hipError_tPvRmT1_PNSt15iterator_traitsISZ_E10value_typeET2_T3_PNS10_IS15_E10value_typeET4_jRbjT5_S1B_jjP12ihipStream_tbEUljE_EEESW_SX_SY_S15_S19_S1B_T6_T7_T9_mT8_S1D_bDpT10_ENKUlT_T0_E_clISt17integral_constantIbLb1EES1P_IbLb0EEEEDaS1L_S1M_EUlS1L_E_NS1_11comp_targetILNS1_3genE4ELNS1_11target_archE910ELNS1_3gpuE8ELNS1_3repE0EEENS1_30default_config_static_selectorELNS0_4arch9wavefront6targetE1EEEvSZ_.num_agpr, 0
	.set _ZN7rocprim17ROCPRIM_400000_NS6detail17trampoline_kernelINS0_13select_configILj256ELj13ELNS0_17block_load_methodE3ELS4_3ELS4_3ELNS0_20block_scan_algorithmE0ELj4294967295EEENS1_25partition_config_selectorILNS1_17partition_subalgoE3EjNS0_10empty_typeEbEEZZNS1_14partition_implILS8_3ELb0ES6_jNS0_17counting_iteratorIjlEEPS9_SE_NS0_5tupleIJPjSE_EEENSF_IJSE_SE_EEES9_SG_JZNS1_25segmented_radix_sort_implINS0_14default_configELb1EPK6__halfPSL_PKlPlN2at6native12_GLOBAL__N_18offset_tEEE10hipError_tPvRmT1_PNSt15iterator_traitsISZ_E10value_typeET2_T3_PNS10_IS15_E10value_typeET4_jRbjT5_S1B_jjP12ihipStream_tbEUljE_EEESW_SX_SY_S15_S19_S1B_T6_T7_T9_mT8_S1D_bDpT10_ENKUlT_T0_E_clISt17integral_constantIbLb1EES1P_IbLb0EEEEDaS1L_S1M_EUlS1L_E_NS1_11comp_targetILNS1_3genE4ELNS1_11target_archE910ELNS1_3gpuE8ELNS1_3repE0EEENS1_30default_config_static_selectorELNS0_4arch9wavefront6targetE1EEEvSZ_.numbered_sgpr, 0
	.set _ZN7rocprim17ROCPRIM_400000_NS6detail17trampoline_kernelINS0_13select_configILj256ELj13ELNS0_17block_load_methodE3ELS4_3ELS4_3ELNS0_20block_scan_algorithmE0ELj4294967295EEENS1_25partition_config_selectorILNS1_17partition_subalgoE3EjNS0_10empty_typeEbEEZZNS1_14partition_implILS8_3ELb0ES6_jNS0_17counting_iteratorIjlEEPS9_SE_NS0_5tupleIJPjSE_EEENSF_IJSE_SE_EEES9_SG_JZNS1_25segmented_radix_sort_implINS0_14default_configELb1EPK6__halfPSL_PKlPlN2at6native12_GLOBAL__N_18offset_tEEE10hipError_tPvRmT1_PNSt15iterator_traitsISZ_E10value_typeET2_T3_PNS10_IS15_E10value_typeET4_jRbjT5_S1B_jjP12ihipStream_tbEUljE_EEESW_SX_SY_S15_S19_S1B_T6_T7_T9_mT8_S1D_bDpT10_ENKUlT_T0_E_clISt17integral_constantIbLb1EES1P_IbLb0EEEEDaS1L_S1M_EUlS1L_E_NS1_11comp_targetILNS1_3genE4ELNS1_11target_archE910ELNS1_3gpuE8ELNS1_3repE0EEENS1_30default_config_static_selectorELNS0_4arch9wavefront6targetE1EEEvSZ_.num_named_barrier, 0
	.set _ZN7rocprim17ROCPRIM_400000_NS6detail17trampoline_kernelINS0_13select_configILj256ELj13ELNS0_17block_load_methodE3ELS4_3ELS4_3ELNS0_20block_scan_algorithmE0ELj4294967295EEENS1_25partition_config_selectorILNS1_17partition_subalgoE3EjNS0_10empty_typeEbEEZZNS1_14partition_implILS8_3ELb0ES6_jNS0_17counting_iteratorIjlEEPS9_SE_NS0_5tupleIJPjSE_EEENSF_IJSE_SE_EEES9_SG_JZNS1_25segmented_radix_sort_implINS0_14default_configELb1EPK6__halfPSL_PKlPlN2at6native12_GLOBAL__N_18offset_tEEE10hipError_tPvRmT1_PNSt15iterator_traitsISZ_E10value_typeET2_T3_PNS10_IS15_E10value_typeET4_jRbjT5_S1B_jjP12ihipStream_tbEUljE_EEESW_SX_SY_S15_S19_S1B_T6_T7_T9_mT8_S1D_bDpT10_ENKUlT_T0_E_clISt17integral_constantIbLb1EES1P_IbLb0EEEEDaS1L_S1M_EUlS1L_E_NS1_11comp_targetILNS1_3genE4ELNS1_11target_archE910ELNS1_3gpuE8ELNS1_3repE0EEENS1_30default_config_static_selectorELNS0_4arch9wavefront6targetE1EEEvSZ_.private_seg_size, 0
	.set _ZN7rocprim17ROCPRIM_400000_NS6detail17trampoline_kernelINS0_13select_configILj256ELj13ELNS0_17block_load_methodE3ELS4_3ELS4_3ELNS0_20block_scan_algorithmE0ELj4294967295EEENS1_25partition_config_selectorILNS1_17partition_subalgoE3EjNS0_10empty_typeEbEEZZNS1_14partition_implILS8_3ELb0ES6_jNS0_17counting_iteratorIjlEEPS9_SE_NS0_5tupleIJPjSE_EEENSF_IJSE_SE_EEES9_SG_JZNS1_25segmented_radix_sort_implINS0_14default_configELb1EPK6__halfPSL_PKlPlN2at6native12_GLOBAL__N_18offset_tEEE10hipError_tPvRmT1_PNSt15iterator_traitsISZ_E10value_typeET2_T3_PNS10_IS15_E10value_typeET4_jRbjT5_S1B_jjP12ihipStream_tbEUljE_EEESW_SX_SY_S15_S19_S1B_T6_T7_T9_mT8_S1D_bDpT10_ENKUlT_T0_E_clISt17integral_constantIbLb1EES1P_IbLb0EEEEDaS1L_S1M_EUlS1L_E_NS1_11comp_targetILNS1_3genE4ELNS1_11target_archE910ELNS1_3gpuE8ELNS1_3repE0EEENS1_30default_config_static_selectorELNS0_4arch9wavefront6targetE1EEEvSZ_.uses_vcc, 0
	.set _ZN7rocprim17ROCPRIM_400000_NS6detail17trampoline_kernelINS0_13select_configILj256ELj13ELNS0_17block_load_methodE3ELS4_3ELS4_3ELNS0_20block_scan_algorithmE0ELj4294967295EEENS1_25partition_config_selectorILNS1_17partition_subalgoE3EjNS0_10empty_typeEbEEZZNS1_14partition_implILS8_3ELb0ES6_jNS0_17counting_iteratorIjlEEPS9_SE_NS0_5tupleIJPjSE_EEENSF_IJSE_SE_EEES9_SG_JZNS1_25segmented_radix_sort_implINS0_14default_configELb1EPK6__halfPSL_PKlPlN2at6native12_GLOBAL__N_18offset_tEEE10hipError_tPvRmT1_PNSt15iterator_traitsISZ_E10value_typeET2_T3_PNS10_IS15_E10value_typeET4_jRbjT5_S1B_jjP12ihipStream_tbEUljE_EEESW_SX_SY_S15_S19_S1B_T6_T7_T9_mT8_S1D_bDpT10_ENKUlT_T0_E_clISt17integral_constantIbLb1EES1P_IbLb0EEEEDaS1L_S1M_EUlS1L_E_NS1_11comp_targetILNS1_3genE4ELNS1_11target_archE910ELNS1_3gpuE8ELNS1_3repE0EEENS1_30default_config_static_selectorELNS0_4arch9wavefront6targetE1EEEvSZ_.uses_flat_scratch, 0
	.set _ZN7rocprim17ROCPRIM_400000_NS6detail17trampoline_kernelINS0_13select_configILj256ELj13ELNS0_17block_load_methodE3ELS4_3ELS4_3ELNS0_20block_scan_algorithmE0ELj4294967295EEENS1_25partition_config_selectorILNS1_17partition_subalgoE3EjNS0_10empty_typeEbEEZZNS1_14partition_implILS8_3ELb0ES6_jNS0_17counting_iteratorIjlEEPS9_SE_NS0_5tupleIJPjSE_EEENSF_IJSE_SE_EEES9_SG_JZNS1_25segmented_radix_sort_implINS0_14default_configELb1EPK6__halfPSL_PKlPlN2at6native12_GLOBAL__N_18offset_tEEE10hipError_tPvRmT1_PNSt15iterator_traitsISZ_E10value_typeET2_T3_PNS10_IS15_E10value_typeET4_jRbjT5_S1B_jjP12ihipStream_tbEUljE_EEESW_SX_SY_S15_S19_S1B_T6_T7_T9_mT8_S1D_bDpT10_ENKUlT_T0_E_clISt17integral_constantIbLb1EES1P_IbLb0EEEEDaS1L_S1M_EUlS1L_E_NS1_11comp_targetILNS1_3genE4ELNS1_11target_archE910ELNS1_3gpuE8ELNS1_3repE0EEENS1_30default_config_static_selectorELNS0_4arch9wavefront6targetE1EEEvSZ_.has_dyn_sized_stack, 0
	.set _ZN7rocprim17ROCPRIM_400000_NS6detail17trampoline_kernelINS0_13select_configILj256ELj13ELNS0_17block_load_methodE3ELS4_3ELS4_3ELNS0_20block_scan_algorithmE0ELj4294967295EEENS1_25partition_config_selectorILNS1_17partition_subalgoE3EjNS0_10empty_typeEbEEZZNS1_14partition_implILS8_3ELb0ES6_jNS0_17counting_iteratorIjlEEPS9_SE_NS0_5tupleIJPjSE_EEENSF_IJSE_SE_EEES9_SG_JZNS1_25segmented_radix_sort_implINS0_14default_configELb1EPK6__halfPSL_PKlPlN2at6native12_GLOBAL__N_18offset_tEEE10hipError_tPvRmT1_PNSt15iterator_traitsISZ_E10value_typeET2_T3_PNS10_IS15_E10value_typeET4_jRbjT5_S1B_jjP12ihipStream_tbEUljE_EEESW_SX_SY_S15_S19_S1B_T6_T7_T9_mT8_S1D_bDpT10_ENKUlT_T0_E_clISt17integral_constantIbLb1EES1P_IbLb0EEEEDaS1L_S1M_EUlS1L_E_NS1_11comp_targetILNS1_3genE4ELNS1_11target_archE910ELNS1_3gpuE8ELNS1_3repE0EEENS1_30default_config_static_selectorELNS0_4arch9wavefront6targetE1EEEvSZ_.has_recursion, 0
	.set _ZN7rocprim17ROCPRIM_400000_NS6detail17trampoline_kernelINS0_13select_configILj256ELj13ELNS0_17block_load_methodE3ELS4_3ELS4_3ELNS0_20block_scan_algorithmE0ELj4294967295EEENS1_25partition_config_selectorILNS1_17partition_subalgoE3EjNS0_10empty_typeEbEEZZNS1_14partition_implILS8_3ELb0ES6_jNS0_17counting_iteratorIjlEEPS9_SE_NS0_5tupleIJPjSE_EEENSF_IJSE_SE_EEES9_SG_JZNS1_25segmented_radix_sort_implINS0_14default_configELb1EPK6__halfPSL_PKlPlN2at6native12_GLOBAL__N_18offset_tEEE10hipError_tPvRmT1_PNSt15iterator_traitsISZ_E10value_typeET2_T3_PNS10_IS15_E10value_typeET4_jRbjT5_S1B_jjP12ihipStream_tbEUljE_EEESW_SX_SY_S15_S19_S1B_T6_T7_T9_mT8_S1D_bDpT10_ENKUlT_T0_E_clISt17integral_constantIbLb1EES1P_IbLb0EEEEDaS1L_S1M_EUlS1L_E_NS1_11comp_targetILNS1_3genE4ELNS1_11target_archE910ELNS1_3gpuE8ELNS1_3repE0EEENS1_30default_config_static_selectorELNS0_4arch9wavefront6targetE1EEEvSZ_.has_indirect_call, 0
	.section	.AMDGPU.csdata,"",@progbits
; Kernel info:
; codeLenInByte = 0
; TotalNumSgprs: 4
; NumVgprs: 0
; ScratchSize: 0
; MemoryBound: 0
; FloatMode: 240
; IeeeMode: 1
; LDSByteSize: 0 bytes/workgroup (compile time only)
; SGPRBlocks: 0
; VGPRBlocks: 0
; NumSGPRsForWavesPerEU: 4
; NumVGPRsForWavesPerEU: 1
; Occupancy: 10
; WaveLimiterHint : 0
; COMPUTE_PGM_RSRC2:SCRATCH_EN: 0
; COMPUTE_PGM_RSRC2:USER_SGPR: 6
; COMPUTE_PGM_RSRC2:TRAP_HANDLER: 0
; COMPUTE_PGM_RSRC2:TGID_X_EN: 1
; COMPUTE_PGM_RSRC2:TGID_Y_EN: 0
; COMPUTE_PGM_RSRC2:TGID_Z_EN: 0
; COMPUTE_PGM_RSRC2:TIDIG_COMP_CNT: 0
	.section	.text._ZN7rocprim17ROCPRIM_400000_NS6detail17trampoline_kernelINS0_13select_configILj256ELj13ELNS0_17block_load_methodE3ELS4_3ELS4_3ELNS0_20block_scan_algorithmE0ELj4294967295EEENS1_25partition_config_selectorILNS1_17partition_subalgoE3EjNS0_10empty_typeEbEEZZNS1_14partition_implILS8_3ELb0ES6_jNS0_17counting_iteratorIjlEEPS9_SE_NS0_5tupleIJPjSE_EEENSF_IJSE_SE_EEES9_SG_JZNS1_25segmented_radix_sort_implINS0_14default_configELb1EPK6__halfPSL_PKlPlN2at6native12_GLOBAL__N_18offset_tEEE10hipError_tPvRmT1_PNSt15iterator_traitsISZ_E10value_typeET2_T3_PNS10_IS15_E10value_typeET4_jRbjT5_S1B_jjP12ihipStream_tbEUljE_EEESW_SX_SY_S15_S19_S1B_T6_T7_T9_mT8_S1D_bDpT10_ENKUlT_T0_E_clISt17integral_constantIbLb1EES1P_IbLb0EEEEDaS1L_S1M_EUlS1L_E_NS1_11comp_targetILNS1_3genE3ELNS1_11target_archE908ELNS1_3gpuE7ELNS1_3repE0EEENS1_30default_config_static_selectorELNS0_4arch9wavefront6targetE1EEEvSZ_,"axG",@progbits,_ZN7rocprim17ROCPRIM_400000_NS6detail17trampoline_kernelINS0_13select_configILj256ELj13ELNS0_17block_load_methodE3ELS4_3ELS4_3ELNS0_20block_scan_algorithmE0ELj4294967295EEENS1_25partition_config_selectorILNS1_17partition_subalgoE3EjNS0_10empty_typeEbEEZZNS1_14partition_implILS8_3ELb0ES6_jNS0_17counting_iteratorIjlEEPS9_SE_NS0_5tupleIJPjSE_EEENSF_IJSE_SE_EEES9_SG_JZNS1_25segmented_radix_sort_implINS0_14default_configELb1EPK6__halfPSL_PKlPlN2at6native12_GLOBAL__N_18offset_tEEE10hipError_tPvRmT1_PNSt15iterator_traitsISZ_E10value_typeET2_T3_PNS10_IS15_E10value_typeET4_jRbjT5_S1B_jjP12ihipStream_tbEUljE_EEESW_SX_SY_S15_S19_S1B_T6_T7_T9_mT8_S1D_bDpT10_ENKUlT_T0_E_clISt17integral_constantIbLb1EES1P_IbLb0EEEEDaS1L_S1M_EUlS1L_E_NS1_11comp_targetILNS1_3genE3ELNS1_11target_archE908ELNS1_3gpuE7ELNS1_3repE0EEENS1_30default_config_static_selectorELNS0_4arch9wavefront6targetE1EEEvSZ_,comdat
	.globl	_ZN7rocprim17ROCPRIM_400000_NS6detail17trampoline_kernelINS0_13select_configILj256ELj13ELNS0_17block_load_methodE3ELS4_3ELS4_3ELNS0_20block_scan_algorithmE0ELj4294967295EEENS1_25partition_config_selectorILNS1_17partition_subalgoE3EjNS0_10empty_typeEbEEZZNS1_14partition_implILS8_3ELb0ES6_jNS0_17counting_iteratorIjlEEPS9_SE_NS0_5tupleIJPjSE_EEENSF_IJSE_SE_EEES9_SG_JZNS1_25segmented_radix_sort_implINS0_14default_configELb1EPK6__halfPSL_PKlPlN2at6native12_GLOBAL__N_18offset_tEEE10hipError_tPvRmT1_PNSt15iterator_traitsISZ_E10value_typeET2_T3_PNS10_IS15_E10value_typeET4_jRbjT5_S1B_jjP12ihipStream_tbEUljE_EEESW_SX_SY_S15_S19_S1B_T6_T7_T9_mT8_S1D_bDpT10_ENKUlT_T0_E_clISt17integral_constantIbLb1EES1P_IbLb0EEEEDaS1L_S1M_EUlS1L_E_NS1_11comp_targetILNS1_3genE3ELNS1_11target_archE908ELNS1_3gpuE7ELNS1_3repE0EEENS1_30default_config_static_selectorELNS0_4arch9wavefront6targetE1EEEvSZ_ ; -- Begin function _ZN7rocprim17ROCPRIM_400000_NS6detail17trampoline_kernelINS0_13select_configILj256ELj13ELNS0_17block_load_methodE3ELS4_3ELS4_3ELNS0_20block_scan_algorithmE0ELj4294967295EEENS1_25partition_config_selectorILNS1_17partition_subalgoE3EjNS0_10empty_typeEbEEZZNS1_14partition_implILS8_3ELb0ES6_jNS0_17counting_iteratorIjlEEPS9_SE_NS0_5tupleIJPjSE_EEENSF_IJSE_SE_EEES9_SG_JZNS1_25segmented_radix_sort_implINS0_14default_configELb1EPK6__halfPSL_PKlPlN2at6native12_GLOBAL__N_18offset_tEEE10hipError_tPvRmT1_PNSt15iterator_traitsISZ_E10value_typeET2_T3_PNS10_IS15_E10value_typeET4_jRbjT5_S1B_jjP12ihipStream_tbEUljE_EEESW_SX_SY_S15_S19_S1B_T6_T7_T9_mT8_S1D_bDpT10_ENKUlT_T0_E_clISt17integral_constantIbLb1EES1P_IbLb0EEEEDaS1L_S1M_EUlS1L_E_NS1_11comp_targetILNS1_3genE3ELNS1_11target_archE908ELNS1_3gpuE7ELNS1_3repE0EEENS1_30default_config_static_selectorELNS0_4arch9wavefront6targetE1EEEvSZ_
	.p2align	8
	.type	_ZN7rocprim17ROCPRIM_400000_NS6detail17trampoline_kernelINS0_13select_configILj256ELj13ELNS0_17block_load_methodE3ELS4_3ELS4_3ELNS0_20block_scan_algorithmE0ELj4294967295EEENS1_25partition_config_selectorILNS1_17partition_subalgoE3EjNS0_10empty_typeEbEEZZNS1_14partition_implILS8_3ELb0ES6_jNS0_17counting_iteratorIjlEEPS9_SE_NS0_5tupleIJPjSE_EEENSF_IJSE_SE_EEES9_SG_JZNS1_25segmented_radix_sort_implINS0_14default_configELb1EPK6__halfPSL_PKlPlN2at6native12_GLOBAL__N_18offset_tEEE10hipError_tPvRmT1_PNSt15iterator_traitsISZ_E10value_typeET2_T3_PNS10_IS15_E10value_typeET4_jRbjT5_S1B_jjP12ihipStream_tbEUljE_EEESW_SX_SY_S15_S19_S1B_T6_T7_T9_mT8_S1D_bDpT10_ENKUlT_T0_E_clISt17integral_constantIbLb1EES1P_IbLb0EEEEDaS1L_S1M_EUlS1L_E_NS1_11comp_targetILNS1_3genE3ELNS1_11target_archE908ELNS1_3gpuE7ELNS1_3repE0EEENS1_30default_config_static_selectorELNS0_4arch9wavefront6targetE1EEEvSZ_,@function
_ZN7rocprim17ROCPRIM_400000_NS6detail17trampoline_kernelINS0_13select_configILj256ELj13ELNS0_17block_load_methodE3ELS4_3ELS4_3ELNS0_20block_scan_algorithmE0ELj4294967295EEENS1_25partition_config_selectorILNS1_17partition_subalgoE3EjNS0_10empty_typeEbEEZZNS1_14partition_implILS8_3ELb0ES6_jNS0_17counting_iteratorIjlEEPS9_SE_NS0_5tupleIJPjSE_EEENSF_IJSE_SE_EEES9_SG_JZNS1_25segmented_radix_sort_implINS0_14default_configELb1EPK6__halfPSL_PKlPlN2at6native12_GLOBAL__N_18offset_tEEE10hipError_tPvRmT1_PNSt15iterator_traitsISZ_E10value_typeET2_T3_PNS10_IS15_E10value_typeET4_jRbjT5_S1B_jjP12ihipStream_tbEUljE_EEESW_SX_SY_S15_S19_S1B_T6_T7_T9_mT8_S1D_bDpT10_ENKUlT_T0_E_clISt17integral_constantIbLb1EES1P_IbLb0EEEEDaS1L_S1M_EUlS1L_E_NS1_11comp_targetILNS1_3genE3ELNS1_11target_archE908ELNS1_3gpuE7ELNS1_3repE0EEENS1_30default_config_static_selectorELNS0_4arch9wavefront6targetE1EEEvSZ_: ; @_ZN7rocprim17ROCPRIM_400000_NS6detail17trampoline_kernelINS0_13select_configILj256ELj13ELNS0_17block_load_methodE3ELS4_3ELS4_3ELNS0_20block_scan_algorithmE0ELj4294967295EEENS1_25partition_config_selectorILNS1_17partition_subalgoE3EjNS0_10empty_typeEbEEZZNS1_14partition_implILS8_3ELb0ES6_jNS0_17counting_iteratorIjlEEPS9_SE_NS0_5tupleIJPjSE_EEENSF_IJSE_SE_EEES9_SG_JZNS1_25segmented_radix_sort_implINS0_14default_configELb1EPK6__halfPSL_PKlPlN2at6native12_GLOBAL__N_18offset_tEEE10hipError_tPvRmT1_PNSt15iterator_traitsISZ_E10value_typeET2_T3_PNS10_IS15_E10value_typeET4_jRbjT5_S1B_jjP12ihipStream_tbEUljE_EEESW_SX_SY_S15_S19_S1B_T6_T7_T9_mT8_S1D_bDpT10_ENKUlT_T0_E_clISt17integral_constantIbLb1EES1P_IbLb0EEEEDaS1L_S1M_EUlS1L_E_NS1_11comp_targetILNS1_3genE3ELNS1_11target_archE908ELNS1_3gpuE7ELNS1_3repE0EEENS1_30default_config_static_selectorELNS0_4arch9wavefront6targetE1EEEvSZ_
; %bb.0:
	.section	.rodata,"a",@progbits
	.p2align	6, 0x0
	.amdhsa_kernel _ZN7rocprim17ROCPRIM_400000_NS6detail17trampoline_kernelINS0_13select_configILj256ELj13ELNS0_17block_load_methodE3ELS4_3ELS4_3ELNS0_20block_scan_algorithmE0ELj4294967295EEENS1_25partition_config_selectorILNS1_17partition_subalgoE3EjNS0_10empty_typeEbEEZZNS1_14partition_implILS8_3ELb0ES6_jNS0_17counting_iteratorIjlEEPS9_SE_NS0_5tupleIJPjSE_EEENSF_IJSE_SE_EEES9_SG_JZNS1_25segmented_radix_sort_implINS0_14default_configELb1EPK6__halfPSL_PKlPlN2at6native12_GLOBAL__N_18offset_tEEE10hipError_tPvRmT1_PNSt15iterator_traitsISZ_E10value_typeET2_T3_PNS10_IS15_E10value_typeET4_jRbjT5_S1B_jjP12ihipStream_tbEUljE_EEESW_SX_SY_S15_S19_S1B_T6_T7_T9_mT8_S1D_bDpT10_ENKUlT_T0_E_clISt17integral_constantIbLb1EES1P_IbLb0EEEEDaS1L_S1M_EUlS1L_E_NS1_11comp_targetILNS1_3genE3ELNS1_11target_archE908ELNS1_3gpuE7ELNS1_3repE0EEENS1_30default_config_static_selectorELNS0_4arch9wavefront6targetE1EEEvSZ_
		.amdhsa_group_segment_fixed_size 0
		.amdhsa_private_segment_fixed_size 0
		.amdhsa_kernarg_size 144
		.amdhsa_user_sgpr_count 6
		.amdhsa_user_sgpr_private_segment_buffer 1
		.amdhsa_user_sgpr_dispatch_ptr 0
		.amdhsa_user_sgpr_queue_ptr 0
		.amdhsa_user_sgpr_kernarg_segment_ptr 1
		.amdhsa_user_sgpr_dispatch_id 0
		.amdhsa_user_sgpr_flat_scratch_init 0
		.amdhsa_user_sgpr_private_segment_size 0
		.amdhsa_uses_dynamic_stack 0
		.amdhsa_system_sgpr_private_segment_wavefront_offset 0
		.amdhsa_system_sgpr_workgroup_id_x 1
		.amdhsa_system_sgpr_workgroup_id_y 0
		.amdhsa_system_sgpr_workgroup_id_z 0
		.amdhsa_system_sgpr_workgroup_info 0
		.amdhsa_system_vgpr_workitem_id 0
		.amdhsa_next_free_vgpr 1
		.amdhsa_next_free_sgpr 0
		.amdhsa_reserve_vcc 0
		.amdhsa_reserve_flat_scratch 0
		.amdhsa_float_round_mode_32 0
		.amdhsa_float_round_mode_16_64 0
		.amdhsa_float_denorm_mode_32 3
		.amdhsa_float_denorm_mode_16_64 3
		.amdhsa_dx10_clamp 1
		.amdhsa_ieee_mode 1
		.amdhsa_fp16_overflow 0
		.amdhsa_exception_fp_ieee_invalid_op 0
		.amdhsa_exception_fp_denorm_src 0
		.amdhsa_exception_fp_ieee_div_zero 0
		.amdhsa_exception_fp_ieee_overflow 0
		.amdhsa_exception_fp_ieee_underflow 0
		.amdhsa_exception_fp_ieee_inexact 0
		.amdhsa_exception_int_div_zero 0
	.end_amdhsa_kernel
	.section	.text._ZN7rocprim17ROCPRIM_400000_NS6detail17trampoline_kernelINS0_13select_configILj256ELj13ELNS0_17block_load_methodE3ELS4_3ELS4_3ELNS0_20block_scan_algorithmE0ELj4294967295EEENS1_25partition_config_selectorILNS1_17partition_subalgoE3EjNS0_10empty_typeEbEEZZNS1_14partition_implILS8_3ELb0ES6_jNS0_17counting_iteratorIjlEEPS9_SE_NS0_5tupleIJPjSE_EEENSF_IJSE_SE_EEES9_SG_JZNS1_25segmented_radix_sort_implINS0_14default_configELb1EPK6__halfPSL_PKlPlN2at6native12_GLOBAL__N_18offset_tEEE10hipError_tPvRmT1_PNSt15iterator_traitsISZ_E10value_typeET2_T3_PNS10_IS15_E10value_typeET4_jRbjT5_S1B_jjP12ihipStream_tbEUljE_EEESW_SX_SY_S15_S19_S1B_T6_T7_T9_mT8_S1D_bDpT10_ENKUlT_T0_E_clISt17integral_constantIbLb1EES1P_IbLb0EEEEDaS1L_S1M_EUlS1L_E_NS1_11comp_targetILNS1_3genE3ELNS1_11target_archE908ELNS1_3gpuE7ELNS1_3repE0EEENS1_30default_config_static_selectorELNS0_4arch9wavefront6targetE1EEEvSZ_,"axG",@progbits,_ZN7rocprim17ROCPRIM_400000_NS6detail17trampoline_kernelINS0_13select_configILj256ELj13ELNS0_17block_load_methodE3ELS4_3ELS4_3ELNS0_20block_scan_algorithmE0ELj4294967295EEENS1_25partition_config_selectorILNS1_17partition_subalgoE3EjNS0_10empty_typeEbEEZZNS1_14partition_implILS8_3ELb0ES6_jNS0_17counting_iteratorIjlEEPS9_SE_NS0_5tupleIJPjSE_EEENSF_IJSE_SE_EEES9_SG_JZNS1_25segmented_radix_sort_implINS0_14default_configELb1EPK6__halfPSL_PKlPlN2at6native12_GLOBAL__N_18offset_tEEE10hipError_tPvRmT1_PNSt15iterator_traitsISZ_E10value_typeET2_T3_PNS10_IS15_E10value_typeET4_jRbjT5_S1B_jjP12ihipStream_tbEUljE_EEESW_SX_SY_S15_S19_S1B_T6_T7_T9_mT8_S1D_bDpT10_ENKUlT_T0_E_clISt17integral_constantIbLb1EES1P_IbLb0EEEEDaS1L_S1M_EUlS1L_E_NS1_11comp_targetILNS1_3genE3ELNS1_11target_archE908ELNS1_3gpuE7ELNS1_3repE0EEENS1_30default_config_static_selectorELNS0_4arch9wavefront6targetE1EEEvSZ_,comdat
.Lfunc_end1726:
	.size	_ZN7rocprim17ROCPRIM_400000_NS6detail17trampoline_kernelINS0_13select_configILj256ELj13ELNS0_17block_load_methodE3ELS4_3ELS4_3ELNS0_20block_scan_algorithmE0ELj4294967295EEENS1_25partition_config_selectorILNS1_17partition_subalgoE3EjNS0_10empty_typeEbEEZZNS1_14partition_implILS8_3ELb0ES6_jNS0_17counting_iteratorIjlEEPS9_SE_NS0_5tupleIJPjSE_EEENSF_IJSE_SE_EEES9_SG_JZNS1_25segmented_radix_sort_implINS0_14default_configELb1EPK6__halfPSL_PKlPlN2at6native12_GLOBAL__N_18offset_tEEE10hipError_tPvRmT1_PNSt15iterator_traitsISZ_E10value_typeET2_T3_PNS10_IS15_E10value_typeET4_jRbjT5_S1B_jjP12ihipStream_tbEUljE_EEESW_SX_SY_S15_S19_S1B_T6_T7_T9_mT8_S1D_bDpT10_ENKUlT_T0_E_clISt17integral_constantIbLb1EES1P_IbLb0EEEEDaS1L_S1M_EUlS1L_E_NS1_11comp_targetILNS1_3genE3ELNS1_11target_archE908ELNS1_3gpuE7ELNS1_3repE0EEENS1_30default_config_static_selectorELNS0_4arch9wavefront6targetE1EEEvSZ_, .Lfunc_end1726-_ZN7rocprim17ROCPRIM_400000_NS6detail17trampoline_kernelINS0_13select_configILj256ELj13ELNS0_17block_load_methodE3ELS4_3ELS4_3ELNS0_20block_scan_algorithmE0ELj4294967295EEENS1_25partition_config_selectorILNS1_17partition_subalgoE3EjNS0_10empty_typeEbEEZZNS1_14partition_implILS8_3ELb0ES6_jNS0_17counting_iteratorIjlEEPS9_SE_NS0_5tupleIJPjSE_EEENSF_IJSE_SE_EEES9_SG_JZNS1_25segmented_radix_sort_implINS0_14default_configELb1EPK6__halfPSL_PKlPlN2at6native12_GLOBAL__N_18offset_tEEE10hipError_tPvRmT1_PNSt15iterator_traitsISZ_E10value_typeET2_T3_PNS10_IS15_E10value_typeET4_jRbjT5_S1B_jjP12ihipStream_tbEUljE_EEESW_SX_SY_S15_S19_S1B_T6_T7_T9_mT8_S1D_bDpT10_ENKUlT_T0_E_clISt17integral_constantIbLb1EES1P_IbLb0EEEEDaS1L_S1M_EUlS1L_E_NS1_11comp_targetILNS1_3genE3ELNS1_11target_archE908ELNS1_3gpuE7ELNS1_3repE0EEENS1_30default_config_static_selectorELNS0_4arch9wavefront6targetE1EEEvSZ_
                                        ; -- End function
	.set _ZN7rocprim17ROCPRIM_400000_NS6detail17trampoline_kernelINS0_13select_configILj256ELj13ELNS0_17block_load_methodE3ELS4_3ELS4_3ELNS0_20block_scan_algorithmE0ELj4294967295EEENS1_25partition_config_selectorILNS1_17partition_subalgoE3EjNS0_10empty_typeEbEEZZNS1_14partition_implILS8_3ELb0ES6_jNS0_17counting_iteratorIjlEEPS9_SE_NS0_5tupleIJPjSE_EEENSF_IJSE_SE_EEES9_SG_JZNS1_25segmented_radix_sort_implINS0_14default_configELb1EPK6__halfPSL_PKlPlN2at6native12_GLOBAL__N_18offset_tEEE10hipError_tPvRmT1_PNSt15iterator_traitsISZ_E10value_typeET2_T3_PNS10_IS15_E10value_typeET4_jRbjT5_S1B_jjP12ihipStream_tbEUljE_EEESW_SX_SY_S15_S19_S1B_T6_T7_T9_mT8_S1D_bDpT10_ENKUlT_T0_E_clISt17integral_constantIbLb1EES1P_IbLb0EEEEDaS1L_S1M_EUlS1L_E_NS1_11comp_targetILNS1_3genE3ELNS1_11target_archE908ELNS1_3gpuE7ELNS1_3repE0EEENS1_30default_config_static_selectorELNS0_4arch9wavefront6targetE1EEEvSZ_.num_vgpr, 0
	.set _ZN7rocprim17ROCPRIM_400000_NS6detail17trampoline_kernelINS0_13select_configILj256ELj13ELNS0_17block_load_methodE3ELS4_3ELS4_3ELNS0_20block_scan_algorithmE0ELj4294967295EEENS1_25partition_config_selectorILNS1_17partition_subalgoE3EjNS0_10empty_typeEbEEZZNS1_14partition_implILS8_3ELb0ES6_jNS0_17counting_iteratorIjlEEPS9_SE_NS0_5tupleIJPjSE_EEENSF_IJSE_SE_EEES9_SG_JZNS1_25segmented_radix_sort_implINS0_14default_configELb1EPK6__halfPSL_PKlPlN2at6native12_GLOBAL__N_18offset_tEEE10hipError_tPvRmT1_PNSt15iterator_traitsISZ_E10value_typeET2_T3_PNS10_IS15_E10value_typeET4_jRbjT5_S1B_jjP12ihipStream_tbEUljE_EEESW_SX_SY_S15_S19_S1B_T6_T7_T9_mT8_S1D_bDpT10_ENKUlT_T0_E_clISt17integral_constantIbLb1EES1P_IbLb0EEEEDaS1L_S1M_EUlS1L_E_NS1_11comp_targetILNS1_3genE3ELNS1_11target_archE908ELNS1_3gpuE7ELNS1_3repE0EEENS1_30default_config_static_selectorELNS0_4arch9wavefront6targetE1EEEvSZ_.num_agpr, 0
	.set _ZN7rocprim17ROCPRIM_400000_NS6detail17trampoline_kernelINS0_13select_configILj256ELj13ELNS0_17block_load_methodE3ELS4_3ELS4_3ELNS0_20block_scan_algorithmE0ELj4294967295EEENS1_25partition_config_selectorILNS1_17partition_subalgoE3EjNS0_10empty_typeEbEEZZNS1_14partition_implILS8_3ELb0ES6_jNS0_17counting_iteratorIjlEEPS9_SE_NS0_5tupleIJPjSE_EEENSF_IJSE_SE_EEES9_SG_JZNS1_25segmented_radix_sort_implINS0_14default_configELb1EPK6__halfPSL_PKlPlN2at6native12_GLOBAL__N_18offset_tEEE10hipError_tPvRmT1_PNSt15iterator_traitsISZ_E10value_typeET2_T3_PNS10_IS15_E10value_typeET4_jRbjT5_S1B_jjP12ihipStream_tbEUljE_EEESW_SX_SY_S15_S19_S1B_T6_T7_T9_mT8_S1D_bDpT10_ENKUlT_T0_E_clISt17integral_constantIbLb1EES1P_IbLb0EEEEDaS1L_S1M_EUlS1L_E_NS1_11comp_targetILNS1_3genE3ELNS1_11target_archE908ELNS1_3gpuE7ELNS1_3repE0EEENS1_30default_config_static_selectorELNS0_4arch9wavefront6targetE1EEEvSZ_.numbered_sgpr, 0
	.set _ZN7rocprim17ROCPRIM_400000_NS6detail17trampoline_kernelINS0_13select_configILj256ELj13ELNS0_17block_load_methodE3ELS4_3ELS4_3ELNS0_20block_scan_algorithmE0ELj4294967295EEENS1_25partition_config_selectorILNS1_17partition_subalgoE3EjNS0_10empty_typeEbEEZZNS1_14partition_implILS8_3ELb0ES6_jNS0_17counting_iteratorIjlEEPS9_SE_NS0_5tupleIJPjSE_EEENSF_IJSE_SE_EEES9_SG_JZNS1_25segmented_radix_sort_implINS0_14default_configELb1EPK6__halfPSL_PKlPlN2at6native12_GLOBAL__N_18offset_tEEE10hipError_tPvRmT1_PNSt15iterator_traitsISZ_E10value_typeET2_T3_PNS10_IS15_E10value_typeET4_jRbjT5_S1B_jjP12ihipStream_tbEUljE_EEESW_SX_SY_S15_S19_S1B_T6_T7_T9_mT8_S1D_bDpT10_ENKUlT_T0_E_clISt17integral_constantIbLb1EES1P_IbLb0EEEEDaS1L_S1M_EUlS1L_E_NS1_11comp_targetILNS1_3genE3ELNS1_11target_archE908ELNS1_3gpuE7ELNS1_3repE0EEENS1_30default_config_static_selectorELNS0_4arch9wavefront6targetE1EEEvSZ_.num_named_barrier, 0
	.set _ZN7rocprim17ROCPRIM_400000_NS6detail17trampoline_kernelINS0_13select_configILj256ELj13ELNS0_17block_load_methodE3ELS4_3ELS4_3ELNS0_20block_scan_algorithmE0ELj4294967295EEENS1_25partition_config_selectorILNS1_17partition_subalgoE3EjNS0_10empty_typeEbEEZZNS1_14partition_implILS8_3ELb0ES6_jNS0_17counting_iteratorIjlEEPS9_SE_NS0_5tupleIJPjSE_EEENSF_IJSE_SE_EEES9_SG_JZNS1_25segmented_radix_sort_implINS0_14default_configELb1EPK6__halfPSL_PKlPlN2at6native12_GLOBAL__N_18offset_tEEE10hipError_tPvRmT1_PNSt15iterator_traitsISZ_E10value_typeET2_T3_PNS10_IS15_E10value_typeET4_jRbjT5_S1B_jjP12ihipStream_tbEUljE_EEESW_SX_SY_S15_S19_S1B_T6_T7_T9_mT8_S1D_bDpT10_ENKUlT_T0_E_clISt17integral_constantIbLb1EES1P_IbLb0EEEEDaS1L_S1M_EUlS1L_E_NS1_11comp_targetILNS1_3genE3ELNS1_11target_archE908ELNS1_3gpuE7ELNS1_3repE0EEENS1_30default_config_static_selectorELNS0_4arch9wavefront6targetE1EEEvSZ_.private_seg_size, 0
	.set _ZN7rocprim17ROCPRIM_400000_NS6detail17trampoline_kernelINS0_13select_configILj256ELj13ELNS0_17block_load_methodE3ELS4_3ELS4_3ELNS0_20block_scan_algorithmE0ELj4294967295EEENS1_25partition_config_selectorILNS1_17partition_subalgoE3EjNS0_10empty_typeEbEEZZNS1_14partition_implILS8_3ELb0ES6_jNS0_17counting_iteratorIjlEEPS9_SE_NS0_5tupleIJPjSE_EEENSF_IJSE_SE_EEES9_SG_JZNS1_25segmented_radix_sort_implINS0_14default_configELb1EPK6__halfPSL_PKlPlN2at6native12_GLOBAL__N_18offset_tEEE10hipError_tPvRmT1_PNSt15iterator_traitsISZ_E10value_typeET2_T3_PNS10_IS15_E10value_typeET4_jRbjT5_S1B_jjP12ihipStream_tbEUljE_EEESW_SX_SY_S15_S19_S1B_T6_T7_T9_mT8_S1D_bDpT10_ENKUlT_T0_E_clISt17integral_constantIbLb1EES1P_IbLb0EEEEDaS1L_S1M_EUlS1L_E_NS1_11comp_targetILNS1_3genE3ELNS1_11target_archE908ELNS1_3gpuE7ELNS1_3repE0EEENS1_30default_config_static_selectorELNS0_4arch9wavefront6targetE1EEEvSZ_.uses_vcc, 0
	.set _ZN7rocprim17ROCPRIM_400000_NS6detail17trampoline_kernelINS0_13select_configILj256ELj13ELNS0_17block_load_methodE3ELS4_3ELS4_3ELNS0_20block_scan_algorithmE0ELj4294967295EEENS1_25partition_config_selectorILNS1_17partition_subalgoE3EjNS0_10empty_typeEbEEZZNS1_14partition_implILS8_3ELb0ES6_jNS0_17counting_iteratorIjlEEPS9_SE_NS0_5tupleIJPjSE_EEENSF_IJSE_SE_EEES9_SG_JZNS1_25segmented_radix_sort_implINS0_14default_configELb1EPK6__halfPSL_PKlPlN2at6native12_GLOBAL__N_18offset_tEEE10hipError_tPvRmT1_PNSt15iterator_traitsISZ_E10value_typeET2_T3_PNS10_IS15_E10value_typeET4_jRbjT5_S1B_jjP12ihipStream_tbEUljE_EEESW_SX_SY_S15_S19_S1B_T6_T7_T9_mT8_S1D_bDpT10_ENKUlT_T0_E_clISt17integral_constantIbLb1EES1P_IbLb0EEEEDaS1L_S1M_EUlS1L_E_NS1_11comp_targetILNS1_3genE3ELNS1_11target_archE908ELNS1_3gpuE7ELNS1_3repE0EEENS1_30default_config_static_selectorELNS0_4arch9wavefront6targetE1EEEvSZ_.uses_flat_scratch, 0
	.set _ZN7rocprim17ROCPRIM_400000_NS6detail17trampoline_kernelINS0_13select_configILj256ELj13ELNS0_17block_load_methodE3ELS4_3ELS4_3ELNS0_20block_scan_algorithmE0ELj4294967295EEENS1_25partition_config_selectorILNS1_17partition_subalgoE3EjNS0_10empty_typeEbEEZZNS1_14partition_implILS8_3ELb0ES6_jNS0_17counting_iteratorIjlEEPS9_SE_NS0_5tupleIJPjSE_EEENSF_IJSE_SE_EEES9_SG_JZNS1_25segmented_radix_sort_implINS0_14default_configELb1EPK6__halfPSL_PKlPlN2at6native12_GLOBAL__N_18offset_tEEE10hipError_tPvRmT1_PNSt15iterator_traitsISZ_E10value_typeET2_T3_PNS10_IS15_E10value_typeET4_jRbjT5_S1B_jjP12ihipStream_tbEUljE_EEESW_SX_SY_S15_S19_S1B_T6_T7_T9_mT8_S1D_bDpT10_ENKUlT_T0_E_clISt17integral_constantIbLb1EES1P_IbLb0EEEEDaS1L_S1M_EUlS1L_E_NS1_11comp_targetILNS1_3genE3ELNS1_11target_archE908ELNS1_3gpuE7ELNS1_3repE0EEENS1_30default_config_static_selectorELNS0_4arch9wavefront6targetE1EEEvSZ_.has_dyn_sized_stack, 0
	.set _ZN7rocprim17ROCPRIM_400000_NS6detail17trampoline_kernelINS0_13select_configILj256ELj13ELNS0_17block_load_methodE3ELS4_3ELS4_3ELNS0_20block_scan_algorithmE0ELj4294967295EEENS1_25partition_config_selectorILNS1_17partition_subalgoE3EjNS0_10empty_typeEbEEZZNS1_14partition_implILS8_3ELb0ES6_jNS0_17counting_iteratorIjlEEPS9_SE_NS0_5tupleIJPjSE_EEENSF_IJSE_SE_EEES9_SG_JZNS1_25segmented_radix_sort_implINS0_14default_configELb1EPK6__halfPSL_PKlPlN2at6native12_GLOBAL__N_18offset_tEEE10hipError_tPvRmT1_PNSt15iterator_traitsISZ_E10value_typeET2_T3_PNS10_IS15_E10value_typeET4_jRbjT5_S1B_jjP12ihipStream_tbEUljE_EEESW_SX_SY_S15_S19_S1B_T6_T7_T9_mT8_S1D_bDpT10_ENKUlT_T0_E_clISt17integral_constantIbLb1EES1P_IbLb0EEEEDaS1L_S1M_EUlS1L_E_NS1_11comp_targetILNS1_3genE3ELNS1_11target_archE908ELNS1_3gpuE7ELNS1_3repE0EEENS1_30default_config_static_selectorELNS0_4arch9wavefront6targetE1EEEvSZ_.has_recursion, 0
	.set _ZN7rocprim17ROCPRIM_400000_NS6detail17trampoline_kernelINS0_13select_configILj256ELj13ELNS0_17block_load_methodE3ELS4_3ELS4_3ELNS0_20block_scan_algorithmE0ELj4294967295EEENS1_25partition_config_selectorILNS1_17partition_subalgoE3EjNS0_10empty_typeEbEEZZNS1_14partition_implILS8_3ELb0ES6_jNS0_17counting_iteratorIjlEEPS9_SE_NS0_5tupleIJPjSE_EEENSF_IJSE_SE_EEES9_SG_JZNS1_25segmented_radix_sort_implINS0_14default_configELb1EPK6__halfPSL_PKlPlN2at6native12_GLOBAL__N_18offset_tEEE10hipError_tPvRmT1_PNSt15iterator_traitsISZ_E10value_typeET2_T3_PNS10_IS15_E10value_typeET4_jRbjT5_S1B_jjP12ihipStream_tbEUljE_EEESW_SX_SY_S15_S19_S1B_T6_T7_T9_mT8_S1D_bDpT10_ENKUlT_T0_E_clISt17integral_constantIbLb1EES1P_IbLb0EEEEDaS1L_S1M_EUlS1L_E_NS1_11comp_targetILNS1_3genE3ELNS1_11target_archE908ELNS1_3gpuE7ELNS1_3repE0EEENS1_30default_config_static_selectorELNS0_4arch9wavefront6targetE1EEEvSZ_.has_indirect_call, 0
	.section	.AMDGPU.csdata,"",@progbits
; Kernel info:
; codeLenInByte = 0
; TotalNumSgprs: 4
; NumVgprs: 0
; ScratchSize: 0
; MemoryBound: 0
; FloatMode: 240
; IeeeMode: 1
; LDSByteSize: 0 bytes/workgroup (compile time only)
; SGPRBlocks: 0
; VGPRBlocks: 0
; NumSGPRsForWavesPerEU: 4
; NumVGPRsForWavesPerEU: 1
; Occupancy: 10
; WaveLimiterHint : 0
; COMPUTE_PGM_RSRC2:SCRATCH_EN: 0
; COMPUTE_PGM_RSRC2:USER_SGPR: 6
; COMPUTE_PGM_RSRC2:TRAP_HANDLER: 0
; COMPUTE_PGM_RSRC2:TGID_X_EN: 1
; COMPUTE_PGM_RSRC2:TGID_Y_EN: 0
; COMPUTE_PGM_RSRC2:TGID_Z_EN: 0
; COMPUTE_PGM_RSRC2:TIDIG_COMP_CNT: 0
	.section	.text._ZN7rocprim17ROCPRIM_400000_NS6detail17trampoline_kernelINS0_13select_configILj256ELj13ELNS0_17block_load_methodE3ELS4_3ELS4_3ELNS0_20block_scan_algorithmE0ELj4294967295EEENS1_25partition_config_selectorILNS1_17partition_subalgoE3EjNS0_10empty_typeEbEEZZNS1_14partition_implILS8_3ELb0ES6_jNS0_17counting_iteratorIjlEEPS9_SE_NS0_5tupleIJPjSE_EEENSF_IJSE_SE_EEES9_SG_JZNS1_25segmented_radix_sort_implINS0_14default_configELb1EPK6__halfPSL_PKlPlN2at6native12_GLOBAL__N_18offset_tEEE10hipError_tPvRmT1_PNSt15iterator_traitsISZ_E10value_typeET2_T3_PNS10_IS15_E10value_typeET4_jRbjT5_S1B_jjP12ihipStream_tbEUljE_EEESW_SX_SY_S15_S19_S1B_T6_T7_T9_mT8_S1D_bDpT10_ENKUlT_T0_E_clISt17integral_constantIbLb1EES1P_IbLb0EEEEDaS1L_S1M_EUlS1L_E_NS1_11comp_targetILNS1_3genE2ELNS1_11target_archE906ELNS1_3gpuE6ELNS1_3repE0EEENS1_30default_config_static_selectorELNS0_4arch9wavefront6targetE1EEEvSZ_,"axG",@progbits,_ZN7rocprim17ROCPRIM_400000_NS6detail17trampoline_kernelINS0_13select_configILj256ELj13ELNS0_17block_load_methodE3ELS4_3ELS4_3ELNS0_20block_scan_algorithmE0ELj4294967295EEENS1_25partition_config_selectorILNS1_17partition_subalgoE3EjNS0_10empty_typeEbEEZZNS1_14partition_implILS8_3ELb0ES6_jNS0_17counting_iteratorIjlEEPS9_SE_NS0_5tupleIJPjSE_EEENSF_IJSE_SE_EEES9_SG_JZNS1_25segmented_radix_sort_implINS0_14default_configELb1EPK6__halfPSL_PKlPlN2at6native12_GLOBAL__N_18offset_tEEE10hipError_tPvRmT1_PNSt15iterator_traitsISZ_E10value_typeET2_T3_PNS10_IS15_E10value_typeET4_jRbjT5_S1B_jjP12ihipStream_tbEUljE_EEESW_SX_SY_S15_S19_S1B_T6_T7_T9_mT8_S1D_bDpT10_ENKUlT_T0_E_clISt17integral_constantIbLb1EES1P_IbLb0EEEEDaS1L_S1M_EUlS1L_E_NS1_11comp_targetILNS1_3genE2ELNS1_11target_archE906ELNS1_3gpuE6ELNS1_3repE0EEENS1_30default_config_static_selectorELNS0_4arch9wavefront6targetE1EEEvSZ_,comdat
	.globl	_ZN7rocprim17ROCPRIM_400000_NS6detail17trampoline_kernelINS0_13select_configILj256ELj13ELNS0_17block_load_methodE3ELS4_3ELS4_3ELNS0_20block_scan_algorithmE0ELj4294967295EEENS1_25partition_config_selectorILNS1_17partition_subalgoE3EjNS0_10empty_typeEbEEZZNS1_14partition_implILS8_3ELb0ES6_jNS0_17counting_iteratorIjlEEPS9_SE_NS0_5tupleIJPjSE_EEENSF_IJSE_SE_EEES9_SG_JZNS1_25segmented_radix_sort_implINS0_14default_configELb1EPK6__halfPSL_PKlPlN2at6native12_GLOBAL__N_18offset_tEEE10hipError_tPvRmT1_PNSt15iterator_traitsISZ_E10value_typeET2_T3_PNS10_IS15_E10value_typeET4_jRbjT5_S1B_jjP12ihipStream_tbEUljE_EEESW_SX_SY_S15_S19_S1B_T6_T7_T9_mT8_S1D_bDpT10_ENKUlT_T0_E_clISt17integral_constantIbLb1EES1P_IbLb0EEEEDaS1L_S1M_EUlS1L_E_NS1_11comp_targetILNS1_3genE2ELNS1_11target_archE906ELNS1_3gpuE6ELNS1_3repE0EEENS1_30default_config_static_selectorELNS0_4arch9wavefront6targetE1EEEvSZ_ ; -- Begin function _ZN7rocprim17ROCPRIM_400000_NS6detail17trampoline_kernelINS0_13select_configILj256ELj13ELNS0_17block_load_methodE3ELS4_3ELS4_3ELNS0_20block_scan_algorithmE0ELj4294967295EEENS1_25partition_config_selectorILNS1_17partition_subalgoE3EjNS0_10empty_typeEbEEZZNS1_14partition_implILS8_3ELb0ES6_jNS0_17counting_iteratorIjlEEPS9_SE_NS0_5tupleIJPjSE_EEENSF_IJSE_SE_EEES9_SG_JZNS1_25segmented_radix_sort_implINS0_14default_configELb1EPK6__halfPSL_PKlPlN2at6native12_GLOBAL__N_18offset_tEEE10hipError_tPvRmT1_PNSt15iterator_traitsISZ_E10value_typeET2_T3_PNS10_IS15_E10value_typeET4_jRbjT5_S1B_jjP12ihipStream_tbEUljE_EEESW_SX_SY_S15_S19_S1B_T6_T7_T9_mT8_S1D_bDpT10_ENKUlT_T0_E_clISt17integral_constantIbLb1EES1P_IbLb0EEEEDaS1L_S1M_EUlS1L_E_NS1_11comp_targetILNS1_3genE2ELNS1_11target_archE906ELNS1_3gpuE6ELNS1_3repE0EEENS1_30default_config_static_selectorELNS0_4arch9wavefront6targetE1EEEvSZ_
	.p2align	8
	.type	_ZN7rocprim17ROCPRIM_400000_NS6detail17trampoline_kernelINS0_13select_configILj256ELj13ELNS0_17block_load_methodE3ELS4_3ELS4_3ELNS0_20block_scan_algorithmE0ELj4294967295EEENS1_25partition_config_selectorILNS1_17partition_subalgoE3EjNS0_10empty_typeEbEEZZNS1_14partition_implILS8_3ELb0ES6_jNS0_17counting_iteratorIjlEEPS9_SE_NS0_5tupleIJPjSE_EEENSF_IJSE_SE_EEES9_SG_JZNS1_25segmented_radix_sort_implINS0_14default_configELb1EPK6__halfPSL_PKlPlN2at6native12_GLOBAL__N_18offset_tEEE10hipError_tPvRmT1_PNSt15iterator_traitsISZ_E10value_typeET2_T3_PNS10_IS15_E10value_typeET4_jRbjT5_S1B_jjP12ihipStream_tbEUljE_EEESW_SX_SY_S15_S19_S1B_T6_T7_T9_mT8_S1D_bDpT10_ENKUlT_T0_E_clISt17integral_constantIbLb1EES1P_IbLb0EEEEDaS1L_S1M_EUlS1L_E_NS1_11comp_targetILNS1_3genE2ELNS1_11target_archE906ELNS1_3gpuE6ELNS1_3repE0EEENS1_30default_config_static_selectorELNS0_4arch9wavefront6targetE1EEEvSZ_,@function
_ZN7rocprim17ROCPRIM_400000_NS6detail17trampoline_kernelINS0_13select_configILj256ELj13ELNS0_17block_load_methodE3ELS4_3ELS4_3ELNS0_20block_scan_algorithmE0ELj4294967295EEENS1_25partition_config_selectorILNS1_17partition_subalgoE3EjNS0_10empty_typeEbEEZZNS1_14partition_implILS8_3ELb0ES6_jNS0_17counting_iteratorIjlEEPS9_SE_NS0_5tupleIJPjSE_EEENSF_IJSE_SE_EEES9_SG_JZNS1_25segmented_radix_sort_implINS0_14default_configELb1EPK6__halfPSL_PKlPlN2at6native12_GLOBAL__N_18offset_tEEE10hipError_tPvRmT1_PNSt15iterator_traitsISZ_E10value_typeET2_T3_PNS10_IS15_E10value_typeET4_jRbjT5_S1B_jjP12ihipStream_tbEUljE_EEESW_SX_SY_S15_S19_S1B_T6_T7_T9_mT8_S1D_bDpT10_ENKUlT_T0_E_clISt17integral_constantIbLb1EES1P_IbLb0EEEEDaS1L_S1M_EUlS1L_E_NS1_11comp_targetILNS1_3genE2ELNS1_11target_archE906ELNS1_3gpuE6ELNS1_3repE0EEENS1_30default_config_static_selectorELNS0_4arch9wavefront6targetE1EEEvSZ_: ; @_ZN7rocprim17ROCPRIM_400000_NS6detail17trampoline_kernelINS0_13select_configILj256ELj13ELNS0_17block_load_methodE3ELS4_3ELS4_3ELNS0_20block_scan_algorithmE0ELj4294967295EEENS1_25partition_config_selectorILNS1_17partition_subalgoE3EjNS0_10empty_typeEbEEZZNS1_14partition_implILS8_3ELb0ES6_jNS0_17counting_iteratorIjlEEPS9_SE_NS0_5tupleIJPjSE_EEENSF_IJSE_SE_EEES9_SG_JZNS1_25segmented_radix_sort_implINS0_14default_configELb1EPK6__halfPSL_PKlPlN2at6native12_GLOBAL__N_18offset_tEEE10hipError_tPvRmT1_PNSt15iterator_traitsISZ_E10value_typeET2_T3_PNS10_IS15_E10value_typeET4_jRbjT5_S1B_jjP12ihipStream_tbEUljE_EEESW_SX_SY_S15_S19_S1B_T6_T7_T9_mT8_S1D_bDpT10_ENKUlT_T0_E_clISt17integral_constantIbLb1EES1P_IbLb0EEEEDaS1L_S1M_EUlS1L_E_NS1_11comp_targetILNS1_3genE2ELNS1_11target_archE906ELNS1_3gpuE6ELNS1_3repE0EEENS1_30default_config_static_selectorELNS0_4arch9wavefront6targetE1EEEvSZ_
; %bb.0:
	s_endpgm
	.section	.rodata,"a",@progbits
	.p2align	6, 0x0
	.amdhsa_kernel _ZN7rocprim17ROCPRIM_400000_NS6detail17trampoline_kernelINS0_13select_configILj256ELj13ELNS0_17block_load_methodE3ELS4_3ELS4_3ELNS0_20block_scan_algorithmE0ELj4294967295EEENS1_25partition_config_selectorILNS1_17partition_subalgoE3EjNS0_10empty_typeEbEEZZNS1_14partition_implILS8_3ELb0ES6_jNS0_17counting_iteratorIjlEEPS9_SE_NS0_5tupleIJPjSE_EEENSF_IJSE_SE_EEES9_SG_JZNS1_25segmented_radix_sort_implINS0_14default_configELb1EPK6__halfPSL_PKlPlN2at6native12_GLOBAL__N_18offset_tEEE10hipError_tPvRmT1_PNSt15iterator_traitsISZ_E10value_typeET2_T3_PNS10_IS15_E10value_typeET4_jRbjT5_S1B_jjP12ihipStream_tbEUljE_EEESW_SX_SY_S15_S19_S1B_T6_T7_T9_mT8_S1D_bDpT10_ENKUlT_T0_E_clISt17integral_constantIbLb1EES1P_IbLb0EEEEDaS1L_S1M_EUlS1L_E_NS1_11comp_targetILNS1_3genE2ELNS1_11target_archE906ELNS1_3gpuE6ELNS1_3repE0EEENS1_30default_config_static_selectorELNS0_4arch9wavefront6targetE1EEEvSZ_
		.amdhsa_group_segment_fixed_size 0
		.amdhsa_private_segment_fixed_size 0
		.amdhsa_kernarg_size 144
		.amdhsa_user_sgpr_count 6
		.amdhsa_user_sgpr_private_segment_buffer 1
		.amdhsa_user_sgpr_dispatch_ptr 0
		.amdhsa_user_sgpr_queue_ptr 0
		.amdhsa_user_sgpr_kernarg_segment_ptr 1
		.amdhsa_user_sgpr_dispatch_id 0
		.amdhsa_user_sgpr_flat_scratch_init 0
		.amdhsa_user_sgpr_private_segment_size 0
		.amdhsa_uses_dynamic_stack 0
		.amdhsa_system_sgpr_private_segment_wavefront_offset 0
		.amdhsa_system_sgpr_workgroup_id_x 1
		.amdhsa_system_sgpr_workgroup_id_y 0
		.amdhsa_system_sgpr_workgroup_id_z 0
		.amdhsa_system_sgpr_workgroup_info 0
		.amdhsa_system_vgpr_workitem_id 0
		.amdhsa_next_free_vgpr 1
		.amdhsa_next_free_sgpr 0
		.amdhsa_reserve_vcc 0
		.amdhsa_reserve_flat_scratch 0
		.amdhsa_float_round_mode_32 0
		.amdhsa_float_round_mode_16_64 0
		.amdhsa_float_denorm_mode_32 3
		.amdhsa_float_denorm_mode_16_64 3
		.amdhsa_dx10_clamp 1
		.amdhsa_ieee_mode 1
		.amdhsa_fp16_overflow 0
		.amdhsa_exception_fp_ieee_invalid_op 0
		.amdhsa_exception_fp_denorm_src 0
		.amdhsa_exception_fp_ieee_div_zero 0
		.amdhsa_exception_fp_ieee_overflow 0
		.amdhsa_exception_fp_ieee_underflow 0
		.amdhsa_exception_fp_ieee_inexact 0
		.amdhsa_exception_int_div_zero 0
	.end_amdhsa_kernel
	.section	.text._ZN7rocprim17ROCPRIM_400000_NS6detail17trampoline_kernelINS0_13select_configILj256ELj13ELNS0_17block_load_methodE3ELS4_3ELS4_3ELNS0_20block_scan_algorithmE0ELj4294967295EEENS1_25partition_config_selectorILNS1_17partition_subalgoE3EjNS0_10empty_typeEbEEZZNS1_14partition_implILS8_3ELb0ES6_jNS0_17counting_iteratorIjlEEPS9_SE_NS0_5tupleIJPjSE_EEENSF_IJSE_SE_EEES9_SG_JZNS1_25segmented_radix_sort_implINS0_14default_configELb1EPK6__halfPSL_PKlPlN2at6native12_GLOBAL__N_18offset_tEEE10hipError_tPvRmT1_PNSt15iterator_traitsISZ_E10value_typeET2_T3_PNS10_IS15_E10value_typeET4_jRbjT5_S1B_jjP12ihipStream_tbEUljE_EEESW_SX_SY_S15_S19_S1B_T6_T7_T9_mT8_S1D_bDpT10_ENKUlT_T0_E_clISt17integral_constantIbLb1EES1P_IbLb0EEEEDaS1L_S1M_EUlS1L_E_NS1_11comp_targetILNS1_3genE2ELNS1_11target_archE906ELNS1_3gpuE6ELNS1_3repE0EEENS1_30default_config_static_selectorELNS0_4arch9wavefront6targetE1EEEvSZ_,"axG",@progbits,_ZN7rocprim17ROCPRIM_400000_NS6detail17trampoline_kernelINS0_13select_configILj256ELj13ELNS0_17block_load_methodE3ELS4_3ELS4_3ELNS0_20block_scan_algorithmE0ELj4294967295EEENS1_25partition_config_selectorILNS1_17partition_subalgoE3EjNS0_10empty_typeEbEEZZNS1_14partition_implILS8_3ELb0ES6_jNS0_17counting_iteratorIjlEEPS9_SE_NS0_5tupleIJPjSE_EEENSF_IJSE_SE_EEES9_SG_JZNS1_25segmented_radix_sort_implINS0_14default_configELb1EPK6__halfPSL_PKlPlN2at6native12_GLOBAL__N_18offset_tEEE10hipError_tPvRmT1_PNSt15iterator_traitsISZ_E10value_typeET2_T3_PNS10_IS15_E10value_typeET4_jRbjT5_S1B_jjP12ihipStream_tbEUljE_EEESW_SX_SY_S15_S19_S1B_T6_T7_T9_mT8_S1D_bDpT10_ENKUlT_T0_E_clISt17integral_constantIbLb1EES1P_IbLb0EEEEDaS1L_S1M_EUlS1L_E_NS1_11comp_targetILNS1_3genE2ELNS1_11target_archE906ELNS1_3gpuE6ELNS1_3repE0EEENS1_30default_config_static_selectorELNS0_4arch9wavefront6targetE1EEEvSZ_,comdat
.Lfunc_end1727:
	.size	_ZN7rocprim17ROCPRIM_400000_NS6detail17trampoline_kernelINS0_13select_configILj256ELj13ELNS0_17block_load_methodE3ELS4_3ELS4_3ELNS0_20block_scan_algorithmE0ELj4294967295EEENS1_25partition_config_selectorILNS1_17partition_subalgoE3EjNS0_10empty_typeEbEEZZNS1_14partition_implILS8_3ELb0ES6_jNS0_17counting_iteratorIjlEEPS9_SE_NS0_5tupleIJPjSE_EEENSF_IJSE_SE_EEES9_SG_JZNS1_25segmented_radix_sort_implINS0_14default_configELb1EPK6__halfPSL_PKlPlN2at6native12_GLOBAL__N_18offset_tEEE10hipError_tPvRmT1_PNSt15iterator_traitsISZ_E10value_typeET2_T3_PNS10_IS15_E10value_typeET4_jRbjT5_S1B_jjP12ihipStream_tbEUljE_EEESW_SX_SY_S15_S19_S1B_T6_T7_T9_mT8_S1D_bDpT10_ENKUlT_T0_E_clISt17integral_constantIbLb1EES1P_IbLb0EEEEDaS1L_S1M_EUlS1L_E_NS1_11comp_targetILNS1_3genE2ELNS1_11target_archE906ELNS1_3gpuE6ELNS1_3repE0EEENS1_30default_config_static_selectorELNS0_4arch9wavefront6targetE1EEEvSZ_, .Lfunc_end1727-_ZN7rocprim17ROCPRIM_400000_NS6detail17trampoline_kernelINS0_13select_configILj256ELj13ELNS0_17block_load_methodE3ELS4_3ELS4_3ELNS0_20block_scan_algorithmE0ELj4294967295EEENS1_25partition_config_selectorILNS1_17partition_subalgoE3EjNS0_10empty_typeEbEEZZNS1_14partition_implILS8_3ELb0ES6_jNS0_17counting_iteratorIjlEEPS9_SE_NS0_5tupleIJPjSE_EEENSF_IJSE_SE_EEES9_SG_JZNS1_25segmented_radix_sort_implINS0_14default_configELb1EPK6__halfPSL_PKlPlN2at6native12_GLOBAL__N_18offset_tEEE10hipError_tPvRmT1_PNSt15iterator_traitsISZ_E10value_typeET2_T3_PNS10_IS15_E10value_typeET4_jRbjT5_S1B_jjP12ihipStream_tbEUljE_EEESW_SX_SY_S15_S19_S1B_T6_T7_T9_mT8_S1D_bDpT10_ENKUlT_T0_E_clISt17integral_constantIbLb1EES1P_IbLb0EEEEDaS1L_S1M_EUlS1L_E_NS1_11comp_targetILNS1_3genE2ELNS1_11target_archE906ELNS1_3gpuE6ELNS1_3repE0EEENS1_30default_config_static_selectorELNS0_4arch9wavefront6targetE1EEEvSZ_
                                        ; -- End function
	.set _ZN7rocprim17ROCPRIM_400000_NS6detail17trampoline_kernelINS0_13select_configILj256ELj13ELNS0_17block_load_methodE3ELS4_3ELS4_3ELNS0_20block_scan_algorithmE0ELj4294967295EEENS1_25partition_config_selectorILNS1_17partition_subalgoE3EjNS0_10empty_typeEbEEZZNS1_14partition_implILS8_3ELb0ES6_jNS0_17counting_iteratorIjlEEPS9_SE_NS0_5tupleIJPjSE_EEENSF_IJSE_SE_EEES9_SG_JZNS1_25segmented_radix_sort_implINS0_14default_configELb1EPK6__halfPSL_PKlPlN2at6native12_GLOBAL__N_18offset_tEEE10hipError_tPvRmT1_PNSt15iterator_traitsISZ_E10value_typeET2_T3_PNS10_IS15_E10value_typeET4_jRbjT5_S1B_jjP12ihipStream_tbEUljE_EEESW_SX_SY_S15_S19_S1B_T6_T7_T9_mT8_S1D_bDpT10_ENKUlT_T0_E_clISt17integral_constantIbLb1EES1P_IbLb0EEEEDaS1L_S1M_EUlS1L_E_NS1_11comp_targetILNS1_3genE2ELNS1_11target_archE906ELNS1_3gpuE6ELNS1_3repE0EEENS1_30default_config_static_selectorELNS0_4arch9wavefront6targetE1EEEvSZ_.num_vgpr, 0
	.set _ZN7rocprim17ROCPRIM_400000_NS6detail17trampoline_kernelINS0_13select_configILj256ELj13ELNS0_17block_load_methodE3ELS4_3ELS4_3ELNS0_20block_scan_algorithmE0ELj4294967295EEENS1_25partition_config_selectorILNS1_17partition_subalgoE3EjNS0_10empty_typeEbEEZZNS1_14partition_implILS8_3ELb0ES6_jNS0_17counting_iteratorIjlEEPS9_SE_NS0_5tupleIJPjSE_EEENSF_IJSE_SE_EEES9_SG_JZNS1_25segmented_radix_sort_implINS0_14default_configELb1EPK6__halfPSL_PKlPlN2at6native12_GLOBAL__N_18offset_tEEE10hipError_tPvRmT1_PNSt15iterator_traitsISZ_E10value_typeET2_T3_PNS10_IS15_E10value_typeET4_jRbjT5_S1B_jjP12ihipStream_tbEUljE_EEESW_SX_SY_S15_S19_S1B_T6_T7_T9_mT8_S1D_bDpT10_ENKUlT_T0_E_clISt17integral_constantIbLb1EES1P_IbLb0EEEEDaS1L_S1M_EUlS1L_E_NS1_11comp_targetILNS1_3genE2ELNS1_11target_archE906ELNS1_3gpuE6ELNS1_3repE0EEENS1_30default_config_static_selectorELNS0_4arch9wavefront6targetE1EEEvSZ_.num_agpr, 0
	.set _ZN7rocprim17ROCPRIM_400000_NS6detail17trampoline_kernelINS0_13select_configILj256ELj13ELNS0_17block_load_methodE3ELS4_3ELS4_3ELNS0_20block_scan_algorithmE0ELj4294967295EEENS1_25partition_config_selectorILNS1_17partition_subalgoE3EjNS0_10empty_typeEbEEZZNS1_14partition_implILS8_3ELb0ES6_jNS0_17counting_iteratorIjlEEPS9_SE_NS0_5tupleIJPjSE_EEENSF_IJSE_SE_EEES9_SG_JZNS1_25segmented_radix_sort_implINS0_14default_configELb1EPK6__halfPSL_PKlPlN2at6native12_GLOBAL__N_18offset_tEEE10hipError_tPvRmT1_PNSt15iterator_traitsISZ_E10value_typeET2_T3_PNS10_IS15_E10value_typeET4_jRbjT5_S1B_jjP12ihipStream_tbEUljE_EEESW_SX_SY_S15_S19_S1B_T6_T7_T9_mT8_S1D_bDpT10_ENKUlT_T0_E_clISt17integral_constantIbLb1EES1P_IbLb0EEEEDaS1L_S1M_EUlS1L_E_NS1_11comp_targetILNS1_3genE2ELNS1_11target_archE906ELNS1_3gpuE6ELNS1_3repE0EEENS1_30default_config_static_selectorELNS0_4arch9wavefront6targetE1EEEvSZ_.numbered_sgpr, 0
	.set _ZN7rocprim17ROCPRIM_400000_NS6detail17trampoline_kernelINS0_13select_configILj256ELj13ELNS0_17block_load_methodE3ELS4_3ELS4_3ELNS0_20block_scan_algorithmE0ELj4294967295EEENS1_25partition_config_selectorILNS1_17partition_subalgoE3EjNS0_10empty_typeEbEEZZNS1_14partition_implILS8_3ELb0ES6_jNS0_17counting_iteratorIjlEEPS9_SE_NS0_5tupleIJPjSE_EEENSF_IJSE_SE_EEES9_SG_JZNS1_25segmented_radix_sort_implINS0_14default_configELb1EPK6__halfPSL_PKlPlN2at6native12_GLOBAL__N_18offset_tEEE10hipError_tPvRmT1_PNSt15iterator_traitsISZ_E10value_typeET2_T3_PNS10_IS15_E10value_typeET4_jRbjT5_S1B_jjP12ihipStream_tbEUljE_EEESW_SX_SY_S15_S19_S1B_T6_T7_T9_mT8_S1D_bDpT10_ENKUlT_T0_E_clISt17integral_constantIbLb1EES1P_IbLb0EEEEDaS1L_S1M_EUlS1L_E_NS1_11comp_targetILNS1_3genE2ELNS1_11target_archE906ELNS1_3gpuE6ELNS1_3repE0EEENS1_30default_config_static_selectorELNS0_4arch9wavefront6targetE1EEEvSZ_.num_named_barrier, 0
	.set _ZN7rocprim17ROCPRIM_400000_NS6detail17trampoline_kernelINS0_13select_configILj256ELj13ELNS0_17block_load_methodE3ELS4_3ELS4_3ELNS0_20block_scan_algorithmE0ELj4294967295EEENS1_25partition_config_selectorILNS1_17partition_subalgoE3EjNS0_10empty_typeEbEEZZNS1_14partition_implILS8_3ELb0ES6_jNS0_17counting_iteratorIjlEEPS9_SE_NS0_5tupleIJPjSE_EEENSF_IJSE_SE_EEES9_SG_JZNS1_25segmented_radix_sort_implINS0_14default_configELb1EPK6__halfPSL_PKlPlN2at6native12_GLOBAL__N_18offset_tEEE10hipError_tPvRmT1_PNSt15iterator_traitsISZ_E10value_typeET2_T3_PNS10_IS15_E10value_typeET4_jRbjT5_S1B_jjP12ihipStream_tbEUljE_EEESW_SX_SY_S15_S19_S1B_T6_T7_T9_mT8_S1D_bDpT10_ENKUlT_T0_E_clISt17integral_constantIbLb1EES1P_IbLb0EEEEDaS1L_S1M_EUlS1L_E_NS1_11comp_targetILNS1_3genE2ELNS1_11target_archE906ELNS1_3gpuE6ELNS1_3repE0EEENS1_30default_config_static_selectorELNS0_4arch9wavefront6targetE1EEEvSZ_.private_seg_size, 0
	.set _ZN7rocprim17ROCPRIM_400000_NS6detail17trampoline_kernelINS0_13select_configILj256ELj13ELNS0_17block_load_methodE3ELS4_3ELS4_3ELNS0_20block_scan_algorithmE0ELj4294967295EEENS1_25partition_config_selectorILNS1_17partition_subalgoE3EjNS0_10empty_typeEbEEZZNS1_14partition_implILS8_3ELb0ES6_jNS0_17counting_iteratorIjlEEPS9_SE_NS0_5tupleIJPjSE_EEENSF_IJSE_SE_EEES9_SG_JZNS1_25segmented_radix_sort_implINS0_14default_configELb1EPK6__halfPSL_PKlPlN2at6native12_GLOBAL__N_18offset_tEEE10hipError_tPvRmT1_PNSt15iterator_traitsISZ_E10value_typeET2_T3_PNS10_IS15_E10value_typeET4_jRbjT5_S1B_jjP12ihipStream_tbEUljE_EEESW_SX_SY_S15_S19_S1B_T6_T7_T9_mT8_S1D_bDpT10_ENKUlT_T0_E_clISt17integral_constantIbLb1EES1P_IbLb0EEEEDaS1L_S1M_EUlS1L_E_NS1_11comp_targetILNS1_3genE2ELNS1_11target_archE906ELNS1_3gpuE6ELNS1_3repE0EEENS1_30default_config_static_selectorELNS0_4arch9wavefront6targetE1EEEvSZ_.uses_vcc, 0
	.set _ZN7rocprim17ROCPRIM_400000_NS6detail17trampoline_kernelINS0_13select_configILj256ELj13ELNS0_17block_load_methodE3ELS4_3ELS4_3ELNS0_20block_scan_algorithmE0ELj4294967295EEENS1_25partition_config_selectorILNS1_17partition_subalgoE3EjNS0_10empty_typeEbEEZZNS1_14partition_implILS8_3ELb0ES6_jNS0_17counting_iteratorIjlEEPS9_SE_NS0_5tupleIJPjSE_EEENSF_IJSE_SE_EEES9_SG_JZNS1_25segmented_radix_sort_implINS0_14default_configELb1EPK6__halfPSL_PKlPlN2at6native12_GLOBAL__N_18offset_tEEE10hipError_tPvRmT1_PNSt15iterator_traitsISZ_E10value_typeET2_T3_PNS10_IS15_E10value_typeET4_jRbjT5_S1B_jjP12ihipStream_tbEUljE_EEESW_SX_SY_S15_S19_S1B_T6_T7_T9_mT8_S1D_bDpT10_ENKUlT_T0_E_clISt17integral_constantIbLb1EES1P_IbLb0EEEEDaS1L_S1M_EUlS1L_E_NS1_11comp_targetILNS1_3genE2ELNS1_11target_archE906ELNS1_3gpuE6ELNS1_3repE0EEENS1_30default_config_static_selectorELNS0_4arch9wavefront6targetE1EEEvSZ_.uses_flat_scratch, 0
	.set _ZN7rocprim17ROCPRIM_400000_NS6detail17trampoline_kernelINS0_13select_configILj256ELj13ELNS0_17block_load_methodE3ELS4_3ELS4_3ELNS0_20block_scan_algorithmE0ELj4294967295EEENS1_25partition_config_selectorILNS1_17partition_subalgoE3EjNS0_10empty_typeEbEEZZNS1_14partition_implILS8_3ELb0ES6_jNS0_17counting_iteratorIjlEEPS9_SE_NS0_5tupleIJPjSE_EEENSF_IJSE_SE_EEES9_SG_JZNS1_25segmented_radix_sort_implINS0_14default_configELb1EPK6__halfPSL_PKlPlN2at6native12_GLOBAL__N_18offset_tEEE10hipError_tPvRmT1_PNSt15iterator_traitsISZ_E10value_typeET2_T3_PNS10_IS15_E10value_typeET4_jRbjT5_S1B_jjP12ihipStream_tbEUljE_EEESW_SX_SY_S15_S19_S1B_T6_T7_T9_mT8_S1D_bDpT10_ENKUlT_T0_E_clISt17integral_constantIbLb1EES1P_IbLb0EEEEDaS1L_S1M_EUlS1L_E_NS1_11comp_targetILNS1_3genE2ELNS1_11target_archE906ELNS1_3gpuE6ELNS1_3repE0EEENS1_30default_config_static_selectorELNS0_4arch9wavefront6targetE1EEEvSZ_.has_dyn_sized_stack, 0
	.set _ZN7rocprim17ROCPRIM_400000_NS6detail17trampoline_kernelINS0_13select_configILj256ELj13ELNS0_17block_load_methodE3ELS4_3ELS4_3ELNS0_20block_scan_algorithmE0ELj4294967295EEENS1_25partition_config_selectorILNS1_17partition_subalgoE3EjNS0_10empty_typeEbEEZZNS1_14partition_implILS8_3ELb0ES6_jNS0_17counting_iteratorIjlEEPS9_SE_NS0_5tupleIJPjSE_EEENSF_IJSE_SE_EEES9_SG_JZNS1_25segmented_radix_sort_implINS0_14default_configELb1EPK6__halfPSL_PKlPlN2at6native12_GLOBAL__N_18offset_tEEE10hipError_tPvRmT1_PNSt15iterator_traitsISZ_E10value_typeET2_T3_PNS10_IS15_E10value_typeET4_jRbjT5_S1B_jjP12ihipStream_tbEUljE_EEESW_SX_SY_S15_S19_S1B_T6_T7_T9_mT8_S1D_bDpT10_ENKUlT_T0_E_clISt17integral_constantIbLb1EES1P_IbLb0EEEEDaS1L_S1M_EUlS1L_E_NS1_11comp_targetILNS1_3genE2ELNS1_11target_archE906ELNS1_3gpuE6ELNS1_3repE0EEENS1_30default_config_static_selectorELNS0_4arch9wavefront6targetE1EEEvSZ_.has_recursion, 0
	.set _ZN7rocprim17ROCPRIM_400000_NS6detail17trampoline_kernelINS0_13select_configILj256ELj13ELNS0_17block_load_methodE3ELS4_3ELS4_3ELNS0_20block_scan_algorithmE0ELj4294967295EEENS1_25partition_config_selectorILNS1_17partition_subalgoE3EjNS0_10empty_typeEbEEZZNS1_14partition_implILS8_3ELb0ES6_jNS0_17counting_iteratorIjlEEPS9_SE_NS0_5tupleIJPjSE_EEENSF_IJSE_SE_EEES9_SG_JZNS1_25segmented_radix_sort_implINS0_14default_configELb1EPK6__halfPSL_PKlPlN2at6native12_GLOBAL__N_18offset_tEEE10hipError_tPvRmT1_PNSt15iterator_traitsISZ_E10value_typeET2_T3_PNS10_IS15_E10value_typeET4_jRbjT5_S1B_jjP12ihipStream_tbEUljE_EEESW_SX_SY_S15_S19_S1B_T6_T7_T9_mT8_S1D_bDpT10_ENKUlT_T0_E_clISt17integral_constantIbLb1EES1P_IbLb0EEEEDaS1L_S1M_EUlS1L_E_NS1_11comp_targetILNS1_3genE2ELNS1_11target_archE906ELNS1_3gpuE6ELNS1_3repE0EEENS1_30default_config_static_selectorELNS0_4arch9wavefront6targetE1EEEvSZ_.has_indirect_call, 0
	.section	.AMDGPU.csdata,"",@progbits
; Kernel info:
; codeLenInByte = 4
; TotalNumSgprs: 4
; NumVgprs: 0
; ScratchSize: 0
; MemoryBound: 0
; FloatMode: 240
; IeeeMode: 1
; LDSByteSize: 0 bytes/workgroup (compile time only)
; SGPRBlocks: 0
; VGPRBlocks: 0
; NumSGPRsForWavesPerEU: 4
; NumVGPRsForWavesPerEU: 1
; Occupancy: 10
; WaveLimiterHint : 0
; COMPUTE_PGM_RSRC2:SCRATCH_EN: 0
; COMPUTE_PGM_RSRC2:USER_SGPR: 6
; COMPUTE_PGM_RSRC2:TRAP_HANDLER: 0
; COMPUTE_PGM_RSRC2:TGID_X_EN: 1
; COMPUTE_PGM_RSRC2:TGID_Y_EN: 0
; COMPUTE_PGM_RSRC2:TGID_Z_EN: 0
; COMPUTE_PGM_RSRC2:TIDIG_COMP_CNT: 0
	.section	.text._ZN7rocprim17ROCPRIM_400000_NS6detail17trampoline_kernelINS0_13select_configILj256ELj13ELNS0_17block_load_methodE3ELS4_3ELS4_3ELNS0_20block_scan_algorithmE0ELj4294967295EEENS1_25partition_config_selectorILNS1_17partition_subalgoE3EjNS0_10empty_typeEbEEZZNS1_14partition_implILS8_3ELb0ES6_jNS0_17counting_iteratorIjlEEPS9_SE_NS0_5tupleIJPjSE_EEENSF_IJSE_SE_EEES9_SG_JZNS1_25segmented_radix_sort_implINS0_14default_configELb1EPK6__halfPSL_PKlPlN2at6native12_GLOBAL__N_18offset_tEEE10hipError_tPvRmT1_PNSt15iterator_traitsISZ_E10value_typeET2_T3_PNS10_IS15_E10value_typeET4_jRbjT5_S1B_jjP12ihipStream_tbEUljE_EEESW_SX_SY_S15_S19_S1B_T6_T7_T9_mT8_S1D_bDpT10_ENKUlT_T0_E_clISt17integral_constantIbLb1EES1P_IbLb0EEEEDaS1L_S1M_EUlS1L_E_NS1_11comp_targetILNS1_3genE10ELNS1_11target_archE1200ELNS1_3gpuE4ELNS1_3repE0EEENS1_30default_config_static_selectorELNS0_4arch9wavefront6targetE1EEEvSZ_,"axG",@progbits,_ZN7rocprim17ROCPRIM_400000_NS6detail17trampoline_kernelINS0_13select_configILj256ELj13ELNS0_17block_load_methodE3ELS4_3ELS4_3ELNS0_20block_scan_algorithmE0ELj4294967295EEENS1_25partition_config_selectorILNS1_17partition_subalgoE3EjNS0_10empty_typeEbEEZZNS1_14partition_implILS8_3ELb0ES6_jNS0_17counting_iteratorIjlEEPS9_SE_NS0_5tupleIJPjSE_EEENSF_IJSE_SE_EEES9_SG_JZNS1_25segmented_radix_sort_implINS0_14default_configELb1EPK6__halfPSL_PKlPlN2at6native12_GLOBAL__N_18offset_tEEE10hipError_tPvRmT1_PNSt15iterator_traitsISZ_E10value_typeET2_T3_PNS10_IS15_E10value_typeET4_jRbjT5_S1B_jjP12ihipStream_tbEUljE_EEESW_SX_SY_S15_S19_S1B_T6_T7_T9_mT8_S1D_bDpT10_ENKUlT_T0_E_clISt17integral_constantIbLb1EES1P_IbLb0EEEEDaS1L_S1M_EUlS1L_E_NS1_11comp_targetILNS1_3genE10ELNS1_11target_archE1200ELNS1_3gpuE4ELNS1_3repE0EEENS1_30default_config_static_selectorELNS0_4arch9wavefront6targetE1EEEvSZ_,comdat
	.globl	_ZN7rocprim17ROCPRIM_400000_NS6detail17trampoline_kernelINS0_13select_configILj256ELj13ELNS0_17block_load_methodE3ELS4_3ELS4_3ELNS0_20block_scan_algorithmE0ELj4294967295EEENS1_25partition_config_selectorILNS1_17partition_subalgoE3EjNS0_10empty_typeEbEEZZNS1_14partition_implILS8_3ELb0ES6_jNS0_17counting_iteratorIjlEEPS9_SE_NS0_5tupleIJPjSE_EEENSF_IJSE_SE_EEES9_SG_JZNS1_25segmented_radix_sort_implINS0_14default_configELb1EPK6__halfPSL_PKlPlN2at6native12_GLOBAL__N_18offset_tEEE10hipError_tPvRmT1_PNSt15iterator_traitsISZ_E10value_typeET2_T3_PNS10_IS15_E10value_typeET4_jRbjT5_S1B_jjP12ihipStream_tbEUljE_EEESW_SX_SY_S15_S19_S1B_T6_T7_T9_mT8_S1D_bDpT10_ENKUlT_T0_E_clISt17integral_constantIbLb1EES1P_IbLb0EEEEDaS1L_S1M_EUlS1L_E_NS1_11comp_targetILNS1_3genE10ELNS1_11target_archE1200ELNS1_3gpuE4ELNS1_3repE0EEENS1_30default_config_static_selectorELNS0_4arch9wavefront6targetE1EEEvSZ_ ; -- Begin function _ZN7rocprim17ROCPRIM_400000_NS6detail17trampoline_kernelINS0_13select_configILj256ELj13ELNS0_17block_load_methodE3ELS4_3ELS4_3ELNS0_20block_scan_algorithmE0ELj4294967295EEENS1_25partition_config_selectorILNS1_17partition_subalgoE3EjNS0_10empty_typeEbEEZZNS1_14partition_implILS8_3ELb0ES6_jNS0_17counting_iteratorIjlEEPS9_SE_NS0_5tupleIJPjSE_EEENSF_IJSE_SE_EEES9_SG_JZNS1_25segmented_radix_sort_implINS0_14default_configELb1EPK6__halfPSL_PKlPlN2at6native12_GLOBAL__N_18offset_tEEE10hipError_tPvRmT1_PNSt15iterator_traitsISZ_E10value_typeET2_T3_PNS10_IS15_E10value_typeET4_jRbjT5_S1B_jjP12ihipStream_tbEUljE_EEESW_SX_SY_S15_S19_S1B_T6_T7_T9_mT8_S1D_bDpT10_ENKUlT_T0_E_clISt17integral_constantIbLb1EES1P_IbLb0EEEEDaS1L_S1M_EUlS1L_E_NS1_11comp_targetILNS1_3genE10ELNS1_11target_archE1200ELNS1_3gpuE4ELNS1_3repE0EEENS1_30default_config_static_selectorELNS0_4arch9wavefront6targetE1EEEvSZ_
	.p2align	8
	.type	_ZN7rocprim17ROCPRIM_400000_NS6detail17trampoline_kernelINS0_13select_configILj256ELj13ELNS0_17block_load_methodE3ELS4_3ELS4_3ELNS0_20block_scan_algorithmE0ELj4294967295EEENS1_25partition_config_selectorILNS1_17partition_subalgoE3EjNS0_10empty_typeEbEEZZNS1_14partition_implILS8_3ELb0ES6_jNS0_17counting_iteratorIjlEEPS9_SE_NS0_5tupleIJPjSE_EEENSF_IJSE_SE_EEES9_SG_JZNS1_25segmented_radix_sort_implINS0_14default_configELb1EPK6__halfPSL_PKlPlN2at6native12_GLOBAL__N_18offset_tEEE10hipError_tPvRmT1_PNSt15iterator_traitsISZ_E10value_typeET2_T3_PNS10_IS15_E10value_typeET4_jRbjT5_S1B_jjP12ihipStream_tbEUljE_EEESW_SX_SY_S15_S19_S1B_T6_T7_T9_mT8_S1D_bDpT10_ENKUlT_T0_E_clISt17integral_constantIbLb1EES1P_IbLb0EEEEDaS1L_S1M_EUlS1L_E_NS1_11comp_targetILNS1_3genE10ELNS1_11target_archE1200ELNS1_3gpuE4ELNS1_3repE0EEENS1_30default_config_static_selectorELNS0_4arch9wavefront6targetE1EEEvSZ_,@function
_ZN7rocprim17ROCPRIM_400000_NS6detail17trampoline_kernelINS0_13select_configILj256ELj13ELNS0_17block_load_methodE3ELS4_3ELS4_3ELNS0_20block_scan_algorithmE0ELj4294967295EEENS1_25partition_config_selectorILNS1_17partition_subalgoE3EjNS0_10empty_typeEbEEZZNS1_14partition_implILS8_3ELb0ES6_jNS0_17counting_iteratorIjlEEPS9_SE_NS0_5tupleIJPjSE_EEENSF_IJSE_SE_EEES9_SG_JZNS1_25segmented_radix_sort_implINS0_14default_configELb1EPK6__halfPSL_PKlPlN2at6native12_GLOBAL__N_18offset_tEEE10hipError_tPvRmT1_PNSt15iterator_traitsISZ_E10value_typeET2_T3_PNS10_IS15_E10value_typeET4_jRbjT5_S1B_jjP12ihipStream_tbEUljE_EEESW_SX_SY_S15_S19_S1B_T6_T7_T9_mT8_S1D_bDpT10_ENKUlT_T0_E_clISt17integral_constantIbLb1EES1P_IbLb0EEEEDaS1L_S1M_EUlS1L_E_NS1_11comp_targetILNS1_3genE10ELNS1_11target_archE1200ELNS1_3gpuE4ELNS1_3repE0EEENS1_30default_config_static_selectorELNS0_4arch9wavefront6targetE1EEEvSZ_: ; @_ZN7rocprim17ROCPRIM_400000_NS6detail17trampoline_kernelINS0_13select_configILj256ELj13ELNS0_17block_load_methodE3ELS4_3ELS4_3ELNS0_20block_scan_algorithmE0ELj4294967295EEENS1_25partition_config_selectorILNS1_17partition_subalgoE3EjNS0_10empty_typeEbEEZZNS1_14partition_implILS8_3ELb0ES6_jNS0_17counting_iteratorIjlEEPS9_SE_NS0_5tupleIJPjSE_EEENSF_IJSE_SE_EEES9_SG_JZNS1_25segmented_radix_sort_implINS0_14default_configELb1EPK6__halfPSL_PKlPlN2at6native12_GLOBAL__N_18offset_tEEE10hipError_tPvRmT1_PNSt15iterator_traitsISZ_E10value_typeET2_T3_PNS10_IS15_E10value_typeET4_jRbjT5_S1B_jjP12ihipStream_tbEUljE_EEESW_SX_SY_S15_S19_S1B_T6_T7_T9_mT8_S1D_bDpT10_ENKUlT_T0_E_clISt17integral_constantIbLb1EES1P_IbLb0EEEEDaS1L_S1M_EUlS1L_E_NS1_11comp_targetILNS1_3genE10ELNS1_11target_archE1200ELNS1_3gpuE4ELNS1_3repE0EEENS1_30default_config_static_selectorELNS0_4arch9wavefront6targetE1EEEvSZ_
; %bb.0:
	.section	.rodata,"a",@progbits
	.p2align	6, 0x0
	.amdhsa_kernel _ZN7rocprim17ROCPRIM_400000_NS6detail17trampoline_kernelINS0_13select_configILj256ELj13ELNS0_17block_load_methodE3ELS4_3ELS4_3ELNS0_20block_scan_algorithmE0ELj4294967295EEENS1_25partition_config_selectorILNS1_17partition_subalgoE3EjNS0_10empty_typeEbEEZZNS1_14partition_implILS8_3ELb0ES6_jNS0_17counting_iteratorIjlEEPS9_SE_NS0_5tupleIJPjSE_EEENSF_IJSE_SE_EEES9_SG_JZNS1_25segmented_radix_sort_implINS0_14default_configELb1EPK6__halfPSL_PKlPlN2at6native12_GLOBAL__N_18offset_tEEE10hipError_tPvRmT1_PNSt15iterator_traitsISZ_E10value_typeET2_T3_PNS10_IS15_E10value_typeET4_jRbjT5_S1B_jjP12ihipStream_tbEUljE_EEESW_SX_SY_S15_S19_S1B_T6_T7_T9_mT8_S1D_bDpT10_ENKUlT_T0_E_clISt17integral_constantIbLb1EES1P_IbLb0EEEEDaS1L_S1M_EUlS1L_E_NS1_11comp_targetILNS1_3genE10ELNS1_11target_archE1200ELNS1_3gpuE4ELNS1_3repE0EEENS1_30default_config_static_selectorELNS0_4arch9wavefront6targetE1EEEvSZ_
		.amdhsa_group_segment_fixed_size 0
		.amdhsa_private_segment_fixed_size 0
		.amdhsa_kernarg_size 144
		.amdhsa_user_sgpr_count 6
		.amdhsa_user_sgpr_private_segment_buffer 1
		.amdhsa_user_sgpr_dispatch_ptr 0
		.amdhsa_user_sgpr_queue_ptr 0
		.amdhsa_user_sgpr_kernarg_segment_ptr 1
		.amdhsa_user_sgpr_dispatch_id 0
		.amdhsa_user_sgpr_flat_scratch_init 0
		.amdhsa_user_sgpr_private_segment_size 0
		.amdhsa_uses_dynamic_stack 0
		.amdhsa_system_sgpr_private_segment_wavefront_offset 0
		.amdhsa_system_sgpr_workgroup_id_x 1
		.amdhsa_system_sgpr_workgroup_id_y 0
		.amdhsa_system_sgpr_workgroup_id_z 0
		.amdhsa_system_sgpr_workgroup_info 0
		.amdhsa_system_vgpr_workitem_id 0
		.amdhsa_next_free_vgpr 1
		.amdhsa_next_free_sgpr 0
		.amdhsa_reserve_vcc 0
		.amdhsa_reserve_flat_scratch 0
		.amdhsa_float_round_mode_32 0
		.amdhsa_float_round_mode_16_64 0
		.amdhsa_float_denorm_mode_32 3
		.amdhsa_float_denorm_mode_16_64 3
		.amdhsa_dx10_clamp 1
		.amdhsa_ieee_mode 1
		.amdhsa_fp16_overflow 0
		.amdhsa_exception_fp_ieee_invalid_op 0
		.amdhsa_exception_fp_denorm_src 0
		.amdhsa_exception_fp_ieee_div_zero 0
		.amdhsa_exception_fp_ieee_overflow 0
		.amdhsa_exception_fp_ieee_underflow 0
		.amdhsa_exception_fp_ieee_inexact 0
		.amdhsa_exception_int_div_zero 0
	.end_amdhsa_kernel
	.section	.text._ZN7rocprim17ROCPRIM_400000_NS6detail17trampoline_kernelINS0_13select_configILj256ELj13ELNS0_17block_load_methodE3ELS4_3ELS4_3ELNS0_20block_scan_algorithmE0ELj4294967295EEENS1_25partition_config_selectorILNS1_17partition_subalgoE3EjNS0_10empty_typeEbEEZZNS1_14partition_implILS8_3ELb0ES6_jNS0_17counting_iteratorIjlEEPS9_SE_NS0_5tupleIJPjSE_EEENSF_IJSE_SE_EEES9_SG_JZNS1_25segmented_radix_sort_implINS0_14default_configELb1EPK6__halfPSL_PKlPlN2at6native12_GLOBAL__N_18offset_tEEE10hipError_tPvRmT1_PNSt15iterator_traitsISZ_E10value_typeET2_T3_PNS10_IS15_E10value_typeET4_jRbjT5_S1B_jjP12ihipStream_tbEUljE_EEESW_SX_SY_S15_S19_S1B_T6_T7_T9_mT8_S1D_bDpT10_ENKUlT_T0_E_clISt17integral_constantIbLb1EES1P_IbLb0EEEEDaS1L_S1M_EUlS1L_E_NS1_11comp_targetILNS1_3genE10ELNS1_11target_archE1200ELNS1_3gpuE4ELNS1_3repE0EEENS1_30default_config_static_selectorELNS0_4arch9wavefront6targetE1EEEvSZ_,"axG",@progbits,_ZN7rocprim17ROCPRIM_400000_NS6detail17trampoline_kernelINS0_13select_configILj256ELj13ELNS0_17block_load_methodE3ELS4_3ELS4_3ELNS0_20block_scan_algorithmE0ELj4294967295EEENS1_25partition_config_selectorILNS1_17partition_subalgoE3EjNS0_10empty_typeEbEEZZNS1_14partition_implILS8_3ELb0ES6_jNS0_17counting_iteratorIjlEEPS9_SE_NS0_5tupleIJPjSE_EEENSF_IJSE_SE_EEES9_SG_JZNS1_25segmented_radix_sort_implINS0_14default_configELb1EPK6__halfPSL_PKlPlN2at6native12_GLOBAL__N_18offset_tEEE10hipError_tPvRmT1_PNSt15iterator_traitsISZ_E10value_typeET2_T3_PNS10_IS15_E10value_typeET4_jRbjT5_S1B_jjP12ihipStream_tbEUljE_EEESW_SX_SY_S15_S19_S1B_T6_T7_T9_mT8_S1D_bDpT10_ENKUlT_T0_E_clISt17integral_constantIbLb1EES1P_IbLb0EEEEDaS1L_S1M_EUlS1L_E_NS1_11comp_targetILNS1_3genE10ELNS1_11target_archE1200ELNS1_3gpuE4ELNS1_3repE0EEENS1_30default_config_static_selectorELNS0_4arch9wavefront6targetE1EEEvSZ_,comdat
.Lfunc_end1728:
	.size	_ZN7rocprim17ROCPRIM_400000_NS6detail17trampoline_kernelINS0_13select_configILj256ELj13ELNS0_17block_load_methodE3ELS4_3ELS4_3ELNS0_20block_scan_algorithmE0ELj4294967295EEENS1_25partition_config_selectorILNS1_17partition_subalgoE3EjNS0_10empty_typeEbEEZZNS1_14partition_implILS8_3ELb0ES6_jNS0_17counting_iteratorIjlEEPS9_SE_NS0_5tupleIJPjSE_EEENSF_IJSE_SE_EEES9_SG_JZNS1_25segmented_radix_sort_implINS0_14default_configELb1EPK6__halfPSL_PKlPlN2at6native12_GLOBAL__N_18offset_tEEE10hipError_tPvRmT1_PNSt15iterator_traitsISZ_E10value_typeET2_T3_PNS10_IS15_E10value_typeET4_jRbjT5_S1B_jjP12ihipStream_tbEUljE_EEESW_SX_SY_S15_S19_S1B_T6_T7_T9_mT8_S1D_bDpT10_ENKUlT_T0_E_clISt17integral_constantIbLb1EES1P_IbLb0EEEEDaS1L_S1M_EUlS1L_E_NS1_11comp_targetILNS1_3genE10ELNS1_11target_archE1200ELNS1_3gpuE4ELNS1_3repE0EEENS1_30default_config_static_selectorELNS0_4arch9wavefront6targetE1EEEvSZ_, .Lfunc_end1728-_ZN7rocprim17ROCPRIM_400000_NS6detail17trampoline_kernelINS0_13select_configILj256ELj13ELNS0_17block_load_methodE3ELS4_3ELS4_3ELNS0_20block_scan_algorithmE0ELj4294967295EEENS1_25partition_config_selectorILNS1_17partition_subalgoE3EjNS0_10empty_typeEbEEZZNS1_14partition_implILS8_3ELb0ES6_jNS0_17counting_iteratorIjlEEPS9_SE_NS0_5tupleIJPjSE_EEENSF_IJSE_SE_EEES9_SG_JZNS1_25segmented_radix_sort_implINS0_14default_configELb1EPK6__halfPSL_PKlPlN2at6native12_GLOBAL__N_18offset_tEEE10hipError_tPvRmT1_PNSt15iterator_traitsISZ_E10value_typeET2_T3_PNS10_IS15_E10value_typeET4_jRbjT5_S1B_jjP12ihipStream_tbEUljE_EEESW_SX_SY_S15_S19_S1B_T6_T7_T9_mT8_S1D_bDpT10_ENKUlT_T0_E_clISt17integral_constantIbLb1EES1P_IbLb0EEEEDaS1L_S1M_EUlS1L_E_NS1_11comp_targetILNS1_3genE10ELNS1_11target_archE1200ELNS1_3gpuE4ELNS1_3repE0EEENS1_30default_config_static_selectorELNS0_4arch9wavefront6targetE1EEEvSZ_
                                        ; -- End function
	.set _ZN7rocprim17ROCPRIM_400000_NS6detail17trampoline_kernelINS0_13select_configILj256ELj13ELNS0_17block_load_methodE3ELS4_3ELS4_3ELNS0_20block_scan_algorithmE0ELj4294967295EEENS1_25partition_config_selectorILNS1_17partition_subalgoE3EjNS0_10empty_typeEbEEZZNS1_14partition_implILS8_3ELb0ES6_jNS0_17counting_iteratorIjlEEPS9_SE_NS0_5tupleIJPjSE_EEENSF_IJSE_SE_EEES9_SG_JZNS1_25segmented_radix_sort_implINS0_14default_configELb1EPK6__halfPSL_PKlPlN2at6native12_GLOBAL__N_18offset_tEEE10hipError_tPvRmT1_PNSt15iterator_traitsISZ_E10value_typeET2_T3_PNS10_IS15_E10value_typeET4_jRbjT5_S1B_jjP12ihipStream_tbEUljE_EEESW_SX_SY_S15_S19_S1B_T6_T7_T9_mT8_S1D_bDpT10_ENKUlT_T0_E_clISt17integral_constantIbLb1EES1P_IbLb0EEEEDaS1L_S1M_EUlS1L_E_NS1_11comp_targetILNS1_3genE10ELNS1_11target_archE1200ELNS1_3gpuE4ELNS1_3repE0EEENS1_30default_config_static_selectorELNS0_4arch9wavefront6targetE1EEEvSZ_.num_vgpr, 0
	.set _ZN7rocprim17ROCPRIM_400000_NS6detail17trampoline_kernelINS0_13select_configILj256ELj13ELNS0_17block_load_methodE3ELS4_3ELS4_3ELNS0_20block_scan_algorithmE0ELj4294967295EEENS1_25partition_config_selectorILNS1_17partition_subalgoE3EjNS0_10empty_typeEbEEZZNS1_14partition_implILS8_3ELb0ES6_jNS0_17counting_iteratorIjlEEPS9_SE_NS0_5tupleIJPjSE_EEENSF_IJSE_SE_EEES9_SG_JZNS1_25segmented_radix_sort_implINS0_14default_configELb1EPK6__halfPSL_PKlPlN2at6native12_GLOBAL__N_18offset_tEEE10hipError_tPvRmT1_PNSt15iterator_traitsISZ_E10value_typeET2_T3_PNS10_IS15_E10value_typeET4_jRbjT5_S1B_jjP12ihipStream_tbEUljE_EEESW_SX_SY_S15_S19_S1B_T6_T7_T9_mT8_S1D_bDpT10_ENKUlT_T0_E_clISt17integral_constantIbLb1EES1P_IbLb0EEEEDaS1L_S1M_EUlS1L_E_NS1_11comp_targetILNS1_3genE10ELNS1_11target_archE1200ELNS1_3gpuE4ELNS1_3repE0EEENS1_30default_config_static_selectorELNS0_4arch9wavefront6targetE1EEEvSZ_.num_agpr, 0
	.set _ZN7rocprim17ROCPRIM_400000_NS6detail17trampoline_kernelINS0_13select_configILj256ELj13ELNS0_17block_load_methodE3ELS4_3ELS4_3ELNS0_20block_scan_algorithmE0ELj4294967295EEENS1_25partition_config_selectorILNS1_17partition_subalgoE3EjNS0_10empty_typeEbEEZZNS1_14partition_implILS8_3ELb0ES6_jNS0_17counting_iteratorIjlEEPS9_SE_NS0_5tupleIJPjSE_EEENSF_IJSE_SE_EEES9_SG_JZNS1_25segmented_radix_sort_implINS0_14default_configELb1EPK6__halfPSL_PKlPlN2at6native12_GLOBAL__N_18offset_tEEE10hipError_tPvRmT1_PNSt15iterator_traitsISZ_E10value_typeET2_T3_PNS10_IS15_E10value_typeET4_jRbjT5_S1B_jjP12ihipStream_tbEUljE_EEESW_SX_SY_S15_S19_S1B_T6_T7_T9_mT8_S1D_bDpT10_ENKUlT_T0_E_clISt17integral_constantIbLb1EES1P_IbLb0EEEEDaS1L_S1M_EUlS1L_E_NS1_11comp_targetILNS1_3genE10ELNS1_11target_archE1200ELNS1_3gpuE4ELNS1_3repE0EEENS1_30default_config_static_selectorELNS0_4arch9wavefront6targetE1EEEvSZ_.numbered_sgpr, 0
	.set _ZN7rocprim17ROCPRIM_400000_NS6detail17trampoline_kernelINS0_13select_configILj256ELj13ELNS0_17block_load_methodE3ELS4_3ELS4_3ELNS0_20block_scan_algorithmE0ELj4294967295EEENS1_25partition_config_selectorILNS1_17partition_subalgoE3EjNS0_10empty_typeEbEEZZNS1_14partition_implILS8_3ELb0ES6_jNS0_17counting_iteratorIjlEEPS9_SE_NS0_5tupleIJPjSE_EEENSF_IJSE_SE_EEES9_SG_JZNS1_25segmented_radix_sort_implINS0_14default_configELb1EPK6__halfPSL_PKlPlN2at6native12_GLOBAL__N_18offset_tEEE10hipError_tPvRmT1_PNSt15iterator_traitsISZ_E10value_typeET2_T3_PNS10_IS15_E10value_typeET4_jRbjT5_S1B_jjP12ihipStream_tbEUljE_EEESW_SX_SY_S15_S19_S1B_T6_T7_T9_mT8_S1D_bDpT10_ENKUlT_T0_E_clISt17integral_constantIbLb1EES1P_IbLb0EEEEDaS1L_S1M_EUlS1L_E_NS1_11comp_targetILNS1_3genE10ELNS1_11target_archE1200ELNS1_3gpuE4ELNS1_3repE0EEENS1_30default_config_static_selectorELNS0_4arch9wavefront6targetE1EEEvSZ_.num_named_barrier, 0
	.set _ZN7rocprim17ROCPRIM_400000_NS6detail17trampoline_kernelINS0_13select_configILj256ELj13ELNS0_17block_load_methodE3ELS4_3ELS4_3ELNS0_20block_scan_algorithmE0ELj4294967295EEENS1_25partition_config_selectorILNS1_17partition_subalgoE3EjNS0_10empty_typeEbEEZZNS1_14partition_implILS8_3ELb0ES6_jNS0_17counting_iteratorIjlEEPS9_SE_NS0_5tupleIJPjSE_EEENSF_IJSE_SE_EEES9_SG_JZNS1_25segmented_radix_sort_implINS0_14default_configELb1EPK6__halfPSL_PKlPlN2at6native12_GLOBAL__N_18offset_tEEE10hipError_tPvRmT1_PNSt15iterator_traitsISZ_E10value_typeET2_T3_PNS10_IS15_E10value_typeET4_jRbjT5_S1B_jjP12ihipStream_tbEUljE_EEESW_SX_SY_S15_S19_S1B_T6_T7_T9_mT8_S1D_bDpT10_ENKUlT_T0_E_clISt17integral_constantIbLb1EES1P_IbLb0EEEEDaS1L_S1M_EUlS1L_E_NS1_11comp_targetILNS1_3genE10ELNS1_11target_archE1200ELNS1_3gpuE4ELNS1_3repE0EEENS1_30default_config_static_selectorELNS0_4arch9wavefront6targetE1EEEvSZ_.private_seg_size, 0
	.set _ZN7rocprim17ROCPRIM_400000_NS6detail17trampoline_kernelINS0_13select_configILj256ELj13ELNS0_17block_load_methodE3ELS4_3ELS4_3ELNS0_20block_scan_algorithmE0ELj4294967295EEENS1_25partition_config_selectorILNS1_17partition_subalgoE3EjNS0_10empty_typeEbEEZZNS1_14partition_implILS8_3ELb0ES6_jNS0_17counting_iteratorIjlEEPS9_SE_NS0_5tupleIJPjSE_EEENSF_IJSE_SE_EEES9_SG_JZNS1_25segmented_radix_sort_implINS0_14default_configELb1EPK6__halfPSL_PKlPlN2at6native12_GLOBAL__N_18offset_tEEE10hipError_tPvRmT1_PNSt15iterator_traitsISZ_E10value_typeET2_T3_PNS10_IS15_E10value_typeET4_jRbjT5_S1B_jjP12ihipStream_tbEUljE_EEESW_SX_SY_S15_S19_S1B_T6_T7_T9_mT8_S1D_bDpT10_ENKUlT_T0_E_clISt17integral_constantIbLb1EES1P_IbLb0EEEEDaS1L_S1M_EUlS1L_E_NS1_11comp_targetILNS1_3genE10ELNS1_11target_archE1200ELNS1_3gpuE4ELNS1_3repE0EEENS1_30default_config_static_selectorELNS0_4arch9wavefront6targetE1EEEvSZ_.uses_vcc, 0
	.set _ZN7rocprim17ROCPRIM_400000_NS6detail17trampoline_kernelINS0_13select_configILj256ELj13ELNS0_17block_load_methodE3ELS4_3ELS4_3ELNS0_20block_scan_algorithmE0ELj4294967295EEENS1_25partition_config_selectorILNS1_17partition_subalgoE3EjNS0_10empty_typeEbEEZZNS1_14partition_implILS8_3ELb0ES6_jNS0_17counting_iteratorIjlEEPS9_SE_NS0_5tupleIJPjSE_EEENSF_IJSE_SE_EEES9_SG_JZNS1_25segmented_radix_sort_implINS0_14default_configELb1EPK6__halfPSL_PKlPlN2at6native12_GLOBAL__N_18offset_tEEE10hipError_tPvRmT1_PNSt15iterator_traitsISZ_E10value_typeET2_T3_PNS10_IS15_E10value_typeET4_jRbjT5_S1B_jjP12ihipStream_tbEUljE_EEESW_SX_SY_S15_S19_S1B_T6_T7_T9_mT8_S1D_bDpT10_ENKUlT_T0_E_clISt17integral_constantIbLb1EES1P_IbLb0EEEEDaS1L_S1M_EUlS1L_E_NS1_11comp_targetILNS1_3genE10ELNS1_11target_archE1200ELNS1_3gpuE4ELNS1_3repE0EEENS1_30default_config_static_selectorELNS0_4arch9wavefront6targetE1EEEvSZ_.uses_flat_scratch, 0
	.set _ZN7rocprim17ROCPRIM_400000_NS6detail17trampoline_kernelINS0_13select_configILj256ELj13ELNS0_17block_load_methodE3ELS4_3ELS4_3ELNS0_20block_scan_algorithmE0ELj4294967295EEENS1_25partition_config_selectorILNS1_17partition_subalgoE3EjNS0_10empty_typeEbEEZZNS1_14partition_implILS8_3ELb0ES6_jNS0_17counting_iteratorIjlEEPS9_SE_NS0_5tupleIJPjSE_EEENSF_IJSE_SE_EEES9_SG_JZNS1_25segmented_radix_sort_implINS0_14default_configELb1EPK6__halfPSL_PKlPlN2at6native12_GLOBAL__N_18offset_tEEE10hipError_tPvRmT1_PNSt15iterator_traitsISZ_E10value_typeET2_T3_PNS10_IS15_E10value_typeET4_jRbjT5_S1B_jjP12ihipStream_tbEUljE_EEESW_SX_SY_S15_S19_S1B_T6_T7_T9_mT8_S1D_bDpT10_ENKUlT_T0_E_clISt17integral_constantIbLb1EES1P_IbLb0EEEEDaS1L_S1M_EUlS1L_E_NS1_11comp_targetILNS1_3genE10ELNS1_11target_archE1200ELNS1_3gpuE4ELNS1_3repE0EEENS1_30default_config_static_selectorELNS0_4arch9wavefront6targetE1EEEvSZ_.has_dyn_sized_stack, 0
	.set _ZN7rocprim17ROCPRIM_400000_NS6detail17trampoline_kernelINS0_13select_configILj256ELj13ELNS0_17block_load_methodE3ELS4_3ELS4_3ELNS0_20block_scan_algorithmE0ELj4294967295EEENS1_25partition_config_selectorILNS1_17partition_subalgoE3EjNS0_10empty_typeEbEEZZNS1_14partition_implILS8_3ELb0ES6_jNS0_17counting_iteratorIjlEEPS9_SE_NS0_5tupleIJPjSE_EEENSF_IJSE_SE_EEES9_SG_JZNS1_25segmented_radix_sort_implINS0_14default_configELb1EPK6__halfPSL_PKlPlN2at6native12_GLOBAL__N_18offset_tEEE10hipError_tPvRmT1_PNSt15iterator_traitsISZ_E10value_typeET2_T3_PNS10_IS15_E10value_typeET4_jRbjT5_S1B_jjP12ihipStream_tbEUljE_EEESW_SX_SY_S15_S19_S1B_T6_T7_T9_mT8_S1D_bDpT10_ENKUlT_T0_E_clISt17integral_constantIbLb1EES1P_IbLb0EEEEDaS1L_S1M_EUlS1L_E_NS1_11comp_targetILNS1_3genE10ELNS1_11target_archE1200ELNS1_3gpuE4ELNS1_3repE0EEENS1_30default_config_static_selectorELNS0_4arch9wavefront6targetE1EEEvSZ_.has_recursion, 0
	.set _ZN7rocprim17ROCPRIM_400000_NS6detail17trampoline_kernelINS0_13select_configILj256ELj13ELNS0_17block_load_methodE3ELS4_3ELS4_3ELNS0_20block_scan_algorithmE0ELj4294967295EEENS1_25partition_config_selectorILNS1_17partition_subalgoE3EjNS0_10empty_typeEbEEZZNS1_14partition_implILS8_3ELb0ES6_jNS0_17counting_iteratorIjlEEPS9_SE_NS0_5tupleIJPjSE_EEENSF_IJSE_SE_EEES9_SG_JZNS1_25segmented_radix_sort_implINS0_14default_configELb1EPK6__halfPSL_PKlPlN2at6native12_GLOBAL__N_18offset_tEEE10hipError_tPvRmT1_PNSt15iterator_traitsISZ_E10value_typeET2_T3_PNS10_IS15_E10value_typeET4_jRbjT5_S1B_jjP12ihipStream_tbEUljE_EEESW_SX_SY_S15_S19_S1B_T6_T7_T9_mT8_S1D_bDpT10_ENKUlT_T0_E_clISt17integral_constantIbLb1EES1P_IbLb0EEEEDaS1L_S1M_EUlS1L_E_NS1_11comp_targetILNS1_3genE10ELNS1_11target_archE1200ELNS1_3gpuE4ELNS1_3repE0EEENS1_30default_config_static_selectorELNS0_4arch9wavefront6targetE1EEEvSZ_.has_indirect_call, 0
	.section	.AMDGPU.csdata,"",@progbits
; Kernel info:
; codeLenInByte = 0
; TotalNumSgprs: 4
; NumVgprs: 0
; ScratchSize: 0
; MemoryBound: 0
; FloatMode: 240
; IeeeMode: 1
; LDSByteSize: 0 bytes/workgroup (compile time only)
; SGPRBlocks: 0
; VGPRBlocks: 0
; NumSGPRsForWavesPerEU: 4
; NumVGPRsForWavesPerEU: 1
; Occupancy: 10
; WaveLimiterHint : 0
; COMPUTE_PGM_RSRC2:SCRATCH_EN: 0
; COMPUTE_PGM_RSRC2:USER_SGPR: 6
; COMPUTE_PGM_RSRC2:TRAP_HANDLER: 0
; COMPUTE_PGM_RSRC2:TGID_X_EN: 1
; COMPUTE_PGM_RSRC2:TGID_Y_EN: 0
; COMPUTE_PGM_RSRC2:TGID_Z_EN: 0
; COMPUTE_PGM_RSRC2:TIDIG_COMP_CNT: 0
	.section	.text._ZN7rocprim17ROCPRIM_400000_NS6detail17trampoline_kernelINS0_13select_configILj256ELj13ELNS0_17block_load_methodE3ELS4_3ELS4_3ELNS0_20block_scan_algorithmE0ELj4294967295EEENS1_25partition_config_selectorILNS1_17partition_subalgoE3EjNS0_10empty_typeEbEEZZNS1_14partition_implILS8_3ELb0ES6_jNS0_17counting_iteratorIjlEEPS9_SE_NS0_5tupleIJPjSE_EEENSF_IJSE_SE_EEES9_SG_JZNS1_25segmented_radix_sort_implINS0_14default_configELb1EPK6__halfPSL_PKlPlN2at6native12_GLOBAL__N_18offset_tEEE10hipError_tPvRmT1_PNSt15iterator_traitsISZ_E10value_typeET2_T3_PNS10_IS15_E10value_typeET4_jRbjT5_S1B_jjP12ihipStream_tbEUljE_EEESW_SX_SY_S15_S19_S1B_T6_T7_T9_mT8_S1D_bDpT10_ENKUlT_T0_E_clISt17integral_constantIbLb1EES1P_IbLb0EEEEDaS1L_S1M_EUlS1L_E_NS1_11comp_targetILNS1_3genE9ELNS1_11target_archE1100ELNS1_3gpuE3ELNS1_3repE0EEENS1_30default_config_static_selectorELNS0_4arch9wavefront6targetE1EEEvSZ_,"axG",@progbits,_ZN7rocprim17ROCPRIM_400000_NS6detail17trampoline_kernelINS0_13select_configILj256ELj13ELNS0_17block_load_methodE3ELS4_3ELS4_3ELNS0_20block_scan_algorithmE0ELj4294967295EEENS1_25partition_config_selectorILNS1_17partition_subalgoE3EjNS0_10empty_typeEbEEZZNS1_14partition_implILS8_3ELb0ES6_jNS0_17counting_iteratorIjlEEPS9_SE_NS0_5tupleIJPjSE_EEENSF_IJSE_SE_EEES9_SG_JZNS1_25segmented_radix_sort_implINS0_14default_configELb1EPK6__halfPSL_PKlPlN2at6native12_GLOBAL__N_18offset_tEEE10hipError_tPvRmT1_PNSt15iterator_traitsISZ_E10value_typeET2_T3_PNS10_IS15_E10value_typeET4_jRbjT5_S1B_jjP12ihipStream_tbEUljE_EEESW_SX_SY_S15_S19_S1B_T6_T7_T9_mT8_S1D_bDpT10_ENKUlT_T0_E_clISt17integral_constantIbLb1EES1P_IbLb0EEEEDaS1L_S1M_EUlS1L_E_NS1_11comp_targetILNS1_3genE9ELNS1_11target_archE1100ELNS1_3gpuE3ELNS1_3repE0EEENS1_30default_config_static_selectorELNS0_4arch9wavefront6targetE1EEEvSZ_,comdat
	.globl	_ZN7rocprim17ROCPRIM_400000_NS6detail17trampoline_kernelINS0_13select_configILj256ELj13ELNS0_17block_load_methodE3ELS4_3ELS4_3ELNS0_20block_scan_algorithmE0ELj4294967295EEENS1_25partition_config_selectorILNS1_17partition_subalgoE3EjNS0_10empty_typeEbEEZZNS1_14partition_implILS8_3ELb0ES6_jNS0_17counting_iteratorIjlEEPS9_SE_NS0_5tupleIJPjSE_EEENSF_IJSE_SE_EEES9_SG_JZNS1_25segmented_radix_sort_implINS0_14default_configELb1EPK6__halfPSL_PKlPlN2at6native12_GLOBAL__N_18offset_tEEE10hipError_tPvRmT1_PNSt15iterator_traitsISZ_E10value_typeET2_T3_PNS10_IS15_E10value_typeET4_jRbjT5_S1B_jjP12ihipStream_tbEUljE_EEESW_SX_SY_S15_S19_S1B_T6_T7_T9_mT8_S1D_bDpT10_ENKUlT_T0_E_clISt17integral_constantIbLb1EES1P_IbLb0EEEEDaS1L_S1M_EUlS1L_E_NS1_11comp_targetILNS1_3genE9ELNS1_11target_archE1100ELNS1_3gpuE3ELNS1_3repE0EEENS1_30default_config_static_selectorELNS0_4arch9wavefront6targetE1EEEvSZ_ ; -- Begin function _ZN7rocprim17ROCPRIM_400000_NS6detail17trampoline_kernelINS0_13select_configILj256ELj13ELNS0_17block_load_methodE3ELS4_3ELS4_3ELNS0_20block_scan_algorithmE0ELj4294967295EEENS1_25partition_config_selectorILNS1_17partition_subalgoE3EjNS0_10empty_typeEbEEZZNS1_14partition_implILS8_3ELb0ES6_jNS0_17counting_iteratorIjlEEPS9_SE_NS0_5tupleIJPjSE_EEENSF_IJSE_SE_EEES9_SG_JZNS1_25segmented_radix_sort_implINS0_14default_configELb1EPK6__halfPSL_PKlPlN2at6native12_GLOBAL__N_18offset_tEEE10hipError_tPvRmT1_PNSt15iterator_traitsISZ_E10value_typeET2_T3_PNS10_IS15_E10value_typeET4_jRbjT5_S1B_jjP12ihipStream_tbEUljE_EEESW_SX_SY_S15_S19_S1B_T6_T7_T9_mT8_S1D_bDpT10_ENKUlT_T0_E_clISt17integral_constantIbLb1EES1P_IbLb0EEEEDaS1L_S1M_EUlS1L_E_NS1_11comp_targetILNS1_3genE9ELNS1_11target_archE1100ELNS1_3gpuE3ELNS1_3repE0EEENS1_30default_config_static_selectorELNS0_4arch9wavefront6targetE1EEEvSZ_
	.p2align	8
	.type	_ZN7rocprim17ROCPRIM_400000_NS6detail17trampoline_kernelINS0_13select_configILj256ELj13ELNS0_17block_load_methodE3ELS4_3ELS4_3ELNS0_20block_scan_algorithmE0ELj4294967295EEENS1_25partition_config_selectorILNS1_17partition_subalgoE3EjNS0_10empty_typeEbEEZZNS1_14partition_implILS8_3ELb0ES6_jNS0_17counting_iteratorIjlEEPS9_SE_NS0_5tupleIJPjSE_EEENSF_IJSE_SE_EEES9_SG_JZNS1_25segmented_radix_sort_implINS0_14default_configELb1EPK6__halfPSL_PKlPlN2at6native12_GLOBAL__N_18offset_tEEE10hipError_tPvRmT1_PNSt15iterator_traitsISZ_E10value_typeET2_T3_PNS10_IS15_E10value_typeET4_jRbjT5_S1B_jjP12ihipStream_tbEUljE_EEESW_SX_SY_S15_S19_S1B_T6_T7_T9_mT8_S1D_bDpT10_ENKUlT_T0_E_clISt17integral_constantIbLb1EES1P_IbLb0EEEEDaS1L_S1M_EUlS1L_E_NS1_11comp_targetILNS1_3genE9ELNS1_11target_archE1100ELNS1_3gpuE3ELNS1_3repE0EEENS1_30default_config_static_selectorELNS0_4arch9wavefront6targetE1EEEvSZ_,@function
_ZN7rocprim17ROCPRIM_400000_NS6detail17trampoline_kernelINS0_13select_configILj256ELj13ELNS0_17block_load_methodE3ELS4_3ELS4_3ELNS0_20block_scan_algorithmE0ELj4294967295EEENS1_25partition_config_selectorILNS1_17partition_subalgoE3EjNS0_10empty_typeEbEEZZNS1_14partition_implILS8_3ELb0ES6_jNS0_17counting_iteratorIjlEEPS9_SE_NS0_5tupleIJPjSE_EEENSF_IJSE_SE_EEES9_SG_JZNS1_25segmented_radix_sort_implINS0_14default_configELb1EPK6__halfPSL_PKlPlN2at6native12_GLOBAL__N_18offset_tEEE10hipError_tPvRmT1_PNSt15iterator_traitsISZ_E10value_typeET2_T3_PNS10_IS15_E10value_typeET4_jRbjT5_S1B_jjP12ihipStream_tbEUljE_EEESW_SX_SY_S15_S19_S1B_T6_T7_T9_mT8_S1D_bDpT10_ENKUlT_T0_E_clISt17integral_constantIbLb1EES1P_IbLb0EEEEDaS1L_S1M_EUlS1L_E_NS1_11comp_targetILNS1_3genE9ELNS1_11target_archE1100ELNS1_3gpuE3ELNS1_3repE0EEENS1_30default_config_static_selectorELNS0_4arch9wavefront6targetE1EEEvSZ_: ; @_ZN7rocprim17ROCPRIM_400000_NS6detail17trampoline_kernelINS0_13select_configILj256ELj13ELNS0_17block_load_methodE3ELS4_3ELS4_3ELNS0_20block_scan_algorithmE0ELj4294967295EEENS1_25partition_config_selectorILNS1_17partition_subalgoE3EjNS0_10empty_typeEbEEZZNS1_14partition_implILS8_3ELb0ES6_jNS0_17counting_iteratorIjlEEPS9_SE_NS0_5tupleIJPjSE_EEENSF_IJSE_SE_EEES9_SG_JZNS1_25segmented_radix_sort_implINS0_14default_configELb1EPK6__halfPSL_PKlPlN2at6native12_GLOBAL__N_18offset_tEEE10hipError_tPvRmT1_PNSt15iterator_traitsISZ_E10value_typeET2_T3_PNS10_IS15_E10value_typeET4_jRbjT5_S1B_jjP12ihipStream_tbEUljE_EEESW_SX_SY_S15_S19_S1B_T6_T7_T9_mT8_S1D_bDpT10_ENKUlT_T0_E_clISt17integral_constantIbLb1EES1P_IbLb0EEEEDaS1L_S1M_EUlS1L_E_NS1_11comp_targetILNS1_3genE9ELNS1_11target_archE1100ELNS1_3gpuE3ELNS1_3repE0EEENS1_30default_config_static_selectorELNS0_4arch9wavefront6targetE1EEEvSZ_
; %bb.0:
	.section	.rodata,"a",@progbits
	.p2align	6, 0x0
	.amdhsa_kernel _ZN7rocprim17ROCPRIM_400000_NS6detail17trampoline_kernelINS0_13select_configILj256ELj13ELNS0_17block_load_methodE3ELS4_3ELS4_3ELNS0_20block_scan_algorithmE0ELj4294967295EEENS1_25partition_config_selectorILNS1_17partition_subalgoE3EjNS0_10empty_typeEbEEZZNS1_14partition_implILS8_3ELb0ES6_jNS0_17counting_iteratorIjlEEPS9_SE_NS0_5tupleIJPjSE_EEENSF_IJSE_SE_EEES9_SG_JZNS1_25segmented_radix_sort_implINS0_14default_configELb1EPK6__halfPSL_PKlPlN2at6native12_GLOBAL__N_18offset_tEEE10hipError_tPvRmT1_PNSt15iterator_traitsISZ_E10value_typeET2_T3_PNS10_IS15_E10value_typeET4_jRbjT5_S1B_jjP12ihipStream_tbEUljE_EEESW_SX_SY_S15_S19_S1B_T6_T7_T9_mT8_S1D_bDpT10_ENKUlT_T0_E_clISt17integral_constantIbLb1EES1P_IbLb0EEEEDaS1L_S1M_EUlS1L_E_NS1_11comp_targetILNS1_3genE9ELNS1_11target_archE1100ELNS1_3gpuE3ELNS1_3repE0EEENS1_30default_config_static_selectorELNS0_4arch9wavefront6targetE1EEEvSZ_
		.amdhsa_group_segment_fixed_size 0
		.amdhsa_private_segment_fixed_size 0
		.amdhsa_kernarg_size 144
		.amdhsa_user_sgpr_count 6
		.amdhsa_user_sgpr_private_segment_buffer 1
		.amdhsa_user_sgpr_dispatch_ptr 0
		.amdhsa_user_sgpr_queue_ptr 0
		.amdhsa_user_sgpr_kernarg_segment_ptr 1
		.amdhsa_user_sgpr_dispatch_id 0
		.amdhsa_user_sgpr_flat_scratch_init 0
		.amdhsa_user_sgpr_private_segment_size 0
		.amdhsa_uses_dynamic_stack 0
		.amdhsa_system_sgpr_private_segment_wavefront_offset 0
		.amdhsa_system_sgpr_workgroup_id_x 1
		.amdhsa_system_sgpr_workgroup_id_y 0
		.amdhsa_system_sgpr_workgroup_id_z 0
		.amdhsa_system_sgpr_workgroup_info 0
		.amdhsa_system_vgpr_workitem_id 0
		.amdhsa_next_free_vgpr 1
		.amdhsa_next_free_sgpr 0
		.amdhsa_reserve_vcc 0
		.amdhsa_reserve_flat_scratch 0
		.amdhsa_float_round_mode_32 0
		.amdhsa_float_round_mode_16_64 0
		.amdhsa_float_denorm_mode_32 3
		.amdhsa_float_denorm_mode_16_64 3
		.amdhsa_dx10_clamp 1
		.amdhsa_ieee_mode 1
		.amdhsa_fp16_overflow 0
		.amdhsa_exception_fp_ieee_invalid_op 0
		.amdhsa_exception_fp_denorm_src 0
		.amdhsa_exception_fp_ieee_div_zero 0
		.amdhsa_exception_fp_ieee_overflow 0
		.amdhsa_exception_fp_ieee_underflow 0
		.amdhsa_exception_fp_ieee_inexact 0
		.amdhsa_exception_int_div_zero 0
	.end_amdhsa_kernel
	.section	.text._ZN7rocprim17ROCPRIM_400000_NS6detail17trampoline_kernelINS0_13select_configILj256ELj13ELNS0_17block_load_methodE3ELS4_3ELS4_3ELNS0_20block_scan_algorithmE0ELj4294967295EEENS1_25partition_config_selectorILNS1_17partition_subalgoE3EjNS0_10empty_typeEbEEZZNS1_14partition_implILS8_3ELb0ES6_jNS0_17counting_iteratorIjlEEPS9_SE_NS0_5tupleIJPjSE_EEENSF_IJSE_SE_EEES9_SG_JZNS1_25segmented_radix_sort_implINS0_14default_configELb1EPK6__halfPSL_PKlPlN2at6native12_GLOBAL__N_18offset_tEEE10hipError_tPvRmT1_PNSt15iterator_traitsISZ_E10value_typeET2_T3_PNS10_IS15_E10value_typeET4_jRbjT5_S1B_jjP12ihipStream_tbEUljE_EEESW_SX_SY_S15_S19_S1B_T6_T7_T9_mT8_S1D_bDpT10_ENKUlT_T0_E_clISt17integral_constantIbLb1EES1P_IbLb0EEEEDaS1L_S1M_EUlS1L_E_NS1_11comp_targetILNS1_3genE9ELNS1_11target_archE1100ELNS1_3gpuE3ELNS1_3repE0EEENS1_30default_config_static_selectorELNS0_4arch9wavefront6targetE1EEEvSZ_,"axG",@progbits,_ZN7rocprim17ROCPRIM_400000_NS6detail17trampoline_kernelINS0_13select_configILj256ELj13ELNS0_17block_load_methodE3ELS4_3ELS4_3ELNS0_20block_scan_algorithmE0ELj4294967295EEENS1_25partition_config_selectorILNS1_17partition_subalgoE3EjNS0_10empty_typeEbEEZZNS1_14partition_implILS8_3ELb0ES6_jNS0_17counting_iteratorIjlEEPS9_SE_NS0_5tupleIJPjSE_EEENSF_IJSE_SE_EEES9_SG_JZNS1_25segmented_radix_sort_implINS0_14default_configELb1EPK6__halfPSL_PKlPlN2at6native12_GLOBAL__N_18offset_tEEE10hipError_tPvRmT1_PNSt15iterator_traitsISZ_E10value_typeET2_T3_PNS10_IS15_E10value_typeET4_jRbjT5_S1B_jjP12ihipStream_tbEUljE_EEESW_SX_SY_S15_S19_S1B_T6_T7_T9_mT8_S1D_bDpT10_ENKUlT_T0_E_clISt17integral_constantIbLb1EES1P_IbLb0EEEEDaS1L_S1M_EUlS1L_E_NS1_11comp_targetILNS1_3genE9ELNS1_11target_archE1100ELNS1_3gpuE3ELNS1_3repE0EEENS1_30default_config_static_selectorELNS0_4arch9wavefront6targetE1EEEvSZ_,comdat
.Lfunc_end1729:
	.size	_ZN7rocprim17ROCPRIM_400000_NS6detail17trampoline_kernelINS0_13select_configILj256ELj13ELNS0_17block_load_methodE3ELS4_3ELS4_3ELNS0_20block_scan_algorithmE0ELj4294967295EEENS1_25partition_config_selectorILNS1_17partition_subalgoE3EjNS0_10empty_typeEbEEZZNS1_14partition_implILS8_3ELb0ES6_jNS0_17counting_iteratorIjlEEPS9_SE_NS0_5tupleIJPjSE_EEENSF_IJSE_SE_EEES9_SG_JZNS1_25segmented_radix_sort_implINS0_14default_configELb1EPK6__halfPSL_PKlPlN2at6native12_GLOBAL__N_18offset_tEEE10hipError_tPvRmT1_PNSt15iterator_traitsISZ_E10value_typeET2_T3_PNS10_IS15_E10value_typeET4_jRbjT5_S1B_jjP12ihipStream_tbEUljE_EEESW_SX_SY_S15_S19_S1B_T6_T7_T9_mT8_S1D_bDpT10_ENKUlT_T0_E_clISt17integral_constantIbLb1EES1P_IbLb0EEEEDaS1L_S1M_EUlS1L_E_NS1_11comp_targetILNS1_3genE9ELNS1_11target_archE1100ELNS1_3gpuE3ELNS1_3repE0EEENS1_30default_config_static_selectorELNS0_4arch9wavefront6targetE1EEEvSZ_, .Lfunc_end1729-_ZN7rocprim17ROCPRIM_400000_NS6detail17trampoline_kernelINS0_13select_configILj256ELj13ELNS0_17block_load_methodE3ELS4_3ELS4_3ELNS0_20block_scan_algorithmE0ELj4294967295EEENS1_25partition_config_selectorILNS1_17partition_subalgoE3EjNS0_10empty_typeEbEEZZNS1_14partition_implILS8_3ELb0ES6_jNS0_17counting_iteratorIjlEEPS9_SE_NS0_5tupleIJPjSE_EEENSF_IJSE_SE_EEES9_SG_JZNS1_25segmented_radix_sort_implINS0_14default_configELb1EPK6__halfPSL_PKlPlN2at6native12_GLOBAL__N_18offset_tEEE10hipError_tPvRmT1_PNSt15iterator_traitsISZ_E10value_typeET2_T3_PNS10_IS15_E10value_typeET4_jRbjT5_S1B_jjP12ihipStream_tbEUljE_EEESW_SX_SY_S15_S19_S1B_T6_T7_T9_mT8_S1D_bDpT10_ENKUlT_T0_E_clISt17integral_constantIbLb1EES1P_IbLb0EEEEDaS1L_S1M_EUlS1L_E_NS1_11comp_targetILNS1_3genE9ELNS1_11target_archE1100ELNS1_3gpuE3ELNS1_3repE0EEENS1_30default_config_static_selectorELNS0_4arch9wavefront6targetE1EEEvSZ_
                                        ; -- End function
	.set _ZN7rocprim17ROCPRIM_400000_NS6detail17trampoline_kernelINS0_13select_configILj256ELj13ELNS0_17block_load_methodE3ELS4_3ELS4_3ELNS0_20block_scan_algorithmE0ELj4294967295EEENS1_25partition_config_selectorILNS1_17partition_subalgoE3EjNS0_10empty_typeEbEEZZNS1_14partition_implILS8_3ELb0ES6_jNS0_17counting_iteratorIjlEEPS9_SE_NS0_5tupleIJPjSE_EEENSF_IJSE_SE_EEES9_SG_JZNS1_25segmented_radix_sort_implINS0_14default_configELb1EPK6__halfPSL_PKlPlN2at6native12_GLOBAL__N_18offset_tEEE10hipError_tPvRmT1_PNSt15iterator_traitsISZ_E10value_typeET2_T3_PNS10_IS15_E10value_typeET4_jRbjT5_S1B_jjP12ihipStream_tbEUljE_EEESW_SX_SY_S15_S19_S1B_T6_T7_T9_mT8_S1D_bDpT10_ENKUlT_T0_E_clISt17integral_constantIbLb1EES1P_IbLb0EEEEDaS1L_S1M_EUlS1L_E_NS1_11comp_targetILNS1_3genE9ELNS1_11target_archE1100ELNS1_3gpuE3ELNS1_3repE0EEENS1_30default_config_static_selectorELNS0_4arch9wavefront6targetE1EEEvSZ_.num_vgpr, 0
	.set _ZN7rocprim17ROCPRIM_400000_NS6detail17trampoline_kernelINS0_13select_configILj256ELj13ELNS0_17block_load_methodE3ELS4_3ELS4_3ELNS0_20block_scan_algorithmE0ELj4294967295EEENS1_25partition_config_selectorILNS1_17partition_subalgoE3EjNS0_10empty_typeEbEEZZNS1_14partition_implILS8_3ELb0ES6_jNS0_17counting_iteratorIjlEEPS9_SE_NS0_5tupleIJPjSE_EEENSF_IJSE_SE_EEES9_SG_JZNS1_25segmented_radix_sort_implINS0_14default_configELb1EPK6__halfPSL_PKlPlN2at6native12_GLOBAL__N_18offset_tEEE10hipError_tPvRmT1_PNSt15iterator_traitsISZ_E10value_typeET2_T3_PNS10_IS15_E10value_typeET4_jRbjT5_S1B_jjP12ihipStream_tbEUljE_EEESW_SX_SY_S15_S19_S1B_T6_T7_T9_mT8_S1D_bDpT10_ENKUlT_T0_E_clISt17integral_constantIbLb1EES1P_IbLb0EEEEDaS1L_S1M_EUlS1L_E_NS1_11comp_targetILNS1_3genE9ELNS1_11target_archE1100ELNS1_3gpuE3ELNS1_3repE0EEENS1_30default_config_static_selectorELNS0_4arch9wavefront6targetE1EEEvSZ_.num_agpr, 0
	.set _ZN7rocprim17ROCPRIM_400000_NS6detail17trampoline_kernelINS0_13select_configILj256ELj13ELNS0_17block_load_methodE3ELS4_3ELS4_3ELNS0_20block_scan_algorithmE0ELj4294967295EEENS1_25partition_config_selectorILNS1_17partition_subalgoE3EjNS0_10empty_typeEbEEZZNS1_14partition_implILS8_3ELb0ES6_jNS0_17counting_iteratorIjlEEPS9_SE_NS0_5tupleIJPjSE_EEENSF_IJSE_SE_EEES9_SG_JZNS1_25segmented_radix_sort_implINS0_14default_configELb1EPK6__halfPSL_PKlPlN2at6native12_GLOBAL__N_18offset_tEEE10hipError_tPvRmT1_PNSt15iterator_traitsISZ_E10value_typeET2_T3_PNS10_IS15_E10value_typeET4_jRbjT5_S1B_jjP12ihipStream_tbEUljE_EEESW_SX_SY_S15_S19_S1B_T6_T7_T9_mT8_S1D_bDpT10_ENKUlT_T0_E_clISt17integral_constantIbLb1EES1P_IbLb0EEEEDaS1L_S1M_EUlS1L_E_NS1_11comp_targetILNS1_3genE9ELNS1_11target_archE1100ELNS1_3gpuE3ELNS1_3repE0EEENS1_30default_config_static_selectorELNS0_4arch9wavefront6targetE1EEEvSZ_.numbered_sgpr, 0
	.set _ZN7rocprim17ROCPRIM_400000_NS6detail17trampoline_kernelINS0_13select_configILj256ELj13ELNS0_17block_load_methodE3ELS4_3ELS4_3ELNS0_20block_scan_algorithmE0ELj4294967295EEENS1_25partition_config_selectorILNS1_17partition_subalgoE3EjNS0_10empty_typeEbEEZZNS1_14partition_implILS8_3ELb0ES6_jNS0_17counting_iteratorIjlEEPS9_SE_NS0_5tupleIJPjSE_EEENSF_IJSE_SE_EEES9_SG_JZNS1_25segmented_radix_sort_implINS0_14default_configELb1EPK6__halfPSL_PKlPlN2at6native12_GLOBAL__N_18offset_tEEE10hipError_tPvRmT1_PNSt15iterator_traitsISZ_E10value_typeET2_T3_PNS10_IS15_E10value_typeET4_jRbjT5_S1B_jjP12ihipStream_tbEUljE_EEESW_SX_SY_S15_S19_S1B_T6_T7_T9_mT8_S1D_bDpT10_ENKUlT_T0_E_clISt17integral_constantIbLb1EES1P_IbLb0EEEEDaS1L_S1M_EUlS1L_E_NS1_11comp_targetILNS1_3genE9ELNS1_11target_archE1100ELNS1_3gpuE3ELNS1_3repE0EEENS1_30default_config_static_selectorELNS0_4arch9wavefront6targetE1EEEvSZ_.num_named_barrier, 0
	.set _ZN7rocprim17ROCPRIM_400000_NS6detail17trampoline_kernelINS0_13select_configILj256ELj13ELNS0_17block_load_methodE3ELS4_3ELS4_3ELNS0_20block_scan_algorithmE0ELj4294967295EEENS1_25partition_config_selectorILNS1_17partition_subalgoE3EjNS0_10empty_typeEbEEZZNS1_14partition_implILS8_3ELb0ES6_jNS0_17counting_iteratorIjlEEPS9_SE_NS0_5tupleIJPjSE_EEENSF_IJSE_SE_EEES9_SG_JZNS1_25segmented_radix_sort_implINS0_14default_configELb1EPK6__halfPSL_PKlPlN2at6native12_GLOBAL__N_18offset_tEEE10hipError_tPvRmT1_PNSt15iterator_traitsISZ_E10value_typeET2_T3_PNS10_IS15_E10value_typeET4_jRbjT5_S1B_jjP12ihipStream_tbEUljE_EEESW_SX_SY_S15_S19_S1B_T6_T7_T9_mT8_S1D_bDpT10_ENKUlT_T0_E_clISt17integral_constantIbLb1EES1P_IbLb0EEEEDaS1L_S1M_EUlS1L_E_NS1_11comp_targetILNS1_3genE9ELNS1_11target_archE1100ELNS1_3gpuE3ELNS1_3repE0EEENS1_30default_config_static_selectorELNS0_4arch9wavefront6targetE1EEEvSZ_.private_seg_size, 0
	.set _ZN7rocprim17ROCPRIM_400000_NS6detail17trampoline_kernelINS0_13select_configILj256ELj13ELNS0_17block_load_methodE3ELS4_3ELS4_3ELNS0_20block_scan_algorithmE0ELj4294967295EEENS1_25partition_config_selectorILNS1_17partition_subalgoE3EjNS0_10empty_typeEbEEZZNS1_14partition_implILS8_3ELb0ES6_jNS0_17counting_iteratorIjlEEPS9_SE_NS0_5tupleIJPjSE_EEENSF_IJSE_SE_EEES9_SG_JZNS1_25segmented_radix_sort_implINS0_14default_configELb1EPK6__halfPSL_PKlPlN2at6native12_GLOBAL__N_18offset_tEEE10hipError_tPvRmT1_PNSt15iterator_traitsISZ_E10value_typeET2_T3_PNS10_IS15_E10value_typeET4_jRbjT5_S1B_jjP12ihipStream_tbEUljE_EEESW_SX_SY_S15_S19_S1B_T6_T7_T9_mT8_S1D_bDpT10_ENKUlT_T0_E_clISt17integral_constantIbLb1EES1P_IbLb0EEEEDaS1L_S1M_EUlS1L_E_NS1_11comp_targetILNS1_3genE9ELNS1_11target_archE1100ELNS1_3gpuE3ELNS1_3repE0EEENS1_30default_config_static_selectorELNS0_4arch9wavefront6targetE1EEEvSZ_.uses_vcc, 0
	.set _ZN7rocprim17ROCPRIM_400000_NS6detail17trampoline_kernelINS0_13select_configILj256ELj13ELNS0_17block_load_methodE3ELS4_3ELS4_3ELNS0_20block_scan_algorithmE0ELj4294967295EEENS1_25partition_config_selectorILNS1_17partition_subalgoE3EjNS0_10empty_typeEbEEZZNS1_14partition_implILS8_3ELb0ES6_jNS0_17counting_iteratorIjlEEPS9_SE_NS0_5tupleIJPjSE_EEENSF_IJSE_SE_EEES9_SG_JZNS1_25segmented_radix_sort_implINS0_14default_configELb1EPK6__halfPSL_PKlPlN2at6native12_GLOBAL__N_18offset_tEEE10hipError_tPvRmT1_PNSt15iterator_traitsISZ_E10value_typeET2_T3_PNS10_IS15_E10value_typeET4_jRbjT5_S1B_jjP12ihipStream_tbEUljE_EEESW_SX_SY_S15_S19_S1B_T6_T7_T9_mT8_S1D_bDpT10_ENKUlT_T0_E_clISt17integral_constantIbLb1EES1P_IbLb0EEEEDaS1L_S1M_EUlS1L_E_NS1_11comp_targetILNS1_3genE9ELNS1_11target_archE1100ELNS1_3gpuE3ELNS1_3repE0EEENS1_30default_config_static_selectorELNS0_4arch9wavefront6targetE1EEEvSZ_.uses_flat_scratch, 0
	.set _ZN7rocprim17ROCPRIM_400000_NS6detail17trampoline_kernelINS0_13select_configILj256ELj13ELNS0_17block_load_methodE3ELS4_3ELS4_3ELNS0_20block_scan_algorithmE0ELj4294967295EEENS1_25partition_config_selectorILNS1_17partition_subalgoE3EjNS0_10empty_typeEbEEZZNS1_14partition_implILS8_3ELb0ES6_jNS0_17counting_iteratorIjlEEPS9_SE_NS0_5tupleIJPjSE_EEENSF_IJSE_SE_EEES9_SG_JZNS1_25segmented_radix_sort_implINS0_14default_configELb1EPK6__halfPSL_PKlPlN2at6native12_GLOBAL__N_18offset_tEEE10hipError_tPvRmT1_PNSt15iterator_traitsISZ_E10value_typeET2_T3_PNS10_IS15_E10value_typeET4_jRbjT5_S1B_jjP12ihipStream_tbEUljE_EEESW_SX_SY_S15_S19_S1B_T6_T7_T9_mT8_S1D_bDpT10_ENKUlT_T0_E_clISt17integral_constantIbLb1EES1P_IbLb0EEEEDaS1L_S1M_EUlS1L_E_NS1_11comp_targetILNS1_3genE9ELNS1_11target_archE1100ELNS1_3gpuE3ELNS1_3repE0EEENS1_30default_config_static_selectorELNS0_4arch9wavefront6targetE1EEEvSZ_.has_dyn_sized_stack, 0
	.set _ZN7rocprim17ROCPRIM_400000_NS6detail17trampoline_kernelINS0_13select_configILj256ELj13ELNS0_17block_load_methodE3ELS4_3ELS4_3ELNS0_20block_scan_algorithmE0ELj4294967295EEENS1_25partition_config_selectorILNS1_17partition_subalgoE3EjNS0_10empty_typeEbEEZZNS1_14partition_implILS8_3ELb0ES6_jNS0_17counting_iteratorIjlEEPS9_SE_NS0_5tupleIJPjSE_EEENSF_IJSE_SE_EEES9_SG_JZNS1_25segmented_radix_sort_implINS0_14default_configELb1EPK6__halfPSL_PKlPlN2at6native12_GLOBAL__N_18offset_tEEE10hipError_tPvRmT1_PNSt15iterator_traitsISZ_E10value_typeET2_T3_PNS10_IS15_E10value_typeET4_jRbjT5_S1B_jjP12ihipStream_tbEUljE_EEESW_SX_SY_S15_S19_S1B_T6_T7_T9_mT8_S1D_bDpT10_ENKUlT_T0_E_clISt17integral_constantIbLb1EES1P_IbLb0EEEEDaS1L_S1M_EUlS1L_E_NS1_11comp_targetILNS1_3genE9ELNS1_11target_archE1100ELNS1_3gpuE3ELNS1_3repE0EEENS1_30default_config_static_selectorELNS0_4arch9wavefront6targetE1EEEvSZ_.has_recursion, 0
	.set _ZN7rocprim17ROCPRIM_400000_NS6detail17trampoline_kernelINS0_13select_configILj256ELj13ELNS0_17block_load_methodE3ELS4_3ELS4_3ELNS0_20block_scan_algorithmE0ELj4294967295EEENS1_25partition_config_selectorILNS1_17partition_subalgoE3EjNS0_10empty_typeEbEEZZNS1_14partition_implILS8_3ELb0ES6_jNS0_17counting_iteratorIjlEEPS9_SE_NS0_5tupleIJPjSE_EEENSF_IJSE_SE_EEES9_SG_JZNS1_25segmented_radix_sort_implINS0_14default_configELb1EPK6__halfPSL_PKlPlN2at6native12_GLOBAL__N_18offset_tEEE10hipError_tPvRmT1_PNSt15iterator_traitsISZ_E10value_typeET2_T3_PNS10_IS15_E10value_typeET4_jRbjT5_S1B_jjP12ihipStream_tbEUljE_EEESW_SX_SY_S15_S19_S1B_T6_T7_T9_mT8_S1D_bDpT10_ENKUlT_T0_E_clISt17integral_constantIbLb1EES1P_IbLb0EEEEDaS1L_S1M_EUlS1L_E_NS1_11comp_targetILNS1_3genE9ELNS1_11target_archE1100ELNS1_3gpuE3ELNS1_3repE0EEENS1_30default_config_static_selectorELNS0_4arch9wavefront6targetE1EEEvSZ_.has_indirect_call, 0
	.section	.AMDGPU.csdata,"",@progbits
; Kernel info:
; codeLenInByte = 0
; TotalNumSgprs: 4
; NumVgprs: 0
; ScratchSize: 0
; MemoryBound: 0
; FloatMode: 240
; IeeeMode: 1
; LDSByteSize: 0 bytes/workgroup (compile time only)
; SGPRBlocks: 0
; VGPRBlocks: 0
; NumSGPRsForWavesPerEU: 4
; NumVGPRsForWavesPerEU: 1
; Occupancy: 10
; WaveLimiterHint : 0
; COMPUTE_PGM_RSRC2:SCRATCH_EN: 0
; COMPUTE_PGM_RSRC2:USER_SGPR: 6
; COMPUTE_PGM_RSRC2:TRAP_HANDLER: 0
; COMPUTE_PGM_RSRC2:TGID_X_EN: 1
; COMPUTE_PGM_RSRC2:TGID_Y_EN: 0
; COMPUTE_PGM_RSRC2:TGID_Z_EN: 0
; COMPUTE_PGM_RSRC2:TIDIG_COMP_CNT: 0
	.section	.text._ZN7rocprim17ROCPRIM_400000_NS6detail17trampoline_kernelINS0_13select_configILj256ELj13ELNS0_17block_load_methodE3ELS4_3ELS4_3ELNS0_20block_scan_algorithmE0ELj4294967295EEENS1_25partition_config_selectorILNS1_17partition_subalgoE3EjNS0_10empty_typeEbEEZZNS1_14partition_implILS8_3ELb0ES6_jNS0_17counting_iteratorIjlEEPS9_SE_NS0_5tupleIJPjSE_EEENSF_IJSE_SE_EEES9_SG_JZNS1_25segmented_radix_sort_implINS0_14default_configELb1EPK6__halfPSL_PKlPlN2at6native12_GLOBAL__N_18offset_tEEE10hipError_tPvRmT1_PNSt15iterator_traitsISZ_E10value_typeET2_T3_PNS10_IS15_E10value_typeET4_jRbjT5_S1B_jjP12ihipStream_tbEUljE_EEESW_SX_SY_S15_S19_S1B_T6_T7_T9_mT8_S1D_bDpT10_ENKUlT_T0_E_clISt17integral_constantIbLb1EES1P_IbLb0EEEEDaS1L_S1M_EUlS1L_E_NS1_11comp_targetILNS1_3genE8ELNS1_11target_archE1030ELNS1_3gpuE2ELNS1_3repE0EEENS1_30default_config_static_selectorELNS0_4arch9wavefront6targetE1EEEvSZ_,"axG",@progbits,_ZN7rocprim17ROCPRIM_400000_NS6detail17trampoline_kernelINS0_13select_configILj256ELj13ELNS0_17block_load_methodE3ELS4_3ELS4_3ELNS0_20block_scan_algorithmE0ELj4294967295EEENS1_25partition_config_selectorILNS1_17partition_subalgoE3EjNS0_10empty_typeEbEEZZNS1_14partition_implILS8_3ELb0ES6_jNS0_17counting_iteratorIjlEEPS9_SE_NS0_5tupleIJPjSE_EEENSF_IJSE_SE_EEES9_SG_JZNS1_25segmented_radix_sort_implINS0_14default_configELb1EPK6__halfPSL_PKlPlN2at6native12_GLOBAL__N_18offset_tEEE10hipError_tPvRmT1_PNSt15iterator_traitsISZ_E10value_typeET2_T3_PNS10_IS15_E10value_typeET4_jRbjT5_S1B_jjP12ihipStream_tbEUljE_EEESW_SX_SY_S15_S19_S1B_T6_T7_T9_mT8_S1D_bDpT10_ENKUlT_T0_E_clISt17integral_constantIbLb1EES1P_IbLb0EEEEDaS1L_S1M_EUlS1L_E_NS1_11comp_targetILNS1_3genE8ELNS1_11target_archE1030ELNS1_3gpuE2ELNS1_3repE0EEENS1_30default_config_static_selectorELNS0_4arch9wavefront6targetE1EEEvSZ_,comdat
	.globl	_ZN7rocprim17ROCPRIM_400000_NS6detail17trampoline_kernelINS0_13select_configILj256ELj13ELNS0_17block_load_methodE3ELS4_3ELS4_3ELNS0_20block_scan_algorithmE0ELj4294967295EEENS1_25partition_config_selectorILNS1_17partition_subalgoE3EjNS0_10empty_typeEbEEZZNS1_14partition_implILS8_3ELb0ES6_jNS0_17counting_iteratorIjlEEPS9_SE_NS0_5tupleIJPjSE_EEENSF_IJSE_SE_EEES9_SG_JZNS1_25segmented_radix_sort_implINS0_14default_configELb1EPK6__halfPSL_PKlPlN2at6native12_GLOBAL__N_18offset_tEEE10hipError_tPvRmT1_PNSt15iterator_traitsISZ_E10value_typeET2_T3_PNS10_IS15_E10value_typeET4_jRbjT5_S1B_jjP12ihipStream_tbEUljE_EEESW_SX_SY_S15_S19_S1B_T6_T7_T9_mT8_S1D_bDpT10_ENKUlT_T0_E_clISt17integral_constantIbLb1EES1P_IbLb0EEEEDaS1L_S1M_EUlS1L_E_NS1_11comp_targetILNS1_3genE8ELNS1_11target_archE1030ELNS1_3gpuE2ELNS1_3repE0EEENS1_30default_config_static_selectorELNS0_4arch9wavefront6targetE1EEEvSZ_ ; -- Begin function _ZN7rocprim17ROCPRIM_400000_NS6detail17trampoline_kernelINS0_13select_configILj256ELj13ELNS0_17block_load_methodE3ELS4_3ELS4_3ELNS0_20block_scan_algorithmE0ELj4294967295EEENS1_25partition_config_selectorILNS1_17partition_subalgoE3EjNS0_10empty_typeEbEEZZNS1_14partition_implILS8_3ELb0ES6_jNS0_17counting_iteratorIjlEEPS9_SE_NS0_5tupleIJPjSE_EEENSF_IJSE_SE_EEES9_SG_JZNS1_25segmented_radix_sort_implINS0_14default_configELb1EPK6__halfPSL_PKlPlN2at6native12_GLOBAL__N_18offset_tEEE10hipError_tPvRmT1_PNSt15iterator_traitsISZ_E10value_typeET2_T3_PNS10_IS15_E10value_typeET4_jRbjT5_S1B_jjP12ihipStream_tbEUljE_EEESW_SX_SY_S15_S19_S1B_T6_T7_T9_mT8_S1D_bDpT10_ENKUlT_T0_E_clISt17integral_constantIbLb1EES1P_IbLb0EEEEDaS1L_S1M_EUlS1L_E_NS1_11comp_targetILNS1_3genE8ELNS1_11target_archE1030ELNS1_3gpuE2ELNS1_3repE0EEENS1_30default_config_static_selectorELNS0_4arch9wavefront6targetE1EEEvSZ_
	.p2align	8
	.type	_ZN7rocprim17ROCPRIM_400000_NS6detail17trampoline_kernelINS0_13select_configILj256ELj13ELNS0_17block_load_methodE3ELS4_3ELS4_3ELNS0_20block_scan_algorithmE0ELj4294967295EEENS1_25partition_config_selectorILNS1_17partition_subalgoE3EjNS0_10empty_typeEbEEZZNS1_14partition_implILS8_3ELb0ES6_jNS0_17counting_iteratorIjlEEPS9_SE_NS0_5tupleIJPjSE_EEENSF_IJSE_SE_EEES9_SG_JZNS1_25segmented_radix_sort_implINS0_14default_configELb1EPK6__halfPSL_PKlPlN2at6native12_GLOBAL__N_18offset_tEEE10hipError_tPvRmT1_PNSt15iterator_traitsISZ_E10value_typeET2_T3_PNS10_IS15_E10value_typeET4_jRbjT5_S1B_jjP12ihipStream_tbEUljE_EEESW_SX_SY_S15_S19_S1B_T6_T7_T9_mT8_S1D_bDpT10_ENKUlT_T0_E_clISt17integral_constantIbLb1EES1P_IbLb0EEEEDaS1L_S1M_EUlS1L_E_NS1_11comp_targetILNS1_3genE8ELNS1_11target_archE1030ELNS1_3gpuE2ELNS1_3repE0EEENS1_30default_config_static_selectorELNS0_4arch9wavefront6targetE1EEEvSZ_,@function
_ZN7rocprim17ROCPRIM_400000_NS6detail17trampoline_kernelINS0_13select_configILj256ELj13ELNS0_17block_load_methodE3ELS4_3ELS4_3ELNS0_20block_scan_algorithmE0ELj4294967295EEENS1_25partition_config_selectorILNS1_17partition_subalgoE3EjNS0_10empty_typeEbEEZZNS1_14partition_implILS8_3ELb0ES6_jNS0_17counting_iteratorIjlEEPS9_SE_NS0_5tupleIJPjSE_EEENSF_IJSE_SE_EEES9_SG_JZNS1_25segmented_radix_sort_implINS0_14default_configELb1EPK6__halfPSL_PKlPlN2at6native12_GLOBAL__N_18offset_tEEE10hipError_tPvRmT1_PNSt15iterator_traitsISZ_E10value_typeET2_T3_PNS10_IS15_E10value_typeET4_jRbjT5_S1B_jjP12ihipStream_tbEUljE_EEESW_SX_SY_S15_S19_S1B_T6_T7_T9_mT8_S1D_bDpT10_ENKUlT_T0_E_clISt17integral_constantIbLb1EES1P_IbLb0EEEEDaS1L_S1M_EUlS1L_E_NS1_11comp_targetILNS1_3genE8ELNS1_11target_archE1030ELNS1_3gpuE2ELNS1_3repE0EEENS1_30default_config_static_selectorELNS0_4arch9wavefront6targetE1EEEvSZ_: ; @_ZN7rocprim17ROCPRIM_400000_NS6detail17trampoline_kernelINS0_13select_configILj256ELj13ELNS0_17block_load_methodE3ELS4_3ELS4_3ELNS0_20block_scan_algorithmE0ELj4294967295EEENS1_25partition_config_selectorILNS1_17partition_subalgoE3EjNS0_10empty_typeEbEEZZNS1_14partition_implILS8_3ELb0ES6_jNS0_17counting_iteratorIjlEEPS9_SE_NS0_5tupleIJPjSE_EEENSF_IJSE_SE_EEES9_SG_JZNS1_25segmented_radix_sort_implINS0_14default_configELb1EPK6__halfPSL_PKlPlN2at6native12_GLOBAL__N_18offset_tEEE10hipError_tPvRmT1_PNSt15iterator_traitsISZ_E10value_typeET2_T3_PNS10_IS15_E10value_typeET4_jRbjT5_S1B_jjP12ihipStream_tbEUljE_EEESW_SX_SY_S15_S19_S1B_T6_T7_T9_mT8_S1D_bDpT10_ENKUlT_T0_E_clISt17integral_constantIbLb1EES1P_IbLb0EEEEDaS1L_S1M_EUlS1L_E_NS1_11comp_targetILNS1_3genE8ELNS1_11target_archE1030ELNS1_3gpuE2ELNS1_3repE0EEENS1_30default_config_static_selectorELNS0_4arch9wavefront6targetE1EEEvSZ_
; %bb.0:
	.section	.rodata,"a",@progbits
	.p2align	6, 0x0
	.amdhsa_kernel _ZN7rocprim17ROCPRIM_400000_NS6detail17trampoline_kernelINS0_13select_configILj256ELj13ELNS0_17block_load_methodE3ELS4_3ELS4_3ELNS0_20block_scan_algorithmE0ELj4294967295EEENS1_25partition_config_selectorILNS1_17partition_subalgoE3EjNS0_10empty_typeEbEEZZNS1_14partition_implILS8_3ELb0ES6_jNS0_17counting_iteratorIjlEEPS9_SE_NS0_5tupleIJPjSE_EEENSF_IJSE_SE_EEES9_SG_JZNS1_25segmented_radix_sort_implINS0_14default_configELb1EPK6__halfPSL_PKlPlN2at6native12_GLOBAL__N_18offset_tEEE10hipError_tPvRmT1_PNSt15iterator_traitsISZ_E10value_typeET2_T3_PNS10_IS15_E10value_typeET4_jRbjT5_S1B_jjP12ihipStream_tbEUljE_EEESW_SX_SY_S15_S19_S1B_T6_T7_T9_mT8_S1D_bDpT10_ENKUlT_T0_E_clISt17integral_constantIbLb1EES1P_IbLb0EEEEDaS1L_S1M_EUlS1L_E_NS1_11comp_targetILNS1_3genE8ELNS1_11target_archE1030ELNS1_3gpuE2ELNS1_3repE0EEENS1_30default_config_static_selectorELNS0_4arch9wavefront6targetE1EEEvSZ_
		.amdhsa_group_segment_fixed_size 0
		.amdhsa_private_segment_fixed_size 0
		.amdhsa_kernarg_size 144
		.amdhsa_user_sgpr_count 6
		.amdhsa_user_sgpr_private_segment_buffer 1
		.amdhsa_user_sgpr_dispatch_ptr 0
		.amdhsa_user_sgpr_queue_ptr 0
		.amdhsa_user_sgpr_kernarg_segment_ptr 1
		.amdhsa_user_sgpr_dispatch_id 0
		.amdhsa_user_sgpr_flat_scratch_init 0
		.amdhsa_user_sgpr_private_segment_size 0
		.amdhsa_uses_dynamic_stack 0
		.amdhsa_system_sgpr_private_segment_wavefront_offset 0
		.amdhsa_system_sgpr_workgroup_id_x 1
		.amdhsa_system_sgpr_workgroup_id_y 0
		.amdhsa_system_sgpr_workgroup_id_z 0
		.amdhsa_system_sgpr_workgroup_info 0
		.amdhsa_system_vgpr_workitem_id 0
		.amdhsa_next_free_vgpr 1
		.amdhsa_next_free_sgpr 0
		.amdhsa_reserve_vcc 0
		.amdhsa_reserve_flat_scratch 0
		.amdhsa_float_round_mode_32 0
		.amdhsa_float_round_mode_16_64 0
		.amdhsa_float_denorm_mode_32 3
		.amdhsa_float_denorm_mode_16_64 3
		.amdhsa_dx10_clamp 1
		.amdhsa_ieee_mode 1
		.amdhsa_fp16_overflow 0
		.amdhsa_exception_fp_ieee_invalid_op 0
		.amdhsa_exception_fp_denorm_src 0
		.amdhsa_exception_fp_ieee_div_zero 0
		.amdhsa_exception_fp_ieee_overflow 0
		.amdhsa_exception_fp_ieee_underflow 0
		.amdhsa_exception_fp_ieee_inexact 0
		.amdhsa_exception_int_div_zero 0
	.end_amdhsa_kernel
	.section	.text._ZN7rocprim17ROCPRIM_400000_NS6detail17trampoline_kernelINS0_13select_configILj256ELj13ELNS0_17block_load_methodE3ELS4_3ELS4_3ELNS0_20block_scan_algorithmE0ELj4294967295EEENS1_25partition_config_selectorILNS1_17partition_subalgoE3EjNS0_10empty_typeEbEEZZNS1_14partition_implILS8_3ELb0ES6_jNS0_17counting_iteratorIjlEEPS9_SE_NS0_5tupleIJPjSE_EEENSF_IJSE_SE_EEES9_SG_JZNS1_25segmented_radix_sort_implINS0_14default_configELb1EPK6__halfPSL_PKlPlN2at6native12_GLOBAL__N_18offset_tEEE10hipError_tPvRmT1_PNSt15iterator_traitsISZ_E10value_typeET2_T3_PNS10_IS15_E10value_typeET4_jRbjT5_S1B_jjP12ihipStream_tbEUljE_EEESW_SX_SY_S15_S19_S1B_T6_T7_T9_mT8_S1D_bDpT10_ENKUlT_T0_E_clISt17integral_constantIbLb1EES1P_IbLb0EEEEDaS1L_S1M_EUlS1L_E_NS1_11comp_targetILNS1_3genE8ELNS1_11target_archE1030ELNS1_3gpuE2ELNS1_3repE0EEENS1_30default_config_static_selectorELNS0_4arch9wavefront6targetE1EEEvSZ_,"axG",@progbits,_ZN7rocprim17ROCPRIM_400000_NS6detail17trampoline_kernelINS0_13select_configILj256ELj13ELNS0_17block_load_methodE3ELS4_3ELS4_3ELNS0_20block_scan_algorithmE0ELj4294967295EEENS1_25partition_config_selectorILNS1_17partition_subalgoE3EjNS0_10empty_typeEbEEZZNS1_14partition_implILS8_3ELb0ES6_jNS0_17counting_iteratorIjlEEPS9_SE_NS0_5tupleIJPjSE_EEENSF_IJSE_SE_EEES9_SG_JZNS1_25segmented_radix_sort_implINS0_14default_configELb1EPK6__halfPSL_PKlPlN2at6native12_GLOBAL__N_18offset_tEEE10hipError_tPvRmT1_PNSt15iterator_traitsISZ_E10value_typeET2_T3_PNS10_IS15_E10value_typeET4_jRbjT5_S1B_jjP12ihipStream_tbEUljE_EEESW_SX_SY_S15_S19_S1B_T6_T7_T9_mT8_S1D_bDpT10_ENKUlT_T0_E_clISt17integral_constantIbLb1EES1P_IbLb0EEEEDaS1L_S1M_EUlS1L_E_NS1_11comp_targetILNS1_3genE8ELNS1_11target_archE1030ELNS1_3gpuE2ELNS1_3repE0EEENS1_30default_config_static_selectorELNS0_4arch9wavefront6targetE1EEEvSZ_,comdat
.Lfunc_end1730:
	.size	_ZN7rocprim17ROCPRIM_400000_NS6detail17trampoline_kernelINS0_13select_configILj256ELj13ELNS0_17block_load_methodE3ELS4_3ELS4_3ELNS0_20block_scan_algorithmE0ELj4294967295EEENS1_25partition_config_selectorILNS1_17partition_subalgoE3EjNS0_10empty_typeEbEEZZNS1_14partition_implILS8_3ELb0ES6_jNS0_17counting_iteratorIjlEEPS9_SE_NS0_5tupleIJPjSE_EEENSF_IJSE_SE_EEES9_SG_JZNS1_25segmented_radix_sort_implINS0_14default_configELb1EPK6__halfPSL_PKlPlN2at6native12_GLOBAL__N_18offset_tEEE10hipError_tPvRmT1_PNSt15iterator_traitsISZ_E10value_typeET2_T3_PNS10_IS15_E10value_typeET4_jRbjT5_S1B_jjP12ihipStream_tbEUljE_EEESW_SX_SY_S15_S19_S1B_T6_T7_T9_mT8_S1D_bDpT10_ENKUlT_T0_E_clISt17integral_constantIbLb1EES1P_IbLb0EEEEDaS1L_S1M_EUlS1L_E_NS1_11comp_targetILNS1_3genE8ELNS1_11target_archE1030ELNS1_3gpuE2ELNS1_3repE0EEENS1_30default_config_static_selectorELNS0_4arch9wavefront6targetE1EEEvSZ_, .Lfunc_end1730-_ZN7rocprim17ROCPRIM_400000_NS6detail17trampoline_kernelINS0_13select_configILj256ELj13ELNS0_17block_load_methodE3ELS4_3ELS4_3ELNS0_20block_scan_algorithmE0ELj4294967295EEENS1_25partition_config_selectorILNS1_17partition_subalgoE3EjNS0_10empty_typeEbEEZZNS1_14partition_implILS8_3ELb0ES6_jNS0_17counting_iteratorIjlEEPS9_SE_NS0_5tupleIJPjSE_EEENSF_IJSE_SE_EEES9_SG_JZNS1_25segmented_radix_sort_implINS0_14default_configELb1EPK6__halfPSL_PKlPlN2at6native12_GLOBAL__N_18offset_tEEE10hipError_tPvRmT1_PNSt15iterator_traitsISZ_E10value_typeET2_T3_PNS10_IS15_E10value_typeET4_jRbjT5_S1B_jjP12ihipStream_tbEUljE_EEESW_SX_SY_S15_S19_S1B_T6_T7_T9_mT8_S1D_bDpT10_ENKUlT_T0_E_clISt17integral_constantIbLb1EES1P_IbLb0EEEEDaS1L_S1M_EUlS1L_E_NS1_11comp_targetILNS1_3genE8ELNS1_11target_archE1030ELNS1_3gpuE2ELNS1_3repE0EEENS1_30default_config_static_selectorELNS0_4arch9wavefront6targetE1EEEvSZ_
                                        ; -- End function
	.set _ZN7rocprim17ROCPRIM_400000_NS6detail17trampoline_kernelINS0_13select_configILj256ELj13ELNS0_17block_load_methodE3ELS4_3ELS4_3ELNS0_20block_scan_algorithmE0ELj4294967295EEENS1_25partition_config_selectorILNS1_17partition_subalgoE3EjNS0_10empty_typeEbEEZZNS1_14partition_implILS8_3ELb0ES6_jNS0_17counting_iteratorIjlEEPS9_SE_NS0_5tupleIJPjSE_EEENSF_IJSE_SE_EEES9_SG_JZNS1_25segmented_radix_sort_implINS0_14default_configELb1EPK6__halfPSL_PKlPlN2at6native12_GLOBAL__N_18offset_tEEE10hipError_tPvRmT1_PNSt15iterator_traitsISZ_E10value_typeET2_T3_PNS10_IS15_E10value_typeET4_jRbjT5_S1B_jjP12ihipStream_tbEUljE_EEESW_SX_SY_S15_S19_S1B_T6_T7_T9_mT8_S1D_bDpT10_ENKUlT_T0_E_clISt17integral_constantIbLb1EES1P_IbLb0EEEEDaS1L_S1M_EUlS1L_E_NS1_11comp_targetILNS1_3genE8ELNS1_11target_archE1030ELNS1_3gpuE2ELNS1_3repE0EEENS1_30default_config_static_selectorELNS0_4arch9wavefront6targetE1EEEvSZ_.num_vgpr, 0
	.set _ZN7rocprim17ROCPRIM_400000_NS6detail17trampoline_kernelINS0_13select_configILj256ELj13ELNS0_17block_load_methodE3ELS4_3ELS4_3ELNS0_20block_scan_algorithmE0ELj4294967295EEENS1_25partition_config_selectorILNS1_17partition_subalgoE3EjNS0_10empty_typeEbEEZZNS1_14partition_implILS8_3ELb0ES6_jNS0_17counting_iteratorIjlEEPS9_SE_NS0_5tupleIJPjSE_EEENSF_IJSE_SE_EEES9_SG_JZNS1_25segmented_radix_sort_implINS0_14default_configELb1EPK6__halfPSL_PKlPlN2at6native12_GLOBAL__N_18offset_tEEE10hipError_tPvRmT1_PNSt15iterator_traitsISZ_E10value_typeET2_T3_PNS10_IS15_E10value_typeET4_jRbjT5_S1B_jjP12ihipStream_tbEUljE_EEESW_SX_SY_S15_S19_S1B_T6_T7_T9_mT8_S1D_bDpT10_ENKUlT_T0_E_clISt17integral_constantIbLb1EES1P_IbLb0EEEEDaS1L_S1M_EUlS1L_E_NS1_11comp_targetILNS1_3genE8ELNS1_11target_archE1030ELNS1_3gpuE2ELNS1_3repE0EEENS1_30default_config_static_selectorELNS0_4arch9wavefront6targetE1EEEvSZ_.num_agpr, 0
	.set _ZN7rocprim17ROCPRIM_400000_NS6detail17trampoline_kernelINS0_13select_configILj256ELj13ELNS0_17block_load_methodE3ELS4_3ELS4_3ELNS0_20block_scan_algorithmE0ELj4294967295EEENS1_25partition_config_selectorILNS1_17partition_subalgoE3EjNS0_10empty_typeEbEEZZNS1_14partition_implILS8_3ELb0ES6_jNS0_17counting_iteratorIjlEEPS9_SE_NS0_5tupleIJPjSE_EEENSF_IJSE_SE_EEES9_SG_JZNS1_25segmented_radix_sort_implINS0_14default_configELb1EPK6__halfPSL_PKlPlN2at6native12_GLOBAL__N_18offset_tEEE10hipError_tPvRmT1_PNSt15iterator_traitsISZ_E10value_typeET2_T3_PNS10_IS15_E10value_typeET4_jRbjT5_S1B_jjP12ihipStream_tbEUljE_EEESW_SX_SY_S15_S19_S1B_T6_T7_T9_mT8_S1D_bDpT10_ENKUlT_T0_E_clISt17integral_constantIbLb1EES1P_IbLb0EEEEDaS1L_S1M_EUlS1L_E_NS1_11comp_targetILNS1_3genE8ELNS1_11target_archE1030ELNS1_3gpuE2ELNS1_3repE0EEENS1_30default_config_static_selectorELNS0_4arch9wavefront6targetE1EEEvSZ_.numbered_sgpr, 0
	.set _ZN7rocprim17ROCPRIM_400000_NS6detail17trampoline_kernelINS0_13select_configILj256ELj13ELNS0_17block_load_methodE3ELS4_3ELS4_3ELNS0_20block_scan_algorithmE0ELj4294967295EEENS1_25partition_config_selectorILNS1_17partition_subalgoE3EjNS0_10empty_typeEbEEZZNS1_14partition_implILS8_3ELb0ES6_jNS0_17counting_iteratorIjlEEPS9_SE_NS0_5tupleIJPjSE_EEENSF_IJSE_SE_EEES9_SG_JZNS1_25segmented_radix_sort_implINS0_14default_configELb1EPK6__halfPSL_PKlPlN2at6native12_GLOBAL__N_18offset_tEEE10hipError_tPvRmT1_PNSt15iterator_traitsISZ_E10value_typeET2_T3_PNS10_IS15_E10value_typeET4_jRbjT5_S1B_jjP12ihipStream_tbEUljE_EEESW_SX_SY_S15_S19_S1B_T6_T7_T9_mT8_S1D_bDpT10_ENKUlT_T0_E_clISt17integral_constantIbLb1EES1P_IbLb0EEEEDaS1L_S1M_EUlS1L_E_NS1_11comp_targetILNS1_3genE8ELNS1_11target_archE1030ELNS1_3gpuE2ELNS1_3repE0EEENS1_30default_config_static_selectorELNS0_4arch9wavefront6targetE1EEEvSZ_.num_named_barrier, 0
	.set _ZN7rocprim17ROCPRIM_400000_NS6detail17trampoline_kernelINS0_13select_configILj256ELj13ELNS0_17block_load_methodE3ELS4_3ELS4_3ELNS0_20block_scan_algorithmE0ELj4294967295EEENS1_25partition_config_selectorILNS1_17partition_subalgoE3EjNS0_10empty_typeEbEEZZNS1_14partition_implILS8_3ELb0ES6_jNS0_17counting_iteratorIjlEEPS9_SE_NS0_5tupleIJPjSE_EEENSF_IJSE_SE_EEES9_SG_JZNS1_25segmented_radix_sort_implINS0_14default_configELb1EPK6__halfPSL_PKlPlN2at6native12_GLOBAL__N_18offset_tEEE10hipError_tPvRmT1_PNSt15iterator_traitsISZ_E10value_typeET2_T3_PNS10_IS15_E10value_typeET4_jRbjT5_S1B_jjP12ihipStream_tbEUljE_EEESW_SX_SY_S15_S19_S1B_T6_T7_T9_mT8_S1D_bDpT10_ENKUlT_T0_E_clISt17integral_constantIbLb1EES1P_IbLb0EEEEDaS1L_S1M_EUlS1L_E_NS1_11comp_targetILNS1_3genE8ELNS1_11target_archE1030ELNS1_3gpuE2ELNS1_3repE0EEENS1_30default_config_static_selectorELNS0_4arch9wavefront6targetE1EEEvSZ_.private_seg_size, 0
	.set _ZN7rocprim17ROCPRIM_400000_NS6detail17trampoline_kernelINS0_13select_configILj256ELj13ELNS0_17block_load_methodE3ELS4_3ELS4_3ELNS0_20block_scan_algorithmE0ELj4294967295EEENS1_25partition_config_selectorILNS1_17partition_subalgoE3EjNS0_10empty_typeEbEEZZNS1_14partition_implILS8_3ELb0ES6_jNS0_17counting_iteratorIjlEEPS9_SE_NS0_5tupleIJPjSE_EEENSF_IJSE_SE_EEES9_SG_JZNS1_25segmented_radix_sort_implINS0_14default_configELb1EPK6__halfPSL_PKlPlN2at6native12_GLOBAL__N_18offset_tEEE10hipError_tPvRmT1_PNSt15iterator_traitsISZ_E10value_typeET2_T3_PNS10_IS15_E10value_typeET4_jRbjT5_S1B_jjP12ihipStream_tbEUljE_EEESW_SX_SY_S15_S19_S1B_T6_T7_T9_mT8_S1D_bDpT10_ENKUlT_T0_E_clISt17integral_constantIbLb1EES1P_IbLb0EEEEDaS1L_S1M_EUlS1L_E_NS1_11comp_targetILNS1_3genE8ELNS1_11target_archE1030ELNS1_3gpuE2ELNS1_3repE0EEENS1_30default_config_static_selectorELNS0_4arch9wavefront6targetE1EEEvSZ_.uses_vcc, 0
	.set _ZN7rocprim17ROCPRIM_400000_NS6detail17trampoline_kernelINS0_13select_configILj256ELj13ELNS0_17block_load_methodE3ELS4_3ELS4_3ELNS0_20block_scan_algorithmE0ELj4294967295EEENS1_25partition_config_selectorILNS1_17partition_subalgoE3EjNS0_10empty_typeEbEEZZNS1_14partition_implILS8_3ELb0ES6_jNS0_17counting_iteratorIjlEEPS9_SE_NS0_5tupleIJPjSE_EEENSF_IJSE_SE_EEES9_SG_JZNS1_25segmented_radix_sort_implINS0_14default_configELb1EPK6__halfPSL_PKlPlN2at6native12_GLOBAL__N_18offset_tEEE10hipError_tPvRmT1_PNSt15iterator_traitsISZ_E10value_typeET2_T3_PNS10_IS15_E10value_typeET4_jRbjT5_S1B_jjP12ihipStream_tbEUljE_EEESW_SX_SY_S15_S19_S1B_T6_T7_T9_mT8_S1D_bDpT10_ENKUlT_T0_E_clISt17integral_constantIbLb1EES1P_IbLb0EEEEDaS1L_S1M_EUlS1L_E_NS1_11comp_targetILNS1_3genE8ELNS1_11target_archE1030ELNS1_3gpuE2ELNS1_3repE0EEENS1_30default_config_static_selectorELNS0_4arch9wavefront6targetE1EEEvSZ_.uses_flat_scratch, 0
	.set _ZN7rocprim17ROCPRIM_400000_NS6detail17trampoline_kernelINS0_13select_configILj256ELj13ELNS0_17block_load_methodE3ELS4_3ELS4_3ELNS0_20block_scan_algorithmE0ELj4294967295EEENS1_25partition_config_selectorILNS1_17partition_subalgoE3EjNS0_10empty_typeEbEEZZNS1_14partition_implILS8_3ELb0ES6_jNS0_17counting_iteratorIjlEEPS9_SE_NS0_5tupleIJPjSE_EEENSF_IJSE_SE_EEES9_SG_JZNS1_25segmented_radix_sort_implINS0_14default_configELb1EPK6__halfPSL_PKlPlN2at6native12_GLOBAL__N_18offset_tEEE10hipError_tPvRmT1_PNSt15iterator_traitsISZ_E10value_typeET2_T3_PNS10_IS15_E10value_typeET4_jRbjT5_S1B_jjP12ihipStream_tbEUljE_EEESW_SX_SY_S15_S19_S1B_T6_T7_T9_mT8_S1D_bDpT10_ENKUlT_T0_E_clISt17integral_constantIbLb1EES1P_IbLb0EEEEDaS1L_S1M_EUlS1L_E_NS1_11comp_targetILNS1_3genE8ELNS1_11target_archE1030ELNS1_3gpuE2ELNS1_3repE0EEENS1_30default_config_static_selectorELNS0_4arch9wavefront6targetE1EEEvSZ_.has_dyn_sized_stack, 0
	.set _ZN7rocprim17ROCPRIM_400000_NS6detail17trampoline_kernelINS0_13select_configILj256ELj13ELNS0_17block_load_methodE3ELS4_3ELS4_3ELNS0_20block_scan_algorithmE0ELj4294967295EEENS1_25partition_config_selectorILNS1_17partition_subalgoE3EjNS0_10empty_typeEbEEZZNS1_14partition_implILS8_3ELb0ES6_jNS0_17counting_iteratorIjlEEPS9_SE_NS0_5tupleIJPjSE_EEENSF_IJSE_SE_EEES9_SG_JZNS1_25segmented_radix_sort_implINS0_14default_configELb1EPK6__halfPSL_PKlPlN2at6native12_GLOBAL__N_18offset_tEEE10hipError_tPvRmT1_PNSt15iterator_traitsISZ_E10value_typeET2_T3_PNS10_IS15_E10value_typeET4_jRbjT5_S1B_jjP12ihipStream_tbEUljE_EEESW_SX_SY_S15_S19_S1B_T6_T7_T9_mT8_S1D_bDpT10_ENKUlT_T0_E_clISt17integral_constantIbLb1EES1P_IbLb0EEEEDaS1L_S1M_EUlS1L_E_NS1_11comp_targetILNS1_3genE8ELNS1_11target_archE1030ELNS1_3gpuE2ELNS1_3repE0EEENS1_30default_config_static_selectorELNS0_4arch9wavefront6targetE1EEEvSZ_.has_recursion, 0
	.set _ZN7rocprim17ROCPRIM_400000_NS6detail17trampoline_kernelINS0_13select_configILj256ELj13ELNS0_17block_load_methodE3ELS4_3ELS4_3ELNS0_20block_scan_algorithmE0ELj4294967295EEENS1_25partition_config_selectorILNS1_17partition_subalgoE3EjNS0_10empty_typeEbEEZZNS1_14partition_implILS8_3ELb0ES6_jNS0_17counting_iteratorIjlEEPS9_SE_NS0_5tupleIJPjSE_EEENSF_IJSE_SE_EEES9_SG_JZNS1_25segmented_radix_sort_implINS0_14default_configELb1EPK6__halfPSL_PKlPlN2at6native12_GLOBAL__N_18offset_tEEE10hipError_tPvRmT1_PNSt15iterator_traitsISZ_E10value_typeET2_T3_PNS10_IS15_E10value_typeET4_jRbjT5_S1B_jjP12ihipStream_tbEUljE_EEESW_SX_SY_S15_S19_S1B_T6_T7_T9_mT8_S1D_bDpT10_ENKUlT_T0_E_clISt17integral_constantIbLb1EES1P_IbLb0EEEEDaS1L_S1M_EUlS1L_E_NS1_11comp_targetILNS1_3genE8ELNS1_11target_archE1030ELNS1_3gpuE2ELNS1_3repE0EEENS1_30default_config_static_selectorELNS0_4arch9wavefront6targetE1EEEvSZ_.has_indirect_call, 0
	.section	.AMDGPU.csdata,"",@progbits
; Kernel info:
; codeLenInByte = 0
; TotalNumSgprs: 4
; NumVgprs: 0
; ScratchSize: 0
; MemoryBound: 0
; FloatMode: 240
; IeeeMode: 1
; LDSByteSize: 0 bytes/workgroup (compile time only)
; SGPRBlocks: 0
; VGPRBlocks: 0
; NumSGPRsForWavesPerEU: 4
; NumVGPRsForWavesPerEU: 1
; Occupancy: 10
; WaveLimiterHint : 0
; COMPUTE_PGM_RSRC2:SCRATCH_EN: 0
; COMPUTE_PGM_RSRC2:USER_SGPR: 6
; COMPUTE_PGM_RSRC2:TRAP_HANDLER: 0
; COMPUTE_PGM_RSRC2:TGID_X_EN: 1
; COMPUTE_PGM_RSRC2:TGID_Y_EN: 0
; COMPUTE_PGM_RSRC2:TGID_Z_EN: 0
; COMPUTE_PGM_RSRC2:TIDIG_COMP_CNT: 0
	.section	.text._ZN7rocprim17ROCPRIM_400000_NS6detail17trampoline_kernelINS0_13select_configILj256ELj13ELNS0_17block_load_methodE3ELS4_3ELS4_3ELNS0_20block_scan_algorithmE0ELj4294967295EEENS1_25partition_config_selectorILNS1_17partition_subalgoE3EjNS0_10empty_typeEbEEZZNS1_14partition_implILS8_3ELb0ES6_jNS0_17counting_iteratorIjlEEPS9_SE_NS0_5tupleIJPjSE_EEENSF_IJSE_SE_EEES9_SG_JZNS1_25segmented_radix_sort_implINS0_14default_configELb1EPK6__halfPSL_PKlPlN2at6native12_GLOBAL__N_18offset_tEEE10hipError_tPvRmT1_PNSt15iterator_traitsISZ_E10value_typeET2_T3_PNS10_IS15_E10value_typeET4_jRbjT5_S1B_jjP12ihipStream_tbEUljE_EEESW_SX_SY_S15_S19_S1B_T6_T7_T9_mT8_S1D_bDpT10_ENKUlT_T0_E_clISt17integral_constantIbLb0EES1P_IbLb1EEEEDaS1L_S1M_EUlS1L_E_NS1_11comp_targetILNS1_3genE0ELNS1_11target_archE4294967295ELNS1_3gpuE0ELNS1_3repE0EEENS1_30default_config_static_selectorELNS0_4arch9wavefront6targetE1EEEvSZ_,"axG",@progbits,_ZN7rocprim17ROCPRIM_400000_NS6detail17trampoline_kernelINS0_13select_configILj256ELj13ELNS0_17block_load_methodE3ELS4_3ELS4_3ELNS0_20block_scan_algorithmE0ELj4294967295EEENS1_25partition_config_selectorILNS1_17partition_subalgoE3EjNS0_10empty_typeEbEEZZNS1_14partition_implILS8_3ELb0ES6_jNS0_17counting_iteratorIjlEEPS9_SE_NS0_5tupleIJPjSE_EEENSF_IJSE_SE_EEES9_SG_JZNS1_25segmented_radix_sort_implINS0_14default_configELb1EPK6__halfPSL_PKlPlN2at6native12_GLOBAL__N_18offset_tEEE10hipError_tPvRmT1_PNSt15iterator_traitsISZ_E10value_typeET2_T3_PNS10_IS15_E10value_typeET4_jRbjT5_S1B_jjP12ihipStream_tbEUljE_EEESW_SX_SY_S15_S19_S1B_T6_T7_T9_mT8_S1D_bDpT10_ENKUlT_T0_E_clISt17integral_constantIbLb0EES1P_IbLb1EEEEDaS1L_S1M_EUlS1L_E_NS1_11comp_targetILNS1_3genE0ELNS1_11target_archE4294967295ELNS1_3gpuE0ELNS1_3repE0EEENS1_30default_config_static_selectorELNS0_4arch9wavefront6targetE1EEEvSZ_,comdat
	.globl	_ZN7rocprim17ROCPRIM_400000_NS6detail17trampoline_kernelINS0_13select_configILj256ELj13ELNS0_17block_load_methodE3ELS4_3ELS4_3ELNS0_20block_scan_algorithmE0ELj4294967295EEENS1_25partition_config_selectorILNS1_17partition_subalgoE3EjNS0_10empty_typeEbEEZZNS1_14partition_implILS8_3ELb0ES6_jNS0_17counting_iteratorIjlEEPS9_SE_NS0_5tupleIJPjSE_EEENSF_IJSE_SE_EEES9_SG_JZNS1_25segmented_radix_sort_implINS0_14default_configELb1EPK6__halfPSL_PKlPlN2at6native12_GLOBAL__N_18offset_tEEE10hipError_tPvRmT1_PNSt15iterator_traitsISZ_E10value_typeET2_T3_PNS10_IS15_E10value_typeET4_jRbjT5_S1B_jjP12ihipStream_tbEUljE_EEESW_SX_SY_S15_S19_S1B_T6_T7_T9_mT8_S1D_bDpT10_ENKUlT_T0_E_clISt17integral_constantIbLb0EES1P_IbLb1EEEEDaS1L_S1M_EUlS1L_E_NS1_11comp_targetILNS1_3genE0ELNS1_11target_archE4294967295ELNS1_3gpuE0ELNS1_3repE0EEENS1_30default_config_static_selectorELNS0_4arch9wavefront6targetE1EEEvSZ_ ; -- Begin function _ZN7rocprim17ROCPRIM_400000_NS6detail17trampoline_kernelINS0_13select_configILj256ELj13ELNS0_17block_load_methodE3ELS4_3ELS4_3ELNS0_20block_scan_algorithmE0ELj4294967295EEENS1_25partition_config_selectorILNS1_17partition_subalgoE3EjNS0_10empty_typeEbEEZZNS1_14partition_implILS8_3ELb0ES6_jNS0_17counting_iteratorIjlEEPS9_SE_NS0_5tupleIJPjSE_EEENSF_IJSE_SE_EEES9_SG_JZNS1_25segmented_radix_sort_implINS0_14default_configELb1EPK6__halfPSL_PKlPlN2at6native12_GLOBAL__N_18offset_tEEE10hipError_tPvRmT1_PNSt15iterator_traitsISZ_E10value_typeET2_T3_PNS10_IS15_E10value_typeET4_jRbjT5_S1B_jjP12ihipStream_tbEUljE_EEESW_SX_SY_S15_S19_S1B_T6_T7_T9_mT8_S1D_bDpT10_ENKUlT_T0_E_clISt17integral_constantIbLb0EES1P_IbLb1EEEEDaS1L_S1M_EUlS1L_E_NS1_11comp_targetILNS1_3genE0ELNS1_11target_archE4294967295ELNS1_3gpuE0ELNS1_3repE0EEENS1_30default_config_static_selectorELNS0_4arch9wavefront6targetE1EEEvSZ_
	.p2align	8
	.type	_ZN7rocprim17ROCPRIM_400000_NS6detail17trampoline_kernelINS0_13select_configILj256ELj13ELNS0_17block_load_methodE3ELS4_3ELS4_3ELNS0_20block_scan_algorithmE0ELj4294967295EEENS1_25partition_config_selectorILNS1_17partition_subalgoE3EjNS0_10empty_typeEbEEZZNS1_14partition_implILS8_3ELb0ES6_jNS0_17counting_iteratorIjlEEPS9_SE_NS0_5tupleIJPjSE_EEENSF_IJSE_SE_EEES9_SG_JZNS1_25segmented_radix_sort_implINS0_14default_configELb1EPK6__halfPSL_PKlPlN2at6native12_GLOBAL__N_18offset_tEEE10hipError_tPvRmT1_PNSt15iterator_traitsISZ_E10value_typeET2_T3_PNS10_IS15_E10value_typeET4_jRbjT5_S1B_jjP12ihipStream_tbEUljE_EEESW_SX_SY_S15_S19_S1B_T6_T7_T9_mT8_S1D_bDpT10_ENKUlT_T0_E_clISt17integral_constantIbLb0EES1P_IbLb1EEEEDaS1L_S1M_EUlS1L_E_NS1_11comp_targetILNS1_3genE0ELNS1_11target_archE4294967295ELNS1_3gpuE0ELNS1_3repE0EEENS1_30default_config_static_selectorELNS0_4arch9wavefront6targetE1EEEvSZ_,@function
_ZN7rocprim17ROCPRIM_400000_NS6detail17trampoline_kernelINS0_13select_configILj256ELj13ELNS0_17block_load_methodE3ELS4_3ELS4_3ELNS0_20block_scan_algorithmE0ELj4294967295EEENS1_25partition_config_selectorILNS1_17partition_subalgoE3EjNS0_10empty_typeEbEEZZNS1_14partition_implILS8_3ELb0ES6_jNS0_17counting_iteratorIjlEEPS9_SE_NS0_5tupleIJPjSE_EEENSF_IJSE_SE_EEES9_SG_JZNS1_25segmented_radix_sort_implINS0_14default_configELb1EPK6__halfPSL_PKlPlN2at6native12_GLOBAL__N_18offset_tEEE10hipError_tPvRmT1_PNSt15iterator_traitsISZ_E10value_typeET2_T3_PNS10_IS15_E10value_typeET4_jRbjT5_S1B_jjP12ihipStream_tbEUljE_EEESW_SX_SY_S15_S19_S1B_T6_T7_T9_mT8_S1D_bDpT10_ENKUlT_T0_E_clISt17integral_constantIbLb0EES1P_IbLb1EEEEDaS1L_S1M_EUlS1L_E_NS1_11comp_targetILNS1_3genE0ELNS1_11target_archE4294967295ELNS1_3gpuE0ELNS1_3repE0EEENS1_30default_config_static_selectorELNS0_4arch9wavefront6targetE1EEEvSZ_: ; @_ZN7rocprim17ROCPRIM_400000_NS6detail17trampoline_kernelINS0_13select_configILj256ELj13ELNS0_17block_load_methodE3ELS4_3ELS4_3ELNS0_20block_scan_algorithmE0ELj4294967295EEENS1_25partition_config_selectorILNS1_17partition_subalgoE3EjNS0_10empty_typeEbEEZZNS1_14partition_implILS8_3ELb0ES6_jNS0_17counting_iteratorIjlEEPS9_SE_NS0_5tupleIJPjSE_EEENSF_IJSE_SE_EEES9_SG_JZNS1_25segmented_radix_sort_implINS0_14default_configELb1EPK6__halfPSL_PKlPlN2at6native12_GLOBAL__N_18offset_tEEE10hipError_tPvRmT1_PNSt15iterator_traitsISZ_E10value_typeET2_T3_PNS10_IS15_E10value_typeET4_jRbjT5_S1B_jjP12ihipStream_tbEUljE_EEESW_SX_SY_S15_S19_S1B_T6_T7_T9_mT8_S1D_bDpT10_ENKUlT_T0_E_clISt17integral_constantIbLb0EES1P_IbLb1EEEEDaS1L_S1M_EUlS1L_E_NS1_11comp_targetILNS1_3genE0ELNS1_11target_archE4294967295ELNS1_3gpuE0ELNS1_3repE0EEENS1_30default_config_static_selectorELNS0_4arch9wavefront6targetE1EEEvSZ_
; %bb.0:
	.section	.rodata,"a",@progbits
	.p2align	6, 0x0
	.amdhsa_kernel _ZN7rocprim17ROCPRIM_400000_NS6detail17trampoline_kernelINS0_13select_configILj256ELj13ELNS0_17block_load_methodE3ELS4_3ELS4_3ELNS0_20block_scan_algorithmE0ELj4294967295EEENS1_25partition_config_selectorILNS1_17partition_subalgoE3EjNS0_10empty_typeEbEEZZNS1_14partition_implILS8_3ELb0ES6_jNS0_17counting_iteratorIjlEEPS9_SE_NS0_5tupleIJPjSE_EEENSF_IJSE_SE_EEES9_SG_JZNS1_25segmented_radix_sort_implINS0_14default_configELb1EPK6__halfPSL_PKlPlN2at6native12_GLOBAL__N_18offset_tEEE10hipError_tPvRmT1_PNSt15iterator_traitsISZ_E10value_typeET2_T3_PNS10_IS15_E10value_typeET4_jRbjT5_S1B_jjP12ihipStream_tbEUljE_EEESW_SX_SY_S15_S19_S1B_T6_T7_T9_mT8_S1D_bDpT10_ENKUlT_T0_E_clISt17integral_constantIbLb0EES1P_IbLb1EEEEDaS1L_S1M_EUlS1L_E_NS1_11comp_targetILNS1_3genE0ELNS1_11target_archE4294967295ELNS1_3gpuE0ELNS1_3repE0EEENS1_30default_config_static_selectorELNS0_4arch9wavefront6targetE1EEEvSZ_
		.amdhsa_group_segment_fixed_size 0
		.amdhsa_private_segment_fixed_size 0
		.amdhsa_kernarg_size 152
		.amdhsa_user_sgpr_count 6
		.amdhsa_user_sgpr_private_segment_buffer 1
		.amdhsa_user_sgpr_dispatch_ptr 0
		.amdhsa_user_sgpr_queue_ptr 0
		.amdhsa_user_sgpr_kernarg_segment_ptr 1
		.amdhsa_user_sgpr_dispatch_id 0
		.amdhsa_user_sgpr_flat_scratch_init 0
		.amdhsa_user_sgpr_private_segment_size 0
		.amdhsa_uses_dynamic_stack 0
		.amdhsa_system_sgpr_private_segment_wavefront_offset 0
		.amdhsa_system_sgpr_workgroup_id_x 1
		.amdhsa_system_sgpr_workgroup_id_y 0
		.amdhsa_system_sgpr_workgroup_id_z 0
		.amdhsa_system_sgpr_workgroup_info 0
		.amdhsa_system_vgpr_workitem_id 0
		.amdhsa_next_free_vgpr 1
		.amdhsa_next_free_sgpr 0
		.amdhsa_reserve_vcc 0
		.amdhsa_reserve_flat_scratch 0
		.amdhsa_float_round_mode_32 0
		.amdhsa_float_round_mode_16_64 0
		.amdhsa_float_denorm_mode_32 3
		.amdhsa_float_denorm_mode_16_64 3
		.amdhsa_dx10_clamp 1
		.amdhsa_ieee_mode 1
		.amdhsa_fp16_overflow 0
		.amdhsa_exception_fp_ieee_invalid_op 0
		.amdhsa_exception_fp_denorm_src 0
		.amdhsa_exception_fp_ieee_div_zero 0
		.amdhsa_exception_fp_ieee_overflow 0
		.amdhsa_exception_fp_ieee_underflow 0
		.amdhsa_exception_fp_ieee_inexact 0
		.amdhsa_exception_int_div_zero 0
	.end_amdhsa_kernel
	.section	.text._ZN7rocprim17ROCPRIM_400000_NS6detail17trampoline_kernelINS0_13select_configILj256ELj13ELNS0_17block_load_methodE3ELS4_3ELS4_3ELNS0_20block_scan_algorithmE0ELj4294967295EEENS1_25partition_config_selectorILNS1_17partition_subalgoE3EjNS0_10empty_typeEbEEZZNS1_14partition_implILS8_3ELb0ES6_jNS0_17counting_iteratorIjlEEPS9_SE_NS0_5tupleIJPjSE_EEENSF_IJSE_SE_EEES9_SG_JZNS1_25segmented_radix_sort_implINS0_14default_configELb1EPK6__halfPSL_PKlPlN2at6native12_GLOBAL__N_18offset_tEEE10hipError_tPvRmT1_PNSt15iterator_traitsISZ_E10value_typeET2_T3_PNS10_IS15_E10value_typeET4_jRbjT5_S1B_jjP12ihipStream_tbEUljE_EEESW_SX_SY_S15_S19_S1B_T6_T7_T9_mT8_S1D_bDpT10_ENKUlT_T0_E_clISt17integral_constantIbLb0EES1P_IbLb1EEEEDaS1L_S1M_EUlS1L_E_NS1_11comp_targetILNS1_3genE0ELNS1_11target_archE4294967295ELNS1_3gpuE0ELNS1_3repE0EEENS1_30default_config_static_selectorELNS0_4arch9wavefront6targetE1EEEvSZ_,"axG",@progbits,_ZN7rocprim17ROCPRIM_400000_NS6detail17trampoline_kernelINS0_13select_configILj256ELj13ELNS0_17block_load_methodE3ELS4_3ELS4_3ELNS0_20block_scan_algorithmE0ELj4294967295EEENS1_25partition_config_selectorILNS1_17partition_subalgoE3EjNS0_10empty_typeEbEEZZNS1_14partition_implILS8_3ELb0ES6_jNS0_17counting_iteratorIjlEEPS9_SE_NS0_5tupleIJPjSE_EEENSF_IJSE_SE_EEES9_SG_JZNS1_25segmented_radix_sort_implINS0_14default_configELb1EPK6__halfPSL_PKlPlN2at6native12_GLOBAL__N_18offset_tEEE10hipError_tPvRmT1_PNSt15iterator_traitsISZ_E10value_typeET2_T3_PNS10_IS15_E10value_typeET4_jRbjT5_S1B_jjP12ihipStream_tbEUljE_EEESW_SX_SY_S15_S19_S1B_T6_T7_T9_mT8_S1D_bDpT10_ENKUlT_T0_E_clISt17integral_constantIbLb0EES1P_IbLb1EEEEDaS1L_S1M_EUlS1L_E_NS1_11comp_targetILNS1_3genE0ELNS1_11target_archE4294967295ELNS1_3gpuE0ELNS1_3repE0EEENS1_30default_config_static_selectorELNS0_4arch9wavefront6targetE1EEEvSZ_,comdat
.Lfunc_end1731:
	.size	_ZN7rocprim17ROCPRIM_400000_NS6detail17trampoline_kernelINS0_13select_configILj256ELj13ELNS0_17block_load_methodE3ELS4_3ELS4_3ELNS0_20block_scan_algorithmE0ELj4294967295EEENS1_25partition_config_selectorILNS1_17partition_subalgoE3EjNS0_10empty_typeEbEEZZNS1_14partition_implILS8_3ELb0ES6_jNS0_17counting_iteratorIjlEEPS9_SE_NS0_5tupleIJPjSE_EEENSF_IJSE_SE_EEES9_SG_JZNS1_25segmented_radix_sort_implINS0_14default_configELb1EPK6__halfPSL_PKlPlN2at6native12_GLOBAL__N_18offset_tEEE10hipError_tPvRmT1_PNSt15iterator_traitsISZ_E10value_typeET2_T3_PNS10_IS15_E10value_typeET4_jRbjT5_S1B_jjP12ihipStream_tbEUljE_EEESW_SX_SY_S15_S19_S1B_T6_T7_T9_mT8_S1D_bDpT10_ENKUlT_T0_E_clISt17integral_constantIbLb0EES1P_IbLb1EEEEDaS1L_S1M_EUlS1L_E_NS1_11comp_targetILNS1_3genE0ELNS1_11target_archE4294967295ELNS1_3gpuE0ELNS1_3repE0EEENS1_30default_config_static_selectorELNS0_4arch9wavefront6targetE1EEEvSZ_, .Lfunc_end1731-_ZN7rocprim17ROCPRIM_400000_NS6detail17trampoline_kernelINS0_13select_configILj256ELj13ELNS0_17block_load_methodE3ELS4_3ELS4_3ELNS0_20block_scan_algorithmE0ELj4294967295EEENS1_25partition_config_selectorILNS1_17partition_subalgoE3EjNS0_10empty_typeEbEEZZNS1_14partition_implILS8_3ELb0ES6_jNS0_17counting_iteratorIjlEEPS9_SE_NS0_5tupleIJPjSE_EEENSF_IJSE_SE_EEES9_SG_JZNS1_25segmented_radix_sort_implINS0_14default_configELb1EPK6__halfPSL_PKlPlN2at6native12_GLOBAL__N_18offset_tEEE10hipError_tPvRmT1_PNSt15iterator_traitsISZ_E10value_typeET2_T3_PNS10_IS15_E10value_typeET4_jRbjT5_S1B_jjP12ihipStream_tbEUljE_EEESW_SX_SY_S15_S19_S1B_T6_T7_T9_mT8_S1D_bDpT10_ENKUlT_T0_E_clISt17integral_constantIbLb0EES1P_IbLb1EEEEDaS1L_S1M_EUlS1L_E_NS1_11comp_targetILNS1_3genE0ELNS1_11target_archE4294967295ELNS1_3gpuE0ELNS1_3repE0EEENS1_30default_config_static_selectorELNS0_4arch9wavefront6targetE1EEEvSZ_
                                        ; -- End function
	.set _ZN7rocprim17ROCPRIM_400000_NS6detail17trampoline_kernelINS0_13select_configILj256ELj13ELNS0_17block_load_methodE3ELS4_3ELS4_3ELNS0_20block_scan_algorithmE0ELj4294967295EEENS1_25partition_config_selectorILNS1_17partition_subalgoE3EjNS0_10empty_typeEbEEZZNS1_14partition_implILS8_3ELb0ES6_jNS0_17counting_iteratorIjlEEPS9_SE_NS0_5tupleIJPjSE_EEENSF_IJSE_SE_EEES9_SG_JZNS1_25segmented_radix_sort_implINS0_14default_configELb1EPK6__halfPSL_PKlPlN2at6native12_GLOBAL__N_18offset_tEEE10hipError_tPvRmT1_PNSt15iterator_traitsISZ_E10value_typeET2_T3_PNS10_IS15_E10value_typeET4_jRbjT5_S1B_jjP12ihipStream_tbEUljE_EEESW_SX_SY_S15_S19_S1B_T6_T7_T9_mT8_S1D_bDpT10_ENKUlT_T0_E_clISt17integral_constantIbLb0EES1P_IbLb1EEEEDaS1L_S1M_EUlS1L_E_NS1_11comp_targetILNS1_3genE0ELNS1_11target_archE4294967295ELNS1_3gpuE0ELNS1_3repE0EEENS1_30default_config_static_selectorELNS0_4arch9wavefront6targetE1EEEvSZ_.num_vgpr, 0
	.set _ZN7rocprim17ROCPRIM_400000_NS6detail17trampoline_kernelINS0_13select_configILj256ELj13ELNS0_17block_load_methodE3ELS4_3ELS4_3ELNS0_20block_scan_algorithmE0ELj4294967295EEENS1_25partition_config_selectorILNS1_17partition_subalgoE3EjNS0_10empty_typeEbEEZZNS1_14partition_implILS8_3ELb0ES6_jNS0_17counting_iteratorIjlEEPS9_SE_NS0_5tupleIJPjSE_EEENSF_IJSE_SE_EEES9_SG_JZNS1_25segmented_radix_sort_implINS0_14default_configELb1EPK6__halfPSL_PKlPlN2at6native12_GLOBAL__N_18offset_tEEE10hipError_tPvRmT1_PNSt15iterator_traitsISZ_E10value_typeET2_T3_PNS10_IS15_E10value_typeET4_jRbjT5_S1B_jjP12ihipStream_tbEUljE_EEESW_SX_SY_S15_S19_S1B_T6_T7_T9_mT8_S1D_bDpT10_ENKUlT_T0_E_clISt17integral_constantIbLb0EES1P_IbLb1EEEEDaS1L_S1M_EUlS1L_E_NS1_11comp_targetILNS1_3genE0ELNS1_11target_archE4294967295ELNS1_3gpuE0ELNS1_3repE0EEENS1_30default_config_static_selectorELNS0_4arch9wavefront6targetE1EEEvSZ_.num_agpr, 0
	.set _ZN7rocprim17ROCPRIM_400000_NS6detail17trampoline_kernelINS0_13select_configILj256ELj13ELNS0_17block_load_methodE3ELS4_3ELS4_3ELNS0_20block_scan_algorithmE0ELj4294967295EEENS1_25partition_config_selectorILNS1_17partition_subalgoE3EjNS0_10empty_typeEbEEZZNS1_14partition_implILS8_3ELb0ES6_jNS0_17counting_iteratorIjlEEPS9_SE_NS0_5tupleIJPjSE_EEENSF_IJSE_SE_EEES9_SG_JZNS1_25segmented_radix_sort_implINS0_14default_configELb1EPK6__halfPSL_PKlPlN2at6native12_GLOBAL__N_18offset_tEEE10hipError_tPvRmT1_PNSt15iterator_traitsISZ_E10value_typeET2_T3_PNS10_IS15_E10value_typeET4_jRbjT5_S1B_jjP12ihipStream_tbEUljE_EEESW_SX_SY_S15_S19_S1B_T6_T7_T9_mT8_S1D_bDpT10_ENKUlT_T0_E_clISt17integral_constantIbLb0EES1P_IbLb1EEEEDaS1L_S1M_EUlS1L_E_NS1_11comp_targetILNS1_3genE0ELNS1_11target_archE4294967295ELNS1_3gpuE0ELNS1_3repE0EEENS1_30default_config_static_selectorELNS0_4arch9wavefront6targetE1EEEvSZ_.numbered_sgpr, 0
	.set _ZN7rocprim17ROCPRIM_400000_NS6detail17trampoline_kernelINS0_13select_configILj256ELj13ELNS0_17block_load_methodE3ELS4_3ELS4_3ELNS0_20block_scan_algorithmE0ELj4294967295EEENS1_25partition_config_selectorILNS1_17partition_subalgoE3EjNS0_10empty_typeEbEEZZNS1_14partition_implILS8_3ELb0ES6_jNS0_17counting_iteratorIjlEEPS9_SE_NS0_5tupleIJPjSE_EEENSF_IJSE_SE_EEES9_SG_JZNS1_25segmented_radix_sort_implINS0_14default_configELb1EPK6__halfPSL_PKlPlN2at6native12_GLOBAL__N_18offset_tEEE10hipError_tPvRmT1_PNSt15iterator_traitsISZ_E10value_typeET2_T3_PNS10_IS15_E10value_typeET4_jRbjT5_S1B_jjP12ihipStream_tbEUljE_EEESW_SX_SY_S15_S19_S1B_T6_T7_T9_mT8_S1D_bDpT10_ENKUlT_T0_E_clISt17integral_constantIbLb0EES1P_IbLb1EEEEDaS1L_S1M_EUlS1L_E_NS1_11comp_targetILNS1_3genE0ELNS1_11target_archE4294967295ELNS1_3gpuE0ELNS1_3repE0EEENS1_30default_config_static_selectorELNS0_4arch9wavefront6targetE1EEEvSZ_.num_named_barrier, 0
	.set _ZN7rocprim17ROCPRIM_400000_NS6detail17trampoline_kernelINS0_13select_configILj256ELj13ELNS0_17block_load_methodE3ELS4_3ELS4_3ELNS0_20block_scan_algorithmE0ELj4294967295EEENS1_25partition_config_selectorILNS1_17partition_subalgoE3EjNS0_10empty_typeEbEEZZNS1_14partition_implILS8_3ELb0ES6_jNS0_17counting_iteratorIjlEEPS9_SE_NS0_5tupleIJPjSE_EEENSF_IJSE_SE_EEES9_SG_JZNS1_25segmented_radix_sort_implINS0_14default_configELb1EPK6__halfPSL_PKlPlN2at6native12_GLOBAL__N_18offset_tEEE10hipError_tPvRmT1_PNSt15iterator_traitsISZ_E10value_typeET2_T3_PNS10_IS15_E10value_typeET4_jRbjT5_S1B_jjP12ihipStream_tbEUljE_EEESW_SX_SY_S15_S19_S1B_T6_T7_T9_mT8_S1D_bDpT10_ENKUlT_T0_E_clISt17integral_constantIbLb0EES1P_IbLb1EEEEDaS1L_S1M_EUlS1L_E_NS1_11comp_targetILNS1_3genE0ELNS1_11target_archE4294967295ELNS1_3gpuE0ELNS1_3repE0EEENS1_30default_config_static_selectorELNS0_4arch9wavefront6targetE1EEEvSZ_.private_seg_size, 0
	.set _ZN7rocprim17ROCPRIM_400000_NS6detail17trampoline_kernelINS0_13select_configILj256ELj13ELNS0_17block_load_methodE3ELS4_3ELS4_3ELNS0_20block_scan_algorithmE0ELj4294967295EEENS1_25partition_config_selectorILNS1_17partition_subalgoE3EjNS0_10empty_typeEbEEZZNS1_14partition_implILS8_3ELb0ES6_jNS0_17counting_iteratorIjlEEPS9_SE_NS0_5tupleIJPjSE_EEENSF_IJSE_SE_EEES9_SG_JZNS1_25segmented_radix_sort_implINS0_14default_configELb1EPK6__halfPSL_PKlPlN2at6native12_GLOBAL__N_18offset_tEEE10hipError_tPvRmT1_PNSt15iterator_traitsISZ_E10value_typeET2_T3_PNS10_IS15_E10value_typeET4_jRbjT5_S1B_jjP12ihipStream_tbEUljE_EEESW_SX_SY_S15_S19_S1B_T6_T7_T9_mT8_S1D_bDpT10_ENKUlT_T0_E_clISt17integral_constantIbLb0EES1P_IbLb1EEEEDaS1L_S1M_EUlS1L_E_NS1_11comp_targetILNS1_3genE0ELNS1_11target_archE4294967295ELNS1_3gpuE0ELNS1_3repE0EEENS1_30default_config_static_selectorELNS0_4arch9wavefront6targetE1EEEvSZ_.uses_vcc, 0
	.set _ZN7rocprim17ROCPRIM_400000_NS6detail17trampoline_kernelINS0_13select_configILj256ELj13ELNS0_17block_load_methodE3ELS4_3ELS4_3ELNS0_20block_scan_algorithmE0ELj4294967295EEENS1_25partition_config_selectorILNS1_17partition_subalgoE3EjNS0_10empty_typeEbEEZZNS1_14partition_implILS8_3ELb0ES6_jNS0_17counting_iteratorIjlEEPS9_SE_NS0_5tupleIJPjSE_EEENSF_IJSE_SE_EEES9_SG_JZNS1_25segmented_radix_sort_implINS0_14default_configELb1EPK6__halfPSL_PKlPlN2at6native12_GLOBAL__N_18offset_tEEE10hipError_tPvRmT1_PNSt15iterator_traitsISZ_E10value_typeET2_T3_PNS10_IS15_E10value_typeET4_jRbjT5_S1B_jjP12ihipStream_tbEUljE_EEESW_SX_SY_S15_S19_S1B_T6_T7_T9_mT8_S1D_bDpT10_ENKUlT_T0_E_clISt17integral_constantIbLb0EES1P_IbLb1EEEEDaS1L_S1M_EUlS1L_E_NS1_11comp_targetILNS1_3genE0ELNS1_11target_archE4294967295ELNS1_3gpuE0ELNS1_3repE0EEENS1_30default_config_static_selectorELNS0_4arch9wavefront6targetE1EEEvSZ_.uses_flat_scratch, 0
	.set _ZN7rocprim17ROCPRIM_400000_NS6detail17trampoline_kernelINS0_13select_configILj256ELj13ELNS0_17block_load_methodE3ELS4_3ELS4_3ELNS0_20block_scan_algorithmE0ELj4294967295EEENS1_25partition_config_selectorILNS1_17partition_subalgoE3EjNS0_10empty_typeEbEEZZNS1_14partition_implILS8_3ELb0ES6_jNS0_17counting_iteratorIjlEEPS9_SE_NS0_5tupleIJPjSE_EEENSF_IJSE_SE_EEES9_SG_JZNS1_25segmented_radix_sort_implINS0_14default_configELb1EPK6__halfPSL_PKlPlN2at6native12_GLOBAL__N_18offset_tEEE10hipError_tPvRmT1_PNSt15iterator_traitsISZ_E10value_typeET2_T3_PNS10_IS15_E10value_typeET4_jRbjT5_S1B_jjP12ihipStream_tbEUljE_EEESW_SX_SY_S15_S19_S1B_T6_T7_T9_mT8_S1D_bDpT10_ENKUlT_T0_E_clISt17integral_constantIbLb0EES1P_IbLb1EEEEDaS1L_S1M_EUlS1L_E_NS1_11comp_targetILNS1_3genE0ELNS1_11target_archE4294967295ELNS1_3gpuE0ELNS1_3repE0EEENS1_30default_config_static_selectorELNS0_4arch9wavefront6targetE1EEEvSZ_.has_dyn_sized_stack, 0
	.set _ZN7rocprim17ROCPRIM_400000_NS6detail17trampoline_kernelINS0_13select_configILj256ELj13ELNS0_17block_load_methodE3ELS4_3ELS4_3ELNS0_20block_scan_algorithmE0ELj4294967295EEENS1_25partition_config_selectorILNS1_17partition_subalgoE3EjNS0_10empty_typeEbEEZZNS1_14partition_implILS8_3ELb0ES6_jNS0_17counting_iteratorIjlEEPS9_SE_NS0_5tupleIJPjSE_EEENSF_IJSE_SE_EEES9_SG_JZNS1_25segmented_radix_sort_implINS0_14default_configELb1EPK6__halfPSL_PKlPlN2at6native12_GLOBAL__N_18offset_tEEE10hipError_tPvRmT1_PNSt15iterator_traitsISZ_E10value_typeET2_T3_PNS10_IS15_E10value_typeET4_jRbjT5_S1B_jjP12ihipStream_tbEUljE_EEESW_SX_SY_S15_S19_S1B_T6_T7_T9_mT8_S1D_bDpT10_ENKUlT_T0_E_clISt17integral_constantIbLb0EES1P_IbLb1EEEEDaS1L_S1M_EUlS1L_E_NS1_11comp_targetILNS1_3genE0ELNS1_11target_archE4294967295ELNS1_3gpuE0ELNS1_3repE0EEENS1_30default_config_static_selectorELNS0_4arch9wavefront6targetE1EEEvSZ_.has_recursion, 0
	.set _ZN7rocprim17ROCPRIM_400000_NS6detail17trampoline_kernelINS0_13select_configILj256ELj13ELNS0_17block_load_methodE3ELS4_3ELS4_3ELNS0_20block_scan_algorithmE0ELj4294967295EEENS1_25partition_config_selectorILNS1_17partition_subalgoE3EjNS0_10empty_typeEbEEZZNS1_14partition_implILS8_3ELb0ES6_jNS0_17counting_iteratorIjlEEPS9_SE_NS0_5tupleIJPjSE_EEENSF_IJSE_SE_EEES9_SG_JZNS1_25segmented_radix_sort_implINS0_14default_configELb1EPK6__halfPSL_PKlPlN2at6native12_GLOBAL__N_18offset_tEEE10hipError_tPvRmT1_PNSt15iterator_traitsISZ_E10value_typeET2_T3_PNS10_IS15_E10value_typeET4_jRbjT5_S1B_jjP12ihipStream_tbEUljE_EEESW_SX_SY_S15_S19_S1B_T6_T7_T9_mT8_S1D_bDpT10_ENKUlT_T0_E_clISt17integral_constantIbLb0EES1P_IbLb1EEEEDaS1L_S1M_EUlS1L_E_NS1_11comp_targetILNS1_3genE0ELNS1_11target_archE4294967295ELNS1_3gpuE0ELNS1_3repE0EEENS1_30default_config_static_selectorELNS0_4arch9wavefront6targetE1EEEvSZ_.has_indirect_call, 0
	.section	.AMDGPU.csdata,"",@progbits
; Kernel info:
; codeLenInByte = 0
; TotalNumSgprs: 4
; NumVgprs: 0
; ScratchSize: 0
; MemoryBound: 0
; FloatMode: 240
; IeeeMode: 1
; LDSByteSize: 0 bytes/workgroup (compile time only)
; SGPRBlocks: 0
; VGPRBlocks: 0
; NumSGPRsForWavesPerEU: 4
; NumVGPRsForWavesPerEU: 1
; Occupancy: 10
; WaveLimiterHint : 0
; COMPUTE_PGM_RSRC2:SCRATCH_EN: 0
; COMPUTE_PGM_RSRC2:USER_SGPR: 6
; COMPUTE_PGM_RSRC2:TRAP_HANDLER: 0
; COMPUTE_PGM_RSRC2:TGID_X_EN: 1
; COMPUTE_PGM_RSRC2:TGID_Y_EN: 0
; COMPUTE_PGM_RSRC2:TGID_Z_EN: 0
; COMPUTE_PGM_RSRC2:TIDIG_COMP_CNT: 0
	.section	.text._ZN7rocprim17ROCPRIM_400000_NS6detail17trampoline_kernelINS0_13select_configILj256ELj13ELNS0_17block_load_methodE3ELS4_3ELS4_3ELNS0_20block_scan_algorithmE0ELj4294967295EEENS1_25partition_config_selectorILNS1_17partition_subalgoE3EjNS0_10empty_typeEbEEZZNS1_14partition_implILS8_3ELb0ES6_jNS0_17counting_iteratorIjlEEPS9_SE_NS0_5tupleIJPjSE_EEENSF_IJSE_SE_EEES9_SG_JZNS1_25segmented_radix_sort_implINS0_14default_configELb1EPK6__halfPSL_PKlPlN2at6native12_GLOBAL__N_18offset_tEEE10hipError_tPvRmT1_PNSt15iterator_traitsISZ_E10value_typeET2_T3_PNS10_IS15_E10value_typeET4_jRbjT5_S1B_jjP12ihipStream_tbEUljE_EEESW_SX_SY_S15_S19_S1B_T6_T7_T9_mT8_S1D_bDpT10_ENKUlT_T0_E_clISt17integral_constantIbLb0EES1P_IbLb1EEEEDaS1L_S1M_EUlS1L_E_NS1_11comp_targetILNS1_3genE5ELNS1_11target_archE942ELNS1_3gpuE9ELNS1_3repE0EEENS1_30default_config_static_selectorELNS0_4arch9wavefront6targetE1EEEvSZ_,"axG",@progbits,_ZN7rocprim17ROCPRIM_400000_NS6detail17trampoline_kernelINS0_13select_configILj256ELj13ELNS0_17block_load_methodE3ELS4_3ELS4_3ELNS0_20block_scan_algorithmE0ELj4294967295EEENS1_25partition_config_selectorILNS1_17partition_subalgoE3EjNS0_10empty_typeEbEEZZNS1_14partition_implILS8_3ELb0ES6_jNS0_17counting_iteratorIjlEEPS9_SE_NS0_5tupleIJPjSE_EEENSF_IJSE_SE_EEES9_SG_JZNS1_25segmented_radix_sort_implINS0_14default_configELb1EPK6__halfPSL_PKlPlN2at6native12_GLOBAL__N_18offset_tEEE10hipError_tPvRmT1_PNSt15iterator_traitsISZ_E10value_typeET2_T3_PNS10_IS15_E10value_typeET4_jRbjT5_S1B_jjP12ihipStream_tbEUljE_EEESW_SX_SY_S15_S19_S1B_T6_T7_T9_mT8_S1D_bDpT10_ENKUlT_T0_E_clISt17integral_constantIbLb0EES1P_IbLb1EEEEDaS1L_S1M_EUlS1L_E_NS1_11comp_targetILNS1_3genE5ELNS1_11target_archE942ELNS1_3gpuE9ELNS1_3repE0EEENS1_30default_config_static_selectorELNS0_4arch9wavefront6targetE1EEEvSZ_,comdat
	.globl	_ZN7rocprim17ROCPRIM_400000_NS6detail17trampoline_kernelINS0_13select_configILj256ELj13ELNS0_17block_load_methodE3ELS4_3ELS4_3ELNS0_20block_scan_algorithmE0ELj4294967295EEENS1_25partition_config_selectorILNS1_17partition_subalgoE3EjNS0_10empty_typeEbEEZZNS1_14partition_implILS8_3ELb0ES6_jNS0_17counting_iteratorIjlEEPS9_SE_NS0_5tupleIJPjSE_EEENSF_IJSE_SE_EEES9_SG_JZNS1_25segmented_radix_sort_implINS0_14default_configELb1EPK6__halfPSL_PKlPlN2at6native12_GLOBAL__N_18offset_tEEE10hipError_tPvRmT1_PNSt15iterator_traitsISZ_E10value_typeET2_T3_PNS10_IS15_E10value_typeET4_jRbjT5_S1B_jjP12ihipStream_tbEUljE_EEESW_SX_SY_S15_S19_S1B_T6_T7_T9_mT8_S1D_bDpT10_ENKUlT_T0_E_clISt17integral_constantIbLb0EES1P_IbLb1EEEEDaS1L_S1M_EUlS1L_E_NS1_11comp_targetILNS1_3genE5ELNS1_11target_archE942ELNS1_3gpuE9ELNS1_3repE0EEENS1_30default_config_static_selectorELNS0_4arch9wavefront6targetE1EEEvSZ_ ; -- Begin function _ZN7rocprim17ROCPRIM_400000_NS6detail17trampoline_kernelINS0_13select_configILj256ELj13ELNS0_17block_load_methodE3ELS4_3ELS4_3ELNS0_20block_scan_algorithmE0ELj4294967295EEENS1_25partition_config_selectorILNS1_17partition_subalgoE3EjNS0_10empty_typeEbEEZZNS1_14partition_implILS8_3ELb0ES6_jNS0_17counting_iteratorIjlEEPS9_SE_NS0_5tupleIJPjSE_EEENSF_IJSE_SE_EEES9_SG_JZNS1_25segmented_radix_sort_implINS0_14default_configELb1EPK6__halfPSL_PKlPlN2at6native12_GLOBAL__N_18offset_tEEE10hipError_tPvRmT1_PNSt15iterator_traitsISZ_E10value_typeET2_T3_PNS10_IS15_E10value_typeET4_jRbjT5_S1B_jjP12ihipStream_tbEUljE_EEESW_SX_SY_S15_S19_S1B_T6_T7_T9_mT8_S1D_bDpT10_ENKUlT_T0_E_clISt17integral_constantIbLb0EES1P_IbLb1EEEEDaS1L_S1M_EUlS1L_E_NS1_11comp_targetILNS1_3genE5ELNS1_11target_archE942ELNS1_3gpuE9ELNS1_3repE0EEENS1_30default_config_static_selectorELNS0_4arch9wavefront6targetE1EEEvSZ_
	.p2align	8
	.type	_ZN7rocprim17ROCPRIM_400000_NS6detail17trampoline_kernelINS0_13select_configILj256ELj13ELNS0_17block_load_methodE3ELS4_3ELS4_3ELNS0_20block_scan_algorithmE0ELj4294967295EEENS1_25partition_config_selectorILNS1_17partition_subalgoE3EjNS0_10empty_typeEbEEZZNS1_14partition_implILS8_3ELb0ES6_jNS0_17counting_iteratorIjlEEPS9_SE_NS0_5tupleIJPjSE_EEENSF_IJSE_SE_EEES9_SG_JZNS1_25segmented_radix_sort_implINS0_14default_configELb1EPK6__halfPSL_PKlPlN2at6native12_GLOBAL__N_18offset_tEEE10hipError_tPvRmT1_PNSt15iterator_traitsISZ_E10value_typeET2_T3_PNS10_IS15_E10value_typeET4_jRbjT5_S1B_jjP12ihipStream_tbEUljE_EEESW_SX_SY_S15_S19_S1B_T6_T7_T9_mT8_S1D_bDpT10_ENKUlT_T0_E_clISt17integral_constantIbLb0EES1P_IbLb1EEEEDaS1L_S1M_EUlS1L_E_NS1_11comp_targetILNS1_3genE5ELNS1_11target_archE942ELNS1_3gpuE9ELNS1_3repE0EEENS1_30default_config_static_selectorELNS0_4arch9wavefront6targetE1EEEvSZ_,@function
_ZN7rocprim17ROCPRIM_400000_NS6detail17trampoline_kernelINS0_13select_configILj256ELj13ELNS0_17block_load_methodE3ELS4_3ELS4_3ELNS0_20block_scan_algorithmE0ELj4294967295EEENS1_25partition_config_selectorILNS1_17partition_subalgoE3EjNS0_10empty_typeEbEEZZNS1_14partition_implILS8_3ELb0ES6_jNS0_17counting_iteratorIjlEEPS9_SE_NS0_5tupleIJPjSE_EEENSF_IJSE_SE_EEES9_SG_JZNS1_25segmented_radix_sort_implINS0_14default_configELb1EPK6__halfPSL_PKlPlN2at6native12_GLOBAL__N_18offset_tEEE10hipError_tPvRmT1_PNSt15iterator_traitsISZ_E10value_typeET2_T3_PNS10_IS15_E10value_typeET4_jRbjT5_S1B_jjP12ihipStream_tbEUljE_EEESW_SX_SY_S15_S19_S1B_T6_T7_T9_mT8_S1D_bDpT10_ENKUlT_T0_E_clISt17integral_constantIbLb0EES1P_IbLb1EEEEDaS1L_S1M_EUlS1L_E_NS1_11comp_targetILNS1_3genE5ELNS1_11target_archE942ELNS1_3gpuE9ELNS1_3repE0EEENS1_30default_config_static_selectorELNS0_4arch9wavefront6targetE1EEEvSZ_: ; @_ZN7rocprim17ROCPRIM_400000_NS6detail17trampoline_kernelINS0_13select_configILj256ELj13ELNS0_17block_load_methodE3ELS4_3ELS4_3ELNS0_20block_scan_algorithmE0ELj4294967295EEENS1_25partition_config_selectorILNS1_17partition_subalgoE3EjNS0_10empty_typeEbEEZZNS1_14partition_implILS8_3ELb0ES6_jNS0_17counting_iteratorIjlEEPS9_SE_NS0_5tupleIJPjSE_EEENSF_IJSE_SE_EEES9_SG_JZNS1_25segmented_radix_sort_implINS0_14default_configELb1EPK6__halfPSL_PKlPlN2at6native12_GLOBAL__N_18offset_tEEE10hipError_tPvRmT1_PNSt15iterator_traitsISZ_E10value_typeET2_T3_PNS10_IS15_E10value_typeET4_jRbjT5_S1B_jjP12ihipStream_tbEUljE_EEESW_SX_SY_S15_S19_S1B_T6_T7_T9_mT8_S1D_bDpT10_ENKUlT_T0_E_clISt17integral_constantIbLb0EES1P_IbLb1EEEEDaS1L_S1M_EUlS1L_E_NS1_11comp_targetILNS1_3genE5ELNS1_11target_archE942ELNS1_3gpuE9ELNS1_3repE0EEENS1_30default_config_static_selectorELNS0_4arch9wavefront6targetE1EEEvSZ_
; %bb.0:
	.section	.rodata,"a",@progbits
	.p2align	6, 0x0
	.amdhsa_kernel _ZN7rocprim17ROCPRIM_400000_NS6detail17trampoline_kernelINS0_13select_configILj256ELj13ELNS0_17block_load_methodE3ELS4_3ELS4_3ELNS0_20block_scan_algorithmE0ELj4294967295EEENS1_25partition_config_selectorILNS1_17partition_subalgoE3EjNS0_10empty_typeEbEEZZNS1_14partition_implILS8_3ELb0ES6_jNS0_17counting_iteratorIjlEEPS9_SE_NS0_5tupleIJPjSE_EEENSF_IJSE_SE_EEES9_SG_JZNS1_25segmented_radix_sort_implINS0_14default_configELb1EPK6__halfPSL_PKlPlN2at6native12_GLOBAL__N_18offset_tEEE10hipError_tPvRmT1_PNSt15iterator_traitsISZ_E10value_typeET2_T3_PNS10_IS15_E10value_typeET4_jRbjT5_S1B_jjP12ihipStream_tbEUljE_EEESW_SX_SY_S15_S19_S1B_T6_T7_T9_mT8_S1D_bDpT10_ENKUlT_T0_E_clISt17integral_constantIbLb0EES1P_IbLb1EEEEDaS1L_S1M_EUlS1L_E_NS1_11comp_targetILNS1_3genE5ELNS1_11target_archE942ELNS1_3gpuE9ELNS1_3repE0EEENS1_30default_config_static_selectorELNS0_4arch9wavefront6targetE1EEEvSZ_
		.amdhsa_group_segment_fixed_size 0
		.amdhsa_private_segment_fixed_size 0
		.amdhsa_kernarg_size 152
		.amdhsa_user_sgpr_count 6
		.amdhsa_user_sgpr_private_segment_buffer 1
		.amdhsa_user_sgpr_dispatch_ptr 0
		.amdhsa_user_sgpr_queue_ptr 0
		.amdhsa_user_sgpr_kernarg_segment_ptr 1
		.amdhsa_user_sgpr_dispatch_id 0
		.amdhsa_user_sgpr_flat_scratch_init 0
		.amdhsa_user_sgpr_private_segment_size 0
		.amdhsa_uses_dynamic_stack 0
		.amdhsa_system_sgpr_private_segment_wavefront_offset 0
		.amdhsa_system_sgpr_workgroup_id_x 1
		.amdhsa_system_sgpr_workgroup_id_y 0
		.amdhsa_system_sgpr_workgroup_id_z 0
		.amdhsa_system_sgpr_workgroup_info 0
		.amdhsa_system_vgpr_workitem_id 0
		.amdhsa_next_free_vgpr 1
		.amdhsa_next_free_sgpr 0
		.amdhsa_reserve_vcc 0
		.amdhsa_reserve_flat_scratch 0
		.amdhsa_float_round_mode_32 0
		.amdhsa_float_round_mode_16_64 0
		.amdhsa_float_denorm_mode_32 3
		.amdhsa_float_denorm_mode_16_64 3
		.amdhsa_dx10_clamp 1
		.amdhsa_ieee_mode 1
		.amdhsa_fp16_overflow 0
		.amdhsa_exception_fp_ieee_invalid_op 0
		.amdhsa_exception_fp_denorm_src 0
		.amdhsa_exception_fp_ieee_div_zero 0
		.amdhsa_exception_fp_ieee_overflow 0
		.amdhsa_exception_fp_ieee_underflow 0
		.amdhsa_exception_fp_ieee_inexact 0
		.amdhsa_exception_int_div_zero 0
	.end_amdhsa_kernel
	.section	.text._ZN7rocprim17ROCPRIM_400000_NS6detail17trampoline_kernelINS0_13select_configILj256ELj13ELNS0_17block_load_methodE3ELS4_3ELS4_3ELNS0_20block_scan_algorithmE0ELj4294967295EEENS1_25partition_config_selectorILNS1_17partition_subalgoE3EjNS0_10empty_typeEbEEZZNS1_14partition_implILS8_3ELb0ES6_jNS0_17counting_iteratorIjlEEPS9_SE_NS0_5tupleIJPjSE_EEENSF_IJSE_SE_EEES9_SG_JZNS1_25segmented_radix_sort_implINS0_14default_configELb1EPK6__halfPSL_PKlPlN2at6native12_GLOBAL__N_18offset_tEEE10hipError_tPvRmT1_PNSt15iterator_traitsISZ_E10value_typeET2_T3_PNS10_IS15_E10value_typeET4_jRbjT5_S1B_jjP12ihipStream_tbEUljE_EEESW_SX_SY_S15_S19_S1B_T6_T7_T9_mT8_S1D_bDpT10_ENKUlT_T0_E_clISt17integral_constantIbLb0EES1P_IbLb1EEEEDaS1L_S1M_EUlS1L_E_NS1_11comp_targetILNS1_3genE5ELNS1_11target_archE942ELNS1_3gpuE9ELNS1_3repE0EEENS1_30default_config_static_selectorELNS0_4arch9wavefront6targetE1EEEvSZ_,"axG",@progbits,_ZN7rocprim17ROCPRIM_400000_NS6detail17trampoline_kernelINS0_13select_configILj256ELj13ELNS0_17block_load_methodE3ELS4_3ELS4_3ELNS0_20block_scan_algorithmE0ELj4294967295EEENS1_25partition_config_selectorILNS1_17partition_subalgoE3EjNS0_10empty_typeEbEEZZNS1_14partition_implILS8_3ELb0ES6_jNS0_17counting_iteratorIjlEEPS9_SE_NS0_5tupleIJPjSE_EEENSF_IJSE_SE_EEES9_SG_JZNS1_25segmented_radix_sort_implINS0_14default_configELb1EPK6__halfPSL_PKlPlN2at6native12_GLOBAL__N_18offset_tEEE10hipError_tPvRmT1_PNSt15iterator_traitsISZ_E10value_typeET2_T3_PNS10_IS15_E10value_typeET4_jRbjT5_S1B_jjP12ihipStream_tbEUljE_EEESW_SX_SY_S15_S19_S1B_T6_T7_T9_mT8_S1D_bDpT10_ENKUlT_T0_E_clISt17integral_constantIbLb0EES1P_IbLb1EEEEDaS1L_S1M_EUlS1L_E_NS1_11comp_targetILNS1_3genE5ELNS1_11target_archE942ELNS1_3gpuE9ELNS1_3repE0EEENS1_30default_config_static_selectorELNS0_4arch9wavefront6targetE1EEEvSZ_,comdat
.Lfunc_end1732:
	.size	_ZN7rocprim17ROCPRIM_400000_NS6detail17trampoline_kernelINS0_13select_configILj256ELj13ELNS0_17block_load_methodE3ELS4_3ELS4_3ELNS0_20block_scan_algorithmE0ELj4294967295EEENS1_25partition_config_selectorILNS1_17partition_subalgoE3EjNS0_10empty_typeEbEEZZNS1_14partition_implILS8_3ELb0ES6_jNS0_17counting_iteratorIjlEEPS9_SE_NS0_5tupleIJPjSE_EEENSF_IJSE_SE_EEES9_SG_JZNS1_25segmented_radix_sort_implINS0_14default_configELb1EPK6__halfPSL_PKlPlN2at6native12_GLOBAL__N_18offset_tEEE10hipError_tPvRmT1_PNSt15iterator_traitsISZ_E10value_typeET2_T3_PNS10_IS15_E10value_typeET4_jRbjT5_S1B_jjP12ihipStream_tbEUljE_EEESW_SX_SY_S15_S19_S1B_T6_T7_T9_mT8_S1D_bDpT10_ENKUlT_T0_E_clISt17integral_constantIbLb0EES1P_IbLb1EEEEDaS1L_S1M_EUlS1L_E_NS1_11comp_targetILNS1_3genE5ELNS1_11target_archE942ELNS1_3gpuE9ELNS1_3repE0EEENS1_30default_config_static_selectorELNS0_4arch9wavefront6targetE1EEEvSZ_, .Lfunc_end1732-_ZN7rocprim17ROCPRIM_400000_NS6detail17trampoline_kernelINS0_13select_configILj256ELj13ELNS0_17block_load_methodE3ELS4_3ELS4_3ELNS0_20block_scan_algorithmE0ELj4294967295EEENS1_25partition_config_selectorILNS1_17partition_subalgoE3EjNS0_10empty_typeEbEEZZNS1_14partition_implILS8_3ELb0ES6_jNS0_17counting_iteratorIjlEEPS9_SE_NS0_5tupleIJPjSE_EEENSF_IJSE_SE_EEES9_SG_JZNS1_25segmented_radix_sort_implINS0_14default_configELb1EPK6__halfPSL_PKlPlN2at6native12_GLOBAL__N_18offset_tEEE10hipError_tPvRmT1_PNSt15iterator_traitsISZ_E10value_typeET2_T3_PNS10_IS15_E10value_typeET4_jRbjT5_S1B_jjP12ihipStream_tbEUljE_EEESW_SX_SY_S15_S19_S1B_T6_T7_T9_mT8_S1D_bDpT10_ENKUlT_T0_E_clISt17integral_constantIbLb0EES1P_IbLb1EEEEDaS1L_S1M_EUlS1L_E_NS1_11comp_targetILNS1_3genE5ELNS1_11target_archE942ELNS1_3gpuE9ELNS1_3repE0EEENS1_30default_config_static_selectorELNS0_4arch9wavefront6targetE1EEEvSZ_
                                        ; -- End function
	.set _ZN7rocprim17ROCPRIM_400000_NS6detail17trampoline_kernelINS0_13select_configILj256ELj13ELNS0_17block_load_methodE3ELS4_3ELS4_3ELNS0_20block_scan_algorithmE0ELj4294967295EEENS1_25partition_config_selectorILNS1_17partition_subalgoE3EjNS0_10empty_typeEbEEZZNS1_14partition_implILS8_3ELb0ES6_jNS0_17counting_iteratorIjlEEPS9_SE_NS0_5tupleIJPjSE_EEENSF_IJSE_SE_EEES9_SG_JZNS1_25segmented_radix_sort_implINS0_14default_configELb1EPK6__halfPSL_PKlPlN2at6native12_GLOBAL__N_18offset_tEEE10hipError_tPvRmT1_PNSt15iterator_traitsISZ_E10value_typeET2_T3_PNS10_IS15_E10value_typeET4_jRbjT5_S1B_jjP12ihipStream_tbEUljE_EEESW_SX_SY_S15_S19_S1B_T6_T7_T9_mT8_S1D_bDpT10_ENKUlT_T0_E_clISt17integral_constantIbLb0EES1P_IbLb1EEEEDaS1L_S1M_EUlS1L_E_NS1_11comp_targetILNS1_3genE5ELNS1_11target_archE942ELNS1_3gpuE9ELNS1_3repE0EEENS1_30default_config_static_selectorELNS0_4arch9wavefront6targetE1EEEvSZ_.num_vgpr, 0
	.set _ZN7rocprim17ROCPRIM_400000_NS6detail17trampoline_kernelINS0_13select_configILj256ELj13ELNS0_17block_load_methodE3ELS4_3ELS4_3ELNS0_20block_scan_algorithmE0ELj4294967295EEENS1_25partition_config_selectorILNS1_17partition_subalgoE3EjNS0_10empty_typeEbEEZZNS1_14partition_implILS8_3ELb0ES6_jNS0_17counting_iteratorIjlEEPS9_SE_NS0_5tupleIJPjSE_EEENSF_IJSE_SE_EEES9_SG_JZNS1_25segmented_radix_sort_implINS0_14default_configELb1EPK6__halfPSL_PKlPlN2at6native12_GLOBAL__N_18offset_tEEE10hipError_tPvRmT1_PNSt15iterator_traitsISZ_E10value_typeET2_T3_PNS10_IS15_E10value_typeET4_jRbjT5_S1B_jjP12ihipStream_tbEUljE_EEESW_SX_SY_S15_S19_S1B_T6_T7_T9_mT8_S1D_bDpT10_ENKUlT_T0_E_clISt17integral_constantIbLb0EES1P_IbLb1EEEEDaS1L_S1M_EUlS1L_E_NS1_11comp_targetILNS1_3genE5ELNS1_11target_archE942ELNS1_3gpuE9ELNS1_3repE0EEENS1_30default_config_static_selectorELNS0_4arch9wavefront6targetE1EEEvSZ_.num_agpr, 0
	.set _ZN7rocprim17ROCPRIM_400000_NS6detail17trampoline_kernelINS0_13select_configILj256ELj13ELNS0_17block_load_methodE3ELS4_3ELS4_3ELNS0_20block_scan_algorithmE0ELj4294967295EEENS1_25partition_config_selectorILNS1_17partition_subalgoE3EjNS0_10empty_typeEbEEZZNS1_14partition_implILS8_3ELb0ES6_jNS0_17counting_iteratorIjlEEPS9_SE_NS0_5tupleIJPjSE_EEENSF_IJSE_SE_EEES9_SG_JZNS1_25segmented_radix_sort_implINS0_14default_configELb1EPK6__halfPSL_PKlPlN2at6native12_GLOBAL__N_18offset_tEEE10hipError_tPvRmT1_PNSt15iterator_traitsISZ_E10value_typeET2_T3_PNS10_IS15_E10value_typeET4_jRbjT5_S1B_jjP12ihipStream_tbEUljE_EEESW_SX_SY_S15_S19_S1B_T6_T7_T9_mT8_S1D_bDpT10_ENKUlT_T0_E_clISt17integral_constantIbLb0EES1P_IbLb1EEEEDaS1L_S1M_EUlS1L_E_NS1_11comp_targetILNS1_3genE5ELNS1_11target_archE942ELNS1_3gpuE9ELNS1_3repE0EEENS1_30default_config_static_selectorELNS0_4arch9wavefront6targetE1EEEvSZ_.numbered_sgpr, 0
	.set _ZN7rocprim17ROCPRIM_400000_NS6detail17trampoline_kernelINS0_13select_configILj256ELj13ELNS0_17block_load_methodE3ELS4_3ELS4_3ELNS0_20block_scan_algorithmE0ELj4294967295EEENS1_25partition_config_selectorILNS1_17partition_subalgoE3EjNS0_10empty_typeEbEEZZNS1_14partition_implILS8_3ELb0ES6_jNS0_17counting_iteratorIjlEEPS9_SE_NS0_5tupleIJPjSE_EEENSF_IJSE_SE_EEES9_SG_JZNS1_25segmented_radix_sort_implINS0_14default_configELb1EPK6__halfPSL_PKlPlN2at6native12_GLOBAL__N_18offset_tEEE10hipError_tPvRmT1_PNSt15iterator_traitsISZ_E10value_typeET2_T3_PNS10_IS15_E10value_typeET4_jRbjT5_S1B_jjP12ihipStream_tbEUljE_EEESW_SX_SY_S15_S19_S1B_T6_T7_T9_mT8_S1D_bDpT10_ENKUlT_T0_E_clISt17integral_constantIbLb0EES1P_IbLb1EEEEDaS1L_S1M_EUlS1L_E_NS1_11comp_targetILNS1_3genE5ELNS1_11target_archE942ELNS1_3gpuE9ELNS1_3repE0EEENS1_30default_config_static_selectorELNS0_4arch9wavefront6targetE1EEEvSZ_.num_named_barrier, 0
	.set _ZN7rocprim17ROCPRIM_400000_NS6detail17trampoline_kernelINS0_13select_configILj256ELj13ELNS0_17block_load_methodE3ELS4_3ELS4_3ELNS0_20block_scan_algorithmE0ELj4294967295EEENS1_25partition_config_selectorILNS1_17partition_subalgoE3EjNS0_10empty_typeEbEEZZNS1_14partition_implILS8_3ELb0ES6_jNS0_17counting_iteratorIjlEEPS9_SE_NS0_5tupleIJPjSE_EEENSF_IJSE_SE_EEES9_SG_JZNS1_25segmented_radix_sort_implINS0_14default_configELb1EPK6__halfPSL_PKlPlN2at6native12_GLOBAL__N_18offset_tEEE10hipError_tPvRmT1_PNSt15iterator_traitsISZ_E10value_typeET2_T3_PNS10_IS15_E10value_typeET4_jRbjT5_S1B_jjP12ihipStream_tbEUljE_EEESW_SX_SY_S15_S19_S1B_T6_T7_T9_mT8_S1D_bDpT10_ENKUlT_T0_E_clISt17integral_constantIbLb0EES1P_IbLb1EEEEDaS1L_S1M_EUlS1L_E_NS1_11comp_targetILNS1_3genE5ELNS1_11target_archE942ELNS1_3gpuE9ELNS1_3repE0EEENS1_30default_config_static_selectorELNS0_4arch9wavefront6targetE1EEEvSZ_.private_seg_size, 0
	.set _ZN7rocprim17ROCPRIM_400000_NS6detail17trampoline_kernelINS0_13select_configILj256ELj13ELNS0_17block_load_methodE3ELS4_3ELS4_3ELNS0_20block_scan_algorithmE0ELj4294967295EEENS1_25partition_config_selectorILNS1_17partition_subalgoE3EjNS0_10empty_typeEbEEZZNS1_14partition_implILS8_3ELb0ES6_jNS0_17counting_iteratorIjlEEPS9_SE_NS0_5tupleIJPjSE_EEENSF_IJSE_SE_EEES9_SG_JZNS1_25segmented_radix_sort_implINS0_14default_configELb1EPK6__halfPSL_PKlPlN2at6native12_GLOBAL__N_18offset_tEEE10hipError_tPvRmT1_PNSt15iterator_traitsISZ_E10value_typeET2_T3_PNS10_IS15_E10value_typeET4_jRbjT5_S1B_jjP12ihipStream_tbEUljE_EEESW_SX_SY_S15_S19_S1B_T6_T7_T9_mT8_S1D_bDpT10_ENKUlT_T0_E_clISt17integral_constantIbLb0EES1P_IbLb1EEEEDaS1L_S1M_EUlS1L_E_NS1_11comp_targetILNS1_3genE5ELNS1_11target_archE942ELNS1_3gpuE9ELNS1_3repE0EEENS1_30default_config_static_selectorELNS0_4arch9wavefront6targetE1EEEvSZ_.uses_vcc, 0
	.set _ZN7rocprim17ROCPRIM_400000_NS6detail17trampoline_kernelINS0_13select_configILj256ELj13ELNS0_17block_load_methodE3ELS4_3ELS4_3ELNS0_20block_scan_algorithmE0ELj4294967295EEENS1_25partition_config_selectorILNS1_17partition_subalgoE3EjNS0_10empty_typeEbEEZZNS1_14partition_implILS8_3ELb0ES6_jNS0_17counting_iteratorIjlEEPS9_SE_NS0_5tupleIJPjSE_EEENSF_IJSE_SE_EEES9_SG_JZNS1_25segmented_radix_sort_implINS0_14default_configELb1EPK6__halfPSL_PKlPlN2at6native12_GLOBAL__N_18offset_tEEE10hipError_tPvRmT1_PNSt15iterator_traitsISZ_E10value_typeET2_T3_PNS10_IS15_E10value_typeET4_jRbjT5_S1B_jjP12ihipStream_tbEUljE_EEESW_SX_SY_S15_S19_S1B_T6_T7_T9_mT8_S1D_bDpT10_ENKUlT_T0_E_clISt17integral_constantIbLb0EES1P_IbLb1EEEEDaS1L_S1M_EUlS1L_E_NS1_11comp_targetILNS1_3genE5ELNS1_11target_archE942ELNS1_3gpuE9ELNS1_3repE0EEENS1_30default_config_static_selectorELNS0_4arch9wavefront6targetE1EEEvSZ_.uses_flat_scratch, 0
	.set _ZN7rocprim17ROCPRIM_400000_NS6detail17trampoline_kernelINS0_13select_configILj256ELj13ELNS0_17block_load_methodE3ELS4_3ELS4_3ELNS0_20block_scan_algorithmE0ELj4294967295EEENS1_25partition_config_selectorILNS1_17partition_subalgoE3EjNS0_10empty_typeEbEEZZNS1_14partition_implILS8_3ELb0ES6_jNS0_17counting_iteratorIjlEEPS9_SE_NS0_5tupleIJPjSE_EEENSF_IJSE_SE_EEES9_SG_JZNS1_25segmented_radix_sort_implINS0_14default_configELb1EPK6__halfPSL_PKlPlN2at6native12_GLOBAL__N_18offset_tEEE10hipError_tPvRmT1_PNSt15iterator_traitsISZ_E10value_typeET2_T3_PNS10_IS15_E10value_typeET4_jRbjT5_S1B_jjP12ihipStream_tbEUljE_EEESW_SX_SY_S15_S19_S1B_T6_T7_T9_mT8_S1D_bDpT10_ENKUlT_T0_E_clISt17integral_constantIbLb0EES1P_IbLb1EEEEDaS1L_S1M_EUlS1L_E_NS1_11comp_targetILNS1_3genE5ELNS1_11target_archE942ELNS1_3gpuE9ELNS1_3repE0EEENS1_30default_config_static_selectorELNS0_4arch9wavefront6targetE1EEEvSZ_.has_dyn_sized_stack, 0
	.set _ZN7rocprim17ROCPRIM_400000_NS6detail17trampoline_kernelINS0_13select_configILj256ELj13ELNS0_17block_load_methodE3ELS4_3ELS4_3ELNS0_20block_scan_algorithmE0ELj4294967295EEENS1_25partition_config_selectorILNS1_17partition_subalgoE3EjNS0_10empty_typeEbEEZZNS1_14partition_implILS8_3ELb0ES6_jNS0_17counting_iteratorIjlEEPS9_SE_NS0_5tupleIJPjSE_EEENSF_IJSE_SE_EEES9_SG_JZNS1_25segmented_radix_sort_implINS0_14default_configELb1EPK6__halfPSL_PKlPlN2at6native12_GLOBAL__N_18offset_tEEE10hipError_tPvRmT1_PNSt15iterator_traitsISZ_E10value_typeET2_T3_PNS10_IS15_E10value_typeET4_jRbjT5_S1B_jjP12ihipStream_tbEUljE_EEESW_SX_SY_S15_S19_S1B_T6_T7_T9_mT8_S1D_bDpT10_ENKUlT_T0_E_clISt17integral_constantIbLb0EES1P_IbLb1EEEEDaS1L_S1M_EUlS1L_E_NS1_11comp_targetILNS1_3genE5ELNS1_11target_archE942ELNS1_3gpuE9ELNS1_3repE0EEENS1_30default_config_static_selectorELNS0_4arch9wavefront6targetE1EEEvSZ_.has_recursion, 0
	.set _ZN7rocprim17ROCPRIM_400000_NS6detail17trampoline_kernelINS0_13select_configILj256ELj13ELNS0_17block_load_methodE3ELS4_3ELS4_3ELNS0_20block_scan_algorithmE0ELj4294967295EEENS1_25partition_config_selectorILNS1_17partition_subalgoE3EjNS0_10empty_typeEbEEZZNS1_14partition_implILS8_3ELb0ES6_jNS0_17counting_iteratorIjlEEPS9_SE_NS0_5tupleIJPjSE_EEENSF_IJSE_SE_EEES9_SG_JZNS1_25segmented_radix_sort_implINS0_14default_configELb1EPK6__halfPSL_PKlPlN2at6native12_GLOBAL__N_18offset_tEEE10hipError_tPvRmT1_PNSt15iterator_traitsISZ_E10value_typeET2_T3_PNS10_IS15_E10value_typeET4_jRbjT5_S1B_jjP12ihipStream_tbEUljE_EEESW_SX_SY_S15_S19_S1B_T6_T7_T9_mT8_S1D_bDpT10_ENKUlT_T0_E_clISt17integral_constantIbLb0EES1P_IbLb1EEEEDaS1L_S1M_EUlS1L_E_NS1_11comp_targetILNS1_3genE5ELNS1_11target_archE942ELNS1_3gpuE9ELNS1_3repE0EEENS1_30default_config_static_selectorELNS0_4arch9wavefront6targetE1EEEvSZ_.has_indirect_call, 0
	.section	.AMDGPU.csdata,"",@progbits
; Kernel info:
; codeLenInByte = 0
; TotalNumSgprs: 4
; NumVgprs: 0
; ScratchSize: 0
; MemoryBound: 0
; FloatMode: 240
; IeeeMode: 1
; LDSByteSize: 0 bytes/workgroup (compile time only)
; SGPRBlocks: 0
; VGPRBlocks: 0
; NumSGPRsForWavesPerEU: 4
; NumVGPRsForWavesPerEU: 1
; Occupancy: 10
; WaveLimiterHint : 0
; COMPUTE_PGM_RSRC2:SCRATCH_EN: 0
; COMPUTE_PGM_RSRC2:USER_SGPR: 6
; COMPUTE_PGM_RSRC2:TRAP_HANDLER: 0
; COMPUTE_PGM_RSRC2:TGID_X_EN: 1
; COMPUTE_PGM_RSRC2:TGID_Y_EN: 0
; COMPUTE_PGM_RSRC2:TGID_Z_EN: 0
; COMPUTE_PGM_RSRC2:TIDIG_COMP_CNT: 0
	.section	.text._ZN7rocprim17ROCPRIM_400000_NS6detail17trampoline_kernelINS0_13select_configILj256ELj13ELNS0_17block_load_methodE3ELS4_3ELS4_3ELNS0_20block_scan_algorithmE0ELj4294967295EEENS1_25partition_config_selectorILNS1_17partition_subalgoE3EjNS0_10empty_typeEbEEZZNS1_14partition_implILS8_3ELb0ES6_jNS0_17counting_iteratorIjlEEPS9_SE_NS0_5tupleIJPjSE_EEENSF_IJSE_SE_EEES9_SG_JZNS1_25segmented_radix_sort_implINS0_14default_configELb1EPK6__halfPSL_PKlPlN2at6native12_GLOBAL__N_18offset_tEEE10hipError_tPvRmT1_PNSt15iterator_traitsISZ_E10value_typeET2_T3_PNS10_IS15_E10value_typeET4_jRbjT5_S1B_jjP12ihipStream_tbEUljE_EEESW_SX_SY_S15_S19_S1B_T6_T7_T9_mT8_S1D_bDpT10_ENKUlT_T0_E_clISt17integral_constantIbLb0EES1P_IbLb1EEEEDaS1L_S1M_EUlS1L_E_NS1_11comp_targetILNS1_3genE4ELNS1_11target_archE910ELNS1_3gpuE8ELNS1_3repE0EEENS1_30default_config_static_selectorELNS0_4arch9wavefront6targetE1EEEvSZ_,"axG",@progbits,_ZN7rocprim17ROCPRIM_400000_NS6detail17trampoline_kernelINS0_13select_configILj256ELj13ELNS0_17block_load_methodE3ELS4_3ELS4_3ELNS0_20block_scan_algorithmE0ELj4294967295EEENS1_25partition_config_selectorILNS1_17partition_subalgoE3EjNS0_10empty_typeEbEEZZNS1_14partition_implILS8_3ELb0ES6_jNS0_17counting_iteratorIjlEEPS9_SE_NS0_5tupleIJPjSE_EEENSF_IJSE_SE_EEES9_SG_JZNS1_25segmented_radix_sort_implINS0_14default_configELb1EPK6__halfPSL_PKlPlN2at6native12_GLOBAL__N_18offset_tEEE10hipError_tPvRmT1_PNSt15iterator_traitsISZ_E10value_typeET2_T3_PNS10_IS15_E10value_typeET4_jRbjT5_S1B_jjP12ihipStream_tbEUljE_EEESW_SX_SY_S15_S19_S1B_T6_T7_T9_mT8_S1D_bDpT10_ENKUlT_T0_E_clISt17integral_constantIbLb0EES1P_IbLb1EEEEDaS1L_S1M_EUlS1L_E_NS1_11comp_targetILNS1_3genE4ELNS1_11target_archE910ELNS1_3gpuE8ELNS1_3repE0EEENS1_30default_config_static_selectorELNS0_4arch9wavefront6targetE1EEEvSZ_,comdat
	.globl	_ZN7rocprim17ROCPRIM_400000_NS6detail17trampoline_kernelINS0_13select_configILj256ELj13ELNS0_17block_load_methodE3ELS4_3ELS4_3ELNS0_20block_scan_algorithmE0ELj4294967295EEENS1_25partition_config_selectorILNS1_17partition_subalgoE3EjNS0_10empty_typeEbEEZZNS1_14partition_implILS8_3ELb0ES6_jNS0_17counting_iteratorIjlEEPS9_SE_NS0_5tupleIJPjSE_EEENSF_IJSE_SE_EEES9_SG_JZNS1_25segmented_radix_sort_implINS0_14default_configELb1EPK6__halfPSL_PKlPlN2at6native12_GLOBAL__N_18offset_tEEE10hipError_tPvRmT1_PNSt15iterator_traitsISZ_E10value_typeET2_T3_PNS10_IS15_E10value_typeET4_jRbjT5_S1B_jjP12ihipStream_tbEUljE_EEESW_SX_SY_S15_S19_S1B_T6_T7_T9_mT8_S1D_bDpT10_ENKUlT_T0_E_clISt17integral_constantIbLb0EES1P_IbLb1EEEEDaS1L_S1M_EUlS1L_E_NS1_11comp_targetILNS1_3genE4ELNS1_11target_archE910ELNS1_3gpuE8ELNS1_3repE0EEENS1_30default_config_static_selectorELNS0_4arch9wavefront6targetE1EEEvSZ_ ; -- Begin function _ZN7rocprim17ROCPRIM_400000_NS6detail17trampoline_kernelINS0_13select_configILj256ELj13ELNS0_17block_load_methodE3ELS4_3ELS4_3ELNS0_20block_scan_algorithmE0ELj4294967295EEENS1_25partition_config_selectorILNS1_17partition_subalgoE3EjNS0_10empty_typeEbEEZZNS1_14partition_implILS8_3ELb0ES6_jNS0_17counting_iteratorIjlEEPS9_SE_NS0_5tupleIJPjSE_EEENSF_IJSE_SE_EEES9_SG_JZNS1_25segmented_radix_sort_implINS0_14default_configELb1EPK6__halfPSL_PKlPlN2at6native12_GLOBAL__N_18offset_tEEE10hipError_tPvRmT1_PNSt15iterator_traitsISZ_E10value_typeET2_T3_PNS10_IS15_E10value_typeET4_jRbjT5_S1B_jjP12ihipStream_tbEUljE_EEESW_SX_SY_S15_S19_S1B_T6_T7_T9_mT8_S1D_bDpT10_ENKUlT_T0_E_clISt17integral_constantIbLb0EES1P_IbLb1EEEEDaS1L_S1M_EUlS1L_E_NS1_11comp_targetILNS1_3genE4ELNS1_11target_archE910ELNS1_3gpuE8ELNS1_3repE0EEENS1_30default_config_static_selectorELNS0_4arch9wavefront6targetE1EEEvSZ_
	.p2align	8
	.type	_ZN7rocprim17ROCPRIM_400000_NS6detail17trampoline_kernelINS0_13select_configILj256ELj13ELNS0_17block_load_methodE3ELS4_3ELS4_3ELNS0_20block_scan_algorithmE0ELj4294967295EEENS1_25partition_config_selectorILNS1_17partition_subalgoE3EjNS0_10empty_typeEbEEZZNS1_14partition_implILS8_3ELb0ES6_jNS0_17counting_iteratorIjlEEPS9_SE_NS0_5tupleIJPjSE_EEENSF_IJSE_SE_EEES9_SG_JZNS1_25segmented_radix_sort_implINS0_14default_configELb1EPK6__halfPSL_PKlPlN2at6native12_GLOBAL__N_18offset_tEEE10hipError_tPvRmT1_PNSt15iterator_traitsISZ_E10value_typeET2_T3_PNS10_IS15_E10value_typeET4_jRbjT5_S1B_jjP12ihipStream_tbEUljE_EEESW_SX_SY_S15_S19_S1B_T6_T7_T9_mT8_S1D_bDpT10_ENKUlT_T0_E_clISt17integral_constantIbLb0EES1P_IbLb1EEEEDaS1L_S1M_EUlS1L_E_NS1_11comp_targetILNS1_3genE4ELNS1_11target_archE910ELNS1_3gpuE8ELNS1_3repE0EEENS1_30default_config_static_selectorELNS0_4arch9wavefront6targetE1EEEvSZ_,@function
_ZN7rocprim17ROCPRIM_400000_NS6detail17trampoline_kernelINS0_13select_configILj256ELj13ELNS0_17block_load_methodE3ELS4_3ELS4_3ELNS0_20block_scan_algorithmE0ELj4294967295EEENS1_25partition_config_selectorILNS1_17partition_subalgoE3EjNS0_10empty_typeEbEEZZNS1_14partition_implILS8_3ELb0ES6_jNS0_17counting_iteratorIjlEEPS9_SE_NS0_5tupleIJPjSE_EEENSF_IJSE_SE_EEES9_SG_JZNS1_25segmented_radix_sort_implINS0_14default_configELb1EPK6__halfPSL_PKlPlN2at6native12_GLOBAL__N_18offset_tEEE10hipError_tPvRmT1_PNSt15iterator_traitsISZ_E10value_typeET2_T3_PNS10_IS15_E10value_typeET4_jRbjT5_S1B_jjP12ihipStream_tbEUljE_EEESW_SX_SY_S15_S19_S1B_T6_T7_T9_mT8_S1D_bDpT10_ENKUlT_T0_E_clISt17integral_constantIbLb0EES1P_IbLb1EEEEDaS1L_S1M_EUlS1L_E_NS1_11comp_targetILNS1_3genE4ELNS1_11target_archE910ELNS1_3gpuE8ELNS1_3repE0EEENS1_30default_config_static_selectorELNS0_4arch9wavefront6targetE1EEEvSZ_: ; @_ZN7rocprim17ROCPRIM_400000_NS6detail17trampoline_kernelINS0_13select_configILj256ELj13ELNS0_17block_load_methodE3ELS4_3ELS4_3ELNS0_20block_scan_algorithmE0ELj4294967295EEENS1_25partition_config_selectorILNS1_17partition_subalgoE3EjNS0_10empty_typeEbEEZZNS1_14partition_implILS8_3ELb0ES6_jNS0_17counting_iteratorIjlEEPS9_SE_NS0_5tupleIJPjSE_EEENSF_IJSE_SE_EEES9_SG_JZNS1_25segmented_radix_sort_implINS0_14default_configELb1EPK6__halfPSL_PKlPlN2at6native12_GLOBAL__N_18offset_tEEE10hipError_tPvRmT1_PNSt15iterator_traitsISZ_E10value_typeET2_T3_PNS10_IS15_E10value_typeET4_jRbjT5_S1B_jjP12ihipStream_tbEUljE_EEESW_SX_SY_S15_S19_S1B_T6_T7_T9_mT8_S1D_bDpT10_ENKUlT_T0_E_clISt17integral_constantIbLb0EES1P_IbLb1EEEEDaS1L_S1M_EUlS1L_E_NS1_11comp_targetILNS1_3genE4ELNS1_11target_archE910ELNS1_3gpuE8ELNS1_3repE0EEENS1_30default_config_static_selectorELNS0_4arch9wavefront6targetE1EEEvSZ_
; %bb.0:
	.section	.rodata,"a",@progbits
	.p2align	6, 0x0
	.amdhsa_kernel _ZN7rocprim17ROCPRIM_400000_NS6detail17trampoline_kernelINS0_13select_configILj256ELj13ELNS0_17block_load_methodE3ELS4_3ELS4_3ELNS0_20block_scan_algorithmE0ELj4294967295EEENS1_25partition_config_selectorILNS1_17partition_subalgoE3EjNS0_10empty_typeEbEEZZNS1_14partition_implILS8_3ELb0ES6_jNS0_17counting_iteratorIjlEEPS9_SE_NS0_5tupleIJPjSE_EEENSF_IJSE_SE_EEES9_SG_JZNS1_25segmented_radix_sort_implINS0_14default_configELb1EPK6__halfPSL_PKlPlN2at6native12_GLOBAL__N_18offset_tEEE10hipError_tPvRmT1_PNSt15iterator_traitsISZ_E10value_typeET2_T3_PNS10_IS15_E10value_typeET4_jRbjT5_S1B_jjP12ihipStream_tbEUljE_EEESW_SX_SY_S15_S19_S1B_T6_T7_T9_mT8_S1D_bDpT10_ENKUlT_T0_E_clISt17integral_constantIbLb0EES1P_IbLb1EEEEDaS1L_S1M_EUlS1L_E_NS1_11comp_targetILNS1_3genE4ELNS1_11target_archE910ELNS1_3gpuE8ELNS1_3repE0EEENS1_30default_config_static_selectorELNS0_4arch9wavefront6targetE1EEEvSZ_
		.amdhsa_group_segment_fixed_size 0
		.amdhsa_private_segment_fixed_size 0
		.amdhsa_kernarg_size 152
		.amdhsa_user_sgpr_count 6
		.amdhsa_user_sgpr_private_segment_buffer 1
		.amdhsa_user_sgpr_dispatch_ptr 0
		.amdhsa_user_sgpr_queue_ptr 0
		.amdhsa_user_sgpr_kernarg_segment_ptr 1
		.amdhsa_user_sgpr_dispatch_id 0
		.amdhsa_user_sgpr_flat_scratch_init 0
		.amdhsa_user_sgpr_private_segment_size 0
		.amdhsa_uses_dynamic_stack 0
		.amdhsa_system_sgpr_private_segment_wavefront_offset 0
		.amdhsa_system_sgpr_workgroup_id_x 1
		.amdhsa_system_sgpr_workgroup_id_y 0
		.amdhsa_system_sgpr_workgroup_id_z 0
		.amdhsa_system_sgpr_workgroup_info 0
		.amdhsa_system_vgpr_workitem_id 0
		.amdhsa_next_free_vgpr 1
		.amdhsa_next_free_sgpr 0
		.amdhsa_reserve_vcc 0
		.amdhsa_reserve_flat_scratch 0
		.amdhsa_float_round_mode_32 0
		.amdhsa_float_round_mode_16_64 0
		.amdhsa_float_denorm_mode_32 3
		.amdhsa_float_denorm_mode_16_64 3
		.amdhsa_dx10_clamp 1
		.amdhsa_ieee_mode 1
		.amdhsa_fp16_overflow 0
		.amdhsa_exception_fp_ieee_invalid_op 0
		.amdhsa_exception_fp_denorm_src 0
		.amdhsa_exception_fp_ieee_div_zero 0
		.amdhsa_exception_fp_ieee_overflow 0
		.amdhsa_exception_fp_ieee_underflow 0
		.amdhsa_exception_fp_ieee_inexact 0
		.amdhsa_exception_int_div_zero 0
	.end_amdhsa_kernel
	.section	.text._ZN7rocprim17ROCPRIM_400000_NS6detail17trampoline_kernelINS0_13select_configILj256ELj13ELNS0_17block_load_methodE3ELS4_3ELS4_3ELNS0_20block_scan_algorithmE0ELj4294967295EEENS1_25partition_config_selectorILNS1_17partition_subalgoE3EjNS0_10empty_typeEbEEZZNS1_14partition_implILS8_3ELb0ES6_jNS0_17counting_iteratorIjlEEPS9_SE_NS0_5tupleIJPjSE_EEENSF_IJSE_SE_EEES9_SG_JZNS1_25segmented_radix_sort_implINS0_14default_configELb1EPK6__halfPSL_PKlPlN2at6native12_GLOBAL__N_18offset_tEEE10hipError_tPvRmT1_PNSt15iterator_traitsISZ_E10value_typeET2_T3_PNS10_IS15_E10value_typeET4_jRbjT5_S1B_jjP12ihipStream_tbEUljE_EEESW_SX_SY_S15_S19_S1B_T6_T7_T9_mT8_S1D_bDpT10_ENKUlT_T0_E_clISt17integral_constantIbLb0EES1P_IbLb1EEEEDaS1L_S1M_EUlS1L_E_NS1_11comp_targetILNS1_3genE4ELNS1_11target_archE910ELNS1_3gpuE8ELNS1_3repE0EEENS1_30default_config_static_selectorELNS0_4arch9wavefront6targetE1EEEvSZ_,"axG",@progbits,_ZN7rocprim17ROCPRIM_400000_NS6detail17trampoline_kernelINS0_13select_configILj256ELj13ELNS0_17block_load_methodE3ELS4_3ELS4_3ELNS0_20block_scan_algorithmE0ELj4294967295EEENS1_25partition_config_selectorILNS1_17partition_subalgoE3EjNS0_10empty_typeEbEEZZNS1_14partition_implILS8_3ELb0ES6_jNS0_17counting_iteratorIjlEEPS9_SE_NS0_5tupleIJPjSE_EEENSF_IJSE_SE_EEES9_SG_JZNS1_25segmented_radix_sort_implINS0_14default_configELb1EPK6__halfPSL_PKlPlN2at6native12_GLOBAL__N_18offset_tEEE10hipError_tPvRmT1_PNSt15iterator_traitsISZ_E10value_typeET2_T3_PNS10_IS15_E10value_typeET4_jRbjT5_S1B_jjP12ihipStream_tbEUljE_EEESW_SX_SY_S15_S19_S1B_T6_T7_T9_mT8_S1D_bDpT10_ENKUlT_T0_E_clISt17integral_constantIbLb0EES1P_IbLb1EEEEDaS1L_S1M_EUlS1L_E_NS1_11comp_targetILNS1_3genE4ELNS1_11target_archE910ELNS1_3gpuE8ELNS1_3repE0EEENS1_30default_config_static_selectorELNS0_4arch9wavefront6targetE1EEEvSZ_,comdat
.Lfunc_end1733:
	.size	_ZN7rocprim17ROCPRIM_400000_NS6detail17trampoline_kernelINS0_13select_configILj256ELj13ELNS0_17block_load_methodE3ELS4_3ELS4_3ELNS0_20block_scan_algorithmE0ELj4294967295EEENS1_25partition_config_selectorILNS1_17partition_subalgoE3EjNS0_10empty_typeEbEEZZNS1_14partition_implILS8_3ELb0ES6_jNS0_17counting_iteratorIjlEEPS9_SE_NS0_5tupleIJPjSE_EEENSF_IJSE_SE_EEES9_SG_JZNS1_25segmented_radix_sort_implINS0_14default_configELb1EPK6__halfPSL_PKlPlN2at6native12_GLOBAL__N_18offset_tEEE10hipError_tPvRmT1_PNSt15iterator_traitsISZ_E10value_typeET2_T3_PNS10_IS15_E10value_typeET4_jRbjT5_S1B_jjP12ihipStream_tbEUljE_EEESW_SX_SY_S15_S19_S1B_T6_T7_T9_mT8_S1D_bDpT10_ENKUlT_T0_E_clISt17integral_constantIbLb0EES1P_IbLb1EEEEDaS1L_S1M_EUlS1L_E_NS1_11comp_targetILNS1_3genE4ELNS1_11target_archE910ELNS1_3gpuE8ELNS1_3repE0EEENS1_30default_config_static_selectorELNS0_4arch9wavefront6targetE1EEEvSZ_, .Lfunc_end1733-_ZN7rocprim17ROCPRIM_400000_NS6detail17trampoline_kernelINS0_13select_configILj256ELj13ELNS0_17block_load_methodE3ELS4_3ELS4_3ELNS0_20block_scan_algorithmE0ELj4294967295EEENS1_25partition_config_selectorILNS1_17partition_subalgoE3EjNS0_10empty_typeEbEEZZNS1_14partition_implILS8_3ELb0ES6_jNS0_17counting_iteratorIjlEEPS9_SE_NS0_5tupleIJPjSE_EEENSF_IJSE_SE_EEES9_SG_JZNS1_25segmented_radix_sort_implINS0_14default_configELb1EPK6__halfPSL_PKlPlN2at6native12_GLOBAL__N_18offset_tEEE10hipError_tPvRmT1_PNSt15iterator_traitsISZ_E10value_typeET2_T3_PNS10_IS15_E10value_typeET4_jRbjT5_S1B_jjP12ihipStream_tbEUljE_EEESW_SX_SY_S15_S19_S1B_T6_T7_T9_mT8_S1D_bDpT10_ENKUlT_T0_E_clISt17integral_constantIbLb0EES1P_IbLb1EEEEDaS1L_S1M_EUlS1L_E_NS1_11comp_targetILNS1_3genE4ELNS1_11target_archE910ELNS1_3gpuE8ELNS1_3repE0EEENS1_30default_config_static_selectorELNS0_4arch9wavefront6targetE1EEEvSZ_
                                        ; -- End function
	.set _ZN7rocprim17ROCPRIM_400000_NS6detail17trampoline_kernelINS0_13select_configILj256ELj13ELNS0_17block_load_methodE3ELS4_3ELS4_3ELNS0_20block_scan_algorithmE0ELj4294967295EEENS1_25partition_config_selectorILNS1_17partition_subalgoE3EjNS0_10empty_typeEbEEZZNS1_14partition_implILS8_3ELb0ES6_jNS0_17counting_iteratorIjlEEPS9_SE_NS0_5tupleIJPjSE_EEENSF_IJSE_SE_EEES9_SG_JZNS1_25segmented_radix_sort_implINS0_14default_configELb1EPK6__halfPSL_PKlPlN2at6native12_GLOBAL__N_18offset_tEEE10hipError_tPvRmT1_PNSt15iterator_traitsISZ_E10value_typeET2_T3_PNS10_IS15_E10value_typeET4_jRbjT5_S1B_jjP12ihipStream_tbEUljE_EEESW_SX_SY_S15_S19_S1B_T6_T7_T9_mT8_S1D_bDpT10_ENKUlT_T0_E_clISt17integral_constantIbLb0EES1P_IbLb1EEEEDaS1L_S1M_EUlS1L_E_NS1_11comp_targetILNS1_3genE4ELNS1_11target_archE910ELNS1_3gpuE8ELNS1_3repE0EEENS1_30default_config_static_selectorELNS0_4arch9wavefront6targetE1EEEvSZ_.num_vgpr, 0
	.set _ZN7rocprim17ROCPRIM_400000_NS6detail17trampoline_kernelINS0_13select_configILj256ELj13ELNS0_17block_load_methodE3ELS4_3ELS4_3ELNS0_20block_scan_algorithmE0ELj4294967295EEENS1_25partition_config_selectorILNS1_17partition_subalgoE3EjNS0_10empty_typeEbEEZZNS1_14partition_implILS8_3ELb0ES6_jNS0_17counting_iteratorIjlEEPS9_SE_NS0_5tupleIJPjSE_EEENSF_IJSE_SE_EEES9_SG_JZNS1_25segmented_radix_sort_implINS0_14default_configELb1EPK6__halfPSL_PKlPlN2at6native12_GLOBAL__N_18offset_tEEE10hipError_tPvRmT1_PNSt15iterator_traitsISZ_E10value_typeET2_T3_PNS10_IS15_E10value_typeET4_jRbjT5_S1B_jjP12ihipStream_tbEUljE_EEESW_SX_SY_S15_S19_S1B_T6_T7_T9_mT8_S1D_bDpT10_ENKUlT_T0_E_clISt17integral_constantIbLb0EES1P_IbLb1EEEEDaS1L_S1M_EUlS1L_E_NS1_11comp_targetILNS1_3genE4ELNS1_11target_archE910ELNS1_3gpuE8ELNS1_3repE0EEENS1_30default_config_static_selectorELNS0_4arch9wavefront6targetE1EEEvSZ_.num_agpr, 0
	.set _ZN7rocprim17ROCPRIM_400000_NS6detail17trampoline_kernelINS0_13select_configILj256ELj13ELNS0_17block_load_methodE3ELS4_3ELS4_3ELNS0_20block_scan_algorithmE0ELj4294967295EEENS1_25partition_config_selectorILNS1_17partition_subalgoE3EjNS0_10empty_typeEbEEZZNS1_14partition_implILS8_3ELb0ES6_jNS0_17counting_iteratorIjlEEPS9_SE_NS0_5tupleIJPjSE_EEENSF_IJSE_SE_EEES9_SG_JZNS1_25segmented_radix_sort_implINS0_14default_configELb1EPK6__halfPSL_PKlPlN2at6native12_GLOBAL__N_18offset_tEEE10hipError_tPvRmT1_PNSt15iterator_traitsISZ_E10value_typeET2_T3_PNS10_IS15_E10value_typeET4_jRbjT5_S1B_jjP12ihipStream_tbEUljE_EEESW_SX_SY_S15_S19_S1B_T6_T7_T9_mT8_S1D_bDpT10_ENKUlT_T0_E_clISt17integral_constantIbLb0EES1P_IbLb1EEEEDaS1L_S1M_EUlS1L_E_NS1_11comp_targetILNS1_3genE4ELNS1_11target_archE910ELNS1_3gpuE8ELNS1_3repE0EEENS1_30default_config_static_selectorELNS0_4arch9wavefront6targetE1EEEvSZ_.numbered_sgpr, 0
	.set _ZN7rocprim17ROCPRIM_400000_NS6detail17trampoline_kernelINS0_13select_configILj256ELj13ELNS0_17block_load_methodE3ELS4_3ELS4_3ELNS0_20block_scan_algorithmE0ELj4294967295EEENS1_25partition_config_selectorILNS1_17partition_subalgoE3EjNS0_10empty_typeEbEEZZNS1_14partition_implILS8_3ELb0ES6_jNS0_17counting_iteratorIjlEEPS9_SE_NS0_5tupleIJPjSE_EEENSF_IJSE_SE_EEES9_SG_JZNS1_25segmented_radix_sort_implINS0_14default_configELb1EPK6__halfPSL_PKlPlN2at6native12_GLOBAL__N_18offset_tEEE10hipError_tPvRmT1_PNSt15iterator_traitsISZ_E10value_typeET2_T3_PNS10_IS15_E10value_typeET4_jRbjT5_S1B_jjP12ihipStream_tbEUljE_EEESW_SX_SY_S15_S19_S1B_T6_T7_T9_mT8_S1D_bDpT10_ENKUlT_T0_E_clISt17integral_constantIbLb0EES1P_IbLb1EEEEDaS1L_S1M_EUlS1L_E_NS1_11comp_targetILNS1_3genE4ELNS1_11target_archE910ELNS1_3gpuE8ELNS1_3repE0EEENS1_30default_config_static_selectorELNS0_4arch9wavefront6targetE1EEEvSZ_.num_named_barrier, 0
	.set _ZN7rocprim17ROCPRIM_400000_NS6detail17trampoline_kernelINS0_13select_configILj256ELj13ELNS0_17block_load_methodE3ELS4_3ELS4_3ELNS0_20block_scan_algorithmE0ELj4294967295EEENS1_25partition_config_selectorILNS1_17partition_subalgoE3EjNS0_10empty_typeEbEEZZNS1_14partition_implILS8_3ELb0ES6_jNS0_17counting_iteratorIjlEEPS9_SE_NS0_5tupleIJPjSE_EEENSF_IJSE_SE_EEES9_SG_JZNS1_25segmented_radix_sort_implINS0_14default_configELb1EPK6__halfPSL_PKlPlN2at6native12_GLOBAL__N_18offset_tEEE10hipError_tPvRmT1_PNSt15iterator_traitsISZ_E10value_typeET2_T3_PNS10_IS15_E10value_typeET4_jRbjT5_S1B_jjP12ihipStream_tbEUljE_EEESW_SX_SY_S15_S19_S1B_T6_T7_T9_mT8_S1D_bDpT10_ENKUlT_T0_E_clISt17integral_constantIbLb0EES1P_IbLb1EEEEDaS1L_S1M_EUlS1L_E_NS1_11comp_targetILNS1_3genE4ELNS1_11target_archE910ELNS1_3gpuE8ELNS1_3repE0EEENS1_30default_config_static_selectorELNS0_4arch9wavefront6targetE1EEEvSZ_.private_seg_size, 0
	.set _ZN7rocprim17ROCPRIM_400000_NS6detail17trampoline_kernelINS0_13select_configILj256ELj13ELNS0_17block_load_methodE3ELS4_3ELS4_3ELNS0_20block_scan_algorithmE0ELj4294967295EEENS1_25partition_config_selectorILNS1_17partition_subalgoE3EjNS0_10empty_typeEbEEZZNS1_14partition_implILS8_3ELb0ES6_jNS0_17counting_iteratorIjlEEPS9_SE_NS0_5tupleIJPjSE_EEENSF_IJSE_SE_EEES9_SG_JZNS1_25segmented_radix_sort_implINS0_14default_configELb1EPK6__halfPSL_PKlPlN2at6native12_GLOBAL__N_18offset_tEEE10hipError_tPvRmT1_PNSt15iterator_traitsISZ_E10value_typeET2_T3_PNS10_IS15_E10value_typeET4_jRbjT5_S1B_jjP12ihipStream_tbEUljE_EEESW_SX_SY_S15_S19_S1B_T6_T7_T9_mT8_S1D_bDpT10_ENKUlT_T0_E_clISt17integral_constantIbLb0EES1P_IbLb1EEEEDaS1L_S1M_EUlS1L_E_NS1_11comp_targetILNS1_3genE4ELNS1_11target_archE910ELNS1_3gpuE8ELNS1_3repE0EEENS1_30default_config_static_selectorELNS0_4arch9wavefront6targetE1EEEvSZ_.uses_vcc, 0
	.set _ZN7rocprim17ROCPRIM_400000_NS6detail17trampoline_kernelINS0_13select_configILj256ELj13ELNS0_17block_load_methodE3ELS4_3ELS4_3ELNS0_20block_scan_algorithmE0ELj4294967295EEENS1_25partition_config_selectorILNS1_17partition_subalgoE3EjNS0_10empty_typeEbEEZZNS1_14partition_implILS8_3ELb0ES6_jNS0_17counting_iteratorIjlEEPS9_SE_NS0_5tupleIJPjSE_EEENSF_IJSE_SE_EEES9_SG_JZNS1_25segmented_radix_sort_implINS0_14default_configELb1EPK6__halfPSL_PKlPlN2at6native12_GLOBAL__N_18offset_tEEE10hipError_tPvRmT1_PNSt15iterator_traitsISZ_E10value_typeET2_T3_PNS10_IS15_E10value_typeET4_jRbjT5_S1B_jjP12ihipStream_tbEUljE_EEESW_SX_SY_S15_S19_S1B_T6_T7_T9_mT8_S1D_bDpT10_ENKUlT_T0_E_clISt17integral_constantIbLb0EES1P_IbLb1EEEEDaS1L_S1M_EUlS1L_E_NS1_11comp_targetILNS1_3genE4ELNS1_11target_archE910ELNS1_3gpuE8ELNS1_3repE0EEENS1_30default_config_static_selectorELNS0_4arch9wavefront6targetE1EEEvSZ_.uses_flat_scratch, 0
	.set _ZN7rocprim17ROCPRIM_400000_NS6detail17trampoline_kernelINS0_13select_configILj256ELj13ELNS0_17block_load_methodE3ELS4_3ELS4_3ELNS0_20block_scan_algorithmE0ELj4294967295EEENS1_25partition_config_selectorILNS1_17partition_subalgoE3EjNS0_10empty_typeEbEEZZNS1_14partition_implILS8_3ELb0ES6_jNS0_17counting_iteratorIjlEEPS9_SE_NS0_5tupleIJPjSE_EEENSF_IJSE_SE_EEES9_SG_JZNS1_25segmented_radix_sort_implINS0_14default_configELb1EPK6__halfPSL_PKlPlN2at6native12_GLOBAL__N_18offset_tEEE10hipError_tPvRmT1_PNSt15iterator_traitsISZ_E10value_typeET2_T3_PNS10_IS15_E10value_typeET4_jRbjT5_S1B_jjP12ihipStream_tbEUljE_EEESW_SX_SY_S15_S19_S1B_T6_T7_T9_mT8_S1D_bDpT10_ENKUlT_T0_E_clISt17integral_constantIbLb0EES1P_IbLb1EEEEDaS1L_S1M_EUlS1L_E_NS1_11comp_targetILNS1_3genE4ELNS1_11target_archE910ELNS1_3gpuE8ELNS1_3repE0EEENS1_30default_config_static_selectorELNS0_4arch9wavefront6targetE1EEEvSZ_.has_dyn_sized_stack, 0
	.set _ZN7rocprim17ROCPRIM_400000_NS6detail17trampoline_kernelINS0_13select_configILj256ELj13ELNS0_17block_load_methodE3ELS4_3ELS4_3ELNS0_20block_scan_algorithmE0ELj4294967295EEENS1_25partition_config_selectorILNS1_17partition_subalgoE3EjNS0_10empty_typeEbEEZZNS1_14partition_implILS8_3ELb0ES6_jNS0_17counting_iteratorIjlEEPS9_SE_NS0_5tupleIJPjSE_EEENSF_IJSE_SE_EEES9_SG_JZNS1_25segmented_radix_sort_implINS0_14default_configELb1EPK6__halfPSL_PKlPlN2at6native12_GLOBAL__N_18offset_tEEE10hipError_tPvRmT1_PNSt15iterator_traitsISZ_E10value_typeET2_T3_PNS10_IS15_E10value_typeET4_jRbjT5_S1B_jjP12ihipStream_tbEUljE_EEESW_SX_SY_S15_S19_S1B_T6_T7_T9_mT8_S1D_bDpT10_ENKUlT_T0_E_clISt17integral_constantIbLb0EES1P_IbLb1EEEEDaS1L_S1M_EUlS1L_E_NS1_11comp_targetILNS1_3genE4ELNS1_11target_archE910ELNS1_3gpuE8ELNS1_3repE0EEENS1_30default_config_static_selectorELNS0_4arch9wavefront6targetE1EEEvSZ_.has_recursion, 0
	.set _ZN7rocprim17ROCPRIM_400000_NS6detail17trampoline_kernelINS0_13select_configILj256ELj13ELNS0_17block_load_methodE3ELS4_3ELS4_3ELNS0_20block_scan_algorithmE0ELj4294967295EEENS1_25partition_config_selectorILNS1_17partition_subalgoE3EjNS0_10empty_typeEbEEZZNS1_14partition_implILS8_3ELb0ES6_jNS0_17counting_iteratorIjlEEPS9_SE_NS0_5tupleIJPjSE_EEENSF_IJSE_SE_EEES9_SG_JZNS1_25segmented_radix_sort_implINS0_14default_configELb1EPK6__halfPSL_PKlPlN2at6native12_GLOBAL__N_18offset_tEEE10hipError_tPvRmT1_PNSt15iterator_traitsISZ_E10value_typeET2_T3_PNS10_IS15_E10value_typeET4_jRbjT5_S1B_jjP12ihipStream_tbEUljE_EEESW_SX_SY_S15_S19_S1B_T6_T7_T9_mT8_S1D_bDpT10_ENKUlT_T0_E_clISt17integral_constantIbLb0EES1P_IbLb1EEEEDaS1L_S1M_EUlS1L_E_NS1_11comp_targetILNS1_3genE4ELNS1_11target_archE910ELNS1_3gpuE8ELNS1_3repE0EEENS1_30default_config_static_selectorELNS0_4arch9wavefront6targetE1EEEvSZ_.has_indirect_call, 0
	.section	.AMDGPU.csdata,"",@progbits
; Kernel info:
; codeLenInByte = 0
; TotalNumSgprs: 4
; NumVgprs: 0
; ScratchSize: 0
; MemoryBound: 0
; FloatMode: 240
; IeeeMode: 1
; LDSByteSize: 0 bytes/workgroup (compile time only)
; SGPRBlocks: 0
; VGPRBlocks: 0
; NumSGPRsForWavesPerEU: 4
; NumVGPRsForWavesPerEU: 1
; Occupancy: 10
; WaveLimiterHint : 0
; COMPUTE_PGM_RSRC2:SCRATCH_EN: 0
; COMPUTE_PGM_RSRC2:USER_SGPR: 6
; COMPUTE_PGM_RSRC2:TRAP_HANDLER: 0
; COMPUTE_PGM_RSRC2:TGID_X_EN: 1
; COMPUTE_PGM_RSRC2:TGID_Y_EN: 0
; COMPUTE_PGM_RSRC2:TGID_Z_EN: 0
; COMPUTE_PGM_RSRC2:TIDIG_COMP_CNT: 0
	.section	.text._ZN7rocprim17ROCPRIM_400000_NS6detail17trampoline_kernelINS0_13select_configILj256ELj13ELNS0_17block_load_methodE3ELS4_3ELS4_3ELNS0_20block_scan_algorithmE0ELj4294967295EEENS1_25partition_config_selectorILNS1_17partition_subalgoE3EjNS0_10empty_typeEbEEZZNS1_14partition_implILS8_3ELb0ES6_jNS0_17counting_iteratorIjlEEPS9_SE_NS0_5tupleIJPjSE_EEENSF_IJSE_SE_EEES9_SG_JZNS1_25segmented_radix_sort_implINS0_14default_configELb1EPK6__halfPSL_PKlPlN2at6native12_GLOBAL__N_18offset_tEEE10hipError_tPvRmT1_PNSt15iterator_traitsISZ_E10value_typeET2_T3_PNS10_IS15_E10value_typeET4_jRbjT5_S1B_jjP12ihipStream_tbEUljE_EEESW_SX_SY_S15_S19_S1B_T6_T7_T9_mT8_S1D_bDpT10_ENKUlT_T0_E_clISt17integral_constantIbLb0EES1P_IbLb1EEEEDaS1L_S1M_EUlS1L_E_NS1_11comp_targetILNS1_3genE3ELNS1_11target_archE908ELNS1_3gpuE7ELNS1_3repE0EEENS1_30default_config_static_selectorELNS0_4arch9wavefront6targetE1EEEvSZ_,"axG",@progbits,_ZN7rocprim17ROCPRIM_400000_NS6detail17trampoline_kernelINS0_13select_configILj256ELj13ELNS0_17block_load_methodE3ELS4_3ELS4_3ELNS0_20block_scan_algorithmE0ELj4294967295EEENS1_25partition_config_selectorILNS1_17partition_subalgoE3EjNS0_10empty_typeEbEEZZNS1_14partition_implILS8_3ELb0ES6_jNS0_17counting_iteratorIjlEEPS9_SE_NS0_5tupleIJPjSE_EEENSF_IJSE_SE_EEES9_SG_JZNS1_25segmented_radix_sort_implINS0_14default_configELb1EPK6__halfPSL_PKlPlN2at6native12_GLOBAL__N_18offset_tEEE10hipError_tPvRmT1_PNSt15iterator_traitsISZ_E10value_typeET2_T3_PNS10_IS15_E10value_typeET4_jRbjT5_S1B_jjP12ihipStream_tbEUljE_EEESW_SX_SY_S15_S19_S1B_T6_T7_T9_mT8_S1D_bDpT10_ENKUlT_T0_E_clISt17integral_constantIbLb0EES1P_IbLb1EEEEDaS1L_S1M_EUlS1L_E_NS1_11comp_targetILNS1_3genE3ELNS1_11target_archE908ELNS1_3gpuE7ELNS1_3repE0EEENS1_30default_config_static_selectorELNS0_4arch9wavefront6targetE1EEEvSZ_,comdat
	.globl	_ZN7rocprim17ROCPRIM_400000_NS6detail17trampoline_kernelINS0_13select_configILj256ELj13ELNS0_17block_load_methodE3ELS4_3ELS4_3ELNS0_20block_scan_algorithmE0ELj4294967295EEENS1_25partition_config_selectorILNS1_17partition_subalgoE3EjNS0_10empty_typeEbEEZZNS1_14partition_implILS8_3ELb0ES6_jNS0_17counting_iteratorIjlEEPS9_SE_NS0_5tupleIJPjSE_EEENSF_IJSE_SE_EEES9_SG_JZNS1_25segmented_radix_sort_implINS0_14default_configELb1EPK6__halfPSL_PKlPlN2at6native12_GLOBAL__N_18offset_tEEE10hipError_tPvRmT1_PNSt15iterator_traitsISZ_E10value_typeET2_T3_PNS10_IS15_E10value_typeET4_jRbjT5_S1B_jjP12ihipStream_tbEUljE_EEESW_SX_SY_S15_S19_S1B_T6_T7_T9_mT8_S1D_bDpT10_ENKUlT_T0_E_clISt17integral_constantIbLb0EES1P_IbLb1EEEEDaS1L_S1M_EUlS1L_E_NS1_11comp_targetILNS1_3genE3ELNS1_11target_archE908ELNS1_3gpuE7ELNS1_3repE0EEENS1_30default_config_static_selectorELNS0_4arch9wavefront6targetE1EEEvSZ_ ; -- Begin function _ZN7rocprim17ROCPRIM_400000_NS6detail17trampoline_kernelINS0_13select_configILj256ELj13ELNS0_17block_load_methodE3ELS4_3ELS4_3ELNS0_20block_scan_algorithmE0ELj4294967295EEENS1_25partition_config_selectorILNS1_17partition_subalgoE3EjNS0_10empty_typeEbEEZZNS1_14partition_implILS8_3ELb0ES6_jNS0_17counting_iteratorIjlEEPS9_SE_NS0_5tupleIJPjSE_EEENSF_IJSE_SE_EEES9_SG_JZNS1_25segmented_radix_sort_implINS0_14default_configELb1EPK6__halfPSL_PKlPlN2at6native12_GLOBAL__N_18offset_tEEE10hipError_tPvRmT1_PNSt15iterator_traitsISZ_E10value_typeET2_T3_PNS10_IS15_E10value_typeET4_jRbjT5_S1B_jjP12ihipStream_tbEUljE_EEESW_SX_SY_S15_S19_S1B_T6_T7_T9_mT8_S1D_bDpT10_ENKUlT_T0_E_clISt17integral_constantIbLb0EES1P_IbLb1EEEEDaS1L_S1M_EUlS1L_E_NS1_11comp_targetILNS1_3genE3ELNS1_11target_archE908ELNS1_3gpuE7ELNS1_3repE0EEENS1_30default_config_static_selectorELNS0_4arch9wavefront6targetE1EEEvSZ_
	.p2align	8
	.type	_ZN7rocprim17ROCPRIM_400000_NS6detail17trampoline_kernelINS0_13select_configILj256ELj13ELNS0_17block_load_methodE3ELS4_3ELS4_3ELNS0_20block_scan_algorithmE0ELj4294967295EEENS1_25partition_config_selectorILNS1_17partition_subalgoE3EjNS0_10empty_typeEbEEZZNS1_14partition_implILS8_3ELb0ES6_jNS0_17counting_iteratorIjlEEPS9_SE_NS0_5tupleIJPjSE_EEENSF_IJSE_SE_EEES9_SG_JZNS1_25segmented_radix_sort_implINS0_14default_configELb1EPK6__halfPSL_PKlPlN2at6native12_GLOBAL__N_18offset_tEEE10hipError_tPvRmT1_PNSt15iterator_traitsISZ_E10value_typeET2_T3_PNS10_IS15_E10value_typeET4_jRbjT5_S1B_jjP12ihipStream_tbEUljE_EEESW_SX_SY_S15_S19_S1B_T6_T7_T9_mT8_S1D_bDpT10_ENKUlT_T0_E_clISt17integral_constantIbLb0EES1P_IbLb1EEEEDaS1L_S1M_EUlS1L_E_NS1_11comp_targetILNS1_3genE3ELNS1_11target_archE908ELNS1_3gpuE7ELNS1_3repE0EEENS1_30default_config_static_selectorELNS0_4arch9wavefront6targetE1EEEvSZ_,@function
_ZN7rocprim17ROCPRIM_400000_NS6detail17trampoline_kernelINS0_13select_configILj256ELj13ELNS0_17block_load_methodE3ELS4_3ELS4_3ELNS0_20block_scan_algorithmE0ELj4294967295EEENS1_25partition_config_selectorILNS1_17partition_subalgoE3EjNS0_10empty_typeEbEEZZNS1_14partition_implILS8_3ELb0ES6_jNS0_17counting_iteratorIjlEEPS9_SE_NS0_5tupleIJPjSE_EEENSF_IJSE_SE_EEES9_SG_JZNS1_25segmented_radix_sort_implINS0_14default_configELb1EPK6__halfPSL_PKlPlN2at6native12_GLOBAL__N_18offset_tEEE10hipError_tPvRmT1_PNSt15iterator_traitsISZ_E10value_typeET2_T3_PNS10_IS15_E10value_typeET4_jRbjT5_S1B_jjP12ihipStream_tbEUljE_EEESW_SX_SY_S15_S19_S1B_T6_T7_T9_mT8_S1D_bDpT10_ENKUlT_T0_E_clISt17integral_constantIbLb0EES1P_IbLb1EEEEDaS1L_S1M_EUlS1L_E_NS1_11comp_targetILNS1_3genE3ELNS1_11target_archE908ELNS1_3gpuE7ELNS1_3repE0EEENS1_30default_config_static_selectorELNS0_4arch9wavefront6targetE1EEEvSZ_: ; @_ZN7rocprim17ROCPRIM_400000_NS6detail17trampoline_kernelINS0_13select_configILj256ELj13ELNS0_17block_load_methodE3ELS4_3ELS4_3ELNS0_20block_scan_algorithmE0ELj4294967295EEENS1_25partition_config_selectorILNS1_17partition_subalgoE3EjNS0_10empty_typeEbEEZZNS1_14partition_implILS8_3ELb0ES6_jNS0_17counting_iteratorIjlEEPS9_SE_NS0_5tupleIJPjSE_EEENSF_IJSE_SE_EEES9_SG_JZNS1_25segmented_radix_sort_implINS0_14default_configELb1EPK6__halfPSL_PKlPlN2at6native12_GLOBAL__N_18offset_tEEE10hipError_tPvRmT1_PNSt15iterator_traitsISZ_E10value_typeET2_T3_PNS10_IS15_E10value_typeET4_jRbjT5_S1B_jjP12ihipStream_tbEUljE_EEESW_SX_SY_S15_S19_S1B_T6_T7_T9_mT8_S1D_bDpT10_ENKUlT_T0_E_clISt17integral_constantIbLb0EES1P_IbLb1EEEEDaS1L_S1M_EUlS1L_E_NS1_11comp_targetILNS1_3genE3ELNS1_11target_archE908ELNS1_3gpuE7ELNS1_3repE0EEENS1_30default_config_static_selectorELNS0_4arch9wavefront6targetE1EEEvSZ_
; %bb.0:
	.section	.rodata,"a",@progbits
	.p2align	6, 0x0
	.amdhsa_kernel _ZN7rocprim17ROCPRIM_400000_NS6detail17trampoline_kernelINS0_13select_configILj256ELj13ELNS0_17block_load_methodE3ELS4_3ELS4_3ELNS0_20block_scan_algorithmE0ELj4294967295EEENS1_25partition_config_selectorILNS1_17partition_subalgoE3EjNS0_10empty_typeEbEEZZNS1_14partition_implILS8_3ELb0ES6_jNS0_17counting_iteratorIjlEEPS9_SE_NS0_5tupleIJPjSE_EEENSF_IJSE_SE_EEES9_SG_JZNS1_25segmented_radix_sort_implINS0_14default_configELb1EPK6__halfPSL_PKlPlN2at6native12_GLOBAL__N_18offset_tEEE10hipError_tPvRmT1_PNSt15iterator_traitsISZ_E10value_typeET2_T3_PNS10_IS15_E10value_typeET4_jRbjT5_S1B_jjP12ihipStream_tbEUljE_EEESW_SX_SY_S15_S19_S1B_T6_T7_T9_mT8_S1D_bDpT10_ENKUlT_T0_E_clISt17integral_constantIbLb0EES1P_IbLb1EEEEDaS1L_S1M_EUlS1L_E_NS1_11comp_targetILNS1_3genE3ELNS1_11target_archE908ELNS1_3gpuE7ELNS1_3repE0EEENS1_30default_config_static_selectorELNS0_4arch9wavefront6targetE1EEEvSZ_
		.amdhsa_group_segment_fixed_size 0
		.amdhsa_private_segment_fixed_size 0
		.amdhsa_kernarg_size 152
		.amdhsa_user_sgpr_count 6
		.amdhsa_user_sgpr_private_segment_buffer 1
		.amdhsa_user_sgpr_dispatch_ptr 0
		.amdhsa_user_sgpr_queue_ptr 0
		.amdhsa_user_sgpr_kernarg_segment_ptr 1
		.amdhsa_user_sgpr_dispatch_id 0
		.amdhsa_user_sgpr_flat_scratch_init 0
		.amdhsa_user_sgpr_private_segment_size 0
		.amdhsa_uses_dynamic_stack 0
		.amdhsa_system_sgpr_private_segment_wavefront_offset 0
		.amdhsa_system_sgpr_workgroup_id_x 1
		.amdhsa_system_sgpr_workgroup_id_y 0
		.amdhsa_system_sgpr_workgroup_id_z 0
		.amdhsa_system_sgpr_workgroup_info 0
		.amdhsa_system_vgpr_workitem_id 0
		.amdhsa_next_free_vgpr 1
		.amdhsa_next_free_sgpr 0
		.amdhsa_reserve_vcc 0
		.amdhsa_reserve_flat_scratch 0
		.amdhsa_float_round_mode_32 0
		.amdhsa_float_round_mode_16_64 0
		.amdhsa_float_denorm_mode_32 3
		.amdhsa_float_denorm_mode_16_64 3
		.amdhsa_dx10_clamp 1
		.amdhsa_ieee_mode 1
		.amdhsa_fp16_overflow 0
		.amdhsa_exception_fp_ieee_invalid_op 0
		.amdhsa_exception_fp_denorm_src 0
		.amdhsa_exception_fp_ieee_div_zero 0
		.amdhsa_exception_fp_ieee_overflow 0
		.amdhsa_exception_fp_ieee_underflow 0
		.amdhsa_exception_fp_ieee_inexact 0
		.amdhsa_exception_int_div_zero 0
	.end_amdhsa_kernel
	.section	.text._ZN7rocprim17ROCPRIM_400000_NS6detail17trampoline_kernelINS0_13select_configILj256ELj13ELNS0_17block_load_methodE3ELS4_3ELS4_3ELNS0_20block_scan_algorithmE0ELj4294967295EEENS1_25partition_config_selectorILNS1_17partition_subalgoE3EjNS0_10empty_typeEbEEZZNS1_14partition_implILS8_3ELb0ES6_jNS0_17counting_iteratorIjlEEPS9_SE_NS0_5tupleIJPjSE_EEENSF_IJSE_SE_EEES9_SG_JZNS1_25segmented_radix_sort_implINS0_14default_configELb1EPK6__halfPSL_PKlPlN2at6native12_GLOBAL__N_18offset_tEEE10hipError_tPvRmT1_PNSt15iterator_traitsISZ_E10value_typeET2_T3_PNS10_IS15_E10value_typeET4_jRbjT5_S1B_jjP12ihipStream_tbEUljE_EEESW_SX_SY_S15_S19_S1B_T6_T7_T9_mT8_S1D_bDpT10_ENKUlT_T0_E_clISt17integral_constantIbLb0EES1P_IbLb1EEEEDaS1L_S1M_EUlS1L_E_NS1_11comp_targetILNS1_3genE3ELNS1_11target_archE908ELNS1_3gpuE7ELNS1_3repE0EEENS1_30default_config_static_selectorELNS0_4arch9wavefront6targetE1EEEvSZ_,"axG",@progbits,_ZN7rocprim17ROCPRIM_400000_NS6detail17trampoline_kernelINS0_13select_configILj256ELj13ELNS0_17block_load_methodE3ELS4_3ELS4_3ELNS0_20block_scan_algorithmE0ELj4294967295EEENS1_25partition_config_selectorILNS1_17partition_subalgoE3EjNS0_10empty_typeEbEEZZNS1_14partition_implILS8_3ELb0ES6_jNS0_17counting_iteratorIjlEEPS9_SE_NS0_5tupleIJPjSE_EEENSF_IJSE_SE_EEES9_SG_JZNS1_25segmented_radix_sort_implINS0_14default_configELb1EPK6__halfPSL_PKlPlN2at6native12_GLOBAL__N_18offset_tEEE10hipError_tPvRmT1_PNSt15iterator_traitsISZ_E10value_typeET2_T3_PNS10_IS15_E10value_typeET4_jRbjT5_S1B_jjP12ihipStream_tbEUljE_EEESW_SX_SY_S15_S19_S1B_T6_T7_T9_mT8_S1D_bDpT10_ENKUlT_T0_E_clISt17integral_constantIbLb0EES1P_IbLb1EEEEDaS1L_S1M_EUlS1L_E_NS1_11comp_targetILNS1_3genE3ELNS1_11target_archE908ELNS1_3gpuE7ELNS1_3repE0EEENS1_30default_config_static_selectorELNS0_4arch9wavefront6targetE1EEEvSZ_,comdat
.Lfunc_end1734:
	.size	_ZN7rocprim17ROCPRIM_400000_NS6detail17trampoline_kernelINS0_13select_configILj256ELj13ELNS0_17block_load_methodE3ELS4_3ELS4_3ELNS0_20block_scan_algorithmE0ELj4294967295EEENS1_25partition_config_selectorILNS1_17partition_subalgoE3EjNS0_10empty_typeEbEEZZNS1_14partition_implILS8_3ELb0ES6_jNS0_17counting_iteratorIjlEEPS9_SE_NS0_5tupleIJPjSE_EEENSF_IJSE_SE_EEES9_SG_JZNS1_25segmented_radix_sort_implINS0_14default_configELb1EPK6__halfPSL_PKlPlN2at6native12_GLOBAL__N_18offset_tEEE10hipError_tPvRmT1_PNSt15iterator_traitsISZ_E10value_typeET2_T3_PNS10_IS15_E10value_typeET4_jRbjT5_S1B_jjP12ihipStream_tbEUljE_EEESW_SX_SY_S15_S19_S1B_T6_T7_T9_mT8_S1D_bDpT10_ENKUlT_T0_E_clISt17integral_constantIbLb0EES1P_IbLb1EEEEDaS1L_S1M_EUlS1L_E_NS1_11comp_targetILNS1_3genE3ELNS1_11target_archE908ELNS1_3gpuE7ELNS1_3repE0EEENS1_30default_config_static_selectorELNS0_4arch9wavefront6targetE1EEEvSZ_, .Lfunc_end1734-_ZN7rocprim17ROCPRIM_400000_NS6detail17trampoline_kernelINS0_13select_configILj256ELj13ELNS0_17block_load_methodE3ELS4_3ELS4_3ELNS0_20block_scan_algorithmE0ELj4294967295EEENS1_25partition_config_selectorILNS1_17partition_subalgoE3EjNS0_10empty_typeEbEEZZNS1_14partition_implILS8_3ELb0ES6_jNS0_17counting_iteratorIjlEEPS9_SE_NS0_5tupleIJPjSE_EEENSF_IJSE_SE_EEES9_SG_JZNS1_25segmented_radix_sort_implINS0_14default_configELb1EPK6__halfPSL_PKlPlN2at6native12_GLOBAL__N_18offset_tEEE10hipError_tPvRmT1_PNSt15iterator_traitsISZ_E10value_typeET2_T3_PNS10_IS15_E10value_typeET4_jRbjT5_S1B_jjP12ihipStream_tbEUljE_EEESW_SX_SY_S15_S19_S1B_T6_T7_T9_mT8_S1D_bDpT10_ENKUlT_T0_E_clISt17integral_constantIbLb0EES1P_IbLb1EEEEDaS1L_S1M_EUlS1L_E_NS1_11comp_targetILNS1_3genE3ELNS1_11target_archE908ELNS1_3gpuE7ELNS1_3repE0EEENS1_30default_config_static_selectorELNS0_4arch9wavefront6targetE1EEEvSZ_
                                        ; -- End function
	.set _ZN7rocprim17ROCPRIM_400000_NS6detail17trampoline_kernelINS0_13select_configILj256ELj13ELNS0_17block_load_methodE3ELS4_3ELS4_3ELNS0_20block_scan_algorithmE0ELj4294967295EEENS1_25partition_config_selectorILNS1_17partition_subalgoE3EjNS0_10empty_typeEbEEZZNS1_14partition_implILS8_3ELb0ES6_jNS0_17counting_iteratorIjlEEPS9_SE_NS0_5tupleIJPjSE_EEENSF_IJSE_SE_EEES9_SG_JZNS1_25segmented_radix_sort_implINS0_14default_configELb1EPK6__halfPSL_PKlPlN2at6native12_GLOBAL__N_18offset_tEEE10hipError_tPvRmT1_PNSt15iterator_traitsISZ_E10value_typeET2_T3_PNS10_IS15_E10value_typeET4_jRbjT5_S1B_jjP12ihipStream_tbEUljE_EEESW_SX_SY_S15_S19_S1B_T6_T7_T9_mT8_S1D_bDpT10_ENKUlT_T0_E_clISt17integral_constantIbLb0EES1P_IbLb1EEEEDaS1L_S1M_EUlS1L_E_NS1_11comp_targetILNS1_3genE3ELNS1_11target_archE908ELNS1_3gpuE7ELNS1_3repE0EEENS1_30default_config_static_selectorELNS0_4arch9wavefront6targetE1EEEvSZ_.num_vgpr, 0
	.set _ZN7rocprim17ROCPRIM_400000_NS6detail17trampoline_kernelINS0_13select_configILj256ELj13ELNS0_17block_load_methodE3ELS4_3ELS4_3ELNS0_20block_scan_algorithmE0ELj4294967295EEENS1_25partition_config_selectorILNS1_17partition_subalgoE3EjNS0_10empty_typeEbEEZZNS1_14partition_implILS8_3ELb0ES6_jNS0_17counting_iteratorIjlEEPS9_SE_NS0_5tupleIJPjSE_EEENSF_IJSE_SE_EEES9_SG_JZNS1_25segmented_radix_sort_implINS0_14default_configELb1EPK6__halfPSL_PKlPlN2at6native12_GLOBAL__N_18offset_tEEE10hipError_tPvRmT1_PNSt15iterator_traitsISZ_E10value_typeET2_T3_PNS10_IS15_E10value_typeET4_jRbjT5_S1B_jjP12ihipStream_tbEUljE_EEESW_SX_SY_S15_S19_S1B_T6_T7_T9_mT8_S1D_bDpT10_ENKUlT_T0_E_clISt17integral_constantIbLb0EES1P_IbLb1EEEEDaS1L_S1M_EUlS1L_E_NS1_11comp_targetILNS1_3genE3ELNS1_11target_archE908ELNS1_3gpuE7ELNS1_3repE0EEENS1_30default_config_static_selectorELNS0_4arch9wavefront6targetE1EEEvSZ_.num_agpr, 0
	.set _ZN7rocprim17ROCPRIM_400000_NS6detail17trampoline_kernelINS0_13select_configILj256ELj13ELNS0_17block_load_methodE3ELS4_3ELS4_3ELNS0_20block_scan_algorithmE0ELj4294967295EEENS1_25partition_config_selectorILNS1_17partition_subalgoE3EjNS0_10empty_typeEbEEZZNS1_14partition_implILS8_3ELb0ES6_jNS0_17counting_iteratorIjlEEPS9_SE_NS0_5tupleIJPjSE_EEENSF_IJSE_SE_EEES9_SG_JZNS1_25segmented_radix_sort_implINS0_14default_configELb1EPK6__halfPSL_PKlPlN2at6native12_GLOBAL__N_18offset_tEEE10hipError_tPvRmT1_PNSt15iterator_traitsISZ_E10value_typeET2_T3_PNS10_IS15_E10value_typeET4_jRbjT5_S1B_jjP12ihipStream_tbEUljE_EEESW_SX_SY_S15_S19_S1B_T6_T7_T9_mT8_S1D_bDpT10_ENKUlT_T0_E_clISt17integral_constantIbLb0EES1P_IbLb1EEEEDaS1L_S1M_EUlS1L_E_NS1_11comp_targetILNS1_3genE3ELNS1_11target_archE908ELNS1_3gpuE7ELNS1_3repE0EEENS1_30default_config_static_selectorELNS0_4arch9wavefront6targetE1EEEvSZ_.numbered_sgpr, 0
	.set _ZN7rocprim17ROCPRIM_400000_NS6detail17trampoline_kernelINS0_13select_configILj256ELj13ELNS0_17block_load_methodE3ELS4_3ELS4_3ELNS0_20block_scan_algorithmE0ELj4294967295EEENS1_25partition_config_selectorILNS1_17partition_subalgoE3EjNS0_10empty_typeEbEEZZNS1_14partition_implILS8_3ELb0ES6_jNS0_17counting_iteratorIjlEEPS9_SE_NS0_5tupleIJPjSE_EEENSF_IJSE_SE_EEES9_SG_JZNS1_25segmented_radix_sort_implINS0_14default_configELb1EPK6__halfPSL_PKlPlN2at6native12_GLOBAL__N_18offset_tEEE10hipError_tPvRmT1_PNSt15iterator_traitsISZ_E10value_typeET2_T3_PNS10_IS15_E10value_typeET4_jRbjT5_S1B_jjP12ihipStream_tbEUljE_EEESW_SX_SY_S15_S19_S1B_T6_T7_T9_mT8_S1D_bDpT10_ENKUlT_T0_E_clISt17integral_constantIbLb0EES1P_IbLb1EEEEDaS1L_S1M_EUlS1L_E_NS1_11comp_targetILNS1_3genE3ELNS1_11target_archE908ELNS1_3gpuE7ELNS1_3repE0EEENS1_30default_config_static_selectorELNS0_4arch9wavefront6targetE1EEEvSZ_.num_named_barrier, 0
	.set _ZN7rocprim17ROCPRIM_400000_NS6detail17trampoline_kernelINS0_13select_configILj256ELj13ELNS0_17block_load_methodE3ELS4_3ELS4_3ELNS0_20block_scan_algorithmE0ELj4294967295EEENS1_25partition_config_selectorILNS1_17partition_subalgoE3EjNS0_10empty_typeEbEEZZNS1_14partition_implILS8_3ELb0ES6_jNS0_17counting_iteratorIjlEEPS9_SE_NS0_5tupleIJPjSE_EEENSF_IJSE_SE_EEES9_SG_JZNS1_25segmented_radix_sort_implINS0_14default_configELb1EPK6__halfPSL_PKlPlN2at6native12_GLOBAL__N_18offset_tEEE10hipError_tPvRmT1_PNSt15iterator_traitsISZ_E10value_typeET2_T3_PNS10_IS15_E10value_typeET4_jRbjT5_S1B_jjP12ihipStream_tbEUljE_EEESW_SX_SY_S15_S19_S1B_T6_T7_T9_mT8_S1D_bDpT10_ENKUlT_T0_E_clISt17integral_constantIbLb0EES1P_IbLb1EEEEDaS1L_S1M_EUlS1L_E_NS1_11comp_targetILNS1_3genE3ELNS1_11target_archE908ELNS1_3gpuE7ELNS1_3repE0EEENS1_30default_config_static_selectorELNS0_4arch9wavefront6targetE1EEEvSZ_.private_seg_size, 0
	.set _ZN7rocprim17ROCPRIM_400000_NS6detail17trampoline_kernelINS0_13select_configILj256ELj13ELNS0_17block_load_methodE3ELS4_3ELS4_3ELNS0_20block_scan_algorithmE0ELj4294967295EEENS1_25partition_config_selectorILNS1_17partition_subalgoE3EjNS0_10empty_typeEbEEZZNS1_14partition_implILS8_3ELb0ES6_jNS0_17counting_iteratorIjlEEPS9_SE_NS0_5tupleIJPjSE_EEENSF_IJSE_SE_EEES9_SG_JZNS1_25segmented_radix_sort_implINS0_14default_configELb1EPK6__halfPSL_PKlPlN2at6native12_GLOBAL__N_18offset_tEEE10hipError_tPvRmT1_PNSt15iterator_traitsISZ_E10value_typeET2_T3_PNS10_IS15_E10value_typeET4_jRbjT5_S1B_jjP12ihipStream_tbEUljE_EEESW_SX_SY_S15_S19_S1B_T6_T7_T9_mT8_S1D_bDpT10_ENKUlT_T0_E_clISt17integral_constantIbLb0EES1P_IbLb1EEEEDaS1L_S1M_EUlS1L_E_NS1_11comp_targetILNS1_3genE3ELNS1_11target_archE908ELNS1_3gpuE7ELNS1_3repE0EEENS1_30default_config_static_selectorELNS0_4arch9wavefront6targetE1EEEvSZ_.uses_vcc, 0
	.set _ZN7rocprim17ROCPRIM_400000_NS6detail17trampoline_kernelINS0_13select_configILj256ELj13ELNS0_17block_load_methodE3ELS4_3ELS4_3ELNS0_20block_scan_algorithmE0ELj4294967295EEENS1_25partition_config_selectorILNS1_17partition_subalgoE3EjNS0_10empty_typeEbEEZZNS1_14partition_implILS8_3ELb0ES6_jNS0_17counting_iteratorIjlEEPS9_SE_NS0_5tupleIJPjSE_EEENSF_IJSE_SE_EEES9_SG_JZNS1_25segmented_radix_sort_implINS0_14default_configELb1EPK6__halfPSL_PKlPlN2at6native12_GLOBAL__N_18offset_tEEE10hipError_tPvRmT1_PNSt15iterator_traitsISZ_E10value_typeET2_T3_PNS10_IS15_E10value_typeET4_jRbjT5_S1B_jjP12ihipStream_tbEUljE_EEESW_SX_SY_S15_S19_S1B_T6_T7_T9_mT8_S1D_bDpT10_ENKUlT_T0_E_clISt17integral_constantIbLb0EES1P_IbLb1EEEEDaS1L_S1M_EUlS1L_E_NS1_11comp_targetILNS1_3genE3ELNS1_11target_archE908ELNS1_3gpuE7ELNS1_3repE0EEENS1_30default_config_static_selectorELNS0_4arch9wavefront6targetE1EEEvSZ_.uses_flat_scratch, 0
	.set _ZN7rocprim17ROCPRIM_400000_NS6detail17trampoline_kernelINS0_13select_configILj256ELj13ELNS0_17block_load_methodE3ELS4_3ELS4_3ELNS0_20block_scan_algorithmE0ELj4294967295EEENS1_25partition_config_selectorILNS1_17partition_subalgoE3EjNS0_10empty_typeEbEEZZNS1_14partition_implILS8_3ELb0ES6_jNS0_17counting_iteratorIjlEEPS9_SE_NS0_5tupleIJPjSE_EEENSF_IJSE_SE_EEES9_SG_JZNS1_25segmented_radix_sort_implINS0_14default_configELb1EPK6__halfPSL_PKlPlN2at6native12_GLOBAL__N_18offset_tEEE10hipError_tPvRmT1_PNSt15iterator_traitsISZ_E10value_typeET2_T3_PNS10_IS15_E10value_typeET4_jRbjT5_S1B_jjP12ihipStream_tbEUljE_EEESW_SX_SY_S15_S19_S1B_T6_T7_T9_mT8_S1D_bDpT10_ENKUlT_T0_E_clISt17integral_constantIbLb0EES1P_IbLb1EEEEDaS1L_S1M_EUlS1L_E_NS1_11comp_targetILNS1_3genE3ELNS1_11target_archE908ELNS1_3gpuE7ELNS1_3repE0EEENS1_30default_config_static_selectorELNS0_4arch9wavefront6targetE1EEEvSZ_.has_dyn_sized_stack, 0
	.set _ZN7rocprim17ROCPRIM_400000_NS6detail17trampoline_kernelINS0_13select_configILj256ELj13ELNS0_17block_load_methodE3ELS4_3ELS4_3ELNS0_20block_scan_algorithmE0ELj4294967295EEENS1_25partition_config_selectorILNS1_17partition_subalgoE3EjNS0_10empty_typeEbEEZZNS1_14partition_implILS8_3ELb0ES6_jNS0_17counting_iteratorIjlEEPS9_SE_NS0_5tupleIJPjSE_EEENSF_IJSE_SE_EEES9_SG_JZNS1_25segmented_radix_sort_implINS0_14default_configELb1EPK6__halfPSL_PKlPlN2at6native12_GLOBAL__N_18offset_tEEE10hipError_tPvRmT1_PNSt15iterator_traitsISZ_E10value_typeET2_T3_PNS10_IS15_E10value_typeET4_jRbjT5_S1B_jjP12ihipStream_tbEUljE_EEESW_SX_SY_S15_S19_S1B_T6_T7_T9_mT8_S1D_bDpT10_ENKUlT_T0_E_clISt17integral_constantIbLb0EES1P_IbLb1EEEEDaS1L_S1M_EUlS1L_E_NS1_11comp_targetILNS1_3genE3ELNS1_11target_archE908ELNS1_3gpuE7ELNS1_3repE0EEENS1_30default_config_static_selectorELNS0_4arch9wavefront6targetE1EEEvSZ_.has_recursion, 0
	.set _ZN7rocprim17ROCPRIM_400000_NS6detail17trampoline_kernelINS0_13select_configILj256ELj13ELNS0_17block_load_methodE3ELS4_3ELS4_3ELNS0_20block_scan_algorithmE0ELj4294967295EEENS1_25partition_config_selectorILNS1_17partition_subalgoE3EjNS0_10empty_typeEbEEZZNS1_14partition_implILS8_3ELb0ES6_jNS0_17counting_iteratorIjlEEPS9_SE_NS0_5tupleIJPjSE_EEENSF_IJSE_SE_EEES9_SG_JZNS1_25segmented_radix_sort_implINS0_14default_configELb1EPK6__halfPSL_PKlPlN2at6native12_GLOBAL__N_18offset_tEEE10hipError_tPvRmT1_PNSt15iterator_traitsISZ_E10value_typeET2_T3_PNS10_IS15_E10value_typeET4_jRbjT5_S1B_jjP12ihipStream_tbEUljE_EEESW_SX_SY_S15_S19_S1B_T6_T7_T9_mT8_S1D_bDpT10_ENKUlT_T0_E_clISt17integral_constantIbLb0EES1P_IbLb1EEEEDaS1L_S1M_EUlS1L_E_NS1_11comp_targetILNS1_3genE3ELNS1_11target_archE908ELNS1_3gpuE7ELNS1_3repE0EEENS1_30default_config_static_selectorELNS0_4arch9wavefront6targetE1EEEvSZ_.has_indirect_call, 0
	.section	.AMDGPU.csdata,"",@progbits
; Kernel info:
; codeLenInByte = 0
; TotalNumSgprs: 4
; NumVgprs: 0
; ScratchSize: 0
; MemoryBound: 0
; FloatMode: 240
; IeeeMode: 1
; LDSByteSize: 0 bytes/workgroup (compile time only)
; SGPRBlocks: 0
; VGPRBlocks: 0
; NumSGPRsForWavesPerEU: 4
; NumVGPRsForWavesPerEU: 1
; Occupancy: 10
; WaveLimiterHint : 0
; COMPUTE_PGM_RSRC2:SCRATCH_EN: 0
; COMPUTE_PGM_RSRC2:USER_SGPR: 6
; COMPUTE_PGM_RSRC2:TRAP_HANDLER: 0
; COMPUTE_PGM_RSRC2:TGID_X_EN: 1
; COMPUTE_PGM_RSRC2:TGID_Y_EN: 0
; COMPUTE_PGM_RSRC2:TGID_Z_EN: 0
; COMPUTE_PGM_RSRC2:TIDIG_COMP_CNT: 0
	.section	.text._ZN7rocprim17ROCPRIM_400000_NS6detail17trampoline_kernelINS0_13select_configILj256ELj13ELNS0_17block_load_methodE3ELS4_3ELS4_3ELNS0_20block_scan_algorithmE0ELj4294967295EEENS1_25partition_config_selectorILNS1_17partition_subalgoE3EjNS0_10empty_typeEbEEZZNS1_14partition_implILS8_3ELb0ES6_jNS0_17counting_iteratorIjlEEPS9_SE_NS0_5tupleIJPjSE_EEENSF_IJSE_SE_EEES9_SG_JZNS1_25segmented_radix_sort_implINS0_14default_configELb1EPK6__halfPSL_PKlPlN2at6native12_GLOBAL__N_18offset_tEEE10hipError_tPvRmT1_PNSt15iterator_traitsISZ_E10value_typeET2_T3_PNS10_IS15_E10value_typeET4_jRbjT5_S1B_jjP12ihipStream_tbEUljE_EEESW_SX_SY_S15_S19_S1B_T6_T7_T9_mT8_S1D_bDpT10_ENKUlT_T0_E_clISt17integral_constantIbLb0EES1P_IbLb1EEEEDaS1L_S1M_EUlS1L_E_NS1_11comp_targetILNS1_3genE2ELNS1_11target_archE906ELNS1_3gpuE6ELNS1_3repE0EEENS1_30default_config_static_selectorELNS0_4arch9wavefront6targetE1EEEvSZ_,"axG",@progbits,_ZN7rocprim17ROCPRIM_400000_NS6detail17trampoline_kernelINS0_13select_configILj256ELj13ELNS0_17block_load_methodE3ELS4_3ELS4_3ELNS0_20block_scan_algorithmE0ELj4294967295EEENS1_25partition_config_selectorILNS1_17partition_subalgoE3EjNS0_10empty_typeEbEEZZNS1_14partition_implILS8_3ELb0ES6_jNS0_17counting_iteratorIjlEEPS9_SE_NS0_5tupleIJPjSE_EEENSF_IJSE_SE_EEES9_SG_JZNS1_25segmented_radix_sort_implINS0_14default_configELb1EPK6__halfPSL_PKlPlN2at6native12_GLOBAL__N_18offset_tEEE10hipError_tPvRmT1_PNSt15iterator_traitsISZ_E10value_typeET2_T3_PNS10_IS15_E10value_typeET4_jRbjT5_S1B_jjP12ihipStream_tbEUljE_EEESW_SX_SY_S15_S19_S1B_T6_T7_T9_mT8_S1D_bDpT10_ENKUlT_T0_E_clISt17integral_constantIbLb0EES1P_IbLb1EEEEDaS1L_S1M_EUlS1L_E_NS1_11comp_targetILNS1_3genE2ELNS1_11target_archE906ELNS1_3gpuE6ELNS1_3repE0EEENS1_30default_config_static_selectorELNS0_4arch9wavefront6targetE1EEEvSZ_,comdat
	.globl	_ZN7rocprim17ROCPRIM_400000_NS6detail17trampoline_kernelINS0_13select_configILj256ELj13ELNS0_17block_load_methodE3ELS4_3ELS4_3ELNS0_20block_scan_algorithmE0ELj4294967295EEENS1_25partition_config_selectorILNS1_17partition_subalgoE3EjNS0_10empty_typeEbEEZZNS1_14partition_implILS8_3ELb0ES6_jNS0_17counting_iteratorIjlEEPS9_SE_NS0_5tupleIJPjSE_EEENSF_IJSE_SE_EEES9_SG_JZNS1_25segmented_radix_sort_implINS0_14default_configELb1EPK6__halfPSL_PKlPlN2at6native12_GLOBAL__N_18offset_tEEE10hipError_tPvRmT1_PNSt15iterator_traitsISZ_E10value_typeET2_T3_PNS10_IS15_E10value_typeET4_jRbjT5_S1B_jjP12ihipStream_tbEUljE_EEESW_SX_SY_S15_S19_S1B_T6_T7_T9_mT8_S1D_bDpT10_ENKUlT_T0_E_clISt17integral_constantIbLb0EES1P_IbLb1EEEEDaS1L_S1M_EUlS1L_E_NS1_11comp_targetILNS1_3genE2ELNS1_11target_archE906ELNS1_3gpuE6ELNS1_3repE0EEENS1_30default_config_static_selectorELNS0_4arch9wavefront6targetE1EEEvSZ_ ; -- Begin function _ZN7rocprim17ROCPRIM_400000_NS6detail17trampoline_kernelINS0_13select_configILj256ELj13ELNS0_17block_load_methodE3ELS4_3ELS4_3ELNS0_20block_scan_algorithmE0ELj4294967295EEENS1_25partition_config_selectorILNS1_17partition_subalgoE3EjNS0_10empty_typeEbEEZZNS1_14partition_implILS8_3ELb0ES6_jNS0_17counting_iteratorIjlEEPS9_SE_NS0_5tupleIJPjSE_EEENSF_IJSE_SE_EEES9_SG_JZNS1_25segmented_radix_sort_implINS0_14default_configELb1EPK6__halfPSL_PKlPlN2at6native12_GLOBAL__N_18offset_tEEE10hipError_tPvRmT1_PNSt15iterator_traitsISZ_E10value_typeET2_T3_PNS10_IS15_E10value_typeET4_jRbjT5_S1B_jjP12ihipStream_tbEUljE_EEESW_SX_SY_S15_S19_S1B_T6_T7_T9_mT8_S1D_bDpT10_ENKUlT_T0_E_clISt17integral_constantIbLb0EES1P_IbLb1EEEEDaS1L_S1M_EUlS1L_E_NS1_11comp_targetILNS1_3genE2ELNS1_11target_archE906ELNS1_3gpuE6ELNS1_3repE0EEENS1_30default_config_static_selectorELNS0_4arch9wavefront6targetE1EEEvSZ_
	.p2align	8
	.type	_ZN7rocprim17ROCPRIM_400000_NS6detail17trampoline_kernelINS0_13select_configILj256ELj13ELNS0_17block_load_methodE3ELS4_3ELS4_3ELNS0_20block_scan_algorithmE0ELj4294967295EEENS1_25partition_config_selectorILNS1_17partition_subalgoE3EjNS0_10empty_typeEbEEZZNS1_14partition_implILS8_3ELb0ES6_jNS0_17counting_iteratorIjlEEPS9_SE_NS0_5tupleIJPjSE_EEENSF_IJSE_SE_EEES9_SG_JZNS1_25segmented_radix_sort_implINS0_14default_configELb1EPK6__halfPSL_PKlPlN2at6native12_GLOBAL__N_18offset_tEEE10hipError_tPvRmT1_PNSt15iterator_traitsISZ_E10value_typeET2_T3_PNS10_IS15_E10value_typeET4_jRbjT5_S1B_jjP12ihipStream_tbEUljE_EEESW_SX_SY_S15_S19_S1B_T6_T7_T9_mT8_S1D_bDpT10_ENKUlT_T0_E_clISt17integral_constantIbLb0EES1P_IbLb1EEEEDaS1L_S1M_EUlS1L_E_NS1_11comp_targetILNS1_3genE2ELNS1_11target_archE906ELNS1_3gpuE6ELNS1_3repE0EEENS1_30default_config_static_selectorELNS0_4arch9wavefront6targetE1EEEvSZ_,@function
_ZN7rocprim17ROCPRIM_400000_NS6detail17trampoline_kernelINS0_13select_configILj256ELj13ELNS0_17block_load_methodE3ELS4_3ELS4_3ELNS0_20block_scan_algorithmE0ELj4294967295EEENS1_25partition_config_selectorILNS1_17partition_subalgoE3EjNS0_10empty_typeEbEEZZNS1_14partition_implILS8_3ELb0ES6_jNS0_17counting_iteratorIjlEEPS9_SE_NS0_5tupleIJPjSE_EEENSF_IJSE_SE_EEES9_SG_JZNS1_25segmented_radix_sort_implINS0_14default_configELb1EPK6__halfPSL_PKlPlN2at6native12_GLOBAL__N_18offset_tEEE10hipError_tPvRmT1_PNSt15iterator_traitsISZ_E10value_typeET2_T3_PNS10_IS15_E10value_typeET4_jRbjT5_S1B_jjP12ihipStream_tbEUljE_EEESW_SX_SY_S15_S19_S1B_T6_T7_T9_mT8_S1D_bDpT10_ENKUlT_T0_E_clISt17integral_constantIbLb0EES1P_IbLb1EEEEDaS1L_S1M_EUlS1L_E_NS1_11comp_targetILNS1_3genE2ELNS1_11target_archE906ELNS1_3gpuE6ELNS1_3repE0EEENS1_30default_config_static_selectorELNS0_4arch9wavefront6targetE1EEEvSZ_: ; @_ZN7rocprim17ROCPRIM_400000_NS6detail17trampoline_kernelINS0_13select_configILj256ELj13ELNS0_17block_load_methodE3ELS4_3ELS4_3ELNS0_20block_scan_algorithmE0ELj4294967295EEENS1_25partition_config_selectorILNS1_17partition_subalgoE3EjNS0_10empty_typeEbEEZZNS1_14partition_implILS8_3ELb0ES6_jNS0_17counting_iteratorIjlEEPS9_SE_NS0_5tupleIJPjSE_EEENSF_IJSE_SE_EEES9_SG_JZNS1_25segmented_radix_sort_implINS0_14default_configELb1EPK6__halfPSL_PKlPlN2at6native12_GLOBAL__N_18offset_tEEE10hipError_tPvRmT1_PNSt15iterator_traitsISZ_E10value_typeET2_T3_PNS10_IS15_E10value_typeET4_jRbjT5_S1B_jjP12ihipStream_tbEUljE_EEESW_SX_SY_S15_S19_S1B_T6_T7_T9_mT8_S1D_bDpT10_ENKUlT_T0_E_clISt17integral_constantIbLb0EES1P_IbLb1EEEEDaS1L_S1M_EUlS1L_E_NS1_11comp_targetILNS1_3genE2ELNS1_11target_archE906ELNS1_3gpuE6ELNS1_3repE0EEENS1_30default_config_static_selectorELNS0_4arch9wavefront6targetE1EEEvSZ_
; %bb.0:
	s_load_dwordx2 s[28:29], s[4:5], 0x10
	s_load_dwordx2 s[22:23], s[4:5], 0x28
	;; [unrolled: 1-line block ×3, first 2 shown]
	s_load_dwordx4 s[24:27], s[4:5], 0x48
	s_load_dword s14, s[4:5], 0x90
	s_load_dwordx2 s[34:35], s[4:5], 0x68
	s_load_dwordx4 s[8:11], s[4:5], 0x80
	v_cmp_eq_u32_e64 s[0:1], 0, v0
	s_and_saveexec_b64 s[2:3], s[0:1]
	s_cbranch_execz .LBB1735_4
; %bb.1:
	s_mov_b64 s[12:13], exec
	v_mbcnt_lo_u32_b32 v1, s12, 0
	v_mbcnt_hi_u32_b32 v1, s13, v1
	v_cmp_eq_u32_e32 vcc, 0, v1
                                        ; implicit-def: $vgpr2
	s_and_saveexec_b64 s[6:7], vcc
	s_cbranch_execz .LBB1735_3
; %bb.2:
	s_load_dwordx2 s[16:17], s[4:5], 0x78
	s_bcnt1_i32_b64 s12, s[12:13]
	v_mov_b32_e32 v2, 0
	v_mov_b32_e32 v3, s12
	s_waitcnt lgkmcnt(0)
	global_atomic_add v2, v2, v3, s[16:17] glc
.LBB1735_3:
	s_or_b64 exec, exec, s[6:7]
	s_waitcnt vmcnt(0)
	v_readfirstlane_b32 s6, v2
	v_add_u32_e32 v1, s6, v1
	v_mov_b32_e32 v2, 0
	ds_write_b32 v2, v1
.LBB1735_4:
	s_or_b64 exec, exec, s[2:3]
	v_mov_b32_e32 v1, 0
	s_load_dword s6, s[4:5], 0x8
	s_load_dword s2, s[4:5], 0x70
	s_waitcnt lgkmcnt(0)
	s_barrier
	ds_read_b32 v5, v1
	s_waitcnt lgkmcnt(0)
	s_barrier
	global_load_dwordx2 v[3:4], v1, s[26:27]
	s_add_i32 s4, s2, -1
	s_mulk_i32 s2, 0xd00
	s_add_i32 s3, s2, s28
	s_sub_i32 s33, s30, s3
	s_add_i32 s6, s6, s28
	s_addk_i32 s33, 0xd00
	s_add_u32 s2, s28, s2
	s_addc_u32 s3, s29, 0
	v_mov_b32_e32 v1, s2
	v_mov_b32_e32 v2, s3
	v_readfirstlane_b32 s43, v5
	v_cmp_gt_u64_e32 vcc, s[30:31], v[1:2]
	s_cmp_eq_u32 s43, s4
	v_cmp_ne_u32_e64 s[2:3], s4, v5
	s_cselect_b64 s[26:27], -1, 0
	s_or_b64 s[4:5], vcc, s[2:3]
	s_mul_i32 s42, s43, 0xd00
	s_mov_b64 s[2:3], -1
	s_and_b64 vcc, exec, s[4:5]
	v_lshlrev_b32_e32 v25, 2, v0
	s_cbranch_vccz .LBB1735_6
; %bb.5:
	s_add_i32 s2, s42, s6
	v_add_u32_e32 v1, s2, v0
	v_add_u32_e32 v2, 0x100, v1
	;; [unrolled: 1-line block ×13, first 2 shown]
	ds_write2st64_b32 v25, v1, v2 offset1:4
	ds_write2st64_b32 v25, v5, v6 offset0:8 offset1:12
	ds_write2st64_b32 v25, v7, v8 offset0:16 offset1:20
	;; [unrolled: 1-line block ×5, first 2 shown]
	ds_write_b32 v25, v15 offset:12288
	s_waitcnt vmcnt(0) lgkmcnt(0)
	s_barrier
	s_mov_b64 s[2:3], 0
.LBB1735_6:
	s_andn2_b64 vcc, exec, s[2:3]
	v_cmp_gt_u32_e64 s[2:3], s33, v0
	s_cbranch_vccnz .LBB1735_8
; %bb.7:
	s_add_i32 s6, s42, s6
	v_or_b32_e32 v2, 0x100, v0
	v_add_u32_e32 v5, s6, v2
	v_cmp_gt_u32_e32 vcc, s33, v2
	v_cndmask_b32_e32 v2, 0, v5, vcc
	v_or_b32_e32 v5, 0x200, v0
	v_add_u32_e32 v6, s6, v5
	v_cmp_gt_u32_e32 vcc, s33, v5
	v_cndmask_b32_e32 v5, 0, v6, vcc
	;; [unrolled: 4-line block ×10, first 2 shown]
	v_or_b32_e32 v14, 0xb00, v0
	v_add_u32_e32 v15, s6, v14
	v_cmp_gt_u32_e32 vcc, s33, v14
	v_add_u32_e32 v1, s6, v0
	v_cndmask_b32_e32 v14, 0, v15, vcc
	v_or_b32_e32 v15, 0xc00, v0
	v_cndmask_b32_e64 v1, 0, v1, s[2:3]
	v_add_u32_e32 v16, s6, v15
	v_cmp_gt_u32_e32 vcc, s33, v15
	v_cndmask_b32_e32 v15, 0, v16, vcc
	ds_write2st64_b32 v25, v1, v2 offset1:4
	ds_write2st64_b32 v25, v5, v6 offset0:8 offset1:12
	ds_write2st64_b32 v25, v7, v8 offset0:16 offset1:20
	;; [unrolled: 1-line block ×5, first 2 shown]
	ds_write_b32 v25, v15 offset:12288
	s_waitcnt vmcnt(0) lgkmcnt(0)
	s_barrier
.LBB1735_8:
	v_mul_u32_u24_e32 v27, 13, v0
	v_lshlrev_b32_e32 v1, 2, v27
	ds_read2_b32 v[15:16], v1 offset1:1
	ds_read2_b32 v[13:14], v1 offset0:2 offset1:3
	ds_read2_b32 v[11:12], v1 offset0:4 offset1:5
	;; [unrolled: 1-line block ×5, first 2 shown]
	ds_read_b32 v26, v1 offset:48
	v_cndmask_b32_e64 v1, 0, 1, s[4:5]
	v_cmp_ne_u32_e64 s[2:3], 1, v1
	s_andn2_b64 vcc, exec, s[4:5]
	s_waitcnt vmcnt(0) lgkmcnt(0)
	s_barrier
	s_cbranch_vccnz .LBB1735_10
; %bb.9:
	v_add_u32_e32 v1, s9, v15
	v_add_u32_e32 v2, s11, v15
	v_mul_lo_u32 v1, v1, s8
	v_mul_lo_u32 v2, v2, s10
	v_add_u32_e32 v17, s9, v13
	v_add_u32_e32 v18, s11, v13
	v_mul_lo_u32 v17, v17, s8
	v_sub_u32_e32 v1, v1, v2
	v_cmp_lt_u32_e32 vcc, s14, v1
	v_add_u32_e32 v1, s9, v16
	v_add_u32_e32 v2, s11, v16
	v_mul_lo_u32 v1, v1, s8
	v_mul_lo_u32 v2, v2, s10
	;; [unrolled: 1-line block ×3, first 2 shown]
	v_cndmask_b32_e64 v28, 0, 1, vcc
	v_sub_u32_e32 v1, v1, v2
	v_cmp_lt_u32_e32 vcc, s14, v1
	v_sub_u32_e32 v1, v17, v18
	v_cndmask_b32_e64 v29, 0, 1, vcc
	v_cmp_lt_u32_e32 vcc, s14, v1
	v_add_u32_e32 v1, s9, v14
	v_add_u32_e32 v2, s11, v14
	v_mul_lo_u32 v1, v1, s8
	v_mul_lo_u32 v2, v2, s10
	v_add_u32_e32 v17, s9, v11
	v_add_u32_e32 v18, s11, v11
	v_mul_lo_u32 v17, v17, s8
	v_mul_lo_u32 v18, v18, s10
	v_sub_u32_e32 v1, v1, v2
	v_cndmask_b32_e64 v30, 0, 1, vcc
	v_cmp_lt_u32_e32 vcc, s14, v1
	v_sub_u32_e32 v1, v17, v18
	v_cndmask_b32_e64 v31, 0, 1, vcc
	v_cmp_lt_u32_e32 vcc, s14, v1
	v_add_u32_e32 v1, s9, v12
	v_add_u32_e32 v2, s11, v12
	v_mul_lo_u32 v1, v1, s8
	v_mul_lo_u32 v2, v2, s10
	v_add_u32_e32 v17, s9, v9
	v_add_u32_e32 v18, s11, v9
	v_mul_lo_u32 v17, v17, s8
	v_mul_lo_u32 v18, v18, s10
	v_sub_u32_e32 v1, v1, v2
	v_cndmask_b32_e64 v32, 0, 1, vcc
	;; [unrolled: 14-line block ×5, first 2 shown]
	v_cmp_lt_u32_e32 vcc, s14, v1
	v_sub_u32_e32 v1, v17, v18
	v_cndmask_b32_e64 v39, 0, 1, vcc
	v_cmp_lt_u32_e64 s[36:37], s14, v1
	s_cbranch_execz .LBB1735_11
	s_branch .LBB1735_38
.LBB1735_10:
                                        ; implicit-def: $sgpr36_sgpr37
                                        ; implicit-def: $vgpr39
                                        ; implicit-def: $vgpr38
                                        ; implicit-def: $vgpr37
                                        ; implicit-def: $vgpr36
                                        ; implicit-def: $vgpr35
                                        ; implicit-def: $vgpr34
                                        ; implicit-def: $vgpr33
                                        ; implicit-def: $vgpr32
                                        ; implicit-def: $vgpr28
                                        ; implicit-def: $vgpr29
                                        ; implicit-def: $vgpr30
                                        ; implicit-def: $vgpr31
.LBB1735_11:
	v_cmp_gt_u32_e32 vcc, s33, v27
	v_mov_b32_e32 v29, 0
	v_mov_b32_e32 v28, 0
	s_and_saveexec_b64 s[4:5], vcc
	s_cbranch_execz .LBB1735_13
; %bb.12:
	v_add_u32_e32 v1, s9, v15
	v_add_u32_e32 v2, s11, v15
	v_mul_lo_u32 v1, v1, s8
	v_mul_lo_u32 v2, v2, s10
	v_sub_u32_e32 v1, v1, v2
	v_cmp_lt_u32_e32 vcc, s14, v1
	v_cndmask_b32_e64 v28, 0, 1, vcc
.LBB1735_13:
	s_or_b64 exec, exec, s[4:5]
	v_add_u32_e32 v1, 1, v27
	v_cmp_gt_u32_e32 vcc, s33, v1
	s_and_saveexec_b64 s[4:5], vcc
	s_cbranch_execz .LBB1735_15
; %bb.14:
	v_add_u32_e32 v1, s9, v16
	v_add_u32_e32 v2, s11, v16
	v_mul_lo_u32 v1, v1, s8
	v_mul_lo_u32 v2, v2, s10
	v_sub_u32_e32 v1, v1, v2
	v_cmp_lt_u32_e32 vcc, s14, v1
	v_cndmask_b32_e64 v29, 0, 1, vcc
.LBB1735_15:
	s_or_b64 exec, exec, s[4:5]
	v_add_u32_e32 v1, 2, v27
	v_cmp_gt_u32_e32 vcc, s33, v1
	v_mov_b32_e32 v31, 0
	v_mov_b32_e32 v30, 0
	s_and_saveexec_b64 s[4:5], vcc
	s_cbranch_execz .LBB1735_17
; %bb.16:
	v_add_u32_e32 v1, s9, v13
	v_add_u32_e32 v2, s11, v13
	v_mul_lo_u32 v1, v1, s8
	v_mul_lo_u32 v2, v2, s10
	v_sub_u32_e32 v1, v1, v2
	v_cmp_lt_u32_e32 vcc, s14, v1
	v_cndmask_b32_e64 v30, 0, 1, vcc
.LBB1735_17:
	s_or_b64 exec, exec, s[4:5]
	v_add_u32_e32 v1, 3, v27
	v_cmp_gt_u32_e32 vcc, s33, v1
	s_and_saveexec_b64 s[4:5], vcc
	s_cbranch_execz .LBB1735_19
; %bb.18:
	v_add_u32_e32 v1, s9, v14
	v_add_u32_e32 v2, s11, v14
	v_mul_lo_u32 v1, v1, s8
	v_mul_lo_u32 v2, v2, s10
	v_sub_u32_e32 v1, v1, v2
	v_cmp_lt_u32_e32 vcc, s14, v1
	v_cndmask_b32_e64 v31, 0, 1, vcc
.LBB1735_19:
	s_or_b64 exec, exec, s[4:5]
	v_add_u32_e32 v1, 4, v27
	;; [unrolled: 30-line block ×6, first 2 shown]
	v_cmp_gt_u32_e32 vcc, s33, v1
	s_mov_b64 s[36:37], 0
	s_and_saveexec_b64 s[4:5], vcc
	s_cbranch_execz .LBB1735_37
; %bb.36:
	v_add_u32_e32 v1, s9, v26
	v_add_u32_e32 v2, s11, v26
	v_mul_lo_u32 v1, v1, s8
	v_mul_lo_u32 v2, v2, s10
	v_sub_u32_e32 v1, v1, v2
	v_cmp_lt_u32_e32 vcc, s14, v1
	s_and_b64 s[36:37], vcc, exec
.LBB1735_37:
	s_or_b64 exec, exec, s[4:5]
.LBB1735_38:
	v_and_b32_e32 v42, 0xff, v29
	v_and_b32_e32 v43, 0xff, v30
	;; [unrolled: 1-line block ×5, first 2 shown]
	v_add3_u32 v2, v43, v44, v42
	v_and_b32_e32 v46, 0xff, v33
	v_and_b32_e32 v47, 0xff, v34
	v_add3_u32 v2, v2, v41, v45
	v_and_b32_e32 v48, 0xff, v35
	v_and_b32_e32 v49, 0xff, v36
	;; [unrolled: 3-line block ×3, first 2 shown]
	v_add3_u32 v2, v2, v48, v49
	v_and_b32_e32 v40, 0xff, v39
	v_cndmask_b32_e64 v1, 0, 1, s[36:37]
	v_add3_u32 v2, v2, v50, v51
	v_add3_u32 v54, v2, v40, v1
	v_mbcnt_lo_u32_b32 v1, -1, 0
	v_mbcnt_hi_u32_b32 v52, -1, v1
	v_and_b32_e32 v1, 15, v52
	v_cmp_eq_u32_e64 s[16:17], 0, v1
	v_cmp_lt_u32_e64 s[14:15], 1, v1
	v_cmp_lt_u32_e64 s[12:13], 3, v1
	;; [unrolled: 1-line block ×3, first 2 shown]
	v_and_b32_e32 v1, 16, v52
	v_cmp_eq_u32_e64 s[8:9], 0, v1
	v_or_b32_e32 v1, 63, v0
	s_cmp_lg_u32 s43, 0
	v_cmp_lt_u32_e64 s[4:5], 31, v52
	v_lshrrev_b32_e32 v53, 6, v0
	v_cmp_eq_u32_e64 s[6:7], v0, v1
	s_cbranch_scc0 .LBB1735_60
; %bb.39:
	v_mov_b32_dpp v1, v54 row_shr:1 row_mask:0xf bank_mask:0xf
	v_cndmask_b32_e64 v1, v1, 0, s[16:17]
	v_add_u32_e32 v1, v1, v54
	s_nop 1
	v_mov_b32_dpp v2, v1 row_shr:2 row_mask:0xf bank_mask:0xf
	v_cndmask_b32_e64 v2, 0, v2, s[14:15]
	v_add_u32_e32 v1, v1, v2
	s_nop 1
	;; [unrolled: 4-line block ×4, first 2 shown]
	v_mov_b32_dpp v2, v1 row_bcast:15 row_mask:0xf bank_mask:0xf
	v_cndmask_b32_e64 v2, v2, 0, s[8:9]
	v_add_u32_e32 v1, v1, v2
	s_nop 1
	v_mov_b32_dpp v2, v1 row_bcast:31 row_mask:0xf bank_mask:0xf
	v_cndmask_b32_e64 v2, 0, v2, s[4:5]
	v_add_u32_e32 v1, v1, v2
	s_and_saveexec_b64 s[18:19], s[6:7]
; %bb.40:
	v_lshlrev_b32_e32 v2, 2, v53
	ds_write_b32 v2, v1
; %bb.41:
	s_or_b64 exec, exec, s[18:19]
	v_cmp_gt_u32_e32 vcc, 4, v0
	s_waitcnt lgkmcnt(0)
	s_barrier
	s_and_saveexec_b64 s[18:19], vcc
	s_cbranch_execz .LBB1735_43
; %bb.42:
	ds_read_b32 v2, v25
	v_and_b32_e32 v17, 3, v52
	v_cmp_ne_u32_e32 vcc, 0, v17
	s_waitcnt lgkmcnt(0)
	v_mov_b32_dpp v18, v2 row_shr:1 row_mask:0xf bank_mask:0xf
	v_cndmask_b32_e32 v18, 0, v18, vcc
	v_add_u32_e32 v2, v18, v2
	v_cmp_lt_u32_e32 vcc, 1, v17
	s_nop 0
	v_mov_b32_dpp v18, v2 row_shr:2 row_mask:0xf bank_mask:0xf
	v_cndmask_b32_e32 v17, 0, v18, vcc
	v_add_u32_e32 v2, v2, v17
	ds_write_b32 v25, v2
.LBB1735_43:
	s_or_b64 exec, exec, s[18:19]
	v_cmp_gt_u32_e32 vcc, 64, v0
	v_cmp_lt_u32_e64 s[18:19], 63, v0
	s_waitcnt lgkmcnt(0)
	s_barrier
                                        ; implicit-def: $vgpr55
	s_and_saveexec_b64 s[20:21], s[18:19]
	s_cbranch_execz .LBB1735_45
; %bb.44:
	v_lshl_add_u32 v2, v53, 2, -4
	ds_read_b32 v55, v2
	s_waitcnt lgkmcnt(0)
	v_add_u32_e32 v1, v55, v1
.LBB1735_45:
	s_or_b64 exec, exec, s[20:21]
	v_subrev_co_u32_e64 v2, s[18:19], 1, v52
	v_and_b32_e32 v17, 64, v52
	v_cmp_lt_i32_e64 s[20:21], v2, v17
	v_cndmask_b32_e64 v2, v2, v52, s[20:21]
	v_lshlrev_b32_e32 v2, 2, v2
	ds_bpermute_b32 v56, v2, v1
	s_and_saveexec_b64 s[20:21], vcc
	s_cbranch_execz .LBB1735_65
; %bb.46:
	v_mov_b32_e32 v21, 0
	ds_read_b32 v1, v21 offset:12
	s_and_saveexec_b64 s[38:39], s[18:19]
	s_cbranch_execz .LBB1735_48
; %bb.47:
	s_add_i32 s40, s43, 64
	s_mov_b32 s41, 0
	s_lshl_b64 s[40:41], s[40:41], 3
	s_add_u32 s40, s34, s40
	v_mov_b32_e32 v2, 1
	s_addc_u32 s41, s35, s41
	s_waitcnt lgkmcnt(0)
	global_store_dwordx2 v21, v[1:2], s[40:41]
.LBB1735_48:
	s_or_b64 exec, exec, s[38:39]
	v_xad_u32 v17, v52, -1, s43
	v_add_u32_e32 v20, 64, v17
	v_lshlrev_b64 v[18:19], 3, v[20:21]
	v_mov_b32_e32 v2, s35
	v_add_co_u32_e32 v22, vcc, s34, v18
	v_addc_co_u32_e32 v23, vcc, v2, v19, vcc
	global_load_dwordx2 v[19:20], v[22:23], off glc
	s_waitcnt vmcnt(0)
	v_cmp_eq_u16_sdwa s[40:41], v20, v21 src0_sel:BYTE_0 src1_sel:DWORD
	s_and_saveexec_b64 s[38:39], s[40:41]
	s_cbranch_execz .LBB1735_52
; %bb.49:
	s_mov_b64 s[40:41], 0
	v_mov_b32_e32 v2, 0
.LBB1735_50:                            ; =>This Inner Loop Header: Depth=1
	global_load_dwordx2 v[19:20], v[22:23], off glc
	s_waitcnt vmcnt(0)
	v_cmp_ne_u16_sdwa s[44:45], v20, v2 src0_sel:BYTE_0 src1_sel:DWORD
	s_or_b64 s[40:41], s[44:45], s[40:41]
	s_andn2_b64 exec, exec, s[40:41]
	s_cbranch_execnz .LBB1735_50
; %bb.51:
	s_or_b64 exec, exec, s[40:41]
.LBB1735_52:
	s_or_b64 exec, exec, s[38:39]
	v_and_b32_e32 v58, 63, v52
	v_mov_b32_e32 v57, 2
	v_lshlrev_b64 v[21:22], v52, -1
	v_cmp_ne_u32_e32 vcc, 63, v58
	v_cmp_eq_u16_sdwa s[38:39], v20, v57 src0_sel:BYTE_0 src1_sel:DWORD
	v_addc_co_u32_e32 v23, vcc, 0, v52, vcc
	v_and_b32_e32 v2, s39, v22
	v_lshlrev_b32_e32 v59, 2, v23
	v_or_b32_e32 v2, 0x80000000, v2
	ds_bpermute_b32 v23, v59, v19
	v_and_b32_e32 v18, s38, v21
	v_ffbl_b32_e32 v2, v2
	v_add_u32_e32 v2, 32, v2
	v_ffbl_b32_e32 v18, v18
	v_min_u32_e32 v2, v18, v2
	v_cmp_lt_u32_e32 vcc, v58, v2
	s_waitcnt lgkmcnt(0)
	v_cndmask_b32_e32 v18, 0, v23, vcc
	v_cmp_gt_u32_e32 vcc, 62, v58
	v_add_u32_e32 v18, v18, v19
	v_cndmask_b32_e64 v19, 0, 2, vcc
	v_add_lshl_u32 v60, v19, v52, 2
	ds_bpermute_b32 v19, v60, v18
	v_add_u32_e32 v61, 2, v58
	v_cmp_le_u32_e32 vcc, v61, v2
	v_add_u32_e32 v63, 4, v58
	v_add_u32_e32 v65, 8, v58
	s_waitcnt lgkmcnt(0)
	v_cndmask_b32_e32 v19, 0, v19, vcc
	v_cmp_gt_u32_e32 vcc, 60, v58
	v_add_u32_e32 v18, v18, v19
	v_cndmask_b32_e64 v19, 0, 4, vcc
	v_add_lshl_u32 v62, v19, v52, 2
	ds_bpermute_b32 v19, v62, v18
	v_cmp_le_u32_e32 vcc, v63, v2
	v_add_u32_e32 v67, 16, v58
	v_add_u32_e32 v69, 32, v58
	s_waitcnt lgkmcnt(0)
	v_cndmask_b32_e32 v19, 0, v19, vcc
	v_cmp_gt_u32_e32 vcc, 56, v58
	v_add_u32_e32 v18, v18, v19
	v_cndmask_b32_e64 v19, 0, 8, vcc
	v_add_lshl_u32 v64, v19, v52, 2
	ds_bpermute_b32 v19, v64, v18
	v_cmp_le_u32_e32 vcc, v65, v2
	s_waitcnt lgkmcnt(0)
	v_cndmask_b32_e32 v19, 0, v19, vcc
	v_cmp_gt_u32_e32 vcc, 48, v58
	v_add_u32_e32 v18, v18, v19
	v_cndmask_b32_e64 v19, 0, 16, vcc
	v_add_lshl_u32 v66, v19, v52, 2
	ds_bpermute_b32 v19, v66, v18
	v_cmp_le_u32_e32 vcc, v67, v2
	s_waitcnt lgkmcnt(0)
	v_cndmask_b32_e32 v19, 0, v19, vcc
	v_add_u32_e32 v18, v18, v19
	v_mov_b32_e32 v19, 0x80
	v_lshl_or_b32 v68, v52, 2, v19
	ds_bpermute_b32 v19, v68, v18
	v_cmp_le_u32_e32 vcc, v69, v2
	s_waitcnt lgkmcnt(0)
	v_cndmask_b32_e32 v2, 0, v19, vcc
	v_add_u32_e32 v19, v18, v2
	v_mov_b32_e32 v18, 0
	s_branch .LBB1735_56
.LBB1735_53:                            ;   in Loop: Header=BB1735_56 Depth=1
	s_or_b64 exec, exec, s[40:41]
.LBB1735_54:                            ;   in Loop: Header=BB1735_56 Depth=1
	s_or_b64 exec, exec, s[38:39]
	v_cmp_eq_u16_sdwa s[38:39], v20, v57 src0_sel:BYTE_0 src1_sel:DWORD
	v_and_b32_e32 v23, s39, v22
	v_or_b32_e32 v23, 0x80000000, v23
	ds_bpermute_b32 v70, v59, v19
	v_and_b32_e32 v24, s38, v21
	v_ffbl_b32_e32 v23, v23
	v_add_u32_e32 v23, 32, v23
	v_ffbl_b32_e32 v24, v24
	v_min_u32_e32 v23, v24, v23
	v_cmp_lt_u32_e32 vcc, v58, v23
	s_waitcnt lgkmcnt(0)
	v_cndmask_b32_e32 v24, 0, v70, vcc
	v_add_u32_e32 v19, v24, v19
	ds_bpermute_b32 v24, v60, v19
	v_cmp_le_u32_e32 vcc, v61, v23
	v_subrev_u32_e32 v17, 64, v17
	s_mov_b64 s[38:39], 0
	s_waitcnt lgkmcnt(0)
	v_cndmask_b32_e32 v24, 0, v24, vcc
	v_add_u32_e32 v19, v19, v24
	ds_bpermute_b32 v24, v62, v19
	v_cmp_le_u32_e32 vcc, v63, v23
	s_waitcnt lgkmcnt(0)
	v_cndmask_b32_e32 v24, 0, v24, vcc
	v_add_u32_e32 v19, v19, v24
	ds_bpermute_b32 v24, v64, v19
	v_cmp_le_u32_e32 vcc, v65, v23
	;; [unrolled: 5-line block ×4, first 2 shown]
	s_waitcnt lgkmcnt(0)
	v_cndmask_b32_e32 v23, 0, v24, vcc
	v_add3_u32 v19, v23, v2, v19
.LBB1735_55:                            ;   in Loop: Header=BB1735_56 Depth=1
	s_and_b64 vcc, exec, s[38:39]
	s_cbranch_vccnz .LBB1735_61
.LBB1735_56:                            ; =>This Loop Header: Depth=1
                                        ;     Child Loop BB1735_59 Depth 2
	v_cmp_ne_u16_sdwa s[38:39], v20, v57 src0_sel:BYTE_0 src1_sel:DWORD
	v_mov_b32_e32 v2, v19
	s_cmp_lg_u64 s[38:39], exec
	s_mov_b64 s[38:39], -1
                                        ; implicit-def: $vgpr19
                                        ; implicit-def: $vgpr20
	s_cbranch_scc1 .LBB1735_55
; %bb.57:                               ;   in Loop: Header=BB1735_56 Depth=1
	v_lshlrev_b64 v[19:20], 3, v[17:18]
	v_mov_b32_e32 v24, s35
	v_add_co_u32_e32 v23, vcc, s34, v19
	v_addc_co_u32_e32 v24, vcc, v24, v20, vcc
	global_load_dwordx2 v[19:20], v[23:24], off glc
	s_waitcnt vmcnt(0)
	v_cmp_eq_u16_sdwa s[40:41], v20, v18 src0_sel:BYTE_0 src1_sel:DWORD
	s_and_saveexec_b64 s[38:39], s[40:41]
	s_cbranch_execz .LBB1735_54
; %bb.58:                               ;   in Loop: Header=BB1735_56 Depth=1
	s_mov_b64 s[40:41], 0
.LBB1735_59:                            ;   Parent Loop BB1735_56 Depth=1
                                        ; =>  This Inner Loop Header: Depth=2
	global_load_dwordx2 v[19:20], v[23:24], off glc
	s_waitcnt vmcnt(0)
	v_cmp_ne_u16_sdwa s[44:45], v20, v18 src0_sel:BYTE_0 src1_sel:DWORD
	s_or_b64 s[40:41], s[44:45], s[40:41]
	s_andn2_b64 exec, exec, s[40:41]
	s_cbranch_execnz .LBB1735_59
	s_branch .LBB1735_53
.LBB1735_60:
                                        ; implicit-def: $vgpr2
                                        ; implicit-def: $vgpr17
	s_cbranch_execnz .LBB1735_66
	s_branch .LBB1735_75
.LBB1735_61:
	s_and_saveexec_b64 s[38:39], s[18:19]
	s_cbranch_execz .LBB1735_63
; %bb.62:
	s_add_i32 s40, s43, 64
	s_mov_b32 s41, 0
	s_lshl_b64 s[40:41], s[40:41], 3
	s_add_u32 s40, s34, s40
	v_add_u32_e32 v17, v2, v1
	v_mov_b32_e32 v18, 2
	s_addc_u32 s41, s35, s41
	v_mov_b32_e32 v19, 0
	global_store_dwordx2 v19, v[17:18], s[40:41]
	ds_write_b64 v19, v[1:2] offset:13312
.LBB1735_63:
	s_or_b64 exec, exec, s[38:39]
	s_and_b64 exec, exec, s[0:1]
; %bb.64:
	v_mov_b32_e32 v1, 0
	ds_write_b32 v1, v2 offset:12
.LBB1735_65:
	s_or_b64 exec, exec, s[20:21]
	v_mov_b32_e32 v1, 0
	s_waitcnt vmcnt(0) lgkmcnt(0)
	s_barrier
	ds_read_b32 v17, v1 offset:12
	s_waitcnt lgkmcnt(0)
	s_barrier
	ds_read_b64 v[1:2], v1 offset:13312
	v_cndmask_b32_e64 v18, v56, v55, s[18:19]
	v_cndmask_b32_e64 v18, v18, 0, s[0:1]
	v_add_u32_e32 v17, v17, v18
	s_branch .LBB1735_75
.LBB1735_66:
	s_waitcnt lgkmcnt(0)
	v_mov_b32_dpp v1, v54 row_shr:1 row_mask:0xf bank_mask:0xf
	v_cndmask_b32_e64 v1, v1, 0, s[16:17]
	v_add_u32_e32 v1, v1, v54
	s_nop 1
	v_mov_b32_dpp v2, v1 row_shr:2 row_mask:0xf bank_mask:0xf
	v_cndmask_b32_e64 v2, 0, v2, s[14:15]
	v_add_u32_e32 v1, v1, v2
	s_nop 1
	;; [unrolled: 4-line block ×4, first 2 shown]
	v_mov_b32_dpp v2, v1 row_bcast:15 row_mask:0xf bank_mask:0xf
	v_cndmask_b32_e64 v2, v2, 0, s[8:9]
	v_add_u32_e32 v1, v1, v2
	s_nop 1
	v_mov_b32_dpp v2, v1 row_bcast:31 row_mask:0xf bank_mask:0xf
	v_cndmask_b32_e64 v2, 0, v2, s[4:5]
	v_add_u32_e32 v1, v1, v2
	s_and_saveexec_b64 s[4:5], s[6:7]
; %bb.67:
	v_lshlrev_b32_e32 v2, 2, v53
	ds_write_b32 v2, v1
; %bb.68:
	s_or_b64 exec, exec, s[4:5]
	v_cmp_gt_u32_e32 vcc, 4, v0
	s_waitcnt lgkmcnt(0)
	s_barrier
	s_and_saveexec_b64 s[4:5], vcc
	s_cbranch_execz .LBB1735_70
; %bb.69:
	ds_read_b32 v2, v25
	v_and_b32_e32 v17, 3, v52
	v_cmp_ne_u32_e32 vcc, 0, v17
	s_waitcnt lgkmcnt(0)
	v_mov_b32_dpp v18, v2 row_shr:1 row_mask:0xf bank_mask:0xf
	v_cndmask_b32_e32 v18, 0, v18, vcc
	v_add_u32_e32 v2, v18, v2
	v_cmp_lt_u32_e32 vcc, 1, v17
	s_nop 0
	v_mov_b32_dpp v18, v2 row_shr:2 row_mask:0xf bank_mask:0xf
	v_cndmask_b32_e32 v17, 0, v18, vcc
	v_add_u32_e32 v2, v2, v17
	ds_write_b32 v25, v2
.LBB1735_70:
	s_or_b64 exec, exec, s[4:5]
	v_cmp_lt_u32_e32 vcc, 63, v0
	v_mov_b32_e32 v2, 0
	v_mov_b32_e32 v17, 0
	s_waitcnt lgkmcnt(0)
	s_barrier
	s_and_saveexec_b64 s[4:5], vcc
; %bb.71:
	v_lshl_add_u32 v17, v53, 2, -4
	ds_read_b32 v17, v17
; %bb.72:
	s_or_b64 exec, exec, s[4:5]
	v_subrev_co_u32_e32 v18, vcc, 1, v52
	v_and_b32_e32 v19, 64, v52
	v_cmp_lt_i32_e64 s[4:5], v18, v19
	v_cndmask_b32_e64 v18, v18, v52, s[4:5]
	s_waitcnt lgkmcnt(0)
	v_add_u32_e32 v1, v17, v1
	v_lshlrev_b32_e32 v18, 2, v18
	ds_bpermute_b32 v18, v18, v1
	ds_read_b32 v1, v2 offset:12
	s_and_saveexec_b64 s[4:5], s[0:1]
	s_cbranch_execz .LBB1735_74
; %bb.73:
	v_mov_b32_e32 v19, 0
	v_mov_b32_e32 v2, 2
	s_waitcnt lgkmcnt(0)
	global_store_dwordx2 v19, v[1:2], s[34:35] offset:512
.LBB1735_74:
	s_or_b64 exec, exec, s[4:5]
	s_waitcnt lgkmcnt(1)
	v_cndmask_b32_e32 v2, v18, v17, vcc
	v_cndmask_b32_e64 v17, v2, 0, s[0:1]
	s_waitcnt vmcnt(0) lgkmcnt(0)
	s_barrier
	v_mov_b32_e32 v2, 0
.LBB1735_75:
	v_add_u32_e32 v18, v17, v41
	v_add_u32_e32 v19, v18, v42
	;; [unrolled: 1-line block ×4, first 2 shown]
	s_waitcnt lgkmcnt(0)
	v_add_u32_e32 v27, v1, v27
	v_sub_u32_e32 v17, v17, v2
	v_and_b32_e32 v28, 1, v28
	v_add_u32_e32 v22, v21, v45
	v_sub_u32_e32 v45, v27, v17
	v_cmp_eq_u32_e32 vcc, 1, v28
	v_cndmask_b32_e32 v17, v45, v17, vcc
	v_lshlrev_b32_e32 v17, 2, v17
	ds_write_b32 v17, v15
	v_sub_u32_e32 v15, v18, v2
	v_sub_u32_e32 v17, v27, v15
	v_and_b32_e32 v18, 1, v29
	v_add_u32_e32 v17, 1, v17
	v_cmp_eq_u32_e32 vcc, 1, v18
	v_cndmask_b32_e32 v15, v17, v15, vcc
	v_lshlrev_b32_e32 v15, 2, v15
	ds_write_b32 v15, v16
	v_sub_u32_e32 v15, v19, v2
	v_sub_u32_e32 v16, v27, v15
	v_and_b32_e32 v17, 1, v30
	v_add_u32_e32 v16, 2, v16
	;; [unrolled: 8-line block ×5, first 2 shown]
	v_cmp_eq_u32_e32 vcc, 1, v14
	v_cndmask_b32_e32 v11, v13, v11, vcc
	v_add_u32_e32 v23, v22, v46
	v_lshlrev_b32_e32 v11, 2, v11
	ds_write_b32 v11, v12
	v_sub_u32_e32 v11, v23, v2
	v_sub_u32_e32 v12, v27, v11
	v_and_b32_e32 v13, 1, v34
	v_add_u32_e32 v12, 6, v12
	v_cmp_eq_u32_e32 vcc, 1, v13
	v_cndmask_b32_e32 v11, v12, v11, vcc
	v_add_u32_e32 v24, v23, v47
	v_lshlrev_b32_e32 v11, 2, v11
	ds_write_b32 v11, v9
	v_sub_u32_e32 v9, v24, v2
	v_sub_u32_e32 v11, v27, v9
	v_and_b32_e32 v12, 1, v35
	v_add_u32_e32 v11, 7, v11
	;; [unrolled: 9-line block ×6, first 2 shown]
	v_cmp_eq_u32_e32 vcc, 1, v8
	v_cndmask_b32_e32 v5, v7, v5, vcc
	v_lshlrev_b32_e32 v5, 2, v5
	ds_write_b32 v5, v6
	v_sub_u32_e32 v5, v40, v2
	v_add_u32_e32 v5, v44, v5
	v_sub_u32_e32 v6, v27, v5
	v_add_u32_e32 v6, 12, v6
	v_cndmask_b32_e64 v5, v6, v5, s[36:37]
	v_lshlrev_b32_e32 v5, 2, v5
	ds_write_b32 v5, v26
	s_waitcnt lgkmcnt(0)
	s_barrier
	ds_read2st64_b32 v[15:16], v25 offset1:4
	ds_read2st64_b32 v[13:14], v25 offset0:8 offset1:12
	ds_read2st64_b32 v[11:12], v25 offset0:16 offset1:20
	;; [unrolled: 1-line block ×5, first 2 shown]
	ds_read_b32 v18, v25 offset:12288
	s_and_b64 vcc, exec, s[2:3]
	v_add_co_u32_e64 v17, s[2:3], v3, v2
	v_or_b32_e32 v32, 0x100, v0
	v_or_b32_e32 v30, 0x200, v0
	;; [unrolled: 1-line block ×12, first 2 shown]
	v_addc_co_u32_e64 v4, s[2:3], 0, v4, s[2:3]
	s_cbranch_vccnz .LBB1735_132
; %bb.76:
	v_mov_b32_e32 v2, s29
	v_subrev_co_u32_e32 v3, vcc, s28, v17
	s_sub_u32 s2, s30, s42
	v_subb_co_u32_e32 v2, vcc, v4, v2, vcc
	s_subb_u32 s3, s31, 0
	v_mov_b32_e32 v25, s3
	v_add_co_u32_e32 v31, vcc, s2, v1
	v_addc_co_u32_e32 v33, vcc, 0, v25, vcc
	v_add_co_u32_e32 v25, vcc, v31, v3
	v_addc_co_u32_e32 v31, vcc, v33, v2, vcc
	v_cmp_ge_u32_e32 vcc, v0, v1
                                        ; implicit-def: $vgpr2_vgpr3
	s_and_saveexec_b64 s[2:3], vcc
	s_xor_b64 s[2:3], exec, s[2:3]
; %bb.77:
	v_not_b32_e32 v2, v0
	v_ashrrev_i32_e32 v3, 31, v2
	v_add_co_u32_e32 v2, vcc, v25, v2
	v_addc_co_u32_e32 v3, vcc, v31, v3, vcc
; %bb.78:
	s_andn2_saveexec_b64 s[2:3], s[2:3]
; %bb.79:
	v_add_co_u32_e32 v2, vcc, v17, v0
	v_addc_co_u32_e32 v3, vcc, 0, v4, vcc
; %bb.80:
	s_or_b64 exec, exec, s[2:3]
	v_lshlrev_b64 v[2:3], 2, v[2:3]
	v_mov_b32_e32 v33, s23
	v_add_co_u32_e32 v2, vcc, s22, v2
	v_addc_co_u32_e32 v3, vcc, v33, v3, vcc
	v_cmp_ge_u32_e32 vcc, v32, v1
	s_waitcnt lgkmcnt(6)
	global_store_dword v[2:3], v15, off
                                        ; implicit-def: $vgpr2_vgpr3
	s_and_saveexec_b64 s[2:3], vcc
	s_xor_b64 s[2:3], exec, s[2:3]
; %bb.81:
	v_xor_b32_e32 v2, 0xfffffeff, v0
	v_ashrrev_i32_e32 v3, 31, v2
	v_add_co_u32_e32 v2, vcc, v25, v2
	v_addc_co_u32_e32 v3, vcc, v31, v3, vcc
; %bb.82:
	s_andn2_saveexec_b64 s[2:3], s[2:3]
; %bb.83:
	v_add_co_u32_e32 v2, vcc, v17, v32
	v_addc_co_u32_e32 v3, vcc, 0, v4, vcc
; %bb.84:
	s_or_b64 exec, exec, s[2:3]
	v_lshlrev_b64 v[2:3], 2, v[2:3]
	v_mov_b32_e32 v33, s23
	v_add_co_u32_e32 v2, vcc, s22, v2
	v_addc_co_u32_e32 v3, vcc, v33, v3, vcc
	v_cmp_ge_u32_e32 vcc, v30, v1
	global_store_dword v[2:3], v16, off
                                        ; implicit-def: $vgpr2_vgpr3
	s_and_saveexec_b64 s[2:3], vcc
	s_xor_b64 s[2:3], exec, s[2:3]
; %bb.85:
	v_xor_b32_e32 v2, 0xfffffdff, v0
	v_ashrrev_i32_e32 v3, 31, v2
	v_add_co_u32_e32 v2, vcc, v25, v2
	v_addc_co_u32_e32 v3, vcc, v31, v3, vcc
; %bb.86:
	s_andn2_saveexec_b64 s[2:3], s[2:3]
; %bb.87:
	v_add_co_u32_e32 v2, vcc, v17, v30
	v_addc_co_u32_e32 v3, vcc, 0, v4, vcc
; %bb.88:
	s_or_b64 exec, exec, s[2:3]
	v_lshlrev_b64 v[2:3], 2, v[2:3]
	v_mov_b32_e32 v33, s23
	v_add_co_u32_e32 v2, vcc, s22, v2
	v_addc_co_u32_e32 v3, vcc, v33, v3, vcc
	v_cmp_ge_u32_e32 vcc, v29, v1
	s_waitcnt lgkmcnt(5)
	global_store_dword v[2:3], v13, off
                                        ; implicit-def: $vgpr2_vgpr3
	s_and_saveexec_b64 s[2:3], vcc
	s_xor_b64 s[2:3], exec, s[2:3]
; %bb.89:
	v_xor_b32_e32 v2, 0xfffffcff, v0
	v_ashrrev_i32_e32 v3, 31, v2
	v_add_co_u32_e32 v2, vcc, v25, v2
	v_addc_co_u32_e32 v3, vcc, v31, v3, vcc
; %bb.90:
	s_andn2_saveexec_b64 s[2:3], s[2:3]
; %bb.91:
	v_add_co_u32_e32 v2, vcc, v17, v29
	v_addc_co_u32_e32 v3, vcc, 0, v4, vcc
; %bb.92:
	s_or_b64 exec, exec, s[2:3]
	v_lshlrev_b64 v[2:3], 2, v[2:3]
	v_mov_b32_e32 v33, s23
	v_add_co_u32_e32 v2, vcc, s22, v2
	v_addc_co_u32_e32 v3, vcc, v33, v3, vcc
	v_cmp_ge_u32_e32 vcc, v28, v1
	global_store_dword v[2:3], v14, off
                                        ; implicit-def: $vgpr2_vgpr3
	s_and_saveexec_b64 s[2:3], vcc
	s_xor_b64 s[2:3], exec, s[2:3]
; %bb.93:
	v_xor_b32_e32 v2, 0xfffffbff, v0
	;; [unrolled: 43-line block ×6, first 2 shown]
	v_ashrrev_i32_e32 v3, 31, v2
	v_add_co_u32_e32 v2, vcc, v25, v2
	v_addc_co_u32_e32 v3, vcc, v31, v3, vcc
; %bb.126:
	s_andn2_saveexec_b64 s[2:3], s[2:3]
; %bb.127:
	v_add_co_u32_e32 v2, vcc, v17, v19
	v_addc_co_u32_e32 v3, vcc, 0, v4, vcc
; %bb.128:
	s_or_b64 exec, exec, s[2:3]
	s_mov_b64 s[2:3], -1
.LBB1735_129:
	s_and_saveexec_b64 s[4:5], s[2:3]
	s_cbranch_execz .LBB1735_212
.LBB1735_130:
	v_lshlrev_b64 v[2:3], 2, v[2:3]
	v_mov_b32_e32 v0, s23
	v_add_co_u32_e32 v2, vcc, s22, v2
	v_addc_co_u32_e32 v3, vcc, v0, v3, vcc
	s_waitcnt lgkmcnt(0)
	global_store_dword v[2:3], v18, off
	s_or_b64 exec, exec, s[4:5]
	s_and_b64 s[0:1], s[0:1], s[26:27]
	s_and_saveexec_b64 s[2:3], s[0:1]
	s_cbranch_execnz .LBB1735_213
.LBB1735_131:
	s_endpgm
.LBB1735_132:
	s_mov_b64 s[2:3], 0
                                        ; implicit-def: $vgpr2_vgpr3
	s_cbranch_execz .LBB1735_129
; %bb.133:
	s_add_u32 s4, s28, s42
	s_addc_u32 s5, s29, 0
	s_sub_u32 s4, s30, s4
	s_subb_u32 s5, s31, s5
	v_mov_b32_e32 v2, s5
	v_add_co_u32_e32 v3, vcc, s4, v1
	v_addc_co_u32_e32 v2, vcc, 0, v2, vcc
	v_add_co_u32_e32 v25, vcc, v3, v17
	v_addc_co_u32_e32 v31, vcc, v2, v4, vcc
	v_cmp_gt_u32_e32 vcc, s33, v0
	s_and_saveexec_b64 s[4:5], vcc
	s_cbranch_execz .LBB1735_169
; %bb.134:
	v_cmp_ge_u32_e32 vcc, v0, v1
                                        ; implicit-def: $vgpr2_vgpr3
	s_and_saveexec_b64 s[6:7], vcc
	s_xor_b64 s[6:7], exec, s[6:7]
; %bb.135:
	v_not_b32_e32 v2, v0
	v_ashrrev_i32_e32 v3, 31, v2
	v_add_co_u32_e32 v2, vcc, v25, v2
	v_addc_co_u32_e32 v3, vcc, v31, v3, vcc
; %bb.136:
	s_andn2_saveexec_b64 s[6:7], s[6:7]
; %bb.137:
	v_add_co_u32_e32 v2, vcc, v17, v0
	v_addc_co_u32_e32 v3, vcc, 0, v4, vcc
; %bb.138:
	s_or_b64 exec, exec, s[6:7]
	v_lshlrev_b64 v[2:3], 2, v[2:3]
	v_mov_b32_e32 v33, s23
	v_add_co_u32_e32 v2, vcc, s22, v2
	v_addc_co_u32_e32 v3, vcc, v33, v3, vcc
	s_waitcnt lgkmcnt(6)
	global_store_dword v[2:3], v15, off
	s_or_b64 exec, exec, s[4:5]
	v_cmp_gt_u32_e32 vcc, s33, v32
	s_and_saveexec_b64 s[4:5], vcc
	s_cbranch_execnz .LBB1735_170
.LBB1735_139:
	s_or_b64 exec, exec, s[4:5]
	v_cmp_gt_u32_e32 vcc, s33, v30
	s_and_saveexec_b64 s[4:5], vcc
	s_cbranch_execz .LBB1735_175
.LBB1735_140:
	v_cmp_ge_u32_e32 vcc, v30, v1
                                        ; implicit-def: $vgpr2_vgpr3
	s_and_saveexec_b64 s[6:7], vcc
	s_xor_b64 s[6:7], exec, s[6:7]
; %bb.141:
	v_xor_b32_e32 v2, 0xfffffdff, v0
	v_ashrrev_i32_e32 v3, 31, v2
	v_add_co_u32_e32 v2, vcc, v25, v2
	v_addc_co_u32_e32 v3, vcc, v31, v3, vcc
                                        ; implicit-def: $vgpr30
; %bb.142:
	s_andn2_saveexec_b64 s[6:7], s[6:7]
; %bb.143:
	v_add_co_u32_e32 v2, vcc, v17, v30
	v_addc_co_u32_e32 v3, vcc, 0, v4, vcc
; %bb.144:
	s_or_b64 exec, exec, s[6:7]
	v_lshlrev_b64 v[2:3], 2, v[2:3]
	s_waitcnt lgkmcnt(6)
	v_mov_b32_e32 v15, s23
	v_add_co_u32_e32 v2, vcc, s22, v2
	v_addc_co_u32_e32 v3, vcc, v15, v3, vcc
	s_waitcnt lgkmcnt(5)
	global_store_dword v[2:3], v13, off
	s_or_b64 exec, exec, s[4:5]
	v_cmp_gt_u32_e32 vcc, s33, v29
	s_and_saveexec_b64 s[4:5], vcc
	s_cbranch_execnz .LBB1735_176
.LBB1735_145:
	s_or_b64 exec, exec, s[4:5]
	v_cmp_gt_u32_e32 vcc, s33, v28
	s_and_saveexec_b64 s[4:5], vcc
	s_cbranch_execz .LBB1735_181
.LBB1735_146:
	v_cmp_ge_u32_e32 vcc, v28, v1
                                        ; implicit-def: $vgpr2_vgpr3
	s_and_saveexec_b64 s[6:7], vcc
	s_xor_b64 s[6:7], exec, s[6:7]
; %bb.147:
	v_xor_b32_e32 v2, 0xfffffbff, v0
	v_ashrrev_i32_e32 v3, 31, v2
	v_add_co_u32_e32 v2, vcc, v25, v2
	v_addc_co_u32_e32 v3, vcc, v31, v3, vcc
                                        ; implicit-def: $vgpr28
; %bb.148:
	s_andn2_saveexec_b64 s[6:7], s[6:7]
; %bb.149:
	v_add_co_u32_e32 v2, vcc, v17, v28
	v_addc_co_u32_e32 v3, vcc, 0, v4, vcc
; %bb.150:
	s_or_b64 exec, exec, s[6:7]
	v_lshlrev_b64 v[2:3], 2, v[2:3]
	s_waitcnt lgkmcnt(5)
	v_mov_b32_e32 v13, s23
	v_add_co_u32_e32 v2, vcc, s22, v2
	v_addc_co_u32_e32 v3, vcc, v13, v3, vcc
	s_waitcnt lgkmcnt(4)
	global_store_dword v[2:3], v11, off
	s_or_b64 exec, exec, s[4:5]
	v_cmp_gt_u32_e32 vcc, s33, v27
	s_and_saveexec_b64 s[4:5], vcc
	s_cbranch_execnz .LBB1735_182
.LBB1735_151:
	s_or_b64 exec, exec, s[4:5]
	v_cmp_gt_u32_e32 vcc, s33, v26
	s_and_saveexec_b64 s[4:5], vcc
	s_cbranch_execz .LBB1735_187
.LBB1735_152:
	v_cmp_ge_u32_e32 vcc, v26, v1
                                        ; implicit-def: $vgpr2_vgpr3
	s_and_saveexec_b64 s[6:7], vcc
	s_xor_b64 s[6:7], exec, s[6:7]
; %bb.153:
	v_xor_b32_e32 v2, 0xfffff9ff, v0
	v_ashrrev_i32_e32 v3, 31, v2
	v_add_co_u32_e32 v2, vcc, v25, v2
	v_addc_co_u32_e32 v3, vcc, v31, v3, vcc
                                        ; implicit-def: $vgpr26
; %bb.154:
	s_andn2_saveexec_b64 s[6:7], s[6:7]
; %bb.155:
	v_add_co_u32_e32 v2, vcc, v17, v26
	v_addc_co_u32_e32 v3, vcc, 0, v4, vcc
; %bb.156:
	s_or_b64 exec, exec, s[6:7]
	v_lshlrev_b64 v[2:3], 2, v[2:3]
	s_waitcnt lgkmcnt(4)
	v_mov_b32_e32 v11, s23
	v_add_co_u32_e32 v2, vcc, s22, v2
	v_addc_co_u32_e32 v3, vcc, v11, v3, vcc
	s_waitcnt lgkmcnt(3)
	global_store_dword v[2:3], v9, off
	s_or_b64 exec, exec, s[4:5]
	v_cmp_gt_u32_e32 vcc, s33, v24
	s_and_saveexec_b64 s[4:5], vcc
	s_cbranch_execnz .LBB1735_188
.LBB1735_157:
	s_or_b64 exec, exec, s[4:5]
	v_cmp_gt_u32_e32 vcc, s33, v23
	s_and_saveexec_b64 s[4:5], vcc
	s_cbranch_execz .LBB1735_193
.LBB1735_158:
	v_cmp_ge_u32_e32 vcc, v23, v1
                                        ; implicit-def: $vgpr2_vgpr3
	s_and_saveexec_b64 s[6:7], vcc
	s_xor_b64 s[6:7], exec, s[6:7]
; %bb.159:
	v_xor_b32_e32 v2, 0xfffff7ff, v0
	v_ashrrev_i32_e32 v3, 31, v2
	v_add_co_u32_e32 v2, vcc, v25, v2
	v_addc_co_u32_e32 v3, vcc, v31, v3, vcc
                                        ; implicit-def: $vgpr23
; %bb.160:
	s_andn2_saveexec_b64 s[6:7], s[6:7]
; %bb.161:
	v_add_co_u32_e32 v2, vcc, v17, v23
	v_addc_co_u32_e32 v3, vcc, 0, v4, vcc
; %bb.162:
	s_or_b64 exec, exec, s[6:7]
	v_lshlrev_b64 v[2:3], 2, v[2:3]
	s_waitcnt lgkmcnt(3)
	v_mov_b32_e32 v9, s23
	v_add_co_u32_e32 v2, vcc, s22, v2
	v_addc_co_u32_e32 v3, vcc, v9, v3, vcc
	s_waitcnt lgkmcnt(2)
	global_store_dword v[2:3], v7, off
	s_or_b64 exec, exec, s[4:5]
	v_cmp_gt_u32_e32 vcc, s33, v22
	s_and_saveexec_b64 s[4:5], vcc
	s_cbranch_execnz .LBB1735_194
.LBB1735_163:
	s_or_b64 exec, exec, s[4:5]
	v_cmp_gt_u32_e32 vcc, s33, v21
	s_and_saveexec_b64 s[4:5], vcc
	s_cbranch_execz .LBB1735_199
.LBB1735_164:
	v_cmp_ge_u32_e32 vcc, v21, v1
                                        ; implicit-def: $vgpr2_vgpr3
	s_and_saveexec_b64 s[6:7], vcc
	s_xor_b64 s[6:7], exec, s[6:7]
; %bb.165:
	v_xor_b32_e32 v2, 0xfffff5ff, v0
	v_ashrrev_i32_e32 v3, 31, v2
	v_add_co_u32_e32 v2, vcc, v25, v2
	v_addc_co_u32_e32 v3, vcc, v31, v3, vcc
                                        ; implicit-def: $vgpr21
; %bb.166:
	s_andn2_saveexec_b64 s[6:7], s[6:7]
; %bb.167:
	v_add_co_u32_e32 v2, vcc, v17, v21
	v_addc_co_u32_e32 v3, vcc, 0, v4, vcc
; %bb.168:
	s_or_b64 exec, exec, s[6:7]
	v_lshlrev_b64 v[2:3], 2, v[2:3]
	s_waitcnt lgkmcnt(2)
	v_mov_b32_e32 v7, s23
	v_add_co_u32_e32 v2, vcc, s22, v2
	v_addc_co_u32_e32 v3, vcc, v7, v3, vcc
	s_waitcnt lgkmcnt(1)
	global_store_dword v[2:3], v5, off
	s_or_b64 exec, exec, s[4:5]
	v_cmp_gt_u32_e32 vcc, s33, v20
	s_and_saveexec_b64 s[4:5], vcc
	s_cbranch_execz .LBB1735_205
	s_branch .LBB1735_200
.LBB1735_169:
	s_or_b64 exec, exec, s[4:5]
	v_cmp_gt_u32_e32 vcc, s33, v32
	s_and_saveexec_b64 s[4:5], vcc
	s_cbranch_execz .LBB1735_139
.LBB1735_170:
	v_cmp_ge_u32_e32 vcc, v32, v1
                                        ; implicit-def: $vgpr2_vgpr3
	s_and_saveexec_b64 s[6:7], vcc
	s_xor_b64 s[6:7], exec, s[6:7]
; %bb.171:
	v_xor_b32_e32 v2, 0xfffffeff, v0
	v_ashrrev_i32_e32 v3, 31, v2
	v_add_co_u32_e32 v2, vcc, v25, v2
	v_addc_co_u32_e32 v3, vcc, v31, v3, vcc
                                        ; implicit-def: $vgpr32
; %bb.172:
	s_andn2_saveexec_b64 s[6:7], s[6:7]
; %bb.173:
	v_add_co_u32_e32 v2, vcc, v17, v32
	v_addc_co_u32_e32 v3, vcc, 0, v4, vcc
; %bb.174:
	s_or_b64 exec, exec, s[6:7]
	v_lshlrev_b64 v[2:3], 2, v[2:3]
	s_waitcnt lgkmcnt(6)
	v_mov_b32_e32 v15, s23
	v_add_co_u32_e32 v2, vcc, s22, v2
	v_addc_co_u32_e32 v3, vcc, v15, v3, vcc
	global_store_dword v[2:3], v16, off
	s_or_b64 exec, exec, s[4:5]
	v_cmp_gt_u32_e32 vcc, s33, v30
	s_and_saveexec_b64 s[4:5], vcc
	s_cbranch_execnz .LBB1735_140
.LBB1735_175:
	s_or_b64 exec, exec, s[4:5]
	v_cmp_gt_u32_e32 vcc, s33, v29
	s_and_saveexec_b64 s[4:5], vcc
	s_cbranch_execz .LBB1735_145
.LBB1735_176:
	v_cmp_ge_u32_e32 vcc, v29, v1
                                        ; implicit-def: $vgpr2_vgpr3
	s_and_saveexec_b64 s[6:7], vcc
	s_xor_b64 s[6:7], exec, s[6:7]
; %bb.177:
	v_xor_b32_e32 v2, 0xfffffcff, v0
	v_ashrrev_i32_e32 v3, 31, v2
	v_add_co_u32_e32 v2, vcc, v25, v2
	v_addc_co_u32_e32 v3, vcc, v31, v3, vcc
                                        ; implicit-def: $vgpr29
; %bb.178:
	s_andn2_saveexec_b64 s[6:7], s[6:7]
; %bb.179:
	v_add_co_u32_e32 v2, vcc, v17, v29
	v_addc_co_u32_e32 v3, vcc, 0, v4, vcc
; %bb.180:
	s_or_b64 exec, exec, s[6:7]
	v_lshlrev_b64 v[2:3], 2, v[2:3]
	s_waitcnt lgkmcnt(5)
	v_mov_b32_e32 v13, s23
	v_add_co_u32_e32 v2, vcc, s22, v2
	v_addc_co_u32_e32 v3, vcc, v13, v3, vcc
	global_store_dword v[2:3], v14, off
	s_or_b64 exec, exec, s[4:5]
	v_cmp_gt_u32_e32 vcc, s33, v28
	s_and_saveexec_b64 s[4:5], vcc
	s_cbranch_execnz .LBB1735_146
.LBB1735_181:
	s_or_b64 exec, exec, s[4:5]
	v_cmp_gt_u32_e32 vcc, s33, v27
	s_and_saveexec_b64 s[4:5], vcc
	s_cbranch_execz .LBB1735_151
.LBB1735_182:
	v_cmp_ge_u32_e32 vcc, v27, v1
                                        ; implicit-def: $vgpr2_vgpr3
	s_and_saveexec_b64 s[6:7], vcc
	s_xor_b64 s[6:7], exec, s[6:7]
; %bb.183:
	v_xor_b32_e32 v2, 0xfffffaff, v0
	v_ashrrev_i32_e32 v3, 31, v2
	v_add_co_u32_e32 v2, vcc, v25, v2
	v_addc_co_u32_e32 v3, vcc, v31, v3, vcc
                                        ; implicit-def: $vgpr27
; %bb.184:
	s_andn2_saveexec_b64 s[6:7], s[6:7]
; %bb.185:
	v_add_co_u32_e32 v2, vcc, v17, v27
	v_addc_co_u32_e32 v3, vcc, 0, v4, vcc
; %bb.186:
	s_or_b64 exec, exec, s[6:7]
	v_lshlrev_b64 v[2:3], 2, v[2:3]
	s_waitcnt lgkmcnt(4)
	v_mov_b32_e32 v11, s23
	v_add_co_u32_e32 v2, vcc, s22, v2
	v_addc_co_u32_e32 v3, vcc, v11, v3, vcc
	global_store_dword v[2:3], v12, off
	s_or_b64 exec, exec, s[4:5]
	v_cmp_gt_u32_e32 vcc, s33, v26
	s_and_saveexec_b64 s[4:5], vcc
	s_cbranch_execnz .LBB1735_152
.LBB1735_187:
	s_or_b64 exec, exec, s[4:5]
	v_cmp_gt_u32_e32 vcc, s33, v24
	s_and_saveexec_b64 s[4:5], vcc
	s_cbranch_execz .LBB1735_157
.LBB1735_188:
	v_cmp_ge_u32_e32 vcc, v24, v1
                                        ; implicit-def: $vgpr2_vgpr3
	s_and_saveexec_b64 s[6:7], vcc
	s_xor_b64 s[6:7], exec, s[6:7]
; %bb.189:
	v_xor_b32_e32 v2, 0xfffff8ff, v0
	v_ashrrev_i32_e32 v3, 31, v2
	v_add_co_u32_e32 v2, vcc, v25, v2
	v_addc_co_u32_e32 v3, vcc, v31, v3, vcc
                                        ; implicit-def: $vgpr24
; %bb.190:
	s_andn2_saveexec_b64 s[6:7], s[6:7]
; %bb.191:
	v_add_co_u32_e32 v2, vcc, v17, v24
	v_addc_co_u32_e32 v3, vcc, 0, v4, vcc
; %bb.192:
	s_or_b64 exec, exec, s[6:7]
	v_lshlrev_b64 v[2:3], 2, v[2:3]
	s_waitcnt lgkmcnt(3)
	v_mov_b32_e32 v9, s23
	v_add_co_u32_e32 v2, vcc, s22, v2
	v_addc_co_u32_e32 v3, vcc, v9, v3, vcc
	global_store_dword v[2:3], v10, off
	s_or_b64 exec, exec, s[4:5]
	v_cmp_gt_u32_e32 vcc, s33, v23
	s_and_saveexec_b64 s[4:5], vcc
	s_cbranch_execnz .LBB1735_158
.LBB1735_193:
	s_or_b64 exec, exec, s[4:5]
	v_cmp_gt_u32_e32 vcc, s33, v22
	s_and_saveexec_b64 s[4:5], vcc
	s_cbranch_execz .LBB1735_163
.LBB1735_194:
	v_cmp_ge_u32_e32 vcc, v22, v1
                                        ; implicit-def: $vgpr2_vgpr3
	s_and_saveexec_b64 s[6:7], vcc
	s_xor_b64 s[6:7], exec, s[6:7]
; %bb.195:
	v_xor_b32_e32 v2, 0xfffff6ff, v0
	v_ashrrev_i32_e32 v3, 31, v2
	v_add_co_u32_e32 v2, vcc, v25, v2
	v_addc_co_u32_e32 v3, vcc, v31, v3, vcc
                                        ; implicit-def: $vgpr22
; %bb.196:
	s_andn2_saveexec_b64 s[6:7], s[6:7]
; %bb.197:
	v_add_co_u32_e32 v2, vcc, v17, v22
	v_addc_co_u32_e32 v3, vcc, 0, v4, vcc
; %bb.198:
	s_or_b64 exec, exec, s[6:7]
	v_lshlrev_b64 v[2:3], 2, v[2:3]
	s_waitcnt lgkmcnt(2)
	v_mov_b32_e32 v7, s23
	v_add_co_u32_e32 v2, vcc, s22, v2
	v_addc_co_u32_e32 v3, vcc, v7, v3, vcc
	global_store_dword v[2:3], v8, off
	s_or_b64 exec, exec, s[4:5]
	v_cmp_gt_u32_e32 vcc, s33, v21
	s_and_saveexec_b64 s[4:5], vcc
	s_cbranch_execnz .LBB1735_164
.LBB1735_199:
	s_or_b64 exec, exec, s[4:5]
	v_cmp_gt_u32_e32 vcc, s33, v20
	s_and_saveexec_b64 s[4:5], vcc
	s_cbranch_execz .LBB1735_205
.LBB1735_200:
	v_cmp_ge_u32_e32 vcc, v20, v1
                                        ; implicit-def: $vgpr2_vgpr3
	s_and_saveexec_b64 s[6:7], vcc
	s_xor_b64 s[6:7], exec, s[6:7]
; %bb.201:
	v_xor_b32_e32 v2, 0xfffff4ff, v0
	v_ashrrev_i32_e32 v3, 31, v2
	v_add_co_u32_e32 v2, vcc, v25, v2
	v_addc_co_u32_e32 v3, vcc, v31, v3, vcc
                                        ; implicit-def: $vgpr20
; %bb.202:
	s_andn2_saveexec_b64 s[6:7], s[6:7]
; %bb.203:
	v_add_co_u32_e32 v2, vcc, v17, v20
	v_addc_co_u32_e32 v3, vcc, 0, v4, vcc
; %bb.204:
	s_or_b64 exec, exec, s[6:7]
	v_lshlrev_b64 v[2:3], 2, v[2:3]
	s_waitcnt lgkmcnt(1)
	v_mov_b32_e32 v5, s23
	v_add_co_u32_e32 v2, vcc, s22, v2
	v_addc_co_u32_e32 v3, vcc, v5, v3, vcc
	global_store_dword v[2:3], v6, off
.LBB1735_205:
	s_or_b64 exec, exec, s[4:5]
	v_cmp_gt_u32_e32 vcc, s33, v19
                                        ; implicit-def: $vgpr2_vgpr3
	s_and_saveexec_b64 s[4:5], vcc
	s_cbranch_execz .LBB1735_211
; %bb.206:
	v_cmp_ge_u32_e32 vcc, v19, v1
                                        ; implicit-def: $vgpr2_vgpr3
	s_and_saveexec_b64 s[6:7], vcc
	s_xor_b64 s[6:7], exec, s[6:7]
; %bb.207:
	v_xor_b32_e32 v0, 0xfffff3ff, v0
	v_ashrrev_i32_e32 v3, 31, v0
	v_add_co_u32_e32 v2, vcc, v25, v0
	v_addc_co_u32_e32 v3, vcc, v31, v3, vcc
                                        ; implicit-def: $vgpr19
; %bb.208:
	s_andn2_saveexec_b64 s[6:7], s[6:7]
; %bb.209:
	v_add_co_u32_e32 v2, vcc, v17, v19
	v_addc_co_u32_e32 v3, vcc, 0, v4, vcc
; %bb.210:
	s_or_b64 exec, exec, s[6:7]
	s_or_b64 s[2:3], s[2:3], exec
.LBB1735_211:
	s_or_b64 exec, exec, s[4:5]
	s_and_saveexec_b64 s[4:5], s[2:3]
	s_cbranch_execnz .LBB1735_130
.LBB1735_212:
	s_or_b64 exec, exec, s[4:5]
	s_and_b64 s[0:1], s[0:1], s[26:27]
	s_and_saveexec_b64 s[2:3], s[0:1]
	s_cbranch_execz .LBB1735_131
.LBB1735_213:
	v_add_co_u32_e32 v0, vcc, v17, v1
	v_mov_b32_e32 v2, 0
	v_addc_co_u32_e32 v1, vcc, 0, v4, vcc
	global_store_dwordx2 v2, v[0:1], s[24:25]
	s_endpgm
	.section	.rodata,"a",@progbits
	.p2align	6, 0x0
	.amdhsa_kernel _ZN7rocprim17ROCPRIM_400000_NS6detail17trampoline_kernelINS0_13select_configILj256ELj13ELNS0_17block_load_methodE3ELS4_3ELS4_3ELNS0_20block_scan_algorithmE0ELj4294967295EEENS1_25partition_config_selectorILNS1_17partition_subalgoE3EjNS0_10empty_typeEbEEZZNS1_14partition_implILS8_3ELb0ES6_jNS0_17counting_iteratorIjlEEPS9_SE_NS0_5tupleIJPjSE_EEENSF_IJSE_SE_EEES9_SG_JZNS1_25segmented_radix_sort_implINS0_14default_configELb1EPK6__halfPSL_PKlPlN2at6native12_GLOBAL__N_18offset_tEEE10hipError_tPvRmT1_PNSt15iterator_traitsISZ_E10value_typeET2_T3_PNS10_IS15_E10value_typeET4_jRbjT5_S1B_jjP12ihipStream_tbEUljE_EEESW_SX_SY_S15_S19_S1B_T6_T7_T9_mT8_S1D_bDpT10_ENKUlT_T0_E_clISt17integral_constantIbLb0EES1P_IbLb1EEEEDaS1L_S1M_EUlS1L_E_NS1_11comp_targetILNS1_3genE2ELNS1_11target_archE906ELNS1_3gpuE6ELNS1_3repE0EEENS1_30default_config_static_selectorELNS0_4arch9wavefront6targetE1EEEvSZ_
		.amdhsa_group_segment_fixed_size 13320
		.amdhsa_private_segment_fixed_size 0
		.amdhsa_kernarg_size 152
		.amdhsa_user_sgpr_count 6
		.amdhsa_user_sgpr_private_segment_buffer 1
		.amdhsa_user_sgpr_dispatch_ptr 0
		.amdhsa_user_sgpr_queue_ptr 0
		.amdhsa_user_sgpr_kernarg_segment_ptr 1
		.amdhsa_user_sgpr_dispatch_id 0
		.amdhsa_user_sgpr_flat_scratch_init 0
		.amdhsa_user_sgpr_private_segment_size 0
		.amdhsa_uses_dynamic_stack 0
		.amdhsa_system_sgpr_private_segment_wavefront_offset 0
		.amdhsa_system_sgpr_workgroup_id_x 1
		.amdhsa_system_sgpr_workgroup_id_y 0
		.amdhsa_system_sgpr_workgroup_id_z 0
		.amdhsa_system_sgpr_workgroup_info 0
		.amdhsa_system_vgpr_workitem_id 0
		.amdhsa_next_free_vgpr 71
		.amdhsa_next_free_sgpr 98
		.amdhsa_reserve_vcc 1
		.amdhsa_reserve_flat_scratch 0
		.amdhsa_float_round_mode_32 0
		.amdhsa_float_round_mode_16_64 0
		.amdhsa_float_denorm_mode_32 3
		.amdhsa_float_denorm_mode_16_64 3
		.amdhsa_dx10_clamp 1
		.amdhsa_ieee_mode 1
		.amdhsa_fp16_overflow 0
		.amdhsa_exception_fp_ieee_invalid_op 0
		.amdhsa_exception_fp_denorm_src 0
		.amdhsa_exception_fp_ieee_div_zero 0
		.amdhsa_exception_fp_ieee_overflow 0
		.amdhsa_exception_fp_ieee_underflow 0
		.amdhsa_exception_fp_ieee_inexact 0
		.amdhsa_exception_int_div_zero 0
	.end_amdhsa_kernel
	.section	.text._ZN7rocprim17ROCPRIM_400000_NS6detail17trampoline_kernelINS0_13select_configILj256ELj13ELNS0_17block_load_methodE3ELS4_3ELS4_3ELNS0_20block_scan_algorithmE0ELj4294967295EEENS1_25partition_config_selectorILNS1_17partition_subalgoE3EjNS0_10empty_typeEbEEZZNS1_14partition_implILS8_3ELb0ES6_jNS0_17counting_iteratorIjlEEPS9_SE_NS0_5tupleIJPjSE_EEENSF_IJSE_SE_EEES9_SG_JZNS1_25segmented_radix_sort_implINS0_14default_configELb1EPK6__halfPSL_PKlPlN2at6native12_GLOBAL__N_18offset_tEEE10hipError_tPvRmT1_PNSt15iterator_traitsISZ_E10value_typeET2_T3_PNS10_IS15_E10value_typeET4_jRbjT5_S1B_jjP12ihipStream_tbEUljE_EEESW_SX_SY_S15_S19_S1B_T6_T7_T9_mT8_S1D_bDpT10_ENKUlT_T0_E_clISt17integral_constantIbLb0EES1P_IbLb1EEEEDaS1L_S1M_EUlS1L_E_NS1_11comp_targetILNS1_3genE2ELNS1_11target_archE906ELNS1_3gpuE6ELNS1_3repE0EEENS1_30default_config_static_selectorELNS0_4arch9wavefront6targetE1EEEvSZ_,"axG",@progbits,_ZN7rocprim17ROCPRIM_400000_NS6detail17trampoline_kernelINS0_13select_configILj256ELj13ELNS0_17block_load_methodE3ELS4_3ELS4_3ELNS0_20block_scan_algorithmE0ELj4294967295EEENS1_25partition_config_selectorILNS1_17partition_subalgoE3EjNS0_10empty_typeEbEEZZNS1_14partition_implILS8_3ELb0ES6_jNS0_17counting_iteratorIjlEEPS9_SE_NS0_5tupleIJPjSE_EEENSF_IJSE_SE_EEES9_SG_JZNS1_25segmented_radix_sort_implINS0_14default_configELb1EPK6__halfPSL_PKlPlN2at6native12_GLOBAL__N_18offset_tEEE10hipError_tPvRmT1_PNSt15iterator_traitsISZ_E10value_typeET2_T3_PNS10_IS15_E10value_typeET4_jRbjT5_S1B_jjP12ihipStream_tbEUljE_EEESW_SX_SY_S15_S19_S1B_T6_T7_T9_mT8_S1D_bDpT10_ENKUlT_T0_E_clISt17integral_constantIbLb0EES1P_IbLb1EEEEDaS1L_S1M_EUlS1L_E_NS1_11comp_targetILNS1_3genE2ELNS1_11target_archE906ELNS1_3gpuE6ELNS1_3repE0EEENS1_30default_config_static_selectorELNS0_4arch9wavefront6targetE1EEEvSZ_,comdat
.Lfunc_end1735:
	.size	_ZN7rocprim17ROCPRIM_400000_NS6detail17trampoline_kernelINS0_13select_configILj256ELj13ELNS0_17block_load_methodE3ELS4_3ELS4_3ELNS0_20block_scan_algorithmE0ELj4294967295EEENS1_25partition_config_selectorILNS1_17partition_subalgoE3EjNS0_10empty_typeEbEEZZNS1_14partition_implILS8_3ELb0ES6_jNS0_17counting_iteratorIjlEEPS9_SE_NS0_5tupleIJPjSE_EEENSF_IJSE_SE_EEES9_SG_JZNS1_25segmented_radix_sort_implINS0_14default_configELb1EPK6__halfPSL_PKlPlN2at6native12_GLOBAL__N_18offset_tEEE10hipError_tPvRmT1_PNSt15iterator_traitsISZ_E10value_typeET2_T3_PNS10_IS15_E10value_typeET4_jRbjT5_S1B_jjP12ihipStream_tbEUljE_EEESW_SX_SY_S15_S19_S1B_T6_T7_T9_mT8_S1D_bDpT10_ENKUlT_T0_E_clISt17integral_constantIbLb0EES1P_IbLb1EEEEDaS1L_S1M_EUlS1L_E_NS1_11comp_targetILNS1_3genE2ELNS1_11target_archE906ELNS1_3gpuE6ELNS1_3repE0EEENS1_30default_config_static_selectorELNS0_4arch9wavefront6targetE1EEEvSZ_, .Lfunc_end1735-_ZN7rocprim17ROCPRIM_400000_NS6detail17trampoline_kernelINS0_13select_configILj256ELj13ELNS0_17block_load_methodE3ELS4_3ELS4_3ELNS0_20block_scan_algorithmE0ELj4294967295EEENS1_25partition_config_selectorILNS1_17partition_subalgoE3EjNS0_10empty_typeEbEEZZNS1_14partition_implILS8_3ELb0ES6_jNS0_17counting_iteratorIjlEEPS9_SE_NS0_5tupleIJPjSE_EEENSF_IJSE_SE_EEES9_SG_JZNS1_25segmented_radix_sort_implINS0_14default_configELb1EPK6__halfPSL_PKlPlN2at6native12_GLOBAL__N_18offset_tEEE10hipError_tPvRmT1_PNSt15iterator_traitsISZ_E10value_typeET2_T3_PNS10_IS15_E10value_typeET4_jRbjT5_S1B_jjP12ihipStream_tbEUljE_EEESW_SX_SY_S15_S19_S1B_T6_T7_T9_mT8_S1D_bDpT10_ENKUlT_T0_E_clISt17integral_constantIbLb0EES1P_IbLb1EEEEDaS1L_S1M_EUlS1L_E_NS1_11comp_targetILNS1_3genE2ELNS1_11target_archE906ELNS1_3gpuE6ELNS1_3repE0EEENS1_30default_config_static_selectorELNS0_4arch9wavefront6targetE1EEEvSZ_
                                        ; -- End function
	.set _ZN7rocprim17ROCPRIM_400000_NS6detail17trampoline_kernelINS0_13select_configILj256ELj13ELNS0_17block_load_methodE3ELS4_3ELS4_3ELNS0_20block_scan_algorithmE0ELj4294967295EEENS1_25partition_config_selectorILNS1_17partition_subalgoE3EjNS0_10empty_typeEbEEZZNS1_14partition_implILS8_3ELb0ES6_jNS0_17counting_iteratorIjlEEPS9_SE_NS0_5tupleIJPjSE_EEENSF_IJSE_SE_EEES9_SG_JZNS1_25segmented_radix_sort_implINS0_14default_configELb1EPK6__halfPSL_PKlPlN2at6native12_GLOBAL__N_18offset_tEEE10hipError_tPvRmT1_PNSt15iterator_traitsISZ_E10value_typeET2_T3_PNS10_IS15_E10value_typeET4_jRbjT5_S1B_jjP12ihipStream_tbEUljE_EEESW_SX_SY_S15_S19_S1B_T6_T7_T9_mT8_S1D_bDpT10_ENKUlT_T0_E_clISt17integral_constantIbLb0EES1P_IbLb1EEEEDaS1L_S1M_EUlS1L_E_NS1_11comp_targetILNS1_3genE2ELNS1_11target_archE906ELNS1_3gpuE6ELNS1_3repE0EEENS1_30default_config_static_selectorELNS0_4arch9wavefront6targetE1EEEvSZ_.num_vgpr, 71
	.set _ZN7rocprim17ROCPRIM_400000_NS6detail17trampoline_kernelINS0_13select_configILj256ELj13ELNS0_17block_load_methodE3ELS4_3ELS4_3ELNS0_20block_scan_algorithmE0ELj4294967295EEENS1_25partition_config_selectorILNS1_17partition_subalgoE3EjNS0_10empty_typeEbEEZZNS1_14partition_implILS8_3ELb0ES6_jNS0_17counting_iteratorIjlEEPS9_SE_NS0_5tupleIJPjSE_EEENSF_IJSE_SE_EEES9_SG_JZNS1_25segmented_radix_sort_implINS0_14default_configELb1EPK6__halfPSL_PKlPlN2at6native12_GLOBAL__N_18offset_tEEE10hipError_tPvRmT1_PNSt15iterator_traitsISZ_E10value_typeET2_T3_PNS10_IS15_E10value_typeET4_jRbjT5_S1B_jjP12ihipStream_tbEUljE_EEESW_SX_SY_S15_S19_S1B_T6_T7_T9_mT8_S1D_bDpT10_ENKUlT_T0_E_clISt17integral_constantIbLb0EES1P_IbLb1EEEEDaS1L_S1M_EUlS1L_E_NS1_11comp_targetILNS1_3genE2ELNS1_11target_archE906ELNS1_3gpuE6ELNS1_3repE0EEENS1_30default_config_static_selectorELNS0_4arch9wavefront6targetE1EEEvSZ_.num_agpr, 0
	.set _ZN7rocprim17ROCPRIM_400000_NS6detail17trampoline_kernelINS0_13select_configILj256ELj13ELNS0_17block_load_methodE3ELS4_3ELS4_3ELNS0_20block_scan_algorithmE0ELj4294967295EEENS1_25partition_config_selectorILNS1_17partition_subalgoE3EjNS0_10empty_typeEbEEZZNS1_14partition_implILS8_3ELb0ES6_jNS0_17counting_iteratorIjlEEPS9_SE_NS0_5tupleIJPjSE_EEENSF_IJSE_SE_EEES9_SG_JZNS1_25segmented_radix_sort_implINS0_14default_configELb1EPK6__halfPSL_PKlPlN2at6native12_GLOBAL__N_18offset_tEEE10hipError_tPvRmT1_PNSt15iterator_traitsISZ_E10value_typeET2_T3_PNS10_IS15_E10value_typeET4_jRbjT5_S1B_jjP12ihipStream_tbEUljE_EEESW_SX_SY_S15_S19_S1B_T6_T7_T9_mT8_S1D_bDpT10_ENKUlT_T0_E_clISt17integral_constantIbLb0EES1P_IbLb1EEEEDaS1L_S1M_EUlS1L_E_NS1_11comp_targetILNS1_3genE2ELNS1_11target_archE906ELNS1_3gpuE6ELNS1_3repE0EEENS1_30default_config_static_selectorELNS0_4arch9wavefront6targetE1EEEvSZ_.numbered_sgpr, 46
	.set _ZN7rocprim17ROCPRIM_400000_NS6detail17trampoline_kernelINS0_13select_configILj256ELj13ELNS0_17block_load_methodE3ELS4_3ELS4_3ELNS0_20block_scan_algorithmE0ELj4294967295EEENS1_25partition_config_selectorILNS1_17partition_subalgoE3EjNS0_10empty_typeEbEEZZNS1_14partition_implILS8_3ELb0ES6_jNS0_17counting_iteratorIjlEEPS9_SE_NS0_5tupleIJPjSE_EEENSF_IJSE_SE_EEES9_SG_JZNS1_25segmented_radix_sort_implINS0_14default_configELb1EPK6__halfPSL_PKlPlN2at6native12_GLOBAL__N_18offset_tEEE10hipError_tPvRmT1_PNSt15iterator_traitsISZ_E10value_typeET2_T3_PNS10_IS15_E10value_typeET4_jRbjT5_S1B_jjP12ihipStream_tbEUljE_EEESW_SX_SY_S15_S19_S1B_T6_T7_T9_mT8_S1D_bDpT10_ENKUlT_T0_E_clISt17integral_constantIbLb0EES1P_IbLb1EEEEDaS1L_S1M_EUlS1L_E_NS1_11comp_targetILNS1_3genE2ELNS1_11target_archE906ELNS1_3gpuE6ELNS1_3repE0EEENS1_30default_config_static_selectorELNS0_4arch9wavefront6targetE1EEEvSZ_.num_named_barrier, 0
	.set _ZN7rocprim17ROCPRIM_400000_NS6detail17trampoline_kernelINS0_13select_configILj256ELj13ELNS0_17block_load_methodE3ELS4_3ELS4_3ELNS0_20block_scan_algorithmE0ELj4294967295EEENS1_25partition_config_selectorILNS1_17partition_subalgoE3EjNS0_10empty_typeEbEEZZNS1_14partition_implILS8_3ELb0ES6_jNS0_17counting_iteratorIjlEEPS9_SE_NS0_5tupleIJPjSE_EEENSF_IJSE_SE_EEES9_SG_JZNS1_25segmented_radix_sort_implINS0_14default_configELb1EPK6__halfPSL_PKlPlN2at6native12_GLOBAL__N_18offset_tEEE10hipError_tPvRmT1_PNSt15iterator_traitsISZ_E10value_typeET2_T3_PNS10_IS15_E10value_typeET4_jRbjT5_S1B_jjP12ihipStream_tbEUljE_EEESW_SX_SY_S15_S19_S1B_T6_T7_T9_mT8_S1D_bDpT10_ENKUlT_T0_E_clISt17integral_constantIbLb0EES1P_IbLb1EEEEDaS1L_S1M_EUlS1L_E_NS1_11comp_targetILNS1_3genE2ELNS1_11target_archE906ELNS1_3gpuE6ELNS1_3repE0EEENS1_30default_config_static_selectorELNS0_4arch9wavefront6targetE1EEEvSZ_.private_seg_size, 0
	.set _ZN7rocprim17ROCPRIM_400000_NS6detail17trampoline_kernelINS0_13select_configILj256ELj13ELNS0_17block_load_methodE3ELS4_3ELS4_3ELNS0_20block_scan_algorithmE0ELj4294967295EEENS1_25partition_config_selectorILNS1_17partition_subalgoE3EjNS0_10empty_typeEbEEZZNS1_14partition_implILS8_3ELb0ES6_jNS0_17counting_iteratorIjlEEPS9_SE_NS0_5tupleIJPjSE_EEENSF_IJSE_SE_EEES9_SG_JZNS1_25segmented_radix_sort_implINS0_14default_configELb1EPK6__halfPSL_PKlPlN2at6native12_GLOBAL__N_18offset_tEEE10hipError_tPvRmT1_PNSt15iterator_traitsISZ_E10value_typeET2_T3_PNS10_IS15_E10value_typeET4_jRbjT5_S1B_jjP12ihipStream_tbEUljE_EEESW_SX_SY_S15_S19_S1B_T6_T7_T9_mT8_S1D_bDpT10_ENKUlT_T0_E_clISt17integral_constantIbLb0EES1P_IbLb1EEEEDaS1L_S1M_EUlS1L_E_NS1_11comp_targetILNS1_3genE2ELNS1_11target_archE906ELNS1_3gpuE6ELNS1_3repE0EEENS1_30default_config_static_selectorELNS0_4arch9wavefront6targetE1EEEvSZ_.uses_vcc, 1
	.set _ZN7rocprim17ROCPRIM_400000_NS6detail17trampoline_kernelINS0_13select_configILj256ELj13ELNS0_17block_load_methodE3ELS4_3ELS4_3ELNS0_20block_scan_algorithmE0ELj4294967295EEENS1_25partition_config_selectorILNS1_17partition_subalgoE3EjNS0_10empty_typeEbEEZZNS1_14partition_implILS8_3ELb0ES6_jNS0_17counting_iteratorIjlEEPS9_SE_NS0_5tupleIJPjSE_EEENSF_IJSE_SE_EEES9_SG_JZNS1_25segmented_radix_sort_implINS0_14default_configELb1EPK6__halfPSL_PKlPlN2at6native12_GLOBAL__N_18offset_tEEE10hipError_tPvRmT1_PNSt15iterator_traitsISZ_E10value_typeET2_T3_PNS10_IS15_E10value_typeET4_jRbjT5_S1B_jjP12ihipStream_tbEUljE_EEESW_SX_SY_S15_S19_S1B_T6_T7_T9_mT8_S1D_bDpT10_ENKUlT_T0_E_clISt17integral_constantIbLb0EES1P_IbLb1EEEEDaS1L_S1M_EUlS1L_E_NS1_11comp_targetILNS1_3genE2ELNS1_11target_archE906ELNS1_3gpuE6ELNS1_3repE0EEENS1_30default_config_static_selectorELNS0_4arch9wavefront6targetE1EEEvSZ_.uses_flat_scratch, 0
	.set _ZN7rocprim17ROCPRIM_400000_NS6detail17trampoline_kernelINS0_13select_configILj256ELj13ELNS0_17block_load_methodE3ELS4_3ELS4_3ELNS0_20block_scan_algorithmE0ELj4294967295EEENS1_25partition_config_selectorILNS1_17partition_subalgoE3EjNS0_10empty_typeEbEEZZNS1_14partition_implILS8_3ELb0ES6_jNS0_17counting_iteratorIjlEEPS9_SE_NS0_5tupleIJPjSE_EEENSF_IJSE_SE_EEES9_SG_JZNS1_25segmented_radix_sort_implINS0_14default_configELb1EPK6__halfPSL_PKlPlN2at6native12_GLOBAL__N_18offset_tEEE10hipError_tPvRmT1_PNSt15iterator_traitsISZ_E10value_typeET2_T3_PNS10_IS15_E10value_typeET4_jRbjT5_S1B_jjP12ihipStream_tbEUljE_EEESW_SX_SY_S15_S19_S1B_T6_T7_T9_mT8_S1D_bDpT10_ENKUlT_T0_E_clISt17integral_constantIbLb0EES1P_IbLb1EEEEDaS1L_S1M_EUlS1L_E_NS1_11comp_targetILNS1_3genE2ELNS1_11target_archE906ELNS1_3gpuE6ELNS1_3repE0EEENS1_30default_config_static_selectorELNS0_4arch9wavefront6targetE1EEEvSZ_.has_dyn_sized_stack, 0
	.set _ZN7rocprim17ROCPRIM_400000_NS6detail17trampoline_kernelINS0_13select_configILj256ELj13ELNS0_17block_load_methodE3ELS4_3ELS4_3ELNS0_20block_scan_algorithmE0ELj4294967295EEENS1_25partition_config_selectorILNS1_17partition_subalgoE3EjNS0_10empty_typeEbEEZZNS1_14partition_implILS8_3ELb0ES6_jNS0_17counting_iteratorIjlEEPS9_SE_NS0_5tupleIJPjSE_EEENSF_IJSE_SE_EEES9_SG_JZNS1_25segmented_radix_sort_implINS0_14default_configELb1EPK6__halfPSL_PKlPlN2at6native12_GLOBAL__N_18offset_tEEE10hipError_tPvRmT1_PNSt15iterator_traitsISZ_E10value_typeET2_T3_PNS10_IS15_E10value_typeET4_jRbjT5_S1B_jjP12ihipStream_tbEUljE_EEESW_SX_SY_S15_S19_S1B_T6_T7_T9_mT8_S1D_bDpT10_ENKUlT_T0_E_clISt17integral_constantIbLb0EES1P_IbLb1EEEEDaS1L_S1M_EUlS1L_E_NS1_11comp_targetILNS1_3genE2ELNS1_11target_archE906ELNS1_3gpuE6ELNS1_3repE0EEENS1_30default_config_static_selectorELNS0_4arch9wavefront6targetE1EEEvSZ_.has_recursion, 0
	.set _ZN7rocprim17ROCPRIM_400000_NS6detail17trampoline_kernelINS0_13select_configILj256ELj13ELNS0_17block_load_methodE3ELS4_3ELS4_3ELNS0_20block_scan_algorithmE0ELj4294967295EEENS1_25partition_config_selectorILNS1_17partition_subalgoE3EjNS0_10empty_typeEbEEZZNS1_14partition_implILS8_3ELb0ES6_jNS0_17counting_iteratorIjlEEPS9_SE_NS0_5tupleIJPjSE_EEENSF_IJSE_SE_EEES9_SG_JZNS1_25segmented_radix_sort_implINS0_14default_configELb1EPK6__halfPSL_PKlPlN2at6native12_GLOBAL__N_18offset_tEEE10hipError_tPvRmT1_PNSt15iterator_traitsISZ_E10value_typeET2_T3_PNS10_IS15_E10value_typeET4_jRbjT5_S1B_jjP12ihipStream_tbEUljE_EEESW_SX_SY_S15_S19_S1B_T6_T7_T9_mT8_S1D_bDpT10_ENKUlT_T0_E_clISt17integral_constantIbLb0EES1P_IbLb1EEEEDaS1L_S1M_EUlS1L_E_NS1_11comp_targetILNS1_3genE2ELNS1_11target_archE906ELNS1_3gpuE6ELNS1_3repE0EEENS1_30default_config_static_selectorELNS0_4arch9wavefront6targetE1EEEvSZ_.has_indirect_call, 0
	.section	.AMDGPU.csdata,"",@progbits
; Kernel info:
; codeLenInByte = 7548
; TotalNumSgprs: 50
; NumVgprs: 71
; ScratchSize: 0
; MemoryBound: 0
; FloatMode: 240
; IeeeMode: 1
; LDSByteSize: 13320 bytes/workgroup (compile time only)
; SGPRBlocks: 12
; VGPRBlocks: 17
; NumSGPRsForWavesPerEU: 102
; NumVGPRsForWavesPerEU: 71
; Occupancy: 3
; WaveLimiterHint : 0
; COMPUTE_PGM_RSRC2:SCRATCH_EN: 0
; COMPUTE_PGM_RSRC2:USER_SGPR: 6
; COMPUTE_PGM_RSRC2:TRAP_HANDLER: 0
; COMPUTE_PGM_RSRC2:TGID_X_EN: 1
; COMPUTE_PGM_RSRC2:TGID_Y_EN: 0
; COMPUTE_PGM_RSRC2:TGID_Z_EN: 0
; COMPUTE_PGM_RSRC2:TIDIG_COMP_CNT: 0
	.section	.text._ZN7rocprim17ROCPRIM_400000_NS6detail17trampoline_kernelINS0_13select_configILj256ELj13ELNS0_17block_load_methodE3ELS4_3ELS4_3ELNS0_20block_scan_algorithmE0ELj4294967295EEENS1_25partition_config_selectorILNS1_17partition_subalgoE3EjNS0_10empty_typeEbEEZZNS1_14partition_implILS8_3ELb0ES6_jNS0_17counting_iteratorIjlEEPS9_SE_NS0_5tupleIJPjSE_EEENSF_IJSE_SE_EEES9_SG_JZNS1_25segmented_radix_sort_implINS0_14default_configELb1EPK6__halfPSL_PKlPlN2at6native12_GLOBAL__N_18offset_tEEE10hipError_tPvRmT1_PNSt15iterator_traitsISZ_E10value_typeET2_T3_PNS10_IS15_E10value_typeET4_jRbjT5_S1B_jjP12ihipStream_tbEUljE_EEESW_SX_SY_S15_S19_S1B_T6_T7_T9_mT8_S1D_bDpT10_ENKUlT_T0_E_clISt17integral_constantIbLb0EES1P_IbLb1EEEEDaS1L_S1M_EUlS1L_E_NS1_11comp_targetILNS1_3genE10ELNS1_11target_archE1200ELNS1_3gpuE4ELNS1_3repE0EEENS1_30default_config_static_selectorELNS0_4arch9wavefront6targetE1EEEvSZ_,"axG",@progbits,_ZN7rocprim17ROCPRIM_400000_NS6detail17trampoline_kernelINS0_13select_configILj256ELj13ELNS0_17block_load_methodE3ELS4_3ELS4_3ELNS0_20block_scan_algorithmE0ELj4294967295EEENS1_25partition_config_selectorILNS1_17partition_subalgoE3EjNS0_10empty_typeEbEEZZNS1_14partition_implILS8_3ELb0ES6_jNS0_17counting_iteratorIjlEEPS9_SE_NS0_5tupleIJPjSE_EEENSF_IJSE_SE_EEES9_SG_JZNS1_25segmented_radix_sort_implINS0_14default_configELb1EPK6__halfPSL_PKlPlN2at6native12_GLOBAL__N_18offset_tEEE10hipError_tPvRmT1_PNSt15iterator_traitsISZ_E10value_typeET2_T3_PNS10_IS15_E10value_typeET4_jRbjT5_S1B_jjP12ihipStream_tbEUljE_EEESW_SX_SY_S15_S19_S1B_T6_T7_T9_mT8_S1D_bDpT10_ENKUlT_T0_E_clISt17integral_constantIbLb0EES1P_IbLb1EEEEDaS1L_S1M_EUlS1L_E_NS1_11comp_targetILNS1_3genE10ELNS1_11target_archE1200ELNS1_3gpuE4ELNS1_3repE0EEENS1_30default_config_static_selectorELNS0_4arch9wavefront6targetE1EEEvSZ_,comdat
	.globl	_ZN7rocprim17ROCPRIM_400000_NS6detail17trampoline_kernelINS0_13select_configILj256ELj13ELNS0_17block_load_methodE3ELS4_3ELS4_3ELNS0_20block_scan_algorithmE0ELj4294967295EEENS1_25partition_config_selectorILNS1_17partition_subalgoE3EjNS0_10empty_typeEbEEZZNS1_14partition_implILS8_3ELb0ES6_jNS0_17counting_iteratorIjlEEPS9_SE_NS0_5tupleIJPjSE_EEENSF_IJSE_SE_EEES9_SG_JZNS1_25segmented_radix_sort_implINS0_14default_configELb1EPK6__halfPSL_PKlPlN2at6native12_GLOBAL__N_18offset_tEEE10hipError_tPvRmT1_PNSt15iterator_traitsISZ_E10value_typeET2_T3_PNS10_IS15_E10value_typeET4_jRbjT5_S1B_jjP12ihipStream_tbEUljE_EEESW_SX_SY_S15_S19_S1B_T6_T7_T9_mT8_S1D_bDpT10_ENKUlT_T0_E_clISt17integral_constantIbLb0EES1P_IbLb1EEEEDaS1L_S1M_EUlS1L_E_NS1_11comp_targetILNS1_3genE10ELNS1_11target_archE1200ELNS1_3gpuE4ELNS1_3repE0EEENS1_30default_config_static_selectorELNS0_4arch9wavefront6targetE1EEEvSZ_ ; -- Begin function _ZN7rocprim17ROCPRIM_400000_NS6detail17trampoline_kernelINS0_13select_configILj256ELj13ELNS0_17block_load_methodE3ELS4_3ELS4_3ELNS0_20block_scan_algorithmE0ELj4294967295EEENS1_25partition_config_selectorILNS1_17partition_subalgoE3EjNS0_10empty_typeEbEEZZNS1_14partition_implILS8_3ELb0ES6_jNS0_17counting_iteratorIjlEEPS9_SE_NS0_5tupleIJPjSE_EEENSF_IJSE_SE_EEES9_SG_JZNS1_25segmented_radix_sort_implINS0_14default_configELb1EPK6__halfPSL_PKlPlN2at6native12_GLOBAL__N_18offset_tEEE10hipError_tPvRmT1_PNSt15iterator_traitsISZ_E10value_typeET2_T3_PNS10_IS15_E10value_typeET4_jRbjT5_S1B_jjP12ihipStream_tbEUljE_EEESW_SX_SY_S15_S19_S1B_T6_T7_T9_mT8_S1D_bDpT10_ENKUlT_T0_E_clISt17integral_constantIbLb0EES1P_IbLb1EEEEDaS1L_S1M_EUlS1L_E_NS1_11comp_targetILNS1_3genE10ELNS1_11target_archE1200ELNS1_3gpuE4ELNS1_3repE0EEENS1_30default_config_static_selectorELNS0_4arch9wavefront6targetE1EEEvSZ_
	.p2align	8
	.type	_ZN7rocprim17ROCPRIM_400000_NS6detail17trampoline_kernelINS0_13select_configILj256ELj13ELNS0_17block_load_methodE3ELS4_3ELS4_3ELNS0_20block_scan_algorithmE0ELj4294967295EEENS1_25partition_config_selectorILNS1_17partition_subalgoE3EjNS0_10empty_typeEbEEZZNS1_14partition_implILS8_3ELb0ES6_jNS0_17counting_iteratorIjlEEPS9_SE_NS0_5tupleIJPjSE_EEENSF_IJSE_SE_EEES9_SG_JZNS1_25segmented_radix_sort_implINS0_14default_configELb1EPK6__halfPSL_PKlPlN2at6native12_GLOBAL__N_18offset_tEEE10hipError_tPvRmT1_PNSt15iterator_traitsISZ_E10value_typeET2_T3_PNS10_IS15_E10value_typeET4_jRbjT5_S1B_jjP12ihipStream_tbEUljE_EEESW_SX_SY_S15_S19_S1B_T6_T7_T9_mT8_S1D_bDpT10_ENKUlT_T0_E_clISt17integral_constantIbLb0EES1P_IbLb1EEEEDaS1L_S1M_EUlS1L_E_NS1_11comp_targetILNS1_3genE10ELNS1_11target_archE1200ELNS1_3gpuE4ELNS1_3repE0EEENS1_30default_config_static_selectorELNS0_4arch9wavefront6targetE1EEEvSZ_,@function
_ZN7rocprim17ROCPRIM_400000_NS6detail17trampoline_kernelINS0_13select_configILj256ELj13ELNS0_17block_load_methodE3ELS4_3ELS4_3ELNS0_20block_scan_algorithmE0ELj4294967295EEENS1_25partition_config_selectorILNS1_17partition_subalgoE3EjNS0_10empty_typeEbEEZZNS1_14partition_implILS8_3ELb0ES6_jNS0_17counting_iteratorIjlEEPS9_SE_NS0_5tupleIJPjSE_EEENSF_IJSE_SE_EEES9_SG_JZNS1_25segmented_radix_sort_implINS0_14default_configELb1EPK6__halfPSL_PKlPlN2at6native12_GLOBAL__N_18offset_tEEE10hipError_tPvRmT1_PNSt15iterator_traitsISZ_E10value_typeET2_T3_PNS10_IS15_E10value_typeET4_jRbjT5_S1B_jjP12ihipStream_tbEUljE_EEESW_SX_SY_S15_S19_S1B_T6_T7_T9_mT8_S1D_bDpT10_ENKUlT_T0_E_clISt17integral_constantIbLb0EES1P_IbLb1EEEEDaS1L_S1M_EUlS1L_E_NS1_11comp_targetILNS1_3genE10ELNS1_11target_archE1200ELNS1_3gpuE4ELNS1_3repE0EEENS1_30default_config_static_selectorELNS0_4arch9wavefront6targetE1EEEvSZ_: ; @_ZN7rocprim17ROCPRIM_400000_NS6detail17trampoline_kernelINS0_13select_configILj256ELj13ELNS0_17block_load_methodE3ELS4_3ELS4_3ELNS0_20block_scan_algorithmE0ELj4294967295EEENS1_25partition_config_selectorILNS1_17partition_subalgoE3EjNS0_10empty_typeEbEEZZNS1_14partition_implILS8_3ELb0ES6_jNS0_17counting_iteratorIjlEEPS9_SE_NS0_5tupleIJPjSE_EEENSF_IJSE_SE_EEES9_SG_JZNS1_25segmented_radix_sort_implINS0_14default_configELb1EPK6__halfPSL_PKlPlN2at6native12_GLOBAL__N_18offset_tEEE10hipError_tPvRmT1_PNSt15iterator_traitsISZ_E10value_typeET2_T3_PNS10_IS15_E10value_typeET4_jRbjT5_S1B_jjP12ihipStream_tbEUljE_EEESW_SX_SY_S15_S19_S1B_T6_T7_T9_mT8_S1D_bDpT10_ENKUlT_T0_E_clISt17integral_constantIbLb0EES1P_IbLb1EEEEDaS1L_S1M_EUlS1L_E_NS1_11comp_targetILNS1_3genE10ELNS1_11target_archE1200ELNS1_3gpuE4ELNS1_3repE0EEENS1_30default_config_static_selectorELNS0_4arch9wavefront6targetE1EEEvSZ_
; %bb.0:
	.section	.rodata,"a",@progbits
	.p2align	6, 0x0
	.amdhsa_kernel _ZN7rocprim17ROCPRIM_400000_NS6detail17trampoline_kernelINS0_13select_configILj256ELj13ELNS0_17block_load_methodE3ELS4_3ELS4_3ELNS0_20block_scan_algorithmE0ELj4294967295EEENS1_25partition_config_selectorILNS1_17partition_subalgoE3EjNS0_10empty_typeEbEEZZNS1_14partition_implILS8_3ELb0ES6_jNS0_17counting_iteratorIjlEEPS9_SE_NS0_5tupleIJPjSE_EEENSF_IJSE_SE_EEES9_SG_JZNS1_25segmented_radix_sort_implINS0_14default_configELb1EPK6__halfPSL_PKlPlN2at6native12_GLOBAL__N_18offset_tEEE10hipError_tPvRmT1_PNSt15iterator_traitsISZ_E10value_typeET2_T3_PNS10_IS15_E10value_typeET4_jRbjT5_S1B_jjP12ihipStream_tbEUljE_EEESW_SX_SY_S15_S19_S1B_T6_T7_T9_mT8_S1D_bDpT10_ENKUlT_T0_E_clISt17integral_constantIbLb0EES1P_IbLb1EEEEDaS1L_S1M_EUlS1L_E_NS1_11comp_targetILNS1_3genE10ELNS1_11target_archE1200ELNS1_3gpuE4ELNS1_3repE0EEENS1_30default_config_static_selectorELNS0_4arch9wavefront6targetE1EEEvSZ_
		.amdhsa_group_segment_fixed_size 0
		.amdhsa_private_segment_fixed_size 0
		.amdhsa_kernarg_size 152
		.amdhsa_user_sgpr_count 6
		.amdhsa_user_sgpr_private_segment_buffer 1
		.amdhsa_user_sgpr_dispatch_ptr 0
		.amdhsa_user_sgpr_queue_ptr 0
		.amdhsa_user_sgpr_kernarg_segment_ptr 1
		.amdhsa_user_sgpr_dispatch_id 0
		.amdhsa_user_sgpr_flat_scratch_init 0
		.amdhsa_user_sgpr_private_segment_size 0
		.amdhsa_uses_dynamic_stack 0
		.amdhsa_system_sgpr_private_segment_wavefront_offset 0
		.amdhsa_system_sgpr_workgroup_id_x 1
		.amdhsa_system_sgpr_workgroup_id_y 0
		.amdhsa_system_sgpr_workgroup_id_z 0
		.amdhsa_system_sgpr_workgroup_info 0
		.amdhsa_system_vgpr_workitem_id 0
		.amdhsa_next_free_vgpr 1
		.amdhsa_next_free_sgpr 0
		.amdhsa_reserve_vcc 0
		.amdhsa_reserve_flat_scratch 0
		.amdhsa_float_round_mode_32 0
		.amdhsa_float_round_mode_16_64 0
		.amdhsa_float_denorm_mode_32 3
		.amdhsa_float_denorm_mode_16_64 3
		.amdhsa_dx10_clamp 1
		.amdhsa_ieee_mode 1
		.amdhsa_fp16_overflow 0
		.amdhsa_exception_fp_ieee_invalid_op 0
		.amdhsa_exception_fp_denorm_src 0
		.amdhsa_exception_fp_ieee_div_zero 0
		.amdhsa_exception_fp_ieee_overflow 0
		.amdhsa_exception_fp_ieee_underflow 0
		.amdhsa_exception_fp_ieee_inexact 0
		.amdhsa_exception_int_div_zero 0
	.end_amdhsa_kernel
	.section	.text._ZN7rocprim17ROCPRIM_400000_NS6detail17trampoline_kernelINS0_13select_configILj256ELj13ELNS0_17block_load_methodE3ELS4_3ELS4_3ELNS0_20block_scan_algorithmE0ELj4294967295EEENS1_25partition_config_selectorILNS1_17partition_subalgoE3EjNS0_10empty_typeEbEEZZNS1_14partition_implILS8_3ELb0ES6_jNS0_17counting_iteratorIjlEEPS9_SE_NS0_5tupleIJPjSE_EEENSF_IJSE_SE_EEES9_SG_JZNS1_25segmented_radix_sort_implINS0_14default_configELb1EPK6__halfPSL_PKlPlN2at6native12_GLOBAL__N_18offset_tEEE10hipError_tPvRmT1_PNSt15iterator_traitsISZ_E10value_typeET2_T3_PNS10_IS15_E10value_typeET4_jRbjT5_S1B_jjP12ihipStream_tbEUljE_EEESW_SX_SY_S15_S19_S1B_T6_T7_T9_mT8_S1D_bDpT10_ENKUlT_T0_E_clISt17integral_constantIbLb0EES1P_IbLb1EEEEDaS1L_S1M_EUlS1L_E_NS1_11comp_targetILNS1_3genE10ELNS1_11target_archE1200ELNS1_3gpuE4ELNS1_3repE0EEENS1_30default_config_static_selectorELNS0_4arch9wavefront6targetE1EEEvSZ_,"axG",@progbits,_ZN7rocprim17ROCPRIM_400000_NS6detail17trampoline_kernelINS0_13select_configILj256ELj13ELNS0_17block_load_methodE3ELS4_3ELS4_3ELNS0_20block_scan_algorithmE0ELj4294967295EEENS1_25partition_config_selectorILNS1_17partition_subalgoE3EjNS0_10empty_typeEbEEZZNS1_14partition_implILS8_3ELb0ES6_jNS0_17counting_iteratorIjlEEPS9_SE_NS0_5tupleIJPjSE_EEENSF_IJSE_SE_EEES9_SG_JZNS1_25segmented_radix_sort_implINS0_14default_configELb1EPK6__halfPSL_PKlPlN2at6native12_GLOBAL__N_18offset_tEEE10hipError_tPvRmT1_PNSt15iterator_traitsISZ_E10value_typeET2_T3_PNS10_IS15_E10value_typeET4_jRbjT5_S1B_jjP12ihipStream_tbEUljE_EEESW_SX_SY_S15_S19_S1B_T6_T7_T9_mT8_S1D_bDpT10_ENKUlT_T0_E_clISt17integral_constantIbLb0EES1P_IbLb1EEEEDaS1L_S1M_EUlS1L_E_NS1_11comp_targetILNS1_3genE10ELNS1_11target_archE1200ELNS1_3gpuE4ELNS1_3repE0EEENS1_30default_config_static_selectorELNS0_4arch9wavefront6targetE1EEEvSZ_,comdat
.Lfunc_end1736:
	.size	_ZN7rocprim17ROCPRIM_400000_NS6detail17trampoline_kernelINS0_13select_configILj256ELj13ELNS0_17block_load_methodE3ELS4_3ELS4_3ELNS0_20block_scan_algorithmE0ELj4294967295EEENS1_25partition_config_selectorILNS1_17partition_subalgoE3EjNS0_10empty_typeEbEEZZNS1_14partition_implILS8_3ELb0ES6_jNS0_17counting_iteratorIjlEEPS9_SE_NS0_5tupleIJPjSE_EEENSF_IJSE_SE_EEES9_SG_JZNS1_25segmented_radix_sort_implINS0_14default_configELb1EPK6__halfPSL_PKlPlN2at6native12_GLOBAL__N_18offset_tEEE10hipError_tPvRmT1_PNSt15iterator_traitsISZ_E10value_typeET2_T3_PNS10_IS15_E10value_typeET4_jRbjT5_S1B_jjP12ihipStream_tbEUljE_EEESW_SX_SY_S15_S19_S1B_T6_T7_T9_mT8_S1D_bDpT10_ENKUlT_T0_E_clISt17integral_constantIbLb0EES1P_IbLb1EEEEDaS1L_S1M_EUlS1L_E_NS1_11comp_targetILNS1_3genE10ELNS1_11target_archE1200ELNS1_3gpuE4ELNS1_3repE0EEENS1_30default_config_static_selectorELNS0_4arch9wavefront6targetE1EEEvSZ_, .Lfunc_end1736-_ZN7rocprim17ROCPRIM_400000_NS6detail17trampoline_kernelINS0_13select_configILj256ELj13ELNS0_17block_load_methodE3ELS4_3ELS4_3ELNS0_20block_scan_algorithmE0ELj4294967295EEENS1_25partition_config_selectorILNS1_17partition_subalgoE3EjNS0_10empty_typeEbEEZZNS1_14partition_implILS8_3ELb0ES6_jNS0_17counting_iteratorIjlEEPS9_SE_NS0_5tupleIJPjSE_EEENSF_IJSE_SE_EEES9_SG_JZNS1_25segmented_radix_sort_implINS0_14default_configELb1EPK6__halfPSL_PKlPlN2at6native12_GLOBAL__N_18offset_tEEE10hipError_tPvRmT1_PNSt15iterator_traitsISZ_E10value_typeET2_T3_PNS10_IS15_E10value_typeET4_jRbjT5_S1B_jjP12ihipStream_tbEUljE_EEESW_SX_SY_S15_S19_S1B_T6_T7_T9_mT8_S1D_bDpT10_ENKUlT_T0_E_clISt17integral_constantIbLb0EES1P_IbLb1EEEEDaS1L_S1M_EUlS1L_E_NS1_11comp_targetILNS1_3genE10ELNS1_11target_archE1200ELNS1_3gpuE4ELNS1_3repE0EEENS1_30default_config_static_selectorELNS0_4arch9wavefront6targetE1EEEvSZ_
                                        ; -- End function
	.set _ZN7rocprim17ROCPRIM_400000_NS6detail17trampoline_kernelINS0_13select_configILj256ELj13ELNS0_17block_load_methodE3ELS4_3ELS4_3ELNS0_20block_scan_algorithmE0ELj4294967295EEENS1_25partition_config_selectorILNS1_17partition_subalgoE3EjNS0_10empty_typeEbEEZZNS1_14partition_implILS8_3ELb0ES6_jNS0_17counting_iteratorIjlEEPS9_SE_NS0_5tupleIJPjSE_EEENSF_IJSE_SE_EEES9_SG_JZNS1_25segmented_radix_sort_implINS0_14default_configELb1EPK6__halfPSL_PKlPlN2at6native12_GLOBAL__N_18offset_tEEE10hipError_tPvRmT1_PNSt15iterator_traitsISZ_E10value_typeET2_T3_PNS10_IS15_E10value_typeET4_jRbjT5_S1B_jjP12ihipStream_tbEUljE_EEESW_SX_SY_S15_S19_S1B_T6_T7_T9_mT8_S1D_bDpT10_ENKUlT_T0_E_clISt17integral_constantIbLb0EES1P_IbLb1EEEEDaS1L_S1M_EUlS1L_E_NS1_11comp_targetILNS1_3genE10ELNS1_11target_archE1200ELNS1_3gpuE4ELNS1_3repE0EEENS1_30default_config_static_selectorELNS0_4arch9wavefront6targetE1EEEvSZ_.num_vgpr, 0
	.set _ZN7rocprim17ROCPRIM_400000_NS6detail17trampoline_kernelINS0_13select_configILj256ELj13ELNS0_17block_load_methodE3ELS4_3ELS4_3ELNS0_20block_scan_algorithmE0ELj4294967295EEENS1_25partition_config_selectorILNS1_17partition_subalgoE3EjNS0_10empty_typeEbEEZZNS1_14partition_implILS8_3ELb0ES6_jNS0_17counting_iteratorIjlEEPS9_SE_NS0_5tupleIJPjSE_EEENSF_IJSE_SE_EEES9_SG_JZNS1_25segmented_radix_sort_implINS0_14default_configELb1EPK6__halfPSL_PKlPlN2at6native12_GLOBAL__N_18offset_tEEE10hipError_tPvRmT1_PNSt15iterator_traitsISZ_E10value_typeET2_T3_PNS10_IS15_E10value_typeET4_jRbjT5_S1B_jjP12ihipStream_tbEUljE_EEESW_SX_SY_S15_S19_S1B_T6_T7_T9_mT8_S1D_bDpT10_ENKUlT_T0_E_clISt17integral_constantIbLb0EES1P_IbLb1EEEEDaS1L_S1M_EUlS1L_E_NS1_11comp_targetILNS1_3genE10ELNS1_11target_archE1200ELNS1_3gpuE4ELNS1_3repE0EEENS1_30default_config_static_selectorELNS0_4arch9wavefront6targetE1EEEvSZ_.num_agpr, 0
	.set _ZN7rocprim17ROCPRIM_400000_NS6detail17trampoline_kernelINS0_13select_configILj256ELj13ELNS0_17block_load_methodE3ELS4_3ELS4_3ELNS0_20block_scan_algorithmE0ELj4294967295EEENS1_25partition_config_selectorILNS1_17partition_subalgoE3EjNS0_10empty_typeEbEEZZNS1_14partition_implILS8_3ELb0ES6_jNS0_17counting_iteratorIjlEEPS9_SE_NS0_5tupleIJPjSE_EEENSF_IJSE_SE_EEES9_SG_JZNS1_25segmented_radix_sort_implINS0_14default_configELb1EPK6__halfPSL_PKlPlN2at6native12_GLOBAL__N_18offset_tEEE10hipError_tPvRmT1_PNSt15iterator_traitsISZ_E10value_typeET2_T3_PNS10_IS15_E10value_typeET4_jRbjT5_S1B_jjP12ihipStream_tbEUljE_EEESW_SX_SY_S15_S19_S1B_T6_T7_T9_mT8_S1D_bDpT10_ENKUlT_T0_E_clISt17integral_constantIbLb0EES1P_IbLb1EEEEDaS1L_S1M_EUlS1L_E_NS1_11comp_targetILNS1_3genE10ELNS1_11target_archE1200ELNS1_3gpuE4ELNS1_3repE0EEENS1_30default_config_static_selectorELNS0_4arch9wavefront6targetE1EEEvSZ_.numbered_sgpr, 0
	.set _ZN7rocprim17ROCPRIM_400000_NS6detail17trampoline_kernelINS0_13select_configILj256ELj13ELNS0_17block_load_methodE3ELS4_3ELS4_3ELNS0_20block_scan_algorithmE0ELj4294967295EEENS1_25partition_config_selectorILNS1_17partition_subalgoE3EjNS0_10empty_typeEbEEZZNS1_14partition_implILS8_3ELb0ES6_jNS0_17counting_iteratorIjlEEPS9_SE_NS0_5tupleIJPjSE_EEENSF_IJSE_SE_EEES9_SG_JZNS1_25segmented_radix_sort_implINS0_14default_configELb1EPK6__halfPSL_PKlPlN2at6native12_GLOBAL__N_18offset_tEEE10hipError_tPvRmT1_PNSt15iterator_traitsISZ_E10value_typeET2_T3_PNS10_IS15_E10value_typeET4_jRbjT5_S1B_jjP12ihipStream_tbEUljE_EEESW_SX_SY_S15_S19_S1B_T6_T7_T9_mT8_S1D_bDpT10_ENKUlT_T0_E_clISt17integral_constantIbLb0EES1P_IbLb1EEEEDaS1L_S1M_EUlS1L_E_NS1_11comp_targetILNS1_3genE10ELNS1_11target_archE1200ELNS1_3gpuE4ELNS1_3repE0EEENS1_30default_config_static_selectorELNS0_4arch9wavefront6targetE1EEEvSZ_.num_named_barrier, 0
	.set _ZN7rocprim17ROCPRIM_400000_NS6detail17trampoline_kernelINS0_13select_configILj256ELj13ELNS0_17block_load_methodE3ELS4_3ELS4_3ELNS0_20block_scan_algorithmE0ELj4294967295EEENS1_25partition_config_selectorILNS1_17partition_subalgoE3EjNS0_10empty_typeEbEEZZNS1_14partition_implILS8_3ELb0ES6_jNS0_17counting_iteratorIjlEEPS9_SE_NS0_5tupleIJPjSE_EEENSF_IJSE_SE_EEES9_SG_JZNS1_25segmented_radix_sort_implINS0_14default_configELb1EPK6__halfPSL_PKlPlN2at6native12_GLOBAL__N_18offset_tEEE10hipError_tPvRmT1_PNSt15iterator_traitsISZ_E10value_typeET2_T3_PNS10_IS15_E10value_typeET4_jRbjT5_S1B_jjP12ihipStream_tbEUljE_EEESW_SX_SY_S15_S19_S1B_T6_T7_T9_mT8_S1D_bDpT10_ENKUlT_T0_E_clISt17integral_constantIbLb0EES1P_IbLb1EEEEDaS1L_S1M_EUlS1L_E_NS1_11comp_targetILNS1_3genE10ELNS1_11target_archE1200ELNS1_3gpuE4ELNS1_3repE0EEENS1_30default_config_static_selectorELNS0_4arch9wavefront6targetE1EEEvSZ_.private_seg_size, 0
	.set _ZN7rocprim17ROCPRIM_400000_NS6detail17trampoline_kernelINS0_13select_configILj256ELj13ELNS0_17block_load_methodE3ELS4_3ELS4_3ELNS0_20block_scan_algorithmE0ELj4294967295EEENS1_25partition_config_selectorILNS1_17partition_subalgoE3EjNS0_10empty_typeEbEEZZNS1_14partition_implILS8_3ELb0ES6_jNS0_17counting_iteratorIjlEEPS9_SE_NS0_5tupleIJPjSE_EEENSF_IJSE_SE_EEES9_SG_JZNS1_25segmented_radix_sort_implINS0_14default_configELb1EPK6__halfPSL_PKlPlN2at6native12_GLOBAL__N_18offset_tEEE10hipError_tPvRmT1_PNSt15iterator_traitsISZ_E10value_typeET2_T3_PNS10_IS15_E10value_typeET4_jRbjT5_S1B_jjP12ihipStream_tbEUljE_EEESW_SX_SY_S15_S19_S1B_T6_T7_T9_mT8_S1D_bDpT10_ENKUlT_T0_E_clISt17integral_constantIbLb0EES1P_IbLb1EEEEDaS1L_S1M_EUlS1L_E_NS1_11comp_targetILNS1_3genE10ELNS1_11target_archE1200ELNS1_3gpuE4ELNS1_3repE0EEENS1_30default_config_static_selectorELNS0_4arch9wavefront6targetE1EEEvSZ_.uses_vcc, 0
	.set _ZN7rocprim17ROCPRIM_400000_NS6detail17trampoline_kernelINS0_13select_configILj256ELj13ELNS0_17block_load_methodE3ELS4_3ELS4_3ELNS0_20block_scan_algorithmE0ELj4294967295EEENS1_25partition_config_selectorILNS1_17partition_subalgoE3EjNS0_10empty_typeEbEEZZNS1_14partition_implILS8_3ELb0ES6_jNS0_17counting_iteratorIjlEEPS9_SE_NS0_5tupleIJPjSE_EEENSF_IJSE_SE_EEES9_SG_JZNS1_25segmented_radix_sort_implINS0_14default_configELb1EPK6__halfPSL_PKlPlN2at6native12_GLOBAL__N_18offset_tEEE10hipError_tPvRmT1_PNSt15iterator_traitsISZ_E10value_typeET2_T3_PNS10_IS15_E10value_typeET4_jRbjT5_S1B_jjP12ihipStream_tbEUljE_EEESW_SX_SY_S15_S19_S1B_T6_T7_T9_mT8_S1D_bDpT10_ENKUlT_T0_E_clISt17integral_constantIbLb0EES1P_IbLb1EEEEDaS1L_S1M_EUlS1L_E_NS1_11comp_targetILNS1_3genE10ELNS1_11target_archE1200ELNS1_3gpuE4ELNS1_3repE0EEENS1_30default_config_static_selectorELNS0_4arch9wavefront6targetE1EEEvSZ_.uses_flat_scratch, 0
	.set _ZN7rocprim17ROCPRIM_400000_NS6detail17trampoline_kernelINS0_13select_configILj256ELj13ELNS0_17block_load_methodE3ELS4_3ELS4_3ELNS0_20block_scan_algorithmE0ELj4294967295EEENS1_25partition_config_selectorILNS1_17partition_subalgoE3EjNS0_10empty_typeEbEEZZNS1_14partition_implILS8_3ELb0ES6_jNS0_17counting_iteratorIjlEEPS9_SE_NS0_5tupleIJPjSE_EEENSF_IJSE_SE_EEES9_SG_JZNS1_25segmented_radix_sort_implINS0_14default_configELb1EPK6__halfPSL_PKlPlN2at6native12_GLOBAL__N_18offset_tEEE10hipError_tPvRmT1_PNSt15iterator_traitsISZ_E10value_typeET2_T3_PNS10_IS15_E10value_typeET4_jRbjT5_S1B_jjP12ihipStream_tbEUljE_EEESW_SX_SY_S15_S19_S1B_T6_T7_T9_mT8_S1D_bDpT10_ENKUlT_T0_E_clISt17integral_constantIbLb0EES1P_IbLb1EEEEDaS1L_S1M_EUlS1L_E_NS1_11comp_targetILNS1_3genE10ELNS1_11target_archE1200ELNS1_3gpuE4ELNS1_3repE0EEENS1_30default_config_static_selectorELNS0_4arch9wavefront6targetE1EEEvSZ_.has_dyn_sized_stack, 0
	.set _ZN7rocprim17ROCPRIM_400000_NS6detail17trampoline_kernelINS0_13select_configILj256ELj13ELNS0_17block_load_methodE3ELS4_3ELS4_3ELNS0_20block_scan_algorithmE0ELj4294967295EEENS1_25partition_config_selectorILNS1_17partition_subalgoE3EjNS0_10empty_typeEbEEZZNS1_14partition_implILS8_3ELb0ES6_jNS0_17counting_iteratorIjlEEPS9_SE_NS0_5tupleIJPjSE_EEENSF_IJSE_SE_EEES9_SG_JZNS1_25segmented_radix_sort_implINS0_14default_configELb1EPK6__halfPSL_PKlPlN2at6native12_GLOBAL__N_18offset_tEEE10hipError_tPvRmT1_PNSt15iterator_traitsISZ_E10value_typeET2_T3_PNS10_IS15_E10value_typeET4_jRbjT5_S1B_jjP12ihipStream_tbEUljE_EEESW_SX_SY_S15_S19_S1B_T6_T7_T9_mT8_S1D_bDpT10_ENKUlT_T0_E_clISt17integral_constantIbLb0EES1P_IbLb1EEEEDaS1L_S1M_EUlS1L_E_NS1_11comp_targetILNS1_3genE10ELNS1_11target_archE1200ELNS1_3gpuE4ELNS1_3repE0EEENS1_30default_config_static_selectorELNS0_4arch9wavefront6targetE1EEEvSZ_.has_recursion, 0
	.set _ZN7rocprim17ROCPRIM_400000_NS6detail17trampoline_kernelINS0_13select_configILj256ELj13ELNS0_17block_load_methodE3ELS4_3ELS4_3ELNS0_20block_scan_algorithmE0ELj4294967295EEENS1_25partition_config_selectorILNS1_17partition_subalgoE3EjNS0_10empty_typeEbEEZZNS1_14partition_implILS8_3ELb0ES6_jNS0_17counting_iteratorIjlEEPS9_SE_NS0_5tupleIJPjSE_EEENSF_IJSE_SE_EEES9_SG_JZNS1_25segmented_radix_sort_implINS0_14default_configELb1EPK6__halfPSL_PKlPlN2at6native12_GLOBAL__N_18offset_tEEE10hipError_tPvRmT1_PNSt15iterator_traitsISZ_E10value_typeET2_T3_PNS10_IS15_E10value_typeET4_jRbjT5_S1B_jjP12ihipStream_tbEUljE_EEESW_SX_SY_S15_S19_S1B_T6_T7_T9_mT8_S1D_bDpT10_ENKUlT_T0_E_clISt17integral_constantIbLb0EES1P_IbLb1EEEEDaS1L_S1M_EUlS1L_E_NS1_11comp_targetILNS1_3genE10ELNS1_11target_archE1200ELNS1_3gpuE4ELNS1_3repE0EEENS1_30default_config_static_selectorELNS0_4arch9wavefront6targetE1EEEvSZ_.has_indirect_call, 0
	.section	.AMDGPU.csdata,"",@progbits
; Kernel info:
; codeLenInByte = 0
; TotalNumSgprs: 4
; NumVgprs: 0
; ScratchSize: 0
; MemoryBound: 0
; FloatMode: 240
; IeeeMode: 1
; LDSByteSize: 0 bytes/workgroup (compile time only)
; SGPRBlocks: 0
; VGPRBlocks: 0
; NumSGPRsForWavesPerEU: 4
; NumVGPRsForWavesPerEU: 1
; Occupancy: 10
; WaveLimiterHint : 0
; COMPUTE_PGM_RSRC2:SCRATCH_EN: 0
; COMPUTE_PGM_RSRC2:USER_SGPR: 6
; COMPUTE_PGM_RSRC2:TRAP_HANDLER: 0
; COMPUTE_PGM_RSRC2:TGID_X_EN: 1
; COMPUTE_PGM_RSRC2:TGID_Y_EN: 0
; COMPUTE_PGM_RSRC2:TGID_Z_EN: 0
; COMPUTE_PGM_RSRC2:TIDIG_COMP_CNT: 0
	.section	.text._ZN7rocprim17ROCPRIM_400000_NS6detail17trampoline_kernelINS0_13select_configILj256ELj13ELNS0_17block_load_methodE3ELS4_3ELS4_3ELNS0_20block_scan_algorithmE0ELj4294967295EEENS1_25partition_config_selectorILNS1_17partition_subalgoE3EjNS0_10empty_typeEbEEZZNS1_14partition_implILS8_3ELb0ES6_jNS0_17counting_iteratorIjlEEPS9_SE_NS0_5tupleIJPjSE_EEENSF_IJSE_SE_EEES9_SG_JZNS1_25segmented_radix_sort_implINS0_14default_configELb1EPK6__halfPSL_PKlPlN2at6native12_GLOBAL__N_18offset_tEEE10hipError_tPvRmT1_PNSt15iterator_traitsISZ_E10value_typeET2_T3_PNS10_IS15_E10value_typeET4_jRbjT5_S1B_jjP12ihipStream_tbEUljE_EEESW_SX_SY_S15_S19_S1B_T6_T7_T9_mT8_S1D_bDpT10_ENKUlT_T0_E_clISt17integral_constantIbLb0EES1P_IbLb1EEEEDaS1L_S1M_EUlS1L_E_NS1_11comp_targetILNS1_3genE9ELNS1_11target_archE1100ELNS1_3gpuE3ELNS1_3repE0EEENS1_30default_config_static_selectorELNS0_4arch9wavefront6targetE1EEEvSZ_,"axG",@progbits,_ZN7rocprim17ROCPRIM_400000_NS6detail17trampoline_kernelINS0_13select_configILj256ELj13ELNS0_17block_load_methodE3ELS4_3ELS4_3ELNS0_20block_scan_algorithmE0ELj4294967295EEENS1_25partition_config_selectorILNS1_17partition_subalgoE3EjNS0_10empty_typeEbEEZZNS1_14partition_implILS8_3ELb0ES6_jNS0_17counting_iteratorIjlEEPS9_SE_NS0_5tupleIJPjSE_EEENSF_IJSE_SE_EEES9_SG_JZNS1_25segmented_radix_sort_implINS0_14default_configELb1EPK6__halfPSL_PKlPlN2at6native12_GLOBAL__N_18offset_tEEE10hipError_tPvRmT1_PNSt15iterator_traitsISZ_E10value_typeET2_T3_PNS10_IS15_E10value_typeET4_jRbjT5_S1B_jjP12ihipStream_tbEUljE_EEESW_SX_SY_S15_S19_S1B_T6_T7_T9_mT8_S1D_bDpT10_ENKUlT_T0_E_clISt17integral_constantIbLb0EES1P_IbLb1EEEEDaS1L_S1M_EUlS1L_E_NS1_11comp_targetILNS1_3genE9ELNS1_11target_archE1100ELNS1_3gpuE3ELNS1_3repE0EEENS1_30default_config_static_selectorELNS0_4arch9wavefront6targetE1EEEvSZ_,comdat
	.globl	_ZN7rocprim17ROCPRIM_400000_NS6detail17trampoline_kernelINS0_13select_configILj256ELj13ELNS0_17block_load_methodE3ELS4_3ELS4_3ELNS0_20block_scan_algorithmE0ELj4294967295EEENS1_25partition_config_selectorILNS1_17partition_subalgoE3EjNS0_10empty_typeEbEEZZNS1_14partition_implILS8_3ELb0ES6_jNS0_17counting_iteratorIjlEEPS9_SE_NS0_5tupleIJPjSE_EEENSF_IJSE_SE_EEES9_SG_JZNS1_25segmented_radix_sort_implINS0_14default_configELb1EPK6__halfPSL_PKlPlN2at6native12_GLOBAL__N_18offset_tEEE10hipError_tPvRmT1_PNSt15iterator_traitsISZ_E10value_typeET2_T3_PNS10_IS15_E10value_typeET4_jRbjT5_S1B_jjP12ihipStream_tbEUljE_EEESW_SX_SY_S15_S19_S1B_T6_T7_T9_mT8_S1D_bDpT10_ENKUlT_T0_E_clISt17integral_constantIbLb0EES1P_IbLb1EEEEDaS1L_S1M_EUlS1L_E_NS1_11comp_targetILNS1_3genE9ELNS1_11target_archE1100ELNS1_3gpuE3ELNS1_3repE0EEENS1_30default_config_static_selectorELNS0_4arch9wavefront6targetE1EEEvSZ_ ; -- Begin function _ZN7rocprim17ROCPRIM_400000_NS6detail17trampoline_kernelINS0_13select_configILj256ELj13ELNS0_17block_load_methodE3ELS4_3ELS4_3ELNS0_20block_scan_algorithmE0ELj4294967295EEENS1_25partition_config_selectorILNS1_17partition_subalgoE3EjNS0_10empty_typeEbEEZZNS1_14partition_implILS8_3ELb0ES6_jNS0_17counting_iteratorIjlEEPS9_SE_NS0_5tupleIJPjSE_EEENSF_IJSE_SE_EEES9_SG_JZNS1_25segmented_radix_sort_implINS0_14default_configELb1EPK6__halfPSL_PKlPlN2at6native12_GLOBAL__N_18offset_tEEE10hipError_tPvRmT1_PNSt15iterator_traitsISZ_E10value_typeET2_T3_PNS10_IS15_E10value_typeET4_jRbjT5_S1B_jjP12ihipStream_tbEUljE_EEESW_SX_SY_S15_S19_S1B_T6_T7_T9_mT8_S1D_bDpT10_ENKUlT_T0_E_clISt17integral_constantIbLb0EES1P_IbLb1EEEEDaS1L_S1M_EUlS1L_E_NS1_11comp_targetILNS1_3genE9ELNS1_11target_archE1100ELNS1_3gpuE3ELNS1_3repE0EEENS1_30default_config_static_selectorELNS0_4arch9wavefront6targetE1EEEvSZ_
	.p2align	8
	.type	_ZN7rocprim17ROCPRIM_400000_NS6detail17trampoline_kernelINS0_13select_configILj256ELj13ELNS0_17block_load_methodE3ELS4_3ELS4_3ELNS0_20block_scan_algorithmE0ELj4294967295EEENS1_25partition_config_selectorILNS1_17partition_subalgoE3EjNS0_10empty_typeEbEEZZNS1_14partition_implILS8_3ELb0ES6_jNS0_17counting_iteratorIjlEEPS9_SE_NS0_5tupleIJPjSE_EEENSF_IJSE_SE_EEES9_SG_JZNS1_25segmented_radix_sort_implINS0_14default_configELb1EPK6__halfPSL_PKlPlN2at6native12_GLOBAL__N_18offset_tEEE10hipError_tPvRmT1_PNSt15iterator_traitsISZ_E10value_typeET2_T3_PNS10_IS15_E10value_typeET4_jRbjT5_S1B_jjP12ihipStream_tbEUljE_EEESW_SX_SY_S15_S19_S1B_T6_T7_T9_mT8_S1D_bDpT10_ENKUlT_T0_E_clISt17integral_constantIbLb0EES1P_IbLb1EEEEDaS1L_S1M_EUlS1L_E_NS1_11comp_targetILNS1_3genE9ELNS1_11target_archE1100ELNS1_3gpuE3ELNS1_3repE0EEENS1_30default_config_static_selectorELNS0_4arch9wavefront6targetE1EEEvSZ_,@function
_ZN7rocprim17ROCPRIM_400000_NS6detail17trampoline_kernelINS0_13select_configILj256ELj13ELNS0_17block_load_methodE3ELS4_3ELS4_3ELNS0_20block_scan_algorithmE0ELj4294967295EEENS1_25partition_config_selectorILNS1_17partition_subalgoE3EjNS0_10empty_typeEbEEZZNS1_14partition_implILS8_3ELb0ES6_jNS0_17counting_iteratorIjlEEPS9_SE_NS0_5tupleIJPjSE_EEENSF_IJSE_SE_EEES9_SG_JZNS1_25segmented_radix_sort_implINS0_14default_configELb1EPK6__halfPSL_PKlPlN2at6native12_GLOBAL__N_18offset_tEEE10hipError_tPvRmT1_PNSt15iterator_traitsISZ_E10value_typeET2_T3_PNS10_IS15_E10value_typeET4_jRbjT5_S1B_jjP12ihipStream_tbEUljE_EEESW_SX_SY_S15_S19_S1B_T6_T7_T9_mT8_S1D_bDpT10_ENKUlT_T0_E_clISt17integral_constantIbLb0EES1P_IbLb1EEEEDaS1L_S1M_EUlS1L_E_NS1_11comp_targetILNS1_3genE9ELNS1_11target_archE1100ELNS1_3gpuE3ELNS1_3repE0EEENS1_30default_config_static_selectorELNS0_4arch9wavefront6targetE1EEEvSZ_: ; @_ZN7rocprim17ROCPRIM_400000_NS6detail17trampoline_kernelINS0_13select_configILj256ELj13ELNS0_17block_load_methodE3ELS4_3ELS4_3ELNS0_20block_scan_algorithmE0ELj4294967295EEENS1_25partition_config_selectorILNS1_17partition_subalgoE3EjNS0_10empty_typeEbEEZZNS1_14partition_implILS8_3ELb0ES6_jNS0_17counting_iteratorIjlEEPS9_SE_NS0_5tupleIJPjSE_EEENSF_IJSE_SE_EEES9_SG_JZNS1_25segmented_radix_sort_implINS0_14default_configELb1EPK6__halfPSL_PKlPlN2at6native12_GLOBAL__N_18offset_tEEE10hipError_tPvRmT1_PNSt15iterator_traitsISZ_E10value_typeET2_T3_PNS10_IS15_E10value_typeET4_jRbjT5_S1B_jjP12ihipStream_tbEUljE_EEESW_SX_SY_S15_S19_S1B_T6_T7_T9_mT8_S1D_bDpT10_ENKUlT_T0_E_clISt17integral_constantIbLb0EES1P_IbLb1EEEEDaS1L_S1M_EUlS1L_E_NS1_11comp_targetILNS1_3genE9ELNS1_11target_archE1100ELNS1_3gpuE3ELNS1_3repE0EEENS1_30default_config_static_selectorELNS0_4arch9wavefront6targetE1EEEvSZ_
; %bb.0:
	.section	.rodata,"a",@progbits
	.p2align	6, 0x0
	.amdhsa_kernel _ZN7rocprim17ROCPRIM_400000_NS6detail17trampoline_kernelINS0_13select_configILj256ELj13ELNS0_17block_load_methodE3ELS4_3ELS4_3ELNS0_20block_scan_algorithmE0ELj4294967295EEENS1_25partition_config_selectorILNS1_17partition_subalgoE3EjNS0_10empty_typeEbEEZZNS1_14partition_implILS8_3ELb0ES6_jNS0_17counting_iteratorIjlEEPS9_SE_NS0_5tupleIJPjSE_EEENSF_IJSE_SE_EEES9_SG_JZNS1_25segmented_radix_sort_implINS0_14default_configELb1EPK6__halfPSL_PKlPlN2at6native12_GLOBAL__N_18offset_tEEE10hipError_tPvRmT1_PNSt15iterator_traitsISZ_E10value_typeET2_T3_PNS10_IS15_E10value_typeET4_jRbjT5_S1B_jjP12ihipStream_tbEUljE_EEESW_SX_SY_S15_S19_S1B_T6_T7_T9_mT8_S1D_bDpT10_ENKUlT_T0_E_clISt17integral_constantIbLb0EES1P_IbLb1EEEEDaS1L_S1M_EUlS1L_E_NS1_11comp_targetILNS1_3genE9ELNS1_11target_archE1100ELNS1_3gpuE3ELNS1_3repE0EEENS1_30default_config_static_selectorELNS0_4arch9wavefront6targetE1EEEvSZ_
		.amdhsa_group_segment_fixed_size 0
		.amdhsa_private_segment_fixed_size 0
		.amdhsa_kernarg_size 152
		.amdhsa_user_sgpr_count 6
		.amdhsa_user_sgpr_private_segment_buffer 1
		.amdhsa_user_sgpr_dispatch_ptr 0
		.amdhsa_user_sgpr_queue_ptr 0
		.amdhsa_user_sgpr_kernarg_segment_ptr 1
		.amdhsa_user_sgpr_dispatch_id 0
		.amdhsa_user_sgpr_flat_scratch_init 0
		.amdhsa_user_sgpr_private_segment_size 0
		.amdhsa_uses_dynamic_stack 0
		.amdhsa_system_sgpr_private_segment_wavefront_offset 0
		.amdhsa_system_sgpr_workgroup_id_x 1
		.amdhsa_system_sgpr_workgroup_id_y 0
		.amdhsa_system_sgpr_workgroup_id_z 0
		.amdhsa_system_sgpr_workgroup_info 0
		.amdhsa_system_vgpr_workitem_id 0
		.amdhsa_next_free_vgpr 1
		.amdhsa_next_free_sgpr 0
		.amdhsa_reserve_vcc 0
		.amdhsa_reserve_flat_scratch 0
		.amdhsa_float_round_mode_32 0
		.amdhsa_float_round_mode_16_64 0
		.amdhsa_float_denorm_mode_32 3
		.amdhsa_float_denorm_mode_16_64 3
		.amdhsa_dx10_clamp 1
		.amdhsa_ieee_mode 1
		.amdhsa_fp16_overflow 0
		.amdhsa_exception_fp_ieee_invalid_op 0
		.amdhsa_exception_fp_denorm_src 0
		.amdhsa_exception_fp_ieee_div_zero 0
		.amdhsa_exception_fp_ieee_overflow 0
		.amdhsa_exception_fp_ieee_underflow 0
		.amdhsa_exception_fp_ieee_inexact 0
		.amdhsa_exception_int_div_zero 0
	.end_amdhsa_kernel
	.section	.text._ZN7rocprim17ROCPRIM_400000_NS6detail17trampoline_kernelINS0_13select_configILj256ELj13ELNS0_17block_load_methodE3ELS4_3ELS4_3ELNS0_20block_scan_algorithmE0ELj4294967295EEENS1_25partition_config_selectorILNS1_17partition_subalgoE3EjNS0_10empty_typeEbEEZZNS1_14partition_implILS8_3ELb0ES6_jNS0_17counting_iteratorIjlEEPS9_SE_NS0_5tupleIJPjSE_EEENSF_IJSE_SE_EEES9_SG_JZNS1_25segmented_radix_sort_implINS0_14default_configELb1EPK6__halfPSL_PKlPlN2at6native12_GLOBAL__N_18offset_tEEE10hipError_tPvRmT1_PNSt15iterator_traitsISZ_E10value_typeET2_T3_PNS10_IS15_E10value_typeET4_jRbjT5_S1B_jjP12ihipStream_tbEUljE_EEESW_SX_SY_S15_S19_S1B_T6_T7_T9_mT8_S1D_bDpT10_ENKUlT_T0_E_clISt17integral_constantIbLb0EES1P_IbLb1EEEEDaS1L_S1M_EUlS1L_E_NS1_11comp_targetILNS1_3genE9ELNS1_11target_archE1100ELNS1_3gpuE3ELNS1_3repE0EEENS1_30default_config_static_selectorELNS0_4arch9wavefront6targetE1EEEvSZ_,"axG",@progbits,_ZN7rocprim17ROCPRIM_400000_NS6detail17trampoline_kernelINS0_13select_configILj256ELj13ELNS0_17block_load_methodE3ELS4_3ELS4_3ELNS0_20block_scan_algorithmE0ELj4294967295EEENS1_25partition_config_selectorILNS1_17partition_subalgoE3EjNS0_10empty_typeEbEEZZNS1_14partition_implILS8_3ELb0ES6_jNS0_17counting_iteratorIjlEEPS9_SE_NS0_5tupleIJPjSE_EEENSF_IJSE_SE_EEES9_SG_JZNS1_25segmented_radix_sort_implINS0_14default_configELb1EPK6__halfPSL_PKlPlN2at6native12_GLOBAL__N_18offset_tEEE10hipError_tPvRmT1_PNSt15iterator_traitsISZ_E10value_typeET2_T3_PNS10_IS15_E10value_typeET4_jRbjT5_S1B_jjP12ihipStream_tbEUljE_EEESW_SX_SY_S15_S19_S1B_T6_T7_T9_mT8_S1D_bDpT10_ENKUlT_T0_E_clISt17integral_constantIbLb0EES1P_IbLb1EEEEDaS1L_S1M_EUlS1L_E_NS1_11comp_targetILNS1_3genE9ELNS1_11target_archE1100ELNS1_3gpuE3ELNS1_3repE0EEENS1_30default_config_static_selectorELNS0_4arch9wavefront6targetE1EEEvSZ_,comdat
.Lfunc_end1737:
	.size	_ZN7rocprim17ROCPRIM_400000_NS6detail17trampoline_kernelINS0_13select_configILj256ELj13ELNS0_17block_load_methodE3ELS4_3ELS4_3ELNS0_20block_scan_algorithmE0ELj4294967295EEENS1_25partition_config_selectorILNS1_17partition_subalgoE3EjNS0_10empty_typeEbEEZZNS1_14partition_implILS8_3ELb0ES6_jNS0_17counting_iteratorIjlEEPS9_SE_NS0_5tupleIJPjSE_EEENSF_IJSE_SE_EEES9_SG_JZNS1_25segmented_radix_sort_implINS0_14default_configELb1EPK6__halfPSL_PKlPlN2at6native12_GLOBAL__N_18offset_tEEE10hipError_tPvRmT1_PNSt15iterator_traitsISZ_E10value_typeET2_T3_PNS10_IS15_E10value_typeET4_jRbjT5_S1B_jjP12ihipStream_tbEUljE_EEESW_SX_SY_S15_S19_S1B_T6_T7_T9_mT8_S1D_bDpT10_ENKUlT_T0_E_clISt17integral_constantIbLb0EES1P_IbLb1EEEEDaS1L_S1M_EUlS1L_E_NS1_11comp_targetILNS1_3genE9ELNS1_11target_archE1100ELNS1_3gpuE3ELNS1_3repE0EEENS1_30default_config_static_selectorELNS0_4arch9wavefront6targetE1EEEvSZ_, .Lfunc_end1737-_ZN7rocprim17ROCPRIM_400000_NS6detail17trampoline_kernelINS0_13select_configILj256ELj13ELNS0_17block_load_methodE3ELS4_3ELS4_3ELNS0_20block_scan_algorithmE0ELj4294967295EEENS1_25partition_config_selectorILNS1_17partition_subalgoE3EjNS0_10empty_typeEbEEZZNS1_14partition_implILS8_3ELb0ES6_jNS0_17counting_iteratorIjlEEPS9_SE_NS0_5tupleIJPjSE_EEENSF_IJSE_SE_EEES9_SG_JZNS1_25segmented_radix_sort_implINS0_14default_configELb1EPK6__halfPSL_PKlPlN2at6native12_GLOBAL__N_18offset_tEEE10hipError_tPvRmT1_PNSt15iterator_traitsISZ_E10value_typeET2_T3_PNS10_IS15_E10value_typeET4_jRbjT5_S1B_jjP12ihipStream_tbEUljE_EEESW_SX_SY_S15_S19_S1B_T6_T7_T9_mT8_S1D_bDpT10_ENKUlT_T0_E_clISt17integral_constantIbLb0EES1P_IbLb1EEEEDaS1L_S1M_EUlS1L_E_NS1_11comp_targetILNS1_3genE9ELNS1_11target_archE1100ELNS1_3gpuE3ELNS1_3repE0EEENS1_30default_config_static_selectorELNS0_4arch9wavefront6targetE1EEEvSZ_
                                        ; -- End function
	.set _ZN7rocprim17ROCPRIM_400000_NS6detail17trampoline_kernelINS0_13select_configILj256ELj13ELNS0_17block_load_methodE3ELS4_3ELS4_3ELNS0_20block_scan_algorithmE0ELj4294967295EEENS1_25partition_config_selectorILNS1_17partition_subalgoE3EjNS0_10empty_typeEbEEZZNS1_14partition_implILS8_3ELb0ES6_jNS0_17counting_iteratorIjlEEPS9_SE_NS0_5tupleIJPjSE_EEENSF_IJSE_SE_EEES9_SG_JZNS1_25segmented_radix_sort_implINS0_14default_configELb1EPK6__halfPSL_PKlPlN2at6native12_GLOBAL__N_18offset_tEEE10hipError_tPvRmT1_PNSt15iterator_traitsISZ_E10value_typeET2_T3_PNS10_IS15_E10value_typeET4_jRbjT5_S1B_jjP12ihipStream_tbEUljE_EEESW_SX_SY_S15_S19_S1B_T6_T7_T9_mT8_S1D_bDpT10_ENKUlT_T0_E_clISt17integral_constantIbLb0EES1P_IbLb1EEEEDaS1L_S1M_EUlS1L_E_NS1_11comp_targetILNS1_3genE9ELNS1_11target_archE1100ELNS1_3gpuE3ELNS1_3repE0EEENS1_30default_config_static_selectorELNS0_4arch9wavefront6targetE1EEEvSZ_.num_vgpr, 0
	.set _ZN7rocprim17ROCPRIM_400000_NS6detail17trampoline_kernelINS0_13select_configILj256ELj13ELNS0_17block_load_methodE3ELS4_3ELS4_3ELNS0_20block_scan_algorithmE0ELj4294967295EEENS1_25partition_config_selectorILNS1_17partition_subalgoE3EjNS0_10empty_typeEbEEZZNS1_14partition_implILS8_3ELb0ES6_jNS0_17counting_iteratorIjlEEPS9_SE_NS0_5tupleIJPjSE_EEENSF_IJSE_SE_EEES9_SG_JZNS1_25segmented_radix_sort_implINS0_14default_configELb1EPK6__halfPSL_PKlPlN2at6native12_GLOBAL__N_18offset_tEEE10hipError_tPvRmT1_PNSt15iterator_traitsISZ_E10value_typeET2_T3_PNS10_IS15_E10value_typeET4_jRbjT5_S1B_jjP12ihipStream_tbEUljE_EEESW_SX_SY_S15_S19_S1B_T6_T7_T9_mT8_S1D_bDpT10_ENKUlT_T0_E_clISt17integral_constantIbLb0EES1P_IbLb1EEEEDaS1L_S1M_EUlS1L_E_NS1_11comp_targetILNS1_3genE9ELNS1_11target_archE1100ELNS1_3gpuE3ELNS1_3repE0EEENS1_30default_config_static_selectorELNS0_4arch9wavefront6targetE1EEEvSZ_.num_agpr, 0
	.set _ZN7rocprim17ROCPRIM_400000_NS6detail17trampoline_kernelINS0_13select_configILj256ELj13ELNS0_17block_load_methodE3ELS4_3ELS4_3ELNS0_20block_scan_algorithmE0ELj4294967295EEENS1_25partition_config_selectorILNS1_17partition_subalgoE3EjNS0_10empty_typeEbEEZZNS1_14partition_implILS8_3ELb0ES6_jNS0_17counting_iteratorIjlEEPS9_SE_NS0_5tupleIJPjSE_EEENSF_IJSE_SE_EEES9_SG_JZNS1_25segmented_radix_sort_implINS0_14default_configELb1EPK6__halfPSL_PKlPlN2at6native12_GLOBAL__N_18offset_tEEE10hipError_tPvRmT1_PNSt15iterator_traitsISZ_E10value_typeET2_T3_PNS10_IS15_E10value_typeET4_jRbjT5_S1B_jjP12ihipStream_tbEUljE_EEESW_SX_SY_S15_S19_S1B_T6_T7_T9_mT8_S1D_bDpT10_ENKUlT_T0_E_clISt17integral_constantIbLb0EES1P_IbLb1EEEEDaS1L_S1M_EUlS1L_E_NS1_11comp_targetILNS1_3genE9ELNS1_11target_archE1100ELNS1_3gpuE3ELNS1_3repE0EEENS1_30default_config_static_selectorELNS0_4arch9wavefront6targetE1EEEvSZ_.numbered_sgpr, 0
	.set _ZN7rocprim17ROCPRIM_400000_NS6detail17trampoline_kernelINS0_13select_configILj256ELj13ELNS0_17block_load_methodE3ELS4_3ELS4_3ELNS0_20block_scan_algorithmE0ELj4294967295EEENS1_25partition_config_selectorILNS1_17partition_subalgoE3EjNS0_10empty_typeEbEEZZNS1_14partition_implILS8_3ELb0ES6_jNS0_17counting_iteratorIjlEEPS9_SE_NS0_5tupleIJPjSE_EEENSF_IJSE_SE_EEES9_SG_JZNS1_25segmented_radix_sort_implINS0_14default_configELb1EPK6__halfPSL_PKlPlN2at6native12_GLOBAL__N_18offset_tEEE10hipError_tPvRmT1_PNSt15iterator_traitsISZ_E10value_typeET2_T3_PNS10_IS15_E10value_typeET4_jRbjT5_S1B_jjP12ihipStream_tbEUljE_EEESW_SX_SY_S15_S19_S1B_T6_T7_T9_mT8_S1D_bDpT10_ENKUlT_T0_E_clISt17integral_constantIbLb0EES1P_IbLb1EEEEDaS1L_S1M_EUlS1L_E_NS1_11comp_targetILNS1_3genE9ELNS1_11target_archE1100ELNS1_3gpuE3ELNS1_3repE0EEENS1_30default_config_static_selectorELNS0_4arch9wavefront6targetE1EEEvSZ_.num_named_barrier, 0
	.set _ZN7rocprim17ROCPRIM_400000_NS6detail17trampoline_kernelINS0_13select_configILj256ELj13ELNS0_17block_load_methodE3ELS4_3ELS4_3ELNS0_20block_scan_algorithmE0ELj4294967295EEENS1_25partition_config_selectorILNS1_17partition_subalgoE3EjNS0_10empty_typeEbEEZZNS1_14partition_implILS8_3ELb0ES6_jNS0_17counting_iteratorIjlEEPS9_SE_NS0_5tupleIJPjSE_EEENSF_IJSE_SE_EEES9_SG_JZNS1_25segmented_radix_sort_implINS0_14default_configELb1EPK6__halfPSL_PKlPlN2at6native12_GLOBAL__N_18offset_tEEE10hipError_tPvRmT1_PNSt15iterator_traitsISZ_E10value_typeET2_T3_PNS10_IS15_E10value_typeET4_jRbjT5_S1B_jjP12ihipStream_tbEUljE_EEESW_SX_SY_S15_S19_S1B_T6_T7_T9_mT8_S1D_bDpT10_ENKUlT_T0_E_clISt17integral_constantIbLb0EES1P_IbLb1EEEEDaS1L_S1M_EUlS1L_E_NS1_11comp_targetILNS1_3genE9ELNS1_11target_archE1100ELNS1_3gpuE3ELNS1_3repE0EEENS1_30default_config_static_selectorELNS0_4arch9wavefront6targetE1EEEvSZ_.private_seg_size, 0
	.set _ZN7rocprim17ROCPRIM_400000_NS6detail17trampoline_kernelINS0_13select_configILj256ELj13ELNS0_17block_load_methodE3ELS4_3ELS4_3ELNS0_20block_scan_algorithmE0ELj4294967295EEENS1_25partition_config_selectorILNS1_17partition_subalgoE3EjNS0_10empty_typeEbEEZZNS1_14partition_implILS8_3ELb0ES6_jNS0_17counting_iteratorIjlEEPS9_SE_NS0_5tupleIJPjSE_EEENSF_IJSE_SE_EEES9_SG_JZNS1_25segmented_radix_sort_implINS0_14default_configELb1EPK6__halfPSL_PKlPlN2at6native12_GLOBAL__N_18offset_tEEE10hipError_tPvRmT1_PNSt15iterator_traitsISZ_E10value_typeET2_T3_PNS10_IS15_E10value_typeET4_jRbjT5_S1B_jjP12ihipStream_tbEUljE_EEESW_SX_SY_S15_S19_S1B_T6_T7_T9_mT8_S1D_bDpT10_ENKUlT_T0_E_clISt17integral_constantIbLb0EES1P_IbLb1EEEEDaS1L_S1M_EUlS1L_E_NS1_11comp_targetILNS1_3genE9ELNS1_11target_archE1100ELNS1_3gpuE3ELNS1_3repE0EEENS1_30default_config_static_selectorELNS0_4arch9wavefront6targetE1EEEvSZ_.uses_vcc, 0
	.set _ZN7rocprim17ROCPRIM_400000_NS6detail17trampoline_kernelINS0_13select_configILj256ELj13ELNS0_17block_load_methodE3ELS4_3ELS4_3ELNS0_20block_scan_algorithmE0ELj4294967295EEENS1_25partition_config_selectorILNS1_17partition_subalgoE3EjNS0_10empty_typeEbEEZZNS1_14partition_implILS8_3ELb0ES6_jNS0_17counting_iteratorIjlEEPS9_SE_NS0_5tupleIJPjSE_EEENSF_IJSE_SE_EEES9_SG_JZNS1_25segmented_radix_sort_implINS0_14default_configELb1EPK6__halfPSL_PKlPlN2at6native12_GLOBAL__N_18offset_tEEE10hipError_tPvRmT1_PNSt15iterator_traitsISZ_E10value_typeET2_T3_PNS10_IS15_E10value_typeET4_jRbjT5_S1B_jjP12ihipStream_tbEUljE_EEESW_SX_SY_S15_S19_S1B_T6_T7_T9_mT8_S1D_bDpT10_ENKUlT_T0_E_clISt17integral_constantIbLb0EES1P_IbLb1EEEEDaS1L_S1M_EUlS1L_E_NS1_11comp_targetILNS1_3genE9ELNS1_11target_archE1100ELNS1_3gpuE3ELNS1_3repE0EEENS1_30default_config_static_selectorELNS0_4arch9wavefront6targetE1EEEvSZ_.uses_flat_scratch, 0
	.set _ZN7rocprim17ROCPRIM_400000_NS6detail17trampoline_kernelINS0_13select_configILj256ELj13ELNS0_17block_load_methodE3ELS4_3ELS4_3ELNS0_20block_scan_algorithmE0ELj4294967295EEENS1_25partition_config_selectorILNS1_17partition_subalgoE3EjNS0_10empty_typeEbEEZZNS1_14partition_implILS8_3ELb0ES6_jNS0_17counting_iteratorIjlEEPS9_SE_NS0_5tupleIJPjSE_EEENSF_IJSE_SE_EEES9_SG_JZNS1_25segmented_radix_sort_implINS0_14default_configELb1EPK6__halfPSL_PKlPlN2at6native12_GLOBAL__N_18offset_tEEE10hipError_tPvRmT1_PNSt15iterator_traitsISZ_E10value_typeET2_T3_PNS10_IS15_E10value_typeET4_jRbjT5_S1B_jjP12ihipStream_tbEUljE_EEESW_SX_SY_S15_S19_S1B_T6_T7_T9_mT8_S1D_bDpT10_ENKUlT_T0_E_clISt17integral_constantIbLb0EES1P_IbLb1EEEEDaS1L_S1M_EUlS1L_E_NS1_11comp_targetILNS1_3genE9ELNS1_11target_archE1100ELNS1_3gpuE3ELNS1_3repE0EEENS1_30default_config_static_selectorELNS0_4arch9wavefront6targetE1EEEvSZ_.has_dyn_sized_stack, 0
	.set _ZN7rocprim17ROCPRIM_400000_NS6detail17trampoline_kernelINS0_13select_configILj256ELj13ELNS0_17block_load_methodE3ELS4_3ELS4_3ELNS0_20block_scan_algorithmE0ELj4294967295EEENS1_25partition_config_selectorILNS1_17partition_subalgoE3EjNS0_10empty_typeEbEEZZNS1_14partition_implILS8_3ELb0ES6_jNS0_17counting_iteratorIjlEEPS9_SE_NS0_5tupleIJPjSE_EEENSF_IJSE_SE_EEES9_SG_JZNS1_25segmented_radix_sort_implINS0_14default_configELb1EPK6__halfPSL_PKlPlN2at6native12_GLOBAL__N_18offset_tEEE10hipError_tPvRmT1_PNSt15iterator_traitsISZ_E10value_typeET2_T3_PNS10_IS15_E10value_typeET4_jRbjT5_S1B_jjP12ihipStream_tbEUljE_EEESW_SX_SY_S15_S19_S1B_T6_T7_T9_mT8_S1D_bDpT10_ENKUlT_T0_E_clISt17integral_constantIbLb0EES1P_IbLb1EEEEDaS1L_S1M_EUlS1L_E_NS1_11comp_targetILNS1_3genE9ELNS1_11target_archE1100ELNS1_3gpuE3ELNS1_3repE0EEENS1_30default_config_static_selectorELNS0_4arch9wavefront6targetE1EEEvSZ_.has_recursion, 0
	.set _ZN7rocprim17ROCPRIM_400000_NS6detail17trampoline_kernelINS0_13select_configILj256ELj13ELNS0_17block_load_methodE3ELS4_3ELS4_3ELNS0_20block_scan_algorithmE0ELj4294967295EEENS1_25partition_config_selectorILNS1_17partition_subalgoE3EjNS0_10empty_typeEbEEZZNS1_14partition_implILS8_3ELb0ES6_jNS0_17counting_iteratorIjlEEPS9_SE_NS0_5tupleIJPjSE_EEENSF_IJSE_SE_EEES9_SG_JZNS1_25segmented_radix_sort_implINS0_14default_configELb1EPK6__halfPSL_PKlPlN2at6native12_GLOBAL__N_18offset_tEEE10hipError_tPvRmT1_PNSt15iterator_traitsISZ_E10value_typeET2_T3_PNS10_IS15_E10value_typeET4_jRbjT5_S1B_jjP12ihipStream_tbEUljE_EEESW_SX_SY_S15_S19_S1B_T6_T7_T9_mT8_S1D_bDpT10_ENKUlT_T0_E_clISt17integral_constantIbLb0EES1P_IbLb1EEEEDaS1L_S1M_EUlS1L_E_NS1_11comp_targetILNS1_3genE9ELNS1_11target_archE1100ELNS1_3gpuE3ELNS1_3repE0EEENS1_30default_config_static_selectorELNS0_4arch9wavefront6targetE1EEEvSZ_.has_indirect_call, 0
	.section	.AMDGPU.csdata,"",@progbits
; Kernel info:
; codeLenInByte = 0
; TotalNumSgprs: 4
; NumVgprs: 0
; ScratchSize: 0
; MemoryBound: 0
; FloatMode: 240
; IeeeMode: 1
; LDSByteSize: 0 bytes/workgroup (compile time only)
; SGPRBlocks: 0
; VGPRBlocks: 0
; NumSGPRsForWavesPerEU: 4
; NumVGPRsForWavesPerEU: 1
; Occupancy: 10
; WaveLimiterHint : 0
; COMPUTE_PGM_RSRC2:SCRATCH_EN: 0
; COMPUTE_PGM_RSRC2:USER_SGPR: 6
; COMPUTE_PGM_RSRC2:TRAP_HANDLER: 0
; COMPUTE_PGM_RSRC2:TGID_X_EN: 1
; COMPUTE_PGM_RSRC2:TGID_Y_EN: 0
; COMPUTE_PGM_RSRC2:TGID_Z_EN: 0
; COMPUTE_PGM_RSRC2:TIDIG_COMP_CNT: 0
	.section	.text._ZN7rocprim17ROCPRIM_400000_NS6detail17trampoline_kernelINS0_13select_configILj256ELj13ELNS0_17block_load_methodE3ELS4_3ELS4_3ELNS0_20block_scan_algorithmE0ELj4294967295EEENS1_25partition_config_selectorILNS1_17partition_subalgoE3EjNS0_10empty_typeEbEEZZNS1_14partition_implILS8_3ELb0ES6_jNS0_17counting_iteratorIjlEEPS9_SE_NS0_5tupleIJPjSE_EEENSF_IJSE_SE_EEES9_SG_JZNS1_25segmented_radix_sort_implINS0_14default_configELb1EPK6__halfPSL_PKlPlN2at6native12_GLOBAL__N_18offset_tEEE10hipError_tPvRmT1_PNSt15iterator_traitsISZ_E10value_typeET2_T3_PNS10_IS15_E10value_typeET4_jRbjT5_S1B_jjP12ihipStream_tbEUljE_EEESW_SX_SY_S15_S19_S1B_T6_T7_T9_mT8_S1D_bDpT10_ENKUlT_T0_E_clISt17integral_constantIbLb0EES1P_IbLb1EEEEDaS1L_S1M_EUlS1L_E_NS1_11comp_targetILNS1_3genE8ELNS1_11target_archE1030ELNS1_3gpuE2ELNS1_3repE0EEENS1_30default_config_static_selectorELNS0_4arch9wavefront6targetE1EEEvSZ_,"axG",@progbits,_ZN7rocprim17ROCPRIM_400000_NS6detail17trampoline_kernelINS0_13select_configILj256ELj13ELNS0_17block_load_methodE3ELS4_3ELS4_3ELNS0_20block_scan_algorithmE0ELj4294967295EEENS1_25partition_config_selectorILNS1_17partition_subalgoE3EjNS0_10empty_typeEbEEZZNS1_14partition_implILS8_3ELb0ES6_jNS0_17counting_iteratorIjlEEPS9_SE_NS0_5tupleIJPjSE_EEENSF_IJSE_SE_EEES9_SG_JZNS1_25segmented_radix_sort_implINS0_14default_configELb1EPK6__halfPSL_PKlPlN2at6native12_GLOBAL__N_18offset_tEEE10hipError_tPvRmT1_PNSt15iterator_traitsISZ_E10value_typeET2_T3_PNS10_IS15_E10value_typeET4_jRbjT5_S1B_jjP12ihipStream_tbEUljE_EEESW_SX_SY_S15_S19_S1B_T6_T7_T9_mT8_S1D_bDpT10_ENKUlT_T0_E_clISt17integral_constantIbLb0EES1P_IbLb1EEEEDaS1L_S1M_EUlS1L_E_NS1_11comp_targetILNS1_3genE8ELNS1_11target_archE1030ELNS1_3gpuE2ELNS1_3repE0EEENS1_30default_config_static_selectorELNS0_4arch9wavefront6targetE1EEEvSZ_,comdat
	.globl	_ZN7rocprim17ROCPRIM_400000_NS6detail17trampoline_kernelINS0_13select_configILj256ELj13ELNS0_17block_load_methodE3ELS4_3ELS4_3ELNS0_20block_scan_algorithmE0ELj4294967295EEENS1_25partition_config_selectorILNS1_17partition_subalgoE3EjNS0_10empty_typeEbEEZZNS1_14partition_implILS8_3ELb0ES6_jNS0_17counting_iteratorIjlEEPS9_SE_NS0_5tupleIJPjSE_EEENSF_IJSE_SE_EEES9_SG_JZNS1_25segmented_radix_sort_implINS0_14default_configELb1EPK6__halfPSL_PKlPlN2at6native12_GLOBAL__N_18offset_tEEE10hipError_tPvRmT1_PNSt15iterator_traitsISZ_E10value_typeET2_T3_PNS10_IS15_E10value_typeET4_jRbjT5_S1B_jjP12ihipStream_tbEUljE_EEESW_SX_SY_S15_S19_S1B_T6_T7_T9_mT8_S1D_bDpT10_ENKUlT_T0_E_clISt17integral_constantIbLb0EES1P_IbLb1EEEEDaS1L_S1M_EUlS1L_E_NS1_11comp_targetILNS1_3genE8ELNS1_11target_archE1030ELNS1_3gpuE2ELNS1_3repE0EEENS1_30default_config_static_selectorELNS0_4arch9wavefront6targetE1EEEvSZ_ ; -- Begin function _ZN7rocprim17ROCPRIM_400000_NS6detail17trampoline_kernelINS0_13select_configILj256ELj13ELNS0_17block_load_methodE3ELS4_3ELS4_3ELNS0_20block_scan_algorithmE0ELj4294967295EEENS1_25partition_config_selectorILNS1_17partition_subalgoE3EjNS0_10empty_typeEbEEZZNS1_14partition_implILS8_3ELb0ES6_jNS0_17counting_iteratorIjlEEPS9_SE_NS0_5tupleIJPjSE_EEENSF_IJSE_SE_EEES9_SG_JZNS1_25segmented_radix_sort_implINS0_14default_configELb1EPK6__halfPSL_PKlPlN2at6native12_GLOBAL__N_18offset_tEEE10hipError_tPvRmT1_PNSt15iterator_traitsISZ_E10value_typeET2_T3_PNS10_IS15_E10value_typeET4_jRbjT5_S1B_jjP12ihipStream_tbEUljE_EEESW_SX_SY_S15_S19_S1B_T6_T7_T9_mT8_S1D_bDpT10_ENKUlT_T0_E_clISt17integral_constantIbLb0EES1P_IbLb1EEEEDaS1L_S1M_EUlS1L_E_NS1_11comp_targetILNS1_3genE8ELNS1_11target_archE1030ELNS1_3gpuE2ELNS1_3repE0EEENS1_30default_config_static_selectorELNS0_4arch9wavefront6targetE1EEEvSZ_
	.p2align	8
	.type	_ZN7rocprim17ROCPRIM_400000_NS6detail17trampoline_kernelINS0_13select_configILj256ELj13ELNS0_17block_load_methodE3ELS4_3ELS4_3ELNS0_20block_scan_algorithmE0ELj4294967295EEENS1_25partition_config_selectorILNS1_17partition_subalgoE3EjNS0_10empty_typeEbEEZZNS1_14partition_implILS8_3ELb0ES6_jNS0_17counting_iteratorIjlEEPS9_SE_NS0_5tupleIJPjSE_EEENSF_IJSE_SE_EEES9_SG_JZNS1_25segmented_radix_sort_implINS0_14default_configELb1EPK6__halfPSL_PKlPlN2at6native12_GLOBAL__N_18offset_tEEE10hipError_tPvRmT1_PNSt15iterator_traitsISZ_E10value_typeET2_T3_PNS10_IS15_E10value_typeET4_jRbjT5_S1B_jjP12ihipStream_tbEUljE_EEESW_SX_SY_S15_S19_S1B_T6_T7_T9_mT8_S1D_bDpT10_ENKUlT_T0_E_clISt17integral_constantIbLb0EES1P_IbLb1EEEEDaS1L_S1M_EUlS1L_E_NS1_11comp_targetILNS1_3genE8ELNS1_11target_archE1030ELNS1_3gpuE2ELNS1_3repE0EEENS1_30default_config_static_selectorELNS0_4arch9wavefront6targetE1EEEvSZ_,@function
_ZN7rocprim17ROCPRIM_400000_NS6detail17trampoline_kernelINS0_13select_configILj256ELj13ELNS0_17block_load_methodE3ELS4_3ELS4_3ELNS0_20block_scan_algorithmE0ELj4294967295EEENS1_25partition_config_selectorILNS1_17partition_subalgoE3EjNS0_10empty_typeEbEEZZNS1_14partition_implILS8_3ELb0ES6_jNS0_17counting_iteratorIjlEEPS9_SE_NS0_5tupleIJPjSE_EEENSF_IJSE_SE_EEES9_SG_JZNS1_25segmented_radix_sort_implINS0_14default_configELb1EPK6__halfPSL_PKlPlN2at6native12_GLOBAL__N_18offset_tEEE10hipError_tPvRmT1_PNSt15iterator_traitsISZ_E10value_typeET2_T3_PNS10_IS15_E10value_typeET4_jRbjT5_S1B_jjP12ihipStream_tbEUljE_EEESW_SX_SY_S15_S19_S1B_T6_T7_T9_mT8_S1D_bDpT10_ENKUlT_T0_E_clISt17integral_constantIbLb0EES1P_IbLb1EEEEDaS1L_S1M_EUlS1L_E_NS1_11comp_targetILNS1_3genE8ELNS1_11target_archE1030ELNS1_3gpuE2ELNS1_3repE0EEENS1_30default_config_static_selectorELNS0_4arch9wavefront6targetE1EEEvSZ_: ; @_ZN7rocprim17ROCPRIM_400000_NS6detail17trampoline_kernelINS0_13select_configILj256ELj13ELNS0_17block_load_methodE3ELS4_3ELS4_3ELNS0_20block_scan_algorithmE0ELj4294967295EEENS1_25partition_config_selectorILNS1_17partition_subalgoE3EjNS0_10empty_typeEbEEZZNS1_14partition_implILS8_3ELb0ES6_jNS0_17counting_iteratorIjlEEPS9_SE_NS0_5tupleIJPjSE_EEENSF_IJSE_SE_EEES9_SG_JZNS1_25segmented_radix_sort_implINS0_14default_configELb1EPK6__halfPSL_PKlPlN2at6native12_GLOBAL__N_18offset_tEEE10hipError_tPvRmT1_PNSt15iterator_traitsISZ_E10value_typeET2_T3_PNS10_IS15_E10value_typeET4_jRbjT5_S1B_jjP12ihipStream_tbEUljE_EEESW_SX_SY_S15_S19_S1B_T6_T7_T9_mT8_S1D_bDpT10_ENKUlT_T0_E_clISt17integral_constantIbLb0EES1P_IbLb1EEEEDaS1L_S1M_EUlS1L_E_NS1_11comp_targetILNS1_3genE8ELNS1_11target_archE1030ELNS1_3gpuE2ELNS1_3repE0EEENS1_30default_config_static_selectorELNS0_4arch9wavefront6targetE1EEEvSZ_
; %bb.0:
	.section	.rodata,"a",@progbits
	.p2align	6, 0x0
	.amdhsa_kernel _ZN7rocprim17ROCPRIM_400000_NS6detail17trampoline_kernelINS0_13select_configILj256ELj13ELNS0_17block_load_methodE3ELS4_3ELS4_3ELNS0_20block_scan_algorithmE0ELj4294967295EEENS1_25partition_config_selectorILNS1_17partition_subalgoE3EjNS0_10empty_typeEbEEZZNS1_14partition_implILS8_3ELb0ES6_jNS0_17counting_iteratorIjlEEPS9_SE_NS0_5tupleIJPjSE_EEENSF_IJSE_SE_EEES9_SG_JZNS1_25segmented_radix_sort_implINS0_14default_configELb1EPK6__halfPSL_PKlPlN2at6native12_GLOBAL__N_18offset_tEEE10hipError_tPvRmT1_PNSt15iterator_traitsISZ_E10value_typeET2_T3_PNS10_IS15_E10value_typeET4_jRbjT5_S1B_jjP12ihipStream_tbEUljE_EEESW_SX_SY_S15_S19_S1B_T6_T7_T9_mT8_S1D_bDpT10_ENKUlT_T0_E_clISt17integral_constantIbLb0EES1P_IbLb1EEEEDaS1L_S1M_EUlS1L_E_NS1_11comp_targetILNS1_3genE8ELNS1_11target_archE1030ELNS1_3gpuE2ELNS1_3repE0EEENS1_30default_config_static_selectorELNS0_4arch9wavefront6targetE1EEEvSZ_
		.amdhsa_group_segment_fixed_size 0
		.amdhsa_private_segment_fixed_size 0
		.amdhsa_kernarg_size 152
		.amdhsa_user_sgpr_count 6
		.amdhsa_user_sgpr_private_segment_buffer 1
		.amdhsa_user_sgpr_dispatch_ptr 0
		.amdhsa_user_sgpr_queue_ptr 0
		.amdhsa_user_sgpr_kernarg_segment_ptr 1
		.amdhsa_user_sgpr_dispatch_id 0
		.amdhsa_user_sgpr_flat_scratch_init 0
		.amdhsa_user_sgpr_private_segment_size 0
		.amdhsa_uses_dynamic_stack 0
		.amdhsa_system_sgpr_private_segment_wavefront_offset 0
		.amdhsa_system_sgpr_workgroup_id_x 1
		.amdhsa_system_sgpr_workgroup_id_y 0
		.amdhsa_system_sgpr_workgroup_id_z 0
		.amdhsa_system_sgpr_workgroup_info 0
		.amdhsa_system_vgpr_workitem_id 0
		.amdhsa_next_free_vgpr 1
		.amdhsa_next_free_sgpr 0
		.amdhsa_reserve_vcc 0
		.amdhsa_reserve_flat_scratch 0
		.amdhsa_float_round_mode_32 0
		.amdhsa_float_round_mode_16_64 0
		.amdhsa_float_denorm_mode_32 3
		.amdhsa_float_denorm_mode_16_64 3
		.amdhsa_dx10_clamp 1
		.amdhsa_ieee_mode 1
		.amdhsa_fp16_overflow 0
		.amdhsa_exception_fp_ieee_invalid_op 0
		.amdhsa_exception_fp_denorm_src 0
		.amdhsa_exception_fp_ieee_div_zero 0
		.amdhsa_exception_fp_ieee_overflow 0
		.amdhsa_exception_fp_ieee_underflow 0
		.amdhsa_exception_fp_ieee_inexact 0
		.amdhsa_exception_int_div_zero 0
	.end_amdhsa_kernel
	.section	.text._ZN7rocprim17ROCPRIM_400000_NS6detail17trampoline_kernelINS0_13select_configILj256ELj13ELNS0_17block_load_methodE3ELS4_3ELS4_3ELNS0_20block_scan_algorithmE0ELj4294967295EEENS1_25partition_config_selectorILNS1_17partition_subalgoE3EjNS0_10empty_typeEbEEZZNS1_14partition_implILS8_3ELb0ES6_jNS0_17counting_iteratorIjlEEPS9_SE_NS0_5tupleIJPjSE_EEENSF_IJSE_SE_EEES9_SG_JZNS1_25segmented_radix_sort_implINS0_14default_configELb1EPK6__halfPSL_PKlPlN2at6native12_GLOBAL__N_18offset_tEEE10hipError_tPvRmT1_PNSt15iterator_traitsISZ_E10value_typeET2_T3_PNS10_IS15_E10value_typeET4_jRbjT5_S1B_jjP12ihipStream_tbEUljE_EEESW_SX_SY_S15_S19_S1B_T6_T7_T9_mT8_S1D_bDpT10_ENKUlT_T0_E_clISt17integral_constantIbLb0EES1P_IbLb1EEEEDaS1L_S1M_EUlS1L_E_NS1_11comp_targetILNS1_3genE8ELNS1_11target_archE1030ELNS1_3gpuE2ELNS1_3repE0EEENS1_30default_config_static_selectorELNS0_4arch9wavefront6targetE1EEEvSZ_,"axG",@progbits,_ZN7rocprim17ROCPRIM_400000_NS6detail17trampoline_kernelINS0_13select_configILj256ELj13ELNS0_17block_load_methodE3ELS4_3ELS4_3ELNS0_20block_scan_algorithmE0ELj4294967295EEENS1_25partition_config_selectorILNS1_17partition_subalgoE3EjNS0_10empty_typeEbEEZZNS1_14partition_implILS8_3ELb0ES6_jNS0_17counting_iteratorIjlEEPS9_SE_NS0_5tupleIJPjSE_EEENSF_IJSE_SE_EEES9_SG_JZNS1_25segmented_radix_sort_implINS0_14default_configELb1EPK6__halfPSL_PKlPlN2at6native12_GLOBAL__N_18offset_tEEE10hipError_tPvRmT1_PNSt15iterator_traitsISZ_E10value_typeET2_T3_PNS10_IS15_E10value_typeET4_jRbjT5_S1B_jjP12ihipStream_tbEUljE_EEESW_SX_SY_S15_S19_S1B_T6_T7_T9_mT8_S1D_bDpT10_ENKUlT_T0_E_clISt17integral_constantIbLb0EES1P_IbLb1EEEEDaS1L_S1M_EUlS1L_E_NS1_11comp_targetILNS1_3genE8ELNS1_11target_archE1030ELNS1_3gpuE2ELNS1_3repE0EEENS1_30default_config_static_selectorELNS0_4arch9wavefront6targetE1EEEvSZ_,comdat
.Lfunc_end1738:
	.size	_ZN7rocprim17ROCPRIM_400000_NS6detail17trampoline_kernelINS0_13select_configILj256ELj13ELNS0_17block_load_methodE3ELS4_3ELS4_3ELNS0_20block_scan_algorithmE0ELj4294967295EEENS1_25partition_config_selectorILNS1_17partition_subalgoE3EjNS0_10empty_typeEbEEZZNS1_14partition_implILS8_3ELb0ES6_jNS0_17counting_iteratorIjlEEPS9_SE_NS0_5tupleIJPjSE_EEENSF_IJSE_SE_EEES9_SG_JZNS1_25segmented_radix_sort_implINS0_14default_configELb1EPK6__halfPSL_PKlPlN2at6native12_GLOBAL__N_18offset_tEEE10hipError_tPvRmT1_PNSt15iterator_traitsISZ_E10value_typeET2_T3_PNS10_IS15_E10value_typeET4_jRbjT5_S1B_jjP12ihipStream_tbEUljE_EEESW_SX_SY_S15_S19_S1B_T6_T7_T9_mT8_S1D_bDpT10_ENKUlT_T0_E_clISt17integral_constantIbLb0EES1P_IbLb1EEEEDaS1L_S1M_EUlS1L_E_NS1_11comp_targetILNS1_3genE8ELNS1_11target_archE1030ELNS1_3gpuE2ELNS1_3repE0EEENS1_30default_config_static_selectorELNS0_4arch9wavefront6targetE1EEEvSZ_, .Lfunc_end1738-_ZN7rocprim17ROCPRIM_400000_NS6detail17trampoline_kernelINS0_13select_configILj256ELj13ELNS0_17block_load_methodE3ELS4_3ELS4_3ELNS0_20block_scan_algorithmE0ELj4294967295EEENS1_25partition_config_selectorILNS1_17partition_subalgoE3EjNS0_10empty_typeEbEEZZNS1_14partition_implILS8_3ELb0ES6_jNS0_17counting_iteratorIjlEEPS9_SE_NS0_5tupleIJPjSE_EEENSF_IJSE_SE_EEES9_SG_JZNS1_25segmented_radix_sort_implINS0_14default_configELb1EPK6__halfPSL_PKlPlN2at6native12_GLOBAL__N_18offset_tEEE10hipError_tPvRmT1_PNSt15iterator_traitsISZ_E10value_typeET2_T3_PNS10_IS15_E10value_typeET4_jRbjT5_S1B_jjP12ihipStream_tbEUljE_EEESW_SX_SY_S15_S19_S1B_T6_T7_T9_mT8_S1D_bDpT10_ENKUlT_T0_E_clISt17integral_constantIbLb0EES1P_IbLb1EEEEDaS1L_S1M_EUlS1L_E_NS1_11comp_targetILNS1_3genE8ELNS1_11target_archE1030ELNS1_3gpuE2ELNS1_3repE0EEENS1_30default_config_static_selectorELNS0_4arch9wavefront6targetE1EEEvSZ_
                                        ; -- End function
	.set _ZN7rocprim17ROCPRIM_400000_NS6detail17trampoline_kernelINS0_13select_configILj256ELj13ELNS0_17block_load_methodE3ELS4_3ELS4_3ELNS0_20block_scan_algorithmE0ELj4294967295EEENS1_25partition_config_selectorILNS1_17partition_subalgoE3EjNS0_10empty_typeEbEEZZNS1_14partition_implILS8_3ELb0ES6_jNS0_17counting_iteratorIjlEEPS9_SE_NS0_5tupleIJPjSE_EEENSF_IJSE_SE_EEES9_SG_JZNS1_25segmented_radix_sort_implINS0_14default_configELb1EPK6__halfPSL_PKlPlN2at6native12_GLOBAL__N_18offset_tEEE10hipError_tPvRmT1_PNSt15iterator_traitsISZ_E10value_typeET2_T3_PNS10_IS15_E10value_typeET4_jRbjT5_S1B_jjP12ihipStream_tbEUljE_EEESW_SX_SY_S15_S19_S1B_T6_T7_T9_mT8_S1D_bDpT10_ENKUlT_T0_E_clISt17integral_constantIbLb0EES1P_IbLb1EEEEDaS1L_S1M_EUlS1L_E_NS1_11comp_targetILNS1_3genE8ELNS1_11target_archE1030ELNS1_3gpuE2ELNS1_3repE0EEENS1_30default_config_static_selectorELNS0_4arch9wavefront6targetE1EEEvSZ_.num_vgpr, 0
	.set _ZN7rocprim17ROCPRIM_400000_NS6detail17trampoline_kernelINS0_13select_configILj256ELj13ELNS0_17block_load_methodE3ELS4_3ELS4_3ELNS0_20block_scan_algorithmE0ELj4294967295EEENS1_25partition_config_selectorILNS1_17partition_subalgoE3EjNS0_10empty_typeEbEEZZNS1_14partition_implILS8_3ELb0ES6_jNS0_17counting_iteratorIjlEEPS9_SE_NS0_5tupleIJPjSE_EEENSF_IJSE_SE_EEES9_SG_JZNS1_25segmented_radix_sort_implINS0_14default_configELb1EPK6__halfPSL_PKlPlN2at6native12_GLOBAL__N_18offset_tEEE10hipError_tPvRmT1_PNSt15iterator_traitsISZ_E10value_typeET2_T3_PNS10_IS15_E10value_typeET4_jRbjT5_S1B_jjP12ihipStream_tbEUljE_EEESW_SX_SY_S15_S19_S1B_T6_T7_T9_mT8_S1D_bDpT10_ENKUlT_T0_E_clISt17integral_constantIbLb0EES1P_IbLb1EEEEDaS1L_S1M_EUlS1L_E_NS1_11comp_targetILNS1_3genE8ELNS1_11target_archE1030ELNS1_3gpuE2ELNS1_3repE0EEENS1_30default_config_static_selectorELNS0_4arch9wavefront6targetE1EEEvSZ_.num_agpr, 0
	.set _ZN7rocprim17ROCPRIM_400000_NS6detail17trampoline_kernelINS0_13select_configILj256ELj13ELNS0_17block_load_methodE3ELS4_3ELS4_3ELNS0_20block_scan_algorithmE0ELj4294967295EEENS1_25partition_config_selectorILNS1_17partition_subalgoE3EjNS0_10empty_typeEbEEZZNS1_14partition_implILS8_3ELb0ES6_jNS0_17counting_iteratorIjlEEPS9_SE_NS0_5tupleIJPjSE_EEENSF_IJSE_SE_EEES9_SG_JZNS1_25segmented_radix_sort_implINS0_14default_configELb1EPK6__halfPSL_PKlPlN2at6native12_GLOBAL__N_18offset_tEEE10hipError_tPvRmT1_PNSt15iterator_traitsISZ_E10value_typeET2_T3_PNS10_IS15_E10value_typeET4_jRbjT5_S1B_jjP12ihipStream_tbEUljE_EEESW_SX_SY_S15_S19_S1B_T6_T7_T9_mT8_S1D_bDpT10_ENKUlT_T0_E_clISt17integral_constantIbLb0EES1P_IbLb1EEEEDaS1L_S1M_EUlS1L_E_NS1_11comp_targetILNS1_3genE8ELNS1_11target_archE1030ELNS1_3gpuE2ELNS1_3repE0EEENS1_30default_config_static_selectorELNS0_4arch9wavefront6targetE1EEEvSZ_.numbered_sgpr, 0
	.set _ZN7rocprim17ROCPRIM_400000_NS6detail17trampoline_kernelINS0_13select_configILj256ELj13ELNS0_17block_load_methodE3ELS4_3ELS4_3ELNS0_20block_scan_algorithmE0ELj4294967295EEENS1_25partition_config_selectorILNS1_17partition_subalgoE3EjNS0_10empty_typeEbEEZZNS1_14partition_implILS8_3ELb0ES6_jNS0_17counting_iteratorIjlEEPS9_SE_NS0_5tupleIJPjSE_EEENSF_IJSE_SE_EEES9_SG_JZNS1_25segmented_radix_sort_implINS0_14default_configELb1EPK6__halfPSL_PKlPlN2at6native12_GLOBAL__N_18offset_tEEE10hipError_tPvRmT1_PNSt15iterator_traitsISZ_E10value_typeET2_T3_PNS10_IS15_E10value_typeET4_jRbjT5_S1B_jjP12ihipStream_tbEUljE_EEESW_SX_SY_S15_S19_S1B_T6_T7_T9_mT8_S1D_bDpT10_ENKUlT_T0_E_clISt17integral_constantIbLb0EES1P_IbLb1EEEEDaS1L_S1M_EUlS1L_E_NS1_11comp_targetILNS1_3genE8ELNS1_11target_archE1030ELNS1_3gpuE2ELNS1_3repE0EEENS1_30default_config_static_selectorELNS0_4arch9wavefront6targetE1EEEvSZ_.num_named_barrier, 0
	.set _ZN7rocprim17ROCPRIM_400000_NS6detail17trampoline_kernelINS0_13select_configILj256ELj13ELNS0_17block_load_methodE3ELS4_3ELS4_3ELNS0_20block_scan_algorithmE0ELj4294967295EEENS1_25partition_config_selectorILNS1_17partition_subalgoE3EjNS0_10empty_typeEbEEZZNS1_14partition_implILS8_3ELb0ES6_jNS0_17counting_iteratorIjlEEPS9_SE_NS0_5tupleIJPjSE_EEENSF_IJSE_SE_EEES9_SG_JZNS1_25segmented_radix_sort_implINS0_14default_configELb1EPK6__halfPSL_PKlPlN2at6native12_GLOBAL__N_18offset_tEEE10hipError_tPvRmT1_PNSt15iterator_traitsISZ_E10value_typeET2_T3_PNS10_IS15_E10value_typeET4_jRbjT5_S1B_jjP12ihipStream_tbEUljE_EEESW_SX_SY_S15_S19_S1B_T6_T7_T9_mT8_S1D_bDpT10_ENKUlT_T0_E_clISt17integral_constantIbLb0EES1P_IbLb1EEEEDaS1L_S1M_EUlS1L_E_NS1_11comp_targetILNS1_3genE8ELNS1_11target_archE1030ELNS1_3gpuE2ELNS1_3repE0EEENS1_30default_config_static_selectorELNS0_4arch9wavefront6targetE1EEEvSZ_.private_seg_size, 0
	.set _ZN7rocprim17ROCPRIM_400000_NS6detail17trampoline_kernelINS0_13select_configILj256ELj13ELNS0_17block_load_methodE3ELS4_3ELS4_3ELNS0_20block_scan_algorithmE0ELj4294967295EEENS1_25partition_config_selectorILNS1_17partition_subalgoE3EjNS0_10empty_typeEbEEZZNS1_14partition_implILS8_3ELb0ES6_jNS0_17counting_iteratorIjlEEPS9_SE_NS0_5tupleIJPjSE_EEENSF_IJSE_SE_EEES9_SG_JZNS1_25segmented_radix_sort_implINS0_14default_configELb1EPK6__halfPSL_PKlPlN2at6native12_GLOBAL__N_18offset_tEEE10hipError_tPvRmT1_PNSt15iterator_traitsISZ_E10value_typeET2_T3_PNS10_IS15_E10value_typeET4_jRbjT5_S1B_jjP12ihipStream_tbEUljE_EEESW_SX_SY_S15_S19_S1B_T6_T7_T9_mT8_S1D_bDpT10_ENKUlT_T0_E_clISt17integral_constantIbLb0EES1P_IbLb1EEEEDaS1L_S1M_EUlS1L_E_NS1_11comp_targetILNS1_3genE8ELNS1_11target_archE1030ELNS1_3gpuE2ELNS1_3repE0EEENS1_30default_config_static_selectorELNS0_4arch9wavefront6targetE1EEEvSZ_.uses_vcc, 0
	.set _ZN7rocprim17ROCPRIM_400000_NS6detail17trampoline_kernelINS0_13select_configILj256ELj13ELNS0_17block_load_methodE3ELS4_3ELS4_3ELNS0_20block_scan_algorithmE0ELj4294967295EEENS1_25partition_config_selectorILNS1_17partition_subalgoE3EjNS0_10empty_typeEbEEZZNS1_14partition_implILS8_3ELb0ES6_jNS0_17counting_iteratorIjlEEPS9_SE_NS0_5tupleIJPjSE_EEENSF_IJSE_SE_EEES9_SG_JZNS1_25segmented_radix_sort_implINS0_14default_configELb1EPK6__halfPSL_PKlPlN2at6native12_GLOBAL__N_18offset_tEEE10hipError_tPvRmT1_PNSt15iterator_traitsISZ_E10value_typeET2_T3_PNS10_IS15_E10value_typeET4_jRbjT5_S1B_jjP12ihipStream_tbEUljE_EEESW_SX_SY_S15_S19_S1B_T6_T7_T9_mT8_S1D_bDpT10_ENKUlT_T0_E_clISt17integral_constantIbLb0EES1P_IbLb1EEEEDaS1L_S1M_EUlS1L_E_NS1_11comp_targetILNS1_3genE8ELNS1_11target_archE1030ELNS1_3gpuE2ELNS1_3repE0EEENS1_30default_config_static_selectorELNS0_4arch9wavefront6targetE1EEEvSZ_.uses_flat_scratch, 0
	.set _ZN7rocprim17ROCPRIM_400000_NS6detail17trampoline_kernelINS0_13select_configILj256ELj13ELNS0_17block_load_methodE3ELS4_3ELS4_3ELNS0_20block_scan_algorithmE0ELj4294967295EEENS1_25partition_config_selectorILNS1_17partition_subalgoE3EjNS0_10empty_typeEbEEZZNS1_14partition_implILS8_3ELb0ES6_jNS0_17counting_iteratorIjlEEPS9_SE_NS0_5tupleIJPjSE_EEENSF_IJSE_SE_EEES9_SG_JZNS1_25segmented_radix_sort_implINS0_14default_configELb1EPK6__halfPSL_PKlPlN2at6native12_GLOBAL__N_18offset_tEEE10hipError_tPvRmT1_PNSt15iterator_traitsISZ_E10value_typeET2_T3_PNS10_IS15_E10value_typeET4_jRbjT5_S1B_jjP12ihipStream_tbEUljE_EEESW_SX_SY_S15_S19_S1B_T6_T7_T9_mT8_S1D_bDpT10_ENKUlT_T0_E_clISt17integral_constantIbLb0EES1P_IbLb1EEEEDaS1L_S1M_EUlS1L_E_NS1_11comp_targetILNS1_3genE8ELNS1_11target_archE1030ELNS1_3gpuE2ELNS1_3repE0EEENS1_30default_config_static_selectorELNS0_4arch9wavefront6targetE1EEEvSZ_.has_dyn_sized_stack, 0
	.set _ZN7rocprim17ROCPRIM_400000_NS6detail17trampoline_kernelINS0_13select_configILj256ELj13ELNS0_17block_load_methodE3ELS4_3ELS4_3ELNS0_20block_scan_algorithmE0ELj4294967295EEENS1_25partition_config_selectorILNS1_17partition_subalgoE3EjNS0_10empty_typeEbEEZZNS1_14partition_implILS8_3ELb0ES6_jNS0_17counting_iteratorIjlEEPS9_SE_NS0_5tupleIJPjSE_EEENSF_IJSE_SE_EEES9_SG_JZNS1_25segmented_radix_sort_implINS0_14default_configELb1EPK6__halfPSL_PKlPlN2at6native12_GLOBAL__N_18offset_tEEE10hipError_tPvRmT1_PNSt15iterator_traitsISZ_E10value_typeET2_T3_PNS10_IS15_E10value_typeET4_jRbjT5_S1B_jjP12ihipStream_tbEUljE_EEESW_SX_SY_S15_S19_S1B_T6_T7_T9_mT8_S1D_bDpT10_ENKUlT_T0_E_clISt17integral_constantIbLb0EES1P_IbLb1EEEEDaS1L_S1M_EUlS1L_E_NS1_11comp_targetILNS1_3genE8ELNS1_11target_archE1030ELNS1_3gpuE2ELNS1_3repE0EEENS1_30default_config_static_selectorELNS0_4arch9wavefront6targetE1EEEvSZ_.has_recursion, 0
	.set _ZN7rocprim17ROCPRIM_400000_NS6detail17trampoline_kernelINS0_13select_configILj256ELj13ELNS0_17block_load_methodE3ELS4_3ELS4_3ELNS0_20block_scan_algorithmE0ELj4294967295EEENS1_25partition_config_selectorILNS1_17partition_subalgoE3EjNS0_10empty_typeEbEEZZNS1_14partition_implILS8_3ELb0ES6_jNS0_17counting_iteratorIjlEEPS9_SE_NS0_5tupleIJPjSE_EEENSF_IJSE_SE_EEES9_SG_JZNS1_25segmented_radix_sort_implINS0_14default_configELb1EPK6__halfPSL_PKlPlN2at6native12_GLOBAL__N_18offset_tEEE10hipError_tPvRmT1_PNSt15iterator_traitsISZ_E10value_typeET2_T3_PNS10_IS15_E10value_typeET4_jRbjT5_S1B_jjP12ihipStream_tbEUljE_EEESW_SX_SY_S15_S19_S1B_T6_T7_T9_mT8_S1D_bDpT10_ENKUlT_T0_E_clISt17integral_constantIbLb0EES1P_IbLb1EEEEDaS1L_S1M_EUlS1L_E_NS1_11comp_targetILNS1_3genE8ELNS1_11target_archE1030ELNS1_3gpuE2ELNS1_3repE0EEENS1_30default_config_static_selectorELNS0_4arch9wavefront6targetE1EEEvSZ_.has_indirect_call, 0
	.section	.AMDGPU.csdata,"",@progbits
; Kernel info:
; codeLenInByte = 0
; TotalNumSgprs: 4
; NumVgprs: 0
; ScratchSize: 0
; MemoryBound: 0
; FloatMode: 240
; IeeeMode: 1
; LDSByteSize: 0 bytes/workgroup (compile time only)
; SGPRBlocks: 0
; VGPRBlocks: 0
; NumSGPRsForWavesPerEU: 4
; NumVGPRsForWavesPerEU: 1
; Occupancy: 10
; WaveLimiterHint : 0
; COMPUTE_PGM_RSRC2:SCRATCH_EN: 0
; COMPUTE_PGM_RSRC2:USER_SGPR: 6
; COMPUTE_PGM_RSRC2:TRAP_HANDLER: 0
; COMPUTE_PGM_RSRC2:TGID_X_EN: 1
; COMPUTE_PGM_RSRC2:TGID_Y_EN: 0
; COMPUTE_PGM_RSRC2:TGID_Z_EN: 0
; COMPUTE_PGM_RSRC2:TIDIG_COMP_CNT: 0
	.section	.text._ZN7rocprim17ROCPRIM_400000_NS6detail17trampoline_kernelINS0_14default_configENS1_36segmented_radix_sort_config_selectorI6__halflEEZNS1_25segmented_radix_sort_implIS3_Lb1EPKS5_PS5_PKlPlN2at6native12_GLOBAL__N_18offset_tEEE10hipError_tPvRmT1_PNSt15iterator_traitsISL_E10value_typeET2_T3_PNSM_ISR_E10value_typeET4_jRbjT5_SX_jjP12ihipStream_tbEUlT_E_NS1_11comp_targetILNS1_3genE0ELNS1_11target_archE4294967295ELNS1_3gpuE0ELNS1_3repE0EEENS1_30default_config_static_selectorELNS0_4arch9wavefront6targetE1EEEvSL_,"axG",@progbits,_ZN7rocprim17ROCPRIM_400000_NS6detail17trampoline_kernelINS0_14default_configENS1_36segmented_radix_sort_config_selectorI6__halflEEZNS1_25segmented_radix_sort_implIS3_Lb1EPKS5_PS5_PKlPlN2at6native12_GLOBAL__N_18offset_tEEE10hipError_tPvRmT1_PNSt15iterator_traitsISL_E10value_typeET2_T3_PNSM_ISR_E10value_typeET4_jRbjT5_SX_jjP12ihipStream_tbEUlT_E_NS1_11comp_targetILNS1_3genE0ELNS1_11target_archE4294967295ELNS1_3gpuE0ELNS1_3repE0EEENS1_30default_config_static_selectorELNS0_4arch9wavefront6targetE1EEEvSL_,comdat
	.globl	_ZN7rocprim17ROCPRIM_400000_NS6detail17trampoline_kernelINS0_14default_configENS1_36segmented_radix_sort_config_selectorI6__halflEEZNS1_25segmented_radix_sort_implIS3_Lb1EPKS5_PS5_PKlPlN2at6native12_GLOBAL__N_18offset_tEEE10hipError_tPvRmT1_PNSt15iterator_traitsISL_E10value_typeET2_T3_PNSM_ISR_E10value_typeET4_jRbjT5_SX_jjP12ihipStream_tbEUlT_E_NS1_11comp_targetILNS1_3genE0ELNS1_11target_archE4294967295ELNS1_3gpuE0ELNS1_3repE0EEENS1_30default_config_static_selectorELNS0_4arch9wavefront6targetE1EEEvSL_ ; -- Begin function _ZN7rocprim17ROCPRIM_400000_NS6detail17trampoline_kernelINS0_14default_configENS1_36segmented_radix_sort_config_selectorI6__halflEEZNS1_25segmented_radix_sort_implIS3_Lb1EPKS5_PS5_PKlPlN2at6native12_GLOBAL__N_18offset_tEEE10hipError_tPvRmT1_PNSt15iterator_traitsISL_E10value_typeET2_T3_PNSM_ISR_E10value_typeET4_jRbjT5_SX_jjP12ihipStream_tbEUlT_E_NS1_11comp_targetILNS1_3genE0ELNS1_11target_archE4294967295ELNS1_3gpuE0ELNS1_3repE0EEENS1_30default_config_static_selectorELNS0_4arch9wavefront6targetE1EEEvSL_
	.p2align	8
	.type	_ZN7rocprim17ROCPRIM_400000_NS6detail17trampoline_kernelINS0_14default_configENS1_36segmented_radix_sort_config_selectorI6__halflEEZNS1_25segmented_radix_sort_implIS3_Lb1EPKS5_PS5_PKlPlN2at6native12_GLOBAL__N_18offset_tEEE10hipError_tPvRmT1_PNSt15iterator_traitsISL_E10value_typeET2_T3_PNSM_ISR_E10value_typeET4_jRbjT5_SX_jjP12ihipStream_tbEUlT_E_NS1_11comp_targetILNS1_3genE0ELNS1_11target_archE4294967295ELNS1_3gpuE0ELNS1_3repE0EEENS1_30default_config_static_selectorELNS0_4arch9wavefront6targetE1EEEvSL_,@function
_ZN7rocprim17ROCPRIM_400000_NS6detail17trampoline_kernelINS0_14default_configENS1_36segmented_radix_sort_config_selectorI6__halflEEZNS1_25segmented_radix_sort_implIS3_Lb1EPKS5_PS5_PKlPlN2at6native12_GLOBAL__N_18offset_tEEE10hipError_tPvRmT1_PNSt15iterator_traitsISL_E10value_typeET2_T3_PNSM_ISR_E10value_typeET4_jRbjT5_SX_jjP12ihipStream_tbEUlT_E_NS1_11comp_targetILNS1_3genE0ELNS1_11target_archE4294967295ELNS1_3gpuE0ELNS1_3repE0EEENS1_30default_config_static_selectorELNS0_4arch9wavefront6targetE1EEEvSL_: ; @_ZN7rocprim17ROCPRIM_400000_NS6detail17trampoline_kernelINS0_14default_configENS1_36segmented_radix_sort_config_selectorI6__halflEEZNS1_25segmented_radix_sort_implIS3_Lb1EPKS5_PS5_PKlPlN2at6native12_GLOBAL__N_18offset_tEEE10hipError_tPvRmT1_PNSt15iterator_traitsISL_E10value_typeET2_T3_PNSM_ISR_E10value_typeET4_jRbjT5_SX_jjP12ihipStream_tbEUlT_E_NS1_11comp_targetILNS1_3genE0ELNS1_11target_archE4294967295ELNS1_3gpuE0ELNS1_3repE0EEENS1_30default_config_static_selectorELNS0_4arch9wavefront6targetE1EEEvSL_
; %bb.0:
	.section	.rodata,"a",@progbits
	.p2align	6, 0x0
	.amdhsa_kernel _ZN7rocprim17ROCPRIM_400000_NS6detail17trampoline_kernelINS0_14default_configENS1_36segmented_radix_sort_config_selectorI6__halflEEZNS1_25segmented_radix_sort_implIS3_Lb1EPKS5_PS5_PKlPlN2at6native12_GLOBAL__N_18offset_tEEE10hipError_tPvRmT1_PNSt15iterator_traitsISL_E10value_typeET2_T3_PNSM_ISR_E10value_typeET4_jRbjT5_SX_jjP12ihipStream_tbEUlT_E_NS1_11comp_targetILNS1_3genE0ELNS1_11target_archE4294967295ELNS1_3gpuE0ELNS1_3repE0EEENS1_30default_config_static_selectorELNS0_4arch9wavefront6targetE1EEEvSL_
		.amdhsa_group_segment_fixed_size 0
		.amdhsa_private_segment_fixed_size 0
		.amdhsa_kernarg_size 96
		.amdhsa_user_sgpr_count 6
		.amdhsa_user_sgpr_private_segment_buffer 1
		.amdhsa_user_sgpr_dispatch_ptr 0
		.amdhsa_user_sgpr_queue_ptr 0
		.amdhsa_user_sgpr_kernarg_segment_ptr 1
		.amdhsa_user_sgpr_dispatch_id 0
		.amdhsa_user_sgpr_flat_scratch_init 0
		.amdhsa_user_sgpr_private_segment_size 0
		.amdhsa_uses_dynamic_stack 0
		.amdhsa_system_sgpr_private_segment_wavefront_offset 0
		.amdhsa_system_sgpr_workgroup_id_x 1
		.amdhsa_system_sgpr_workgroup_id_y 0
		.amdhsa_system_sgpr_workgroup_id_z 0
		.amdhsa_system_sgpr_workgroup_info 0
		.amdhsa_system_vgpr_workitem_id 0
		.amdhsa_next_free_vgpr 1
		.amdhsa_next_free_sgpr 0
		.amdhsa_reserve_vcc 0
		.amdhsa_reserve_flat_scratch 0
		.amdhsa_float_round_mode_32 0
		.amdhsa_float_round_mode_16_64 0
		.amdhsa_float_denorm_mode_32 3
		.amdhsa_float_denorm_mode_16_64 3
		.amdhsa_dx10_clamp 1
		.amdhsa_ieee_mode 1
		.amdhsa_fp16_overflow 0
		.amdhsa_exception_fp_ieee_invalid_op 0
		.amdhsa_exception_fp_denorm_src 0
		.amdhsa_exception_fp_ieee_div_zero 0
		.amdhsa_exception_fp_ieee_overflow 0
		.amdhsa_exception_fp_ieee_underflow 0
		.amdhsa_exception_fp_ieee_inexact 0
		.amdhsa_exception_int_div_zero 0
	.end_amdhsa_kernel
	.section	.text._ZN7rocprim17ROCPRIM_400000_NS6detail17trampoline_kernelINS0_14default_configENS1_36segmented_radix_sort_config_selectorI6__halflEEZNS1_25segmented_radix_sort_implIS3_Lb1EPKS5_PS5_PKlPlN2at6native12_GLOBAL__N_18offset_tEEE10hipError_tPvRmT1_PNSt15iterator_traitsISL_E10value_typeET2_T3_PNSM_ISR_E10value_typeET4_jRbjT5_SX_jjP12ihipStream_tbEUlT_E_NS1_11comp_targetILNS1_3genE0ELNS1_11target_archE4294967295ELNS1_3gpuE0ELNS1_3repE0EEENS1_30default_config_static_selectorELNS0_4arch9wavefront6targetE1EEEvSL_,"axG",@progbits,_ZN7rocprim17ROCPRIM_400000_NS6detail17trampoline_kernelINS0_14default_configENS1_36segmented_radix_sort_config_selectorI6__halflEEZNS1_25segmented_radix_sort_implIS3_Lb1EPKS5_PS5_PKlPlN2at6native12_GLOBAL__N_18offset_tEEE10hipError_tPvRmT1_PNSt15iterator_traitsISL_E10value_typeET2_T3_PNSM_ISR_E10value_typeET4_jRbjT5_SX_jjP12ihipStream_tbEUlT_E_NS1_11comp_targetILNS1_3genE0ELNS1_11target_archE4294967295ELNS1_3gpuE0ELNS1_3repE0EEENS1_30default_config_static_selectorELNS0_4arch9wavefront6targetE1EEEvSL_,comdat
.Lfunc_end1739:
	.size	_ZN7rocprim17ROCPRIM_400000_NS6detail17trampoline_kernelINS0_14default_configENS1_36segmented_radix_sort_config_selectorI6__halflEEZNS1_25segmented_radix_sort_implIS3_Lb1EPKS5_PS5_PKlPlN2at6native12_GLOBAL__N_18offset_tEEE10hipError_tPvRmT1_PNSt15iterator_traitsISL_E10value_typeET2_T3_PNSM_ISR_E10value_typeET4_jRbjT5_SX_jjP12ihipStream_tbEUlT_E_NS1_11comp_targetILNS1_3genE0ELNS1_11target_archE4294967295ELNS1_3gpuE0ELNS1_3repE0EEENS1_30default_config_static_selectorELNS0_4arch9wavefront6targetE1EEEvSL_, .Lfunc_end1739-_ZN7rocprim17ROCPRIM_400000_NS6detail17trampoline_kernelINS0_14default_configENS1_36segmented_radix_sort_config_selectorI6__halflEEZNS1_25segmented_radix_sort_implIS3_Lb1EPKS5_PS5_PKlPlN2at6native12_GLOBAL__N_18offset_tEEE10hipError_tPvRmT1_PNSt15iterator_traitsISL_E10value_typeET2_T3_PNSM_ISR_E10value_typeET4_jRbjT5_SX_jjP12ihipStream_tbEUlT_E_NS1_11comp_targetILNS1_3genE0ELNS1_11target_archE4294967295ELNS1_3gpuE0ELNS1_3repE0EEENS1_30default_config_static_selectorELNS0_4arch9wavefront6targetE1EEEvSL_
                                        ; -- End function
	.set _ZN7rocprim17ROCPRIM_400000_NS6detail17trampoline_kernelINS0_14default_configENS1_36segmented_radix_sort_config_selectorI6__halflEEZNS1_25segmented_radix_sort_implIS3_Lb1EPKS5_PS5_PKlPlN2at6native12_GLOBAL__N_18offset_tEEE10hipError_tPvRmT1_PNSt15iterator_traitsISL_E10value_typeET2_T3_PNSM_ISR_E10value_typeET4_jRbjT5_SX_jjP12ihipStream_tbEUlT_E_NS1_11comp_targetILNS1_3genE0ELNS1_11target_archE4294967295ELNS1_3gpuE0ELNS1_3repE0EEENS1_30default_config_static_selectorELNS0_4arch9wavefront6targetE1EEEvSL_.num_vgpr, 0
	.set _ZN7rocprim17ROCPRIM_400000_NS6detail17trampoline_kernelINS0_14default_configENS1_36segmented_radix_sort_config_selectorI6__halflEEZNS1_25segmented_radix_sort_implIS3_Lb1EPKS5_PS5_PKlPlN2at6native12_GLOBAL__N_18offset_tEEE10hipError_tPvRmT1_PNSt15iterator_traitsISL_E10value_typeET2_T3_PNSM_ISR_E10value_typeET4_jRbjT5_SX_jjP12ihipStream_tbEUlT_E_NS1_11comp_targetILNS1_3genE0ELNS1_11target_archE4294967295ELNS1_3gpuE0ELNS1_3repE0EEENS1_30default_config_static_selectorELNS0_4arch9wavefront6targetE1EEEvSL_.num_agpr, 0
	.set _ZN7rocprim17ROCPRIM_400000_NS6detail17trampoline_kernelINS0_14default_configENS1_36segmented_radix_sort_config_selectorI6__halflEEZNS1_25segmented_radix_sort_implIS3_Lb1EPKS5_PS5_PKlPlN2at6native12_GLOBAL__N_18offset_tEEE10hipError_tPvRmT1_PNSt15iterator_traitsISL_E10value_typeET2_T3_PNSM_ISR_E10value_typeET4_jRbjT5_SX_jjP12ihipStream_tbEUlT_E_NS1_11comp_targetILNS1_3genE0ELNS1_11target_archE4294967295ELNS1_3gpuE0ELNS1_3repE0EEENS1_30default_config_static_selectorELNS0_4arch9wavefront6targetE1EEEvSL_.numbered_sgpr, 0
	.set _ZN7rocprim17ROCPRIM_400000_NS6detail17trampoline_kernelINS0_14default_configENS1_36segmented_radix_sort_config_selectorI6__halflEEZNS1_25segmented_radix_sort_implIS3_Lb1EPKS5_PS5_PKlPlN2at6native12_GLOBAL__N_18offset_tEEE10hipError_tPvRmT1_PNSt15iterator_traitsISL_E10value_typeET2_T3_PNSM_ISR_E10value_typeET4_jRbjT5_SX_jjP12ihipStream_tbEUlT_E_NS1_11comp_targetILNS1_3genE0ELNS1_11target_archE4294967295ELNS1_3gpuE0ELNS1_3repE0EEENS1_30default_config_static_selectorELNS0_4arch9wavefront6targetE1EEEvSL_.num_named_barrier, 0
	.set _ZN7rocprim17ROCPRIM_400000_NS6detail17trampoline_kernelINS0_14default_configENS1_36segmented_radix_sort_config_selectorI6__halflEEZNS1_25segmented_radix_sort_implIS3_Lb1EPKS5_PS5_PKlPlN2at6native12_GLOBAL__N_18offset_tEEE10hipError_tPvRmT1_PNSt15iterator_traitsISL_E10value_typeET2_T3_PNSM_ISR_E10value_typeET4_jRbjT5_SX_jjP12ihipStream_tbEUlT_E_NS1_11comp_targetILNS1_3genE0ELNS1_11target_archE4294967295ELNS1_3gpuE0ELNS1_3repE0EEENS1_30default_config_static_selectorELNS0_4arch9wavefront6targetE1EEEvSL_.private_seg_size, 0
	.set _ZN7rocprim17ROCPRIM_400000_NS6detail17trampoline_kernelINS0_14default_configENS1_36segmented_radix_sort_config_selectorI6__halflEEZNS1_25segmented_radix_sort_implIS3_Lb1EPKS5_PS5_PKlPlN2at6native12_GLOBAL__N_18offset_tEEE10hipError_tPvRmT1_PNSt15iterator_traitsISL_E10value_typeET2_T3_PNSM_ISR_E10value_typeET4_jRbjT5_SX_jjP12ihipStream_tbEUlT_E_NS1_11comp_targetILNS1_3genE0ELNS1_11target_archE4294967295ELNS1_3gpuE0ELNS1_3repE0EEENS1_30default_config_static_selectorELNS0_4arch9wavefront6targetE1EEEvSL_.uses_vcc, 0
	.set _ZN7rocprim17ROCPRIM_400000_NS6detail17trampoline_kernelINS0_14default_configENS1_36segmented_radix_sort_config_selectorI6__halflEEZNS1_25segmented_radix_sort_implIS3_Lb1EPKS5_PS5_PKlPlN2at6native12_GLOBAL__N_18offset_tEEE10hipError_tPvRmT1_PNSt15iterator_traitsISL_E10value_typeET2_T3_PNSM_ISR_E10value_typeET4_jRbjT5_SX_jjP12ihipStream_tbEUlT_E_NS1_11comp_targetILNS1_3genE0ELNS1_11target_archE4294967295ELNS1_3gpuE0ELNS1_3repE0EEENS1_30default_config_static_selectorELNS0_4arch9wavefront6targetE1EEEvSL_.uses_flat_scratch, 0
	.set _ZN7rocprim17ROCPRIM_400000_NS6detail17trampoline_kernelINS0_14default_configENS1_36segmented_radix_sort_config_selectorI6__halflEEZNS1_25segmented_radix_sort_implIS3_Lb1EPKS5_PS5_PKlPlN2at6native12_GLOBAL__N_18offset_tEEE10hipError_tPvRmT1_PNSt15iterator_traitsISL_E10value_typeET2_T3_PNSM_ISR_E10value_typeET4_jRbjT5_SX_jjP12ihipStream_tbEUlT_E_NS1_11comp_targetILNS1_3genE0ELNS1_11target_archE4294967295ELNS1_3gpuE0ELNS1_3repE0EEENS1_30default_config_static_selectorELNS0_4arch9wavefront6targetE1EEEvSL_.has_dyn_sized_stack, 0
	.set _ZN7rocprim17ROCPRIM_400000_NS6detail17trampoline_kernelINS0_14default_configENS1_36segmented_radix_sort_config_selectorI6__halflEEZNS1_25segmented_radix_sort_implIS3_Lb1EPKS5_PS5_PKlPlN2at6native12_GLOBAL__N_18offset_tEEE10hipError_tPvRmT1_PNSt15iterator_traitsISL_E10value_typeET2_T3_PNSM_ISR_E10value_typeET4_jRbjT5_SX_jjP12ihipStream_tbEUlT_E_NS1_11comp_targetILNS1_3genE0ELNS1_11target_archE4294967295ELNS1_3gpuE0ELNS1_3repE0EEENS1_30default_config_static_selectorELNS0_4arch9wavefront6targetE1EEEvSL_.has_recursion, 0
	.set _ZN7rocprim17ROCPRIM_400000_NS6detail17trampoline_kernelINS0_14default_configENS1_36segmented_radix_sort_config_selectorI6__halflEEZNS1_25segmented_radix_sort_implIS3_Lb1EPKS5_PS5_PKlPlN2at6native12_GLOBAL__N_18offset_tEEE10hipError_tPvRmT1_PNSt15iterator_traitsISL_E10value_typeET2_T3_PNSM_ISR_E10value_typeET4_jRbjT5_SX_jjP12ihipStream_tbEUlT_E_NS1_11comp_targetILNS1_3genE0ELNS1_11target_archE4294967295ELNS1_3gpuE0ELNS1_3repE0EEENS1_30default_config_static_selectorELNS0_4arch9wavefront6targetE1EEEvSL_.has_indirect_call, 0
	.section	.AMDGPU.csdata,"",@progbits
; Kernel info:
; codeLenInByte = 0
; TotalNumSgprs: 4
; NumVgprs: 0
; ScratchSize: 0
; MemoryBound: 0
; FloatMode: 240
; IeeeMode: 1
; LDSByteSize: 0 bytes/workgroup (compile time only)
; SGPRBlocks: 0
; VGPRBlocks: 0
; NumSGPRsForWavesPerEU: 4
; NumVGPRsForWavesPerEU: 1
; Occupancy: 10
; WaveLimiterHint : 0
; COMPUTE_PGM_RSRC2:SCRATCH_EN: 0
; COMPUTE_PGM_RSRC2:USER_SGPR: 6
; COMPUTE_PGM_RSRC2:TRAP_HANDLER: 0
; COMPUTE_PGM_RSRC2:TGID_X_EN: 1
; COMPUTE_PGM_RSRC2:TGID_Y_EN: 0
; COMPUTE_PGM_RSRC2:TGID_Z_EN: 0
; COMPUTE_PGM_RSRC2:TIDIG_COMP_CNT: 0
	.section	.text._ZN7rocprim17ROCPRIM_400000_NS6detail17trampoline_kernelINS0_14default_configENS1_36segmented_radix_sort_config_selectorI6__halflEEZNS1_25segmented_radix_sort_implIS3_Lb1EPKS5_PS5_PKlPlN2at6native12_GLOBAL__N_18offset_tEEE10hipError_tPvRmT1_PNSt15iterator_traitsISL_E10value_typeET2_T3_PNSM_ISR_E10value_typeET4_jRbjT5_SX_jjP12ihipStream_tbEUlT_E_NS1_11comp_targetILNS1_3genE5ELNS1_11target_archE942ELNS1_3gpuE9ELNS1_3repE0EEENS1_30default_config_static_selectorELNS0_4arch9wavefront6targetE1EEEvSL_,"axG",@progbits,_ZN7rocprim17ROCPRIM_400000_NS6detail17trampoline_kernelINS0_14default_configENS1_36segmented_radix_sort_config_selectorI6__halflEEZNS1_25segmented_radix_sort_implIS3_Lb1EPKS5_PS5_PKlPlN2at6native12_GLOBAL__N_18offset_tEEE10hipError_tPvRmT1_PNSt15iterator_traitsISL_E10value_typeET2_T3_PNSM_ISR_E10value_typeET4_jRbjT5_SX_jjP12ihipStream_tbEUlT_E_NS1_11comp_targetILNS1_3genE5ELNS1_11target_archE942ELNS1_3gpuE9ELNS1_3repE0EEENS1_30default_config_static_selectorELNS0_4arch9wavefront6targetE1EEEvSL_,comdat
	.globl	_ZN7rocprim17ROCPRIM_400000_NS6detail17trampoline_kernelINS0_14default_configENS1_36segmented_radix_sort_config_selectorI6__halflEEZNS1_25segmented_radix_sort_implIS3_Lb1EPKS5_PS5_PKlPlN2at6native12_GLOBAL__N_18offset_tEEE10hipError_tPvRmT1_PNSt15iterator_traitsISL_E10value_typeET2_T3_PNSM_ISR_E10value_typeET4_jRbjT5_SX_jjP12ihipStream_tbEUlT_E_NS1_11comp_targetILNS1_3genE5ELNS1_11target_archE942ELNS1_3gpuE9ELNS1_3repE0EEENS1_30default_config_static_selectorELNS0_4arch9wavefront6targetE1EEEvSL_ ; -- Begin function _ZN7rocprim17ROCPRIM_400000_NS6detail17trampoline_kernelINS0_14default_configENS1_36segmented_radix_sort_config_selectorI6__halflEEZNS1_25segmented_radix_sort_implIS3_Lb1EPKS5_PS5_PKlPlN2at6native12_GLOBAL__N_18offset_tEEE10hipError_tPvRmT1_PNSt15iterator_traitsISL_E10value_typeET2_T3_PNSM_ISR_E10value_typeET4_jRbjT5_SX_jjP12ihipStream_tbEUlT_E_NS1_11comp_targetILNS1_3genE5ELNS1_11target_archE942ELNS1_3gpuE9ELNS1_3repE0EEENS1_30default_config_static_selectorELNS0_4arch9wavefront6targetE1EEEvSL_
	.p2align	8
	.type	_ZN7rocprim17ROCPRIM_400000_NS6detail17trampoline_kernelINS0_14default_configENS1_36segmented_radix_sort_config_selectorI6__halflEEZNS1_25segmented_radix_sort_implIS3_Lb1EPKS5_PS5_PKlPlN2at6native12_GLOBAL__N_18offset_tEEE10hipError_tPvRmT1_PNSt15iterator_traitsISL_E10value_typeET2_T3_PNSM_ISR_E10value_typeET4_jRbjT5_SX_jjP12ihipStream_tbEUlT_E_NS1_11comp_targetILNS1_3genE5ELNS1_11target_archE942ELNS1_3gpuE9ELNS1_3repE0EEENS1_30default_config_static_selectorELNS0_4arch9wavefront6targetE1EEEvSL_,@function
_ZN7rocprim17ROCPRIM_400000_NS6detail17trampoline_kernelINS0_14default_configENS1_36segmented_radix_sort_config_selectorI6__halflEEZNS1_25segmented_radix_sort_implIS3_Lb1EPKS5_PS5_PKlPlN2at6native12_GLOBAL__N_18offset_tEEE10hipError_tPvRmT1_PNSt15iterator_traitsISL_E10value_typeET2_T3_PNSM_ISR_E10value_typeET4_jRbjT5_SX_jjP12ihipStream_tbEUlT_E_NS1_11comp_targetILNS1_3genE5ELNS1_11target_archE942ELNS1_3gpuE9ELNS1_3repE0EEENS1_30default_config_static_selectorELNS0_4arch9wavefront6targetE1EEEvSL_: ; @_ZN7rocprim17ROCPRIM_400000_NS6detail17trampoline_kernelINS0_14default_configENS1_36segmented_radix_sort_config_selectorI6__halflEEZNS1_25segmented_radix_sort_implIS3_Lb1EPKS5_PS5_PKlPlN2at6native12_GLOBAL__N_18offset_tEEE10hipError_tPvRmT1_PNSt15iterator_traitsISL_E10value_typeET2_T3_PNSM_ISR_E10value_typeET4_jRbjT5_SX_jjP12ihipStream_tbEUlT_E_NS1_11comp_targetILNS1_3genE5ELNS1_11target_archE942ELNS1_3gpuE9ELNS1_3repE0EEENS1_30default_config_static_selectorELNS0_4arch9wavefront6targetE1EEEvSL_
; %bb.0:
	.section	.rodata,"a",@progbits
	.p2align	6, 0x0
	.amdhsa_kernel _ZN7rocprim17ROCPRIM_400000_NS6detail17trampoline_kernelINS0_14default_configENS1_36segmented_radix_sort_config_selectorI6__halflEEZNS1_25segmented_radix_sort_implIS3_Lb1EPKS5_PS5_PKlPlN2at6native12_GLOBAL__N_18offset_tEEE10hipError_tPvRmT1_PNSt15iterator_traitsISL_E10value_typeET2_T3_PNSM_ISR_E10value_typeET4_jRbjT5_SX_jjP12ihipStream_tbEUlT_E_NS1_11comp_targetILNS1_3genE5ELNS1_11target_archE942ELNS1_3gpuE9ELNS1_3repE0EEENS1_30default_config_static_selectorELNS0_4arch9wavefront6targetE1EEEvSL_
		.amdhsa_group_segment_fixed_size 0
		.amdhsa_private_segment_fixed_size 0
		.amdhsa_kernarg_size 96
		.amdhsa_user_sgpr_count 6
		.amdhsa_user_sgpr_private_segment_buffer 1
		.amdhsa_user_sgpr_dispatch_ptr 0
		.amdhsa_user_sgpr_queue_ptr 0
		.amdhsa_user_sgpr_kernarg_segment_ptr 1
		.amdhsa_user_sgpr_dispatch_id 0
		.amdhsa_user_sgpr_flat_scratch_init 0
		.amdhsa_user_sgpr_private_segment_size 0
		.amdhsa_uses_dynamic_stack 0
		.amdhsa_system_sgpr_private_segment_wavefront_offset 0
		.amdhsa_system_sgpr_workgroup_id_x 1
		.amdhsa_system_sgpr_workgroup_id_y 0
		.amdhsa_system_sgpr_workgroup_id_z 0
		.amdhsa_system_sgpr_workgroup_info 0
		.amdhsa_system_vgpr_workitem_id 0
		.amdhsa_next_free_vgpr 1
		.amdhsa_next_free_sgpr 0
		.amdhsa_reserve_vcc 0
		.amdhsa_reserve_flat_scratch 0
		.amdhsa_float_round_mode_32 0
		.amdhsa_float_round_mode_16_64 0
		.amdhsa_float_denorm_mode_32 3
		.amdhsa_float_denorm_mode_16_64 3
		.amdhsa_dx10_clamp 1
		.amdhsa_ieee_mode 1
		.amdhsa_fp16_overflow 0
		.amdhsa_exception_fp_ieee_invalid_op 0
		.amdhsa_exception_fp_denorm_src 0
		.amdhsa_exception_fp_ieee_div_zero 0
		.amdhsa_exception_fp_ieee_overflow 0
		.amdhsa_exception_fp_ieee_underflow 0
		.amdhsa_exception_fp_ieee_inexact 0
		.amdhsa_exception_int_div_zero 0
	.end_amdhsa_kernel
	.section	.text._ZN7rocprim17ROCPRIM_400000_NS6detail17trampoline_kernelINS0_14default_configENS1_36segmented_radix_sort_config_selectorI6__halflEEZNS1_25segmented_radix_sort_implIS3_Lb1EPKS5_PS5_PKlPlN2at6native12_GLOBAL__N_18offset_tEEE10hipError_tPvRmT1_PNSt15iterator_traitsISL_E10value_typeET2_T3_PNSM_ISR_E10value_typeET4_jRbjT5_SX_jjP12ihipStream_tbEUlT_E_NS1_11comp_targetILNS1_3genE5ELNS1_11target_archE942ELNS1_3gpuE9ELNS1_3repE0EEENS1_30default_config_static_selectorELNS0_4arch9wavefront6targetE1EEEvSL_,"axG",@progbits,_ZN7rocprim17ROCPRIM_400000_NS6detail17trampoline_kernelINS0_14default_configENS1_36segmented_radix_sort_config_selectorI6__halflEEZNS1_25segmented_radix_sort_implIS3_Lb1EPKS5_PS5_PKlPlN2at6native12_GLOBAL__N_18offset_tEEE10hipError_tPvRmT1_PNSt15iterator_traitsISL_E10value_typeET2_T3_PNSM_ISR_E10value_typeET4_jRbjT5_SX_jjP12ihipStream_tbEUlT_E_NS1_11comp_targetILNS1_3genE5ELNS1_11target_archE942ELNS1_3gpuE9ELNS1_3repE0EEENS1_30default_config_static_selectorELNS0_4arch9wavefront6targetE1EEEvSL_,comdat
.Lfunc_end1740:
	.size	_ZN7rocprim17ROCPRIM_400000_NS6detail17trampoline_kernelINS0_14default_configENS1_36segmented_radix_sort_config_selectorI6__halflEEZNS1_25segmented_radix_sort_implIS3_Lb1EPKS5_PS5_PKlPlN2at6native12_GLOBAL__N_18offset_tEEE10hipError_tPvRmT1_PNSt15iterator_traitsISL_E10value_typeET2_T3_PNSM_ISR_E10value_typeET4_jRbjT5_SX_jjP12ihipStream_tbEUlT_E_NS1_11comp_targetILNS1_3genE5ELNS1_11target_archE942ELNS1_3gpuE9ELNS1_3repE0EEENS1_30default_config_static_selectorELNS0_4arch9wavefront6targetE1EEEvSL_, .Lfunc_end1740-_ZN7rocprim17ROCPRIM_400000_NS6detail17trampoline_kernelINS0_14default_configENS1_36segmented_radix_sort_config_selectorI6__halflEEZNS1_25segmented_radix_sort_implIS3_Lb1EPKS5_PS5_PKlPlN2at6native12_GLOBAL__N_18offset_tEEE10hipError_tPvRmT1_PNSt15iterator_traitsISL_E10value_typeET2_T3_PNSM_ISR_E10value_typeET4_jRbjT5_SX_jjP12ihipStream_tbEUlT_E_NS1_11comp_targetILNS1_3genE5ELNS1_11target_archE942ELNS1_3gpuE9ELNS1_3repE0EEENS1_30default_config_static_selectorELNS0_4arch9wavefront6targetE1EEEvSL_
                                        ; -- End function
	.set _ZN7rocprim17ROCPRIM_400000_NS6detail17trampoline_kernelINS0_14default_configENS1_36segmented_radix_sort_config_selectorI6__halflEEZNS1_25segmented_radix_sort_implIS3_Lb1EPKS5_PS5_PKlPlN2at6native12_GLOBAL__N_18offset_tEEE10hipError_tPvRmT1_PNSt15iterator_traitsISL_E10value_typeET2_T3_PNSM_ISR_E10value_typeET4_jRbjT5_SX_jjP12ihipStream_tbEUlT_E_NS1_11comp_targetILNS1_3genE5ELNS1_11target_archE942ELNS1_3gpuE9ELNS1_3repE0EEENS1_30default_config_static_selectorELNS0_4arch9wavefront6targetE1EEEvSL_.num_vgpr, 0
	.set _ZN7rocprim17ROCPRIM_400000_NS6detail17trampoline_kernelINS0_14default_configENS1_36segmented_radix_sort_config_selectorI6__halflEEZNS1_25segmented_radix_sort_implIS3_Lb1EPKS5_PS5_PKlPlN2at6native12_GLOBAL__N_18offset_tEEE10hipError_tPvRmT1_PNSt15iterator_traitsISL_E10value_typeET2_T3_PNSM_ISR_E10value_typeET4_jRbjT5_SX_jjP12ihipStream_tbEUlT_E_NS1_11comp_targetILNS1_3genE5ELNS1_11target_archE942ELNS1_3gpuE9ELNS1_3repE0EEENS1_30default_config_static_selectorELNS0_4arch9wavefront6targetE1EEEvSL_.num_agpr, 0
	.set _ZN7rocprim17ROCPRIM_400000_NS6detail17trampoline_kernelINS0_14default_configENS1_36segmented_radix_sort_config_selectorI6__halflEEZNS1_25segmented_radix_sort_implIS3_Lb1EPKS5_PS5_PKlPlN2at6native12_GLOBAL__N_18offset_tEEE10hipError_tPvRmT1_PNSt15iterator_traitsISL_E10value_typeET2_T3_PNSM_ISR_E10value_typeET4_jRbjT5_SX_jjP12ihipStream_tbEUlT_E_NS1_11comp_targetILNS1_3genE5ELNS1_11target_archE942ELNS1_3gpuE9ELNS1_3repE0EEENS1_30default_config_static_selectorELNS0_4arch9wavefront6targetE1EEEvSL_.numbered_sgpr, 0
	.set _ZN7rocprim17ROCPRIM_400000_NS6detail17trampoline_kernelINS0_14default_configENS1_36segmented_radix_sort_config_selectorI6__halflEEZNS1_25segmented_radix_sort_implIS3_Lb1EPKS5_PS5_PKlPlN2at6native12_GLOBAL__N_18offset_tEEE10hipError_tPvRmT1_PNSt15iterator_traitsISL_E10value_typeET2_T3_PNSM_ISR_E10value_typeET4_jRbjT5_SX_jjP12ihipStream_tbEUlT_E_NS1_11comp_targetILNS1_3genE5ELNS1_11target_archE942ELNS1_3gpuE9ELNS1_3repE0EEENS1_30default_config_static_selectorELNS0_4arch9wavefront6targetE1EEEvSL_.num_named_barrier, 0
	.set _ZN7rocprim17ROCPRIM_400000_NS6detail17trampoline_kernelINS0_14default_configENS1_36segmented_radix_sort_config_selectorI6__halflEEZNS1_25segmented_radix_sort_implIS3_Lb1EPKS5_PS5_PKlPlN2at6native12_GLOBAL__N_18offset_tEEE10hipError_tPvRmT1_PNSt15iterator_traitsISL_E10value_typeET2_T3_PNSM_ISR_E10value_typeET4_jRbjT5_SX_jjP12ihipStream_tbEUlT_E_NS1_11comp_targetILNS1_3genE5ELNS1_11target_archE942ELNS1_3gpuE9ELNS1_3repE0EEENS1_30default_config_static_selectorELNS0_4arch9wavefront6targetE1EEEvSL_.private_seg_size, 0
	.set _ZN7rocprim17ROCPRIM_400000_NS6detail17trampoline_kernelINS0_14default_configENS1_36segmented_radix_sort_config_selectorI6__halflEEZNS1_25segmented_radix_sort_implIS3_Lb1EPKS5_PS5_PKlPlN2at6native12_GLOBAL__N_18offset_tEEE10hipError_tPvRmT1_PNSt15iterator_traitsISL_E10value_typeET2_T3_PNSM_ISR_E10value_typeET4_jRbjT5_SX_jjP12ihipStream_tbEUlT_E_NS1_11comp_targetILNS1_3genE5ELNS1_11target_archE942ELNS1_3gpuE9ELNS1_3repE0EEENS1_30default_config_static_selectorELNS0_4arch9wavefront6targetE1EEEvSL_.uses_vcc, 0
	.set _ZN7rocprim17ROCPRIM_400000_NS6detail17trampoline_kernelINS0_14default_configENS1_36segmented_radix_sort_config_selectorI6__halflEEZNS1_25segmented_radix_sort_implIS3_Lb1EPKS5_PS5_PKlPlN2at6native12_GLOBAL__N_18offset_tEEE10hipError_tPvRmT1_PNSt15iterator_traitsISL_E10value_typeET2_T3_PNSM_ISR_E10value_typeET4_jRbjT5_SX_jjP12ihipStream_tbEUlT_E_NS1_11comp_targetILNS1_3genE5ELNS1_11target_archE942ELNS1_3gpuE9ELNS1_3repE0EEENS1_30default_config_static_selectorELNS0_4arch9wavefront6targetE1EEEvSL_.uses_flat_scratch, 0
	.set _ZN7rocprim17ROCPRIM_400000_NS6detail17trampoline_kernelINS0_14default_configENS1_36segmented_radix_sort_config_selectorI6__halflEEZNS1_25segmented_radix_sort_implIS3_Lb1EPKS5_PS5_PKlPlN2at6native12_GLOBAL__N_18offset_tEEE10hipError_tPvRmT1_PNSt15iterator_traitsISL_E10value_typeET2_T3_PNSM_ISR_E10value_typeET4_jRbjT5_SX_jjP12ihipStream_tbEUlT_E_NS1_11comp_targetILNS1_3genE5ELNS1_11target_archE942ELNS1_3gpuE9ELNS1_3repE0EEENS1_30default_config_static_selectorELNS0_4arch9wavefront6targetE1EEEvSL_.has_dyn_sized_stack, 0
	.set _ZN7rocprim17ROCPRIM_400000_NS6detail17trampoline_kernelINS0_14default_configENS1_36segmented_radix_sort_config_selectorI6__halflEEZNS1_25segmented_radix_sort_implIS3_Lb1EPKS5_PS5_PKlPlN2at6native12_GLOBAL__N_18offset_tEEE10hipError_tPvRmT1_PNSt15iterator_traitsISL_E10value_typeET2_T3_PNSM_ISR_E10value_typeET4_jRbjT5_SX_jjP12ihipStream_tbEUlT_E_NS1_11comp_targetILNS1_3genE5ELNS1_11target_archE942ELNS1_3gpuE9ELNS1_3repE0EEENS1_30default_config_static_selectorELNS0_4arch9wavefront6targetE1EEEvSL_.has_recursion, 0
	.set _ZN7rocprim17ROCPRIM_400000_NS6detail17trampoline_kernelINS0_14default_configENS1_36segmented_radix_sort_config_selectorI6__halflEEZNS1_25segmented_radix_sort_implIS3_Lb1EPKS5_PS5_PKlPlN2at6native12_GLOBAL__N_18offset_tEEE10hipError_tPvRmT1_PNSt15iterator_traitsISL_E10value_typeET2_T3_PNSM_ISR_E10value_typeET4_jRbjT5_SX_jjP12ihipStream_tbEUlT_E_NS1_11comp_targetILNS1_3genE5ELNS1_11target_archE942ELNS1_3gpuE9ELNS1_3repE0EEENS1_30default_config_static_selectorELNS0_4arch9wavefront6targetE1EEEvSL_.has_indirect_call, 0
	.section	.AMDGPU.csdata,"",@progbits
; Kernel info:
; codeLenInByte = 0
; TotalNumSgprs: 4
; NumVgprs: 0
; ScratchSize: 0
; MemoryBound: 0
; FloatMode: 240
; IeeeMode: 1
; LDSByteSize: 0 bytes/workgroup (compile time only)
; SGPRBlocks: 0
; VGPRBlocks: 0
; NumSGPRsForWavesPerEU: 4
; NumVGPRsForWavesPerEU: 1
; Occupancy: 10
; WaveLimiterHint : 0
; COMPUTE_PGM_RSRC2:SCRATCH_EN: 0
; COMPUTE_PGM_RSRC2:USER_SGPR: 6
; COMPUTE_PGM_RSRC2:TRAP_HANDLER: 0
; COMPUTE_PGM_RSRC2:TGID_X_EN: 1
; COMPUTE_PGM_RSRC2:TGID_Y_EN: 0
; COMPUTE_PGM_RSRC2:TGID_Z_EN: 0
; COMPUTE_PGM_RSRC2:TIDIG_COMP_CNT: 0
	.section	.text._ZN7rocprim17ROCPRIM_400000_NS6detail17trampoline_kernelINS0_14default_configENS1_36segmented_radix_sort_config_selectorI6__halflEEZNS1_25segmented_radix_sort_implIS3_Lb1EPKS5_PS5_PKlPlN2at6native12_GLOBAL__N_18offset_tEEE10hipError_tPvRmT1_PNSt15iterator_traitsISL_E10value_typeET2_T3_PNSM_ISR_E10value_typeET4_jRbjT5_SX_jjP12ihipStream_tbEUlT_E_NS1_11comp_targetILNS1_3genE4ELNS1_11target_archE910ELNS1_3gpuE8ELNS1_3repE0EEENS1_30default_config_static_selectorELNS0_4arch9wavefront6targetE1EEEvSL_,"axG",@progbits,_ZN7rocprim17ROCPRIM_400000_NS6detail17trampoline_kernelINS0_14default_configENS1_36segmented_radix_sort_config_selectorI6__halflEEZNS1_25segmented_radix_sort_implIS3_Lb1EPKS5_PS5_PKlPlN2at6native12_GLOBAL__N_18offset_tEEE10hipError_tPvRmT1_PNSt15iterator_traitsISL_E10value_typeET2_T3_PNSM_ISR_E10value_typeET4_jRbjT5_SX_jjP12ihipStream_tbEUlT_E_NS1_11comp_targetILNS1_3genE4ELNS1_11target_archE910ELNS1_3gpuE8ELNS1_3repE0EEENS1_30default_config_static_selectorELNS0_4arch9wavefront6targetE1EEEvSL_,comdat
	.globl	_ZN7rocprim17ROCPRIM_400000_NS6detail17trampoline_kernelINS0_14default_configENS1_36segmented_radix_sort_config_selectorI6__halflEEZNS1_25segmented_radix_sort_implIS3_Lb1EPKS5_PS5_PKlPlN2at6native12_GLOBAL__N_18offset_tEEE10hipError_tPvRmT1_PNSt15iterator_traitsISL_E10value_typeET2_T3_PNSM_ISR_E10value_typeET4_jRbjT5_SX_jjP12ihipStream_tbEUlT_E_NS1_11comp_targetILNS1_3genE4ELNS1_11target_archE910ELNS1_3gpuE8ELNS1_3repE0EEENS1_30default_config_static_selectorELNS0_4arch9wavefront6targetE1EEEvSL_ ; -- Begin function _ZN7rocprim17ROCPRIM_400000_NS6detail17trampoline_kernelINS0_14default_configENS1_36segmented_radix_sort_config_selectorI6__halflEEZNS1_25segmented_radix_sort_implIS3_Lb1EPKS5_PS5_PKlPlN2at6native12_GLOBAL__N_18offset_tEEE10hipError_tPvRmT1_PNSt15iterator_traitsISL_E10value_typeET2_T3_PNSM_ISR_E10value_typeET4_jRbjT5_SX_jjP12ihipStream_tbEUlT_E_NS1_11comp_targetILNS1_3genE4ELNS1_11target_archE910ELNS1_3gpuE8ELNS1_3repE0EEENS1_30default_config_static_selectorELNS0_4arch9wavefront6targetE1EEEvSL_
	.p2align	8
	.type	_ZN7rocprim17ROCPRIM_400000_NS6detail17trampoline_kernelINS0_14default_configENS1_36segmented_radix_sort_config_selectorI6__halflEEZNS1_25segmented_radix_sort_implIS3_Lb1EPKS5_PS5_PKlPlN2at6native12_GLOBAL__N_18offset_tEEE10hipError_tPvRmT1_PNSt15iterator_traitsISL_E10value_typeET2_T3_PNSM_ISR_E10value_typeET4_jRbjT5_SX_jjP12ihipStream_tbEUlT_E_NS1_11comp_targetILNS1_3genE4ELNS1_11target_archE910ELNS1_3gpuE8ELNS1_3repE0EEENS1_30default_config_static_selectorELNS0_4arch9wavefront6targetE1EEEvSL_,@function
_ZN7rocprim17ROCPRIM_400000_NS6detail17trampoline_kernelINS0_14default_configENS1_36segmented_radix_sort_config_selectorI6__halflEEZNS1_25segmented_radix_sort_implIS3_Lb1EPKS5_PS5_PKlPlN2at6native12_GLOBAL__N_18offset_tEEE10hipError_tPvRmT1_PNSt15iterator_traitsISL_E10value_typeET2_T3_PNSM_ISR_E10value_typeET4_jRbjT5_SX_jjP12ihipStream_tbEUlT_E_NS1_11comp_targetILNS1_3genE4ELNS1_11target_archE910ELNS1_3gpuE8ELNS1_3repE0EEENS1_30default_config_static_selectorELNS0_4arch9wavefront6targetE1EEEvSL_: ; @_ZN7rocprim17ROCPRIM_400000_NS6detail17trampoline_kernelINS0_14default_configENS1_36segmented_radix_sort_config_selectorI6__halflEEZNS1_25segmented_radix_sort_implIS3_Lb1EPKS5_PS5_PKlPlN2at6native12_GLOBAL__N_18offset_tEEE10hipError_tPvRmT1_PNSt15iterator_traitsISL_E10value_typeET2_T3_PNSM_ISR_E10value_typeET4_jRbjT5_SX_jjP12ihipStream_tbEUlT_E_NS1_11comp_targetILNS1_3genE4ELNS1_11target_archE910ELNS1_3gpuE8ELNS1_3repE0EEENS1_30default_config_static_selectorELNS0_4arch9wavefront6targetE1EEEvSL_
; %bb.0:
	.section	.rodata,"a",@progbits
	.p2align	6, 0x0
	.amdhsa_kernel _ZN7rocprim17ROCPRIM_400000_NS6detail17trampoline_kernelINS0_14default_configENS1_36segmented_radix_sort_config_selectorI6__halflEEZNS1_25segmented_radix_sort_implIS3_Lb1EPKS5_PS5_PKlPlN2at6native12_GLOBAL__N_18offset_tEEE10hipError_tPvRmT1_PNSt15iterator_traitsISL_E10value_typeET2_T3_PNSM_ISR_E10value_typeET4_jRbjT5_SX_jjP12ihipStream_tbEUlT_E_NS1_11comp_targetILNS1_3genE4ELNS1_11target_archE910ELNS1_3gpuE8ELNS1_3repE0EEENS1_30default_config_static_selectorELNS0_4arch9wavefront6targetE1EEEvSL_
		.amdhsa_group_segment_fixed_size 0
		.amdhsa_private_segment_fixed_size 0
		.amdhsa_kernarg_size 96
		.amdhsa_user_sgpr_count 6
		.amdhsa_user_sgpr_private_segment_buffer 1
		.amdhsa_user_sgpr_dispatch_ptr 0
		.amdhsa_user_sgpr_queue_ptr 0
		.amdhsa_user_sgpr_kernarg_segment_ptr 1
		.amdhsa_user_sgpr_dispatch_id 0
		.amdhsa_user_sgpr_flat_scratch_init 0
		.amdhsa_user_sgpr_private_segment_size 0
		.amdhsa_uses_dynamic_stack 0
		.amdhsa_system_sgpr_private_segment_wavefront_offset 0
		.amdhsa_system_sgpr_workgroup_id_x 1
		.amdhsa_system_sgpr_workgroup_id_y 0
		.amdhsa_system_sgpr_workgroup_id_z 0
		.amdhsa_system_sgpr_workgroup_info 0
		.amdhsa_system_vgpr_workitem_id 0
		.amdhsa_next_free_vgpr 1
		.amdhsa_next_free_sgpr 0
		.amdhsa_reserve_vcc 0
		.amdhsa_reserve_flat_scratch 0
		.amdhsa_float_round_mode_32 0
		.amdhsa_float_round_mode_16_64 0
		.amdhsa_float_denorm_mode_32 3
		.amdhsa_float_denorm_mode_16_64 3
		.amdhsa_dx10_clamp 1
		.amdhsa_ieee_mode 1
		.amdhsa_fp16_overflow 0
		.amdhsa_exception_fp_ieee_invalid_op 0
		.amdhsa_exception_fp_denorm_src 0
		.amdhsa_exception_fp_ieee_div_zero 0
		.amdhsa_exception_fp_ieee_overflow 0
		.amdhsa_exception_fp_ieee_underflow 0
		.amdhsa_exception_fp_ieee_inexact 0
		.amdhsa_exception_int_div_zero 0
	.end_amdhsa_kernel
	.section	.text._ZN7rocprim17ROCPRIM_400000_NS6detail17trampoline_kernelINS0_14default_configENS1_36segmented_radix_sort_config_selectorI6__halflEEZNS1_25segmented_radix_sort_implIS3_Lb1EPKS5_PS5_PKlPlN2at6native12_GLOBAL__N_18offset_tEEE10hipError_tPvRmT1_PNSt15iterator_traitsISL_E10value_typeET2_T3_PNSM_ISR_E10value_typeET4_jRbjT5_SX_jjP12ihipStream_tbEUlT_E_NS1_11comp_targetILNS1_3genE4ELNS1_11target_archE910ELNS1_3gpuE8ELNS1_3repE0EEENS1_30default_config_static_selectorELNS0_4arch9wavefront6targetE1EEEvSL_,"axG",@progbits,_ZN7rocprim17ROCPRIM_400000_NS6detail17trampoline_kernelINS0_14default_configENS1_36segmented_radix_sort_config_selectorI6__halflEEZNS1_25segmented_radix_sort_implIS3_Lb1EPKS5_PS5_PKlPlN2at6native12_GLOBAL__N_18offset_tEEE10hipError_tPvRmT1_PNSt15iterator_traitsISL_E10value_typeET2_T3_PNSM_ISR_E10value_typeET4_jRbjT5_SX_jjP12ihipStream_tbEUlT_E_NS1_11comp_targetILNS1_3genE4ELNS1_11target_archE910ELNS1_3gpuE8ELNS1_3repE0EEENS1_30default_config_static_selectorELNS0_4arch9wavefront6targetE1EEEvSL_,comdat
.Lfunc_end1741:
	.size	_ZN7rocprim17ROCPRIM_400000_NS6detail17trampoline_kernelINS0_14default_configENS1_36segmented_radix_sort_config_selectorI6__halflEEZNS1_25segmented_radix_sort_implIS3_Lb1EPKS5_PS5_PKlPlN2at6native12_GLOBAL__N_18offset_tEEE10hipError_tPvRmT1_PNSt15iterator_traitsISL_E10value_typeET2_T3_PNSM_ISR_E10value_typeET4_jRbjT5_SX_jjP12ihipStream_tbEUlT_E_NS1_11comp_targetILNS1_3genE4ELNS1_11target_archE910ELNS1_3gpuE8ELNS1_3repE0EEENS1_30default_config_static_selectorELNS0_4arch9wavefront6targetE1EEEvSL_, .Lfunc_end1741-_ZN7rocprim17ROCPRIM_400000_NS6detail17trampoline_kernelINS0_14default_configENS1_36segmented_radix_sort_config_selectorI6__halflEEZNS1_25segmented_radix_sort_implIS3_Lb1EPKS5_PS5_PKlPlN2at6native12_GLOBAL__N_18offset_tEEE10hipError_tPvRmT1_PNSt15iterator_traitsISL_E10value_typeET2_T3_PNSM_ISR_E10value_typeET4_jRbjT5_SX_jjP12ihipStream_tbEUlT_E_NS1_11comp_targetILNS1_3genE4ELNS1_11target_archE910ELNS1_3gpuE8ELNS1_3repE0EEENS1_30default_config_static_selectorELNS0_4arch9wavefront6targetE1EEEvSL_
                                        ; -- End function
	.set _ZN7rocprim17ROCPRIM_400000_NS6detail17trampoline_kernelINS0_14default_configENS1_36segmented_radix_sort_config_selectorI6__halflEEZNS1_25segmented_radix_sort_implIS3_Lb1EPKS5_PS5_PKlPlN2at6native12_GLOBAL__N_18offset_tEEE10hipError_tPvRmT1_PNSt15iterator_traitsISL_E10value_typeET2_T3_PNSM_ISR_E10value_typeET4_jRbjT5_SX_jjP12ihipStream_tbEUlT_E_NS1_11comp_targetILNS1_3genE4ELNS1_11target_archE910ELNS1_3gpuE8ELNS1_3repE0EEENS1_30default_config_static_selectorELNS0_4arch9wavefront6targetE1EEEvSL_.num_vgpr, 0
	.set _ZN7rocprim17ROCPRIM_400000_NS6detail17trampoline_kernelINS0_14default_configENS1_36segmented_radix_sort_config_selectorI6__halflEEZNS1_25segmented_radix_sort_implIS3_Lb1EPKS5_PS5_PKlPlN2at6native12_GLOBAL__N_18offset_tEEE10hipError_tPvRmT1_PNSt15iterator_traitsISL_E10value_typeET2_T3_PNSM_ISR_E10value_typeET4_jRbjT5_SX_jjP12ihipStream_tbEUlT_E_NS1_11comp_targetILNS1_3genE4ELNS1_11target_archE910ELNS1_3gpuE8ELNS1_3repE0EEENS1_30default_config_static_selectorELNS0_4arch9wavefront6targetE1EEEvSL_.num_agpr, 0
	.set _ZN7rocprim17ROCPRIM_400000_NS6detail17trampoline_kernelINS0_14default_configENS1_36segmented_radix_sort_config_selectorI6__halflEEZNS1_25segmented_radix_sort_implIS3_Lb1EPKS5_PS5_PKlPlN2at6native12_GLOBAL__N_18offset_tEEE10hipError_tPvRmT1_PNSt15iterator_traitsISL_E10value_typeET2_T3_PNSM_ISR_E10value_typeET4_jRbjT5_SX_jjP12ihipStream_tbEUlT_E_NS1_11comp_targetILNS1_3genE4ELNS1_11target_archE910ELNS1_3gpuE8ELNS1_3repE0EEENS1_30default_config_static_selectorELNS0_4arch9wavefront6targetE1EEEvSL_.numbered_sgpr, 0
	.set _ZN7rocprim17ROCPRIM_400000_NS6detail17trampoline_kernelINS0_14default_configENS1_36segmented_radix_sort_config_selectorI6__halflEEZNS1_25segmented_radix_sort_implIS3_Lb1EPKS5_PS5_PKlPlN2at6native12_GLOBAL__N_18offset_tEEE10hipError_tPvRmT1_PNSt15iterator_traitsISL_E10value_typeET2_T3_PNSM_ISR_E10value_typeET4_jRbjT5_SX_jjP12ihipStream_tbEUlT_E_NS1_11comp_targetILNS1_3genE4ELNS1_11target_archE910ELNS1_3gpuE8ELNS1_3repE0EEENS1_30default_config_static_selectorELNS0_4arch9wavefront6targetE1EEEvSL_.num_named_barrier, 0
	.set _ZN7rocprim17ROCPRIM_400000_NS6detail17trampoline_kernelINS0_14default_configENS1_36segmented_radix_sort_config_selectorI6__halflEEZNS1_25segmented_radix_sort_implIS3_Lb1EPKS5_PS5_PKlPlN2at6native12_GLOBAL__N_18offset_tEEE10hipError_tPvRmT1_PNSt15iterator_traitsISL_E10value_typeET2_T3_PNSM_ISR_E10value_typeET4_jRbjT5_SX_jjP12ihipStream_tbEUlT_E_NS1_11comp_targetILNS1_3genE4ELNS1_11target_archE910ELNS1_3gpuE8ELNS1_3repE0EEENS1_30default_config_static_selectorELNS0_4arch9wavefront6targetE1EEEvSL_.private_seg_size, 0
	.set _ZN7rocprim17ROCPRIM_400000_NS6detail17trampoline_kernelINS0_14default_configENS1_36segmented_radix_sort_config_selectorI6__halflEEZNS1_25segmented_radix_sort_implIS3_Lb1EPKS5_PS5_PKlPlN2at6native12_GLOBAL__N_18offset_tEEE10hipError_tPvRmT1_PNSt15iterator_traitsISL_E10value_typeET2_T3_PNSM_ISR_E10value_typeET4_jRbjT5_SX_jjP12ihipStream_tbEUlT_E_NS1_11comp_targetILNS1_3genE4ELNS1_11target_archE910ELNS1_3gpuE8ELNS1_3repE0EEENS1_30default_config_static_selectorELNS0_4arch9wavefront6targetE1EEEvSL_.uses_vcc, 0
	.set _ZN7rocprim17ROCPRIM_400000_NS6detail17trampoline_kernelINS0_14default_configENS1_36segmented_radix_sort_config_selectorI6__halflEEZNS1_25segmented_radix_sort_implIS3_Lb1EPKS5_PS5_PKlPlN2at6native12_GLOBAL__N_18offset_tEEE10hipError_tPvRmT1_PNSt15iterator_traitsISL_E10value_typeET2_T3_PNSM_ISR_E10value_typeET4_jRbjT5_SX_jjP12ihipStream_tbEUlT_E_NS1_11comp_targetILNS1_3genE4ELNS1_11target_archE910ELNS1_3gpuE8ELNS1_3repE0EEENS1_30default_config_static_selectorELNS0_4arch9wavefront6targetE1EEEvSL_.uses_flat_scratch, 0
	.set _ZN7rocprim17ROCPRIM_400000_NS6detail17trampoline_kernelINS0_14default_configENS1_36segmented_radix_sort_config_selectorI6__halflEEZNS1_25segmented_radix_sort_implIS3_Lb1EPKS5_PS5_PKlPlN2at6native12_GLOBAL__N_18offset_tEEE10hipError_tPvRmT1_PNSt15iterator_traitsISL_E10value_typeET2_T3_PNSM_ISR_E10value_typeET4_jRbjT5_SX_jjP12ihipStream_tbEUlT_E_NS1_11comp_targetILNS1_3genE4ELNS1_11target_archE910ELNS1_3gpuE8ELNS1_3repE0EEENS1_30default_config_static_selectorELNS0_4arch9wavefront6targetE1EEEvSL_.has_dyn_sized_stack, 0
	.set _ZN7rocprim17ROCPRIM_400000_NS6detail17trampoline_kernelINS0_14default_configENS1_36segmented_radix_sort_config_selectorI6__halflEEZNS1_25segmented_radix_sort_implIS3_Lb1EPKS5_PS5_PKlPlN2at6native12_GLOBAL__N_18offset_tEEE10hipError_tPvRmT1_PNSt15iterator_traitsISL_E10value_typeET2_T3_PNSM_ISR_E10value_typeET4_jRbjT5_SX_jjP12ihipStream_tbEUlT_E_NS1_11comp_targetILNS1_3genE4ELNS1_11target_archE910ELNS1_3gpuE8ELNS1_3repE0EEENS1_30default_config_static_selectorELNS0_4arch9wavefront6targetE1EEEvSL_.has_recursion, 0
	.set _ZN7rocprim17ROCPRIM_400000_NS6detail17trampoline_kernelINS0_14default_configENS1_36segmented_radix_sort_config_selectorI6__halflEEZNS1_25segmented_radix_sort_implIS3_Lb1EPKS5_PS5_PKlPlN2at6native12_GLOBAL__N_18offset_tEEE10hipError_tPvRmT1_PNSt15iterator_traitsISL_E10value_typeET2_T3_PNSM_ISR_E10value_typeET4_jRbjT5_SX_jjP12ihipStream_tbEUlT_E_NS1_11comp_targetILNS1_3genE4ELNS1_11target_archE910ELNS1_3gpuE8ELNS1_3repE0EEENS1_30default_config_static_selectorELNS0_4arch9wavefront6targetE1EEEvSL_.has_indirect_call, 0
	.section	.AMDGPU.csdata,"",@progbits
; Kernel info:
; codeLenInByte = 0
; TotalNumSgprs: 4
; NumVgprs: 0
; ScratchSize: 0
; MemoryBound: 0
; FloatMode: 240
; IeeeMode: 1
; LDSByteSize: 0 bytes/workgroup (compile time only)
; SGPRBlocks: 0
; VGPRBlocks: 0
; NumSGPRsForWavesPerEU: 4
; NumVGPRsForWavesPerEU: 1
; Occupancy: 10
; WaveLimiterHint : 0
; COMPUTE_PGM_RSRC2:SCRATCH_EN: 0
; COMPUTE_PGM_RSRC2:USER_SGPR: 6
; COMPUTE_PGM_RSRC2:TRAP_HANDLER: 0
; COMPUTE_PGM_RSRC2:TGID_X_EN: 1
; COMPUTE_PGM_RSRC2:TGID_Y_EN: 0
; COMPUTE_PGM_RSRC2:TGID_Z_EN: 0
; COMPUTE_PGM_RSRC2:TIDIG_COMP_CNT: 0
	.section	.text._ZN7rocprim17ROCPRIM_400000_NS6detail17trampoline_kernelINS0_14default_configENS1_36segmented_radix_sort_config_selectorI6__halflEEZNS1_25segmented_radix_sort_implIS3_Lb1EPKS5_PS5_PKlPlN2at6native12_GLOBAL__N_18offset_tEEE10hipError_tPvRmT1_PNSt15iterator_traitsISL_E10value_typeET2_T3_PNSM_ISR_E10value_typeET4_jRbjT5_SX_jjP12ihipStream_tbEUlT_E_NS1_11comp_targetILNS1_3genE3ELNS1_11target_archE908ELNS1_3gpuE7ELNS1_3repE0EEENS1_30default_config_static_selectorELNS0_4arch9wavefront6targetE1EEEvSL_,"axG",@progbits,_ZN7rocprim17ROCPRIM_400000_NS6detail17trampoline_kernelINS0_14default_configENS1_36segmented_radix_sort_config_selectorI6__halflEEZNS1_25segmented_radix_sort_implIS3_Lb1EPKS5_PS5_PKlPlN2at6native12_GLOBAL__N_18offset_tEEE10hipError_tPvRmT1_PNSt15iterator_traitsISL_E10value_typeET2_T3_PNSM_ISR_E10value_typeET4_jRbjT5_SX_jjP12ihipStream_tbEUlT_E_NS1_11comp_targetILNS1_3genE3ELNS1_11target_archE908ELNS1_3gpuE7ELNS1_3repE0EEENS1_30default_config_static_selectorELNS0_4arch9wavefront6targetE1EEEvSL_,comdat
	.globl	_ZN7rocprim17ROCPRIM_400000_NS6detail17trampoline_kernelINS0_14default_configENS1_36segmented_radix_sort_config_selectorI6__halflEEZNS1_25segmented_radix_sort_implIS3_Lb1EPKS5_PS5_PKlPlN2at6native12_GLOBAL__N_18offset_tEEE10hipError_tPvRmT1_PNSt15iterator_traitsISL_E10value_typeET2_T3_PNSM_ISR_E10value_typeET4_jRbjT5_SX_jjP12ihipStream_tbEUlT_E_NS1_11comp_targetILNS1_3genE3ELNS1_11target_archE908ELNS1_3gpuE7ELNS1_3repE0EEENS1_30default_config_static_selectorELNS0_4arch9wavefront6targetE1EEEvSL_ ; -- Begin function _ZN7rocprim17ROCPRIM_400000_NS6detail17trampoline_kernelINS0_14default_configENS1_36segmented_radix_sort_config_selectorI6__halflEEZNS1_25segmented_radix_sort_implIS3_Lb1EPKS5_PS5_PKlPlN2at6native12_GLOBAL__N_18offset_tEEE10hipError_tPvRmT1_PNSt15iterator_traitsISL_E10value_typeET2_T3_PNSM_ISR_E10value_typeET4_jRbjT5_SX_jjP12ihipStream_tbEUlT_E_NS1_11comp_targetILNS1_3genE3ELNS1_11target_archE908ELNS1_3gpuE7ELNS1_3repE0EEENS1_30default_config_static_selectorELNS0_4arch9wavefront6targetE1EEEvSL_
	.p2align	8
	.type	_ZN7rocprim17ROCPRIM_400000_NS6detail17trampoline_kernelINS0_14default_configENS1_36segmented_radix_sort_config_selectorI6__halflEEZNS1_25segmented_radix_sort_implIS3_Lb1EPKS5_PS5_PKlPlN2at6native12_GLOBAL__N_18offset_tEEE10hipError_tPvRmT1_PNSt15iterator_traitsISL_E10value_typeET2_T3_PNSM_ISR_E10value_typeET4_jRbjT5_SX_jjP12ihipStream_tbEUlT_E_NS1_11comp_targetILNS1_3genE3ELNS1_11target_archE908ELNS1_3gpuE7ELNS1_3repE0EEENS1_30default_config_static_selectorELNS0_4arch9wavefront6targetE1EEEvSL_,@function
_ZN7rocprim17ROCPRIM_400000_NS6detail17trampoline_kernelINS0_14default_configENS1_36segmented_radix_sort_config_selectorI6__halflEEZNS1_25segmented_radix_sort_implIS3_Lb1EPKS5_PS5_PKlPlN2at6native12_GLOBAL__N_18offset_tEEE10hipError_tPvRmT1_PNSt15iterator_traitsISL_E10value_typeET2_T3_PNSM_ISR_E10value_typeET4_jRbjT5_SX_jjP12ihipStream_tbEUlT_E_NS1_11comp_targetILNS1_3genE3ELNS1_11target_archE908ELNS1_3gpuE7ELNS1_3repE0EEENS1_30default_config_static_selectorELNS0_4arch9wavefront6targetE1EEEvSL_: ; @_ZN7rocprim17ROCPRIM_400000_NS6detail17trampoline_kernelINS0_14default_configENS1_36segmented_radix_sort_config_selectorI6__halflEEZNS1_25segmented_radix_sort_implIS3_Lb1EPKS5_PS5_PKlPlN2at6native12_GLOBAL__N_18offset_tEEE10hipError_tPvRmT1_PNSt15iterator_traitsISL_E10value_typeET2_T3_PNSM_ISR_E10value_typeET4_jRbjT5_SX_jjP12ihipStream_tbEUlT_E_NS1_11comp_targetILNS1_3genE3ELNS1_11target_archE908ELNS1_3gpuE7ELNS1_3repE0EEENS1_30default_config_static_selectorELNS0_4arch9wavefront6targetE1EEEvSL_
; %bb.0:
	.section	.rodata,"a",@progbits
	.p2align	6, 0x0
	.amdhsa_kernel _ZN7rocprim17ROCPRIM_400000_NS6detail17trampoline_kernelINS0_14default_configENS1_36segmented_radix_sort_config_selectorI6__halflEEZNS1_25segmented_radix_sort_implIS3_Lb1EPKS5_PS5_PKlPlN2at6native12_GLOBAL__N_18offset_tEEE10hipError_tPvRmT1_PNSt15iterator_traitsISL_E10value_typeET2_T3_PNSM_ISR_E10value_typeET4_jRbjT5_SX_jjP12ihipStream_tbEUlT_E_NS1_11comp_targetILNS1_3genE3ELNS1_11target_archE908ELNS1_3gpuE7ELNS1_3repE0EEENS1_30default_config_static_selectorELNS0_4arch9wavefront6targetE1EEEvSL_
		.amdhsa_group_segment_fixed_size 0
		.amdhsa_private_segment_fixed_size 0
		.amdhsa_kernarg_size 96
		.amdhsa_user_sgpr_count 6
		.amdhsa_user_sgpr_private_segment_buffer 1
		.amdhsa_user_sgpr_dispatch_ptr 0
		.amdhsa_user_sgpr_queue_ptr 0
		.amdhsa_user_sgpr_kernarg_segment_ptr 1
		.amdhsa_user_sgpr_dispatch_id 0
		.amdhsa_user_sgpr_flat_scratch_init 0
		.amdhsa_user_sgpr_private_segment_size 0
		.amdhsa_uses_dynamic_stack 0
		.amdhsa_system_sgpr_private_segment_wavefront_offset 0
		.amdhsa_system_sgpr_workgroup_id_x 1
		.amdhsa_system_sgpr_workgroup_id_y 0
		.amdhsa_system_sgpr_workgroup_id_z 0
		.amdhsa_system_sgpr_workgroup_info 0
		.amdhsa_system_vgpr_workitem_id 0
		.amdhsa_next_free_vgpr 1
		.amdhsa_next_free_sgpr 0
		.amdhsa_reserve_vcc 0
		.amdhsa_reserve_flat_scratch 0
		.amdhsa_float_round_mode_32 0
		.amdhsa_float_round_mode_16_64 0
		.amdhsa_float_denorm_mode_32 3
		.amdhsa_float_denorm_mode_16_64 3
		.amdhsa_dx10_clamp 1
		.amdhsa_ieee_mode 1
		.amdhsa_fp16_overflow 0
		.amdhsa_exception_fp_ieee_invalid_op 0
		.amdhsa_exception_fp_denorm_src 0
		.amdhsa_exception_fp_ieee_div_zero 0
		.amdhsa_exception_fp_ieee_overflow 0
		.amdhsa_exception_fp_ieee_underflow 0
		.amdhsa_exception_fp_ieee_inexact 0
		.amdhsa_exception_int_div_zero 0
	.end_amdhsa_kernel
	.section	.text._ZN7rocprim17ROCPRIM_400000_NS6detail17trampoline_kernelINS0_14default_configENS1_36segmented_radix_sort_config_selectorI6__halflEEZNS1_25segmented_radix_sort_implIS3_Lb1EPKS5_PS5_PKlPlN2at6native12_GLOBAL__N_18offset_tEEE10hipError_tPvRmT1_PNSt15iterator_traitsISL_E10value_typeET2_T3_PNSM_ISR_E10value_typeET4_jRbjT5_SX_jjP12ihipStream_tbEUlT_E_NS1_11comp_targetILNS1_3genE3ELNS1_11target_archE908ELNS1_3gpuE7ELNS1_3repE0EEENS1_30default_config_static_selectorELNS0_4arch9wavefront6targetE1EEEvSL_,"axG",@progbits,_ZN7rocprim17ROCPRIM_400000_NS6detail17trampoline_kernelINS0_14default_configENS1_36segmented_radix_sort_config_selectorI6__halflEEZNS1_25segmented_radix_sort_implIS3_Lb1EPKS5_PS5_PKlPlN2at6native12_GLOBAL__N_18offset_tEEE10hipError_tPvRmT1_PNSt15iterator_traitsISL_E10value_typeET2_T3_PNSM_ISR_E10value_typeET4_jRbjT5_SX_jjP12ihipStream_tbEUlT_E_NS1_11comp_targetILNS1_3genE3ELNS1_11target_archE908ELNS1_3gpuE7ELNS1_3repE0EEENS1_30default_config_static_selectorELNS0_4arch9wavefront6targetE1EEEvSL_,comdat
.Lfunc_end1742:
	.size	_ZN7rocprim17ROCPRIM_400000_NS6detail17trampoline_kernelINS0_14default_configENS1_36segmented_radix_sort_config_selectorI6__halflEEZNS1_25segmented_radix_sort_implIS3_Lb1EPKS5_PS5_PKlPlN2at6native12_GLOBAL__N_18offset_tEEE10hipError_tPvRmT1_PNSt15iterator_traitsISL_E10value_typeET2_T3_PNSM_ISR_E10value_typeET4_jRbjT5_SX_jjP12ihipStream_tbEUlT_E_NS1_11comp_targetILNS1_3genE3ELNS1_11target_archE908ELNS1_3gpuE7ELNS1_3repE0EEENS1_30default_config_static_selectorELNS0_4arch9wavefront6targetE1EEEvSL_, .Lfunc_end1742-_ZN7rocprim17ROCPRIM_400000_NS6detail17trampoline_kernelINS0_14default_configENS1_36segmented_radix_sort_config_selectorI6__halflEEZNS1_25segmented_radix_sort_implIS3_Lb1EPKS5_PS5_PKlPlN2at6native12_GLOBAL__N_18offset_tEEE10hipError_tPvRmT1_PNSt15iterator_traitsISL_E10value_typeET2_T3_PNSM_ISR_E10value_typeET4_jRbjT5_SX_jjP12ihipStream_tbEUlT_E_NS1_11comp_targetILNS1_3genE3ELNS1_11target_archE908ELNS1_3gpuE7ELNS1_3repE0EEENS1_30default_config_static_selectorELNS0_4arch9wavefront6targetE1EEEvSL_
                                        ; -- End function
	.set _ZN7rocprim17ROCPRIM_400000_NS6detail17trampoline_kernelINS0_14default_configENS1_36segmented_radix_sort_config_selectorI6__halflEEZNS1_25segmented_radix_sort_implIS3_Lb1EPKS5_PS5_PKlPlN2at6native12_GLOBAL__N_18offset_tEEE10hipError_tPvRmT1_PNSt15iterator_traitsISL_E10value_typeET2_T3_PNSM_ISR_E10value_typeET4_jRbjT5_SX_jjP12ihipStream_tbEUlT_E_NS1_11comp_targetILNS1_3genE3ELNS1_11target_archE908ELNS1_3gpuE7ELNS1_3repE0EEENS1_30default_config_static_selectorELNS0_4arch9wavefront6targetE1EEEvSL_.num_vgpr, 0
	.set _ZN7rocprim17ROCPRIM_400000_NS6detail17trampoline_kernelINS0_14default_configENS1_36segmented_radix_sort_config_selectorI6__halflEEZNS1_25segmented_radix_sort_implIS3_Lb1EPKS5_PS5_PKlPlN2at6native12_GLOBAL__N_18offset_tEEE10hipError_tPvRmT1_PNSt15iterator_traitsISL_E10value_typeET2_T3_PNSM_ISR_E10value_typeET4_jRbjT5_SX_jjP12ihipStream_tbEUlT_E_NS1_11comp_targetILNS1_3genE3ELNS1_11target_archE908ELNS1_3gpuE7ELNS1_3repE0EEENS1_30default_config_static_selectorELNS0_4arch9wavefront6targetE1EEEvSL_.num_agpr, 0
	.set _ZN7rocprim17ROCPRIM_400000_NS6detail17trampoline_kernelINS0_14default_configENS1_36segmented_radix_sort_config_selectorI6__halflEEZNS1_25segmented_radix_sort_implIS3_Lb1EPKS5_PS5_PKlPlN2at6native12_GLOBAL__N_18offset_tEEE10hipError_tPvRmT1_PNSt15iterator_traitsISL_E10value_typeET2_T3_PNSM_ISR_E10value_typeET4_jRbjT5_SX_jjP12ihipStream_tbEUlT_E_NS1_11comp_targetILNS1_3genE3ELNS1_11target_archE908ELNS1_3gpuE7ELNS1_3repE0EEENS1_30default_config_static_selectorELNS0_4arch9wavefront6targetE1EEEvSL_.numbered_sgpr, 0
	.set _ZN7rocprim17ROCPRIM_400000_NS6detail17trampoline_kernelINS0_14default_configENS1_36segmented_radix_sort_config_selectorI6__halflEEZNS1_25segmented_radix_sort_implIS3_Lb1EPKS5_PS5_PKlPlN2at6native12_GLOBAL__N_18offset_tEEE10hipError_tPvRmT1_PNSt15iterator_traitsISL_E10value_typeET2_T3_PNSM_ISR_E10value_typeET4_jRbjT5_SX_jjP12ihipStream_tbEUlT_E_NS1_11comp_targetILNS1_3genE3ELNS1_11target_archE908ELNS1_3gpuE7ELNS1_3repE0EEENS1_30default_config_static_selectorELNS0_4arch9wavefront6targetE1EEEvSL_.num_named_barrier, 0
	.set _ZN7rocprim17ROCPRIM_400000_NS6detail17trampoline_kernelINS0_14default_configENS1_36segmented_radix_sort_config_selectorI6__halflEEZNS1_25segmented_radix_sort_implIS3_Lb1EPKS5_PS5_PKlPlN2at6native12_GLOBAL__N_18offset_tEEE10hipError_tPvRmT1_PNSt15iterator_traitsISL_E10value_typeET2_T3_PNSM_ISR_E10value_typeET4_jRbjT5_SX_jjP12ihipStream_tbEUlT_E_NS1_11comp_targetILNS1_3genE3ELNS1_11target_archE908ELNS1_3gpuE7ELNS1_3repE0EEENS1_30default_config_static_selectorELNS0_4arch9wavefront6targetE1EEEvSL_.private_seg_size, 0
	.set _ZN7rocprim17ROCPRIM_400000_NS6detail17trampoline_kernelINS0_14default_configENS1_36segmented_radix_sort_config_selectorI6__halflEEZNS1_25segmented_radix_sort_implIS3_Lb1EPKS5_PS5_PKlPlN2at6native12_GLOBAL__N_18offset_tEEE10hipError_tPvRmT1_PNSt15iterator_traitsISL_E10value_typeET2_T3_PNSM_ISR_E10value_typeET4_jRbjT5_SX_jjP12ihipStream_tbEUlT_E_NS1_11comp_targetILNS1_3genE3ELNS1_11target_archE908ELNS1_3gpuE7ELNS1_3repE0EEENS1_30default_config_static_selectorELNS0_4arch9wavefront6targetE1EEEvSL_.uses_vcc, 0
	.set _ZN7rocprim17ROCPRIM_400000_NS6detail17trampoline_kernelINS0_14default_configENS1_36segmented_radix_sort_config_selectorI6__halflEEZNS1_25segmented_radix_sort_implIS3_Lb1EPKS5_PS5_PKlPlN2at6native12_GLOBAL__N_18offset_tEEE10hipError_tPvRmT1_PNSt15iterator_traitsISL_E10value_typeET2_T3_PNSM_ISR_E10value_typeET4_jRbjT5_SX_jjP12ihipStream_tbEUlT_E_NS1_11comp_targetILNS1_3genE3ELNS1_11target_archE908ELNS1_3gpuE7ELNS1_3repE0EEENS1_30default_config_static_selectorELNS0_4arch9wavefront6targetE1EEEvSL_.uses_flat_scratch, 0
	.set _ZN7rocprim17ROCPRIM_400000_NS6detail17trampoline_kernelINS0_14default_configENS1_36segmented_radix_sort_config_selectorI6__halflEEZNS1_25segmented_radix_sort_implIS3_Lb1EPKS5_PS5_PKlPlN2at6native12_GLOBAL__N_18offset_tEEE10hipError_tPvRmT1_PNSt15iterator_traitsISL_E10value_typeET2_T3_PNSM_ISR_E10value_typeET4_jRbjT5_SX_jjP12ihipStream_tbEUlT_E_NS1_11comp_targetILNS1_3genE3ELNS1_11target_archE908ELNS1_3gpuE7ELNS1_3repE0EEENS1_30default_config_static_selectorELNS0_4arch9wavefront6targetE1EEEvSL_.has_dyn_sized_stack, 0
	.set _ZN7rocprim17ROCPRIM_400000_NS6detail17trampoline_kernelINS0_14default_configENS1_36segmented_radix_sort_config_selectorI6__halflEEZNS1_25segmented_radix_sort_implIS3_Lb1EPKS5_PS5_PKlPlN2at6native12_GLOBAL__N_18offset_tEEE10hipError_tPvRmT1_PNSt15iterator_traitsISL_E10value_typeET2_T3_PNSM_ISR_E10value_typeET4_jRbjT5_SX_jjP12ihipStream_tbEUlT_E_NS1_11comp_targetILNS1_3genE3ELNS1_11target_archE908ELNS1_3gpuE7ELNS1_3repE0EEENS1_30default_config_static_selectorELNS0_4arch9wavefront6targetE1EEEvSL_.has_recursion, 0
	.set _ZN7rocprim17ROCPRIM_400000_NS6detail17trampoline_kernelINS0_14default_configENS1_36segmented_radix_sort_config_selectorI6__halflEEZNS1_25segmented_radix_sort_implIS3_Lb1EPKS5_PS5_PKlPlN2at6native12_GLOBAL__N_18offset_tEEE10hipError_tPvRmT1_PNSt15iterator_traitsISL_E10value_typeET2_T3_PNSM_ISR_E10value_typeET4_jRbjT5_SX_jjP12ihipStream_tbEUlT_E_NS1_11comp_targetILNS1_3genE3ELNS1_11target_archE908ELNS1_3gpuE7ELNS1_3repE0EEENS1_30default_config_static_selectorELNS0_4arch9wavefront6targetE1EEEvSL_.has_indirect_call, 0
	.section	.AMDGPU.csdata,"",@progbits
; Kernel info:
; codeLenInByte = 0
; TotalNumSgprs: 4
; NumVgprs: 0
; ScratchSize: 0
; MemoryBound: 0
; FloatMode: 240
; IeeeMode: 1
; LDSByteSize: 0 bytes/workgroup (compile time only)
; SGPRBlocks: 0
; VGPRBlocks: 0
; NumSGPRsForWavesPerEU: 4
; NumVGPRsForWavesPerEU: 1
; Occupancy: 10
; WaveLimiterHint : 0
; COMPUTE_PGM_RSRC2:SCRATCH_EN: 0
; COMPUTE_PGM_RSRC2:USER_SGPR: 6
; COMPUTE_PGM_RSRC2:TRAP_HANDLER: 0
; COMPUTE_PGM_RSRC2:TGID_X_EN: 1
; COMPUTE_PGM_RSRC2:TGID_Y_EN: 0
; COMPUTE_PGM_RSRC2:TGID_Z_EN: 0
; COMPUTE_PGM_RSRC2:TIDIG_COMP_CNT: 0
	.text
	.p2align	2                               ; -- Begin function _ZN7rocprim17ROCPRIM_400000_NS6detail40segmented_radix_sort_single_block_helperI6__halflLj256ELj8ELb1EE4sortIPKS3_PS3_PKlPlEEbT_T0_T1_T2_jjjjRNS4_12storage_typeE
	.type	_ZN7rocprim17ROCPRIM_400000_NS6detail40segmented_radix_sort_single_block_helperI6__halflLj256ELj8ELb1EE4sortIPKS3_PS3_PKlPlEEbT_T0_T1_T2_jjjjRNS4_12storage_typeE,@function
_ZN7rocprim17ROCPRIM_400000_NS6detail40segmented_radix_sort_single_block_helperI6__halflLj256ELj8ELb1EE4sortIPKS3_PS3_PKlPlEEbT_T0_T1_T2_jjjjRNS4_12storage_typeE: ; @_ZN7rocprim17ROCPRIM_400000_NS6detail40segmented_radix_sort_single_block_helperI6__halflLj256ELj8ELb1EE4sortIPKS3_PS3_PKlPlEEbT_T0_T1_T2_jjjjRNS4_12storage_typeE
; %bb.0:
	s_waitcnt vmcnt(0) expcnt(0) lgkmcnt(0)
	v_sub_u32_e32 v71, v9, v8
	s_movk_i32 s4, 0x801
	v_cmp_gt_u32_e32 vcc, s4, v71
	s_and_saveexec_b64 s[46:47], vcc
	s_cbranch_execz .LBB1743_199
; %bb.1:
	s_movk_i32 s4, 0x400
	v_cmp_lt_u32_e32 vcc, s4, v71
	v_bfe_u32 v17, v31, 10, 10
	v_bfe_u32 v18, v31, 20, 10
	v_mbcnt_lo_u32_b32 v19, -1, 0
	s_and_saveexec_b64 s[4:5], vcc
	s_xor_b64 s[56:57], exec, s[4:5]
	s_cbranch_execz .LBB1743_79
; %bb.2:
	s_load_dwordx2 s[4:5], s[8:9], 0x0
	v_mov_b32_e32 v9, 0
	v_lshlrev_b64 v[26:27], 1, v[8:9]
	v_and_b32_e32 v14, 0x3ff, v31
	v_add_co_u32_e32 v24, vcc, v0, v26
	s_waitcnt lgkmcnt(0)
	s_cmp_lt_u32 s13, s5
	s_cselect_b32 s5, 14, 20
	s_add_u32 s6, s8, s5
	s_addc_u32 s7, s9, 0
	s_cmp_lt_u32 s12, s4
	s_cselect_b32 s4, 12, 18
	s_add_u32 s4, s8, s4
	global_load_ushort v15, v9, s[6:7]
	s_addc_u32 s5, s9, 0
	global_load_ushort v22, v9, s[4:5]
	v_addc_co_u32_e32 v25, vcc, v1, v27, vcc
	v_mbcnt_hi_u32_b32 v19, -1, v19
	v_and_b32_e32 v20, 63, v19
	v_mov_b32_e32 v16, v9
	v_lshlrev_b32_e32 v23, 1, v20
	v_mov_b32_e32 v21, -1
	s_waitcnt vmcnt(1)
	v_mad_u32_u24 v0, v18, v15, v17
	s_waitcnt vmcnt(0)
	v_mad_u64_u32 v[0:1], s[4:5], v0, v22, v[14:15]
	v_add_co_u32_e32 v22, vcc, v24, v23
	v_lshlrev_b32_e32 v1, 3, v0
	v_and_b32_e32 v15, 0xfffffe00, v1
	v_lshlrev_b64 v[17:18], 1, v[15:16]
	v_addc_co_u32_e32 v23, vcc, 0, v25, vcc
	v_or_b32_e32 v1, v15, v20
	v_add_co_u32_e64 v17, s[4:5], v22, v17
	v_cmp_lt_u32_e32 vcc, v1, v71
	v_addc_co_u32_e64 v18, s[4:5], v23, v18, s[4:5]
	v_mov_b32_e32 v22, -1
	s_and_saveexec_b64 s[4:5], vcc
	s_cbranch_execz .LBB1743_4
; %bb.3:
	flat_load_ushort v22, v[17:18]
.LBB1743_4:
	s_or_b64 exec, exec, s[4:5]
	v_or_b32_e32 v23, 64, v1
	v_cmp_lt_u32_e64 s[4:5], v23, v71
	s_and_saveexec_b64 s[6:7], s[4:5]
	s_cbranch_execz .LBB1743_6
; %bb.5:
	flat_load_ushort v21, v[17:18] offset:128
.LBB1743_6:
	s_or_b64 exec, exec, s[6:7]
	v_or_b32_e32 v23, 0x80, v1
	v_cmp_lt_u32_e64 s[6:7], v23, v71
	v_mov_b32_e32 v23, -1
	v_mov_b32_e32 v28, -1
	s_and_saveexec_b64 s[10:11], s[6:7]
	s_cbranch_execz .LBB1743_8
; %bb.7:
	flat_load_ushort v28, v[17:18] offset:256
.LBB1743_8:
	s_or_b64 exec, exec, s[10:11]
	v_or_b32_e32 v24, 0xc0, v1
	v_cmp_lt_u32_e64 s[10:11], v24, v71
	s_and_saveexec_b64 s[14:15], s[10:11]
	s_cbranch_execz .LBB1743_10
; %bb.9:
	flat_load_ushort v23, v[17:18] offset:384
.LBB1743_10:
	s_or_b64 exec, exec, s[14:15]
	v_or_b32_e32 v24, 0x100, v1
	v_cmp_lt_u32_e64 s[20:21], v24, v71
	v_mov_b32_e32 v29, -1
	v_mov_b32_e32 v30, -1
	s_and_saveexec_b64 s[14:15], s[20:21]
	s_cbranch_execz .LBB1743_12
; %bb.11:
	flat_load_ushort v30, v[17:18] offset:512
.LBB1743_12:
	;; [unrolled: 18-line block ×3, first 2 shown]
	s_or_b64 exec, exec, s[18:19]
	v_or_b32_e32 v1, 0x1c0, v1
	v_cmp_lt_u32_e64 s[18:19], v1, v71
	s_and_saveexec_b64 s[22:23], s[18:19]
	s_cbranch_execz .LBB1743_18
; %bb.17:
	flat_load_ushort v31, v[17:18] offset:896
.LBB1743_18:
	s_or_b64 exec, exec, s[22:23]
	v_lshlrev_b64 v[24:25], 3, v[8:9]
                                        ; implicit-def: $vgpr34_vgpr35
	v_add_co_u32_e64 v1, s[22:23], v4, v24
	v_addc_co_u32_e64 v4, s[22:23], v5, v25, s[22:23]
	v_lshlrev_b32_e32 v5, 3, v20
	v_add_co_u32_e64 v1, s[22:23], v1, v5
	v_addc_co_u32_e64 v8, s[22:23], 0, v4, s[22:23]
	v_lshlrev_b64 v[4:5], 3, v[15:16]
	v_add_co_u32_e64 v4, s[22:23], v1, v4
	v_addc_co_u32_e64 v5, s[22:23], v8, v5, s[22:23]
	s_and_saveexec_b64 s[22:23], vcc
	s_cbranch_execnz .LBB1743_112
; %bb.19:
	s_or_b64 exec, exec, s[22:23]
                                        ; implicit-def: $vgpr36_vgpr37
	s_and_saveexec_b64 s[22:23], s[4:5]
	s_cbranch_execnz .LBB1743_113
.LBB1743_20:
	s_or_b64 exec, exec, s[22:23]
                                        ; implicit-def: $vgpr38_vgpr39
	s_and_saveexec_b64 s[4:5], s[6:7]
	s_cbranch_execnz .LBB1743_114
.LBB1743_21:
	s_or_b64 exec, exec, s[4:5]
                                        ; implicit-def: $vgpr48_vgpr49
	s_and_saveexec_b64 s[4:5], s[10:11]
	s_cbranch_execnz .LBB1743_115
.LBB1743_22:
	s_or_b64 exec, exec, s[4:5]
                                        ; implicit-def: $vgpr69_vgpr70
	s_and_saveexec_b64 s[4:5], s[20:21]
	s_cbranch_execnz .LBB1743_116
.LBB1743_23:
	s_or_b64 exec, exec, s[4:5]
                                        ; implicit-def: $vgpr81_vgpr82
	s_and_saveexec_b64 s[4:5], s[14:15]
	s_cbranch_execnz .LBB1743_117
.LBB1743_24:
	s_or_b64 exec, exec, s[4:5]
                                        ; implicit-def: $vgpr96_vgpr97
	s_and_saveexec_b64 s[4:5], s[16:17]
	s_cbranch_execnz .LBB1743_118
.LBB1743_25:
	s_or_b64 exec, exec, s[4:5]
                                        ; implicit-def: $vgpr112_vgpr113
	s_and_saveexec_b64 s[4:5], s[18:19]
	s_cbranch_execz .LBB1743_27
.LBB1743_26:
	flat_load_dwordx2 v[112:113], v[4:5] offset:3584
.LBB1743_27:
	s_or_b64 exec, exec, s[4:5]
	v_mov_b32_e32 v1, 0x7fff
	s_waitcnt vmcnt(0) lgkmcnt(0)
	v_cmp_gt_i16_e32 vcc, 0, v22
	v_cndmask_b32_e64 v4, v1, 0, vcc
	v_cmp_gt_i16_e32 vcc, 0, v21
	v_xor_b32_e32 v51, v4, v22
	v_cndmask_b32_e64 v4, v1, 0, vcc
	v_cmp_gt_i16_e32 vcc, 0, v28
	v_xor_b32_e32 v53, v4, v21
	;; [unrolled: 3-line block ×7, first 2 shown]
	v_cndmask_b32_e64 v4, v1, 0, vcc
	v_xor_b32_e32 v194, v4, v31
	v_lshl_add_u32 v4, v14, 4, v12
	s_getpc_b64 s[4:5]
	s_add_u32 s4, s4, _ZN7rocprim17ROCPRIM_400000_NS16block_radix_sortI6__halfLj256ELj8ElLj1ELj1ELj8ELNS0_26block_radix_rank_algorithmE2ELNS0_18block_padding_hintE2ELNS0_4arch9wavefront6targetE1EE19radix_bits_per_passE@rel32@lo+4
	s_addc_u32 s5, s5, _ZN7rocprim17ROCPRIM_400000_NS16block_radix_sortI6__halfLj256ELj8ElLj1ELj1ELj8ELNS0_26block_radix_rank_algorithmE2ELNS0_18block_padding_hintE2ELNS0_4arch9wavefront6targetE1EE19radix_bits_per_passE@rel32@hi+12
	v_add_u32_e32 v23, 16, v4
	v_add_u32_e32 v87, 20, v4
	;; [unrolled: 1-line block ×4, first 2 shown]
	v_and_b32_e32 v4, 15, v19
	s_load_dword s62, s[4:5], 0x0
	v_cmp_eq_u32_e32 vcc, 0, v4
	v_cmp_lt_u32_e64 s[4:5], 1, v4
	v_cmp_lt_u32_e64 s[6:7], 3, v4
	;; [unrolled: 1-line block ×3, first 2 shown]
	v_and_b32_e32 v4, 16, v19
	v_cmp_eq_u32_e64 s[40:41], 0, v4
	v_and_b32_e32 v4, 0x3c0, v14
	v_min_u32_e32 v4, 0xc0, v4
	v_or_b32_e32 v4, 63, v4
	v_cmp_eq_u32_e64 s[16:17], v14, v4
	v_subrev_co_u32_e64 v4, s[22:23], 1, v19
	v_and_b32_e32 v5, 64, v19
	v_cmp_lt_i32_e64 s[24:25], v4, v5
	v_cndmask_b32_e64 v4, v4, v19, s[24:25]
	v_lshlrev_b32_e32 v131, 2, v4
	v_lshrrev_b32_e32 v4, 4, v14
	v_and_b32_e32 v4, 60, v4
	v_add_u32_e32 v132, v12, v4
	v_and_b32_e32 v4, 3, v19
	v_cmp_eq_u32_e64 s[26:27], 0, v4
	v_cmp_lt_u32_e64 s[28:29], 1, v4
	v_lshlrev_b32_e32 v4, 3, v14
	s_movk_i32 s42, 0x1e00
	v_and_or_b32 v4, v4, s42, v20
	v_lshl_add_u32 v135, v4, 1, v12
	v_mul_u32_u24_e32 v4, 6, v4
	v_add_u32_e32 v151, v135, v4
	v_lshrrev_b32_e32 v130, 6, v0
	v_cmp_lt_u32_e64 s[14:15], 31, v19
	v_cmp_gt_u32_e64 s[18:19], 4, v14
	v_cmp_lt_u32_e64 s[20:21], 63, v14
	v_cmp_eq_u32_e64 s[24:25], 0, v14
	v_mov_b32_e32 v5, 0
	v_lshl_add_u32 v133, v14, 2, v12
	v_add_u32_e32 v134, -4, v132
	v_add_u32_e32 v144, 0x80, v135
	v_add_u32_e32 v145, 0x100, v135
	;; [unrolled: 1-line block ×14, first 2 shown]
	v_sub_u32_e32 v167, v11, v10
	s_mov_b64 s[58:59], 0
	s_movk_i32 s63, 0x8000
	s_waitcnt lgkmcnt(0)
	s_barrier
	s_branch .LBB1743_29
.LBB1743_28:                            ;   in Loop: Header=BB1743_29 Depth=1
	s_or_b64 exec, exec, s[44:45]
	s_and_b64 s[42:43], exec, s[60:61]
	s_or_b64 s[58:59], s[42:43], s[58:59]
	s_andn2_b64 exec, exec, s[58:59]
	s_cbranch_execz .LBB1743_53
.LBB1743_29:                            ; =>This Inner Loop Header: Depth=1
	v_mov_b32_e32 v183, v51
	v_min_u32_e32 v4, s62, v167
	v_mov_b32_e32 v28, v38
	v_lshlrev_b32_e64 v4, v4, -1
	v_cmp_ne_u16_e64 s[42:43], s63, v183
	v_mov_b32_e32 v29, v39
	v_not_b32_e32 v39, v4
	v_cndmask_b32_e64 v4, v1, v183, s[42:43]
	v_mov_b32_e32 v30, v36
	v_lshrrev_b32_sdwa v4, v10, v4 dst_sel:DWORD dst_unused:UNUSED_PAD src0_sel:DWORD src1_sel:WORD_0
	v_mov_b32_e32 v31, v37
	v_and_b32_e32 v36, v4, v39
	v_lshlrev_b32_e32 v4, 2, v36
	v_add_lshl_u32 v4, v4, v130, 2
	v_mov_b32_e32 v32, v34
	v_add_co_u32_e64 v4, s[42:43], v12, v4
	v_mov_b32_e32 v33, v35
	v_add_co_u32_e64 v4, s[42:43], 16, v4
	v_and_b32_e32 v34, 1, v36
	v_add_co_u32_e64 v35, s[42:43], -1, v34
	v_addc_co_u32_e64 v37, s[42:43], 0, -1, s[42:43]
	v_cmp_ne_u32_e64 s[42:43], 0, v34
	v_xor_b32_e32 v34, s43, v37
	v_xor_b32_e32 v35, s42, v35
	v_and_b32_e32 v37, exec_hi, v34
	v_and_b32_e32 v38, exec_lo, v35
	v_lshlrev_b32_e32 v35, 30, v36
	v_mov_b32_e32 v34, v5
	v_cmp_gt_i64_e64 s[42:43], 0, v[34:35]
	v_not_b32_e32 v34, v35
	v_ashrrev_i32_e32 v34, 31, v34
	v_xor_b32_e32 v35, s43, v34
	v_xor_b32_e32 v34, s42, v34
	v_and_b32_e32 v37, v37, v35
	v_and_b32_e32 v38, v38, v34
	v_lshlrev_b32_e32 v35, 29, v36
	v_mov_b32_e32 v34, v5
	v_cmp_gt_i64_e64 s[42:43], 0, v[34:35]
	v_not_b32_e32 v34, v35
	v_ashrrev_i32_e32 v34, 31, v34
	v_xor_b32_e32 v35, s43, v34
	v_xor_b32_e32 v34, s42, v34
	v_and_b32_e32 v37, v37, v35
	v_and_b32_e32 v38, v38, v34
	;; [unrolled: 9-line block ×7, first 2 shown]
	v_mbcnt_lo_u32_b32 v36, v34, 0
	v_mbcnt_hi_u32_b32 v36, v35, v36
	v_cmp_ne_u64_e64 s[42:43], 0, v[34:35]
	v_mov_b32_e32 v21, v48
	v_mov_b32_e32 v19, v69
	;; [unrolled: 1-line block ×5, first 2 shown]
	v_cmp_eq_u32_e64 s[44:45], 0, v36
	v_mov_b32_e32 v22, v49
	v_mov_b32_e32 v20, v70
	;; [unrolled: 1-line block ×12, first 2 shown]
	s_and_b64 s[44:45], s[42:43], s[44:45]
	ds_write_b32 v23, v5
	ds_write_b32 v87, v5
	ds_write_b32 v128, v5
	ds_write_b32 v129, v5
	s_waitcnt lgkmcnt(0)
	s_barrier
	; wave barrier
	s_and_saveexec_b64 s[42:43], s[44:45]
; %bb.30:                               ;   in Loop: Header=BB1743_29 Depth=1
	v_bcnt_u32_b32 v34, v34, 0
	v_bcnt_u32_b32 v34, v35, v34
	ds_write_b32 v4, v34
; %bb.31:                               ;   in Loop: Header=BB1743_29 Depth=1
	s_or_b64 exec, exec, s[42:43]
	v_cmp_ne_u16_e64 s[42:43], s63, v182
	v_cndmask_b32_e64 v34, v1, v182, s[42:43]
	v_lshrrev_b32_sdwa v34, v10, v34 dst_sel:DWORD dst_unused:UNUSED_PAD src0_sel:DWORD src1_sel:WORD_0
	v_and_b32_e32 v48, v34, v39
	v_lshl_add_u32 v34, v48, 2, v130
	v_lshl_add_u32 v34, v34, 2, v12
	; wave barrier
	v_add_u32_e32 v38, 16, v34
	ds_read_b32 v37, v34 offset:16
	v_and_b32_e32 v34, 1, v48
	v_add_co_u32_e64 v35, s[42:43], -1, v34
	v_addc_co_u32_e64 v49, s[42:43], 0, -1, s[42:43]
	v_cmp_ne_u32_e64 s[42:43], 0, v34
	v_xor_b32_e32 v34, s43, v49
	v_xor_b32_e32 v35, s42, v35
	v_and_b32_e32 v49, exec_hi, v34
	v_and_b32_e32 v50, exec_lo, v35
	v_lshlrev_b32_e32 v35, 30, v48
	v_mov_b32_e32 v34, v5
	v_cmp_gt_i64_e64 s[42:43], 0, v[34:35]
	v_not_b32_e32 v34, v35
	v_ashrrev_i32_e32 v34, 31, v34
	v_xor_b32_e32 v35, s43, v34
	v_xor_b32_e32 v34, s42, v34
	v_and_b32_e32 v49, v49, v35
	v_and_b32_e32 v50, v50, v34
	v_lshlrev_b32_e32 v35, 29, v48
	v_mov_b32_e32 v34, v5
	v_cmp_gt_i64_e64 s[42:43], 0, v[34:35]
	v_not_b32_e32 v34, v35
	v_ashrrev_i32_e32 v34, 31, v34
	v_xor_b32_e32 v35, s43, v34
	v_xor_b32_e32 v34, s42, v34
	v_and_b32_e32 v49, v49, v35
	v_and_b32_e32 v50, v50, v34
	;; [unrolled: 9-line block ×7, first 2 shown]
	v_mbcnt_lo_u32_b32 v48, v34, 0
	v_mbcnt_hi_u32_b32 v48, v35, v48
	v_cmp_ne_u64_e64 s[42:43], 0, v[34:35]
	v_cmp_eq_u32_e64 s[44:45], 0, v48
	s_and_b64 s[44:45], s[42:43], s[44:45]
	; wave barrier
	s_and_saveexec_b64 s[42:43], s[44:45]
	s_cbranch_execz .LBB1743_33
; %bb.32:                               ;   in Loop: Header=BB1743_29 Depth=1
	v_bcnt_u32_b32 v34, v34, 0
	v_bcnt_u32_b32 v34, v35, v34
	s_waitcnt lgkmcnt(0)
	v_add_u32_e32 v34, v37, v34
	ds_write_b32 v38, v34
.LBB1743_33:                            ;   in Loop: Header=BB1743_29 Depth=1
	s_or_b64 exec, exec, s[42:43]
	v_cmp_ne_u16_e64 s[42:43], s63, v181
	v_cndmask_b32_e64 v34, v1, v181, s[42:43]
	v_lshrrev_b32_sdwa v34, v10, v34 dst_sel:DWORD dst_unused:UNUSED_PAD src0_sel:DWORD src1_sel:WORD_0
	v_and_b32_e32 v51, v34, v39
	v_lshl_add_u32 v34, v51, 2, v130
	v_lshl_add_u32 v34, v34, 2, v12
	; wave barrier
	v_add_u32_e32 v50, 16, v34
	ds_read_b32 v49, v34 offset:16
	v_and_b32_e32 v34, 1, v51
	v_add_co_u32_e64 v35, s[42:43], -1, v34
	v_addc_co_u32_e64 v52, s[42:43], 0, -1, s[42:43]
	v_cmp_ne_u32_e64 s[42:43], 0, v34
	v_xor_b32_e32 v34, s43, v52
	v_xor_b32_e32 v35, s42, v35
	v_and_b32_e32 v52, exec_hi, v34
	v_and_b32_e32 v53, exec_lo, v35
	v_lshlrev_b32_e32 v35, 30, v51
	v_mov_b32_e32 v34, v5
	v_cmp_gt_i64_e64 s[42:43], 0, v[34:35]
	v_not_b32_e32 v34, v35
	v_ashrrev_i32_e32 v34, 31, v34
	v_xor_b32_e32 v35, s43, v34
	v_xor_b32_e32 v34, s42, v34
	v_and_b32_e32 v52, v52, v35
	v_and_b32_e32 v53, v53, v34
	v_lshlrev_b32_e32 v35, 29, v51
	v_mov_b32_e32 v34, v5
	v_cmp_gt_i64_e64 s[42:43], 0, v[34:35]
	v_not_b32_e32 v34, v35
	v_ashrrev_i32_e32 v34, 31, v34
	v_xor_b32_e32 v35, s43, v34
	v_xor_b32_e32 v34, s42, v34
	v_and_b32_e32 v52, v52, v35
	v_and_b32_e32 v53, v53, v34
	;; [unrolled: 9-line block ×7, first 2 shown]
	v_mbcnt_lo_u32_b32 v51, v34, 0
	v_mbcnt_hi_u32_b32 v51, v35, v51
	v_cmp_ne_u64_e64 s[42:43], 0, v[34:35]
	v_cmp_eq_u32_e64 s[44:45], 0, v51
	s_and_b64 s[44:45], s[42:43], s[44:45]
	; wave barrier
	s_and_saveexec_b64 s[42:43], s[44:45]
	s_cbranch_execz .LBB1743_35
; %bb.34:                               ;   in Loop: Header=BB1743_29 Depth=1
	v_bcnt_u32_b32 v34, v34, 0
	v_bcnt_u32_b32 v34, v35, v34
	s_waitcnt lgkmcnt(0)
	v_add_u32_e32 v34, v49, v34
	ds_write_b32 v50, v34
.LBB1743_35:                            ;   in Loop: Header=BB1743_29 Depth=1
	s_or_b64 exec, exec, s[42:43]
	v_cmp_ne_u16_e64 s[42:43], s63, v180
	v_cndmask_b32_e64 v34, v1, v180, s[42:43]
	v_lshrrev_b32_sdwa v34, v10, v34 dst_sel:DWORD dst_unused:UNUSED_PAD src0_sel:DWORD src1_sel:WORD_0
	v_and_b32_e32 v54, v34, v39
	v_lshl_add_u32 v34, v54, 2, v130
	v_lshl_add_u32 v34, v34, 2, v12
	; wave barrier
	v_add_u32_e32 v53, 16, v34
	ds_read_b32 v52, v34 offset:16
	v_and_b32_e32 v34, 1, v54
	v_add_co_u32_e64 v35, s[42:43], -1, v34
	v_addc_co_u32_e64 v55, s[42:43], 0, -1, s[42:43]
	v_cmp_ne_u32_e64 s[42:43], 0, v34
	v_xor_b32_e32 v34, s43, v55
	v_xor_b32_e32 v35, s42, v35
	v_and_b32_e32 v55, exec_hi, v34
	v_and_b32_e32 v64, exec_lo, v35
	v_lshlrev_b32_e32 v35, 30, v54
	v_mov_b32_e32 v34, v5
	v_cmp_gt_i64_e64 s[42:43], 0, v[34:35]
	v_not_b32_e32 v34, v35
	v_ashrrev_i32_e32 v34, 31, v34
	v_xor_b32_e32 v35, s43, v34
	v_xor_b32_e32 v34, s42, v34
	v_and_b32_e32 v55, v55, v35
	v_and_b32_e32 v64, v64, v34
	v_lshlrev_b32_e32 v35, 29, v54
	v_mov_b32_e32 v34, v5
	v_cmp_gt_i64_e64 s[42:43], 0, v[34:35]
	v_not_b32_e32 v34, v35
	v_ashrrev_i32_e32 v34, 31, v34
	v_xor_b32_e32 v35, s43, v34
	v_xor_b32_e32 v34, s42, v34
	v_and_b32_e32 v55, v55, v35
	v_and_b32_e32 v64, v64, v34
	;; [unrolled: 9-line block ×7, first 2 shown]
	v_mbcnt_lo_u32_b32 v54, v34, 0
	v_mbcnt_hi_u32_b32 v55, v35, v54
	v_cmp_ne_u64_e64 s[42:43], 0, v[34:35]
	v_cmp_eq_u32_e64 s[44:45], 0, v55
	s_and_b64 s[44:45], s[42:43], s[44:45]
	; wave barrier
	s_and_saveexec_b64 s[42:43], s[44:45]
	s_cbranch_execz .LBB1743_37
; %bb.36:                               ;   in Loop: Header=BB1743_29 Depth=1
	v_bcnt_u32_b32 v34, v34, 0
	v_bcnt_u32_b32 v34, v35, v34
	s_waitcnt lgkmcnt(0)
	v_add_u32_e32 v34, v52, v34
	ds_write_b32 v53, v34
.LBB1743_37:                            ;   in Loop: Header=BB1743_29 Depth=1
	s_or_b64 exec, exec, s[42:43]
	v_cmp_ne_u16_e64 s[42:43], s63, v179
	v_cndmask_b32_e64 v34, v1, v179, s[42:43]
	v_lshrrev_b32_sdwa v34, v10, v34 dst_sel:DWORD dst_unused:UNUSED_PAD src0_sel:DWORD src1_sel:WORD_0
	v_and_b32_e32 v54, v34, v39
	v_lshl_add_u32 v34, v54, 2, v130
	v_lshl_add_u32 v34, v34, 2, v12
	; wave barrier
	v_add_u32_e32 v65, 16, v34
	ds_read_b32 v64, v34 offset:16
	v_and_b32_e32 v34, 1, v54
	v_add_co_u32_e64 v35, s[42:43], -1, v34
	v_addc_co_u32_e64 v66, s[42:43], 0, -1, s[42:43]
	v_cmp_ne_u32_e64 s[42:43], 0, v34
	v_xor_b32_e32 v34, s43, v66
	v_xor_b32_e32 v35, s42, v35
	v_and_b32_e32 v66, exec_hi, v34
	v_and_b32_e32 v67, exec_lo, v35
	v_lshlrev_b32_e32 v35, 30, v54
	v_mov_b32_e32 v34, v5
	v_cmp_gt_i64_e64 s[42:43], 0, v[34:35]
	v_not_b32_e32 v34, v35
	v_ashrrev_i32_e32 v34, 31, v34
	v_xor_b32_e32 v35, s43, v34
	v_xor_b32_e32 v34, s42, v34
	v_and_b32_e32 v66, v66, v35
	v_and_b32_e32 v67, v67, v34
	v_lshlrev_b32_e32 v35, 29, v54
	v_mov_b32_e32 v34, v5
	v_cmp_gt_i64_e64 s[42:43], 0, v[34:35]
	v_not_b32_e32 v34, v35
	v_ashrrev_i32_e32 v34, 31, v34
	v_xor_b32_e32 v35, s43, v34
	v_xor_b32_e32 v34, s42, v34
	v_and_b32_e32 v66, v66, v35
	v_and_b32_e32 v67, v67, v34
	;; [unrolled: 9-line block ×7, first 2 shown]
	v_mbcnt_lo_u32_b32 v54, v34, 0
	v_mbcnt_hi_u32_b32 v66, v35, v54
	v_cmp_ne_u64_e64 s[42:43], 0, v[34:35]
	v_cmp_eq_u32_e64 s[44:45], 0, v66
	s_and_b64 s[44:45], s[42:43], s[44:45]
	; wave barrier
	s_and_saveexec_b64 s[42:43], s[44:45]
	s_cbranch_execz .LBB1743_39
; %bb.38:                               ;   in Loop: Header=BB1743_29 Depth=1
	v_bcnt_u32_b32 v34, v34, 0
	v_bcnt_u32_b32 v34, v35, v34
	s_waitcnt lgkmcnt(0)
	v_add_u32_e32 v34, v64, v34
	ds_write_b32 v65, v34
.LBB1743_39:                            ;   in Loop: Header=BB1743_29 Depth=1
	s_or_b64 exec, exec, s[42:43]
	v_cmp_ne_u16_e64 s[42:43], s63, v178
	v_cndmask_b32_e64 v34, v1, v178, s[42:43]
	v_lshrrev_b32_sdwa v34, v10, v34 dst_sel:DWORD dst_unused:UNUSED_PAD src0_sel:DWORD src1_sel:WORD_0
	v_and_b32_e32 v54, v34, v39
	v_lshl_add_u32 v34, v54, 2, v130
	v_lshl_add_u32 v34, v34, 2, v12
	; wave barrier
	v_add_u32_e32 v68, 16, v34
	ds_read_b32 v67, v34 offset:16
	v_and_b32_e32 v34, 1, v54
	v_add_co_u32_e64 v35, s[42:43], -1, v34
	v_addc_co_u32_e64 v69, s[42:43], 0, -1, s[42:43]
	v_cmp_ne_u32_e64 s[42:43], 0, v34
	v_xor_b32_e32 v34, s43, v69
	v_xor_b32_e32 v35, s42, v35
	v_and_b32_e32 v69, exec_hi, v34
	v_and_b32_e32 v70, exec_lo, v35
	v_lshlrev_b32_e32 v35, 30, v54
	v_mov_b32_e32 v34, v5
	v_cmp_gt_i64_e64 s[42:43], 0, v[34:35]
	v_not_b32_e32 v34, v35
	v_ashrrev_i32_e32 v34, 31, v34
	v_xor_b32_e32 v35, s43, v34
	v_xor_b32_e32 v34, s42, v34
	v_and_b32_e32 v69, v69, v35
	v_and_b32_e32 v70, v70, v34
	v_lshlrev_b32_e32 v35, 29, v54
	v_mov_b32_e32 v34, v5
	v_cmp_gt_i64_e64 s[42:43], 0, v[34:35]
	v_not_b32_e32 v34, v35
	v_ashrrev_i32_e32 v34, 31, v34
	v_xor_b32_e32 v35, s43, v34
	v_xor_b32_e32 v34, s42, v34
	v_and_b32_e32 v69, v69, v35
	v_and_b32_e32 v70, v70, v34
	;; [unrolled: 9-line block ×7, first 2 shown]
	v_mbcnt_lo_u32_b32 v54, v34, 0
	v_mbcnt_hi_u32_b32 v69, v35, v54
	v_cmp_ne_u64_e64 s[42:43], 0, v[34:35]
	v_cmp_eq_u32_e64 s[44:45], 0, v69
	s_and_b64 s[44:45], s[42:43], s[44:45]
	; wave barrier
	s_and_saveexec_b64 s[42:43], s[44:45]
	s_cbranch_execz .LBB1743_41
; %bb.40:                               ;   in Loop: Header=BB1743_29 Depth=1
	v_bcnt_u32_b32 v34, v34, 0
	v_bcnt_u32_b32 v34, v35, v34
	s_waitcnt lgkmcnt(0)
	v_add_u32_e32 v34, v67, v34
	ds_write_b32 v68, v34
.LBB1743_41:                            ;   in Loop: Header=BB1743_29 Depth=1
	s_or_b64 exec, exec, s[42:43]
	v_cmp_ne_u16_e64 s[42:43], s63, v177
	v_cndmask_b32_e64 v34, v1, v177, s[42:43]
	v_lshrrev_b32_sdwa v34, v10, v34 dst_sel:DWORD dst_unused:UNUSED_PAD src0_sel:DWORD src1_sel:WORD_0
	v_and_b32_e32 v54, v34, v39
	v_lshl_add_u32 v34, v54, 2, v130
	v_lshl_add_u32 v34, v34, 2, v12
	; wave barrier
	v_add_u32_e32 v80, 16, v34
	ds_read_b32 v70, v34 offset:16
	v_and_b32_e32 v34, 1, v54
	v_add_co_u32_e64 v35, s[42:43], -1, v34
	v_addc_co_u32_e64 v81, s[42:43], 0, -1, s[42:43]
	v_cmp_ne_u32_e64 s[42:43], 0, v34
	v_xor_b32_e32 v34, s43, v81
	v_xor_b32_e32 v35, s42, v35
	v_and_b32_e32 v81, exec_hi, v34
	v_and_b32_e32 v82, exec_lo, v35
	v_lshlrev_b32_e32 v35, 30, v54
	v_mov_b32_e32 v34, v5
	v_cmp_gt_i64_e64 s[42:43], 0, v[34:35]
	v_not_b32_e32 v34, v35
	v_ashrrev_i32_e32 v34, 31, v34
	v_xor_b32_e32 v35, s43, v34
	v_xor_b32_e32 v34, s42, v34
	v_and_b32_e32 v81, v81, v35
	v_and_b32_e32 v82, v82, v34
	v_lshlrev_b32_e32 v35, 29, v54
	v_mov_b32_e32 v34, v5
	v_cmp_gt_i64_e64 s[42:43], 0, v[34:35]
	v_not_b32_e32 v34, v35
	v_ashrrev_i32_e32 v34, 31, v34
	v_xor_b32_e32 v35, s43, v34
	v_xor_b32_e32 v34, s42, v34
	v_and_b32_e32 v81, v81, v35
	v_and_b32_e32 v82, v82, v34
	v_lshlrev_b32_e32 v35, 28, v54
	v_mov_b32_e32 v34, v5
	v_cmp_gt_i64_e64 s[42:43], 0, v[34:35]
	v_not_b32_e32 v34, v35
	v_ashrrev_i32_e32 v34, 31, v34
	v_xor_b32_e32 v35, s43, v34
	v_xor_b32_e32 v34, s42, v34
	v_and_b32_e32 v81, v81, v35
	v_and_b32_e32 v82, v82, v34
	v_lshlrev_b32_e32 v35, 27, v54
	v_mov_b32_e32 v34, v5
	v_cmp_gt_i64_e64 s[42:43], 0, v[34:35]
	v_not_b32_e32 v34, v35
	v_ashrrev_i32_e32 v34, 31, v34
	v_xor_b32_e32 v35, s43, v34
	v_xor_b32_e32 v34, s42, v34
	v_and_b32_e32 v81, v81, v35
	v_and_b32_e32 v82, v82, v34
	v_lshlrev_b32_e32 v35, 26, v54
	v_mov_b32_e32 v34, v5
	v_cmp_gt_i64_e64 s[42:43], 0, v[34:35]
	v_not_b32_e32 v34, v35
	v_ashrrev_i32_e32 v34, 31, v34
	v_xor_b32_e32 v35, s43, v34
	v_xor_b32_e32 v34, s42, v34
	v_and_b32_e32 v81, v81, v35
	v_and_b32_e32 v82, v82, v34
	v_lshlrev_b32_e32 v35, 25, v54
	v_mov_b32_e32 v34, v5
	v_cmp_gt_i64_e64 s[42:43], 0, v[34:35]
	v_not_b32_e32 v34, v35
	v_ashrrev_i32_e32 v34, 31, v34
	v_xor_b32_e32 v35, s43, v34
	v_xor_b32_e32 v34, s42, v34
	v_and_b32_e32 v81, v81, v35
	v_and_b32_e32 v82, v82, v34
	v_lshlrev_b32_e32 v35, 24, v54
	v_mov_b32_e32 v34, v5
	v_cmp_gt_i64_e64 s[42:43], 0, v[34:35]
	v_not_b32_e32 v34, v35
	v_ashrrev_i32_e32 v34, 31, v34
	v_xor_b32_e32 v35, s43, v34
	v_xor_b32_e32 v34, s42, v34
	v_and_b32_e32 v34, v82, v34
	v_and_b32_e32 v35, v81, v35
	v_mbcnt_lo_u32_b32 v54, v34, 0
	v_mbcnt_hi_u32_b32 v81, v35, v54
	v_cmp_ne_u64_e64 s[42:43], 0, v[34:35]
	v_cmp_eq_u32_e64 s[44:45], 0, v81
	s_and_b64 s[44:45], s[42:43], s[44:45]
	; wave barrier
	s_and_saveexec_b64 s[42:43], s[44:45]
	s_cbranch_execz .LBB1743_43
; %bb.42:                               ;   in Loop: Header=BB1743_29 Depth=1
	v_bcnt_u32_b32 v34, v34, 0
	v_bcnt_u32_b32 v34, v35, v34
	s_waitcnt lgkmcnt(0)
	v_add_u32_e32 v34, v70, v34
	ds_write_b32 v80, v34
.LBB1743_43:                            ;   in Loop: Header=BB1743_29 Depth=1
	s_or_b64 exec, exec, s[42:43]
	v_cmp_ne_u16_e64 s[42:43], s63, v176
	v_cndmask_b32_e64 v34, v1, v176, s[42:43]
	v_lshrrev_b32_sdwa v34, v10, v34 dst_sel:DWORD dst_unused:UNUSED_PAD src0_sel:DWORD src1_sel:WORD_0
	v_and_b32_e32 v54, v34, v39
	v_lshl_add_u32 v34, v54, 2, v130
	v_lshl_add_u32 v34, v34, 2, v12
	; wave barrier
	v_add_u32_e32 v82, 16, v34
	ds_read_b32 v39, v34 offset:16
	v_and_b32_e32 v34, 1, v54
	v_add_co_u32_e64 v35, s[42:43], -1, v34
	v_addc_co_u32_e64 v83, s[42:43], 0, -1, s[42:43]
	v_cmp_ne_u32_e64 s[42:43], 0, v34
	v_xor_b32_e32 v34, s43, v83
	v_xor_b32_e32 v35, s42, v35
	v_and_b32_e32 v83, exec_hi, v34
	v_and_b32_e32 v84, exec_lo, v35
	v_lshlrev_b32_e32 v35, 30, v54
	v_mov_b32_e32 v34, v5
	v_cmp_gt_i64_e64 s[42:43], 0, v[34:35]
	v_not_b32_e32 v34, v35
	v_ashrrev_i32_e32 v34, 31, v34
	v_xor_b32_e32 v35, s43, v34
	v_xor_b32_e32 v34, s42, v34
	v_and_b32_e32 v83, v83, v35
	v_and_b32_e32 v84, v84, v34
	v_lshlrev_b32_e32 v35, 29, v54
	v_mov_b32_e32 v34, v5
	v_cmp_gt_i64_e64 s[42:43], 0, v[34:35]
	v_not_b32_e32 v34, v35
	v_ashrrev_i32_e32 v34, 31, v34
	v_xor_b32_e32 v35, s43, v34
	v_xor_b32_e32 v34, s42, v34
	v_and_b32_e32 v83, v83, v35
	v_and_b32_e32 v84, v84, v34
	;; [unrolled: 9-line block ×7, first 2 shown]
	v_mbcnt_lo_u32_b32 v54, v34, 0
	v_mbcnt_hi_u32_b32 v83, v35, v54
	v_cmp_ne_u64_e64 s[42:43], 0, v[34:35]
	v_cmp_eq_u32_e64 s[44:45], 0, v83
	s_and_b64 s[44:45], s[42:43], s[44:45]
	; wave barrier
	s_and_saveexec_b64 s[42:43], s[44:45]
	s_cbranch_execz .LBB1743_45
; %bb.44:                               ;   in Loop: Header=BB1743_29 Depth=1
	v_bcnt_u32_b32 v34, v34, 0
	v_bcnt_u32_b32 v34, v35, v34
	s_waitcnt lgkmcnt(0)
	v_add_u32_e32 v34, v39, v34
	ds_write_b32 v82, v34
.LBB1743_45:                            ;   in Loop: Header=BB1743_29 Depth=1
	s_or_b64 exec, exec, s[42:43]
	; wave barrier
	s_waitcnt lgkmcnt(0)
	s_barrier
	ds_read_b32 v54, v23
	ds_read_b32 v35, v87
	;; [unrolled: 1-line block ×4, first 2 shown]
	s_waitcnt lgkmcnt(2)
	v_add_u32_e32 v85, v35, v54
	s_waitcnt lgkmcnt(0)
	v_add3_u32 v84, v85, v34, v84
	s_nop 1
	v_mov_b32_dpp v85, v84 row_shr:1 row_mask:0xf bank_mask:0xf
	v_cndmask_b32_e64 v85, v85, 0, vcc
	v_add_u32_e32 v84, v85, v84
	s_nop 1
	v_mov_b32_dpp v85, v84 row_shr:2 row_mask:0xf bank_mask:0xf
	v_cndmask_b32_e64 v85, 0, v85, s[4:5]
	v_add_u32_e32 v84, v84, v85
	s_nop 1
	v_mov_b32_dpp v85, v84 row_shr:4 row_mask:0xf bank_mask:0xf
	v_cndmask_b32_e64 v85, 0, v85, s[6:7]
	;; [unrolled: 4-line block ×3, first 2 shown]
	v_add_u32_e32 v84, v84, v85
	s_nop 1
	v_mov_b32_dpp v85, v84 row_bcast:15 row_mask:0xf bank_mask:0xf
	v_cndmask_b32_e64 v85, v85, 0, s[40:41]
	v_add_u32_e32 v84, v84, v85
	s_nop 1
	v_mov_b32_dpp v85, v84 row_bcast:31 row_mask:0xf bank_mask:0xf
	v_cndmask_b32_e64 v85, 0, v85, s[14:15]
	v_add_u32_e32 v84, v84, v85
	s_and_saveexec_b64 s[42:43], s[16:17]
; %bb.46:                               ;   in Loop: Header=BB1743_29 Depth=1
	ds_write_b32 v132, v84
; %bb.47:                               ;   in Loop: Header=BB1743_29 Depth=1
	s_or_b64 exec, exec, s[42:43]
	s_waitcnt lgkmcnt(0)
	s_barrier
	s_and_saveexec_b64 s[42:43], s[18:19]
	s_cbranch_execz .LBB1743_49
; %bb.48:                               ;   in Loop: Header=BB1743_29 Depth=1
	ds_read_b32 v85, v133
	s_waitcnt lgkmcnt(0)
	s_nop 0
	v_mov_b32_dpp v86, v85 row_shr:1 row_mask:0xf bank_mask:0xf
	v_cndmask_b32_e64 v86, v86, 0, s[26:27]
	v_add_u32_e32 v85, v86, v85
	s_nop 1
	v_mov_b32_dpp v86, v85 row_shr:2 row_mask:0xf bank_mask:0xf
	v_cndmask_b32_e64 v86, 0, v86, s[28:29]
	v_add_u32_e32 v85, v85, v86
	ds_write_b32 v133, v85
.LBB1743_49:                            ;   in Loop: Header=BB1743_29 Depth=1
	s_or_b64 exec, exec, s[42:43]
	v_mov_b32_e32 v85, 0
	s_waitcnt lgkmcnt(0)
	s_barrier
	s_and_saveexec_b64 s[42:43], s[20:21]
; %bb.50:                               ;   in Loop: Header=BB1743_29 Depth=1
	ds_read_b32 v85, v134
; %bb.51:                               ;   in Loop: Header=BB1743_29 Depth=1
	s_or_b64 exec, exec, s[42:43]
	s_waitcnt lgkmcnt(0)
	v_add_u32_e32 v84, v85, v84
	ds_bpermute_b32 v84, v131, v84
	v_add_u32_e32 v10, 8, v10
	v_cmp_lt_u32_e64 s[42:43], v10, v11
	s_mov_b64 s[60:61], -1
                                        ; implicit-def: $vgpr96_vgpr97
                                        ; implicit-def: $vgpr112_vgpr113
                                        ; implicit-def: $vgpr192
                                        ; implicit-def: $vgpr193
                                        ; implicit-def: $vgpr194
	s_waitcnt lgkmcnt(0)
	v_cndmask_b32_e64 v84, v84, v85, s[22:23]
	v_cndmask_b32_e64 v84, v84, 0, s[24:25]
	v_add_u32_e32 v54, v84, v54
	v_add_u32_e32 v35, v54, v35
	;; [unrolled: 1-line block ×3, first 2 shown]
	ds_write_b32 v23, v84
	ds_write_b32 v87, v54
	;; [unrolled: 1-line block ×4, first 2 shown]
	s_waitcnt lgkmcnt(0)
	s_barrier
	ds_read_b32 v4, v4
	ds_read_b32 v34, v38
	ds_read_b32 v35, v50
	s_waitcnt lgkmcnt(2)
	v_add_u32_e32 v4, v4, v36
	s_waitcnt lgkmcnt(1)
	v_add3_u32 v54, v48, v37, v34
	s_waitcnt lgkmcnt(0)
	v_add3_u32 v50, v51, v49, v35
	ds_read_b32 v34, v53
	ds_read_b32 v35, v65
	;; [unrolled: 1-line block ×5, first 2 shown]
	s_waitcnt lgkmcnt(4)
	v_add3_u32 v80, v55, v52, v34
	s_waitcnt lgkmcnt(3)
	v_add3_u32 v68, v66, v64, v35
	v_lshlrev_b64 v[34:35], 1, v[4:5]
	v_mov_b32_e32 v55, v5
	s_waitcnt lgkmcnt(0)
	v_add3_u32 v52, v83, v39, v38
	v_add_co_u32_e64 v83, s[44:45], v12, v34
	v_addc_co_u32_e64 v84, s[44:45], v13, v35, s[44:45]
	v_lshlrev_b64 v[34:35], 1, v[54:55]
	v_mov_b32_e32 v51, v5
	v_add_co_u32_e64 v85, s[44:45], v12, v34
	v_addc_co_u32_e64 v86, s[44:45], v13, v35, s[44:45]
	v_lshlrev_b64 v[34:35], 1, v[50:51]
	v_add3_u32 v64, v81, v70, v37
	v_add_co_u32_e64 v98, s[44:45], v12, v34
	v_mov_b32_e32 v81, v5
	v_addc_co_u32_e64 v99, s[44:45], v13, v35, s[44:45]
	v_lshlrev_b64 v[34:35], 1, v[80:81]
	v_add3_u32 v66, v69, v67, v36
	v_add_co_u32_e64 v100, s[44:45], v12, v34
	v_mov_b32_e32 v69, v5
	v_addc_co_u32_e64 v101, s[44:45], v13, v35, s[44:45]
	v_lshlrev_b64 v[34:35], 1, v[68:69]
	v_mov_b32_e32 v67, v5
	v_add_co_u32_e64 v102, s[44:45], v12, v34
	v_addc_co_u32_e64 v103, s[44:45], v13, v35, s[44:45]
	v_lshlrev_b64 v[34:35], 1, v[66:67]
	v_mov_b32_e32 v65, v5
	v_add_co_u32_e64 v114, s[44:45], v12, v34
	;; [unrolled: 4-line block ×3, first 2 shown]
	v_addc_co_u32_e64 v117, s[44:45], v13, v35, s[44:45]
	v_lshlrev_b64 v[34:35], 1, v[52:53]
	v_add_co_u32_e64 v118, s[44:45], v12, v34
	v_addc_co_u32_e64 v119, s[44:45], v13, v35, s[44:45]
                                        ; implicit-def: $vgpr34_vgpr35
                                        ; implicit-def: $vgpr36_vgpr37
                                        ; implicit-def: $vgpr38_vgpr39
                                        ; implicit-def: $vgpr48_vgpr49
                                        ; implicit-def: $vgpr69_vgpr70
                                        ; implicit-def: $vgpr81_vgpr82
                                        ; implicit-def: $vgpr51
                                        ; implicit-def: $vgpr53
                                        ; implicit-def: $vgpr55
                                        ; implicit-def: $vgpr65
                                        ; implicit-def: $vgpr67
	s_and_saveexec_b64 s[44:45], s[42:43]
	s_cbranch_execz .LBB1743_28
; %bb.52:                               ;   in Loop: Header=BB1743_29 Depth=1
	v_mad_u64_u32 v[34:35], s[42:43], v4, 6, v[83:84]
	v_mad_u64_u32 v[35:36], s[42:43], v54, 6, v[85:86]
	;; [unrolled: 1-line block ×4, first 2 shown]
	s_barrier
	ds_write_b16 v83, v183
	ds_write_b16 v85, v182
	;; [unrolled: 1-line block ×8, first 2 shown]
	s_waitcnt lgkmcnt(0)
	s_barrier
	ds_read_u16 v51, v135
	ds_read_u16 v53, v144
	;; [unrolled: 1-line block ×8, first 2 shown]
	s_waitcnt lgkmcnt(0)
	s_barrier
	ds_write_b64 v34, v[32:33]
	ds_write_b64 v35, v[30:31]
	;; [unrolled: 1-line block ×4, first 2 shown]
	v_mad_u64_u32 v[34:35], s[42:43], v68, 6, v[102:103]
	v_mad_u64_u32 v[35:36], s[42:43], v66, 6, v[114:115]
	v_mad_u64_u32 v[36:37], s[42:43], v64, 6, v[116:117]
	v_mad_u64_u32 v[37:38], s[42:43], v52, 6, v[118:119]
	ds_write_b64 v34, v[19:20]
	ds_write_b64 v35, v[17:18]
	ds_write_b64 v36, v[15:16]
	ds_write_b64 v37, v[8:9]
	s_waitcnt lgkmcnt(0)
	s_barrier
	ds_read_b64 v[34:35], v151
	ds_read_b64 v[36:37], v160
	;; [unrolled: 1-line block ×8, first 2 shown]
	v_add_u32_e32 v167, -8, v167
	s_xor_b64 s[60:61], exec, -1
	s_waitcnt lgkmcnt(0)
	s_barrier
	s_branch .LBB1743_28
.LBB1743_53:
	s_or_b64 exec, exec, s[58:59]
	v_mad_u64_u32 v[10:11], s[4:5], v4, 6, v[83:84]
	v_lshl_add_u32 v1, v14, 1, v12
	v_mad_u64_u32 v[11:12], s[4:5], v54, 6, v[85:86]
	v_mad_u64_u32 v[12:13], s[4:5], v50, 6, v[98:99]
	;; [unrolled: 1-line block ×3, first 2 shown]
	s_barrier
	ds_write_b16 v83, v183
	ds_write_b16 v85, v182
	;; [unrolled: 1-line block ×8, first 2 shown]
	s_waitcnt lgkmcnt(0)
	s_barrier
	ds_read_u16 v48, v1
	ds_read_u16 v39, v1 offset:512
	ds_read_u16 v38, v1 offset:1024
	;; [unrolled: 1-line block ×7, first 2 shown]
	s_waitcnt lgkmcnt(0)
	s_barrier
	ds_write_b64 v10, v[32:33]
	ds_write_b64 v11, v[30:31]
	;; [unrolled: 1-line block ×4, first 2 shown]
	v_mad_u64_u32 v[10:11], s[4:5], v68, 6, v[102:103]
	v_mad_u64_u32 v[11:12], s[4:5], v66, 6, v[114:115]
	;; [unrolled: 1-line block ×3, first 2 shown]
	v_mul_u32_u24_e32 v4, 6, v14
	v_mad_u64_u32 v[21:22], s[4:5], v52, 6, v[118:119]
	v_add_u32_e32 v1, v1, v4
	ds_write_b64 v10, v[19:20]
	ds_write_b64 v11, v[17:18]
	;; [unrolled: 1-line block ×4, first 2 shown]
	s_waitcnt lgkmcnt(0)
	s_barrier
	ds_read2st64_b64 v[20:23], v1 offset1:4
	ds_read2st64_b64 v[16:19], v1 offset0:8 offset1:12
	ds_read2st64_b64 v[12:15], v1 offset0:16 offset1:20
	ds_read2st64_b64 v[8:11], v1 offset0:24 offset1:28
	v_add_co_u32_e32 v4, vcc, v2, v26
	v_mov_b32_e32 v1, 0
	v_addc_co_u32_e32 v26, vcc, v3, v27, vcc
	v_lshlrev_b64 v[2:3], 1, v[0:1]
	s_waitcnt lgkmcnt(0)
	v_add_co_u32_e32 v2, vcc, v4, v2
	v_addc_co_u32_e32 v3, vcc, v26, v3, vcc
	v_cmp_lt_u32_e32 vcc, v0, v71
	s_barrier
	s_and_saveexec_b64 s[6:7], vcc
	s_cbranch_execz .LBB1743_55
; %bb.54:
	v_mov_b32_e32 v4, 0x7fff
	v_cmp_gt_i16_e64 s[4:5], 0, v48
	v_cndmask_b32_e64 v4, v4, 0, s[4:5]
	v_xor_b32_e32 v4, v4, v48
	flat_store_short v[2:3], v4
.LBB1743_55:
	s_or_b64 exec, exec, s[6:7]
	v_add_u32_e32 v4, 0x100, v0
	v_cmp_lt_u32_e64 s[4:5], v4, v71
	s_and_saveexec_b64 s[10:11], s[4:5]
	s_cbranch_execz .LBB1743_57
; %bb.56:
	v_mov_b32_e32 v4, 0x7fff
	v_cmp_gt_i16_e64 s[6:7], 0, v39
	v_cndmask_b32_e64 v4, v4, 0, s[6:7]
	v_xor_b32_e32 v4, v4, v39
	flat_store_short v[2:3], v4 offset:512
.LBB1743_57:
	s_or_b64 exec, exec, s[10:11]
	v_add_u32_e32 v4, 0x200, v0
	v_cmp_lt_u32_e64 s[6:7], v4, v71
	s_and_saveexec_b64 s[14:15], s[6:7]
	s_cbranch_execz .LBB1743_59
; %bb.58:
	v_mov_b32_e32 v4, 0x7fff
	v_cmp_gt_i16_e64 s[10:11], 0, v38
	v_cndmask_b32_e64 v4, v4, 0, s[10:11]
	v_xor_b32_e32 v4, v4, v38
	flat_store_short v[2:3], v4 offset:1024
.LBB1743_59:
	;; [unrolled: 12-line block ×7, first 2 shown]
	s_or_b64 exec, exec, s[24:25]
	v_add_co_u32_e64 v2, s[22:23], v6, v24
	v_lshlrev_b64 v[0:1], 3, v[0:1]
	v_addc_co_u32_e64 v3, s[22:23], v7, v25, s[22:23]
	v_add_co_u32_e64 v0, s[22:23], v2, v0
	v_addc_co_u32_e64 v1, s[22:23], v3, v1, s[22:23]
	s_and_saveexec_b64 s[22:23], vcc
	s_cbranch_execnz .LBB1743_119
; %bb.70:
	s_or_b64 exec, exec, s[22:23]
	s_and_saveexec_b64 s[22:23], s[4:5]
	s_cbranch_execnz .LBB1743_120
.LBB1743_71:
	s_or_b64 exec, exec, s[22:23]
	s_and_saveexec_b64 s[4:5], s[6:7]
	s_cbranch_execnz .LBB1743_121
.LBB1743_72:
	s_or_b64 exec, exec, s[4:5]
	s_and_saveexec_b64 s[4:5], s[10:11]
	s_cbranch_execnz .LBB1743_122
.LBB1743_73:
	s_or_b64 exec, exec, s[4:5]
	s_and_saveexec_b64 s[4:5], s[20:21]
	s_cbranch_execnz .LBB1743_123
.LBB1743_74:
	s_or_b64 exec, exec, s[4:5]
	s_and_saveexec_b64 s[4:5], s[14:15]
	s_cbranch_execnz .LBB1743_124
.LBB1743_75:
	s_or_b64 exec, exec, s[4:5]
	s_and_saveexec_b64 s[4:5], s[16:17]
	s_cbranch_execnz .LBB1743_125
.LBB1743_76:
	s_or_b64 exec, exec, s[4:5]
	s_and_saveexec_b64 s[4:5], s[18:19]
	s_cbranch_execz .LBB1743_78
.LBB1743_77:
	v_add_co_u32_e32 v0, vcc, 0x3000, v0
	v_addc_co_u32_e32 v1, vcc, 0, v1, vcc
	flat_store_dwordx2 v[0:1], v[10:11] offset:2048
.LBB1743_78:
	s_or_b64 exec, exec, s[4:5]
                                        ; implicit-def: $vgpr71
                                        ; implicit-def: $vgpr0
                                        ; implicit-def: $vgpr1
                                        ; implicit-def: $vgpr2
                                        ; implicit-def: $vgpr3
                                        ; implicit-def: $vgpr4
                                        ; implicit-def: $vgpr5
                                        ; implicit-def: $vgpr6
                                        ; implicit-def: $vgpr7
                                        ; implicit-def: $vgpr8
                                        ; implicit-def: $vgpr10
                                        ; implicit-def: $vgpr11
                                        ; implicit-def: $vgpr12
                                        ; implicit-def: $vgpr13
                                        ; implicit-def: $vgpr31
                                        ; implicit-def: $vgpr17
                                        ; implicit-def: $vgpr18
                                        ; implicit-def: $vgpr19
.LBB1743_79:
	s_andn2_saveexec_b64 s[4:5], s[56:57]
	s_cbranch_execz .LBB1743_199
; %bb.80:
	s_movk_i32 s4, 0x200
	v_cmp_lt_u32_e32 vcc, s4, v71
	s_and_saveexec_b64 s[4:5], vcc
	s_xor_b64 s[56:57], exec, s[4:5]
	s_cbranch_execz .LBB1743_140
; %bb.81:
	s_load_dwordx2 s[4:5], s[8:9], 0x0
	v_mov_b32_e32 v9, 0
	v_and_b32_e32 v30, 0x3ff, v31
	v_lshlrev_b64 v[31:32], 1, v[8:9]
	v_mbcnt_hi_u32_b32 v19, -1, v19
	s_waitcnt lgkmcnt(0)
	s_cmp_lt_u32 s13, s5
	s_cselect_b32 s5, 14, 20
	s_add_u32 s6, s8, s5
	s_addc_u32 s7, s9, 0
	s_cmp_lt_u32 s12, s4
	s_cselect_b32 s4, 12, 18
	s_add_u32 s4, s8, s4
	global_load_ushort v14, v9, s[6:7]
	s_addc_u32 s5, s9, 0
	global_load_ushort v16, v9, s[4:5]
	v_add_co_u32_e32 v23, vcc, v0, v31
	v_addc_co_u32_e32 v24, vcc, v1, v32, vcc
	v_and_b32_e32 v20, 63, v19
	v_mov_b32_e32 v15, v9
	v_lshlrev_b32_e32 v22, 1, v20
	v_mov_b32_e32 v21, -1
	s_waitcnt vmcnt(0)
	v_mad_u32_u24 v0, v18, v14, v17
	v_add_co_u32_e32 v18, vcc, v23, v22
	v_mad_u64_u32 v[0:1], s[4:5], v0, v16, v[30:31]
	v_addc_co_u32_e32 v22, vcc, 0, v24, vcc
	v_lshlrev_b32_e32 v1, 2, v0
	v_and_b32_e32 v14, 0xffffff00, v1
	v_lshlrev_b64 v[16:17], 1, v[14:15]
	v_or_b32_e32 v1, v14, v20
	v_add_co_u32_e32 v16, vcc, v18, v16
	v_cmp_lt_u32_e64 s[10:11], v1, v71
	v_addc_co_u32_e32 v17, vcc, v22, v17, vcc
	v_mov_b32_e32 v18, -1
	s_and_saveexec_b64 s[4:5], s[10:11]
	s_cbranch_execz .LBB1743_83
; %bb.82:
	flat_load_ushort v18, v[16:17]
.LBB1743_83:
	s_or_b64 exec, exec, s[4:5]
	v_or_b32_e32 v22, 64, v1
	v_cmp_lt_u32_e64 s[6:7], v22, v71
	s_and_saveexec_b64 s[4:5], s[6:7]
	s_cbranch_execz .LBB1743_85
; %bb.84:
	flat_load_ushort v21, v[16:17] offset:128
.LBB1743_85:
	s_or_b64 exec, exec, s[4:5]
	v_or_b32_e32 v22, 0x80, v1
	v_cmp_lt_u32_e64 s[4:5], v22, v71
	v_mov_b32_e32 v35, -1
	v_mov_b32_e32 v37, -1
	s_and_saveexec_b64 s[14:15], s[4:5]
	s_cbranch_execz .LBB1743_87
; %bb.86:
	flat_load_ushort v37, v[16:17] offset:256
.LBB1743_87:
	s_or_b64 exec, exec, s[14:15]
	v_or_b32_e32 v1, 0xc0, v1
	v_cmp_lt_u32_e32 vcc, v1, v71
	s_and_saveexec_b64 s[14:15], vcc
	s_cbranch_execz .LBB1743_89
; %bb.88:
	flat_load_ushort v35, v[16:17] offset:384
.LBB1743_89:
	s_or_b64 exec, exec, s[14:15]
	v_lshlrev_b64 v[33:34], 3, v[8:9]
	v_mov_b32_e32 v22, 0
	v_add_co_u32_e64 v1, s[14:15], v4, v33
	v_addc_co_u32_e64 v4, s[14:15], v5, v34, s[14:15]
	v_lshlrev_b32_e32 v5, 3, v20
	v_add_co_u32_e64 v1, s[14:15], v1, v5
	v_addc_co_u32_e64 v8, s[14:15], 0, v4, s[14:15]
	v_lshlrev_b64 v[4:5], 3, v[14:15]
	v_mov_b32_e32 v23, v22
	v_add_co_u32_e64 v4, s[14:15], v1, v4
	v_addc_co_u32_e64 v5, s[14:15], v8, v5, s[14:15]
	v_mov_b32_e32 v24, v22
	v_mov_b32_e32 v25, v22
	v_mov_b32_e32 v26, v22
	v_mov_b32_e32 v27, v22
	v_mov_b32_e32 v28, v22
	v_mov_b32_e32 v29, v22
	s_and_saveexec_b64 s[14:15], s[10:11]
	s_cbranch_execnz .LBB1743_164
; %bb.90:
	s_or_b64 exec, exec, s[14:15]
	s_and_saveexec_b64 s[10:11], s[6:7]
	s_cbranch_execnz .LBB1743_165
.LBB1743_91:
	s_or_b64 exec, exec, s[10:11]
	s_and_saveexec_b64 s[6:7], s[4:5]
	s_cbranch_execnz .LBB1743_166
.LBB1743_92:
	s_or_b64 exec, exec, s[6:7]
	s_and_saveexec_b64 s[4:5], vcc
	s_cbranch_execz .LBB1743_94
.LBB1743_93:
	flat_load_dwordx2 v[28:29], v[4:5] offset:1536
.LBB1743_94:
	s_or_b64 exec, exec, s[4:5]
	v_mov_b32_e32 v1, 0x7fff
	s_waitcnt vmcnt(0) lgkmcnt(0)
	v_cmp_gt_i16_e32 vcc, 0, v18
	v_cndmask_b32_e64 v4, v1, 0, vcc
	v_cmp_gt_i16_e32 vcc, 0, v21
	v_xor_b32_e32 v9, v4, v18
	v_cndmask_b32_e64 v4, v1, 0, vcc
	v_cmp_gt_i16_e32 vcc, 0, v37
	v_lshl_add_u32 v5, v30, 4, v12
	v_xor_b32_e32 v36, v4, v21
	v_cndmask_b32_e64 v4, v1, 0, vcc
	v_cmp_gt_i16_e32 vcc, 0, v35
	s_getpc_b64 s[4:5]
	s_add_u32 s4, s4, _ZN7rocprim17ROCPRIM_400000_NS16block_radix_sortI6__halfLj256ELj4ElLj1ELj1ELj8ELNS0_26block_radix_rank_algorithmE2ELNS0_18block_padding_hintE2ELNS0_4arch9wavefront6targetE1EE19radix_bits_per_passE@rel32@lo+4
	s_addc_u32 s5, s5, _ZN7rocprim17ROCPRIM_400000_NS16block_radix_sortI6__halfLj256ELj4ElLj1ELj1ELj8ELNS0_26block_radix_rank_algorithmE2ELNS0_18block_padding_hintE2ELNS0_4arch9wavefront6targetE1EE19radix_bits_per_passE@rel32@hi+12
	v_add_u32_e32 v54, 16, v5
	v_add_u32_e32 v55, 20, v5
	;; [unrolled: 1-line block ×4, first 2 shown]
	v_and_b32_e32 v5, 15, v19
	v_xor_b32_e32 v101, v4, v37
	v_cndmask_b32_e64 v4, v1, 0, vcc
	s_load_dword s62, s[4:5], 0x0
	v_cmp_eq_u32_e32 vcc, 0, v5
	v_cmp_lt_u32_e64 s[4:5], 1, v5
	v_cmp_lt_u32_e64 s[6:7], 3, v5
	;; [unrolled: 1-line block ×3, first 2 shown]
	v_and_b32_e32 v5, 16, v19
	v_cmp_eq_u32_e64 s[40:41], 0, v5
	v_and_b32_e32 v5, 0x3c0, v30
	v_min_u32_e32 v5, 0xc0, v5
	v_or_b32_e32 v5, 63, v5
	v_cmp_eq_u32_e64 s[16:17], v30, v5
	v_subrev_co_u32_e64 v5, s[22:23], 1, v19
	v_and_b32_e32 v8, 64, v19
	v_cmp_lt_i32_e64 s[24:25], v5, v8
	v_xor_b32_e32 v102, v4, v35
	v_lshlrev_b32_e32 v4, 2, v30
	v_cndmask_b32_e64 v5, v5, v19, s[24:25]
	s_movk_i32 s42, 0xf00
	v_lshlrev_b32_e32 v67, 2, v5
	v_lshrrev_b32_e32 v5, 4, v30
	v_add_u32_e32 v69, v12, v4
	v_and_or_b32 v4, v4, s42, v20
	v_and_b32_e32 v5, 60, v5
	v_lshl_add_u32 v80, v4, 1, v12
	v_mul_u32_u24_e32 v4, 6, v4
	v_add_u32_e32 v68, v12, v5
	v_and_b32_e32 v8, 3, v19
	v_add_u32_e32 v84, v80, v4
	v_lshrrev_b32_e32 v66, 6, v0
	v_cmp_lt_u32_e64 s[14:15], 31, v19
	v_cmp_gt_u32_e64 s[18:19], 4, v30
	v_cmp_lt_u32_e64 s[20:21], 63, v30
	v_cmp_eq_u32_e64 s[24:25], 0, v30
	v_mov_b32_e32 v5, 0
	v_cmp_eq_u32_e64 s[26:27], 0, v8
	v_cmp_lt_u32_e64 s[28:29], 1, v8
	v_add_u32_e32 v70, -4, v68
	v_add_u32_e32 v81, 0x80, v80
	v_add_u32_e32 v82, 0x100, v80
	;; [unrolled: 1-line block ×6, first 2 shown]
	v_sub_u32_e32 v96, v11, v10
	s_mov_b64 s[58:59], 0
	s_movk_i32 s63, 0x8000
	s_waitcnt lgkmcnt(0)
	s_barrier
	s_branch .LBB1743_96
.LBB1743_95:                            ;   in Loop: Header=BB1743_96 Depth=1
	s_or_b64 exec, exec, s[44:45]
	s_and_b64 s[42:43], exec, s[60:61]
	s_or_b64 s[58:59], s[42:43], s[58:59]
	s_andn2_b64 exec, exec, s[58:59]
	s_cbranch_execz .LBB1743_126
.LBB1743_96:                            ; =>This Inner Loop Header: Depth=1
	v_mov_b32_e32 v100, v9
	v_min_u32_e32 v4, s62, v96
	v_mov_b32_e32 v14, v22
	v_lshlrev_b32_e64 v4, v4, -1
	v_cmp_ne_u16_e64 s[42:43], s63, v100
	v_mov_b32_e32 v15, v23
	v_mov_b32_e32 v16, v24
	;; [unrolled: 1-line block ×7, first 2 shown]
	v_not_b32_e32 v25, v4
	v_cndmask_b32_e64 v4, v1, v100, s[42:43]
	v_lshrrev_b32_sdwa v4, v10, v4 dst_sel:DWORD dst_unused:UNUSED_PAD src0_sel:DWORD src1_sel:WORD_0
	v_and_b32_e32 v22, v4, v25
	v_lshlrev_b32_e32 v4, 2, v22
	v_add_lshl_u32 v4, v4, v66, 2
	v_add_co_u32_e64 v4, s[42:43], v12, v4
	v_add_co_u32_e64 v4, s[42:43], 16, v4
	v_and_b32_e32 v8, 1, v22
	v_add_co_u32_e64 v9, s[42:43], -1, v8
	v_addc_co_u32_e64 v23, s[42:43], 0, -1, s[42:43]
	v_cmp_ne_u32_e64 s[42:43], 0, v8
	v_xor_b32_e32 v8, s43, v23
	v_xor_b32_e32 v9, s42, v9
	v_and_b32_e32 v23, exec_hi, v8
	v_and_b32_e32 v24, exec_lo, v9
	v_lshlrev_b32_e32 v9, 30, v22
	v_mov_b32_e32 v8, v5
	v_cmp_gt_i64_e64 s[42:43], 0, v[8:9]
	v_not_b32_e32 v8, v9
	v_ashrrev_i32_e32 v8, 31, v8
	v_xor_b32_e32 v9, s43, v8
	v_xor_b32_e32 v8, s42, v8
	v_and_b32_e32 v23, v23, v9
	v_and_b32_e32 v24, v24, v8
	v_lshlrev_b32_e32 v9, 29, v22
	v_mov_b32_e32 v8, v5
	v_cmp_gt_i64_e64 s[42:43], 0, v[8:9]
	v_not_b32_e32 v8, v9
	v_ashrrev_i32_e32 v8, 31, v8
	v_xor_b32_e32 v9, s43, v8
	v_xor_b32_e32 v8, s42, v8
	v_and_b32_e32 v23, v23, v9
	v_and_b32_e32 v24, v24, v8
	;; [unrolled: 9-line block ×7, first 2 shown]
	v_mbcnt_lo_u32_b32 v22, v8, 0
	v_mbcnt_hi_u32_b32 v22, v9, v22
	v_cmp_ne_u64_e64 s[42:43], 0, v[8:9]
	v_cmp_eq_u32_e64 s[44:45], 0, v22
	v_mov_b32_e32 v99, v36
	v_mov_b32_e32 v98, v101
	;; [unrolled: 1-line block ×3, first 2 shown]
	s_and_b64 s[44:45], s[42:43], s[44:45]
	ds_write_b32 v54, v5
	ds_write_b32 v55, v5
	ds_write_b32 v64, v5
	ds_write_b32 v65, v5
	s_waitcnt lgkmcnt(0)
	s_barrier
	; wave barrier
	s_and_saveexec_b64 s[42:43], s[44:45]
; %bb.97:                               ;   in Loop: Header=BB1743_96 Depth=1
	v_bcnt_u32_b32 v8, v8, 0
	v_bcnt_u32_b32 v8, v9, v8
	ds_write_b32 v4, v8
; %bb.98:                               ;   in Loop: Header=BB1743_96 Depth=1
	s_or_b64 exec, exec, s[42:43]
	v_cmp_ne_u16_e64 s[42:43], s63, v99
	v_cndmask_b32_e64 v8, v1, v99, s[42:43]
	v_lshrrev_b32_sdwa v8, v10, v8 dst_sel:DWORD dst_unused:UNUSED_PAD src0_sel:DWORD src1_sel:WORD_0
	v_and_b32_e32 v26, v8, v25
	v_lshl_add_u32 v8, v26, 2, v66
	v_lshl_add_u32 v8, v8, 2, v12
	; wave barrier
	v_add_u32_e32 v24, 16, v8
	ds_read_b32 v23, v8 offset:16
	v_and_b32_e32 v8, 1, v26
	v_add_co_u32_e64 v9, s[42:43], -1, v8
	v_addc_co_u32_e64 v27, s[42:43], 0, -1, s[42:43]
	v_cmp_ne_u32_e64 s[42:43], 0, v8
	v_xor_b32_e32 v8, s43, v27
	v_xor_b32_e32 v9, s42, v9
	v_and_b32_e32 v27, exec_hi, v8
	v_and_b32_e32 v28, exec_lo, v9
	v_lshlrev_b32_e32 v9, 30, v26
	v_mov_b32_e32 v8, v5
	v_cmp_gt_i64_e64 s[42:43], 0, v[8:9]
	v_not_b32_e32 v8, v9
	v_ashrrev_i32_e32 v8, 31, v8
	v_xor_b32_e32 v9, s43, v8
	v_xor_b32_e32 v8, s42, v8
	v_and_b32_e32 v27, v27, v9
	v_and_b32_e32 v28, v28, v8
	v_lshlrev_b32_e32 v9, 29, v26
	v_mov_b32_e32 v8, v5
	v_cmp_gt_i64_e64 s[42:43], 0, v[8:9]
	v_not_b32_e32 v8, v9
	v_ashrrev_i32_e32 v8, 31, v8
	v_xor_b32_e32 v9, s43, v8
	v_xor_b32_e32 v8, s42, v8
	v_and_b32_e32 v27, v27, v9
	v_and_b32_e32 v28, v28, v8
	;; [unrolled: 9-line block ×7, first 2 shown]
	v_mbcnt_lo_u32_b32 v26, v8, 0
	v_mbcnt_hi_u32_b32 v26, v9, v26
	v_cmp_ne_u64_e64 s[42:43], 0, v[8:9]
	v_cmp_eq_u32_e64 s[44:45], 0, v26
	s_and_b64 s[44:45], s[42:43], s[44:45]
	; wave barrier
	s_and_saveexec_b64 s[42:43], s[44:45]
	s_cbranch_execz .LBB1743_100
; %bb.99:                               ;   in Loop: Header=BB1743_96 Depth=1
	v_bcnt_u32_b32 v8, v8, 0
	v_bcnt_u32_b32 v8, v9, v8
	s_waitcnt lgkmcnt(0)
	v_add_u32_e32 v8, v23, v8
	ds_write_b32 v24, v8
.LBB1743_100:                           ;   in Loop: Header=BB1743_96 Depth=1
	s_or_b64 exec, exec, s[42:43]
	v_cmp_ne_u16_e64 s[42:43], s63, v98
	v_cndmask_b32_e64 v8, v1, v98, s[42:43]
	v_lshrrev_b32_sdwa v8, v10, v8 dst_sel:DWORD dst_unused:UNUSED_PAD src0_sel:DWORD src1_sel:WORD_0
	v_and_b32_e32 v29, v8, v25
	v_lshl_add_u32 v8, v29, 2, v66
	v_lshl_add_u32 v8, v8, 2, v12
	; wave barrier
	v_add_u32_e32 v28, 16, v8
	ds_read_b32 v27, v8 offset:16
	v_and_b32_e32 v8, 1, v29
	v_add_co_u32_e64 v9, s[42:43], -1, v8
	v_addc_co_u32_e64 v35, s[42:43], 0, -1, s[42:43]
	v_cmp_ne_u32_e64 s[42:43], 0, v8
	v_xor_b32_e32 v8, s43, v35
	v_xor_b32_e32 v9, s42, v9
	v_and_b32_e32 v35, exec_hi, v8
	v_and_b32_e32 v36, exec_lo, v9
	v_lshlrev_b32_e32 v9, 30, v29
	v_mov_b32_e32 v8, v5
	v_cmp_gt_i64_e64 s[42:43], 0, v[8:9]
	v_not_b32_e32 v8, v9
	v_ashrrev_i32_e32 v8, 31, v8
	v_xor_b32_e32 v9, s43, v8
	v_xor_b32_e32 v8, s42, v8
	v_and_b32_e32 v35, v35, v9
	v_and_b32_e32 v36, v36, v8
	v_lshlrev_b32_e32 v9, 29, v29
	v_mov_b32_e32 v8, v5
	v_cmp_gt_i64_e64 s[42:43], 0, v[8:9]
	v_not_b32_e32 v8, v9
	v_ashrrev_i32_e32 v8, 31, v8
	v_xor_b32_e32 v9, s43, v8
	v_xor_b32_e32 v8, s42, v8
	v_and_b32_e32 v35, v35, v9
	v_and_b32_e32 v36, v36, v8
	;; [unrolled: 9-line block ×7, first 2 shown]
	v_mbcnt_lo_u32_b32 v29, v8, 0
	v_mbcnt_hi_u32_b32 v29, v9, v29
	v_cmp_ne_u64_e64 s[42:43], 0, v[8:9]
	v_cmp_eq_u32_e64 s[44:45], 0, v29
	s_and_b64 s[44:45], s[42:43], s[44:45]
	; wave barrier
	s_and_saveexec_b64 s[42:43], s[44:45]
	s_cbranch_execz .LBB1743_102
; %bb.101:                              ;   in Loop: Header=BB1743_96 Depth=1
	v_bcnt_u32_b32 v8, v8, 0
	v_bcnt_u32_b32 v8, v9, v8
	s_waitcnt lgkmcnt(0)
	v_add_u32_e32 v8, v27, v8
	ds_write_b32 v28, v8
.LBB1743_102:                           ;   in Loop: Header=BB1743_96 Depth=1
	s_or_b64 exec, exec, s[42:43]
	v_cmp_ne_u16_e64 s[42:43], s63, v97
	v_cndmask_b32_e64 v8, v1, v97, s[42:43]
	v_lshrrev_b32_sdwa v8, v10, v8 dst_sel:DWORD dst_unused:UNUSED_PAD src0_sel:DWORD src1_sel:WORD_0
	v_and_b32_e32 v36, v8, v25
	v_lshl_add_u32 v8, v36, 2, v66
	v_lshl_add_u32 v8, v8, 2, v12
	; wave barrier
	v_add_u32_e32 v35, 16, v8
	ds_read_b32 v25, v8 offset:16
	v_and_b32_e32 v8, 1, v36
	v_add_co_u32_e64 v9, s[42:43], -1, v8
	v_addc_co_u32_e64 v37, s[42:43], 0, -1, s[42:43]
	v_cmp_ne_u32_e64 s[42:43], 0, v8
	v_xor_b32_e32 v8, s43, v37
	v_xor_b32_e32 v9, s42, v9
	v_and_b32_e32 v37, exec_hi, v8
	v_and_b32_e32 v38, exec_lo, v9
	v_lshlrev_b32_e32 v9, 30, v36
	v_mov_b32_e32 v8, v5
	v_cmp_gt_i64_e64 s[42:43], 0, v[8:9]
	v_not_b32_e32 v8, v9
	v_ashrrev_i32_e32 v8, 31, v8
	v_xor_b32_e32 v9, s43, v8
	v_xor_b32_e32 v8, s42, v8
	v_and_b32_e32 v37, v37, v9
	v_and_b32_e32 v38, v38, v8
	v_lshlrev_b32_e32 v9, 29, v36
	v_mov_b32_e32 v8, v5
	v_cmp_gt_i64_e64 s[42:43], 0, v[8:9]
	v_not_b32_e32 v8, v9
	v_ashrrev_i32_e32 v8, 31, v8
	v_xor_b32_e32 v9, s43, v8
	v_xor_b32_e32 v8, s42, v8
	v_and_b32_e32 v37, v37, v9
	v_and_b32_e32 v38, v38, v8
	;; [unrolled: 9-line block ×7, first 2 shown]
	v_mbcnt_lo_u32_b32 v36, v8, 0
	v_mbcnt_hi_u32_b32 v36, v9, v36
	v_cmp_ne_u64_e64 s[42:43], 0, v[8:9]
	v_cmp_eq_u32_e64 s[44:45], 0, v36
	s_and_b64 s[44:45], s[42:43], s[44:45]
	; wave barrier
	s_and_saveexec_b64 s[42:43], s[44:45]
	s_cbranch_execz .LBB1743_104
; %bb.103:                              ;   in Loop: Header=BB1743_96 Depth=1
	v_bcnt_u32_b32 v8, v8, 0
	v_bcnt_u32_b32 v8, v9, v8
	s_waitcnt lgkmcnt(0)
	v_add_u32_e32 v8, v25, v8
	ds_write_b32 v35, v8
.LBB1743_104:                           ;   in Loop: Header=BB1743_96 Depth=1
	s_or_b64 exec, exec, s[42:43]
	; wave barrier
	s_waitcnt lgkmcnt(0)
	s_barrier
	ds_read_b32 v37, v54
	ds_read_b32 v9, v55
	;; [unrolled: 1-line block ×4, first 2 shown]
	s_waitcnt lgkmcnt(2)
	v_add_u32_e32 v39, v9, v37
	s_waitcnt lgkmcnt(0)
	v_add3_u32 v38, v39, v8, v38
	s_nop 1
	v_mov_b32_dpp v39, v38 row_shr:1 row_mask:0xf bank_mask:0xf
	v_cndmask_b32_e64 v39, v39, 0, vcc
	v_add_u32_e32 v38, v39, v38
	s_nop 1
	v_mov_b32_dpp v39, v38 row_shr:2 row_mask:0xf bank_mask:0xf
	v_cndmask_b32_e64 v39, 0, v39, s[4:5]
	v_add_u32_e32 v38, v38, v39
	s_nop 1
	v_mov_b32_dpp v39, v38 row_shr:4 row_mask:0xf bank_mask:0xf
	v_cndmask_b32_e64 v39, 0, v39, s[6:7]
	;; [unrolled: 4-line block ×3, first 2 shown]
	v_add_u32_e32 v38, v38, v39
	s_nop 1
	v_mov_b32_dpp v39, v38 row_bcast:15 row_mask:0xf bank_mask:0xf
	v_cndmask_b32_e64 v39, v39, 0, s[40:41]
	v_add_u32_e32 v38, v38, v39
	s_nop 1
	v_mov_b32_dpp v39, v38 row_bcast:31 row_mask:0xf bank_mask:0xf
	v_cndmask_b32_e64 v39, 0, v39, s[14:15]
	v_add_u32_e32 v38, v38, v39
	s_and_saveexec_b64 s[42:43], s[16:17]
; %bb.105:                              ;   in Loop: Header=BB1743_96 Depth=1
	ds_write_b32 v68, v38
; %bb.106:                              ;   in Loop: Header=BB1743_96 Depth=1
	s_or_b64 exec, exec, s[42:43]
	s_waitcnt lgkmcnt(0)
	s_barrier
	s_and_saveexec_b64 s[42:43], s[18:19]
	s_cbranch_execz .LBB1743_108
; %bb.107:                              ;   in Loop: Header=BB1743_96 Depth=1
	ds_read_b32 v39, v69
	s_waitcnt lgkmcnt(0)
	s_nop 0
	v_mov_b32_dpp v48, v39 row_shr:1 row_mask:0xf bank_mask:0xf
	v_cndmask_b32_e64 v48, v48, 0, s[26:27]
	v_add_u32_e32 v39, v48, v39
	s_nop 1
	v_mov_b32_dpp v48, v39 row_shr:2 row_mask:0xf bank_mask:0xf
	v_cndmask_b32_e64 v48, 0, v48, s[28:29]
	v_add_u32_e32 v39, v39, v48
	ds_write_b32 v69, v39
.LBB1743_108:                           ;   in Loop: Header=BB1743_96 Depth=1
	s_or_b64 exec, exec, s[42:43]
	v_mov_b32_e32 v39, 0
	s_waitcnt lgkmcnt(0)
	s_barrier
	s_and_saveexec_b64 s[42:43], s[20:21]
; %bb.109:                              ;   in Loop: Header=BB1743_96 Depth=1
	ds_read_b32 v39, v70
; %bb.110:                              ;   in Loop: Header=BB1743_96 Depth=1
	s_or_b64 exec, exec, s[42:43]
	s_waitcnt lgkmcnt(0)
	v_add_u32_e32 v38, v39, v38
	ds_bpermute_b32 v38, v67, v38
	v_add_u32_e32 v10, 8, v10
	v_cmp_lt_u32_e64 s[42:43], v10, v11
	s_mov_b64 s[60:61], -1
                                        ; implicit-def: $vgpr101
                                        ; implicit-def: $vgpr102
	s_waitcnt lgkmcnt(0)
	v_cndmask_b32_e64 v38, v38, v39, s[22:23]
	v_cndmask_b32_e64 v38, v38, 0, s[24:25]
	v_add_u32_e32 v37, v38, v37
	v_add_u32_e32 v9, v37, v9
	;; [unrolled: 1-line block ×3, first 2 shown]
	ds_write_b32 v54, v38
	ds_write_b32 v55, v37
	;; [unrolled: 1-line block ×4, first 2 shown]
	s_waitcnt lgkmcnt(0)
	s_barrier
	ds_read_b32 v4, v4
	ds_read_b32 v8, v24
	;; [unrolled: 1-line block ×4, first 2 shown]
	v_mov_b32_e32 v38, v5
	s_waitcnt lgkmcnt(3)
	v_add_u32_e32 v4, v4, v22
	s_waitcnt lgkmcnt(2)
	v_add3_u32 v37, v26, v23, v8
	v_lshlrev_b64 v[22:23], 1, v[4:5]
	s_waitcnt lgkmcnt(1)
	v_add3_u32 v35, v29, v27, v9
	v_add_co_u32_e64 v48, s[44:45], v12, v22
	v_addc_co_u32_e64 v49, s[44:45], v13, v23, s[44:45]
	v_lshlrev_b64 v[22:23], 1, v[37:38]
	s_waitcnt lgkmcnt(0)
	v_add3_u32 v8, v36, v25, v24
	v_add_co_u32_e64 v38, s[44:45], v12, v22
	v_mov_b32_e32 v36, v5
	v_addc_co_u32_e64 v39, s[44:45], v13, v23, s[44:45]
	v_lshlrev_b64 v[22:23], 1, v[35:36]
	v_mov_b32_e32 v9, v5
	v_add_co_u32_e64 v50, s[44:45], v12, v22
	v_addc_co_u32_e64 v51, s[44:45], v13, v23, s[44:45]
	v_lshlrev_b64 v[22:23], 1, v[8:9]
	v_add_co_u32_e64 v52, s[44:45], v12, v22
	v_addc_co_u32_e64 v53, s[44:45], v13, v23, s[44:45]
                                        ; implicit-def: $vgpr22_vgpr23_vgpr24_vgpr25_vgpr26_vgpr27_vgpr28_vgpr29
                                        ; implicit-def: $vgpr9
                                        ; implicit-def: $vgpr36
	s_and_saveexec_b64 s[44:45], s[42:43]
	s_cbranch_execz .LBB1743_95
; %bb.111:                              ;   in Loop: Header=BB1743_96 Depth=1
	v_mad_u64_u32 v[22:23], s[42:43], v4, 6, v[48:49]
	v_mad_u64_u32 v[23:24], s[42:43], v37, 6, v[38:39]
	;; [unrolled: 1-line block ×4, first 2 shown]
	s_barrier
	ds_write_b16 v48, v100
	ds_write_b16 v38, v99
	;; [unrolled: 1-line block ×4, first 2 shown]
	s_waitcnt lgkmcnt(0)
	s_barrier
	ds_read_u16 v9, v80
	ds_read_u16 v36, v81
	;; [unrolled: 1-line block ×4, first 2 shown]
	s_waitcnt lgkmcnt(0)
	s_barrier
	ds_write_b64 v22, v[14:15]
	ds_write_b64 v23, v[16:17]
	;; [unrolled: 1-line block ×4, first 2 shown]
	s_waitcnt lgkmcnt(0)
	s_barrier
	ds_read_b64 v[22:23], v84
	ds_read_b64 v[24:25], v85
	ds_read_b64 v[26:27], v86
	ds_read_b64 v[28:29], v87
	v_add_u32_e32 v96, -8, v96
	s_xor_b64 s[60:61], exec, -1
	s_waitcnt lgkmcnt(0)
	s_barrier
	s_branch .LBB1743_95
.LBB1743_112:
	flat_load_dwordx2 v[34:35], v[4:5]
	s_or_b64 exec, exec, s[22:23]
                                        ; implicit-def: $vgpr36_vgpr37
	s_and_saveexec_b64 s[22:23], s[4:5]
	s_cbranch_execz .LBB1743_20
.LBB1743_113:
	flat_load_dwordx2 v[36:37], v[4:5] offset:512
	s_or_b64 exec, exec, s[22:23]
                                        ; implicit-def: $vgpr38_vgpr39
	s_and_saveexec_b64 s[4:5], s[6:7]
	s_cbranch_execz .LBB1743_21
.LBB1743_114:
	flat_load_dwordx2 v[38:39], v[4:5] offset:1024
	s_or_b64 exec, exec, s[4:5]
                                        ; implicit-def: $vgpr48_vgpr49
	s_and_saveexec_b64 s[4:5], s[10:11]
	s_cbranch_execz .LBB1743_22
.LBB1743_115:
	flat_load_dwordx2 v[48:49], v[4:5] offset:1536
	s_or_b64 exec, exec, s[4:5]
                                        ; implicit-def: $vgpr69_vgpr70
	s_and_saveexec_b64 s[4:5], s[20:21]
	s_cbranch_execz .LBB1743_23
.LBB1743_116:
	flat_load_dwordx2 v[69:70], v[4:5] offset:2048
	s_or_b64 exec, exec, s[4:5]
                                        ; implicit-def: $vgpr81_vgpr82
	s_and_saveexec_b64 s[4:5], s[14:15]
	s_cbranch_execz .LBB1743_24
.LBB1743_117:
	flat_load_dwordx2 v[81:82], v[4:5] offset:2560
	s_or_b64 exec, exec, s[4:5]
                                        ; implicit-def: $vgpr96_vgpr97
	s_and_saveexec_b64 s[4:5], s[16:17]
	s_cbranch_execz .LBB1743_25
.LBB1743_118:
	flat_load_dwordx2 v[96:97], v[4:5] offset:3072
	s_or_b64 exec, exec, s[4:5]
                                        ; implicit-def: $vgpr112_vgpr113
	s_and_saveexec_b64 s[4:5], s[18:19]
	s_cbranch_execnz .LBB1743_26
	s_branch .LBB1743_27
.LBB1743_119:
	flat_store_dwordx2 v[0:1], v[20:21]
	s_or_b64 exec, exec, s[22:23]
	s_and_saveexec_b64 s[22:23], s[4:5]
	s_cbranch_execz .LBB1743_71
.LBB1743_120:
	flat_store_dwordx2 v[0:1], v[22:23] offset:2048
	s_or_b64 exec, exec, s[22:23]
	s_and_saveexec_b64 s[4:5], s[6:7]
	s_cbranch_execz .LBB1743_72
.LBB1743_121:
	v_add_co_u32_e32 v2, vcc, 0x1000, v0
	v_addc_co_u32_e32 v3, vcc, 0, v1, vcc
	flat_store_dwordx2 v[2:3], v[16:17]
	s_or_b64 exec, exec, s[4:5]
	s_and_saveexec_b64 s[4:5], s[10:11]
	s_cbranch_execz .LBB1743_73
.LBB1743_122:
	v_add_co_u32_e32 v2, vcc, 0x1000, v0
	v_addc_co_u32_e32 v3, vcc, 0, v1, vcc
	flat_store_dwordx2 v[2:3], v[18:19] offset:2048
	s_or_b64 exec, exec, s[4:5]
	s_and_saveexec_b64 s[4:5], s[20:21]
	s_cbranch_execz .LBB1743_74
.LBB1743_123:
	v_add_co_u32_e32 v2, vcc, 0x2000, v0
	v_addc_co_u32_e32 v3, vcc, 0, v1, vcc
	flat_store_dwordx2 v[2:3], v[12:13]
	s_or_b64 exec, exec, s[4:5]
	s_and_saveexec_b64 s[4:5], s[14:15]
	s_cbranch_execz .LBB1743_75
.LBB1743_124:
	v_add_co_u32_e32 v2, vcc, 0x2000, v0
	v_addc_co_u32_e32 v3, vcc, 0, v1, vcc
	flat_store_dwordx2 v[2:3], v[14:15] offset:2048
	s_or_b64 exec, exec, s[4:5]
	s_and_saveexec_b64 s[4:5], s[16:17]
	s_cbranch_execz .LBB1743_76
.LBB1743_125:
	v_add_co_u32_e32 v2, vcc, 0x3000, v0
	v_addc_co_u32_e32 v3, vcc, 0, v1, vcc
	flat_store_dwordx2 v[2:3], v[8:9]
	s_or_b64 exec, exec, s[4:5]
	s_and_saveexec_b64 s[4:5], s[18:19]
	s_cbranch_execnz .LBB1743_77
	s_branch .LBB1743_78
.LBB1743_126:
	s_or_b64 exec, exec, s[58:59]
	v_mad_u64_u32 v[9:10], s[4:5], v4, 6, v[48:49]
	v_mad_u64_u32 v[10:11], s[4:5], v37, 6, v[38:39]
	v_lshl_add_u32 v1, v30, 1, v12
	v_mad_u64_u32 v[11:12], s[4:5], v35, 6, v[50:51]
	v_mul_u32_u24_e32 v4, 6, v30
	s_barrier
	ds_write_b16 v48, v100
	ds_write_b16 v38, v99
	;; [unrolled: 1-line block ×4, first 2 shown]
	s_waitcnt lgkmcnt(0)
	s_barrier
	ds_read_u16 v24, v1
	ds_read_u16 v23, v1 offset:512
	ds_read_u16 v22, v1 offset:1024
	;; [unrolled: 1-line block ×3, first 2 shown]
	v_mad_u64_u32 v[12:13], s[4:5], v8, 6, v[52:53]
	v_add_u32_e32 v1, v1, v4
	s_waitcnt lgkmcnt(0)
	s_barrier
	ds_write_b64 v9, v[14:15]
	ds_write_b64 v10, v[16:17]
	;; [unrolled: 1-line block ×4, first 2 shown]
	s_waitcnt lgkmcnt(0)
	s_barrier
	ds_read2st64_b64 v[12:15], v1 offset1:4
	ds_read2st64_b64 v[8:11], v1 offset0:8 offset1:12
	v_add_co_u32_e32 v4, vcc, v2, v31
	v_mov_b32_e32 v1, 0
	v_addc_co_u32_e32 v16, vcc, v3, v32, vcc
	v_lshlrev_b64 v[2:3], 1, v[0:1]
	s_waitcnt lgkmcnt(0)
	v_add_co_u32_e32 v2, vcc, v4, v2
	v_addc_co_u32_e32 v3, vcc, v16, v3, vcc
	v_cmp_lt_u32_e32 vcc, v0, v71
	s_barrier
	s_and_saveexec_b64 s[6:7], vcc
	s_cbranch_execz .LBB1743_128
; %bb.127:
	v_mov_b32_e32 v4, 0x7fff
	v_cmp_gt_i16_e64 s[4:5], 0, v24
	v_cndmask_b32_e64 v4, v4, 0, s[4:5]
	v_xor_b32_e32 v4, v4, v24
	flat_store_short v[2:3], v4
.LBB1743_128:
	s_or_b64 exec, exec, s[6:7]
	v_add_u32_e32 v4, 0x100, v0
	v_cmp_lt_u32_e64 s[4:5], v4, v71
	s_and_saveexec_b64 s[10:11], s[4:5]
	s_cbranch_execz .LBB1743_130
; %bb.129:
	v_mov_b32_e32 v4, 0x7fff
	v_cmp_gt_i16_e64 s[6:7], 0, v23
	v_cndmask_b32_e64 v4, v4, 0, s[6:7]
	v_xor_b32_e32 v4, v4, v23
	flat_store_short v[2:3], v4 offset:512
.LBB1743_130:
	s_or_b64 exec, exec, s[10:11]
	v_add_u32_e32 v4, 0x200, v0
	v_cmp_lt_u32_e64 s[6:7], v4, v71
	s_and_saveexec_b64 s[14:15], s[6:7]
	s_cbranch_execz .LBB1743_132
; %bb.131:
	v_mov_b32_e32 v4, 0x7fff
	v_cmp_gt_i16_e64 s[10:11], 0, v22
	v_cndmask_b32_e64 v4, v4, 0, s[10:11]
	v_xor_b32_e32 v4, v4, v22
	flat_store_short v[2:3], v4 offset:1024
.LBB1743_132:
	;; [unrolled: 12-line block ×3, first 2 shown]
	s_or_b64 exec, exec, s[16:17]
	v_add_co_u32_e64 v2, s[14:15], v6, v33
	v_lshlrev_b64 v[0:1], 3, v[0:1]
	v_addc_co_u32_e64 v3, s[14:15], v7, v34, s[14:15]
	v_add_co_u32_e64 v0, s[14:15], v2, v0
	v_addc_co_u32_e64 v1, s[14:15], v3, v1, s[14:15]
	s_and_saveexec_b64 s[14:15], vcc
	s_cbranch_execnz .LBB1743_167
; %bb.135:
	s_or_b64 exec, exec, s[14:15]
	s_and_saveexec_b64 s[14:15], s[4:5]
	s_cbranch_execnz .LBB1743_168
.LBB1743_136:
	s_or_b64 exec, exec, s[14:15]
	s_and_saveexec_b64 s[4:5], s[6:7]
	s_cbranch_execnz .LBB1743_169
.LBB1743_137:
	s_or_b64 exec, exec, s[4:5]
	s_and_saveexec_b64 s[4:5], s[10:11]
	s_cbranch_execz .LBB1743_139
.LBB1743_138:
	v_add_co_u32_e32 v0, vcc, 0x1000, v0
	v_addc_co_u32_e32 v1, vcc, 0, v1, vcc
	flat_store_dwordx2 v[0:1], v[10:11] offset:2048
.LBB1743_139:
	s_or_b64 exec, exec, s[4:5]
                                        ; implicit-def: $vgpr71
                                        ; implicit-def: $vgpr0
                                        ; implicit-def: $vgpr1
                                        ; implicit-def: $vgpr2
                                        ; implicit-def: $vgpr3
                                        ; implicit-def: $vgpr4
                                        ; implicit-def: $vgpr5
                                        ; implicit-def: $vgpr6
                                        ; implicit-def: $vgpr7
                                        ; implicit-def: $vgpr8
                                        ; implicit-def: $vgpr10
                                        ; implicit-def: $vgpr11
                                        ; implicit-def: $vgpr12
                                        ; implicit-def: $vgpr13
                                        ; implicit-def: $vgpr31
                                        ; implicit-def: $vgpr17
                                        ; implicit-def: $vgpr18
                                        ; implicit-def: $vgpr19
.LBB1743_140:
	s_andn2_saveexec_b64 s[4:5], s[56:57]
	s_cbranch_execz .LBB1743_199
; %bb.141:
	s_load_dwordx2 s[4:5], s[8:9], 0x0
	v_mov_b32_e32 v9, 0
	s_waitcnt lgkmcnt(0)
	s_cmp_lt_u32 s13, s5
	s_cselect_b32 s5, 14, 20
	s_add_u32 s6, s8, s5
	s_addc_u32 s7, s9, 0
	s_cmp_lt_u32 s12, s4
	s_cselect_b32 s4, 12, 18
	s_add_u32 s4, s8, s4
	global_load_ushort v14, v9, s[6:7]
	s_addc_u32 s5, s9, 0
	global_load_ushort v15, v9, s[4:5]
	s_waitcnt vmcnt(0)
	v_mad_u32_u24 v14, v18, v14, v17
	v_and_b32_e32 v18, 0x3ff, v31
	v_mad_u64_u32 v[14:15], s[4:5], v14, v15, v[18:19]
	s_movk_i32 s4, 0x100
	v_lshlrev_b64 v[16:17], 1, v[8:9]
	v_cmp_lt_u32_e32 vcc, s4, v71
	s_and_saveexec_b64 s[4:5], vcc
	s_xor_b64 s[42:43], exec, s[4:5]
	s_cbranch_execz .LBB1743_179
; %bb.142:
	v_mbcnt_hi_u32_b32 v26, -1, v19
	v_add_co_u32_e32 v0, vcc, v0, v16
	v_and_b32_e32 v25, 63, v26
	v_lshlrev_b32_e32 v15, 1, v14
	v_addc_co_u32_e32 v1, vcc, v1, v17, vcc
	v_and_b32_e32 v19, 0xffffff80, v15
	v_lshlrev_b32_e32 v15, 1, v25
	v_add_co_u32_e32 v15, vcc, v0, v15
	v_mov_b32_e32 v20, v9
	v_addc_co_u32_e32 v21, vcc, 0, v1, vcc
	v_lshlrev_b64 v[0:1], 1, v[19:20]
	v_mov_b32_e32 v27, -1
	v_add_co_u32_e32 v0, vcc, v15, v0
	v_addc_co_u32_e32 v1, vcc, v21, v1, vcc
	v_or_b32_e32 v15, v25, v19
	v_cmp_lt_u32_e32 vcc, v15, v71
	v_mov_b32_e32 v28, -1
	s_and_saveexec_b64 s[4:5], vcc
	s_cbranch_execz .LBB1743_144
; %bb.143:
	flat_load_ushort v28, v[0:1]
.LBB1743_144:
	s_or_b64 exec, exec, s[4:5]
	v_or_b32_e32 v15, 64, v15
	v_cmp_lt_u32_e64 s[4:5], v15, v71
	s_and_saveexec_b64 s[6:7], s[4:5]
	s_cbranch_execz .LBB1743_146
; %bb.145:
	flat_load_ushort v27, v[0:1] offset:128
.LBB1743_146:
	s_or_b64 exec, exec, s[6:7]
	v_lshlrev_b64 v[0:1], 3, v[8:9]
	v_lshlrev_b32_e32 v8, 3, v25
	v_add_co_u32_e64 v4, s[6:7], v4, v0
	v_addc_co_u32_e64 v5, s[6:7], v5, v1, s[6:7]
	v_add_co_u32_e64 v8, s[6:7], v4, v8
	v_addc_co_u32_e64 v9, s[6:7], 0, v5, s[6:7]
	v_lshlrev_b64 v[4:5], 3, v[19:20]
	v_mov_b32_e32 v23, 0
	v_mov_b32_e32 v21, 0
	v_add_co_u32_e64 v4, s[6:7], v8, v4
	v_mov_b32_e32 v24, 0
	v_mov_b32_e32 v22, 0
	v_addc_co_u32_e64 v5, s[6:7], v9, v5, s[6:7]
	s_and_saveexec_b64 s[6:7], vcc
	s_cbranch_execz .LBB1743_148
; %bb.147:
	flat_load_dwordx2 v[21:22], v[4:5]
.LBB1743_148:
	s_or_b64 exec, exec, s[6:7]
	s_and_saveexec_b64 s[6:7], s[4:5]
	s_cbranch_execz .LBB1743_150
; %bb.149:
	flat_load_dwordx2 v[23:24], v[4:5] offset:512
.LBB1743_150:
	s_or_b64 exec, exec, s[6:7]
	v_mov_b32_e32 v15, 0x7fff
	s_waitcnt vmcnt(0) lgkmcnt(0)
	v_cmp_gt_i16_e32 vcc, 0, v28
	v_cndmask_b32_e64 v4, v15, 0, vcc
	v_cmp_gt_i16_e32 vcc, 0, v27
	v_xor_b32_e32 v55, v4, v28
	v_cndmask_b32_e64 v4, v15, 0, vcc
	v_xor_b32_e32 v64, v4, v27
	v_lshl_add_u32 v4, v18, 4, v12
	s_getpc_b64 s[4:5]
	s_add_u32 s4, s4, _ZN7rocprim17ROCPRIM_400000_NS16block_radix_sortI6__halfLj256ELj2ElLj1ELj1ELj8ELNS0_26block_radix_rank_algorithmE2ELNS0_18block_padding_hintE2ELNS0_4arch9wavefront6targetE1EE19radix_bits_per_passE@rel32@lo+4
	s_addc_u32 s5, s5, _ZN7rocprim17ROCPRIM_400000_NS16block_radix_sortI6__halfLj256ELj2ElLj1ELj1ELj8ELNS0_26block_radix_rank_algorithmE2ELNS0_18block_padding_hintE2ELNS0_4arch9wavefront6targetE1EE19radix_bits_per_passE@rel32@hi+12
	v_add_u32_e32 v31, 16, v4
	v_add_u32_e32 v32, 20, v4
	;; [unrolled: 1-line block ×4, first 2 shown]
	v_and_b32_e32 v4, 15, v26
	s_load_dword s58, s[4:5], 0x0
	v_cmp_eq_u32_e32 vcc, 0, v4
	v_cmp_lt_u32_e64 s[4:5], 1, v4
	v_cmp_lt_u32_e64 s[6:7], 3, v4
	;; [unrolled: 1-line block ×3, first 2 shown]
	v_and_b32_e32 v4, 16, v26
	v_cmp_eq_u32_e64 s[10:11], 0, v4
	v_and_b32_e32 v4, 0x3c0, v18
	v_min_u32_e32 v4, 0xc0, v4
	v_or_b32_e32 v4, 63, v4
	v_cmp_eq_u32_e64 s[14:15], v18, v4
	v_subrev_co_u32_e64 v4, s[20:21], 1, v26
	v_and_b32_e32 v5, 64, v26
	v_cmp_lt_i32_e64 s[22:23], v4, v5
	v_cndmask_b32_e64 v4, v4, v26, s[22:23]
	v_lshlrev_b32_e32 v36, 2, v4
	v_lshrrev_b32_e32 v4, 4, v18
	v_and_b32_e32 v4, 60, v4
	v_add_u32_e32 v37, v12, v4
	v_and_b32_e32 v4, 3, v26
	v_cmp_eq_u32_e64 s[24:25], 0, v4
	v_cmp_lt_u32_e64 s[26:27], 1, v4
	v_lshlrev_b32_e32 v4, 1, v18
	s_movk_i32 s28, 0x780
	v_and_or_b32 v4, v4, s28, v25
	v_lshl_add_u32 v48, v4, 1, v12
	v_mul_u32_u24_e32 v4, 6, v4
	v_add_u32_e32 v50, v48, v4
	v_lshrrev_b32_e32 v35, 6, v14
	v_cmp_lt_u32_e64 s[12:13], 31, v26
	v_cmp_gt_u32_e64 s[16:17], 4, v18
	v_cmp_lt_u32_e64 s[18:19], 63, v18
	v_cmp_eq_u32_e64 s[22:23], 0, v18
	v_mov_b32_e32 v5, 0
	v_lshl_add_u32 v38, v18, 2, v12
	v_add_u32_e32 v39, -4, v37
	v_add_u32_e32 v49, 0x80, v48
	v_add_u32_e32 v51, 0x200, v50
	v_sub_u32_e32 v52, v11, v10
	s_mov_b64 s[44:45], 0
	s_movk_i32 s59, 0x8000
	s_waitcnt lgkmcnt(0)
	s_barrier
	s_branch .LBB1743_152
.LBB1743_151:                           ;   in Loop: Header=BB1743_152 Depth=1
	s_or_b64 exec, exec, s[40:41]
	s_and_b64 s[28:29], exec, s[56:57]
	s_or_b64 s[44:45], s[28:29], s[44:45]
	s_andn2_b64 exec, exec, s[44:45]
	s_cbranch_execz .LBB1743_170
.LBB1743_152:                           ; =>This Inner Loop Header: Depth=1
	v_mov_b32_e32 v54, v55
	v_min_u32_e32 v4, s58, v52
	v_mov_b32_e32 v8, v23
	v_lshlrev_b32_e64 v4, v4, -1
	v_cmp_ne_u16_e64 s[28:29], s59, v54
	v_mov_b32_e32 v9, v24
	v_not_b32_e32 v24, v4
	v_cndmask_b32_e64 v4, v15, v54, s[28:29]
	v_lshrrev_b32_sdwa v4, v10, v4 dst_sel:DWORD dst_unused:UNUSED_PAD src0_sel:DWORD src1_sel:WORD_0
	v_and_b32_e32 v23, v4, v24
	v_lshlrev_b32_e32 v4, 2, v23
	v_add_lshl_u32 v4, v4, v35, 2
	v_mov_b32_e32 v19, v21
	v_add_co_u32_e64 v4, s[28:29], v12, v4
	v_mov_b32_e32 v20, v22
	v_add_co_u32_e64 v4, s[28:29], 16, v4
	v_and_b32_e32 v21, 1, v23
	v_add_co_u32_e64 v22, s[28:29], -1, v21
	v_addc_co_u32_e64 v25, s[28:29], 0, -1, s[28:29]
	v_cmp_ne_u32_e64 s[28:29], 0, v21
	v_xor_b32_e32 v21, s29, v25
	v_xor_b32_e32 v22, s28, v22
	v_and_b32_e32 v25, exec_hi, v21
	v_and_b32_e32 v26, exec_lo, v22
	v_lshlrev_b32_e32 v22, 30, v23
	v_mov_b32_e32 v21, v5
	v_cmp_gt_i64_e64 s[28:29], 0, v[21:22]
	v_not_b32_e32 v21, v22
	v_ashrrev_i32_e32 v21, 31, v21
	v_xor_b32_e32 v22, s29, v21
	v_xor_b32_e32 v21, s28, v21
	v_and_b32_e32 v25, v25, v22
	v_and_b32_e32 v26, v26, v21
	v_lshlrev_b32_e32 v22, 29, v23
	v_mov_b32_e32 v21, v5
	v_cmp_gt_i64_e64 s[28:29], 0, v[21:22]
	v_not_b32_e32 v21, v22
	v_ashrrev_i32_e32 v21, 31, v21
	v_xor_b32_e32 v22, s29, v21
	v_xor_b32_e32 v21, s28, v21
	v_and_b32_e32 v25, v25, v22
	v_and_b32_e32 v26, v26, v21
	;; [unrolled: 9-line block ×7, first 2 shown]
	v_mbcnt_lo_u32_b32 v23, v21, 0
	v_mbcnt_hi_u32_b32 v23, v22, v23
	v_cmp_ne_u64_e64 s[28:29], 0, v[21:22]
	v_cmp_eq_u32_e64 s[40:41], 0, v23
	v_mov_b32_e32 v53, v64
	s_and_b64 s[40:41], s[28:29], s[40:41]
	ds_write_b32 v31, v5
	ds_write_b32 v32, v5
	;; [unrolled: 1-line block ×4, first 2 shown]
	s_waitcnt lgkmcnt(0)
	s_barrier
	; wave barrier
	s_and_saveexec_b64 s[28:29], s[40:41]
; %bb.153:                              ;   in Loop: Header=BB1743_152 Depth=1
	v_bcnt_u32_b32 v21, v21, 0
	v_bcnt_u32_b32 v21, v22, v21
	ds_write_b32 v4, v21
; %bb.154:                              ;   in Loop: Header=BB1743_152 Depth=1
	s_or_b64 exec, exec, s[28:29]
	v_cmp_ne_u16_e64 s[28:29], s59, v53
	v_cndmask_b32_e64 v21, v15, v53, s[28:29]
	v_lshrrev_b32_sdwa v21, v10, v21 dst_sel:DWORD dst_unused:UNUSED_PAD src0_sel:DWORD src1_sel:WORD_0
	v_and_b32_e32 v26, v21, v24
	v_lshl_add_u32 v21, v26, 2, v35
	v_lshl_add_u32 v21, v21, 2, v12
	; wave barrier
	v_add_u32_e32 v25, 16, v21
	ds_read_b32 v24, v21 offset:16
	v_and_b32_e32 v21, 1, v26
	v_add_co_u32_e64 v22, s[28:29], -1, v21
	v_addc_co_u32_e64 v27, s[28:29], 0, -1, s[28:29]
	v_cmp_ne_u32_e64 s[28:29], 0, v21
	v_xor_b32_e32 v21, s29, v27
	v_xor_b32_e32 v22, s28, v22
	v_and_b32_e32 v27, exec_hi, v21
	v_and_b32_e32 v28, exec_lo, v22
	v_lshlrev_b32_e32 v22, 30, v26
	v_mov_b32_e32 v21, v5
	v_cmp_gt_i64_e64 s[28:29], 0, v[21:22]
	v_not_b32_e32 v21, v22
	v_ashrrev_i32_e32 v21, 31, v21
	v_xor_b32_e32 v22, s29, v21
	v_xor_b32_e32 v21, s28, v21
	v_and_b32_e32 v27, v27, v22
	v_and_b32_e32 v28, v28, v21
	v_lshlrev_b32_e32 v22, 29, v26
	v_mov_b32_e32 v21, v5
	v_cmp_gt_i64_e64 s[28:29], 0, v[21:22]
	v_not_b32_e32 v21, v22
	v_ashrrev_i32_e32 v21, 31, v21
	v_xor_b32_e32 v22, s29, v21
	v_xor_b32_e32 v21, s28, v21
	v_and_b32_e32 v27, v27, v22
	v_and_b32_e32 v28, v28, v21
	;; [unrolled: 9-line block ×7, first 2 shown]
	v_mbcnt_lo_u32_b32 v26, v21, 0
	v_mbcnt_hi_u32_b32 v26, v22, v26
	v_cmp_ne_u64_e64 s[28:29], 0, v[21:22]
	v_cmp_eq_u32_e64 s[40:41], 0, v26
	s_and_b64 s[40:41], s[28:29], s[40:41]
	; wave barrier
	s_and_saveexec_b64 s[28:29], s[40:41]
	s_cbranch_execz .LBB1743_156
; %bb.155:                              ;   in Loop: Header=BB1743_152 Depth=1
	v_bcnt_u32_b32 v21, v21, 0
	v_bcnt_u32_b32 v21, v22, v21
	s_waitcnt lgkmcnt(0)
	v_add_u32_e32 v21, v24, v21
	ds_write_b32 v25, v21
.LBB1743_156:                           ;   in Loop: Header=BB1743_152 Depth=1
	s_or_b64 exec, exec, s[28:29]
	; wave barrier
	s_waitcnt lgkmcnt(0)
	s_barrier
	ds_read_b32 v27, v31
	ds_read_b32 v22, v32
	;; [unrolled: 1-line block ×4, first 2 shown]
	s_waitcnt lgkmcnt(2)
	v_add_u32_e32 v29, v22, v27
	s_waitcnt lgkmcnt(0)
	v_add3_u32 v28, v29, v21, v28
	s_nop 1
	v_mov_b32_dpp v29, v28 row_shr:1 row_mask:0xf bank_mask:0xf
	v_cndmask_b32_e64 v29, v29, 0, vcc
	v_add_u32_e32 v28, v29, v28
	s_nop 1
	v_mov_b32_dpp v29, v28 row_shr:2 row_mask:0xf bank_mask:0xf
	v_cndmask_b32_e64 v29, 0, v29, s[4:5]
	v_add_u32_e32 v28, v28, v29
	s_nop 1
	v_mov_b32_dpp v29, v28 row_shr:4 row_mask:0xf bank_mask:0xf
	v_cndmask_b32_e64 v29, 0, v29, s[6:7]
	;; [unrolled: 4-line block ×3, first 2 shown]
	v_add_u32_e32 v28, v28, v29
	s_nop 1
	v_mov_b32_dpp v29, v28 row_bcast:15 row_mask:0xf bank_mask:0xf
	v_cndmask_b32_e64 v29, v29, 0, s[10:11]
	v_add_u32_e32 v28, v28, v29
	s_nop 1
	v_mov_b32_dpp v29, v28 row_bcast:31 row_mask:0xf bank_mask:0xf
	v_cndmask_b32_e64 v29, 0, v29, s[12:13]
	v_add_u32_e32 v28, v28, v29
	s_and_saveexec_b64 s[28:29], s[14:15]
; %bb.157:                              ;   in Loop: Header=BB1743_152 Depth=1
	ds_write_b32 v37, v28
; %bb.158:                              ;   in Loop: Header=BB1743_152 Depth=1
	s_or_b64 exec, exec, s[28:29]
	s_waitcnt lgkmcnt(0)
	s_barrier
	s_and_saveexec_b64 s[28:29], s[16:17]
	s_cbranch_execz .LBB1743_160
; %bb.159:                              ;   in Loop: Header=BB1743_152 Depth=1
	ds_read_b32 v29, v38
	s_waitcnt lgkmcnt(0)
	s_nop 0
	v_mov_b32_dpp v30, v29 row_shr:1 row_mask:0xf bank_mask:0xf
	v_cndmask_b32_e64 v30, v30, 0, s[24:25]
	v_add_u32_e32 v29, v30, v29
	s_nop 1
	v_mov_b32_dpp v30, v29 row_shr:2 row_mask:0xf bank_mask:0xf
	v_cndmask_b32_e64 v30, 0, v30, s[26:27]
	v_add_u32_e32 v29, v29, v30
	ds_write_b32 v38, v29
.LBB1743_160:                           ;   in Loop: Header=BB1743_152 Depth=1
	s_or_b64 exec, exec, s[28:29]
	v_mov_b32_e32 v29, 0
	s_waitcnt lgkmcnt(0)
	s_barrier
	s_and_saveexec_b64 s[28:29], s[18:19]
; %bb.161:                              ;   in Loop: Header=BB1743_152 Depth=1
	ds_read_b32 v29, v39
; %bb.162:                              ;   in Loop: Header=BB1743_152 Depth=1
	s_or_b64 exec, exec, s[28:29]
	s_waitcnt lgkmcnt(0)
	v_add_u32_e32 v28, v29, v28
	ds_bpermute_b32 v28, v36, v28
	v_add_u32_e32 v10, 8, v10
	v_cmp_lt_u32_e64 s[28:29], v10, v11
	s_mov_b64 s[56:57], -1
                                        ; implicit-def: $vgpr55
                                        ; implicit-def: $vgpr64
	s_waitcnt lgkmcnt(0)
	v_cndmask_b32_e64 v28, v28, v29, s[20:21]
	v_cndmask_b32_e64 v28, v28, 0, s[22:23]
	v_add_u32_e32 v27, v28, v27
	v_add_u32_e32 v22, v27, v22
	;; [unrolled: 1-line block ×3, first 2 shown]
	ds_write_b32 v31, v28
	ds_write_b32 v32, v27
	;; [unrolled: 1-line block ×4, first 2 shown]
	s_waitcnt lgkmcnt(0)
	s_barrier
	ds_read_b32 v4, v4
	ds_read_b32 v21, v25
	s_waitcnt lgkmcnt(0)
	v_add_u32_e32 v4, v4, v23
	v_add3_u32 v25, v26, v24, v21
	v_lshlrev_b64 v[21:22], 1, v[4:5]
	v_mov_b32_e32 v26, v5
	v_add_co_u32_e64 v27, s[40:41], v12, v21
	v_addc_co_u32_e64 v28, s[40:41], v13, v22, s[40:41]
	v_lshlrev_b64 v[21:22], 1, v[25:26]
                                        ; implicit-def: $vgpr23_vgpr24
	v_add_co_u32_e64 v29, s[40:41], v12, v21
	v_addc_co_u32_e64 v30, s[40:41], v13, v22, s[40:41]
                                        ; implicit-def: $vgpr21_vgpr22
	s_and_saveexec_b64 s[40:41], s[28:29]
	s_cbranch_execz .LBB1743_151
; %bb.163:                              ;   in Loop: Header=BB1743_152 Depth=1
	v_mad_u64_u32 v[21:22], s[28:29], v4, 6, v[27:28]
	v_mad_u64_u32 v[22:23], s[28:29], v25, 6, v[29:30]
	s_barrier
	ds_write_b16 v27, v54
	ds_write_b16 v29, v53
	s_waitcnt lgkmcnt(0)
	s_barrier
	ds_read_u16 v55, v48
	ds_read_u16 v64, v49
	s_waitcnt lgkmcnt(0)
	s_barrier
	ds_write_b64 v21, v[19:20]
	ds_write_b64 v22, v[8:9]
	s_waitcnt lgkmcnt(0)
	s_barrier
	ds_read_b64 v[21:22], v50
	ds_read_b64 v[23:24], v51
	v_add_u32_e32 v52, -8, v52
	s_xor_b64 s[56:57], exec, -1
	s_waitcnt lgkmcnt(0)
	s_barrier
	s_branch .LBB1743_151
.LBB1743_164:
	flat_load_dwordx2 v[48:49], v[4:5]
	v_mov_b32_e32 v50, v22
	v_mov_b32_e32 v51, v22
	;; [unrolled: 1-line block ×6, first 2 shown]
	s_waitcnt vmcnt(0) lgkmcnt(0)
	v_mov_b32_e32 v22, v48
	v_mov_b32_e32 v23, v49
	;; [unrolled: 1-line block ×8, first 2 shown]
	s_or_b64 exec, exec, s[14:15]
	s_and_saveexec_b64 s[10:11], s[6:7]
	s_cbranch_execz .LBB1743_91
.LBB1743_165:
	flat_load_dwordx2 v[24:25], v[4:5] offset:512
	s_or_b64 exec, exec, s[10:11]
	s_and_saveexec_b64 s[6:7], s[4:5]
	s_cbranch_execz .LBB1743_92
.LBB1743_166:
	flat_load_dwordx2 v[26:27], v[4:5] offset:1024
	s_or_b64 exec, exec, s[6:7]
	s_and_saveexec_b64 s[4:5], vcc
	s_cbranch_execnz .LBB1743_93
	s_branch .LBB1743_94
.LBB1743_167:
	flat_store_dwordx2 v[0:1], v[12:13]
	s_or_b64 exec, exec, s[14:15]
	s_and_saveexec_b64 s[14:15], s[4:5]
	s_cbranch_execz .LBB1743_136
.LBB1743_168:
	flat_store_dwordx2 v[0:1], v[14:15] offset:2048
	s_or_b64 exec, exec, s[14:15]
	s_and_saveexec_b64 s[4:5], s[6:7]
	s_cbranch_execz .LBB1743_137
.LBB1743_169:
	v_add_co_u32_e32 v2, vcc, 0x1000, v0
	v_addc_co_u32_e32 v3, vcc, 0, v1, vcc
	flat_store_dwordx2 v[2:3], v[8:9]
	s_or_b64 exec, exec, s[4:5]
	s_and_saveexec_b64 s[4:5], s[10:11]
	s_cbranch_execnz .LBB1743_138
	s_branch .LBB1743_139
.LBB1743_170:
	s_or_b64 exec, exec, s[44:45]
	v_mad_u64_u32 v[10:11], s[4:5], v4, 6, v[27:28]
	v_mad_u64_u32 v[21:22], s[4:5], v25, 6, v[29:30]
	v_lshl_add_u32 v13, v18, 1, v12
	v_mul_u32_u24_e32 v4, 6, v18
	v_add_u32_e32 v4, v13, v4
	s_barrier
	ds_write_b16 v27, v54
	ds_write_b16 v29, v53
	s_waitcnt lgkmcnt(0)
	s_barrier
	ds_read_u16 v12, v13
	ds_read_u16 v5, v13 offset:512
	s_waitcnt lgkmcnt(0)
	s_barrier
	ds_write_b64 v10, v[19:20]
	ds_write_b64 v21, v[8:9]
	s_waitcnt lgkmcnt(0)
	s_barrier
	ds_read2st64_b64 v[8:11], v4 offset1:4
	v_add_co_u32_e32 v4, vcc, v2, v16
	v_mov_b32_e32 v15, 0
	v_addc_co_u32_e32 v13, vcc, v3, v17, vcc
	v_lshlrev_b64 v[2:3], 1, v[14:15]
	s_waitcnt lgkmcnt(0)
	v_add_co_u32_e32 v2, vcc, v4, v2
	v_addc_co_u32_e32 v3, vcc, v13, v3, vcc
	v_cmp_lt_u32_e32 vcc, v14, v71
	s_barrier
	s_and_saveexec_b64 s[6:7], vcc
	s_cbranch_execz .LBB1743_172
; %bb.171:
	v_mov_b32_e32 v4, 0x7fff
	v_cmp_gt_i16_e64 s[4:5], 0, v12
	v_cndmask_b32_e64 v4, v4, 0, s[4:5]
	v_xor_b32_e32 v4, v4, v12
	flat_store_short v[2:3], v4
.LBB1743_172:
	s_or_b64 exec, exec, s[6:7]
	v_add_u32_e32 v4, 0x100, v14
	v_cmp_lt_u32_e64 s[4:5], v4, v71
	s_and_saveexec_b64 s[8:9], s[4:5]
	s_cbranch_execz .LBB1743_174
; %bb.173:
	v_mov_b32_e32 v4, 0x7fff
	v_cmp_gt_i16_e64 s[6:7], 0, v5
	v_cndmask_b32_e64 v4, v4, 0, s[6:7]
	v_xor_b32_e32 v4, v4, v5
	flat_store_short v[2:3], v4 offset:512
.LBB1743_174:
	s_or_b64 exec, exec, s[8:9]
	v_add_co_u32_e64 v2, s[6:7], v6, v0
	v_addc_co_u32_e64 v3, s[6:7], v7, v1, s[6:7]
	v_lshlrev_b64 v[0:1], 3, v[14:15]
	v_add_co_u32_e64 v0, s[6:7], v2, v0
	v_addc_co_u32_e64 v1, s[6:7], v3, v1, s[6:7]
	s_and_saveexec_b64 s[6:7], vcc
	s_cbranch_execz .LBB1743_176
; %bb.175:
	flat_store_dwordx2 v[0:1], v[8:9]
.LBB1743_176:
	s_or_b64 exec, exec, s[6:7]
	s_and_saveexec_b64 s[6:7], s[4:5]
	s_cbranch_execz .LBB1743_178
; %bb.177:
	flat_store_dwordx2 v[0:1], v[10:11] offset:2048
.LBB1743_178:
	s_or_b64 exec, exec, s[6:7]
                                        ; implicit-def: $vgpr18
                                        ; implicit-def: $vgpr14_vgpr15
                                        ; implicit-def: $vgpr8_vgpr9
                                        ; implicit-def: $vgpr16_vgpr17
                                        ; implicit-def: $vgpr71
                                        ; implicit-def: $vgpr0
                                        ; implicit-def: $vgpr1
                                        ; implicit-def: $vgpr2
                                        ; implicit-def: $vgpr3
                                        ; implicit-def: $vgpr4
                                        ; implicit-def: $vgpr5
                                        ; implicit-def: $vgpr6
                                        ; implicit-def: $vgpr7
                                        ; implicit-def: $vgpr10
                                        ; implicit-def: $vgpr11
                                        ; implicit-def: $vgpr12
                                        ; implicit-def: $vgpr13
                                        ; implicit-def: $vgpr19
.LBB1743_179:
	s_andn2_saveexec_b64 s[4:5], s[42:43]
	s_cbranch_execz .LBB1743_199
; %bb.180:
	v_mbcnt_hi_u32_b32 v31, -1, v19
	v_bfi_b32 v15, 63, v31, v14
	v_and_b32_e32 v32, 63, v31
	v_and_b32_e32 v21, 0xffffffc0, v14
	v_cmp_lt_u32_e32 vcc, v15, v71
	v_mov_b32_e32 v23, -1
	s_and_saveexec_b64 s[6:7], vcc
	s_cbranch_execz .LBB1743_182
; %bb.181:
	v_add_co_u32_e64 v0, s[4:5], v0, v16
	v_addc_co_u32_e64 v1, s[4:5], v1, v17, s[4:5]
	v_lshlrev_b32_e32 v15, 1, v32
	v_mov_b32_e32 v22, 0
	v_add_co_u32_e64 v15, s[4:5], v0, v15
	v_addc_co_u32_e64 v19, s[4:5], 0, v1, s[4:5]
	v_lshlrev_b64 v[0:1], 1, v[21:22]
	v_add_co_u32_e64 v0, s[4:5], v15, v0
	v_addc_co_u32_e64 v1, s[4:5], v19, v1, s[4:5]
	flat_load_ushort v23, v[0:1]
.LBB1743_182:
	s_or_b64 exec, exec, s[6:7]
	v_lshlrev_b64 v[0:1], 3, v[8:9]
                                        ; implicit-def: $vgpr19_vgpr20
	s_and_saveexec_b64 s[4:5], vcc
	s_cbranch_execz .LBB1743_184
; %bb.183:
	v_add_co_u32_e32 v4, vcc, v4, v0
	v_addc_co_u32_e32 v5, vcc, v5, v1, vcc
	v_lshlrev_b32_e32 v8, 3, v32
	v_mov_b32_e32 v22, 0
	v_add_co_u32_e32 v8, vcc, v4, v8
	v_addc_co_u32_e32 v9, vcc, 0, v5, vcc
	v_lshlrev_b64 v[4:5], 3, v[21:22]
	v_add_co_u32_e32 v4, vcc, v8, v4
	v_addc_co_u32_e32 v5, vcc, v9, v5, vcc
	flat_load_dwordx2 v[19:20], v[4:5]
.LBB1743_184:
	s_or_b64 exec, exec, s[4:5]
	v_mov_b32_e32 v15, 0x7fff
	s_waitcnt vmcnt(0) lgkmcnt(0)
	v_cmp_gt_i16_e32 vcc, 0, v23
	v_cndmask_b32_e64 v4, v15, 0, vcc
	v_lshl_add_u32 v8, v18, 4, v12
	v_xor_b32_e32 v36, v4, v23
	s_getpc_b64 s[4:5]
	s_add_u32 s4, s4, _ZN7rocprim17ROCPRIM_400000_NS16block_radix_sortI6__halfLj256ELj1ElLj1ELj1ELj8ELNS0_26block_radix_rank_algorithmE2ELNS0_18block_padding_hintE2ELNS0_4arch9wavefront6targetE1EE19radix_bits_per_passE@rel32@lo+4
	s_addc_u32 s5, s5, _ZN7rocprim17ROCPRIM_400000_NS16block_radix_sortI6__halfLj256ELj1ElLj1ELj1ELj8ELNS0_26block_radix_rank_algorithmE2ELNS0_18block_padding_hintE2ELNS0_4arch9wavefront6targetE1EE19radix_bits_per_passE@rel32@hi+12
	v_add_u32_e32 v23, 16, v8
	v_add_u32_e32 v24, 20, v8
	;; [unrolled: 1-line block ×4, first 2 shown]
	v_and_b32_e32 v8, 15, v31
	s_load_dword s56, s[4:5], 0x0
	v_cmp_eq_u32_e32 vcc, 0, v8
	v_cmp_lt_u32_e64 s[4:5], 1, v8
	v_cmp_lt_u32_e64 s[6:7], 3, v8
	;; [unrolled: 1-line block ×3, first 2 shown]
	v_and_b32_e32 v8, 16, v31
	v_cmp_eq_u32_e64 s[10:11], 0, v8
	v_and_b32_e32 v8, 0x3c0, v18
	v_min_u32_e32 v9, 0xc0, v8
	v_or_b32_e32 v9, 63, v9
	v_cmp_eq_u32_e64 s[14:15], v18, v9
	v_subrev_co_u32_e64 v9, s[20:21], 1, v31
	v_and_b32_e32 v21, 64, v31
	v_cmp_lt_i32_e64 s[22:23], v9, v21
	v_lshlrev_b32_e32 v4, 2, v18
	v_cndmask_b32_e64 v9, v9, v31, s[22:23]
	v_lshlrev_b32_e32 v29, 2, v9
	v_lshrrev_b32_e32 v9, 4, v18
	v_add_co_u32_e64 v28, s[24:25], v12, v4
	v_and_b32_e32 v4, 3, v31
	v_and_b32_e32 v9, 60, v9
	v_cmp_eq_u32_e64 s[24:25], 0, v4
	v_cmp_lt_u32_e64 s[26:27], 1, v4
	v_or_b32_e32 v4, v32, v8
	v_add_u32_e32 v30, v12, v9
	v_lshl_add_u32 v32, v4, 1, v12
	v_mul_u32_u24_e32 v4, 6, v4
	v_mov_b32_e32 v5, 0
	v_lshrrev_b32_e32 v27, 6, v14
	v_cmp_lt_u32_e64 s[12:13], 31, v31
	v_cmp_gt_u32_e64 s[16:17], 4, v18
	v_cmp_lt_u32_e64 s[18:19], 63, v18
	v_cmp_eq_u32_e64 s[22:23], 0, v18
	v_add_u32_e32 v31, -4, v30
	v_add_u32_e32 v33, v32, v4
	v_sub_u32_e32 v34, v11, v10
	s_mov_b64 s[42:43], 0
	s_movk_i32 s57, 0x8000
	s_waitcnt lgkmcnt(0)
	s_barrier
	s_branch .LBB1743_186
.LBB1743_185:                           ;   in Loop: Header=BB1743_186 Depth=1
	s_or_b64 exec, exec, s[40:41]
	s_and_b64 s[28:29], exec, s[44:45]
	s_or_b64 s[42:43], s[28:29], s[42:43]
	s_andn2_b64 exec, exec, s[42:43]
	s_cbranch_execz .LBB1743_196
.LBB1743_186:                           ; =>This Inner Loop Header: Depth=1
	v_mov_b32_e32 v35, v36
	v_mov_b32_e32 v8, v19
	v_cmp_ne_u16_e64 s[28:29], s57, v35
	v_mov_b32_e32 v9, v20
	v_cndmask_b32_e64 v19, v15, v35, s[28:29]
	v_min_u32_e32 v4, s56, v34
	v_lshrrev_b32_sdwa v19, v10, v19 dst_sel:DWORD dst_unused:UNUSED_PAD src0_sel:DWORD src1_sel:WORD_0
	v_bfe_u32 v21, v19, 0, v4
	v_lshlrev_b32_e32 v4, 2, v21
	v_add_lshl_u32 v4, v4, v27, 2
	v_add_co_u32_e64 v4, s[28:29], v12, v4
	v_add_co_u32_e64 v4, s[28:29], 16, v4
	v_and_b32_e32 v19, 1, v21
	v_add_co_u32_e64 v20, s[28:29], -1, v19
	v_addc_co_u32_e64 v22, s[28:29], 0, -1, s[28:29]
	v_cmp_ne_u32_e64 s[28:29], 0, v19
	v_xor_b32_e32 v19, s29, v22
	v_xor_b32_e32 v20, s28, v20
	v_and_b32_e32 v22, exec_hi, v19
	v_and_b32_e32 v36, exec_lo, v20
	v_lshlrev_b32_e32 v20, 30, v21
	v_mov_b32_e32 v19, v5
	v_cmp_gt_i64_e64 s[28:29], 0, v[19:20]
	v_not_b32_e32 v19, v20
	v_ashrrev_i32_e32 v19, 31, v19
	v_xor_b32_e32 v20, s29, v19
	v_xor_b32_e32 v19, s28, v19
	v_and_b32_e32 v22, v22, v20
	v_and_b32_e32 v36, v36, v19
	v_lshlrev_b32_e32 v20, 29, v21
	v_mov_b32_e32 v19, v5
	v_cmp_gt_i64_e64 s[28:29], 0, v[19:20]
	v_not_b32_e32 v19, v20
	v_ashrrev_i32_e32 v19, 31, v19
	v_xor_b32_e32 v20, s29, v19
	v_xor_b32_e32 v19, s28, v19
	v_and_b32_e32 v22, v22, v20
	v_and_b32_e32 v36, v36, v19
	;; [unrolled: 9-line block ×7, first 2 shown]
	v_mbcnt_lo_u32_b32 v21, v19, 0
	v_mbcnt_hi_u32_b32 v21, v20, v21
	v_cmp_ne_u64_e64 s[28:29], 0, v[19:20]
	v_cmp_eq_u32_e64 s[40:41], 0, v21
	s_and_b64 s[40:41], s[28:29], s[40:41]
	ds_write_b32 v23, v5
	ds_write_b32 v24, v5
	;; [unrolled: 1-line block ×4, first 2 shown]
	s_waitcnt lgkmcnt(0)
	s_barrier
	; wave barrier
	s_and_saveexec_b64 s[28:29], s[40:41]
; %bb.187:                              ;   in Loop: Header=BB1743_186 Depth=1
	v_bcnt_u32_b32 v19, v19, 0
	v_bcnt_u32_b32 v19, v20, v19
	ds_write_b32 v4, v19
; %bb.188:                              ;   in Loop: Header=BB1743_186 Depth=1
	s_or_b64 exec, exec, s[28:29]
	; wave barrier
	s_waitcnt lgkmcnt(0)
	s_barrier
	ds_read_b32 v22, v23
	ds_read_b32 v20, v24
	;; [unrolled: 1-line block ×4, first 2 shown]
	s_waitcnt lgkmcnt(2)
	v_add_u32_e32 v37, v20, v22
	s_waitcnt lgkmcnt(0)
	v_add3_u32 v36, v37, v19, v36
	s_nop 1
	v_mov_b32_dpp v37, v36 row_shr:1 row_mask:0xf bank_mask:0xf
	v_cndmask_b32_e64 v37, v37, 0, vcc
	v_add_u32_e32 v36, v37, v36
	s_nop 1
	v_mov_b32_dpp v37, v36 row_shr:2 row_mask:0xf bank_mask:0xf
	v_cndmask_b32_e64 v37, 0, v37, s[4:5]
	v_add_u32_e32 v36, v36, v37
	s_nop 1
	v_mov_b32_dpp v37, v36 row_shr:4 row_mask:0xf bank_mask:0xf
	v_cndmask_b32_e64 v37, 0, v37, s[6:7]
	;; [unrolled: 4-line block ×3, first 2 shown]
	v_add_u32_e32 v36, v36, v37
	s_nop 1
	v_mov_b32_dpp v37, v36 row_bcast:15 row_mask:0xf bank_mask:0xf
	v_cndmask_b32_e64 v37, v37, 0, s[10:11]
	v_add_u32_e32 v36, v36, v37
	s_nop 1
	v_mov_b32_dpp v37, v36 row_bcast:31 row_mask:0xf bank_mask:0xf
	v_cndmask_b32_e64 v37, 0, v37, s[12:13]
	v_add_u32_e32 v36, v36, v37
	s_and_saveexec_b64 s[28:29], s[14:15]
; %bb.189:                              ;   in Loop: Header=BB1743_186 Depth=1
	ds_write_b32 v30, v36
; %bb.190:                              ;   in Loop: Header=BB1743_186 Depth=1
	s_or_b64 exec, exec, s[28:29]
	s_waitcnt lgkmcnt(0)
	s_barrier
	s_and_saveexec_b64 s[28:29], s[16:17]
	s_cbranch_execz .LBB1743_192
; %bb.191:                              ;   in Loop: Header=BB1743_186 Depth=1
	ds_read_b32 v37, v28
	s_waitcnt lgkmcnt(0)
	s_nop 0
	v_mov_b32_dpp v38, v37 row_shr:1 row_mask:0xf bank_mask:0xf
	v_cndmask_b32_e64 v38, v38, 0, s[24:25]
	v_add_u32_e32 v37, v38, v37
	s_nop 1
	v_mov_b32_dpp v38, v37 row_shr:2 row_mask:0xf bank_mask:0xf
	v_cndmask_b32_e64 v38, 0, v38, s[26:27]
	v_add_u32_e32 v37, v37, v38
	ds_write_b32 v28, v37
.LBB1743_192:                           ;   in Loop: Header=BB1743_186 Depth=1
	s_or_b64 exec, exec, s[28:29]
	v_mov_b32_e32 v37, 0
	s_waitcnt lgkmcnt(0)
	s_barrier
	s_and_saveexec_b64 s[28:29], s[18:19]
; %bb.193:                              ;   in Loop: Header=BB1743_186 Depth=1
	ds_read_b32 v37, v31
; %bb.194:                              ;   in Loop: Header=BB1743_186 Depth=1
	s_or_b64 exec, exec, s[28:29]
	s_waitcnt lgkmcnt(0)
	v_add_u32_e32 v36, v37, v36
	ds_bpermute_b32 v36, v29, v36
	v_add_u32_e32 v10, 8, v10
	v_cmp_lt_u32_e64 s[28:29], v10, v11
	s_mov_b64 s[44:45], -1
	s_waitcnt lgkmcnt(0)
	v_cndmask_b32_e64 v36, v36, v37, s[20:21]
	v_cndmask_b32_e64 v36, v36, 0, s[22:23]
	v_add_u32_e32 v22, v36, v22
	v_add_u32_e32 v20, v22, v20
	ds_write_b32 v23, v36
	ds_write_b32 v24, v22
	v_add_u32_e32 v19, v20, v19
	ds_write_b32 v25, v20
	ds_write_b32 v26, v19
	s_waitcnt lgkmcnt(0)
	s_barrier
	ds_read_b32 v4, v4
	s_waitcnt lgkmcnt(0)
                                        ; implicit-def: $vgpr36
	v_add_u32_e32 v4, v4, v21
	v_lshlrev_b64 v[19:20], 1, v[4:5]
	v_add_co_u32_e64 v21, s[40:41], v12, v19
	v_addc_co_u32_e64 v22, s[40:41], v13, v20, s[40:41]
                                        ; implicit-def: $vgpr19_vgpr20
	s_and_saveexec_b64 s[40:41], s[28:29]
	s_cbranch_execz .LBB1743_185
; %bb.195:                              ;   in Loop: Header=BB1743_186 Depth=1
	v_mad_u64_u32 v[19:20], s[28:29], v4, 6, v[21:22]
	s_barrier
	ds_write_b16 v21, v35
	s_waitcnt lgkmcnt(0)
	s_barrier
	ds_read_u16 v36, v32
	s_waitcnt lgkmcnt(0)
	s_barrier
	ds_write_b64 v19, v[8:9]
	s_waitcnt lgkmcnt(0)
	s_barrier
	ds_read_b64 v[19:20], v33
	v_add_u32_e32 v34, -8, v34
	s_xor_b64 s[44:45], exec, -1
	s_waitcnt lgkmcnt(0)
	s_barrier
	s_branch .LBB1743_185
.LBB1743_196:
	s_or_b64 exec, exec, s[42:43]
	v_lshlrev_b32_e32 v5, 1, v18
	v_sub_u32_e32 v11, v28, v5
	v_mad_u64_u32 v[4:5], s[4:5], v4, 6, v[21:22]
	s_barrier
	ds_write_b16 v21, v35
	s_waitcnt lgkmcnt(0)
	s_barrier
	ds_read_u16 v10, v11
	s_waitcnt lgkmcnt(0)
	s_barrier
	ds_write_b64 v4, v[8:9]
	v_mul_u32_u24_e32 v4, 6, v18
	v_add_u32_e32 v4, v11, v4
	s_waitcnt lgkmcnt(0)
	s_barrier
	ds_read_b64 v[4:5], v4
	v_cmp_lt_u32_e32 vcc, v14, v71
	s_waitcnt lgkmcnt(0)
	s_barrier
	s_and_saveexec_b64 s[4:5], vcc
	s_cbranch_execz .LBB1743_198
; %bb.197:
	v_add_co_u32_e32 v6, vcc, v6, v0
	v_mov_b32_e32 v15, 0
	v_addc_co_u32_e32 v7, vcc, v7, v1, vcc
	v_lshlrev_b64 v[0:1], 3, v[14:15]
	v_add_co_u32_e32 v0, vcc, v6, v0
	v_addc_co_u32_e32 v1, vcc, v7, v1, vcc
	v_mov_b32_e32 v6, 0x7fff
	v_cmp_gt_i16_e32 vcc, 0, v10
	v_cndmask_b32_e64 v6, v6, 0, vcc
	v_add_co_u32_e32 v7, vcc, v2, v16
	v_addc_co_u32_e32 v8, vcc, v3, v17, vcc
	v_lshlrev_b64 v[2:3], 1, v[14:15]
	v_xor_b32_e32 v6, v6, v10
	v_add_co_u32_e32 v2, vcc, v7, v2
	v_addc_co_u32_e32 v3, vcc, v8, v3, vcc
	flat_store_short v[2:3], v6
	flat_store_dwordx2 v[0:1], v[4:5]
.LBB1743_198:
	s_or_b64 exec, exec, s[4:5]
.LBB1743_199:
	s_or_b64 exec, exec, s[46:47]
	s_waitcnt vmcnt(0) lgkmcnt(0)
	s_setpc_b64 s[30:31]
.Lfunc_end1743:
	.size	_ZN7rocprim17ROCPRIM_400000_NS6detail40segmented_radix_sort_single_block_helperI6__halflLj256ELj8ELb1EE4sortIPKS3_PS3_PKlPlEEbT_T0_T1_T2_jjjjRNS4_12storage_typeE, .Lfunc_end1743-_ZN7rocprim17ROCPRIM_400000_NS6detail40segmented_radix_sort_single_block_helperI6__halflLj256ELj8ELb1EE4sortIPKS3_PS3_PKlPlEEbT_T0_T1_T2_jjjjRNS4_12storage_typeE
                                        ; -- End function
	.set .L_ZN7rocprim17ROCPRIM_400000_NS6detail40segmented_radix_sort_single_block_helperI6__halflLj256ELj8ELb1EE4sortIPKS3_PS3_PKlPlEEbT_T0_T1_T2_jjjjRNS4_12storage_typeE.num_vgpr, 195
	.set .L_ZN7rocprim17ROCPRIM_400000_NS6detail40segmented_radix_sort_single_block_helperI6__halflLj256ELj8ELb1EE4sortIPKS3_PS3_PKlPlEEbT_T0_T1_T2_jjjjRNS4_12storage_typeE.num_agpr, 0
	.set .L_ZN7rocprim17ROCPRIM_400000_NS6detail40segmented_radix_sort_single_block_helperI6__halflLj256ELj8ELb1EE4sortIPKS3_PS3_PKlPlEEbT_T0_T1_T2_jjjjRNS4_12storage_typeE.numbered_sgpr, 64
	.set .L_ZN7rocprim17ROCPRIM_400000_NS6detail40segmented_radix_sort_single_block_helperI6__halflLj256ELj8ELb1EE4sortIPKS3_PS3_PKlPlEEbT_T0_T1_T2_jjjjRNS4_12storage_typeE.num_named_barrier, 0
	.set .L_ZN7rocprim17ROCPRIM_400000_NS6detail40segmented_radix_sort_single_block_helperI6__halflLj256ELj8ELb1EE4sortIPKS3_PS3_PKlPlEEbT_T0_T1_T2_jjjjRNS4_12storage_typeE.private_seg_size, 0
	.set .L_ZN7rocprim17ROCPRIM_400000_NS6detail40segmented_radix_sort_single_block_helperI6__halflLj256ELj8ELb1EE4sortIPKS3_PS3_PKlPlEEbT_T0_T1_T2_jjjjRNS4_12storage_typeE.uses_vcc, 1
	.set .L_ZN7rocprim17ROCPRIM_400000_NS6detail40segmented_radix_sort_single_block_helperI6__halflLj256ELj8ELb1EE4sortIPKS3_PS3_PKlPlEEbT_T0_T1_T2_jjjjRNS4_12storage_typeE.uses_flat_scratch, 0
	.set .L_ZN7rocprim17ROCPRIM_400000_NS6detail40segmented_radix_sort_single_block_helperI6__halflLj256ELj8ELb1EE4sortIPKS3_PS3_PKlPlEEbT_T0_T1_T2_jjjjRNS4_12storage_typeE.has_dyn_sized_stack, 0
	.set .L_ZN7rocprim17ROCPRIM_400000_NS6detail40segmented_radix_sort_single_block_helperI6__halflLj256ELj8ELb1EE4sortIPKS3_PS3_PKlPlEEbT_T0_T1_T2_jjjjRNS4_12storage_typeE.has_recursion, 0
	.set .L_ZN7rocprim17ROCPRIM_400000_NS6detail40segmented_radix_sort_single_block_helperI6__halflLj256ELj8ELb1EE4sortIPKS3_PS3_PKlPlEEbT_T0_T1_T2_jjjjRNS4_12storage_typeE.has_indirect_call, 0
	.section	.AMDGPU.csdata,"",@progbits
; Function info:
; codeLenInByte = 16748
; TotalNumSgprs: 68
; NumVgprs: 195
; ScratchSize: 0
; MemoryBound: 1
	.section	.text._ZN7rocprim17ROCPRIM_400000_NS6detail17trampoline_kernelINS0_14default_configENS1_36segmented_radix_sort_config_selectorI6__halflEEZNS1_25segmented_radix_sort_implIS3_Lb1EPKS5_PS5_PKlPlN2at6native12_GLOBAL__N_18offset_tEEE10hipError_tPvRmT1_PNSt15iterator_traitsISL_E10value_typeET2_T3_PNSM_ISR_E10value_typeET4_jRbjT5_SX_jjP12ihipStream_tbEUlT_E_NS1_11comp_targetILNS1_3genE2ELNS1_11target_archE906ELNS1_3gpuE6ELNS1_3repE0EEENS1_30default_config_static_selectorELNS0_4arch9wavefront6targetE1EEEvSL_,"axG",@progbits,_ZN7rocprim17ROCPRIM_400000_NS6detail17trampoline_kernelINS0_14default_configENS1_36segmented_radix_sort_config_selectorI6__halflEEZNS1_25segmented_radix_sort_implIS3_Lb1EPKS5_PS5_PKlPlN2at6native12_GLOBAL__N_18offset_tEEE10hipError_tPvRmT1_PNSt15iterator_traitsISL_E10value_typeET2_T3_PNSM_ISR_E10value_typeET4_jRbjT5_SX_jjP12ihipStream_tbEUlT_E_NS1_11comp_targetILNS1_3genE2ELNS1_11target_archE906ELNS1_3gpuE6ELNS1_3repE0EEENS1_30default_config_static_selectorELNS0_4arch9wavefront6targetE1EEEvSL_,comdat
	.globl	_ZN7rocprim17ROCPRIM_400000_NS6detail17trampoline_kernelINS0_14default_configENS1_36segmented_radix_sort_config_selectorI6__halflEEZNS1_25segmented_radix_sort_implIS3_Lb1EPKS5_PS5_PKlPlN2at6native12_GLOBAL__N_18offset_tEEE10hipError_tPvRmT1_PNSt15iterator_traitsISL_E10value_typeET2_T3_PNSM_ISR_E10value_typeET4_jRbjT5_SX_jjP12ihipStream_tbEUlT_E_NS1_11comp_targetILNS1_3genE2ELNS1_11target_archE906ELNS1_3gpuE6ELNS1_3repE0EEENS1_30default_config_static_selectorELNS0_4arch9wavefront6targetE1EEEvSL_ ; -- Begin function _ZN7rocprim17ROCPRIM_400000_NS6detail17trampoline_kernelINS0_14default_configENS1_36segmented_radix_sort_config_selectorI6__halflEEZNS1_25segmented_radix_sort_implIS3_Lb1EPKS5_PS5_PKlPlN2at6native12_GLOBAL__N_18offset_tEEE10hipError_tPvRmT1_PNSt15iterator_traitsISL_E10value_typeET2_T3_PNSM_ISR_E10value_typeET4_jRbjT5_SX_jjP12ihipStream_tbEUlT_E_NS1_11comp_targetILNS1_3genE2ELNS1_11target_archE906ELNS1_3gpuE6ELNS1_3repE0EEENS1_30default_config_static_selectorELNS0_4arch9wavefront6targetE1EEEvSL_
	.p2align	8
	.type	_ZN7rocprim17ROCPRIM_400000_NS6detail17trampoline_kernelINS0_14default_configENS1_36segmented_radix_sort_config_selectorI6__halflEEZNS1_25segmented_radix_sort_implIS3_Lb1EPKS5_PS5_PKlPlN2at6native12_GLOBAL__N_18offset_tEEE10hipError_tPvRmT1_PNSt15iterator_traitsISL_E10value_typeET2_T3_PNSM_ISR_E10value_typeET4_jRbjT5_SX_jjP12ihipStream_tbEUlT_E_NS1_11comp_targetILNS1_3genE2ELNS1_11target_archE906ELNS1_3gpuE6ELNS1_3repE0EEENS1_30default_config_static_selectorELNS0_4arch9wavefront6targetE1EEEvSL_,@function
_ZN7rocprim17ROCPRIM_400000_NS6detail17trampoline_kernelINS0_14default_configENS1_36segmented_radix_sort_config_selectorI6__halflEEZNS1_25segmented_radix_sort_implIS3_Lb1EPKS5_PS5_PKlPlN2at6native12_GLOBAL__N_18offset_tEEE10hipError_tPvRmT1_PNSt15iterator_traitsISL_E10value_typeET2_T3_PNSM_ISR_E10value_typeET4_jRbjT5_SX_jjP12ihipStream_tbEUlT_E_NS1_11comp_targetILNS1_3genE2ELNS1_11target_archE906ELNS1_3gpuE6ELNS1_3repE0EEENS1_30default_config_static_selectorELNS0_4arch9wavefront6targetE1EEEvSL_: ; @_ZN7rocprim17ROCPRIM_400000_NS6detail17trampoline_kernelINS0_14default_configENS1_36segmented_radix_sort_config_selectorI6__halflEEZNS1_25segmented_radix_sort_implIS3_Lb1EPKS5_PS5_PKlPlN2at6native12_GLOBAL__N_18offset_tEEE10hipError_tPvRmT1_PNSt15iterator_traitsISL_E10value_typeET2_T3_PNSM_ISR_E10value_typeET4_jRbjT5_SX_jjP12ihipStream_tbEUlT_E_NS1_11comp_targetILNS1_3genE2ELNS1_11target_archE906ELNS1_3gpuE6ELNS1_3repE0EEENS1_30default_config_static_selectorELNS0_4arch9wavefront6targetE1EEEvSL_
; %bb.0:
	s_add_u32 s0, s0, s8
	s_mov_b64 s[34:35], s[4:5]
	s_load_dwordx2 s[4:5], s[4:5], 0x38
	s_nop 0
	s_load_dwordx4 s[8:11], s[34:35], 0x40
	s_mov_b32 s33, s7
	s_mov_b32 s7, 0
	s_addc_u32 s1, s1, 0
	s_lshl_b64 s[12:13], s[6:7], 2
	s_waitcnt lgkmcnt(0)
	s_add_u32 s4, s4, s12
	s_addc_u32 s5, s5, s13
	s_load_dword s4, s[4:5], 0x0
	s_mov_b32 s32, 0
	s_waitcnt lgkmcnt(0)
	s_add_i32 s80, s4, s9
	s_add_i32 s81, s4, s11
	s_mul_i32 s80, s80, s8
	s_mul_i32 s81, s81, s10
	s_cmp_le_u32 s81, s80
	s_cbranch_scc1 .LBB1744_670
; %bb.1:
	s_load_dword s4, s[34:35], 0x30
	s_load_dwordx4 s[72:75], s[34:35], 0x20
	s_load_dwordx4 s[76:79], s[34:35], 0x50
	s_load_dwordx8 s[64:71], s[34:35], 0x0
	s_waitcnt lgkmcnt(0)
	s_bitcmp1_b32 s4, 0
	s_cselect_b64 s[54:55], -1, 0
	s_sub_i32 s79, s81, s80
	s_cmpk_lt_u32 s79, 0x801
	s_mov_b64 s[4:5], -1
	s_cbranch_scc0 .LBB1744_7
; %bb.2:
	s_and_b32 s4, s76, 1
	v_cndmask_b32_e64 v3, 0, 1, s[54:55]
	v_cmp_ne_u32_e32 vcc, s4, v3
	s_mov_b64 s[4:5], -1
	v_lshlrev_b32_e32 v41, 20, v2
	v_lshlrev_b32_e32 v42, 10, v1
	s_cbranch_vccnz .LBB1744_4
; %bb.3:
	s_add_u32 s8, s34, 0x60
	s_mov_b64 s[4:5], src_shared_base
	s_addc_u32 s9, s35, 0
	s_getpc_b64 s[10:11]
	s_add_u32 s10, s10, _ZN7rocprim17ROCPRIM_400000_NS6detail40segmented_radix_sort_single_block_helperI6__halflLj256ELj8ELb1EE4sortIPKS3_PS3_PKlPlEEbT_T0_T1_T2_jjjjRNS4_12storage_typeE@rel32@lo+4
	s_addc_u32 s11, s11, _ZN7rocprim17ROCPRIM_400000_NS6detail40segmented_radix_sort_single_block_helperI6__halflLj256ELj8ELb1EE4sortIPKS3_PS3_PKlPlEEbT_T0_T1_T2_jjjjRNS4_12storage_typeE@rel32@hi+12
	v_or3_b32 v31, v0, v42, v41
	s_mov_b32 s12, s6
	s_mov_b32 s13, s33
	v_mov_b32_e32 v40, v0
	v_mov_b32_e32 v0, s64
	;; [unrolled: 1-line block ×17, first 2 shown]
	s_mov_b32 s36, s6
	s_swappc_b64 s[30:31], s[10:11]
	v_mov_b32_e32 v1, v43
	v_mov_b32_e32 v2, v44
	;; [unrolled: 1-line block ×3, first 2 shown]
	s_mov_b32 s6, s36
	s_mov_b64 s[4:5], 0
.LBB1744_4:
	s_andn2_b64 vcc, exec, s[4:5]
	s_cbranch_vccnz .LBB1744_6
; %bb.5:
	s_add_u32 s8, s34, 0x60
	s_mov_b64 s[4:5], src_shared_base
	s_addc_u32 s9, s35, 0
	s_getpc_b64 s[10:11]
	s_add_u32 s10, s10, _ZN7rocprim17ROCPRIM_400000_NS6detail40segmented_radix_sort_single_block_helperI6__halflLj256ELj8ELb1EE4sortIPKS3_PS3_PKlPlEEbT_T0_T1_T2_jjjjRNS4_12storage_typeE@rel32@lo+4
	s_addc_u32 s11, s11, _ZN7rocprim17ROCPRIM_400000_NS6detail40segmented_radix_sort_single_block_helperI6__halflLj256ELj8ELb1EE4sortIPKS3_PS3_PKlPlEEbT_T0_T1_T2_jjjjRNS4_12storage_typeE@rel32@hi+12
	v_or3_b32 v31, v0, v42, v41
	s_mov_b32 s12, s6
	s_mov_b32 s13, s33
	v_mov_b32_e32 v40, v0
	v_mov_b32_e32 v0, s64
	;; [unrolled: 1-line block ×17, first 2 shown]
	s_mov_b32 s36, s6
	s_swappc_b64 s[30:31], s[10:11]
	v_mov_b32_e32 v1, v41
	v_mov_b32_e32 v2, v42
	;; [unrolled: 1-line block ×3, first 2 shown]
	s_mov_b32 s6, s36
.LBB1744_6:
	s_mov_b64 s[4:5], 0
.LBB1744_7:
	s_andn2_b64 vcc, exec, s[4:5]
	s_cbranch_vccnz .LBB1744_670
; %bb.8:
	s_cmp_ge_u32 s77, s78
	s_cbranch_scc1 .LBB1744_670
; %bb.9:
	v_and_b32_e32 v4, 3, v0
	v_lshlrev_b32_e32 v35, 2, v4
	v_or_b32_e32 v4, 63, v0
	v_lshlrev_b32_e32 v25, 2, v0
	v_lshlrev_b32_e32 v5, 1, v0
	v_cmp_eq_u32_e64 s[8:9], v0, v4
	v_lshrrev_b32_e32 v4, 4, v0
	v_mov_b32_e32 v6, s69
	v_add_co_u32_e32 v29, vcc, s68, v5
	v_mad_u32_u24 v36, v0, 12, v25
	v_and_b32_e32 v37, 12, v4
	v_lshlrev_b32_e32 v4, 3, v0
	v_addc_co_u32_e32 v30, vcc, 0, v6, vcc
	v_and_b32_e32 v4, 0x600, v4
	v_add_u32_e32 v41, v36, v25
	v_lshlrev_b32_e32 v6, 4, v0
	v_sub_u32_e32 v42, v41, v6
	v_lshlrev_b32_e32 v6, 3, v4
	v_mov_b32_e32 v7, s75
	v_add_co_u32_e32 v43, vcc, s74, v6
	v_addc_co_u32_e32 v44, vcc, 0, v7, vcc
	v_lshlrev_b32_e32 v7, 1, v4
	v_mov_b32_e32 v8, s69
	v_add_co_u32_e32 v45, vcc, s68, v7
	v_addc_co_u32_e32 v46, vcc, 0, v8, vcc
	v_mov_b32_e32 v8, s67
	v_add_co_u32_e32 v49, vcc, s66, v5
	v_addc_co_u32_e32 v50, vcc, 0, v8, vcc
	;; [unrolled: 3-line block ×5, first 2 shown]
	v_sub_u32_e32 v47, v42, v5
	v_mov_b32_e32 v5, s71
	v_add_co_u32_e32 v57, vcc, s70, v6
	v_addc_co_u32_e32 v58, vcc, 0, v5, vcc
	v_mov_b32_e32 v5, s65
	v_add_co_u32_e32 v59, vcc, s64, v7
	v_addc_co_u32_e32 v60, vcc, 0, v5, vcc
	v_mbcnt_lo_u32_b32 v5, -1, 0
	v_mbcnt_hi_u32_b32 v66, -1, v5
	v_and_b32_e32 v5, 63, v66
	s_movk_i32 s4, 0x100
	s_add_u32 s56, s34, 0x60
	s_movk_i32 s7, 0xff
	v_or_b32_e32 v73, v5, v4
	v_mov_b32_e32 v3, 0
	v_or_b32_e32 v26, 0x100, v0
	v_or_b32_e32 v27, 0x200, v0
	;; [unrolled: 1-line block ×7, first 2 shown]
	v_cmp_gt_u32_e64 s[4:5], s4, v0
	v_or_b32_e32 v38, 0x4400, v37
	v_cmp_gt_u32_e64 s[10:11], 4, v0
	v_or_b32_e32 v39, 0x4400, v25
	v_cmp_lt_u32_e64 s[12:13], 63, v0
	v_add_u32_e32 v40, 0x43fc, v37
	s_addc_u32 s57, s35, 0
	s_mov_b32 s59, 0
	v_cmp_eq_u32_e64 s[14:15], 0, v0
	v_cmp_ne_u32_e64 s[16:17], s7, v0
	v_mul_u32_u24_e32 v48, 6, v0
	s_movk_i32 s7, 0x8000
	v_mov_b32_e32 v61, 1
	v_add_u32_e32 v62, 0x410, v41
	v_add_u32_e32 v63, 0x418, v41
	v_lshlrev_b32_e32 v64, 1, v0
	v_mov_b32_e32 v65, 0x7fff
	v_and_b32_e32 v67, 15, v66
	v_bfe_i32 v68, v66, 4, 1
	v_and_b32_e32 v69, 16, v66
	v_and_b32_e32 v70, 3, v66
	;; [unrolled: 1-line block ×3, first 2 shown]
	v_lshlrev_b32_e32 v72, 3, v5
	v_or_b32_e32 v74, 64, v73
	v_or_b32_e32 v75, 0x80, v73
	;; [unrolled: 1-line block ×7, first 2 shown]
	v_lshlrev_b32_e32 v81, 1, v5
	s_mov_b32 s62, s77
	s_branch .LBB1744_12
.LBB1744_10:                            ;   in Loop: Header=BB1744_12 Depth=1
	s_waitcnt lgkmcnt(0)
	s_barrier
.LBB1744_11:                            ;   in Loop: Header=BB1744_12 Depth=1
	s_add_i32 s62, s62, 8
	s_cmp_ge_u32 s62, s78
	s_cbranch_scc1 .LBB1744_670
.LBB1744_12:                            ; =>This Loop Header: Depth=1
                                        ;     Child Loop BB1744_16 Depth 2
                                        ;     Child Loop BB1744_64 Depth 2
                                        ;     Child Loop BB1744_180 Depth 2
                                        ;     Child Loop BB1744_228 Depth 2
                                        ;     Child Loop BB1744_346 Depth 2
                                        ;     Child Loop BB1744_394 Depth 2
                                        ;     Child Loop BB1744_510 Depth 2
                                        ;     Child Loop BB1744_558 Depth 2
	s_sub_i32 s18, s78, s62
	s_min_u32 s18, s18, 8
	s_lshl_b32 s18, -1, s18
	s_xor_b64 s[54:55], s[54:55], -1
	s_not_b32 s63, s18
	s_cmp_lg_u32 s62, s77
	s_mov_b64 s[18:19], -1
	ds_write2st64_b32 v25, v3, v3 offset1:4
	ds_write2st64_b32 v25, v3, v3 offset0:8 offset1:12
	s_waitcnt lgkmcnt(0)
	s_cbranch_scc0 .LBB1744_342
; %bb.13:                               ;   in Loop: Header=BB1744_12 Depth=1
	s_and_b64 vcc, exec, s[54:55]
	s_cbranch_vccz .LBB1744_177
; %bb.14:                               ;   in Loop: Header=BB1744_12 Depth=1
	s_mov_b32 s22, s79
	s_mov_b32 s58, s80
	s_barrier
                                        ; implicit-def: $vgpr4
                                        ; implicit-def: $vgpr5
                                        ; implicit-def: $vgpr6
                                        ; implicit-def: $vgpr7
                                        ; implicit-def: $vgpr8
                                        ; implicit-def: $vgpr9
                                        ; implicit-def: $vgpr10
                                        ; implicit-def: $vgpr11
	s_branch .LBB1744_16
.LBB1744_15:                            ;   in Loop: Header=BB1744_16 Depth=2
	s_or_b64 exec, exec, s[18:19]
	s_addk_i32 s22, 0xf800
	s_cmp_ge_u32 s23, s81
	s_mov_b32 s58, s23
	s_cbranch_scc1 .LBB1744_52
.LBB1744_16:                            ;   Parent Loop BB1744_12 Depth=1
                                        ; =>  This Inner Loop Header: Depth=2
	s_add_i32 s23, s58, 0x800
	s_cmp_gt_u32 s23, s81
	s_mov_b64 s[18:19], -1
                                        ; implicit-def: $vgpr12
                                        ; implicit-def: $vgpr13
                                        ; implicit-def: $vgpr14
                                        ; implicit-def: $vgpr15
                                        ; implicit-def: $vgpr16
                                        ; implicit-def: $vgpr17
                                        ; implicit-def: $vgpr18
                                        ; implicit-def: $vgpr19
	s_cbranch_scc1 .LBB1744_18
; %bb.17:                               ;   in Loop: Header=BB1744_16 Depth=2
	s_lshl_b64 s[18:19], s[58:59], 1
	v_mov_b32_e32 v12, s19
	v_add_co_u32_e32 v20, vcc, s18, v29
	v_addc_co_u32_e32 v21, vcc, v30, v12, vcc
	global_load_ushort v12, v[20:21], off
	global_load_ushort v13, v[20:21], off offset:512
	global_load_ushort v14, v[20:21], off offset:1024
	global_load_ushort v15, v[20:21], off offset:1536
	global_load_ushort v16, v[20:21], off offset:2048
	global_load_ushort v17, v[20:21], off offset:2560
	global_load_ushort v18, v[20:21], off offset:3072
	global_load_ushort v19, v[20:21], off offset:3584
	s_mov_b64 s[18:19], 0
.LBB1744_18:                            ;   in Loop: Header=BB1744_16 Depth=2
	s_andn2_b64 vcc, exec, s[18:19]
	s_movk_i32 s20, 0x800
	s_cbranch_vccnz .LBB1744_29
; %bb.19:                               ;   in Loop: Header=BB1744_16 Depth=2
	s_lshl_b64 s[18:19], s[58:59], 1
	s_add_u32 s18, s68, s18
	s_addc_u32 s19, s69, s19
	v_cmp_gt_u32_e32 vcc, s22, v0
	s_and_saveexec_b64 s[20:21], vcc
	s_cbranch_execnz .LBB1744_45
; %bb.20:                               ;   in Loop: Header=BB1744_16 Depth=2
	s_or_b64 exec, exec, s[20:21]
	v_cmp_gt_u32_e32 vcc, s22, v26
	s_and_saveexec_b64 s[20:21], vcc
	s_cbranch_execnz .LBB1744_46
.LBB1744_21:                            ;   in Loop: Header=BB1744_16 Depth=2
	s_or_b64 exec, exec, s[20:21]
	v_cmp_gt_u32_e32 vcc, s22, v27
	s_and_saveexec_b64 s[20:21], vcc
	s_cbranch_execnz .LBB1744_47
.LBB1744_22:                            ;   in Loop: Header=BB1744_16 Depth=2
	s_or_b64 exec, exec, s[20:21]
	v_cmp_gt_u32_e32 vcc, s22, v28
	s_and_saveexec_b64 s[20:21], vcc
	s_cbranch_execnz .LBB1744_48
.LBB1744_23:                            ;   in Loop: Header=BB1744_16 Depth=2
	s_or_b64 exec, exec, s[20:21]
	v_cmp_gt_u32_e32 vcc, s22, v31
	s_and_saveexec_b64 s[20:21], vcc
	s_cbranch_execnz .LBB1744_49
.LBB1744_24:                            ;   in Loop: Header=BB1744_16 Depth=2
	s_or_b64 exec, exec, s[20:21]
	v_cmp_gt_u32_e32 vcc, s22, v32
	s_and_saveexec_b64 s[20:21], vcc
	s_cbranch_execnz .LBB1744_50
.LBB1744_25:                            ;   in Loop: Header=BB1744_16 Depth=2
	s_or_b64 exec, exec, s[20:21]
	v_cmp_gt_u32_e32 vcc, s22, v33
	s_and_saveexec_b64 s[20:21], vcc
	s_cbranch_execnz .LBB1744_51
.LBB1744_26:                            ;   in Loop: Header=BB1744_16 Depth=2
	s_or_b64 exec, exec, s[20:21]
	v_cmp_gt_u32_e32 vcc, s22, v34
	s_and_saveexec_b64 s[20:21], vcc
	s_cbranch_execz .LBB1744_28
.LBB1744_27:                            ;   in Loop: Header=BB1744_16 Depth=2
	global_load_ushort v4, v64, s[18:19] offset:3584
.LBB1744_28:                            ;   in Loop: Header=BB1744_16 Depth=2
	s_or_b64 exec, exec, s[20:21]
	s_mov_b32 s20, s22
	s_waitcnt vmcnt(0)
	v_mov_b32_e32 v12, v11
	v_mov_b32_e32 v13, v10
	;; [unrolled: 1-line block ×8, first 2 shown]
.LBB1744_29:                            ;   in Loop: Header=BB1744_16 Depth=2
	s_waitcnt vmcnt(0)
	v_mov_b32_e32 v4, v19
	v_mov_b32_e32 v5, v18
	;; [unrolled: 1-line block ×8, first 2 shown]
	v_cmp_gt_u32_e32 vcc, s20, v0
	s_and_saveexec_b64 s[18:19], vcc
	s_cbranch_execnz .LBB1744_37
; %bb.30:                               ;   in Loop: Header=BB1744_16 Depth=2
	s_or_b64 exec, exec, s[18:19]
	v_cmp_gt_u32_e32 vcc, s20, v26
	s_and_saveexec_b64 s[18:19], vcc
	s_cbranch_execnz .LBB1744_38
.LBB1744_31:                            ;   in Loop: Header=BB1744_16 Depth=2
	s_or_b64 exec, exec, s[18:19]
	v_cmp_gt_u32_e32 vcc, s20, v27
	s_and_saveexec_b64 s[18:19], vcc
	s_cbranch_execnz .LBB1744_39
.LBB1744_32:                            ;   in Loop: Header=BB1744_16 Depth=2
	s_or_b64 exec, exec, s[18:19]
	v_cmp_gt_u32_e32 vcc, s20, v28
	s_and_saveexec_b64 s[18:19], vcc
	s_cbranch_execnz .LBB1744_40
.LBB1744_33:                            ;   in Loop: Header=BB1744_16 Depth=2
	s_or_b64 exec, exec, s[18:19]
	v_cmp_gt_u32_e32 vcc, s20, v31
	s_and_saveexec_b64 s[18:19], vcc
	s_cbranch_execnz .LBB1744_41
.LBB1744_34:                            ;   in Loop: Header=BB1744_16 Depth=2
	s_or_b64 exec, exec, s[18:19]
	v_cmp_gt_u32_e32 vcc, s20, v32
	s_and_saveexec_b64 s[18:19], vcc
	s_cbranch_execnz .LBB1744_42
.LBB1744_35:                            ;   in Loop: Header=BB1744_16 Depth=2
	s_or_b64 exec, exec, s[18:19]
	v_cmp_gt_u32_e32 vcc, s20, v33
	s_and_saveexec_b64 s[18:19], vcc
	s_cbranch_execnz .LBB1744_43
.LBB1744_36:                            ;   in Loop: Header=BB1744_16 Depth=2
	s_or_b64 exec, exec, s[18:19]
	v_cmp_gt_u32_e32 vcc, s20, v34
	s_and_saveexec_b64 s[18:19], vcc
	s_cbranch_execz .LBB1744_15
	s_branch .LBB1744_44
.LBB1744_37:                            ;   in Loop: Header=BB1744_16 Depth=2
	v_cmp_gt_i16_e32 vcc, 0, v11
	v_cndmask_b32_e64 v12, v65, 0, vcc
	v_xor_b32_e32 v12, v12, v11
	v_cmp_ne_u16_e32 vcc, s7, v12
	v_cndmask_b32_e32 v12, v65, v12, vcc
	v_lshrrev_b32_sdwa v12, s62, v12 dst_sel:DWORD dst_unused:UNUSED_PAD src0_sel:DWORD src1_sel:WORD_0
	v_and_b32_e32 v12, s63, v12
	v_lshl_or_b32 v12, v12, 4, v35
	ds_add_u32 v12, v61
	s_or_b64 exec, exec, s[18:19]
	v_cmp_gt_u32_e32 vcc, s20, v26
	s_and_saveexec_b64 s[18:19], vcc
	s_cbranch_execz .LBB1744_31
.LBB1744_38:                            ;   in Loop: Header=BB1744_16 Depth=2
	v_cmp_gt_i16_e32 vcc, 0, v10
	v_cndmask_b32_e64 v12, v65, 0, vcc
	v_xor_b32_e32 v12, v12, v10
	v_cmp_ne_u16_e32 vcc, s7, v12
	v_cndmask_b32_e32 v12, v65, v12, vcc
	v_lshrrev_b32_sdwa v12, s62, v12 dst_sel:DWORD dst_unused:UNUSED_PAD src0_sel:DWORD src1_sel:WORD_0
	v_and_b32_e32 v12, s63, v12
	v_lshl_or_b32 v12, v12, 4, v35
	ds_add_u32 v12, v61
	s_or_b64 exec, exec, s[18:19]
	v_cmp_gt_u32_e32 vcc, s20, v27
	s_and_saveexec_b64 s[18:19], vcc
	s_cbranch_execz .LBB1744_32
.LBB1744_39:                            ;   in Loop: Header=BB1744_16 Depth=2
	v_cmp_gt_i16_e32 vcc, 0, v9
	v_cndmask_b32_e64 v12, v65, 0, vcc
	v_xor_b32_e32 v12, v12, v9
	v_cmp_ne_u16_e32 vcc, s7, v12
	v_cndmask_b32_e32 v12, v65, v12, vcc
	v_lshrrev_b32_sdwa v12, s62, v12 dst_sel:DWORD dst_unused:UNUSED_PAD src0_sel:DWORD src1_sel:WORD_0
	v_and_b32_e32 v12, s63, v12
	v_lshl_or_b32 v12, v12, 4, v35
	ds_add_u32 v12, v61
	s_or_b64 exec, exec, s[18:19]
	v_cmp_gt_u32_e32 vcc, s20, v28
	s_and_saveexec_b64 s[18:19], vcc
	s_cbranch_execz .LBB1744_33
.LBB1744_40:                            ;   in Loop: Header=BB1744_16 Depth=2
	v_cmp_gt_i16_e32 vcc, 0, v8
	v_cndmask_b32_e64 v12, v65, 0, vcc
	v_xor_b32_e32 v12, v12, v8
	v_cmp_ne_u16_e32 vcc, s7, v12
	v_cndmask_b32_e32 v12, v65, v12, vcc
	v_lshrrev_b32_sdwa v12, s62, v12 dst_sel:DWORD dst_unused:UNUSED_PAD src0_sel:DWORD src1_sel:WORD_0
	v_and_b32_e32 v12, s63, v12
	v_lshl_or_b32 v12, v12, 4, v35
	ds_add_u32 v12, v61
	s_or_b64 exec, exec, s[18:19]
	v_cmp_gt_u32_e32 vcc, s20, v31
	s_and_saveexec_b64 s[18:19], vcc
	s_cbranch_execz .LBB1744_34
.LBB1744_41:                            ;   in Loop: Header=BB1744_16 Depth=2
	v_cmp_gt_i16_e32 vcc, 0, v7
	v_cndmask_b32_e64 v12, v65, 0, vcc
	v_xor_b32_e32 v12, v12, v7
	v_cmp_ne_u16_e32 vcc, s7, v12
	v_cndmask_b32_e32 v12, v65, v12, vcc
	v_lshrrev_b32_sdwa v12, s62, v12 dst_sel:DWORD dst_unused:UNUSED_PAD src0_sel:DWORD src1_sel:WORD_0
	v_and_b32_e32 v12, s63, v12
	v_lshl_or_b32 v12, v12, 4, v35
	ds_add_u32 v12, v61
	s_or_b64 exec, exec, s[18:19]
	v_cmp_gt_u32_e32 vcc, s20, v32
	s_and_saveexec_b64 s[18:19], vcc
	s_cbranch_execz .LBB1744_35
.LBB1744_42:                            ;   in Loop: Header=BB1744_16 Depth=2
	v_cmp_gt_i16_e32 vcc, 0, v6
	v_cndmask_b32_e64 v12, v65, 0, vcc
	v_xor_b32_e32 v12, v12, v6
	v_cmp_ne_u16_e32 vcc, s7, v12
	v_cndmask_b32_e32 v12, v65, v12, vcc
	v_lshrrev_b32_sdwa v12, s62, v12 dst_sel:DWORD dst_unused:UNUSED_PAD src0_sel:DWORD src1_sel:WORD_0
	v_and_b32_e32 v12, s63, v12
	v_lshl_or_b32 v12, v12, 4, v35
	ds_add_u32 v12, v61
	s_or_b64 exec, exec, s[18:19]
	v_cmp_gt_u32_e32 vcc, s20, v33
	s_and_saveexec_b64 s[18:19], vcc
	s_cbranch_execz .LBB1744_36
.LBB1744_43:                            ;   in Loop: Header=BB1744_16 Depth=2
	v_cmp_gt_i16_e32 vcc, 0, v5
	v_cndmask_b32_e64 v12, v65, 0, vcc
	v_xor_b32_e32 v12, v12, v5
	v_cmp_ne_u16_e32 vcc, s7, v12
	v_cndmask_b32_e32 v12, v65, v12, vcc
	v_lshrrev_b32_sdwa v12, s62, v12 dst_sel:DWORD dst_unused:UNUSED_PAD src0_sel:DWORD src1_sel:WORD_0
	v_and_b32_e32 v12, s63, v12
	v_lshl_or_b32 v12, v12, 4, v35
	ds_add_u32 v12, v61
	s_or_b64 exec, exec, s[18:19]
	v_cmp_gt_u32_e32 vcc, s20, v34
	s_and_saveexec_b64 s[18:19], vcc
	s_cbranch_execz .LBB1744_15
.LBB1744_44:                            ;   in Loop: Header=BB1744_16 Depth=2
	v_cmp_gt_i16_e32 vcc, 0, v4
	v_cndmask_b32_e64 v12, v65, 0, vcc
	v_xor_b32_e32 v12, v12, v4
	v_cmp_ne_u16_e32 vcc, s7, v12
	v_cndmask_b32_e32 v12, v65, v12, vcc
	v_lshrrev_b32_sdwa v12, s62, v12 dst_sel:DWORD dst_unused:UNUSED_PAD src0_sel:DWORD src1_sel:WORD_0
	v_and_b32_e32 v12, s63, v12
	v_lshl_or_b32 v12, v12, 4, v35
	ds_add_u32 v12, v61
	s_branch .LBB1744_15
.LBB1744_45:                            ;   in Loop: Header=BB1744_16 Depth=2
	global_load_ushort v11, v64, s[18:19]
	s_or_b64 exec, exec, s[20:21]
	v_cmp_gt_u32_e32 vcc, s22, v26
	s_and_saveexec_b64 s[20:21], vcc
	s_cbranch_execz .LBB1744_21
.LBB1744_46:                            ;   in Loop: Header=BB1744_16 Depth=2
	global_load_ushort v10, v64, s[18:19] offset:512
	s_or_b64 exec, exec, s[20:21]
	v_cmp_gt_u32_e32 vcc, s22, v27
	s_and_saveexec_b64 s[20:21], vcc
	s_cbranch_execz .LBB1744_22
.LBB1744_47:                            ;   in Loop: Header=BB1744_16 Depth=2
	global_load_ushort v9, v64, s[18:19] offset:1024
	s_or_b64 exec, exec, s[20:21]
	v_cmp_gt_u32_e32 vcc, s22, v28
	s_and_saveexec_b64 s[20:21], vcc
	s_cbranch_execz .LBB1744_23
.LBB1744_48:                            ;   in Loop: Header=BB1744_16 Depth=2
	global_load_ushort v8, v64, s[18:19] offset:1536
	s_or_b64 exec, exec, s[20:21]
	v_cmp_gt_u32_e32 vcc, s22, v31
	s_and_saveexec_b64 s[20:21], vcc
	s_cbranch_execz .LBB1744_24
.LBB1744_49:                            ;   in Loop: Header=BB1744_16 Depth=2
	global_load_ushort v7, v64, s[18:19] offset:2048
	s_or_b64 exec, exec, s[20:21]
	v_cmp_gt_u32_e32 vcc, s22, v32
	s_and_saveexec_b64 s[20:21], vcc
	s_cbranch_execz .LBB1744_25
.LBB1744_50:                            ;   in Loop: Header=BB1744_16 Depth=2
	global_load_ushort v6, v64, s[18:19] offset:2560
	s_or_b64 exec, exec, s[20:21]
	v_cmp_gt_u32_e32 vcc, s22, v33
	s_and_saveexec_b64 s[20:21], vcc
	s_cbranch_execz .LBB1744_26
.LBB1744_51:                            ;   in Loop: Header=BB1744_16 Depth=2
	global_load_ushort v5, v64, s[18:19] offset:3072
	s_or_b64 exec, exec, s[20:21]
	v_cmp_gt_u32_e32 vcc, s22, v34
	s_and_saveexec_b64 s[20:21], vcc
	s_cbranch_execnz .LBB1744_27
	s_branch .LBB1744_28
.LBB1744_52:                            ;   in Loop: Header=BB1744_12 Depth=1
	v_mov_b32_e32 v4, 0
	s_waitcnt lgkmcnt(0)
	s_barrier
	s_and_saveexec_b64 s[18:19], s[4:5]
	s_cbranch_execz .LBB1744_54
; %bb.53:                               ;   in Loop: Header=BB1744_12 Depth=1
	ds_read2_b64 v[4:7], v36 offset1:1
	s_waitcnt lgkmcnt(0)
	v_add_u32_e32 v4, v5, v4
	v_add3_u32 v4, v4, v6, v7
.LBB1744_54:                            ;   in Loop: Header=BB1744_12 Depth=1
	s_or_b64 exec, exec, s[18:19]
	s_nop 0
	v_mov_b32_dpp v5, v4 row_shr:1 row_mask:0xf bank_mask:0xf
	v_cmp_eq_u32_e64 s[18:19], 0, v67
	v_cndmask_b32_e64 v5, v5, 0, s[18:19]
	v_add_u32_e32 v4, v5, v4
	v_cmp_lt_u32_e64 s[20:21], 1, v67
	v_cmp_lt_u32_e64 s[22:23], 3, v67
	v_mov_b32_dpp v5, v4 row_shr:2 row_mask:0xf bank_mask:0xf
	v_cndmask_b32_e64 v5, 0, v5, s[20:21]
	v_add_u32_e32 v4, v4, v5
	v_cmp_lt_u32_e64 s[24:25], 7, v67
	v_cmp_lt_u32_e64 s[28:29], 31, v66
	v_mov_b32_dpp v5, v4 row_shr:4 row_mask:0xf bank_mask:0xf
	v_cndmask_b32_e64 v5, 0, v5, s[22:23]
	v_add_u32_e32 v4, v4, v5
	v_cmp_eq_u32_e64 s[26:27], 0, v69
	s_nop 0
	v_mov_b32_dpp v5, v4 row_shr:8 row_mask:0xf bank_mask:0xf
	v_cndmask_b32_e64 v5, 0, v5, s[24:25]
	v_add_u32_e32 v4, v4, v5
	s_nop 1
	v_mov_b32_dpp v5, v4 row_bcast:15 row_mask:0xf bank_mask:0xf
	v_and_b32_e32 v5, v68, v5
	v_add_u32_e32 v4, v4, v5
	s_nop 1
	v_mov_b32_dpp v5, v4 row_bcast:31 row_mask:0xf bank_mask:0xf
	v_cndmask_b32_e64 v5, 0, v5, s[28:29]
	v_add_u32_e32 v4, v4, v5
	s_and_saveexec_b64 s[30:31], s[8:9]
; %bb.55:                               ;   in Loop: Header=BB1744_12 Depth=1
	ds_write_b32 v38, v4
; %bb.56:                               ;   in Loop: Header=BB1744_12 Depth=1
	s_or_b64 exec, exec, s[30:31]
	s_waitcnt lgkmcnt(0)
	s_barrier
	s_and_saveexec_b64 s[30:31], s[10:11]
	s_cbranch_execz .LBB1744_58
; %bb.57:                               ;   in Loop: Header=BB1744_12 Depth=1
	ds_read_b32 v5, v39
	v_cmp_ne_u32_e32 vcc, 0, v70
	s_waitcnt lgkmcnt(0)
	v_mov_b32_dpp v6, v5 row_shr:1 row_mask:0xf bank_mask:0xf
	v_cndmask_b32_e32 v6, 0, v6, vcc
	v_add_u32_e32 v5, v6, v5
	v_cmp_lt_u32_e32 vcc, 1, v70
	s_nop 0
	v_mov_b32_dpp v6, v5 row_shr:2 row_mask:0xf bank_mask:0xf
	v_cndmask_b32_e32 v6, 0, v6, vcc
	v_add_u32_e32 v5, v5, v6
	ds_write_b32 v39, v5
.LBB1744_58:                            ;   in Loop: Header=BB1744_12 Depth=1
	s_or_b64 exec, exec, s[30:31]
	v_mov_b32_e32 v5, 0
	s_waitcnt lgkmcnt(0)
	s_barrier
	s_and_saveexec_b64 s[30:31], s[12:13]
; %bb.59:                               ;   in Loop: Header=BB1744_12 Depth=1
	ds_read_b32 v5, v40
; %bb.60:                               ;   in Loop: Header=BB1744_12 Depth=1
	s_or_b64 exec, exec, s[30:31]
	v_subrev_co_u32_e64 v6, s[30:31], 1, v66
	v_cmp_lt_i32_e32 vcc, v6, v71
	v_cndmask_b32_e32 v6, v6, v66, vcc
	s_waitcnt lgkmcnt(0)
	v_add_u32_e32 v4, v5, v4
	v_lshlrev_b32_e32 v82, 2, v6
	ds_bpermute_b32 v4, v82, v4
	s_waitcnt lgkmcnt(0)
	s_barrier
	s_and_saveexec_b64 s[34:35], s[4:5]
; %bb.61:                               ;   in Loop: Header=BB1744_12 Depth=1
	v_cndmask_b32_e64 v4, v4, v5, s[30:31]
	v_add_u32_e32 v4, s80, v4
	ds_write_b32 v25, v4
; %bb.62:                               ;   in Loop: Header=BB1744_12 Depth=1
	s_or_b64 exec, exec, s[34:35]
	s_load_dword s34, s[56:57], 0x4
	s_load_dword s38, s[56:57], 0xc
	v_add_co_u32_e32 v83, vcc, v43, v72
	v_addc_co_u32_e32 v84, vcc, 0, v44, vcc
	s_waitcnt lgkmcnt(0)
	s_cmp_lt_u32 s33, s34
	s_cselect_b32 s34, 14, 20
	s_add_u32 s34, s56, s34
	s_addc_u32 s35, s57, 0
	global_load_ushort v4, v3, s[34:35]
	s_and_b32 s38, s38, 0xffff
	v_add_co_u32_e32 v85, vcc, v45, v81
	v_cmp_eq_u32_e64 s[34:35], 0, v70
	v_cmp_lt_u32_e64 s[36:37], 1, v70
	v_addc_co_u32_e32 v86, vcc, 0, v46, vcc
	s_mov_b32 s70, s79
	s_mov_b32 s58, s80
                                        ; implicit-def: $vgpr7_vgpr8
                                        ; implicit-def: $vgpr9_vgpr10
                                        ; implicit-def: $vgpr11_vgpr12
                                        ; implicit-def: $vgpr13_vgpr14
                                        ; implicit-def: $vgpr15_vgpr16
                                        ; implicit-def: $vgpr17_vgpr18
                                        ; implicit-def: $vgpr19_vgpr20
                                        ; implicit-def: $vgpr87
                                        ; implicit-def: $vgpr88
                                        ; implicit-def: $vgpr89
                                        ; implicit-def: $vgpr90
                                        ; implicit-def: $vgpr92
                                        ; implicit-def: $vgpr93
                                        ; implicit-def: $vgpr94
                                        ; implicit-def: $vgpr95
	s_waitcnt vmcnt(0)
	v_mad_u32_u24 v4, v2, v4, v1
	v_mad_u64_u32 v[4:5], s[38:39], v4, s38, v[0:1]
                                        ; implicit-def: $vgpr5_vgpr6
	v_lshrrev_b32_e32 v4, 4, v4
	v_and_b32_e32 v91, 0xffffffc, v4
	s_branch .LBB1744_64
.LBB1744_63:                            ;   in Loop: Header=BB1744_64 Depth=2
	s_or_b64 exec, exec, s[38:39]
	s_addk_i32 s70, 0xf800
	s_cmp_lt_u32 s71, s81
	s_mov_b32 s58, s71
	s_cbranch_scc0 .LBB1744_176
.LBB1744_64:                            ;   Parent Loop BB1744_12 Depth=1
                                        ; =>  This Inner Loop Header: Depth=2
	s_add_i32 s71, s58, 0x800
	s_cmp_gt_u32 s71, s81
	s_cbranch_scc1 .LBB1744_66
; %bb.65:                               ;   in Loop: Header=BB1744_64 Depth=2
	s_lshl_b64 s[38:39], s[58:59], 1
	v_mov_b32_e32 v4, s39
	v_add_co_u32_e32 v21, vcc, s38, v85
	v_addc_co_u32_e32 v22, vcc, v86, v4, vcc
	global_load_ushort v4, v[21:22], off
	global_load_ushort v99, v[21:22], off offset:128
	global_load_ushort v103, v[21:22], off offset:256
	;; [unrolled: 1-line block ×6, first 2 shown]
	s_mov_b64 s[38:39], -1
	s_movk_i32 s42, 0x800
	s_cbranch_execz .LBB1744_67
	s_branch .LBB1744_82
.LBB1744_66:                            ;   in Loop: Header=BB1744_64 Depth=2
	s_mov_b64 s[38:39], 0
                                        ; implicit-def: $vgpr4
                                        ; implicit-def: $vgpr99
                                        ; implicit-def: $vgpr103
                                        ; implicit-def: $vgpr107
                                        ; implicit-def: $vgpr112
                                        ; implicit-def: $vgpr108
                                        ; implicit-def: $vgpr24
	s_movk_i32 s42, 0x800
.LBB1744_67:                            ;   in Loop: Header=BB1744_64 Depth=2
	s_lshl_b64 s[38:39], s[58:59], 1
	s_waitcnt vmcnt(6)
	v_mov_b32_e32 v4, s39
	v_add_co_u32_e32 v21, vcc, s38, v85
	v_addc_co_u32_e32 v22, vcc, v86, v4, vcc
	v_cmp_gt_u32_e32 vcc, s70, v73
	s_waitcnt vmcnt(5)
	v_mov_b32_e32 v99, -1
	v_mov_b32_e32 v4, -1
	s_and_saveexec_b64 s[38:39], vcc
	s_cbranch_execz .LBB1744_69
; %bb.68:                               ;   in Loop: Header=BB1744_64 Depth=2
	global_load_ushort v4, v[21:22], off
.LBB1744_69:                            ;   in Loop: Header=BB1744_64 Depth=2
	s_or_b64 exec, exec, s[38:39]
	v_cmp_gt_u32_e32 vcc, s70, v74
	s_and_saveexec_b64 s[38:39], vcc
	s_cbranch_execz .LBB1744_71
; %bb.70:                               ;   in Loop: Header=BB1744_64 Depth=2
	global_load_ushort v99, v[21:22], off offset:128
.LBB1744_71:                            ;   in Loop: Header=BB1744_64 Depth=2
	s_or_b64 exec, exec, s[38:39]
	v_cmp_gt_u32_e32 vcc, s70, v75
	s_waitcnt vmcnt(3)
	v_mov_b32_e32 v107, -1
	v_mov_b32_e32 v103, -1
	s_and_saveexec_b64 s[38:39], vcc
	s_cbranch_execz .LBB1744_73
; %bb.72:                               ;   in Loop: Header=BB1744_64 Depth=2
	global_load_ushort v103, v[21:22], off offset:256
.LBB1744_73:                            ;   in Loop: Header=BB1744_64 Depth=2
	s_or_b64 exec, exec, s[38:39]
	v_cmp_gt_u32_e32 vcc, s70, v76
	s_and_saveexec_b64 s[38:39], vcc
	s_cbranch_execz .LBB1744_75
; %bb.74:                               ;   in Loop: Header=BB1744_64 Depth=2
	global_load_ushort v107, v[21:22], off offset:384
.LBB1744_75:                            ;   in Loop: Header=BB1744_64 Depth=2
	s_or_b64 exec, exec, s[38:39]
	v_cmp_gt_u32_e32 vcc, s70, v77
	s_waitcnt vmcnt(1)
	v_mov_b32_e32 v108, -1
	v_mov_b32_e32 v112, -1
	s_and_saveexec_b64 s[38:39], vcc
	s_cbranch_execz .LBB1744_77
; %bb.76:                               ;   in Loop: Header=BB1744_64 Depth=2
	global_load_ushort v112, v[21:22], off offset:512
.LBB1744_77:                            ;   in Loop: Header=BB1744_64 Depth=2
	s_or_b64 exec, exec, s[38:39]
	v_cmp_gt_u32_e32 vcc, s70, v78
	s_and_saveexec_b64 s[38:39], vcc
	s_cbranch_execz .LBB1744_79
; %bb.78:                               ;   in Loop: Header=BB1744_64 Depth=2
	global_load_ushort v108, v[21:22], off offset:640
.LBB1744_79:                            ;   in Loop: Header=BB1744_64 Depth=2
	s_or_b64 exec, exec, s[38:39]
	v_cmp_gt_u32_e32 vcc, s70, v79
	s_waitcnt vmcnt(0)
	v_mov_b32_e32 v24, -1
	s_and_saveexec_b64 s[38:39], vcc
	s_cbranch_execz .LBB1744_81
; %bb.80:                               ;   in Loop: Header=BB1744_64 Depth=2
	global_load_ushort v24, v[21:22], off offset:768
.LBB1744_81:                            ;   in Loop: Header=BB1744_64 Depth=2
	s_or_b64 exec, exec, s[38:39]
	s_sub_i32 s42, s81, s58
	v_cmp_gt_u32_e64 s[38:39], s70, v80
.LBB1744_82:                            ;   in Loop: Header=BB1744_64 Depth=2
	v_mov_b32_e32 v23, -1
	v_mov_b32_e32 v96, s70
	s_and_saveexec_b64 s[40:41], s[38:39]
	s_cbranch_execz .LBB1744_84
; %bb.83:                               ;   in Loop: Header=BB1744_64 Depth=2
	s_lshl_b64 s[38:39], s[58:59], 1
	v_mov_b32_e32 v22, s39
	v_add_co_u32_e32 v21, vcc, s38, v85
	v_addc_co_u32_e32 v22, vcc, v86, v22, vcc
	global_load_ushort v23, v[21:22], off offset:896
	v_mov_b32_e32 v96, s42
.LBB1744_84:                            ;   in Loop: Header=BB1744_64 Depth=2
	s_or_b64 exec, exec, s[40:41]
	s_waitcnt vmcnt(6)
	v_cmp_gt_i16_e32 vcc, 0, v4
	v_cndmask_b32_e64 v21, v65, 0, vcc
	v_xor_b32_e32 v97, v21, v4
	v_cmp_ne_u16_e32 vcc, s7, v97
	v_cndmask_b32_e32 v4, v65, v97, vcc
	v_lshrrev_b32_sdwa v4, s62, v4 dst_sel:DWORD dst_unused:UNUSED_PAD src0_sel:DWORD src1_sel:WORD_0
	v_and_b32_e32 v21, s63, v4
	v_and_b32_e32 v4, 1, v21
	v_add_co_u32_e32 v22, vcc, -1, v4
	v_addc_co_u32_e64 v98, s[38:39], 0, -1, vcc
	v_cmp_ne_u32_e32 vcc, 0, v4
	v_xor_b32_e32 v4, vcc_hi, v98
	v_and_b32_e32 v98, exec_hi, v4
	v_lshlrev_b32_e32 v4, 30, v21
	v_xor_b32_e32 v22, vcc_lo, v22
	v_cmp_gt_i64_e32 vcc, 0, v[3:4]
	v_not_b32_e32 v4, v4
	v_ashrrev_i32_e32 v4, 31, v4
	v_and_b32_e32 v22, exec_lo, v22
	v_xor_b32_e32 v101, vcc_hi, v4
	v_xor_b32_e32 v4, vcc_lo, v4
	v_and_b32_e32 v22, v22, v4
	v_lshlrev_b32_e32 v4, 29, v21
	v_cmp_gt_i64_e32 vcc, 0, v[3:4]
	v_not_b32_e32 v4, v4
	v_ashrrev_i32_e32 v4, 31, v4
	v_and_b32_e32 v98, v98, v101
	v_xor_b32_e32 v101, vcc_hi, v4
	v_xor_b32_e32 v4, vcc_lo, v4
	v_and_b32_e32 v22, v22, v4
	v_lshlrev_b32_e32 v4, 28, v21
	v_cmp_gt_i64_e32 vcc, 0, v[3:4]
	v_not_b32_e32 v4, v4
	v_ashrrev_i32_e32 v4, 31, v4
	v_and_b32_e32 v98, v98, v101
	;; [unrolled: 8-line block ×5, first 2 shown]
	v_xor_b32_e32 v101, vcc_hi, v4
	v_xor_b32_e32 v4, vcc_lo, v4
	v_and_b32_e32 v98, v98, v101
	v_and_b32_e32 v101, v22, v4
	v_lshlrev_b32_e32 v4, 24, v21
	v_cmp_gt_i64_e32 vcc, 0, v[3:4]
	v_not_b32_e32 v4, v4
	v_ashrrev_i32_e32 v4, 31, v4
	v_mul_u32_u24_e32 v100, 20, v21
	v_xor_b32_e32 v21, vcc_hi, v4
	v_xor_b32_e32 v4, vcc_lo, v4
	v_and_b32_e32 v22, v98, v21
	v_and_b32_e32 v21, v101, v4
	v_mbcnt_lo_u32_b32 v4, v21, 0
	v_mbcnt_hi_u32_b32 v98, v22, v4
	v_cmp_ne_u64_e32 vcc, 0, v[21:22]
	v_cmp_eq_u32_e64 s[38:39], 0, v98
	s_and_b64 s[40:41], vcc, s[38:39]
	v_add_u32_e32 v101, v91, v100
	ds_write2_b32 v62, v3, v3 offset1:1
	ds_write2_b32 v63, v3, v3 offset1:1
	ds_write_b32 v41, v3 offset:1056
	s_waitcnt vmcnt(0) lgkmcnt(0)
	s_barrier
	; wave barrier
	s_and_saveexec_b64 s[38:39], s[40:41]
; %bb.85:                               ;   in Loop: Header=BB1744_64 Depth=2
	v_bcnt_u32_b32 v4, v21, 0
	v_bcnt_u32_b32 v4, v22, v4
	ds_write_b32 v101, v4 offset:1040
; %bb.86:                               ;   in Loop: Header=BB1744_64 Depth=2
	s_or_b64 exec, exec, s[38:39]
	v_cmp_gt_i16_e32 vcc, 0, v99
	v_cndmask_b32_e64 v4, v65, 0, vcc
	v_xor_b32_e32 v99, v4, v99
	v_cmp_ne_u16_e32 vcc, s7, v99
	v_cndmask_b32_e32 v4, v65, v99, vcc
	v_lshrrev_b32_sdwa v4, s62, v4 dst_sel:DWORD dst_unused:UNUSED_PAD src0_sel:DWORD src1_sel:WORD_0
	v_and_b32_e32 v21, s63, v4
	v_mad_u32_u24 v4, v21, 20, v91
	; wave barrier
	ds_read_b32 v100, v4 offset:1040
	v_and_b32_e32 v4, 1, v21
	v_add_co_u32_e32 v22, vcc, -1, v4
	v_addc_co_u32_e64 v102, s[38:39], 0, -1, vcc
	v_cmp_ne_u32_e32 vcc, 0, v4
	v_xor_b32_e32 v4, vcc_hi, v102
	v_and_b32_e32 v102, exec_hi, v4
	v_lshlrev_b32_e32 v4, 30, v21
	v_xor_b32_e32 v22, vcc_lo, v22
	v_cmp_gt_i64_e32 vcc, 0, v[3:4]
	v_not_b32_e32 v4, v4
	v_ashrrev_i32_e32 v4, 31, v4
	v_and_b32_e32 v22, exec_lo, v22
	v_xor_b32_e32 v105, vcc_hi, v4
	v_xor_b32_e32 v4, vcc_lo, v4
	v_and_b32_e32 v22, v22, v4
	v_lshlrev_b32_e32 v4, 29, v21
	v_cmp_gt_i64_e32 vcc, 0, v[3:4]
	v_not_b32_e32 v4, v4
	v_ashrrev_i32_e32 v4, 31, v4
	v_and_b32_e32 v102, v102, v105
	v_xor_b32_e32 v105, vcc_hi, v4
	v_xor_b32_e32 v4, vcc_lo, v4
	v_and_b32_e32 v22, v22, v4
	v_lshlrev_b32_e32 v4, 28, v21
	v_cmp_gt_i64_e32 vcc, 0, v[3:4]
	v_not_b32_e32 v4, v4
	v_ashrrev_i32_e32 v4, 31, v4
	v_and_b32_e32 v102, v102, v105
	;; [unrolled: 8-line block ×5, first 2 shown]
	v_xor_b32_e32 v105, vcc_hi, v4
	v_xor_b32_e32 v4, vcc_lo, v4
	v_and_b32_e32 v102, v102, v105
	v_and_b32_e32 v105, v22, v4
	v_lshlrev_b32_e32 v4, 24, v21
	v_cmp_gt_i64_e32 vcc, 0, v[3:4]
	v_not_b32_e32 v4, v4
	v_ashrrev_i32_e32 v4, 31, v4
	v_mul_u32_u24_e32 v104, 20, v21
	v_xor_b32_e32 v21, vcc_hi, v4
	v_xor_b32_e32 v4, vcc_lo, v4
	v_and_b32_e32 v22, v102, v21
	v_and_b32_e32 v21, v105, v4
	v_mbcnt_lo_u32_b32 v4, v21, 0
	v_mbcnt_hi_u32_b32 v102, v22, v4
	v_cmp_ne_u64_e32 vcc, 0, v[21:22]
	v_cmp_eq_u32_e64 s[38:39], 0, v102
	s_and_b64 s[40:41], vcc, s[38:39]
	v_add_u32_e32 v105, v91, v104
	; wave barrier
	s_and_saveexec_b64 s[38:39], s[40:41]
	s_cbranch_execz .LBB1744_88
; %bb.87:                               ;   in Loop: Header=BB1744_64 Depth=2
	v_bcnt_u32_b32 v4, v21, 0
	v_bcnt_u32_b32 v4, v22, v4
	s_waitcnt lgkmcnt(0)
	v_add_u32_e32 v4, v100, v4
	ds_write_b32 v105, v4 offset:1040
.LBB1744_88:                            ;   in Loop: Header=BB1744_64 Depth=2
	s_or_b64 exec, exec, s[38:39]
	v_cmp_gt_i16_e32 vcc, 0, v103
	v_cndmask_b32_e64 v4, v65, 0, vcc
	v_xor_b32_e32 v103, v4, v103
	v_cmp_ne_u16_e32 vcc, s7, v103
	v_cndmask_b32_e32 v4, v65, v103, vcc
	v_lshrrev_b32_sdwa v4, s62, v4 dst_sel:DWORD dst_unused:UNUSED_PAD src0_sel:DWORD src1_sel:WORD_0
	v_and_b32_e32 v21, s63, v4
	v_mad_u32_u24 v4, v21, 20, v91
	; wave barrier
	ds_read_b32 v104, v4 offset:1040
	v_and_b32_e32 v4, 1, v21
	v_add_co_u32_e32 v22, vcc, -1, v4
	v_addc_co_u32_e64 v106, s[38:39], 0, -1, vcc
	v_cmp_ne_u32_e32 vcc, 0, v4
	v_xor_b32_e32 v4, vcc_hi, v106
	v_and_b32_e32 v106, exec_hi, v4
	v_lshlrev_b32_e32 v4, 30, v21
	v_xor_b32_e32 v22, vcc_lo, v22
	v_cmp_gt_i64_e32 vcc, 0, v[3:4]
	v_not_b32_e32 v4, v4
	v_ashrrev_i32_e32 v4, 31, v4
	v_and_b32_e32 v22, exec_lo, v22
	v_xor_b32_e32 v110, vcc_hi, v4
	v_xor_b32_e32 v4, vcc_lo, v4
	v_and_b32_e32 v22, v22, v4
	v_lshlrev_b32_e32 v4, 29, v21
	v_cmp_gt_i64_e32 vcc, 0, v[3:4]
	v_not_b32_e32 v4, v4
	v_ashrrev_i32_e32 v4, 31, v4
	v_and_b32_e32 v106, v106, v110
	v_xor_b32_e32 v110, vcc_hi, v4
	v_xor_b32_e32 v4, vcc_lo, v4
	v_and_b32_e32 v22, v22, v4
	v_lshlrev_b32_e32 v4, 28, v21
	v_cmp_gt_i64_e32 vcc, 0, v[3:4]
	v_not_b32_e32 v4, v4
	v_ashrrev_i32_e32 v4, 31, v4
	v_and_b32_e32 v106, v106, v110
	;; [unrolled: 8-line block ×5, first 2 shown]
	v_xor_b32_e32 v110, vcc_hi, v4
	v_xor_b32_e32 v4, vcc_lo, v4
	v_and_b32_e32 v106, v106, v110
	v_and_b32_e32 v110, v22, v4
	v_lshlrev_b32_e32 v4, 24, v21
	v_cmp_gt_i64_e32 vcc, 0, v[3:4]
	v_not_b32_e32 v4, v4
	v_ashrrev_i32_e32 v4, 31, v4
	v_mul_u32_u24_e32 v109, 20, v21
	v_xor_b32_e32 v21, vcc_hi, v4
	v_xor_b32_e32 v4, vcc_lo, v4
	v_and_b32_e32 v22, v106, v21
	v_and_b32_e32 v21, v110, v4
	v_mbcnt_lo_u32_b32 v4, v21, 0
	v_mbcnt_hi_u32_b32 v106, v22, v4
	v_cmp_ne_u64_e32 vcc, 0, v[21:22]
	v_cmp_eq_u32_e64 s[38:39], 0, v106
	s_and_b64 s[40:41], vcc, s[38:39]
	v_add_u32_e32 v110, v91, v109
	; wave barrier
	s_and_saveexec_b64 s[38:39], s[40:41]
	s_cbranch_execz .LBB1744_90
; %bb.89:                               ;   in Loop: Header=BB1744_64 Depth=2
	v_bcnt_u32_b32 v4, v21, 0
	v_bcnt_u32_b32 v4, v22, v4
	s_waitcnt lgkmcnt(0)
	v_add_u32_e32 v4, v104, v4
	ds_write_b32 v110, v4 offset:1040
.LBB1744_90:                            ;   in Loop: Header=BB1744_64 Depth=2
	s_or_b64 exec, exec, s[38:39]
	v_cmp_gt_i16_e32 vcc, 0, v107
	v_cndmask_b32_e64 v4, v65, 0, vcc
	v_xor_b32_e32 v107, v4, v107
	v_cmp_ne_u16_e32 vcc, s7, v107
	v_cndmask_b32_e32 v4, v65, v107, vcc
	v_lshrrev_b32_sdwa v4, s62, v4 dst_sel:DWORD dst_unused:UNUSED_PAD src0_sel:DWORD src1_sel:WORD_0
	v_and_b32_e32 v21, s63, v4
	v_mad_u32_u24 v4, v21, 20, v91
	; wave barrier
	ds_read_b32 v109, v4 offset:1040
	v_and_b32_e32 v4, 1, v21
	v_add_co_u32_e32 v22, vcc, -1, v4
	v_addc_co_u32_e64 v111, s[38:39], 0, -1, vcc
	v_cmp_ne_u32_e32 vcc, 0, v4
	v_xor_b32_e32 v4, vcc_hi, v111
	v_and_b32_e32 v111, exec_hi, v4
	v_lshlrev_b32_e32 v4, 30, v21
	v_xor_b32_e32 v22, vcc_lo, v22
	v_cmp_gt_i64_e32 vcc, 0, v[3:4]
	v_not_b32_e32 v4, v4
	v_ashrrev_i32_e32 v4, 31, v4
	v_and_b32_e32 v22, exec_lo, v22
	v_xor_b32_e32 v114, vcc_hi, v4
	v_xor_b32_e32 v4, vcc_lo, v4
	v_and_b32_e32 v22, v22, v4
	v_lshlrev_b32_e32 v4, 29, v21
	v_cmp_gt_i64_e32 vcc, 0, v[3:4]
	v_not_b32_e32 v4, v4
	v_ashrrev_i32_e32 v4, 31, v4
	v_and_b32_e32 v111, v111, v114
	v_xor_b32_e32 v114, vcc_hi, v4
	v_xor_b32_e32 v4, vcc_lo, v4
	v_and_b32_e32 v22, v22, v4
	v_lshlrev_b32_e32 v4, 28, v21
	v_cmp_gt_i64_e32 vcc, 0, v[3:4]
	v_not_b32_e32 v4, v4
	v_ashrrev_i32_e32 v4, 31, v4
	v_and_b32_e32 v111, v111, v114
	;; [unrolled: 8-line block ×5, first 2 shown]
	v_xor_b32_e32 v114, vcc_hi, v4
	v_xor_b32_e32 v4, vcc_lo, v4
	v_and_b32_e32 v111, v111, v114
	v_and_b32_e32 v114, v22, v4
	v_lshlrev_b32_e32 v4, 24, v21
	v_cmp_gt_i64_e32 vcc, 0, v[3:4]
	v_not_b32_e32 v4, v4
	v_ashrrev_i32_e32 v4, 31, v4
	v_mul_u32_u24_e32 v113, 20, v21
	v_xor_b32_e32 v21, vcc_hi, v4
	v_xor_b32_e32 v4, vcc_lo, v4
	v_and_b32_e32 v22, v111, v21
	v_and_b32_e32 v21, v114, v4
	v_mbcnt_lo_u32_b32 v4, v21, 0
	v_mbcnt_hi_u32_b32 v111, v22, v4
	v_cmp_ne_u64_e32 vcc, 0, v[21:22]
	v_cmp_eq_u32_e64 s[38:39], 0, v111
	s_and_b64 s[40:41], vcc, s[38:39]
	v_add_u32_e32 v114, v91, v113
	; wave barrier
	s_and_saveexec_b64 s[38:39], s[40:41]
	s_cbranch_execz .LBB1744_92
; %bb.91:                               ;   in Loop: Header=BB1744_64 Depth=2
	v_bcnt_u32_b32 v4, v21, 0
	v_bcnt_u32_b32 v4, v22, v4
	s_waitcnt lgkmcnt(0)
	v_add_u32_e32 v4, v109, v4
	ds_write_b32 v114, v4 offset:1040
.LBB1744_92:                            ;   in Loop: Header=BB1744_64 Depth=2
	s_or_b64 exec, exec, s[38:39]
	v_cmp_gt_i16_e32 vcc, 0, v112
	v_cndmask_b32_e64 v4, v65, 0, vcc
	v_xor_b32_e32 v112, v4, v112
	v_cmp_ne_u16_e32 vcc, s7, v112
	v_cndmask_b32_e32 v4, v65, v112, vcc
	v_lshrrev_b32_sdwa v4, s62, v4 dst_sel:DWORD dst_unused:UNUSED_PAD src0_sel:DWORD src1_sel:WORD_0
	v_and_b32_e32 v21, s63, v4
	v_mad_u32_u24 v4, v21, 20, v91
	; wave barrier
	ds_read_b32 v113, v4 offset:1040
	v_and_b32_e32 v4, 1, v21
	v_add_co_u32_e32 v22, vcc, -1, v4
	v_addc_co_u32_e64 v115, s[38:39], 0, -1, vcc
	v_cmp_ne_u32_e32 vcc, 0, v4
	v_xor_b32_e32 v4, vcc_hi, v115
	v_and_b32_e32 v115, exec_hi, v4
	v_lshlrev_b32_e32 v4, 30, v21
	v_xor_b32_e32 v22, vcc_lo, v22
	v_cmp_gt_i64_e32 vcc, 0, v[3:4]
	v_not_b32_e32 v4, v4
	v_ashrrev_i32_e32 v4, 31, v4
	v_and_b32_e32 v22, exec_lo, v22
	v_xor_b32_e32 v117, vcc_hi, v4
	v_xor_b32_e32 v4, vcc_lo, v4
	v_and_b32_e32 v22, v22, v4
	v_lshlrev_b32_e32 v4, 29, v21
	v_cmp_gt_i64_e32 vcc, 0, v[3:4]
	v_not_b32_e32 v4, v4
	v_ashrrev_i32_e32 v4, 31, v4
	v_and_b32_e32 v115, v115, v117
	v_xor_b32_e32 v117, vcc_hi, v4
	v_xor_b32_e32 v4, vcc_lo, v4
	v_and_b32_e32 v22, v22, v4
	v_lshlrev_b32_e32 v4, 28, v21
	v_cmp_gt_i64_e32 vcc, 0, v[3:4]
	v_not_b32_e32 v4, v4
	v_ashrrev_i32_e32 v4, 31, v4
	v_and_b32_e32 v115, v115, v117
	;; [unrolled: 8-line block ×5, first 2 shown]
	v_xor_b32_e32 v117, vcc_hi, v4
	v_xor_b32_e32 v4, vcc_lo, v4
	v_and_b32_e32 v115, v115, v117
	v_and_b32_e32 v117, v22, v4
	v_lshlrev_b32_e32 v4, 24, v21
	v_cmp_gt_i64_e32 vcc, 0, v[3:4]
	v_not_b32_e32 v4, v4
	v_ashrrev_i32_e32 v4, 31, v4
	v_mul_u32_u24_e32 v116, 20, v21
	v_xor_b32_e32 v21, vcc_hi, v4
	v_xor_b32_e32 v4, vcc_lo, v4
	v_and_b32_e32 v22, v115, v21
	v_and_b32_e32 v21, v117, v4
	v_mbcnt_lo_u32_b32 v4, v21, 0
	v_mbcnt_hi_u32_b32 v115, v22, v4
	v_cmp_ne_u64_e32 vcc, 0, v[21:22]
	v_cmp_eq_u32_e64 s[38:39], 0, v115
	s_and_b64 s[40:41], vcc, s[38:39]
	v_add_u32_e32 v118, v91, v116
	; wave barrier
	s_and_saveexec_b64 s[38:39], s[40:41]
	s_cbranch_execz .LBB1744_94
; %bb.93:                               ;   in Loop: Header=BB1744_64 Depth=2
	v_bcnt_u32_b32 v4, v21, 0
	v_bcnt_u32_b32 v4, v22, v4
	s_waitcnt lgkmcnt(0)
	v_add_u32_e32 v4, v113, v4
	ds_write_b32 v118, v4 offset:1040
.LBB1744_94:                            ;   in Loop: Header=BB1744_64 Depth=2
	s_or_b64 exec, exec, s[38:39]
	v_cmp_gt_i16_e32 vcc, 0, v108
	v_cndmask_b32_e64 v4, v65, 0, vcc
	v_xor_b32_e32 v116, v4, v108
	v_cmp_ne_u16_e32 vcc, s7, v116
	v_cndmask_b32_e32 v4, v65, v116, vcc
	v_lshrrev_b32_sdwa v4, s62, v4 dst_sel:DWORD dst_unused:UNUSED_PAD src0_sel:DWORD src1_sel:WORD_0
	v_and_b32_e32 v21, s63, v4
	v_mad_u32_u24 v4, v21, 20, v91
	; wave barrier
	ds_read_b32 v117, v4 offset:1040
	v_and_b32_e32 v4, 1, v21
	v_add_co_u32_e32 v22, vcc, -1, v4
	v_addc_co_u32_e64 v119, s[38:39], 0, -1, vcc
	v_cmp_ne_u32_e32 vcc, 0, v4
	v_xor_b32_e32 v4, vcc_hi, v119
	v_and_b32_e32 v119, exec_hi, v4
	v_lshlrev_b32_e32 v4, 30, v21
	v_xor_b32_e32 v22, vcc_lo, v22
	v_cmp_gt_i64_e32 vcc, 0, v[3:4]
	v_not_b32_e32 v4, v4
	v_ashrrev_i32_e32 v4, 31, v4
	v_and_b32_e32 v22, exec_lo, v22
	v_xor_b32_e32 v120, vcc_hi, v4
	v_xor_b32_e32 v4, vcc_lo, v4
	v_and_b32_e32 v22, v22, v4
	v_lshlrev_b32_e32 v4, 29, v21
	v_cmp_gt_i64_e32 vcc, 0, v[3:4]
	v_not_b32_e32 v4, v4
	v_ashrrev_i32_e32 v4, 31, v4
	v_and_b32_e32 v119, v119, v120
	v_xor_b32_e32 v120, vcc_hi, v4
	v_xor_b32_e32 v4, vcc_lo, v4
	v_and_b32_e32 v22, v22, v4
	v_lshlrev_b32_e32 v4, 28, v21
	v_cmp_gt_i64_e32 vcc, 0, v[3:4]
	v_not_b32_e32 v4, v4
	v_ashrrev_i32_e32 v4, 31, v4
	v_and_b32_e32 v119, v119, v120
	;; [unrolled: 8-line block ×5, first 2 shown]
	v_xor_b32_e32 v120, vcc_hi, v4
	v_xor_b32_e32 v4, vcc_lo, v4
	v_and_b32_e32 v119, v119, v120
	v_and_b32_e32 v120, v22, v4
	v_lshlrev_b32_e32 v4, 24, v21
	v_cmp_gt_i64_e32 vcc, 0, v[3:4]
	v_not_b32_e32 v4, v4
	v_ashrrev_i32_e32 v4, 31, v4
	v_mul_u32_u24_e32 v108, 20, v21
	v_xor_b32_e32 v21, vcc_hi, v4
	v_xor_b32_e32 v4, vcc_lo, v4
	v_and_b32_e32 v22, v119, v21
	v_and_b32_e32 v21, v120, v4
	v_mbcnt_lo_u32_b32 v4, v21, 0
	v_mbcnt_hi_u32_b32 v119, v22, v4
	v_cmp_ne_u64_e32 vcc, 0, v[21:22]
	v_cmp_eq_u32_e64 s[38:39], 0, v119
	s_and_b64 s[40:41], vcc, s[38:39]
	v_add_u32_e32 v108, v91, v108
	; wave barrier
	s_and_saveexec_b64 s[38:39], s[40:41]
	s_cbranch_execz .LBB1744_96
; %bb.95:                               ;   in Loop: Header=BB1744_64 Depth=2
	v_bcnt_u32_b32 v4, v21, 0
	v_bcnt_u32_b32 v4, v22, v4
	s_waitcnt lgkmcnt(0)
	v_add_u32_e32 v4, v117, v4
	ds_write_b32 v108, v4 offset:1040
.LBB1744_96:                            ;   in Loop: Header=BB1744_64 Depth=2
	s_or_b64 exec, exec, s[38:39]
	v_cmp_gt_i16_e32 vcc, 0, v24
	v_cndmask_b32_e64 v4, v65, 0, vcc
	v_xor_b32_e32 v120, v4, v24
	v_cmp_ne_u16_e32 vcc, s7, v120
	v_cndmask_b32_e32 v4, v65, v120, vcc
	v_lshrrev_b32_sdwa v4, s62, v4 dst_sel:DWORD dst_unused:UNUSED_PAD src0_sel:DWORD src1_sel:WORD_0
	v_and_b32_e32 v21, s63, v4
	v_mad_u32_u24 v4, v21, 20, v91
	; wave barrier
	ds_read_b32 v121, v4 offset:1040
	v_and_b32_e32 v4, 1, v21
	v_add_co_u32_e32 v22, vcc, -1, v4
	v_addc_co_u32_e64 v122, s[38:39], 0, -1, vcc
	v_cmp_ne_u32_e32 vcc, 0, v4
	v_xor_b32_e32 v4, vcc_hi, v122
	v_and_b32_e32 v122, exec_hi, v4
	v_lshlrev_b32_e32 v4, 30, v21
	v_xor_b32_e32 v22, vcc_lo, v22
	v_cmp_gt_i64_e32 vcc, 0, v[3:4]
	v_not_b32_e32 v4, v4
	v_ashrrev_i32_e32 v4, 31, v4
	v_and_b32_e32 v22, exec_lo, v22
	v_xor_b32_e32 v123, vcc_hi, v4
	v_xor_b32_e32 v4, vcc_lo, v4
	v_and_b32_e32 v22, v22, v4
	v_lshlrev_b32_e32 v4, 29, v21
	v_cmp_gt_i64_e32 vcc, 0, v[3:4]
	v_not_b32_e32 v4, v4
	v_ashrrev_i32_e32 v4, 31, v4
	v_and_b32_e32 v122, v122, v123
	v_xor_b32_e32 v123, vcc_hi, v4
	v_xor_b32_e32 v4, vcc_lo, v4
	v_and_b32_e32 v22, v22, v4
	v_lshlrev_b32_e32 v4, 28, v21
	v_cmp_gt_i64_e32 vcc, 0, v[3:4]
	v_not_b32_e32 v4, v4
	v_ashrrev_i32_e32 v4, 31, v4
	v_and_b32_e32 v122, v122, v123
	;; [unrolled: 8-line block ×5, first 2 shown]
	v_xor_b32_e32 v123, vcc_hi, v4
	v_xor_b32_e32 v4, vcc_lo, v4
	v_and_b32_e32 v122, v122, v123
	v_and_b32_e32 v123, v22, v4
	v_lshlrev_b32_e32 v4, 24, v21
	v_cmp_gt_i64_e32 vcc, 0, v[3:4]
	v_not_b32_e32 v4, v4
	v_ashrrev_i32_e32 v4, 31, v4
	v_mul_u32_u24_e32 v24, 20, v21
	v_xor_b32_e32 v21, vcc_hi, v4
	v_xor_b32_e32 v4, vcc_lo, v4
	v_and_b32_e32 v22, v122, v21
	v_and_b32_e32 v21, v123, v4
	v_mbcnt_lo_u32_b32 v4, v21, 0
	v_mbcnt_hi_u32_b32 v122, v22, v4
	v_cmp_ne_u64_e32 vcc, 0, v[21:22]
	v_cmp_eq_u32_e64 s[38:39], 0, v122
	s_and_b64 s[40:41], vcc, s[38:39]
	v_add_u32_e32 v125, v91, v24
	; wave barrier
	s_and_saveexec_b64 s[38:39], s[40:41]
	s_cbranch_execz .LBB1744_98
; %bb.97:                               ;   in Loop: Header=BB1744_64 Depth=2
	v_bcnt_u32_b32 v4, v21, 0
	v_bcnt_u32_b32 v4, v22, v4
	s_waitcnt lgkmcnt(0)
	v_add_u32_e32 v4, v121, v4
	ds_write_b32 v125, v4 offset:1040
.LBB1744_98:                            ;   in Loop: Header=BB1744_64 Depth=2
	s_or_b64 exec, exec, s[38:39]
	v_cmp_gt_i16_e32 vcc, 0, v23
	v_cndmask_b32_e64 v4, v65, 0, vcc
	v_xor_b32_e32 v123, v4, v23
	v_cmp_ne_u16_e32 vcc, s7, v123
	v_cndmask_b32_e32 v4, v65, v123, vcc
	v_lshrrev_b32_sdwa v4, s62, v4 dst_sel:DWORD dst_unused:UNUSED_PAD src0_sel:DWORD src1_sel:WORD_0
	v_and_b32_e32 v21, s63, v4
	v_mad_u32_u24 v4, v21, 20, v91
	; wave barrier
	ds_read_b32 v124, v4 offset:1040
	v_and_b32_e32 v4, 1, v21
	v_add_co_u32_e32 v22, vcc, -1, v4
	v_addc_co_u32_e64 v24, s[38:39], 0, -1, vcc
	v_cmp_ne_u32_e32 vcc, 0, v4
	v_xor_b32_e32 v4, vcc_hi, v24
	v_and_b32_e32 v24, exec_hi, v4
	v_lshlrev_b32_e32 v4, 30, v21
	v_xor_b32_e32 v22, vcc_lo, v22
	v_cmp_gt_i64_e32 vcc, 0, v[3:4]
	v_not_b32_e32 v4, v4
	v_ashrrev_i32_e32 v4, 31, v4
	v_and_b32_e32 v22, exec_lo, v22
	v_xor_b32_e32 v126, vcc_hi, v4
	v_xor_b32_e32 v4, vcc_lo, v4
	v_and_b32_e32 v22, v22, v4
	v_lshlrev_b32_e32 v4, 29, v21
	v_cmp_gt_i64_e32 vcc, 0, v[3:4]
	v_not_b32_e32 v4, v4
	v_ashrrev_i32_e32 v4, 31, v4
	v_and_b32_e32 v24, v24, v126
	v_xor_b32_e32 v126, vcc_hi, v4
	v_xor_b32_e32 v4, vcc_lo, v4
	v_and_b32_e32 v22, v22, v4
	v_lshlrev_b32_e32 v4, 28, v21
	v_cmp_gt_i64_e32 vcc, 0, v[3:4]
	v_not_b32_e32 v4, v4
	v_ashrrev_i32_e32 v4, 31, v4
	v_and_b32_e32 v24, v24, v126
	;; [unrolled: 8-line block ×5, first 2 shown]
	v_xor_b32_e32 v126, vcc_hi, v4
	v_xor_b32_e32 v4, vcc_lo, v4
	v_and_b32_e32 v24, v24, v126
	v_and_b32_e32 v126, v22, v4
	v_lshlrev_b32_e32 v4, 24, v21
	v_cmp_gt_i64_e32 vcc, 0, v[3:4]
	v_not_b32_e32 v4, v4
	v_ashrrev_i32_e32 v4, 31, v4
	v_mul_u32_u24_e32 v23, 20, v21
	v_xor_b32_e32 v21, vcc_hi, v4
	v_xor_b32_e32 v4, vcc_lo, v4
	v_and_b32_e32 v22, v24, v21
	v_and_b32_e32 v21, v126, v4
	v_mbcnt_lo_u32_b32 v4, v21, 0
	v_mbcnt_hi_u32_b32 v126, v22, v4
	v_cmp_ne_u64_e32 vcc, 0, v[21:22]
	v_cmp_eq_u32_e64 s[38:39], 0, v126
	s_and_b64 s[40:41], vcc, s[38:39]
	v_add_u32_e32 v4, v91, v23
	; wave barrier
	s_and_saveexec_b64 s[38:39], s[40:41]
	s_cbranch_execz .LBB1744_100
; %bb.99:                               ;   in Loop: Header=BB1744_64 Depth=2
	v_bcnt_u32_b32 v21, v21, 0
	v_bcnt_u32_b32 v21, v22, v21
	s_waitcnt lgkmcnt(0)
	v_add_u32_e32 v21, v124, v21
	ds_write_b32 v4, v21 offset:1040
.LBB1744_100:                           ;   in Loop: Header=BB1744_64 Depth=2
	s_or_b64 exec, exec, s[38:39]
	; wave barrier
	s_waitcnt lgkmcnt(0)
	s_barrier
	ds_read2_b32 v[23:24], v62 offset1:1
	ds_read2_b32 v[21:22], v63 offset1:1
	ds_read_b32 v127, v41 offset:1056
	s_waitcnt lgkmcnt(1)
	v_add3_u32 v128, v24, v23, v21
	s_waitcnt lgkmcnt(0)
	v_add3_u32 v127, v128, v22, v127
	s_nop 1
	v_mov_b32_dpp v128, v127 row_shr:1 row_mask:0xf bank_mask:0xf
	v_cndmask_b32_e64 v128, v128, 0, s[18:19]
	v_add_u32_e32 v127, v128, v127
	s_nop 1
	v_mov_b32_dpp v128, v127 row_shr:2 row_mask:0xf bank_mask:0xf
	v_cndmask_b32_e64 v128, 0, v128, s[20:21]
	v_add_u32_e32 v127, v127, v128
	;; [unrolled: 4-line block ×4, first 2 shown]
	s_nop 1
	v_mov_b32_dpp v128, v127 row_bcast:15 row_mask:0xf bank_mask:0xf
	v_cndmask_b32_e64 v128, v128, 0, s[26:27]
	v_add_u32_e32 v127, v127, v128
	s_nop 1
	v_mov_b32_dpp v128, v127 row_bcast:31 row_mask:0xf bank_mask:0xf
	v_cndmask_b32_e64 v128, 0, v128, s[28:29]
	v_add_u32_e32 v127, v127, v128
	s_and_saveexec_b64 s[38:39], s[8:9]
; %bb.101:                              ;   in Loop: Header=BB1744_64 Depth=2
	ds_write_b32 v37, v127 offset:1024
; %bb.102:                              ;   in Loop: Header=BB1744_64 Depth=2
	s_or_b64 exec, exec, s[38:39]
	s_waitcnt lgkmcnt(0)
	s_barrier
	s_and_saveexec_b64 s[38:39], s[10:11]
	s_cbranch_execz .LBB1744_104
; %bb.103:                              ;   in Loop: Header=BB1744_64 Depth=2
	ds_read_b32 v128, v42 offset:1024
	s_waitcnt lgkmcnt(0)
	s_nop 0
	v_mov_b32_dpp v129, v128 row_shr:1 row_mask:0xf bank_mask:0xf
	v_cndmask_b32_e64 v129, v129, 0, s[34:35]
	v_add_u32_e32 v128, v129, v128
	s_nop 1
	v_mov_b32_dpp v129, v128 row_shr:2 row_mask:0xf bank_mask:0xf
	v_cndmask_b32_e64 v129, 0, v129, s[36:37]
	v_add_u32_e32 v128, v128, v129
	ds_write_b32 v42, v128 offset:1024
.LBB1744_104:                           ;   in Loop: Header=BB1744_64 Depth=2
	s_or_b64 exec, exec, s[38:39]
	v_mov_b32_e32 v128, 0
	s_waitcnt lgkmcnt(0)
	s_barrier
	s_and_saveexec_b64 s[38:39], s[12:13]
; %bb.105:                              ;   in Loop: Header=BB1744_64 Depth=2
	ds_read_b32 v128, v37 offset:1020
; %bb.106:                              ;   in Loop: Header=BB1744_64 Depth=2
	s_or_b64 exec, exec, s[38:39]
	s_waitcnt lgkmcnt(0)
	v_add_u32_e32 v127, v128, v127
	ds_bpermute_b32 v127, v82, v127
	s_waitcnt lgkmcnt(0)
	v_cndmask_b32_e64 v127, v127, v128, s[30:31]
	v_cndmask_b32_e64 v127, v127, 0, s[14:15]
	v_add_u32_e32 v23, v127, v23
	v_add_u32_e32 v24, v23, v24
	;; [unrolled: 1-line block ×4, first 2 shown]
	ds_write2_b32 v62, v127, v23 offset1:1
	ds_write2_b32 v63, v24, v21 offset1:1
	ds_write_b32 v41, v22 offset:1056
	s_waitcnt lgkmcnt(0)
	s_barrier
	ds_read_b32 v21, v101 offset:1040
	ds_read_b32 v22, v105 offset:1040
	;; [unrolled: 1-line block ×9, first 2 shown]
	v_mov_b32_e32 v4, 0x800
	s_and_saveexec_b64 s[38:39], s[16:17]
; %bb.107:                              ;   in Loop: Header=BB1744_64 Depth=2
	ds_read_b32 v4, v41 offset:1060
; %bb.108:                              ;   in Loop: Header=BB1744_64 Depth=2
	s_or_b64 exec, exec, s[38:39]
	s_waitcnt lgkmcnt(0)
	s_barrier
	s_and_saveexec_b64 s[38:39], s[4:5]
	s_cbranch_execz .LBB1744_110
; %bb.109:                              ;   in Loop: Header=BB1744_64 Depth=2
	ds_read_b32 v105, v25
	s_waitcnt lgkmcnt(0)
	v_sub_u32_e32 v101, v105, v101
	ds_write_b32 v25, v101
.LBB1744_110:                           ;   in Loop: Header=BB1744_64 Depth=2
	s_or_b64 exec, exec, s[38:39]
	v_add_u32_e32 v108, v21, v98
	v_add3_u32 v105, v102, v100, v22
	v_lshlrev_b32_e32 v21, 1, v108
	v_add3_u32 v102, v106, v104, v23
	ds_write_b16 v21, v97 offset:1024
	v_lshlrev_b32_e32 v21, 1, v105
	v_add3_u32 v101, v111, v109, v24
	ds_write_b16 v21, v99 offset:1024
	;; [unrolled: 3-line block ×6, first 2 shown]
	v_lshlrev_b32_e32 v21, 1, v24
	ds_write_b16 v21, v120 offset:1024
	v_lshlrev_b32_e32 v21, 1, v23
	v_cmp_lt_u32_e32 vcc, v0, v96
	ds_write_b16 v21, v123 offset:1024
	s_waitcnt lgkmcnt(0)
	s_barrier
	s_and_saveexec_b64 s[40:41], vcc
	s_cbranch_execnz .LBB1744_147
; %bb.111:                              ;   in Loop: Header=BB1744_64 Depth=2
	s_or_b64 exec, exec, s[40:41]
	v_cmp_lt_u32_e64 s[38:39], v26, v96
	s_and_saveexec_b64 s[42:43], s[38:39]
	s_cbranch_execnz .LBB1744_148
.LBB1744_112:                           ;   in Loop: Header=BB1744_64 Depth=2
	s_or_b64 exec, exec, s[42:43]
	v_cmp_lt_u32_e64 s[40:41], v27, v96
	s_and_saveexec_b64 s[44:45], s[40:41]
	s_cbranch_execnz .LBB1744_149
.LBB1744_113:                           ;   in Loop: Header=BB1744_64 Depth=2
	s_or_b64 exec, exec, s[44:45]
	v_cmp_lt_u32_e64 s[42:43], v28, v96
	s_and_saveexec_b64 s[46:47], s[42:43]
	s_cbranch_execnz .LBB1744_150
.LBB1744_114:                           ;   in Loop: Header=BB1744_64 Depth=2
	s_or_b64 exec, exec, s[46:47]
	v_cmp_lt_u32_e64 s[44:45], v31, v96
	s_and_saveexec_b64 s[48:49], s[44:45]
	s_cbranch_execnz .LBB1744_151
.LBB1744_115:                           ;   in Loop: Header=BB1744_64 Depth=2
	s_or_b64 exec, exec, s[48:49]
	v_cmp_lt_u32_e64 s[46:47], v32, v96
	s_and_saveexec_b64 s[50:51], s[46:47]
	s_cbranch_execnz .LBB1744_152
.LBB1744_116:                           ;   in Loop: Header=BB1744_64 Depth=2
	s_or_b64 exec, exec, s[50:51]
	v_cmp_lt_u32_e64 s[48:49], v33, v96
	s_and_saveexec_b64 s[52:53], s[48:49]
	s_cbranch_execnz .LBB1744_153
.LBB1744_117:                           ;   in Loop: Header=BB1744_64 Depth=2
	s_or_b64 exec, exec, s[52:53]
	v_cmp_lt_u32_e64 s[50:51], v34, v96
	s_and_saveexec_b64 s[60:61], s[50:51]
	s_cbranch_execz .LBB1744_119
.LBB1744_118:                           ;   in Loop: Header=BB1744_64 Depth=2
	ds_read_u16 v21, v47 offset:4608
	v_mov_b32_e32 v22, v3
	v_mov_b32_e32 v99, s67
	s_waitcnt lgkmcnt(0)
	v_cmp_ne_u16_e64 s[52:53], s7, v21
	v_cndmask_b32_e64 v97, v65, v21, s[52:53]
	v_lshrrev_b32_sdwa v97, s62, v97 dst_sel:DWORD dst_unused:UNUSED_PAD src0_sel:DWORD src1_sel:WORD_0
	v_and_b32_e32 v97, s63, v97
	v_lshlrev_b32_e32 v97, 2, v97
	ds_read_b32 v97, v97
	v_cmp_gt_i16_e64 s[52:53], 0, v21
	v_cndmask_b32_e64 v103, v65, 0, s[52:53]
	v_xor_b32_e32 v103, v103, v21
	s_waitcnt lgkmcnt(0)
	v_add_u32_e32 v21, v97, v34
	v_lshlrev_b64 v[21:22], 1, v[21:22]
	v_add_co_u32_e64 v21, s[52:53], s66, v21
	v_addc_co_u32_e64 v22, s[52:53], v99, v22, s[52:53]
	global_store_short v[21:22], v103, off
.LBB1744_119:                           ;   in Loop: Header=BB1744_64 Depth=2
	s_or_b64 exec, exec, s[60:61]
	s_lshl_b64 s[52:53], s[58:59], 3
	v_mov_b32_e32 v22, s53
	v_add_co_u32_e64 v21, s[52:53], s52, v83
	v_addc_co_u32_e64 v22, s[52:53], v84, v22, s[52:53]
	v_cmp_lt_u32_e64 s[52:53], v73, v96
	s_and_saveexec_b64 s[60:61], s[52:53]
	s_xor_b64 s[52:53], exec, s[60:61]
	s_cbranch_execnz .LBB1744_154
; %bb.120:                              ;   in Loop: Header=BB1744_64 Depth=2
	s_or_b64 exec, exec, s[52:53]
	v_cmp_lt_u32_e64 s[52:53], v74, v96
	s_and_saveexec_b64 s[60:61], s[52:53]
	s_cbranch_execnz .LBB1744_155
.LBB1744_121:                           ;   in Loop: Header=BB1744_64 Depth=2
	s_or_b64 exec, exec, s[60:61]
	v_cmp_lt_u32_e64 s[52:53], v75, v96
	s_and_saveexec_b64 s[60:61], s[52:53]
	s_cbranch_execnz .LBB1744_156
.LBB1744_122:                           ;   in Loop: Header=BB1744_64 Depth=2
	s_or_b64 exec, exec, s[60:61]
	v_cmp_lt_u32_e64 s[52:53], v76, v96
	s_and_saveexec_b64 s[60:61], s[52:53]
	s_cbranch_execnz .LBB1744_157
.LBB1744_123:                           ;   in Loop: Header=BB1744_64 Depth=2
	s_or_b64 exec, exec, s[60:61]
	v_cmp_lt_u32_e64 s[52:53], v77, v96
	s_and_saveexec_b64 s[60:61], s[52:53]
	s_cbranch_execnz .LBB1744_158
.LBB1744_124:                           ;   in Loop: Header=BB1744_64 Depth=2
	s_or_b64 exec, exec, s[60:61]
	v_cmp_lt_u32_e64 s[52:53], v78, v96
	s_and_saveexec_b64 s[60:61], s[52:53]
	s_cbranch_execnz .LBB1744_159
.LBB1744_125:                           ;   in Loop: Header=BB1744_64 Depth=2
	s_or_b64 exec, exec, s[60:61]
	v_cmp_lt_u32_e64 s[52:53], v79, v96
	s_and_saveexec_b64 s[60:61], s[52:53]
	s_cbranch_execnz .LBB1744_160
.LBB1744_126:                           ;   in Loop: Header=BB1744_64 Depth=2
	s_or_b64 exec, exec, s[60:61]
	v_cmp_lt_u32_e64 s[52:53], v80, v96
	s_and_saveexec_b64 s[60:61], s[52:53]
	s_cbranch_execnz .LBB1744_161
.LBB1744_127:                           ;   in Loop: Header=BB1744_64 Depth=2
	s_or_b64 exec, exec, s[60:61]
	s_and_saveexec_b64 s[60:61], vcc
	s_cbranch_execnz .LBB1744_162
.LBB1744_128:                           ;   in Loop: Header=BB1744_64 Depth=2
	s_or_b64 exec, exec, s[60:61]
	s_and_saveexec_b64 s[60:61], s[38:39]
	s_cbranch_execnz .LBB1744_163
.LBB1744_129:                           ;   in Loop: Header=BB1744_64 Depth=2
	s_or_b64 exec, exec, s[60:61]
	s_and_saveexec_b64 s[60:61], s[40:41]
	s_cbranch_execnz .LBB1744_164
.LBB1744_130:                           ;   in Loop: Header=BB1744_64 Depth=2
	s_or_b64 exec, exec, s[60:61]
	s_and_saveexec_b64 s[60:61], s[42:43]
	s_cbranch_execnz .LBB1744_165
.LBB1744_131:                           ;   in Loop: Header=BB1744_64 Depth=2
	s_or_b64 exec, exec, s[60:61]
	s_and_saveexec_b64 s[60:61], s[44:45]
	s_cbranch_execnz .LBB1744_166
.LBB1744_132:                           ;   in Loop: Header=BB1744_64 Depth=2
	s_or_b64 exec, exec, s[60:61]
	s_and_saveexec_b64 s[60:61], s[46:47]
	s_cbranch_execnz .LBB1744_167
.LBB1744_133:                           ;   in Loop: Header=BB1744_64 Depth=2
	s_or_b64 exec, exec, s[60:61]
	s_and_saveexec_b64 s[60:61], s[48:49]
	s_cbranch_execnz .LBB1744_168
.LBB1744_134:                           ;   in Loop: Header=BB1744_64 Depth=2
	s_or_b64 exec, exec, s[60:61]
	s_and_saveexec_b64 s[60:61], s[50:51]
	s_cbranch_execz .LBB1744_136
.LBB1744_135:                           ;   in Loop: Header=BB1744_64 Depth=2
	ds_read_u16 v21, v47 offset:4608
	s_waitcnt lgkmcnt(0)
	v_cmp_ne_u16_e64 s[52:53], s7, v21
	v_cndmask_b32_e64 v21, v65, v21, s[52:53]
	v_lshrrev_b32_sdwa v21, s62, v21 dst_sel:DWORD dst_unused:UNUSED_PAD src0_sel:DWORD src1_sel:WORD_0
	v_and_b32_e32 v87, s63, v21
.LBB1744_136:                           ;   in Loop: Header=BB1744_64 Depth=2
	s_or_b64 exec, exec, s[60:61]
	v_lshlrev_b32_e32 v21, 3, v108
	s_waitcnt vmcnt(0)
	s_barrier
	ds_write_b64 v21, v[19:20] offset:1024
	v_lshlrev_b32_e32 v21, 3, v105
	ds_write_b64 v21, v[17:18] offset:1024
	v_lshlrev_b32_e32 v21, 3, v102
	;; [unrolled: 2-line block ×7, first 2 shown]
	ds_write_b64 v21, v[5:6] offset:1024
	s_waitcnt lgkmcnt(0)
	s_barrier
	s_and_saveexec_b64 s[52:53], vcc
	s_cbranch_execnz .LBB1744_169
; %bb.137:                              ;   in Loop: Header=BB1744_64 Depth=2
	s_or_b64 exec, exec, s[52:53]
	s_and_saveexec_b64 s[52:53], s[38:39]
	s_cbranch_execnz .LBB1744_170
.LBB1744_138:                           ;   in Loop: Header=BB1744_64 Depth=2
	s_or_b64 exec, exec, s[52:53]
	s_and_saveexec_b64 s[38:39], s[40:41]
	s_cbranch_execnz .LBB1744_171
.LBB1744_139:                           ;   in Loop: Header=BB1744_64 Depth=2
	s_or_b64 exec, exec, s[38:39]
	s_and_saveexec_b64 s[38:39], s[42:43]
	s_cbranch_execnz .LBB1744_172
.LBB1744_140:                           ;   in Loop: Header=BB1744_64 Depth=2
	s_or_b64 exec, exec, s[38:39]
	s_and_saveexec_b64 s[38:39], s[44:45]
	s_cbranch_execnz .LBB1744_173
.LBB1744_141:                           ;   in Loop: Header=BB1744_64 Depth=2
	s_or_b64 exec, exec, s[38:39]
	s_and_saveexec_b64 s[38:39], s[46:47]
	s_cbranch_execnz .LBB1744_174
.LBB1744_142:                           ;   in Loop: Header=BB1744_64 Depth=2
	s_or_b64 exec, exec, s[38:39]
	s_and_saveexec_b64 s[38:39], s[48:49]
	s_cbranch_execnz .LBB1744_175
.LBB1744_143:                           ;   in Loop: Header=BB1744_64 Depth=2
	s_or_b64 exec, exec, s[38:39]
	s_and_saveexec_b64 s[38:39], s[50:51]
	s_cbranch_execz .LBB1744_145
.LBB1744_144:                           ;   in Loop: Header=BB1744_64 Depth=2
	v_lshlrev_b32_e32 v21, 2, v87
	ds_read_b32 v23, v21
	v_add_u32_e32 v21, v47, v48
	ds_read_b64 v[21:22], v21 offset:15360
	v_mov_b32_e32 v24, v3
	v_mov_b32_e32 v96, s73
	s_waitcnt lgkmcnt(1)
	v_add_u32_e32 v23, v23, v34
	v_lshlrev_b64 v[23:24], 3, v[23:24]
	v_add_co_u32_e32 v23, vcc, s72, v23
	v_addc_co_u32_e32 v24, vcc, v96, v24, vcc
	s_waitcnt lgkmcnt(0)
	global_store_dwordx2 v[23:24], v[21:22], off
.LBB1744_145:                           ;   in Loop: Header=BB1744_64 Depth=2
	s_or_b64 exec, exec, s[38:39]
	s_waitcnt vmcnt(0)
	s_barrier
	s_and_saveexec_b64 s[38:39], s[4:5]
	s_cbranch_execz .LBB1744_63
; %bb.146:                              ;   in Loop: Header=BB1744_64 Depth=2
	ds_read_b32 v21, v25
	s_waitcnt lgkmcnt(0)
	v_add_u32_e32 v4, v21, v4
	ds_write_b32 v25, v4
	s_branch .LBB1744_63
.LBB1744_147:                           ;   in Loop: Header=BB1744_64 Depth=2
	ds_read_u16 v21, v47 offset:1024
	v_mov_b32_e32 v22, v3
	v_mov_b32_e32 v99, s67
	s_waitcnt lgkmcnt(0)
	v_cmp_ne_u16_e64 s[38:39], s7, v21
	v_cndmask_b32_e64 v97, v65, v21, s[38:39]
	v_lshrrev_b32_sdwa v97, s62, v97 dst_sel:DWORD dst_unused:UNUSED_PAD src0_sel:DWORD src1_sel:WORD_0
	v_and_b32_e32 v97, s63, v97
	v_lshlrev_b32_e32 v97, 2, v97
	ds_read_b32 v97, v97
	v_cmp_gt_i16_e64 s[38:39], 0, v21
	v_cndmask_b32_e64 v103, v65, 0, s[38:39]
	v_xor_b32_e32 v103, v103, v21
	s_waitcnt lgkmcnt(0)
	v_add_u32_e32 v21, v97, v0
	v_lshlrev_b64 v[21:22], 1, v[21:22]
	v_add_co_u32_e64 v21, s[38:39], s66, v21
	v_addc_co_u32_e64 v22, s[38:39], v99, v22, s[38:39]
	global_store_short v[21:22], v103, off
	s_or_b64 exec, exec, s[40:41]
	v_cmp_lt_u32_e64 s[38:39], v26, v96
	s_and_saveexec_b64 s[42:43], s[38:39]
	s_cbranch_execz .LBB1744_112
.LBB1744_148:                           ;   in Loop: Header=BB1744_64 Depth=2
	ds_read_u16 v21, v47 offset:1536
	v_mov_b32_e32 v22, v3
	v_mov_b32_e32 v99, s67
	s_waitcnt lgkmcnt(0)
	v_cmp_ne_u16_e64 s[40:41], s7, v21
	v_cndmask_b32_e64 v97, v65, v21, s[40:41]
	v_lshrrev_b32_sdwa v97, s62, v97 dst_sel:DWORD dst_unused:UNUSED_PAD src0_sel:DWORD src1_sel:WORD_0
	v_and_b32_e32 v97, s63, v97
	v_lshlrev_b32_e32 v97, 2, v97
	ds_read_b32 v97, v97
	v_cmp_gt_i16_e64 s[40:41], 0, v21
	v_cndmask_b32_e64 v103, v65, 0, s[40:41]
	v_xor_b32_e32 v103, v103, v21
	s_waitcnt lgkmcnt(0)
	v_add_u32_e32 v21, v97, v26
	v_lshlrev_b64 v[21:22], 1, v[21:22]
	v_add_co_u32_e64 v21, s[40:41], s66, v21
	v_addc_co_u32_e64 v22, s[40:41], v99, v22, s[40:41]
	global_store_short v[21:22], v103, off
	s_or_b64 exec, exec, s[42:43]
	v_cmp_lt_u32_e64 s[40:41], v27, v96
	s_and_saveexec_b64 s[44:45], s[40:41]
	s_cbranch_execz .LBB1744_113
.LBB1744_149:                           ;   in Loop: Header=BB1744_64 Depth=2
	ds_read_u16 v21, v47 offset:2048
	v_mov_b32_e32 v22, v3
	v_mov_b32_e32 v99, s67
	s_waitcnt lgkmcnt(0)
	v_cmp_ne_u16_e64 s[42:43], s7, v21
	v_cndmask_b32_e64 v97, v65, v21, s[42:43]
	v_lshrrev_b32_sdwa v97, s62, v97 dst_sel:DWORD dst_unused:UNUSED_PAD src0_sel:DWORD src1_sel:WORD_0
	v_and_b32_e32 v97, s63, v97
	v_lshlrev_b32_e32 v97, 2, v97
	ds_read_b32 v97, v97
	v_cmp_gt_i16_e64 s[42:43], 0, v21
	v_cndmask_b32_e64 v103, v65, 0, s[42:43]
	v_xor_b32_e32 v103, v103, v21
	s_waitcnt lgkmcnt(0)
	v_add_u32_e32 v21, v97, v27
	v_lshlrev_b64 v[21:22], 1, v[21:22]
	v_add_co_u32_e64 v21, s[42:43], s66, v21
	v_addc_co_u32_e64 v22, s[42:43], v99, v22, s[42:43]
	global_store_short v[21:22], v103, off
	s_or_b64 exec, exec, s[44:45]
	v_cmp_lt_u32_e64 s[42:43], v28, v96
	s_and_saveexec_b64 s[46:47], s[42:43]
	s_cbranch_execz .LBB1744_114
.LBB1744_150:                           ;   in Loop: Header=BB1744_64 Depth=2
	ds_read_u16 v21, v47 offset:2560
	v_mov_b32_e32 v22, v3
	v_mov_b32_e32 v99, s67
	s_waitcnt lgkmcnt(0)
	v_cmp_ne_u16_e64 s[44:45], s7, v21
	v_cndmask_b32_e64 v97, v65, v21, s[44:45]
	v_lshrrev_b32_sdwa v97, s62, v97 dst_sel:DWORD dst_unused:UNUSED_PAD src0_sel:DWORD src1_sel:WORD_0
	v_and_b32_e32 v97, s63, v97
	v_lshlrev_b32_e32 v97, 2, v97
	ds_read_b32 v97, v97
	v_cmp_gt_i16_e64 s[44:45], 0, v21
	v_cndmask_b32_e64 v103, v65, 0, s[44:45]
	v_xor_b32_e32 v103, v103, v21
	s_waitcnt lgkmcnt(0)
	v_add_u32_e32 v21, v97, v28
	v_lshlrev_b64 v[21:22], 1, v[21:22]
	v_add_co_u32_e64 v21, s[44:45], s66, v21
	v_addc_co_u32_e64 v22, s[44:45], v99, v22, s[44:45]
	global_store_short v[21:22], v103, off
	s_or_b64 exec, exec, s[46:47]
	v_cmp_lt_u32_e64 s[44:45], v31, v96
	s_and_saveexec_b64 s[48:49], s[44:45]
	s_cbranch_execz .LBB1744_115
.LBB1744_151:                           ;   in Loop: Header=BB1744_64 Depth=2
	ds_read_u16 v21, v47 offset:3072
	v_mov_b32_e32 v22, v3
	v_mov_b32_e32 v99, s67
	s_waitcnt lgkmcnt(0)
	v_cmp_ne_u16_e64 s[46:47], s7, v21
	v_cndmask_b32_e64 v97, v65, v21, s[46:47]
	v_lshrrev_b32_sdwa v97, s62, v97 dst_sel:DWORD dst_unused:UNUSED_PAD src0_sel:DWORD src1_sel:WORD_0
	v_and_b32_e32 v97, s63, v97
	v_lshlrev_b32_e32 v97, 2, v97
	ds_read_b32 v97, v97
	v_cmp_gt_i16_e64 s[46:47], 0, v21
	v_cndmask_b32_e64 v103, v65, 0, s[46:47]
	v_xor_b32_e32 v103, v103, v21
	s_waitcnt lgkmcnt(0)
	v_add_u32_e32 v21, v97, v31
	v_lshlrev_b64 v[21:22], 1, v[21:22]
	v_add_co_u32_e64 v21, s[46:47], s66, v21
	v_addc_co_u32_e64 v22, s[46:47], v99, v22, s[46:47]
	global_store_short v[21:22], v103, off
	s_or_b64 exec, exec, s[48:49]
	v_cmp_lt_u32_e64 s[46:47], v32, v96
	s_and_saveexec_b64 s[50:51], s[46:47]
	s_cbranch_execz .LBB1744_116
.LBB1744_152:                           ;   in Loop: Header=BB1744_64 Depth=2
	ds_read_u16 v21, v47 offset:3584
	v_mov_b32_e32 v22, v3
	v_mov_b32_e32 v99, s67
	s_waitcnt lgkmcnt(0)
	v_cmp_ne_u16_e64 s[48:49], s7, v21
	v_cndmask_b32_e64 v97, v65, v21, s[48:49]
	v_lshrrev_b32_sdwa v97, s62, v97 dst_sel:DWORD dst_unused:UNUSED_PAD src0_sel:DWORD src1_sel:WORD_0
	v_and_b32_e32 v97, s63, v97
	v_lshlrev_b32_e32 v97, 2, v97
	ds_read_b32 v97, v97
	v_cmp_gt_i16_e64 s[48:49], 0, v21
	v_cndmask_b32_e64 v103, v65, 0, s[48:49]
	v_xor_b32_e32 v103, v103, v21
	s_waitcnt lgkmcnt(0)
	v_add_u32_e32 v21, v97, v32
	v_lshlrev_b64 v[21:22], 1, v[21:22]
	v_add_co_u32_e64 v21, s[48:49], s66, v21
	v_addc_co_u32_e64 v22, s[48:49], v99, v22, s[48:49]
	global_store_short v[21:22], v103, off
	s_or_b64 exec, exec, s[50:51]
	v_cmp_lt_u32_e64 s[48:49], v33, v96
	s_and_saveexec_b64 s[52:53], s[48:49]
	s_cbranch_execz .LBB1744_117
.LBB1744_153:                           ;   in Loop: Header=BB1744_64 Depth=2
	ds_read_u16 v21, v47 offset:4096
	v_mov_b32_e32 v22, v3
	v_mov_b32_e32 v99, s67
	s_waitcnt lgkmcnt(0)
	v_cmp_ne_u16_e64 s[50:51], s7, v21
	v_cndmask_b32_e64 v97, v65, v21, s[50:51]
	v_lshrrev_b32_sdwa v97, s62, v97 dst_sel:DWORD dst_unused:UNUSED_PAD src0_sel:DWORD src1_sel:WORD_0
	v_and_b32_e32 v97, s63, v97
	v_lshlrev_b32_e32 v97, 2, v97
	ds_read_b32 v97, v97
	v_cmp_gt_i16_e64 s[50:51], 0, v21
	v_cndmask_b32_e64 v103, v65, 0, s[50:51]
	v_xor_b32_e32 v103, v103, v21
	s_waitcnt lgkmcnt(0)
	v_add_u32_e32 v21, v97, v33
	v_lshlrev_b64 v[21:22], 1, v[21:22]
	v_add_co_u32_e64 v21, s[50:51], s66, v21
	v_addc_co_u32_e64 v22, s[50:51], v99, v22, s[50:51]
	global_store_short v[21:22], v103, off
	s_or_b64 exec, exec, s[52:53]
	v_cmp_lt_u32_e64 s[50:51], v34, v96
	s_and_saveexec_b64 s[60:61], s[50:51]
	s_cbranch_execnz .LBB1744_118
	s_branch .LBB1744_119
.LBB1744_154:                           ;   in Loop: Header=BB1744_64 Depth=2
	global_load_dwordx2 v[19:20], v[21:22], off
	s_or_b64 exec, exec, s[52:53]
	v_cmp_lt_u32_e64 s[52:53], v74, v96
	s_and_saveexec_b64 s[60:61], s[52:53]
	s_cbranch_execz .LBB1744_121
.LBB1744_155:                           ;   in Loop: Header=BB1744_64 Depth=2
	global_load_dwordx2 v[17:18], v[21:22], off offset:512
	s_or_b64 exec, exec, s[60:61]
	v_cmp_lt_u32_e64 s[52:53], v75, v96
	s_and_saveexec_b64 s[60:61], s[52:53]
	s_cbranch_execz .LBB1744_122
.LBB1744_156:                           ;   in Loop: Header=BB1744_64 Depth=2
	global_load_dwordx2 v[15:16], v[21:22], off offset:1024
	s_or_b64 exec, exec, s[60:61]
	v_cmp_lt_u32_e64 s[52:53], v76, v96
	s_and_saveexec_b64 s[60:61], s[52:53]
	s_cbranch_execz .LBB1744_123
.LBB1744_157:                           ;   in Loop: Header=BB1744_64 Depth=2
	global_load_dwordx2 v[13:14], v[21:22], off offset:1536
	s_or_b64 exec, exec, s[60:61]
	v_cmp_lt_u32_e64 s[52:53], v77, v96
	s_and_saveexec_b64 s[60:61], s[52:53]
	s_cbranch_execz .LBB1744_124
.LBB1744_158:                           ;   in Loop: Header=BB1744_64 Depth=2
	global_load_dwordx2 v[11:12], v[21:22], off offset:2048
	s_or_b64 exec, exec, s[60:61]
	v_cmp_lt_u32_e64 s[52:53], v78, v96
	s_and_saveexec_b64 s[60:61], s[52:53]
	s_cbranch_execz .LBB1744_125
.LBB1744_159:                           ;   in Loop: Header=BB1744_64 Depth=2
	global_load_dwordx2 v[9:10], v[21:22], off offset:2560
	s_or_b64 exec, exec, s[60:61]
	v_cmp_lt_u32_e64 s[52:53], v79, v96
	s_and_saveexec_b64 s[60:61], s[52:53]
	s_cbranch_execz .LBB1744_126
.LBB1744_160:                           ;   in Loop: Header=BB1744_64 Depth=2
	global_load_dwordx2 v[7:8], v[21:22], off offset:3072
	s_or_b64 exec, exec, s[60:61]
	v_cmp_lt_u32_e64 s[52:53], v80, v96
	s_and_saveexec_b64 s[60:61], s[52:53]
	s_cbranch_execz .LBB1744_127
.LBB1744_161:                           ;   in Loop: Header=BB1744_64 Depth=2
	global_load_dwordx2 v[5:6], v[21:22], off offset:3584
	s_or_b64 exec, exec, s[60:61]
	s_and_saveexec_b64 s[60:61], vcc
	s_cbranch_execz .LBB1744_128
.LBB1744_162:                           ;   in Loop: Header=BB1744_64 Depth=2
	ds_read_u16 v21, v47 offset:1024
	s_waitcnt lgkmcnt(0)
	v_cmp_ne_u16_e64 s[52:53], s7, v21
	v_cndmask_b32_e64 v21, v65, v21, s[52:53]
	v_lshrrev_b32_sdwa v21, s62, v21 dst_sel:DWORD dst_unused:UNUSED_PAD src0_sel:DWORD src1_sel:WORD_0
	v_and_b32_e32 v95, s63, v21
	s_or_b64 exec, exec, s[60:61]
	s_and_saveexec_b64 s[60:61], s[38:39]
	s_cbranch_execz .LBB1744_129
.LBB1744_163:                           ;   in Loop: Header=BB1744_64 Depth=2
	ds_read_u16 v21, v47 offset:1536
	s_waitcnt lgkmcnt(0)
	v_cmp_ne_u16_e64 s[52:53], s7, v21
	v_cndmask_b32_e64 v21, v65, v21, s[52:53]
	v_lshrrev_b32_sdwa v21, s62, v21 dst_sel:DWORD dst_unused:UNUSED_PAD src0_sel:DWORD src1_sel:WORD_0
	v_and_b32_e32 v94, s63, v21
	s_or_b64 exec, exec, s[60:61]
	s_and_saveexec_b64 s[60:61], s[40:41]
	s_cbranch_execz .LBB1744_130
.LBB1744_164:                           ;   in Loop: Header=BB1744_64 Depth=2
	ds_read_u16 v21, v47 offset:2048
	s_waitcnt lgkmcnt(0)
	v_cmp_ne_u16_e64 s[52:53], s7, v21
	v_cndmask_b32_e64 v21, v65, v21, s[52:53]
	v_lshrrev_b32_sdwa v21, s62, v21 dst_sel:DWORD dst_unused:UNUSED_PAD src0_sel:DWORD src1_sel:WORD_0
	v_and_b32_e32 v93, s63, v21
	s_or_b64 exec, exec, s[60:61]
	s_and_saveexec_b64 s[60:61], s[42:43]
	s_cbranch_execz .LBB1744_131
.LBB1744_165:                           ;   in Loop: Header=BB1744_64 Depth=2
	ds_read_u16 v21, v47 offset:2560
	s_waitcnt lgkmcnt(0)
	v_cmp_ne_u16_e64 s[52:53], s7, v21
	v_cndmask_b32_e64 v21, v65, v21, s[52:53]
	v_lshrrev_b32_sdwa v21, s62, v21 dst_sel:DWORD dst_unused:UNUSED_PAD src0_sel:DWORD src1_sel:WORD_0
	v_and_b32_e32 v92, s63, v21
	s_or_b64 exec, exec, s[60:61]
	s_and_saveexec_b64 s[60:61], s[44:45]
	s_cbranch_execz .LBB1744_132
.LBB1744_166:                           ;   in Loop: Header=BB1744_64 Depth=2
	ds_read_u16 v21, v47 offset:3072
	s_waitcnt lgkmcnt(0)
	v_cmp_ne_u16_e64 s[52:53], s7, v21
	v_cndmask_b32_e64 v21, v65, v21, s[52:53]
	v_lshrrev_b32_sdwa v21, s62, v21 dst_sel:DWORD dst_unused:UNUSED_PAD src0_sel:DWORD src1_sel:WORD_0
	v_and_b32_e32 v90, s63, v21
	s_or_b64 exec, exec, s[60:61]
	s_and_saveexec_b64 s[60:61], s[46:47]
	s_cbranch_execz .LBB1744_133
.LBB1744_167:                           ;   in Loop: Header=BB1744_64 Depth=2
	ds_read_u16 v21, v47 offset:3584
	s_waitcnt lgkmcnt(0)
	v_cmp_ne_u16_e64 s[52:53], s7, v21
	v_cndmask_b32_e64 v21, v65, v21, s[52:53]
	v_lshrrev_b32_sdwa v21, s62, v21 dst_sel:DWORD dst_unused:UNUSED_PAD src0_sel:DWORD src1_sel:WORD_0
	v_and_b32_e32 v89, s63, v21
	s_or_b64 exec, exec, s[60:61]
	s_and_saveexec_b64 s[60:61], s[48:49]
	s_cbranch_execz .LBB1744_134
.LBB1744_168:                           ;   in Loop: Header=BB1744_64 Depth=2
	ds_read_u16 v21, v47 offset:4096
	s_waitcnt lgkmcnt(0)
	v_cmp_ne_u16_e64 s[52:53], s7, v21
	v_cndmask_b32_e64 v21, v65, v21, s[52:53]
	v_lshrrev_b32_sdwa v21, s62, v21 dst_sel:DWORD dst_unused:UNUSED_PAD src0_sel:DWORD src1_sel:WORD_0
	v_and_b32_e32 v88, s63, v21
	s_or_b64 exec, exec, s[60:61]
	s_and_saveexec_b64 s[60:61], s[50:51]
	s_cbranch_execnz .LBB1744_135
	s_branch .LBB1744_136
.LBB1744_169:                           ;   in Loop: Header=BB1744_64 Depth=2
	v_lshlrev_b32_e32 v21, 2, v95
	ds_read_b32 v23, v21
	v_add_u32_e32 v21, v47, v48
	ds_read_b64 v[21:22], v21 offset:1024
	v_mov_b32_e32 v24, v3
	v_mov_b32_e32 v96, s73
	s_waitcnt lgkmcnt(1)
	v_add_u32_e32 v23, v23, v0
	v_lshlrev_b64 v[23:24], 3, v[23:24]
	v_add_co_u32_e32 v23, vcc, s72, v23
	v_addc_co_u32_e32 v24, vcc, v96, v24, vcc
	s_waitcnt lgkmcnt(0)
	global_store_dwordx2 v[23:24], v[21:22], off
	s_or_b64 exec, exec, s[52:53]
	s_and_saveexec_b64 s[52:53], s[38:39]
	s_cbranch_execz .LBB1744_138
.LBB1744_170:                           ;   in Loop: Header=BB1744_64 Depth=2
	v_lshlrev_b32_e32 v21, 2, v94
	ds_read_b32 v23, v21
	v_add_u32_e32 v21, v47, v48
	ds_read_b64 v[21:22], v21 offset:3072
	v_mov_b32_e32 v24, v3
	v_mov_b32_e32 v96, s73
	s_waitcnt lgkmcnt(1)
	v_add_u32_e32 v23, v23, v26
	v_lshlrev_b64 v[23:24], 3, v[23:24]
	v_add_co_u32_e32 v23, vcc, s72, v23
	v_addc_co_u32_e32 v24, vcc, v96, v24, vcc
	s_waitcnt lgkmcnt(0)
	global_store_dwordx2 v[23:24], v[21:22], off
	s_or_b64 exec, exec, s[52:53]
	s_and_saveexec_b64 s[38:39], s[40:41]
	s_cbranch_execz .LBB1744_139
.LBB1744_171:                           ;   in Loop: Header=BB1744_64 Depth=2
	v_lshlrev_b32_e32 v21, 2, v93
	ds_read_b32 v23, v21
	v_add_u32_e32 v21, v47, v48
	ds_read_b64 v[21:22], v21 offset:5120
	v_mov_b32_e32 v24, v3
	v_mov_b32_e32 v96, s73
	s_waitcnt lgkmcnt(1)
	v_add_u32_e32 v23, v23, v27
	v_lshlrev_b64 v[23:24], 3, v[23:24]
	v_add_co_u32_e32 v23, vcc, s72, v23
	v_addc_co_u32_e32 v24, vcc, v96, v24, vcc
	s_waitcnt lgkmcnt(0)
	global_store_dwordx2 v[23:24], v[21:22], off
	s_or_b64 exec, exec, s[38:39]
	s_and_saveexec_b64 s[38:39], s[42:43]
	s_cbranch_execz .LBB1744_140
.LBB1744_172:                           ;   in Loop: Header=BB1744_64 Depth=2
	v_lshlrev_b32_e32 v21, 2, v92
	ds_read_b32 v23, v21
	v_add_u32_e32 v21, v47, v48
	ds_read_b64 v[21:22], v21 offset:7168
	v_mov_b32_e32 v24, v3
	v_mov_b32_e32 v96, s73
	s_waitcnt lgkmcnt(1)
	v_add_u32_e32 v23, v23, v28
	v_lshlrev_b64 v[23:24], 3, v[23:24]
	v_add_co_u32_e32 v23, vcc, s72, v23
	v_addc_co_u32_e32 v24, vcc, v96, v24, vcc
	s_waitcnt lgkmcnt(0)
	global_store_dwordx2 v[23:24], v[21:22], off
	s_or_b64 exec, exec, s[38:39]
	s_and_saveexec_b64 s[38:39], s[44:45]
	s_cbranch_execz .LBB1744_141
.LBB1744_173:                           ;   in Loop: Header=BB1744_64 Depth=2
	v_lshlrev_b32_e32 v21, 2, v90
	ds_read_b32 v23, v21
	v_add_u32_e32 v21, v47, v48
	ds_read_b64 v[21:22], v21 offset:9216
	v_mov_b32_e32 v24, v3
	v_mov_b32_e32 v96, s73
	s_waitcnt lgkmcnt(1)
	v_add_u32_e32 v23, v23, v31
	v_lshlrev_b64 v[23:24], 3, v[23:24]
	v_add_co_u32_e32 v23, vcc, s72, v23
	v_addc_co_u32_e32 v24, vcc, v96, v24, vcc
	s_waitcnt lgkmcnt(0)
	global_store_dwordx2 v[23:24], v[21:22], off
	s_or_b64 exec, exec, s[38:39]
	s_and_saveexec_b64 s[38:39], s[46:47]
	s_cbranch_execz .LBB1744_142
.LBB1744_174:                           ;   in Loop: Header=BB1744_64 Depth=2
	v_lshlrev_b32_e32 v21, 2, v89
	ds_read_b32 v23, v21
	v_add_u32_e32 v21, v47, v48
	ds_read_b64 v[21:22], v21 offset:11264
	v_mov_b32_e32 v24, v3
	v_mov_b32_e32 v96, s73
	s_waitcnt lgkmcnt(1)
	v_add_u32_e32 v23, v23, v32
	v_lshlrev_b64 v[23:24], 3, v[23:24]
	v_add_co_u32_e32 v23, vcc, s72, v23
	v_addc_co_u32_e32 v24, vcc, v96, v24, vcc
	s_waitcnt lgkmcnt(0)
	global_store_dwordx2 v[23:24], v[21:22], off
	s_or_b64 exec, exec, s[38:39]
	s_and_saveexec_b64 s[38:39], s[48:49]
	s_cbranch_execz .LBB1744_143
.LBB1744_175:                           ;   in Loop: Header=BB1744_64 Depth=2
	v_lshlrev_b32_e32 v21, 2, v88
	ds_read_b32 v23, v21
	v_add_u32_e32 v21, v47, v48
	ds_read_b64 v[21:22], v21 offset:13312
	v_mov_b32_e32 v24, v3
	v_mov_b32_e32 v96, s73
	s_waitcnt lgkmcnt(1)
	v_add_u32_e32 v23, v23, v33
	v_lshlrev_b64 v[23:24], 3, v[23:24]
	v_add_co_u32_e32 v23, vcc, s72, v23
	v_addc_co_u32_e32 v24, vcc, v96, v24, vcc
	s_waitcnt lgkmcnt(0)
	global_store_dwordx2 v[23:24], v[21:22], off
	s_or_b64 exec, exec, s[38:39]
	s_and_saveexec_b64 s[38:39], s[50:51]
	s_cbranch_execnz .LBB1744_144
	s_branch .LBB1744_145
.LBB1744_176:                           ;   in Loop: Header=BB1744_12 Depth=1
	s_waitcnt lgkmcnt(0)
	s_barrier
	s_mov_b64 s[18:19], 0
.LBB1744_177:                           ;   in Loop: Header=BB1744_12 Depth=1
	s_and_b64 vcc, exec, s[18:19]
	s_cbranch_vccz .LBB1744_341
; %bb.178:                              ;   in Loop: Header=BB1744_12 Depth=1
	s_mov_b32 s22, s79
	s_mov_b32 s58, s80
	s_barrier
                                        ; implicit-def: $vgpr4
                                        ; implicit-def: $vgpr5
                                        ; implicit-def: $vgpr6
                                        ; implicit-def: $vgpr7
                                        ; implicit-def: $vgpr8
                                        ; implicit-def: $vgpr9
                                        ; implicit-def: $vgpr10
                                        ; implicit-def: $vgpr11
	s_branch .LBB1744_180
.LBB1744_179:                           ;   in Loop: Header=BB1744_180 Depth=2
	s_or_b64 exec, exec, s[18:19]
	s_addk_i32 s22, 0xf800
	s_cmp_ge_u32 s23, s81
	s_mov_b32 s58, s23
	s_cbranch_scc1 .LBB1744_216
.LBB1744_180:                           ;   Parent Loop BB1744_12 Depth=1
                                        ; =>  This Inner Loop Header: Depth=2
	s_add_i32 s23, s58, 0x800
	s_cmp_gt_u32 s23, s81
	s_mov_b64 s[18:19], -1
                                        ; implicit-def: $vgpr12
                                        ; implicit-def: $vgpr13
                                        ; implicit-def: $vgpr14
                                        ; implicit-def: $vgpr15
                                        ; implicit-def: $vgpr16
                                        ; implicit-def: $vgpr17
                                        ; implicit-def: $vgpr18
                                        ; implicit-def: $vgpr19
	s_cbranch_scc1 .LBB1744_182
; %bb.181:                              ;   in Loop: Header=BB1744_180 Depth=2
	s_lshl_b64 s[18:19], s[58:59], 1
	v_mov_b32_e32 v12, s19
	v_add_co_u32_e32 v20, vcc, s18, v49
	v_addc_co_u32_e32 v21, vcc, v50, v12, vcc
	global_load_ushort v12, v[20:21], off
	global_load_ushort v13, v[20:21], off offset:512
	global_load_ushort v14, v[20:21], off offset:1024
	;; [unrolled: 1-line block ×7, first 2 shown]
	s_mov_b64 s[18:19], 0
.LBB1744_182:                           ;   in Loop: Header=BB1744_180 Depth=2
	s_andn2_b64 vcc, exec, s[18:19]
	s_movk_i32 s20, 0x800
	s_cbranch_vccnz .LBB1744_193
; %bb.183:                              ;   in Loop: Header=BB1744_180 Depth=2
	s_lshl_b64 s[18:19], s[58:59], 1
	s_add_u32 s18, s66, s18
	s_addc_u32 s19, s67, s19
	v_cmp_gt_u32_e32 vcc, s22, v0
	s_and_saveexec_b64 s[20:21], vcc
	s_cbranch_execnz .LBB1744_209
; %bb.184:                              ;   in Loop: Header=BB1744_180 Depth=2
	s_or_b64 exec, exec, s[20:21]
	v_cmp_gt_u32_e32 vcc, s22, v26
	s_and_saveexec_b64 s[20:21], vcc
	s_cbranch_execnz .LBB1744_210
.LBB1744_185:                           ;   in Loop: Header=BB1744_180 Depth=2
	s_or_b64 exec, exec, s[20:21]
	v_cmp_gt_u32_e32 vcc, s22, v27
	s_and_saveexec_b64 s[20:21], vcc
	s_cbranch_execnz .LBB1744_211
.LBB1744_186:                           ;   in Loop: Header=BB1744_180 Depth=2
	s_or_b64 exec, exec, s[20:21]
	v_cmp_gt_u32_e32 vcc, s22, v28
	s_and_saveexec_b64 s[20:21], vcc
	s_cbranch_execnz .LBB1744_212
.LBB1744_187:                           ;   in Loop: Header=BB1744_180 Depth=2
	s_or_b64 exec, exec, s[20:21]
	v_cmp_gt_u32_e32 vcc, s22, v31
	s_and_saveexec_b64 s[20:21], vcc
	s_cbranch_execnz .LBB1744_213
.LBB1744_188:                           ;   in Loop: Header=BB1744_180 Depth=2
	s_or_b64 exec, exec, s[20:21]
	v_cmp_gt_u32_e32 vcc, s22, v32
	s_and_saveexec_b64 s[20:21], vcc
	s_cbranch_execnz .LBB1744_214
.LBB1744_189:                           ;   in Loop: Header=BB1744_180 Depth=2
	s_or_b64 exec, exec, s[20:21]
	v_cmp_gt_u32_e32 vcc, s22, v33
	s_and_saveexec_b64 s[20:21], vcc
	s_cbranch_execnz .LBB1744_215
.LBB1744_190:                           ;   in Loop: Header=BB1744_180 Depth=2
	s_or_b64 exec, exec, s[20:21]
	v_cmp_gt_u32_e32 vcc, s22, v34
	s_and_saveexec_b64 s[20:21], vcc
	s_cbranch_execz .LBB1744_192
.LBB1744_191:                           ;   in Loop: Header=BB1744_180 Depth=2
	global_load_ushort v4, v64, s[18:19] offset:3584
.LBB1744_192:                           ;   in Loop: Header=BB1744_180 Depth=2
	s_or_b64 exec, exec, s[20:21]
	s_mov_b32 s20, s22
	s_waitcnt vmcnt(0)
	v_mov_b32_e32 v12, v11
	v_mov_b32_e32 v13, v10
	v_mov_b32_e32 v14, v9
	v_mov_b32_e32 v15, v8
	v_mov_b32_e32 v16, v7
	v_mov_b32_e32 v17, v6
	v_mov_b32_e32 v18, v5
	v_mov_b32_e32 v19, v4
.LBB1744_193:                           ;   in Loop: Header=BB1744_180 Depth=2
	s_waitcnt vmcnt(0)
	v_mov_b32_e32 v4, v19
	v_mov_b32_e32 v5, v18
	;; [unrolled: 1-line block ×8, first 2 shown]
	v_cmp_gt_u32_e32 vcc, s20, v0
	s_and_saveexec_b64 s[18:19], vcc
	s_cbranch_execnz .LBB1744_201
; %bb.194:                              ;   in Loop: Header=BB1744_180 Depth=2
	s_or_b64 exec, exec, s[18:19]
	v_cmp_gt_u32_e32 vcc, s20, v26
	s_and_saveexec_b64 s[18:19], vcc
	s_cbranch_execnz .LBB1744_202
.LBB1744_195:                           ;   in Loop: Header=BB1744_180 Depth=2
	s_or_b64 exec, exec, s[18:19]
	v_cmp_gt_u32_e32 vcc, s20, v27
	s_and_saveexec_b64 s[18:19], vcc
	s_cbranch_execnz .LBB1744_203
.LBB1744_196:                           ;   in Loop: Header=BB1744_180 Depth=2
	s_or_b64 exec, exec, s[18:19]
	v_cmp_gt_u32_e32 vcc, s20, v28
	s_and_saveexec_b64 s[18:19], vcc
	s_cbranch_execnz .LBB1744_204
.LBB1744_197:                           ;   in Loop: Header=BB1744_180 Depth=2
	s_or_b64 exec, exec, s[18:19]
	v_cmp_gt_u32_e32 vcc, s20, v31
	s_and_saveexec_b64 s[18:19], vcc
	s_cbranch_execnz .LBB1744_205
.LBB1744_198:                           ;   in Loop: Header=BB1744_180 Depth=2
	s_or_b64 exec, exec, s[18:19]
	v_cmp_gt_u32_e32 vcc, s20, v32
	s_and_saveexec_b64 s[18:19], vcc
	s_cbranch_execnz .LBB1744_206
.LBB1744_199:                           ;   in Loop: Header=BB1744_180 Depth=2
	s_or_b64 exec, exec, s[18:19]
	v_cmp_gt_u32_e32 vcc, s20, v33
	s_and_saveexec_b64 s[18:19], vcc
	s_cbranch_execnz .LBB1744_207
.LBB1744_200:                           ;   in Loop: Header=BB1744_180 Depth=2
	s_or_b64 exec, exec, s[18:19]
	v_cmp_gt_u32_e32 vcc, s20, v34
	s_and_saveexec_b64 s[18:19], vcc
	s_cbranch_execz .LBB1744_179
	s_branch .LBB1744_208
.LBB1744_201:                           ;   in Loop: Header=BB1744_180 Depth=2
	v_cmp_gt_i16_e32 vcc, 0, v11
	v_cndmask_b32_e64 v12, v65, 0, vcc
	v_xor_b32_e32 v12, v12, v11
	v_cmp_ne_u16_e32 vcc, s7, v12
	v_cndmask_b32_e32 v12, v65, v12, vcc
	v_lshrrev_b32_sdwa v12, s62, v12 dst_sel:DWORD dst_unused:UNUSED_PAD src0_sel:DWORD src1_sel:WORD_0
	v_and_b32_e32 v12, s63, v12
	v_lshl_or_b32 v12, v12, 4, v35
	ds_add_u32 v12, v61
	s_or_b64 exec, exec, s[18:19]
	v_cmp_gt_u32_e32 vcc, s20, v26
	s_and_saveexec_b64 s[18:19], vcc
	s_cbranch_execz .LBB1744_195
.LBB1744_202:                           ;   in Loop: Header=BB1744_180 Depth=2
	v_cmp_gt_i16_e32 vcc, 0, v10
	v_cndmask_b32_e64 v12, v65, 0, vcc
	v_xor_b32_e32 v12, v12, v10
	v_cmp_ne_u16_e32 vcc, s7, v12
	v_cndmask_b32_e32 v12, v65, v12, vcc
	v_lshrrev_b32_sdwa v12, s62, v12 dst_sel:DWORD dst_unused:UNUSED_PAD src0_sel:DWORD src1_sel:WORD_0
	v_and_b32_e32 v12, s63, v12
	v_lshl_or_b32 v12, v12, 4, v35
	ds_add_u32 v12, v61
	s_or_b64 exec, exec, s[18:19]
	v_cmp_gt_u32_e32 vcc, s20, v27
	s_and_saveexec_b64 s[18:19], vcc
	s_cbranch_execz .LBB1744_196
.LBB1744_203:                           ;   in Loop: Header=BB1744_180 Depth=2
	v_cmp_gt_i16_e32 vcc, 0, v9
	v_cndmask_b32_e64 v12, v65, 0, vcc
	v_xor_b32_e32 v12, v12, v9
	v_cmp_ne_u16_e32 vcc, s7, v12
	v_cndmask_b32_e32 v12, v65, v12, vcc
	v_lshrrev_b32_sdwa v12, s62, v12 dst_sel:DWORD dst_unused:UNUSED_PAD src0_sel:DWORD src1_sel:WORD_0
	v_and_b32_e32 v12, s63, v12
	v_lshl_or_b32 v12, v12, 4, v35
	ds_add_u32 v12, v61
	s_or_b64 exec, exec, s[18:19]
	v_cmp_gt_u32_e32 vcc, s20, v28
	s_and_saveexec_b64 s[18:19], vcc
	s_cbranch_execz .LBB1744_197
.LBB1744_204:                           ;   in Loop: Header=BB1744_180 Depth=2
	v_cmp_gt_i16_e32 vcc, 0, v8
	v_cndmask_b32_e64 v12, v65, 0, vcc
	v_xor_b32_e32 v12, v12, v8
	v_cmp_ne_u16_e32 vcc, s7, v12
	v_cndmask_b32_e32 v12, v65, v12, vcc
	v_lshrrev_b32_sdwa v12, s62, v12 dst_sel:DWORD dst_unused:UNUSED_PAD src0_sel:DWORD src1_sel:WORD_0
	v_and_b32_e32 v12, s63, v12
	v_lshl_or_b32 v12, v12, 4, v35
	ds_add_u32 v12, v61
	s_or_b64 exec, exec, s[18:19]
	v_cmp_gt_u32_e32 vcc, s20, v31
	s_and_saveexec_b64 s[18:19], vcc
	s_cbranch_execz .LBB1744_198
.LBB1744_205:                           ;   in Loop: Header=BB1744_180 Depth=2
	v_cmp_gt_i16_e32 vcc, 0, v7
	v_cndmask_b32_e64 v12, v65, 0, vcc
	v_xor_b32_e32 v12, v12, v7
	v_cmp_ne_u16_e32 vcc, s7, v12
	v_cndmask_b32_e32 v12, v65, v12, vcc
	v_lshrrev_b32_sdwa v12, s62, v12 dst_sel:DWORD dst_unused:UNUSED_PAD src0_sel:DWORD src1_sel:WORD_0
	v_and_b32_e32 v12, s63, v12
	v_lshl_or_b32 v12, v12, 4, v35
	ds_add_u32 v12, v61
	s_or_b64 exec, exec, s[18:19]
	v_cmp_gt_u32_e32 vcc, s20, v32
	s_and_saveexec_b64 s[18:19], vcc
	s_cbranch_execz .LBB1744_199
.LBB1744_206:                           ;   in Loop: Header=BB1744_180 Depth=2
	v_cmp_gt_i16_e32 vcc, 0, v6
	v_cndmask_b32_e64 v12, v65, 0, vcc
	v_xor_b32_e32 v12, v12, v6
	v_cmp_ne_u16_e32 vcc, s7, v12
	v_cndmask_b32_e32 v12, v65, v12, vcc
	v_lshrrev_b32_sdwa v12, s62, v12 dst_sel:DWORD dst_unused:UNUSED_PAD src0_sel:DWORD src1_sel:WORD_0
	v_and_b32_e32 v12, s63, v12
	v_lshl_or_b32 v12, v12, 4, v35
	ds_add_u32 v12, v61
	s_or_b64 exec, exec, s[18:19]
	v_cmp_gt_u32_e32 vcc, s20, v33
	s_and_saveexec_b64 s[18:19], vcc
	s_cbranch_execz .LBB1744_200
.LBB1744_207:                           ;   in Loop: Header=BB1744_180 Depth=2
	v_cmp_gt_i16_e32 vcc, 0, v5
	v_cndmask_b32_e64 v12, v65, 0, vcc
	v_xor_b32_e32 v12, v12, v5
	v_cmp_ne_u16_e32 vcc, s7, v12
	v_cndmask_b32_e32 v12, v65, v12, vcc
	v_lshrrev_b32_sdwa v12, s62, v12 dst_sel:DWORD dst_unused:UNUSED_PAD src0_sel:DWORD src1_sel:WORD_0
	v_and_b32_e32 v12, s63, v12
	v_lshl_or_b32 v12, v12, 4, v35
	ds_add_u32 v12, v61
	s_or_b64 exec, exec, s[18:19]
	v_cmp_gt_u32_e32 vcc, s20, v34
	s_and_saveexec_b64 s[18:19], vcc
	s_cbranch_execz .LBB1744_179
.LBB1744_208:                           ;   in Loop: Header=BB1744_180 Depth=2
	v_cmp_gt_i16_e32 vcc, 0, v4
	v_cndmask_b32_e64 v12, v65, 0, vcc
	v_xor_b32_e32 v12, v12, v4
	v_cmp_ne_u16_e32 vcc, s7, v12
	v_cndmask_b32_e32 v12, v65, v12, vcc
	v_lshrrev_b32_sdwa v12, s62, v12 dst_sel:DWORD dst_unused:UNUSED_PAD src0_sel:DWORD src1_sel:WORD_0
	v_and_b32_e32 v12, s63, v12
	v_lshl_or_b32 v12, v12, 4, v35
	ds_add_u32 v12, v61
	s_branch .LBB1744_179
.LBB1744_209:                           ;   in Loop: Header=BB1744_180 Depth=2
	global_load_ushort v11, v64, s[18:19]
	s_or_b64 exec, exec, s[20:21]
	v_cmp_gt_u32_e32 vcc, s22, v26
	s_and_saveexec_b64 s[20:21], vcc
	s_cbranch_execz .LBB1744_185
.LBB1744_210:                           ;   in Loop: Header=BB1744_180 Depth=2
	global_load_ushort v10, v64, s[18:19] offset:512
	s_or_b64 exec, exec, s[20:21]
	v_cmp_gt_u32_e32 vcc, s22, v27
	s_and_saveexec_b64 s[20:21], vcc
	s_cbranch_execz .LBB1744_186
.LBB1744_211:                           ;   in Loop: Header=BB1744_180 Depth=2
	global_load_ushort v9, v64, s[18:19] offset:1024
	s_or_b64 exec, exec, s[20:21]
	v_cmp_gt_u32_e32 vcc, s22, v28
	s_and_saveexec_b64 s[20:21], vcc
	s_cbranch_execz .LBB1744_187
.LBB1744_212:                           ;   in Loop: Header=BB1744_180 Depth=2
	global_load_ushort v8, v64, s[18:19] offset:1536
	s_or_b64 exec, exec, s[20:21]
	v_cmp_gt_u32_e32 vcc, s22, v31
	s_and_saveexec_b64 s[20:21], vcc
	s_cbranch_execz .LBB1744_188
.LBB1744_213:                           ;   in Loop: Header=BB1744_180 Depth=2
	global_load_ushort v7, v64, s[18:19] offset:2048
	s_or_b64 exec, exec, s[20:21]
	v_cmp_gt_u32_e32 vcc, s22, v32
	s_and_saveexec_b64 s[20:21], vcc
	s_cbranch_execz .LBB1744_189
.LBB1744_214:                           ;   in Loop: Header=BB1744_180 Depth=2
	global_load_ushort v6, v64, s[18:19] offset:2560
	s_or_b64 exec, exec, s[20:21]
	v_cmp_gt_u32_e32 vcc, s22, v33
	s_and_saveexec_b64 s[20:21], vcc
	s_cbranch_execz .LBB1744_190
.LBB1744_215:                           ;   in Loop: Header=BB1744_180 Depth=2
	global_load_ushort v5, v64, s[18:19] offset:3072
	s_or_b64 exec, exec, s[20:21]
	v_cmp_gt_u32_e32 vcc, s22, v34
	s_and_saveexec_b64 s[20:21], vcc
	s_cbranch_execnz .LBB1744_191
	s_branch .LBB1744_192
.LBB1744_216:                           ;   in Loop: Header=BB1744_12 Depth=1
	v_mov_b32_e32 v4, 0
	s_waitcnt lgkmcnt(0)
	s_barrier
	s_and_saveexec_b64 s[18:19], s[4:5]
	s_cbranch_execz .LBB1744_218
; %bb.217:                              ;   in Loop: Header=BB1744_12 Depth=1
	ds_read2_b64 v[4:7], v36 offset1:1
	s_waitcnt lgkmcnt(0)
	v_add_u32_e32 v4, v5, v4
	v_add3_u32 v4, v4, v6, v7
.LBB1744_218:                           ;   in Loop: Header=BB1744_12 Depth=1
	s_or_b64 exec, exec, s[18:19]
	s_nop 0
	v_mov_b32_dpp v5, v4 row_shr:1 row_mask:0xf bank_mask:0xf
	v_cmp_eq_u32_e64 s[18:19], 0, v67
	v_cndmask_b32_e64 v5, v5, 0, s[18:19]
	v_add_u32_e32 v4, v5, v4
	v_cmp_lt_u32_e64 s[20:21], 1, v67
	v_cmp_lt_u32_e64 s[22:23], 3, v67
	v_mov_b32_dpp v5, v4 row_shr:2 row_mask:0xf bank_mask:0xf
	v_cndmask_b32_e64 v5, 0, v5, s[20:21]
	v_add_u32_e32 v4, v4, v5
	v_cmp_lt_u32_e64 s[24:25], 7, v67
	v_cmp_lt_u32_e64 s[28:29], 31, v66
	v_mov_b32_dpp v5, v4 row_shr:4 row_mask:0xf bank_mask:0xf
	v_cndmask_b32_e64 v5, 0, v5, s[22:23]
	v_add_u32_e32 v4, v4, v5
	v_cmp_eq_u32_e64 s[26:27], 0, v69
	s_nop 0
	v_mov_b32_dpp v5, v4 row_shr:8 row_mask:0xf bank_mask:0xf
	v_cndmask_b32_e64 v5, 0, v5, s[24:25]
	v_add_u32_e32 v4, v4, v5
	s_nop 1
	v_mov_b32_dpp v5, v4 row_bcast:15 row_mask:0xf bank_mask:0xf
	v_and_b32_e32 v5, v68, v5
	v_add_u32_e32 v4, v4, v5
	s_nop 1
	v_mov_b32_dpp v5, v4 row_bcast:31 row_mask:0xf bank_mask:0xf
	v_cndmask_b32_e64 v5, 0, v5, s[28:29]
	v_add_u32_e32 v4, v4, v5
	s_and_saveexec_b64 s[30:31], s[8:9]
; %bb.219:                              ;   in Loop: Header=BB1744_12 Depth=1
	ds_write_b32 v38, v4
; %bb.220:                              ;   in Loop: Header=BB1744_12 Depth=1
	s_or_b64 exec, exec, s[30:31]
	s_waitcnt lgkmcnt(0)
	s_barrier
	s_and_saveexec_b64 s[30:31], s[10:11]
	s_cbranch_execz .LBB1744_222
; %bb.221:                              ;   in Loop: Header=BB1744_12 Depth=1
	ds_read_b32 v5, v39
	v_cmp_ne_u32_e32 vcc, 0, v70
	s_waitcnt lgkmcnt(0)
	v_mov_b32_dpp v6, v5 row_shr:1 row_mask:0xf bank_mask:0xf
	v_cndmask_b32_e32 v6, 0, v6, vcc
	v_add_u32_e32 v5, v6, v5
	v_cmp_lt_u32_e32 vcc, 1, v70
	s_nop 0
	v_mov_b32_dpp v6, v5 row_shr:2 row_mask:0xf bank_mask:0xf
	v_cndmask_b32_e32 v6, 0, v6, vcc
	v_add_u32_e32 v5, v5, v6
	ds_write_b32 v39, v5
.LBB1744_222:                           ;   in Loop: Header=BB1744_12 Depth=1
	s_or_b64 exec, exec, s[30:31]
	v_mov_b32_e32 v5, 0
	s_waitcnt lgkmcnt(0)
	s_barrier
	s_and_saveexec_b64 s[30:31], s[12:13]
; %bb.223:                              ;   in Loop: Header=BB1744_12 Depth=1
	ds_read_b32 v5, v40
; %bb.224:                              ;   in Loop: Header=BB1744_12 Depth=1
	s_or_b64 exec, exec, s[30:31]
	v_subrev_co_u32_e64 v6, s[30:31], 1, v66
	v_cmp_lt_i32_e32 vcc, v6, v71
	v_cndmask_b32_e32 v6, v6, v66, vcc
	s_waitcnt lgkmcnt(0)
	v_add_u32_e32 v4, v5, v4
	v_lshlrev_b32_e32 v82, 2, v6
	ds_bpermute_b32 v4, v82, v4
	s_waitcnt lgkmcnt(0)
	s_barrier
	s_and_saveexec_b64 s[34:35], s[4:5]
; %bb.225:                              ;   in Loop: Header=BB1744_12 Depth=1
	v_cndmask_b32_e64 v4, v4, v5, s[30:31]
	v_add_u32_e32 v4, s80, v4
	ds_write_b32 v25, v4
; %bb.226:                              ;   in Loop: Header=BB1744_12 Depth=1
	s_or_b64 exec, exec, s[34:35]
	s_load_dwordx2 s[34:35], s[56:57], 0x0
	v_add_co_u32_e32 v83, vcc, v51, v72
	v_addc_co_u32_e32 v84, vcc, 0, v52, vcc
	s_waitcnt lgkmcnt(0)
	s_cmp_lt_u32 s33, s35
	s_cselect_b32 s35, 14, 20
	s_add_u32 s36, s56, s35
	s_addc_u32 s37, s57, 0
	s_cmp_lt_u32 s6, s34
	s_cselect_b32 s34, 12, 18
	s_add_u32 s34, s56, s34
	global_load_ushort v4, v3, s[36:37]
	s_addc_u32 s35, s57, 0
	global_load_ushort v5, v3, s[34:35]
	v_add_co_u32_e32 v85, vcc, v53, v81
	v_cmp_eq_u32_e64 s[34:35], 0, v70
	v_cmp_lt_u32_e64 s[36:37], 1, v70
	v_addc_co_u32_e32 v86, vcc, 0, v54, vcc
	s_mov_b32 s70, s79
	s_mov_b32 s58, s80
                                        ; implicit-def: $vgpr7_vgpr8
                                        ; implicit-def: $vgpr9_vgpr10
                                        ; implicit-def: $vgpr11_vgpr12
                                        ; implicit-def: $vgpr13_vgpr14
                                        ; implicit-def: $vgpr15_vgpr16
                                        ; implicit-def: $vgpr17_vgpr18
                                        ; implicit-def: $vgpr19_vgpr20
                                        ; implicit-def: $vgpr87
                                        ; implicit-def: $vgpr88
                                        ; implicit-def: $vgpr89
                                        ; implicit-def: $vgpr90
                                        ; implicit-def: $vgpr92
                                        ; implicit-def: $vgpr93
                                        ; implicit-def: $vgpr94
                                        ; implicit-def: $vgpr95
	s_waitcnt vmcnt(1)
	v_mad_u32_u24 v4, v2, v4, v1
	s_waitcnt vmcnt(0)
	v_mad_u64_u32 v[4:5], s[38:39], v4, v5, v[0:1]
                                        ; implicit-def: $vgpr5_vgpr6
	v_lshrrev_b32_e32 v4, 4, v4
	v_and_b32_e32 v91, 0xffffffc, v4
	s_branch .LBB1744_228
.LBB1744_227:                           ;   in Loop: Header=BB1744_228 Depth=2
	s_or_b64 exec, exec, s[38:39]
	s_addk_i32 s70, 0xf800
	s_cmp_lt_u32 s71, s81
	s_mov_b32 s58, s71
	s_cbranch_scc0 .LBB1744_340
.LBB1744_228:                           ;   Parent Loop BB1744_12 Depth=1
                                        ; =>  This Inner Loop Header: Depth=2
	s_add_i32 s71, s58, 0x800
	s_cmp_gt_u32 s71, s81
	s_cbranch_scc1 .LBB1744_230
; %bb.229:                              ;   in Loop: Header=BB1744_228 Depth=2
	s_lshl_b64 s[38:39], s[58:59], 1
	v_mov_b32_e32 v4, s39
	v_add_co_u32_e32 v21, vcc, s38, v85
	v_addc_co_u32_e32 v22, vcc, v86, v4, vcc
	global_load_ushort v4, v[21:22], off
	global_load_ushort v99, v[21:22], off offset:128
	global_load_ushort v103, v[21:22], off offset:256
	;; [unrolled: 1-line block ×6, first 2 shown]
	s_mov_b64 s[38:39], -1
	s_movk_i32 s42, 0x800
	s_cbranch_execz .LBB1744_231
	s_branch .LBB1744_246
.LBB1744_230:                           ;   in Loop: Header=BB1744_228 Depth=2
	s_mov_b64 s[38:39], 0
                                        ; implicit-def: $vgpr4
                                        ; implicit-def: $vgpr99
                                        ; implicit-def: $vgpr103
                                        ; implicit-def: $vgpr107
                                        ; implicit-def: $vgpr112
                                        ; implicit-def: $vgpr108
                                        ; implicit-def: $vgpr24
	s_movk_i32 s42, 0x800
.LBB1744_231:                           ;   in Loop: Header=BB1744_228 Depth=2
	s_lshl_b64 s[38:39], s[58:59], 1
	s_waitcnt vmcnt(6)
	v_mov_b32_e32 v4, s39
	v_add_co_u32_e32 v21, vcc, s38, v85
	v_addc_co_u32_e32 v22, vcc, v86, v4, vcc
	v_cmp_gt_u32_e32 vcc, s70, v73
	s_waitcnt vmcnt(5)
	v_mov_b32_e32 v99, -1
	v_mov_b32_e32 v4, -1
	s_and_saveexec_b64 s[38:39], vcc
	s_cbranch_execz .LBB1744_233
; %bb.232:                              ;   in Loop: Header=BB1744_228 Depth=2
	global_load_ushort v4, v[21:22], off
.LBB1744_233:                           ;   in Loop: Header=BB1744_228 Depth=2
	s_or_b64 exec, exec, s[38:39]
	v_cmp_gt_u32_e32 vcc, s70, v74
	s_and_saveexec_b64 s[38:39], vcc
	s_cbranch_execz .LBB1744_235
; %bb.234:                              ;   in Loop: Header=BB1744_228 Depth=2
	global_load_ushort v99, v[21:22], off offset:128
.LBB1744_235:                           ;   in Loop: Header=BB1744_228 Depth=2
	s_or_b64 exec, exec, s[38:39]
	v_cmp_gt_u32_e32 vcc, s70, v75
	s_waitcnt vmcnt(3)
	v_mov_b32_e32 v107, -1
	v_mov_b32_e32 v103, -1
	s_and_saveexec_b64 s[38:39], vcc
	s_cbranch_execz .LBB1744_237
; %bb.236:                              ;   in Loop: Header=BB1744_228 Depth=2
	global_load_ushort v103, v[21:22], off offset:256
.LBB1744_237:                           ;   in Loop: Header=BB1744_228 Depth=2
	s_or_b64 exec, exec, s[38:39]
	v_cmp_gt_u32_e32 vcc, s70, v76
	s_and_saveexec_b64 s[38:39], vcc
	s_cbranch_execz .LBB1744_239
; %bb.238:                              ;   in Loop: Header=BB1744_228 Depth=2
	global_load_ushort v107, v[21:22], off offset:384
.LBB1744_239:                           ;   in Loop: Header=BB1744_228 Depth=2
	s_or_b64 exec, exec, s[38:39]
	v_cmp_gt_u32_e32 vcc, s70, v77
	s_waitcnt vmcnt(1)
	v_mov_b32_e32 v108, -1
	v_mov_b32_e32 v112, -1
	s_and_saveexec_b64 s[38:39], vcc
	s_cbranch_execz .LBB1744_241
; %bb.240:                              ;   in Loop: Header=BB1744_228 Depth=2
	global_load_ushort v112, v[21:22], off offset:512
.LBB1744_241:                           ;   in Loop: Header=BB1744_228 Depth=2
	s_or_b64 exec, exec, s[38:39]
	v_cmp_gt_u32_e32 vcc, s70, v78
	s_and_saveexec_b64 s[38:39], vcc
	s_cbranch_execz .LBB1744_243
; %bb.242:                              ;   in Loop: Header=BB1744_228 Depth=2
	global_load_ushort v108, v[21:22], off offset:640
.LBB1744_243:                           ;   in Loop: Header=BB1744_228 Depth=2
	s_or_b64 exec, exec, s[38:39]
	v_cmp_gt_u32_e32 vcc, s70, v79
	s_waitcnt vmcnt(0)
	v_mov_b32_e32 v24, -1
	s_and_saveexec_b64 s[38:39], vcc
	s_cbranch_execz .LBB1744_245
; %bb.244:                              ;   in Loop: Header=BB1744_228 Depth=2
	global_load_ushort v24, v[21:22], off offset:768
.LBB1744_245:                           ;   in Loop: Header=BB1744_228 Depth=2
	s_or_b64 exec, exec, s[38:39]
	s_sub_i32 s42, s81, s58
	v_cmp_gt_u32_e64 s[38:39], s70, v80
.LBB1744_246:                           ;   in Loop: Header=BB1744_228 Depth=2
	v_mov_b32_e32 v23, -1
	v_mov_b32_e32 v96, s70
	s_and_saveexec_b64 s[40:41], s[38:39]
	s_cbranch_execz .LBB1744_248
; %bb.247:                              ;   in Loop: Header=BB1744_228 Depth=2
	s_lshl_b64 s[38:39], s[58:59], 1
	v_mov_b32_e32 v22, s39
	v_add_co_u32_e32 v21, vcc, s38, v85
	v_addc_co_u32_e32 v22, vcc, v86, v22, vcc
	global_load_ushort v23, v[21:22], off offset:896
	v_mov_b32_e32 v96, s42
.LBB1744_248:                           ;   in Loop: Header=BB1744_228 Depth=2
	s_or_b64 exec, exec, s[40:41]
	s_waitcnt vmcnt(6)
	v_cmp_gt_i16_e32 vcc, 0, v4
	v_cndmask_b32_e64 v21, v65, 0, vcc
	v_xor_b32_e32 v97, v21, v4
	v_cmp_ne_u16_e32 vcc, s7, v97
	v_cndmask_b32_e32 v4, v65, v97, vcc
	v_lshrrev_b32_sdwa v4, s62, v4 dst_sel:DWORD dst_unused:UNUSED_PAD src0_sel:DWORD src1_sel:WORD_0
	v_and_b32_e32 v21, s63, v4
	v_and_b32_e32 v4, 1, v21
	v_add_co_u32_e32 v22, vcc, -1, v4
	v_addc_co_u32_e64 v98, s[38:39], 0, -1, vcc
	v_cmp_ne_u32_e32 vcc, 0, v4
	v_xor_b32_e32 v4, vcc_hi, v98
	v_and_b32_e32 v98, exec_hi, v4
	v_lshlrev_b32_e32 v4, 30, v21
	v_xor_b32_e32 v22, vcc_lo, v22
	v_cmp_gt_i64_e32 vcc, 0, v[3:4]
	v_not_b32_e32 v4, v4
	v_ashrrev_i32_e32 v4, 31, v4
	v_and_b32_e32 v22, exec_lo, v22
	v_xor_b32_e32 v101, vcc_hi, v4
	v_xor_b32_e32 v4, vcc_lo, v4
	v_and_b32_e32 v22, v22, v4
	v_lshlrev_b32_e32 v4, 29, v21
	v_cmp_gt_i64_e32 vcc, 0, v[3:4]
	v_not_b32_e32 v4, v4
	v_ashrrev_i32_e32 v4, 31, v4
	v_and_b32_e32 v98, v98, v101
	v_xor_b32_e32 v101, vcc_hi, v4
	v_xor_b32_e32 v4, vcc_lo, v4
	v_and_b32_e32 v22, v22, v4
	v_lshlrev_b32_e32 v4, 28, v21
	v_cmp_gt_i64_e32 vcc, 0, v[3:4]
	v_not_b32_e32 v4, v4
	v_ashrrev_i32_e32 v4, 31, v4
	v_and_b32_e32 v98, v98, v101
	;; [unrolled: 8-line block ×5, first 2 shown]
	v_xor_b32_e32 v101, vcc_hi, v4
	v_xor_b32_e32 v4, vcc_lo, v4
	v_and_b32_e32 v98, v98, v101
	v_and_b32_e32 v101, v22, v4
	v_lshlrev_b32_e32 v4, 24, v21
	v_cmp_gt_i64_e32 vcc, 0, v[3:4]
	v_not_b32_e32 v4, v4
	v_ashrrev_i32_e32 v4, 31, v4
	v_mul_u32_u24_e32 v100, 20, v21
	v_xor_b32_e32 v21, vcc_hi, v4
	v_xor_b32_e32 v4, vcc_lo, v4
	v_and_b32_e32 v22, v98, v21
	v_and_b32_e32 v21, v101, v4
	v_mbcnt_lo_u32_b32 v4, v21, 0
	v_mbcnt_hi_u32_b32 v98, v22, v4
	v_cmp_ne_u64_e32 vcc, 0, v[21:22]
	v_cmp_eq_u32_e64 s[38:39], 0, v98
	s_and_b64 s[40:41], vcc, s[38:39]
	v_add_u32_e32 v101, v91, v100
	ds_write2_b32 v62, v3, v3 offset1:1
	ds_write2_b32 v63, v3, v3 offset1:1
	ds_write_b32 v41, v3 offset:1056
	s_waitcnt vmcnt(0) lgkmcnt(0)
	s_barrier
	; wave barrier
	s_and_saveexec_b64 s[38:39], s[40:41]
; %bb.249:                              ;   in Loop: Header=BB1744_228 Depth=2
	v_bcnt_u32_b32 v4, v21, 0
	v_bcnt_u32_b32 v4, v22, v4
	ds_write_b32 v101, v4 offset:1040
; %bb.250:                              ;   in Loop: Header=BB1744_228 Depth=2
	s_or_b64 exec, exec, s[38:39]
	v_cmp_gt_i16_e32 vcc, 0, v99
	v_cndmask_b32_e64 v4, v65, 0, vcc
	v_xor_b32_e32 v99, v4, v99
	v_cmp_ne_u16_e32 vcc, s7, v99
	v_cndmask_b32_e32 v4, v65, v99, vcc
	v_lshrrev_b32_sdwa v4, s62, v4 dst_sel:DWORD dst_unused:UNUSED_PAD src0_sel:DWORD src1_sel:WORD_0
	v_and_b32_e32 v21, s63, v4
	v_mad_u32_u24 v4, v21, 20, v91
	; wave barrier
	ds_read_b32 v100, v4 offset:1040
	v_and_b32_e32 v4, 1, v21
	v_add_co_u32_e32 v22, vcc, -1, v4
	v_addc_co_u32_e64 v102, s[38:39], 0, -1, vcc
	v_cmp_ne_u32_e32 vcc, 0, v4
	v_xor_b32_e32 v4, vcc_hi, v102
	v_and_b32_e32 v102, exec_hi, v4
	v_lshlrev_b32_e32 v4, 30, v21
	v_xor_b32_e32 v22, vcc_lo, v22
	v_cmp_gt_i64_e32 vcc, 0, v[3:4]
	v_not_b32_e32 v4, v4
	v_ashrrev_i32_e32 v4, 31, v4
	v_and_b32_e32 v22, exec_lo, v22
	v_xor_b32_e32 v105, vcc_hi, v4
	v_xor_b32_e32 v4, vcc_lo, v4
	v_and_b32_e32 v22, v22, v4
	v_lshlrev_b32_e32 v4, 29, v21
	v_cmp_gt_i64_e32 vcc, 0, v[3:4]
	v_not_b32_e32 v4, v4
	v_ashrrev_i32_e32 v4, 31, v4
	v_and_b32_e32 v102, v102, v105
	v_xor_b32_e32 v105, vcc_hi, v4
	v_xor_b32_e32 v4, vcc_lo, v4
	v_and_b32_e32 v22, v22, v4
	v_lshlrev_b32_e32 v4, 28, v21
	v_cmp_gt_i64_e32 vcc, 0, v[3:4]
	v_not_b32_e32 v4, v4
	v_ashrrev_i32_e32 v4, 31, v4
	v_and_b32_e32 v102, v102, v105
	;; [unrolled: 8-line block ×5, first 2 shown]
	v_xor_b32_e32 v105, vcc_hi, v4
	v_xor_b32_e32 v4, vcc_lo, v4
	v_and_b32_e32 v102, v102, v105
	v_and_b32_e32 v105, v22, v4
	v_lshlrev_b32_e32 v4, 24, v21
	v_cmp_gt_i64_e32 vcc, 0, v[3:4]
	v_not_b32_e32 v4, v4
	v_ashrrev_i32_e32 v4, 31, v4
	v_mul_u32_u24_e32 v104, 20, v21
	v_xor_b32_e32 v21, vcc_hi, v4
	v_xor_b32_e32 v4, vcc_lo, v4
	v_and_b32_e32 v22, v102, v21
	v_and_b32_e32 v21, v105, v4
	v_mbcnt_lo_u32_b32 v4, v21, 0
	v_mbcnt_hi_u32_b32 v102, v22, v4
	v_cmp_ne_u64_e32 vcc, 0, v[21:22]
	v_cmp_eq_u32_e64 s[38:39], 0, v102
	s_and_b64 s[40:41], vcc, s[38:39]
	v_add_u32_e32 v105, v91, v104
	; wave barrier
	s_and_saveexec_b64 s[38:39], s[40:41]
	s_cbranch_execz .LBB1744_252
; %bb.251:                              ;   in Loop: Header=BB1744_228 Depth=2
	v_bcnt_u32_b32 v4, v21, 0
	v_bcnt_u32_b32 v4, v22, v4
	s_waitcnt lgkmcnt(0)
	v_add_u32_e32 v4, v100, v4
	ds_write_b32 v105, v4 offset:1040
.LBB1744_252:                           ;   in Loop: Header=BB1744_228 Depth=2
	s_or_b64 exec, exec, s[38:39]
	v_cmp_gt_i16_e32 vcc, 0, v103
	v_cndmask_b32_e64 v4, v65, 0, vcc
	v_xor_b32_e32 v103, v4, v103
	v_cmp_ne_u16_e32 vcc, s7, v103
	v_cndmask_b32_e32 v4, v65, v103, vcc
	v_lshrrev_b32_sdwa v4, s62, v4 dst_sel:DWORD dst_unused:UNUSED_PAD src0_sel:DWORD src1_sel:WORD_0
	v_and_b32_e32 v21, s63, v4
	v_mad_u32_u24 v4, v21, 20, v91
	; wave barrier
	ds_read_b32 v104, v4 offset:1040
	v_and_b32_e32 v4, 1, v21
	v_add_co_u32_e32 v22, vcc, -1, v4
	v_addc_co_u32_e64 v106, s[38:39], 0, -1, vcc
	v_cmp_ne_u32_e32 vcc, 0, v4
	v_xor_b32_e32 v4, vcc_hi, v106
	v_and_b32_e32 v106, exec_hi, v4
	v_lshlrev_b32_e32 v4, 30, v21
	v_xor_b32_e32 v22, vcc_lo, v22
	v_cmp_gt_i64_e32 vcc, 0, v[3:4]
	v_not_b32_e32 v4, v4
	v_ashrrev_i32_e32 v4, 31, v4
	v_and_b32_e32 v22, exec_lo, v22
	v_xor_b32_e32 v110, vcc_hi, v4
	v_xor_b32_e32 v4, vcc_lo, v4
	v_and_b32_e32 v22, v22, v4
	v_lshlrev_b32_e32 v4, 29, v21
	v_cmp_gt_i64_e32 vcc, 0, v[3:4]
	v_not_b32_e32 v4, v4
	v_ashrrev_i32_e32 v4, 31, v4
	v_and_b32_e32 v106, v106, v110
	v_xor_b32_e32 v110, vcc_hi, v4
	v_xor_b32_e32 v4, vcc_lo, v4
	v_and_b32_e32 v22, v22, v4
	v_lshlrev_b32_e32 v4, 28, v21
	v_cmp_gt_i64_e32 vcc, 0, v[3:4]
	v_not_b32_e32 v4, v4
	v_ashrrev_i32_e32 v4, 31, v4
	v_and_b32_e32 v106, v106, v110
	;; [unrolled: 8-line block ×5, first 2 shown]
	v_xor_b32_e32 v110, vcc_hi, v4
	v_xor_b32_e32 v4, vcc_lo, v4
	v_and_b32_e32 v106, v106, v110
	v_and_b32_e32 v110, v22, v4
	v_lshlrev_b32_e32 v4, 24, v21
	v_cmp_gt_i64_e32 vcc, 0, v[3:4]
	v_not_b32_e32 v4, v4
	v_ashrrev_i32_e32 v4, 31, v4
	v_mul_u32_u24_e32 v109, 20, v21
	v_xor_b32_e32 v21, vcc_hi, v4
	v_xor_b32_e32 v4, vcc_lo, v4
	v_and_b32_e32 v22, v106, v21
	v_and_b32_e32 v21, v110, v4
	v_mbcnt_lo_u32_b32 v4, v21, 0
	v_mbcnt_hi_u32_b32 v106, v22, v4
	v_cmp_ne_u64_e32 vcc, 0, v[21:22]
	v_cmp_eq_u32_e64 s[38:39], 0, v106
	s_and_b64 s[40:41], vcc, s[38:39]
	v_add_u32_e32 v110, v91, v109
	; wave barrier
	s_and_saveexec_b64 s[38:39], s[40:41]
	s_cbranch_execz .LBB1744_254
; %bb.253:                              ;   in Loop: Header=BB1744_228 Depth=2
	v_bcnt_u32_b32 v4, v21, 0
	v_bcnt_u32_b32 v4, v22, v4
	s_waitcnt lgkmcnt(0)
	v_add_u32_e32 v4, v104, v4
	ds_write_b32 v110, v4 offset:1040
.LBB1744_254:                           ;   in Loop: Header=BB1744_228 Depth=2
	s_or_b64 exec, exec, s[38:39]
	v_cmp_gt_i16_e32 vcc, 0, v107
	v_cndmask_b32_e64 v4, v65, 0, vcc
	v_xor_b32_e32 v107, v4, v107
	v_cmp_ne_u16_e32 vcc, s7, v107
	v_cndmask_b32_e32 v4, v65, v107, vcc
	v_lshrrev_b32_sdwa v4, s62, v4 dst_sel:DWORD dst_unused:UNUSED_PAD src0_sel:DWORD src1_sel:WORD_0
	v_and_b32_e32 v21, s63, v4
	v_mad_u32_u24 v4, v21, 20, v91
	; wave barrier
	ds_read_b32 v109, v4 offset:1040
	v_and_b32_e32 v4, 1, v21
	v_add_co_u32_e32 v22, vcc, -1, v4
	v_addc_co_u32_e64 v111, s[38:39], 0, -1, vcc
	v_cmp_ne_u32_e32 vcc, 0, v4
	v_xor_b32_e32 v4, vcc_hi, v111
	v_and_b32_e32 v111, exec_hi, v4
	v_lshlrev_b32_e32 v4, 30, v21
	v_xor_b32_e32 v22, vcc_lo, v22
	v_cmp_gt_i64_e32 vcc, 0, v[3:4]
	v_not_b32_e32 v4, v4
	v_ashrrev_i32_e32 v4, 31, v4
	v_and_b32_e32 v22, exec_lo, v22
	v_xor_b32_e32 v114, vcc_hi, v4
	v_xor_b32_e32 v4, vcc_lo, v4
	v_and_b32_e32 v22, v22, v4
	v_lshlrev_b32_e32 v4, 29, v21
	v_cmp_gt_i64_e32 vcc, 0, v[3:4]
	v_not_b32_e32 v4, v4
	v_ashrrev_i32_e32 v4, 31, v4
	v_and_b32_e32 v111, v111, v114
	v_xor_b32_e32 v114, vcc_hi, v4
	v_xor_b32_e32 v4, vcc_lo, v4
	v_and_b32_e32 v22, v22, v4
	v_lshlrev_b32_e32 v4, 28, v21
	v_cmp_gt_i64_e32 vcc, 0, v[3:4]
	v_not_b32_e32 v4, v4
	v_ashrrev_i32_e32 v4, 31, v4
	v_and_b32_e32 v111, v111, v114
	;; [unrolled: 8-line block ×5, first 2 shown]
	v_xor_b32_e32 v114, vcc_hi, v4
	v_xor_b32_e32 v4, vcc_lo, v4
	v_and_b32_e32 v111, v111, v114
	v_and_b32_e32 v114, v22, v4
	v_lshlrev_b32_e32 v4, 24, v21
	v_cmp_gt_i64_e32 vcc, 0, v[3:4]
	v_not_b32_e32 v4, v4
	v_ashrrev_i32_e32 v4, 31, v4
	v_mul_u32_u24_e32 v113, 20, v21
	v_xor_b32_e32 v21, vcc_hi, v4
	v_xor_b32_e32 v4, vcc_lo, v4
	v_and_b32_e32 v22, v111, v21
	v_and_b32_e32 v21, v114, v4
	v_mbcnt_lo_u32_b32 v4, v21, 0
	v_mbcnt_hi_u32_b32 v111, v22, v4
	v_cmp_ne_u64_e32 vcc, 0, v[21:22]
	v_cmp_eq_u32_e64 s[38:39], 0, v111
	s_and_b64 s[40:41], vcc, s[38:39]
	v_add_u32_e32 v114, v91, v113
	; wave barrier
	s_and_saveexec_b64 s[38:39], s[40:41]
	s_cbranch_execz .LBB1744_256
; %bb.255:                              ;   in Loop: Header=BB1744_228 Depth=2
	v_bcnt_u32_b32 v4, v21, 0
	v_bcnt_u32_b32 v4, v22, v4
	s_waitcnt lgkmcnt(0)
	v_add_u32_e32 v4, v109, v4
	ds_write_b32 v114, v4 offset:1040
.LBB1744_256:                           ;   in Loop: Header=BB1744_228 Depth=2
	s_or_b64 exec, exec, s[38:39]
	v_cmp_gt_i16_e32 vcc, 0, v112
	v_cndmask_b32_e64 v4, v65, 0, vcc
	v_xor_b32_e32 v112, v4, v112
	v_cmp_ne_u16_e32 vcc, s7, v112
	v_cndmask_b32_e32 v4, v65, v112, vcc
	v_lshrrev_b32_sdwa v4, s62, v4 dst_sel:DWORD dst_unused:UNUSED_PAD src0_sel:DWORD src1_sel:WORD_0
	v_and_b32_e32 v21, s63, v4
	v_mad_u32_u24 v4, v21, 20, v91
	; wave barrier
	ds_read_b32 v113, v4 offset:1040
	v_and_b32_e32 v4, 1, v21
	v_add_co_u32_e32 v22, vcc, -1, v4
	v_addc_co_u32_e64 v115, s[38:39], 0, -1, vcc
	v_cmp_ne_u32_e32 vcc, 0, v4
	v_xor_b32_e32 v4, vcc_hi, v115
	v_and_b32_e32 v115, exec_hi, v4
	v_lshlrev_b32_e32 v4, 30, v21
	v_xor_b32_e32 v22, vcc_lo, v22
	v_cmp_gt_i64_e32 vcc, 0, v[3:4]
	v_not_b32_e32 v4, v4
	v_ashrrev_i32_e32 v4, 31, v4
	v_and_b32_e32 v22, exec_lo, v22
	v_xor_b32_e32 v117, vcc_hi, v4
	v_xor_b32_e32 v4, vcc_lo, v4
	v_and_b32_e32 v22, v22, v4
	v_lshlrev_b32_e32 v4, 29, v21
	v_cmp_gt_i64_e32 vcc, 0, v[3:4]
	v_not_b32_e32 v4, v4
	v_ashrrev_i32_e32 v4, 31, v4
	v_and_b32_e32 v115, v115, v117
	v_xor_b32_e32 v117, vcc_hi, v4
	v_xor_b32_e32 v4, vcc_lo, v4
	v_and_b32_e32 v22, v22, v4
	v_lshlrev_b32_e32 v4, 28, v21
	v_cmp_gt_i64_e32 vcc, 0, v[3:4]
	v_not_b32_e32 v4, v4
	v_ashrrev_i32_e32 v4, 31, v4
	v_and_b32_e32 v115, v115, v117
	;; [unrolled: 8-line block ×5, first 2 shown]
	v_xor_b32_e32 v117, vcc_hi, v4
	v_xor_b32_e32 v4, vcc_lo, v4
	v_and_b32_e32 v115, v115, v117
	v_and_b32_e32 v117, v22, v4
	v_lshlrev_b32_e32 v4, 24, v21
	v_cmp_gt_i64_e32 vcc, 0, v[3:4]
	v_not_b32_e32 v4, v4
	v_ashrrev_i32_e32 v4, 31, v4
	v_mul_u32_u24_e32 v116, 20, v21
	v_xor_b32_e32 v21, vcc_hi, v4
	v_xor_b32_e32 v4, vcc_lo, v4
	v_and_b32_e32 v22, v115, v21
	v_and_b32_e32 v21, v117, v4
	v_mbcnt_lo_u32_b32 v4, v21, 0
	v_mbcnt_hi_u32_b32 v115, v22, v4
	v_cmp_ne_u64_e32 vcc, 0, v[21:22]
	v_cmp_eq_u32_e64 s[38:39], 0, v115
	s_and_b64 s[40:41], vcc, s[38:39]
	v_add_u32_e32 v118, v91, v116
	; wave barrier
	s_and_saveexec_b64 s[38:39], s[40:41]
	s_cbranch_execz .LBB1744_258
; %bb.257:                              ;   in Loop: Header=BB1744_228 Depth=2
	v_bcnt_u32_b32 v4, v21, 0
	v_bcnt_u32_b32 v4, v22, v4
	s_waitcnt lgkmcnt(0)
	v_add_u32_e32 v4, v113, v4
	ds_write_b32 v118, v4 offset:1040
.LBB1744_258:                           ;   in Loop: Header=BB1744_228 Depth=2
	s_or_b64 exec, exec, s[38:39]
	v_cmp_gt_i16_e32 vcc, 0, v108
	v_cndmask_b32_e64 v4, v65, 0, vcc
	v_xor_b32_e32 v116, v4, v108
	v_cmp_ne_u16_e32 vcc, s7, v116
	v_cndmask_b32_e32 v4, v65, v116, vcc
	v_lshrrev_b32_sdwa v4, s62, v4 dst_sel:DWORD dst_unused:UNUSED_PAD src0_sel:DWORD src1_sel:WORD_0
	v_and_b32_e32 v21, s63, v4
	v_mad_u32_u24 v4, v21, 20, v91
	; wave barrier
	ds_read_b32 v117, v4 offset:1040
	v_and_b32_e32 v4, 1, v21
	v_add_co_u32_e32 v22, vcc, -1, v4
	v_addc_co_u32_e64 v119, s[38:39], 0, -1, vcc
	v_cmp_ne_u32_e32 vcc, 0, v4
	v_xor_b32_e32 v4, vcc_hi, v119
	v_and_b32_e32 v119, exec_hi, v4
	v_lshlrev_b32_e32 v4, 30, v21
	v_xor_b32_e32 v22, vcc_lo, v22
	v_cmp_gt_i64_e32 vcc, 0, v[3:4]
	v_not_b32_e32 v4, v4
	v_ashrrev_i32_e32 v4, 31, v4
	v_and_b32_e32 v22, exec_lo, v22
	v_xor_b32_e32 v120, vcc_hi, v4
	v_xor_b32_e32 v4, vcc_lo, v4
	v_and_b32_e32 v22, v22, v4
	v_lshlrev_b32_e32 v4, 29, v21
	v_cmp_gt_i64_e32 vcc, 0, v[3:4]
	v_not_b32_e32 v4, v4
	v_ashrrev_i32_e32 v4, 31, v4
	v_and_b32_e32 v119, v119, v120
	v_xor_b32_e32 v120, vcc_hi, v4
	v_xor_b32_e32 v4, vcc_lo, v4
	v_and_b32_e32 v22, v22, v4
	v_lshlrev_b32_e32 v4, 28, v21
	v_cmp_gt_i64_e32 vcc, 0, v[3:4]
	v_not_b32_e32 v4, v4
	v_ashrrev_i32_e32 v4, 31, v4
	v_and_b32_e32 v119, v119, v120
	;; [unrolled: 8-line block ×5, first 2 shown]
	v_xor_b32_e32 v120, vcc_hi, v4
	v_xor_b32_e32 v4, vcc_lo, v4
	v_and_b32_e32 v119, v119, v120
	v_and_b32_e32 v120, v22, v4
	v_lshlrev_b32_e32 v4, 24, v21
	v_cmp_gt_i64_e32 vcc, 0, v[3:4]
	v_not_b32_e32 v4, v4
	v_ashrrev_i32_e32 v4, 31, v4
	v_mul_u32_u24_e32 v108, 20, v21
	v_xor_b32_e32 v21, vcc_hi, v4
	v_xor_b32_e32 v4, vcc_lo, v4
	v_and_b32_e32 v22, v119, v21
	v_and_b32_e32 v21, v120, v4
	v_mbcnt_lo_u32_b32 v4, v21, 0
	v_mbcnt_hi_u32_b32 v119, v22, v4
	v_cmp_ne_u64_e32 vcc, 0, v[21:22]
	v_cmp_eq_u32_e64 s[38:39], 0, v119
	s_and_b64 s[40:41], vcc, s[38:39]
	v_add_u32_e32 v108, v91, v108
	; wave barrier
	s_and_saveexec_b64 s[38:39], s[40:41]
	s_cbranch_execz .LBB1744_260
; %bb.259:                              ;   in Loop: Header=BB1744_228 Depth=2
	v_bcnt_u32_b32 v4, v21, 0
	v_bcnt_u32_b32 v4, v22, v4
	s_waitcnt lgkmcnt(0)
	v_add_u32_e32 v4, v117, v4
	ds_write_b32 v108, v4 offset:1040
.LBB1744_260:                           ;   in Loop: Header=BB1744_228 Depth=2
	s_or_b64 exec, exec, s[38:39]
	v_cmp_gt_i16_e32 vcc, 0, v24
	v_cndmask_b32_e64 v4, v65, 0, vcc
	v_xor_b32_e32 v120, v4, v24
	v_cmp_ne_u16_e32 vcc, s7, v120
	v_cndmask_b32_e32 v4, v65, v120, vcc
	v_lshrrev_b32_sdwa v4, s62, v4 dst_sel:DWORD dst_unused:UNUSED_PAD src0_sel:DWORD src1_sel:WORD_0
	v_and_b32_e32 v21, s63, v4
	v_mad_u32_u24 v4, v21, 20, v91
	; wave barrier
	ds_read_b32 v121, v4 offset:1040
	v_and_b32_e32 v4, 1, v21
	v_add_co_u32_e32 v22, vcc, -1, v4
	v_addc_co_u32_e64 v122, s[38:39], 0, -1, vcc
	v_cmp_ne_u32_e32 vcc, 0, v4
	v_xor_b32_e32 v4, vcc_hi, v122
	v_and_b32_e32 v122, exec_hi, v4
	v_lshlrev_b32_e32 v4, 30, v21
	v_xor_b32_e32 v22, vcc_lo, v22
	v_cmp_gt_i64_e32 vcc, 0, v[3:4]
	v_not_b32_e32 v4, v4
	v_ashrrev_i32_e32 v4, 31, v4
	v_and_b32_e32 v22, exec_lo, v22
	v_xor_b32_e32 v123, vcc_hi, v4
	v_xor_b32_e32 v4, vcc_lo, v4
	v_and_b32_e32 v22, v22, v4
	v_lshlrev_b32_e32 v4, 29, v21
	v_cmp_gt_i64_e32 vcc, 0, v[3:4]
	v_not_b32_e32 v4, v4
	v_ashrrev_i32_e32 v4, 31, v4
	v_and_b32_e32 v122, v122, v123
	v_xor_b32_e32 v123, vcc_hi, v4
	v_xor_b32_e32 v4, vcc_lo, v4
	v_and_b32_e32 v22, v22, v4
	v_lshlrev_b32_e32 v4, 28, v21
	v_cmp_gt_i64_e32 vcc, 0, v[3:4]
	v_not_b32_e32 v4, v4
	v_ashrrev_i32_e32 v4, 31, v4
	v_and_b32_e32 v122, v122, v123
	;; [unrolled: 8-line block ×5, first 2 shown]
	v_xor_b32_e32 v123, vcc_hi, v4
	v_xor_b32_e32 v4, vcc_lo, v4
	v_and_b32_e32 v122, v122, v123
	v_and_b32_e32 v123, v22, v4
	v_lshlrev_b32_e32 v4, 24, v21
	v_cmp_gt_i64_e32 vcc, 0, v[3:4]
	v_not_b32_e32 v4, v4
	v_ashrrev_i32_e32 v4, 31, v4
	v_mul_u32_u24_e32 v24, 20, v21
	v_xor_b32_e32 v21, vcc_hi, v4
	v_xor_b32_e32 v4, vcc_lo, v4
	v_and_b32_e32 v22, v122, v21
	v_and_b32_e32 v21, v123, v4
	v_mbcnt_lo_u32_b32 v4, v21, 0
	v_mbcnt_hi_u32_b32 v122, v22, v4
	v_cmp_ne_u64_e32 vcc, 0, v[21:22]
	v_cmp_eq_u32_e64 s[38:39], 0, v122
	s_and_b64 s[40:41], vcc, s[38:39]
	v_add_u32_e32 v125, v91, v24
	; wave barrier
	s_and_saveexec_b64 s[38:39], s[40:41]
	s_cbranch_execz .LBB1744_262
; %bb.261:                              ;   in Loop: Header=BB1744_228 Depth=2
	v_bcnt_u32_b32 v4, v21, 0
	v_bcnt_u32_b32 v4, v22, v4
	s_waitcnt lgkmcnt(0)
	v_add_u32_e32 v4, v121, v4
	ds_write_b32 v125, v4 offset:1040
.LBB1744_262:                           ;   in Loop: Header=BB1744_228 Depth=2
	s_or_b64 exec, exec, s[38:39]
	v_cmp_gt_i16_e32 vcc, 0, v23
	v_cndmask_b32_e64 v4, v65, 0, vcc
	v_xor_b32_e32 v123, v4, v23
	v_cmp_ne_u16_e32 vcc, s7, v123
	v_cndmask_b32_e32 v4, v65, v123, vcc
	v_lshrrev_b32_sdwa v4, s62, v4 dst_sel:DWORD dst_unused:UNUSED_PAD src0_sel:DWORD src1_sel:WORD_0
	v_and_b32_e32 v21, s63, v4
	v_mad_u32_u24 v4, v21, 20, v91
	; wave barrier
	ds_read_b32 v124, v4 offset:1040
	v_and_b32_e32 v4, 1, v21
	v_add_co_u32_e32 v22, vcc, -1, v4
	v_addc_co_u32_e64 v24, s[38:39], 0, -1, vcc
	v_cmp_ne_u32_e32 vcc, 0, v4
	v_xor_b32_e32 v4, vcc_hi, v24
	v_and_b32_e32 v24, exec_hi, v4
	v_lshlrev_b32_e32 v4, 30, v21
	v_xor_b32_e32 v22, vcc_lo, v22
	v_cmp_gt_i64_e32 vcc, 0, v[3:4]
	v_not_b32_e32 v4, v4
	v_ashrrev_i32_e32 v4, 31, v4
	v_and_b32_e32 v22, exec_lo, v22
	v_xor_b32_e32 v126, vcc_hi, v4
	v_xor_b32_e32 v4, vcc_lo, v4
	v_and_b32_e32 v22, v22, v4
	v_lshlrev_b32_e32 v4, 29, v21
	v_cmp_gt_i64_e32 vcc, 0, v[3:4]
	v_not_b32_e32 v4, v4
	v_ashrrev_i32_e32 v4, 31, v4
	v_and_b32_e32 v24, v24, v126
	v_xor_b32_e32 v126, vcc_hi, v4
	v_xor_b32_e32 v4, vcc_lo, v4
	v_and_b32_e32 v22, v22, v4
	v_lshlrev_b32_e32 v4, 28, v21
	v_cmp_gt_i64_e32 vcc, 0, v[3:4]
	v_not_b32_e32 v4, v4
	v_ashrrev_i32_e32 v4, 31, v4
	v_and_b32_e32 v24, v24, v126
	v_xor_b32_e32 v126, vcc_hi, v4
	v_xor_b32_e32 v4, vcc_lo, v4
	v_and_b32_e32 v22, v22, v4
	v_lshlrev_b32_e32 v4, 27, v21
	v_cmp_gt_i64_e32 vcc, 0, v[3:4]
	v_not_b32_e32 v4, v4
	v_ashrrev_i32_e32 v4, 31, v4
	v_and_b32_e32 v24, v24, v126
	v_xor_b32_e32 v126, vcc_hi, v4
	v_xor_b32_e32 v4, vcc_lo, v4
	v_and_b32_e32 v22, v22, v4
	v_lshlrev_b32_e32 v4, 26, v21
	v_cmp_gt_i64_e32 vcc, 0, v[3:4]
	v_not_b32_e32 v4, v4
	v_ashrrev_i32_e32 v4, 31, v4
	v_and_b32_e32 v24, v24, v126
	v_xor_b32_e32 v126, vcc_hi, v4
	v_xor_b32_e32 v4, vcc_lo, v4
	v_and_b32_e32 v22, v22, v4
	v_lshlrev_b32_e32 v4, 25, v21
	v_cmp_gt_i64_e32 vcc, 0, v[3:4]
	v_not_b32_e32 v4, v4
	v_ashrrev_i32_e32 v4, 31, v4
	v_and_b32_e32 v24, v24, v126
	v_xor_b32_e32 v126, vcc_hi, v4
	v_xor_b32_e32 v4, vcc_lo, v4
	v_and_b32_e32 v24, v24, v126
	v_and_b32_e32 v126, v22, v4
	v_lshlrev_b32_e32 v4, 24, v21
	v_cmp_gt_i64_e32 vcc, 0, v[3:4]
	v_not_b32_e32 v4, v4
	v_ashrrev_i32_e32 v4, 31, v4
	v_mul_u32_u24_e32 v23, 20, v21
	v_xor_b32_e32 v21, vcc_hi, v4
	v_xor_b32_e32 v4, vcc_lo, v4
	v_and_b32_e32 v22, v24, v21
	v_and_b32_e32 v21, v126, v4
	v_mbcnt_lo_u32_b32 v4, v21, 0
	v_mbcnt_hi_u32_b32 v126, v22, v4
	v_cmp_ne_u64_e32 vcc, 0, v[21:22]
	v_cmp_eq_u32_e64 s[38:39], 0, v126
	s_and_b64 s[40:41], vcc, s[38:39]
	v_add_u32_e32 v4, v91, v23
	; wave barrier
	s_and_saveexec_b64 s[38:39], s[40:41]
	s_cbranch_execz .LBB1744_264
; %bb.263:                              ;   in Loop: Header=BB1744_228 Depth=2
	v_bcnt_u32_b32 v21, v21, 0
	v_bcnt_u32_b32 v21, v22, v21
	s_waitcnt lgkmcnt(0)
	v_add_u32_e32 v21, v124, v21
	ds_write_b32 v4, v21 offset:1040
.LBB1744_264:                           ;   in Loop: Header=BB1744_228 Depth=2
	s_or_b64 exec, exec, s[38:39]
	; wave barrier
	s_waitcnt lgkmcnt(0)
	s_barrier
	ds_read2_b32 v[23:24], v62 offset1:1
	ds_read2_b32 v[21:22], v63 offset1:1
	ds_read_b32 v127, v41 offset:1056
	s_waitcnt lgkmcnt(1)
	v_add3_u32 v128, v24, v23, v21
	s_waitcnt lgkmcnt(0)
	v_add3_u32 v127, v128, v22, v127
	s_nop 1
	v_mov_b32_dpp v128, v127 row_shr:1 row_mask:0xf bank_mask:0xf
	v_cndmask_b32_e64 v128, v128, 0, s[18:19]
	v_add_u32_e32 v127, v128, v127
	s_nop 1
	v_mov_b32_dpp v128, v127 row_shr:2 row_mask:0xf bank_mask:0xf
	v_cndmask_b32_e64 v128, 0, v128, s[20:21]
	v_add_u32_e32 v127, v127, v128
	;; [unrolled: 4-line block ×4, first 2 shown]
	s_nop 1
	v_mov_b32_dpp v128, v127 row_bcast:15 row_mask:0xf bank_mask:0xf
	v_cndmask_b32_e64 v128, v128, 0, s[26:27]
	v_add_u32_e32 v127, v127, v128
	s_nop 1
	v_mov_b32_dpp v128, v127 row_bcast:31 row_mask:0xf bank_mask:0xf
	v_cndmask_b32_e64 v128, 0, v128, s[28:29]
	v_add_u32_e32 v127, v127, v128
	s_and_saveexec_b64 s[38:39], s[8:9]
; %bb.265:                              ;   in Loop: Header=BB1744_228 Depth=2
	ds_write_b32 v37, v127 offset:1024
; %bb.266:                              ;   in Loop: Header=BB1744_228 Depth=2
	s_or_b64 exec, exec, s[38:39]
	s_waitcnt lgkmcnt(0)
	s_barrier
	s_and_saveexec_b64 s[38:39], s[10:11]
	s_cbranch_execz .LBB1744_268
; %bb.267:                              ;   in Loop: Header=BB1744_228 Depth=2
	ds_read_b32 v128, v42 offset:1024
	s_waitcnt lgkmcnt(0)
	s_nop 0
	v_mov_b32_dpp v129, v128 row_shr:1 row_mask:0xf bank_mask:0xf
	v_cndmask_b32_e64 v129, v129, 0, s[34:35]
	v_add_u32_e32 v128, v129, v128
	s_nop 1
	v_mov_b32_dpp v129, v128 row_shr:2 row_mask:0xf bank_mask:0xf
	v_cndmask_b32_e64 v129, 0, v129, s[36:37]
	v_add_u32_e32 v128, v128, v129
	ds_write_b32 v42, v128 offset:1024
.LBB1744_268:                           ;   in Loop: Header=BB1744_228 Depth=2
	s_or_b64 exec, exec, s[38:39]
	v_mov_b32_e32 v128, 0
	s_waitcnt lgkmcnt(0)
	s_barrier
	s_and_saveexec_b64 s[38:39], s[12:13]
; %bb.269:                              ;   in Loop: Header=BB1744_228 Depth=2
	ds_read_b32 v128, v37 offset:1020
; %bb.270:                              ;   in Loop: Header=BB1744_228 Depth=2
	s_or_b64 exec, exec, s[38:39]
	s_waitcnt lgkmcnt(0)
	v_add_u32_e32 v127, v128, v127
	ds_bpermute_b32 v127, v82, v127
	s_waitcnt lgkmcnt(0)
	v_cndmask_b32_e64 v127, v127, v128, s[30:31]
	v_cndmask_b32_e64 v127, v127, 0, s[14:15]
	v_add_u32_e32 v23, v127, v23
	v_add_u32_e32 v24, v23, v24
	;; [unrolled: 1-line block ×4, first 2 shown]
	ds_write2_b32 v62, v127, v23 offset1:1
	ds_write2_b32 v63, v24, v21 offset1:1
	ds_write_b32 v41, v22 offset:1056
	s_waitcnt lgkmcnt(0)
	s_barrier
	ds_read_b32 v21, v101 offset:1040
	ds_read_b32 v22, v105 offset:1040
	;; [unrolled: 1-line block ×9, first 2 shown]
	v_mov_b32_e32 v4, 0x800
	s_and_saveexec_b64 s[38:39], s[16:17]
; %bb.271:                              ;   in Loop: Header=BB1744_228 Depth=2
	ds_read_b32 v4, v41 offset:1060
; %bb.272:                              ;   in Loop: Header=BB1744_228 Depth=2
	s_or_b64 exec, exec, s[38:39]
	s_waitcnt lgkmcnt(0)
	s_barrier
	s_and_saveexec_b64 s[38:39], s[4:5]
	s_cbranch_execz .LBB1744_274
; %bb.273:                              ;   in Loop: Header=BB1744_228 Depth=2
	ds_read_b32 v105, v25
	s_waitcnt lgkmcnt(0)
	v_sub_u32_e32 v101, v105, v101
	ds_write_b32 v25, v101
.LBB1744_274:                           ;   in Loop: Header=BB1744_228 Depth=2
	s_or_b64 exec, exec, s[38:39]
	v_add_u32_e32 v108, v21, v98
	v_add3_u32 v105, v102, v100, v22
	v_lshlrev_b32_e32 v21, 1, v108
	v_add3_u32 v102, v106, v104, v23
	ds_write_b16 v21, v97 offset:1024
	v_lshlrev_b32_e32 v21, 1, v105
	v_add3_u32 v101, v111, v109, v24
	ds_write_b16 v21, v99 offset:1024
	;; [unrolled: 3-line block ×6, first 2 shown]
	v_lshlrev_b32_e32 v21, 1, v24
	ds_write_b16 v21, v120 offset:1024
	v_lshlrev_b32_e32 v21, 1, v23
	v_cmp_lt_u32_e32 vcc, v0, v96
	ds_write_b16 v21, v123 offset:1024
	s_waitcnt lgkmcnt(0)
	s_barrier
	s_and_saveexec_b64 s[40:41], vcc
	s_cbranch_execnz .LBB1744_311
; %bb.275:                              ;   in Loop: Header=BB1744_228 Depth=2
	s_or_b64 exec, exec, s[40:41]
	v_cmp_lt_u32_e64 s[38:39], v26, v96
	s_and_saveexec_b64 s[42:43], s[38:39]
	s_cbranch_execnz .LBB1744_312
.LBB1744_276:                           ;   in Loop: Header=BB1744_228 Depth=2
	s_or_b64 exec, exec, s[42:43]
	v_cmp_lt_u32_e64 s[40:41], v27, v96
	s_and_saveexec_b64 s[44:45], s[40:41]
	s_cbranch_execnz .LBB1744_313
.LBB1744_277:                           ;   in Loop: Header=BB1744_228 Depth=2
	s_or_b64 exec, exec, s[44:45]
	v_cmp_lt_u32_e64 s[42:43], v28, v96
	s_and_saveexec_b64 s[46:47], s[42:43]
	s_cbranch_execnz .LBB1744_314
.LBB1744_278:                           ;   in Loop: Header=BB1744_228 Depth=2
	s_or_b64 exec, exec, s[46:47]
	v_cmp_lt_u32_e64 s[44:45], v31, v96
	s_and_saveexec_b64 s[48:49], s[44:45]
	s_cbranch_execnz .LBB1744_315
.LBB1744_279:                           ;   in Loop: Header=BB1744_228 Depth=2
	s_or_b64 exec, exec, s[48:49]
	v_cmp_lt_u32_e64 s[46:47], v32, v96
	s_and_saveexec_b64 s[50:51], s[46:47]
	s_cbranch_execnz .LBB1744_316
.LBB1744_280:                           ;   in Loop: Header=BB1744_228 Depth=2
	s_or_b64 exec, exec, s[50:51]
	v_cmp_lt_u32_e64 s[48:49], v33, v96
	s_and_saveexec_b64 s[52:53], s[48:49]
	s_cbranch_execnz .LBB1744_317
.LBB1744_281:                           ;   in Loop: Header=BB1744_228 Depth=2
	s_or_b64 exec, exec, s[52:53]
	v_cmp_lt_u32_e64 s[50:51], v34, v96
	s_and_saveexec_b64 s[60:61], s[50:51]
	s_cbranch_execz .LBB1744_283
.LBB1744_282:                           ;   in Loop: Header=BB1744_228 Depth=2
	ds_read_u16 v21, v47 offset:4608
	v_mov_b32_e32 v22, v3
	v_mov_b32_e32 v99, s69
	s_waitcnt lgkmcnt(0)
	v_cmp_ne_u16_e64 s[52:53], s7, v21
	v_cndmask_b32_e64 v97, v65, v21, s[52:53]
	v_lshrrev_b32_sdwa v97, s62, v97 dst_sel:DWORD dst_unused:UNUSED_PAD src0_sel:DWORD src1_sel:WORD_0
	v_and_b32_e32 v97, s63, v97
	v_lshlrev_b32_e32 v97, 2, v97
	ds_read_b32 v97, v97
	v_cmp_gt_i16_e64 s[52:53], 0, v21
	v_cndmask_b32_e64 v103, v65, 0, s[52:53]
	v_xor_b32_e32 v103, v103, v21
	s_waitcnt lgkmcnt(0)
	v_add_u32_e32 v21, v97, v34
	v_lshlrev_b64 v[21:22], 1, v[21:22]
	v_add_co_u32_e64 v21, s[52:53], s68, v21
	v_addc_co_u32_e64 v22, s[52:53], v99, v22, s[52:53]
	global_store_short v[21:22], v103, off
.LBB1744_283:                           ;   in Loop: Header=BB1744_228 Depth=2
	s_or_b64 exec, exec, s[60:61]
	s_lshl_b64 s[52:53], s[58:59], 3
	v_mov_b32_e32 v22, s53
	v_add_co_u32_e64 v21, s[52:53], s52, v83
	v_addc_co_u32_e64 v22, s[52:53], v84, v22, s[52:53]
	v_cmp_lt_u32_e64 s[52:53], v73, v96
	s_and_saveexec_b64 s[60:61], s[52:53]
	s_xor_b64 s[52:53], exec, s[60:61]
	s_cbranch_execnz .LBB1744_318
; %bb.284:                              ;   in Loop: Header=BB1744_228 Depth=2
	s_or_b64 exec, exec, s[52:53]
	v_cmp_lt_u32_e64 s[52:53], v74, v96
	s_and_saveexec_b64 s[60:61], s[52:53]
	s_cbranch_execnz .LBB1744_319
.LBB1744_285:                           ;   in Loop: Header=BB1744_228 Depth=2
	s_or_b64 exec, exec, s[60:61]
	v_cmp_lt_u32_e64 s[52:53], v75, v96
	s_and_saveexec_b64 s[60:61], s[52:53]
	s_cbranch_execnz .LBB1744_320
.LBB1744_286:                           ;   in Loop: Header=BB1744_228 Depth=2
	s_or_b64 exec, exec, s[60:61]
	v_cmp_lt_u32_e64 s[52:53], v76, v96
	s_and_saveexec_b64 s[60:61], s[52:53]
	s_cbranch_execnz .LBB1744_321
.LBB1744_287:                           ;   in Loop: Header=BB1744_228 Depth=2
	s_or_b64 exec, exec, s[60:61]
	v_cmp_lt_u32_e64 s[52:53], v77, v96
	s_and_saveexec_b64 s[60:61], s[52:53]
	s_cbranch_execnz .LBB1744_322
.LBB1744_288:                           ;   in Loop: Header=BB1744_228 Depth=2
	s_or_b64 exec, exec, s[60:61]
	v_cmp_lt_u32_e64 s[52:53], v78, v96
	s_and_saveexec_b64 s[60:61], s[52:53]
	s_cbranch_execnz .LBB1744_323
.LBB1744_289:                           ;   in Loop: Header=BB1744_228 Depth=2
	s_or_b64 exec, exec, s[60:61]
	v_cmp_lt_u32_e64 s[52:53], v79, v96
	s_and_saveexec_b64 s[60:61], s[52:53]
	s_cbranch_execnz .LBB1744_324
.LBB1744_290:                           ;   in Loop: Header=BB1744_228 Depth=2
	s_or_b64 exec, exec, s[60:61]
	v_cmp_lt_u32_e64 s[52:53], v80, v96
	s_and_saveexec_b64 s[60:61], s[52:53]
	s_cbranch_execnz .LBB1744_325
.LBB1744_291:                           ;   in Loop: Header=BB1744_228 Depth=2
	s_or_b64 exec, exec, s[60:61]
	s_and_saveexec_b64 s[60:61], vcc
	s_cbranch_execnz .LBB1744_326
.LBB1744_292:                           ;   in Loop: Header=BB1744_228 Depth=2
	s_or_b64 exec, exec, s[60:61]
	s_and_saveexec_b64 s[60:61], s[38:39]
	s_cbranch_execnz .LBB1744_327
.LBB1744_293:                           ;   in Loop: Header=BB1744_228 Depth=2
	s_or_b64 exec, exec, s[60:61]
	s_and_saveexec_b64 s[60:61], s[40:41]
	s_cbranch_execnz .LBB1744_328
.LBB1744_294:                           ;   in Loop: Header=BB1744_228 Depth=2
	s_or_b64 exec, exec, s[60:61]
	s_and_saveexec_b64 s[60:61], s[42:43]
	s_cbranch_execnz .LBB1744_329
.LBB1744_295:                           ;   in Loop: Header=BB1744_228 Depth=2
	s_or_b64 exec, exec, s[60:61]
	s_and_saveexec_b64 s[60:61], s[44:45]
	s_cbranch_execnz .LBB1744_330
.LBB1744_296:                           ;   in Loop: Header=BB1744_228 Depth=2
	s_or_b64 exec, exec, s[60:61]
	s_and_saveexec_b64 s[60:61], s[46:47]
	s_cbranch_execnz .LBB1744_331
.LBB1744_297:                           ;   in Loop: Header=BB1744_228 Depth=2
	s_or_b64 exec, exec, s[60:61]
	s_and_saveexec_b64 s[60:61], s[48:49]
	s_cbranch_execnz .LBB1744_332
.LBB1744_298:                           ;   in Loop: Header=BB1744_228 Depth=2
	s_or_b64 exec, exec, s[60:61]
	s_and_saveexec_b64 s[60:61], s[50:51]
	s_cbranch_execz .LBB1744_300
.LBB1744_299:                           ;   in Loop: Header=BB1744_228 Depth=2
	ds_read_u16 v21, v47 offset:4608
	s_waitcnt lgkmcnt(0)
	v_cmp_ne_u16_e64 s[52:53], s7, v21
	v_cndmask_b32_e64 v21, v65, v21, s[52:53]
	v_lshrrev_b32_sdwa v21, s62, v21 dst_sel:DWORD dst_unused:UNUSED_PAD src0_sel:DWORD src1_sel:WORD_0
	v_and_b32_e32 v87, s63, v21
.LBB1744_300:                           ;   in Loop: Header=BB1744_228 Depth=2
	s_or_b64 exec, exec, s[60:61]
	v_lshlrev_b32_e32 v21, 3, v108
	s_waitcnt vmcnt(0)
	s_barrier
	ds_write_b64 v21, v[19:20] offset:1024
	v_lshlrev_b32_e32 v21, 3, v105
	ds_write_b64 v21, v[17:18] offset:1024
	v_lshlrev_b32_e32 v21, 3, v102
	;; [unrolled: 2-line block ×7, first 2 shown]
	ds_write_b64 v21, v[5:6] offset:1024
	s_waitcnt lgkmcnt(0)
	s_barrier
	s_and_saveexec_b64 s[52:53], vcc
	s_cbranch_execnz .LBB1744_333
; %bb.301:                              ;   in Loop: Header=BB1744_228 Depth=2
	s_or_b64 exec, exec, s[52:53]
	s_and_saveexec_b64 s[52:53], s[38:39]
	s_cbranch_execnz .LBB1744_334
.LBB1744_302:                           ;   in Loop: Header=BB1744_228 Depth=2
	s_or_b64 exec, exec, s[52:53]
	s_and_saveexec_b64 s[38:39], s[40:41]
	s_cbranch_execnz .LBB1744_335
.LBB1744_303:                           ;   in Loop: Header=BB1744_228 Depth=2
	s_or_b64 exec, exec, s[38:39]
	s_and_saveexec_b64 s[38:39], s[42:43]
	s_cbranch_execnz .LBB1744_336
.LBB1744_304:                           ;   in Loop: Header=BB1744_228 Depth=2
	s_or_b64 exec, exec, s[38:39]
	s_and_saveexec_b64 s[38:39], s[44:45]
	s_cbranch_execnz .LBB1744_337
.LBB1744_305:                           ;   in Loop: Header=BB1744_228 Depth=2
	s_or_b64 exec, exec, s[38:39]
	s_and_saveexec_b64 s[38:39], s[46:47]
	s_cbranch_execnz .LBB1744_338
.LBB1744_306:                           ;   in Loop: Header=BB1744_228 Depth=2
	s_or_b64 exec, exec, s[38:39]
	s_and_saveexec_b64 s[38:39], s[48:49]
	s_cbranch_execnz .LBB1744_339
.LBB1744_307:                           ;   in Loop: Header=BB1744_228 Depth=2
	s_or_b64 exec, exec, s[38:39]
	s_and_saveexec_b64 s[38:39], s[50:51]
	s_cbranch_execz .LBB1744_309
.LBB1744_308:                           ;   in Loop: Header=BB1744_228 Depth=2
	v_lshlrev_b32_e32 v21, 2, v87
	ds_read_b32 v23, v21
	v_add_u32_e32 v21, v47, v48
	ds_read_b64 v[21:22], v21 offset:15360
	v_mov_b32_e32 v24, v3
	v_mov_b32_e32 v96, s75
	s_waitcnt lgkmcnt(1)
	v_add_u32_e32 v23, v23, v34
	v_lshlrev_b64 v[23:24], 3, v[23:24]
	v_add_co_u32_e32 v23, vcc, s74, v23
	v_addc_co_u32_e32 v24, vcc, v96, v24, vcc
	s_waitcnt lgkmcnt(0)
	global_store_dwordx2 v[23:24], v[21:22], off
.LBB1744_309:                           ;   in Loop: Header=BB1744_228 Depth=2
	s_or_b64 exec, exec, s[38:39]
	s_waitcnt vmcnt(0)
	s_barrier
	s_and_saveexec_b64 s[38:39], s[4:5]
	s_cbranch_execz .LBB1744_227
; %bb.310:                              ;   in Loop: Header=BB1744_228 Depth=2
	ds_read_b32 v21, v25
	s_waitcnt lgkmcnt(0)
	v_add_u32_e32 v4, v21, v4
	ds_write_b32 v25, v4
	s_branch .LBB1744_227
.LBB1744_311:                           ;   in Loop: Header=BB1744_228 Depth=2
	ds_read_u16 v21, v47 offset:1024
	v_mov_b32_e32 v22, v3
	v_mov_b32_e32 v99, s69
	s_waitcnt lgkmcnt(0)
	v_cmp_ne_u16_e64 s[38:39], s7, v21
	v_cndmask_b32_e64 v97, v65, v21, s[38:39]
	v_lshrrev_b32_sdwa v97, s62, v97 dst_sel:DWORD dst_unused:UNUSED_PAD src0_sel:DWORD src1_sel:WORD_0
	v_and_b32_e32 v97, s63, v97
	v_lshlrev_b32_e32 v97, 2, v97
	ds_read_b32 v97, v97
	v_cmp_gt_i16_e64 s[38:39], 0, v21
	v_cndmask_b32_e64 v103, v65, 0, s[38:39]
	v_xor_b32_e32 v103, v103, v21
	s_waitcnt lgkmcnt(0)
	v_add_u32_e32 v21, v97, v0
	v_lshlrev_b64 v[21:22], 1, v[21:22]
	v_add_co_u32_e64 v21, s[38:39], s68, v21
	v_addc_co_u32_e64 v22, s[38:39], v99, v22, s[38:39]
	global_store_short v[21:22], v103, off
	s_or_b64 exec, exec, s[40:41]
	v_cmp_lt_u32_e64 s[38:39], v26, v96
	s_and_saveexec_b64 s[42:43], s[38:39]
	s_cbranch_execz .LBB1744_276
.LBB1744_312:                           ;   in Loop: Header=BB1744_228 Depth=2
	ds_read_u16 v21, v47 offset:1536
	v_mov_b32_e32 v22, v3
	v_mov_b32_e32 v99, s69
	s_waitcnt lgkmcnt(0)
	v_cmp_ne_u16_e64 s[40:41], s7, v21
	v_cndmask_b32_e64 v97, v65, v21, s[40:41]
	v_lshrrev_b32_sdwa v97, s62, v97 dst_sel:DWORD dst_unused:UNUSED_PAD src0_sel:DWORD src1_sel:WORD_0
	v_and_b32_e32 v97, s63, v97
	v_lshlrev_b32_e32 v97, 2, v97
	ds_read_b32 v97, v97
	v_cmp_gt_i16_e64 s[40:41], 0, v21
	v_cndmask_b32_e64 v103, v65, 0, s[40:41]
	v_xor_b32_e32 v103, v103, v21
	s_waitcnt lgkmcnt(0)
	v_add_u32_e32 v21, v97, v26
	v_lshlrev_b64 v[21:22], 1, v[21:22]
	v_add_co_u32_e64 v21, s[40:41], s68, v21
	v_addc_co_u32_e64 v22, s[40:41], v99, v22, s[40:41]
	global_store_short v[21:22], v103, off
	s_or_b64 exec, exec, s[42:43]
	v_cmp_lt_u32_e64 s[40:41], v27, v96
	s_and_saveexec_b64 s[44:45], s[40:41]
	s_cbranch_execz .LBB1744_277
.LBB1744_313:                           ;   in Loop: Header=BB1744_228 Depth=2
	ds_read_u16 v21, v47 offset:2048
	v_mov_b32_e32 v22, v3
	v_mov_b32_e32 v99, s69
	s_waitcnt lgkmcnt(0)
	v_cmp_ne_u16_e64 s[42:43], s7, v21
	v_cndmask_b32_e64 v97, v65, v21, s[42:43]
	v_lshrrev_b32_sdwa v97, s62, v97 dst_sel:DWORD dst_unused:UNUSED_PAD src0_sel:DWORD src1_sel:WORD_0
	v_and_b32_e32 v97, s63, v97
	v_lshlrev_b32_e32 v97, 2, v97
	ds_read_b32 v97, v97
	v_cmp_gt_i16_e64 s[42:43], 0, v21
	v_cndmask_b32_e64 v103, v65, 0, s[42:43]
	v_xor_b32_e32 v103, v103, v21
	s_waitcnt lgkmcnt(0)
	v_add_u32_e32 v21, v97, v27
	v_lshlrev_b64 v[21:22], 1, v[21:22]
	v_add_co_u32_e64 v21, s[42:43], s68, v21
	v_addc_co_u32_e64 v22, s[42:43], v99, v22, s[42:43]
	global_store_short v[21:22], v103, off
	s_or_b64 exec, exec, s[44:45]
	v_cmp_lt_u32_e64 s[42:43], v28, v96
	s_and_saveexec_b64 s[46:47], s[42:43]
	s_cbranch_execz .LBB1744_278
.LBB1744_314:                           ;   in Loop: Header=BB1744_228 Depth=2
	ds_read_u16 v21, v47 offset:2560
	v_mov_b32_e32 v22, v3
	v_mov_b32_e32 v99, s69
	s_waitcnt lgkmcnt(0)
	v_cmp_ne_u16_e64 s[44:45], s7, v21
	v_cndmask_b32_e64 v97, v65, v21, s[44:45]
	v_lshrrev_b32_sdwa v97, s62, v97 dst_sel:DWORD dst_unused:UNUSED_PAD src0_sel:DWORD src1_sel:WORD_0
	v_and_b32_e32 v97, s63, v97
	v_lshlrev_b32_e32 v97, 2, v97
	ds_read_b32 v97, v97
	v_cmp_gt_i16_e64 s[44:45], 0, v21
	v_cndmask_b32_e64 v103, v65, 0, s[44:45]
	v_xor_b32_e32 v103, v103, v21
	s_waitcnt lgkmcnt(0)
	v_add_u32_e32 v21, v97, v28
	v_lshlrev_b64 v[21:22], 1, v[21:22]
	v_add_co_u32_e64 v21, s[44:45], s68, v21
	v_addc_co_u32_e64 v22, s[44:45], v99, v22, s[44:45]
	global_store_short v[21:22], v103, off
	s_or_b64 exec, exec, s[46:47]
	v_cmp_lt_u32_e64 s[44:45], v31, v96
	s_and_saveexec_b64 s[48:49], s[44:45]
	s_cbranch_execz .LBB1744_279
.LBB1744_315:                           ;   in Loop: Header=BB1744_228 Depth=2
	ds_read_u16 v21, v47 offset:3072
	v_mov_b32_e32 v22, v3
	v_mov_b32_e32 v99, s69
	s_waitcnt lgkmcnt(0)
	v_cmp_ne_u16_e64 s[46:47], s7, v21
	v_cndmask_b32_e64 v97, v65, v21, s[46:47]
	v_lshrrev_b32_sdwa v97, s62, v97 dst_sel:DWORD dst_unused:UNUSED_PAD src0_sel:DWORD src1_sel:WORD_0
	v_and_b32_e32 v97, s63, v97
	v_lshlrev_b32_e32 v97, 2, v97
	ds_read_b32 v97, v97
	v_cmp_gt_i16_e64 s[46:47], 0, v21
	v_cndmask_b32_e64 v103, v65, 0, s[46:47]
	v_xor_b32_e32 v103, v103, v21
	s_waitcnt lgkmcnt(0)
	v_add_u32_e32 v21, v97, v31
	v_lshlrev_b64 v[21:22], 1, v[21:22]
	v_add_co_u32_e64 v21, s[46:47], s68, v21
	v_addc_co_u32_e64 v22, s[46:47], v99, v22, s[46:47]
	global_store_short v[21:22], v103, off
	s_or_b64 exec, exec, s[48:49]
	v_cmp_lt_u32_e64 s[46:47], v32, v96
	s_and_saveexec_b64 s[50:51], s[46:47]
	s_cbranch_execz .LBB1744_280
.LBB1744_316:                           ;   in Loop: Header=BB1744_228 Depth=2
	ds_read_u16 v21, v47 offset:3584
	v_mov_b32_e32 v22, v3
	v_mov_b32_e32 v99, s69
	s_waitcnt lgkmcnt(0)
	v_cmp_ne_u16_e64 s[48:49], s7, v21
	v_cndmask_b32_e64 v97, v65, v21, s[48:49]
	v_lshrrev_b32_sdwa v97, s62, v97 dst_sel:DWORD dst_unused:UNUSED_PAD src0_sel:DWORD src1_sel:WORD_0
	v_and_b32_e32 v97, s63, v97
	v_lshlrev_b32_e32 v97, 2, v97
	ds_read_b32 v97, v97
	v_cmp_gt_i16_e64 s[48:49], 0, v21
	v_cndmask_b32_e64 v103, v65, 0, s[48:49]
	v_xor_b32_e32 v103, v103, v21
	s_waitcnt lgkmcnt(0)
	v_add_u32_e32 v21, v97, v32
	v_lshlrev_b64 v[21:22], 1, v[21:22]
	v_add_co_u32_e64 v21, s[48:49], s68, v21
	v_addc_co_u32_e64 v22, s[48:49], v99, v22, s[48:49]
	global_store_short v[21:22], v103, off
	s_or_b64 exec, exec, s[50:51]
	v_cmp_lt_u32_e64 s[48:49], v33, v96
	s_and_saveexec_b64 s[52:53], s[48:49]
	s_cbranch_execz .LBB1744_281
.LBB1744_317:                           ;   in Loop: Header=BB1744_228 Depth=2
	ds_read_u16 v21, v47 offset:4096
	v_mov_b32_e32 v22, v3
	v_mov_b32_e32 v99, s69
	s_waitcnt lgkmcnt(0)
	v_cmp_ne_u16_e64 s[50:51], s7, v21
	v_cndmask_b32_e64 v97, v65, v21, s[50:51]
	v_lshrrev_b32_sdwa v97, s62, v97 dst_sel:DWORD dst_unused:UNUSED_PAD src0_sel:DWORD src1_sel:WORD_0
	v_and_b32_e32 v97, s63, v97
	v_lshlrev_b32_e32 v97, 2, v97
	ds_read_b32 v97, v97
	v_cmp_gt_i16_e64 s[50:51], 0, v21
	v_cndmask_b32_e64 v103, v65, 0, s[50:51]
	v_xor_b32_e32 v103, v103, v21
	s_waitcnt lgkmcnt(0)
	v_add_u32_e32 v21, v97, v33
	v_lshlrev_b64 v[21:22], 1, v[21:22]
	v_add_co_u32_e64 v21, s[50:51], s68, v21
	v_addc_co_u32_e64 v22, s[50:51], v99, v22, s[50:51]
	global_store_short v[21:22], v103, off
	s_or_b64 exec, exec, s[52:53]
	v_cmp_lt_u32_e64 s[50:51], v34, v96
	s_and_saveexec_b64 s[60:61], s[50:51]
	s_cbranch_execnz .LBB1744_282
	s_branch .LBB1744_283
.LBB1744_318:                           ;   in Loop: Header=BB1744_228 Depth=2
	global_load_dwordx2 v[19:20], v[21:22], off
	s_or_b64 exec, exec, s[52:53]
	v_cmp_lt_u32_e64 s[52:53], v74, v96
	s_and_saveexec_b64 s[60:61], s[52:53]
	s_cbranch_execz .LBB1744_285
.LBB1744_319:                           ;   in Loop: Header=BB1744_228 Depth=2
	global_load_dwordx2 v[17:18], v[21:22], off offset:512
	s_or_b64 exec, exec, s[60:61]
	v_cmp_lt_u32_e64 s[52:53], v75, v96
	s_and_saveexec_b64 s[60:61], s[52:53]
	s_cbranch_execz .LBB1744_286
.LBB1744_320:                           ;   in Loop: Header=BB1744_228 Depth=2
	global_load_dwordx2 v[15:16], v[21:22], off offset:1024
	s_or_b64 exec, exec, s[60:61]
	v_cmp_lt_u32_e64 s[52:53], v76, v96
	s_and_saveexec_b64 s[60:61], s[52:53]
	s_cbranch_execz .LBB1744_287
.LBB1744_321:                           ;   in Loop: Header=BB1744_228 Depth=2
	global_load_dwordx2 v[13:14], v[21:22], off offset:1536
	s_or_b64 exec, exec, s[60:61]
	v_cmp_lt_u32_e64 s[52:53], v77, v96
	s_and_saveexec_b64 s[60:61], s[52:53]
	s_cbranch_execz .LBB1744_288
.LBB1744_322:                           ;   in Loop: Header=BB1744_228 Depth=2
	global_load_dwordx2 v[11:12], v[21:22], off offset:2048
	s_or_b64 exec, exec, s[60:61]
	v_cmp_lt_u32_e64 s[52:53], v78, v96
	s_and_saveexec_b64 s[60:61], s[52:53]
	s_cbranch_execz .LBB1744_289
.LBB1744_323:                           ;   in Loop: Header=BB1744_228 Depth=2
	global_load_dwordx2 v[9:10], v[21:22], off offset:2560
	s_or_b64 exec, exec, s[60:61]
	v_cmp_lt_u32_e64 s[52:53], v79, v96
	s_and_saveexec_b64 s[60:61], s[52:53]
	s_cbranch_execz .LBB1744_290
.LBB1744_324:                           ;   in Loop: Header=BB1744_228 Depth=2
	global_load_dwordx2 v[7:8], v[21:22], off offset:3072
	s_or_b64 exec, exec, s[60:61]
	v_cmp_lt_u32_e64 s[52:53], v80, v96
	s_and_saveexec_b64 s[60:61], s[52:53]
	s_cbranch_execz .LBB1744_291
.LBB1744_325:                           ;   in Loop: Header=BB1744_228 Depth=2
	global_load_dwordx2 v[5:6], v[21:22], off offset:3584
	s_or_b64 exec, exec, s[60:61]
	s_and_saveexec_b64 s[60:61], vcc
	s_cbranch_execz .LBB1744_292
.LBB1744_326:                           ;   in Loop: Header=BB1744_228 Depth=2
	ds_read_u16 v21, v47 offset:1024
	s_waitcnt lgkmcnt(0)
	v_cmp_ne_u16_e64 s[52:53], s7, v21
	v_cndmask_b32_e64 v21, v65, v21, s[52:53]
	v_lshrrev_b32_sdwa v21, s62, v21 dst_sel:DWORD dst_unused:UNUSED_PAD src0_sel:DWORD src1_sel:WORD_0
	v_and_b32_e32 v95, s63, v21
	s_or_b64 exec, exec, s[60:61]
	s_and_saveexec_b64 s[60:61], s[38:39]
	s_cbranch_execz .LBB1744_293
.LBB1744_327:                           ;   in Loop: Header=BB1744_228 Depth=2
	ds_read_u16 v21, v47 offset:1536
	s_waitcnt lgkmcnt(0)
	v_cmp_ne_u16_e64 s[52:53], s7, v21
	v_cndmask_b32_e64 v21, v65, v21, s[52:53]
	v_lshrrev_b32_sdwa v21, s62, v21 dst_sel:DWORD dst_unused:UNUSED_PAD src0_sel:DWORD src1_sel:WORD_0
	v_and_b32_e32 v94, s63, v21
	s_or_b64 exec, exec, s[60:61]
	s_and_saveexec_b64 s[60:61], s[40:41]
	s_cbranch_execz .LBB1744_294
.LBB1744_328:                           ;   in Loop: Header=BB1744_228 Depth=2
	ds_read_u16 v21, v47 offset:2048
	s_waitcnt lgkmcnt(0)
	v_cmp_ne_u16_e64 s[52:53], s7, v21
	v_cndmask_b32_e64 v21, v65, v21, s[52:53]
	v_lshrrev_b32_sdwa v21, s62, v21 dst_sel:DWORD dst_unused:UNUSED_PAD src0_sel:DWORD src1_sel:WORD_0
	v_and_b32_e32 v93, s63, v21
	s_or_b64 exec, exec, s[60:61]
	s_and_saveexec_b64 s[60:61], s[42:43]
	s_cbranch_execz .LBB1744_295
.LBB1744_329:                           ;   in Loop: Header=BB1744_228 Depth=2
	ds_read_u16 v21, v47 offset:2560
	s_waitcnt lgkmcnt(0)
	v_cmp_ne_u16_e64 s[52:53], s7, v21
	v_cndmask_b32_e64 v21, v65, v21, s[52:53]
	v_lshrrev_b32_sdwa v21, s62, v21 dst_sel:DWORD dst_unused:UNUSED_PAD src0_sel:DWORD src1_sel:WORD_0
	v_and_b32_e32 v92, s63, v21
	s_or_b64 exec, exec, s[60:61]
	s_and_saveexec_b64 s[60:61], s[44:45]
	s_cbranch_execz .LBB1744_296
.LBB1744_330:                           ;   in Loop: Header=BB1744_228 Depth=2
	ds_read_u16 v21, v47 offset:3072
	s_waitcnt lgkmcnt(0)
	v_cmp_ne_u16_e64 s[52:53], s7, v21
	v_cndmask_b32_e64 v21, v65, v21, s[52:53]
	v_lshrrev_b32_sdwa v21, s62, v21 dst_sel:DWORD dst_unused:UNUSED_PAD src0_sel:DWORD src1_sel:WORD_0
	v_and_b32_e32 v90, s63, v21
	s_or_b64 exec, exec, s[60:61]
	s_and_saveexec_b64 s[60:61], s[46:47]
	s_cbranch_execz .LBB1744_297
.LBB1744_331:                           ;   in Loop: Header=BB1744_228 Depth=2
	ds_read_u16 v21, v47 offset:3584
	s_waitcnt lgkmcnt(0)
	v_cmp_ne_u16_e64 s[52:53], s7, v21
	v_cndmask_b32_e64 v21, v65, v21, s[52:53]
	v_lshrrev_b32_sdwa v21, s62, v21 dst_sel:DWORD dst_unused:UNUSED_PAD src0_sel:DWORD src1_sel:WORD_0
	v_and_b32_e32 v89, s63, v21
	s_or_b64 exec, exec, s[60:61]
	s_and_saveexec_b64 s[60:61], s[48:49]
	s_cbranch_execz .LBB1744_298
.LBB1744_332:                           ;   in Loop: Header=BB1744_228 Depth=2
	ds_read_u16 v21, v47 offset:4096
	s_waitcnt lgkmcnt(0)
	v_cmp_ne_u16_e64 s[52:53], s7, v21
	v_cndmask_b32_e64 v21, v65, v21, s[52:53]
	v_lshrrev_b32_sdwa v21, s62, v21 dst_sel:DWORD dst_unused:UNUSED_PAD src0_sel:DWORD src1_sel:WORD_0
	v_and_b32_e32 v88, s63, v21
	s_or_b64 exec, exec, s[60:61]
	s_and_saveexec_b64 s[60:61], s[50:51]
	s_cbranch_execnz .LBB1744_299
	s_branch .LBB1744_300
.LBB1744_333:                           ;   in Loop: Header=BB1744_228 Depth=2
	v_lshlrev_b32_e32 v21, 2, v95
	ds_read_b32 v23, v21
	v_add_u32_e32 v21, v47, v48
	ds_read_b64 v[21:22], v21 offset:1024
	v_mov_b32_e32 v24, v3
	v_mov_b32_e32 v96, s75
	s_waitcnt lgkmcnt(1)
	v_add_u32_e32 v23, v23, v0
	v_lshlrev_b64 v[23:24], 3, v[23:24]
	v_add_co_u32_e32 v23, vcc, s74, v23
	v_addc_co_u32_e32 v24, vcc, v96, v24, vcc
	s_waitcnt lgkmcnt(0)
	global_store_dwordx2 v[23:24], v[21:22], off
	s_or_b64 exec, exec, s[52:53]
	s_and_saveexec_b64 s[52:53], s[38:39]
	s_cbranch_execz .LBB1744_302
.LBB1744_334:                           ;   in Loop: Header=BB1744_228 Depth=2
	v_lshlrev_b32_e32 v21, 2, v94
	ds_read_b32 v23, v21
	v_add_u32_e32 v21, v47, v48
	ds_read_b64 v[21:22], v21 offset:3072
	v_mov_b32_e32 v24, v3
	v_mov_b32_e32 v96, s75
	s_waitcnt lgkmcnt(1)
	v_add_u32_e32 v23, v23, v26
	v_lshlrev_b64 v[23:24], 3, v[23:24]
	v_add_co_u32_e32 v23, vcc, s74, v23
	v_addc_co_u32_e32 v24, vcc, v96, v24, vcc
	s_waitcnt lgkmcnt(0)
	global_store_dwordx2 v[23:24], v[21:22], off
	s_or_b64 exec, exec, s[52:53]
	s_and_saveexec_b64 s[38:39], s[40:41]
	s_cbranch_execz .LBB1744_303
.LBB1744_335:                           ;   in Loop: Header=BB1744_228 Depth=2
	v_lshlrev_b32_e32 v21, 2, v93
	ds_read_b32 v23, v21
	v_add_u32_e32 v21, v47, v48
	ds_read_b64 v[21:22], v21 offset:5120
	v_mov_b32_e32 v24, v3
	v_mov_b32_e32 v96, s75
	s_waitcnt lgkmcnt(1)
	v_add_u32_e32 v23, v23, v27
	v_lshlrev_b64 v[23:24], 3, v[23:24]
	v_add_co_u32_e32 v23, vcc, s74, v23
	v_addc_co_u32_e32 v24, vcc, v96, v24, vcc
	s_waitcnt lgkmcnt(0)
	global_store_dwordx2 v[23:24], v[21:22], off
	s_or_b64 exec, exec, s[38:39]
	s_and_saveexec_b64 s[38:39], s[42:43]
	s_cbranch_execz .LBB1744_304
.LBB1744_336:                           ;   in Loop: Header=BB1744_228 Depth=2
	v_lshlrev_b32_e32 v21, 2, v92
	ds_read_b32 v23, v21
	v_add_u32_e32 v21, v47, v48
	ds_read_b64 v[21:22], v21 offset:7168
	v_mov_b32_e32 v24, v3
	v_mov_b32_e32 v96, s75
	s_waitcnt lgkmcnt(1)
	v_add_u32_e32 v23, v23, v28
	v_lshlrev_b64 v[23:24], 3, v[23:24]
	v_add_co_u32_e32 v23, vcc, s74, v23
	v_addc_co_u32_e32 v24, vcc, v96, v24, vcc
	s_waitcnt lgkmcnt(0)
	global_store_dwordx2 v[23:24], v[21:22], off
	s_or_b64 exec, exec, s[38:39]
	s_and_saveexec_b64 s[38:39], s[44:45]
	s_cbranch_execz .LBB1744_305
.LBB1744_337:                           ;   in Loop: Header=BB1744_228 Depth=2
	v_lshlrev_b32_e32 v21, 2, v90
	ds_read_b32 v23, v21
	v_add_u32_e32 v21, v47, v48
	ds_read_b64 v[21:22], v21 offset:9216
	v_mov_b32_e32 v24, v3
	v_mov_b32_e32 v96, s75
	s_waitcnt lgkmcnt(1)
	v_add_u32_e32 v23, v23, v31
	v_lshlrev_b64 v[23:24], 3, v[23:24]
	v_add_co_u32_e32 v23, vcc, s74, v23
	v_addc_co_u32_e32 v24, vcc, v96, v24, vcc
	s_waitcnt lgkmcnt(0)
	global_store_dwordx2 v[23:24], v[21:22], off
	s_or_b64 exec, exec, s[38:39]
	s_and_saveexec_b64 s[38:39], s[46:47]
	s_cbranch_execz .LBB1744_306
.LBB1744_338:                           ;   in Loop: Header=BB1744_228 Depth=2
	v_lshlrev_b32_e32 v21, 2, v89
	ds_read_b32 v23, v21
	v_add_u32_e32 v21, v47, v48
	ds_read_b64 v[21:22], v21 offset:11264
	v_mov_b32_e32 v24, v3
	v_mov_b32_e32 v96, s75
	s_waitcnt lgkmcnt(1)
	v_add_u32_e32 v23, v23, v32
	v_lshlrev_b64 v[23:24], 3, v[23:24]
	v_add_co_u32_e32 v23, vcc, s74, v23
	v_addc_co_u32_e32 v24, vcc, v96, v24, vcc
	s_waitcnt lgkmcnt(0)
	global_store_dwordx2 v[23:24], v[21:22], off
	s_or_b64 exec, exec, s[38:39]
	s_and_saveexec_b64 s[38:39], s[48:49]
	s_cbranch_execz .LBB1744_307
.LBB1744_339:                           ;   in Loop: Header=BB1744_228 Depth=2
	v_lshlrev_b32_e32 v21, 2, v88
	ds_read_b32 v23, v21
	v_add_u32_e32 v21, v47, v48
	ds_read_b64 v[21:22], v21 offset:13312
	v_mov_b32_e32 v24, v3
	v_mov_b32_e32 v96, s75
	s_waitcnt lgkmcnt(1)
	v_add_u32_e32 v23, v23, v33
	v_lshlrev_b64 v[23:24], 3, v[23:24]
	v_add_co_u32_e32 v23, vcc, s74, v23
	v_addc_co_u32_e32 v24, vcc, v96, v24, vcc
	s_waitcnt lgkmcnt(0)
	global_store_dwordx2 v[23:24], v[21:22], off
	s_or_b64 exec, exec, s[38:39]
	s_and_saveexec_b64 s[38:39], s[50:51]
	s_cbranch_execnz .LBB1744_308
	s_branch .LBB1744_309
.LBB1744_340:                           ;   in Loop: Header=BB1744_12 Depth=1
	s_waitcnt lgkmcnt(0)
	s_barrier
.LBB1744_341:                           ;   in Loop: Header=BB1744_12 Depth=1
	s_mov_b64 s[18:19], 0
.LBB1744_342:                           ;   in Loop: Header=BB1744_12 Depth=1
	s_andn2_b64 vcc, exec, s[18:19]
	s_cbranch_vccnz .LBB1744_11
; %bb.343:                              ;   in Loop: Header=BB1744_12 Depth=1
	s_mov_b64 s[18:19], -1
	s_and_b64 vcc, exec, s[54:55]
	s_cbranch_vccz .LBB1744_507
; %bb.344:                              ;   in Loop: Header=BB1744_12 Depth=1
	s_mov_b32 s22, s79
	s_mov_b32 s58, s80
	s_barrier
                                        ; implicit-def: $vgpr4
                                        ; implicit-def: $vgpr5
                                        ; implicit-def: $vgpr6
                                        ; implicit-def: $vgpr7
                                        ; implicit-def: $vgpr8
                                        ; implicit-def: $vgpr9
                                        ; implicit-def: $vgpr10
                                        ; implicit-def: $vgpr11
	s_branch .LBB1744_346
.LBB1744_345:                           ;   in Loop: Header=BB1744_346 Depth=2
	s_or_b64 exec, exec, s[18:19]
	s_addk_i32 s22, 0xf800
	s_cmp_ge_u32 s23, s81
	s_mov_b32 s58, s23
	s_cbranch_scc1 .LBB1744_382
.LBB1744_346:                           ;   Parent Loop BB1744_12 Depth=1
                                        ; =>  This Inner Loop Header: Depth=2
	s_add_i32 s23, s58, 0x800
	s_cmp_gt_u32 s23, s81
	s_mov_b64 s[18:19], -1
                                        ; implicit-def: $vgpr12
                                        ; implicit-def: $vgpr13
                                        ; implicit-def: $vgpr14
                                        ; implicit-def: $vgpr15
                                        ; implicit-def: $vgpr16
                                        ; implicit-def: $vgpr17
                                        ; implicit-def: $vgpr18
                                        ; implicit-def: $vgpr19
	s_cbranch_scc1 .LBB1744_348
; %bb.347:                              ;   in Loop: Header=BB1744_346 Depth=2
	s_lshl_b64 s[18:19], s[58:59], 1
	v_mov_b32_e32 v12, s19
	v_add_co_u32_e32 v20, vcc, s18, v55
	v_addc_co_u32_e32 v21, vcc, v56, v12, vcc
	global_load_ushort v12, v[20:21], off
	global_load_ushort v13, v[20:21], off offset:512
	global_load_ushort v14, v[20:21], off offset:1024
	global_load_ushort v15, v[20:21], off offset:1536
	global_load_ushort v16, v[20:21], off offset:2048
	global_load_ushort v17, v[20:21], off offset:2560
	global_load_ushort v18, v[20:21], off offset:3072
	global_load_ushort v19, v[20:21], off offset:3584
	s_mov_b64 s[18:19], 0
.LBB1744_348:                           ;   in Loop: Header=BB1744_346 Depth=2
	s_andn2_b64 vcc, exec, s[18:19]
	s_movk_i32 s20, 0x800
	s_cbranch_vccnz .LBB1744_359
; %bb.349:                              ;   in Loop: Header=BB1744_346 Depth=2
	s_lshl_b64 s[18:19], s[58:59], 1
	s_add_u32 s18, s64, s18
	s_addc_u32 s19, s65, s19
	v_cmp_gt_u32_e32 vcc, s22, v0
	s_and_saveexec_b64 s[20:21], vcc
	s_cbranch_execnz .LBB1744_375
; %bb.350:                              ;   in Loop: Header=BB1744_346 Depth=2
	s_or_b64 exec, exec, s[20:21]
	v_cmp_gt_u32_e32 vcc, s22, v26
	s_and_saveexec_b64 s[20:21], vcc
	s_cbranch_execnz .LBB1744_376
.LBB1744_351:                           ;   in Loop: Header=BB1744_346 Depth=2
	s_or_b64 exec, exec, s[20:21]
	v_cmp_gt_u32_e32 vcc, s22, v27
	s_and_saveexec_b64 s[20:21], vcc
	s_cbranch_execnz .LBB1744_377
.LBB1744_352:                           ;   in Loop: Header=BB1744_346 Depth=2
	s_or_b64 exec, exec, s[20:21]
	v_cmp_gt_u32_e32 vcc, s22, v28
	s_and_saveexec_b64 s[20:21], vcc
	s_cbranch_execnz .LBB1744_378
.LBB1744_353:                           ;   in Loop: Header=BB1744_346 Depth=2
	s_or_b64 exec, exec, s[20:21]
	v_cmp_gt_u32_e32 vcc, s22, v31
	s_and_saveexec_b64 s[20:21], vcc
	s_cbranch_execnz .LBB1744_379
.LBB1744_354:                           ;   in Loop: Header=BB1744_346 Depth=2
	s_or_b64 exec, exec, s[20:21]
	v_cmp_gt_u32_e32 vcc, s22, v32
	s_and_saveexec_b64 s[20:21], vcc
	s_cbranch_execnz .LBB1744_380
.LBB1744_355:                           ;   in Loop: Header=BB1744_346 Depth=2
	s_or_b64 exec, exec, s[20:21]
	v_cmp_gt_u32_e32 vcc, s22, v33
	s_and_saveexec_b64 s[20:21], vcc
	s_cbranch_execnz .LBB1744_381
.LBB1744_356:                           ;   in Loop: Header=BB1744_346 Depth=2
	s_or_b64 exec, exec, s[20:21]
	v_cmp_gt_u32_e32 vcc, s22, v34
	s_and_saveexec_b64 s[20:21], vcc
	s_cbranch_execz .LBB1744_358
.LBB1744_357:                           ;   in Loop: Header=BB1744_346 Depth=2
	global_load_ushort v4, v64, s[18:19] offset:3584
.LBB1744_358:                           ;   in Loop: Header=BB1744_346 Depth=2
	s_or_b64 exec, exec, s[20:21]
	s_mov_b32 s20, s22
	s_waitcnt vmcnt(0)
	v_mov_b32_e32 v12, v11
	v_mov_b32_e32 v13, v10
	;; [unrolled: 1-line block ×8, first 2 shown]
.LBB1744_359:                           ;   in Loop: Header=BB1744_346 Depth=2
	s_waitcnt vmcnt(0)
	v_mov_b32_e32 v4, v19
	v_mov_b32_e32 v5, v18
	;; [unrolled: 1-line block ×8, first 2 shown]
	v_cmp_gt_u32_e32 vcc, s20, v0
	s_and_saveexec_b64 s[18:19], vcc
	s_cbranch_execnz .LBB1744_367
; %bb.360:                              ;   in Loop: Header=BB1744_346 Depth=2
	s_or_b64 exec, exec, s[18:19]
	v_cmp_gt_u32_e32 vcc, s20, v26
	s_and_saveexec_b64 s[18:19], vcc
	s_cbranch_execnz .LBB1744_368
.LBB1744_361:                           ;   in Loop: Header=BB1744_346 Depth=2
	s_or_b64 exec, exec, s[18:19]
	v_cmp_gt_u32_e32 vcc, s20, v27
	s_and_saveexec_b64 s[18:19], vcc
	s_cbranch_execnz .LBB1744_369
.LBB1744_362:                           ;   in Loop: Header=BB1744_346 Depth=2
	s_or_b64 exec, exec, s[18:19]
	v_cmp_gt_u32_e32 vcc, s20, v28
	s_and_saveexec_b64 s[18:19], vcc
	s_cbranch_execnz .LBB1744_370
.LBB1744_363:                           ;   in Loop: Header=BB1744_346 Depth=2
	s_or_b64 exec, exec, s[18:19]
	v_cmp_gt_u32_e32 vcc, s20, v31
	s_and_saveexec_b64 s[18:19], vcc
	s_cbranch_execnz .LBB1744_371
.LBB1744_364:                           ;   in Loop: Header=BB1744_346 Depth=2
	s_or_b64 exec, exec, s[18:19]
	v_cmp_gt_u32_e32 vcc, s20, v32
	s_and_saveexec_b64 s[18:19], vcc
	s_cbranch_execnz .LBB1744_372
.LBB1744_365:                           ;   in Loop: Header=BB1744_346 Depth=2
	s_or_b64 exec, exec, s[18:19]
	v_cmp_gt_u32_e32 vcc, s20, v33
	s_and_saveexec_b64 s[18:19], vcc
	s_cbranch_execnz .LBB1744_373
.LBB1744_366:                           ;   in Loop: Header=BB1744_346 Depth=2
	s_or_b64 exec, exec, s[18:19]
	v_cmp_gt_u32_e32 vcc, s20, v34
	s_and_saveexec_b64 s[18:19], vcc
	s_cbranch_execz .LBB1744_345
	s_branch .LBB1744_374
.LBB1744_367:                           ;   in Loop: Header=BB1744_346 Depth=2
	v_cmp_gt_i16_e32 vcc, 0, v11
	v_cndmask_b32_e64 v12, v65, 0, vcc
	v_xor_b32_e32 v12, v12, v11
	v_cmp_ne_u16_e32 vcc, s7, v12
	v_cndmask_b32_e32 v12, v65, v12, vcc
	v_lshrrev_b32_sdwa v12, s77, v12 dst_sel:DWORD dst_unused:UNUSED_PAD src0_sel:DWORD src1_sel:WORD_0
	v_and_b32_e32 v12, s63, v12
	v_lshl_or_b32 v12, v12, 4, v35
	ds_add_u32 v12, v61
	s_or_b64 exec, exec, s[18:19]
	v_cmp_gt_u32_e32 vcc, s20, v26
	s_and_saveexec_b64 s[18:19], vcc
	s_cbranch_execz .LBB1744_361
.LBB1744_368:                           ;   in Loop: Header=BB1744_346 Depth=2
	v_cmp_gt_i16_e32 vcc, 0, v10
	v_cndmask_b32_e64 v12, v65, 0, vcc
	v_xor_b32_e32 v12, v12, v10
	v_cmp_ne_u16_e32 vcc, s7, v12
	v_cndmask_b32_e32 v12, v65, v12, vcc
	v_lshrrev_b32_sdwa v12, s77, v12 dst_sel:DWORD dst_unused:UNUSED_PAD src0_sel:DWORD src1_sel:WORD_0
	v_and_b32_e32 v12, s63, v12
	v_lshl_or_b32 v12, v12, 4, v35
	ds_add_u32 v12, v61
	s_or_b64 exec, exec, s[18:19]
	v_cmp_gt_u32_e32 vcc, s20, v27
	s_and_saveexec_b64 s[18:19], vcc
	s_cbranch_execz .LBB1744_362
.LBB1744_369:                           ;   in Loop: Header=BB1744_346 Depth=2
	v_cmp_gt_i16_e32 vcc, 0, v9
	v_cndmask_b32_e64 v12, v65, 0, vcc
	v_xor_b32_e32 v12, v12, v9
	v_cmp_ne_u16_e32 vcc, s7, v12
	v_cndmask_b32_e32 v12, v65, v12, vcc
	v_lshrrev_b32_sdwa v12, s77, v12 dst_sel:DWORD dst_unused:UNUSED_PAD src0_sel:DWORD src1_sel:WORD_0
	v_and_b32_e32 v12, s63, v12
	v_lshl_or_b32 v12, v12, 4, v35
	ds_add_u32 v12, v61
	s_or_b64 exec, exec, s[18:19]
	v_cmp_gt_u32_e32 vcc, s20, v28
	s_and_saveexec_b64 s[18:19], vcc
	s_cbranch_execz .LBB1744_363
.LBB1744_370:                           ;   in Loop: Header=BB1744_346 Depth=2
	v_cmp_gt_i16_e32 vcc, 0, v8
	v_cndmask_b32_e64 v12, v65, 0, vcc
	v_xor_b32_e32 v12, v12, v8
	v_cmp_ne_u16_e32 vcc, s7, v12
	v_cndmask_b32_e32 v12, v65, v12, vcc
	v_lshrrev_b32_sdwa v12, s77, v12 dst_sel:DWORD dst_unused:UNUSED_PAD src0_sel:DWORD src1_sel:WORD_0
	v_and_b32_e32 v12, s63, v12
	v_lshl_or_b32 v12, v12, 4, v35
	ds_add_u32 v12, v61
	s_or_b64 exec, exec, s[18:19]
	v_cmp_gt_u32_e32 vcc, s20, v31
	s_and_saveexec_b64 s[18:19], vcc
	s_cbranch_execz .LBB1744_364
.LBB1744_371:                           ;   in Loop: Header=BB1744_346 Depth=2
	v_cmp_gt_i16_e32 vcc, 0, v7
	v_cndmask_b32_e64 v12, v65, 0, vcc
	v_xor_b32_e32 v12, v12, v7
	v_cmp_ne_u16_e32 vcc, s7, v12
	v_cndmask_b32_e32 v12, v65, v12, vcc
	v_lshrrev_b32_sdwa v12, s77, v12 dst_sel:DWORD dst_unused:UNUSED_PAD src0_sel:DWORD src1_sel:WORD_0
	v_and_b32_e32 v12, s63, v12
	v_lshl_or_b32 v12, v12, 4, v35
	ds_add_u32 v12, v61
	s_or_b64 exec, exec, s[18:19]
	v_cmp_gt_u32_e32 vcc, s20, v32
	s_and_saveexec_b64 s[18:19], vcc
	s_cbranch_execz .LBB1744_365
.LBB1744_372:                           ;   in Loop: Header=BB1744_346 Depth=2
	v_cmp_gt_i16_e32 vcc, 0, v6
	v_cndmask_b32_e64 v12, v65, 0, vcc
	v_xor_b32_e32 v12, v12, v6
	v_cmp_ne_u16_e32 vcc, s7, v12
	v_cndmask_b32_e32 v12, v65, v12, vcc
	v_lshrrev_b32_sdwa v12, s77, v12 dst_sel:DWORD dst_unused:UNUSED_PAD src0_sel:DWORD src1_sel:WORD_0
	v_and_b32_e32 v12, s63, v12
	v_lshl_or_b32 v12, v12, 4, v35
	ds_add_u32 v12, v61
	s_or_b64 exec, exec, s[18:19]
	v_cmp_gt_u32_e32 vcc, s20, v33
	s_and_saveexec_b64 s[18:19], vcc
	s_cbranch_execz .LBB1744_366
.LBB1744_373:                           ;   in Loop: Header=BB1744_346 Depth=2
	v_cmp_gt_i16_e32 vcc, 0, v5
	v_cndmask_b32_e64 v12, v65, 0, vcc
	v_xor_b32_e32 v12, v12, v5
	v_cmp_ne_u16_e32 vcc, s7, v12
	v_cndmask_b32_e32 v12, v65, v12, vcc
	v_lshrrev_b32_sdwa v12, s77, v12 dst_sel:DWORD dst_unused:UNUSED_PAD src0_sel:DWORD src1_sel:WORD_0
	v_and_b32_e32 v12, s63, v12
	v_lshl_or_b32 v12, v12, 4, v35
	ds_add_u32 v12, v61
	s_or_b64 exec, exec, s[18:19]
	v_cmp_gt_u32_e32 vcc, s20, v34
	s_and_saveexec_b64 s[18:19], vcc
	s_cbranch_execz .LBB1744_345
.LBB1744_374:                           ;   in Loop: Header=BB1744_346 Depth=2
	v_cmp_gt_i16_e32 vcc, 0, v4
	v_cndmask_b32_e64 v12, v65, 0, vcc
	v_xor_b32_e32 v12, v12, v4
	v_cmp_ne_u16_e32 vcc, s7, v12
	v_cndmask_b32_e32 v12, v65, v12, vcc
	v_lshrrev_b32_sdwa v12, s77, v12 dst_sel:DWORD dst_unused:UNUSED_PAD src0_sel:DWORD src1_sel:WORD_0
	v_and_b32_e32 v12, s63, v12
	v_lshl_or_b32 v12, v12, 4, v35
	ds_add_u32 v12, v61
	s_branch .LBB1744_345
.LBB1744_375:                           ;   in Loop: Header=BB1744_346 Depth=2
	global_load_ushort v11, v64, s[18:19]
	s_or_b64 exec, exec, s[20:21]
	v_cmp_gt_u32_e32 vcc, s22, v26
	s_and_saveexec_b64 s[20:21], vcc
	s_cbranch_execz .LBB1744_351
.LBB1744_376:                           ;   in Loop: Header=BB1744_346 Depth=2
	global_load_ushort v10, v64, s[18:19] offset:512
	s_or_b64 exec, exec, s[20:21]
	v_cmp_gt_u32_e32 vcc, s22, v27
	s_and_saveexec_b64 s[20:21], vcc
	s_cbranch_execz .LBB1744_352
.LBB1744_377:                           ;   in Loop: Header=BB1744_346 Depth=2
	global_load_ushort v9, v64, s[18:19] offset:1024
	s_or_b64 exec, exec, s[20:21]
	v_cmp_gt_u32_e32 vcc, s22, v28
	s_and_saveexec_b64 s[20:21], vcc
	s_cbranch_execz .LBB1744_353
.LBB1744_378:                           ;   in Loop: Header=BB1744_346 Depth=2
	global_load_ushort v8, v64, s[18:19] offset:1536
	s_or_b64 exec, exec, s[20:21]
	v_cmp_gt_u32_e32 vcc, s22, v31
	s_and_saveexec_b64 s[20:21], vcc
	s_cbranch_execz .LBB1744_354
.LBB1744_379:                           ;   in Loop: Header=BB1744_346 Depth=2
	global_load_ushort v7, v64, s[18:19] offset:2048
	s_or_b64 exec, exec, s[20:21]
	v_cmp_gt_u32_e32 vcc, s22, v32
	s_and_saveexec_b64 s[20:21], vcc
	s_cbranch_execz .LBB1744_355
.LBB1744_380:                           ;   in Loop: Header=BB1744_346 Depth=2
	global_load_ushort v6, v64, s[18:19] offset:2560
	s_or_b64 exec, exec, s[20:21]
	v_cmp_gt_u32_e32 vcc, s22, v33
	s_and_saveexec_b64 s[20:21], vcc
	s_cbranch_execz .LBB1744_356
.LBB1744_381:                           ;   in Loop: Header=BB1744_346 Depth=2
	global_load_ushort v5, v64, s[18:19] offset:3072
	s_or_b64 exec, exec, s[20:21]
	v_cmp_gt_u32_e32 vcc, s22, v34
	s_and_saveexec_b64 s[20:21], vcc
	s_cbranch_execnz .LBB1744_357
	s_branch .LBB1744_358
.LBB1744_382:                           ;   in Loop: Header=BB1744_12 Depth=1
	v_mov_b32_e32 v4, 0
	s_waitcnt lgkmcnt(0)
	s_barrier
	s_and_saveexec_b64 s[18:19], s[4:5]
	s_cbranch_execz .LBB1744_384
; %bb.383:                              ;   in Loop: Header=BB1744_12 Depth=1
	ds_read2_b64 v[4:7], v36 offset1:1
	s_waitcnt lgkmcnt(0)
	v_add_u32_e32 v4, v5, v4
	v_add3_u32 v4, v4, v6, v7
.LBB1744_384:                           ;   in Loop: Header=BB1744_12 Depth=1
	s_or_b64 exec, exec, s[18:19]
	s_nop 0
	v_mov_b32_dpp v5, v4 row_shr:1 row_mask:0xf bank_mask:0xf
	v_cmp_eq_u32_e64 s[18:19], 0, v67
	v_cndmask_b32_e64 v5, v5, 0, s[18:19]
	v_add_u32_e32 v4, v5, v4
	v_cmp_lt_u32_e64 s[20:21], 1, v67
	v_cmp_lt_u32_e64 s[22:23], 3, v67
	v_mov_b32_dpp v5, v4 row_shr:2 row_mask:0xf bank_mask:0xf
	v_cndmask_b32_e64 v5, 0, v5, s[20:21]
	v_add_u32_e32 v4, v4, v5
	v_cmp_lt_u32_e64 s[24:25], 7, v67
	v_cmp_lt_u32_e64 s[28:29], 31, v66
	v_mov_b32_dpp v5, v4 row_shr:4 row_mask:0xf bank_mask:0xf
	v_cndmask_b32_e64 v5, 0, v5, s[22:23]
	v_add_u32_e32 v4, v4, v5
	v_cmp_eq_u32_e64 s[26:27], 0, v69
	s_nop 0
	v_mov_b32_dpp v5, v4 row_shr:8 row_mask:0xf bank_mask:0xf
	v_cndmask_b32_e64 v5, 0, v5, s[24:25]
	v_add_u32_e32 v4, v4, v5
	s_nop 1
	v_mov_b32_dpp v5, v4 row_bcast:15 row_mask:0xf bank_mask:0xf
	v_and_b32_e32 v5, v68, v5
	v_add_u32_e32 v4, v4, v5
	s_nop 1
	v_mov_b32_dpp v5, v4 row_bcast:31 row_mask:0xf bank_mask:0xf
	v_cndmask_b32_e64 v5, 0, v5, s[28:29]
	v_add_u32_e32 v4, v4, v5
	s_and_saveexec_b64 s[30:31], s[8:9]
; %bb.385:                              ;   in Loop: Header=BB1744_12 Depth=1
	ds_write_b32 v38, v4
; %bb.386:                              ;   in Loop: Header=BB1744_12 Depth=1
	s_or_b64 exec, exec, s[30:31]
	s_waitcnt lgkmcnt(0)
	s_barrier
	s_and_saveexec_b64 s[30:31], s[10:11]
	s_cbranch_execz .LBB1744_388
; %bb.387:                              ;   in Loop: Header=BB1744_12 Depth=1
	ds_read_b32 v5, v39
	v_cmp_ne_u32_e32 vcc, 0, v70
	s_waitcnt lgkmcnt(0)
	v_mov_b32_dpp v6, v5 row_shr:1 row_mask:0xf bank_mask:0xf
	v_cndmask_b32_e32 v6, 0, v6, vcc
	v_add_u32_e32 v5, v6, v5
	v_cmp_lt_u32_e32 vcc, 1, v70
	s_nop 0
	v_mov_b32_dpp v6, v5 row_shr:2 row_mask:0xf bank_mask:0xf
	v_cndmask_b32_e32 v6, 0, v6, vcc
	v_add_u32_e32 v5, v5, v6
	ds_write_b32 v39, v5
.LBB1744_388:                           ;   in Loop: Header=BB1744_12 Depth=1
	s_or_b64 exec, exec, s[30:31]
	v_mov_b32_e32 v5, 0
	s_waitcnt lgkmcnt(0)
	s_barrier
	s_and_saveexec_b64 s[30:31], s[12:13]
; %bb.389:                              ;   in Loop: Header=BB1744_12 Depth=1
	ds_read_b32 v5, v40
; %bb.390:                              ;   in Loop: Header=BB1744_12 Depth=1
	s_or_b64 exec, exec, s[30:31]
	v_subrev_co_u32_e64 v6, s[30:31], 1, v66
	v_cmp_lt_i32_e32 vcc, v6, v71
	v_cndmask_b32_e32 v6, v6, v66, vcc
	s_waitcnt lgkmcnt(0)
	v_add_u32_e32 v4, v5, v4
	v_lshlrev_b32_e32 v82, 2, v6
	ds_bpermute_b32 v4, v82, v4
	s_waitcnt lgkmcnt(0)
	s_barrier
	s_and_saveexec_b64 s[34:35], s[4:5]
; %bb.391:                              ;   in Loop: Header=BB1744_12 Depth=1
	v_cndmask_b32_e64 v4, v4, v5, s[30:31]
	v_add_u32_e32 v4, s80, v4
	ds_write_b32 v25, v4
; %bb.392:                              ;   in Loop: Header=BB1744_12 Depth=1
	s_or_b64 exec, exec, s[34:35]
	s_load_dwordx2 s[34:35], s[56:57], 0x0
	v_add_co_u32_e32 v83, vcc, v57, v72
	v_addc_co_u32_e32 v84, vcc, 0, v58, vcc
	s_waitcnt lgkmcnt(0)
	s_cmp_lt_u32 s33, s35
	s_cselect_b32 s35, 14, 20
	s_add_u32 s36, s56, s35
	s_addc_u32 s37, s57, 0
	s_cmp_lt_u32 s6, s34
	s_cselect_b32 s34, 12, 18
	s_add_u32 s34, s56, s34
	global_load_ushort v4, v3, s[36:37]
	s_addc_u32 s35, s57, 0
	global_load_ushort v5, v3, s[34:35]
	v_add_co_u32_e32 v85, vcc, v59, v81
	v_cmp_eq_u32_e64 s[34:35], 0, v70
	v_cmp_lt_u32_e64 s[36:37], 1, v70
	v_addc_co_u32_e32 v86, vcc, 0, v60, vcc
	s_mov_b32 s70, s79
	s_mov_b32 s58, s80
                                        ; implicit-def: $vgpr7_vgpr8
                                        ; implicit-def: $vgpr9_vgpr10
                                        ; implicit-def: $vgpr11_vgpr12
                                        ; implicit-def: $vgpr13_vgpr14
                                        ; implicit-def: $vgpr15_vgpr16
                                        ; implicit-def: $vgpr17_vgpr18
                                        ; implicit-def: $vgpr19_vgpr20
                                        ; implicit-def: $vgpr87
                                        ; implicit-def: $vgpr88
                                        ; implicit-def: $vgpr89
                                        ; implicit-def: $vgpr90
                                        ; implicit-def: $vgpr92
                                        ; implicit-def: $vgpr93
                                        ; implicit-def: $vgpr94
                                        ; implicit-def: $vgpr95
	s_waitcnt vmcnt(1)
	v_mad_u32_u24 v4, v2, v4, v1
	s_waitcnt vmcnt(0)
	v_mad_u64_u32 v[4:5], s[38:39], v4, v5, v[0:1]
                                        ; implicit-def: $vgpr5_vgpr6
	v_lshrrev_b32_e32 v4, 4, v4
	v_and_b32_e32 v91, 0xffffffc, v4
	s_branch .LBB1744_394
.LBB1744_393:                           ;   in Loop: Header=BB1744_394 Depth=2
	s_or_b64 exec, exec, s[38:39]
	s_addk_i32 s70, 0xf800
	s_cmp_lt_u32 s71, s81
	s_mov_b32 s58, s71
	s_cbranch_scc0 .LBB1744_506
.LBB1744_394:                           ;   Parent Loop BB1744_12 Depth=1
                                        ; =>  This Inner Loop Header: Depth=2
	s_add_i32 s71, s58, 0x800
	s_cmp_gt_u32 s71, s81
	s_cbranch_scc1 .LBB1744_396
; %bb.395:                              ;   in Loop: Header=BB1744_394 Depth=2
	s_lshl_b64 s[38:39], s[58:59], 1
	v_mov_b32_e32 v4, s39
	v_add_co_u32_e32 v21, vcc, s38, v85
	v_addc_co_u32_e32 v22, vcc, v86, v4, vcc
	global_load_ushort v4, v[21:22], off
	global_load_ushort v99, v[21:22], off offset:128
	global_load_ushort v103, v[21:22], off offset:256
	;; [unrolled: 1-line block ×6, first 2 shown]
	s_mov_b64 s[38:39], -1
	s_movk_i32 s42, 0x800
	s_cbranch_execz .LBB1744_397
	s_branch .LBB1744_412
.LBB1744_396:                           ;   in Loop: Header=BB1744_394 Depth=2
	s_mov_b64 s[38:39], 0
                                        ; implicit-def: $vgpr4
                                        ; implicit-def: $vgpr99
                                        ; implicit-def: $vgpr103
                                        ; implicit-def: $vgpr107
                                        ; implicit-def: $vgpr112
                                        ; implicit-def: $vgpr108
                                        ; implicit-def: $vgpr24
	s_movk_i32 s42, 0x800
.LBB1744_397:                           ;   in Loop: Header=BB1744_394 Depth=2
	s_lshl_b64 s[38:39], s[58:59], 1
	s_waitcnt vmcnt(6)
	v_mov_b32_e32 v4, s39
	v_add_co_u32_e32 v21, vcc, s38, v85
	v_addc_co_u32_e32 v22, vcc, v86, v4, vcc
	v_cmp_gt_u32_e32 vcc, s70, v73
	s_waitcnt vmcnt(5)
	v_mov_b32_e32 v99, -1
	v_mov_b32_e32 v4, -1
	s_and_saveexec_b64 s[38:39], vcc
	s_cbranch_execz .LBB1744_399
; %bb.398:                              ;   in Loop: Header=BB1744_394 Depth=2
	global_load_ushort v4, v[21:22], off
.LBB1744_399:                           ;   in Loop: Header=BB1744_394 Depth=2
	s_or_b64 exec, exec, s[38:39]
	v_cmp_gt_u32_e32 vcc, s70, v74
	s_and_saveexec_b64 s[38:39], vcc
	s_cbranch_execz .LBB1744_401
; %bb.400:                              ;   in Loop: Header=BB1744_394 Depth=2
	global_load_ushort v99, v[21:22], off offset:128
.LBB1744_401:                           ;   in Loop: Header=BB1744_394 Depth=2
	s_or_b64 exec, exec, s[38:39]
	v_cmp_gt_u32_e32 vcc, s70, v75
	s_waitcnt vmcnt(3)
	v_mov_b32_e32 v107, -1
	v_mov_b32_e32 v103, -1
	s_and_saveexec_b64 s[38:39], vcc
	s_cbranch_execz .LBB1744_403
; %bb.402:                              ;   in Loop: Header=BB1744_394 Depth=2
	global_load_ushort v103, v[21:22], off offset:256
.LBB1744_403:                           ;   in Loop: Header=BB1744_394 Depth=2
	s_or_b64 exec, exec, s[38:39]
	v_cmp_gt_u32_e32 vcc, s70, v76
	s_and_saveexec_b64 s[38:39], vcc
	s_cbranch_execz .LBB1744_405
; %bb.404:                              ;   in Loop: Header=BB1744_394 Depth=2
	global_load_ushort v107, v[21:22], off offset:384
.LBB1744_405:                           ;   in Loop: Header=BB1744_394 Depth=2
	s_or_b64 exec, exec, s[38:39]
	v_cmp_gt_u32_e32 vcc, s70, v77
	s_waitcnt vmcnt(1)
	v_mov_b32_e32 v108, -1
	v_mov_b32_e32 v112, -1
	s_and_saveexec_b64 s[38:39], vcc
	s_cbranch_execz .LBB1744_407
; %bb.406:                              ;   in Loop: Header=BB1744_394 Depth=2
	global_load_ushort v112, v[21:22], off offset:512
.LBB1744_407:                           ;   in Loop: Header=BB1744_394 Depth=2
	s_or_b64 exec, exec, s[38:39]
	v_cmp_gt_u32_e32 vcc, s70, v78
	s_and_saveexec_b64 s[38:39], vcc
	s_cbranch_execz .LBB1744_409
; %bb.408:                              ;   in Loop: Header=BB1744_394 Depth=2
	global_load_ushort v108, v[21:22], off offset:640
.LBB1744_409:                           ;   in Loop: Header=BB1744_394 Depth=2
	s_or_b64 exec, exec, s[38:39]
	v_cmp_gt_u32_e32 vcc, s70, v79
	s_waitcnt vmcnt(0)
	v_mov_b32_e32 v24, -1
	s_and_saveexec_b64 s[38:39], vcc
	s_cbranch_execz .LBB1744_411
; %bb.410:                              ;   in Loop: Header=BB1744_394 Depth=2
	global_load_ushort v24, v[21:22], off offset:768
.LBB1744_411:                           ;   in Loop: Header=BB1744_394 Depth=2
	s_or_b64 exec, exec, s[38:39]
	s_sub_i32 s42, s81, s58
	v_cmp_gt_u32_e64 s[38:39], s70, v80
.LBB1744_412:                           ;   in Loop: Header=BB1744_394 Depth=2
	v_mov_b32_e32 v23, -1
	v_mov_b32_e32 v96, s70
	s_and_saveexec_b64 s[40:41], s[38:39]
	s_cbranch_execz .LBB1744_414
; %bb.413:                              ;   in Loop: Header=BB1744_394 Depth=2
	s_lshl_b64 s[38:39], s[58:59], 1
	v_mov_b32_e32 v22, s39
	v_add_co_u32_e32 v21, vcc, s38, v85
	v_addc_co_u32_e32 v22, vcc, v86, v22, vcc
	global_load_ushort v23, v[21:22], off offset:896
	v_mov_b32_e32 v96, s42
.LBB1744_414:                           ;   in Loop: Header=BB1744_394 Depth=2
	s_or_b64 exec, exec, s[40:41]
	s_waitcnt vmcnt(6)
	v_cmp_gt_i16_e32 vcc, 0, v4
	v_cndmask_b32_e64 v21, v65, 0, vcc
	v_xor_b32_e32 v97, v21, v4
	v_cmp_ne_u16_e32 vcc, s7, v97
	v_cndmask_b32_e32 v4, v65, v97, vcc
	v_lshrrev_b32_sdwa v4, s77, v4 dst_sel:DWORD dst_unused:UNUSED_PAD src0_sel:DWORD src1_sel:WORD_0
	v_and_b32_e32 v21, s63, v4
	v_and_b32_e32 v4, 1, v21
	v_add_co_u32_e32 v22, vcc, -1, v4
	v_addc_co_u32_e64 v98, s[38:39], 0, -1, vcc
	v_cmp_ne_u32_e32 vcc, 0, v4
	v_xor_b32_e32 v4, vcc_hi, v98
	v_and_b32_e32 v98, exec_hi, v4
	v_lshlrev_b32_e32 v4, 30, v21
	v_xor_b32_e32 v22, vcc_lo, v22
	v_cmp_gt_i64_e32 vcc, 0, v[3:4]
	v_not_b32_e32 v4, v4
	v_ashrrev_i32_e32 v4, 31, v4
	v_and_b32_e32 v22, exec_lo, v22
	v_xor_b32_e32 v101, vcc_hi, v4
	v_xor_b32_e32 v4, vcc_lo, v4
	v_and_b32_e32 v22, v22, v4
	v_lshlrev_b32_e32 v4, 29, v21
	v_cmp_gt_i64_e32 vcc, 0, v[3:4]
	v_not_b32_e32 v4, v4
	v_ashrrev_i32_e32 v4, 31, v4
	v_and_b32_e32 v98, v98, v101
	v_xor_b32_e32 v101, vcc_hi, v4
	v_xor_b32_e32 v4, vcc_lo, v4
	v_and_b32_e32 v22, v22, v4
	v_lshlrev_b32_e32 v4, 28, v21
	v_cmp_gt_i64_e32 vcc, 0, v[3:4]
	v_not_b32_e32 v4, v4
	v_ashrrev_i32_e32 v4, 31, v4
	v_and_b32_e32 v98, v98, v101
	;; [unrolled: 8-line block ×5, first 2 shown]
	v_xor_b32_e32 v101, vcc_hi, v4
	v_xor_b32_e32 v4, vcc_lo, v4
	v_and_b32_e32 v98, v98, v101
	v_and_b32_e32 v101, v22, v4
	v_lshlrev_b32_e32 v4, 24, v21
	v_cmp_gt_i64_e32 vcc, 0, v[3:4]
	v_not_b32_e32 v4, v4
	v_ashrrev_i32_e32 v4, 31, v4
	v_mul_u32_u24_e32 v100, 20, v21
	v_xor_b32_e32 v21, vcc_hi, v4
	v_xor_b32_e32 v4, vcc_lo, v4
	v_and_b32_e32 v22, v98, v21
	v_and_b32_e32 v21, v101, v4
	v_mbcnt_lo_u32_b32 v4, v21, 0
	v_mbcnt_hi_u32_b32 v98, v22, v4
	v_cmp_ne_u64_e32 vcc, 0, v[21:22]
	v_cmp_eq_u32_e64 s[38:39], 0, v98
	s_and_b64 s[40:41], vcc, s[38:39]
	v_add_u32_e32 v101, v91, v100
	ds_write2_b32 v62, v3, v3 offset1:1
	ds_write2_b32 v63, v3, v3 offset1:1
	ds_write_b32 v41, v3 offset:1056
	s_waitcnt vmcnt(0) lgkmcnt(0)
	s_barrier
	; wave barrier
	s_and_saveexec_b64 s[38:39], s[40:41]
; %bb.415:                              ;   in Loop: Header=BB1744_394 Depth=2
	v_bcnt_u32_b32 v4, v21, 0
	v_bcnt_u32_b32 v4, v22, v4
	ds_write_b32 v101, v4 offset:1040
; %bb.416:                              ;   in Loop: Header=BB1744_394 Depth=2
	s_or_b64 exec, exec, s[38:39]
	v_cmp_gt_i16_e32 vcc, 0, v99
	v_cndmask_b32_e64 v4, v65, 0, vcc
	v_xor_b32_e32 v99, v4, v99
	v_cmp_ne_u16_e32 vcc, s7, v99
	v_cndmask_b32_e32 v4, v65, v99, vcc
	v_lshrrev_b32_sdwa v4, s77, v4 dst_sel:DWORD dst_unused:UNUSED_PAD src0_sel:DWORD src1_sel:WORD_0
	v_and_b32_e32 v21, s63, v4
	v_mad_u32_u24 v4, v21, 20, v91
	; wave barrier
	ds_read_b32 v100, v4 offset:1040
	v_and_b32_e32 v4, 1, v21
	v_add_co_u32_e32 v22, vcc, -1, v4
	v_addc_co_u32_e64 v102, s[38:39], 0, -1, vcc
	v_cmp_ne_u32_e32 vcc, 0, v4
	v_xor_b32_e32 v4, vcc_hi, v102
	v_and_b32_e32 v102, exec_hi, v4
	v_lshlrev_b32_e32 v4, 30, v21
	v_xor_b32_e32 v22, vcc_lo, v22
	v_cmp_gt_i64_e32 vcc, 0, v[3:4]
	v_not_b32_e32 v4, v4
	v_ashrrev_i32_e32 v4, 31, v4
	v_and_b32_e32 v22, exec_lo, v22
	v_xor_b32_e32 v105, vcc_hi, v4
	v_xor_b32_e32 v4, vcc_lo, v4
	v_and_b32_e32 v22, v22, v4
	v_lshlrev_b32_e32 v4, 29, v21
	v_cmp_gt_i64_e32 vcc, 0, v[3:4]
	v_not_b32_e32 v4, v4
	v_ashrrev_i32_e32 v4, 31, v4
	v_and_b32_e32 v102, v102, v105
	v_xor_b32_e32 v105, vcc_hi, v4
	v_xor_b32_e32 v4, vcc_lo, v4
	v_and_b32_e32 v22, v22, v4
	v_lshlrev_b32_e32 v4, 28, v21
	v_cmp_gt_i64_e32 vcc, 0, v[3:4]
	v_not_b32_e32 v4, v4
	v_ashrrev_i32_e32 v4, 31, v4
	v_and_b32_e32 v102, v102, v105
	;; [unrolled: 8-line block ×5, first 2 shown]
	v_xor_b32_e32 v105, vcc_hi, v4
	v_xor_b32_e32 v4, vcc_lo, v4
	v_and_b32_e32 v102, v102, v105
	v_and_b32_e32 v105, v22, v4
	v_lshlrev_b32_e32 v4, 24, v21
	v_cmp_gt_i64_e32 vcc, 0, v[3:4]
	v_not_b32_e32 v4, v4
	v_ashrrev_i32_e32 v4, 31, v4
	v_mul_u32_u24_e32 v104, 20, v21
	v_xor_b32_e32 v21, vcc_hi, v4
	v_xor_b32_e32 v4, vcc_lo, v4
	v_and_b32_e32 v22, v102, v21
	v_and_b32_e32 v21, v105, v4
	v_mbcnt_lo_u32_b32 v4, v21, 0
	v_mbcnt_hi_u32_b32 v102, v22, v4
	v_cmp_ne_u64_e32 vcc, 0, v[21:22]
	v_cmp_eq_u32_e64 s[38:39], 0, v102
	s_and_b64 s[40:41], vcc, s[38:39]
	v_add_u32_e32 v105, v91, v104
	; wave barrier
	s_and_saveexec_b64 s[38:39], s[40:41]
	s_cbranch_execz .LBB1744_418
; %bb.417:                              ;   in Loop: Header=BB1744_394 Depth=2
	v_bcnt_u32_b32 v4, v21, 0
	v_bcnt_u32_b32 v4, v22, v4
	s_waitcnt lgkmcnt(0)
	v_add_u32_e32 v4, v100, v4
	ds_write_b32 v105, v4 offset:1040
.LBB1744_418:                           ;   in Loop: Header=BB1744_394 Depth=2
	s_or_b64 exec, exec, s[38:39]
	v_cmp_gt_i16_e32 vcc, 0, v103
	v_cndmask_b32_e64 v4, v65, 0, vcc
	v_xor_b32_e32 v103, v4, v103
	v_cmp_ne_u16_e32 vcc, s7, v103
	v_cndmask_b32_e32 v4, v65, v103, vcc
	v_lshrrev_b32_sdwa v4, s77, v4 dst_sel:DWORD dst_unused:UNUSED_PAD src0_sel:DWORD src1_sel:WORD_0
	v_and_b32_e32 v21, s63, v4
	v_mad_u32_u24 v4, v21, 20, v91
	; wave barrier
	ds_read_b32 v104, v4 offset:1040
	v_and_b32_e32 v4, 1, v21
	v_add_co_u32_e32 v22, vcc, -1, v4
	v_addc_co_u32_e64 v106, s[38:39], 0, -1, vcc
	v_cmp_ne_u32_e32 vcc, 0, v4
	v_xor_b32_e32 v4, vcc_hi, v106
	v_and_b32_e32 v106, exec_hi, v4
	v_lshlrev_b32_e32 v4, 30, v21
	v_xor_b32_e32 v22, vcc_lo, v22
	v_cmp_gt_i64_e32 vcc, 0, v[3:4]
	v_not_b32_e32 v4, v4
	v_ashrrev_i32_e32 v4, 31, v4
	v_and_b32_e32 v22, exec_lo, v22
	v_xor_b32_e32 v110, vcc_hi, v4
	v_xor_b32_e32 v4, vcc_lo, v4
	v_and_b32_e32 v22, v22, v4
	v_lshlrev_b32_e32 v4, 29, v21
	v_cmp_gt_i64_e32 vcc, 0, v[3:4]
	v_not_b32_e32 v4, v4
	v_ashrrev_i32_e32 v4, 31, v4
	v_and_b32_e32 v106, v106, v110
	v_xor_b32_e32 v110, vcc_hi, v4
	v_xor_b32_e32 v4, vcc_lo, v4
	v_and_b32_e32 v22, v22, v4
	v_lshlrev_b32_e32 v4, 28, v21
	v_cmp_gt_i64_e32 vcc, 0, v[3:4]
	v_not_b32_e32 v4, v4
	v_ashrrev_i32_e32 v4, 31, v4
	v_and_b32_e32 v106, v106, v110
	v_xor_b32_e32 v110, vcc_hi, v4
	v_xor_b32_e32 v4, vcc_lo, v4
	v_and_b32_e32 v22, v22, v4
	v_lshlrev_b32_e32 v4, 27, v21
	v_cmp_gt_i64_e32 vcc, 0, v[3:4]
	v_not_b32_e32 v4, v4
	v_ashrrev_i32_e32 v4, 31, v4
	v_and_b32_e32 v106, v106, v110
	v_xor_b32_e32 v110, vcc_hi, v4
	v_xor_b32_e32 v4, vcc_lo, v4
	v_and_b32_e32 v22, v22, v4
	v_lshlrev_b32_e32 v4, 26, v21
	v_cmp_gt_i64_e32 vcc, 0, v[3:4]
	v_not_b32_e32 v4, v4
	v_ashrrev_i32_e32 v4, 31, v4
	v_and_b32_e32 v106, v106, v110
	v_xor_b32_e32 v110, vcc_hi, v4
	v_xor_b32_e32 v4, vcc_lo, v4
	v_and_b32_e32 v22, v22, v4
	v_lshlrev_b32_e32 v4, 25, v21
	v_cmp_gt_i64_e32 vcc, 0, v[3:4]
	v_not_b32_e32 v4, v4
	v_ashrrev_i32_e32 v4, 31, v4
	v_and_b32_e32 v106, v106, v110
	v_xor_b32_e32 v110, vcc_hi, v4
	v_xor_b32_e32 v4, vcc_lo, v4
	v_and_b32_e32 v106, v106, v110
	v_and_b32_e32 v110, v22, v4
	v_lshlrev_b32_e32 v4, 24, v21
	v_cmp_gt_i64_e32 vcc, 0, v[3:4]
	v_not_b32_e32 v4, v4
	v_ashrrev_i32_e32 v4, 31, v4
	v_mul_u32_u24_e32 v109, 20, v21
	v_xor_b32_e32 v21, vcc_hi, v4
	v_xor_b32_e32 v4, vcc_lo, v4
	v_and_b32_e32 v22, v106, v21
	v_and_b32_e32 v21, v110, v4
	v_mbcnt_lo_u32_b32 v4, v21, 0
	v_mbcnt_hi_u32_b32 v106, v22, v4
	v_cmp_ne_u64_e32 vcc, 0, v[21:22]
	v_cmp_eq_u32_e64 s[38:39], 0, v106
	s_and_b64 s[40:41], vcc, s[38:39]
	v_add_u32_e32 v110, v91, v109
	; wave barrier
	s_and_saveexec_b64 s[38:39], s[40:41]
	s_cbranch_execz .LBB1744_420
; %bb.419:                              ;   in Loop: Header=BB1744_394 Depth=2
	v_bcnt_u32_b32 v4, v21, 0
	v_bcnt_u32_b32 v4, v22, v4
	s_waitcnt lgkmcnt(0)
	v_add_u32_e32 v4, v104, v4
	ds_write_b32 v110, v4 offset:1040
.LBB1744_420:                           ;   in Loop: Header=BB1744_394 Depth=2
	s_or_b64 exec, exec, s[38:39]
	v_cmp_gt_i16_e32 vcc, 0, v107
	v_cndmask_b32_e64 v4, v65, 0, vcc
	v_xor_b32_e32 v107, v4, v107
	v_cmp_ne_u16_e32 vcc, s7, v107
	v_cndmask_b32_e32 v4, v65, v107, vcc
	v_lshrrev_b32_sdwa v4, s77, v4 dst_sel:DWORD dst_unused:UNUSED_PAD src0_sel:DWORD src1_sel:WORD_0
	v_and_b32_e32 v21, s63, v4
	v_mad_u32_u24 v4, v21, 20, v91
	; wave barrier
	ds_read_b32 v109, v4 offset:1040
	v_and_b32_e32 v4, 1, v21
	v_add_co_u32_e32 v22, vcc, -1, v4
	v_addc_co_u32_e64 v111, s[38:39], 0, -1, vcc
	v_cmp_ne_u32_e32 vcc, 0, v4
	v_xor_b32_e32 v4, vcc_hi, v111
	v_and_b32_e32 v111, exec_hi, v4
	v_lshlrev_b32_e32 v4, 30, v21
	v_xor_b32_e32 v22, vcc_lo, v22
	v_cmp_gt_i64_e32 vcc, 0, v[3:4]
	v_not_b32_e32 v4, v4
	v_ashrrev_i32_e32 v4, 31, v4
	v_and_b32_e32 v22, exec_lo, v22
	v_xor_b32_e32 v114, vcc_hi, v4
	v_xor_b32_e32 v4, vcc_lo, v4
	v_and_b32_e32 v22, v22, v4
	v_lshlrev_b32_e32 v4, 29, v21
	v_cmp_gt_i64_e32 vcc, 0, v[3:4]
	v_not_b32_e32 v4, v4
	v_ashrrev_i32_e32 v4, 31, v4
	v_and_b32_e32 v111, v111, v114
	v_xor_b32_e32 v114, vcc_hi, v4
	v_xor_b32_e32 v4, vcc_lo, v4
	v_and_b32_e32 v22, v22, v4
	v_lshlrev_b32_e32 v4, 28, v21
	v_cmp_gt_i64_e32 vcc, 0, v[3:4]
	v_not_b32_e32 v4, v4
	v_ashrrev_i32_e32 v4, 31, v4
	v_and_b32_e32 v111, v111, v114
	;; [unrolled: 8-line block ×5, first 2 shown]
	v_xor_b32_e32 v114, vcc_hi, v4
	v_xor_b32_e32 v4, vcc_lo, v4
	v_and_b32_e32 v111, v111, v114
	v_and_b32_e32 v114, v22, v4
	v_lshlrev_b32_e32 v4, 24, v21
	v_cmp_gt_i64_e32 vcc, 0, v[3:4]
	v_not_b32_e32 v4, v4
	v_ashrrev_i32_e32 v4, 31, v4
	v_mul_u32_u24_e32 v113, 20, v21
	v_xor_b32_e32 v21, vcc_hi, v4
	v_xor_b32_e32 v4, vcc_lo, v4
	v_and_b32_e32 v22, v111, v21
	v_and_b32_e32 v21, v114, v4
	v_mbcnt_lo_u32_b32 v4, v21, 0
	v_mbcnt_hi_u32_b32 v111, v22, v4
	v_cmp_ne_u64_e32 vcc, 0, v[21:22]
	v_cmp_eq_u32_e64 s[38:39], 0, v111
	s_and_b64 s[40:41], vcc, s[38:39]
	v_add_u32_e32 v114, v91, v113
	; wave barrier
	s_and_saveexec_b64 s[38:39], s[40:41]
	s_cbranch_execz .LBB1744_422
; %bb.421:                              ;   in Loop: Header=BB1744_394 Depth=2
	v_bcnt_u32_b32 v4, v21, 0
	v_bcnt_u32_b32 v4, v22, v4
	s_waitcnt lgkmcnt(0)
	v_add_u32_e32 v4, v109, v4
	ds_write_b32 v114, v4 offset:1040
.LBB1744_422:                           ;   in Loop: Header=BB1744_394 Depth=2
	s_or_b64 exec, exec, s[38:39]
	v_cmp_gt_i16_e32 vcc, 0, v112
	v_cndmask_b32_e64 v4, v65, 0, vcc
	v_xor_b32_e32 v112, v4, v112
	v_cmp_ne_u16_e32 vcc, s7, v112
	v_cndmask_b32_e32 v4, v65, v112, vcc
	v_lshrrev_b32_sdwa v4, s77, v4 dst_sel:DWORD dst_unused:UNUSED_PAD src0_sel:DWORD src1_sel:WORD_0
	v_and_b32_e32 v21, s63, v4
	v_mad_u32_u24 v4, v21, 20, v91
	; wave barrier
	ds_read_b32 v113, v4 offset:1040
	v_and_b32_e32 v4, 1, v21
	v_add_co_u32_e32 v22, vcc, -1, v4
	v_addc_co_u32_e64 v115, s[38:39], 0, -1, vcc
	v_cmp_ne_u32_e32 vcc, 0, v4
	v_xor_b32_e32 v4, vcc_hi, v115
	v_and_b32_e32 v115, exec_hi, v4
	v_lshlrev_b32_e32 v4, 30, v21
	v_xor_b32_e32 v22, vcc_lo, v22
	v_cmp_gt_i64_e32 vcc, 0, v[3:4]
	v_not_b32_e32 v4, v4
	v_ashrrev_i32_e32 v4, 31, v4
	v_and_b32_e32 v22, exec_lo, v22
	v_xor_b32_e32 v117, vcc_hi, v4
	v_xor_b32_e32 v4, vcc_lo, v4
	v_and_b32_e32 v22, v22, v4
	v_lshlrev_b32_e32 v4, 29, v21
	v_cmp_gt_i64_e32 vcc, 0, v[3:4]
	v_not_b32_e32 v4, v4
	v_ashrrev_i32_e32 v4, 31, v4
	v_and_b32_e32 v115, v115, v117
	v_xor_b32_e32 v117, vcc_hi, v4
	v_xor_b32_e32 v4, vcc_lo, v4
	v_and_b32_e32 v22, v22, v4
	v_lshlrev_b32_e32 v4, 28, v21
	v_cmp_gt_i64_e32 vcc, 0, v[3:4]
	v_not_b32_e32 v4, v4
	v_ashrrev_i32_e32 v4, 31, v4
	v_and_b32_e32 v115, v115, v117
	;; [unrolled: 8-line block ×5, first 2 shown]
	v_xor_b32_e32 v117, vcc_hi, v4
	v_xor_b32_e32 v4, vcc_lo, v4
	v_and_b32_e32 v115, v115, v117
	v_and_b32_e32 v117, v22, v4
	v_lshlrev_b32_e32 v4, 24, v21
	v_cmp_gt_i64_e32 vcc, 0, v[3:4]
	v_not_b32_e32 v4, v4
	v_ashrrev_i32_e32 v4, 31, v4
	v_mul_u32_u24_e32 v116, 20, v21
	v_xor_b32_e32 v21, vcc_hi, v4
	v_xor_b32_e32 v4, vcc_lo, v4
	v_and_b32_e32 v22, v115, v21
	v_and_b32_e32 v21, v117, v4
	v_mbcnt_lo_u32_b32 v4, v21, 0
	v_mbcnt_hi_u32_b32 v115, v22, v4
	v_cmp_ne_u64_e32 vcc, 0, v[21:22]
	v_cmp_eq_u32_e64 s[38:39], 0, v115
	s_and_b64 s[40:41], vcc, s[38:39]
	v_add_u32_e32 v118, v91, v116
	; wave barrier
	s_and_saveexec_b64 s[38:39], s[40:41]
	s_cbranch_execz .LBB1744_424
; %bb.423:                              ;   in Loop: Header=BB1744_394 Depth=2
	v_bcnt_u32_b32 v4, v21, 0
	v_bcnt_u32_b32 v4, v22, v4
	s_waitcnt lgkmcnt(0)
	v_add_u32_e32 v4, v113, v4
	ds_write_b32 v118, v4 offset:1040
.LBB1744_424:                           ;   in Loop: Header=BB1744_394 Depth=2
	s_or_b64 exec, exec, s[38:39]
	v_cmp_gt_i16_e32 vcc, 0, v108
	v_cndmask_b32_e64 v4, v65, 0, vcc
	v_xor_b32_e32 v116, v4, v108
	v_cmp_ne_u16_e32 vcc, s7, v116
	v_cndmask_b32_e32 v4, v65, v116, vcc
	v_lshrrev_b32_sdwa v4, s77, v4 dst_sel:DWORD dst_unused:UNUSED_PAD src0_sel:DWORD src1_sel:WORD_0
	v_and_b32_e32 v21, s63, v4
	v_mad_u32_u24 v4, v21, 20, v91
	; wave barrier
	ds_read_b32 v117, v4 offset:1040
	v_and_b32_e32 v4, 1, v21
	v_add_co_u32_e32 v22, vcc, -1, v4
	v_addc_co_u32_e64 v119, s[38:39], 0, -1, vcc
	v_cmp_ne_u32_e32 vcc, 0, v4
	v_xor_b32_e32 v4, vcc_hi, v119
	v_and_b32_e32 v119, exec_hi, v4
	v_lshlrev_b32_e32 v4, 30, v21
	v_xor_b32_e32 v22, vcc_lo, v22
	v_cmp_gt_i64_e32 vcc, 0, v[3:4]
	v_not_b32_e32 v4, v4
	v_ashrrev_i32_e32 v4, 31, v4
	v_and_b32_e32 v22, exec_lo, v22
	v_xor_b32_e32 v120, vcc_hi, v4
	v_xor_b32_e32 v4, vcc_lo, v4
	v_and_b32_e32 v22, v22, v4
	v_lshlrev_b32_e32 v4, 29, v21
	v_cmp_gt_i64_e32 vcc, 0, v[3:4]
	v_not_b32_e32 v4, v4
	v_ashrrev_i32_e32 v4, 31, v4
	v_and_b32_e32 v119, v119, v120
	v_xor_b32_e32 v120, vcc_hi, v4
	v_xor_b32_e32 v4, vcc_lo, v4
	v_and_b32_e32 v22, v22, v4
	v_lshlrev_b32_e32 v4, 28, v21
	v_cmp_gt_i64_e32 vcc, 0, v[3:4]
	v_not_b32_e32 v4, v4
	v_ashrrev_i32_e32 v4, 31, v4
	v_and_b32_e32 v119, v119, v120
	;; [unrolled: 8-line block ×5, first 2 shown]
	v_xor_b32_e32 v120, vcc_hi, v4
	v_xor_b32_e32 v4, vcc_lo, v4
	v_and_b32_e32 v119, v119, v120
	v_and_b32_e32 v120, v22, v4
	v_lshlrev_b32_e32 v4, 24, v21
	v_cmp_gt_i64_e32 vcc, 0, v[3:4]
	v_not_b32_e32 v4, v4
	v_ashrrev_i32_e32 v4, 31, v4
	v_mul_u32_u24_e32 v108, 20, v21
	v_xor_b32_e32 v21, vcc_hi, v4
	v_xor_b32_e32 v4, vcc_lo, v4
	v_and_b32_e32 v22, v119, v21
	v_and_b32_e32 v21, v120, v4
	v_mbcnt_lo_u32_b32 v4, v21, 0
	v_mbcnt_hi_u32_b32 v119, v22, v4
	v_cmp_ne_u64_e32 vcc, 0, v[21:22]
	v_cmp_eq_u32_e64 s[38:39], 0, v119
	s_and_b64 s[40:41], vcc, s[38:39]
	v_add_u32_e32 v108, v91, v108
	; wave barrier
	s_and_saveexec_b64 s[38:39], s[40:41]
	s_cbranch_execz .LBB1744_426
; %bb.425:                              ;   in Loop: Header=BB1744_394 Depth=2
	v_bcnt_u32_b32 v4, v21, 0
	v_bcnt_u32_b32 v4, v22, v4
	s_waitcnt lgkmcnt(0)
	v_add_u32_e32 v4, v117, v4
	ds_write_b32 v108, v4 offset:1040
.LBB1744_426:                           ;   in Loop: Header=BB1744_394 Depth=2
	s_or_b64 exec, exec, s[38:39]
	v_cmp_gt_i16_e32 vcc, 0, v24
	v_cndmask_b32_e64 v4, v65, 0, vcc
	v_xor_b32_e32 v120, v4, v24
	v_cmp_ne_u16_e32 vcc, s7, v120
	v_cndmask_b32_e32 v4, v65, v120, vcc
	v_lshrrev_b32_sdwa v4, s77, v4 dst_sel:DWORD dst_unused:UNUSED_PAD src0_sel:DWORD src1_sel:WORD_0
	v_and_b32_e32 v21, s63, v4
	v_mad_u32_u24 v4, v21, 20, v91
	; wave barrier
	ds_read_b32 v121, v4 offset:1040
	v_and_b32_e32 v4, 1, v21
	v_add_co_u32_e32 v22, vcc, -1, v4
	v_addc_co_u32_e64 v122, s[38:39], 0, -1, vcc
	v_cmp_ne_u32_e32 vcc, 0, v4
	v_xor_b32_e32 v4, vcc_hi, v122
	v_and_b32_e32 v122, exec_hi, v4
	v_lshlrev_b32_e32 v4, 30, v21
	v_xor_b32_e32 v22, vcc_lo, v22
	v_cmp_gt_i64_e32 vcc, 0, v[3:4]
	v_not_b32_e32 v4, v4
	v_ashrrev_i32_e32 v4, 31, v4
	v_and_b32_e32 v22, exec_lo, v22
	v_xor_b32_e32 v123, vcc_hi, v4
	v_xor_b32_e32 v4, vcc_lo, v4
	v_and_b32_e32 v22, v22, v4
	v_lshlrev_b32_e32 v4, 29, v21
	v_cmp_gt_i64_e32 vcc, 0, v[3:4]
	v_not_b32_e32 v4, v4
	v_ashrrev_i32_e32 v4, 31, v4
	v_and_b32_e32 v122, v122, v123
	v_xor_b32_e32 v123, vcc_hi, v4
	v_xor_b32_e32 v4, vcc_lo, v4
	v_and_b32_e32 v22, v22, v4
	v_lshlrev_b32_e32 v4, 28, v21
	v_cmp_gt_i64_e32 vcc, 0, v[3:4]
	v_not_b32_e32 v4, v4
	v_ashrrev_i32_e32 v4, 31, v4
	v_and_b32_e32 v122, v122, v123
	;; [unrolled: 8-line block ×5, first 2 shown]
	v_xor_b32_e32 v123, vcc_hi, v4
	v_xor_b32_e32 v4, vcc_lo, v4
	v_and_b32_e32 v122, v122, v123
	v_and_b32_e32 v123, v22, v4
	v_lshlrev_b32_e32 v4, 24, v21
	v_cmp_gt_i64_e32 vcc, 0, v[3:4]
	v_not_b32_e32 v4, v4
	v_ashrrev_i32_e32 v4, 31, v4
	v_mul_u32_u24_e32 v24, 20, v21
	v_xor_b32_e32 v21, vcc_hi, v4
	v_xor_b32_e32 v4, vcc_lo, v4
	v_and_b32_e32 v22, v122, v21
	v_and_b32_e32 v21, v123, v4
	v_mbcnt_lo_u32_b32 v4, v21, 0
	v_mbcnt_hi_u32_b32 v122, v22, v4
	v_cmp_ne_u64_e32 vcc, 0, v[21:22]
	v_cmp_eq_u32_e64 s[38:39], 0, v122
	s_and_b64 s[40:41], vcc, s[38:39]
	v_add_u32_e32 v125, v91, v24
	; wave barrier
	s_and_saveexec_b64 s[38:39], s[40:41]
	s_cbranch_execz .LBB1744_428
; %bb.427:                              ;   in Loop: Header=BB1744_394 Depth=2
	v_bcnt_u32_b32 v4, v21, 0
	v_bcnt_u32_b32 v4, v22, v4
	s_waitcnt lgkmcnt(0)
	v_add_u32_e32 v4, v121, v4
	ds_write_b32 v125, v4 offset:1040
.LBB1744_428:                           ;   in Loop: Header=BB1744_394 Depth=2
	s_or_b64 exec, exec, s[38:39]
	v_cmp_gt_i16_e32 vcc, 0, v23
	v_cndmask_b32_e64 v4, v65, 0, vcc
	v_xor_b32_e32 v123, v4, v23
	v_cmp_ne_u16_e32 vcc, s7, v123
	v_cndmask_b32_e32 v4, v65, v123, vcc
	v_lshrrev_b32_sdwa v4, s77, v4 dst_sel:DWORD dst_unused:UNUSED_PAD src0_sel:DWORD src1_sel:WORD_0
	v_and_b32_e32 v21, s63, v4
	v_mad_u32_u24 v4, v21, 20, v91
	; wave barrier
	ds_read_b32 v124, v4 offset:1040
	v_and_b32_e32 v4, 1, v21
	v_add_co_u32_e32 v22, vcc, -1, v4
	v_addc_co_u32_e64 v24, s[38:39], 0, -1, vcc
	v_cmp_ne_u32_e32 vcc, 0, v4
	v_xor_b32_e32 v4, vcc_hi, v24
	v_and_b32_e32 v24, exec_hi, v4
	v_lshlrev_b32_e32 v4, 30, v21
	v_xor_b32_e32 v22, vcc_lo, v22
	v_cmp_gt_i64_e32 vcc, 0, v[3:4]
	v_not_b32_e32 v4, v4
	v_ashrrev_i32_e32 v4, 31, v4
	v_and_b32_e32 v22, exec_lo, v22
	v_xor_b32_e32 v126, vcc_hi, v4
	v_xor_b32_e32 v4, vcc_lo, v4
	v_and_b32_e32 v22, v22, v4
	v_lshlrev_b32_e32 v4, 29, v21
	v_cmp_gt_i64_e32 vcc, 0, v[3:4]
	v_not_b32_e32 v4, v4
	v_ashrrev_i32_e32 v4, 31, v4
	v_and_b32_e32 v24, v24, v126
	v_xor_b32_e32 v126, vcc_hi, v4
	v_xor_b32_e32 v4, vcc_lo, v4
	v_and_b32_e32 v22, v22, v4
	v_lshlrev_b32_e32 v4, 28, v21
	v_cmp_gt_i64_e32 vcc, 0, v[3:4]
	v_not_b32_e32 v4, v4
	v_ashrrev_i32_e32 v4, 31, v4
	v_and_b32_e32 v24, v24, v126
	;; [unrolled: 8-line block ×5, first 2 shown]
	v_xor_b32_e32 v126, vcc_hi, v4
	v_xor_b32_e32 v4, vcc_lo, v4
	v_and_b32_e32 v24, v24, v126
	v_and_b32_e32 v126, v22, v4
	v_lshlrev_b32_e32 v4, 24, v21
	v_cmp_gt_i64_e32 vcc, 0, v[3:4]
	v_not_b32_e32 v4, v4
	v_ashrrev_i32_e32 v4, 31, v4
	v_mul_u32_u24_e32 v23, 20, v21
	v_xor_b32_e32 v21, vcc_hi, v4
	v_xor_b32_e32 v4, vcc_lo, v4
	v_and_b32_e32 v22, v24, v21
	v_and_b32_e32 v21, v126, v4
	v_mbcnt_lo_u32_b32 v4, v21, 0
	v_mbcnt_hi_u32_b32 v126, v22, v4
	v_cmp_ne_u64_e32 vcc, 0, v[21:22]
	v_cmp_eq_u32_e64 s[38:39], 0, v126
	s_and_b64 s[40:41], vcc, s[38:39]
	v_add_u32_e32 v4, v91, v23
	; wave barrier
	s_and_saveexec_b64 s[38:39], s[40:41]
	s_cbranch_execz .LBB1744_430
; %bb.429:                              ;   in Loop: Header=BB1744_394 Depth=2
	v_bcnt_u32_b32 v21, v21, 0
	v_bcnt_u32_b32 v21, v22, v21
	s_waitcnt lgkmcnt(0)
	v_add_u32_e32 v21, v124, v21
	ds_write_b32 v4, v21 offset:1040
.LBB1744_430:                           ;   in Loop: Header=BB1744_394 Depth=2
	s_or_b64 exec, exec, s[38:39]
	; wave barrier
	s_waitcnt lgkmcnt(0)
	s_barrier
	ds_read2_b32 v[23:24], v62 offset1:1
	ds_read2_b32 v[21:22], v63 offset1:1
	ds_read_b32 v127, v41 offset:1056
	s_waitcnt lgkmcnt(1)
	v_add3_u32 v128, v24, v23, v21
	s_waitcnt lgkmcnt(0)
	v_add3_u32 v127, v128, v22, v127
	s_nop 1
	v_mov_b32_dpp v128, v127 row_shr:1 row_mask:0xf bank_mask:0xf
	v_cndmask_b32_e64 v128, v128, 0, s[18:19]
	v_add_u32_e32 v127, v128, v127
	s_nop 1
	v_mov_b32_dpp v128, v127 row_shr:2 row_mask:0xf bank_mask:0xf
	v_cndmask_b32_e64 v128, 0, v128, s[20:21]
	v_add_u32_e32 v127, v127, v128
	;; [unrolled: 4-line block ×4, first 2 shown]
	s_nop 1
	v_mov_b32_dpp v128, v127 row_bcast:15 row_mask:0xf bank_mask:0xf
	v_cndmask_b32_e64 v128, v128, 0, s[26:27]
	v_add_u32_e32 v127, v127, v128
	s_nop 1
	v_mov_b32_dpp v128, v127 row_bcast:31 row_mask:0xf bank_mask:0xf
	v_cndmask_b32_e64 v128, 0, v128, s[28:29]
	v_add_u32_e32 v127, v127, v128
	s_and_saveexec_b64 s[38:39], s[8:9]
; %bb.431:                              ;   in Loop: Header=BB1744_394 Depth=2
	ds_write_b32 v37, v127 offset:1024
; %bb.432:                              ;   in Loop: Header=BB1744_394 Depth=2
	s_or_b64 exec, exec, s[38:39]
	s_waitcnt lgkmcnt(0)
	s_barrier
	s_and_saveexec_b64 s[38:39], s[10:11]
	s_cbranch_execz .LBB1744_434
; %bb.433:                              ;   in Loop: Header=BB1744_394 Depth=2
	ds_read_b32 v128, v42 offset:1024
	s_waitcnt lgkmcnt(0)
	s_nop 0
	v_mov_b32_dpp v129, v128 row_shr:1 row_mask:0xf bank_mask:0xf
	v_cndmask_b32_e64 v129, v129, 0, s[34:35]
	v_add_u32_e32 v128, v129, v128
	s_nop 1
	v_mov_b32_dpp v129, v128 row_shr:2 row_mask:0xf bank_mask:0xf
	v_cndmask_b32_e64 v129, 0, v129, s[36:37]
	v_add_u32_e32 v128, v128, v129
	ds_write_b32 v42, v128 offset:1024
.LBB1744_434:                           ;   in Loop: Header=BB1744_394 Depth=2
	s_or_b64 exec, exec, s[38:39]
	v_mov_b32_e32 v128, 0
	s_waitcnt lgkmcnt(0)
	s_barrier
	s_and_saveexec_b64 s[38:39], s[12:13]
; %bb.435:                              ;   in Loop: Header=BB1744_394 Depth=2
	ds_read_b32 v128, v37 offset:1020
; %bb.436:                              ;   in Loop: Header=BB1744_394 Depth=2
	s_or_b64 exec, exec, s[38:39]
	s_waitcnt lgkmcnt(0)
	v_add_u32_e32 v127, v128, v127
	ds_bpermute_b32 v127, v82, v127
	s_waitcnt lgkmcnt(0)
	v_cndmask_b32_e64 v127, v127, v128, s[30:31]
	v_cndmask_b32_e64 v127, v127, 0, s[14:15]
	v_add_u32_e32 v23, v127, v23
	v_add_u32_e32 v24, v23, v24
	v_add_u32_e32 v21, v24, v21
	v_add_u32_e32 v22, v21, v22
	ds_write2_b32 v62, v127, v23 offset1:1
	ds_write2_b32 v63, v24, v21 offset1:1
	ds_write_b32 v41, v22 offset:1056
	s_waitcnt lgkmcnt(0)
	s_barrier
	ds_read_b32 v21, v101 offset:1040
	ds_read_b32 v22, v105 offset:1040
	;; [unrolled: 1-line block ×9, first 2 shown]
	v_mov_b32_e32 v4, 0x800
	s_and_saveexec_b64 s[38:39], s[16:17]
; %bb.437:                              ;   in Loop: Header=BB1744_394 Depth=2
	ds_read_b32 v4, v41 offset:1060
; %bb.438:                              ;   in Loop: Header=BB1744_394 Depth=2
	s_or_b64 exec, exec, s[38:39]
	s_waitcnt lgkmcnt(0)
	s_barrier
	s_and_saveexec_b64 s[38:39], s[4:5]
	s_cbranch_execz .LBB1744_440
; %bb.439:                              ;   in Loop: Header=BB1744_394 Depth=2
	ds_read_b32 v105, v25
	s_waitcnt lgkmcnt(0)
	v_sub_u32_e32 v101, v105, v101
	ds_write_b32 v25, v101
.LBB1744_440:                           ;   in Loop: Header=BB1744_394 Depth=2
	s_or_b64 exec, exec, s[38:39]
	v_add_u32_e32 v108, v21, v98
	v_add3_u32 v105, v102, v100, v22
	v_lshlrev_b32_e32 v21, 1, v108
	v_add3_u32 v102, v106, v104, v23
	ds_write_b16 v21, v97 offset:1024
	v_lshlrev_b32_e32 v21, 1, v105
	v_add3_u32 v101, v111, v109, v24
	ds_write_b16 v21, v99 offset:1024
	v_lshlrev_b32_e32 v21, 1, v102
	v_add3_u32 v100, v115, v113, v110
	ds_write_b16 v21, v103 offset:1024
	v_lshlrev_b32_e32 v21, 1, v101
	v_add3_u32 v98, v119, v117, v114
	ds_write_b16 v21, v107 offset:1024
	v_lshlrev_b32_e32 v21, 1, v100
	v_add3_u32 v24, v122, v121, v118
	ds_write_b16 v21, v112 offset:1024
	v_lshlrev_b32_e32 v21, 1, v98
	v_add3_u32 v23, v126, v124, v125
	ds_write_b16 v21, v116 offset:1024
	v_lshlrev_b32_e32 v21, 1, v24
	ds_write_b16 v21, v120 offset:1024
	v_lshlrev_b32_e32 v21, 1, v23
	v_cmp_lt_u32_e32 vcc, v0, v96
	ds_write_b16 v21, v123 offset:1024
	s_waitcnt lgkmcnt(0)
	s_barrier
	s_and_saveexec_b64 s[40:41], vcc
	s_cbranch_execnz .LBB1744_477
; %bb.441:                              ;   in Loop: Header=BB1744_394 Depth=2
	s_or_b64 exec, exec, s[40:41]
	v_cmp_lt_u32_e64 s[38:39], v26, v96
	s_and_saveexec_b64 s[42:43], s[38:39]
	s_cbranch_execnz .LBB1744_478
.LBB1744_442:                           ;   in Loop: Header=BB1744_394 Depth=2
	s_or_b64 exec, exec, s[42:43]
	v_cmp_lt_u32_e64 s[40:41], v27, v96
	s_and_saveexec_b64 s[44:45], s[40:41]
	s_cbranch_execnz .LBB1744_479
.LBB1744_443:                           ;   in Loop: Header=BB1744_394 Depth=2
	s_or_b64 exec, exec, s[44:45]
	v_cmp_lt_u32_e64 s[42:43], v28, v96
	s_and_saveexec_b64 s[46:47], s[42:43]
	s_cbranch_execnz .LBB1744_480
.LBB1744_444:                           ;   in Loop: Header=BB1744_394 Depth=2
	s_or_b64 exec, exec, s[46:47]
	v_cmp_lt_u32_e64 s[44:45], v31, v96
	s_and_saveexec_b64 s[48:49], s[44:45]
	s_cbranch_execnz .LBB1744_481
.LBB1744_445:                           ;   in Loop: Header=BB1744_394 Depth=2
	s_or_b64 exec, exec, s[48:49]
	v_cmp_lt_u32_e64 s[46:47], v32, v96
	s_and_saveexec_b64 s[50:51], s[46:47]
	s_cbranch_execnz .LBB1744_482
.LBB1744_446:                           ;   in Loop: Header=BB1744_394 Depth=2
	s_or_b64 exec, exec, s[50:51]
	v_cmp_lt_u32_e64 s[48:49], v33, v96
	s_and_saveexec_b64 s[52:53], s[48:49]
	s_cbranch_execnz .LBB1744_483
.LBB1744_447:                           ;   in Loop: Header=BB1744_394 Depth=2
	s_or_b64 exec, exec, s[52:53]
	v_cmp_lt_u32_e64 s[50:51], v34, v96
	s_and_saveexec_b64 s[60:61], s[50:51]
	s_cbranch_execz .LBB1744_449
.LBB1744_448:                           ;   in Loop: Header=BB1744_394 Depth=2
	ds_read_u16 v21, v47 offset:4608
	v_mov_b32_e32 v22, v3
	v_mov_b32_e32 v99, s67
	s_waitcnt lgkmcnt(0)
	v_cmp_ne_u16_e64 s[52:53], s7, v21
	v_cndmask_b32_e64 v97, v65, v21, s[52:53]
	v_lshrrev_b32_sdwa v97, s77, v97 dst_sel:DWORD dst_unused:UNUSED_PAD src0_sel:DWORD src1_sel:WORD_0
	v_and_b32_e32 v97, s63, v97
	v_lshlrev_b32_e32 v97, 2, v97
	ds_read_b32 v97, v97
	v_cmp_gt_i16_e64 s[52:53], 0, v21
	v_cndmask_b32_e64 v103, v65, 0, s[52:53]
	v_xor_b32_e32 v103, v103, v21
	s_waitcnt lgkmcnt(0)
	v_add_u32_e32 v21, v97, v34
	v_lshlrev_b64 v[21:22], 1, v[21:22]
	v_add_co_u32_e64 v21, s[52:53], s66, v21
	v_addc_co_u32_e64 v22, s[52:53], v99, v22, s[52:53]
	global_store_short v[21:22], v103, off
.LBB1744_449:                           ;   in Loop: Header=BB1744_394 Depth=2
	s_or_b64 exec, exec, s[60:61]
	s_lshl_b64 s[52:53], s[58:59], 3
	v_mov_b32_e32 v22, s53
	v_add_co_u32_e64 v21, s[52:53], s52, v83
	v_addc_co_u32_e64 v22, s[52:53], v84, v22, s[52:53]
	v_cmp_lt_u32_e64 s[52:53], v73, v96
	s_and_saveexec_b64 s[60:61], s[52:53]
	s_xor_b64 s[52:53], exec, s[60:61]
	s_cbranch_execnz .LBB1744_484
; %bb.450:                              ;   in Loop: Header=BB1744_394 Depth=2
	s_or_b64 exec, exec, s[52:53]
	v_cmp_lt_u32_e64 s[52:53], v74, v96
	s_and_saveexec_b64 s[60:61], s[52:53]
	s_cbranch_execnz .LBB1744_485
.LBB1744_451:                           ;   in Loop: Header=BB1744_394 Depth=2
	s_or_b64 exec, exec, s[60:61]
	v_cmp_lt_u32_e64 s[52:53], v75, v96
	s_and_saveexec_b64 s[60:61], s[52:53]
	s_cbranch_execnz .LBB1744_486
.LBB1744_452:                           ;   in Loop: Header=BB1744_394 Depth=2
	s_or_b64 exec, exec, s[60:61]
	v_cmp_lt_u32_e64 s[52:53], v76, v96
	s_and_saveexec_b64 s[60:61], s[52:53]
	s_cbranch_execnz .LBB1744_487
.LBB1744_453:                           ;   in Loop: Header=BB1744_394 Depth=2
	s_or_b64 exec, exec, s[60:61]
	v_cmp_lt_u32_e64 s[52:53], v77, v96
	s_and_saveexec_b64 s[60:61], s[52:53]
	s_cbranch_execnz .LBB1744_488
.LBB1744_454:                           ;   in Loop: Header=BB1744_394 Depth=2
	s_or_b64 exec, exec, s[60:61]
	v_cmp_lt_u32_e64 s[52:53], v78, v96
	s_and_saveexec_b64 s[60:61], s[52:53]
	s_cbranch_execnz .LBB1744_489
.LBB1744_455:                           ;   in Loop: Header=BB1744_394 Depth=2
	s_or_b64 exec, exec, s[60:61]
	v_cmp_lt_u32_e64 s[52:53], v79, v96
	s_and_saveexec_b64 s[60:61], s[52:53]
	s_cbranch_execnz .LBB1744_490
.LBB1744_456:                           ;   in Loop: Header=BB1744_394 Depth=2
	s_or_b64 exec, exec, s[60:61]
	v_cmp_lt_u32_e64 s[52:53], v80, v96
	s_and_saveexec_b64 s[60:61], s[52:53]
	s_cbranch_execnz .LBB1744_491
.LBB1744_457:                           ;   in Loop: Header=BB1744_394 Depth=2
	s_or_b64 exec, exec, s[60:61]
	s_and_saveexec_b64 s[60:61], vcc
	s_cbranch_execnz .LBB1744_492
.LBB1744_458:                           ;   in Loop: Header=BB1744_394 Depth=2
	s_or_b64 exec, exec, s[60:61]
	s_and_saveexec_b64 s[60:61], s[38:39]
	s_cbranch_execnz .LBB1744_493
.LBB1744_459:                           ;   in Loop: Header=BB1744_394 Depth=2
	s_or_b64 exec, exec, s[60:61]
	s_and_saveexec_b64 s[60:61], s[40:41]
	s_cbranch_execnz .LBB1744_494
.LBB1744_460:                           ;   in Loop: Header=BB1744_394 Depth=2
	s_or_b64 exec, exec, s[60:61]
	s_and_saveexec_b64 s[60:61], s[42:43]
	s_cbranch_execnz .LBB1744_495
.LBB1744_461:                           ;   in Loop: Header=BB1744_394 Depth=2
	s_or_b64 exec, exec, s[60:61]
	s_and_saveexec_b64 s[60:61], s[44:45]
	s_cbranch_execnz .LBB1744_496
.LBB1744_462:                           ;   in Loop: Header=BB1744_394 Depth=2
	s_or_b64 exec, exec, s[60:61]
	s_and_saveexec_b64 s[60:61], s[46:47]
	s_cbranch_execnz .LBB1744_497
.LBB1744_463:                           ;   in Loop: Header=BB1744_394 Depth=2
	s_or_b64 exec, exec, s[60:61]
	s_and_saveexec_b64 s[60:61], s[48:49]
	s_cbranch_execnz .LBB1744_498
.LBB1744_464:                           ;   in Loop: Header=BB1744_394 Depth=2
	s_or_b64 exec, exec, s[60:61]
	s_and_saveexec_b64 s[60:61], s[50:51]
	s_cbranch_execz .LBB1744_466
.LBB1744_465:                           ;   in Loop: Header=BB1744_394 Depth=2
	ds_read_u16 v21, v47 offset:4608
	s_waitcnt lgkmcnt(0)
	v_cmp_ne_u16_e64 s[52:53], s7, v21
	v_cndmask_b32_e64 v21, v65, v21, s[52:53]
	v_lshrrev_b32_sdwa v21, s77, v21 dst_sel:DWORD dst_unused:UNUSED_PAD src0_sel:DWORD src1_sel:WORD_0
	v_and_b32_e32 v87, s63, v21
.LBB1744_466:                           ;   in Loop: Header=BB1744_394 Depth=2
	s_or_b64 exec, exec, s[60:61]
	v_lshlrev_b32_e32 v21, 3, v108
	s_waitcnt vmcnt(0)
	s_barrier
	ds_write_b64 v21, v[19:20] offset:1024
	v_lshlrev_b32_e32 v21, 3, v105
	ds_write_b64 v21, v[17:18] offset:1024
	v_lshlrev_b32_e32 v21, 3, v102
	;; [unrolled: 2-line block ×7, first 2 shown]
	ds_write_b64 v21, v[5:6] offset:1024
	s_waitcnt lgkmcnt(0)
	s_barrier
	s_and_saveexec_b64 s[52:53], vcc
	s_cbranch_execnz .LBB1744_499
; %bb.467:                              ;   in Loop: Header=BB1744_394 Depth=2
	s_or_b64 exec, exec, s[52:53]
	s_and_saveexec_b64 s[52:53], s[38:39]
	s_cbranch_execnz .LBB1744_500
.LBB1744_468:                           ;   in Loop: Header=BB1744_394 Depth=2
	s_or_b64 exec, exec, s[52:53]
	s_and_saveexec_b64 s[38:39], s[40:41]
	s_cbranch_execnz .LBB1744_501
.LBB1744_469:                           ;   in Loop: Header=BB1744_394 Depth=2
	s_or_b64 exec, exec, s[38:39]
	s_and_saveexec_b64 s[38:39], s[42:43]
	s_cbranch_execnz .LBB1744_502
.LBB1744_470:                           ;   in Loop: Header=BB1744_394 Depth=2
	s_or_b64 exec, exec, s[38:39]
	s_and_saveexec_b64 s[38:39], s[44:45]
	s_cbranch_execnz .LBB1744_503
.LBB1744_471:                           ;   in Loop: Header=BB1744_394 Depth=2
	s_or_b64 exec, exec, s[38:39]
	s_and_saveexec_b64 s[38:39], s[46:47]
	s_cbranch_execnz .LBB1744_504
.LBB1744_472:                           ;   in Loop: Header=BB1744_394 Depth=2
	s_or_b64 exec, exec, s[38:39]
	s_and_saveexec_b64 s[38:39], s[48:49]
	s_cbranch_execnz .LBB1744_505
.LBB1744_473:                           ;   in Loop: Header=BB1744_394 Depth=2
	s_or_b64 exec, exec, s[38:39]
	s_and_saveexec_b64 s[38:39], s[50:51]
	s_cbranch_execz .LBB1744_475
.LBB1744_474:                           ;   in Loop: Header=BB1744_394 Depth=2
	v_lshlrev_b32_e32 v21, 2, v87
	ds_read_b32 v23, v21
	v_add_u32_e32 v21, v47, v48
	ds_read_b64 v[21:22], v21 offset:15360
	v_mov_b32_e32 v24, v3
	v_mov_b32_e32 v96, s73
	s_waitcnt lgkmcnt(1)
	v_add_u32_e32 v23, v23, v34
	v_lshlrev_b64 v[23:24], 3, v[23:24]
	v_add_co_u32_e32 v23, vcc, s72, v23
	v_addc_co_u32_e32 v24, vcc, v96, v24, vcc
	s_waitcnt lgkmcnt(0)
	global_store_dwordx2 v[23:24], v[21:22], off
.LBB1744_475:                           ;   in Loop: Header=BB1744_394 Depth=2
	s_or_b64 exec, exec, s[38:39]
	s_waitcnt vmcnt(0)
	s_barrier
	s_and_saveexec_b64 s[38:39], s[4:5]
	s_cbranch_execz .LBB1744_393
; %bb.476:                              ;   in Loop: Header=BB1744_394 Depth=2
	ds_read_b32 v21, v25
	s_waitcnt lgkmcnt(0)
	v_add_u32_e32 v4, v21, v4
	ds_write_b32 v25, v4
	s_branch .LBB1744_393
.LBB1744_477:                           ;   in Loop: Header=BB1744_394 Depth=2
	ds_read_u16 v21, v47 offset:1024
	v_mov_b32_e32 v22, v3
	v_mov_b32_e32 v99, s67
	s_waitcnt lgkmcnt(0)
	v_cmp_ne_u16_e64 s[38:39], s7, v21
	v_cndmask_b32_e64 v97, v65, v21, s[38:39]
	v_lshrrev_b32_sdwa v97, s77, v97 dst_sel:DWORD dst_unused:UNUSED_PAD src0_sel:DWORD src1_sel:WORD_0
	v_and_b32_e32 v97, s63, v97
	v_lshlrev_b32_e32 v97, 2, v97
	ds_read_b32 v97, v97
	v_cmp_gt_i16_e64 s[38:39], 0, v21
	v_cndmask_b32_e64 v103, v65, 0, s[38:39]
	v_xor_b32_e32 v103, v103, v21
	s_waitcnt lgkmcnt(0)
	v_add_u32_e32 v21, v97, v0
	v_lshlrev_b64 v[21:22], 1, v[21:22]
	v_add_co_u32_e64 v21, s[38:39], s66, v21
	v_addc_co_u32_e64 v22, s[38:39], v99, v22, s[38:39]
	global_store_short v[21:22], v103, off
	s_or_b64 exec, exec, s[40:41]
	v_cmp_lt_u32_e64 s[38:39], v26, v96
	s_and_saveexec_b64 s[42:43], s[38:39]
	s_cbranch_execz .LBB1744_442
.LBB1744_478:                           ;   in Loop: Header=BB1744_394 Depth=2
	ds_read_u16 v21, v47 offset:1536
	v_mov_b32_e32 v22, v3
	v_mov_b32_e32 v99, s67
	s_waitcnt lgkmcnt(0)
	v_cmp_ne_u16_e64 s[40:41], s7, v21
	v_cndmask_b32_e64 v97, v65, v21, s[40:41]
	v_lshrrev_b32_sdwa v97, s77, v97 dst_sel:DWORD dst_unused:UNUSED_PAD src0_sel:DWORD src1_sel:WORD_0
	v_and_b32_e32 v97, s63, v97
	v_lshlrev_b32_e32 v97, 2, v97
	ds_read_b32 v97, v97
	v_cmp_gt_i16_e64 s[40:41], 0, v21
	v_cndmask_b32_e64 v103, v65, 0, s[40:41]
	v_xor_b32_e32 v103, v103, v21
	s_waitcnt lgkmcnt(0)
	v_add_u32_e32 v21, v97, v26
	v_lshlrev_b64 v[21:22], 1, v[21:22]
	v_add_co_u32_e64 v21, s[40:41], s66, v21
	v_addc_co_u32_e64 v22, s[40:41], v99, v22, s[40:41]
	global_store_short v[21:22], v103, off
	s_or_b64 exec, exec, s[42:43]
	v_cmp_lt_u32_e64 s[40:41], v27, v96
	s_and_saveexec_b64 s[44:45], s[40:41]
	s_cbranch_execz .LBB1744_443
.LBB1744_479:                           ;   in Loop: Header=BB1744_394 Depth=2
	ds_read_u16 v21, v47 offset:2048
	v_mov_b32_e32 v22, v3
	v_mov_b32_e32 v99, s67
	s_waitcnt lgkmcnt(0)
	v_cmp_ne_u16_e64 s[42:43], s7, v21
	v_cndmask_b32_e64 v97, v65, v21, s[42:43]
	v_lshrrev_b32_sdwa v97, s77, v97 dst_sel:DWORD dst_unused:UNUSED_PAD src0_sel:DWORD src1_sel:WORD_0
	v_and_b32_e32 v97, s63, v97
	v_lshlrev_b32_e32 v97, 2, v97
	ds_read_b32 v97, v97
	v_cmp_gt_i16_e64 s[42:43], 0, v21
	v_cndmask_b32_e64 v103, v65, 0, s[42:43]
	v_xor_b32_e32 v103, v103, v21
	s_waitcnt lgkmcnt(0)
	v_add_u32_e32 v21, v97, v27
	v_lshlrev_b64 v[21:22], 1, v[21:22]
	v_add_co_u32_e64 v21, s[42:43], s66, v21
	v_addc_co_u32_e64 v22, s[42:43], v99, v22, s[42:43]
	global_store_short v[21:22], v103, off
	s_or_b64 exec, exec, s[44:45]
	v_cmp_lt_u32_e64 s[42:43], v28, v96
	s_and_saveexec_b64 s[46:47], s[42:43]
	s_cbranch_execz .LBB1744_444
.LBB1744_480:                           ;   in Loop: Header=BB1744_394 Depth=2
	ds_read_u16 v21, v47 offset:2560
	v_mov_b32_e32 v22, v3
	v_mov_b32_e32 v99, s67
	s_waitcnt lgkmcnt(0)
	v_cmp_ne_u16_e64 s[44:45], s7, v21
	v_cndmask_b32_e64 v97, v65, v21, s[44:45]
	v_lshrrev_b32_sdwa v97, s77, v97 dst_sel:DWORD dst_unused:UNUSED_PAD src0_sel:DWORD src1_sel:WORD_0
	v_and_b32_e32 v97, s63, v97
	v_lshlrev_b32_e32 v97, 2, v97
	ds_read_b32 v97, v97
	v_cmp_gt_i16_e64 s[44:45], 0, v21
	v_cndmask_b32_e64 v103, v65, 0, s[44:45]
	v_xor_b32_e32 v103, v103, v21
	s_waitcnt lgkmcnt(0)
	v_add_u32_e32 v21, v97, v28
	v_lshlrev_b64 v[21:22], 1, v[21:22]
	v_add_co_u32_e64 v21, s[44:45], s66, v21
	v_addc_co_u32_e64 v22, s[44:45], v99, v22, s[44:45]
	global_store_short v[21:22], v103, off
	s_or_b64 exec, exec, s[46:47]
	v_cmp_lt_u32_e64 s[44:45], v31, v96
	s_and_saveexec_b64 s[48:49], s[44:45]
	s_cbranch_execz .LBB1744_445
.LBB1744_481:                           ;   in Loop: Header=BB1744_394 Depth=2
	ds_read_u16 v21, v47 offset:3072
	v_mov_b32_e32 v22, v3
	v_mov_b32_e32 v99, s67
	s_waitcnt lgkmcnt(0)
	v_cmp_ne_u16_e64 s[46:47], s7, v21
	v_cndmask_b32_e64 v97, v65, v21, s[46:47]
	v_lshrrev_b32_sdwa v97, s77, v97 dst_sel:DWORD dst_unused:UNUSED_PAD src0_sel:DWORD src1_sel:WORD_0
	v_and_b32_e32 v97, s63, v97
	v_lshlrev_b32_e32 v97, 2, v97
	ds_read_b32 v97, v97
	v_cmp_gt_i16_e64 s[46:47], 0, v21
	v_cndmask_b32_e64 v103, v65, 0, s[46:47]
	v_xor_b32_e32 v103, v103, v21
	s_waitcnt lgkmcnt(0)
	v_add_u32_e32 v21, v97, v31
	v_lshlrev_b64 v[21:22], 1, v[21:22]
	v_add_co_u32_e64 v21, s[46:47], s66, v21
	v_addc_co_u32_e64 v22, s[46:47], v99, v22, s[46:47]
	global_store_short v[21:22], v103, off
	s_or_b64 exec, exec, s[48:49]
	v_cmp_lt_u32_e64 s[46:47], v32, v96
	s_and_saveexec_b64 s[50:51], s[46:47]
	s_cbranch_execz .LBB1744_446
.LBB1744_482:                           ;   in Loop: Header=BB1744_394 Depth=2
	ds_read_u16 v21, v47 offset:3584
	v_mov_b32_e32 v22, v3
	v_mov_b32_e32 v99, s67
	s_waitcnt lgkmcnt(0)
	v_cmp_ne_u16_e64 s[48:49], s7, v21
	v_cndmask_b32_e64 v97, v65, v21, s[48:49]
	v_lshrrev_b32_sdwa v97, s77, v97 dst_sel:DWORD dst_unused:UNUSED_PAD src0_sel:DWORD src1_sel:WORD_0
	v_and_b32_e32 v97, s63, v97
	v_lshlrev_b32_e32 v97, 2, v97
	ds_read_b32 v97, v97
	v_cmp_gt_i16_e64 s[48:49], 0, v21
	v_cndmask_b32_e64 v103, v65, 0, s[48:49]
	v_xor_b32_e32 v103, v103, v21
	s_waitcnt lgkmcnt(0)
	v_add_u32_e32 v21, v97, v32
	v_lshlrev_b64 v[21:22], 1, v[21:22]
	v_add_co_u32_e64 v21, s[48:49], s66, v21
	v_addc_co_u32_e64 v22, s[48:49], v99, v22, s[48:49]
	global_store_short v[21:22], v103, off
	s_or_b64 exec, exec, s[50:51]
	v_cmp_lt_u32_e64 s[48:49], v33, v96
	s_and_saveexec_b64 s[52:53], s[48:49]
	s_cbranch_execz .LBB1744_447
.LBB1744_483:                           ;   in Loop: Header=BB1744_394 Depth=2
	ds_read_u16 v21, v47 offset:4096
	v_mov_b32_e32 v22, v3
	v_mov_b32_e32 v99, s67
	s_waitcnt lgkmcnt(0)
	v_cmp_ne_u16_e64 s[50:51], s7, v21
	v_cndmask_b32_e64 v97, v65, v21, s[50:51]
	v_lshrrev_b32_sdwa v97, s77, v97 dst_sel:DWORD dst_unused:UNUSED_PAD src0_sel:DWORD src1_sel:WORD_0
	v_and_b32_e32 v97, s63, v97
	v_lshlrev_b32_e32 v97, 2, v97
	ds_read_b32 v97, v97
	v_cmp_gt_i16_e64 s[50:51], 0, v21
	v_cndmask_b32_e64 v103, v65, 0, s[50:51]
	v_xor_b32_e32 v103, v103, v21
	s_waitcnt lgkmcnt(0)
	v_add_u32_e32 v21, v97, v33
	v_lshlrev_b64 v[21:22], 1, v[21:22]
	v_add_co_u32_e64 v21, s[50:51], s66, v21
	v_addc_co_u32_e64 v22, s[50:51], v99, v22, s[50:51]
	global_store_short v[21:22], v103, off
	s_or_b64 exec, exec, s[52:53]
	v_cmp_lt_u32_e64 s[50:51], v34, v96
	s_and_saveexec_b64 s[60:61], s[50:51]
	s_cbranch_execnz .LBB1744_448
	s_branch .LBB1744_449
.LBB1744_484:                           ;   in Loop: Header=BB1744_394 Depth=2
	global_load_dwordx2 v[19:20], v[21:22], off
	s_or_b64 exec, exec, s[52:53]
	v_cmp_lt_u32_e64 s[52:53], v74, v96
	s_and_saveexec_b64 s[60:61], s[52:53]
	s_cbranch_execz .LBB1744_451
.LBB1744_485:                           ;   in Loop: Header=BB1744_394 Depth=2
	global_load_dwordx2 v[17:18], v[21:22], off offset:512
	s_or_b64 exec, exec, s[60:61]
	v_cmp_lt_u32_e64 s[52:53], v75, v96
	s_and_saveexec_b64 s[60:61], s[52:53]
	s_cbranch_execz .LBB1744_452
.LBB1744_486:                           ;   in Loop: Header=BB1744_394 Depth=2
	global_load_dwordx2 v[15:16], v[21:22], off offset:1024
	s_or_b64 exec, exec, s[60:61]
	v_cmp_lt_u32_e64 s[52:53], v76, v96
	s_and_saveexec_b64 s[60:61], s[52:53]
	s_cbranch_execz .LBB1744_453
.LBB1744_487:                           ;   in Loop: Header=BB1744_394 Depth=2
	global_load_dwordx2 v[13:14], v[21:22], off offset:1536
	s_or_b64 exec, exec, s[60:61]
	v_cmp_lt_u32_e64 s[52:53], v77, v96
	s_and_saveexec_b64 s[60:61], s[52:53]
	s_cbranch_execz .LBB1744_454
.LBB1744_488:                           ;   in Loop: Header=BB1744_394 Depth=2
	global_load_dwordx2 v[11:12], v[21:22], off offset:2048
	s_or_b64 exec, exec, s[60:61]
	v_cmp_lt_u32_e64 s[52:53], v78, v96
	s_and_saveexec_b64 s[60:61], s[52:53]
	s_cbranch_execz .LBB1744_455
.LBB1744_489:                           ;   in Loop: Header=BB1744_394 Depth=2
	global_load_dwordx2 v[9:10], v[21:22], off offset:2560
	s_or_b64 exec, exec, s[60:61]
	v_cmp_lt_u32_e64 s[52:53], v79, v96
	s_and_saveexec_b64 s[60:61], s[52:53]
	s_cbranch_execz .LBB1744_456
.LBB1744_490:                           ;   in Loop: Header=BB1744_394 Depth=2
	global_load_dwordx2 v[7:8], v[21:22], off offset:3072
	s_or_b64 exec, exec, s[60:61]
	v_cmp_lt_u32_e64 s[52:53], v80, v96
	s_and_saveexec_b64 s[60:61], s[52:53]
	s_cbranch_execz .LBB1744_457
.LBB1744_491:                           ;   in Loop: Header=BB1744_394 Depth=2
	global_load_dwordx2 v[5:6], v[21:22], off offset:3584
	s_or_b64 exec, exec, s[60:61]
	s_and_saveexec_b64 s[60:61], vcc
	s_cbranch_execz .LBB1744_458
.LBB1744_492:                           ;   in Loop: Header=BB1744_394 Depth=2
	ds_read_u16 v21, v47 offset:1024
	s_waitcnt lgkmcnt(0)
	v_cmp_ne_u16_e64 s[52:53], s7, v21
	v_cndmask_b32_e64 v21, v65, v21, s[52:53]
	v_lshrrev_b32_sdwa v21, s77, v21 dst_sel:DWORD dst_unused:UNUSED_PAD src0_sel:DWORD src1_sel:WORD_0
	v_and_b32_e32 v95, s63, v21
	s_or_b64 exec, exec, s[60:61]
	s_and_saveexec_b64 s[60:61], s[38:39]
	s_cbranch_execz .LBB1744_459
.LBB1744_493:                           ;   in Loop: Header=BB1744_394 Depth=2
	ds_read_u16 v21, v47 offset:1536
	s_waitcnt lgkmcnt(0)
	v_cmp_ne_u16_e64 s[52:53], s7, v21
	v_cndmask_b32_e64 v21, v65, v21, s[52:53]
	v_lshrrev_b32_sdwa v21, s77, v21 dst_sel:DWORD dst_unused:UNUSED_PAD src0_sel:DWORD src1_sel:WORD_0
	v_and_b32_e32 v94, s63, v21
	s_or_b64 exec, exec, s[60:61]
	s_and_saveexec_b64 s[60:61], s[40:41]
	s_cbranch_execz .LBB1744_460
.LBB1744_494:                           ;   in Loop: Header=BB1744_394 Depth=2
	ds_read_u16 v21, v47 offset:2048
	s_waitcnt lgkmcnt(0)
	v_cmp_ne_u16_e64 s[52:53], s7, v21
	v_cndmask_b32_e64 v21, v65, v21, s[52:53]
	v_lshrrev_b32_sdwa v21, s77, v21 dst_sel:DWORD dst_unused:UNUSED_PAD src0_sel:DWORD src1_sel:WORD_0
	v_and_b32_e32 v93, s63, v21
	s_or_b64 exec, exec, s[60:61]
	s_and_saveexec_b64 s[60:61], s[42:43]
	s_cbranch_execz .LBB1744_461
.LBB1744_495:                           ;   in Loop: Header=BB1744_394 Depth=2
	ds_read_u16 v21, v47 offset:2560
	s_waitcnt lgkmcnt(0)
	v_cmp_ne_u16_e64 s[52:53], s7, v21
	v_cndmask_b32_e64 v21, v65, v21, s[52:53]
	v_lshrrev_b32_sdwa v21, s77, v21 dst_sel:DWORD dst_unused:UNUSED_PAD src0_sel:DWORD src1_sel:WORD_0
	v_and_b32_e32 v92, s63, v21
	s_or_b64 exec, exec, s[60:61]
	s_and_saveexec_b64 s[60:61], s[44:45]
	s_cbranch_execz .LBB1744_462
.LBB1744_496:                           ;   in Loop: Header=BB1744_394 Depth=2
	ds_read_u16 v21, v47 offset:3072
	s_waitcnt lgkmcnt(0)
	v_cmp_ne_u16_e64 s[52:53], s7, v21
	v_cndmask_b32_e64 v21, v65, v21, s[52:53]
	v_lshrrev_b32_sdwa v21, s77, v21 dst_sel:DWORD dst_unused:UNUSED_PAD src0_sel:DWORD src1_sel:WORD_0
	v_and_b32_e32 v90, s63, v21
	s_or_b64 exec, exec, s[60:61]
	s_and_saveexec_b64 s[60:61], s[46:47]
	s_cbranch_execz .LBB1744_463
.LBB1744_497:                           ;   in Loop: Header=BB1744_394 Depth=2
	ds_read_u16 v21, v47 offset:3584
	s_waitcnt lgkmcnt(0)
	v_cmp_ne_u16_e64 s[52:53], s7, v21
	v_cndmask_b32_e64 v21, v65, v21, s[52:53]
	v_lshrrev_b32_sdwa v21, s77, v21 dst_sel:DWORD dst_unused:UNUSED_PAD src0_sel:DWORD src1_sel:WORD_0
	v_and_b32_e32 v89, s63, v21
	s_or_b64 exec, exec, s[60:61]
	s_and_saveexec_b64 s[60:61], s[48:49]
	s_cbranch_execz .LBB1744_464
.LBB1744_498:                           ;   in Loop: Header=BB1744_394 Depth=2
	ds_read_u16 v21, v47 offset:4096
	s_waitcnt lgkmcnt(0)
	v_cmp_ne_u16_e64 s[52:53], s7, v21
	v_cndmask_b32_e64 v21, v65, v21, s[52:53]
	v_lshrrev_b32_sdwa v21, s77, v21 dst_sel:DWORD dst_unused:UNUSED_PAD src0_sel:DWORD src1_sel:WORD_0
	v_and_b32_e32 v88, s63, v21
	s_or_b64 exec, exec, s[60:61]
	s_and_saveexec_b64 s[60:61], s[50:51]
	s_cbranch_execnz .LBB1744_465
	s_branch .LBB1744_466
.LBB1744_499:                           ;   in Loop: Header=BB1744_394 Depth=2
	v_lshlrev_b32_e32 v21, 2, v95
	ds_read_b32 v23, v21
	v_add_u32_e32 v21, v47, v48
	ds_read_b64 v[21:22], v21 offset:1024
	v_mov_b32_e32 v24, v3
	v_mov_b32_e32 v96, s73
	s_waitcnt lgkmcnt(1)
	v_add_u32_e32 v23, v23, v0
	v_lshlrev_b64 v[23:24], 3, v[23:24]
	v_add_co_u32_e32 v23, vcc, s72, v23
	v_addc_co_u32_e32 v24, vcc, v96, v24, vcc
	s_waitcnt lgkmcnt(0)
	global_store_dwordx2 v[23:24], v[21:22], off
	s_or_b64 exec, exec, s[52:53]
	s_and_saveexec_b64 s[52:53], s[38:39]
	s_cbranch_execz .LBB1744_468
.LBB1744_500:                           ;   in Loop: Header=BB1744_394 Depth=2
	v_lshlrev_b32_e32 v21, 2, v94
	ds_read_b32 v23, v21
	v_add_u32_e32 v21, v47, v48
	ds_read_b64 v[21:22], v21 offset:3072
	v_mov_b32_e32 v24, v3
	v_mov_b32_e32 v96, s73
	s_waitcnt lgkmcnt(1)
	v_add_u32_e32 v23, v23, v26
	v_lshlrev_b64 v[23:24], 3, v[23:24]
	v_add_co_u32_e32 v23, vcc, s72, v23
	v_addc_co_u32_e32 v24, vcc, v96, v24, vcc
	s_waitcnt lgkmcnt(0)
	global_store_dwordx2 v[23:24], v[21:22], off
	s_or_b64 exec, exec, s[52:53]
	s_and_saveexec_b64 s[38:39], s[40:41]
	s_cbranch_execz .LBB1744_469
.LBB1744_501:                           ;   in Loop: Header=BB1744_394 Depth=2
	v_lshlrev_b32_e32 v21, 2, v93
	ds_read_b32 v23, v21
	v_add_u32_e32 v21, v47, v48
	ds_read_b64 v[21:22], v21 offset:5120
	v_mov_b32_e32 v24, v3
	v_mov_b32_e32 v96, s73
	s_waitcnt lgkmcnt(1)
	v_add_u32_e32 v23, v23, v27
	v_lshlrev_b64 v[23:24], 3, v[23:24]
	v_add_co_u32_e32 v23, vcc, s72, v23
	v_addc_co_u32_e32 v24, vcc, v96, v24, vcc
	s_waitcnt lgkmcnt(0)
	global_store_dwordx2 v[23:24], v[21:22], off
	s_or_b64 exec, exec, s[38:39]
	s_and_saveexec_b64 s[38:39], s[42:43]
	s_cbranch_execz .LBB1744_470
.LBB1744_502:                           ;   in Loop: Header=BB1744_394 Depth=2
	v_lshlrev_b32_e32 v21, 2, v92
	ds_read_b32 v23, v21
	v_add_u32_e32 v21, v47, v48
	ds_read_b64 v[21:22], v21 offset:7168
	v_mov_b32_e32 v24, v3
	v_mov_b32_e32 v96, s73
	s_waitcnt lgkmcnt(1)
	v_add_u32_e32 v23, v23, v28
	v_lshlrev_b64 v[23:24], 3, v[23:24]
	v_add_co_u32_e32 v23, vcc, s72, v23
	v_addc_co_u32_e32 v24, vcc, v96, v24, vcc
	s_waitcnt lgkmcnt(0)
	global_store_dwordx2 v[23:24], v[21:22], off
	s_or_b64 exec, exec, s[38:39]
	s_and_saveexec_b64 s[38:39], s[44:45]
	s_cbranch_execz .LBB1744_471
.LBB1744_503:                           ;   in Loop: Header=BB1744_394 Depth=2
	v_lshlrev_b32_e32 v21, 2, v90
	ds_read_b32 v23, v21
	v_add_u32_e32 v21, v47, v48
	ds_read_b64 v[21:22], v21 offset:9216
	v_mov_b32_e32 v24, v3
	v_mov_b32_e32 v96, s73
	s_waitcnt lgkmcnt(1)
	v_add_u32_e32 v23, v23, v31
	v_lshlrev_b64 v[23:24], 3, v[23:24]
	v_add_co_u32_e32 v23, vcc, s72, v23
	v_addc_co_u32_e32 v24, vcc, v96, v24, vcc
	s_waitcnt lgkmcnt(0)
	global_store_dwordx2 v[23:24], v[21:22], off
	s_or_b64 exec, exec, s[38:39]
	s_and_saveexec_b64 s[38:39], s[46:47]
	s_cbranch_execz .LBB1744_472
.LBB1744_504:                           ;   in Loop: Header=BB1744_394 Depth=2
	v_lshlrev_b32_e32 v21, 2, v89
	ds_read_b32 v23, v21
	v_add_u32_e32 v21, v47, v48
	ds_read_b64 v[21:22], v21 offset:11264
	v_mov_b32_e32 v24, v3
	v_mov_b32_e32 v96, s73
	s_waitcnt lgkmcnt(1)
	v_add_u32_e32 v23, v23, v32
	v_lshlrev_b64 v[23:24], 3, v[23:24]
	v_add_co_u32_e32 v23, vcc, s72, v23
	v_addc_co_u32_e32 v24, vcc, v96, v24, vcc
	s_waitcnt lgkmcnt(0)
	global_store_dwordx2 v[23:24], v[21:22], off
	s_or_b64 exec, exec, s[38:39]
	s_and_saveexec_b64 s[38:39], s[48:49]
	s_cbranch_execz .LBB1744_473
.LBB1744_505:                           ;   in Loop: Header=BB1744_394 Depth=2
	v_lshlrev_b32_e32 v21, 2, v88
	ds_read_b32 v23, v21
	v_add_u32_e32 v21, v47, v48
	ds_read_b64 v[21:22], v21 offset:13312
	v_mov_b32_e32 v24, v3
	v_mov_b32_e32 v96, s73
	s_waitcnt lgkmcnt(1)
	v_add_u32_e32 v23, v23, v33
	v_lshlrev_b64 v[23:24], 3, v[23:24]
	v_add_co_u32_e32 v23, vcc, s72, v23
	v_addc_co_u32_e32 v24, vcc, v96, v24, vcc
	s_waitcnt lgkmcnt(0)
	global_store_dwordx2 v[23:24], v[21:22], off
	s_or_b64 exec, exec, s[38:39]
	s_and_saveexec_b64 s[38:39], s[50:51]
	s_cbranch_execnz .LBB1744_474
	s_branch .LBB1744_475
.LBB1744_506:                           ;   in Loop: Header=BB1744_12 Depth=1
	s_waitcnt lgkmcnt(0)
	s_barrier
	s_mov_b64 s[18:19], 0
.LBB1744_507:                           ;   in Loop: Header=BB1744_12 Depth=1
	s_and_b64 vcc, exec, s[18:19]
	s_cbranch_vccz .LBB1744_11
; %bb.508:                              ;   in Loop: Header=BB1744_12 Depth=1
	s_mov_b32 s22, s79
	s_mov_b32 s58, s80
	s_barrier
                                        ; implicit-def: $vgpr4
                                        ; implicit-def: $vgpr5
                                        ; implicit-def: $vgpr6
                                        ; implicit-def: $vgpr7
                                        ; implicit-def: $vgpr8
                                        ; implicit-def: $vgpr9
                                        ; implicit-def: $vgpr10
                                        ; implicit-def: $vgpr11
	s_branch .LBB1744_510
.LBB1744_509:                           ;   in Loop: Header=BB1744_510 Depth=2
	s_or_b64 exec, exec, s[18:19]
	s_addk_i32 s22, 0xf800
	s_cmp_ge_u32 s23, s81
	s_mov_b32 s58, s23
	s_cbranch_scc1 .LBB1744_546
.LBB1744_510:                           ;   Parent Loop BB1744_12 Depth=1
                                        ; =>  This Inner Loop Header: Depth=2
	s_add_i32 s23, s58, 0x800
	s_cmp_gt_u32 s23, s81
	s_mov_b64 s[18:19], -1
                                        ; implicit-def: $vgpr12
                                        ; implicit-def: $vgpr13
                                        ; implicit-def: $vgpr14
                                        ; implicit-def: $vgpr15
                                        ; implicit-def: $vgpr16
                                        ; implicit-def: $vgpr17
                                        ; implicit-def: $vgpr18
                                        ; implicit-def: $vgpr19
	s_cbranch_scc1 .LBB1744_512
; %bb.511:                              ;   in Loop: Header=BB1744_510 Depth=2
	s_lshl_b64 s[18:19], s[58:59], 1
	v_mov_b32_e32 v12, s19
	v_add_co_u32_e32 v20, vcc, s18, v55
	v_addc_co_u32_e32 v21, vcc, v56, v12, vcc
	global_load_ushort v12, v[20:21], off
	global_load_ushort v13, v[20:21], off offset:512
	global_load_ushort v14, v[20:21], off offset:1024
	;; [unrolled: 1-line block ×7, first 2 shown]
	s_mov_b64 s[18:19], 0
.LBB1744_512:                           ;   in Loop: Header=BB1744_510 Depth=2
	s_andn2_b64 vcc, exec, s[18:19]
	s_movk_i32 s20, 0x800
	s_cbranch_vccnz .LBB1744_523
; %bb.513:                              ;   in Loop: Header=BB1744_510 Depth=2
	s_lshl_b64 s[18:19], s[58:59], 1
	s_add_u32 s18, s64, s18
	s_addc_u32 s19, s65, s19
	v_cmp_gt_u32_e32 vcc, s22, v0
	s_and_saveexec_b64 s[20:21], vcc
	s_cbranch_execnz .LBB1744_539
; %bb.514:                              ;   in Loop: Header=BB1744_510 Depth=2
	s_or_b64 exec, exec, s[20:21]
	v_cmp_gt_u32_e32 vcc, s22, v26
	s_and_saveexec_b64 s[20:21], vcc
	s_cbranch_execnz .LBB1744_540
.LBB1744_515:                           ;   in Loop: Header=BB1744_510 Depth=2
	s_or_b64 exec, exec, s[20:21]
	v_cmp_gt_u32_e32 vcc, s22, v27
	s_and_saveexec_b64 s[20:21], vcc
	s_cbranch_execnz .LBB1744_541
.LBB1744_516:                           ;   in Loop: Header=BB1744_510 Depth=2
	s_or_b64 exec, exec, s[20:21]
	v_cmp_gt_u32_e32 vcc, s22, v28
	s_and_saveexec_b64 s[20:21], vcc
	s_cbranch_execnz .LBB1744_542
.LBB1744_517:                           ;   in Loop: Header=BB1744_510 Depth=2
	s_or_b64 exec, exec, s[20:21]
	v_cmp_gt_u32_e32 vcc, s22, v31
	s_and_saveexec_b64 s[20:21], vcc
	s_cbranch_execnz .LBB1744_543
.LBB1744_518:                           ;   in Loop: Header=BB1744_510 Depth=2
	s_or_b64 exec, exec, s[20:21]
	v_cmp_gt_u32_e32 vcc, s22, v32
	s_and_saveexec_b64 s[20:21], vcc
	s_cbranch_execnz .LBB1744_544
.LBB1744_519:                           ;   in Loop: Header=BB1744_510 Depth=2
	s_or_b64 exec, exec, s[20:21]
	v_cmp_gt_u32_e32 vcc, s22, v33
	s_and_saveexec_b64 s[20:21], vcc
	s_cbranch_execnz .LBB1744_545
.LBB1744_520:                           ;   in Loop: Header=BB1744_510 Depth=2
	s_or_b64 exec, exec, s[20:21]
	v_cmp_gt_u32_e32 vcc, s22, v34
	s_and_saveexec_b64 s[20:21], vcc
	s_cbranch_execz .LBB1744_522
.LBB1744_521:                           ;   in Loop: Header=BB1744_510 Depth=2
	global_load_ushort v4, v64, s[18:19] offset:3584
.LBB1744_522:                           ;   in Loop: Header=BB1744_510 Depth=2
	s_or_b64 exec, exec, s[20:21]
	s_mov_b32 s20, s22
	s_waitcnt vmcnt(0)
	v_mov_b32_e32 v12, v11
	v_mov_b32_e32 v13, v10
	;; [unrolled: 1-line block ×8, first 2 shown]
.LBB1744_523:                           ;   in Loop: Header=BB1744_510 Depth=2
	s_waitcnt vmcnt(0)
	v_mov_b32_e32 v4, v19
	v_mov_b32_e32 v5, v18
	;; [unrolled: 1-line block ×8, first 2 shown]
	v_cmp_gt_u32_e32 vcc, s20, v0
	s_and_saveexec_b64 s[18:19], vcc
	s_cbranch_execnz .LBB1744_531
; %bb.524:                              ;   in Loop: Header=BB1744_510 Depth=2
	s_or_b64 exec, exec, s[18:19]
	v_cmp_gt_u32_e32 vcc, s20, v26
	s_and_saveexec_b64 s[18:19], vcc
	s_cbranch_execnz .LBB1744_532
.LBB1744_525:                           ;   in Loop: Header=BB1744_510 Depth=2
	s_or_b64 exec, exec, s[18:19]
	v_cmp_gt_u32_e32 vcc, s20, v27
	s_and_saveexec_b64 s[18:19], vcc
	s_cbranch_execnz .LBB1744_533
.LBB1744_526:                           ;   in Loop: Header=BB1744_510 Depth=2
	s_or_b64 exec, exec, s[18:19]
	v_cmp_gt_u32_e32 vcc, s20, v28
	s_and_saveexec_b64 s[18:19], vcc
	s_cbranch_execnz .LBB1744_534
.LBB1744_527:                           ;   in Loop: Header=BB1744_510 Depth=2
	s_or_b64 exec, exec, s[18:19]
	v_cmp_gt_u32_e32 vcc, s20, v31
	s_and_saveexec_b64 s[18:19], vcc
	s_cbranch_execnz .LBB1744_535
.LBB1744_528:                           ;   in Loop: Header=BB1744_510 Depth=2
	s_or_b64 exec, exec, s[18:19]
	v_cmp_gt_u32_e32 vcc, s20, v32
	s_and_saveexec_b64 s[18:19], vcc
	s_cbranch_execnz .LBB1744_536
.LBB1744_529:                           ;   in Loop: Header=BB1744_510 Depth=2
	s_or_b64 exec, exec, s[18:19]
	v_cmp_gt_u32_e32 vcc, s20, v33
	s_and_saveexec_b64 s[18:19], vcc
	s_cbranch_execnz .LBB1744_537
.LBB1744_530:                           ;   in Loop: Header=BB1744_510 Depth=2
	s_or_b64 exec, exec, s[18:19]
	v_cmp_gt_u32_e32 vcc, s20, v34
	s_and_saveexec_b64 s[18:19], vcc
	s_cbranch_execz .LBB1744_509
	s_branch .LBB1744_538
.LBB1744_531:                           ;   in Loop: Header=BB1744_510 Depth=2
	v_cmp_gt_i16_e32 vcc, 0, v11
	v_cndmask_b32_e64 v12, v65, 0, vcc
	v_xor_b32_e32 v12, v12, v11
	v_cmp_ne_u16_e32 vcc, s7, v12
	v_cndmask_b32_e32 v12, v65, v12, vcc
	v_lshrrev_b32_sdwa v12, s77, v12 dst_sel:DWORD dst_unused:UNUSED_PAD src0_sel:DWORD src1_sel:WORD_0
	v_and_b32_e32 v12, s63, v12
	v_lshl_or_b32 v12, v12, 4, v35
	ds_add_u32 v12, v61
	s_or_b64 exec, exec, s[18:19]
	v_cmp_gt_u32_e32 vcc, s20, v26
	s_and_saveexec_b64 s[18:19], vcc
	s_cbranch_execz .LBB1744_525
.LBB1744_532:                           ;   in Loop: Header=BB1744_510 Depth=2
	v_cmp_gt_i16_e32 vcc, 0, v10
	v_cndmask_b32_e64 v12, v65, 0, vcc
	v_xor_b32_e32 v12, v12, v10
	v_cmp_ne_u16_e32 vcc, s7, v12
	v_cndmask_b32_e32 v12, v65, v12, vcc
	v_lshrrev_b32_sdwa v12, s77, v12 dst_sel:DWORD dst_unused:UNUSED_PAD src0_sel:DWORD src1_sel:WORD_0
	v_and_b32_e32 v12, s63, v12
	v_lshl_or_b32 v12, v12, 4, v35
	ds_add_u32 v12, v61
	s_or_b64 exec, exec, s[18:19]
	v_cmp_gt_u32_e32 vcc, s20, v27
	s_and_saveexec_b64 s[18:19], vcc
	s_cbranch_execz .LBB1744_526
.LBB1744_533:                           ;   in Loop: Header=BB1744_510 Depth=2
	v_cmp_gt_i16_e32 vcc, 0, v9
	v_cndmask_b32_e64 v12, v65, 0, vcc
	v_xor_b32_e32 v12, v12, v9
	v_cmp_ne_u16_e32 vcc, s7, v12
	v_cndmask_b32_e32 v12, v65, v12, vcc
	v_lshrrev_b32_sdwa v12, s77, v12 dst_sel:DWORD dst_unused:UNUSED_PAD src0_sel:DWORD src1_sel:WORD_0
	v_and_b32_e32 v12, s63, v12
	v_lshl_or_b32 v12, v12, 4, v35
	ds_add_u32 v12, v61
	s_or_b64 exec, exec, s[18:19]
	v_cmp_gt_u32_e32 vcc, s20, v28
	s_and_saveexec_b64 s[18:19], vcc
	s_cbranch_execz .LBB1744_527
.LBB1744_534:                           ;   in Loop: Header=BB1744_510 Depth=2
	v_cmp_gt_i16_e32 vcc, 0, v8
	v_cndmask_b32_e64 v12, v65, 0, vcc
	v_xor_b32_e32 v12, v12, v8
	v_cmp_ne_u16_e32 vcc, s7, v12
	v_cndmask_b32_e32 v12, v65, v12, vcc
	v_lshrrev_b32_sdwa v12, s77, v12 dst_sel:DWORD dst_unused:UNUSED_PAD src0_sel:DWORD src1_sel:WORD_0
	v_and_b32_e32 v12, s63, v12
	v_lshl_or_b32 v12, v12, 4, v35
	ds_add_u32 v12, v61
	s_or_b64 exec, exec, s[18:19]
	v_cmp_gt_u32_e32 vcc, s20, v31
	s_and_saveexec_b64 s[18:19], vcc
	s_cbranch_execz .LBB1744_528
.LBB1744_535:                           ;   in Loop: Header=BB1744_510 Depth=2
	v_cmp_gt_i16_e32 vcc, 0, v7
	v_cndmask_b32_e64 v12, v65, 0, vcc
	v_xor_b32_e32 v12, v12, v7
	v_cmp_ne_u16_e32 vcc, s7, v12
	v_cndmask_b32_e32 v12, v65, v12, vcc
	v_lshrrev_b32_sdwa v12, s77, v12 dst_sel:DWORD dst_unused:UNUSED_PAD src0_sel:DWORD src1_sel:WORD_0
	v_and_b32_e32 v12, s63, v12
	v_lshl_or_b32 v12, v12, 4, v35
	ds_add_u32 v12, v61
	s_or_b64 exec, exec, s[18:19]
	v_cmp_gt_u32_e32 vcc, s20, v32
	s_and_saveexec_b64 s[18:19], vcc
	s_cbranch_execz .LBB1744_529
.LBB1744_536:                           ;   in Loop: Header=BB1744_510 Depth=2
	v_cmp_gt_i16_e32 vcc, 0, v6
	v_cndmask_b32_e64 v12, v65, 0, vcc
	v_xor_b32_e32 v12, v12, v6
	v_cmp_ne_u16_e32 vcc, s7, v12
	v_cndmask_b32_e32 v12, v65, v12, vcc
	v_lshrrev_b32_sdwa v12, s77, v12 dst_sel:DWORD dst_unused:UNUSED_PAD src0_sel:DWORD src1_sel:WORD_0
	v_and_b32_e32 v12, s63, v12
	v_lshl_or_b32 v12, v12, 4, v35
	ds_add_u32 v12, v61
	s_or_b64 exec, exec, s[18:19]
	v_cmp_gt_u32_e32 vcc, s20, v33
	s_and_saveexec_b64 s[18:19], vcc
	s_cbranch_execz .LBB1744_530
.LBB1744_537:                           ;   in Loop: Header=BB1744_510 Depth=2
	v_cmp_gt_i16_e32 vcc, 0, v5
	v_cndmask_b32_e64 v12, v65, 0, vcc
	v_xor_b32_e32 v12, v12, v5
	v_cmp_ne_u16_e32 vcc, s7, v12
	v_cndmask_b32_e32 v12, v65, v12, vcc
	v_lshrrev_b32_sdwa v12, s77, v12 dst_sel:DWORD dst_unused:UNUSED_PAD src0_sel:DWORD src1_sel:WORD_0
	v_and_b32_e32 v12, s63, v12
	v_lshl_or_b32 v12, v12, 4, v35
	ds_add_u32 v12, v61
	s_or_b64 exec, exec, s[18:19]
	v_cmp_gt_u32_e32 vcc, s20, v34
	s_and_saveexec_b64 s[18:19], vcc
	s_cbranch_execz .LBB1744_509
.LBB1744_538:                           ;   in Loop: Header=BB1744_510 Depth=2
	v_cmp_gt_i16_e32 vcc, 0, v4
	v_cndmask_b32_e64 v12, v65, 0, vcc
	v_xor_b32_e32 v12, v12, v4
	v_cmp_ne_u16_e32 vcc, s7, v12
	v_cndmask_b32_e32 v12, v65, v12, vcc
	v_lshrrev_b32_sdwa v12, s77, v12 dst_sel:DWORD dst_unused:UNUSED_PAD src0_sel:DWORD src1_sel:WORD_0
	v_and_b32_e32 v12, s63, v12
	v_lshl_or_b32 v12, v12, 4, v35
	ds_add_u32 v12, v61
	s_branch .LBB1744_509
.LBB1744_539:                           ;   in Loop: Header=BB1744_510 Depth=2
	global_load_ushort v11, v64, s[18:19]
	s_or_b64 exec, exec, s[20:21]
	v_cmp_gt_u32_e32 vcc, s22, v26
	s_and_saveexec_b64 s[20:21], vcc
	s_cbranch_execz .LBB1744_515
.LBB1744_540:                           ;   in Loop: Header=BB1744_510 Depth=2
	global_load_ushort v10, v64, s[18:19] offset:512
	s_or_b64 exec, exec, s[20:21]
	v_cmp_gt_u32_e32 vcc, s22, v27
	s_and_saveexec_b64 s[20:21], vcc
	s_cbranch_execz .LBB1744_516
.LBB1744_541:                           ;   in Loop: Header=BB1744_510 Depth=2
	global_load_ushort v9, v64, s[18:19] offset:1024
	s_or_b64 exec, exec, s[20:21]
	v_cmp_gt_u32_e32 vcc, s22, v28
	s_and_saveexec_b64 s[20:21], vcc
	s_cbranch_execz .LBB1744_517
.LBB1744_542:                           ;   in Loop: Header=BB1744_510 Depth=2
	global_load_ushort v8, v64, s[18:19] offset:1536
	s_or_b64 exec, exec, s[20:21]
	v_cmp_gt_u32_e32 vcc, s22, v31
	s_and_saveexec_b64 s[20:21], vcc
	s_cbranch_execz .LBB1744_518
.LBB1744_543:                           ;   in Loop: Header=BB1744_510 Depth=2
	global_load_ushort v7, v64, s[18:19] offset:2048
	s_or_b64 exec, exec, s[20:21]
	v_cmp_gt_u32_e32 vcc, s22, v32
	s_and_saveexec_b64 s[20:21], vcc
	s_cbranch_execz .LBB1744_519
.LBB1744_544:                           ;   in Loop: Header=BB1744_510 Depth=2
	global_load_ushort v6, v64, s[18:19] offset:2560
	s_or_b64 exec, exec, s[20:21]
	v_cmp_gt_u32_e32 vcc, s22, v33
	s_and_saveexec_b64 s[20:21], vcc
	s_cbranch_execz .LBB1744_520
.LBB1744_545:                           ;   in Loop: Header=BB1744_510 Depth=2
	global_load_ushort v5, v64, s[18:19] offset:3072
	s_or_b64 exec, exec, s[20:21]
	v_cmp_gt_u32_e32 vcc, s22, v34
	s_and_saveexec_b64 s[20:21], vcc
	s_cbranch_execnz .LBB1744_521
	s_branch .LBB1744_522
.LBB1744_546:                           ;   in Loop: Header=BB1744_12 Depth=1
	v_mov_b32_e32 v4, 0
	s_waitcnt lgkmcnt(0)
	s_barrier
	s_and_saveexec_b64 s[18:19], s[4:5]
	s_cbranch_execz .LBB1744_548
; %bb.547:                              ;   in Loop: Header=BB1744_12 Depth=1
	ds_read2_b64 v[4:7], v36 offset1:1
	s_waitcnt lgkmcnt(0)
	v_add_u32_e32 v4, v5, v4
	v_add3_u32 v4, v4, v6, v7
.LBB1744_548:                           ;   in Loop: Header=BB1744_12 Depth=1
	s_or_b64 exec, exec, s[18:19]
	s_nop 0
	v_mov_b32_dpp v5, v4 row_shr:1 row_mask:0xf bank_mask:0xf
	v_cmp_eq_u32_e64 s[18:19], 0, v67
	v_cndmask_b32_e64 v5, v5, 0, s[18:19]
	v_add_u32_e32 v4, v5, v4
	v_cmp_lt_u32_e64 s[20:21], 1, v67
	v_cmp_lt_u32_e64 s[22:23], 3, v67
	v_mov_b32_dpp v5, v4 row_shr:2 row_mask:0xf bank_mask:0xf
	v_cndmask_b32_e64 v5, 0, v5, s[20:21]
	v_add_u32_e32 v4, v4, v5
	v_cmp_lt_u32_e64 s[24:25], 7, v67
	v_cmp_lt_u32_e64 s[28:29], 31, v66
	v_mov_b32_dpp v5, v4 row_shr:4 row_mask:0xf bank_mask:0xf
	v_cndmask_b32_e64 v5, 0, v5, s[22:23]
	v_add_u32_e32 v4, v4, v5
	v_cmp_eq_u32_e64 s[26:27], 0, v69
	s_nop 0
	v_mov_b32_dpp v5, v4 row_shr:8 row_mask:0xf bank_mask:0xf
	v_cndmask_b32_e64 v5, 0, v5, s[24:25]
	v_add_u32_e32 v4, v4, v5
	s_nop 1
	v_mov_b32_dpp v5, v4 row_bcast:15 row_mask:0xf bank_mask:0xf
	v_and_b32_e32 v5, v68, v5
	v_add_u32_e32 v4, v4, v5
	s_nop 1
	v_mov_b32_dpp v5, v4 row_bcast:31 row_mask:0xf bank_mask:0xf
	v_cndmask_b32_e64 v5, 0, v5, s[28:29]
	v_add_u32_e32 v4, v4, v5
	s_and_saveexec_b64 s[30:31], s[8:9]
; %bb.549:                              ;   in Loop: Header=BB1744_12 Depth=1
	ds_write_b32 v38, v4
; %bb.550:                              ;   in Loop: Header=BB1744_12 Depth=1
	s_or_b64 exec, exec, s[30:31]
	s_waitcnt lgkmcnt(0)
	s_barrier
	s_and_saveexec_b64 s[30:31], s[10:11]
	s_cbranch_execz .LBB1744_552
; %bb.551:                              ;   in Loop: Header=BB1744_12 Depth=1
	ds_read_b32 v5, v39
	v_cmp_ne_u32_e32 vcc, 0, v70
	s_waitcnt lgkmcnt(0)
	v_mov_b32_dpp v6, v5 row_shr:1 row_mask:0xf bank_mask:0xf
	v_cndmask_b32_e32 v6, 0, v6, vcc
	v_add_u32_e32 v5, v6, v5
	v_cmp_lt_u32_e32 vcc, 1, v70
	s_nop 0
	v_mov_b32_dpp v6, v5 row_shr:2 row_mask:0xf bank_mask:0xf
	v_cndmask_b32_e32 v6, 0, v6, vcc
	v_add_u32_e32 v5, v5, v6
	ds_write_b32 v39, v5
.LBB1744_552:                           ;   in Loop: Header=BB1744_12 Depth=1
	s_or_b64 exec, exec, s[30:31]
	v_mov_b32_e32 v5, 0
	s_waitcnt lgkmcnt(0)
	s_barrier
	s_and_saveexec_b64 s[30:31], s[12:13]
; %bb.553:                              ;   in Loop: Header=BB1744_12 Depth=1
	ds_read_b32 v5, v40
; %bb.554:                              ;   in Loop: Header=BB1744_12 Depth=1
	s_or_b64 exec, exec, s[30:31]
	v_subrev_co_u32_e64 v6, s[30:31], 1, v66
	v_cmp_lt_i32_e32 vcc, v6, v71
	v_cndmask_b32_e32 v6, v6, v66, vcc
	s_waitcnt lgkmcnt(0)
	v_add_u32_e32 v4, v5, v4
	v_lshlrev_b32_e32 v82, 2, v6
	ds_bpermute_b32 v4, v82, v4
	s_waitcnt lgkmcnt(0)
	s_barrier
	s_and_saveexec_b64 s[34:35], s[4:5]
; %bb.555:                              ;   in Loop: Header=BB1744_12 Depth=1
	v_cndmask_b32_e64 v4, v4, v5, s[30:31]
	v_add_u32_e32 v4, s80, v4
	ds_write_b32 v25, v4
; %bb.556:                              ;   in Loop: Header=BB1744_12 Depth=1
	s_or_b64 exec, exec, s[34:35]
	s_load_dwordx2 s[34:35], s[56:57], 0x0
	v_add_co_u32_e32 v83, vcc, v57, v72
	v_addc_co_u32_e32 v84, vcc, 0, v58, vcc
	s_waitcnt lgkmcnt(0)
	s_cmp_lt_u32 s33, s35
	s_cselect_b32 s35, 14, 20
	s_add_u32 s36, s56, s35
	s_addc_u32 s37, s57, 0
	s_cmp_lt_u32 s6, s34
	s_cselect_b32 s34, 12, 18
	s_add_u32 s34, s56, s34
	global_load_ushort v4, v3, s[36:37]
	s_addc_u32 s35, s57, 0
	global_load_ushort v5, v3, s[34:35]
	v_add_co_u32_e32 v85, vcc, v59, v81
	v_cmp_eq_u32_e64 s[34:35], 0, v70
	v_cmp_lt_u32_e64 s[36:37], 1, v70
	v_addc_co_u32_e32 v86, vcc, 0, v60, vcc
	s_mov_b32 s70, s79
	s_mov_b32 s58, s80
                                        ; implicit-def: $vgpr7_vgpr8
                                        ; implicit-def: $vgpr9_vgpr10
                                        ; implicit-def: $vgpr11_vgpr12
                                        ; implicit-def: $vgpr13_vgpr14
                                        ; implicit-def: $vgpr15_vgpr16
                                        ; implicit-def: $vgpr17_vgpr18
                                        ; implicit-def: $vgpr19_vgpr20
                                        ; implicit-def: $vgpr87
                                        ; implicit-def: $vgpr88
                                        ; implicit-def: $vgpr89
                                        ; implicit-def: $vgpr90
                                        ; implicit-def: $vgpr92
                                        ; implicit-def: $vgpr93
                                        ; implicit-def: $vgpr94
                                        ; implicit-def: $vgpr95
	s_waitcnt vmcnt(1)
	v_mad_u32_u24 v4, v2, v4, v1
	s_waitcnt vmcnt(0)
	v_mad_u64_u32 v[4:5], s[38:39], v4, v5, v[0:1]
                                        ; implicit-def: $vgpr5_vgpr6
	v_lshrrev_b32_e32 v4, 4, v4
	v_and_b32_e32 v91, 0xffffffc, v4
	s_branch .LBB1744_558
.LBB1744_557:                           ;   in Loop: Header=BB1744_558 Depth=2
	s_or_b64 exec, exec, s[38:39]
	s_addk_i32 s70, 0xf800
	s_cmp_lt_u32 s71, s81
	s_mov_b32 s58, s71
	s_cbranch_scc0 .LBB1744_10
.LBB1744_558:                           ;   Parent Loop BB1744_12 Depth=1
                                        ; =>  This Inner Loop Header: Depth=2
	s_add_i32 s71, s58, 0x800
	s_cmp_gt_u32 s71, s81
	s_cbranch_scc1 .LBB1744_560
; %bb.559:                              ;   in Loop: Header=BB1744_558 Depth=2
	s_lshl_b64 s[38:39], s[58:59], 1
	v_mov_b32_e32 v4, s39
	v_add_co_u32_e32 v21, vcc, s38, v85
	v_addc_co_u32_e32 v22, vcc, v86, v4, vcc
	global_load_ushort v4, v[21:22], off
	global_load_ushort v99, v[21:22], off offset:128
	global_load_ushort v103, v[21:22], off offset:256
	;; [unrolled: 1-line block ×6, first 2 shown]
	s_mov_b64 s[38:39], -1
	s_movk_i32 s42, 0x800
	s_cbranch_execz .LBB1744_561
	s_branch .LBB1744_576
.LBB1744_560:                           ;   in Loop: Header=BB1744_558 Depth=2
	s_mov_b64 s[38:39], 0
                                        ; implicit-def: $vgpr4
                                        ; implicit-def: $vgpr99
                                        ; implicit-def: $vgpr103
                                        ; implicit-def: $vgpr107
                                        ; implicit-def: $vgpr112
                                        ; implicit-def: $vgpr108
                                        ; implicit-def: $vgpr24
	s_movk_i32 s42, 0x800
.LBB1744_561:                           ;   in Loop: Header=BB1744_558 Depth=2
	s_lshl_b64 s[38:39], s[58:59], 1
	s_waitcnt vmcnt(6)
	v_mov_b32_e32 v4, s39
	v_add_co_u32_e32 v21, vcc, s38, v85
	v_addc_co_u32_e32 v22, vcc, v86, v4, vcc
	v_cmp_gt_u32_e32 vcc, s70, v73
	s_waitcnt vmcnt(5)
	v_mov_b32_e32 v99, -1
	v_mov_b32_e32 v4, -1
	s_and_saveexec_b64 s[38:39], vcc
	s_cbranch_execz .LBB1744_563
; %bb.562:                              ;   in Loop: Header=BB1744_558 Depth=2
	global_load_ushort v4, v[21:22], off
.LBB1744_563:                           ;   in Loop: Header=BB1744_558 Depth=2
	s_or_b64 exec, exec, s[38:39]
	v_cmp_gt_u32_e32 vcc, s70, v74
	s_and_saveexec_b64 s[38:39], vcc
	s_cbranch_execz .LBB1744_565
; %bb.564:                              ;   in Loop: Header=BB1744_558 Depth=2
	global_load_ushort v99, v[21:22], off offset:128
.LBB1744_565:                           ;   in Loop: Header=BB1744_558 Depth=2
	s_or_b64 exec, exec, s[38:39]
	v_cmp_gt_u32_e32 vcc, s70, v75
	s_waitcnt vmcnt(3)
	v_mov_b32_e32 v107, -1
	v_mov_b32_e32 v103, -1
	s_and_saveexec_b64 s[38:39], vcc
	s_cbranch_execz .LBB1744_567
; %bb.566:                              ;   in Loop: Header=BB1744_558 Depth=2
	global_load_ushort v103, v[21:22], off offset:256
.LBB1744_567:                           ;   in Loop: Header=BB1744_558 Depth=2
	s_or_b64 exec, exec, s[38:39]
	v_cmp_gt_u32_e32 vcc, s70, v76
	s_and_saveexec_b64 s[38:39], vcc
	s_cbranch_execz .LBB1744_569
; %bb.568:                              ;   in Loop: Header=BB1744_558 Depth=2
	global_load_ushort v107, v[21:22], off offset:384
.LBB1744_569:                           ;   in Loop: Header=BB1744_558 Depth=2
	s_or_b64 exec, exec, s[38:39]
	v_cmp_gt_u32_e32 vcc, s70, v77
	s_waitcnt vmcnt(1)
	v_mov_b32_e32 v108, -1
	v_mov_b32_e32 v112, -1
	s_and_saveexec_b64 s[38:39], vcc
	s_cbranch_execz .LBB1744_571
; %bb.570:                              ;   in Loop: Header=BB1744_558 Depth=2
	global_load_ushort v112, v[21:22], off offset:512
.LBB1744_571:                           ;   in Loop: Header=BB1744_558 Depth=2
	s_or_b64 exec, exec, s[38:39]
	v_cmp_gt_u32_e32 vcc, s70, v78
	s_and_saveexec_b64 s[38:39], vcc
	s_cbranch_execz .LBB1744_573
; %bb.572:                              ;   in Loop: Header=BB1744_558 Depth=2
	global_load_ushort v108, v[21:22], off offset:640
.LBB1744_573:                           ;   in Loop: Header=BB1744_558 Depth=2
	s_or_b64 exec, exec, s[38:39]
	v_cmp_gt_u32_e32 vcc, s70, v79
	s_waitcnt vmcnt(0)
	v_mov_b32_e32 v24, -1
	s_and_saveexec_b64 s[38:39], vcc
	s_cbranch_execz .LBB1744_575
; %bb.574:                              ;   in Loop: Header=BB1744_558 Depth=2
	global_load_ushort v24, v[21:22], off offset:768
.LBB1744_575:                           ;   in Loop: Header=BB1744_558 Depth=2
	s_or_b64 exec, exec, s[38:39]
	s_sub_i32 s42, s81, s58
	v_cmp_gt_u32_e64 s[38:39], s70, v80
.LBB1744_576:                           ;   in Loop: Header=BB1744_558 Depth=2
	v_mov_b32_e32 v23, -1
	v_mov_b32_e32 v96, s70
	s_and_saveexec_b64 s[40:41], s[38:39]
	s_cbranch_execz .LBB1744_578
; %bb.577:                              ;   in Loop: Header=BB1744_558 Depth=2
	s_lshl_b64 s[38:39], s[58:59], 1
	v_mov_b32_e32 v22, s39
	v_add_co_u32_e32 v21, vcc, s38, v85
	v_addc_co_u32_e32 v22, vcc, v86, v22, vcc
	global_load_ushort v23, v[21:22], off offset:896
	v_mov_b32_e32 v96, s42
.LBB1744_578:                           ;   in Loop: Header=BB1744_558 Depth=2
	s_or_b64 exec, exec, s[40:41]
	s_waitcnt vmcnt(6)
	v_cmp_gt_i16_e32 vcc, 0, v4
	v_cndmask_b32_e64 v21, v65, 0, vcc
	v_xor_b32_e32 v97, v21, v4
	v_cmp_ne_u16_e32 vcc, s7, v97
	v_cndmask_b32_e32 v4, v65, v97, vcc
	v_lshrrev_b32_sdwa v4, s77, v4 dst_sel:DWORD dst_unused:UNUSED_PAD src0_sel:DWORD src1_sel:WORD_0
	v_and_b32_e32 v21, s63, v4
	v_and_b32_e32 v4, 1, v21
	v_add_co_u32_e32 v22, vcc, -1, v4
	v_addc_co_u32_e64 v98, s[38:39], 0, -1, vcc
	v_cmp_ne_u32_e32 vcc, 0, v4
	v_xor_b32_e32 v4, vcc_hi, v98
	v_and_b32_e32 v98, exec_hi, v4
	v_lshlrev_b32_e32 v4, 30, v21
	v_xor_b32_e32 v22, vcc_lo, v22
	v_cmp_gt_i64_e32 vcc, 0, v[3:4]
	v_not_b32_e32 v4, v4
	v_ashrrev_i32_e32 v4, 31, v4
	v_and_b32_e32 v22, exec_lo, v22
	v_xor_b32_e32 v101, vcc_hi, v4
	v_xor_b32_e32 v4, vcc_lo, v4
	v_and_b32_e32 v22, v22, v4
	v_lshlrev_b32_e32 v4, 29, v21
	v_cmp_gt_i64_e32 vcc, 0, v[3:4]
	v_not_b32_e32 v4, v4
	v_ashrrev_i32_e32 v4, 31, v4
	v_and_b32_e32 v98, v98, v101
	v_xor_b32_e32 v101, vcc_hi, v4
	v_xor_b32_e32 v4, vcc_lo, v4
	v_and_b32_e32 v22, v22, v4
	v_lshlrev_b32_e32 v4, 28, v21
	v_cmp_gt_i64_e32 vcc, 0, v[3:4]
	v_not_b32_e32 v4, v4
	v_ashrrev_i32_e32 v4, 31, v4
	v_and_b32_e32 v98, v98, v101
	;; [unrolled: 8-line block ×5, first 2 shown]
	v_xor_b32_e32 v101, vcc_hi, v4
	v_xor_b32_e32 v4, vcc_lo, v4
	v_and_b32_e32 v98, v98, v101
	v_and_b32_e32 v101, v22, v4
	v_lshlrev_b32_e32 v4, 24, v21
	v_cmp_gt_i64_e32 vcc, 0, v[3:4]
	v_not_b32_e32 v4, v4
	v_ashrrev_i32_e32 v4, 31, v4
	v_mul_u32_u24_e32 v100, 20, v21
	v_xor_b32_e32 v21, vcc_hi, v4
	v_xor_b32_e32 v4, vcc_lo, v4
	v_and_b32_e32 v22, v98, v21
	v_and_b32_e32 v21, v101, v4
	v_mbcnt_lo_u32_b32 v4, v21, 0
	v_mbcnt_hi_u32_b32 v98, v22, v4
	v_cmp_ne_u64_e32 vcc, 0, v[21:22]
	v_cmp_eq_u32_e64 s[38:39], 0, v98
	s_and_b64 s[40:41], vcc, s[38:39]
	v_add_u32_e32 v101, v91, v100
	ds_write2_b32 v62, v3, v3 offset1:1
	ds_write2_b32 v63, v3, v3 offset1:1
	ds_write_b32 v41, v3 offset:1056
	s_waitcnt vmcnt(0) lgkmcnt(0)
	s_barrier
	; wave barrier
	s_and_saveexec_b64 s[38:39], s[40:41]
; %bb.579:                              ;   in Loop: Header=BB1744_558 Depth=2
	v_bcnt_u32_b32 v4, v21, 0
	v_bcnt_u32_b32 v4, v22, v4
	ds_write_b32 v101, v4 offset:1040
; %bb.580:                              ;   in Loop: Header=BB1744_558 Depth=2
	s_or_b64 exec, exec, s[38:39]
	v_cmp_gt_i16_e32 vcc, 0, v99
	v_cndmask_b32_e64 v4, v65, 0, vcc
	v_xor_b32_e32 v99, v4, v99
	v_cmp_ne_u16_e32 vcc, s7, v99
	v_cndmask_b32_e32 v4, v65, v99, vcc
	v_lshrrev_b32_sdwa v4, s77, v4 dst_sel:DWORD dst_unused:UNUSED_PAD src0_sel:DWORD src1_sel:WORD_0
	v_and_b32_e32 v21, s63, v4
	v_mad_u32_u24 v4, v21, 20, v91
	; wave barrier
	ds_read_b32 v100, v4 offset:1040
	v_and_b32_e32 v4, 1, v21
	v_add_co_u32_e32 v22, vcc, -1, v4
	v_addc_co_u32_e64 v102, s[38:39], 0, -1, vcc
	v_cmp_ne_u32_e32 vcc, 0, v4
	v_xor_b32_e32 v4, vcc_hi, v102
	v_and_b32_e32 v102, exec_hi, v4
	v_lshlrev_b32_e32 v4, 30, v21
	v_xor_b32_e32 v22, vcc_lo, v22
	v_cmp_gt_i64_e32 vcc, 0, v[3:4]
	v_not_b32_e32 v4, v4
	v_ashrrev_i32_e32 v4, 31, v4
	v_and_b32_e32 v22, exec_lo, v22
	v_xor_b32_e32 v105, vcc_hi, v4
	v_xor_b32_e32 v4, vcc_lo, v4
	v_and_b32_e32 v22, v22, v4
	v_lshlrev_b32_e32 v4, 29, v21
	v_cmp_gt_i64_e32 vcc, 0, v[3:4]
	v_not_b32_e32 v4, v4
	v_ashrrev_i32_e32 v4, 31, v4
	v_and_b32_e32 v102, v102, v105
	v_xor_b32_e32 v105, vcc_hi, v4
	v_xor_b32_e32 v4, vcc_lo, v4
	v_and_b32_e32 v22, v22, v4
	v_lshlrev_b32_e32 v4, 28, v21
	v_cmp_gt_i64_e32 vcc, 0, v[3:4]
	v_not_b32_e32 v4, v4
	v_ashrrev_i32_e32 v4, 31, v4
	v_and_b32_e32 v102, v102, v105
	;; [unrolled: 8-line block ×5, first 2 shown]
	v_xor_b32_e32 v105, vcc_hi, v4
	v_xor_b32_e32 v4, vcc_lo, v4
	v_and_b32_e32 v102, v102, v105
	v_and_b32_e32 v105, v22, v4
	v_lshlrev_b32_e32 v4, 24, v21
	v_cmp_gt_i64_e32 vcc, 0, v[3:4]
	v_not_b32_e32 v4, v4
	v_ashrrev_i32_e32 v4, 31, v4
	v_mul_u32_u24_e32 v104, 20, v21
	v_xor_b32_e32 v21, vcc_hi, v4
	v_xor_b32_e32 v4, vcc_lo, v4
	v_and_b32_e32 v22, v102, v21
	v_and_b32_e32 v21, v105, v4
	v_mbcnt_lo_u32_b32 v4, v21, 0
	v_mbcnt_hi_u32_b32 v102, v22, v4
	v_cmp_ne_u64_e32 vcc, 0, v[21:22]
	v_cmp_eq_u32_e64 s[38:39], 0, v102
	s_and_b64 s[40:41], vcc, s[38:39]
	v_add_u32_e32 v105, v91, v104
	; wave barrier
	s_and_saveexec_b64 s[38:39], s[40:41]
	s_cbranch_execz .LBB1744_582
; %bb.581:                              ;   in Loop: Header=BB1744_558 Depth=2
	v_bcnt_u32_b32 v4, v21, 0
	v_bcnt_u32_b32 v4, v22, v4
	s_waitcnt lgkmcnt(0)
	v_add_u32_e32 v4, v100, v4
	ds_write_b32 v105, v4 offset:1040
.LBB1744_582:                           ;   in Loop: Header=BB1744_558 Depth=2
	s_or_b64 exec, exec, s[38:39]
	v_cmp_gt_i16_e32 vcc, 0, v103
	v_cndmask_b32_e64 v4, v65, 0, vcc
	v_xor_b32_e32 v103, v4, v103
	v_cmp_ne_u16_e32 vcc, s7, v103
	v_cndmask_b32_e32 v4, v65, v103, vcc
	v_lshrrev_b32_sdwa v4, s77, v4 dst_sel:DWORD dst_unused:UNUSED_PAD src0_sel:DWORD src1_sel:WORD_0
	v_and_b32_e32 v21, s63, v4
	v_mad_u32_u24 v4, v21, 20, v91
	; wave barrier
	ds_read_b32 v104, v4 offset:1040
	v_and_b32_e32 v4, 1, v21
	v_add_co_u32_e32 v22, vcc, -1, v4
	v_addc_co_u32_e64 v106, s[38:39], 0, -1, vcc
	v_cmp_ne_u32_e32 vcc, 0, v4
	v_xor_b32_e32 v4, vcc_hi, v106
	v_and_b32_e32 v106, exec_hi, v4
	v_lshlrev_b32_e32 v4, 30, v21
	v_xor_b32_e32 v22, vcc_lo, v22
	v_cmp_gt_i64_e32 vcc, 0, v[3:4]
	v_not_b32_e32 v4, v4
	v_ashrrev_i32_e32 v4, 31, v4
	v_and_b32_e32 v22, exec_lo, v22
	v_xor_b32_e32 v110, vcc_hi, v4
	v_xor_b32_e32 v4, vcc_lo, v4
	v_and_b32_e32 v22, v22, v4
	v_lshlrev_b32_e32 v4, 29, v21
	v_cmp_gt_i64_e32 vcc, 0, v[3:4]
	v_not_b32_e32 v4, v4
	v_ashrrev_i32_e32 v4, 31, v4
	v_and_b32_e32 v106, v106, v110
	v_xor_b32_e32 v110, vcc_hi, v4
	v_xor_b32_e32 v4, vcc_lo, v4
	v_and_b32_e32 v22, v22, v4
	v_lshlrev_b32_e32 v4, 28, v21
	v_cmp_gt_i64_e32 vcc, 0, v[3:4]
	v_not_b32_e32 v4, v4
	v_ashrrev_i32_e32 v4, 31, v4
	v_and_b32_e32 v106, v106, v110
	;; [unrolled: 8-line block ×5, first 2 shown]
	v_xor_b32_e32 v110, vcc_hi, v4
	v_xor_b32_e32 v4, vcc_lo, v4
	v_and_b32_e32 v106, v106, v110
	v_and_b32_e32 v110, v22, v4
	v_lshlrev_b32_e32 v4, 24, v21
	v_cmp_gt_i64_e32 vcc, 0, v[3:4]
	v_not_b32_e32 v4, v4
	v_ashrrev_i32_e32 v4, 31, v4
	v_mul_u32_u24_e32 v109, 20, v21
	v_xor_b32_e32 v21, vcc_hi, v4
	v_xor_b32_e32 v4, vcc_lo, v4
	v_and_b32_e32 v22, v106, v21
	v_and_b32_e32 v21, v110, v4
	v_mbcnt_lo_u32_b32 v4, v21, 0
	v_mbcnt_hi_u32_b32 v106, v22, v4
	v_cmp_ne_u64_e32 vcc, 0, v[21:22]
	v_cmp_eq_u32_e64 s[38:39], 0, v106
	s_and_b64 s[40:41], vcc, s[38:39]
	v_add_u32_e32 v110, v91, v109
	; wave barrier
	s_and_saveexec_b64 s[38:39], s[40:41]
	s_cbranch_execz .LBB1744_584
; %bb.583:                              ;   in Loop: Header=BB1744_558 Depth=2
	v_bcnt_u32_b32 v4, v21, 0
	v_bcnt_u32_b32 v4, v22, v4
	s_waitcnt lgkmcnt(0)
	v_add_u32_e32 v4, v104, v4
	ds_write_b32 v110, v4 offset:1040
.LBB1744_584:                           ;   in Loop: Header=BB1744_558 Depth=2
	s_or_b64 exec, exec, s[38:39]
	v_cmp_gt_i16_e32 vcc, 0, v107
	v_cndmask_b32_e64 v4, v65, 0, vcc
	v_xor_b32_e32 v107, v4, v107
	v_cmp_ne_u16_e32 vcc, s7, v107
	v_cndmask_b32_e32 v4, v65, v107, vcc
	v_lshrrev_b32_sdwa v4, s77, v4 dst_sel:DWORD dst_unused:UNUSED_PAD src0_sel:DWORD src1_sel:WORD_0
	v_and_b32_e32 v21, s63, v4
	v_mad_u32_u24 v4, v21, 20, v91
	; wave barrier
	ds_read_b32 v109, v4 offset:1040
	v_and_b32_e32 v4, 1, v21
	v_add_co_u32_e32 v22, vcc, -1, v4
	v_addc_co_u32_e64 v111, s[38:39], 0, -1, vcc
	v_cmp_ne_u32_e32 vcc, 0, v4
	v_xor_b32_e32 v4, vcc_hi, v111
	v_and_b32_e32 v111, exec_hi, v4
	v_lshlrev_b32_e32 v4, 30, v21
	v_xor_b32_e32 v22, vcc_lo, v22
	v_cmp_gt_i64_e32 vcc, 0, v[3:4]
	v_not_b32_e32 v4, v4
	v_ashrrev_i32_e32 v4, 31, v4
	v_and_b32_e32 v22, exec_lo, v22
	v_xor_b32_e32 v114, vcc_hi, v4
	v_xor_b32_e32 v4, vcc_lo, v4
	v_and_b32_e32 v22, v22, v4
	v_lshlrev_b32_e32 v4, 29, v21
	v_cmp_gt_i64_e32 vcc, 0, v[3:4]
	v_not_b32_e32 v4, v4
	v_ashrrev_i32_e32 v4, 31, v4
	v_and_b32_e32 v111, v111, v114
	v_xor_b32_e32 v114, vcc_hi, v4
	v_xor_b32_e32 v4, vcc_lo, v4
	v_and_b32_e32 v22, v22, v4
	v_lshlrev_b32_e32 v4, 28, v21
	v_cmp_gt_i64_e32 vcc, 0, v[3:4]
	v_not_b32_e32 v4, v4
	v_ashrrev_i32_e32 v4, 31, v4
	v_and_b32_e32 v111, v111, v114
	v_xor_b32_e32 v114, vcc_hi, v4
	v_xor_b32_e32 v4, vcc_lo, v4
	v_and_b32_e32 v22, v22, v4
	v_lshlrev_b32_e32 v4, 27, v21
	v_cmp_gt_i64_e32 vcc, 0, v[3:4]
	v_not_b32_e32 v4, v4
	v_ashrrev_i32_e32 v4, 31, v4
	v_and_b32_e32 v111, v111, v114
	v_xor_b32_e32 v114, vcc_hi, v4
	v_xor_b32_e32 v4, vcc_lo, v4
	v_and_b32_e32 v22, v22, v4
	v_lshlrev_b32_e32 v4, 26, v21
	v_cmp_gt_i64_e32 vcc, 0, v[3:4]
	v_not_b32_e32 v4, v4
	v_ashrrev_i32_e32 v4, 31, v4
	v_and_b32_e32 v111, v111, v114
	v_xor_b32_e32 v114, vcc_hi, v4
	v_xor_b32_e32 v4, vcc_lo, v4
	v_and_b32_e32 v22, v22, v4
	v_lshlrev_b32_e32 v4, 25, v21
	v_cmp_gt_i64_e32 vcc, 0, v[3:4]
	v_not_b32_e32 v4, v4
	v_ashrrev_i32_e32 v4, 31, v4
	v_and_b32_e32 v111, v111, v114
	v_xor_b32_e32 v114, vcc_hi, v4
	v_xor_b32_e32 v4, vcc_lo, v4
	v_and_b32_e32 v111, v111, v114
	v_and_b32_e32 v114, v22, v4
	v_lshlrev_b32_e32 v4, 24, v21
	v_cmp_gt_i64_e32 vcc, 0, v[3:4]
	v_not_b32_e32 v4, v4
	v_ashrrev_i32_e32 v4, 31, v4
	v_mul_u32_u24_e32 v113, 20, v21
	v_xor_b32_e32 v21, vcc_hi, v4
	v_xor_b32_e32 v4, vcc_lo, v4
	v_and_b32_e32 v22, v111, v21
	v_and_b32_e32 v21, v114, v4
	v_mbcnt_lo_u32_b32 v4, v21, 0
	v_mbcnt_hi_u32_b32 v111, v22, v4
	v_cmp_ne_u64_e32 vcc, 0, v[21:22]
	v_cmp_eq_u32_e64 s[38:39], 0, v111
	s_and_b64 s[40:41], vcc, s[38:39]
	v_add_u32_e32 v114, v91, v113
	; wave barrier
	s_and_saveexec_b64 s[38:39], s[40:41]
	s_cbranch_execz .LBB1744_586
; %bb.585:                              ;   in Loop: Header=BB1744_558 Depth=2
	v_bcnt_u32_b32 v4, v21, 0
	v_bcnt_u32_b32 v4, v22, v4
	s_waitcnt lgkmcnt(0)
	v_add_u32_e32 v4, v109, v4
	ds_write_b32 v114, v4 offset:1040
.LBB1744_586:                           ;   in Loop: Header=BB1744_558 Depth=2
	s_or_b64 exec, exec, s[38:39]
	v_cmp_gt_i16_e32 vcc, 0, v112
	v_cndmask_b32_e64 v4, v65, 0, vcc
	v_xor_b32_e32 v112, v4, v112
	v_cmp_ne_u16_e32 vcc, s7, v112
	v_cndmask_b32_e32 v4, v65, v112, vcc
	v_lshrrev_b32_sdwa v4, s77, v4 dst_sel:DWORD dst_unused:UNUSED_PAD src0_sel:DWORD src1_sel:WORD_0
	v_and_b32_e32 v21, s63, v4
	v_mad_u32_u24 v4, v21, 20, v91
	; wave barrier
	ds_read_b32 v113, v4 offset:1040
	v_and_b32_e32 v4, 1, v21
	v_add_co_u32_e32 v22, vcc, -1, v4
	v_addc_co_u32_e64 v115, s[38:39], 0, -1, vcc
	v_cmp_ne_u32_e32 vcc, 0, v4
	v_xor_b32_e32 v4, vcc_hi, v115
	v_and_b32_e32 v115, exec_hi, v4
	v_lshlrev_b32_e32 v4, 30, v21
	v_xor_b32_e32 v22, vcc_lo, v22
	v_cmp_gt_i64_e32 vcc, 0, v[3:4]
	v_not_b32_e32 v4, v4
	v_ashrrev_i32_e32 v4, 31, v4
	v_and_b32_e32 v22, exec_lo, v22
	v_xor_b32_e32 v117, vcc_hi, v4
	v_xor_b32_e32 v4, vcc_lo, v4
	v_and_b32_e32 v22, v22, v4
	v_lshlrev_b32_e32 v4, 29, v21
	v_cmp_gt_i64_e32 vcc, 0, v[3:4]
	v_not_b32_e32 v4, v4
	v_ashrrev_i32_e32 v4, 31, v4
	v_and_b32_e32 v115, v115, v117
	v_xor_b32_e32 v117, vcc_hi, v4
	v_xor_b32_e32 v4, vcc_lo, v4
	v_and_b32_e32 v22, v22, v4
	v_lshlrev_b32_e32 v4, 28, v21
	v_cmp_gt_i64_e32 vcc, 0, v[3:4]
	v_not_b32_e32 v4, v4
	v_ashrrev_i32_e32 v4, 31, v4
	v_and_b32_e32 v115, v115, v117
	;; [unrolled: 8-line block ×5, first 2 shown]
	v_xor_b32_e32 v117, vcc_hi, v4
	v_xor_b32_e32 v4, vcc_lo, v4
	v_and_b32_e32 v115, v115, v117
	v_and_b32_e32 v117, v22, v4
	v_lshlrev_b32_e32 v4, 24, v21
	v_cmp_gt_i64_e32 vcc, 0, v[3:4]
	v_not_b32_e32 v4, v4
	v_ashrrev_i32_e32 v4, 31, v4
	v_mul_u32_u24_e32 v116, 20, v21
	v_xor_b32_e32 v21, vcc_hi, v4
	v_xor_b32_e32 v4, vcc_lo, v4
	v_and_b32_e32 v22, v115, v21
	v_and_b32_e32 v21, v117, v4
	v_mbcnt_lo_u32_b32 v4, v21, 0
	v_mbcnt_hi_u32_b32 v115, v22, v4
	v_cmp_ne_u64_e32 vcc, 0, v[21:22]
	v_cmp_eq_u32_e64 s[38:39], 0, v115
	s_and_b64 s[40:41], vcc, s[38:39]
	v_add_u32_e32 v118, v91, v116
	; wave barrier
	s_and_saveexec_b64 s[38:39], s[40:41]
	s_cbranch_execz .LBB1744_588
; %bb.587:                              ;   in Loop: Header=BB1744_558 Depth=2
	v_bcnt_u32_b32 v4, v21, 0
	v_bcnt_u32_b32 v4, v22, v4
	s_waitcnt lgkmcnt(0)
	v_add_u32_e32 v4, v113, v4
	ds_write_b32 v118, v4 offset:1040
.LBB1744_588:                           ;   in Loop: Header=BB1744_558 Depth=2
	s_or_b64 exec, exec, s[38:39]
	v_cmp_gt_i16_e32 vcc, 0, v108
	v_cndmask_b32_e64 v4, v65, 0, vcc
	v_xor_b32_e32 v116, v4, v108
	v_cmp_ne_u16_e32 vcc, s7, v116
	v_cndmask_b32_e32 v4, v65, v116, vcc
	v_lshrrev_b32_sdwa v4, s77, v4 dst_sel:DWORD dst_unused:UNUSED_PAD src0_sel:DWORD src1_sel:WORD_0
	v_and_b32_e32 v21, s63, v4
	v_mad_u32_u24 v4, v21, 20, v91
	; wave barrier
	ds_read_b32 v117, v4 offset:1040
	v_and_b32_e32 v4, 1, v21
	v_add_co_u32_e32 v22, vcc, -1, v4
	v_addc_co_u32_e64 v119, s[38:39], 0, -1, vcc
	v_cmp_ne_u32_e32 vcc, 0, v4
	v_xor_b32_e32 v4, vcc_hi, v119
	v_and_b32_e32 v119, exec_hi, v4
	v_lshlrev_b32_e32 v4, 30, v21
	v_xor_b32_e32 v22, vcc_lo, v22
	v_cmp_gt_i64_e32 vcc, 0, v[3:4]
	v_not_b32_e32 v4, v4
	v_ashrrev_i32_e32 v4, 31, v4
	v_and_b32_e32 v22, exec_lo, v22
	v_xor_b32_e32 v120, vcc_hi, v4
	v_xor_b32_e32 v4, vcc_lo, v4
	v_and_b32_e32 v22, v22, v4
	v_lshlrev_b32_e32 v4, 29, v21
	v_cmp_gt_i64_e32 vcc, 0, v[3:4]
	v_not_b32_e32 v4, v4
	v_ashrrev_i32_e32 v4, 31, v4
	v_and_b32_e32 v119, v119, v120
	v_xor_b32_e32 v120, vcc_hi, v4
	v_xor_b32_e32 v4, vcc_lo, v4
	v_and_b32_e32 v22, v22, v4
	v_lshlrev_b32_e32 v4, 28, v21
	v_cmp_gt_i64_e32 vcc, 0, v[3:4]
	v_not_b32_e32 v4, v4
	v_ashrrev_i32_e32 v4, 31, v4
	v_and_b32_e32 v119, v119, v120
	;; [unrolled: 8-line block ×5, first 2 shown]
	v_xor_b32_e32 v120, vcc_hi, v4
	v_xor_b32_e32 v4, vcc_lo, v4
	v_and_b32_e32 v119, v119, v120
	v_and_b32_e32 v120, v22, v4
	v_lshlrev_b32_e32 v4, 24, v21
	v_cmp_gt_i64_e32 vcc, 0, v[3:4]
	v_not_b32_e32 v4, v4
	v_ashrrev_i32_e32 v4, 31, v4
	v_mul_u32_u24_e32 v108, 20, v21
	v_xor_b32_e32 v21, vcc_hi, v4
	v_xor_b32_e32 v4, vcc_lo, v4
	v_and_b32_e32 v22, v119, v21
	v_and_b32_e32 v21, v120, v4
	v_mbcnt_lo_u32_b32 v4, v21, 0
	v_mbcnt_hi_u32_b32 v119, v22, v4
	v_cmp_ne_u64_e32 vcc, 0, v[21:22]
	v_cmp_eq_u32_e64 s[38:39], 0, v119
	s_and_b64 s[40:41], vcc, s[38:39]
	v_add_u32_e32 v108, v91, v108
	; wave barrier
	s_and_saveexec_b64 s[38:39], s[40:41]
	s_cbranch_execz .LBB1744_590
; %bb.589:                              ;   in Loop: Header=BB1744_558 Depth=2
	v_bcnt_u32_b32 v4, v21, 0
	v_bcnt_u32_b32 v4, v22, v4
	s_waitcnt lgkmcnt(0)
	v_add_u32_e32 v4, v117, v4
	ds_write_b32 v108, v4 offset:1040
.LBB1744_590:                           ;   in Loop: Header=BB1744_558 Depth=2
	s_or_b64 exec, exec, s[38:39]
	v_cmp_gt_i16_e32 vcc, 0, v24
	v_cndmask_b32_e64 v4, v65, 0, vcc
	v_xor_b32_e32 v120, v4, v24
	v_cmp_ne_u16_e32 vcc, s7, v120
	v_cndmask_b32_e32 v4, v65, v120, vcc
	v_lshrrev_b32_sdwa v4, s77, v4 dst_sel:DWORD dst_unused:UNUSED_PAD src0_sel:DWORD src1_sel:WORD_0
	v_and_b32_e32 v21, s63, v4
	v_mad_u32_u24 v4, v21, 20, v91
	; wave barrier
	ds_read_b32 v121, v4 offset:1040
	v_and_b32_e32 v4, 1, v21
	v_add_co_u32_e32 v22, vcc, -1, v4
	v_addc_co_u32_e64 v122, s[38:39], 0, -1, vcc
	v_cmp_ne_u32_e32 vcc, 0, v4
	v_xor_b32_e32 v4, vcc_hi, v122
	v_and_b32_e32 v122, exec_hi, v4
	v_lshlrev_b32_e32 v4, 30, v21
	v_xor_b32_e32 v22, vcc_lo, v22
	v_cmp_gt_i64_e32 vcc, 0, v[3:4]
	v_not_b32_e32 v4, v4
	v_ashrrev_i32_e32 v4, 31, v4
	v_and_b32_e32 v22, exec_lo, v22
	v_xor_b32_e32 v123, vcc_hi, v4
	v_xor_b32_e32 v4, vcc_lo, v4
	v_and_b32_e32 v22, v22, v4
	v_lshlrev_b32_e32 v4, 29, v21
	v_cmp_gt_i64_e32 vcc, 0, v[3:4]
	v_not_b32_e32 v4, v4
	v_ashrrev_i32_e32 v4, 31, v4
	v_and_b32_e32 v122, v122, v123
	v_xor_b32_e32 v123, vcc_hi, v4
	v_xor_b32_e32 v4, vcc_lo, v4
	v_and_b32_e32 v22, v22, v4
	v_lshlrev_b32_e32 v4, 28, v21
	v_cmp_gt_i64_e32 vcc, 0, v[3:4]
	v_not_b32_e32 v4, v4
	v_ashrrev_i32_e32 v4, 31, v4
	v_and_b32_e32 v122, v122, v123
	;; [unrolled: 8-line block ×5, first 2 shown]
	v_xor_b32_e32 v123, vcc_hi, v4
	v_xor_b32_e32 v4, vcc_lo, v4
	v_and_b32_e32 v122, v122, v123
	v_and_b32_e32 v123, v22, v4
	v_lshlrev_b32_e32 v4, 24, v21
	v_cmp_gt_i64_e32 vcc, 0, v[3:4]
	v_not_b32_e32 v4, v4
	v_ashrrev_i32_e32 v4, 31, v4
	v_mul_u32_u24_e32 v24, 20, v21
	v_xor_b32_e32 v21, vcc_hi, v4
	v_xor_b32_e32 v4, vcc_lo, v4
	v_and_b32_e32 v22, v122, v21
	v_and_b32_e32 v21, v123, v4
	v_mbcnt_lo_u32_b32 v4, v21, 0
	v_mbcnt_hi_u32_b32 v122, v22, v4
	v_cmp_ne_u64_e32 vcc, 0, v[21:22]
	v_cmp_eq_u32_e64 s[38:39], 0, v122
	s_and_b64 s[40:41], vcc, s[38:39]
	v_add_u32_e32 v125, v91, v24
	; wave barrier
	s_and_saveexec_b64 s[38:39], s[40:41]
	s_cbranch_execz .LBB1744_592
; %bb.591:                              ;   in Loop: Header=BB1744_558 Depth=2
	v_bcnt_u32_b32 v4, v21, 0
	v_bcnt_u32_b32 v4, v22, v4
	s_waitcnt lgkmcnt(0)
	v_add_u32_e32 v4, v121, v4
	ds_write_b32 v125, v4 offset:1040
.LBB1744_592:                           ;   in Loop: Header=BB1744_558 Depth=2
	s_or_b64 exec, exec, s[38:39]
	v_cmp_gt_i16_e32 vcc, 0, v23
	v_cndmask_b32_e64 v4, v65, 0, vcc
	v_xor_b32_e32 v123, v4, v23
	v_cmp_ne_u16_e32 vcc, s7, v123
	v_cndmask_b32_e32 v4, v65, v123, vcc
	v_lshrrev_b32_sdwa v4, s77, v4 dst_sel:DWORD dst_unused:UNUSED_PAD src0_sel:DWORD src1_sel:WORD_0
	v_and_b32_e32 v21, s63, v4
	v_mad_u32_u24 v4, v21, 20, v91
	; wave barrier
	ds_read_b32 v124, v4 offset:1040
	v_and_b32_e32 v4, 1, v21
	v_add_co_u32_e32 v22, vcc, -1, v4
	v_addc_co_u32_e64 v24, s[38:39], 0, -1, vcc
	v_cmp_ne_u32_e32 vcc, 0, v4
	v_xor_b32_e32 v4, vcc_hi, v24
	v_and_b32_e32 v24, exec_hi, v4
	v_lshlrev_b32_e32 v4, 30, v21
	v_xor_b32_e32 v22, vcc_lo, v22
	v_cmp_gt_i64_e32 vcc, 0, v[3:4]
	v_not_b32_e32 v4, v4
	v_ashrrev_i32_e32 v4, 31, v4
	v_and_b32_e32 v22, exec_lo, v22
	v_xor_b32_e32 v126, vcc_hi, v4
	v_xor_b32_e32 v4, vcc_lo, v4
	v_and_b32_e32 v22, v22, v4
	v_lshlrev_b32_e32 v4, 29, v21
	v_cmp_gt_i64_e32 vcc, 0, v[3:4]
	v_not_b32_e32 v4, v4
	v_ashrrev_i32_e32 v4, 31, v4
	v_and_b32_e32 v24, v24, v126
	v_xor_b32_e32 v126, vcc_hi, v4
	v_xor_b32_e32 v4, vcc_lo, v4
	v_and_b32_e32 v22, v22, v4
	v_lshlrev_b32_e32 v4, 28, v21
	v_cmp_gt_i64_e32 vcc, 0, v[3:4]
	v_not_b32_e32 v4, v4
	v_ashrrev_i32_e32 v4, 31, v4
	v_and_b32_e32 v24, v24, v126
	;; [unrolled: 8-line block ×5, first 2 shown]
	v_xor_b32_e32 v126, vcc_hi, v4
	v_xor_b32_e32 v4, vcc_lo, v4
	v_and_b32_e32 v24, v24, v126
	v_and_b32_e32 v126, v22, v4
	v_lshlrev_b32_e32 v4, 24, v21
	v_cmp_gt_i64_e32 vcc, 0, v[3:4]
	v_not_b32_e32 v4, v4
	v_ashrrev_i32_e32 v4, 31, v4
	v_mul_u32_u24_e32 v23, 20, v21
	v_xor_b32_e32 v21, vcc_hi, v4
	v_xor_b32_e32 v4, vcc_lo, v4
	v_and_b32_e32 v22, v24, v21
	v_and_b32_e32 v21, v126, v4
	v_mbcnt_lo_u32_b32 v4, v21, 0
	v_mbcnt_hi_u32_b32 v126, v22, v4
	v_cmp_ne_u64_e32 vcc, 0, v[21:22]
	v_cmp_eq_u32_e64 s[38:39], 0, v126
	s_and_b64 s[40:41], vcc, s[38:39]
	v_add_u32_e32 v4, v91, v23
	; wave barrier
	s_and_saveexec_b64 s[38:39], s[40:41]
	s_cbranch_execz .LBB1744_594
; %bb.593:                              ;   in Loop: Header=BB1744_558 Depth=2
	v_bcnt_u32_b32 v21, v21, 0
	v_bcnt_u32_b32 v21, v22, v21
	s_waitcnt lgkmcnt(0)
	v_add_u32_e32 v21, v124, v21
	ds_write_b32 v4, v21 offset:1040
.LBB1744_594:                           ;   in Loop: Header=BB1744_558 Depth=2
	s_or_b64 exec, exec, s[38:39]
	; wave barrier
	s_waitcnt lgkmcnt(0)
	s_barrier
	ds_read2_b32 v[23:24], v62 offset1:1
	ds_read2_b32 v[21:22], v63 offset1:1
	ds_read_b32 v127, v41 offset:1056
	s_waitcnt lgkmcnt(1)
	v_add3_u32 v128, v24, v23, v21
	s_waitcnt lgkmcnt(0)
	v_add3_u32 v127, v128, v22, v127
	s_nop 1
	v_mov_b32_dpp v128, v127 row_shr:1 row_mask:0xf bank_mask:0xf
	v_cndmask_b32_e64 v128, v128, 0, s[18:19]
	v_add_u32_e32 v127, v128, v127
	s_nop 1
	v_mov_b32_dpp v128, v127 row_shr:2 row_mask:0xf bank_mask:0xf
	v_cndmask_b32_e64 v128, 0, v128, s[20:21]
	v_add_u32_e32 v127, v127, v128
	;; [unrolled: 4-line block ×4, first 2 shown]
	s_nop 1
	v_mov_b32_dpp v128, v127 row_bcast:15 row_mask:0xf bank_mask:0xf
	v_cndmask_b32_e64 v128, v128, 0, s[26:27]
	v_add_u32_e32 v127, v127, v128
	s_nop 1
	v_mov_b32_dpp v128, v127 row_bcast:31 row_mask:0xf bank_mask:0xf
	v_cndmask_b32_e64 v128, 0, v128, s[28:29]
	v_add_u32_e32 v127, v127, v128
	s_and_saveexec_b64 s[38:39], s[8:9]
; %bb.595:                              ;   in Loop: Header=BB1744_558 Depth=2
	ds_write_b32 v37, v127 offset:1024
; %bb.596:                              ;   in Loop: Header=BB1744_558 Depth=2
	s_or_b64 exec, exec, s[38:39]
	s_waitcnt lgkmcnt(0)
	s_barrier
	s_and_saveexec_b64 s[38:39], s[10:11]
	s_cbranch_execz .LBB1744_598
; %bb.597:                              ;   in Loop: Header=BB1744_558 Depth=2
	ds_read_b32 v128, v42 offset:1024
	s_waitcnt lgkmcnt(0)
	s_nop 0
	v_mov_b32_dpp v129, v128 row_shr:1 row_mask:0xf bank_mask:0xf
	v_cndmask_b32_e64 v129, v129, 0, s[34:35]
	v_add_u32_e32 v128, v129, v128
	s_nop 1
	v_mov_b32_dpp v129, v128 row_shr:2 row_mask:0xf bank_mask:0xf
	v_cndmask_b32_e64 v129, 0, v129, s[36:37]
	v_add_u32_e32 v128, v128, v129
	ds_write_b32 v42, v128 offset:1024
.LBB1744_598:                           ;   in Loop: Header=BB1744_558 Depth=2
	s_or_b64 exec, exec, s[38:39]
	v_mov_b32_e32 v128, 0
	s_waitcnt lgkmcnt(0)
	s_barrier
	s_and_saveexec_b64 s[38:39], s[12:13]
; %bb.599:                              ;   in Loop: Header=BB1744_558 Depth=2
	ds_read_b32 v128, v37 offset:1020
; %bb.600:                              ;   in Loop: Header=BB1744_558 Depth=2
	s_or_b64 exec, exec, s[38:39]
	s_waitcnt lgkmcnt(0)
	v_add_u32_e32 v127, v128, v127
	ds_bpermute_b32 v127, v82, v127
	s_waitcnt lgkmcnt(0)
	v_cndmask_b32_e64 v127, v127, v128, s[30:31]
	v_cndmask_b32_e64 v127, v127, 0, s[14:15]
	v_add_u32_e32 v23, v127, v23
	v_add_u32_e32 v24, v23, v24
	;; [unrolled: 1-line block ×4, first 2 shown]
	ds_write2_b32 v62, v127, v23 offset1:1
	ds_write2_b32 v63, v24, v21 offset1:1
	ds_write_b32 v41, v22 offset:1056
	s_waitcnt lgkmcnt(0)
	s_barrier
	ds_read_b32 v21, v101 offset:1040
	ds_read_b32 v22, v105 offset:1040
	ds_read_b32 v23, v110 offset:1040
	ds_read_b32 v24, v114 offset:1040
	ds_read_b32 v110, v118 offset:1040
	ds_read_b32 v114, v108 offset:1040
	ds_read_b32 v118, v125 offset:1040
	ds_read_b32 v125, v4 offset:1040
	ds_read_b32 v101, v41 offset:1040
	v_mov_b32_e32 v4, 0x800
	s_and_saveexec_b64 s[38:39], s[16:17]
; %bb.601:                              ;   in Loop: Header=BB1744_558 Depth=2
	ds_read_b32 v4, v41 offset:1060
; %bb.602:                              ;   in Loop: Header=BB1744_558 Depth=2
	s_or_b64 exec, exec, s[38:39]
	s_waitcnt lgkmcnt(0)
	s_barrier
	s_and_saveexec_b64 s[38:39], s[4:5]
	s_cbranch_execz .LBB1744_604
; %bb.603:                              ;   in Loop: Header=BB1744_558 Depth=2
	ds_read_b32 v105, v25
	s_waitcnt lgkmcnt(0)
	v_sub_u32_e32 v101, v105, v101
	ds_write_b32 v25, v101
.LBB1744_604:                           ;   in Loop: Header=BB1744_558 Depth=2
	s_or_b64 exec, exec, s[38:39]
	v_add_u32_e32 v108, v21, v98
	v_add3_u32 v105, v102, v100, v22
	v_lshlrev_b32_e32 v21, 1, v108
	v_add3_u32 v102, v106, v104, v23
	ds_write_b16 v21, v97 offset:1024
	v_lshlrev_b32_e32 v21, 1, v105
	v_add3_u32 v101, v111, v109, v24
	ds_write_b16 v21, v99 offset:1024
	;; [unrolled: 3-line block ×6, first 2 shown]
	v_lshlrev_b32_e32 v21, 1, v24
	ds_write_b16 v21, v120 offset:1024
	v_lshlrev_b32_e32 v21, 1, v23
	v_cmp_lt_u32_e32 vcc, v0, v96
	ds_write_b16 v21, v123 offset:1024
	s_waitcnt lgkmcnt(0)
	s_barrier
	s_and_saveexec_b64 s[40:41], vcc
	s_cbranch_execnz .LBB1744_641
; %bb.605:                              ;   in Loop: Header=BB1744_558 Depth=2
	s_or_b64 exec, exec, s[40:41]
	v_cmp_lt_u32_e64 s[38:39], v26, v96
	s_and_saveexec_b64 s[42:43], s[38:39]
	s_cbranch_execnz .LBB1744_642
.LBB1744_606:                           ;   in Loop: Header=BB1744_558 Depth=2
	s_or_b64 exec, exec, s[42:43]
	v_cmp_lt_u32_e64 s[40:41], v27, v96
	s_and_saveexec_b64 s[44:45], s[40:41]
	s_cbranch_execnz .LBB1744_643
.LBB1744_607:                           ;   in Loop: Header=BB1744_558 Depth=2
	s_or_b64 exec, exec, s[44:45]
	v_cmp_lt_u32_e64 s[42:43], v28, v96
	s_and_saveexec_b64 s[46:47], s[42:43]
	s_cbranch_execnz .LBB1744_644
.LBB1744_608:                           ;   in Loop: Header=BB1744_558 Depth=2
	s_or_b64 exec, exec, s[46:47]
	v_cmp_lt_u32_e64 s[44:45], v31, v96
	s_and_saveexec_b64 s[48:49], s[44:45]
	s_cbranch_execnz .LBB1744_645
.LBB1744_609:                           ;   in Loop: Header=BB1744_558 Depth=2
	s_or_b64 exec, exec, s[48:49]
	v_cmp_lt_u32_e64 s[46:47], v32, v96
	s_and_saveexec_b64 s[50:51], s[46:47]
	s_cbranch_execnz .LBB1744_646
.LBB1744_610:                           ;   in Loop: Header=BB1744_558 Depth=2
	s_or_b64 exec, exec, s[50:51]
	v_cmp_lt_u32_e64 s[48:49], v33, v96
	s_and_saveexec_b64 s[52:53], s[48:49]
	s_cbranch_execnz .LBB1744_647
.LBB1744_611:                           ;   in Loop: Header=BB1744_558 Depth=2
	s_or_b64 exec, exec, s[52:53]
	v_cmp_lt_u32_e64 s[50:51], v34, v96
	s_and_saveexec_b64 s[60:61], s[50:51]
	s_cbranch_execz .LBB1744_613
.LBB1744_612:                           ;   in Loop: Header=BB1744_558 Depth=2
	ds_read_u16 v21, v47 offset:4608
	v_mov_b32_e32 v22, v3
	v_mov_b32_e32 v99, s69
	s_waitcnt lgkmcnt(0)
	v_cmp_ne_u16_e64 s[52:53], s7, v21
	v_cndmask_b32_e64 v97, v65, v21, s[52:53]
	v_lshrrev_b32_sdwa v97, s77, v97 dst_sel:DWORD dst_unused:UNUSED_PAD src0_sel:DWORD src1_sel:WORD_0
	v_and_b32_e32 v97, s63, v97
	v_lshlrev_b32_e32 v97, 2, v97
	ds_read_b32 v97, v97
	v_cmp_gt_i16_e64 s[52:53], 0, v21
	v_cndmask_b32_e64 v103, v65, 0, s[52:53]
	v_xor_b32_e32 v103, v103, v21
	s_waitcnt lgkmcnt(0)
	v_add_u32_e32 v21, v97, v34
	v_lshlrev_b64 v[21:22], 1, v[21:22]
	v_add_co_u32_e64 v21, s[52:53], s68, v21
	v_addc_co_u32_e64 v22, s[52:53], v99, v22, s[52:53]
	global_store_short v[21:22], v103, off
.LBB1744_613:                           ;   in Loop: Header=BB1744_558 Depth=2
	s_or_b64 exec, exec, s[60:61]
	s_lshl_b64 s[52:53], s[58:59], 3
	v_mov_b32_e32 v22, s53
	v_add_co_u32_e64 v21, s[52:53], s52, v83
	v_addc_co_u32_e64 v22, s[52:53], v84, v22, s[52:53]
	v_cmp_lt_u32_e64 s[52:53], v73, v96
	s_and_saveexec_b64 s[60:61], s[52:53]
	s_xor_b64 s[52:53], exec, s[60:61]
	s_cbranch_execnz .LBB1744_648
; %bb.614:                              ;   in Loop: Header=BB1744_558 Depth=2
	s_or_b64 exec, exec, s[52:53]
	v_cmp_lt_u32_e64 s[52:53], v74, v96
	s_and_saveexec_b64 s[60:61], s[52:53]
	s_cbranch_execnz .LBB1744_649
.LBB1744_615:                           ;   in Loop: Header=BB1744_558 Depth=2
	s_or_b64 exec, exec, s[60:61]
	v_cmp_lt_u32_e64 s[52:53], v75, v96
	s_and_saveexec_b64 s[60:61], s[52:53]
	s_cbranch_execnz .LBB1744_650
.LBB1744_616:                           ;   in Loop: Header=BB1744_558 Depth=2
	s_or_b64 exec, exec, s[60:61]
	v_cmp_lt_u32_e64 s[52:53], v76, v96
	s_and_saveexec_b64 s[60:61], s[52:53]
	s_cbranch_execnz .LBB1744_651
.LBB1744_617:                           ;   in Loop: Header=BB1744_558 Depth=2
	s_or_b64 exec, exec, s[60:61]
	v_cmp_lt_u32_e64 s[52:53], v77, v96
	s_and_saveexec_b64 s[60:61], s[52:53]
	s_cbranch_execnz .LBB1744_652
.LBB1744_618:                           ;   in Loop: Header=BB1744_558 Depth=2
	s_or_b64 exec, exec, s[60:61]
	v_cmp_lt_u32_e64 s[52:53], v78, v96
	s_and_saveexec_b64 s[60:61], s[52:53]
	s_cbranch_execnz .LBB1744_653
.LBB1744_619:                           ;   in Loop: Header=BB1744_558 Depth=2
	s_or_b64 exec, exec, s[60:61]
	v_cmp_lt_u32_e64 s[52:53], v79, v96
	s_and_saveexec_b64 s[60:61], s[52:53]
	s_cbranch_execnz .LBB1744_654
.LBB1744_620:                           ;   in Loop: Header=BB1744_558 Depth=2
	s_or_b64 exec, exec, s[60:61]
	v_cmp_lt_u32_e64 s[52:53], v80, v96
	s_and_saveexec_b64 s[60:61], s[52:53]
	s_cbranch_execnz .LBB1744_655
.LBB1744_621:                           ;   in Loop: Header=BB1744_558 Depth=2
	s_or_b64 exec, exec, s[60:61]
	s_and_saveexec_b64 s[60:61], vcc
	s_cbranch_execnz .LBB1744_656
.LBB1744_622:                           ;   in Loop: Header=BB1744_558 Depth=2
	s_or_b64 exec, exec, s[60:61]
	s_and_saveexec_b64 s[60:61], s[38:39]
	s_cbranch_execnz .LBB1744_657
.LBB1744_623:                           ;   in Loop: Header=BB1744_558 Depth=2
	s_or_b64 exec, exec, s[60:61]
	s_and_saveexec_b64 s[60:61], s[40:41]
	s_cbranch_execnz .LBB1744_658
.LBB1744_624:                           ;   in Loop: Header=BB1744_558 Depth=2
	s_or_b64 exec, exec, s[60:61]
	s_and_saveexec_b64 s[60:61], s[42:43]
	s_cbranch_execnz .LBB1744_659
.LBB1744_625:                           ;   in Loop: Header=BB1744_558 Depth=2
	s_or_b64 exec, exec, s[60:61]
	s_and_saveexec_b64 s[60:61], s[44:45]
	s_cbranch_execnz .LBB1744_660
.LBB1744_626:                           ;   in Loop: Header=BB1744_558 Depth=2
	s_or_b64 exec, exec, s[60:61]
	s_and_saveexec_b64 s[60:61], s[46:47]
	s_cbranch_execnz .LBB1744_661
.LBB1744_627:                           ;   in Loop: Header=BB1744_558 Depth=2
	s_or_b64 exec, exec, s[60:61]
	s_and_saveexec_b64 s[60:61], s[48:49]
	s_cbranch_execnz .LBB1744_662
.LBB1744_628:                           ;   in Loop: Header=BB1744_558 Depth=2
	s_or_b64 exec, exec, s[60:61]
	s_and_saveexec_b64 s[60:61], s[50:51]
	s_cbranch_execz .LBB1744_630
.LBB1744_629:                           ;   in Loop: Header=BB1744_558 Depth=2
	ds_read_u16 v21, v47 offset:4608
	s_waitcnt lgkmcnt(0)
	v_cmp_ne_u16_e64 s[52:53], s7, v21
	v_cndmask_b32_e64 v21, v65, v21, s[52:53]
	v_lshrrev_b32_sdwa v21, s77, v21 dst_sel:DWORD dst_unused:UNUSED_PAD src0_sel:DWORD src1_sel:WORD_0
	v_and_b32_e32 v87, s63, v21
.LBB1744_630:                           ;   in Loop: Header=BB1744_558 Depth=2
	s_or_b64 exec, exec, s[60:61]
	v_lshlrev_b32_e32 v21, 3, v108
	s_waitcnt vmcnt(0)
	s_barrier
	ds_write_b64 v21, v[19:20] offset:1024
	v_lshlrev_b32_e32 v21, 3, v105
	ds_write_b64 v21, v[17:18] offset:1024
	v_lshlrev_b32_e32 v21, 3, v102
	;; [unrolled: 2-line block ×7, first 2 shown]
	ds_write_b64 v21, v[5:6] offset:1024
	v_add_u32_e32 v21, v47, v48
	s_waitcnt lgkmcnt(0)
	s_barrier
	s_and_saveexec_b64 s[52:53], vcc
	s_cbranch_execnz .LBB1744_663
; %bb.631:                              ;   in Loop: Header=BB1744_558 Depth=2
	s_or_b64 exec, exec, s[52:53]
	s_and_saveexec_b64 s[52:53], s[38:39]
	s_cbranch_execnz .LBB1744_664
.LBB1744_632:                           ;   in Loop: Header=BB1744_558 Depth=2
	s_or_b64 exec, exec, s[52:53]
	s_and_saveexec_b64 s[38:39], s[40:41]
	s_cbranch_execnz .LBB1744_665
.LBB1744_633:                           ;   in Loop: Header=BB1744_558 Depth=2
	s_or_b64 exec, exec, s[38:39]
	s_and_saveexec_b64 s[38:39], s[42:43]
	s_cbranch_execnz .LBB1744_666
.LBB1744_634:                           ;   in Loop: Header=BB1744_558 Depth=2
	s_or_b64 exec, exec, s[38:39]
	s_and_saveexec_b64 s[38:39], s[44:45]
	s_cbranch_execnz .LBB1744_667
.LBB1744_635:                           ;   in Loop: Header=BB1744_558 Depth=2
	s_or_b64 exec, exec, s[38:39]
	s_and_saveexec_b64 s[38:39], s[46:47]
	s_cbranch_execnz .LBB1744_668
.LBB1744_636:                           ;   in Loop: Header=BB1744_558 Depth=2
	s_or_b64 exec, exec, s[38:39]
	s_and_saveexec_b64 s[38:39], s[48:49]
	s_cbranch_execnz .LBB1744_669
.LBB1744_637:                           ;   in Loop: Header=BB1744_558 Depth=2
	s_or_b64 exec, exec, s[38:39]
	s_and_saveexec_b64 s[38:39], s[50:51]
	s_cbranch_execz .LBB1744_639
.LBB1744_638:                           ;   in Loop: Header=BB1744_558 Depth=2
	v_lshlrev_b32_e32 v22, 2, v87
	ds_read_b32 v23, v22
	ds_read_b64 v[21:22], v21 offset:15360
	v_mov_b32_e32 v24, v3
	v_mov_b32_e32 v96, s75
	s_waitcnt lgkmcnt(1)
	v_add_u32_e32 v23, v23, v34
	v_lshlrev_b64 v[23:24], 3, v[23:24]
	v_add_co_u32_e32 v23, vcc, s74, v23
	v_addc_co_u32_e32 v24, vcc, v96, v24, vcc
	s_waitcnt lgkmcnt(0)
	global_store_dwordx2 v[23:24], v[21:22], off
.LBB1744_639:                           ;   in Loop: Header=BB1744_558 Depth=2
	s_or_b64 exec, exec, s[38:39]
	s_waitcnt vmcnt(0)
	s_barrier
	s_and_saveexec_b64 s[38:39], s[4:5]
	s_cbranch_execz .LBB1744_557
; %bb.640:                              ;   in Loop: Header=BB1744_558 Depth=2
	ds_read_b32 v21, v25
	s_waitcnt lgkmcnt(0)
	v_add_u32_e32 v4, v21, v4
	ds_write_b32 v25, v4
	s_branch .LBB1744_557
.LBB1744_641:                           ;   in Loop: Header=BB1744_558 Depth=2
	ds_read_u16 v21, v47 offset:1024
	v_mov_b32_e32 v22, v3
	v_mov_b32_e32 v99, s69
	s_waitcnt lgkmcnt(0)
	v_cmp_ne_u16_e64 s[38:39], s7, v21
	v_cndmask_b32_e64 v97, v65, v21, s[38:39]
	v_lshrrev_b32_sdwa v97, s77, v97 dst_sel:DWORD dst_unused:UNUSED_PAD src0_sel:DWORD src1_sel:WORD_0
	v_and_b32_e32 v97, s63, v97
	v_lshlrev_b32_e32 v97, 2, v97
	ds_read_b32 v97, v97
	v_cmp_gt_i16_e64 s[38:39], 0, v21
	v_cndmask_b32_e64 v103, v65, 0, s[38:39]
	v_xor_b32_e32 v103, v103, v21
	s_waitcnt lgkmcnt(0)
	v_add_u32_e32 v21, v97, v0
	v_lshlrev_b64 v[21:22], 1, v[21:22]
	v_add_co_u32_e64 v21, s[38:39], s68, v21
	v_addc_co_u32_e64 v22, s[38:39], v99, v22, s[38:39]
	global_store_short v[21:22], v103, off
	s_or_b64 exec, exec, s[40:41]
	v_cmp_lt_u32_e64 s[38:39], v26, v96
	s_and_saveexec_b64 s[42:43], s[38:39]
	s_cbranch_execz .LBB1744_606
.LBB1744_642:                           ;   in Loop: Header=BB1744_558 Depth=2
	ds_read_u16 v21, v47 offset:1536
	v_mov_b32_e32 v22, v3
	v_mov_b32_e32 v99, s69
	s_waitcnt lgkmcnt(0)
	v_cmp_ne_u16_e64 s[40:41], s7, v21
	v_cndmask_b32_e64 v97, v65, v21, s[40:41]
	v_lshrrev_b32_sdwa v97, s77, v97 dst_sel:DWORD dst_unused:UNUSED_PAD src0_sel:DWORD src1_sel:WORD_0
	v_and_b32_e32 v97, s63, v97
	v_lshlrev_b32_e32 v97, 2, v97
	ds_read_b32 v97, v97
	v_cmp_gt_i16_e64 s[40:41], 0, v21
	v_cndmask_b32_e64 v103, v65, 0, s[40:41]
	v_xor_b32_e32 v103, v103, v21
	s_waitcnt lgkmcnt(0)
	v_add_u32_e32 v21, v97, v26
	v_lshlrev_b64 v[21:22], 1, v[21:22]
	v_add_co_u32_e64 v21, s[40:41], s68, v21
	v_addc_co_u32_e64 v22, s[40:41], v99, v22, s[40:41]
	global_store_short v[21:22], v103, off
	s_or_b64 exec, exec, s[42:43]
	v_cmp_lt_u32_e64 s[40:41], v27, v96
	s_and_saveexec_b64 s[44:45], s[40:41]
	s_cbranch_execz .LBB1744_607
.LBB1744_643:                           ;   in Loop: Header=BB1744_558 Depth=2
	ds_read_u16 v21, v47 offset:2048
	v_mov_b32_e32 v22, v3
	v_mov_b32_e32 v99, s69
	s_waitcnt lgkmcnt(0)
	v_cmp_ne_u16_e64 s[42:43], s7, v21
	v_cndmask_b32_e64 v97, v65, v21, s[42:43]
	v_lshrrev_b32_sdwa v97, s77, v97 dst_sel:DWORD dst_unused:UNUSED_PAD src0_sel:DWORD src1_sel:WORD_0
	v_and_b32_e32 v97, s63, v97
	v_lshlrev_b32_e32 v97, 2, v97
	ds_read_b32 v97, v97
	v_cmp_gt_i16_e64 s[42:43], 0, v21
	v_cndmask_b32_e64 v103, v65, 0, s[42:43]
	v_xor_b32_e32 v103, v103, v21
	s_waitcnt lgkmcnt(0)
	v_add_u32_e32 v21, v97, v27
	v_lshlrev_b64 v[21:22], 1, v[21:22]
	v_add_co_u32_e64 v21, s[42:43], s68, v21
	v_addc_co_u32_e64 v22, s[42:43], v99, v22, s[42:43]
	global_store_short v[21:22], v103, off
	s_or_b64 exec, exec, s[44:45]
	v_cmp_lt_u32_e64 s[42:43], v28, v96
	s_and_saveexec_b64 s[46:47], s[42:43]
	s_cbranch_execz .LBB1744_608
.LBB1744_644:                           ;   in Loop: Header=BB1744_558 Depth=2
	ds_read_u16 v21, v47 offset:2560
	v_mov_b32_e32 v22, v3
	v_mov_b32_e32 v99, s69
	s_waitcnt lgkmcnt(0)
	v_cmp_ne_u16_e64 s[44:45], s7, v21
	v_cndmask_b32_e64 v97, v65, v21, s[44:45]
	v_lshrrev_b32_sdwa v97, s77, v97 dst_sel:DWORD dst_unused:UNUSED_PAD src0_sel:DWORD src1_sel:WORD_0
	v_and_b32_e32 v97, s63, v97
	v_lshlrev_b32_e32 v97, 2, v97
	ds_read_b32 v97, v97
	v_cmp_gt_i16_e64 s[44:45], 0, v21
	v_cndmask_b32_e64 v103, v65, 0, s[44:45]
	v_xor_b32_e32 v103, v103, v21
	s_waitcnt lgkmcnt(0)
	v_add_u32_e32 v21, v97, v28
	v_lshlrev_b64 v[21:22], 1, v[21:22]
	v_add_co_u32_e64 v21, s[44:45], s68, v21
	v_addc_co_u32_e64 v22, s[44:45], v99, v22, s[44:45]
	global_store_short v[21:22], v103, off
	s_or_b64 exec, exec, s[46:47]
	v_cmp_lt_u32_e64 s[44:45], v31, v96
	s_and_saveexec_b64 s[48:49], s[44:45]
	s_cbranch_execz .LBB1744_609
.LBB1744_645:                           ;   in Loop: Header=BB1744_558 Depth=2
	ds_read_u16 v21, v47 offset:3072
	v_mov_b32_e32 v22, v3
	v_mov_b32_e32 v99, s69
	s_waitcnt lgkmcnt(0)
	v_cmp_ne_u16_e64 s[46:47], s7, v21
	v_cndmask_b32_e64 v97, v65, v21, s[46:47]
	v_lshrrev_b32_sdwa v97, s77, v97 dst_sel:DWORD dst_unused:UNUSED_PAD src0_sel:DWORD src1_sel:WORD_0
	v_and_b32_e32 v97, s63, v97
	v_lshlrev_b32_e32 v97, 2, v97
	ds_read_b32 v97, v97
	v_cmp_gt_i16_e64 s[46:47], 0, v21
	v_cndmask_b32_e64 v103, v65, 0, s[46:47]
	v_xor_b32_e32 v103, v103, v21
	s_waitcnt lgkmcnt(0)
	v_add_u32_e32 v21, v97, v31
	v_lshlrev_b64 v[21:22], 1, v[21:22]
	v_add_co_u32_e64 v21, s[46:47], s68, v21
	v_addc_co_u32_e64 v22, s[46:47], v99, v22, s[46:47]
	global_store_short v[21:22], v103, off
	s_or_b64 exec, exec, s[48:49]
	v_cmp_lt_u32_e64 s[46:47], v32, v96
	s_and_saveexec_b64 s[50:51], s[46:47]
	s_cbranch_execz .LBB1744_610
.LBB1744_646:                           ;   in Loop: Header=BB1744_558 Depth=2
	ds_read_u16 v21, v47 offset:3584
	v_mov_b32_e32 v22, v3
	v_mov_b32_e32 v99, s69
	s_waitcnt lgkmcnt(0)
	v_cmp_ne_u16_e64 s[48:49], s7, v21
	v_cndmask_b32_e64 v97, v65, v21, s[48:49]
	v_lshrrev_b32_sdwa v97, s77, v97 dst_sel:DWORD dst_unused:UNUSED_PAD src0_sel:DWORD src1_sel:WORD_0
	v_and_b32_e32 v97, s63, v97
	v_lshlrev_b32_e32 v97, 2, v97
	ds_read_b32 v97, v97
	v_cmp_gt_i16_e64 s[48:49], 0, v21
	v_cndmask_b32_e64 v103, v65, 0, s[48:49]
	v_xor_b32_e32 v103, v103, v21
	s_waitcnt lgkmcnt(0)
	v_add_u32_e32 v21, v97, v32
	v_lshlrev_b64 v[21:22], 1, v[21:22]
	v_add_co_u32_e64 v21, s[48:49], s68, v21
	v_addc_co_u32_e64 v22, s[48:49], v99, v22, s[48:49]
	global_store_short v[21:22], v103, off
	s_or_b64 exec, exec, s[50:51]
	v_cmp_lt_u32_e64 s[48:49], v33, v96
	s_and_saveexec_b64 s[52:53], s[48:49]
	s_cbranch_execz .LBB1744_611
.LBB1744_647:                           ;   in Loop: Header=BB1744_558 Depth=2
	ds_read_u16 v21, v47 offset:4096
	v_mov_b32_e32 v22, v3
	v_mov_b32_e32 v99, s69
	s_waitcnt lgkmcnt(0)
	v_cmp_ne_u16_e64 s[50:51], s7, v21
	v_cndmask_b32_e64 v97, v65, v21, s[50:51]
	v_lshrrev_b32_sdwa v97, s77, v97 dst_sel:DWORD dst_unused:UNUSED_PAD src0_sel:DWORD src1_sel:WORD_0
	v_and_b32_e32 v97, s63, v97
	v_lshlrev_b32_e32 v97, 2, v97
	ds_read_b32 v97, v97
	v_cmp_gt_i16_e64 s[50:51], 0, v21
	v_cndmask_b32_e64 v103, v65, 0, s[50:51]
	v_xor_b32_e32 v103, v103, v21
	s_waitcnt lgkmcnt(0)
	v_add_u32_e32 v21, v97, v33
	v_lshlrev_b64 v[21:22], 1, v[21:22]
	v_add_co_u32_e64 v21, s[50:51], s68, v21
	v_addc_co_u32_e64 v22, s[50:51], v99, v22, s[50:51]
	global_store_short v[21:22], v103, off
	s_or_b64 exec, exec, s[52:53]
	v_cmp_lt_u32_e64 s[50:51], v34, v96
	s_and_saveexec_b64 s[60:61], s[50:51]
	s_cbranch_execnz .LBB1744_612
	s_branch .LBB1744_613
.LBB1744_648:                           ;   in Loop: Header=BB1744_558 Depth=2
	global_load_dwordx2 v[19:20], v[21:22], off
	s_or_b64 exec, exec, s[52:53]
	v_cmp_lt_u32_e64 s[52:53], v74, v96
	s_and_saveexec_b64 s[60:61], s[52:53]
	s_cbranch_execz .LBB1744_615
.LBB1744_649:                           ;   in Loop: Header=BB1744_558 Depth=2
	global_load_dwordx2 v[17:18], v[21:22], off offset:512
	s_or_b64 exec, exec, s[60:61]
	v_cmp_lt_u32_e64 s[52:53], v75, v96
	s_and_saveexec_b64 s[60:61], s[52:53]
	s_cbranch_execz .LBB1744_616
.LBB1744_650:                           ;   in Loop: Header=BB1744_558 Depth=2
	global_load_dwordx2 v[15:16], v[21:22], off offset:1024
	s_or_b64 exec, exec, s[60:61]
	v_cmp_lt_u32_e64 s[52:53], v76, v96
	s_and_saveexec_b64 s[60:61], s[52:53]
	s_cbranch_execz .LBB1744_617
.LBB1744_651:                           ;   in Loop: Header=BB1744_558 Depth=2
	global_load_dwordx2 v[13:14], v[21:22], off offset:1536
	s_or_b64 exec, exec, s[60:61]
	v_cmp_lt_u32_e64 s[52:53], v77, v96
	s_and_saveexec_b64 s[60:61], s[52:53]
	s_cbranch_execz .LBB1744_618
.LBB1744_652:                           ;   in Loop: Header=BB1744_558 Depth=2
	global_load_dwordx2 v[11:12], v[21:22], off offset:2048
	s_or_b64 exec, exec, s[60:61]
	v_cmp_lt_u32_e64 s[52:53], v78, v96
	s_and_saveexec_b64 s[60:61], s[52:53]
	s_cbranch_execz .LBB1744_619
.LBB1744_653:                           ;   in Loop: Header=BB1744_558 Depth=2
	global_load_dwordx2 v[9:10], v[21:22], off offset:2560
	s_or_b64 exec, exec, s[60:61]
	v_cmp_lt_u32_e64 s[52:53], v79, v96
	s_and_saveexec_b64 s[60:61], s[52:53]
	s_cbranch_execz .LBB1744_620
.LBB1744_654:                           ;   in Loop: Header=BB1744_558 Depth=2
	global_load_dwordx2 v[7:8], v[21:22], off offset:3072
	s_or_b64 exec, exec, s[60:61]
	v_cmp_lt_u32_e64 s[52:53], v80, v96
	s_and_saveexec_b64 s[60:61], s[52:53]
	s_cbranch_execz .LBB1744_621
.LBB1744_655:                           ;   in Loop: Header=BB1744_558 Depth=2
	global_load_dwordx2 v[5:6], v[21:22], off offset:3584
	s_or_b64 exec, exec, s[60:61]
	s_and_saveexec_b64 s[60:61], vcc
	s_cbranch_execz .LBB1744_622
.LBB1744_656:                           ;   in Loop: Header=BB1744_558 Depth=2
	ds_read_u16 v21, v47 offset:1024
	s_waitcnt lgkmcnt(0)
	v_cmp_ne_u16_e64 s[52:53], s7, v21
	v_cndmask_b32_e64 v21, v65, v21, s[52:53]
	v_lshrrev_b32_sdwa v21, s77, v21 dst_sel:DWORD dst_unused:UNUSED_PAD src0_sel:DWORD src1_sel:WORD_0
	v_and_b32_e32 v95, s63, v21
	s_or_b64 exec, exec, s[60:61]
	s_and_saveexec_b64 s[60:61], s[38:39]
	s_cbranch_execz .LBB1744_623
.LBB1744_657:                           ;   in Loop: Header=BB1744_558 Depth=2
	ds_read_u16 v21, v47 offset:1536
	s_waitcnt lgkmcnt(0)
	v_cmp_ne_u16_e64 s[52:53], s7, v21
	v_cndmask_b32_e64 v21, v65, v21, s[52:53]
	v_lshrrev_b32_sdwa v21, s77, v21 dst_sel:DWORD dst_unused:UNUSED_PAD src0_sel:DWORD src1_sel:WORD_0
	v_and_b32_e32 v94, s63, v21
	s_or_b64 exec, exec, s[60:61]
	s_and_saveexec_b64 s[60:61], s[40:41]
	s_cbranch_execz .LBB1744_624
.LBB1744_658:                           ;   in Loop: Header=BB1744_558 Depth=2
	ds_read_u16 v21, v47 offset:2048
	s_waitcnt lgkmcnt(0)
	v_cmp_ne_u16_e64 s[52:53], s7, v21
	v_cndmask_b32_e64 v21, v65, v21, s[52:53]
	v_lshrrev_b32_sdwa v21, s77, v21 dst_sel:DWORD dst_unused:UNUSED_PAD src0_sel:DWORD src1_sel:WORD_0
	v_and_b32_e32 v93, s63, v21
	s_or_b64 exec, exec, s[60:61]
	s_and_saveexec_b64 s[60:61], s[42:43]
	s_cbranch_execz .LBB1744_625
.LBB1744_659:                           ;   in Loop: Header=BB1744_558 Depth=2
	ds_read_u16 v21, v47 offset:2560
	s_waitcnt lgkmcnt(0)
	v_cmp_ne_u16_e64 s[52:53], s7, v21
	v_cndmask_b32_e64 v21, v65, v21, s[52:53]
	v_lshrrev_b32_sdwa v21, s77, v21 dst_sel:DWORD dst_unused:UNUSED_PAD src0_sel:DWORD src1_sel:WORD_0
	v_and_b32_e32 v92, s63, v21
	s_or_b64 exec, exec, s[60:61]
	s_and_saveexec_b64 s[60:61], s[44:45]
	s_cbranch_execz .LBB1744_626
.LBB1744_660:                           ;   in Loop: Header=BB1744_558 Depth=2
	ds_read_u16 v21, v47 offset:3072
	s_waitcnt lgkmcnt(0)
	v_cmp_ne_u16_e64 s[52:53], s7, v21
	v_cndmask_b32_e64 v21, v65, v21, s[52:53]
	v_lshrrev_b32_sdwa v21, s77, v21 dst_sel:DWORD dst_unused:UNUSED_PAD src0_sel:DWORD src1_sel:WORD_0
	v_and_b32_e32 v90, s63, v21
	s_or_b64 exec, exec, s[60:61]
	s_and_saveexec_b64 s[60:61], s[46:47]
	s_cbranch_execz .LBB1744_627
.LBB1744_661:                           ;   in Loop: Header=BB1744_558 Depth=2
	ds_read_u16 v21, v47 offset:3584
	s_waitcnt lgkmcnt(0)
	v_cmp_ne_u16_e64 s[52:53], s7, v21
	v_cndmask_b32_e64 v21, v65, v21, s[52:53]
	v_lshrrev_b32_sdwa v21, s77, v21 dst_sel:DWORD dst_unused:UNUSED_PAD src0_sel:DWORD src1_sel:WORD_0
	v_and_b32_e32 v89, s63, v21
	s_or_b64 exec, exec, s[60:61]
	s_and_saveexec_b64 s[60:61], s[48:49]
	s_cbranch_execz .LBB1744_628
.LBB1744_662:                           ;   in Loop: Header=BB1744_558 Depth=2
	ds_read_u16 v21, v47 offset:4096
	s_waitcnt lgkmcnt(0)
	v_cmp_ne_u16_e64 s[52:53], s7, v21
	v_cndmask_b32_e64 v21, v65, v21, s[52:53]
	v_lshrrev_b32_sdwa v21, s77, v21 dst_sel:DWORD dst_unused:UNUSED_PAD src0_sel:DWORD src1_sel:WORD_0
	v_and_b32_e32 v88, s63, v21
	s_or_b64 exec, exec, s[60:61]
	s_and_saveexec_b64 s[60:61], s[50:51]
	s_cbranch_execnz .LBB1744_629
	s_branch .LBB1744_630
.LBB1744_663:                           ;   in Loop: Header=BB1744_558 Depth=2
	v_lshlrev_b32_e32 v22, 2, v95
	ds_read_b32 v24, v22
	ds_read_b64 v[22:23], v21 offset:1024
	v_mov_b32_e32 v97, v3
	v_mov_b32_e32 v98, s75
	s_waitcnt lgkmcnt(1)
	v_add_u32_e32 v96, v24, v0
	v_lshlrev_b64 v[96:97], 3, v[96:97]
	v_add_co_u32_e32 v96, vcc, s74, v96
	v_addc_co_u32_e32 v97, vcc, v98, v97, vcc
	s_waitcnt lgkmcnt(0)
	global_store_dwordx2 v[96:97], v[22:23], off
	s_or_b64 exec, exec, s[52:53]
	s_and_saveexec_b64 s[52:53], s[38:39]
	s_cbranch_execz .LBB1744_632
.LBB1744_664:                           ;   in Loop: Header=BB1744_558 Depth=2
	v_lshlrev_b32_e32 v22, 2, v94
	ds_read_b32 v24, v22
	ds_read_b64 v[22:23], v21 offset:3072
	v_mov_b32_e32 v97, v3
	v_mov_b32_e32 v98, s75
	s_waitcnt lgkmcnt(1)
	v_add_u32_e32 v96, v24, v26
	v_lshlrev_b64 v[96:97], 3, v[96:97]
	v_add_co_u32_e32 v96, vcc, s74, v96
	v_addc_co_u32_e32 v97, vcc, v98, v97, vcc
	s_waitcnt lgkmcnt(0)
	global_store_dwordx2 v[96:97], v[22:23], off
	s_or_b64 exec, exec, s[52:53]
	s_and_saveexec_b64 s[38:39], s[40:41]
	s_cbranch_execz .LBB1744_633
.LBB1744_665:                           ;   in Loop: Header=BB1744_558 Depth=2
	v_lshlrev_b32_e32 v22, 2, v93
	ds_read_b32 v24, v22
	ds_read_b64 v[22:23], v21 offset:5120
	v_mov_b32_e32 v97, v3
	v_mov_b32_e32 v98, s75
	s_waitcnt lgkmcnt(1)
	v_add_u32_e32 v96, v24, v27
	v_lshlrev_b64 v[96:97], 3, v[96:97]
	v_add_co_u32_e32 v96, vcc, s74, v96
	v_addc_co_u32_e32 v97, vcc, v98, v97, vcc
	s_waitcnt lgkmcnt(0)
	global_store_dwordx2 v[96:97], v[22:23], off
	s_or_b64 exec, exec, s[38:39]
	s_and_saveexec_b64 s[38:39], s[42:43]
	s_cbranch_execz .LBB1744_634
.LBB1744_666:                           ;   in Loop: Header=BB1744_558 Depth=2
	v_lshlrev_b32_e32 v22, 2, v92
	ds_read_b32 v24, v22
	ds_read_b64 v[22:23], v21 offset:7168
	v_mov_b32_e32 v97, v3
	v_mov_b32_e32 v98, s75
	s_waitcnt lgkmcnt(1)
	v_add_u32_e32 v96, v24, v28
	v_lshlrev_b64 v[96:97], 3, v[96:97]
	v_add_co_u32_e32 v96, vcc, s74, v96
	v_addc_co_u32_e32 v97, vcc, v98, v97, vcc
	s_waitcnt lgkmcnt(0)
	global_store_dwordx2 v[96:97], v[22:23], off
	s_or_b64 exec, exec, s[38:39]
	s_and_saveexec_b64 s[38:39], s[44:45]
	s_cbranch_execz .LBB1744_635
.LBB1744_667:                           ;   in Loop: Header=BB1744_558 Depth=2
	v_lshlrev_b32_e32 v22, 2, v90
	ds_read_b32 v24, v22
	ds_read_b64 v[22:23], v21 offset:9216
	v_mov_b32_e32 v97, v3
	v_mov_b32_e32 v98, s75
	s_waitcnt lgkmcnt(1)
	v_add_u32_e32 v96, v24, v31
	v_lshlrev_b64 v[96:97], 3, v[96:97]
	v_add_co_u32_e32 v96, vcc, s74, v96
	v_addc_co_u32_e32 v97, vcc, v98, v97, vcc
	s_waitcnt lgkmcnt(0)
	global_store_dwordx2 v[96:97], v[22:23], off
	s_or_b64 exec, exec, s[38:39]
	s_and_saveexec_b64 s[38:39], s[46:47]
	s_cbranch_execz .LBB1744_636
.LBB1744_668:                           ;   in Loop: Header=BB1744_558 Depth=2
	v_lshlrev_b32_e32 v22, 2, v89
	ds_read_b32 v24, v22
	ds_read_b64 v[22:23], v21 offset:11264
	v_mov_b32_e32 v97, v3
	v_mov_b32_e32 v98, s75
	s_waitcnt lgkmcnt(1)
	v_add_u32_e32 v96, v24, v32
	v_lshlrev_b64 v[96:97], 3, v[96:97]
	v_add_co_u32_e32 v96, vcc, s74, v96
	v_addc_co_u32_e32 v97, vcc, v98, v97, vcc
	s_waitcnt lgkmcnt(0)
	global_store_dwordx2 v[96:97], v[22:23], off
	s_or_b64 exec, exec, s[38:39]
	s_and_saveexec_b64 s[38:39], s[48:49]
	s_cbranch_execz .LBB1744_637
.LBB1744_669:                           ;   in Loop: Header=BB1744_558 Depth=2
	v_lshlrev_b32_e32 v22, 2, v88
	ds_read_b32 v24, v22
	ds_read_b64 v[22:23], v21 offset:13312
	v_mov_b32_e32 v97, v3
	v_mov_b32_e32 v98, s75
	s_waitcnt lgkmcnt(1)
	v_add_u32_e32 v96, v24, v33
	v_lshlrev_b64 v[96:97], 3, v[96:97]
	v_add_co_u32_e32 v96, vcc, s74, v96
	v_addc_co_u32_e32 v97, vcc, v98, v97, vcc
	s_waitcnt lgkmcnt(0)
	global_store_dwordx2 v[96:97], v[22:23], off
	s_or_b64 exec, exec, s[38:39]
	s_and_saveexec_b64 s[38:39], s[50:51]
	s_cbranch_execnz .LBB1744_638
	s_branch .LBB1744_639
.LBB1744_670:
	s_endpgm
	.section	.rodata,"a",@progbits
	.p2align	6, 0x0
	.amdhsa_kernel _ZN7rocprim17ROCPRIM_400000_NS6detail17trampoline_kernelINS0_14default_configENS1_36segmented_radix_sort_config_selectorI6__halflEEZNS1_25segmented_radix_sort_implIS3_Lb1EPKS5_PS5_PKlPlN2at6native12_GLOBAL__N_18offset_tEEE10hipError_tPvRmT1_PNSt15iterator_traitsISL_E10value_typeET2_T3_PNSM_ISR_E10value_typeET4_jRbjT5_SX_jjP12ihipStream_tbEUlT_E_NS1_11comp_targetILNS1_3genE2ELNS1_11target_archE906ELNS1_3gpuE6ELNS1_3repE0EEENS1_30default_config_static_selectorELNS0_4arch9wavefront6targetE1EEEvSL_
		.amdhsa_group_segment_fixed_size 17424
		.amdhsa_private_segment_fixed_size 0
		.amdhsa_kernarg_size 352
		.amdhsa_user_sgpr_count 6
		.amdhsa_user_sgpr_private_segment_buffer 1
		.amdhsa_user_sgpr_dispatch_ptr 0
		.amdhsa_user_sgpr_queue_ptr 0
		.amdhsa_user_sgpr_kernarg_segment_ptr 1
		.amdhsa_user_sgpr_dispatch_id 0
		.amdhsa_user_sgpr_flat_scratch_init 0
		.amdhsa_user_sgpr_private_segment_size 0
		.amdhsa_uses_dynamic_stack 0
		.amdhsa_system_sgpr_private_segment_wavefront_offset 0
		.amdhsa_system_sgpr_workgroup_id_x 1
		.amdhsa_system_sgpr_workgroup_id_y 1
		.amdhsa_system_sgpr_workgroup_id_z 0
		.amdhsa_system_sgpr_workgroup_info 0
		.amdhsa_system_vgpr_workitem_id 2
		.amdhsa_next_free_vgpr 195
		.amdhsa_next_free_sgpr 98
		.amdhsa_reserve_vcc 1
		.amdhsa_reserve_flat_scratch 0
		.amdhsa_float_round_mode_32 0
		.amdhsa_float_round_mode_16_64 0
		.amdhsa_float_denorm_mode_32 3
		.amdhsa_float_denorm_mode_16_64 3
		.amdhsa_dx10_clamp 1
		.amdhsa_ieee_mode 1
		.amdhsa_fp16_overflow 0
		.amdhsa_exception_fp_ieee_invalid_op 0
		.amdhsa_exception_fp_denorm_src 0
		.amdhsa_exception_fp_ieee_div_zero 0
		.amdhsa_exception_fp_ieee_overflow 0
		.amdhsa_exception_fp_ieee_underflow 0
		.amdhsa_exception_fp_ieee_inexact 0
		.amdhsa_exception_int_div_zero 0
	.end_amdhsa_kernel
	.section	.text._ZN7rocprim17ROCPRIM_400000_NS6detail17trampoline_kernelINS0_14default_configENS1_36segmented_radix_sort_config_selectorI6__halflEEZNS1_25segmented_radix_sort_implIS3_Lb1EPKS5_PS5_PKlPlN2at6native12_GLOBAL__N_18offset_tEEE10hipError_tPvRmT1_PNSt15iterator_traitsISL_E10value_typeET2_T3_PNSM_ISR_E10value_typeET4_jRbjT5_SX_jjP12ihipStream_tbEUlT_E_NS1_11comp_targetILNS1_3genE2ELNS1_11target_archE906ELNS1_3gpuE6ELNS1_3repE0EEENS1_30default_config_static_selectorELNS0_4arch9wavefront6targetE1EEEvSL_,"axG",@progbits,_ZN7rocprim17ROCPRIM_400000_NS6detail17trampoline_kernelINS0_14default_configENS1_36segmented_radix_sort_config_selectorI6__halflEEZNS1_25segmented_radix_sort_implIS3_Lb1EPKS5_PS5_PKlPlN2at6native12_GLOBAL__N_18offset_tEEE10hipError_tPvRmT1_PNSt15iterator_traitsISL_E10value_typeET2_T3_PNSM_ISR_E10value_typeET4_jRbjT5_SX_jjP12ihipStream_tbEUlT_E_NS1_11comp_targetILNS1_3genE2ELNS1_11target_archE906ELNS1_3gpuE6ELNS1_3repE0EEENS1_30default_config_static_selectorELNS0_4arch9wavefront6targetE1EEEvSL_,comdat
.Lfunc_end1744:
	.size	_ZN7rocprim17ROCPRIM_400000_NS6detail17trampoline_kernelINS0_14default_configENS1_36segmented_radix_sort_config_selectorI6__halflEEZNS1_25segmented_radix_sort_implIS3_Lb1EPKS5_PS5_PKlPlN2at6native12_GLOBAL__N_18offset_tEEE10hipError_tPvRmT1_PNSt15iterator_traitsISL_E10value_typeET2_T3_PNSM_ISR_E10value_typeET4_jRbjT5_SX_jjP12ihipStream_tbEUlT_E_NS1_11comp_targetILNS1_3genE2ELNS1_11target_archE906ELNS1_3gpuE6ELNS1_3repE0EEENS1_30default_config_static_selectorELNS0_4arch9wavefront6targetE1EEEvSL_, .Lfunc_end1744-_ZN7rocprim17ROCPRIM_400000_NS6detail17trampoline_kernelINS0_14default_configENS1_36segmented_radix_sort_config_selectorI6__halflEEZNS1_25segmented_radix_sort_implIS3_Lb1EPKS5_PS5_PKlPlN2at6native12_GLOBAL__N_18offset_tEEE10hipError_tPvRmT1_PNSt15iterator_traitsISL_E10value_typeET2_T3_PNSM_ISR_E10value_typeET4_jRbjT5_SX_jjP12ihipStream_tbEUlT_E_NS1_11comp_targetILNS1_3genE2ELNS1_11target_archE906ELNS1_3gpuE6ELNS1_3repE0EEENS1_30default_config_static_selectorELNS0_4arch9wavefront6targetE1EEEvSL_
                                        ; -- End function
	.set _ZN7rocprim17ROCPRIM_400000_NS6detail17trampoline_kernelINS0_14default_configENS1_36segmented_radix_sort_config_selectorI6__halflEEZNS1_25segmented_radix_sort_implIS3_Lb1EPKS5_PS5_PKlPlN2at6native12_GLOBAL__N_18offset_tEEE10hipError_tPvRmT1_PNSt15iterator_traitsISL_E10value_typeET2_T3_PNSM_ISR_E10value_typeET4_jRbjT5_SX_jjP12ihipStream_tbEUlT_E_NS1_11comp_targetILNS1_3genE2ELNS1_11target_archE906ELNS1_3gpuE6ELNS1_3repE0EEENS1_30default_config_static_selectorELNS0_4arch9wavefront6targetE1EEEvSL_.num_vgpr, max(130, .L_ZN7rocprim17ROCPRIM_400000_NS6detail40segmented_radix_sort_single_block_helperI6__halflLj256ELj8ELb1EE4sortIPKS3_PS3_PKlPlEEbT_T0_T1_T2_jjjjRNS4_12storage_typeE.num_vgpr)
	.set _ZN7rocprim17ROCPRIM_400000_NS6detail17trampoline_kernelINS0_14default_configENS1_36segmented_radix_sort_config_selectorI6__halflEEZNS1_25segmented_radix_sort_implIS3_Lb1EPKS5_PS5_PKlPlN2at6native12_GLOBAL__N_18offset_tEEE10hipError_tPvRmT1_PNSt15iterator_traitsISL_E10value_typeET2_T3_PNSM_ISR_E10value_typeET4_jRbjT5_SX_jjP12ihipStream_tbEUlT_E_NS1_11comp_targetILNS1_3genE2ELNS1_11target_archE906ELNS1_3gpuE6ELNS1_3repE0EEENS1_30default_config_static_selectorELNS0_4arch9wavefront6targetE1EEEvSL_.num_agpr, max(0, .L_ZN7rocprim17ROCPRIM_400000_NS6detail40segmented_radix_sort_single_block_helperI6__halflLj256ELj8ELb1EE4sortIPKS3_PS3_PKlPlEEbT_T0_T1_T2_jjjjRNS4_12storage_typeE.num_agpr)
	.set _ZN7rocprim17ROCPRIM_400000_NS6detail17trampoline_kernelINS0_14default_configENS1_36segmented_radix_sort_config_selectorI6__halflEEZNS1_25segmented_radix_sort_implIS3_Lb1EPKS5_PS5_PKlPlN2at6native12_GLOBAL__N_18offset_tEEE10hipError_tPvRmT1_PNSt15iterator_traitsISL_E10value_typeET2_T3_PNSM_ISR_E10value_typeET4_jRbjT5_SX_jjP12ihipStream_tbEUlT_E_NS1_11comp_targetILNS1_3genE2ELNS1_11target_archE906ELNS1_3gpuE6ELNS1_3repE0EEENS1_30default_config_static_selectorELNS0_4arch9wavefront6targetE1EEEvSL_.numbered_sgpr, max(82, .L_ZN7rocprim17ROCPRIM_400000_NS6detail40segmented_radix_sort_single_block_helperI6__halflLj256ELj8ELb1EE4sortIPKS3_PS3_PKlPlEEbT_T0_T1_T2_jjjjRNS4_12storage_typeE.numbered_sgpr)
	.set _ZN7rocprim17ROCPRIM_400000_NS6detail17trampoline_kernelINS0_14default_configENS1_36segmented_radix_sort_config_selectorI6__halflEEZNS1_25segmented_radix_sort_implIS3_Lb1EPKS5_PS5_PKlPlN2at6native12_GLOBAL__N_18offset_tEEE10hipError_tPvRmT1_PNSt15iterator_traitsISL_E10value_typeET2_T3_PNSM_ISR_E10value_typeET4_jRbjT5_SX_jjP12ihipStream_tbEUlT_E_NS1_11comp_targetILNS1_3genE2ELNS1_11target_archE906ELNS1_3gpuE6ELNS1_3repE0EEENS1_30default_config_static_selectorELNS0_4arch9wavefront6targetE1EEEvSL_.num_named_barrier, max(0, .L_ZN7rocprim17ROCPRIM_400000_NS6detail40segmented_radix_sort_single_block_helperI6__halflLj256ELj8ELb1EE4sortIPKS3_PS3_PKlPlEEbT_T0_T1_T2_jjjjRNS4_12storage_typeE.num_named_barrier)
	.set _ZN7rocprim17ROCPRIM_400000_NS6detail17trampoline_kernelINS0_14default_configENS1_36segmented_radix_sort_config_selectorI6__halflEEZNS1_25segmented_radix_sort_implIS3_Lb1EPKS5_PS5_PKlPlN2at6native12_GLOBAL__N_18offset_tEEE10hipError_tPvRmT1_PNSt15iterator_traitsISL_E10value_typeET2_T3_PNSM_ISR_E10value_typeET4_jRbjT5_SX_jjP12ihipStream_tbEUlT_E_NS1_11comp_targetILNS1_3genE2ELNS1_11target_archE906ELNS1_3gpuE6ELNS1_3repE0EEENS1_30default_config_static_selectorELNS0_4arch9wavefront6targetE1EEEvSL_.private_seg_size, 0+max(.L_ZN7rocprim17ROCPRIM_400000_NS6detail40segmented_radix_sort_single_block_helperI6__halflLj256ELj8ELb1EE4sortIPKS3_PS3_PKlPlEEbT_T0_T1_T2_jjjjRNS4_12storage_typeE.private_seg_size)
	.set _ZN7rocprim17ROCPRIM_400000_NS6detail17trampoline_kernelINS0_14default_configENS1_36segmented_radix_sort_config_selectorI6__halflEEZNS1_25segmented_radix_sort_implIS3_Lb1EPKS5_PS5_PKlPlN2at6native12_GLOBAL__N_18offset_tEEE10hipError_tPvRmT1_PNSt15iterator_traitsISL_E10value_typeET2_T3_PNSM_ISR_E10value_typeET4_jRbjT5_SX_jjP12ihipStream_tbEUlT_E_NS1_11comp_targetILNS1_3genE2ELNS1_11target_archE906ELNS1_3gpuE6ELNS1_3repE0EEENS1_30default_config_static_selectorELNS0_4arch9wavefront6targetE1EEEvSL_.uses_vcc, or(1, .L_ZN7rocprim17ROCPRIM_400000_NS6detail40segmented_radix_sort_single_block_helperI6__halflLj256ELj8ELb1EE4sortIPKS3_PS3_PKlPlEEbT_T0_T1_T2_jjjjRNS4_12storage_typeE.uses_vcc)
	.set _ZN7rocprim17ROCPRIM_400000_NS6detail17trampoline_kernelINS0_14default_configENS1_36segmented_radix_sort_config_selectorI6__halflEEZNS1_25segmented_radix_sort_implIS3_Lb1EPKS5_PS5_PKlPlN2at6native12_GLOBAL__N_18offset_tEEE10hipError_tPvRmT1_PNSt15iterator_traitsISL_E10value_typeET2_T3_PNSM_ISR_E10value_typeET4_jRbjT5_SX_jjP12ihipStream_tbEUlT_E_NS1_11comp_targetILNS1_3genE2ELNS1_11target_archE906ELNS1_3gpuE6ELNS1_3repE0EEENS1_30default_config_static_selectorELNS0_4arch9wavefront6targetE1EEEvSL_.uses_flat_scratch, or(0, .L_ZN7rocprim17ROCPRIM_400000_NS6detail40segmented_radix_sort_single_block_helperI6__halflLj256ELj8ELb1EE4sortIPKS3_PS3_PKlPlEEbT_T0_T1_T2_jjjjRNS4_12storage_typeE.uses_flat_scratch)
	.set _ZN7rocprim17ROCPRIM_400000_NS6detail17trampoline_kernelINS0_14default_configENS1_36segmented_radix_sort_config_selectorI6__halflEEZNS1_25segmented_radix_sort_implIS3_Lb1EPKS5_PS5_PKlPlN2at6native12_GLOBAL__N_18offset_tEEE10hipError_tPvRmT1_PNSt15iterator_traitsISL_E10value_typeET2_T3_PNSM_ISR_E10value_typeET4_jRbjT5_SX_jjP12ihipStream_tbEUlT_E_NS1_11comp_targetILNS1_3genE2ELNS1_11target_archE906ELNS1_3gpuE6ELNS1_3repE0EEENS1_30default_config_static_selectorELNS0_4arch9wavefront6targetE1EEEvSL_.has_dyn_sized_stack, or(0, .L_ZN7rocprim17ROCPRIM_400000_NS6detail40segmented_radix_sort_single_block_helperI6__halflLj256ELj8ELb1EE4sortIPKS3_PS3_PKlPlEEbT_T0_T1_T2_jjjjRNS4_12storage_typeE.has_dyn_sized_stack)
	.set _ZN7rocprim17ROCPRIM_400000_NS6detail17trampoline_kernelINS0_14default_configENS1_36segmented_radix_sort_config_selectorI6__halflEEZNS1_25segmented_radix_sort_implIS3_Lb1EPKS5_PS5_PKlPlN2at6native12_GLOBAL__N_18offset_tEEE10hipError_tPvRmT1_PNSt15iterator_traitsISL_E10value_typeET2_T3_PNSM_ISR_E10value_typeET4_jRbjT5_SX_jjP12ihipStream_tbEUlT_E_NS1_11comp_targetILNS1_3genE2ELNS1_11target_archE906ELNS1_3gpuE6ELNS1_3repE0EEENS1_30default_config_static_selectorELNS0_4arch9wavefront6targetE1EEEvSL_.has_recursion, or(0, .L_ZN7rocprim17ROCPRIM_400000_NS6detail40segmented_radix_sort_single_block_helperI6__halflLj256ELj8ELb1EE4sortIPKS3_PS3_PKlPlEEbT_T0_T1_T2_jjjjRNS4_12storage_typeE.has_recursion)
	.set _ZN7rocprim17ROCPRIM_400000_NS6detail17trampoline_kernelINS0_14default_configENS1_36segmented_radix_sort_config_selectorI6__halflEEZNS1_25segmented_radix_sort_implIS3_Lb1EPKS5_PS5_PKlPlN2at6native12_GLOBAL__N_18offset_tEEE10hipError_tPvRmT1_PNSt15iterator_traitsISL_E10value_typeET2_T3_PNSM_ISR_E10value_typeET4_jRbjT5_SX_jjP12ihipStream_tbEUlT_E_NS1_11comp_targetILNS1_3genE2ELNS1_11target_archE906ELNS1_3gpuE6ELNS1_3repE0EEENS1_30default_config_static_selectorELNS0_4arch9wavefront6targetE1EEEvSL_.has_indirect_call, or(0, .L_ZN7rocprim17ROCPRIM_400000_NS6detail40segmented_radix_sort_single_block_helperI6__halflLj256ELj8ELb1EE4sortIPKS3_PS3_PKlPlEEbT_T0_T1_T2_jjjjRNS4_12storage_typeE.has_indirect_call)
	.section	.AMDGPU.csdata,"",@progbits
; Kernel info:
; codeLenInByte = 37708
; TotalNumSgprs: 86
; NumVgprs: 195
; ScratchSize: 0
; MemoryBound: 0
; FloatMode: 240
; IeeeMode: 1
; LDSByteSize: 17424 bytes/workgroup (compile time only)
; SGPRBlocks: 12
; VGPRBlocks: 48
; NumSGPRsForWavesPerEU: 102
; NumVGPRsForWavesPerEU: 195
; Occupancy: 1
; WaveLimiterHint : 1
; COMPUTE_PGM_RSRC2:SCRATCH_EN: 0
; COMPUTE_PGM_RSRC2:USER_SGPR: 6
; COMPUTE_PGM_RSRC2:TRAP_HANDLER: 0
; COMPUTE_PGM_RSRC2:TGID_X_EN: 1
; COMPUTE_PGM_RSRC2:TGID_Y_EN: 1
; COMPUTE_PGM_RSRC2:TGID_Z_EN: 0
; COMPUTE_PGM_RSRC2:TIDIG_COMP_CNT: 2
	.section	.text._ZN7rocprim17ROCPRIM_400000_NS6detail17trampoline_kernelINS0_14default_configENS1_36segmented_radix_sort_config_selectorI6__halflEEZNS1_25segmented_radix_sort_implIS3_Lb1EPKS5_PS5_PKlPlN2at6native12_GLOBAL__N_18offset_tEEE10hipError_tPvRmT1_PNSt15iterator_traitsISL_E10value_typeET2_T3_PNSM_ISR_E10value_typeET4_jRbjT5_SX_jjP12ihipStream_tbEUlT_E_NS1_11comp_targetILNS1_3genE10ELNS1_11target_archE1201ELNS1_3gpuE5ELNS1_3repE0EEENS1_30default_config_static_selectorELNS0_4arch9wavefront6targetE1EEEvSL_,"axG",@progbits,_ZN7rocprim17ROCPRIM_400000_NS6detail17trampoline_kernelINS0_14default_configENS1_36segmented_radix_sort_config_selectorI6__halflEEZNS1_25segmented_radix_sort_implIS3_Lb1EPKS5_PS5_PKlPlN2at6native12_GLOBAL__N_18offset_tEEE10hipError_tPvRmT1_PNSt15iterator_traitsISL_E10value_typeET2_T3_PNSM_ISR_E10value_typeET4_jRbjT5_SX_jjP12ihipStream_tbEUlT_E_NS1_11comp_targetILNS1_3genE10ELNS1_11target_archE1201ELNS1_3gpuE5ELNS1_3repE0EEENS1_30default_config_static_selectorELNS0_4arch9wavefront6targetE1EEEvSL_,comdat
	.globl	_ZN7rocprim17ROCPRIM_400000_NS6detail17trampoline_kernelINS0_14default_configENS1_36segmented_radix_sort_config_selectorI6__halflEEZNS1_25segmented_radix_sort_implIS3_Lb1EPKS5_PS5_PKlPlN2at6native12_GLOBAL__N_18offset_tEEE10hipError_tPvRmT1_PNSt15iterator_traitsISL_E10value_typeET2_T3_PNSM_ISR_E10value_typeET4_jRbjT5_SX_jjP12ihipStream_tbEUlT_E_NS1_11comp_targetILNS1_3genE10ELNS1_11target_archE1201ELNS1_3gpuE5ELNS1_3repE0EEENS1_30default_config_static_selectorELNS0_4arch9wavefront6targetE1EEEvSL_ ; -- Begin function _ZN7rocprim17ROCPRIM_400000_NS6detail17trampoline_kernelINS0_14default_configENS1_36segmented_radix_sort_config_selectorI6__halflEEZNS1_25segmented_radix_sort_implIS3_Lb1EPKS5_PS5_PKlPlN2at6native12_GLOBAL__N_18offset_tEEE10hipError_tPvRmT1_PNSt15iterator_traitsISL_E10value_typeET2_T3_PNSM_ISR_E10value_typeET4_jRbjT5_SX_jjP12ihipStream_tbEUlT_E_NS1_11comp_targetILNS1_3genE10ELNS1_11target_archE1201ELNS1_3gpuE5ELNS1_3repE0EEENS1_30default_config_static_selectorELNS0_4arch9wavefront6targetE1EEEvSL_
	.p2align	8
	.type	_ZN7rocprim17ROCPRIM_400000_NS6detail17trampoline_kernelINS0_14default_configENS1_36segmented_radix_sort_config_selectorI6__halflEEZNS1_25segmented_radix_sort_implIS3_Lb1EPKS5_PS5_PKlPlN2at6native12_GLOBAL__N_18offset_tEEE10hipError_tPvRmT1_PNSt15iterator_traitsISL_E10value_typeET2_T3_PNSM_ISR_E10value_typeET4_jRbjT5_SX_jjP12ihipStream_tbEUlT_E_NS1_11comp_targetILNS1_3genE10ELNS1_11target_archE1201ELNS1_3gpuE5ELNS1_3repE0EEENS1_30default_config_static_selectorELNS0_4arch9wavefront6targetE1EEEvSL_,@function
_ZN7rocprim17ROCPRIM_400000_NS6detail17trampoline_kernelINS0_14default_configENS1_36segmented_radix_sort_config_selectorI6__halflEEZNS1_25segmented_radix_sort_implIS3_Lb1EPKS5_PS5_PKlPlN2at6native12_GLOBAL__N_18offset_tEEE10hipError_tPvRmT1_PNSt15iterator_traitsISL_E10value_typeET2_T3_PNSM_ISR_E10value_typeET4_jRbjT5_SX_jjP12ihipStream_tbEUlT_E_NS1_11comp_targetILNS1_3genE10ELNS1_11target_archE1201ELNS1_3gpuE5ELNS1_3repE0EEENS1_30default_config_static_selectorELNS0_4arch9wavefront6targetE1EEEvSL_: ; @_ZN7rocprim17ROCPRIM_400000_NS6detail17trampoline_kernelINS0_14default_configENS1_36segmented_radix_sort_config_selectorI6__halflEEZNS1_25segmented_radix_sort_implIS3_Lb1EPKS5_PS5_PKlPlN2at6native12_GLOBAL__N_18offset_tEEE10hipError_tPvRmT1_PNSt15iterator_traitsISL_E10value_typeET2_T3_PNSM_ISR_E10value_typeET4_jRbjT5_SX_jjP12ihipStream_tbEUlT_E_NS1_11comp_targetILNS1_3genE10ELNS1_11target_archE1201ELNS1_3gpuE5ELNS1_3repE0EEENS1_30default_config_static_selectorELNS0_4arch9wavefront6targetE1EEEvSL_
; %bb.0:
	.section	.rodata,"a",@progbits
	.p2align	6, 0x0
	.amdhsa_kernel _ZN7rocprim17ROCPRIM_400000_NS6detail17trampoline_kernelINS0_14default_configENS1_36segmented_radix_sort_config_selectorI6__halflEEZNS1_25segmented_radix_sort_implIS3_Lb1EPKS5_PS5_PKlPlN2at6native12_GLOBAL__N_18offset_tEEE10hipError_tPvRmT1_PNSt15iterator_traitsISL_E10value_typeET2_T3_PNSM_ISR_E10value_typeET4_jRbjT5_SX_jjP12ihipStream_tbEUlT_E_NS1_11comp_targetILNS1_3genE10ELNS1_11target_archE1201ELNS1_3gpuE5ELNS1_3repE0EEENS1_30default_config_static_selectorELNS0_4arch9wavefront6targetE1EEEvSL_
		.amdhsa_group_segment_fixed_size 0
		.amdhsa_private_segment_fixed_size 0
		.amdhsa_kernarg_size 96
		.amdhsa_user_sgpr_count 6
		.amdhsa_user_sgpr_private_segment_buffer 1
		.amdhsa_user_sgpr_dispatch_ptr 0
		.amdhsa_user_sgpr_queue_ptr 0
		.amdhsa_user_sgpr_kernarg_segment_ptr 1
		.amdhsa_user_sgpr_dispatch_id 0
		.amdhsa_user_sgpr_flat_scratch_init 0
		.amdhsa_user_sgpr_private_segment_size 0
		.amdhsa_uses_dynamic_stack 0
		.amdhsa_system_sgpr_private_segment_wavefront_offset 0
		.amdhsa_system_sgpr_workgroup_id_x 1
		.amdhsa_system_sgpr_workgroup_id_y 0
		.amdhsa_system_sgpr_workgroup_id_z 0
		.amdhsa_system_sgpr_workgroup_info 0
		.amdhsa_system_vgpr_workitem_id 0
		.amdhsa_next_free_vgpr 1
		.amdhsa_next_free_sgpr 0
		.amdhsa_reserve_vcc 0
		.amdhsa_reserve_flat_scratch 0
		.amdhsa_float_round_mode_32 0
		.amdhsa_float_round_mode_16_64 0
		.amdhsa_float_denorm_mode_32 3
		.amdhsa_float_denorm_mode_16_64 3
		.amdhsa_dx10_clamp 1
		.amdhsa_ieee_mode 1
		.amdhsa_fp16_overflow 0
		.amdhsa_exception_fp_ieee_invalid_op 0
		.amdhsa_exception_fp_denorm_src 0
		.amdhsa_exception_fp_ieee_div_zero 0
		.amdhsa_exception_fp_ieee_overflow 0
		.amdhsa_exception_fp_ieee_underflow 0
		.amdhsa_exception_fp_ieee_inexact 0
		.amdhsa_exception_int_div_zero 0
	.end_amdhsa_kernel
	.section	.text._ZN7rocprim17ROCPRIM_400000_NS6detail17trampoline_kernelINS0_14default_configENS1_36segmented_radix_sort_config_selectorI6__halflEEZNS1_25segmented_radix_sort_implIS3_Lb1EPKS5_PS5_PKlPlN2at6native12_GLOBAL__N_18offset_tEEE10hipError_tPvRmT1_PNSt15iterator_traitsISL_E10value_typeET2_T3_PNSM_ISR_E10value_typeET4_jRbjT5_SX_jjP12ihipStream_tbEUlT_E_NS1_11comp_targetILNS1_3genE10ELNS1_11target_archE1201ELNS1_3gpuE5ELNS1_3repE0EEENS1_30default_config_static_selectorELNS0_4arch9wavefront6targetE1EEEvSL_,"axG",@progbits,_ZN7rocprim17ROCPRIM_400000_NS6detail17trampoline_kernelINS0_14default_configENS1_36segmented_radix_sort_config_selectorI6__halflEEZNS1_25segmented_radix_sort_implIS3_Lb1EPKS5_PS5_PKlPlN2at6native12_GLOBAL__N_18offset_tEEE10hipError_tPvRmT1_PNSt15iterator_traitsISL_E10value_typeET2_T3_PNSM_ISR_E10value_typeET4_jRbjT5_SX_jjP12ihipStream_tbEUlT_E_NS1_11comp_targetILNS1_3genE10ELNS1_11target_archE1201ELNS1_3gpuE5ELNS1_3repE0EEENS1_30default_config_static_selectorELNS0_4arch9wavefront6targetE1EEEvSL_,comdat
.Lfunc_end1745:
	.size	_ZN7rocprim17ROCPRIM_400000_NS6detail17trampoline_kernelINS0_14default_configENS1_36segmented_radix_sort_config_selectorI6__halflEEZNS1_25segmented_radix_sort_implIS3_Lb1EPKS5_PS5_PKlPlN2at6native12_GLOBAL__N_18offset_tEEE10hipError_tPvRmT1_PNSt15iterator_traitsISL_E10value_typeET2_T3_PNSM_ISR_E10value_typeET4_jRbjT5_SX_jjP12ihipStream_tbEUlT_E_NS1_11comp_targetILNS1_3genE10ELNS1_11target_archE1201ELNS1_3gpuE5ELNS1_3repE0EEENS1_30default_config_static_selectorELNS0_4arch9wavefront6targetE1EEEvSL_, .Lfunc_end1745-_ZN7rocprim17ROCPRIM_400000_NS6detail17trampoline_kernelINS0_14default_configENS1_36segmented_radix_sort_config_selectorI6__halflEEZNS1_25segmented_radix_sort_implIS3_Lb1EPKS5_PS5_PKlPlN2at6native12_GLOBAL__N_18offset_tEEE10hipError_tPvRmT1_PNSt15iterator_traitsISL_E10value_typeET2_T3_PNSM_ISR_E10value_typeET4_jRbjT5_SX_jjP12ihipStream_tbEUlT_E_NS1_11comp_targetILNS1_3genE10ELNS1_11target_archE1201ELNS1_3gpuE5ELNS1_3repE0EEENS1_30default_config_static_selectorELNS0_4arch9wavefront6targetE1EEEvSL_
                                        ; -- End function
	.set _ZN7rocprim17ROCPRIM_400000_NS6detail17trampoline_kernelINS0_14default_configENS1_36segmented_radix_sort_config_selectorI6__halflEEZNS1_25segmented_radix_sort_implIS3_Lb1EPKS5_PS5_PKlPlN2at6native12_GLOBAL__N_18offset_tEEE10hipError_tPvRmT1_PNSt15iterator_traitsISL_E10value_typeET2_T3_PNSM_ISR_E10value_typeET4_jRbjT5_SX_jjP12ihipStream_tbEUlT_E_NS1_11comp_targetILNS1_3genE10ELNS1_11target_archE1201ELNS1_3gpuE5ELNS1_3repE0EEENS1_30default_config_static_selectorELNS0_4arch9wavefront6targetE1EEEvSL_.num_vgpr, 0
	.set _ZN7rocprim17ROCPRIM_400000_NS6detail17trampoline_kernelINS0_14default_configENS1_36segmented_radix_sort_config_selectorI6__halflEEZNS1_25segmented_radix_sort_implIS3_Lb1EPKS5_PS5_PKlPlN2at6native12_GLOBAL__N_18offset_tEEE10hipError_tPvRmT1_PNSt15iterator_traitsISL_E10value_typeET2_T3_PNSM_ISR_E10value_typeET4_jRbjT5_SX_jjP12ihipStream_tbEUlT_E_NS1_11comp_targetILNS1_3genE10ELNS1_11target_archE1201ELNS1_3gpuE5ELNS1_3repE0EEENS1_30default_config_static_selectorELNS0_4arch9wavefront6targetE1EEEvSL_.num_agpr, 0
	.set _ZN7rocprim17ROCPRIM_400000_NS6detail17trampoline_kernelINS0_14default_configENS1_36segmented_radix_sort_config_selectorI6__halflEEZNS1_25segmented_radix_sort_implIS3_Lb1EPKS5_PS5_PKlPlN2at6native12_GLOBAL__N_18offset_tEEE10hipError_tPvRmT1_PNSt15iterator_traitsISL_E10value_typeET2_T3_PNSM_ISR_E10value_typeET4_jRbjT5_SX_jjP12ihipStream_tbEUlT_E_NS1_11comp_targetILNS1_3genE10ELNS1_11target_archE1201ELNS1_3gpuE5ELNS1_3repE0EEENS1_30default_config_static_selectorELNS0_4arch9wavefront6targetE1EEEvSL_.numbered_sgpr, 0
	.set _ZN7rocprim17ROCPRIM_400000_NS6detail17trampoline_kernelINS0_14default_configENS1_36segmented_radix_sort_config_selectorI6__halflEEZNS1_25segmented_radix_sort_implIS3_Lb1EPKS5_PS5_PKlPlN2at6native12_GLOBAL__N_18offset_tEEE10hipError_tPvRmT1_PNSt15iterator_traitsISL_E10value_typeET2_T3_PNSM_ISR_E10value_typeET4_jRbjT5_SX_jjP12ihipStream_tbEUlT_E_NS1_11comp_targetILNS1_3genE10ELNS1_11target_archE1201ELNS1_3gpuE5ELNS1_3repE0EEENS1_30default_config_static_selectorELNS0_4arch9wavefront6targetE1EEEvSL_.num_named_barrier, 0
	.set _ZN7rocprim17ROCPRIM_400000_NS6detail17trampoline_kernelINS0_14default_configENS1_36segmented_radix_sort_config_selectorI6__halflEEZNS1_25segmented_radix_sort_implIS3_Lb1EPKS5_PS5_PKlPlN2at6native12_GLOBAL__N_18offset_tEEE10hipError_tPvRmT1_PNSt15iterator_traitsISL_E10value_typeET2_T3_PNSM_ISR_E10value_typeET4_jRbjT5_SX_jjP12ihipStream_tbEUlT_E_NS1_11comp_targetILNS1_3genE10ELNS1_11target_archE1201ELNS1_3gpuE5ELNS1_3repE0EEENS1_30default_config_static_selectorELNS0_4arch9wavefront6targetE1EEEvSL_.private_seg_size, 0
	.set _ZN7rocprim17ROCPRIM_400000_NS6detail17trampoline_kernelINS0_14default_configENS1_36segmented_radix_sort_config_selectorI6__halflEEZNS1_25segmented_radix_sort_implIS3_Lb1EPKS5_PS5_PKlPlN2at6native12_GLOBAL__N_18offset_tEEE10hipError_tPvRmT1_PNSt15iterator_traitsISL_E10value_typeET2_T3_PNSM_ISR_E10value_typeET4_jRbjT5_SX_jjP12ihipStream_tbEUlT_E_NS1_11comp_targetILNS1_3genE10ELNS1_11target_archE1201ELNS1_3gpuE5ELNS1_3repE0EEENS1_30default_config_static_selectorELNS0_4arch9wavefront6targetE1EEEvSL_.uses_vcc, 0
	.set _ZN7rocprim17ROCPRIM_400000_NS6detail17trampoline_kernelINS0_14default_configENS1_36segmented_radix_sort_config_selectorI6__halflEEZNS1_25segmented_radix_sort_implIS3_Lb1EPKS5_PS5_PKlPlN2at6native12_GLOBAL__N_18offset_tEEE10hipError_tPvRmT1_PNSt15iterator_traitsISL_E10value_typeET2_T3_PNSM_ISR_E10value_typeET4_jRbjT5_SX_jjP12ihipStream_tbEUlT_E_NS1_11comp_targetILNS1_3genE10ELNS1_11target_archE1201ELNS1_3gpuE5ELNS1_3repE0EEENS1_30default_config_static_selectorELNS0_4arch9wavefront6targetE1EEEvSL_.uses_flat_scratch, 0
	.set _ZN7rocprim17ROCPRIM_400000_NS6detail17trampoline_kernelINS0_14default_configENS1_36segmented_radix_sort_config_selectorI6__halflEEZNS1_25segmented_radix_sort_implIS3_Lb1EPKS5_PS5_PKlPlN2at6native12_GLOBAL__N_18offset_tEEE10hipError_tPvRmT1_PNSt15iterator_traitsISL_E10value_typeET2_T3_PNSM_ISR_E10value_typeET4_jRbjT5_SX_jjP12ihipStream_tbEUlT_E_NS1_11comp_targetILNS1_3genE10ELNS1_11target_archE1201ELNS1_3gpuE5ELNS1_3repE0EEENS1_30default_config_static_selectorELNS0_4arch9wavefront6targetE1EEEvSL_.has_dyn_sized_stack, 0
	.set _ZN7rocprim17ROCPRIM_400000_NS6detail17trampoline_kernelINS0_14default_configENS1_36segmented_radix_sort_config_selectorI6__halflEEZNS1_25segmented_radix_sort_implIS3_Lb1EPKS5_PS5_PKlPlN2at6native12_GLOBAL__N_18offset_tEEE10hipError_tPvRmT1_PNSt15iterator_traitsISL_E10value_typeET2_T3_PNSM_ISR_E10value_typeET4_jRbjT5_SX_jjP12ihipStream_tbEUlT_E_NS1_11comp_targetILNS1_3genE10ELNS1_11target_archE1201ELNS1_3gpuE5ELNS1_3repE0EEENS1_30default_config_static_selectorELNS0_4arch9wavefront6targetE1EEEvSL_.has_recursion, 0
	.set _ZN7rocprim17ROCPRIM_400000_NS6detail17trampoline_kernelINS0_14default_configENS1_36segmented_radix_sort_config_selectorI6__halflEEZNS1_25segmented_radix_sort_implIS3_Lb1EPKS5_PS5_PKlPlN2at6native12_GLOBAL__N_18offset_tEEE10hipError_tPvRmT1_PNSt15iterator_traitsISL_E10value_typeET2_T3_PNSM_ISR_E10value_typeET4_jRbjT5_SX_jjP12ihipStream_tbEUlT_E_NS1_11comp_targetILNS1_3genE10ELNS1_11target_archE1201ELNS1_3gpuE5ELNS1_3repE0EEENS1_30default_config_static_selectorELNS0_4arch9wavefront6targetE1EEEvSL_.has_indirect_call, 0
	.section	.AMDGPU.csdata,"",@progbits
; Kernel info:
; codeLenInByte = 0
; TotalNumSgprs: 4
; NumVgprs: 0
; ScratchSize: 0
; MemoryBound: 0
; FloatMode: 240
; IeeeMode: 1
; LDSByteSize: 0 bytes/workgroup (compile time only)
; SGPRBlocks: 0
; VGPRBlocks: 0
; NumSGPRsForWavesPerEU: 4
; NumVGPRsForWavesPerEU: 1
; Occupancy: 10
; WaveLimiterHint : 0
; COMPUTE_PGM_RSRC2:SCRATCH_EN: 0
; COMPUTE_PGM_RSRC2:USER_SGPR: 6
; COMPUTE_PGM_RSRC2:TRAP_HANDLER: 0
; COMPUTE_PGM_RSRC2:TGID_X_EN: 1
; COMPUTE_PGM_RSRC2:TGID_Y_EN: 0
; COMPUTE_PGM_RSRC2:TGID_Z_EN: 0
; COMPUTE_PGM_RSRC2:TIDIG_COMP_CNT: 0
	.section	.text._ZN7rocprim17ROCPRIM_400000_NS6detail17trampoline_kernelINS0_14default_configENS1_36segmented_radix_sort_config_selectorI6__halflEEZNS1_25segmented_radix_sort_implIS3_Lb1EPKS5_PS5_PKlPlN2at6native12_GLOBAL__N_18offset_tEEE10hipError_tPvRmT1_PNSt15iterator_traitsISL_E10value_typeET2_T3_PNSM_ISR_E10value_typeET4_jRbjT5_SX_jjP12ihipStream_tbEUlT_E_NS1_11comp_targetILNS1_3genE10ELNS1_11target_archE1200ELNS1_3gpuE4ELNS1_3repE0EEENS1_30default_config_static_selectorELNS0_4arch9wavefront6targetE1EEEvSL_,"axG",@progbits,_ZN7rocprim17ROCPRIM_400000_NS6detail17trampoline_kernelINS0_14default_configENS1_36segmented_radix_sort_config_selectorI6__halflEEZNS1_25segmented_radix_sort_implIS3_Lb1EPKS5_PS5_PKlPlN2at6native12_GLOBAL__N_18offset_tEEE10hipError_tPvRmT1_PNSt15iterator_traitsISL_E10value_typeET2_T3_PNSM_ISR_E10value_typeET4_jRbjT5_SX_jjP12ihipStream_tbEUlT_E_NS1_11comp_targetILNS1_3genE10ELNS1_11target_archE1200ELNS1_3gpuE4ELNS1_3repE0EEENS1_30default_config_static_selectorELNS0_4arch9wavefront6targetE1EEEvSL_,comdat
	.globl	_ZN7rocprim17ROCPRIM_400000_NS6detail17trampoline_kernelINS0_14default_configENS1_36segmented_radix_sort_config_selectorI6__halflEEZNS1_25segmented_radix_sort_implIS3_Lb1EPKS5_PS5_PKlPlN2at6native12_GLOBAL__N_18offset_tEEE10hipError_tPvRmT1_PNSt15iterator_traitsISL_E10value_typeET2_T3_PNSM_ISR_E10value_typeET4_jRbjT5_SX_jjP12ihipStream_tbEUlT_E_NS1_11comp_targetILNS1_3genE10ELNS1_11target_archE1200ELNS1_3gpuE4ELNS1_3repE0EEENS1_30default_config_static_selectorELNS0_4arch9wavefront6targetE1EEEvSL_ ; -- Begin function _ZN7rocprim17ROCPRIM_400000_NS6detail17trampoline_kernelINS0_14default_configENS1_36segmented_radix_sort_config_selectorI6__halflEEZNS1_25segmented_radix_sort_implIS3_Lb1EPKS5_PS5_PKlPlN2at6native12_GLOBAL__N_18offset_tEEE10hipError_tPvRmT1_PNSt15iterator_traitsISL_E10value_typeET2_T3_PNSM_ISR_E10value_typeET4_jRbjT5_SX_jjP12ihipStream_tbEUlT_E_NS1_11comp_targetILNS1_3genE10ELNS1_11target_archE1200ELNS1_3gpuE4ELNS1_3repE0EEENS1_30default_config_static_selectorELNS0_4arch9wavefront6targetE1EEEvSL_
	.p2align	8
	.type	_ZN7rocprim17ROCPRIM_400000_NS6detail17trampoline_kernelINS0_14default_configENS1_36segmented_radix_sort_config_selectorI6__halflEEZNS1_25segmented_radix_sort_implIS3_Lb1EPKS5_PS5_PKlPlN2at6native12_GLOBAL__N_18offset_tEEE10hipError_tPvRmT1_PNSt15iterator_traitsISL_E10value_typeET2_T3_PNSM_ISR_E10value_typeET4_jRbjT5_SX_jjP12ihipStream_tbEUlT_E_NS1_11comp_targetILNS1_3genE10ELNS1_11target_archE1200ELNS1_3gpuE4ELNS1_3repE0EEENS1_30default_config_static_selectorELNS0_4arch9wavefront6targetE1EEEvSL_,@function
_ZN7rocprim17ROCPRIM_400000_NS6detail17trampoline_kernelINS0_14default_configENS1_36segmented_radix_sort_config_selectorI6__halflEEZNS1_25segmented_radix_sort_implIS3_Lb1EPKS5_PS5_PKlPlN2at6native12_GLOBAL__N_18offset_tEEE10hipError_tPvRmT1_PNSt15iterator_traitsISL_E10value_typeET2_T3_PNSM_ISR_E10value_typeET4_jRbjT5_SX_jjP12ihipStream_tbEUlT_E_NS1_11comp_targetILNS1_3genE10ELNS1_11target_archE1200ELNS1_3gpuE4ELNS1_3repE0EEENS1_30default_config_static_selectorELNS0_4arch9wavefront6targetE1EEEvSL_: ; @_ZN7rocprim17ROCPRIM_400000_NS6detail17trampoline_kernelINS0_14default_configENS1_36segmented_radix_sort_config_selectorI6__halflEEZNS1_25segmented_radix_sort_implIS3_Lb1EPKS5_PS5_PKlPlN2at6native12_GLOBAL__N_18offset_tEEE10hipError_tPvRmT1_PNSt15iterator_traitsISL_E10value_typeET2_T3_PNSM_ISR_E10value_typeET4_jRbjT5_SX_jjP12ihipStream_tbEUlT_E_NS1_11comp_targetILNS1_3genE10ELNS1_11target_archE1200ELNS1_3gpuE4ELNS1_3repE0EEENS1_30default_config_static_selectorELNS0_4arch9wavefront6targetE1EEEvSL_
; %bb.0:
	.section	.rodata,"a",@progbits
	.p2align	6, 0x0
	.amdhsa_kernel _ZN7rocprim17ROCPRIM_400000_NS6detail17trampoline_kernelINS0_14default_configENS1_36segmented_radix_sort_config_selectorI6__halflEEZNS1_25segmented_radix_sort_implIS3_Lb1EPKS5_PS5_PKlPlN2at6native12_GLOBAL__N_18offset_tEEE10hipError_tPvRmT1_PNSt15iterator_traitsISL_E10value_typeET2_T3_PNSM_ISR_E10value_typeET4_jRbjT5_SX_jjP12ihipStream_tbEUlT_E_NS1_11comp_targetILNS1_3genE10ELNS1_11target_archE1200ELNS1_3gpuE4ELNS1_3repE0EEENS1_30default_config_static_selectorELNS0_4arch9wavefront6targetE1EEEvSL_
		.amdhsa_group_segment_fixed_size 0
		.amdhsa_private_segment_fixed_size 0
		.amdhsa_kernarg_size 96
		.amdhsa_user_sgpr_count 6
		.amdhsa_user_sgpr_private_segment_buffer 1
		.amdhsa_user_sgpr_dispatch_ptr 0
		.amdhsa_user_sgpr_queue_ptr 0
		.amdhsa_user_sgpr_kernarg_segment_ptr 1
		.amdhsa_user_sgpr_dispatch_id 0
		.amdhsa_user_sgpr_flat_scratch_init 0
		.amdhsa_user_sgpr_private_segment_size 0
		.amdhsa_uses_dynamic_stack 0
		.amdhsa_system_sgpr_private_segment_wavefront_offset 0
		.amdhsa_system_sgpr_workgroup_id_x 1
		.amdhsa_system_sgpr_workgroup_id_y 0
		.amdhsa_system_sgpr_workgroup_id_z 0
		.amdhsa_system_sgpr_workgroup_info 0
		.amdhsa_system_vgpr_workitem_id 0
		.amdhsa_next_free_vgpr 1
		.amdhsa_next_free_sgpr 0
		.amdhsa_reserve_vcc 0
		.amdhsa_reserve_flat_scratch 0
		.amdhsa_float_round_mode_32 0
		.amdhsa_float_round_mode_16_64 0
		.amdhsa_float_denorm_mode_32 3
		.amdhsa_float_denorm_mode_16_64 3
		.amdhsa_dx10_clamp 1
		.amdhsa_ieee_mode 1
		.amdhsa_fp16_overflow 0
		.amdhsa_exception_fp_ieee_invalid_op 0
		.amdhsa_exception_fp_denorm_src 0
		.amdhsa_exception_fp_ieee_div_zero 0
		.amdhsa_exception_fp_ieee_overflow 0
		.amdhsa_exception_fp_ieee_underflow 0
		.amdhsa_exception_fp_ieee_inexact 0
		.amdhsa_exception_int_div_zero 0
	.end_amdhsa_kernel
	.section	.text._ZN7rocprim17ROCPRIM_400000_NS6detail17trampoline_kernelINS0_14default_configENS1_36segmented_radix_sort_config_selectorI6__halflEEZNS1_25segmented_radix_sort_implIS3_Lb1EPKS5_PS5_PKlPlN2at6native12_GLOBAL__N_18offset_tEEE10hipError_tPvRmT1_PNSt15iterator_traitsISL_E10value_typeET2_T3_PNSM_ISR_E10value_typeET4_jRbjT5_SX_jjP12ihipStream_tbEUlT_E_NS1_11comp_targetILNS1_3genE10ELNS1_11target_archE1200ELNS1_3gpuE4ELNS1_3repE0EEENS1_30default_config_static_selectorELNS0_4arch9wavefront6targetE1EEEvSL_,"axG",@progbits,_ZN7rocprim17ROCPRIM_400000_NS6detail17trampoline_kernelINS0_14default_configENS1_36segmented_radix_sort_config_selectorI6__halflEEZNS1_25segmented_radix_sort_implIS3_Lb1EPKS5_PS5_PKlPlN2at6native12_GLOBAL__N_18offset_tEEE10hipError_tPvRmT1_PNSt15iterator_traitsISL_E10value_typeET2_T3_PNSM_ISR_E10value_typeET4_jRbjT5_SX_jjP12ihipStream_tbEUlT_E_NS1_11comp_targetILNS1_3genE10ELNS1_11target_archE1200ELNS1_3gpuE4ELNS1_3repE0EEENS1_30default_config_static_selectorELNS0_4arch9wavefront6targetE1EEEvSL_,comdat
.Lfunc_end1746:
	.size	_ZN7rocprim17ROCPRIM_400000_NS6detail17trampoline_kernelINS0_14default_configENS1_36segmented_radix_sort_config_selectorI6__halflEEZNS1_25segmented_radix_sort_implIS3_Lb1EPKS5_PS5_PKlPlN2at6native12_GLOBAL__N_18offset_tEEE10hipError_tPvRmT1_PNSt15iterator_traitsISL_E10value_typeET2_T3_PNSM_ISR_E10value_typeET4_jRbjT5_SX_jjP12ihipStream_tbEUlT_E_NS1_11comp_targetILNS1_3genE10ELNS1_11target_archE1200ELNS1_3gpuE4ELNS1_3repE0EEENS1_30default_config_static_selectorELNS0_4arch9wavefront6targetE1EEEvSL_, .Lfunc_end1746-_ZN7rocprim17ROCPRIM_400000_NS6detail17trampoline_kernelINS0_14default_configENS1_36segmented_radix_sort_config_selectorI6__halflEEZNS1_25segmented_radix_sort_implIS3_Lb1EPKS5_PS5_PKlPlN2at6native12_GLOBAL__N_18offset_tEEE10hipError_tPvRmT1_PNSt15iterator_traitsISL_E10value_typeET2_T3_PNSM_ISR_E10value_typeET4_jRbjT5_SX_jjP12ihipStream_tbEUlT_E_NS1_11comp_targetILNS1_3genE10ELNS1_11target_archE1200ELNS1_3gpuE4ELNS1_3repE0EEENS1_30default_config_static_selectorELNS0_4arch9wavefront6targetE1EEEvSL_
                                        ; -- End function
	.set _ZN7rocprim17ROCPRIM_400000_NS6detail17trampoline_kernelINS0_14default_configENS1_36segmented_radix_sort_config_selectorI6__halflEEZNS1_25segmented_radix_sort_implIS3_Lb1EPKS5_PS5_PKlPlN2at6native12_GLOBAL__N_18offset_tEEE10hipError_tPvRmT1_PNSt15iterator_traitsISL_E10value_typeET2_T3_PNSM_ISR_E10value_typeET4_jRbjT5_SX_jjP12ihipStream_tbEUlT_E_NS1_11comp_targetILNS1_3genE10ELNS1_11target_archE1200ELNS1_3gpuE4ELNS1_3repE0EEENS1_30default_config_static_selectorELNS0_4arch9wavefront6targetE1EEEvSL_.num_vgpr, 0
	.set _ZN7rocprim17ROCPRIM_400000_NS6detail17trampoline_kernelINS0_14default_configENS1_36segmented_radix_sort_config_selectorI6__halflEEZNS1_25segmented_radix_sort_implIS3_Lb1EPKS5_PS5_PKlPlN2at6native12_GLOBAL__N_18offset_tEEE10hipError_tPvRmT1_PNSt15iterator_traitsISL_E10value_typeET2_T3_PNSM_ISR_E10value_typeET4_jRbjT5_SX_jjP12ihipStream_tbEUlT_E_NS1_11comp_targetILNS1_3genE10ELNS1_11target_archE1200ELNS1_3gpuE4ELNS1_3repE0EEENS1_30default_config_static_selectorELNS0_4arch9wavefront6targetE1EEEvSL_.num_agpr, 0
	.set _ZN7rocprim17ROCPRIM_400000_NS6detail17trampoline_kernelINS0_14default_configENS1_36segmented_radix_sort_config_selectorI6__halflEEZNS1_25segmented_radix_sort_implIS3_Lb1EPKS5_PS5_PKlPlN2at6native12_GLOBAL__N_18offset_tEEE10hipError_tPvRmT1_PNSt15iterator_traitsISL_E10value_typeET2_T3_PNSM_ISR_E10value_typeET4_jRbjT5_SX_jjP12ihipStream_tbEUlT_E_NS1_11comp_targetILNS1_3genE10ELNS1_11target_archE1200ELNS1_3gpuE4ELNS1_3repE0EEENS1_30default_config_static_selectorELNS0_4arch9wavefront6targetE1EEEvSL_.numbered_sgpr, 0
	.set _ZN7rocprim17ROCPRIM_400000_NS6detail17trampoline_kernelINS0_14default_configENS1_36segmented_radix_sort_config_selectorI6__halflEEZNS1_25segmented_radix_sort_implIS3_Lb1EPKS5_PS5_PKlPlN2at6native12_GLOBAL__N_18offset_tEEE10hipError_tPvRmT1_PNSt15iterator_traitsISL_E10value_typeET2_T3_PNSM_ISR_E10value_typeET4_jRbjT5_SX_jjP12ihipStream_tbEUlT_E_NS1_11comp_targetILNS1_3genE10ELNS1_11target_archE1200ELNS1_3gpuE4ELNS1_3repE0EEENS1_30default_config_static_selectorELNS0_4arch9wavefront6targetE1EEEvSL_.num_named_barrier, 0
	.set _ZN7rocprim17ROCPRIM_400000_NS6detail17trampoline_kernelINS0_14default_configENS1_36segmented_radix_sort_config_selectorI6__halflEEZNS1_25segmented_radix_sort_implIS3_Lb1EPKS5_PS5_PKlPlN2at6native12_GLOBAL__N_18offset_tEEE10hipError_tPvRmT1_PNSt15iterator_traitsISL_E10value_typeET2_T3_PNSM_ISR_E10value_typeET4_jRbjT5_SX_jjP12ihipStream_tbEUlT_E_NS1_11comp_targetILNS1_3genE10ELNS1_11target_archE1200ELNS1_3gpuE4ELNS1_3repE0EEENS1_30default_config_static_selectorELNS0_4arch9wavefront6targetE1EEEvSL_.private_seg_size, 0
	.set _ZN7rocprim17ROCPRIM_400000_NS6detail17trampoline_kernelINS0_14default_configENS1_36segmented_radix_sort_config_selectorI6__halflEEZNS1_25segmented_radix_sort_implIS3_Lb1EPKS5_PS5_PKlPlN2at6native12_GLOBAL__N_18offset_tEEE10hipError_tPvRmT1_PNSt15iterator_traitsISL_E10value_typeET2_T3_PNSM_ISR_E10value_typeET4_jRbjT5_SX_jjP12ihipStream_tbEUlT_E_NS1_11comp_targetILNS1_3genE10ELNS1_11target_archE1200ELNS1_3gpuE4ELNS1_3repE0EEENS1_30default_config_static_selectorELNS0_4arch9wavefront6targetE1EEEvSL_.uses_vcc, 0
	.set _ZN7rocprim17ROCPRIM_400000_NS6detail17trampoline_kernelINS0_14default_configENS1_36segmented_radix_sort_config_selectorI6__halflEEZNS1_25segmented_radix_sort_implIS3_Lb1EPKS5_PS5_PKlPlN2at6native12_GLOBAL__N_18offset_tEEE10hipError_tPvRmT1_PNSt15iterator_traitsISL_E10value_typeET2_T3_PNSM_ISR_E10value_typeET4_jRbjT5_SX_jjP12ihipStream_tbEUlT_E_NS1_11comp_targetILNS1_3genE10ELNS1_11target_archE1200ELNS1_3gpuE4ELNS1_3repE0EEENS1_30default_config_static_selectorELNS0_4arch9wavefront6targetE1EEEvSL_.uses_flat_scratch, 0
	.set _ZN7rocprim17ROCPRIM_400000_NS6detail17trampoline_kernelINS0_14default_configENS1_36segmented_radix_sort_config_selectorI6__halflEEZNS1_25segmented_radix_sort_implIS3_Lb1EPKS5_PS5_PKlPlN2at6native12_GLOBAL__N_18offset_tEEE10hipError_tPvRmT1_PNSt15iterator_traitsISL_E10value_typeET2_T3_PNSM_ISR_E10value_typeET4_jRbjT5_SX_jjP12ihipStream_tbEUlT_E_NS1_11comp_targetILNS1_3genE10ELNS1_11target_archE1200ELNS1_3gpuE4ELNS1_3repE0EEENS1_30default_config_static_selectorELNS0_4arch9wavefront6targetE1EEEvSL_.has_dyn_sized_stack, 0
	.set _ZN7rocprim17ROCPRIM_400000_NS6detail17trampoline_kernelINS0_14default_configENS1_36segmented_radix_sort_config_selectorI6__halflEEZNS1_25segmented_radix_sort_implIS3_Lb1EPKS5_PS5_PKlPlN2at6native12_GLOBAL__N_18offset_tEEE10hipError_tPvRmT1_PNSt15iterator_traitsISL_E10value_typeET2_T3_PNSM_ISR_E10value_typeET4_jRbjT5_SX_jjP12ihipStream_tbEUlT_E_NS1_11comp_targetILNS1_3genE10ELNS1_11target_archE1200ELNS1_3gpuE4ELNS1_3repE0EEENS1_30default_config_static_selectorELNS0_4arch9wavefront6targetE1EEEvSL_.has_recursion, 0
	.set _ZN7rocprim17ROCPRIM_400000_NS6detail17trampoline_kernelINS0_14default_configENS1_36segmented_radix_sort_config_selectorI6__halflEEZNS1_25segmented_radix_sort_implIS3_Lb1EPKS5_PS5_PKlPlN2at6native12_GLOBAL__N_18offset_tEEE10hipError_tPvRmT1_PNSt15iterator_traitsISL_E10value_typeET2_T3_PNSM_ISR_E10value_typeET4_jRbjT5_SX_jjP12ihipStream_tbEUlT_E_NS1_11comp_targetILNS1_3genE10ELNS1_11target_archE1200ELNS1_3gpuE4ELNS1_3repE0EEENS1_30default_config_static_selectorELNS0_4arch9wavefront6targetE1EEEvSL_.has_indirect_call, 0
	.section	.AMDGPU.csdata,"",@progbits
; Kernel info:
; codeLenInByte = 0
; TotalNumSgprs: 4
; NumVgprs: 0
; ScratchSize: 0
; MemoryBound: 0
; FloatMode: 240
; IeeeMode: 1
; LDSByteSize: 0 bytes/workgroup (compile time only)
; SGPRBlocks: 0
; VGPRBlocks: 0
; NumSGPRsForWavesPerEU: 4
; NumVGPRsForWavesPerEU: 1
; Occupancy: 10
; WaveLimiterHint : 0
; COMPUTE_PGM_RSRC2:SCRATCH_EN: 0
; COMPUTE_PGM_RSRC2:USER_SGPR: 6
; COMPUTE_PGM_RSRC2:TRAP_HANDLER: 0
; COMPUTE_PGM_RSRC2:TGID_X_EN: 1
; COMPUTE_PGM_RSRC2:TGID_Y_EN: 0
; COMPUTE_PGM_RSRC2:TGID_Z_EN: 0
; COMPUTE_PGM_RSRC2:TIDIG_COMP_CNT: 0
	.section	.text._ZN7rocprim17ROCPRIM_400000_NS6detail17trampoline_kernelINS0_14default_configENS1_36segmented_radix_sort_config_selectorI6__halflEEZNS1_25segmented_radix_sort_implIS3_Lb1EPKS5_PS5_PKlPlN2at6native12_GLOBAL__N_18offset_tEEE10hipError_tPvRmT1_PNSt15iterator_traitsISL_E10value_typeET2_T3_PNSM_ISR_E10value_typeET4_jRbjT5_SX_jjP12ihipStream_tbEUlT_E_NS1_11comp_targetILNS1_3genE9ELNS1_11target_archE1100ELNS1_3gpuE3ELNS1_3repE0EEENS1_30default_config_static_selectorELNS0_4arch9wavefront6targetE1EEEvSL_,"axG",@progbits,_ZN7rocprim17ROCPRIM_400000_NS6detail17trampoline_kernelINS0_14default_configENS1_36segmented_radix_sort_config_selectorI6__halflEEZNS1_25segmented_radix_sort_implIS3_Lb1EPKS5_PS5_PKlPlN2at6native12_GLOBAL__N_18offset_tEEE10hipError_tPvRmT1_PNSt15iterator_traitsISL_E10value_typeET2_T3_PNSM_ISR_E10value_typeET4_jRbjT5_SX_jjP12ihipStream_tbEUlT_E_NS1_11comp_targetILNS1_3genE9ELNS1_11target_archE1100ELNS1_3gpuE3ELNS1_3repE0EEENS1_30default_config_static_selectorELNS0_4arch9wavefront6targetE1EEEvSL_,comdat
	.globl	_ZN7rocprim17ROCPRIM_400000_NS6detail17trampoline_kernelINS0_14default_configENS1_36segmented_radix_sort_config_selectorI6__halflEEZNS1_25segmented_radix_sort_implIS3_Lb1EPKS5_PS5_PKlPlN2at6native12_GLOBAL__N_18offset_tEEE10hipError_tPvRmT1_PNSt15iterator_traitsISL_E10value_typeET2_T3_PNSM_ISR_E10value_typeET4_jRbjT5_SX_jjP12ihipStream_tbEUlT_E_NS1_11comp_targetILNS1_3genE9ELNS1_11target_archE1100ELNS1_3gpuE3ELNS1_3repE0EEENS1_30default_config_static_selectorELNS0_4arch9wavefront6targetE1EEEvSL_ ; -- Begin function _ZN7rocprim17ROCPRIM_400000_NS6detail17trampoline_kernelINS0_14default_configENS1_36segmented_radix_sort_config_selectorI6__halflEEZNS1_25segmented_radix_sort_implIS3_Lb1EPKS5_PS5_PKlPlN2at6native12_GLOBAL__N_18offset_tEEE10hipError_tPvRmT1_PNSt15iterator_traitsISL_E10value_typeET2_T3_PNSM_ISR_E10value_typeET4_jRbjT5_SX_jjP12ihipStream_tbEUlT_E_NS1_11comp_targetILNS1_3genE9ELNS1_11target_archE1100ELNS1_3gpuE3ELNS1_3repE0EEENS1_30default_config_static_selectorELNS0_4arch9wavefront6targetE1EEEvSL_
	.p2align	8
	.type	_ZN7rocprim17ROCPRIM_400000_NS6detail17trampoline_kernelINS0_14default_configENS1_36segmented_radix_sort_config_selectorI6__halflEEZNS1_25segmented_radix_sort_implIS3_Lb1EPKS5_PS5_PKlPlN2at6native12_GLOBAL__N_18offset_tEEE10hipError_tPvRmT1_PNSt15iterator_traitsISL_E10value_typeET2_T3_PNSM_ISR_E10value_typeET4_jRbjT5_SX_jjP12ihipStream_tbEUlT_E_NS1_11comp_targetILNS1_3genE9ELNS1_11target_archE1100ELNS1_3gpuE3ELNS1_3repE0EEENS1_30default_config_static_selectorELNS0_4arch9wavefront6targetE1EEEvSL_,@function
_ZN7rocprim17ROCPRIM_400000_NS6detail17trampoline_kernelINS0_14default_configENS1_36segmented_radix_sort_config_selectorI6__halflEEZNS1_25segmented_radix_sort_implIS3_Lb1EPKS5_PS5_PKlPlN2at6native12_GLOBAL__N_18offset_tEEE10hipError_tPvRmT1_PNSt15iterator_traitsISL_E10value_typeET2_T3_PNSM_ISR_E10value_typeET4_jRbjT5_SX_jjP12ihipStream_tbEUlT_E_NS1_11comp_targetILNS1_3genE9ELNS1_11target_archE1100ELNS1_3gpuE3ELNS1_3repE0EEENS1_30default_config_static_selectorELNS0_4arch9wavefront6targetE1EEEvSL_: ; @_ZN7rocprim17ROCPRIM_400000_NS6detail17trampoline_kernelINS0_14default_configENS1_36segmented_radix_sort_config_selectorI6__halflEEZNS1_25segmented_radix_sort_implIS3_Lb1EPKS5_PS5_PKlPlN2at6native12_GLOBAL__N_18offset_tEEE10hipError_tPvRmT1_PNSt15iterator_traitsISL_E10value_typeET2_T3_PNSM_ISR_E10value_typeET4_jRbjT5_SX_jjP12ihipStream_tbEUlT_E_NS1_11comp_targetILNS1_3genE9ELNS1_11target_archE1100ELNS1_3gpuE3ELNS1_3repE0EEENS1_30default_config_static_selectorELNS0_4arch9wavefront6targetE1EEEvSL_
; %bb.0:
	.section	.rodata,"a",@progbits
	.p2align	6, 0x0
	.amdhsa_kernel _ZN7rocprim17ROCPRIM_400000_NS6detail17trampoline_kernelINS0_14default_configENS1_36segmented_radix_sort_config_selectorI6__halflEEZNS1_25segmented_radix_sort_implIS3_Lb1EPKS5_PS5_PKlPlN2at6native12_GLOBAL__N_18offset_tEEE10hipError_tPvRmT1_PNSt15iterator_traitsISL_E10value_typeET2_T3_PNSM_ISR_E10value_typeET4_jRbjT5_SX_jjP12ihipStream_tbEUlT_E_NS1_11comp_targetILNS1_3genE9ELNS1_11target_archE1100ELNS1_3gpuE3ELNS1_3repE0EEENS1_30default_config_static_selectorELNS0_4arch9wavefront6targetE1EEEvSL_
		.amdhsa_group_segment_fixed_size 0
		.amdhsa_private_segment_fixed_size 0
		.amdhsa_kernarg_size 96
		.amdhsa_user_sgpr_count 6
		.amdhsa_user_sgpr_private_segment_buffer 1
		.amdhsa_user_sgpr_dispatch_ptr 0
		.amdhsa_user_sgpr_queue_ptr 0
		.amdhsa_user_sgpr_kernarg_segment_ptr 1
		.amdhsa_user_sgpr_dispatch_id 0
		.amdhsa_user_sgpr_flat_scratch_init 0
		.amdhsa_user_sgpr_private_segment_size 0
		.amdhsa_uses_dynamic_stack 0
		.amdhsa_system_sgpr_private_segment_wavefront_offset 0
		.amdhsa_system_sgpr_workgroup_id_x 1
		.amdhsa_system_sgpr_workgroup_id_y 0
		.amdhsa_system_sgpr_workgroup_id_z 0
		.amdhsa_system_sgpr_workgroup_info 0
		.amdhsa_system_vgpr_workitem_id 0
		.amdhsa_next_free_vgpr 1
		.amdhsa_next_free_sgpr 0
		.amdhsa_reserve_vcc 0
		.amdhsa_reserve_flat_scratch 0
		.amdhsa_float_round_mode_32 0
		.amdhsa_float_round_mode_16_64 0
		.amdhsa_float_denorm_mode_32 3
		.amdhsa_float_denorm_mode_16_64 3
		.amdhsa_dx10_clamp 1
		.amdhsa_ieee_mode 1
		.amdhsa_fp16_overflow 0
		.amdhsa_exception_fp_ieee_invalid_op 0
		.amdhsa_exception_fp_denorm_src 0
		.amdhsa_exception_fp_ieee_div_zero 0
		.amdhsa_exception_fp_ieee_overflow 0
		.amdhsa_exception_fp_ieee_underflow 0
		.amdhsa_exception_fp_ieee_inexact 0
		.amdhsa_exception_int_div_zero 0
	.end_amdhsa_kernel
	.section	.text._ZN7rocprim17ROCPRIM_400000_NS6detail17trampoline_kernelINS0_14default_configENS1_36segmented_radix_sort_config_selectorI6__halflEEZNS1_25segmented_radix_sort_implIS3_Lb1EPKS5_PS5_PKlPlN2at6native12_GLOBAL__N_18offset_tEEE10hipError_tPvRmT1_PNSt15iterator_traitsISL_E10value_typeET2_T3_PNSM_ISR_E10value_typeET4_jRbjT5_SX_jjP12ihipStream_tbEUlT_E_NS1_11comp_targetILNS1_3genE9ELNS1_11target_archE1100ELNS1_3gpuE3ELNS1_3repE0EEENS1_30default_config_static_selectorELNS0_4arch9wavefront6targetE1EEEvSL_,"axG",@progbits,_ZN7rocprim17ROCPRIM_400000_NS6detail17trampoline_kernelINS0_14default_configENS1_36segmented_radix_sort_config_selectorI6__halflEEZNS1_25segmented_radix_sort_implIS3_Lb1EPKS5_PS5_PKlPlN2at6native12_GLOBAL__N_18offset_tEEE10hipError_tPvRmT1_PNSt15iterator_traitsISL_E10value_typeET2_T3_PNSM_ISR_E10value_typeET4_jRbjT5_SX_jjP12ihipStream_tbEUlT_E_NS1_11comp_targetILNS1_3genE9ELNS1_11target_archE1100ELNS1_3gpuE3ELNS1_3repE0EEENS1_30default_config_static_selectorELNS0_4arch9wavefront6targetE1EEEvSL_,comdat
.Lfunc_end1747:
	.size	_ZN7rocprim17ROCPRIM_400000_NS6detail17trampoline_kernelINS0_14default_configENS1_36segmented_radix_sort_config_selectorI6__halflEEZNS1_25segmented_radix_sort_implIS3_Lb1EPKS5_PS5_PKlPlN2at6native12_GLOBAL__N_18offset_tEEE10hipError_tPvRmT1_PNSt15iterator_traitsISL_E10value_typeET2_T3_PNSM_ISR_E10value_typeET4_jRbjT5_SX_jjP12ihipStream_tbEUlT_E_NS1_11comp_targetILNS1_3genE9ELNS1_11target_archE1100ELNS1_3gpuE3ELNS1_3repE0EEENS1_30default_config_static_selectorELNS0_4arch9wavefront6targetE1EEEvSL_, .Lfunc_end1747-_ZN7rocprim17ROCPRIM_400000_NS6detail17trampoline_kernelINS0_14default_configENS1_36segmented_radix_sort_config_selectorI6__halflEEZNS1_25segmented_radix_sort_implIS3_Lb1EPKS5_PS5_PKlPlN2at6native12_GLOBAL__N_18offset_tEEE10hipError_tPvRmT1_PNSt15iterator_traitsISL_E10value_typeET2_T3_PNSM_ISR_E10value_typeET4_jRbjT5_SX_jjP12ihipStream_tbEUlT_E_NS1_11comp_targetILNS1_3genE9ELNS1_11target_archE1100ELNS1_3gpuE3ELNS1_3repE0EEENS1_30default_config_static_selectorELNS0_4arch9wavefront6targetE1EEEvSL_
                                        ; -- End function
	.set _ZN7rocprim17ROCPRIM_400000_NS6detail17trampoline_kernelINS0_14default_configENS1_36segmented_radix_sort_config_selectorI6__halflEEZNS1_25segmented_radix_sort_implIS3_Lb1EPKS5_PS5_PKlPlN2at6native12_GLOBAL__N_18offset_tEEE10hipError_tPvRmT1_PNSt15iterator_traitsISL_E10value_typeET2_T3_PNSM_ISR_E10value_typeET4_jRbjT5_SX_jjP12ihipStream_tbEUlT_E_NS1_11comp_targetILNS1_3genE9ELNS1_11target_archE1100ELNS1_3gpuE3ELNS1_3repE0EEENS1_30default_config_static_selectorELNS0_4arch9wavefront6targetE1EEEvSL_.num_vgpr, 0
	.set _ZN7rocprim17ROCPRIM_400000_NS6detail17trampoline_kernelINS0_14default_configENS1_36segmented_radix_sort_config_selectorI6__halflEEZNS1_25segmented_radix_sort_implIS3_Lb1EPKS5_PS5_PKlPlN2at6native12_GLOBAL__N_18offset_tEEE10hipError_tPvRmT1_PNSt15iterator_traitsISL_E10value_typeET2_T3_PNSM_ISR_E10value_typeET4_jRbjT5_SX_jjP12ihipStream_tbEUlT_E_NS1_11comp_targetILNS1_3genE9ELNS1_11target_archE1100ELNS1_3gpuE3ELNS1_3repE0EEENS1_30default_config_static_selectorELNS0_4arch9wavefront6targetE1EEEvSL_.num_agpr, 0
	.set _ZN7rocprim17ROCPRIM_400000_NS6detail17trampoline_kernelINS0_14default_configENS1_36segmented_radix_sort_config_selectorI6__halflEEZNS1_25segmented_radix_sort_implIS3_Lb1EPKS5_PS5_PKlPlN2at6native12_GLOBAL__N_18offset_tEEE10hipError_tPvRmT1_PNSt15iterator_traitsISL_E10value_typeET2_T3_PNSM_ISR_E10value_typeET4_jRbjT5_SX_jjP12ihipStream_tbEUlT_E_NS1_11comp_targetILNS1_3genE9ELNS1_11target_archE1100ELNS1_3gpuE3ELNS1_3repE0EEENS1_30default_config_static_selectorELNS0_4arch9wavefront6targetE1EEEvSL_.numbered_sgpr, 0
	.set _ZN7rocprim17ROCPRIM_400000_NS6detail17trampoline_kernelINS0_14default_configENS1_36segmented_radix_sort_config_selectorI6__halflEEZNS1_25segmented_radix_sort_implIS3_Lb1EPKS5_PS5_PKlPlN2at6native12_GLOBAL__N_18offset_tEEE10hipError_tPvRmT1_PNSt15iterator_traitsISL_E10value_typeET2_T3_PNSM_ISR_E10value_typeET4_jRbjT5_SX_jjP12ihipStream_tbEUlT_E_NS1_11comp_targetILNS1_3genE9ELNS1_11target_archE1100ELNS1_3gpuE3ELNS1_3repE0EEENS1_30default_config_static_selectorELNS0_4arch9wavefront6targetE1EEEvSL_.num_named_barrier, 0
	.set _ZN7rocprim17ROCPRIM_400000_NS6detail17trampoline_kernelINS0_14default_configENS1_36segmented_radix_sort_config_selectorI6__halflEEZNS1_25segmented_radix_sort_implIS3_Lb1EPKS5_PS5_PKlPlN2at6native12_GLOBAL__N_18offset_tEEE10hipError_tPvRmT1_PNSt15iterator_traitsISL_E10value_typeET2_T3_PNSM_ISR_E10value_typeET4_jRbjT5_SX_jjP12ihipStream_tbEUlT_E_NS1_11comp_targetILNS1_3genE9ELNS1_11target_archE1100ELNS1_3gpuE3ELNS1_3repE0EEENS1_30default_config_static_selectorELNS0_4arch9wavefront6targetE1EEEvSL_.private_seg_size, 0
	.set _ZN7rocprim17ROCPRIM_400000_NS6detail17trampoline_kernelINS0_14default_configENS1_36segmented_radix_sort_config_selectorI6__halflEEZNS1_25segmented_radix_sort_implIS3_Lb1EPKS5_PS5_PKlPlN2at6native12_GLOBAL__N_18offset_tEEE10hipError_tPvRmT1_PNSt15iterator_traitsISL_E10value_typeET2_T3_PNSM_ISR_E10value_typeET4_jRbjT5_SX_jjP12ihipStream_tbEUlT_E_NS1_11comp_targetILNS1_3genE9ELNS1_11target_archE1100ELNS1_3gpuE3ELNS1_3repE0EEENS1_30default_config_static_selectorELNS0_4arch9wavefront6targetE1EEEvSL_.uses_vcc, 0
	.set _ZN7rocprim17ROCPRIM_400000_NS6detail17trampoline_kernelINS0_14default_configENS1_36segmented_radix_sort_config_selectorI6__halflEEZNS1_25segmented_radix_sort_implIS3_Lb1EPKS5_PS5_PKlPlN2at6native12_GLOBAL__N_18offset_tEEE10hipError_tPvRmT1_PNSt15iterator_traitsISL_E10value_typeET2_T3_PNSM_ISR_E10value_typeET4_jRbjT5_SX_jjP12ihipStream_tbEUlT_E_NS1_11comp_targetILNS1_3genE9ELNS1_11target_archE1100ELNS1_3gpuE3ELNS1_3repE0EEENS1_30default_config_static_selectorELNS0_4arch9wavefront6targetE1EEEvSL_.uses_flat_scratch, 0
	.set _ZN7rocprim17ROCPRIM_400000_NS6detail17trampoline_kernelINS0_14default_configENS1_36segmented_radix_sort_config_selectorI6__halflEEZNS1_25segmented_radix_sort_implIS3_Lb1EPKS5_PS5_PKlPlN2at6native12_GLOBAL__N_18offset_tEEE10hipError_tPvRmT1_PNSt15iterator_traitsISL_E10value_typeET2_T3_PNSM_ISR_E10value_typeET4_jRbjT5_SX_jjP12ihipStream_tbEUlT_E_NS1_11comp_targetILNS1_3genE9ELNS1_11target_archE1100ELNS1_3gpuE3ELNS1_3repE0EEENS1_30default_config_static_selectorELNS0_4arch9wavefront6targetE1EEEvSL_.has_dyn_sized_stack, 0
	.set _ZN7rocprim17ROCPRIM_400000_NS6detail17trampoline_kernelINS0_14default_configENS1_36segmented_radix_sort_config_selectorI6__halflEEZNS1_25segmented_radix_sort_implIS3_Lb1EPKS5_PS5_PKlPlN2at6native12_GLOBAL__N_18offset_tEEE10hipError_tPvRmT1_PNSt15iterator_traitsISL_E10value_typeET2_T3_PNSM_ISR_E10value_typeET4_jRbjT5_SX_jjP12ihipStream_tbEUlT_E_NS1_11comp_targetILNS1_3genE9ELNS1_11target_archE1100ELNS1_3gpuE3ELNS1_3repE0EEENS1_30default_config_static_selectorELNS0_4arch9wavefront6targetE1EEEvSL_.has_recursion, 0
	.set _ZN7rocprim17ROCPRIM_400000_NS6detail17trampoline_kernelINS0_14default_configENS1_36segmented_radix_sort_config_selectorI6__halflEEZNS1_25segmented_radix_sort_implIS3_Lb1EPKS5_PS5_PKlPlN2at6native12_GLOBAL__N_18offset_tEEE10hipError_tPvRmT1_PNSt15iterator_traitsISL_E10value_typeET2_T3_PNSM_ISR_E10value_typeET4_jRbjT5_SX_jjP12ihipStream_tbEUlT_E_NS1_11comp_targetILNS1_3genE9ELNS1_11target_archE1100ELNS1_3gpuE3ELNS1_3repE0EEENS1_30default_config_static_selectorELNS0_4arch9wavefront6targetE1EEEvSL_.has_indirect_call, 0
	.section	.AMDGPU.csdata,"",@progbits
; Kernel info:
; codeLenInByte = 0
; TotalNumSgprs: 4
; NumVgprs: 0
; ScratchSize: 0
; MemoryBound: 0
; FloatMode: 240
; IeeeMode: 1
; LDSByteSize: 0 bytes/workgroup (compile time only)
; SGPRBlocks: 0
; VGPRBlocks: 0
; NumSGPRsForWavesPerEU: 4
; NumVGPRsForWavesPerEU: 1
; Occupancy: 10
; WaveLimiterHint : 0
; COMPUTE_PGM_RSRC2:SCRATCH_EN: 0
; COMPUTE_PGM_RSRC2:USER_SGPR: 6
; COMPUTE_PGM_RSRC2:TRAP_HANDLER: 0
; COMPUTE_PGM_RSRC2:TGID_X_EN: 1
; COMPUTE_PGM_RSRC2:TGID_Y_EN: 0
; COMPUTE_PGM_RSRC2:TGID_Z_EN: 0
; COMPUTE_PGM_RSRC2:TIDIG_COMP_CNT: 0
	.section	.text._ZN7rocprim17ROCPRIM_400000_NS6detail17trampoline_kernelINS0_14default_configENS1_36segmented_radix_sort_config_selectorI6__halflEEZNS1_25segmented_radix_sort_implIS3_Lb1EPKS5_PS5_PKlPlN2at6native12_GLOBAL__N_18offset_tEEE10hipError_tPvRmT1_PNSt15iterator_traitsISL_E10value_typeET2_T3_PNSM_ISR_E10value_typeET4_jRbjT5_SX_jjP12ihipStream_tbEUlT_E_NS1_11comp_targetILNS1_3genE8ELNS1_11target_archE1030ELNS1_3gpuE2ELNS1_3repE0EEENS1_30default_config_static_selectorELNS0_4arch9wavefront6targetE1EEEvSL_,"axG",@progbits,_ZN7rocprim17ROCPRIM_400000_NS6detail17trampoline_kernelINS0_14default_configENS1_36segmented_radix_sort_config_selectorI6__halflEEZNS1_25segmented_radix_sort_implIS3_Lb1EPKS5_PS5_PKlPlN2at6native12_GLOBAL__N_18offset_tEEE10hipError_tPvRmT1_PNSt15iterator_traitsISL_E10value_typeET2_T3_PNSM_ISR_E10value_typeET4_jRbjT5_SX_jjP12ihipStream_tbEUlT_E_NS1_11comp_targetILNS1_3genE8ELNS1_11target_archE1030ELNS1_3gpuE2ELNS1_3repE0EEENS1_30default_config_static_selectorELNS0_4arch9wavefront6targetE1EEEvSL_,comdat
	.globl	_ZN7rocprim17ROCPRIM_400000_NS6detail17trampoline_kernelINS0_14default_configENS1_36segmented_radix_sort_config_selectorI6__halflEEZNS1_25segmented_radix_sort_implIS3_Lb1EPKS5_PS5_PKlPlN2at6native12_GLOBAL__N_18offset_tEEE10hipError_tPvRmT1_PNSt15iterator_traitsISL_E10value_typeET2_T3_PNSM_ISR_E10value_typeET4_jRbjT5_SX_jjP12ihipStream_tbEUlT_E_NS1_11comp_targetILNS1_3genE8ELNS1_11target_archE1030ELNS1_3gpuE2ELNS1_3repE0EEENS1_30default_config_static_selectorELNS0_4arch9wavefront6targetE1EEEvSL_ ; -- Begin function _ZN7rocprim17ROCPRIM_400000_NS6detail17trampoline_kernelINS0_14default_configENS1_36segmented_radix_sort_config_selectorI6__halflEEZNS1_25segmented_radix_sort_implIS3_Lb1EPKS5_PS5_PKlPlN2at6native12_GLOBAL__N_18offset_tEEE10hipError_tPvRmT1_PNSt15iterator_traitsISL_E10value_typeET2_T3_PNSM_ISR_E10value_typeET4_jRbjT5_SX_jjP12ihipStream_tbEUlT_E_NS1_11comp_targetILNS1_3genE8ELNS1_11target_archE1030ELNS1_3gpuE2ELNS1_3repE0EEENS1_30default_config_static_selectorELNS0_4arch9wavefront6targetE1EEEvSL_
	.p2align	8
	.type	_ZN7rocprim17ROCPRIM_400000_NS6detail17trampoline_kernelINS0_14default_configENS1_36segmented_radix_sort_config_selectorI6__halflEEZNS1_25segmented_radix_sort_implIS3_Lb1EPKS5_PS5_PKlPlN2at6native12_GLOBAL__N_18offset_tEEE10hipError_tPvRmT1_PNSt15iterator_traitsISL_E10value_typeET2_T3_PNSM_ISR_E10value_typeET4_jRbjT5_SX_jjP12ihipStream_tbEUlT_E_NS1_11comp_targetILNS1_3genE8ELNS1_11target_archE1030ELNS1_3gpuE2ELNS1_3repE0EEENS1_30default_config_static_selectorELNS0_4arch9wavefront6targetE1EEEvSL_,@function
_ZN7rocprim17ROCPRIM_400000_NS6detail17trampoline_kernelINS0_14default_configENS1_36segmented_radix_sort_config_selectorI6__halflEEZNS1_25segmented_radix_sort_implIS3_Lb1EPKS5_PS5_PKlPlN2at6native12_GLOBAL__N_18offset_tEEE10hipError_tPvRmT1_PNSt15iterator_traitsISL_E10value_typeET2_T3_PNSM_ISR_E10value_typeET4_jRbjT5_SX_jjP12ihipStream_tbEUlT_E_NS1_11comp_targetILNS1_3genE8ELNS1_11target_archE1030ELNS1_3gpuE2ELNS1_3repE0EEENS1_30default_config_static_selectorELNS0_4arch9wavefront6targetE1EEEvSL_: ; @_ZN7rocprim17ROCPRIM_400000_NS6detail17trampoline_kernelINS0_14default_configENS1_36segmented_radix_sort_config_selectorI6__halflEEZNS1_25segmented_radix_sort_implIS3_Lb1EPKS5_PS5_PKlPlN2at6native12_GLOBAL__N_18offset_tEEE10hipError_tPvRmT1_PNSt15iterator_traitsISL_E10value_typeET2_T3_PNSM_ISR_E10value_typeET4_jRbjT5_SX_jjP12ihipStream_tbEUlT_E_NS1_11comp_targetILNS1_3genE8ELNS1_11target_archE1030ELNS1_3gpuE2ELNS1_3repE0EEENS1_30default_config_static_selectorELNS0_4arch9wavefront6targetE1EEEvSL_
; %bb.0:
	.section	.rodata,"a",@progbits
	.p2align	6, 0x0
	.amdhsa_kernel _ZN7rocprim17ROCPRIM_400000_NS6detail17trampoline_kernelINS0_14default_configENS1_36segmented_radix_sort_config_selectorI6__halflEEZNS1_25segmented_radix_sort_implIS3_Lb1EPKS5_PS5_PKlPlN2at6native12_GLOBAL__N_18offset_tEEE10hipError_tPvRmT1_PNSt15iterator_traitsISL_E10value_typeET2_T3_PNSM_ISR_E10value_typeET4_jRbjT5_SX_jjP12ihipStream_tbEUlT_E_NS1_11comp_targetILNS1_3genE8ELNS1_11target_archE1030ELNS1_3gpuE2ELNS1_3repE0EEENS1_30default_config_static_selectorELNS0_4arch9wavefront6targetE1EEEvSL_
		.amdhsa_group_segment_fixed_size 0
		.amdhsa_private_segment_fixed_size 0
		.amdhsa_kernarg_size 96
		.amdhsa_user_sgpr_count 6
		.amdhsa_user_sgpr_private_segment_buffer 1
		.amdhsa_user_sgpr_dispatch_ptr 0
		.amdhsa_user_sgpr_queue_ptr 0
		.amdhsa_user_sgpr_kernarg_segment_ptr 1
		.amdhsa_user_sgpr_dispatch_id 0
		.amdhsa_user_sgpr_flat_scratch_init 0
		.amdhsa_user_sgpr_private_segment_size 0
		.amdhsa_uses_dynamic_stack 0
		.amdhsa_system_sgpr_private_segment_wavefront_offset 0
		.amdhsa_system_sgpr_workgroup_id_x 1
		.amdhsa_system_sgpr_workgroup_id_y 0
		.amdhsa_system_sgpr_workgroup_id_z 0
		.amdhsa_system_sgpr_workgroup_info 0
		.amdhsa_system_vgpr_workitem_id 0
		.amdhsa_next_free_vgpr 1
		.amdhsa_next_free_sgpr 0
		.amdhsa_reserve_vcc 0
		.amdhsa_reserve_flat_scratch 0
		.amdhsa_float_round_mode_32 0
		.amdhsa_float_round_mode_16_64 0
		.amdhsa_float_denorm_mode_32 3
		.amdhsa_float_denorm_mode_16_64 3
		.amdhsa_dx10_clamp 1
		.amdhsa_ieee_mode 1
		.amdhsa_fp16_overflow 0
		.amdhsa_exception_fp_ieee_invalid_op 0
		.amdhsa_exception_fp_denorm_src 0
		.amdhsa_exception_fp_ieee_div_zero 0
		.amdhsa_exception_fp_ieee_overflow 0
		.amdhsa_exception_fp_ieee_underflow 0
		.amdhsa_exception_fp_ieee_inexact 0
		.amdhsa_exception_int_div_zero 0
	.end_amdhsa_kernel
	.section	.text._ZN7rocprim17ROCPRIM_400000_NS6detail17trampoline_kernelINS0_14default_configENS1_36segmented_radix_sort_config_selectorI6__halflEEZNS1_25segmented_radix_sort_implIS3_Lb1EPKS5_PS5_PKlPlN2at6native12_GLOBAL__N_18offset_tEEE10hipError_tPvRmT1_PNSt15iterator_traitsISL_E10value_typeET2_T3_PNSM_ISR_E10value_typeET4_jRbjT5_SX_jjP12ihipStream_tbEUlT_E_NS1_11comp_targetILNS1_3genE8ELNS1_11target_archE1030ELNS1_3gpuE2ELNS1_3repE0EEENS1_30default_config_static_selectorELNS0_4arch9wavefront6targetE1EEEvSL_,"axG",@progbits,_ZN7rocprim17ROCPRIM_400000_NS6detail17trampoline_kernelINS0_14default_configENS1_36segmented_radix_sort_config_selectorI6__halflEEZNS1_25segmented_radix_sort_implIS3_Lb1EPKS5_PS5_PKlPlN2at6native12_GLOBAL__N_18offset_tEEE10hipError_tPvRmT1_PNSt15iterator_traitsISL_E10value_typeET2_T3_PNSM_ISR_E10value_typeET4_jRbjT5_SX_jjP12ihipStream_tbEUlT_E_NS1_11comp_targetILNS1_3genE8ELNS1_11target_archE1030ELNS1_3gpuE2ELNS1_3repE0EEENS1_30default_config_static_selectorELNS0_4arch9wavefront6targetE1EEEvSL_,comdat
.Lfunc_end1748:
	.size	_ZN7rocprim17ROCPRIM_400000_NS6detail17trampoline_kernelINS0_14default_configENS1_36segmented_radix_sort_config_selectorI6__halflEEZNS1_25segmented_radix_sort_implIS3_Lb1EPKS5_PS5_PKlPlN2at6native12_GLOBAL__N_18offset_tEEE10hipError_tPvRmT1_PNSt15iterator_traitsISL_E10value_typeET2_T3_PNSM_ISR_E10value_typeET4_jRbjT5_SX_jjP12ihipStream_tbEUlT_E_NS1_11comp_targetILNS1_3genE8ELNS1_11target_archE1030ELNS1_3gpuE2ELNS1_3repE0EEENS1_30default_config_static_selectorELNS0_4arch9wavefront6targetE1EEEvSL_, .Lfunc_end1748-_ZN7rocprim17ROCPRIM_400000_NS6detail17trampoline_kernelINS0_14default_configENS1_36segmented_radix_sort_config_selectorI6__halflEEZNS1_25segmented_radix_sort_implIS3_Lb1EPKS5_PS5_PKlPlN2at6native12_GLOBAL__N_18offset_tEEE10hipError_tPvRmT1_PNSt15iterator_traitsISL_E10value_typeET2_T3_PNSM_ISR_E10value_typeET4_jRbjT5_SX_jjP12ihipStream_tbEUlT_E_NS1_11comp_targetILNS1_3genE8ELNS1_11target_archE1030ELNS1_3gpuE2ELNS1_3repE0EEENS1_30default_config_static_selectorELNS0_4arch9wavefront6targetE1EEEvSL_
                                        ; -- End function
	.set _ZN7rocprim17ROCPRIM_400000_NS6detail17trampoline_kernelINS0_14default_configENS1_36segmented_radix_sort_config_selectorI6__halflEEZNS1_25segmented_radix_sort_implIS3_Lb1EPKS5_PS5_PKlPlN2at6native12_GLOBAL__N_18offset_tEEE10hipError_tPvRmT1_PNSt15iterator_traitsISL_E10value_typeET2_T3_PNSM_ISR_E10value_typeET4_jRbjT5_SX_jjP12ihipStream_tbEUlT_E_NS1_11comp_targetILNS1_3genE8ELNS1_11target_archE1030ELNS1_3gpuE2ELNS1_3repE0EEENS1_30default_config_static_selectorELNS0_4arch9wavefront6targetE1EEEvSL_.num_vgpr, 0
	.set _ZN7rocprim17ROCPRIM_400000_NS6detail17trampoline_kernelINS0_14default_configENS1_36segmented_radix_sort_config_selectorI6__halflEEZNS1_25segmented_radix_sort_implIS3_Lb1EPKS5_PS5_PKlPlN2at6native12_GLOBAL__N_18offset_tEEE10hipError_tPvRmT1_PNSt15iterator_traitsISL_E10value_typeET2_T3_PNSM_ISR_E10value_typeET4_jRbjT5_SX_jjP12ihipStream_tbEUlT_E_NS1_11comp_targetILNS1_3genE8ELNS1_11target_archE1030ELNS1_3gpuE2ELNS1_3repE0EEENS1_30default_config_static_selectorELNS0_4arch9wavefront6targetE1EEEvSL_.num_agpr, 0
	.set _ZN7rocprim17ROCPRIM_400000_NS6detail17trampoline_kernelINS0_14default_configENS1_36segmented_radix_sort_config_selectorI6__halflEEZNS1_25segmented_radix_sort_implIS3_Lb1EPKS5_PS5_PKlPlN2at6native12_GLOBAL__N_18offset_tEEE10hipError_tPvRmT1_PNSt15iterator_traitsISL_E10value_typeET2_T3_PNSM_ISR_E10value_typeET4_jRbjT5_SX_jjP12ihipStream_tbEUlT_E_NS1_11comp_targetILNS1_3genE8ELNS1_11target_archE1030ELNS1_3gpuE2ELNS1_3repE0EEENS1_30default_config_static_selectorELNS0_4arch9wavefront6targetE1EEEvSL_.numbered_sgpr, 0
	.set _ZN7rocprim17ROCPRIM_400000_NS6detail17trampoline_kernelINS0_14default_configENS1_36segmented_radix_sort_config_selectorI6__halflEEZNS1_25segmented_radix_sort_implIS3_Lb1EPKS5_PS5_PKlPlN2at6native12_GLOBAL__N_18offset_tEEE10hipError_tPvRmT1_PNSt15iterator_traitsISL_E10value_typeET2_T3_PNSM_ISR_E10value_typeET4_jRbjT5_SX_jjP12ihipStream_tbEUlT_E_NS1_11comp_targetILNS1_3genE8ELNS1_11target_archE1030ELNS1_3gpuE2ELNS1_3repE0EEENS1_30default_config_static_selectorELNS0_4arch9wavefront6targetE1EEEvSL_.num_named_barrier, 0
	.set _ZN7rocprim17ROCPRIM_400000_NS6detail17trampoline_kernelINS0_14default_configENS1_36segmented_radix_sort_config_selectorI6__halflEEZNS1_25segmented_radix_sort_implIS3_Lb1EPKS5_PS5_PKlPlN2at6native12_GLOBAL__N_18offset_tEEE10hipError_tPvRmT1_PNSt15iterator_traitsISL_E10value_typeET2_T3_PNSM_ISR_E10value_typeET4_jRbjT5_SX_jjP12ihipStream_tbEUlT_E_NS1_11comp_targetILNS1_3genE8ELNS1_11target_archE1030ELNS1_3gpuE2ELNS1_3repE0EEENS1_30default_config_static_selectorELNS0_4arch9wavefront6targetE1EEEvSL_.private_seg_size, 0
	.set _ZN7rocprim17ROCPRIM_400000_NS6detail17trampoline_kernelINS0_14default_configENS1_36segmented_radix_sort_config_selectorI6__halflEEZNS1_25segmented_radix_sort_implIS3_Lb1EPKS5_PS5_PKlPlN2at6native12_GLOBAL__N_18offset_tEEE10hipError_tPvRmT1_PNSt15iterator_traitsISL_E10value_typeET2_T3_PNSM_ISR_E10value_typeET4_jRbjT5_SX_jjP12ihipStream_tbEUlT_E_NS1_11comp_targetILNS1_3genE8ELNS1_11target_archE1030ELNS1_3gpuE2ELNS1_3repE0EEENS1_30default_config_static_selectorELNS0_4arch9wavefront6targetE1EEEvSL_.uses_vcc, 0
	.set _ZN7rocprim17ROCPRIM_400000_NS6detail17trampoline_kernelINS0_14default_configENS1_36segmented_radix_sort_config_selectorI6__halflEEZNS1_25segmented_radix_sort_implIS3_Lb1EPKS5_PS5_PKlPlN2at6native12_GLOBAL__N_18offset_tEEE10hipError_tPvRmT1_PNSt15iterator_traitsISL_E10value_typeET2_T3_PNSM_ISR_E10value_typeET4_jRbjT5_SX_jjP12ihipStream_tbEUlT_E_NS1_11comp_targetILNS1_3genE8ELNS1_11target_archE1030ELNS1_3gpuE2ELNS1_3repE0EEENS1_30default_config_static_selectorELNS0_4arch9wavefront6targetE1EEEvSL_.uses_flat_scratch, 0
	.set _ZN7rocprim17ROCPRIM_400000_NS6detail17trampoline_kernelINS0_14default_configENS1_36segmented_radix_sort_config_selectorI6__halflEEZNS1_25segmented_radix_sort_implIS3_Lb1EPKS5_PS5_PKlPlN2at6native12_GLOBAL__N_18offset_tEEE10hipError_tPvRmT1_PNSt15iterator_traitsISL_E10value_typeET2_T3_PNSM_ISR_E10value_typeET4_jRbjT5_SX_jjP12ihipStream_tbEUlT_E_NS1_11comp_targetILNS1_3genE8ELNS1_11target_archE1030ELNS1_3gpuE2ELNS1_3repE0EEENS1_30default_config_static_selectorELNS0_4arch9wavefront6targetE1EEEvSL_.has_dyn_sized_stack, 0
	.set _ZN7rocprim17ROCPRIM_400000_NS6detail17trampoline_kernelINS0_14default_configENS1_36segmented_radix_sort_config_selectorI6__halflEEZNS1_25segmented_radix_sort_implIS3_Lb1EPKS5_PS5_PKlPlN2at6native12_GLOBAL__N_18offset_tEEE10hipError_tPvRmT1_PNSt15iterator_traitsISL_E10value_typeET2_T3_PNSM_ISR_E10value_typeET4_jRbjT5_SX_jjP12ihipStream_tbEUlT_E_NS1_11comp_targetILNS1_3genE8ELNS1_11target_archE1030ELNS1_3gpuE2ELNS1_3repE0EEENS1_30default_config_static_selectorELNS0_4arch9wavefront6targetE1EEEvSL_.has_recursion, 0
	.set _ZN7rocprim17ROCPRIM_400000_NS6detail17trampoline_kernelINS0_14default_configENS1_36segmented_radix_sort_config_selectorI6__halflEEZNS1_25segmented_radix_sort_implIS3_Lb1EPKS5_PS5_PKlPlN2at6native12_GLOBAL__N_18offset_tEEE10hipError_tPvRmT1_PNSt15iterator_traitsISL_E10value_typeET2_T3_PNSM_ISR_E10value_typeET4_jRbjT5_SX_jjP12ihipStream_tbEUlT_E_NS1_11comp_targetILNS1_3genE8ELNS1_11target_archE1030ELNS1_3gpuE2ELNS1_3repE0EEENS1_30default_config_static_selectorELNS0_4arch9wavefront6targetE1EEEvSL_.has_indirect_call, 0
	.section	.AMDGPU.csdata,"",@progbits
; Kernel info:
; codeLenInByte = 0
; TotalNumSgprs: 4
; NumVgprs: 0
; ScratchSize: 0
; MemoryBound: 0
; FloatMode: 240
; IeeeMode: 1
; LDSByteSize: 0 bytes/workgroup (compile time only)
; SGPRBlocks: 0
; VGPRBlocks: 0
; NumSGPRsForWavesPerEU: 4
; NumVGPRsForWavesPerEU: 1
; Occupancy: 10
; WaveLimiterHint : 0
; COMPUTE_PGM_RSRC2:SCRATCH_EN: 0
; COMPUTE_PGM_RSRC2:USER_SGPR: 6
; COMPUTE_PGM_RSRC2:TRAP_HANDLER: 0
; COMPUTE_PGM_RSRC2:TGID_X_EN: 1
; COMPUTE_PGM_RSRC2:TGID_Y_EN: 0
; COMPUTE_PGM_RSRC2:TGID_Z_EN: 0
; COMPUTE_PGM_RSRC2:TIDIG_COMP_CNT: 0
	.section	.text._ZN7rocprim17ROCPRIM_400000_NS6detail17trampoline_kernelINS0_14default_configENS1_36segmented_radix_sort_config_selectorI6__halflEEZNS1_25segmented_radix_sort_implIS3_Lb1EPKS5_PS5_PKlPlN2at6native12_GLOBAL__N_18offset_tEEE10hipError_tPvRmT1_PNSt15iterator_traitsISL_E10value_typeET2_T3_PNSM_ISR_E10value_typeET4_jRbjT5_SX_jjP12ihipStream_tbEUlT_E0_NS1_11comp_targetILNS1_3genE0ELNS1_11target_archE4294967295ELNS1_3gpuE0ELNS1_3repE0EEENS1_60segmented_radix_sort_warp_sort_medium_config_static_selectorELNS0_4arch9wavefront6targetE1EEEvSL_,"axG",@progbits,_ZN7rocprim17ROCPRIM_400000_NS6detail17trampoline_kernelINS0_14default_configENS1_36segmented_radix_sort_config_selectorI6__halflEEZNS1_25segmented_radix_sort_implIS3_Lb1EPKS5_PS5_PKlPlN2at6native12_GLOBAL__N_18offset_tEEE10hipError_tPvRmT1_PNSt15iterator_traitsISL_E10value_typeET2_T3_PNSM_ISR_E10value_typeET4_jRbjT5_SX_jjP12ihipStream_tbEUlT_E0_NS1_11comp_targetILNS1_3genE0ELNS1_11target_archE4294967295ELNS1_3gpuE0ELNS1_3repE0EEENS1_60segmented_radix_sort_warp_sort_medium_config_static_selectorELNS0_4arch9wavefront6targetE1EEEvSL_,comdat
	.globl	_ZN7rocprim17ROCPRIM_400000_NS6detail17trampoline_kernelINS0_14default_configENS1_36segmented_radix_sort_config_selectorI6__halflEEZNS1_25segmented_radix_sort_implIS3_Lb1EPKS5_PS5_PKlPlN2at6native12_GLOBAL__N_18offset_tEEE10hipError_tPvRmT1_PNSt15iterator_traitsISL_E10value_typeET2_T3_PNSM_ISR_E10value_typeET4_jRbjT5_SX_jjP12ihipStream_tbEUlT_E0_NS1_11comp_targetILNS1_3genE0ELNS1_11target_archE4294967295ELNS1_3gpuE0ELNS1_3repE0EEENS1_60segmented_radix_sort_warp_sort_medium_config_static_selectorELNS0_4arch9wavefront6targetE1EEEvSL_ ; -- Begin function _ZN7rocprim17ROCPRIM_400000_NS6detail17trampoline_kernelINS0_14default_configENS1_36segmented_radix_sort_config_selectorI6__halflEEZNS1_25segmented_radix_sort_implIS3_Lb1EPKS5_PS5_PKlPlN2at6native12_GLOBAL__N_18offset_tEEE10hipError_tPvRmT1_PNSt15iterator_traitsISL_E10value_typeET2_T3_PNSM_ISR_E10value_typeET4_jRbjT5_SX_jjP12ihipStream_tbEUlT_E0_NS1_11comp_targetILNS1_3genE0ELNS1_11target_archE4294967295ELNS1_3gpuE0ELNS1_3repE0EEENS1_60segmented_radix_sort_warp_sort_medium_config_static_selectorELNS0_4arch9wavefront6targetE1EEEvSL_
	.p2align	8
	.type	_ZN7rocprim17ROCPRIM_400000_NS6detail17trampoline_kernelINS0_14default_configENS1_36segmented_radix_sort_config_selectorI6__halflEEZNS1_25segmented_radix_sort_implIS3_Lb1EPKS5_PS5_PKlPlN2at6native12_GLOBAL__N_18offset_tEEE10hipError_tPvRmT1_PNSt15iterator_traitsISL_E10value_typeET2_T3_PNSM_ISR_E10value_typeET4_jRbjT5_SX_jjP12ihipStream_tbEUlT_E0_NS1_11comp_targetILNS1_3genE0ELNS1_11target_archE4294967295ELNS1_3gpuE0ELNS1_3repE0EEENS1_60segmented_radix_sort_warp_sort_medium_config_static_selectorELNS0_4arch9wavefront6targetE1EEEvSL_,@function
_ZN7rocprim17ROCPRIM_400000_NS6detail17trampoline_kernelINS0_14default_configENS1_36segmented_radix_sort_config_selectorI6__halflEEZNS1_25segmented_radix_sort_implIS3_Lb1EPKS5_PS5_PKlPlN2at6native12_GLOBAL__N_18offset_tEEE10hipError_tPvRmT1_PNSt15iterator_traitsISL_E10value_typeET2_T3_PNSM_ISR_E10value_typeET4_jRbjT5_SX_jjP12ihipStream_tbEUlT_E0_NS1_11comp_targetILNS1_3genE0ELNS1_11target_archE4294967295ELNS1_3gpuE0ELNS1_3repE0EEENS1_60segmented_radix_sort_warp_sort_medium_config_static_selectorELNS0_4arch9wavefront6targetE1EEEvSL_: ; @_ZN7rocprim17ROCPRIM_400000_NS6detail17trampoline_kernelINS0_14default_configENS1_36segmented_radix_sort_config_selectorI6__halflEEZNS1_25segmented_radix_sort_implIS3_Lb1EPKS5_PS5_PKlPlN2at6native12_GLOBAL__N_18offset_tEEE10hipError_tPvRmT1_PNSt15iterator_traitsISL_E10value_typeET2_T3_PNSM_ISR_E10value_typeET4_jRbjT5_SX_jjP12ihipStream_tbEUlT_E0_NS1_11comp_targetILNS1_3genE0ELNS1_11target_archE4294967295ELNS1_3gpuE0ELNS1_3repE0EEENS1_60segmented_radix_sort_warp_sort_medium_config_static_selectorELNS0_4arch9wavefront6targetE1EEEvSL_
; %bb.0:
	.section	.rodata,"a",@progbits
	.p2align	6, 0x0
	.amdhsa_kernel _ZN7rocprim17ROCPRIM_400000_NS6detail17trampoline_kernelINS0_14default_configENS1_36segmented_radix_sort_config_selectorI6__halflEEZNS1_25segmented_radix_sort_implIS3_Lb1EPKS5_PS5_PKlPlN2at6native12_GLOBAL__N_18offset_tEEE10hipError_tPvRmT1_PNSt15iterator_traitsISL_E10value_typeET2_T3_PNSM_ISR_E10value_typeET4_jRbjT5_SX_jjP12ihipStream_tbEUlT_E0_NS1_11comp_targetILNS1_3genE0ELNS1_11target_archE4294967295ELNS1_3gpuE0ELNS1_3repE0EEENS1_60segmented_radix_sort_warp_sort_medium_config_static_selectorELNS0_4arch9wavefront6targetE1EEEvSL_
		.amdhsa_group_segment_fixed_size 0
		.amdhsa_private_segment_fixed_size 0
		.amdhsa_kernarg_size 88
		.amdhsa_user_sgpr_count 6
		.amdhsa_user_sgpr_private_segment_buffer 1
		.amdhsa_user_sgpr_dispatch_ptr 0
		.amdhsa_user_sgpr_queue_ptr 0
		.amdhsa_user_sgpr_kernarg_segment_ptr 1
		.amdhsa_user_sgpr_dispatch_id 0
		.amdhsa_user_sgpr_flat_scratch_init 0
		.amdhsa_user_sgpr_private_segment_size 0
		.amdhsa_uses_dynamic_stack 0
		.amdhsa_system_sgpr_private_segment_wavefront_offset 0
		.amdhsa_system_sgpr_workgroup_id_x 1
		.amdhsa_system_sgpr_workgroup_id_y 0
		.amdhsa_system_sgpr_workgroup_id_z 0
		.amdhsa_system_sgpr_workgroup_info 0
		.amdhsa_system_vgpr_workitem_id 0
		.amdhsa_next_free_vgpr 1
		.amdhsa_next_free_sgpr 0
		.amdhsa_reserve_vcc 0
		.amdhsa_reserve_flat_scratch 0
		.amdhsa_float_round_mode_32 0
		.amdhsa_float_round_mode_16_64 0
		.amdhsa_float_denorm_mode_32 3
		.amdhsa_float_denorm_mode_16_64 3
		.amdhsa_dx10_clamp 1
		.amdhsa_ieee_mode 1
		.amdhsa_fp16_overflow 0
		.amdhsa_exception_fp_ieee_invalid_op 0
		.amdhsa_exception_fp_denorm_src 0
		.amdhsa_exception_fp_ieee_div_zero 0
		.amdhsa_exception_fp_ieee_overflow 0
		.amdhsa_exception_fp_ieee_underflow 0
		.amdhsa_exception_fp_ieee_inexact 0
		.amdhsa_exception_int_div_zero 0
	.end_amdhsa_kernel
	.section	.text._ZN7rocprim17ROCPRIM_400000_NS6detail17trampoline_kernelINS0_14default_configENS1_36segmented_radix_sort_config_selectorI6__halflEEZNS1_25segmented_radix_sort_implIS3_Lb1EPKS5_PS5_PKlPlN2at6native12_GLOBAL__N_18offset_tEEE10hipError_tPvRmT1_PNSt15iterator_traitsISL_E10value_typeET2_T3_PNSM_ISR_E10value_typeET4_jRbjT5_SX_jjP12ihipStream_tbEUlT_E0_NS1_11comp_targetILNS1_3genE0ELNS1_11target_archE4294967295ELNS1_3gpuE0ELNS1_3repE0EEENS1_60segmented_radix_sort_warp_sort_medium_config_static_selectorELNS0_4arch9wavefront6targetE1EEEvSL_,"axG",@progbits,_ZN7rocprim17ROCPRIM_400000_NS6detail17trampoline_kernelINS0_14default_configENS1_36segmented_radix_sort_config_selectorI6__halflEEZNS1_25segmented_radix_sort_implIS3_Lb1EPKS5_PS5_PKlPlN2at6native12_GLOBAL__N_18offset_tEEE10hipError_tPvRmT1_PNSt15iterator_traitsISL_E10value_typeET2_T3_PNSM_ISR_E10value_typeET4_jRbjT5_SX_jjP12ihipStream_tbEUlT_E0_NS1_11comp_targetILNS1_3genE0ELNS1_11target_archE4294967295ELNS1_3gpuE0ELNS1_3repE0EEENS1_60segmented_radix_sort_warp_sort_medium_config_static_selectorELNS0_4arch9wavefront6targetE1EEEvSL_,comdat
.Lfunc_end1749:
	.size	_ZN7rocprim17ROCPRIM_400000_NS6detail17trampoline_kernelINS0_14default_configENS1_36segmented_radix_sort_config_selectorI6__halflEEZNS1_25segmented_radix_sort_implIS3_Lb1EPKS5_PS5_PKlPlN2at6native12_GLOBAL__N_18offset_tEEE10hipError_tPvRmT1_PNSt15iterator_traitsISL_E10value_typeET2_T3_PNSM_ISR_E10value_typeET4_jRbjT5_SX_jjP12ihipStream_tbEUlT_E0_NS1_11comp_targetILNS1_3genE0ELNS1_11target_archE4294967295ELNS1_3gpuE0ELNS1_3repE0EEENS1_60segmented_radix_sort_warp_sort_medium_config_static_selectorELNS0_4arch9wavefront6targetE1EEEvSL_, .Lfunc_end1749-_ZN7rocprim17ROCPRIM_400000_NS6detail17trampoline_kernelINS0_14default_configENS1_36segmented_radix_sort_config_selectorI6__halflEEZNS1_25segmented_radix_sort_implIS3_Lb1EPKS5_PS5_PKlPlN2at6native12_GLOBAL__N_18offset_tEEE10hipError_tPvRmT1_PNSt15iterator_traitsISL_E10value_typeET2_T3_PNSM_ISR_E10value_typeET4_jRbjT5_SX_jjP12ihipStream_tbEUlT_E0_NS1_11comp_targetILNS1_3genE0ELNS1_11target_archE4294967295ELNS1_3gpuE0ELNS1_3repE0EEENS1_60segmented_radix_sort_warp_sort_medium_config_static_selectorELNS0_4arch9wavefront6targetE1EEEvSL_
                                        ; -- End function
	.set _ZN7rocprim17ROCPRIM_400000_NS6detail17trampoline_kernelINS0_14default_configENS1_36segmented_radix_sort_config_selectorI6__halflEEZNS1_25segmented_radix_sort_implIS3_Lb1EPKS5_PS5_PKlPlN2at6native12_GLOBAL__N_18offset_tEEE10hipError_tPvRmT1_PNSt15iterator_traitsISL_E10value_typeET2_T3_PNSM_ISR_E10value_typeET4_jRbjT5_SX_jjP12ihipStream_tbEUlT_E0_NS1_11comp_targetILNS1_3genE0ELNS1_11target_archE4294967295ELNS1_3gpuE0ELNS1_3repE0EEENS1_60segmented_radix_sort_warp_sort_medium_config_static_selectorELNS0_4arch9wavefront6targetE1EEEvSL_.num_vgpr, 0
	.set _ZN7rocprim17ROCPRIM_400000_NS6detail17trampoline_kernelINS0_14default_configENS1_36segmented_radix_sort_config_selectorI6__halflEEZNS1_25segmented_radix_sort_implIS3_Lb1EPKS5_PS5_PKlPlN2at6native12_GLOBAL__N_18offset_tEEE10hipError_tPvRmT1_PNSt15iterator_traitsISL_E10value_typeET2_T3_PNSM_ISR_E10value_typeET4_jRbjT5_SX_jjP12ihipStream_tbEUlT_E0_NS1_11comp_targetILNS1_3genE0ELNS1_11target_archE4294967295ELNS1_3gpuE0ELNS1_3repE0EEENS1_60segmented_radix_sort_warp_sort_medium_config_static_selectorELNS0_4arch9wavefront6targetE1EEEvSL_.num_agpr, 0
	.set _ZN7rocprim17ROCPRIM_400000_NS6detail17trampoline_kernelINS0_14default_configENS1_36segmented_radix_sort_config_selectorI6__halflEEZNS1_25segmented_radix_sort_implIS3_Lb1EPKS5_PS5_PKlPlN2at6native12_GLOBAL__N_18offset_tEEE10hipError_tPvRmT1_PNSt15iterator_traitsISL_E10value_typeET2_T3_PNSM_ISR_E10value_typeET4_jRbjT5_SX_jjP12ihipStream_tbEUlT_E0_NS1_11comp_targetILNS1_3genE0ELNS1_11target_archE4294967295ELNS1_3gpuE0ELNS1_3repE0EEENS1_60segmented_radix_sort_warp_sort_medium_config_static_selectorELNS0_4arch9wavefront6targetE1EEEvSL_.numbered_sgpr, 0
	.set _ZN7rocprim17ROCPRIM_400000_NS6detail17trampoline_kernelINS0_14default_configENS1_36segmented_radix_sort_config_selectorI6__halflEEZNS1_25segmented_radix_sort_implIS3_Lb1EPKS5_PS5_PKlPlN2at6native12_GLOBAL__N_18offset_tEEE10hipError_tPvRmT1_PNSt15iterator_traitsISL_E10value_typeET2_T3_PNSM_ISR_E10value_typeET4_jRbjT5_SX_jjP12ihipStream_tbEUlT_E0_NS1_11comp_targetILNS1_3genE0ELNS1_11target_archE4294967295ELNS1_3gpuE0ELNS1_3repE0EEENS1_60segmented_radix_sort_warp_sort_medium_config_static_selectorELNS0_4arch9wavefront6targetE1EEEvSL_.num_named_barrier, 0
	.set _ZN7rocprim17ROCPRIM_400000_NS6detail17trampoline_kernelINS0_14default_configENS1_36segmented_radix_sort_config_selectorI6__halflEEZNS1_25segmented_radix_sort_implIS3_Lb1EPKS5_PS5_PKlPlN2at6native12_GLOBAL__N_18offset_tEEE10hipError_tPvRmT1_PNSt15iterator_traitsISL_E10value_typeET2_T3_PNSM_ISR_E10value_typeET4_jRbjT5_SX_jjP12ihipStream_tbEUlT_E0_NS1_11comp_targetILNS1_3genE0ELNS1_11target_archE4294967295ELNS1_3gpuE0ELNS1_3repE0EEENS1_60segmented_radix_sort_warp_sort_medium_config_static_selectorELNS0_4arch9wavefront6targetE1EEEvSL_.private_seg_size, 0
	.set _ZN7rocprim17ROCPRIM_400000_NS6detail17trampoline_kernelINS0_14default_configENS1_36segmented_radix_sort_config_selectorI6__halflEEZNS1_25segmented_radix_sort_implIS3_Lb1EPKS5_PS5_PKlPlN2at6native12_GLOBAL__N_18offset_tEEE10hipError_tPvRmT1_PNSt15iterator_traitsISL_E10value_typeET2_T3_PNSM_ISR_E10value_typeET4_jRbjT5_SX_jjP12ihipStream_tbEUlT_E0_NS1_11comp_targetILNS1_3genE0ELNS1_11target_archE4294967295ELNS1_3gpuE0ELNS1_3repE0EEENS1_60segmented_radix_sort_warp_sort_medium_config_static_selectorELNS0_4arch9wavefront6targetE1EEEvSL_.uses_vcc, 0
	.set _ZN7rocprim17ROCPRIM_400000_NS6detail17trampoline_kernelINS0_14default_configENS1_36segmented_radix_sort_config_selectorI6__halflEEZNS1_25segmented_radix_sort_implIS3_Lb1EPKS5_PS5_PKlPlN2at6native12_GLOBAL__N_18offset_tEEE10hipError_tPvRmT1_PNSt15iterator_traitsISL_E10value_typeET2_T3_PNSM_ISR_E10value_typeET4_jRbjT5_SX_jjP12ihipStream_tbEUlT_E0_NS1_11comp_targetILNS1_3genE0ELNS1_11target_archE4294967295ELNS1_3gpuE0ELNS1_3repE0EEENS1_60segmented_radix_sort_warp_sort_medium_config_static_selectorELNS0_4arch9wavefront6targetE1EEEvSL_.uses_flat_scratch, 0
	.set _ZN7rocprim17ROCPRIM_400000_NS6detail17trampoline_kernelINS0_14default_configENS1_36segmented_radix_sort_config_selectorI6__halflEEZNS1_25segmented_radix_sort_implIS3_Lb1EPKS5_PS5_PKlPlN2at6native12_GLOBAL__N_18offset_tEEE10hipError_tPvRmT1_PNSt15iterator_traitsISL_E10value_typeET2_T3_PNSM_ISR_E10value_typeET4_jRbjT5_SX_jjP12ihipStream_tbEUlT_E0_NS1_11comp_targetILNS1_3genE0ELNS1_11target_archE4294967295ELNS1_3gpuE0ELNS1_3repE0EEENS1_60segmented_radix_sort_warp_sort_medium_config_static_selectorELNS0_4arch9wavefront6targetE1EEEvSL_.has_dyn_sized_stack, 0
	.set _ZN7rocprim17ROCPRIM_400000_NS6detail17trampoline_kernelINS0_14default_configENS1_36segmented_radix_sort_config_selectorI6__halflEEZNS1_25segmented_radix_sort_implIS3_Lb1EPKS5_PS5_PKlPlN2at6native12_GLOBAL__N_18offset_tEEE10hipError_tPvRmT1_PNSt15iterator_traitsISL_E10value_typeET2_T3_PNSM_ISR_E10value_typeET4_jRbjT5_SX_jjP12ihipStream_tbEUlT_E0_NS1_11comp_targetILNS1_3genE0ELNS1_11target_archE4294967295ELNS1_3gpuE0ELNS1_3repE0EEENS1_60segmented_radix_sort_warp_sort_medium_config_static_selectorELNS0_4arch9wavefront6targetE1EEEvSL_.has_recursion, 0
	.set _ZN7rocprim17ROCPRIM_400000_NS6detail17trampoline_kernelINS0_14default_configENS1_36segmented_radix_sort_config_selectorI6__halflEEZNS1_25segmented_radix_sort_implIS3_Lb1EPKS5_PS5_PKlPlN2at6native12_GLOBAL__N_18offset_tEEE10hipError_tPvRmT1_PNSt15iterator_traitsISL_E10value_typeET2_T3_PNSM_ISR_E10value_typeET4_jRbjT5_SX_jjP12ihipStream_tbEUlT_E0_NS1_11comp_targetILNS1_3genE0ELNS1_11target_archE4294967295ELNS1_3gpuE0ELNS1_3repE0EEENS1_60segmented_radix_sort_warp_sort_medium_config_static_selectorELNS0_4arch9wavefront6targetE1EEEvSL_.has_indirect_call, 0
	.section	.AMDGPU.csdata,"",@progbits
; Kernel info:
; codeLenInByte = 0
; TotalNumSgprs: 4
; NumVgprs: 0
; ScratchSize: 0
; MemoryBound: 0
; FloatMode: 240
; IeeeMode: 1
; LDSByteSize: 0 bytes/workgroup (compile time only)
; SGPRBlocks: 0
; VGPRBlocks: 0
; NumSGPRsForWavesPerEU: 4
; NumVGPRsForWavesPerEU: 1
; Occupancy: 10
; WaveLimiterHint : 0
; COMPUTE_PGM_RSRC2:SCRATCH_EN: 0
; COMPUTE_PGM_RSRC2:USER_SGPR: 6
; COMPUTE_PGM_RSRC2:TRAP_HANDLER: 0
; COMPUTE_PGM_RSRC2:TGID_X_EN: 1
; COMPUTE_PGM_RSRC2:TGID_Y_EN: 0
; COMPUTE_PGM_RSRC2:TGID_Z_EN: 0
; COMPUTE_PGM_RSRC2:TIDIG_COMP_CNT: 0
	.section	.text._ZN7rocprim17ROCPRIM_400000_NS6detail17trampoline_kernelINS0_14default_configENS1_36segmented_radix_sort_config_selectorI6__halflEEZNS1_25segmented_radix_sort_implIS3_Lb1EPKS5_PS5_PKlPlN2at6native12_GLOBAL__N_18offset_tEEE10hipError_tPvRmT1_PNSt15iterator_traitsISL_E10value_typeET2_T3_PNSM_ISR_E10value_typeET4_jRbjT5_SX_jjP12ihipStream_tbEUlT_E0_NS1_11comp_targetILNS1_3genE5ELNS1_11target_archE942ELNS1_3gpuE9ELNS1_3repE0EEENS1_60segmented_radix_sort_warp_sort_medium_config_static_selectorELNS0_4arch9wavefront6targetE1EEEvSL_,"axG",@progbits,_ZN7rocprim17ROCPRIM_400000_NS6detail17trampoline_kernelINS0_14default_configENS1_36segmented_radix_sort_config_selectorI6__halflEEZNS1_25segmented_radix_sort_implIS3_Lb1EPKS5_PS5_PKlPlN2at6native12_GLOBAL__N_18offset_tEEE10hipError_tPvRmT1_PNSt15iterator_traitsISL_E10value_typeET2_T3_PNSM_ISR_E10value_typeET4_jRbjT5_SX_jjP12ihipStream_tbEUlT_E0_NS1_11comp_targetILNS1_3genE5ELNS1_11target_archE942ELNS1_3gpuE9ELNS1_3repE0EEENS1_60segmented_radix_sort_warp_sort_medium_config_static_selectorELNS0_4arch9wavefront6targetE1EEEvSL_,comdat
	.globl	_ZN7rocprim17ROCPRIM_400000_NS6detail17trampoline_kernelINS0_14default_configENS1_36segmented_radix_sort_config_selectorI6__halflEEZNS1_25segmented_radix_sort_implIS3_Lb1EPKS5_PS5_PKlPlN2at6native12_GLOBAL__N_18offset_tEEE10hipError_tPvRmT1_PNSt15iterator_traitsISL_E10value_typeET2_T3_PNSM_ISR_E10value_typeET4_jRbjT5_SX_jjP12ihipStream_tbEUlT_E0_NS1_11comp_targetILNS1_3genE5ELNS1_11target_archE942ELNS1_3gpuE9ELNS1_3repE0EEENS1_60segmented_radix_sort_warp_sort_medium_config_static_selectorELNS0_4arch9wavefront6targetE1EEEvSL_ ; -- Begin function _ZN7rocprim17ROCPRIM_400000_NS6detail17trampoline_kernelINS0_14default_configENS1_36segmented_radix_sort_config_selectorI6__halflEEZNS1_25segmented_radix_sort_implIS3_Lb1EPKS5_PS5_PKlPlN2at6native12_GLOBAL__N_18offset_tEEE10hipError_tPvRmT1_PNSt15iterator_traitsISL_E10value_typeET2_T3_PNSM_ISR_E10value_typeET4_jRbjT5_SX_jjP12ihipStream_tbEUlT_E0_NS1_11comp_targetILNS1_3genE5ELNS1_11target_archE942ELNS1_3gpuE9ELNS1_3repE0EEENS1_60segmented_radix_sort_warp_sort_medium_config_static_selectorELNS0_4arch9wavefront6targetE1EEEvSL_
	.p2align	8
	.type	_ZN7rocprim17ROCPRIM_400000_NS6detail17trampoline_kernelINS0_14default_configENS1_36segmented_radix_sort_config_selectorI6__halflEEZNS1_25segmented_radix_sort_implIS3_Lb1EPKS5_PS5_PKlPlN2at6native12_GLOBAL__N_18offset_tEEE10hipError_tPvRmT1_PNSt15iterator_traitsISL_E10value_typeET2_T3_PNSM_ISR_E10value_typeET4_jRbjT5_SX_jjP12ihipStream_tbEUlT_E0_NS1_11comp_targetILNS1_3genE5ELNS1_11target_archE942ELNS1_3gpuE9ELNS1_3repE0EEENS1_60segmented_radix_sort_warp_sort_medium_config_static_selectorELNS0_4arch9wavefront6targetE1EEEvSL_,@function
_ZN7rocprim17ROCPRIM_400000_NS6detail17trampoline_kernelINS0_14default_configENS1_36segmented_radix_sort_config_selectorI6__halflEEZNS1_25segmented_radix_sort_implIS3_Lb1EPKS5_PS5_PKlPlN2at6native12_GLOBAL__N_18offset_tEEE10hipError_tPvRmT1_PNSt15iterator_traitsISL_E10value_typeET2_T3_PNSM_ISR_E10value_typeET4_jRbjT5_SX_jjP12ihipStream_tbEUlT_E0_NS1_11comp_targetILNS1_3genE5ELNS1_11target_archE942ELNS1_3gpuE9ELNS1_3repE0EEENS1_60segmented_radix_sort_warp_sort_medium_config_static_selectorELNS0_4arch9wavefront6targetE1EEEvSL_: ; @_ZN7rocprim17ROCPRIM_400000_NS6detail17trampoline_kernelINS0_14default_configENS1_36segmented_radix_sort_config_selectorI6__halflEEZNS1_25segmented_radix_sort_implIS3_Lb1EPKS5_PS5_PKlPlN2at6native12_GLOBAL__N_18offset_tEEE10hipError_tPvRmT1_PNSt15iterator_traitsISL_E10value_typeET2_T3_PNSM_ISR_E10value_typeET4_jRbjT5_SX_jjP12ihipStream_tbEUlT_E0_NS1_11comp_targetILNS1_3genE5ELNS1_11target_archE942ELNS1_3gpuE9ELNS1_3repE0EEENS1_60segmented_radix_sort_warp_sort_medium_config_static_selectorELNS0_4arch9wavefront6targetE1EEEvSL_
; %bb.0:
	.section	.rodata,"a",@progbits
	.p2align	6, 0x0
	.amdhsa_kernel _ZN7rocprim17ROCPRIM_400000_NS6detail17trampoline_kernelINS0_14default_configENS1_36segmented_radix_sort_config_selectorI6__halflEEZNS1_25segmented_radix_sort_implIS3_Lb1EPKS5_PS5_PKlPlN2at6native12_GLOBAL__N_18offset_tEEE10hipError_tPvRmT1_PNSt15iterator_traitsISL_E10value_typeET2_T3_PNSM_ISR_E10value_typeET4_jRbjT5_SX_jjP12ihipStream_tbEUlT_E0_NS1_11comp_targetILNS1_3genE5ELNS1_11target_archE942ELNS1_3gpuE9ELNS1_3repE0EEENS1_60segmented_radix_sort_warp_sort_medium_config_static_selectorELNS0_4arch9wavefront6targetE1EEEvSL_
		.amdhsa_group_segment_fixed_size 0
		.amdhsa_private_segment_fixed_size 0
		.amdhsa_kernarg_size 88
		.amdhsa_user_sgpr_count 6
		.amdhsa_user_sgpr_private_segment_buffer 1
		.amdhsa_user_sgpr_dispatch_ptr 0
		.amdhsa_user_sgpr_queue_ptr 0
		.amdhsa_user_sgpr_kernarg_segment_ptr 1
		.amdhsa_user_sgpr_dispatch_id 0
		.amdhsa_user_sgpr_flat_scratch_init 0
		.amdhsa_user_sgpr_private_segment_size 0
		.amdhsa_uses_dynamic_stack 0
		.amdhsa_system_sgpr_private_segment_wavefront_offset 0
		.amdhsa_system_sgpr_workgroup_id_x 1
		.amdhsa_system_sgpr_workgroup_id_y 0
		.amdhsa_system_sgpr_workgroup_id_z 0
		.amdhsa_system_sgpr_workgroup_info 0
		.amdhsa_system_vgpr_workitem_id 0
		.amdhsa_next_free_vgpr 1
		.amdhsa_next_free_sgpr 0
		.amdhsa_reserve_vcc 0
		.amdhsa_reserve_flat_scratch 0
		.amdhsa_float_round_mode_32 0
		.amdhsa_float_round_mode_16_64 0
		.amdhsa_float_denorm_mode_32 3
		.amdhsa_float_denorm_mode_16_64 3
		.amdhsa_dx10_clamp 1
		.amdhsa_ieee_mode 1
		.amdhsa_fp16_overflow 0
		.amdhsa_exception_fp_ieee_invalid_op 0
		.amdhsa_exception_fp_denorm_src 0
		.amdhsa_exception_fp_ieee_div_zero 0
		.amdhsa_exception_fp_ieee_overflow 0
		.amdhsa_exception_fp_ieee_underflow 0
		.amdhsa_exception_fp_ieee_inexact 0
		.amdhsa_exception_int_div_zero 0
	.end_amdhsa_kernel
	.section	.text._ZN7rocprim17ROCPRIM_400000_NS6detail17trampoline_kernelINS0_14default_configENS1_36segmented_radix_sort_config_selectorI6__halflEEZNS1_25segmented_radix_sort_implIS3_Lb1EPKS5_PS5_PKlPlN2at6native12_GLOBAL__N_18offset_tEEE10hipError_tPvRmT1_PNSt15iterator_traitsISL_E10value_typeET2_T3_PNSM_ISR_E10value_typeET4_jRbjT5_SX_jjP12ihipStream_tbEUlT_E0_NS1_11comp_targetILNS1_3genE5ELNS1_11target_archE942ELNS1_3gpuE9ELNS1_3repE0EEENS1_60segmented_radix_sort_warp_sort_medium_config_static_selectorELNS0_4arch9wavefront6targetE1EEEvSL_,"axG",@progbits,_ZN7rocprim17ROCPRIM_400000_NS6detail17trampoline_kernelINS0_14default_configENS1_36segmented_radix_sort_config_selectorI6__halflEEZNS1_25segmented_radix_sort_implIS3_Lb1EPKS5_PS5_PKlPlN2at6native12_GLOBAL__N_18offset_tEEE10hipError_tPvRmT1_PNSt15iterator_traitsISL_E10value_typeET2_T3_PNSM_ISR_E10value_typeET4_jRbjT5_SX_jjP12ihipStream_tbEUlT_E0_NS1_11comp_targetILNS1_3genE5ELNS1_11target_archE942ELNS1_3gpuE9ELNS1_3repE0EEENS1_60segmented_radix_sort_warp_sort_medium_config_static_selectorELNS0_4arch9wavefront6targetE1EEEvSL_,comdat
.Lfunc_end1750:
	.size	_ZN7rocprim17ROCPRIM_400000_NS6detail17trampoline_kernelINS0_14default_configENS1_36segmented_radix_sort_config_selectorI6__halflEEZNS1_25segmented_radix_sort_implIS3_Lb1EPKS5_PS5_PKlPlN2at6native12_GLOBAL__N_18offset_tEEE10hipError_tPvRmT1_PNSt15iterator_traitsISL_E10value_typeET2_T3_PNSM_ISR_E10value_typeET4_jRbjT5_SX_jjP12ihipStream_tbEUlT_E0_NS1_11comp_targetILNS1_3genE5ELNS1_11target_archE942ELNS1_3gpuE9ELNS1_3repE0EEENS1_60segmented_radix_sort_warp_sort_medium_config_static_selectorELNS0_4arch9wavefront6targetE1EEEvSL_, .Lfunc_end1750-_ZN7rocprim17ROCPRIM_400000_NS6detail17trampoline_kernelINS0_14default_configENS1_36segmented_radix_sort_config_selectorI6__halflEEZNS1_25segmented_radix_sort_implIS3_Lb1EPKS5_PS5_PKlPlN2at6native12_GLOBAL__N_18offset_tEEE10hipError_tPvRmT1_PNSt15iterator_traitsISL_E10value_typeET2_T3_PNSM_ISR_E10value_typeET4_jRbjT5_SX_jjP12ihipStream_tbEUlT_E0_NS1_11comp_targetILNS1_3genE5ELNS1_11target_archE942ELNS1_3gpuE9ELNS1_3repE0EEENS1_60segmented_radix_sort_warp_sort_medium_config_static_selectorELNS0_4arch9wavefront6targetE1EEEvSL_
                                        ; -- End function
	.set _ZN7rocprim17ROCPRIM_400000_NS6detail17trampoline_kernelINS0_14default_configENS1_36segmented_radix_sort_config_selectorI6__halflEEZNS1_25segmented_radix_sort_implIS3_Lb1EPKS5_PS5_PKlPlN2at6native12_GLOBAL__N_18offset_tEEE10hipError_tPvRmT1_PNSt15iterator_traitsISL_E10value_typeET2_T3_PNSM_ISR_E10value_typeET4_jRbjT5_SX_jjP12ihipStream_tbEUlT_E0_NS1_11comp_targetILNS1_3genE5ELNS1_11target_archE942ELNS1_3gpuE9ELNS1_3repE0EEENS1_60segmented_radix_sort_warp_sort_medium_config_static_selectorELNS0_4arch9wavefront6targetE1EEEvSL_.num_vgpr, 0
	.set _ZN7rocprim17ROCPRIM_400000_NS6detail17trampoline_kernelINS0_14default_configENS1_36segmented_radix_sort_config_selectorI6__halflEEZNS1_25segmented_radix_sort_implIS3_Lb1EPKS5_PS5_PKlPlN2at6native12_GLOBAL__N_18offset_tEEE10hipError_tPvRmT1_PNSt15iterator_traitsISL_E10value_typeET2_T3_PNSM_ISR_E10value_typeET4_jRbjT5_SX_jjP12ihipStream_tbEUlT_E0_NS1_11comp_targetILNS1_3genE5ELNS1_11target_archE942ELNS1_3gpuE9ELNS1_3repE0EEENS1_60segmented_radix_sort_warp_sort_medium_config_static_selectorELNS0_4arch9wavefront6targetE1EEEvSL_.num_agpr, 0
	.set _ZN7rocprim17ROCPRIM_400000_NS6detail17trampoline_kernelINS0_14default_configENS1_36segmented_radix_sort_config_selectorI6__halflEEZNS1_25segmented_radix_sort_implIS3_Lb1EPKS5_PS5_PKlPlN2at6native12_GLOBAL__N_18offset_tEEE10hipError_tPvRmT1_PNSt15iterator_traitsISL_E10value_typeET2_T3_PNSM_ISR_E10value_typeET4_jRbjT5_SX_jjP12ihipStream_tbEUlT_E0_NS1_11comp_targetILNS1_3genE5ELNS1_11target_archE942ELNS1_3gpuE9ELNS1_3repE0EEENS1_60segmented_radix_sort_warp_sort_medium_config_static_selectorELNS0_4arch9wavefront6targetE1EEEvSL_.numbered_sgpr, 0
	.set _ZN7rocprim17ROCPRIM_400000_NS6detail17trampoline_kernelINS0_14default_configENS1_36segmented_radix_sort_config_selectorI6__halflEEZNS1_25segmented_radix_sort_implIS3_Lb1EPKS5_PS5_PKlPlN2at6native12_GLOBAL__N_18offset_tEEE10hipError_tPvRmT1_PNSt15iterator_traitsISL_E10value_typeET2_T3_PNSM_ISR_E10value_typeET4_jRbjT5_SX_jjP12ihipStream_tbEUlT_E0_NS1_11comp_targetILNS1_3genE5ELNS1_11target_archE942ELNS1_3gpuE9ELNS1_3repE0EEENS1_60segmented_radix_sort_warp_sort_medium_config_static_selectorELNS0_4arch9wavefront6targetE1EEEvSL_.num_named_barrier, 0
	.set _ZN7rocprim17ROCPRIM_400000_NS6detail17trampoline_kernelINS0_14default_configENS1_36segmented_radix_sort_config_selectorI6__halflEEZNS1_25segmented_radix_sort_implIS3_Lb1EPKS5_PS5_PKlPlN2at6native12_GLOBAL__N_18offset_tEEE10hipError_tPvRmT1_PNSt15iterator_traitsISL_E10value_typeET2_T3_PNSM_ISR_E10value_typeET4_jRbjT5_SX_jjP12ihipStream_tbEUlT_E0_NS1_11comp_targetILNS1_3genE5ELNS1_11target_archE942ELNS1_3gpuE9ELNS1_3repE0EEENS1_60segmented_radix_sort_warp_sort_medium_config_static_selectorELNS0_4arch9wavefront6targetE1EEEvSL_.private_seg_size, 0
	.set _ZN7rocprim17ROCPRIM_400000_NS6detail17trampoline_kernelINS0_14default_configENS1_36segmented_radix_sort_config_selectorI6__halflEEZNS1_25segmented_radix_sort_implIS3_Lb1EPKS5_PS5_PKlPlN2at6native12_GLOBAL__N_18offset_tEEE10hipError_tPvRmT1_PNSt15iterator_traitsISL_E10value_typeET2_T3_PNSM_ISR_E10value_typeET4_jRbjT5_SX_jjP12ihipStream_tbEUlT_E0_NS1_11comp_targetILNS1_3genE5ELNS1_11target_archE942ELNS1_3gpuE9ELNS1_3repE0EEENS1_60segmented_radix_sort_warp_sort_medium_config_static_selectorELNS0_4arch9wavefront6targetE1EEEvSL_.uses_vcc, 0
	.set _ZN7rocprim17ROCPRIM_400000_NS6detail17trampoline_kernelINS0_14default_configENS1_36segmented_radix_sort_config_selectorI6__halflEEZNS1_25segmented_radix_sort_implIS3_Lb1EPKS5_PS5_PKlPlN2at6native12_GLOBAL__N_18offset_tEEE10hipError_tPvRmT1_PNSt15iterator_traitsISL_E10value_typeET2_T3_PNSM_ISR_E10value_typeET4_jRbjT5_SX_jjP12ihipStream_tbEUlT_E0_NS1_11comp_targetILNS1_3genE5ELNS1_11target_archE942ELNS1_3gpuE9ELNS1_3repE0EEENS1_60segmented_radix_sort_warp_sort_medium_config_static_selectorELNS0_4arch9wavefront6targetE1EEEvSL_.uses_flat_scratch, 0
	.set _ZN7rocprim17ROCPRIM_400000_NS6detail17trampoline_kernelINS0_14default_configENS1_36segmented_radix_sort_config_selectorI6__halflEEZNS1_25segmented_radix_sort_implIS3_Lb1EPKS5_PS5_PKlPlN2at6native12_GLOBAL__N_18offset_tEEE10hipError_tPvRmT1_PNSt15iterator_traitsISL_E10value_typeET2_T3_PNSM_ISR_E10value_typeET4_jRbjT5_SX_jjP12ihipStream_tbEUlT_E0_NS1_11comp_targetILNS1_3genE5ELNS1_11target_archE942ELNS1_3gpuE9ELNS1_3repE0EEENS1_60segmented_radix_sort_warp_sort_medium_config_static_selectorELNS0_4arch9wavefront6targetE1EEEvSL_.has_dyn_sized_stack, 0
	.set _ZN7rocprim17ROCPRIM_400000_NS6detail17trampoline_kernelINS0_14default_configENS1_36segmented_radix_sort_config_selectorI6__halflEEZNS1_25segmented_radix_sort_implIS3_Lb1EPKS5_PS5_PKlPlN2at6native12_GLOBAL__N_18offset_tEEE10hipError_tPvRmT1_PNSt15iterator_traitsISL_E10value_typeET2_T3_PNSM_ISR_E10value_typeET4_jRbjT5_SX_jjP12ihipStream_tbEUlT_E0_NS1_11comp_targetILNS1_3genE5ELNS1_11target_archE942ELNS1_3gpuE9ELNS1_3repE0EEENS1_60segmented_radix_sort_warp_sort_medium_config_static_selectorELNS0_4arch9wavefront6targetE1EEEvSL_.has_recursion, 0
	.set _ZN7rocprim17ROCPRIM_400000_NS6detail17trampoline_kernelINS0_14default_configENS1_36segmented_radix_sort_config_selectorI6__halflEEZNS1_25segmented_radix_sort_implIS3_Lb1EPKS5_PS5_PKlPlN2at6native12_GLOBAL__N_18offset_tEEE10hipError_tPvRmT1_PNSt15iterator_traitsISL_E10value_typeET2_T3_PNSM_ISR_E10value_typeET4_jRbjT5_SX_jjP12ihipStream_tbEUlT_E0_NS1_11comp_targetILNS1_3genE5ELNS1_11target_archE942ELNS1_3gpuE9ELNS1_3repE0EEENS1_60segmented_radix_sort_warp_sort_medium_config_static_selectorELNS0_4arch9wavefront6targetE1EEEvSL_.has_indirect_call, 0
	.section	.AMDGPU.csdata,"",@progbits
; Kernel info:
; codeLenInByte = 0
; TotalNumSgprs: 4
; NumVgprs: 0
; ScratchSize: 0
; MemoryBound: 0
; FloatMode: 240
; IeeeMode: 1
; LDSByteSize: 0 bytes/workgroup (compile time only)
; SGPRBlocks: 0
; VGPRBlocks: 0
; NumSGPRsForWavesPerEU: 4
; NumVGPRsForWavesPerEU: 1
; Occupancy: 10
; WaveLimiterHint : 0
; COMPUTE_PGM_RSRC2:SCRATCH_EN: 0
; COMPUTE_PGM_RSRC2:USER_SGPR: 6
; COMPUTE_PGM_RSRC2:TRAP_HANDLER: 0
; COMPUTE_PGM_RSRC2:TGID_X_EN: 1
; COMPUTE_PGM_RSRC2:TGID_Y_EN: 0
; COMPUTE_PGM_RSRC2:TGID_Z_EN: 0
; COMPUTE_PGM_RSRC2:TIDIG_COMP_CNT: 0
	.section	.text._ZN7rocprim17ROCPRIM_400000_NS6detail17trampoline_kernelINS0_14default_configENS1_36segmented_radix_sort_config_selectorI6__halflEEZNS1_25segmented_radix_sort_implIS3_Lb1EPKS5_PS5_PKlPlN2at6native12_GLOBAL__N_18offset_tEEE10hipError_tPvRmT1_PNSt15iterator_traitsISL_E10value_typeET2_T3_PNSM_ISR_E10value_typeET4_jRbjT5_SX_jjP12ihipStream_tbEUlT_E0_NS1_11comp_targetILNS1_3genE4ELNS1_11target_archE910ELNS1_3gpuE8ELNS1_3repE0EEENS1_60segmented_radix_sort_warp_sort_medium_config_static_selectorELNS0_4arch9wavefront6targetE1EEEvSL_,"axG",@progbits,_ZN7rocprim17ROCPRIM_400000_NS6detail17trampoline_kernelINS0_14default_configENS1_36segmented_radix_sort_config_selectorI6__halflEEZNS1_25segmented_radix_sort_implIS3_Lb1EPKS5_PS5_PKlPlN2at6native12_GLOBAL__N_18offset_tEEE10hipError_tPvRmT1_PNSt15iterator_traitsISL_E10value_typeET2_T3_PNSM_ISR_E10value_typeET4_jRbjT5_SX_jjP12ihipStream_tbEUlT_E0_NS1_11comp_targetILNS1_3genE4ELNS1_11target_archE910ELNS1_3gpuE8ELNS1_3repE0EEENS1_60segmented_radix_sort_warp_sort_medium_config_static_selectorELNS0_4arch9wavefront6targetE1EEEvSL_,comdat
	.globl	_ZN7rocprim17ROCPRIM_400000_NS6detail17trampoline_kernelINS0_14default_configENS1_36segmented_radix_sort_config_selectorI6__halflEEZNS1_25segmented_radix_sort_implIS3_Lb1EPKS5_PS5_PKlPlN2at6native12_GLOBAL__N_18offset_tEEE10hipError_tPvRmT1_PNSt15iterator_traitsISL_E10value_typeET2_T3_PNSM_ISR_E10value_typeET4_jRbjT5_SX_jjP12ihipStream_tbEUlT_E0_NS1_11comp_targetILNS1_3genE4ELNS1_11target_archE910ELNS1_3gpuE8ELNS1_3repE0EEENS1_60segmented_radix_sort_warp_sort_medium_config_static_selectorELNS0_4arch9wavefront6targetE1EEEvSL_ ; -- Begin function _ZN7rocprim17ROCPRIM_400000_NS6detail17trampoline_kernelINS0_14default_configENS1_36segmented_radix_sort_config_selectorI6__halflEEZNS1_25segmented_radix_sort_implIS3_Lb1EPKS5_PS5_PKlPlN2at6native12_GLOBAL__N_18offset_tEEE10hipError_tPvRmT1_PNSt15iterator_traitsISL_E10value_typeET2_T3_PNSM_ISR_E10value_typeET4_jRbjT5_SX_jjP12ihipStream_tbEUlT_E0_NS1_11comp_targetILNS1_3genE4ELNS1_11target_archE910ELNS1_3gpuE8ELNS1_3repE0EEENS1_60segmented_radix_sort_warp_sort_medium_config_static_selectorELNS0_4arch9wavefront6targetE1EEEvSL_
	.p2align	8
	.type	_ZN7rocprim17ROCPRIM_400000_NS6detail17trampoline_kernelINS0_14default_configENS1_36segmented_radix_sort_config_selectorI6__halflEEZNS1_25segmented_radix_sort_implIS3_Lb1EPKS5_PS5_PKlPlN2at6native12_GLOBAL__N_18offset_tEEE10hipError_tPvRmT1_PNSt15iterator_traitsISL_E10value_typeET2_T3_PNSM_ISR_E10value_typeET4_jRbjT5_SX_jjP12ihipStream_tbEUlT_E0_NS1_11comp_targetILNS1_3genE4ELNS1_11target_archE910ELNS1_3gpuE8ELNS1_3repE0EEENS1_60segmented_radix_sort_warp_sort_medium_config_static_selectorELNS0_4arch9wavefront6targetE1EEEvSL_,@function
_ZN7rocprim17ROCPRIM_400000_NS6detail17trampoline_kernelINS0_14default_configENS1_36segmented_radix_sort_config_selectorI6__halflEEZNS1_25segmented_radix_sort_implIS3_Lb1EPKS5_PS5_PKlPlN2at6native12_GLOBAL__N_18offset_tEEE10hipError_tPvRmT1_PNSt15iterator_traitsISL_E10value_typeET2_T3_PNSM_ISR_E10value_typeET4_jRbjT5_SX_jjP12ihipStream_tbEUlT_E0_NS1_11comp_targetILNS1_3genE4ELNS1_11target_archE910ELNS1_3gpuE8ELNS1_3repE0EEENS1_60segmented_radix_sort_warp_sort_medium_config_static_selectorELNS0_4arch9wavefront6targetE1EEEvSL_: ; @_ZN7rocprim17ROCPRIM_400000_NS6detail17trampoline_kernelINS0_14default_configENS1_36segmented_radix_sort_config_selectorI6__halflEEZNS1_25segmented_radix_sort_implIS3_Lb1EPKS5_PS5_PKlPlN2at6native12_GLOBAL__N_18offset_tEEE10hipError_tPvRmT1_PNSt15iterator_traitsISL_E10value_typeET2_T3_PNSM_ISR_E10value_typeET4_jRbjT5_SX_jjP12ihipStream_tbEUlT_E0_NS1_11comp_targetILNS1_3genE4ELNS1_11target_archE910ELNS1_3gpuE8ELNS1_3repE0EEENS1_60segmented_radix_sort_warp_sort_medium_config_static_selectorELNS0_4arch9wavefront6targetE1EEEvSL_
; %bb.0:
	.section	.rodata,"a",@progbits
	.p2align	6, 0x0
	.amdhsa_kernel _ZN7rocprim17ROCPRIM_400000_NS6detail17trampoline_kernelINS0_14default_configENS1_36segmented_radix_sort_config_selectorI6__halflEEZNS1_25segmented_radix_sort_implIS3_Lb1EPKS5_PS5_PKlPlN2at6native12_GLOBAL__N_18offset_tEEE10hipError_tPvRmT1_PNSt15iterator_traitsISL_E10value_typeET2_T3_PNSM_ISR_E10value_typeET4_jRbjT5_SX_jjP12ihipStream_tbEUlT_E0_NS1_11comp_targetILNS1_3genE4ELNS1_11target_archE910ELNS1_3gpuE8ELNS1_3repE0EEENS1_60segmented_radix_sort_warp_sort_medium_config_static_selectorELNS0_4arch9wavefront6targetE1EEEvSL_
		.amdhsa_group_segment_fixed_size 0
		.amdhsa_private_segment_fixed_size 0
		.amdhsa_kernarg_size 88
		.amdhsa_user_sgpr_count 6
		.amdhsa_user_sgpr_private_segment_buffer 1
		.amdhsa_user_sgpr_dispatch_ptr 0
		.amdhsa_user_sgpr_queue_ptr 0
		.amdhsa_user_sgpr_kernarg_segment_ptr 1
		.amdhsa_user_sgpr_dispatch_id 0
		.amdhsa_user_sgpr_flat_scratch_init 0
		.amdhsa_user_sgpr_private_segment_size 0
		.amdhsa_uses_dynamic_stack 0
		.amdhsa_system_sgpr_private_segment_wavefront_offset 0
		.amdhsa_system_sgpr_workgroup_id_x 1
		.amdhsa_system_sgpr_workgroup_id_y 0
		.amdhsa_system_sgpr_workgroup_id_z 0
		.amdhsa_system_sgpr_workgroup_info 0
		.amdhsa_system_vgpr_workitem_id 0
		.amdhsa_next_free_vgpr 1
		.amdhsa_next_free_sgpr 0
		.amdhsa_reserve_vcc 0
		.amdhsa_reserve_flat_scratch 0
		.amdhsa_float_round_mode_32 0
		.amdhsa_float_round_mode_16_64 0
		.amdhsa_float_denorm_mode_32 3
		.amdhsa_float_denorm_mode_16_64 3
		.amdhsa_dx10_clamp 1
		.amdhsa_ieee_mode 1
		.amdhsa_fp16_overflow 0
		.amdhsa_exception_fp_ieee_invalid_op 0
		.amdhsa_exception_fp_denorm_src 0
		.amdhsa_exception_fp_ieee_div_zero 0
		.amdhsa_exception_fp_ieee_overflow 0
		.amdhsa_exception_fp_ieee_underflow 0
		.amdhsa_exception_fp_ieee_inexact 0
		.amdhsa_exception_int_div_zero 0
	.end_amdhsa_kernel
	.section	.text._ZN7rocprim17ROCPRIM_400000_NS6detail17trampoline_kernelINS0_14default_configENS1_36segmented_radix_sort_config_selectorI6__halflEEZNS1_25segmented_radix_sort_implIS3_Lb1EPKS5_PS5_PKlPlN2at6native12_GLOBAL__N_18offset_tEEE10hipError_tPvRmT1_PNSt15iterator_traitsISL_E10value_typeET2_T3_PNSM_ISR_E10value_typeET4_jRbjT5_SX_jjP12ihipStream_tbEUlT_E0_NS1_11comp_targetILNS1_3genE4ELNS1_11target_archE910ELNS1_3gpuE8ELNS1_3repE0EEENS1_60segmented_radix_sort_warp_sort_medium_config_static_selectorELNS0_4arch9wavefront6targetE1EEEvSL_,"axG",@progbits,_ZN7rocprim17ROCPRIM_400000_NS6detail17trampoline_kernelINS0_14default_configENS1_36segmented_radix_sort_config_selectorI6__halflEEZNS1_25segmented_radix_sort_implIS3_Lb1EPKS5_PS5_PKlPlN2at6native12_GLOBAL__N_18offset_tEEE10hipError_tPvRmT1_PNSt15iterator_traitsISL_E10value_typeET2_T3_PNSM_ISR_E10value_typeET4_jRbjT5_SX_jjP12ihipStream_tbEUlT_E0_NS1_11comp_targetILNS1_3genE4ELNS1_11target_archE910ELNS1_3gpuE8ELNS1_3repE0EEENS1_60segmented_radix_sort_warp_sort_medium_config_static_selectorELNS0_4arch9wavefront6targetE1EEEvSL_,comdat
.Lfunc_end1751:
	.size	_ZN7rocprim17ROCPRIM_400000_NS6detail17trampoline_kernelINS0_14default_configENS1_36segmented_radix_sort_config_selectorI6__halflEEZNS1_25segmented_radix_sort_implIS3_Lb1EPKS5_PS5_PKlPlN2at6native12_GLOBAL__N_18offset_tEEE10hipError_tPvRmT1_PNSt15iterator_traitsISL_E10value_typeET2_T3_PNSM_ISR_E10value_typeET4_jRbjT5_SX_jjP12ihipStream_tbEUlT_E0_NS1_11comp_targetILNS1_3genE4ELNS1_11target_archE910ELNS1_3gpuE8ELNS1_3repE0EEENS1_60segmented_radix_sort_warp_sort_medium_config_static_selectorELNS0_4arch9wavefront6targetE1EEEvSL_, .Lfunc_end1751-_ZN7rocprim17ROCPRIM_400000_NS6detail17trampoline_kernelINS0_14default_configENS1_36segmented_radix_sort_config_selectorI6__halflEEZNS1_25segmented_radix_sort_implIS3_Lb1EPKS5_PS5_PKlPlN2at6native12_GLOBAL__N_18offset_tEEE10hipError_tPvRmT1_PNSt15iterator_traitsISL_E10value_typeET2_T3_PNSM_ISR_E10value_typeET4_jRbjT5_SX_jjP12ihipStream_tbEUlT_E0_NS1_11comp_targetILNS1_3genE4ELNS1_11target_archE910ELNS1_3gpuE8ELNS1_3repE0EEENS1_60segmented_radix_sort_warp_sort_medium_config_static_selectorELNS0_4arch9wavefront6targetE1EEEvSL_
                                        ; -- End function
	.set _ZN7rocprim17ROCPRIM_400000_NS6detail17trampoline_kernelINS0_14default_configENS1_36segmented_radix_sort_config_selectorI6__halflEEZNS1_25segmented_radix_sort_implIS3_Lb1EPKS5_PS5_PKlPlN2at6native12_GLOBAL__N_18offset_tEEE10hipError_tPvRmT1_PNSt15iterator_traitsISL_E10value_typeET2_T3_PNSM_ISR_E10value_typeET4_jRbjT5_SX_jjP12ihipStream_tbEUlT_E0_NS1_11comp_targetILNS1_3genE4ELNS1_11target_archE910ELNS1_3gpuE8ELNS1_3repE0EEENS1_60segmented_radix_sort_warp_sort_medium_config_static_selectorELNS0_4arch9wavefront6targetE1EEEvSL_.num_vgpr, 0
	.set _ZN7rocprim17ROCPRIM_400000_NS6detail17trampoline_kernelINS0_14default_configENS1_36segmented_radix_sort_config_selectorI6__halflEEZNS1_25segmented_radix_sort_implIS3_Lb1EPKS5_PS5_PKlPlN2at6native12_GLOBAL__N_18offset_tEEE10hipError_tPvRmT1_PNSt15iterator_traitsISL_E10value_typeET2_T3_PNSM_ISR_E10value_typeET4_jRbjT5_SX_jjP12ihipStream_tbEUlT_E0_NS1_11comp_targetILNS1_3genE4ELNS1_11target_archE910ELNS1_3gpuE8ELNS1_3repE0EEENS1_60segmented_radix_sort_warp_sort_medium_config_static_selectorELNS0_4arch9wavefront6targetE1EEEvSL_.num_agpr, 0
	.set _ZN7rocprim17ROCPRIM_400000_NS6detail17trampoline_kernelINS0_14default_configENS1_36segmented_radix_sort_config_selectorI6__halflEEZNS1_25segmented_radix_sort_implIS3_Lb1EPKS5_PS5_PKlPlN2at6native12_GLOBAL__N_18offset_tEEE10hipError_tPvRmT1_PNSt15iterator_traitsISL_E10value_typeET2_T3_PNSM_ISR_E10value_typeET4_jRbjT5_SX_jjP12ihipStream_tbEUlT_E0_NS1_11comp_targetILNS1_3genE4ELNS1_11target_archE910ELNS1_3gpuE8ELNS1_3repE0EEENS1_60segmented_radix_sort_warp_sort_medium_config_static_selectorELNS0_4arch9wavefront6targetE1EEEvSL_.numbered_sgpr, 0
	.set _ZN7rocprim17ROCPRIM_400000_NS6detail17trampoline_kernelINS0_14default_configENS1_36segmented_radix_sort_config_selectorI6__halflEEZNS1_25segmented_radix_sort_implIS3_Lb1EPKS5_PS5_PKlPlN2at6native12_GLOBAL__N_18offset_tEEE10hipError_tPvRmT1_PNSt15iterator_traitsISL_E10value_typeET2_T3_PNSM_ISR_E10value_typeET4_jRbjT5_SX_jjP12ihipStream_tbEUlT_E0_NS1_11comp_targetILNS1_3genE4ELNS1_11target_archE910ELNS1_3gpuE8ELNS1_3repE0EEENS1_60segmented_radix_sort_warp_sort_medium_config_static_selectorELNS0_4arch9wavefront6targetE1EEEvSL_.num_named_barrier, 0
	.set _ZN7rocprim17ROCPRIM_400000_NS6detail17trampoline_kernelINS0_14default_configENS1_36segmented_radix_sort_config_selectorI6__halflEEZNS1_25segmented_radix_sort_implIS3_Lb1EPKS5_PS5_PKlPlN2at6native12_GLOBAL__N_18offset_tEEE10hipError_tPvRmT1_PNSt15iterator_traitsISL_E10value_typeET2_T3_PNSM_ISR_E10value_typeET4_jRbjT5_SX_jjP12ihipStream_tbEUlT_E0_NS1_11comp_targetILNS1_3genE4ELNS1_11target_archE910ELNS1_3gpuE8ELNS1_3repE0EEENS1_60segmented_radix_sort_warp_sort_medium_config_static_selectorELNS0_4arch9wavefront6targetE1EEEvSL_.private_seg_size, 0
	.set _ZN7rocprim17ROCPRIM_400000_NS6detail17trampoline_kernelINS0_14default_configENS1_36segmented_radix_sort_config_selectorI6__halflEEZNS1_25segmented_radix_sort_implIS3_Lb1EPKS5_PS5_PKlPlN2at6native12_GLOBAL__N_18offset_tEEE10hipError_tPvRmT1_PNSt15iterator_traitsISL_E10value_typeET2_T3_PNSM_ISR_E10value_typeET4_jRbjT5_SX_jjP12ihipStream_tbEUlT_E0_NS1_11comp_targetILNS1_3genE4ELNS1_11target_archE910ELNS1_3gpuE8ELNS1_3repE0EEENS1_60segmented_radix_sort_warp_sort_medium_config_static_selectorELNS0_4arch9wavefront6targetE1EEEvSL_.uses_vcc, 0
	.set _ZN7rocprim17ROCPRIM_400000_NS6detail17trampoline_kernelINS0_14default_configENS1_36segmented_radix_sort_config_selectorI6__halflEEZNS1_25segmented_radix_sort_implIS3_Lb1EPKS5_PS5_PKlPlN2at6native12_GLOBAL__N_18offset_tEEE10hipError_tPvRmT1_PNSt15iterator_traitsISL_E10value_typeET2_T3_PNSM_ISR_E10value_typeET4_jRbjT5_SX_jjP12ihipStream_tbEUlT_E0_NS1_11comp_targetILNS1_3genE4ELNS1_11target_archE910ELNS1_3gpuE8ELNS1_3repE0EEENS1_60segmented_radix_sort_warp_sort_medium_config_static_selectorELNS0_4arch9wavefront6targetE1EEEvSL_.uses_flat_scratch, 0
	.set _ZN7rocprim17ROCPRIM_400000_NS6detail17trampoline_kernelINS0_14default_configENS1_36segmented_radix_sort_config_selectorI6__halflEEZNS1_25segmented_radix_sort_implIS3_Lb1EPKS5_PS5_PKlPlN2at6native12_GLOBAL__N_18offset_tEEE10hipError_tPvRmT1_PNSt15iterator_traitsISL_E10value_typeET2_T3_PNSM_ISR_E10value_typeET4_jRbjT5_SX_jjP12ihipStream_tbEUlT_E0_NS1_11comp_targetILNS1_3genE4ELNS1_11target_archE910ELNS1_3gpuE8ELNS1_3repE0EEENS1_60segmented_radix_sort_warp_sort_medium_config_static_selectorELNS0_4arch9wavefront6targetE1EEEvSL_.has_dyn_sized_stack, 0
	.set _ZN7rocprim17ROCPRIM_400000_NS6detail17trampoline_kernelINS0_14default_configENS1_36segmented_radix_sort_config_selectorI6__halflEEZNS1_25segmented_radix_sort_implIS3_Lb1EPKS5_PS5_PKlPlN2at6native12_GLOBAL__N_18offset_tEEE10hipError_tPvRmT1_PNSt15iterator_traitsISL_E10value_typeET2_T3_PNSM_ISR_E10value_typeET4_jRbjT5_SX_jjP12ihipStream_tbEUlT_E0_NS1_11comp_targetILNS1_3genE4ELNS1_11target_archE910ELNS1_3gpuE8ELNS1_3repE0EEENS1_60segmented_radix_sort_warp_sort_medium_config_static_selectorELNS0_4arch9wavefront6targetE1EEEvSL_.has_recursion, 0
	.set _ZN7rocprim17ROCPRIM_400000_NS6detail17trampoline_kernelINS0_14default_configENS1_36segmented_radix_sort_config_selectorI6__halflEEZNS1_25segmented_radix_sort_implIS3_Lb1EPKS5_PS5_PKlPlN2at6native12_GLOBAL__N_18offset_tEEE10hipError_tPvRmT1_PNSt15iterator_traitsISL_E10value_typeET2_T3_PNSM_ISR_E10value_typeET4_jRbjT5_SX_jjP12ihipStream_tbEUlT_E0_NS1_11comp_targetILNS1_3genE4ELNS1_11target_archE910ELNS1_3gpuE8ELNS1_3repE0EEENS1_60segmented_radix_sort_warp_sort_medium_config_static_selectorELNS0_4arch9wavefront6targetE1EEEvSL_.has_indirect_call, 0
	.section	.AMDGPU.csdata,"",@progbits
; Kernel info:
; codeLenInByte = 0
; TotalNumSgprs: 4
; NumVgprs: 0
; ScratchSize: 0
; MemoryBound: 0
; FloatMode: 240
; IeeeMode: 1
; LDSByteSize: 0 bytes/workgroup (compile time only)
; SGPRBlocks: 0
; VGPRBlocks: 0
; NumSGPRsForWavesPerEU: 4
; NumVGPRsForWavesPerEU: 1
; Occupancy: 10
; WaveLimiterHint : 0
; COMPUTE_PGM_RSRC2:SCRATCH_EN: 0
; COMPUTE_PGM_RSRC2:USER_SGPR: 6
; COMPUTE_PGM_RSRC2:TRAP_HANDLER: 0
; COMPUTE_PGM_RSRC2:TGID_X_EN: 1
; COMPUTE_PGM_RSRC2:TGID_Y_EN: 0
; COMPUTE_PGM_RSRC2:TGID_Z_EN: 0
; COMPUTE_PGM_RSRC2:TIDIG_COMP_CNT: 0
	.section	.text._ZN7rocprim17ROCPRIM_400000_NS6detail17trampoline_kernelINS0_14default_configENS1_36segmented_radix_sort_config_selectorI6__halflEEZNS1_25segmented_radix_sort_implIS3_Lb1EPKS5_PS5_PKlPlN2at6native12_GLOBAL__N_18offset_tEEE10hipError_tPvRmT1_PNSt15iterator_traitsISL_E10value_typeET2_T3_PNSM_ISR_E10value_typeET4_jRbjT5_SX_jjP12ihipStream_tbEUlT_E0_NS1_11comp_targetILNS1_3genE3ELNS1_11target_archE908ELNS1_3gpuE7ELNS1_3repE0EEENS1_60segmented_radix_sort_warp_sort_medium_config_static_selectorELNS0_4arch9wavefront6targetE1EEEvSL_,"axG",@progbits,_ZN7rocprim17ROCPRIM_400000_NS6detail17trampoline_kernelINS0_14default_configENS1_36segmented_radix_sort_config_selectorI6__halflEEZNS1_25segmented_radix_sort_implIS3_Lb1EPKS5_PS5_PKlPlN2at6native12_GLOBAL__N_18offset_tEEE10hipError_tPvRmT1_PNSt15iterator_traitsISL_E10value_typeET2_T3_PNSM_ISR_E10value_typeET4_jRbjT5_SX_jjP12ihipStream_tbEUlT_E0_NS1_11comp_targetILNS1_3genE3ELNS1_11target_archE908ELNS1_3gpuE7ELNS1_3repE0EEENS1_60segmented_radix_sort_warp_sort_medium_config_static_selectorELNS0_4arch9wavefront6targetE1EEEvSL_,comdat
	.globl	_ZN7rocprim17ROCPRIM_400000_NS6detail17trampoline_kernelINS0_14default_configENS1_36segmented_radix_sort_config_selectorI6__halflEEZNS1_25segmented_radix_sort_implIS3_Lb1EPKS5_PS5_PKlPlN2at6native12_GLOBAL__N_18offset_tEEE10hipError_tPvRmT1_PNSt15iterator_traitsISL_E10value_typeET2_T3_PNSM_ISR_E10value_typeET4_jRbjT5_SX_jjP12ihipStream_tbEUlT_E0_NS1_11comp_targetILNS1_3genE3ELNS1_11target_archE908ELNS1_3gpuE7ELNS1_3repE0EEENS1_60segmented_radix_sort_warp_sort_medium_config_static_selectorELNS0_4arch9wavefront6targetE1EEEvSL_ ; -- Begin function _ZN7rocprim17ROCPRIM_400000_NS6detail17trampoline_kernelINS0_14default_configENS1_36segmented_radix_sort_config_selectorI6__halflEEZNS1_25segmented_radix_sort_implIS3_Lb1EPKS5_PS5_PKlPlN2at6native12_GLOBAL__N_18offset_tEEE10hipError_tPvRmT1_PNSt15iterator_traitsISL_E10value_typeET2_T3_PNSM_ISR_E10value_typeET4_jRbjT5_SX_jjP12ihipStream_tbEUlT_E0_NS1_11comp_targetILNS1_3genE3ELNS1_11target_archE908ELNS1_3gpuE7ELNS1_3repE0EEENS1_60segmented_radix_sort_warp_sort_medium_config_static_selectorELNS0_4arch9wavefront6targetE1EEEvSL_
	.p2align	8
	.type	_ZN7rocprim17ROCPRIM_400000_NS6detail17trampoline_kernelINS0_14default_configENS1_36segmented_radix_sort_config_selectorI6__halflEEZNS1_25segmented_radix_sort_implIS3_Lb1EPKS5_PS5_PKlPlN2at6native12_GLOBAL__N_18offset_tEEE10hipError_tPvRmT1_PNSt15iterator_traitsISL_E10value_typeET2_T3_PNSM_ISR_E10value_typeET4_jRbjT5_SX_jjP12ihipStream_tbEUlT_E0_NS1_11comp_targetILNS1_3genE3ELNS1_11target_archE908ELNS1_3gpuE7ELNS1_3repE0EEENS1_60segmented_radix_sort_warp_sort_medium_config_static_selectorELNS0_4arch9wavefront6targetE1EEEvSL_,@function
_ZN7rocprim17ROCPRIM_400000_NS6detail17trampoline_kernelINS0_14default_configENS1_36segmented_radix_sort_config_selectorI6__halflEEZNS1_25segmented_radix_sort_implIS3_Lb1EPKS5_PS5_PKlPlN2at6native12_GLOBAL__N_18offset_tEEE10hipError_tPvRmT1_PNSt15iterator_traitsISL_E10value_typeET2_T3_PNSM_ISR_E10value_typeET4_jRbjT5_SX_jjP12ihipStream_tbEUlT_E0_NS1_11comp_targetILNS1_3genE3ELNS1_11target_archE908ELNS1_3gpuE7ELNS1_3repE0EEENS1_60segmented_radix_sort_warp_sort_medium_config_static_selectorELNS0_4arch9wavefront6targetE1EEEvSL_: ; @_ZN7rocprim17ROCPRIM_400000_NS6detail17trampoline_kernelINS0_14default_configENS1_36segmented_radix_sort_config_selectorI6__halflEEZNS1_25segmented_radix_sort_implIS3_Lb1EPKS5_PS5_PKlPlN2at6native12_GLOBAL__N_18offset_tEEE10hipError_tPvRmT1_PNSt15iterator_traitsISL_E10value_typeET2_T3_PNSM_ISR_E10value_typeET4_jRbjT5_SX_jjP12ihipStream_tbEUlT_E0_NS1_11comp_targetILNS1_3genE3ELNS1_11target_archE908ELNS1_3gpuE7ELNS1_3repE0EEENS1_60segmented_radix_sort_warp_sort_medium_config_static_selectorELNS0_4arch9wavefront6targetE1EEEvSL_
; %bb.0:
	.section	.rodata,"a",@progbits
	.p2align	6, 0x0
	.amdhsa_kernel _ZN7rocprim17ROCPRIM_400000_NS6detail17trampoline_kernelINS0_14default_configENS1_36segmented_radix_sort_config_selectorI6__halflEEZNS1_25segmented_radix_sort_implIS3_Lb1EPKS5_PS5_PKlPlN2at6native12_GLOBAL__N_18offset_tEEE10hipError_tPvRmT1_PNSt15iterator_traitsISL_E10value_typeET2_T3_PNSM_ISR_E10value_typeET4_jRbjT5_SX_jjP12ihipStream_tbEUlT_E0_NS1_11comp_targetILNS1_3genE3ELNS1_11target_archE908ELNS1_3gpuE7ELNS1_3repE0EEENS1_60segmented_radix_sort_warp_sort_medium_config_static_selectorELNS0_4arch9wavefront6targetE1EEEvSL_
		.amdhsa_group_segment_fixed_size 0
		.amdhsa_private_segment_fixed_size 0
		.amdhsa_kernarg_size 88
		.amdhsa_user_sgpr_count 6
		.amdhsa_user_sgpr_private_segment_buffer 1
		.amdhsa_user_sgpr_dispatch_ptr 0
		.amdhsa_user_sgpr_queue_ptr 0
		.amdhsa_user_sgpr_kernarg_segment_ptr 1
		.amdhsa_user_sgpr_dispatch_id 0
		.amdhsa_user_sgpr_flat_scratch_init 0
		.amdhsa_user_sgpr_private_segment_size 0
		.amdhsa_uses_dynamic_stack 0
		.amdhsa_system_sgpr_private_segment_wavefront_offset 0
		.amdhsa_system_sgpr_workgroup_id_x 1
		.amdhsa_system_sgpr_workgroup_id_y 0
		.amdhsa_system_sgpr_workgroup_id_z 0
		.amdhsa_system_sgpr_workgroup_info 0
		.amdhsa_system_vgpr_workitem_id 0
		.amdhsa_next_free_vgpr 1
		.amdhsa_next_free_sgpr 0
		.amdhsa_reserve_vcc 0
		.amdhsa_reserve_flat_scratch 0
		.amdhsa_float_round_mode_32 0
		.amdhsa_float_round_mode_16_64 0
		.amdhsa_float_denorm_mode_32 3
		.amdhsa_float_denorm_mode_16_64 3
		.amdhsa_dx10_clamp 1
		.amdhsa_ieee_mode 1
		.amdhsa_fp16_overflow 0
		.amdhsa_exception_fp_ieee_invalid_op 0
		.amdhsa_exception_fp_denorm_src 0
		.amdhsa_exception_fp_ieee_div_zero 0
		.amdhsa_exception_fp_ieee_overflow 0
		.amdhsa_exception_fp_ieee_underflow 0
		.amdhsa_exception_fp_ieee_inexact 0
		.amdhsa_exception_int_div_zero 0
	.end_amdhsa_kernel
	.section	.text._ZN7rocprim17ROCPRIM_400000_NS6detail17trampoline_kernelINS0_14default_configENS1_36segmented_radix_sort_config_selectorI6__halflEEZNS1_25segmented_radix_sort_implIS3_Lb1EPKS5_PS5_PKlPlN2at6native12_GLOBAL__N_18offset_tEEE10hipError_tPvRmT1_PNSt15iterator_traitsISL_E10value_typeET2_T3_PNSM_ISR_E10value_typeET4_jRbjT5_SX_jjP12ihipStream_tbEUlT_E0_NS1_11comp_targetILNS1_3genE3ELNS1_11target_archE908ELNS1_3gpuE7ELNS1_3repE0EEENS1_60segmented_radix_sort_warp_sort_medium_config_static_selectorELNS0_4arch9wavefront6targetE1EEEvSL_,"axG",@progbits,_ZN7rocprim17ROCPRIM_400000_NS6detail17trampoline_kernelINS0_14default_configENS1_36segmented_radix_sort_config_selectorI6__halflEEZNS1_25segmented_radix_sort_implIS3_Lb1EPKS5_PS5_PKlPlN2at6native12_GLOBAL__N_18offset_tEEE10hipError_tPvRmT1_PNSt15iterator_traitsISL_E10value_typeET2_T3_PNSM_ISR_E10value_typeET4_jRbjT5_SX_jjP12ihipStream_tbEUlT_E0_NS1_11comp_targetILNS1_3genE3ELNS1_11target_archE908ELNS1_3gpuE7ELNS1_3repE0EEENS1_60segmented_radix_sort_warp_sort_medium_config_static_selectorELNS0_4arch9wavefront6targetE1EEEvSL_,comdat
.Lfunc_end1752:
	.size	_ZN7rocprim17ROCPRIM_400000_NS6detail17trampoline_kernelINS0_14default_configENS1_36segmented_radix_sort_config_selectorI6__halflEEZNS1_25segmented_radix_sort_implIS3_Lb1EPKS5_PS5_PKlPlN2at6native12_GLOBAL__N_18offset_tEEE10hipError_tPvRmT1_PNSt15iterator_traitsISL_E10value_typeET2_T3_PNSM_ISR_E10value_typeET4_jRbjT5_SX_jjP12ihipStream_tbEUlT_E0_NS1_11comp_targetILNS1_3genE3ELNS1_11target_archE908ELNS1_3gpuE7ELNS1_3repE0EEENS1_60segmented_radix_sort_warp_sort_medium_config_static_selectorELNS0_4arch9wavefront6targetE1EEEvSL_, .Lfunc_end1752-_ZN7rocprim17ROCPRIM_400000_NS6detail17trampoline_kernelINS0_14default_configENS1_36segmented_radix_sort_config_selectorI6__halflEEZNS1_25segmented_radix_sort_implIS3_Lb1EPKS5_PS5_PKlPlN2at6native12_GLOBAL__N_18offset_tEEE10hipError_tPvRmT1_PNSt15iterator_traitsISL_E10value_typeET2_T3_PNSM_ISR_E10value_typeET4_jRbjT5_SX_jjP12ihipStream_tbEUlT_E0_NS1_11comp_targetILNS1_3genE3ELNS1_11target_archE908ELNS1_3gpuE7ELNS1_3repE0EEENS1_60segmented_radix_sort_warp_sort_medium_config_static_selectorELNS0_4arch9wavefront6targetE1EEEvSL_
                                        ; -- End function
	.set _ZN7rocprim17ROCPRIM_400000_NS6detail17trampoline_kernelINS0_14default_configENS1_36segmented_radix_sort_config_selectorI6__halflEEZNS1_25segmented_radix_sort_implIS3_Lb1EPKS5_PS5_PKlPlN2at6native12_GLOBAL__N_18offset_tEEE10hipError_tPvRmT1_PNSt15iterator_traitsISL_E10value_typeET2_T3_PNSM_ISR_E10value_typeET4_jRbjT5_SX_jjP12ihipStream_tbEUlT_E0_NS1_11comp_targetILNS1_3genE3ELNS1_11target_archE908ELNS1_3gpuE7ELNS1_3repE0EEENS1_60segmented_radix_sort_warp_sort_medium_config_static_selectorELNS0_4arch9wavefront6targetE1EEEvSL_.num_vgpr, 0
	.set _ZN7rocprim17ROCPRIM_400000_NS6detail17trampoline_kernelINS0_14default_configENS1_36segmented_radix_sort_config_selectorI6__halflEEZNS1_25segmented_radix_sort_implIS3_Lb1EPKS5_PS5_PKlPlN2at6native12_GLOBAL__N_18offset_tEEE10hipError_tPvRmT1_PNSt15iterator_traitsISL_E10value_typeET2_T3_PNSM_ISR_E10value_typeET4_jRbjT5_SX_jjP12ihipStream_tbEUlT_E0_NS1_11comp_targetILNS1_3genE3ELNS1_11target_archE908ELNS1_3gpuE7ELNS1_3repE0EEENS1_60segmented_radix_sort_warp_sort_medium_config_static_selectorELNS0_4arch9wavefront6targetE1EEEvSL_.num_agpr, 0
	.set _ZN7rocprim17ROCPRIM_400000_NS6detail17trampoline_kernelINS0_14default_configENS1_36segmented_radix_sort_config_selectorI6__halflEEZNS1_25segmented_radix_sort_implIS3_Lb1EPKS5_PS5_PKlPlN2at6native12_GLOBAL__N_18offset_tEEE10hipError_tPvRmT1_PNSt15iterator_traitsISL_E10value_typeET2_T3_PNSM_ISR_E10value_typeET4_jRbjT5_SX_jjP12ihipStream_tbEUlT_E0_NS1_11comp_targetILNS1_3genE3ELNS1_11target_archE908ELNS1_3gpuE7ELNS1_3repE0EEENS1_60segmented_radix_sort_warp_sort_medium_config_static_selectorELNS0_4arch9wavefront6targetE1EEEvSL_.numbered_sgpr, 0
	.set _ZN7rocprim17ROCPRIM_400000_NS6detail17trampoline_kernelINS0_14default_configENS1_36segmented_radix_sort_config_selectorI6__halflEEZNS1_25segmented_radix_sort_implIS3_Lb1EPKS5_PS5_PKlPlN2at6native12_GLOBAL__N_18offset_tEEE10hipError_tPvRmT1_PNSt15iterator_traitsISL_E10value_typeET2_T3_PNSM_ISR_E10value_typeET4_jRbjT5_SX_jjP12ihipStream_tbEUlT_E0_NS1_11comp_targetILNS1_3genE3ELNS1_11target_archE908ELNS1_3gpuE7ELNS1_3repE0EEENS1_60segmented_radix_sort_warp_sort_medium_config_static_selectorELNS0_4arch9wavefront6targetE1EEEvSL_.num_named_barrier, 0
	.set _ZN7rocprim17ROCPRIM_400000_NS6detail17trampoline_kernelINS0_14default_configENS1_36segmented_radix_sort_config_selectorI6__halflEEZNS1_25segmented_radix_sort_implIS3_Lb1EPKS5_PS5_PKlPlN2at6native12_GLOBAL__N_18offset_tEEE10hipError_tPvRmT1_PNSt15iterator_traitsISL_E10value_typeET2_T3_PNSM_ISR_E10value_typeET4_jRbjT5_SX_jjP12ihipStream_tbEUlT_E0_NS1_11comp_targetILNS1_3genE3ELNS1_11target_archE908ELNS1_3gpuE7ELNS1_3repE0EEENS1_60segmented_radix_sort_warp_sort_medium_config_static_selectorELNS0_4arch9wavefront6targetE1EEEvSL_.private_seg_size, 0
	.set _ZN7rocprim17ROCPRIM_400000_NS6detail17trampoline_kernelINS0_14default_configENS1_36segmented_radix_sort_config_selectorI6__halflEEZNS1_25segmented_radix_sort_implIS3_Lb1EPKS5_PS5_PKlPlN2at6native12_GLOBAL__N_18offset_tEEE10hipError_tPvRmT1_PNSt15iterator_traitsISL_E10value_typeET2_T3_PNSM_ISR_E10value_typeET4_jRbjT5_SX_jjP12ihipStream_tbEUlT_E0_NS1_11comp_targetILNS1_3genE3ELNS1_11target_archE908ELNS1_3gpuE7ELNS1_3repE0EEENS1_60segmented_radix_sort_warp_sort_medium_config_static_selectorELNS0_4arch9wavefront6targetE1EEEvSL_.uses_vcc, 0
	.set _ZN7rocprim17ROCPRIM_400000_NS6detail17trampoline_kernelINS0_14default_configENS1_36segmented_radix_sort_config_selectorI6__halflEEZNS1_25segmented_radix_sort_implIS3_Lb1EPKS5_PS5_PKlPlN2at6native12_GLOBAL__N_18offset_tEEE10hipError_tPvRmT1_PNSt15iterator_traitsISL_E10value_typeET2_T3_PNSM_ISR_E10value_typeET4_jRbjT5_SX_jjP12ihipStream_tbEUlT_E0_NS1_11comp_targetILNS1_3genE3ELNS1_11target_archE908ELNS1_3gpuE7ELNS1_3repE0EEENS1_60segmented_radix_sort_warp_sort_medium_config_static_selectorELNS0_4arch9wavefront6targetE1EEEvSL_.uses_flat_scratch, 0
	.set _ZN7rocprim17ROCPRIM_400000_NS6detail17trampoline_kernelINS0_14default_configENS1_36segmented_radix_sort_config_selectorI6__halflEEZNS1_25segmented_radix_sort_implIS3_Lb1EPKS5_PS5_PKlPlN2at6native12_GLOBAL__N_18offset_tEEE10hipError_tPvRmT1_PNSt15iterator_traitsISL_E10value_typeET2_T3_PNSM_ISR_E10value_typeET4_jRbjT5_SX_jjP12ihipStream_tbEUlT_E0_NS1_11comp_targetILNS1_3genE3ELNS1_11target_archE908ELNS1_3gpuE7ELNS1_3repE0EEENS1_60segmented_radix_sort_warp_sort_medium_config_static_selectorELNS0_4arch9wavefront6targetE1EEEvSL_.has_dyn_sized_stack, 0
	.set _ZN7rocprim17ROCPRIM_400000_NS6detail17trampoline_kernelINS0_14default_configENS1_36segmented_radix_sort_config_selectorI6__halflEEZNS1_25segmented_radix_sort_implIS3_Lb1EPKS5_PS5_PKlPlN2at6native12_GLOBAL__N_18offset_tEEE10hipError_tPvRmT1_PNSt15iterator_traitsISL_E10value_typeET2_T3_PNSM_ISR_E10value_typeET4_jRbjT5_SX_jjP12ihipStream_tbEUlT_E0_NS1_11comp_targetILNS1_3genE3ELNS1_11target_archE908ELNS1_3gpuE7ELNS1_3repE0EEENS1_60segmented_radix_sort_warp_sort_medium_config_static_selectorELNS0_4arch9wavefront6targetE1EEEvSL_.has_recursion, 0
	.set _ZN7rocprim17ROCPRIM_400000_NS6detail17trampoline_kernelINS0_14default_configENS1_36segmented_radix_sort_config_selectorI6__halflEEZNS1_25segmented_radix_sort_implIS3_Lb1EPKS5_PS5_PKlPlN2at6native12_GLOBAL__N_18offset_tEEE10hipError_tPvRmT1_PNSt15iterator_traitsISL_E10value_typeET2_T3_PNSM_ISR_E10value_typeET4_jRbjT5_SX_jjP12ihipStream_tbEUlT_E0_NS1_11comp_targetILNS1_3genE3ELNS1_11target_archE908ELNS1_3gpuE7ELNS1_3repE0EEENS1_60segmented_radix_sort_warp_sort_medium_config_static_selectorELNS0_4arch9wavefront6targetE1EEEvSL_.has_indirect_call, 0
	.section	.AMDGPU.csdata,"",@progbits
; Kernel info:
; codeLenInByte = 0
; TotalNumSgprs: 4
; NumVgprs: 0
; ScratchSize: 0
; MemoryBound: 0
; FloatMode: 240
; IeeeMode: 1
; LDSByteSize: 0 bytes/workgroup (compile time only)
; SGPRBlocks: 0
; VGPRBlocks: 0
; NumSGPRsForWavesPerEU: 4
; NumVGPRsForWavesPerEU: 1
; Occupancy: 10
; WaveLimiterHint : 0
; COMPUTE_PGM_RSRC2:SCRATCH_EN: 0
; COMPUTE_PGM_RSRC2:USER_SGPR: 6
; COMPUTE_PGM_RSRC2:TRAP_HANDLER: 0
; COMPUTE_PGM_RSRC2:TGID_X_EN: 1
; COMPUTE_PGM_RSRC2:TGID_Y_EN: 0
; COMPUTE_PGM_RSRC2:TGID_Z_EN: 0
; COMPUTE_PGM_RSRC2:TIDIG_COMP_CNT: 0
	.text
	.p2align	2                               ; -- Begin function _ZN7rocprim17ROCPRIM_400000_NS6detail26segmented_warp_sort_helperINS1_20WarpSortHelperConfigILj16ELj8ELj256EEE6__halflLi256ELb1EvE4sortIPKS5_PS5_PKlPlEEvT_T0_T1_T2_jjjjRNS6_12storage_typeE
	.type	_ZN7rocprim17ROCPRIM_400000_NS6detail26segmented_warp_sort_helperINS1_20WarpSortHelperConfigILj16ELj8ELj256EEE6__halflLi256ELb1EvE4sortIPKS5_PS5_PKlPlEEvT_T0_T1_T2_jjjjRNS6_12storage_typeE,@function
_ZN7rocprim17ROCPRIM_400000_NS6detail26segmented_warp_sort_helperINS1_20WarpSortHelperConfigILj16ELj8ELj256EEE6__halflLi256ELb1EvE4sortIPKS5_PS5_PKlPlEEvT_T0_T1_T2_jjjjRNS6_12storage_typeE: ; @_ZN7rocprim17ROCPRIM_400000_NS6detail26segmented_warp_sort_helperINS1_20WarpSortHelperConfigILj16ELj8ELj256EEE6__halflLi256ELb1EvE4sortIPKS5_PS5_PKlPlEEvT_T0_T1_T2_jjjjRNS6_12storage_typeE
; %bb.0:
	s_waitcnt vmcnt(0) expcnt(0) lgkmcnt(0)
	v_sub_u32_e32 v12, v9, v8
	v_mov_b32_e32 v9, 0
	v_mbcnt_lo_u32_b32 v13, -1, 0
	v_lshlrev_b64 v[10:11], 1, v[8:9]
	v_mbcnt_hi_u32_b32 v13, -1, v13
	v_lshlrev_b32_e32 v35, 3, v13
	v_add_co_u32_e32 v0, vcc, v0, v10
	v_and_b32_e32 v34, 0x78, v35
	v_addc_co_u32_e32 v1, vcc, v1, v11, vcc
	v_lshlrev_b32_e32 v32, 1, v34
	v_add_co_u32_e32 v0, vcc, v0, v32
	v_addc_co_u32_e32 v1, vcc, 0, v1, vcc
	v_cmp_lt_u32_e32 vcc, v34, v12
	v_mov_b32_e32 v48, 0xffff
	v_mov_b32_e32 v36, 0xffff
	s_and_saveexec_b64 s[4:5], vcc
	s_cbranch_execz .LBB1753_2
; %bb.1:
	flat_load_ushort v36, v[0:1]
.LBB1753_2:
	s_or_b64 exec, exec, s[4:5]
	v_or_b32_e32 v13, 1, v34
	v_cmp_lt_u32_e64 s[4:5], v13, v12
	s_and_saveexec_b64 s[6:7], s[4:5]
	s_cbranch_execz .LBB1753_4
; %bb.3:
	flat_load_ushort v48, v[0:1] offset:2
.LBB1753_4:
	s_or_b64 exec, exec, s[6:7]
	v_or_b32_e32 v13, 2, v34
	v_cmp_lt_u32_e64 s[6:7], v13, v12
	v_mov_b32_e32 v51, 0xffff
	v_mov_b32_e32 v49, 0xffff
	s_and_saveexec_b64 s[10:11], s[6:7]
	s_cbranch_execz .LBB1753_6
; %bb.5:
	flat_load_ushort v49, v[0:1] offset:4
.LBB1753_6:
	s_or_b64 exec, exec, s[10:11]
	v_or_b32_e32 v13, 3, v34
	v_cmp_lt_u32_e64 s[18:19], v13, v12
	s_and_saveexec_b64 s[10:11], s[18:19]
	s_cbranch_execz .LBB1753_8
; %bb.7:
	flat_load_ushort v51, v[0:1] offset:6
.LBB1753_8:
	s_or_b64 exec, exec, s[10:11]
	v_or_b32_e32 v13, 4, v34
	v_cmp_lt_u32_e64 s[10:11], v13, v12
	v_mov_b32_e32 v38, 0xffff
	v_mov_b32_e32 v39, 0xffff
	s_and_saveexec_b64 s[14:15], s[10:11]
	s_cbranch_execz .LBB1753_10
; %bb.9:
	flat_load_ushort v39, v[0:1] offset:8
.LBB1753_10:
	;; [unrolled: 18-line block ×3, first 2 shown]
	s_or_b64 exec, exec, s[16:17]
	v_or_b32_e32 v13, 7, v34
	v_cmp_lt_u32_e64 s[16:17], v13, v12
	s_and_saveexec_b64 s[22:23], s[16:17]
	s_cbranch_execz .LBB1753_16
; %bb.15:
	flat_load_ushort v37, v[0:1] offset:14
.LBB1753_16:
	s_or_b64 exec, exec, s[22:23]
	v_lshlrev_b64 v[0:1], 3, v[8:9]
	v_lshlrev_b32_e32 v33, 3, v34
	v_add_co_u32_e64 v4, s[22:23], v4, v0
	v_addc_co_u32_e64 v5, s[22:23], v5, v1, s[22:23]
	v_add_co_u32_e64 v12, s[22:23], v4, v33
	v_addc_co_u32_e64 v13, s[22:23], 0, v5, s[22:23]
	; wave barrier
                                        ; implicit-def: $vgpr4_vgpr5
	s_and_saveexec_b64 s[22:23], vcc
	s_cbranch_execnz .LBB1753_261
; %bb.17:
	s_or_b64 exec, exec, s[22:23]
                                        ; implicit-def: $vgpr8_vgpr9
	s_and_saveexec_b64 s[22:23], s[4:5]
	s_cbranch_execnz .LBB1753_262
.LBB1753_18:
	s_or_b64 exec, exec, s[22:23]
                                        ; implicit-def: $vgpr15_vgpr16
	s_and_saveexec_b64 s[22:23], s[6:7]
	s_cbranch_execnz .LBB1753_263
.LBB1753_19:
	s_or_b64 exec, exec, s[22:23]
                                        ; implicit-def: $vgpr17_vgpr18
	s_and_saveexec_b64 s[22:23], s[18:19]
	s_cbranch_execnz .LBB1753_264
.LBB1753_20:
	s_or_b64 exec, exec, s[22:23]
                                        ; implicit-def: $vgpr19_vgpr20
	s_and_saveexec_b64 s[22:23], s[10:11]
	s_cbranch_execnz .LBB1753_265
.LBB1753_21:
	s_or_b64 exec, exec, s[22:23]
                                        ; implicit-def: $vgpr23_vgpr24
	s_and_saveexec_b64 s[22:23], s[20:21]
	s_cbranch_execnz .LBB1753_266
.LBB1753_22:
	s_or_b64 exec, exec, s[22:23]
                                        ; implicit-def: $vgpr21_vgpr22
	s_and_saveexec_b64 s[22:23], s[14:15]
	s_cbranch_execnz .LBB1753_267
.LBB1753_23:
	s_or_b64 exec, exec, s[22:23]
                                        ; implicit-def: $vgpr25_vgpr26
	s_and_saveexec_b64 s[22:23], s[16:17]
	s_cbranch_execz .LBB1753_25
.LBB1753_24:
	flat_load_dwordx2 v[25:26], v[12:13] offset:56
.LBB1753_25:
	s_or_b64 exec, exec, s[22:23]
	; wave barrier
	s_load_dwordx2 s[22:23], s[8:9], 0x0
	v_mov_b32_e32 v12, 0
	v_bfe_u32 v27, v31, 20, 10
	s_waitcnt lgkmcnt(0)
	s_cmp_lt_u32 s13, s23
	s_cselect_b32 s13, 14, 20
	s_add_u32 s24, s8, s13
	s_addc_u32 s25, s9, 0
	s_cmp_lt_u32 s12, s22
	s_cselect_b32 s12, 12, 18
	s_add_u32 s8, s8, s12
	s_addc_u32 s9, s9, 0
	global_load_ushort v13, v12, s[24:25]
	global_load_ushort v14, v12, s[8:9]
	v_bfe_u32 v12, v31, 10, 10
	s_movk_i32 s8, 0x800
	s_waitcnt vmcnt(0)
	v_mad_u32_u24 v12, v27, v13, v12
	v_mul_lo_u32 v12, v12, v14
	v_and_b32_e32 v13, 0x3ff, v31
	v_add_lshl_u32 v31, v12, v13, 3
	v_cmp_gt_u32_e64 s[8:9], s8, v31
	s_and_saveexec_b64 s[12:13], s[8:9]
	s_cbranch_execz .LBB1753_83
; %bb.26:
	v_add_f16_e32 v13, 0, v48
	v_add_f16_e32 v14, 0, v36
	v_mov_b32_e32 v12, 0xffff8000
	v_cmp_lt_i16_e64 s[8:9], -1, v13
	v_cndmask_b32_e64 v27, -1, v12, s[8:9]
	v_cmp_lt_i16_e64 s[8:9], -1, v14
	v_xor_b32_e32 v13, v27, v13
	v_cndmask_b32_e64 v27, -1, v12, s[8:9]
	v_xor_b32_e32 v14, v27, v14
	v_mov_b32_e32 v28, v9
	v_cmp_gt_u16_e64 s[8:9], v13, v14
	v_mov_b32_e32 v29, v48
	v_mov_b32_e32 v27, v8
	s_and_saveexec_b64 s[22:23], s[8:9]
; %bb.27:
	v_mov_b32_e32 v28, v5
	v_mov_b32_e32 v27, v4
	;; [unrolled: 1-line block ×6, first 2 shown]
; %bb.28:
	s_or_b64 exec, exec, s[22:23]
	v_add_f16_e32 v8, 0, v51
	v_add_f16_e32 v9, 0, v49
	v_cmp_lt_i16_e64 s[8:9], -1, v8
	v_cndmask_b32_e64 v13, -1, v12, s[8:9]
	v_cmp_lt_i16_e64 s[8:9], -1, v9
	v_cndmask_b32_e64 v12, -1, v12, s[8:9]
	v_xor_b32_e32 v8, v13, v8
	v_xor_b32_e32 v9, v12, v9
	v_mov_b32_e32 v12, v17
	v_cmp_gt_u16_e64 s[8:9], v8, v9
	v_mov_b32_e32 v48, v51
	v_mov_b32_e32 v13, v18
	s_and_saveexec_b64 s[22:23], s[8:9]
; %bb.29:
	v_mov_b32_e32 v12, v15
	v_mov_b32_e32 v13, v16
	;; [unrolled: 1-line block ×6, first 2 shown]
; %bb.30:
	s_or_b64 exec, exec, s[22:23]
	v_add_f16_e32 v9, 0, v38
	v_add_f16_e32 v14, 0, v39
	v_mov_b32_e32 v8, 0xffff8000
	v_cmp_lt_i16_e64 s[8:9], -1, v9
	v_cndmask_b32_e64 v17, -1, v8, s[8:9]
	v_cmp_lt_i16_e64 s[8:9], -1, v14
	v_xor_b32_e32 v9, v17, v9
	v_cndmask_b32_e64 v17, -1, v8, s[8:9]
	v_xor_b32_e32 v14, v17, v14
	v_mov_b32_e32 v17, v23
	v_cmp_gt_u16_e64 s[8:9], v9, v14
	v_mov_b32_e32 v18, v24
	v_mov_b32_e32 v51, v39
	s_and_saveexec_b64 s[22:23], s[8:9]
; %bb.31:
	v_mov_b32_e32 v17, v19
	v_mov_b32_e32 v18, v20
	;; [unrolled: 1-line block ×6, first 2 shown]
; %bb.32:
	s_or_b64 exec, exec, s[22:23]
	v_add_f16_e32 v9, 0, v37
	v_add_f16_e32 v14, 0, v50
	v_cmp_lt_i16_e64 s[8:9], -1, v9
	v_cndmask_b32_e64 v23, -1, v8, s[8:9]
	v_cmp_lt_i16_e64 s[8:9], -1, v14
	v_cndmask_b32_e64 v8, -1, v8, s[8:9]
	v_xor_b32_e32 v9, v23, v9
	v_xor_b32_e32 v8, v8, v14
	v_cmp_gt_u16_e64 s[8:9], v9, v8
	v_mov_b32_e32 v8, v25
	v_mov_b32_e32 v9, v26
	;; [unrolled: 1-line block ×3, first 2 shown]
	s_and_saveexec_b64 s[22:23], s[8:9]
; %bb.33:
	v_mov_b32_e32 v8, v21
	v_mov_b32_e32 v9, v22
	;; [unrolled: 1-line block ×6, first 2 shown]
; %bb.34:
	s_or_b64 exec, exec, s[22:23]
	v_add_f16_e32 v24, 0, v49
	v_add_f16_e32 v25, 0, v29
	v_mov_b32_e32 v14, 0xffff8000
	v_cmp_lt_i16_e64 s[8:9], -1, v24
	v_cndmask_b32_e64 v26, -1, v14, s[8:9]
	v_cmp_lt_i16_e64 s[8:9], -1, v25
	v_xor_b32_e32 v24, v26, v24
	v_cndmask_b32_e64 v26, -1, v14, s[8:9]
	v_xor_b32_e32 v25, v26, v25
	v_cmp_gt_u16_e64 s[8:9], v24, v25
	v_mov_b32_e32 v26, v16
	v_mov_b32_e32 v30, v49
	;; [unrolled: 1-line block ×3, first 2 shown]
	s_and_saveexec_b64 s[22:23], s[8:9]
	s_xor_b64 s[8:9], exec, s[22:23]
; %bb.35:
	v_mov_b32_e32 v25, v27
	v_mov_b32_e32 v26, v28
	;; [unrolled: 1-line block ×6, first 2 shown]
; %bb.36:
	s_or_b64 exec, exec, s[8:9]
	v_add_f16_e32 v15, 0, v51
	v_add_f16_e32 v16, 0, v48
	v_cmp_lt_i16_e64 s[8:9], -1, v15
	v_cndmask_b32_e64 v24, -1, v14, s[8:9]
	v_cmp_lt_i16_e64 s[8:9], -1, v16
	v_cndmask_b32_e64 v14, -1, v14, s[8:9]
	v_xor_b32_e32 v15, v24, v15
	v_xor_b32_e32 v14, v14, v16
	v_cmp_gt_u16_e64 s[8:9], v15, v14
	v_mov_b32_e32 v14, v19
	v_mov_b32_e32 v16, v48
	;; [unrolled: 1-line block ×3, first 2 shown]
	s_and_saveexec_b64 s[22:23], s[8:9]
; %bb.37:
	v_mov_b32_e32 v15, v13
	v_mov_b32_e32 v14, v12
	v_mov_b32_e32 v12, v19
	v_mov_b32_e32 v16, v51
	v_mov_b32_e32 v13, v20
	v_mov_b32_e32 v51, v48
; %bb.38:
	s_or_b64 exec, exec, s[22:23]
	v_add_f16_e32 v19, 0, v23
	v_add_f16_e32 v20, 0, v38
	v_mov_b32_e32 v24, 0xffff8000
	v_cmp_lt_i16_e64 s[8:9], -1, v19
	v_cndmask_b32_e64 v39, -1, v24, s[8:9]
	v_cmp_lt_i16_e64 s[8:9], -1, v20
	v_xor_b32_e32 v19, v39, v19
	v_cndmask_b32_e64 v39, -1, v24, s[8:9]
	v_xor_b32_e32 v20, v39, v20
	v_cmp_gt_u16_e64 s[8:9], v19, v20
	v_mov_b32_e32 v19, v21
	v_mov_b32_e32 v20, v22
	;; [unrolled: 1-line block ×3, first 2 shown]
	s_and_saveexec_b64 s[22:23], s[8:9]
; %bb.39:
	v_mov_b32_e32 v20, v18
	v_mov_b32_e32 v19, v17
	;; [unrolled: 1-line block ×6, first 2 shown]
; %bb.40:
	s_or_b64 exec, exec, s[22:23]
	v_add_f16_e32 v21, 0, v29
	v_add_f16_e32 v22, 0, v36
	v_cmp_lt_i16_e64 s[8:9], -1, v21
	v_cndmask_b32_e64 v38, -1, v24, s[8:9]
	v_cmp_lt_i16_e64 s[8:9], -1, v22
	v_cndmask_b32_e64 v24, -1, v24, s[8:9]
	v_xor_b32_e32 v21, v38, v21
	v_xor_b32_e32 v22, v24, v22
	v_cmp_gt_u16_e64 s[8:9], v21, v22
	v_mov_b32_e32 v21, v27
	v_mov_b32_e32 v38, v29
	v_mov_b32_e32 v22, v28
	s_and_saveexec_b64 s[22:23], s[8:9]
; %bb.41:
	v_mov_b32_e32 v22, v5
	v_mov_b32_e32 v21, v4
	;; [unrolled: 1-line block ×6, first 2 shown]
; %bb.42:
	s_or_b64 exec, exec, s[22:23]
	v_add_f16_e32 v27, 0, v16
	v_add_f16_e32 v28, 0, v30
	v_mov_b32_e32 v24, 0xffff8000
	v_cmp_lt_i16_e64 s[8:9], -1, v27
	v_cndmask_b32_e64 v29, -1, v24, s[8:9]
	v_cmp_lt_i16_e64 s[8:9], -1, v28
	v_xor_b32_e32 v27, v29, v27
	v_cndmask_b32_e64 v29, -1, v24, s[8:9]
	v_xor_b32_e32 v28, v29, v28
	v_cmp_gt_u16_e64 s[8:9], v27, v28
	v_mov_b32_e32 v28, v13
	v_mov_b32_e32 v29, v16
	;; [unrolled: 1-line block ×3, first 2 shown]
	s_and_saveexec_b64 s[22:23], s[8:9]
; %bb.43:
	v_mov_b32_e32 v28, v26
	v_mov_b32_e32 v27, v25
	;; [unrolled: 1-line block ×6, first 2 shown]
; %bb.44:
	s_or_b64 exec, exec, s[22:23]
	v_add_f16_e32 v12, 0, v48
	v_add_f16_e32 v13, 0, v51
	v_cmp_lt_i16_e64 s[8:9], -1, v12
	v_cndmask_b32_e64 v16, -1, v24, s[8:9]
	v_cmp_lt_i16_e64 s[8:9], -1, v13
	v_xor_b32_e32 v12, v16, v12
	v_cndmask_b32_e64 v16, -1, v24, s[8:9]
	v_xor_b32_e32 v13, v16, v13
	v_cmp_gt_u16_e64 s[8:9], v12, v13
	v_mov_b32_e32 v12, v17
	v_mov_b32_e32 v13, v18
	;; [unrolled: 1-line block ×3, first 2 shown]
	s_and_saveexec_b64 s[22:23], s[8:9]
; %bb.45:
	v_mov_b32_e32 v12, v14
	v_mov_b32_e32 v13, v15
	;; [unrolled: 1-line block ×6, first 2 shown]
; %bb.46:
	s_or_b64 exec, exec, s[22:23]
	v_add_f16_e32 v16, 0, v37
	v_add_f16_e32 v17, 0, v23
	v_mov_b32_e32 v18, 0xffff8000
	v_cmp_lt_i16_e64 s[8:9], -1, v16
	v_cndmask_b32_e64 v24, -1, v18, s[8:9]
	v_cmp_lt_i16_e64 s[8:9], -1, v17
	v_xor_b32_e32 v16, v24, v16
	v_cndmask_b32_e64 v24, -1, v18, s[8:9]
	v_xor_b32_e32 v17, v24, v17
	v_cmp_gt_u16_e64 s[8:9], v16, v17
	v_mov_b32_e32 v17, v9
	v_mov_b32_e32 v16, v8
	;; [unrolled: 1-line block ×3, first 2 shown]
	s_and_saveexec_b64 s[22:23], s[8:9]
; %bb.47:
	v_mov_b32_e32 v16, v19
	v_mov_b32_e32 v17, v20
	;; [unrolled: 1-line block ×6, first 2 shown]
; %bb.48:
	s_or_b64 exec, exec, s[22:23]
	v_add_f16_e32 v8, 0, v30
	v_add_f16_e32 v9, 0, v38
	v_cmp_lt_i16_e64 s[8:9], -1, v8
	v_cndmask_b32_e64 v23, -1, v18, s[8:9]
	v_cmp_lt_i16_e64 s[8:9], -1, v9
	v_cndmask_b32_e64 v18, -1, v18, s[8:9]
	v_xor_b32_e32 v8, v23, v8
	v_xor_b32_e32 v9, v18, v9
	v_mov_b32_e32 v23, v25
	v_cmp_gt_u16_e64 s[8:9], v8, v9
	v_mov_b32_e32 v18, v30
	v_mov_b32_e32 v24, v26
	s_and_saveexec_b64 s[22:23], s[8:9]
; %bb.49:
	v_mov_b32_e32 v24, v22
	v_mov_b32_e32 v23, v21
	;; [unrolled: 1-line block ×6, first 2 shown]
; %bb.50:
	s_or_b64 exec, exec, s[22:23]
	v_add_f16_e32 v9, 0, v50
	v_add_f16_e32 v25, 0, v29
	v_mov_b32_e32 v8, 0xffff8000
	v_cmp_lt_i16_e64 s[8:9], -1, v9
	v_cndmask_b32_e64 v26, -1, v8, s[8:9]
	v_cmp_lt_i16_e64 s[8:9], -1, v25
	v_xor_b32_e32 v9, v26, v9
	v_cndmask_b32_e64 v26, -1, v8, s[8:9]
	v_xor_b32_e32 v25, v26, v25
	v_cmp_gt_u16_e64 s[8:9], v9, v25
	v_mov_b32_e32 v26, v15
	v_mov_b32_e32 v52, v29
	;; [unrolled: 1-line block ×3, first 2 shown]
	s_and_saveexec_b64 s[22:23], s[8:9]
; %bb.51:
	v_mov_b32_e32 v25, v27
	v_mov_b32_e32 v26, v28
	;; [unrolled: 1-line block ×6, first 2 shown]
; %bb.52:
	s_or_b64 exec, exec, s[22:23]
	v_add_f16_e32 v9, 0, v51
	v_add_f16_e32 v14, 0, v48
	v_cmp_lt_i16_e64 s[8:9], -1, v9
	v_cndmask_b32_e64 v15, -1, v8, s[8:9]
	v_cmp_lt_i16_e64 s[8:9], -1, v14
	v_cndmask_b32_e64 v8, -1, v8, s[8:9]
	v_xor_b32_e32 v9, v15, v9
	v_xor_b32_e32 v8, v8, v14
	v_cmp_gt_u16_e64 s[8:9], v9, v8
	v_mov_b32_e32 v8, v19
	v_mov_b32_e32 v9, v20
	v_mov_b32_e32 v39, v48
	s_and_saveexec_b64 s[22:23], s[8:9]
; %bb.53:
	v_mov_b32_e32 v8, v12
	v_mov_b32_e32 v9, v13
	;; [unrolled: 1-line block ×6, first 2 shown]
; %bb.54:
	s_or_b64 exec, exec, s[22:23]
	v_add_f16_e32 v15, 0, v38
	v_add_f16_e32 v19, 0, v36
	v_mov_b32_e32 v14, 0xffff8000
	v_cmp_lt_i16_e64 s[8:9], -1, v15
	v_cndmask_b32_e64 v20, -1, v14, s[8:9]
	v_cmp_lt_i16_e64 s[8:9], -1, v19
	v_xor_b32_e32 v15, v20, v15
	v_cndmask_b32_e64 v20, -1, v14, s[8:9]
	v_xor_b32_e32 v19, v20, v19
	v_mov_b32_e32 v30, v22
	v_cmp_gt_u16_e64 s[8:9], v15, v19
	v_mov_b32_e32 v49, v38
	v_mov_b32_e32 v29, v21
	s_and_saveexec_b64 s[22:23], s[8:9]
; %bb.55:
	v_mov_b32_e32 v30, v5
	v_mov_b32_e32 v29, v4
	;; [unrolled: 1-line block ×6, first 2 shown]
; %bb.56:
	s_or_b64 exec, exec, s[22:23]
	v_add_f16_e32 v15, 0, v52
	v_add_f16_e32 v19, 0, v18
	v_cmp_lt_i16_e64 s[8:9], -1, v15
	v_cndmask_b32_e64 v20, -1, v14, s[8:9]
	v_cmp_lt_i16_e64 s[8:9], -1, v19
	v_cndmask_b32_e64 v14, -1, v14, s[8:9]
	v_xor_b32_e32 v15, v20, v15
	v_xor_b32_e32 v14, v14, v19
	v_cmp_gt_u16_e64 s[8:9], v15, v14
	v_mov_b32_e32 v14, v27
	v_mov_b32_e32 v21, v52
	;; [unrolled: 1-line block ×3, first 2 shown]
	s_and_saveexec_b64 s[22:23], s[8:9]
; %bb.57:
	v_mov_b32_e32 v14, v23
	v_mov_b32_e32 v15, v24
	;; [unrolled: 1-line block ×6, first 2 shown]
; %bb.58:
	s_or_b64 exec, exec, s[22:23]
	v_add_f16_e32 v19, 0, v39
	v_add_f16_e32 v20, 0, v50
	v_mov_b32_e32 v22, 0xffff8000
	v_cmp_lt_i16_e64 s[8:9], -1, v19
	v_cndmask_b32_e64 v27, -1, v22, s[8:9]
	v_cmp_lt_i16_e64 s[8:9], -1, v20
	v_xor_b32_e32 v19, v27, v19
	v_cndmask_b32_e64 v27, -1, v22, s[8:9]
	v_xor_b32_e32 v20, v27, v20
	v_cmp_gt_u16_e64 s[8:9], v19, v20
	v_mov_b32_e32 v20, v13
	v_mov_b32_e32 v19, v12
	;; [unrolled: 1-line block ×3, first 2 shown]
	s_and_saveexec_b64 s[22:23], s[8:9]
; %bb.59:
	v_mov_b32_e32 v19, v25
	v_mov_b32_e32 v20, v26
	;; [unrolled: 1-line block ×6, first 2 shown]
; %bb.60:
	s_or_b64 exec, exec, s[22:23]
	v_add_f16_e32 v12, 0, v37
	v_add_f16_e32 v13, 0, v51
	v_cmp_lt_i16_e64 s[8:9], -1, v12
	v_cndmask_b32_e64 v27, -1, v22, s[8:9]
	v_cmp_lt_i16_e64 s[8:9], -1, v13
	v_cndmask_b32_e64 v22, -1, v22, s[8:9]
	v_xor_b32_e32 v12, v27, v12
	v_xor_b32_e32 v13, v22, v13
	v_cmp_gt_u16_e64 s[8:9], v12, v13
	v_mov_b32_e32 v12, v16
	v_mov_b32_e32 v13, v17
	;; [unrolled: 1-line block ×3, first 2 shown]
	s_and_saveexec_b64 s[22:23], s[8:9]
; %bb.61:
	v_mov_b32_e32 v13, v9
	v_mov_b32_e32 v12, v8
	v_mov_b32_e32 v8, v16
	v_mov_b32_e32 v9, v17
	v_mov_b32_e32 v50, v37
	v_mov_b32_e32 v37, v51
; %bb.62:
	s_or_b64 exec, exec, s[22:23]
	v_add_f16_e32 v17, 0, v18
	v_add_f16_e32 v22, 0, v49
	v_mov_b32_e32 v16, 0xffff8000
	v_cmp_lt_i16_e64 s[8:9], -1, v17
	v_cndmask_b32_e64 v27, -1, v16, s[8:9]
	v_cmp_lt_i16_e64 s[8:9], -1, v22
	v_xor_b32_e32 v17, v27, v17
	v_cndmask_b32_e64 v27, -1, v16, s[8:9]
	v_xor_b32_e32 v22, v27, v22
	v_mov_b32_e32 v28, v24
	v_cmp_gt_u16_e64 s[8:9], v17, v22
	v_mov_b32_e32 v51, v18
	v_mov_b32_e32 v27, v23
	s_and_saveexec_b64 s[22:23], s[8:9]
; %bb.63:
	v_mov_b32_e32 v27, v29
	v_mov_b32_e32 v28, v30
	;; [unrolled: 1-line block ×6, first 2 shown]
; %bb.64:
	s_or_b64 exec, exec, s[22:23]
	v_add_f16_e32 v17, 0, v52
	v_add_f16_e32 v18, 0, v21
	v_cmp_lt_i16_e64 s[8:9], -1, v17
	v_cndmask_b32_e64 v22, -1, v16, s[8:9]
	v_cmp_lt_i16_e64 s[8:9], -1, v18
	v_cndmask_b32_e64 v16, -1, v16, s[8:9]
	v_xor_b32_e32 v17, v22, v17
	v_xor_b32_e32 v16, v16, v18
	v_mov_b32_e32 v23, v25
	v_cmp_gt_u16_e64 s[8:9], v17, v16
	v_mov_b32_e32 v16, v21
	v_mov_b32_e32 v24, v26
	s_and_saveexec_b64 s[22:23], s[8:9]
; %bb.65:
	v_mov_b32_e32 v24, v15
	v_mov_b32_e32 v23, v14
	;; [unrolled: 1-line block ×6, first 2 shown]
; %bb.66:
	s_or_b64 exec, exec, s[22:23]
	v_add_f16_e32 v18, 0, v50
	v_add_f16_e32 v21, 0, v39
	v_mov_b32_e32 v17, 0xffff8000
	v_cmp_lt_i16_e64 s[8:9], -1, v18
	v_cndmask_b32_e64 v22, -1, v17, s[8:9]
	v_cmp_lt_i16_e64 s[8:9], -1, v21
	v_xor_b32_e32 v18, v22, v18
	v_cndmask_b32_e64 v22, -1, v17, s[8:9]
	v_xor_b32_e32 v21, v22, v21
	v_cmp_gt_u16_e64 s[8:9], v18, v21
	v_mov_b32_e32 v22, v9
	v_mov_b32_e32 v21, v8
	;; [unrolled: 1-line block ×3, first 2 shown]
	s_and_saveexec_b64 s[22:23], s[8:9]
; %bb.67:
	v_mov_b32_e32 v22, v20
	v_mov_b32_e32 v21, v19
	;; [unrolled: 1-line block ×6, first 2 shown]
; %bb.68:
	s_or_b64 exec, exec, s[22:23]
	v_add_f16_e32 v8, 0, v49
	v_add_f16_e32 v9, 0, v36
	v_cmp_lt_i16_e64 s[8:9], -1, v8
	v_cndmask_b32_e64 v18, -1, v17, s[8:9]
	v_cmp_lt_i16_e64 s[8:9], -1, v9
	v_cndmask_b32_e64 v17, -1, v17, s[8:9]
	v_xor_b32_e32 v8, v18, v8
	v_xor_b32_e32 v9, v17, v9
	v_cmp_gt_u16_e64 s[8:9], v8, v9
	v_mov_b32_e32 v8, v29
	v_mov_b32_e32 v48, v49
	;; [unrolled: 1-line block ×3, first 2 shown]
	s_and_saveexec_b64 s[22:23], s[8:9]
; %bb.69:
	v_mov_b32_e32 v9, v5
	v_mov_b32_e32 v8, v4
	;; [unrolled: 1-line block ×6, first 2 shown]
; %bb.70:
	s_or_b64 exec, exec, s[22:23]
	v_add_f16_e32 v17, 0, v16
	v_add_f16_e32 v18, 0, v51
	v_mov_b32_e32 v25, 0xffff8000
	v_cmp_lt_i16_e64 s[8:9], -1, v17
	v_cndmask_b32_e64 v26, -1, v25, s[8:9]
	v_cmp_lt_i16_e64 s[8:9], -1, v18
	v_xor_b32_e32 v17, v26, v17
	v_cndmask_b32_e64 v26, -1, v25, s[8:9]
	v_xor_b32_e32 v18, v26, v18
	v_cmp_gt_u16_e64 s[8:9], v17, v18
	v_mov_b32_e32 v18, v15
	v_mov_b32_e32 v53, v16
	;; [unrolled: 1-line block ×3, first 2 shown]
	s_and_saveexec_b64 s[22:23], s[8:9]
; %bb.71:
	v_mov_b32_e32 v17, v27
	v_mov_b32_e32 v18, v28
	;; [unrolled: 1-line block ×6, first 2 shown]
; %bb.72:
	s_or_b64 exec, exec, s[22:23]
	v_add_f16_e32 v14, 0, v38
	v_add_f16_e32 v15, 0, v52
	v_cmp_lt_i16_e64 s[8:9], -1, v14
	v_cndmask_b32_e64 v16, -1, v25, s[8:9]
	v_cmp_lt_i16_e64 s[8:9], -1, v15
	v_xor_b32_e32 v14, v16, v14
	v_cndmask_b32_e64 v16, -1, v25, s[8:9]
	v_xor_b32_e32 v15, v16, v15
	v_mov_b32_e32 v30, v20
	v_cmp_gt_u16_e64 s[8:9], v14, v15
	v_mov_b32_e32 v29, v19
	v_mov_b32_e32 v39, v52
	s_and_saveexec_b64 s[22:23], s[8:9]
; %bb.73:
	v_mov_b32_e32 v30, v24
	v_mov_b32_e32 v29, v23
	;; [unrolled: 1-line block ×6, first 2 shown]
; %bb.74:
	s_or_b64 exec, exec, s[22:23]
	v_add_f16_e32 v14, 0, v37
	v_add_f16_e32 v16, 0, v50
	v_mov_b32_e32 v15, 0xffff8000
	v_cmp_lt_i16_e64 s[8:9], -1, v14
	v_cndmask_b32_e64 v19, -1, v15, s[8:9]
	v_cmp_lt_i16_e64 s[8:9], -1, v16
	v_xor_b32_e32 v14, v19, v14
	v_cndmask_b32_e64 v19, -1, v15, s[8:9]
	v_xor_b32_e32 v16, v19, v16
	v_mov_b32_e32 v26, v13
	v_cmp_gt_u16_e64 s[8:9], v14, v16
	v_mov_b32_e32 v25, v12
	v_mov_b32_e32 v14, v50
	s_and_saveexec_b64 s[22:23], s[8:9]
; %bb.75:
	v_mov_b32_e32 v26, v22
	v_mov_b32_e32 v25, v21
	;; [unrolled: 1-line block ×6, first 2 shown]
; %bb.76:
	s_or_b64 exec, exec, s[22:23]
	v_add_f16_e32 v12, 0, v51
	v_add_f16_e32 v13, 0, v48
	v_cmp_lt_i16_e64 s[8:9], -1, v12
	v_cndmask_b32_e64 v16, -1, v15, s[8:9]
	v_cmp_lt_i16_e64 s[8:9], -1, v13
	v_cndmask_b32_e64 v15, -1, v15, s[8:9]
	v_xor_b32_e32 v12, v16, v12
	v_xor_b32_e32 v13, v15, v13
	v_mov_b32_e32 v15, v27
	v_cmp_gt_u16_e64 s[8:9], v12, v13
	v_mov_b32_e32 v49, v51
	v_mov_b32_e32 v16, v28
	s_and_saveexec_b64 s[22:23], s[8:9]
; %bb.77:
	v_mov_b32_e32 v16, v9
	v_mov_b32_e32 v15, v8
	v_mov_b32_e32 v8, v27
	v_mov_b32_e32 v49, v48
	v_mov_b32_e32 v48, v51
	v_mov_b32_e32 v9, v28
; %bb.78:
	s_or_b64 exec, exec, s[22:23]
	v_add_f16_e32 v13, 0, v39
	v_add_f16_e32 v19, 0, v53
	v_mov_b32_e32 v12, 0xffff8000
	v_cmp_lt_i16_e64 s[8:9], -1, v13
	v_cndmask_b32_e64 v20, -1, v12, s[8:9]
	v_cmp_lt_i16_e64 s[8:9], -1, v19
	v_xor_b32_e32 v13, v20, v13
	v_cndmask_b32_e64 v20, -1, v12, s[8:9]
	v_xor_b32_e32 v19, v20, v19
	v_cmp_gt_u16_e64 s[8:9], v13, v19
	v_mov_b32_e32 v19, v23
	v_mov_b32_e32 v51, v53
	;; [unrolled: 1-line block ×3, first 2 shown]
	s_and_saveexec_b64 s[22:23], s[8:9]
; %bb.79:
	v_mov_b32_e32 v20, v18
	v_mov_b32_e32 v19, v17
	;; [unrolled: 1-line block ×6, first 2 shown]
; %bb.80:
	s_or_b64 exec, exec, s[22:23]
	v_add_f16_e32 v13, 0, v14
	v_add_f16_e32 v23, 0, v38
	v_cmp_lt_i16_e64 s[8:9], -1, v13
	v_cndmask_b32_e64 v24, -1, v12, s[8:9]
	v_cmp_lt_i16_e64 s[8:9], -1, v23
	v_cndmask_b32_e64 v12, -1, v12, s[8:9]
	v_xor_b32_e32 v13, v24, v13
	v_xor_b32_e32 v12, v12, v23
	v_mov_b32_e32 v23, v29
	v_cmp_gt_u16_e64 s[8:9], v13, v12
	v_mov_b32_e32 v50, v14
	v_mov_b32_e32 v24, v30
	s_and_saveexec_b64 s[22:23], s[8:9]
; %bb.81:
	v_mov_b32_e32 v24, v22
	v_mov_b32_e32 v23, v21
	;; [unrolled: 1-line block ×6, first 2 shown]
; %bb.82:
	s_or_b64 exec, exec, s[22:23]
.LBB1753_83:
	s_or_b64 exec, exec, s[12:13]
	v_and_b32_e32 v27, 0xfffffe00, v31
	v_lshlrev_b32_e32 v14, 1, v27
	s_movk_i32 s12, 0x800
	v_mad_u64_u32 v[12:13], s[8:9], v27, 6, v[14:15]
	v_sub_u32_e64 v13, s12, v27 clamp
	v_or_b32_e32 v29, 8, v35
	v_min_u32_e32 v29, v13, v29
	v_add_u32_e32 v30, 8, v29
	v_and_b32_e32 v31, 0x3f0, v35
	v_min_u32_e32 v30, v13, v30
	v_and_b32_e32 v52, 8, v35
	v_min_u32_e32 v55, v13, v52
	v_sub_u32_e32 v54, v29, v31
	v_sub_u32_e32 v53, v30, v29
	v_sub_u32_e64 v53, v55, v53 clamp
	v_min_u32_e32 v54, v55, v54
	v_lshl_add_u32 v27, v35, 1, v14
	v_lshl_add_u32 v28, v35, 3, v12
	;; [unrolled: 1-line block ×3, first 2 shown]
	v_cmp_lt_u32_e64 s[8:9], v53, v54
	ds_write_b16 v27, v36
	ds_write_b64 v28, v[4:5] offset:4096
	ds_write_b16 v27, v48 offset:2
	ds_write_b64 v28, v[8:9] offset:4104
	ds_write_b16 v27, v49 offset:4
	;; [unrolled: 2-line block ×7, first 2 shown]
	ds_write_b64 v28, v[25:26] offset:4152
	; wave barrier
	s_and_saveexec_b64 s[12:13], s[8:9]
	s_cbranch_execz .LBB1753_87
; %bb.84:
	v_lshlrev_b32_e32 v64, 1, v29
	v_lshlrev_b32_e32 v65, 1, v55
	v_add3_u32 v64, v14, v64, v65
	s_mov_b64 s[22:23], 0
	v_mov_b32_e32 v65, 0xffff8000
.LBB1753_85:                            ; =>This Inner Loop Header: Depth=1
	v_add_u32_e32 v66, v54, v53
	v_lshrrev_b32_e32 v67, 1, v66
	v_and_b32_e32 v66, -2, v66
	v_not_b32_e32 v68, v67
	v_add_u32_e32 v66, v52, v66
	v_lshl_add_u32 v68, v68, 1, v64
	ds_read_u16 v66, v66
	ds_read_u16 v68, v68
	v_add_u32_e32 v69, 1, v67
	s_waitcnt lgkmcnt(1)
	v_add_f16_e32 v66, 0, v66
	s_waitcnt lgkmcnt(0)
	v_add_f16_e32 v68, 0, v68
	v_cmp_lt_i16_e64 s[8:9], -1, v66
	v_cndmask_b32_e64 v70, -1, v65, s[8:9]
	v_cmp_lt_i16_e64 s[8:9], -1, v68
	v_cndmask_b32_e64 v71, -1, v65, s[8:9]
	v_xor_b32_e32 v66, v70, v66
	v_xor_b32_e32 v68, v71, v68
	v_cmp_gt_u16_e64 s[8:9], v68, v66
	v_cndmask_b32_e64 v54, v54, v67, s[8:9]
	v_cndmask_b32_e64 v53, v69, v53, s[8:9]
	v_cmp_ge_u32_e64 s[8:9], v53, v54
	s_or_b64 s[22:23], s[8:9], s[22:23]
	s_andn2_b64 exec, exec, s[22:23]
	s_cbranch_execnz .LBB1753_85
; %bb.86:
	s_or_b64 exec, exec, s[22:23]
.LBB1753_87:
	s_or_b64 exec, exec, s[12:13]
	v_add_u32_e32 v54, v53, v31
	v_add_u32_e32 v31, v29, v55
	v_sub_u32_e32 v55, v31, v53
	v_cmp_le_u32_e64 s[8:9], v54, v29
	v_cmp_le_u32_e64 s[12:13], v55, v30
	s_or_b64 s[8:9], s[8:9], s[12:13]
	s_and_saveexec_b64 s[22:23], s[8:9]
	s_cbranch_execz .LBB1753_123
; %bb.88:
	v_cmp_ge_u32_e64 s[8:9], v54, v29
	v_cmp_lt_u32_e64 s[12:13], v54, v29
                                        ; implicit-def: $vgpr31
	s_and_saveexec_b64 s[24:25], s[12:13]
; %bb.89:
	v_lshl_add_u32 v4, v53, 1, v52
	ds_read_u16 v31, v4
; %bb.90:
	s_or_b64 exec, exec, s[24:25]
	v_cmp_ge_u32_e64 s[24:25], v55, v30
	v_cmp_lt_u32_e64 s[12:13], v55, v30
                                        ; implicit-def: $vgpr36
	s_and_saveexec_b64 s[26:27], s[12:13]
; %bb.91:
	v_lshl_add_u32 v4, v55, 1, v14
	ds_read_u16 v36, v4
; %bb.92:
	s_or_b64 exec, exec, s[26:27]
	s_nor_b64 s[8:9], s[8:9], s[24:25]
	s_and_saveexec_b64 s[12:13], s[8:9]
	s_cbranch_execz .LBB1753_94
; %bb.93:
	s_waitcnt lgkmcnt(0)
	v_add_f16_e32 v4, 0, v36
	v_add_f16_e32 v5, 0, v31
	v_mov_b32_e32 v8, 0xffff8000
	v_cmp_lt_i16_e64 s[8:9], -1, v4
	v_cndmask_b32_e64 v9, -1, v8, s[8:9]
	v_cmp_lt_i16_e64 s[8:9], -1, v5
	v_cndmask_b32_e64 v8, -1, v8, s[8:9]
	v_xor_b32_e32 v4, v9, v4
	v_xor_b32_e32 v5, v8, v5
	v_cmp_le_u16_e64 s[8:9], v4, v5
	s_andn2_b64 s[24:25], s[24:25], exec
	s_and_b64 s[8:9], s[8:9], exec
	s_or_b64 s[24:25], s[24:25], s[8:9]
.LBB1753_94:
	s_or_b64 exec, exec, s[12:13]
	v_cndmask_b32_e64 v4, v55, v54, s[24:25]
	v_cndmask_b32_e64 v5, v30, v29, s[24:25]
	v_add_u32_e32 v8, 1, v4
	v_add_u32_e32 v5, -1, v5
	v_min_u32_e32 v5, v8, v5
	v_lshl_add_u32 v5, v5, 1, v14
	ds_read_u16 v9, v5
	v_lshl_add_u32 v4, v4, 3, v12
	ds_read_b64 v[4:5], v4 offset:4096
	v_cndmask_b32_e64 v15, v8, v55, s[24:25]
	v_cndmask_b32_e64 v16, v54, v8, s[24:25]
	s_waitcnt lgkmcnt(1)
	v_cndmask_b32_e64 v37, v9, v36, s[24:25]
	v_cndmask_b32_e64 v48, v31, v9, s[24:25]
	v_cmp_lt_u32_e64 s[8:9], v15, v30
	s_mov_b64 s[26:27], -1
	s_mov_b64 s[12:13], -1
	s_and_saveexec_b64 s[28:29], s[8:9]
	s_cbranch_execz .LBB1753_98
; %bb.95:
	v_cmp_lt_u32_e64 s[8:9], v16, v29
	s_mov_b64 s[40:41], 0
	s_and_saveexec_b64 s[12:13], s[8:9]
	s_cbranch_execz .LBB1753_97
; %bb.96:
	v_add_f16_e32 v8, 0, v37
	v_add_f16_e32 v9, 0, v48
	v_mov_b32_e32 v17, 0xffff8000
	v_cmp_lt_i16_e64 s[8:9], -1, v8
	v_cndmask_b32_e64 v18, -1, v17, s[8:9]
	v_cmp_lt_i16_e64 s[8:9], -1, v9
	v_cndmask_b32_e64 v17, -1, v17, s[8:9]
	v_xor_b32_e32 v8, v18, v8
	v_xor_b32_e32 v9, v17, v9
	v_cmp_le_u16_e64 s[8:9], v8, v9
	s_and_b64 s[40:41], s[8:9], exec
.LBB1753_97:
	s_or_b64 exec, exec, s[12:13]
	s_orn2_b64 s[12:13], s[40:41], exec
.LBB1753_98:
	s_or_b64 exec, exec, s[28:29]
	v_cndmask_b32_e64 v8, v15, v16, s[12:13]
	v_cndmask_b32_e64 v9, v30, v29, s[12:13]
	v_add_u32_e32 v18, 1, v8
	v_add_u32_e32 v9, -1, v9
	v_min_u32_e32 v9, v18, v9
	v_lshl_add_u32 v9, v9, 1, v14
	ds_read_u16 v17, v9
	v_lshl_add_u32 v8, v8, 3, v12
	ds_read_b64 v[8:9], v8 offset:4096
	s_waitcnt lgkmcnt(1)
	v_cndmask_b32_e64 v49, v17, v37, s[12:13]
	v_cndmask_b32_e64 v52, v48, v17, s[12:13]
	;; [unrolled: 1-line block ×4, first 2 shown]
	v_cmp_lt_u32_e64 s[8:9], v17, v30
	s_and_saveexec_b64 s[28:29], s[8:9]
	s_cbranch_execz .LBB1753_102
; %bb.99:
	v_cmp_lt_u32_e64 s[8:9], v18, v29
	s_mov_b64 s[40:41], 0
	s_and_saveexec_b64 s[26:27], s[8:9]
	s_cbranch_execz .LBB1753_101
; %bb.100:
	v_add_f16_e32 v15, 0, v49
	v_add_f16_e32 v16, 0, v52
	v_mov_b32_e32 v19, 0xffff8000
	v_cmp_lt_i16_e64 s[8:9], -1, v15
	v_cndmask_b32_e64 v20, -1, v19, s[8:9]
	v_cmp_lt_i16_e64 s[8:9], -1, v16
	v_cndmask_b32_e64 v19, -1, v19, s[8:9]
	v_xor_b32_e32 v15, v20, v15
	v_xor_b32_e32 v16, v19, v16
	v_cmp_le_u16_e64 s[8:9], v15, v16
	s_and_b64 s[40:41], s[8:9], exec
.LBB1753_101:
	s_or_b64 exec, exec, s[26:27]
	s_orn2_b64 s[26:27], s[40:41], exec
.LBB1753_102:
	s_or_b64 exec, exec, s[28:29]
	v_cndmask_b32_e64 v15, v17, v18, s[26:27]
	v_cndmask_b32_e64 v16, v30, v29, s[26:27]
	v_add_u32_e32 v20, 1, v15
	v_add_u32_e32 v16, -1, v16
	v_min_u32_e32 v16, v20, v16
	v_lshl_add_u32 v16, v16, 1, v14
	ds_read_u16 v19, v16
	v_lshl_add_u32 v15, v15, 3, v12
	ds_read_b64 v[15:16], v15 offset:4096
	s_mov_b64 s[40:41], -1
	s_mov_b64 s[28:29], -1
	s_waitcnt lgkmcnt(1)
	v_cndmask_b32_e64 v25, v19, v49, s[26:27]
	v_cndmask_b32_e64 v26, v52, v19, s[26:27]
	;; [unrolled: 1-line block ×4, first 2 shown]
	v_cmp_lt_u32_e64 s[8:9], v19, v30
	s_and_saveexec_b64 s[42:43], s[8:9]
	s_cbranch_execz .LBB1753_106
; %bb.103:
	v_cmp_lt_u32_e64 s[8:9], v20, v29
	s_mov_b64 s[44:45], 0
	s_and_saveexec_b64 s[28:29], s[8:9]
	s_cbranch_execz .LBB1753_105
; %bb.104:
	v_add_f16_e32 v17, 0, v25
	v_add_f16_e32 v18, 0, v26
	v_mov_b32_e32 v21, 0xffff8000
	v_cmp_lt_i16_e64 s[8:9], -1, v17
	v_cndmask_b32_e64 v22, -1, v21, s[8:9]
	v_cmp_lt_i16_e64 s[8:9], -1, v18
	v_cndmask_b32_e64 v21, -1, v21, s[8:9]
	v_xor_b32_e32 v17, v22, v17
	v_xor_b32_e32 v18, v21, v18
	v_cmp_le_u16_e64 s[8:9], v17, v18
	s_and_b64 s[44:45], s[8:9], exec
.LBB1753_105:
	s_or_b64 exec, exec, s[28:29]
	s_orn2_b64 s[28:29], s[44:45], exec
.LBB1753_106:
	s_or_b64 exec, exec, s[42:43]
	v_cndmask_b32_e64 v17, v19, v20, s[28:29]
	v_cndmask_b32_e64 v18, v30, v29, s[28:29]
	v_add_u32_e32 v22, 1, v17
	v_add_u32_e32 v18, -1, v18
	v_min_u32_e32 v18, v22, v18
	v_lshl_add_u32 v18, v18, 1, v14
	ds_read_u16 v21, v18
	v_lshl_add_u32 v17, v17, 3, v12
	ds_read_b64 v[17:18], v17 offset:4096
	s_waitcnt lgkmcnt(1)
	v_cndmask_b32_e64 v39, v21, v25, s[28:29]
	v_cndmask_b32_e64 v51, v26, v21, s[28:29]
	;; [unrolled: 1-line block ×4, first 2 shown]
	v_cmp_lt_u32_e64 s[8:9], v21, v30
	s_and_saveexec_b64 s[42:43], s[8:9]
	s_cbranch_execz .LBB1753_110
; %bb.107:
	v_cmp_lt_u32_e64 s[8:9], v22, v29
	s_mov_b64 s[44:45], 0
	s_and_saveexec_b64 s[40:41], s[8:9]
	s_cbranch_execz .LBB1753_109
; %bb.108:
	v_add_f16_e32 v19, 0, v39
	v_add_f16_e32 v20, 0, v51
	v_mov_b32_e32 v23, 0xffff8000
	v_cmp_lt_i16_e64 s[8:9], -1, v19
	v_cndmask_b32_e64 v24, -1, v23, s[8:9]
	v_cmp_lt_i16_e64 s[8:9], -1, v20
	v_cndmask_b32_e64 v23, -1, v23, s[8:9]
	v_xor_b32_e32 v19, v24, v19
	v_xor_b32_e32 v20, v23, v20
	v_cmp_le_u16_e64 s[8:9], v19, v20
	s_and_b64 s[44:45], s[8:9], exec
.LBB1753_109:
	s_or_b64 exec, exec, s[40:41]
	s_orn2_b64 s[40:41], s[44:45], exec
.LBB1753_110:
	s_or_b64 exec, exec, s[42:43]
	v_cndmask_b32_e64 v19, v21, v22, s[40:41]
	v_cndmask_b32_e64 v20, v30, v29, s[40:41]
	v_add_u32_e32 v23, 1, v19
	v_add_u32_e32 v20, -1, v20
	v_min_u32_e32 v20, v23, v20
	v_lshl_add_u32 v20, v20, 1, v14
	ds_read_u16 v24, v20
	v_lshl_add_u32 v19, v19, 3, v12
	ds_read_b64 v[19:20], v19 offset:4096
	v_cndmask_b32_e64 v21, v23, v21, s[40:41]
	v_cndmask_b32_e64 v22, v22, v23, s[40:41]
	s_waitcnt lgkmcnt(1)
	v_cndmask_b32_e64 v38, v24, v39, s[40:41]
	v_cndmask_b32_e64 v53, v51, v24, s[40:41]
	v_cmp_lt_u32_e64 s[8:9], v21, v30
	s_mov_b64 s[44:45], -1
	s_mov_b64 s[42:43], -1
	s_and_saveexec_b64 s[46:47], s[8:9]
	s_cbranch_execz .LBB1753_114
; %bb.111:
	v_cmp_lt_u32_e64 s[8:9], v22, v29
	s_mov_b64 s[56:57], 0
	s_and_saveexec_b64 s[42:43], s[8:9]
	s_cbranch_execz .LBB1753_113
; %bb.112:
	v_add_f16_e32 v23, 0, v38
	v_add_f16_e32 v24, 0, v53
	v_mov_b32_e32 v50, 0xffff8000
	v_cmp_lt_i16_e64 s[8:9], -1, v23
	v_cndmask_b32_e64 v54, -1, v50, s[8:9]
	v_cmp_lt_i16_e64 s[8:9], -1, v24
	v_cndmask_b32_e64 v50, -1, v50, s[8:9]
	v_xor_b32_e32 v23, v54, v23
	v_xor_b32_e32 v24, v50, v24
	v_cmp_le_u16_e64 s[8:9], v23, v24
	s_and_b64 s[56:57], s[8:9], exec
.LBB1753_113:
	s_or_b64 exec, exec, s[42:43]
	s_orn2_b64 s[42:43], s[56:57], exec
.LBB1753_114:
	s_or_b64 exec, exec, s[46:47]
	v_cndmask_b32_e64 v23, v21, v22, s[42:43]
	v_cndmask_b32_e64 v24, v30, v29, s[42:43]
	v_add_u32_e32 v55, 1, v23
	v_add_u32_e32 v24, -1, v24
	v_min_u32_e32 v24, v55, v24
	v_lshl_add_u32 v24, v24, 1, v14
	ds_read_u16 v54, v24
	v_lshl_add_u32 v23, v23, 3, v12
	ds_read_b64 v[23:24], v23 offset:4096
	v_cndmask_b32_e64 v65, v55, v21, s[42:43]
	v_cndmask_b32_e64 v66, v22, v55, s[42:43]
	s_waitcnt lgkmcnt(1)
	v_cndmask_b32_e64 v50, v54, v38, s[42:43]
	v_cndmask_b32_e64 v54, v53, v54, s[42:43]
	v_cmp_lt_u32_e64 s[8:9], v65, v30
	s_and_saveexec_b64 s[46:47], s[8:9]
	s_cbranch_execz .LBB1753_118
; %bb.115:
	v_cmp_lt_u32_e64 s[8:9], v66, v29
	s_mov_b64 s[56:57], 0
	s_and_saveexec_b64 s[44:45], s[8:9]
	s_cbranch_execz .LBB1753_117
; %bb.116:
	v_add_f16_e32 v21, 0, v50
	v_add_f16_e32 v22, 0, v54
	v_mov_b32_e32 v55, 0xffff8000
	v_cmp_lt_i16_e64 s[8:9], -1, v21
	v_cndmask_b32_e64 v64, -1, v55, s[8:9]
	v_cmp_lt_i16_e64 s[8:9], -1, v22
	v_cndmask_b32_e64 v55, -1, v55, s[8:9]
	v_xor_b32_e32 v21, v64, v21
	v_xor_b32_e32 v22, v55, v22
	v_cmp_le_u16_e64 s[8:9], v21, v22
	s_and_b64 s[56:57], s[8:9], exec
.LBB1753_117:
	s_or_b64 exec, exec, s[44:45]
	s_orn2_b64 s[44:45], s[56:57], exec
.LBB1753_118:
	s_or_b64 exec, exec, s[46:47]
	v_cndmask_b32_e64 v21, v65, v66, s[44:45]
	v_cndmask_b32_e64 v22, v30, v29, s[44:45]
	v_add_u32_e32 v67, 1, v21
	v_add_u32_e32 v22, -1, v22
	v_min_u32_e32 v22, v67, v22
	v_lshl_add_u32 v22, v22, 1, v14
	ds_read_u16 v64, v22
	v_lshl_add_u32 v21, v21, 3, v12
	ds_read_b64 v[21:22], v21 offset:4096
	v_cndmask_b32_e64 v65, v67, v65, s[44:45]
	v_cndmask_b32_e64 v66, v66, v67, s[44:45]
	s_waitcnt lgkmcnt(1)
	v_cndmask_b32_e64 v55, v64, v50, s[44:45]
	v_cndmask_b32_e64 v64, v54, v64, s[44:45]
	v_cmp_lt_u32_e64 s[8:9], v65, v30
	s_mov_b64 s[56:57], -1
	s_and_saveexec_b64 s[46:47], s[8:9]
	s_cbranch_execz .LBB1753_122
; %bb.119:
	v_cmp_lt_u32_e64 s[8:9], v66, v29
	s_mov_b64 s[58:59], 0
	s_and_saveexec_b64 s[56:57], s[8:9]
	s_cbranch_execz .LBB1753_121
; %bb.120:
	v_add_f16_e32 v29, 0, v55
	v_add_f16_e32 v30, 0, v64
	v_mov_b32_e32 v67, 0xffff8000
	v_cmp_lt_i16_e64 s[8:9], -1, v29
	v_cndmask_b32_e64 v68, -1, v67, s[8:9]
	v_cmp_lt_i16_e64 s[8:9], -1, v30
	v_cndmask_b32_e64 v67, -1, v67, s[8:9]
	v_xor_b32_e32 v29, v68, v29
	v_xor_b32_e32 v30, v67, v30
	v_cmp_le_u16_e64 s[8:9], v29, v30
	s_and_b64 s[58:59], s[8:9], exec
.LBB1753_121:
	s_or_b64 exec, exec, s[56:57]
	s_orn2_b64 s[56:57], s[58:59], exec
.LBB1753_122:
	s_or_b64 exec, exec, s[46:47]
	v_cndmask_b32_e64 v39, v39, v51, s[40:41]
	v_cndmask_b32_e64 v51, v25, v26, s[28:29]
	;; [unrolled: 1-line block ×3, first 2 shown]
	v_lshl_add_u32 v25, v25, 3, v12
	ds_read_b64 v[25:26], v25 offset:4096
	v_cndmask_b32_e64 v50, v50, v54, s[44:45]
	v_cndmask_b32_e64 v38, v38, v53, s[42:43]
	;; [unrolled: 1-line block ×6, first 2 shown]
.LBB1753_123:
	s_or_b64 exec, exec, s[22:23]
	v_and_b32_e32 v31, 0x3e0, v35
	v_or_b32_e32 v29, 16, v31
	v_min_u32_e32 v29, v13, v29
	v_add_u32_e32 v30, 16, v29
	v_min_u32_e32 v30, v13, v30
	v_and_b32_e32 v52, 24, v35
	v_min_u32_e32 v55, v13, v52
	v_sub_u32_e32 v54, v29, v31
	v_sub_u32_e32 v53, v30, v29
	v_sub_u32_e64 v53, v55, v53 clamp
	v_min_u32_e32 v54, v55, v54
	v_lshl_add_u32 v52, v31, 1, v14
	v_cmp_lt_u32_e64 s[8:9], v53, v54
	; wave barrier
	ds_write_b16 v27, v36
	ds_write_b64 v28, v[4:5] offset:4096
	ds_write_b16 v27, v48 offset:2
	ds_write_b64 v28, v[8:9] offset:4104
	ds_write_b16 v27, v49 offset:4
	;; [unrolled: 2-line block ×6, first 2 shown]
	s_waitcnt lgkmcnt(14)
	ds_write_b64 v28, v[21:22] offset:4144
	ds_write_b16 v27, v37 offset:14
	s_waitcnt lgkmcnt(14)
	ds_write_b64 v28, v[25:26] offset:4152
	; wave barrier
	s_and_saveexec_b64 s[12:13], s[8:9]
	s_cbranch_execz .LBB1753_127
; %bb.124:
	v_lshlrev_b32_e32 v64, 1, v29
	v_lshlrev_b32_e32 v65, 1, v55
	v_add3_u32 v64, v14, v64, v65
	s_mov_b64 s[22:23], 0
	v_mov_b32_e32 v65, 0xffff8000
.LBB1753_125:                           ; =>This Inner Loop Header: Depth=1
	v_add_u32_e32 v66, v54, v53
	v_lshrrev_b32_e32 v67, 1, v66
	v_and_b32_e32 v66, -2, v66
	v_not_b32_e32 v68, v67
	v_add_u32_e32 v66, v52, v66
	v_lshl_add_u32 v68, v68, 1, v64
	ds_read_u16 v66, v66
	ds_read_u16 v68, v68
	v_add_u32_e32 v69, 1, v67
	s_waitcnt lgkmcnt(1)
	v_add_f16_e32 v66, 0, v66
	s_waitcnt lgkmcnt(0)
	v_add_f16_e32 v68, 0, v68
	v_cmp_lt_i16_e64 s[8:9], -1, v66
	v_cndmask_b32_e64 v70, -1, v65, s[8:9]
	v_cmp_lt_i16_e64 s[8:9], -1, v68
	v_cndmask_b32_e64 v71, -1, v65, s[8:9]
	v_xor_b32_e32 v66, v70, v66
	v_xor_b32_e32 v68, v71, v68
	v_cmp_gt_u16_e64 s[8:9], v68, v66
	v_cndmask_b32_e64 v54, v54, v67, s[8:9]
	v_cndmask_b32_e64 v53, v69, v53, s[8:9]
	v_cmp_ge_u32_e64 s[8:9], v53, v54
	s_or_b64 s[22:23], s[8:9], s[22:23]
	s_andn2_b64 exec, exec, s[22:23]
	s_cbranch_execnz .LBB1753_125
; %bb.126:
	s_or_b64 exec, exec, s[22:23]
.LBB1753_127:
	s_or_b64 exec, exec, s[12:13]
	v_add_u32_e32 v54, v53, v31
	v_add_u32_e32 v31, v29, v55
	v_sub_u32_e32 v55, v31, v53
	v_cmp_le_u32_e64 s[8:9], v54, v29
	v_cmp_le_u32_e64 s[12:13], v55, v30
	s_or_b64 s[8:9], s[8:9], s[12:13]
	s_and_saveexec_b64 s[22:23], s[8:9]
	s_cbranch_execz .LBB1753_163
; %bb.128:
	v_cmp_ge_u32_e64 s[8:9], v54, v29
	v_cmp_lt_u32_e64 s[12:13], v54, v29
                                        ; implicit-def: $vgpr31
	s_and_saveexec_b64 s[24:25], s[12:13]
; %bb.129:
	v_lshl_add_u32 v4, v53, 1, v52
	ds_read_u16 v31, v4
; %bb.130:
	s_or_b64 exec, exec, s[24:25]
	v_cmp_ge_u32_e64 s[24:25], v55, v30
	v_cmp_lt_u32_e64 s[12:13], v55, v30
                                        ; implicit-def: $vgpr36
	s_and_saveexec_b64 s[26:27], s[12:13]
; %bb.131:
	v_lshl_add_u32 v4, v55, 1, v14
	ds_read_u16 v36, v4
; %bb.132:
	s_or_b64 exec, exec, s[26:27]
	s_nor_b64 s[8:9], s[8:9], s[24:25]
	s_and_saveexec_b64 s[12:13], s[8:9]
	s_cbranch_execz .LBB1753_134
; %bb.133:
	s_waitcnt lgkmcnt(0)
	v_add_f16_e32 v4, 0, v36
	v_add_f16_e32 v5, 0, v31
	v_mov_b32_e32 v8, 0xffff8000
	v_cmp_lt_i16_e64 s[8:9], -1, v4
	v_cndmask_b32_e64 v9, -1, v8, s[8:9]
	v_cmp_lt_i16_e64 s[8:9], -1, v5
	v_cndmask_b32_e64 v8, -1, v8, s[8:9]
	v_xor_b32_e32 v4, v9, v4
	v_xor_b32_e32 v5, v8, v5
	v_cmp_le_u16_e64 s[8:9], v4, v5
	s_andn2_b64 s[24:25], s[24:25], exec
	s_and_b64 s[8:9], s[8:9], exec
	s_or_b64 s[24:25], s[24:25], s[8:9]
.LBB1753_134:
	s_or_b64 exec, exec, s[12:13]
	v_cndmask_b32_e64 v4, v55, v54, s[24:25]
	v_cndmask_b32_e64 v5, v30, v29, s[24:25]
	v_add_u32_e32 v8, 1, v4
	v_add_u32_e32 v5, -1, v5
	v_min_u32_e32 v5, v8, v5
	v_lshl_add_u32 v5, v5, 1, v14
	ds_read_u16 v9, v5
	v_lshl_add_u32 v4, v4, 3, v12
	ds_read_b64 v[4:5], v4 offset:4096
	v_cndmask_b32_e64 v15, v8, v55, s[24:25]
	v_cndmask_b32_e64 v16, v54, v8, s[24:25]
	s_waitcnt lgkmcnt(1)
	v_cndmask_b32_e64 v37, v9, v36, s[24:25]
	v_cndmask_b32_e64 v48, v31, v9, s[24:25]
	v_cmp_lt_u32_e64 s[8:9], v15, v30
	s_mov_b64 s[26:27], -1
	s_mov_b64 s[12:13], -1
	s_and_saveexec_b64 s[28:29], s[8:9]
	s_cbranch_execz .LBB1753_138
; %bb.135:
	v_cmp_lt_u32_e64 s[8:9], v16, v29
	s_mov_b64 s[40:41], 0
	s_and_saveexec_b64 s[12:13], s[8:9]
	s_cbranch_execz .LBB1753_137
; %bb.136:
	v_add_f16_e32 v8, 0, v37
	v_add_f16_e32 v9, 0, v48
	v_mov_b32_e32 v17, 0xffff8000
	v_cmp_lt_i16_e64 s[8:9], -1, v8
	v_cndmask_b32_e64 v18, -1, v17, s[8:9]
	v_cmp_lt_i16_e64 s[8:9], -1, v9
	v_cndmask_b32_e64 v17, -1, v17, s[8:9]
	v_xor_b32_e32 v8, v18, v8
	v_xor_b32_e32 v9, v17, v9
	v_cmp_le_u16_e64 s[8:9], v8, v9
	s_and_b64 s[40:41], s[8:9], exec
.LBB1753_137:
	s_or_b64 exec, exec, s[12:13]
	s_orn2_b64 s[12:13], s[40:41], exec
.LBB1753_138:
	s_or_b64 exec, exec, s[28:29]
	v_cndmask_b32_e64 v8, v15, v16, s[12:13]
	v_cndmask_b32_e64 v9, v30, v29, s[12:13]
	v_add_u32_e32 v18, 1, v8
	v_add_u32_e32 v9, -1, v9
	v_min_u32_e32 v9, v18, v9
	v_lshl_add_u32 v9, v9, 1, v14
	ds_read_u16 v17, v9
	v_lshl_add_u32 v8, v8, 3, v12
	ds_read_b64 v[8:9], v8 offset:4096
	s_waitcnt lgkmcnt(1)
	v_cndmask_b32_e64 v49, v17, v37, s[12:13]
	v_cndmask_b32_e64 v52, v48, v17, s[12:13]
	;; [unrolled: 1-line block ×4, first 2 shown]
	v_cmp_lt_u32_e64 s[8:9], v17, v30
	s_and_saveexec_b64 s[28:29], s[8:9]
	s_cbranch_execz .LBB1753_142
; %bb.139:
	v_cmp_lt_u32_e64 s[8:9], v18, v29
	s_mov_b64 s[40:41], 0
	s_and_saveexec_b64 s[26:27], s[8:9]
	s_cbranch_execz .LBB1753_141
; %bb.140:
	v_add_f16_e32 v15, 0, v49
	v_add_f16_e32 v16, 0, v52
	v_mov_b32_e32 v19, 0xffff8000
	v_cmp_lt_i16_e64 s[8:9], -1, v15
	v_cndmask_b32_e64 v20, -1, v19, s[8:9]
	v_cmp_lt_i16_e64 s[8:9], -1, v16
	v_cndmask_b32_e64 v19, -1, v19, s[8:9]
	v_xor_b32_e32 v15, v20, v15
	v_xor_b32_e32 v16, v19, v16
	v_cmp_le_u16_e64 s[8:9], v15, v16
	s_and_b64 s[40:41], s[8:9], exec
.LBB1753_141:
	s_or_b64 exec, exec, s[26:27]
	s_orn2_b64 s[26:27], s[40:41], exec
.LBB1753_142:
	s_or_b64 exec, exec, s[28:29]
	v_cndmask_b32_e64 v15, v17, v18, s[26:27]
	v_cndmask_b32_e64 v16, v30, v29, s[26:27]
	v_add_u32_e32 v20, 1, v15
	v_add_u32_e32 v16, -1, v16
	v_min_u32_e32 v16, v20, v16
	v_lshl_add_u32 v16, v16, 1, v14
	ds_read_u16 v19, v16
	v_lshl_add_u32 v15, v15, 3, v12
	ds_read_b64 v[15:16], v15 offset:4096
	s_mov_b64 s[40:41], -1
	s_mov_b64 s[28:29], -1
	s_waitcnt lgkmcnt(1)
	v_cndmask_b32_e64 v25, v19, v49, s[26:27]
	v_cndmask_b32_e64 v26, v52, v19, s[26:27]
	;; [unrolled: 1-line block ×4, first 2 shown]
	v_cmp_lt_u32_e64 s[8:9], v19, v30
	s_and_saveexec_b64 s[42:43], s[8:9]
	s_cbranch_execz .LBB1753_146
; %bb.143:
	v_cmp_lt_u32_e64 s[8:9], v20, v29
	s_mov_b64 s[44:45], 0
	s_and_saveexec_b64 s[28:29], s[8:9]
	s_cbranch_execz .LBB1753_145
; %bb.144:
	v_add_f16_e32 v17, 0, v25
	v_add_f16_e32 v18, 0, v26
	v_mov_b32_e32 v21, 0xffff8000
	v_cmp_lt_i16_e64 s[8:9], -1, v17
	v_cndmask_b32_e64 v22, -1, v21, s[8:9]
	v_cmp_lt_i16_e64 s[8:9], -1, v18
	v_cndmask_b32_e64 v21, -1, v21, s[8:9]
	v_xor_b32_e32 v17, v22, v17
	v_xor_b32_e32 v18, v21, v18
	v_cmp_le_u16_e64 s[8:9], v17, v18
	s_and_b64 s[44:45], s[8:9], exec
.LBB1753_145:
	s_or_b64 exec, exec, s[28:29]
	s_orn2_b64 s[28:29], s[44:45], exec
.LBB1753_146:
	s_or_b64 exec, exec, s[42:43]
	v_cndmask_b32_e64 v17, v19, v20, s[28:29]
	v_cndmask_b32_e64 v18, v30, v29, s[28:29]
	v_add_u32_e32 v22, 1, v17
	v_add_u32_e32 v18, -1, v18
	v_min_u32_e32 v18, v22, v18
	v_lshl_add_u32 v18, v18, 1, v14
	ds_read_u16 v21, v18
	v_lshl_add_u32 v17, v17, 3, v12
	ds_read_b64 v[17:18], v17 offset:4096
	s_waitcnt lgkmcnt(1)
	v_cndmask_b32_e64 v39, v21, v25, s[28:29]
	v_cndmask_b32_e64 v51, v26, v21, s[28:29]
	;; [unrolled: 1-line block ×4, first 2 shown]
	v_cmp_lt_u32_e64 s[8:9], v21, v30
	s_and_saveexec_b64 s[42:43], s[8:9]
	s_cbranch_execz .LBB1753_150
; %bb.147:
	v_cmp_lt_u32_e64 s[8:9], v22, v29
	s_mov_b64 s[44:45], 0
	s_and_saveexec_b64 s[40:41], s[8:9]
	s_cbranch_execz .LBB1753_149
; %bb.148:
	v_add_f16_e32 v19, 0, v39
	v_add_f16_e32 v20, 0, v51
	v_mov_b32_e32 v23, 0xffff8000
	v_cmp_lt_i16_e64 s[8:9], -1, v19
	v_cndmask_b32_e64 v24, -1, v23, s[8:9]
	v_cmp_lt_i16_e64 s[8:9], -1, v20
	v_cndmask_b32_e64 v23, -1, v23, s[8:9]
	v_xor_b32_e32 v19, v24, v19
	v_xor_b32_e32 v20, v23, v20
	v_cmp_le_u16_e64 s[8:9], v19, v20
	s_and_b64 s[44:45], s[8:9], exec
.LBB1753_149:
	s_or_b64 exec, exec, s[40:41]
	s_orn2_b64 s[40:41], s[44:45], exec
.LBB1753_150:
	s_or_b64 exec, exec, s[42:43]
	v_cndmask_b32_e64 v19, v21, v22, s[40:41]
	v_cndmask_b32_e64 v20, v30, v29, s[40:41]
	v_add_u32_e32 v23, 1, v19
	v_add_u32_e32 v20, -1, v20
	v_min_u32_e32 v20, v23, v20
	v_lshl_add_u32 v20, v20, 1, v14
	ds_read_u16 v24, v20
	v_lshl_add_u32 v19, v19, 3, v12
	ds_read_b64 v[19:20], v19 offset:4096
	v_cndmask_b32_e64 v21, v23, v21, s[40:41]
	v_cndmask_b32_e64 v22, v22, v23, s[40:41]
	s_waitcnt lgkmcnt(1)
	v_cndmask_b32_e64 v38, v24, v39, s[40:41]
	v_cndmask_b32_e64 v53, v51, v24, s[40:41]
	v_cmp_lt_u32_e64 s[8:9], v21, v30
	s_mov_b64 s[44:45], -1
	s_mov_b64 s[42:43], -1
	s_and_saveexec_b64 s[46:47], s[8:9]
	s_cbranch_execz .LBB1753_154
; %bb.151:
	v_cmp_lt_u32_e64 s[8:9], v22, v29
	s_mov_b64 s[56:57], 0
	s_and_saveexec_b64 s[42:43], s[8:9]
	s_cbranch_execz .LBB1753_153
; %bb.152:
	v_add_f16_e32 v23, 0, v38
	v_add_f16_e32 v24, 0, v53
	v_mov_b32_e32 v50, 0xffff8000
	v_cmp_lt_i16_e64 s[8:9], -1, v23
	v_cndmask_b32_e64 v54, -1, v50, s[8:9]
	v_cmp_lt_i16_e64 s[8:9], -1, v24
	v_cndmask_b32_e64 v50, -1, v50, s[8:9]
	v_xor_b32_e32 v23, v54, v23
	v_xor_b32_e32 v24, v50, v24
	v_cmp_le_u16_e64 s[8:9], v23, v24
	s_and_b64 s[56:57], s[8:9], exec
.LBB1753_153:
	s_or_b64 exec, exec, s[42:43]
	s_orn2_b64 s[42:43], s[56:57], exec
.LBB1753_154:
	s_or_b64 exec, exec, s[46:47]
	v_cndmask_b32_e64 v23, v21, v22, s[42:43]
	v_cndmask_b32_e64 v24, v30, v29, s[42:43]
	v_add_u32_e32 v55, 1, v23
	v_add_u32_e32 v24, -1, v24
	v_min_u32_e32 v24, v55, v24
	v_lshl_add_u32 v24, v24, 1, v14
	ds_read_u16 v54, v24
	v_lshl_add_u32 v23, v23, 3, v12
	ds_read_b64 v[23:24], v23 offset:4096
	v_cndmask_b32_e64 v65, v55, v21, s[42:43]
	v_cndmask_b32_e64 v66, v22, v55, s[42:43]
	s_waitcnt lgkmcnt(1)
	v_cndmask_b32_e64 v50, v54, v38, s[42:43]
	v_cndmask_b32_e64 v54, v53, v54, s[42:43]
	v_cmp_lt_u32_e64 s[8:9], v65, v30
	s_and_saveexec_b64 s[46:47], s[8:9]
	s_cbranch_execz .LBB1753_158
; %bb.155:
	v_cmp_lt_u32_e64 s[8:9], v66, v29
	s_mov_b64 s[56:57], 0
	s_and_saveexec_b64 s[44:45], s[8:9]
	s_cbranch_execz .LBB1753_157
; %bb.156:
	v_add_f16_e32 v21, 0, v50
	v_add_f16_e32 v22, 0, v54
	v_mov_b32_e32 v55, 0xffff8000
	v_cmp_lt_i16_e64 s[8:9], -1, v21
	v_cndmask_b32_e64 v64, -1, v55, s[8:9]
	v_cmp_lt_i16_e64 s[8:9], -1, v22
	v_cndmask_b32_e64 v55, -1, v55, s[8:9]
	v_xor_b32_e32 v21, v64, v21
	v_xor_b32_e32 v22, v55, v22
	v_cmp_le_u16_e64 s[8:9], v21, v22
	s_and_b64 s[56:57], s[8:9], exec
.LBB1753_157:
	s_or_b64 exec, exec, s[44:45]
	s_orn2_b64 s[44:45], s[56:57], exec
.LBB1753_158:
	s_or_b64 exec, exec, s[46:47]
	v_cndmask_b32_e64 v21, v65, v66, s[44:45]
	v_cndmask_b32_e64 v22, v30, v29, s[44:45]
	v_add_u32_e32 v67, 1, v21
	v_add_u32_e32 v22, -1, v22
	v_min_u32_e32 v22, v67, v22
	v_lshl_add_u32 v22, v22, 1, v14
	ds_read_u16 v64, v22
	v_lshl_add_u32 v21, v21, 3, v12
	ds_read_b64 v[21:22], v21 offset:4096
	v_cndmask_b32_e64 v65, v67, v65, s[44:45]
	v_cndmask_b32_e64 v66, v66, v67, s[44:45]
	s_waitcnt lgkmcnt(1)
	v_cndmask_b32_e64 v55, v64, v50, s[44:45]
	v_cndmask_b32_e64 v64, v54, v64, s[44:45]
	v_cmp_lt_u32_e64 s[8:9], v65, v30
	s_mov_b64 s[56:57], -1
	s_and_saveexec_b64 s[46:47], s[8:9]
	s_cbranch_execz .LBB1753_162
; %bb.159:
	v_cmp_lt_u32_e64 s[8:9], v66, v29
	s_mov_b64 s[58:59], 0
	s_and_saveexec_b64 s[56:57], s[8:9]
	s_cbranch_execz .LBB1753_161
; %bb.160:
	v_add_f16_e32 v29, 0, v55
	v_add_f16_e32 v30, 0, v64
	v_mov_b32_e32 v67, 0xffff8000
	v_cmp_lt_i16_e64 s[8:9], -1, v29
	v_cndmask_b32_e64 v68, -1, v67, s[8:9]
	v_cmp_lt_i16_e64 s[8:9], -1, v30
	v_cndmask_b32_e64 v67, -1, v67, s[8:9]
	v_xor_b32_e32 v29, v68, v29
	v_xor_b32_e32 v30, v67, v30
	v_cmp_le_u16_e64 s[8:9], v29, v30
	s_and_b64 s[58:59], s[8:9], exec
.LBB1753_161:
	s_or_b64 exec, exec, s[56:57]
	s_orn2_b64 s[56:57], s[58:59], exec
.LBB1753_162:
	s_or_b64 exec, exec, s[46:47]
	v_cndmask_b32_e64 v39, v39, v51, s[40:41]
	v_cndmask_b32_e64 v51, v25, v26, s[28:29]
	;; [unrolled: 1-line block ×3, first 2 shown]
	v_lshl_add_u32 v25, v25, 3, v12
	ds_read_b64 v[25:26], v25 offset:4096
	v_cndmask_b32_e64 v50, v50, v54, s[44:45]
	v_cndmask_b32_e64 v38, v38, v53, s[42:43]
	;; [unrolled: 1-line block ×6, first 2 shown]
.LBB1753_163:
	s_or_b64 exec, exec, s[22:23]
	v_and_b32_e32 v31, 0x3c0, v35
	v_or_b32_e32 v29, 32, v31
	v_min_u32_e32 v29, v13, v29
	v_add_u32_e32 v30, 32, v29
	v_min_u32_e32 v30, v13, v30
	v_and_b32_e32 v52, 56, v35
	v_min_u32_e32 v55, v13, v52
	v_sub_u32_e32 v54, v29, v31
	v_sub_u32_e32 v53, v30, v29
	v_sub_u32_e64 v53, v55, v53 clamp
	v_min_u32_e32 v54, v55, v54
	v_lshl_add_u32 v52, v31, 1, v14
	v_cmp_lt_u32_e64 s[8:9], v53, v54
	; wave barrier
	ds_write_b16 v27, v36
	ds_write_b64 v28, v[4:5] offset:4096
	ds_write_b16 v27, v48 offset:2
	ds_write_b64 v28, v[8:9] offset:4104
	ds_write_b16 v27, v49 offset:4
	;; [unrolled: 2-line block ×6, first 2 shown]
	s_waitcnt lgkmcnt(14)
	ds_write_b64 v28, v[21:22] offset:4144
	ds_write_b16 v27, v37 offset:14
	s_waitcnt lgkmcnt(14)
	ds_write_b64 v28, v[25:26] offset:4152
	; wave barrier
	s_and_saveexec_b64 s[12:13], s[8:9]
	s_cbranch_execz .LBB1753_167
; %bb.164:
	v_lshlrev_b32_e32 v64, 1, v29
	v_lshlrev_b32_e32 v65, 1, v55
	v_add3_u32 v64, v14, v64, v65
	s_mov_b64 s[22:23], 0
	v_mov_b32_e32 v65, 0xffff8000
.LBB1753_165:                           ; =>This Inner Loop Header: Depth=1
	v_add_u32_e32 v66, v54, v53
	v_lshrrev_b32_e32 v67, 1, v66
	v_and_b32_e32 v66, -2, v66
	v_not_b32_e32 v68, v67
	v_add_u32_e32 v66, v52, v66
	v_lshl_add_u32 v68, v68, 1, v64
	ds_read_u16 v66, v66
	ds_read_u16 v68, v68
	v_add_u32_e32 v69, 1, v67
	s_waitcnt lgkmcnt(1)
	v_add_f16_e32 v66, 0, v66
	s_waitcnt lgkmcnt(0)
	v_add_f16_e32 v68, 0, v68
	v_cmp_lt_i16_e64 s[8:9], -1, v66
	v_cndmask_b32_e64 v70, -1, v65, s[8:9]
	v_cmp_lt_i16_e64 s[8:9], -1, v68
	v_cndmask_b32_e64 v71, -1, v65, s[8:9]
	v_xor_b32_e32 v66, v70, v66
	v_xor_b32_e32 v68, v71, v68
	v_cmp_gt_u16_e64 s[8:9], v68, v66
	v_cndmask_b32_e64 v54, v54, v67, s[8:9]
	v_cndmask_b32_e64 v53, v69, v53, s[8:9]
	v_cmp_ge_u32_e64 s[8:9], v53, v54
	s_or_b64 s[22:23], s[8:9], s[22:23]
	s_andn2_b64 exec, exec, s[22:23]
	s_cbranch_execnz .LBB1753_165
; %bb.166:
	s_or_b64 exec, exec, s[22:23]
.LBB1753_167:
	s_or_b64 exec, exec, s[12:13]
	v_add_u32_e32 v54, v53, v31
	v_add_u32_e32 v31, v29, v55
	v_sub_u32_e32 v55, v31, v53
	v_cmp_le_u32_e64 s[8:9], v54, v29
	v_cmp_le_u32_e64 s[12:13], v55, v30
	s_or_b64 s[8:9], s[8:9], s[12:13]
	s_and_saveexec_b64 s[22:23], s[8:9]
	s_cbranch_execz .LBB1753_203
; %bb.168:
	v_cmp_ge_u32_e64 s[8:9], v54, v29
	v_cmp_lt_u32_e64 s[12:13], v54, v29
                                        ; implicit-def: $vgpr31
	s_and_saveexec_b64 s[24:25], s[12:13]
; %bb.169:
	v_lshl_add_u32 v4, v53, 1, v52
	ds_read_u16 v31, v4
; %bb.170:
	s_or_b64 exec, exec, s[24:25]
	v_cmp_ge_u32_e64 s[24:25], v55, v30
	v_cmp_lt_u32_e64 s[12:13], v55, v30
                                        ; implicit-def: $vgpr36
	s_and_saveexec_b64 s[26:27], s[12:13]
; %bb.171:
	v_lshl_add_u32 v4, v55, 1, v14
	ds_read_u16 v36, v4
; %bb.172:
	s_or_b64 exec, exec, s[26:27]
	s_nor_b64 s[8:9], s[8:9], s[24:25]
	s_and_saveexec_b64 s[12:13], s[8:9]
	s_cbranch_execz .LBB1753_174
; %bb.173:
	s_waitcnt lgkmcnt(0)
	v_add_f16_e32 v4, 0, v36
	v_add_f16_e32 v5, 0, v31
	v_mov_b32_e32 v8, 0xffff8000
	v_cmp_lt_i16_e64 s[8:9], -1, v4
	v_cndmask_b32_e64 v9, -1, v8, s[8:9]
	v_cmp_lt_i16_e64 s[8:9], -1, v5
	v_cndmask_b32_e64 v8, -1, v8, s[8:9]
	v_xor_b32_e32 v4, v9, v4
	v_xor_b32_e32 v5, v8, v5
	v_cmp_le_u16_e64 s[8:9], v4, v5
	s_andn2_b64 s[24:25], s[24:25], exec
	s_and_b64 s[8:9], s[8:9], exec
	s_or_b64 s[24:25], s[24:25], s[8:9]
.LBB1753_174:
	s_or_b64 exec, exec, s[12:13]
	v_cndmask_b32_e64 v4, v55, v54, s[24:25]
	v_cndmask_b32_e64 v5, v30, v29, s[24:25]
	v_add_u32_e32 v8, 1, v4
	v_add_u32_e32 v5, -1, v5
	v_min_u32_e32 v5, v8, v5
	v_lshl_add_u32 v5, v5, 1, v14
	ds_read_u16 v9, v5
	v_lshl_add_u32 v4, v4, 3, v12
	ds_read_b64 v[4:5], v4 offset:4096
	v_cndmask_b32_e64 v15, v8, v55, s[24:25]
	v_cndmask_b32_e64 v16, v54, v8, s[24:25]
	s_waitcnt lgkmcnt(1)
	v_cndmask_b32_e64 v37, v9, v36, s[24:25]
	v_cndmask_b32_e64 v48, v31, v9, s[24:25]
	v_cmp_lt_u32_e64 s[8:9], v15, v30
	s_mov_b64 s[26:27], -1
	s_mov_b64 s[12:13], -1
	s_and_saveexec_b64 s[28:29], s[8:9]
	s_cbranch_execz .LBB1753_178
; %bb.175:
	v_cmp_lt_u32_e64 s[8:9], v16, v29
	s_mov_b64 s[40:41], 0
	s_and_saveexec_b64 s[12:13], s[8:9]
	s_cbranch_execz .LBB1753_177
; %bb.176:
	v_add_f16_e32 v8, 0, v37
	v_add_f16_e32 v9, 0, v48
	v_mov_b32_e32 v17, 0xffff8000
	v_cmp_lt_i16_e64 s[8:9], -1, v8
	v_cndmask_b32_e64 v18, -1, v17, s[8:9]
	v_cmp_lt_i16_e64 s[8:9], -1, v9
	v_cndmask_b32_e64 v17, -1, v17, s[8:9]
	v_xor_b32_e32 v8, v18, v8
	v_xor_b32_e32 v9, v17, v9
	v_cmp_le_u16_e64 s[8:9], v8, v9
	s_and_b64 s[40:41], s[8:9], exec
.LBB1753_177:
	s_or_b64 exec, exec, s[12:13]
	s_orn2_b64 s[12:13], s[40:41], exec
.LBB1753_178:
	s_or_b64 exec, exec, s[28:29]
	v_cndmask_b32_e64 v8, v15, v16, s[12:13]
	v_cndmask_b32_e64 v9, v30, v29, s[12:13]
	v_add_u32_e32 v18, 1, v8
	v_add_u32_e32 v9, -1, v9
	v_min_u32_e32 v9, v18, v9
	v_lshl_add_u32 v9, v9, 1, v14
	ds_read_u16 v17, v9
	v_lshl_add_u32 v8, v8, 3, v12
	ds_read_b64 v[8:9], v8 offset:4096
	s_waitcnt lgkmcnt(1)
	v_cndmask_b32_e64 v49, v17, v37, s[12:13]
	v_cndmask_b32_e64 v52, v48, v17, s[12:13]
	;; [unrolled: 1-line block ×4, first 2 shown]
	v_cmp_lt_u32_e64 s[8:9], v17, v30
	s_and_saveexec_b64 s[28:29], s[8:9]
	s_cbranch_execz .LBB1753_182
; %bb.179:
	v_cmp_lt_u32_e64 s[8:9], v18, v29
	s_mov_b64 s[40:41], 0
	s_and_saveexec_b64 s[26:27], s[8:9]
	s_cbranch_execz .LBB1753_181
; %bb.180:
	v_add_f16_e32 v15, 0, v49
	v_add_f16_e32 v16, 0, v52
	v_mov_b32_e32 v19, 0xffff8000
	v_cmp_lt_i16_e64 s[8:9], -1, v15
	v_cndmask_b32_e64 v20, -1, v19, s[8:9]
	v_cmp_lt_i16_e64 s[8:9], -1, v16
	v_cndmask_b32_e64 v19, -1, v19, s[8:9]
	v_xor_b32_e32 v15, v20, v15
	v_xor_b32_e32 v16, v19, v16
	v_cmp_le_u16_e64 s[8:9], v15, v16
	s_and_b64 s[40:41], s[8:9], exec
.LBB1753_181:
	s_or_b64 exec, exec, s[26:27]
	s_orn2_b64 s[26:27], s[40:41], exec
.LBB1753_182:
	s_or_b64 exec, exec, s[28:29]
	v_cndmask_b32_e64 v15, v17, v18, s[26:27]
	v_cndmask_b32_e64 v16, v30, v29, s[26:27]
	v_add_u32_e32 v20, 1, v15
	v_add_u32_e32 v16, -1, v16
	v_min_u32_e32 v16, v20, v16
	v_lshl_add_u32 v16, v16, 1, v14
	ds_read_u16 v19, v16
	v_lshl_add_u32 v15, v15, 3, v12
	ds_read_b64 v[15:16], v15 offset:4096
	s_mov_b64 s[40:41], -1
	s_mov_b64 s[28:29], -1
	s_waitcnt lgkmcnt(1)
	v_cndmask_b32_e64 v25, v19, v49, s[26:27]
	v_cndmask_b32_e64 v26, v52, v19, s[26:27]
	;; [unrolled: 1-line block ×4, first 2 shown]
	v_cmp_lt_u32_e64 s[8:9], v19, v30
	s_and_saveexec_b64 s[42:43], s[8:9]
	s_cbranch_execz .LBB1753_186
; %bb.183:
	v_cmp_lt_u32_e64 s[8:9], v20, v29
	s_mov_b64 s[44:45], 0
	s_and_saveexec_b64 s[28:29], s[8:9]
	s_cbranch_execz .LBB1753_185
; %bb.184:
	v_add_f16_e32 v17, 0, v25
	v_add_f16_e32 v18, 0, v26
	v_mov_b32_e32 v21, 0xffff8000
	v_cmp_lt_i16_e64 s[8:9], -1, v17
	v_cndmask_b32_e64 v22, -1, v21, s[8:9]
	v_cmp_lt_i16_e64 s[8:9], -1, v18
	v_cndmask_b32_e64 v21, -1, v21, s[8:9]
	v_xor_b32_e32 v17, v22, v17
	v_xor_b32_e32 v18, v21, v18
	v_cmp_le_u16_e64 s[8:9], v17, v18
	s_and_b64 s[44:45], s[8:9], exec
.LBB1753_185:
	s_or_b64 exec, exec, s[28:29]
	s_orn2_b64 s[28:29], s[44:45], exec
.LBB1753_186:
	s_or_b64 exec, exec, s[42:43]
	v_cndmask_b32_e64 v17, v19, v20, s[28:29]
	v_cndmask_b32_e64 v18, v30, v29, s[28:29]
	v_add_u32_e32 v22, 1, v17
	v_add_u32_e32 v18, -1, v18
	v_min_u32_e32 v18, v22, v18
	v_lshl_add_u32 v18, v18, 1, v14
	ds_read_u16 v21, v18
	v_lshl_add_u32 v17, v17, 3, v12
	ds_read_b64 v[17:18], v17 offset:4096
	s_waitcnt lgkmcnt(1)
	v_cndmask_b32_e64 v39, v21, v25, s[28:29]
	v_cndmask_b32_e64 v51, v26, v21, s[28:29]
	;; [unrolled: 1-line block ×4, first 2 shown]
	v_cmp_lt_u32_e64 s[8:9], v21, v30
	s_and_saveexec_b64 s[42:43], s[8:9]
	s_cbranch_execz .LBB1753_190
; %bb.187:
	v_cmp_lt_u32_e64 s[8:9], v22, v29
	s_mov_b64 s[44:45], 0
	s_and_saveexec_b64 s[40:41], s[8:9]
	s_cbranch_execz .LBB1753_189
; %bb.188:
	v_add_f16_e32 v19, 0, v39
	v_add_f16_e32 v20, 0, v51
	v_mov_b32_e32 v23, 0xffff8000
	v_cmp_lt_i16_e64 s[8:9], -1, v19
	v_cndmask_b32_e64 v24, -1, v23, s[8:9]
	v_cmp_lt_i16_e64 s[8:9], -1, v20
	v_cndmask_b32_e64 v23, -1, v23, s[8:9]
	v_xor_b32_e32 v19, v24, v19
	v_xor_b32_e32 v20, v23, v20
	v_cmp_le_u16_e64 s[8:9], v19, v20
	s_and_b64 s[44:45], s[8:9], exec
.LBB1753_189:
	s_or_b64 exec, exec, s[40:41]
	s_orn2_b64 s[40:41], s[44:45], exec
.LBB1753_190:
	s_or_b64 exec, exec, s[42:43]
	v_cndmask_b32_e64 v19, v21, v22, s[40:41]
	v_cndmask_b32_e64 v20, v30, v29, s[40:41]
	v_add_u32_e32 v23, 1, v19
	v_add_u32_e32 v20, -1, v20
	v_min_u32_e32 v20, v23, v20
	v_lshl_add_u32 v20, v20, 1, v14
	ds_read_u16 v24, v20
	v_lshl_add_u32 v19, v19, 3, v12
	ds_read_b64 v[19:20], v19 offset:4096
	v_cndmask_b32_e64 v21, v23, v21, s[40:41]
	v_cndmask_b32_e64 v22, v22, v23, s[40:41]
	s_waitcnt lgkmcnt(1)
	v_cndmask_b32_e64 v38, v24, v39, s[40:41]
	v_cndmask_b32_e64 v53, v51, v24, s[40:41]
	v_cmp_lt_u32_e64 s[8:9], v21, v30
	s_mov_b64 s[44:45], -1
	s_mov_b64 s[42:43], -1
	s_and_saveexec_b64 s[46:47], s[8:9]
	s_cbranch_execz .LBB1753_194
; %bb.191:
	v_cmp_lt_u32_e64 s[8:9], v22, v29
	s_mov_b64 s[56:57], 0
	s_and_saveexec_b64 s[42:43], s[8:9]
	s_cbranch_execz .LBB1753_193
; %bb.192:
	v_add_f16_e32 v23, 0, v38
	v_add_f16_e32 v24, 0, v53
	v_mov_b32_e32 v50, 0xffff8000
	v_cmp_lt_i16_e64 s[8:9], -1, v23
	v_cndmask_b32_e64 v54, -1, v50, s[8:9]
	v_cmp_lt_i16_e64 s[8:9], -1, v24
	v_cndmask_b32_e64 v50, -1, v50, s[8:9]
	v_xor_b32_e32 v23, v54, v23
	v_xor_b32_e32 v24, v50, v24
	v_cmp_le_u16_e64 s[8:9], v23, v24
	s_and_b64 s[56:57], s[8:9], exec
.LBB1753_193:
	s_or_b64 exec, exec, s[42:43]
	s_orn2_b64 s[42:43], s[56:57], exec
.LBB1753_194:
	s_or_b64 exec, exec, s[46:47]
	v_cndmask_b32_e64 v23, v21, v22, s[42:43]
	v_cndmask_b32_e64 v24, v30, v29, s[42:43]
	v_add_u32_e32 v55, 1, v23
	v_add_u32_e32 v24, -1, v24
	v_min_u32_e32 v24, v55, v24
	v_lshl_add_u32 v24, v24, 1, v14
	ds_read_u16 v54, v24
	v_lshl_add_u32 v23, v23, 3, v12
	ds_read_b64 v[23:24], v23 offset:4096
	v_cndmask_b32_e64 v65, v55, v21, s[42:43]
	v_cndmask_b32_e64 v66, v22, v55, s[42:43]
	s_waitcnt lgkmcnt(1)
	v_cndmask_b32_e64 v50, v54, v38, s[42:43]
	v_cndmask_b32_e64 v54, v53, v54, s[42:43]
	v_cmp_lt_u32_e64 s[8:9], v65, v30
	s_and_saveexec_b64 s[46:47], s[8:9]
	s_cbranch_execz .LBB1753_198
; %bb.195:
	v_cmp_lt_u32_e64 s[8:9], v66, v29
	s_mov_b64 s[56:57], 0
	s_and_saveexec_b64 s[44:45], s[8:9]
	s_cbranch_execz .LBB1753_197
; %bb.196:
	v_add_f16_e32 v21, 0, v50
	v_add_f16_e32 v22, 0, v54
	v_mov_b32_e32 v55, 0xffff8000
	v_cmp_lt_i16_e64 s[8:9], -1, v21
	v_cndmask_b32_e64 v64, -1, v55, s[8:9]
	v_cmp_lt_i16_e64 s[8:9], -1, v22
	v_cndmask_b32_e64 v55, -1, v55, s[8:9]
	v_xor_b32_e32 v21, v64, v21
	v_xor_b32_e32 v22, v55, v22
	v_cmp_le_u16_e64 s[8:9], v21, v22
	s_and_b64 s[56:57], s[8:9], exec
.LBB1753_197:
	s_or_b64 exec, exec, s[44:45]
	s_orn2_b64 s[44:45], s[56:57], exec
.LBB1753_198:
	s_or_b64 exec, exec, s[46:47]
	v_cndmask_b32_e64 v21, v65, v66, s[44:45]
	v_cndmask_b32_e64 v22, v30, v29, s[44:45]
	v_add_u32_e32 v67, 1, v21
	v_add_u32_e32 v22, -1, v22
	v_min_u32_e32 v22, v67, v22
	v_lshl_add_u32 v22, v22, 1, v14
	ds_read_u16 v64, v22
	v_lshl_add_u32 v21, v21, 3, v12
	ds_read_b64 v[21:22], v21 offset:4096
	v_cndmask_b32_e64 v65, v67, v65, s[44:45]
	v_cndmask_b32_e64 v66, v66, v67, s[44:45]
	s_waitcnt lgkmcnt(1)
	v_cndmask_b32_e64 v55, v64, v50, s[44:45]
	v_cndmask_b32_e64 v64, v54, v64, s[44:45]
	v_cmp_lt_u32_e64 s[8:9], v65, v30
	s_mov_b64 s[56:57], -1
	s_and_saveexec_b64 s[46:47], s[8:9]
	s_cbranch_execz .LBB1753_202
; %bb.199:
	v_cmp_lt_u32_e64 s[8:9], v66, v29
	s_mov_b64 s[58:59], 0
	s_and_saveexec_b64 s[56:57], s[8:9]
	s_cbranch_execz .LBB1753_201
; %bb.200:
	v_add_f16_e32 v29, 0, v55
	v_add_f16_e32 v30, 0, v64
	v_mov_b32_e32 v67, 0xffff8000
	v_cmp_lt_i16_e64 s[8:9], -1, v29
	v_cndmask_b32_e64 v68, -1, v67, s[8:9]
	v_cmp_lt_i16_e64 s[8:9], -1, v30
	v_cndmask_b32_e64 v67, -1, v67, s[8:9]
	v_xor_b32_e32 v29, v68, v29
	v_xor_b32_e32 v30, v67, v30
	v_cmp_le_u16_e64 s[8:9], v29, v30
	s_and_b64 s[58:59], s[8:9], exec
.LBB1753_201:
	s_or_b64 exec, exec, s[56:57]
	s_orn2_b64 s[56:57], s[58:59], exec
.LBB1753_202:
	s_or_b64 exec, exec, s[46:47]
	v_cndmask_b32_e64 v39, v39, v51, s[40:41]
	v_cndmask_b32_e64 v51, v25, v26, s[28:29]
	v_cndmask_b32_e64 v25, v65, v66, s[56:57]
	v_lshl_add_u32 v25, v25, 3, v12
	ds_read_b64 v[25:26], v25 offset:4096
	v_cndmask_b32_e64 v50, v50, v54, s[44:45]
	v_cndmask_b32_e64 v38, v38, v53, s[42:43]
	;; [unrolled: 1-line block ×6, first 2 shown]
.LBB1753_203:
	s_or_b64 exec, exec, s[22:23]
	v_and_b32_e32 v31, 0x380, v35
	; wave barrier
	ds_write_b16 v27, v36
	ds_write_b64 v28, v[4:5] offset:4096
	ds_write_b16 v27, v48 offset:2
	ds_write_b64 v28, v[8:9] offset:4104
	ds_write_b16 v27, v49 offset:4
	;; [unrolled: 2-line block ×6, first 2 shown]
	s_waitcnt lgkmcnt(14)
	ds_write_b64 v28, v[21:22] offset:4144
	ds_write_b16 v27, v37 offset:14
	s_waitcnt lgkmcnt(14)
	ds_write_b64 v28, v[25:26] offset:4152
	v_or_b32_e32 v27, 64, v31
	v_min_u32_e32 v27, v13, v27
	v_add_u32_e32 v28, 64, v27
	v_min_u32_e32 v28, v13, v28
	v_min_u32_e32 v13, v13, v34
	v_sub_u32_e32 v34, v27, v31
	v_sub_u32_e32 v30, v28, v27
	v_sub_u32_e64 v30, v13, v30 clamp
	v_min_u32_e32 v34, v13, v34
	v_lshl_add_u32 v29, v31, 1, v14
	v_cmp_lt_u32_e64 s[8:9], v30, v34
	; wave barrier
	s_and_saveexec_b64 s[12:13], s[8:9]
	s_cbranch_execz .LBB1753_207
; %bb.204:
	v_lshlrev_b32_e32 v35, 1, v27
	v_lshlrev_b32_e32 v52, 1, v13
	v_add3_u32 v35, v14, v35, v52
	s_mov_b64 s[22:23], 0
	v_mov_b32_e32 v52, 0xffff8000
.LBB1753_205:                           ; =>This Inner Loop Header: Depth=1
	v_add_u32_e32 v53, v34, v30
	v_lshrrev_b32_e32 v54, 1, v53
	v_and_b32_e32 v53, -2, v53
	v_not_b32_e32 v55, v54
	v_add_u32_e32 v53, v29, v53
	v_lshl_add_u32 v55, v55, 1, v35
	ds_read_u16 v53, v53
	ds_read_u16 v55, v55
	v_add_u32_e32 v64, 1, v54
	s_waitcnt lgkmcnt(1)
	v_add_f16_e32 v53, 0, v53
	s_waitcnt lgkmcnt(0)
	v_add_f16_e32 v55, 0, v55
	v_cmp_lt_i16_e64 s[8:9], -1, v53
	v_cndmask_b32_e64 v65, -1, v52, s[8:9]
	v_cmp_lt_i16_e64 s[8:9], -1, v55
	v_cndmask_b32_e64 v66, -1, v52, s[8:9]
	v_xor_b32_e32 v53, v65, v53
	v_xor_b32_e32 v55, v66, v55
	v_cmp_gt_u16_e64 s[8:9], v55, v53
	v_cndmask_b32_e64 v34, v34, v54, s[8:9]
	v_cndmask_b32_e64 v30, v64, v30, s[8:9]
	v_cmp_ge_u32_e64 s[8:9], v30, v34
	s_or_b64 s[22:23], s[8:9], s[22:23]
	s_andn2_b64 exec, exec, s[22:23]
	s_cbranch_execnz .LBB1753_205
; %bb.206:
	s_or_b64 exec, exec, s[22:23]
.LBB1753_207:
	s_or_b64 exec, exec, s[12:13]
	v_add_u32_e32 v13, v27, v13
	v_add_u32_e32 v34, v30, v31
	v_sub_u32_e32 v35, v13, v30
	v_cmp_le_u32_e64 s[8:9], v34, v27
	v_cmp_le_u32_e64 s[12:13], v35, v28
	s_or_b64 s[8:9], s[8:9], s[12:13]
	s_and_saveexec_b64 s[22:23], s[8:9]
	s_cbranch_execz .LBB1753_243
; %bb.208:
	v_cmp_ge_u32_e64 s[8:9], v34, v27
	v_cmp_lt_u32_e64 s[12:13], v34, v27
                                        ; implicit-def: $vgpr13
	s_and_saveexec_b64 s[24:25], s[12:13]
; %bb.209:
	v_lshl_add_u32 v4, v30, 1, v29
	ds_read_u16 v13, v4
; %bb.210:
	s_or_b64 exec, exec, s[24:25]
	v_cmp_ge_u32_e64 s[24:25], v35, v28
	v_cmp_lt_u32_e64 s[12:13], v35, v28
                                        ; implicit-def: $vgpr29
	s_and_saveexec_b64 s[26:27], s[12:13]
; %bb.211:
	v_lshl_add_u32 v4, v35, 1, v14
	ds_read_u16 v29, v4
; %bb.212:
	s_or_b64 exec, exec, s[26:27]
	s_nor_b64 s[8:9], s[8:9], s[24:25]
	s_and_saveexec_b64 s[12:13], s[8:9]
	s_cbranch_execz .LBB1753_214
; %bb.213:
	s_waitcnt lgkmcnt(0)
	v_add_f16_e32 v4, 0, v29
	v_add_f16_e32 v5, 0, v13
	v_mov_b32_e32 v8, 0xffff8000
	v_cmp_lt_i16_e64 s[8:9], -1, v4
	v_cndmask_b32_e64 v9, -1, v8, s[8:9]
	v_cmp_lt_i16_e64 s[8:9], -1, v5
	v_cndmask_b32_e64 v8, -1, v8, s[8:9]
	v_xor_b32_e32 v4, v9, v4
	v_xor_b32_e32 v5, v8, v5
	v_cmp_le_u16_e64 s[8:9], v4, v5
	s_andn2_b64 s[24:25], s[24:25], exec
	s_and_b64 s[8:9], s[8:9], exec
	s_or_b64 s[24:25], s[24:25], s[8:9]
.LBB1753_214:
	s_or_b64 exec, exec, s[12:13]
	v_cndmask_b32_e64 v4, v35, v34, s[24:25]
	v_cndmask_b32_e64 v5, v28, v27, s[24:25]
	v_add_u32_e32 v8, 1, v4
	v_add_u32_e32 v5, -1, v5
	v_min_u32_e32 v5, v8, v5
	v_lshl_add_u32 v5, v5, 1, v14
	ds_read_u16 v9, v5
	v_lshl_add_u32 v4, v4, 3, v12
	ds_read_b64 v[4:5], v4 offset:4096
	v_cndmask_b32_e64 v15, v8, v35, s[24:25]
	v_cndmask_b32_e64 v16, v34, v8, s[24:25]
	s_waitcnt lgkmcnt(1)
	v_cndmask_b32_e64 v30, v9, v29, s[24:25]
	v_cndmask_b32_e64 v31, v13, v9, s[24:25]
	v_cmp_lt_u32_e64 s[8:9], v15, v28
	s_mov_b64 s[26:27], -1
	s_mov_b64 s[12:13], -1
	s_and_saveexec_b64 s[28:29], s[8:9]
	s_cbranch_execz .LBB1753_218
; %bb.215:
	v_cmp_lt_u32_e64 s[8:9], v16, v27
	s_mov_b64 s[40:41], 0
	s_and_saveexec_b64 s[12:13], s[8:9]
	s_cbranch_execz .LBB1753_217
; %bb.216:
	v_add_f16_e32 v8, 0, v30
	v_add_f16_e32 v9, 0, v31
	v_mov_b32_e32 v17, 0xffff8000
	v_cmp_lt_i16_e64 s[8:9], -1, v8
	v_cndmask_b32_e64 v18, -1, v17, s[8:9]
	v_cmp_lt_i16_e64 s[8:9], -1, v9
	v_cndmask_b32_e64 v17, -1, v17, s[8:9]
	v_xor_b32_e32 v8, v18, v8
	v_xor_b32_e32 v9, v17, v9
	v_cmp_le_u16_e64 s[8:9], v8, v9
	s_and_b64 s[40:41], s[8:9], exec
.LBB1753_217:
	s_or_b64 exec, exec, s[12:13]
	s_orn2_b64 s[12:13], s[40:41], exec
.LBB1753_218:
	s_or_b64 exec, exec, s[28:29]
	v_cndmask_b32_e64 v8, v15, v16, s[12:13]
	v_cndmask_b32_e64 v9, v28, v27, s[12:13]
	v_add_u32_e32 v18, 1, v8
	v_add_u32_e32 v9, -1, v9
	v_min_u32_e32 v9, v18, v9
	v_lshl_add_u32 v9, v9, 1, v14
	ds_read_u16 v17, v9
	v_lshl_add_u32 v8, v8, 3, v12
	ds_read_b64 v[8:9], v8 offset:4096
	s_waitcnt lgkmcnt(1)
	v_cndmask_b32_e64 v34, v17, v30, s[12:13]
	v_cndmask_b32_e64 v35, v31, v17, s[12:13]
	;; [unrolled: 1-line block ×4, first 2 shown]
	v_cmp_lt_u32_e64 s[8:9], v17, v28
	s_and_saveexec_b64 s[28:29], s[8:9]
	s_cbranch_execz .LBB1753_222
; %bb.219:
	v_cmp_lt_u32_e64 s[8:9], v18, v27
	s_mov_b64 s[40:41], 0
	s_and_saveexec_b64 s[26:27], s[8:9]
	s_cbranch_execz .LBB1753_221
; %bb.220:
	v_add_f16_e32 v15, 0, v34
	v_add_f16_e32 v16, 0, v35
	v_mov_b32_e32 v19, 0xffff8000
	v_cmp_lt_i16_e64 s[8:9], -1, v15
	v_cndmask_b32_e64 v20, -1, v19, s[8:9]
	v_cmp_lt_i16_e64 s[8:9], -1, v16
	v_cndmask_b32_e64 v19, -1, v19, s[8:9]
	v_xor_b32_e32 v15, v20, v15
	v_xor_b32_e32 v16, v19, v16
	v_cmp_le_u16_e64 s[8:9], v15, v16
	s_and_b64 s[40:41], s[8:9], exec
.LBB1753_221:
	s_or_b64 exec, exec, s[26:27]
	s_orn2_b64 s[26:27], s[40:41], exec
.LBB1753_222:
	s_or_b64 exec, exec, s[28:29]
	v_cndmask_b32_e64 v15, v17, v18, s[26:27]
	v_cndmask_b32_e64 v16, v28, v27, s[26:27]
	v_add_u32_e32 v20, 1, v15
	v_add_u32_e32 v16, -1, v16
	v_min_u32_e32 v16, v20, v16
	v_lshl_add_u32 v16, v16, 1, v14
	ds_read_u16 v19, v16
	v_lshl_add_u32 v15, v15, 3, v12
	ds_read_b64 v[15:16], v15 offset:4096
	s_mov_b64 s[40:41], -1
	s_mov_b64 s[28:29], -1
	s_waitcnt lgkmcnt(1)
	v_cndmask_b32_e64 v25, v19, v34, s[26:27]
	v_cndmask_b32_e64 v26, v35, v19, s[26:27]
	;; [unrolled: 1-line block ×4, first 2 shown]
	v_cmp_lt_u32_e64 s[8:9], v19, v28
	s_and_saveexec_b64 s[42:43], s[8:9]
	s_cbranch_execz .LBB1753_226
; %bb.223:
	v_cmp_lt_u32_e64 s[8:9], v20, v27
	s_mov_b64 s[44:45], 0
	s_and_saveexec_b64 s[28:29], s[8:9]
	s_cbranch_execz .LBB1753_225
; %bb.224:
	v_add_f16_e32 v17, 0, v25
	v_add_f16_e32 v18, 0, v26
	v_mov_b32_e32 v21, 0xffff8000
	v_cmp_lt_i16_e64 s[8:9], -1, v17
	v_cndmask_b32_e64 v22, -1, v21, s[8:9]
	v_cmp_lt_i16_e64 s[8:9], -1, v18
	v_cndmask_b32_e64 v21, -1, v21, s[8:9]
	v_xor_b32_e32 v17, v22, v17
	v_xor_b32_e32 v18, v21, v18
	v_cmp_le_u16_e64 s[8:9], v17, v18
	s_and_b64 s[44:45], s[8:9], exec
.LBB1753_225:
	s_or_b64 exec, exec, s[28:29]
	s_orn2_b64 s[28:29], s[44:45], exec
.LBB1753_226:
	s_or_b64 exec, exec, s[42:43]
	v_cndmask_b32_e64 v17, v19, v20, s[28:29]
	v_cndmask_b32_e64 v18, v28, v27, s[28:29]
	v_add_u32_e32 v22, 1, v17
	v_add_u32_e32 v18, -1, v18
	v_min_u32_e32 v18, v22, v18
	v_lshl_add_u32 v18, v18, 1, v14
	ds_read_u16 v21, v18
	v_lshl_add_u32 v17, v17, 3, v12
	ds_read_b64 v[17:18], v17 offset:4096
	s_waitcnt lgkmcnt(1)
	v_cndmask_b32_e64 v36, v21, v25, s[28:29]
	v_cndmask_b32_e64 v37, v26, v21, s[28:29]
	;; [unrolled: 1-line block ×4, first 2 shown]
	v_cmp_lt_u32_e64 s[8:9], v21, v28
	s_and_saveexec_b64 s[42:43], s[8:9]
	s_cbranch_execz .LBB1753_230
; %bb.227:
	v_cmp_lt_u32_e64 s[8:9], v22, v27
	s_mov_b64 s[44:45], 0
	s_and_saveexec_b64 s[40:41], s[8:9]
	s_cbranch_execz .LBB1753_229
; %bb.228:
	v_add_f16_e32 v19, 0, v36
	v_add_f16_e32 v20, 0, v37
	v_mov_b32_e32 v23, 0xffff8000
	v_cmp_lt_i16_e64 s[8:9], -1, v19
	v_cndmask_b32_e64 v24, -1, v23, s[8:9]
	v_cmp_lt_i16_e64 s[8:9], -1, v20
	v_cndmask_b32_e64 v23, -1, v23, s[8:9]
	v_xor_b32_e32 v19, v24, v19
	v_xor_b32_e32 v20, v23, v20
	v_cmp_le_u16_e64 s[8:9], v19, v20
	s_and_b64 s[44:45], s[8:9], exec
.LBB1753_229:
	s_or_b64 exec, exec, s[40:41]
	s_orn2_b64 s[40:41], s[44:45], exec
.LBB1753_230:
	s_or_b64 exec, exec, s[42:43]
	v_cndmask_b32_e64 v19, v21, v22, s[40:41]
	v_cndmask_b32_e64 v20, v28, v27, s[40:41]
	v_add_u32_e32 v23, 1, v19
	v_add_u32_e32 v20, -1, v20
	v_min_u32_e32 v20, v23, v20
	v_lshl_add_u32 v20, v20, 1, v14
	ds_read_u16 v24, v20
	v_lshl_add_u32 v19, v19, 3, v12
	ds_read_b64 v[19:20], v19 offset:4096
	v_cndmask_b32_e64 v21, v23, v21, s[40:41]
	v_cndmask_b32_e64 v22, v22, v23, s[40:41]
	s_waitcnt lgkmcnt(1)
	v_cndmask_b32_e64 v38, v24, v36, s[40:41]
	v_cndmask_b32_e64 v39, v37, v24, s[40:41]
	v_cmp_lt_u32_e64 s[8:9], v21, v28
	s_mov_b64 s[44:45], -1
	s_mov_b64 s[42:43], -1
	s_and_saveexec_b64 s[46:47], s[8:9]
	s_cbranch_execz .LBB1753_234
; %bb.231:
	v_cmp_lt_u32_e64 s[8:9], v22, v27
	s_mov_b64 s[56:57], 0
	s_and_saveexec_b64 s[42:43], s[8:9]
	s_cbranch_execz .LBB1753_233
; %bb.232:
	v_add_f16_e32 v23, 0, v38
	v_add_f16_e32 v24, 0, v39
	v_mov_b32_e32 v48, 0xffff8000
	v_cmp_lt_i16_e64 s[8:9], -1, v23
	v_cndmask_b32_e64 v49, -1, v48, s[8:9]
	v_cmp_lt_i16_e64 s[8:9], -1, v24
	v_cndmask_b32_e64 v48, -1, v48, s[8:9]
	v_xor_b32_e32 v23, v49, v23
	v_xor_b32_e32 v24, v48, v24
	v_cmp_le_u16_e64 s[8:9], v23, v24
	s_and_b64 s[56:57], s[8:9], exec
.LBB1753_233:
	s_or_b64 exec, exec, s[42:43]
	s_orn2_b64 s[42:43], s[56:57], exec
.LBB1753_234:
	s_or_b64 exec, exec, s[46:47]
	v_cndmask_b32_e64 v23, v21, v22, s[42:43]
	v_cndmask_b32_e64 v24, v28, v27, s[42:43]
	v_add_u32_e32 v51, 1, v23
	v_add_u32_e32 v24, -1, v24
	v_min_u32_e32 v24, v51, v24
	v_lshl_add_u32 v24, v24, 1, v14
	ds_read_u16 v49, v24
	v_lshl_add_u32 v23, v23, 3, v12
	ds_read_b64 v[23:24], v23 offset:4096
	v_cndmask_b32_e64 v50, v51, v21, s[42:43]
	v_cndmask_b32_e64 v51, v22, v51, s[42:43]
	s_waitcnt lgkmcnt(1)
	v_cndmask_b32_e64 v48, v49, v38, s[42:43]
	v_cndmask_b32_e64 v49, v39, v49, s[42:43]
	v_cmp_lt_u32_e64 s[8:9], v50, v28
	s_and_saveexec_b64 s[46:47], s[8:9]
	s_cbranch_execz .LBB1753_238
; %bb.235:
	v_cmp_lt_u32_e64 s[8:9], v51, v27
	s_mov_b64 s[56:57], 0
	s_and_saveexec_b64 s[44:45], s[8:9]
	s_cbranch_execz .LBB1753_237
; %bb.236:
	v_add_f16_e32 v21, 0, v48
	v_add_f16_e32 v22, 0, v49
	v_mov_b32_e32 v52, 0xffff8000
	v_cmp_lt_i16_e64 s[8:9], -1, v21
	v_cndmask_b32_e64 v53, -1, v52, s[8:9]
	v_cmp_lt_i16_e64 s[8:9], -1, v22
	v_cndmask_b32_e64 v52, -1, v52, s[8:9]
	v_xor_b32_e32 v21, v53, v21
	v_xor_b32_e32 v22, v52, v22
	v_cmp_le_u16_e64 s[8:9], v21, v22
	s_and_b64 s[56:57], s[8:9], exec
.LBB1753_237:
	s_or_b64 exec, exec, s[44:45]
	s_orn2_b64 s[44:45], s[56:57], exec
.LBB1753_238:
	s_or_b64 exec, exec, s[46:47]
	v_cndmask_b32_e64 v21, v50, v51, s[44:45]
	v_cndmask_b32_e64 v22, v28, v27, s[44:45]
	v_add_u32_e32 v54, 1, v21
	v_add_u32_e32 v22, -1, v22
	v_min_u32_e32 v22, v54, v22
	v_lshl_add_u32 v14, v22, 1, v14
	ds_read_u16 v52, v14
	v_lshl_add_u32 v14, v21, 3, v12
	ds_read_b64 v[21:22], v14 offset:4096
	v_cndmask_b32_e64 v53, v54, v50, s[44:45]
	v_cndmask_b32_e64 v54, v51, v54, s[44:45]
	s_waitcnt lgkmcnt(1)
	v_cndmask_b32_e64 v14, v52, v48, s[44:45]
	v_cndmask_b32_e64 v52, v49, v52, s[44:45]
	v_cmp_lt_u32_e64 s[8:9], v53, v28
	s_mov_b64 s[56:57], -1
	s_and_saveexec_b64 s[46:47], s[8:9]
	s_cbranch_execz .LBB1753_242
; %bb.239:
	v_cmp_lt_u32_e64 s[8:9], v54, v27
	s_mov_b64 s[58:59], 0
	s_and_saveexec_b64 s[56:57], s[8:9]
	s_cbranch_execz .LBB1753_241
; %bb.240:
	v_add_f16_e32 v27, 0, v14
	v_add_f16_e32 v28, 0, v52
	v_mov_b32_e32 v50, 0xffff8000
	v_cmp_lt_i16_e64 s[8:9], -1, v27
	v_cndmask_b32_e64 v51, -1, v50, s[8:9]
	v_cmp_lt_i16_e64 s[8:9], -1, v28
	v_cndmask_b32_e64 v50, -1, v50, s[8:9]
	v_xor_b32_e32 v27, v51, v27
	v_xor_b32_e32 v28, v50, v28
	v_cmp_le_u16_e64 s[8:9], v27, v28
	s_and_b64 s[58:59], s[8:9], exec
.LBB1753_241:
	s_or_b64 exec, exec, s[56:57]
	s_orn2_b64 s[56:57], s[58:59], exec
.LBB1753_242:
	s_or_b64 exec, exec, s[46:47]
	v_cndmask_b32_e64 v51, v25, v26, s[28:29]
	v_cndmask_b32_e64 v25, v53, v54, s[56:57]
	v_lshl_add_u32 v12, v25, 3, v12
	ds_read_b64 v[25:26], v12 offset:4096
	v_cndmask_b32_e64 v50, v48, v49, s[44:45]
	v_cndmask_b32_e64 v38, v38, v39, s[42:43]
	;; [unrolled: 1-line block ×7, first 2 shown]
.LBB1753_243:
	s_or_b64 exec, exec, s[22:23]
	v_add_co_u32_e64 v2, s[8:9], v2, v10
	v_addc_co_u32_e64 v3, s[8:9], v3, v11, s[8:9]
	v_add_co_u32_e64 v2, s[8:9], v2, v32
	v_addc_co_u32_e64 v3, s[8:9], 0, v3, s[8:9]
	; wave barrier
	s_waitcnt lgkmcnt(0)
	s_barrier
	; wave barrier
	s_and_saveexec_b64 s[8:9], vcc
	s_cbranch_execnz .LBB1753_268
; %bb.244:
	s_or_b64 exec, exec, s[8:9]
	s_and_saveexec_b64 s[8:9], s[4:5]
	s_cbranch_execnz .LBB1753_269
.LBB1753_245:
	s_or_b64 exec, exec, s[8:9]
	s_and_saveexec_b64 s[8:9], s[6:7]
	s_cbranch_execnz .LBB1753_270
.LBB1753_246:
	s_or_b64 exec, exec, s[8:9]
	s_and_saveexec_b64 s[8:9], s[18:19]
	s_cbranch_execnz .LBB1753_271
.LBB1753_247:
	s_or_b64 exec, exec, s[8:9]
	s_and_saveexec_b64 s[8:9], s[10:11]
	s_cbranch_execnz .LBB1753_272
.LBB1753_248:
	s_or_b64 exec, exec, s[8:9]
	s_and_saveexec_b64 s[8:9], s[20:21]
	s_cbranch_execnz .LBB1753_273
.LBB1753_249:
	s_or_b64 exec, exec, s[8:9]
	s_and_saveexec_b64 s[8:9], s[14:15]
	s_cbranch_execnz .LBB1753_274
.LBB1753_250:
	s_or_b64 exec, exec, s[8:9]
	s_and_saveexec_b64 s[8:9], s[16:17]
	s_cbranch_execz .LBB1753_252
.LBB1753_251:
	flat_store_short v[2:3], v37 offset:14
.LBB1753_252:
	s_or_b64 exec, exec, s[8:9]
	v_add_co_u32_e64 v0, s[8:9], v6, v0
	v_addc_co_u32_e64 v1, s[8:9], v7, v1, s[8:9]
	v_add_co_u32_e64 v0, s[8:9], v0, v33
	v_addc_co_u32_e64 v1, s[8:9], 0, v1, s[8:9]
	; wave barrier
	s_and_saveexec_b64 s[8:9], vcc
	s_cbranch_execnz .LBB1753_275
; %bb.253:
	s_or_b64 exec, exec, s[8:9]
	s_and_saveexec_b64 s[8:9], s[4:5]
	s_cbranch_execnz .LBB1753_276
.LBB1753_254:
	s_or_b64 exec, exec, s[8:9]
	s_and_saveexec_b64 s[4:5], s[6:7]
	s_cbranch_execnz .LBB1753_277
.LBB1753_255:
	s_or_b64 exec, exec, s[4:5]
	s_and_saveexec_b64 s[4:5], s[18:19]
	s_cbranch_execnz .LBB1753_278
.LBB1753_256:
	s_or_b64 exec, exec, s[4:5]
	s_and_saveexec_b64 s[4:5], s[10:11]
	s_cbranch_execnz .LBB1753_279
.LBB1753_257:
	s_or_b64 exec, exec, s[4:5]
	s_and_saveexec_b64 s[4:5], s[20:21]
	s_cbranch_execnz .LBB1753_280
.LBB1753_258:
	s_or_b64 exec, exec, s[4:5]
	s_and_saveexec_b64 s[4:5], s[14:15]
	s_cbranch_execnz .LBB1753_281
.LBB1753_259:
	s_or_b64 exec, exec, s[4:5]
	s_and_saveexec_b64 s[4:5], s[16:17]
	s_cbranch_execnz .LBB1753_282
.LBB1753_260:
	s_or_b64 exec, exec, s[4:5]
	s_waitcnt vmcnt(0) lgkmcnt(0)
	s_setpc_b64 s[30:31]
.LBB1753_261:
	flat_load_dwordx2 v[4:5], v[12:13]
	s_or_b64 exec, exec, s[22:23]
                                        ; implicit-def: $vgpr8_vgpr9
	s_and_saveexec_b64 s[22:23], s[4:5]
	s_cbranch_execz .LBB1753_18
.LBB1753_262:
	flat_load_dwordx2 v[8:9], v[12:13] offset:8
	s_or_b64 exec, exec, s[22:23]
                                        ; implicit-def: $vgpr15_vgpr16
	s_and_saveexec_b64 s[22:23], s[6:7]
	s_cbranch_execz .LBB1753_19
.LBB1753_263:
	flat_load_dwordx2 v[15:16], v[12:13] offset:16
	s_or_b64 exec, exec, s[22:23]
                                        ; implicit-def: $vgpr17_vgpr18
	s_and_saveexec_b64 s[22:23], s[18:19]
	s_cbranch_execz .LBB1753_20
.LBB1753_264:
	flat_load_dwordx2 v[17:18], v[12:13] offset:24
	s_or_b64 exec, exec, s[22:23]
                                        ; implicit-def: $vgpr19_vgpr20
	s_and_saveexec_b64 s[22:23], s[10:11]
	s_cbranch_execz .LBB1753_21
.LBB1753_265:
	flat_load_dwordx2 v[19:20], v[12:13] offset:32
	s_or_b64 exec, exec, s[22:23]
                                        ; implicit-def: $vgpr23_vgpr24
	s_and_saveexec_b64 s[22:23], s[20:21]
	s_cbranch_execz .LBB1753_22
.LBB1753_266:
	flat_load_dwordx2 v[23:24], v[12:13] offset:40
	s_or_b64 exec, exec, s[22:23]
                                        ; implicit-def: $vgpr21_vgpr22
	s_and_saveexec_b64 s[22:23], s[14:15]
	s_cbranch_execz .LBB1753_23
.LBB1753_267:
	flat_load_dwordx2 v[21:22], v[12:13] offset:48
	s_or_b64 exec, exec, s[22:23]
                                        ; implicit-def: $vgpr25_vgpr26
	s_and_saveexec_b64 s[22:23], s[16:17]
	s_cbranch_execnz .LBB1753_24
	s_branch .LBB1753_25
.LBB1753_268:
	flat_store_short v[2:3], v36
	s_or_b64 exec, exec, s[8:9]
	s_and_saveexec_b64 s[8:9], s[4:5]
	s_cbranch_execz .LBB1753_245
.LBB1753_269:
	flat_store_short v[2:3], v48 offset:2
	s_or_b64 exec, exec, s[8:9]
	s_and_saveexec_b64 s[8:9], s[6:7]
	s_cbranch_execz .LBB1753_246
.LBB1753_270:
	flat_store_short v[2:3], v49 offset:4
	s_or_b64 exec, exec, s[8:9]
	s_and_saveexec_b64 s[8:9], s[18:19]
	s_cbranch_execz .LBB1753_247
.LBB1753_271:
	flat_store_short v[2:3], v51 offset:6
	s_or_b64 exec, exec, s[8:9]
	s_and_saveexec_b64 s[8:9], s[10:11]
	s_cbranch_execz .LBB1753_248
.LBB1753_272:
	flat_store_short v[2:3], v39 offset:8
	s_or_b64 exec, exec, s[8:9]
	s_and_saveexec_b64 s[8:9], s[20:21]
	s_cbranch_execz .LBB1753_249
.LBB1753_273:
	flat_store_short v[2:3], v38 offset:10
	s_or_b64 exec, exec, s[8:9]
	s_and_saveexec_b64 s[8:9], s[14:15]
	s_cbranch_execz .LBB1753_250
.LBB1753_274:
	flat_store_short v[2:3], v50 offset:12
	s_or_b64 exec, exec, s[8:9]
	s_and_saveexec_b64 s[8:9], s[16:17]
	s_cbranch_execnz .LBB1753_251
	s_branch .LBB1753_252
.LBB1753_275:
	flat_store_dwordx2 v[0:1], v[4:5]
	s_or_b64 exec, exec, s[8:9]
	s_and_saveexec_b64 s[8:9], s[4:5]
	s_cbranch_execz .LBB1753_254
.LBB1753_276:
	flat_store_dwordx2 v[0:1], v[8:9] offset:8
	s_or_b64 exec, exec, s[8:9]
	s_and_saveexec_b64 s[4:5], s[6:7]
	s_cbranch_execz .LBB1753_255
.LBB1753_277:
	flat_store_dwordx2 v[0:1], v[15:16] offset:16
	s_or_b64 exec, exec, s[4:5]
	s_and_saveexec_b64 s[4:5], s[18:19]
	s_cbranch_execz .LBB1753_256
.LBB1753_278:
	flat_store_dwordx2 v[0:1], v[17:18] offset:24
	s_or_b64 exec, exec, s[4:5]
	s_and_saveexec_b64 s[4:5], s[10:11]
	s_cbranch_execz .LBB1753_257
.LBB1753_279:
	flat_store_dwordx2 v[0:1], v[19:20] offset:32
	s_or_b64 exec, exec, s[4:5]
	s_and_saveexec_b64 s[4:5], s[20:21]
	s_cbranch_execz .LBB1753_258
.LBB1753_280:
	flat_store_dwordx2 v[0:1], v[23:24] offset:40
	s_or_b64 exec, exec, s[4:5]
	s_and_saveexec_b64 s[4:5], s[14:15]
	s_cbranch_execz .LBB1753_259
.LBB1753_281:
	flat_store_dwordx2 v[0:1], v[21:22] offset:48
	s_or_b64 exec, exec, s[4:5]
	s_and_saveexec_b64 s[4:5], s[16:17]
	s_cbranch_execz .LBB1753_260
.LBB1753_282:
	flat_store_dwordx2 v[0:1], v[25:26] offset:56
	s_or_b64 exec, exec, s[4:5]
	s_waitcnt vmcnt(0) lgkmcnt(0)
	s_setpc_b64 s[30:31]
.Lfunc_end1753:
	.size	_ZN7rocprim17ROCPRIM_400000_NS6detail26segmented_warp_sort_helperINS1_20WarpSortHelperConfigILj16ELj8ELj256EEE6__halflLi256ELb1EvE4sortIPKS5_PS5_PKlPlEEvT_T0_T1_T2_jjjjRNS6_12storage_typeE, .Lfunc_end1753-_ZN7rocprim17ROCPRIM_400000_NS6detail26segmented_warp_sort_helperINS1_20WarpSortHelperConfigILj16ELj8ELj256EEE6__halflLi256ELb1EvE4sortIPKS5_PS5_PKlPlEEvT_T0_T1_T2_jjjjRNS6_12storage_typeE
                                        ; -- End function
	.set .L_ZN7rocprim17ROCPRIM_400000_NS6detail26segmented_warp_sort_helperINS1_20WarpSortHelperConfigILj16ELj8ELj256EEE6__halflLi256ELb1EvE4sortIPKS5_PS5_PKlPlEEvT_T0_T1_T2_jjjjRNS6_12storage_typeE.num_vgpr, 72
	.set .L_ZN7rocprim17ROCPRIM_400000_NS6detail26segmented_warp_sort_helperINS1_20WarpSortHelperConfigILj16ELj8ELj256EEE6__halflLi256ELb1EvE4sortIPKS5_PS5_PKlPlEEvT_T0_T1_T2_jjjjRNS6_12storage_typeE.num_agpr, 0
	.set .L_ZN7rocprim17ROCPRIM_400000_NS6detail26segmented_warp_sort_helperINS1_20WarpSortHelperConfigILj16ELj8ELj256EEE6__halflLi256ELb1EvE4sortIPKS5_PS5_PKlPlEEvT_T0_T1_T2_jjjjRNS6_12storage_typeE.numbered_sgpr, 60
	.set .L_ZN7rocprim17ROCPRIM_400000_NS6detail26segmented_warp_sort_helperINS1_20WarpSortHelperConfigILj16ELj8ELj256EEE6__halflLi256ELb1EvE4sortIPKS5_PS5_PKlPlEEvT_T0_T1_T2_jjjjRNS6_12storage_typeE.num_named_barrier, 0
	.set .L_ZN7rocprim17ROCPRIM_400000_NS6detail26segmented_warp_sort_helperINS1_20WarpSortHelperConfigILj16ELj8ELj256EEE6__halflLi256ELb1EvE4sortIPKS5_PS5_PKlPlEEvT_T0_T1_T2_jjjjRNS6_12storage_typeE.private_seg_size, 0
	.set .L_ZN7rocprim17ROCPRIM_400000_NS6detail26segmented_warp_sort_helperINS1_20WarpSortHelperConfigILj16ELj8ELj256EEE6__halflLi256ELb1EvE4sortIPKS5_PS5_PKlPlEEvT_T0_T1_T2_jjjjRNS6_12storage_typeE.uses_vcc, 1
	.set .L_ZN7rocprim17ROCPRIM_400000_NS6detail26segmented_warp_sort_helperINS1_20WarpSortHelperConfigILj16ELj8ELj256EEE6__halflLi256ELb1EvE4sortIPKS5_PS5_PKlPlEEvT_T0_T1_T2_jjjjRNS6_12storage_typeE.uses_flat_scratch, 0
	.set .L_ZN7rocprim17ROCPRIM_400000_NS6detail26segmented_warp_sort_helperINS1_20WarpSortHelperConfigILj16ELj8ELj256EEE6__halflLi256ELb1EvE4sortIPKS5_PS5_PKlPlEEvT_T0_T1_T2_jjjjRNS6_12storage_typeE.has_dyn_sized_stack, 0
	.set .L_ZN7rocprim17ROCPRIM_400000_NS6detail26segmented_warp_sort_helperINS1_20WarpSortHelperConfigILj16ELj8ELj256EEE6__halflLi256ELb1EvE4sortIPKS5_PS5_PKlPlEEvT_T0_T1_T2_jjjjRNS6_12storage_typeE.has_recursion, 0
	.set .L_ZN7rocprim17ROCPRIM_400000_NS6detail26segmented_warp_sort_helperINS1_20WarpSortHelperConfigILj16ELj8ELj256EEE6__halflLi256ELb1EvE4sortIPKS5_PS5_PKlPlEEvT_T0_T1_T2_jjjjRNS6_12storage_typeE.has_indirect_call, 0
	.section	.AMDGPU.csdata,"",@progbits
; Function info:
; codeLenInByte = 13212
; TotalNumSgprs: 64
; NumVgprs: 72
; ScratchSize: 0
; MemoryBound: 0
	.section	.text._ZN7rocprim17ROCPRIM_400000_NS6detail17trampoline_kernelINS0_14default_configENS1_36segmented_radix_sort_config_selectorI6__halflEEZNS1_25segmented_radix_sort_implIS3_Lb1EPKS5_PS5_PKlPlN2at6native12_GLOBAL__N_18offset_tEEE10hipError_tPvRmT1_PNSt15iterator_traitsISL_E10value_typeET2_T3_PNSM_ISR_E10value_typeET4_jRbjT5_SX_jjP12ihipStream_tbEUlT_E0_NS1_11comp_targetILNS1_3genE2ELNS1_11target_archE906ELNS1_3gpuE6ELNS1_3repE0EEENS1_60segmented_radix_sort_warp_sort_medium_config_static_selectorELNS0_4arch9wavefront6targetE1EEEvSL_,"axG",@progbits,_ZN7rocprim17ROCPRIM_400000_NS6detail17trampoline_kernelINS0_14default_configENS1_36segmented_radix_sort_config_selectorI6__halflEEZNS1_25segmented_radix_sort_implIS3_Lb1EPKS5_PS5_PKlPlN2at6native12_GLOBAL__N_18offset_tEEE10hipError_tPvRmT1_PNSt15iterator_traitsISL_E10value_typeET2_T3_PNSM_ISR_E10value_typeET4_jRbjT5_SX_jjP12ihipStream_tbEUlT_E0_NS1_11comp_targetILNS1_3genE2ELNS1_11target_archE906ELNS1_3gpuE6ELNS1_3repE0EEENS1_60segmented_radix_sort_warp_sort_medium_config_static_selectorELNS0_4arch9wavefront6targetE1EEEvSL_,comdat
	.globl	_ZN7rocprim17ROCPRIM_400000_NS6detail17trampoline_kernelINS0_14default_configENS1_36segmented_radix_sort_config_selectorI6__halflEEZNS1_25segmented_radix_sort_implIS3_Lb1EPKS5_PS5_PKlPlN2at6native12_GLOBAL__N_18offset_tEEE10hipError_tPvRmT1_PNSt15iterator_traitsISL_E10value_typeET2_T3_PNSM_ISR_E10value_typeET4_jRbjT5_SX_jjP12ihipStream_tbEUlT_E0_NS1_11comp_targetILNS1_3genE2ELNS1_11target_archE906ELNS1_3gpuE6ELNS1_3repE0EEENS1_60segmented_radix_sort_warp_sort_medium_config_static_selectorELNS0_4arch9wavefront6targetE1EEEvSL_ ; -- Begin function _ZN7rocprim17ROCPRIM_400000_NS6detail17trampoline_kernelINS0_14default_configENS1_36segmented_radix_sort_config_selectorI6__halflEEZNS1_25segmented_radix_sort_implIS3_Lb1EPKS5_PS5_PKlPlN2at6native12_GLOBAL__N_18offset_tEEE10hipError_tPvRmT1_PNSt15iterator_traitsISL_E10value_typeET2_T3_PNSM_ISR_E10value_typeET4_jRbjT5_SX_jjP12ihipStream_tbEUlT_E0_NS1_11comp_targetILNS1_3genE2ELNS1_11target_archE906ELNS1_3gpuE6ELNS1_3repE0EEENS1_60segmented_radix_sort_warp_sort_medium_config_static_selectorELNS0_4arch9wavefront6targetE1EEEvSL_
	.p2align	8
	.type	_ZN7rocprim17ROCPRIM_400000_NS6detail17trampoline_kernelINS0_14default_configENS1_36segmented_radix_sort_config_selectorI6__halflEEZNS1_25segmented_radix_sort_implIS3_Lb1EPKS5_PS5_PKlPlN2at6native12_GLOBAL__N_18offset_tEEE10hipError_tPvRmT1_PNSt15iterator_traitsISL_E10value_typeET2_T3_PNSM_ISR_E10value_typeET4_jRbjT5_SX_jjP12ihipStream_tbEUlT_E0_NS1_11comp_targetILNS1_3genE2ELNS1_11target_archE906ELNS1_3gpuE6ELNS1_3repE0EEENS1_60segmented_radix_sort_warp_sort_medium_config_static_selectorELNS0_4arch9wavefront6targetE1EEEvSL_,@function
_ZN7rocprim17ROCPRIM_400000_NS6detail17trampoline_kernelINS0_14default_configENS1_36segmented_radix_sort_config_selectorI6__halflEEZNS1_25segmented_radix_sort_implIS3_Lb1EPKS5_PS5_PKlPlN2at6native12_GLOBAL__N_18offset_tEEE10hipError_tPvRmT1_PNSt15iterator_traitsISL_E10value_typeET2_T3_PNSM_ISR_E10value_typeET4_jRbjT5_SX_jjP12ihipStream_tbEUlT_E0_NS1_11comp_targetILNS1_3genE2ELNS1_11target_archE906ELNS1_3gpuE6ELNS1_3repE0EEENS1_60segmented_radix_sort_warp_sort_medium_config_static_selectorELNS0_4arch9wavefront6targetE1EEEvSL_: ; @_ZN7rocprim17ROCPRIM_400000_NS6detail17trampoline_kernelINS0_14default_configENS1_36segmented_radix_sort_config_selectorI6__halflEEZNS1_25segmented_radix_sort_implIS3_Lb1EPKS5_PS5_PKlPlN2at6native12_GLOBAL__N_18offset_tEEE10hipError_tPvRmT1_PNSt15iterator_traitsISL_E10value_typeET2_T3_PNSM_ISR_E10value_typeET4_jRbjT5_SX_jjP12ihipStream_tbEUlT_E0_NS1_11comp_targetILNS1_3genE2ELNS1_11target_archE906ELNS1_3gpuE6ELNS1_3repE0EEENS1_60segmented_radix_sort_warp_sort_medium_config_static_selectorELNS0_4arch9wavefront6targetE1EEEvSL_
; %bb.0:
	s_add_u32 s0, s0, s8
	s_load_dword s8, s[4:5], 0x64
	s_addc_u32 s1, s1, 0
	s_mov_b32 s32, 0
	s_waitcnt lgkmcnt(0)
	s_lshr_b32 s9, s8, 16
	s_and_b32 s8, s8, 0xffff
	v_mad_u32_u24 v3, v2, s9, v1
	v_mad_u64_u32 v[3:4], s[8:9], v3, s8, v[0:1]
	s_load_dword s8, s[4:5], 0x34
	v_lshrrev_b32_e32 v3, 4, v3
	v_lshl_add_u32 v3, s6, 4, v3
	s_waitcnt lgkmcnt(0)
	v_cmp_gt_u32_e32 vcc, s8, v3
	s_and_saveexec_b64 s[8:9], vcc
	s_cbranch_execz .LBB1754_6
; %bb.1:
	s_load_dwordx2 s[12:13], s[4:5], 0x38
	s_load_dwordx4 s[8:11], s[4:5], 0x40
	v_mov_b32_e32 v4, 0
	v_lshlrev_b64 v[3:4], 2, v[3:4]
	s_waitcnt lgkmcnt(0)
	v_mov_b32_e32 v5, s13
	v_add_co_u32_e32 v3, vcc, s12, v3
	v_addc_co_u32_e32 v4, vcc, v5, v4, vcc
	global_load_dword v3, v[3:4], off
	s_waitcnt vmcnt(0)
	v_add_u32_e32 v4, s9, v3
	v_add_u32_e32 v3, s11, v3
	v_mul_lo_u32 v40, v4, s8
	v_mul_lo_u32 v41, v3, s10
	v_cmp_gt_u32_e32 vcc, v41, v40
	s_and_b64 exec, exec, vcc
	s_cbranch_execz .LBB1754_6
; %bb.2:
	s_load_dword s10, s[4:5], 0x30
	s_load_dwordx4 s[36:39], s[4:5], 0x20
	s_load_dwordx8 s[48:55], s[4:5], 0x0
	s_mov_b64 s[8:9], -1
	v_lshlrev_b32_e32 v43, 20, v2
	s_waitcnt lgkmcnt(0)
	s_bitcmp0_b32 s10, 0
	v_lshlrev_b32_e32 v44, 10, v1
	s_cbranch_scc0 .LBB1754_4
; %bb.3:
	s_add_u32 s8, s4, 0x58
	s_addc_u32 s9, s5, 0
	s_getpc_b64 s[10:11]
	s_add_u32 s10, s10, _ZN7rocprim17ROCPRIM_400000_NS6detail26segmented_warp_sort_helperINS1_20WarpSortHelperConfigILj16ELj8ELj256EEE6__halflLi256ELb1EvE4sortIPKS5_PS5_PKlPlEEvT_T0_T1_T2_jjjjRNS6_12storage_typeE@rel32@lo+4
	s_addc_u32 s11, s11, _ZN7rocprim17ROCPRIM_400000_NS6detail26segmented_warp_sort_helperINS1_20WarpSortHelperConfigILj16ELj8ELj256EEE6__halflLi256ELb1EvE4sortIPKS5_PS5_PKlPlEEvT_T0_T1_T2_jjjjRNS6_12storage_typeE@rel32@hi+12
	v_or3_b32 v31, v0, v44, v43
	s_mov_b32 s12, s6
	s_mov_b32 s13, s7
	v_mov_b32_e32 v42, v0
	v_mov_b32_e32 v0, s48
	;; [unrolled: 1-line block ×11, first 2 shown]
	s_mov_b64 s[34:35], s[4:5]
	s_mov_b32 s36, s7
	s_mov_b32 s33, s6
	s_swappc_b64 s[30:31], s[10:11]
	v_mov_b32_e32 v0, v42
	s_mov_b32 s6, s33
	s_mov_b32 s7, s36
	s_mov_b64 s[4:5], s[34:35]
	s_mov_b64 s[8:9], 0
.LBB1754_4:
	s_andn2_b64 vcc, exec, s[8:9]
	s_cbranch_vccnz .LBB1754_6
; %bb.5:
	s_add_u32 s8, s4, 0x58
	s_addc_u32 s9, s5, 0
	s_getpc_b64 s[4:5]
	s_add_u32 s4, s4, _ZN7rocprim17ROCPRIM_400000_NS6detail26segmented_warp_sort_helperINS1_20WarpSortHelperConfigILj16ELj8ELj256EEE6__halflLi256ELb1EvE4sortIPKS5_PS5_PKlPlEEvT_T0_T1_T2_jjjjRNS6_12storage_typeE@rel32@lo+4
	s_addc_u32 s5, s5, _ZN7rocprim17ROCPRIM_400000_NS6detail26segmented_warp_sort_helperINS1_20WarpSortHelperConfigILj16ELj8ELj256EEE6__halflLi256ELb1EvE4sortIPKS5_PS5_PKlPlEEvT_T0_T1_T2_jjjjRNS6_12storage_typeE@rel32@hi+12
	v_or3_b32 v31, v0, v44, v43
	s_mov_b32 s12, s6
	s_mov_b32 s13, s7
	v_mov_b32_e32 v0, s48
	v_mov_b32_e32 v1, s49
	;; [unrolled: 1-line block ×10, first 2 shown]
	s_swappc_b64 s[30:31], s[4:5]
.LBB1754_6:
	s_endpgm
	.section	.rodata,"a",@progbits
	.p2align	6, 0x0
	.amdhsa_kernel _ZN7rocprim17ROCPRIM_400000_NS6detail17trampoline_kernelINS0_14default_configENS1_36segmented_radix_sort_config_selectorI6__halflEEZNS1_25segmented_radix_sort_implIS3_Lb1EPKS5_PS5_PKlPlN2at6native12_GLOBAL__N_18offset_tEEE10hipError_tPvRmT1_PNSt15iterator_traitsISL_E10value_typeET2_T3_PNSM_ISR_E10value_typeET4_jRbjT5_SX_jjP12ihipStream_tbEUlT_E0_NS1_11comp_targetILNS1_3genE2ELNS1_11target_archE906ELNS1_3gpuE6ELNS1_3repE0EEENS1_60segmented_radix_sort_warp_sort_medium_config_static_selectorELNS0_4arch9wavefront6targetE1EEEvSL_
		.amdhsa_group_segment_fixed_size 20480
		.amdhsa_private_segment_fixed_size 0
		.amdhsa_kernarg_size 344
		.amdhsa_user_sgpr_count 6
		.amdhsa_user_sgpr_private_segment_buffer 1
		.amdhsa_user_sgpr_dispatch_ptr 0
		.amdhsa_user_sgpr_queue_ptr 0
		.amdhsa_user_sgpr_kernarg_segment_ptr 1
		.amdhsa_user_sgpr_dispatch_id 0
		.amdhsa_user_sgpr_flat_scratch_init 0
		.amdhsa_user_sgpr_private_segment_size 0
		.amdhsa_uses_dynamic_stack 0
		.amdhsa_system_sgpr_private_segment_wavefront_offset 0
		.amdhsa_system_sgpr_workgroup_id_x 1
		.amdhsa_system_sgpr_workgroup_id_y 1
		.amdhsa_system_sgpr_workgroup_id_z 0
		.amdhsa_system_sgpr_workgroup_info 0
		.amdhsa_system_vgpr_workitem_id 2
		.amdhsa_next_free_vgpr 72
		.amdhsa_next_free_sgpr 98
		.amdhsa_reserve_vcc 1
		.amdhsa_reserve_flat_scratch 0
		.amdhsa_float_round_mode_32 0
		.amdhsa_float_round_mode_16_64 0
		.amdhsa_float_denorm_mode_32 3
		.amdhsa_float_denorm_mode_16_64 3
		.amdhsa_dx10_clamp 1
		.amdhsa_ieee_mode 1
		.amdhsa_fp16_overflow 0
		.amdhsa_exception_fp_ieee_invalid_op 0
		.amdhsa_exception_fp_denorm_src 0
		.amdhsa_exception_fp_ieee_div_zero 0
		.amdhsa_exception_fp_ieee_overflow 0
		.amdhsa_exception_fp_ieee_underflow 0
		.amdhsa_exception_fp_ieee_inexact 0
		.amdhsa_exception_int_div_zero 0
	.end_amdhsa_kernel
	.section	.text._ZN7rocprim17ROCPRIM_400000_NS6detail17trampoline_kernelINS0_14default_configENS1_36segmented_radix_sort_config_selectorI6__halflEEZNS1_25segmented_radix_sort_implIS3_Lb1EPKS5_PS5_PKlPlN2at6native12_GLOBAL__N_18offset_tEEE10hipError_tPvRmT1_PNSt15iterator_traitsISL_E10value_typeET2_T3_PNSM_ISR_E10value_typeET4_jRbjT5_SX_jjP12ihipStream_tbEUlT_E0_NS1_11comp_targetILNS1_3genE2ELNS1_11target_archE906ELNS1_3gpuE6ELNS1_3repE0EEENS1_60segmented_radix_sort_warp_sort_medium_config_static_selectorELNS0_4arch9wavefront6targetE1EEEvSL_,"axG",@progbits,_ZN7rocprim17ROCPRIM_400000_NS6detail17trampoline_kernelINS0_14default_configENS1_36segmented_radix_sort_config_selectorI6__halflEEZNS1_25segmented_radix_sort_implIS3_Lb1EPKS5_PS5_PKlPlN2at6native12_GLOBAL__N_18offset_tEEE10hipError_tPvRmT1_PNSt15iterator_traitsISL_E10value_typeET2_T3_PNSM_ISR_E10value_typeET4_jRbjT5_SX_jjP12ihipStream_tbEUlT_E0_NS1_11comp_targetILNS1_3genE2ELNS1_11target_archE906ELNS1_3gpuE6ELNS1_3repE0EEENS1_60segmented_radix_sort_warp_sort_medium_config_static_selectorELNS0_4arch9wavefront6targetE1EEEvSL_,comdat
.Lfunc_end1754:
	.size	_ZN7rocprim17ROCPRIM_400000_NS6detail17trampoline_kernelINS0_14default_configENS1_36segmented_radix_sort_config_selectorI6__halflEEZNS1_25segmented_radix_sort_implIS3_Lb1EPKS5_PS5_PKlPlN2at6native12_GLOBAL__N_18offset_tEEE10hipError_tPvRmT1_PNSt15iterator_traitsISL_E10value_typeET2_T3_PNSM_ISR_E10value_typeET4_jRbjT5_SX_jjP12ihipStream_tbEUlT_E0_NS1_11comp_targetILNS1_3genE2ELNS1_11target_archE906ELNS1_3gpuE6ELNS1_3repE0EEENS1_60segmented_radix_sort_warp_sort_medium_config_static_selectorELNS0_4arch9wavefront6targetE1EEEvSL_, .Lfunc_end1754-_ZN7rocprim17ROCPRIM_400000_NS6detail17trampoline_kernelINS0_14default_configENS1_36segmented_radix_sort_config_selectorI6__halflEEZNS1_25segmented_radix_sort_implIS3_Lb1EPKS5_PS5_PKlPlN2at6native12_GLOBAL__N_18offset_tEEE10hipError_tPvRmT1_PNSt15iterator_traitsISL_E10value_typeET2_T3_PNSM_ISR_E10value_typeET4_jRbjT5_SX_jjP12ihipStream_tbEUlT_E0_NS1_11comp_targetILNS1_3genE2ELNS1_11target_archE906ELNS1_3gpuE6ELNS1_3repE0EEENS1_60segmented_radix_sort_warp_sort_medium_config_static_selectorELNS0_4arch9wavefront6targetE1EEEvSL_
                                        ; -- End function
	.set _ZN7rocprim17ROCPRIM_400000_NS6detail17trampoline_kernelINS0_14default_configENS1_36segmented_radix_sort_config_selectorI6__halflEEZNS1_25segmented_radix_sort_implIS3_Lb1EPKS5_PS5_PKlPlN2at6native12_GLOBAL__N_18offset_tEEE10hipError_tPvRmT1_PNSt15iterator_traitsISL_E10value_typeET2_T3_PNSM_ISR_E10value_typeET4_jRbjT5_SX_jjP12ihipStream_tbEUlT_E0_NS1_11comp_targetILNS1_3genE2ELNS1_11target_archE906ELNS1_3gpuE6ELNS1_3repE0EEENS1_60segmented_radix_sort_warp_sort_medium_config_static_selectorELNS0_4arch9wavefront6targetE1EEEvSL_.num_vgpr, max(45, .L_ZN7rocprim17ROCPRIM_400000_NS6detail26segmented_warp_sort_helperINS1_20WarpSortHelperConfigILj16ELj8ELj256EEE6__halflLi256ELb1EvE4sortIPKS5_PS5_PKlPlEEvT_T0_T1_T2_jjjjRNS6_12storage_typeE.num_vgpr)
	.set _ZN7rocprim17ROCPRIM_400000_NS6detail17trampoline_kernelINS0_14default_configENS1_36segmented_radix_sort_config_selectorI6__halflEEZNS1_25segmented_radix_sort_implIS3_Lb1EPKS5_PS5_PKlPlN2at6native12_GLOBAL__N_18offset_tEEE10hipError_tPvRmT1_PNSt15iterator_traitsISL_E10value_typeET2_T3_PNSM_ISR_E10value_typeET4_jRbjT5_SX_jjP12ihipStream_tbEUlT_E0_NS1_11comp_targetILNS1_3genE2ELNS1_11target_archE906ELNS1_3gpuE6ELNS1_3repE0EEENS1_60segmented_radix_sort_warp_sort_medium_config_static_selectorELNS0_4arch9wavefront6targetE1EEEvSL_.num_agpr, max(0, .L_ZN7rocprim17ROCPRIM_400000_NS6detail26segmented_warp_sort_helperINS1_20WarpSortHelperConfigILj16ELj8ELj256EEE6__halflLi256ELb1EvE4sortIPKS5_PS5_PKlPlEEvT_T0_T1_T2_jjjjRNS6_12storage_typeE.num_agpr)
	.set _ZN7rocprim17ROCPRIM_400000_NS6detail17trampoline_kernelINS0_14default_configENS1_36segmented_radix_sort_config_selectorI6__halflEEZNS1_25segmented_radix_sort_implIS3_Lb1EPKS5_PS5_PKlPlN2at6native12_GLOBAL__N_18offset_tEEE10hipError_tPvRmT1_PNSt15iterator_traitsISL_E10value_typeET2_T3_PNSM_ISR_E10value_typeET4_jRbjT5_SX_jjP12ihipStream_tbEUlT_E0_NS1_11comp_targetILNS1_3genE2ELNS1_11target_archE906ELNS1_3gpuE6ELNS1_3repE0EEENS1_60segmented_radix_sort_warp_sort_medium_config_static_selectorELNS0_4arch9wavefront6targetE1EEEvSL_.numbered_sgpr, max(56, .L_ZN7rocprim17ROCPRIM_400000_NS6detail26segmented_warp_sort_helperINS1_20WarpSortHelperConfigILj16ELj8ELj256EEE6__halflLi256ELb1EvE4sortIPKS5_PS5_PKlPlEEvT_T0_T1_T2_jjjjRNS6_12storage_typeE.numbered_sgpr)
	.set _ZN7rocprim17ROCPRIM_400000_NS6detail17trampoline_kernelINS0_14default_configENS1_36segmented_radix_sort_config_selectorI6__halflEEZNS1_25segmented_radix_sort_implIS3_Lb1EPKS5_PS5_PKlPlN2at6native12_GLOBAL__N_18offset_tEEE10hipError_tPvRmT1_PNSt15iterator_traitsISL_E10value_typeET2_T3_PNSM_ISR_E10value_typeET4_jRbjT5_SX_jjP12ihipStream_tbEUlT_E0_NS1_11comp_targetILNS1_3genE2ELNS1_11target_archE906ELNS1_3gpuE6ELNS1_3repE0EEENS1_60segmented_radix_sort_warp_sort_medium_config_static_selectorELNS0_4arch9wavefront6targetE1EEEvSL_.num_named_barrier, max(0, .L_ZN7rocprim17ROCPRIM_400000_NS6detail26segmented_warp_sort_helperINS1_20WarpSortHelperConfigILj16ELj8ELj256EEE6__halflLi256ELb1EvE4sortIPKS5_PS5_PKlPlEEvT_T0_T1_T2_jjjjRNS6_12storage_typeE.num_named_barrier)
	.set _ZN7rocprim17ROCPRIM_400000_NS6detail17trampoline_kernelINS0_14default_configENS1_36segmented_radix_sort_config_selectorI6__halflEEZNS1_25segmented_radix_sort_implIS3_Lb1EPKS5_PS5_PKlPlN2at6native12_GLOBAL__N_18offset_tEEE10hipError_tPvRmT1_PNSt15iterator_traitsISL_E10value_typeET2_T3_PNSM_ISR_E10value_typeET4_jRbjT5_SX_jjP12ihipStream_tbEUlT_E0_NS1_11comp_targetILNS1_3genE2ELNS1_11target_archE906ELNS1_3gpuE6ELNS1_3repE0EEENS1_60segmented_radix_sort_warp_sort_medium_config_static_selectorELNS0_4arch9wavefront6targetE1EEEvSL_.private_seg_size, 0+max(.L_ZN7rocprim17ROCPRIM_400000_NS6detail26segmented_warp_sort_helperINS1_20WarpSortHelperConfigILj16ELj8ELj256EEE6__halflLi256ELb1EvE4sortIPKS5_PS5_PKlPlEEvT_T0_T1_T2_jjjjRNS6_12storage_typeE.private_seg_size)
	.set _ZN7rocprim17ROCPRIM_400000_NS6detail17trampoline_kernelINS0_14default_configENS1_36segmented_radix_sort_config_selectorI6__halflEEZNS1_25segmented_radix_sort_implIS3_Lb1EPKS5_PS5_PKlPlN2at6native12_GLOBAL__N_18offset_tEEE10hipError_tPvRmT1_PNSt15iterator_traitsISL_E10value_typeET2_T3_PNSM_ISR_E10value_typeET4_jRbjT5_SX_jjP12ihipStream_tbEUlT_E0_NS1_11comp_targetILNS1_3genE2ELNS1_11target_archE906ELNS1_3gpuE6ELNS1_3repE0EEENS1_60segmented_radix_sort_warp_sort_medium_config_static_selectorELNS0_4arch9wavefront6targetE1EEEvSL_.uses_vcc, or(1, .L_ZN7rocprim17ROCPRIM_400000_NS6detail26segmented_warp_sort_helperINS1_20WarpSortHelperConfigILj16ELj8ELj256EEE6__halflLi256ELb1EvE4sortIPKS5_PS5_PKlPlEEvT_T0_T1_T2_jjjjRNS6_12storage_typeE.uses_vcc)
	.set _ZN7rocprim17ROCPRIM_400000_NS6detail17trampoline_kernelINS0_14default_configENS1_36segmented_radix_sort_config_selectorI6__halflEEZNS1_25segmented_radix_sort_implIS3_Lb1EPKS5_PS5_PKlPlN2at6native12_GLOBAL__N_18offset_tEEE10hipError_tPvRmT1_PNSt15iterator_traitsISL_E10value_typeET2_T3_PNSM_ISR_E10value_typeET4_jRbjT5_SX_jjP12ihipStream_tbEUlT_E0_NS1_11comp_targetILNS1_3genE2ELNS1_11target_archE906ELNS1_3gpuE6ELNS1_3repE0EEENS1_60segmented_radix_sort_warp_sort_medium_config_static_selectorELNS0_4arch9wavefront6targetE1EEEvSL_.uses_flat_scratch, or(0, .L_ZN7rocprim17ROCPRIM_400000_NS6detail26segmented_warp_sort_helperINS1_20WarpSortHelperConfigILj16ELj8ELj256EEE6__halflLi256ELb1EvE4sortIPKS5_PS5_PKlPlEEvT_T0_T1_T2_jjjjRNS6_12storage_typeE.uses_flat_scratch)
	.set _ZN7rocprim17ROCPRIM_400000_NS6detail17trampoline_kernelINS0_14default_configENS1_36segmented_radix_sort_config_selectorI6__halflEEZNS1_25segmented_radix_sort_implIS3_Lb1EPKS5_PS5_PKlPlN2at6native12_GLOBAL__N_18offset_tEEE10hipError_tPvRmT1_PNSt15iterator_traitsISL_E10value_typeET2_T3_PNSM_ISR_E10value_typeET4_jRbjT5_SX_jjP12ihipStream_tbEUlT_E0_NS1_11comp_targetILNS1_3genE2ELNS1_11target_archE906ELNS1_3gpuE6ELNS1_3repE0EEENS1_60segmented_radix_sort_warp_sort_medium_config_static_selectorELNS0_4arch9wavefront6targetE1EEEvSL_.has_dyn_sized_stack, or(0, .L_ZN7rocprim17ROCPRIM_400000_NS6detail26segmented_warp_sort_helperINS1_20WarpSortHelperConfigILj16ELj8ELj256EEE6__halflLi256ELb1EvE4sortIPKS5_PS5_PKlPlEEvT_T0_T1_T2_jjjjRNS6_12storage_typeE.has_dyn_sized_stack)
	.set _ZN7rocprim17ROCPRIM_400000_NS6detail17trampoline_kernelINS0_14default_configENS1_36segmented_radix_sort_config_selectorI6__halflEEZNS1_25segmented_radix_sort_implIS3_Lb1EPKS5_PS5_PKlPlN2at6native12_GLOBAL__N_18offset_tEEE10hipError_tPvRmT1_PNSt15iterator_traitsISL_E10value_typeET2_T3_PNSM_ISR_E10value_typeET4_jRbjT5_SX_jjP12ihipStream_tbEUlT_E0_NS1_11comp_targetILNS1_3genE2ELNS1_11target_archE906ELNS1_3gpuE6ELNS1_3repE0EEENS1_60segmented_radix_sort_warp_sort_medium_config_static_selectorELNS0_4arch9wavefront6targetE1EEEvSL_.has_recursion, or(0, .L_ZN7rocprim17ROCPRIM_400000_NS6detail26segmented_warp_sort_helperINS1_20WarpSortHelperConfigILj16ELj8ELj256EEE6__halflLi256ELb1EvE4sortIPKS5_PS5_PKlPlEEvT_T0_T1_T2_jjjjRNS6_12storage_typeE.has_recursion)
	.set _ZN7rocprim17ROCPRIM_400000_NS6detail17trampoline_kernelINS0_14default_configENS1_36segmented_radix_sort_config_selectorI6__halflEEZNS1_25segmented_radix_sort_implIS3_Lb1EPKS5_PS5_PKlPlN2at6native12_GLOBAL__N_18offset_tEEE10hipError_tPvRmT1_PNSt15iterator_traitsISL_E10value_typeET2_T3_PNSM_ISR_E10value_typeET4_jRbjT5_SX_jjP12ihipStream_tbEUlT_E0_NS1_11comp_targetILNS1_3genE2ELNS1_11target_archE906ELNS1_3gpuE6ELNS1_3repE0EEENS1_60segmented_radix_sort_warp_sort_medium_config_static_selectorELNS0_4arch9wavefront6targetE1EEEvSL_.has_indirect_call, or(0, .L_ZN7rocprim17ROCPRIM_400000_NS6detail26segmented_warp_sort_helperINS1_20WarpSortHelperConfigILj16ELj8ELj256EEE6__halflLi256ELb1EvE4sortIPKS5_PS5_PKlPlEEvT_T0_T1_T2_jjjjRNS6_12storage_typeE.has_indirect_call)
	.section	.AMDGPU.csdata,"",@progbits
; Kernel info:
; codeLenInByte = 460
; TotalNumSgprs: 64
; NumVgprs: 72
; ScratchSize: 0
; MemoryBound: 0
; FloatMode: 240
; IeeeMode: 1
; LDSByteSize: 20480 bytes/workgroup (compile time only)
; SGPRBlocks: 12
; VGPRBlocks: 17
; NumSGPRsForWavesPerEU: 102
; NumVGPRsForWavesPerEU: 72
; Occupancy: 3
; WaveLimiterHint : 0
; COMPUTE_PGM_RSRC2:SCRATCH_EN: 0
; COMPUTE_PGM_RSRC2:USER_SGPR: 6
; COMPUTE_PGM_RSRC2:TRAP_HANDLER: 0
; COMPUTE_PGM_RSRC2:TGID_X_EN: 1
; COMPUTE_PGM_RSRC2:TGID_Y_EN: 1
; COMPUTE_PGM_RSRC2:TGID_Z_EN: 0
; COMPUTE_PGM_RSRC2:TIDIG_COMP_CNT: 2
	.section	.text._ZN7rocprim17ROCPRIM_400000_NS6detail17trampoline_kernelINS0_14default_configENS1_36segmented_radix_sort_config_selectorI6__halflEEZNS1_25segmented_radix_sort_implIS3_Lb1EPKS5_PS5_PKlPlN2at6native12_GLOBAL__N_18offset_tEEE10hipError_tPvRmT1_PNSt15iterator_traitsISL_E10value_typeET2_T3_PNSM_ISR_E10value_typeET4_jRbjT5_SX_jjP12ihipStream_tbEUlT_E0_NS1_11comp_targetILNS1_3genE10ELNS1_11target_archE1201ELNS1_3gpuE5ELNS1_3repE0EEENS1_60segmented_radix_sort_warp_sort_medium_config_static_selectorELNS0_4arch9wavefront6targetE1EEEvSL_,"axG",@progbits,_ZN7rocprim17ROCPRIM_400000_NS6detail17trampoline_kernelINS0_14default_configENS1_36segmented_radix_sort_config_selectorI6__halflEEZNS1_25segmented_radix_sort_implIS3_Lb1EPKS5_PS5_PKlPlN2at6native12_GLOBAL__N_18offset_tEEE10hipError_tPvRmT1_PNSt15iterator_traitsISL_E10value_typeET2_T3_PNSM_ISR_E10value_typeET4_jRbjT5_SX_jjP12ihipStream_tbEUlT_E0_NS1_11comp_targetILNS1_3genE10ELNS1_11target_archE1201ELNS1_3gpuE5ELNS1_3repE0EEENS1_60segmented_radix_sort_warp_sort_medium_config_static_selectorELNS0_4arch9wavefront6targetE1EEEvSL_,comdat
	.globl	_ZN7rocprim17ROCPRIM_400000_NS6detail17trampoline_kernelINS0_14default_configENS1_36segmented_radix_sort_config_selectorI6__halflEEZNS1_25segmented_radix_sort_implIS3_Lb1EPKS5_PS5_PKlPlN2at6native12_GLOBAL__N_18offset_tEEE10hipError_tPvRmT1_PNSt15iterator_traitsISL_E10value_typeET2_T3_PNSM_ISR_E10value_typeET4_jRbjT5_SX_jjP12ihipStream_tbEUlT_E0_NS1_11comp_targetILNS1_3genE10ELNS1_11target_archE1201ELNS1_3gpuE5ELNS1_3repE0EEENS1_60segmented_radix_sort_warp_sort_medium_config_static_selectorELNS0_4arch9wavefront6targetE1EEEvSL_ ; -- Begin function _ZN7rocprim17ROCPRIM_400000_NS6detail17trampoline_kernelINS0_14default_configENS1_36segmented_radix_sort_config_selectorI6__halflEEZNS1_25segmented_radix_sort_implIS3_Lb1EPKS5_PS5_PKlPlN2at6native12_GLOBAL__N_18offset_tEEE10hipError_tPvRmT1_PNSt15iterator_traitsISL_E10value_typeET2_T3_PNSM_ISR_E10value_typeET4_jRbjT5_SX_jjP12ihipStream_tbEUlT_E0_NS1_11comp_targetILNS1_3genE10ELNS1_11target_archE1201ELNS1_3gpuE5ELNS1_3repE0EEENS1_60segmented_radix_sort_warp_sort_medium_config_static_selectorELNS0_4arch9wavefront6targetE1EEEvSL_
	.p2align	8
	.type	_ZN7rocprim17ROCPRIM_400000_NS6detail17trampoline_kernelINS0_14default_configENS1_36segmented_radix_sort_config_selectorI6__halflEEZNS1_25segmented_radix_sort_implIS3_Lb1EPKS5_PS5_PKlPlN2at6native12_GLOBAL__N_18offset_tEEE10hipError_tPvRmT1_PNSt15iterator_traitsISL_E10value_typeET2_T3_PNSM_ISR_E10value_typeET4_jRbjT5_SX_jjP12ihipStream_tbEUlT_E0_NS1_11comp_targetILNS1_3genE10ELNS1_11target_archE1201ELNS1_3gpuE5ELNS1_3repE0EEENS1_60segmented_radix_sort_warp_sort_medium_config_static_selectorELNS0_4arch9wavefront6targetE1EEEvSL_,@function
_ZN7rocprim17ROCPRIM_400000_NS6detail17trampoline_kernelINS0_14default_configENS1_36segmented_radix_sort_config_selectorI6__halflEEZNS1_25segmented_radix_sort_implIS3_Lb1EPKS5_PS5_PKlPlN2at6native12_GLOBAL__N_18offset_tEEE10hipError_tPvRmT1_PNSt15iterator_traitsISL_E10value_typeET2_T3_PNSM_ISR_E10value_typeET4_jRbjT5_SX_jjP12ihipStream_tbEUlT_E0_NS1_11comp_targetILNS1_3genE10ELNS1_11target_archE1201ELNS1_3gpuE5ELNS1_3repE0EEENS1_60segmented_radix_sort_warp_sort_medium_config_static_selectorELNS0_4arch9wavefront6targetE1EEEvSL_: ; @_ZN7rocprim17ROCPRIM_400000_NS6detail17trampoline_kernelINS0_14default_configENS1_36segmented_radix_sort_config_selectorI6__halflEEZNS1_25segmented_radix_sort_implIS3_Lb1EPKS5_PS5_PKlPlN2at6native12_GLOBAL__N_18offset_tEEE10hipError_tPvRmT1_PNSt15iterator_traitsISL_E10value_typeET2_T3_PNSM_ISR_E10value_typeET4_jRbjT5_SX_jjP12ihipStream_tbEUlT_E0_NS1_11comp_targetILNS1_3genE10ELNS1_11target_archE1201ELNS1_3gpuE5ELNS1_3repE0EEENS1_60segmented_radix_sort_warp_sort_medium_config_static_selectorELNS0_4arch9wavefront6targetE1EEEvSL_
; %bb.0:
	.section	.rodata,"a",@progbits
	.p2align	6, 0x0
	.amdhsa_kernel _ZN7rocprim17ROCPRIM_400000_NS6detail17trampoline_kernelINS0_14default_configENS1_36segmented_radix_sort_config_selectorI6__halflEEZNS1_25segmented_radix_sort_implIS3_Lb1EPKS5_PS5_PKlPlN2at6native12_GLOBAL__N_18offset_tEEE10hipError_tPvRmT1_PNSt15iterator_traitsISL_E10value_typeET2_T3_PNSM_ISR_E10value_typeET4_jRbjT5_SX_jjP12ihipStream_tbEUlT_E0_NS1_11comp_targetILNS1_3genE10ELNS1_11target_archE1201ELNS1_3gpuE5ELNS1_3repE0EEENS1_60segmented_radix_sort_warp_sort_medium_config_static_selectorELNS0_4arch9wavefront6targetE1EEEvSL_
		.amdhsa_group_segment_fixed_size 0
		.amdhsa_private_segment_fixed_size 0
		.amdhsa_kernarg_size 88
		.amdhsa_user_sgpr_count 6
		.amdhsa_user_sgpr_private_segment_buffer 1
		.amdhsa_user_sgpr_dispatch_ptr 0
		.amdhsa_user_sgpr_queue_ptr 0
		.amdhsa_user_sgpr_kernarg_segment_ptr 1
		.amdhsa_user_sgpr_dispatch_id 0
		.amdhsa_user_sgpr_flat_scratch_init 0
		.amdhsa_user_sgpr_private_segment_size 0
		.amdhsa_uses_dynamic_stack 0
		.amdhsa_system_sgpr_private_segment_wavefront_offset 0
		.amdhsa_system_sgpr_workgroup_id_x 1
		.amdhsa_system_sgpr_workgroup_id_y 0
		.amdhsa_system_sgpr_workgroup_id_z 0
		.amdhsa_system_sgpr_workgroup_info 0
		.amdhsa_system_vgpr_workitem_id 0
		.amdhsa_next_free_vgpr 1
		.amdhsa_next_free_sgpr 0
		.amdhsa_reserve_vcc 0
		.amdhsa_reserve_flat_scratch 0
		.amdhsa_float_round_mode_32 0
		.amdhsa_float_round_mode_16_64 0
		.amdhsa_float_denorm_mode_32 3
		.amdhsa_float_denorm_mode_16_64 3
		.amdhsa_dx10_clamp 1
		.amdhsa_ieee_mode 1
		.amdhsa_fp16_overflow 0
		.amdhsa_exception_fp_ieee_invalid_op 0
		.amdhsa_exception_fp_denorm_src 0
		.amdhsa_exception_fp_ieee_div_zero 0
		.amdhsa_exception_fp_ieee_overflow 0
		.amdhsa_exception_fp_ieee_underflow 0
		.amdhsa_exception_fp_ieee_inexact 0
		.amdhsa_exception_int_div_zero 0
	.end_amdhsa_kernel
	.section	.text._ZN7rocprim17ROCPRIM_400000_NS6detail17trampoline_kernelINS0_14default_configENS1_36segmented_radix_sort_config_selectorI6__halflEEZNS1_25segmented_radix_sort_implIS3_Lb1EPKS5_PS5_PKlPlN2at6native12_GLOBAL__N_18offset_tEEE10hipError_tPvRmT1_PNSt15iterator_traitsISL_E10value_typeET2_T3_PNSM_ISR_E10value_typeET4_jRbjT5_SX_jjP12ihipStream_tbEUlT_E0_NS1_11comp_targetILNS1_3genE10ELNS1_11target_archE1201ELNS1_3gpuE5ELNS1_3repE0EEENS1_60segmented_radix_sort_warp_sort_medium_config_static_selectorELNS0_4arch9wavefront6targetE1EEEvSL_,"axG",@progbits,_ZN7rocprim17ROCPRIM_400000_NS6detail17trampoline_kernelINS0_14default_configENS1_36segmented_radix_sort_config_selectorI6__halflEEZNS1_25segmented_radix_sort_implIS3_Lb1EPKS5_PS5_PKlPlN2at6native12_GLOBAL__N_18offset_tEEE10hipError_tPvRmT1_PNSt15iterator_traitsISL_E10value_typeET2_T3_PNSM_ISR_E10value_typeET4_jRbjT5_SX_jjP12ihipStream_tbEUlT_E0_NS1_11comp_targetILNS1_3genE10ELNS1_11target_archE1201ELNS1_3gpuE5ELNS1_3repE0EEENS1_60segmented_radix_sort_warp_sort_medium_config_static_selectorELNS0_4arch9wavefront6targetE1EEEvSL_,comdat
.Lfunc_end1755:
	.size	_ZN7rocprim17ROCPRIM_400000_NS6detail17trampoline_kernelINS0_14default_configENS1_36segmented_radix_sort_config_selectorI6__halflEEZNS1_25segmented_radix_sort_implIS3_Lb1EPKS5_PS5_PKlPlN2at6native12_GLOBAL__N_18offset_tEEE10hipError_tPvRmT1_PNSt15iterator_traitsISL_E10value_typeET2_T3_PNSM_ISR_E10value_typeET4_jRbjT5_SX_jjP12ihipStream_tbEUlT_E0_NS1_11comp_targetILNS1_3genE10ELNS1_11target_archE1201ELNS1_3gpuE5ELNS1_3repE0EEENS1_60segmented_radix_sort_warp_sort_medium_config_static_selectorELNS0_4arch9wavefront6targetE1EEEvSL_, .Lfunc_end1755-_ZN7rocprim17ROCPRIM_400000_NS6detail17trampoline_kernelINS0_14default_configENS1_36segmented_radix_sort_config_selectorI6__halflEEZNS1_25segmented_radix_sort_implIS3_Lb1EPKS5_PS5_PKlPlN2at6native12_GLOBAL__N_18offset_tEEE10hipError_tPvRmT1_PNSt15iterator_traitsISL_E10value_typeET2_T3_PNSM_ISR_E10value_typeET4_jRbjT5_SX_jjP12ihipStream_tbEUlT_E0_NS1_11comp_targetILNS1_3genE10ELNS1_11target_archE1201ELNS1_3gpuE5ELNS1_3repE0EEENS1_60segmented_radix_sort_warp_sort_medium_config_static_selectorELNS0_4arch9wavefront6targetE1EEEvSL_
                                        ; -- End function
	.set _ZN7rocprim17ROCPRIM_400000_NS6detail17trampoline_kernelINS0_14default_configENS1_36segmented_radix_sort_config_selectorI6__halflEEZNS1_25segmented_radix_sort_implIS3_Lb1EPKS5_PS5_PKlPlN2at6native12_GLOBAL__N_18offset_tEEE10hipError_tPvRmT1_PNSt15iterator_traitsISL_E10value_typeET2_T3_PNSM_ISR_E10value_typeET4_jRbjT5_SX_jjP12ihipStream_tbEUlT_E0_NS1_11comp_targetILNS1_3genE10ELNS1_11target_archE1201ELNS1_3gpuE5ELNS1_3repE0EEENS1_60segmented_radix_sort_warp_sort_medium_config_static_selectorELNS0_4arch9wavefront6targetE1EEEvSL_.num_vgpr, 0
	.set _ZN7rocprim17ROCPRIM_400000_NS6detail17trampoline_kernelINS0_14default_configENS1_36segmented_radix_sort_config_selectorI6__halflEEZNS1_25segmented_radix_sort_implIS3_Lb1EPKS5_PS5_PKlPlN2at6native12_GLOBAL__N_18offset_tEEE10hipError_tPvRmT1_PNSt15iterator_traitsISL_E10value_typeET2_T3_PNSM_ISR_E10value_typeET4_jRbjT5_SX_jjP12ihipStream_tbEUlT_E0_NS1_11comp_targetILNS1_3genE10ELNS1_11target_archE1201ELNS1_3gpuE5ELNS1_3repE0EEENS1_60segmented_radix_sort_warp_sort_medium_config_static_selectorELNS0_4arch9wavefront6targetE1EEEvSL_.num_agpr, 0
	.set _ZN7rocprim17ROCPRIM_400000_NS6detail17trampoline_kernelINS0_14default_configENS1_36segmented_radix_sort_config_selectorI6__halflEEZNS1_25segmented_radix_sort_implIS3_Lb1EPKS5_PS5_PKlPlN2at6native12_GLOBAL__N_18offset_tEEE10hipError_tPvRmT1_PNSt15iterator_traitsISL_E10value_typeET2_T3_PNSM_ISR_E10value_typeET4_jRbjT5_SX_jjP12ihipStream_tbEUlT_E0_NS1_11comp_targetILNS1_3genE10ELNS1_11target_archE1201ELNS1_3gpuE5ELNS1_3repE0EEENS1_60segmented_radix_sort_warp_sort_medium_config_static_selectorELNS0_4arch9wavefront6targetE1EEEvSL_.numbered_sgpr, 0
	.set _ZN7rocprim17ROCPRIM_400000_NS6detail17trampoline_kernelINS0_14default_configENS1_36segmented_radix_sort_config_selectorI6__halflEEZNS1_25segmented_radix_sort_implIS3_Lb1EPKS5_PS5_PKlPlN2at6native12_GLOBAL__N_18offset_tEEE10hipError_tPvRmT1_PNSt15iterator_traitsISL_E10value_typeET2_T3_PNSM_ISR_E10value_typeET4_jRbjT5_SX_jjP12ihipStream_tbEUlT_E0_NS1_11comp_targetILNS1_3genE10ELNS1_11target_archE1201ELNS1_3gpuE5ELNS1_3repE0EEENS1_60segmented_radix_sort_warp_sort_medium_config_static_selectorELNS0_4arch9wavefront6targetE1EEEvSL_.num_named_barrier, 0
	.set _ZN7rocprim17ROCPRIM_400000_NS6detail17trampoline_kernelINS0_14default_configENS1_36segmented_radix_sort_config_selectorI6__halflEEZNS1_25segmented_radix_sort_implIS3_Lb1EPKS5_PS5_PKlPlN2at6native12_GLOBAL__N_18offset_tEEE10hipError_tPvRmT1_PNSt15iterator_traitsISL_E10value_typeET2_T3_PNSM_ISR_E10value_typeET4_jRbjT5_SX_jjP12ihipStream_tbEUlT_E0_NS1_11comp_targetILNS1_3genE10ELNS1_11target_archE1201ELNS1_3gpuE5ELNS1_3repE0EEENS1_60segmented_radix_sort_warp_sort_medium_config_static_selectorELNS0_4arch9wavefront6targetE1EEEvSL_.private_seg_size, 0
	.set _ZN7rocprim17ROCPRIM_400000_NS6detail17trampoline_kernelINS0_14default_configENS1_36segmented_radix_sort_config_selectorI6__halflEEZNS1_25segmented_radix_sort_implIS3_Lb1EPKS5_PS5_PKlPlN2at6native12_GLOBAL__N_18offset_tEEE10hipError_tPvRmT1_PNSt15iterator_traitsISL_E10value_typeET2_T3_PNSM_ISR_E10value_typeET4_jRbjT5_SX_jjP12ihipStream_tbEUlT_E0_NS1_11comp_targetILNS1_3genE10ELNS1_11target_archE1201ELNS1_3gpuE5ELNS1_3repE0EEENS1_60segmented_radix_sort_warp_sort_medium_config_static_selectorELNS0_4arch9wavefront6targetE1EEEvSL_.uses_vcc, 0
	.set _ZN7rocprim17ROCPRIM_400000_NS6detail17trampoline_kernelINS0_14default_configENS1_36segmented_radix_sort_config_selectorI6__halflEEZNS1_25segmented_radix_sort_implIS3_Lb1EPKS5_PS5_PKlPlN2at6native12_GLOBAL__N_18offset_tEEE10hipError_tPvRmT1_PNSt15iterator_traitsISL_E10value_typeET2_T3_PNSM_ISR_E10value_typeET4_jRbjT5_SX_jjP12ihipStream_tbEUlT_E0_NS1_11comp_targetILNS1_3genE10ELNS1_11target_archE1201ELNS1_3gpuE5ELNS1_3repE0EEENS1_60segmented_radix_sort_warp_sort_medium_config_static_selectorELNS0_4arch9wavefront6targetE1EEEvSL_.uses_flat_scratch, 0
	.set _ZN7rocprim17ROCPRIM_400000_NS6detail17trampoline_kernelINS0_14default_configENS1_36segmented_radix_sort_config_selectorI6__halflEEZNS1_25segmented_radix_sort_implIS3_Lb1EPKS5_PS5_PKlPlN2at6native12_GLOBAL__N_18offset_tEEE10hipError_tPvRmT1_PNSt15iterator_traitsISL_E10value_typeET2_T3_PNSM_ISR_E10value_typeET4_jRbjT5_SX_jjP12ihipStream_tbEUlT_E0_NS1_11comp_targetILNS1_3genE10ELNS1_11target_archE1201ELNS1_3gpuE5ELNS1_3repE0EEENS1_60segmented_radix_sort_warp_sort_medium_config_static_selectorELNS0_4arch9wavefront6targetE1EEEvSL_.has_dyn_sized_stack, 0
	.set _ZN7rocprim17ROCPRIM_400000_NS6detail17trampoline_kernelINS0_14default_configENS1_36segmented_radix_sort_config_selectorI6__halflEEZNS1_25segmented_radix_sort_implIS3_Lb1EPKS5_PS5_PKlPlN2at6native12_GLOBAL__N_18offset_tEEE10hipError_tPvRmT1_PNSt15iterator_traitsISL_E10value_typeET2_T3_PNSM_ISR_E10value_typeET4_jRbjT5_SX_jjP12ihipStream_tbEUlT_E0_NS1_11comp_targetILNS1_3genE10ELNS1_11target_archE1201ELNS1_3gpuE5ELNS1_3repE0EEENS1_60segmented_radix_sort_warp_sort_medium_config_static_selectorELNS0_4arch9wavefront6targetE1EEEvSL_.has_recursion, 0
	.set _ZN7rocprim17ROCPRIM_400000_NS6detail17trampoline_kernelINS0_14default_configENS1_36segmented_radix_sort_config_selectorI6__halflEEZNS1_25segmented_radix_sort_implIS3_Lb1EPKS5_PS5_PKlPlN2at6native12_GLOBAL__N_18offset_tEEE10hipError_tPvRmT1_PNSt15iterator_traitsISL_E10value_typeET2_T3_PNSM_ISR_E10value_typeET4_jRbjT5_SX_jjP12ihipStream_tbEUlT_E0_NS1_11comp_targetILNS1_3genE10ELNS1_11target_archE1201ELNS1_3gpuE5ELNS1_3repE0EEENS1_60segmented_radix_sort_warp_sort_medium_config_static_selectorELNS0_4arch9wavefront6targetE1EEEvSL_.has_indirect_call, 0
	.section	.AMDGPU.csdata,"",@progbits
; Kernel info:
; codeLenInByte = 0
; TotalNumSgprs: 4
; NumVgprs: 0
; ScratchSize: 0
; MemoryBound: 0
; FloatMode: 240
; IeeeMode: 1
; LDSByteSize: 0 bytes/workgroup (compile time only)
; SGPRBlocks: 0
; VGPRBlocks: 0
; NumSGPRsForWavesPerEU: 4
; NumVGPRsForWavesPerEU: 1
; Occupancy: 10
; WaveLimiterHint : 0
; COMPUTE_PGM_RSRC2:SCRATCH_EN: 0
; COMPUTE_PGM_RSRC2:USER_SGPR: 6
; COMPUTE_PGM_RSRC2:TRAP_HANDLER: 0
; COMPUTE_PGM_RSRC2:TGID_X_EN: 1
; COMPUTE_PGM_RSRC2:TGID_Y_EN: 0
; COMPUTE_PGM_RSRC2:TGID_Z_EN: 0
; COMPUTE_PGM_RSRC2:TIDIG_COMP_CNT: 0
	.section	.text._ZN7rocprim17ROCPRIM_400000_NS6detail17trampoline_kernelINS0_14default_configENS1_36segmented_radix_sort_config_selectorI6__halflEEZNS1_25segmented_radix_sort_implIS3_Lb1EPKS5_PS5_PKlPlN2at6native12_GLOBAL__N_18offset_tEEE10hipError_tPvRmT1_PNSt15iterator_traitsISL_E10value_typeET2_T3_PNSM_ISR_E10value_typeET4_jRbjT5_SX_jjP12ihipStream_tbEUlT_E0_NS1_11comp_targetILNS1_3genE10ELNS1_11target_archE1200ELNS1_3gpuE4ELNS1_3repE0EEENS1_60segmented_radix_sort_warp_sort_medium_config_static_selectorELNS0_4arch9wavefront6targetE1EEEvSL_,"axG",@progbits,_ZN7rocprim17ROCPRIM_400000_NS6detail17trampoline_kernelINS0_14default_configENS1_36segmented_radix_sort_config_selectorI6__halflEEZNS1_25segmented_radix_sort_implIS3_Lb1EPKS5_PS5_PKlPlN2at6native12_GLOBAL__N_18offset_tEEE10hipError_tPvRmT1_PNSt15iterator_traitsISL_E10value_typeET2_T3_PNSM_ISR_E10value_typeET4_jRbjT5_SX_jjP12ihipStream_tbEUlT_E0_NS1_11comp_targetILNS1_3genE10ELNS1_11target_archE1200ELNS1_3gpuE4ELNS1_3repE0EEENS1_60segmented_radix_sort_warp_sort_medium_config_static_selectorELNS0_4arch9wavefront6targetE1EEEvSL_,comdat
	.globl	_ZN7rocprim17ROCPRIM_400000_NS6detail17trampoline_kernelINS0_14default_configENS1_36segmented_radix_sort_config_selectorI6__halflEEZNS1_25segmented_radix_sort_implIS3_Lb1EPKS5_PS5_PKlPlN2at6native12_GLOBAL__N_18offset_tEEE10hipError_tPvRmT1_PNSt15iterator_traitsISL_E10value_typeET2_T3_PNSM_ISR_E10value_typeET4_jRbjT5_SX_jjP12ihipStream_tbEUlT_E0_NS1_11comp_targetILNS1_3genE10ELNS1_11target_archE1200ELNS1_3gpuE4ELNS1_3repE0EEENS1_60segmented_radix_sort_warp_sort_medium_config_static_selectorELNS0_4arch9wavefront6targetE1EEEvSL_ ; -- Begin function _ZN7rocprim17ROCPRIM_400000_NS6detail17trampoline_kernelINS0_14default_configENS1_36segmented_radix_sort_config_selectorI6__halflEEZNS1_25segmented_radix_sort_implIS3_Lb1EPKS5_PS5_PKlPlN2at6native12_GLOBAL__N_18offset_tEEE10hipError_tPvRmT1_PNSt15iterator_traitsISL_E10value_typeET2_T3_PNSM_ISR_E10value_typeET4_jRbjT5_SX_jjP12ihipStream_tbEUlT_E0_NS1_11comp_targetILNS1_3genE10ELNS1_11target_archE1200ELNS1_3gpuE4ELNS1_3repE0EEENS1_60segmented_radix_sort_warp_sort_medium_config_static_selectorELNS0_4arch9wavefront6targetE1EEEvSL_
	.p2align	8
	.type	_ZN7rocprim17ROCPRIM_400000_NS6detail17trampoline_kernelINS0_14default_configENS1_36segmented_radix_sort_config_selectorI6__halflEEZNS1_25segmented_radix_sort_implIS3_Lb1EPKS5_PS5_PKlPlN2at6native12_GLOBAL__N_18offset_tEEE10hipError_tPvRmT1_PNSt15iterator_traitsISL_E10value_typeET2_T3_PNSM_ISR_E10value_typeET4_jRbjT5_SX_jjP12ihipStream_tbEUlT_E0_NS1_11comp_targetILNS1_3genE10ELNS1_11target_archE1200ELNS1_3gpuE4ELNS1_3repE0EEENS1_60segmented_radix_sort_warp_sort_medium_config_static_selectorELNS0_4arch9wavefront6targetE1EEEvSL_,@function
_ZN7rocprim17ROCPRIM_400000_NS6detail17trampoline_kernelINS0_14default_configENS1_36segmented_radix_sort_config_selectorI6__halflEEZNS1_25segmented_radix_sort_implIS3_Lb1EPKS5_PS5_PKlPlN2at6native12_GLOBAL__N_18offset_tEEE10hipError_tPvRmT1_PNSt15iterator_traitsISL_E10value_typeET2_T3_PNSM_ISR_E10value_typeET4_jRbjT5_SX_jjP12ihipStream_tbEUlT_E0_NS1_11comp_targetILNS1_3genE10ELNS1_11target_archE1200ELNS1_3gpuE4ELNS1_3repE0EEENS1_60segmented_radix_sort_warp_sort_medium_config_static_selectorELNS0_4arch9wavefront6targetE1EEEvSL_: ; @_ZN7rocprim17ROCPRIM_400000_NS6detail17trampoline_kernelINS0_14default_configENS1_36segmented_radix_sort_config_selectorI6__halflEEZNS1_25segmented_radix_sort_implIS3_Lb1EPKS5_PS5_PKlPlN2at6native12_GLOBAL__N_18offset_tEEE10hipError_tPvRmT1_PNSt15iterator_traitsISL_E10value_typeET2_T3_PNSM_ISR_E10value_typeET4_jRbjT5_SX_jjP12ihipStream_tbEUlT_E0_NS1_11comp_targetILNS1_3genE10ELNS1_11target_archE1200ELNS1_3gpuE4ELNS1_3repE0EEENS1_60segmented_radix_sort_warp_sort_medium_config_static_selectorELNS0_4arch9wavefront6targetE1EEEvSL_
; %bb.0:
	.section	.rodata,"a",@progbits
	.p2align	6, 0x0
	.amdhsa_kernel _ZN7rocprim17ROCPRIM_400000_NS6detail17trampoline_kernelINS0_14default_configENS1_36segmented_radix_sort_config_selectorI6__halflEEZNS1_25segmented_radix_sort_implIS3_Lb1EPKS5_PS5_PKlPlN2at6native12_GLOBAL__N_18offset_tEEE10hipError_tPvRmT1_PNSt15iterator_traitsISL_E10value_typeET2_T3_PNSM_ISR_E10value_typeET4_jRbjT5_SX_jjP12ihipStream_tbEUlT_E0_NS1_11comp_targetILNS1_3genE10ELNS1_11target_archE1200ELNS1_3gpuE4ELNS1_3repE0EEENS1_60segmented_radix_sort_warp_sort_medium_config_static_selectorELNS0_4arch9wavefront6targetE1EEEvSL_
		.amdhsa_group_segment_fixed_size 0
		.amdhsa_private_segment_fixed_size 0
		.amdhsa_kernarg_size 88
		.amdhsa_user_sgpr_count 6
		.amdhsa_user_sgpr_private_segment_buffer 1
		.amdhsa_user_sgpr_dispatch_ptr 0
		.amdhsa_user_sgpr_queue_ptr 0
		.amdhsa_user_sgpr_kernarg_segment_ptr 1
		.amdhsa_user_sgpr_dispatch_id 0
		.amdhsa_user_sgpr_flat_scratch_init 0
		.amdhsa_user_sgpr_private_segment_size 0
		.amdhsa_uses_dynamic_stack 0
		.amdhsa_system_sgpr_private_segment_wavefront_offset 0
		.amdhsa_system_sgpr_workgroup_id_x 1
		.amdhsa_system_sgpr_workgroup_id_y 0
		.amdhsa_system_sgpr_workgroup_id_z 0
		.amdhsa_system_sgpr_workgroup_info 0
		.amdhsa_system_vgpr_workitem_id 0
		.amdhsa_next_free_vgpr 1
		.amdhsa_next_free_sgpr 0
		.amdhsa_reserve_vcc 0
		.amdhsa_reserve_flat_scratch 0
		.amdhsa_float_round_mode_32 0
		.amdhsa_float_round_mode_16_64 0
		.amdhsa_float_denorm_mode_32 3
		.amdhsa_float_denorm_mode_16_64 3
		.amdhsa_dx10_clamp 1
		.amdhsa_ieee_mode 1
		.amdhsa_fp16_overflow 0
		.amdhsa_exception_fp_ieee_invalid_op 0
		.amdhsa_exception_fp_denorm_src 0
		.amdhsa_exception_fp_ieee_div_zero 0
		.amdhsa_exception_fp_ieee_overflow 0
		.amdhsa_exception_fp_ieee_underflow 0
		.amdhsa_exception_fp_ieee_inexact 0
		.amdhsa_exception_int_div_zero 0
	.end_amdhsa_kernel
	.section	.text._ZN7rocprim17ROCPRIM_400000_NS6detail17trampoline_kernelINS0_14default_configENS1_36segmented_radix_sort_config_selectorI6__halflEEZNS1_25segmented_radix_sort_implIS3_Lb1EPKS5_PS5_PKlPlN2at6native12_GLOBAL__N_18offset_tEEE10hipError_tPvRmT1_PNSt15iterator_traitsISL_E10value_typeET2_T3_PNSM_ISR_E10value_typeET4_jRbjT5_SX_jjP12ihipStream_tbEUlT_E0_NS1_11comp_targetILNS1_3genE10ELNS1_11target_archE1200ELNS1_3gpuE4ELNS1_3repE0EEENS1_60segmented_radix_sort_warp_sort_medium_config_static_selectorELNS0_4arch9wavefront6targetE1EEEvSL_,"axG",@progbits,_ZN7rocprim17ROCPRIM_400000_NS6detail17trampoline_kernelINS0_14default_configENS1_36segmented_radix_sort_config_selectorI6__halflEEZNS1_25segmented_radix_sort_implIS3_Lb1EPKS5_PS5_PKlPlN2at6native12_GLOBAL__N_18offset_tEEE10hipError_tPvRmT1_PNSt15iterator_traitsISL_E10value_typeET2_T3_PNSM_ISR_E10value_typeET4_jRbjT5_SX_jjP12ihipStream_tbEUlT_E0_NS1_11comp_targetILNS1_3genE10ELNS1_11target_archE1200ELNS1_3gpuE4ELNS1_3repE0EEENS1_60segmented_radix_sort_warp_sort_medium_config_static_selectorELNS0_4arch9wavefront6targetE1EEEvSL_,comdat
.Lfunc_end1756:
	.size	_ZN7rocprim17ROCPRIM_400000_NS6detail17trampoline_kernelINS0_14default_configENS1_36segmented_radix_sort_config_selectorI6__halflEEZNS1_25segmented_radix_sort_implIS3_Lb1EPKS5_PS5_PKlPlN2at6native12_GLOBAL__N_18offset_tEEE10hipError_tPvRmT1_PNSt15iterator_traitsISL_E10value_typeET2_T3_PNSM_ISR_E10value_typeET4_jRbjT5_SX_jjP12ihipStream_tbEUlT_E0_NS1_11comp_targetILNS1_3genE10ELNS1_11target_archE1200ELNS1_3gpuE4ELNS1_3repE0EEENS1_60segmented_radix_sort_warp_sort_medium_config_static_selectorELNS0_4arch9wavefront6targetE1EEEvSL_, .Lfunc_end1756-_ZN7rocprim17ROCPRIM_400000_NS6detail17trampoline_kernelINS0_14default_configENS1_36segmented_radix_sort_config_selectorI6__halflEEZNS1_25segmented_radix_sort_implIS3_Lb1EPKS5_PS5_PKlPlN2at6native12_GLOBAL__N_18offset_tEEE10hipError_tPvRmT1_PNSt15iterator_traitsISL_E10value_typeET2_T3_PNSM_ISR_E10value_typeET4_jRbjT5_SX_jjP12ihipStream_tbEUlT_E0_NS1_11comp_targetILNS1_3genE10ELNS1_11target_archE1200ELNS1_3gpuE4ELNS1_3repE0EEENS1_60segmented_radix_sort_warp_sort_medium_config_static_selectorELNS0_4arch9wavefront6targetE1EEEvSL_
                                        ; -- End function
	.set _ZN7rocprim17ROCPRIM_400000_NS6detail17trampoline_kernelINS0_14default_configENS1_36segmented_radix_sort_config_selectorI6__halflEEZNS1_25segmented_radix_sort_implIS3_Lb1EPKS5_PS5_PKlPlN2at6native12_GLOBAL__N_18offset_tEEE10hipError_tPvRmT1_PNSt15iterator_traitsISL_E10value_typeET2_T3_PNSM_ISR_E10value_typeET4_jRbjT5_SX_jjP12ihipStream_tbEUlT_E0_NS1_11comp_targetILNS1_3genE10ELNS1_11target_archE1200ELNS1_3gpuE4ELNS1_3repE0EEENS1_60segmented_radix_sort_warp_sort_medium_config_static_selectorELNS0_4arch9wavefront6targetE1EEEvSL_.num_vgpr, 0
	.set _ZN7rocprim17ROCPRIM_400000_NS6detail17trampoline_kernelINS0_14default_configENS1_36segmented_radix_sort_config_selectorI6__halflEEZNS1_25segmented_radix_sort_implIS3_Lb1EPKS5_PS5_PKlPlN2at6native12_GLOBAL__N_18offset_tEEE10hipError_tPvRmT1_PNSt15iterator_traitsISL_E10value_typeET2_T3_PNSM_ISR_E10value_typeET4_jRbjT5_SX_jjP12ihipStream_tbEUlT_E0_NS1_11comp_targetILNS1_3genE10ELNS1_11target_archE1200ELNS1_3gpuE4ELNS1_3repE0EEENS1_60segmented_radix_sort_warp_sort_medium_config_static_selectorELNS0_4arch9wavefront6targetE1EEEvSL_.num_agpr, 0
	.set _ZN7rocprim17ROCPRIM_400000_NS6detail17trampoline_kernelINS0_14default_configENS1_36segmented_radix_sort_config_selectorI6__halflEEZNS1_25segmented_radix_sort_implIS3_Lb1EPKS5_PS5_PKlPlN2at6native12_GLOBAL__N_18offset_tEEE10hipError_tPvRmT1_PNSt15iterator_traitsISL_E10value_typeET2_T3_PNSM_ISR_E10value_typeET4_jRbjT5_SX_jjP12ihipStream_tbEUlT_E0_NS1_11comp_targetILNS1_3genE10ELNS1_11target_archE1200ELNS1_3gpuE4ELNS1_3repE0EEENS1_60segmented_radix_sort_warp_sort_medium_config_static_selectorELNS0_4arch9wavefront6targetE1EEEvSL_.numbered_sgpr, 0
	.set _ZN7rocprim17ROCPRIM_400000_NS6detail17trampoline_kernelINS0_14default_configENS1_36segmented_radix_sort_config_selectorI6__halflEEZNS1_25segmented_radix_sort_implIS3_Lb1EPKS5_PS5_PKlPlN2at6native12_GLOBAL__N_18offset_tEEE10hipError_tPvRmT1_PNSt15iterator_traitsISL_E10value_typeET2_T3_PNSM_ISR_E10value_typeET4_jRbjT5_SX_jjP12ihipStream_tbEUlT_E0_NS1_11comp_targetILNS1_3genE10ELNS1_11target_archE1200ELNS1_3gpuE4ELNS1_3repE0EEENS1_60segmented_radix_sort_warp_sort_medium_config_static_selectorELNS0_4arch9wavefront6targetE1EEEvSL_.num_named_barrier, 0
	.set _ZN7rocprim17ROCPRIM_400000_NS6detail17trampoline_kernelINS0_14default_configENS1_36segmented_radix_sort_config_selectorI6__halflEEZNS1_25segmented_radix_sort_implIS3_Lb1EPKS5_PS5_PKlPlN2at6native12_GLOBAL__N_18offset_tEEE10hipError_tPvRmT1_PNSt15iterator_traitsISL_E10value_typeET2_T3_PNSM_ISR_E10value_typeET4_jRbjT5_SX_jjP12ihipStream_tbEUlT_E0_NS1_11comp_targetILNS1_3genE10ELNS1_11target_archE1200ELNS1_3gpuE4ELNS1_3repE0EEENS1_60segmented_radix_sort_warp_sort_medium_config_static_selectorELNS0_4arch9wavefront6targetE1EEEvSL_.private_seg_size, 0
	.set _ZN7rocprim17ROCPRIM_400000_NS6detail17trampoline_kernelINS0_14default_configENS1_36segmented_radix_sort_config_selectorI6__halflEEZNS1_25segmented_radix_sort_implIS3_Lb1EPKS5_PS5_PKlPlN2at6native12_GLOBAL__N_18offset_tEEE10hipError_tPvRmT1_PNSt15iterator_traitsISL_E10value_typeET2_T3_PNSM_ISR_E10value_typeET4_jRbjT5_SX_jjP12ihipStream_tbEUlT_E0_NS1_11comp_targetILNS1_3genE10ELNS1_11target_archE1200ELNS1_3gpuE4ELNS1_3repE0EEENS1_60segmented_radix_sort_warp_sort_medium_config_static_selectorELNS0_4arch9wavefront6targetE1EEEvSL_.uses_vcc, 0
	.set _ZN7rocprim17ROCPRIM_400000_NS6detail17trampoline_kernelINS0_14default_configENS1_36segmented_radix_sort_config_selectorI6__halflEEZNS1_25segmented_radix_sort_implIS3_Lb1EPKS5_PS5_PKlPlN2at6native12_GLOBAL__N_18offset_tEEE10hipError_tPvRmT1_PNSt15iterator_traitsISL_E10value_typeET2_T3_PNSM_ISR_E10value_typeET4_jRbjT5_SX_jjP12ihipStream_tbEUlT_E0_NS1_11comp_targetILNS1_3genE10ELNS1_11target_archE1200ELNS1_3gpuE4ELNS1_3repE0EEENS1_60segmented_radix_sort_warp_sort_medium_config_static_selectorELNS0_4arch9wavefront6targetE1EEEvSL_.uses_flat_scratch, 0
	.set _ZN7rocprim17ROCPRIM_400000_NS6detail17trampoline_kernelINS0_14default_configENS1_36segmented_radix_sort_config_selectorI6__halflEEZNS1_25segmented_radix_sort_implIS3_Lb1EPKS5_PS5_PKlPlN2at6native12_GLOBAL__N_18offset_tEEE10hipError_tPvRmT1_PNSt15iterator_traitsISL_E10value_typeET2_T3_PNSM_ISR_E10value_typeET4_jRbjT5_SX_jjP12ihipStream_tbEUlT_E0_NS1_11comp_targetILNS1_3genE10ELNS1_11target_archE1200ELNS1_3gpuE4ELNS1_3repE0EEENS1_60segmented_radix_sort_warp_sort_medium_config_static_selectorELNS0_4arch9wavefront6targetE1EEEvSL_.has_dyn_sized_stack, 0
	.set _ZN7rocprim17ROCPRIM_400000_NS6detail17trampoline_kernelINS0_14default_configENS1_36segmented_radix_sort_config_selectorI6__halflEEZNS1_25segmented_radix_sort_implIS3_Lb1EPKS5_PS5_PKlPlN2at6native12_GLOBAL__N_18offset_tEEE10hipError_tPvRmT1_PNSt15iterator_traitsISL_E10value_typeET2_T3_PNSM_ISR_E10value_typeET4_jRbjT5_SX_jjP12ihipStream_tbEUlT_E0_NS1_11comp_targetILNS1_3genE10ELNS1_11target_archE1200ELNS1_3gpuE4ELNS1_3repE0EEENS1_60segmented_radix_sort_warp_sort_medium_config_static_selectorELNS0_4arch9wavefront6targetE1EEEvSL_.has_recursion, 0
	.set _ZN7rocprim17ROCPRIM_400000_NS6detail17trampoline_kernelINS0_14default_configENS1_36segmented_radix_sort_config_selectorI6__halflEEZNS1_25segmented_radix_sort_implIS3_Lb1EPKS5_PS5_PKlPlN2at6native12_GLOBAL__N_18offset_tEEE10hipError_tPvRmT1_PNSt15iterator_traitsISL_E10value_typeET2_T3_PNSM_ISR_E10value_typeET4_jRbjT5_SX_jjP12ihipStream_tbEUlT_E0_NS1_11comp_targetILNS1_3genE10ELNS1_11target_archE1200ELNS1_3gpuE4ELNS1_3repE0EEENS1_60segmented_radix_sort_warp_sort_medium_config_static_selectorELNS0_4arch9wavefront6targetE1EEEvSL_.has_indirect_call, 0
	.section	.AMDGPU.csdata,"",@progbits
; Kernel info:
; codeLenInByte = 0
; TotalNumSgprs: 4
; NumVgprs: 0
; ScratchSize: 0
; MemoryBound: 0
; FloatMode: 240
; IeeeMode: 1
; LDSByteSize: 0 bytes/workgroup (compile time only)
; SGPRBlocks: 0
; VGPRBlocks: 0
; NumSGPRsForWavesPerEU: 4
; NumVGPRsForWavesPerEU: 1
; Occupancy: 10
; WaveLimiterHint : 0
; COMPUTE_PGM_RSRC2:SCRATCH_EN: 0
; COMPUTE_PGM_RSRC2:USER_SGPR: 6
; COMPUTE_PGM_RSRC2:TRAP_HANDLER: 0
; COMPUTE_PGM_RSRC2:TGID_X_EN: 1
; COMPUTE_PGM_RSRC2:TGID_Y_EN: 0
; COMPUTE_PGM_RSRC2:TGID_Z_EN: 0
; COMPUTE_PGM_RSRC2:TIDIG_COMP_CNT: 0
	.section	.text._ZN7rocprim17ROCPRIM_400000_NS6detail17trampoline_kernelINS0_14default_configENS1_36segmented_radix_sort_config_selectorI6__halflEEZNS1_25segmented_radix_sort_implIS3_Lb1EPKS5_PS5_PKlPlN2at6native12_GLOBAL__N_18offset_tEEE10hipError_tPvRmT1_PNSt15iterator_traitsISL_E10value_typeET2_T3_PNSM_ISR_E10value_typeET4_jRbjT5_SX_jjP12ihipStream_tbEUlT_E0_NS1_11comp_targetILNS1_3genE9ELNS1_11target_archE1100ELNS1_3gpuE3ELNS1_3repE0EEENS1_60segmented_radix_sort_warp_sort_medium_config_static_selectorELNS0_4arch9wavefront6targetE1EEEvSL_,"axG",@progbits,_ZN7rocprim17ROCPRIM_400000_NS6detail17trampoline_kernelINS0_14default_configENS1_36segmented_radix_sort_config_selectorI6__halflEEZNS1_25segmented_radix_sort_implIS3_Lb1EPKS5_PS5_PKlPlN2at6native12_GLOBAL__N_18offset_tEEE10hipError_tPvRmT1_PNSt15iterator_traitsISL_E10value_typeET2_T3_PNSM_ISR_E10value_typeET4_jRbjT5_SX_jjP12ihipStream_tbEUlT_E0_NS1_11comp_targetILNS1_3genE9ELNS1_11target_archE1100ELNS1_3gpuE3ELNS1_3repE0EEENS1_60segmented_radix_sort_warp_sort_medium_config_static_selectorELNS0_4arch9wavefront6targetE1EEEvSL_,comdat
	.globl	_ZN7rocprim17ROCPRIM_400000_NS6detail17trampoline_kernelINS0_14default_configENS1_36segmented_radix_sort_config_selectorI6__halflEEZNS1_25segmented_radix_sort_implIS3_Lb1EPKS5_PS5_PKlPlN2at6native12_GLOBAL__N_18offset_tEEE10hipError_tPvRmT1_PNSt15iterator_traitsISL_E10value_typeET2_T3_PNSM_ISR_E10value_typeET4_jRbjT5_SX_jjP12ihipStream_tbEUlT_E0_NS1_11comp_targetILNS1_3genE9ELNS1_11target_archE1100ELNS1_3gpuE3ELNS1_3repE0EEENS1_60segmented_radix_sort_warp_sort_medium_config_static_selectorELNS0_4arch9wavefront6targetE1EEEvSL_ ; -- Begin function _ZN7rocprim17ROCPRIM_400000_NS6detail17trampoline_kernelINS0_14default_configENS1_36segmented_radix_sort_config_selectorI6__halflEEZNS1_25segmented_radix_sort_implIS3_Lb1EPKS5_PS5_PKlPlN2at6native12_GLOBAL__N_18offset_tEEE10hipError_tPvRmT1_PNSt15iterator_traitsISL_E10value_typeET2_T3_PNSM_ISR_E10value_typeET4_jRbjT5_SX_jjP12ihipStream_tbEUlT_E0_NS1_11comp_targetILNS1_3genE9ELNS1_11target_archE1100ELNS1_3gpuE3ELNS1_3repE0EEENS1_60segmented_radix_sort_warp_sort_medium_config_static_selectorELNS0_4arch9wavefront6targetE1EEEvSL_
	.p2align	8
	.type	_ZN7rocprim17ROCPRIM_400000_NS6detail17trampoline_kernelINS0_14default_configENS1_36segmented_radix_sort_config_selectorI6__halflEEZNS1_25segmented_radix_sort_implIS3_Lb1EPKS5_PS5_PKlPlN2at6native12_GLOBAL__N_18offset_tEEE10hipError_tPvRmT1_PNSt15iterator_traitsISL_E10value_typeET2_T3_PNSM_ISR_E10value_typeET4_jRbjT5_SX_jjP12ihipStream_tbEUlT_E0_NS1_11comp_targetILNS1_3genE9ELNS1_11target_archE1100ELNS1_3gpuE3ELNS1_3repE0EEENS1_60segmented_radix_sort_warp_sort_medium_config_static_selectorELNS0_4arch9wavefront6targetE1EEEvSL_,@function
_ZN7rocprim17ROCPRIM_400000_NS6detail17trampoline_kernelINS0_14default_configENS1_36segmented_radix_sort_config_selectorI6__halflEEZNS1_25segmented_radix_sort_implIS3_Lb1EPKS5_PS5_PKlPlN2at6native12_GLOBAL__N_18offset_tEEE10hipError_tPvRmT1_PNSt15iterator_traitsISL_E10value_typeET2_T3_PNSM_ISR_E10value_typeET4_jRbjT5_SX_jjP12ihipStream_tbEUlT_E0_NS1_11comp_targetILNS1_3genE9ELNS1_11target_archE1100ELNS1_3gpuE3ELNS1_3repE0EEENS1_60segmented_radix_sort_warp_sort_medium_config_static_selectorELNS0_4arch9wavefront6targetE1EEEvSL_: ; @_ZN7rocprim17ROCPRIM_400000_NS6detail17trampoline_kernelINS0_14default_configENS1_36segmented_radix_sort_config_selectorI6__halflEEZNS1_25segmented_radix_sort_implIS3_Lb1EPKS5_PS5_PKlPlN2at6native12_GLOBAL__N_18offset_tEEE10hipError_tPvRmT1_PNSt15iterator_traitsISL_E10value_typeET2_T3_PNSM_ISR_E10value_typeET4_jRbjT5_SX_jjP12ihipStream_tbEUlT_E0_NS1_11comp_targetILNS1_3genE9ELNS1_11target_archE1100ELNS1_3gpuE3ELNS1_3repE0EEENS1_60segmented_radix_sort_warp_sort_medium_config_static_selectorELNS0_4arch9wavefront6targetE1EEEvSL_
; %bb.0:
	.section	.rodata,"a",@progbits
	.p2align	6, 0x0
	.amdhsa_kernel _ZN7rocprim17ROCPRIM_400000_NS6detail17trampoline_kernelINS0_14default_configENS1_36segmented_radix_sort_config_selectorI6__halflEEZNS1_25segmented_radix_sort_implIS3_Lb1EPKS5_PS5_PKlPlN2at6native12_GLOBAL__N_18offset_tEEE10hipError_tPvRmT1_PNSt15iterator_traitsISL_E10value_typeET2_T3_PNSM_ISR_E10value_typeET4_jRbjT5_SX_jjP12ihipStream_tbEUlT_E0_NS1_11comp_targetILNS1_3genE9ELNS1_11target_archE1100ELNS1_3gpuE3ELNS1_3repE0EEENS1_60segmented_radix_sort_warp_sort_medium_config_static_selectorELNS0_4arch9wavefront6targetE1EEEvSL_
		.amdhsa_group_segment_fixed_size 0
		.amdhsa_private_segment_fixed_size 0
		.amdhsa_kernarg_size 88
		.amdhsa_user_sgpr_count 6
		.amdhsa_user_sgpr_private_segment_buffer 1
		.amdhsa_user_sgpr_dispatch_ptr 0
		.amdhsa_user_sgpr_queue_ptr 0
		.amdhsa_user_sgpr_kernarg_segment_ptr 1
		.amdhsa_user_sgpr_dispatch_id 0
		.amdhsa_user_sgpr_flat_scratch_init 0
		.amdhsa_user_sgpr_private_segment_size 0
		.amdhsa_uses_dynamic_stack 0
		.amdhsa_system_sgpr_private_segment_wavefront_offset 0
		.amdhsa_system_sgpr_workgroup_id_x 1
		.amdhsa_system_sgpr_workgroup_id_y 0
		.amdhsa_system_sgpr_workgroup_id_z 0
		.amdhsa_system_sgpr_workgroup_info 0
		.amdhsa_system_vgpr_workitem_id 0
		.amdhsa_next_free_vgpr 1
		.amdhsa_next_free_sgpr 0
		.amdhsa_reserve_vcc 0
		.amdhsa_reserve_flat_scratch 0
		.amdhsa_float_round_mode_32 0
		.amdhsa_float_round_mode_16_64 0
		.amdhsa_float_denorm_mode_32 3
		.amdhsa_float_denorm_mode_16_64 3
		.amdhsa_dx10_clamp 1
		.amdhsa_ieee_mode 1
		.amdhsa_fp16_overflow 0
		.amdhsa_exception_fp_ieee_invalid_op 0
		.amdhsa_exception_fp_denorm_src 0
		.amdhsa_exception_fp_ieee_div_zero 0
		.amdhsa_exception_fp_ieee_overflow 0
		.amdhsa_exception_fp_ieee_underflow 0
		.amdhsa_exception_fp_ieee_inexact 0
		.amdhsa_exception_int_div_zero 0
	.end_amdhsa_kernel
	.section	.text._ZN7rocprim17ROCPRIM_400000_NS6detail17trampoline_kernelINS0_14default_configENS1_36segmented_radix_sort_config_selectorI6__halflEEZNS1_25segmented_radix_sort_implIS3_Lb1EPKS5_PS5_PKlPlN2at6native12_GLOBAL__N_18offset_tEEE10hipError_tPvRmT1_PNSt15iterator_traitsISL_E10value_typeET2_T3_PNSM_ISR_E10value_typeET4_jRbjT5_SX_jjP12ihipStream_tbEUlT_E0_NS1_11comp_targetILNS1_3genE9ELNS1_11target_archE1100ELNS1_3gpuE3ELNS1_3repE0EEENS1_60segmented_radix_sort_warp_sort_medium_config_static_selectorELNS0_4arch9wavefront6targetE1EEEvSL_,"axG",@progbits,_ZN7rocprim17ROCPRIM_400000_NS6detail17trampoline_kernelINS0_14default_configENS1_36segmented_radix_sort_config_selectorI6__halflEEZNS1_25segmented_radix_sort_implIS3_Lb1EPKS5_PS5_PKlPlN2at6native12_GLOBAL__N_18offset_tEEE10hipError_tPvRmT1_PNSt15iterator_traitsISL_E10value_typeET2_T3_PNSM_ISR_E10value_typeET4_jRbjT5_SX_jjP12ihipStream_tbEUlT_E0_NS1_11comp_targetILNS1_3genE9ELNS1_11target_archE1100ELNS1_3gpuE3ELNS1_3repE0EEENS1_60segmented_radix_sort_warp_sort_medium_config_static_selectorELNS0_4arch9wavefront6targetE1EEEvSL_,comdat
.Lfunc_end1757:
	.size	_ZN7rocprim17ROCPRIM_400000_NS6detail17trampoline_kernelINS0_14default_configENS1_36segmented_radix_sort_config_selectorI6__halflEEZNS1_25segmented_radix_sort_implIS3_Lb1EPKS5_PS5_PKlPlN2at6native12_GLOBAL__N_18offset_tEEE10hipError_tPvRmT1_PNSt15iterator_traitsISL_E10value_typeET2_T3_PNSM_ISR_E10value_typeET4_jRbjT5_SX_jjP12ihipStream_tbEUlT_E0_NS1_11comp_targetILNS1_3genE9ELNS1_11target_archE1100ELNS1_3gpuE3ELNS1_3repE0EEENS1_60segmented_radix_sort_warp_sort_medium_config_static_selectorELNS0_4arch9wavefront6targetE1EEEvSL_, .Lfunc_end1757-_ZN7rocprim17ROCPRIM_400000_NS6detail17trampoline_kernelINS0_14default_configENS1_36segmented_radix_sort_config_selectorI6__halflEEZNS1_25segmented_radix_sort_implIS3_Lb1EPKS5_PS5_PKlPlN2at6native12_GLOBAL__N_18offset_tEEE10hipError_tPvRmT1_PNSt15iterator_traitsISL_E10value_typeET2_T3_PNSM_ISR_E10value_typeET4_jRbjT5_SX_jjP12ihipStream_tbEUlT_E0_NS1_11comp_targetILNS1_3genE9ELNS1_11target_archE1100ELNS1_3gpuE3ELNS1_3repE0EEENS1_60segmented_radix_sort_warp_sort_medium_config_static_selectorELNS0_4arch9wavefront6targetE1EEEvSL_
                                        ; -- End function
	.set _ZN7rocprim17ROCPRIM_400000_NS6detail17trampoline_kernelINS0_14default_configENS1_36segmented_radix_sort_config_selectorI6__halflEEZNS1_25segmented_radix_sort_implIS3_Lb1EPKS5_PS5_PKlPlN2at6native12_GLOBAL__N_18offset_tEEE10hipError_tPvRmT1_PNSt15iterator_traitsISL_E10value_typeET2_T3_PNSM_ISR_E10value_typeET4_jRbjT5_SX_jjP12ihipStream_tbEUlT_E0_NS1_11comp_targetILNS1_3genE9ELNS1_11target_archE1100ELNS1_3gpuE3ELNS1_3repE0EEENS1_60segmented_radix_sort_warp_sort_medium_config_static_selectorELNS0_4arch9wavefront6targetE1EEEvSL_.num_vgpr, 0
	.set _ZN7rocprim17ROCPRIM_400000_NS6detail17trampoline_kernelINS0_14default_configENS1_36segmented_radix_sort_config_selectorI6__halflEEZNS1_25segmented_radix_sort_implIS3_Lb1EPKS5_PS5_PKlPlN2at6native12_GLOBAL__N_18offset_tEEE10hipError_tPvRmT1_PNSt15iterator_traitsISL_E10value_typeET2_T3_PNSM_ISR_E10value_typeET4_jRbjT5_SX_jjP12ihipStream_tbEUlT_E0_NS1_11comp_targetILNS1_3genE9ELNS1_11target_archE1100ELNS1_3gpuE3ELNS1_3repE0EEENS1_60segmented_radix_sort_warp_sort_medium_config_static_selectorELNS0_4arch9wavefront6targetE1EEEvSL_.num_agpr, 0
	.set _ZN7rocprim17ROCPRIM_400000_NS6detail17trampoline_kernelINS0_14default_configENS1_36segmented_radix_sort_config_selectorI6__halflEEZNS1_25segmented_radix_sort_implIS3_Lb1EPKS5_PS5_PKlPlN2at6native12_GLOBAL__N_18offset_tEEE10hipError_tPvRmT1_PNSt15iterator_traitsISL_E10value_typeET2_T3_PNSM_ISR_E10value_typeET4_jRbjT5_SX_jjP12ihipStream_tbEUlT_E0_NS1_11comp_targetILNS1_3genE9ELNS1_11target_archE1100ELNS1_3gpuE3ELNS1_3repE0EEENS1_60segmented_radix_sort_warp_sort_medium_config_static_selectorELNS0_4arch9wavefront6targetE1EEEvSL_.numbered_sgpr, 0
	.set _ZN7rocprim17ROCPRIM_400000_NS6detail17trampoline_kernelINS0_14default_configENS1_36segmented_radix_sort_config_selectorI6__halflEEZNS1_25segmented_radix_sort_implIS3_Lb1EPKS5_PS5_PKlPlN2at6native12_GLOBAL__N_18offset_tEEE10hipError_tPvRmT1_PNSt15iterator_traitsISL_E10value_typeET2_T3_PNSM_ISR_E10value_typeET4_jRbjT5_SX_jjP12ihipStream_tbEUlT_E0_NS1_11comp_targetILNS1_3genE9ELNS1_11target_archE1100ELNS1_3gpuE3ELNS1_3repE0EEENS1_60segmented_radix_sort_warp_sort_medium_config_static_selectorELNS0_4arch9wavefront6targetE1EEEvSL_.num_named_barrier, 0
	.set _ZN7rocprim17ROCPRIM_400000_NS6detail17trampoline_kernelINS0_14default_configENS1_36segmented_radix_sort_config_selectorI6__halflEEZNS1_25segmented_radix_sort_implIS3_Lb1EPKS5_PS5_PKlPlN2at6native12_GLOBAL__N_18offset_tEEE10hipError_tPvRmT1_PNSt15iterator_traitsISL_E10value_typeET2_T3_PNSM_ISR_E10value_typeET4_jRbjT5_SX_jjP12ihipStream_tbEUlT_E0_NS1_11comp_targetILNS1_3genE9ELNS1_11target_archE1100ELNS1_3gpuE3ELNS1_3repE0EEENS1_60segmented_radix_sort_warp_sort_medium_config_static_selectorELNS0_4arch9wavefront6targetE1EEEvSL_.private_seg_size, 0
	.set _ZN7rocprim17ROCPRIM_400000_NS6detail17trampoline_kernelINS0_14default_configENS1_36segmented_radix_sort_config_selectorI6__halflEEZNS1_25segmented_radix_sort_implIS3_Lb1EPKS5_PS5_PKlPlN2at6native12_GLOBAL__N_18offset_tEEE10hipError_tPvRmT1_PNSt15iterator_traitsISL_E10value_typeET2_T3_PNSM_ISR_E10value_typeET4_jRbjT5_SX_jjP12ihipStream_tbEUlT_E0_NS1_11comp_targetILNS1_3genE9ELNS1_11target_archE1100ELNS1_3gpuE3ELNS1_3repE0EEENS1_60segmented_radix_sort_warp_sort_medium_config_static_selectorELNS0_4arch9wavefront6targetE1EEEvSL_.uses_vcc, 0
	.set _ZN7rocprim17ROCPRIM_400000_NS6detail17trampoline_kernelINS0_14default_configENS1_36segmented_radix_sort_config_selectorI6__halflEEZNS1_25segmented_radix_sort_implIS3_Lb1EPKS5_PS5_PKlPlN2at6native12_GLOBAL__N_18offset_tEEE10hipError_tPvRmT1_PNSt15iterator_traitsISL_E10value_typeET2_T3_PNSM_ISR_E10value_typeET4_jRbjT5_SX_jjP12ihipStream_tbEUlT_E0_NS1_11comp_targetILNS1_3genE9ELNS1_11target_archE1100ELNS1_3gpuE3ELNS1_3repE0EEENS1_60segmented_radix_sort_warp_sort_medium_config_static_selectorELNS0_4arch9wavefront6targetE1EEEvSL_.uses_flat_scratch, 0
	.set _ZN7rocprim17ROCPRIM_400000_NS6detail17trampoline_kernelINS0_14default_configENS1_36segmented_radix_sort_config_selectorI6__halflEEZNS1_25segmented_radix_sort_implIS3_Lb1EPKS5_PS5_PKlPlN2at6native12_GLOBAL__N_18offset_tEEE10hipError_tPvRmT1_PNSt15iterator_traitsISL_E10value_typeET2_T3_PNSM_ISR_E10value_typeET4_jRbjT5_SX_jjP12ihipStream_tbEUlT_E0_NS1_11comp_targetILNS1_3genE9ELNS1_11target_archE1100ELNS1_3gpuE3ELNS1_3repE0EEENS1_60segmented_radix_sort_warp_sort_medium_config_static_selectorELNS0_4arch9wavefront6targetE1EEEvSL_.has_dyn_sized_stack, 0
	.set _ZN7rocprim17ROCPRIM_400000_NS6detail17trampoline_kernelINS0_14default_configENS1_36segmented_radix_sort_config_selectorI6__halflEEZNS1_25segmented_radix_sort_implIS3_Lb1EPKS5_PS5_PKlPlN2at6native12_GLOBAL__N_18offset_tEEE10hipError_tPvRmT1_PNSt15iterator_traitsISL_E10value_typeET2_T3_PNSM_ISR_E10value_typeET4_jRbjT5_SX_jjP12ihipStream_tbEUlT_E0_NS1_11comp_targetILNS1_3genE9ELNS1_11target_archE1100ELNS1_3gpuE3ELNS1_3repE0EEENS1_60segmented_radix_sort_warp_sort_medium_config_static_selectorELNS0_4arch9wavefront6targetE1EEEvSL_.has_recursion, 0
	.set _ZN7rocprim17ROCPRIM_400000_NS6detail17trampoline_kernelINS0_14default_configENS1_36segmented_radix_sort_config_selectorI6__halflEEZNS1_25segmented_radix_sort_implIS3_Lb1EPKS5_PS5_PKlPlN2at6native12_GLOBAL__N_18offset_tEEE10hipError_tPvRmT1_PNSt15iterator_traitsISL_E10value_typeET2_T3_PNSM_ISR_E10value_typeET4_jRbjT5_SX_jjP12ihipStream_tbEUlT_E0_NS1_11comp_targetILNS1_3genE9ELNS1_11target_archE1100ELNS1_3gpuE3ELNS1_3repE0EEENS1_60segmented_radix_sort_warp_sort_medium_config_static_selectorELNS0_4arch9wavefront6targetE1EEEvSL_.has_indirect_call, 0
	.section	.AMDGPU.csdata,"",@progbits
; Kernel info:
; codeLenInByte = 0
; TotalNumSgprs: 4
; NumVgprs: 0
; ScratchSize: 0
; MemoryBound: 0
; FloatMode: 240
; IeeeMode: 1
; LDSByteSize: 0 bytes/workgroup (compile time only)
; SGPRBlocks: 0
; VGPRBlocks: 0
; NumSGPRsForWavesPerEU: 4
; NumVGPRsForWavesPerEU: 1
; Occupancy: 10
; WaveLimiterHint : 0
; COMPUTE_PGM_RSRC2:SCRATCH_EN: 0
; COMPUTE_PGM_RSRC2:USER_SGPR: 6
; COMPUTE_PGM_RSRC2:TRAP_HANDLER: 0
; COMPUTE_PGM_RSRC2:TGID_X_EN: 1
; COMPUTE_PGM_RSRC2:TGID_Y_EN: 0
; COMPUTE_PGM_RSRC2:TGID_Z_EN: 0
; COMPUTE_PGM_RSRC2:TIDIG_COMP_CNT: 0
	.section	.text._ZN7rocprim17ROCPRIM_400000_NS6detail17trampoline_kernelINS0_14default_configENS1_36segmented_radix_sort_config_selectorI6__halflEEZNS1_25segmented_radix_sort_implIS3_Lb1EPKS5_PS5_PKlPlN2at6native12_GLOBAL__N_18offset_tEEE10hipError_tPvRmT1_PNSt15iterator_traitsISL_E10value_typeET2_T3_PNSM_ISR_E10value_typeET4_jRbjT5_SX_jjP12ihipStream_tbEUlT_E0_NS1_11comp_targetILNS1_3genE8ELNS1_11target_archE1030ELNS1_3gpuE2ELNS1_3repE0EEENS1_60segmented_radix_sort_warp_sort_medium_config_static_selectorELNS0_4arch9wavefront6targetE1EEEvSL_,"axG",@progbits,_ZN7rocprim17ROCPRIM_400000_NS6detail17trampoline_kernelINS0_14default_configENS1_36segmented_radix_sort_config_selectorI6__halflEEZNS1_25segmented_radix_sort_implIS3_Lb1EPKS5_PS5_PKlPlN2at6native12_GLOBAL__N_18offset_tEEE10hipError_tPvRmT1_PNSt15iterator_traitsISL_E10value_typeET2_T3_PNSM_ISR_E10value_typeET4_jRbjT5_SX_jjP12ihipStream_tbEUlT_E0_NS1_11comp_targetILNS1_3genE8ELNS1_11target_archE1030ELNS1_3gpuE2ELNS1_3repE0EEENS1_60segmented_radix_sort_warp_sort_medium_config_static_selectorELNS0_4arch9wavefront6targetE1EEEvSL_,comdat
	.globl	_ZN7rocprim17ROCPRIM_400000_NS6detail17trampoline_kernelINS0_14default_configENS1_36segmented_radix_sort_config_selectorI6__halflEEZNS1_25segmented_radix_sort_implIS3_Lb1EPKS5_PS5_PKlPlN2at6native12_GLOBAL__N_18offset_tEEE10hipError_tPvRmT1_PNSt15iterator_traitsISL_E10value_typeET2_T3_PNSM_ISR_E10value_typeET4_jRbjT5_SX_jjP12ihipStream_tbEUlT_E0_NS1_11comp_targetILNS1_3genE8ELNS1_11target_archE1030ELNS1_3gpuE2ELNS1_3repE0EEENS1_60segmented_radix_sort_warp_sort_medium_config_static_selectorELNS0_4arch9wavefront6targetE1EEEvSL_ ; -- Begin function _ZN7rocprim17ROCPRIM_400000_NS6detail17trampoline_kernelINS0_14default_configENS1_36segmented_radix_sort_config_selectorI6__halflEEZNS1_25segmented_radix_sort_implIS3_Lb1EPKS5_PS5_PKlPlN2at6native12_GLOBAL__N_18offset_tEEE10hipError_tPvRmT1_PNSt15iterator_traitsISL_E10value_typeET2_T3_PNSM_ISR_E10value_typeET4_jRbjT5_SX_jjP12ihipStream_tbEUlT_E0_NS1_11comp_targetILNS1_3genE8ELNS1_11target_archE1030ELNS1_3gpuE2ELNS1_3repE0EEENS1_60segmented_radix_sort_warp_sort_medium_config_static_selectorELNS0_4arch9wavefront6targetE1EEEvSL_
	.p2align	8
	.type	_ZN7rocprim17ROCPRIM_400000_NS6detail17trampoline_kernelINS0_14default_configENS1_36segmented_radix_sort_config_selectorI6__halflEEZNS1_25segmented_radix_sort_implIS3_Lb1EPKS5_PS5_PKlPlN2at6native12_GLOBAL__N_18offset_tEEE10hipError_tPvRmT1_PNSt15iterator_traitsISL_E10value_typeET2_T3_PNSM_ISR_E10value_typeET4_jRbjT5_SX_jjP12ihipStream_tbEUlT_E0_NS1_11comp_targetILNS1_3genE8ELNS1_11target_archE1030ELNS1_3gpuE2ELNS1_3repE0EEENS1_60segmented_radix_sort_warp_sort_medium_config_static_selectorELNS0_4arch9wavefront6targetE1EEEvSL_,@function
_ZN7rocprim17ROCPRIM_400000_NS6detail17trampoline_kernelINS0_14default_configENS1_36segmented_radix_sort_config_selectorI6__halflEEZNS1_25segmented_radix_sort_implIS3_Lb1EPKS5_PS5_PKlPlN2at6native12_GLOBAL__N_18offset_tEEE10hipError_tPvRmT1_PNSt15iterator_traitsISL_E10value_typeET2_T3_PNSM_ISR_E10value_typeET4_jRbjT5_SX_jjP12ihipStream_tbEUlT_E0_NS1_11comp_targetILNS1_3genE8ELNS1_11target_archE1030ELNS1_3gpuE2ELNS1_3repE0EEENS1_60segmented_radix_sort_warp_sort_medium_config_static_selectorELNS0_4arch9wavefront6targetE1EEEvSL_: ; @_ZN7rocprim17ROCPRIM_400000_NS6detail17trampoline_kernelINS0_14default_configENS1_36segmented_radix_sort_config_selectorI6__halflEEZNS1_25segmented_radix_sort_implIS3_Lb1EPKS5_PS5_PKlPlN2at6native12_GLOBAL__N_18offset_tEEE10hipError_tPvRmT1_PNSt15iterator_traitsISL_E10value_typeET2_T3_PNSM_ISR_E10value_typeET4_jRbjT5_SX_jjP12ihipStream_tbEUlT_E0_NS1_11comp_targetILNS1_3genE8ELNS1_11target_archE1030ELNS1_3gpuE2ELNS1_3repE0EEENS1_60segmented_radix_sort_warp_sort_medium_config_static_selectorELNS0_4arch9wavefront6targetE1EEEvSL_
; %bb.0:
	.section	.rodata,"a",@progbits
	.p2align	6, 0x0
	.amdhsa_kernel _ZN7rocprim17ROCPRIM_400000_NS6detail17trampoline_kernelINS0_14default_configENS1_36segmented_radix_sort_config_selectorI6__halflEEZNS1_25segmented_radix_sort_implIS3_Lb1EPKS5_PS5_PKlPlN2at6native12_GLOBAL__N_18offset_tEEE10hipError_tPvRmT1_PNSt15iterator_traitsISL_E10value_typeET2_T3_PNSM_ISR_E10value_typeET4_jRbjT5_SX_jjP12ihipStream_tbEUlT_E0_NS1_11comp_targetILNS1_3genE8ELNS1_11target_archE1030ELNS1_3gpuE2ELNS1_3repE0EEENS1_60segmented_radix_sort_warp_sort_medium_config_static_selectorELNS0_4arch9wavefront6targetE1EEEvSL_
		.amdhsa_group_segment_fixed_size 0
		.amdhsa_private_segment_fixed_size 0
		.amdhsa_kernarg_size 88
		.amdhsa_user_sgpr_count 6
		.amdhsa_user_sgpr_private_segment_buffer 1
		.amdhsa_user_sgpr_dispatch_ptr 0
		.amdhsa_user_sgpr_queue_ptr 0
		.amdhsa_user_sgpr_kernarg_segment_ptr 1
		.amdhsa_user_sgpr_dispatch_id 0
		.amdhsa_user_sgpr_flat_scratch_init 0
		.amdhsa_user_sgpr_private_segment_size 0
		.amdhsa_uses_dynamic_stack 0
		.amdhsa_system_sgpr_private_segment_wavefront_offset 0
		.amdhsa_system_sgpr_workgroup_id_x 1
		.amdhsa_system_sgpr_workgroup_id_y 0
		.amdhsa_system_sgpr_workgroup_id_z 0
		.amdhsa_system_sgpr_workgroup_info 0
		.amdhsa_system_vgpr_workitem_id 0
		.amdhsa_next_free_vgpr 1
		.amdhsa_next_free_sgpr 0
		.amdhsa_reserve_vcc 0
		.amdhsa_reserve_flat_scratch 0
		.amdhsa_float_round_mode_32 0
		.amdhsa_float_round_mode_16_64 0
		.amdhsa_float_denorm_mode_32 3
		.amdhsa_float_denorm_mode_16_64 3
		.amdhsa_dx10_clamp 1
		.amdhsa_ieee_mode 1
		.amdhsa_fp16_overflow 0
		.amdhsa_exception_fp_ieee_invalid_op 0
		.amdhsa_exception_fp_denorm_src 0
		.amdhsa_exception_fp_ieee_div_zero 0
		.amdhsa_exception_fp_ieee_overflow 0
		.amdhsa_exception_fp_ieee_underflow 0
		.amdhsa_exception_fp_ieee_inexact 0
		.amdhsa_exception_int_div_zero 0
	.end_amdhsa_kernel
	.section	.text._ZN7rocprim17ROCPRIM_400000_NS6detail17trampoline_kernelINS0_14default_configENS1_36segmented_radix_sort_config_selectorI6__halflEEZNS1_25segmented_radix_sort_implIS3_Lb1EPKS5_PS5_PKlPlN2at6native12_GLOBAL__N_18offset_tEEE10hipError_tPvRmT1_PNSt15iterator_traitsISL_E10value_typeET2_T3_PNSM_ISR_E10value_typeET4_jRbjT5_SX_jjP12ihipStream_tbEUlT_E0_NS1_11comp_targetILNS1_3genE8ELNS1_11target_archE1030ELNS1_3gpuE2ELNS1_3repE0EEENS1_60segmented_radix_sort_warp_sort_medium_config_static_selectorELNS0_4arch9wavefront6targetE1EEEvSL_,"axG",@progbits,_ZN7rocprim17ROCPRIM_400000_NS6detail17trampoline_kernelINS0_14default_configENS1_36segmented_radix_sort_config_selectorI6__halflEEZNS1_25segmented_radix_sort_implIS3_Lb1EPKS5_PS5_PKlPlN2at6native12_GLOBAL__N_18offset_tEEE10hipError_tPvRmT1_PNSt15iterator_traitsISL_E10value_typeET2_T3_PNSM_ISR_E10value_typeET4_jRbjT5_SX_jjP12ihipStream_tbEUlT_E0_NS1_11comp_targetILNS1_3genE8ELNS1_11target_archE1030ELNS1_3gpuE2ELNS1_3repE0EEENS1_60segmented_radix_sort_warp_sort_medium_config_static_selectorELNS0_4arch9wavefront6targetE1EEEvSL_,comdat
.Lfunc_end1758:
	.size	_ZN7rocprim17ROCPRIM_400000_NS6detail17trampoline_kernelINS0_14default_configENS1_36segmented_radix_sort_config_selectorI6__halflEEZNS1_25segmented_radix_sort_implIS3_Lb1EPKS5_PS5_PKlPlN2at6native12_GLOBAL__N_18offset_tEEE10hipError_tPvRmT1_PNSt15iterator_traitsISL_E10value_typeET2_T3_PNSM_ISR_E10value_typeET4_jRbjT5_SX_jjP12ihipStream_tbEUlT_E0_NS1_11comp_targetILNS1_3genE8ELNS1_11target_archE1030ELNS1_3gpuE2ELNS1_3repE0EEENS1_60segmented_radix_sort_warp_sort_medium_config_static_selectorELNS0_4arch9wavefront6targetE1EEEvSL_, .Lfunc_end1758-_ZN7rocprim17ROCPRIM_400000_NS6detail17trampoline_kernelINS0_14default_configENS1_36segmented_radix_sort_config_selectorI6__halflEEZNS1_25segmented_radix_sort_implIS3_Lb1EPKS5_PS5_PKlPlN2at6native12_GLOBAL__N_18offset_tEEE10hipError_tPvRmT1_PNSt15iterator_traitsISL_E10value_typeET2_T3_PNSM_ISR_E10value_typeET4_jRbjT5_SX_jjP12ihipStream_tbEUlT_E0_NS1_11comp_targetILNS1_3genE8ELNS1_11target_archE1030ELNS1_3gpuE2ELNS1_3repE0EEENS1_60segmented_radix_sort_warp_sort_medium_config_static_selectorELNS0_4arch9wavefront6targetE1EEEvSL_
                                        ; -- End function
	.set _ZN7rocprim17ROCPRIM_400000_NS6detail17trampoline_kernelINS0_14default_configENS1_36segmented_radix_sort_config_selectorI6__halflEEZNS1_25segmented_radix_sort_implIS3_Lb1EPKS5_PS5_PKlPlN2at6native12_GLOBAL__N_18offset_tEEE10hipError_tPvRmT1_PNSt15iterator_traitsISL_E10value_typeET2_T3_PNSM_ISR_E10value_typeET4_jRbjT5_SX_jjP12ihipStream_tbEUlT_E0_NS1_11comp_targetILNS1_3genE8ELNS1_11target_archE1030ELNS1_3gpuE2ELNS1_3repE0EEENS1_60segmented_radix_sort_warp_sort_medium_config_static_selectorELNS0_4arch9wavefront6targetE1EEEvSL_.num_vgpr, 0
	.set _ZN7rocprim17ROCPRIM_400000_NS6detail17trampoline_kernelINS0_14default_configENS1_36segmented_radix_sort_config_selectorI6__halflEEZNS1_25segmented_radix_sort_implIS3_Lb1EPKS5_PS5_PKlPlN2at6native12_GLOBAL__N_18offset_tEEE10hipError_tPvRmT1_PNSt15iterator_traitsISL_E10value_typeET2_T3_PNSM_ISR_E10value_typeET4_jRbjT5_SX_jjP12ihipStream_tbEUlT_E0_NS1_11comp_targetILNS1_3genE8ELNS1_11target_archE1030ELNS1_3gpuE2ELNS1_3repE0EEENS1_60segmented_radix_sort_warp_sort_medium_config_static_selectorELNS0_4arch9wavefront6targetE1EEEvSL_.num_agpr, 0
	.set _ZN7rocprim17ROCPRIM_400000_NS6detail17trampoline_kernelINS0_14default_configENS1_36segmented_radix_sort_config_selectorI6__halflEEZNS1_25segmented_radix_sort_implIS3_Lb1EPKS5_PS5_PKlPlN2at6native12_GLOBAL__N_18offset_tEEE10hipError_tPvRmT1_PNSt15iterator_traitsISL_E10value_typeET2_T3_PNSM_ISR_E10value_typeET4_jRbjT5_SX_jjP12ihipStream_tbEUlT_E0_NS1_11comp_targetILNS1_3genE8ELNS1_11target_archE1030ELNS1_3gpuE2ELNS1_3repE0EEENS1_60segmented_radix_sort_warp_sort_medium_config_static_selectorELNS0_4arch9wavefront6targetE1EEEvSL_.numbered_sgpr, 0
	.set _ZN7rocprim17ROCPRIM_400000_NS6detail17trampoline_kernelINS0_14default_configENS1_36segmented_radix_sort_config_selectorI6__halflEEZNS1_25segmented_radix_sort_implIS3_Lb1EPKS5_PS5_PKlPlN2at6native12_GLOBAL__N_18offset_tEEE10hipError_tPvRmT1_PNSt15iterator_traitsISL_E10value_typeET2_T3_PNSM_ISR_E10value_typeET4_jRbjT5_SX_jjP12ihipStream_tbEUlT_E0_NS1_11comp_targetILNS1_3genE8ELNS1_11target_archE1030ELNS1_3gpuE2ELNS1_3repE0EEENS1_60segmented_radix_sort_warp_sort_medium_config_static_selectorELNS0_4arch9wavefront6targetE1EEEvSL_.num_named_barrier, 0
	.set _ZN7rocprim17ROCPRIM_400000_NS6detail17trampoline_kernelINS0_14default_configENS1_36segmented_radix_sort_config_selectorI6__halflEEZNS1_25segmented_radix_sort_implIS3_Lb1EPKS5_PS5_PKlPlN2at6native12_GLOBAL__N_18offset_tEEE10hipError_tPvRmT1_PNSt15iterator_traitsISL_E10value_typeET2_T3_PNSM_ISR_E10value_typeET4_jRbjT5_SX_jjP12ihipStream_tbEUlT_E0_NS1_11comp_targetILNS1_3genE8ELNS1_11target_archE1030ELNS1_3gpuE2ELNS1_3repE0EEENS1_60segmented_radix_sort_warp_sort_medium_config_static_selectorELNS0_4arch9wavefront6targetE1EEEvSL_.private_seg_size, 0
	.set _ZN7rocprim17ROCPRIM_400000_NS6detail17trampoline_kernelINS0_14default_configENS1_36segmented_radix_sort_config_selectorI6__halflEEZNS1_25segmented_radix_sort_implIS3_Lb1EPKS5_PS5_PKlPlN2at6native12_GLOBAL__N_18offset_tEEE10hipError_tPvRmT1_PNSt15iterator_traitsISL_E10value_typeET2_T3_PNSM_ISR_E10value_typeET4_jRbjT5_SX_jjP12ihipStream_tbEUlT_E0_NS1_11comp_targetILNS1_3genE8ELNS1_11target_archE1030ELNS1_3gpuE2ELNS1_3repE0EEENS1_60segmented_radix_sort_warp_sort_medium_config_static_selectorELNS0_4arch9wavefront6targetE1EEEvSL_.uses_vcc, 0
	.set _ZN7rocprim17ROCPRIM_400000_NS6detail17trampoline_kernelINS0_14default_configENS1_36segmented_radix_sort_config_selectorI6__halflEEZNS1_25segmented_radix_sort_implIS3_Lb1EPKS5_PS5_PKlPlN2at6native12_GLOBAL__N_18offset_tEEE10hipError_tPvRmT1_PNSt15iterator_traitsISL_E10value_typeET2_T3_PNSM_ISR_E10value_typeET4_jRbjT5_SX_jjP12ihipStream_tbEUlT_E0_NS1_11comp_targetILNS1_3genE8ELNS1_11target_archE1030ELNS1_3gpuE2ELNS1_3repE0EEENS1_60segmented_radix_sort_warp_sort_medium_config_static_selectorELNS0_4arch9wavefront6targetE1EEEvSL_.uses_flat_scratch, 0
	.set _ZN7rocprim17ROCPRIM_400000_NS6detail17trampoline_kernelINS0_14default_configENS1_36segmented_radix_sort_config_selectorI6__halflEEZNS1_25segmented_radix_sort_implIS3_Lb1EPKS5_PS5_PKlPlN2at6native12_GLOBAL__N_18offset_tEEE10hipError_tPvRmT1_PNSt15iterator_traitsISL_E10value_typeET2_T3_PNSM_ISR_E10value_typeET4_jRbjT5_SX_jjP12ihipStream_tbEUlT_E0_NS1_11comp_targetILNS1_3genE8ELNS1_11target_archE1030ELNS1_3gpuE2ELNS1_3repE0EEENS1_60segmented_radix_sort_warp_sort_medium_config_static_selectorELNS0_4arch9wavefront6targetE1EEEvSL_.has_dyn_sized_stack, 0
	.set _ZN7rocprim17ROCPRIM_400000_NS6detail17trampoline_kernelINS0_14default_configENS1_36segmented_radix_sort_config_selectorI6__halflEEZNS1_25segmented_radix_sort_implIS3_Lb1EPKS5_PS5_PKlPlN2at6native12_GLOBAL__N_18offset_tEEE10hipError_tPvRmT1_PNSt15iterator_traitsISL_E10value_typeET2_T3_PNSM_ISR_E10value_typeET4_jRbjT5_SX_jjP12ihipStream_tbEUlT_E0_NS1_11comp_targetILNS1_3genE8ELNS1_11target_archE1030ELNS1_3gpuE2ELNS1_3repE0EEENS1_60segmented_radix_sort_warp_sort_medium_config_static_selectorELNS0_4arch9wavefront6targetE1EEEvSL_.has_recursion, 0
	.set _ZN7rocprim17ROCPRIM_400000_NS6detail17trampoline_kernelINS0_14default_configENS1_36segmented_radix_sort_config_selectorI6__halflEEZNS1_25segmented_radix_sort_implIS3_Lb1EPKS5_PS5_PKlPlN2at6native12_GLOBAL__N_18offset_tEEE10hipError_tPvRmT1_PNSt15iterator_traitsISL_E10value_typeET2_T3_PNSM_ISR_E10value_typeET4_jRbjT5_SX_jjP12ihipStream_tbEUlT_E0_NS1_11comp_targetILNS1_3genE8ELNS1_11target_archE1030ELNS1_3gpuE2ELNS1_3repE0EEENS1_60segmented_radix_sort_warp_sort_medium_config_static_selectorELNS0_4arch9wavefront6targetE1EEEvSL_.has_indirect_call, 0
	.section	.AMDGPU.csdata,"",@progbits
; Kernel info:
; codeLenInByte = 0
; TotalNumSgprs: 4
; NumVgprs: 0
; ScratchSize: 0
; MemoryBound: 0
; FloatMode: 240
; IeeeMode: 1
; LDSByteSize: 0 bytes/workgroup (compile time only)
; SGPRBlocks: 0
; VGPRBlocks: 0
; NumSGPRsForWavesPerEU: 4
; NumVGPRsForWavesPerEU: 1
; Occupancy: 10
; WaveLimiterHint : 0
; COMPUTE_PGM_RSRC2:SCRATCH_EN: 0
; COMPUTE_PGM_RSRC2:USER_SGPR: 6
; COMPUTE_PGM_RSRC2:TRAP_HANDLER: 0
; COMPUTE_PGM_RSRC2:TGID_X_EN: 1
; COMPUTE_PGM_RSRC2:TGID_Y_EN: 0
; COMPUTE_PGM_RSRC2:TGID_Z_EN: 0
; COMPUTE_PGM_RSRC2:TIDIG_COMP_CNT: 0
	.section	.text._ZN7rocprim17ROCPRIM_400000_NS6detail17trampoline_kernelINS0_14default_configENS1_36segmented_radix_sort_config_selectorI6__halflEEZNS1_25segmented_radix_sort_implIS3_Lb1EPKS5_PS5_PKlPlN2at6native12_GLOBAL__N_18offset_tEEE10hipError_tPvRmT1_PNSt15iterator_traitsISL_E10value_typeET2_T3_PNSM_ISR_E10value_typeET4_jRbjT5_SX_jjP12ihipStream_tbEUlT_E1_NS1_11comp_targetILNS1_3genE0ELNS1_11target_archE4294967295ELNS1_3gpuE0ELNS1_3repE0EEENS1_59segmented_radix_sort_warp_sort_small_config_static_selectorELNS0_4arch9wavefront6targetE1EEEvSL_,"axG",@progbits,_ZN7rocprim17ROCPRIM_400000_NS6detail17trampoline_kernelINS0_14default_configENS1_36segmented_radix_sort_config_selectorI6__halflEEZNS1_25segmented_radix_sort_implIS3_Lb1EPKS5_PS5_PKlPlN2at6native12_GLOBAL__N_18offset_tEEE10hipError_tPvRmT1_PNSt15iterator_traitsISL_E10value_typeET2_T3_PNSM_ISR_E10value_typeET4_jRbjT5_SX_jjP12ihipStream_tbEUlT_E1_NS1_11comp_targetILNS1_3genE0ELNS1_11target_archE4294967295ELNS1_3gpuE0ELNS1_3repE0EEENS1_59segmented_radix_sort_warp_sort_small_config_static_selectorELNS0_4arch9wavefront6targetE1EEEvSL_,comdat
	.globl	_ZN7rocprim17ROCPRIM_400000_NS6detail17trampoline_kernelINS0_14default_configENS1_36segmented_radix_sort_config_selectorI6__halflEEZNS1_25segmented_radix_sort_implIS3_Lb1EPKS5_PS5_PKlPlN2at6native12_GLOBAL__N_18offset_tEEE10hipError_tPvRmT1_PNSt15iterator_traitsISL_E10value_typeET2_T3_PNSM_ISR_E10value_typeET4_jRbjT5_SX_jjP12ihipStream_tbEUlT_E1_NS1_11comp_targetILNS1_3genE0ELNS1_11target_archE4294967295ELNS1_3gpuE0ELNS1_3repE0EEENS1_59segmented_radix_sort_warp_sort_small_config_static_selectorELNS0_4arch9wavefront6targetE1EEEvSL_ ; -- Begin function _ZN7rocprim17ROCPRIM_400000_NS6detail17trampoline_kernelINS0_14default_configENS1_36segmented_radix_sort_config_selectorI6__halflEEZNS1_25segmented_radix_sort_implIS3_Lb1EPKS5_PS5_PKlPlN2at6native12_GLOBAL__N_18offset_tEEE10hipError_tPvRmT1_PNSt15iterator_traitsISL_E10value_typeET2_T3_PNSM_ISR_E10value_typeET4_jRbjT5_SX_jjP12ihipStream_tbEUlT_E1_NS1_11comp_targetILNS1_3genE0ELNS1_11target_archE4294967295ELNS1_3gpuE0ELNS1_3repE0EEENS1_59segmented_radix_sort_warp_sort_small_config_static_selectorELNS0_4arch9wavefront6targetE1EEEvSL_
	.p2align	8
	.type	_ZN7rocprim17ROCPRIM_400000_NS6detail17trampoline_kernelINS0_14default_configENS1_36segmented_radix_sort_config_selectorI6__halflEEZNS1_25segmented_radix_sort_implIS3_Lb1EPKS5_PS5_PKlPlN2at6native12_GLOBAL__N_18offset_tEEE10hipError_tPvRmT1_PNSt15iterator_traitsISL_E10value_typeET2_T3_PNSM_ISR_E10value_typeET4_jRbjT5_SX_jjP12ihipStream_tbEUlT_E1_NS1_11comp_targetILNS1_3genE0ELNS1_11target_archE4294967295ELNS1_3gpuE0ELNS1_3repE0EEENS1_59segmented_radix_sort_warp_sort_small_config_static_selectorELNS0_4arch9wavefront6targetE1EEEvSL_,@function
_ZN7rocprim17ROCPRIM_400000_NS6detail17trampoline_kernelINS0_14default_configENS1_36segmented_radix_sort_config_selectorI6__halflEEZNS1_25segmented_radix_sort_implIS3_Lb1EPKS5_PS5_PKlPlN2at6native12_GLOBAL__N_18offset_tEEE10hipError_tPvRmT1_PNSt15iterator_traitsISL_E10value_typeET2_T3_PNSM_ISR_E10value_typeET4_jRbjT5_SX_jjP12ihipStream_tbEUlT_E1_NS1_11comp_targetILNS1_3genE0ELNS1_11target_archE4294967295ELNS1_3gpuE0ELNS1_3repE0EEENS1_59segmented_radix_sort_warp_sort_small_config_static_selectorELNS0_4arch9wavefront6targetE1EEEvSL_: ; @_ZN7rocprim17ROCPRIM_400000_NS6detail17trampoline_kernelINS0_14default_configENS1_36segmented_radix_sort_config_selectorI6__halflEEZNS1_25segmented_radix_sort_implIS3_Lb1EPKS5_PS5_PKlPlN2at6native12_GLOBAL__N_18offset_tEEE10hipError_tPvRmT1_PNSt15iterator_traitsISL_E10value_typeET2_T3_PNSM_ISR_E10value_typeET4_jRbjT5_SX_jjP12ihipStream_tbEUlT_E1_NS1_11comp_targetILNS1_3genE0ELNS1_11target_archE4294967295ELNS1_3gpuE0ELNS1_3repE0EEENS1_59segmented_radix_sort_warp_sort_small_config_static_selectorELNS0_4arch9wavefront6targetE1EEEvSL_
; %bb.0:
	.section	.rodata,"a",@progbits
	.p2align	6, 0x0
	.amdhsa_kernel _ZN7rocprim17ROCPRIM_400000_NS6detail17trampoline_kernelINS0_14default_configENS1_36segmented_radix_sort_config_selectorI6__halflEEZNS1_25segmented_radix_sort_implIS3_Lb1EPKS5_PS5_PKlPlN2at6native12_GLOBAL__N_18offset_tEEE10hipError_tPvRmT1_PNSt15iterator_traitsISL_E10value_typeET2_T3_PNSM_ISR_E10value_typeET4_jRbjT5_SX_jjP12ihipStream_tbEUlT_E1_NS1_11comp_targetILNS1_3genE0ELNS1_11target_archE4294967295ELNS1_3gpuE0ELNS1_3repE0EEENS1_59segmented_radix_sort_warp_sort_small_config_static_selectorELNS0_4arch9wavefront6targetE1EEEvSL_
		.amdhsa_group_segment_fixed_size 0
		.amdhsa_private_segment_fixed_size 0
		.amdhsa_kernarg_size 88
		.amdhsa_user_sgpr_count 6
		.amdhsa_user_sgpr_private_segment_buffer 1
		.amdhsa_user_sgpr_dispatch_ptr 0
		.amdhsa_user_sgpr_queue_ptr 0
		.amdhsa_user_sgpr_kernarg_segment_ptr 1
		.amdhsa_user_sgpr_dispatch_id 0
		.amdhsa_user_sgpr_flat_scratch_init 0
		.amdhsa_user_sgpr_private_segment_size 0
		.amdhsa_uses_dynamic_stack 0
		.amdhsa_system_sgpr_private_segment_wavefront_offset 0
		.amdhsa_system_sgpr_workgroup_id_x 1
		.amdhsa_system_sgpr_workgroup_id_y 0
		.amdhsa_system_sgpr_workgroup_id_z 0
		.amdhsa_system_sgpr_workgroup_info 0
		.amdhsa_system_vgpr_workitem_id 0
		.amdhsa_next_free_vgpr 1
		.amdhsa_next_free_sgpr 0
		.amdhsa_reserve_vcc 0
		.amdhsa_reserve_flat_scratch 0
		.amdhsa_float_round_mode_32 0
		.amdhsa_float_round_mode_16_64 0
		.amdhsa_float_denorm_mode_32 3
		.amdhsa_float_denorm_mode_16_64 3
		.amdhsa_dx10_clamp 1
		.amdhsa_ieee_mode 1
		.amdhsa_fp16_overflow 0
		.amdhsa_exception_fp_ieee_invalid_op 0
		.amdhsa_exception_fp_denorm_src 0
		.amdhsa_exception_fp_ieee_div_zero 0
		.amdhsa_exception_fp_ieee_overflow 0
		.amdhsa_exception_fp_ieee_underflow 0
		.amdhsa_exception_fp_ieee_inexact 0
		.amdhsa_exception_int_div_zero 0
	.end_amdhsa_kernel
	.section	.text._ZN7rocprim17ROCPRIM_400000_NS6detail17trampoline_kernelINS0_14default_configENS1_36segmented_radix_sort_config_selectorI6__halflEEZNS1_25segmented_radix_sort_implIS3_Lb1EPKS5_PS5_PKlPlN2at6native12_GLOBAL__N_18offset_tEEE10hipError_tPvRmT1_PNSt15iterator_traitsISL_E10value_typeET2_T3_PNSM_ISR_E10value_typeET4_jRbjT5_SX_jjP12ihipStream_tbEUlT_E1_NS1_11comp_targetILNS1_3genE0ELNS1_11target_archE4294967295ELNS1_3gpuE0ELNS1_3repE0EEENS1_59segmented_radix_sort_warp_sort_small_config_static_selectorELNS0_4arch9wavefront6targetE1EEEvSL_,"axG",@progbits,_ZN7rocprim17ROCPRIM_400000_NS6detail17trampoline_kernelINS0_14default_configENS1_36segmented_radix_sort_config_selectorI6__halflEEZNS1_25segmented_radix_sort_implIS3_Lb1EPKS5_PS5_PKlPlN2at6native12_GLOBAL__N_18offset_tEEE10hipError_tPvRmT1_PNSt15iterator_traitsISL_E10value_typeET2_T3_PNSM_ISR_E10value_typeET4_jRbjT5_SX_jjP12ihipStream_tbEUlT_E1_NS1_11comp_targetILNS1_3genE0ELNS1_11target_archE4294967295ELNS1_3gpuE0ELNS1_3repE0EEENS1_59segmented_radix_sort_warp_sort_small_config_static_selectorELNS0_4arch9wavefront6targetE1EEEvSL_,comdat
.Lfunc_end1759:
	.size	_ZN7rocprim17ROCPRIM_400000_NS6detail17trampoline_kernelINS0_14default_configENS1_36segmented_radix_sort_config_selectorI6__halflEEZNS1_25segmented_radix_sort_implIS3_Lb1EPKS5_PS5_PKlPlN2at6native12_GLOBAL__N_18offset_tEEE10hipError_tPvRmT1_PNSt15iterator_traitsISL_E10value_typeET2_T3_PNSM_ISR_E10value_typeET4_jRbjT5_SX_jjP12ihipStream_tbEUlT_E1_NS1_11comp_targetILNS1_3genE0ELNS1_11target_archE4294967295ELNS1_3gpuE0ELNS1_3repE0EEENS1_59segmented_radix_sort_warp_sort_small_config_static_selectorELNS0_4arch9wavefront6targetE1EEEvSL_, .Lfunc_end1759-_ZN7rocprim17ROCPRIM_400000_NS6detail17trampoline_kernelINS0_14default_configENS1_36segmented_radix_sort_config_selectorI6__halflEEZNS1_25segmented_radix_sort_implIS3_Lb1EPKS5_PS5_PKlPlN2at6native12_GLOBAL__N_18offset_tEEE10hipError_tPvRmT1_PNSt15iterator_traitsISL_E10value_typeET2_T3_PNSM_ISR_E10value_typeET4_jRbjT5_SX_jjP12ihipStream_tbEUlT_E1_NS1_11comp_targetILNS1_3genE0ELNS1_11target_archE4294967295ELNS1_3gpuE0ELNS1_3repE0EEENS1_59segmented_radix_sort_warp_sort_small_config_static_selectorELNS0_4arch9wavefront6targetE1EEEvSL_
                                        ; -- End function
	.set _ZN7rocprim17ROCPRIM_400000_NS6detail17trampoline_kernelINS0_14default_configENS1_36segmented_radix_sort_config_selectorI6__halflEEZNS1_25segmented_radix_sort_implIS3_Lb1EPKS5_PS5_PKlPlN2at6native12_GLOBAL__N_18offset_tEEE10hipError_tPvRmT1_PNSt15iterator_traitsISL_E10value_typeET2_T3_PNSM_ISR_E10value_typeET4_jRbjT5_SX_jjP12ihipStream_tbEUlT_E1_NS1_11comp_targetILNS1_3genE0ELNS1_11target_archE4294967295ELNS1_3gpuE0ELNS1_3repE0EEENS1_59segmented_radix_sort_warp_sort_small_config_static_selectorELNS0_4arch9wavefront6targetE1EEEvSL_.num_vgpr, 0
	.set _ZN7rocprim17ROCPRIM_400000_NS6detail17trampoline_kernelINS0_14default_configENS1_36segmented_radix_sort_config_selectorI6__halflEEZNS1_25segmented_radix_sort_implIS3_Lb1EPKS5_PS5_PKlPlN2at6native12_GLOBAL__N_18offset_tEEE10hipError_tPvRmT1_PNSt15iterator_traitsISL_E10value_typeET2_T3_PNSM_ISR_E10value_typeET4_jRbjT5_SX_jjP12ihipStream_tbEUlT_E1_NS1_11comp_targetILNS1_3genE0ELNS1_11target_archE4294967295ELNS1_3gpuE0ELNS1_3repE0EEENS1_59segmented_radix_sort_warp_sort_small_config_static_selectorELNS0_4arch9wavefront6targetE1EEEvSL_.num_agpr, 0
	.set _ZN7rocprim17ROCPRIM_400000_NS6detail17trampoline_kernelINS0_14default_configENS1_36segmented_radix_sort_config_selectorI6__halflEEZNS1_25segmented_radix_sort_implIS3_Lb1EPKS5_PS5_PKlPlN2at6native12_GLOBAL__N_18offset_tEEE10hipError_tPvRmT1_PNSt15iterator_traitsISL_E10value_typeET2_T3_PNSM_ISR_E10value_typeET4_jRbjT5_SX_jjP12ihipStream_tbEUlT_E1_NS1_11comp_targetILNS1_3genE0ELNS1_11target_archE4294967295ELNS1_3gpuE0ELNS1_3repE0EEENS1_59segmented_radix_sort_warp_sort_small_config_static_selectorELNS0_4arch9wavefront6targetE1EEEvSL_.numbered_sgpr, 0
	.set _ZN7rocprim17ROCPRIM_400000_NS6detail17trampoline_kernelINS0_14default_configENS1_36segmented_radix_sort_config_selectorI6__halflEEZNS1_25segmented_radix_sort_implIS3_Lb1EPKS5_PS5_PKlPlN2at6native12_GLOBAL__N_18offset_tEEE10hipError_tPvRmT1_PNSt15iterator_traitsISL_E10value_typeET2_T3_PNSM_ISR_E10value_typeET4_jRbjT5_SX_jjP12ihipStream_tbEUlT_E1_NS1_11comp_targetILNS1_3genE0ELNS1_11target_archE4294967295ELNS1_3gpuE0ELNS1_3repE0EEENS1_59segmented_radix_sort_warp_sort_small_config_static_selectorELNS0_4arch9wavefront6targetE1EEEvSL_.num_named_barrier, 0
	.set _ZN7rocprim17ROCPRIM_400000_NS6detail17trampoline_kernelINS0_14default_configENS1_36segmented_radix_sort_config_selectorI6__halflEEZNS1_25segmented_radix_sort_implIS3_Lb1EPKS5_PS5_PKlPlN2at6native12_GLOBAL__N_18offset_tEEE10hipError_tPvRmT1_PNSt15iterator_traitsISL_E10value_typeET2_T3_PNSM_ISR_E10value_typeET4_jRbjT5_SX_jjP12ihipStream_tbEUlT_E1_NS1_11comp_targetILNS1_3genE0ELNS1_11target_archE4294967295ELNS1_3gpuE0ELNS1_3repE0EEENS1_59segmented_radix_sort_warp_sort_small_config_static_selectorELNS0_4arch9wavefront6targetE1EEEvSL_.private_seg_size, 0
	.set _ZN7rocprim17ROCPRIM_400000_NS6detail17trampoline_kernelINS0_14default_configENS1_36segmented_radix_sort_config_selectorI6__halflEEZNS1_25segmented_radix_sort_implIS3_Lb1EPKS5_PS5_PKlPlN2at6native12_GLOBAL__N_18offset_tEEE10hipError_tPvRmT1_PNSt15iterator_traitsISL_E10value_typeET2_T3_PNSM_ISR_E10value_typeET4_jRbjT5_SX_jjP12ihipStream_tbEUlT_E1_NS1_11comp_targetILNS1_3genE0ELNS1_11target_archE4294967295ELNS1_3gpuE0ELNS1_3repE0EEENS1_59segmented_radix_sort_warp_sort_small_config_static_selectorELNS0_4arch9wavefront6targetE1EEEvSL_.uses_vcc, 0
	.set _ZN7rocprim17ROCPRIM_400000_NS6detail17trampoline_kernelINS0_14default_configENS1_36segmented_radix_sort_config_selectorI6__halflEEZNS1_25segmented_radix_sort_implIS3_Lb1EPKS5_PS5_PKlPlN2at6native12_GLOBAL__N_18offset_tEEE10hipError_tPvRmT1_PNSt15iterator_traitsISL_E10value_typeET2_T3_PNSM_ISR_E10value_typeET4_jRbjT5_SX_jjP12ihipStream_tbEUlT_E1_NS1_11comp_targetILNS1_3genE0ELNS1_11target_archE4294967295ELNS1_3gpuE0ELNS1_3repE0EEENS1_59segmented_radix_sort_warp_sort_small_config_static_selectorELNS0_4arch9wavefront6targetE1EEEvSL_.uses_flat_scratch, 0
	.set _ZN7rocprim17ROCPRIM_400000_NS6detail17trampoline_kernelINS0_14default_configENS1_36segmented_radix_sort_config_selectorI6__halflEEZNS1_25segmented_radix_sort_implIS3_Lb1EPKS5_PS5_PKlPlN2at6native12_GLOBAL__N_18offset_tEEE10hipError_tPvRmT1_PNSt15iterator_traitsISL_E10value_typeET2_T3_PNSM_ISR_E10value_typeET4_jRbjT5_SX_jjP12ihipStream_tbEUlT_E1_NS1_11comp_targetILNS1_3genE0ELNS1_11target_archE4294967295ELNS1_3gpuE0ELNS1_3repE0EEENS1_59segmented_radix_sort_warp_sort_small_config_static_selectorELNS0_4arch9wavefront6targetE1EEEvSL_.has_dyn_sized_stack, 0
	.set _ZN7rocprim17ROCPRIM_400000_NS6detail17trampoline_kernelINS0_14default_configENS1_36segmented_radix_sort_config_selectorI6__halflEEZNS1_25segmented_radix_sort_implIS3_Lb1EPKS5_PS5_PKlPlN2at6native12_GLOBAL__N_18offset_tEEE10hipError_tPvRmT1_PNSt15iterator_traitsISL_E10value_typeET2_T3_PNSM_ISR_E10value_typeET4_jRbjT5_SX_jjP12ihipStream_tbEUlT_E1_NS1_11comp_targetILNS1_3genE0ELNS1_11target_archE4294967295ELNS1_3gpuE0ELNS1_3repE0EEENS1_59segmented_radix_sort_warp_sort_small_config_static_selectorELNS0_4arch9wavefront6targetE1EEEvSL_.has_recursion, 0
	.set _ZN7rocprim17ROCPRIM_400000_NS6detail17trampoline_kernelINS0_14default_configENS1_36segmented_radix_sort_config_selectorI6__halflEEZNS1_25segmented_radix_sort_implIS3_Lb1EPKS5_PS5_PKlPlN2at6native12_GLOBAL__N_18offset_tEEE10hipError_tPvRmT1_PNSt15iterator_traitsISL_E10value_typeET2_T3_PNSM_ISR_E10value_typeET4_jRbjT5_SX_jjP12ihipStream_tbEUlT_E1_NS1_11comp_targetILNS1_3genE0ELNS1_11target_archE4294967295ELNS1_3gpuE0ELNS1_3repE0EEENS1_59segmented_radix_sort_warp_sort_small_config_static_selectorELNS0_4arch9wavefront6targetE1EEEvSL_.has_indirect_call, 0
	.section	.AMDGPU.csdata,"",@progbits
; Kernel info:
; codeLenInByte = 0
; TotalNumSgprs: 4
; NumVgprs: 0
; ScratchSize: 0
; MemoryBound: 0
; FloatMode: 240
; IeeeMode: 1
; LDSByteSize: 0 bytes/workgroup (compile time only)
; SGPRBlocks: 0
; VGPRBlocks: 0
; NumSGPRsForWavesPerEU: 4
; NumVGPRsForWavesPerEU: 1
; Occupancy: 10
; WaveLimiterHint : 0
; COMPUTE_PGM_RSRC2:SCRATCH_EN: 0
; COMPUTE_PGM_RSRC2:USER_SGPR: 6
; COMPUTE_PGM_RSRC2:TRAP_HANDLER: 0
; COMPUTE_PGM_RSRC2:TGID_X_EN: 1
; COMPUTE_PGM_RSRC2:TGID_Y_EN: 0
; COMPUTE_PGM_RSRC2:TGID_Z_EN: 0
; COMPUTE_PGM_RSRC2:TIDIG_COMP_CNT: 0
	.section	.text._ZN7rocprim17ROCPRIM_400000_NS6detail17trampoline_kernelINS0_14default_configENS1_36segmented_radix_sort_config_selectorI6__halflEEZNS1_25segmented_radix_sort_implIS3_Lb1EPKS5_PS5_PKlPlN2at6native12_GLOBAL__N_18offset_tEEE10hipError_tPvRmT1_PNSt15iterator_traitsISL_E10value_typeET2_T3_PNSM_ISR_E10value_typeET4_jRbjT5_SX_jjP12ihipStream_tbEUlT_E1_NS1_11comp_targetILNS1_3genE5ELNS1_11target_archE942ELNS1_3gpuE9ELNS1_3repE0EEENS1_59segmented_radix_sort_warp_sort_small_config_static_selectorELNS0_4arch9wavefront6targetE1EEEvSL_,"axG",@progbits,_ZN7rocprim17ROCPRIM_400000_NS6detail17trampoline_kernelINS0_14default_configENS1_36segmented_radix_sort_config_selectorI6__halflEEZNS1_25segmented_radix_sort_implIS3_Lb1EPKS5_PS5_PKlPlN2at6native12_GLOBAL__N_18offset_tEEE10hipError_tPvRmT1_PNSt15iterator_traitsISL_E10value_typeET2_T3_PNSM_ISR_E10value_typeET4_jRbjT5_SX_jjP12ihipStream_tbEUlT_E1_NS1_11comp_targetILNS1_3genE5ELNS1_11target_archE942ELNS1_3gpuE9ELNS1_3repE0EEENS1_59segmented_radix_sort_warp_sort_small_config_static_selectorELNS0_4arch9wavefront6targetE1EEEvSL_,comdat
	.globl	_ZN7rocprim17ROCPRIM_400000_NS6detail17trampoline_kernelINS0_14default_configENS1_36segmented_radix_sort_config_selectorI6__halflEEZNS1_25segmented_radix_sort_implIS3_Lb1EPKS5_PS5_PKlPlN2at6native12_GLOBAL__N_18offset_tEEE10hipError_tPvRmT1_PNSt15iterator_traitsISL_E10value_typeET2_T3_PNSM_ISR_E10value_typeET4_jRbjT5_SX_jjP12ihipStream_tbEUlT_E1_NS1_11comp_targetILNS1_3genE5ELNS1_11target_archE942ELNS1_3gpuE9ELNS1_3repE0EEENS1_59segmented_radix_sort_warp_sort_small_config_static_selectorELNS0_4arch9wavefront6targetE1EEEvSL_ ; -- Begin function _ZN7rocprim17ROCPRIM_400000_NS6detail17trampoline_kernelINS0_14default_configENS1_36segmented_radix_sort_config_selectorI6__halflEEZNS1_25segmented_radix_sort_implIS3_Lb1EPKS5_PS5_PKlPlN2at6native12_GLOBAL__N_18offset_tEEE10hipError_tPvRmT1_PNSt15iterator_traitsISL_E10value_typeET2_T3_PNSM_ISR_E10value_typeET4_jRbjT5_SX_jjP12ihipStream_tbEUlT_E1_NS1_11comp_targetILNS1_3genE5ELNS1_11target_archE942ELNS1_3gpuE9ELNS1_3repE0EEENS1_59segmented_radix_sort_warp_sort_small_config_static_selectorELNS0_4arch9wavefront6targetE1EEEvSL_
	.p2align	8
	.type	_ZN7rocprim17ROCPRIM_400000_NS6detail17trampoline_kernelINS0_14default_configENS1_36segmented_radix_sort_config_selectorI6__halflEEZNS1_25segmented_radix_sort_implIS3_Lb1EPKS5_PS5_PKlPlN2at6native12_GLOBAL__N_18offset_tEEE10hipError_tPvRmT1_PNSt15iterator_traitsISL_E10value_typeET2_T3_PNSM_ISR_E10value_typeET4_jRbjT5_SX_jjP12ihipStream_tbEUlT_E1_NS1_11comp_targetILNS1_3genE5ELNS1_11target_archE942ELNS1_3gpuE9ELNS1_3repE0EEENS1_59segmented_radix_sort_warp_sort_small_config_static_selectorELNS0_4arch9wavefront6targetE1EEEvSL_,@function
_ZN7rocprim17ROCPRIM_400000_NS6detail17trampoline_kernelINS0_14default_configENS1_36segmented_radix_sort_config_selectorI6__halflEEZNS1_25segmented_radix_sort_implIS3_Lb1EPKS5_PS5_PKlPlN2at6native12_GLOBAL__N_18offset_tEEE10hipError_tPvRmT1_PNSt15iterator_traitsISL_E10value_typeET2_T3_PNSM_ISR_E10value_typeET4_jRbjT5_SX_jjP12ihipStream_tbEUlT_E1_NS1_11comp_targetILNS1_3genE5ELNS1_11target_archE942ELNS1_3gpuE9ELNS1_3repE0EEENS1_59segmented_radix_sort_warp_sort_small_config_static_selectorELNS0_4arch9wavefront6targetE1EEEvSL_: ; @_ZN7rocprim17ROCPRIM_400000_NS6detail17trampoline_kernelINS0_14default_configENS1_36segmented_radix_sort_config_selectorI6__halflEEZNS1_25segmented_radix_sort_implIS3_Lb1EPKS5_PS5_PKlPlN2at6native12_GLOBAL__N_18offset_tEEE10hipError_tPvRmT1_PNSt15iterator_traitsISL_E10value_typeET2_T3_PNSM_ISR_E10value_typeET4_jRbjT5_SX_jjP12ihipStream_tbEUlT_E1_NS1_11comp_targetILNS1_3genE5ELNS1_11target_archE942ELNS1_3gpuE9ELNS1_3repE0EEENS1_59segmented_radix_sort_warp_sort_small_config_static_selectorELNS0_4arch9wavefront6targetE1EEEvSL_
; %bb.0:
	.section	.rodata,"a",@progbits
	.p2align	6, 0x0
	.amdhsa_kernel _ZN7rocprim17ROCPRIM_400000_NS6detail17trampoline_kernelINS0_14default_configENS1_36segmented_radix_sort_config_selectorI6__halflEEZNS1_25segmented_radix_sort_implIS3_Lb1EPKS5_PS5_PKlPlN2at6native12_GLOBAL__N_18offset_tEEE10hipError_tPvRmT1_PNSt15iterator_traitsISL_E10value_typeET2_T3_PNSM_ISR_E10value_typeET4_jRbjT5_SX_jjP12ihipStream_tbEUlT_E1_NS1_11comp_targetILNS1_3genE5ELNS1_11target_archE942ELNS1_3gpuE9ELNS1_3repE0EEENS1_59segmented_radix_sort_warp_sort_small_config_static_selectorELNS0_4arch9wavefront6targetE1EEEvSL_
		.amdhsa_group_segment_fixed_size 0
		.amdhsa_private_segment_fixed_size 0
		.amdhsa_kernarg_size 88
		.amdhsa_user_sgpr_count 6
		.amdhsa_user_sgpr_private_segment_buffer 1
		.amdhsa_user_sgpr_dispatch_ptr 0
		.amdhsa_user_sgpr_queue_ptr 0
		.amdhsa_user_sgpr_kernarg_segment_ptr 1
		.amdhsa_user_sgpr_dispatch_id 0
		.amdhsa_user_sgpr_flat_scratch_init 0
		.amdhsa_user_sgpr_private_segment_size 0
		.amdhsa_uses_dynamic_stack 0
		.amdhsa_system_sgpr_private_segment_wavefront_offset 0
		.amdhsa_system_sgpr_workgroup_id_x 1
		.amdhsa_system_sgpr_workgroup_id_y 0
		.amdhsa_system_sgpr_workgroup_id_z 0
		.amdhsa_system_sgpr_workgroup_info 0
		.amdhsa_system_vgpr_workitem_id 0
		.amdhsa_next_free_vgpr 1
		.amdhsa_next_free_sgpr 0
		.amdhsa_reserve_vcc 0
		.amdhsa_reserve_flat_scratch 0
		.amdhsa_float_round_mode_32 0
		.amdhsa_float_round_mode_16_64 0
		.amdhsa_float_denorm_mode_32 3
		.amdhsa_float_denorm_mode_16_64 3
		.amdhsa_dx10_clamp 1
		.amdhsa_ieee_mode 1
		.amdhsa_fp16_overflow 0
		.amdhsa_exception_fp_ieee_invalid_op 0
		.amdhsa_exception_fp_denorm_src 0
		.amdhsa_exception_fp_ieee_div_zero 0
		.amdhsa_exception_fp_ieee_overflow 0
		.amdhsa_exception_fp_ieee_underflow 0
		.amdhsa_exception_fp_ieee_inexact 0
		.amdhsa_exception_int_div_zero 0
	.end_amdhsa_kernel
	.section	.text._ZN7rocprim17ROCPRIM_400000_NS6detail17trampoline_kernelINS0_14default_configENS1_36segmented_radix_sort_config_selectorI6__halflEEZNS1_25segmented_radix_sort_implIS3_Lb1EPKS5_PS5_PKlPlN2at6native12_GLOBAL__N_18offset_tEEE10hipError_tPvRmT1_PNSt15iterator_traitsISL_E10value_typeET2_T3_PNSM_ISR_E10value_typeET4_jRbjT5_SX_jjP12ihipStream_tbEUlT_E1_NS1_11comp_targetILNS1_3genE5ELNS1_11target_archE942ELNS1_3gpuE9ELNS1_3repE0EEENS1_59segmented_radix_sort_warp_sort_small_config_static_selectorELNS0_4arch9wavefront6targetE1EEEvSL_,"axG",@progbits,_ZN7rocprim17ROCPRIM_400000_NS6detail17trampoline_kernelINS0_14default_configENS1_36segmented_radix_sort_config_selectorI6__halflEEZNS1_25segmented_radix_sort_implIS3_Lb1EPKS5_PS5_PKlPlN2at6native12_GLOBAL__N_18offset_tEEE10hipError_tPvRmT1_PNSt15iterator_traitsISL_E10value_typeET2_T3_PNSM_ISR_E10value_typeET4_jRbjT5_SX_jjP12ihipStream_tbEUlT_E1_NS1_11comp_targetILNS1_3genE5ELNS1_11target_archE942ELNS1_3gpuE9ELNS1_3repE0EEENS1_59segmented_radix_sort_warp_sort_small_config_static_selectorELNS0_4arch9wavefront6targetE1EEEvSL_,comdat
.Lfunc_end1760:
	.size	_ZN7rocprim17ROCPRIM_400000_NS6detail17trampoline_kernelINS0_14default_configENS1_36segmented_radix_sort_config_selectorI6__halflEEZNS1_25segmented_radix_sort_implIS3_Lb1EPKS5_PS5_PKlPlN2at6native12_GLOBAL__N_18offset_tEEE10hipError_tPvRmT1_PNSt15iterator_traitsISL_E10value_typeET2_T3_PNSM_ISR_E10value_typeET4_jRbjT5_SX_jjP12ihipStream_tbEUlT_E1_NS1_11comp_targetILNS1_3genE5ELNS1_11target_archE942ELNS1_3gpuE9ELNS1_3repE0EEENS1_59segmented_radix_sort_warp_sort_small_config_static_selectorELNS0_4arch9wavefront6targetE1EEEvSL_, .Lfunc_end1760-_ZN7rocprim17ROCPRIM_400000_NS6detail17trampoline_kernelINS0_14default_configENS1_36segmented_radix_sort_config_selectorI6__halflEEZNS1_25segmented_radix_sort_implIS3_Lb1EPKS5_PS5_PKlPlN2at6native12_GLOBAL__N_18offset_tEEE10hipError_tPvRmT1_PNSt15iterator_traitsISL_E10value_typeET2_T3_PNSM_ISR_E10value_typeET4_jRbjT5_SX_jjP12ihipStream_tbEUlT_E1_NS1_11comp_targetILNS1_3genE5ELNS1_11target_archE942ELNS1_3gpuE9ELNS1_3repE0EEENS1_59segmented_radix_sort_warp_sort_small_config_static_selectorELNS0_4arch9wavefront6targetE1EEEvSL_
                                        ; -- End function
	.set _ZN7rocprim17ROCPRIM_400000_NS6detail17trampoline_kernelINS0_14default_configENS1_36segmented_radix_sort_config_selectorI6__halflEEZNS1_25segmented_radix_sort_implIS3_Lb1EPKS5_PS5_PKlPlN2at6native12_GLOBAL__N_18offset_tEEE10hipError_tPvRmT1_PNSt15iterator_traitsISL_E10value_typeET2_T3_PNSM_ISR_E10value_typeET4_jRbjT5_SX_jjP12ihipStream_tbEUlT_E1_NS1_11comp_targetILNS1_3genE5ELNS1_11target_archE942ELNS1_3gpuE9ELNS1_3repE0EEENS1_59segmented_radix_sort_warp_sort_small_config_static_selectorELNS0_4arch9wavefront6targetE1EEEvSL_.num_vgpr, 0
	.set _ZN7rocprim17ROCPRIM_400000_NS6detail17trampoline_kernelINS0_14default_configENS1_36segmented_radix_sort_config_selectorI6__halflEEZNS1_25segmented_radix_sort_implIS3_Lb1EPKS5_PS5_PKlPlN2at6native12_GLOBAL__N_18offset_tEEE10hipError_tPvRmT1_PNSt15iterator_traitsISL_E10value_typeET2_T3_PNSM_ISR_E10value_typeET4_jRbjT5_SX_jjP12ihipStream_tbEUlT_E1_NS1_11comp_targetILNS1_3genE5ELNS1_11target_archE942ELNS1_3gpuE9ELNS1_3repE0EEENS1_59segmented_radix_sort_warp_sort_small_config_static_selectorELNS0_4arch9wavefront6targetE1EEEvSL_.num_agpr, 0
	.set _ZN7rocprim17ROCPRIM_400000_NS6detail17trampoline_kernelINS0_14default_configENS1_36segmented_radix_sort_config_selectorI6__halflEEZNS1_25segmented_radix_sort_implIS3_Lb1EPKS5_PS5_PKlPlN2at6native12_GLOBAL__N_18offset_tEEE10hipError_tPvRmT1_PNSt15iterator_traitsISL_E10value_typeET2_T3_PNSM_ISR_E10value_typeET4_jRbjT5_SX_jjP12ihipStream_tbEUlT_E1_NS1_11comp_targetILNS1_3genE5ELNS1_11target_archE942ELNS1_3gpuE9ELNS1_3repE0EEENS1_59segmented_radix_sort_warp_sort_small_config_static_selectorELNS0_4arch9wavefront6targetE1EEEvSL_.numbered_sgpr, 0
	.set _ZN7rocprim17ROCPRIM_400000_NS6detail17trampoline_kernelINS0_14default_configENS1_36segmented_radix_sort_config_selectorI6__halflEEZNS1_25segmented_radix_sort_implIS3_Lb1EPKS5_PS5_PKlPlN2at6native12_GLOBAL__N_18offset_tEEE10hipError_tPvRmT1_PNSt15iterator_traitsISL_E10value_typeET2_T3_PNSM_ISR_E10value_typeET4_jRbjT5_SX_jjP12ihipStream_tbEUlT_E1_NS1_11comp_targetILNS1_3genE5ELNS1_11target_archE942ELNS1_3gpuE9ELNS1_3repE0EEENS1_59segmented_radix_sort_warp_sort_small_config_static_selectorELNS0_4arch9wavefront6targetE1EEEvSL_.num_named_barrier, 0
	.set _ZN7rocprim17ROCPRIM_400000_NS6detail17trampoline_kernelINS0_14default_configENS1_36segmented_radix_sort_config_selectorI6__halflEEZNS1_25segmented_radix_sort_implIS3_Lb1EPKS5_PS5_PKlPlN2at6native12_GLOBAL__N_18offset_tEEE10hipError_tPvRmT1_PNSt15iterator_traitsISL_E10value_typeET2_T3_PNSM_ISR_E10value_typeET4_jRbjT5_SX_jjP12ihipStream_tbEUlT_E1_NS1_11comp_targetILNS1_3genE5ELNS1_11target_archE942ELNS1_3gpuE9ELNS1_3repE0EEENS1_59segmented_radix_sort_warp_sort_small_config_static_selectorELNS0_4arch9wavefront6targetE1EEEvSL_.private_seg_size, 0
	.set _ZN7rocprim17ROCPRIM_400000_NS6detail17trampoline_kernelINS0_14default_configENS1_36segmented_radix_sort_config_selectorI6__halflEEZNS1_25segmented_radix_sort_implIS3_Lb1EPKS5_PS5_PKlPlN2at6native12_GLOBAL__N_18offset_tEEE10hipError_tPvRmT1_PNSt15iterator_traitsISL_E10value_typeET2_T3_PNSM_ISR_E10value_typeET4_jRbjT5_SX_jjP12ihipStream_tbEUlT_E1_NS1_11comp_targetILNS1_3genE5ELNS1_11target_archE942ELNS1_3gpuE9ELNS1_3repE0EEENS1_59segmented_radix_sort_warp_sort_small_config_static_selectorELNS0_4arch9wavefront6targetE1EEEvSL_.uses_vcc, 0
	.set _ZN7rocprim17ROCPRIM_400000_NS6detail17trampoline_kernelINS0_14default_configENS1_36segmented_radix_sort_config_selectorI6__halflEEZNS1_25segmented_radix_sort_implIS3_Lb1EPKS5_PS5_PKlPlN2at6native12_GLOBAL__N_18offset_tEEE10hipError_tPvRmT1_PNSt15iterator_traitsISL_E10value_typeET2_T3_PNSM_ISR_E10value_typeET4_jRbjT5_SX_jjP12ihipStream_tbEUlT_E1_NS1_11comp_targetILNS1_3genE5ELNS1_11target_archE942ELNS1_3gpuE9ELNS1_3repE0EEENS1_59segmented_radix_sort_warp_sort_small_config_static_selectorELNS0_4arch9wavefront6targetE1EEEvSL_.uses_flat_scratch, 0
	.set _ZN7rocprim17ROCPRIM_400000_NS6detail17trampoline_kernelINS0_14default_configENS1_36segmented_radix_sort_config_selectorI6__halflEEZNS1_25segmented_radix_sort_implIS3_Lb1EPKS5_PS5_PKlPlN2at6native12_GLOBAL__N_18offset_tEEE10hipError_tPvRmT1_PNSt15iterator_traitsISL_E10value_typeET2_T3_PNSM_ISR_E10value_typeET4_jRbjT5_SX_jjP12ihipStream_tbEUlT_E1_NS1_11comp_targetILNS1_3genE5ELNS1_11target_archE942ELNS1_3gpuE9ELNS1_3repE0EEENS1_59segmented_radix_sort_warp_sort_small_config_static_selectorELNS0_4arch9wavefront6targetE1EEEvSL_.has_dyn_sized_stack, 0
	.set _ZN7rocprim17ROCPRIM_400000_NS6detail17trampoline_kernelINS0_14default_configENS1_36segmented_radix_sort_config_selectorI6__halflEEZNS1_25segmented_radix_sort_implIS3_Lb1EPKS5_PS5_PKlPlN2at6native12_GLOBAL__N_18offset_tEEE10hipError_tPvRmT1_PNSt15iterator_traitsISL_E10value_typeET2_T3_PNSM_ISR_E10value_typeET4_jRbjT5_SX_jjP12ihipStream_tbEUlT_E1_NS1_11comp_targetILNS1_3genE5ELNS1_11target_archE942ELNS1_3gpuE9ELNS1_3repE0EEENS1_59segmented_radix_sort_warp_sort_small_config_static_selectorELNS0_4arch9wavefront6targetE1EEEvSL_.has_recursion, 0
	.set _ZN7rocprim17ROCPRIM_400000_NS6detail17trampoline_kernelINS0_14default_configENS1_36segmented_radix_sort_config_selectorI6__halflEEZNS1_25segmented_radix_sort_implIS3_Lb1EPKS5_PS5_PKlPlN2at6native12_GLOBAL__N_18offset_tEEE10hipError_tPvRmT1_PNSt15iterator_traitsISL_E10value_typeET2_T3_PNSM_ISR_E10value_typeET4_jRbjT5_SX_jjP12ihipStream_tbEUlT_E1_NS1_11comp_targetILNS1_3genE5ELNS1_11target_archE942ELNS1_3gpuE9ELNS1_3repE0EEENS1_59segmented_radix_sort_warp_sort_small_config_static_selectorELNS0_4arch9wavefront6targetE1EEEvSL_.has_indirect_call, 0
	.section	.AMDGPU.csdata,"",@progbits
; Kernel info:
; codeLenInByte = 0
; TotalNumSgprs: 4
; NumVgprs: 0
; ScratchSize: 0
; MemoryBound: 0
; FloatMode: 240
; IeeeMode: 1
; LDSByteSize: 0 bytes/workgroup (compile time only)
; SGPRBlocks: 0
; VGPRBlocks: 0
; NumSGPRsForWavesPerEU: 4
; NumVGPRsForWavesPerEU: 1
; Occupancy: 10
; WaveLimiterHint : 0
; COMPUTE_PGM_RSRC2:SCRATCH_EN: 0
; COMPUTE_PGM_RSRC2:USER_SGPR: 6
; COMPUTE_PGM_RSRC2:TRAP_HANDLER: 0
; COMPUTE_PGM_RSRC2:TGID_X_EN: 1
; COMPUTE_PGM_RSRC2:TGID_Y_EN: 0
; COMPUTE_PGM_RSRC2:TGID_Z_EN: 0
; COMPUTE_PGM_RSRC2:TIDIG_COMP_CNT: 0
	.section	.text._ZN7rocprim17ROCPRIM_400000_NS6detail17trampoline_kernelINS0_14default_configENS1_36segmented_radix_sort_config_selectorI6__halflEEZNS1_25segmented_radix_sort_implIS3_Lb1EPKS5_PS5_PKlPlN2at6native12_GLOBAL__N_18offset_tEEE10hipError_tPvRmT1_PNSt15iterator_traitsISL_E10value_typeET2_T3_PNSM_ISR_E10value_typeET4_jRbjT5_SX_jjP12ihipStream_tbEUlT_E1_NS1_11comp_targetILNS1_3genE4ELNS1_11target_archE910ELNS1_3gpuE8ELNS1_3repE0EEENS1_59segmented_radix_sort_warp_sort_small_config_static_selectorELNS0_4arch9wavefront6targetE1EEEvSL_,"axG",@progbits,_ZN7rocprim17ROCPRIM_400000_NS6detail17trampoline_kernelINS0_14default_configENS1_36segmented_radix_sort_config_selectorI6__halflEEZNS1_25segmented_radix_sort_implIS3_Lb1EPKS5_PS5_PKlPlN2at6native12_GLOBAL__N_18offset_tEEE10hipError_tPvRmT1_PNSt15iterator_traitsISL_E10value_typeET2_T3_PNSM_ISR_E10value_typeET4_jRbjT5_SX_jjP12ihipStream_tbEUlT_E1_NS1_11comp_targetILNS1_3genE4ELNS1_11target_archE910ELNS1_3gpuE8ELNS1_3repE0EEENS1_59segmented_radix_sort_warp_sort_small_config_static_selectorELNS0_4arch9wavefront6targetE1EEEvSL_,comdat
	.globl	_ZN7rocprim17ROCPRIM_400000_NS6detail17trampoline_kernelINS0_14default_configENS1_36segmented_radix_sort_config_selectorI6__halflEEZNS1_25segmented_radix_sort_implIS3_Lb1EPKS5_PS5_PKlPlN2at6native12_GLOBAL__N_18offset_tEEE10hipError_tPvRmT1_PNSt15iterator_traitsISL_E10value_typeET2_T3_PNSM_ISR_E10value_typeET4_jRbjT5_SX_jjP12ihipStream_tbEUlT_E1_NS1_11comp_targetILNS1_3genE4ELNS1_11target_archE910ELNS1_3gpuE8ELNS1_3repE0EEENS1_59segmented_radix_sort_warp_sort_small_config_static_selectorELNS0_4arch9wavefront6targetE1EEEvSL_ ; -- Begin function _ZN7rocprim17ROCPRIM_400000_NS6detail17trampoline_kernelINS0_14default_configENS1_36segmented_radix_sort_config_selectorI6__halflEEZNS1_25segmented_radix_sort_implIS3_Lb1EPKS5_PS5_PKlPlN2at6native12_GLOBAL__N_18offset_tEEE10hipError_tPvRmT1_PNSt15iterator_traitsISL_E10value_typeET2_T3_PNSM_ISR_E10value_typeET4_jRbjT5_SX_jjP12ihipStream_tbEUlT_E1_NS1_11comp_targetILNS1_3genE4ELNS1_11target_archE910ELNS1_3gpuE8ELNS1_3repE0EEENS1_59segmented_radix_sort_warp_sort_small_config_static_selectorELNS0_4arch9wavefront6targetE1EEEvSL_
	.p2align	8
	.type	_ZN7rocprim17ROCPRIM_400000_NS6detail17trampoline_kernelINS0_14default_configENS1_36segmented_radix_sort_config_selectorI6__halflEEZNS1_25segmented_radix_sort_implIS3_Lb1EPKS5_PS5_PKlPlN2at6native12_GLOBAL__N_18offset_tEEE10hipError_tPvRmT1_PNSt15iterator_traitsISL_E10value_typeET2_T3_PNSM_ISR_E10value_typeET4_jRbjT5_SX_jjP12ihipStream_tbEUlT_E1_NS1_11comp_targetILNS1_3genE4ELNS1_11target_archE910ELNS1_3gpuE8ELNS1_3repE0EEENS1_59segmented_radix_sort_warp_sort_small_config_static_selectorELNS0_4arch9wavefront6targetE1EEEvSL_,@function
_ZN7rocprim17ROCPRIM_400000_NS6detail17trampoline_kernelINS0_14default_configENS1_36segmented_radix_sort_config_selectorI6__halflEEZNS1_25segmented_radix_sort_implIS3_Lb1EPKS5_PS5_PKlPlN2at6native12_GLOBAL__N_18offset_tEEE10hipError_tPvRmT1_PNSt15iterator_traitsISL_E10value_typeET2_T3_PNSM_ISR_E10value_typeET4_jRbjT5_SX_jjP12ihipStream_tbEUlT_E1_NS1_11comp_targetILNS1_3genE4ELNS1_11target_archE910ELNS1_3gpuE8ELNS1_3repE0EEENS1_59segmented_radix_sort_warp_sort_small_config_static_selectorELNS0_4arch9wavefront6targetE1EEEvSL_: ; @_ZN7rocprim17ROCPRIM_400000_NS6detail17trampoline_kernelINS0_14default_configENS1_36segmented_radix_sort_config_selectorI6__halflEEZNS1_25segmented_radix_sort_implIS3_Lb1EPKS5_PS5_PKlPlN2at6native12_GLOBAL__N_18offset_tEEE10hipError_tPvRmT1_PNSt15iterator_traitsISL_E10value_typeET2_T3_PNSM_ISR_E10value_typeET4_jRbjT5_SX_jjP12ihipStream_tbEUlT_E1_NS1_11comp_targetILNS1_3genE4ELNS1_11target_archE910ELNS1_3gpuE8ELNS1_3repE0EEENS1_59segmented_radix_sort_warp_sort_small_config_static_selectorELNS0_4arch9wavefront6targetE1EEEvSL_
; %bb.0:
	.section	.rodata,"a",@progbits
	.p2align	6, 0x0
	.amdhsa_kernel _ZN7rocprim17ROCPRIM_400000_NS6detail17trampoline_kernelINS0_14default_configENS1_36segmented_radix_sort_config_selectorI6__halflEEZNS1_25segmented_radix_sort_implIS3_Lb1EPKS5_PS5_PKlPlN2at6native12_GLOBAL__N_18offset_tEEE10hipError_tPvRmT1_PNSt15iterator_traitsISL_E10value_typeET2_T3_PNSM_ISR_E10value_typeET4_jRbjT5_SX_jjP12ihipStream_tbEUlT_E1_NS1_11comp_targetILNS1_3genE4ELNS1_11target_archE910ELNS1_3gpuE8ELNS1_3repE0EEENS1_59segmented_radix_sort_warp_sort_small_config_static_selectorELNS0_4arch9wavefront6targetE1EEEvSL_
		.amdhsa_group_segment_fixed_size 0
		.amdhsa_private_segment_fixed_size 0
		.amdhsa_kernarg_size 88
		.amdhsa_user_sgpr_count 6
		.amdhsa_user_sgpr_private_segment_buffer 1
		.amdhsa_user_sgpr_dispatch_ptr 0
		.amdhsa_user_sgpr_queue_ptr 0
		.amdhsa_user_sgpr_kernarg_segment_ptr 1
		.amdhsa_user_sgpr_dispatch_id 0
		.amdhsa_user_sgpr_flat_scratch_init 0
		.amdhsa_user_sgpr_private_segment_size 0
		.amdhsa_uses_dynamic_stack 0
		.amdhsa_system_sgpr_private_segment_wavefront_offset 0
		.amdhsa_system_sgpr_workgroup_id_x 1
		.amdhsa_system_sgpr_workgroup_id_y 0
		.amdhsa_system_sgpr_workgroup_id_z 0
		.amdhsa_system_sgpr_workgroup_info 0
		.amdhsa_system_vgpr_workitem_id 0
		.amdhsa_next_free_vgpr 1
		.amdhsa_next_free_sgpr 0
		.amdhsa_reserve_vcc 0
		.amdhsa_reserve_flat_scratch 0
		.amdhsa_float_round_mode_32 0
		.amdhsa_float_round_mode_16_64 0
		.amdhsa_float_denorm_mode_32 3
		.amdhsa_float_denorm_mode_16_64 3
		.amdhsa_dx10_clamp 1
		.amdhsa_ieee_mode 1
		.amdhsa_fp16_overflow 0
		.amdhsa_exception_fp_ieee_invalid_op 0
		.amdhsa_exception_fp_denorm_src 0
		.amdhsa_exception_fp_ieee_div_zero 0
		.amdhsa_exception_fp_ieee_overflow 0
		.amdhsa_exception_fp_ieee_underflow 0
		.amdhsa_exception_fp_ieee_inexact 0
		.amdhsa_exception_int_div_zero 0
	.end_amdhsa_kernel
	.section	.text._ZN7rocprim17ROCPRIM_400000_NS6detail17trampoline_kernelINS0_14default_configENS1_36segmented_radix_sort_config_selectorI6__halflEEZNS1_25segmented_radix_sort_implIS3_Lb1EPKS5_PS5_PKlPlN2at6native12_GLOBAL__N_18offset_tEEE10hipError_tPvRmT1_PNSt15iterator_traitsISL_E10value_typeET2_T3_PNSM_ISR_E10value_typeET4_jRbjT5_SX_jjP12ihipStream_tbEUlT_E1_NS1_11comp_targetILNS1_3genE4ELNS1_11target_archE910ELNS1_3gpuE8ELNS1_3repE0EEENS1_59segmented_radix_sort_warp_sort_small_config_static_selectorELNS0_4arch9wavefront6targetE1EEEvSL_,"axG",@progbits,_ZN7rocprim17ROCPRIM_400000_NS6detail17trampoline_kernelINS0_14default_configENS1_36segmented_radix_sort_config_selectorI6__halflEEZNS1_25segmented_radix_sort_implIS3_Lb1EPKS5_PS5_PKlPlN2at6native12_GLOBAL__N_18offset_tEEE10hipError_tPvRmT1_PNSt15iterator_traitsISL_E10value_typeET2_T3_PNSM_ISR_E10value_typeET4_jRbjT5_SX_jjP12ihipStream_tbEUlT_E1_NS1_11comp_targetILNS1_3genE4ELNS1_11target_archE910ELNS1_3gpuE8ELNS1_3repE0EEENS1_59segmented_radix_sort_warp_sort_small_config_static_selectorELNS0_4arch9wavefront6targetE1EEEvSL_,comdat
.Lfunc_end1761:
	.size	_ZN7rocprim17ROCPRIM_400000_NS6detail17trampoline_kernelINS0_14default_configENS1_36segmented_radix_sort_config_selectorI6__halflEEZNS1_25segmented_radix_sort_implIS3_Lb1EPKS5_PS5_PKlPlN2at6native12_GLOBAL__N_18offset_tEEE10hipError_tPvRmT1_PNSt15iterator_traitsISL_E10value_typeET2_T3_PNSM_ISR_E10value_typeET4_jRbjT5_SX_jjP12ihipStream_tbEUlT_E1_NS1_11comp_targetILNS1_3genE4ELNS1_11target_archE910ELNS1_3gpuE8ELNS1_3repE0EEENS1_59segmented_radix_sort_warp_sort_small_config_static_selectorELNS0_4arch9wavefront6targetE1EEEvSL_, .Lfunc_end1761-_ZN7rocprim17ROCPRIM_400000_NS6detail17trampoline_kernelINS0_14default_configENS1_36segmented_radix_sort_config_selectorI6__halflEEZNS1_25segmented_radix_sort_implIS3_Lb1EPKS5_PS5_PKlPlN2at6native12_GLOBAL__N_18offset_tEEE10hipError_tPvRmT1_PNSt15iterator_traitsISL_E10value_typeET2_T3_PNSM_ISR_E10value_typeET4_jRbjT5_SX_jjP12ihipStream_tbEUlT_E1_NS1_11comp_targetILNS1_3genE4ELNS1_11target_archE910ELNS1_3gpuE8ELNS1_3repE0EEENS1_59segmented_radix_sort_warp_sort_small_config_static_selectorELNS0_4arch9wavefront6targetE1EEEvSL_
                                        ; -- End function
	.set _ZN7rocprim17ROCPRIM_400000_NS6detail17trampoline_kernelINS0_14default_configENS1_36segmented_radix_sort_config_selectorI6__halflEEZNS1_25segmented_radix_sort_implIS3_Lb1EPKS5_PS5_PKlPlN2at6native12_GLOBAL__N_18offset_tEEE10hipError_tPvRmT1_PNSt15iterator_traitsISL_E10value_typeET2_T3_PNSM_ISR_E10value_typeET4_jRbjT5_SX_jjP12ihipStream_tbEUlT_E1_NS1_11comp_targetILNS1_3genE4ELNS1_11target_archE910ELNS1_3gpuE8ELNS1_3repE0EEENS1_59segmented_radix_sort_warp_sort_small_config_static_selectorELNS0_4arch9wavefront6targetE1EEEvSL_.num_vgpr, 0
	.set _ZN7rocprim17ROCPRIM_400000_NS6detail17trampoline_kernelINS0_14default_configENS1_36segmented_radix_sort_config_selectorI6__halflEEZNS1_25segmented_radix_sort_implIS3_Lb1EPKS5_PS5_PKlPlN2at6native12_GLOBAL__N_18offset_tEEE10hipError_tPvRmT1_PNSt15iterator_traitsISL_E10value_typeET2_T3_PNSM_ISR_E10value_typeET4_jRbjT5_SX_jjP12ihipStream_tbEUlT_E1_NS1_11comp_targetILNS1_3genE4ELNS1_11target_archE910ELNS1_3gpuE8ELNS1_3repE0EEENS1_59segmented_radix_sort_warp_sort_small_config_static_selectorELNS0_4arch9wavefront6targetE1EEEvSL_.num_agpr, 0
	.set _ZN7rocprim17ROCPRIM_400000_NS6detail17trampoline_kernelINS0_14default_configENS1_36segmented_radix_sort_config_selectorI6__halflEEZNS1_25segmented_radix_sort_implIS3_Lb1EPKS5_PS5_PKlPlN2at6native12_GLOBAL__N_18offset_tEEE10hipError_tPvRmT1_PNSt15iterator_traitsISL_E10value_typeET2_T3_PNSM_ISR_E10value_typeET4_jRbjT5_SX_jjP12ihipStream_tbEUlT_E1_NS1_11comp_targetILNS1_3genE4ELNS1_11target_archE910ELNS1_3gpuE8ELNS1_3repE0EEENS1_59segmented_radix_sort_warp_sort_small_config_static_selectorELNS0_4arch9wavefront6targetE1EEEvSL_.numbered_sgpr, 0
	.set _ZN7rocprim17ROCPRIM_400000_NS6detail17trampoline_kernelINS0_14default_configENS1_36segmented_radix_sort_config_selectorI6__halflEEZNS1_25segmented_radix_sort_implIS3_Lb1EPKS5_PS5_PKlPlN2at6native12_GLOBAL__N_18offset_tEEE10hipError_tPvRmT1_PNSt15iterator_traitsISL_E10value_typeET2_T3_PNSM_ISR_E10value_typeET4_jRbjT5_SX_jjP12ihipStream_tbEUlT_E1_NS1_11comp_targetILNS1_3genE4ELNS1_11target_archE910ELNS1_3gpuE8ELNS1_3repE0EEENS1_59segmented_radix_sort_warp_sort_small_config_static_selectorELNS0_4arch9wavefront6targetE1EEEvSL_.num_named_barrier, 0
	.set _ZN7rocprim17ROCPRIM_400000_NS6detail17trampoline_kernelINS0_14default_configENS1_36segmented_radix_sort_config_selectorI6__halflEEZNS1_25segmented_radix_sort_implIS3_Lb1EPKS5_PS5_PKlPlN2at6native12_GLOBAL__N_18offset_tEEE10hipError_tPvRmT1_PNSt15iterator_traitsISL_E10value_typeET2_T3_PNSM_ISR_E10value_typeET4_jRbjT5_SX_jjP12ihipStream_tbEUlT_E1_NS1_11comp_targetILNS1_3genE4ELNS1_11target_archE910ELNS1_3gpuE8ELNS1_3repE0EEENS1_59segmented_radix_sort_warp_sort_small_config_static_selectorELNS0_4arch9wavefront6targetE1EEEvSL_.private_seg_size, 0
	.set _ZN7rocprim17ROCPRIM_400000_NS6detail17trampoline_kernelINS0_14default_configENS1_36segmented_radix_sort_config_selectorI6__halflEEZNS1_25segmented_radix_sort_implIS3_Lb1EPKS5_PS5_PKlPlN2at6native12_GLOBAL__N_18offset_tEEE10hipError_tPvRmT1_PNSt15iterator_traitsISL_E10value_typeET2_T3_PNSM_ISR_E10value_typeET4_jRbjT5_SX_jjP12ihipStream_tbEUlT_E1_NS1_11comp_targetILNS1_3genE4ELNS1_11target_archE910ELNS1_3gpuE8ELNS1_3repE0EEENS1_59segmented_radix_sort_warp_sort_small_config_static_selectorELNS0_4arch9wavefront6targetE1EEEvSL_.uses_vcc, 0
	.set _ZN7rocprim17ROCPRIM_400000_NS6detail17trampoline_kernelINS0_14default_configENS1_36segmented_radix_sort_config_selectorI6__halflEEZNS1_25segmented_radix_sort_implIS3_Lb1EPKS5_PS5_PKlPlN2at6native12_GLOBAL__N_18offset_tEEE10hipError_tPvRmT1_PNSt15iterator_traitsISL_E10value_typeET2_T3_PNSM_ISR_E10value_typeET4_jRbjT5_SX_jjP12ihipStream_tbEUlT_E1_NS1_11comp_targetILNS1_3genE4ELNS1_11target_archE910ELNS1_3gpuE8ELNS1_3repE0EEENS1_59segmented_radix_sort_warp_sort_small_config_static_selectorELNS0_4arch9wavefront6targetE1EEEvSL_.uses_flat_scratch, 0
	.set _ZN7rocprim17ROCPRIM_400000_NS6detail17trampoline_kernelINS0_14default_configENS1_36segmented_radix_sort_config_selectorI6__halflEEZNS1_25segmented_radix_sort_implIS3_Lb1EPKS5_PS5_PKlPlN2at6native12_GLOBAL__N_18offset_tEEE10hipError_tPvRmT1_PNSt15iterator_traitsISL_E10value_typeET2_T3_PNSM_ISR_E10value_typeET4_jRbjT5_SX_jjP12ihipStream_tbEUlT_E1_NS1_11comp_targetILNS1_3genE4ELNS1_11target_archE910ELNS1_3gpuE8ELNS1_3repE0EEENS1_59segmented_radix_sort_warp_sort_small_config_static_selectorELNS0_4arch9wavefront6targetE1EEEvSL_.has_dyn_sized_stack, 0
	.set _ZN7rocprim17ROCPRIM_400000_NS6detail17trampoline_kernelINS0_14default_configENS1_36segmented_radix_sort_config_selectorI6__halflEEZNS1_25segmented_radix_sort_implIS3_Lb1EPKS5_PS5_PKlPlN2at6native12_GLOBAL__N_18offset_tEEE10hipError_tPvRmT1_PNSt15iterator_traitsISL_E10value_typeET2_T3_PNSM_ISR_E10value_typeET4_jRbjT5_SX_jjP12ihipStream_tbEUlT_E1_NS1_11comp_targetILNS1_3genE4ELNS1_11target_archE910ELNS1_3gpuE8ELNS1_3repE0EEENS1_59segmented_radix_sort_warp_sort_small_config_static_selectorELNS0_4arch9wavefront6targetE1EEEvSL_.has_recursion, 0
	.set _ZN7rocprim17ROCPRIM_400000_NS6detail17trampoline_kernelINS0_14default_configENS1_36segmented_radix_sort_config_selectorI6__halflEEZNS1_25segmented_radix_sort_implIS3_Lb1EPKS5_PS5_PKlPlN2at6native12_GLOBAL__N_18offset_tEEE10hipError_tPvRmT1_PNSt15iterator_traitsISL_E10value_typeET2_T3_PNSM_ISR_E10value_typeET4_jRbjT5_SX_jjP12ihipStream_tbEUlT_E1_NS1_11comp_targetILNS1_3genE4ELNS1_11target_archE910ELNS1_3gpuE8ELNS1_3repE0EEENS1_59segmented_radix_sort_warp_sort_small_config_static_selectorELNS0_4arch9wavefront6targetE1EEEvSL_.has_indirect_call, 0
	.section	.AMDGPU.csdata,"",@progbits
; Kernel info:
; codeLenInByte = 0
; TotalNumSgprs: 4
; NumVgprs: 0
; ScratchSize: 0
; MemoryBound: 0
; FloatMode: 240
; IeeeMode: 1
; LDSByteSize: 0 bytes/workgroup (compile time only)
; SGPRBlocks: 0
; VGPRBlocks: 0
; NumSGPRsForWavesPerEU: 4
; NumVGPRsForWavesPerEU: 1
; Occupancy: 10
; WaveLimiterHint : 0
; COMPUTE_PGM_RSRC2:SCRATCH_EN: 0
; COMPUTE_PGM_RSRC2:USER_SGPR: 6
; COMPUTE_PGM_RSRC2:TRAP_HANDLER: 0
; COMPUTE_PGM_RSRC2:TGID_X_EN: 1
; COMPUTE_PGM_RSRC2:TGID_Y_EN: 0
; COMPUTE_PGM_RSRC2:TGID_Z_EN: 0
; COMPUTE_PGM_RSRC2:TIDIG_COMP_CNT: 0
	.section	.text._ZN7rocprim17ROCPRIM_400000_NS6detail17trampoline_kernelINS0_14default_configENS1_36segmented_radix_sort_config_selectorI6__halflEEZNS1_25segmented_radix_sort_implIS3_Lb1EPKS5_PS5_PKlPlN2at6native12_GLOBAL__N_18offset_tEEE10hipError_tPvRmT1_PNSt15iterator_traitsISL_E10value_typeET2_T3_PNSM_ISR_E10value_typeET4_jRbjT5_SX_jjP12ihipStream_tbEUlT_E1_NS1_11comp_targetILNS1_3genE3ELNS1_11target_archE908ELNS1_3gpuE7ELNS1_3repE0EEENS1_59segmented_radix_sort_warp_sort_small_config_static_selectorELNS0_4arch9wavefront6targetE1EEEvSL_,"axG",@progbits,_ZN7rocprim17ROCPRIM_400000_NS6detail17trampoline_kernelINS0_14default_configENS1_36segmented_radix_sort_config_selectorI6__halflEEZNS1_25segmented_radix_sort_implIS3_Lb1EPKS5_PS5_PKlPlN2at6native12_GLOBAL__N_18offset_tEEE10hipError_tPvRmT1_PNSt15iterator_traitsISL_E10value_typeET2_T3_PNSM_ISR_E10value_typeET4_jRbjT5_SX_jjP12ihipStream_tbEUlT_E1_NS1_11comp_targetILNS1_3genE3ELNS1_11target_archE908ELNS1_3gpuE7ELNS1_3repE0EEENS1_59segmented_radix_sort_warp_sort_small_config_static_selectorELNS0_4arch9wavefront6targetE1EEEvSL_,comdat
	.globl	_ZN7rocprim17ROCPRIM_400000_NS6detail17trampoline_kernelINS0_14default_configENS1_36segmented_radix_sort_config_selectorI6__halflEEZNS1_25segmented_radix_sort_implIS3_Lb1EPKS5_PS5_PKlPlN2at6native12_GLOBAL__N_18offset_tEEE10hipError_tPvRmT1_PNSt15iterator_traitsISL_E10value_typeET2_T3_PNSM_ISR_E10value_typeET4_jRbjT5_SX_jjP12ihipStream_tbEUlT_E1_NS1_11comp_targetILNS1_3genE3ELNS1_11target_archE908ELNS1_3gpuE7ELNS1_3repE0EEENS1_59segmented_radix_sort_warp_sort_small_config_static_selectorELNS0_4arch9wavefront6targetE1EEEvSL_ ; -- Begin function _ZN7rocprim17ROCPRIM_400000_NS6detail17trampoline_kernelINS0_14default_configENS1_36segmented_radix_sort_config_selectorI6__halflEEZNS1_25segmented_radix_sort_implIS3_Lb1EPKS5_PS5_PKlPlN2at6native12_GLOBAL__N_18offset_tEEE10hipError_tPvRmT1_PNSt15iterator_traitsISL_E10value_typeET2_T3_PNSM_ISR_E10value_typeET4_jRbjT5_SX_jjP12ihipStream_tbEUlT_E1_NS1_11comp_targetILNS1_3genE3ELNS1_11target_archE908ELNS1_3gpuE7ELNS1_3repE0EEENS1_59segmented_radix_sort_warp_sort_small_config_static_selectorELNS0_4arch9wavefront6targetE1EEEvSL_
	.p2align	8
	.type	_ZN7rocprim17ROCPRIM_400000_NS6detail17trampoline_kernelINS0_14default_configENS1_36segmented_radix_sort_config_selectorI6__halflEEZNS1_25segmented_radix_sort_implIS3_Lb1EPKS5_PS5_PKlPlN2at6native12_GLOBAL__N_18offset_tEEE10hipError_tPvRmT1_PNSt15iterator_traitsISL_E10value_typeET2_T3_PNSM_ISR_E10value_typeET4_jRbjT5_SX_jjP12ihipStream_tbEUlT_E1_NS1_11comp_targetILNS1_3genE3ELNS1_11target_archE908ELNS1_3gpuE7ELNS1_3repE0EEENS1_59segmented_radix_sort_warp_sort_small_config_static_selectorELNS0_4arch9wavefront6targetE1EEEvSL_,@function
_ZN7rocprim17ROCPRIM_400000_NS6detail17trampoline_kernelINS0_14default_configENS1_36segmented_radix_sort_config_selectorI6__halflEEZNS1_25segmented_radix_sort_implIS3_Lb1EPKS5_PS5_PKlPlN2at6native12_GLOBAL__N_18offset_tEEE10hipError_tPvRmT1_PNSt15iterator_traitsISL_E10value_typeET2_T3_PNSM_ISR_E10value_typeET4_jRbjT5_SX_jjP12ihipStream_tbEUlT_E1_NS1_11comp_targetILNS1_3genE3ELNS1_11target_archE908ELNS1_3gpuE7ELNS1_3repE0EEENS1_59segmented_radix_sort_warp_sort_small_config_static_selectorELNS0_4arch9wavefront6targetE1EEEvSL_: ; @_ZN7rocprim17ROCPRIM_400000_NS6detail17trampoline_kernelINS0_14default_configENS1_36segmented_radix_sort_config_selectorI6__halflEEZNS1_25segmented_radix_sort_implIS3_Lb1EPKS5_PS5_PKlPlN2at6native12_GLOBAL__N_18offset_tEEE10hipError_tPvRmT1_PNSt15iterator_traitsISL_E10value_typeET2_T3_PNSM_ISR_E10value_typeET4_jRbjT5_SX_jjP12ihipStream_tbEUlT_E1_NS1_11comp_targetILNS1_3genE3ELNS1_11target_archE908ELNS1_3gpuE7ELNS1_3repE0EEENS1_59segmented_radix_sort_warp_sort_small_config_static_selectorELNS0_4arch9wavefront6targetE1EEEvSL_
; %bb.0:
	.section	.rodata,"a",@progbits
	.p2align	6, 0x0
	.amdhsa_kernel _ZN7rocprim17ROCPRIM_400000_NS6detail17trampoline_kernelINS0_14default_configENS1_36segmented_radix_sort_config_selectorI6__halflEEZNS1_25segmented_radix_sort_implIS3_Lb1EPKS5_PS5_PKlPlN2at6native12_GLOBAL__N_18offset_tEEE10hipError_tPvRmT1_PNSt15iterator_traitsISL_E10value_typeET2_T3_PNSM_ISR_E10value_typeET4_jRbjT5_SX_jjP12ihipStream_tbEUlT_E1_NS1_11comp_targetILNS1_3genE3ELNS1_11target_archE908ELNS1_3gpuE7ELNS1_3repE0EEENS1_59segmented_radix_sort_warp_sort_small_config_static_selectorELNS0_4arch9wavefront6targetE1EEEvSL_
		.amdhsa_group_segment_fixed_size 0
		.amdhsa_private_segment_fixed_size 0
		.amdhsa_kernarg_size 88
		.amdhsa_user_sgpr_count 6
		.amdhsa_user_sgpr_private_segment_buffer 1
		.amdhsa_user_sgpr_dispatch_ptr 0
		.amdhsa_user_sgpr_queue_ptr 0
		.amdhsa_user_sgpr_kernarg_segment_ptr 1
		.amdhsa_user_sgpr_dispatch_id 0
		.amdhsa_user_sgpr_flat_scratch_init 0
		.amdhsa_user_sgpr_private_segment_size 0
		.amdhsa_uses_dynamic_stack 0
		.amdhsa_system_sgpr_private_segment_wavefront_offset 0
		.amdhsa_system_sgpr_workgroup_id_x 1
		.amdhsa_system_sgpr_workgroup_id_y 0
		.amdhsa_system_sgpr_workgroup_id_z 0
		.amdhsa_system_sgpr_workgroup_info 0
		.amdhsa_system_vgpr_workitem_id 0
		.amdhsa_next_free_vgpr 1
		.amdhsa_next_free_sgpr 0
		.amdhsa_reserve_vcc 0
		.amdhsa_reserve_flat_scratch 0
		.amdhsa_float_round_mode_32 0
		.amdhsa_float_round_mode_16_64 0
		.amdhsa_float_denorm_mode_32 3
		.amdhsa_float_denorm_mode_16_64 3
		.amdhsa_dx10_clamp 1
		.amdhsa_ieee_mode 1
		.amdhsa_fp16_overflow 0
		.amdhsa_exception_fp_ieee_invalid_op 0
		.amdhsa_exception_fp_denorm_src 0
		.amdhsa_exception_fp_ieee_div_zero 0
		.amdhsa_exception_fp_ieee_overflow 0
		.amdhsa_exception_fp_ieee_underflow 0
		.amdhsa_exception_fp_ieee_inexact 0
		.amdhsa_exception_int_div_zero 0
	.end_amdhsa_kernel
	.section	.text._ZN7rocprim17ROCPRIM_400000_NS6detail17trampoline_kernelINS0_14default_configENS1_36segmented_radix_sort_config_selectorI6__halflEEZNS1_25segmented_radix_sort_implIS3_Lb1EPKS5_PS5_PKlPlN2at6native12_GLOBAL__N_18offset_tEEE10hipError_tPvRmT1_PNSt15iterator_traitsISL_E10value_typeET2_T3_PNSM_ISR_E10value_typeET4_jRbjT5_SX_jjP12ihipStream_tbEUlT_E1_NS1_11comp_targetILNS1_3genE3ELNS1_11target_archE908ELNS1_3gpuE7ELNS1_3repE0EEENS1_59segmented_radix_sort_warp_sort_small_config_static_selectorELNS0_4arch9wavefront6targetE1EEEvSL_,"axG",@progbits,_ZN7rocprim17ROCPRIM_400000_NS6detail17trampoline_kernelINS0_14default_configENS1_36segmented_radix_sort_config_selectorI6__halflEEZNS1_25segmented_radix_sort_implIS3_Lb1EPKS5_PS5_PKlPlN2at6native12_GLOBAL__N_18offset_tEEE10hipError_tPvRmT1_PNSt15iterator_traitsISL_E10value_typeET2_T3_PNSM_ISR_E10value_typeET4_jRbjT5_SX_jjP12ihipStream_tbEUlT_E1_NS1_11comp_targetILNS1_3genE3ELNS1_11target_archE908ELNS1_3gpuE7ELNS1_3repE0EEENS1_59segmented_radix_sort_warp_sort_small_config_static_selectorELNS0_4arch9wavefront6targetE1EEEvSL_,comdat
.Lfunc_end1762:
	.size	_ZN7rocprim17ROCPRIM_400000_NS6detail17trampoline_kernelINS0_14default_configENS1_36segmented_radix_sort_config_selectorI6__halflEEZNS1_25segmented_radix_sort_implIS3_Lb1EPKS5_PS5_PKlPlN2at6native12_GLOBAL__N_18offset_tEEE10hipError_tPvRmT1_PNSt15iterator_traitsISL_E10value_typeET2_T3_PNSM_ISR_E10value_typeET4_jRbjT5_SX_jjP12ihipStream_tbEUlT_E1_NS1_11comp_targetILNS1_3genE3ELNS1_11target_archE908ELNS1_3gpuE7ELNS1_3repE0EEENS1_59segmented_radix_sort_warp_sort_small_config_static_selectorELNS0_4arch9wavefront6targetE1EEEvSL_, .Lfunc_end1762-_ZN7rocprim17ROCPRIM_400000_NS6detail17trampoline_kernelINS0_14default_configENS1_36segmented_radix_sort_config_selectorI6__halflEEZNS1_25segmented_radix_sort_implIS3_Lb1EPKS5_PS5_PKlPlN2at6native12_GLOBAL__N_18offset_tEEE10hipError_tPvRmT1_PNSt15iterator_traitsISL_E10value_typeET2_T3_PNSM_ISR_E10value_typeET4_jRbjT5_SX_jjP12ihipStream_tbEUlT_E1_NS1_11comp_targetILNS1_3genE3ELNS1_11target_archE908ELNS1_3gpuE7ELNS1_3repE0EEENS1_59segmented_radix_sort_warp_sort_small_config_static_selectorELNS0_4arch9wavefront6targetE1EEEvSL_
                                        ; -- End function
	.set _ZN7rocprim17ROCPRIM_400000_NS6detail17trampoline_kernelINS0_14default_configENS1_36segmented_radix_sort_config_selectorI6__halflEEZNS1_25segmented_radix_sort_implIS3_Lb1EPKS5_PS5_PKlPlN2at6native12_GLOBAL__N_18offset_tEEE10hipError_tPvRmT1_PNSt15iterator_traitsISL_E10value_typeET2_T3_PNSM_ISR_E10value_typeET4_jRbjT5_SX_jjP12ihipStream_tbEUlT_E1_NS1_11comp_targetILNS1_3genE3ELNS1_11target_archE908ELNS1_3gpuE7ELNS1_3repE0EEENS1_59segmented_radix_sort_warp_sort_small_config_static_selectorELNS0_4arch9wavefront6targetE1EEEvSL_.num_vgpr, 0
	.set _ZN7rocprim17ROCPRIM_400000_NS6detail17trampoline_kernelINS0_14default_configENS1_36segmented_radix_sort_config_selectorI6__halflEEZNS1_25segmented_radix_sort_implIS3_Lb1EPKS5_PS5_PKlPlN2at6native12_GLOBAL__N_18offset_tEEE10hipError_tPvRmT1_PNSt15iterator_traitsISL_E10value_typeET2_T3_PNSM_ISR_E10value_typeET4_jRbjT5_SX_jjP12ihipStream_tbEUlT_E1_NS1_11comp_targetILNS1_3genE3ELNS1_11target_archE908ELNS1_3gpuE7ELNS1_3repE0EEENS1_59segmented_radix_sort_warp_sort_small_config_static_selectorELNS0_4arch9wavefront6targetE1EEEvSL_.num_agpr, 0
	.set _ZN7rocprim17ROCPRIM_400000_NS6detail17trampoline_kernelINS0_14default_configENS1_36segmented_radix_sort_config_selectorI6__halflEEZNS1_25segmented_radix_sort_implIS3_Lb1EPKS5_PS5_PKlPlN2at6native12_GLOBAL__N_18offset_tEEE10hipError_tPvRmT1_PNSt15iterator_traitsISL_E10value_typeET2_T3_PNSM_ISR_E10value_typeET4_jRbjT5_SX_jjP12ihipStream_tbEUlT_E1_NS1_11comp_targetILNS1_3genE3ELNS1_11target_archE908ELNS1_3gpuE7ELNS1_3repE0EEENS1_59segmented_radix_sort_warp_sort_small_config_static_selectorELNS0_4arch9wavefront6targetE1EEEvSL_.numbered_sgpr, 0
	.set _ZN7rocprim17ROCPRIM_400000_NS6detail17trampoline_kernelINS0_14default_configENS1_36segmented_radix_sort_config_selectorI6__halflEEZNS1_25segmented_radix_sort_implIS3_Lb1EPKS5_PS5_PKlPlN2at6native12_GLOBAL__N_18offset_tEEE10hipError_tPvRmT1_PNSt15iterator_traitsISL_E10value_typeET2_T3_PNSM_ISR_E10value_typeET4_jRbjT5_SX_jjP12ihipStream_tbEUlT_E1_NS1_11comp_targetILNS1_3genE3ELNS1_11target_archE908ELNS1_3gpuE7ELNS1_3repE0EEENS1_59segmented_radix_sort_warp_sort_small_config_static_selectorELNS0_4arch9wavefront6targetE1EEEvSL_.num_named_barrier, 0
	.set _ZN7rocprim17ROCPRIM_400000_NS6detail17trampoline_kernelINS0_14default_configENS1_36segmented_radix_sort_config_selectorI6__halflEEZNS1_25segmented_radix_sort_implIS3_Lb1EPKS5_PS5_PKlPlN2at6native12_GLOBAL__N_18offset_tEEE10hipError_tPvRmT1_PNSt15iterator_traitsISL_E10value_typeET2_T3_PNSM_ISR_E10value_typeET4_jRbjT5_SX_jjP12ihipStream_tbEUlT_E1_NS1_11comp_targetILNS1_3genE3ELNS1_11target_archE908ELNS1_3gpuE7ELNS1_3repE0EEENS1_59segmented_radix_sort_warp_sort_small_config_static_selectorELNS0_4arch9wavefront6targetE1EEEvSL_.private_seg_size, 0
	.set _ZN7rocprim17ROCPRIM_400000_NS6detail17trampoline_kernelINS0_14default_configENS1_36segmented_radix_sort_config_selectorI6__halflEEZNS1_25segmented_radix_sort_implIS3_Lb1EPKS5_PS5_PKlPlN2at6native12_GLOBAL__N_18offset_tEEE10hipError_tPvRmT1_PNSt15iterator_traitsISL_E10value_typeET2_T3_PNSM_ISR_E10value_typeET4_jRbjT5_SX_jjP12ihipStream_tbEUlT_E1_NS1_11comp_targetILNS1_3genE3ELNS1_11target_archE908ELNS1_3gpuE7ELNS1_3repE0EEENS1_59segmented_radix_sort_warp_sort_small_config_static_selectorELNS0_4arch9wavefront6targetE1EEEvSL_.uses_vcc, 0
	.set _ZN7rocprim17ROCPRIM_400000_NS6detail17trampoline_kernelINS0_14default_configENS1_36segmented_radix_sort_config_selectorI6__halflEEZNS1_25segmented_radix_sort_implIS3_Lb1EPKS5_PS5_PKlPlN2at6native12_GLOBAL__N_18offset_tEEE10hipError_tPvRmT1_PNSt15iterator_traitsISL_E10value_typeET2_T3_PNSM_ISR_E10value_typeET4_jRbjT5_SX_jjP12ihipStream_tbEUlT_E1_NS1_11comp_targetILNS1_3genE3ELNS1_11target_archE908ELNS1_3gpuE7ELNS1_3repE0EEENS1_59segmented_radix_sort_warp_sort_small_config_static_selectorELNS0_4arch9wavefront6targetE1EEEvSL_.uses_flat_scratch, 0
	.set _ZN7rocprim17ROCPRIM_400000_NS6detail17trampoline_kernelINS0_14default_configENS1_36segmented_radix_sort_config_selectorI6__halflEEZNS1_25segmented_radix_sort_implIS3_Lb1EPKS5_PS5_PKlPlN2at6native12_GLOBAL__N_18offset_tEEE10hipError_tPvRmT1_PNSt15iterator_traitsISL_E10value_typeET2_T3_PNSM_ISR_E10value_typeET4_jRbjT5_SX_jjP12ihipStream_tbEUlT_E1_NS1_11comp_targetILNS1_3genE3ELNS1_11target_archE908ELNS1_3gpuE7ELNS1_3repE0EEENS1_59segmented_radix_sort_warp_sort_small_config_static_selectorELNS0_4arch9wavefront6targetE1EEEvSL_.has_dyn_sized_stack, 0
	.set _ZN7rocprim17ROCPRIM_400000_NS6detail17trampoline_kernelINS0_14default_configENS1_36segmented_radix_sort_config_selectorI6__halflEEZNS1_25segmented_radix_sort_implIS3_Lb1EPKS5_PS5_PKlPlN2at6native12_GLOBAL__N_18offset_tEEE10hipError_tPvRmT1_PNSt15iterator_traitsISL_E10value_typeET2_T3_PNSM_ISR_E10value_typeET4_jRbjT5_SX_jjP12ihipStream_tbEUlT_E1_NS1_11comp_targetILNS1_3genE3ELNS1_11target_archE908ELNS1_3gpuE7ELNS1_3repE0EEENS1_59segmented_radix_sort_warp_sort_small_config_static_selectorELNS0_4arch9wavefront6targetE1EEEvSL_.has_recursion, 0
	.set _ZN7rocprim17ROCPRIM_400000_NS6detail17trampoline_kernelINS0_14default_configENS1_36segmented_radix_sort_config_selectorI6__halflEEZNS1_25segmented_radix_sort_implIS3_Lb1EPKS5_PS5_PKlPlN2at6native12_GLOBAL__N_18offset_tEEE10hipError_tPvRmT1_PNSt15iterator_traitsISL_E10value_typeET2_T3_PNSM_ISR_E10value_typeET4_jRbjT5_SX_jjP12ihipStream_tbEUlT_E1_NS1_11comp_targetILNS1_3genE3ELNS1_11target_archE908ELNS1_3gpuE7ELNS1_3repE0EEENS1_59segmented_radix_sort_warp_sort_small_config_static_selectorELNS0_4arch9wavefront6targetE1EEEvSL_.has_indirect_call, 0
	.section	.AMDGPU.csdata,"",@progbits
; Kernel info:
; codeLenInByte = 0
; TotalNumSgprs: 4
; NumVgprs: 0
; ScratchSize: 0
; MemoryBound: 0
; FloatMode: 240
; IeeeMode: 1
; LDSByteSize: 0 bytes/workgroup (compile time only)
; SGPRBlocks: 0
; VGPRBlocks: 0
; NumSGPRsForWavesPerEU: 4
; NumVGPRsForWavesPerEU: 1
; Occupancy: 10
; WaveLimiterHint : 0
; COMPUTE_PGM_RSRC2:SCRATCH_EN: 0
; COMPUTE_PGM_RSRC2:USER_SGPR: 6
; COMPUTE_PGM_RSRC2:TRAP_HANDLER: 0
; COMPUTE_PGM_RSRC2:TGID_X_EN: 1
; COMPUTE_PGM_RSRC2:TGID_Y_EN: 0
; COMPUTE_PGM_RSRC2:TGID_Z_EN: 0
; COMPUTE_PGM_RSRC2:TIDIG_COMP_CNT: 0
	.text
	.p2align	2                               ; -- Begin function _ZN7rocprim17ROCPRIM_400000_NS6detail26segmented_warp_sort_helperINS1_20WarpSortHelperConfigILj8ELj4ELj256EEE6__halflLi256ELb1EvE4sortIPKS5_PS5_PKlPlEEvT_SA_T0_T1_SD_T2_bjjjjRNS6_12storage_typeE
	.type	_ZN7rocprim17ROCPRIM_400000_NS6detail26segmented_warp_sort_helperINS1_20WarpSortHelperConfigILj8ELj4ELj256EEE6__halflLi256ELb1EvE4sortIPKS5_PS5_PKlPlEEvT_SA_T0_T1_SD_T2_bjjjjRNS6_12storage_typeE,@function
_ZN7rocprim17ROCPRIM_400000_NS6detail26segmented_warp_sort_helperINS1_20WarpSortHelperConfigILj8ELj4ELj256EEE6__halflLi256ELb1EvE4sortIPKS5_PS5_PKlPlEEvT_SA_T0_T1_SD_T2_bjjjjRNS6_12storage_typeE: ; @_ZN7rocprim17ROCPRIM_400000_NS6detail26segmented_warp_sort_helperINS1_20WarpSortHelperConfigILj8ELj4ELj256EEE6__halflLi256ELb1EvE4sortIPKS5_PS5_PKlPlEEvT_SA_T0_T1_SD_T2_bjjjjRNS6_12storage_typeE
; %bb.0:
	s_waitcnt vmcnt(0) expcnt(0) lgkmcnt(0)
	v_and_b32_e32 v12, 1, v12
	v_cmp_ne_u32_e64 s[4:5], 1, v12
	v_sub_u32_e32 v25, v14, v13
	v_mov_b32_e32 v14, 0
	v_mbcnt_lo_u32_b32 v12, -1, 0
	v_lshlrev_b64 v[33:34], 1, v[13:14]
	v_mbcnt_hi_u32_b32 v12, -1, v12
	v_lshlrev_b32_e32 v36, 2, v12
	v_add_co_u32_e32 v0, vcc, v0, v33
	v_and_b32_e32 v12, 28, v36
	v_addc_co_u32_e32 v1, vcc, v1, v34, vcc
	v_lshlrev_b32_e32 v35, 1, v12
	v_add_co_u32_e32 v0, vcc, v0, v35
	v_addc_co_u32_e32 v1, vcc, 0, v1, vcc
	v_cmp_lt_u32_e32 vcc, v12, v25
	s_mov_b64 s[16:17], 0
                                        ; implicit-def: $vgpr17_vgpr18_vgpr19_vgpr20_vgpr21_vgpr22_vgpr23_vgpr24
	s_and_saveexec_b64 s[6:7], s[4:5]
	s_xor_b64 s[18:19], exec, s[6:7]
	s_cbranch_execnz .LBB1763_4
; %bb.1:
	s_andn2_saveexec_b64 s[18:19], s[18:19]
	s_cbranch_execnz .LBB1763_109
.LBB1763_2:
	s_or_b64 exec, exec, s[18:19]
	s_and_saveexec_b64 s[4:5], s[16:17]
	s_cbranch_execnz .LBB1763_214
.LBB1763_3:
	s_or_b64 exec, exec, s[4:5]
	s_waitcnt vmcnt(0) lgkmcnt(0)
	s_setpc_b64 s[30:31]
.LBB1763_4:
	v_mov_b32_e32 v37, 0xffff
	v_mov_b32_e32 v38, 0xffff
	s_and_saveexec_b64 s[4:5], vcc
	s_cbranch_execz .LBB1763_6
; %bb.5:
	flat_load_ushort v38, v[0:1]
.LBB1763_6:
	s_or_b64 exec, exec, s[4:5]
	v_or_b32_e32 v4, 1, v12
	v_cmp_lt_u32_e64 s[4:5], v4, v25
	s_and_saveexec_b64 s[6:7], s[4:5]
	s_cbranch_execz .LBB1763_8
; %bb.7:
	flat_load_ushort v37, v[0:1] offset:2
.LBB1763_8:
	s_or_b64 exec, exec, s[6:7]
	v_or_b32_e32 v4, 2, v12
	v_cmp_lt_u32_e64 s[6:7], v4, v25
	v_mov_b32_e32 v11, 0xffff
	v_mov_b32_e32 v39, 0xffff
	s_and_saveexec_b64 s[10:11], s[6:7]
	s_cbranch_execz .LBB1763_10
; %bb.9:
	flat_load_ushort v39, v[0:1] offset:4
.LBB1763_10:
	s_or_b64 exec, exec, s[10:11]
	v_or_b32_e32 v4, 3, v12
	v_cmp_lt_u32_e64 s[10:11], v4, v25
	s_and_saveexec_b64 s[14:15], s[10:11]
	s_cbranch_execz .LBB1763_12
; %bb.11:
	flat_load_ushort v11, v[0:1] offset:6
.LBB1763_12:
	s_or_b64 exec, exec, s[14:15]
	v_lshlrev_b64 v[0:1], 3, v[13:14]
	v_lshlrev_b32_e32 v10, 3, v12
	v_add_co_u32_e64 v4, s[14:15], v6, v0
	v_addc_co_u32_e64 v5, s[14:15], v7, v1, s[14:15]
	v_mov_b32_e32 v17, 0
	v_add_co_u32_e64 v4, s[14:15], v4, v10
	v_addc_co_u32_e64 v5, s[14:15], 0, v5, s[14:15]
	v_mov_b32_e32 v18, v17
	v_mov_b32_e32 v19, v17
	;; [unrolled: 1-line block ×7, first 2 shown]
	; wave barrier
	s_and_saveexec_b64 s[14:15], vcc
	s_cbranch_execnz .LBB1763_215
; %bb.13:
	s_or_b64 exec, exec, s[14:15]
	s_and_saveexec_b64 s[14:15], s[4:5]
	s_cbranch_execnz .LBB1763_216
.LBB1763_14:
	s_or_b64 exec, exec, s[14:15]
	s_and_saveexec_b64 s[14:15], s[6:7]
	s_cbranch_execnz .LBB1763_217
.LBB1763_15:
	s_or_b64 exec, exec, s[14:15]
	s_and_saveexec_b64 s[14:15], s[10:11]
	s_cbranch_execz .LBB1763_17
.LBB1763_16:
	flat_load_dwordx2 v[23:24], v[4:5] offset:24
.LBB1763_17:
	s_or_b64 exec, exec, s[14:15]
	; wave barrier
	s_load_dwordx2 s[14:15], s[8:9], 0x0
	v_mov_b32_e32 v4, 0
	v_bfe_u32 v7, v31, 20, 10
	s_waitcnt lgkmcnt(0)
	s_cmp_lt_u32 s13, s15
	s_cselect_b32 s15, 14, 20
	s_add_u32 s16, s8, s15
	s_addc_u32 s17, s9, 0
	s_cmp_lt_u32 s12, s14
	s_cselect_b32 s14, 12, 18
	s_add_u32 s14, s8, s14
	s_addc_u32 s15, s9, 0
	global_load_ushort v5, v4, s[16:17]
	global_load_ushort v6, v4, s[14:15]
	v_bfe_u32 v4, v31, 10, 10
	s_movk_i32 s14, 0x400
	s_waitcnt vmcnt(0)
	v_mad_u32_u24 v4, v7, v5, v4
	v_mul_lo_u32 v4, v4, v6
	v_and_b32_e32 v5, 0x3ff, v31
	v_add_lshl_u32 v4, v4, v5, 2
	v_cmp_gt_u32_e64 s[14:15], s14, v4
	s_and_saveexec_b64 s[20:21], s[14:15]
	s_cbranch_execz .LBB1763_27
; %bb.18:
	v_add_f16_e32 v5, 0, v37
	v_add_f16_e32 v7, 0, v38
	v_mov_b32_e32 v6, 0xffff8000
	v_cmp_lt_i16_e64 s[14:15], -1, v5
	v_cndmask_b32_e64 v25, -1, v6, s[14:15]
	v_cmp_lt_i16_e64 s[14:15], -1, v7
	v_xor_b32_e32 v5, v25, v5
	v_cndmask_b32_e64 v25, -1, v6, s[14:15]
	v_xor_b32_e32 v7, v25, v7
	v_cmp_gt_u16_e64 s[14:15], v5, v7
	v_cndmask_b32_e64 v28, v20, v18, s[14:15]
	v_cndmask_b32_e64 v26, v18, v20, s[14:15]
	v_add_f16_e32 v18, 0, v11
	v_add_f16_e32 v7, 0, v39
	v_cmp_lt_i16_e64 s[16:17], -1, v18
	v_cndmask_b32_e64 v5, -1, v6, s[16:17]
	v_cmp_lt_i16_e64 s[16:17], -1, v7
	v_cndmask_b32_e64 v27, v19, v17, s[14:15]
	v_cndmask_b32_e64 v25, v17, v19, s[14:15]
	v_xor_b32_e32 v19, v5, v18
	v_cndmask_b32_e64 v5, -1, v6, s[16:17]
	v_xor_b32_e32 v17, v5, v7
	v_mov_b32_e32 v30, v22
	v_mov_b32_e32 v32, v24
	v_cmp_gt_u16_e64 s[16:17], v19, v17
	v_mov_b32_e32 v5, v39
	v_mov_b32_e32 v29, v21
	v_mov_b32_e32 v31, v23
	s_and_saveexec_b64 s[22:23], s[16:17]
; %bb.19:
	v_mov_b32_e32 v30, v24
	v_mov_b32_e32 v32, v22
	;; [unrolled: 1-line block ×8, first 2 shown]
; %bb.20:
	s_or_b64 exec, exec, s[22:23]
	v_cndmask_b32_e64 v18, v37, v38, s[14:15]
	v_add_f16_e32 v19, 0, v18
	v_cmp_lt_i16_e64 s[16:17], -1, v19
	v_cndmask_b32_e64 v6, -1, v6, s[16:17]
	v_xor_b32_e32 v6, v6, v19
	v_cmp_gt_u16_e64 s[16:17], v17, v6
	v_mov_b32_e32 v39, v7
	v_mov_b32_e32 v6, v18
	s_and_saveexec_b64 s[22:23], s[16:17]
	s_xor_b64 s[16:17], exec, s[22:23]
	s_cbranch_execz .LBB1763_22
; %bb.21:
	v_mov_b32_e32 v55, v32
	v_mov_b32_e32 v54, v31
	;; [unrolled: 1-line block ×26, first 2 shown]
.LBB1763_22:
	s_or_b64 exec, exec, s[16:17]
	v_cndmask_b32_e64 v7, v38, v37, s[14:15]
	v_add_f16_e32 v17, 0, v7
	v_mov_b32_e32 v38, 0xffff8000
	v_cmp_lt_i16_e64 s[14:15], -1, v19
	v_cndmask_b32_e64 v18, -1, v38, s[14:15]
	v_cmp_lt_i16_e64 s[14:15], -1, v17
	v_xor_b32_e32 v18, v18, v19
	v_cndmask_b32_e64 v19, -1, v38, s[14:15]
	v_xor_b32_e32 v17, v19, v17
	v_cmp_gt_u16_e64 s[14:15], v18, v17
	v_cndmask_b32_e64 v19, v27, v25, s[14:15]
	v_cndmask_b32_e64 v17, v25, v27, s[14:15]
	v_add_f16_e32 v25, 0, v11
	v_cmp_lt_i16_e64 s[16:17], -1, v25
	v_cndmask_b32_e64 v20, v28, v26, s[14:15]
	v_cndmask_b32_e64 v18, v26, v28, s[14:15]
	v_cndmask_b32_e64 v26, -1, v38, s[16:17]
	v_cmp_lt_i16_e64 s[16:17], -1, v39
	v_xor_b32_e32 v27, v26, v25
	v_cndmask_b32_e64 v25, -1, v38, s[16:17]
	v_xor_b32_e32 v26, v25, v39
	v_mov_b32_e32 v21, v29
	v_mov_b32_e32 v22, v30
	;; [unrolled: 1-line block ×4, first 2 shown]
	v_cmp_gt_u16_e64 s[16:17], v27, v26
	v_mov_b32_e32 v25, v5
	s_and_saveexec_b64 s[22:23], s[16:17]
; %bb.23:
	v_mov_b32_e32 v21, v31
	v_mov_b32_e32 v22, v32
	v_mov_b32_e32 v23, v29
	v_mov_b32_e32 v24, v30
	v_mov_b32_e32 v26, v27
	v_mov_b32_e32 v25, v11
	v_mov_b32_e32 v11, v5
; %bb.24:
	s_or_b64 exec, exec, s[22:23]
	v_cndmask_b32_e64 v37, v6, v7, s[14:15]
	v_add_f16_e32 v5, 0, v37
	v_cmp_lt_i16_e64 s[16:17], -1, v5
	v_cndmask_b32_e64 v27, -1, v38, s[16:17]
	v_xor_b32_e32 v5, v27, v5
	v_cmp_gt_u16_e64 s[16:17], v26, v5
	v_mov_b32_e32 v39, v25
	s_and_saveexec_b64 s[22:23], s[16:17]
	s_cbranch_execz .LBB1763_26
; %bb.25:
	v_mov_b32_e32 v48, v17
	v_mov_b32_e32 v49, v18
	;; [unrolled: 1-line block ×18, first 2 shown]
.LBB1763_26:
	s_or_b64 exec, exec, s[22:23]
	v_cndmask_b32_e64 v38, v7, v6, s[14:15]
.LBB1763_27:
	s_or_b64 exec, exec, s[20:21]
	v_and_b32_e32 v25, 0xffffff00, v4
	v_mov_b32_e32 v26, 0
	v_lshlrev_b64 v[4:5], 1, v[25:26]
	s_movk_i32 s16, 0x400
	v_add_co_u32_e64 v6, s[14:15], v15, v4
	v_addc_co_u32_e64 v7, s[14:15], v16, v5, s[14:15]
	v_mad_u64_u32 v[4:5], s[14:15], v25, 6, v[6:7]
	v_sub_u32_e64 v5, s16, v25 clamp
	v_or_b32_e32 v15, 4, v36
	v_min_u32_e32 v30, v5, v15
	v_add_u32_e32 v15, 4, v30
	v_and_b32_e32 v32, 0x1f8, v36
	v_min_u32_e32 v31, v5, v15
	v_and_b32_e32 v15, 4, v36
	v_min_u32_e32 v49, v5, v15
	v_sub_u32_e32 v15, v30, v32
	v_sub_u32_e32 v16, v31, v30
	v_sub_u32_e64 v50, v49, v16 clamp
	v_min_u32_e32 v15, v49, v15
	v_lshl_add_u32 v7, v36, 1, v6
	v_lshl_add_u32 v29, v36, 3, v4
	v_cmp_lt_u32_e64 s[14:15], v50, v15
	ds_write_b16 v7, v38
	ds_write_b64 v29, v[17:18] offset:2048
	ds_write_b16 v7, v37 offset:2
	ds_write_b64 v29, v[19:20] offset:2056
	ds_write_b16 v7, v39 offset:4
	;; [unrolled: 2-line block ×3, first 2 shown]
	ds_write_b64 v29, v[23:24] offset:2072
	; wave barrier
	s_and_saveexec_b64 s[16:17], s[14:15]
	s_cbranch_execz .LBB1763_31
; %bb.28:
	v_lshlrev_b32_e32 v16, 1, v32
	v_lshlrev_b32_e32 v25, 1, v30
	v_add_co_u32_e64 v16, s[14:15], v6, v16
	v_add_co_u32_e64 v25, s[14:15], v6, v25
	s_mov_b64 s[20:21], 0
	v_mov_b32_e32 v26, 0xffff8000
.LBB1763_29:                            ; =>This Inner Loop Header: Depth=1
	v_add_u32_e32 v27, v15, v50
	v_lshrrev_b32_e32 v28, 1, v27
	v_and_b32_e32 v27, -2, v27
	v_xad_u32 v48, v28, -1, v49
	v_add_u32_e32 v27, v16, v27
	ds_read_u16 v27, v27
	v_lshl_add_u32 v48, v48, 1, v25
	ds_read_u16 v48, v48
	v_add_u32_e32 v51, 1, v28
	s_waitcnt lgkmcnt(1)
	v_add_f16_e32 v27, 0, v27
	v_cmp_lt_i16_e64 s[14:15], -1, v27
	s_waitcnt lgkmcnt(0)
	v_add_f16_e32 v48, 0, v48
	v_cndmask_b32_e64 v52, -1, v26, s[14:15]
	v_cmp_lt_i16_e64 s[14:15], -1, v48
	v_cndmask_b32_e64 v53, -1, v26, s[14:15]
	v_xor_b32_e32 v27, v52, v27
	v_xor_b32_e32 v48, v53, v48
	v_cmp_gt_u16_e64 s[14:15], v48, v27
	v_cndmask_b32_e64 v15, v15, v28, s[14:15]
	v_cndmask_b32_e64 v50, v51, v50, s[14:15]
	v_cmp_ge_u32_e64 s[14:15], v50, v15
	s_or_b64 s[20:21], s[14:15], s[20:21]
	s_andn2_b64 exec, exec, s[20:21]
	s_cbranch_execnz .LBB1763_29
; %bb.30:
	s_or_b64 exec, exec, s[20:21]
.LBB1763_31:
	s_or_b64 exec, exec, s[16:17]
	v_add_u32_e32 v48, v50, v32
	v_add_u32_e32 v32, v30, v49
	v_sub_u32_e32 v49, v32, v50
	v_cmp_le_u32_e64 s[14:15], v48, v30
	v_cmp_le_u32_e64 s[16:17], v49, v31
	v_add_u32_e32 v15, 0x800, v29
	v_add_u32_e32 v16, 2, v7
	;; [unrolled: 1-line block ×7, first 2 shown]
	s_or_b64 s[14:15], s[14:15], s[16:17]
	s_and_saveexec_b64 s[20:21], s[14:15]
	s_cbranch_execz .LBB1763_51
; %bb.32:
	v_cmp_ge_u32_e64 s[14:15], v48, v30
	v_cmp_lt_u32_e64 s[16:17], v48, v30
                                        ; implicit-def: $vgpr11
	s_and_saveexec_b64 s[22:23], s[16:17]
; %bb.33:
	v_lshl_add_u32 v11, v48, 1, v6
	ds_read_u16 v11, v11
; %bb.34:
	s_or_b64 exec, exec, s[22:23]
	v_cmp_ge_u32_e64 s[22:23], v49, v31
	v_cmp_lt_u32_e64 s[16:17], v49, v31
                                        ; implicit-def: $vgpr32
	s_and_saveexec_b64 s[24:25], s[16:17]
; %bb.35:
	v_lshl_add_u32 v17, v49, 1, v6
	ds_read_u16 v32, v17
; %bb.36:
	s_or_b64 exec, exec, s[24:25]
	s_nor_b64 s[14:15], s[14:15], s[22:23]
	s_and_saveexec_b64 s[16:17], s[14:15]
	s_cbranch_execz .LBB1763_38
; %bb.37:
	s_waitcnt lgkmcnt(0)
	v_add_f16_e32 v17, 0, v32
	v_add_f16_e32 v18, 0, v11
	v_mov_b32_e32 v19, 0xffff8000
	v_cmp_lt_i16_e64 s[14:15], -1, v17
	v_cndmask_b32_e64 v20, -1, v19, s[14:15]
	v_cmp_lt_i16_e64 s[14:15], -1, v18
	v_cndmask_b32_e64 v19, -1, v19, s[14:15]
	v_xor_b32_e32 v17, v20, v17
	v_xor_b32_e32 v18, v19, v18
	v_cmp_le_u16_e64 s[14:15], v17, v18
	s_andn2_b64 s[22:23], s[22:23], exec
	s_and_b64 s[14:15], s[14:15], exec
	s_or_b64 s[22:23], s[22:23], s[14:15]
.LBB1763_38:
	s_or_b64 exec, exec, s[16:17]
	v_cndmask_b32_e64 v17, v49, v48, s[22:23]
	v_cndmask_b32_e64 v18, v31, v30, s[22:23]
	v_add_u32_e32 v19, 1, v17
	v_add_u32_e32 v18, -1, v18
	v_min_u32_e32 v18, v19, v18
	v_lshl_add_u32 v18, v18, 1, v6
	ds_read_u16 v20, v18
	v_lshl_add_u32 v17, v17, 3, v4
	ds_read_b64 v[17:18], v17 offset:2048
	v_cndmask_b32_e64 v21, v19, v49, s[22:23]
	v_cndmask_b32_e64 v22, v48, v19, s[22:23]
	s_waitcnt lgkmcnt(1)
	v_cndmask_b32_e64 v37, v20, v32, s[22:23]
	v_cndmask_b32_e64 v38, v11, v20, s[22:23]
	v_cmp_lt_u32_e64 s[14:15], v21, v31
	s_mov_b64 s[24:25], -1
	s_mov_b64 s[16:17], -1
	s_and_saveexec_b64 s[26:27], s[14:15]
	s_cbranch_execz .LBB1763_42
; %bb.39:
	v_cmp_lt_u32_e64 s[14:15], v22, v30
	s_mov_b64 s[28:29], 0
	s_and_saveexec_b64 s[16:17], s[14:15]
	s_cbranch_execz .LBB1763_41
; %bb.40:
	v_add_f16_e32 v19, 0, v37
	v_add_f16_e32 v20, 0, v38
	v_mov_b32_e32 v23, 0xffff8000
	v_cmp_lt_i16_e64 s[14:15], -1, v19
	v_cndmask_b32_e64 v24, -1, v23, s[14:15]
	v_cmp_lt_i16_e64 s[14:15], -1, v20
	v_cndmask_b32_e64 v23, -1, v23, s[14:15]
	v_xor_b32_e32 v19, v24, v19
	v_xor_b32_e32 v20, v23, v20
	v_cmp_le_u16_e64 s[14:15], v19, v20
	s_and_b64 s[28:29], s[14:15], exec
.LBB1763_41:
	s_or_b64 exec, exec, s[16:17]
	s_orn2_b64 s[16:17], s[28:29], exec
.LBB1763_42:
	s_or_b64 exec, exec, s[26:27]
	v_cndmask_b32_e64 v19, v21, v22, s[16:17]
	v_cndmask_b32_e64 v20, v31, v30, s[16:17]
	v_add_u32_e32 v24, 1, v19
	v_add_u32_e32 v20, -1, v20
	v_min_u32_e32 v20, v24, v20
	v_lshl_add_u32 v20, v20, 1, v6
	ds_read_u16 v23, v20
	v_lshl_add_u32 v19, v19, 3, v4
	ds_read_b64 v[19:20], v19 offset:2048
	s_waitcnt lgkmcnt(1)
	v_cndmask_b32_e64 v39, v23, v37, s[16:17]
	v_cndmask_b32_e64 v48, v38, v23, s[16:17]
	;; [unrolled: 1-line block ×4, first 2 shown]
	v_cmp_lt_u32_e64 s[14:15], v23, v31
	s_and_saveexec_b64 s[26:27], s[14:15]
	s_cbranch_execz .LBB1763_46
; %bb.43:
	v_cmp_lt_u32_e64 s[14:15], v24, v30
	s_mov_b64 s[28:29], 0
	s_and_saveexec_b64 s[24:25], s[14:15]
	s_cbranch_execz .LBB1763_45
; %bb.44:
	v_add_f16_e32 v21, 0, v39
	v_add_f16_e32 v22, 0, v48
	v_mov_b32_e32 v49, 0xffff8000
	v_cmp_lt_i16_e64 s[14:15], -1, v21
	v_cndmask_b32_e64 v50, -1, v49, s[14:15]
	v_cmp_lt_i16_e64 s[14:15], -1, v22
	v_cndmask_b32_e64 v49, -1, v49, s[14:15]
	v_xor_b32_e32 v21, v50, v21
	v_xor_b32_e32 v22, v49, v22
	v_cmp_le_u16_e64 s[14:15], v21, v22
	s_and_b64 s[28:29], s[14:15], exec
.LBB1763_45:
	s_or_b64 exec, exec, s[24:25]
	s_orn2_b64 s[24:25], s[28:29], exec
.LBB1763_46:
	s_or_b64 exec, exec, s[26:27]
	v_cndmask_b32_e64 v21, v23, v24, s[24:25]
	v_cndmask_b32_e64 v22, v31, v30, s[24:25]
	v_add_u32_e32 v51, 1, v21
	v_add_u32_e32 v22, -1, v22
	v_min_u32_e32 v22, v51, v22
	v_lshl_add_u32 v22, v22, 1, v6
	ds_read_u16 v50, v22
	v_lshl_add_u32 v21, v21, 3, v4
	ds_read_b64 v[21:22], v21 offset:2048
	v_cndmask_b32_e64 v23, v51, v23, s[24:25]
	v_cndmask_b32_e64 v24, v24, v51, s[24:25]
	s_waitcnt lgkmcnt(1)
	v_cndmask_b32_e64 v49, v50, v39, s[24:25]
	v_cndmask_b32_e64 v50, v48, v50, s[24:25]
	v_cmp_lt_u32_e64 s[14:15], v23, v31
	s_mov_b64 s[28:29], -1
	s_and_saveexec_b64 s[26:27], s[14:15]
	s_cbranch_execz .LBB1763_50
; %bb.47:
	v_cmp_lt_u32_e64 s[14:15], v24, v30
	s_mov_b64 s[40:41], 0
	s_and_saveexec_b64 s[28:29], s[14:15]
	s_cbranch_execz .LBB1763_49
; %bb.48:
	v_add_f16_e32 v30, 0, v49
	v_add_f16_e32 v31, 0, v50
	v_mov_b32_e32 v51, 0xffff8000
	v_cmp_lt_i16_e64 s[14:15], -1, v30
	v_cndmask_b32_e64 v52, -1, v51, s[14:15]
	v_cmp_lt_i16_e64 s[14:15], -1, v31
	v_cndmask_b32_e64 v51, -1, v51, s[14:15]
	v_xor_b32_e32 v30, v52, v30
	v_xor_b32_e32 v31, v51, v31
	v_cmp_le_u16_e64 s[14:15], v30, v31
	s_and_b64 s[40:41], s[14:15], exec
.LBB1763_49:
	s_or_b64 exec, exec, s[28:29]
	s_orn2_b64 s[28:29], s[40:41], exec
.LBB1763_50:
	s_or_b64 exec, exec, s[26:27]
	v_cndmask_b32_e64 v23, v23, v24, s[28:29]
	v_lshl_add_u32 v23, v23, 3, v4
	ds_read_b64 v[23:24], v23 offset:2048
	v_cndmask_b32_e64 v39, v39, v48, s[24:25]
	v_cndmask_b32_e64 v37, v37, v38, s[16:17]
	;; [unrolled: 1-line block ×4, first 2 shown]
.LBB1763_51:
	s_or_b64 exec, exec, s[20:21]
	v_and_b32_e32 v32, 0x1f0, v36
	v_or_b32_e32 v30, 8, v32
	v_min_u32_e32 v30, v5, v30
	v_add_u32_e32 v31, 8, v30
	v_min_u32_e32 v31, v5, v31
	v_and_b32_e32 v48, 12, v36
	v_min_u32_e32 v49, v5, v48
	v_sub_u32_e32 v48, v30, v32
	v_sub_u32_e32 v50, v31, v30
	v_sub_u32_e64 v50, v49, v50 clamp
	v_min_u32_e32 v48, v49, v48
	v_cmp_lt_u32_e64 s[14:15], v50, v48
	; wave barrier
	ds_write_b16 v7, v38
	ds_write_b64 v15, v[17:18]
	ds_write_b16 v16, v37
	ds_write_b64 v25, v[19:20]
	ds_write_b16 v26, v39
	s_waitcnt lgkmcnt(6)
	ds_write_b64 v27, v[21:22]
	ds_write_b16 v28, v11
	s_waitcnt lgkmcnt(7)
	ds_write_b64 v29, v[23:24]
	; wave barrier
	s_and_saveexec_b64 s[16:17], s[14:15]
	s_cbranch_execz .LBB1763_55
; %bb.52:
	v_lshlrev_b32_e32 v51, 1, v32
	v_lshlrev_b32_e32 v52, 1, v30
	v_add_co_u32_e64 v51, s[14:15], v6, v51
	v_add_co_u32_e64 v52, s[14:15], v6, v52
	s_mov_b64 s[20:21], 0
	v_mov_b32_e32 v53, 0xffff8000
.LBB1763_53:                            ; =>This Inner Loop Header: Depth=1
	v_add_u32_e32 v54, v48, v50
	v_lshrrev_b32_e32 v55, 1, v54
	v_and_b32_e32 v54, -2, v54
	v_xad_u32 v64, v55, -1, v49
	v_add_u32_e32 v54, v51, v54
	ds_read_u16 v54, v54
	v_lshl_add_u32 v64, v64, 1, v52
	ds_read_u16 v64, v64
	v_add_u32_e32 v65, 1, v55
	s_waitcnt lgkmcnt(1)
	v_add_f16_e32 v54, 0, v54
	v_cmp_lt_i16_e64 s[14:15], -1, v54
	s_waitcnt lgkmcnt(0)
	v_add_f16_e32 v64, 0, v64
	v_cndmask_b32_e64 v66, -1, v53, s[14:15]
	v_cmp_lt_i16_e64 s[14:15], -1, v64
	v_cndmask_b32_e64 v67, -1, v53, s[14:15]
	v_xor_b32_e32 v54, v66, v54
	v_xor_b32_e32 v64, v67, v64
	v_cmp_gt_u16_e64 s[14:15], v64, v54
	v_cndmask_b32_e64 v48, v48, v55, s[14:15]
	v_cndmask_b32_e64 v50, v65, v50, s[14:15]
	v_cmp_ge_u32_e64 s[14:15], v50, v48
	s_or_b64 s[20:21], s[14:15], s[20:21]
	s_andn2_b64 exec, exec, s[20:21]
	s_cbranch_execnz .LBB1763_53
; %bb.54:
	s_or_b64 exec, exec, s[20:21]
.LBB1763_55:
	s_or_b64 exec, exec, s[16:17]
	v_add_u32_e32 v48, v50, v32
	v_add_u32_e32 v32, v30, v49
	v_sub_u32_e32 v49, v32, v50
	v_cmp_le_u32_e64 s[14:15], v48, v30
	v_cmp_le_u32_e64 s[16:17], v49, v31
	s_or_b64 s[14:15], s[14:15], s[16:17]
	s_and_saveexec_b64 s[20:21], s[14:15]
	s_cbranch_execz .LBB1763_75
; %bb.56:
	v_cmp_ge_u32_e64 s[14:15], v48, v30
	v_cmp_lt_u32_e64 s[16:17], v48, v30
                                        ; implicit-def: $vgpr11
	s_and_saveexec_b64 s[22:23], s[16:17]
; %bb.57:
	v_lshl_add_u32 v11, v48, 1, v6
	ds_read_u16 v11, v11
; %bb.58:
	s_or_b64 exec, exec, s[22:23]
	v_cmp_ge_u32_e64 s[22:23], v49, v31
	v_cmp_lt_u32_e64 s[16:17], v49, v31
                                        ; implicit-def: $vgpr32
	s_and_saveexec_b64 s[24:25], s[16:17]
; %bb.59:
	v_lshl_add_u32 v17, v49, 1, v6
	ds_read_u16 v32, v17
; %bb.60:
	s_or_b64 exec, exec, s[24:25]
	s_nor_b64 s[14:15], s[14:15], s[22:23]
	s_and_saveexec_b64 s[16:17], s[14:15]
	s_cbranch_execz .LBB1763_62
; %bb.61:
	s_waitcnt lgkmcnt(0)
	v_add_f16_e32 v17, 0, v32
	v_add_f16_e32 v18, 0, v11
	v_mov_b32_e32 v19, 0xffff8000
	v_cmp_lt_i16_e64 s[14:15], -1, v17
	v_cndmask_b32_e64 v20, -1, v19, s[14:15]
	v_cmp_lt_i16_e64 s[14:15], -1, v18
	v_cndmask_b32_e64 v19, -1, v19, s[14:15]
	v_xor_b32_e32 v17, v20, v17
	v_xor_b32_e32 v18, v19, v18
	v_cmp_le_u16_e64 s[14:15], v17, v18
	s_andn2_b64 s[22:23], s[22:23], exec
	s_and_b64 s[14:15], s[14:15], exec
	s_or_b64 s[22:23], s[22:23], s[14:15]
.LBB1763_62:
	s_or_b64 exec, exec, s[16:17]
	v_cndmask_b32_e64 v17, v49, v48, s[22:23]
	v_cndmask_b32_e64 v18, v31, v30, s[22:23]
	v_add_u32_e32 v19, 1, v17
	v_add_u32_e32 v18, -1, v18
	v_min_u32_e32 v18, v19, v18
	v_lshl_add_u32 v18, v18, 1, v6
	ds_read_u16 v20, v18
	v_lshl_add_u32 v17, v17, 3, v4
	ds_read_b64 v[17:18], v17 offset:2048
	v_cndmask_b32_e64 v21, v19, v49, s[22:23]
	v_cndmask_b32_e64 v22, v48, v19, s[22:23]
	s_waitcnt lgkmcnt(1)
	v_cndmask_b32_e64 v37, v20, v32, s[22:23]
	v_cndmask_b32_e64 v38, v11, v20, s[22:23]
	v_cmp_lt_u32_e64 s[14:15], v21, v31
	s_mov_b64 s[24:25], -1
	s_mov_b64 s[16:17], -1
	s_and_saveexec_b64 s[26:27], s[14:15]
	s_cbranch_execz .LBB1763_66
; %bb.63:
	v_cmp_lt_u32_e64 s[14:15], v22, v30
	s_mov_b64 s[28:29], 0
	s_and_saveexec_b64 s[16:17], s[14:15]
	s_cbranch_execz .LBB1763_65
; %bb.64:
	v_add_f16_e32 v19, 0, v37
	v_add_f16_e32 v20, 0, v38
	v_mov_b32_e32 v23, 0xffff8000
	v_cmp_lt_i16_e64 s[14:15], -1, v19
	v_cndmask_b32_e64 v24, -1, v23, s[14:15]
	v_cmp_lt_i16_e64 s[14:15], -1, v20
	v_cndmask_b32_e64 v23, -1, v23, s[14:15]
	v_xor_b32_e32 v19, v24, v19
	v_xor_b32_e32 v20, v23, v20
	v_cmp_le_u16_e64 s[14:15], v19, v20
	s_and_b64 s[28:29], s[14:15], exec
.LBB1763_65:
	s_or_b64 exec, exec, s[16:17]
	s_orn2_b64 s[16:17], s[28:29], exec
.LBB1763_66:
	s_or_b64 exec, exec, s[26:27]
	v_cndmask_b32_e64 v19, v21, v22, s[16:17]
	v_cndmask_b32_e64 v20, v31, v30, s[16:17]
	v_add_u32_e32 v24, 1, v19
	v_add_u32_e32 v20, -1, v20
	v_min_u32_e32 v20, v24, v20
	v_lshl_add_u32 v20, v20, 1, v6
	ds_read_u16 v23, v20
	v_lshl_add_u32 v19, v19, 3, v4
	ds_read_b64 v[19:20], v19 offset:2048
	s_waitcnt lgkmcnt(1)
	v_cndmask_b32_e64 v39, v23, v37, s[16:17]
	v_cndmask_b32_e64 v48, v38, v23, s[16:17]
	;; [unrolled: 1-line block ×4, first 2 shown]
	v_cmp_lt_u32_e64 s[14:15], v23, v31
	s_and_saveexec_b64 s[26:27], s[14:15]
	s_cbranch_execz .LBB1763_70
; %bb.67:
	v_cmp_lt_u32_e64 s[14:15], v24, v30
	s_mov_b64 s[28:29], 0
	s_and_saveexec_b64 s[24:25], s[14:15]
	s_cbranch_execz .LBB1763_69
; %bb.68:
	v_add_f16_e32 v21, 0, v39
	v_add_f16_e32 v22, 0, v48
	v_mov_b32_e32 v49, 0xffff8000
	v_cmp_lt_i16_e64 s[14:15], -1, v21
	v_cndmask_b32_e64 v50, -1, v49, s[14:15]
	v_cmp_lt_i16_e64 s[14:15], -1, v22
	v_cndmask_b32_e64 v49, -1, v49, s[14:15]
	v_xor_b32_e32 v21, v50, v21
	v_xor_b32_e32 v22, v49, v22
	v_cmp_le_u16_e64 s[14:15], v21, v22
	s_and_b64 s[28:29], s[14:15], exec
.LBB1763_69:
	s_or_b64 exec, exec, s[24:25]
	s_orn2_b64 s[24:25], s[28:29], exec
.LBB1763_70:
	s_or_b64 exec, exec, s[26:27]
	v_cndmask_b32_e64 v21, v23, v24, s[24:25]
	v_cndmask_b32_e64 v22, v31, v30, s[24:25]
	v_add_u32_e32 v51, 1, v21
	v_add_u32_e32 v22, -1, v22
	v_min_u32_e32 v22, v51, v22
	v_lshl_add_u32 v22, v22, 1, v6
	ds_read_u16 v50, v22
	v_lshl_add_u32 v21, v21, 3, v4
	ds_read_b64 v[21:22], v21 offset:2048
	v_cndmask_b32_e64 v23, v51, v23, s[24:25]
	v_cndmask_b32_e64 v24, v24, v51, s[24:25]
	s_waitcnt lgkmcnt(1)
	v_cndmask_b32_e64 v49, v50, v39, s[24:25]
	v_cndmask_b32_e64 v50, v48, v50, s[24:25]
	v_cmp_lt_u32_e64 s[14:15], v23, v31
	s_mov_b64 s[28:29], -1
	s_and_saveexec_b64 s[26:27], s[14:15]
	s_cbranch_execz .LBB1763_74
; %bb.71:
	v_cmp_lt_u32_e64 s[14:15], v24, v30
	s_mov_b64 s[40:41], 0
	s_and_saveexec_b64 s[28:29], s[14:15]
	s_cbranch_execz .LBB1763_73
; %bb.72:
	v_add_f16_e32 v30, 0, v49
	v_add_f16_e32 v31, 0, v50
	v_mov_b32_e32 v51, 0xffff8000
	v_cmp_lt_i16_e64 s[14:15], -1, v30
	v_cndmask_b32_e64 v52, -1, v51, s[14:15]
	v_cmp_lt_i16_e64 s[14:15], -1, v31
	v_cndmask_b32_e64 v51, -1, v51, s[14:15]
	v_xor_b32_e32 v30, v52, v30
	v_xor_b32_e32 v31, v51, v31
	v_cmp_le_u16_e64 s[14:15], v30, v31
	s_and_b64 s[40:41], s[14:15], exec
.LBB1763_73:
	s_or_b64 exec, exec, s[28:29]
	s_orn2_b64 s[28:29], s[40:41], exec
.LBB1763_74:
	s_or_b64 exec, exec, s[26:27]
	v_cndmask_b32_e64 v23, v23, v24, s[28:29]
	v_lshl_add_u32 v23, v23, 3, v4
	ds_read_b64 v[23:24], v23 offset:2048
	v_cndmask_b32_e64 v39, v39, v48, s[24:25]
	v_cndmask_b32_e64 v37, v37, v38, s[16:17]
	;; [unrolled: 1-line block ×4, first 2 shown]
.LBB1763_75:
	s_or_b64 exec, exec, s[20:21]
	; wave barrier
	ds_write_b16 v7, v38
	ds_write_b64 v15, v[17:18]
	ds_write_b16 v16, v37
	ds_write_b64 v25, v[19:20]
	ds_write_b16 v26, v39
	s_waitcnt lgkmcnt(6)
	ds_write_b64 v27, v[21:22]
	ds_write_b16 v28, v11
	s_waitcnt lgkmcnt(7)
	ds_write_b64 v29, v[23:24]
	v_and_b32_e32 v16, 0x1e0, v36
	v_or_b32_e32 v7, 16, v16
	v_min_u32_e32 v7, v5, v7
	v_add_u32_e32 v15, 16, v7
	v_min_u32_e32 v15, v5, v15
	v_min_u32_e32 v5, v5, v12
	v_sub_u32_e32 v26, v7, v16
	v_sub_u32_e32 v25, v15, v7
	v_sub_u32_e64 v25, v5, v25 clamp
	v_min_u32_e32 v26, v5, v26
	v_cmp_lt_u32_e64 s[14:15], v25, v26
	; wave barrier
	s_and_saveexec_b64 s[16:17], s[14:15]
	s_cbranch_execz .LBB1763_79
; %bb.76:
	v_lshlrev_b32_e32 v27, 1, v16
	v_lshlrev_b32_e32 v28, 1, v7
	v_add_co_u32_e64 v27, s[14:15], v6, v27
	v_add_co_u32_e64 v28, s[14:15], v6, v28
	s_mov_b64 s[20:21], 0
	v_mov_b32_e32 v29, 0xffff8000
.LBB1763_77:                            ; =>This Inner Loop Header: Depth=1
	v_add_u32_e32 v30, v26, v25
	v_lshrrev_b32_e32 v31, 1, v30
	v_and_b32_e32 v30, -2, v30
	v_xad_u32 v32, v31, -1, v5
	v_add_u32_e32 v30, v27, v30
	ds_read_u16 v30, v30
	v_lshl_add_u32 v32, v32, 1, v28
	ds_read_u16 v32, v32
	v_add_u32_e32 v36, 1, v31
	s_waitcnt lgkmcnt(1)
	v_add_f16_e32 v30, 0, v30
	v_cmp_lt_i16_e64 s[14:15], -1, v30
	s_waitcnt lgkmcnt(0)
	v_add_f16_e32 v32, 0, v32
	v_cndmask_b32_e64 v48, -1, v29, s[14:15]
	v_cmp_lt_i16_e64 s[14:15], -1, v32
	v_cndmask_b32_e64 v49, -1, v29, s[14:15]
	v_xor_b32_e32 v30, v48, v30
	v_xor_b32_e32 v32, v49, v32
	v_cmp_gt_u16_e64 s[14:15], v32, v30
	v_cndmask_b32_e64 v26, v26, v31, s[14:15]
	v_cndmask_b32_e64 v25, v36, v25, s[14:15]
	v_cmp_ge_u32_e64 s[14:15], v25, v26
	s_or_b64 s[20:21], s[14:15], s[20:21]
	s_andn2_b64 exec, exec, s[20:21]
	s_cbranch_execnz .LBB1763_77
; %bb.78:
	s_or_b64 exec, exec, s[20:21]
.LBB1763_79:
	s_or_b64 exec, exec, s[16:17]
	v_add_u32_e32 v5, v7, v5
	v_add_u32_e32 v26, v25, v16
	v_sub_u32_e32 v27, v5, v25
	v_cmp_le_u32_e64 s[14:15], v26, v7
	v_cmp_le_u32_e64 s[16:17], v27, v15
	s_or_b64 s[14:15], s[14:15], s[16:17]
	s_and_saveexec_b64 s[20:21], s[14:15]
	s_cbranch_execz .LBB1763_99
; %bb.80:
	v_cmp_ge_u32_e64 s[14:15], v26, v7
	v_cmp_lt_u32_e64 s[16:17], v26, v7
                                        ; implicit-def: $vgpr5
	s_and_saveexec_b64 s[22:23], s[16:17]
; %bb.81:
	v_lshl_add_u32 v5, v26, 1, v6
	ds_read_u16 v5, v5
; %bb.82:
	s_or_b64 exec, exec, s[22:23]
	v_cmp_ge_u32_e64 s[22:23], v27, v15
	v_cmp_lt_u32_e64 s[16:17], v27, v15
                                        ; implicit-def: $vgpr11
	s_and_saveexec_b64 s[24:25], s[16:17]
; %bb.83:
	v_lshl_add_u32 v11, v27, 1, v6
	ds_read_u16 v11, v11
; %bb.84:
	s_or_b64 exec, exec, s[24:25]
	s_nor_b64 s[14:15], s[14:15], s[22:23]
	s_and_saveexec_b64 s[16:17], s[14:15]
	s_cbranch_execz .LBB1763_86
; %bb.85:
	s_waitcnt lgkmcnt(0)
	v_add_f16_e32 v16, 0, v11
	v_add_f16_e32 v17, 0, v5
	v_mov_b32_e32 v18, 0xffff8000
	v_cmp_lt_i16_e64 s[14:15], -1, v16
	v_cndmask_b32_e64 v19, -1, v18, s[14:15]
	v_cmp_lt_i16_e64 s[14:15], -1, v17
	v_cndmask_b32_e64 v18, -1, v18, s[14:15]
	v_xor_b32_e32 v16, v19, v16
	v_xor_b32_e32 v17, v18, v17
	v_cmp_le_u16_e64 s[14:15], v16, v17
	s_andn2_b64 s[22:23], s[22:23], exec
	s_and_b64 s[14:15], s[14:15], exec
	s_or_b64 s[22:23], s[22:23], s[14:15]
.LBB1763_86:
	s_or_b64 exec, exec, s[16:17]
	v_cndmask_b32_e64 v16, v27, v26, s[22:23]
	v_cndmask_b32_e64 v17, v15, v7, s[22:23]
	v_add_u32_e32 v19, 1, v16
	v_add_u32_e32 v17, -1, v17
	v_min_u32_e32 v17, v19, v17
	v_lshl_add_u32 v17, v17, 1, v6
	ds_read_u16 v20, v17
	v_lshl_add_u32 v16, v16, 3, v4
	ds_read_b64 v[17:18], v16 offset:2048
	v_cndmask_b32_e64 v21, v19, v27, s[22:23]
	v_cndmask_b32_e64 v22, v26, v19, s[22:23]
	s_waitcnt lgkmcnt(1)
	v_cndmask_b32_e64 v16, v20, v11, s[22:23]
	v_cndmask_b32_e64 v25, v5, v20, s[22:23]
	v_cmp_lt_u32_e64 s[14:15], v21, v15
	s_mov_b64 s[24:25], -1
	s_mov_b64 s[16:17], -1
	s_and_saveexec_b64 s[26:27], s[14:15]
	s_cbranch_execz .LBB1763_90
; %bb.87:
	v_cmp_lt_u32_e64 s[14:15], v22, v7
	s_mov_b64 s[28:29], 0
	s_and_saveexec_b64 s[16:17], s[14:15]
	s_cbranch_execz .LBB1763_89
; %bb.88:
	v_add_f16_e32 v19, 0, v16
	v_add_f16_e32 v20, 0, v25
	v_mov_b32_e32 v23, 0xffff8000
	v_cmp_lt_i16_e64 s[14:15], -1, v19
	v_cndmask_b32_e64 v24, -1, v23, s[14:15]
	v_cmp_lt_i16_e64 s[14:15], -1, v20
	v_cndmask_b32_e64 v23, -1, v23, s[14:15]
	v_xor_b32_e32 v19, v24, v19
	v_xor_b32_e32 v20, v23, v20
	v_cmp_le_u16_e64 s[14:15], v19, v20
	s_and_b64 s[28:29], s[14:15], exec
.LBB1763_89:
	s_or_b64 exec, exec, s[16:17]
	s_orn2_b64 s[16:17], s[28:29], exec
.LBB1763_90:
	s_or_b64 exec, exec, s[26:27]
	v_cndmask_b32_e64 v19, v21, v22, s[16:17]
	v_cndmask_b32_e64 v20, v15, v7, s[16:17]
	v_add_u32_e32 v24, 1, v19
	v_add_u32_e32 v20, -1, v20
	v_min_u32_e32 v20, v24, v20
	v_lshl_add_u32 v20, v20, 1, v6
	ds_read_u16 v23, v20
	v_lshl_add_u32 v19, v19, 3, v4
	ds_read_b64 v[19:20], v19 offset:2048
	s_waitcnt lgkmcnt(1)
	v_cndmask_b32_e64 v26, v23, v16, s[16:17]
	v_cndmask_b32_e64 v27, v25, v23, s[16:17]
	;; [unrolled: 1-line block ×4, first 2 shown]
	v_cmp_lt_u32_e64 s[14:15], v23, v15
	s_and_saveexec_b64 s[26:27], s[14:15]
	s_cbranch_execz .LBB1763_94
; %bb.91:
	v_cmp_lt_u32_e64 s[14:15], v24, v7
	s_mov_b64 s[28:29], 0
	s_and_saveexec_b64 s[24:25], s[14:15]
	s_cbranch_execz .LBB1763_93
; %bb.92:
	v_add_f16_e32 v21, 0, v26
	v_add_f16_e32 v22, 0, v27
	v_mov_b32_e32 v28, 0xffff8000
	v_cmp_lt_i16_e64 s[14:15], -1, v21
	v_cndmask_b32_e64 v29, -1, v28, s[14:15]
	v_cmp_lt_i16_e64 s[14:15], -1, v22
	v_cndmask_b32_e64 v28, -1, v28, s[14:15]
	v_xor_b32_e32 v21, v29, v21
	v_xor_b32_e32 v22, v28, v22
	v_cmp_le_u16_e64 s[14:15], v21, v22
	s_and_b64 s[28:29], s[14:15], exec
.LBB1763_93:
	s_or_b64 exec, exec, s[24:25]
	s_orn2_b64 s[24:25], s[28:29], exec
.LBB1763_94:
	s_or_b64 exec, exec, s[26:27]
	v_cndmask_b32_e64 v21, v23, v24, s[24:25]
	v_cndmask_b32_e64 v22, v15, v7, s[24:25]
	v_add_u32_e32 v29, 1, v21
	v_add_u32_e32 v22, -1, v22
	v_min_u32_e32 v22, v29, v22
	v_lshl_add_u32 v6, v22, 1, v6
	ds_read_u16 v28, v6
	v_lshl_add_u32 v6, v21, 3, v4
	ds_read_b64 v[21:22], v6 offset:2048
	v_cndmask_b32_e64 v23, v29, v23, s[24:25]
	v_cndmask_b32_e64 v24, v24, v29, s[24:25]
	s_waitcnt lgkmcnt(1)
	v_cndmask_b32_e64 v6, v28, v26, s[24:25]
	v_cndmask_b32_e64 v28, v27, v28, s[24:25]
	v_cmp_lt_u32_e64 s[14:15], v23, v15
	s_mov_b64 s[28:29], -1
	s_and_saveexec_b64 s[26:27], s[14:15]
	s_cbranch_execz .LBB1763_98
; %bb.95:
	v_cmp_lt_u32_e64 s[14:15], v24, v7
	s_mov_b64 s[40:41], 0
	s_and_saveexec_b64 s[28:29], s[14:15]
	s_cbranch_execz .LBB1763_97
; %bb.96:
	v_add_f16_e32 v7, 0, v6
	v_add_f16_e32 v15, 0, v28
	v_mov_b32_e32 v29, 0xffff8000
	v_cmp_lt_i16_e64 s[14:15], -1, v7
	v_cndmask_b32_e64 v30, -1, v29, s[14:15]
	v_cmp_lt_i16_e64 s[14:15], -1, v15
	v_cndmask_b32_e64 v29, -1, v29, s[14:15]
	v_xor_b32_e32 v7, v30, v7
	v_xor_b32_e32 v15, v29, v15
	v_cmp_le_u16_e64 s[14:15], v7, v15
	s_and_b64 s[40:41], s[14:15], exec
.LBB1763_97:
	s_or_b64 exec, exec, s[28:29]
	s_orn2_b64 s[28:29], s[40:41], exec
.LBB1763_98:
	s_or_b64 exec, exec, s[26:27]
	v_cndmask_b32_e64 v7, v23, v24, s[28:29]
	v_lshl_add_u32 v4, v7, 3, v4
	ds_read_b64 v[23:24], v4 offset:2048
	v_cndmask_b32_e64 v39, v26, v27, s[24:25]
	v_cndmask_b32_e64 v37, v16, v25, s[16:17]
	;; [unrolled: 1-line block ×4, first 2 shown]
.LBB1763_99:
	s_or_b64 exec, exec, s[20:21]
	v_add_co_u32_e64 v2, s[14:15], v2, v33
	v_addc_co_u32_e64 v3, s[14:15], v3, v34, s[14:15]
	v_add_co_u32_e64 v2, s[14:15], v2, v35
	v_addc_co_u32_e64 v3, s[14:15], 0, v3, s[14:15]
	; wave barrier
	s_waitcnt lgkmcnt(0)
	s_barrier
	; wave barrier
	s_and_saveexec_b64 s[14:15], vcc
	s_cbranch_execnz .LBB1763_218
; %bb.100:
	s_or_b64 exec, exec, s[14:15]
	s_and_saveexec_b64 s[14:15], s[4:5]
	s_cbranch_execnz .LBB1763_219
.LBB1763_101:
	s_or_b64 exec, exec, s[14:15]
	s_and_saveexec_b64 s[14:15], s[6:7]
	s_cbranch_execnz .LBB1763_220
.LBB1763_102:
	s_or_b64 exec, exec, s[14:15]
	s_and_saveexec_b64 s[14:15], s[10:11]
	s_cbranch_execz .LBB1763_104
.LBB1763_103:
	flat_store_short v[2:3], v11 offset:6
.LBB1763_104:
	s_or_b64 exec, exec, s[14:15]
	v_add_co_u32_e64 v0, s[14:15], v8, v0
	v_addc_co_u32_e64 v1, s[14:15], v9, v1, s[14:15]
	v_add_co_u32_e64 v0, s[14:15], v0, v10
	v_addc_co_u32_e64 v1, s[14:15], 0, v1, s[14:15]
	; wave barrier
	s_and_saveexec_b64 s[14:15], vcc
	s_cbranch_execnz .LBB1763_221
; %bb.105:
	s_or_b64 exec, exec, s[14:15]
	s_and_saveexec_b64 s[14:15], s[4:5]
	s_cbranch_execnz .LBB1763_222
.LBB1763_106:
	s_or_b64 exec, exec, s[14:15]
	s_and_saveexec_b64 s[4:5], s[6:7]
	s_cbranch_execz .LBB1763_108
.LBB1763_107:
	flat_store_dwordx2 v[0:1], v[21:22] offset:16
.LBB1763_108:
	s_or_b64 exec, exec, s[4:5]
	s_and_b64 s[16:17], s[10:11], exec
                                        ; implicit-def: $vgpr25
                                        ; implicit-def: $vgpr36
                                        ; implicit-def: $vgpr0_vgpr1
                                        ; implicit-def: $vgpr4
                                        ; implicit-def: $vgpr5
                                        ; implicit-def: $vgpr6
                                        ; implicit-def: $vgpr7
                                        ; implicit-def: $vgpr10
                                        ; implicit-def: $vgpr15
                                        ; implicit-def: $vgpr16
                                        ; implicit-def: $vgpr33_vgpr34
                                        ; implicit-def: $vgpr35
                                        ; implicit-def: $vgpr31
	s_andn2_saveexec_b64 s[18:19], s[18:19]
	s_cbranch_execz .LBB1763_2
.LBB1763_109:
	v_mov_b32_e32 v37, 0xffff
	v_mov_b32_e32 v38, 0xffff
	s_and_saveexec_b64 s[4:5], vcc
	s_cbranch_execz .LBB1763_111
; %bb.110:
	flat_load_ushort v38, v[0:1]
.LBB1763_111:
	s_or_b64 exec, exec, s[4:5]
	v_or_b32_e32 v2, 1, v12
	v_cmp_lt_u32_e64 s[4:5], v2, v25
	s_and_saveexec_b64 s[6:7], s[4:5]
	s_cbranch_execz .LBB1763_113
; %bb.112:
	flat_load_ushort v37, v[0:1] offset:2
.LBB1763_113:
	s_or_b64 exec, exec, s[6:7]
	v_or_b32_e32 v2, 2, v12
	v_cmp_lt_u32_e64 s[6:7], v2, v25
	v_mov_b32_e32 v9, 0xffff
	v_mov_b32_e32 v39, 0xffff
	s_and_saveexec_b64 s[10:11], s[6:7]
	s_cbranch_execz .LBB1763_115
; %bb.114:
	flat_load_ushort v39, v[0:1] offset:4
.LBB1763_115:
	s_or_b64 exec, exec, s[10:11]
	v_or_b32_e32 v2, 3, v12
	v_cmp_lt_u32_e64 s[10:11], v2, v25
	s_and_saveexec_b64 s[14:15], s[10:11]
	s_cbranch_execz .LBB1763_117
; %bb.116:
	flat_load_ushort v9, v[0:1] offset:6
.LBB1763_117:
	s_or_b64 exec, exec, s[14:15]
	v_lshlrev_b64 v[0:1], 3, v[13:14]
	v_lshlrev_b32_e32 v8, 3, v12
	v_add_co_u32_e64 v2, s[14:15], v6, v0
	v_addc_co_u32_e64 v3, s[14:15], v7, v1, s[14:15]
	v_mov_b32_e32 v17, 0
	v_add_co_u32_e64 v2, s[14:15], v2, v8
	v_addc_co_u32_e64 v3, s[14:15], 0, v3, s[14:15]
	v_mov_b32_e32 v18, v17
	v_mov_b32_e32 v19, v17
	v_mov_b32_e32 v20, v17
	v_mov_b32_e32 v21, v17
	v_mov_b32_e32 v22, v17
	v_mov_b32_e32 v23, v17
	v_mov_b32_e32 v24, v17
	; wave barrier
	s_and_saveexec_b64 s[14:15], vcc
	s_cbranch_execnz .LBB1763_223
; %bb.118:
	s_or_b64 exec, exec, s[14:15]
	s_and_saveexec_b64 s[14:15], s[4:5]
	s_cbranch_execnz .LBB1763_224
.LBB1763_119:
	s_or_b64 exec, exec, s[14:15]
	s_and_saveexec_b64 s[14:15], s[6:7]
	s_cbranch_execnz .LBB1763_225
.LBB1763_120:
	s_or_b64 exec, exec, s[14:15]
	s_and_saveexec_b64 s[14:15], s[10:11]
	s_cbranch_execz .LBB1763_122
.LBB1763_121:
	flat_load_dwordx2 v[23:24], v[2:3] offset:24
.LBB1763_122:
	s_or_b64 exec, exec, s[14:15]
	; wave barrier
	s_load_dwordx2 s[14:15], s[8:9], 0x0
	v_mov_b32_e32 v2, 0
	v_bfe_u32 v7, v31, 20, 10
	s_waitcnt lgkmcnt(0)
	s_cmp_lt_u32 s13, s15
	s_cselect_b32 s13, 14, 20
	s_add_u32 s20, s8, s13
	s_addc_u32 s21, s9, 0
	s_cmp_lt_u32 s12, s14
	s_cselect_b32 s12, 12, 18
	s_add_u32 s8, s8, s12
	s_addc_u32 s9, s9, 0
	global_load_ushort v3, v2, s[20:21]
	global_load_ushort v6, v2, s[8:9]
	v_bfe_u32 v2, v31, 10, 10
	s_movk_i32 s8, 0x400
	s_waitcnt vmcnt(0)
	v_mad_u32_u24 v2, v7, v3, v2
	v_mul_lo_u32 v2, v2, v6
	v_and_b32_e32 v3, 0x3ff, v31
	v_add_lshl_u32 v2, v2, v3, 2
	v_cmp_gt_u32_e64 s[8:9], s8, v2
	s_and_saveexec_b64 s[14:15], s[8:9]
	s_cbranch_execz .LBB1763_132
; %bb.123:
	v_add_f16_e32 v3, 0, v37
	v_add_f16_e32 v7, 0, v38
	v_mov_b32_e32 v6, 0xffff8000
	v_cmp_lt_i16_e64 s[8:9], -1, v3
	v_cndmask_b32_e64 v25, -1, v6, s[8:9]
	v_cmp_lt_i16_e64 s[8:9], -1, v7
	v_xor_b32_e32 v3, v25, v3
	v_cndmask_b32_e64 v25, -1, v6, s[8:9]
	v_xor_b32_e32 v7, v25, v7
	v_cmp_gt_u16_e64 s[8:9], v3, v7
	v_cndmask_b32_e64 v28, v20, v18, s[8:9]
	v_cndmask_b32_e64 v26, v18, v20, s[8:9]
	v_add_f16_e32 v18, 0, v9
	v_add_f16_e32 v7, 0, v39
	v_cmp_lt_i16_e64 s[12:13], -1, v18
	v_cndmask_b32_e64 v3, -1, v6, s[12:13]
	v_cmp_lt_i16_e64 s[12:13], -1, v7
	v_cndmask_b32_e64 v27, v19, v17, s[8:9]
	v_cndmask_b32_e64 v25, v17, v19, s[8:9]
	v_xor_b32_e32 v19, v3, v18
	v_cndmask_b32_e64 v3, -1, v6, s[12:13]
	v_xor_b32_e32 v17, v3, v7
	v_mov_b32_e32 v30, v22
	v_mov_b32_e32 v32, v24
	v_cmp_gt_u16_e64 s[12:13], v19, v17
	v_mov_b32_e32 v3, v39
	v_mov_b32_e32 v29, v21
	;; [unrolled: 1-line block ×3, first 2 shown]
	s_and_saveexec_b64 s[20:21], s[12:13]
; %bb.124:
	v_mov_b32_e32 v30, v24
	v_mov_b32_e32 v32, v22
	;; [unrolled: 1-line block ×8, first 2 shown]
; %bb.125:
	s_or_b64 exec, exec, s[20:21]
	v_cndmask_b32_e64 v18, v37, v38, s[8:9]
	v_add_f16_e32 v19, 0, v18
	v_cmp_lt_i16_e64 s[12:13], -1, v19
	v_cndmask_b32_e64 v6, -1, v6, s[12:13]
	v_xor_b32_e32 v6, v6, v19
	v_cmp_gt_u16_e64 s[12:13], v17, v6
	v_mov_b32_e32 v39, v7
	v_mov_b32_e32 v6, v18
	s_and_saveexec_b64 s[20:21], s[12:13]
	s_xor_b64 s[12:13], exec, s[20:21]
	s_cbranch_execz .LBB1763_127
; %bb.126:
	v_mov_b32_e32 v55, v32
	v_mov_b32_e32 v54, v31
	;; [unrolled: 1-line block ×26, first 2 shown]
.LBB1763_127:
	s_or_b64 exec, exec, s[12:13]
	v_cndmask_b32_e64 v7, v38, v37, s[8:9]
	v_add_f16_e32 v17, 0, v7
	v_mov_b32_e32 v38, 0xffff8000
	v_cmp_lt_i16_e64 s[8:9], -1, v19
	v_cndmask_b32_e64 v18, -1, v38, s[8:9]
	v_cmp_lt_i16_e64 s[8:9], -1, v17
	v_xor_b32_e32 v18, v18, v19
	v_cndmask_b32_e64 v19, -1, v38, s[8:9]
	v_xor_b32_e32 v17, v19, v17
	v_cmp_gt_u16_e64 s[8:9], v18, v17
	v_cndmask_b32_e64 v19, v27, v25, s[8:9]
	v_cndmask_b32_e64 v17, v25, v27, s[8:9]
	v_add_f16_e32 v25, 0, v9
	v_cmp_lt_i16_e64 s[12:13], -1, v25
	v_cndmask_b32_e64 v20, v28, v26, s[8:9]
	v_cndmask_b32_e64 v18, v26, v28, s[8:9]
	v_cndmask_b32_e64 v26, -1, v38, s[12:13]
	v_cmp_lt_i16_e64 s[12:13], -1, v39
	v_xor_b32_e32 v27, v26, v25
	v_cndmask_b32_e64 v25, -1, v38, s[12:13]
	v_xor_b32_e32 v26, v25, v39
	v_mov_b32_e32 v21, v29
	v_mov_b32_e32 v22, v30
	;; [unrolled: 1-line block ×4, first 2 shown]
	v_cmp_gt_u16_e64 s[12:13], v27, v26
	v_mov_b32_e32 v25, v3
	s_and_saveexec_b64 s[20:21], s[12:13]
; %bb.128:
	v_mov_b32_e32 v21, v31
	v_mov_b32_e32 v22, v32
	;; [unrolled: 1-line block ×7, first 2 shown]
; %bb.129:
	s_or_b64 exec, exec, s[20:21]
	v_cndmask_b32_e64 v37, v6, v7, s[8:9]
	v_add_f16_e32 v3, 0, v37
	v_cmp_lt_i16_e64 s[12:13], -1, v3
	v_cndmask_b32_e64 v27, -1, v38, s[12:13]
	v_xor_b32_e32 v3, v27, v3
	v_cmp_gt_u16_e64 s[12:13], v26, v3
	v_mov_b32_e32 v39, v25
	s_and_saveexec_b64 s[20:21], s[12:13]
	s_cbranch_execz .LBB1763_131
; %bb.130:
	v_mov_b32_e32 v48, v17
	v_mov_b32_e32 v49, v18
	;; [unrolled: 1-line block ×18, first 2 shown]
.LBB1763_131:
	s_or_b64 exec, exec, s[20:21]
	v_cndmask_b32_e64 v38, v7, v6, s[8:9]
.LBB1763_132:
	s_or_b64 exec, exec, s[14:15]
	v_and_b32_e32 v25, 0xffffff00, v2
	v_mov_b32_e32 v26, 0
	v_lshlrev_b64 v[2:3], 1, v[25:26]
	s_movk_i32 s12, 0x400
	v_add_co_u32_e64 v6, s[8:9], v15, v2
	v_addc_co_u32_e64 v7, s[8:9], v16, v3, s[8:9]
	v_mad_u64_u32 v[2:3], s[8:9], v25, 6, v[6:7]
	v_sub_u32_e64 v3, s12, v25 clamp
	v_or_b32_e32 v15, 4, v36
	v_min_u32_e32 v30, v3, v15
	v_add_u32_e32 v15, 4, v30
	v_and_b32_e32 v32, 0x1f8, v36
	v_min_u32_e32 v31, v3, v15
	v_and_b32_e32 v15, 4, v36
	v_min_u32_e32 v49, v3, v15
	v_sub_u32_e32 v15, v30, v32
	v_sub_u32_e32 v16, v31, v30
	v_sub_u32_e64 v50, v49, v16 clamp
	v_min_u32_e32 v15, v49, v15
	v_lshl_add_u32 v7, v36, 1, v6
	v_lshl_add_u32 v29, v36, 3, v2
	v_cmp_lt_u32_e64 s[8:9], v50, v15
	ds_write_b16 v7, v38
	ds_write_b64 v29, v[17:18] offset:2048
	ds_write_b16 v7, v37 offset:2
	ds_write_b64 v29, v[19:20] offset:2056
	ds_write_b16 v7, v39 offset:4
	;; [unrolled: 2-line block ×3, first 2 shown]
	ds_write_b64 v29, v[23:24] offset:2072
	; wave barrier
	s_and_saveexec_b64 s[12:13], s[8:9]
	s_cbranch_execz .LBB1763_136
; %bb.133:
	v_lshlrev_b32_e32 v16, 1, v32
	v_lshlrev_b32_e32 v25, 1, v30
	v_add_co_u32_e64 v16, s[8:9], v6, v16
	v_add_co_u32_e64 v25, s[8:9], v6, v25
	s_mov_b64 s[14:15], 0
	v_mov_b32_e32 v26, 0xffff8000
.LBB1763_134:                           ; =>This Inner Loop Header: Depth=1
	v_add_u32_e32 v27, v15, v50
	v_lshrrev_b32_e32 v28, 1, v27
	v_and_b32_e32 v27, -2, v27
	v_xad_u32 v48, v28, -1, v49
	v_add_u32_e32 v27, v16, v27
	ds_read_u16 v27, v27
	v_lshl_add_u32 v48, v48, 1, v25
	ds_read_u16 v48, v48
	v_add_u32_e32 v51, 1, v28
	s_waitcnt lgkmcnt(1)
	v_add_f16_e32 v27, 0, v27
	v_cmp_lt_i16_e64 s[8:9], -1, v27
	s_waitcnt lgkmcnt(0)
	v_add_f16_e32 v48, 0, v48
	v_cndmask_b32_e64 v52, -1, v26, s[8:9]
	v_cmp_lt_i16_e64 s[8:9], -1, v48
	v_cndmask_b32_e64 v53, -1, v26, s[8:9]
	v_xor_b32_e32 v27, v52, v27
	v_xor_b32_e32 v48, v53, v48
	v_cmp_gt_u16_e64 s[8:9], v48, v27
	v_cndmask_b32_e64 v15, v15, v28, s[8:9]
	v_cndmask_b32_e64 v50, v51, v50, s[8:9]
	v_cmp_ge_u32_e64 s[8:9], v50, v15
	s_or_b64 s[14:15], s[8:9], s[14:15]
	s_andn2_b64 exec, exec, s[14:15]
	s_cbranch_execnz .LBB1763_134
; %bb.135:
	s_or_b64 exec, exec, s[14:15]
.LBB1763_136:
	s_or_b64 exec, exec, s[12:13]
	v_add_u32_e32 v48, v50, v32
	v_add_u32_e32 v32, v30, v49
	v_sub_u32_e32 v49, v32, v50
	v_cmp_le_u32_e64 s[8:9], v48, v30
	v_cmp_le_u32_e64 s[12:13], v49, v31
	v_add_u32_e32 v15, 0x800, v29
	v_add_u32_e32 v16, 2, v7
	;; [unrolled: 1-line block ×7, first 2 shown]
	s_or_b64 s[8:9], s[8:9], s[12:13]
	s_and_saveexec_b64 s[14:15], s[8:9]
	s_cbranch_execz .LBB1763_156
; %bb.137:
	v_cmp_ge_u32_e64 s[8:9], v48, v30
	v_cmp_lt_u32_e64 s[12:13], v48, v30
                                        ; implicit-def: $vgpr9
	s_and_saveexec_b64 s[20:21], s[12:13]
; %bb.138:
	v_lshl_add_u32 v9, v48, 1, v6
	ds_read_u16 v9, v9
; %bb.139:
	s_or_b64 exec, exec, s[20:21]
	v_cmp_ge_u32_e64 s[20:21], v49, v31
	v_cmp_lt_u32_e64 s[12:13], v49, v31
                                        ; implicit-def: $vgpr32
	s_and_saveexec_b64 s[22:23], s[12:13]
; %bb.140:
	v_lshl_add_u32 v17, v49, 1, v6
	ds_read_u16 v32, v17
; %bb.141:
	s_or_b64 exec, exec, s[22:23]
	s_nor_b64 s[8:9], s[8:9], s[20:21]
	s_and_saveexec_b64 s[12:13], s[8:9]
	s_cbranch_execz .LBB1763_143
; %bb.142:
	s_waitcnt lgkmcnt(0)
	v_add_f16_e32 v17, 0, v32
	v_add_f16_e32 v18, 0, v9
	v_mov_b32_e32 v19, 0xffff8000
	v_cmp_lt_i16_e64 s[8:9], -1, v17
	v_cndmask_b32_e64 v20, -1, v19, s[8:9]
	v_cmp_lt_i16_e64 s[8:9], -1, v18
	v_cndmask_b32_e64 v19, -1, v19, s[8:9]
	v_xor_b32_e32 v17, v20, v17
	v_xor_b32_e32 v18, v19, v18
	v_cmp_le_u16_e64 s[8:9], v17, v18
	s_andn2_b64 s[20:21], s[20:21], exec
	s_and_b64 s[8:9], s[8:9], exec
	s_or_b64 s[20:21], s[20:21], s[8:9]
.LBB1763_143:
	s_or_b64 exec, exec, s[12:13]
	v_cndmask_b32_e64 v17, v49, v48, s[20:21]
	v_cndmask_b32_e64 v18, v31, v30, s[20:21]
	v_add_u32_e32 v19, 1, v17
	v_add_u32_e32 v18, -1, v18
	v_min_u32_e32 v18, v19, v18
	v_lshl_add_u32 v18, v18, 1, v6
	ds_read_u16 v20, v18
	v_lshl_add_u32 v17, v17, 3, v2
	ds_read_b64 v[17:18], v17 offset:2048
	v_cndmask_b32_e64 v21, v19, v49, s[20:21]
	v_cndmask_b32_e64 v22, v48, v19, s[20:21]
	s_waitcnt lgkmcnt(1)
	v_cndmask_b32_e64 v37, v20, v32, s[20:21]
	v_cndmask_b32_e64 v38, v9, v20, s[20:21]
	v_cmp_lt_u32_e64 s[8:9], v21, v31
	s_mov_b64 s[22:23], -1
	s_mov_b64 s[12:13], -1
	s_and_saveexec_b64 s[24:25], s[8:9]
	s_cbranch_execz .LBB1763_147
; %bb.144:
	v_cmp_lt_u32_e64 s[8:9], v22, v30
	s_mov_b64 s[26:27], 0
	s_and_saveexec_b64 s[12:13], s[8:9]
	s_cbranch_execz .LBB1763_146
; %bb.145:
	v_add_f16_e32 v19, 0, v37
	v_add_f16_e32 v20, 0, v38
	v_mov_b32_e32 v23, 0xffff8000
	v_cmp_lt_i16_e64 s[8:9], -1, v19
	v_cndmask_b32_e64 v24, -1, v23, s[8:9]
	v_cmp_lt_i16_e64 s[8:9], -1, v20
	v_cndmask_b32_e64 v23, -1, v23, s[8:9]
	v_xor_b32_e32 v19, v24, v19
	v_xor_b32_e32 v20, v23, v20
	v_cmp_le_u16_e64 s[8:9], v19, v20
	s_and_b64 s[26:27], s[8:9], exec
.LBB1763_146:
	s_or_b64 exec, exec, s[12:13]
	s_orn2_b64 s[12:13], s[26:27], exec
.LBB1763_147:
	s_or_b64 exec, exec, s[24:25]
	v_cndmask_b32_e64 v19, v21, v22, s[12:13]
	v_cndmask_b32_e64 v20, v31, v30, s[12:13]
	v_add_u32_e32 v24, 1, v19
	v_add_u32_e32 v20, -1, v20
	v_min_u32_e32 v20, v24, v20
	v_lshl_add_u32 v20, v20, 1, v6
	ds_read_u16 v23, v20
	v_lshl_add_u32 v19, v19, 3, v2
	ds_read_b64 v[19:20], v19 offset:2048
	s_waitcnt lgkmcnt(1)
	v_cndmask_b32_e64 v39, v23, v37, s[12:13]
	v_cndmask_b32_e64 v48, v38, v23, s[12:13]
	;; [unrolled: 1-line block ×4, first 2 shown]
	v_cmp_lt_u32_e64 s[8:9], v23, v31
	s_and_saveexec_b64 s[24:25], s[8:9]
	s_cbranch_execz .LBB1763_151
; %bb.148:
	v_cmp_lt_u32_e64 s[8:9], v24, v30
	s_mov_b64 s[26:27], 0
	s_and_saveexec_b64 s[22:23], s[8:9]
	s_cbranch_execz .LBB1763_150
; %bb.149:
	v_add_f16_e32 v21, 0, v39
	v_add_f16_e32 v22, 0, v48
	v_mov_b32_e32 v49, 0xffff8000
	v_cmp_lt_i16_e64 s[8:9], -1, v21
	v_cndmask_b32_e64 v50, -1, v49, s[8:9]
	v_cmp_lt_i16_e64 s[8:9], -1, v22
	v_cndmask_b32_e64 v49, -1, v49, s[8:9]
	v_xor_b32_e32 v21, v50, v21
	v_xor_b32_e32 v22, v49, v22
	v_cmp_le_u16_e64 s[8:9], v21, v22
	s_and_b64 s[26:27], s[8:9], exec
.LBB1763_150:
	s_or_b64 exec, exec, s[22:23]
	s_orn2_b64 s[22:23], s[26:27], exec
.LBB1763_151:
	s_or_b64 exec, exec, s[24:25]
	v_cndmask_b32_e64 v21, v23, v24, s[22:23]
	v_cndmask_b32_e64 v22, v31, v30, s[22:23]
	v_add_u32_e32 v51, 1, v21
	v_add_u32_e32 v22, -1, v22
	v_min_u32_e32 v22, v51, v22
	v_lshl_add_u32 v22, v22, 1, v6
	ds_read_u16 v50, v22
	v_lshl_add_u32 v21, v21, 3, v2
	ds_read_b64 v[21:22], v21 offset:2048
	v_cndmask_b32_e64 v23, v51, v23, s[22:23]
	v_cndmask_b32_e64 v24, v24, v51, s[22:23]
	s_waitcnt lgkmcnt(1)
	v_cndmask_b32_e64 v49, v50, v39, s[22:23]
	v_cndmask_b32_e64 v50, v48, v50, s[22:23]
	v_cmp_lt_u32_e64 s[8:9], v23, v31
	s_mov_b64 s[26:27], -1
	s_and_saveexec_b64 s[24:25], s[8:9]
	s_cbranch_execz .LBB1763_155
; %bb.152:
	v_cmp_lt_u32_e64 s[8:9], v24, v30
	s_mov_b64 s[28:29], 0
	s_and_saveexec_b64 s[26:27], s[8:9]
	s_cbranch_execz .LBB1763_154
; %bb.153:
	v_add_f16_e32 v30, 0, v49
	v_add_f16_e32 v31, 0, v50
	v_mov_b32_e32 v51, 0xffff8000
	v_cmp_lt_i16_e64 s[8:9], -1, v30
	v_cndmask_b32_e64 v52, -1, v51, s[8:9]
	v_cmp_lt_i16_e64 s[8:9], -1, v31
	v_cndmask_b32_e64 v51, -1, v51, s[8:9]
	v_xor_b32_e32 v30, v52, v30
	v_xor_b32_e32 v31, v51, v31
	v_cmp_le_u16_e64 s[8:9], v30, v31
	s_and_b64 s[28:29], s[8:9], exec
.LBB1763_154:
	s_or_b64 exec, exec, s[26:27]
	s_orn2_b64 s[26:27], s[28:29], exec
.LBB1763_155:
	s_or_b64 exec, exec, s[24:25]
	v_cndmask_b32_e64 v23, v23, v24, s[26:27]
	v_lshl_add_u32 v23, v23, 3, v2
	ds_read_b64 v[23:24], v23 offset:2048
	v_cndmask_b32_e64 v39, v39, v48, s[22:23]
	v_cndmask_b32_e64 v37, v37, v38, s[12:13]
	;; [unrolled: 1-line block ×4, first 2 shown]
.LBB1763_156:
	s_or_b64 exec, exec, s[14:15]
	v_and_b32_e32 v32, 0x1f0, v36
	v_or_b32_e32 v30, 8, v32
	v_min_u32_e32 v30, v3, v30
	v_add_u32_e32 v31, 8, v30
	v_min_u32_e32 v31, v3, v31
	v_and_b32_e32 v48, 12, v36
	v_min_u32_e32 v49, v3, v48
	v_sub_u32_e32 v48, v30, v32
	v_sub_u32_e32 v50, v31, v30
	v_sub_u32_e64 v50, v49, v50 clamp
	v_min_u32_e32 v48, v49, v48
	v_cmp_lt_u32_e64 s[8:9], v50, v48
	; wave barrier
	ds_write_b16 v7, v38
	ds_write_b64 v15, v[17:18]
	ds_write_b16 v16, v37
	ds_write_b64 v25, v[19:20]
	ds_write_b16 v26, v39
	s_waitcnt lgkmcnt(6)
	ds_write_b64 v27, v[21:22]
	ds_write_b16 v28, v9
	s_waitcnt lgkmcnt(7)
	ds_write_b64 v29, v[23:24]
	; wave barrier
	s_and_saveexec_b64 s[12:13], s[8:9]
	s_cbranch_execz .LBB1763_160
; %bb.157:
	v_lshlrev_b32_e32 v51, 1, v32
	v_lshlrev_b32_e32 v52, 1, v30
	v_add_co_u32_e64 v51, s[8:9], v6, v51
	v_add_co_u32_e64 v52, s[8:9], v6, v52
	s_mov_b64 s[14:15], 0
	v_mov_b32_e32 v53, 0xffff8000
.LBB1763_158:                           ; =>This Inner Loop Header: Depth=1
	v_add_u32_e32 v54, v48, v50
	v_lshrrev_b32_e32 v55, 1, v54
	v_and_b32_e32 v54, -2, v54
	v_xad_u32 v64, v55, -1, v49
	v_add_u32_e32 v54, v51, v54
	ds_read_u16 v54, v54
	v_lshl_add_u32 v64, v64, 1, v52
	ds_read_u16 v64, v64
	v_add_u32_e32 v65, 1, v55
	s_waitcnt lgkmcnt(1)
	v_add_f16_e32 v54, 0, v54
	v_cmp_lt_i16_e64 s[8:9], -1, v54
	s_waitcnt lgkmcnt(0)
	v_add_f16_e32 v64, 0, v64
	v_cndmask_b32_e64 v66, -1, v53, s[8:9]
	v_cmp_lt_i16_e64 s[8:9], -1, v64
	v_cndmask_b32_e64 v67, -1, v53, s[8:9]
	v_xor_b32_e32 v54, v66, v54
	v_xor_b32_e32 v64, v67, v64
	v_cmp_gt_u16_e64 s[8:9], v64, v54
	v_cndmask_b32_e64 v48, v48, v55, s[8:9]
	v_cndmask_b32_e64 v50, v65, v50, s[8:9]
	v_cmp_ge_u32_e64 s[8:9], v50, v48
	s_or_b64 s[14:15], s[8:9], s[14:15]
	s_andn2_b64 exec, exec, s[14:15]
	s_cbranch_execnz .LBB1763_158
; %bb.159:
	s_or_b64 exec, exec, s[14:15]
.LBB1763_160:
	s_or_b64 exec, exec, s[12:13]
	v_add_u32_e32 v48, v50, v32
	v_add_u32_e32 v32, v30, v49
	v_sub_u32_e32 v49, v32, v50
	v_cmp_le_u32_e64 s[8:9], v48, v30
	v_cmp_le_u32_e64 s[12:13], v49, v31
	s_or_b64 s[8:9], s[8:9], s[12:13]
	s_and_saveexec_b64 s[14:15], s[8:9]
	s_cbranch_execz .LBB1763_180
; %bb.161:
	v_cmp_ge_u32_e64 s[8:9], v48, v30
	v_cmp_lt_u32_e64 s[12:13], v48, v30
                                        ; implicit-def: $vgpr9
	s_and_saveexec_b64 s[20:21], s[12:13]
; %bb.162:
	v_lshl_add_u32 v9, v48, 1, v6
	ds_read_u16 v9, v9
; %bb.163:
	s_or_b64 exec, exec, s[20:21]
	v_cmp_ge_u32_e64 s[20:21], v49, v31
	v_cmp_lt_u32_e64 s[12:13], v49, v31
                                        ; implicit-def: $vgpr32
	s_and_saveexec_b64 s[22:23], s[12:13]
; %bb.164:
	v_lshl_add_u32 v17, v49, 1, v6
	ds_read_u16 v32, v17
; %bb.165:
	s_or_b64 exec, exec, s[22:23]
	s_nor_b64 s[8:9], s[8:9], s[20:21]
	s_and_saveexec_b64 s[12:13], s[8:9]
	s_cbranch_execz .LBB1763_167
; %bb.166:
	s_waitcnt lgkmcnt(0)
	v_add_f16_e32 v17, 0, v32
	v_add_f16_e32 v18, 0, v9
	v_mov_b32_e32 v19, 0xffff8000
	v_cmp_lt_i16_e64 s[8:9], -1, v17
	v_cndmask_b32_e64 v20, -1, v19, s[8:9]
	v_cmp_lt_i16_e64 s[8:9], -1, v18
	v_cndmask_b32_e64 v19, -1, v19, s[8:9]
	v_xor_b32_e32 v17, v20, v17
	v_xor_b32_e32 v18, v19, v18
	v_cmp_le_u16_e64 s[8:9], v17, v18
	s_andn2_b64 s[20:21], s[20:21], exec
	s_and_b64 s[8:9], s[8:9], exec
	s_or_b64 s[20:21], s[20:21], s[8:9]
.LBB1763_167:
	s_or_b64 exec, exec, s[12:13]
	v_cndmask_b32_e64 v17, v49, v48, s[20:21]
	v_cndmask_b32_e64 v18, v31, v30, s[20:21]
	v_add_u32_e32 v19, 1, v17
	v_add_u32_e32 v18, -1, v18
	v_min_u32_e32 v18, v19, v18
	v_lshl_add_u32 v18, v18, 1, v6
	ds_read_u16 v20, v18
	v_lshl_add_u32 v17, v17, 3, v2
	ds_read_b64 v[17:18], v17 offset:2048
	v_cndmask_b32_e64 v21, v19, v49, s[20:21]
	v_cndmask_b32_e64 v22, v48, v19, s[20:21]
	s_waitcnt lgkmcnt(1)
	v_cndmask_b32_e64 v37, v20, v32, s[20:21]
	v_cndmask_b32_e64 v38, v9, v20, s[20:21]
	v_cmp_lt_u32_e64 s[8:9], v21, v31
	s_mov_b64 s[22:23], -1
	s_mov_b64 s[12:13], -1
	s_and_saveexec_b64 s[24:25], s[8:9]
	s_cbranch_execz .LBB1763_171
; %bb.168:
	v_cmp_lt_u32_e64 s[8:9], v22, v30
	s_mov_b64 s[26:27], 0
	s_and_saveexec_b64 s[12:13], s[8:9]
	s_cbranch_execz .LBB1763_170
; %bb.169:
	v_add_f16_e32 v19, 0, v37
	v_add_f16_e32 v20, 0, v38
	v_mov_b32_e32 v23, 0xffff8000
	v_cmp_lt_i16_e64 s[8:9], -1, v19
	v_cndmask_b32_e64 v24, -1, v23, s[8:9]
	v_cmp_lt_i16_e64 s[8:9], -1, v20
	v_cndmask_b32_e64 v23, -1, v23, s[8:9]
	v_xor_b32_e32 v19, v24, v19
	v_xor_b32_e32 v20, v23, v20
	v_cmp_le_u16_e64 s[8:9], v19, v20
	s_and_b64 s[26:27], s[8:9], exec
.LBB1763_170:
	s_or_b64 exec, exec, s[12:13]
	s_orn2_b64 s[12:13], s[26:27], exec
.LBB1763_171:
	s_or_b64 exec, exec, s[24:25]
	v_cndmask_b32_e64 v19, v21, v22, s[12:13]
	v_cndmask_b32_e64 v20, v31, v30, s[12:13]
	v_add_u32_e32 v24, 1, v19
	v_add_u32_e32 v20, -1, v20
	v_min_u32_e32 v20, v24, v20
	v_lshl_add_u32 v20, v20, 1, v6
	ds_read_u16 v23, v20
	v_lshl_add_u32 v19, v19, 3, v2
	ds_read_b64 v[19:20], v19 offset:2048
	s_waitcnt lgkmcnt(1)
	v_cndmask_b32_e64 v39, v23, v37, s[12:13]
	v_cndmask_b32_e64 v48, v38, v23, s[12:13]
	v_cndmask_b32_e64 v23, v24, v21, s[12:13]
	v_cndmask_b32_e64 v24, v22, v24, s[12:13]
	v_cmp_lt_u32_e64 s[8:9], v23, v31
	s_and_saveexec_b64 s[24:25], s[8:9]
	s_cbranch_execz .LBB1763_175
; %bb.172:
	v_cmp_lt_u32_e64 s[8:9], v24, v30
	s_mov_b64 s[26:27], 0
	s_and_saveexec_b64 s[22:23], s[8:9]
	s_cbranch_execz .LBB1763_174
; %bb.173:
	v_add_f16_e32 v21, 0, v39
	v_add_f16_e32 v22, 0, v48
	v_mov_b32_e32 v49, 0xffff8000
	v_cmp_lt_i16_e64 s[8:9], -1, v21
	v_cndmask_b32_e64 v50, -1, v49, s[8:9]
	v_cmp_lt_i16_e64 s[8:9], -1, v22
	v_cndmask_b32_e64 v49, -1, v49, s[8:9]
	v_xor_b32_e32 v21, v50, v21
	v_xor_b32_e32 v22, v49, v22
	v_cmp_le_u16_e64 s[8:9], v21, v22
	s_and_b64 s[26:27], s[8:9], exec
.LBB1763_174:
	s_or_b64 exec, exec, s[22:23]
	s_orn2_b64 s[22:23], s[26:27], exec
.LBB1763_175:
	s_or_b64 exec, exec, s[24:25]
	v_cndmask_b32_e64 v21, v23, v24, s[22:23]
	v_cndmask_b32_e64 v22, v31, v30, s[22:23]
	v_add_u32_e32 v51, 1, v21
	v_add_u32_e32 v22, -1, v22
	v_min_u32_e32 v22, v51, v22
	v_lshl_add_u32 v22, v22, 1, v6
	ds_read_u16 v50, v22
	v_lshl_add_u32 v21, v21, 3, v2
	ds_read_b64 v[21:22], v21 offset:2048
	v_cndmask_b32_e64 v23, v51, v23, s[22:23]
	v_cndmask_b32_e64 v24, v24, v51, s[22:23]
	s_waitcnt lgkmcnt(1)
	v_cndmask_b32_e64 v49, v50, v39, s[22:23]
	v_cndmask_b32_e64 v50, v48, v50, s[22:23]
	v_cmp_lt_u32_e64 s[8:9], v23, v31
	s_mov_b64 s[26:27], -1
	s_and_saveexec_b64 s[24:25], s[8:9]
	s_cbranch_execz .LBB1763_179
; %bb.176:
	v_cmp_lt_u32_e64 s[8:9], v24, v30
	s_mov_b64 s[28:29], 0
	s_and_saveexec_b64 s[26:27], s[8:9]
	s_cbranch_execz .LBB1763_178
; %bb.177:
	v_add_f16_e32 v30, 0, v49
	v_add_f16_e32 v31, 0, v50
	v_mov_b32_e32 v51, 0xffff8000
	v_cmp_lt_i16_e64 s[8:9], -1, v30
	v_cndmask_b32_e64 v52, -1, v51, s[8:9]
	v_cmp_lt_i16_e64 s[8:9], -1, v31
	v_cndmask_b32_e64 v51, -1, v51, s[8:9]
	v_xor_b32_e32 v30, v52, v30
	v_xor_b32_e32 v31, v51, v31
	v_cmp_le_u16_e64 s[8:9], v30, v31
	s_and_b64 s[28:29], s[8:9], exec
.LBB1763_178:
	s_or_b64 exec, exec, s[26:27]
	s_orn2_b64 s[26:27], s[28:29], exec
.LBB1763_179:
	s_or_b64 exec, exec, s[24:25]
	v_cndmask_b32_e64 v23, v23, v24, s[26:27]
	v_lshl_add_u32 v23, v23, 3, v2
	ds_read_b64 v[23:24], v23 offset:2048
	v_cndmask_b32_e64 v39, v39, v48, s[22:23]
	v_cndmask_b32_e64 v37, v37, v38, s[12:13]
	;; [unrolled: 1-line block ×4, first 2 shown]
.LBB1763_180:
	s_or_b64 exec, exec, s[14:15]
	; wave barrier
	ds_write_b16 v7, v38
	ds_write_b64 v15, v[17:18]
	ds_write_b16 v16, v37
	ds_write_b64 v25, v[19:20]
	ds_write_b16 v26, v39
	s_waitcnt lgkmcnt(6)
	ds_write_b64 v27, v[21:22]
	ds_write_b16 v28, v9
	s_waitcnt lgkmcnt(7)
	ds_write_b64 v29, v[23:24]
	v_and_b32_e32 v16, 0x1e0, v36
	v_or_b32_e32 v7, 16, v16
	v_min_u32_e32 v7, v3, v7
	v_add_u32_e32 v15, 16, v7
	v_min_u32_e32 v15, v3, v15
	v_min_u32_e32 v3, v3, v12
	v_sub_u32_e32 v26, v7, v16
	v_sub_u32_e32 v25, v15, v7
	v_sub_u32_e64 v25, v3, v25 clamp
	v_min_u32_e32 v26, v3, v26
	v_cmp_lt_u32_e64 s[8:9], v25, v26
	; wave barrier
	s_and_saveexec_b64 s[12:13], s[8:9]
	s_cbranch_execz .LBB1763_184
; %bb.181:
	v_lshlrev_b32_e32 v27, 1, v16
	v_lshlrev_b32_e32 v28, 1, v7
	v_add_co_u32_e64 v27, s[8:9], v6, v27
	v_add_co_u32_e64 v28, s[8:9], v6, v28
	s_mov_b64 s[14:15], 0
	v_mov_b32_e32 v29, 0xffff8000
.LBB1763_182:                           ; =>This Inner Loop Header: Depth=1
	v_add_u32_e32 v30, v26, v25
	v_lshrrev_b32_e32 v31, 1, v30
	v_and_b32_e32 v30, -2, v30
	v_xad_u32 v32, v31, -1, v3
	v_add_u32_e32 v30, v27, v30
	ds_read_u16 v30, v30
	v_lshl_add_u32 v32, v32, 1, v28
	ds_read_u16 v32, v32
	v_add_u32_e32 v36, 1, v31
	s_waitcnt lgkmcnt(1)
	v_add_f16_e32 v30, 0, v30
	v_cmp_lt_i16_e64 s[8:9], -1, v30
	s_waitcnt lgkmcnt(0)
	v_add_f16_e32 v32, 0, v32
	v_cndmask_b32_e64 v48, -1, v29, s[8:9]
	v_cmp_lt_i16_e64 s[8:9], -1, v32
	v_cndmask_b32_e64 v49, -1, v29, s[8:9]
	v_xor_b32_e32 v30, v48, v30
	v_xor_b32_e32 v32, v49, v32
	v_cmp_gt_u16_e64 s[8:9], v32, v30
	v_cndmask_b32_e64 v26, v26, v31, s[8:9]
	v_cndmask_b32_e64 v25, v36, v25, s[8:9]
	v_cmp_ge_u32_e64 s[8:9], v25, v26
	s_or_b64 s[14:15], s[8:9], s[14:15]
	s_andn2_b64 exec, exec, s[14:15]
	s_cbranch_execnz .LBB1763_182
; %bb.183:
	s_or_b64 exec, exec, s[14:15]
.LBB1763_184:
	s_or_b64 exec, exec, s[12:13]
	v_add_u32_e32 v3, v7, v3
	v_add_u32_e32 v26, v25, v16
	v_sub_u32_e32 v27, v3, v25
	v_cmp_le_u32_e64 s[8:9], v26, v7
	v_cmp_le_u32_e64 s[12:13], v27, v15
	s_or_b64 s[8:9], s[8:9], s[12:13]
	s_and_saveexec_b64 s[14:15], s[8:9]
	s_cbranch_execz .LBB1763_204
; %bb.185:
	v_cmp_ge_u32_e64 s[8:9], v26, v7
	v_cmp_lt_u32_e64 s[12:13], v26, v7
                                        ; implicit-def: $vgpr3
	s_and_saveexec_b64 s[20:21], s[12:13]
; %bb.186:
	v_lshl_add_u32 v3, v26, 1, v6
	ds_read_u16 v3, v3
; %bb.187:
	s_or_b64 exec, exec, s[20:21]
	v_cmp_ge_u32_e64 s[20:21], v27, v15
	v_cmp_lt_u32_e64 s[12:13], v27, v15
                                        ; implicit-def: $vgpr9
	s_and_saveexec_b64 s[22:23], s[12:13]
; %bb.188:
	v_lshl_add_u32 v9, v27, 1, v6
	ds_read_u16 v9, v9
; %bb.189:
	s_or_b64 exec, exec, s[22:23]
	s_nor_b64 s[8:9], s[8:9], s[20:21]
	s_and_saveexec_b64 s[12:13], s[8:9]
	s_cbranch_execz .LBB1763_191
; %bb.190:
	s_waitcnt lgkmcnt(0)
	v_add_f16_e32 v16, 0, v9
	v_add_f16_e32 v17, 0, v3
	v_mov_b32_e32 v18, 0xffff8000
	v_cmp_lt_i16_e64 s[8:9], -1, v16
	v_cndmask_b32_e64 v19, -1, v18, s[8:9]
	v_cmp_lt_i16_e64 s[8:9], -1, v17
	v_cndmask_b32_e64 v18, -1, v18, s[8:9]
	v_xor_b32_e32 v16, v19, v16
	v_xor_b32_e32 v17, v18, v17
	v_cmp_le_u16_e64 s[8:9], v16, v17
	s_andn2_b64 s[20:21], s[20:21], exec
	s_and_b64 s[8:9], s[8:9], exec
	s_or_b64 s[20:21], s[20:21], s[8:9]
.LBB1763_191:
	s_or_b64 exec, exec, s[12:13]
	v_cndmask_b32_e64 v16, v27, v26, s[20:21]
	v_cndmask_b32_e64 v17, v15, v7, s[20:21]
	v_add_u32_e32 v19, 1, v16
	v_add_u32_e32 v17, -1, v17
	v_min_u32_e32 v17, v19, v17
	v_lshl_add_u32 v17, v17, 1, v6
	ds_read_u16 v20, v17
	v_lshl_add_u32 v16, v16, 3, v2
	ds_read_b64 v[17:18], v16 offset:2048
	v_cndmask_b32_e64 v21, v19, v27, s[20:21]
	v_cndmask_b32_e64 v22, v26, v19, s[20:21]
	s_waitcnt lgkmcnt(1)
	v_cndmask_b32_e64 v16, v20, v9, s[20:21]
	v_cndmask_b32_e64 v25, v3, v20, s[20:21]
	v_cmp_lt_u32_e64 s[8:9], v21, v15
	s_mov_b64 s[22:23], -1
	s_mov_b64 s[12:13], -1
	s_and_saveexec_b64 s[24:25], s[8:9]
	s_cbranch_execz .LBB1763_195
; %bb.192:
	v_cmp_lt_u32_e64 s[8:9], v22, v7
	s_mov_b64 s[26:27], 0
	s_and_saveexec_b64 s[12:13], s[8:9]
	s_cbranch_execz .LBB1763_194
; %bb.193:
	v_add_f16_e32 v19, 0, v16
	v_add_f16_e32 v20, 0, v25
	v_mov_b32_e32 v23, 0xffff8000
	v_cmp_lt_i16_e64 s[8:9], -1, v19
	v_cndmask_b32_e64 v24, -1, v23, s[8:9]
	v_cmp_lt_i16_e64 s[8:9], -1, v20
	v_cndmask_b32_e64 v23, -1, v23, s[8:9]
	v_xor_b32_e32 v19, v24, v19
	v_xor_b32_e32 v20, v23, v20
	v_cmp_le_u16_e64 s[8:9], v19, v20
	s_and_b64 s[26:27], s[8:9], exec
.LBB1763_194:
	s_or_b64 exec, exec, s[12:13]
	s_orn2_b64 s[12:13], s[26:27], exec
.LBB1763_195:
	s_or_b64 exec, exec, s[24:25]
	v_cndmask_b32_e64 v19, v21, v22, s[12:13]
	v_cndmask_b32_e64 v20, v15, v7, s[12:13]
	v_add_u32_e32 v24, 1, v19
	v_add_u32_e32 v20, -1, v20
	v_min_u32_e32 v20, v24, v20
	v_lshl_add_u32 v20, v20, 1, v6
	ds_read_u16 v23, v20
	v_lshl_add_u32 v19, v19, 3, v2
	ds_read_b64 v[19:20], v19 offset:2048
	s_waitcnt lgkmcnt(1)
	v_cndmask_b32_e64 v26, v23, v16, s[12:13]
	v_cndmask_b32_e64 v27, v25, v23, s[12:13]
	v_cndmask_b32_e64 v23, v24, v21, s[12:13]
	v_cndmask_b32_e64 v24, v22, v24, s[12:13]
	v_cmp_lt_u32_e64 s[8:9], v23, v15
	s_and_saveexec_b64 s[24:25], s[8:9]
	s_cbranch_execz .LBB1763_199
; %bb.196:
	v_cmp_lt_u32_e64 s[8:9], v24, v7
	s_mov_b64 s[26:27], 0
	s_and_saveexec_b64 s[22:23], s[8:9]
	s_cbranch_execz .LBB1763_198
; %bb.197:
	v_add_f16_e32 v21, 0, v26
	v_add_f16_e32 v22, 0, v27
	v_mov_b32_e32 v28, 0xffff8000
	v_cmp_lt_i16_e64 s[8:9], -1, v21
	v_cndmask_b32_e64 v29, -1, v28, s[8:9]
	v_cmp_lt_i16_e64 s[8:9], -1, v22
	v_cndmask_b32_e64 v28, -1, v28, s[8:9]
	v_xor_b32_e32 v21, v29, v21
	v_xor_b32_e32 v22, v28, v22
	v_cmp_le_u16_e64 s[8:9], v21, v22
	s_and_b64 s[26:27], s[8:9], exec
.LBB1763_198:
	s_or_b64 exec, exec, s[22:23]
	s_orn2_b64 s[22:23], s[26:27], exec
.LBB1763_199:
	s_or_b64 exec, exec, s[24:25]
	v_cndmask_b32_e64 v21, v23, v24, s[22:23]
	v_cndmask_b32_e64 v22, v15, v7, s[22:23]
	v_add_u32_e32 v29, 1, v21
	v_add_u32_e32 v22, -1, v22
	v_min_u32_e32 v22, v29, v22
	v_lshl_add_u32 v6, v22, 1, v6
	ds_read_u16 v28, v6
	v_lshl_add_u32 v6, v21, 3, v2
	ds_read_b64 v[21:22], v6 offset:2048
	v_cndmask_b32_e64 v23, v29, v23, s[22:23]
	v_cndmask_b32_e64 v24, v24, v29, s[22:23]
	s_waitcnt lgkmcnt(1)
	v_cndmask_b32_e64 v6, v28, v26, s[22:23]
	v_cndmask_b32_e64 v28, v27, v28, s[22:23]
	v_cmp_lt_u32_e64 s[8:9], v23, v15
	s_mov_b64 s[26:27], -1
	s_and_saveexec_b64 s[24:25], s[8:9]
	s_cbranch_execz .LBB1763_203
; %bb.200:
	v_cmp_lt_u32_e64 s[8:9], v24, v7
	s_mov_b64 s[28:29], 0
	s_and_saveexec_b64 s[26:27], s[8:9]
	s_cbranch_execz .LBB1763_202
; %bb.201:
	v_add_f16_e32 v7, 0, v6
	v_add_f16_e32 v15, 0, v28
	v_mov_b32_e32 v29, 0xffff8000
	v_cmp_lt_i16_e64 s[8:9], -1, v7
	v_cndmask_b32_e64 v30, -1, v29, s[8:9]
	v_cmp_lt_i16_e64 s[8:9], -1, v15
	v_cndmask_b32_e64 v29, -1, v29, s[8:9]
	v_xor_b32_e32 v7, v30, v7
	v_xor_b32_e32 v15, v29, v15
	v_cmp_le_u16_e64 s[8:9], v7, v15
	s_and_b64 s[28:29], s[8:9], exec
.LBB1763_202:
	s_or_b64 exec, exec, s[26:27]
	s_orn2_b64 s[26:27], s[28:29], exec
.LBB1763_203:
	s_or_b64 exec, exec, s[24:25]
	v_cndmask_b32_e64 v7, v23, v24, s[26:27]
	v_lshl_add_u32 v2, v7, 3, v2
	ds_read_b64 v[23:24], v2 offset:2048
	v_cndmask_b32_e64 v39, v26, v27, s[22:23]
	v_cndmask_b32_e64 v37, v16, v25, s[12:13]
	v_cndmask_b32_e64 v38, v9, v3, s[20:21]
	v_cndmask_b32_e64 v9, v6, v28, s[26:27]
.LBB1763_204:
	s_or_b64 exec, exec, s[14:15]
	v_add_co_u32_e64 v2, s[8:9], v4, v33
	v_addc_co_u32_e64 v3, s[8:9], v5, v34, s[8:9]
	v_add_co_u32_e64 v2, s[8:9], v2, v35
	v_addc_co_u32_e64 v3, s[8:9], 0, v3, s[8:9]
	; wave barrier
	s_waitcnt lgkmcnt(0)
	s_barrier
	; wave barrier
	s_and_saveexec_b64 s[8:9], vcc
	s_cbranch_execnz .LBB1763_226
; %bb.205:
	s_or_b64 exec, exec, s[8:9]
	s_and_saveexec_b64 s[8:9], s[4:5]
	s_cbranch_execnz .LBB1763_227
.LBB1763_206:
	s_or_b64 exec, exec, s[8:9]
	s_and_saveexec_b64 s[8:9], s[6:7]
	s_cbranch_execnz .LBB1763_228
.LBB1763_207:
	s_or_b64 exec, exec, s[8:9]
	s_and_saveexec_b64 s[8:9], s[10:11]
	s_cbranch_execz .LBB1763_209
.LBB1763_208:
	flat_store_short v[2:3], v9 offset:6
.LBB1763_209:
	s_or_b64 exec, exec, s[8:9]
	v_add_co_u32_e64 v0, s[8:9], v10, v0
	v_addc_co_u32_e64 v1, s[8:9], v11, v1, s[8:9]
	v_add_co_u32_e64 v0, s[8:9], v0, v8
	v_addc_co_u32_e64 v1, s[8:9], 0, v1, s[8:9]
	; wave barrier
	s_and_saveexec_b64 s[8:9], vcc
	s_cbranch_execnz .LBB1763_229
; %bb.210:
	s_or_b64 exec, exec, s[8:9]
	s_and_saveexec_b64 s[8:9], s[4:5]
	s_cbranch_execnz .LBB1763_230
.LBB1763_211:
	s_or_b64 exec, exec, s[8:9]
	s_and_saveexec_b64 s[4:5], s[6:7]
	s_cbranch_execz .LBB1763_213
.LBB1763_212:
	flat_store_dwordx2 v[0:1], v[21:22] offset:16
.LBB1763_213:
	s_or_b64 exec, exec, s[4:5]
	s_andn2_b64 s[4:5], s[16:17], exec
	s_and_b64 s[6:7], s[10:11], exec
	v_mov_b32_e32 v8, v10
	s_or_b64 s[16:17], s[4:5], s[6:7]
	v_mov_b32_e32 v9, v11
	s_or_b64 exec, exec, s[18:19]
	s_and_saveexec_b64 s[4:5], s[16:17]
	s_cbranch_execz .LBB1763_3
.LBB1763_214:
	v_lshlrev_b64 v[0:1], 3, v[13:14]
	v_lshlrev_b32_e32 v2, 3, v12
	v_add_co_u32_e32 v0, vcc, v8, v0
	v_addc_co_u32_e32 v1, vcc, v9, v1, vcc
	v_add_co_u32_e32 v0, vcc, v0, v2
	v_addc_co_u32_e32 v1, vcc, 0, v1, vcc
	flat_store_dwordx2 v[0:1], v[23:24] offset:24
	s_or_b64 exec, exec, s[4:5]
	s_waitcnt vmcnt(0) lgkmcnt(0)
	s_setpc_b64 s[30:31]
.LBB1763_215:
	flat_load_dwordx2 v[18:19], v[4:5]
	v_mov_b32_e32 v20, v17
	v_mov_b32_e32 v21, v17
	;; [unrolled: 1-line block ×6, first 2 shown]
	s_waitcnt vmcnt(0) lgkmcnt(0)
	v_mov_b32_e32 v17, v18
	v_mov_b32_e32 v18, v19
	v_mov_b32_e32 v19, v20
	v_mov_b32_e32 v20, v21
	v_mov_b32_e32 v21, v22
	v_mov_b32_e32 v22, v23
	v_mov_b32_e32 v23, v24
	v_mov_b32_e32 v24, v25
	s_or_b64 exec, exec, s[14:15]
	s_and_saveexec_b64 s[14:15], s[4:5]
	s_cbranch_execz .LBB1763_14
.LBB1763_216:
	flat_load_dwordx2 v[19:20], v[4:5] offset:8
	s_or_b64 exec, exec, s[14:15]
	s_and_saveexec_b64 s[14:15], s[6:7]
	s_cbranch_execz .LBB1763_15
.LBB1763_217:
	flat_load_dwordx2 v[21:22], v[4:5] offset:16
	s_or_b64 exec, exec, s[14:15]
	s_and_saveexec_b64 s[14:15], s[10:11]
	s_cbranch_execnz .LBB1763_16
	s_branch .LBB1763_17
.LBB1763_218:
	flat_store_short v[2:3], v38
	s_or_b64 exec, exec, s[14:15]
	s_and_saveexec_b64 s[14:15], s[4:5]
	s_cbranch_execz .LBB1763_101
.LBB1763_219:
	flat_store_short v[2:3], v37 offset:2
	s_or_b64 exec, exec, s[14:15]
	s_and_saveexec_b64 s[14:15], s[6:7]
	s_cbranch_execz .LBB1763_102
.LBB1763_220:
	flat_store_short v[2:3], v39 offset:4
	s_or_b64 exec, exec, s[14:15]
	s_and_saveexec_b64 s[14:15], s[10:11]
	s_cbranch_execnz .LBB1763_103
	s_branch .LBB1763_104
.LBB1763_221:
	flat_store_dwordx2 v[0:1], v[17:18]
	s_or_b64 exec, exec, s[14:15]
	s_and_saveexec_b64 s[14:15], s[4:5]
	s_cbranch_execz .LBB1763_106
.LBB1763_222:
	flat_store_dwordx2 v[0:1], v[19:20] offset:8
	s_or_b64 exec, exec, s[14:15]
	s_and_saveexec_b64 s[4:5], s[6:7]
	s_cbranch_execnz .LBB1763_107
	s_branch .LBB1763_108
.LBB1763_223:
	flat_load_dwordx2 v[18:19], v[2:3]
	v_mov_b32_e32 v20, v17
	v_mov_b32_e32 v21, v17
	;; [unrolled: 1-line block ×6, first 2 shown]
	s_waitcnt vmcnt(0) lgkmcnt(0)
	v_mov_b32_e32 v17, v18
	v_mov_b32_e32 v18, v19
	;; [unrolled: 1-line block ×8, first 2 shown]
	s_or_b64 exec, exec, s[14:15]
	s_and_saveexec_b64 s[14:15], s[4:5]
	s_cbranch_execz .LBB1763_119
.LBB1763_224:
	flat_load_dwordx2 v[19:20], v[2:3] offset:8
	s_or_b64 exec, exec, s[14:15]
	s_and_saveexec_b64 s[14:15], s[6:7]
	s_cbranch_execz .LBB1763_120
.LBB1763_225:
	flat_load_dwordx2 v[21:22], v[2:3] offset:16
	s_or_b64 exec, exec, s[14:15]
	s_and_saveexec_b64 s[14:15], s[10:11]
	s_cbranch_execnz .LBB1763_121
	s_branch .LBB1763_122
.LBB1763_226:
	flat_store_short v[2:3], v38
	s_or_b64 exec, exec, s[8:9]
	s_and_saveexec_b64 s[8:9], s[4:5]
	s_cbranch_execz .LBB1763_206
.LBB1763_227:
	flat_store_short v[2:3], v37 offset:2
	s_or_b64 exec, exec, s[8:9]
	s_and_saveexec_b64 s[8:9], s[6:7]
	s_cbranch_execz .LBB1763_207
.LBB1763_228:
	flat_store_short v[2:3], v39 offset:4
	s_or_b64 exec, exec, s[8:9]
	s_and_saveexec_b64 s[8:9], s[10:11]
	s_cbranch_execnz .LBB1763_208
	s_branch .LBB1763_209
.LBB1763_229:
	flat_store_dwordx2 v[0:1], v[17:18]
	s_or_b64 exec, exec, s[8:9]
	s_and_saveexec_b64 s[8:9], s[4:5]
	s_cbranch_execz .LBB1763_211
.LBB1763_230:
	flat_store_dwordx2 v[0:1], v[19:20] offset:8
	s_or_b64 exec, exec, s[8:9]
	s_and_saveexec_b64 s[4:5], s[6:7]
	s_cbranch_execnz .LBB1763_212
	s_branch .LBB1763_213
.Lfunc_end1763:
	.size	_ZN7rocprim17ROCPRIM_400000_NS6detail26segmented_warp_sort_helperINS1_20WarpSortHelperConfigILj8ELj4ELj256EEE6__halflLi256ELb1EvE4sortIPKS5_PS5_PKlPlEEvT_SA_T0_T1_SD_T2_bjjjjRNS6_12storage_typeE, .Lfunc_end1763-_ZN7rocprim17ROCPRIM_400000_NS6detail26segmented_warp_sort_helperINS1_20WarpSortHelperConfigILj8ELj4ELj256EEE6__halflLi256ELb1EvE4sortIPKS5_PS5_PKlPlEEvT_SA_T0_T1_SD_T2_bjjjjRNS6_12storage_typeE
                                        ; -- End function
	.set .L_ZN7rocprim17ROCPRIM_400000_NS6detail26segmented_warp_sort_helperINS1_20WarpSortHelperConfigILj8ELj4ELj256EEE6__halflLi256ELb1EvE4sortIPKS5_PS5_PKlPlEEvT_SA_T0_T1_SD_T2_bjjjjRNS6_12storage_typeE.num_vgpr, 68
	.set .L_ZN7rocprim17ROCPRIM_400000_NS6detail26segmented_warp_sort_helperINS1_20WarpSortHelperConfigILj8ELj4ELj256EEE6__halflLi256ELb1EvE4sortIPKS5_PS5_PKlPlEEvT_SA_T0_T1_SD_T2_bjjjjRNS6_12storage_typeE.num_agpr, 0
	.set .L_ZN7rocprim17ROCPRIM_400000_NS6detail26segmented_warp_sort_helperINS1_20WarpSortHelperConfigILj8ELj4ELj256EEE6__halflLi256ELb1EvE4sortIPKS5_PS5_PKlPlEEvT_SA_T0_T1_SD_T2_bjjjjRNS6_12storage_typeE.numbered_sgpr, 42
	.set .L_ZN7rocprim17ROCPRIM_400000_NS6detail26segmented_warp_sort_helperINS1_20WarpSortHelperConfigILj8ELj4ELj256EEE6__halflLi256ELb1EvE4sortIPKS5_PS5_PKlPlEEvT_SA_T0_T1_SD_T2_bjjjjRNS6_12storage_typeE.num_named_barrier, 0
	.set .L_ZN7rocprim17ROCPRIM_400000_NS6detail26segmented_warp_sort_helperINS1_20WarpSortHelperConfigILj8ELj4ELj256EEE6__halflLi256ELb1EvE4sortIPKS5_PS5_PKlPlEEvT_SA_T0_T1_SD_T2_bjjjjRNS6_12storage_typeE.private_seg_size, 0
	.set .L_ZN7rocprim17ROCPRIM_400000_NS6detail26segmented_warp_sort_helperINS1_20WarpSortHelperConfigILj8ELj4ELj256EEE6__halflLi256ELb1EvE4sortIPKS5_PS5_PKlPlEEvT_SA_T0_T1_SD_T2_bjjjjRNS6_12storage_typeE.uses_vcc, 1
	.set .L_ZN7rocprim17ROCPRIM_400000_NS6detail26segmented_warp_sort_helperINS1_20WarpSortHelperConfigILj8ELj4ELj256EEE6__halflLi256ELb1EvE4sortIPKS5_PS5_PKlPlEEvT_SA_T0_T1_SD_T2_bjjjjRNS6_12storage_typeE.uses_flat_scratch, 0
	.set .L_ZN7rocprim17ROCPRIM_400000_NS6detail26segmented_warp_sort_helperINS1_20WarpSortHelperConfigILj8ELj4ELj256EEE6__halflLi256ELb1EvE4sortIPKS5_PS5_PKlPlEEvT_SA_T0_T1_SD_T2_bjjjjRNS6_12storage_typeE.has_dyn_sized_stack, 0
	.set .L_ZN7rocprim17ROCPRIM_400000_NS6detail26segmented_warp_sort_helperINS1_20WarpSortHelperConfigILj8ELj4ELj256EEE6__halflLi256ELb1EvE4sortIPKS5_PS5_PKlPlEEvT_SA_T0_T1_SD_T2_bjjjjRNS6_12storage_typeE.has_recursion, 0
	.set .L_ZN7rocprim17ROCPRIM_400000_NS6detail26segmented_warp_sort_helperINS1_20WarpSortHelperConfigILj8ELj4ELj256EEE6__halflLi256ELb1EvE4sortIPKS5_PS5_PKlPlEEvT_SA_T0_T1_SD_T2_bjjjjRNS6_12storage_typeE.has_indirect_call, 0
	.section	.AMDGPU.csdata,"",@progbits
; Function info:
; codeLenInByte = 11084
; TotalNumSgprs: 46
; NumVgprs: 68
; ScratchSize: 0
; MemoryBound: 1
	.section	.text._ZN7rocprim17ROCPRIM_400000_NS6detail17trampoline_kernelINS0_14default_configENS1_36segmented_radix_sort_config_selectorI6__halflEEZNS1_25segmented_radix_sort_implIS3_Lb1EPKS5_PS5_PKlPlN2at6native12_GLOBAL__N_18offset_tEEE10hipError_tPvRmT1_PNSt15iterator_traitsISL_E10value_typeET2_T3_PNSM_ISR_E10value_typeET4_jRbjT5_SX_jjP12ihipStream_tbEUlT_E1_NS1_11comp_targetILNS1_3genE2ELNS1_11target_archE906ELNS1_3gpuE6ELNS1_3repE0EEENS1_59segmented_radix_sort_warp_sort_small_config_static_selectorELNS0_4arch9wavefront6targetE1EEEvSL_,"axG",@progbits,_ZN7rocprim17ROCPRIM_400000_NS6detail17trampoline_kernelINS0_14default_configENS1_36segmented_radix_sort_config_selectorI6__halflEEZNS1_25segmented_radix_sort_implIS3_Lb1EPKS5_PS5_PKlPlN2at6native12_GLOBAL__N_18offset_tEEE10hipError_tPvRmT1_PNSt15iterator_traitsISL_E10value_typeET2_T3_PNSM_ISR_E10value_typeET4_jRbjT5_SX_jjP12ihipStream_tbEUlT_E1_NS1_11comp_targetILNS1_3genE2ELNS1_11target_archE906ELNS1_3gpuE6ELNS1_3repE0EEENS1_59segmented_radix_sort_warp_sort_small_config_static_selectorELNS0_4arch9wavefront6targetE1EEEvSL_,comdat
	.globl	_ZN7rocprim17ROCPRIM_400000_NS6detail17trampoline_kernelINS0_14default_configENS1_36segmented_radix_sort_config_selectorI6__halflEEZNS1_25segmented_radix_sort_implIS3_Lb1EPKS5_PS5_PKlPlN2at6native12_GLOBAL__N_18offset_tEEE10hipError_tPvRmT1_PNSt15iterator_traitsISL_E10value_typeET2_T3_PNSM_ISR_E10value_typeET4_jRbjT5_SX_jjP12ihipStream_tbEUlT_E1_NS1_11comp_targetILNS1_3genE2ELNS1_11target_archE906ELNS1_3gpuE6ELNS1_3repE0EEENS1_59segmented_radix_sort_warp_sort_small_config_static_selectorELNS0_4arch9wavefront6targetE1EEEvSL_ ; -- Begin function _ZN7rocprim17ROCPRIM_400000_NS6detail17trampoline_kernelINS0_14default_configENS1_36segmented_radix_sort_config_selectorI6__halflEEZNS1_25segmented_radix_sort_implIS3_Lb1EPKS5_PS5_PKlPlN2at6native12_GLOBAL__N_18offset_tEEE10hipError_tPvRmT1_PNSt15iterator_traitsISL_E10value_typeET2_T3_PNSM_ISR_E10value_typeET4_jRbjT5_SX_jjP12ihipStream_tbEUlT_E1_NS1_11comp_targetILNS1_3genE2ELNS1_11target_archE906ELNS1_3gpuE6ELNS1_3repE0EEENS1_59segmented_radix_sort_warp_sort_small_config_static_selectorELNS0_4arch9wavefront6targetE1EEEvSL_
	.p2align	8
	.type	_ZN7rocprim17ROCPRIM_400000_NS6detail17trampoline_kernelINS0_14default_configENS1_36segmented_radix_sort_config_selectorI6__halflEEZNS1_25segmented_radix_sort_implIS3_Lb1EPKS5_PS5_PKlPlN2at6native12_GLOBAL__N_18offset_tEEE10hipError_tPvRmT1_PNSt15iterator_traitsISL_E10value_typeET2_T3_PNSM_ISR_E10value_typeET4_jRbjT5_SX_jjP12ihipStream_tbEUlT_E1_NS1_11comp_targetILNS1_3genE2ELNS1_11target_archE906ELNS1_3gpuE6ELNS1_3repE0EEENS1_59segmented_radix_sort_warp_sort_small_config_static_selectorELNS0_4arch9wavefront6targetE1EEEvSL_,@function
_ZN7rocprim17ROCPRIM_400000_NS6detail17trampoline_kernelINS0_14default_configENS1_36segmented_radix_sort_config_selectorI6__halflEEZNS1_25segmented_radix_sort_implIS3_Lb1EPKS5_PS5_PKlPlN2at6native12_GLOBAL__N_18offset_tEEE10hipError_tPvRmT1_PNSt15iterator_traitsISL_E10value_typeET2_T3_PNSM_ISR_E10value_typeET4_jRbjT5_SX_jjP12ihipStream_tbEUlT_E1_NS1_11comp_targetILNS1_3genE2ELNS1_11target_archE906ELNS1_3gpuE6ELNS1_3repE0EEENS1_59segmented_radix_sort_warp_sort_small_config_static_selectorELNS0_4arch9wavefront6targetE1EEEvSL_: ; @_ZN7rocprim17ROCPRIM_400000_NS6detail17trampoline_kernelINS0_14default_configENS1_36segmented_radix_sort_config_selectorI6__halflEEZNS1_25segmented_radix_sort_implIS3_Lb1EPKS5_PS5_PKlPlN2at6native12_GLOBAL__N_18offset_tEEE10hipError_tPvRmT1_PNSt15iterator_traitsISL_E10value_typeET2_T3_PNSM_ISR_E10value_typeET4_jRbjT5_SX_jjP12ihipStream_tbEUlT_E1_NS1_11comp_targetILNS1_3genE2ELNS1_11target_archE906ELNS1_3gpuE6ELNS1_3repE0EEENS1_59segmented_radix_sort_warp_sort_small_config_static_selectorELNS0_4arch9wavefront6targetE1EEEvSL_
; %bb.0:
	s_add_u32 s0, s0, s8
	s_load_dword s8, s[4:5], 0x64
	s_addc_u32 s1, s1, 0
	s_mov_b32 s32, 0
	s_waitcnt lgkmcnt(0)
	s_lshr_b32 s9, s8, 16
	s_and_b32 s8, s8, 0xffff
	v_mad_u32_u24 v3, v2, s9, v1
	v_mad_u64_u32 v[3:4], s[8:9], v3, s8, v[0:1]
	s_load_dword s8, s[4:5], 0x34
	v_lshrrev_b32_e32 v3, 3, v3
	v_lshl_add_u32 v3, s6, 5, v3
	s_waitcnt lgkmcnt(0)
	v_cmp_gt_u32_e32 vcc, s8, v3
	s_and_saveexec_b64 s[8:9], vcc
	s_cbranch_execz .LBB1764_3
; %bb.1:
	s_load_dwordx2 s[12:13], s[4:5], 0x38
	s_load_dwordx4 s[8:11], s[4:5], 0x40
	v_mov_b32_e32 v4, 0
	v_lshlrev_b64 v[3:4], 2, v[3:4]
	s_waitcnt lgkmcnt(0)
	v_mov_b32_e32 v5, s13
	v_sub_co_u32_e32 v3, vcc, s12, v3
	v_subb_co_u32_e32 v4, vcc, v5, v4, vcc
	global_load_dword v3, v[3:4], off offset:-4
	s_waitcnt vmcnt(0)
	v_add_u32_e32 v4, s9, v3
	v_add_u32_e32 v3, s11, v3
	v_mul_lo_u32 v13, v4, s8
	v_mul_lo_u32 v14, v3, s10
	v_cmp_gt_u32_e32 vcc, v14, v13
	s_and_b64 exec, exec, vcc
	s_cbranch_execz .LBB1764_3
; %bb.2:
	s_load_dword s8, s[4:5], 0x30
	s_load_dwordx4 s[24:27], s[4:5], 0x20
	s_load_dwordx8 s[16:23], s[4:5], 0x0
	s_mov_b64 s[10:11], src_shared_base
	v_lshlrev_b32_e32 v2, 20, v2
	s_waitcnt lgkmcnt(0)
	s_and_b32 s10, s8, 0xff
	s_add_u32 s8, s4, 0x58
	s_addc_u32 s9, s5, 0
	v_lshlrev_b32_e32 v1, 10, v1
	s_getpc_b64 s[4:5]
	s_add_u32 s4, s4, _ZN7rocprim17ROCPRIM_400000_NS6detail26segmented_warp_sort_helperINS1_20WarpSortHelperConfigILj8ELj4ELj256EEE6__halflLi256ELb1EvE4sortIPKS5_PS5_PKlPlEEvT_SA_T0_T1_SD_T2_bjjjjRNS6_12storage_typeE@rel32@lo+4
	s_addc_u32 s5, s5, _ZN7rocprim17ROCPRIM_400000_NS6detail26segmented_warp_sort_helperINS1_20WarpSortHelperConfigILj8ELj4ELj256EEE6__halflLi256ELb1EvE4sortIPKS5_PS5_PKlPlEEvT_SA_T0_T1_SD_T2_bjjjjRNS6_12storage_typeE@rel32@hi+12
	v_or3_b32 v31, v0, v1, v2
	s_mov_b32 s12, s6
	s_mov_b32 s13, s7
	v_mov_b32_e32 v0, s16
	v_mov_b32_e32 v1, s17
	;; [unrolled: 1-line block ×15, first 2 shown]
	s_swappc_b64 s[30:31], s[4:5]
.LBB1764_3:
	s_endpgm
	.section	.rodata,"a",@progbits
	.p2align	6, 0x0
	.amdhsa_kernel _ZN7rocprim17ROCPRIM_400000_NS6detail17trampoline_kernelINS0_14default_configENS1_36segmented_radix_sort_config_selectorI6__halflEEZNS1_25segmented_radix_sort_implIS3_Lb1EPKS5_PS5_PKlPlN2at6native12_GLOBAL__N_18offset_tEEE10hipError_tPvRmT1_PNSt15iterator_traitsISL_E10value_typeET2_T3_PNSM_ISR_E10value_typeET4_jRbjT5_SX_jjP12ihipStream_tbEUlT_E1_NS1_11comp_targetILNS1_3genE2ELNS1_11target_archE906ELNS1_3gpuE6ELNS1_3repE0EEENS1_59segmented_radix_sort_warp_sort_small_config_static_selectorELNS0_4arch9wavefront6targetE1EEEvSL_
		.amdhsa_group_segment_fixed_size 10240
		.amdhsa_private_segment_fixed_size 0
		.amdhsa_kernarg_size 344
		.amdhsa_user_sgpr_count 6
		.amdhsa_user_sgpr_private_segment_buffer 1
		.amdhsa_user_sgpr_dispatch_ptr 0
		.amdhsa_user_sgpr_queue_ptr 0
		.amdhsa_user_sgpr_kernarg_segment_ptr 1
		.amdhsa_user_sgpr_dispatch_id 0
		.amdhsa_user_sgpr_flat_scratch_init 0
		.amdhsa_user_sgpr_private_segment_size 0
		.amdhsa_uses_dynamic_stack 0
		.amdhsa_system_sgpr_private_segment_wavefront_offset 0
		.amdhsa_system_sgpr_workgroup_id_x 1
		.amdhsa_system_sgpr_workgroup_id_y 1
		.amdhsa_system_sgpr_workgroup_id_z 0
		.amdhsa_system_sgpr_workgroup_info 0
		.amdhsa_system_vgpr_workitem_id 2
		.amdhsa_next_free_vgpr 68
		.amdhsa_next_free_sgpr 93
		.amdhsa_reserve_vcc 1
		.amdhsa_reserve_flat_scratch 0
		.amdhsa_float_round_mode_32 0
		.amdhsa_float_round_mode_16_64 0
		.amdhsa_float_denorm_mode_32 3
		.amdhsa_float_denorm_mode_16_64 3
		.amdhsa_dx10_clamp 1
		.amdhsa_ieee_mode 1
		.amdhsa_fp16_overflow 0
		.amdhsa_exception_fp_ieee_invalid_op 0
		.amdhsa_exception_fp_denorm_src 0
		.amdhsa_exception_fp_ieee_div_zero 0
		.amdhsa_exception_fp_ieee_overflow 0
		.amdhsa_exception_fp_ieee_underflow 0
		.amdhsa_exception_fp_ieee_inexact 0
		.amdhsa_exception_int_div_zero 0
	.end_amdhsa_kernel
	.section	.text._ZN7rocprim17ROCPRIM_400000_NS6detail17trampoline_kernelINS0_14default_configENS1_36segmented_radix_sort_config_selectorI6__halflEEZNS1_25segmented_radix_sort_implIS3_Lb1EPKS5_PS5_PKlPlN2at6native12_GLOBAL__N_18offset_tEEE10hipError_tPvRmT1_PNSt15iterator_traitsISL_E10value_typeET2_T3_PNSM_ISR_E10value_typeET4_jRbjT5_SX_jjP12ihipStream_tbEUlT_E1_NS1_11comp_targetILNS1_3genE2ELNS1_11target_archE906ELNS1_3gpuE6ELNS1_3repE0EEENS1_59segmented_radix_sort_warp_sort_small_config_static_selectorELNS0_4arch9wavefront6targetE1EEEvSL_,"axG",@progbits,_ZN7rocprim17ROCPRIM_400000_NS6detail17trampoline_kernelINS0_14default_configENS1_36segmented_radix_sort_config_selectorI6__halflEEZNS1_25segmented_radix_sort_implIS3_Lb1EPKS5_PS5_PKlPlN2at6native12_GLOBAL__N_18offset_tEEE10hipError_tPvRmT1_PNSt15iterator_traitsISL_E10value_typeET2_T3_PNSM_ISR_E10value_typeET4_jRbjT5_SX_jjP12ihipStream_tbEUlT_E1_NS1_11comp_targetILNS1_3genE2ELNS1_11target_archE906ELNS1_3gpuE6ELNS1_3repE0EEENS1_59segmented_radix_sort_warp_sort_small_config_static_selectorELNS0_4arch9wavefront6targetE1EEEvSL_,comdat
.Lfunc_end1764:
	.size	_ZN7rocprim17ROCPRIM_400000_NS6detail17trampoline_kernelINS0_14default_configENS1_36segmented_radix_sort_config_selectorI6__halflEEZNS1_25segmented_radix_sort_implIS3_Lb1EPKS5_PS5_PKlPlN2at6native12_GLOBAL__N_18offset_tEEE10hipError_tPvRmT1_PNSt15iterator_traitsISL_E10value_typeET2_T3_PNSM_ISR_E10value_typeET4_jRbjT5_SX_jjP12ihipStream_tbEUlT_E1_NS1_11comp_targetILNS1_3genE2ELNS1_11target_archE906ELNS1_3gpuE6ELNS1_3repE0EEENS1_59segmented_radix_sort_warp_sort_small_config_static_selectorELNS0_4arch9wavefront6targetE1EEEvSL_, .Lfunc_end1764-_ZN7rocprim17ROCPRIM_400000_NS6detail17trampoline_kernelINS0_14default_configENS1_36segmented_radix_sort_config_selectorI6__halflEEZNS1_25segmented_radix_sort_implIS3_Lb1EPKS5_PS5_PKlPlN2at6native12_GLOBAL__N_18offset_tEEE10hipError_tPvRmT1_PNSt15iterator_traitsISL_E10value_typeET2_T3_PNSM_ISR_E10value_typeET4_jRbjT5_SX_jjP12ihipStream_tbEUlT_E1_NS1_11comp_targetILNS1_3genE2ELNS1_11target_archE906ELNS1_3gpuE6ELNS1_3repE0EEENS1_59segmented_radix_sort_warp_sort_small_config_static_selectorELNS0_4arch9wavefront6targetE1EEEvSL_
                                        ; -- End function
	.set _ZN7rocprim17ROCPRIM_400000_NS6detail17trampoline_kernelINS0_14default_configENS1_36segmented_radix_sort_config_selectorI6__halflEEZNS1_25segmented_radix_sort_implIS3_Lb1EPKS5_PS5_PKlPlN2at6native12_GLOBAL__N_18offset_tEEE10hipError_tPvRmT1_PNSt15iterator_traitsISL_E10value_typeET2_T3_PNSM_ISR_E10value_typeET4_jRbjT5_SX_jjP12ihipStream_tbEUlT_E1_NS1_11comp_targetILNS1_3genE2ELNS1_11target_archE906ELNS1_3gpuE6ELNS1_3repE0EEENS1_59segmented_radix_sort_warp_sort_small_config_static_selectorELNS0_4arch9wavefront6targetE1EEEvSL_.num_vgpr, max(32, .L_ZN7rocprim17ROCPRIM_400000_NS6detail26segmented_warp_sort_helperINS1_20WarpSortHelperConfigILj8ELj4ELj256EEE6__halflLi256ELb1EvE4sortIPKS5_PS5_PKlPlEEvT_SA_T0_T1_SD_T2_bjjjjRNS6_12storage_typeE.num_vgpr)
	.set _ZN7rocprim17ROCPRIM_400000_NS6detail17trampoline_kernelINS0_14default_configENS1_36segmented_radix_sort_config_selectorI6__halflEEZNS1_25segmented_radix_sort_implIS3_Lb1EPKS5_PS5_PKlPlN2at6native12_GLOBAL__N_18offset_tEEE10hipError_tPvRmT1_PNSt15iterator_traitsISL_E10value_typeET2_T3_PNSM_ISR_E10value_typeET4_jRbjT5_SX_jjP12ihipStream_tbEUlT_E1_NS1_11comp_targetILNS1_3genE2ELNS1_11target_archE906ELNS1_3gpuE6ELNS1_3repE0EEENS1_59segmented_radix_sort_warp_sort_small_config_static_selectorELNS0_4arch9wavefront6targetE1EEEvSL_.num_agpr, max(0, .L_ZN7rocprim17ROCPRIM_400000_NS6detail26segmented_warp_sort_helperINS1_20WarpSortHelperConfigILj8ELj4ELj256EEE6__halflLi256ELb1EvE4sortIPKS5_PS5_PKlPlEEvT_SA_T0_T1_SD_T2_bjjjjRNS6_12storage_typeE.num_agpr)
	.set _ZN7rocprim17ROCPRIM_400000_NS6detail17trampoline_kernelINS0_14default_configENS1_36segmented_radix_sort_config_selectorI6__halflEEZNS1_25segmented_radix_sort_implIS3_Lb1EPKS5_PS5_PKlPlN2at6native12_GLOBAL__N_18offset_tEEE10hipError_tPvRmT1_PNSt15iterator_traitsISL_E10value_typeET2_T3_PNSM_ISR_E10value_typeET4_jRbjT5_SX_jjP12ihipStream_tbEUlT_E1_NS1_11comp_targetILNS1_3genE2ELNS1_11target_archE906ELNS1_3gpuE6ELNS1_3repE0EEENS1_59segmented_radix_sort_warp_sort_small_config_static_selectorELNS0_4arch9wavefront6targetE1EEEvSL_.numbered_sgpr, max(33, .L_ZN7rocprim17ROCPRIM_400000_NS6detail26segmented_warp_sort_helperINS1_20WarpSortHelperConfigILj8ELj4ELj256EEE6__halflLi256ELb1EvE4sortIPKS5_PS5_PKlPlEEvT_SA_T0_T1_SD_T2_bjjjjRNS6_12storage_typeE.numbered_sgpr)
	.set _ZN7rocprim17ROCPRIM_400000_NS6detail17trampoline_kernelINS0_14default_configENS1_36segmented_radix_sort_config_selectorI6__halflEEZNS1_25segmented_radix_sort_implIS3_Lb1EPKS5_PS5_PKlPlN2at6native12_GLOBAL__N_18offset_tEEE10hipError_tPvRmT1_PNSt15iterator_traitsISL_E10value_typeET2_T3_PNSM_ISR_E10value_typeET4_jRbjT5_SX_jjP12ihipStream_tbEUlT_E1_NS1_11comp_targetILNS1_3genE2ELNS1_11target_archE906ELNS1_3gpuE6ELNS1_3repE0EEENS1_59segmented_radix_sort_warp_sort_small_config_static_selectorELNS0_4arch9wavefront6targetE1EEEvSL_.num_named_barrier, max(0, .L_ZN7rocprim17ROCPRIM_400000_NS6detail26segmented_warp_sort_helperINS1_20WarpSortHelperConfigILj8ELj4ELj256EEE6__halflLi256ELb1EvE4sortIPKS5_PS5_PKlPlEEvT_SA_T0_T1_SD_T2_bjjjjRNS6_12storage_typeE.num_named_barrier)
	.set _ZN7rocprim17ROCPRIM_400000_NS6detail17trampoline_kernelINS0_14default_configENS1_36segmented_radix_sort_config_selectorI6__halflEEZNS1_25segmented_radix_sort_implIS3_Lb1EPKS5_PS5_PKlPlN2at6native12_GLOBAL__N_18offset_tEEE10hipError_tPvRmT1_PNSt15iterator_traitsISL_E10value_typeET2_T3_PNSM_ISR_E10value_typeET4_jRbjT5_SX_jjP12ihipStream_tbEUlT_E1_NS1_11comp_targetILNS1_3genE2ELNS1_11target_archE906ELNS1_3gpuE6ELNS1_3repE0EEENS1_59segmented_radix_sort_warp_sort_small_config_static_selectorELNS0_4arch9wavefront6targetE1EEEvSL_.private_seg_size, 0+max(.L_ZN7rocprim17ROCPRIM_400000_NS6detail26segmented_warp_sort_helperINS1_20WarpSortHelperConfigILj8ELj4ELj256EEE6__halflLi256ELb1EvE4sortIPKS5_PS5_PKlPlEEvT_SA_T0_T1_SD_T2_bjjjjRNS6_12storage_typeE.private_seg_size)
	.set _ZN7rocprim17ROCPRIM_400000_NS6detail17trampoline_kernelINS0_14default_configENS1_36segmented_radix_sort_config_selectorI6__halflEEZNS1_25segmented_radix_sort_implIS3_Lb1EPKS5_PS5_PKlPlN2at6native12_GLOBAL__N_18offset_tEEE10hipError_tPvRmT1_PNSt15iterator_traitsISL_E10value_typeET2_T3_PNSM_ISR_E10value_typeET4_jRbjT5_SX_jjP12ihipStream_tbEUlT_E1_NS1_11comp_targetILNS1_3genE2ELNS1_11target_archE906ELNS1_3gpuE6ELNS1_3repE0EEENS1_59segmented_radix_sort_warp_sort_small_config_static_selectorELNS0_4arch9wavefront6targetE1EEEvSL_.uses_vcc, or(1, .L_ZN7rocprim17ROCPRIM_400000_NS6detail26segmented_warp_sort_helperINS1_20WarpSortHelperConfigILj8ELj4ELj256EEE6__halflLi256ELb1EvE4sortIPKS5_PS5_PKlPlEEvT_SA_T0_T1_SD_T2_bjjjjRNS6_12storage_typeE.uses_vcc)
	.set _ZN7rocprim17ROCPRIM_400000_NS6detail17trampoline_kernelINS0_14default_configENS1_36segmented_radix_sort_config_selectorI6__halflEEZNS1_25segmented_radix_sort_implIS3_Lb1EPKS5_PS5_PKlPlN2at6native12_GLOBAL__N_18offset_tEEE10hipError_tPvRmT1_PNSt15iterator_traitsISL_E10value_typeET2_T3_PNSM_ISR_E10value_typeET4_jRbjT5_SX_jjP12ihipStream_tbEUlT_E1_NS1_11comp_targetILNS1_3genE2ELNS1_11target_archE906ELNS1_3gpuE6ELNS1_3repE0EEENS1_59segmented_radix_sort_warp_sort_small_config_static_selectorELNS0_4arch9wavefront6targetE1EEEvSL_.uses_flat_scratch, or(0, .L_ZN7rocprim17ROCPRIM_400000_NS6detail26segmented_warp_sort_helperINS1_20WarpSortHelperConfigILj8ELj4ELj256EEE6__halflLi256ELb1EvE4sortIPKS5_PS5_PKlPlEEvT_SA_T0_T1_SD_T2_bjjjjRNS6_12storage_typeE.uses_flat_scratch)
	.set _ZN7rocprim17ROCPRIM_400000_NS6detail17trampoline_kernelINS0_14default_configENS1_36segmented_radix_sort_config_selectorI6__halflEEZNS1_25segmented_radix_sort_implIS3_Lb1EPKS5_PS5_PKlPlN2at6native12_GLOBAL__N_18offset_tEEE10hipError_tPvRmT1_PNSt15iterator_traitsISL_E10value_typeET2_T3_PNSM_ISR_E10value_typeET4_jRbjT5_SX_jjP12ihipStream_tbEUlT_E1_NS1_11comp_targetILNS1_3genE2ELNS1_11target_archE906ELNS1_3gpuE6ELNS1_3repE0EEENS1_59segmented_radix_sort_warp_sort_small_config_static_selectorELNS0_4arch9wavefront6targetE1EEEvSL_.has_dyn_sized_stack, or(0, .L_ZN7rocprim17ROCPRIM_400000_NS6detail26segmented_warp_sort_helperINS1_20WarpSortHelperConfigILj8ELj4ELj256EEE6__halflLi256ELb1EvE4sortIPKS5_PS5_PKlPlEEvT_SA_T0_T1_SD_T2_bjjjjRNS6_12storage_typeE.has_dyn_sized_stack)
	.set _ZN7rocprim17ROCPRIM_400000_NS6detail17trampoline_kernelINS0_14default_configENS1_36segmented_radix_sort_config_selectorI6__halflEEZNS1_25segmented_radix_sort_implIS3_Lb1EPKS5_PS5_PKlPlN2at6native12_GLOBAL__N_18offset_tEEE10hipError_tPvRmT1_PNSt15iterator_traitsISL_E10value_typeET2_T3_PNSM_ISR_E10value_typeET4_jRbjT5_SX_jjP12ihipStream_tbEUlT_E1_NS1_11comp_targetILNS1_3genE2ELNS1_11target_archE906ELNS1_3gpuE6ELNS1_3repE0EEENS1_59segmented_radix_sort_warp_sort_small_config_static_selectorELNS0_4arch9wavefront6targetE1EEEvSL_.has_recursion, or(0, .L_ZN7rocprim17ROCPRIM_400000_NS6detail26segmented_warp_sort_helperINS1_20WarpSortHelperConfigILj8ELj4ELj256EEE6__halflLi256ELb1EvE4sortIPKS5_PS5_PKlPlEEvT_SA_T0_T1_SD_T2_bjjjjRNS6_12storage_typeE.has_recursion)
	.set _ZN7rocprim17ROCPRIM_400000_NS6detail17trampoline_kernelINS0_14default_configENS1_36segmented_radix_sort_config_selectorI6__halflEEZNS1_25segmented_radix_sort_implIS3_Lb1EPKS5_PS5_PKlPlN2at6native12_GLOBAL__N_18offset_tEEE10hipError_tPvRmT1_PNSt15iterator_traitsISL_E10value_typeET2_T3_PNSM_ISR_E10value_typeET4_jRbjT5_SX_jjP12ihipStream_tbEUlT_E1_NS1_11comp_targetILNS1_3genE2ELNS1_11target_archE906ELNS1_3gpuE6ELNS1_3repE0EEENS1_59segmented_radix_sort_warp_sort_small_config_static_selectorELNS0_4arch9wavefront6targetE1EEEvSL_.has_indirect_call, or(0, .L_ZN7rocprim17ROCPRIM_400000_NS6detail26segmented_warp_sort_helperINS1_20WarpSortHelperConfigILj8ELj4ELj256EEE6__halflLi256ELb1EvE4sortIPKS5_PS5_PKlPlEEvT_SA_T0_T1_SD_T2_bjjjjRNS6_12storage_typeE.has_indirect_call)
	.section	.AMDGPU.csdata,"",@progbits
; Kernel info:
; codeLenInByte = 344
; TotalNumSgprs: 46
; NumVgprs: 68
; ScratchSize: 0
; MemoryBound: 0
; FloatMode: 240
; IeeeMode: 1
; LDSByteSize: 10240 bytes/workgroup (compile time only)
; SGPRBlocks: 12
; VGPRBlocks: 16
; NumSGPRsForWavesPerEU: 97
; NumVGPRsForWavesPerEU: 68
; Occupancy: 3
; WaveLimiterHint : 0
; COMPUTE_PGM_RSRC2:SCRATCH_EN: 0
; COMPUTE_PGM_RSRC2:USER_SGPR: 6
; COMPUTE_PGM_RSRC2:TRAP_HANDLER: 0
; COMPUTE_PGM_RSRC2:TGID_X_EN: 1
; COMPUTE_PGM_RSRC2:TGID_Y_EN: 1
; COMPUTE_PGM_RSRC2:TGID_Z_EN: 0
; COMPUTE_PGM_RSRC2:TIDIG_COMP_CNT: 2
	.section	.text._ZN7rocprim17ROCPRIM_400000_NS6detail17trampoline_kernelINS0_14default_configENS1_36segmented_radix_sort_config_selectorI6__halflEEZNS1_25segmented_radix_sort_implIS3_Lb1EPKS5_PS5_PKlPlN2at6native12_GLOBAL__N_18offset_tEEE10hipError_tPvRmT1_PNSt15iterator_traitsISL_E10value_typeET2_T3_PNSM_ISR_E10value_typeET4_jRbjT5_SX_jjP12ihipStream_tbEUlT_E1_NS1_11comp_targetILNS1_3genE10ELNS1_11target_archE1201ELNS1_3gpuE5ELNS1_3repE0EEENS1_59segmented_radix_sort_warp_sort_small_config_static_selectorELNS0_4arch9wavefront6targetE1EEEvSL_,"axG",@progbits,_ZN7rocprim17ROCPRIM_400000_NS6detail17trampoline_kernelINS0_14default_configENS1_36segmented_radix_sort_config_selectorI6__halflEEZNS1_25segmented_radix_sort_implIS3_Lb1EPKS5_PS5_PKlPlN2at6native12_GLOBAL__N_18offset_tEEE10hipError_tPvRmT1_PNSt15iterator_traitsISL_E10value_typeET2_T3_PNSM_ISR_E10value_typeET4_jRbjT5_SX_jjP12ihipStream_tbEUlT_E1_NS1_11comp_targetILNS1_3genE10ELNS1_11target_archE1201ELNS1_3gpuE5ELNS1_3repE0EEENS1_59segmented_radix_sort_warp_sort_small_config_static_selectorELNS0_4arch9wavefront6targetE1EEEvSL_,comdat
	.globl	_ZN7rocprim17ROCPRIM_400000_NS6detail17trampoline_kernelINS0_14default_configENS1_36segmented_radix_sort_config_selectorI6__halflEEZNS1_25segmented_radix_sort_implIS3_Lb1EPKS5_PS5_PKlPlN2at6native12_GLOBAL__N_18offset_tEEE10hipError_tPvRmT1_PNSt15iterator_traitsISL_E10value_typeET2_T3_PNSM_ISR_E10value_typeET4_jRbjT5_SX_jjP12ihipStream_tbEUlT_E1_NS1_11comp_targetILNS1_3genE10ELNS1_11target_archE1201ELNS1_3gpuE5ELNS1_3repE0EEENS1_59segmented_radix_sort_warp_sort_small_config_static_selectorELNS0_4arch9wavefront6targetE1EEEvSL_ ; -- Begin function _ZN7rocprim17ROCPRIM_400000_NS6detail17trampoline_kernelINS0_14default_configENS1_36segmented_radix_sort_config_selectorI6__halflEEZNS1_25segmented_radix_sort_implIS3_Lb1EPKS5_PS5_PKlPlN2at6native12_GLOBAL__N_18offset_tEEE10hipError_tPvRmT1_PNSt15iterator_traitsISL_E10value_typeET2_T3_PNSM_ISR_E10value_typeET4_jRbjT5_SX_jjP12ihipStream_tbEUlT_E1_NS1_11comp_targetILNS1_3genE10ELNS1_11target_archE1201ELNS1_3gpuE5ELNS1_3repE0EEENS1_59segmented_radix_sort_warp_sort_small_config_static_selectorELNS0_4arch9wavefront6targetE1EEEvSL_
	.p2align	8
	.type	_ZN7rocprim17ROCPRIM_400000_NS6detail17trampoline_kernelINS0_14default_configENS1_36segmented_radix_sort_config_selectorI6__halflEEZNS1_25segmented_radix_sort_implIS3_Lb1EPKS5_PS5_PKlPlN2at6native12_GLOBAL__N_18offset_tEEE10hipError_tPvRmT1_PNSt15iterator_traitsISL_E10value_typeET2_T3_PNSM_ISR_E10value_typeET4_jRbjT5_SX_jjP12ihipStream_tbEUlT_E1_NS1_11comp_targetILNS1_3genE10ELNS1_11target_archE1201ELNS1_3gpuE5ELNS1_3repE0EEENS1_59segmented_radix_sort_warp_sort_small_config_static_selectorELNS0_4arch9wavefront6targetE1EEEvSL_,@function
_ZN7rocprim17ROCPRIM_400000_NS6detail17trampoline_kernelINS0_14default_configENS1_36segmented_radix_sort_config_selectorI6__halflEEZNS1_25segmented_radix_sort_implIS3_Lb1EPKS5_PS5_PKlPlN2at6native12_GLOBAL__N_18offset_tEEE10hipError_tPvRmT1_PNSt15iterator_traitsISL_E10value_typeET2_T3_PNSM_ISR_E10value_typeET4_jRbjT5_SX_jjP12ihipStream_tbEUlT_E1_NS1_11comp_targetILNS1_3genE10ELNS1_11target_archE1201ELNS1_3gpuE5ELNS1_3repE0EEENS1_59segmented_radix_sort_warp_sort_small_config_static_selectorELNS0_4arch9wavefront6targetE1EEEvSL_: ; @_ZN7rocprim17ROCPRIM_400000_NS6detail17trampoline_kernelINS0_14default_configENS1_36segmented_radix_sort_config_selectorI6__halflEEZNS1_25segmented_radix_sort_implIS3_Lb1EPKS5_PS5_PKlPlN2at6native12_GLOBAL__N_18offset_tEEE10hipError_tPvRmT1_PNSt15iterator_traitsISL_E10value_typeET2_T3_PNSM_ISR_E10value_typeET4_jRbjT5_SX_jjP12ihipStream_tbEUlT_E1_NS1_11comp_targetILNS1_3genE10ELNS1_11target_archE1201ELNS1_3gpuE5ELNS1_3repE0EEENS1_59segmented_radix_sort_warp_sort_small_config_static_selectorELNS0_4arch9wavefront6targetE1EEEvSL_
; %bb.0:
	.section	.rodata,"a",@progbits
	.p2align	6, 0x0
	.amdhsa_kernel _ZN7rocprim17ROCPRIM_400000_NS6detail17trampoline_kernelINS0_14default_configENS1_36segmented_radix_sort_config_selectorI6__halflEEZNS1_25segmented_radix_sort_implIS3_Lb1EPKS5_PS5_PKlPlN2at6native12_GLOBAL__N_18offset_tEEE10hipError_tPvRmT1_PNSt15iterator_traitsISL_E10value_typeET2_T3_PNSM_ISR_E10value_typeET4_jRbjT5_SX_jjP12ihipStream_tbEUlT_E1_NS1_11comp_targetILNS1_3genE10ELNS1_11target_archE1201ELNS1_3gpuE5ELNS1_3repE0EEENS1_59segmented_radix_sort_warp_sort_small_config_static_selectorELNS0_4arch9wavefront6targetE1EEEvSL_
		.amdhsa_group_segment_fixed_size 0
		.amdhsa_private_segment_fixed_size 0
		.amdhsa_kernarg_size 88
		.amdhsa_user_sgpr_count 6
		.amdhsa_user_sgpr_private_segment_buffer 1
		.amdhsa_user_sgpr_dispatch_ptr 0
		.amdhsa_user_sgpr_queue_ptr 0
		.amdhsa_user_sgpr_kernarg_segment_ptr 1
		.amdhsa_user_sgpr_dispatch_id 0
		.amdhsa_user_sgpr_flat_scratch_init 0
		.amdhsa_user_sgpr_private_segment_size 0
		.amdhsa_uses_dynamic_stack 0
		.amdhsa_system_sgpr_private_segment_wavefront_offset 0
		.amdhsa_system_sgpr_workgroup_id_x 1
		.amdhsa_system_sgpr_workgroup_id_y 0
		.amdhsa_system_sgpr_workgroup_id_z 0
		.amdhsa_system_sgpr_workgroup_info 0
		.amdhsa_system_vgpr_workitem_id 0
		.amdhsa_next_free_vgpr 1
		.amdhsa_next_free_sgpr 0
		.amdhsa_reserve_vcc 0
		.amdhsa_reserve_flat_scratch 0
		.amdhsa_float_round_mode_32 0
		.amdhsa_float_round_mode_16_64 0
		.amdhsa_float_denorm_mode_32 3
		.amdhsa_float_denorm_mode_16_64 3
		.amdhsa_dx10_clamp 1
		.amdhsa_ieee_mode 1
		.amdhsa_fp16_overflow 0
		.amdhsa_exception_fp_ieee_invalid_op 0
		.amdhsa_exception_fp_denorm_src 0
		.amdhsa_exception_fp_ieee_div_zero 0
		.amdhsa_exception_fp_ieee_overflow 0
		.amdhsa_exception_fp_ieee_underflow 0
		.amdhsa_exception_fp_ieee_inexact 0
		.amdhsa_exception_int_div_zero 0
	.end_amdhsa_kernel
	.section	.text._ZN7rocprim17ROCPRIM_400000_NS6detail17trampoline_kernelINS0_14default_configENS1_36segmented_radix_sort_config_selectorI6__halflEEZNS1_25segmented_radix_sort_implIS3_Lb1EPKS5_PS5_PKlPlN2at6native12_GLOBAL__N_18offset_tEEE10hipError_tPvRmT1_PNSt15iterator_traitsISL_E10value_typeET2_T3_PNSM_ISR_E10value_typeET4_jRbjT5_SX_jjP12ihipStream_tbEUlT_E1_NS1_11comp_targetILNS1_3genE10ELNS1_11target_archE1201ELNS1_3gpuE5ELNS1_3repE0EEENS1_59segmented_radix_sort_warp_sort_small_config_static_selectorELNS0_4arch9wavefront6targetE1EEEvSL_,"axG",@progbits,_ZN7rocprim17ROCPRIM_400000_NS6detail17trampoline_kernelINS0_14default_configENS1_36segmented_radix_sort_config_selectorI6__halflEEZNS1_25segmented_radix_sort_implIS3_Lb1EPKS5_PS5_PKlPlN2at6native12_GLOBAL__N_18offset_tEEE10hipError_tPvRmT1_PNSt15iterator_traitsISL_E10value_typeET2_T3_PNSM_ISR_E10value_typeET4_jRbjT5_SX_jjP12ihipStream_tbEUlT_E1_NS1_11comp_targetILNS1_3genE10ELNS1_11target_archE1201ELNS1_3gpuE5ELNS1_3repE0EEENS1_59segmented_radix_sort_warp_sort_small_config_static_selectorELNS0_4arch9wavefront6targetE1EEEvSL_,comdat
.Lfunc_end1765:
	.size	_ZN7rocprim17ROCPRIM_400000_NS6detail17trampoline_kernelINS0_14default_configENS1_36segmented_radix_sort_config_selectorI6__halflEEZNS1_25segmented_radix_sort_implIS3_Lb1EPKS5_PS5_PKlPlN2at6native12_GLOBAL__N_18offset_tEEE10hipError_tPvRmT1_PNSt15iterator_traitsISL_E10value_typeET2_T3_PNSM_ISR_E10value_typeET4_jRbjT5_SX_jjP12ihipStream_tbEUlT_E1_NS1_11comp_targetILNS1_3genE10ELNS1_11target_archE1201ELNS1_3gpuE5ELNS1_3repE0EEENS1_59segmented_radix_sort_warp_sort_small_config_static_selectorELNS0_4arch9wavefront6targetE1EEEvSL_, .Lfunc_end1765-_ZN7rocprim17ROCPRIM_400000_NS6detail17trampoline_kernelINS0_14default_configENS1_36segmented_radix_sort_config_selectorI6__halflEEZNS1_25segmented_radix_sort_implIS3_Lb1EPKS5_PS5_PKlPlN2at6native12_GLOBAL__N_18offset_tEEE10hipError_tPvRmT1_PNSt15iterator_traitsISL_E10value_typeET2_T3_PNSM_ISR_E10value_typeET4_jRbjT5_SX_jjP12ihipStream_tbEUlT_E1_NS1_11comp_targetILNS1_3genE10ELNS1_11target_archE1201ELNS1_3gpuE5ELNS1_3repE0EEENS1_59segmented_radix_sort_warp_sort_small_config_static_selectorELNS0_4arch9wavefront6targetE1EEEvSL_
                                        ; -- End function
	.set _ZN7rocprim17ROCPRIM_400000_NS6detail17trampoline_kernelINS0_14default_configENS1_36segmented_radix_sort_config_selectorI6__halflEEZNS1_25segmented_radix_sort_implIS3_Lb1EPKS5_PS5_PKlPlN2at6native12_GLOBAL__N_18offset_tEEE10hipError_tPvRmT1_PNSt15iterator_traitsISL_E10value_typeET2_T3_PNSM_ISR_E10value_typeET4_jRbjT5_SX_jjP12ihipStream_tbEUlT_E1_NS1_11comp_targetILNS1_3genE10ELNS1_11target_archE1201ELNS1_3gpuE5ELNS1_3repE0EEENS1_59segmented_radix_sort_warp_sort_small_config_static_selectorELNS0_4arch9wavefront6targetE1EEEvSL_.num_vgpr, 0
	.set _ZN7rocprim17ROCPRIM_400000_NS6detail17trampoline_kernelINS0_14default_configENS1_36segmented_radix_sort_config_selectorI6__halflEEZNS1_25segmented_radix_sort_implIS3_Lb1EPKS5_PS5_PKlPlN2at6native12_GLOBAL__N_18offset_tEEE10hipError_tPvRmT1_PNSt15iterator_traitsISL_E10value_typeET2_T3_PNSM_ISR_E10value_typeET4_jRbjT5_SX_jjP12ihipStream_tbEUlT_E1_NS1_11comp_targetILNS1_3genE10ELNS1_11target_archE1201ELNS1_3gpuE5ELNS1_3repE0EEENS1_59segmented_radix_sort_warp_sort_small_config_static_selectorELNS0_4arch9wavefront6targetE1EEEvSL_.num_agpr, 0
	.set _ZN7rocprim17ROCPRIM_400000_NS6detail17trampoline_kernelINS0_14default_configENS1_36segmented_radix_sort_config_selectorI6__halflEEZNS1_25segmented_radix_sort_implIS3_Lb1EPKS5_PS5_PKlPlN2at6native12_GLOBAL__N_18offset_tEEE10hipError_tPvRmT1_PNSt15iterator_traitsISL_E10value_typeET2_T3_PNSM_ISR_E10value_typeET4_jRbjT5_SX_jjP12ihipStream_tbEUlT_E1_NS1_11comp_targetILNS1_3genE10ELNS1_11target_archE1201ELNS1_3gpuE5ELNS1_3repE0EEENS1_59segmented_radix_sort_warp_sort_small_config_static_selectorELNS0_4arch9wavefront6targetE1EEEvSL_.numbered_sgpr, 0
	.set _ZN7rocprim17ROCPRIM_400000_NS6detail17trampoline_kernelINS0_14default_configENS1_36segmented_radix_sort_config_selectorI6__halflEEZNS1_25segmented_radix_sort_implIS3_Lb1EPKS5_PS5_PKlPlN2at6native12_GLOBAL__N_18offset_tEEE10hipError_tPvRmT1_PNSt15iterator_traitsISL_E10value_typeET2_T3_PNSM_ISR_E10value_typeET4_jRbjT5_SX_jjP12ihipStream_tbEUlT_E1_NS1_11comp_targetILNS1_3genE10ELNS1_11target_archE1201ELNS1_3gpuE5ELNS1_3repE0EEENS1_59segmented_radix_sort_warp_sort_small_config_static_selectorELNS0_4arch9wavefront6targetE1EEEvSL_.num_named_barrier, 0
	.set _ZN7rocprim17ROCPRIM_400000_NS6detail17trampoline_kernelINS0_14default_configENS1_36segmented_radix_sort_config_selectorI6__halflEEZNS1_25segmented_radix_sort_implIS3_Lb1EPKS5_PS5_PKlPlN2at6native12_GLOBAL__N_18offset_tEEE10hipError_tPvRmT1_PNSt15iterator_traitsISL_E10value_typeET2_T3_PNSM_ISR_E10value_typeET4_jRbjT5_SX_jjP12ihipStream_tbEUlT_E1_NS1_11comp_targetILNS1_3genE10ELNS1_11target_archE1201ELNS1_3gpuE5ELNS1_3repE0EEENS1_59segmented_radix_sort_warp_sort_small_config_static_selectorELNS0_4arch9wavefront6targetE1EEEvSL_.private_seg_size, 0
	.set _ZN7rocprim17ROCPRIM_400000_NS6detail17trampoline_kernelINS0_14default_configENS1_36segmented_radix_sort_config_selectorI6__halflEEZNS1_25segmented_radix_sort_implIS3_Lb1EPKS5_PS5_PKlPlN2at6native12_GLOBAL__N_18offset_tEEE10hipError_tPvRmT1_PNSt15iterator_traitsISL_E10value_typeET2_T3_PNSM_ISR_E10value_typeET4_jRbjT5_SX_jjP12ihipStream_tbEUlT_E1_NS1_11comp_targetILNS1_3genE10ELNS1_11target_archE1201ELNS1_3gpuE5ELNS1_3repE0EEENS1_59segmented_radix_sort_warp_sort_small_config_static_selectorELNS0_4arch9wavefront6targetE1EEEvSL_.uses_vcc, 0
	.set _ZN7rocprim17ROCPRIM_400000_NS6detail17trampoline_kernelINS0_14default_configENS1_36segmented_radix_sort_config_selectorI6__halflEEZNS1_25segmented_radix_sort_implIS3_Lb1EPKS5_PS5_PKlPlN2at6native12_GLOBAL__N_18offset_tEEE10hipError_tPvRmT1_PNSt15iterator_traitsISL_E10value_typeET2_T3_PNSM_ISR_E10value_typeET4_jRbjT5_SX_jjP12ihipStream_tbEUlT_E1_NS1_11comp_targetILNS1_3genE10ELNS1_11target_archE1201ELNS1_3gpuE5ELNS1_3repE0EEENS1_59segmented_radix_sort_warp_sort_small_config_static_selectorELNS0_4arch9wavefront6targetE1EEEvSL_.uses_flat_scratch, 0
	.set _ZN7rocprim17ROCPRIM_400000_NS6detail17trampoline_kernelINS0_14default_configENS1_36segmented_radix_sort_config_selectorI6__halflEEZNS1_25segmented_radix_sort_implIS3_Lb1EPKS5_PS5_PKlPlN2at6native12_GLOBAL__N_18offset_tEEE10hipError_tPvRmT1_PNSt15iterator_traitsISL_E10value_typeET2_T3_PNSM_ISR_E10value_typeET4_jRbjT5_SX_jjP12ihipStream_tbEUlT_E1_NS1_11comp_targetILNS1_3genE10ELNS1_11target_archE1201ELNS1_3gpuE5ELNS1_3repE0EEENS1_59segmented_radix_sort_warp_sort_small_config_static_selectorELNS0_4arch9wavefront6targetE1EEEvSL_.has_dyn_sized_stack, 0
	.set _ZN7rocprim17ROCPRIM_400000_NS6detail17trampoline_kernelINS0_14default_configENS1_36segmented_radix_sort_config_selectorI6__halflEEZNS1_25segmented_radix_sort_implIS3_Lb1EPKS5_PS5_PKlPlN2at6native12_GLOBAL__N_18offset_tEEE10hipError_tPvRmT1_PNSt15iterator_traitsISL_E10value_typeET2_T3_PNSM_ISR_E10value_typeET4_jRbjT5_SX_jjP12ihipStream_tbEUlT_E1_NS1_11comp_targetILNS1_3genE10ELNS1_11target_archE1201ELNS1_3gpuE5ELNS1_3repE0EEENS1_59segmented_radix_sort_warp_sort_small_config_static_selectorELNS0_4arch9wavefront6targetE1EEEvSL_.has_recursion, 0
	.set _ZN7rocprim17ROCPRIM_400000_NS6detail17trampoline_kernelINS0_14default_configENS1_36segmented_radix_sort_config_selectorI6__halflEEZNS1_25segmented_radix_sort_implIS3_Lb1EPKS5_PS5_PKlPlN2at6native12_GLOBAL__N_18offset_tEEE10hipError_tPvRmT1_PNSt15iterator_traitsISL_E10value_typeET2_T3_PNSM_ISR_E10value_typeET4_jRbjT5_SX_jjP12ihipStream_tbEUlT_E1_NS1_11comp_targetILNS1_3genE10ELNS1_11target_archE1201ELNS1_3gpuE5ELNS1_3repE0EEENS1_59segmented_radix_sort_warp_sort_small_config_static_selectorELNS0_4arch9wavefront6targetE1EEEvSL_.has_indirect_call, 0
	.section	.AMDGPU.csdata,"",@progbits
; Kernel info:
; codeLenInByte = 0
; TotalNumSgprs: 4
; NumVgprs: 0
; ScratchSize: 0
; MemoryBound: 0
; FloatMode: 240
; IeeeMode: 1
; LDSByteSize: 0 bytes/workgroup (compile time only)
; SGPRBlocks: 0
; VGPRBlocks: 0
; NumSGPRsForWavesPerEU: 4
; NumVGPRsForWavesPerEU: 1
; Occupancy: 10
; WaveLimiterHint : 0
; COMPUTE_PGM_RSRC2:SCRATCH_EN: 0
; COMPUTE_PGM_RSRC2:USER_SGPR: 6
; COMPUTE_PGM_RSRC2:TRAP_HANDLER: 0
; COMPUTE_PGM_RSRC2:TGID_X_EN: 1
; COMPUTE_PGM_RSRC2:TGID_Y_EN: 0
; COMPUTE_PGM_RSRC2:TGID_Z_EN: 0
; COMPUTE_PGM_RSRC2:TIDIG_COMP_CNT: 0
	.section	.text._ZN7rocprim17ROCPRIM_400000_NS6detail17trampoline_kernelINS0_14default_configENS1_36segmented_radix_sort_config_selectorI6__halflEEZNS1_25segmented_radix_sort_implIS3_Lb1EPKS5_PS5_PKlPlN2at6native12_GLOBAL__N_18offset_tEEE10hipError_tPvRmT1_PNSt15iterator_traitsISL_E10value_typeET2_T3_PNSM_ISR_E10value_typeET4_jRbjT5_SX_jjP12ihipStream_tbEUlT_E1_NS1_11comp_targetILNS1_3genE10ELNS1_11target_archE1200ELNS1_3gpuE4ELNS1_3repE0EEENS1_59segmented_radix_sort_warp_sort_small_config_static_selectorELNS0_4arch9wavefront6targetE1EEEvSL_,"axG",@progbits,_ZN7rocprim17ROCPRIM_400000_NS6detail17trampoline_kernelINS0_14default_configENS1_36segmented_radix_sort_config_selectorI6__halflEEZNS1_25segmented_radix_sort_implIS3_Lb1EPKS5_PS5_PKlPlN2at6native12_GLOBAL__N_18offset_tEEE10hipError_tPvRmT1_PNSt15iterator_traitsISL_E10value_typeET2_T3_PNSM_ISR_E10value_typeET4_jRbjT5_SX_jjP12ihipStream_tbEUlT_E1_NS1_11comp_targetILNS1_3genE10ELNS1_11target_archE1200ELNS1_3gpuE4ELNS1_3repE0EEENS1_59segmented_radix_sort_warp_sort_small_config_static_selectorELNS0_4arch9wavefront6targetE1EEEvSL_,comdat
	.globl	_ZN7rocprim17ROCPRIM_400000_NS6detail17trampoline_kernelINS0_14default_configENS1_36segmented_radix_sort_config_selectorI6__halflEEZNS1_25segmented_radix_sort_implIS3_Lb1EPKS5_PS5_PKlPlN2at6native12_GLOBAL__N_18offset_tEEE10hipError_tPvRmT1_PNSt15iterator_traitsISL_E10value_typeET2_T3_PNSM_ISR_E10value_typeET4_jRbjT5_SX_jjP12ihipStream_tbEUlT_E1_NS1_11comp_targetILNS1_3genE10ELNS1_11target_archE1200ELNS1_3gpuE4ELNS1_3repE0EEENS1_59segmented_radix_sort_warp_sort_small_config_static_selectorELNS0_4arch9wavefront6targetE1EEEvSL_ ; -- Begin function _ZN7rocprim17ROCPRIM_400000_NS6detail17trampoline_kernelINS0_14default_configENS1_36segmented_radix_sort_config_selectorI6__halflEEZNS1_25segmented_radix_sort_implIS3_Lb1EPKS5_PS5_PKlPlN2at6native12_GLOBAL__N_18offset_tEEE10hipError_tPvRmT1_PNSt15iterator_traitsISL_E10value_typeET2_T3_PNSM_ISR_E10value_typeET4_jRbjT5_SX_jjP12ihipStream_tbEUlT_E1_NS1_11comp_targetILNS1_3genE10ELNS1_11target_archE1200ELNS1_3gpuE4ELNS1_3repE0EEENS1_59segmented_radix_sort_warp_sort_small_config_static_selectorELNS0_4arch9wavefront6targetE1EEEvSL_
	.p2align	8
	.type	_ZN7rocprim17ROCPRIM_400000_NS6detail17trampoline_kernelINS0_14default_configENS1_36segmented_radix_sort_config_selectorI6__halflEEZNS1_25segmented_radix_sort_implIS3_Lb1EPKS5_PS5_PKlPlN2at6native12_GLOBAL__N_18offset_tEEE10hipError_tPvRmT1_PNSt15iterator_traitsISL_E10value_typeET2_T3_PNSM_ISR_E10value_typeET4_jRbjT5_SX_jjP12ihipStream_tbEUlT_E1_NS1_11comp_targetILNS1_3genE10ELNS1_11target_archE1200ELNS1_3gpuE4ELNS1_3repE0EEENS1_59segmented_radix_sort_warp_sort_small_config_static_selectorELNS0_4arch9wavefront6targetE1EEEvSL_,@function
_ZN7rocprim17ROCPRIM_400000_NS6detail17trampoline_kernelINS0_14default_configENS1_36segmented_radix_sort_config_selectorI6__halflEEZNS1_25segmented_radix_sort_implIS3_Lb1EPKS5_PS5_PKlPlN2at6native12_GLOBAL__N_18offset_tEEE10hipError_tPvRmT1_PNSt15iterator_traitsISL_E10value_typeET2_T3_PNSM_ISR_E10value_typeET4_jRbjT5_SX_jjP12ihipStream_tbEUlT_E1_NS1_11comp_targetILNS1_3genE10ELNS1_11target_archE1200ELNS1_3gpuE4ELNS1_3repE0EEENS1_59segmented_radix_sort_warp_sort_small_config_static_selectorELNS0_4arch9wavefront6targetE1EEEvSL_: ; @_ZN7rocprim17ROCPRIM_400000_NS6detail17trampoline_kernelINS0_14default_configENS1_36segmented_radix_sort_config_selectorI6__halflEEZNS1_25segmented_radix_sort_implIS3_Lb1EPKS5_PS5_PKlPlN2at6native12_GLOBAL__N_18offset_tEEE10hipError_tPvRmT1_PNSt15iterator_traitsISL_E10value_typeET2_T3_PNSM_ISR_E10value_typeET4_jRbjT5_SX_jjP12ihipStream_tbEUlT_E1_NS1_11comp_targetILNS1_3genE10ELNS1_11target_archE1200ELNS1_3gpuE4ELNS1_3repE0EEENS1_59segmented_radix_sort_warp_sort_small_config_static_selectorELNS0_4arch9wavefront6targetE1EEEvSL_
; %bb.0:
	.section	.rodata,"a",@progbits
	.p2align	6, 0x0
	.amdhsa_kernel _ZN7rocprim17ROCPRIM_400000_NS6detail17trampoline_kernelINS0_14default_configENS1_36segmented_radix_sort_config_selectorI6__halflEEZNS1_25segmented_radix_sort_implIS3_Lb1EPKS5_PS5_PKlPlN2at6native12_GLOBAL__N_18offset_tEEE10hipError_tPvRmT1_PNSt15iterator_traitsISL_E10value_typeET2_T3_PNSM_ISR_E10value_typeET4_jRbjT5_SX_jjP12ihipStream_tbEUlT_E1_NS1_11comp_targetILNS1_3genE10ELNS1_11target_archE1200ELNS1_3gpuE4ELNS1_3repE0EEENS1_59segmented_radix_sort_warp_sort_small_config_static_selectorELNS0_4arch9wavefront6targetE1EEEvSL_
		.amdhsa_group_segment_fixed_size 0
		.amdhsa_private_segment_fixed_size 0
		.amdhsa_kernarg_size 88
		.amdhsa_user_sgpr_count 6
		.amdhsa_user_sgpr_private_segment_buffer 1
		.amdhsa_user_sgpr_dispatch_ptr 0
		.amdhsa_user_sgpr_queue_ptr 0
		.amdhsa_user_sgpr_kernarg_segment_ptr 1
		.amdhsa_user_sgpr_dispatch_id 0
		.amdhsa_user_sgpr_flat_scratch_init 0
		.amdhsa_user_sgpr_private_segment_size 0
		.amdhsa_uses_dynamic_stack 0
		.amdhsa_system_sgpr_private_segment_wavefront_offset 0
		.amdhsa_system_sgpr_workgroup_id_x 1
		.amdhsa_system_sgpr_workgroup_id_y 0
		.amdhsa_system_sgpr_workgroup_id_z 0
		.amdhsa_system_sgpr_workgroup_info 0
		.amdhsa_system_vgpr_workitem_id 0
		.amdhsa_next_free_vgpr 1
		.amdhsa_next_free_sgpr 0
		.amdhsa_reserve_vcc 0
		.amdhsa_reserve_flat_scratch 0
		.amdhsa_float_round_mode_32 0
		.amdhsa_float_round_mode_16_64 0
		.amdhsa_float_denorm_mode_32 3
		.amdhsa_float_denorm_mode_16_64 3
		.amdhsa_dx10_clamp 1
		.amdhsa_ieee_mode 1
		.amdhsa_fp16_overflow 0
		.amdhsa_exception_fp_ieee_invalid_op 0
		.amdhsa_exception_fp_denorm_src 0
		.amdhsa_exception_fp_ieee_div_zero 0
		.amdhsa_exception_fp_ieee_overflow 0
		.amdhsa_exception_fp_ieee_underflow 0
		.amdhsa_exception_fp_ieee_inexact 0
		.amdhsa_exception_int_div_zero 0
	.end_amdhsa_kernel
	.section	.text._ZN7rocprim17ROCPRIM_400000_NS6detail17trampoline_kernelINS0_14default_configENS1_36segmented_radix_sort_config_selectorI6__halflEEZNS1_25segmented_radix_sort_implIS3_Lb1EPKS5_PS5_PKlPlN2at6native12_GLOBAL__N_18offset_tEEE10hipError_tPvRmT1_PNSt15iterator_traitsISL_E10value_typeET2_T3_PNSM_ISR_E10value_typeET4_jRbjT5_SX_jjP12ihipStream_tbEUlT_E1_NS1_11comp_targetILNS1_3genE10ELNS1_11target_archE1200ELNS1_3gpuE4ELNS1_3repE0EEENS1_59segmented_radix_sort_warp_sort_small_config_static_selectorELNS0_4arch9wavefront6targetE1EEEvSL_,"axG",@progbits,_ZN7rocprim17ROCPRIM_400000_NS6detail17trampoline_kernelINS0_14default_configENS1_36segmented_radix_sort_config_selectorI6__halflEEZNS1_25segmented_radix_sort_implIS3_Lb1EPKS5_PS5_PKlPlN2at6native12_GLOBAL__N_18offset_tEEE10hipError_tPvRmT1_PNSt15iterator_traitsISL_E10value_typeET2_T3_PNSM_ISR_E10value_typeET4_jRbjT5_SX_jjP12ihipStream_tbEUlT_E1_NS1_11comp_targetILNS1_3genE10ELNS1_11target_archE1200ELNS1_3gpuE4ELNS1_3repE0EEENS1_59segmented_radix_sort_warp_sort_small_config_static_selectorELNS0_4arch9wavefront6targetE1EEEvSL_,comdat
.Lfunc_end1766:
	.size	_ZN7rocprim17ROCPRIM_400000_NS6detail17trampoline_kernelINS0_14default_configENS1_36segmented_radix_sort_config_selectorI6__halflEEZNS1_25segmented_radix_sort_implIS3_Lb1EPKS5_PS5_PKlPlN2at6native12_GLOBAL__N_18offset_tEEE10hipError_tPvRmT1_PNSt15iterator_traitsISL_E10value_typeET2_T3_PNSM_ISR_E10value_typeET4_jRbjT5_SX_jjP12ihipStream_tbEUlT_E1_NS1_11comp_targetILNS1_3genE10ELNS1_11target_archE1200ELNS1_3gpuE4ELNS1_3repE0EEENS1_59segmented_radix_sort_warp_sort_small_config_static_selectorELNS0_4arch9wavefront6targetE1EEEvSL_, .Lfunc_end1766-_ZN7rocprim17ROCPRIM_400000_NS6detail17trampoline_kernelINS0_14default_configENS1_36segmented_radix_sort_config_selectorI6__halflEEZNS1_25segmented_radix_sort_implIS3_Lb1EPKS5_PS5_PKlPlN2at6native12_GLOBAL__N_18offset_tEEE10hipError_tPvRmT1_PNSt15iterator_traitsISL_E10value_typeET2_T3_PNSM_ISR_E10value_typeET4_jRbjT5_SX_jjP12ihipStream_tbEUlT_E1_NS1_11comp_targetILNS1_3genE10ELNS1_11target_archE1200ELNS1_3gpuE4ELNS1_3repE0EEENS1_59segmented_radix_sort_warp_sort_small_config_static_selectorELNS0_4arch9wavefront6targetE1EEEvSL_
                                        ; -- End function
	.set _ZN7rocprim17ROCPRIM_400000_NS6detail17trampoline_kernelINS0_14default_configENS1_36segmented_radix_sort_config_selectorI6__halflEEZNS1_25segmented_radix_sort_implIS3_Lb1EPKS5_PS5_PKlPlN2at6native12_GLOBAL__N_18offset_tEEE10hipError_tPvRmT1_PNSt15iterator_traitsISL_E10value_typeET2_T3_PNSM_ISR_E10value_typeET4_jRbjT5_SX_jjP12ihipStream_tbEUlT_E1_NS1_11comp_targetILNS1_3genE10ELNS1_11target_archE1200ELNS1_3gpuE4ELNS1_3repE0EEENS1_59segmented_radix_sort_warp_sort_small_config_static_selectorELNS0_4arch9wavefront6targetE1EEEvSL_.num_vgpr, 0
	.set _ZN7rocprim17ROCPRIM_400000_NS6detail17trampoline_kernelINS0_14default_configENS1_36segmented_radix_sort_config_selectorI6__halflEEZNS1_25segmented_radix_sort_implIS3_Lb1EPKS5_PS5_PKlPlN2at6native12_GLOBAL__N_18offset_tEEE10hipError_tPvRmT1_PNSt15iterator_traitsISL_E10value_typeET2_T3_PNSM_ISR_E10value_typeET4_jRbjT5_SX_jjP12ihipStream_tbEUlT_E1_NS1_11comp_targetILNS1_3genE10ELNS1_11target_archE1200ELNS1_3gpuE4ELNS1_3repE0EEENS1_59segmented_radix_sort_warp_sort_small_config_static_selectorELNS0_4arch9wavefront6targetE1EEEvSL_.num_agpr, 0
	.set _ZN7rocprim17ROCPRIM_400000_NS6detail17trampoline_kernelINS0_14default_configENS1_36segmented_radix_sort_config_selectorI6__halflEEZNS1_25segmented_radix_sort_implIS3_Lb1EPKS5_PS5_PKlPlN2at6native12_GLOBAL__N_18offset_tEEE10hipError_tPvRmT1_PNSt15iterator_traitsISL_E10value_typeET2_T3_PNSM_ISR_E10value_typeET4_jRbjT5_SX_jjP12ihipStream_tbEUlT_E1_NS1_11comp_targetILNS1_3genE10ELNS1_11target_archE1200ELNS1_3gpuE4ELNS1_3repE0EEENS1_59segmented_radix_sort_warp_sort_small_config_static_selectorELNS0_4arch9wavefront6targetE1EEEvSL_.numbered_sgpr, 0
	.set _ZN7rocprim17ROCPRIM_400000_NS6detail17trampoline_kernelINS0_14default_configENS1_36segmented_radix_sort_config_selectorI6__halflEEZNS1_25segmented_radix_sort_implIS3_Lb1EPKS5_PS5_PKlPlN2at6native12_GLOBAL__N_18offset_tEEE10hipError_tPvRmT1_PNSt15iterator_traitsISL_E10value_typeET2_T3_PNSM_ISR_E10value_typeET4_jRbjT5_SX_jjP12ihipStream_tbEUlT_E1_NS1_11comp_targetILNS1_3genE10ELNS1_11target_archE1200ELNS1_3gpuE4ELNS1_3repE0EEENS1_59segmented_radix_sort_warp_sort_small_config_static_selectorELNS0_4arch9wavefront6targetE1EEEvSL_.num_named_barrier, 0
	.set _ZN7rocprim17ROCPRIM_400000_NS6detail17trampoline_kernelINS0_14default_configENS1_36segmented_radix_sort_config_selectorI6__halflEEZNS1_25segmented_radix_sort_implIS3_Lb1EPKS5_PS5_PKlPlN2at6native12_GLOBAL__N_18offset_tEEE10hipError_tPvRmT1_PNSt15iterator_traitsISL_E10value_typeET2_T3_PNSM_ISR_E10value_typeET4_jRbjT5_SX_jjP12ihipStream_tbEUlT_E1_NS1_11comp_targetILNS1_3genE10ELNS1_11target_archE1200ELNS1_3gpuE4ELNS1_3repE0EEENS1_59segmented_radix_sort_warp_sort_small_config_static_selectorELNS0_4arch9wavefront6targetE1EEEvSL_.private_seg_size, 0
	.set _ZN7rocprim17ROCPRIM_400000_NS6detail17trampoline_kernelINS0_14default_configENS1_36segmented_radix_sort_config_selectorI6__halflEEZNS1_25segmented_radix_sort_implIS3_Lb1EPKS5_PS5_PKlPlN2at6native12_GLOBAL__N_18offset_tEEE10hipError_tPvRmT1_PNSt15iterator_traitsISL_E10value_typeET2_T3_PNSM_ISR_E10value_typeET4_jRbjT5_SX_jjP12ihipStream_tbEUlT_E1_NS1_11comp_targetILNS1_3genE10ELNS1_11target_archE1200ELNS1_3gpuE4ELNS1_3repE0EEENS1_59segmented_radix_sort_warp_sort_small_config_static_selectorELNS0_4arch9wavefront6targetE1EEEvSL_.uses_vcc, 0
	.set _ZN7rocprim17ROCPRIM_400000_NS6detail17trampoline_kernelINS0_14default_configENS1_36segmented_radix_sort_config_selectorI6__halflEEZNS1_25segmented_radix_sort_implIS3_Lb1EPKS5_PS5_PKlPlN2at6native12_GLOBAL__N_18offset_tEEE10hipError_tPvRmT1_PNSt15iterator_traitsISL_E10value_typeET2_T3_PNSM_ISR_E10value_typeET4_jRbjT5_SX_jjP12ihipStream_tbEUlT_E1_NS1_11comp_targetILNS1_3genE10ELNS1_11target_archE1200ELNS1_3gpuE4ELNS1_3repE0EEENS1_59segmented_radix_sort_warp_sort_small_config_static_selectorELNS0_4arch9wavefront6targetE1EEEvSL_.uses_flat_scratch, 0
	.set _ZN7rocprim17ROCPRIM_400000_NS6detail17trampoline_kernelINS0_14default_configENS1_36segmented_radix_sort_config_selectorI6__halflEEZNS1_25segmented_radix_sort_implIS3_Lb1EPKS5_PS5_PKlPlN2at6native12_GLOBAL__N_18offset_tEEE10hipError_tPvRmT1_PNSt15iterator_traitsISL_E10value_typeET2_T3_PNSM_ISR_E10value_typeET4_jRbjT5_SX_jjP12ihipStream_tbEUlT_E1_NS1_11comp_targetILNS1_3genE10ELNS1_11target_archE1200ELNS1_3gpuE4ELNS1_3repE0EEENS1_59segmented_radix_sort_warp_sort_small_config_static_selectorELNS0_4arch9wavefront6targetE1EEEvSL_.has_dyn_sized_stack, 0
	.set _ZN7rocprim17ROCPRIM_400000_NS6detail17trampoline_kernelINS0_14default_configENS1_36segmented_radix_sort_config_selectorI6__halflEEZNS1_25segmented_radix_sort_implIS3_Lb1EPKS5_PS5_PKlPlN2at6native12_GLOBAL__N_18offset_tEEE10hipError_tPvRmT1_PNSt15iterator_traitsISL_E10value_typeET2_T3_PNSM_ISR_E10value_typeET4_jRbjT5_SX_jjP12ihipStream_tbEUlT_E1_NS1_11comp_targetILNS1_3genE10ELNS1_11target_archE1200ELNS1_3gpuE4ELNS1_3repE0EEENS1_59segmented_radix_sort_warp_sort_small_config_static_selectorELNS0_4arch9wavefront6targetE1EEEvSL_.has_recursion, 0
	.set _ZN7rocprim17ROCPRIM_400000_NS6detail17trampoline_kernelINS0_14default_configENS1_36segmented_radix_sort_config_selectorI6__halflEEZNS1_25segmented_radix_sort_implIS3_Lb1EPKS5_PS5_PKlPlN2at6native12_GLOBAL__N_18offset_tEEE10hipError_tPvRmT1_PNSt15iterator_traitsISL_E10value_typeET2_T3_PNSM_ISR_E10value_typeET4_jRbjT5_SX_jjP12ihipStream_tbEUlT_E1_NS1_11comp_targetILNS1_3genE10ELNS1_11target_archE1200ELNS1_3gpuE4ELNS1_3repE0EEENS1_59segmented_radix_sort_warp_sort_small_config_static_selectorELNS0_4arch9wavefront6targetE1EEEvSL_.has_indirect_call, 0
	.section	.AMDGPU.csdata,"",@progbits
; Kernel info:
; codeLenInByte = 0
; TotalNumSgprs: 4
; NumVgprs: 0
; ScratchSize: 0
; MemoryBound: 0
; FloatMode: 240
; IeeeMode: 1
; LDSByteSize: 0 bytes/workgroup (compile time only)
; SGPRBlocks: 0
; VGPRBlocks: 0
; NumSGPRsForWavesPerEU: 4
; NumVGPRsForWavesPerEU: 1
; Occupancy: 10
; WaveLimiterHint : 0
; COMPUTE_PGM_RSRC2:SCRATCH_EN: 0
; COMPUTE_PGM_RSRC2:USER_SGPR: 6
; COMPUTE_PGM_RSRC2:TRAP_HANDLER: 0
; COMPUTE_PGM_RSRC2:TGID_X_EN: 1
; COMPUTE_PGM_RSRC2:TGID_Y_EN: 0
; COMPUTE_PGM_RSRC2:TGID_Z_EN: 0
; COMPUTE_PGM_RSRC2:TIDIG_COMP_CNT: 0
	.section	.text._ZN7rocprim17ROCPRIM_400000_NS6detail17trampoline_kernelINS0_14default_configENS1_36segmented_radix_sort_config_selectorI6__halflEEZNS1_25segmented_radix_sort_implIS3_Lb1EPKS5_PS5_PKlPlN2at6native12_GLOBAL__N_18offset_tEEE10hipError_tPvRmT1_PNSt15iterator_traitsISL_E10value_typeET2_T3_PNSM_ISR_E10value_typeET4_jRbjT5_SX_jjP12ihipStream_tbEUlT_E1_NS1_11comp_targetILNS1_3genE9ELNS1_11target_archE1100ELNS1_3gpuE3ELNS1_3repE0EEENS1_59segmented_radix_sort_warp_sort_small_config_static_selectorELNS0_4arch9wavefront6targetE1EEEvSL_,"axG",@progbits,_ZN7rocprim17ROCPRIM_400000_NS6detail17trampoline_kernelINS0_14default_configENS1_36segmented_radix_sort_config_selectorI6__halflEEZNS1_25segmented_radix_sort_implIS3_Lb1EPKS5_PS5_PKlPlN2at6native12_GLOBAL__N_18offset_tEEE10hipError_tPvRmT1_PNSt15iterator_traitsISL_E10value_typeET2_T3_PNSM_ISR_E10value_typeET4_jRbjT5_SX_jjP12ihipStream_tbEUlT_E1_NS1_11comp_targetILNS1_3genE9ELNS1_11target_archE1100ELNS1_3gpuE3ELNS1_3repE0EEENS1_59segmented_radix_sort_warp_sort_small_config_static_selectorELNS0_4arch9wavefront6targetE1EEEvSL_,comdat
	.globl	_ZN7rocprim17ROCPRIM_400000_NS6detail17trampoline_kernelINS0_14default_configENS1_36segmented_radix_sort_config_selectorI6__halflEEZNS1_25segmented_radix_sort_implIS3_Lb1EPKS5_PS5_PKlPlN2at6native12_GLOBAL__N_18offset_tEEE10hipError_tPvRmT1_PNSt15iterator_traitsISL_E10value_typeET2_T3_PNSM_ISR_E10value_typeET4_jRbjT5_SX_jjP12ihipStream_tbEUlT_E1_NS1_11comp_targetILNS1_3genE9ELNS1_11target_archE1100ELNS1_3gpuE3ELNS1_3repE0EEENS1_59segmented_radix_sort_warp_sort_small_config_static_selectorELNS0_4arch9wavefront6targetE1EEEvSL_ ; -- Begin function _ZN7rocprim17ROCPRIM_400000_NS6detail17trampoline_kernelINS0_14default_configENS1_36segmented_radix_sort_config_selectorI6__halflEEZNS1_25segmented_radix_sort_implIS3_Lb1EPKS5_PS5_PKlPlN2at6native12_GLOBAL__N_18offset_tEEE10hipError_tPvRmT1_PNSt15iterator_traitsISL_E10value_typeET2_T3_PNSM_ISR_E10value_typeET4_jRbjT5_SX_jjP12ihipStream_tbEUlT_E1_NS1_11comp_targetILNS1_3genE9ELNS1_11target_archE1100ELNS1_3gpuE3ELNS1_3repE0EEENS1_59segmented_radix_sort_warp_sort_small_config_static_selectorELNS0_4arch9wavefront6targetE1EEEvSL_
	.p2align	8
	.type	_ZN7rocprim17ROCPRIM_400000_NS6detail17trampoline_kernelINS0_14default_configENS1_36segmented_radix_sort_config_selectorI6__halflEEZNS1_25segmented_radix_sort_implIS3_Lb1EPKS5_PS5_PKlPlN2at6native12_GLOBAL__N_18offset_tEEE10hipError_tPvRmT1_PNSt15iterator_traitsISL_E10value_typeET2_T3_PNSM_ISR_E10value_typeET4_jRbjT5_SX_jjP12ihipStream_tbEUlT_E1_NS1_11comp_targetILNS1_3genE9ELNS1_11target_archE1100ELNS1_3gpuE3ELNS1_3repE0EEENS1_59segmented_radix_sort_warp_sort_small_config_static_selectorELNS0_4arch9wavefront6targetE1EEEvSL_,@function
_ZN7rocprim17ROCPRIM_400000_NS6detail17trampoline_kernelINS0_14default_configENS1_36segmented_radix_sort_config_selectorI6__halflEEZNS1_25segmented_radix_sort_implIS3_Lb1EPKS5_PS5_PKlPlN2at6native12_GLOBAL__N_18offset_tEEE10hipError_tPvRmT1_PNSt15iterator_traitsISL_E10value_typeET2_T3_PNSM_ISR_E10value_typeET4_jRbjT5_SX_jjP12ihipStream_tbEUlT_E1_NS1_11comp_targetILNS1_3genE9ELNS1_11target_archE1100ELNS1_3gpuE3ELNS1_3repE0EEENS1_59segmented_radix_sort_warp_sort_small_config_static_selectorELNS0_4arch9wavefront6targetE1EEEvSL_: ; @_ZN7rocprim17ROCPRIM_400000_NS6detail17trampoline_kernelINS0_14default_configENS1_36segmented_radix_sort_config_selectorI6__halflEEZNS1_25segmented_radix_sort_implIS3_Lb1EPKS5_PS5_PKlPlN2at6native12_GLOBAL__N_18offset_tEEE10hipError_tPvRmT1_PNSt15iterator_traitsISL_E10value_typeET2_T3_PNSM_ISR_E10value_typeET4_jRbjT5_SX_jjP12ihipStream_tbEUlT_E1_NS1_11comp_targetILNS1_3genE9ELNS1_11target_archE1100ELNS1_3gpuE3ELNS1_3repE0EEENS1_59segmented_radix_sort_warp_sort_small_config_static_selectorELNS0_4arch9wavefront6targetE1EEEvSL_
; %bb.0:
	.section	.rodata,"a",@progbits
	.p2align	6, 0x0
	.amdhsa_kernel _ZN7rocprim17ROCPRIM_400000_NS6detail17trampoline_kernelINS0_14default_configENS1_36segmented_radix_sort_config_selectorI6__halflEEZNS1_25segmented_radix_sort_implIS3_Lb1EPKS5_PS5_PKlPlN2at6native12_GLOBAL__N_18offset_tEEE10hipError_tPvRmT1_PNSt15iterator_traitsISL_E10value_typeET2_T3_PNSM_ISR_E10value_typeET4_jRbjT5_SX_jjP12ihipStream_tbEUlT_E1_NS1_11comp_targetILNS1_3genE9ELNS1_11target_archE1100ELNS1_3gpuE3ELNS1_3repE0EEENS1_59segmented_radix_sort_warp_sort_small_config_static_selectorELNS0_4arch9wavefront6targetE1EEEvSL_
		.amdhsa_group_segment_fixed_size 0
		.amdhsa_private_segment_fixed_size 0
		.amdhsa_kernarg_size 88
		.amdhsa_user_sgpr_count 6
		.amdhsa_user_sgpr_private_segment_buffer 1
		.amdhsa_user_sgpr_dispatch_ptr 0
		.amdhsa_user_sgpr_queue_ptr 0
		.amdhsa_user_sgpr_kernarg_segment_ptr 1
		.amdhsa_user_sgpr_dispatch_id 0
		.amdhsa_user_sgpr_flat_scratch_init 0
		.amdhsa_user_sgpr_private_segment_size 0
		.amdhsa_uses_dynamic_stack 0
		.amdhsa_system_sgpr_private_segment_wavefront_offset 0
		.amdhsa_system_sgpr_workgroup_id_x 1
		.amdhsa_system_sgpr_workgroup_id_y 0
		.amdhsa_system_sgpr_workgroup_id_z 0
		.amdhsa_system_sgpr_workgroup_info 0
		.amdhsa_system_vgpr_workitem_id 0
		.amdhsa_next_free_vgpr 1
		.amdhsa_next_free_sgpr 0
		.amdhsa_reserve_vcc 0
		.amdhsa_reserve_flat_scratch 0
		.amdhsa_float_round_mode_32 0
		.amdhsa_float_round_mode_16_64 0
		.amdhsa_float_denorm_mode_32 3
		.amdhsa_float_denorm_mode_16_64 3
		.amdhsa_dx10_clamp 1
		.amdhsa_ieee_mode 1
		.amdhsa_fp16_overflow 0
		.amdhsa_exception_fp_ieee_invalid_op 0
		.amdhsa_exception_fp_denorm_src 0
		.amdhsa_exception_fp_ieee_div_zero 0
		.amdhsa_exception_fp_ieee_overflow 0
		.amdhsa_exception_fp_ieee_underflow 0
		.amdhsa_exception_fp_ieee_inexact 0
		.amdhsa_exception_int_div_zero 0
	.end_amdhsa_kernel
	.section	.text._ZN7rocprim17ROCPRIM_400000_NS6detail17trampoline_kernelINS0_14default_configENS1_36segmented_radix_sort_config_selectorI6__halflEEZNS1_25segmented_radix_sort_implIS3_Lb1EPKS5_PS5_PKlPlN2at6native12_GLOBAL__N_18offset_tEEE10hipError_tPvRmT1_PNSt15iterator_traitsISL_E10value_typeET2_T3_PNSM_ISR_E10value_typeET4_jRbjT5_SX_jjP12ihipStream_tbEUlT_E1_NS1_11comp_targetILNS1_3genE9ELNS1_11target_archE1100ELNS1_3gpuE3ELNS1_3repE0EEENS1_59segmented_radix_sort_warp_sort_small_config_static_selectorELNS0_4arch9wavefront6targetE1EEEvSL_,"axG",@progbits,_ZN7rocprim17ROCPRIM_400000_NS6detail17trampoline_kernelINS0_14default_configENS1_36segmented_radix_sort_config_selectorI6__halflEEZNS1_25segmented_radix_sort_implIS3_Lb1EPKS5_PS5_PKlPlN2at6native12_GLOBAL__N_18offset_tEEE10hipError_tPvRmT1_PNSt15iterator_traitsISL_E10value_typeET2_T3_PNSM_ISR_E10value_typeET4_jRbjT5_SX_jjP12ihipStream_tbEUlT_E1_NS1_11comp_targetILNS1_3genE9ELNS1_11target_archE1100ELNS1_3gpuE3ELNS1_3repE0EEENS1_59segmented_radix_sort_warp_sort_small_config_static_selectorELNS0_4arch9wavefront6targetE1EEEvSL_,comdat
.Lfunc_end1767:
	.size	_ZN7rocprim17ROCPRIM_400000_NS6detail17trampoline_kernelINS0_14default_configENS1_36segmented_radix_sort_config_selectorI6__halflEEZNS1_25segmented_radix_sort_implIS3_Lb1EPKS5_PS5_PKlPlN2at6native12_GLOBAL__N_18offset_tEEE10hipError_tPvRmT1_PNSt15iterator_traitsISL_E10value_typeET2_T3_PNSM_ISR_E10value_typeET4_jRbjT5_SX_jjP12ihipStream_tbEUlT_E1_NS1_11comp_targetILNS1_3genE9ELNS1_11target_archE1100ELNS1_3gpuE3ELNS1_3repE0EEENS1_59segmented_radix_sort_warp_sort_small_config_static_selectorELNS0_4arch9wavefront6targetE1EEEvSL_, .Lfunc_end1767-_ZN7rocprim17ROCPRIM_400000_NS6detail17trampoline_kernelINS0_14default_configENS1_36segmented_radix_sort_config_selectorI6__halflEEZNS1_25segmented_radix_sort_implIS3_Lb1EPKS5_PS5_PKlPlN2at6native12_GLOBAL__N_18offset_tEEE10hipError_tPvRmT1_PNSt15iterator_traitsISL_E10value_typeET2_T3_PNSM_ISR_E10value_typeET4_jRbjT5_SX_jjP12ihipStream_tbEUlT_E1_NS1_11comp_targetILNS1_3genE9ELNS1_11target_archE1100ELNS1_3gpuE3ELNS1_3repE0EEENS1_59segmented_radix_sort_warp_sort_small_config_static_selectorELNS0_4arch9wavefront6targetE1EEEvSL_
                                        ; -- End function
	.set _ZN7rocprim17ROCPRIM_400000_NS6detail17trampoline_kernelINS0_14default_configENS1_36segmented_radix_sort_config_selectorI6__halflEEZNS1_25segmented_radix_sort_implIS3_Lb1EPKS5_PS5_PKlPlN2at6native12_GLOBAL__N_18offset_tEEE10hipError_tPvRmT1_PNSt15iterator_traitsISL_E10value_typeET2_T3_PNSM_ISR_E10value_typeET4_jRbjT5_SX_jjP12ihipStream_tbEUlT_E1_NS1_11comp_targetILNS1_3genE9ELNS1_11target_archE1100ELNS1_3gpuE3ELNS1_3repE0EEENS1_59segmented_radix_sort_warp_sort_small_config_static_selectorELNS0_4arch9wavefront6targetE1EEEvSL_.num_vgpr, 0
	.set _ZN7rocprim17ROCPRIM_400000_NS6detail17trampoline_kernelINS0_14default_configENS1_36segmented_radix_sort_config_selectorI6__halflEEZNS1_25segmented_radix_sort_implIS3_Lb1EPKS5_PS5_PKlPlN2at6native12_GLOBAL__N_18offset_tEEE10hipError_tPvRmT1_PNSt15iterator_traitsISL_E10value_typeET2_T3_PNSM_ISR_E10value_typeET4_jRbjT5_SX_jjP12ihipStream_tbEUlT_E1_NS1_11comp_targetILNS1_3genE9ELNS1_11target_archE1100ELNS1_3gpuE3ELNS1_3repE0EEENS1_59segmented_radix_sort_warp_sort_small_config_static_selectorELNS0_4arch9wavefront6targetE1EEEvSL_.num_agpr, 0
	.set _ZN7rocprim17ROCPRIM_400000_NS6detail17trampoline_kernelINS0_14default_configENS1_36segmented_radix_sort_config_selectorI6__halflEEZNS1_25segmented_radix_sort_implIS3_Lb1EPKS5_PS5_PKlPlN2at6native12_GLOBAL__N_18offset_tEEE10hipError_tPvRmT1_PNSt15iterator_traitsISL_E10value_typeET2_T3_PNSM_ISR_E10value_typeET4_jRbjT5_SX_jjP12ihipStream_tbEUlT_E1_NS1_11comp_targetILNS1_3genE9ELNS1_11target_archE1100ELNS1_3gpuE3ELNS1_3repE0EEENS1_59segmented_radix_sort_warp_sort_small_config_static_selectorELNS0_4arch9wavefront6targetE1EEEvSL_.numbered_sgpr, 0
	.set _ZN7rocprim17ROCPRIM_400000_NS6detail17trampoline_kernelINS0_14default_configENS1_36segmented_radix_sort_config_selectorI6__halflEEZNS1_25segmented_radix_sort_implIS3_Lb1EPKS5_PS5_PKlPlN2at6native12_GLOBAL__N_18offset_tEEE10hipError_tPvRmT1_PNSt15iterator_traitsISL_E10value_typeET2_T3_PNSM_ISR_E10value_typeET4_jRbjT5_SX_jjP12ihipStream_tbEUlT_E1_NS1_11comp_targetILNS1_3genE9ELNS1_11target_archE1100ELNS1_3gpuE3ELNS1_3repE0EEENS1_59segmented_radix_sort_warp_sort_small_config_static_selectorELNS0_4arch9wavefront6targetE1EEEvSL_.num_named_barrier, 0
	.set _ZN7rocprim17ROCPRIM_400000_NS6detail17trampoline_kernelINS0_14default_configENS1_36segmented_radix_sort_config_selectorI6__halflEEZNS1_25segmented_radix_sort_implIS3_Lb1EPKS5_PS5_PKlPlN2at6native12_GLOBAL__N_18offset_tEEE10hipError_tPvRmT1_PNSt15iterator_traitsISL_E10value_typeET2_T3_PNSM_ISR_E10value_typeET4_jRbjT5_SX_jjP12ihipStream_tbEUlT_E1_NS1_11comp_targetILNS1_3genE9ELNS1_11target_archE1100ELNS1_3gpuE3ELNS1_3repE0EEENS1_59segmented_radix_sort_warp_sort_small_config_static_selectorELNS0_4arch9wavefront6targetE1EEEvSL_.private_seg_size, 0
	.set _ZN7rocprim17ROCPRIM_400000_NS6detail17trampoline_kernelINS0_14default_configENS1_36segmented_radix_sort_config_selectorI6__halflEEZNS1_25segmented_radix_sort_implIS3_Lb1EPKS5_PS5_PKlPlN2at6native12_GLOBAL__N_18offset_tEEE10hipError_tPvRmT1_PNSt15iterator_traitsISL_E10value_typeET2_T3_PNSM_ISR_E10value_typeET4_jRbjT5_SX_jjP12ihipStream_tbEUlT_E1_NS1_11comp_targetILNS1_3genE9ELNS1_11target_archE1100ELNS1_3gpuE3ELNS1_3repE0EEENS1_59segmented_radix_sort_warp_sort_small_config_static_selectorELNS0_4arch9wavefront6targetE1EEEvSL_.uses_vcc, 0
	.set _ZN7rocprim17ROCPRIM_400000_NS6detail17trampoline_kernelINS0_14default_configENS1_36segmented_radix_sort_config_selectorI6__halflEEZNS1_25segmented_radix_sort_implIS3_Lb1EPKS5_PS5_PKlPlN2at6native12_GLOBAL__N_18offset_tEEE10hipError_tPvRmT1_PNSt15iterator_traitsISL_E10value_typeET2_T3_PNSM_ISR_E10value_typeET4_jRbjT5_SX_jjP12ihipStream_tbEUlT_E1_NS1_11comp_targetILNS1_3genE9ELNS1_11target_archE1100ELNS1_3gpuE3ELNS1_3repE0EEENS1_59segmented_radix_sort_warp_sort_small_config_static_selectorELNS0_4arch9wavefront6targetE1EEEvSL_.uses_flat_scratch, 0
	.set _ZN7rocprim17ROCPRIM_400000_NS6detail17trampoline_kernelINS0_14default_configENS1_36segmented_radix_sort_config_selectorI6__halflEEZNS1_25segmented_radix_sort_implIS3_Lb1EPKS5_PS5_PKlPlN2at6native12_GLOBAL__N_18offset_tEEE10hipError_tPvRmT1_PNSt15iterator_traitsISL_E10value_typeET2_T3_PNSM_ISR_E10value_typeET4_jRbjT5_SX_jjP12ihipStream_tbEUlT_E1_NS1_11comp_targetILNS1_3genE9ELNS1_11target_archE1100ELNS1_3gpuE3ELNS1_3repE0EEENS1_59segmented_radix_sort_warp_sort_small_config_static_selectorELNS0_4arch9wavefront6targetE1EEEvSL_.has_dyn_sized_stack, 0
	.set _ZN7rocprim17ROCPRIM_400000_NS6detail17trampoline_kernelINS0_14default_configENS1_36segmented_radix_sort_config_selectorI6__halflEEZNS1_25segmented_radix_sort_implIS3_Lb1EPKS5_PS5_PKlPlN2at6native12_GLOBAL__N_18offset_tEEE10hipError_tPvRmT1_PNSt15iterator_traitsISL_E10value_typeET2_T3_PNSM_ISR_E10value_typeET4_jRbjT5_SX_jjP12ihipStream_tbEUlT_E1_NS1_11comp_targetILNS1_3genE9ELNS1_11target_archE1100ELNS1_3gpuE3ELNS1_3repE0EEENS1_59segmented_radix_sort_warp_sort_small_config_static_selectorELNS0_4arch9wavefront6targetE1EEEvSL_.has_recursion, 0
	.set _ZN7rocprim17ROCPRIM_400000_NS6detail17trampoline_kernelINS0_14default_configENS1_36segmented_radix_sort_config_selectorI6__halflEEZNS1_25segmented_radix_sort_implIS3_Lb1EPKS5_PS5_PKlPlN2at6native12_GLOBAL__N_18offset_tEEE10hipError_tPvRmT1_PNSt15iterator_traitsISL_E10value_typeET2_T3_PNSM_ISR_E10value_typeET4_jRbjT5_SX_jjP12ihipStream_tbEUlT_E1_NS1_11comp_targetILNS1_3genE9ELNS1_11target_archE1100ELNS1_3gpuE3ELNS1_3repE0EEENS1_59segmented_radix_sort_warp_sort_small_config_static_selectorELNS0_4arch9wavefront6targetE1EEEvSL_.has_indirect_call, 0
	.section	.AMDGPU.csdata,"",@progbits
; Kernel info:
; codeLenInByte = 0
; TotalNumSgprs: 4
; NumVgprs: 0
; ScratchSize: 0
; MemoryBound: 0
; FloatMode: 240
; IeeeMode: 1
; LDSByteSize: 0 bytes/workgroup (compile time only)
; SGPRBlocks: 0
; VGPRBlocks: 0
; NumSGPRsForWavesPerEU: 4
; NumVGPRsForWavesPerEU: 1
; Occupancy: 10
; WaveLimiterHint : 0
; COMPUTE_PGM_RSRC2:SCRATCH_EN: 0
; COMPUTE_PGM_RSRC2:USER_SGPR: 6
; COMPUTE_PGM_RSRC2:TRAP_HANDLER: 0
; COMPUTE_PGM_RSRC2:TGID_X_EN: 1
; COMPUTE_PGM_RSRC2:TGID_Y_EN: 0
; COMPUTE_PGM_RSRC2:TGID_Z_EN: 0
; COMPUTE_PGM_RSRC2:TIDIG_COMP_CNT: 0
	.section	.text._ZN7rocprim17ROCPRIM_400000_NS6detail17trampoline_kernelINS0_14default_configENS1_36segmented_radix_sort_config_selectorI6__halflEEZNS1_25segmented_radix_sort_implIS3_Lb1EPKS5_PS5_PKlPlN2at6native12_GLOBAL__N_18offset_tEEE10hipError_tPvRmT1_PNSt15iterator_traitsISL_E10value_typeET2_T3_PNSM_ISR_E10value_typeET4_jRbjT5_SX_jjP12ihipStream_tbEUlT_E1_NS1_11comp_targetILNS1_3genE8ELNS1_11target_archE1030ELNS1_3gpuE2ELNS1_3repE0EEENS1_59segmented_radix_sort_warp_sort_small_config_static_selectorELNS0_4arch9wavefront6targetE1EEEvSL_,"axG",@progbits,_ZN7rocprim17ROCPRIM_400000_NS6detail17trampoline_kernelINS0_14default_configENS1_36segmented_radix_sort_config_selectorI6__halflEEZNS1_25segmented_radix_sort_implIS3_Lb1EPKS5_PS5_PKlPlN2at6native12_GLOBAL__N_18offset_tEEE10hipError_tPvRmT1_PNSt15iterator_traitsISL_E10value_typeET2_T3_PNSM_ISR_E10value_typeET4_jRbjT5_SX_jjP12ihipStream_tbEUlT_E1_NS1_11comp_targetILNS1_3genE8ELNS1_11target_archE1030ELNS1_3gpuE2ELNS1_3repE0EEENS1_59segmented_radix_sort_warp_sort_small_config_static_selectorELNS0_4arch9wavefront6targetE1EEEvSL_,comdat
	.globl	_ZN7rocprim17ROCPRIM_400000_NS6detail17trampoline_kernelINS0_14default_configENS1_36segmented_radix_sort_config_selectorI6__halflEEZNS1_25segmented_radix_sort_implIS3_Lb1EPKS5_PS5_PKlPlN2at6native12_GLOBAL__N_18offset_tEEE10hipError_tPvRmT1_PNSt15iterator_traitsISL_E10value_typeET2_T3_PNSM_ISR_E10value_typeET4_jRbjT5_SX_jjP12ihipStream_tbEUlT_E1_NS1_11comp_targetILNS1_3genE8ELNS1_11target_archE1030ELNS1_3gpuE2ELNS1_3repE0EEENS1_59segmented_radix_sort_warp_sort_small_config_static_selectorELNS0_4arch9wavefront6targetE1EEEvSL_ ; -- Begin function _ZN7rocprim17ROCPRIM_400000_NS6detail17trampoline_kernelINS0_14default_configENS1_36segmented_radix_sort_config_selectorI6__halflEEZNS1_25segmented_radix_sort_implIS3_Lb1EPKS5_PS5_PKlPlN2at6native12_GLOBAL__N_18offset_tEEE10hipError_tPvRmT1_PNSt15iterator_traitsISL_E10value_typeET2_T3_PNSM_ISR_E10value_typeET4_jRbjT5_SX_jjP12ihipStream_tbEUlT_E1_NS1_11comp_targetILNS1_3genE8ELNS1_11target_archE1030ELNS1_3gpuE2ELNS1_3repE0EEENS1_59segmented_radix_sort_warp_sort_small_config_static_selectorELNS0_4arch9wavefront6targetE1EEEvSL_
	.p2align	8
	.type	_ZN7rocprim17ROCPRIM_400000_NS6detail17trampoline_kernelINS0_14default_configENS1_36segmented_radix_sort_config_selectorI6__halflEEZNS1_25segmented_radix_sort_implIS3_Lb1EPKS5_PS5_PKlPlN2at6native12_GLOBAL__N_18offset_tEEE10hipError_tPvRmT1_PNSt15iterator_traitsISL_E10value_typeET2_T3_PNSM_ISR_E10value_typeET4_jRbjT5_SX_jjP12ihipStream_tbEUlT_E1_NS1_11comp_targetILNS1_3genE8ELNS1_11target_archE1030ELNS1_3gpuE2ELNS1_3repE0EEENS1_59segmented_radix_sort_warp_sort_small_config_static_selectorELNS0_4arch9wavefront6targetE1EEEvSL_,@function
_ZN7rocprim17ROCPRIM_400000_NS6detail17trampoline_kernelINS0_14default_configENS1_36segmented_radix_sort_config_selectorI6__halflEEZNS1_25segmented_radix_sort_implIS3_Lb1EPKS5_PS5_PKlPlN2at6native12_GLOBAL__N_18offset_tEEE10hipError_tPvRmT1_PNSt15iterator_traitsISL_E10value_typeET2_T3_PNSM_ISR_E10value_typeET4_jRbjT5_SX_jjP12ihipStream_tbEUlT_E1_NS1_11comp_targetILNS1_3genE8ELNS1_11target_archE1030ELNS1_3gpuE2ELNS1_3repE0EEENS1_59segmented_radix_sort_warp_sort_small_config_static_selectorELNS0_4arch9wavefront6targetE1EEEvSL_: ; @_ZN7rocprim17ROCPRIM_400000_NS6detail17trampoline_kernelINS0_14default_configENS1_36segmented_radix_sort_config_selectorI6__halflEEZNS1_25segmented_radix_sort_implIS3_Lb1EPKS5_PS5_PKlPlN2at6native12_GLOBAL__N_18offset_tEEE10hipError_tPvRmT1_PNSt15iterator_traitsISL_E10value_typeET2_T3_PNSM_ISR_E10value_typeET4_jRbjT5_SX_jjP12ihipStream_tbEUlT_E1_NS1_11comp_targetILNS1_3genE8ELNS1_11target_archE1030ELNS1_3gpuE2ELNS1_3repE0EEENS1_59segmented_radix_sort_warp_sort_small_config_static_selectorELNS0_4arch9wavefront6targetE1EEEvSL_
; %bb.0:
	.section	.rodata,"a",@progbits
	.p2align	6, 0x0
	.amdhsa_kernel _ZN7rocprim17ROCPRIM_400000_NS6detail17trampoline_kernelINS0_14default_configENS1_36segmented_radix_sort_config_selectorI6__halflEEZNS1_25segmented_radix_sort_implIS3_Lb1EPKS5_PS5_PKlPlN2at6native12_GLOBAL__N_18offset_tEEE10hipError_tPvRmT1_PNSt15iterator_traitsISL_E10value_typeET2_T3_PNSM_ISR_E10value_typeET4_jRbjT5_SX_jjP12ihipStream_tbEUlT_E1_NS1_11comp_targetILNS1_3genE8ELNS1_11target_archE1030ELNS1_3gpuE2ELNS1_3repE0EEENS1_59segmented_radix_sort_warp_sort_small_config_static_selectorELNS0_4arch9wavefront6targetE1EEEvSL_
		.amdhsa_group_segment_fixed_size 0
		.amdhsa_private_segment_fixed_size 0
		.amdhsa_kernarg_size 88
		.amdhsa_user_sgpr_count 6
		.amdhsa_user_sgpr_private_segment_buffer 1
		.amdhsa_user_sgpr_dispatch_ptr 0
		.amdhsa_user_sgpr_queue_ptr 0
		.amdhsa_user_sgpr_kernarg_segment_ptr 1
		.amdhsa_user_sgpr_dispatch_id 0
		.amdhsa_user_sgpr_flat_scratch_init 0
		.amdhsa_user_sgpr_private_segment_size 0
		.amdhsa_uses_dynamic_stack 0
		.amdhsa_system_sgpr_private_segment_wavefront_offset 0
		.amdhsa_system_sgpr_workgroup_id_x 1
		.amdhsa_system_sgpr_workgroup_id_y 0
		.amdhsa_system_sgpr_workgroup_id_z 0
		.amdhsa_system_sgpr_workgroup_info 0
		.amdhsa_system_vgpr_workitem_id 0
		.amdhsa_next_free_vgpr 1
		.amdhsa_next_free_sgpr 0
		.amdhsa_reserve_vcc 0
		.amdhsa_reserve_flat_scratch 0
		.amdhsa_float_round_mode_32 0
		.amdhsa_float_round_mode_16_64 0
		.amdhsa_float_denorm_mode_32 3
		.amdhsa_float_denorm_mode_16_64 3
		.amdhsa_dx10_clamp 1
		.amdhsa_ieee_mode 1
		.amdhsa_fp16_overflow 0
		.amdhsa_exception_fp_ieee_invalid_op 0
		.amdhsa_exception_fp_denorm_src 0
		.amdhsa_exception_fp_ieee_div_zero 0
		.amdhsa_exception_fp_ieee_overflow 0
		.amdhsa_exception_fp_ieee_underflow 0
		.amdhsa_exception_fp_ieee_inexact 0
		.amdhsa_exception_int_div_zero 0
	.end_amdhsa_kernel
	.section	.text._ZN7rocprim17ROCPRIM_400000_NS6detail17trampoline_kernelINS0_14default_configENS1_36segmented_radix_sort_config_selectorI6__halflEEZNS1_25segmented_radix_sort_implIS3_Lb1EPKS5_PS5_PKlPlN2at6native12_GLOBAL__N_18offset_tEEE10hipError_tPvRmT1_PNSt15iterator_traitsISL_E10value_typeET2_T3_PNSM_ISR_E10value_typeET4_jRbjT5_SX_jjP12ihipStream_tbEUlT_E1_NS1_11comp_targetILNS1_3genE8ELNS1_11target_archE1030ELNS1_3gpuE2ELNS1_3repE0EEENS1_59segmented_radix_sort_warp_sort_small_config_static_selectorELNS0_4arch9wavefront6targetE1EEEvSL_,"axG",@progbits,_ZN7rocprim17ROCPRIM_400000_NS6detail17trampoline_kernelINS0_14default_configENS1_36segmented_radix_sort_config_selectorI6__halflEEZNS1_25segmented_radix_sort_implIS3_Lb1EPKS5_PS5_PKlPlN2at6native12_GLOBAL__N_18offset_tEEE10hipError_tPvRmT1_PNSt15iterator_traitsISL_E10value_typeET2_T3_PNSM_ISR_E10value_typeET4_jRbjT5_SX_jjP12ihipStream_tbEUlT_E1_NS1_11comp_targetILNS1_3genE8ELNS1_11target_archE1030ELNS1_3gpuE2ELNS1_3repE0EEENS1_59segmented_radix_sort_warp_sort_small_config_static_selectorELNS0_4arch9wavefront6targetE1EEEvSL_,comdat
.Lfunc_end1768:
	.size	_ZN7rocprim17ROCPRIM_400000_NS6detail17trampoline_kernelINS0_14default_configENS1_36segmented_radix_sort_config_selectorI6__halflEEZNS1_25segmented_radix_sort_implIS3_Lb1EPKS5_PS5_PKlPlN2at6native12_GLOBAL__N_18offset_tEEE10hipError_tPvRmT1_PNSt15iterator_traitsISL_E10value_typeET2_T3_PNSM_ISR_E10value_typeET4_jRbjT5_SX_jjP12ihipStream_tbEUlT_E1_NS1_11comp_targetILNS1_3genE8ELNS1_11target_archE1030ELNS1_3gpuE2ELNS1_3repE0EEENS1_59segmented_radix_sort_warp_sort_small_config_static_selectorELNS0_4arch9wavefront6targetE1EEEvSL_, .Lfunc_end1768-_ZN7rocprim17ROCPRIM_400000_NS6detail17trampoline_kernelINS0_14default_configENS1_36segmented_radix_sort_config_selectorI6__halflEEZNS1_25segmented_radix_sort_implIS3_Lb1EPKS5_PS5_PKlPlN2at6native12_GLOBAL__N_18offset_tEEE10hipError_tPvRmT1_PNSt15iterator_traitsISL_E10value_typeET2_T3_PNSM_ISR_E10value_typeET4_jRbjT5_SX_jjP12ihipStream_tbEUlT_E1_NS1_11comp_targetILNS1_3genE8ELNS1_11target_archE1030ELNS1_3gpuE2ELNS1_3repE0EEENS1_59segmented_radix_sort_warp_sort_small_config_static_selectorELNS0_4arch9wavefront6targetE1EEEvSL_
                                        ; -- End function
	.set _ZN7rocprim17ROCPRIM_400000_NS6detail17trampoline_kernelINS0_14default_configENS1_36segmented_radix_sort_config_selectorI6__halflEEZNS1_25segmented_radix_sort_implIS3_Lb1EPKS5_PS5_PKlPlN2at6native12_GLOBAL__N_18offset_tEEE10hipError_tPvRmT1_PNSt15iterator_traitsISL_E10value_typeET2_T3_PNSM_ISR_E10value_typeET4_jRbjT5_SX_jjP12ihipStream_tbEUlT_E1_NS1_11comp_targetILNS1_3genE8ELNS1_11target_archE1030ELNS1_3gpuE2ELNS1_3repE0EEENS1_59segmented_radix_sort_warp_sort_small_config_static_selectorELNS0_4arch9wavefront6targetE1EEEvSL_.num_vgpr, 0
	.set _ZN7rocprim17ROCPRIM_400000_NS6detail17trampoline_kernelINS0_14default_configENS1_36segmented_radix_sort_config_selectorI6__halflEEZNS1_25segmented_radix_sort_implIS3_Lb1EPKS5_PS5_PKlPlN2at6native12_GLOBAL__N_18offset_tEEE10hipError_tPvRmT1_PNSt15iterator_traitsISL_E10value_typeET2_T3_PNSM_ISR_E10value_typeET4_jRbjT5_SX_jjP12ihipStream_tbEUlT_E1_NS1_11comp_targetILNS1_3genE8ELNS1_11target_archE1030ELNS1_3gpuE2ELNS1_3repE0EEENS1_59segmented_radix_sort_warp_sort_small_config_static_selectorELNS0_4arch9wavefront6targetE1EEEvSL_.num_agpr, 0
	.set _ZN7rocprim17ROCPRIM_400000_NS6detail17trampoline_kernelINS0_14default_configENS1_36segmented_radix_sort_config_selectorI6__halflEEZNS1_25segmented_radix_sort_implIS3_Lb1EPKS5_PS5_PKlPlN2at6native12_GLOBAL__N_18offset_tEEE10hipError_tPvRmT1_PNSt15iterator_traitsISL_E10value_typeET2_T3_PNSM_ISR_E10value_typeET4_jRbjT5_SX_jjP12ihipStream_tbEUlT_E1_NS1_11comp_targetILNS1_3genE8ELNS1_11target_archE1030ELNS1_3gpuE2ELNS1_3repE0EEENS1_59segmented_radix_sort_warp_sort_small_config_static_selectorELNS0_4arch9wavefront6targetE1EEEvSL_.numbered_sgpr, 0
	.set _ZN7rocprim17ROCPRIM_400000_NS6detail17trampoline_kernelINS0_14default_configENS1_36segmented_radix_sort_config_selectorI6__halflEEZNS1_25segmented_radix_sort_implIS3_Lb1EPKS5_PS5_PKlPlN2at6native12_GLOBAL__N_18offset_tEEE10hipError_tPvRmT1_PNSt15iterator_traitsISL_E10value_typeET2_T3_PNSM_ISR_E10value_typeET4_jRbjT5_SX_jjP12ihipStream_tbEUlT_E1_NS1_11comp_targetILNS1_3genE8ELNS1_11target_archE1030ELNS1_3gpuE2ELNS1_3repE0EEENS1_59segmented_radix_sort_warp_sort_small_config_static_selectorELNS0_4arch9wavefront6targetE1EEEvSL_.num_named_barrier, 0
	.set _ZN7rocprim17ROCPRIM_400000_NS6detail17trampoline_kernelINS0_14default_configENS1_36segmented_radix_sort_config_selectorI6__halflEEZNS1_25segmented_radix_sort_implIS3_Lb1EPKS5_PS5_PKlPlN2at6native12_GLOBAL__N_18offset_tEEE10hipError_tPvRmT1_PNSt15iterator_traitsISL_E10value_typeET2_T3_PNSM_ISR_E10value_typeET4_jRbjT5_SX_jjP12ihipStream_tbEUlT_E1_NS1_11comp_targetILNS1_3genE8ELNS1_11target_archE1030ELNS1_3gpuE2ELNS1_3repE0EEENS1_59segmented_radix_sort_warp_sort_small_config_static_selectorELNS0_4arch9wavefront6targetE1EEEvSL_.private_seg_size, 0
	.set _ZN7rocprim17ROCPRIM_400000_NS6detail17trampoline_kernelINS0_14default_configENS1_36segmented_radix_sort_config_selectorI6__halflEEZNS1_25segmented_radix_sort_implIS3_Lb1EPKS5_PS5_PKlPlN2at6native12_GLOBAL__N_18offset_tEEE10hipError_tPvRmT1_PNSt15iterator_traitsISL_E10value_typeET2_T3_PNSM_ISR_E10value_typeET4_jRbjT5_SX_jjP12ihipStream_tbEUlT_E1_NS1_11comp_targetILNS1_3genE8ELNS1_11target_archE1030ELNS1_3gpuE2ELNS1_3repE0EEENS1_59segmented_radix_sort_warp_sort_small_config_static_selectorELNS0_4arch9wavefront6targetE1EEEvSL_.uses_vcc, 0
	.set _ZN7rocprim17ROCPRIM_400000_NS6detail17trampoline_kernelINS0_14default_configENS1_36segmented_radix_sort_config_selectorI6__halflEEZNS1_25segmented_radix_sort_implIS3_Lb1EPKS5_PS5_PKlPlN2at6native12_GLOBAL__N_18offset_tEEE10hipError_tPvRmT1_PNSt15iterator_traitsISL_E10value_typeET2_T3_PNSM_ISR_E10value_typeET4_jRbjT5_SX_jjP12ihipStream_tbEUlT_E1_NS1_11comp_targetILNS1_3genE8ELNS1_11target_archE1030ELNS1_3gpuE2ELNS1_3repE0EEENS1_59segmented_radix_sort_warp_sort_small_config_static_selectorELNS0_4arch9wavefront6targetE1EEEvSL_.uses_flat_scratch, 0
	.set _ZN7rocprim17ROCPRIM_400000_NS6detail17trampoline_kernelINS0_14default_configENS1_36segmented_radix_sort_config_selectorI6__halflEEZNS1_25segmented_radix_sort_implIS3_Lb1EPKS5_PS5_PKlPlN2at6native12_GLOBAL__N_18offset_tEEE10hipError_tPvRmT1_PNSt15iterator_traitsISL_E10value_typeET2_T3_PNSM_ISR_E10value_typeET4_jRbjT5_SX_jjP12ihipStream_tbEUlT_E1_NS1_11comp_targetILNS1_3genE8ELNS1_11target_archE1030ELNS1_3gpuE2ELNS1_3repE0EEENS1_59segmented_radix_sort_warp_sort_small_config_static_selectorELNS0_4arch9wavefront6targetE1EEEvSL_.has_dyn_sized_stack, 0
	.set _ZN7rocprim17ROCPRIM_400000_NS6detail17trampoline_kernelINS0_14default_configENS1_36segmented_radix_sort_config_selectorI6__halflEEZNS1_25segmented_radix_sort_implIS3_Lb1EPKS5_PS5_PKlPlN2at6native12_GLOBAL__N_18offset_tEEE10hipError_tPvRmT1_PNSt15iterator_traitsISL_E10value_typeET2_T3_PNSM_ISR_E10value_typeET4_jRbjT5_SX_jjP12ihipStream_tbEUlT_E1_NS1_11comp_targetILNS1_3genE8ELNS1_11target_archE1030ELNS1_3gpuE2ELNS1_3repE0EEENS1_59segmented_radix_sort_warp_sort_small_config_static_selectorELNS0_4arch9wavefront6targetE1EEEvSL_.has_recursion, 0
	.set _ZN7rocprim17ROCPRIM_400000_NS6detail17trampoline_kernelINS0_14default_configENS1_36segmented_radix_sort_config_selectorI6__halflEEZNS1_25segmented_radix_sort_implIS3_Lb1EPKS5_PS5_PKlPlN2at6native12_GLOBAL__N_18offset_tEEE10hipError_tPvRmT1_PNSt15iterator_traitsISL_E10value_typeET2_T3_PNSM_ISR_E10value_typeET4_jRbjT5_SX_jjP12ihipStream_tbEUlT_E1_NS1_11comp_targetILNS1_3genE8ELNS1_11target_archE1030ELNS1_3gpuE2ELNS1_3repE0EEENS1_59segmented_radix_sort_warp_sort_small_config_static_selectorELNS0_4arch9wavefront6targetE1EEEvSL_.has_indirect_call, 0
	.section	.AMDGPU.csdata,"",@progbits
; Kernel info:
; codeLenInByte = 0
; TotalNumSgprs: 4
; NumVgprs: 0
; ScratchSize: 0
; MemoryBound: 0
; FloatMode: 240
; IeeeMode: 1
; LDSByteSize: 0 bytes/workgroup (compile time only)
; SGPRBlocks: 0
; VGPRBlocks: 0
; NumSGPRsForWavesPerEU: 4
; NumVGPRsForWavesPerEU: 1
; Occupancy: 10
; WaveLimiterHint : 0
; COMPUTE_PGM_RSRC2:SCRATCH_EN: 0
; COMPUTE_PGM_RSRC2:USER_SGPR: 6
; COMPUTE_PGM_RSRC2:TRAP_HANDLER: 0
; COMPUTE_PGM_RSRC2:TGID_X_EN: 1
; COMPUTE_PGM_RSRC2:TGID_Y_EN: 0
; COMPUTE_PGM_RSRC2:TGID_Z_EN: 0
; COMPUTE_PGM_RSRC2:TIDIG_COMP_CNT: 0
	.section	.text._ZN7rocprim17ROCPRIM_400000_NS6detail17trampoline_kernelINS0_14default_configENS1_36segmented_radix_sort_config_selectorI6__halflEEZNS1_25segmented_radix_sort_implIS3_Lb1EPKS5_PS5_PKlPlN2at6native12_GLOBAL__N_18offset_tEEE10hipError_tPvRmT1_PNSt15iterator_traitsISL_E10value_typeET2_T3_PNSM_ISR_E10value_typeET4_jRbjT5_SX_jjP12ihipStream_tbEUlT_E2_NS1_11comp_targetILNS1_3genE0ELNS1_11target_archE4294967295ELNS1_3gpuE0ELNS1_3repE0EEENS1_30default_config_static_selectorELNS0_4arch9wavefront6targetE1EEEvSL_,"axG",@progbits,_ZN7rocprim17ROCPRIM_400000_NS6detail17trampoline_kernelINS0_14default_configENS1_36segmented_radix_sort_config_selectorI6__halflEEZNS1_25segmented_radix_sort_implIS3_Lb1EPKS5_PS5_PKlPlN2at6native12_GLOBAL__N_18offset_tEEE10hipError_tPvRmT1_PNSt15iterator_traitsISL_E10value_typeET2_T3_PNSM_ISR_E10value_typeET4_jRbjT5_SX_jjP12ihipStream_tbEUlT_E2_NS1_11comp_targetILNS1_3genE0ELNS1_11target_archE4294967295ELNS1_3gpuE0ELNS1_3repE0EEENS1_30default_config_static_selectorELNS0_4arch9wavefront6targetE1EEEvSL_,comdat
	.globl	_ZN7rocprim17ROCPRIM_400000_NS6detail17trampoline_kernelINS0_14default_configENS1_36segmented_radix_sort_config_selectorI6__halflEEZNS1_25segmented_radix_sort_implIS3_Lb1EPKS5_PS5_PKlPlN2at6native12_GLOBAL__N_18offset_tEEE10hipError_tPvRmT1_PNSt15iterator_traitsISL_E10value_typeET2_T3_PNSM_ISR_E10value_typeET4_jRbjT5_SX_jjP12ihipStream_tbEUlT_E2_NS1_11comp_targetILNS1_3genE0ELNS1_11target_archE4294967295ELNS1_3gpuE0ELNS1_3repE0EEENS1_30default_config_static_selectorELNS0_4arch9wavefront6targetE1EEEvSL_ ; -- Begin function _ZN7rocprim17ROCPRIM_400000_NS6detail17trampoline_kernelINS0_14default_configENS1_36segmented_radix_sort_config_selectorI6__halflEEZNS1_25segmented_radix_sort_implIS3_Lb1EPKS5_PS5_PKlPlN2at6native12_GLOBAL__N_18offset_tEEE10hipError_tPvRmT1_PNSt15iterator_traitsISL_E10value_typeET2_T3_PNSM_ISR_E10value_typeET4_jRbjT5_SX_jjP12ihipStream_tbEUlT_E2_NS1_11comp_targetILNS1_3genE0ELNS1_11target_archE4294967295ELNS1_3gpuE0ELNS1_3repE0EEENS1_30default_config_static_selectorELNS0_4arch9wavefront6targetE1EEEvSL_
	.p2align	8
	.type	_ZN7rocprim17ROCPRIM_400000_NS6detail17trampoline_kernelINS0_14default_configENS1_36segmented_radix_sort_config_selectorI6__halflEEZNS1_25segmented_radix_sort_implIS3_Lb1EPKS5_PS5_PKlPlN2at6native12_GLOBAL__N_18offset_tEEE10hipError_tPvRmT1_PNSt15iterator_traitsISL_E10value_typeET2_T3_PNSM_ISR_E10value_typeET4_jRbjT5_SX_jjP12ihipStream_tbEUlT_E2_NS1_11comp_targetILNS1_3genE0ELNS1_11target_archE4294967295ELNS1_3gpuE0ELNS1_3repE0EEENS1_30default_config_static_selectorELNS0_4arch9wavefront6targetE1EEEvSL_,@function
_ZN7rocprim17ROCPRIM_400000_NS6detail17trampoline_kernelINS0_14default_configENS1_36segmented_radix_sort_config_selectorI6__halflEEZNS1_25segmented_radix_sort_implIS3_Lb1EPKS5_PS5_PKlPlN2at6native12_GLOBAL__N_18offset_tEEE10hipError_tPvRmT1_PNSt15iterator_traitsISL_E10value_typeET2_T3_PNSM_ISR_E10value_typeET4_jRbjT5_SX_jjP12ihipStream_tbEUlT_E2_NS1_11comp_targetILNS1_3genE0ELNS1_11target_archE4294967295ELNS1_3gpuE0ELNS1_3repE0EEENS1_30default_config_static_selectorELNS0_4arch9wavefront6targetE1EEEvSL_: ; @_ZN7rocprim17ROCPRIM_400000_NS6detail17trampoline_kernelINS0_14default_configENS1_36segmented_radix_sort_config_selectorI6__halflEEZNS1_25segmented_radix_sort_implIS3_Lb1EPKS5_PS5_PKlPlN2at6native12_GLOBAL__N_18offset_tEEE10hipError_tPvRmT1_PNSt15iterator_traitsISL_E10value_typeET2_T3_PNSM_ISR_E10value_typeET4_jRbjT5_SX_jjP12ihipStream_tbEUlT_E2_NS1_11comp_targetILNS1_3genE0ELNS1_11target_archE4294967295ELNS1_3gpuE0ELNS1_3repE0EEENS1_30default_config_static_selectorELNS0_4arch9wavefront6targetE1EEEvSL_
; %bb.0:
	.section	.rodata,"a",@progbits
	.p2align	6, 0x0
	.amdhsa_kernel _ZN7rocprim17ROCPRIM_400000_NS6detail17trampoline_kernelINS0_14default_configENS1_36segmented_radix_sort_config_selectorI6__halflEEZNS1_25segmented_radix_sort_implIS3_Lb1EPKS5_PS5_PKlPlN2at6native12_GLOBAL__N_18offset_tEEE10hipError_tPvRmT1_PNSt15iterator_traitsISL_E10value_typeET2_T3_PNSM_ISR_E10value_typeET4_jRbjT5_SX_jjP12ihipStream_tbEUlT_E2_NS1_11comp_targetILNS1_3genE0ELNS1_11target_archE4294967295ELNS1_3gpuE0ELNS1_3repE0EEENS1_30default_config_static_selectorELNS0_4arch9wavefront6targetE1EEEvSL_
		.amdhsa_group_segment_fixed_size 0
		.amdhsa_private_segment_fixed_size 0
		.amdhsa_kernarg_size 80
		.amdhsa_user_sgpr_count 6
		.amdhsa_user_sgpr_private_segment_buffer 1
		.amdhsa_user_sgpr_dispatch_ptr 0
		.amdhsa_user_sgpr_queue_ptr 0
		.amdhsa_user_sgpr_kernarg_segment_ptr 1
		.amdhsa_user_sgpr_dispatch_id 0
		.amdhsa_user_sgpr_flat_scratch_init 0
		.amdhsa_user_sgpr_private_segment_size 0
		.amdhsa_uses_dynamic_stack 0
		.amdhsa_system_sgpr_private_segment_wavefront_offset 0
		.amdhsa_system_sgpr_workgroup_id_x 1
		.amdhsa_system_sgpr_workgroup_id_y 0
		.amdhsa_system_sgpr_workgroup_id_z 0
		.amdhsa_system_sgpr_workgroup_info 0
		.amdhsa_system_vgpr_workitem_id 0
		.amdhsa_next_free_vgpr 1
		.amdhsa_next_free_sgpr 0
		.amdhsa_reserve_vcc 0
		.amdhsa_reserve_flat_scratch 0
		.amdhsa_float_round_mode_32 0
		.amdhsa_float_round_mode_16_64 0
		.amdhsa_float_denorm_mode_32 3
		.amdhsa_float_denorm_mode_16_64 3
		.amdhsa_dx10_clamp 1
		.amdhsa_ieee_mode 1
		.amdhsa_fp16_overflow 0
		.amdhsa_exception_fp_ieee_invalid_op 0
		.amdhsa_exception_fp_denorm_src 0
		.amdhsa_exception_fp_ieee_div_zero 0
		.amdhsa_exception_fp_ieee_overflow 0
		.amdhsa_exception_fp_ieee_underflow 0
		.amdhsa_exception_fp_ieee_inexact 0
		.amdhsa_exception_int_div_zero 0
	.end_amdhsa_kernel
	.section	.text._ZN7rocprim17ROCPRIM_400000_NS6detail17trampoline_kernelINS0_14default_configENS1_36segmented_radix_sort_config_selectorI6__halflEEZNS1_25segmented_radix_sort_implIS3_Lb1EPKS5_PS5_PKlPlN2at6native12_GLOBAL__N_18offset_tEEE10hipError_tPvRmT1_PNSt15iterator_traitsISL_E10value_typeET2_T3_PNSM_ISR_E10value_typeET4_jRbjT5_SX_jjP12ihipStream_tbEUlT_E2_NS1_11comp_targetILNS1_3genE0ELNS1_11target_archE4294967295ELNS1_3gpuE0ELNS1_3repE0EEENS1_30default_config_static_selectorELNS0_4arch9wavefront6targetE1EEEvSL_,"axG",@progbits,_ZN7rocprim17ROCPRIM_400000_NS6detail17trampoline_kernelINS0_14default_configENS1_36segmented_radix_sort_config_selectorI6__halflEEZNS1_25segmented_radix_sort_implIS3_Lb1EPKS5_PS5_PKlPlN2at6native12_GLOBAL__N_18offset_tEEE10hipError_tPvRmT1_PNSt15iterator_traitsISL_E10value_typeET2_T3_PNSM_ISR_E10value_typeET4_jRbjT5_SX_jjP12ihipStream_tbEUlT_E2_NS1_11comp_targetILNS1_3genE0ELNS1_11target_archE4294967295ELNS1_3gpuE0ELNS1_3repE0EEENS1_30default_config_static_selectorELNS0_4arch9wavefront6targetE1EEEvSL_,comdat
.Lfunc_end1769:
	.size	_ZN7rocprim17ROCPRIM_400000_NS6detail17trampoline_kernelINS0_14default_configENS1_36segmented_radix_sort_config_selectorI6__halflEEZNS1_25segmented_radix_sort_implIS3_Lb1EPKS5_PS5_PKlPlN2at6native12_GLOBAL__N_18offset_tEEE10hipError_tPvRmT1_PNSt15iterator_traitsISL_E10value_typeET2_T3_PNSM_ISR_E10value_typeET4_jRbjT5_SX_jjP12ihipStream_tbEUlT_E2_NS1_11comp_targetILNS1_3genE0ELNS1_11target_archE4294967295ELNS1_3gpuE0ELNS1_3repE0EEENS1_30default_config_static_selectorELNS0_4arch9wavefront6targetE1EEEvSL_, .Lfunc_end1769-_ZN7rocprim17ROCPRIM_400000_NS6detail17trampoline_kernelINS0_14default_configENS1_36segmented_radix_sort_config_selectorI6__halflEEZNS1_25segmented_radix_sort_implIS3_Lb1EPKS5_PS5_PKlPlN2at6native12_GLOBAL__N_18offset_tEEE10hipError_tPvRmT1_PNSt15iterator_traitsISL_E10value_typeET2_T3_PNSM_ISR_E10value_typeET4_jRbjT5_SX_jjP12ihipStream_tbEUlT_E2_NS1_11comp_targetILNS1_3genE0ELNS1_11target_archE4294967295ELNS1_3gpuE0ELNS1_3repE0EEENS1_30default_config_static_selectorELNS0_4arch9wavefront6targetE1EEEvSL_
                                        ; -- End function
	.set _ZN7rocprim17ROCPRIM_400000_NS6detail17trampoline_kernelINS0_14default_configENS1_36segmented_radix_sort_config_selectorI6__halflEEZNS1_25segmented_radix_sort_implIS3_Lb1EPKS5_PS5_PKlPlN2at6native12_GLOBAL__N_18offset_tEEE10hipError_tPvRmT1_PNSt15iterator_traitsISL_E10value_typeET2_T3_PNSM_ISR_E10value_typeET4_jRbjT5_SX_jjP12ihipStream_tbEUlT_E2_NS1_11comp_targetILNS1_3genE0ELNS1_11target_archE4294967295ELNS1_3gpuE0ELNS1_3repE0EEENS1_30default_config_static_selectorELNS0_4arch9wavefront6targetE1EEEvSL_.num_vgpr, 0
	.set _ZN7rocprim17ROCPRIM_400000_NS6detail17trampoline_kernelINS0_14default_configENS1_36segmented_radix_sort_config_selectorI6__halflEEZNS1_25segmented_radix_sort_implIS3_Lb1EPKS5_PS5_PKlPlN2at6native12_GLOBAL__N_18offset_tEEE10hipError_tPvRmT1_PNSt15iterator_traitsISL_E10value_typeET2_T3_PNSM_ISR_E10value_typeET4_jRbjT5_SX_jjP12ihipStream_tbEUlT_E2_NS1_11comp_targetILNS1_3genE0ELNS1_11target_archE4294967295ELNS1_3gpuE0ELNS1_3repE0EEENS1_30default_config_static_selectorELNS0_4arch9wavefront6targetE1EEEvSL_.num_agpr, 0
	.set _ZN7rocprim17ROCPRIM_400000_NS6detail17trampoline_kernelINS0_14default_configENS1_36segmented_radix_sort_config_selectorI6__halflEEZNS1_25segmented_radix_sort_implIS3_Lb1EPKS5_PS5_PKlPlN2at6native12_GLOBAL__N_18offset_tEEE10hipError_tPvRmT1_PNSt15iterator_traitsISL_E10value_typeET2_T3_PNSM_ISR_E10value_typeET4_jRbjT5_SX_jjP12ihipStream_tbEUlT_E2_NS1_11comp_targetILNS1_3genE0ELNS1_11target_archE4294967295ELNS1_3gpuE0ELNS1_3repE0EEENS1_30default_config_static_selectorELNS0_4arch9wavefront6targetE1EEEvSL_.numbered_sgpr, 0
	.set _ZN7rocprim17ROCPRIM_400000_NS6detail17trampoline_kernelINS0_14default_configENS1_36segmented_radix_sort_config_selectorI6__halflEEZNS1_25segmented_radix_sort_implIS3_Lb1EPKS5_PS5_PKlPlN2at6native12_GLOBAL__N_18offset_tEEE10hipError_tPvRmT1_PNSt15iterator_traitsISL_E10value_typeET2_T3_PNSM_ISR_E10value_typeET4_jRbjT5_SX_jjP12ihipStream_tbEUlT_E2_NS1_11comp_targetILNS1_3genE0ELNS1_11target_archE4294967295ELNS1_3gpuE0ELNS1_3repE0EEENS1_30default_config_static_selectorELNS0_4arch9wavefront6targetE1EEEvSL_.num_named_barrier, 0
	.set _ZN7rocprim17ROCPRIM_400000_NS6detail17trampoline_kernelINS0_14default_configENS1_36segmented_radix_sort_config_selectorI6__halflEEZNS1_25segmented_radix_sort_implIS3_Lb1EPKS5_PS5_PKlPlN2at6native12_GLOBAL__N_18offset_tEEE10hipError_tPvRmT1_PNSt15iterator_traitsISL_E10value_typeET2_T3_PNSM_ISR_E10value_typeET4_jRbjT5_SX_jjP12ihipStream_tbEUlT_E2_NS1_11comp_targetILNS1_3genE0ELNS1_11target_archE4294967295ELNS1_3gpuE0ELNS1_3repE0EEENS1_30default_config_static_selectorELNS0_4arch9wavefront6targetE1EEEvSL_.private_seg_size, 0
	.set _ZN7rocprim17ROCPRIM_400000_NS6detail17trampoline_kernelINS0_14default_configENS1_36segmented_radix_sort_config_selectorI6__halflEEZNS1_25segmented_radix_sort_implIS3_Lb1EPKS5_PS5_PKlPlN2at6native12_GLOBAL__N_18offset_tEEE10hipError_tPvRmT1_PNSt15iterator_traitsISL_E10value_typeET2_T3_PNSM_ISR_E10value_typeET4_jRbjT5_SX_jjP12ihipStream_tbEUlT_E2_NS1_11comp_targetILNS1_3genE0ELNS1_11target_archE4294967295ELNS1_3gpuE0ELNS1_3repE0EEENS1_30default_config_static_selectorELNS0_4arch9wavefront6targetE1EEEvSL_.uses_vcc, 0
	.set _ZN7rocprim17ROCPRIM_400000_NS6detail17trampoline_kernelINS0_14default_configENS1_36segmented_radix_sort_config_selectorI6__halflEEZNS1_25segmented_radix_sort_implIS3_Lb1EPKS5_PS5_PKlPlN2at6native12_GLOBAL__N_18offset_tEEE10hipError_tPvRmT1_PNSt15iterator_traitsISL_E10value_typeET2_T3_PNSM_ISR_E10value_typeET4_jRbjT5_SX_jjP12ihipStream_tbEUlT_E2_NS1_11comp_targetILNS1_3genE0ELNS1_11target_archE4294967295ELNS1_3gpuE0ELNS1_3repE0EEENS1_30default_config_static_selectorELNS0_4arch9wavefront6targetE1EEEvSL_.uses_flat_scratch, 0
	.set _ZN7rocprim17ROCPRIM_400000_NS6detail17trampoline_kernelINS0_14default_configENS1_36segmented_radix_sort_config_selectorI6__halflEEZNS1_25segmented_radix_sort_implIS3_Lb1EPKS5_PS5_PKlPlN2at6native12_GLOBAL__N_18offset_tEEE10hipError_tPvRmT1_PNSt15iterator_traitsISL_E10value_typeET2_T3_PNSM_ISR_E10value_typeET4_jRbjT5_SX_jjP12ihipStream_tbEUlT_E2_NS1_11comp_targetILNS1_3genE0ELNS1_11target_archE4294967295ELNS1_3gpuE0ELNS1_3repE0EEENS1_30default_config_static_selectorELNS0_4arch9wavefront6targetE1EEEvSL_.has_dyn_sized_stack, 0
	.set _ZN7rocprim17ROCPRIM_400000_NS6detail17trampoline_kernelINS0_14default_configENS1_36segmented_radix_sort_config_selectorI6__halflEEZNS1_25segmented_radix_sort_implIS3_Lb1EPKS5_PS5_PKlPlN2at6native12_GLOBAL__N_18offset_tEEE10hipError_tPvRmT1_PNSt15iterator_traitsISL_E10value_typeET2_T3_PNSM_ISR_E10value_typeET4_jRbjT5_SX_jjP12ihipStream_tbEUlT_E2_NS1_11comp_targetILNS1_3genE0ELNS1_11target_archE4294967295ELNS1_3gpuE0ELNS1_3repE0EEENS1_30default_config_static_selectorELNS0_4arch9wavefront6targetE1EEEvSL_.has_recursion, 0
	.set _ZN7rocprim17ROCPRIM_400000_NS6detail17trampoline_kernelINS0_14default_configENS1_36segmented_radix_sort_config_selectorI6__halflEEZNS1_25segmented_radix_sort_implIS3_Lb1EPKS5_PS5_PKlPlN2at6native12_GLOBAL__N_18offset_tEEE10hipError_tPvRmT1_PNSt15iterator_traitsISL_E10value_typeET2_T3_PNSM_ISR_E10value_typeET4_jRbjT5_SX_jjP12ihipStream_tbEUlT_E2_NS1_11comp_targetILNS1_3genE0ELNS1_11target_archE4294967295ELNS1_3gpuE0ELNS1_3repE0EEENS1_30default_config_static_selectorELNS0_4arch9wavefront6targetE1EEEvSL_.has_indirect_call, 0
	.section	.AMDGPU.csdata,"",@progbits
; Kernel info:
; codeLenInByte = 0
; TotalNumSgprs: 4
; NumVgprs: 0
; ScratchSize: 0
; MemoryBound: 0
; FloatMode: 240
; IeeeMode: 1
; LDSByteSize: 0 bytes/workgroup (compile time only)
; SGPRBlocks: 0
; VGPRBlocks: 0
; NumSGPRsForWavesPerEU: 4
; NumVGPRsForWavesPerEU: 1
; Occupancy: 10
; WaveLimiterHint : 0
; COMPUTE_PGM_RSRC2:SCRATCH_EN: 0
; COMPUTE_PGM_RSRC2:USER_SGPR: 6
; COMPUTE_PGM_RSRC2:TRAP_HANDLER: 0
; COMPUTE_PGM_RSRC2:TGID_X_EN: 1
; COMPUTE_PGM_RSRC2:TGID_Y_EN: 0
; COMPUTE_PGM_RSRC2:TGID_Z_EN: 0
; COMPUTE_PGM_RSRC2:TIDIG_COMP_CNT: 0
	.section	.text._ZN7rocprim17ROCPRIM_400000_NS6detail17trampoline_kernelINS0_14default_configENS1_36segmented_radix_sort_config_selectorI6__halflEEZNS1_25segmented_radix_sort_implIS3_Lb1EPKS5_PS5_PKlPlN2at6native12_GLOBAL__N_18offset_tEEE10hipError_tPvRmT1_PNSt15iterator_traitsISL_E10value_typeET2_T3_PNSM_ISR_E10value_typeET4_jRbjT5_SX_jjP12ihipStream_tbEUlT_E2_NS1_11comp_targetILNS1_3genE5ELNS1_11target_archE942ELNS1_3gpuE9ELNS1_3repE0EEENS1_30default_config_static_selectorELNS0_4arch9wavefront6targetE1EEEvSL_,"axG",@progbits,_ZN7rocprim17ROCPRIM_400000_NS6detail17trampoline_kernelINS0_14default_configENS1_36segmented_radix_sort_config_selectorI6__halflEEZNS1_25segmented_radix_sort_implIS3_Lb1EPKS5_PS5_PKlPlN2at6native12_GLOBAL__N_18offset_tEEE10hipError_tPvRmT1_PNSt15iterator_traitsISL_E10value_typeET2_T3_PNSM_ISR_E10value_typeET4_jRbjT5_SX_jjP12ihipStream_tbEUlT_E2_NS1_11comp_targetILNS1_3genE5ELNS1_11target_archE942ELNS1_3gpuE9ELNS1_3repE0EEENS1_30default_config_static_selectorELNS0_4arch9wavefront6targetE1EEEvSL_,comdat
	.globl	_ZN7rocprim17ROCPRIM_400000_NS6detail17trampoline_kernelINS0_14default_configENS1_36segmented_radix_sort_config_selectorI6__halflEEZNS1_25segmented_radix_sort_implIS3_Lb1EPKS5_PS5_PKlPlN2at6native12_GLOBAL__N_18offset_tEEE10hipError_tPvRmT1_PNSt15iterator_traitsISL_E10value_typeET2_T3_PNSM_ISR_E10value_typeET4_jRbjT5_SX_jjP12ihipStream_tbEUlT_E2_NS1_11comp_targetILNS1_3genE5ELNS1_11target_archE942ELNS1_3gpuE9ELNS1_3repE0EEENS1_30default_config_static_selectorELNS0_4arch9wavefront6targetE1EEEvSL_ ; -- Begin function _ZN7rocprim17ROCPRIM_400000_NS6detail17trampoline_kernelINS0_14default_configENS1_36segmented_radix_sort_config_selectorI6__halflEEZNS1_25segmented_radix_sort_implIS3_Lb1EPKS5_PS5_PKlPlN2at6native12_GLOBAL__N_18offset_tEEE10hipError_tPvRmT1_PNSt15iterator_traitsISL_E10value_typeET2_T3_PNSM_ISR_E10value_typeET4_jRbjT5_SX_jjP12ihipStream_tbEUlT_E2_NS1_11comp_targetILNS1_3genE5ELNS1_11target_archE942ELNS1_3gpuE9ELNS1_3repE0EEENS1_30default_config_static_selectorELNS0_4arch9wavefront6targetE1EEEvSL_
	.p2align	8
	.type	_ZN7rocprim17ROCPRIM_400000_NS6detail17trampoline_kernelINS0_14default_configENS1_36segmented_radix_sort_config_selectorI6__halflEEZNS1_25segmented_radix_sort_implIS3_Lb1EPKS5_PS5_PKlPlN2at6native12_GLOBAL__N_18offset_tEEE10hipError_tPvRmT1_PNSt15iterator_traitsISL_E10value_typeET2_T3_PNSM_ISR_E10value_typeET4_jRbjT5_SX_jjP12ihipStream_tbEUlT_E2_NS1_11comp_targetILNS1_3genE5ELNS1_11target_archE942ELNS1_3gpuE9ELNS1_3repE0EEENS1_30default_config_static_selectorELNS0_4arch9wavefront6targetE1EEEvSL_,@function
_ZN7rocprim17ROCPRIM_400000_NS6detail17trampoline_kernelINS0_14default_configENS1_36segmented_radix_sort_config_selectorI6__halflEEZNS1_25segmented_radix_sort_implIS3_Lb1EPKS5_PS5_PKlPlN2at6native12_GLOBAL__N_18offset_tEEE10hipError_tPvRmT1_PNSt15iterator_traitsISL_E10value_typeET2_T3_PNSM_ISR_E10value_typeET4_jRbjT5_SX_jjP12ihipStream_tbEUlT_E2_NS1_11comp_targetILNS1_3genE5ELNS1_11target_archE942ELNS1_3gpuE9ELNS1_3repE0EEENS1_30default_config_static_selectorELNS0_4arch9wavefront6targetE1EEEvSL_: ; @_ZN7rocprim17ROCPRIM_400000_NS6detail17trampoline_kernelINS0_14default_configENS1_36segmented_radix_sort_config_selectorI6__halflEEZNS1_25segmented_radix_sort_implIS3_Lb1EPKS5_PS5_PKlPlN2at6native12_GLOBAL__N_18offset_tEEE10hipError_tPvRmT1_PNSt15iterator_traitsISL_E10value_typeET2_T3_PNSM_ISR_E10value_typeET4_jRbjT5_SX_jjP12ihipStream_tbEUlT_E2_NS1_11comp_targetILNS1_3genE5ELNS1_11target_archE942ELNS1_3gpuE9ELNS1_3repE0EEENS1_30default_config_static_selectorELNS0_4arch9wavefront6targetE1EEEvSL_
; %bb.0:
	.section	.rodata,"a",@progbits
	.p2align	6, 0x0
	.amdhsa_kernel _ZN7rocprim17ROCPRIM_400000_NS6detail17trampoline_kernelINS0_14default_configENS1_36segmented_radix_sort_config_selectorI6__halflEEZNS1_25segmented_radix_sort_implIS3_Lb1EPKS5_PS5_PKlPlN2at6native12_GLOBAL__N_18offset_tEEE10hipError_tPvRmT1_PNSt15iterator_traitsISL_E10value_typeET2_T3_PNSM_ISR_E10value_typeET4_jRbjT5_SX_jjP12ihipStream_tbEUlT_E2_NS1_11comp_targetILNS1_3genE5ELNS1_11target_archE942ELNS1_3gpuE9ELNS1_3repE0EEENS1_30default_config_static_selectorELNS0_4arch9wavefront6targetE1EEEvSL_
		.amdhsa_group_segment_fixed_size 0
		.amdhsa_private_segment_fixed_size 0
		.amdhsa_kernarg_size 80
		.amdhsa_user_sgpr_count 6
		.amdhsa_user_sgpr_private_segment_buffer 1
		.amdhsa_user_sgpr_dispatch_ptr 0
		.amdhsa_user_sgpr_queue_ptr 0
		.amdhsa_user_sgpr_kernarg_segment_ptr 1
		.amdhsa_user_sgpr_dispatch_id 0
		.amdhsa_user_sgpr_flat_scratch_init 0
		.amdhsa_user_sgpr_private_segment_size 0
		.amdhsa_uses_dynamic_stack 0
		.amdhsa_system_sgpr_private_segment_wavefront_offset 0
		.amdhsa_system_sgpr_workgroup_id_x 1
		.amdhsa_system_sgpr_workgroup_id_y 0
		.amdhsa_system_sgpr_workgroup_id_z 0
		.amdhsa_system_sgpr_workgroup_info 0
		.amdhsa_system_vgpr_workitem_id 0
		.amdhsa_next_free_vgpr 1
		.amdhsa_next_free_sgpr 0
		.amdhsa_reserve_vcc 0
		.amdhsa_reserve_flat_scratch 0
		.amdhsa_float_round_mode_32 0
		.amdhsa_float_round_mode_16_64 0
		.amdhsa_float_denorm_mode_32 3
		.amdhsa_float_denorm_mode_16_64 3
		.amdhsa_dx10_clamp 1
		.amdhsa_ieee_mode 1
		.amdhsa_fp16_overflow 0
		.amdhsa_exception_fp_ieee_invalid_op 0
		.amdhsa_exception_fp_denorm_src 0
		.amdhsa_exception_fp_ieee_div_zero 0
		.amdhsa_exception_fp_ieee_overflow 0
		.amdhsa_exception_fp_ieee_underflow 0
		.amdhsa_exception_fp_ieee_inexact 0
		.amdhsa_exception_int_div_zero 0
	.end_amdhsa_kernel
	.section	.text._ZN7rocprim17ROCPRIM_400000_NS6detail17trampoline_kernelINS0_14default_configENS1_36segmented_radix_sort_config_selectorI6__halflEEZNS1_25segmented_radix_sort_implIS3_Lb1EPKS5_PS5_PKlPlN2at6native12_GLOBAL__N_18offset_tEEE10hipError_tPvRmT1_PNSt15iterator_traitsISL_E10value_typeET2_T3_PNSM_ISR_E10value_typeET4_jRbjT5_SX_jjP12ihipStream_tbEUlT_E2_NS1_11comp_targetILNS1_3genE5ELNS1_11target_archE942ELNS1_3gpuE9ELNS1_3repE0EEENS1_30default_config_static_selectorELNS0_4arch9wavefront6targetE1EEEvSL_,"axG",@progbits,_ZN7rocprim17ROCPRIM_400000_NS6detail17trampoline_kernelINS0_14default_configENS1_36segmented_radix_sort_config_selectorI6__halflEEZNS1_25segmented_radix_sort_implIS3_Lb1EPKS5_PS5_PKlPlN2at6native12_GLOBAL__N_18offset_tEEE10hipError_tPvRmT1_PNSt15iterator_traitsISL_E10value_typeET2_T3_PNSM_ISR_E10value_typeET4_jRbjT5_SX_jjP12ihipStream_tbEUlT_E2_NS1_11comp_targetILNS1_3genE5ELNS1_11target_archE942ELNS1_3gpuE9ELNS1_3repE0EEENS1_30default_config_static_selectorELNS0_4arch9wavefront6targetE1EEEvSL_,comdat
.Lfunc_end1770:
	.size	_ZN7rocprim17ROCPRIM_400000_NS6detail17trampoline_kernelINS0_14default_configENS1_36segmented_radix_sort_config_selectorI6__halflEEZNS1_25segmented_radix_sort_implIS3_Lb1EPKS5_PS5_PKlPlN2at6native12_GLOBAL__N_18offset_tEEE10hipError_tPvRmT1_PNSt15iterator_traitsISL_E10value_typeET2_T3_PNSM_ISR_E10value_typeET4_jRbjT5_SX_jjP12ihipStream_tbEUlT_E2_NS1_11comp_targetILNS1_3genE5ELNS1_11target_archE942ELNS1_3gpuE9ELNS1_3repE0EEENS1_30default_config_static_selectorELNS0_4arch9wavefront6targetE1EEEvSL_, .Lfunc_end1770-_ZN7rocprim17ROCPRIM_400000_NS6detail17trampoline_kernelINS0_14default_configENS1_36segmented_radix_sort_config_selectorI6__halflEEZNS1_25segmented_radix_sort_implIS3_Lb1EPKS5_PS5_PKlPlN2at6native12_GLOBAL__N_18offset_tEEE10hipError_tPvRmT1_PNSt15iterator_traitsISL_E10value_typeET2_T3_PNSM_ISR_E10value_typeET4_jRbjT5_SX_jjP12ihipStream_tbEUlT_E2_NS1_11comp_targetILNS1_3genE5ELNS1_11target_archE942ELNS1_3gpuE9ELNS1_3repE0EEENS1_30default_config_static_selectorELNS0_4arch9wavefront6targetE1EEEvSL_
                                        ; -- End function
	.set _ZN7rocprim17ROCPRIM_400000_NS6detail17trampoline_kernelINS0_14default_configENS1_36segmented_radix_sort_config_selectorI6__halflEEZNS1_25segmented_radix_sort_implIS3_Lb1EPKS5_PS5_PKlPlN2at6native12_GLOBAL__N_18offset_tEEE10hipError_tPvRmT1_PNSt15iterator_traitsISL_E10value_typeET2_T3_PNSM_ISR_E10value_typeET4_jRbjT5_SX_jjP12ihipStream_tbEUlT_E2_NS1_11comp_targetILNS1_3genE5ELNS1_11target_archE942ELNS1_3gpuE9ELNS1_3repE0EEENS1_30default_config_static_selectorELNS0_4arch9wavefront6targetE1EEEvSL_.num_vgpr, 0
	.set _ZN7rocprim17ROCPRIM_400000_NS6detail17trampoline_kernelINS0_14default_configENS1_36segmented_radix_sort_config_selectorI6__halflEEZNS1_25segmented_radix_sort_implIS3_Lb1EPKS5_PS5_PKlPlN2at6native12_GLOBAL__N_18offset_tEEE10hipError_tPvRmT1_PNSt15iterator_traitsISL_E10value_typeET2_T3_PNSM_ISR_E10value_typeET4_jRbjT5_SX_jjP12ihipStream_tbEUlT_E2_NS1_11comp_targetILNS1_3genE5ELNS1_11target_archE942ELNS1_3gpuE9ELNS1_3repE0EEENS1_30default_config_static_selectorELNS0_4arch9wavefront6targetE1EEEvSL_.num_agpr, 0
	.set _ZN7rocprim17ROCPRIM_400000_NS6detail17trampoline_kernelINS0_14default_configENS1_36segmented_radix_sort_config_selectorI6__halflEEZNS1_25segmented_radix_sort_implIS3_Lb1EPKS5_PS5_PKlPlN2at6native12_GLOBAL__N_18offset_tEEE10hipError_tPvRmT1_PNSt15iterator_traitsISL_E10value_typeET2_T3_PNSM_ISR_E10value_typeET4_jRbjT5_SX_jjP12ihipStream_tbEUlT_E2_NS1_11comp_targetILNS1_3genE5ELNS1_11target_archE942ELNS1_3gpuE9ELNS1_3repE0EEENS1_30default_config_static_selectorELNS0_4arch9wavefront6targetE1EEEvSL_.numbered_sgpr, 0
	.set _ZN7rocprim17ROCPRIM_400000_NS6detail17trampoline_kernelINS0_14default_configENS1_36segmented_radix_sort_config_selectorI6__halflEEZNS1_25segmented_radix_sort_implIS3_Lb1EPKS5_PS5_PKlPlN2at6native12_GLOBAL__N_18offset_tEEE10hipError_tPvRmT1_PNSt15iterator_traitsISL_E10value_typeET2_T3_PNSM_ISR_E10value_typeET4_jRbjT5_SX_jjP12ihipStream_tbEUlT_E2_NS1_11comp_targetILNS1_3genE5ELNS1_11target_archE942ELNS1_3gpuE9ELNS1_3repE0EEENS1_30default_config_static_selectorELNS0_4arch9wavefront6targetE1EEEvSL_.num_named_barrier, 0
	.set _ZN7rocprim17ROCPRIM_400000_NS6detail17trampoline_kernelINS0_14default_configENS1_36segmented_radix_sort_config_selectorI6__halflEEZNS1_25segmented_radix_sort_implIS3_Lb1EPKS5_PS5_PKlPlN2at6native12_GLOBAL__N_18offset_tEEE10hipError_tPvRmT1_PNSt15iterator_traitsISL_E10value_typeET2_T3_PNSM_ISR_E10value_typeET4_jRbjT5_SX_jjP12ihipStream_tbEUlT_E2_NS1_11comp_targetILNS1_3genE5ELNS1_11target_archE942ELNS1_3gpuE9ELNS1_3repE0EEENS1_30default_config_static_selectorELNS0_4arch9wavefront6targetE1EEEvSL_.private_seg_size, 0
	.set _ZN7rocprim17ROCPRIM_400000_NS6detail17trampoline_kernelINS0_14default_configENS1_36segmented_radix_sort_config_selectorI6__halflEEZNS1_25segmented_radix_sort_implIS3_Lb1EPKS5_PS5_PKlPlN2at6native12_GLOBAL__N_18offset_tEEE10hipError_tPvRmT1_PNSt15iterator_traitsISL_E10value_typeET2_T3_PNSM_ISR_E10value_typeET4_jRbjT5_SX_jjP12ihipStream_tbEUlT_E2_NS1_11comp_targetILNS1_3genE5ELNS1_11target_archE942ELNS1_3gpuE9ELNS1_3repE0EEENS1_30default_config_static_selectorELNS0_4arch9wavefront6targetE1EEEvSL_.uses_vcc, 0
	.set _ZN7rocprim17ROCPRIM_400000_NS6detail17trampoline_kernelINS0_14default_configENS1_36segmented_radix_sort_config_selectorI6__halflEEZNS1_25segmented_radix_sort_implIS3_Lb1EPKS5_PS5_PKlPlN2at6native12_GLOBAL__N_18offset_tEEE10hipError_tPvRmT1_PNSt15iterator_traitsISL_E10value_typeET2_T3_PNSM_ISR_E10value_typeET4_jRbjT5_SX_jjP12ihipStream_tbEUlT_E2_NS1_11comp_targetILNS1_3genE5ELNS1_11target_archE942ELNS1_3gpuE9ELNS1_3repE0EEENS1_30default_config_static_selectorELNS0_4arch9wavefront6targetE1EEEvSL_.uses_flat_scratch, 0
	.set _ZN7rocprim17ROCPRIM_400000_NS6detail17trampoline_kernelINS0_14default_configENS1_36segmented_radix_sort_config_selectorI6__halflEEZNS1_25segmented_radix_sort_implIS3_Lb1EPKS5_PS5_PKlPlN2at6native12_GLOBAL__N_18offset_tEEE10hipError_tPvRmT1_PNSt15iterator_traitsISL_E10value_typeET2_T3_PNSM_ISR_E10value_typeET4_jRbjT5_SX_jjP12ihipStream_tbEUlT_E2_NS1_11comp_targetILNS1_3genE5ELNS1_11target_archE942ELNS1_3gpuE9ELNS1_3repE0EEENS1_30default_config_static_selectorELNS0_4arch9wavefront6targetE1EEEvSL_.has_dyn_sized_stack, 0
	.set _ZN7rocprim17ROCPRIM_400000_NS6detail17trampoline_kernelINS0_14default_configENS1_36segmented_radix_sort_config_selectorI6__halflEEZNS1_25segmented_radix_sort_implIS3_Lb1EPKS5_PS5_PKlPlN2at6native12_GLOBAL__N_18offset_tEEE10hipError_tPvRmT1_PNSt15iterator_traitsISL_E10value_typeET2_T3_PNSM_ISR_E10value_typeET4_jRbjT5_SX_jjP12ihipStream_tbEUlT_E2_NS1_11comp_targetILNS1_3genE5ELNS1_11target_archE942ELNS1_3gpuE9ELNS1_3repE0EEENS1_30default_config_static_selectorELNS0_4arch9wavefront6targetE1EEEvSL_.has_recursion, 0
	.set _ZN7rocprim17ROCPRIM_400000_NS6detail17trampoline_kernelINS0_14default_configENS1_36segmented_radix_sort_config_selectorI6__halflEEZNS1_25segmented_radix_sort_implIS3_Lb1EPKS5_PS5_PKlPlN2at6native12_GLOBAL__N_18offset_tEEE10hipError_tPvRmT1_PNSt15iterator_traitsISL_E10value_typeET2_T3_PNSM_ISR_E10value_typeET4_jRbjT5_SX_jjP12ihipStream_tbEUlT_E2_NS1_11comp_targetILNS1_3genE5ELNS1_11target_archE942ELNS1_3gpuE9ELNS1_3repE0EEENS1_30default_config_static_selectorELNS0_4arch9wavefront6targetE1EEEvSL_.has_indirect_call, 0
	.section	.AMDGPU.csdata,"",@progbits
; Kernel info:
; codeLenInByte = 0
; TotalNumSgprs: 4
; NumVgprs: 0
; ScratchSize: 0
; MemoryBound: 0
; FloatMode: 240
; IeeeMode: 1
; LDSByteSize: 0 bytes/workgroup (compile time only)
; SGPRBlocks: 0
; VGPRBlocks: 0
; NumSGPRsForWavesPerEU: 4
; NumVGPRsForWavesPerEU: 1
; Occupancy: 10
; WaveLimiterHint : 0
; COMPUTE_PGM_RSRC2:SCRATCH_EN: 0
; COMPUTE_PGM_RSRC2:USER_SGPR: 6
; COMPUTE_PGM_RSRC2:TRAP_HANDLER: 0
; COMPUTE_PGM_RSRC2:TGID_X_EN: 1
; COMPUTE_PGM_RSRC2:TGID_Y_EN: 0
; COMPUTE_PGM_RSRC2:TGID_Z_EN: 0
; COMPUTE_PGM_RSRC2:TIDIG_COMP_CNT: 0
	.section	.text._ZN7rocprim17ROCPRIM_400000_NS6detail17trampoline_kernelINS0_14default_configENS1_36segmented_radix_sort_config_selectorI6__halflEEZNS1_25segmented_radix_sort_implIS3_Lb1EPKS5_PS5_PKlPlN2at6native12_GLOBAL__N_18offset_tEEE10hipError_tPvRmT1_PNSt15iterator_traitsISL_E10value_typeET2_T3_PNSM_ISR_E10value_typeET4_jRbjT5_SX_jjP12ihipStream_tbEUlT_E2_NS1_11comp_targetILNS1_3genE4ELNS1_11target_archE910ELNS1_3gpuE8ELNS1_3repE0EEENS1_30default_config_static_selectorELNS0_4arch9wavefront6targetE1EEEvSL_,"axG",@progbits,_ZN7rocprim17ROCPRIM_400000_NS6detail17trampoline_kernelINS0_14default_configENS1_36segmented_radix_sort_config_selectorI6__halflEEZNS1_25segmented_radix_sort_implIS3_Lb1EPKS5_PS5_PKlPlN2at6native12_GLOBAL__N_18offset_tEEE10hipError_tPvRmT1_PNSt15iterator_traitsISL_E10value_typeET2_T3_PNSM_ISR_E10value_typeET4_jRbjT5_SX_jjP12ihipStream_tbEUlT_E2_NS1_11comp_targetILNS1_3genE4ELNS1_11target_archE910ELNS1_3gpuE8ELNS1_3repE0EEENS1_30default_config_static_selectorELNS0_4arch9wavefront6targetE1EEEvSL_,comdat
	.globl	_ZN7rocprim17ROCPRIM_400000_NS6detail17trampoline_kernelINS0_14default_configENS1_36segmented_radix_sort_config_selectorI6__halflEEZNS1_25segmented_radix_sort_implIS3_Lb1EPKS5_PS5_PKlPlN2at6native12_GLOBAL__N_18offset_tEEE10hipError_tPvRmT1_PNSt15iterator_traitsISL_E10value_typeET2_T3_PNSM_ISR_E10value_typeET4_jRbjT5_SX_jjP12ihipStream_tbEUlT_E2_NS1_11comp_targetILNS1_3genE4ELNS1_11target_archE910ELNS1_3gpuE8ELNS1_3repE0EEENS1_30default_config_static_selectorELNS0_4arch9wavefront6targetE1EEEvSL_ ; -- Begin function _ZN7rocprim17ROCPRIM_400000_NS6detail17trampoline_kernelINS0_14default_configENS1_36segmented_radix_sort_config_selectorI6__halflEEZNS1_25segmented_radix_sort_implIS3_Lb1EPKS5_PS5_PKlPlN2at6native12_GLOBAL__N_18offset_tEEE10hipError_tPvRmT1_PNSt15iterator_traitsISL_E10value_typeET2_T3_PNSM_ISR_E10value_typeET4_jRbjT5_SX_jjP12ihipStream_tbEUlT_E2_NS1_11comp_targetILNS1_3genE4ELNS1_11target_archE910ELNS1_3gpuE8ELNS1_3repE0EEENS1_30default_config_static_selectorELNS0_4arch9wavefront6targetE1EEEvSL_
	.p2align	8
	.type	_ZN7rocprim17ROCPRIM_400000_NS6detail17trampoline_kernelINS0_14default_configENS1_36segmented_radix_sort_config_selectorI6__halflEEZNS1_25segmented_radix_sort_implIS3_Lb1EPKS5_PS5_PKlPlN2at6native12_GLOBAL__N_18offset_tEEE10hipError_tPvRmT1_PNSt15iterator_traitsISL_E10value_typeET2_T3_PNSM_ISR_E10value_typeET4_jRbjT5_SX_jjP12ihipStream_tbEUlT_E2_NS1_11comp_targetILNS1_3genE4ELNS1_11target_archE910ELNS1_3gpuE8ELNS1_3repE0EEENS1_30default_config_static_selectorELNS0_4arch9wavefront6targetE1EEEvSL_,@function
_ZN7rocprim17ROCPRIM_400000_NS6detail17trampoline_kernelINS0_14default_configENS1_36segmented_radix_sort_config_selectorI6__halflEEZNS1_25segmented_radix_sort_implIS3_Lb1EPKS5_PS5_PKlPlN2at6native12_GLOBAL__N_18offset_tEEE10hipError_tPvRmT1_PNSt15iterator_traitsISL_E10value_typeET2_T3_PNSM_ISR_E10value_typeET4_jRbjT5_SX_jjP12ihipStream_tbEUlT_E2_NS1_11comp_targetILNS1_3genE4ELNS1_11target_archE910ELNS1_3gpuE8ELNS1_3repE0EEENS1_30default_config_static_selectorELNS0_4arch9wavefront6targetE1EEEvSL_: ; @_ZN7rocprim17ROCPRIM_400000_NS6detail17trampoline_kernelINS0_14default_configENS1_36segmented_radix_sort_config_selectorI6__halflEEZNS1_25segmented_radix_sort_implIS3_Lb1EPKS5_PS5_PKlPlN2at6native12_GLOBAL__N_18offset_tEEE10hipError_tPvRmT1_PNSt15iterator_traitsISL_E10value_typeET2_T3_PNSM_ISR_E10value_typeET4_jRbjT5_SX_jjP12ihipStream_tbEUlT_E2_NS1_11comp_targetILNS1_3genE4ELNS1_11target_archE910ELNS1_3gpuE8ELNS1_3repE0EEENS1_30default_config_static_selectorELNS0_4arch9wavefront6targetE1EEEvSL_
; %bb.0:
	.section	.rodata,"a",@progbits
	.p2align	6, 0x0
	.amdhsa_kernel _ZN7rocprim17ROCPRIM_400000_NS6detail17trampoline_kernelINS0_14default_configENS1_36segmented_radix_sort_config_selectorI6__halflEEZNS1_25segmented_radix_sort_implIS3_Lb1EPKS5_PS5_PKlPlN2at6native12_GLOBAL__N_18offset_tEEE10hipError_tPvRmT1_PNSt15iterator_traitsISL_E10value_typeET2_T3_PNSM_ISR_E10value_typeET4_jRbjT5_SX_jjP12ihipStream_tbEUlT_E2_NS1_11comp_targetILNS1_3genE4ELNS1_11target_archE910ELNS1_3gpuE8ELNS1_3repE0EEENS1_30default_config_static_selectorELNS0_4arch9wavefront6targetE1EEEvSL_
		.amdhsa_group_segment_fixed_size 0
		.amdhsa_private_segment_fixed_size 0
		.amdhsa_kernarg_size 80
		.amdhsa_user_sgpr_count 6
		.amdhsa_user_sgpr_private_segment_buffer 1
		.amdhsa_user_sgpr_dispatch_ptr 0
		.amdhsa_user_sgpr_queue_ptr 0
		.amdhsa_user_sgpr_kernarg_segment_ptr 1
		.amdhsa_user_sgpr_dispatch_id 0
		.amdhsa_user_sgpr_flat_scratch_init 0
		.amdhsa_user_sgpr_private_segment_size 0
		.amdhsa_uses_dynamic_stack 0
		.amdhsa_system_sgpr_private_segment_wavefront_offset 0
		.amdhsa_system_sgpr_workgroup_id_x 1
		.amdhsa_system_sgpr_workgroup_id_y 0
		.amdhsa_system_sgpr_workgroup_id_z 0
		.amdhsa_system_sgpr_workgroup_info 0
		.amdhsa_system_vgpr_workitem_id 0
		.amdhsa_next_free_vgpr 1
		.amdhsa_next_free_sgpr 0
		.amdhsa_reserve_vcc 0
		.amdhsa_reserve_flat_scratch 0
		.amdhsa_float_round_mode_32 0
		.amdhsa_float_round_mode_16_64 0
		.amdhsa_float_denorm_mode_32 3
		.amdhsa_float_denorm_mode_16_64 3
		.amdhsa_dx10_clamp 1
		.amdhsa_ieee_mode 1
		.amdhsa_fp16_overflow 0
		.amdhsa_exception_fp_ieee_invalid_op 0
		.amdhsa_exception_fp_denorm_src 0
		.amdhsa_exception_fp_ieee_div_zero 0
		.amdhsa_exception_fp_ieee_overflow 0
		.amdhsa_exception_fp_ieee_underflow 0
		.amdhsa_exception_fp_ieee_inexact 0
		.amdhsa_exception_int_div_zero 0
	.end_amdhsa_kernel
	.section	.text._ZN7rocprim17ROCPRIM_400000_NS6detail17trampoline_kernelINS0_14default_configENS1_36segmented_radix_sort_config_selectorI6__halflEEZNS1_25segmented_radix_sort_implIS3_Lb1EPKS5_PS5_PKlPlN2at6native12_GLOBAL__N_18offset_tEEE10hipError_tPvRmT1_PNSt15iterator_traitsISL_E10value_typeET2_T3_PNSM_ISR_E10value_typeET4_jRbjT5_SX_jjP12ihipStream_tbEUlT_E2_NS1_11comp_targetILNS1_3genE4ELNS1_11target_archE910ELNS1_3gpuE8ELNS1_3repE0EEENS1_30default_config_static_selectorELNS0_4arch9wavefront6targetE1EEEvSL_,"axG",@progbits,_ZN7rocprim17ROCPRIM_400000_NS6detail17trampoline_kernelINS0_14default_configENS1_36segmented_radix_sort_config_selectorI6__halflEEZNS1_25segmented_radix_sort_implIS3_Lb1EPKS5_PS5_PKlPlN2at6native12_GLOBAL__N_18offset_tEEE10hipError_tPvRmT1_PNSt15iterator_traitsISL_E10value_typeET2_T3_PNSM_ISR_E10value_typeET4_jRbjT5_SX_jjP12ihipStream_tbEUlT_E2_NS1_11comp_targetILNS1_3genE4ELNS1_11target_archE910ELNS1_3gpuE8ELNS1_3repE0EEENS1_30default_config_static_selectorELNS0_4arch9wavefront6targetE1EEEvSL_,comdat
.Lfunc_end1771:
	.size	_ZN7rocprim17ROCPRIM_400000_NS6detail17trampoline_kernelINS0_14default_configENS1_36segmented_radix_sort_config_selectorI6__halflEEZNS1_25segmented_radix_sort_implIS3_Lb1EPKS5_PS5_PKlPlN2at6native12_GLOBAL__N_18offset_tEEE10hipError_tPvRmT1_PNSt15iterator_traitsISL_E10value_typeET2_T3_PNSM_ISR_E10value_typeET4_jRbjT5_SX_jjP12ihipStream_tbEUlT_E2_NS1_11comp_targetILNS1_3genE4ELNS1_11target_archE910ELNS1_3gpuE8ELNS1_3repE0EEENS1_30default_config_static_selectorELNS0_4arch9wavefront6targetE1EEEvSL_, .Lfunc_end1771-_ZN7rocprim17ROCPRIM_400000_NS6detail17trampoline_kernelINS0_14default_configENS1_36segmented_radix_sort_config_selectorI6__halflEEZNS1_25segmented_radix_sort_implIS3_Lb1EPKS5_PS5_PKlPlN2at6native12_GLOBAL__N_18offset_tEEE10hipError_tPvRmT1_PNSt15iterator_traitsISL_E10value_typeET2_T3_PNSM_ISR_E10value_typeET4_jRbjT5_SX_jjP12ihipStream_tbEUlT_E2_NS1_11comp_targetILNS1_3genE4ELNS1_11target_archE910ELNS1_3gpuE8ELNS1_3repE0EEENS1_30default_config_static_selectorELNS0_4arch9wavefront6targetE1EEEvSL_
                                        ; -- End function
	.set _ZN7rocprim17ROCPRIM_400000_NS6detail17trampoline_kernelINS0_14default_configENS1_36segmented_radix_sort_config_selectorI6__halflEEZNS1_25segmented_radix_sort_implIS3_Lb1EPKS5_PS5_PKlPlN2at6native12_GLOBAL__N_18offset_tEEE10hipError_tPvRmT1_PNSt15iterator_traitsISL_E10value_typeET2_T3_PNSM_ISR_E10value_typeET4_jRbjT5_SX_jjP12ihipStream_tbEUlT_E2_NS1_11comp_targetILNS1_3genE4ELNS1_11target_archE910ELNS1_3gpuE8ELNS1_3repE0EEENS1_30default_config_static_selectorELNS0_4arch9wavefront6targetE1EEEvSL_.num_vgpr, 0
	.set _ZN7rocprim17ROCPRIM_400000_NS6detail17trampoline_kernelINS0_14default_configENS1_36segmented_radix_sort_config_selectorI6__halflEEZNS1_25segmented_radix_sort_implIS3_Lb1EPKS5_PS5_PKlPlN2at6native12_GLOBAL__N_18offset_tEEE10hipError_tPvRmT1_PNSt15iterator_traitsISL_E10value_typeET2_T3_PNSM_ISR_E10value_typeET4_jRbjT5_SX_jjP12ihipStream_tbEUlT_E2_NS1_11comp_targetILNS1_3genE4ELNS1_11target_archE910ELNS1_3gpuE8ELNS1_3repE0EEENS1_30default_config_static_selectorELNS0_4arch9wavefront6targetE1EEEvSL_.num_agpr, 0
	.set _ZN7rocprim17ROCPRIM_400000_NS6detail17trampoline_kernelINS0_14default_configENS1_36segmented_radix_sort_config_selectorI6__halflEEZNS1_25segmented_radix_sort_implIS3_Lb1EPKS5_PS5_PKlPlN2at6native12_GLOBAL__N_18offset_tEEE10hipError_tPvRmT1_PNSt15iterator_traitsISL_E10value_typeET2_T3_PNSM_ISR_E10value_typeET4_jRbjT5_SX_jjP12ihipStream_tbEUlT_E2_NS1_11comp_targetILNS1_3genE4ELNS1_11target_archE910ELNS1_3gpuE8ELNS1_3repE0EEENS1_30default_config_static_selectorELNS0_4arch9wavefront6targetE1EEEvSL_.numbered_sgpr, 0
	.set _ZN7rocprim17ROCPRIM_400000_NS6detail17trampoline_kernelINS0_14default_configENS1_36segmented_radix_sort_config_selectorI6__halflEEZNS1_25segmented_radix_sort_implIS3_Lb1EPKS5_PS5_PKlPlN2at6native12_GLOBAL__N_18offset_tEEE10hipError_tPvRmT1_PNSt15iterator_traitsISL_E10value_typeET2_T3_PNSM_ISR_E10value_typeET4_jRbjT5_SX_jjP12ihipStream_tbEUlT_E2_NS1_11comp_targetILNS1_3genE4ELNS1_11target_archE910ELNS1_3gpuE8ELNS1_3repE0EEENS1_30default_config_static_selectorELNS0_4arch9wavefront6targetE1EEEvSL_.num_named_barrier, 0
	.set _ZN7rocprim17ROCPRIM_400000_NS6detail17trampoline_kernelINS0_14default_configENS1_36segmented_radix_sort_config_selectorI6__halflEEZNS1_25segmented_radix_sort_implIS3_Lb1EPKS5_PS5_PKlPlN2at6native12_GLOBAL__N_18offset_tEEE10hipError_tPvRmT1_PNSt15iterator_traitsISL_E10value_typeET2_T3_PNSM_ISR_E10value_typeET4_jRbjT5_SX_jjP12ihipStream_tbEUlT_E2_NS1_11comp_targetILNS1_3genE4ELNS1_11target_archE910ELNS1_3gpuE8ELNS1_3repE0EEENS1_30default_config_static_selectorELNS0_4arch9wavefront6targetE1EEEvSL_.private_seg_size, 0
	.set _ZN7rocprim17ROCPRIM_400000_NS6detail17trampoline_kernelINS0_14default_configENS1_36segmented_radix_sort_config_selectorI6__halflEEZNS1_25segmented_radix_sort_implIS3_Lb1EPKS5_PS5_PKlPlN2at6native12_GLOBAL__N_18offset_tEEE10hipError_tPvRmT1_PNSt15iterator_traitsISL_E10value_typeET2_T3_PNSM_ISR_E10value_typeET4_jRbjT5_SX_jjP12ihipStream_tbEUlT_E2_NS1_11comp_targetILNS1_3genE4ELNS1_11target_archE910ELNS1_3gpuE8ELNS1_3repE0EEENS1_30default_config_static_selectorELNS0_4arch9wavefront6targetE1EEEvSL_.uses_vcc, 0
	.set _ZN7rocprim17ROCPRIM_400000_NS6detail17trampoline_kernelINS0_14default_configENS1_36segmented_radix_sort_config_selectorI6__halflEEZNS1_25segmented_radix_sort_implIS3_Lb1EPKS5_PS5_PKlPlN2at6native12_GLOBAL__N_18offset_tEEE10hipError_tPvRmT1_PNSt15iterator_traitsISL_E10value_typeET2_T3_PNSM_ISR_E10value_typeET4_jRbjT5_SX_jjP12ihipStream_tbEUlT_E2_NS1_11comp_targetILNS1_3genE4ELNS1_11target_archE910ELNS1_3gpuE8ELNS1_3repE0EEENS1_30default_config_static_selectorELNS0_4arch9wavefront6targetE1EEEvSL_.uses_flat_scratch, 0
	.set _ZN7rocprim17ROCPRIM_400000_NS6detail17trampoline_kernelINS0_14default_configENS1_36segmented_radix_sort_config_selectorI6__halflEEZNS1_25segmented_radix_sort_implIS3_Lb1EPKS5_PS5_PKlPlN2at6native12_GLOBAL__N_18offset_tEEE10hipError_tPvRmT1_PNSt15iterator_traitsISL_E10value_typeET2_T3_PNSM_ISR_E10value_typeET4_jRbjT5_SX_jjP12ihipStream_tbEUlT_E2_NS1_11comp_targetILNS1_3genE4ELNS1_11target_archE910ELNS1_3gpuE8ELNS1_3repE0EEENS1_30default_config_static_selectorELNS0_4arch9wavefront6targetE1EEEvSL_.has_dyn_sized_stack, 0
	.set _ZN7rocprim17ROCPRIM_400000_NS6detail17trampoline_kernelINS0_14default_configENS1_36segmented_radix_sort_config_selectorI6__halflEEZNS1_25segmented_radix_sort_implIS3_Lb1EPKS5_PS5_PKlPlN2at6native12_GLOBAL__N_18offset_tEEE10hipError_tPvRmT1_PNSt15iterator_traitsISL_E10value_typeET2_T3_PNSM_ISR_E10value_typeET4_jRbjT5_SX_jjP12ihipStream_tbEUlT_E2_NS1_11comp_targetILNS1_3genE4ELNS1_11target_archE910ELNS1_3gpuE8ELNS1_3repE0EEENS1_30default_config_static_selectorELNS0_4arch9wavefront6targetE1EEEvSL_.has_recursion, 0
	.set _ZN7rocprim17ROCPRIM_400000_NS6detail17trampoline_kernelINS0_14default_configENS1_36segmented_radix_sort_config_selectorI6__halflEEZNS1_25segmented_radix_sort_implIS3_Lb1EPKS5_PS5_PKlPlN2at6native12_GLOBAL__N_18offset_tEEE10hipError_tPvRmT1_PNSt15iterator_traitsISL_E10value_typeET2_T3_PNSM_ISR_E10value_typeET4_jRbjT5_SX_jjP12ihipStream_tbEUlT_E2_NS1_11comp_targetILNS1_3genE4ELNS1_11target_archE910ELNS1_3gpuE8ELNS1_3repE0EEENS1_30default_config_static_selectorELNS0_4arch9wavefront6targetE1EEEvSL_.has_indirect_call, 0
	.section	.AMDGPU.csdata,"",@progbits
; Kernel info:
; codeLenInByte = 0
; TotalNumSgprs: 4
; NumVgprs: 0
; ScratchSize: 0
; MemoryBound: 0
; FloatMode: 240
; IeeeMode: 1
; LDSByteSize: 0 bytes/workgroup (compile time only)
; SGPRBlocks: 0
; VGPRBlocks: 0
; NumSGPRsForWavesPerEU: 4
; NumVGPRsForWavesPerEU: 1
; Occupancy: 10
; WaveLimiterHint : 0
; COMPUTE_PGM_RSRC2:SCRATCH_EN: 0
; COMPUTE_PGM_RSRC2:USER_SGPR: 6
; COMPUTE_PGM_RSRC2:TRAP_HANDLER: 0
; COMPUTE_PGM_RSRC2:TGID_X_EN: 1
; COMPUTE_PGM_RSRC2:TGID_Y_EN: 0
; COMPUTE_PGM_RSRC2:TGID_Z_EN: 0
; COMPUTE_PGM_RSRC2:TIDIG_COMP_CNT: 0
	.section	.text._ZN7rocprim17ROCPRIM_400000_NS6detail17trampoline_kernelINS0_14default_configENS1_36segmented_radix_sort_config_selectorI6__halflEEZNS1_25segmented_radix_sort_implIS3_Lb1EPKS5_PS5_PKlPlN2at6native12_GLOBAL__N_18offset_tEEE10hipError_tPvRmT1_PNSt15iterator_traitsISL_E10value_typeET2_T3_PNSM_ISR_E10value_typeET4_jRbjT5_SX_jjP12ihipStream_tbEUlT_E2_NS1_11comp_targetILNS1_3genE3ELNS1_11target_archE908ELNS1_3gpuE7ELNS1_3repE0EEENS1_30default_config_static_selectorELNS0_4arch9wavefront6targetE1EEEvSL_,"axG",@progbits,_ZN7rocprim17ROCPRIM_400000_NS6detail17trampoline_kernelINS0_14default_configENS1_36segmented_radix_sort_config_selectorI6__halflEEZNS1_25segmented_radix_sort_implIS3_Lb1EPKS5_PS5_PKlPlN2at6native12_GLOBAL__N_18offset_tEEE10hipError_tPvRmT1_PNSt15iterator_traitsISL_E10value_typeET2_T3_PNSM_ISR_E10value_typeET4_jRbjT5_SX_jjP12ihipStream_tbEUlT_E2_NS1_11comp_targetILNS1_3genE3ELNS1_11target_archE908ELNS1_3gpuE7ELNS1_3repE0EEENS1_30default_config_static_selectorELNS0_4arch9wavefront6targetE1EEEvSL_,comdat
	.globl	_ZN7rocprim17ROCPRIM_400000_NS6detail17trampoline_kernelINS0_14default_configENS1_36segmented_radix_sort_config_selectorI6__halflEEZNS1_25segmented_radix_sort_implIS3_Lb1EPKS5_PS5_PKlPlN2at6native12_GLOBAL__N_18offset_tEEE10hipError_tPvRmT1_PNSt15iterator_traitsISL_E10value_typeET2_T3_PNSM_ISR_E10value_typeET4_jRbjT5_SX_jjP12ihipStream_tbEUlT_E2_NS1_11comp_targetILNS1_3genE3ELNS1_11target_archE908ELNS1_3gpuE7ELNS1_3repE0EEENS1_30default_config_static_selectorELNS0_4arch9wavefront6targetE1EEEvSL_ ; -- Begin function _ZN7rocprim17ROCPRIM_400000_NS6detail17trampoline_kernelINS0_14default_configENS1_36segmented_radix_sort_config_selectorI6__halflEEZNS1_25segmented_radix_sort_implIS3_Lb1EPKS5_PS5_PKlPlN2at6native12_GLOBAL__N_18offset_tEEE10hipError_tPvRmT1_PNSt15iterator_traitsISL_E10value_typeET2_T3_PNSM_ISR_E10value_typeET4_jRbjT5_SX_jjP12ihipStream_tbEUlT_E2_NS1_11comp_targetILNS1_3genE3ELNS1_11target_archE908ELNS1_3gpuE7ELNS1_3repE0EEENS1_30default_config_static_selectorELNS0_4arch9wavefront6targetE1EEEvSL_
	.p2align	8
	.type	_ZN7rocprim17ROCPRIM_400000_NS6detail17trampoline_kernelINS0_14default_configENS1_36segmented_radix_sort_config_selectorI6__halflEEZNS1_25segmented_radix_sort_implIS3_Lb1EPKS5_PS5_PKlPlN2at6native12_GLOBAL__N_18offset_tEEE10hipError_tPvRmT1_PNSt15iterator_traitsISL_E10value_typeET2_T3_PNSM_ISR_E10value_typeET4_jRbjT5_SX_jjP12ihipStream_tbEUlT_E2_NS1_11comp_targetILNS1_3genE3ELNS1_11target_archE908ELNS1_3gpuE7ELNS1_3repE0EEENS1_30default_config_static_selectorELNS0_4arch9wavefront6targetE1EEEvSL_,@function
_ZN7rocprim17ROCPRIM_400000_NS6detail17trampoline_kernelINS0_14default_configENS1_36segmented_radix_sort_config_selectorI6__halflEEZNS1_25segmented_radix_sort_implIS3_Lb1EPKS5_PS5_PKlPlN2at6native12_GLOBAL__N_18offset_tEEE10hipError_tPvRmT1_PNSt15iterator_traitsISL_E10value_typeET2_T3_PNSM_ISR_E10value_typeET4_jRbjT5_SX_jjP12ihipStream_tbEUlT_E2_NS1_11comp_targetILNS1_3genE3ELNS1_11target_archE908ELNS1_3gpuE7ELNS1_3repE0EEENS1_30default_config_static_selectorELNS0_4arch9wavefront6targetE1EEEvSL_: ; @_ZN7rocprim17ROCPRIM_400000_NS6detail17trampoline_kernelINS0_14default_configENS1_36segmented_radix_sort_config_selectorI6__halflEEZNS1_25segmented_radix_sort_implIS3_Lb1EPKS5_PS5_PKlPlN2at6native12_GLOBAL__N_18offset_tEEE10hipError_tPvRmT1_PNSt15iterator_traitsISL_E10value_typeET2_T3_PNSM_ISR_E10value_typeET4_jRbjT5_SX_jjP12ihipStream_tbEUlT_E2_NS1_11comp_targetILNS1_3genE3ELNS1_11target_archE908ELNS1_3gpuE7ELNS1_3repE0EEENS1_30default_config_static_selectorELNS0_4arch9wavefront6targetE1EEEvSL_
; %bb.0:
	.section	.rodata,"a",@progbits
	.p2align	6, 0x0
	.amdhsa_kernel _ZN7rocprim17ROCPRIM_400000_NS6detail17trampoline_kernelINS0_14default_configENS1_36segmented_radix_sort_config_selectorI6__halflEEZNS1_25segmented_radix_sort_implIS3_Lb1EPKS5_PS5_PKlPlN2at6native12_GLOBAL__N_18offset_tEEE10hipError_tPvRmT1_PNSt15iterator_traitsISL_E10value_typeET2_T3_PNSM_ISR_E10value_typeET4_jRbjT5_SX_jjP12ihipStream_tbEUlT_E2_NS1_11comp_targetILNS1_3genE3ELNS1_11target_archE908ELNS1_3gpuE7ELNS1_3repE0EEENS1_30default_config_static_selectorELNS0_4arch9wavefront6targetE1EEEvSL_
		.amdhsa_group_segment_fixed_size 0
		.amdhsa_private_segment_fixed_size 0
		.amdhsa_kernarg_size 80
		.amdhsa_user_sgpr_count 6
		.amdhsa_user_sgpr_private_segment_buffer 1
		.amdhsa_user_sgpr_dispatch_ptr 0
		.amdhsa_user_sgpr_queue_ptr 0
		.amdhsa_user_sgpr_kernarg_segment_ptr 1
		.amdhsa_user_sgpr_dispatch_id 0
		.amdhsa_user_sgpr_flat_scratch_init 0
		.amdhsa_user_sgpr_private_segment_size 0
		.amdhsa_uses_dynamic_stack 0
		.amdhsa_system_sgpr_private_segment_wavefront_offset 0
		.amdhsa_system_sgpr_workgroup_id_x 1
		.amdhsa_system_sgpr_workgroup_id_y 0
		.amdhsa_system_sgpr_workgroup_id_z 0
		.amdhsa_system_sgpr_workgroup_info 0
		.amdhsa_system_vgpr_workitem_id 0
		.amdhsa_next_free_vgpr 1
		.amdhsa_next_free_sgpr 0
		.amdhsa_reserve_vcc 0
		.amdhsa_reserve_flat_scratch 0
		.amdhsa_float_round_mode_32 0
		.amdhsa_float_round_mode_16_64 0
		.amdhsa_float_denorm_mode_32 3
		.amdhsa_float_denorm_mode_16_64 3
		.amdhsa_dx10_clamp 1
		.amdhsa_ieee_mode 1
		.amdhsa_fp16_overflow 0
		.amdhsa_exception_fp_ieee_invalid_op 0
		.amdhsa_exception_fp_denorm_src 0
		.amdhsa_exception_fp_ieee_div_zero 0
		.amdhsa_exception_fp_ieee_overflow 0
		.amdhsa_exception_fp_ieee_underflow 0
		.amdhsa_exception_fp_ieee_inexact 0
		.amdhsa_exception_int_div_zero 0
	.end_amdhsa_kernel
	.section	.text._ZN7rocprim17ROCPRIM_400000_NS6detail17trampoline_kernelINS0_14default_configENS1_36segmented_radix_sort_config_selectorI6__halflEEZNS1_25segmented_radix_sort_implIS3_Lb1EPKS5_PS5_PKlPlN2at6native12_GLOBAL__N_18offset_tEEE10hipError_tPvRmT1_PNSt15iterator_traitsISL_E10value_typeET2_T3_PNSM_ISR_E10value_typeET4_jRbjT5_SX_jjP12ihipStream_tbEUlT_E2_NS1_11comp_targetILNS1_3genE3ELNS1_11target_archE908ELNS1_3gpuE7ELNS1_3repE0EEENS1_30default_config_static_selectorELNS0_4arch9wavefront6targetE1EEEvSL_,"axG",@progbits,_ZN7rocprim17ROCPRIM_400000_NS6detail17trampoline_kernelINS0_14default_configENS1_36segmented_radix_sort_config_selectorI6__halflEEZNS1_25segmented_radix_sort_implIS3_Lb1EPKS5_PS5_PKlPlN2at6native12_GLOBAL__N_18offset_tEEE10hipError_tPvRmT1_PNSt15iterator_traitsISL_E10value_typeET2_T3_PNSM_ISR_E10value_typeET4_jRbjT5_SX_jjP12ihipStream_tbEUlT_E2_NS1_11comp_targetILNS1_3genE3ELNS1_11target_archE908ELNS1_3gpuE7ELNS1_3repE0EEENS1_30default_config_static_selectorELNS0_4arch9wavefront6targetE1EEEvSL_,comdat
.Lfunc_end1772:
	.size	_ZN7rocprim17ROCPRIM_400000_NS6detail17trampoline_kernelINS0_14default_configENS1_36segmented_radix_sort_config_selectorI6__halflEEZNS1_25segmented_radix_sort_implIS3_Lb1EPKS5_PS5_PKlPlN2at6native12_GLOBAL__N_18offset_tEEE10hipError_tPvRmT1_PNSt15iterator_traitsISL_E10value_typeET2_T3_PNSM_ISR_E10value_typeET4_jRbjT5_SX_jjP12ihipStream_tbEUlT_E2_NS1_11comp_targetILNS1_3genE3ELNS1_11target_archE908ELNS1_3gpuE7ELNS1_3repE0EEENS1_30default_config_static_selectorELNS0_4arch9wavefront6targetE1EEEvSL_, .Lfunc_end1772-_ZN7rocprim17ROCPRIM_400000_NS6detail17trampoline_kernelINS0_14default_configENS1_36segmented_radix_sort_config_selectorI6__halflEEZNS1_25segmented_radix_sort_implIS3_Lb1EPKS5_PS5_PKlPlN2at6native12_GLOBAL__N_18offset_tEEE10hipError_tPvRmT1_PNSt15iterator_traitsISL_E10value_typeET2_T3_PNSM_ISR_E10value_typeET4_jRbjT5_SX_jjP12ihipStream_tbEUlT_E2_NS1_11comp_targetILNS1_3genE3ELNS1_11target_archE908ELNS1_3gpuE7ELNS1_3repE0EEENS1_30default_config_static_selectorELNS0_4arch9wavefront6targetE1EEEvSL_
                                        ; -- End function
	.set _ZN7rocprim17ROCPRIM_400000_NS6detail17trampoline_kernelINS0_14default_configENS1_36segmented_radix_sort_config_selectorI6__halflEEZNS1_25segmented_radix_sort_implIS3_Lb1EPKS5_PS5_PKlPlN2at6native12_GLOBAL__N_18offset_tEEE10hipError_tPvRmT1_PNSt15iterator_traitsISL_E10value_typeET2_T3_PNSM_ISR_E10value_typeET4_jRbjT5_SX_jjP12ihipStream_tbEUlT_E2_NS1_11comp_targetILNS1_3genE3ELNS1_11target_archE908ELNS1_3gpuE7ELNS1_3repE0EEENS1_30default_config_static_selectorELNS0_4arch9wavefront6targetE1EEEvSL_.num_vgpr, 0
	.set _ZN7rocprim17ROCPRIM_400000_NS6detail17trampoline_kernelINS0_14default_configENS1_36segmented_radix_sort_config_selectorI6__halflEEZNS1_25segmented_radix_sort_implIS3_Lb1EPKS5_PS5_PKlPlN2at6native12_GLOBAL__N_18offset_tEEE10hipError_tPvRmT1_PNSt15iterator_traitsISL_E10value_typeET2_T3_PNSM_ISR_E10value_typeET4_jRbjT5_SX_jjP12ihipStream_tbEUlT_E2_NS1_11comp_targetILNS1_3genE3ELNS1_11target_archE908ELNS1_3gpuE7ELNS1_3repE0EEENS1_30default_config_static_selectorELNS0_4arch9wavefront6targetE1EEEvSL_.num_agpr, 0
	.set _ZN7rocprim17ROCPRIM_400000_NS6detail17trampoline_kernelINS0_14default_configENS1_36segmented_radix_sort_config_selectorI6__halflEEZNS1_25segmented_radix_sort_implIS3_Lb1EPKS5_PS5_PKlPlN2at6native12_GLOBAL__N_18offset_tEEE10hipError_tPvRmT1_PNSt15iterator_traitsISL_E10value_typeET2_T3_PNSM_ISR_E10value_typeET4_jRbjT5_SX_jjP12ihipStream_tbEUlT_E2_NS1_11comp_targetILNS1_3genE3ELNS1_11target_archE908ELNS1_3gpuE7ELNS1_3repE0EEENS1_30default_config_static_selectorELNS0_4arch9wavefront6targetE1EEEvSL_.numbered_sgpr, 0
	.set _ZN7rocprim17ROCPRIM_400000_NS6detail17trampoline_kernelINS0_14default_configENS1_36segmented_radix_sort_config_selectorI6__halflEEZNS1_25segmented_radix_sort_implIS3_Lb1EPKS5_PS5_PKlPlN2at6native12_GLOBAL__N_18offset_tEEE10hipError_tPvRmT1_PNSt15iterator_traitsISL_E10value_typeET2_T3_PNSM_ISR_E10value_typeET4_jRbjT5_SX_jjP12ihipStream_tbEUlT_E2_NS1_11comp_targetILNS1_3genE3ELNS1_11target_archE908ELNS1_3gpuE7ELNS1_3repE0EEENS1_30default_config_static_selectorELNS0_4arch9wavefront6targetE1EEEvSL_.num_named_barrier, 0
	.set _ZN7rocprim17ROCPRIM_400000_NS6detail17trampoline_kernelINS0_14default_configENS1_36segmented_radix_sort_config_selectorI6__halflEEZNS1_25segmented_radix_sort_implIS3_Lb1EPKS5_PS5_PKlPlN2at6native12_GLOBAL__N_18offset_tEEE10hipError_tPvRmT1_PNSt15iterator_traitsISL_E10value_typeET2_T3_PNSM_ISR_E10value_typeET4_jRbjT5_SX_jjP12ihipStream_tbEUlT_E2_NS1_11comp_targetILNS1_3genE3ELNS1_11target_archE908ELNS1_3gpuE7ELNS1_3repE0EEENS1_30default_config_static_selectorELNS0_4arch9wavefront6targetE1EEEvSL_.private_seg_size, 0
	.set _ZN7rocprim17ROCPRIM_400000_NS6detail17trampoline_kernelINS0_14default_configENS1_36segmented_radix_sort_config_selectorI6__halflEEZNS1_25segmented_radix_sort_implIS3_Lb1EPKS5_PS5_PKlPlN2at6native12_GLOBAL__N_18offset_tEEE10hipError_tPvRmT1_PNSt15iterator_traitsISL_E10value_typeET2_T3_PNSM_ISR_E10value_typeET4_jRbjT5_SX_jjP12ihipStream_tbEUlT_E2_NS1_11comp_targetILNS1_3genE3ELNS1_11target_archE908ELNS1_3gpuE7ELNS1_3repE0EEENS1_30default_config_static_selectorELNS0_4arch9wavefront6targetE1EEEvSL_.uses_vcc, 0
	.set _ZN7rocprim17ROCPRIM_400000_NS6detail17trampoline_kernelINS0_14default_configENS1_36segmented_radix_sort_config_selectorI6__halflEEZNS1_25segmented_radix_sort_implIS3_Lb1EPKS5_PS5_PKlPlN2at6native12_GLOBAL__N_18offset_tEEE10hipError_tPvRmT1_PNSt15iterator_traitsISL_E10value_typeET2_T3_PNSM_ISR_E10value_typeET4_jRbjT5_SX_jjP12ihipStream_tbEUlT_E2_NS1_11comp_targetILNS1_3genE3ELNS1_11target_archE908ELNS1_3gpuE7ELNS1_3repE0EEENS1_30default_config_static_selectorELNS0_4arch9wavefront6targetE1EEEvSL_.uses_flat_scratch, 0
	.set _ZN7rocprim17ROCPRIM_400000_NS6detail17trampoline_kernelINS0_14default_configENS1_36segmented_radix_sort_config_selectorI6__halflEEZNS1_25segmented_radix_sort_implIS3_Lb1EPKS5_PS5_PKlPlN2at6native12_GLOBAL__N_18offset_tEEE10hipError_tPvRmT1_PNSt15iterator_traitsISL_E10value_typeET2_T3_PNSM_ISR_E10value_typeET4_jRbjT5_SX_jjP12ihipStream_tbEUlT_E2_NS1_11comp_targetILNS1_3genE3ELNS1_11target_archE908ELNS1_3gpuE7ELNS1_3repE0EEENS1_30default_config_static_selectorELNS0_4arch9wavefront6targetE1EEEvSL_.has_dyn_sized_stack, 0
	.set _ZN7rocprim17ROCPRIM_400000_NS6detail17trampoline_kernelINS0_14default_configENS1_36segmented_radix_sort_config_selectorI6__halflEEZNS1_25segmented_radix_sort_implIS3_Lb1EPKS5_PS5_PKlPlN2at6native12_GLOBAL__N_18offset_tEEE10hipError_tPvRmT1_PNSt15iterator_traitsISL_E10value_typeET2_T3_PNSM_ISR_E10value_typeET4_jRbjT5_SX_jjP12ihipStream_tbEUlT_E2_NS1_11comp_targetILNS1_3genE3ELNS1_11target_archE908ELNS1_3gpuE7ELNS1_3repE0EEENS1_30default_config_static_selectorELNS0_4arch9wavefront6targetE1EEEvSL_.has_recursion, 0
	.set _ZN7rocprim17ROCPRIM_400000_NS6detail17trampoline_kernelINS0_14default_configENS1_36segmented_radix_sort_config_selectorI6__halflEEZNS1_25segmented_radix_sort_implIS3_Lb1EPKS5_PS5_PKlPlN2at6native12_GLOBAL__N_18offset_tEEE10hipError_tPvRmT1_PNSt15iterator_traitsISL_E10value_typeET2_T3_PNSM_ISR_E10value_typeET4_jRbjT5_SX_jjP12ihipStream_tbEUlT_E2_NS1_11comp_targetILNS1_3genE3ELNS1_11target_archE908ELNS1_3gpuE7ELNS1_3repE0EEENS1_30default_config_static_selectorELNS0_4arch9wavefront6targetE1EEEvSL_.has_indirect_call, 0
	.section	.AMDGPU.csdata,"",@progbits
; Kernel info:
; codeLenInByte = 0
; TotalNumSgprs: 4
; NumVgprs: 0
; ScratchSize: 0
; MemoryBound: 0
; FloatMode: 240
; IeeeMode: 1
; LDSByteSize: 0 bytes/workgroup (compile time only)
; SGPRBlocks: 0
; VGPRBlocks: 0
; NumSGPRsForWavesPerEU: 4
; NumVGPRsForWavesPerEU: 1
; Occupancy: 10
; WaveLimiterHint : 0
; COMPUTE_PGM_RSRC2:SCRATCH_EN: 0
; COMPUTE_PGM_RSRC2:USER_SGPR: 6
; COMPUTE_PGM_RSRC2:TRAP_HANDLER: 0
; COMPUTE_PGM_RSRC2:TGID_X_EN: 1
; COMPUTE_PGM_RSRC2:TGID_Y_EN: 0
; COMPUTE_PGM_RSRC2:TGID_Z_EN: 0
; COMPUTE_PGM_RSRC2:TIDIG_COMP_CNT: 0
	.section	.text._ZN7rocprim17ROCPRIM_400000_NS6detail17trampoline_kernelINS0_14default_configENS1_36segmented_radix_sort_config_selectorI6__halflEEZNS1_25segmented_radix_sort_implIS3_Lb1EPKS5_PS5_PKlPlN2at6native12_GLOBAL__N_18offset_tEEE10hipError_tPvRmT1_PNSt15iterator_traitsISL_E10value_typeET2_T3_PNSM_ISR_E10value_typeET4_jRbjT5_SX_jjP12ihipStream_tbEUlT_E2_NS1_11comp_targetILNS1_3genE2ELNS1_11target_archE906ELNS1_3gpuE6ELNS1_3repE0EEENS1_30default_config_static_selectorELNS0_4arch9wavefront6targetE1EEEvSL_,"axG",@progbits,_ZN7rocprim17ROCPRIM_400000_NS6detail17trampoline_kernelINS0_14default_configENS1_36segmented_radix_sort_config_selectorI6__halflEEZNS1_25segmented_radix_sort_implIS3_Lb1EPKS5_PS5_PKlPlN2at6native12_GLOBAL__N_18offset_tEEE10hipError_tPvRmT1_PNSt15iterator_traitsISL_E10value_typeET2_T3_PNSM_ISR_E10value_typeET4_jRbjT5_SX_jjP12ihipStream_tbEUlT_E2_NS1_11comp_targetILNS1_3genE2ELNS1_11target_archE906ELNS1_3gpuE6ELNS1_3repE0EEENS1_30default_config_static_selectorELNS0_4arch9wavefront6targetE1EEEvSL_,comdat
	.globl	_ZN7rocprim17ROCPRIM_400000_NS6detail17trampoline_kernelINS0_14default_configENS1_36segmented_radix_sort_config_selectorI6__halflEEZNS1_25segmented_radix_sort_implIS3_Lb1EPKS5_PS5_PKlPlN2at6native12_GLOBAL__N_18offset_tEEE10hipError_tPvRmT1_PNSt15iterator_traitsISL_E10value_typeET2_T3_PNSM_ISR_E10value_typeET4_jRbjT5_SX_jjP12ihipStream_tbEUlT_E2_NS1_11comp_targetILNS1_3genE2ELNS1_11target_archE906ELNS1_3gpuE6ELNS1_3repE0EEENS1_30default_config_static_selectorELNS0_4arch9wavefront6targetE1EEEvSL_ ; -- Begin function _ZN7rocprim17ROCPRIM_400000_NS6detail17trampoline_kernelINS0_14default_configENS1_36segmented_radix_sort_config_selectorI6__halflEEZNS1_25segmented_radix_sort_implIS3_Lb1EPKS5_PS5_PKlPlN2at6native12_GLOBAL__N_18offset_tEEE10hipError_tPvRmT1_PNSt15iterator_traitsISL_E10value_typeET2_T3_PNSM_ISR_E10value_typeET4_jRbjT5_SX_jjP12ihipStream_tbEUlT_E2_NS1_11comp_targetILNS1_3genE2ELNS1_11target_archE906ELNS1_3gpuE6ELNS1_3repE0EEENS1_30default_config_static_selectorELNS0_4arch9wavefront6targetE1EEEvSL_
	.p2align	8
	.type	_ZN7rocprim17ROCPRIM_400000_NS6detail17trampoline_kernelINS0_14default_configENS1_36segmented_radix_sort_config_selectorI6__halflEEZNS1_25segmented_radix_sort_implIS3_Lb1EPKS5_PS5_PKlPlN2at6native12_GLOBAL__N_18offset_tEEE10hipError_tPvRmT1_PNSt15iterator_traitsISL_E10value_typeET2_T3_PNSM_ISR_E10value_typeET4_jRbjT5_SX_jjP12ihipStream_tbEUlT_E2_NS1_11comp_targetILNS1_3genE2ELNS1_11target_archE906ELNS1_3gpuE6ELNS1_3repE0EEENS1_30default_config_static_selectorELNS0_4arch9wavefront6targetE1EEEvSL_,@function
_ZN7rocprim17ROCPRIM_400000_NS6detail17trampoline_kernelINS0_14default_configENS1_36segmented_radix_sort_config_selectorI6__halflEEZNS1_25segmented_radix_sort_implIS3_Lb1EPKS5_PS5_PKlPlN2at6native12_GLOBAL__N_18offset_tEEE10hipError_tPvRmT1_PNSt15iterator_traitsISL_E10value_typeET2_T3_PNSM_ISR_E10value_typeET4_jRbjT5_SX_jjP12ihipStream_tbEUlT_E2_NS1_11comp_targetILNS1_3genE2ELNS1_11target_archE906ELNS1_3gpuE6ELNS1_3repE0EEENS1_30default_config_static_selectorELNS0_4arch9wavefront6targetE1EEEvSL_: ; @_ZN7rocprim17ROCPRIM_400000_NS6detail17trampoline_kernelINS0_14default_configENS1_36segmented_radix_sort_config_selectorI6__halflEEZNS1_25segmented_radix_sort_implIS3_Lb1EPKS5_PS5_PKlPlN2at6native12_GLOBAL__N_18offset_tEEE10hipError_tPvRmT1_PNSt15iterator_traitsISL_E10value_typeET2_T3_PNSM_ISR_E10value_typeET4_jRbjT5_SX_jjP12ihipStream_tbEUlT_E2_NS1_11comp_targetILNS1_3genE2ELNS1_11target_archE906ELNS1_3gpuE6ELNS1_3repE0EEENS1_30default_config_static_selectorELNS0_4arch9wavefront6targetE1EEEvSL_
; %bb.0:
	s_add_u32 s0, s0, s8
	s_load_dwordx4 s[8:11], s[4:5], 0x34
	s_addc_u32 s1, s1, 0
	s_mov_b32 s32, 0
	s_waitcnt lgkmcnt(0)
	s_add_i32 s51, s9, s6
	s_add_i32 s80, s11, s6
	s_mul_i32 s51, s51, s8
	s_mul_i32 s80, s80, s10
	s_cmp_le_u32 s80, s51
	s_cbranch_scc1 .LBB1773_675
; %bb.1:
	s_mov_b32 s50, s6
	s_load_dword s6, s[4:5], 0x30
	s_load_dwordx4 s[72:75], s[4:5], 0x20
	s_load_dwordx4 s[76:79], s[4:5], 0x44
	s_load_dwordx8 s[64:71], s[4:5], 0x0
	s_mov_b32 s33, s7
	s_waitcnt lgkmcnt(0)
	s_bitcmp1_b32 s6, 0
	s_cselect_b64 s[54:55], -1, 0
	s_sub_i32 s79, s80, s51
	s_cmpk_lt_u32 s79, 0x801
	s_mov_b64 s[6:7], -1
	s_cbranch_scc0 .LBB1773_12
; %bb.2:
	s_cmp_lt_u32 s79, 33
	s_cbranch_scc0 .LBB1773_6
; %bb.3:
	s_load_dword s6, s[4:5], 0x5c
	s_waitcnt lgkmcnt(0)
	s_lshr_b32 s7, s6, 16
	s_and_b32 s6, s6, 0xffff
	v_mad_u32_u24 v3, v2, s7, v1
	v_mad_u64_u32 v[3:4], s[6:7], v3, s6, v[0:1]
	v_cmp_gt_u32_e32 vcc, 8, v3
	s_and_saveexec_b64 s[34:35], vcc
	s_cbranch_execz .LBB1773_5
; %bb.4:
	s_bitcmp1_b32 s76, 0
	s_cselect_b64 s[8:9], -1, 0
	s_xor_b64 s[8:9], s[54:55], s[8:9]
	s_xor_b64 s[8:9], s[8:9], -1
	v_cndmask_b32_e64 v12, 0, 1, s[8:9]
	s_add_u32 s8, s4, 0x50
	s_mov_b64 s[6:7], src_shared_base
	s_addc_u32 s9, s5, 0
	v_lshlrev_b32_e32 v3, 20, v2
	v_lshlrev_b32_e32 v4, 10, v1
	s_getpc_b64 s[10:11]
	s_add_u32 s10, s10, _ZN7rocprim17ROCPRIM_400000_NS6detail26segmented_warp_sort_helperINS1_20WarpSortHelperConfigILj8ELj4ELj256EEE6__halflLi256ELb1EvE4sortIPKS5_PS5_PKlPlEEvT_SA_T0_T1_SD_T2_bjjjjRNS6_12storage_typeE@rel32@lo+4
	s_addc_u32 s11, s11, _ZN7rocprim17ROCPRIM_400000_NS6detail26segmented_warp_sort_helperINS1_20WarpSortHelperConfigILj8ELj4ELj256EEE6__halflLi256ELb1EvE4sortIPKS5_PS5_PKlPlEEvT_SA_T0_T1_SD_T2_bjjjjRNS6_12storage_typeE@rel32@hi+12
	v_or3_b32 v31, v0, v4, v3
	s_mov_b32 s12, s50
	s_mov_b32 s13, s33
	v_mov_b32_e32 v40, v0
	v_mov_b32_e32 v0, s64
	;; [unrolled: 1-line block ×19, first 2 shown]
	s_mov_b64 s[36:37], s[4:5]
	s_swappc_b64 s[30:31], s[10:11]
	v_mov_b32_e32 v1, v41
	v_mov_b32_e32 v2, v42
	;; [unrolled: 1-line block ×3, first 2 shown]
	s_mov_b64 s[4:5], s[36:37]
.LBB1773_5:
	s_or_b64 exec, exec, s[34:35]
	s_mov_b64 s[6:7], 0
.LBB1773_6:
	s_andn2_b64 vcc, exec, s[6:7]
	s_cbranch_vccnz .LBB1773_11
; %bb.7:
	s_and_b32 s6, s76, 1
	v_cndmask_b32_e64 v3, 0, 1, s[54:55]
	v_cmp_ne_u32_e32 vcc, s6, v3
	s_mov_b64 s[6:7], -1
	v_lshlrev_b32_e32 v41, 20, v2
	v_lshlrev_b32_e32 v42, 10, v1
	s_cbranch_vccnz .LBB1773_9
; %bb.8:
	s_add_u32 s8, s4, 0x50
	s_mov_b64 s[6:7], src_shared_base
	s_addc_u32 s9, s5, 0
	s_getpc_b64 s[10:11]
	s_add_u32 s10, s10, _ZN7rocprim17ROCPRIM_400000_NS6detail40segmented_radix_sort_single_block_helperI6__halflLj256ELj8ELb1EE4sortIPKS3_PS3_PKlPlEEbT_T0_T1_T2_jjjjRNS4_12storage_typeE@rel32@lo+4
	s_addc_u32 s11, s11, _ZN7rocprim17ROCPRIM_400000_NS6detail40segmented_radix_sort_single_block_helperI6__halflLj256ELj8ELb1EE4sortIPKS3_PS3_PKlPlEEbT_T0_T1_T2_jjjjRNS4_12storage_typeE@rel32@hi+12
	v_or3_b32 v31, v0, v42, v41
	s_mov_b32 s12, s50
	s_mov_b32 s13, s33
	v_mov_b32_e32 v40, v0
	v_mov_b32_e32 v0, s64
	;; [unrolled: 1-line block ×17, first 2 shown]
	s_mov_b64 s[34:35], s[4:5]
	s_swappc_b64 s[30:31], s[10:11]
	v_mov_b32_e32 v1, v43
	v_mov_b32_e32 v2, v44
	;; [unrolled: 1-line block ×3, first 2 shown]
	s_mov_b64 s[4:5], s[34:35]
	s_mov_b64 s[6:7], 0
.LBB1773_9:
	s_andn2_b64 vcc, exec, s[6:7]
	s_cbranch_vccnz .LBB1773_11
; %bb.10:
	s_add_u32 s8, s4, 0x50
	s_mov_b64 s[6:7], src_shared_base
	s_addc_u32 s9, s5, 0
	s_getpc_b64 s[10:11]
	s_add_u32 s10, s10, _ZN7rocprim17ROCPRIM_400000_NS6detail40segmented_radix_sort_single_block_helperI6__halflLj256ELj8ELb1EE4sortIPKS3_PS3_PKlPlEEbT_T0_T1_T2_jjjjRNS4_12storage_typeE@rel32@lo+4
	s_addc_u32 s11, s11, _ZN7rocprim17ROCPRIM_400000_NS6detail40segmented_radix_sort_single_block_helperI6__halflLj256ELj8ELb1EE4sortIPKS3_PS3_PKlPlEEbT_T0_T1_T2_jjjjRNS4_12storage_typeE@rel32@hi+12
	v_or3_b32 v31, v0, v42, v41
	s_mov_b32 s12, s50
	s_mov_b32 s13, s33
	v_mov_b32_e32 v40, v0
	v_mov_b32_e32 v0, s64
	;; [unrolled: 1-line block ×17, first 2 shown]
	s_mov_b64 s[34:35], s[4:5]
	s_swappc_b64 s[30:31], s[10:11]
	v_mov_b32_e32 v1, v41
	v_mov_b32_e32 v2, v42
	;; [unrolled: 1-line block ×3, first 2 shown]
	s_mov_b64 s[4:5], s[34:35]
.LBB1773_11:
	s_mov_b64 s[6:7], 0
.LBB1773_12:
	s_andn2_b64 vcc, exec, s[6:7]
	s_cbranch_vccnz .LBB1773_675
; %bb.13:
	s_cmp_ge_u32 s77, s78
	s_cbranch_scc1 .LBB1773_675
; %bb.14:
	v_and_b32_e32 v4, 3, v0
	s_movk_i32 s6, 0x100
	v_lshlrev_b32_e32 v35, 2, v4
	v_or_b32_e32 v4, 63, v0
	v_lshlrev_b32_e32 v25, 2, v0
	v_lshlrev_b32_e32 v5, 1, v0
	s_mov_b64 s[12:13], s[4:5]
	v_cmp_gt_u32_e64 s[4:5], s6, v0
	v_cmp_eq_u32_e64 s[6:7], v0, v4
	v_lshrrev_b32_e32 v4, 4, v0
	v_mov_b32_e32 v6, s69
	v_add_co_u32_e32 v29, vcc, s68, v5
	v_mad_u32_u24 v36, v0, 12, v25
	v_and_b32_e32 v37, 12, v4
	v_lshlrev_b32_e32 v4, 3, v0
	v_addc_co_u32_e32 v30, vcc, 0, v6, vcc
	v_and_b32_e32 v4, 0x600, v4
	v_add_u32_e32 v41, v36, v25
	v_lshlrev_b32_e32 v6, 4, v0
	v_sub_u32_e32 v42, v41, v6
	v_lshlrev_b32_e32 v6, 3, v4
	v_mov_b32_e32 v7, s75
	v_add_co_u32_e32 v43, vcc, s74, v6
	v_addc_co_u32_e32 v44, vcc, 0, v7, vcc
	v_lshlrev_b32_e32 v7, 1, v4
	v_mov_b32_e32 v8, s69
	v_add_co_u32_e32 v45, vcc, s68, v7
	v_addc_co_u32_e32 v46, vcc, 0, v8, vcc
	v_mov_b32_e32 v8, s67
	v_add_co_u32_e32 v49, vcc, s66, v5
	v_addc_co_u32_e32 v50, vcc, 0, v8, vcc
	;; [unrolled: 3-line block ×5, first 2 shown]
	v_sub_u32_e32 v47, v42, v5
	v_mov_b32_e32 v5, s71
	v_add_co_u32_e32 v57, vcc, s70, v6
	v_addc_co_u32_e32 v58, vcc, 0, v5, vcc
	v_mov_b32_e32 v5, s65
	v_add_co_u32_e32 v59, vcc, s64, v7
	v_addc_co_u32_e32 v60, vcc, 0, v5, vcc
	v_mbcnt_lo_u32_b32 v5, -1, 0
	v_mbcnt_hi_u32_b32 v66, -1, v5
	v_and_b32_e32 v5, 63, v66
	s_add_u32 s56, s12, 0x50
	s_movk_i32 s14, 0xff
	v_or_b32_e32 v73, v5, v4
	v_mov_b32_e32 v3, 0
	v_or_b32_e32 v26, 0x100, v0
	v_or_b32_e32 v27, 0x200, v0
	;; [unrolled: 1-line block ×8, first 2 shown]
	v_cmp_gt_u32_e64 s[8:9], 4, v0
	v_or_b32_e32 v39, 0x4400, v25
	v_cmp_lt_u32_e64 s[10:11], 63, v0
	v_add_u32_e32 v40, 0x43fc, v37
	s_addc_u32 s57, s13, 0
	s_mov_b32 s59, 0
	v_cmp_eq_u32_e64 s[12:13], 0, v0
	v_cmp_ne_u32_e64 s[14:15], s14, v0
	v_mul_u32_u24_e32 v48, 6, v0
	s_movk_i32 s62, 0x8000
	v_mov_b32_e32 v61, 1
	v_add_u32_e32 v62, 0x410, v41
	v_add_u32_e32 v63, 0x418, v41
	v_lshlrev_b32_e32 v64, 1, v0
	v_mov_b32_e32 v65, 0x7fff
	v_and_b32_e32 v67, 15, v66
	v_bfe_i32 v68, v66, 4, 1
	v_and_b32_e32 v69, 16, v66
	v_and_b32_e32 v70, 3, v66
	;; [unrolled: 1-line block ×3, first 2 shown]
	v_lshlrev_b32_e32 v72, 3, v5
	v_or_b32_e32 v74, 64, v73
	v_or_b32_e32 v75, 0x80, v73
	;; [unrolled: 1-line block ×7, first 2 shown]
	v_lshlrev_b32_e32 v81, 1, v5
	s_mov_b32 s63, s77
	s_branch .LBB1773_17
.LBB1773_15:                            ;   in Loop: Header=BB1773_17 Depth=1
	s_waitcnt lgkmcnt(0)
	s_barrier
.LBB1773_16:                            ;   in Loop: Header=BB1773_17 Depth=1
	s_add_i32 s63, s63, 8
	s_cmp_ge_u32 s63, s78
	s_cbranch_scc1 .LBB1773_675
.LBB1773_17:                            ; =>This Loop Header: Depth=1
                                        ;     Child Loop BB1773_21 Depth 2
                                        ;     Child Loop BB1773_69 Depth 2
	;; [unrolled: 1-line block ×8, first 2 shown]
	s_sub_i32 s16, s78, s63
	s_min_u32 s16, s16, 8
	s_lshl_b32 s16, -1, s16
	s_xor_b64 s[54:55], s[54:55], -1
	s_not_b32 s70, s16
	s_cmp_lg_u32 s63, s77
	s_mov_b64 s[16:17], -1
	ds_write2st64_b32 v25, v3, v3 offset1:4
	ds_write2st64_b32 v25, v3, v3 offset0:8 offset1:12
	s_waitcnt lgkmcnt(0)
	s_cbranch_scc0 .LBB1773_347
; %bb.18:                               ;   in Loop: Header=BB1773_17 Depth=1
	s_and_b64 vcc, exec, s[54:55]
	s_cbranch_vccz .LBB1773_182
; %bb.19:                               ;   in Loop: Header=BB1773_17 Depth=1
	s_mov_b32 s20, s79
	s_mov_b32 s58, s51
	s_barrier
                                        ; implicit-def: $vgpr4
                                        ; implicit-def: $vgpr5
                                        ; implicit-def: $vgpr6
                                        ; implicit-def: $vgpr7
                                        ; implicit-def: $vgpr8
                                        ; implicit-def: $vgpr9
                                        ; implicit-def: $vgpr10
                                        ; implicit-def: $vgpr11
	s_branch .LBB1773_21
.LBB1773_20:                            ;   in Loop: Header=BB1773_21 Depth=2
	s_or_b64 exec, exec, s[16:17]
	s_addk_i32 s20, 0xf800
	s_cmp_ge_u32 s21, s80
	s_mov_b32 s58, s21
	s_cbranch_scc1 .LBB1773_57
.LBB1773_21:                            ;   Parent Loop BB1773_17 Depth=1
                                        ; =>  This Inner Loop Header: Depth=2
	s_add_i32 s21, s58, 0x800
	s_cmp_gt_u32 s21, s80
	s_mov_b64 s[16:17], -1
                                        ; implicit-def: $vgpr12
                                        ; implicit-def: $vgpr13
                                        ; implicit-def: $vgpr14
                                        ; implicit-def: $vgpr15
                                        ; implicit-def: $vgpr16
                                        ; implicit-def: $vgpr17
                                        ; implicit-def: $vgpr18
                                        ; implicit-def: $vgpr19
	s_cbranch_scc1 .LBB1773_23
; %bb.22:                               ;   in Loop: Header=BB1773_21 Depth=2
	s_lshl_b64 s[16:17], s[58:59], 1
	v_mov_b32_e32 v12, s17
	v_add_co_u32_e32 v20, vcc, s16, v29
	v_addc_co_u32_e32 v21, vcc, v30, v12, vcc
	global_load_ushort v12, v[20:21], off
	global_load_ushort v13, v[20:21], off offset:512
	global_load_ushort v14, v[20:21], off offset:1024
	;; [unrolled: 1-line block ×7, first 2 shown]
	s_mov_b64 s[16:17], 0
.LBB1773_23:                            ;   in Loop: Header=BB1773_21 Depth=2
	s_andn2_b64 vcc, exec, s[16:17]
	s_movk_i32 s18, 0x800
	s_cbranch_vccnz .LBB1773_34
; %bb.24:                               ;   in Loop: Header=BB1773_21 Depth=2
	s_lshl_b64 s[16:17], s[58:59], 1
	s_add_u32 s16, s68, s16
	s_addc_u32 s17, s69, s17
	v_cmp_gt_u32_e32 vcc, s20, v0
	s_and_saveexec_b64 s[18:19], vcc
	s_cbranch_execnz .LBB1773_50
; %bb.25:                               ;   in Loop: Header=BB1773_21 Depth=2
	s_or_b64 exec, exec, s[18:19]
	v_cmp_gt_u32_e32 vcc, s20, v26
	s_and_saveexec_b64 s[18:19], vcc
	s_cbranch_execnz .LBB1773_51
.LBB1773_26:                            ;   in Loop: Header=BB1773_21 Depth=2
	s_or_b64 exec, exec, s[18:19]
	v_cmp_gt_u32_e32 vcc, s20, v27
	s_and_saveexec_b64 s[18:19], vcc
	s_cbranch_execnz .LBB1773_52
.LBB1773_27:                            ;   in Loop: Header=BB1773_21 Depth=2
	s_or_b64 exec, exec, s[18:19]
	v_cmp_gt_u32_e32 vcc, s20, v28
	s_and_saveexec_b64 s[18:19], vcc
	s_cbranch_execnz .LBB1773_53
.LBB1773_28:                            ;   in Loop: Header=BB1773_21 Depth=2
	s_or_b64 exec, exec, s[18:19]
	v_cmp_gt_u32_e32 vcc, s20, v31
	s_and_saveexec_b64 s[18:19], vcc
	s_cbranch_execnz .LBB1773_54
.LBB1773_29:                            ;   in Loop: Header=BB1773_21 Depth=2
	s_or_b64 exec, exec, s[18:19]
	v_cmp_gt_u32_e32 vcc, s20, v32
	s_and_saveexec_b64 s[18:19], vcc
	s_cbranch_execnz .LBB1773_55
.LBB1773_30:                            ;   in Loop: Header=BB1773_21 Depth=2
	s_or_b64 exec, exec, s[18:19]
	v_cmp_gt_u32_e32 vcc, s20, v33
	s_and_saveexec_b64 s[18:19], vcc
	s_cbranch_execnz .LBB1773_56
.LBB1773_31:                            ;   in Loop: Header=BB1773_21 Depth=2
	s_or_b64 exec, exec, s[18:19]
	v_cmp_gt_u32_e32 vcc, s20, v34
	s_and_saveexec_b64 s[18:19], vcc
	s_cbranch_execz .LBB1773_33
.LBB1773_32:                            ;   in Loop: Header=BB1773_21 Depth=2
	global_load_ushort v4, v64, s[16:17] offset:3584
.LBB1773_33:                            ;   in Loop: Header=BB1773_21 Depth=2
	s_or_b64 exec, exec, s[18:19]
	s_mov_b32 s18, s20
	s_waitcnt vmcnt(0)
	v_mov_b32_e32 v12, v11
	v_mov_b32_e32 v13, v10
	;; [unrolled: 1-line block ×8, first 2 shown]
.LBB1773_34:                            ;   in Loop: Header=BB1773_21 Depth=2
	s_waitcnt vmcnt(0)
	v_mov_b32_e32 v4, v19
	v_mov_b32_e32 v5, v18
	;; [unrolled: 1-line block ×8, first 2 shown]
	v_cmp_gt_u32_e32 vcc, s18, v0
	s_and_saveexec_b64 s[16:17], vcc
	s_cbranch_execnz .LBB1773_42
; %bb.35:                               ;   in Loop: Header=BB1773_21 Depth=2
	s_or_b64 exec, exec, s[16:17]
	v_cmp_gt_u32_e32 vcc, s18, v26
	s_and_saveexec_b64 s[16:17], vcc
	s_cbranch_execnz .LBB1773_43
.LBB1773_36:                            ;   in Loop: Header=BB1773_21 Depth=2
	s_or_b64 exec, exec, s[16:17]
	v_cmp_gt_u32_e32 vcc, s18, v27
	s_and_saveexec_b64 s[16:17], vcc
	s_cbranch_execnz .LBB1773_44
.LBB1773_37:                            ;   in Loop: Header=BB1773_21 Depth=2
	s_or_b64 exec, exec, s[16:17]
	v_cmp_gt_u32_e32 vcc, s18, v28
	s_and_saveexec_b64 s[16:17], vcc
	s_cbranch_execnz .LBB1773_45
.LBB1773_38:                            ;   in Loop: Header=BB1773_21 Depth=2
	s_or_b64 exec, exec, s[16:17]
	v_cmp_gt_u32_e32 vcc, s18, v31
	s_and_saveexec_b64 s[16:17], vcc
	s_cbranch_execnz .LBB1773_46
.LBB1773_39:                            ;   in Loop: Header=BB1773_21 Depth=2
	s_or_b64 exec, exec, s[16:17]
	v_cmp_gt_u32_e32 vcc, s18, v32
	s_and_saveexec_b64 s[16:17], vcc
	s_cbranch_execnz .LBB1773_47
.LBB1773_40:                            ;   in Loop: Header=BB1773_21 Depth=2
	s_or_b64 exec, exec, s[16:17]
	v_cmp_gt_u32_e32 vcc, s18, v33
	s_and_saveexec_b64 s[16:17], vcc
	s_cbranch_execnz .LBB1773_48
.LBB1773_41:                            ;   in Loop: Header=BB1773_21 Depth=2
	s_or_b64 exec, exec, s[16:17]
	v_cmp_gt_u32_e32 vcc, s18, v34
	s_and_saveexec_b64 s[16:17], vcc
	s_cbranch_execz .LBB1773_20
	s_branch .LBB1773_49
.LBB1773_42:                            ;   in Loop: Header=BB1773_21 Depth=2
	v_cmp_gt_i16_e32 vcc, 0, v11
	v_cndmask_b32_e64 v12, v65, 0, vcc
	v_xor_b32_e32 v12, v12, v11
	v_cmp_ne_u16_e32 vcc, s62, v12
	v_cndmask_b32_e32 v12, v65, v12, vcc
	v_lshrrev_b32_sdwa v12, s63, v12 dst_sel:DWORD dst_unused:UNUSED_PAD src0_sel:DWORD src1_sel:WORD_0
	v_and_b32_e32 v12, s70, v12
	v_lshl_or_b32 v12, v12, 4, v35
	ds_add_u32 v12, v61
	s_or_b64 exec, exec, s[16:17]
	v_cmp_gt_u32_e32 vcc, s18, v26
	s_and_saveexec_b64 s[16:17], vcc
	s_cbranch_execz .LBB1773_36
.LBB1773_43:                            ;   in Loop: Header=BB1773_21 Depth=2
	v_cmp_gt_i16_e32 vcc, 0, v10
	v_cndmask_b32_e64 v12, v65, 0, vcc
	v_xor_b32_e32 v12, v12, v10
	v_cmp_ne_u16_e32 vcc, s62, v12
	v_cndmask_b32_e32 v12, v65, v12, vcc
	v_lshrrev_b32_sdwa v12, s63, v12 dst_sel:DWORD dst_unused:UNUSED_PAD src0_sel:DWORD src1_sel:WORD_0
	v_and_b32_e32 v12, s70, v12
	v_lshl_or_b32 v12, v12, 4, v35
	ds_add_u32 v12, v61
	s_or_b64 exec, exec, s[16:17]
	v_cmp_gt_u32_e32 vcc, s18, v27
	s_and_saveexec_b64 s[16:17], vcc
	s_cbranch_execz .LBB1773_37
.LBB1773_44:                            ;   in Loop: Header=BB1773_21 Depth=2
	v_cmp_gt_i16_e32 vcc, 0, v9
	v_cndmask_b32_e64 v12, v65, 0, vcc
	v_xor_b32_e32 v12, v12, v9
	v_cmp_ne_u16_e32 vcc, s62, v12
	v_cndmask_b32_e32 v12, v65, v12, vcc
	v_lshrrev_b32_sdwa v12, s63, v12 dst_sel:DWORD dst_unused:UNUSED_PAD src0_sel:DWORD src1_sel:WORD_0
	v_and_b32_e32 v12, s70, v12
	v_lshl_or_b32 v12, v12, 4, v35
	ds_add_u32 v12, v61
	s_or_b64 exec, exec, s[16:17]
	v_cmp_gt_u32_e32 vcc, s18, v28
	s_and_saveexec_b64 s[16:17], vcc
	s_cbranch_execz .LBB1773_38
.LBB1773_45:                            ;   in Loop: Header=BB1773_21 Depth=2
	v_cmp_gt_i16_e32 vcc, 0, v8
	v_cndmask_b32_e64 v12, v65, 0, vcc
	v_xor_b32_e32 v12, v12, v8
	v_cmp_ne_u16_e32 vcc, s62, v12
	v_cndmask_b32_e32 v12, v65, v12, vcc
	v_lshrrev_b32_sdwa v12, s63, v12 dst_sel:DWORD dst_unused:UNUSED_PAD src0_sel:DWORD src1_sel:WORD_0
	v_and_b32_e32 v12, s70, v12
	v_lshl_or_b32 v12, v12, 4, v35
	ds_add_u32 v12, v61
	s_or_b64 exec, exec, s[16:17]
	v_cmp_gt_u32_e32 vcc, s18, v31
	s_and_saveexec_b64 s[16:17], vcc
	s_cbranch_execz .LBB1773_39
.LBB1773_46:                            ;   in Loop: Header=BB1773_21 Depth=2
	v_cmp_gt_i16_e32 vcc, 0, v7
	v_cndmask_b32_e64 v12, v65, 0, vcc
	v_xor_b32_e32 v12, v12, v7
	v_cmp_ne_u16_e32 vcc, s62, v12
	v_cndmask_b32_e32 v12, v65, v12, vcc
	v_lshrrev_b32_sdwa v12, s63, v12 dst_sel:DWORD dst_unused:UNUSED_PAD src0_sel:DWORD src1_sel:WORD_0
	v_and_b32_e32 v12, s70, v12
	v_lshl_or_b32 v12, v12, 4, v35
	ds_add_u32 v12, v61
	s_or_b64 exec, exec, s[16:17]
	v_cmp_gt_u32_e32 vcc, s18, v32
	s_and_saveexec_b64 s[16:17], vcc
	s_cbranch_execz .LBB1773_40
.LBB1773_47:                            ;   in Loop: Header=BB1773_21 Depth=2
	v_cmp_gt_i16_e32 vcc, 0, v6
	v_cndmask_b32_e64 v12, v65, 0, vcc
	v_xor_b32_e32 v12, v12, v6
	v_cmp_ne_u16_e32 vcc, s62, v12
	v_cndmask_b32_e32 v12, v65, v12, vcc
	v_lshrrev_b32_sdwa v12, s63, v12 dst_sel:DWORD dst_unused:UNUSED_PAD src0_sel:DWORD src1_sel:WORD_0
	v_and_b32_e32 v12, s70, v12
	v_lshl_or_b32 v12, v12, 4, v35
	ds_add_u32 v12, v61
	s_or_b64 exec, exec, s[16:17]
	v_cmp_gt_u32_e32 vcc, s18, v33
	s_and_saveexec_b64 s[16:17], vcc
	s_cbranch_execz .LBB1773_41
.LBB1773_48:                            ;   in Loop: Header=BB1773_21 Depth=2
	v_cmp_gt_i16_e32 vcc, 0, v5
	v_cndmask_b32_e64 v12, v65, 0, vcc
	v_xor_b32_e32 v12, v12, v5
	v_cmp_ne_u16_e32 vcc, s62, v12
	v_cndmask_b32_e32 v12, v65, v12, vcc
	v_lshrrev_b32_sdwa v12, s63, v12 dst_sel:DWORD dst_unused:UNUSED_PAD src0_sel:DWORD src1_sel:WORD_0
	v_and_b32_e32 v12, s70, v12
	v_lshl_or_b32 v12, v12, 4, v35
	ds_add_u32 v12, v61
	s_or_b64 exec, exec, s[16:17]
	v_cmp_gt_u32_e32 vcc, s18, v34
	s_and_saveexec_b64 s[16:17], vcc
	s_cbranch_execz .LBB1773_20
.LBB1773_49:                            ;   in Loop: Header=BB1773_21 Depth=2
	v_cmp_gt_i16_e32 vcc, 0, v4
	v_cndmask_b32_e64 v12, v65, 0, vcc
	v_xor_b32_e32 v12, v12, v4
	v_cmp_ne_u16_e32 vcc, s62, v12
	v_cndmask_b32_e32 v12, v65, v12, vcc
	v_lshrrev_b32_sdwa v12, s63, v12 dst_sel:DWORD dst_unused:UNUSED_PAD src0_sel:DWORD src1_sel:WORD_0
	v_and_b32_e32 v12, s70, v12
	v_lshl_or_b32 v12, v12, 4, v35
	ds_add_u32 v12, v61
	s_branch .LBB1773_20
.LBB1773_50:                            ;   in Loop: Header=BB1773_21 Depth=2
	global_load_ushort v11, v64, s[16:17]
	s_or_b64 exec, exec, s[18:19]
	v_cmp_gt_u32_e32 vcc, s20, v26
	s_and_saveexec_b64 s[18:19], vcc
	s_cbranch_execz .LBB1773_26
.LBB1773_51:                            ;   in Loop: Header=BB1773_21 Depth=2
	global_load_ushort v10, v64, s[16:17] offset:512
	s_or_b64 exec, exec, s[18:19]
	v_cmp_gt_u32_e32 vcc, s20, v27
	s_and_saveexec_b64 s[18:19], vcc
	s_cbranch_execz .LBB1773_27
.LBB1773_52:                            ;   in Loop: Header=BB1773_21 Depth=2
	global_load_ushort v9, v64, s[16:17] offset:1024
	s_or_b64 exec, exec, s[18:19]
	v_cmp_gt_u32_e32 vcc, s20, v28
	s_and_saveexec_b64 s[18:19], vcc
	s_cbranch_execz .LBB1773_28
.LBB1773_53:                            ;   in Loop: Header=BB1773_21 Depth=2
	global_load_ushort v8, v64, s[16:17] offset:1536
	s_or_b64 exec, exec, s[18:19]
	v_cmp_gt_u32_e32 vcc, s20, v31
	s_and_saveexec_b64 s[18:19], vcc
	s_cbranch_execz .LBB1773_29
.LBB1773_54:                            ;   in Loop: Header=BB1773_21 Depth=2
	global_load_ushort v7, v64, s[16:17] offset:2048
	s_or_b64 exec, exec, s[18:19]
	v_cmp_gt_u32_e32 vcc, s20, v32
	s_and_saveexec_b64 s[18:19], vcc
	s_cbranch_execz .LBB1773_30
.LBB1773_55:                            ;   in Loop: Header=BB1773_21 Depth=2
	global_load_ushort v6, v64, s[16:17] offset:2560
	s_or_b64 exec, exec, s[18:19]
	v_cmp_gt_u32_e32 vcc, s20, v33
	s_and_saveexec_b64 s[18:19], vcc
	s_cbranch_execz .LBB1773_31
.LBB1773_56:                            ;   in Loop: Header=BB1773_21 Depth=2
	global_load_ushort v5, v64, s[16:17] offset:3072
	s_or_b64 exec, exec, s[18:19]
	v_cmp_gt_u32_e32 vcc, s20, v34
	s_and_saveexec_b64 s[18:19], vcc
	s_cbranch_execnz .LBB1773_32
	s_branch .LBB1773_33
.LBB1773_57:                            ;   in Loop: Header=BB1773_17 Depth=1
	v_mov_b32_e32 v4, 0
	s_waitcnt lgkmcnt(0)
	s_barrier
	s_and_saveexec_b64 s[16:17], s[4:5]
	s_cbranch_execz .LBB1773_59
; %bb.58:                               ;   in Loop: Header=BB1773_17 Depth=1
	ds_read2_b64 v[4:7], v36 offset1:1
	s_waitcnt lgkmcnt(0)
	v_add_u32_e32 v4, v5, v4
	v_add3_u32 v4, v4, v6, v7
.LBB1773_59:                            ;   in Loop: Header=BB1773_17 Depth=1
	s_or_b64 exec, exec, s[16:17]
	s_nop 0
	v_mov_b32_dpp v5, v4 row_shr:1 row_mask:0xf bank_mask:0xf
	v_cmp_eq_u32_e64 s[16:17], 0, v67
	v_cndmask_b32_e64 v5, v5, 0, s[16:17]
	v_add_u32_e32 v4, v5, v4
	v_cmp_lt_u32_e64 s[18:19], 1, v67
	v_cmp_lt_u32_e64 s[20:21], 3, v67
	v_mov_b32_dpp v5, v4 row_shr:2 row_mask:0xf bank_mask:0xf
	v_cndmask_b32_e64 v5, 0, v5, s[18:19]
	v_add_u32_e32 v4, v4, v5
	v_cmp_lt_u32_e64 s[22:23], 7, v67
	v_cmp_lt_u32_e64 s[26:27], 31, v66
	v_mov_b32_dpp v5, v4 row_shr:4 row_mask:0xf bank_mask:0xf
	v_cndmask_b32_e64 v5, 0, v5, s[20:21]
	v_add_u32_e32 v4, v4, v5
	v_cmp_eq_u32_e64 s[24:25], 0, v69
	s_nop 0
	v_mov_b32_dpp v5, v4 row_shr:8 row_mask:0xf bank_mask:0xf
	v_cndmask_b32_e64 v5, 0, v5, s[22:23]
	v_add_u32_e32 v4, v4, v5
	s_nop 1
	v_mov_b32_dpp v5, v4 row_bcast:15 row_mask:0xf bank_mask:0xf
	v_and_b32_e32 v5, v68, v5
	v_add_u32_e32 v4, v4, v5
	s_nop 1
	v_mov_b32_dpp v5, v4 row_bcast:31 row_mask:0xf bank_mask:0xf
	v_cndmask_b32_e64 v5, 0, v5, s[26:27]
	v_add_u32_e32 v4, v4, v5
	s_and_saveexec_b64 s[28:29], s[6:7]
; %bb.60:                               ;   in Loop: Header=BB1773_17 Depth=1
	ds_write_b32 v38, v4
; %bb.61:                               ;   in Loop: Header=BB1773_17 Depth=1
	s_or_b64 exec, exec, s[28:29]
	s_waitcnt lgkmcnt(0)
	s_barrier
	s_and_saveexec_b64 s[28:29], s[8:9]
	s_cbranch_execz .LBB1773_63
; %bb.62:                               ;   in Loop: Header=BB1773_17 Depth=1
	ds_read_b32 v5, v39
	v_cmp_ne_u32_e32 vcc, 0, v70
	s_waitcnt lgkmcnt(0)
	v_mov_b32_dpp v6, v5 row_shr:1 row_mask:0xf bank_mask:0xf
	v_cndmask_b32_e32 v6, 0, v6, vcc
	v_add_u32_e32 v5, v6, v5
	v_cmp_lt_u32_e32 vcc, 1, v70
	s_nop 0
	v_mov_b32_dpp v6, v5 row_shr:2 row_mask:0xf bank_mask:0xf
	v_cndmask_b32_e32 v6, 0, v6, vcc
	v_add_u32_e32 v5, v5, v6
	ds_write_b32 v39, v5
.LBB1773_63:                            ;   in Loop: Header=BB1773_17 Depth=1
	s_or_b64 exec, exec, s[28:29]
	v_mov_b32_e32 v5, 0
	s_waitcnt lgkmcnt(0)
	s_barrier
	s_and_saveexec_b64 s[28:29], s[10:11]
; %bb.64:                               ;   in Loop: Header=BB1773_17 Depth=1
	ds_read_b32 v5, v40
; %bb.65:                               ;   in Loop: Header=BB1773_17 Depth=1
	s_or_b64 exec, exec, s[28:29]
	v_subrev_co_u32_e64 v6, s[28:29], 1, v66
	v_cmp_lt_i32_e32 vcc, v6, v71
	v_cndmask_b32_e32 v6, v6, v66, vcc
	s_waitcnt lgkmcnt(0)
	v_add_u32_e32 v4, v5, v4
	v_lshlrev_b32_e32 v82, 2, v6
	ds_bpermute_b32 v4, v82, v4
	s_waitcnt lgkmcnt(0)
	s_barrier
	s_and_saveexec_b64 s[30:31], s[4:5]
; %bb.66:                               ;   in Loop: Header=BB1773_17 Depth=1
	v_cndmask_b32_e64 v4, v4, v5, s[28:29]
	v_add_u32_e32 v4, s51, v4
	ds_write_b32 v25, v4
; %bb.67:                               ;   in Loop: Header=BB1773_17 Depth=1
	s_or_b64 exec, exec, s[30:31]
	s_load_dword s30, s[56:57], 0x4
	s_load_dword s36, s[56:57], 0xc
	v_add_co_u32_e32 v83, vcc, v43, v72
	v_addc_co_u32_e32 v84, vcc, 0, v44, vcc
	s_waitcnt lgkmcnt(0)
	s_cmp_lt_u32 s33, s30
	s_cselect_b32 s30, 14, 20
	s_add_u32 s30, s56, s30
	s_addc_u32 s31, s57, 0
	global_load_ushort v4, v3, s[30:31]
	s_and_b32 s36, s36, 0xffff
	v_add_co_u32_e32 v85, vcc, v45, v81
	v_cmp_eq_u32_e64 s[30:31], 0, v70
	v_cmp_lt_u32_e64 s[34:35], 1, v70
	v_addc_co_u32_e32 v86, vcc, 0, v46, vcc
	s_mov_b32 s71, s79
	s_mov_b32 s58, s51
                                        ; implicit-def: $vgpr7_vgpr8
                                        ; implicit-def: $vgpr9_vgpr10
                                        ; implicit-def: $vgpr11_vgpr12
                                        ; implicit-def: $vgpr13_vgpr14
                                        ; implicit-def: $vgpr15_vgpr16
                                        ; implicit-def: $vgpr17_vgpr18
                                        ; implicit-def: $vgpr19_vgpr20
                                        ; implicit-def: $vgpr87
                                        ; implicit-def: $vgpr88
                                        ; implicit-def: $vgpr89
                                        ; implicit-def: $vgpr90
                                        ; implicit-def: $vgpr92
                                        ; implicit-def: $vgpr93
                                        ; implicit-def: $vgpr94
                                        ; implicit-def: $vgpr95
	s_waitcnt vmcnt(0)
	v_mad_u32_u24 v4, v2, v4, v1
	v_mad_u64_u32 v[4:5], s[36:37], v4, s36, v[0:1]
                                        ; implicit-def: $vgpr5_vgpr6
	v_lshrrev_b32_e32 v4, 4, v4
	v_and_b32_e32 v91, 0xffffffc, v4
	s_branch .LBB1773_69
.LBB1773_68:                            ;   in Loop: Header=BB1773_69 Depth=2
	s_or_b64 exec, exec, s[36:37]
	s_addk_i32 s71, 0xf800
	s_cmp_lt_u32 s76, s80
	s_mov_b32 s58, s76
	s_cbranch_scc0 .LBB1773_181
.LBB1773_69:                            ;   Parent Loop BB1773_17 Depth=1
                                        ; =>  This Inner Loop Header: Depth=2
	s_add_i32 s76, s58, 0x800
	s_cmp_gt_u32 s76, s80
	s_cbranch_scc1 .LBB1773_71
; %bb.70:                               ;   in Loop: Header=BB1773_69 Depth=2
	s_lshl_b64 s[36:37], s[58:59], 1
	v_mov_b32_e32 v4, s37
	v_add_co_u32_e32 v21, vcc, s36, v85
	v_addc_co_u32_e32 v22, vcc, v86, v4, vcc
	global_load_ushort v4, v[21:22], off
	global_load_ushort v99, v[21:22], off offset:128
	global_load_ushort v103, v[21:22], off offset:256
	;; [unrolled: 1-line block ×6, first 2 shown]
	s_mov_b64 s[36:37], -1
	s_movk_i32 s40, 0x800
	s_cbranch_execz .LBB1773_72
	s_branch .LBB1773_87
.LBB1773_71:                            ;   in Loop: Header=BB1773_69 Depth=2
	s_mov_b64 s[36:37], 0
                                        ; implicit-def: $vgpr4
                                        ; implicit-def: $vgpr99
                                        ; implicit-def: $vgpr103
                                        ; implicit-def: $vgpr107
                                        ; implicit-def: $vgpr112
                                        ; implicit-def: $vgpr108
                                        ; implicit-def: $vgpr24
	s_movk_i32 s40, 0x800
.LBB1773_72:                            ;   in Loop: Header=BB1773_69 Depth=2
	s_lshl_b64 s[36:37], s[58:59], 1
	s_waitcnt vmcnt(6)
	v_mov_b32_e32 v4, s37
	v_add_co_u32_e32 v21, vcc, s36, v85
	v_addc_co_u32_e32 v22, vcc, v86, v4, vcc
	v_cmp_gt_u32_e32 vcc, s71, v73
	s_waitcnt vmcnt(5)
	v_mov_b32_e32 v99, -1
	v_mov_b32_e32 v4, -1
	s_and_saveexec_b64 s[36:37], vcc
	s_cbranch_execz .LBB1773_74
; %bb.73:                               ;   in Loop: Header=BB1773_69 Depth=2
	global_load_ushort v4, v[21:22], off
.LBB1773_74:                            ;   in Loop: Header=BB1773_69 Depth=2
	s_or_b64 exec, exec, s[36:37]
	v_cmp_gt_u32_e32 vcc, s71, v74
	s_and_saveexec_b64 s[36:37], vcc
	s_cbranch_execz .LBB1773_76
; %bb.75:                               ;   in Loop: Header=BB1773_69 Depth=2
	global_load_ushort v99, v[21:22], off offset:128
.LBB1773_76:                            ;   in Loop: Header=BB1773_69 Depth=2
	s_or_b64 exec, exec, s[36:37]
	v_cmp_gt_u32_e32 vcc, s71, v75
	s_waitcnt vmcnt(3)
	v_mov_b32_e32 v107, -1
	v_mov_b32_e32 v103, -1
	s_and_saveexec_b64 s[36:37], vcc
	s_cbranch_execz .LBB1773_78
; %bb.77:                               ;   in Loop: Header=BB1773_69 Depth=2
	global_load_ushort v103, v[21:22], off offset:256
.LBB1773_78:                            ;   in Loop: Header=BB1773_69 Depth=2
	s_or_b64 exec, exec, s[36:37]
	v_cmp_gt_u32_e32 vcc, s71, v76
	s_and_saveexec_b64 s[36:37], vcc
	s_cbranch_execz .LBB1773_80
; %bb.79:                               ;   in Loop: Header=BB1773_69 Depth=2
	global_load_ushort v107, v[21:22], off offset:384
.LBB1773_80:                            ;   in Loop: Header=BB1773_69 Depth=2
	s_or_b64 exec, exec, s[36:37]
	v_cmp_gt_u32_e32 vcc, s71, v77
	s_waitcnt vmcnt(1)
	v_mov_b32_e32 v108, -1
	v_mov_b32_e32 v112, -1
	s_and_saveexec_b64 s[36:37], vcc
	s_cbranch_execz .LBB1773_82
; %bb.81:                               ;   in Loop: Header=BB1773_69 Depth=2
	global_load_ushort v112, v[21:22], off offset:512
.LBB1773_82:                            ;   in Loop: Header=BB1773_69 Depth=2
	s_or_b64 exec, exec, s[36:37]
	v_cmp_gt_u32_e32 vcc, s71, v78
	s_and_saveexec_b64 s[36:37], vcc
	s_cbranch_execz .LBB1773_84
; %bb.83:                               ;   in Loop: Header=BB1773_69 Depth=2
	global_load_ushort v108, v[21:22], off offset:640
.LBB1773_84:                            ;   in Loop: Header=BB1773_69 Depth=2
	s_or_b64 exec, exec, s[36:37]
	v_cmp_gt_u32_e32 vcc, s71, v79
	s_waitcnt vmcnt(0)
	v_mov_b32_e32 v24, -1
	s_and_saveexec_b64 s[36:37], vcc
	s_cbranch_execz .LBB1773_86
; %bb.85:                               ;   in Loop: Header=BB1773_69 Depth=2
	global_load_ushort v24, v[21:22], off offset:768
.LBB1773_86:                            ;   in Loop: Header=BB1773_69 Depth=2
	s_or_b64 exec, exec, s[36:37]
	s_sub_i32 s40, s80, s58
	v_cmp_gt_u32_e64 s[36:37], s71, v80
.LBB1773_87:                            ;   in Loop: Header=BB1773_69 Depth=2
	v_mov_b32_e32 v23, -1
	v_mov_b32_e32 v96, s71
	s_and_saveexec_b64 s[38:39], s[36:37]
	s_cbranch_execz .LBB1773_89
; %bb.88:                               ;   in Loop: Header=BB1773_69 Depth=2
	s_lshl_b64 s[36:37], s[58:59], 1
	v_mov_b32_e32 v22, s37
	v_add_co_u32_e32 v21, vcc, s36, v85
	v_addc_co_u32_e32 v22, vcc, v86, v22, vcc
	global_load_ushort v23, v[21:22], off offset:896
	v_mov_b32_e32 v96, s40
.LBB1773_89:                            ;   in Loop: Header=BB1773_69 Depth=2
	s_or_b64 exec, exec, s[38:39]
	s_waitcnt vmcnt(6)
	v_cmp_gt_i16_e32 vcc, 0, v4
	v_cndmask_b32_e64 v21, v65, 0, vcc
	v_xor_b32_e32 v97, v21, v4
	v_cmp_ne_u16_e32 vcc, s62, v97
	v_cndmask_b32_e32 v4, v65, v97, vcc
	v_lshrrev_b32_sdwa v4, s63, v4 dst_sel:DWORD dst_unused:UNUSED_PAD src0_sel:DWORD src1_sel:WORD_0
	v_and_b32_e32 v21, s70, v4
	v_and_b32_e32 v4, 1, v21
	v_add_co_u32_e32 v22, vcc, -1, v4
	v_addc_co_u32_e64 v98, s[36:37], 0, -1, vcc
	v_cmp_ne_u32_e32 vcc, 0, v4
	v_xor_b32_e32 v4, vcc_hi, v98
	v_and_b32_e32 v98, exec_hi, v4
	v_lshlrev_b32_e32 v4, 30, v21
	v_xor_b32_e32 v22, vcc_lo, v22
	v_cmp_gt_i64_e32 vcc, 0, v[3:4]
	v_not_b32_e32 v4, v4
	v_ashrrev_i32_e32 v4, 31, v4
	v_and_b32_e32 v22, exec_lo, v22
	v_xor_b32_e32 v101, vcc_hi, v4
	v_xor_b32_e32 v4, vcc_lo, v4
	v_and_b32_e32 v22, v22, v4
	v_lshlrev_b32_e32 v4, 29, v21
	v_cmp_gt_i64_e32 vcc, 0, v[3:4]
	v_not_b32_e32 v4, v4
	v_ashrrev_i32_e32 v4, 31, v4
	v_and_b32_e32 v98, v98, v101
	v_xor_b32_e32 v101, vcc_hi, v4
	v_xor_b32_e32 v4, vcc_lo, v4
	v_and_b32_e32 v22, v22, v4
	v_lshlrev_b32_e32 v4, 28, v21
	v_cmp_gt_i64_e32 vcc, 0, v[3:4]
	v_not_b32_e32 v4, v4
	v_ashrrev_i32_e32 v4, 31, v4
	v_and_b32_e32 v98, v98, v101
	;; [unrolled: 8-line block ×5, first 2 shown]
	v_xor_b32_e32 v101, vcc_hi, v4
	v_xor_b32_e32 v4, vcc_lo, v4
	v_and_b32_e32 v98, v98, v101
	v_and_b32_e32 v101, v22, v4
	v_lshlrev_b32_e32 v4, 24, v21
	v_cmp_gt_i64_e32 vcc, 0, v[3:4]
	v_not_b32_e32 v4, v4
	v_ashrrev_i32_e32 v4, 31, v4
	v_mul_u32_u24_e32 v100, 20, v21
	v_xor_b32_e32 v21, vcc_hi, v4
	v_xor_b32_e32 v4, vcc_lo, v4
	v_and_b32_e32 v22, v98, v21
	v_and_b32_e32 v21, v101, v4
	v_mbcnt_lo_u32_b32 v4, v21, 0
	v_mbcnt_hi_u32_b32 v98, v22, v4
	v_cmp_ne_u64_e32 vcc, 0, v[21:22]
	v_cmp_eq_u32_e64 s[36:37], 0, v98
	s_and_b64 s[38:39], vcc, s[36:37]
	v_add_u32_e32 v101, v91, v100
	ds_write2_b32 v62, v3, v3 offset1:1
	ds_write2_b32 v63, v3, v3 offset1:1
	ds_write_b32 v41, v3 offset:1056
	s_waitcnt vmcnt(0) lgkmcnt(0)
	s_barrier
	; wave barrier
	s_and_saveexec_b64 s[36:37], s[38:39]
; %bb.90:                               ;   in Loop: Header=BB1773_69 Depth=2
	v_bcnt_u32_b32 v4, v21, 0
	v_bcnt_u32_b32 v4, v22, v4
	ds_write_b32 v101, v4 offset:1040
; %bb.91:                               ;   in Loop: Header=BB1773_69 Depth=2
	s_or_b64 exec, exec, s[36:37]
	v_cmp_gt_i16_e32 vcc, 0, v99
	v_cndmask_b32_e64 v4, v65, 0, vcc
	v_xor_b32_e32 v99, v4, v99
	v_cmp_ne_u16_e32 vcc, s62, v99
	v_cndmask_b32_e32 v4, v65, v99, vcc
	v_lshrrev_b32_sdwa v4, s63, v4 dst_sel:DWORD dst_unused:UNUSED_PAD src0_sel:DWORD src1_sel:WORD_0
	v_and_b32_e32 v21, s70, v4
	v_mad_u32_u24 v4, v21, 20, v91
	; wave barrier
	ds_read_b32 v100, v4 offset:1040
	v_and_b32_e32 v4, 1, v21
	v_add_co_u32_e32 v22, vcc, -1, v4
	v_addc_co_u32_e64 v102, s[36:37], 0, -1, vcc
	v_cmp_ne_u32_e32 vcc, 0, v4
	v_xor_b32_e32 v4, vcc_hi, v102
	v_and_b32_e32 v102, exec_hi, v4
	v_lshlrev_b32_e32 v4, 30, v21
	v_xor_b32_e32 v22, vcc_lo, v22
	v_cmp_gt_i64_e32 vcc, 0, v[3:4]
	v_not_b32_e32 v4, v4
	v_ashrrev_i32_e32 v4, 31, v4
	v_and_b32_e32 v22, exec_lo, v22
	v_xor_b32_e32 v105, vcc_hi, v4
	v_xor_b32_e32 v4, vcc_lo, v4
	v_and_b32_e32 v22, v22, v4
	v_lshlrev_b32_e32 v4, 29, v21
	v_cmp_gt_i64_e32 vcc, 0, v[3:4]
	v_not_b32_e32 v4, v4
	v_ashrrev_i32_e32 v4, 31, v4
	v_and_b32_e32 v102, v102, v105
	v_xor_b32_e32 v105, vcc_hi, v4
	v_xor_b32_e32 v4, vcc_lo, v4
	v_and_b32_e32 v22, v22, v4
	v_lshlrev_b32_e32 v4, 28, v21
	v_cmp_gt_i64_e32 vcc, 0, v[3:4]
	v_not_b32_e32 v4, v4
	v_ashrrev_i32_e32 v4, 31, v4
	v_and_b32_e32 v102, v102, v105
	;; [unrolled: 8-line block ×5, first 2 shown]
	v_xor_b32_e32 v105, vcc_hi, v4
	v_xor_b32_e32 v4, vcc_lo, v4
	v_and_b32_e32 v102, v102, v105
	v_and_b32_e32 v105, v22, v4
	v_lshlrev_b32_e32 v4, 24, v21
	v_cmp_gt_i64_e32 vcc, 0, v[3:4]
	v_not_b32_e32 v4, v4
	v_ashrrev_i32_e32 v4, 31, v4
	v_mul_u32_u24_e32 v104, 20, v21
	v_xor_b32_e32 v21, vcc_hi, v4
	v_xor_b32_e32 v4, vcc_lo, v4
	v_and_b32_e32 v22, v102, v21
	v_and_b32_e32 v21, v105, v4
	v_mbcnt_lo_u32_b32 v4, v21, 0
	v_mbcnt_hi_u32_b32 v102, v22, v4
	v_cmp_ne_u64_e32 vcc, 0, v[21:22]
	v_cmp_eq_u32_e64 s[36:37], 0, v102
	s_and_b64 s[38:39], vcc, s[36:37]
	v_add_u32_e32 v105, v91, v104
	; wave barrier
	s_and_saveexec_b64 s[36:37], s[38:39]
	s_cbranch_execz .LBB1773_93
; %bb.92:                               ;   in Loop: Header=BB1773_69 Depth=2
	v_bcnt_u32_b32 v4, v21, 0
	v_bcnt_u32_b32 v4, v22, v4
	s_waitcnt lgkmcnt(0)
	v_add_u32_e32 v4, v100, v4
	ds_write_b32 v105, v4 offset:1040
.LBB1773_93:                            ;   in Loop: Header=BB1773_69 Depth=2
	s_or_b64 exec, exec, s[36:37]
	v_cmp_gt_i16_e32 vcc, 0, v103
	v_cndmask_b32_e64 v4, v65, 0, vcc
	v_xor_b32_e32 v103, v4, v103
	v_cmp_ne_u16_e32 vcc, s62, v103
	v_cndmask_b32_e32 v4, v65, v103, vcc
	v_lshrrev_b32_sdwa v4, s63, v4 dst_sel:DWORD dst_unused:UNUSED_PAD src0_sel:DWORD src1_sel:WORD_0
	v_and_b32_e32 v21, s70, v4
	v_mad_u32_u24 v4, v21, 20, v91
	; wave barrier
	ds_read_b32 v104, v4 offset:1040
	v_and_b32_e32 v4, 1, v21
	v_add_co_u32_e32 v22, vcc, -1, v4
	v_addc_co_u32_e64 v106, s[36:37], 0, -1, vcc
	v_cmp_ne_u32_e32 vcc, 0, v4
	v_xor_b32_e32 v4, vcc_hi, v106
	v_and_b32_e32 v106, exec_hi, v4
	v_lshlrev_b32_e32 v4, 30, v21
	v_xor_b32_e32 v22, vcc_lo, v22
	v_cmp_gt_i64_e32 vcc, 0, v[3:4]
	v_not_b32_e32 v4, v4
	v_ashrrev_i32_e32 v4, 31, v4
	v_and_b32_e32 v22, exec_lo, v22
	v_xor_b32_e32 v110, vcc_hi, v4
	v_xor_b32_e32 v4, vcc_lo, v4
	v_and_b32_e32 v22, v22, v4
	v_lshlrev_b32_e32 v4, 29, v21
	v_cmp_gt_i64_e32 vcc, 0, v[3:4]
	v_not_b32_e32 v4, v4
	v_ashrrev_i32_e32 v4, 31, v4
	v_and_b32_e32 v106, v106, v110
	v_xor_b32_e32 v110, vcc_hi, v4
	v_xor_b32_e32 v4, vcc_lo, v4
	v_and_b32_e32 v22, v22, v4
	v_lshlrev_b32_e32 v4, 28, v21
	v_cmp_gt_i64_e32 vcc, 0, v[3:4]
	v_not_b32_e32 v4, v4
	v_ashrrev_i32_e32 v4, 31, v4
	v_and_b32_e32 v106, v106, v110
	;; [unrolled: 8-line block ×5, first 2 shown]
	v_xor_b32_e32 v110, vcc_hi, v4
	v_xor_b32_e32 v4, vcc_lo, v4
	v_and_b32_e32 v106, v106, v110
	v_and_b32_e32 v110, v22, v4
	v_lshlrev_b32_e32 v4, 24, v21
	v_cmp_gt_i64_e32 vcc, 0, v[3:4]
	v_not_b32_e32 v4, v4
	v_ashrrev_i32_e32 v4, 31, v4
	v_mul_u32_u24_e32 v109, 20, v21
	v_xor_b32_e32 v21, vcc_hi, v4
	v_xor_b32_e32 v4, vcc_lo, v4
	v_and_b32_e32 v22, v106, v21
	v_and_b32_e32 v21, v110, v4
	v_mbcnt_lo_u32_b32 v4, v21, 0
	v_mbcnt_hi_u32_b32 v106, v22, v4
	v_cmp_ne_u64_e32 vcc, 0, v[21:22]
	v_cmp_eq_u32_e64 s[36:37], 0, v106
	s_and_b64 s[38:39], vcc, s[36:37]
	v_add_u32_e32 v110, v91, v109
	; wave barrier
	s_and_saveexec_b64 s[36:37], s[38:39]
	s_cbranch_execz .LBB1773_95
; %bb.94:                               ;   in Loop: Header=BB1773_69 Depth=2
	v_bcnt_u32_b32 v4, v21, 0
	v_bcnt_u32_b32 v4, v22, v4
	s_waitcnt lgkmcnt(0)
	v_add_u32_e32 v4, v104, v4
	ds_write_b32 v110, v4 offset:1040
.LBB1773_95:                            ;   in Loop: Header=BB1773_69 Depth=2
	s_or_b64 exec, exec, s[36:37]
	v_cmp_gt_i16_e32 vcc, 0, v107
	v_cndmask_b32_e64 v4, v65, 0, vcc
	v_xor_b32_e32 v107, v4, v107
	v_cmp_ne_u16_e32 vcc, s62, v107
	v_cndmask_b32_e32 v4, v65, v107, vcc
	v_lshrrev_b32_sdwa v4, s63, v4 dst_sel:DWORD dst_unused:UNUSED_PAD src0_sel:DWORD src1_sel:WORD_0
	v_and_b32_e32 v21, s70, v4
	v_mad_u32_u24 v4, v21, 20, v91
	; wave barrier
	ds_read_b32 v109, v4 offset:1040
	v_and_b32_e32 v4, 1, v21
	v_add_co_u32_e32 v22, vcc, -1, v4
	v_addc_co_u32_e64 v111, s[36:37], 0, -1, vcc
	v_cmp_ne_u32_e32 vcc, 0, v4
	v_xor_b32_e32 v4, vcc_hi, v111
	v_and_b32_e32 v111, exec_hi, v4
	v_lshlrev_b32_e32 v4, 30, v21
	v_xor_b32_e32 v22, vcc_lo, v22
	v_cmp_gt_i64_e32 vcc, 0, v[3:4]
	v_not_b32_e32 v4, v4
	v_ashrrev_i32_e32 v4, 31, v4
	v_and_b32_e32 v22, exec_lo, v22
	v_xor_b32_e32 v114, vcc_hi, v4
	v_xor_b32_e32 v4, vcc_lo, v4
	v_and_b32_e32 v22, v22, v4
	v_lshlrev_b32_e32 v4, 29, v21
	v_cmp_gt_i64_e32 vcc, 0, v[3:4]
	v_not_b32_e32 v4, v4
	v_ashrrev_i32_e32 v4, 31, v4
	v_and_b32_e32 v111, v111, v114
	v_xor_b32_e32 v114, vcc_hi, v4
	v_xor_b32_e32 v4, vcc_lo, v4
	v_and_b32_e32 v22, v22, v4
	v_lshlrev_b32_e32 v4, 28, v21
	v_cmp_gt_i64_e32 vcc, 0, v[3:4]
	v_not_b32_e32 v4, v4
	v_ashrrev_i32_e32 v4, 31, v4
	v_and_b32_e32 v111, v111, v114
	;; [unrolled: 8-line block ×5, first 2 shown]
	v_xor_b32_e32 v114, vcc_hi, v4
	v_xor_b32_e32 v4, vcc_lo, v4
	v_and_b32_e32 v111, v111, v114
	v_and_b32_e32 v114, v22, v4
	v_lshlrev_b32_e32 v4, 24, v21
	v_cmp_gt_i64_e32 vcc, 0, v[3:4]
	v_not_b32_e32 v4, v4
	v_ashrrev_i32_e32 v4, 31, v4
	v_mul_u32_u24_e32 v113, 20, v21
	v_xor_b32_e32 v21, vcc_hi, v4
	v_xor_b32_e32 v4, vcc_lo, v4
	v_and_b32_e32 v22, v111, v21
	v_and_b32_e32 v21, v114, v4
	v_mbcnt_lo_u32_b32 v4, v21, 0
	v_mbcnt_hi_u32_b32 v111, v22, v4
	v_cmp_ne_u64_e32 vcc, 0, v[21:22]
	v_cmp_eq_u32_e64 s[36:37], 0, v111
	s_and_b64 s[38:39], vcc, s[36:37]
	v_add_u32_e32 v114, v91, v113
	; wave barrier
	s_and_saveexec_b64 s[36:37], s[38:39]
	s_cbranch_execz .LBB1773_97
; %bb.96:                               ;   in Loop: Header=BB1773_69 Depth=2
	v_bcnt_u32_b32 v4, v21, 0
	v_bcnt_u32_b32 v4, v22, v4
	s_waitcnt lgkmcnt(0)
	v_add_u32_e32 v4, v109, v4
	ds_write_b32 v114, v4 offset:1040
.LBB1773_97:                            ;   in Loop: Header=BB1773_69 Depth=2
	s_or_b64 exec, exec, s[36:37]
	v_cmp_gt_i16_e32 vcc, 0, v112
	v_cndmask_b32_e64 v4, v65, 0, vcc
	v_xor_b32_e32 v112, v4, v112
	v_cmp_ne_u16_e32 vcc, s62, v112
	v_cndmask_b32_e32 v4, v65, v112, vcc
	v_lshrrev_b32_sdwa v4, s63, v4 dst_sel:DWORD dst_unused:UNUSED_PAD src0_sel:DWORD src1_sel:WORD_0
	v_and_b32_e32 v21, s70, v4
	v_mad_u32_u24 v4, v21, 20, v91
	; wave barrier
	ds_read_b32 v113, v4 offset:1040
	v_and_b32_e32 v4, 1, v21
	v_add_co_u32_e32 v22, vcc, -1, v4
	v_addc_co_u32_e64 v115, s[36:37], 0, -1, vcc
	v_cmp_ne_u32_e32 vcc, 0, v4
	v_xor_b32_e32 v4, vcc_hi, v115
	v_and_b32_e32 v115, exec_hi, v4
	v_lshlrev_b32_e32 v4, 30, v21
	v_xor_b32_e32 v22, vcc_lo, v22
	v_cmp_gt_i64_e32 vcc, 0, v[3:4]
	v_not_b32_e32 v4, v4
	v_ashrrev_i32_e32 v4, 31, v4
	v_and_b32_e32 v22, exec_lo, v22
	v_xor_b32_e32 v117, vcc_hi, v4
	v_xor_b32_e32 v4, vcc_lo, v4
	v_and_b32_e32 v22, v22, v4
	v_lshlrev_b32_e32 v4, 29, v21
	v_cmp_gt_i64_e32 vcc, 0, v[3:4]
	v_not_b32_e32 v4, v4
	v_ashrrev_i32_e32 v4, 31, v4
	v_and_b32_e32 v115, v115, v117
	v_xor_b32_e32 v117, vcc_hi, v4
	v_xor_b32_e32 v4, vcc_lo, v4
	v_and_b32_e32 v22, v22, v4
	v_lshlrev_b32_e32 v4, 28, v21
	v_cmp_gt_i64_e32 vcc, 0, v[3:4]
	v_not_b32_e32 v4, v4
	v_ashrrev_i32_e32 v4, 31, v4
	v_and_b32_e32 v115, v115, v117
	;; [unrolled: 8-line block ×5, first 2 shown]
	v_xor_b32_e32 v117, vcc_hi, v4
	v_xor_b32_e32 v4, vcc_lo, v4
	v_and_b32_e32 v115, v115, v117
	v_and_b32_e32 v117, v22, v4
	v_lshlrev_b32_e32 v4, 24, v21
	v_cmp_gt_i64_e32 vcc, 0, v[3:4]
	v_not_b32_e32 v4, v4
	v_ashrrev_i32_e32 v4, 31, v4
	v_mul_u32_u24_e32 v116, 20, v21
	v_xor_b32_e32 v21, vcc_hi, v4
	v_xor_b32_e32 v4, vcc_lo, v4
	v_and_b32_e32 v22, v115, v21
	v_and_b32_e32 v21, v117, v4
	v_mbcnt_lo_u32_b32 v4, v21, 0
	v_mbcnt_hi_u32_b32 v115, v22, v4
	v_cmp_ne_u64_e32 vcc, 0, v[21:22]
	v_cmp_eq_u32_e64 s[36:37], 0, v115
	s_and_b64 s[38:39], vcc, s[36:37]
	v_add_u32_e32 v118, v91, v116
	; wave barrier
	s_and_saveexec_b64 s[36:37], s[38:39]
	s_cbranch_execz .LBB1773_99
; %bb.98:                               ;   in Loop: Header=BB1773_69 Depth=2
	v_bcnt_u32_b32 v4, v21, 0
	v_bcnt_u32_b32 v4, v22, v4
	s_waitcnt lgkmcnt(0)
	v_add_u32_e32 v4, v113, v4
	ds_write_b32 v118, v4 offset:1040
.LBB1773_99:                            ;   in Loop: Header=BB1773_69 Depth=2
	s_or_b64 exec, exec, s[36:37]
	v_cmp_gt_i16_e32 vcc, 0, v108
	v_cndmask_b32_e64 v4, v65, 0, vcc
	v_xor_b32_e32 v116, v4, v108
	v_cmp_ne_u16_e32 vcc, s62, v116
	v_cndmask_b32_e32 v4, v65, v116, vcc
	v_lshrrev_b32_sdwa v4, s63, v4 dst_sel:DWORD dst_unused:UNUSED_PAD src0_sel:DWORD src1_sel:WORD_0
	v_and_b32_e32 v21, s70, v4
	v_mad_u32_u24 v4, v21, 20, v91
	; wave barrier
	ds_read_b32 v117, v4 offset:1040
	v_and_b32_e32 v4, 1, v21
	v_add_co_u32_e32 v22, vcc, -1, v4
	v_addc_co_u32_e64 v119, s[36:37], 0, -1, vcc
	v_cmp_ne_u32_e32 vcc, 0, v4
	v_xor_b32_e32 v4, vcc_hi, v119
	v_and_b32_e32 v119, exec_hi, v4
	v_lshlrev_b32_e32 v4, 30, v21
	v_xor_b32_e32 v22, vcc_lo, v22
	v_cmp_gt_i64_e32 vcc, 0, v[3:4]
	v_not_b32_e32 v4, v4
	v_ashrrev_i32_e32 v4, 31, v4
	v_and_b32_e32 v22, exec_lo, v22
	v_xor_b32_e32 v120, vcc_hi, v4
	v_xor_b32_e32 v4, vcc_lo, v4
	v_and_b32_e32 v22, v22, v4
	v_lshlrev_b32_e32 v4, 29, v21
	v_cmp_gt_i64_e32 vcc, 0, v[3:4]
	v_not_b32_e32 v4, v4
	v_ashrrev_i32_e32 v4, 31, v4
	v_and_b32_e32 v119, v119, v120
	v_xor_b32_e32 v120, vcc_hi, v4
	v_xor_b32_e32 v4, vcc_lo, v4
	v_and_b32_e32 v22, v22, v4
	v_lshlrev_b32_e32 v4, 28, v21
	v_cmp_gt_i64_e32 vcc, 0, v[3:4]
	v_not_b32_e32 v4, v4
	v_ashrrev_i32_e32 v4, 31, v4
	v_and_b32_e32 v119, v119, v120
	;; [unrolled: 8-line block ×5, first 2 shown]
	v_xor_b32_e32 v120, vcc_hi, v4
	v_xor_b32_e32 v4, vcc_lo, v4
	v_and_b32_e32 v119, v119, v120
	v_and_b32_e32 v120, v22, v4
	v_lshlrev_b32_e32 v4, 24, v21
	v_cmp_gt_i64_e32 vcc, 0, v[3:4]
	v_not_b32_e32 v4, v4
	v_ashrrev_i32_e32 v4, 31, v4
	v_mul_u32_u24_e32 v108, 20, v21
	v_xor_b32_e32 v21, vcc_hi, v4
	v_xor_b32_e32 v4, vcc_lo, v4
	v_and_b32_e32 v22, v119, v21
	v_and_b32_e32 v21, v120, v4
	v_mbcnt_lo_u32_b32 v4, v21, 0
	v_mbcnt_hi_u32_b32 v119, v22, v4
	v_cmp_ne_u64_e32 vcc, 0, v[21:22]
	v_cmp_eq_u32_e64 s[36:37], 0, v119
	s_and_b64 s[38:39], vcc, s[36:37]
	v_add_u32_e32 v108, v91, v108
	; wave barrier
	s_and_saveexec_b64 s[36:37], s[38:39]
	s_cbranch_execz .LBB1773_101
; %bb.100:                              ;   in Loop: Header=BB1773_69 Depth=2
	v_bcnt_u32_b32 v4, v21, 0
	v_bcnt_u32_b32 v4, v22, v4
	s_waitcnt lgkmcnt(0)
	v_add_u32_e32 v4, v117, v4
	ds_write_b32 v108, v4 offset:1040
.LBB1773_101:                           ;   in Loop: Header=BB1773_69 Depth=2
	s_or_b64 exec, exec, s[36:37]
	v_cmp_gt_i16_e32 vcc, 0, v24
	v_cndmask_b32_e64 v4, v65, 0, vcc
	v_xor_b32_e32 v120, v4, v24
	v_cmp_ne_u16_e32 vcc, s62, v120
	v_cndmask_b32_e32 v4, v65, v120, vcc
	v_lshrrev_b32_sdwa v4, s63, v4 dst_sel:DWORD dst_unused:UNUSED_PAD src0_sel:DWORD src1_sel:WORD_0
	v_and_b32_e32 v21, s70, v4
	v_mad_u32_u24 v4, v21, 20, v91
	; wave barrier
	ds_read_b32 v121, v4 offset:1040
	v_and_b32_e32 v4, 1, v21
	v_add_co_u32_e32 v22, vcc, -1, v4
	v_addc_co_u32_e64 v122, s[36:37], 0, -1, vcc
	v_cmp_ne_u32_e32 vcc, 0, v4
	v_xor_b32_e32 v4, vcc_hi, v122
	v_and_b32_e32 v122, exec_hi, v4
	v_lshlrev_b32_e32 v4, 30, v21
	v_xor_b32_e32 v22, vcc_lo, v22
	v_cmp_gt_i64_e32 vcc, 0, v[3:4]
	v_not_b32_e32 v4, v4
	v_ashrrev_i32_e32 v4, 31, v4
	v_and_b32_e32 v22, exec_lo, v22
	v_xor_b32_e32 v123, vcc_hi, v4
	v_xor_b32_e32 v4, vcc_lo, v4
	v_and_b32_e32 v22, v22, v4
	v_lshlrev_b32_e32 v4, 29, v21
	v_cmp_gt_i64_e32 vcc, 0, v[3:4]
	v_not_b32_e32 v4, v4
	v_ashrrev_i32_e32 v4, 31, v4
	v_and_b32_e32 v122, v122, v123
	v_xor_b32_e32 v123, vcc_hi, v4
	v_xor_b32_e32 v4, vcc_lo, v4
	v_and_b32_e32 v22, v22, v4
	v_lshlrev_b32_e32 v4, 28, v21
	v_cmp_gt_i64_e32 vcc, 0, v[3:4]
	v_not_b32_e32 v4, v4
	v_ashrrev_i32_e32 v4, 31, v4
	v_and_b32_e32 v122, v122, v123
	;; [unrolled: 8-line block ×5, first 2 shown]
	v_xor_b32_e32 v123, vcc_hi, v4
	v_xor_b32_e32 v4, vcc_lo, v4
	v_and_b32_e32 v122, v122, v123
	v_and_b32_e32 v123, v22, v4
	v_lshlrev_b32_e32 v4, 24, v21
	v_cmp_gt_i64_e32 vcc, 0, v[3:4]
	v_not_b32_e32 v4, v4
	v_ashrrev_i32_e32 v4, 31, v4
	v_mul_u32_u24_e32 v24, 20, v21
	v_xor_b32_e32 v21, vcc_hi, v4
	v_xor_b32_e32 v4, vcc_lo, v4
	v_and_b32_e32 v22, v122, v21
	v_and_b32_e32 v21, v123, v4
	v_mbcnt_lo_u32_b32 v4, v21, 0
	v_mbcnt_hi_u32_b32 v122, v22, v4
	v_cmp_ne_u64_e32 vcc, 0, v[21:22]
	v_cmp_eq_u32_e64 s[36:37], 0, v122
	s_and_b64 s[38:39], vcc, s[36:37]
	v_add_u32_e32 v125, v91, v24
	; wave barrier
	s_and_saveexec_b64 s[36:37], s[38:39]
	s_cbranch_execz .LBB1773_103
; %bb.102:                              ;   in Loop: Header=BB1773_69 Depth=2
	v_bcnt_u32_b32 v4, v21, 0
	v_bcnt_u32_b32 v4, v22, v4
	s_waitcnt lgkmcnt(0)
	v_add_u32_e32 v4, v121, v4
	ds_write_b32 v125, v4 offset:1040
.LBB1773_103:                           ;   in Loop: Header=BB1773_69 Depth=2
	s_or_b64 exec, exec, s[36:37]
	v_cmp_gt_i16_e32 vcc, 0, v23
	v_cndmask_b32_e64 v4, v65, 0, vcc
	v_xor_b32_e32 v123, v4, v23
	v_cmp_ne_u16_e32 vcc, s62, v123
	v_cndmask_b32_e32 v4, v65, v123, vcc
	v_lshrrev_b32_sdwa v4, s63, v4 dst_sel:DWORD dst_unused:UNUSED_PAD src0_sel:DWORD src1_sel:WORD_0
	v_and_b32_e32 v21, s70, v4
	v_mad_u32_u24 v4, v21, 20, v91
	; wave barrier
	ds_read_b32 v124, v4 offset:1040
	v_and_b32_e32 v4, 1, v21
	v_add_co_u32_e32 v22, vcc, -1, v4
	v_addc_co_u32_e64 v24, s[36:37], 0, -1, vcc
	v_cmp_ne_u32_e32 vcc, 0, v4
	v_xor_b32_e32 v4, vcc_hi, v24
	v_and_b32_e32 v24, exec_hi, v4
	v_lshlrev_b32_e32 v4, 30, v21
	v_xor_b32_e32 v22, vcc_lo, v22
	v_cmp_gt_i64_e32 vcc, 0, v[3:4]
	v_not_b32_e32 v4, v4
	v_ashrrev_i32_e32 v4, 31, v4
	v_and_b32_e32 v22, exec_lo, v22
	v_xor_b32_e32 v126, vcc_hi, v4
	v_xor_b32_e32 v4, vcc_lo, v4
	v_and_b32_e32 v22, v22, v4
	v_lshlrev_b32_e32 v4, 29, v21
	v_cmp_gt_i64_e32 vcc, 0, v[3:4]
	v_not_b32_e32 v4, v4
	v_ashrrev_i32_e32 v4, 31, v4
	v_and_b32_e32 v24, v24, v126
	v_xor_b32_e32 v126, vcc_hi, v4
	v_xor_b32_e32 v4, vcc_lo, v4
	v_and_b32_e32 v22, v22, v4
	v_lshlrev_b32_e32 v4, 28, v21
	v_cmp_gt_i64_e32 vcc, 0, v[3:4]
	v_not_b32_e32 v4, v4
	v_ashrrev_i32_e32 v4, 31, v4
	v_and_b32_e32 v24, v24, v126
	v_xor_b32_e32 v126, vcc_hi, v4
	v_xor_b32_e32 v4, vcc_lo, v4
	v_and_b32_e32 v22, v22, v4
	v_lshlrev_b32_e32 v4, 27, v21
	v_cmp_gt_i64_e32 vcc, 0, v[3:4]
	v_not_b32_e32 v4, v4
	v_ashrrev_i32_e32 v4, 31, v4
	v_and_b32_e32 v24, v24, v126
	v_xor_b32_e32 v126, vcc_hi, v4
	v_xor_b32_e32 v4, vcc_lo, v4
	v_and_b32_e32 v22, v22, v4
	v_lshlrev_b32_e32 v4, 26, v21
	v_cmp_gt_i64_e32 vcc, 0, v[3:4]
	v_not_b32_e32 v4, v4
	v_ashrrev_i32_e32 v4, 31, v4
	v_and_b32_e32 v24, v24, v126
	v_xor_b32_e32 v126, vcc_hi, v4
	v_xor_b32_e32 v4, vcc_lo, v4
	v_and_b32_e32 v22, v22, v4
	v_lshlrev_b32_e32 v4, 25, v21
	v_cmp_gt_i64_e32 vcc, 0, v[3:4]
	v_not_b32_e32 v4, v4
	v_ashrrev_i32_e32 v4, 31, v4
	v_and_b32_e32 v24, v24, v126
	v_xor_b32_e32 v126, vcc_hi, v4
	v_xor_b32_e32 v4, vcc_lo, v4
	v_and_b32_e32 v24, v24, v126
	v_and_b32_e32 v126, v22, v4
	v_lshlrev_b32_e32 v4, 24, v21
	v_cmp_gt_i64_e32 vcc, 0, v[3:4]
	v_not_b32_e32 v4, v4
	v_ashrrev_i32_e32 v4, 31, v4
	v_mul_u32_u24_e32 v23, 20, v21
	v_xor_b32_e32 v21, vcc_hi, v4
	v_xor_b32_e32 v4, vcc_lo, v4
	v_and_b32_e32 v22, v24, v21
	v_and_b32_e32 v21, v126, v4
	v_mbcnt_lo_u32_b32 v4, v21, 0
	v_mbcnt_hi_u32_b32 v126, v22, v4
	v_cmp_ne_u64_e32 vcc, 0, v[21:22]
	v_cmp_eq_u32_e64 s[36:37], 0, v126
	s_and_b64 s[38:39], vcc, s[36:37]
	v_add_u32_e32 v4, v91, v23
	; wave barrier
	s_and_saveexec_b64 s[36:37], s[38:39]
	s_cbranch_execz .LBB1773_105
; %bb.104:                              ;   in Loop: Header=BB1773_69 Depth=2
	v_bcnt_u32_b32 v21, v21, 0
	v_bcnt_u32_b32 v21, v22, v21
	s_waitcnt lgkmcnt(0)
	v_add_u32_e32 v21, v124, v21
	ds_write_b32 v4, v21 offset:1040
.LBB1773_105:                           ;   in Loop: Header=BB1773_69 Depth=2
	s_or_b64 exec, exec, s[36:37]
	; wave barrier
	s_waitcnt lgkmcnt(0)
	s_barrier
	ds_read2_b32 v[23:24], v62 offset1:1
	ds_read2_b32 v[21:22], v63 offset1:1
	ds_read_b32 v127, v41 offset:1056
	s_waitcnt lgkmcnt(1)
	v_add3_u32 v128, v24, v23, v21
	s_waitcnt lgkmcnt(0)
	v_add3_u32 v127, v128, v22, v127
	s_nop 1
	v_mov_b32_dpp v128, v127 row_shr:1 row_mask:0xf bank_mask:0xf
	v_cndmask_b32_e64 v128, v128, 0, s[16:17]
	v_add_u32_e32 v127, v128, v127
	s_nop 1
	v_mov_b32_dpp v128, v127 row_shr:2 row_mask:0xf bank_mask:0xf
	v_cndmask_b32_e64 v128, 0, v128, s[18:19]
	v_add_u32_e32 v127, v127, v128
	;; [unrolled: 4-line block ×4, first 2 shown]
	s_nop 1
	v_mov_b32_dpp v128, v127 row_bcast:15 row_mask:0xf bank_mask:0xf
	v_cndmask_b32_e64 v128, v128, 0, s[24:25]
	v_add_u32_e32 v127, v127, v128
	s_nop 1
	v_mov_b32_dpp v128, v127 row_bcast:31 row_mask:0xf bank_mask:0xf
	v_cndmask_b32_e64 v128, 0, v128, s[26:27]
	v_add_u32_e32 v127, v127, v128
	s_and_saveexec_b64 s[36:37], s[6:7]
; %bb.106:                              ;   in Loop: Header=BB1773_69 Depth=2
	ds_write_b32 v37, v127 offset:1024
; %bb.107:                              ;   in Loop: Header=BB1773_69 Depth=2
	s_or_b64 exec, exec, s[36:37]
	s_waitcnt lgkmcnt(0)
	s_barrier
	s_and_saveexec_b64 s[36:37], s[8:9]
	s_cbranch_execz .LBB1773_109
; %bb.108:                              ;   in Loop: Header=BB1773_69 Depth=2
	ds_read_b32 v128, v42 offset:1024
	s_waitcnt lgkmcnt(0)
	s_nop 0
	v_mov_b32_dpp v129, v128 row_shr:1 row_mask:0xf bank_mask:0xf
	v_cndmask_b32_e64 v129, v129, 0, s[30:31]
	v_add_u32_e32 v128, v129, v128
	s_nop 1
	v_mov_b32_dpp v129, v128 row_shr:2 row_mask:0xf bank_mask:0xf
	v_cndmask_b32_e64 v129, 0, v129, s[34:35]
	v_add_u32_e32 v128, v128, v129
	ds_write_b32 v42, v128 offset:1024
.LBB1773_109:                           ;   in Loop: Header=BB1773_69 Depth=2
	s_or_b64 exec, exec, s[36:37]
	v_mov_b32_e32 v128, 0
	s_waitcnt lgkmcnt(0)
	s_barrier
	s_and_saveexec_b64 s[36:37], s[10:11]
; %bb.110:                              ;   in Loop: Header=BB1773_69 Depth=2
	ds_read_b32 v128, v37 offset:1020
; %bb.111:                              ;   in Loop: Header=BB1773_69 Depth=2
	s_or_b64 exec, exec, s[36:37]
	s_waitcnt lgkmcnt(0)
	v_add_u32_e32 v127, v128, v127
	ds_bpermute_b32 v127, v82, v127
	s_waitcnt lgkmcnt(0)
	v_cndmask_b32_e64 v127, v127, v128, s[28:29]
	v_cndmask_b32_e64 v127, v127, 0, s[12:13]
	v_add_u32_e32 v23, v127, v23
	v_add_u32_e32 v24, v23, v24
	;; [unrolled: 1-line block ×4, first 2 shown]
	ds_write2_b32 v62, v127, v23 offset1:1
	ds_write2_b32 v63, v24, v21 offset1:1
	ds_write_b32 v41, v22 offset:1056
	s_waitcnt lgkmcnt(0)
	s_barrier
	ds_read_b32 v21, v101 offset:1040
	ds_read_b32 v22, v105 offset:1040
	;; [unrolled: 1-line block ×9, first 2 shown]
	v_mov_b32_e32 v4, 0x800
	s_and_saveexec_b64 s[36:37], s[14:15]
; %bb.112:                              ;   in Loop: Header=BB1773_69 Depth=2
	ds_read_b32 v4, v41 offset:1060
; %bb.113:                              ;   in Loop: Header=BB1773_69 Depth=2
	s_or_b64 exec, exec, s[36:37]
	s_waitcnt lgkmcnt(0)
	s_barrier
	s_and_saveexec_b64 s[36:37], s[4:5]
	s_cbranch_execz .LBB1773_115
; %bb.114:                              ;   in Loop: Header=BB1773_69 Depth=2
	ds_read_b32 v105, v25
	s_waitcnt lgkmcnt(0)
	v_sub_u32_e32 v101, v105, v101
	ds_write_b32 v25, v101
.LBB1773_115:                           ;   in Loop: Header=BB1773_69 Depth=2
	s_or_b64 exec, exec, s[36:37]
	v_add_u32_e32 v108, v21, v98
	v_add3_u32 v105, v102, v100, v22
	v_lshlrev_b32_e32 v21, 1, v108
	v_add3_u32 v102, v106, v104, v23
	ds_write_b16 v21, v97 offset:1024
	v_lshlrev_b32_e32 v21, 1, v105
	v_add3_u32 v101, v111, v109, v24
	ds_write_b16 v21, v99 offset:1024
	;; [unrolled: 3-line block ×6, first 2 shown]
	v_lshlrev_b32_e32 v21, 1, v24
	ds_write_b16 v21, v120 offset:1024
	v_lshlrev_b32_e32 v21, 1, v23
	v_cmp_lt_u32_e32 vcc, v0, v96
	ds_write_b16 v21, v123 offset:1024
	s_waitcnt lgkmcnt(0)
	s_barrier
	s_and_saveexec_b64 s[38:39], vcc
	s_cbranch_execnz .LBB1773_152
; %bb.116:                              ;   in Loop: Header=BB1773_69 Depth=2
	s_or_b64 exec, exec, s[38:39]
	v_cmp_lt_u32_e64 s[36:37], v26, v96
	s_and_saveexec_b64 s[40:41], s[36:37]
	s_cbranch_execnz .LBB1773_153
.LBB1773_117:                           ;   in Loop: Header=BB1773_69 Depth=2
	s_or_b64 exec, exec, s[40:41]
	v_cmp_lt_u32_e64 s[38:39], v27, v96
	s_and_saveexec_b64 s[42:43], s[38:39]
	s_cbranch_execnz .LBB1773_154
.LBB1773_118:                           ;   in Loop: Header=BB1773_69 Depth=2
	s_or_b64 exec, exec, s[42:43]
	v_cmp_lt_u32_e64 s[40:41], v28, v96
	s_and_saveexec_b64 s[44:45], s[40:41]
	s_cbranch_execnz .LBB1773_155
.LBB1773_119:                           ;   in Loop: Header=BB1773_69 Depth=2
	s_or_b64 exec, exec, s[44:45]
	v_cmp_lt_u32_e64 s[42:43], v31, v96
	s_and_saveexec_b64 s[46:47], s[42:43]
	s_cbranch_execnz .LBB1773_156
.LBB1773_120:                           ;   in Loop: Header=BB1773_69 Depth=2
	s_or_b64 exec, exec, s[46:47]
	v_cmp_lt_u32_e64 s[44:45], v32, v96
	s_and_saveexec_b64 s[48:49], s[44:45]
	s_cbranch_execnz .LBB1773_157
.LBB1773_121:                           ;   in Loop: Header=BB1773_69 Depth=2
	s_or_b64 exec, exec, s[48:49]
	v_cmp_lt_u32_e64 s[46:47], v33, v96
	s_and_saveexec_b64 s[52:53], s[46:47]
	s_cbranch_execnz .LBB1773_158
.LBB1773_122:                           ;   in Loop: Header=BB1773_69 Depth=2
	s_or_b64 exec, exec, s[52:53]
	v_cmp_lt_u32_e64 s[48:49], v34, v96
	s_and_saveexec_b64 s[60:61], s[48:49]
	s_cbranch_execz .LBB1773_124
.LBB1773_123:                           ;   in Loop: Header=BB1773_69 Depth=2
	ds_read_u16 v21, v47 offset:4608
	v_mov_b32_e32 v22, v3
	v_mov_b32_e32 v99, s67
	s_waitcnt lgkmcnt(0)
	v_cmp_ne_u16_e64 s[52:53], s62, v21
	v_cndmask_b32_e64 v97, v65, v21, s[52:53]
	v_lshrrev_b32_sdwa v97, s63, v97 dst_sel:DWORD dst_unused:UNUSED_PAD src0_sel:DWORD src1_sel:WORD_0
	v_and_b32_e32 v97, s70, v97
	v_lshlrev_b32_e32 v97, 2, v97
	ds_read_b32 v97, v97
	v_cmp_gt_i16_e64 s[52:53], 0, v21
	v_cndmask_b32_e64 v103, v65, 0, s[52:53]
	v_xor_b32_e32 v103, v103, v21
	s_waitcnt lgkmcnt(0)
	v_add_u32_e32 v21, v97, v34
	v_lshlrev_b64 v[21:22], 1, v[21:22]
	v_add_co_u32_e64 v21, s[52:53], s66, v21
	v_addc_co_u32_e64 v22, s[52:53], v99, v22, s[52:53]
	global_store_short v[21:22], v103, off
.LBB1773_124:                           ;   in Loop: Header=BB1773_69 Depth=2
	s_or_b64 exec, exec, s[60:61]
	s_lshl_b64 s[52:53], s[58:59], 3
	v_mov_b32_e32 v22, s53
	v_add_co_u32_e64 v21, s[52:53], s52, v83
	v_addc_co_u32_e64 v22, s[52:53], v84, v22, s[52:53]
	v_cmp_lt_u32_e64 s[52:53], v73, v96
	s_and_saveexec_b64 s[60:61], s[52:53]
	s_xor_b64 s[52:53], exec, s[60:61]
	s_cbranch_execnz .LBB1773_159
; %bb.125:                              ;   in Loop: Header=BB1773_69 Depth=2
	s_or_b64 exec, exec, s[52:53]
	v_cmp_lt_u32_e64 s[52:53], v74, v96
	s_and_saveexec_b64 s[60:61], s[52:53]
	s_cbranch_execnz .LBB1773_160
.LBB1773_126:                           ;   in Loop: Header=BB1773_69 Depth=2
	s_or_b64 exec, exec, s[60:61]
	v_cmp_lt_u32_e64 s[52:53], v75, v96
	s_and_saveexec_b64 s[60:61], s[52:53]
	s_cbranch_execnz .LBB1773_161
.LBB1773_127:                           ;   in Loop: Header=BB1773_69 Depth=2
	s_or_b64 exec, exec, s[60:61]
	v_cmp_lt_u32_e64 s[52:53], v76, v96
	s_and_saveexec_b64 s[60:61], s[52:53]
	s_cbranch_execnz .LBB1773_162
.LBB1773_128:                           ;   in Loop: Header=BB1773_69 Depth=2
	s_or_b64 exec, exec, s[60:61]
	v_cmp_lt_u32_e64 s[52:53], v77, v96
	s_and_saveexec_b64 s[60:61], s[52:53]
	s_cbranch_execnz .LBB1773_163
.LBB1773_129:                           ;   in Loop: Header=BB1773_69 Depth=2
	s_or_b64 exec, exec, s[60:61]
	v_cmp_lt_u32_e64 s[52:53], v78, v96
	s_and_saveexec_b64 s[60:61], s[52:53]
	s_cbranch_execnz .LBB1773_164
.LBB1773_130:                           ;   in Loop: Header=BB1773_69 Depth=2
	s_or_b64 exec, exec, s[60:61]
	v_cmp_lt_u32_e64 s[52:53], v79, v96
	s_and_saveexec_b64 s[60:61], s[52:53]
	s_cbranch_execnz .LBB1773_165
.LBB1773_131:                           ;   in Loop: Header=BB1773_69 Depth=2
	s_or_b64 exec, exec, s[60:61]
	v_cmp_lt_u32_e64 s[52:53], v80, v96
	s_and_saveexec_b64 s[60:61], s[52:53]
	s_cbranch_execnz .LBB1773_166
.LBB1773_132:                           ;   in Loop: Header=BB1773_69 Depth=2
	s_or_b64 exec, exec, s[60:61]
	s_and_saveexec_b64 s[60:61], vcc
	s_cbranch_execnz .LBB1773_167
.LBB1773_133:                           ;   in Loop: Header=BB1773_69 Depth=2
	s_or_b64 exec, exec, s[60:61]
	s_and_saveexec_b64 s[60:61], s[36:37]
	s_cbranch_execnz .LBB1773_168
.LBB1773_134:                           ;   in Loop: Header=BB1773_69 Depth=2
	s_or_b64 exec, exec, s[60:61]
	s_and_saveexec_b64 s[60:61], s[38:39]
	s_cbranch_execnz .LBB1773_169
.LBB1773_135:                           ;   in Loop: Header=BB1773_69 Depth=2
	s_or_b64 exec, exec, s[60:61]
	s_and_saveexec_b64 s[60:61], s[40:41]
	s_cbranch_execnz .LBB1773_170
.LBB1773_136:                           ;   in Loop: Header=BB1773_69 Depth=2
	s_or_b64 exec, exec, s[60:61]
	s_and_saveexec_b64 s[60:61], s[42:43]
	s_cbranch_execnz .LBB1773_171
.LBB1773_137:                           ;   in Loop: Header=BB1773_69 Depth=2
	s_or_b64 exec, exec, s[60:61]
	s_and_saveexec_b64 s[60:61], s[44:45]
	s_cbranch_execnz .LBB1773_172
.LBB1773_138:                           ;   in Loop: Header=BB1773_69 Depth=2
	s_or_b64 exec, exec, s[60:61]
	s_and_saveexec_b64 s[60:61], s[46:47]
	s_cbranch_execnz .LBB1773_173
.LBB1773_139:                           ;   in Loop: Header=BB1773_69 Depth=2
	s_or_b64 exec, exec, s[60:61]
	s_and_saveexec_b64 s[60:61], s[48:49]
	s_cbranch_execz .LBB1773_141
.LBB1773_140:                           ;   in Loop: Header=BB1773_69 Depth=2
	ds_read_u16 v21, v47 offset:4608
	s_waitcnt lgkmcnt(0)
	v_cmp_ne_u16_e64 s[52:53], s62, v21
	v_cndmask_b32_e64 v21, v65, v21, s[52:53]
	v_lshrrev_b32_sdwa v21, s63, v21 dst_sel:DWORD dst_unused:UNUSED_PAD src0_sel:DWORD src1_sel:WORD_0
	v_and_b32_e32 v87, s70, v21
.LBB1773_141:                           ;   in Loop: Header=BB1773_69 Depth=2
	s_or_b64 exec, exec, s[60:61]
	v_lshlrev_b32_e32 v21, 3, v108
	s_waitcnt vmcnt(0)
	s_barrier
	ds_write_b64 v21, v[19:20] offset:1024
	v_lshlrev_b32_e32 v21, 3, v105
	ds_write_b64 v21, v[17:18] offset:1024
	v_lshlrev_b32_e32 v21, 3, v102
	;; [unrolled: 2-line block ×7, first 2 shown]
	ds_write_b64 v21, v[5:6] offset:1024
	s_waitcnt lgkmcnt(0)
	s_barrier
	s_and_saveexec_b64 s[52:53], vcc
	s_cbranch_execnz .LBB1773_174
; %bb.142:                              ;   in Loop: Header=BB1773_69 Depth=2
	s_or_b64 exec, exec, s[52:53]
	s_and_saveexec_b64 s[52:53], s[36:37]
	s_cbranch_execnz .LBB1773_175
.LBB1773_143:                           ;   in Loop: Header=BB1773_69 Depth=2
	s_or_b64 exec, exec, s[52:53]
	s_and_saveexec_b64 s[36:37], s[38:39]
	s_cbranch_execnz .LBB1773_176
.LBB1773_144:                           ;   in Loop: Header=BB1773_69 Depth=2
	s_or_b64 exec, exec, s[36:37]
	s_and_saveexec_b64 s[36:37], s[40:41]
	s_cbranch_execnz .LBB1773_177
.LBB1773_145:                           ;   in Loop: Header=BB1773_69 Depth=2
	s_or_b64 exec, exec, s[36:37]
	s_and_saveexec_b64 s[36:37], s[42:43]
	s_cbranch_execnz .LBB1773_178
.LBB1773_146:                           ;   in Loop: Header=BB1773_69 Depth=2
	s_or_b64 exec, exec, s[36:37]
	s_and_saveexec_b64 s[36:37], s[44:45]
	s_cbranch_execnz .LBB1773_179
.LBB1773_147:                           ;   in Loop: Header=BB1773_69 Depth=2
	s_or_b64 exec, exec, s[36:37]
	s_and_saveexec_b64 s[36:37], s[46:47]
	s_cbranch_execnz .LBB1773_180
.LBB1773_148:                           ;   in Loop: Header=BB1773_69 Depth=2
	s_or_b64 exec, exec, s[36:37]
	s_and_saveexec_b64 s[36:37], s[48:49]
	s_cbranch_execz .LBB1773_150
.LBB1773_149:                           ;   in Loop: Header=BB1773_69 Depth=2
	v_lshlrev_b32_e32 v21, 2, v87
	ds_read_b32 v23, v21
	v_add_u32_e32 v21, v47, v48
	ds_read_b64 v[21:22], v21 offset:15360
	v_mov_b32_e32 v24, v3
	v_mov_b32_e32 v96, s73
	s_waitcnt lgkmcnt(1)
	v_add_u32_e32 v23, v23, v34
	v_lshlrev_b64 v[23:24], 3, v[23:24]
	v_add_co_u32_e32 v23, vcc, s72, v23
	v_addc_co_u32_e32 v24, vcc, v96, v24, vcc
	s_waitcnt lgkmcnt(0)
	global_store_dwordx2 v[23:24], v[21:22], off
.LBB1773_150:                           ;   in Loop: Header=BB1773_69 Depth=2
	s_or_b64 exec, exec, s[36:37]
	s_waitcnt vmcnt(0)
	s_barrier
	s_and_saveexec_b64 s[36:37], s[4:5]
	s_cbranch_execz .LBB1773_68
; %bb.151:                              ;   in Loop: Header=BB1773_69 Depth=2
	ds_read_b32 v21, v25
	s_waitcnt lgkmcnt(0)
	v_add_u32_e32 v4, v21, v4
	ds_write_b32 v25, v4
	s_branch .LBB1773_68
.LBB1773_152:                           ;   in Loop: Header=BB1773_69 Depth=2
	ds_read_u16 v21, v47 offset:1024
	v_mov_b32_e32 v22, v3
	v_mov_b32_e32 v99, s67
	s_waitcnt lgkmcnt(0)
	v_cmp_ne_u16_e64 s[36:37], s62, v21
	v_cndmask_b32_e64 v97, v65, v21, s[36:37]
	v_lshrrev_b32_sdwa v97, s63, v97 dst_sel:DWORD dst_unused:UNUSED_PAD src0_sel:DWORD src1_sel:WORD_0
	v_and_b32_e32 v97, s70, v97
	v_lshlrev_b32_e32 v97, 2, v97
	ds_read_b32 v97, v97
	v_cmp_gt_i16_e64 s[36:37], 0, v21
	v_cndmask_b32_e64 v103, v65, 0, s[36:37]
	v_xor_b32_e32 v103, v103, v21
	s_waitcnt lgkmcnt(0)
	v_add_u32_e32 v21, v97, v0
	v_lshlrev_b64 v[21:22], 1, v[21:22]
	v_add_co_u32_e64 v21, s[36:37], s66, v21
	v_addc_co_u32_e64 v22, s[36:37], v99, v22, s[36:37]
	global_store_short v[21:22], v103, off
	s_or_b64 exec, exec, s[38:39]
	v_cmp_lt_u32_e64 s[36:37], v26, v96
	s_and_saveexec_b64 s[40:41], s[36:37]
	s_cbranch_execz .LBB1773_117
.LBB1773_153:                           ;   in Loop: Header=BB1773_69 Depth=2
	ds_read_u16 v21, v47 offset:1536
	v_mov_b32_e32 v22, v3
	v_mov_b32_e32 v99, s67
	s_waitcnt lgkmcnt(0)
	v_cmp_ne_u16_e64 s[38:39], s62, v21
	v_cndmask_b32_e64 v97, v65, v21, s[38:39]
	v_lshrrev_b32_sdwa v97, s63, v97 dst_sel:DWORD dst_unused:UNUSED_PAD src0_sel:DWORD src1_sel:WORD_0
	v_and_b32_e32 v97, s70, v97
	v_lshlrev_b32_e32 v97, 2, v97
	ds_read_b32 v97, v97
	v_cmp_gt_i16_e64 s[38:39], 0, v21
	v_cndmask_b32_e64 v103, v65, 0, s[38:39]
	v_xor_b32_e32 v103, v103, v21
	s_waitcnt lgkmcnt(0)
	v_add_u32_e32 v21, v97, v26
	v_lshlrev_b64 v[21:22], 1, v[21:22]
	v_add_co_u32_e64 v21, s[38:39], s66, v21
	v_addc_co_u32_e64 v22, s[38:39], v99, v22, s[38:39]
	global_store_short v[21:22], v103, off
	s_or_b64 exec, exec, s[40:41]
	v_cmp_lt_u32_e64 s[38:39], v27, v96
	s_and_saveexec_b64 s[42:43], s[38:39]
	s_cbranch_execz .LBB1773_118
.LBB1773_154:                           ;   in Loop: Header=BB1773_69 Depth=2
	ds_read_u16 v21, v47 offset:2048
	v_mov_b32_e32 v22, v3
	v_mov_b32_e32 v99, s67
	s_waitcnt lgkmcnt(0)
	v_cmp_ne_u16_e64 s[40:41], s62, v21
	v_cndmask_b32_e64 v97, v65, v21, s[40:41]
	v_lshrrev_b32_sdwa v97, s63, v97 dst_sel:DWORD dst_unused:UNUSED_PAD src0_sel:DWORD src1_sel:WORD_0
	v_and_b32_e32 v97, s70, v97
	v_lshlrev_b32_e32 v97, 2, v97
	ds_read_b32 v97, v97
	v_cmp_gt_i16_e64 s[40:41], 0, v21
	v_cndmask_b32_e64 v103, v65, 0, s[40:41]
	v_xor_b32_e32 v103, v103, v21
	s_waitcnt lgkmcnt(0)
	v_add_u32_e32 v21, v97, v27
	v_lshlrev_b64 v[21:22], 1, v[21:22]
	v_add_co_u32_e64 v21, s[40:41], s66, v21
	v_addc_co_u32_e64 v22, s[40:41], v99, v22, s[40:41]
	global_store_short v[21:22], v103, off
	s_or_b64 exec, exec, s[42:43]
	v_cmp_lt_u32_e64 s[40:41], v28, v96
	s_and_saveexec_b64 s[44:45], s[40:41]
	s_cbranch_execz .LBB1773_119
.LBB1773_155:                           ;   in Loop: Header=BB1773_69 Depth=2
	ds_read_u16 v21, v47 offset:2560
	v_mov_b32_e32 v22, v3
	v_mov_b32_e32 v99, s67
	s_waitcnt lgkmcnt(0)
	v_cmp_ne_u16_e64 s[42:43], s62, v21
	v_cndmask_b32_e64 v97, v65, v21, s[42:43]
	v_lshrrev_b32_sdwa v97, s63, v97 dst_sel:DWORD dst_unused:UNUSED_PAD src0_sel:DWORD src1_sel:WORD_0
	v_and_b32_e32 v97, s70, v97
	v_lshlrev_b32_e32 v97, 2, v97
	ds_read_b32 v97, v97
	v_cmp_gt_i16_e64 s[42:43], 0, v21
	v_cndmask_b32_e64 v103, v65, 0, s[42:43]
	v_xor_b32_e32 v103, v103, v21
	s_waitcnt lgkmcnt(0)
	v_add_u32_e32 v21, v97, v28
	v_lshlrev_b64 v[21:22], 1, v[21:22]
	v_add_co_u32_e64 v21, s[42:43], s66, v21
	v_addc_co_u32_e64 v22, s[42:43], v99, v22, s[42:43]
	global_store_short v[21:22], v103, off
	s_or_b64 exec, exec, s[44:45]
	v_cmp_lt_u32_e64 s[42:43], v31, v96
	s_and_saveexec_b64 s[46:47], s[42:43]
	s_cbranch_execz .LBB1773_120
.LBB1773_156:                           ;   in Loop: Header=BB1773_69 Depth=2
	ds_read_u16 v21, v47 offset:3072
	v_mov_b32_e32 v22, v3
	v_mov_b32_e32 v99, s67
	s_waitcnt lgkmcnt(0)
	v_cmp_ne_u16_e64 s[44:45], s62, v21
	v_cndmask_b32_e64 v97, v65, v21, s[44:45]
	v_lshrrev_b32_sdwa v97, s63, v97 dst_sel:DWORD dst_unused:UNUSED_PAD src0_sel:DWORD src1_sel:WORD_0
	v_and_b32_e32 v97, s70, v97
	v_lshlrev_b32_e32 v97, 2, v97
	ds_read_b32 v97, v97
	v_cmp_gt_i16_e64 s[44:45], 0, v21
	v_cndmask_b32_e64 v103, v65, 0, s[44:45]
	v_xor_b32_e32 v103, v103, v21
	s_waitcnt lgkmcnt(0)
	v_add_u32_e32 v21, v97, v31
	v_lshlrev_b64 v[21:22], 1, v[21:22]
	v_add_co_u32_e64 v21, s[44:45], s66, v21
	v_addc_co_u32_e64 v22, s[44:45], v99, v22, s[44:45]
	global_store_short v[21:22], v103, off
	s_or_b64 exec, exec, s[46:47]
	v_cmp_lt_u32_e64 s[44:45], v32, v96
	s_and_saveexec_b64 s[48:49], s[44:45]
	s_cbranch_execz .LBB1773_121
.LBB1773_157:                           ;   in Loop: Header=BB1773_69 Depth=2
	ds_read_u16 v21, v47 offset:3584
	v_mov_b32_e32 v22, v3
	v_mov_b32_e32 v99, s67
	s_waitcnt lgkmcnt(0)
	v_cmp_ne_u16_e64 s[46:47], s62, v21
	v_cndmask_b32_e64 v97, v65, v21, s[46:47]
	v_lshrrev_b32_sdwa v97, s63, v97 dst_sel:DWORD dst_unused:UNUSED_PAD src0_sel:DWORD src1_sel:WORD_0
	v_and_b32_e32 v97, s70, v97
	v_lshlrev_b32_e32 v97, 2, v97
	ds_read_b32 v97, v97
	v_cmp_gt_i16_e64 s[46:47], 0, v21
	v_cndmask_b32_e64 v103, v65, 0, s[46:47]
	v_xor_b32_e32 v103, v103, v21
	s_waitcnt lgkmcnt(0)
	v_add_u32_e32 v21, v97, v32
	v_lshlrev_b64 v[21:22], 1, v[21:22]
	v_add_co_u32_e64 v21, s[46:47], s66, v21
	v_addc_co_u32_e64 v22, s[46:47], v99, v22, s[46:47]
	global_store_short v[21:22], v103, off
	s_or_b64 exec, exec, s[48:49]
	v_cmp_lt_u32_e64 s[46:47], v33, v96
	s_and_saveexec_b64 s[52:53], s[46:47]
	s_cbranch_execz .LBB1773_122
.LBB1773_158:                           ;   in Loop: Header=BB1773_69 Depth=2
	ds_read_u16 v21, v47 offset:4096
	v_mov_b32_e32 v22, v3
	v_mov_b32_e32 v99, s67
	s_waitcnt lgkmcnt(0)
	v_cmp_ne_u16_e64 s[48:49], s62, v21
	v_cndmask_b32_e64 v97, v65, v21, s[48:49]
	v_lshrrev_b32_sdwa v97, s63, v97 dst_sel:DWORD dst_unused:UNUSED_PAD src0_sel:DWORD src1_sel:WORD_0
	v_and_b32_e32 v97, s70, v97
	v_lshlrev_b32_e32 v97, 2, v97
	ds_read_b32 v97, v97
	v_cmp_gt_i16_e64 s[48:49], 0, v21
	v_cndmask_b32_e64 v103, v65, 0, s[48:49]
	v_xor_b32_e32 v103, v103, v21
	s_waitcnt lgkmcnt(0)
	v_add_u32_e32 v21, v97, v33
	v_lshlrev_b64 v[21:22], 1, v[21:22]
	v_add_co_u32_e64 v21, s[48:49], s66, v21
	v_addc_co_u32_e64 v22, s[48:49], v99, v22, s[48:49]
	global_store_short v[21:22], v103, off
	s_or_b64 exec, exec, s[52:53]
	v_cmp_lt_u32_e64 s[48:49], v34, v96
	s_and_saveexec_b64 s[60:61], s[48:49]
	s_cbranch_execnz .LBB1773_123
	s_branch .LBB1773_124
.LBB1773_159:                           ;   in Loop: Header=BB1773_69 Depth=2
	global_load_dwordx2 v[19:20], v[21:22], off
	s_or_b64 exec, exec, s[52:53]
	v_cmp_lt_u32_e64 s[52:53], v74, v96
	s_and_saveexec_b64 s[60:61], s[52:53]
	s_cbranch_execz .LBB1773_126
.LBB1773_160:                           ;   in Loop: Header=BB1773_69 Depth=2
	global_load_dwordx2 v[17:18], v[21:22], off offset:512
	s_or_b64 exec, exec, s[60:61]
	v_cmp_lt_u32_e64 s[52:53], v75, v96
	s_and_saveexec_b64 s[60:61], s[52:53]
	s_cbranch_execz .LBB1773_127
.LBB1773_161:                           ;   in Loop: Header=BB1773_69 Depth=2
	global_load_dwordx2 v[15:16], v[21:22], off offset:1024
	s_or_b64 exec, exec, s[60:61]
	v_cmp_lt_u32_e64 s[52:53], v76, v96
	s_and_saveexec_b64 s[60:61], s[52:53]
	s_cbranch_execz .LBB1773_128
.LBB1773_162:                           ;   in Loop: Header=BB1773_69 Depth=2
	global_load_dwordx2 v[13:14], v[21:22], off offset:1536
	s_or_b64 exec, exec, s[60:61]
	v_cmp_lt_u32_e64 s[52:53], v77, v96
	s_and_saveexec_b64 s[60:61], s[52:53]
	s_cbranch_execz .LBB1773_129
.LBB1773_163:                           ;   in Loop: Header=BB1773_69 Depth=2
	global_load_dwordx2 v[11:12], v[21:22], off offset:2048
	s_or_b64 exec, exec, s[60:61]
	v_cmp_lt_u32_e64 s[52:53], v78, v96
	s_and_saveexec_b64 s[60:61], s[52:53]
	s_cbranch_execz .LBB1773_130
.LBB1773_164:                           ;   in Loop: Header=BB1773_69 Depth=2
	global_load_dwordx2 v[9:10], v[21:22], off offset:2560
	s_or_b64 exec, exec, s[60:61]
	v_cmp_lt_u32_e64 s[52:53], v79, v96
	s_and_saveexec_b64 s[60:61], s[52:53]
	s_cbranch_execz .LBB1773_131
.LBB1773_165:                           ;   in Loop: Header=BB1773_69 Depth=2
	global_load_dwordx2 v[7:8], v[21:22], off offset:3072
	s_or_b64 exec, exec, s[60:61]
	v_cmp_lt_u32_e64 s[52:53], v80, v96
	s_and_saveexec_b64 s[60:61], s[52:53]
	s_cbranch_execz .LBB1773_132
.LBB1773_166:                           ;   in Loop: Header=BB1773_69 Depth=2
	global_load_dwordx2 v[5:6], v[21:22], off offset:3584
	s_or_b64 exec, exec, s[60:61]
	s_and_saveexec_b64 s[60:61], vcc
	s_cbranch_execz .LBB1773_133
.LBB1773_167:                           ;   in Loop: Header=BB1773_69 Depth=2
	ds_read_u16 v21, v47 offset:1024
	s_waitcnt lgkmcnt(0)
	v_cmp_ne_u16_e64 s[52:53], s62, v21
	v_cndmask_b32_e64 v21, v65, v21, s[52:53]
	v_lshrrev_b32_sdwa v21, s63, v21 dst_sel:DWORD dst_unused:UNUSED_PAD src0_sel:DWORD src1_sel:WORD_0
	v_and_b32_e32 v95, s70, v21
	s_or_b64 exec, exec, s[60:61]
	s_and_saveexec_b64 s[60:61], s[36:37]
	s_cbranch_execz .LBB1773_134
.LBB1773_168:                           ;   in Loop: Header=BB1773_69 Depth=2
	ds_read_u16 v21, v47 offset:1536
	s_waitcnt lgkmcnt(0)
	v_cmp_ne_u16_e64 s[52:53], s62, v21
	v_cndmask_b32_e64 v21, v65, v21, s[52:53]
	v_lshrrev_b32_sdwa v21, s63, v21 dst_sel:DWORD dst_unused:UNUSED_PAD src0_sel:DWORD src1_sel:WORD_0
	v_and_b32_e32 v94, s70, v21
	s_or_b64 exec, exec, s[60:61]
	s_and_saveexec_b64 s[60:61], s[38:39]
	s_cbranch_execz .LBB1773_135
.LBB1773_169:                           ;   in Loop: Header=BB1773_69 Depth=2
	ds_read_u16 v21, v47 offset:2048
	s_waitcnt lgkmcnt(0)
	v_cmp_ne_u16_e64 s[52:53], s62, v21
	v_cndmask_b32_e64 v21, v65, v21, s[52:53]
	v_lshrrev_b32_sdwa v21, s63, v21 dst_sel:DWORD dst_unused:UNUSED_PAD src0_sel:DWORD src1_sel:WORD_0
	v_and_b32_e32 v93, s70, v21
	s_or_b64 exec, exec, s[60:61]
	s_and_saveexec_b64 s[60:61], s[40:41]
	s_cbranch_execz .LBB1773_136
.LBB1773_170:                           ;   in Loop: Header=BB1773_69 Depth=2
	ds_read_u16 v21, v47 offset:2560
	s_waitcnt lgkmcnt(0)
	v_cmp_ne_u16_e64 s[52:53], s62, v21
	v_cndmask_b32_e64 v21, v65, v21, s[52:53]
	v_lshrrev_b32_sdwa v21, s63, v21 dst_sel:DWORD dst_unused:UNUSED_PAD src0_sel:DWORD src1_sel:WORD_0
	v_and_b32_e32 v92, s70, v21
	s_or_b64 exec, exec, s[60:61]
	s_and_saveexec_b64 s[60:61], s[42:43]
	s_cbranch_execz .LBB1773_137
.LBB1773_171:                           ;   in Loop: Header=BB1773_69 Depth=2
	ds_read_u16 v21, v47 offset:3072
	s_waitcnt lgkmcnt(0)
	v_cmp_ne_u16_e64 s[52:53], s62, v21
	v_cndmask_b32_e64 v21, v65, v21, s[52:53]
	v_lshrrev_b32_sdwa v21, s63, v21 dst_sel:DWORD dst_unused:UNUSED_PAD src0_sel:DWORD src1_sel:WORD_0
	v_and_b32_e32 v90, s70, v21
	s_or_b64 exec, exec, s[60:61]
	s_and_saveexec_b64 s[60:61], s[44:45]
	s_cbranch_execz .LBB1773_138
.LBB1773_172:                           ;   in Loop: Header=BB1773_69 Depth=2
	ds_read_u16 v21, v47 offset:3584
	s_waitcnt lgkmcnt(0)
	v_cmp_ne_u16_e64 s[52:53], s62, v21
	v_cndmask_b32_e64 v21, v65, v21, s[52:53]
	v_lshrrev_b32_sdwa v21, s63, v21 dst_sel:DWORD dst_unused:UNUSED_PAD src0_sel:DWORD src1_sel:WORD_0
	v_and_b32_e32 v89, s70, v21
	s_or_b64 exec, exec, s[60:61]
	s_and_saveexec_b64 s[60:61], s[46:47]
	s_cbranch_execz .LBB1773_139
.LBB1773_173:                           ;   in Loop: Header=BB1773_69 Depth=2
	ds_read_u16 v21, v47 offset:4096
	s_waitcnt lgkmcnt(0)
	v_cmp_ne_u16_e64 s[52:53], s62, v21
	v_cndmask_b32_e64 v21, v65, v21, s[52:53]
	v_lshrrev_b32_sdwa v21, s63, v21 dst_sel:DWORD dst_unused:UNUSED_PAD src0_sel:DWORD src1_sel:WORD_0
	v_and_b32_e32 v88, s70, v21
	s_or_b64 exec, exec, s[60:61]
	s_and_saveexec_b64 s[60:61], s[48:49]
	s_cbranch_execnz .LBB1773_140
	s_branch .LBB1773_141
.LBB1773_174:                           ;   in Loop: Header=BB1773_69 Depth=2
	v_lshlrev_b32_e32 v21, 2, v95
	ds_read_b32 v23, v21
	v_add_u32_e32 v21, v47, v48
	ds_read_b64 v[21:22], v21 offset:1024
	v_mov_b32_e32 v24, v3
	v_mov_b32_e32 v96, s73
	s_waitcnt lgkmcnt(1)
	v_add_u32_e32 v23, v23, v0
	v_lshlrev_b64 v[23:24], 3, v[23:24]
	v_add_co_u32_e32 v23, vcc, s72, v23
	v_addc_co_u32_e32 v24, vcc, v96, v24, vcc
	s_waitcnt lgkmcnt(0)
	global_store_dwordx2 v[23:24], v[21:22], off
	s_or_b64 exec, exec, s[52:53]
	s_and_saveexec_b64 s[52:53], s[36:37]
	s_cbranch_execz .LBB1773_143
.LBB1773_175:                           ;   in Loop: Header=BB1773_69 Depth=2
	v_lshlrev_b32_e32 v21, 2, v94
	ds_read_b32 v23, v21
	v_add_u32_e32 v21, v47, v48
	ds_read_b64 v[21:22], v21 offset:3072
	v_mov_b32_e32 v24, v3
	v_mov_b32_e32 v96, s73
	s_waitcnt lgkmcnt(1)
	v_add_u32_e32 v23, v23, v26
	v_lshlrev_b64 v[23:24], 3, v[23:24]
	v_add_co_u32_e32 v23, vcc, s72, v23
	v_addc_co_u32_e32 v24, vcc, v96, v24, vcc
	s_waitcnt lgkmcnt(0)
	global_store_dwordx2 v[23:24], v[21:22], off
	s_or_b64 exec, exec, s[52:53]
	s_and_saveexec_b64 s[36:37], s[38:39]
	s_cbranch_execz .LBB1773_144
.LBB1773_176:                           ;   in Loop: Header=BB1773_69 Depth=2
	v_lshlrev_b32_e32 v21, 2, v93
	ds_read_b32 v23, v21
	v_add_u32_e32 v21, v47, v48
	ds_read_b64 v[21:22], v21 offset:5120
	v_mov_b32_e32 v24, v3
	v_mov_b32_e32 v96, s73
	s_waitcnt lgkmcnt(1)
	v_add_u32_e32 v23, v23, v27
	v_lshlrev_b64 v[23:24], 3, v[23:24]
	v_add_co_u32_e32 v23, vcc, s72, v23
	v_addc_co_u32_e32 v24, vcc, v96, v24, vcc
	s_waitcnt lgkmcnt(0)
	global_store_dwordx2 v[23:24], v[21:22], off
	s_or_b64 exec, exec, s[36:37]
	s_and_saveexec_b64 s[36:37], s[40:41]
	s_cbranch_execz .LBB1773_145
.LBB1773_177:                           ;   in Loop: Header=BB1773_69 Depth=2
	v_lshlrev_b32_e32 v21, 2, v92
	ds_read_b32 v23, v21
	v_add_u32_e32 v21, v47, v48
	ds_read_b64 v[21:22], v21 offset:7168
	v_mov_b32_e32 v24, v3
	v_mov_b32_e32 v96, s73
	s_waitcnt lgkmcnt(1)
	v_add_u32_e32 v23, v23, v28
	v_lshlrev_b64 v[23:24], 3, v[23:24]
	v_add_co_u32_e32 v23, vcc, s72, v23
	v_addc_co_u32_e32 v24, vcc, v96, v24, vcc
	s_waitcnt lgkmcnt(0)
	global_store_dwordx2 v[23:24], v[21:22], off
	s_or_b64 exec, exec, s[36:37]
	s_and_saveexec_b64 s[36:37], s[42:43]
	s_cbranch_execz .LBB1773_146
.LBB1773_178:                           ;   in Loop: Header=BB1773_69 Depth=2
	v_lshlrev_b32_e32 v21, 2, v90
	ds_read_b32 v23, v21
	v_add_u32_e32 v21, v47, v48
	ds_read_b64 v[21:22], v21 offset:9216
	v_mov_b32_e32 v24, v3
	v_mov_b32_e32 v96, s73
	s_waitcnt lgkmcnt(1)
	v_add_u32_e32 v23, v23, v31
	v_lshlrev_b64 v[23:24], 3, v[23:24]
	v_add_co_u32_e32 v23, vcc, s72, v23
	v_addc_co_u32_e32 v24, vcc, v96, v24, vcc
	s_waitcnt lgkmcnt(0)
	global_store_dwordx2 v[23:24], v[21:22], off
	s_or_b64 exec, exec, s[36:37]
	s_and_saveexec_b64 s[36:37], s[44:45]
	s_cbranch_execz .LBB1773_147
.LBB1773_179:                           ;   in Loop: Header=BB1773_69 Depth=2
	v_lshlrev_b32_e32 v21, 2, v89
	ds_read_b32 v23, v21
	v_add_u32_e32 v21, v47, v48
	ds_read_b64 v[21:22], v21 offset:11264
	v_mov_b32_e32 v24, v3
	v_mov_b32_e32 v96, s73
	s_waitcnt lgkmcnt(1)
	v_add_u32_e32 v23, v23, v32
	v_lshlrev_b64 v[23:24], 3, v[23:24]
	v_add_co_u32_e32 v23, vcc, s72, v23
	v_addc_co_u32_e32 v24, vcc, v96, v24, vcc
	s_waitcnt lgkmcnt(0)
	global_store_dwordx2 v[23:24], v[21:22], off
	s_or_b64 exec, exec, s[36:37]
	s_and_saveexec_b64 s[36:37], s[46:47]
	s_cbranch_execz .LBB1773_148
.LBB1773_180:                           ;   in Loop: Header=BB1773_69 Depth=2
	v_lshlrev_b32_e32 v21, 2, v88
	ds_read_b32 v23, v21
	v_add_u32_e32 v21, v47, v48
	ds_read_b64 v[21:22], v21 offset:13312
	v_mov_b32_e32 v24, v3
	v_mov_b32_e32 v96, s73
	s_waitcnt lgkmcnt(1)
	v_add_u32_e32 v23, v23, v33
	v_lshlrev_b64 v[23:24], 3, v[23:24]
	v_add_co_u32_e32 v23, vcc, s72, v23
	v_addc_co_u32_e32 v24, vcc, v96, v24, vcc
	s_waitcnt lgkmcnt(0)
	global_store_dwordx2 v[23:24], v[21:22], off
	s_or_b64 exec, exec, s[36:37]
	s_and_saveexec_b64 s[36:37], s[48:49]
	s_cbranch_execnz .LBB1773_149
	s_branch .LBB1773_150
.LBB1773_181:                           ;   in Loop: Header=BB1773_17 Depth=1
	s_waitcnt lgkmcnt(0)
	s_barrier
	s_mov_b64 s[16:17], 0
.LBB1773_182:                           ;   in Loop: Header=BB1773_17 Depth=1
	s_and_b64 vcc, exec, s[16:17]
	s_cbranch_vccz .LBB1773_346
; %bb.183:                              ;   in Loop: Header=BB1773_17 Depth=1
	s_mov_b32 s20, s79
	s_mov_b32 s58, s51
	s_barrier
                                        ; implicit-def: $vgpr4
                                        ; implicit-def: $vgpr5
                                        ; implicit-def: $vgpr6
                                        ; implicit-def: $vgpr7
                                        ; implicit-def: $vgpr8
                                        ; implicit-def: $vgpr9
                                        ; implicit-def: $vgpr10
                                        ; implicit-def: $vgpr11
	s_branch .LBB1773_185
.LBB1773_184:                           ;   in Loop: Header=BB1773_185 Depth=2
	s_or_b64 exec, exec, s[16:17]
	s_addk_i32 s20, 0xf800
	s_cmp_ge_u32 s21, s80
	s_mov_b32 s58, s21
	s_cbranch_scc1 .LBB1773_221
.LBB1773_185:                           ;   Parent Loop BB1773_17 Depth=1
                                        ; =>  This Inner Loop Header: Depth=2
	s_add_i32 s21, s58, 0x800
	s_cmp_gt_u32 s21, s80
	s_mov_b64 s[16:17], -1
                                        ; implicit-def: $vgpr12
                                        ; implicit-def: $vgpr13
                                        ; implicit-def: $vgpr14
                                        ; implicit-def: $vgpr15
                                        ; implicit-def: $vgpr16
                                        ; implicit-def: $vgpr17
                                        ; implicit-def: $vgpr18
                                        ; implicit-def: $vgpr19
	s_cbranch_scc1 .LBB1773_187
; %bb.186:                              ;   in Loop: Header=BB1773_185 Depth=2
	s_lshl_b64 s[16:17], s[58:59], 1
	v_mov_b32_e32 v12, s17
	v_add_co_u32_e32 v20, vcc, s16, v49
	v_addc_co_u32_e32 v21, vcc, v50, v12, vcc
	global_load_ushort v12, v[20:21], off
	global_load_ushort v13, v[20:21], off offset:512
	global_load_ushort v14, v[20:21], off offset:1024
	;; [unrolled: 1-line block ×7, first 2 shown]
	s_mov_b64 s[16:17], 0
.LBB1773_187:                           ;   in Loop: Header=BB1773_185 Depth=2
	s_andn2_b64 vcc, exec, s[16:17]
	s_movk_i32 s18, 0x800
	s_cbranch_vccnz .LBB1773_198
; %bb.188:                              ;   in Loop: Header=BB1773_185 Depth=2
	s_lshl_b64 s[16:17], s[58:59], 1
	s_add_u32 s16, s66, s16
	s_addc_u32 s17, s67, s17
	v_cmp_gt_u32_e32 vcc, s20, v0
	s_and_saveexec_b64 s[18:19], vcc
	s_cbranch_execnz .LBB1773_214
; %bb.189:                              ;   in Loop: Header=BB1773_185 Depth=2
	s_or_b64 exec, exec, s[18:19]
	v_cmp_gt_u32_e32 vcc, s20, v26
	s_and_saveexec_b64 s[18:19], vcc
	s_cbranch_execnz .LBB1773_215
.LBB1773_190:                           ;   in Loop: Header=BB1773_185 Depth=2
	s_or_b64 exec, exec, s[18:19]
	v_cmp_gt_u32_e32 vcc, s20, v27
	s_and_saveexec_b64 s[18:19], vcc
	s_cbranch_execnz .LBB1773_216
.LBB1773_191:                           ;   in Loop: Header=BB1773_185 Depth=2
	s_or_b64 exec, exec, s[18:19]
	v_cmp_gt_u32_e32 vcc, s20, v28
	s_and_saveexec_b64 s[18:19], vcc
	s_cbranch_execnz .LBB1773_217
.LBB1773_192:                           ;   in Loop: Header=BB1773_185 Depth=2
	s_or_b64 exec, exec, s[18:19]
	v_cmp_gt_u32_e32 vcc, s20, v31
	s_and_saveexec_b64 s[18:19], vcc
	s_cbranch_execnz .LBB1773_218
.LBB1773_193:                           ;   in Loop: Header=BB1773_185 Depth=2
	s_or_b64 exec, exec, s[18:19]
	v_cmp_gt_u32_e32 vcc, s20, v32
	s_and_saveexec_b64 s[18:19], vcc
	s_cbranch_execnz .LBB1773_219
.LBB1773_194:                           ;   in Loop: Header=BB1773_185 Depth=2
	s_or_b64 exec, exec, s[18:19]
	v_cmp_gt_u32_e32 vcc, s20, v33
	s_and_saveexec_b64 s[18:19], vcc
	s_cbranch_execnz .LBB1773_220
.LBB1773_195:                           ;   in Loop: Header=BB1773_185 Depth=2
	s_or_b64 exec, exec, s[18:19]
	v_cmp_gt_u32_e32 vcc, s20, v34
	s_and_saveexec_b64 s[18:19], vcc
	s_cbranch_execz .LBB1773_197
.LBB1773_196:                           ;   in Loop: Header=BB1773_185 Depth=2
	global_load_ushort v4, v64, s[16:17] offset:3584
.LBB1773_197:                           ;   in Loop: Header=BB1773_185 Depth=2
	s_or_b64 exec, exec, s[18:19]
	s_mov_b32 s18, s20
	s_waitcnt vmcnt(0)
	v_mov_b32_e32 v12, v11
	v_mov_b32_e32 v13, v10
	;; [unrolled: 1-line block ×8, first 2 shown]
.LBB1773_198:                           ;   in Loop: Header=BB1773_185 Depth=2
	s_waitcnt vmcnt(0)
	v_mov_b32_e32 v4, v19
	v_mov_b32_e32 v5, v18
	;; [unrolled: 1-line block ×8, first 2 shown]
	v_cmp_gt_u32_e32 vcc, s18, v0
	s_and_saveexec_b64 s[16:17], vcc
	s_cbranch_execnz .LBB1773_206
; %bb.199:                              ;   in Loop: Header=BB1773_185 Depth=2
	s_or_b64 exec, exec, s[16:17]
	v_cmp_gt_u32_e32 vcc, s18, v26
	s_and_saveexec_b64 s[16:17], vcc
	s_cbranch_execnz .LBB1773_207
.LBB1773_200:                           ;   in Loop: Header=BB1773_185 Depth=2
	s_or_b64 exec, exec, s[16:17]
	v_cmp_gt_u32_e32 vcc, s18, v27
	s_and_saveexec_b64 s[16:17], vcc
	s_cbranch_execnz .LBB1773_208
.LBB1773_201:                           ;   in Loop: Header=BB1773_185 Depth=2
	s_or_b64 exec, exec, s[16:17]
	v_cmp_gt_u32_e32 vcc, s18, v28
	s_and_saveexec_b64 s[16:17], vcc
	s_cbranch_execnz .LBB1773_209
.LBB1773_202:                           ;   in Loop: Header=BB1773_185 Depth=2
	s_or_b64 exec, exec, s[16:17]
	v_cmp_gt_u32_e32 vcc, s18, v31
	s_and_saveexec_b64 s[16:17], vcc
	s_cbranch_execnz .LBB1773_210
.LBB1773_203:                           ;   in Loop: Header=BB1773_185 Depth=2
	s_or_b64 exec, exec, s[16:17]
	v_cmp_gt_u32_e32 vcc, s18, v32
	s_and_saveexec_b64 s[16:17], vcc
	s_cbranch_execnz .LBB1773_211
.LBB1773_204:                           ;   in Loop: Header=BB1773_185 Depth=2
	s_or_b64 exec, exec, s[16:17]
	v_cmp_gt_u32_e32 vcc, s18, v33
	s_and_saveexec_b64 s[16:17], vcc
	s_cbranch_execnz .LBB1773_212
.LBB1773_205:                           ;   in Loop: Header=BB1773_185 Depth=2
	s_or_b64 exec, exec, s[16:17]
	v_cmp_gt_u32_e32 vcc, s18, v34
	s_and_saveexec_b64 s[16:17], vcc
	s_cbranch_execz .LBB1773_184
	s_branch .LBB1773_213
.LBB1773_206:                           ;   in Loop: Header=BB1773_185 Depth=2
	v_cmp_gt_i16_e32 vcc, 0, v11
	v_cndmask_b32_e64 v12, v65, 0, vcc
	v_xor_b32_e32 v12, v12, v11
	v_cmp_ne_u16_e32 vcc, s62, v12
	v_cndmask_b32_e32 v12, v65, v12, vcc
	v_lshrrev_b32_sdwa v12, s63, v12 dst_sel:DWORD dst_unused:UNUSED_PAD src0_sel:DWORD src1_sel:WORD_0
	v_and_b32_e32 v12, s70, v12
	v_lshl_or_b32 v12, v12, 4, v35
	ds_add_u32 v12, v61
	s_or_b64 exec, exec, s[16:17]
	v_cmp_gt_u32_e32 vcc, s18, v26
	s_and_saveexec_b64 s[16:17], vcc
	s_cbranch_execz .LBB1773_200
.LBB1773_207:                           ;   in Loop: Header=BB1773_185 Depth=2
	v_cmp_gt_i16_e32 vcc, 0, v10
	v_cndmask_b32_e64 v12, v65, 0, vcc
	v_xor_b32_e32 v12, v12, v10
	v_cmp_ne_u16_e32 vcc, s62, v12
	v_cndmask_b32_e32 v12, v65, v12, vcc
	v_lshrrev_b32_sdwa v12, s63, v12 dst_sel:DWORD dst_unused:UNUSED_PAD src0_sel:DWORD src1_sel:WORD_0
	v_and_b32_e32 v12, s70, v12
	v_lshl_or_b32 v12, v12, 4, v35
	ds_add_u32 v12, v61
	s_or_b64 exec, exec, s[16:17]
	v_cmp_gt_u32_e32 vcc, s18, v27
	s_and_saveexec_b64 s[16:17], vcc
	s_cbranch_execz .LBB1773_201
.LBB1773_208:                           ;   in Loop: Header=BB1773_185 Depth=2
	v_cmp_gt_i16_e32 vcc, 0, v9
	v_cndmask_b32_e64 v12, v65, 0, vcc
	v_xor_b32_e32 v12, v12, v9
	v_cmp_ne_u16_e32 vcc, s62, v12
	v_cndmask_b32_e32 v12, v65, v12, vcc
	v_lshrrev_b32_sdwa v12, s63, v12 dst_sel:DWORD dst_unused:UNUSED_PAD src0_sel:DWORD src1_sel:WORD_0
	v_and_b32_e32 v12, s70, v12
	v_lshl_or_b32 v12, v12, 4, v35
	ds_add_u32 v12, v61
	s_or_b64 exec, exec, s[16:17]
	v_cmp_gt_u32_e32 vcc, s18, v28
	s_and_saveexec_b64 s[16:17], vcc
	s_cbranch_execz .LBB1773_202
.LBB1773_209:                           ;   in Loop: Header=BB1773_185 Depth=2
	v_cmp_gt_i16_e32 vcc, 0, v8
	v_cndmask_b32_e64 v12, v65, 0, vcc
	v_xor_b32_e32 v12, v12, v8
	v_cmp_ne_u16_e32 vcc, s62, v12
	v_cndmask_b32_e32 v12, v65, v12, vcc
	v_lshrrev_b32_sdwa v12, s63, v12 dst_sel:DWORD dst_unused:UNUSED_PAD src0_sel:DWORD src1_sel:WORD_0
	v_and_b32_e32 v12, s70, v12
	v_lshl_or_b32 v12, v12, 4, v35
	ds_add_u32 v12, v61
	s_or_b64 exec, exec, s[16:17]
	v_cmp_gt_u32_e32 vcc, s18, v31
	s_and_saveexec_b64 s[16:17], vcc
	s_cbranch_execz .LBB1773_203
.LBB1773_210:                           ;   in Loop: Header=BB1773_185 Depth=2
	v_cmp_gt_i16_e32 vcc, 0, v7
	v_cndmask_b32_e64 v12, v65, 0, vcc
	v_xor_b32_e32 v12, v12, v7
	v_cmp_ne_u16_e32 vcc, s62, v12
	v_cndmask_b32_e32 v12, v65, v12, vcc
	v_lshrrev_b32_sdwa v12, s63, v12 dst_sel:DWORD dst_unused:UNUSED_PAD src0_sel:DWORD src1_sel:WORD_0
	v_and_b32_e32 v12, s70, v12
	v_lshl_or_b32 v12, v12, 4, v35
	ds_add_u32 v12, v61
	s_or_b64 exec, exec, s[16:17]
	v_cmp_gt_u32_e32 vcc, s18, v32
	s_and_saveexec_b64 s[16:17], vcc
	s_cbranch_execz .LBB1773_204
.LBB1773_211:                           ;   in Loop: Header=BB1773_185 Depth=2
	v_cmp_gt_i16_e32 vcc, 0, v6
	v_cndmask_b32_e64 v12, v65, 0, vcc
	v_xor_b32_e32 v12, v12, v6
	v_cmp_ne_u16_e32 vcc, s62, v12
	v_cndmask_b32_e32 v12, v65, v12, vcc
	v_lshrrev_b32_sdwa v12, s63, v12 dst_sel:DWORD dst_unused:UNUSED_PAD src0_sel:DWORD src1_sel:WORD_0
	v_and_b32_e32 v12, s70, v12
	v_lshl_or_b32 v12, v12, 4, v35
	ds_add_u32 v12, v61
	s_or_b64 exec, exec, s[16:17]
	v_cmp_gt_u32_e32 vcc, s18, v33
	s_and_saveexec_b64 s[16:17], vcc
	s_cbranch_execz .LBB1773_205
.LBB1773_212:                           ;   in Loop: Header=BB1773_185 Depth=2
	v_cmp_gt_i16_e32 vcc, 0, v5
	v_cndmask_b32_e64 v12, v65, 0, vcc
	v_xor_b32_e32 v12, v12, v5
	v_cmp_ne_u16_e32 vcc, s62, v12
	v_cndmask_b32_e32 v12, v65, v12, vcc
	v_lshrrev_b32_sdwa v12, s63, v12 dst_sel:DWORD dst_unused:UNUSED_PAD src0_sel:DWORD src1_sel:WORD_0
	v_and_b32_e32 v12, s70, v12
	v_lshl_or_b32 v12, v12, 4, v35
	ds_add_u32 v12, v61
	s_or_b64 exec, exec, s[16:17]
	v_cmp_gt_u32_e32 vcc, s18, v34
	s_and_saveexec_b64 s[16:17], vcc
	s_cbranch_execz .LBB1773_184
.LBB1773_213:                           ;   in Loop: Header=BB1773_185 Depth=2
	v_cmp_gt_i16_e32 vcc, 0, v4
	v_cndmask_b32_e64 v12, v65, 0, vcc
	v_xor_b32_e32 v12, v12, v4
	v_cmp_ne_u16_e32 vcc, s62, v12
	v_cndmask_b32_e32 v12, v65, v12, vcc
	v_lshrrev_b32_sdwa v12, s63, v12 dst_sel:DWORD dst_unused:UNUSED_PAD src0_sel:DWORD src1_sel:WORD_0
	v_and_b32_e32 v12, s70, v12
	v_lshl_or_b32 v12, v12, 4, v35
	ds_add_u32 v12, v61
	s_branch .LBB1773_184
.LBB1773_214:                           ;   in Loop: Header=BB1773_185 Depth=2
	global_load_ushort v11, v64, s[16:17]
	s_or_b64 exec, exec, s[18:19]
	v_cmp_gt_u32_e32 vcc, s20, v26
	s_and_saveexec_b64 s[18:19], vcc
	s_cbranch_execz .LBB1773_190
.LBB1773_215:                           ;   in Loop: Header=BB1773_185 Depth=2
	global_load_ushort v10, v64, s[16:17] offset:512
	s_or_b64 exec, exec, s[18:19]
	v_cmp_gt_u32_e32 vcc, s20, v27
	s_and_saveexec_b64 s[18:19], vcc
	s_cbranch_execz .LBB1773_191
.LBB1773_216:                           ;   in Loop: Header=BB1773_185 Depth=2
	global_load_ushort v9, v64, s[16:17] offset:1024
	s_or_b64 exec, exec, s[18:19]
	v_cmp_gt_u32_e32 vcc, s20, v28
	s_and_saveexec_b64 s[18:19], vcc
	s_cbranch_execz .LBB1773_192
.LBB1773_217:                           ;   in Loop: Header=BB1773_185 Depth=2
	global_load_ushort v8, v64, s[16:17] offset:1536
	s_or_b64 exec, exec, s[18:19]
	v_cmp_gt_u32_e32 vcc, s20, v31
	s_and_saveexec_b64 s[18:19], vcc
	s_cbranch_execz .LBB1773_193
.LBB1773_218:                           ;   in Loop: Header=BB1773_185 Depth=2
	global_load_ushort v7, v64, s[16:17] offset:2048
	s_or_b64 exec, exec, s[18:19]
	v_cmp_gt_u32_e32 vcc, s20, v32
	s_and_saveexec_b64 s[18:19], vcc
	s_cbranch_execz .LBB1773_194
.LBB1773_219:                           ;   in Loop: Header=BB1773_185 Depth=2
	global_load_ushort v6, v64, s[16:17] offset:2560
	s_or_b64 exec, exec, s[18:19]
	v_cmp_gt_u32_e32 vcc, s20, v33
	s_and_saveexec_b64 s[18:19], vcc
	s_cbranch_execz .LBB1773_195
.LBB1773_220:                           ;   in Loop: Header=BB1773_185 Depth=2
	global_load_ushort v5, v64, s[16:17] offset:3072
	s_or_b64 exec, exec, s[18:19]
	v_cmp_gt_u32_e32 vcc, s20, v34
	s_and_saveexec_b64 s[18:19], vcc
	s_cbranch_execnz .LBB1773_196
	s_branch .LBB1773_197
.LBB1773_221:                           ;   in Loop: Header=BB1773_17 Depth=1
	v_mov_b32_e32 v4, 0
	s_waitcnt lgkmcnt(0)
	s_barrier
	s_and_saveexec_b64 s[16:17], s[4:5]
	s_cbranch_execz .LBB1773_223
; %bb.222:                              ;   in Loop: Header=BB1773_17 Depth=1
	ds_read2_b64 v[4:7], v36 offset1:1
	s_waitcnt lgkmcnt(0)
	v_add_u32_e32 v4, v5, v4
	v_add3_u32 v4, v4, v6, v7
.LBB1773_223:                           ;   in Loop: Header=BB1773_17 Depth=1
	s_or_b64 exec, exec, s[16:17]
	s_nop 0
	v_mov_b32_dpp v5, v4 row_shr:1 row_mask:0xf bank_mask:0xf
	v_cmp_eq_u32_e64 s[16:17], 0, v67
	v_cndmask_b32_e64 v5, v5, 0, s[16:17]
	v_add_u32_e32 v4, v5, v4
	v_cmp_lt_u32_e64 s[18:19], 1, v67
	v_cmp_lt_u32_e64 s[20:21], 3, v67
	v_mov_b32_dpp v5, v4 row_shr:2 row_mask:0xf bank_mask:0xf
	v_cndmask_b32_e64 v5, 0, v5, s[18:19]
	v_add_u32_e32 v4, v4, v5
	v_cmp_lt_u32_e64 s[22:23], 7, v67
	v_cmp_lt_u32_e64 s[26:27], 31, v66
	v_mov_b32_dpp v5, v4 row_shr:4 row_mask:0xf bank_mask:0xf
	v_cndmask_b32_e64 v5, 0, v5, s[20:21]
	v_add_u32_e32 v4, v4, v5
	v_cmp_eq_u32_e64 s[24:25], 0, v69
	s_nop 0
	v_mov_b32_dpp v5, v4 row_shr:8 row_mask:0xf bank_mask:0xf
	v_cndmask_b32_e64 v5, 0, v5, s[22:23]
	v_add_u32_e32 v4, v4, v5
	s_nop 1
	v_mov_b32_dpp v5, v4 row_bcast:15 row_mask:0xf bank_mask:0xf
	v_and_b32_e32 v5, v68, v5
	v_add_u32_e32 v4, v4, v5
	s_nop 1
	v_mov_b32_dpp v5, v4 row_bcast:31 row_mask:0xf bank_mask:0xf
	v_cndmask_b32_e64 v5, 0, v5, s[26:27]
	v_add_u32_e32 v4, v4, v5
	s_and_saveexec_b64 s[28:29], s[6:7]
; %bb.224:                              ;   in Loop: Header=BB1773_17 Depth=1
	ds_write_b32 v38, v4
; %bb.225:                              ;   in Loop: Header=BB1773_17 Depth=1
	s_or_b64 exec, exec, s[28:29]
	s_waitcnt lgkmcnt(0)
	s_barrier
	s_and_saveexec_b64 s[28:29], s[8:9]
	s_cbranch_execz .LBB1773_227
; %bb.226:                              ;   in Loop: Header=BB1773_17 Depth=1
	ds_read_b32 v5, v39
	v_cmp_ne_u32_e32 vcc, 0, v70
	s_waitcnt lgkmcnt(0)
	v_mov_b32_dpp v6, v5 row_shr:1 row_mask:0xf bank_mask:0xf
	v_cndmask_b32_e32 v6, 0, v6, vcc
	v_add_u32_e32 v5, v6, v5
	v_cmp_lt_u32_e32 vcc, 1, v70
	s_nop 0
	v_mov_b32_dpp v6, v5 row_shr:2 row_mask:0xf bank_mask:0xf
	v_cndmask_b32_e32 v6, 0, v6, vcc
	v_add_u32_e32 v5, v5, v6
	ds_write_b32 v39, v5
.LBB1773_227:                           ;   in Loop: Header=BB1773_17 Depth=1
	s_or_b64 exec, exec, s[28:29]
	v_mov_b32_e32 v5, 0
	s_waitcnt lgkmcnt(0)
	s_barrier
	s_and_saveexec_b64 s[28:29], s[10:11]
; %bb.228:                              ;   in Loop: Header=BB1773_17 Depth=1
	ds_read_b32 v5, v40
; %bb.229:                              ;   in Loop: Header=BB1773_17 Depth=1
	s_or_b64 exec, exec, s[28:29]
	v_subrev_co_u32_e64 v6, s[28:29], 1, v66
	v_cmp_lt_i32_e32 vcc, v6, v71
	v_cndmask_b32_e32 v6, v6, v66, vcc
	s_waitcnt lgkmcnt(0)
	v_add_u32_e32 v4, v5, v4
	v_lshlrev_b32_e32 v82, 2, v6
	ds_bpermute_b32 v4, v82, v4
	s_waitcnt lgkmcnt(0)
	s_barrier
	s_and_saveexec_b64 s[30:31], s[4:5]
; %bb.230:                              ;   in Loop: Header=BB1773_17 Depth=1
	v_cndmask_b32_e64 v4, v4, v5, s[28:29]
	v_add_u32_e32 v4, s51, v4
	ds_write_b32 v25, v4
; %bb.231:                              ;   in Loop: Header=BB1773_17 Depth=1
	s_or_b64 exec, exec, s[30:31]
	s_load_dwordx2 s[30:31], s[56:57], 0x0
	v_add_co_u32_e32 v83, vcc, v51, v72
	v_addc_co_u32_e32 v84, vcc, 0, v52, vcc
	s_waitcnt lgkmcnt(0)
	s_cmp_lt_u32 s33, s31
	s_cselect_b32 s31, 14, 20
	s_add_u32 s34, s56, s31
	s_addc_u32 s35, s57, 0
	s_cmp_lt_u32 s50, s30
	s_cselect_b32 s30, 12, 18
	s_add_u32 s30, s56, s30
	global_load_ushort v4, v3, s[34:35]
	s_addc_u32 s31, s57, 0
	global_load_ushort v5, v3, s[30:31]
	v_add_co_u32_e32 v85, vcc, v53, v81
	v_cmp_eq_u32_e64 s[30:31], 0, v70
	v_cmp_lt_u32_e64 s[34:35], 1, v70
	v_addc_co_u32_e32 v86, vcc, 0, v54, vcc
	s_mov_b32 s71, s79
	s_mov_b32 s58, s51
                                        ; implicit-def: $vgpr7_vgpr8
                                        ; implicit-def: $vgpr9_vgpr10
                                        ; implicit-def: $vgpr11_vgpr12
                                        ; implicit-def: $vgpr13_vgpr14
                                        ; implicit-def: $vgpr15_vgpr16
                                        ; implicit-def: $vgpr17_vgpr18
                                        ; implicit-def: $vgpr19_vgpr20
                                        ; implicit-def: $vgpr87
                                        ; implicit-def: $vgpr88
                                        ; implicit-def: $vgpr89
                                        ; implicit-def: $vgpr90
                                        ; implicit-def: $vgpr92
                                        ; implicit-def: $vgpr93
                                        ; implicit-def: $vgpr94
                                        ; implicit-def: $vgpr95
	s_waitcnt vmcnt(1)
	v_mad_u32_u24 v4, v2, v4, v1
	s_waitcnt vmcnt(0)
	v_mad_u64_u32 v[4:5], s[36:37], v4, v5, v[0:1]
                                        ; implicit-def: $vgpr5_vgpr6
	v_lshrrev_b32_e32 v4, 4, v4
	v_and_b32_e32 v91, 0xffffffc, v4
	s_branch .LBB1773_233
.LBB1773_232:                           ;   in Loop: Header=BB1773_233 Depth=2
	s_or_b64 exec, exec, s[36:37]
	s_addk_i32 s71, 0xf800
	s_cmp_lt_u32 s76, s80
	s_mov_b32 s58, s76
	s_cbranch_scc0 .LBB1773_345
.LBB1773_233:                           ;   Parent Loop BB1773_17 Depth=1
                                        ; =>  This Inner Loop Header: Depth=2
	s_add_i32 s76, s58, 0x800
	s_cmp_gt_u32 s76, s80
	s_cbranch_scc1 .LBB1773_235
; %bb.234:                              ;   in Loop: Header=BB1773_233 Depth=2
	s_lshl_b64 s[36:37], s[58:59], 1
	v_mov_b32_e32 v4, s37
	v_add_co_u32_e32 v21, vcc, s36, v85
	v_addc_co_u32_e32 v22, vcc, v86, v4, vcc
	global_load_ushort v4, v[21:22], off
	global_load_ushort v99, v[21:22], off offset:128
	global_load_ushort v103, v[21:22], off offset:256
	;; [unrolled: 1-line block ×6, first 2 shown]
	s_mov_b64 s[36:37], -1
	s_movk_i32 s40, 0x800
	s_cbranch_execz .LBB1773_236
	s_branch .LBB1773_251
.LBB1773_235:                           ;   in Loop: Header=BB1773_233 Depth=2
	s_mov_b64 s[36:37], 0
                                        ; implicit-def: $vgpr4
                                        ; implicit-def: $vgpr99
                                        ; implicit-def: $vgpr103
                                        ; implicit-def: $vgpr107
                                        ; implicit-def: $vgpr112
                                        ; implicit-def: $vgpr108
                                        ; implicit-def: $vgpr24
	s_movk_i32 s40, 0x800
.LBB1773_236:                           ;   in Loop: Header=BB1773_233 Depth=2
	s_lshl_b64 s[36:37], s[58:59], 1
	s_waitcnt vmcnt(6)
	v_mov_b32_e32 v4, s37
	v_add_co_u32_e32 v21, vcc, s36, v85
	v_addc_co_u32_e32 v22, vcc, v86, v4, vcc
	v_cmp_gt_u32_e32 vcc, s71, v73
	s_waitcnt vmcnt(5)
	v_mov_b32_e32 v99, -1
	v_mov_b32_e32 v4, -1
	s_and_saveexec_b64 s[36:37], vcc
	s_cbranch_execz .LBB1773_238
; %bb.237:                              ;   in Loop: Header=BB1773_233 Depth=2
	global_load_ushort v4, v[21:22], off
.LBB1773_238:                           ;   in Loop: Header=BB1773_233 Depth=2
	s_or_b64 exec, exec, s[36:37]
	v_cmp_gt_u32_e32 vcc, s71, v74
	s_and_saveexec_b64 s[36:37], vcc
	s_cbranch_execz .LBB1773_240
; %bb.239:                              ;   in Loop: Header=BB1773_233 Depth=2
	global_load_ushort v99, v[21:22], off offset:128
.LBB1773_240:                           ;   in Loop: Header=BB1773_233 Depth=2
	s_or_b64 exec, exec, s[36:37]
	v_cmp_gt_u32_e32 vcc, s71, v75
	s_waitcnt vmcnt(3)
	v_mov_b32_e32 v107, -1
	v_mov_b32_e32 v103, -1
	s_and_saveexec_b64 s[36:37], vcc
	s_cbranch_execz .LBB1773_242
; %bb.241:                              ;   in Loop: Header=BB1773_233 Depth=2
	global_load_ushort v103, v[21:22], off offset:256
.LBB1773_242:                           ;   in Loop: Header=BB1773_233 Depth=2
	s_or_b64 exec, exec, s[36:37]
	v_cmp_gt_u32_e32 vcc, s71, v76
	s_and_saveexec_b64 s[36:37], vcc
	s_cbranch_execz .LBB1773_244
; %bb.243:                              ;   in Loop: Header=BB1773_233 Depth=2
	global_load_ushort v107, v[21:22], off offset:384
.LBB1773_244:                           ;   in Loop: Header=BB1773_233 Depth=2
	s_or_b64 exec, exec, s[36:37]
	v_cmp_gt_u32_e32 vcc, s71, v77
	s_waitcnt vmcnt(1)
	v_mov_b32_e32 v108, -1
	v_mov_b32_e32 v112, -1
	s_and_saveexec_b64 s[36:37], vcc
	s_cbranch_execz .LBB1773_246
; %bb.245:                              ;   in Loop: Header=BB1773_233 Depth=2
	global_load_ushort v112, v[21:22], off offset:512
.LBB1773_246:                           ;   in Loop: Header=BB1773_233 Depth=2
	s_or_b64 exec, exec, s[36:37]
	v_cmp_gt_u32_e32 vcc, s71, v78
	s_and_saveexec_b64 s[36:37], vcc
	s_cbranch_execz .LBB1773_248
; %bb.247:                              ;   in Loop: Header=BB1773_233 Depth=2
	global_load_ushort v108, v[21:22], off offset:640
.LBB1773_248:                           ;   in Loop: Header=BB1773_233 Depth=2
	s_or_b64 exec, exec, s[36:37]
	v_cmp_gt_u32_e32 vcc, s71, v79
	s_waitcnt vmcnt(0)
	v_mov_b32_e32 v24, -1
	s_and_saveexec_b64 s[36:37], vcc
	s_cbranch_execz .LBB1773_250
; %bb.249:                              ;   in Loop: Header=BB1773_233 Depth=2
	global_load_ushort v24, v[21:22], off offset:768
.LBB1773_250:                           ;   in Loop: Header=BB1773_233 Depth=2
	s_or_b64 exec, exec, s[36:37]
	s_sub_i32 s40, s80, s58
	v_cmp_gt_u32_e64 s[36:37], s71, v80
.LBB1773_251:                           ;   in Loop: Header=BB1773_233 Depth=2
	v_mov_b32_e32 v23, -1
	v_mov_b32_e32 v96, s71
	s_and_saveexec_b64 s[38:39], s[36:37]
	s_cbranch_execz .LBB1773_253
; %bb.252:                              ;   in Loop: Header=BB1773_233 Depth=2
	s_lshl_b64 s[36:37], s[58:59], 1
	v_mov_b32_e32 v22, s37
	v_add_co_u32_e32 v21, vcc, s36, v85
	v_addc_co_u32_e32 v22, vcc, v86, v22, vcc
	global_load_ushort v23, v[21:22], off offset:896
	v_mov_b32_e32 v96, s40
.LBB1773_253:                           ;   in Loop: Header=BB1773_233 Depth=2
	s_or_b64 exec, exec, s[38:39]
	s_waitcnt vmcnt(6)
	v_cmp_gt_i16_e32 vcc, 0, v4
	v_cndmask_b32_e64 v21, v65, 0, vcc
	v_xor_b32_e32 v97, v21, v4
	v_cmp_ne_u16_e32 vcc, s62, v97
	v_cndmask_b32_e32 v4, v65, v97, vcc
	v_lshrrev_b32_sdwa v4, s63, v4 dst_sel:DWORD dst_unused:UNUSED_PAD src0_sel:DWORD src1_sel:WORD_0
	v_and_b32_e32 v21, s70, v4
	v_and_b32_e32 v4, 1, v21
	v_add_co_u32_e32 v22, vcc, -1, v4
	v_addc_co_u32_e64 v98, s[36:37], 0, -1, vcc
	v_cmp_ne_u32_e32 vcc, 0, v4
	v_xor_b32_e32 v4, vcc_hi, v98
	v_and_b32_e32 v98, exec_hi, v4
	v_lshlrev_b32_e32 v4, 30, v21
	v_xor_b32_e32 v22, vcc_lo, v22
	v_cmp_gt_i64_e32 vcc, 0, v[3:4]
	v_not_b32_e32 v4, v4
	v_ashrrev_i32_e32 v4, 31, v4
	v_and_b32_e32 v22, exec_lo, v22
	v_xor_b32_e32 v101, vcc_hi, v4
	v_xor_b32_e32 v4, vcc_lo, v4
	v_and_b32_e32 v22, v22, v4
	v_lshlrev_b32_e32 v4, 29, v21
	v_cmp_gt_i64_e32 vcc, 0, v[3:4]
	v_not_b32_e32 v4, v4
	v_ashrrev_i32_e32 v4, 31, v4
	v_and_b32_e32 v98, v98, v101
	v_xor_b32_e32 v101, vcc_hi, v4
	v_xor_b32_e32 v4, vcc_lo, v4
	v_and_b32_e32 v22, v22, v4
	v_lshlrev_b32_e32 v4, 28, v21
	v_cmp_gt_i64_e32 vcc, 0, v[3:4]
	v_not_b32_e32 v4, v4
	v_ashrrev_i32_e32 v4, 31, v4
	v_and_b32_e32 v98, v98, v101
	;; [unrolled: 8-line block ×5, first 2 shown]
	v_xor_b32_e32 v101, vcc_hi, v4
	v_xor_b32_e32 v4, vcc_lo, v4
	v_and_b32_e32 v98, v98, v101
	v_and_b32_e32 v101, v22, v4
	v_lshlrev_b32_e32 v4, 24, v21
	v_cmp_gt_i64_e32 vcc, 0, v[3:4]
	v_not_b32_e32 v4, v4
	v_ashrrev_i32_e32 v4, 31, v4
	v_mul_u32_u24_e32 v100, 20, v21
	v_xor_b32_e32 v21, vcc_hi, v4
	v_xor_b32_e32 v4, vcc_lo, v4
	v_and_b32_e32 v22, v98, v21
	v_and_b32_e32 v21, v101, v4
	v_mbcnt_lo_u32_b32 v4, v21, 0
	v_mbcnt_hi_u32_b32 v98, v22, v4
	v_cmp_ne_u64_e32 vcc, 0, v[21:22]
	v_cmp_eq_u32_e64 s[36:37], 0, v98
	s_and_b64 s[38:39], vcc, s[36:37]
	v_add_u32_e32 v101, v91, v100
	ds_write2_b32 v62, v3, v3 offset1:1
	ds_write2_b32 v63, v3, v3 offset1:1
	ds_write_b32 v41, v3 offset:1056
	s_waitcnt vmcnt(0) lgkmcnt(0)
	s_barrier
	; wave barrier
	s_and_saveexec_b64 s[36:37], s[38:39]
; %bb.254:                              ;   in Loop: Header=BB1773_233 Depth=2
	v_bcnt_u32_b32 v4, v21, 0
	v_bcnt_u32_b32 v4, v22, v4
	ds_write_b32 v101, v4 offset:1040
; %bb.255:                              ;   in Loop: Header=BB1773_233 Depth=2
	s_or_b64 exec, exec, s[36:37]
	v_cmp_gt_i16_e32 vcc, 0, v99
	v_cndmask_b32_e64 v4, v65, 0, vcc
	v_xor_b32_e32 v99, v4, v99
	v_cmp_ne_u16_e32 vcc, s62, v99
	v_cndmask_b32_e32 v4, v65, v99, vcc
	v_lshrrev_b32_sdwa v4, s63, v4 dst_sel:DWORD dst_unused:UNUSED_PAD src0_sel:DWORD src1_sel:WORD_0
	v_and_b32_e32 v21, s70, v4
	v_mad_u32_u24 v4, v21, 20, v91
	; wave barrier
	ds_read_b32 v100, v4 offset:1040
	v_and_b32_e32 v4, 1, v21
	v_add_co_u32_e32 v22, vcc, -1, v4
	v_addc_co_u32_e64 v102, s[36:37], 0, -1, vcc
	v_cmp_ne_u32_e32 vcc, 0, v4
	v_xor_b32_e32 v4, vcc_hi, v102
	v_and_b32_e32 v102, exec_hi, v4
	v_lshlrev_b32_e32 v4, 30, v21
	v_xor_b32_e32 v22, vcc_lo, v22
	v_cmp_gt_i64_e32 vcc, 0, v[3:4]
	v_not_b32_e32 v4, v4
	v_ashrrev_i32_e32 v4, 31, v4
	v_and_b32_e32 v22, exec_lo, v22
	v_xor_b32_e32 v105, vcc_hi, v4
	v_xor_b32_e32 v4, vcc_lo, v4
	v_and_b32_e32 v22, v22, v4
	v_lshlrev_b32_e32 v4, 29, v21
	v_cmp_gt_i64_e32 vcc, 0, v[3:4]
	v_not_b32_e32 v4, v4
	v_ashrrev_i32_e32 v4, 31, v4
	v_and_b32_e32 v102, v102, v105
	v_xor_b32_e32 v105, vcc_hi, v4
	v_xor_b32_e32 v4, vcc_lo, v4
	v_and_b32_e32 v22, v22, v4
	v_lshlrev_b32_e32 v4, 28, v21
	v_cmp_gt_i64_e32 vcc, 0, v[3:4]
	v_not_b32_e32 v4, v4
	v_ashrrev_i32_e32 v4, 31, v4
	v_and_b32_e32 v102, v102, v105
	;; [unrolled: 8-line block ×5, first 2 shown]
	v_xor_b32_e32 v105, vcc_hi, v4
	v_xor_b32_e32 v4, vcc_lo, v4
	v_and_b32_e32 v102, v102, v105
	v_and_b32_e32 v105, v22, v4
	v_lshlrev_b32_e32 v4, 24, v21
	v_cmp_gt_i64_e32 vcc, 0, v[3:4]
	v_not_b32_e32 v4, v4
	v_ashrrev_i32_e32 v4, 31, v4
	v_mul_u32_u24_e32 v104, 20, v21
	v_xor_b32_e32 v21, vcc_hi, v4
	v_xor_b32_e32 v4, vcc_lo, v4
	v_and_b32_e32 v22, v102, v21
	v_and_b32_e32 v21, v105, v4
	v_mbcnt_lo_u32_b32 v4, v21, 0
	v_mbcnt_hi_u32_b32 v102, v22, v4
	v_cmp_ne_u64_e32 vcc, 0, v[21:22]
	v_cmp_eq_u32_e64 s[36:37], 0, v102
	s_and_b64 s[38:39], vcc, s[36:37]
	v_add_u32_e32 v105, v91, v104
	; wave barrier
	s_and_saveexec_b64 s[36:37], s[38:39]
	s_cbranch_execz .LBB1773_257
; %bb.256:                              ;   in Loop: Header=BB1773_233 Depth=2
	v_bcnt_u32_b32 v4, v21, 0
	v_bcnt_u32_b32 v4, v22, v4
	s_waitcnt lgkmcnt(0)
	v_add_u32_e32 v4, v100, v4
	ds_write_b32 v105, v4 offset:1040
.LBB1773_257:                           ;   in Loop: Header=BB1773_233 Depth=2
	s_or_b64 exec, exec, s[36:37]
	v_cmp_gt_i16_e32 vcc, 0, v103
	v_cndmask_b32_e64 v4, v65, 0, vcc
	v_xor_b32_e32 v103, v4, v103
	v_cmp_ne_u16_e32 vcc, s62, v103
	v_cndmask_b32_e32 v4, v65, v103, vcc
	v_lshrrev_b32_sdwa v4, s63, v4 dst_sel:DWORD dst_unused:UNUSED_PAD src0_sel:DWORD src1_sel:WORD_0
	v_and_b32_e32 v21, s70, v4
	v_mad_u32_u24 v4, v21, 20, v91
	; wave barrier
	ds_read_b32 v104, v4 offset:1040
	v_and_b32_e32 v4, 1, v21
	v_add_co_u32_e32 v22, vcc, -1, v4
	v_addc_co_u32_e64 v106, s[36:37], 0, -1, vcc
	v_cmp_ne_u32_e32 vcc, 0, v4
	v_xor_b32_e32 v4, vcc_hi, v106
	v_and_b32_e32 v106, exec_hi, v4
	v_lshlrev_b32_e32 v4, 30, v21
	v_xor_b32_e32 v22, vcc_lo, v22
	v_cmp_gt_i64_e32 vcc, 0, v[3:4]
	v_not_b32_e32 v4, v4
	v_ashrrev_i32_e32 v4, 31, v4
	v_and_b32_e32 v22, exec_lo, v22
	v_xor_b32_e32 v110, vcc_hi, v4
	v_xor_b32_e32 v4, vcc_lo, v4
	v_and_b32_e32 v22, v22, v4
	v_lshlrev_b32_e32 v4, 29, v21
	v_cmp_gt_i64_e32 vcc, 0, v[3:4]
	v_not_b32_e32 v4, v4
	v_ashrrev_i32_e32 v4, 31, v4
	v_and_b32_e32 v106, v106, v110
	v_xor_b32_e32 v110, vcc_hi, v4
	v_xor_b32_e32 v4, vcc_lo, v4
	v_and_b32_e32 v22, v22, v4
	v_lshlrev_b32_e32 v4, 28, v21
	v_cmp_gt_i64_e32 vcc, 0, v[3:4]
	v_not_b32_e32 v4, v4
	v_ashrrev_i32_e32 v4, 31, v4
	v_and_b32_e32 v106, v106, v110
	;; [unrolled: 8-line block ×5, first 2 shown]
	v_xor_b32_e32 v110, vcc_hi, v4
	v_xor_b32_e32 v4, vcc_lo, v4
	v_and_b32_e32 v106, v106, v110
	v_and_b32_e32 v110, v22, v4
	v_lshlrev_b32_e32 v4, 24, v21
	v_cmp_gt_i64_e32 vcc, 0, v[3:4]
	v_not_b32_e32 v4, v4
	v_ashrrev_i32_e32 v4, 31, v4
	v_mul_u32_u24_e32 v109, 20, v21
	v_xor_b32_e32 v21, vcc_hi, v4
	v_xor_b32_e32 v4, vcc_lo, v4
	v_and_b32_e32 v22, v106, v21
	v_and_b32_e32 v21, v110, v4
	v_mbcnt_lo_u32_b32 v4, v21, 0
	v_mbcnt_hi_u32_b32 v106, v22, v4
	v_cmp_ne_u64_e32 vcc, 0, v[21:22]
	v_cmp_eq_u32_e64 s[36:37], 0, v106
	s_and_b64 s[38:39], vcc, s[36:37]
	v_add_u32_e32 v110, v91, v109
	; wave barrier
	s_and_saveexec_b64 s[36:37], s[38:39]
	s_cbranch_execz .LBB1773_259
; %bb.258:                              ;   in Loop: Header=BB1773_233 Depth=2
	v_bcnt_u32_b32 v4, v21, 0
	v_bcnt_u32_b32 v4, v22, v4
	s_waitcnt lgkmcnt(0)
	v_add_u32_e32 v4, v104, v4
	ds_write_b32 v110, v4 offset:1040
.LBB1773_259:                           ;   in Loop: Header=BB1773_233 Depth=2
	s_or_b64 exec, exec, s[36:37]
	v_cmp_gt_i16_e32 vcc, 0, v107
	v_cndmask_b32_e64 v4, v65, 0, vcc
	v_xor_b32_e32 v107, v4, v107
	v_cmp_ne_u16_e32 vcc, s62, v107
	v_cndmask_b32_e32 v4, v65, v107, vcc
	v_lshrrev_b32_sdwa v4, s63, v4 dst_sel:DWORD dst_unused:UNUSED_PAD src0_sel:DWORD src1_sel:WORD_0
	v_and_b32_e32 v21, s70, v4
	v_mad_u32_u24 v4, v21, 20, v91
	; wave barrier
	ds_read_b32 v109, v4 offset:1040
	v_and_b32_e32 v4, 1, v21
	v_add_co_u32_e32 v22, vcc, -1, v4
	v_addc_co_u32_e64 v111, s[36:37], 0, -1, vcc
	v_cmp_ne_u32_e32 vcc, 0, v4
	v_xor_b32_e32 v4, vcc_hi, v111
	v_and_b32_e32 v111, exec_hi, v4
	v_lshlrev_b32_e32 v4, 30, v21
	v_xor_b32_e32 v22, vcc_lo, v22
	v_cmp_gt_i64_e32 vcc, 0, v[3:4]
	v_not_b32_e32 v4, v4
	v_ashrrev_i32_e32 v4, 31, v4
	v_and_b32_e32 v22, exec_lo, v22
	v_xor_b32_e32 v114, vcc_hi, v4
	v_xor_b32_e32 v4, vcc_lo, v4
	v_and_b32_e32 v22, v22, v4
	v_lshlrev_b32_e32 v4, 29, v21
	v_cmp_gt_i64_e32 vcc, 0, v[3:4]
	v_not_b32_e32 v4, v4
	v_ashrrev_i32_e32 v4, 31, v4
	v_and_b32_e32 v111, v111, v114
	v_xor_b32_e32 v114, vcc_hi, v4
	v_xor_b32_e32 v4, vcc_lo, v4
	v_and_b32_e32 v22, v22, v4
	v_lshlrev_b32_e32 v4, 28, v21
	v_cmp_gt_i64_e32 vcc, 0, v[3:4]
	v_not_b32_e32 v4, v4
	v_ashrrev_i32_e32 v4, 31, v4
	v_and_b32_e32 v111, v111, v114
	;; [unrolled: 8-line block ×5, first 2 shown]
	v_xor_b32_e32 v114, vcc_hi, v4
	v_xor_b32_e32 v4, vcc_lo, v4
	v_and_b32_e32 v111, v111, v114
	v_and_b32_e32 v114, v22, v4
	v_lshlrev_b32_e32 v4, 24, v21
	v_cmp_gt_i64_e32 vcc, 0, v[3:4]
	v_not_b32_e32 v4, v4
	v_ashrrev_i32_e32 v4, 31, v4
	v_mul_u32_u24_e32 v113, 20, v21
	v_xor_b32_e32 v21, vcc_hi, v4
	v_xor_b32_e32 v4, vcc_lo, v4
	v_and_b32_e32 v22, v111, v21
	v_and_b32_e32 v21, v114, v4
	v_mbcnt_lo_u32_b32 v4, v21, 0
	v_mbcnt_hi_u32_b32 v111, v22, v4
	v_cmp_ne_u64_e32 vcc, 0, v[21:22]
	v_cmp_eq_u32_e64 s[36:37], 0, v111
	s_and_b64 s[38:39], vcc, s[36:37]
	v_add_u32_e32 v114, v91, v113
	; wave barrier
	s_and_saveexec_b64 s[36:37], s[38:39]
	s_cbranch_execz .LBB1773_261
; %bb.260:                              ;   in Loop: Header=BB1773_233 Depth=2
	v_bcnt_u32_b32 v4, v21, 0
	v_bcnt_u32_b32 v4, v22, v4
	s_waitcnt lgkmcnt(0)
	v_add_u32_e32 v4, v109, v4
	ds_write_b32 v114, v4 offset:1040
.LBB1773_261:                           ;   in Loop: Header=BB1773_233 Depth=2
	s_or_b64 exec, exec, s[36:37]
	v_cmp_gt_i16_e32 vcc, 0, v112
	v_cndmask_b32_e64 v4, v65, 0, vcc
	v_xor_b32_e32 v112, v4, v112
	v_cmp_ne_u16_e32 vcc, s62, v112
	v_cndmask_b32_e32 v4, v65, v112, vcc
	v_lshrrev_b32_sdwa v4, s63, v4 dst_sel:DWORD dst_unused:UNUSED_PAD src0_sel:DWORD src1_sel:WORD_0
	v_and_b32_e32 v21, s70, v4
	v_mad_u32_u24 v4, v21, 20, v91
	; wave barrier
	ds_read_b32 v113, v4 offset:1040
	v_and_b32_e32 v4, 1, v21
	v_add_co_u32_e32 v22, vcc, -1, v4
	v_addc_co_u32_e64 v115, s[36:37], 0, -1, vcc
	v_cmp_ne_u32_e32 vcc, 0, v4
	v_xor_b32_e32 v4, vcc_hi, v115
	v_and_b32_e32 v115, exec_hi, v4
	v_lshlrev_b32_e32 v4, 30, v21
	v_xor_b32_e32 v22, vcc_lo, v22
	v_cmp_gt_i64_e32 vcc, 0, v[3:4]
	v_not_b32_e32 v4, v4
	v_ashrrev_i32_e32 v4, 31, v4
	v_and_b32_e32 v22, exec_lo, v22
	v_xor_b32_e32 v117, vcc_hi, v4
	v_xor_b32_e32 v4, vcc_lo, v4
	v_and_b32_e32 v22, v22, v4
	v_lshlrev_b32_e32 v4, 29, v21
	v_cmp_gt_i64_e32 vcc, 0, v[3:4]
	v_not_b32_e32 v4, v4
	v_ashrrev_i32_e32 v4, 31, v4
	v_and_b32_e32 v115, v115, v117
	v_xor_b32_e32 v117, vcc_hi, v4
	v_xor_b32_e32 v4, vcc_lo, v4
	v_and_b32_e32 v22, v22, v4
	v_lshlrev_b32_e32 v4, 28, v21
	v_cmp_gt_i64_e32 vcc, 0, v[3:4]
	v_not_b32_e32 v4, v4
	v_ashrrev_i32_e32 v4, 31, v4
	v_and_b32_e32 v115, v115, v117
	;; [unrolled: 8-line block ×5, first 2 shown]
	v_xor_b32_e32 v117, vcc_hi, v4
	v_xor_b32_e32 v4, vcc_lo, v4
	v_and_b32_e32 v115, v115, v117
	v_and_b32_e32 v117, v22, v4
	v_lshlrev_b32_e32 v4, 24, v21
	v_cmp_gt_i64_e32 vcc, 0, v[3:4]
	v_not_b32_e32 v4, v4
	v_ashrrev_i32_e32 v4, 31, v4
	v_mul_u32_u24_e32 v116, 20, v21
	v_xor_b32_e32 v21, vcc_hi, v4
	v_xor_b32_e32 v4, vcc_lo, v4
	v_and_b32_e32 v22, v115, v21
	v_and_b32_e32 v21, v117, v4
	v_mbcnt_lo_u32_b32 v4, v21, 0
	v_mbcnt_hi_u32_b32 v115, v22, v4
	v_cmp_ne_u64_e32 vcc, 0, v[21:22]
	v_cmp_eq_u32_e64 s[36:37], 0, v115
	s_and_b64 s[38:39], vcc, s[36:37]
	v_add_u32_e32 v118, v91, v116
	; wave barrier
	s_and_saveexec_b64 s[36:37], s[38:39]
	s_cbranch_execz .LBB1773_263
; %bb.262:                              ;   in Loop: Header=BB1773_233 Depth=2
	v_bcnt_u32_b32 v4, v21, 0
	v_bcnt_u32_b32 v4, v22, v4
	s_waitcnt lgkmcnt(0)
	v_add_u32_e32 v4, v113, v4
	ds_write_b32 v118, v4 offset:1040
.LBB1773_263:                           ;   in Loop: Header=BB1773_233 Depth=2
	s_or_b64 exec, exec, s[36:37]
	v_cmp_gt_i16_e32 vcc, 0, v108
	v_cndmask_b32_e64 v4, v65, 0, vcc
	v_xor_b32_e32 v116, v4, v108
	v_cmp_ne_u16_e32 vcc, s62, v116
	v_cndmask_b32_e32 v4, v65, v116, vcc
	v_lshrrev_b32_sdwa v4, s63, v4 dst_sel:DWORD dst_unused:UNUSED_PAD src0_sel:DWORD src1_sel:WORD_0
	v_and_b32_e32 v21, s70, v4
	v_mad_u32_u24 v4, v21, 20, v91
	; wave barrier
	ds_read_b32 v117, v4 offset:1040
	v_and_b32_e32 v4, 1, v21
	v_add_co_u32_e32 v22, vcc, -1, v4
	v_addc_co_u32_e64 v119, s[36:37], 0, -1, vcc
	v_cmp_ne_u32_e32 vcc, 0, v4
	v_xor_b32_e32 v4, vcc_hi, v119
	v_and_b32_e32 v119, exec_hi, v4
	v_lshlrev_b32_e32 v4, 30, v21
	v_xor_b32_e32 v22, vcc_lo, v22
	v_cmp_gt_i64_e32 vcc, 0, v[3:4]
	v_not_b32_e32 v4, v4
	v_ashrrev_i32_e32 v4, 31, v4
	v_and_b32_e32 v22, exec_lo, v22
	v_xor_b32_e32 v120, vcc_hi, v4
	v_xor_b32_e32 v4, vcc_lo, v4
	v_and_b32_e32 v22, v22, v4
	v_lshlrev_b32_e32 v4, 29, v21
	v_cmp_gt_i64_e32 vcc, 0, v[3:4]
	v_not_b32_e32 v4, v4
	v_ashrrev_i32_e32 v4, 31, v4
	v_and_b32_e32 v119, v119, v120
	v_xor_b32_e32 v120, vcc_hi, v4
	v_xor_b32_e32 v4, vcc_lo, v4
	v_and_b32_e32 v22, v22, v4
	v_lshlrev_b32_e32 v4, 28, v21
	v_cmp_gt_i64_e32 vcc, 0, v[3:4]
	v_not_b32_e32 v4, v4
	v_ashrrev_i32_e32 v4, 31, v4
	v_and_b32_e32 v119, v119, v120
	v_xor_b32_e32 v120, vcc_hi, v4
	v_xor_b32_e32 v4, vcc_lo, v4
	v_and_b32_e32 v22, v22, v4
	v_lshlrev_b32_e32 v4, 27, v21
	v_cmp_gt_i64_e32 vcc, 0, v[3:4]
	v_not_b32_e32 v4, v4
	v_ashrrev_i32_e32 v4, 31, v4
	v_and_b32_e32 v119, v119, v120
	v_xor_b32_e32 v120, vcc_hi, v4
	v_xor_b32_e32 v4, vcc_lo, v4
	v_and_b32_e32 v22, v22, v4
	v_lshlrev_b32_e32 v4, 26, v21
	v_cmp_gt_i64_e32 vcc, 0, v[3:4]
	v_not_b32_e32 v4, v4
	v_ashrrev_i32_e32 v4, 31, v4
	v_and_b32_e32 v119, v119, v120
	v_xor_b32_e32 v120, vcc_hi, v4
	v_xor_b32_e32 v4, vcc_lo, v4
	v_and_b32_e32 v22, v22, v4
	v_lshlrev_b32_e32 v4, 25, v21
	v_cmp_gt_i64_e32 vcc, 0, v[3:4]
	v_not_b32_e32 v4, v4
	v_ashrrev_i32_e32 v4, 31, v4
	v_and_b32_e32 v119, v119, v120
	v_xor_b32_e32 v120, vcc_hi, v4
	v_xor_b32_e32 v4, vcc_lo, v4
	v_and_b32_e32 v119, v119, v120
	v_and_b32_e32 v120, v22, v4
	v_lshlrev_b32_e32 v4, 24, v21
	v_cmp_gt_i64_e32 vcc, 0, v[3:4]
	v_not_b32_e32 v4, v4
	v_ashrrev_i32_e32 v4, 31, v4
	v_mul_u32_u24_e32 v108, 20, v21
	v_xor_b32_e32 v21, vcc_hi, v4
	v_xor_b32_e32 v4, vcc_lo, v4
	v_and_b32_e32 v22, v119, v21
	v_and_b32_e32 v21, v120, v4
	v_mbcnt_lo_u32_b32 v4, v21, 0
	v_mbcnt_hi_u32_b32 v119, v22, v4
	v_cmp_ne_u64_e32 vcc, 0, v[21:22]
	v_cmp_eq_u32_e64 s[36:37], 0, v119
	s_and_b64 s[38:39], vcc, s[36:37]
	v_add_u32_e32 v108, v91, v108
	; wave barrier
	s_and_saveexec_b64 s[36:37], s[38:39]
	s_cbranch_execz .LBB1773_265
; %bb.264:                              ;   in Loop: Header=BB1773_233 Depth=2
	v_bcnt_u32_b32 v4, v21, 0
	v_bcnt_u32_b32 v4, v22, v4
	s_waitcnt lgkmcnt(0)
	v_add_u32_e32 v4, v117, v4
	ds_write_b32 v108, v4 offset:1040
.LBB1773_265:                           ;   in Loop: Header=BB1773_233 Depth=2
	s_or_b64 exec, exec, s[36:37]
	v_cmp_gt_i16_e32 vcc, 0, v24
	v_cndmask_b32_e64 v4, v65, 0, vcc
	v_xor_b32_e32 v120, v4, v24
	v_cmp_ne_u16_e32 vcc, s62, v120
	v_cndmask_b32_e32 v4, v65, v120, vcc
	v_lshrrev_b32_sdwa v4, s63, v4 dst_sel:DWORD dst_unused:UNUSED_PAD src0_sel:DWORD src1_sel:WORD_0
	v_and_b32_e32 v21, s70, v4
	v_mad_u32_u24 v4, v21, 20, v91
	; wave barrier
	ds_read_b32 v121, v4 offset:1040
	v_and_b32_e32 v4, 1, v21
	v_add_co_u32_e32 v22, vcc, -1, v4
	v_addc_co_u32_e64 v122, s[36:37], 0, -1, vcc
	v_cmp_ne_u32_e32 vcc, 0, v4
	v_xor_b32_e32 v4, vcc_hi, v122
	v_and_b32_e32 v122, exec_hi, v4
	v_lshlrev_b32_e32 v4, 30, v21
	v_xor_b32_e32 v22, vcc_lo, v22
	v_cmp_gt_i64_e32 vcc, 0, v[3:4]
	v_not_b32_e32 v4, v4
	v_ashrrev_i32_e32 v4, 31, v4
	v_and_b32_e32 v22, exec_lo, v22
	v_xor_b32_e32 v123, vcc_hi, v4
	v_xor_b32_e32 v4, vcc_lo, v4
	v_and_b32_e32 v22, v22, v4
	v_lshlrev_b32_e32 v4, 29, v21
	v_cmp_gt_i64_e32 vcc, 0, v[3:4]
	v_not_b32_e32 v4, v4
	v_ashrrev_i32_e32 v4, 31, v4
	v_and_b32_e32 v122, v122, v123
	v_xor_b32_e32 v123, vcc_hi, v4
	v_xor_b32_e32 v4, vcc_lo, v4
	v_and_b32_e32 v22, v22, v4
	v_lshlrev_b32_e32 v4, 28, v21
	v_cmp_gt_i64_e32 vcc, 0, v[3:4]
	v_not_b32_e32 v4, v4
	v_ashrrev_i32_e32 v4, 31, v4
	v_and_b32_e32 v122, v122, v123
	;; [unrolled: 8-line block ×5, first 2 shown]
	v_xor_b32_e32 v123, vcc_hi, v4
	v_xor_b32_e32 v4, vcc_lo, v4
	v_and_b32_e32 v122, v122, v123
	v_and_b32_e32 v123, v22, v4
	v_lshlrev_b32_e32 v4, 24, v21
	v_cmp_gt_i64_e32 vcc, 0, v[3:4]
	v_not_b32_e32 v4, v4
	v_ashrrev_i32_e32 v4, 31, v4
	v_mul_u32_u24_e32 v24, 20, v21
	v_xor_b32_e32 v21, vcc_hi, v4
	v_xor_b32_e32 v4, vcc_lo, v4
	v_and_b32_e32 v22, v122, v21
	v_and_b32_e32 v21, v123, v4
	v_mbcnt_lo_u32_b32 v4, v21, 0
	v_mbcnt_hi_u32_b32 v122, v22, v4
	v_cmp_ne_u64_e32 vcc, 0, v[21:22]
	v_cmp_eq_u32_e64 s[36:37], 0, v122
	s_and_b64 s[38:39], vcc, s[36:37]
	v_add_u32_e32 v125, v91, v24
	; wave barrier
	s_and_saveexec_b64 s[36:37], s[38:39]
	s_cbranch_execz .LBB1773_267
; %bb.266:                              ;   in Loop: Header=BB1773_233 Depth=2
	v_bcnt_u32_b32 v4, v21, 0
	v_bcnt_u32_b32 v4, v22, v4
	s_waitcnt lgkmcnt(0)
	v_add_u32_e32 v4, v121, v4
	ds_write_b32 v125, v4 offset:1040
.LBB1773_267:                           ;   in Loop: Header=BB1773_233 Depth=2
	s_or_b64 exec, exec, s[36:37]
	v_cmp_gt_i16_e32 vcc, 0, v23
	v_cndmask_b32_e64 v4, v65, 0, vcc
	v_xor_b32_e32 v123, v4, v23
	v_cmp_ne_u16_e32 vcc, s62, v123
	v_cndmask_b32_e32 v4, v65, v123, vcc
	v_lshrrev_b32_sdwa v4, s63, v4 dst_sel:DWORD dst_unused:UNUSED_PAD src0_sel:DWORD src1_sel:WORD_0
	v_and_b32_e32 v21, s70, v4
	v_mad_u32_u24 v4, v21, 20, v91
	; wave barrier
	ds_read_b32 v124, v4 offset:1040
	v_and_b32_e32 v4, 1, v21
	v_add_co_u32_e32 v22, vcc, -1, v4
	v_addc_co_u32_e64 v24, s[36:37], 0, -1, vcc
	v_cmp_ne_u32_e32 vcc, 0, v4
	v_xor_b32_e32 v4, vcc_hi, v24
	v_and_b32_e32 v24, exec_hi, v4
	v_lshlrev_b32_e32 v4, 30, v21
	v_xor_b32_e32 v22, vcc_lo, v22
	v_cmp_gt_i64_e32 vcc, 0, v[3:4]
	v_not_b32_e32 v4, v4
	v_ashrrev_i32_e32 v4, 31, v4
	v_and_b32_e32 v22, exec_lo, v22
	v_xor_b32_e32 v126, vcc_hi, v4
	v_xor_b32_e32 v4, vcc_lo, v4
	v_and_b32_e32 v22, v22, v4
	v_lshlrev_b32_e32 v4, 29, v21
	v_cmp_gt_i64_e32 vcc, 0, v[3:4]
	v_not_b32_e32 v4, v4
	v_ashrrev_i32_e32 v4, 31, v4
	v_and_b32_e32 v24, v24, v126
	v_xor_b32_e32 v126, vcc_hi, v4
	v_xor_b32_e32 v4, vcc_lo, v4
	v_and_b32_e32 v22, v22, v4
	v_lshlrev_b32_e32 v4, 28, v21
	v_cmp_gt_i64_e32 vcc, 0, v[3:4]
	v_not_b32_e32 v4, v4
	v_ashrrev_i32_e32 v4, 31, v4
	v_and_b32_e32 v24, v24, v126
	;; [unrolled: 8-line block ×5, first 2 shown]
	v_xor_b32_e32 v126, vcc_hi, v4
	v_xor_b32_e32 v4, vcc_lo, v4
	v_and_b32_e32 v24, v24, v126
	v_and_b32_e32 v126, v22, v4
	v_lshlrev_b32_e32 v4, 24, v21
	v_cmp_gt_i64_e32 vcc, 0, v[3:4]
	v_not_b32_e32 v4, v4
	v_ashrrev_i32_e32 v4, 31, v4
	v_mul_u32_u24_e32 v23, 20, v21
	v_xor_b32_e32 v21, vcc_hi, v4
	v_xor_b32_e32 v4, vcc_lo, v4
	v_and_b32_e32 v22, v24, v21
	v_and_b32_e32 v21, v126, v4
	v_mbcnt_lo_u32_b32 v4, v21, 0
	v_mbcnt_hi_u32_b32 v126, v22, v4
	v_cmp_ne_u64_e32 vcc, 0, v[21:22]
	v_cmp_eq_u32_e64 s[36:37], 0, v126
	s_and_b64 s[38:39], vcc, s[36:37]
	v_add_u32_e32 v4, v91, v23
	; wave barrier
	s_and_saveexec_b64 s[36:37], s[38:39]
	s_cbranch_execz .LBB1773_269
; %bb.268:                              ;   in Loop: Header=BB1773_233 Depth=2
	v_bcnt_u32_b32 v21, v21, 0
	v_bcnt_u32_b32 v21, v22, v21
	s_waitcnt lgkmcnt(0)
	v_add_u32_e32 v21, v124, v21
	ds_write_b32 v4, v21 offset:1040
.LBB1773_269:                           ;   in Loop: Header=BB1773_233 Depth=2
	s_or_b64 exec, exec, s[36:37]
	; wave barrier
	s_waitcnt lgkmcnt(0)
	s_barrier
	ds_read2_b32 v[23:24], v62 offset1:1
	ds_read2_b32 v[21:22], v63 offset1:1
	ds_read_b32 v127, v41 offset:1056
	s_waitcnt lgkmcnt(1)
	v_add3_u32 v128, v24, v23, v21
	s_waitcnt lgkmcnt(0)
	v_add3_u32 v127, v128, v22, v127
	s_nop 1
	v_mov_b32_dpp v128, v127 row_shr:1 row_mask:0xf bank_mask:0xf
	v_cndmask_b32_e64 v128, v128, 0, s[16:17]
	v_add_u32_e32 v127, v128, v127
	s_nop 1
	v_mov_b32_dpp v128, v127 row_shr:2 row_mask:0xf bank_mask:0xf
	v_cndmask_b32_e64 v128, 0, v128, s[18:19]
	v_add_u32_e32 v127, v127, v128
	;; [unrolled: 4-line block ×4, first 2 shown]
	s_nop 1
	v_mov_b32_dpp v128, v127 row_bcast:15 row_mask:0xf bank_mask:0xf
	v_cndmask_b32_e64 v128, v128, 0, s[24:25]
	v_add_u32_e32 v127, v127, v128
	s_nop 1
	v_mov_b32_dpp v128, v127 row_bcast:31 row_mask:0xf bank_mask:0xf
	v_cndmask_b32_e64 v128, 0, v128, s[26:27]
	v_add_u32_e32 v127, v127, v128
	s_and_saveexec_b64 s[36:37], s[6:7]
; %bb.270:                              ;   in Loop: Header=BB1773_233 Depth=2
	ds_write_b32 v37, v127 offset:1024
; %bb.271:                              ;   in Loop: Header=BB1773_233 Depth=2
	s_or_b64 exec, exec, s[36:37]
	s_waitcnt lgkmcnt(0)
	s_barrier
	s_and_saveexec_b64 s[36:37], s[8:9]
	s_cbranch_execz .LBB1773_273
; %bb.272:                              ;   in Loop: Header=BB1773_233 Depth=2
	ds_read_b32 v128, v42 offset:1024
	s_waitcnt lgkmcnt(0)
	s_nop 0
	v_mov_b32_dpp v129, v128 row_shr:1 row_mask:0xf bank_mask:0xf
	v_cndmask_b32_e64 v129, v129, 0, s[30:31]
	v_add_u32_e32 v128, v129, v128
	s_nop 1
	v_mov_b32_dpp v129, v128 row_shr:2 row_mask:0xf bank_mask:0xf
	v_cndmask_b32_e64 v129, 0, v129, s[34:35]
	v_add_u32_e32 v128, v128, v129
	ds_write_b32 v42, v128 offset:1024
.LBB1773_273:                           ;   in Loop: Header=BB1773_233 Depth=2
	s_or_b64 exec, exec, s[36:37]
	v_mov_b32_e32 v128, 0
	s_waitcnt lgkmcnt(0)
	s_barrier
	s_and_saveexec_b64 s[36:37], s[10:11]
; %bb.274:                              ;   in Loop: Header=BB1773_233 Depth=2
	ds_read_b32 v128, v37 offset:1020
; %bb.275:                              ;   in Loop: Header=BB1773_233 Depth=2
	s_or_b64 exec, exec, s[36:37]
	s_waitcnt lgkmcnt(0)
	v_add_u32_e32 v127, v128, v127
	ds_bpermute_b32 v127, v82, v127
	s_waitcnt lgkmcnt(0)
	v_cndmask_b32_e64 v127, v127, v128, s[28:29]
	v_cndmask_b32_e64 v127, v127, 0, s[12:13]
	v_add_u32_e32 v23, v127, v23
	v_add_u32_e32 v24, v23, v24
	;; [unrolled: 1-line block ×4, first 2 shown]
	ds_write2_b32 v62, v127, v23 offset1:1
	ds_write2_b32 v63, v24, v21 offset1:1
	ds_write_b32 v41, v22 offset:1056
	s_waitcnt lgkmcnt(0)
	s_barrier
	ds_read_b32 v21, v101 offset:1040
	ds_read_b32 v22, v105 offset:1040
	;; [unrolled: 1-line block ×9, first 2 shown]
	v_mov_b32_e32 v4, 0x800
	s_and_saveexec_b64 s[36:37], s[14:15]
; %bb.276:                              ;   in Loop: Header=BB1773_233 Depth=2
	ds_read_b32 v4, v41 offset:1060
; %bb.277:                              ;   in Loop: Header=BB1773_233 Depth=2
	s_or_b64 exec, exec, s[36:37]
	s_waitcnt lgkmcnt(0)
	s_barrier
	s_and_saveexec_b64 s[36:37], s[4:5]
	s_cbranch_execz .LBB1773_279
; %bb.278:                              ;   in Loop: Header=BB1773_233 Depth=2
	ds_read_b32 v105, v25
	s_waitcnt lgkmcnt(0)
	v_sub_u32_e32 v101, v105, v101
	ds_write_b32 v25, v101
.LBB1773_279:                           ;   in Loop: Header=BB1773_233 Depth=2
	s_or_b64 exec, exec, s[36:37]
	v_add_u32_e32 v108, v21, v98
	v_add3_u32 v105, v102, v100, v22
	v_lshlrev_b32_e32 v21, 1, v108
	v_add3_u32 v102, v106, v104, v23
	ds_write_b16 v21, v97 offset:1024
	v_lshlrev_b32_e32 v21, 1, v105
	v_add3_u32 v101, v111, v109, v24
	ds_write_b16 v21, v99 offset:1024
	;; [unrolled: 3-line block ×6, first 2 shown]
	v_lshlrev_b32_e32 v21, 1, v24
	ds_write_b16 v21, v120 offset:1024
	v_lshlrev_b32_e32 v21, 1, v23
	v_cmp_lt_u32_e32 vcc, v0, v96
	ds_write_b16 v21, v123 offset:1024
	s_waitcnt lgkmcnt(0)
	s_barrier
	s_and_saveexec_b64 s[38:39], vcc
	s_cbranch_execnz .LBB1773_316
; %bb.280:                              ;   in Loop: Header=BB1773_233 Depth=2
	s_or_b64 exec, exec, s[38:39]
	v_cmp_lt_u32_e64 s[36:37], v26, v96
	s_and_saveexec_b64 s[40:41], s[36:37]
	s_cbranch_execnz .LBB1773_317
.LBB1773_281:                           ;   in Loop: Header=BB1773_233 Depth=2
	s_or_b64 exec, exec, s[40:41]
	v_cmp_lt_u32_e64 s[38:39], v27, v96
	s_and_saveexec_b64 s[42:43], s[38:39]
	s_cbranch_execnz .LBB1773_318
.LBB1773_282:                           ;   in Loop: Header=BB1773_233 Depth=2
	s_or_b64 exec, exec, s[42:43]
	v_cmp_lt_u32_e64 s[40:41], v28, v96
	s_and_saveexec_b64 s[44:45], s[40:41]
	s_cbranch_execnz .LBB1773_319
.LBB1773_283:                           ;   in Loop: Header=BB1773_233 Depth=2
	s_or_b64 exec, exec, s[44:45]
	v_cmp_lt_u32_e64 s[42:43], v31, v96
	s_and_saveexec_b64 s[46:47], s[42:43]
	s_cbranch_execnz .LBB1773_320
.LBB1773_284:                           ;   in Loop: Header=BB1773_233 Depth=2
	s_or_b64 exec, exec, s[46:47]
	v_cmp_lt_u32_e64 s[44:45], v32, v96
	s_and_saveexec_b64 s[48:49], s[44:45]
	s_cbranch_execnz .LBB1773_321
.LBB1773_285:                           ;   in Loop: Header=BB1773_233 Depth=2
	s_or_b64 exec, exec, s[48:49]
	v_cmp_lt_u32_e64 s[46:47], v33, v96
	s_and_saveexec_b64 s[52:53], s[46:47]
	s_cbranch_execnz .LBB1773_322
.LBB1773_286:                           ;   in Loop: Header=BB1773_233 Depth=2
	s_or_b64 exec, exec, s[52:53]
	v_cmp_lt_u32_e64 s[48:49], v34, v96
	s_and_saveexec_b64 s[60:61], s[48:49]
	s_cbranch_execz .LBB1773_288
.LBB1773_287:                           ;   in Loop: Header=BB1773_233 Depth=2
	ds_read_u16 v21, v47 offset:4608
	v_mov_b32_e32 v22, v3
	v_mov_b32_e32 v99, s69
	s_waitcnt lgkmcnt(0)
	v_cmp_ne_u16_e64 s[52:53], s62, v21
	v_cndmask_b32_e64 v97, v65, v21, s[52:53]
	v_lshrrev_b32_sdwa v97, s63, v97 dst_sel:DWORD dst_unused:UNUSED_PAD src0_sel:DWORD src1_sel:WORD_0
	v_and_b32_e32 v97, s70, v97
	v_lshlrev_b32_e32 v97, 2, v97
	ds_read_b32 v97, v97
	v_cmp_gt_i16_e64 s[52:53], 0, v21
	v_cndmask_b32_e64 v103, v65, 0, s[52:53]
	v_xor_b32_e32 v103, v103, v21
	s_waitcnt lgkmcnt(0)
	v_add_u32_e32 v21, v97, v34
	v_lshlrev_b64 v[21:22], 1, v[21:22]
	v_add_co_u32_e64 v21, s[52:53], s68, v21
	v_addc_co_u32_e64 v22, s[52:53], v99, v22, s[52:53]
	global_store_short v[21:22], v103, off
.LBB1773_288:                           ;   in Loop: Header=BB1773_233 Depth=2
	s_or_b64 exec, exec, s[60:61]
	s_lshl_b64 s[52:53], s[58:59], 3
	v_mov_b32_e32 v22, s53
	v_add_co_u32_e64 v21, s[52:53], s52, v83
	v_addc_co_u32_e64 v22, s[52:53], v84, v22, s[52:53]
	v_cmp_lt_u32_e64 s[52:53], v73, v96
	s_and_saveexec_b64 s[60:61], s[52:53]
	s_xor_b64 s[52:53], exec, s[60:61]
	s_cbranch_execnz .LBB1773_323
; %bb.289:                              ;   in Loop: Header=BB1773_233 Depth=2
	s_or_b64 exec, exec, s[52:53]
	v_cmp_lt_u32_e64 s[52:53], v74, v96
	s_and_saveexec_b64 s[60:61], s[52:53]
	s_cbranch_execnz .LBB1773_324
.LBB1773_290:                           ;   in Loop: Header=BB1773_233 Depth=2
	s_or_b64 exec, exec, s[60:61]
	v_cmp_lt_u32_e64 s[52:53], v75, v96
	s_and_saveexec_b64 s[60:61], s[52:53]
	s_cbranch_execnz .LBB1773_325
.LBB1773_291:                           ;   in Loop: Header=BB1773_233 Depth=2
	s_or_b64 exec, exec, s[60:61]
	v_cmp_lt_u32_e64 s[52:53], v76, v96
	s_and_saveexec_b64 s[60:61], s[52:53]
	s_cbranch_execnz .LBB1773_326
.LBB1773_292:                           ;   in Loop: Header=BB1773_233 Depth=2
	s_or_b64 exec, exec, s[60:61]
	v_cmp_lt_u32_e64 s[52:53], v77, v96
	s_and_saveexec_b64 s[60:61], s[52:53]
	s_cbranch_execnz .LBB1773_327
.LBB1773_293:                           ;   in Loop: Header=BB1773_233 Depth=2
	s_or_b64 exec, exec, s[60:61]
	v_cmp_lt_u32_e64 s[52:53], v78, v96
	s_and_saveexec_b64 s[60:61], s[52:53]
	s_cbranch_execnz .LBB1773_328
.LBB1773_294:                           ;   in Loop: Header=BB1773_233 Depth=2
	s_or_b64 exec, exec, s[60:61]
	v_cmp_lt_u32_e64 s[52:53], v79, v96
	s_and_saveexec_b64 s[60:61], s[52:53]
	s_cbranch_execnz .LBB1773_329
.LBB1773_295:                           ;   in Loop: Header=BB1773_233 Depth=2
	s_or_b64 exec, exec, s[60:61]
	v_cmp_lt_u32_e64 s[52:53], v80, v96
	s_and_saveexec_b64 s[60:61], s[52:53]
	s_cbranch_execnz .LBB1773_330
.LBB1773_296:                           ;   in Loop: Header=BB1773_233 Depth=2
	s_or_b64 exec, exec, s[60:61]
	s_and_saveexec_b64 s[60:61], vcc
	s_cbranch_execnz .LBB1773_331
.LBB1773_297:                           ;   in Loop: Header=BB1773_233 Depth=2
	s_or_b64 exec, exec, s[60:61]
	s_and_saveexec_b64 s[60:61], s[36:37]
	s_cbranch_execnz .LBB1773_332
.LBB1773_298:                           ;   in Loop: Header=BB1773_233 Depth=2
	s_or_b64 exec, exec, s[60:61]
	s_and_saveexec_b64 s[60:61], s[38:39]
	s_cbranch_execnz .LBB1773_333
.LBB1773_299:                           ;   in Loop: Header=BB1773_233 Depth=2
	s_or_b64 exec, exec, s[60:61]
	s_and_saveexec_b64 s[60:61], s[40:41]
	s_cbranch_execnz .LBB1773_334
.LBB1773_300:                           ;   in Loop: Header=BB1773_233 Depth=2
	s_or_b64 exec, exec, s[60:61]
	s_and_saveexec_b64 s[60:61], s[42:43]
	s_cbranch_execnz .LBB1773_335
.LBB1773_301:                           ;   in Loop: Header=BB1773_233 Depth=2
	s_or_b64 exec, exec, s[60:61]
	s_and_saveexec_b64 s[60:61], s[44:45]
	s_cbranch_execnz .LBB1773_336
.LBB1773_302:                           ;   in Loop: Header=BB1773_233 Depth=2
	s_or_b64 exec, exec, s[60:61]
	s_and_saveexec_b64 s[60:61], s[46:47]
	s_cbranch_execnz .LBB1773_337
.LBB1773_303:                           ;   in Loop: Header=BB1773_233 Depth=2
	s_or_b64 exec, exec, s[60:61]
	s_and_saveexec_b64 s[60:61], s[48:49]
	s_cbranch_execz .LBB1773_305
.LBB1773_304:                           ;   in Loop: Header=BB1773_233 Depth=2
	ds_read_u16 v21, v47 offset:4608
	s_waitcnt lgkmcnt(0)
	v_cmp_ne_u16_e64 s[52:53], s62, v21
	v_cndmask_b32_e64 v21, v65, v21, s[52:53]
	v_lshrrev_b32_sdwa v21, s63, v21 dst_sel:DWORD dst_unused:UNUSED_PAD src0_sel:DWORD src1_sel:WORD_0
	v_and_b32_e32 v87, s70, v21
.LBB1773_305:                           ;   in Loop: Header=BB1773_233 Depth=2
	s_or_b64 exec, exec, s[60:61]
	v_lshlrev_b32_e32 v21, 3, v108
	s_waitcnt vmcnt(0)
	s_barrier
	ds_write_b64 v21, v[19:20] offset:1024
	v_lshlrev_b32_e32 v21, 3, v105
	ds_write_b64 v21, v[17:18] offset:1024
	v_lshlrev_b32_e32 v21, 3, v102
	;; [unrolled: 2-line block ×7, first 2 shown]
	ds_write_b64 v21, v[5:6] offset:1024
	s_waitcnt lgkmcnt(0)
	s_barrier
	s_and_saveexec_b64 s[52:53], vcc
	s_cbranch_execnz .LBB1773_338
; %bb.306:                              ;   in Loop: Header=BB1773_233 Depth=2
	s_or_b64 exec, exec, s[52:53]
	s_and_saveexec_b64 s[52:53], s[36:37]
	s_cbranch_execnz .LBB1773_339
.LBB1773_307:                           ;   in Loop: Header=BB1773_233 Depth=2
	s_or_b64 exec, exec, s[52:53]
	s_and_saveexec_b64 s[36:37], s[38:39]
	s_cbranch_execnz .LBB1773_340
.LBB1773_308:                           ;   in Loop: Header=BB1773_233 Depth=2
	s_or_b64 exec, exec, s[36:37]
	s_and_saveexec_b64 s[36:37], s[40:41]
	s_cbranch_execnz .LBB1773_341
.LBB1773_309:                           ;   in Loop: Header=BB1773_233 Depth=2
	s_or_b64 exec, exec, s[36:37]
	s_and_saveexec_b64 s[36:37], s[42:43]
	s_cbranch_execnz .LBB1773_342
.LBB1773_310:                           ;   in Loop: Header=BB1773_233 Depth=2
	s_or_b64 exec, exec, s[36:37]
	s_and_saveexec_b64 s[36:37], s[44:45]
	s_cbranch_execnz .LBB1773_343
.LBB1773_311:                           ;   in Loop: Header=BB1773_233 Depth=2
	s_or_b64 exec, exec, s[36:37]
	s_and_saveexec_b64 s[36:37], s[46:47]
	s_cbranch_execnz .LBB1773_344
.LBB1773_312:                           ;   in Loop: Header=BB1773_233 Depth=2
	s_or_b64 exec, exec, s[36:37]
	s_and_saveexec_b64 s[36:37], s[48:49]
	s_cbranch_execz .LBB1773_314
.LBB1773_313:                           ;   in Loop: Header=BB1773_233 Depth=2
	v_lshlrev_b32_e32 v21, 2, v87
	ds_read_b32 v23, v21
	v_add_u32_e32 v21, v47, v48
	ds_read_b64 v[21:22], v21 offset:15360
	v_mov_b32_e32 v24, v3
	v_mov_b32_e32 v96, s75
	s_waitcnt lgkmcnt(1)
	v_add_u32_e32 v23, v23, v34
	v_lshlrev_b64 v[23:24], 3, v[23:24]
	v_add_co_u32_e32 v23, vcc, s74, v23
	v_addc_co_u32_e32 v24, vcc, v96, v24, vcc
	s_waitcnt lgkmcnt(0)
	global_store_dwordx2 v[23:24], v[21:22], off
.LBB1773_314:                           ;   in Loop: Header=BB1773_233 Depth=2
	s_or_b64 exec, exec, s[36:37]
	s_waitcnt vmcnt(0)
	s_barrier
	s_and_saveexec_b64 s[36:37], s[4:5]
	s_cbranch_execz .LBB1773_232
; %bb.315:                              ;   in Loop: Header=BB1773_233 Depth=2
	ds_read_b32 v21, v25
	s_waitcnt lgkmcnt(0)
	v_add_u32_e32 v4, v21, v4
	ds_write_b32 v25, v4
	s_branch .LBB1773_232
.LBB1773_316:                           ;   in Loop: Header=BB1773_233 Depth=2
	ds_read_u16 v21, v47 offset:1024
	v_mov_b32_e32 v22, v3
	v_mov_b32_e32 v99, s69
	s_waitcnt lgkmcnt(0)
	v_cmp_ne_u16_e64 s[36:37], s62, v21
	v_cndmask_b32_e64 v97, v65, v21, s[36:37]
	v_lshrrev_b32_sdwa v97, s63, v97 dst_sel:DWORD dst_unused:UNUSED_PAD src0_sel:DWORD src1_sel:WORD_0
	v_and_b32_e32 v97, s70, v97
	v_lshlrev_b32_e32 v97, 2, v97
	ds_read_b32 v97, v97
	v_cmp_gt_i16_e64 s[36:37], 0, v21
	v_cndmask_b32_e64 v103, v65, 0, s[36:37]
	v_xor_b32_e32 v103, v103, v21
	s_waitcnt lgkmcnt(0)
	v_add_u32_e32 v21, v97, v0
	v_lshlrev_b64 v[21:22], 1, v[21:22]
	v_add_co_u32_e64 v21, s[36:37], s68, v21
	v_addc_co_u32_e64 v22, s[36:37], v99, v22, s[36:37]
	global_store_short v[21:22], v103, off
	s_or_b64 exec, exec, s[38:39]
	v_cmp_lt_u32_e64 s[36:37], v26, v96
	s_and_saveexec_b64 s[40:41], s[36:37]
	s_cbranch_execz .LBB1773_281
.LBB1773_317:                           ;   in Loop: Header=BB1773_233 Depth=2
	ds_read_u16 v21, v47 offset:1536
	v_mov_b32_e32 v22, v3
	v_mov_b32_e32 v99, s69
	s_waitcnt lgkmcnt(0)
	v_cmp_ne_u16_e64 s[38:39], s62, v21
	v_cndmask_b32_e64 v97, v65, v21, s[38:39]
	v_lshrrev_b32_sdwa v97, s63, v97 dst_sel:DWORD dst_unused:UNUSED_PAD src0_sel:DWORD src1_sel:WORD_0
	v_and_b32_e32 v97, s70, v97
	v_lshlrev_b32_e32 v97, 2, v97
	ds_read_b32 v97, v97
	v_cmp_gt_i16_e64 s[38:39], 0, v21
	v_cndmask_b32_e64 v103, v65, 0, s[38:39]
	v_xor_b32_e32 v103, v103, v21
	s_waitcnt lgkmcnt(0)
	v_add_u32_e32 v21, v97, v26
	v_lshlrev_b64 v[21:22], 1, v[21:22]
	v_add_co_u32_e64 v21, s[38:39], s68, v21
	v_addc_co_u32_e64 v22, s[38:39], v99, v22, s[38:39]
	global_store_short v[21:22], v103, off
	s_or_b64 exec, exec, s[40:41]
	v_cmp_lt_u32_e64 s[38:39], v27, v96
	s_and_saveexec_b64 s[42:43], s[38:39]
	s_cbranch_execz .LBB1773_282
.LBB1773_318:                           ;   in Loop: Header=BB1773_233 Depth=2
	ds_read_u16 v21, v47 offset:2048
	v_mov_b32_e32 v22, v3
	v_mov_b32_e32 v99, s69
	s_waitcnt lgkmcnt(0)
	v_cmp_ne_u16_e64 s[40:41], s62, v21
	v_cndmask_b32_e64 v97, v65, v21, s[40:41]
	v_lshrrev_b32_sdwa v97, s63, v97 dst_sel:DWORD dst_unused:UNUSED_PAD src0_sel:DWORD src1_sel:WORD_0
	v_and_b32_e32 v97, s70, v97
	v_lshlrev_b32_e32 v97, 2, v97
	ds_read_b32 v97, v97
	v_cmp_gt_i16_e64 s[40:41], 0, v21
	v_cndmask_b32_e64 v103, v65, 0, s[40:41]
	v_xor_b32_e32 v103, v103, v21
	s_waitcnt lgkmcnt(0)
	v_add_u32_e32 v21, v97, v27
	v_lshlrev_b64 v[21:22], 1, v[21:22]
	v_add_co_u32_e64 v21, s[40:41], s68, v21
	v_addc_co_u32_e64 v22, s[40:41], v99, v22, s[40:41]
	global_store_short v[21:22], v103, off
	s_or_b64 exec, exec, s[42:43]
	v_cmp_lt_u32_e64 s[40:41], v28, v96
	s_and_saveexec_b64 s[44:45], s[40:41]
	s_cbranch_execz .LBB1773_283
.LBB1773_319:                           ;   in Loop: Header=BB1773_233 Depth=2
	ds_read_u16 v21, v47 offset:2560
	v_mov_b32_e32 v22, v3
	v_mov_b32_e32 v99, s69
	s_waitcnt lgkmcnt(0)
	v_cmp_ne_u16_e64 s[42:43], s62, v21
	v_cndmask_b32_e64 v97, v65, v21, s[42:43]
	v_lshrrev_b32_sdwa v97, s63, v97 dst_sel:DWORD dst_unused:UNUSED_PAD src0_sel:DWORD src1_sel:WORD_0
	v_and_b32_e32 v97, s70, v97
	v_lshlrev_b32_e32 v97, 2, v97
	ds_read_b32 v97, v97
	v_cmp_gt_i16_e64 s[42:43], 0, v21
	v_cndmask_b32_e64 v103, v65, 0, s[42:43]
	v_xor_b32_e32 v103, v103, v21
	s_waitcnt lgkmcnt(0)
	v_add_u32_e32 v21, v97, v28
	v_lshlrev_b64 v[21:22], 1, v[21:22]
	v_add_co_u32_e64 v21, s[42:43], s68, v21
	v_addc_co_u32_e64 v22, s[42:43], v99, v22, s[42:43]
	global_store_short v[21:22], v103, off
	s_or_b64 exec, exec, s[44:45]
	v_cmp_lt_u32_e64 s[42:43], v31, v96
	s_and_saveexec_b64 s[46:47], s[42:43]
	s_cbranch_execz .LBB1773_284
.LBB1773_320:                           ;   in Loop: Header=BB1773_233 Depth=2
	ds_read_u16 v21, v47 offset:3072
	v_mov_b32_e32 v22, v3
	v_mov_b32_e32 v99, s69
	s_waitcnt lgkmcnt(0)
	v_cmp_ne_u16_e64 s[44:45], s62, v21
	v_cndmask_b32_e64 v97, v65, v21, s[44:45]
	v_lshrrev_b32_sdwa v97, s63, v97 dst_sel:DWORD dst_unused:UNUSED_PAD src0_sel:DWORD src1_sel:WORD_0
	v_and_b32_e32 v97, s70, v97
	v_lshlrev_b32_e32 v97, 2, v97
	ds_read_b32 v97, v97
	v_cmp_gt_i16_e64 s[44:45], 0, v21
	v_cndmask_b32_e64 v103, v65, 0, s[44:45]
	v_xor_b32_e32 v103, v103, v21
	s_waitcnt lgkmcnt(0)
	v_add_u32_e32 v21, v97, v31
	v_lshlrev_b64 v[21:22], 1, v[21:22]
	v_add_co_u32_e64 v21, s[44:45], s68, v21
	v_addc_co_u32_e64 v22, s[44:45], v99, v22, s[44:45]
	global_store_short v[21:22], v103, off
	s_or_b64 exec, exec, s[46:47]
	v_cmp_lt_u32_e64 s[44:45], v32, v96
	s_and_saveexec_b64 s[48:49], s[44:45]
	s_cbranch_execz .LBB1773_285
.LBB1773_321:                           ;   in Loop: Header=BB1773_233 Depth=2
	ds_read_u16 v21, v47 offset:3584
	v_mov_b32_e32 v22, v3
	v_mov_b32_e32 v99, s69
	s_waitcnt lgkmcnt(0)
	v_cmp_ne_u16_e64 s[46:47], s62, v21
	v_cndmask_b32_e64 v97, v65, v21, s[46:47]
	v_lshrrev_b32_sdwa v97, s63, v97 dst_sel:DWORD dst_unused:UNUSED_PAD src0_sel:DWORD src1_sel:WORD_0
	v_and_b32_e32 v97, s70, v97
	v_lshlrev_b32_e32 v97, 2, v97
	ds_read_b32 v97, v97
	v_cmp_gt_i16_e64 s[46:47], 0, v21
	v_cndmask_b32_e64 v103, v65, 0, s[46:47]
	v_xor_b32_e32 v103, v103, v21
	s_waitcnt lgkmcnt(0)
	v_add_u32_e32 v21, v97, v32
	v_lshlrev_b64 v[21:22], 1, v[21:22]
	v_add_co_u32_e64 v21, s[46:47], s68, v21
	v_addc_co_u32_e64 v22, s[46:47], v99, v22, s[46:47]
	global_store_short v[21:22], v103, off
	s_or_b64 exec, exec, s[48:49]
	v_cmp_lt_u32_e64 s[46:47], v33, v96
	s_and_saveexec_b64 s[52:53], s[46:47]
	s_cbranch_execz .LBB1773_286
.LBB1773_322:                           ;   in Loop: Header=BB1773_233 Depth=2
	ds_read_u16 v21, v47 offset:4096
	v_mov_b32_e32 v22, v3
	v_mov_b32_e32 v99, s69
	s_waitcnt lgkmcnt(0)
	v_cmp_ne_u16_e64 s[48:49], s62, v21
	v_cndmask_b32_e64 v97, v65, v21, s[48:49]
	v_lshrrev_b32_sdwa v97, s63, v97 dst_sel:DWORD dst_unused:UNUSED_PAD src0_sel:DWORD src1_sel:WORD_0
	v_and_b32_e32 v97, s70, v97
	v_lshlrev_b32_e32 v97, 2, v97
	ds_read_b32 v97, v97
	v_cmp_gt_i16_e64 s[48:49], 0, v21
	v_cndmask_b32_e64 v103, v65, 0, s[48:49]
	v_xor_b32_e32 v103, v103, v21
	s_waitcnt lgkmcnt(0)
	v_add_u32_e32 v21, v97, v33
	v_lshlrev_b64 v[21:22], 1, v[21:22]
	v_add_co_u32_e64 v21, s[48:49], s68, v21
	v_addc_co_u32_e64 v22, s[48:49], v99, v22, s[48:49]
	global_store_short v[21:22], v103, off
	s_or_b64 exec, exec, s[52:53]
	v_cmp_lt_u32_e64 s[48:49], v34, v96
	s_and_saveexec_b64 s[60:61], s[48:49]
	s_cbranch_execnz .LBB1773_287
	s_branch .LBB1773_288
.LBB1773_323:                           ;   in Loop: Header=BB1773_233 Depth=2
	global_load_dwordx2 v[19:20], v[21:22], off
	s_or_b64 exec, exec, s[52:53]
	v_cmp_lt_u32_e64 s[52:53], v74, v96
	s_and_saveexec_b64 s[60:61], s[52:53]
	s_cbranch_execz .LBB1773_290
.LBB1773_324:                           ;   in Loop: Header=BB1773_233 Depth=2
	global_load_dwordx2 v[17:18], v[21:22], off offset:512
	s_or_b64 exec, exec, s[60:61]
	v_cmp_lt_u32_e64 s[52:53], v75, v96
	s_and_saveexec_b64 s[60:61], s[52:53]
	s_cbranch_execz .LBB1773_291
.LBB1773_325:                           ;   in Loop: Header=BB1773_233 Depth=2
	global_load_dwordx2 v[15:16], v[21:22], off offset:1024
	s_or_b64 exec, exec, s[60:61]
	v_cmp_lt_u32_e64 s[52:53], v76, v96
	s_and_saveexec_b64 s[60:61], s[52:53]
	s_cbranch_execz .LBB1773_292
.LBB1773_326:                           ;   in Loop: Header=BB1773_233 Depth=2
	global_load_dwordx2 v[13:14], v[21:22], off offset:1536
	s_or_b64 exec, exec, s[60:61]
	v_cmp_lt_u32_e64 s[52:53], v77, v96
	s_and_saveexec_b64 s[60:61], s[52:53]
	s_cbranch_execz .LBB1773_293
.LBB1773_327:                           ;   in Loop: Header=BB1773_233 Depth=2
	global_load_dwordx2 v[11:12], v[21:22], off offset:2048
	s_or_b64 exec, exec, s[60:61]
	v_cmp_lt_u32_e64 s[52:53], v78, v96
	s_and_saveexec_b64 s[60:61], s[52:53]
	s_cbranch_execz .LBB1773_294
.LBB1773_328:                           ;   in Loop: Header=BB1773_233 Depth=2
	global_load_dwordx2 v[9:10], v[21:22], off offset:2560
	s_or_b64 exec, exec, s[60:61]
	v_cmp_lt_u32_e64 s[52:53], v79, v96
	s_and_saveexec_b64 s[60:61], s[52:53]
	s_cbranch_execz .LBB1773_295
.LBB1773_329:                           ;   in Loop: Header=BB1773_233 Depth=2
	global_load_dwordx2 v[7:8], v[21:22], off offset:3072
	s_or_b64 exec, exec, s[60:61]
	v_cmp_lt_u32_e64 s[52:53], v80, v96
	s_and_saveexec_b64 s[60:61], s[52:53]
	s_cbranch_execz .LBB1773_296
.LBB1773_330:                           ;   in Loop: Header=BB1773_233 Depth=2
	global_load_dwordx2 v[5:6], v[21:22], off offset:3584
	s_or_b64 exec, exec, s[60:61]
	s_and_saveexec_b64 s[60:61], vcc
	s_cbranch_execz .LBB1773_297
.LBB1773_331:                           ;   in Loop: Header=BB1773_233 Depth=2
	ds_read_u16 v21, v47 offset:1024
	s_waitcnt lgkmcnt(0)
	v_cmp_ne_u16_e64 s[52:53], s62, v21
	v_cndmask_b32_e64 v21, v65, v21, s[52:53]
	v_lshrrev_b32_sdwa v21, s63, v21 dst_sel:DWORD dst_unused:UNUSED_PAD src0_sel:DWORD src1_sel:WORD_0
	v_and_b32_e32 v95, s70, v21
	s_or_b64 exec, exec, s[60:61]
	s_and_saveexec_b64 s[60:61], s[36:37]
	s_cbranch_execz .LBB1773_298
.LBB1773_332:                           ;   in Loop: Header=BB1773_233 Depth=2
	ds_read_u16 v21, v47 offset:1536
	s_waitcnt lgkmcnt(0)
	v_cmp_ne_u16_e64 s[52:53], s62, v21
	v_cndmask_b32_e64 v21, v65, v21, s[52:53]
	v_lshrrev_b32_sdwa v21, s63, v21 dst_sel:DWORD dst_unused:UNUSED_PAD src0_sel:DWORD src1_sel:WORD_0
	v_and_b32_e32 v94, s70, v21
	s_or_b64 exec, exec, s[60:61]
	s_and_saveexec_b64 s[60:61], s[38:39]
	s_cbranch_execz .LBB1773_299
.LBB1773_333:                           ;   in Loop: Header=BB1773_233 Depth=2
	ds_read_u16 v21, v47 offset:2048
	s_waitcnt lgkmcnt(0)
	v_cmp_ne_u16_e64 s[52:53], s62, v21
	v_cndmask_b32_e64 v21, v65, v21, s[52:53]
	v_lshrrev_b32_sdwa v21, s63, v21 dst_sel:DWORD dst_unused:UNUSED_PAD src0_sel:DWORD src1_sel:WORD_0
	v_and_b32_e32 v93, s70, v21
	s_or_b64 exec, exec, s[60:61]
	s_and_saveexec_b64 s[60:61], s[40:41]
	s_cbranch_execz .LBB1773_300
.LBB1773_334:                           ;   in Loop: Header=BB1773_233 Depth=2
	ds_read_u16 v21, v47 offset:2560
	s_waitcnt lgkmcnt(0)
	v_cmp_ne_u16_e64 s[52:53], s62, v21
	v_cndmask_b32_e64 v21, v65, v21, s[52:53]
	v_lshrrev_b32_sdwa v21, s63, v21 dst_sel:DWORD dst_unused:UNUSED_PAD src0_sel:DWORD src1_sel:WORD_0
	v_and_b32_e32 v92, s70, v21
	s_or_b64 exec, exec, s[60:61]
	s_and_saveexec_b64 s[60:61], s[42:43]
	s_cbranch_execz .LBB1773_301
.LBB1773_335:                           ;   in Loop: Header=BB1773_233 Depth=2
	ds_read_u16 v21, v47 offset:3072
	s_waitcnt lgkmcnt(0)
	v_cmp_ne_u16_e64 s[52:53], s62, v21
	v_cndmask_b32_e64 v21, v65, v21, s[52:53]
	v_lshrrev_b32_sdwa v21, s63, v21 dst_sel:DWORD dst_unused:UNUSED_PAD src0_sel:DWORD src1_sel:WORD_0
	v_and_b32_e32 v90, s70, v21
	s_or_b64 exec, exec, s[60:61]
	s_and_saveexec_b64 s[60:61], s[44:45]
	s_cbranch_execz .LBB1773_302
.LBB1773_336:                           ;   in Loop: Header=BB1773_233 Depth=2
	ds_read_u16 v21, v47 offset:3584
	s_waitcnt lgkmcnt(0)
	v_cmp_ne_u16_e64 s[52:53], s62, v21
	v_cndmask_b32_e64 v21, v65, v21, s[52:53]
	v_lshrrev_b32_sdwa v21, s63, v21 dst_sel:DWORD dst_unused:UNUSED_PAD src0_sel:DWORD src1_sel:WORD_0
	v_and_b32_e32 v89, s70, v21
	s_or_b64 exec, exec, s[60:61]
	s_and_saveexec_b64 s[60:61], s[46:47]
	s_cbranch_execz .LBB1773_303
.LBB1773_337:                           ;   in Loop: Header=BB1773_233 Depth=2
	ds_read_u16 v21, v47 offset:4096
	s_waitcnt lgkmcnt(0)
	v_cmp_ne_u16_e64 s[52:53], s62, v21
	v_cndmask_b32_e64 v21, v65, v21, s[52:53]
	v_lshrrev_b32_sdwa v21, s63, v21 dst_sel:DWORD dst_unused:UNUSED_PAD src0_sel:DWORD src1_sel:WORD_0
	v_and_b32_e32 v88, s70, v21
	s_or_b64 exec, exec, s[60:61]
	s_and_saveexec_b64 s[60:61], s[48:49]
	s_cbranch_execnz .LBB1773_304
	s_branch .LBB1773_305
.LBB1773_338:                           ;   in Loop: Header=BB1773_233 Depth=2
	v_lshlrev_b32_e32 v21, 2, v95
	ds_read_b32 v23, v21
	v_add_u32_e32 v21, v47, v48
	ds_read_b64 v[21:22], v21 offset:1024
	v_mov_b32_e32 v24, v3
	v_mov_b32_e32 v96, s75
	s_waitcnt lgkmcnt(1)
	v_add_u32_e32 v23, v23, v0
	v_lshlrev_b64 v[23:24], 3, v[23:24]
	v_add_co_u32_e32 v23, vcc, s74, v23
	v_addc_co_u32_e32 v24, vcc, v96, v24, vcc
	s_waitcnt lgkmcnt(0)
	global_store_dwordx2 v[23:24], v[21:22], off
	s_or_b64 exec, exec, s[52:53]
	s_and_saveexec_b64 s[52:53], s[36:37]
	s_cbranch_execz .LBB1773_307
.LBB1773_339:                           ;   in Loop: Header=BB1773_233 Depth=2
	v_lshlrev_b32_e32 v21, 2, v94
	ds_read_b32 v23, v21
	v_add_u32_e32 v21, v47, v48
	ds_read_b64 v[21:22], v21 offset:3072
	v_mov_b32_e32 v24, v3
	v_mov_b32_e32 v96, s75
	s_waitcnt lgkmcnt(1)
	v_add_u32_e32 v23, v23, v26
	v_lshlrev_b64 v[23:24], 3, v[23:24]
	v_add_co_u32_e32 v23, vcc, s74, v23
	v_addc_co_u32_e32 v24, vcc, v96, v24, vcc
	s_waitcnt lgkmcnt(0)
	global_store_dwordx2 v[23:24], v[21:22], off
	s_or_b64 exec, exec, s[52:53]
	s_and_saveexec_b64 s[36:37], s[38:39]
	s_cbranch_execz .LBB1773_308
.LBB1773_340:                           ;   in Loop: Header=BB1773_233 Depth=2
	v_lshlrev_b32_e32 v21, 2, v93
	ds_read_b32 v23, v21
	v_add_u32_e32 v21, v47, v48
	ds_read_b64 v[21:22], v21 offset:5120
	v_mov_b32_e32 v24, v3
	v_mov_b32_e32 v96, s75
	s_waitcnt lgkmcnt(1)
	v_add_u32_e32 v23, v23, v27
	v_lshlrev_b64 v[23:24], 3, v[23:24]
	v_add_co_u32_e32 v23, vcc, s74, v23
	v_addc_co_u32_e32 v24, vcc, v96, v24, vcc
	s_waitcnt lgkmcnt(0)
	global_store_dwordx2 v[23:24], v[21:22], off
	s_or_b64 exec, exec, s[36:37]
	s_and_saveexec_b64 s[36:37], s[40:41]
	s_cbranch_execz .LBB1773_309
.LBB1773_341:                           ;   in Loop: Header=BB1773_233 Depth=2
	v_lshlrev_b32_e32 v21, 2, v92
	ds_read_b32 v23, v21
	v_add_u32_e32 v21, v47, v48
	ds_read_b64 v[21:22], v21 offset:7168
	v_mov_b32_e32 v24, v3
	v_mov_b32_e32 v96, s75
	s_waitcnt lgkmcnt(1)
	v_add_u32_e32 v23, v23, v28
	v_lshlrev_b64 v[23:24], 3, v[23:24]
	v_add_co_u32_e32 v23, vcc, s74, v23
	v_addc_co_u32_e32 v24, vcc, v96, v24, vcc
	s_waitcnt lgkmcnt(0)
	global_store_dwordx2 v[23:24], v[21:22], off
	s_or_b64 exec, exec, s[36:37]
	s_and_saveexec_b64 s[36:37], s[42:43]
	s_cbranch_execz .LBB1773_310
.LBB1773_342:                           ;   in Loop: Header=BB1773_233 Depth=2
	v_lshlrev_b32_e32 v21, 2, v90
	ds_read_b32 v23, v21
	v_add_u32_e32 v21, v47, v48
	ds_read_b64 v[21:22], v21 offset:9216
	v_mov_b32_e32 v24, v3
	v_mov_b32_e32 v96, s75
	s_waitcnt lgkmcnt(1)
	v_add_u32_e32 v23, v23, v31
	v_lshlrev_b64 v[23:24], 3, v[23:24]
	v_add_co_u32_e32 v23, vcc, s74, v23
	v_addc_co_u32_e32 v24, vcc, v96, v24, vcc
	s_waitcnt lgkmcnt(0)
	global_store_dwordx2 v[23:24], v[21:22], off
	s_or_b64 exec, exec, s[36:37]
	s_and_saveexec_b64 s[36:37], s[44:45]
	s_cbranch_execz .LBB1773_311
.LBB1773_343:                           ;   in Loop: Header=BB1773_233 Depth=2
	v_lshlrev_b32_e32 v21, 2, v89
	ds_read_b32 v23, v21
	v_add_u32_e32 v21, v47, v48
	ds_read_b64 v[21:22], v21 offset:11264
	v_mov_b32_e32 v24, v3
	v_mov_b32_e32 v96, s75
	s_waitcnt lgkmcnt(1)
	v_add_u32_e32 v23, v23, v32
	v_lshlrev_b64 v[23:24], 3, v[23:24]
	v_add_co_u32_e32 v23, vcc, s74, v23
	v_addc_co_u32_e32 v24, vcc, v96, v24, vcc
	s_waitcnt lgkmcnt(0)
	global_store_dwordx2 v[23:24], v[21:22], off
	s_or_b64 exec, exec, s[36:37]
	s_and_saveexec_b64 s[36:37], s[46:47]
	s_cbranch_execz .LBB1773_312
.LBB1773_344:                           ;   in Loop: Header=BB1773_233 Depth=2
	v_lshlrev_b32_e32 v21, 2, v88
	ds_read_b32 v23, v21
	v_add_u32_e32 v21, v47, v48
	ds_read_b64 v[21:22], v21 offset:13312
	v_mov_b32_e32 v24, v3
	v_mov_b32_e32 v96, s75
	s_waitcnt lgkmcnt(1)
	v_add_u32_e32 v23, v23, v33
	v_lshlrev_b64 v[23:24], 3, v[23:24]
	v_add_co_u32_e32 v23, vcc, s74, v23
	v_addc_co_u32_e32 v24, vcc, v96, v24, vcc
	s_waitcnt lgkmcnt(0)
	global_store_dwordx2 v[23:24], v[21:22], off
	s_or_b64 exec, exec, s[36:37]
	s_and_saveexec_b64 s[36:37], s[48:49]
	s_cbranch_execnz .LBB1773_313
	s_branch .LBB1773_314
.LBB1773_345:                           ;   in Loop: Header=BB1773_17 Depth=1
	s_waitcnt lgkmcnt(0)
	s_barrier
.LBB1773_346:                           ;   in Loop: Header=BB1773_17 Depth=1
	s_mov_b64 s[16:17], 0
.LBB1773_347:                           ;   in Loop: Header=BB1773_17 Depth=1
	s_andn2_b64 vcc, exec, s[16:17]
	s_cbranch_vccnz .LBB1773_16
; %bb.348:                              ;   in Loop: Header=BB1773_17 Depth=1
	s_mov_b64 s[16:17], -1
	s_and_b64 vcc, exec, s[54:55]
	s_cbranch_vccz .LBB1773_512
; %bb.349:                              ;   in Loop: Header=BB1773_17 Depth=1
	s_mov_b32 s20, s79
	s_mov_b32 s58, s51
	s_barrier
                                        ; implicit-def: $vgpr4
                                        ; implicit-def: $vgpr5
                                        ; implicit-def: $vgpr6
                                        ; implicit-def: $vgpr7
                                        ; implicit-def: $vgpr8
                                        ; implicit-def: $vgpr9
                                        ; implicit-def: $vgpr10
                                        ; implicit-def: $vgpr11
	s_branch .LBB1773_351
.LBB1773_350:                           ;   in Loop: Header=BB1773_351 Depth=2
	s_or_b64 exec, exec, s[16:17]
	s_addk_i32 s20, 0xf800
	s_cmp_ge_u32 s21, s80
	s_mov_b32 s58, s21
	s_cbranch_scc1 .LBB1773_387
.LBB1773_351:                           ;   Parent Loop BB1773_17 Depth=1
                                        ; =>  This Inner Loop Header: Depth=2
	s_add_i32 s21, s58, 0x800
	s_cmp_gt_u32 s21, s80
	s_mov_b64 s[16:17], -1
                                        ; implicit-def: $vgpr12
                                        ; implicit-def: $vgpr13
                                        ; implicit-def: $vgpr14
                                        ; implicit-def: $vgpr15
                                        ; implicit-def: $vgpr16
                                        ; implicit-def: $vgpr17
                                        ; implicit-def: $vgpr18
                                        ; implicit-def: $vgpr19
	s_cbranch_scc1 .LBB1773_353
; %bb.352:                              ;   in Loop: Header=BB1773_351 Depth=2
	s_lshl_b64 s[16:17], s[58:59], 1
	v_mov_b32_e32 v12, s17
	v_add_co_u32_e32 v20, vcc, s16, v55
	v_addc_co_u32_e32 v21, vcc, v56, v12, vcc
	global_load_ushort v12, v[20:21], off
	global_load_ushort v13, v[20:21], off offset:512
	global_load_ushort v14, v[20:21], off offset:1024
	;; [unrolled: 1-line block ×7, first 2 shown]
	s_mov_b64 s[16:17], 0
.LBB1773_353:                           ;   in Loop: Header=BB1773_351 Depth=2
	s_andn2_b64 vcc, exec, s[16:17]
	s_movk_i32 s18, 0x800
	s_cbranch_vccnz .LBB1773_364
; %bb.354:                              ;   in Loop: Header=BB1773_351 Depth=2
	s_lshl_b64 s[16:17], s[58:59], 1
	s_add_u32 s16, s64, s16
	s_addc_u32 s17, s65, s17
	v_cmp_gt_u32_e32 vcc, s20, v0
	s_and_saveexec_b64 s[18:19], vcc
	s_cbranch_execnz .LBB1773_380
; %bb.355:                              ;   in Loop: Header=BB1773_351 Depth=2
	s_or_b64 exec, exec, s[18:19]
	v_cmp_gt_u32_e32 vcc, s20, v26
	s_and_saveexec_b64 s[18:19], vcc
	s_cbranch_execnz .LBB1773_381
.LBB1773_356:                           ;   in Loop: Header=BB1773_351 Depth=2
	s_or_b64 exec, exec, s[18:19]
	v_cmp_gt_u32_e32 vcc, s20, v27
	s_and_saveexec_b64 s[18:19], vcc
	s_cbranch_execnz .LBB1773_382
.LBB1773_357:                           ;   in Loop: Header=BB1773_351 Depth=2
	s_or_b64 exec, exec, s[18:19]
	v_cmp_gt_u32_e32 vcc, s20, v28
	s_and_saveexec_b64 s[18:19], vcc
	s_cbranch_execnz .LBB1773_383
.LBB1773_358:                           ;   in Loop: Header=BB1773_351 Depth=2
	s_or_b64 exec, exec, s[18:19]
	v_cmp_gt_u32_e32 vcc, s20, v31
	s_and_saveexec_b64 s[18:19], vcc
	s_cbranch_execnz .LBB1773_384
.LBB1773_359:                           ;   in Loop: Header=BB1773_351 Depth=2
	s_or_b64 exec, exec, s[18:19]
	v_cmp_gt_u32_e32 vcc, s20, v32
	s_and_saveexec_b64 s[18:19], vcc
	s_cbranch_execnz .LBB1773_385
.LBB1773_360:                           ;   in Loop: Header=BB1773_351 Depth=2
	s_or_b64 exec, exec, s[18:19]
	v_cmp_gt_u32_e32 vcc, s20, v33
	s_and_saveexec_b64 s[18:19], vcc
	s_cbranch_execnz .LBB1773_386
.LBB1773_361:                           ;   in Loop: Header=BB1773_351 Depth=2
	s_or_b64 exec, exec, s[18:19]
	v_cmp_gt_u32_e32 vcc, s20, v34
	s_and_saveexec_b64 s[18:19], vcc
	s_cbranch_execz .LBB1773_363
.LBB1773_362:                           ;   in Loop: Header=BB1773_351 Depth=2
	global_load_ushort v4, v64, s[16:17] offset:3584
.LBB1773_363:                           ;   in Loop: Header=BB1773_351 Depth=2
	s_or_b64 exec, exec, s[18:19]
	s_mov_b32 s18, s20
	s_waitcnt vmcnt(0)
	v_mov_b32_e32 v12, v11
	v_mov_b32_e32 v13, v10
	;; [unrolled: 1-line block ×8, first 2 shown]
.LBB1773_364:                           ;   in Loop: Header=BB1773_351 Depth=2
	s_waitcnt vmcnt(0)
	v_mov_b32_e32 v4, v19
	v_mov_b32_e32 v5, v18
	;; [unrolled: 1-line block ×8, first 2 shown]
	v_cmp_gt_u32_e32 vcc, s18, v0
	s_and_saveexec_b64 s[16:17], vcc
	s_cbranch_execnz .LBB1773_372
; %bb.365:                              ;   in Loop: Header=BB1773_351 Depth=2
	s_or_b64 exec, exec, s[16:17]
	v_cmp_gt_u32_e32 vcc, s18, v26
	s_and_saveexec_b64 s[16:17], vcc
	s_cbranch_execnz .LBB1773_373
.LBB1773_366:                           ;   in Loop: Header=BB1773_351 Depth=2
	s_or_b64 exec, exec, s[16:17]
	v_cmp_gt_u32_e32 vcc, s18, v27
	s_and_saveexec_b64 s[16:17], vcc
	s_cbranch_execnz .LBB1773_374
.LBB1773_367:                           ;   in Loop: Header=BB1773_351 Depth=2
	s_or_b64 exec, exec, s[16:17]
	v_cmp_gt_u32_e32 vcc, s18, v28
	s_and_saveexec_b64 s[16:17], vcc
	s_cbranch_execnz .LBB1773_375
.LBB1773_368:                           ;   in Loop: Header=BB1773_351 Depth=2
	s_or_b64 exec, exec, s[16:17]
	v_cmp_gt_u32_e32 vcc, s18, v31
	s_and_saveexec_b64 s[16:17], vcc
	s_cbranch_execnz .LBB1773_376
.LBB1773_369:                           ;   in Loop: Header=BB1773_351 Depth=2
	s_or_b64 exec, exec, s[16:17]
	v_cmp_gt_u32_e32 vcc, s18, v32
	s_and_saveexec_b64 s[16:17], vcc
	s_cbranch_execnz .LBB1773_377
.LBB1773_370:                           ;   in Loop: Header=BB1773_351 Depth=2
	s_or_b64 exec, exec, s[16:17]
	v_cmp_gt_u32_e32 vcc, s18, v33
	s_and_saveexec_b64 s[16:17], vcc
	s_cbranch_execnz .LBB1773_378
.LBB1773_371:                           ;   in Loop: Header=BB1773_351 Depth=2
	s_or_b64 exec, exec, s[16:17]
	v_cmp_gt_u32_e32 vcc, s18, v34
	s_and_saveexec_b64 s[16:17], vcc
	s_cbranch_execz .LBB1773_350
	s_branch .LBB1773_379
.LBB1773_372:                           ;   in Loop: Header=BB1773_351 Depth=2
	v_cmp_gt_i16_e32 vcc, 0, v11
	v_cndmask_b32_e64 v12, v65, 0, vcc
	v_xor_b32_e32 v12, v12, v11
	v_cmp_ne_u16_e32 vcc, s62, v12
	v_cndmask_b32_e32 v12, v65, v12, vcc
	v_lshrrev_b32_sdwa v12, s77, v12 dst_sel:DWORD dst_unused:UNUSED_PAD src0_sel:DWORD src1_sel:WORD_0
	v_and_b32_e32 v12, s70, v12
	v_lshl_or_b32 v12, v12, 4, v35
	ds_add_u32 v12, v61
	s_or_b64 exec, exec, s[16:17]
	v_cmp_gt_u32_e32 vcc, s18, v26
	s_and_saveexec_b64 s[16:17], vcc
	s_cbranch_execz .LBB1773_366
.LBB1773_373:                           ;   in Loop: Header=BB1773_351 Depth=2
	v_cmp_gt_i16_e32 vcc, 0, v10
	v_cndmask_b32_e64 v12, v65, 0, vcc
	v_xor_b32_e32 v12, v12, v10
	v_cmp_ne_u16_e32 vcc, s62, v12
	v_cndmask_b32_e32 v12, v65, v12, vcc
	v_lshrrev_b32_sdwa v12, s77, v12 dst_sel:DWORD dst_unused:UNUSED_PAD src0_sel:DWORD src1_sel:WORD_0
	v_and_b32_e32 v12, s70, v12
	v_lshl_or_b32 v12, v12, 4, v35
	ds_add_u32 v12, v61
	s_or_b64 exec, exec, s[16:17]
	v_cmp_gt_u32_e32 vcc, s18, v27
	s_and_saveexec_b64 s[16:17], vcc
	s_cbranch_execz .LBB1773_367
.LBB1773_374:                           ;   in Loop: Header=BB1773_351 Depth=2
	v_cmp_gt_i16_e32 vcc, 0, v9
	v_cndmask_b32_e64 v12, v65, 0, vcc
	v_xor_b32_e32 v12, v12, v9
	v_cmp_ne_u16_e32 vcc, s62, v12
	v_cndmask_b32_e32 v12, v65, v12, vcc
	v_lshrrev_b32_sdwa v12, s77, v12 dst_sel:DWORD dst_unused:UNUSED_PAD src0_sel:DWORD src1_sel:WORD_0
	v_and_b32_e32 v12, s70, v12
	v_lshl_or_b32 v12, v12, 4, v35
	ds_add_u32 v12, v61
	s_or_b64 exec, exec, s[16:17]
	v_cmp_gt_u32_e32 vcc, s18, v28
	s_and_saveexec_b64 s[16:17], vcc
	s_cbranch_execz .LBB1773_368
.LBB1773_375:                           ;   in Loop: Header=BB1773_351 Depth=2
	v_cmp_gt_i16_e32 vcc, 0, v8
	v_cndmask_b32_e64 v12, v65, 0, vcc
	v_xor_b32_e32 v12, v12, v8
	v_cmp_ne_u16_e32 vcc, s62, v12
	v_cndmask_b32_e32 v12, v65, v12, vcc
	v_lshrrev_b32_sdwa v12, s77, v12 dst_sel:DWORD dst_unused:UNUSED_PAD src0_sel:DWORD src1_sel:WORD_0
	v_and_b32_e32 v12, s70, v12
	v_lshl_or_b32 v12, v12, 4, v35
	ds_add_u32 v12, v61
	s_or_b64 exec, exec, s[16:17]
	v_cmp_gt_u32_e32 vcc, s18, v31
	s_and_saveexec_b64 s[16:17], vcc
	s_cbranch_execz .LBB1773_369
.LBB1773_376:                           ;   in Loop: Header=BB1773_351 Depth=2
	v_cmp_gt_i16_e32 vcc, 0, v7
	v_cndmask_b32_e64 v12, v65, 0, vcc
	v_xor_b32_e32 v12, v12, v7
	v_cmp_ne_u16_e32 vcc, s62, v12
	v_cndmask_b32_e32 v12, v65, v12, vcc
	v_lshrrev_b32_sdwa v12, s77, v12 dst_sel:DWORD dst_unused:UNUSED_PAD src0_sel:DWORD src1_sel:WORD_0
	v_and_b32_e32 v12, s70, v12
	v_lshl_or_b32 v12, v12, 4, v35
	ds_add_u32 v12, v61
	s_or_b64 exec, exec, s[16:17]
	v_cmp_gt_u32_e32 vcc, s18, v32
	s_and_saveexec_b64 s[16:17], vcc
	s_cbranch_execz .LBB1773_370
.LBB1773_377:                           ;   in Loop: Header=BB1773_351 Depth=2
	v_cmp_gt_i16_e32 vcc, 0, v6
	v_cndmask_b32_e64 v12, v65, 0, vcc
	v_xor_b32_e32 v12, v12, v6
	v_cmp_ne_u16_e32 vcc, s62, v12
	v_cndmask_b32_e32 v12, v65, v12, vcc
	v_lshrrev_b32_sdwa v12, s77, v12 dst_sel:DWORD dst_unused:UNUSED_PAD src0_sel:DWORD src1_sel:WORD_0
	v_and_b32_e32 v12, s70, v12
	v_lshl_or_b32 v12, v12, 4, v35
	ds_add_u32 v12, v61
	s_or_b64 exec, exec, s[16:17]
	v_cmp_gt_u32_e32 vcc, s18, v33
	s_and_saveexec_b64 s[16:17], vcc
	s_cbranch_execz .LBB1773_371
.LBB1773_378:                           ;   in Loop: Header=BB1773_351 Depth=2
	v_cmp_gt_i16_e32 vcc, 0, v5
	v_cndmask_b32_e64 v12, v65, 0, vcc
	v_xor_b32_e32 v12, v12, v5
	v_cmp_ne_u16_e32 vcc, s62, v12
	v_cndmask_b32_e32 v12, v65, v12, vcc
	v_lshrrev_b32_sdwa v12, s77, v12 dst_sel:DWORD dst_unused:UNUSED_PAD src0_sel:DWORD src1_sel:WORD_0
	v_and_b32_e32 v12, s70, v12
	v_lshl_or_b32 v12, v12, 4, v35
	ds_add_u32 v12, v61
	s_or_b64 exec, exec, s[16:17]
	v_cmp_gt_u32_e32 vcc, s18, v34
	s_and_saveexec_b64 s[16:17], vcc
	s_cbranch_execz .LBB1773_350
.LBB1773_379:                           ;   in Loop: Header=BB1773_351 Depth=2
	v_cmp_gt_i16_e32 vcc, 0, v4
	v_cndmask_b32_e64 v12, v65, 0, vcc
	v_xor_b32_e32 v12, v12, v4
	v_cmp_ne_u16_e32 vcc, s62, v12
	v_cndmask_b32_e32 v12, v65, v12, vcc
	v_lshrrev_b32_sdwa v12, s77, v12 dst_sel:DWORD dst_unused:UNUSED_PAD src0_sel:DWORD src1_sel:WORD_0
	v_and_b32_e32 v12, s70, v12
	v_lshl_or_b32 v12, v12, 4, v35
	ds_add_u32 v12, v61
	s_branch .LBB1773_350
.LBB1773_380:                           ;   in Loop: Header=BB1773_351 Depth=2
	global_load_ushort v11, v64, s[16:17]
	s_or_b64 exec, exec, s[18:19]
	v_cmp_gt_u32_e32 vcc, s20, v26
	s_and_saveexec_b64 s[18:19], vcc
	s_cbranch_execz .LBB1773_356
.LBB1773_381:                           ;   in Loop: Header=BB1773_351 Depth=2
	global_load_ushort v10, v64, s[16:17] offset:512
	s_or_b64 exec, exec, s[18:19]
	v_cmp_gt_u32_e32 vcc, s20, v27
	s_and_saveexec_b64 s[18:19], vcc
	s_cbranch_execz .LBB1773_357
.LBB1773_382:                           ;   in Loop: Header=BB1773_351 Depth=2
	global_load_ushort v9, v64, s[16:17] offset:1024
	s_or_b64 exec, exec, s[18:19]
	v_cmp_gt_u32_e32 vcc, s20, v28
	s_and_saveexec_b64 s[18:19], vcc
	s_cbranch_execz .LBB1773_358
.LBB1773_383:                           ;   in Loop: Header=BB1773_351 Depth=2
	global_load_ushort v8, v64, s[16:17] offset:1536
	s_or_b64 exec, exec, s[18:19]
	v_cmp_gt_u32_e32 vcc, s20, v31
	s_and_saveexec_b64 s[18:19], vcc
	s_cbranch_execz .LBB1773_359
.LBB1773_384:                           ;   in Loop: Header=BB1773_351 Depth=2
	global_load_ushort v7, v64, s[16:17] offset:2048
	s_or_b64 exec, exec, s[18:19]
	v_cmp_gt_u32_e32 vcc, s20, v32
	s_and_saveexec_b64 s[18:19], vcc
	s_cbranch_execz .LBB1773_360
.LBB1773_385:                           ;   in Loop: Header=BB1773_351 Depth=2
	global_load_ushort v6, v64, s[16:17] offset:2560
	s_or_b64 exec, exec, s[18:19]
	v_cmp_gt_u32_e32 vcc, s20, v33
	s_and_saveexec_b64 s[18:19], vcc
	s_cbranch_execz .LBB1773_361
.LBB1773_386:                           ;   in Loop: Header=BB1773_351 Depth=2
	global_load_ushort v5, v64, s[16:17] offset:3072
	s_or_b64 exec, exec, s[18:19]
	v_cmp_gt_u32_e32 vcc, s20, v34
	s_and_saveexec_b64 s[18:19], vcc
	s_cbranch_execnz .LBB1773_362
	s_branch .LBB1773_363
.LBB1773_387:                           ;   in Loop: Header=BB1773_17 Depth=1
	v_mov_b32_e32 v4, 0
	s_waitcnt lgkmcnt(0)
	s_barrier
	s_and_saveexec_b64 s[16:17], s[4:5]
	s_cbranch_execz .LBB1773_389
; %bb.388:                              ;   in Loop: Header=BB1773_17 Depth=1
	ds_read2_b64 v[4:7], v36 offset1:1
	s_waitcnt lgkmcnt(0)
	v_add_u32_e32 v4, v5, v4
	v_add3_u32 v4, v4, v6, v7
.LBB1773_389:                           ;   in Loop: Header=BB1773_17 Depth=1
	s_or_b64 exec, exec, s[16:17]
	s_nop 0
	v_mov_b32_dpp v5, v4 row_shr:1 row_mask:0xf bank_mask:0xf
	v_cmp_eq_u32_e64 s[16:17], 0, v67
	v_cndmask_b32_e64 v5, v5, 0, s[16:17]
	v_add_u32_e32 v4, v5, v4
	v_cmp_lt_u32_e64 s[18:19], 1, v67
	v_cmp_lt_u32_e64 s[20:21], 3, v67
	v_mov_b32_dpp v5, v4 row_shr:2 row_mask:0xf bank_mask:0xf
	v_cndmask_b32_e64 v5, 0, v5, s[18:19]
	v_add_u32_e32 v4, v4, v5
	v_cmp_lt_u32_e64 s[22:23], 7, v67
	v_cmp_lt_u32_e64 s[26:27], 31, v66
	v_mov_b32_dpp v5, v4 row_shr:4 row_mask:0xf bank_mask:0xf
	v_cndmask_b32_e64 v5, 0, v5, s[20:21]
	v_add_u32_e32 v4, v4, v5
	v_cmp_eq_u32_e64 s[24:25], 0, v69
	s_nop 0
	v_mov_b32_dpp v5, v4 row_shr:8 row_mask:0xf bank_mask:0xf
	v_cndmask_b32_e64 v5, 0, v5, s[22:23]
	v_add_u32_e32 v4, v4, v5
	s_nop 1
	v_mov_b32_dpp v5, v4 row_bcast:15 row_mask:0xf bank_mask:0xf
	v_and_b32_e32 v5, v68, v5
	v_add_u32_e32 v4, v4, v5
	s_nop 1
	v_mov_b32_dpp v5, v4 row_bcast:31 row_mask:0xf bank_mask:0xf
	v_cndmask_b32_e64 v5, 0, v5, s[26:27]
	v_add_u32_e32 v4, v4, v5
	s_and_saveexec_b64 s[28:29], s[6:7]
; %bb.390:                              ;   in Loop: Header=BB1773_17 Depth=1
	ds_write_b32 v38, v4
; %bb.391:                              ;   in Loop: Header=BB1773_17 Depth=1
	s_or_b64 exec, exec, s[28:29]
	s_waitcnt lgkmcnt(0)
	s_barrier
	s_and_saveexec_b64 s[28:29], s[8:9]
	s_cbranch_execz .LBB1773_393
; %bb.392:                              ;   in Loop: Header=BB1773_17 Depth=1
	ds_read_b32 v5, v39
	v_cmp_ne_u32_e32 vcc, 0, v70
	s_waitcnt lgkmcnt(0)
	v_mov_b32_dpp v6, v5 row_shr:1 row_mask:0xf bank_mask:0xf
	v_cndmask_b32_e32 v6, 0, v6, vcc
	v_add_u32_e32 v5, v6, v5
	v_cmp_lt_u32_e32 vcc, 1, v70
	s_nop 0
	v_mov_b32_dpp v6, v5 row_shr:2 row_mask:0xf bank_mask:0xf
	v_cndmask_b32_e32 v6, 0, v6, vcc
	v_add_u32_e32 v5, v5, v6
	ds_write_b32 v39, v5
.LBB1773_393:                           ;   in Loop: Header=BB1773_17 Depth=1
	s_or_b64 exec, exec, s[28:29]
	v_mov_b32_e32 v5, 0
	s_waitcnt lgkmcnt(0)
	s_barrier
	s_and_saveexec_b64 s[28:29], s[10:11]
; %bb.394:                              ;   in Loop: Header=BB1773_17 Depth=1
	ds_read_b32 v5, v40
; %bb.395:                              ;   in Loop: Header=BB1773_17 Depth=1
	s_or_b64 exec, exec, s[28:29]
	v_subrev_co_u32_e64 v6, s[28:29], 1, v66
	v_cmp_lt_i32_e32 vcc, v6, v71
	v_cndmask_b32_e32 v6, v6, v66, vcc
	s_waitcnt lgkmcnt(0)
	v_add_u32_e32 v4, v5, v4
	v_lshlrev_b32_e32 v82, 2, v6
	ds_bpermute_b32 v4, v82, v4
	s_waitcnt lgkmcnt(0)
	s_barrier
	s_and_saveexec_b64 s[30:31], s[4:5]
; %bb.396:                              ;   in Loop: Header=BB1773_17 Depth=1
	v_cndmask_b32_e64 v4, v4, v5, s[28:29]
	v_add_u32_e32 v4, s51, v4
	ds_write_b32 v25, v4
; %bb.397:                              ;   in Loop: Header=BB1773_17 Depth=1
	s_or_b64 exec, exec, s[30:31]
	s_load_dwordx2 s[30:31], s[56:57], 0x0
	v_add_co_u32_e32 v83, vcc, v57, v72
	v_addc_co_u32_e32 v84, vcc, 0, v58, vcc
	s_waitcnt lgkmcnt(0)
	s_cmp_lt_u32 s33, s31
	s_cselect_b32 s31, 14, 20
	s_add_u32 s34, s56, s31
	s_addc_u32 s35, s57, 0
	s_cmp_lt_u32 s50, s30
	s_cselect_b32 s30, 12, 18
	s_add_u32 s30, s56, s30
	global_load_ushort v4, v3, s[34:35]
	s_addc_u32 s31, s57, 0
	global_load_ushort v5, v3, s[30:31]
	v_add_co_u32_e32 v85, vcc, v59, v81
	v_cmp_eq_u32_e64 s[30:31], 0, v70
	v_cmp_lt_u32_e64 s[34:35], 1, v70
	v_addc_co_u32_e32 v86, vcc, 0, v60, vcc
	s_mov_b32 s71, s79
	s_mov_b32 s58, s51
                                        ; implicit-def: $vgpr7_vgpr8
                                        ; implicit-def: $vgpr9_vgpr10
                                        ; implicit-def: $vgpr11_vgpr12
                                        ; implicit-def: $vgpr13_vgpr14
                                        ; implicit-def: $vgpr15_vgpr16
                                        ; implicit-def: $vgpr17_vgpr18
                                        ; implicit-def: $vgpr19_vgpr20
                                        ; implicit-def: $vgpr87
                                        ; implicit-def: $vgpr88
                                        ; implicit-def: $vgpr89
                                        ; implicit-def: $vgpr90
                                        ; implicit-def: $vgpr92
                                        ; implicit-def: $vgpr93
                                        ; implicit-def: $vgpr94
                                        ; implicit-def: $vgpr95
	s_waitcnt vmcnt(1)
	v_mad_u32_u24 v4, v2, v4, v1
	s_waitcnt vmcnt(0)
	v_mad_u64_u32 v[4:5], s[36:37], v4, v5, v[0:1]
                                        ; implicit-def: $vgpr5_vgpr6
	v_lshrrev_b32_e32 v4, 4, v4
	v_and_b32_e32 v91, 0xffffffc, v4
	s_branch .LBB1773_399
.LBB1773_398:                           ;   in Loop: Header=BB1773_399 Depth=2
	s_or_b64 exec, exec, s[36:37]
	s_addk_i32 s71, 0xf800
	s_cmp_lt_u32 s76, s80
	s_mov_b32 s58, s76
	s_cbranch_scc0 .LBB1773_511
.LBB1773_399:                           ;   Parent Loop BB1773_17 Depth=1
                                        ; =>  This Inner Loop Header: Depth=2
	s_add_i32 s76, s58, 0x800
	s_cmp_gt_u32 s76, s80
	s_cbranch_scc1 .LBB1773_401
; %bb.400:                              ;   in Loop: Header=BB1773_399 Depth=2
	s_lshl_b64 s[36:37], s[58:59], 1
	v_mov_b32_e32 v4, s37
	v_add_co_u32_e32 v21, vcc, s36, v85
	v_addc_co_u32_e32 v22, vcc, v86, v4, vcc
	global_load_ushort v4, v[21:22], off
	global_load_ushort v99, v[21:22], off offset:128
	global_load_ushort v103, v[21:22], off offset:256
	;; [unrolled: 1-line block ×6, first 2 shown]
	s_mov_b64 s[36:37], -1
	s_movk_i32 s40, 0x800
	s_cbranch_execz .LBB1773_402
	s_branch .LBB1773_417
.LBB1773_401:                           ;   in Loop: Header=BB1773_399 Depth=2
	s_mov_b64 s[36:37], 0
                                        ; implicit-def: $vgpr4
                                        ; implicit-def: $vgpr99
                                        ; implicit-def: $vgpr103
                                        ; implicit-def: $vgpr107
                                        ; implicit-def: $vgpr112
                                        ; implicit-def: $vgpr108
                                        ; implicit-def: $vgpr24
	s_movk_i32 s40, 0x800
.LBB1773_402:                           ;   in Loop: Header=BB1773_399 Depth=2
	s_lshl_b64 s[36:37], s[58:59], 1
	s_waitcnt vmcnt(6)
	v_mov_b32_e32 v4, s37
	v_add_co_u32_e32 v21, vcc, s36, v85
	v_addc_co_u32_e32 v22, vcc, v86, v4, vcc
	v_cmp_gt_u32_e32 vcc, s71, v73
	s_waitcnt vmcnt(5)
	v_mov_b32_e32 v99, -1
	v_mov_b32_e32 v4, -1
	s_and_saveexec_b64 s[36:37], vcc
	s_cbranch_execz .LBB1773_404
; %bb.403:                              ;   in Loop: Header=BB1773_399 Depth=2
	global_load_ushort v4, v[21:22], off
.LBB1773_404:                           ;   in Loop: Header=BB1773_399 Depth=2
	s_or_b64 exec, exec, s[36:37]
	v_cmp_gt_u32_e32 vcc, s71, v74
	s_and_saveexec_b64 s[36:37], vcc
	s_cbranch_execz .LBB1773_406
; %bb.405:                              ;   in Loop: Header=BB1773_399 Depth=2
	global_load_ushort v99, v[21:22], off offset:128
.LBB1773_406:                           ;   in Loop: Header=BB1773_399 Depth=2
	s_or_b64 exec, exec, s[36:37]
	v_cmp_gt_u32_e32 vcc, s71, v75
	s_waitcnt vmcnt(3)
	v_mov_b32_e32 v107, -1
	v_mov_b32_e32 v103, -1
	s_and_saveexec_b64 s[36:37], vcc
	s_cbranch_execz .LBB1773_408
; %bb.407:                              ;   in Loop: Header=BB1773_399 Depth=2
	global_load_ushort v103, v[21:22], off offset:256
.LBB1773_408:                           ;   in Loop: Header=BB1773_399 Depth=2
	s_or_b64 exec, exec, s[36:37]
	v_cmp_gt_u32_e32 vcc, s71, v76
	s_and_saveexec_b64 s[36:37], vcc
	s_cbranch_execz .LBB1773_410
; %bb.409:                              ;   in Loop: Header=BB1773_399 Depth=2
	global_load_ushort v107, v[21:22], off offset:384
.LBB1773_410:                           ;   in Loop: Header=BB1773_399 Depth=2
	s_or_b64 exec, exec, s[36:37]
	v_cmp_gt_u32_e32 vcc, s71, v77
	s_waitcnt vmcnt(1)
	v_mov_b32_e32 v108, -1
	v_mov_b32_e32 v112, -1
	s_and_saveexec_b64 s[36:37], vcc
	s_cbranch_execz .LBB1773_412
; %bb.411:                              ;   in Loop: Header=BB1773_399 Depth=2
	global_load_ushort v112, v[21:22], off offset:512
.LBB1773_412:                           ;   in Loop: Header=BB1773_399 Depth=2
	s_or_b64 exec, exec, s[36:37]
	v_cmp_gt_u32_e32 vcc, s71, v78
	s_and_saveexec_b64 s[36:37], vcc
	s_cbranch_execz .LBB1773_414
; %bb.413:                              ;   in Loop: Header=BB1773_399 Depth=2
	global_load_ushort v108, v[21:22], off offset:640
.LBB1773_414:                           ;   in Loop: Header=BB1773_399 Depth=2
	s_or_b64 exec, exec, s[36:37]
	v_cmp_gt_u32_e32 vcc, s71, v79
	s_waitcnt vmcnt(0)
	v_mov_b32_e32 v24, -1
	s_and_saveexec_b64 s[36:37], vcc
	s_cbranch_execz .LBB1773_416
; %bb.415:                              ;   in Loop: Header=BB1773_399 Depth=2
	global_load_ushort v24, v[21:22], off offset:768
.LBB1773_416:                           ;   in Loop: Header=BB1773_399 Depth=2
	s_or_b64 exec, exec, s[36:37]
	s_sub_i32 s40, s80, s58
	v_cmp_gt_u32_e64 s[36:37], s71, v80
.LBB1773_417:                           ;   in Loop: Header=BB1773_399 Depth=2
	v_mov_b32_e32 v23, -1
	v_mov_b32_e32 v96, s71
	s_and_saveexec_b64 s[38:39], s[36:37]
	s_cbranch_execz .LBB1773_419
; %bb.418:                              ;   in Loop: Header=BB1773_399 Depth=2
	s_lshl_b64 s[36:37], s[58:59], 1
	v_mov_b32_e32 v22, s37
	v_add_co_u32_e32 v21, vcc, s36, v85
	v_addc_co_u32_e32 v22, vcc, v86, v22, vcc
	global_load_ushort v23, v[21:22], off offset:896
	v_mov_b32_e32 v96, s40
.LBB1773_419:                           ;   in Loop: Header=BB1773_399 Depth=2
	s_or_b64 exec, exec, s[38:39]
	s_waitcnt vmcnt(6)
	v_cmp_gt_i16_e32 vcc, 0, v4
	v_cndmask_b32_e64 v21, v65, 0, vcc
	v_xor_b32_e32 v97, v21, v4
	v_cmp_ne_u16_e32 vcc, s62, v97
	v_cndmask_b32_e32 v4, v65, v97, vcc
	v_lshrrev_b32_sdwa v4, s77, v4 dst_sel:DWORD dst_unused:UNUSED_PAD src0_sel:DWORD src1_sel:WORD_0
	v_and_b32_e32 v21, s70, v4
	v_and_b32_e32 v4, 1, v21
	v_add_co_u32_e32 v22, vcc, -1, v4
	v_addc_co_u32_e64 v98, s[36:37], 0, -1, vcc
	v_cmp_ne_u32_e32 vcc, 0, v4
	v_xor_b32_e32 v4, vcc_hi, v98
	v_and_b32_e32 v98, exec_hi, v4
	v_lshlrev_b32_e32 v4, 30, v21
	v_xor_b32_e32 v22, vcc_lo, v22
	v_cmp_gt_i64_e32 vcc, 0, v[3:4]
	v_not_b32_e32 v4, v4
	v_ashrrev_i32_e32 v4, 31, v4
	v_and_b32_e32 v22, exec_lo, v22
	v_xor_b32_e32 v101, vcc_hi, v4
	v_xor_b32_e32 v4, vcc_lo, v4
	v_and_b32_e32 v22, v22, v4
	v_lshlrev_b32_e32 v4, 29, v21
	v_cmp_gt_i64_e32 vcc, 0, v[3:4]
	v_not_b32_e32 v4, v4
	v_ashrrev_i32_e32 v4, 31, v4
	v_and_b32_e32 v98, v98, v101
	v_xor_b32_e32 v101, vcc_hi, v4
	v_xor_b32_e32 v4, vcc_lo, v4
	v_and_b32_e32 v22, v22, v4
	v_lshlrev_b32_e32 v4, 28, v21
	v_cmp_gt_i64_e32 vcc, 0, v[3:4]
	v_not_b32_e32 v4, v4
	v_ashrrev_i32_e32 v4, 31, v4
	v_and_b32_e32 v98, v98, v101
	;; [unrolled: 8-line block ×5, first 2 shown]
	v_xor_b32_e32 v101, vcc_hi, v4
	v_xor_b32_e32 v4, vcc_lo, v4
	v_and_b32_e32 v98, v98, v101
	v_and_b32_e32 v101, v22, v4
	v_lshlrev_b32_e32 v4, 24, v21
	v_cmp_gt_i64_e32 vcc, 0, v[3:4]
	v_not_b32_e32 v4, v4
	v_ashrrev_i32_e32 v4, 31, v4
	v_mul_u32_u24_e32 v100, 20, v21
	v_xor_b32_e32 v21, vcc_hi, v4
	v_xor_b32_e32 v4, vcc_lo, v4
	v_and_b32_e32 v22, v98, v21
	v_and_b32_e32 v21, v101, v4
	v_mbcnt_lo_u32_b32 v4, v21, 0
	v_mbcnt_hi_u32_b32 v98, v22, v4
	v_cmp_ne_u64_e32 vcc, 0, v[21:22]
	v_cmp_eq_u32_e64 s[36:37], 0, v98
	s_and_b64 s[38:39], vcc, s[36:37]
	v_add_u32_e32 v101, v91, v100
	ds_write2_b32 v62, v3, v3 offset1:1
	ds_write2_b32 v63, v3, v3 offset1:1
	ds_write_b32 v41, v3 offset:1056
	s_waitcnt vmcnt(0) lgkmcnt(0)
	s_barrier
	; wave barrier
	s_and_saveexec_b64 s[36:37], s[38:39]
; %bb.420:                              ;   in Loop: Header=BB1773_399 Depth=2
	v_bcnt_u32_b32 v4, v21, 0
	v_bcnt_u32_b32 v4, v22, v4
	ds_write_b32 v101, v4 offset:1040
; %bb.421:                              ;   in Loop: Header=BB1773_399 Depth=2
	s_or_b64 exec, exec, s[36:37]
	v_cmp_gt_i16_e32 vcc, 0, v99
	v_cndmask_b32_e64 v4, v65, 0, vcc
	v_xor_b32_e32 v99, v4, v99
	v_cmp_ne_u16_e32 vcc, s62, v99
	v_cndmask_b32_e32 v4, v65, v99, vcc
	v_lshrrev_b32_sdwa v4, s77, v4 dst_sel:DWORD dst_unused:UNUSED_PAD src0_sel:DWORD src1_sel:WORD_0
	v_and_b32_e32 v21, s70, v4
	v_mad_u32_u24 v4, v21, 20, v91
	; wave barrier
	ds_read_b32 v100, v4 offset:1040
	v_and_b32_e32 v4, 1, v21
	v_add_co_u32_e32 v22, vcc, -1, v4
	v_addc_co_u32_e64 v102, s[36:37], 0, -1, vcc
	v_cmp_ne_u32_e32 vcc, 0, v4
	v_xor_b32_e32 v4, vcc_hi, v102
	v_and_b32_e32 v102, exec_hi, v4
	v_lshlrev_b32_e32 v4, 30, v21
	v_xor_b32_e32 v22, vcc_lo, v22
	v_cmp_gt_i64_e32 vcc, 0, v[3:4]
	v_not_b32_e32 v4, v4
	v_ashrrev_i32_e32 v4, 31, v4
	v_and_b32_e32 v22, exec_lo, v22
	v_xor_b32_e32 v105, vcc_hi, v4
	v_xor_b32_e32 v4, vcc_lo, v4
	v_and_b32_e32 v22, v22, v4
	v_lshlrev_b32_e32 v4, 29, v21
	v_cmp_gt_i64_e32 vcc, 0, v[3:4]
	v_not_b32_e32 v4, v4
	v_ashrrev_i32_e32 v4, 31, v4
	v_and_b32_e32 v102, v102, v105
	v_xor_b32_e32 v105, vcc_hi, v4
	v_xor_b32_e32 v4, vcc_lo, v4
	v_and_b32_e32 v22, v22, v4
	v_lshlrev_b32_e32 v4, 28, v21
	v_cmp_gt_i64_e32 vcc, 0, v[3:4]
	v_not_b32_e32 v4, v4
	v_ashrrev_i32_e32 v4, 31, v4
	v_and_b32_e32 v102, v102, v105
	;; [unrolled: 8-line block ×5, first 2 shown]
	v_xor_b32_e32 v105, vcc_hi, v4
	v_xor_b32_e32 v4, vcc_lo, v4
	v_and_b32_e32 v102, v102, v105
	v_and_b32_e32 v105, v22, v4
	v_lshlrev_b32_e32 v4, 24, v21
	v_cmp_gt_i64_e32 vcc, 0, v[3:4]
	v_not_b32_e32 v4, v4
	v_ashrrev_i32_e32 v4, 31, v4
	v_mul_u32_u24_e32 v104, 20, v21
	v_xor_b32_e32 v21, vcc_hi, v4
	v_xor_b32_e32 v4, vcc_lo, v4
	v_and_b32_e32 v22, v102, v21
	v_and_b32_e32 v21, v105, v4
	v_mbcnt_lo_u32_b32 v4, v21, 0
	v_mbcnt_hi_u32_b32 v102, v22, v4
	v_cmp_ne_u64_e32 vcc, 0, v[21:22]
	v_cmp_eq_u32_e64 s[36:37], 0, v102
	s_and_b64 s[38:39], vcc, s[36:37]
	v_add_u32_e32 v105, v91, v104
	; wave barrier
	s_and_saveexec_b64 s[36:37], s[38:39]
	s_cbranch_execz .LBB1773_423
; %bb.422:                              ;   in Loop: Header=BB1773_399 Depth=2
	v_bcnt_u32_b32 v4, v21, 0
	v_bcnt_u32_b32 v4, v22, v4
	s_waitcnt lgkmcnt(0)
	v_add_u32_e32 v4, v100, v4
	ds_write_b32 v105, v4 offset:1040
.LBB1773_423:                           ;   in Loop: Header=BB1773_399 Depth=2
	s_or_b64 exec, exec, s[36:37]
	v_cmp_gt_i16_e32 vcc, 0, v103
	v_cndmask_b32_e64 v4, v65, 0, vcc
	v_xor_b32_e32 v103, v4, v103
	v_cmp_ne_u16_e32 vcc, s62, v103
	v_cndmask_b32_e32 v4, v65, v103, vcc
	v_lshrrev_b32_sdwa v4, s77, v4 dst_sel:DWORD dst_unused:UNUSED_PAD src0_sel:DWORD src1_sel:WORD_0
	v_and_b32_e32 v21, s70, v4
	v_mad_u32_u24 v4, v21, 20, v91
	; wave barrier
	ds_read_b32 v104, v4 offset:1040
	v_and_b32_e32 v4, 1, v21
	v_add_co_u32_e32 v22, vcc, -1, v4
	v_addc_co_u32_e64 v106, s[36:37], 0, -1, vcc
	v_cmp_ne_u32_e32 vcc, 0, v4
	v_xor_b32_e32 v4, vcc_hi, v106
	v_and_b32_e32 v106, exec_hi, v4
	v_lshlrev_b32_e32 v4, 30, v21
	v_xor_b32_e32 v22, vcc_lo, v22
	v_cmp_gt_i64_e32 vcc, 0, v[3:4]
	v_not_b32_e32 v4, v4
	v_ashrrev_i32_e32 v4, 31, v4
	v_and_b32_e32 v22, exec_lo, v22
	v_xor_b32_e32 v110, vcc_hi, v4
	v_xor_b32_e32 v4, vcc_lo, v4
	v_and_b32_e32 v22, v22, v4
	v_lshlrev_b32_e32 v4, 29, v21
	v_cmp_gt_i64_e32 vcc, 0, v[3:4]
	v_not_b32_e32 v4, v4
	v_ashrrev_i32_e32 v4, 31, v4
	v_and_b32_e32 v106, v106, v110
	v_xor_b32_e32 v110, vcc_hi, v4
	v_xor_b32_e32 v4, vcc_lo, v4
	v_and_b32_e32 v22, v22, v4
	v_lshlrev_b32_e32 v4, 28, v21
	v_cmp_gt_i64_e32 vcc, 0, v[3:4]
	v_not_b32_e32 v4, v4
	v_ashrrev_i32_e32 v4, 31, v4
	v_and_b32_e32 v106, v106, v110
	;; [unrolled: 8-line block ×5, first 2 shown]
	v_xor_b32_e32 v110, vcc_hi, v4
	v_xor_b32_e32 v4, vcc_lo, v4
	v_and_b32_e32 v106, v106, v110
	v_and_b32_e32 v110, v22, v4
	v_lshlrev_b32_e32 v4, 24, v21
	v_cmp_gt_i64_e32 vcc, 0, v[3:4]
	v_not_b32_e32 v4, v4
	v_ashrrev_i32_e32 v4, 31, v4
	v_mul_u32_u24_e32 v109, 20, v21
	v_xor_b32_e32 v21, vcc_hi, v4
	v_xor_b32_e32 v4, vcc_lo, v4
	v_and_b32_e32 v22, v106, v21
	v_and_b32_e32 v21, v110, v4
	v_mbcnt_lo_u32_b32 v4, v21, 0
	v_mbcnt_hi_u32_b32 v106, v22, v4
	v_cmp_ne_u64_e32 vcc, 0, v[21:22]
	v_cmp_eq_u32_e64 s[36:37], 0, v106
	s_and_b64 s[38:39], vcc, s[36:37]
	v_add_u32_e32 v110, v91, v109
	; wave barrier
	s_and_saveexec_b64 s[36:37], s[38:39]
	s_cbranch_execz .LBB1773_425
; %bb.424:                              ;   in Loop: Header=BB1773_399 Depth=2
	v_bcnt_u32_b32 v4, v21, 0
	v_bcnt_u32_b32 v4, v22, v4
	s_waitcnt lgkmcnt(0)
	v_add_u32_e32 v4, v104, v4
	ds_write_b32 v110, v4 offset:1040
.LBB1773_425:                           ;   in Loop: Header=BB1773_399 Depth=2
	s_or_b64 exec, exec, s[36:37]
	v_cmp_gt_i16_e32 vcc, 0, v107
	v_cndmask_b32_e64 v4, v65, 0, vcc
	v_xor_b32_e32 v107, v4, v107
	v_cmp_ne_u16_e32 vcc, s62, v107
	v_cndmask_b32_e32 v4, v65, v107, vcc
	v_lshrrev_b32_sdwa v4, s77, v4 dst_sel:DWORD dst_unused:UNUSED_PAD src0_sel:DWORD src1_sel:WORD_0
	v_and_b32_e32 v21, s70, v4
	v_mad_u32_u24 v4, v21, 20, v91
	; wave barrier
	ds_read_b32 v109, v4 offset:1040
	v_and_b32_e32 v4, 1, v21
	v_add_co_u32_e32 v22, vcc, -1, v4
	v_addc_co_u32_e64 v111, s[36:37], 0, -1, vcc
	v_cmp_ne_u32_e32 vcc, 0, v4
	v_xor_b32_e32 v4, vcc_hi, v111
	v_and_b32_e32 v111, exec_hi, v4
	v_lshlrev_b32_e32 v4, 30, v21
	v_xor_b32_e32 v22, vcc_lo, v22
	v_cmp_gt_i64_e32 vcc, 0, v[3:4]
	v_not_b32_e32 v4, v4
	v_ashrrev_i32_e32 v4, 31, v4
	v_and_b32_e32 v22, exec_lo, v22
	v_xor_b32_e32 v114, vcc_hi, v4
	v_xor_b32_e32 v4, vcc_lo, v4
	v_and_b32_e32 v22, v22, v4
	v_lshlrev_b32_e32 v4, 29, v21
	v_cmp_gt_i64_e32 vcc, 0, v[3:4]
	v_not_b32_e32 v4, v4
	v_ashrrev_i32_e32 v4, 31, v4
	v_and_b32_e32 v111, v111, v114
	v_xor_b32_e32 v114, vcc_hi, v4
	v_xor_b32_e32 v4, vcc_lo, v4
	v_and_b32_e32 v22, v22, v4
	v_lshlrev_b32_e32 v4, 28, v21
	v_cmp_gt_i64_e32 vcc, 0, v[3:4]
	v_not_b32_e32 v4, v4
	v_ashrrev_i32_e32 v4, 31, v4
	v_and_b32_e32 v111, v111, v114
	;; [unrolled: 8-line block ×5, first 2 shown]
	v_xor_b32_e32 v114, vcc_hi, v4
	v_xor_b32_e32 v4, vcc_lo, v4
	v_and_b32_e32 v111, v111, v114
	v_and_b32_e32 v114, v22, v4
	v_lshlrev_b32_e32 v4, 24, v21
	v_cmp_gt_i64_e32 vcc, 0, v[3:4]
	v_not_b32_e32 v4, v4
	v_ashrrev_i32_e32 v4, 31, v4
	v_mul_u32_u24_e32 v113, 20, v21
	v_xor_b32_e32 v21, vcc_hi, v4
	v_xor_b32_e32 v4, vcc_lo, v4
	v_and_b32_e32 v22, v111, v21
	v_and_b32_e32 v21, v114, v4
	v_mbcnt_lo_u32_b32 v4, v21, 0
	v_mbcnt_hi_u32_b32 v111, v22, v4
	v_cmp_ne_u64_e32 vcc, 0, v[21:22]
	v_cmp_eq_u32_e64 s[36:37], 0, v111
	s_and_b64 s[38:39], vcc, s[36:37]
	v_add_u32_e32 v114, v91, v113
	; wave barrier
	s_and_saveexec_b64 s[36:37], s[38:39]
	s_cbranch_execz .LBB1773_427
; %bb.426:                              ;   in Loop: Header=BB1773_399 Depth=2
	v_bcnt_u32_b32 v4, v21, 0
	v_bcnt_u32_b32 v4, v22, v4
	s_waitcnt lgkmcnt(0)
	v_add_u32_e32 v4, v109, v4
	ds_write_b32 v114, v4 offset:1040
.LBB1773_427:                           ;   in Loop: Header=BB1773_399 Depth=2
	s_or_b64 exec, exec, s[36:37]
	v_cmp_gt_i16_e32 vcc, 0, v112
	v_cndmask_b32_e64 v4, v65, 0, vcc
	v_xor_b32_e32 v112, v4, v112
	v_cmp_ne_u16_e32 vcc, s62, v112
	v_cndmask_b32_e32 v4, v65, v112, vcc
	v_lshrrev_b32_sdwa v4, s77, v4 dst_sel:DWORD dst_unused:UNUSED_PAD src0_sel:DWORD src1_sel:WORD_0
	v_and_b32_e32 v21, s70, v4
	v_mad_u32_u24 v4, v21, 20, v91
	; wave barrier
	ds_read_b32 v113, v4 offset:1040
	v_and_b32_e32 v4, 1, v21
	v_add_co_u32_e32 v22, vcc, -1, v4
	v_addc_co_u32_e64 v115, s[36:37], 0, -1, vcc
	v_cmp_ne_u32_e32 vcc, 0, v4
	v_xor_b32_e32 v4, vcc_hi, v115
	v_and_b32_e32 v115, exec_hi, v4
	v_lshlrev_b32_e32 v4, 30, v21
	v_xor_b32_e32 v22, vcc_lo, v22
	v_cmp_gt_i64_e32 vcc, 0, v[3:4]
	v_not_b32_e32 v4, v4
	v_ashrrev_i32_e32 v4, 31, v4
	v_and_b32_e32 v22, exec_lo, v22
	v_xor_b32_e32 v117, vcc_hi, v4
	v_xor_b32_e32 v4, vcc_lo, v4
	v_and_b32_e32 v22, v22, v4
	v_lshlrev_b32_e32 v4, 29, v21
	v_cmp_gt_i64_e32 vcc, 0, v[3:4]
	v_not_b32_e32 v4, v4
	v_ashrrev_i32_e32 v4, 31, v4
	v_and_b32_e32 v115, v115, v117
	v_xor_b32_e32 v117, vcc_hi, v4
	v_xor_b32_e32 v4, vcc_lo, v4
	v_and_b32_e32 v22, v22, v4
	v_lshlrev_b32_e32 v4, 28, v21
	v_cmp_gt_i64_e32 vcc, 0, v[3:4]
	v_not_b32_e32 v4, v4
	v_ashrrev_i32_e32 v4, 31, v4
	v_and_b32_e32 v115, v115, v117
	;; [unrolled: 8-line block ×5, first 2 shown]
	v_xor_b32_e32 v117, vcc_hi, v4
	v_xor_b32_e32 v4, vcc_lo, v4
	v_and_b32_e32 v115, v115, v117
	v_and_b32_e32 v117, v22, v4
	v_lshlrev_b32_e32 v4, 24, v21
	v_cmp_gt_i64_e32 vcc, 0, v[3:4]
	v_not_b32_e32 v4, v4
	v_ashrrev_i32_e32 v4, 31, v4
	v_mul_u32_u24_e32 v116, 20, v21
	v_xor_b32_e32 v21, vcc_hi, v4
	v_xor_b32_e32 v4, vcc_lo, v4
	v_and_b32_e32 v22, v115, v21
	v_and_b32_e32 v21, v117, v4
	v_mbcnt_lo_u32_b32 v4, v21, 0
	v_mbcnt_hi_u32_b32 v115, v22, v4
	v_cmp_ne_u64_e32 vcc, 0, v[21:22]
	v_cmp_eq_u32_e64 s[36:37], 0, v115
	s_and_b64 s[38:39], vcc, s[36:37]
	v_add_u32_e32 v118, v91, v116
	; wave barrier
	s_and_saveexec_b64 s[36:37], s[38:39]
	s_cbranch_execz .LBB1773_429
; %bb.428:                              ;   in Loop: Header=BB1773_399 Depth=2
	v_bcnt_u32_b32 v4, v21, 0
	v_bcnt_u32_b32 v4, v22, v4
	s_waitcnt lgkmcnt(0)
	v_add_u32_e32 v4, v113, v4
	ds_write_b32 v118, v4 offset:1040
.LBB1773_429:                           ;   in Loop: Header=BB1773_399 Depth=2
	s_or_b64 exec, exec, s[36:37]
	v_cmp_gt_i16_e32 vcc, 0, v108
	v_cndmask_b32_e64 v4, v65, 0, vcc
	v_xor_b32_e32 v116, v4, v108
	v_cmp_ne_u16_e32 vcc, s62, v116
	v_cndmask_b32_e32 v4, v65, v116, vcc
	v_lshrrev_b32_sdwa v4, s77, v4 dst_sel:DWORD dst_unused:UNUSED_PAD src0_sel:DWORD src1_sel:WORD_0
	v_and_b32_e32 v21, s70, v4
	v_mad_u32_u24 v4, v21, 20, v91
	; wave barrier
	ds_read_b32 v117, v4 offset:1040
	v_and_b32_e32 v4, 1, v21
	v_add_co_u32_e32 v22, vcc, -1, v4
	v_addc_co_u32_e64 v119, s[36:37], 0, -1, vcc
	v_cmp_ne_u32_e32 vcc, 0, v4
	v_xor_b32_e32 v4, vcc_hi, v119
	v_and_b32_e32 v119, exec_hi, v4
	v_lshlrev_b32_e32 v4, 30, v21
	v_xor_b32_e32 v22, vcc_lo, v22
	v_cmp_gt_i64_e32 vcc, 0, v[3:4]
	v_not_b32_e32 v4, v4
	v_ashrrev_i32_e32 v4, 31, v4
	v_and_b32_e32 v22, exec_lo, v22
	v_xor_b32_e32 v120, vcc_hi, v4
	v_xor_b32_e32 v4, vcc_lo, v4
	v_and_b32_e32 v22, v22, v4
	v_lshlrev_b32_e32 v4, 29, v21
	v_cmp_gt_i64_e32 vcc, 0, v[3:4]
	v_not_b32_e32 v4, v4
	v_ashrrev_i32_e32 v4, 31, v4
	v_and_b32_e32 v119, v119, v120
	v_xor_b32_e32 v120, vcc_hi, v4
	v_xor_b32_e32 v4, vcc_lo, v4
	v_and_b32_e32 v22, v22, v4
	v_lshlrev_b32_e32 v4, 28, v21
	v_cmp_gt_i64_e32 vcc, 0, v[3:4]
	v_not_b32_e32 v4, v4
	v_ashrrev_i32_e32 v4, 31, v4
	v_and_b32_e32 v119, v119, v120
	;; [unrolled: 8-line block ×5, first 2 shown]
	v_xor_b32_e32 v120, vcc_hi, v4
	v_xor_b32_e32 v4, vcc_lo, v4
	v_and_b32_e32 v119, v119, v120
	v_and_b32_e32 v120, v22, v4
	v_lshlrev_b32_e32 v4, 24, v21
	v_cmp_gt_i64_e32 vcc, 0, v[3:4]
	v_not_b32_e32 v4, v4
	v_ashrrev_i32_e32 v4, 31, v4
	v_mul_u32_u24_e32 v108, 20, v21
	v_xor_b32_e32 v21, vcc_hi, v4
	v_xor_b32_e32 v4, vcc_lo, v4
	v_and_b32_e32 v22, v119, v21
	v_and_b32_e32 v21, v120, v4
	v_mbcnt_lo_u32_b32 v4, v21, 0
	v_mbcnt_hi_u32_b32 v119, v22, v4
	v_cmp_ne_u64_e32 vcc, 0, v[21:22]
	v_cmp_eq_u32_e64 s[36:37], 0, v119
	s_and_b64 s[38:39], vcc, s[36:37]
	v_add_u32_e32 v108, v91, v108
	; wave barrier
	s_and_saveexec_b64 s[36:37], s[38:39]
	s_cbranch_execz .LBB1773_431
; %bb.430:                              ;   in Loop: Header=BB1773_399 Depth=2
	v_bcnt_u32_b32 v4, v21, 0
	v_bcnt_u32_b32 v4, v22, v4
	s_waitcnt lgkmcnt(0)
	v_add_u32_e32 v4, v117, v4
	ds_write_b32 v108, v4 offset:1040
.LBB1773_431:                           ;   in Loop: Header=BB1773_399 Depth=2
	s_or_b64 exec, exec, s[36:37]
	v_cmp_gt_i16_e32 vcc, 0, v24
	v_cndmask_b32_e64 v4, v65, 0, vcc
	v_xor_b32_e32 v120, v4, v24
	v_cmp_ne_u16_e32 vcc, s62, v120
	v_cndmask_b32_e32 v4, v65, v120, vcc
	v_lshrrev_b32_sdwa v4, s77, v4 dst_sel:DWORD dst_unused:UNUSED_PAD src0_sel:DWORD src1_sel:WORD_0
	v_and_b32_e32 v21, s70, v4
	v_mad_u32_u24 v4, v21, 20, v91
	; wave barrier
	ds_read_b32 v121, v4 offset:1040
	v_and_b32_e32 v4, 1, v21
	v_add_co_u32_e32 v22, vcc, -1, v4
	v_addc_co_u32_e64 v122, s[36:37], 0, -1, vcc
	v_cmp_ne_u32_e32 vcc, 0, v4
	v_xor_b32_e32 v4, vcc_hi, v122
	v_and_b32_e32 v122, exec_hi, v4
	v_lshlrev_b32_e32 v4, 30, v21
	v_xor_b32_e32 v22, vcc_lo, v22
	v_cmp_gt_i64_e32 vcc, 0, v[3:4]
	v_not_b32_e32 v4, v4
	v_ashrrev_i32_e32 v4, 31, v4
	v_and_b32_e32 v22, exec_lo, v22
	v_xor_b32_e32 v123, vcc_hi, v4
	v_xor_b32_e32 v4, vcc_lo, v4
	v_and_b32_e32 v22, v22, v4
	v_lshlrev_b32_e32 v4, 29, v21
	v_cmp_gt_i64_e32 vcc, 0, v[3:4]
	v_not_b32_e32 v4, v4
	v_ashrrev_i32_e32 v4, 31, v4
	v_and_b32_e32 v122, v122, v123
	v_xor_b32_e32 v123, vcc_hi, v4
	v_xor_b32_e32 v4, vcc_lo, v4
	v_and_b32_e32 v22, v22, v4
	v_lshlrev_b32_e32 v4, 28, v21
	v_cmp_gt_i64_e32 vcc, 0, v[3:4]
	v_not_b32_e32 v4, v4
	v_ashrrev_i32_e32 v4, 31, v4
	v_and_b32_e32 v122, v122, v123
	;; [unrolled: 8-line block ×5, first 2 shown]
	v_xor_b32_e32 v123, vcc_hi, v4
	v_xor_b32_e32 v4, vcc_lo, v4
	v_and_b32_e32 v122, v122, v123
	v_and_b32_e32 v123, v22, v4
	v_lshlrev_b32_e32 v4, 24, v21
	v_cmp_gt_i64_e32 vcc, 0, v[3:4]
	v_not_b32_e32 v4, v4
	v_ashrrev_i32_e32 v4, 31, v4
	v_mul_u32_u24_e32 v24, 20, v21
	v_xor_b32_e32 v21, vcc_hi, v4
	v_xor_b32_e32 v4, vcc_lo, v4
	v_and_b32_e32 v22, v122, v21
	v_and_b32_e32 v21, v123, v4
	v_mbcnt_lo_u32_b32 v4, v21, 0
	v_mbcnt_hi_u32_b32 v122, v22, v4
	v_cmp_ne_u64_e32 vcc, 0, v[21:22]
	v_cmp_eq_u32_e64 s[36:37], 0, v122
	s_and_b64 s[38:39], vcc, s[36:37]
	v_add_u32_e32 v125, v91, v24
	; wave barrier
	s_and_saveexec_b64 s[36:37], s[38:39]
	s_cbranch_execz .LBB1773_433
; %bb.432:                              ;   in Loop: Header=BB1773_399 Depth=2
	v_bcnt_u32_b32 v4, v21, 0
	v_bcnt_u32_b32 v4, v22, v4
	s_waitcnt lgkmcnt(0)
	v_add_u32_e32 v4, v121, v4
	ds_write_b32 v125, v4 offset:1040
.LBB1773_433:                           ;   in Loop: Header=BB1773_399 Depth=2
	s_or_b64 exec, exec, s[36:37]
	v_cmp_gt_i16_e32 vcc, 0, v23
	v_cndmask_b32_e64 v4, v65, 0, vcc
	v_xor_b32_e32 v123, v4, v23
	v_cmp_ne_u16_e32 vcc, s62, v123
	v_cndmask_b32_e32 v4, v65, v123, vcc
	v_lshrrev_b32_sdwa v4, s77, v4 dst_sel:DWORD dst_unused:UNUSED_PAD src0_sel:DWORD src1_sel:WORD_0
	v_and_b32_e32 v21, s70, v4
	v_mad_u32_u24 v4, v21, 20, v91
	; wave barrier
	ds_read_b32 v124, v4 offset:1040
	v_and_b32_e32 v4, 1, v21
	v_add_co_u32_e32 v22, vcc, -1, v4
	v_addc_co_u32_e64 v24, s[36:37], 0, -1, vcc
	v_cmp_ne_u32_e32 vcc, 0, v4
	v_xor_b32_e32 v4, vcc_hi, v24
	v_and_b32_e32 v24, exec_hi, v4
	v_lshlrev_b32_e32 v4, 30, v21
	v_xor_b32_e32 v22, vcc_lo, v22
	v_cmp_gt_i64_e32 vcc, 0, v[3:4]
	v_not_b32_e32 v4, v4
	v_ashrrev_i32_e32 v4, 31, v4
	v_and_b32_e32 v22, exec_lo, v22
	v_xor_b32_e32 v126, vcc_hi, v4
	v_xor_b32_e32 v4, vcc_lo, v4
	v_and_b32_e32 v22, v22, v4
	v_lshlrev_b32_e32 v4, 29, v21
	v_cmp_gt_i64_e32 vcc, 0, v[3:4]
	v_not_b32_e32 v4, v4
	v_ashrrev_i32_e32 v4, 31, v4
	v_and_b32_e32 v24, v24, v126
	v_xor_b32_e32 v126, vcc_hi, v4
	v_xor_b32_e32 v4, vcc_lo, v4
	v_and_b32_e32 v22, v22, v4
	v_lshlrev_b32_e32 v4, 28, v21
	v_cmp_gt_i64_e32 vcc, 0, v[3:4]
	v_not_b32_e32 v4, v4
	v_ashrrev_i32_e32 v4, 31, v4
	v_and_b32_e32 v24, v24, v126
	;; [unrolled: 8-line block ×5, first 2 shown]
	v_xor_b32_e32 v126, vcc_hi, v4
	v_xor_b32_e32 v4, vcc_lo, v4
	v_and_b32_e32 v24, v24, v126
	v_and_b32_e32 v126, v22, v4
	v_lshlrev_b32_e32 v4, 24, v21
	v_cmp_gt_i64_e32 vcc, 0, v[3:4]
	v_not_b32_e32 v4, v4
	v_ashrrev_i32_e32 v4, 31, v4
	v_mul_u32_u24_e32 v23, 20, v21
	v_xor_b32_e32 v21, vcc_hi, v4
	v_xor_b32_e32 v4, vcc_lo, v4
	v_and_b32_e32 v22, v24, v21
	v_and_b32_e32 v21, v126, v4
	v_mbcnt_lo_u32_b32 v4, v21, 0
	v_mbcnt_hi_u32_b32 v126, v22, v4
	v_cmp_ne_u64_e32 vcc, 0, v[21:22]
	v_cmp_eq_u32_e64 s[36:37], 0, v126
	s_and_b64 s[38:39], vcc, s[36:37]
	v_add_u32_e32 v4, v91, v23
	; wave barrier
	s_and_saveexec_b64 s[36:37], s[38:39]
	s_cbranch_execz .LBB1773_435
; %bb.434:                              ;   in Loop: Header=BB1773_399 Depth=2
	v_bcnt_u32_b32 v21, v21, 0
	v_bcnt_u32_b32 v21, v22, v21
	s_waitcnt lgkmcnt(0)
	v_add_u32_e32 v21, v124, v21
	ds_write_b32 v4, v21 offset:1040
.LBB1773_435:                           ;   in Loop: Header=BB1773_399 Depth=2
	s_or_b64 exec, exec, s[36:37]
	; wave barrier
	s_waitcnt lgkmcnt(0)
	s_barrier
	ds_read2_b32 v[23:24], v62 offset1:1
	ds_read2_b32 v[21:22], v63 offset1:1
	ds_read_b32 v127, v41 offset:1056
	s_waitcnt lgkmcnt(1)
	v_add3_u32 v128, v24, v23, v21
	s_waitcnt lgkmcnt(0)
	v_add3_u32 v127, v128, v22, v127
	s_nop 1
	v_mov_b32_dpp v128, v127 row_shr:1 row_mask:0xf bank_mask:0xf
	v_cndmask_b32_e64 v128, v128, 0, s[16:17]
	v_add_u32_e32 v127, v128, v127
	s_nop 1
	v_mov_b32_dpp v128, v127 row_shr:2 row_mask:0xf bank_mask:0xf
	v_cndmask_b32_e64 v128, 0, v128, s[18:19]
	v_add_u32_e32 v127, v127, v128
	;; [unrolled: 4-line block ×4, first 2 shown]
	s_nop 1
	v_mov_b32_dpp v128, v127 row_bcast:15 row_mask:0xf bank_mask:0xf
	v_cndmask_b32_e64 v128, v128, 0, s[24:25]
	v_add_u32_e32 v127, v127, v128
	s_nop 1
	v_mov_b32_dpp v128, v127 row_bcast:31 row_mask:0xf bank_mask:0xf
	v_cndmask_b32_e64 v128, 0, v128, s[26:27]
	v_add_u32_e32 v127, v127, v128
	s_and_saveexec_b64 s[36:37], s[6:7]
; %bb.436:                              ;   in Loop: Header=BB1773_399 Depth=2
	ds_write_b32 v37, v127 offset:1024
; %bb.437:                              ;   in Loop: Header=BB1773_399 Depth=2
	s_or_b64 exec, exec, s[36:37]
	s_waitcnt lgkmcnt(0)
	s_barrier
	s_and_saveexec_b64 s[36:37], s[8:9]
	s_cbranch_execz .LBB1773_439
; %bb.438:                              ;   in Loop: Header=BB1773_399 Depth=2
	ds_read_b32 v128, v42 offset:1024
	s_waitcnt lgkmcnt(0)
	s_nop 0
	v_mov_b32_dpp v129, v128 row_shr:1 row_mask:0xf bank_mask:0xf
	v_cndmask_b32_e64 v129, v129, 0, s[30:31]
	v_add_u32_e32 v128, v129, v128
	s_nop 1
	v_mov_b32_dpp v129, v128 row_shr:2 row_mask:0xf bank_mask:0xf
	v_cndmask_b32_e64 v129, 0, v129, s[34:35]
	v_add_u32_e32 v128, v128, v129
	ds_write_b32 v42, v128 offset:1024
.LBB1773_439:                           ;   in Loop: Header=BB1773_399 Depth=2
	s_or_b64 exec, exec, s[36:37]
	v_mov_b32_e32 v128, 0
	s_waitcnt lgkmcnt(0)
	s_barrier
	s_and_saveexec_b64 s[36:37], s[10:11]
; %bb.440:                              ;   in Loop: Header=BB1773_399 Depth=2
	ds_read_b32 v128, v37 offset:1020
; %bb.441:                              ;   in Loop: Header=BB1773_399 Depth=2
	s_or_b64 exec, exec, s[36:37]
	s_waitcnt lgkmcnt(0)
	v_add_u32_e32 v127, v128, v127
	ds_bpermute_b32 v127, v82, v127
	s_waitcnt lgkmcnt(0)
	v_cndmask_b32_e64 v127, v127, v128, s[28:29]
	v_cndmask_b32_e64 v127, v127, 0, s[12:13]
	v_add_u32_e32 v23, v127, v23
	v_add_u32_e32 v24, v23, v24
	;; [unrolled: 1-line block ×4, first 2 shown]
	ds_write2_b32 v62, v127, v23 offset1:1
	ds_write2_b32 v63, v24, v21 offset1:1
	ds_write_b32 v41, v22 offset:1056
	s_waitcnt lgkmcnt(0)
	s_barrier
	ds_read_b32 v21, v101 offset:1040
	ds_read_b32 v22, v105 offset:1040
	ds_read_b32 v23, v110 offset:1040
	ds_read_b32 v24, v114 offset:1040
	ds_read_b32 v110, v118 offset:1040
	ds_read_b32 v114, v108 offset:1040
	ds_read_b32 v118, v125 offset:1040
	ds_read_b32 v125, v4 offset:1040
	ds_read_b32 v101, v41 offset:1040
	v_mov_b32_e32 v4, 0x800
	s_and_saveexec_b64 s[36:37], s[14:15]
; %bb.442:                              ;   in Loop: Header=BB1773_399 Depth=2
	ds_read_b32 v4, v41 offset:1060
; %bb.443:                              ;   in Loop: Header=BB1773_399 Depth=2
	s_or_b64 exec, exec, s[36:37]
	s_waitcnt lgkmcnt(0)
	s_barrier
	s_and_saveexec_b64 s[36:37], s[4:5]
	s_cbranch_execz .LBB1773_445
; %bb.444:                              ;   in Loop: Header=BB1773_399 Depth=2
	ds_read_b32 v105, v25
	s_waitcnt lgkmcnt(0)
	v_sub_u32_e32 v101, v105, v101
	ds_write_b32 v25, v101
.LBB1773_445:                           ;   in Loop: Header=BB1773_399 Depth=2
	s_or_b64 exec, exec, s[36:37]
	v_add_u32_e32 v108, v21, v98
	v_add3_u32 v105, v102, v100, v22
	v_lshlrev_b32_e32 v21, 1, v108
	v_add3_u32 v102, v106, v104, v23
	ds_write_b16 v21, v97 offset:1024
	v_lshlrev_b32_e32 v21, 1, v105
	v_add3_u32 v101, v111, v109, v24
	ds_write_b16 v21, v99 offset:1024
	;; [unrolled: 3-line block ×6, first 2 shown]
	v_lshlrev_b32_e32 v21, 1, v24
	ds_write_b16 v21, v120 offset:1024
	v_lshlrev_b32_e32 v21, 1, v23
	v_cmp_lt_u32_e32 vcc, v0, v96
	ds_write_b16 v21, v123 offset:1024
	s_waitcnt lgkmcnt(0)
	s_barrier
	s_and_saveexec_b64 s[38:39], vcc
	s_cbranch_execnz .LBB1773_482
; %bb.446:                              ;   in Loop: Header=BB1773_399 Depth=2
	s_or_b64 exec, exec, s[38:39]
	v_cmp_lt_u32_e64 s[36:37], v26, v96
	s_and_saveexec_b64 s[40:41], s[36:37]
	s_cbranch_execnz .LBB1773_483
.LBB1773_447:                           ;   in Loop: Header=BB1773_399 Depth=2
	s_or_b64 exec, exec, s[40:41]
	v_cmp_lt_u32_e64 s[38:39], v27, v96
	s_and_saveexec_b64 s[42:43], s[38:39]
	s_cbranch_execnz .LBB1773_484
.LBB1773_448:                           ;   in Loop: Header=BB1773_399 Depth=2
	s_or_b64 exec, exec, s[42:43]
	v_cmp_lt_u32_e64 s[40:41], v28, v96
	s_and_saveexec_b64 s[44:45], s[40:41]
	s_cbranch_execnz .LBB1773_485
.LBB1773_449:                           ;   in Loop: Header=BB1773_399 Depth=2
	s_or_b64 exec, exec, s[44:45]
	v_cmp_lt_u32_e64 s[42:43], v31, v96
	s_and_saveexec_b64 s[46:47], s[42:43]
	s_cbranch_execnz .LBB1773_486
.LBB1773_450:                           ;   in Loop: Header=BB1773_399 Depth=2
	s_or_b64 exec, exec, s[46:47]
	v_cmp_lt_u32_e64 s[44:45], v32, v96
	s_and_saveexec_b64 s[48:49], s[44:45]
	s_cbranch_execnz .LBB1773_487
.LBB1773_451:                           ;   in Loop: Header=BB1773_399 Depth=2
	s_or_b64 exec, exec, s[48:49]
	v_cmp_lt_u32_e64 s[46:47], v33, v96
	s_and_saveexec_b64 s[52:53], s[46:47]
	s_cbranch_execnz .LBB1773_488
.LBB1773_452:                           ;   in Loop: Header=BB1773_399 Depth=2
	s_or_b64 exec, exec, s[52:53]
	v_cmp_lt_u32_e64 s[48:49], v34, v96
	s_and_saveexec_b64 s[60:61], s[48:49]
	s_cbranch_execz .LBB1773_454
.LBB1773_453:                           ;   in Loop: Header=BB1773_399 Depth=2
	ds_read_u16 v21, v47 offset:4608
	v_mov_b32_e32 v22, v3
	v_mov_b32_e32 v99, s67
	s_waitcnt lgkmcnt(0)
	v_cmp_ne_u16_e64 s[52:53], s62, v21
	v_cndmask_b32_e64 v97, v65, v21, s[52:53]
	v_lshrrev_b32_sdwa v97, s77, v97 dst_sel:DWORD dst_unused:UNUSED_PAD src0_sel:DWORD src1_sel:WORD_0
	v_and_b32_e32 v97, s70, v97
	v_lshlrev_b32_e32 v97, 2, v97
	ds_read_b32 v97, v97
	v_cmp_gt_i16_e64 s[52:53], 0, v21
	v_cndmask_b32_e64 v103, v65, 0, s[52:53]
	v_xor_b32_e32 v103, v103, v21
	s_waitcnt lgkmcnt(0)
	v_add_u32_e32 v21, v97, v34
	v_lshlrev_b64 v[21:22], 1, v[21:22]
	v_add_co_u32_e64 v21, s[52:53], s66, v21
	v_addc_co_u32_e64 v22, s[52:53], v99, v22, s[52:53]
	global_store_short v[21:22], v103, off
.LBB1773_454:                           ;   in Loop: Header=BB1773_399 Depth=2
	s_or_b64 exec, exec, s[60:61]
	s_lshl_b64 s[52:53], s[58:59], 3
	v_mov_b32_e32 v22, s53
	v_add_co_u32_e64 v21, s[52:53], s52, v83
	v_addc_co_u32_e64 v22, s[52:53], v84, v22, s[52:53]
	v_cmp_lt_u32_e64 s[52:53], v73, v96
	s_and_saveexec_b64 s[60:61], s[52:53]
	s_xor_b64 s[52:53], exec, s[60:61]
	s_cbranch_execnz .LBB1773_489
; %bb.455:                              ;   in Loop: Header=BB1773_399 Depth=2
	s_or_b64 exec, exec, s[52:53]
	v_cmp_lt_u32_e64 s[52:53], v74, v96
	s_and_saveexec_b64 s[60:61], s[52:53]
	s_cbranch_execnz .LBB1773_490
.LBB1773_456:                           ;   in Loop: Header=BB1773_399 Depth=2
	s_or_b64 exec, exec, s[60:61]
	v_cmp_lt_u32_e64 s[52:53], v75, v96
	s_and_saveexec_b64 s[60:61], s[52:53]
	s_cbranch_execnz .LBB1773_491
.LBB1773_457:                           ;   in Loop: Header=BB1773_399 Depth=2
	s_or_b64 exec, exec, s[60:61]
	v_cmp_lt_u32_e64 s[52:53], v76, v96
	s_and_saveexec_b64 s[60:61], s[52:53]
	s_cbranch_execnz .LBB1773_492
.LBB1773_458:                           ;   in Loop: Header=BB1773_399 Depth=2
	s_or_b64 exec, exec, s[60:61]
	v_cmp_lt_u32_e64 s[52:53], v77, v96
	s_and_saveexec_b64 s[60:61], s[52:53]
	s_cbranch_execnz .LBB1773_493
.LBB1773_459:                           ;   in Loop: Header=BB1773_399 Depth=2
	s_or_b64 exec, exec, s[60:61]
	v_cmp_lt_u32_e64 s[52:53], v78, v96
	s_and_saveexec_b64 s[60:61], s[52:53]
	s_cbranch_execnz .LBB1773_494
.LBB1773_460:                           ;   in Loop: Header=BB1773_399 Depth=2
	s_or_b64 exec, exec, s[60:61]
	v_cmp_lt_u32_e64 s[52:53], v79, v96
	s_and_saveexec_b64 s[60:61], s[52:53]
	s_cbranch_execnz .LBB1773_495
.LBB1773_461:                           ;   in Loop: Header=BB1773_399 Depth=2
	s_or_b64 exec, exec, s[60:61]
	v_cmp_lt_u32_e64 s[52:53], v80, v96
	s_and_saveexec_b64 s[60:61], s[52:53]
	s_cbranch_execnz .LBB1773_496
.LBB1773_462:                           ;   in Loop: Header=BB1773_399 Depth=2
	s_or_b64 exec, exec, s[60:61]
	s_and_saveexec_b64 s[60:61], vcc
	s_cbranch_execnz .LBB1773_497
.LBB1773_463:                           ;   in Loop: Header=BB1773_399 Depth=2
	s_or_b64 exec, exec, s[60:61]
	s_and_saveexec_b64 s[60:61], s[36:37]
	s_cbranch_execnz .LBB1773_498
.LBB1773_464:                           ;   in Loop: Header=BB1773_399 Depth=2
	s_or_b64 exec, exec, s[60:61]
	s_and_saveexec_b64 s[60:61], s[38:39]
	s_cbranch_execnz .LBB1773_499
.LBB1773_465:                           ;   in Loop: Header=BB1773_399 Depth=2
	s_or_b64 exec, exec, s[60:61]
	s_and_saveexec_b64 s[60:61], s[40:41]
	s_cbranch_execnz .LBB1773_500
.LBB1773_466:                           ;   in Loop: Header=BB1773_399 Depth=2
	s_or_b64 exec, exec, s[60:61]
	s_and_saveexec_b64 s[60:61], s[42:43]
	s_cbranch_execnz .LBB1773_501
.LBB1773_467:                           ;   in Loop: Header=BB1773_399 Depth=2
	s_or_b64 exec, exec, s[60:61]
	s_and_saveexec_b64 s[60:61], s[44:45]
	s_cbranch_execnz .LBB1773_502
.LBB1773_468:                           ;   in Loop: Header=BB1773_399 Depth=2
	s_or_b64 exec, exec, s[60:61]
	s_and_saveexec_b64 s[60:61], s[46:47]
	s_cbranch_execnz .LBB1773_503
.LBB1773_469:                           ;   in Loop: Header=BB1773_399 Depth=2
	s_or_b64 exec, exec, s[60:61]
	s_and_saveexec_b64 s[60:61], s[48:49]
	s_cbranch_execz .LBB1773_471
.LBB1773_470:                           ;   in Loop: Header=BB1773_399 Depth=2
	ds_read_u16 v21, v47 offset:4608
	s_waitcnt lgkmcnt(0)
	v_cmp_ne_u16_e64 s[52:53], s62, v21
	v_cndmask_b32_e64 v21, v65, v21, s[52:53]
	v_lshrrev_b32_sdwa v21, s77, v21 dst_sel:DWORD dst_unused:UNUSED_PAD src0_sel:DWORD src1_sel:WORD_0
	v_and_b32_e32 v87, s70, v21
.LBB1773_471:                           ;   in Loop: Header=BB1773_399 Depth=2
	s_or_b64 exec, exec, s[60:61]
	v_lshlrev_b32_e32 v21, 3, v108
	s_waitcnt vmcnt(0)
	s_barrier
	ds_write_b64 v21, v[19:20] offset:1024
	v_lshlrev_b32_e32 v21, 3, v105
	ds_write_b64 v21, v[17:18] offset:1024
	v_lshlrev_b32_e32 v21, 3, v102
	ds_write_b64 v21, v[15:16] offset:1024
	v_lshlrev_b32_e32 v21, 3, v101
	ds_write_b64 v21, v[13:14] offset:1024
	v_lshlrev_b32_e32 v21, 3, v100
	ds_write_b64 v21, v[11:12] offset:1024
	v_lshlrev_b32_e32 v21, 3, v98
	ds_write_b64 v21, v[9:10] offset:1024
	v_lshlrev_b32_e32 v21, 3, v24
	ds_write_b64 v21, v[7:8] offset:1024
	v_lshlrev_b32_e32 v21, 3, v23
	ds_write_b64 v21, v[5:6] offset:1024
	s_waitcnt lgkmcnt(0)
	s_barrier
	s_and_saveexec_b64 s[52:53], vcc
	s_cbranch_execnz .LBB1773_504
; %bb.472:                              ;   in Loop: Header=BB1773_399 Depth=2
	s_or_b64 exec, exec, s[52:53]
	s_and_saveexec_b64 s[52:53], s[36:37]
	s_cbranch_execnz .LBB1773_505
.LBB1773_473:                           ;   in Loop: Header=BB1773_399 Depth=2
	s_or_b64 exec, exec, s[52:53]
	s_and_saveexec_b64 s[36:37], s[38:39]
	s_cbranch_execnz .LBB1773_506
.LBB1773_474:                           ;   in Loop: Header=BB1773_399 Depth=2
	s_or_b64 exec, exec, s[36:37]
	s_and_saveexec_b64 s[36:37], s[40:41]
	s_cbranch_execnz .LBB1773_507
.LBB1773_475:                           ;   in Loop: Header=BB1773_399 Depth=2
	s_or_b64 exec, exec, s[36:37]
	s_and_saveexec_b64 s[36:37], s[42:43]
	s_cbranch_execnz .LBB1773_508
.LBB1773_476:                           ;   in Loop: Header=BB1773_399 Depth=2
	s_or_b64 exec, exec, s[36:37]
	s_and_saveexec_b64 s[36:37], s[44:45]
	s_cbranch_execnz .LBB1773_509
.LBB1773_477:                           ;   in Loop: Header=BB1773_399 Depth=2
	s_or_b64 exec, exec, s[36:37]
	s_and_saveexec_b64 s[36:37], s[46:47]
	s_cbranch_execnz .LBB1773_510
.LBB1773_478:                           ;   in Loop: Header=BB1773_399 Depth=2
	s_or_b64 exec, exec, s[36:37]
	s_and_saveexec_b64 s[36:37], s[48:49]
	s_cbranch_execz .LBB1773_480
.LBB1773_479:                           ;   in Loop: Header=BB1773_399 Depth=2
	v_lshlrev_b32_e32 v21, 2, v87
	ds_read_b32 v23, v21
	v_add_u32_e32 v21, v47, v48
	ds_read_b64 v[21:22], v21 offset:15360
	v_mov_b32_e32 v24, v3
	v_mov_b32_e32 v96, s73
	s_waitcnt lgkmcnt(1)
	v_add_u32_e32 v23, v23, v34
	v_lshlrev_b64 v[23:24], 3, v[23:24]
	v_add_co_u32_e32 v23, vcc, s72, v23
	v_addc_co_u32_e32 v24, vcc, v96, v24, vcc
	s_waitcnt lgkmcnt(0)
	global_store_dwordx2 v[23:24], v[21:22], off
.LBB1773_480:                           ;   in Loop: Header=BB1773_399 Depth=2
	s_or_b64 exec, exec, s[36:37]
	s_waitcnt vmcnt(0)
	s_barrier
	s_and_saveexec_b64 s[36:37], s[4:5]
	s_cbranch_execz .LBB1773_398
; %bb.481:                              ;   in Loop: Header=BB1773_399 Depth=2
	ds_read_b32 v21, v25
	s_waitcnt lgkmcnt(0)
	v_add_u32_e32 v4, v21, v4
	ds_write_b32 v25, v4
	s_branch .LBB1773_398
.LBB1773_482:                           ;   in Loop: Header=BB1773_399 Depth=2
	ds_read_u16 v21, v47 offset:1024
	v_mov_b32_e32 v22, v3
	v_mov_b32_e32 v99, s67
	s_waitcnt lgkmcnt(0)
	v_cmp_ne_u16_e64 s[36:37], s62, v21
	v_cndmask_b32_e64 v97, v65, v21, s[36:37]
	v_lshrrev_b32_sdwa v97, s77, v97 dst_sel:DWORD dst_unused:UNUSED_PAD src0_sel:DWORD src1_sel:WORD_0
	v_and_b32_e32 v97, s70, v97
	v_lshlrev_b32_e32 v97, 2, v97
	ds_read_b32 v97, v97
	v_cmp_gt_i16_e64 s[36:37], 0, v21
	v_cndmask_b32_e64 v103, v65, 0, s[36:37]
	v_xor_b32_e32 v103, v103, v21
	s_waitcnt lgkmcnt(0)
	v_add_u32_e32 v21, v97, v0
	v_lshlrev_b64 v[21:22], 1, v[21:22]
	v_add_co_u32_e64 v21, s[36:37], s66, v21
	v_addc_co_u32_e64 v22, s[36:37], v99, v22, s[36:37]
	global_store_short v[21:22], v103, off
	s_or_b64 exec, exec, s[38:39]
	v_cmp_lt_u32_e64 s[36:37], v26, v96
	s_and_saveexec_b64 s[40:41], s[36:37]
	s_cbranch_execz .LBB1773_447
.LBB1773_483:                           ;   in Loop: Header=BB1773_399 Depth=2
	ds_read_u16 v21, v47 offset:1536
	v_mov_b32_e32 v22, v3
	v_mov_b32_e32 v99, s67
	s_waitcnt lgkmcnt(0)
	v_cmp_ne_u16_e64 s[38:39], s62, v21
	v_cndmask_b32_e64 v97, v65, v21, s[38:39]
	v_lshrrev_b32_sdwa v97, s77, v97 dst_sel:DWORD dst_unused:UNUSED_PAD src0_sel:DWORD src1_sel:WORD_0
	v_and_b32_e32 v97, s70, v97
	v_lshlrev_b32_e32 v97, 2, v97
	ds_read_b32 v97, v97
	v_cmp_gt_i16_e64 s[38:39], 0, v21
	v_cndmask_b32_e64 v103, v65, 0, s[38:39]
	v_xor_b32_e32 v103, v103, v21
	s_waitcnt lgkmcnt(0)
	v_add_u32_e32 v21, v97, v26
	v_lshlrev_b64 v[21:22], 1, v[21:22]
	v_add_co_u32_e64 v21, s[38:39], s66, v21
	v_addc_co_u32_e64 v22, s[38:39], v99, v22, s[38:39]
	global_store_short v[21:22], v103, off
	s_or_b64 exec, exec, s[40:41]
	v_cmp_lt_u32_e64 s[38:39], v27, v96
	s_and_saveexec_b64 s[42:43], s[38:39]
	s_cbranch_execz .LBB1773_448
.LBB1773_484:                           ;   in Loop: Header=BB1773_399 Depth=2
	ds_read_u16 v21, v47 offset:2048
	v_mov_b32_e32 v22, v3
	v_mov_b32_e32 v99, s67
	s_waitcnt lgkmcnt(0)
	v_cmp_ne_u16_e64 s[40:41], s62, v21
	v_cndmask_b32_e64 v97, v65, v21, s[40:41]
	v_lshrrev_b32_sdwa v97, s77, v97 dst_sel:DWORD dst_unused:UNUSED_PAD src0_sel:DWORD src1_sel:WORD_0
	v_and_b32_e32 v97, s70, v97
	v_lshlrev_b32_e32 v97, 2, v97
	ds_read_b32 v97, v97
	v_cmp_gt_i16_e64 s[40:41], 0, v21
	v_cndmask_b32_e64 v103, v65, 0, s[40:41]
	v_xor_b32_e32 v103, v103, v21
	s_waitcnt lgkmcnt(0)
	v_add_u32_e32 v21, v97, v27
	v_lshlrev_b64 v[21:22], 1, v[21:22]
	v_add_co_u32_e64 v21, s[40:41], s66, v21
	v_addc_co_u32_e64 v22, s[40:41], v99, v22, s[40:41]
	global_store_short v[21:22], v103, off
	s_or_b64 exec, exec, s[42:43]
	v_cmp_lt_u32_e64 s[40:41], v28, v96
	s_and_saveexec_b64 s[44:45], s[40:41]
	s_cbranch_execz .LBB1773_449
.LBB1773_485:                           ;   in Loop: Header=BB1773_399 Depth=2
	ds_read_u16 v21, v47 offset:2560
	v_mov_b32_e32 v22, v3
	v_mov_b32_e32 v99, s67
	s_waitcnt lgkmcnt(0)
	v_cmp_ne_u16_e64 s[42:43], s62, v21
	v_cndmask_b32_e64 v97, v65, v21, s[42:43]
	v_lshrrev_b32_sdwa v97, s77, v97 dst_sel:DWORD dst_unused:UNUSED_PAD src0_sel:DWORD src1_sel:WORD_0
	v_and_b32_e32 v97, s70, v97
	v_lshlrev_b32_e32 v97, 2, v97
	ds_read_b32 v97, v97
	v_cmp_gt_i16_e64 s[42:43], 0, v21
	v_cndmask_b32_e64 v103, v65, 0, s[42:43]
	v_xor_b32_e32 v103, v103, v21
	s_waitcnt lgkmcnt(0)
	v_add_u32_e32 v21, v97, v28
	v_lshlrev_b64 v[21:22], 1, v[21:22]
	v_add_co_u32_e64 v21, s[42:43], s66, v21
	v_addc_co_u32_e64 v22, s[42:43], v99, v22, s[42:43]
	global_store_short v[21:22], v103, off
	s_or_b64 exec, exec, s[44:45]
	v_cmp_lt_u32_e64 s[42:43], v31, v96
	s_and_saveexec_b64 s[46:47], s[42:43]
	s_cbranch_execz .LBB1773_450
.LBB1773_486:                           ;   in Loop: Header=BB1773_399 Depth=2
	ds_read_u16 v21, v47 offset:3072
	v_mov_b32_e32 v22, v3
	v_mov_b32_e32 v99, s67
	s_waitcnt lgkmcnt(0)
	v_cmp_ne_u16_e64 s[44:45], s62, v21
	v_cndmask_b32_e64 v97, v65, v21, s[44:45]
	v_lshrrev_b32_sdwa v97, s77, v97 dst_sel:DWORD dst_unused:UNUSED_PAD src0_sel:DWORD src1_sel:WORD_0
	v_and_b32_e32 v97, s70, v97
	v_lshlrev_b32_e32 v97, 2, v97
	ds_read_b32 v97, v97
	v_cmp_gt_i16_e64 s[44:45], 0, v21
	v_cndmask_b32_e64 v103, v65, 0, s[44:45]
	v_xor_b32_e32 v103, v103, v21
	s_waitcnt lgkmcnt(0)
	v_add_u32_e32 v21, v97, v31
	v_lshlrev_b64 v[21:22], 1, v[21:22]
	v_add_co_u32_e64 v21, s[44:45], s66, v21
	v_addc_co_u32_e64 v22, s[44:45], v99, v22, s[44:45]
	global_store_short v[21:22], v103, off
	s_or_b64 exec, exec, s[46:47]
	v_cmp_lt_u32_e64 s[44:45], v32, v96
	s_and_saveexec_b64 s[48:49], s[44:45]
	s_cbranch_execz .LBB1773_451
.LBB1773_487:                           ;   in Loop: Header=BB1773_399 Depth=2
	ds_read_u16 v21, v47 offset:3584
	v_mov_b32_e32 v22, v3
	v_mov_b32_e32 v99, s67
	s_waitcnt lgkmcnt(0)
	v_cmp_ne_u16_e64 s[46:47], s62, v21
	v_cndmask_b32_e64 v97, v65, v21, s[46:47]
	v_lshrrev_b32_sdwa v97, s77, v97 dst_sel:DWORD dst_unused:UNUSED_PAD src0_sel:DWORD src1_sel:WORD_0
	v_and_b32_e32 v97, s70, v97
	v_lshlrev_b32_e32 v97, 2, v97
	ds_read_b32 v97, v97
	v_cmp_gt_i16_e64 s[46:47], 0, v21
	v_cndmask_b32_e64 v103, v65, 0, s[46:47]
	v_xor_b32_e32 v103, v103, v21
	s_waitcnt lgkmcnt(0)
	v_add_u32_e32 v21, v97, v32
	v_lshlrev_b64 v[21:22], 1, v[21:22]
	v_add_co_u32_e64 v21, s[46:47], s66, v21
	v_addc_co_u32_e64 v22, s[46:47], v99, v22, s[46:47]
	global_store_short v[21:22], v103, off
	s_or_b64 exec, exec, s[48:49]
	v_cmp_lt_u32_e64 s[46:47], v33, v96
	s_and_saveexec_b64 s[52:53], s[46:47]
	s_cbranch_execz .LBB1773_452
.LBB1773_488:                           ;   in Loop: Header=BB1773_399 Depth=2
	ds_read_u16 v21, v47 offset:4096
	v_mov_b32_e32 v22, v3
	v_mov_b32_e32 v99, s67
	s_waitcnt lgkmcnt(0)
	v_cmp_ne_u16_e64 s[48:49], s62, v21
	v_cndmask_b32_e64 v97, v65, v21, s[48:49]
	v_lshrrev_b32_sdwa v97, s77, v97 dst_sel:DWORD dst_unused:UNUSED_PAD src0_sel:DWORD src1_sel:WORD_0
	v_and_b32_e32 v97, s70, v97
	v_lshlrev_b32_e32 v97, 2, v97
	ds_read_b32 v97, v97
	v_cmp_gt_i16_e64 s[48:49], 0, v21
	v_cndmask_b32_e64 v103, v65, 0, s[48:49]
	v_xor_b32_e32 v103, v103, v21
	s_waitcnt lgkmcnt(0)
	v_add_u32_e32 v21, v97, v33
	v_lshlrev_b64 v[21:22], 1, v[21:22]
	v_add_co_u32_e64 v21, s[48:49], s66, v21
	v_addc_co_u32_e64 v22, s[48:49], v99, v22, s[48:49]
	global_store_short v[21:22], v103, off
	s_or_b64 exec, exec, s[52:53]
	v_cmp_lt_u32_e64 s[48:49], v34, v96
	s_and_saveexec_b64 s[60:61], s[48:49]
	s_cbranch_execnz .LBB1773_453
	s_branch .LBB1773_454
.LBB1773_489:                           ;   in Loop: Header=BB1773_399 Depth=2
	global_load_dwordx2 v[19:20], v[21:22], off
	s_or_b64 exec, exec, s[52:53]
	v_cmp_lt_u32_e64 s[52:53], v74, v96
	s_and_saveexec_b64 s[60:61], s[52:53]
	s_cbranch_execz .LBB1773_456
.LBB1773_490:                           ;   in Loop: Header=BB1773_399 Depth=2
	global_load_dwordx2 v[17:18], v[21:22], off offset:512
	s_or_b64 exec, exec, s[60:61]
	v_cmp_lt_u32_e64 s[52:53], v75, v96
	s_and_saveexec_b64 s[60:61], s[52:53]
	s_cbranch_execz .LBB1773_457
.LBB1773_491:                           ;   in Loop: Header=BB1773_399 Depth=2
	global_load_dwordx2 v[15:16], v[21:22], off offset:1024
	s_or_b64 exec, exec, s[60:61]
	v_cmp_lt_u32_e64 s[52:53], v76, v96
	s_and_saveexec_b64 s[60:61], s[52:53]
	s_cbranch_execz .LBB1773_458
.LBB1773_492:                           ;   in Loop: Header=BB1773_399 Depth=2
	global_load_dwordx2 v[13:14], v[21:22], off offset:1536
	s_or_b64 exec, exec, s[60:61]
	v_cmp_lt_u32_e64 s[52:53], v77, v96
	s_and_saveexec_b64 s[60:61], s[52:53]
	s_cbranch_execz .LBB1773_459
.LBB1773_493:                           ;   in Loop: Header=BB1773_399 Depth=2
	global_load_dwordx2 v[11:12], v[21:22], off offset:2048
	s_or_b64 exec, exec, s[60:61]
	v_cmp_lt_u32_e64 s[52:53], v78, v96
	s_and_saveexec_b64 s[60:61], s[52:53]
	s_cbranch_execz .LBB1773_460
.LBB1773_494:                           ;   in Loop: Header=BB1773_399 Depth=2
	global_load_dwordx2 v[9:10], v[21:22], off offset:2560
	s_or_b64 exec, exec, s[60:61]
	v_cmp_lt_u32_e64 s[52:53], v79, v96
	s_and_saveexec_b64 s[60:61], s[52:53]
	s_cbranch_execz .LBB1773_461
.LBB1773_495:                           ;   in Loop: Header=BB1773_399 Depth=2
	global_load_dwordx2 v[7:8], v[21:22], off offset:3072
	s_or_b64 exec, exec, s[60:61]
	v_cmp_lt_u32_e64 s[52:53], v80, v96
	s_and_saveexec_b64 s[60:61], s[52:53]
	s_cbranch_execz .LBB1773_462
.LBB1773_496:                           ;   in Loop: Header=BB1773_399 Depth=2
	global_load_dwordx2 v[5:6], v[21:22], off offset:3584
	s_or_b64 exec, exec, s[60:61]
	s_and_saveexec_b64 s[60:61], vcc
	s_cbranch_execz .LBB1773_463
.LBB1773_497:                           ;   in Loop: Header=BB1773_399 Depth=2
	ds_read_u16 v21, v47 offset:1024
	s_waitcnt lgkmcnt(0)
	v_cmp_ne_u16_e64 s[52:53], s62, v21
	v_cndmask_b32_e64 v21, v65, v21, s[52:53]
	v_lshrrev_b32_sdwa v21, s77, v21 dst_sel:DWORD dst_unused:UNUSED_PAD src0_sel:DWORD src1_sel:WORD_0
	v_and_b32_e32 v95, s70, v21
	s_or_b64 exec, exec, s[60:61]
	s_and_saveexec_b64 s[60:61], s[36:37]
	s_cbranch_execz .LBB1773_464
.LBB1773_498:                           ;   in Loop: Header=BB1773_399 Depth=2
	ds_read_u16 v21, v47 offset:1536
	s_waitcnt lgkmcnt(0)
	v_cmp_ne_u16_e64 s[52:53], s62, v21
	v_cndmask_b32_e64 v21, v65, v21, s[52:53]
	v_lshrrev_b32_sdwa v21, s77, v21 dst_sel:DWORD dst_unused:UNUSED_PAD src0_sel:DWORD src1_sel:WORD_0
	v_and_b32_e32 v94, s70, v21
	s_or_b64 exec, exec, s[60:61]
	s_and_saveexec_b64 s[60:61], s[38:39]
	s_cbranch_execz .LBB1773_465
.LBB1773_499:                           ;   in Loop: Header=BB1773_399 Depth=2
	ds_read_u16 v21, v47 offset:2048
	s_waitcnt lgkmcnt(0)
	v_cmp_ne_u16_e64 s[52:53], s62, v21
	v_cndmask_b32_e64 v21, v65, v21, s[52:53]
	v_lshrrev_b32_sdwa v21, s77, v21 dst_sel:DWORD dst_unused:UNUSED_PAD src0_sel:DWORD src1_sel:WORD_0
	v_and_b32_e32 v93, s70, v21
	s_or_b64 exec, exec, s[60:61]
	s_and_saveexec_b64 s[60:61], s[40:41]
	s_cbranch_execz .LBB1773_466
.LBB1773_500:                           ;   in Loop: Header=BB1773_399 Depth=2
	ds_read_u16 v21, v47 offset:2560
	s_waitcnt lgkmcnt(0)
	v_cmp_ne_u16_e64 s[52:53], s62, v21
	v_cndmask_b32_e64 v21, v65, v21, s[52:53]
	v_lshrrev_b32_sdwa v21, s77, v21 dst_sel:DWORD dst_unused:UNUSED_PAD src0_sel:DWORD src1_sel:WORD_0
	v_and_b32_e32 v92, s70, v21
	s_or_b64 exec, exec, s[60:61]
	s_and_saveexec_b64 s[60:61], s[42:43]
	s_cbranch_execz .LBB1773_467
.LBB1773_501:                           ;   in Loop: Header=BB1773_399 Depth=2
	ds_read_u16 v21, v47 offset:3072
	s_waitcnt lgkmcnt(0)
	v_cmp_ne_u16_e64 s[52:53], s62, v21
	v_cndmask_b32_e64 v21, v65, v21, s[52:53]
	v_lshrrev_b32_sdwa v21, s77, v21 dst_sel:DWORD dst_unused:UNUSED_PAD src0_sel:DWORD src1_sel:WORD_0
	v_and_b32_e32 v90, s70, v21
	s_or_b64 exec, exec, s[60:61]
	s_and_saveexec_b64 s[60:61], s[44:45]
	s_cbranch_execz .LBB1773_468
.LBB1773_502:                           ;   in Loop: Header=BB1773_399 Depth=2
	ds_read_u16 v21, v47 offset:3584
	s_waitcnt lgkmcnt(0)
	v_cmp_ne_u16_e64 s[52:53], s62, v21
	v_cndmask_b32_e64 v21, v65, v21, s[52:53]
	v_lshrrev_b32_sdwa v21, s77, v21 dst_sel:DWORD dst_unused:UNUSED_PAD src0_sel:DWORD src1_sel:WORD_0
	v_and_b32_e32 v89, s70, v21
	s_or_b64 exec, exec, s[60:61]
	s_and_saveexec_b64 s[60:61], s[46:47]
	s_cbranch_execz .LBB1773_469
.LBB1773_503:                           ;   in Loop: Header=BB1773_399 Depth=2
	ds_read_u16 v21, v47 offset:4096
	s_waitcnt lgkmcnt(0)
	v_cmp_ne_u16_e64 s[52:53], s62, v21
	v_cndmask_b32_e64 v21, v65, v21, s[52:53]
	v_lshrrev_b32_sdwa v21, s77, v21 dst_sel:DWORD dst_unused:UNUSED_PAD src0_sel:DWORD src1_sel:WORD_0
	v_and_b32_e32 v88, s70, v21
	s_or_b64 exec, exec, s[60:61]
	s_and_saveexec_b64 s[60:61], s[48:49]
	s_cbranch_execnz .LBB1773_470
	s_branch .LBB1773_471
.LBB1773_504:                           ;   in Loop: Header=BB1773_399 Depth=2
	v_lshlrev_b32_e32 v21, 2, v95
	ds_read_b32 v23, v21
	v_add_u32_e32 v21, v47, v48
	ds_read_b64 v[21:22], v21 offset:1024
	v_mov_b32_e32 v24, v3
	v_mov_b32_e32 v96, s73
	s_waitcnt lgkmcnt(1)
	v_add_u32_e32 v23, v23, v0
	v_lshlrev_b64 v[23:24], 3, v[23:24]
	v_add_co_u32_e32 v23, vcc, s72, v23
	v_addc_co_u32_e32 v24, vcc, v96, v24, vcc
	s_waitcnt lgkmcnt(0)
	global_store_dwordx2 v[23:24], v[21:22], off
	s_or_b64 exec, exec, s[52:53]
	s_and_saveexec_b64 s[52:53], s[36:37]
	s_cbranch_execz .LBB1773_473
.LBB1773_505:                           ;   in Loop: Header=BB1773_399 Depth=2
	v_lshlrev_b32_e32 v21, 2, v94
	ds_read_b32 v23, v21
	v_add_u32_e32 v21, v47, v48
	ds_read_b64 v[21:22], v21 offset:3072
	v_mov_b32_e32 v24, v3
	v_mov_b32_e32 v96, s73
	s_waitcnt lgkmcnt(1)
	v_add_u32_e32 v23, v23, v26
	v_lshlrev_b64 v[23:24], 3, v[23:24]
	v_add_co_u32_e32 v23, vcc, s72, v23
	v_addc_co_u32_e32 v24, vcc, v96, v24, vcc
	s_waitcnt lgkmcnt(0)
	global_store_dwordx2 v[23:24], v[21:22], off
	s_or_b64 exec, exec, s[52:53]
	s_and_saveexec_b64 s[36:37], s[38:39]
	s_cbranch_execz .LBB1773_474
.LBB1773_506:                           ;   in Loop: Header=BB1773_399 Depth=2
	v_lshlrev_b32_e32 v21, 2, v93
	ds_read_b32 v23, v21
	v_add_u32_e32 v21, v47, v48
	ds_read_b64 v[21:22], v21 offset:5120
	v_mov_b32_e32 v24, v3
	v_mov_b32_e32 v96, s73
	s_waitcnt lgkmcnt(1)
	v_add_u32_e32 v23, v23, v27
	v_lshlrev_b64 v[23:24], 3, v[23:24]
	v_add_co_u32_e32 v23, vcc, s72, v23
	v_addc_co_u32_e32 v24, vcc, v96, v24, vcc
	s_waitcnt lgkmcnt(0)
	global_store_dwordx2 v[23:24], v[21:22], off
	s_or_b64 exec, exec, s[36:37]
	s_and_saveexec_b64 s[36:37], s[40:41]
	s_cbranch_execz .LBB1773_475
.LBB1773_507:                           ;   in Loop: Header=BB1773_399 Depth=2
	v_lshlrev_b32_e32 v21, 2, v92
	ds_read_b32 v23, v21
	v_add_u32_e32 v21, v47, v48
	ds_read_b64 v[21:22], v21 offset:7168
	v_mov_b32_e32 v24, v3
	v_mov_b32_e32 v96, s73
	s_waitcnt lgkmcnt(1)
	v_add_u32_e32 v23, v23, v28
	v_lshlrev_b64 v[23:24], 3, v[23:24]
	v_add_co_u32_e32 v23, vcc, s72, v23
	v_addc_co_u32_e32 v24, vcc, v96, v24, vcc
	s_waitcnt lgkmcnt(0)
	global_store_dwordx2 v[23:24], v[21:22], off
	s_or_b64 exec, exec, s[36:37]
	s_and_saveexec_b64 s[36:37], s[42:43]
	s_cbranch_execz .LBB1773_476
.LBB1773_508:                           ;   in Loop: Header=BB1773_399 Depth=2
	v_lshlrev_b32_e32 v21, 2, v90
	ds_read_b32 v23, v21
	v_add_u32_e32 v21, v47, v48
	ds_read_b64 v[21:22], v21 offset:9216
	v_mov_b32_e32 v24, v3
	v_mov_b32_e32 v96, s73
	s_waitcnt lgkmcnt(1)
	v_add_u32_e32 v23, v23, v31
	v_lshlrev_b64 v[23:24], 3, v[23:24]
	v_add_co_u32_e32 v23, vcc, s72, v23
	v_addc_co_u32_e32 v24, vcc, v96, v24, vcc
	s_waitcnt lgkmcnt(0)
	global_store_dwordx2 v[23:24], v[21:22], off
	s_or_b64 exec, exec, s[36:37]
	s_and_saveexec_b64 s[36:37], s[44:45]
	s_cbranch_execz .LBB1773_477
.LBB1773_509:                           ;   in Loop: Header=BB1773_399 Depth=2
	v_lshlrev_b32_e32 v21, 2, v89
	ds_read_b32 v23, v21
	v_add_u32_e32 v21, v47, v48
	ds_read_b64 v[21:22], v21 offset:11264
	v_mov_b32_e32 v24, v3
	v_mov_b32_e32 v96, s73
	s_waitcnt lgkmcnt(1)
	v_add_u32_e32 v23, v23, v32
	v_lshlrev_b64 v[23:24], 3, v[23:24]
	v_add_co_u32_e32 v23, vcc, s72, v23
	v_addc_co_u32_e32 v24, vcc, v96, v24, vcc
	s_waitcnt lgkmcnt(0)
	global_store_dwordx2 v[23:24], v[21:22], off
	s_or_b64 exec, exec, s[36:37]
	s_and_saveexec_b64 s[36:37], s[46:47]
	s_cbranch_execz .LBB1773_478
.LBB1773_510:                           ;   in Loop: Header=BB1773_399 Depth=2
	v_lshlrev_b32_e32 v21, 2, v88
	ds_read_b32 v23, v21
	v_add_u32_e32 v21, v47, v48
	ds_read_b64 v[21:22], v21 offset:13312
	v_mov_b32_e32 v24, v3
	v_mov_b32_e32 v96, s73
	s_waitcnt lgkmcnt(1)
	v_add_u32_e32 v23, v23, v33
	v_lshlrev_b64 v[23:24], 3, v[23:24]
	v_add_co_u32_e32 v23, vcc, s72, v23
	v_addc_co_u32_e32 v24, vcc, v96, v24, vcc
	s_waitcnt lgkmcnt(0)
	global_store_dwordx2 v[23:24], v[21:22], off
	s_or_b64 exec, exec, s[36:37]
	s_and_saveexec_b64 s[36:37], s[48:49]
	s_cbranch_execnz .LBB1773_479
	s_branch .LBB1773_480
.LBB1773_511:                           ;   in Loop: Header=BB1773_17 Depth=1
	s_waitcnt lgkmcnt(0)
	s_barrier
	s_mov_b64 s[16:17], 0
.LBB1773_512:                           ;   in Loop: Header=BB1773_17 Depth=1
	s_and_b64 vcc, exec, s[16:17]
	s_cbranch_vccz .LBB1773_16
; %bb.513:                              ;   in Loop: Header=BB1773_17 Depth=1
	s_mov_b32 s20, s79
	s_mov_b32 s58, s51
	s_barrier
                                        ; implicit-def: $vgpr4
                                        ; implicit-def: $vgpr5
                                        ; implicit-def: $vgpr6
                                        ; implicit-def: $vgpr7
                                        ; implicit-def: $vgpr8
                                        ; implicit-def: $vgpr9
                                        ; implicit-def: $vgpr10
                                        ; implicit-def: $vgpr11
	s_branch .LBB1773_515
.LBB1773_514:                           ;   in Loop: Header=BB1773_515 Depth=2
	s_or_b64 exec, exec, s[16:17]
	s_addk_i32 s20, 0xf800
	s_cmp_ge_u32 s21, s80
	s_mov_b32 s58, s21
	s_cbranch_scc1 .LBB1773_551
.LBB1773_515:                           ;   Parent Loop BB1773_17 Depth=1
                                        ; =>  This Inner Loop Header: Depth=2
	s_add_i32 s21, s58, 0x800
	s_cmp_gt_u32 s21, s80
	s_mov_b64 s[16:17], -1
                                        ; implicit-def: $vgpr12
                                        ; implicit-def: $vgpr13
                                        ; implicit-def: $vgpr14
                                        ; implicit-def: $vgpr15
                                        ; implicit-def: $vgpr16
                                        ; implicit-def: $vgpr17
                                        ; implicit-def: $vgpr18
                                        ; implicit-def: $vgpr19
	s_cbranch_scc1 .LBB1773_517
; %bb.516:                              ;   in Loop: Header=BB1773_515 Depth=2
	s_lshl_b64 s[16:17], s[58:59], 1
	v_mov_b32_e32 v12, s17
	v_add_co_u32_e32 v20, vcc, s16, v55
	v_addc_co_u32_e32 v21, vcc, v56, v12, vcc
	global_load_ushort v12, v[20:21], off
	global_load_ushort v13, v[20:21], off offset:512
	global_load_ushort v14, v[20:21], off offset:1024
	;; [unrolled: 1-line block ×7, first 2 shown]
	s_mov_b64 s[16:17], 0
.LBB1773_517:                           ;   in Loop: Header=BB1773_515 Depth=2
	s_andn2_b64 vcc, exec, s[16:17]
	s_movk_i32 s18, 0x800
	s_cbranch_vccnz .LBB1773_528
; %bb.518:                              ;   in Loop: Header=BB1773_515 Depth=2
	s_lshl_b64 s[16:17], s[58:59], 1
	s_add_u32 s16, s64, s16
	s_addc_u32 s17, s65, s17
	v_cmp_gt_u32_e32 vcc, s20, v0
	s_and_saveexec_b64 s[18:19], vcc
	s_cbranch_execnz .LBB1773_544
; %bb.519:                              ;   in Loop: Header=BB1773_515 Depth=2
	s_or_b64 exec, exec, s[18:19]
	v_cmp_gt_u32_e32 vcc, s20, v26
	s_and_saveexec_b64 s[18:19], vcc
	s_cbranch_execnz .LBB1773_545
.LBB1773_520:                           ;   in Loop: Header=BB1773_515 Depth=2
	s_or_b64 exec, exec, s[18:19]
	v_cmp_gt_u32_e32 vcc, s20, v27
	s_and_saveexec_b64 s[18:19], vcc
	s_cbranch_execnz .LBB1773_546
.LBB1773_521:                           ;   in Loop: Header=BB1773_515 Depth=2
	s_or_b64 exec, exec, s[18:19]
	v_cmp_gt_u32_e32 vcc, s20, v28
	s_and_saveexec_b64 s[18:19], vcc
	s_cbranch_execnz .LBB1773_547
.LBB1773_522:                           ;   in Loop: Header=BB1773_515 Depth=2
	s_or_b64 exec, exec, s[18:19]
	v_cmp_gt_u32_e32 vcc, s20, v31
	s_and_saveexec_b64 s[18:19], vcc
	s_cbranch_execnz .LBB1773_548
.LBB1773_523:                           ;   in Loop: Header=BB1773_515 Depth=2
	s_or_b64 exec, exec, s[18:19]
	v_cmp_gt_u32_e32 vcc, s20, v32
	s_and_saveexec_b64 s[18:19], vcc
	s_cbranch_execnz .LBB1773_549
.LBB1773_524:                           ;   in Loop: Header=BB1773_515 Depth=2
	s_or_b64 exec, exec, s[18:19]
	v_cmp_gt_u32_e32 vcc, s20, v33
	s_and_saveexec_b64 s[18:19], vcc
	s_cbranch_execnz .LBB1773_550
.LBB1773_525:                           ;   in Loop: Header=BB1773_515 Depth=2
	s_or_b64 exec, exec, s[18:19]
	v_cmp_gt_u32_e32 vcc, s20, v34
	s_and_saveexec_b64 s[18:19], vcc
	s_cbranch_execz .LBB1773_527
.LBB1773_526:                           ;   in Loop: Header=BB1773_515 Depth=2
	global_load_ushort v4, v64, s[16:17] offset:3584
.LBB1773_527:                           ;   in Loop: Header=BB1773_515 Depth=2
	s_or_b64 exec, exec, s[18:19]
	s_mov_b32 s18, s20
	s_waitcnt vmcnt(0)
	v_mov_b32_e32 v12, v11
	v_mov_b32_e32 v13, v10
	;; [unrolled: 1-line block ×8, first 2 shown]
.LBB1773_528:                           ;   in Loop: Header=BB1773_515 Depth=2
	s_waitcnt vmcnt(0)
	v_mov_b32_e32 v4, v19
	v_mov_b32_e32 v5, v18
	;; [unrolled: 1-line block ×8, first 2 shown]
	v_cmp_gt_u32_e32 vcc, s18, v0
	s_and_saveexec_b64 s[16:17], vcc
	s_cbranch_execnz .LBB1773_536
; %bb.529:                              ;   in Loop: Header=BB1773_515 Depth=2
	s_or_b64 exec, exec, s[16:17]
	v_cmp_gt_u32_e32 vcc, s18, v26
	s_and_saveexec_b64 s[16:17], vcc
	s_cbranch_execnz .LBB1773_537
.LBB1773_530:                           ;   in Loop: Header=BB1773_515 Depth=2
	s_or_b64 exec, exec, s[16:17]
	v_cmp_gt_u32_e32 vcc, s18, v27
	s_and_saveexec_b64 s[16:17], vcc
	s_cbranch_execnz .LBB1773_538
.LBB1773_531:                           ;   in Loop: Header=BB1773_515 Depth=2
	s_or_b64 exec, exec, s[16:17]
	v_cmp_gt_u32_e32 vcc, s18, v28
	s_and_saveexec_b64 s[16:17], vcc
	s_cbranch_execnz .LBB1773_539
.LBB1773_532:                           ;   in Loop: Header=BB1773_515 Depth=2
	s_or_b64 exec, exec, s[16:17]
	v_cmp_gt_u32_e32 vcc, s18, v31
	s_and_saveexec_b64 s[16:17], vcc
	s_cbranch_execnz .LBB1773_540
.LBB1773_533:                           ;   in Loop: Header=BB1773_515 Depth=2
	s_or_b64 exec, exec, s[16:17]
	v_cmp_gt_u32_e32 vcc, s18, v32
	s_and_saveexec_b64 s[16:17], vcc
	s_cbranch_execnz .LBB1773_541
.LBB1773_534:                           ;   in Loop: Header=BB1773_515 Depth=2
	s_or_b64 exec, exec, s[16:17]
	v_cmp_gt_u32_e32 vcc, s18, v33
	s_and_saveexec_b64 s[16:17], vcc
	s_cbranch_execnz .LBB1773_542
.LBB1773_535:                           ;   in Loop: Header=BB1773_515 Depth=2
	s_or_b64 exec, exec, s[16:17]
	v_cmp_gt_u32_e32 vcc, s18, v34
	s_and_saveexec_b64 s[16:17], vcc
	s_cbranch_execz .LBB1773_514
	s_branch .LBB1773_543
.LBB1773_536:                           ;   in Loop: Header=BB1773_515 Depth=2
	v_cmp_gt_i16_e32 vcc, 0, v11
	v_cndmask_b32_e64 v12, v65, 0, vcc
	v_xor_b32_e32 v12, v12, v11
	v_cmp_ne_u16_e32 vcc, s62, v12
	v_cndmask_b32_e32 v12, v65, v12, vcc
	v_lshrrev_b32_sdwa v12, s77, v12 dst_sel:DWORD dst_unused:UNUSED_PAD src0_sel:DWORD src1_sel:WORD_0
	v_and_b32_e32 v12, s70, v12
	v_lshl_or_b32 v12, v12, 4, v35
	ds_add_u32 v12, v61
	s_or_b64 exec, exec, s[16:17]
	v_cmp_gt_u32_e32 vcc, s18, v26
	s_and_saveexec_b64 s[16:17], vcc
	s_cbranch_execz .LBB1773_530
.LBB1773_537:                           ;   in Loop: Header=BB1773_515 Depth=2
	v_cmp_gt_i16_e32 vcc, 0, v10
	v_cndmask_b32_e64 v12, v65, 0, vcc
	v_xor_b32_e32 v12, v12, v10
	v_cmp_ne_u16_e32 vcc, s62, v12
	v_cndmask_b32_e32 v12, v65, v12, vcc
	v_lshrrev_b32_sdwa v12, s77, v12 dst_sel:DWORD dst_unused:UNUSED_PAD src0_sel:DWORD src1_sel:WORD_0
	v_and_b32_e32 v12, s70, v12
	v_lshl_or_b32 v12, v12, 4, v35
	ds_add_u32 v12, v61
	s_or_b64 exec, exec, s[16:17]
	v_cmp_gt_u32_e32 vcc, s18, v27
	s_and_saveexec_b64 s[16:17], vcc
	s_cbranch_execz .LBB1773_531
.LBB1773_538:                           ;   in Loop: Header=BB1773_515 Depth=2
	v_cmp_gt_i16_e32 vcc, 0, v9
	v_cndmask_b32_e64 v12, v65, 0, vcc
	v_xor_b32_e32 v12, v12, v9
	v_cmp_ne_u16_e32 vcc, s62, v12
	v_cndmask_b32_e32 v12, v65, v12, vcc
	v_lshrrev_b32_sdwa v12, s77, v12 dst_sel:DWORD dst_unused:UNUSED_PAD src0_sel:DWORD src1_sel:WORD_0
	v_and_b32_e32 v12, s70, v12
	v_lshl_or_b32 v12, v12, 4, v35
	ds_add_u32 v12, v61
	s_or_b64 exec, exec, s[16:17]
	v_cmp_gt_u32_e32 vcc, s18, v28
	s_and_saveexec_b64 s[16:17], vcc
	s_cbranch_execz .LBB1773_532
.LBB1773_539:                           ;   in Loop: Header=BB1773_515 Depth=2
	v_cmp_gt_i16_e32 vcc, 0, v8
	v_cndmask_b32_e64 v12, v65, 0, vcc
	v_xor_b32_e32 v12, v12, v8
	v_cmp_ne_u16_e32 vcc, s62, v12
	v_cndmask_b32_e32 v12, v65, v12, vcc
	v_lshrrev_b32_sdwa v12, s77, v12 dst_sel:DWORD dst_unused:UNUSED_PAD src0_sel:DWORD src1_sel:WORD_0
	v_and_b32_e32 v12, s70, v12
	v_lshl_or_b32 v12, v12, 4, v35
	ds_add_u32 v12, v61
	s_or_b64 exec, exec, s[16:17]
	v_cmp_gt_u32_e32 vcc, s18, v31
	s_and_saveexec_b64 s[16:17], vcc
	s_cbranch_execz .LBB1773_533
.LBB1773_540:                           ;   in Loop: Header=BB1773_515 Depth=2
	v_cmp_gt_i16_e32 vcc, 0, v7
	v_cndmask_b32_e64 v12, v65, 0, vcc
	v_xor_b32_e32 v12, v12, v7
	v_cmp_ne_u16_e32 vcc, s62, v12
	v_cndmask_b32_e32 v12, v65, v12, vcc
	v_lshrrev_b32_sdwa v12, s77, v12 dst_sel:DWORD dst_unused:UNUSED_PAD src0_sel:DWORD src1_sel:WORD_0
	v_and_b32_e32 v12, s70, v12
	v_lshl_or_b32 v12, v12, 4, v35
	ds_add_u32 v12, v61
	s_or_b64 exec, exec, s[16:17]
	v_cmp_gt_u32_e32 vcc, s18, v32
	s_and_saveexec_b64 s[16:17], vcc
	s_cbranch_execz .LBB1773_534
.LBB1773_541:                           ;   in Loop: Header=BB1773_515 Depth=2
	v_cmp_gt_i16_e32 vcc, 0, v6
	v_cndmask_b32_e64 v12, v65, 0, vcc
	v_xor_b32_e32 v12, v12, v6
	v_cmp_ne_u16_e32 vcc, s62, v12
	v_cndmask_b32_e32 v12, v65, v12, vcc
	v_lshrrev_b32_sdwa v12, s77, v12 dst_sel:DWORD dst_unused:UNUSED_PAD src0_sel:DWORD src1_sel:WORD_0
	v_and_b32_e32 v12, s70, v12
	v_lshl_or_b32 v12, v12, 4, v35
	ds_add_u32 v12, v61
	s_or_b64 exec, exec, s[16:17]
	v_cmp_gt_u32_e32 vcc, s18, v33
	s_and_saveexec_b64 s[16:17], vcc
	s_cbranch_execz .LBB1773_535
.LBB1773_542:                           ;   in Loop: Header=BB1773_515 Depth=2
	v_cmp_gt_i16_e32 vcc, 0, v5
	v_cndmask_b32_e64 v12, v65, 0, vcc
	v_xor_b32_e32 v12, v12, v5
	v_cmp_ne_u16_e32 vcc, s62, v12
	v_cndmask_b32_e32 v12, v65, v12, vcc
	v_lshrrev_b32_sdwa v12, s77, v12 dst_sel:DWORD dst_unused:UNUSED_PAD src0_sel:DWORD src1_sel:WORD_0
	v_and_b32_e32 v12, s70, v12
	v_lshl_or_b32 v12, v12, 4, v35
	ds_add_u32 v12, v61
	s_or_b64 exec, exec, s[16:17]
	v_cmp_gt_u32_e32 vcc, s18, v34
	s_and_saveexec_b64 s[16:17], vcc
	s_cbranch_execz .LBB1773_514
.LBB1773_543:                           ;   in Loop: Header=BB1773_515 Depth=2
	v_cmp_gt_i16_e32 vcc, 0, v4
	v_cndmask_b32_e64 v12, v65, 0, vcc
	v_xor_b32_e32 v12, v12, v4
	v_cmp_ne_u16_e32 vcc, s62, v12
	v_cndmask_b32_e32 v12, v65, v12, vcc
	v_lshrrev_b32_sdwa v12, s77, v12 dst_sel:DWORD dst_unused:UNUSED_PAD src0_sel:DWORD src1_sel:WORD_0
	v_and_b32_e32 v12, s70, v12
	v_lshl_or_b32 v12, v12, 4, v35
	ds_add_u32 v12, v61
	s_branch .LBB1773_514
.LBB1773_544:                           ;   in Loop: Header=BB1773_515 Depth=2
	global_load_ushort v11, v64, s[16:17]
	s_or_b64 exec, exec, s[18:19]
	v_cmp_gt_u32_e32 vcc, s20, v26
	s_and_saveexec_b64 s[18:19], vcc
	s_cbranch_execz .LBB1773_520
.LBB1773_545:                           ;   in Loop: Header=BB1773_515 Depth=2
	global_load_ushort v10, v64, s[16:17] offset:512
	s_or_b64 exec, exec, s[18:19]
	v_cmp_gt_u32_e32 vcc, s20, v27
	s_and_saveexec_b64 s[18:19], vcc
	s_cbranch_execz .LBB1773_521
.LBB1773_546:                           ;   in Loop: Header=BB1773_515 Depth=2
	global_load_ushort v9, v64, s[16:17] offset:1024
	s_or_b64 exec, exec, s[18:19]
	v_cmp_gt_u32_e32 vcc, s20, v28
	s_and_saveexec_b64 s[18:19], vcc
	s_cbranch_execz .LBB1773_522
.LBB1773_547:                           ;   in Loop: Header=BB1773_515 Depth=2
	global_load_ushort v8, v64, s[16:17] offset:1536
	s_or_b64 exec, exec, s[18:19]
	v_cmp_gt_u32_e32 vcc, s20, v31
	s_and_saveexec_b64 s[18:19], vcc
	s_cbranch_execz .LBB1773_523
.LBB1773_548:                           ;   in Loop: Header=BB1773_515 Depth=2
	global_load_ushort v7, v64, s[16:17] offset:2048
	s_or_b64 exec, exec, s[18:19]
	v_cmp_gt_u32_e32 vcc, s20, v32
	s_and_saveexec_b64 s[18:19], vcc
	s_cbranch_execz .LBB1773_524
.LBB1773_549:                           ;   in Loop: Header=BB1773_515 Depth=2
	global_load_ushort v6, v64, s[16:17] offset:2560
	s_or_b64 exec, exec, s[18:19]
	v_cmp_gt_u32_e32 vcc, s20, v33
	s_and_saveexec_b64 s[18:19], vcc
	s_cbranch_execz .LBB1773_525
.LBB1773_550:                           ;   in Loop: Header=BB1773_515 Depth=2
	global_load_ushort v5, v64, s[16:17] offset:3072
	s_or_b64 exec, exec, s[18:19]
	v_cmp_gt_u32_e32 vcc, s20, v34
	s_and_saveexec_b64 s[18:19], vcc
	s_cbranch_execnz .LBB1773_526
	s_branch .LBB1773_527
.LBB1773_551:                           ;   in Loop: Header=BB1773_17 Depth=1
	v_mov_b32_e32 v4, 0
	s_waitcnt lgkmcnt(0)
	s_barrier
	s_and_saveexec_b64 s[16:17], s[4:5]
	s_cbranch_execz .LBB1773_553
; %bb.552:                              ;   in Loop: Header=BB1773_17 Depth=1
	ds_read2_b64 v[4:7], v36 offset1:1
	s_waitcnt lgkmcnt(0)
	v_add_u32_e32 v4, v5, v4
	v_add3_u32 v4, v4, v6, v7
.LBB1773_553:                           ;   in Loop: Header=BB1773_17 Depth=1
	s_or_b64 exec, exec, s[16:17]
	s_nop 0
	v_mov_b32_dpp v5, v4 row_shr:1 row_mask:0xf bank_mask:0xf
	v_cmp_eq_u32_e64 s[16:17], 0, v67
	v_cndmask_b32_e64 v5, v5, 0, s[16:17]
	v_add_u32_e32 v4, v5, v4
	v_cmp_lt_u32_e64 s[18:19], 1, v67
	v_cmp_lt_u32_e64 s[20:21], 3, v67
	v_mov_b32_dpp v5, v4 row_shr:2 row_mask:0xf bank_mask:0xf
	v_cndmask_b32_e64 v5, 0, v5, s[18:19]
	v_add_u32_e32 v4, v4, v5
	v_cmp_lt_u32_e64 s[22:23], 7, v67
	v_cmp_lt_u32_e64 s[26:27], 31, v66
	v_mov_b32_dpp v5, v4 row_shr:4 row_mask:0xf bank_mask:0xf
	v_cndmask_b32_e64 v5, 0, v5, s[20:21]
	v_add_u32_e32 v4, v4, v5
	v_cmp_eq_u32_e64 s[24:25], 0, v69
	s_nop 0
	v_mov_b32_dpp v5, v4 row_shr:8 row_mask:0xf bank_mask:0xf
	v_cndmask_b32_e64 v5, 0, v5, s[22:23]
	v_add_u32_e32 v4, v4, v5
	s_nop 1
	v_mov_b32_dpp v5, v4 row_bcast:15 row_mask:0xf bank_mask:0xf
	v_and_b32_e32 v5, v68, v5
	v_add_u32_e32 v4, v4, v5
	s_nop 1
	v_mov_b32_dpp v5, v4 row_bcast:31 row_mask:0xf bank_mask:0xf
	v_cndmask_b32_e64 v5, 0, v5, s[26:27]
	v_add_u32_e32 v4, v4, v5
	s_and_saveexec_b64 s[28:29], s[6:7]
; %bb.554:                              ;   in Loop: Header=BB1773_17 Depth=1
	ds_write_b32 v38, v4
; %bb.555:                              ;   in Loop: Header=BB1773_17 Depth=1
	s_or_b64 exec, exec, s[28:29]
	s_waitcnt lgkmcnt(0)
	s_barrier
	s_and_saveexec_b64 s[28:29], s[8:9]
	s_cbranch_execz .LBB1773_557
; %bb.556:                              ;   in Loop: Header=BB1773_17 Depth=1
	ds_read_b32 v5, v39
	v_cmp_ne_u32_e32 vcc, 0, v70
	s_waitcnt lgkmcnt(0)
	v_mov_b32_dpp v6, v5 row_shr:1 row_mask:0xf bank_mask:0xf
	v_cndmask_b32_e32 v6, 0, v6, vcc
	v_add_u32_e32 v5, v6, v5
	v_cmp_lt_u32_e32 vcc, 1, v70
	s_nop 0
	v_mov_b32_dpp v6, v5 row_shr:2 row_mask:0xf bank_mask:0xf
	v_cndmask_b32_e32 v6, 0, v6, vcc
	v_add_u32_e32 v5, v5, v6
	ds_write_b32 v39, v5
.LBB1773_557:                           ;   in Loop: Header=BB1773_17 Depth=1
	s_or_b64 exec, exec, s[28:29]
	v_mov_b32_e32 v5, 0
	s_waitcnt lgkmcnt(0)
	s_barrier
	s_and_saveexec_b64 s[28:29], s[10:11]
; %bb.558:                              ;   in Loop: Header=BB1773_17 Depth=1
	ds_read_b32 v5, v40
; %bb.559:                              ;   in Loop: Header=BB1773_17 Depth=1
	s_or_b64 exec, exec, s[28:29]
	v_subrev_co_u32_e64 v6, s[28:29], 1, v66
	v_cmp_lt_i32_e32 vcc, v6, v71
	v_cndmask_b32_e32 v6, v6, v66, vcc
	s_waitcnt lgkmcnt(0)
	v_add_u32_e32 v4, v5, v4
	v_lshlrev_b32_e32 v82, 2, v6
	ds_bpermute_b32 v4, v82, v4
	s_waitcnt lgkmcnt(0)
	s_barrier
	s_and_saveexec_b64 s[30:31], s[4:5]
; %bb.560:                              ;   in Loop: Header=BB1773_17 Depth=1
	v_cndmask_b32_e64 v4, v4, v5, s[28:29]
	v_add_u32_e32 v4, s51, v4
	ds_write_b32 v25, v4
; %bb.561:                              ;   in Loop: Header=BB1773_17 Depth=1
	s_or_b64 exec, exec, s[30:31]
	s_load_dwordx2 s[30:31], s[56:57], 0x0
	v_add_co_u32_e32 v83, vcc, v57, v72
	v_addc_co_u32_e32 v84, vcc, 0, v58, vcc
	s_waitcnt lgkmcnt(0)
	s_cmp_lt_u32 s33, s31
	s_cselect_b32 s31, 14, 20
	s_add_u32 s34, s56, s31
	s_addc_u32 s35, s57, 0
	s_cmp_lt_u32 s50, s30
	s_cselect_b32 s30, 12, 18
	s_add_u32 s30, s56, s30
	global_load_ushort v4, v3, s[34:35]
	s_addc_u32 s31, s57, 0
	global_load_ushort v5, v3, s[30:31]
	v_add_co_u32_e32 v85, vcc, v59, v81
	v_cmp_eq_u32_e64 s[30:31], 0, v70
	v_cmp_lt_u32_e64 s[34:35], 1, v70
	v_addc_co_u32_e32 v86, vcc, 0, v60, vcc
	s_mov_b32 s71, s79
	s_mov_b32 s58, s51
                                        ; implicit-def: $vgpr7_vgpr8
                                        ; implicit-def: $vgpr9_vgpr10
                                        ; implicit-def: $vgpr11_vgpr12
                                        ; implicit-def: $vgpr13_vgpr14
                                        ; implicit-def: $vgpr15_vgpr16
                                        ; implicit-def: $vgpr17_vgpr18
                                        ; implicit-def: $vgpr19_vgpr20
                                        ; implicit-def: $vgpr87
                                        ; implicit-def: $vgpr88
                                        ; implicit-def: $vgpr89
                                        ; implicit-def: $vgpr90
                                        ; implicit-def: $vgpr92
                                        ; implicit-def: $vgpr93
                                        ; implicit-def: $vgpr94
                                        ; implicit-def: $vgpr95
	s_waitcnt vmcnt(1)
	v_mad_u32_u24 v4, v2, v4, v1
	s_waitcnt vmcnt(0)
	v_mad_u64_u32 v[4:5], s[36:37], v4, v5, v[0:1]
                                        ; implicit-def: $vgpr5_vgpr6
	v_lshrrev_b32_e32 v4, 4, v4
	v_and_b32_e32 v91, 0xffffffc, v4
	s_branch .LBB1773_563
.LBB1773_562:                           ;   in Loop: Header=BB1773_563 Depth=2
	s_or_b64 exec, exec, s[36:37]
	s_addk_i32 s71, 0xf800
	s_cmp_lt_u32 s76, s80
	s_mov_b32 s58, s76
	s_cbranch_scc0 .LBB1773_15
.LBB1773_563:                           ;   Parent Loop BB1773_17 Depth=1
                                        ; =>  This Inner Loop Header: Depth=2
	s_add_i32 s76, s58, 0x800
	s_cmp_gt_u32 s76, s80
	s_cbranch_scc1 .LBB1773_565
; %bb.564:                              ;   in Loop: Header=BB1773_563 Depth=2
	s_lshl_b64 s[36:37], s[58:59], 1
	v_mov_b32_e32 v4, s37
	v_add_co_u32_e32 v21, vcc, s36, v85
	v_addc_co_u32_e32 v22, vcc, v86, v4, vcc
	global_load_ushort v4, v[21:22], off
	global_load_ushort v99, v[21:22], off offset:128
	global_load_ushort v103, v[21:22], off offset:256
	;; [unrolled: 1-line block ×6, first 2 shown]
	s_mov_b64 s[36:37], -1
	s_movk_i32 s40, 0x800
	s_cbranch_execz .LBB1773_566
	s_branch .LBB1773_581
.LBB1773_565:                           ;   in Loop: Header=BB1773_563 Depth=2
	s_mov_b64 s[36:37], 0
                                        ; implicit-def: $vgpr4
                                        ; implicit-def: $vgpr99
                                        ; implicit-def: $vgpr103
                                        ; implicit-def: $vgpr107
                                        ; implicit-def: $vgpr112
                                        ; implicit-def: $vgpr108
                                        ; implicit-def: $vgpr24
	s_movk_i32 s40, 0x800
.LBB1773_566:                           ;   in Loop: Header=BB1773_563 Depth=2
	s_lshl_b64 s[36:37], s[58:59], 1
	s_waitcnt vmcnt(6)
	v_mov_b32_e32 v4, s37
	v_add_co_u32_e32 v21, vcc, s36, v85
	v_addc_co_u32_e32 v22, vcc, v86, v4, vcc
	v_cmp_gt_u32_e32 vcc, s71, v73
	s_waitcnt vmcnt(5)
	v_mov_b32_e32 v99, -1
	v_mov_b32_e32 v4, -1
	s_and_saveexec_b64 s[36:37], vcc
	s_cbranch_execz .LBB1773_568
; %bb.567:                              ;   in Loop: Header=BB1773_563 Depth=2
	global_load_ushort v4, v[21:22], off
.LBB1773_568:                           ;   in Loop: Header=BB1773_563 Depth=2
	s_or_b64 exec, exec, s[36:37]
	v_cmp_gt_u32_e32 vcc, s71, v74
	s_and_saveexec_b64 s[36:37], vcc
	s_cbranch_execz .LBB1773_570
; %bb.569:                              ;   in Loop: Header=BB1773_563 Depth=2
	global_load_ushort v99, v[21:22], off offset:128
.LBB1773_570:                           ;   in Loop: Header=BB1773_563 Depth=2
	s_or_b64 exec, exec, s[36:37]
	v_cmp_gt_u32_e32 vcc, s71, v75
	s_waitcnt vmcnt(3)
	v_mov_b32_e32 v107, -1
	v_mov_b32_e32 v103, -1
	s_and_saveexec_b64 s[36:37], vcc
	s_cbranch_execz .LBB1773_572
; %bb.571:                              ;   in Loop: Header=BB1773_563 Depth=2
	global_load_ushort v103, v[21:22], off offset:256
.LBB1773_572:                           ;   in Loop: Header=BB1773_563 Depth=2
	s_or_b64 exec, exec, s[36:37]
	v_cmp_gt_u32_e32 vcc, s71, v76
	s_and_saveexec_b64 s[36:37], vcc
	s_cbranch_execz .LBB1773_574
; %bb.573:                              ;   in Loop: Header=BB1773_563 Depth=2
	global_load_ushort v107, v[21:22], off offset:384
.LBB1773_574:                           ;   in Loop: Header=BB1773_563 Depth=2
	s_or_b64 exec, exec, s[36:37]
	v_cmp_gt_u32_e32 vcc, s71, v77
	s_waitcnt vmcnt(1)
	v_mov_b32_e32 v108, -1
	v_mov_b32_e32 v112, -1
	s_and_saveexec_b64 s[36:37], vcc
	s_cbranch_execz .LBB1773_576
; %bb.575:                              ;   in Loop: Header=BB1773_563 Depth=2
	global_load_ushort v112, v[21:22], off offset:512
.LBB1773_576:                           ;   in Loop: Header=BB1773_563 Depth=2
	s_or_b64 exec, exec, s[36:37]
	v_cmp_gt_u32_e32 vcc, s71, v78
	s_and_saveexec_b64 s[36:37], vcc
	s_cbranch_execz .LBB1773_578
; %bb.577:                              ;   in Loop: Header=BB1773_563 Depth=2
	global_load_ushort v108, v[21:22], off offset:640
.LBB1773_578:                           ;   in Loop: Header=BB1773_563 Depth=2
	s_or_b64 exec, exec, s[36:37]
	v_cmp_gt_u32_e32 vcc, s71, v79
	s_waitcnt vmcnt(0)
	v_mov_b32_e32 v24, -1
	s_and_saveexec_b64 s[36:37], vcc
	s_cbranch_execz .LBB1773_580
; %bb.579:                              ;   in Loop: Header=BB1773_563 Depth=2
	global_load_ushort v24, v[21:22], off offset:768
.LBB1773_580:                           ;   in Loop: Header=BB1773_563 Depth=2
	s_or_b64 exec, exec, s[36:37]
	s_sub_i32 s40, s80, s58
	v_cmp_gt_u32_e64 s[36:37], s71, v80
.LBB1773_581:                           ;   in Loop: Header=BB1773_563 Depth=2
	v_mov_b32_e32 v23, -1
	v_mov_b32_e32 v96, s71
	s_and_saveexec_b64 s[38:39], s[36:37]
	s_cbranch_execz .LBB1773_583
; %bb.582:                              ;   in Loop: Header=BB1773_563 Depth=2
	s_lshl_b64 s[36:37], s[58:59], 1
	v_mov_b32_e32 v22, s37
	v_add_co_u32_e32 v21, vcc, s36, v85
	v_addc_co_u32_e32 v22, vcc, v86, v22, vcc
	global_load_ushort v23, v[21:22], off offset:896
	v_mov_b32_e32 v96, s40
.LBB1773_583:                           ;   in Loop: Header=BB1773_563 Depth=2
	s_or_b64 exec, exec, s[38:39]
	s_waitcnt vmcnt(6)
	v_cmp_gt_i16_e32 vcc, 0, v4
	v_cndmask_b32_e64 v21, v65, 0, vcc
	v_xor_b32_e32 v97, v21, v4
	v_cmp_ne_u16_e32 vcc, s62, v97
	v_cndmask_b32_e32 v4, v65, v97, vcc
	v_lshrrev_b32_sdwa v4, s77, v4 dst_sel:DWORD dst_unused:UNUSED_PAD src0_sel:DWORD src1_sel:WORD_0
	v_and_b32_e32 v21, s70, v4
	v_and_b32_e32 v4, 1, v21
	v_add_co_u32_e32 v22, vcc, -1, v4
	v_addc_co_u32_e64 v98, s[36:37], 0, -1, vcc
	v_cmp_ne_u32_e32 vcc, 0, v4
	v_xor_b32_e32 v4, vcc_hi, v98
	v_and_b32_e32 v98, exec_hi, v4
	v_lshlrev_b32_e32 v4, 30, v21
	v_xor_b32_e32 v22, vcc_lo, v22
	v_cmp_gt_i64_e32 vcc, 0, v[3:4]
	v_not_b32_e32 v4, v4
	v_ashrrev_i32_e32 v4, 31, v4
	v_and_b32_e32 v22, exec_lo, v22
	v_xor_b32_e32 v101, vcc_hi, v4
	v_xor_b32_e32 v4, vcc_lo, v4
	v_and_b32_e32 v22, v22, v4
	v_lshlrev_b32_e32 v4, 29, v21
	v_cmp_gt_i64_e32 vcc, 0, v[3:4]
	v_not_b32_e32 v4, v4
	v_ashrrev_i32_e32 v4, 31, v4
	v_and_b32_e32 v98, v98, v101
	v_xor_b32_e32 v101, vcc_hi, v4
	v_xor_b32_e32 v4, vcc_lo, v4
	v_and_b32_e32 v22, v22, v4
	v_lshlrev_b32_e32 v4, 28, v21
	v_cmp_gt_i64_e32 vcc, 0, v[3:4]
	v_not_b32_e32 v4, v4
	v_ashrrev_i32_e32 v4, 31, v4
	v_and_b32_e32 v98, v98, v101
	;; [unrolled: 8-line block ×5, first 2 shown]
	v_xor_b32_e32 v101, vcc_hi, v4
	v_xor_b32_e32 v4, vcc_lo, v4
	v_and_b32_e32 v98, v98, v101
	v_and_b32_e32 v101, v22, v4
	v_lshlrev_b32_e32 v4, 24, v21
	v_cmp_gt_i64_e32 vcc, 0, v[3:4]
	v_not_b32_e32 v4, v4
	v_ashrrev_i32_e32 v4, 31, v4
	v_mul_u32_u24_e32 v100, 20, v21
	v_xor_b32_e32 v21, vcc_hi, v4
	v_xor_b32_e32 v4, vcc_lo, v4
	v_and_b32_e32 v22, v98, v21
	v_and_b32_e32 v21, v101, v4
	v_mbcnt_lo_u32_b32 v4, v21, 0
	v_mbcnt_hi_u32_b32 v98, v22, v4
	v_cmp_ne_u64_e32 vcc, 0, v[21:22]
	v_cmp_eq_u32_e64 s[36:37], 0, v98
	s_and_b64 s[38:39], vcc, s[36:37]
	v_add_u32_e32 v101, v91, v100
	ds_write2_b32 v62, v3, v3 offset1:1
	ds_write2_b32 v63, v3, v3 offset1:1
	ds_write_b32 v41, v3 offset:1056
	s_waitcnt vmcnt(0) lgkmcnt(0)
	s_barrier
	; wave barrier
	s_and_saveexec_b64 s[36:37], s[38:39]
; %bb.584:                              ;   in Loop: Header=BB1773_563 Depth=2
	v_bcnt_u32_b32 v4, v21, 0
	v_bcnt_u32_b32 v4, v22, v4
	ds_write_b32 v101, v4 offset:1040
; %bb.585:                              ;   in Loop: Header=BB1773_563 Depth=2
	s_or_b64 exec, exec, s[36:37]
	v_cmp_gt_i16_e32 vcc, 0, v99
	v_cndmask_b32_e64 v4, v65, 0, vcc
	v_xor_b32_e32 v99, v4, v99
	v_cmp_ne_u16_e32 vcc, s62, v99
	v_cndmask_b32_e32 v4, v65, v99, vcc
	v_lshrrev_b32_sdwa v4, s77, v4 dst_sel:DWORD dst_unused:UNUSED_PAD src0_sel:DWORD src1_sel:WORD_0
	v_and_b32_e32 v21, s70, v4
	v_mad_u32_u24 v4, v21, 20, v91
	; wave barrier
	ds_read_b32 v100, v4 offset:1040
	v_and_b32_e32 v4, 1, v21
	v_add_co_u32_e32 v22, vcc, -1, v4
	v_addc_co_u32_e64 v102, s[36:37], 0, -1, vcc
	v_cmp_ne_u32_e32 vcc, 0, v4
	v_xor_b32_e32 v4, vcc_hi, v102
	v_and_b32_e32 v102, exec_hi, v4
	v_lshlrev_b32_e32 v4, 30, v21
	v_xor_b32_e32 v22, vcc_lo, v22
	v_cmp_gt_i64_e32 vcc, 0, v[3:4]
	v_not_b32_e32 v4, v4
	v_ashrrev_i32_e32 v4, 31, v4
	v_and_b32_e32 v22, exec_lo, v22
	v_xor_b32_e32 v105, vcc_hi, v4
	v_xor_b32_e32 v4, vcc_lo, v4
	v_and_b32_e32 v22, v22, v4
	v_lshlrev_b32_e32 v4, 29, v21
	v_cmp_gt_i64_e32 vcc, 0, v[3:4]
	v_not_b32_e32 v4, v4
	v_ashrrev_i32_e32 v4, 31, v4
	v_and_b32_e32 v102, v102, v105
	v_xor_b32_e32 v105, vcc_hi, v4
	v_xor_b32_e32 v4, vcc_lo, v4
	v_and_b32_e32 v22, v22, v4
	v_lshlrev_b32_e32 v4, 28, v21
	v_cmp_gt_i64_e32 vcc, 0, v[3:4]
	v_not_b32_e32 v4, v4
	v_ashrrev_i32_e32 v4, 31, v4
	v_and_b32_e32 v102, v102, v105
	;; [unrolled: 8-line block ×5, first 2 shown]
	v_xor_b32_e32 v105, vcc_hi, v4
	v_xor_b32_e32 v4, vcc_lo, v4
	v_and_b32_e32 v102, v102, v105
	v_and_b32_e32 v105, v22, v4
	v_lshlrev_b32_e32 v4, 24, v21
	v_cmp_gt_i64_e32 vcc, 0, v[3:4]
	v_not_b32_e32 v4, v4
	v_ashrrev_i32_e32 v4, 31, v4
	v_mul_u32_u24_e32 v104, 20, v21
	v_xor_b32_e32 v21, vcc_hi, v4
	v_xor_b32_e32 v4, vcc_lo, v4
	v_and_b32_e32 v22, v102, v21
	v_and_b32_e32 v21, v105, v4
	v_mbcnt_lo_u32_b32 v4, v21, 0
	v_mbcnt_hi_u32_b32 v102, v22, v4
	v_cmp_ne_u64_e32 vcc, 0, v[21:22]
	v_cmp_eq_u32_e64 s[36:37], 0, v102
	s_and_b64 s[38:39], vcc, s[36:37]
	v_add_u32_e32 v105, v91, v104
	; wave barrier
	s_and_saveexec_b64 s[36:37], s[38:39]
	s_cbranch_execz .LBB1773_587
; %bb.586:                              ;   in Loop: Header=BB1773_563 Depth=2
	v_bcnt_u32_b32 v4, v21, 0
	v_bcnt_u32_b32 v4, v22, v4
	s_waitcnt lgkmcnt(0)
	v_add_u32_e32 v4, v100, v4
	ds_write_b32 v105, v4 offset:1040
.LBB1773_587:                           ;   in Loop: Header=BB1773_563 Depth=2
	s_or_b64 exec, exec, s[36:37]
	v_cmp_gt_i16_e32 vcc, 0, v103
	v_cndmask_b32_e64 v4, v65, 0, vcc
	v_xor_b32_e32 v103, v4, v103
	v_cmp_ne_u16_e32 vcc, s62, v103
	v_cndmask_b32_e32 v4, v65, v103, vcc
	v_lshrrev_b32_sdwa v4, s77, v4 dst_sel:DWORD dst_unused:UNUSED_PAD src0_sel:DWORD src1_sel:WORD_0
	v_and_b32_e32 v21, s70, v4
	v_mad_u32_u24 v4, v21, 20, v91
	; wave barrier
	ds_read_b32 v104, v4 offset:1040
	v_and_b32_e32 v4, 1, v21
	v_add_co_u32_e32 v22, vcc, -1, v4
	v_addc_co_u32_e64 v106, s[36:37], 0, -1, vcc
	v_cmp_ne_u32_e32 vcc, 0, v4
	v_xor_b32_e32 v4, vcc_hi, v106
	v_and_b32_e32 v106, exec_hi, v4
	v_lshlrev_b32_e32 v4, 30, v21
	v_xor_b32_e32 v22, vcc_lo, v22
	v_cmp_gt_i64_e32 vcc, 0, v[3:4]
	v_not_b32_e32 v4, v4
	v_ashrrev_i32_e32 v4, 31, v4
	v_and_b32_e32 v22, exec_lo, v22
	v_xor_b32_e32 v110, vcc_hi, v4
	v_xor_b32_e32 v4, vcc_lo, v4
	v_and_b32_e32 v22, v22, v4
	v_lshlrev_b32_e32 v4, 29, v21
	v_cmp_gt_i64_e32 vcc, 0, v[3:4]
	v_not_b32_e32 v4, v4
	v_ashrrev_i32_e32 v4, 31, v4
	v_and_b32_e32 v106, v106, v110
	v_xor_b32_e32 v110, vcc_hi, v4
	v_xor_b32_e32 v4, vcc_lo, v4
	v_and_b32_e32 v22, v22, v4
	v_lshlrev_b32_e32 v4, 28, v21
	v_cmp_gt_i64_e32 vcc, 0, v[3:4]
	v_not_b32_e32 v4, v4
	v_ashrrev_i32_e32 v4, 31, v4
	v_and_b32_e32 v106, v106, v110
	;; [unrolled: 8-line block ×5, first 2 shown]
	v_xor_b32_e32 v110, vcc_hi, v4
	v_xor_b32_e32 v4, vcc_lo, v4
	v_and_b32_e32 v106, v106, v110
	v_and_b32_e32 v110, v22, v4
	v_lshlrev_b32_e32 v4, 24, v21
	v_cmp_gt_i64_e32 vcc, 0, v[3:4]
	v_not_b32_e32 v4, v4
	v_ashrrev_i32_e32 v4, 31, v4
	v_mul_u32_u24_e32 v109, 20, v21
	v_xor_b32_e32 v21, vcc_hi, v4
	v_xor_b32_e32 v4, vcc_lo, v4
	v_and_b32_e32 v22, v106, v21
	v_and_b32_e32 v21, v110, v4
	v_mbcnt_lo_u32_b32 v4, v21, 0
	v_mbcnt_hi_u32_b32 v106, v22, v4
	v_cmp_ne_u64_e32 vcc, 0, v[21:22]
	v_cmp_eq_u32_e64 s[36:37], 0, v106
	s_and_b64 s[38:39], vcc, s[36:37]
	v_add_u32_e32 v110, v91, v109
	; wave barrier
	s_and_saveexec_b64 s[36:37], s[38:39]
	s_cbranch_execz .LBB1773_589
; %bb.588:                              ;   in Loop: Header=BB1773_563 Depth=2
	v_bcnt_u32_b32 v4, v21, 0
	v_bcnt_u32_b32 v4, v22, v4
	s_waitcnt lgkmcnt(0)
	v_add_u32_e32 v4, v104, v4
	ds_write_b32 v110, v4 offset:1040
.LBB1773_589:                           ;   in Loop: Header=BB1773_563 Depth=2
	s_or_b64 exec, exec, s[36:37]
	v_cmp_gt_i16_e32 vcc, 0, v107
	v_cndmask_b32_e64 v4, v65, 0, vcc
	v_xor_b32_e32 v107, v4, v107
	v_cmp_ne_u16_e32 vcc, s62, v107
	v_cndmask_b32_e32 v4, v65, v107, vcc
	v_lshrrev_b32_sdwa v4, s77, v4 dst_sel:DWORD dst_unused:UNUSED_PAD src0_sel:DWORD src1_sel:WORD_0
	v_and_b32_e32 v21, s70, v4
	v_mad_u32_u24 v4, v21, 20, v91
	; wave barrier
	ds_read_b32 v109, v4 offset:1040
	v_and_b32_e32 v4, 1, v21
	v_add_co_u32_e32 v22, vcc, -1, v4
	v_addc_co_u32_e64 v111, s[36:37], 0, -1, vcc
	v_cmp_ne_u32_e32 vcc, 0, v4
	v_xor_b32_e32 v4, vcc_hi, v111
	v_and_b32_e32 v111, exec_hi, v4
	v_lshlrev_b32_e32 v4, 30, v21
	v_xor_b32_e32 v22, vcc_lo, v22
	v_cmp_gt_i64_e32 vcc, 0, v[3:4]
	v_not_b32_e32 v4, v4
	v_ashrrev_i32_e32 v4, 31, v4
	v_and_b32_e32 v22, exec_lo, v22
	v_xor_b32_e32 v114, vcc_hi, v4
	v_xor_b32_e32 v4, vcc_lo, v4
	v_and_b32_e32 v22, v22, v4
	v_lshlrev_b32_e32 v4, 29, v21
	v_cmp_gt_i64_e32 vcc, 0, v[3:4]
	v_not_b32_e32 v4, v4
	v_ashrrev_i32_e32 v4, 31, v4
	v_and_b32_e32 v111, v111, v114
	v_xor_b32_e32 v114, vcc_hi, v4
	v_xor_b32_e32 v4, vcc_lo, v4
	v_and_b32_e32 v22, v22, v4
	v_lshlrev_b32_e32 v4, 28, v21
	v_cmp_gt_i64_e32 vcc, 0, v[3:4]
	v_not_b32_e32 v4, v4
	v_ashrrev_i32_e32 v4, 31, v4
	v_and_b32_e32 v111, v111, v114
	;; [unrolled: 8-line block ×5, first 2 shown]
	v_xor_b32_e32 v114, vcc_hi, v4
	v_xor_b32_e32 v4, vcc_lo, v4
	v_and_b32_e32 v111, v111, v114
	v_and_b32_e32 v114, v22, v4
	v_lshlrev_b32_e32 v4, 24, v21
	v_cmp_gt_i64_e32 vcc, 0, v[3:4]
	v_not_b32_e32 v4, v4
	v_ashrrev_i32_e32 v4, 31, v4
	v_mul_u32_u24_e32 v113, 20, v21
	v_xor_b32_e32 v21, vcc_hi, v4
	v_xor_b32_e32 v4, vcc_lo, v4
	v_and_b32_e32 v22, v111, v21
	v_and_b32_e32 v21, v114, v4
	v_mbcnt_lo_u32_b32 v4, v21, 0
	v_mbcnt_hi_u32_b32 v111, v22, v4
	v_cmp_ne_u64_e32 vcc, 0, v[21:22]
	v_cmp_eq_u32_e64 s[36:37], 0, v111
	s_and_b64 s[38:39], vcc, s[36:37]
	v_add_u32_e32 v114, v91, v113
	; wave barrier
	s_and_saveexec_b64 s[36:37], s[38:39]
	s_cbranch_execz .LBB1773_591
; %bb.590:                              ;   in Loop: Header=BB1773_563 Depth=2
	v_bcnt_u32_b32 v4, v21, 0
	v_bcnt_u32_b32 v4, v22, v4
	s_waitcnt lgkmcnt(0)
	v_add_u32_e32 v4, v109, v4
	ds_write_b32 v114, v4 offset:1040
.LBB1773_591:                           ;   in Loop: Header=BB1773_563 Depth=2
	s_or_b64 exec, exec, s[36:37]
	v_cmp_gt_i16_e32 vcc, 0, v112
	v_cndmask_b32_e64 v4, v65, 0, vcc
	v_xor_b32_e32 v112, v4, v112
	v_cmp_ne_u16_e32 vcc, s62, v112
	v_cndmask_b32_e32 v4, v65, v112, vcc
	v_lshrrev_b32_sdwa v4, s77, v4 dst_sel:DWORD dst_unused:UNUSED_PAD src0_sel:DWORD src1_sel:WORD_0
	v_and_b32_e32 v21, s70, v4
	v_mad_u32_u24 v4, v21, 20, v91
	; wave barrier
	ds_read_b32 v113, v4 offset:1040
	v_and_b32_e32 v4, 1, v21
	v_add_co_u32_e32 v22, vcc, -1, v4
	v_addc_co_u32_e64 v115, s[36:37], 0, -1, vcc
	v_cmp_ne_u32_e32 vcc, 0, v4
	v_xor_b32_e32 v4, vcc_hi, v115
	v_and_b32_e32 v115, exec_hi, v4
	v_lshlrev_b32_e32 v4, 30, v21
	v_xor_b32_e32 v22, vcc_lo, v22
	v_cmp_gt_i64_e32 vcc, 0, v[3:4]
	v_not_b32_e32 v4, v4
	v_ashrrev_i32_e32 v4, 31, v4
	v_and_b32_e32 v22, exec_lo, v22
	v_xor_b32_e32 v117, vcc_hi, v4
	v_xor_b32_e32 v4, vcc_lo, v4
	v_and_b32_e32 v22, v22, v4
	v_lshlrev_b32_e32 v4, 29, v21
	v_cmp_gt_i64_e32 vcc, 0, v[3:4]
	v_not_b32_e32 v4, v4
	v_ashrrev_i32_e32 v4, 31, v4
	v_and_b32_e32 v115, v115, v117
	v_xor_b32_e32 v117, vcc_hi, v4
	v_xor_b32_e32 v4, vcc_lo, v4
	v_and_b32_e32 v22, v22, v4
	v_lshlrev_b32_e32 v4, 28, v21
	v_cmp_gt_i64_e32 vcc, 0, v[3:4]
	v_not_b32_e32 v4, v4
	v_ashrrev_i32_e32 v4, 31, v4
	v_and_b32_e32 v115, v115, v117
	;; [unrolled: 8-line block ×5, first 2 shown]
	v_xor_b32_e32 v117, vcc_hi, v4
	v_xor_b32_e32 v4, vcc_lo, v4
	v_and_b32_e32 v115, v115, v117
	v_and_b32_e32 v117, v22, v4
	v_lshlrev_b32_e32 v4, 24, v21
	v_cmp_gt_i64_e32 vcc, 0, v[3:4]
	v_not_b32_e32 v4, v4
	v_ashrrev_i32_e32 v4, 31, v4
	v_mul_u32_u24_e32 v116, 20, v21
	v_xor_b32_e32 v21, vcc_hi, v4
	v_xor_b32_e32 v4, vcc_lo, v4
	v_and_b32_e32 v22, v115, v21
	v_and_b32_e32 v21, v117, v4
	v_mbcnt_lo_u32_b32 v4, v21, 0
	v_mbcnt_hi_u32_b32 v115, v22, v4
	v_cmp_ne_u64_e32 vcc, 0, v[21:22]
	v_cmp_eq_u32_e64 s[36:37], 0, v115
	s_and_b64 s[38:39], vcc, s[36:37]
	v_add_u32_e32 v118, v91, v116
	; wave barrier
	s_and_saveexec_b64 s[36:37], s[38:39]
	s_cbranch_execz .LBB1773_593
; %bb.592:                              ;   in Loop: Header=BB1773_563 Depth=2
	v_bcnt_u32_b32 v4, v21, 0
	v_bcnt_u32_b32 v4, v22, v4
	s_waitcnt lgkmcnt(0)
	v_add_u32_e32 v4, v113, v4
	ds_write_b32 v118, v4 offset:1040
.LBB1773_593:                           ;   in Loop: Header=BB1773_563 Depth=2
	s_or_b64 exec, exec, s[36:37]
	v_cmp_gt_i16_e32 vcc, 0, v108
	v_cndmask_b32_e64 v4, v65, 0, vcc
	v_xor_b32_e32 v116, v4, v108
	v_cmp_ne_u16_e32 vcc, s62, v116
	v_cndmask_b32_e32 v4, v65, v116, vcc
	v_lshrrev_b32_sdwa v4, s77, v4 dst_sel:DWORD dst_unused:UNUSED_PAD src0_sel:DWORD src1_sel:WORD_0
	v_and_b32_e32 v21, s70, v4
	v_mad_u32_u24 v4, v21, 20, v91
	; wave barrier
	ds_read_b32 v117, v4 offset:1040
	v_and_b32_e32 v4, 1, v21
	v_add_co_u32_e32 v22, vcc, -1, v4
	v_addc_co_u32_e64 v119, s[36:37], 0, -1, vcc
	v_cmp_ne_u32_e32 vcc, 0, v4
	v_xor_b32_e32 v4, vcc_hi, v119
	v_and_b32_e32 v119, exec_hi, v4
	v_lshlrev_b32_e32 v4, 30, v21
	v_xor_b32_e32 v22, vcc_lo, v22
	v_cmp_gt_i64_e32 vcc, 0, v[3:4]
	v_not_b32_e32 v4, v4
	v_ashrrev_i32_e32 v4, 31, v4
	v_and_b32_e32 v22, exec_lo, v22
	v_xor_b32_e32 v120, vcc_hi, v4
	v_xor_b32_e32 v4, vcc_lo, v4
	v_and_b32_e32 v22, v22, v4
	v_lshlrev_b32_e32 v4, 29, v21
	v_cmp_gt_i64_e32 vcc, 0, v[3:4]
	v_not_b32_e32 v4, v4
	v_ashrrev_i32_e32 v4, 31, v4
	v_and_b32_e32 v119, v119, v120
	v_xor_b32_e32 v120, vcc_hi, v4
	v_xor_b32_e32 v4, vcc_lo, v4
	v_and_b32_e32 v22, v22, v4
	v_lshlrev_b32_e32 v4, 28, v21
	v_cmp_gt_i64_e32 vcc, 0, v[3:4]
	v_not_b32_e32 v4, v4
	v_ashrrev_i32_e32 v4, 31, v4
	v_and_b32_e32 v119, v119, v120
	;; [unrolled: 8-line block ×5, first 2 shown]
	v_xor_b32_e32 v120, vcc_hi, v4
	v_xor_b32_e32 v4, vcc_lo, v4
	v_and_b32_e32 v119, v119, v120
	v_and_b32_e32 v120, v22, v4
	v_lshlrev_b32_e32 v4, 24, v21
	v_cmp_gt_i64_e32 vcc, 0, v[3:4]
	v_not_b32_e32 v4, v4
	v_ashrrev_i32_e32 v4, 31, v4
	v_mul_u32_u24_e32 v108, 20, v21
	v_xor_b32_e32 v21, vcc_hi, v4
	v_xor_b32_e32 v4, vcc_lo, v4
	v_and_b32_e32 v22, v119, v21
	v_and_b32_e32 v21, v120, v4
	v_mbcnt_lo_u32_b32 v4, v21, 0
	v_mbcnt_hi_u32_b32 v119, v22, v4
	v_cmp_ne_u64_e32 vcc, 0, v[21:22]
	v_cmp_eq_u32_e64 s[36:37], 0, v119
	s_and_b64 s[38:39], vcc, s[36:37]
	v_add_u32_e32 v108, v91, v108
	; wave barrier
	s_and_saveexec_b64 s[36:37], s[38:39]
	s_cbranch_execz .LBB1773_595
; %bb.594:                              ;   in Loop: Header=BB1773_563 Depth=2
	v_bcnt_u32_b32 v4, v21, 0
	v_bcnt_u32_b32 v4, v22, v4
	s_waitcnt lgkmcnt(0)
	v_add_u32_e32 v4, v117, v4
	ds_write_b32 v108, v4 offset:1040
.LBB1773_595:                           ;   in Loop: Header=BB1773_563 Depth=2
	s_or_b64 exec, exec, s[36:37]
	v_cmp_gt_i16_e32 vcc, 0, v24
	v_cndmask_b32_e64 v4, v65, 0, vcc
	v_xor_b32_e32 v120, v4, v24
	v_cmp_ne_u16_e32 vcc, s62, v120
	v_cndmask_b32_e32 v4, v65, v120, vcc
	v_lshrrev_b32_sdwa v4, s77, v4 dst_sel:DWORD dst_unused:UNUSED_PAD src0_sel:DWORD src1_sel:WORD_0
	v_and_b32_e32 v21, s70, v4
	v_mad_u32_u24 v4, v21, 20, v91
	; wave barrier
	ds_read_b32 v121, v4 offset:1040
	v_and_b32_e32 v4, 1, v21
	v_add_co_u32_e32 v22, vcc, -1, v4
	v_addc_co_u32_e64 v122, s[36:37], 0, -1, vcc
	v_cmp_ne_u32_e32 vcc, 0, v4
	v_xor_b32_e32 v4, vcc_hi, v122
	v_and_b32_e32 v122, exec_hi, v4
	v_lshlrev_b32_e32 v4, 30, v21
	v_xor_b32_e32 v22, vcc_lo, v22
	v_cmp_gt_i64_e32 vcc, 0, v[3:4]
	v_not_b32_e32 v4, v4
	v_ashrrev_i32_e32 v4, 31, v4
	v_and_b32_e32 v22, exec_lo, v22
	v_xor_b32_e32 v123, vcc_hi, v4
	v_xor_b32_e32 v4, vcc_lo, v4
	v_and_b32_e32 v22, v22, v4
	v_lshlrev_b32_e32 v4, 29, v21
	v_cmp_gt_i64_e32 vcc, 0, v[3:4]
	v_not_b32_e32 v4, v4
	v_ashrrev_i32_e32 v4, 31, v4
	v_and_b32_e32 v122, v122, v123
	v_xor_b32_e32 v123, vcc_hi, v4
	v_xor_b32_e32 v4, vcc_lo, v4
	v_and_b32_e32 v22, v22, v4
	v_lshlrev_b32_e32 v4, 28, v21
	v_cmp_gt_i64_e32 vcc, 0, v[3:4]
	v_not_b32_e32 v4, v4
	v_ashrrev_i32_e32 v4, 31, v4
	v_and_b32_e32 v122, v122, v123
	;; [unrolled: 8-line block ×5, first 2 shown]
	v_xor_b32_e32 v123, vcc_hi, v4
	v_xor_b32_e32 v4, vcc_lo, v4
	v_and_b32_e32 v122, v122, v123
	v_and_b32_e32 v123, v22, v4
	v_lshlrev_b32_e32 v4, 24, v21
	v_cmp_gt_i64_e32 vcc, 0, v[3:4]
	v_not_b32_e32 v4, v4
	v_ashrrev_i32_e32 v4, 31, v4
	v_mul_u32_u24_e32 v24, 20, v21
	v_xor_b32_e32 v21, vcc_hi, v4
	v_xor_b32_e32 v4, vcc_lo, v4
	v_and_b32_e32 v22, v122, v21
	v_and_b32_e32 v21, v123, v4
	v_mbcnt_lo_u32_b32 v4, v21, 0
	v_mbcnt_hi_u32_b32 v122, v22, v4
	v_cmp_ne_u64_e32 vcc, 0, v[21:22]
	v_cmp_eq_u32_e64 s[36:37], 0, v122
	s_and_b64 s[38:39], vcc, s[36:37]
	v_add_u32_e32 v125, v91, v24
	; wave barrier
	s_and_saveexec_b64 s[36:37], s[38:39]
	s_cbranch_execz .LBB1773_597
; %bb.596:                              ;   in Loop: Header=BB1773_563 Depth=2
	v_bcnt_u32_b32 v4, v21, 0
	v_bcnt_u32_b32 v4, v22, v4
	s_waitcnt lgkmcnt(0)
	v_add_u32_e32 v4, v121, v4
	ds_write_b32 v125, v4 offset:1040
.LBB1773_597:                           ;   in Loop: Header=BB1773_563 Depth=2
	s_or_b64 exec, exec, s[36:37]
	v_cmp_gt_i16_e32 vcc, 0, v23
	v_cndmask_b32_e64 v4, v65, 0, vcc
	v_xor_b32_e32 v123, v4, v23
	v_cmp_ne_u16_e32 vcc, s62, v123
	v_cndmask_b32_e32 v4, v65, v123, vcc
	v_lshrrev_b32_sdwa v4, s77, v4 dst_sel:DWORD dst_unused:UNUSED_PAD src0_sel:DWORD src1_sel:WORD_0
	v_and_b32_e32 v21, s70, v4
	v_mad_u32_u24 v4, v21, 20, v91
	; wave barrier
	ds_read_b32 v124, v4 offset:1040
	v_and_b32_e32 v4, 1, v21
	v_add_co_u32_e32 v22, vcc, -1, v4
	v_addc_co_u32_e64 v24, s[36:37], 0, -1, vcc
	v_cmp_ne_u32_e32 vcc, 0, v4
	v_xor_b32_e32 v4, vcc_hi, v24
	v_and_b32_e32 v24, exec_hi, v4
	v_lshlrev_b32_e32 v4, 30, v21
	v_xor_b32_e32 v22, vcc_lo, v22
	v_cmp_gt_i64_e32 vcc, 0, v[3:4]
	v_not_b32_e32 v4, v4
	v_ashrrev_i32_e32 v4, 31, v4
	v_and_b32_e32 v22, exec_lo, v22
	v_xor_b32_e32 v126, vcc_hi, v4
	v_xor_b32_e32 v4, vcc_lo, v4
	v_and_b32_e32 v22, v22, v4
	v_lshlrev_b32_e32 v4, 29, v21
	v_cmp_gt_i64_e32 vcc, 0, v[3:4]
	v_not_b32_e32 v4, v4
	v_ashrrev_i32_e32 v4, 31, v4
	v_and_b32_e32 v24, v24, v126
	v_xor_b32_e32 v126, vcc_hi, v4
	v_xor_b32_e32 v4, vcc_lo, v4
	v_and_b32_e32 v22, v22, v4
	v_lshlrev_b32_e32 v4, 28, v21
	v_cmp_gt_i64_e32 vcc, 0, v[3:4]
	v_not_b32_e32 v4, v4
	v_ashrrev_i32_e32 v4, 31, v4
	v_and_b32_e32 v24, v24, v126
	;; [unrolled: 8-line block ×5, first 2 shown]
	v_xor_b32_e32 v126, vcc_hi, v4
	v_xor_b32_e32 v4, vcc_lo, v4
	v_and_b32_e32 v24, v24, v126
	v_and_b32_e32 v126, v22, v4
	v_lshlrev_b32_e32 v4, 24, v21
	v_cmp_gt_i64_e32 vcc, 0, v[3:4]
	v_not_b32_e32 v4, v4
	v_ashrrev_i32_e32 v4, 31, v4
	v_mul_u32_u24_e32 v23, 20, v21
	v_xor_b32_e32 v21, vcc_hi, v4
	v_xor_b32_e32 v4, vcc_lo, v4
	v_and_b32_e32 v22, v24, v21
	v_and_b32_e32 v21, v126, v4
	v_mbcnt_lo_u32_b32 v4, v21, 0
	v_mbcnt_hi_u32_b32 v126, v22, v4
	v_cmp_ne_u64_e32 vcc, 0, v[21:22]
	v_cmp_eq_u32_e64 s[36:37], 0, v126
	s_and_b64 s[38:39], vcc, s[36:37]
	v_add_u32_e32 v4, v91, v23
	; wave barrier
	s_and_saveexec_b64 s[36:37], s[38:39]
	s_cbranch_execz .LBB1773_599
; %bb.598:                              ;   in Loop: Header=BB1773_563 Depth=2
	v_bcnt_u32_b32 v21, v21, 0
	v_bcnt_u32_b32 v21, v22, v21
	s_waitcnt lgkmcnt(0)
	v_add_u32_e32 v21, v124, v21
	ds_write_b32 v4, v21 offset:1040
.LBB1773_599:                           ;   in Loop: Header=BB1773_563 Depth=2
	s_or_b64 exec, exec, s[36:37]
	; wave barrier
	s_waitcnt lgkmcnt(0)
	s_barrier
	ds_read2_b32 v[23:24], v62 offset1:1
	ds_read2_b32 v[21:22], v63 offset1:1
	ds_read_b32 v127, v41 offset:1056
	s_waitcnt lgkmcnt(1)
	v_add3_u32 v128, v24, v23, v21
	s_waitcnt lgkmcnt(0)
	v_add3_u32 v127, v128, v22, v127
	s_nop 1
	v_mov_b32_dpp v128, v127 row_shr:1 row_mask:0xf bank_mask:0xf
	v_cndmask_b32_e64 v128, v128, 0, s[16:17]
	v_add_u32_e32 v127, v128, v127
	s_nop 1
	v_mov_b32_dpp v128, v127 row_shr:2 row_mask:0xf bank_mask:0xf
	v_cndmask_b32_e64 v128, 0, v128, s[18:19]
	v_add_u32_e32 v127, v127, v128
	s_nop 1
	v_mov_b32_dpp v128, v127 row_shr:4 row_mask:0xf bank_mask:0xf
	v_cndmask_b32_e64 v128, 0, v128, s[20:21]
	v_add_u32_e32 v127, v127, v128
	s_nop 1
	v_mov_b32_dpp v128, v127 row_shr:8 row_mask:0xf bank_mask:0xf
	v_cndmask_b32_e64 v128, 0, v128, s[22:23]
	v_add_u32_e32 v127, v127, v128
	s_nop 1
	v_mov_b32_dpp v128, v127 row_bcast:15 row_mask:0xf bank_mask:0xf
	v_cndmask_b32_e64 v128, v128, 0, s[24:25]
	v_add_u32_e32 v127, v127, v128
	s_nop 1
	v_mov_b32_dpp v128, v127 row_bcast:31 row_mask:0xf bank_mask:0xf
	v_cndmask_b32_e64 v128, 0, v128, s[26:27]
	v_add_u32_e32 v127, v127, v128
	s_and_saveexec_b64 s[36:37], s[6:7]
; %bb.600:                              ;   in Loop: Header=BB1773_563 Depth=2
	ds_write_b32 v37, v127 offset:1024
; %bb.601:                              ;   in Loop: Header=BB1773_563 Depth=2
	s_or_b64 exec, exec, s[36:37]
	s_waitcnt lgkmcnt(0)
	s_barrier
	s_and_saveexec_b64 s[36:37], s[8:9]
	s_cbranch_execz .LBB1773_603
; %bb.602:                              ;   in Loop: Header=BB1773_563 Depth=2
	ds_read_b32 v128, v42 offset:1024
	s_waitcnt lgkmcnt(0)
	s_nop 0
	v_mov_b32_dpp v129, v128 row_shr:1 row_mask:0xf bank_mask:0xf
	v_cndmask_b32_e64 v129, v129, 0, s[30:31]
	v_add_u32_e32 v128, v129, v128
	s_nop 1
	v_mov_b32_dpp v129, v128 row_shr:2 row_mask:0xf bank_mask:0xf
	v_cndmask_b32_e64 v129, 0, v129, s[34:35]
	v_add_u32_e32 v128, v128, v129
	ds_write_b32 v42, v128 offset:1024
.LBB1773_603:                           ;   in Loop: Header=BB1773_563 Depth=2
	s_or_b64 exec, exec, s[36:37]
	v_mov_b32_e32 v128, 0
	s_waitcnt lgkmcnt(0)
	s_barrier
	s_and_saveexec_b64 s[36:37], s[10:11]
; %bb.604:                              ;   in Loop: Header=BB1773_563 Depth=2
	ds_read_b32 v128, v37 offset:1020
; %bb.605:                              ;   in Loop: Header=BB1773_563 Depth=2
	s_or_b64 exec, exec, s[36:37]
	s_waitcnt lgkmcnt(0)
	v_add_u32_e32 v127, v128, v127
	ds_bpermute_b32 v127, v82, v127
	s_waitcnt lgkmcnt(0)
	v_cndmask_b32_e64 v127, v127, v128, s[28:29]
	v_cndmask_b32_e64 v127, v127, 0, s[12:13]
	v_add_u32_e32 v23, v127, v23
	v_add_u32_e32 v24, v23, v24
	;; [unrolled: 1-line block ×4, first 2 shown]
	ds_write2_b32 v62, v127, v23 offset1:1
	ds_write2_b32 v63, v24, v21 offset1:1
	ds_write_b32 v41, v22 offset:1056
	s_waitcnt lgkmcnt(0)
	s_barrier
	ds_read_b32 v21, v101 offset:1040
	ds_read_b32 v22, v105 offset:1040
	;; [unrolled: 1-line block ×9, first 2 shown]
	v_mov_b32_e32 v4, 0x800
	s_and_saveexec_b64 s[36:37], s[14:15]
; %bb.606:                              ;   in Loop: Header=BB1773_563 Depth=2
	ds_read_b32 v4, v41 offset:1060
; %bb.607:                              ;   in Loop: Header=BB1773_563 Depth=2
	s_or_b64 exec, exec, s[36:37]
	s_waitcnt lgkmcnt(0)
	s_barrier
	s_and_saveexec_b64 s[36:37], s[4:5]
	s_cbranch_execz .LBB1773_609
; %bb.608:                              ;   in Loop: Header=BB1773_563 Depth=2
	ds_read_b32 v105, v25
	s_waitcnt lgkmcnt(0)
	v_sub_u32_e32 v101, v105, v101
	ds_write_b32 v25, v101
.LBB1773_609:                           ;   in Loop: Header=BB1773_563 Depth=2
	s_or_b64 exec, exec, s[36:37]
	v_add_u32_e32 v108, v21, v98
	v_add3_u32 v105, v102, v100, v22
	v_lshlrev_b32_e32 v21, 1, v108
	v_add3_u32 v102, v106, v104, v23
	ds_write_b16 v21, v97 offset:1024
	v_lshlrev_b32_e32 v21, 1, v105
	v_add3_u32 v101, v111, v109, v24
	ds_write_b16 v21, v99 offset:1024
	;; [unrolled: 3-line block ×6, first 2 shown]
	v_lshlrev_b32_e32 v21, 1, v24
	ds_write_b16 v21, v120 offset:1024
	v_lshlrev_b32_e32 v21, 1, v23
	v_cmp_lt_u32_e32 vcc, v0, v96
	ds_write_b16 v21, v123 offset:1024
	s_waitcnt lgkmcnt(0)
	s_barrier
	s_and_saveexec_b64 s[38:39], vcc
	s_cbranch_execnz .LBB1773_646
; %bb.610:                              ;   in Loop: Header=BB1773_563 Depth=2
	s_or_b64 exec, exec, s[38:39]
	v_cmp_lt_u32_e64 s[36:37], v26, v96
	s_and_saveexec_b64 s[40:41], s[36:37]
	s_cbranch_execnz .LBB1773_647
.LBB1773_611:                           ;   in Loop: Header=BB1773_563 Depth=2
	s_or_b64 exec, exec, s[40:41]
	v_cmp_lt_u32_e64 s[38:39], v27, v96
	s_and_saveexec_b64 s[42:43], s[38:39]
	s_cbranch_execnz .LBB1773_648
.LBB1773_612:                           ;   in Loop: Header=BB1773_563 Depth=2
	s_or_b64 exec, exec, s[42:43]
	v_cmp_lt_u32_e64 s[40:41], v28, v96
	s_and_saveexec_b64 s[44:45], s[40:41]
	s_cbranch_execnz .LBB1773_649
.LBB1773_613:                           ;   in Loop: Header=BB1773_563 Depth=2
	s_or_b64 exec, exec, s[44:45]
	v_cmp_lt_u32_e64 s[42:43], v31, v96
	s_and_saveexec_b64 s[46:47], s[42:43]
	s_cbranch_execnz .LBB1773_650
.LBB1773_614:                           ;   in Loop: Header=BB1773_563 Depth=2
	s_or_b64 exec, exec, s[46:47]
	v_cmp_lt_u32_e64 s[44:45], v32, v96
	s_and_saveexec_b64 s[48:49], s[44:45]
	s_cbranch_execnz .LBB1773_651
.LBB1773_615:                           ;   in Loop: Header=BB1773_563 Depth=2
	s_or_b64 exec, exec, s[48:49]
	v_cmp_lt_u32_e64 s[46:47], v33, v96
	s_and_saveexec_b64 s[52:53], s[46:47]
	s_cbranch_execnz .LBB1773_652
.LBB1773_616:                           ;   in Loop: Header=BB1773_563 Depth=2
	s_or_b64 exec, exec, s[52:53]
	v_cmp_lt_u32_e64 s[48:49], v34, v96
	s_and_saveexec_b64 s[60:61], s[48:49]
	s_cbranch_execz .LBB1773_618
.LBB1773_617:                           ;   in Loop: Header=BB1773_563 Depth=2
	ds_read_u16 v21, v47 offset:4608
	v_mov_b32_e32 v22, v3
	v_mov_b32_e32 v99, s69
	s_waitcnt lgkmcnt(0)
	v_cmp_ne_u16_e64 s[52:53], s62, v21
	v_cndmask_b32_e64 v97, v65, v21, s[52:53]
	v_lshrrev_b32_sdwa v97, s77, v97 dst_sel:DWORD dst_unused:UNUSED_PAD src0_sel:DWORD src1_sel:WORD_0
	v_and_b32_e32 v97, s70, v97
	v_lshlrev_b32_e32 v97, 2, v97
	ds_read_b32 v97, v97
	v_cmp_gt_i16_e64 s[52:53], 0, v21
	v_cndmask_b32_e64 v103, v65, 0, s[52:53]
	v_xor_b32_e32 v103, v103, v21
	s_waitcnt lgkmcnt(0)
	v_add_u32_e32 v21, v97, v34
	v_lshlrev_b64 v[21:22], 1, v[21:22]
	v_add_co_u32_e64 v21, s[52:53], s68, v21
	v_addc_co_u32_e64 v22, s[52:53], v99, v22, s[52:53]
	global_store_short v[21:22], v103, off
.LBB1773_618:                           ;   in Loop: Header=BB1773_563 Depth=2
	s_or_b64 exec, exec, s[60:61]
	s_lshl_b64 s[52:53], s[58:59], 3
	v_mov_b32_e32 v22, s53
	v_add_co_u32_e64 v21, s[52:53], s52, v83
	v_addc_co_u32_e64 v22, s[52:53], v84, v22, s[52:53]
	v_cmp_lt_u32_e64 s[52:53], v73, v96
	s_and_saveexec_b64 s[60:61], s[52:53]
	s_xor_b64 s[52:53], exec, s[60:61]
	s_cbranch_execnz .LBB1773_653
; %bb.619:                              ;   in Loop: Header=BB1773_563 Depth=2
	s_or_b64 exec, exec, s[52:53]
	v_cmp_lt_u32_e64 s[52:53], v74, v96
	s_and_saveexec_b64 s[60:61], s[52:53]
	s_cbranch_execnz .LBB1773_654
.LBB1773_620:                           ;   in Loop: Header=BB1773_563 Depth=2
	s_or_b64 exec, exec, s[60:61]
	v_cmp_lt_u32_e64 s[52:53], v75, v96
	s_and_saveexec_b64 s[60:61], s[52:53]
	s_cbranch_execnz .LBB1773_655
.LBB1773_621:                           ;   in Loop: Header=BB1773_563 Depth=2
	s_or_b64 exec, exec, s[60:61]
	v_cmp_lt_u32_e64 s[52:53], v76, v96
	s_and_saveexec_b64 s[60:61], s[52:53]
	s_cbranch_execnz .LBB1773_656
.LBB1773_622:                           ;   in Loop: Header=BB1773_563 Depth=2
	s_or_b64 exec, exec, s[60:61]
	v_cmp_lt_u32_e64 s[52:53], v77, v96
	s_and_saveexec_b64 s[60:61], s[52:53]
	s_cbranch_execnz .LBB1773_657
.LBB1773_623:                           ;   in Loop: Header=BB1773_563 Depth=2
	s_or_b64 exec, exec, s[60:61]
	v_cmp_lt_u32_e64 s[52:53], v78, v96
	s_and_saveexec_b64 s[60:61], s[52:53]
	s_cbranch_execnz .LBB1773_658
.LBB1773_624:                           ;   in Loop: Header=BB1773_563 Depth=2
	s_or_b64 exec, exec, s[60:61]
	v_cmp_lt_u32_e64 s[52:53], v79, v96
	s_and_saveexec_b64 s[60:61], s[52:53]
	s_cbranch_execnz .LBB1773_659
.LBB1773_625:                           ;   in Loop: Header=BB1773_563 Depth=2
	s_or_b64 exec, exec, s[60:61]
	v_cmp_lt_u32_e64 s[52:53], v80, v96
	s_and_saveexec_b64 s[60:61], s[52:53]
	s_cbranch_execnz .LBB1773_660
.LBB1773_626:                           ;   in Loop: Header=BB1773_563 Depth=2
	s_or_b64 exec, exec, s[60:61]
	s_and_saveexec_b64 s[60:61], vcc
	s_cbranch_execnz .LBB1773_661
.LBB1773_627:                           ;   in Loop: Header=BB1773_563 Depth=2
	s_or_b64 exec, exec, s[60:61]
	s_and_saveexec_b64 s[60:61], s[36:37]
	s_cbranch_execnz .LBB1773_662
.LBB1773_628:                           ;   in Loop: Header=BB1773_563 Depth=2
	s_or_b64 exec, exec, s[60:61]
	s_and_saveexec_b64 s[60:61], s[38:39]
	s_cbranch_execnz .LBB1773_663
.LBB1773_629:                           ;   in Loop: Header=BB1773_563 Depth=2
	s_or_b64 exec, exec, s[60:61]
	s_and_saveexec_b64 s[60:61], s[40:41]
	s_cbranch_execnz .LBB1773_664
.LBB1773_630:                           ;   in Loop: Header=BB1773_563 Depth=2
	s_or_b64 exec, exec, s[60:61]
	s_and_saveexec_b64 s[60:61], s[42:43]
	s_cbranch_execnz .LBB1773_665
.LBB1773_631:                           ;   in Loop: Header=BB1773_563 Depth=2
	s_or_b64 exec, exec, s[60:61]
	s_and_saveexec_b64 s[60:61], s[44:45]
	s_cbranch_execnz .LBB1773_666
.LBB1773_632:                           ;   in Loop: Header=BB1773_563 Depth=2
	s_or_b64 exec, exec, s[60:61]
	s_and_saveexec_b64 s[60:61], s[46:47]
	s_cbranch_execnz .LBB1773_667
.LBB1773_633:                           ;   in Loop: Header=BB1773_563 Depth=2
	s_or_b64 exec, exec, s[60:61]
	s_and_saveexec_b64 s[60:61], s[48:49]
	s_cbranch_execz .LBB1773_635
.LBB1773_634:                           ;   in Loop: Header=BB1773_563 Depth=2
	ds_read_u16 v21, v47 offset:4608
	s_waitcnt lgkmcnt(0)
	v_cmp_ne_u16_e64 s[52:53], s62, v21
	v_cndmask_b32_e64 v21, v65, v21, s[52:53]
	v_lshrrev_b32_sdwa v21, s77, v21 dst_sel:DWORD dst_unused:UNUSED_PAD src0_sel:DWORD src1_sel:WORD_0
	v_and_b32_e32 v87, s70, v21
.LBB1773_635:                           ;   in Loop: Header=BB1773_563 Depth=2
	s_or_b64 exec, exec, s[60:61]
	v_lshlrev_b32_e32 v21, 3, v108
	s_waitcnt vmcnt(0)
	s_barrier
	ds_write_b64 v21, v[19:20] offset:1024
	v_lshlrev_b32_e32 v21, 3, v105
	ds_write_b64 v21, v[17:18] offset:1024
	v_lshlrev_b32_e32 v21, 3, v102
	;; [unrolled: 2-line block ×7, first 2 shown]
	ds_write_b64 v21, v[5:6] offset:1024
	v_add_u32_e32 v21, v47, v48
	s_waitcnt lgkmcnt(0)
	s_barrier
	s_and_saveexec_b64 s[52:53], vcc
	s_cbranch_execnz .LBB1773_668
; %bb.636:                              ;   in Loop: Header=BB1773_563 Depth=2
	s_or_b64 exec, exec, s[52:53]
	s_and_saveexec_b64 s[52:53], s[36:37]
	s_cbranch_execnz .LBB1773_669
.LBB1773_637:                           ;   in Loop: Header=BB1773_563 Depth=2
	s_or_b64 exec, exec, s[52:53]
	s_and_saveexec_b64 s[36:37], s[38:39]
	s_cbranch_execnz .LBB1773_670
.LBB1773_638:                           ;   in Loop: Header=BB1773_563 Depth=2
	s_or_b64 exec, exec, s[36:37]
	s_and_saveexec_b64 s[36:37], s[40:41]
	s_cbranch_execnz .LBB1773_671
.LBB1773_639:                           ;   in Loop: Header=BB1773_563 Depth=2
	s_or_b64 exec, exec, s[36:37]
	s_and_saveexec_b64 s[36:37], s[42:43]
	s_cbranch_execnz .LBB1773_672
.LBB1773_640:                           ;   in Loop: Header=BB1773_563 Depth=2
	s_or_b64 exec, exec, s[36:37]
	s_and_saveexec_b64 s[36:37], s[44:45]
	s_cbranch_execnz .LBB1773_673
.LBB1773_641:                           ;   in Loop: Header=BB1773_563 Depth=2
	s_or_b64 exec, exec, s[36:37]
	s_and_saveexec_b64 s[36:37], s[46:47]
	s_cbranch_execnz .LBB1773_674
.LBB1773_642:                           ;   in Loop: Header=BB1773_563 Depth=2
	s_or_b64 exec, exec, s[36:37]
	s_and_saveexec_b64 s[36:37], s[48:49]
	s_cbranch_execz .LBB1773_644
.LBB1773_643:                           ;   in Loop: Header=BB1773_563 Depth=2
	v_lshlrev_b32_e32 v22, 2, v87
	ds_read_b32 v23, v22
	ds_read_b64 v[21:22], v21 offset:15360
	v_mov_b32_e32 v24, v3
	v_mov_b32_e32 v96, s75
	s_waitcnt lgkmcnt(1)
	v_add_u32_e32 v23, v23, v34
	v_lshlrev_b64 v[23:24], 3, v[23:24]
	v_add_co_u32_e32 v23, vcc, s74, v23
	v_addc_co_u32_e32 v24, vcc, v96, v24, vcc
	s_waitcnt lgkmcnt(0)
	global_store_dwordx2 v[23:24], v[21:22], off
.LBB1773_644:                           ;   in Loop: Header=BB1773_563 Depth=2
	s_or_b64 exec, exec, s[36:37]
	s_waitcnt vmcnt(0)
	s_barrier
	s_and_saveexec_b64 s[36:37], s[4:5]
	s_cbranch_execz .LBB1773_562
; %bb.645:                              ;   in Loop: Header=BB1773_563 Depth=2
	ds_read_b32 v21, v25
	s_waitcnt lgkmcnt(0)
	v_add_u32_e32 v4, v21, v4
	ds_write_b32 v25, v4
	s_branch .LBB1773_562
.LBB1773_646:                           ;   in Loop: Header=BB1773_563 Depth=2
	ds_read_u16 v21, v47 offset:1024
	v_mov_b32_e32 v22, v3
	v_mov_b32_e32 v99, s69
	s_waitcnt lgkmcnt(0)
	v_cmp_ne_u16_e64 s[36:37], s62, v21
	v_cndmask_b32_e64 v97, v65, v21, s[36:37]
	v_lshrrev_b32_sdwa v97, s77, v97 dst_sel:DWORD dst_unused:UNUSED_PAD src0_sel:DWORD src1_sel:WORD_0
	v_and_b32_e32 v97, s70, v97
	v_lshlrev_b32_e32 v97, 2, v97
	ds_read_b32 v97, v97
	v_cmp_gt_i16_e64 s[36:37], 0, v21
	v_cndmask_b32_e64 v103, v65, 0, s[36:37]
	v_xor_b32_e32 v103, v103, v21
	s_waitcnt lgkmcnt(0)
	v_add_u32_e32 v21, v97, v0
	v_lshlrev_b64 v[21:22], 1, v[21:22]
	v_add_co_u32_e64 v21, s[36:37], s68, v21
	v_addc_co_u32_e64 v22, s[36:37], v99, v22, s[36:37]
	global_store_short v[21:22], v103, off
	s_or_b64 exec, exec, s[38:39]
	v_cmp_lt_u32_e64 s[36:37], v26, v96
	s_and_saveexec_b64 s[40:41], s[36:37]
	s_cbranch_execz .LBB1773_611
.LBB1773_647:                           ;   in Loop: Header=BB1773_563 Depth=2
	ds_read_u16 v21, v47 offset:1536
	v_mov_b32_e32 v22, v3
	v_mov_b32_e32 v99, s69
	s_waitcnt lgkmcnt(0)
	v_cmp_ne_u16_e64 s[38:39], s62, v21
	v_cndmask_b32_e64 v97, v65, v21, s[38:39]
	v_lshrrev_b32_sdwa v97, s77, v97 dst_sel:DWORD dst_unused:UNUSED_PAD src0_sel:DWORD src1_sel:WORD_0
	v_and_b32_e32 v97, s70, v97
	v_lshlrev_b32_e32 v97, 2, v97
	ds_read_b32 v97, v97
	v_cmp_gt_i16_e64 s[38:39], 0, v21
	v_cndmask_b32_e64 v103, v65, 0, s[38:39]
	v_xor_b32_e32 v103, v103, v21
	s_waitcnt lgkmcnt(0)
	v_add_u32_e32 v21, v97, v26
	v_lshlrev_b64 v[21:22], 1, v[21:22]
	v_add_co_u32_e64 v21, s[38:39], s68, v21
	v_addc_co_u32_e64 v22, s[38:39], v99, v22, s[38:39]
	global_store_short v[21:22], v103, off
	s_or_b64 exec, exec, s[40:41]
	v_cmp_lt_u32_e64 s[38:39], v27, v96
	s_and_saveexec_b64 s[42:43], s[38:39]
	s_cbranch_execz .LBB1773_612
.LBB1773_648:                           ;   in Loop: Header=BB1773_563 Depth=2
	ds_read_u16 v21, v47 offset:2048
	v_mov_b32_e32 v22, v3
	v_mov_b32_e32 v99, s69
	s_waitcnt lgkmcnt(0)
	v_cmp_ne_u16_e64 s[40:41], s62, v21
	v_cndmask_b32_e64 v97, v65, v21, s[40:41]
	v_lshrrev_b32_sdwa v97, s77, v97 dst_sel:DWORD dst_unused:UNUSED_PAD src0_sel:DWORD src1_sel:WORD_0
	v_and_b32_e32 v97, s70, v97
	v_lshlrev_b32_e32 v97, 2, v97
	ds_read_b32 v97, v97
	v_cmp_gt_i16_e64 s[40:41], 0, v21
	v_cndmask_b32_e64 v103, v65, 0, s[40:41]
	v_xor_b32_e32 v103, v103, v21
	s_waitcnt lgkmcnt(0)
	v_add_u32_e32 v21, v97, v27
	v_lshlrev_b64 v[21:22], 1, v[21:22]
	v_add_co_u32_e64 v21, s[40:41], s68, v21
	v_addc_co_u32_e64 v22, s[40:41], v99, v22, s[40:41]
	global_store_short v[21:22], v103, off
	s_or_b64 exec, exec, s[42:43]
	v_cmp_lt_u32_e64 s[40:41], v28, v96
	s_and_saveexec_b64 s[44:45], s[40:41]
	s_cbranch_execz .LBB1773_613
.LBB1773_649:                           ;   in Loop: Header=BB1773_563 Depth=2
	ds_read_u16 v21, v47 offset:2560
	v_mov_b32_e32 v22, v3
	v_mov_b32_e32 v99, s69
	s_waitcnt lgkmcnt(0)
	v_cmp_ne_u16_e64 s[42:43], s62, v21
	v_cndmask_b32_e64 v97, v65, v21, s[42:43]
	v_lshrrev_b32_sdwa v97, s77, v97 dst_sel:DWORD dst_unused:UNUSED_PAD src0_sel:DWORD src1_sel:WORD_0
	v_and_b32_e32 v97, s70, v97
	v_lshlrev_b32_e32 v97, 2, v97
	ds_read_b32 v97, v97
	v_cmp_gt_i16_e64 s[42:43], 0, v21
	v_cndmask_b32_e64 v103, v65, 0, s[42:43]
	v_xor_b32_e32 v103, v103, v21
	s_waitcnt lgkmcnt(0)
	v_add_u32_e32 v21, v97, v28
	v_lshlrev_b64 v[21:22], 1, v[21:22]
	v_add_co_u32_e64 v21, s[42:43], s68, v21
	v_addc_co_u32_e64 v22, s[42:43], v99, v22, s[42:43]
	global_store_short v[21:22], v103, off
	s_or_b64 exec, exec, s[44:45]
	v_cmp_lt_u32_e64 s[42:43], v31, v96
	s_and_saveexec_b64 s[46:47], s[42:43]
	s_cbranch_execz .LBB1773_614
.LBB1773_650:                           ;   in Loop: Header=BB1773_563 Depth=2
	ds_read_u16 v21, v47 offset:3072
	v_mov_b32_e32 v22, v3
	v_mov_b32_e32 v99, s69
	s_waitcnt lgkmcnt(0)
	v_cmp_ne_u16_e64 s[44:45], s62, v21
	v_cndmask_b32_e64 v97, v65, v21, s[44:45]
	v_lshrrev_b32_sdwa v97, s77, v97 dst_sel:DWORD dst_unused:UNUSED_PAD src0_sel:DWORD src1_sel:WORD_0
	v_and_b32_e32 v97, s70, v97
	v_lshlrev_b32_e32 v97, 2, v97
	ds_read_b32 v97, v97
	v_cmp_gt_i16_e64 s[44:45], 0, v21
	v_cndmask_b32_e64 v103, v65, 0, s[44:45]
	v_xor_b32_e32 v103, v103, v21
	s_waitcnt lgkmcnt(0)
	v_add_u32_e32 v21, v97, v31
	v_lshlrev_b64 v[21:22], 1, v[21:22]
	v_add_co_u32_e64 v21, s[44:45], s68, v21
	v_addc_co_u32_e64 v22, s[44:45], v99, v22, s[44:45]
	global_store_short v[21:22], v103, off
	s_or_b64 exec, exec, s[46:47]
	v_cmp_lt_u32_e64 s[44:45], v32, v96
	s_and_saveexec_b64 s[48:49], s[44:45]
	s_cbranch_execz .LBB1773_615
.LBB1773_651:                           ;   in Loop: Header=BB1773_563 Depth=2
	ds_read_u16 v21, v47 offset:3584
	v_mov_b32_e32 v22, v3
	v_mov_b32_e32 v99, s69
	s_waitcnt lgkmcnt(0)
	v_cmp_ne_u16_e64 s[46:47], s62, v21
	v_cndmask_b32_e64 v97, v65, v21, s[46:47]
	v_lshrrev_b32_sdwa v97, s77, v97 dst_sel:DWORD dst_unused:UNUSED_PAD src0_sel:DWORD src1_sel:WORD_0
	v_and_b32_e32 v97, s70, v97
	v_lshlrev_b32_e32 v97, 2, v97
	ds_read_b32 v97, v97
	v_cmp_gt_i16_e64 s[46:47], 0, v21
	v_cndmask_b32_e64 v103, v65, 0, s[46:47]
	v_xor_b32_e32 v103, v103, v21
	s_waitcnt lgkmcnt(0)
	v_add_u32_e32 v21, v97, v32
	v_lshlrev_b64 v[21:22], 1, v[21:22]
	v_add_co_u32_e64 v21, s[46:47], s68, v21
	v_addc_co_u32_e64 v22, s[46:47], v99, v22, s[46:47]
	global_store_short v[21:22], v103, off
	s_or_b64 exec, exec, s[48:49]
	v_cmp_lt_u32_e64 s[46:47], v33, v96
	s_and_saveexec_b64 s[52:53], s[46:47]
	s_cbranch_execz .LBB1773_616
.LBB1773_652:                           ;   in Loop: Header=BB1773_563 Depth=2
	ds_read_u16 v21, v47 offset:4096
	v_mov_b32_e32 v22, v3
	v_mov_b32_e32 v99, s69
	s_waitcnt lgkmcnt(0)
	v_cmp_ne_u16_e64 s[48:49], s62, v21
	v_cndmask_b32_e64 v97, v65, v21, s[48:49]
	v_lshrrev_b32_sdwa v97, s77, v97 dst_sel:DWORD dst_unused:UNUSED_PAD src0_sel:DWORD src1_sel:WORD_0
	v_and_b32_e32 v97, s70, v97
	v_lshlrev_b32_e32 v97, 2, v97
	ds_read_b32 v97, v97
	v_cmp_gt_i16_e64 s[48:49], 0, v21
	v_cndmask_b32_e64 v103, v65, 0, s[48:49]
	v_xor_b32_e32 v103, v103, v21
	s_waitcnt lgkmcnt(0)
	v_add_u32_e32 v21, v97, v33
	v_lshlrev_b64 v[21:22], 1, v[21:22]
	v_add_co_u32_e64 v21, s[48:49], s68, v21
	v_addc_co_u32_e64 v22, s[48:49], v99, v22, s[48:49]
	global_store_short v[21:22], v103, off
	s_or_b64 exec, exec, s[52:53]
	v_cmp_lt_u32_e64 s[48:49], v34, v96
	s_and_saveexec_b64 s[60:61], s[48:49]
	s_cbranch_execnz .LBB1773_617
	s_branch .LBB1773_618
.LBB1773_653:                           ;   in Loop: Header=BB1773_563 Depth=2
	global_load_dwordx2 v[19:20], v[21:22], off
	s_or_b64 exec, exec, s[52:53]
	v_cmp_lt_u32_e64 s[52:53], v74, v96
	s_and_saveexec_b64 s[60:61], s[52:53]
	s_cbranch_execz .LBB1773_620
.LBB1773_654:                           ;   in Loop: Header=BB1773_563 Depth=2
	global_load_dwordx2 v[17:18], v[21:22], off offset:512
	s_or_b64 exec, exec, s[60:61]
	v_cmp_lt_u32_e64 s[52:53], v75, v96
	s_and_saveexec_b64 s[60:61], s[52:53]
	s_cbranch_execz .LBB1773_621
.LBB1773_655:                           ;   in Loop: Header=BB1773_563 Depth=2
	global_load_dwordx2 v[15:16], v[21:22], off offset:1024
	s_or_b64 exec, exec, s[60:61]
	v_cmp_lt_u32_e64 s[52:53], v76, v96
	s_and_saveexec_b64 s[60:61], s[52:53]
	s_cbranch_execz .LBB1773_622
.LBB1773_656:                           ;   in Loop: Header=BB1773_563 Depth=2
	global_load_dwordx2 v[13:14], v[21:22], off offset:1536
	s_or_b64 exec, exec, s[60:61]
	v_cmp_lt_u32_e64 s[52:53], v77, v96
	s_and_saveexec_b64 s[60:61], s[52:53]
	s_cbranch_execz .LBB1773_623
.LBB1773_657:                           ;   in Loop: Header=BB1773_563 Depth=2
	global_load_dwordx2 v[11:12], v[21:22], off offset:2048
	s_or_b64 exec, exec, s[60:61]
	v_cmp_lt_u32_e64 s[52:53], v78, v96
	s_and_saveexec_b64 s[60:61], s[52:53]
	s_cbranch_execz .LBB1773_624
.LBB1773_658:                           ;   in Loop: Header=BB1773_563 Depth=2
	global_load_dwordx2 v[9:10], v[21:22], off offset:2560
	s_or_b64 exec, exec, s[60:61]
	v_cmp_lt_u32_e64 s[52:53], v79, v96
	s_and_saveexec_b64 s[60:61], s[52:53]
	s_cbranch_execz .LBB1773_625
.LBB1773_659:                           ;   in Loop: Header=BB1773_563 Depth=2
	global_load_dwordx2 v[7:8], v[21:22], off offset:3072
	s_or_b64 exec, exec, s[60:61]
	v_cmp_lt_u32_e64 s[52:53], v80, v96
	s_and_saveexec_b64 s[60:61], s[52:53]
	s_cbranch_execz .LBB1773_626
.LBB1773_660:                           ;   in Loop: Header=BB1773_563 Depth=2
	global_load_dwordx2 v[5:6], v[21:22], off offset:3584
	s_or_b64 exec, exec, s[60:61]
	s_and_saveexec_b64 s[60:61], vcc
	s_cbranch_execz .LBB1773_627
.LBB1773_661:                           ;   in Loop: Header=BB1773_563 Depth=2
	ds_read_u16 v21, v47 offset:1024
	s_waitcnt lgkmcnt(0)
	v_cmp_ne_u16_e64 s[52:53], s62, v21
	v_cndmask_b32_e64 v21, v65, v21, s[52:53]
	v_lshrrev_b32_sdwa v21, s77, v21 dst_sel:DWORD dst_unused:UNUSED_PAD src0_sel:DWORD src1_sel:WORD_0
	v_and_b32_e32 v95, s70, v21
	s_or_b64 exec, exec, s[60:61]
	s_and_saveexec_b64 s[60:61], s[36:37]
	s_cbranch_execz .LBB1773_628
.LBB1773_662:                           ;   in Loop: Header=BB1773_563 Depth=2
	ds_read_u16 v21, v47 offset:1536
	s_waitcnt lgkmcnt(0)
	v_cmp_ne_u16_e64 s[52:53], s62, v21
	v_cndmask_b32_e64 v21, v65, v21, s[52:53]
	v_lshrrev_b32_sdwa v21, s77, v21 dst_sel:DWORD dst_unused:UNUSED_PAD src0_sel:DWORD src1_sel:WORD_0
	v_and_b32_e32 v94, s70, v21
	s_or_b64 exec, exec, s[60:61]
	s_and_saveexec_b64 s[60:61], s[38:39]
	s_cbranch_execz .LBB1773_629
.LBB1773_663:                           ;   in Loop: Header=BB1773_563 Depth=2
	ds_read_u16 v21, v47 offset:2048
	s_waitcnt lgkmcnt(0)
	v_cmp_ne_u16_e64 s[52:53], s62, v21
	v_cndmask_b32_e64 v21, v65, v21, s[52:53]
	v_lshrrev_b32_sdwa v21, s77, v21 dst_sel:DWORD dst_unused:UNUSED_PAD src0_sel:DWORD src1_sel:WORD_0
	v_and_b32_e32 v93, s70, v21
	s_or_b64 exec, exec, s[60:61]
	s_and_saveexec_b64 s[60:61], s[40:41]
	s_cbranch_execz .LBB1773_630
.LBB1773_664:                           ;   in Loop: Header=BB1773_563 Depth=2
	ds_read_u16 v21, v47 offset:2560
	s_waitcnt lgkmcnt(0)
	v_cmp_ne_u16_e64 s[52:53], s62, v21
	v_cndmask_b32_e64 v21, v65, v21, s[52:53]
	v_lshrrev_b32_sdwa v21, s77, v21 dst_sel:DWORD dst_unused:UNUSED_PAD src0_sel:DWORD src1_sel:WORD_0
	v_and_b32_e32 v92, s70, v21
	s_or_b64 exec, exec, s[60:61]
	s_and_saveexec_b64 s[60:61], s[42:43]
	s_cbranch_execz .LBB1773_631
.LBB1773_665:                           ;   in Loop: Header=BB1773_563 Depth=2
	ds_read_u16 v21, v47 offset:3072
	s_waitcnt lgkmcnt(0)
	v_cmp_ne_u16_e64 s[52:53], s62, v21
	v_cndmask_b32_e64 v21, v65, v21, s[52:53]
	v_lshrrev_b32_sdwa v21, s77, v21 dst_sel:DWORD dst_unused:UNUSED_PAD src0_sel:DWORD src1_sel:WORD_0
	v_and_b32_e32 v90, s70, v21
	s_or_b64 exec, exec, s[60:61]
	s_and_saveexec_b64 s[60:61], s[44:45]
	s_cbranch_execz .LBB1773_632
.LBB1773_666:                           ;   in Loop: Header=BB1773_563 Depth=2
	ds_read_u16 v21, v47 offset:3584
	s_waitcnt lgkmcnt(0)
	v_cmp_ne_u16_e64 s[52:53], s62, v21
	v_cndmask_b32_e64 v21, v65, v21, s[52:53]
	v_lshrrev_b32_sdwa v21, s77, v21 dst_sel:DWORD dst_unused:UNUSED_PAD src0_sel:DWORD src1_sel:WORD_0
	v_and_b32_e32 v89, s70, v21
	s_or_b64 exec, exec, s[60:61]
	s_and_saveexec_b64 s[60:61], s[46:47]
	s_cbranch_execz .LBB1773_633
.LBB1773_667:                           ;   in Loop: Header=BB1773_563 Depth=2
	ds_read_u16 v21, v47 offset:4096
	s_waitcnt lgkmcnt(0)
	v_cmp_ne_u16_e64 s[52:53], s62, v21
	v_cndmask_b32_e64 v21, v65, v21, s[52:53]
	v_lshrrev_b32_sdwa v21, s77, v21 dst_sel:DWORD dst_unused:UNUSED_PAD src0_sel:DWORD src1_sel:WORD_0
	v_and_b32_e32 v88, s70, v21
	s_or_b64 exec, exec, s[60:61]
	s_and_saveexec_b64 s[60:61], s[48:49]
	s_cbranch_execnz .LBB1773_634
	s_branch .LBB1773_635
.LBB1773_668:                           ;   in Loop: Header=BB1773_563 Depth=2
	v_lshlrev_b32_e32 v22, 2, v95
	ds_read_b32 v24, v22
	ds_read_b64 v[22:23], v21 offset:1024
	v_mov_b32_e32 v97, v3
	v_mov_b32_e32 v98, s75
	s_waitcnt lgkmcnt(1)
	v_add_u32_e32 v96, v24, v0
	v_lshlrev_b64 v[96:97], 3, v[96:97]
	v_add_co_u32_e32 v96, vcc, s74, v96
	v_addc_co_u32_e32 v97, vcc, v98, v97, vcc
	s_waitcnt lgkmcnt(0)
	global_store_dwordx2 v[96:97], v[22:23], off
	s_or_b64 exec, exec, s[52:53]
	s_and_saveexec_b64 s[52:53], s[36:37]
	s_cbranch_execz .LBB1773_637
.LBB1773_669:                           ;   in Loop: Header=BB1773_563 Depth=2
	v_lshlrev_b32_e32 v22, 2, v94
	ds_read_b32 v24, v22
	ds_read_b64 v[22:23], v21 offset:3072
	v_mov_b32_e32 v97, v3
	v_mov_b32_e32 v98, s75
	s_waitcnt lgkmcnt(1)
	v_add_u32_e32 v96, v24, v26
	v_lshlrev_b64 v[96:97], 3, v[96:97]
	v_add_co_u32_e32 v96, vcc, s74, v96
	v_addc_co_u32_e32 v97, vcc, v98, v97, vcc
	s_waitcnt lgkmcnt(0)
	global_store_dwordx2 v[96:97], v[22:23], off
	s_or_b64 exec, exec, s[52:53]
	s_and_saveexec_b64 s[36:37], s[38:39]
	s_cbranch_execz .LBB1773_638
.LBB1773_670:                           ;   in Loop: Header=BB1773_563 Depth=2
	v_lshlrev_b32_e32 v22, 2, v93
	ds_read_b32 v24, v22
	ds_read_b64 v[22:23], v21 offset:5120
	v_mov_b32_e32 v97, v3
	v_mov_b32_e32 v98, s75
	s_waitcnt lgkmcnt(1)
	v_add_u32_e32 v96, v24, v27
	v_lshlrev_b64 v[96:97], 3, v[96:97]
	v_add_co_u32_e32 v96, vcc, s74, v96
	v_addc_co_u32_e32 v97, vcc, v98, v97, vcc
	s_waitcnt lgkmcnt(0)
	global_store_dwordx2 v[96:97], v[22:23], off
	s_or_b64 exec, exec, s[36:37]
	s_and_saveexec_b64 s[36:37], s[40:41]
	s_cbranch_execz .LBB1773_639
.LBB1773_671:                           ;   in Loop: Header=BB1773_563 Depth=2
	v_lshlrev_b32_e32 v22, 2, v92
	ds_read_b32 v24, v22
	ds_read_b64 v[22:23], v21 offset:7168
	v_mov_b32_e32 v97, v3
	v_mov_b32_e32 v98, s75
	s_waitcnt lgkmcnt(1)
	v_add_u32_e32 v96, v24, v28
	v_lshlrev_b64 v[96:97], 3, v[96:97]
	v_add_co_u32_e32 v96, vcc, s74, v96
	v_addc_co_u32_e32 v97, vcc, v98, v97, vcc
	s_waitcnt lgkmcnt(0)
	global_store_dwordx2 v[96:97], v[22:23], off
	s_or_b64 exec, exec, s[36:37]
	s_and_saveexec_b64 s[36:37], s[42:43]
	s_cbranch_execz .LBB1773_640
.LBB1773_672:                           ;   in Loop: Header=BB1773_563 Depth=2
	v_lshlrev_b32_e32 v22, 2, v90
	ds_read_b32 v24, v22
	ds_read_b64 v[22:23], v21 offset:9216
	v_mov_b32_e32 v97, v3
	v_mov_b32_e32 v98, s75
	s_waitcnt lgkmcnt(1)
	v_add_u32_e32 v96, v24, v31
	v_lshlrev_b64 v[96:97], 3, v[96:97]
	v_add_co_u32_e32 v96, vcc, s74, v96
	v_addc_co_u32_e32 v97, vcc, v98, v97, vcc
	s_waitcnt lgkmcnt(0)
	global_store_dwordx2 v[96:97], v[22:23], off
	s_or_b64 exec, exec, s[36:37]
	s_and_saveexec_b64 s[36:37], s[44:45]
	s_cbranch_execz .LBB1773_641
.LBB1773_673:                           ;   in Loop: Header=BB1773_563 Depth=2
	v_lshlrev_b32_e32 v22, 2, v89
	ds_read_b32 v24, v22
	ds_read_b64 v[22:23], v21 offset:11264
	v_mov_b32_e32 v97, v3
	v_mov_b32_e32 v98, s75
	s_waitcnt lgkmcnt(1)
	v_add_u32_e32 v96, v24, v32
	v_lshlrev_b64 v[96:97], 3, v[96:97]
	v_add_co_u32_e32 v96, vcc, s74, v96
	v_addc_co_u32_e32 v97, vcc, v98, v97, vcc
	s_waitcnt lgkmcnt(0)
	global_store_dwordx2 v[96:97], v[22:23], off
	s_or_b64 exec, exec, s[36:37]
	s_and_saveexec_b64 s[36:37], s[46:47]
	s_cbranch_execz .LBB1773_642
.LBB1773_674:                           ;   in Loop: Header=BB1773_563 Depth=2
	v_lshlrev_b32_e32 v22, 2, v88
	ds_read_b32 v24, v22
	ds_read_b64 v[22:23], v21 offset:13312
	v_mov_b32_e32 v97, v3
	v_mov_b32_e32 v98, s75
	s_waitcnt lgkmcnt(1)
	v_add_u32_e32 v96, v24, v33
	v_lshlrev_b64 v[96:97], 3, v[96:97]
	v_add_co_u32_e32 v96, vcc, s74, v96
	v_addc_co_u32_e32 v97, vcc, v98, v97, vcc
	s_waitcnt lgkmcnt(0)
	global_store_dwordx2 v[96:97], v[22:23], off
	s_or_b64 exec, exec, s[36:37]
	s_and_saveexec_b64 s[36:37], s[48:49]
	s_cbranch_execnz .LBB1773_643
	s_branch .LBB1773_644
.LBB1773_675:
	s_endpgm
	.section	.rodata,"a",@progbits
	.p2align	6, 0x0
	.amdhsa_kernel _ZN7rocprim17ROCPRIM_400000_NS6detail17trampoline_kernelINS0_14default_configENS1_36segmented_radix_sort_config_selectorI6__halflEEZNS1_25segmented_radix_sort_implIS3_Lb1EPKS5_PS5_PKlPlN2at6native12_GLOBAL__N_18offset_tEEE10hipError_tPvRmT1_PNSt15iterator_traitsISL_E10value_typeET2_T3_PNSM_ISR_E10value_typeET4_jRbjT5_SX_jjP12ihipStream_tbEUlT_E2_NS1_11comp_targetILNS1_3genE2ELNS1_11target_archE906ELNS1_3gpuE6ELNS1_3repE0EEENS1_30default_config_static_selectorELNS0_4arch9wavefront6targetE1EEEvSL_
		.amdhsa_group_segment_fixed_size 17424
		.amdhsa_private_segment_fixed_size 0
		.amdhsa_kernarg_size 336
		.amdhsa_user_sgpr_count 6
		.amdhsa_user_sgpr_private_segment_buffer 1
		.amdhsa_user_sgpr_dispatch_ptr 0
		.amdhsa_user_sgpr_queue_ptr 0
		.amdhsa_user_sgpr_kernarg_segment_ptr 1
		.amdhsa_user_sgpr_dispatch_id 0
		.amdhsa_user_sgpr_flat_scratch_init 0
		.amdhsa_user_sgpr_private_segment_size 0
		.amdhsa_uses_dynamic_stack 0
		.amdhsa_system_sgpr_private_segment_wavefront_offset 0
		.amdhsa_system_sgpr_workgroup_id_x 1
		.amdhsa_system_sgpr_workgroup_id_y 1
		.amdhsa_system_sgpr_workgroup_id_z 0
		.amdhsa_system_sgpr_workgroup_info 0
		.amdhsa_system_vgpr_workitem_id 2
		.amdhsa_next_free_vgpr 195
		.amdhsa_next_free_sgpr 98
		.amdhsa_reserve_vcc 1
		.amdhsa_reserve_flat_scratch 0
		.amdhsa_float_round_mode_32 0
		.amdhsa_float_round_mode_16_64 0
		.amdhsa_float_denorm_mode_32 3
		.amdhsa_float_denorm_mode_16_64 3
		.amdhsa_dx10_clamp 1
		.amdhsa_ieee_mode 1
		.amdhsa_fp16_overflow 0
		.amdhsa_exception_fp_ieee_invalid_op 0
		.amdhsa_exception_fp_denorm_src 0
		.amdhsa_exception_fp_ieee_div_zero 0
		.amdhsa_exception_fp_ieee_overflow 0
		.amdhsa_exception_fp_ieee_underflow 0
		.amdhsa_exception_fp_ieee_inexact 0
		.amdhsa_exception_int_div_zero 0
	.end_amdhsa_kernel
	.section	.text._ZN7rocprim17ROCPRIM_400000_NS6detail17trampoline_kernelINS0_14default_configENS1_36segmented_radix_sort_config_selectorI6__halflEEZNS1_25segmented_radix_sort_implIS3_Lb1EPKS5_PS5_PKlPlN2at6native12_GLOBAL__N_18offset_tEEE10hipError_tPvRmT1_PNSt15iterator_traitsISL_E10value_typeET2_T3_PNSM_ISR_E10value_typeET4_jRbjT5_SX_jjP12ihipStream_tbEUlT_E2_NS1_11comp_targetILNS1_3genE2ELNS1_11target_archE906ELNS1_3gpuE6ELNS1_3repE0EEENS1_30default_config_static_selectorELNS0_4arch9wavefront6targetE1EEEvSL_,"axG",@progbits,_ZN7rocprim17ROCPRIM_400000_NS6detail17trampoline_kernelINS0_14default_configENS1_36segmented_radix_sort_config_selectorI6__halflEEZNS1_25segmented_radix_sort_implIS3_Lb1EPKS5_PS5_PKlPlN2at6native12_GLOBAL__N_18offset_tEEE10hipError_tPvRmT1_PNSt15iterator_traitsISL_E10value_typeET2_T3_PNSM_ISR_E10value_typeET4_jRbjT5_SX_jjP12ihipStream_tbEUlT_E2_NS1_11comp_targetILNS1_3genE2ELNS1_11target_archE906ELNS1_3gpuE6ELNS1_3repE0EEENS1_30default_config_static_selectorELNS0_4arch9wavefront6targetE1EEEvSL_,comdat
.Lfunc_end1773:
	.size	_ZN7rocprim17ROCPRIM_400000_NS6detail17trampoline_kernelINS0_14default_configENS1_36segmented_radix_sort_config_selectorI6__halflEEZNS1_25segmented_radix_sort_implIS3_Lb1EPKS5_PS5_PKlPlN2at6native12_GLOBAL__N_18offset_tEEE10hipError_tPvRmT1_PNSt15iterator_traitsISL_E10value_typeET2_T3_PNSM_ISR_E10value_typeET4_jRbjT5_SX_jjP12ihipStream_tbEUlT_E2_NS1_11comp_targetILNS1_3genE2ELNS1_11target_archE906ELNS1_3gpuE6ELNS1_3repE0EEENS1_30default_config_static_selectorELNS0_4arch9wavefront6targetE1EEEvSL_, .Lfunc_end1773-_ZN7rocprim17ROCPRIM_400000_NS6detail17trampoline_kernelINS0_14default_configENS1_36segmented_radix_sort_config_selectorI6__halflEEZNS1_25segmented_radix_sort_implIS3_Lb1EPKS5_PS5_PKlPlN2at6native12_GLOBAL__N_18offset_tEEE10hipError_tPvRmT1_PNSt15iterator_traitsISL_E10value_typeET2_T3_PNSM_ISR_E10value_typeET4_jRbjT5_SX_jjP12ihipStream_tbEUlT_E2_NS1_11comp_targetILNS1_3genE2ELNS1_11target_archE906ELNS1_3gpuE6ELNS1_3repE0EEENS1_30default_config_static_selectorELNS0_4arch9wavefront6targetE1EEEvSL_
                                        ; -- End function
	.set _ZN7rocprim17ROCPRIM_400000_NS6detail17trampoline_kernelINS0_14default_configENS1_36segmented_radix_sort_config_selectorI6__halflEEZNS1_25segmented_radix_sort_implIS3_Lb1EPKS5_PS5_PKlPlN2at6native12_GLOBAL__N_18offset_tEEE10hipError_tPvRmT1_PNSt15iterator_traitsISL_E10value_typeET2_T3_PNSM_ISR_E10value_typeET4_jRbjT5_SX_jjP12ihipStream_tbEUlT_E2_NS1_11comp_targetILNS1_3genE2ELNS1_11target_archE906ELNS1_3gpuE6ELNS1_3repE0EEENS1_30default_config_static_selectorELNS0_4arch9wavefront6targetE1EEEvSL_.num_vgpr, max(130, .L_ZN7rocprim17ROCPRIM_400000_NS6detail26segmented_warp_sort_helperINS1_20WarpSortHelperConfigILj8ELj4ELj256EEE6__halflLi256ELb1EvE4sortIPKS5_PS5_PKlPlEEvT_SA_T0_T1_SD_T2_bjjjjRNS6_12storage_typeE.num_vgpr, .L_ZN7rocprim17ROCPRIM_400000_NS6detail40segmented_radix_sort_single_block_helperI6__halflLj256ELj8ELb1EE4sortIPKS3_PS3_PKlPlEEbT_T0_T1_T2_jjjjRNS4_12storage_typeE.num_vgpr)
	.set _ZN7rocprim17ROCPRIM_400000_NS6detail17trampoline_kernelINS0_14default_configENS1_36segmented_radix_sort_config_selectorI6__halflEEZNS1_25segmented_radix_sort_implIS3_Lb1EPKS5_PS5_PKlPlN2at6native12_GLOBAL__N_18offset_tEEE10hipError_tPvRmT1_PNSt15iterator_traitsISL_E10value_typeET2_T3_PNSM_ISR_E10value_typeET4_jRbjT5_SX_jjP12ihipStream_tbEUlT_E2_NS1_11comp_targetILNS1_3genE2ELNS1_11target_archE906ELNS1_3gpuE6ELNS1_3repE0EEENS1_30default_config_static_selectorELNS0_4arch9wavefront6targetE1EEEvSL_.num_agpr, max(0, .L_ZN7rocprim17ROCPRIM_400000_NS6detail26segmented_warp_sort_helperINS1_20WarpSortHelperConfigILj8ELj4ELj256EEE6__halflLi256ELb1EvE4sortIPKS5_PS5_PKlPlEEvT_SA_T0_T1_SD_T2_bjjjjRNS6_12storage_typeE.num_agpr, .L_ZN7rocprim17ROCPRIM_400000_NS6detail40segmented_radix_sort_single_block_helperI6__halflLj256ELj8ELb1EE4sortIPKS3_PS3_PKlPlEEbT_T0_T1_T2_jjjjRNS4_12storage_typeE.num_agpr)
	.set _ZN7rocprim17ROCPRIM_400000_NS6detail17trampoline_kernelINS0_14default_configENS1_36segmented_radix_sort_config_selectorI6__halflEEZNS1_25segmented_radix_sort_implIS3_Lb1EPKS5_PS5_PKlPlN2at6native12_GLOBAL__N_18offset_tEEE10hipError_tPvRmT1_PNSt15iterator_traitsISL_E10value_typeET2_T3_PNSM_ISR_E10value_typeET4_jRbjT5_SX_jjP12ihipStream_tbEUlT_E2_NS1_11comp_targetILNS1_3genE2ELNS1_11target_archE906ELNS1_3gpuE6ELNS1_3repE0EEENS1_30default_config_static_selectorELNS0_4arch9wavefront6targetE1EEEvSL_.numbered_sgpr, max(81, .L_ZN7rocprim17ROCPRIM_400000_NS6detail26segmented_warp_sort_helperINS1_20WarpSortHelperConfigILj8ELj4ELj256EEE6__halflLi256ELb1EvE4sortIPKS5_PS5_PKlPlEEvT_SA_T0_T1_SD_T2_bjjjjRNS6_12storage_typeE.numbered_sgpr, .L_ZN7rocprim17ROCPRIM_400000_NS6detail40segmented_radix_sort_single_block_helperI6__halflLj256ELj8ELb1EE4sortIPKS3_PS3_PKlPlEEbT_T0_T1_T2_jjjjRNS4_12storage_typeE.numbered_sgpr)
	.set _ZN7rocprim17ROCPRIM_400000_NS6detail17trampoline_kernelINS0_14default_configENS1_36segmented_radix_sort_config_selectorI6__halflEEZNS1_25segmented_radix_sort_implIS3_Lb1EPKS5_PS5_PKlPlN2at6native12_GLOBAL__N_18offset_tEEE10hipError_tPvRmT1_PNSt15iterator_traitsISL_E10value_typeET2_T3_PNSM_ISR_E10value_typeET4_jRbjT5_SX_jjP12ihipStream_tbEUlT_E2_NS1_11comp_targetILNS1_3genE2ELNS1_11target_archE906ELNS1_3gpuE6ELNS1_3repE0EEENS1_30default_config_static_selectorELNS0_4arch9wavefront6targetE1EEEvSL_.num_named_barrier, max(0, .L_ZN7rocprim17ROCPRIM_400000_NS6detail26segmented_warp_sort_helperINS1_20WarpSortHelperConfigILj8ELj4ELj256EEE6__halflLi256ELb1EvE4sortIPKS5_PS5_PKlPlEEvT_SA_T0_T1_SD_T2_bjjjjRNS6_12storage_typeE.num_named_barrier, .L_ZN7rocprim17ROCPRIM_400000_NS6detail40segmented_radix_sort_single_block_helperI6__halflLj256ELj8ELb1EE4sortIPKS3_PS3_PKlPlEEbT_T0_T1_T2_jjjjRNS4_12storage_typeE.num_named_barrier)
	.set _ZN7rocprim17ROCPRIM_400000_NS6detail17trampoline_kernelINS0_14default_configENS1_36segmented_radix_sort_config_selectorI6__halflEEZNS1_25segmented_radix_sort_implIS3_Lb1EPKS5_PS5_PKlPlN2at6native12_GLOBAL__N_18offset_tEEE10hipError_tPvRmT1_PNSt15iterator_traitsISL_E10value_typeET2_T3_PNSM_ISR_E10value_typeET4_jRbjT5_SX_jjP12ihipStream_tbEUlT_E2_NS1_11comp_targetILNS1_3genE2ELNS1_11target_archE906ELNS1_3gpuE6ELNS1_3repE0EEENS1_30default_config_static_selectorELNS0_4arch9wavefront6targetE1EEEvSL_.private_seg_size, 0+max(.L_ZN7rocprim17ROCPRIM_400000_NS6detail26segmented_warp_sort_helperINS1_20WarpSortHelperConfigILj8ELj4ELj256EEE6__halflLi256ELb1EvE4sortIPKS5_PS5_PKlPlEEvT_SA_T0_T1_SD_T2_bjjjjRNS6_12storage_typeE.private_seg_size, .L_ZN7rocprim17ROCPRIM_400000_NS6detail40segmented_radix_sort_single_block_helperI6__halflLj256ELj8ELb1EE4sortIPKS3_PS3_PKlPlEEbT_T0_T1_T2_jjjjRNS4_12storage_typeE.private_seg_size)
	.set _ZN7rocprim17ROCPRIM_400000_NS6detail17trampoline_kernelINS0_14default_configENS1_36segmented_radix_sort_config_selectorI6__halflEEZNS1_25segmented_radix_sort_implIS3_Lb1EPKS5_PS5_PKlPlN2at6native12_GLOBAL__N_18offset_tEEE10hipError_tPvRmT1_PNSt15iterator_traitsISL_E10value_typeET2_T3_PNSM_ISR_E10value_typeET4_jRbjT5_SX_jjP12ihipStream_tbEUlT_E2_NS1_11comp_targetILNS1_3genE2ELNS1_11target_archE906ELNS1_3gpuE6ELNS1_3repE0EEENS1_30default_config_static_selectorELNS0_4arch9wavefront6targetE1EEEvSL_.uses_vcc, or(1, .L_ZN7rocprim17ROCPRIM_400000_NS6detail26segmented_warp_sort_helperINS1_20WarpSortHelperConfigILj8ELj4ELj256EEE6__halflLi256ELb1EvE4sortIPKS5_PS5_PKlPlEEvT_SA_T0_T1_SD_T2_bjjjjRNS6_12storage_typeE.uses_vcc, .L_ZN7rocprim17ROCPRIM_400000_NS6detail40segmented_radix_sort_single_block_helperI6__halflLj256ELj8ELb1EE4sortIPKS3_PS3_PKlPlEEbT_T0_T1_T2_jjjjRNS4_12storage_typeE.uses_vcc)
	.set _ZN7rocprim17ROCPRIM_400000_NS6detail17trampoline_kernelINS0_14default_configENS1_36segmented_radix_sort_config_selectorI6__halflEEZNS1_25segmented_radix_sort_implIS3_Lb1EPKS5_PS5_PKlPlN2at6native12_GLOBAL__N_18offset_tEEE10hipError_tPvRmT1_PNSt15iterator_traitsISL_E10value_typeET2_T3_PNSM_ISR_E10value_typeET4_jRbjT5_SX_jjP12ihipStream_tbEUlT_E2_NS1_11comp_targetILNS1_3genE2ELNS1_11target_archE906ELNS1_3gpuE6ELNS1_3repE0EEENS1_30default_config_static_selectorELNS0_4arch9wavefront6targetE1EEEvSL_.uses_flat_scratch, or(0, .L_ZN7rocprim17ROCPRIM_400000_NS6detail26segmented_warp_sort_helperINS1_20WarpSortHelperConfigILj8ELj4ELj256EEE6__halflLi256ELb1EvE4sortIPKS5_PS5_PKlPlEEvT_SA_T0_T1_SD_T2_bjjjjRNS6_12storage_typeE.uses_flat_scratch, .L_ZN7rocprim17ROCPRIM_400000_NS6detail40segmented_radix_sort_single_block_helperI6__halflLj256ELj8ELb1EE4sortIPKS3_PS3_PKlPlEEbT_T0_T1_T2_jjjjRNS4_12storage_typeE.uses_flat_scratch)
	.set _ZN7rocprim17ROCPRIM_400000_NS6detail17trampoline_kernelINS0_14default_configENS1_36segmented_radix_sort_config_selectorI6__halflEEZNS1_25segmented_radix_sort_implIS3_Lb1EPKS5_PS5_PKlPlN2at6native12_GLOBAL__N_18offset_tEEE10hipError_tPvRmT1_PNSt15iterator_traitsISL_E10value_typeET2_T3_PNSM_ISR_E10value_typeET4_jRbjT5_SX_jjP12ihipStream_tbEUlT_E2_NS1_11comp_targetILNS1_3genE2ELNS1_11target_archE906ELNS1_3gpuE6ELNS1_3repE0EEENS1_30default_config_static_selectorELNS0_4arch9wavefront6targetE1EEEvSL_.has_dyn_sized_stack, or(0, .L_ZN7rocprim17ROCPRIM_400000_NS6detail26segmented_warp_sort_helperINS1_20WarpSortHelperConfigILj8ELj4ELj256EEE6__halflLi256ELb1EvE4sortIPKS5_PS5_PKlPlEEvT_SA_T0_T1_SD_T2_bjjjjRNS6_12storage_typeE.has_dyn_sized_stack, .L_ZN7rocprim17ROCPRIM_400000_NS6detail40segmented_radix_sort_single_block_helperI6__halflLj256ELj8ELb1EE4sortIPKS3_PS3_PKlPlEEbT_T0_T1_T2_jjjjRNS4_12storage_typeE.has_dyn_sized_stack)
	.set _ZN7rocprim17ROCPRIM_400000_NS6detail17trampoline_kernelINS0_14default_configENS1_36segmented_radix_sort_config_selectorI6__halflEEZNS1_25segmented_radix_sort_implIS3_Lb1EPKS5_PS5_PKlPlN2at6native12_GLOBAL__N_18offset_tEEE10hipError_tPvRmT1_PNSt15iterator_traitsISL_E10value_typeET2_T3_PNSM_ISR_E10value_typeET4_jRbjT5_SX_jjP12ihipStream_tbEUlT_E2_NS1_11comp_targetILNS1_3genE2ELNS1_11target_archE906ELNS1_3gpuE6ELNS1_3repE0EEENS1_30default_config_static_selectorELNS0_4arch9wavefront6targetE1EEEvSL_.has_recursion, or(0, .L_ZN7rocprim17ROCPRIM_400000_NS6detail26segmented_warp_sort_helperINS1_20WarpSortHelperConfigILj8ELj4ELj256EEE6__halflLi256ELb1EvE4sortIPKS5_PS5_PKlPlEEvT_SA_T0_T1_SD_T2_bjjjjRNS6_12storage_typeE.has_recursion, .L_ZN7rocprim17ROCPRIM_400000_NS6detail40segmented_radix_sort_single_block_helperI6__halflLj256ELj8ELb1EE4sortIPKS3_PS3_PKlPlEEbT_T0_T1_T2_jjjjRNS4_12storage_typeE.has_recursion)
	.set _ZN7rocprim17ROCPRIM_400000_NS6detail17trampoline_kernelINS0_14default_configENS1_36segmented_radix_sort_config_selectorI6__halflEEZNS1_25segmented_radix_sort_implIS3_Lb1EPKS5_PS5_PKlPlN2at6native12_GLOBAL__N_18offset_tEEE10hipError_tPvRmT1_PNSt15iterator_traitsISL_E10value_typeET2_T3_PNSM_ISR_E10value_typeET4_jRbjT5_SX_jjP12ihipStream_tbEUlT_E2_NS1_11comp_targetILNS1_3genE2ELNS1_11target_archE906ELNS1_3gpuE6ELNS1_3repE0EEENS1_30default_config_static_selectorELNS0_4arch9wavefront6targetE1EEEvSL_.has_indirect_call, or(0, .L_ZN7rocprim17ROCPRIM_400000_NS6detail26segmented_warp_sort_helperINS1_20WarpSortHelperConfigILj8ELj4ELj256EEE6__halflLi256ELb1EvE4sortIPKS5_PS5_PKlPlEEvT_SA_T0_T1_SD_T2_bjjjjRNS6_12storage_typeE.has_indirect_call, .L_ZN7rocprim17ROCPRIM_400000_NS6detail40segmented_radix_sort_single_block_helperI6__halflLj256ELj8ELb1EE4sortIPKS3_PS3_PKlPlEEbT_T0_T1_T2_jjjjRNS4_12storage_typeE.has_indirect_call)
	.section	.AMDGPU.csdata,"",@progbits
; Kernel info:
; codeLenInByte = 37932
; TotalNumSgprs: 85
; NumVgprs: 195
; ScratchSize: 0
; MemoryBound: 0
; FloatMode: 240
; IeeeMode: 1
; LDSByteSize: 17424 bytes/workgroup (compile time only)
; SGPRBlocks: 12
; VGPRBlocks: 48
; NumSGPRsForWavesPerEU: 102
; NumVGPRsForWavesPerEU: 195
; Occupancy: 1
; WaveLimiterHint : 1
; COMPUTE_PGM_RSRC2:SCRATCH_EN: 0
; COMPUTE_PGM_RSRC2:USER_SGPR: 6
; COMPUTE_PGM_RSRC2:TRAP_HANDLER: 0
; COMPUTE_PGM_RSRC2:TGID_X_EN: 1
; COMPUTE_PGM_RSRC2:TGID_Y_EN: 1
; COMPUTE_PGM_RSRC2:TGID_Z_EN: 0
; COMPUTE_PGM_RSRC2:TIDIG_COMP_CNT: 2
	.section	.text._ZN7rocprim17ROCPRIM_400000_NS6detail17trampoline_kernelINS0_14default_configENS1_36segmented_radix_sort_config_selectorI6__halflEEZNS1_25segmented_radix_sort_implIS3_Lb1EPKS5_PS5_PKlPlN2at6native12_GLOBAL__N_18offset_tEEE10hipError_tPvRmT1_PNSt15iterator_traitsISL_E10value_typeET2_T3_PNSM_ISR_E10value_typeET4_jRbjT5_SX_jjP12ihipStream_tbEUlT_E2_NS1_11comp_targetILNS1_3genE10ELNS1_11target_archE1201ELNS1_3gpuE5ELNS1_3repE0EEENS1_30default_config_static_selectorELNS0_4arch9wavefront6targetE1EEEvSL_,"axG",@progbits,_ZN7rocprim17ROCPRIM_400000_NS6detail17trampoline_kernelINS0_14default_configENS1_36segmented_radix_sort_config_selectorI6__halflEEZNS1_25segmented_radix_sort_implIS3_Lb1EPKS5_PS5_PKlPlN2at6native12_GLOBAL__N_18offset_tEEE10hipError_tPvRmT1_PNSt15iterator_traitsISL_E10value_typeET2_T3_PNSM_ISR_E10value_typeET4_jRbjT5_SX_jjP12ihipStream_tbEUlT_E2_NS1_11comp_targetILNS1_3genE10ELNS1_11target_archE1201ELNS1_3gpuE5ELNS1_3repE0EEENS1_30default_config_static_selectorELNS0_4arch9wavefront6targetE1EEEvSL_,comdat
	.globl	_ZN7rocprim17ROCPRIM_400000_NS6detail17trampoline_kernelINS0_14default_configENS1_36segmented_radix_sort_config_selectorI6__halflEEZNS1_25segmented_radix_sort_implIS3_Lb1EPKS5_PS5_PKlPlN2at6native12_GLOBAL__N_18offset_tEEE10hipError_tPvRmT1_PNSt15iterator_traitsISL_E10value_typeET2_T3_PNSM_ISR_E10value_typeET4_jRbjT5_SX_jjP12ihipStream_tbEUlT_E2_NS1_11comp_targetILNS1_3genE10ELNS1_11target_archE1201ELNS1_3gpuE5ELNS1_3repE0EEENS1_30default_config_static_selectorELNS0_4arch9wavefront6targetE1EEEvSL_ ; -- Begin function _ZN7rocprim17ROCPRIM_400000_NS6detail17trampoline_kernelINS0_14default_configENS1_36segmented_radix_sort_config_selectorI6__halflEEZNS1_25segmented_radix_sort_implIS3_Lb1EPKS5_PS5_PKlPlN2at6native12_GLOBAL__N_18offset_tEEE10hipError_tPvRmT1_PNSt15iterator_traitsISL_E10value_typeET2_T3_PNSM_ISR_E10value_typeET4_jRbjT5_SX_jjP12ihipStream_tbEUlT_E2_NS1_11comp_targetILNS1_3genE10ELNS1_11target_archE1201ELNS1_3gpuE5ELNS1_3repE0EEENS1_30default_config_static_selectorELNS0_4arch9wavefront6targetE1EEEvSL_
	.p2align	8
	.type	_ZN7rocprim17ROCPRIM_400000_NS6detail17trampoline_kernelINS0_14default_configENS1_36segmented_radix_sort_config_selectorI6__halflEEZNS1_25segmented_radix_sort_implIS3_Lb1EPKS5_PS5_PKlPlN2at6native12_GLOBAL__N_18offset_tEEE10hipError_tPvRmT1_PNSt15iterator_traitsISL_E10value_typeET2_T3_PNSM_ISR_E10value_typeET4_jRbjT5_SX_jjP12ihipStream_tbEUlT_E2_NS1_11comp_targetILNS1_3genE10ELNS1_11target_archE1201ELNS1_3gpuE5ELNS1_3repE0EEENS1_30default_config_static_selectorELNS0_4arch9wavefront6targetE1EEEvSL_,@function
_ZN7rocprim17ROCPRIM_400000_NS6detail17trampoline_kernelINS0_14default_configENS1_36segmented_radix_sort_config_selectorI6__halflEEZNS1_25segmented_radix_sort_implIS3_Lb1EPKS5_PS5_PKlPlN2at6native12_GLOBAL__N_18offset_tEEE10hipError_tPvRmT1_PNSt15iterator_traitsISL_E10value_typeET2_T3_PNSM_ISR_E10value_typeET4_jRbjT5_SX_jjP12ihipStream_tbEUlT_E2_NS1_11comp_targetILNS1_3genE10ELNS1_11target_archE1201ELNS1_3gpuE5ELNS1_3repE0EEENS1_30default_config_static_selectorELNS0_4arch9wavefront6targetE1EEEvSL_: ; @_ZN7rocprim17ROCPRIM_400000_NS6detail17trampoline_kernelINS0_14default_configENS1_36segmented_radix_sort_config_selectorI6__halflEEZNS1_25segmented_radix_sort_implIS3_Lb1EPKS5_PS5_PKlPlN2at6native12_GLOBAL__N_18offset_tEEE10hipError_tPvRmT1_PNSt15iterator_traitsISL_E10value_typeET2_T3_PNSM_ISR_E10value_typeET4_jRbjT5_SX_jjP12ihipStream_tbEUlT_E2_NS1_11comp_targetILNS1_3genE10ELNS1_11target_archE1201ELNS1_3gpuE5ELNS1_3repE0EEENS1_30default_config_static_selectorELNS0_4arch9wavefront6targetE1EEEvSL_
; %bb.0:
	.section	.rodata,"a",@progbits
	.p2align	6, 0x0
	.amdhsa_kernel _ZN7rocprim17ROCPRIM_400000_NS6detail17trampoline_kernelINS0_14default_configENS1_36segmented_radix_sort_config_selectorI6__halflEEZNS1_25segmented_radix_sort_implIS3_Lb1EPKS5_PS5_PKlPlN2at6native12_GLOBAL__N_18offset_tEEE10hipError_tPvRmT1_PNSt15iterator_traitsISL_E10value_typeET2_T3_PNSM_ISR_E10value_typeET4_jRbjT5_SX_jjP12ihipStream_tbEUlT_E2_NS1_11comp_targetILNS1_3genE10ELNS1_11target_archE1201ELNS1_3gpuE5ELNS1_3repE0EEENS1_30default_config_static_selectorELNS0_4arch9wavefront6targetE1EEEvSL_
		.amdhsa_group_segment_fixed_size 0
		.amdhsa_private_segment_fixed_size 0
		.amdhsa_kernarg_size 80
		.amdhsa_user_sgpr_count 6
		.amdhsa_user_sgpr_private_segment_buffer 1
		.amdhsa_user_sgpr_dispatch_ptr 0
		.amdhsa_user_sgpr_queue_ptr 0
		.amdhsa_user_sgpr_kernarg_segment_ptr 1
		.amdhsa_user_sgpr_dispatch_id 0
		.amdhsa_user_sgpr_flat_scratch_init 0
		.amdhsa_user_sgpr_private_segment_size 0
		.amdhsa_uses_dynamic_stack 0
		.amdhsa_system_sgpr_private_segment_wavefront_offset 0
		.amdhsa_system_sgpr_workgroup_id_x 1
		.amdhsa_system_sgpr_workgroup_id_y 0
		.amdhsa_system_sgpr_workgroup_id_z 0
		.amdhsa_system_sgpr_workgroup_info 0
		.amdhsa_system_vgpr_workitem_id 0
		.amdhsa_next_free_vgpr 1
		.amdhsa_next_free_sgpr 0
		.amdhsa_reserve_vcc 0
		.amdhsa_reserve_flat_scratch 0
		.amdhsa_float_round_mode_32 0
		.amdhsa_float_round_mode_16_64 0
		.amdhsa_float_denorm_mode_32 3
		.amdhsa_float_denorm_mode_16_64 3
		.amdhsa_dx10_clamp 1
		.amdhsa_ieee_mode 1
		.amdhsa_fp16_overflow 0
		.amdhsa_exception_fp_ieee_invalid_op 0
		.amdhsa_exception_fp_denorm_src 0
		.amdhsa_exception_fp_ieee_div_zero 0
		.amdhsa_exception_fp_ieee_overflow 0
		.amdhsa_exception_fp_ieee_underflow 0
		.amdhsa_exception_fp_ieee_inexact 0
		.amdhsa_exception_int_div_zero 0
	.end_amdhsa_kernel
	.section	.text._ZN7rocprim17ROCPRIM_400000_NS6detail17trampoline_kernelINS0_14default_configENS1_36segmented_radix_sort_config_selectorI6__halflEEZNS1_25segmented_radix_sort_implIS3_Lb1EPKS5_PS5_PKlPlN2at6native12_GLOBAL__N_18offset_tEEE10hipError_tPvRmT1_PNSt15iterator_traitsISL_E10value_typeET2_T3_PNSM_ISR_E10value_typeET4_jRbjT5_SX_jjP12ihipStream_tbEUlT_E2_NS1_11comp_targetILNS1_3genE10ELNS1_11target_archE1201ELNS1_3gpuE5ELNS1_3repE0EEENS1_30default_config_static_selectorELNS0_4arch9wavefront6targetE1EEEvSL_,"axG",@progbits,_ZN7rocprim17ROCPRIM_400000_NS6detail17trampoline_kernelINS0_14default_configENS1_36segmented_radix_sort_config_selectorI6__halflEEZNS1_25segmented_radix_sort_implIS3_Lb1EPKS5_PS5_PKlPlN2at6native12_GLOBAL__N_18offset_tEEE10hipError_tPvRmT1_PNSt15iterator_traitsISL_E10value_typeET2_T3_PNSM_ISR_E10value_typeET4_jRbjT5_SX_jjP12ihipStream_tbEUlT_E2_NS1_11comp_targetILNS1_3genE10ELNS1_11target_archE1201ELNS1_3gpuE5ELNS1_3repE0EEENS1_30default_config_static_selectorELNS0_4arch9wavefront6targetE1EEEvSL_,comdat
.Lfunc_end1774:
	.size	_ZN7rocprim17ROCPRIM_400000_NS6detail17trampoline_kernelINS0_14default_configENS1_36segmented_radix_sort_config_selectorI6__halflEEZNS1_25segmented_radix_sort_implIS3_Lb1EPKS5_PS5_PKlPlN2at6native12_GLOBAL__N_18offset_tEEE10hipError_tPvRmT1_PNSt15iterator_traitsISL_E10value_typeET2_T3_PNSM_ISR_E10value_typeET4_jRbjT5_SX_jjP12ihipStream_tbEUlT_E2_NS1_11comp_targetILNS1_3genE10ELNS1_11target_archE1201ELNS1_3gpuE5ELNS1_3repE0EEENS1_30default_config_static_selectorELNS0_4arch9wavefront6targetE1EEEvSL_, .Lfunc_end1774-_ZN7rocprim17ROCPRIM_400000_NS6detail17trampoline_kernelINS0_14default_configENS1_36segmented_radix_sort_config_selectorI6__halflEEZNS1_25segmented_radix_sort_implIS3_Lb1EPKS5_PS5_PKlPlN2at6native12_GLOBAL__N_18offset_tEEE10hipError_tPvRmT1_PNSt15iterator_traitsISL_E10value_typeET2_T3_PNSM_ISR_E10value_typeET4_jRbjT5_SX_jjP12ihipStream_tbEUlT_E2_NS1_11comp_targetILNS1_3genE10ELNS1_11target_archE1201ELNS1_3gpuE5ELNS1_3repE0EEENS1_30default_config_static_selectorELNS0_4arch9wavefront6targetE1EEEvSL_
                                        ; -- End function
	.set _ZN7rocprim17ROCPRIM_400000_NS6detail17trampoline_kernelINS0_14default_configENS1_36segmented_radix_sort_config_selectorI6__halflEEZNS1_25segmented_radix_sort_implIS3_Lb1EPKS5_PS5_PKlPlN2at6native12_GLOBAL__N_18offset_tEEE10hipError_tPvRmT1_PNSt15iterator_traitsISL_E10value_typeET2_T3_PNSM_ISR_E10value_typeET4_jRbjT5_SX_jjP12ihipStream_tbEUlT_E2_NS1_11comp_targetILNS1_3genE10ELNS1_11target_archE1201ELNS1_3gpuE5ELNS1_3repE0EEENS1_30default_config_static_selectorELNS0_4arch9wavefront6targetE1EEEvSL_.num_vgpr, 0
	.set _ZN7rocprim17ROCPRIM_400000_NS6detail17trampoline_kernelINS0_14default_configENS1_36segmented_radix_sort_config_selectorI6__halflEEZNS1_25segmented_radix_sort_implIS3_Lb1EPKS5_PS5_PKlPlN2at6native12_GLOBAL__N_18offset_tEEE10hipError_tPvRmT1_PNSt15iterator_traitsISL_E10value_typeET2_T3_PNSM_ISR_E10value_typeET4_jRbjT5_SX_jjP12ihipStream_tbEUlT_E2_NS1_11comp_targetILNS1_3genE10ELNS1_11target_archE1201ELNS1_3gpuE5ELNS1_3repE0EEENS1_30default_config_static_selectorELNS0_4arch9wavefront6targetE1EEEvSL_.num_agpr, 0
	.set _ZN7rocprim17ROCPRIM_400000_NS6detail17trampoline_kernelINS0_14default_configENS1_36segmented_radix_sort_config_selectorI6__halflEEZNS1_25segmented_radix_sort_implIS3_Lb1EPKS5_PS5_PKlPlN2at6native12_GLOBAL__N_18offset_tEEE10hipError_tPvRmT1_PNSt15iterator_traitsISL_E10value_typeET2_T3_PNSM_ISR_E10value_typeET4_jRbjT5_SX_jjP12ihipStream_tbEUlT_E2_NS1_11comp_targetILNS1_3genE10ELNS1_11target_archE1201ELNS1_3gpuE5ELNS1_3repE0EEENS1_30default_config_static_selectorELNS0_4arch9wavefront6targetE1EEEvSL_.numbered_sgpr, 0
	.set _ZN7rocprim17ROCPRIM_400000_NS6detail17trampoline_kernelINS0_14default_configENS1_36segmented_radix_sort_config_selectorI6__halflEEZNS1_25segmented_radix_sort_implIS3_Lb1EPKS5_PS5_PKlPlN2at6native12_GLOBAL__N_18offset_tEEE10hipError_tPvRmT1_PNSt15iterator_traitsISL_E10value_typeET2_T3_PNSM_ISR_E10value_typeET4_jRbjT5_SX_jjP12ihipStream_tbEUlT_E2_NS1_11comp_targetILNS1_3genE10ELNS1_11target_archE1201ELNS1_3gpuE5ELNS1_3repE0EEENS1_30default_config_static_selectorELNS0_4arch9wavefront6targetE1EEEvSL_.num_named_barrier, 0
	.set _ZN7rocprim17ROCPRIM_400000_NS6detail17trampoline_kernelINS0_14default_configENS1_36segmented_radix_sort_config_selectorI6__halflEEZNS1_25segmented_radix_sort_implIS3_Lb1EPKS5_PS5_PKlPlN2at6native12_GLOBAL__N_18offset_tEEE10hipError_tPvRmT1_PNSt15iterator_traitsISL_E10value_typeET2_T3_PNSM_ISR_E10value_typeET4_jRbjT5_SX_jjP12ihipStream_tbEUlT_E2_NS1_11comp_targetILNS1_3genE10ELNS1_11target_archE1201ELNS1_3gpuE5ELNS1_3repE0EEENS1_30default_config_static_selectorELNS0_4arch9wavefront6targetE1EEEvSL_.private_seg_size, 0
	.set _ZN7rocprim17ROCPRIM_400000_NS6detail17trampoline_kernelINS0_14default_configENS1_36segmented_radix_sort_config_selectorI6__halflEEZNS1_25segmented_radix_sort_implIS3_Lb1EPKS5_PS5_PKlPlN2at6native12_GLOBAL__N_18offset_tEEE10hipError_tPvRmT1_PNSt15iterator_traitsISL_E10value_typeET2_T3_PNSM_ISR_E10value_typeET4_jRbjT5_SX_jjP12ihipStream_tbEUlT_E2_NS1_11comp_targetILNS1_3genE10ELNS1_11target_archE1201ELNS1_3gpuE5ELNS1_3repE0EEENS1_30default_config_static_selectorELNS0_4arch9wavefront6targetE1EEEvSL_.uses_vcc, 0
	.set _ZN7rocprim17ROCPRIM_400000_NS6detail17trampoline_kernelINS0_14default_configENS1_36segmented_radix_sort_config_selectorI6__halflEEZNS1_25segmented_radix_sort_implIS3_Lb1EPKS5_PS5_PKlPlN2at6native12_GLOBAL__N_18offset_tEEE10hipError_tPvRmT1_PNSt15iterator_traitsISL_E10value_typeET2_T3_PNSM_ISR_E10value_typeET4_jRbjT5_SX_jjP12ihipStream_tbEUlT_E2_NS1_11comp_targetILNS1_3genE10ELNS1_11target_archE1201ELNS1_3gpuE5ELNS1_3repE0EEENS1_30default_config_static_selectorELNS0_4arch9wavefront6targetE1EEEvSL_.uses_flat_scratch, 0
	.set _ZN7rocprim17ROCPRIM_400000_NS6detail17trampoline_kernelINS0_14default_configENS1_36segmented_radix_sort_config_selectorI6__halflEEZNS1_25segmented_radix_sort_implIS3_Lb1EPKS5_PS5_PKlPlN2at6native12_GLOBAL__N_18offset_tEEE10hipError_tPvRmT1_PNSt15iterator_traitsISL_E10value_typeET2_T3_PNSM_ISR_E10value_typeET4_jRbjT5_SX_jjP12ihipStream_tbEUlT_E2_NS1_11comp_targetILNS1_3genE10ELNS1_11target_archE1201ELNS1_3gpuE5ELNS1_3repE0EEENS1_30default_config_static_selectorELNS0_4arch9wavefront6targetE1EEEvSL_.has_dyn_sized_stack, 0
	.set _ZN7rocprim17ROCPRIM_400000_NS6detail17trampoline_kernelINS0_14default_configENS1_36segmented_radix_sort_config_selectorI6__halflEEZNS1_25segmented_radix_sort_implIS3_Lb1EPKS5_PS5_PKlPlN2at6native12_GLOBAL__N_18offset_tEEE10hipError_tPvRmT1_PNSt15iterator_traitsISL_E10value_typeET2_T3_PNSM_ISR_E10value_typeET4_jRbjT5_SX_jjP12ihipStream_tbEUlT_E2_NS1_11comp_targetILNS1_3genE10ELNS1_11target_archE1201ELNS1_3gpuE5ELNS1_3repE0EEENS1_30default_config_static_selectorELNS0_4arch9wavefront6targetE1EEEvSL_.has_recursion, 0
	.set _ZN7rocprim17ROCPRIM_400000_NS6detail17trampoline_kernelINS0_14default_configENS1_36segmented_radix_sort_config_selectorI6__halflEEZNS1_25segmented_radix_sort_implIS3_Lb1EPKS5_PS5_PKlPlN2at6native12_GLOBAL__N_18offset_tEEE10hipError_tPvRmT1_PNSt15iterator_traitsISL_E10value_typeET2_T3_PNSM_ISR_E10value_typeET4_jRbjT5_SX_jjP12ihipStream_tbEUlT_E2_NS1_11comp_targetILNS1_3genE10ELNS1_11target_archE1201ELNS1_3gpuE5ELNS1_3repE0EEENS1_30default_config_static_selectorELNS0_4arch9wavefront6targetE1EEEvSL_.has_indirect_call, 0
	.section	.AMDGPU.csdata,"",@progbits
; Kernel info:
; codeLenInByte = 0
; TotalNumSgprs: 4
; NumVgprs: 0
; ScratchSize: 0
; MemoryBound: 0
; FloatMode: 240
; IeeeMode: 1
; LDSByteSize: 0 bytes/workgroup (compile time only)
; SGPRBlocks: 0
; VGPRBlocks: 0
; NumSGPRsForWavesPerEU: 4
; NumVGPRsForWavesPerEU: 1
; Occupancy: 10
; WaveLimiterHint : 0
; COMPUTE_PGM_RSRC2:SCRATCH_EN: 0
; COMPUTE_PGM_RSRC2:USER_SGPR: 6
; COMPUTE_PGM_RSRC2:TRAP_HANDLER: 0
; COMPUTE_PGM_RSRC2:TGID_X_EN: 1
; COMPUTE_PGM_RSRC2:TGID_Y_EN: 0
; COMPUTE_PGM_RSRC2:TGID_Z_EN: 0
; COMPUTE_PGM_RSRC2:TIDIG_COMP_CNT: 0
	.section	.text._ZN7rocprim17ROCPRIM_400000_NS6detail17trampoline_kernelINS0_14default_configENS1_36segmented_radix_sort_config_selectorI6__halflEEZNS1_25segmented_radix_sort_implIS3_Lb1EPKS5_PS5_PKlPlN2at6native12_GLOBAL__N_18offset_tEEE10hipError_tPvRmT1_PNSt15iterator_traitsISL_E10value_typeET2_T3_PNSM_ISR_E10value_typeET4_jRbjT5_SX_jjP12ihipStream_tbEUlT_E2_NS1_11comp_targetILNS1_3genE10ELNS1_11target_archE1200ELNS1_3gpuE4ELNS1_3repE0EEENS1_30default_config_static_selectorELNS0_4arch9wavefront6targetE1EEEvSL_,"axG",@progbits,_ZN7rocprim17ROCPRIM_400000_NS6detail17trampoline_kernelINS0_14default_configENS1_36segmented_radix_sort_config_selectorI6__halflEEZNS1_25segmented_radix_sort_implIS3_Lb1EPKS5_PS5_PKlPlN2at6native12_GLOBAL__N_18offset_tEEE10hipError_tPvRmT1_PNSt15iterator_traitsISL_E10value_typeET2_T3_PNSM_ISR_E10value_typeET4_jRbjT5_SX_jjP12ihipStream_tbEUlT_E2_NS1_11comp_targetILNS1_3genE10ELNS1_11target_archE1200ELNS1_3gpuE4ELNS1_3repE0EEENS1_30default_config_static_selectorELNS0_4arch9wavefront6targetE1EEEvSL_,comdat
	.globl	_ZN7rocprim17ROCPRIM_400000_NS6detail17trampoline_kernelINS0_14default_configENS1_36segmented_radix_sort_config_selectorI6__halflEEZNS1_25segmented_radix_sort_implIS3_Lb1EPKS5_PS5_PKlPlN2at6native12_GLOBAL__N_18offset_tEEE10hipError_tPvRmT1_PNSt15iterator_traitsISL_E10value_typeET2_T3_PNSM_ISR_E10value_typeET4_jRbjT5_SX_jjP12ihipStream_tbEUlT_E2_NS1_11comp_targetILNS1_3genE10ELNS1_11target_archE1200ELNS1_3gpuE4ELNS1_3repE0EEENS1_30default_config_static_selectorELNS0_4arch9wavefront6targetE1EEEvSL_ ; -- Begin function _ZN7rocprim17ROCPRIM_400000_NS6detail17trampoline_kernelINS0_14default_configENS1_36segmented_radix_sort_config_selectorI6__halflEEZNS1_25segmented_radix_sort_implIS3_Lb1EPKS5_PS5_PKlPlN2at6native12_GLOBAL__N_18offset_tEEE10hipError_tPvRmT1_PNSt15iterator_traitsISL_E10value_typeET2_T3_PNSM_ISR_E10value_typeET4_jRbjT5_SX_jjP12ihipStream_tbEUlT_E2_NS1_11comp_targetILNS1_3genE10ELNS1_11target_archE1200ELNS1_3gpuE4ELNS1_3repE0EEENS1_30default_config_static_selectorELNS0_4arch9wavefront6targetE1EEEvSL_
	.p2align	8
	.type	_ZN7rocprim17ROCPRIM_400000_NS6detail17trampoline_kernelINS0_14default_configENS1_36segmented_radix_sort_config_selectorI6__halflEEZNS1_25segmented_radix_sort_implIS3_Lb1EPKS5_PS5_PKlPlN2at6native12_GLOBAL__N_18offset_tEEE10hipError_tPvRmT1_PNSt15iterator_traitsISL_E10value_typeET2_T3_PNSM_ISR_E10value_typeET4_jRbjT5_SX_jjP12ihipStream_tbEUlT_E2_NS1_11comp_targetILNS1_3genE10ELNS1_11target_archE1200ELNS1_3gpuE4ELNS1_3repE0EEENS1_30default_config_static_selectorELNS0_4arch9wavefront6targetE1EEEvSL_,@function
_ZN7rocprim17ROCPRIM_400000_NS6detail17trampoline_kernelINS0_14default_configENS1_36segmented_radix_sort_config_selectorI6__halflEEZNS1_25segmented_radix_sort_implIS3_Lb1EPKS5_PS5_PKlPlN2at6native12_GLOBAL__N_18offset_tEEE10hipError_tPvRmT1_PNSt15iterator_traitsISL_E10value_typeET2_T3_PNSM_ISR_E10value_typeET4_jRbjT5_SX_jjP12ihipStream_tbEUlT_E2_NS1_11comp_targetILNS1_3genE10ELNS1_11target_archE1200ELNS1_3gpuE4ELNS1_3repE0EEENS1_30default_config_static_selectorELNS0_4arch9wavefront6targetE1EEEvSL_: ; @_ZN7rocprim17ROCPRIM_400000_NS6detail17trampoline_kernelINS0_14default_configENS1_36segmented_radix_sort_config_selectorI6__halflEEZNS1_25segmented_radix_sort_implIS3_Lb1EPKS5_PS5_PKlPlN2at6native12_GLOBAL__N_18offset_tEEE10hipError_tPvRmT1_PNSt15iterator_traitsISL_E10value_typeET2_T3_PNSM_ISR_E10value_typeET4_jRbjT5_SX_jjP12ihipStream_tbEUlT_E2_NS1_11comp_targetILNS1_3genE10ELNS1_11target_archE1200ELNS1_3gpuE4ELNS1_3repE0EEENS1_30default_config_static_selectorELNS0_4arch9wavefront6targetE1EEEvSL_
; %bb.0:
	.section	.rodata,"a",@progbits
	.p2align	6, 0x0
	.amdhsa_kernel _ZN7rocprim17ROCPRIM_400000_NS6detail17trampoline_kernelINS0_14default_configENS1_36segmented_radix_sort_config_selectorI6__halflEEZNS1_25segmented_radix_sort_implIS3_Lb1EPKS5_PS5_PKlPlN2at6native12_GLOBAL__N_18offset_tEEE10hipError_tPvRmT1_PNSt15iterator_traitsISL_E10value_typeET2_T3_PNSM_ISR_E10value_typeET4_jRbjT5_SX_jjP12ihipStream_tbEUlT_E2_NS1_11comp_targetILNS1_3genE10ELNS1_11target_archE1200ELNS1_3gpuE4ELNS1_3repE0EEENS1_30default_config_static_selectorELNS0_4arch9wavefront6targetE1EEEvSL_
		.amdhsa_group_segment_fixed_size 0
		.amdhsa_private_segment_fixed_size 0
		.amdhsa_kernarg_size 80
		.amdhsa_user_sgpr_count 6
		.amdhsa_user_sgpr_private_segment_buffer 1
		.amdhsa_user_sgpr_dispatch_ptr 0
		.amdhsa_user_sgpr_queue_ptr 0
		.amdhsa_user_sgpr_kernarg_segment_ptr 1
		.amdhsa_user_sgpr_dispatch_id 0
		.amdhsa_user_sgpr_flat_scratch_init 0
		.amdhsa_user_sgpr_private_segment_size 0
		.amdhsa_uses_dynamic_stack 0
		.amdhsa_system_sgpr_private_segment_wavefront_offset 0
		.amdhsa_system_sgpr_workgroup_id_x 1
		.amdhsa_system_sgpr_workgroup_id_y 0
		.amdhsa_system_sgpr_workgroup_id_z 0
		.amdhsa_system_sgpr_workgroup_info 0
		.amdhsa_system_vgpr_workitem_id 0
		.amdhsa_next_free_vgpr 1
		.amdhsa_next_free_sgpr 0
		.amdhsa_reserve_vcc 0
		.amdhsa_reserve_flat_scratch 0
		.amdhsa_float_round_mode_32 0
		.amdhsa_float_round_mode_16_64 0
		.amdhsa_float_denorm_mode_32 3
		.amdhsa_float_denorm_mode_16_64 3
		.amdhsa_dx10_clamp 1
		.amdhsa_ieee_mode 1
		.amdhsa_fp16_overflow 0
		.amdhsa_exception_fp_ieee_invalid_op 0
		.amdhsa_exception_fp_denorm_src 0
		.amdhsa_exception_fp_ieee_div_zero 0
		.amdhsa_exception_fp_ieee_overflow 0
		.amdhsa_exception_fp_ieee_underflow 0
		.amdhsa_exception_fp_ieee_inexact 0
		.amdhsa_exception_int_div_zero 0
	.end_amdhsa_kernel
	.section	.text._ZN7rocprim17ROCPRIM_400000_NS6detail17trampoline_kernelINS0_14default_configENS1_36segmented_radix_sort_config_selectorI6__halflEEZNS1_25segmented_radix_sort_implIS3_Lb1EPKS5_PS5_PKlPlN2at6native12_GLOBAL__N_18offset_tEEE10hipError_tPvRmT1_PNSt15iterator_traitsISL_E10value_typeET2_T3_PNSM_ISR_E10value_typeET4_jRbjT5_SX_jjP12ihipStream_tbEUlT_E2_NS1_11comp_targetILNS1_3genE10ELNS1_11target_archE1200ELNS1_3gpuE4ELNS1_3repE0EEENS1_30default_config_static_selectorELNS0_4arch9wavefront6targetE1EEEvSL_,"axG",@progbits,_ZN7rocprim17ROCPRIM_400000_NS6detail17trampoline_kernelINS0_14default_configENS1_36segmented_radix_sort_config_selectorI6__halflEEZNS1_25segmented_radix_sort_implIS3_Lb1EPKS5_PS5_PKlPlN2at6native12_GLOBAL__N_18offset_tEEE10hipError_tPvRmT1_PNSt15iterator_traitsISL_E10value_typeET2_T3_PNSM_ISR_E10value_typeET4_jRbjT5_SX_jjP12ihipStream_tbEUlT_E2_NS1_11comp_targetILNS1_3genE10ELNS1_11target_archE1200ELNS1_3gpuE4ELNS1_3repE0EEENS1_30default_config_static_selectorELNS0_4arch9wavefront6targetE1EEEvSL_,comdat
.Lfunc_end1775:
	.size	_ZN7rocprim17ROCPRIM_400000_NS6detail17trampoline_kernelINS0_14default_configENS1_36segmented_radix_sort_config_selectorI6__halflEEZNS1_25segmented_radix_sort_implIS3_Lb1EPKS5_PS5_PKlPlN2at6native12_GLOBAL__N_18offset_tEEE10hipError_tPvRmT1_PNSt15iterator_traitsISL_E10value_typeET2_T3_PNSM_ISR_E10value_typeET4_jRbjT5_SX_jjP12ihipStream_tbEUlT_E2_NS1_11comp_targetILNS1_3genE10ELNS1_11target_archE1200ELNS1_3gpuE4ELNS1_3repE0EEENS1_30default_config_static_selectorELNS0_4arch9wavefront6targetE1EEEvSL_, .Lfunc_end1775-_ZN7rocprim17ROCPRIM_400000_NS6detail17trampoline_kernelINS0_14default_configENS1_36segmented_radix_sort_config_selectorI6__halflEEZNS1_25segmented_radix_sort_implIS3_Lb1EPKS5_PS5_PKlPlN2at6native12_GLOBAL__N_18offset_tEEE10hipError_tPvRmT1_PNSt15iterator_traitsISL_E10value_typeET2_T3_PNSM_ISR_E10value_typeET4_jRbjT5_SX_jjP12ihipStream_tbEUlT_E2_NS1_11comp_targetILNS1_3genE10ELNS1_11target_archE1200ELNS1_3gpuE4ELNS1_3repE0EEENS1_30default_config_static_selectorELNS0_4arch9wavefront6targetE1EEEvSL_
                                        ; -- End function
	.set _ZN7rocprim17ROCPRIM_400000_NS6detail17trampoline_kernelINS0_14default_configENS1_36segmented_radix_sort_config_selectorI6__halflEEZNS1_25segmented_radix_sort_implIS3_Lb1EPKS5_PS5_PKlPlN2at6native12_GLOBAL__N_18offset_tEEE10hipError_tPvRmT1_PNSt15iterator_traitsISL_E10value_typeET2_T3_PNSM_ISR_E10value_typeET4_jRbjT5_SX_jjP12ihipStream_tbEUlT_E2_NS1_11comp_targetILNS1_3genE10ELNS1_11target_archE1200ELNS1_3gpuE4ELNS1_3repE0EEENS1_30default_config_static_selectorELNS0_4arch9wavefront6targetE1EEEvSL_.num_vgpr, 0
	.set _ZN7rocprim17ROCPRIM_400000_NS6detail17trampoline_kernelINS0_14default_configENS1_36segmented_radix_sort_config_selectorI6__halflEEZNS1_25segmented_radix_sort_implIS3_Lb1EPKS5_PS5_PKlPlN2at6native12_GLOBAL__N_18offset_tEEE10hipError_tPvRmT1_PNSt15iterator_traitsISL_E10value_typeET2_T3_PNSM_ISR_E10value_typeET4_jRbjT5_SX_jjP12ihipStream_tbEUlT_E2_NS1_11comp_targetILNS1_3genE10ELNS1_11target_archE1200ELNS1_3gpuE4ELNS1_3repE0EEENS1_30default_config_static_selectorELNS0_4arch9wavefront6targetE1EEEvSL_.num_agpr, 0
	.set _ZN7rocprim17ROCPRIM_400000_NS6detail17trampoline_kernelINS0_14default_configENS1_36segmented_radix_sort_config_selectorI6__halflEEZNS1_25segmented_radix_sort_implIS3_Lb1EPKS5_PS5_PKlPlN2at6native12_GLOBAL__N_18offset_tEEE10hipError_tPvRmT1_PNSt15iterator_traitsISL_E10value_typeET2_T3_PNSM_ISR_E10value_typeET4_jRbjT5_SX_jjP12ihipStream_tbEUlT_E2_NS1_11comp_targetILNS1_3genE10ELNS1_11target_archE1200ELNS1_3gpuE4ELNS1_3repE0EEENS1_30default_config_static_selectorELNS0_4arch9wavefront6targetE1EEEvSL_.numbered_sgpr, 0
	.set _ZN7rocprim17ROCPRIM_400000_NS6detail17trampoline_kernelINS0_14default_configENS1_36segmented_radix_sort_config_selectorI6__halflEEZNS1_25segmented_radix_sort_implIS3_Lb1EPKS5_PS5_PKlPlN2at6native12_GLOBAL__N_18offset_tEEE10hipError_tPvRmT1_PNSt15iterator_traitsISL_E10value_typeET2_T3_PNSM_ISR_E10value_typeET4_jRbjT5_SX_jjP12ihipStream_tbEUlT_E2_NS1_11comp_targetILNS1_3genE10ELNS1_11target_archE1200ELNS1_3gpuE4ELNS1_3repE0EEENS1_30default_config_static_selectorELNS0_4arch9wavefront6targetE1EEEvSL_.num_named_barrier, 0
	.set _ZN7rocprim17ROCPRIM_400000_NS6detail17trampoline_kernelINS0_14default_configENS1_36segmented_radix_sort_config_selectorI6__halflEEZNS1_25segmented_radix_sort_implIS3_Lb1EPKS5_PS5_PKlPlN2at6native12_GLOBAL__N_18offset_tEEE10hipError_tPvRmT1_PNSt15iterator_traitsISL_E10value_typeET2_T3_PNSM_ISR_E10value_typeET4_jRbjT5_SX_jjP12ihipStream_tbEUlT_E2_NS1_11comp_targetILNS1_3genE10ELNS1_11target_archE1200ELNS1_3gpuE4ELNS1_3repE0EEENS1_30default_config_static_selectorELNS0_4arch9wavefront6targetE1EEEvSL_.private_seg_size, 0
	.set _ZN7rocprim17ROCPRIM_400000_NS6detail17trampoline_kernelINS0_14default_configENS1_36segmented_radix_sort_config_selectorI6__halflEEZNS1_25segmented_radix_sort_implIS3_Lb1EPKS5_PS5_PKlPlN2at6native12_GLOBAL__N_18offset_tEEE10hipError_tPvRmT1_PNSt15iterator_traitsISL_E10value_typeET2_T3_PNSM_ISR_E10value_typeET4_jRbjT5_SX_jjP12ihipStream_tbEUlT_E2_NS1_11comp_targetILNS1_3genE10ELNS1_11target_archE1200ELNS1_3gpuE4ELNS1_3repE0EEENS1_30default_config_static_selectorELNS0_4arch9wavefront6targetE1EEEvSL_.uses_vcc, 0
	.set _ZN7rocprim17ROCPRIM_400000_NS6detail17trampoline_kernelINS0_14default_configENS1_36segmented_radix_sort_config_selectorI6__halflEEZNS1_25segmented_radix_sort_implIS3_Lb1EPKS5_PS5_PKlPlN2at6native12_GLOBAL__N_18offset_tEEE10hipError_tPvRmT1_PNSt15iterator_traitsISL_E10value_typeET2_T3_PNSM_ISR_E10value_typeET4_jRbjT5_SX_jjP12ihipStream_tbEUlT_E2_NS1_11comp_targetILNS1_3genE10ELNS1_11target_archE1200ELNS1_3gpuE4ELNS1_3repE0EEENS1_30default_config_static_selectorELNS0_4arch9wavefront6targetE1EEEvSL_.uses_flat_scratch, 0
	.set _ZN7rocprim17ROCPRIM_400000_NS6detail17trampoline_kernelINS0_14default_configENS1_36segmented_radix_sort_config_selectorI6__halflEEZNS1_25segmented_radix_sort_implIS3_Lb1EPKS5_PS5_PKlPlN2at6native12_GLOBAL__N_18offset_tEEE10hipError_tPvRmT1_PNSt15iterator_traitsISL_E10value_typeET2_T3_PNSM_ISR_E10value_typeET4_jRbjT5_SX_jjP12ihipStream_tbEUlT_E2_NS1_11comp_targetILNS1_3genE10ELNS1_11target_archE1200ELNS1_3gpuE4ELNS1_3repE0EEENS1_30default_config_static_selectorELNS0_4arch9wavefront6targetE1EEEvSL_.has_dyn_sized_stack, 0
	.set _ZN7rocprim17ROCPRIM_400000_NS6detail17trampoline_kernelINS0_14default_configENS1_36segmented_radix_sort_config_selectorI6__halflEEZNS1_25segmented_radix_sort_implIS3_Lb1EPKS5_PS5_PKlPlN2at6native12_GLOBAL__N_18offset_tEEE10hipError_tPvRmT1_PNSt15iterator_traitsISL_E10value_typeET2_T3_PNSM_ISR_E10value_typeET4_jRbjT5_SX_jjP12ihipStream_tbEUlT_E2_NS1_11comp_targetILNS1_3genE10ELNS1_11target_archE1200ELNS1_3gpuE4ELNS1_3repE0EEENS1_30default_config_static_selectorELNS0_4arch9wavefront6targetE1EEEvSL_.has_recursion, 0
	.set _ZN7rocprim17ROCPRIM_400000_NS6detail17trampoline_kernelINS0_14default_configENS1_36segmented_radix_sort_config_selectorI6__halflEEZNS1_25segmented_radix_sort_implIS3_Lb1EPKS5_PS5_PKlPlN2at6native12_GLOBAL__N_18offset_tEEE10hipError_tPvRmT1_PNSt15iterator_traitsISL_E10value_typeET2_T3_PNSM_ISR_E10value_typeET4_jRbjT5_SX_jjP12ihipStream_tbEUlT_E2_NS1_11comp_targetILNS1_3genE10ELNS1_11target_archE1200ELNS1_3gpuE4ELNS1_3repE0EEENS1_30default_config_static_selectorELNS0_4arch9wavefront6targetE1EEEvSL_.has_indirect_call, 0
	.section	.AMDGPU.csdata,"",@progbits
; Kernel info:
; codeLenInByte = 0
; TotalNumSgprs: 4
; NumVgprs: 0
; ScratchSize: 0
; MemoryBound: 0
; FloatMode: 240
; IeeeMode: 1
; LDSByteSize: 0 bytes/workgroup (compile time only)
; SGPRBlocks: 0
; VGPRBlocks: 0
; NumSGPRsForWavesPerEU: 4
; NumVGPRsForWavesPerEU: 1
; Occupancy: 10
; WaveLimiterHint : 0
; COMPUTE_PGM_RSRC2:SCRATCH_EN: 0
; COMPUTE_PGM_RSRC2:USER_SGPR: 6
; COMPUTE_PGM_RSRC2:TRAP_HANDLER: 0
; COMPUTE_PGM_RSRC2:TGID_X_EN: 1
; COMPUTE_PGM_RSRC2:TGID_Y_EN: 0
; COMPUTE_PGM_RSRC2:TGID_Z_EN: 0
; COMPUTE_PGM_RSRC2:TIDIG_COMP_CNT: 0
	.section	.text._ZN7rocprim17ROCPRIM_400000_NS6detail17trampoline_kernelINS0_14default_configENS1_36segmented_radix_sort_config_selectorI6__halflEEZNS1_25segmented_radix_sort_implIS3_Lb1EPKS5_PS5_PKlPlN2at6native12_GLOBAL__N_18offset_tEEE10hipError_tPvRmT1_PNSt15iterator_traitsISL_E10value_typeET2_T3_PNSM_ISR_E10value_typeET4_jRbjT5_SX_jjP12ihipStream_tbEUlT_E2_NS1_11comp_targetILNS1_3genE9ELNS1_11target_archE1100ELNS1_3gpuE3ELNS1_3repE0EEENS1_30default_config_static_selectorELNS0_4arch9wavefront6targetE1EEEvSL_,"axG",@progbits,_ZN7rocprim17ROCPRIM_400000_NS6detail17trampoline_kernelINS0_14default_configENS1_36segmented_radix_sort_config_selectorI6__halflEEZNS1_25segmented_radix_sort_implIS3_Lb1EPKS5_PS5_PKlPlN2at6native12_GLOBAL__N_18offset_tEEE10hipError_tPvRmT1_PNSt15iterator_traitsISL_E10value_typeET2_T3_PNSM_ISR_E10value_typeET4_jRbjT5_SX_jjP12ihipStream_tbEUlT_E2_NS1_11comp_targetILNS1_3genE9ELNS1_11target_archE1100ELNS1_3gpuE3ELNS1_3repE0EEENS1_30default_config_static_selectorELNS0_4arch9wavefront6targetE1EEEvSL_,comdat
	.globl	_ZN7rocprim17ROCPRIM_400000_NS6detail17trampoline_kernelINS0_14default_configENS1_36segmented_radix_sort_config_selectorI6__halflEEZNS1_25segmented_radix_sort_implIS3_Lb1EPKS5_PS5_PKlPlN2at6native12_GLOBAL__N_18offset_tEEE10hipError_tPvRmT1_PNSt15iterator_traitsISL_E10value_typeET2_T3_PNSM_ISR_E10value_typeET4_jRbjT5_SX_jjP12ihipStream_tbEUlT_E2_NS1_11comp_targetILNS1_3genE9ELNS1_11target_archE1100ELNS1_3gpuE3ELNS1_3repE0EEENS1_30default_config_static_selectorELNS0_4arch9wavefront6targetE1EEEvSL_ ; -- Begin function _ZN7rocprim17ROCPRIM_400000_NS6detail17trampoline_kernelINS0_14default_configENS1_36segmented_radix_sort_config_selectorI6__halflEEZNS1_25segmented_radix_sort_implIS3_Lb1EPKS5_PS5_PKlPlN2at6native12_GLOBAL__N_18offset_tEEE10hipError_tPvRmT1_PNSt15iterator_traitsISL_E10value_typeET2_T3_PNSM_ISR_E10value_typeET4_jRbjT5_SX_jjP12ihipStream_tbEUlT_E2_NS1_11comp_targetILNS1_3genE9ELNS1_11target_archE1100ELNS1_3gpuE3ELNS1_3repE0EEENS1_30default_config_static_selectorELNS0_4arch9wavefront6targetE1EEEvSL_
	.p2align	8
	.type	_ZN7rocprim17ROCPRIM_400000_NS6detail17trampoline_kernelINS0_14default_configENS1_36segmented_radix_sort_config_selectorI6__halflEEZNS1_25segmented_radix_sort_implIS3_Lb1EPKS5_PS5_PKlPlN2at6native12_GLOBAL__N_18offset_tEEE10hipError_tPvRmT1_PNSt15iterator_traitsISL_E10value_typeET2_T3_PNSM_ISR_E10value_typeET4_jRbjT5_SX_jjP12ihipStream_tbEUlT_E2_NS1_11comp_targetILNS1_3genE9ELNS1_11target_archE1100ELNS1_3gpuE3ELNS1_3repE0EEENS1_30default_config_static_selectorELNS0_4arch9wavefront6targetE1EEEvSL_,@function
_ZN7rocprim17ROCPRIM_400000_NS6detail17trampoline_kernelINS0_14default_configENS1_36segmented_radix_sort_config_selectorI6__halflEEZNS1_25segmented_radix_sort_implIS3_Lb1EPKS5_PS5_PKlPlN2at6native12_GLOBAL__N_18offset_tEEE10hipError_tPvRmT1_PNSt15iterator_traitsISL_E10value_typeET2_T3_PNSM_ISR_E10value_typeET4_jRbjT5_SX_jjP12ihipStream_tbEUlT_E2_NS1_11comp_targetILNS1_3genE9ELNS1_11target_archE1100ELNS1_3gpuE3ELNS1_3repE0EEENS1_30default_config_static_selectorELNS0_4arch9wavefront6targetE1EEEvSL_: ; @_ZN7rocprim17ROCPRIM_400000_NS6detail17trampoline_kernelINS0_14default_configENS1_36segmented_radix_sort_config_selectorI6__halflEEZNS1_25segmented_radix_sort_implIS3_Lb1EPKS5_PS5_PKlPlN2at6native12_GLOBAL__N_18offset_tEEE10hipError_tPvRmT1_PNSt15iterator_traitsISL_E10value_typeET2_T3_PNSM_ISR_E10value_typeET4_jRbjT5_SX_jjP12ihipStream_tbEUlT_E2_NS1_11comp_targetILNS1_3genE9ELNS1_11target_archE1100ELNS1_3gpuE3ELNS1_3repE0EEENS1_30default_config_static_selectorELNS0_4arch9wavefront6targetE1EEEvSL_
; %bb.0:
	.section	.rodata,"a",@progbits
	.p2align	6, 0x0
	.amdhsa_kernel _ZN7rocprim17ROCPRIM_400000_NS6detail17trampoline_kernelINS0_14default_configENS1_36segmented_radix_sort_config_selectorI6__halflEEZNS1_25segmented_radix_sort_implIS3_Lb1EPKS5_PS5_PKlPlN2at6native12_GLOBAL__N_18offset_tEEE10hipError_tPvRmT1_PNSt15iterator_traitsISL_E10value_typeET2_T3_PNSM_ISR_E10value_typeET4_jRbjT5_SX_jjP12ihipStream_tbEUlT_E2_NS1_11comp_targetILNS1_3genE9ELNS1_11target_archE1100ELNS1_3gpuE3ELNS1_3repE0EEENS1_30default_config_static_selectorELNS0_4arch9wavefront6targetE1EEEvSL_
		.amdhsa_group_segment_fixed_size 0
		.amdhsa_private_segment_fixed_size 0
		.amdhsa_kernarg_size 80
		.amdhsa_user_sgpr_count 6
		.amdhsa_user_sgpr_private_segment_buffer 1
		.amdhsa_user_sgpr_dispatch_ptr 0
		.amdhsa_user_sgpr_queue_ptr 0
		.amdhsa_user_sgpr_kernarg_segment_ptr 1
		.amdhsa_user_sgpr_dispatch_id 0
		.amdhsa_user_sgpr_flat_scratch_init 0
		.amdhsa_user_sgpr_private_segment_size 0
		.amdhsa_uses_dynamic_stack 0
		.amdhsa_system_sgpr_private_segment_wavefront_offset 0
		.amdhsa_system_sgpr_workgroup_id_x 1
		.amdhsa_system_sgpr_workgroup_id_y 0
		.amdhsa_system_sgpr_workgroup_id_z 0
		.amdhsa_system_sgpr_workgroup_info 0
		.amdhsa_system_vgpr_workitem_id 0
		.amdhsa_next_free_vgpr 1
		.amdhsa_next_free_sgpr 0
		.amdhsa_reserve_vcc 0
		.amdhsa_reserve_flat_scratch 0
		.amdhsa_float_round_mode_32 0
		.amdhsa_float_round_mode_16_64 0
		.amdhsa_float_denorm_mode_32 3
		.amdhsa_float_denorm_mode_16_64 3
		.amdhsa_dx10_clamp 1
		.amdhsa_ieee_mode 1
		.amdhsa_fp16_overflow 0
		.amdhsa_exception_fp_ieee_invalid_op 0
		.amdhsa_exception_fp_denorm_src 0
		.amdhsa_exception_fp_ieee_div_zero 0
		.amdhsa_exception_fp_ieee_overflow 0
		.amdhsa_exception_fp_ieee_underflow 0
		.amdhsa_exception_fp_ieee_inexact 0
		.amdhsa_exception_int_div_zero 0
	.end_amdhsa_kernel
	.section	.text._ZN7rocprim17ROCPRIM_400000_NS6detail17trampoline_kernelINS0_14default_configENS1_36segmented_radix_sort_config_selectorI6__halflEEZNS1_25segmented_radix_sort_implIS3_Lb1EPKS5_PS5_PKlPlN2at6native12_GLOBAL__N_18offset_tEEE10hipError_tPvRmT1_PNSt15iterator_traitsISL_E10value_typeET2_T3_PNSM_ISR_E10value_typeET4_jRbjT5_SX_jjP12ihipStream_tbEUlT_E2_NS1_11comp_targetILNS1_3genE9ELNS1_11target_archE1100ELNS1_3gpuE3ELNS1_3repE0EEENS1_30default_config_static_selectorELNS0_4arch9wavefront6targetE1EEEvSL_,"axG",@progbits,_ZN7rocprim17ROCPRIM_400000_NS6detail17trampoline_kernelINS0_14default_configENS1_36segmented_radix_sort_config_selectorI6__halflEEZNS1_25segmented_radix_sort_implIS3_Lb1EPKS5_PS5_PKlPlN2at6native12_GLOBAL__N_18offset_tEEE10hipError_tPvRmT1_PNSt15iterator_traitsISL_E10value_typeET2_T3_PNSM_ISR_E10value_typeET4_jRbjT5_SX_jjP12ihipStream_tbEUlT_E2_NS1_11comp_targetILNS1_3genE9ELNS1_11target_archE1100ELNS1_3gpuE3ELNS1_3repE0EEENS1_30default_config_static_selectorELNS0_4arch9wavefront6targetE1EEEvSL_,comdat
.Lfunc_end1776:
	.size	_ZN7rocprim17ROCPRIM_400000_NS6detail17trampoline_kernelINS0_14default_configENS1_36segmented_radix_sort_config_selectorI6__halflEEZNS1_25segmented_radix_sort_implIS3_Lb1EPKS5_PS5_PKlPlN2at6native12_GLOBAL__N_18offset_tEEE10hipError_tPvRmT1_PNSt15iterator_traitsISL_E10value_typeET2_T3_PNSM_ISR_E10value_typeET4_jRbjT5_SX_jjP12ihipStream_tbEUlT_E2_NS1_11comp_targetILNS1_3genE9ELNS1_11target_archE1100ELNS1_3gpuE3ELNS1_3repE0EEENS1_30default_config_static_selectorELNS0_4arch9wavefront6targetE1EEEvSL_, .Lfunc_end1776-_ZN7rocprim17ROCPRIM_400000_NS6detail17trampoline_kernelINS0_14default_configENS1_36segmented_radix_sort_config_selectorI6__halflEEZNS1_25segmented_radix_sort_implIS3_Lb1EPKS5_PS5_PKlPlN2at6native12_GLOBAL__N_18offset_tEEE10hipError_tPvRmT1_PNSt15iterator_traitsISL_E10value_typeET2_T3_PNSM_ISR_E10value_typeET4_jRbjT5_SX_jjP12ihipStream_tbEUlT_E2_NS1_11comp_targetILNS1_3genE9ELNS1_11target_archE1100ELNS1_3gpuE3ELNS1_3repE0EEENS1_30default_config_static_selectorELNS0_4arch9wavefront6targetE1EEEvSL_
                                        ; -- End function
	.set _ZN7rocprim17ROCPRIM_400000_NS6detail17trampoline_kernelINS0_14default_configENS1_36segmented_radix_sort_config_selectorI6__halflEEZNS1_25segmented_radix_sort_implIS3_Lb1EPKS5_PS5_PKlPlN2at6native12_GLOBAL__N_18offset_tEEE10hipError_tPvRmT1_PNSt15iterator_traitsISL_E10value_typeET2_T3_PNSM_ISR_E10value_typeET4_jRbjT5_SX_jjP12ihipStream_tbEUlT_E2_NS1_11comp_targetILNS1_3genE9ELNS1_11target_archE1100ELNS1_3gpuE3ELNS1_3repE0EEENS1_30default_config_static_selectorELNS0_4arch9wavefront6targetE1EEEvSL_.num_vgpr, 0
	.set _ZN7rocprim17ROCPRIM_400000_NS6detail17trampoline_kernelINS0_14default_configENS1_36segmented_radix_sort_config_selectorI6__halflEEZNS1_25segmented_radix_sort_implIS3_Lb1EPKS5_PS5_PKlPlN2at6native12_GLOBAL__N_18offset_tEEE10hipError_tPvRmT1_PNSt15iterator_traitsISL_E10value_typeET2_T3_PNSM_ISR_E10value_typeET4_jRbjT5_SX_jjP12ihipStream_tbEUlT_E2_NS1_11comp_targetILNS1_3genE9ELNS1_11target_archE1100ELNS1_3gpuE3ELNS1_3repE0EEENS1_30default_config_static_selectorELNS0_4arch9wavefront6targetE1EEEvSL_.num_agpr, 0
	.set _ZN7rocprim17ROCPRIM_400000_NS6detail17trampoline_kernelINS0_14default_configENS1_36segmented_radix_sort_config_selectorI6__halflEEZNS1_25segmented_radix_sort_implIS3_Lb1EPKS5_PS5_PKlPlN2at6native12_GLOBAL__N_18offset_tEEE10hipError_tPvRmT1_PNSt15iterator_traitsISL_E10value_typeET2_T3_PNSM_ISR_E10value_typeET4_jRbjT5_SX_jjP12ihipStream_tbEUlT_E2_NS1_11comp_targetILNS1_3genE9ELNS1_11target_archE1100ELNS1_3gpuE3ELNS1_3repE0EEENS1_30default_config_static_selectorELNS0_4arch9wavefront6targetE1EEEvSL_.numbered_sgpr, 0
	.set _ZN7rocprim17ROCPRIM_400000_NS6detail17trampoline_kernelINS0_14default_configENS1_36segmented_radix_sort_config_selectorI6__halflEEZNS1_25segmented_radix_sort_implIS3_Lb1EPKS5_PS5_PKlPlN2at6native12_GLOBAL__N_18offset_tEEE10hipError_tPvRmT1_PNSt15iterator_traitsISL_E10value_typeET2_T3_PNSM_ISR_E10value_typeET4_jRbjT5_SX_jjP12ihipStream_tbEUlT_E2_NS1_11comp_targetILNS1_3genE9ELNS1_11target_archE1100ELNS1_3gpuE3ELNS1_3repE0EEENS1_30default_config_static_selectorELNS0_4arch9wavefront6targetE1EEEvSL_.num_named_barrier, 0
	.set _ZN7rocprim17ROCPRIM_400000_NS6detail17trampoline_kernelINS0_14default_configENS1_36segmented_radix_sort_config_selectorI6__halflEEZNS1_25segmented_radix_sort_implIS3_Lb1EPKS5_PS5_PKlPlN2at6native12_GLOBAL__N_18offset_tEEE10hipError_tPvRmT1_PNSt15iterator_traitsISL_E10value_typeET2_T3_PNSM_ISR_E10value_typeET4_jRbjT5_SX_jjP12ihipStream_tbEUlT_E2_NS1_11comp_targetILNS1_3genE9ELNS1_11target_archE1100ELNS1_3gpuE3ELNS1_3repE0EEENS1_30default_config_static_selectorELNS0_4arch9wavefront6targetE1EEEvSL_.private_seg_size, 0
	.set _ZN7rocprim17ROCPRIM_400000_NS6detail17trampoline_kernelINS0_14default_configENS1_36segmented_radix_sort_config_selectorI6__halflEEZNS1_25segmented_radix_sort_implIS3_Lb1EPKS5_PS5_PKlPlN2at6native12_GLOBAL__N_18offset_tEEE10hipError_tPvRmT1_PNSt15iterator_traitsISL_E10value_typeET2_T3_PNSM_ISR_E10value_typeET4_jRbjT5_SX_jjP12ihipStream_tbEUlT_E2_NS1_11comp_targetILNS1_3genE9ELNS1_11target_archE1100ELNS1_3gpuE3ELNS1_3repE0EEENS1_30default_config_static_selectorELNS0_4arch9wavefront6targetE1EEEvSL_.uses_vcc, 0
	.set _ZN7rocprim17ROCPRIM_400000_NS6detail17trampoline_kernelINS0_14default_configENS1_36segmented_radix_sort_config_selectorI6__halflEEZNS1_25segmented_radix_sort_implIS3_Lb1EPKS5_PS5_PKlPlN2at6native12_GLOBAL__N_18offset_tEEE10hipError_tPvRmT1_PNSt15iterator_traitsISL_E10value_typeET2_T3_PNSM_ISR_E10value_typeET4_jRbjT5_SX_jjP12ihipStream_tbEUlT_E2_NS1_11comp_targetILNS1_3genE9ELNS1_11target_archE1100ELNS1_3gpuE3ELNS1_3repE0EEENS1_30default_config_static_selectorELNS0_4arch9wavefront6targetE1EEEvSL_.uses_flat_scratch, 0
	.set _ZN7rocprim17ROCPRIM_400000_NS6detail17trampoline_kernelINS0_14default_configENS1_36segmented_radix_sort_config_selectorI6__halflEEZNS1_25segmented_radix_sort_implIS3_Lb1EPKS5_PS5_PKlPlN2at6native12_GLOBAL__N_18offset_tEEE10hipError_tPvRmT1_PNSt15iterator_traitsISL_E10value_typeET2_T3_PNSM_ISR_E10value_typeET4_jRbjT5_SX_jjP12ihipStream_tbEUlT_E2_NS1_11comp_targetILNS1_3genE9ELNS1_11target_archE1100ELNS1_3gpuE3ELNS1_3repE0EEENS1_30default_config_static_selectorELNS0_4arch9wavefront6targetE1EEEvSL_.has_dyn_sized_stack, 0
	.set _ZN7rocprim17ROCPRIM_400000_NS6detail17trampoline_kernelINS0_14default_configENS1_36segmented_radix_sort_config_selectorI6__halflEEZNS1_25segmented_radix_sort_implIS3_Lb1EPKS5_PS5_PKlPlN2at6native12_GLOBAL__N_18offset_tEEE10hipError_tPvRmT1_PNSt15iterator_traitsISL_E10value_typeET2_T3_PNSM_ISR_E10value_typeET4_jRbjT5_SX_jjP12ihipStream_tbEUlT_E2_NS1_11comp_targetILNS1_3genE9ELNS1_11target_archE1100ELNS1_3gpuE3ELNS1_3repE0EEENS1_30default_config_static_selectorELNS0_4arch9wavefront6targetE1EEEvSL_.has_recursion, 0
	.set _ZN7rocprim17ROCPRIM_400000_NS6detail17trampoline_kernelINS0_14default_configENS1_36segmented_radix_sort_config_selectorI6__halflEEZNS1_25segmented_radix_sort_implIS3_Lb1EPKS5_PS5_PKlPlN2at6native12_GLOBAL__N_18offset_tEEE10hipError_tPvRmT1_PNSt15iterator_traitsISL_E10value_typeET2_T3_PNSM_ISR_E10value_typeET4_jRbjT5_SX_jjP12ihipStream_tbEUlT_E2_NS1_11comp_targetILNS1_3genE9ELNS1_11target_archE1100ELNS1_3gpuE3ELNS1_3repE0EEENS1_30default_config_static_selectorELNS0_4arch9wavefront6targetE1EEEvSL_.has_indirect_call, 0
	.section	.AMDGPU.csdata,"",@progbits
; Kernel info:
; codeLenInByte = 0
; TotalNumSgprs: 4
; NumVgprs: 0
; ScratchSize: 0
; MemoryBound: 0
; FloatMode: 240
; IeeeMode: 1
; LDSByteSize: 0 bytes/workgroup (compile time only)
; SGPRBlocks: 0
; VGPRBlocks: 0
; NumSGPRsForWavesPerEU: 4
; NumVGPRsForWavesPerEU: 1
; Occupancy: 10
; WaveLimiterHint : 0
; COMPUTE_PGM_RSRC2:SCRATCH_EN: 0
; COMPUTE_PGM_RSRC2:USER_SGPR: 6
; COMPUTE_PGM_RSRC2:TRAP_HANDLER: 0
; COMPUTE_PGM_RSRC2:TGID_X_EN: 1
; COMPUTE_PGM_RSRC2:TGID_Y_EN: 0
; COMPUTE_PGM_RSRC2:TGID_Z_EN: 0
; COMPUTE_PGM_RSRC2:TIDIG_COMP_CNT: 0
	.section	.text._ZN7rocprim17ROCPRIM_400000_NS6detail17trampoline_kernelINS0_14default_configENS1_36segmented_radix_sort_config_selectorI6__halflEEZNS1_25segmented_radix_sort_implIS3_Lb1EPKS5_PS5_PKlPlN2at6native12_GLOBAL__N_18offset_tEEE10hipError_tPvRmT1_PNSt15iterator_traitsISL_E10value_typeET2_T3_PNSM_ISR_E10value_typeET4_jRbjT5_SX_jjP12ihipStream_tbEUlT_E2_NS1_11comp_targetILNS1_3genE8ELNS1_11target_archE1030ELNS1_3gpuE2ELNS1_3repE0EEENS1_30default_config_static_selectorELNS0_4arch9wavefront6targetE1EEEvSL_,"axG",@progbits,_ZN7rocprim17ROCPRIM_400000_NS6detail17trampoline_kernelINS0_14default_configENS1_36segmented_radix_sort_config_selectorI6__halflEEZNS1_25segmented_radix_sort_implIS3_Lb1EPKS5_PS5_PKlPlN2at6native12_GLOBAL__N_18offset_tEEE10hipError_tPvRmT1_PNSt15iterator_traitsISL_E10value_typeET2_T3_PNSM_ISR_E10value_typeET4_jRbjT5_SX_jjP12ihipStream_tbEUlT_E2_NS1_11comp_targetILNS1_3genE8ELNS1_11target_archE1030ELNS1_3gpuE2ELNS1_3repE0EEENS1_30default_config_static_selectorELNS0_4arch9wavefront6targetE1EEEvSL_,comdat
	.globl	_ZN7rocprim17ROCPRIM_400000_NS6detail17trampoline_kernelINS0_14default_configENS1_36segmented_radix_sort_config_selectorI6__halflEEZNS1_25segmented_radix_sort_implIS3_Lb1EPKS5_PS5_PKlPlN2at6native12_GLOBAL__N_18offset_tEEE10hipError_tPvRmT1_PNSt15iterator_traitsISL_E10value_typeET2_T3_PNSM_ISR_E10value_typeET4_jRbjT5_SX_jjP12ihipStream_tbEUlT_E2_NS1_11comp_targetILNS1_3genE8ELNS1_11target_archE1030ELNS1_3gpuE2ELNS1_3repE0EEENS1_30default_config_static_selectorELNS0_4arch9wavefront6targetE1EEEvSL_ ; -- Begin function _ZN7rocprim17ROCPRIM_400000_NS6detail17trampoline_kernelINS0_14default_configENS1_36segmented_radix_sort_config_selectorI6__halflEEZNS1_25segmented_radix_sort_implIS3_Lb1EPKS5_PS5_PKlPlN2at6native12_GLOBAL__N_18offset_tEEE10hipError_tPvRmT1_PNSt15iterator_traitsISL_E10value_typeET2_T3_PNSM_ISR_E10value_typeET4_jRbjT5_SX_jjP12ihipStream_tbEUlT_E2_NS1_11comp_targetILNS1_3genE8ELNS1_11target_archE1030ELNS1_3gpuE2ELNS1_3repE0EEENS1_30default_config_static_selectorELNS0_4arch9wavefront6targetE1EEEvSL_
	.p2align	8
	.type	_ZN7rocprim17ROCPRIM_400000_NS6detail17trampoline_kernelINS0_14default_configENS1_36segmented_radix_sort_config_selectorI6__halflEEZNS1_25segmented_radix_sort_implIS3_Lb1EPKS5_PS5_PKlPlN2at6native12_GLOBAL__N_18offset_tEEE10hipError_tPvRmT1_PNSt15iterator_traitsISL_E10value_typeET2_T3_PNSM_ISR_E10value_typeET4_jRbjT5_SX_jjP12ihipStream_tbEUlT_E2_NS1_11comp_targetILNS1_3genE8ELNS1_11target_archE1030ELNS1_3gpuE2ELNS1_3repE0EEENS1_30default_config_static_selectorELNS0_4arch9wavefront6targetE1EEEvSL_,@function
_ZN7rocprim17ROCPRIM_400000_NS6detail17trampoline_kernelINS0_14default_configENS1_36segmented_radix_sort_config_selectorI6__halflEEZNS1_25segmented_radix_sort_implIS3_Lb1EPKS5_PS5_PKlPlN2at6native12_GLOBAL__N_18offset_tEEE10hipError_tPvRmT1_PNSt15iterator_traitsISL_E10value_typeET2_T3_PNSM_ISR_E10value_typeET4_jRbjT5_SX_jjP12ihipStream_tbEUlT_E2_NS1_11comp_targetILNS1_3genE8ELNS1_11target_archE1030ELNS1_3gpuE2ELNS1_3repE0EEENS1_30default_config_static_selectorELNS0_4arch9wavefront6targetE1EEEvSL_: ; @_ZN7rocprim17ROCPRIM_400000_NS6detail17trampoline_kernelINS0_14default_configENS1_36segmented_radix_sort_config_selectorI6__halflEEZNS1_25segmented_radix_sort_implIS3_Lb1EPKS5_PS5_PKlPlN2at6native12_GLOBAL__N_18offset_tEEE10hipError_tPvRmT1_PNSt15iterator_traitsISL_E10value_typeET2_T3_PNSM_ISR_E10value_typeET4_jRbjT5_SX_jjP12ihipStream_tbEUlT_E2_NS1_11comp_targetILNS1_3genE8ELNS1_11target_archE1030ELNS1_3gpuE2ELNS1_3repE0EEENS1_30default_config_static_selectorELNS0_4arch9wavefront6targetE1EEEvSL_
; %bb.0:
	.section	.rodata,"a",@progbits
	.p2align	6, 0x0
	.amdhsa_kernel _ZN7rocprim17ROCPRIM_400000_NS6detail17trampoline_kernelINS0_14default_configENS1_36segmented_radix_sort_config_selectorI6__halflEEZNS1_25segmented_radix_sort_implIS3_Lb1EPKS5_PS5_PKlPlN2at6native12_GLOBAL__N_18offset_tEEE10hipError_tPvRmT1_PNSt15iterator_traitsISL_E10value_typeET2_T3_PNSM_ISR_E10value_typeET4_jRbjT5_SX_jjP12ihipStream_tbEUlT_E2_NS1_11comp_targetILNS1_3genE8ELNS1_11target_archE1030ELNS1_3gpuE2ELNS1_3repE0EEENS1_30default_config_static_selectorELNS0_4arch9wavefront6targetE1EEEvSL_
		.amdhsa_group_segment_fixed_size 0
		.amdhsa_private_segment_fixed_size 0
		.amdhsa_kernarg_size 80
		.amdhsa_user_sgpr_count 6
		.amdhsa_user_sgpr_private_segment_buffer 1
		.amdhsa_user_sgpr_dispatch_ptr 0
		.amdhsa_user_sgpr_queue_ptr 0
		.amdhsa_user_sgpr_kernarg_segment_ptr 1
		.amdhsa_user_sgpr_dispatch_id 0
		.amdhsa_user_sgpr_flat_scratch_init 0
		.amdhsa_user_sgpr_private_segment_size 0
		.amdhsa_uses_dynamic_stack 0
		.amdhsa_system_sgpr_private_segment_wavefront_offset 0
		.amdhsa_system_sgpr_workgroup_id_x 1
		.amdhsa_system_sgpr_workgroup_id_y 0
		.amdhsa_system_sgpr_workgroup_id_z 0
		.amdhsa_system_sgpr_workgroup_info 0
		.amdhsa_system_vgpr_workitem_id 0
		.amdhsa_next_free_vgpr 1
		.amdhsa_next_free_sgpr 0
		.amdhsa_reserve_vcc 0
		.amdhsa_reserve_flat_scratch 0
		.amdhsa_float_round_mode_32 0
		.amdhsa_float_round_mode_16_64 0
		.amdhsa_float_denorm_mode_32 3
		.amdhsa_float_denorm_mode_16_64 3
		.amdhsa_dx10_clamp 1
		.amdhsa_ieee_mode 1
		.amdhsa_fp16_overflow 0
		.amdhsa_exception_fp_ieee_invalid_op 0
		.amdhsa_exception_fp_denorm_src 0
		.amdhsa_exception_fp_ieee_div_zero 0
		.amdhsa_exception_fp_ieee_overflow 0
		.amdhsa_exception_fp_ieee_underflow 0
		.amdhsa_exception_fp_ieee_inexact 0
		.amdhsa_exception_int_div_zero 0
	.end_amdhsa_kernel
	.section	.text._ZN7rocprim17ROCPRIM_400000_NS6detail17trampoline_kernelINS0_14default_configENS1_36segmented_radix_sort_config_selectorI6__halflEEZNS1_25segmented_radix_sort_implIS3_Lb1EPKS5_PS5_PKlPlN2at6native12_GLOBAL__N_18offset_tEEE10hipError_tPvRmT1_PNSt15iterator_traitsISL_E10value_typeET2_T3_PNSM_ISR_E10value_typeET4_jRbjT5_SX_jjP12ihipStream_tbEUlT_E2_NS1_11comp_targetILNS1_3genE8ELNS1_11target_archE1030ELNS1_3gpuE2ELNS1_3repE0EEENS1_30default_config_static_selectorELNS0_4arch9wavefront6targetE1EEEvSL_,"axG",@progbits,_ZN7rocprim17ROCPRIM_400000_NS6detail17trampoline_kernelINS0_14default_configENS1_36segmented_radix_sort_config_selectorI6__halflEEZNS1_25segmented_radix_sort_implIS3_Lb1EPKS5_PS5_PKlPlN2at6native12_GLOBAL__N_18offset_tEEE10hipError_tPvRmT1_PNSt15iterator_traitsISL_E10value_typeET2_T3_PNSM_ISR_E10value_typeET4_jRbjT5_SX_jjP12ihipStream_tbEUlT_E2_NS1_11comp_targetILNS1_3genE8ELNS1_11target_archE1030ELNS1_3gpuE2ELNS1_3repE0EEENS1_30default_config_static_selectorELNS0_4arch9wavefront6targetE1EEEvSL_,comdat
.Lfunc_end1777:
	.size	_ZN7rocprim17ROCPRIM_400000_NS6detail17trampoline_kernelINS0_14default_configENS1_36segmented_radix_sort_config_selectorI6__halflEEZNS1_25segmented_radix_sort_implIS3_Lb1EPKS5_PS5_PKlPlN2at6native12_GLOBAL__N_18offset_tEEE10hipError_tPvRmT1_PNSt15iterator_traitsISL_E10value_typeET2_T3_PNSM_ISR_E10value_typeET4_jRbjT5_SX_jjP12ihipStream_tbEUlT_E2_NS1_11comp_targetILNS1_3genE8ELNS1_11target_archE1030ELNS1_3gpuE2ELNS1_3repE0EEENS1_30default_config_static_selectorELNS0_4arch9wavefront6targetE1EEEvSL_, .Lfunc_end1777-_ZN7rocprim17ROCPRIM_400000_NS6detail17trampoline_kernelINS0_14default_configENS1_36segmented_radix_sort_config_selectorI6__halflEEZNS1_25segmented_radix_sort_implIS3_Lb1EPKS5_PS5_PKlPlN2at6native12_GLOBAL__N_18offset_tEEE10hipError_tPvRmT1_PNSt15iterator_traitsISL_E10value_typeET2_T3_PNSM_ISR_E10value_typeET4_jRbjT5_SX_jjP12ihipStream_tbEUlT_E2_NS1_11comp_targetILNS1_3genE8ELNS1_11target_archE1030ELNS1_3gpuE2ELNS1_3repE0EEENS1_30default_config_static_selectorELNS0_4arch9wavefront6targetE1EEEvSL_
                                        ; -- End function
	.set _ZN7rocprim17ROCPRIM_400000_NS6detail17trampoline_kernelINS0_14default_configENS1_36segmented_radix_sort_config_selectorI6__halflEEZNS1_25segmented_radix_sort_implIS3_Lb1EPKS5_PS5_PKlPlN2at6native12_GLOBAL__N_18offset_tEEE10hipError_tPvRmT1_PNSt15iterator_traitsISL_E10value_typeET2_T3_PNSM_ISR_E10value_typeET4_jRbjT5_SX_jjP12ihipStream_tbEUlT_E2_NS1_11comp_targetILNS1_3genE8ELNS1_11target_archE1030ELNS1_3gpuE2ELNS1_3repE0EEENS1_30default_config_static_selectorELNS0_4arch9wavefront6targetE1EEEvSL_.num_vgpr, 0
	.set _ZN7rocprim17ROCPRIM_400000_NS6detail17trampoline_kernelINS0_14default_configENS1_36segmented_radix_sort_config_selectorI6__halflEEZNS1_25segmented_radix_sort_implIS3_Lb1EPKS5_PS5_PKlPlN2at6native12_GLOBAL__N_18offset_tEEE10hipError_tPvRmT1_PNSt15iterator_traitsISL_E10value_typeET2_T3_PNSM_ISR_E10value_typeET4_jRbjT5_SX_jjP12ihipStream_tbEUlT_E2_NS1_11comp_targetILNS1_3genE8ELNS1_11target_archE1030ELNS1_3gpuE2ELNS1_3repE0EEENS1_30default_config_static_selectorELNS0_4arch9wavefront6targetE1EEEvSL_.num_agpr, 0
	.set _ZN7rocprim17ROCPRIM_400000_NS6detail17trampoline_kernelINS0_14default_configENS1_36segmented_radix_sort_config_selectorI6__halflEEZNS1_25segmented_radix_sort_implIS3_Lb1EPKS5_PS5_PKlPlN2at6native12_GLOBAL__N_18offset_tEEE10hipError_tPvRmT1_PNSt15iterator_traitsISL_E10value_typeET2_T3_PNSM_ISR_E10value_typeET4_jRbjT5_SX_jjP12ihipStream_tbEUlT_E2_NS1_11comp_targetILNS1_3genE8ELNS1_11target_archE1030ELNS1_3gpuE2ELNS1_3repE0EEENS1_30default_config_static_selectorELNS0_4arch9wavefront6targetE1EEEvSL_.numbered_sgpr, 0
	.set _ZN7rocprim17ROCPRIM_400000_NS6detail17trampoline_kernelINS0_14default_configENS1_36segmented_radix_sort_config_selectorI6__halflEEZNS1_25segmented_radix_sort_implIS3_Lb1EPKS5_PS5_PKlPlN2at6native12_GLOBAL__N_18offset_tEEE10hipError_tPvRmT1_PNSt15iterator_traitsISL_E10value_typeET2_T3_PNSM_ISR_E10value_typeET4_jRbjT5_SX_jjP12ihipStream_tbEUlT_E2_NS1_11comp_targetILNS1_3genE8ELNS1_11target_archE1030ELNS1_3gpuE2ELNS1_3repE0EEENS1_30default_config_static_selectorELNS0_4arch9wavefront6targetE1EEEvSL_.num_named_barrier, 0
	.set _ZN7rocprim17ROCPRIM_400000_NS6detail17trampoline_kernelINS0_14default_configENS1_36segmented_radix_sort_config_selectorI6__halflEEZNS1_25segmented_radix_sort_implIS3_Lb1EPKS5_PS5_PKlPlN2at6native12_GLOBAL__N_18offset_tEEE10hipError_tPvRmT1_PNSt15iterator_traitsISL_E10value_typeET2_T3_PNSM_ISR_E10value_typeET4_jRbjT5_SX_jjP12ihipStream_tbEUlT_E2_NS1_11comp_targetILNS1_3genE8ELNS1_11target_archE1030ELNS1_3gpuE2ELNS1_3repE0EEENS1_30default_config_static_selectorELNS0_4arch9wavefront6targetE1EEEvSL_.private_seg_size, 0
	.set _ZN7rocprim17ROCPRIM_400000_NS6detail17trampoline_kernelINS0_14default_configENS1_36segmented_radix_sort_config_selectorI6__halflEEZNS1_25segmented_radix_sort_implIS3_Lb1EPKS5_PS5_PKlPlN2at6native12_GLOBAL__N_18offset_tEEE10hipError_tPvRmT1_PNSt15iterator_traitsISL_E10value_typeET2_T3_PNSM_ISR_E10value_typeET4_jRbjT5_SX_jjP12ihipStream_tbEUlT_E2_NS1_11comp_targetILNS1_3genE8ELNS1_11target_archE1030ELNS1_3gpuE2ELNS1_3repE0EEENS1_30default_config_static_selectorELNS0_4arch9wavefront6targetE1EEEvSL_.uses_vcc, 0
	.set _ZN7rocprim17ROCPRIM_400000_NS6detail17trampoline_kernelINS0_14default_configENS1_36segmented_radix_sort_config_selectorI6__halflEEZNS1_25segmented_radix_sort_implIS3_Lb1EPKS5_PS5_PKlPlN2at6native12_GLOBAL__N_18offset_tEEE10hipError_tPvRmT1_PNSt15iterator_traitsISL_E10value_typeET2_T3_PNSM_ISR_E10value_typeET4_jRbjT5_SX_jjP12ihipStream_tbEUlT_E2_NS1_11comp_targetILNS1_3genE8ELNS1_11target_archE1030ELNS1_3gpuE2ELNS1_3repE0EEENS1_30default_config_static_selectorELNS0_4arch9wavefront6targetE1EEEvSL_.uses_flat_scratch, 0
	.set _ZN7rocprim17ROCPRIM_400000_NS6detail17trampoline_kernelINS0_14default_configENS1_36segmented_radix_sort_config_selectorI6__halflEEZNS1_25segmented_radix_sort_implIS3_Lb1EPKS5_PS5_PKlPlN2at6native12_GLOBAL__N_18offset_tEEE10hipError_tPvRmT1_PNSt15iterator_traitsISL_E10value_typeET2_T3_PNSM_ISR_E10value_typeET4_jRbjT5_SX_jjP12ihipStream_tbEUlT_E2_NS1_11comp_targetILNS1_3genE8ELNS1_11target_archE1030ELNS1_3gpuE2ELNS1_3repE0EEENS1_30default_config_static_selectorELNS0_4arch9wavefront6targetE1EEEvSL_.has_dyn_sized_stack, 0
	.set _ZN7rocprim17ROCPRIM_400000_NS6detail17trampoline_kernelINS0_14default_configENS1_36segmented_radix_sort_config_selectorI6__halflEEZNS1_25segmented_radix_sort_implIS3_Lb1EPKS5_PS5_PKlPlN2at6native12_GLOBAL__N_18offset_tEEE10hipError_tPvRmT1_PNSt15iterator_traitsISL_E10value_typeET2_T3_PNSM_ISR_E10value_typeET4_jRbjT5_SX_jjP12ihipStream_tbEUlT_E2_NS1_11comp_targetILNS1_3genE8ELNS1_11target_archE1030ELNS1_3gpuE2ELNS1_3repE0EEENS1_30default_config_static_selectorELNS0_4arch9wavefront6targetE1EEEvSL_.has_recursion, 0
	.set _ZN7rocprim17ROCPRIM_400000_NS6detail17trampoline_kernelINS0_14default_configENS1_36segmented_radix_sort_config_selectorI6__halflEEZNS1_25segmented_radix_sort_implIS3_Lb1EPKS5_PS5_PKlPlN2at6native12_GLOBAL__N_18offset_tEEE10hipError_tPvRmT1_PNSt15iterator_traitsISL_E10value_typeET2_T3_PNSM_ISR_E10value_typeET4_jRbjT5_SX_jjP12ihipStream_tbEUlT_E2_NS1_11comp_targetILNS1_3genE8ELNS1_11target_archE1030ELNS1_3gpuE2ELNS1_3repE0EEENS1_30default_config_static_selectorELNS0_4arch9wavefront6targetE1EEEvSL_.has_indirect_call, 0
	.section	.AMDGPU.csdata,"",@progbits
; Kernel info:
; codeLenInByte = 0
; TotalNumSgprs: 4
; NumVgprs: 0
; ScratchSize: 0
; MemoryBound: 0
; FloatMode: 240
; IeeeMode: 1
; LDSByteSize: 0 bytes/workgroup (compile time only)
; SGPRBlocks: 0
; VGPRBlocks: 0
; NumSGPRsForWavesPerEU: 4
; NumVGPRsForWavesPerEU: 1
; Occupancy: 10
; WaveLimiterHint : 0
; COMPUTE_PGM_RSRC2:SCRATCH_EN: 0
; COMPUTE_PGM_RSRC2:USER_SGPR: 6
; COMPUTE_PGM_RSRC2:TRAP_HANDLER: 0
; COMPUTE_PGM_RSRC2:TGID_X_EN: 1
; COMPUTE_PGM_RSRC2:TGID_Y_EN: 0
; COMPUTE_PGM_RSRC2:TGID_Z_EN: 0
; COMPUTE_PGM_RSRC2:TIDIG_COMP_CNT: 0
	.section	.text._ZN7rocprim17ROCPRIM_400000_NS6detail17trampoline_kernelINS0_13select_configILj256ELj13ELNS0_17block_load_methodE3ELS4_3ELS4_3ELNS0_20block_scan_algorithmE0ELj4294967295EEENS1_25partition_config_selectorILNS1_17partition_subalgoE4EjNS0_10empty_typeEbEEZZNS1_14partition_implILS8_4ELb0ES6_15HIP_vector_typeIjLj2EENS0_17counting_iteratorIjlEEPS9_SG_NS0_5tupleIJPjSI_NS0_16reverse_iteratorISI_EEEEENSH_IJSG_SG_SG_EEES9_SI_JZNS1_25segmented_radix_sort_implINS0_14default_configELb0EPK6__halfPSP_PKlPlN2at6native12_GLOBAL__N_18offset_tEEE10hipError_tPvRmT1_PNSt15iterator_traitsIS13_E10value_typeET2_T3_PNS14_IS19_E10value_typeET4_jRbjT5_S1F_jjP12ihipStream_tbEUljE_ZNSN_ISO_Lb0ESR_SS_SU_SV_SZ_EES10_S11_S12_S13_S17_S18_S19_S1C_S1D_jS1E_jS1F_S1F_jjS1H_bEUljE0_EEES10_S11_S12_S19_S1D_S1F_T6_T7_T9_mT8_S1H_bDpT10_ENKUlT_T0_E_clISt17integral_constantIbLb0EES1V_EEDaS1Q_S1R_EUlS1Q_E_NS1_11comp_targetILNS1_3genE0ELNS1_11target_archE4294967295ELNS1_3gpuE0ELNS1_3repE0EEENS1_30default_config_static_selectorELNS0_4arch9wavefront6targetE1EEEvS13_,"axG",@progbits,_ZN7rocprim17ROCPRIM_400000_NS6detail17trampoline_kernelINS0_13select_configILj256ELj13ELNS0_17block_load_methodE3ELS4_3ELS4_3ELNS0_20block_scan_algorithmE0ELj4294967295EEENS1_25partition_config_selectorILNS1_17partition_subalgoE4EjNS0_10empty_typeEbEEZZNS1_14partition_implILS8_4ELb0ES6_15HIP_vector_typeIjLj2EENS0_17counting_iteratorIjlEEPS9_SG_NS0_5tupleIJPjSI_NS0_16reverse_iteratorISI_EEEEENSH_IJSG_SG_SG_EEES9_SI_JZNS1_25segmented_radix_sort_implINS0_14default_configELb0EPK6__halfPSP_PKlPlN2at6native12_GLOBAL__N_18offset_tEEE10hipError_tPvRmT1_PNSt15iterator_traitsIS13_E10value_typeET2_T3_PNS14_IS19_E10value_typeET4_jRbjT5_S1F_jjP12ihipStream_tbEUljE_ZNSN_ISO_Lb0ESR_SS_SU_SV_SZ_EES10_S11_S12_S13_S17_S18_S19_S1C_S1D_jS1E_jS1F_S1F_jjS1H_bEUljE0_EEES10_S11_S12_S19_S1D_S1F_T6_T7_T9_mT8_S1H_bDpT10_ENKUlT_T0_E_clISt17integral_constantIbLb0EES1V_EEDaS1Q_S1R_EUlS1Q_E_NS1_11comp_targetILNS1_3genE0ELNS1_11target_archE4294967295ELNS1_3gpuE0ELNS1_3repE0EEENS1_30default_config_static_selectorELNS0_4arch9wavefront6targetE1EEEvS13_,comdat
	.globl	_ZN7rocprim17ROCPRIM_400000_NS6detail17trampoline_kernelINS0_13select_configILj256ELj13ELNS0_17block_load_methodE3ELS4_3ELS4_3ELNS0_20block_scan_algorithmE0ELj4294967295EEENS1_25partition_config_selectorILNS1_17partition_subalgoE4EjNS0_10empty_typeEbEEZZNS1_14partition_implILS8_4ELb0ES6_15HIP_vector_typeIjLj2EENS0_17counting_iteratorIjlEEPS9_SG_NS0_5tupleIJPjSI_NS0_16reverse_iteratorISI_EEEEENSH_IJSG_SG_SG_EEES9_SI_JZNS1_25segmented_radix_sort_implINS0_14default_configELb0EPK6__halfPSP_PKlPlN2at6native12_GLOBAL__N_18offset_tEEE10hipError_tPvRmT1_PNSt15iterator_traitsIS13_E10value_typeET2_T3_PNS14_IS19_E10value_typeET4_jRbjT5_S1F_jjP12ihipStream_tbEUljE_ZNSN_ISO_Lb0ESR_SS_SU_SV_SZ_EES10_S11_S12_S13_S17_S18_S19_S1C_S1D_jS1E_jS1F_S1F_jjS1H_bEUljE0_EEES10_S11_S12_S19_S1D_S1F_T6_T7_T9_mT8_S1H_bDpT10_ENKUlT_T0_E_clISt17integral_constantIbLb0EES1V_EEDaS1Q_S1R_EUlS1Q_E_NS1_11comp_targetILNS1_3genE0ELNS1_11target_archE4294967295ELNS1_3gpuE0ELNS1_3repE0EEENS1_30default_config_static_selectorELNS0_4arch9wavefront6targetE1EEEvS13_ ; -- Begin function _ZN7rocprim17ROCPRIM_400000_NS6detail17trampoline_kernelINS0_13select_configILj256ELj13ELNS0_17block_load_methodE3ELS4_3ELS4_3ELNS0_20block_scan_algorithmE0ELj4294967295EEENS1_25partition_config_selectorILNS1_17partition_subalgoE4EjNS0_10empty_typeEbEEZZNS1_14partition_implILS8_4ELb0ES6_15HIP_vector_typeIjLj2EENS0_17counting_iteratorIjlEEPS9_SG_NS0_5tupleIJPjSI_NS0_16reverse_iteratorISI_EEEEENSH_IJSG_SG_SG_EEES9_SI_JZNS1_25segmented_radix_sort_implINS0_14default_configELb0EPK6__halfPSP_PKlPlN2at6native12_GLOBAL__N_18offset_tEEE10hipError_tPvRmT1_PNSt15iterator_traitsIS13_E10value_typeET2_T3_PNS14_IS19_E10value_typeET4_jRbjT5_S1F_jjP12ihipStream_tbEUljE_ZNSN_ISO_Lb0ESR_SS_SU_SV_SZ_EES10_S11_S12_S13_S17_S18_S19_S1C_S1D_jS1E_jS1F_S1F_jjS1H_bEUljE0_EEES10_S11_S12_S19_S1D_S1F_T6_T7_T9_mT8_S1H_bDpT10_ENKUlT_T0_E_clISt17integral_constantIbLb0EES1V_EEDaS1Q_S1R_EUlS1Q_E_NS1_11comp_targetILNS1_3genE0ELNS1_11target_archE4294967295ELNS1_3gpuE0ELNS1_3repE0EEENS1_30default_config_static_selectorELNS0_4arch9wavefront6targetE1EEEvS13_
	.p2align	8
	.type	_ZN7rocprim17ROCPRIM_400000_NS6detail17trampoline_kernelINS0_13select_configILj256ELj13ELNS0_17block_load_methodE3ELS4_3ELS4_3ELNS0_20block_scan_algorithmE0ELj4294967295EEENS1_25partition_config_selectorILNS1_17partition_subalgoE4EjNS0_10empty_typeEbEEZZNS1_14partition_implILS8_4ELb0ES6_15HIP_vector_typeIjLj2EENS0_17counting_iteratorIjlEEPS9_SG_NS0_5tupleIJPjSI_NS0_16reverse_iteratorISI_EEEEENSH_IJSG_SG_SG_EEES9_SI_JZNS1_25segmented_radix_sort_implINS0_14default_configELb0EPK6__halfPSP_PKlPlN2at6native12_GLOBAL__N_18offset_tEEE10hipError_tPvRmT1_PNSt15iterator_traitsIS13_E10value_typeET2_T3_PNS14_IS19_E10value_typeET4_jRbjT5_S1F_jjP12ihipStream_tbEUljE_ZNSN_ISO_Lb0ESR_SS_SU_SV_SZ_EES10_S11_S12_S13_S17_S18_S19_S1C_S1D_jS1E_jS1F_S1F_jjS1H_bEUljE0_EEES10_S11_S12_S19_S1D_S1F_T6_T7_T9_mT8_S1H_bDpT10_ENKUlT_T0_E_clISt17integral_constantIbLb0EES1V_EEDaS1Q_S1R_EUlS1Q_E_NS1_11comp_targetILNS1_3genE0ELNS1_11target_archE4294967295ELNS1_3gpuE0ELNS1_3repE0EEENS1_30default_config_static_selectorELNS0_4arch9wavefront6targetE1EEEvS13_,@function
_ZN7rocprim17ROCPRIM_400000_NS6detail17trampoline_kernelINS0_13select_configILj256ELj13ELNS0_17block_load_methodE3ELS4_3ELS4_3ELNS0_20block_scan_algorithmE0ELj4294967295EEENS1_25partition_config_selectorILNS1_17partition_subalgoE4EjNS0_10empty_typeEbEEZZNS1_14partition_implILS8_4ELb0ES6_15HIP_vector_typeIjLj2EENS0_17counting_iteratorIjlEEPS9_SG_NS0_5tupleIJPjSI_NS0_16reverse_iteratorISI_EEEEENSH_IJSG_SG_SG_EEES9_SI_JZNS1_25segmented_radix_sort_implINS0_14default_configELb0EPK6__halfPSP_PKlPlN2at6native12_GLOBAL__N_18offset_tEEE10hipError_tPvRmT1_PNSt15iterator_traitsIS13_E10value_typeET2_T3_PNS14_IS19_E10value_typeET4_jRbjT5_S1F_jjP12ihipStream_tbEUljE_ZNSN_ISO_Lb0ESR_SS_SU_SV_SZ_EES10_S11_S12_S13_S17_S18_S19_S1C_S1D_jS1E_jS1F_S1F_jjS1H_bEUljE0_EEES10_S11_S12_S19_S1D_S1F_T6_T7_T9_mT8_S1H_bDpT10_ENKUlT_T0_E_clISt17integral_constantIbLb0EES1V_EEDaS1Q_S1R_EUlS1Q_E_NS1_11comp_targetILNS1_3genE0ELNS1_11target_archE4294967295ELNS1_3gpuE0ELNS1_3repE0EEENS1_30default_config_static_selectorELNS0_4arch9wavefront6targetE1EEEvS13_: ; @_ZN7rocprim17ROCPRIM_400000_NS6detail17trampoline_kernelINS0_13select_configILj256ELj13ELNS0_17block_load_methodE3ELS4_3ELS4_3ELNS0_20block_scan_algorithmE0ELj4294967295EEENS1_25partition_config_selectorILNS1_17partition_subalgoE4EjNS0_10empty_typeEbEEZZNS1_14partition_implILS8_4ELb0ES6_15HIP_vector_typeIjLj2EENS0_17counting_iteratorIjlEEPS9_SG_NS0_5tupleIJPjSI_NS0_16reverse_iteratorISI_EEEEENSH_IJSG_SG_SG_EEES9_SI_JZNS1_25segmented_radix_sort_implINS0_14default_configELb0EPK6__halfPSP_PKlPlN2at6native12_GLOBAL__N_18offset_tEEE10hipError_tPvRmT1_PNSt15iterator_traitsIS13_E10value_typeET2_T3_PNS14_IS19_E10value_typeET4_jRbjT5_S1F_jjP12ihipStream_tbEUljE_ZNSN_ISO_Lb0ESR_SS_SU_SV_SZ_EES10_S11_S12_S13_S17_S18_S19_S1C_S1D_jS1E_jS1F_S1F_jjS1H_bEUljE0_EEES10_S11_S12_S19_S1D_S1F_T6_T7_T9_mT8_S1H_bDpT10_ENKUlT_T0_E_clISt17integral_constantIbLb0EES1V_EEDaS1Q_S1R_EUlS1Q_E_NS1_11comp_targetILNS1_3genE0ELNS1_11target_archE4294967295ELNS1_3gpuE0ELNS1_3repE0EEENS1_30default_config_static_selectorELNS0_4arch9wavefront6targetE1EEEvS13_
; %bb.0:
	.section	.rodata,"a",@progbits
	.p2align	6, 0x0
	.amdhsa_kernel _ZN7rocprim17ROCPRIM_400000_NS6detail17trampoline_kernelINS0_13select_configILj256ELj13ELNS0_17block_load_methodE3ELS4_3ELS4_3ELNS0_20block_scan_algorithmE0ELj4294967295EEENS1_25partition_config_selectorILNS1_17partition_subalgoE4EjNS0_10empty_typeEbEEZZNS1_14partition_implILS8_4ELb0ES6_15HIP_vector_typeIjLj2EENS0_17counting_iteratorIjlEEPS9_SG_NS0_5tupleIJPjSI_NS0_16reverse_iteratorISI_EEEEENSH_IJSG_SG_SG_EEES9_SI_JZNS1_25segmented_radix_sort_implINS0_14default_configELb0EPK6__halfPSP_PKlPlN2at6native12_GLOBAL__N_18offset_tEEE10hipError_tPvRmT1_PNSt15iterator_traitsIS13_E10value_typeET2_T3_PNS14_IS19_E10value_typeET4_jRbjT5_S1F_jjP12ihipStream_tbEUljE_ZNSN_ISO_Lb0ESR_SS_SU_SV_SZ_EES10_S11_S12_S13_S17_S18_S19_S1C_S1D_jS1E_jS1F_S1F_jjS1H_bEUljE0_EEES10_S11_S12_S19_S1D_S1F_T6_T7_T9_mT8_S1H_bDpT10_ENKUlT_T0_E_clISt17integral_constantIbLb0EES1V_EEDaS1Q_S1R_EUlS1Q_E_NS1_11comp_targetILNS1_3genE0ELNS1_11target_archE4294967295ELNS1_3gpuE0ELNS1_3repE0EEENS1_30default_config_static_selectorELNS0_4arch9wavefront6targetE1EEEvS13_
		.amdhsa_group_segment_fixed_size 0
		.amdhsa_private_segment_fixed_size 0
		.amdhsa_kernarg_size 176
		.amdhsa_user_sgpr_count 6
		.amdhsa_user_sgpr_private_segment_buffer 1
		.amdhsa_user_sgpr_dispatch_ptr 0
		.amdhsa_user_sgpr_queue_ptr 0
		.amdhsa_user_sgpr_kernarg_segment_ptr 1
		.amdhsa_user_sgpr_dispatch_id 0
		.amdhsa_user_sgpr_flat_scratch_init 0
		.amdhsa_user_sgpr_private_segment_size 0
		.amdhsa_uses_dynamic_stack 0
		.amdhsa_system_sgpr_private_segment_wavefront_offset 0
		.amdhsa_system_sgpr_workgroup_id_x 1
		.amdhsa_system_sgpr_workgroup_id_y 0
		.amdhsa_system_sgpr_workgroup_id_z 0
		.amdhsa_system_sgpr_workgroup_info 0
		.amdhsa_system_vgpr_workitem_id 0
		.amdhsa_next_free_vgpr 1
		.amdhsa_next_free_sgpr 0
		.amdhsa_reserve_vcc 0
		.amdhsa_reserve_flat_scratch 0
		.amdhsa_float_round_mode_32 0
		.amdhsa_float_round_mode_16_64 0
		.amdhsa_float_denorm_mode_32 3
		.amdhsa_float_denorm_mode_16_64 3
		.amdhsa_dx10_clamp 1
		.amdhsa_ieee_mode 1
		.amdhsa_fp16_overflow 0
		.amdhsa_exception_fp_ieee_invalid_op 0
		.amdhsa_exception_fp_denorm_src 0
		.amdhsa_exception_fp_ieee_div_zero 0
		.amdhsa_exception_fp_ieee_overflow 0
		.amdhsa_exception_fp_ieee_underflow 0
		.amdhsa_exception_fp_ieee_inexact 0
		.amdhsa_exception_int_div_zero 0
	.end_amdhsa_kernel
	.section	.text._ZN7rocprim17ROCPRIM_400000_NS6detail17trampoline_kernelINS0_13select_configILj256ELj13ELNS0_17block_load_methodE3ELS4_3ELS4_3ELNS0_20block_scan_algorithmE0ELj4294967295EEENS1_25partition_config_selectorILNS1_17partition_subalgoE4EjNS0_10empty_typeEbEEZZNS1_14partition_implILS8_4ELb0ES6_15HIP_vector_typeIjLj2EENS0_17counting_iteratorIjlEEPS9_SG_NS0_5tupleIJPjSI_NS0_16reverse_iteratorISI_EEEEENSH_IJSG_SG_SG_EEES9_SI_JZNS1_25segmented_radix_sort_implINS0_14default_configELb0EPK6__halfPSP_PKlPlN2at6native12_GLOBAL__N_18offset_tEEE10hipError_tPvRmT1_PNSt15iterator_traitsIS13_E10value_typeET2_T3_PNS14_IS19_E10value_typeET4_jRbjT5_S1F_jjP12ihipStream_tbEUljE_ZNSN_ISO_Lb0ESR_SS_SU_SV_SZ_EES10_S11_S12_S13_S17_S18_S19_S1C_S1D_jS1E_jS1F_S1F_jjS1H_bEUljE0_EEES10_S11_S12_S19_S1D_S1F_T6_T7_T9_mT8_S1H_bDpT10_ENKUlT_T0_E_clISt17integral_constantIbLb0EES1V_EEDaS1Q_S1R_EUlS1Q_E_NS1_11comp_targetILNS1_3genE0ELNS1_11target_archE4294967295ELNS1_3gpuE0ELNS1_3repE0EEENS1_30default_config_static_selectorELNS0_4arch9wavefront6targetE1EEEvS13_,"axG",@progbits,_ZN7rocprim17ROCPRIM_400000_NS6detail17trampoline_kernelINS0_13select_configILj256ELj13ELNS0_17block_load_methodE3ELS4_3ELS4_3ELNS0_20block_scan_algorithmE0ELj4294967295EEENS1_25partition_config_selectorILNS1_17partition_subalgoE4EjNS0_10empty_typeEbEEZZNS1_14partition_implILS8_4ELb0ES6_15HIP_vector_typeIjLj2EENS0_17counting_iteratorIjlEEPS9_SG_NS0_5tupleIJPjSI_NS0_16reverse_iteratorISI_EEEEENSH_IJSG_SG_SG_EEES9_SI_JZNS1_25segmented_radix_sort_implINS0_14default_configELb0EPK6__halfPSP_PKlPlN2at6native12_GLOBAL__N_18offset_tEEE10hipError_tPvRmT1_PNSt15iterator_traitsIS13_E10value_typeET2_T3_PNS14_IS19_E10value_typeET4_jRbjT5_S1F_jjP12ihipStream_tbEUljE_ZNSN_ISO_Lb0ESR_SS_SU_SV_SZ_EES10_S11_S12_S13_S17_S18_S19_S1C_S1D_jS1E_jS1F_S1F_jjS1H_bEUljE0_EEES10_S11_S12_S19_S1D_S1F_T6_T7_T9_mT8_S1H_bDpT10_ENKUlT_T0_E_clISt17integral_constantIbLb0EES1V_EEDaS1Q_S1R_EUlS1Q_E_NS1_11comp_targetILNS1_3genE0ELNS1_11target_archE4294967295ELNS1_3gpuE0ELNS1_3repE0EEENS1_30default_config_static_selectorELNS0_4arch9wavefront6targetE1EEEvS13_,comdat
.Lfunc_end1778:
	.size	_ZN7rocprim17ROCPRIM_400000_NS6detail17trampoline_kernelINS0_13select_configILj256ELj13ELNS0_17block_load_methodE3ELS4_3ELS4_3ELNS0_20block_scan_algorithmE0ELj4294967295EEENS1_25partition_config_selectorILNS1_17partition_subalgoE4EjNS0_10empty_typeEbEEZZNS1_14partition_implILS8_4ELb0ES6_15HIP_vector_typeIjLj2EENS0_17counting_iteratorIjlEEPS9_SG_NS0_5tupleIJPjSI_NS0_16reverse_iteratorISI_EEEEENSH_IJSG_SG_SG_EEES9_SI_JZNS1_25segmented_radix_sort_implINS0_14default_configELb0EPK6__halfPSP_PKlPlN2at6native12_GLOBAL__N_18offset_tEEE10hipError_tPvRmT1_PNSt15iterator_traitsIS13_E10value_typeET2_T3_PNS14_IS19_E10value_typeET4_jRbjT5_S1F_jjP12ihipStream_tbEUljE_ZNSN_ISO_Lb0ESR_SS_SU_SV_SZ_EES10_S11_S12_S13_S17_S18_S19_S1C_S1D_jS1E_jS1F_S1F_jjS1H_bEUljE0_EEES10_S11_S12_S19_S1D_S1F_T6_T7_T9_mT8_S1H_bDpT10_ENKUlT_T0_E_clISt17integral_constantIbLb0EES1V_EEDaS1Q_S1R_EUlS1Q_E_NS1_11comp_targetILNS1_3genE0ELNS1_11target_archE4294967295ELNS1_3gpuE0ELNS1_3repE0EEENS1_30default_config_static_selectorELNS0_4arch9wavefront6targetE1EEEvS13_, .Lfunc_end1778-_ZN7rocprim17ROCPRIM_400000_NS6detail17trampoline_kernelINS0_13select_configILj256ELj13ELNS0_17block_load_methodE3ELS4_3ELS4_3ELNS0_20block_scan_algorithmE0ELj4294967295EEENS1_25partition_config_selectorILNS1_17partition_subalgoE4EjNS0_10empty_typeEbEEZZNS1_14partition_implILS8_4ELb0ES6_15HIP_vector_typeIjLj2EENS0_17counting_iteratorIjlEEPS9_SG_NS0_5tupleIJPjSI_NS0_16reverse_iteratorISI_EEEEENSH_IJSG_SG_SG_EEES9_SI_JZNS1_25segmented_radix_sort_implINS0_14default_configELb0EPK6__halfPSP_PKlPlN2at6native12_GLOBAL__N_18offset_tEEE10hipError_tPvRmT1_PNSt15iterator_traitsIS13_E10value_typeET2_T3_PNS14_IS19_E10value_typeET4_jRbjT5_S1F_jjP12ihipStream_tbEUljE_ZNSN_ISO_Lb0ESR_SS_SU_SV_SZ_EES10_S11_S12_S13_S17_S18_S19_S1C_S1D_jS1E_jS1F_S1F_jjS1H_bEUljE0_EEES10_S11_S12_S19_S1D_S1F_T6_T7_T9_mT8_S1H_bDpT10_ENKUlT_T0_E_clISt17integral_constantIbLb0EES1V_EEDaS1Q_S1R_EUlS1Q_E_NS1_11comp_targetILNS1_3genE0ELNS1_11target_archE4294967295ELNS1_3gpuE0ELNS1_3repE0EEENS1_30default_config_static_selectorELNS0_4arch9wavefront6targetE1EEEvS13_
                                        ; -- End function
	.set _ZN7rocprim17ROCPRIM_400000_NS6detail17trampoline_kernelINS0_13select_configILj256ELj13ELNS0_17block_load_methodE3ELS4_3ELS4_3ELNS0_20block_scan_algorithmE0ELj4294967295EEENS1_25partition_config_selectorILNS1_17partition_subalgoE4EjNS0_10empty_typeEbEEZZNS1_14partition_implILS8_4ELb0ES6_15HIP_vector_typeIjLj2EENS0_17counting_iteratorIjlEEPS9_SG_NS0_5tupleIJPjSI_NS0_16reverse_iteratorISI_EEEEENSH_IJSG_SG_SG_EEES9_SI_JZNS1_25segmented_radix_sort_implINS0_14default_configELb0EPK6__halfPSP_PKlPlN2at6native12_GLOBAL__N_18offset_tEEE10hipError_tPvRmT1_PNSt15iterator_traitsIS13_E10value_typeET2_T3_PNS14_IS19_E10value_typeET4_jRbjT5_S1F_jjP12ihipStream_tbEUljE_ZNSN_ISO_Lb0ESR_SS_SU_SV_SZ_EES10_S11_S12_S13_S17_S18_S19_S1C_S1D_jS1E_jS1F_S1F_jjS1H_bEUljE0_EEES10_S11_S12_S19_S1D_S1F_T6_T7_T9_mT8_S1H_bDpT10_ENKUlT_T0_E_clISt17integral_constantIbLb0EES1V_EEDaS1Q_S1R_EUlS1Q_E_NS1_11comp_targetILNS1_3genE0ELNS1_11target_archE4294967295ELNS1_3gpuE0ELNS1_3repE0EEENS1_30default_config_static_selectorELNS0_4arch9wavefront6targetE1EEEvS13_.num_vgpr, 0
	.set _ZN7rocprim17ROCPRIM_400000_NS6detail17trampoline_kernelINS0_13select_configILj256ELj13ELNS0_17block_load_methodE3ELS4_3ELS4_3ELNS0_20block_scan_algorithmE0ELj4294967295EEENS1_25partition_config_selectorILNS1_17partition_subalgoE4EjNS0_10empty_typeEbEEZZNS1_14partition_implILS8_4ELb0ES6_15HIP_vector_typeIjLj2EENS0_17counting_iteratorIjlEEPS9_SG_NS0_5tupleIJPjSI_NS0_16reverse_iteratorISI_EEEEENSH_IJSG_SG_SG_EEES9_SI_JZNS1_25segmented_radix_sort_implINS0_14default_configELb0EPK6__halfPSP_PKlPlN2at6native12_GLOBAL__N_18offset_tEEE10hipError_tPvRmT1_PNSt15iterator_traitsIS13_E10value_typeET2_T3_PNS14_IS19_E10value_typeET4_jRbjT5_S1F_jjP12ihipStream_tbEUljE_ZNSN_ISO_Lb0ESR_SS_SU_SV_SZ_EES10_S11_S12_S13_S17_S18_S19_S1C_S1D_jS1E_jS1F_S1F_jjS1H_bEUljE0_EEES10_S11_S12_S19_S1D_S1F_T6_T7_T9_mT8_S1H_bDpT10_ENKUlT_T0_E_clISt17integral_constantIbLb0EES1V_EEDaS1Q_S1R_EUlS1Q_E_NS1_11comp_targetILNS1_3genE0ELNS1_11target_archE4294967295ELNS1_3gpuE0ELNS1_3repE0EEENS1_30default_config_static_selectorELNS0_4arch9wavefront6targetE1EEEvS13_.num_agpr, 0
	.set _ZN7rocprim17ROCPRIM_400000_NS6detail17trampoline_kernelINS0_13select_configILj256ELj13ELNS0_17block_load_methodE3ELS4_3ELS4_3ELNS0_20block_scan_algorithmE0ELj4294967295EEENS1_25partition_config_selectorILNS1_17partition_subalgoE4EjNS0_10empty_typeEbEEZZNS1_14partition_implILS8_4ELb0ES6_15HIP_vector_typeIjLj2EENS0_17counting_iteratorIjlEEPS9_SG_NS0_5tupleIJPjSI_NS0_16reverse_iteratorISI_EEEEENSH_IJSG_SG_SG_EEES9_SI_JZNS1_25segmented_radix_sort_implINS0_14default_configELb0EPK6__halfPSP_PKlPlN2at6native12_GLOBAL__N_18offset_tEEE10hipError_tPvRmT1_PNSt15iterator_traitsIS13_E10value_typeET2_T3_PNS14_IS19_E10value_typeET4_jRbjT5_S1F_jjP12ihipStream_tbEUljE_ZNSN_ISO_Lb0ESR_SS_SU_SV_SZ_EES10_S11_S12_S13_S17_S18_S19_S1C_S1D_jS1E_jS1F_S1F_jjS1H_bEUljE0_EEES10_S11_S12_S19_S1D_S1F_T6_T7_T9_mT8_S1H_bDpT10_ENKUlT_T0_E_clISt17integral_constantIbLb0EES1V_EEDaS1Q_S1R_EUlS1Q_E_NS1_11comp_targetILNS1_3genE0ELNS1_11target_archE4294967295ELNS1_3gpuE0ELNS1_3repE0EEENS1_30default_config_static_selectorELNS0_4arch9wavefront6targetE1EEEvS13_.numbered_sgpr, 0
	.set _ZN7rocprim17ROCPRIM_400000_NS6detail17trampoline_kernelINS0_13select_configILj256ELj13ELNS0_17block_load_methodE3ELS4_3ELS4_3ELNS0_20block_scan_algorithmE0ELj4294967295EEENS1_25partition_config_selectorILNS1_17partition_subalgoE4EjNS0_10empty_typeEbEEZZNS1_14partition_implILS8_4ELb0ES6_15HIP_vector_typeIjLj2EENS0_17counting_iteratorIjlEEPS9_SG_NS0_5tupleIJPjSI_NS0_16reverse_iteratorISI_EEEEENSH_IJSG_SG_SG_EEES9_SI_JZNS1_25segmented_radix_sort_implINS0_14default_configELb0EPK6__halfPSP_PKlPlN2at6native12_GLOBAL__N_18offset_tEEE10hipError_tPvRmT1_PNSt15iterator_traitsIS13_E10value_typeET2_T3_PNS14_IS19_E10value_typeET4_jRbjT5_S1F_jjP12ihipStream_tbEUljE_ZNSN_ISO_Lb0ESR_SS_SU_SV_SZ_EES10_S11_S12_S13_S17_S18_S19_S1C_S1D_jS1E_jS1F_S1F_jjS1H_bEUljE0_EEES10_S11_S12_S19_S1D_S1F_T6_T7_T9_mT8_S1H_bDpT10_ENKUlT_T0_E_clISt17integral_constantIbLb0EES1V_EEDaS1Q_S1R_EUlS1Q_E_NS1_11comp_targetILNS1_3genE0ELNS1_11target_archE4294967295ELNS1_3gpuE0ELNS1_3repE0EEENS1_30default_config_static_selectorELNS0_4arch9wavefront6targetE1EEEvS13_.num_named_barrier, 0
	.set _ZN7rocprim17ROCPRIM_400000_NS6detail17trampoline_kernelINS0_13select_configILj256ELj13ELNS0_17block_load_methodE3ELS4_3ELS4_3ELNS0_20block_scan_algorithmE0ELj4294967295EEENS1_25partition_config_selectorILNS1_17partition_subalgoE4EjNS0_10empty_typeEbEEZZNS1_14partition_implILS8_4ELb0ES6_15HIP_vector_typeIjLj2EENS0_17counting_iteratorIjlEEPS9_SG_NS0_5tupleIJPjSI_NS0_16reverse_iteratorISI_EEEEENSH_IJSG_SG_SG_EEES9_SI_JZNS1_25segmented_radix_sort_implINS0_14default_configELb0EPK6__halfPSP_PKlPlN2at6native12_GLOBAL__N_18offset_tEEE10hipError_tPvRmT1_PNSt15iterator_traitsIS13_E10value_typeET2_T3_PNS14_IS19_E10value_typeET4_jRbjT5_S1F_jjP12ihipStream_tbEUljE_ZNSN_ISO_Lb0ESR_SS_SU_SV_SZ_EES10_S11_S12_S13_S17_S18_S19_S1C_S1D_jS1E_jS1F_S1F_jjS1H_bEUljE0_EEES10_S11_S12_S19_S1D_S1F_T6_T7_T9_mT8_S1H_bDpT10_ENKUlT_T0_E_clISt17integral_constantIbLb0EES1V_EEDaS1Q_S1R_EUlS1Q_E_NS1_11comp_targetILNS1_3genE0ELNS1_11target_archE4294967295ELNS1_3gpuE0ELNS1_3repE0EEENS1_30default_config_static_selectorELNS0_4arch9wavefront6targetE1EEEvS13_.private_seg_size, 0
	.set _ZN7rocprim17ROCPRIM_400000_NS6detail17trampoline_kernelINS0_13select_configILj256ELj13ELNS0_17block_load_methodE3ELS4_3ELS4_3ELNS0_20block_scan_algorithmE0ELj4294967295EEENS1_25partition_config_selectorILNS1_17partition_subalgoE4EjNS0_10empty_typeEbEEZZNS1_14partition_implILS8_4ELb0ES6_15HIP_vector_typeIjLj2EENS0_17counting_iteratorIjlEEPS9_SG_NS0_5tupleIJPjSI_NS0_16reverse_iteratorISI_EEEEENSH_IJSG_SG_SG_EEES9_SI_JZNS1_25segmented_radix_sort_implINS0_14default_configELb0EPK6__halfPSP_PKlPlN2at6native12_GLOBAL__N_18offset_tEEE10hipError_tPvRmT1_PNSt15iterator_traitsIS13_E10value_typeET2_T3_PNS14_IS19_E10value_typeET4_jRbjT5_S1F_jjP12ihipStream_tbEUljE_ZNSN_ISO_Lb0ESR_SS_SU_SV_SZ_EES10_S11_S12_S13_S17_S18_S19_S1C_S1D_jS1E_jS1F_S1F_jjS1H_bEUljE0_EEES10_S11_S12_S19_S1D_S1F_T6_T7_T9_mT8_S1H_bDpT10_ENKUlT_T0_E_clISt17integral_constantIbLb0EES1V_EEDaS1Q_S1R_EUlS1Q_E_NS1_11comp_targetILNS1_3genE0ELNS1_11target_archE4294967295ELNS1_3gpuE0ELNS1_3repE0EEENS1_30default_config_static_selectorELNS0_4arch9wavefront6targetE1EEEvS13_.uses_vcc, 0
	.set _ZN7rocprim17ROCPRIM_400000_NS6detail17trampoline_kernelINS0_13select_configILj256ELj13ELNS0_17block_load_methodE3ELS4_3ELS4_3ELNS0_20block_scan_algorithmE0ELj4294967295EEENS1_25partition_config_selectorILNS1_17partition_subalgoE4EjNS0_10empty_typeEbEEZZNS1_14partition_implILS8_4ELb0ES6_15HIP_vector_typeIjLj2EENS0_17counting_iteratorIjlEEPS9_SG_NS0_5tupleIJPjSI_NS0_16reverse_iteratorISI_EEEEENSH_IJSG_SG_SG_EEES9_SI_JZNS1_25segmented_radix_sort_implINS0_14default_configELb0EPK6__halfPSP_PKlPlN2at6native12_GLOBAL__N_18offset_tEEE10hipError_tPvRmT1_PNSt15iterator_traitsIS13_E10value_typeET2_T3_PNS14_IS19_E10value_typeET4_jRbjT5_S1F_jjP12ihipStream_tbEUljE_ZNSN_ISO_Lb0ESR_SS_SU_SV_SZ_EES10_S11_S12_S13_S17_S18_S19_S1C_S1D_jS1E_jS1F_S1F_jjS1H_bEUljE0_EEES10_S11_S12_S19_S1D_S1F_T6_T7_T9_mT8_S1H_bDpT10_ENKUlT_T0_E_clISt17integral_constantIbLb0EES1V_EEDaS1Q_S1R_EUlS1Q_E_NS1_11comp_targetILNS1_3genE0ELNS1_11target_archE4294967295ELNS1_3gpuE0ELNS1_3repE0EEENS1_30default_config_static_selectorELNS0_4arch9wavefront6targetE1EEEvS13_.uses_flat_scratch, 0
	.set _ZN7rocprim17ROCPRIM_400000_NS6detail17trampoline_kernelINS0_13select_configILj256ELj13ELNS0_17block_load_methodE3ELS4_3ELS4_3ELNS0_20block_scan_algorithmE0ELj4294967295EEENS1_25partition_config_selectorILNS1_17partition_subalgoE4EjNS0_10empty_typeEbEEZZNS1_14partition_implILS8_4ELb0ES6_15HIP_vector_typeIjLj2EENS0_17counting_iteratorIjlEEPS9_SG_NS0_5tupleIJPjSI_NS0_16reverse_iteratorISI_EEEEENSH_IJSG_SG_SG_EEES9_SI_JZNS1_25segmented_radix_sort_implINS0_14default_configELb0EPK6__halfPSP_PKlPlN2at6native12_GLOBAL__N_18offset_tEEE10hipError_tPvRmT1_PNSt15iterator_traitsIS13_E10value_typeET2_T3_PNS14_IS19_E10value_typeET4_jRbjT5_S1F_jjP12ihipStream_tbEUljE_ZNSN_ISO_Lb0ESR_SS_SU_SV_SZ_EES10_S11_S12_S13_S17_S18_S19_S1C_S1D_jS1E_jS1F_S1F_jjS1H_bEUljE0_EEES10_S11_S12_S19_S1D_S1F_T6_T7_T9_mT8_S1H_bDpT10_ENKUlT_T0_E_clISt17integral_constantIbLb0EES1V_EEDaS1Q_S1R_EUlS1Q_E_NS1_11comp_targetILNS1_3genE0ELNS1_11target_archE4294967295ELNS1_3gpuE0ELNS1_3repE0EEENS1_30default_config_static_selectorELNS0_4arch9wavefront6targetE1EEEvS13_.has_dyn_sized_stack, 0
	.set _ZN7rocprim17ROCPRIM_400000_NS6detail17trampoline_kernelINS0_13select_configILj256ELj13ELNS0_17block_load_methodE3ELS4_3ELS4_3ELNS0_20block_scan_algorithmE0ELj4294967295EEENS1_25partition_config_selectorILNS1_17partition_subalgoE4EjNS0_10empty_typeEbEEZZNS1_14partition_implILS8_4ELb0ES6_15HIP_vector_typeIjLj2EENS0_17counting_iteratorIjlEEPS9_SG_NS0_5tupleIJPjSI_NS0_16reverse_iteratorISI_EEEEENSH_IJSG_SG_SG_EEES9_SI_JZNS1_25segmented_radix_sort_implINS0_14default_configELb0EPK6__halfPSP_PKlPlN2at6native12_GLOBAL__N_18offset_tEEE10hipError_tPvRmT1_PNSt15iterator_traitsIS13_E10value_typeET2_T3_PNS14_IS19_E10value_typeET4_jRbjT5_S1F_jjP12ihipStream_tbEUljE_ZNSN_ISO_Lb0ESR_SS_SU_SV_SZ_EES10_S11_S12_S13_S17_S18_S19_S1C_S1D_jS1E_jS1F_S1F_jjS1H_bEUljE0_EEES10_S11_S12_S19_S1D_S1F_T6_T7_T9_mT8_S1H_bDpT10_ENKUlT_T0_E_clISt17integral_constantIbLb0EES1V_EEDaS1Q_S1R_EUlS1Q_E_NS1_11comp_targetILNS1_3genE0ELNS1_11target_archE4294967295ELNS1_3gpuE0ELNS1_3repE0EEENS1_30default_config_static_selectorELNS0_4arch9wavefront6targetE1EEEvS13_.has_recursion, 0
	.set _ZN7rocprim17ROCPRIM_400000_NS6detail17trampoline_kernelINS0_13select_configILj256ELj13ELNS0_17block_load_methodE3ELS4_3ELS4_3ELNS0_20block_scan_algorithmE0ELj4294967295EEENS1_25partition_config_selectorILNS1_17partition_subalgoE4EjNS0_10empty_typeEbEEZZNS1_14partition_implILS8_4ELb0ES6_15HIP_vector_typeIjLj2EENS0_17counting_iteratorIjlEEPS9_SG_NS0_5tupleIJPjSI_NS0_16reverse_iteratorISI_EEEEENSH_IJSG_SG_SG_EEES9_SI_JZNS1_25segmented_radix_sort_implINS0_14default_configELb0EPK6__halfPSP_PKlPlN2at6native12_GLOBAL__N_18offset_tEEE10hipError_tPvRmT1_PNSt15iterator_traitsIS13_E10value_typeET2_T3_PNS14_IS19_E10value_typeET4_jRbjT5_S1F_jjP12ihipStream_tbEUljE_ZNSN_ISO_Lb0ESR_SS_SU_SV_SZ_EES10_S11_S12_S13_S17_S18_S19_S1C_S1D_jS1E_jS1F_S1F_jjS1H_bEUljE0_EEES10_S11_S12_S19_S1D_S1F_T6_T7_T9_mT8_S1H_bDpT10_ENKUlT_T0_E_clISt17integral_constantIbLb0EES1V_EEDaS1Q_S1R_EUlS1Q_E_NS1_11comp_targetILNS1_3genE0ELNS1_11target_archE4294967295ELNS1_3gpuE0ELNS1_3repE0EEENS1_30default_config_static_selectorELNS0_4arch9wavefront6targetE1EEEvS13_.has_indirect_call, 0
	.section	.AMDGPU.csdata,"",@progbits
; Kernel info:
; codeLenInByte = 0
; TotalNumSgprs: 4
; NumVgprs: 0
; ScratchSize: 0
; MemoryBound: 0
; FloatMode: 240
; IeeeMode: 1
; LDSByteSize: 0 bytes/workgroup (compile time only)
; SGPRBlocks: 0
; VGPRBlocks: 0
; NumSGPRsForWavesPerEU: 4
; NumVGPRsForWavesPerEU: 1
; Occupancy: 10
; WaveLimiterHint : 0
; COMPUTE_PGM_RSRC2:SCRATCH_EN: 0
; COMPUTE_PGM_RSRC2:USER_SGPR: 6
; COMPUTE_PGM_RSRC2:TRAP_HANDLER: 0
; COMPUTE_PGM_RSRC2:TGID_X_EN: 1
; COMPUTE_PGM_RSRC2:TGID_Y_EN: 0
; COMPUTE_PGM_RSRC2:TGID_Z_EN: 0
; COMPUTE_PGM_RSRC2:TIDIG_COMP_CNT: 0
	.section	.text._ZN7rocprim17ROCPRIM_400000_NS6detail17trampoline_kernelINS0_13select_configILj256ELj13ELNS0_17block_load_methodE3ELS4_3ELS4_3ELNS0_20block_scan_algorithmE0ELj4294967295EEENS1_25partition_config_selectorILNS1_17partition_subalgoE4EjNS0_10empty_typeEbEEZZNS1_14partition_implILS8_4ELb0ES6_15HIP_vector_typeIjLj2EENS0_17counting_iteratorIjlEEPS9_SG_NS0_5tupleIJPjSI_NS0_16reverse_iteratorISI_EEEEENSH_IJSG_SG_SG_EEES9_SI_JZNS1_25segmented_radix_sort_implINS0_14default_configELb0EPK6__halfPSP_PKlPlN2at6native12_GLOBAL__N_18offset_tEEE10hipError_tPvRmT1_PNSt15iterator_traitsIS13_E10value_typeET2_T3_PNS14_IS19_E10value_typeET4_jRbjT5_S1F_jjP12ihipStream_tbEUljE_ZNSN_ISO_Lb0ESR_SS_SU_SV_SZ_EES10_S11_S12_S13_S17_S18_S19_S1C_S1D_jS1E_jS1F_S1F_jjS1H_bEUljE0_EEES10_S11_S12_S19_S1D_S1F_T6_T7_T9_mT8_S1H_bDpT10_ENKUlT_T0_E_clISt17integral_constantIbLb0EES1V_EEDaS1Q_S1R_EUlS1Q_E_NS1_11comp_targetILNS1_3genE5ELNS1_11target_archE942ELNS1_3gpuE9ELNS1_3repE0EEENS1_30default_config_static_selectorELNS0_4arch9wavefront6targetE1EEEvS13_,"axG",@progbits,_ZN7rocprim17ROCPRIM_400000_NS6detail17trampoline_kernelINS0_13select_configILj256ELj13ELNS0_17block_load_methodE3ELS4_3ELS4_3ELNS0_20block_scan_algorithmE0ELj4294967295EEENS1_25partition_config_selectorILNS1_17partition_subalgoE4EjNS0_10empty_typeEbEEZZNS1_14partition_implILS8_4ELb0ES6_15HIP_vector_typeIjLj2EENS0_17counting_iteratorIjlEEPS9_SG_NS0_5tupleIJPjSI_NS0_16reverse_iteratorISI_EEEEENSH_IJSG_SG_SG_EEES9_SI_JZNS1_25segmented_radix_sort_implINS0_14default_configELb0EPK6__halfPSP_PKlPlN2at6native12_GLOBAL__N_18offset_tEEE10hipError_tPvRmT1_PNSt15iterator_traitsIS13_E10value_typeET2_T3_PNS14_IS19_E10value_typeET4_jRbjT5_S1F_jjP12ihipStream_tbEUljE_ZNSN_ISO_Lb0ESR_SS_SU_SV_SZ_EES10_S11_S12_S13_S17_S18_S19_S1C_S1D_jS1E_jS1F_S1F_jjS1H_bEUljE0_EEES10_S11_S12_S19_S1D_S1F_T6_T7_T9_mT8_S1H_bDpT10_ENKUlT_T0_E_clISt17integral_constantIbLb0EES1V_EEDaS1Q_S1R_EUlS1Q_E_NS1_11comp_targetILNS1_3genE5ELNS1_11target_archE942ELNS1_3gpuE9ELNS1_3repE0EEENS1_30default_config_static_selectorELNS0_4arch9wavefront6targetE1EEEvS13_,comdat
	.globl	_ZN7rocprim17ROCPRIM_400000_NS6detail17trampoline_kernelINS0_13select_configILj256ELj13ELNS0_17block_load_methodE3ELS4_3ELS4_3ELNS0_20block_scan_algorithmE0ELj4294967295EEENS1_25partition_config_selectorILNS1_17partition_subalgoE4EjNS0_10empty_typeEbEEZZNS1_14partition_implILS8_4ELb0ES6_15HIP_vector_typeIjLj2EENS0_17counting_iteratorIjlEEPS9_SG_NS0_5tupleIJPjSI_NS0_16reverse_iteratorISI_EEEEENSH_IJSG_SG_SG_EEES9_SI_JZNS1_25segmented_radix_sort_implINS0_14default_configELb0EPK6__halfPSP_PKlPlN2at6native12_GLOBAL__N_18offset_tEEE10hipError_tPvRmT1_PNSt15iterator_traitsIS13_E10value_typeET2_T3_PNS14_IS19_E10value_typeET4_jRbjT5_S1F_jjP12ihipStream_tbEUljE_ZNSN_ISO_Lb0ESR_SS_SU_SV_SZ_EES10_S11_S12_S13_S17_S18_S19_S1C_S1D_jS1E_jS1F_S1F_jjS1H_bEUljE0_EEES10_S11_S12_S19_S1D_S1F_T6_T7_T9_mT8_S1H_bDpT10_ENKUlT_T0_E_clISt17integral_constantIbLb0EES1V_EEDaS1Q_S1R_EUlS1Q_E_NS1_11comp_targetILNS1_3genE5ELNS1_11target_archE942ELNS1_3gpuE9ELNS1_3repE0EEENS1_30default_config_static_selectorELNS0_4arch9wavefront6targetE1EEEvS13_ ; -- Begin function _ZN7rocprim17ROCPRIM_400000_NS6detail17trampoline_kernelINS0_13select_configILj256ELj13ELNS0_17block_load_methodE3ELS4_3ELS4_3ELNS0_20block_scan_algorithmE0ELj4294967295EEENS1_25partition_config_selectorILNS1_17partition_subalgoE4EjNS0_10empty_typeEbEEZZNS1_14partition_implILS8_4ELb0ES6_15HIP_vector_typeIjLj2EENS0_17counting_iteratorIjlEEPS9_SG_NS0_5tupleIJPjSI_NS0_16reverse_iteratorISI_EEEEENSH_IJSG_SG_SG_EEES9_SI_JZNS1_25segmented_radix_sort_implINS0_14default_configELb0EPK6__halfPSP_PKlPlN2at6native12_GLOBAL__N_18offset_tEEE10hipError_tPvRmT1_PNSt15iterator_traitsIS13_E10value_typeET2_T3_PNS14_IS19_E10value_typeET4_jRbjT5_S1F_jjP12ihipStream_tbEUljE_ZNSN_ISO_Lb0ESR_SS_SU_SV_SZ_EES10_S11_S12_S13_S17_S18_S19_S1C_S1D_jS1E_jS1F_S1F_jjS1H_bEUljE0_EEES10_S11_S12_S19_S1D_S1F_T6_T7_T9_mT8_S1H_bDpT10_ENKUlT_T0_E_clISt17integral_constantIbLb0EES1V_EEDaS1Q_S1R_EUlS1Q_E_NS1_11comp_targetILNS1_3genE5ELNS1_11target_archE942ELNS1_3gpuE9ELNS1_3repE0EEENS1_30default_config_static_selectorELNS0_4arch9wavefront6targetE1EEEvS13_
	.p2align	8
	.type	_ZN7rocprim17ROCPRIM_400000_NS6detail17trampoline_kernelINS0_13select_configILj256ELj13ELNS0_17block_load_methodE3ELS4_3ELS4_3ELNS0_20block_scan_algorithmE0ELj4294967295EEENS1_25partition_config_selectorILNS1_17partition_subalgoE4EjNS0_10empty_typeEbEEZZNS1_14partition_implILS8_4ELb0ES6_15HIP_vector_typeIjLj2EENS0_17counting_iteratorIjlEEPS9_SG_NS0_5tupleIJPjSI_NS0_16reverse_iteratorISI_EEEEENSH_IJSG_SG_SG_EEES9_SI_JZNS1_25segmented_radix_sort_implINS0_14default_configELb0EPK6__halfPSP_PKlPlN2at6native12_GLOBAL__N_18offset_tEEE10hipError_tPvRmT1_PNSt15iterator_traitsIS13_E10value_typeET2_T3_PNS14_IS19_E10value_typeET4_jRbjT5_S1F_jjP12ihipStream_tbEUljE_ZNSN_ISO_Lb0ESR_SS_SU_SV_SZ_EES10_S11_S12_S13_S17_S18_S19_S1C_S1D_jS1E_jS1F_S1F_jjS1H_bEUljE0_EEES10_S11_S12_S19_S1D_S1F_T6_T7_T9_mT8_S1H_bDpT10_ENKUlT_T0_E_clISt17integral_constantIbLb0EES1V_EEDaS1Q_S1R_EUlS1Q_E_NS1_11comp_targetILNS1_3genE5ELNS1_11target_archE942ELNS1_3gpuE9ELNS1_3repE0EEENS1_30default_config_static_selectorELNS0_4arch9wavefront6targetE1EEEvS13_,@function
_ZN7rocprim17ROCPRIM_400000_NS6detail17trampoline_kernelINS0_13select_configILj256ELj13ELNS0_17block_load_methodE3ELS4_3ELS4_3ELNS0_20block_scan_algorithmE0ELj4294967295EEENS1_25partition_config_selectorILNS1_17partition_subalgoE4EjNS0_10empty_typeEbEEZZNS1_14partition_implILS8_4ELb0ES6_15HIP_vector_typeIjLj2EENS0_17counting_iteratorIjlEEPS9_SG_NS0_5tupleIJPjSI_NS0_16reverse_iteratorISI_EEEEENSH_IJSG_SG_SG_EEES9_SI_JZNS1_25segmented_radix_sort_implINS0_14default_configELb0EPK6__halfPSP_PKlPlN2at6native12_GLOBAL__N_18offset_tEEE10hipError_tPvRmT1_PNSt15iterator_traitsIS13_E10value_typeET2_T3_PNS14_IS19_E10value_typeET4_jRbjT5_S1F_jjP12ihipStream_tbEUljE_ZNSN_ISO_Lb0ESR_SS_SU_SV_SZ_EES10_S11_S12_S13_S17_S18_S19_S1C_S1D_jS1E_jS1F_S1F_jjS1H_bEUljE0_EEES10_S11_S12_S19_S1D_S1F_T6_T7_T9_mT8_S1H_bDpT10_ENKUlT_T0_E_clISt17integral_constantIbLb0EES1V_EEDaS1Q_S1R_EUlS1Q_E_NS1_11comp_targetILNS1_3genE5ELNS1_11target_archE942ELNS1_3gpuE9ELNS1_3repE0EEENS1_30default_config_static_selectorELNS0_4arch9wavefront6targetE1EEEvS13_: ; @_ZN7rocprim17ROCPRIM_400000_NS6detail17trampoline_kernelINS0_13select_configILj256ELj13ELNS0_17block_load_methodE3ELS4_3ELS4_3ELNS0_20block_scan_algorithmE0ELj4294967295EEENS1_25partition_config_selectorILNS1_17partition_subalgoE4EjNS0_10empty_typeEbEEZZNS1_14partition_implILS8_4ELb0ES6_15HIP_vector_typeIjLj2EENS0_17counting_iteratorIjlEEPS9_SG_NS0_5tupleIJPjSI_NS0_16reverse_iteratorISI_EEEEENSH_IJSG_SG_SG_EEES9_SI_JZNS1_25segmented_radix_sort_implINS0_14default_configELb0EPK6__halfPSP_PKlPlN2at6native12_GLOBAL__N_18offset_tEEE10hipError_tPvRmT1_PNSt15iterator_traitsIS13_E10value_typeET2_T3_PNS14_IS19_E10value_typeET4_jRbjT5_S1F_jjP12ihipStream_tbEUljE_ZNSN_ISO_Lb0ESR_SS_SU_SV_SZ_EES10_S11_S12_S13_S17_S18_S19_S1C_S1D_jS1E_jS1F_S1F_jjS1H_bEUljE0_EEES10_S11_S12_S19_S1D_S1F_T6_T7_T9_mT8_S1H_bDpT10_ENKUlT_T0_E_clISt17integral_constantIbLb0EES1V_EEDaS1Q_S1R_EUlS1Q_E_NS1_11comp_targetILNS1_3genE5ELNS1_11target_archE942ELNS1_3gpuE9ELNS1_3repE0EEENS1_30default_config_static_selectorELNS0_4arch9wavefront6targetE1EEEvS13_
; %bb.0:
	.section	.rodata,"a",@progbits
	.p2align	6, 0x0
	.amdhsa_kernel _ZN7rocprim17ROCPRIM_400000_NS6detail17trampoline_kernelINS0_13select_configILj256ELj13ELNS0_17block_load_methodE3ELS4_3ELS4_3ELNS0_20block_scan_algorithmE0ELj4294967295EEENS1_25partition_config_selectorILNS1_17partition_subalgoE4EjNS0_10empty_typeEbEEZZNS1_14partition_implILS8_4ELb0ES6_15HIP_vector_typeIjLj2EENS0_17counting_iteratorIjlEEPS9_SG_NS0_5tupleIJPjSI_NS0_16reverse_iteratorISI_EEEEENSH_IJSG_SG_SG_EEES9_SI_JZNS1_25segmented_radix_sort_implINS0_14default_configELb0EPK6__halfPSP_PKlPlN2at6native12_GLOBAL__N_18offset_tEEE10hipError_tPvRmT1_PNSt15iterator_traitsIS13_E10value_typeET2_T3_PNS14_IS19_E10value_typeET4_jRbjT5_S1F_jjP12ihipStream_tbEUljE_ZNSN_ISO_Lb0ESR_SS_SU_SV_SZ_EES10_S11_S12_S13_S17_S18_S19_S1C_S1D_jS1E_jS1F_S1F_jjS1H_bEUljE0_EEES10_S11_S12_S19_S1D_S1F_T6_T7_T9_mT8_S1H_bDpT10_ENKUlT_T0_E_clISt17integral_constantIbLb0EES1V_EEDaS1Q_S1R_EUlS1Q_E_NS1_11comp_targetILNS1_3genE5ELNS1_11target_archE942ELNS1_3gpuE9ELNS1_3repE0EEENS1_30default_config_static_selectorELNS0_4arch9wavefront6targetE1EEEvS13_
		.amdhsa_group_segment_fixed_size 0
		.amdhsa_private_segment_fixed_size 0
		.amdhsa_kernarg_size 176
		.amdhsa_user_sgpr_count 6
		.amdhsa_user_sgpr_private_segment_buffer 1
		.amdhsa_user_sgpr_dispatch_ptr 0
		.amdhsa_user_sgpr_queue_ptr 0
		.amdhsa_user_sgpr_kernarg_segment_ptr 1
		.amdhsa_user_sgpr_dispatch_id 0
		.amdhsa_user_sgpr_flat_scratch_init 0
		.amdhsa_user_sgpr_private_segment_size 0
		.amdhsa_uses_dynamic_stack 0
		.amdhsa_system_sgpr_private_segment_wavefront_offset 0
		.amdhsa_system_sgpr_workgroup_id_x 1
		.amdhsa_system_sgpr_workgroup_id_y 0
		.amdhsa_system_sgpr_workgroup_id_z 0
		.amdhsa_system_sgpr_workgroup_info 0
		.amdhsa_system_vgpr_workitem_id 0
		.amdhsa_next_free_vgpr 1
		.amdhsa_next_free_sgpr 0
		.amdhsa_reserve_vcc 0
		.amdhsa_reserve_flat_scratch 0
		.amdhsa_float_round_mode_32 0
		.amdhsa_float_round_mode_16_64 0
		.amdhsa_float_denorm_mode_32 3
		.amdhsa_float_denorm_mode_16_64 3
		.amdhsa_dx10_clamp 1
		.amdhsa_ieee_mode 1
		.amdhsa_fp16_overflow 0
		.amdhsa_exception_fp_ieee_invalid_op 0
		.amdhsa_exception_fp_denorm_src 0
		.amdhsa_exception_fp_ieee_div_zero 0
		.amdhsa_exception_fp_ieee_overflow 0
		.amdhsa_exception_fp_ieee_underflow 0
		.amdhsa_exception_fp_ieee_inexact 0
		.amdhsa_exception_int_div_zero 0
	.end_amdhsa_kernel
	.section	.text._ZN7rocprim17ROCPRIM_400000_NS6detail17trampoline_kernelINS0_13select_configILj256ELj13ELNS0_17block_load_methodE3ELS4_3ELS4_3ELNS0_20block_scan_algorithmE0ELj4294967295EEENS1_25partition_config_selectorILNS1_17partition_subalgoE4EjNS0_10empty_typeEbEEZZNS1_14partition_implILS8_4ELb0ES6_15HIP_vector_typeIjLj2EENS0_17counting_iteratorIjlEEPS9_SG_NS0_5tupleIJPjSI_NS0_16reverse_iteratorISI_EEEEENSH_IJSG_SG_SG_EEES9_SI_JZNS1_25segmented_radix_sort_implINS0_14default_configELb0EPK6__halfPSP_PKlPlN2at6native12_GLOBAL__N_18offset_tEEE10hipError_tPvRmT1_PNSt15iterator_traitsIS13_E10value_typeET2_T3_PNS14_IS19_E10value_typeET4_jRbjT5_S1F_jjP12ihipStream_tbEUljE_ZNSN_ISO_Lb0ESR_SS_SU_SV_SZ_EES10_S11_S12_S13_S17_S18_S19_S1C_S1D_jS1E_jS1F_S1F_jjS1H_bEUljE0_EEES10_S11_S12_S19_S1D_S1F_T6_T7_T9_mT8_S1H_bDpT10_ENKUlT_T0_E_clISt17integral_constantIbLb0EES1V_EEDaS1Q_S1R_EUlS1Q_E_NS1_11comp_targetILNS1_3genE5ELNS1_11target_archE942ELNS1_3gpuE9ELNS1_3repE0EEENS1_30default_config_static_selectorELNS0_4arch9wavefront6targetE1EEEvS13_,"axG",@progbits,_ZN7rocprim17ROCPRIM_400000_NS6detail17trampoline_kernelINS0_13select_configILj256ELj13ELNS0_17block_load_methodE3ELS4_3ELS4_3ELNS0_20block_scan_algorithmE0ELj4294967295EEENS1_25partition_config_selectorILNS1_17partition_subalgoE4EjNS0_10empty_typeEbEEZZNS1_14partition_implILS8_4ELb0ES6_15HIP_vector_typeIjLj2EENS0_17counting_iteratorIjlEEPS9_SG_NS0_5tupleIJPjSI_NS0_16reverse_iteratorISI_EEEEENSH_IJSG_SG_SG_EEES9_SI_JZNS1_25segmented_radix_sort_implINS0_14default_configELb0EPK6__halfPSP_PKlPlN2at6native12_GLOBAL__N_18offset_tEEE10hipError_tPvRmT1_PNSt15iterator_traitsIS13_E10value_typeET2_T3_PNS14_IS19_E10value_typeET4_jRbjT5_S1F_jjP12ihipStream_tbEUljE_ZNSN_ISO_Lb0ESR_SS_SU_SV_SZ_EES10_S11_S12_S13_S17_S18_S19_S1C_S1D_jS1E_jS1F_S1F_jjS1H_bEUljE0_EEES10_S11_S12_S19_S1D_S1F_T6_T7_T9_mT8_S1H_bDpT10_ENKUlT_T0_E_clISt17integral_constantIbLb0EES1V_EEDaS1Q_S1R_EUlS1Q_E_NS1_11comp_targetILNS1_3genE5ELNS1_11target_archE942ELNS1_3gpuE9ELNS1_3repE0EEENS1_30default_config_static_selectorELNS0_4arch9wavefront6targetE1EEEvS13_,comdat
.Lfunc_end1779:
	.size	_ZN7rocprim17ROCPRIM_400000_NS6detail17trampoline_kernelINS0_13select_configILj256ELj13ELNS0_17block_load_methodE3ELS4_3ELS4_3ELNS0_20block_scan_algorithmE0ELj4294967295EEENS1_25partition_config_selectorILNS1_17partition_subalgoE4EjNS0_10empty_typeEbEEZZNS1_14partition_implILS8_4ELb0ES6_15HIP_vector_typeIjLj2EENS0_17counting_iteratorIjlEEPS9_SG_NS0_5tupleIJPjSI_NS0_16reverse_iteratorISI_EEEEENSH_IJSG_SG_SG_EEES9_SI_JZNS1_25segmented_radix_sort_implINS0_14default_configELb0EPK6__halfPSP_PKlPlN2at6native12_GLOBAL__N_18offset_tEEE10hipError_tPvRmT1_PNSt15iterator_traitsIS13_E10value_typeET2_T3_PNS14_IS19_E10value_typeET4_jRbjT5_S1F_jjP12ihipStream_tbEUljE_ZNSN_ISO_Lb0ESR_SS_SU_SV_SZ_EES10_S11_S12_S13_S17_S18_S19_S1C_S1D_jS1E_jS1F_S1F_jjS1H_bEUljE0_EEES10_S11_S12_S19_S1D_S1F_T6_T7_T9_mT8_S1H_bDpT10_ENKUlT_T0_E_clISt17integral_constantIbLb0EES1V_EEDaS1Q_S1R_EUlS1Q_E_NS1_11comp_targetILNS1_3genE5ELNS1_11target_archE942ELNS1_3gpuE9ELNS1_3repE0EEENS1_30default_config_static_selectorELNS0_4arch9wavefront6targetE1EEEvS13_, .Lfunc_end1779-_ZN7rocprim17ROCPRIM_400000_NS6detail17trampoline_kernelINS0_13select_configILj256ELj13ELNS0_17block_load_methodE3ELS4_3ELS4_3ELNS0_20block_scan_algorithmE0ELj4294967295EEENS1_25partition_config_selectorILNS1_17partition_subalgoE4EjNS0_10empty_typeEbEEZZNS1_14partition_implILS8_4ELb0ES6_15HIP_vector_typeIjLj2EENS0_17counting_iteratorIjlEEPS9_SG_NS0_5tupleIJPjSI_NS0_16reverse_iteratorISI_EEEEENSH_IJSG_SG_SG_EEES9_SI_JZNS1_25segmented_radix_sort_implINS0_14default_configELb0EPK6__halfPSP_PKlPlN2at6native12_GLOBAL__N_18offset_tEEE10hipError_tPvRmT1_PNSt15iterator_traitsIS13_E10value_typeET2_T3_PNS14_IS19_E10value_typeET4_jRbjT5_S1F_jjP12ihipStream_tbEUljE_ZNSN_ISO_Lb0ESR_SS_SU_SV_SZ_EES10_S11_S12_S13_S17_S18_S19_S1C_S1D_jS1E_jS1F_S1F_jjS1H_bEUljE0_EEES10_S11_S12_S19_S1D_S1F_T6_T7_T9_mT8_S1H_bDpT10_ENKUlT_T0_E_clISt17integral_constantIbLb0EES1V_EEDaS1Q_S1R_EUlS1Q_E_NS1_11comp_targetILNS1_3genE5ELNS1_11target_archE942ELNS1_3gpuE9ELNS1_3repE0EEENS1_30default_config_static_selectorELNS0_4arch9wavefront6targetE1EEEvS13_
                                        ; -- End function
	.set _ZN7rocprim17ROCPRIM_400000_NS6detail17trampoline_kernelINS0_13select_configILj256ELj13ELNS0_17block_load_methodE3ELS4_3ELS4_3ELNS0_20block_scan_algorithmE0ELj4294967295EEENS1_25partition_config_selectorILNS1_17partition_subalgoE4EjNS0_10empty_typeEbEEZZNS1_14partition_implILS8_4ELb0ES6_15HIP_vector_typeIjLj2EENS0_17counting_iteratorIjlEEPS9_SG_NS0_5tupleIJPjSI_NS0_16reverse_iteratorISI_EEEEENSH_IJSG_SG_SG_EEES9_SI_JZNS1_25segmented_radix_sort_implINS0_14default_configELb0EPK6__halfPSP_PKlPlN2at6native12_GLOBAL__N_18offset_tEEE10hipError_tPvRmT1_PNSt15iterator_traitsIS13_E10value_typeET2_T3_PNS14_IS19_E10value_typeET4_jRbjT5_S1F_jjP12ihipStream_tbEUljE_ZNSN_ISO_Lb0ESR_SS_SU_SV_SZ_EES10_S11_S12_S13_S17_S18_S19_S1C_S1D_jS1E_jS1F_S1F_jjS1H_bEUljE0_EEES10_S11_S12_S19_S1D_S1F_T6_T7_T9_mT8_S1H_bDpT10_ENKUlT_T0_E_clISt17integral_constantIbLb0EES1V_EEDaS1Q_S1R_EUlS1Q_E_NS1_11comp_targetILNS1_3genE5ELNS1_11target_archE942ELNS1_3gpuE9ELNS1_3repE0EEENS1_30default_config_static_selectorELNS0_4arch9wavefront6targetE1EEEvS13_.num_vgpr, 0
	.set _ZN7rocprim17ROCPRIM_400000_NS6detail17trampoline_kernelINS0_13select_configILj256ELj13ELNS0_17block_load_methodE3ELS4_3ELS4_3ELNS0_20block_scan_algorithmE0ELj4294967295EEENS1_25partition_config_selectorILNS1_17partition_subalgoE4EjNS0_10empty_typeEbEEZZNS1_14partition_implILS8_4ELb0ES6_15HIP_vector_typeIjLj2EENS0_17counting_iteratorIjlEEPS9_SG_NS0_5tupleIJPjSI_NS0_16reverse_iteratorISI_EEEEENSH_IJSG_SG_SG_EEES9_SI_JZNS1_25segmented_radix_sort_implINS0_14default_configELb0EPK6__halfPSP_PKlPlN2at6native12_GLOBAL__N_18offset_tEEE10hipError_tPvRmT1_PNSt15iterator_traitsIS13_E10value_typeET2_T3_PNS14_IS19_E10value_typeET4_jRbjT5_S1F_jjP12ihipStream_tbEUljE_ZNSN_ISO_Lb0ESR_SS_SU_SV_SZ_EES10_S11_S12_S13_S17_S18_S19_S1C_S1D_jS1E_jS1F_S1F_jjS1H_bEUljE0_EEES10_S11_S12_S19_S1D_S1F_T6_T7_T9_mT8_S1H_bDpT10_ENKUlT_T0_E_clISt17integral_constantIbLb0EES1V_EEDaS1Q_S1R_EUlS1Q_E_NS1_11comp_targetILNS1_3genE5ELNS1_11target_archE942ELNS1_3gpuE9ELNS1_3repE0EEENS1_30default_config_static_selectorELNS0_4arch9wavefront6targetE1EEEvS13_.num_agpr, 0
	.set _ZN7rocprim17ROCPRIM_400000_NS6detail17trampoline_kernelINS0_13select_configILj256ELj13ELNS0_17block_load_methodE3ELS4_3ELS4_3ELNS0_20block_scan_algorithmE0ELj4294967295EEENS1_25partition_config_selectorILNS1_17partition_subalgoE4EjNS0_10empty_typeEbEEZZNS1_14partition_implILS8_4ELb0ES6_15HIP_vector_typeIjLj2EENS0_17counting_iteratorIjlEEPS9_SG_NS0_5tupleIJPjSI_NS0_16reverse_iteratorISI_EEEEENSH_IJSG_SG_SG_EEES9_SI_JZNS1_25segmented_radix_sort_implINS0_14default_configELb0EPK6__halfPSP_PKlPlN2at6native12_GLOBAL__N_18offset_tEEE10hipError_tPvRmT1_PNSt15iterator_traitsIS13_E10value_typeET2_T3_PNS14_IS19_E10value_typeET4_jRbjT5_S1F_jjP12ihipStream_tbEUljE_ZNSN_ISO_Lb0ESR_SS_SU_SV_SZ_EES10_S11_S12_S13_S17_S18_S19_S1C_S1D_jS1E_jS1F_S1F_jjS1H_bEUljE0_EEES10_S11_S12_S19_S1D_S1F_T6_T7_T9_mT8_S1H_bDpT10_ENKUlT_T0_E_clISt17integral_constantIbLb0EES1V_EEDaS1Q_S1R_EUlS1Q_E_NS1_11comp_targetILNS1_3genE5ELNS1_11target_archE942ELNS1_3gpuE9ELNS1_3repE0EEENS1_30default_config_static_selectorELNS0_4arch9wavefront6targetE1EEEvS13_.numbered_sgpr, 0
	.set _ZN7rocprim17ROCPRIM_400000_NS6detail17trampoline_kernelINS0_13select_configILj256ELj13ELNS0_17block_load_methodE3ELS4_3ELS4_3ELNS0_20block_scan_algorithmE0ELj4294967295EEENS1_25partition_config_selectorILNS1_17partition_subalgoE4EjNS0_10empty_typeEbEEZZNS1_14partition_implILS8_4ELb0ES6_15HIP_vector_typeIjLj2EENS0_17counting_iteratorIjlEEPS9_SG_NS0_5tupleIJPjSI_NS0_16reverse_iteratorISI_EEEEENSH_IJSG_SG_SG_EEES9_SI_JZNS1_25segmented_radix_sort_implINS0_14default_configELb0EPK6__halfPSP_PKlPlN2at6native12_GLOBAL__N_18offset_tEEE10hipError_tPvRmT1_PNSt15iterator_traitsIS13_E10value_typeET2_T3_PNS14_IS19_E10value_typeET4_jRbjT5_S1F_jjP12ihipStream_tbEUljE_ZNSN_ISO_Lb0ESR_SS_SU_SV_SZ_EES10_S11_S12_S13_S17_S18_S19_S1C_S1D_jS1E_jS1F_S1F_jjS1H_bEUljE0_EEES10_S11_S12_S19_S1D_S1F_T6_T7_T9_mT8_S1H_bDpT10_ENKUlT_T0_E_clISt17integral_constantIbLb0EES1V_EEDaS1Q_S1R_EUlS1Q_E_NS1_11comp_targetILNS1_3genE5ELNS1_11target_archE942ELNS1_3gpuE9ELNS1_3repE0EEENS1_30default_config_static_selectorELNS0_4arch9wavefront6targetE1EEEvS13_.num_named_barrier, 0
	.set _ZN7rocprim17ROCPRIM_400000_NS6detail17trampoline_kernelINS0_13select_configILj256ELj13ELNS0_17block_load_methodE3ELS4_3ELS4_3ELNS0_20block_scan_algorithmE0ELj4294967295EEENS1_25partition_config_selectorILNS1_17partition_subalgoE4EjNS0_10empty_typeEbEEZZNS1_14partition_implILS8_4ELb0ES6_15HIP_vector_typeIjLj2EENS0_17counting_iteratorIjlEEPS9_SG_NS0_5tupleIJPjSI_NS0_16reverse_iteratorISI_EEEEENSH_IJSG_SG_SG_EEES9_SI_JZNS1_25segmented_radix_sort_implINS0_14default_configELb0EPK6__halfPSP_PKlPlN2at6native12_GLOBAL__N_18offset_tEEE10hipError_tPvRmT1_PNSt15iterator_traitsIS13_E10value_typeET2_T3_PNS14_IS19_E10value_typeET4_jRbjT5_S1F_jjP12ihipStream_tbEUljE_ZNSN_ISO_Lb0ESR_SS_SU_SV_SZ_EES10_S11_S12_S13_S17_S18_S19_S1C_S1D_jS1E_jS1F_S1F_jjS1H_bEUljE0_EEES10_S11_S12_S19_S1D_S1F_T6_T7_T9_mT8_S1H_bDpT10_ENKUlT_T0_E_clISt17integral_constantIbLb0EES1V_EEDaS1Q_S1R_EUlS1Q_E_NS1_11comp_targetILNS1_3genE5ELNS1_11target_archE942ELNS1_3gpuE9ELNS1_3repE0EEENS1_30default_config_static_selectorELNS0_4arch9wavefront6targetE1EEEvS13_.private_seg_size, 0
	.set _ZN7rocprim17ROCPRIM_400000_NS6detail17trampoline_kernelINS0_13select_configILj256ELj13ELNS0_17block_load_methodE3ELS4_3ELS4_3ELNS0_20block_scan_algorithmE0ELj4294967295EEENS1_25partition_config_selectorILNS1_17partition_subalgoE4EjNS0_10empty_typeEbEEZZNS1_14partition_implILS8_4ELb0ES6_15HIP_vector_typeIjLj2EENS0_17counting_iteratorIjlEEPS9_SG_NS0_5tupleIJPjSI_NS0_16reverse_iteratorISI_EEEEENSH_IJSG_SG_SG_EEES9_SI_JZNS1_25segmented_radix_sort_implINS0_14default_configELb0EPK6__halfPSP_PKlPlN2at6native12_GLOBAL__N_18offset_tEEE10hipError_tPvRmT1_PNSt15iterator_traitsIS13_E10value_typeET2_T3_PNS14_IS19_E10value_typeET4_jRbjT5_S1F_jjP12ihipStream_tbEUljE_ZNSN_ISO_Lb0ESR_SS_SU_SV_SZ_EES10_S11_S12_S13_S17_S18_S19_S1C_S1D_jS1E_jS1F_S1F_jjS1H_bEUljE0_EEES10_S11_S12_S19_S1D_S1F_T6_T7_T9_mT8_S1H_bDpT10_ENKUlT_T0_E_clISt17integral_constantIbLb0EES1V_EEDaS1Q_S1R_EUlS1Q_E_NS1_11comp_targetILNS1_3genE5ELNS1_11target_archE942ELNS1_3gpuE9ELNS1_3repE0EEENS1_30default_config_static_selectorELNS0_4arch9wavefront6targetE1EEEvS13_.uses_vcc, 0
	.set _ZN7rocprim17ROCPRIM_400000_NS6detail17trampoline_kernelINS0_13select_configILj256ELj13ELNS0_17block_load_methodE3ELS4_3ELS4_3ELNS0_20block_scan_algorithmE0ELj4294967295EEENS1_25partition_config_selectorILNS1_17partition_subalgoE4EjNS0_10empty_typeEbEEZZNS1_14partition_implILS8_4ELb0ES6_15HIP_vector_typeIjLj2EENS0_17counting_iteratorIjlEEPS9_SG_NS0_5tupleIJPjSI_NS0_16reverse_iteratorISI_EEEEENSH_IJSG_SG_SG_EEES9_SI_JZNS1_25segmented_radix_sort_implINS0_14default_configELb0EPK6__halfPSP_PKlPlN2at6native12_GLOBAL__N_18offset_tEEE10hipError_tPvRmT1_PNSt15iterator_traitsIS13_E10value_typeET2_T3_PNS14_IS19_E10value_typeET4_jRbjT5_S1F_jjP12ihipStream_tbEUljE_ZNSN_ISO_Lb0ESR_SS_SU_SV_SZ_EES10_S11_S12_S13_S17_S18_S19_S1C_S1D_jS1E_jS1F_S1F_jjS1H_bEUljE0_EEES10_S11_S12_S19_S1D_S1F_T6_T7_T9_mT8_S1H_bDpT10_ENKUlT_T0_E_clISt17integral_constantIbLb0EES1V_EEDaS1Q_S1R_EUlS1Q_E_NS1_11comp_targetILNS1_3genE5ELNS1_11target_archE942ELNS1_3gpuE9ELNS1_3repE0EEENS1_30default_config_static_selectorELNS0_4arch9wavefront6targetE1EEEvS13_.uses_flat_scratch, 0
	.set _ZN7rocprim17ROCPRIM_400000_NS6detail17trampoline_kernelINS0_13select_configILj256ELj13ELNS0_17block_load_methodE3ELS4_3ELS4_3ELNS0_20block_scan_algorithmE0ELj4294967295EEENS1_25partition_config_selectorILNS1_17partition_subalgoE4EjNS0_10empty_typeEbEEZZNS1_14partition_implILS8_4ELb0ES6_15HIP_vector_typeIjLj2EENS0_17counting_iteratorIjlEEPS9_SG_NS0_5tupleIJPjSI_NS0_16reverse_iteratorISI_EEEEENSH_IJSG_SG_SG_EEES9_SI_JZNS1_25segmented_radix_sort_implINS0_14default_configELb0EPK6__halfPSP_PKlPlN2at6native12_GLOBAL__N_18offset_tEEE10hipError_tPvRmT1_PNSt15iterator_traitsIS13_E10value_typeET2_T3_PNS14_IS19_E10value_typeET4_jRbjT5_S1F_jjP12ihipStream_tbEUljE_ZNSN_ISO_Lb0ESR_SS_SU_SV_SZ_EES10_S11_S12_S13_S17_S18_S19_S1C_S1D_jS1E_jS1F_S1F_jjS1H_bEUljE0_EEES10_S11_S12_S19_S1D_S1F_T6_T7_T9_mT8_S1H_bDpT10_ENKUlT_T0_E_clISt17integral_constantIbLb0EES1V_EEDaS1Q_S1R_EUlS1Q_E_NS1_11comp_targetILNS1_3genE5ELNS1_11target_archE942ELNS1_3gpuE9ELNS1_3repE0EEENS1_30default_config_static_selectorELNS0_4arch9wavefront6targetE1EEEvS13_.has_dyn_sized_stack, 0
	.set _ZN7rocprim17ROCPRIM_400000_NS6detail17trampoline_kernelINS0_13select_configILj256ELj13ELNS0_17block_load_methodE3ELS4_3ELS4_3ELNS0_20block_scan_algorithmE0ELj4294967295EEENS1_25partition_config_selectorILNS1_17partition_subalgoE4EjNS0_10empty_typeEbEEZZNS1_14partition_implILS8_4ELb0ES6_15HIP_vector_typeIjLj2EENS0_17counting_iteratorIjlEEPS9_SG_NS0_5tupleIJPjSI_NS0_16reverse_iteratorISI_EEEEENSH_IJSG_SG_SG_EEES9_SI_JZNS1_25segmented_radix_sort_implINS0_14default_configELb0EPK6__halfPSP_PKlPlN2at6native12_GLOBAL__N_18offset_tEEE10hipError_tPvRmT1_PNSt15iterator_traitsIS13_E10value_typeET2_T3_PNS14_IS19_E10value_typeET4_jRbjT5_S1F_jjP12ihipStream_tbEUljE_ZNSN_ISO_Lb0ESR_SS_SU_SV_SZ_EES10_S11_S12_S13_S17_S18_S19_S1C_S1D_jS1E_jS1F_S1F_jjS1H_bEUljE0_EEES10_S11_S12_S19_S1D_S1F_T6_T7_T9_mT8_S1H_bDpT10_ENKUlT_T0_E_clISt17integral_constantIbLb0EES1V_EEDaS1Q_S1R_EUlS1Q_E_NS1_11comp_targetILNS1_3genE5ELNS1_11target_archE942ELNS1_3gpuE9ELNS1_3repE0EEENS1_30default_config_static_selectorELNS0_4arch9wavefront6targetE1EEEvS13_.has_recursion, 0
	.set _ZN7rocprim17ROCPRIM_400000_NS6detail17trampoline_kernelINS0_13select_configILj256ELj13ELNS0_17block_load_methodE3ELS4_3ELS4_3ELNS0_20block_scan_algorithmE0ELj4294967295EEENS1_25partition_config_selectorILNS1_17partition_subalgoE4EjNS0_10empty_typeEbEEZZNS1_14partition_implILS8_4ELb0ES6_15HIP_vector_typeIjLj2EENS0_17counting_iteratorIjlEEPS9_SG_NS0_5tupleIJPjSI_NS0_16reverse_iteratorISI_EEEEENSH_IJSG_SG_SG_EEES9_SI_JZNS1_25segmented_radix_sort_implINS0_14default_configELb0EPK6__halfPSP_PKlPlN2at6native12_GLOBAL__N_18offset_tEEE10hipError_tPvRmT1_PNSt15iterator_traitsIS13_E10value_typeET2_T3_PNS14_IS19_E10value_typeET4_jRbjT5_S1F_jjP12ihipStream_tbEUljE_ZNSN_ISO_Lb0ESR_SS_SU_SV_SZ_EES10_S11_S12_S13_S17_S18_S19_S1C_S1D_jS1E_jS1F_S1F_jjS1H_bEUljE0_EEES10_S11_S12_S19_S1D_S1F_T6_T7_T9_mT8_S1H_bDpT10_ENKUlT_T0_E_clISt17integral_constantIbLb0EES1V_EEDaS1Q_S1R_EUlS1Q_E_NS1_11comp_targetILNS1_3genE5ELNS1_11target_archE942ELNS1_3gpuE9ELNS1_3repE0EEENS1_30default_config_static_selectorELNS0_4arch9wavefront6targetE1EEEvS13_.has_indirect_call, 0
	.section	.AMDGPU.csdata,"",@progbits
; Kernel info:
; codeLenInByte = 0
; TotalNumSgprs: 4
; NumVgprs: 0
; ScratchSize: 0
; MemoryBound: 0
; FloatMode: 240
; IeeeMode: 1
; LDSByteSize: 0 bytes/workgroup (compile time only)
; SGPRBlocks: 0
; VGPRBlocks: 0
; NumSGPRsForWavesPerEU: 4
; NumVGPRsForWavesPerEU: 1
; Occupancy: 10
; WaveLimiterHint : 0
; COMPUTE_PGM_RSRC2:SCRATCH_EN: 0
; COMPUTE_PGM_RSRC2:USER_SGPR: 6
; COMPUTE_PGM_RSRC2:TRAP_HANDLER: 0
; COMPUTE_PGM_RSRC2:TGID_X_EN: 1
; COMPUTE_PGM_RSRC2:TGID_Y_EN: 0
; COMPUTE_PGM_RSRC2:TGID_Z_EN: 0
; COMPUTE_PGM_RSRC2:TIDIG_COMP_CNT: 0
	.section	.text._ZN7rocprim17ROCPRIM_400000_NS6detail17trampoline_kernelINS0_13select_configILj256ELj13ELNS0_17block_load_methodE3ELS4_3ELS4_3ELNS0_20block_scan_algorithmE0ELj4294967295EEENS1_25partition_config_selectorILNS1_17partition_subalgoE4EjNS0_10empty_typeEbEEZZNS1_14partition_implILS8_4ELb0ES6_15HIP_vector_typeIjLj2EENS0_17counting_iteratorIjlEEPS9_SG_NS0_5tupleIJPjSI_NS0_16reverse_iteratorISI_EEEEENSH_IJSG_SG_SG_EEES9_SI_JZNS1_25segmented_radix_sort_implINS0_14default_configELb0EPK6__halfPSP_PKlPlN2at6native12_GLOBAL__N_18offset_tEEE10hipError_tPvRmT1_PNSt15iterator_traitsIS13_E10value_typeET2_T3_PNS14_IS19_E10value_typeET4_jRbjT5_S1F_jjP12ihipStream_tbEUljE_ZNSN_ISO_Lb0ESR_SS_SU_SV_SZ_EES10_S11_S12_S13_S17_S18_S19_S1C_S1D_jS1E_jS1F_S1F_jjS1H_bEUljE0_EEES10_S11_S12_S19_S1D_S1F_T6_T7_T9_mT8_S1H_bDpT10_ENKUlT_T0_E_clISt17integral_constantIbLb0EES1V_EEDaS1Q_S1R_EUlS1Q_E_NS1_11comp_targetILNS1_3genE4ELNS1_11target_archE910ELNS1_3gpuE8ELNS1_3repE0EEENS1_30default_config_static_selectorELNS0_4arch9wavefront6targetE1EEEvS13_,"axG",@progbits,_ZN7rocprim17ROCPRIM_400000_NS6detail17trampoline_kernelINS0_13select_configILj256ELj13ELNS0_17block_load_methodE3ELS4_3ELS4_3ELNS0_20block_scan_algorithmE0ELj4294967295EEENS1_25partition_config_selectorILNS1_17partition_subalgoE4EjNS0_10empty_typeEbEEZZNS1_14partition_implILS8_4ELb0ES6_15HIP_vector_typeIjLj2EENS0_17counting_iteratorIjlEEPS9_SG_NS0_5tupleIJPjSI_NS0_16reverse_iteratorISI_EEEEENSH_IJSG_SG_SG_EEES9_SI_JZNS1_25segmented_radix_sort_implINS0_14default_configELb0EPK6__halfPSP_PKlPlN2at6native12_GLOBAL__N_18offset_tEEE10hipError_tPvRmT1_PNSt15iterator_traitsIS13_E10value_typeET2_T3_PNS14_IS19_E10value_typeET4_jRbjT5_S1F_jjP12ihipStream_tbEUljE_ZNSN_ISO_Lb0ESR_SS_SU_SV_SZ_EES10_S11_S12_S13_S17_S18_S19_S1C_S1D_jS1E_jS1F_S1F_jjS1H_bEUljE0_EEES10_S11_S12_S19_S1D_S1F_T6_T7_T9_mT8_S1H_bDpT10_ENKUlT_T0_E_clISt17integral_constantIbLb0EES1V_EEDaS1Q_S1R_EUlS1Q_E_NS1_11comp_targetILNS1_3genE4ELNS1_11target_archE910ELNS1_3gpuE8ELNS1_3repE0EEENS1_30default_config_static_selectorELNS0_4arch9wavefront6targetE1EEEvS13_,comdat
	.globl	_ZN7rocprim17ROCPRIM_400000_NS6detail17trampoline_kernelINS0_13select_configILj256ELj13ELNS0_17block_load_methodE3ELS4_3ELS4_3ELNS0_20block_scan_algorithmE0ELj4294967295EEENS1_25partition_config_selectorILNS1_17partition_subalgoE4EjNS0_10empty_typeEbEEZZNS1_14partition_implILS8_4ELb0ES6_15HIP_vector_typeIjLj2EENS0_17counting_iteratorIjlEEPS9_SG_NS0_5tupleIJPjSI_NS0_16reverse_iteratorISI_EEEEENSH_IJSG_SG_SG_EEES9_SI_JZNS1_25segmented_radix_sort_implINS0_14default_configELb0EPK6__halfPSP_PKlPlN2at6native12_GLOBAL__N_18offset_tEEE10hipError_tPvRmT1_PNSt15iterator_traitsIS13_E10value_typeET2_T3_PNS14_IS19_E10value_typeET4_jRbjT5_S1F_jjP12ihipStream_tbEUljE_ZNSN_ISO_Lb0ESR_SS_SU_SV_SZ_EES10_S11_S12_S13_S17_S18_S19_S1C_S1D_jS1E_jS1F_S1F_jjS1H_bEUljE0_EEES10_S11_S12_S19_S1D_S1F_T6_T7_T9_mT8_S1H_bDpT10_ENKUlT_T0_E_clISt17integral_constantIbLb0EES1V_EEDaS1Q_S1R_EUlS1Q_E_NS1_11comp_targetILNS1_3genE4ELNS1_11target_archE910ELNS1_3gpuE8ELNS1_3repE0EEENS1_30default_config_static_selectorELNS0_4arch9wavefront6targetE1EEEvS13_ ; -- Begin function _ZN7rocprim17ROCPRIM_400000_NS6detail17trampoline_kernelINS0_13select_configILj256ELj13ELNS0_17block_load_methodE3ELS4_3ELS4_3ELNS0_20block_scan_algorithmE0ELj4294967295EEENS1_25partition_config_selectorILNS1_17partition_subalgoE4EjNS0_10empty_typeEbEEZZNS1_14partition_implILS8_4ELb0ES6_15HIP_vector_typeIjLj2EENS0_17counting_iteratorIjlEEPS9_SG_NS0_5tupleIJPjSI_NS0_16reverse_iteratorISI_EEEEENSH_IJSG_SG_SG_EEES9_SI_JZNS1_25segmented_radix_sort_implINS0_14default_configELb0EPK6__halfPSP_PKlPlN2at6native12_GLOBAL__N_18offset_tEEE10hipError_tPvRmT1_PNSt15iterator_traitsIS13_E10value_typeET2_T3_PNS14_IS19_E10value_typeET4_jRbjT5_S1F_jjP12ihipStream_tbEUljE_ZNSN_ISO_Lb0ESR_SS_SU_SV_SZ_EES10_S11_S12_S13_S17_S18_S19_S1C_S1D_jS1E_jS1F_S1F_jjS1H_bEUljE0_EEES10_S11_S12_S19_S1D_S1F_T6_T7_T9_mT8_S1H_bDpT10_ENKUlT_T0_E_clISt17integral_constantIbLb0EES1V_EEDaS1Q_S1R_EUlS1Q_E_NS1_11comp_targetILNS1_3genE4ELNS1_11target_archE910ELNS1_3gpuE8ELNS1_3repE0EEENS1_30default_config_static_selectorELNS0_4arch9wavefront6targetE1EEEvS13_
	.p2align	8
	.type	_ZN7rocprim17ROCPRIM_400000_NS6detail17trampoline_kernelINS0_13select_configILj256ELj13ELNS0_17block_load_methodE3ELS4_3ELS4_3ELNS0_20block_scan_algorithmE0ELj4294967295EEENS1_25partition_config_selectorILNS1_17partition_subalgoE4EjNS0_10empty_typeEbEEZZNS1_14partition_implILS8_4ELb0ES6_15HIP_vector_typeIjLj2EENS0_17counting_iteratorIjlEEPS9_SG_NS0_5tupleIJPjSI_NS0_16reverse_iteratorISI_EEEEENSH_IJSG_SG_SG_EEES9_SI_JZNS1_25segmented_radix_sort_implINS0_14default_configELb0EPK6__halfPSP_PKlPlN2at6native12_GLOBAL__N_18offset_tEEE10hipError_tPvRmT1_PNSt15iterator_traitsIS13_E10value_typeET2_T3_PNS14_IS19_E10value_typeET4_jRbjT5_S1F_jjP12ihipStream_tbEUljE_ZNSN_ISO_Lb0ESR_SS_SU_SV_SZ_EES10_S11_S12_S13_S17_S18_S19_S1C_S1D_jS1E_jS1F_S1F_jjS1H_bEUljE0_EEES10_S11_S12_S19_S1D_S1F_T6_T7_T9_mT8_S1H_bDpT10_ENKUlT_T0_E_clISt17integral_constantIbLb0EES1V_EEDaS1Q_S1R_EUlS1Q_E_NS1_11comp_targetILNS1_3genE4ELNS1_11target_archE910ELNS1_3gpuE8ELNS1_3repE0EEENS1_30default_config_static_selectorELNS0_4arch9wavefront6targetE1EEEvS13_,@function
_ZN7rocprim17ROCPRIM_400000_NS6detail17trampoline_kernelINS0_13select_configILj256ELj13ELNS0_17block_load_methodE3ELS4_3ELS4_3ELNS0_20block_scan_algorithmE0ELj4294967295EEENS1_25partition_config_selectorILNS1_17partition_subalgoE4EjNS0_10empty_typeEbEEZZNS1_14partition_implILS8_4ELb0ES6_15HIP_vector_typeIjLj2EENS0_17counting_iteratorIjlEEPS9_SG_NS0_5tupleIJPjSI_NS0_16reverse_iteratorISI_EEEEENSH_IJSG_SG_SG_EEES9_SI_JZNS1_25segmented_radix_sort_implINS0_14default_configELb0EPK6__halfPSP_PKlPlN2at6native12_GLOBAL__N_18offset_tEEE10hipError_tPvRmT1_PNSt15iterator_traitsIS13_E10value_typeET2_T3_PNS14_IS19_E10value_typeET4_jRbjT5_S1F_jjP12ihipStream_tbEUljE_ZNSN_ISO_Lb0ESR_SS_SU_SV_SZ_EES10_S11_S12_S13_S17_S18_S19_S1C_S1D_jS1E_jS1F_S1F_jjS1H_bEUljE0_EEES10_S11_S12_S19_S1D_S1F_T6_T7_T9_mT8_S1H_bDpT10_ENKUlT_T0_E_clISt17integral_constantIbLb0EES1V_EEDaS1Q_S1R_EUlS1Q_E_NS1_11comp_targetILNS1_3genE4ELNS1_11target_archE910ELNS1_3gpuE8ELNS1_3repE0EEENS1_30default_config_static_selectorELNS0_4arch9wavefront6targetE1EEEvS13_: ; @_ZN7rocprim17ROCPRIM_400000_NS6detail17trampoline_kernelINS0_13select_configILj256ELj13ELNS0_17block_load_methodE3ELS4_3ELS4_3ELNS0_20block_scan_algorithmE0ELj4294967295EEENS1_25partition_config_selectorILNS1_17partition_subalgoE4EjNS0_10empty_typeEbEEZZNS1_14partition_implILS8_4ELb0ES6_15HIP_vector_typeIjLj2EENS0_17counting_iteratorIjlEEPS9_SG_NS0_5tupleIJPjSI_NS0_16reverse_iteratorISI_EEEEENSH_IJSG_SG_SG_EEES9_SI_JZNS1_25segmented_radix_sort_implINS0_14default_configELb0EPK6__halfPSP_PKlPlN2at6native12_GLOBAL__N_18offset_tEEE10hipError_tPvRmT1_PNSt15iterator_traitsIS13_E10value_typeET2_T3_PNS14_IS19_E10value_typeET4_jRbjT5_S1F_jjP12ihipStream_tbEUljE_ZNSN_ISO_Lb0ESR_SS_SU_SV_SZ_EES10_S11_S12_S13_S17_S18_S19_S1C_S1D_jS1E_jS1F_S1F_jjS1H_bEUljE0_EEES10_S11_S12_S19_S1D_S1F_T6_T7_T9_mT8_S1H_bDpT10_ENKUlT_T0_E_clISt17integral_constantIbLb0EES1V_EEDaS1Q_S1R_EUlS1Q_E_NS1_11comp_targetILNS1_3genE4ELNS1_11target_archE910ELNS1_3gpuE8ELNS1_3repE0EEENS1_30default_config_static_selectorELNS0_4arch9wavefront6targetE1EEEvS13_
; %bb.0:
	.section	.rodata,"a",@progbits
	.p2align	6, 0x0
	.amdhsa_kernel _ZN7rocprim17ROCPRIM_400000_NS6detail17trampoline_kernelINS0_13select_configILj256ELj13ELNS0_17block_load_methodE3ELS4_3ELS4_3ELNS0_20block_scan_algorithmE0ELj4294967295EEENS1_25partition_config_selectorILNS1_17partition_subalgoE4EjNS0_10empty_typeEbEEZZNS1_14partition_implILS8_4ELb0ES6_15HIP_vector_typeIjLj2EENS0_17counting_iteratorIjlEEPS9_SG_NS0_5tupleIJPjSI_NS0_16reverse_iteratorISI_EEEEENSH_IJSG_SG_SG_EEES9_SI_JZNS1_25segmented_radix_sort_implINS0_14default_configELb0EPK6__halfPSP_PKlPlN2at6native12_GLOBAL__N_18offset_tEEE10hipError_tPvRmT1_PNSt15iterator_traitsIS13_E10value_typeET2_T3_PNS14_IS19_E10value_typeET4_jRbjT5_S1F_jjP12ihipStream_tbEUljE_ZNSN_ISO_Lb0ESR_SS_SU_SV_SZ_EES10_S11_S12_S13_S17_S18_S19_S1C_S1D_jS1E_jS1F_S1F_jjS1H_bEUljE0_EEES10_S11_S12_S19_S1D_S1F_T6_T7_T9_mT8_S1H_bDpT10_ENKUlT_T0_E_clISt17integral_constantIbLb0EES1V_EEDaS1Q_S1R_EUlS1Q_E_NS1_11comp_targetILNS1_3genE4ELNS1_11target_archE910ELNS1_3gpuE8ELNS1_3repE0EEENS1_30default_config_static_selectorELNS0_4arch9wavefront6targetE1EEEvS13_
		.amdhsa_group_segment_fixed_size 0
		.amdhsa_private_segment_fixed_size 0
		.amdhsa_kernarg_size 176
		.amdhsa_user_sgpr_count 6
		.amdhsa_user_sgpr_private_segment_buffer 1
		.amdhsa_user_sgpr_dispatch_ptr 0
		.amdhsa_user_sgpr_queue_ptr 0
		.amdhsa_user_sgpr_kernarg_segment_ptr 1
		.amdhsa_user_sgpr_dispatch_id 0
		.amdhsa_user_sgpr_flat_scratch_init 0
		.amdhsa_user_sgpr_private_segment_size 0
		.amdhsa_uses_dynamic_stack 0
		.amdhsa_system_sgpr_private_segment_wavefront_offset 0
		.amdhsa_system_sgpr_workgroup_id_x 1
		.amdhsa_system_sgpr_workgroup_id_y 0
		.amdhsa_system_sgpr_workgroup_id_z 0
		.amdhsa_system_sgpr_workgroup_info 0
		.amdhsa_system_vgpr_workitem_id 0
		.amdhsa_next_free_vgpr 1
		.amdhsa_next_free_sgpr 0
		.amdhsa_reserve_vcc 0
		.amdhsa_reserve_flat_scratch 0
		.amdhsa_float_round_mode_32 0
		.amdhsa_float_round_mode_16_64 0
		.amdhsa_float_denorm_mode_32 3
		.amdhsa_float_denorm_mode_16_64 3
		.amdhsa_dx10_clamp 1
		.amdhsa_ieee_mode 1
		.amdhsa_fp16_overflow 0
		.amdhsa_exception_fp_ieee_invalid_op 0
		.amdhsa_exception_fp_denorm_src 0
		.amdhsa_exception_fp_ieee_div_zero 0
		.amdhsa_exception_fp_ieee_overflow 0
		.amdhsa_exception_fp_ieee_underflow 0
		.amdhsa_exception_fp_ieee_inexact 0
		.amdhsa_exception_int_div_zero 0
	.end_amdhsa_kernel
	.section	.text._ZN7rocprim17ROCPRIM_400000_NS6detail17trampoline_kernelINS0_13select_configILj256ELj13ELNS0_17block_load_methodE3ELS4_3ELS4_3ELNS0_20block_scan_algorithmE0ELj4294967295EEENS1_25partition_config_selectorILNS1_17partition_subalgoE4EjNS0_10empty_typeEbEEZZNS1_14partition_implILS8_4ELb0ES6_15HIP_vector_typeIjLj2EENS0_17counting_iteratorIjlEEPS9_SG_NS0_5tupleIJPjSI_NS0_16reverse_iteratorISI_EEEEENSH_IJSG_SG_SG_EEES9_SI_JZNS1_25segmented_radix_sort_implINS0_14default_configELb0EPK6__halfPSP_PKlPlN2at6native12_GLOBAL__N_18offset_tEEE10hipError_tPvRmT1_PNSt15iterator_traitsIS13_E10value_typeET2_T3_PNS14_IS19_E10value_typeET4_jRbjT5_S1F_jjP12ihipStream_tbEUljE_ZNSN_ISO_Lb0ESR_SS_SU_SV_SZ_EES10_S11_S12_S13_S17_S18_S19_S1C_S1D_jS1E_jS1F_S1F_jjS1H_bEUljE0_EEES10_S11_S12_S19_S1D_S1F_T6_T7_T9_mT8_S1H_bDpT10_ENKUlT_T0_E_clISt17integral_constantIbLb0EES1V_EEDaS1Q_S1R_EUlS1Q_E_NS1_11comp_targetILNS1_3genE4ELNS1_11target_archE910ELNS1_3gpuE8ELNS1_3repE0EEENS1_30default_config_static_selectorELNS0_4arch9wavefront6targetE1EEEvS13_,"axG",@progbits,_ZN7rocprim17ROCPRIM_400000_NS6detail17trampoline_kernelINS0_13select_configILj256ELj13ELNS0_17block_load_methodE3ELS4_3ELS4_3ELNS0_20block_scan_algorithmE0ELj4294967295EEENS1_25partition_config_selectorILNS1_17partition_subalgoE4EjNS0_10empty_typeEbEEZZNS1_14partition_implILS8_4ELb0ES6_15HIP_vector_typeIjLj2EENS0_17counting_iteratorIjlEEPS9_SG_NS0_5tupleIJPjSI_NS0_16reverse_iteratorISI_EEEEENSH_IJSG_SG_SG_EEES9_SI_JZNS1_25segmented_radix_sort_implINS0_14default_configELb0EPK6__halfPSP_PKlPlN2at6native12_GLOBAL__N_18offset_tEEE10hipError_tPvRmT1_PNSt15iterator_traitsIS13_E10value_typeET2_T3_PNS14_IS19_E10value_typeET4_jRbjT5_S1F_jjP12ihipStream_tbEUljE_ZNSN_ISO_Lb0ESR_SS_SU_SV_SZ_EES10_S11_S12_S13_S17_S18_S19_S1C_S1D_jS1E_jS1F_S1F_jjS1H_bEUljE0_EEES10_S11_S12_S19_S1D_S1F_T6_T7_T9_mT8_S1H_bDpT10_ENKUlT_T0_E_clISt17integral_constantIbLb0EES1V_EEDaS1Q_S1R_EUlS1Q_E_NS1_11comp_targetILNS1_3genE4ELNS1_11target_archE910ELNS1_3gpuE8ELNS1_3repE0EEENS1_30default_config_static_selectorELNS0_4arch9wavefront6targetE1EEEvS13_,comdat
.Lfunc_end1780:
	.size	_ZN7rocprim17ROCPRIM_400000_NS6detail17trampoline_kernelINS0_13select_configILj256ELj13ELNS0_17block_load_methodE3ELS4_3ELS4_3ELNS0_20block_scan_algorithmE0ELj4294967295EEENS1_25partition_config_selectorILNS1_17partition_subalgoE4EjNS0_10empty_typeEbEEZZNS1_14partition_implILS8_4ELb0ES6_15HIP_vector_typeIjLj2EENS0_17counting_iteratorIjlEEPS9_SG_NS0_5tupleIJPjSI_NS0_16reverse_iteratorISI_EEEEENSH_IJSG_SG_SG_EEES9_SI_JZNS1_25segmented_radix_sort_implINS0_14default_configELb0EPK6__halfPSP_PKlPlN2at6native12_GLOBAL__N_18offset_tEEE10hipError_tPvRmT1_PNSt15iterator_traitsIS13_E10value_typeET2_T3_PNS14_IS19_E10value_typeET4_jRbjT5_S1F_jjP12ihipStream_tbEUljE_ZNSN_ISO_Lb0ESR_SS_SU_SV_SZ_EES10_S11_S12_S13_S17_S18_S19_S1C_S1D_jS1E_jS1F_S1F_jjS1H_bEUljE0_EEES10_S11_S12_S19_S1D_S1F_T6_T7_T9_mT8_S1H_bDpT10_ENKUlT_T0_E_clISt17integral_constantIbLb0EES1V_EEDaS1Q_S1R_EUlS1Q_E_NS1_11comp_targetILNS1_3genE4ELNS1_11target_archE910ELNS1_3gpuE8ELNS1_3repE0EEENS1_30default_config_static_selectorELNS0_4arch9wavefront6targetE1EEEvS13_, .Lfunc_end1780-_ZN7rocprim17ROCPRIM_400000_NS6detail17trampoline_kernelINS0_13select_configILj256ELj13ELNS0_17block_load_methodE3ELS4_3ELS4_3ELNS0_20block_scan_algorithmE0ELj4294967295EEENS1_25partition_config_selectorILNS1_17partition_subalgoE4EjNS0_10empty_typeEbEEZZNS1_14partition_implILS8_4ELb0ES6_15HIP_vector_typeIjLj2EENS0_17counting_iteratorIjlEEPS9_SG_NS0_5tupleIJPjSI_NS0_16reverse_iteratorISI_EEEEENSH_IJSG_SG_SG_EEES9_SI_JZNS1_25segmented_radix_sort_implINS0_14default_configELb0EPK6__halfPSP_PKlPlN2at6native12_GLOBAL__N_18offset_tEEE10hipError_tPvRmT1_PNSt15iterator_traitsIS13_E10value_typeET2_T3_PNS14_IS19_E10value_typeET4_jRbjT5_S1F_jjP12ihipStream_tbEUljE_ZNSN_ISO_Lb0ESR_SS_SU_SV_SZ_EES10_S11_S12_S13_S17_S18_S19_S1C_S1D_jS1E_jS1F_S1F_jjS1H_bEUljE0_EEES10_S11_S12_S19_S1D_S1F_T6_T7_T9_mT8_S1H_bDpT10_ENKUlT_T0_E_clISt17integral_constantIbLb0EES1V_EEDaS1Q_S1R_EUlS1Q_E_NS1_11comp_targetILNS1_3genE4ELNS1_11target_archE910ELNS1_3gpuE8ELNS1_3repE0EEENS1_30default_config_static_selectorELNS0_4arch9wavefront6targetE1EEEvS13_
                                        ; -- End function
	.set _ZN7rocprim17ROCPRIM_400000_NS6detail17trampoline_kernelINS0_13select_configILj256ELj13ELNS0_17block_load_methodE3ELS4_3ELS4_3ELNS0_20block_scan_algorithmE0ELj4294967295EEENS1_25partition_config_selectorILNS1_17partition_subalgoE4EjNS0_10empty_typeEbEEZZNS1_14partition_implILS8_4ELb0ES6_15HIP_vector_typeIjLj2EENS0_17counting_iteratorIjlEEPS9_SG_NS0_5tupleIJPjSI_NS0_16reverse_iteratorISI_EEEEENSH_IJSG_SG_SG_EEES9_SI_JZNS1_25segmented_radix_sort_implINS0_14default_configELb0EPK6__halfPSP_PKlPlN2at6native12_GLOBAL__N_18offset_tEEE10hipError_tPvRmT1_PNSt15iterator_traitsIS13_E10value_typeET2_T3_PNS14_IS19_E10value_typeET4_jRbjT5_S1F_jjP12ihipStream_tbEUljE_ZNSN_ISO_Lb0ESR_SS_SU_SV_SZ_EES10_S11_S12_S13_S17_S18_S19_S1C_S1D_jS1E_jS1F_S1F_jjS1H_bEUljE0_EEES10_S11_S12_S19_S1D_S1F_T6_T7_T9_mT8_S1H_bDpT10_ENKUlT_T0_E_clISt17integral_constantIbLb0EES1V_EEDaS1Q_S1R_EUlS1Q_E_NS1_11comp_targetILNS1_3genE4ELNS1_11target_archE910ELNS1_3gpuE8ELNS1_3repE0EEENS1_30default_config_static_selectorELNS0_4arch9wavefront6targetE1EEEvS13_.num_vgpr, 0
	.set _ZN7rocprim17ROCPRIM_400000_NS6detail17trampoline_kernelINS0_13select_configILj256ELj13ELNS0_17block_load_methodE3ELS4_3ELS4_3ELNS0_20block_scan_algorithmE0ELj4294967295EEENS1_25partition_config_selectorILNS1_17partition_subalgoE4EjNS0_10empty_typeEbEEZZNS1_14partition_implILS8_4ELb0ES6_15HIP_vector_typeIjLj2EENS0_17counting_iteratorIjlEEPS9_SG_NS0_5tupleIJPjSI_NS0_16reverse_iteratorISI_EEEEENSH_IJSG_SG_SG_EEES9_SI_JZNS1_25segmented_radix_sort_implINS0_14default_configELb0EPK6__halfPSP_PKlPlN2at6native12_GLOBAL__N_18offset_tEEE10hipError_tPvRmT1_PNSt15iterator_traitsIS13_E10value_typeET2_T3_PNS14_IS19_E10value_typeET4_jRbjT5_S1F_jjP12ihipStream_tbEUljE_ZNSN_ISO_Lb0ESR_SS_SU_SV_SZ_EES10_S11_S12_S13_S17_S18_S19_S1C_S1D_jS1E_jS1F_S1F_jjS1H_bEUljE0_EEES10_S11_S12_S19_S1D_S1F_T6_T7_T9_mT8_S1H_bDpT10_ENKUlT_T0_E_clISt17integral_constantIbLb0EES1V_EEDaS1Q_S1R_EUlS1Q_E_NS1_11comp_targetILNS1_3genE4ELNS1_11target_archE910ELNS1_3gpuE8ELNS1_3repE0EEENS1_30default_config_static_selectorELNS0_4arch9wavefront6targetE1EEEvS13_.num_agpr, 0
	.set _ZN7rocprim17ROCPRIM_400000_NS6detail17trampoline_kernelINS0_13select_configILj256ELj13ELNS0_17block_load_methodE3ELS4_3ELS4_3ELNS0_20block_scan_algorithmE0ELj4294967295EEENS1_25partition_config_selectorILNS1_17partition_subalgoE4EjNS0_10empty_typeEbEEZZNS1_14partition_implILS8_4ELb0ES6_15HIP_vector_typeIjLj2EENS0_17counting_iteratorIjlEEPS9_SG_NS0_5tupleIJPjSI_NS0_16reverse_iteratorISI_EEEEENSH_IJSG_SG_SG_EEES9_SI_JZNS1_25segmented_radix_sort_implINS0_14default_configELb0EPK6__halfPSP_PKlPlN2at6native12_GLOBAL__N_18offset_tEEE10hipError_tPvRmT1_PNSt15iterator_traitsIS13_E10value_typeET2_T3_PNS14_IS19_E10value_typeET4_jRbjT5_S1F_jjP12ihipStream_tbEUljE_ZNSN_ISO_Lb0ESR_SS_SU_SV_SZ_EES10_S11_S12_S13_S17_S18_S19_S1C_S1D_jS1E_jS1F_S1F_jjS1H_bEUljE0_EEES10_S11_S12_S19_S1D_S1F_T6_T7_T9_mT8_S1H_bDpT10_ENKUlT_T0_E_clISt17integral_constantIbLb0EES1V_EEDaS1Q_S1R_EUlS1Q_E_NS1_11comp_targetILNS1_3genE4ELNS1_11target_archE910ELNS1_3gpuE8ELNS1_3repE0EEENS1_30default_config_static_selectorELNS0_4arch9wavefront6targetE1EEEvS13_.numbered_sgpr, 0
	.set _ZN7rocprim17ROCPRIM_400000_NS6detail17trampoline_kernelINS0_13select_configILj256ELj13ELNS0_17block_load_methodE3ELS4_3ELS4_3ELNS0_20block_scan_algorithmE0ELj4294967295EEENS1_25partition_config_selectorILNS1_17partition_subalgoE4EjNS0_10empty_typeEbEEZZNS1_14partition_implILS8_4ELb0ES6_15HIP_vector_typeIjLj2EENS0_17counting_iteratorIjlEEPS9_SG_NS0_5tupleIJPjSI_NS0_16reverse_iteratorISI_EEEEENSH_IJSG_SG_SG_EEES9_SI_JZNS1_25segmented_radix_sort_implINS0_14default_configELb0EPK6__halfPSP_PKlPlN2at6native12_GLOBAL__N_18offset_tEEE10hipError_tPvRmT1_PNSt15iterator_traitsIS13_E10value_typeET2_T3_PNS14_IS19_E10value_typeET4_jRbjT5_S1F_jjP12ihipStream_tbEUljE_ZNSN_ISO_Lb0ESR_SS_SU_SV_SZ_EES10_S11_S12_S13_S17_S18_S19_S1C_S1D_jS1E_jS1F_S1F_jjS1H_bEUljE0_EEES10_S11_S12_S19_S1D_S1F_T6_T7_T9_mT8_S1H_bDpT10_ENKUlT_T0_E_clISt17integral_constantIbLb0EES1V_EEDaS1Q_S1R_EUlS1Q_E_NS1_11comp_targetILNS1_3genE4ELNS1_11target_archE910ELNS1_3gpuE8ELNS1_3repE0EEENS1_30default_config_static_selectorELNS0_4arch9wavefront6targetE1EEEvS13_.num_named_barrier, 0
	.set _ZN7rocprim17ROCPRIM_400000_NS6detail17trampoline_kernelINS0_13select_configILj256ELj13ELNS0_17block_load_methodE3ELS4_3ELS4_3ELNS0_20block_scan_algorithmE0ELj4294967295EEENS1_25partition_config_selectorILNS1_17partition_subalgoE4EjNS0_10empty_typeEbEEZZNS1_14partition_implILS8_4ELb0ES6_15HIP_vector_typeIjLj2EENS0_17counting_iteratorIjlEEPS9_SG_NS0_5tupleIJPjSI_NS0_16reverse_iteratorISI_EEEEENSH_IJSG_SG_SG_EEES9_SI_JZNS1_25segmented_radix_sort_implINS0_14default_configELb0EPK6__halfPSP_PKlPlN2at6native12_GLOBAL__N_18offset_tEEE10hipError_tPvRmT1_PNSt15iterator_traitsIS13_E10value_typeET2_T3_PNS14_IS19_E10value_typeET4_jRbjT5_S1F_jjP12ihipStream_tbEUljE_ZNSN_ISO_Lb0ESR_SS_SU_SV_SZ_EES10_S11_S12_S13_S17_S18_S19_S1C_S1D_jS1E_jS1F_S1F_jjS1H_bEUljE0_EEES10_S11_S12_S19_S1D_S1F_T6_T7_T9_mT8_S1H_bDpT10_ENKUlT_T0_E_clISt17integral_constantIbLb0EES1V_EEDaS1Q_S1R_EUlS1Q_E_NS1_11comp_targetILNS1_3genE4ELNS1_11target_archE910ELNS1_3gpuE8ELNS1_3repE0EEENS1_30default_config_static_selectorELNS0_4arch9wavefront6targetE1EEEvS13_.private_seg_size, 0
	.set _ZN7rocprim17ROCPRIM_400000_NS6detail17trampoline_kernelINS0_13select_configILj256ELj13ELNS0_17block_load_methodE3ELS4_3ELS4_3ELNS0_20block_scan_algorithmE0ELj4294967295EEENS1_25partition_config_selectorILNS1_17partition_subalgoE4EjNS0_10empty_typeEbEEZZNS1_14partition_implILS8_4ELb0ES6_15HIP_vector_typeIjLj2EENS0_17counting_iteratorIjlEEPS9_SG_NS0_5tupleIJPjSI_NS0_16reverse_iteratorISI_EEEEENSH_IJSG_SG_SG_EEES9_SI_JZNS1_25segmented_radix_sort_implINS0_14default_configELb0EPK6__halfPSP_PKlPlN2at6native12_GLOBAL__N_18offset_tEEE10hipError_tPvRmT1_PNSt15iterator_traitsIS13_E10value_typeET2_T3_PNS14_IS19_E10value_typeET4_jRbjT5_S1F_jjP12ihipStream_tbEUljE_ZNSN_ISO_Lb0ESR_SS_SU_SV_SZ_EES10_S11_S12_S13_S17_S18_S19_S1C_S1D_jS1E_jS1F_S1F_jjS1H_bEUljE0_EEES10_S11_S12_S19_S1D_S1F_T6_T7_T9_mT8_S1H_bDpT10_ENKUlT_T0_E_clISt17integral_constantIbLb0EES1V_EEDaS1Q_S1R_EUlS1Q_E_NS1_11comp_targetILNS1_3genE4ELNS1_11target_archE910ELNS1_3gpuE8ELNS1_3repE0EEENS1_30default_config_static_selectorELNS0_4arch9wavefront6targetE1EEEvS13_.uses_vcc, 0
	.set _ZN7rocprim17ROCPRIM_400000_NS6detail17trampoline_kernelINS0_13select_configILj256ELj13ELNS0_17block_load_methodE3ELS4_3ELS4_3ELNS0_20block_scan_algorithmE0ELj4294967295EEENS1_25partition_config_selectorILNS1_17partition_subalgoE4EjNS0_10empty_typeEbEEZZNS1_14partition_implILS8_4ELb0ES6_15HIP_vector_typeIjLj2EENS0_17counting_iteratorIjlEEPS9_SG_NS0_5tupleIJPjSI_NS0_16reverse_iteratorISI_EEEEENSH_IJSG_SG_SG_EEES9_SI_JZNS1_25segmented_radix_sort_implINS0_14default_configELb0EPK6__halfPSP_PKlPlN2at6native12_GLOBAL__N_18offset_tEEE10hipError_tPvRmT1_PNSt15iterator_traitsIS13_E10value_typeET2_T3_PNS14_IS19_E10value_typeET4_jRbjT5_S1F_jjP12ihipStream_tbEUljE_ZNSN_ISO_Lb0ESR_SS_SU_SV_SZ_EES10_S11_S12_S13_S17_S18_S19_S1C_S1D_jS1E_jS1F_S1F_jjS1H_bEUljE0_EEES10_S11_S12_S19_S1D_S1F_T6_T7_T9_mT8_S1H_bDpT10_ENKUlT_T0_E_clISt17integral_constantIbLb0EES1V_EEDaS1Q_S1R_EUlS1Q_E_NS1_11comp_targetILNS1_3genE4ELNS1_11target_archE910ELNS1_3gpuE8ELNS1_3repE0EEENS1_30default_config_static_selectorELNS0_4arch9wavefront6targetE1EEEvS13_.uses_flat_scratch, 0
	.set _ZN7rocprim17ROCPRIM_400000_NS6detail17trampoline_kernelINS0_13select_configILj256ELj13ELNS0_17block_load_methodE3ELS4_3ELS4_3ELNS0_20block_scan_algorithmE0ELj4294967295EEENS1_25partition_config_selectorILNS1_17partition_subalgoE4EjNS0_10empty_typeEbEEZZNS1_14partition_implILS8_4ELb0ES6_15HIP_vector_typeIjLj2EENS0_17counting_iteratorIjlEEPS9_SG_NS0_5tupleIJPjSI_NS0_16reverse_iteratorISI_EEEEENSH_IJSG_SG_SG_EEES9_SI_JZNS1_25segmented_radix_sort_implINS0_14default_configELb0EPK6__halfPSP_PKlPlN2at6native12_GLOBAL__N_18offset_tEEE10hipError_tPvRmT1_PNSt15iterator_traitsIS13_E10value_typeET2_T3_PNS14_IS19_E10value_typeET4_jRbjT5_S1F_jjP12ihipStream_tbEUljE_ZNSN_ISO_Lb0ESR_SS_SU_SV_SZ_EES10_S11_S12_S13_S17_S18_S19_S1C_S1D_jS1E_jS1F_S1F_jjS1H_bEUljE0_EEES10_S11_S12_S19_S1D_S1F_T6_T7_T9_mT8_S1H_bDpT10_ENKUlT_T0_E_clISt17integral_constantIbLb0EES1V_EEDaS1Q_S1R_EUlS1Q_E_NS1_11comp_targetILNS1_3genE4ELNS1_11target_archE910ELNS1_3gpuE8ELNS1_3repE0EEENS1_30default_config_static_selectorELNS0_4arch9wavefront6targetE1EEEvS13_.has_dyn_sized_stack, 0
	.set _ZN7rocprim17ROCPRIM_400000_NS6detail17trampoline_kernelINS0_13select_configILj256ELj13ELNS0_17block_load_methodE3ELS4_3ELS4_3ELNS0_20block_scan_algorithmE0ELj4294967295EEENS1_25partition_config_selectorILNS1_17partition_subalgoE4EjNS0_10empty_typeEbEEZZNS1_14partition_implILS8_4ELb0ES6_15HIP_vector_typeIjLj2EENS0_17counting_iteratorIjlEEPS9_SG_NS0_5tupleIJPjSI_NS0_16reverse_iteratorISI_EEEEENSH_IJSG_SG_SG_EEES9_SI_JZNS1_25segmented_radix_sort_implINS0_14default_configELb0EPK6__halfPSP_PKlPlN2at6native12_GLOBAL__N_18offset_tEEE10hipError_tPvRmT1_PNSt15iterator_traitsIS13_E10value_typeET2_T3_PNS14_IS19_E10value_typeET4_jRbjT5_S1F_jjP12ihipStream_tbEUljE_ZNSN_ISO_Lb0ESR_SS_SU_SV_SZ_EES10_S11_S12_S13_S17_S18_S19_S1C_S1D_jS1E_jS1F_S1F_jjS1H_bEUljE0_EEES10_S11_S12_S19_S1D_S1F_T6_T7_T9_mT8_S1H_bDpT10_ENKUlT_T0_E_clISt17integral_constantIbLb0EES1V_EEDaS1Q_S1R_EUlS1Q_E_NS1_11comp_targetILNS1_3genE4ELNS1_11target_archE910ELNS1_3gpuE8ELNS1_3repE0EEENS1_30default_config_static_selectorELNS0_4arch9wavefront6targetE1EEEvS13_.has_recursion, 0
	.set _ZN7rocprim17ROCPRIM_400000_NS6detail17trampoline_kernelINS0_13select_configILj256ELj13ELNS0_17block_load_methodE3ELS4_3ELS4_3ELNS0_20block_scan_algorithmE0ELj4294967295EEENS1_25partition_config_selectorILNS1_17partition_subalgoE4EjNS0_10empty_typeEbEEZZNS1_14partition_implILS8_4ELb0ES6_15HIP_vector_typeIjLj2EENS0_17counting_iteratorIjlEEPS9_SG_NS0_5tupleIJPjSI_NS0_16reverse_iteratorISI_EEEEENSH_IJSG_SG_SG_EEES9_SI_JZNS1_25segmented_radix_sort_implINS0_14default_configELb0EPK6__halfPSP_PKlPlN2at6native12_GLOBAL__N_18offset_tEEE10hipError_tPvRmT1_PNSt15iterator_traitsIS13_E10value_typeET2_T3_PNS14_IS19_E10value_typeET4_jRbjT5_S1F_jjP12ihipStream_tbEUljE_ZNSN_ISO_Lb0ESR_SS_SU_SV_SZ_EES10_S11_S12_S13_S17_S18_S19_S1C_S1D_jS1E_jS1F_S1F_jjS1H_bEUljE0_EEES10_S11_S12_S19_S1D_S1F_T6_T7_T9_mT8_S1H_bDpT10_ENKUlT_T0_E_clISt17integral_constantIbLb0EES1V_EEDaS1Q_S1R_EUlS1Q_E_NS1_11comp_targetILNS1_3genE4ELNS1_11target_archE910ELNS1_3gpuE8ELNS1_3repE0EEENS1_30default_config_static_selectorELNS0_4arch9wavefront6targetE1EEEvS13_.has_indirect_call, 0
	.section	.AMDGPU.csdata,"",@progbits
; Kernel info:
; codeLenInByte = 0
; TotalNumSgprs: 4
; NumVgprs: 0
; ScratchSize: 0
; MemoryBound: 0
; FloatMode: 240
; IeeeMode: 1
; LDSByteSize: 0 bytes/workgroup (compile time only)
; SGPRBlocks: 0
; VGPRBlocks: 0
; NumSGPRsForWavesPerEU: 4
; NumVGPRsForWavesPerEU: 1
; Occupancy: 10
; WaveLimiterHint : 0
; COMPUTE_PGM_RSRC2:SCRATCH_EN: 0
; COMPUTE_PGM_RSRC2:USER_SGPR: 6
; COMPUTE_PGM_RSRC2:TRAP_HANDLER: 0
; COMPUTE_PGM_RSRC2:TGID_X_EN: 1
; COMPUTE_PGM_RSRC2:TGID_Y_EN: 0
; COMPUTE_PGM_RSRC2:TGID_Z_EN: 0
; COMPUTE_PGM_RSRC2:TIDIG_COMP_CNT: 0
	.section	.text._ZN7rocprim17ROCPRIM_400000_NS6detail17trampoline_kernelINS0_13select_configILj256ELj13ELNS0_17block_load_methodE3ELS4_3ELS4_3ELNS0_20block_scan_algorithmE0ELj4294967295EEENS1_25partition_config_selectorILNS1_17partition_subalgoE4EjNS0_10empty_typeEbEEZZNS1_14partition_implILS8_4ELb0ES6_15HIP_vector_typeIjLj2EENS0_17counting_iteratorIjlEEPS9_SG_NS0_5tupleIJPjSI_NS0_16reverse_iteratorISI_EEEEENSH_IJSG_SG_SG_EEES9_SI_JZNS1_25segmented_radix_sort_implINS0_14default_configELb0EPK6__halfPSP_PKlPlN2at6native12_GLOBAL__N_18offset_tEEE10hipError_tPvRmT1_PNSt15iterator_traitsIS13_E10value_typeET2_T3_PNS14_IS19_E10value_typeET4_jRbjT5_S1F_jjP12ihipStream_tbEUljE_ZNSN_ISO_Lb0ESR_SS_SU_SV_SZ_EES10_S11_S12_S13_S17_S18_S19_S1C_S1D_jS1E_jS1F_S1F_jjS1H_bEUljE0_EEES10_S11_S12_S19_S1D_S1F_T6_T7_T9_mT8_S1H_bDpT10_ENKUlT_T0_E_clISt17integral_constantIbLb0EES1V_EEDaS1Q_S1R_EUlS1Q_E_NS1_11comp_targetILNS1_3genE3ELNS1_11target_archE908ELNS1_3gpuE7ELNS1_3repE0EEENS1_30default_config_static_selectorELNS0_4arch9wavefront6targetE1EEEvS13_,"axG",@progbits,_ZN7rocprim17ROCPRIM_400000_NS6detail17trampoline_kernelINS0_13select_configILj256ELj13ELNS0_17block_load_methodE3ELS4_3ELS4_3ELNS0_20block_scan_algorithmE0ELj4294967295EEENS1_25partition_config_selectorILNS1_17partition_subalgoE4EjNS0_10empty_typeEbEEZZNS1_14partition_implILS8_4ELb0ES6_15HIP_vector_typeIjLj2EENS0_17counting_iteratorIjlEEPS9_SG_NS0_5tupleIJPjSI_NS0_16reverse_iteratorISI_EEEEENSH_IJSG_SG_SG_EEES9_SI_JZNS1_25segmented_radix_sort_implINS0_14default_configELb0EPK6__halfPSP_PKlPlN2at6native12_GLOBAL__N_18offset_tEEE10hipError_tPvRmT1_PNSt15iterator_traitsIS13_E10value_typeET2_T3_PNS14_IS19_E10value_typeET4_jRbjT5_S1F_jjP12ihipStream_tbEUljE_ZNSN_ISO_Lb0ESR_SS_SU_SV_SZ_EES10_S11_S12_S13_S17_S18_S19_S1C_S1D_jS1E_jS1F_S1F_jjS1H_bEUljE0_EEES10_S11_S12_S19_S1D_S1F_T6_T7_T9_mT8_S1H_bDpT10_ENKUlT_T0_E_clISt17integral_constantIbLb0EES1V_EEDaS1Q_S1R_EUlS1Q_E_NS1_11comp_targetILNS1_3genE3ELNS1_11target_archE908ELNS1_3gpuE7ELNS1_3repE0EEENS1_30default_config_static_selectorELNS0_4arch9wavefront6targetE1EEEvS13_,comdat
	.globl	_ZN7rocprim17ROCPRIM_400000_NS6detail17trampoline_kernelINS0_13select_configILj256ELj13ELNS0_17block_load_methodE3ELS4_3ELS4_3ELNS0_20block_scan_algorithmE0ELj4294967295EEENS1_25partition_config_selectorILNS1_17partition_subalgoE4EjNS0_10empty_typeEbEEZZNS1_14partition_implILS8_4ELb0ES6_15HIP_vector_typeIjLj2EENS0_17counting_iteratorIjlEEPS9_SG_NS0_5tupleIJPjSI_NS0_16reverse_iteratorISI_EEEEENSH_IJSG_SG_SG_EEES9_SI_JZNS1_25segmented_radix_sort_implINS0_14default_configELb0EPK6__halfPSP_PKlPlN2at6native12_GLOBAL__N_18offset_tEEE10hipError_tPvRmT1_PNSt15iterator_traitsIS13_E10value_typeET2_T3_PNS14_IS19_E10value_typeET4_jRbjT5_S1F_jjP12ihipStream_tbEUljE_ZNSN_ISO_Lb0ESR_SS_SU_SV_SZ_EES10_S11_S12_S13_S17_S18_S19_S1C_S1D_jS1E_jS1F_S1F_jjS1H_bEUljE0_EEES10_S11_S12_S19_S1D_S1F_T6_T7_T9_mT8_S1H_bDpT10_ENKUlT_T0_E_clISt17integral_constantIbLb0EES1V_EEDaS1Q_S1R_EUlS1Q_E_NS1_11comp_targetILNS1_3genE3ELNS1_11target_archE908ELNS1_3gpuE7ELNS1_3repE0EEENS1_30default_config_static_selectorELNS0_4arch9wavefront6targetE1EEEvS13_ ; -- Begin function _ZN7rocprim17ROCPRIM_400000_NS6detail17trampoline_kernelINS0_13select_configILj256ELj13ELNS0_17block_load_methodE3ELS4_3ELS4_3ELNS0_20block_scan_algorithmE0ELj4294967295EEENS1_25partition_config_selectorILNS1_17partition_subalgoE4EjNS0_10empty_typeEbEEZZNS1_14partition_implILS8_4ELb0ES6_15HIP_vector_typeIjLj2EENS0_17counting_iteratorIjlEEPS9_SG_NS0_5tupleIJPjSI_NS0_16reverse_iteratorISI_EEEEENSH_IJSG_SG_SG_EEES9_SI_JZNS1_25segmented_radix_sort_implINS0_14default_configELb0EPK6__halfPSP_PKlPlN2at6native12_GLOBAL__N_18offset_tEEE10hipError_tPvRmT1_PNSt15iterator_traitsIS13_E10value_typeET2_T3_PNS14_IS19_E10value_typeET4_jRbjT5_S1F_jjP12ihipStream_tbEUljE_ZNSN_ISO_Lb0ESR_SS_SU_SV_SZ_EES10_S11_S12_S13_S17_S18_S19_S1C_S1D_jS1E_jS1F_S1F_jjS1H_bEUljE0_EEES10_S11_S12_S19_S1D_S1F_T6_T7_T9_mT8_S1H_bDpT10_ENKUlT_T0_E_clISt17integral_constantIbLb0EES1V_EEDaS1Q_S1R_EUlS1Q_E_NS1_11comp_targetILNS1_3genE3ELNS1_11target_archE908ELNS1_3gpuE7ELNS1_3repE0EEENS1_30default_config_static_selectorELNS0_4arch9wavefront6targetE1EEEvS13_
	.p2align	8
	.type	_ZN7rocprim17ROCPRIM_400000_NS6detail17trampoline_kernelINS0_13select_configILj256ELj13ELNS0_17block_load_methodE3ELS4_3ELS4_3ELNS0_20block_scan_algorithmE0ELj4294967295EEENS1_25partition_config_selectorILNS1_17partition_subalgoE4EjNS0_10empty_typeEbEEZZNS1_14partition_implILS8_4ELb0ES6_15HIP_vector_typeIjLj2EENS0_17counting_iteratorIjlEEPS9_SG_NS0_5tupleIJPjSI_NS0_16reverse_iteratorISI_EEEEENSH_IJSG_SG_SG_EEES9_SI_JZNS1_25segmented_radix_sort_implINS0_14default_configELb0EPK6__halfPSP_PKlPlN2at6native12_GLOBAL__N_18offset_tEEE10hipError_tPvRmT1_PNSt15iterator_traitsIS13_E10value_typeET2_T3_PNS14_IS19_E10value_typeET4_jRbjT5_S1F_jjP12ihipStream_tbEUljE_ZNSN_ISO_Lb0ESR_SS_SU_SV_SZ_EES10_S11_S12_S13_S17_S18_S19_S1C_S1D_jS1E_jS1F_S1F_jjS1H_bEUljE0_EEES10_S11_S12_S19_S1D_S1F_T6_T7_T9_mT8_S1H_bDpT10_ENKUlT_T0_E_clISt17integral_constantIbLb0EES1V_EEDaS1Q_S1R_EUlS1Q_E_NS1_11comp_targetILNS1_3genE3ELNS1_11target_archE908ELNS1_3gpuE7ELNS1_3repE0EEENS1_30default_config_static_selectorELNS0_4arch9wavefront6targetE1EEEvS13_,@function
_ZN7rocprim17ROCPRIM_400000_NS6detail17trampoline_kernelINS0_13select_configILj256ELj13ELNS0_17block_load_methodE3ELS4_3ELS4_3ELNS0_20block_scan_algorithmE0ELj4294967295EEENS1_25partition_config_selectorILNS1_17partition_subalgoE4EjNS0_10empty_typeEbEEZZNS1_14partition_implILS8_4ELb0ES6_15HIP_vector_typeIjLj2EENS0_17counting_iteratorIjlEEPS9_SG_NS0_5tupleIJPjSI_NS0_16reverse_iteratorISI_EEEEENSH_IJSG_SG_SG_EEES9_SI_JZNS1_25segmented_radix_sort_implINS0_14default_configELb0EPK6__halfPSP_PKlPlN2at6native12_GLOBAL__N_18offset_tEEE10hipError_tPvRmT1_PNSt15iterator_traitsIS13_E10value_typeET2_T3_PNS14_IS19_E10value_typeET4_jRbjT5_S1F_jjP12ihipStream_tbEUljE_ZNSN_ISO_Lb0ESR_SS_SU_SV_SZ_EES10_S11_S12_S13_S17_S18_S19_S1C_S1D_jS1E_jS1F_S1F_jjS1H_bEUljE0_EEES10_S11_S12_S19_S1D_S1F_T6_T7_T9_mT8_S1H_bDpT10_ENKUlT_T0_E_clISt17integral_constantIbLb0EES1V_EEDaS1Q_S1R_EUlS1Q_E_NS1_11comp_targetILNS1_3genE3ELNS1_11target_archE908ELNS1_3gpuE7ELNS1_3repE0EEENS1_30default_config_static_selectorELNS0_4arch9wavefront6targetE1EEEvS13_: ; @_ZN7rocprim17ROCPRIM_400000_NS6detail17trampoline_kernelINS0_13select_configILj256ELj13ELNS0_17block_load_methodE3ELS4_3ELS4_3ELNS0_20block_scan_algorithmE0ELj4294967295EEENS1_25partition_config_selectorILNS1_17partition_subalgoE4EjNS0_10empty_typeEbEEZZNS1_14partition_implILS8_4ELb0ES6_15HIP_vector_typeIjLj2EENS0_17counting_iteratorIjlEEPS9_SG_NS0_5tupleIJPjSI_NS0_16reverse_iteratorISI_EEEEENSH_IJSG_SG_SG_EEES9_SI_JZNS1_25segmented_radix_sort_implINS0_14default_configELb0EPK6__halfPSP_PKlPlN2at6native12_GLOBAL__N_18offset_tEEE10hipError_tPvRmT1_PNSt15iterator_traitsIS13_E10value_typeET2_T3_PNS14_IS19_E10value_typeET4_jRbjT5_S1F_jjP12ihipStream_tbEUljE_ZNSN_ISO_Lb0ESR_SS_SU_SV_SZ_EES10_S11_S12_S13_S17_S18_S19_S1C_S1D_jS1E_jS1F_S1F_jjS1H_bEUljE0_EEES10_S11_S12_S19_S1D_S1F_T6_T7_T9_mT8_S1H_bDpT10_ENKUlT_T0_E_clISt17integral_constantIbLb0EES1V_EEDaS1Q_S1R_EUlS1Q_E_NS1_11comp_targetILNS1_3genE3ELNS1_11target_archE908ELNS1_3gpuE7ELNS1_3repE0EEENS1_30default_config_static_selectorELNS0_4arch9wavefront6targetE1EEEvS13_
; %bb.0:
	.section	.rodata,"a",@progbits
	.p2align	6, 0x0
	.amdhsa_kernel _ZN7rocprim17ROCPRIM_400000_NS6detail17trampoline_kernelINS0_13select_configILj256ELj13ELNS0_17block_load_methodE3ELS4_3ELS4_3ELNS0_20block_scan_algorithmE0ELj4294967295EEENS1_25partition_config_selectorILNS1_17partition_subalgoE4EjNS0_10empty_typeEbEEZZNS1_14partition_implILS8_4ELb0ES6_15HIP_vector_typeIjLj2EENS0_17counting_iteratorIjlEEPS9_SG_NS0_5tupleIJPjSI_NS0_16reverse_iteratorISI_EEEEENSH_IJSG_SG_SG_EEES9_SI_JZNS1_25segmented_radix_sort_implINS0_14default_configELb0EPK6__halfPSP_PKlPlN2at6native12_GLOBAL__N_18offset_tEEE10hipError_tPvRmT1_PNSt15iterator_traitsIS13_E10value_typeET2_T3_PNS14_IS19_E10value_typeET4_jRbjT5_S1F_jjP12ihipStream_tbEUljE_ZNSN_ISO_Lb0ESR_SS_SU_SV_SZ_EES10_S11_S12_S13_S17_S18_S19_S1C_S1D_jS1E_jS1F_S1F_jjS1H_bEUljE0_EEES10_S11_S12_S19_S1D_S1F_T6_T7_T9_mT8_S1H_bDpT10_ENKUlT_T0_E_clISt17integral_constantIbLb0EES1V_EEDaS1Q_S1R_EUlS1Q_E_NS1_11comp_targetILNS1_3genE3ELNS1_11target_archE908ELNS1_3gpuE7ELNS1_3repE0EEENS1_30default_config_static_selectorELNS0_4arch9wavefront6targetE1EEEvS13_
		.amdhsa_group_segment_fixed_size 0
		.amdhsa_private_segment_fixed_size 0
		.amdhsa_kernarg_size 176
		.amdhsa_user_sgpr_count 6
		.amdhsa_user_sgpr_private_segment_buffer 1
		.amdhsa_user_sgpr_dispatch_ptr 0
		.amdhsa_user_sgpr_queue_ptr 0
		.amdhsa_user_sgpr_kernarg_segment_ptr 1
		.amdhsa_user_sgpr_dispatch_id 0
		.amdhsa_user_sgpr_flat_scratch_init 0
		.amdhsa_user_sgpr_private_segment_size 0
		.amdhsa_uses_dynamic_stack 0
		.amdhsa_system_sgpr_private_segment_wavefront_offset 0
		.amdhsa_system_sgpr_workgroup_id_x 1
		.amdhsa_system_sgpr_workgroup_id_y 0
		.amdhsa_system_sgpr_workgroup_id_z 0
		.amdhsa_system_sgpr_workgroup_info 0
		.amdhsa_system_vgpr_workitem_id 0
		.amdhsa_next_free_vgpr 1
		.amdhsa_next_free_sgpr 0
		.amdhsa_reserve_vcc 0
		.amdhsa_reserve_flat_scratch 0
		.amdhsa_float_round_mode_32 0
		.amdhsa_float_round_mode_16_64 0
		.amdhsa_float_denorm_mode_32 3
		.amdhsa_float_denorm_mode_16_64 3
		.amdhsa_dx10_clamp 1
		.amdhsa_ieee_mode 1
		.amdhsa_fp16_overflow 0
		.amdhsa_exception_fp_ieee_invalid_op 0
		.amdhsa_exception_fp_denorm_src 0
		.amdhsa_exception_fp_ieee_div_zero 0
		.amdhsa_exception_fp_ieee_overflow 0
		.amdhsa_exception_fp_ieee_underflow 0
		.amdhsa_exception_fp_ieee_inexact 0
		.amdhsa_exception_int_div_zero 0
	.end_amdhsa_kernel
	.section	.text._ZN7rocprim17ROCPRIM_400000_NS6detail17trampoline_kernelINS0_13select_configILj256ELj13ELNS0_17block_load_methodE3ELS4_3ELS4_3ELNS0_20block_scan_algorithmE0ELj4294967295EEENS1_25partition_config_selectorILNS1_17partition_subalgoE4EjNS0_10empty_typeEbEEZZNS1_14partition_implILS8_4ELb0ES6_15HIP_vector_typeIjLj2EENS0_17counting_iteratorIjlEEPS9_SG_NS0_5tupleIJPjSI_NS0_16reverse_iteratorISI_EEEEENSH_IJSG_SG_SG_EEES9_SI_JZNS1_25segmented_radix_sort_implINS0_14default_configELb0EPK6__halfPSP_PKlPlN2at6native12_GLOBAL__N_18offset_tEEE10hipError_tPvRmT1_PNSt15iterator_traitsIS13_E10value_typeET2_T3_PNS14_IS19_E10value_typeET4_jRbjT5_S1F_jjP12ihipStream_tbEUljE_ZNSN_ISO_Lb0ESR_SS_SU_SV_SZ_EES10_S11_S12_S13_S17_S18_S19_S1C_S1D_jS1E_jS1F_S1F_jjS1H_bEUljE0_EEES10_S11_S12_S19_S1D_S1F_T6_T7_T9_mT8_S1H_bDpT10_ENKUlT_T0_E_clISt17integral_constantIbLb0EES1V_EEDaS1Q_S1R_EUlS1Q_E_NS1_11comp_targetILNS1_3genE3ELNS1_11target_archE908ELNS1_3gpuE7ELNS1_3repE0EEENS1_30default_config_static_selectorELNS0_4arch9wavefront6targetE1EEEvS13_,"axG",@progbits,_ZN7rocprim17ROCPRIM_400000_NS6detail17trampoline_kernelINS0_13select_configILj256ELj13ELNS0_17block_load_methodE3ELS4_3ELS4_3ELNS0_20block_scan_algorithmE0ELj4294967295EEENS1_25partition_config_selectorILNS1_17partition_subalgoE4EjNS0_10empty_typeEbEEZZNS1_14partition_implILS8_4ELb0ES6_15HIP_vector_typeIjLj2EENS0_17counting_iteratorIjlEEPS9_SG_NS0_5tupleIJPjSI_NS0_16reverse_iteratorISI_EEEEENSH_IJSG_SG_SG_EEES9_SI_JZNS1_25segmented_radix_sort_implINS0_14default_configELb0EPK6__halfPSP_PKlPlN2at6native12_GLOBAL__N_18offset_tEEE10hipError_tPvRmT1_PNSt15iterator_traitsIS13_E10value_typeET2_T3_PNS14_IS19_E10value_typeET4_jRbjT5_S1F_jjP12ihipStream_tbEUljE_ZNSN_ISO_Lb0ESR_SS_SU_SV_SZ_EES10_S11_S12_S13_S17_S18_S19_S1C_S1D_jS1E_jS1F_S1F_jjS1H_bEUljE0_EEES10_S11_S12_S19_S1D_S1F_T6_T7_T9_mT8_S1H_bDpT10_ENKUlT_T0_E_clISt17integral_constantIbLb0EES1V_EEDaS1Q_S1R_EUlS1Q_E_NS1_11comp_targetILNS1_3genE3ELNS1_11target_archE908ELNS1_3gpuE7ELNS1_3repE0EEENS1_30default_config_static_selectorELNS0_4arch9wavefront6targetE1EEEvS13_,comdat
.Lfunc_end1781:
	.size	_ZN7rocprim17ROCPRIM_400000_NS6detail17trampoline_kernelINS0_13select_configILj256ELj13ELNS0_17block_load_methodE3ELS4_3ELS4_3ELNS0_20block_scan_algorithmE0ELj4294967295EEENS1_25partition_config_selectorILNS1_17partition_subalgoE4EjNS0_10empty_typeEbEEZZNS1_14partition_implILS8_4ELb0ES6_15HIP_vector_typeIjLj2EENS0_17counting_iteratorIjlEEPS9_SG_NS0_5tupleIJPjSI_NS0_16reverse_iteratorISI_EEEEENSH_IJSG_SG_SG_EEES9_SI_JZNS1_25segmented_radix_sort_implINS0_14default_configELb0EPK6__halfPSP_PKlPlN2at6native12_GLOBAL__N_18offset_tEEE10hipError_tPvRmT1_PNSt15iterator_traitsIS13_E10value_typeET2_T3_PNS14_IS19_E10value_typeET4_jRbjT5_S1F_jjP12ihipStream_tbEUljE_ZNSN_ISO_Lb0ESR_SS_SU_SV_SZ_EES10_S11_S12_S13_S17_S18_S19_S1C_S1D_jS1E_jS1F_S1F_jjS1H_bEUljE0_EEES10_S11_S12_S19_S1D_S1F_T6_T7_T9_mT8_S1H_bDpT10_ENKUlT_T0_E_clISt17integral_constantIbLb0EES1V_EEDaS1Q_S1R_EUlS1Q_E_NS1_11comp_targetILNS1_3genE3ELNS1_11target_archE908ELNS1_3gpuE7ELNS1_3repE0EEENS1_30default_config_static_selectorELNS0_4arch9wavefront6targetE1EEEvS13_, .Lfunc_end1781-_ZN7rocprim17ROCPRIM_400000_NS6detail17trampoline_kernelINS0_13select_configILj256ELj13ELNS0_17block_load_methodE3ELS4_3ELS4_3ELNS0_20block_scan_algorithmE0ELj4294967295EEENS1_25partition_config_selectorILNS1_17partition_subalgoE4EjNS0_10empty_typeEbEEZZNS1_14partition_implILS8_4ELb0ES6_15HIP_vector_typeIjLj2EENS0_17counting_iteratorIjlEEPS9_SG_NS0_5tupleIJPjSI_NS0_16reverse_iteratorISI_EEEEENSH_IJSG_SG_SG_EEES9_SI_JZNS1_25segmented_radix_sort_implINS0_14default_configELb0EPK6__halfPSP_PKlPlN2at6native12_GLOBAL__N_18offset_tEEE10hipError_tPvRmT1_PNSt15iterator_traitsIS13_E10value_typeET2_T3_PNS14_IS19_E10value_typeET4_jRbjT5_S1F_jjP12ihipStream_tbEUljE_ZNSN_ISO_Lb0ESR_SS_SU_SV_SZ_EES10_S11_S12_S13_S17_S18_S19_S1C_S1D_jS1E_jS1F_S1F_jjS1H_bEUljE0_EEES10_S11_S12_S19_S1D_S1F_T6_T7_T9_mT8_S1H_bDpT10_ENKUlT_T0_E_clISt17integral_constantIbLb0EES1V_EEDaS1Q_S1R_EUlS1Q_E_NS1_11comp_targetILNS1_3genE3ELNS1_11target_archE908ELNS1_3gpuE7ELNS1_3repE0EEENS1_30default_config_static_selectorELNS0_4arch9wavefront6targetE1EEEvS13_
                                        ; -- End function
	.set _ZN7rocprim17ROCPRIM_400000_NS6detail17trampoline_kernelINS0_13select_configILj256ELj13ELNS0_17block_load_methodE3ELS4_3ELS4_3ELNS0_20block_scan_algorithmE0ELj4294967295EEENS1_25partition_config_selectorILNS1_17partition_subalgoE4EjNS0_10empty_typeEbEEZZNS1_14partition_implILS8_4ELb0ES6_15HIP_vector_typeIjLj2EENS0_17counting_iteratorIjlEEPS9_SG_NS0_5tupleIJPjSI_NS0_16reverse_iteratorISI_EEEEENSH_IJSG_SG_SG_EEES9_SI_JZNS1_25segmented_radix_sort_implINS0_14default_configELb0EPK6__halfPSP_PKlPlN2at6native12_GLOBAL__N_18offset_tEEE10hipError_tPvRmT1_PNSt15iterator_traitsIS13_E10value_typeET2_T3_PNS14_IS19_E10value_typeET4_jRbjT5_S1F_jjP12ihipStream_tbEUljE_ZNSN_ISO_Lb0ESR_SS_SU_SV_SZ_EES10_S11_S12_S13_S17_S18_S19_S1C_S1D_jS1E_jS1F_S1F_jjS1H_bEUljE0_EEES10_S11_S12_S19_S1D_S1F_T6_T7_T9_mT8_S1H_bDpT10_ENKUlT_T0_E_clISt17integral_constantIbLb0EES1V_EEDaS1Q_S1R_EUlS1Q_E_NS1_11comp_targetILNS1_3genE3ELNS1_11target_archE908ELNS1_3gpuE7ELNS1_3repE0EEENS1_30default_config_static_selectorELNS0_4arch9wavefront6targetE1EEEvS13_.num_vgpr, 0
	.set _ZN7rocprim17ROCPRIM_400000_NS6detail17trampoline_kernelINS0_13select_configILj256ELj13ELNS0_17block_load_methodE3ELS4_3ELS4_3ELNS0_20block_scan_algorithmE0ELj4294967295EEENS1_25partition_config_selectorILNS1_17partition_subalgoE4EjNS0_10empty_typeEbEEZZNS1_14partition_implILS8_4ELb0ES6_15HIP_vector_typeIjLj2EENS0_17counting_iteratorIjlEEPS9_SG_NS0_5tupleIJPjSI_NS0_16reverse_iteratorISI_EEEEENSH_IJSG_SG_SG_EEES9_SI_JZNS1_25segmented_radix_sort_implINS0_14default_configELb0EPK6__halfPSP_PKlPlN2at6native12_GLOBAL__N_18offset_tEEE10hipError_tPvRmT1_PNSt15iterator_traitsIS13_E10value_typeET2_T3_PNS14_IS19_E10value_typeET4_jRbjT5_S1F_jjP12ihipStream_tbEUljE_ZNSN_ISO_Lb0ESR_SS_SU_SV_SZ_EES10_S11_S12_S13_S17_S18_S19_S1C_S1D_jS1E_jS1F_S1F_jjS1H_bEUljE0_EEES10_S11_S12_S19_S1D_S1F_T6_T7_T9_mT8_S1H_bDpT10_ENKUlT_T0_E_clISt17integral_constantIbLb0EES1V_EEDaS1Q_S1R_EUlS1Q_E_NS1_11comp_targetILNS1_3genE3ELNS1_11target_archE908ELNS1_3gpuE7ELNS1_3repE0EEENS1_30default_config_static_selectorELNS0_4arch9wavefront6targetE1EEEvS13_.num_agpr, 0
	.set _ZN7rocprim17ROCPRIM_400000_NS6detail17trampoline_kernelINS0_13select_configILj256ELj13ELNS0_17block_load_methodE3ELS4_3ELS4_3ELNS0_20block_scan_algorithmE0ELj4294967295EEENS1_25partition_config_selectorILNS1_17partition_subalgoE4EjNS0_10empty_typeEbEEZZNS1_14partition_implILS8_4ELb0ES6_15HIP_vector_typeIjLj2EENS0_17counting_iteratorIjlEEPS9_SG_NS0_5tupleIJPjSI_NS0_16reverse_iteratorISI_EEEEENSH_IJSG_SG_SG_EEES9_SI_JZNS1_25segmented_radix_sort_implINS0_14default_configELb0EPK6__halfPSP_PKlPlN2at6native12_GLOBAL__N_18offset_tEEE10hipError_tPvRmT1_PNSt15iterator_traitsIS13_E10value_typeET2_T3_PNS14_IS19_E10value_typeET4_jRbjT5_S1F_jjP12ihipStream_tbEUljE_ZNSN_ISO_Lb0ESR_SS_SU_SV_SZ_EES10_S11_S12_S13_S17_S18_S19_S1C_S1D_jS1E_jS1F_S1F_jjS1H_bEUljE0_EEES10_S11_S12_S19_S1D_S1F_T6_T7_T9_mT8_S1H_bDpT10_ENKUlT_T0_E_clISt17integral_constantIbLb0EES1V_EEDaS1Q_S1R_EUlS1Q_E_NS1_11comp_targetILNS1_3genE3ELNS1_11target_archE908ELNS1_3gpuE7ELNS1_3repE0EEENS1_30default_config_static_selectorELNS0_4arch9wavefront6targetE1EEEvS13_.numbered_sgpr, 0
	.set _ZN7rocprim17ROCPRIM_400000_NS6detail17trampoline_kernelINS0_13select_configILj256ELj13ELNS0_17block_load_methodE3ELS4_3ELS4_3ELNS0_20block_scan_algorithmE0ELj4294967295EEENS1_25partition_config_selectorILNS1_17partition_subalgoE4EjNS0_10empty_typeEbEEZZNS1_14partition_implILS8_4ELb0ES6_15HIP_vector_typeIjLj2EENS0_17counting_iteratorIjlEEPS9_SG_NS0_5tupleIJPjSI_NS0_16reverse_iteratorISI_EEEEENSH_IJSG_SG_SG_EEES9_SI_JZNS1_25segmented_radix_sort_implINS0_14default_configELb0EPK6__halfPSP_PKlPlN2at6native12_GLOBAL__N_18offset_tEEE10hipError_tPvRmT1_PNSt15iterator_traitsIS13_E10value_typeET2_T3_PNS14_IS19_E10value_typeET4_jRbjT5_S1F_jjP12ihipStream_tbEUljE_ZNSN_ISO_Lb0ESR_SS_SU_SV_SZ_EES10_S11_S12_S13_S17_S18_S19_S1C_S1D_jS1E_jS1F_S1F_jjS1H_bEUljE0_EEES10_S11_S12_S19_S1D_S1F_T6_T7_T9_mT8_S1H_bDpT10_ENKUlT_T0_E_clISt17integral_constantIbLb0EES1V_EEDaS1Q_S1R_EUlS1Q_E_NS1_11comp_targetILNS1_3genE3ELNS1_11target_archE908ELNS1_3gpuE7ELNS1_3repE0EEENS1_30default_config_static_selectorELNS0_4arch9wavefront6targetE1EEEvS13_.num_named_barrier, 0
	.set _ZN7rocprim17ROCPRIM_400000_NS6detail17trampoline_kernelINS0_13select_configILj256ELj13ELNS0_17block_load_methodE3ELS4_3ELS4_3ELNS0_20block_scan_algorithmE0ELj4294967295EEENS1_25partition_config_selectorILNS1_17partition_subalgoE4EjNS0_10empty_typeEbEEZZNS1_14partition_implILS8_4ELb0ES6_15HIP_vector_typeIjLj2EENS0_17counting_iteratorIjlEEPS9_SG_NS0_5tupleIJPjSI_NS0_16reverse_iteratorISI_EEEEENSH_IJSG_SG_SG_EEES9_SI_JZNS1_25segmented_radix_sort_implINS0_14default_configELb0EPK6__halfPSP_PKlPlN2at6native12_GLOBAL__N_18offset_tEEE10hipError_tPvRmT1_PNSt15iterator_traitsIS13_E10value_typeET2_T3_PNS14_IS19_E10value_typeET4_jRbjT5_S1F_jjP12ihipStream_tbEUljE_ZNSN_ISO_Lb0ESR_SS_SU_SV_SZ_EES10_S11_S12_S13_S17_S18_S19_S1C_S1D_jS1E_jS1F_S1F_jjS1H_bEUljE0_EEES10_S11_S12_S19_S1D_S1F_T6_T7_T9_mT8_S1H_bDpT10_ENKUlT_T0_E_clISt17integral_constantIbLb0EES1V_EEDaS1Q_S1R_EUlS1Q_E_NS1_11comp_targetILNS1_3genE3ELNS1_11target_archE908ELNS1_3gpuE7ELNS1_3repE0EEENS1_30default_config_static_selectorELNS0_4arch9wavefront6targetE1EEEvS13_.private_seg_size, 0
	.set _ZN7rocprim17ROCPRIM_400000_NS6detail17trampoline_kernelINS0_13select_configILj256ELj13ELNS0_17block_load_methodE3ELS4_3ELS4_3ELNS0_20block_scan_algorithmE0ELj4294967295EEENS1_25partition_config_selectorILNS1_17partition_subalgoE4EjNS0_10empty_typeEbEEZZNS1_14partition_implILS8_4ELb0ES6_15HIP_vector_typeIjLj2EENS0_17counting_iteratorIjlEEPS9_SG_NS0_5tupleIJPjSI_NS0_16reverse_iteratorISI_EEEEENSH_IJSG_SG_SG_EEES9_SI_JZNS1_25segmented_radix_sort_implINS0_14default_configELb0EPK6__halfPSP_PKlPlN2at6native12_GLOBAL__N_18offset_tEEE10hipError_tPvRmT1_PNSt15iterator_traitsIS13_E10value_typeET2_T3_PNS14_IS19_E10value_typeET4_jRbjT5_S1F_jjP12ihipStream_tbEUljE_ZNSN_ISO_Lb0ESR_SS_SU_SV_SZ_EES10_S11_S12_S13_S17_S18_S19_S1C_S1D_jS1E_jS1F_S1F_jjS1H_bEUljE0_EEES10_S11_S12_S19_S1D_S1F_T6_T7_T9_mT8_S1H_bDpT10_ENKUlT_T0_E_clISt17integral_constantIbLb0EES1V_EEDaS1Q_S1R_EUlS1Q_E_NS1_11comp_targetILNS1_3genE3ELNS1_11target_archE908ELNS1_3gpuE7ELNS1_3repE0EEENS1_30default_config_static_selectorELNS0_4arch9wavefront6targetE1EEEvS13_.uses_vcc, 0
	.set _ZN7rocprim17ROCPRIM_400000_NS6detail17trampoline_kernelINS0_13select_configILj256ELj13ELNS0_17block_load_methodE3ELS4_3ELS4_3ELNS0_20block_scan_algorithmE0ELj4294967295EEENS1_25partition_config_selectorILNS1_17partition_subalgoE4EjNS0_10empty_typeEbEEZZNS1_14partition_implILS8_4ELb0ES6_15HIP_vector_typeIjLj2EENS0_17counting_iteratorIjlEEPS9_SG_NS0_5tupleIJPjSI_NS0_16reverse_iteratorISI_EEEEENSH_IJSG_SG_SG_EEES9_SI_JZNS1_25segmented_radix_sort_implINS0_14default_configELb0EPK6__halfPSP_PKlPlN2at6native12_GLOBAL__N_18offset_tEEE10hipError_tPvRmT1_PNSt15iterator_traitsIS13_E10value_typeET2_T3_PNS14_IS19_E10value_typeET4_jRbjT5_S1F_jjP12ihipStream_tbEUljE_ZNSN_ISO_Lb0ESR_SS_SU_SV_SZ_EES10_S11_S12_S13_S17_S18_S19_S1C_S1D_jS1E_jS1F_S1F_jjS1H_bEUljE0_EEES10_S11_S12_S19_S1D_S1F_T6_T7_T9_mT8_S1H_bDpT10_ENKUlT_T0_E_clISt17integral_constantIbLb0EES1V_EEDaS1Q_S1R_EUlS1Q_E_NS1_11comp_targetILNS1_3genE3ELNS1_11target_archE908ELNS1_3gpuE7ELNS1_3repE0EEENS1_30default_config_static_selectorELNS0_4arch9wavefront6targetE1EEEvS13_.uses_flat_scratch, 0
	.set _ZN7rocprim17ROCPRIM_400000_NS6detail17trampoline_kernelINS0_13select_configILj256ELj13ELNS0_17block_load_methodE3ELS4_3ELS4_3ELNS0_20block_scan_algorithmE0ELj4294967295EEENS1_25partition_config_selectorILNS1_17partition_subalgoE4EjNS0_10empty_typeEbEEZZNS1_14partition_implILS8_4ELb0ES6_15HIP_vector_typeIjLj2EENS0_17counting_iteratorIjlEEPS9_SG_NS0_5tupleIJPjSI_NS0_16reverse_iteratorISI_EEEEENSH_IJSG_SG_SG_EEES9_SI_JZNS1_25segmented_radix_sort_implINS0_14default_configELb0EPK6__halfPSP_PKlPlN2at6native12_GLOBAL__N_18offset_tEEE10hipError_tPvRmT1_PNSt15iterator_traitsIS13_E10value_typeET2_T3_PNS14_IS19_E10value_typeET4_jRbjT5_S1F_jjP12ihipStream_tbEUljE_ZNSN_ISO_Lb0ESR_SS_SU_SV_SZ_EES10_S11_S12_S13_S17_S18_S19_S1C_S1D_jS1E_jS1F_S1F_jjS1H_bEUljE0_EEES10_S11_S12_S19_S1D_S1F_T6_T7_T9_mT8_S1H_bDpT10_ENKUlT_T0_E_clISt17integral_constantIbLb0EES1V_EEDaS1Q_S1R_EUlS1Q_E_NS1_11comp_targetILNS1_3genE3ELNS1_11target_archE908ELNS1_3gpuE7ELNS1_3repE0EEENS1_30default_config_static_selectorELNS0_4arch9wavefront6targetE1EEEvS13_.has_dyn_sized_stack, 0
	.set _ZN7rocprim17ROCPRIM_400000_NS6detail17trampoline_kernelINS0_13select_configILj256ELj13ELNS0_17block_load_methodE3ELS4_3ELS4_3ELNS0_20block_scan_algorithmE0ELj4294967295EEENS1_25partition_config_selectorILNS1_17partition_subalgoE4EjNS0_10empty_typeEbEEZZNS1_14partition_implILS8_4ELb0ES6_15HIP_vector_typeIjLj2EENS0_17counting_iteratorIjlEEPS9_SG_NS0_5tupleIJPjSI_NS0_16reverse_iteratorISI_EEEEENSH_IJSG_SG_SG_EEES9_SI_JZNS1_25segmented_radix_sort_implINS0_14default_configELb0EPK6__halfPSP_PKlPlN2at6native12_GLOBAL__N_18offset_tEEE10hipError_tPvRmT1_PNSt15iterator_traitsIS13_E10value_typeET2_T3_PNS14_IS19_E10value_typeET4_jRbjT5_S1F_jjP12ihipStream_tbEUljE_ZNSN_ISO_Lb0ESR_SS_SU_SV_SZ_EES10_S11_S12_S13_S17_S18_S19_S1C_S1D_jS1E_jS1F_S1F_jjS1H_bEUljE0_EEES10_S11_S12_S19_S1D_S1F_T6_T7_T9_mT8_S1H_bDpT10_ENKUlT_T0_E_clISt17integral_constantIbLb0EES1V_EEDaS1Q_S1R_EUlS1Q_E_NS1_11comp_targetILNS1_3genE3ELNS1_11target_archE908ELNS1_3gpuE7ELNS1_3repE0EEENS1_30default_config_static_selectorELNS0_4arch9wavefront6targetE1EEEvS13_.has_recursion, 0
	.set _ZN7rocprim17ROCPRIM_400000_NS6detail17trampoline_kernelINS0_13select_configILj256ELj13ELNS0_17block_load_methodE3ELS4_3ELS4_3ELNS0_20block_scan_algorithmE0ELj4294967295EEENS1_25partition_config_selectorILNS1_17partition_subalgoE4EjNS0_10empty_typeEbEEZZNS1_14partition_implILS8_4ELb0ES6_15HIP_vector_typeIjLj2EENS0_17counting_iteratorIjlEEPS9_SG_NS0_5tupleIJPjSI_NS0_16reverse_iteratorISI_EEEEENSH_IJSG_SG_SG_EEES9_SI_JZNS1_25segmented_radix_sort_implINS0_14default_configELb0EPK6__halfPSP_PKlPlN2at6native12_GLOBAL__N_18offset_tEEE10hipError_tPvRmT1_PNSt15iterator_traitsIS13_E10value_typeET2_T3_PNS14_IS19_E10value_typeET4_jRbjT5_S1F_jjP12ihipStream_tbEUljE_ZNSN_ISO_Lb0ESR_SS_SU_SV_SZ_EES10_S11_S12_S13_S17_S18_S19_S1C_S1D_jS1E_jS1F_S1F_jjS1H_bEUljE0_EEES10_S11_S12_S19_S1D_S1F_T6_T7_T9_mT8_S1H_bDpT10_ENKUlT_T0_E_clISt17integral_constantIbLb0EES1V_EEDaS1Q_S1R_EUlS1Q_E_NS1_11comp_targetILNS1_3genE3ELNS1_11target_archE908ELNS1_3gpuE7ELNS1_3repE0EEENS1_30default_config_static_selectorELNS0_4arch9wavefront6targetE1EEEvS13_.has_indirect_call, 0
	.section	.AMDGPU.csdata,"",@progbits
; Kernel info:
; codeLenInByte = 0
; TotalNumSgprs: 4
; NumVgprs: 0
; ScratchSize: 0
; MemoryBound: 0
; FloatMode: 240
; IeeeMode: 1
; LDSByteSize: 0 bytes/workgroup (compile time only)
; SGPRBlocks: 0
; VGPRBlocks: 0
; NumSGPRsForWavesPerEU: 4
; NumVGPRsForWavesPerEU: 1
; Occupancy: 10
; WaveLimiterHint : 0
; COMPUTE_PGM_RSRC2:SCRATCH_EN: 0
; COMPUTE_PGM_RSRC2:USER_SGPR: 6
; COMPUTE_PGM_RSRC2:TRAP_HANDLER: 0
; COMPUTE_PGM_RSRC2:TGID_X_EN: 1
; COMPUTE_PGM_RSRC2:TGID_Y_EN: 0
; COMPUTE_PGM_RSRC2:TGID_Z_EN: 0
; COMPUTE_PGM_RSRC2:TIDIG_COMP_CNT: 0
	.section	.text._ZN7rocprim17ROCPRIM_400000_NS6detail17trampoline_kernelINS0_13select_configILj256ELj13ELNS0_17block_load_methodE3ELS4_3ELS4_3ELNS0_20block_scan_algorithmE0ELj4294967295EEENS1_25partition_config_selectorILNS1_17partition_subalgoE4EjNS0_10empty_typeEbEEZZNS1_14partition_implILS8_4ELb0ES6_15HIP_vector_typeIjLj2EENS0_17counting_iteratorIjlEEPS9_SG_NS0_5tupleIJPjSI_NS0_16reverse_iteratorISI_EEEEENSH_IJSG_SG_SG_EEES9_SI_JZNS1_25segmented_radix_sort_implINS0_14default_configELb0EPK6__halfPSP_PKlPlN2at6native12_GLOBAL__N_18offset_tEEE10hipError_tPvRmT1_PNSt15iterator_traitsIS13_E10value_typeET2_T3_PNS14_IS19_E10value_typeET4_jRbjT5_S1F_jjP12ihipStream_tbEUljE_ZNSN_ISO_Lb0ESR_SS_SU_SV_SZ_EES10_S11_S12_S13_S17_S18_S19_S1C_S1D_jS1E_jS1F_S1F_jjS1H_bEUljE0_EEES10_S11_S12_S19_S1D_S1F_T6_T7_T9_mT8_S1H_bDpT10_ENKUlT_T0_E_clISt17integral_constantIbLb0EES1V_EEDaS1Q_S1R_EUlS1Q_E_NS1_11comp_targetILNS1_3genE2ELNS1_11target_archE906ELNS1_3gpuE6ELNS1_3repE0EEENS1_30default_config_static_selectorELNS0_4arch9wavefront6targetE1EEEvS13_,"axG",@progbits,_ZN7rocprim17ROCPRIM_400000_NS6detail17trampoline_kernelINS0_13select_configILj256ELj13ELNS0_17block_load_methodE3ELS4_3ELS4_3ELNS0_20block_scan_algorithmE0ELj4294967295EEENS1_25partition_config_selectorILNS1_17partition_subalgoE4EjNS0_10empty_typeEbEEZZNS1_14partition_implILS8_4ELb0ES6_15HIP_vector_typeIjLj2EENS0_17counting_iteratorIjlEEPS9_SG_NS0_5tupleIJPjSI_NS0_16reverse_iteratorISI_EEEEENSH_IJSG_SG_SG_EEES9_SI_JZNS1_25segmented_radix_sort_implINS0_14default_configELb0EPK6__halfPSP_PKlPlN2at6native12_GLOBAL__N_18offset_tEEE10hipError_tPvRmT1_PNSt15iterator_traitsIS13_E10value_typeET2_T3_PNS14_IS19_E10value_typeET4_jRbjT5_S1F_jjP12ihipStream_tbEUljE_ZNSN_ISO_Lb0ESR_SS_SU_SV_SZ_EES10_S11_S12_S13_S17_S18_S19_S1C_S1D_jS1E_jS1F_S1F_jjS1H_bEUljE0_EEES10_S11_S12_S19_S1D_S1F_T6_T7_T9_mT8_S1H_bDpT10_ENKUlT_T0_E_clISt17integral_constantIbLb0EES1V_EEDaS1Q_S1R_EUlS1Q_E_NS1_11comp_targetILNS1_3genE2ELNS1_11target_archE906ELNS1_3gpuE6ELNS1_3repE0EEENS1_30default_config_static_selectorELNS0_4arch9wavefront6targetE1EEEvS13_,comdat
	.globl	_ZN7rocprim17ROCPRIM_400000_NS6detail17trampoline_kernelINS0_13select_configILj256ELj13ELNS0_17block_load_methodE3ELS4_3ELS4_3ELNS0_20block_scan_algorithmE0ELj4294967295EEENS1_25partition_config_selectorILNS1_17partition_subalgoE4EjNS0_10empty_typeEbEEZZNS1_14partition_implILS8_4ELb0ES6_15HIP_vector_typeIjLj2EENS0_17counting_iteratorIjlEEPS9_SG_NS0_5tupleIJPjSI_NS0_16reverse_iteratorISI_EEEEENSH_IJSG_SG_SG_EEES9_SI_JZNS1_25segmented_radix_sort_implINS0_14default_configELb0EPK6__halfPSP_PKlPlN2at6native12_GLOBAL__N_18offset_tEEE10hipError_tPvRmT1_PNSt15iterator_traitsIS13_E10value_typeET2_T3_PNS14_IS19_E10value_typeET4_jRbjT5_S1F_jjP12ihipStream_tbEUljE_ZNSN_ISO_Lb0ESR_SS_SU_SV_SZ_EES10_S11_S12_S13_S17_S18_S19_S1C_S1D_jS1E_jS1F_S1F_jjS1H_bEUljE0_EEES10_S11_S12_S19_S1D_S1F_T6_T7_T9_mT8_S1H_bDpT10_ENKUlT_T0_E_clISt17integral_constantIbLb0EES1V_EEDaS1Q_S1R_EUlS1Q_E_NS1_11comp_targetILNS1_3genE2ELNS1_11target_archE906ELNS1_3gpuE6ELNS1_3repE0EEENS1_30default_config_static_selectorELNS0_4arch9wavefront6targetE1EEEvS13_ ; -- Begin function _ZN7rocprim17ROCPRIM_400000_NS6detail17trampoline_kernelINS0_13select_configILj256ELj13ELNS0_17block_load_methodE3ELS4_3ELS4_3ELNS0_20block_scan_algorithmE0ELj4294967295EEENS1_25partition_config_selectorILNS1_17partition_subalgoE4EjNS0_10empty_typeEbEEZZNS1_14partition_implILS8_4ELb0ES6_15HIP_vector_typeIjLj2EENS0_17counting_iteratorIjlEEPS9_SG_NS0_5tupleIJPjSI_NS0_16reverse_iteratorISI_EEEEENSH_IJSG_SG_SG_EEES9_SI_JZNS1_25segmented_radix_sort_implINS0_14default_configELb0EPK6__halfPSP_PKlPlN2at6native12_GLOBAL__N_18offset_tEEE10hipError_tPvRmT1_PNSt15iterator_traitsIS13_E10value_typeET2_T3_PNS14_IS19_E10value_typeET4_jRbjT5_S1F_jjP12ihipStream_tbEUljE_ZNSN_ISO_Lb0ESR_SS_SU_SV_SZ_EES10_S11_S12_S13_S17_S18_S19_S1C_S1D_jS1E_jS1F_S1F_jjS1H_bEUljE0_EEES10_S11_S12_S19_S1D_S1F_T6_T7_T9_mT8_S1H_bDpT10_ENKUlT_T0_E_clISt17integral_constantIbLb0EES1V_EEDaS1Q_S1R_EUlS1Q_E_NS1_11comp_targetILNS1_3genE2ELNS1_11target_archE906ELNS1_3gpuE6ELNS1_3repE0EEENS1_30default_config_static_selectorELNS0_4arch9wavefront6targetE1EEEvS13_
	.p2align	8
	.type	_ZN7rocprim17ROCPRIM_400000_NS6detail17trampoline_kernelINS0_13select_configILj256ELj13ELNS0_17block_load_methodE3ELS4_3ELS4_3ELNS0_20block_scan_algorithmE0ELj4294967295EEENS1_25partition_config_selectorILNS1_17partition_subalgoE4EjNS0_10empty_typeEbEEZZNS1_14partition_implILS8_4ELb0ES6_15HIP_vector_typeIjLj2EENS0_17counting_iteratorIjlEEPS9_SG_NS0_5tupleIJPjSI_NS0_16reverse_iteratorISI_EEEEENSH_IJSG_SG_SG_EEES9_SI_JZNS1_25segmented_radix_sort_implINS0_14default_configELb0EPK6__halfPSP_PKlPlN2at6native12_GLOBAL__N_18offset_tEEE10hipError_tPvRmT1_PNSt15iterator_traitsIS13_E10value_typeET2_T3_PNS14_IS19_E10value_typeET4_jRbjT5_S1F_jjP12ihipStream_tbEUljE_ZNSN_ISO_Lb0ESR_SS_SU_SV_SZ_EES10_S11_S12_S13_S17_S18_S19_S1C_S1D_jS1E_jS1F_S1F_jjS1H_bEUljE0_EEES10_S11_S12_S19_S1D_S1F_T6_T7_T9_mT8_S1H_bDpT10_ENKUlT_T0_E_clISt17integral_constantIbLb0EES1V_EEDaS1Q_S1R_EUlS1Q_E_NS1_11comp_targetILNS1_3genE2ELNS1_11target_archE906ELNS1_3gpuE6ELNS1_3repE0EEENS1_30default_config_static_selectorELNS0_4arch9wavefront6targetE1EEEvS13_,@function
_ZN7rocprim17ROCPRIM_400000_NS6detail17trampoline_kernelINS0_13select_configILj256ELj13ELNS0_17block_load_methodE3ELS4_3ELS4_3ELNS0_20block_scan_algorithmE0ELj4294967295EEENS1_25partition_config_selectorILNS1_17partition_subalgoE4EjNS0_10empty_typeEbEEZZNS1_14partition_implILS8_4ELb0ES6_15HIP_vector_typeIjLj2EENS0_17counting_iteratorIjlEEPS9_SG_NS0_5tupleIJPjSI_NS0_16reverse_iteratorISI_EEEEENSH_IJSG_SG_SG_EEES9_SI_JZNS1_25segmented_radix_sort_implINS0_14default_configELb0EPK6__halfPSP_PKlPlN2at6native12_GLOBAL__N_18offset_tEEE10hipError_tPvRmT1_PNSt15iterator_traitsIS13_E10value_typeET2_T3_PNS14_IS19_E10value_typeET4_jRbjT5_S1F_jjP12ihipStream_tbEUljE_ZNSN_ISO_Lb0ESR_SS_SU_SV_SZ_EES10_S11_S12_S13_S17_S18_S19_S1C_S1D_jS1E_jS1F_S1F_jjS1H_bEUljE0_EEES10_S11_S12_S19_S1D_S1F_T6_T7_T9_mT8_S1H_bDpT10_ENKUlT_T0_E_clISt17integral_constantIbLb0EES1V_EEDaS1Q_S1R_EUlS1Q_E_NS1_11comp_targetILNS1_3genE2ELNS1_11target_archE906ELNS1_3gpuE6ELNS1_3repE0EEENS1_30default_config_static_selectorELNS0_4arch9wavefront6targetE1EEEvS13_: ; @_ZN7rocprim17ROCPRIM_400000_NS6detail17trampoline_kernelINS0_13select_configILj256ELj13ELNS0_17block_load_methodE3ELS4_3ELS4_3ELNS0_20block_scan_algorithmE0ELj4294967295EEENS1_25partition_config_selectorILNS1_17partition_subalgoE4EjNS0_10empty_typeEbEEZZNS1_14partition_implILS8_4ELb0ES6_15HIP_vector_typeIjLj2EENS0_17counting_iteratorIjlEEPS9_SG_NS0_5tupleIJPjSI_NS0_16reverse_iteratorISI_EEEEENSH_IJSG_SG_SG_EEES9_SI_JZNS1_25segmented_radix_sort_implINS0_14default_configELb0EPK6__halfPSP_PKlPlN2at6native12_GLOBAL__N_18offset_tEEE10hipError_tPvRmT1_PNSt15iterator_traitsIS13_E10value_typeET2_T3_PNS14_IS19_E10value_typeET4_jRbjT5_S1F_jjP12ihipStream_tbEUljE_ZNSN_ISO_Lb0ESR_SS_SU_SV_SZ_EES10_S11_S12_S13_S17_S18_S19_S1C_S1D_jS1E_jS1F_S1F_jjS1H_bEUljE0_EEES10_S11_S12_S19_S1D_S1F_T6_T7_T9_mT8_S1H_bDpT10_ENKUlT_T0_E_clISt17integral_constantIbLb0EES1V_EEDaS1Q_S1R_EUlS1Q_E_NS1_11comp_targetILNS1_3genE2ELNS1_11target_archE906ELNS1_3gpuE6ELNS1_3repE0EEENS1_30default_config_static_selectorELNS0_4arch9wavefront6targetE1EEEvS13_
; %bb.0:
	s_load_dwordx2 s[0:1], s[4:5], 0x68
	s_load_dwordx4 s[44:47], s[4:5], 0x58
	s_load_dword s8, s[4:5], 0x8
	s_load_dwordx2 s[56:57], s[4:5], 0x10
	s_load_dword s7, s[4:5], 0x80
	s_load_dwordx2 s[58:59], s[4:5], 0xa8
	s_load_dwordx8 s[36:43], s[4:5], 0x88
	s_waitcnt lgkmcnt(0)
	s_load_dwordx4 s[48:51], s[46:47], 0x0
	s_mul_i32 s33, s6, 0xd00
	s_add_i32 s9, s7, -1
	s_mulk_i32 s7, 0xd00
	s_add_u32 s2, s56, s7
	s_addc_u32 s3, s57, 0
	v_mov_b32_e32 v1, s2
	v_mov_b32_e32 v2, s3
	s_cmp_eq_u32 s6, s9
	v_cmp_gt_u64_e32 vcc, s[0:1], v[1:2]
	s_cselect_b64 s[34:35], -1, 0
	s_cmp_lg_u32 s6, s9
	s_cselect_b64 s[2:3], -1, 0
	s_add_i32 s1, s8, s33
	s_or_b64 s[2:3], s[2:3], vcc
	s_add_i32 s1, s1, s56
	s_mov_b64 s[8:9], -1
	s_and_b64 vcc, exec, s[2:3]
	v_add_u32_e32 v1, s1, v0
	s_cbranch_vccz .LBB1782_2
; %bb.1:
	v_add_u32_e32 v2, 0x100, v1
	v_lshlrev_b32_e32 v14, 2, v0
	v_add_u32_e32 v3, 0x200, v1
	v_add_u32_e32 v4, 0x300, v1
	;; [unrolled: 1-line block ×11, first 2 shown]
	ds_write2st64_b32 v14, v1, v2 offset1:4
	ds_write2st64_b32 v14, v3, v4 offset0:8 offset1:12
	ds_write2st64_b32 v14, v5, v6 offset0:16 offset1:20
	;; [unrolled: 1-line block ×5, first 2 shown]
	ds_write_b32 v14, v13 offset:12288
	s_waitcnt lgkmcnt(0)
	s_barrier
	s_mov_b64 s[8:9], 0
.LBB1782_2:
	s_andn2_b64 vcc, exec, s[8:9]
	s_add_i32 s7, s7, s56
	s_cbranch_vccnz .LBB1782_4
; %bb.3:
	v_add_u32_e32 v2, 0x100, v1
	v_lshlrev_b32_e32 v14, 2, v0
	v_add_u32_e32 v3, 0x200, v1
	v_add_u32_e32 v4, 0x300, v1
	;; [unrolled: 1-line block ×11, first 2 shown]
	ds_write2st64_b32 v14, v1, v2 offset1:4
	ds_write2st64_b32 v14, v3, v4 offset0:8 offset1:12
	ds_write2st64_b32 v14, v5, v6 offset0:16 offset1:20
	;; [unrolled: 1-line block ×5, first 2 shown]
	ds_write_b32 v14, v13 offset:12288
	s_waitcnt lgkmcnt(0)
	s_barrier
.LBB1782_4:
	v_mul_u32_u24_e32 v30, 13, v0
	v_lshlrev_b32_e32 v1, 2, v30
	s_load_dwordx4 s[52:55], s[4:5], 0x28
	s_load_dwordx2 s[46:47], s[4:5], 0x38
	s_waitcnt lgkmcnt(0)
	ds_read_b32 v29, v1 offset:48
	ds_read2_b32 v[9:10], v1 offset0:10 offset1:11
	ds_read2_b32 v[11:12], v1 offset0:8 offset1:9
	;; [unrolled: 1-line block ×4, first 2 shown]
	ds_read2_b32 v[19:20], v1 offset1:1
	ds_read2_b32 v[17:18], v1 offset0:2 offset1:3
	v_cndmask_b32_e64 v1, 0, 1, s[2:3]
	s_sub_i32 s7, s0, s7
	v_cmp_ne_u32_e64 s[0:1], 1, v1
	s_andn2_b64 vcc, exec, s[2:3]
	s_waitcnt lgkmcnt(0)
	s_barrier
	s_cbranch_vccnz .LBB1782_32
; %bb.5:
	v_add_u32_e32 v1, s37, v19
	v_add_u32_e32 v2, s39, v19
	v_mul_lo_u32 v1, v1, s36
	v_mul_lo_u32 v2, v2, s38
	s_mov_b64 s[62:63], 0
	s_mov_b64 s[60:61], 0
	v_sub_u32_e32 v1, v1, v2
	v_cmp_lt_u32_e32 vcc, s40, v1
	v_cmp_ge_u32_e64 s[2:3], s40, v1
	s_and_saveexec_b64 s[8:9], s[2:3]
	s_cbranch_execz .LBB1782_7
; %bb.6:
	v_add_u32_e32 v1, s42, v19
	v_add_u32_e32 v2, s58, v19
	v_mul_lo_u32 v1, v1, s41
	v_mul_lo_u32 v2, v2, s43
	v_sub_u32_e32 v1, v1, v2
	v_cmp_lt_u32_e64 s[2:3], s59, v1
	s_and_b64 s[60:61], s[2:3], exec
.LBB1782_7:
	s_or_b64 exec, exec, s[8:9]
	v_add_u32_e32 v1, s37, v20
	v_add_u32_e32 v2, s39, v20
	v_mul_lo_u32 v1, v1, s36
	v_mul_lo_u32 v2, v2, s38
	v_sub_u32_e32 v1, v1, v2
	v_cmp_lt_u32_e64 s[2:3], s40, v1
	v_cmp_ge_u32_e64 s[8:9], s40, v1
	s_and_saveexec_b64 s[10:11], s[8:9]
	s_cbranch_execz .LBB1782_9
; %bb.8:
	v_add_u32_e32 v1, s42, v20
	v_add_u32_e32 v2, s58, v20
	v_mul_lo_u32 v1, v1, s41
	v_mul_lo_u32 v2, v2, s43
	v_sub_u32_e32 v1, v1, v2
	v_cmp_lt_u32_e64 s[8:9], s59, v1
	s_and_b64 s[62:63], s[8:9], exec
.LBB1782_9:
	s_or_b64 exec, exec, s[10:11]
	v_add_u32_e32 v1, s37, v17
	v_add_u32_e32 v2, s39, v17
	v_mul_lo_u32 v1, v1, s36
	v_mul_lo_u32 v2, v2, s38
	s_mov_b64 s[66:67], 0
	s_mov_b64 s[64:65], 0
	v_sub_u32_e32 v1, v1, v2
	v_cmp_lt_u32_e64 s[28:29], s40, v1
	v_cmp_ge_u32_e64 s[8:9], s40, v1
	s_and_saveexec_b64 s[10:11], s[8:9]
	s_cbranch_execz .LBB1782_11
; %bb.10:
	v_add_u32_e32 v1, s42, v17
	v_add_u32_e32 v2, s58, v17
	v_mul_lo_u32 v1, v1, s41
	v_mul_lo_u32 v2, v2, s43
	v_sub_u32_e32 v1, v1, v2
	v_cmp_lt_u32_e64 s[8:9], s59, v1
	s_and_b64 s[64:65], s[8:9], exec
.LBB1782_11:
	s_or_b64 exec, exec, s[10:11]
	v_add_u32_e32 v1, s37, v18
	v_add_u32_e32 v2, s39, v18
	v_mul_lo_u32 v1, v1, s36
	v_mul_lo_u32 v2, v2, s38
	v_sub_u32_e32 v1, v1, v2
	v_cmp_lt_u32_e64 s[8:9], s40, v1
	v_cmp_ge_u32_e64 s[10:11], s40, v1
	s_and_saveexec_b64 s[12:13], s[10:11]
	s_cbranch_execz .LBB1782_13
; %bb.12:
	v_add_u32_e32 v1, s42, v18
	v_add_u32_e32 v2, s58, v18
	v_mul_lo_u32 v1, v1, s41
	v_mul_lo_u32 v2, v2, s43
	v_sub_u32_e32 v1, v1, v2
	v_cmp_lt_u32_e64 s[10:11], s59, v1
	s_and_b64 s[66:67], s[10:11], exec
.LBB1782_13:
	s_or_b64 exec, exec, s[12:13]
	v_add_u32_e32 v1, s37, v15
	v_add_u32_e32 v2, s39, v15
	v_mul_lo_u32 v1, v1, s36
	v_mul_lo_u32 v2, v2, s38
	s_mov_b64 s[70:71], 0
	s_mov_b64 s[68:69], 0
	v_sub_u32_e32 v1, v1, v2
	v_cmp_lt_u32_e64 s[10:11], s40, v1
	v_cmp_ge_u32_e64 s[12:13], s40, v1
	s_and_saveexec_b64 s[14:15], s[12:13]
	s_cbranch_execz .LBB1782_15
; %bb.14:
	v_add_u32_e32 v1, s42, v15
	v_add_u32_e32 v2, s58, v15
	v_mul_lo_u32 v1, v1, s41
	v_mul_lo_u32 v2, v2, s43
	v_sub_u32_e32 v1, v1, v2
	v_cmp_lt_u32_e64 s[12:13], s59, v1
	s_and_b64 s[68:69], s[12:13], exec
.LBB1782_15:
	s_or_b64 exec, exec, s[14:15]
	v_add_u32_e32 v1, s37, v16
	v_add_u32_e32 v2, s39, v16
	v_mul_lo_u32 v1, v1, s36
	v_mul_lo_u32 v2, v2, s38
	v_sub_u32_e32 v1, v1, v2
	v_cmp_lt_u32_e64 s[12:13], s40, v1
	v_cmp_ge_u32_e64 s[14:15], s40, v1
	s_and_saveexec_b64 s[16:17], s[14:15]
	s_cbranch_execz .LBB1782_17
; %bb.16:
	v_add_u32_e32 v1, s42, v16
	v_add_u32_e32 v2, s58, v16
	v_mul_lo_u32 v1, v1, s41
	v_mul_lo_u32 v2, v2, s43
	v_sub_u32_e32 v1, v1, v2
	v_cmp_lt_u32_e64 s[14:15], s59, v1
	s_and_b64 s[70:71], s[14:15], exec
.LBB1782_17:
	s_or_b64 exec, exec, s[16:17]
	v_add_u32_e32 v1, s37, v13
	v_add_u32_e32 v2, s39, v13
	v_mul_lo_u32 v1, v1, s36
	v_mul_lo_u32 v2, v2, s38
	s_mov_b64 s[74:75], 0
	s_mov_b64 s[72:73], 0
	v_sub_u32_e32 v1, v1, v2
	v_cmp_lt_u32_e64 s[14:15], s40, v1
	v_cmp_ge_u32_e64 s[16:17], s40, v1
	s_and_saveexec_b64 s[18:19], s[16:17]
	s_cbranch_execz .LBB1782_19
; %bb.18:
	v_add_u32_e32 v1, s42, v13
	v_add_u32_e32 v2, s58, v13
	v_mul_lo_u32 v1, v1, s41
	v_mul_lo_u32 v2, v2, s43
	v_sub_u32_e32 v1, v1, v2
	v_cmp_lt_u32_e64 s[16:17], s59, v1
	s_and_b64 s[72:73], s[16:17], exec
.LBB1782_19:
	s_or_b64 exec, exec, s[18:19]
	v_add_u32_e32 v1, s37, v14
	v_add_u32_e32 v2, s39, v14
	v_mul_lo_u32 v1, v1, s36
	v_mul_lo_u32 v2, v2, s38
	v_sub_u32_e32 v1, v1, v2
	v_cmp_lt_u32_e64 s[16:17], s40, v1
	v_cmp_ge_u32_e64 s[18:19], s40, v1
	s_and_saveexec_b64 s[20:21], s[18:19]
	s_cbranch_execz .LBB1782_21
; %bb.20:
	v_add_u32_e32 v1, s42, v14
	v_add_u32_e32 v2, s58, v14
	v_mul_lo_u32 v1, v1, s41
	v_mul_lo_u32 v2, v2, s43
	v_sub_u32_e32 v1, v1, v2
	v_cmp_lt_u32_e64 s[18:19], s59, v1
	s_and_b64 s[74:75], s[18:19], exec
.LBB1782_21:
	s_or_b64 exec, exec, s[20:21]
	v_add_u32_e32 v1, s37, v11
	v_add_u32_e32 v2, s39, v11
	v_mul_lo_u32 v1, v1, s36
	v_mul_lo_u32 v2, v2, s38
	s_mov_b64 s[78:79], 0
	s_mov_b64 s[76:77], 0
	v_sub_u32_e32 v1, v1, v2
	v_cmp_lt_u32_e64 s[18:19], s40, v1
	v_cmp_ge_u32_e64 s[20:21], s40, v1
	s_and_saveexec_b64 s[22:23], s[20:21]
	s_cbranch_execz .LBB1782_23
; %bb.22:
	v_add_u32_e32 v1, s42, v11
	v_add_u32_e32 v2, s58, v11
	v_mul_lo_u32 v1, v1, s41
	v_mul_lo_u32 v2, v2, s43
	v_sub_u32_e32 v1, v1, v2
	v_cmp_lt_u32_e64 s[20:21], s59, v1
	s_and_b64 s[76:77], s[20:21], exec
.LBB1782_23:
	s_or_b64 exec, exec, s[22:23]
	v_add_u32_e32 v1, s37, v12
	v_add_u32_e32 v2, s39, v12
	v_mul_lo_u32 v1, v1, s36
	v_mul_lo_u32 v2, v2, s38
	v_sub_u32_e32 v1, v1, v2
	v_cmp_lt_u32_e64 s[20:21], s40, v1
	v_cmp_ge_u32_e64 s[22:23], s40, v1
	s_and_saveexec_b64 s[24:25], s[22:23]
	s_cbranch_execz .LBB1782_25
; %bb.24:
	v_add_u32_e32 v1, s42, v12
	v_add_u32_e32 v2, s58, v12
	v_mul_lo_u32 v1, v1, s41
	v_mul_lo_u32 v2, v2, s43
	v_sub_u32_e32 v1, v1, v2
	v_cmp_lt_u32_e64 s[22:23], s59, v1
	s_and_b64 s[78:79], s[22:23], exec
.LBB1782_25:
	s_or_b64 exec, exec, s[24:25]
	v_add_u32_e32 v1, s37, v9
	v_add_u32_e32 v2, s39, v9
	v_mul_lo_u32 v1, v1, s36
	v_mul_lo_u32 v2, v2, s38
	s_mov_b64 s[82:83], 0
	s_mov_b64 s[84:85], 0
	v_sub_u32_e32 v1, v1, v2
	v_cmp_lt_u32_e64 s[22:23], s40, v1
	v_cmp_ge_u32_e64 s[24:25], s40, v1
	s_and_saveexec_b64 s[26:27], s[24:25]
	s_cbranch_execz .LBB1782_27
; %bb.26:
	v_add_u32_e32 v1, s42, v9
	v_add_u32_e32 v2, s58, v9
	v_mul_lo_u32 v1, v1, s41
	v_mul_lo_u32 v2, v2, s43
	v_sub_u32_e32 v1, v1, v2
	v_cmp_lt_u32_e64 s[24:25], s59, v1
	s_and_b64 s[84:85], s[24:25], exec
.LBB1782_27:
	s_or_b64 exec, exec, s[26:27]
	v_add_u32_e32 v1, s37, v10
	v_add_u32_e32 v2, s39, v10
	v_mul_lo_u32 v1, v1, s36
	v_mul_lo_u32 v2, v2, s38
	v_sub_u32_e32 v1, v1, v2
	v_cmp_lt_u32_e64 s[24:25], s40, v1
	v_cmp_ge_u32_e64 s[26:27], s40, v1
	s_and_saveexec_b64 s[30:31], s[26:27]
	s_cbranch_execz .LBB1782_29
; %bb.28:
	v_add_u32_e32 v1, s42, v10
	v_add_u32_e32 v2, s58, v10
	v_mul_lo_u32 v1, v1, s41
	v_mul_lo_u32 v2, v2, s43
	v_sub_u32_e32 v1, v1, v2
	v_cmp_lt_u32_e64 s[26:27], s59, v1
	s_and_b64 s[82:83], s[26:27], exec
.LBB1782_29:
	s_or_b64 exec, exec, s[30:31]
	v_add_u32_e32 v1, s37, v29
	v_add_u32_e32 v2, s39, v29
	v_mul_lo_u32 v1, v1, s36
	v_mul_lo_u32 v2, v2, s38
	s_mov_b64 s[80:81], 0
	s_mov_b64 s[86:87], 0
	v_sub_u32_e32 v1, v1, v2
	v_cmp_lt_u32_e64 s[26:27], s40, v1
	v_cmp_ge_u32_e64 s[30:31], s40, v1
	s_and_saveexec_b64 s[88:89], s[30:31]
	s_cbranch_execz .LBB1782_31
; %bb.30:
	v_add_u32_e32 v1, s42, v29
	v_add_u32_e32 v2, s58, v29
	v_mul_lo_u32 v1, v1, s41
	v_mul_lo_u32 v2, v2, s43
	v_sub_u32_e32 v1, v1, v2
	v_cmp_lt_u32_e64 s[30:31], s59, v1
	s_and_b64 s[86:87], s[30:31], exec
.LBB1782_31:
	s_or_b64 exec, exec, s[88:89]
	v_cndmask_b32_e64 v2, 0, 1, s[2:3]
	v_cndmask_b32_e64 v1, 0, 1, vcc
	v_cndmask_b32_e64 v4, 0, 1, s[8:9]
	v_lshlrev_b16_e32 v2, 8, v2
	v_cndmask_b32_e64 v3, 0, 1, s[28:29]
	v_or_b32_e32 v1, v1, v2
	v_lshlrev_b16_e32 v2, 8, v4
	v_cndmask_b32_e64 v6, 0, 1, s[12:13]
	v_cndmask_b32_e64 v8, 0, 1, s[16:17]
	v_or_b32_sdwa v2, v3, v2 dst_sel:WORD_1 dst_unused:UNUSED_PAD src0_sel:DWORD src1_sel:DWORD
	v_cndmask_b32_e64 v5, 0, 1, s[10:11]
	v_cndmask_b32_e64 v7, 0, 1, s[14:15]
	v_or_b32_sdwa v31, v1, v2 dst_sel:DWORD dst_unused:UNUSED_PAD src0_sel:WORD_0 src1_sel:DWORD
	v_lshlrev_b16_e32 v1, 8, v6
	v_lshlrev_b16_e32 v2, 8, v8
	v_cndmask_b32_e64 v22, 0, 1, s[20:21]
	v_cndmask_b32_e64 v25, 0, 1, s[24:25]
	v_or_b32_e32 v1, v5, v1
	v_or_b32_sdwa v2, v7, v2 dst_sel:WORD_1 dst_unused:UNUSED_PAD src0_sel:DWORD src1_sel:DWORD
	v_cndmask_b32_e64 v21, 0, 1, s[18:19]
	v_cndmask_b32_e64 v23, 0, 1, s[22:23]
	v_or_b32_sdwa v33, v1, v2 dst_sel:DWORD dst_unused:UNUSED_PAD src0_sel:WORD_0 src1_sel:DWORD
	v_lshlrev_b16_e32 v1, 8, v22
	v_lshlrev_b16_e32 v2, 8, v25
	v_cndmask_b32_e64 v37, 0, 1, s[64:65]
	v_cndmask_b32_e64 v42, 0, 1, s[60:61]
	v_or_b32_e32 v1, v21, v1
	v_or_b32_sdwa v2, v23, v2 dst_sel:WORD_1 dst_unused:UNUSED_PAD src0_sel:DWORD src1_sel:DWORD
	v_cndmask_b32_e64 v41, 0, 1, s[62:63]
	v_cndmask_b32_e64 v43, 0, 1, s[26:27]
	v_or_b32_sdwa v36, v1, v2 dst_sel:DWORD dst_unused:UNUSED_PAD src0_sel:WORD_0 src1_sel:DWORD
	v_lshlrev_b16_e32 v1, 8, v42
	v_lshlrev_b16_e32 v2, 8, v37
	v_cndmask_b32_e64 v32, 0, 1, s[72:73]
	v_cndmask_b32_e64 v39, 0, 1, s[68:69]
	v_or_b32_e32 v1, v43, v1
	v_or_b32_sdwa v2, v41, v2 dst_sel:WORD_1 dst_unused:UNUSED_PAD src0_sel:DWORD src1_sel:DWORD
	v_cndmask_b32_e64 v34, 0, 1, s[70:71]
	v_cndmask_b32_e64 v40, 0, 1, s[66:67]
	v_or_b32_sdwa v37, v1, v2 dst_sel:DWORD dst_unused:UNUSED_PAD src0_sel:WORD_0 src1_sel:DWORD
	v_lshlrev_b16_e32 v1, 8, v39
	v_lshlrev_b16_e32 v2, 8, v32
	v_cndmask_b32_e64 v24, 0, 1, s[84:85]
	v_cndmask_b32_e64 v27, 0, 1, s[76:77]
	v_or_b32_e32 v1, v40, v1
	v_or_b32_sdwa v2, v34, v2 dst_sel:WORD_1 dst_unused:UNUSED_PAD src0_sel:DWORD src1_sel:DWORD
	v_cndmask_b32_e64 v26, 0, 1, s[78:79]
	v_cndmask_b32_e64 v28, 0, 1, s[74:75]
	v_or_b32_sdwa v32, v1, v2 dst_sel:DWORD dst_unused:UNUSED_PAD src0_sel:WORD_0 src1_sel:DWORD
	v_lshlrev_b16_e32 v1, 8, v27
	v_lshlrev_b16_e32 v2, 8, v24
	v_or_b32_e32 v1, v28, v1
	v_or_b32_sdwa v2, v26, v2 dst_sel:WORD_1 dst_unused:UNUSED_PAD src0_sel:DWORD src1_sel:DWORD
	v_cndmask_b32_e64 v35, 0, 1, s[82:83]
	v_cndmask_b32_e64 v38, 0, 1, s[86:87]
	v_or_b32_sdwa v34, v1, v2 dst_sel:DWORD dst_unused:UNUSED_PAD src0_sel:WORD_0 src1_sel:DWORD
	s_load_dwordx2 s[12:13], s[4:5], 0x78
	s_add_i32 s18, s7, 0xd00
	s_and_b64 vcc, exec, s[80:81]
	s_cbranch_vccnz .LBB1782_33
	s_branch .LBB1782_110
.LBB1782_32:
                                        ; implicit-def: $vgpr38
                                        ; implicit-def: $vgpr35
                                        ; implicit-def: $vgpr34
                                        ; implicit-def: $vgpr32
                                        ; implicit-def: $vgpr37
                                        ; implicit-def: $vgpr36
                                        ; implicit-def: $vgpr33
                                        ; implicit-def: $vgpr31
	s_load_dwordx2 s[12:13], s[4:5], 0x78
	s_add_i32 s18, s7, 0xd00
	s_cbranch_execz .LBB1782_110
.LBB1782_33:
	v_cmp_gt_u32_e32 vcc, s18, v30
	v_mov_b32_e32 v2, 0
	v_mov_b32_e32 v1, 0
	s_and_saveexec_b64 s[4:5], vcc
	s_cbranch_execz .LBB1782_37
; %bb.34:
	v_add_u32_e32 v1, s37, v19
	v_add_u32_e32 v2, s39, v19
	v_mul_lo_u32 v1, v1, s36
	v_mul_lo_u32 v2, v2, s38
	s_mov_b64 s[10:11], 0
	v_sub_u32_e32 v1, v1, v2
	v_cmp_lt_u32_e32 vcc, s40, v1
	v_cmp_ge_u32_e64 s[2:3], s40, v1
	s_and_saveexec_b64 s[8:9], s[2:3]
	s_cbranch_execz .LBB1782_36
; %bb.35:
	v_add_u32_e32 v1, s42, v19
	v_add_u32_e32 v2, s58, v19
	v_mul_lo_u32 v1, v1, s41
	v_mul_lo_u32 v2, v2, s43
	v_sub_u32_e32 v1, v1, v2
	v_cmp_lt_u32_e64 s[2:3], s59, v1
	s_and_b64 s[10:11], s[2:3], exec
.LBB1782_36:
	s_or_b64 exec, exec, s[8:9]
	v_cndmask_b32_e64 v2, 0, 1, s[10:11]
	v_cndmask_b32_e64 v1, 0, 1, vcc
.LBB1782_37:
	s_or_b64 exec, exec, s[4:5]
	v_lshlrev_b16_e32 v7, 8, v2
	v_add_u32_e32 v2, 1, v30
	v_cmp_le_u32_e32 vcc, s18, v2
	v_lshlrev_b16_e64 v4, 8, 0
                                        ; implicit-def: $vgpr3
                                        ; implicit-def: $vgpr5
                                        ; implicit-def: $vgpr6
                                        ; implicit-def: $vgpr2
                                        ; implicit-def: $vgpr8
	s_and_saveexec_b64 s[2:3], vcc
	s_xor_b64 s[2:3], exec, s[2:3]
; %bb.38:
	v_mov_b32_e32 v2, 8
	v_lshrrev_b32_sdwa v3, v2, v7 dst_sel:BYTE_1 dst_unused:UNUSED_PAD src0_sel:DWORD src1_sel:DWORD
	v_and_b32_e32 v8, 0xff, v1
	v_or_b32_sdwa v1, v7, v3 dst_sel:DWORD dst_unused:UNUSED_PAD src0_sel:BYTE_0 src1_sel:DWORD
	v_mov_b32_e32 v5, 0
	v_lshlrev_b16_e64 v4, 8, 0
	v_lshlrev_b16_e64 v2, 8, 0
	v_and_b32_e32 v6, 0xffff, v1
	v_lshlrev_b16_e64 v3, 8, 0
                                        ; implicit-def: $vgpr1
                                        ; implicit-def: $vgpr7
; %bb.39:
	s_andn2_saveexec_b64 s[4:5], s[2:3]
	s_cbranch_execz .LBB1782_43
; %bb.40:
	v_add_u32_e32 v2, s37, v20
	v_add_u32_e32 v3, s39, v20
	v_mul_lo_u32 v2, v2, s36
	v_mul_lo_u32 v3, v3, s38
	s_mov_b64 s[8:9], 0
	v_sub_u32_e32 v2, v2, v3
	v_cmp_lt_u32_e32 vcc, s40, v2
	v_cmp_ge_u32_e64 s[2:3], s40, v2
	s_and_saveexec_b64 s[10:11], s[2:3]
	s_cbranch_execz .LBB1782_42
; %bb.41:
	v_add_u32_e32 v2, s42, v20
	v_add_u32_e32 v3, s58, v20
	v_mul_lo_u32 v2, v2, s41
	v_mul_lo_u32 v3, v3, s43
	v_sub_u32_e32 v2, v2, v3
	v_cmp_lt_u32_e64 s[2:3], s59, v2
	s_and_b64 s[8:9], s[2:3], exec
.LBB1782_42:
	s_or_b64 exec, exec, s[10:11]
	v_cndmask_b32_e64 v3, 0, 1, vcc
	v_lshlrev_b16_e32 v3, 8, v3
	v_or_b32_sdwa v1, v1, v3 dst_sel:DWORD dst_unused:UNUSED_PAD src0_sel:BYTE_0 src1_sel:DWORD
	v_and_b32_e32 v8, 0xffff, v1
	v_mov_b32_e32 v1, 8
	v_lshrrev_b32_sdwa v1, v1, v7 dst_sel:BYTE_1 dst_unused:UNUSED_PAD src0_sel:DWORD src1_sel:DWORD
	v_or_b32_sdwa v1, v7, v1 dst_sel:DWORD dst_unused:UNUSED_PAD src0_sel:BYTE_0 src1_sel:DWORD
	v_and_b32_e32 v1, 0xffff, v1
	v_cndmask_b32_e64 v3, 0, 1, s[8:9]
	v_mov_b32_e32 v2, 0
	v_mov_b32_e32 v5, 0
	v_lshl_or_b32 v6, v3, 16, v1
	v_lshlrev_b16_e64 v3, 8, 0
.LBB1782_43:
	s_or_b64 exec, exec, s[4:5]
	v_add_u32_e32 v1, 2, v30
	v_cmp_le_u32_e32 vcc, s18, v1
	v_lshrrev_b32_e32 v21, 24, v8
                                        ; implicit-def: $vgpr1
                                        ; implicit-def: $vgpr7
	s_and_saveexec_b64 s[2:3], vcc
	s_xor_b64 s[2:3], exec, s[2:3]
	s_cbranch_execz .LBB1782_45
; %bb.44:
	s_mov_b32 s4, 0x40c0100
	v_perm_b32 v7, v21, v8, s4
	v_mov_b32_e32 v8, 8
	v_lshrrev_b32_sdwa v8, v8, v7 dst_sel:BYTE_1 dst_unused:UNUSED_PAD src0_sel:DWORD src1_sel:DWORD
	v_or_b32_sdwa v8, v7, v8 dst_sel:DWORD dst_unused:UNUSED_PAD src0_sel:BYTE_0 src1_sel:DWORD
	v_and_b32_e32 v8, 0xffff, v8
	s_mov_b32 s4, 0xff000000
	v_and_or_b32 v7, v7, s4, v8
	s_mov_b32 s4, 0x3060504
	v_and_b32_e32 v1, 0xff0000, v6
	v_perm_b32 v4, v4, v4, s4
	s_mov_b32 s4, 0x3020504
	v_perm_b32 v1, v6, v1, s4
                                        ; implicit-def: $vgpr8
                                        ; implicit-def: $vgpr21
                                        ; implicit-def: $vgpr6
.LBB1782_45:
	s_andn2_saveexec_b64 s[4:5], s[2:3]
	s_cbranch_execz .LBB1782_49
; %bb.46:
	v_add_u32_e32 v1, s37, v17
	v_add_u32_e32 v7, s39, v17
	v_mul_lo_u32 v1, v1, s36
	v_mul_lo_u32 v7, v7, s38
	s_mov_b64 s[8:9], 0
	v_sub_u32_e32 v1, v1, v7
	v_cmp_lt_u32_e32 vcc, s40, v1
	v_cmp_ge_u32_e64 s[2:3], s40, v1
	s_and_saveexec_b64 s[10:11], s[2:3]
	s_cbranch_execz .LBB1782_48
; %bb.47:
	v_add_u32_e32 v1, s42, v17
	v_add_u32_e32 v7, s58, v17
	v_mul_lo_u32 v1, v1, s41
	v_mul_lo_u32 v7, v7, s43
	v_sub_u32_e32 v1, v1, v7
	v_cmp_lt_u32_e64 s[2:3], s59, v1
	s_and_b64 s[8:9], s[2:3], exec
.LBB1782_48:
	s_or_b64 exec, exec, s[10:11]
	v_mov_b32_e32 v23, 8
	v_lshrrev_b32_sdwa v7, v23, v8 dst_sel:BYTE_1 dst_unused:UNUSED_PAD src0_sel:DWORD src1_sel:DWORD
	v_cndmask_b32_e64 v1, 0, 1, vcc
	v_or_b32_sdwa v7, v8, v7 dst_sel:DWORD dst_unused:UNUSED_PAD src0_sel:BYTE_0 src1_sel:DWORD
	v_lshlrev_b16_e32 v8, 8, v21
	v_or_b32_sdwa v1, v1, v8 dst_sel:WORD_1 dst_unused:UNUSED_PAD src0_sel:DWORD src1_sel:DWORD
	v_cndmask_b32_e64 v22, 0, 1, s[8:9]
	s_movk_i32 s2, 0xff
	v_or_b32_sdwa v7, v7, v1 dst_sel:DWORD dst_unused:UNUSED_PAD src0_sel:WORD_0 src1_sel:DWORD
	v_lshrrev_b32_sdwa v1, v23, v6 dst_sel:BYTE_1 dst_unused:UNUSED_PAD src0_sel:DWORD src1_sel:DWORD
	v_or_b32_sdwa v1, v6, v1 dst_sel:DWORD dst_unused:UNUSED_PAD src0_sel:BYTE_0 src1_sel:DWORD
	v_lshlrev_b16_e32 v8, 8, v22
	v_and_b32_sdwa v6, v6, s2 dst_sel:DWORD dst_unused:UNUSED_PAD src0_sel:WORD_1 src1_sel:DWORD
	v_or_b32_sdwa v6, v6, v8 dst_sel:WORD_1 dst_unused:UNUSED_PAD src0_sel:DWORD src1_sel:DWORD
	v_or_b32_sdwa v1, v1, v6 dst_sel:DWORD dst_unused:UNUSED_PAD src0_sel:WORD_0 src1_sel:DWORD
.LBB1782_49:
	s_or_b64 exec, exec, s[4:5]
	v_add_u32_e32 v6, 3, v30
	v_cmp_le_u32_e32 vcc, s18, v6
	v_lshrrev_b32_e32 v8, 24, v5
                                        ; implicit-def: $vgpr6
                                        ; implicit-def: $vgpr31
	s_and_saveexec_b64 s[2:3], vcc
	s_xor_b64 s[2:3], exec, s[2:3]
	s_cbranch_execz .LBB1782_51
; %bb.50:
	v_and_b32_e32 v6, 0xff0000, v7
	s_mov_b32 s4, 0x3020504
	s_movk_i32 s5, 0xff
	v_perm_b32 v31, v7, v6, s4
	v_lshlrev_b16_e32 v6, 8, v8
	v_and_b32_sdwa v7, v5, s5 dst_sel:DWORD dst_unused:UNUSED_PAD src0_sel:WORD_1 src1_sel:DWORD
	s_mov_b32 s4, 0x3060504
	v_or_b32_sdwa v6, v7, v6 dst_sel:WORD_1 dst_unused:UNUSED_PAD src0_sel:DWORD src1_sel:DWORD
	v_mov_b32_e32 v7, 8
	v_perm_b32 v4, v4, v4, s4
	v_lshrrev_b32_sdwa v6, v7, v5 dst_sel:BYTE_1 dst_unused:UNUSED_PRESERVE src0_sel:DWORD src1_sel:DWORD
	v_perm_b32 v3, v3, v3, s4
                                        ; implicit-def: $vgpr7
                                        ; implicit-def: $vgpr8
                                        ; implicit-def: $vgpr5
.LBB1782_51:
	s_andn2_saveexec_b64 s[4:5], s[2:3]
	s_cbranch_execz .LBB1782_55
; %bb.52:
	v_add_u32_e32 v6, s37, v18
	v_add_u32_e32 v21, s39, v18
	v_mul_lo_u32 v6, v6, s36
	v_mul_lo_u32 v21, v21, s38
	s_mov_b64 s[8:9], 0
	v_sub_u32_e32 v6, v6, v21
	v_cmp_lt_u32_e32 vcc, s40, v6
	v_cmp_ge_u32_e64 s[2:3], s40, v6
	s_and_saveexec_b64 s[10:11], s[2:3]
	s_cbranch_execz .LBB1782_54
; %bb.53:
	v_add_u32_e32 v6, s42, v18
	v_add_u32_e32 v21, s58, v18
	v_mul_lo_u32 v6, v6, s41
	v_mul_lo_u32 v21, v21, s43
	v_sub_u32_e32 v6, v6, v21
	v_cmp_lt_u32_e64 s[2:3], s59, v6
	s_and_b64 s[8:9], s[2:3], exec
.LBB1782_54:
	s_or_b64 exec, exec, s[10:11]
	v_mov_b32_e32 v22, 8
	v_cndmask_b32_e64 v6, 0, 1, vcc
	s_movk_i32 s2, 0xff
	v_lshrrev_b32_sdwa v23, v22, v7 dst_sel:BYTE_1 dst_unused:UNUSED_PAD src0_sel:DWORD src1_sel:DWORD
	v_or_b32_sdwa v23, v7, v23 dst_sel:DWORD dst_unused:UNUSED_PAD src0_sel:BYTE_0 src1_sel:DWORD
	v_lshlrev_b16_e32 v6, 8, v6
	v_and_b32_sdwa v7, v7, s2 dst_sel:DWORD dst_unused:UNUSED_PAD src0_sel:WORD_1 src1_sel:DWORD
	v_or_b32_sdwa v6, v7, v6 dst_sel:WORD_1 dst_unused:UNUSED_PAD src0_sel:DWORD src1_sel:DWORD
	v_cndmask_b32_e64 v21, 0, 1, s[8:9]
	v_or_b32_sdwa v31, v23, v6 dst_sel:DWORD dst_unused:UNUSED_PAD src0_sel:WORD_0 src1_sel:DWORD
	v_lshlrev_b16_e32 v6, 8, v8
	v_and_b32_sdwa v7, v5, s2 dst_sel:DWORD dst_unused:UNUSED_PAD src0_sel:WORD_1 src1_sel:DWORD
	v_lshrrev_b32_sdwa v5, v22, v5 dst_sel:BYTE_1 dst_unused:UNUSED_PAD src0_sel:DWORD src1_sel:DWORD
	v_or_b32_sdwa v6, v7, v6 dst_sel:WORD_1 dst_unused:UNUSED_PAD src0_sel:DWORD src1_sel:DWORD
	v_or_b32_e32 v5, v21, v5
	v_or_b32_sdwa v6, v5, v6 dst_sel:DWORD dst_unused:UNUSED_PAD src0_sel:WORD_0 src1_sel:DWORD
.LBB1782_55:
	s_or_b64 exec, exec, s[4:5]
	v_add_u32_e32 v5, 4, v30
	v_cmp_le_u32_e32 vcc, s18, v5
	v_lshrrev_b32_e32 v21, 24, v4
	v_lshrrev_b32_e32 v8, 24, v6
                                        ; implicit-def: $vgpr7
                                        ; implicit-def: $vgpr5
	s_and_saveexec_b64 s[2:3], vcc
	s_xor_b64 s[2:3], exec, s[2:3]
	s_cbranch_execz .LBB1782_57
; %bb.56:
	s_movk_i32 s4, 0xff
	v_lshlrev_b16_e32 v5, 8, v21
	v_and_b32_sdwa v21, v4, s4 dst_sel:DWORD dst_unused:UNUSED_PAD src0_sel:WORD_1 src1_sel:DWORD
	v_mov_b32_e32 v7, 8
	v_or_b32_sdwa v5, v21, v5 dst_sel:WORD_1 dst_unused:UNUSED_PAD src0_sel:DWORD src1_sel:DWORD
	v_lshrrev_b32_sdwa v5, v7, v4 dst_sel:BYTE_1 dst_unused:UNUSED_PRESERVE src0_sel:DWORD src1_sel:DWORD
	v_lshlrev_b16_e32 v4, 8, v8
	v_and_b32_sdwa v7, v6, s4 dst_sel:DWORD dst_unused:UNUSED_PAD src0_sel:WORD_1 src1_sel:DWORD
	v_or_b32_e32 v4, v7, v4
	s_mov_b32 s4, 0x5040c00
	v_perm_b32 v7, v4, v6, s4
	s_mov_b32 s4, 0x3060504
	v_perm_b32 v3, v3, v3, s4
                                        ; implicit-def: $vgpr21
                                        ; implicit-def: $vgpr4
                                        ; implicit-def: $vgpr6
                                        ; implicit-def: $vgpr8
.LBB1782_57:
	s_andn2_saveexec_b64 s[4:5], s[2:3]
	s_cbranch_execz .LBB1782_61
; %bb.58:
	v_add_u32_e32 v5, s37, v15
	v_add_u32_e32 v7, s39, v15
	v_mul_lo_u32 v5, v5, s36
	v_mul_lo_u32 v7, v7, s38
	s_mov_b64 s[8:9], 0
	v_sub_u32_e32 v5, v5, v7
	v_cmp_lt_u32_e32 vcc, s40, v5
	v_cmp_ge_u32_e64 s[2:3], s40, v5
	s_and_saveexec_b64 s[10:11], s[2:3]
	s_cbranch_execz .LBB1782_60
; %bb.59:
	v_add_u32_e32 v5, s42, v15
	v_add_u32_e32 v7, s58, v15
	v_mul_lo_u32 v5, v5, s41
	v_mul_lo_u32 v7, v7, s43
	v_sub_u32_e32 v5, v5, v7
	v_cmp_lt_u32_e64 s[2:3], s59, v5
	s_and_b64 s[8:9], s[2:3], exec
.LBB1782_60:
	s_or_b64 exec, exec, s[10:11]
	s_movk_i32 s2, 0xff
	v_lshlrev_b16_e32 v21, 8, v21
	v_and_b32_sdwa v22, v4, s2 dst_sel:DWORD dst_unused:UNUSED_PAD src0_sel:WORD_1 src1_sel:DWORD
	v_or_b32_sdwa v21, v22, v21 dst_sel:WORD_1 dst_unused:UNUSED_PAD src0_sel:DWORD src1_sel:DWORD
	v_mov_b32_e32 v22, 8
	v_cndmask_b32_e64 v5, 0, 1, vcc
	v_lshrrev_b32_sdwa v4, v22, v4 dst_sel:BYTE_1 dst_unused:UNUSED_PAD src0_sel:DWORD src1_sel:DWORD
	v_cndmask_b32_e64 v7, 0, 1, s[8:9]
	v_or_b32_e32 v4, v5, v4
	v_or_b32_sdwa v5, v4, v21 dst_sel:DWORD dst_unused:UNUSED_PAD src0_sel:WORD_0 src1_sel:DWORD
	v_lshlrev_b16_e32 v4, 8, v7
	v_or_b32_sdwa v4, v6, v4 dst_sel:DWORD dst_unused:UNUSED_PAD src0_sel:BYTE_0 src1_sel:DWORD
	v_lshlrev_b16_e32 v7, 8, v8
	v_and_b32_sdwa v6, v6, s2 dst_sel:DWORD dst_unused:UNUSED_PAD src0_sel:WORD_1 src1_sel:DWORD
	v_or_b32_sdwa v6, v6, v7 dst_sel:WORD_1 dst_unused:UNUSED_PAD src0_sel:DWORD src1_sel:DWORD
	v_or_b32_sdwa v7, v4, v6 dst_sel:DWORD dst_unused:UNUSED_PAD src0_sel:WORD_0 src1_sel:DWORD
.LBB1782_61:
	s_or_b64 exec, exec, s[4:5]
	v_add_u32_e32 v4, 5, v30
	v_cmp_le_u32_e32 vcc, s18, v4
	v_lshrrev_b32_e32 v8, 24, v7
	v_lshrrev_b32_e32 v21, 24, v5
                                        ; implicit-def: $vgpr4
                                        ; implicit-def: $vgpr6
	s_and_saveexec_b64 s[2:3], vcc
	s_xor_b64 s[2:3], exec, s[2:3]
	s_cbranch_execz .LBB1782_63
; %bb.62:
	s_mov_b32 s4, 0x40c0100
	v_perm_b32 v4, v8, v7, s4
	s_movk_i32 s4, 0xff
	v_lshlrev_b16_e32 v6, 8, v21
	v_and_b32_sdwa v7, v5, s4 dst_sel:DWORD dst_unused:UNUSED_PAD src0_sel:WORD_1 src1_sel:DWORD
	v_or_b32_e32 v6, v7, v6
	s_mov_b32 s4, 0x5040c00
	v_perm_b32 v6, v6, v5, s4
	v_mov_b32_e32 v5, 8
	v_lshrrev_b32_sdwa v5, v5, v4 dst_sel:BYTE_1 dst_unused:UNUSED_PAD src0_sel:DWORD src1_sel:DWORD
	v_or_b32_sdwa v5, v4, v5 dst_sel:DWORD dst_unused:UNUSED_PAD src0_sel:BYTE_0 src1_sel:DWORD
	v_and_b32_e32 v5, 0xffff, v5
	s_mov_b32 s4, 0xff000000
	v_and_or_b32 v4, v4, s4, v5
	s_mov_b32 s4, 0x3060504
	v_perm_b32 v3, v3, v3, s4
                                        ; implicit-def: $vgpr5
                                        ; implicit-def: $vgpr21
                                        ; implicit-def: $vgpr7
                                        ; implicit-def: $vgpr8
.LBB1782_63:
	s_andn2_saveexec_b64 s[4:5], s[2:3]
	s_cbranch_execz .LBB1782_67
; %bb.64:
	v_add_u32_e32 v4, s37, v16
	v_add_u32_e32 v6, s39, v16
	v_mul_lo_u32 v4, v4, s36
	v_mul_lo_u32 v6, v6, s38
	s_mov_b64 s[8:9], 0
	v_sub_u32_e32 v4, v4, v6
	v_cmp_lt_u32_e32 vcc, s40, v4
	v_cmp_ge_u32_e64 s[2:3], s40, v4
	s_and_saveexec_b64 s[10:11], s[2:3]
	s_cbranch_execz .LBB1782_66
; %bb.65:
	v_add_u32_e32 v4, s42, v16
	v_add_u32_e32 v6, s58, v16
	v_mul_lo_u32 v4, v4, s41
	v_mul_lo_u32 v6, v6, s43
	v_sub_u32_e32 v4, v4, v6
	v_cmp_lt_u32_e64 s[2:3], s59, v4
	s_and_b64 s[8:9], s[2:3], exec
.LBB1782_66:
	s_or_b64 exec, exec, s[10:11]
	v_cndmask_b32_e64 v4, 0, 1, vcc
	v_lshlrev_b16_e32 v4, 8, v4
	s_movk_i32 s2, 0xff
	v_or_b32_sdwa v4, v5, v4 dst_sel:DWORD dst_unused:UNUSED_PAD src0_sel:BYTE_0 src1_sel:DWORD
	v_lshlrev_b16_e32 v6, 8, v21
	v_and_b32_sdwa v5, v5, s2 dst_sel:DWORD dst_unused:UNUSED_PAD src0_sel:WORD_1 src1_sel:DWORD
	v_or_b32_sdwa v5, v5, v6 dst_sel:WORD_1 dst_unused:UNUSED_PAD src0_sel:DWORD src1_sel:DWORD
	v_or_b32_sdwa v6, v4, v5 dst_sel:DWORD dst_unused:UNUSED_PAD src0_sel:WORD_0 src1_sel:DWORD
	v_mov_b32_e32 v4, 8
	v_cndmask_b32_e64 v22, 0, 1, s[8:9]
	v_lshrrev_b32_sdwa v4, v4, v7 dst_sel:BYTE_1 dst_unused:UNUSED_PAD src0_sel:DWORD src1_sel:DWORD
	v_lshlrev_b16_e32 v5, 8, v8
	v_or_b32_sdwa v4, v7, v4 dst_sel:DWORD dst_unused:UNUSED_PAD src0_sel:BYTE_0 src1_sel:DWORD
	v_or_b32_sdwa v5, v22, v5 dst_sel:WORD_1 dst_unused:UNUSED_PAD src0_sel:DWORD src1_sel:DWORD
	v_or_b32_sdwa v4, v4, v5 dst_sel:DWORD dst_unused:UNUSED_PAD src0_sel:WORD_0 src1_sel:DWORD
.LBB1782_67:
	s_or_b64 exec, exec, s[4:5]
	v_add_u32_e32 v5, 6, v30
	v_cmp_le_u32_e32 vcc, s18, v5
	v_lshrrev_b32_e32 v7, 24, v6
                                        ; implicit-def: $vgpr32
                                        ; implicit-def: $vgpr5
	s_and_saveexec_b64 s[2:3], vcc
	s_xor_b64 s[2:3], exec, s[2:3]
	s_cbranch_execz .LBB1782_69
; %bb.68:
	s_mov_b32 s4, 0x40c0100
	v_perm_b32 v5, v7, v6, s4
	v_mov_b32_e32 v6, 8
	v_lshrrev_b32_sdwa v6, v6, v5 dst_sel:BYTE_1 dst_unused:UNUSED_PAD src0_sel:DWORD src1_sel:DWORD
	v_or_b32_sdwa v6, v5, v6 dst_sel:DWORD dst_unused:UNUSED_PAD src0_sel:BYTE_0 src1_sel:DWORD
	v_and_b32_e32 v6, 0xffff, v6
	s_mov_b32 s4, 0xff000000
	v_and_b32_e32 v8, 0xff0000, v4
	v_and_or_b32 v5, v5, s4, v6
	s_mov_b32 s4, 0x3020504
	v_perm_b32 v32, v4, v8, s4
	s_mov_b32 s4, 0x3060504
	v_perm_b32 v3, v3, v3, s4
                                        ; implicit-def: $vgpr6
                                        ; implicit-def: $vgpr7
                                        ; implicit-def: $vgpr4
.LBB1782_69:
	s_andn2_saveexec_b64 s[4:5], s[2:3]
	s_cbranch_execz .LBB1782_73
; %bb.70:
	v_add_u32_e32 v5, s37, v13
	v_add_u32_e32 v8, s39, v13
	v_mul_lo_u32 v5, v5, s36
	v_mul_lo_u32 v8, v8, s38
	s_mov_b64 s[8:9], 0
	v_sub_u32_e32 v5, v5, v8
	v_cmp_lt_u32_e32 vcc, s40, v5
	v_cmp_ge_u32_e64 s[2:3], s40, v5
	s_and_saveexec_b64 s[10:11], s[2:3]
	s_cbranch_execz .LBB1782_72
; %bb.71:
	v_add_u32_e32 v5, s42, v13
	v_add_u32_e32 v8, s58, v13
	v_mul_lo_u32 v5, v5, s41
	v_mul_lo_u32 v8, v8, s43
	v_sub_u32_e32 v5, v5, v8
	v_cmp_lt_u32_e64 s[2:3], s59, v5
	s_and_b64 s[8:9], s[2:3], exec
.LBB1782_72:
	s_or_b64 exec, exec, s[10:11]
	v_mov_b32_e32 v21, 8
	v_cndmask_b32_e64 v5, 0, 1, vcc
	v_lshrrev_b32_sdwa v22, v21, v6 dst_sel:BYTE_1 dst_unused:UNUSED_PAD src0_sel:DWORD src1_sel:DWORD
	v_lshlrev_b16_e32 v7, 8, v7
	v_or_b32_sdwa v6, v6, v22 dst_sel:DWORD dst_unused:UNUSED_PAD src0_sel:BYTE_0 src1_sel:DWORD
	v_or_b32_sdwa v5, v5, v7 dst_sel:WORD_1 dst_unused:UNUSED_PAD src0_sel:DWORD src1_sel:DWORD
	v_cndmask_b32_e64 v8, 0, 1, s[8:9]
	s_movk_i32 s2, 0xff
	v_or_b32_sdwa v5, v6, v5 dst_sel:DWORD dst_unused:UNUSED_PAD src0_sel:WORD_0 src1_sel:DWORD
	v_lshrrev_b32_sdwa v6, v21, v4 dst_sel:BYTE_1 dst_unused:UNUSED_PAD src0_sel:DWORD src1_sel:DWORD
	v_or_b32_sdwa v6, v4, v6 dst_sel:DWORD dst_unused:UNUSED_PAD src0_sel:BYTE_0 src1_sel:DWORD
	v_lshlrev_b16_e32 v7, 8, v8
	v_and_b32_sdwa v4, v4, s2 dst_sel:DWORD dst_unused:UNUSED_PAD src0_sel:WORD_1 src1_sel:DWORD
	v_or_b32_sdwa v4, v4, v7 dst_sel:WORD_1 dst_unused:UNUSED_PAD src0_sel:DWORD src1_sel:DWORD
	v_or_b32_sdwa v32, v6, v4 dst_sel:DWORD dst_unused:UNUSED_PAD src0_sel:WORD_0 src1_sel:DWORD
.LBB1782_73:
	s_or_b64 exec, exec, s[4:5]
	v_add_u32_e32 v4, 7, v30
	v_cmp_le_u32_e32 vcc, s18, v4
	v_lshrrev_b32_e32 v6, 24, v3
                                        ; implicit-def: $vgpr4
                                        ; implicit-def: $vgpr33
	s_and_saveexec_b64 s[2:3], vcc
	s_xor_b64 s[2:3], exec, s[2:3]
; %bb.74:
	v_and_b32_e32 v4, 0xff0000, v5
	s_mov_b32 s4, 0x3020504
	v_perm_b32 v33, v5, v4, s4
	s_movk_i32 s4, 0xff
	v_lshlrev_b16_e32 v4, 8, v6
	v_and_b32_sdwa v5, v3, s4 dst_sel:DWORD dst_unused:UNUSED_PAD src0_sel:WORD_1 src1_sel:DWORD
	v_mov_b32_e32 v7, 8
	v_or_b32_sdwa v4, v5, v4 dst_sel:WORD_1 dst_unused:UNUSED_PAD src0_sel:DWORD src1_sel:DWORD
	v_lshrrev_b32_sdwa v4, v7, v3 dst_sel:BYTE_1 dst_unused:UNUSED_PRESERVE src0_sel:DWORD src1_sel:DWORD
                                        ; implicit-def: $vgpr5
                                        ; implicit-def: $vgpr6
                                        ; implicit-def: $vgpr3
; %bb.75:
	s_andn2_saveexec_b64 s[4:5], s[2:3]
	s_cbranch_execz .LBB1782_79
; %bb.76:
	v_add_u32_e32 v4, s37, v14
	v_add_u32_e32 v7, s39, v14
	v_mul_lo_u32 v4, v4, s36
	v_mul_lo_u32 v7, v7, s38
	s_mov_b64 s[8:9], 0
	v_sub_u32_e32 v4, v4, v7
	v_cmp_lt_u32_e32 vcc, s40, v4
	v_cmp_ge_u32_e64 s[2:3], s40, v4
	s_and_saveexec_b64 s[10:11], s[2:3]
	s_cbranch_execz .LBB1782_78
; %bb.77:
	v_add_u32_e32 v4, s42, v14
	v_add_u32_e32 v7, s58, v14
	v_mul_lo_u32 v4, v4, s41
	v_mul_lo_u32 v7, v7, s43
	v_sub_u32_e32 v4, v4, v7
	v_cmp_lt_u32_e64 s[2:3], s59, v4
	s_and_b64 s[8:9], s[2:3], exec
.LBB1782_78:
	s_or_b64 exec, exec, s[10:11]
	v_mov_b32_e32 v8, 8
	v_cndmask_b32_e64 v4, 0, 1, vcc
	s_movk_i32 s2, 0xff
	v_lshrrev_b32_sdwa v21, v8, v5 dst_sel:BYTE_1 dst_unused:UNUSED_PAD src0_sel:DWORD src1_sel:DWORD
	v_or_b32_sdwa v21, v5, v21 dst_sel:DWORD dst_unused:UNUSED_PAD src0_sel:BYTE_0 src1_sel:DWORD
	v_lshlrev_b16_e32 v4, 8, v4
	v_and_b32_sdwa v5, v5, s2 dst_sel:DWORD dst_unused:UNUSED_PAD src0_sel:WORD_1 src1_sel:DWORD
	v_or_b32_sdwa v4, v5, v4 dst_sel:WORD_1 dst_unused:UNUSED_PAD src0_sel:DWORD src1_sel:DWORD
	v_cndmask_b32_e64 v7, 0, 1, s[8:9]
	v_or_b32_sdwa v33, v21, v4 dst_sel:DWORD dst_unused:UNUSED_PAD src0_sel:WORD_0 src1_sel:DWORD
	v_lshlrev_b16_e32 v4, 8, v6
	v_and_b32_sdwa v5, v3, s2 dst_sel:DWORD dst_unused:UNUSED_PAD src0_sel:WORD_1 src1_sel:DWORD
	v_lshrrev_b32_sdwa v3, v8, v3 dst_sel:BYTE_1 dst_unused:UNUSED_PAD src0_sel:DWORD src1_sel:DWORD
	v_or_b32_sdwa v4, v5, v4 dst_sel:WORD_1 dst_unused:UNUSED_PAD src0_sel:DWORD src1_sel:DWORD
	v_or_b32_e32 v3, v7, v3
	v_or_b32_sdwa v4, v3, v4 dst_sel:DWORD dst_unused:UNUSED_PAD src0_sel:WORD_0 src1_sel:DWORD
.LBB1782_79:
	s_or_b64 exec, exec, s[4:5]
	v_add_u32_e32 v3, 8, v30
	v_cmp_le_u32_e32 vcc, s18, v3
	v_lshrrev_b32_e32 v6, 24, v4
	v_lshrrev_b32_e32 v7, 24, v2
                                        ; implicit-def: $vgpr5
                                        ; implicit-def: $vgpr3
	s_and_saveexec_b64 s[2:3], vcc
	s_xor_b64 s[2:3], exec, s[2:3]
	s_cbranch_execz .LBB1782_81
; %bb.80:
	s_movk_i32 s4, 0xff
	v_lshlrev_b16_e32 v3, 8, v7
	v_and_b32_sdwa v5, v2, s4 dst_sel:DWORD dst_unused:UNUSED_PAD src0_sel:WORD_1 src1_sel:DWORD
	v_or_b32_sdwa v3, v5, v3 dst_sel:WORD_1 dst_unused:UNUSED_PAD src0_sel:DWORD src1_sel:DWORD
	v_mov_b32_e32 v5, 8
	v_lshrrev_b32_sdwa v3, v5, v2 dst_sel:BYTE_1 dst_unused:UNUSED_PRESERVE src0_sel:DWORD src1_sel:DWORD
	v_lshlrev_b16_e32 v2, 8, v6
	v_and_b32_sdwa v5, v4, s4 dst_sel:DWORD dst_unused:UNUSED_PAD src0_sel:WORD_1 src1_sel:DWORD
	s_mov_b32 s5, 0x3060504
	v_or_b32_e32 v2, v5, v2
	s_mov_b32 s4, 0x5040c00
	v_perm_b32 v1, v1, v1, s5
	v_perm_b32 v5, v2, v4, s4
                                        ; implicit-def: $vgpr7
                                        ; implicit-def: $vgpr2
                                        ; implicit-def: $vgpr4
                                        ; implicit-def: $vgpr6
.LBB1782_81:
	s_andn2_saveexec_b64 s[4:5], s[2:3]
	s_cbranch_execz .LBB1782_85
; %bb.82:
	v_add_u32_e32 v3, s37, v11
	v_add_u32_e32 v5, s39, v11
	v_mul_lo_u32 v3, v3, s36
	v_mul_lo_u32 v5, v5, s38
	s_mov_b64 s[8:9], 0
	v_sub_u32_e32 v3, v3, v5
	v_cmp_lt_u32_e32 vcc, s40, v3
	v_cmp_ge_u32_e64 s[2:3], s40, v3
	s_and_saveexec_b64 s[10:11], s[2:3]
	s_cbranch_execz .LBB1782_84
; %bb.83:
	v_add_u32_e32 v3, s42, v11
	v_add_u32_e32 v5, s58, v11
	v_mul_lo_u32 v3, v3, s41
	v_mul_lo_u32 v5, v5, s43
	v_sub_u32_e32 v3, v3, v5
	v_cmp_lt_u32_e64 s[2:3], s59, v3
	s_and_b64 s[8:9], s[2:3], exec
.LBB1782_84:
	s_or_b64 exec, exec, s[10:11]
	s_movk_i32 s2, 0xff
	v_lshlrev_b16_e32 v7, 8, v7
	v_and_b32_sdwa v8, v2, s2 dst_sel:DWORD dst_unused:UNUSED_PAD src0_sel:WORD_1 src1_sel:DWORD
	v_or_b32_sdwa v7, v8, v7 dst_sel:WORD_1 dst_unused:UNUSED_PAD src0_sel:DWORD src1_sel:DWORD
	v_mov_b32_e32 v8, 8
	v_cndmask_b32_e64 v3, 0, 1, vcc
	v_lshrrev_b32_sdwa v2, v8, v2 dst_sel:BYTE_1 dst_unused:UNUSED_PAD src0_sel:DWORD src1_sel:DWORD
	v_cndmask_b32_e64 v5, 0, 1, s[8:9]
	v_or_b32_e32 v2, v3, v2
	v_or_b32_sdwa v3, v2, v7 dst_sel:DWORD dst_unused:UNUSED_PAD src0_sel:WORD_0 src1_sel:DWORD
	v_lshlrev_b16_e32 v2, 8, v5
	v_or_b32_sdwa v2, v4, v2 dst_sel:DWORD dst_unused:UNUSED_PAD src0_sel:BYTE_0 src1_sel:DWORD
	v_lshlrev_b16_e32 v5, 8, v6
	v_and_b32_sdwa v4, v4, s2 dst_sel:DWORD dst_unused:UNUSED_PAD src0_sel:WORD_1 src1_sel:DWORD
	v_or_b32_sdwa v4, v4, v5 dst_sel:WORD_1 dst_unused:UNUSED_PAD src0_sel:DWORD src1_sel:DWORD
	v_or_b32_sdwa v5, v2, v4 dst_sel:DWORD dst_unused:UNUSED_PAD src0_sel:WORD_0 src1_sel:DWORD
.LBB1782_85:
	s_or_b64 exec, exec, s[4:5]
	v_add_u32_e32 v2, 9, v30
	v_cmp_le_u32_e32 vcc, s18, v2
	v_lshrrev_b32_e32 v6, 24, v5
	v_lshrrev_b32_e32 v7, 24, v3
                                        ; implicit-def: $vgpr2
                                        ; implicit-def: $vgpr4
	s_and_saveexec_b64 s[2:3], vcc
	s_xor_b64 s[2:3], exec, s[2:3]
	s_cbranch_execz .LBB1782_87
; %bb.86:
	s_mov_b32 s4, 0x40c0100
	v_perm_b32 v2, v6, v5, s4
	v_mov_b32_e32 v4, 8
	s_movk_i32 s4, 0xff
	v_lshrrev_b32_sdwa v5, v4, v2 dst_sel:BYTE_1 dst_unused:UNUSED_PAD src0_sel:DWORD src1_sel:DWORD
	v_lshlrev_b16_e32 v4, 8, v7
	v_and_b32_sdwa v6, v3, s4 dst_sel:DWORD dst_unused:UNUSED_PAD src0_sel:WORD_1 src1_sel:DWORD
	v_or_b32_e32 v4, v6, v4
	s_mov_b32 s4, 0x5040c00
	v_perm_b32 v4, v4, v3, s4
	s_mov_b32 s4, 0x3060504
	v_or_b32_sdwa v3, v2, v5 dst_sel:DWORD dst_unused:UNUSED_PAD src0_sel:BYTE_0 src1_sel:DWORD
	v_perm_b32 v1, v1, v1, s4
	v_and_b32_e32 v3, 0xffff, v3
	s_mov_b32 s4, 0xff000000
	v_and_or_b32 v2, v2, s4, v3
                                        ; implicit-def: $vgpr3
                                        ; implicit-def: $vgpr7
                                        ; implicit-def: $vgpr5
                                        ; implicit-def: $vgpr6
.LBB1782_87:
	s_andn2_saveexec_b64 s[4:5], s[2:3]
	s_cbranch_execz .LBB1782_91
; %bb.88:
	v_add_u32_e32 v2, s37, v12
	v_add_u32_e32 v4, s39, v12
	v_mul_lo_u32 v2, v2, s36
	v_mul_lo_u32 v4, v4, s38
	s_mov_b64 s[8:9], 0
	v_sub_u32_e32 v2, v2, v4
	v_cmp_lt_u32_e32 vcc, s40, v2
	v_cmp_ge_u32_e64 s[2:3], s40, v2
	s_and_saveexec_b64 s[10:11], s[2:3]
	s_cbranch_execz .LBB1782_90
; %bb.89:
	v_add_u32_e32 v2, s42, v12
	v_add_u32_e32 v4, s58, v12
	v_mul_lo_u32 v2, v2, s41
	v_mul_lo_u32 v4, v4, s43
	v_sub_u32_e32 v2, v2, v4
	v_cmp_lt_u32_e64 s[2:3], s59, v2
	s_and_b64 s[8:9], s[2:3], exec
.LBB1782_90:
	s_or_b64 exec, exec, s[10:11]
	v_cndmask_b32_e64 v2, 0, 1, vcc
	v_lshlrev_b16_e32 v2, 8, v2
	s_movk_i32 s2, 0xff
	v_or_b32_sdwa v2, v3, v2 dst_sel:DWORD dst_unused:UNUSED_PAD src0_sel:BYTE_0 src1_sel:DWORD
	v_lshlrev_b16_e32 v4, 8, v7
	v_and_b32_sdwa v3, v3, s2 dst_sel:DWORD dst_unused:UNUSED_PAD src0_sel:WORD_1 src1_sel:DWORD
	v_or_b32_sdwa v3, v3, v4 dst_sel:WORD_1 dst_unused:UNUSED_PAD src0_sel:DWORD src1_sel:DWORD
	v_or_b32_sdwa v4, v2, v3 dst_sel:DWORD dst_unused:UNUSED_PAD src0_sel:WORD_0 src1_sel:DWORD
	v_mov_b32_e32 v2, 8
	v_cndmask_b32_e64 v8, 0, 1, s[8:9]
	v_lshrrev_b32_sdwa v2, v2, v5 dst_sel:BYTE_1 dst_unused:UNUSED_PAD src0_sel:DWORD src1_sel:DWORD
	v_lshlrev_b16_e32 v3, 8, v6
	v_or_b32_sdwa v2, v5, v2 dst_sel:DWORD dst_unused:UNUSED_PAD src0_sel:BYTE_0 src1_sel:DWORD
	v_or_b32_sdwa v3, v8, v3 dst_sel:WORD_1 dst_unused:UNUSED_PAD src0_sel:DWORD src1_sel:DWORD
	v_or_b32_sdwa v2, v2, v3 dst_sel:DWORD dst_unused:UNUSED_PAD src0_sel:WORD_0 src1_sel:DWORD
.LBB1782_91:
	s_or_b64 exec, exec, s[4:5]
	v_add_u32_e32 v3, 10, v30
	v_cmp_le_u32_e32 vcc, s18, v3
	v_lshrrev_b32_e32 v5, 24, v4
                                        ; implicit-def: $vgpr34
                                        ; implicit-def: $vgpr3
	s_and_saveexec_b64 s[2:3], vcc
	s_xor_b64 s[2:3], exec, s[2:3]
	s_cbranch_execz .LBB1782_93
; %bb.92:
	s_mov_b32 s4, 0x40c0100
	v_perm_b32 v3, v5, v4, s4
	v_mov_b32_e32 v4, 8
	v_lshrrev_b32_sdwa v4, v4, v3 dst_sel:BYTE_1 dst_unused:UNUSED_PAD src0_sel:DWORD src1_sel:DWORD
	v_or_b32_sdwa v4, v3, v4 dst_sel:DWORD dst_unused:UNUSED_PAD src0_sel:BYTE_0 src1_sel:DWORD
	v_and_b32_e32 v4, 0xffff, v4
	s_mov_b32 s4, 0xff000000
	v_and_or_b32 v3, v3, s4, v4
	s_mov_b32 s4, 0x3060504
	v_and_b32_e32 v6, 0xff0000, v2
	v_perm_b32 v1, v1, v1, s4
	s_mov_b32 s4, 0x3020504
	v_perm_b32 v34, v2, v6, s4
                                        ; implicit-def: $vgpr4
                                        ; implicit-def: $vgpr5
                                        ; implicit-def: $vgpr2
.LBB1782_93:
	s_andn2_saveexec_b64 s[4:5], s[2:3]
	s_cbranch_execz .LBB1782_97
; %bb.94:
	v_add_u32_e32 v3, s37, v9
	v_add_u32_e32 v6, s39, v9
	v_mul_lo_u32 v3, v3, s36
	v_mul_lo_u32 v6, v6, s38
	s_mov_b64 s[8:9], 0
	v_sub_u32_e32 v3, v3, v6
	v_cmp_lt_u32_e32 vcc, s40, v3
	v_cmp_ge_u32_e64 s[2:3], s40, v3
	s_and_saveexec_b64 s[10:11], s[2:3]
	s_cbranch_execz .LBB1782_96
; %bb.95:
	v_add_u32_e32 v3, s42, v9
	v_add_u32_e32 v6, s58, v9
	v_mul_lo_u32 v3, v3, s41
	v_mul_lo_u32 v6, v6, s43
	v_sub_u32_e32 v3, v3, v6
	v_cmp_lt_u32_e64 s[2:3], s59, v3
	s_and_b64 s[8:9], s[2:3], exec
.LBB1782_96:
	s_or_b64 exec, exec, s[10:11]
	v_mov_b32_e32 v7, 8
	v_cndmask_b32_e64 v3, 0, 1, vcc
	v_lshrrev_b32_sdwa v8, v7, v4 dst_sel:BYTE_1 dst_unused:UNUSED_PAD src0_sel:DWORD src1_sel:DWORD
	v_lshlrev_b16_e32 v5, 8, v5
	v_or_b32_sdwa v4, v4, v8 dst_sel:DWORD dst_unused:UNUSED_PAD src0_sel:BYTE_0 src1_sel:DWORD
	v_or_b32_sdwa v3, v3, v5 dst_sel:WORD_1 dst_unused:UNUSED_PAD src0_sel:DWORD src1_sel:DWORD
	v_cndmask_b32_e64 v6, 0, 1, s[8:9]
	s_movk_i32 s2, 0xff
	v_or_b32_sdwa v3, v4, v3 dst_sel:DWORD dst_unused:UNUSED_PAD src0_sel:WORD_0 src1_sel:DWORD
	v_lshrrev_b32_sdwa v4, v7, v2 dst_sel:BYTE_1 dst_unused:UNUSED_PAD src0_sel:DWORD src1_sel:DWORD
	v_or_b32_sdwa v4, v2, v4 dst_sel:DWORD dst_unused:UNUSED_PAD src0_sel:BYTE_0 src1_sel:DWORD
	v_lshlrev_b16_e32 v5, 8, v6
	v_and_b32_sdwa v2, v2, s2 dst_sel:DWORD dst_unused:UNUSED_PAD src0_sel:WORD_1 src1_sel:DWORD
	v_or_b32_sdwa v2, v2, v5 dst_sel:WORD_1 dst_unused:UNUSED_PAD src0_sel:DWORD src1_sel:DWORD
	v_or_b32_sdwa v34, v4, v2 dst_sel:DWORD dst_unused:UNUSED_PAD src0_sel:WORD_0 src1_sel:DWORD
.LBB1782_97:
	s_or_b64 exec, exec, s[4:5]
	v_add_u32_e32 v2, 11, v30
	v_mov_b32_e32 v35, 0
	v_cmp_le_u32_e32 vcc, s18, v2
                                        ; implicit-def: $vgpr36
	s_and_saveexec_b64 s[2:3], vcc
	s_xor_b64 s[2:3], exec, s[2:3]
; %bb.98:
	v_and_b32_e32 v2, 0xff0000, v3
	s_mov_b32 s4, 0x3020504
	v_perm_b32 v36, v3, v2, s4
	s_mov_b32 s4, 0x3060504
	v_perm_b32 v1, v1, v1, s4
                                        ; implicit-def: $vgpr3
; %bb.99:
	s_andn2_saveexec_b64 s[4:5], s[2:3]
	s_cbranch_execz .LBB1782_103
; %bb.100:
	v_add_u32_e32 v2, s37, v10
	v_add_u32_e32 v4, s39, v10
	v_mul_lo_u32 v2, v2, s36
	v_mul_lo_u32 v4, v4, s38
	s_mov_b64 s[8:9], 0
	v_sub_u32_e32 v2, v2, v4
	v_cmp_lt_u32_e32 vcc, s40, v2
	v_cmp_ge_u32_e64 s[2:3], s40, v2
	s_and_saveexec_b64 s[10:11], s[2:3]
	s_cbranch_execz .LBB1782_102
; %bb.101:
	v_add_u32_e32 v2, s42, v10
	v_add_u32_e32 v4, s58, v10
	v_mul_lo_u32 v2, v2, s41
	v_mul_lo_u32 v4, v4, s43
	v_sub_u32_e32 v2, v2, v4
	v_cmp_lt_u32_e64 s[2:3], s59, v2
	s_and_b64 s[8:9], s[2:3], exec
.LBB1782_102:
	s_or_b64 exec, exec, s[10:11]
	v_mov_b32_e32 v4, 8
	v_cndmask_b32_e64 v2, 0, 1, vcc
	s_movk_i32 s2, 0xff
	v_lshrrev_b32_sdwa v4, v4, v3 dst_sel:BYTE_1 dst_unused:UNUSED_PAD src0_sel:DWORD src1_sel:DWORD
	v_or_b32_sdwa v4, v3, v4 dst_sel:DWORD dst_unused:UNUSED_PAD src0_sel:BYTE_0 src1_sel:DWORD
	v_lshlrev_b16_e32 v2, 8, v2
	v_and_b32_sdwa v3, v3, s2 dst_sel:DWORD dst_unused:UNUSED_PAD src0_sel:WORD_1 src1_sel:DWORD
	v_or_b32_sdwa v2, v3, v2 dst_sel:WORD_1 dst_unused:UNUSED_PAD src0_sel:DWORD src1_sel:DWORD
	v_cndmask_b32_e64 v35, 0, 1, s[8:9]
	v_or_b32_sdwa v36, v4, v2 dst_sel:DWORD dst_unused:UNUSED_PAD src0_sel:WORD_0 src1_sel:DWORD
.LBB1782_103:
	s_or_b64 exec, exec, s[4:5]
	v_add_u32_e32 v2, 12, v30
	v_cmp_le_u32_e32 vcc, s18, v2
	v_lshrrev_b32_e32 v2, 24, v1
                                        ; implicit-def: $vgpr37
	s_and_saveexec_b64 s[2:3], vcc
	s_xor_b64 s[2:3], exec, s[2:3]
; %bb.104:
	s_movk_i32 s4, 0xff
	v_lshlrev_b16_e32 v2, 8, v2
	v_and_b32_sdwa v4, v1, s4 dst_sel:DWORD dst_unused:UNUSED_PAD src0_sel:WORD_1 src1_sel:DWORD
	v_mov_b32_e32 v3, 8
	v_or_b32_sdwa v37, v4, v2 dst_sel:WORD_1 dst_unused:UNUSED_PAD src0_sel:DWORD src1_sel:DWORD
	v_lshrrev_b32_sdwa v37, v3, v1 dst_sel:BYTE_1 dst_unused:UNUSED_PRESERVE src0_sel:DWORD src1_sel:DWORD
                                        ; implicit-def: $vgpr2
                                        ; implicit-def: $vgpr1
; %bb.105:
	s_or_saveexec_b64 s[4:5], s[2:3]
	v_mov_b32_e32 v38, 0
	s_xor_b64 exec, exec, s[4:5]
	s_cbranch_execz .LBB1782_109
; %bb.106:
	v_add_u32_e32 v3, s37, v29
	v_add_u32_e32 v4, s39, v29
	v_mul_lo_u32 v3, v3, s36
	v_mul_lo_u32 v4, v4, s38
	s_mov_b64 s[8:9], 0
	v_sub_u32_e32 v3, v3, v4
	v_cmp_lt_u32_e32 vcc, s40, v3
	v_cmp_ge_u32_e64 s[2:3], s40, v3
	s_and_saveexec_b64 s[10:11], s[2:3]
	s_cbranch_execz .LBB1782_108
; %bb.107:
	v_add_u32_e32 v3, s42, v29
	v_add_u32_e32 v4, s58, v29
	v_mul_lo_u32 v3, v3, s41
	v_mul_lo_u32 v4, v4, s43
	v_sub_u32_e32 v3, v3, v4
	v_cmp_lt_u32_e64 s[2:3], s59, v3
	s_and_b64 s[8:9], s[2:3], exec
.LBB1782_108:
	s_or_b64 exec, exec, s[10:11]
	s_movk_i32 s2, 0xff
	v_lshlrev_b16_e32 v2, 8, v2
	v_and_b32_sdwa v4, v1, s2 dst_sel:DWORD dst_unused:UNUSED_PAD src0_sel:WORD_1 src1_sel:DWORD
	v_or_b32_sdwa v2, v4, v2 dst_sel:WORD_1 dst_unused:UNUSED_PAD src0_sel:DWORD src1_sel:DWORD
	v_mov_b32_e32 v4, 8
	v_cndmask_b32_e64 v3, 0, 1, vcc
	v_lshrrev_b32_sdwa v1, v4, v1 dst_sel:BYTE_1 dst_unused:UNUSED_PAD src0_sel:DWORD src1_sel:DWORD
	v_or_b32_e32 v1, v3, v1
	v_cndmask_b32_e64 v38, 0, 1, s[8:9]
	v_or_b32_sdwa v37, v1, v2 dst_sel:DWORD dst_unused:UNUSED_PAD src0_sel:WORD_0 src1_sel:DWORD
.LBB1782_109:
	s_or_b64 exec, exec, s[4:5]
.LBB1782_110:
	v_and_b32_e32 v48, 0xff, v31
	v_bfe_u32 v45, v31, 8, 8
	v_bfe_u32 v50, v31, 16, 8
	v_lshrrev_b32_e32 v43, 24, v31
	v_and_b32_e32 v51, 0xff, v33
	v_add3_u32 v4, v45, v48, v50
	v_bfe_u32 v46, v33, 8, 8
	v_bfe_u32 v53, v33, 16, 8
	v_add3_u32 v4, v4, v43, v51
	v_bfe_u32 v49, v37, 8, 8
	v_bfe_u32 v57, v37, 16, 8
	v_lshrrev_b32_e32 v44, 24, v37
	v_lshrrev_b32_e32 v41, 24, v33
	v_and_b32_e32 v54, 0xff, v36
	v_add3_u32 v4, v4, v46, v53
	v_and_b32_e32 v58, 0xff, v32
	v_bfe_u32 v52, v32, 8, 8
	v_bfe_u32 v47, v36, 8, 8
	;; [unrolled: 1-line block ×3, first 2 shown]
	v_add3_u32 v3, v57, v49, v44
	v_add3_u32 v4, v4, v41, v54
	v_bfe_u32 v59, v32, 16, 8
	v_lshrrev_b32_e32 v42, 24, v32
	v_lshrrev_b32_e32 v39, 24, v36
	v_and_b32_e32 v1, 0xff, v37
	v_add3_u32 v3, v3, v58, v52
	v_add3_u32 v4, v4, v47, v56
	v_and_b32_e32 v60, 0xff, v34
	v_bfe_u32 v55, v34, 8, 8
	v_add3_u32 v3, v3, v59, v42
	v_add3_u32 v68, v4, v39, v1
	v_mbcnt_lo_u32_b32 v1, -1, 0
	v_bfe_u32 v61, v34, 16, 8
	v_lshrrev_b32_e32 v40, 24, v34
	v_add3_u32 v3, v3, v60, v55
	v_mbcnt_hi_u32_b32 v63, -1, v1
	v_and_b32_e32 v62, 0xff, v35
	v_and_b32_e32 v2, 0xff, v38
	v_add3_u32 v3, v3, v61, v40
	v_and_b32_e32 v67, 15, v63
	s_cmp_lg_u32 s6, 0
	v_add3_u32 v69, v3, v62, v2
	v_cmp_eq_u32_e64 s[4:5], 0, v67
	v_cmp_lt_u32_e64 s[2:3], 1, v67
	v_cmp_lt_u32_e64 s[8:9], 3, v67
	;; [unrolled: 1-line block ×3, first 2 shown]
	v_and_b32_e32 v66, 16, v63
	v_cmp_lt_u32_e32 vcc, 31, v63
	v_lshrrev_b32_e32 v64, 6, v0
	v_or_b32_e32 v65, 63, v0
	s_cbranch_scc0 .LBB1782_132
; %bb.111:
	v_mov_b32_dpp v1, v68 row_shr:1 row_mask:0xf bank_mask:0xf
	v_mov_b32_dpp v2, v69 row_shr:1 row_mask:0xf bank_mask:0xf
	v_add_u32_e32 v1, v1, v68
	v_add_u32_e32 v2, v2, v69
	v_cndmask_b32_e64 v2, v2, v69, s[4:5]
	v_cndmask_b32_e64 v1, v1, v68, s[4:5]
	s_nop 0
	v_mov_b32_dpp v4, v2 row_shr:2 row_mask:0xf bank_mask:0xf
	v_mov_b32_dpp v3, v1 row_shr:2 row_mask:0xf bank_mask:0xf
	v_add_u32_e32 v3, v1, v3
	v_add_u32_e32 v4, v2, v4
	v_cndmask_b32_e64 v2, v2, v4, s[2:3]
	v_cndmask_b32_e64 v1, v1, v3, s[2:3]
	s_nop 0
	v_mov_b32_dpp v4, v2 row_shr:4 row_mask:0xf bank_mask:0xf
	v_mov_b32_dpp v3, v1 row_shr:4 row_mask:0xf bank_mask:0xf
	v_add_u32_e32 v3, v1, v3
	v_add_u32_e32 v4, v2, v4
	v_cndmask_b32_e64 v2, v2, v4, s[8:9]
	v_cndmask_b32_e64 v1, v1, v3, s[8:9]
	v_cmp_eq_u32_e64 s[8:9], 0, v66
	v_mov_b32_dpp v4, v2 row_shr:8 row_mask:0xf bank_mask:0xf
	v_mov_b32_dpp v3, v1 row_shr:8 row_mask:0xf bank_mask:0xf
	v_add_u32_e32 v3, v1, v3
	v_add_u32_e32 v4, v2, v4
	v_cndmask_b32_e64 v2, v2, v4, s[10:11]
	v_cndmask_b32_e64 v3, v1, v3, s[10:11]
	s_nop 0
	v_mov_b32_dpp v4, v2 row_bcast:15 row_mask:0xf bank_mask:0xf
	v_mov_b32_dpp v1, v3 row_bcast:15 row_mask:0xf bank_mask:0xf
	v_add_u32_e32 v5, v3, v1
	v_add_u32_e32 v1, v2, v4
	v_cndmask_b32_e64 v1, v1, v2, s[8:9]
	v_cndmask_b32_e64 v2, v5, v3, s[8:9]
	v_cmp_eq_u32_e64 s[8:9], v0, v65
	v_mov_b32_dpp v3, v1 row_bcast:31 row_mask:0xf bank_mask:0xf
	v_mov_b32_dpp v4, v2 row_bcast:31 row_mask:0xf bank_mask:0xf
	v_add_u32_e32 v3, v1, v3
	v_add_u32_e32 v4, v2, v4
	s_and_saveexec_b64 s[10:11], s[8:9]
; %bb.112:
	v_lshlrev_b32_e32 v7, 3, v64
	v_cndmask_b32_e32 v6, v1, v3, vcc
	v_cndmask_b32_e32 v5, v2, v4, vcc
	ds_write_b64 v7, v[5:6]
; %bb.113:
	s_or_b64 exec, exec, s[10:11]
	v_cmp_gt_u32_e64 s[8:9], 4, v0
	s_waitcnt lgkmcnt(0)
	s_barrier
	s_and_saveexec_b64 s[10:11], s[8:9]
	s_cbranch_execz .LBB1782_115
; %bb.114:
	v_lshlrev_b32_e32 v7, 3, v0
	ds_read_b64 v[5:6], v7
	v_and_b32_e32 v8, 3, v63
	v_cmp_eq_u32_e64 s[8:9], 0, v8
	s_waitcnt lgkmcnt(0)
	v_mov_b32_dpp v21, v5 row_shr:1 row_mask:0xf bank_mask:0xf
	v_mov_b32_dpp v22, v6 row_shr:1 row_mask:0xf bank_mask:0xf
	v_add_u32_e32 v21, v21, v5
	v_add_u32_e32 v22, v22, v6
	v_cndmask_b32_e64 v6, v22, v6, s[8:9]
	v_cndmask_b32_e64 v5, v21, v5, s[8:9]
	v_cmp_lt_u32_e64 s[8:9], 1, v8
	v_mov_b32_dpp v22, v6 row_shr:2 row_mask:0xf bank_mask:0xf
	v_mov_b32_dpp v21, v5 row_shr:2 row_mask:0xf bank_mask:0xf
	v_cndmask_b32_e64 v8, 0, v21, s[8:9]
	v_cndmask_b32_e64 v21, 0, v22, s[8:9]
	v_add_u32_e32 v6, v21, v6
	v_add_u32_e32 v5, v8, v5
	ds_write_b64 v7, v[5:6]
.LBB1782_115:
	s_or_b64 exec, exec, s[10:11]
	v_cndmask_b32_e32 v1, v1, v3, vcc
	v_cndmask_b32_e32 v2, v2, v4, vcc
	v_cmp_gt_u32_e32 vcc, 64, v0
	v_cmp_lt_u32_e64 s[8:9], 63, v0
	s_waitcnt lgkmcnt(0)
	s_barrier
                                        ; implicit-def: $vgpr21
	s_and_saveexec_b64 s[10:11], s[8:9]
	s_cbranch_execz .LBB1782_117
; %bb.116:
	v_lshl_add_u32 v3, v64, 3, -8
	ds_read_b64 v[21:22], v3
	s_waitcnt lgkmcnt(0)
	v_add_u32_e32 v1, v22, v1
	v_add_u32_e32 v2, v21, v2
.LBB1782_117:
	s_or_b64 exec, exec, s[10:11]
	v_subrev_co_u32_e64 v3, s[8:9], 1, v63
	v_and_b32_e32 v4, 64, v63
	v_cmp_lt_i32_e64 s[10:11], v3, v4
	v_cndmask_b32_e64 v3, v3, v63, s[10:11]
	v_lshlrev_b32_e32 v3, 2, v3
	ds_bpermute_b32 v70, v3, v2
	ds_bpermute_b32 v71, v3, v1
	s_and_saveexec_b64 s[10:11], vcc
	s_cbranch_execz .LBB1782_137
; %bb.118:
	v_mov_b32_e32 v4, 0
	ds_read_b64 v[1:2], v4 offset:24
	s_and_saveexec_b64 s[14:15], s[8:9]
	s_cbranch_execz .LBB1782_120
; %bb.119:
	s_add_i32 s16, s6, 64
	s_mov_b32 s17, 0
	s_lshl_b64 s[16:17], s[16:17], 4
	s_add_u32 s16, s12, s16
	s_addc_u32 s17, s13, s17
	v_mov_b32_e32 v5, s16
	v_mov_b32_e32 v3, 1
	v_mov_b32_e32 v6, s17
	s_waitcnt lgkmcnt(0)
	;;#ASMSTART
	global_store_dwordx4 v[5:6], v[1:4] off	
s_waitcnt vmcnt(0)
	;;#ASMEND
.LBB1782_120:
	s_or_b64 exec, exec, s[14:15]
	v_xad_u32 v23, v63, -1, s6
	v_add_u32_e32 v3, 64, v23
	v_lshlrev_b64 v[5:6], 4, v[3:4]
	v_mov_b32_e32 v3, s13
	v_add_co_u32_e32 v24, vcc, s12, v5
	v_addc_co_u32_e32 v25, vcc, v3, v6, vcc
	;;#ASMSTART
	global_load_dwordx4 v[5:8], v[24:25] off glc	
s_waitcnt vmcnt(0)
	;;#ASMEND
	v_cmp_eq_u16_sdwa s[16:17], v7, v4 src0_sel:BYTE_0 src1_sel:DWORD
	s_and_saveexec_b64 s[14:15], s[16:17]
	s_cbranch_execz .LBB1782_124
; %bb.121:
	s_mov_b64 s[16:17], 0
	v_mov_b32_e32 v3, 0
.LBB1782_122:                           ; =>This Inner Loop Header: Depth=1
	;;#ASMSTART
	global_load_dwordx4 v[5:8], v[24:25] off glc	
s_waitcnt vmcnt(0)
	;;#ASMEND
	v_cmp_ne_u16_sdwa s[20:21], v7, v3 src0_sel:BYTE_0 src1_sel:DWORD
	s_or_b64 s[16:17], s[20:21], s[16:17]
	s_andn2_b64 exec, exec, s[16:17]
	s_cbranch_execnz .LBB1782_122
; %bb.123:
	s_or_b64 exec, exec, s[16:17]
.LBB1782_124:
	s_or_b64 exec, exec, s[14:15]
	v_and_b32_e32 v73, 63, v63
	v_cmp_ne_u32_e32 vcc, 63, v73
	v_mov_b32_e32 v72, 2
	v_lshlrev_b64 v[25:26], v63, -1
	v_addc_co_u32_e32 v8, vcc, 0, v63, vcc
	v_cmp_eq_u16_sdwa s[14:15], v7, v72 src0_sel:BYTE_0 src1_sel:DWORD
	v_lshlrev_b32_e32 v74, 2, v8
	v_and_b32_e32 v3, s15, v26
	ds_bpermute_b32 v8, v74, v5
	ds_bpermute_b32 v24, v74, v6
	v_or_b32_e32 v3, 0x80000000, v3
	v_and_b32_e32 v4, s14, v25
	v_ffbl_b32_e32 v3, v3
	v_add_u32_e32 v3, 32, v3
	v_ffbl_b32_e32 v4, v4
	v_min_u32_e32 v3, v4, v3
	s_waitcnt lgkmcnt(1)
	v_add_u32_e32 v4, v8, v5
	s_waitcnt lgkmcnt(0)
	v_add_u32_e32 v8, v24, v6
	v_cmp_lt_u32_e32 vcc, v73, v3
	v_cndmask_b32_e32 v6, v6, v8, vcc
	v_cndmask_b32_e32 v4, v5, v4, vcc
	v_cmp_gt_u32_e32 vcc, 62, v73
	v_cndmask_b32_e64 v5, 0, 2, vcc
	v_add_lshl_u32 v75, v5, v63, 2
	ds_bpermute_b32 v5, v75, v4
	ds_bpermute_b32 v8, v75, v6
	v_add_u32_e32 v76, 2, v73
	v_cmp_gt_u32_e32 vcc, v76, v3
	v_add_u32_e32 v78, 4, v73
	s_waitcnt lgkmcnt(1)
	v_add_u32_e32 v5, v4, v5
	s_waitcnt lgkmcnt(0)
	v_add_u32_e32 v8, v6, v8
	v_cndmask_b32_e32 v6, v8, v6, vcc
	v_cndmask_b32_e32 v4, v5, v4, vcc
	v_cmp_gt_u32_e32 vcc, 60, v73
	v_cndmask_b32_e64 v5, 0, 4, vcc
	v_add_lshl_u32 v77, v5, v63, 2
	ds_bpermute_b32 v5, v77, v4
	ds_bpermute_b32 v8, v77, v6
	v_cmp_gt_u32_e32 vcc, v78, v3
	v_add_u32_e32 v80, 8, v73
	v_add_u32_e32 v82, 16, v73
	s_waitcnt lgkmcnt(1)
	v_add_u32_e32 v5, v4, v5
	s_waitcnt lgkmcnt(0)
	v_add_u32_e32 v8, v6, v8
	v_cndmask_b32_e32 v6, v8, v6, vcc
	v_cndmask_b32_e32 v4, v5, v4, vcc
	v_cmp_gt_u32_e32 vcc, 56, v73
	v_cndmask_b32_e64 v5, 0, 8, vcc
	v_add_lshl_u32 v79, v5, v63, 2
	ds_bpermute_b32 v5, v79, v4
	ds_bpermute_b32 v8, v79, v6
	v_cmp_gt_u32_e32 vcc, v80, v3
	v_add_u32_e32 v84, 32, v73
	v_mov_b32_e32 v24, 0
	s_waitcnt lgkmcnt(1)
	v_add_u32_e32 v5, v4, v5
	s_waitcnt lgkmcnt(0)
	v_add_u32_e32 v8, v6, v8
	v_cndmask_b32_e32 v6, v8, v6, vcc
	v_cndmask_b32_e32 v4, v5, v4, vcc
	v_cmp_gt_u32_e32 vcc, 48, v73
	v_cndmask_b32_e64 v5, 0, 16, vcc
	v_add_lshl_u32 v81, v5, v63, 2
	ds_bpermute_b32 v5, v81, v4
	ds_bpermute_b32 v8, v81, v6
	v_cmp_gt_u32_e32 vcc, v82, v3
	s_waitcnt lgkmcnt(1)
	v_add_u32_e32 v5, v4, v5
	s_waitcnt lgkmcnt(0)
	v_add_u32_e32 v8, v6, v8
	v_cndmask_b32_e32 v4, v5, v4, vcc
	v_mov_b32_e32 v5, 0x80
	v_cndmask_b32_e32 v6, v8, v6, vcc
	v_lshl_or_b32 v83, v63, 2, v5
	ds_bpermute_b32 v5, v83, v4
	ds_bpermute_b32 v8, v83, v6
	v_cmp_le_u32_e32 vcc, v84, v3
	s_waitcnt lgkmcnt(1)
	v_cndmask_b32_e32 v3, 0, v5, vcc
	s_waitcnt lgkmcnt(0)
	v_cndmask_b32_e32 v5, 0, v8, vcc
	v_add_u32_e32 v6, v6, v5
	v_add_u32_e32 v5, v4, v3
	s_branch .LBB1782_128
.LBB1782_125:                           ;   in Loop: Header=BB1782_128 Depth=1
	s_or_b64 exec, exec, s[16:17]
.LBB1782_126:                           ;   in Loop: Header=BB1782_128 Depth=1
	s_or_b64 exec, exec, s[14:15]
	v_cmp_eq_u16_sdwa s[14:15], v7, v72 src0_sel:BYTE_0 src1_sel:DWORD
	v_and_b32_e32 v8, s15, v26
	ds_bpermute_b32 v28, v74, v5
	ds_bpermute_b32 v85, v74, v6
	v_or_b32_e32 v8, 0x80000000, v8
	v_and_b32_e32 v27, s14, v25
	v_ffbl_b32_e32 v8, v8
	v_add_u32_e32 v8, 32, v8
	v_ffbl_b32_e32 v27, v27
	v_min_u32_e32 v8, v27, v8
	s_waitcnt lgkmcnt(1)
	v_add_u32_e32 v27, v28, v5
	s_waitcnt lgkmcnt(0)
	v_add_u32_e32 v28, v85, v6
	v_cmp_lt_u32_e32 vcc, v73, v8
	v_cndmask_b32_e32 v6, v6, v28, vcc
	v_cndmask_b32_e32 v5, v5, v27, vcc
	ds_bpermute_b32 v27, v75, v5
	ds_bpermute_b32 v28, v75, v6
	v_cmp_gt_u32_e32 vcc, v76, v8
	v_subrev_u32_e32 v23, 64, v23
	s_mov_b64 s[14:15], 0
	s_waitcnt lgkmcnt(1)
	v_add_u32_e32 v27, v5, v27
	s_waitcnt lgkmcnt(0)
	v_add_u32_e32 v28, v6, v28
	v_cndmask_b32_e32 v6, v28, v6, vcc
	v_cndmask_b32_e32 v5, v27, v5, vcc
	ds_bpermute_b32 v27, v77, v5
	ds_bpermute_b32 v28, v77, v6
	v_cmp_gt_u32_e32 vcc, v78, v8
	s_waitcnt lgkmcnt(1)
	v_add_u32_e32 v27, v5, v27
	s_waitcnt lgkmcnt(0)
	v_add_u32_e32 v28, v6, v28
	v_cndmask_b32_e32 v6, v28, v6, vcc
	v_cndmask_b32_e32 v5, v27, v5, vcc
	ds_bpermute_b32 v27, v79, v5
	ds_bpermute_b32 v28, v79, v6
	v_cmp_gt_u32_e32 vcc, v80, v8
	;; [unrolled: 9-line block ×3, first 2 shown]
	s_waitcnt lgkmcnt(1)
	v_add_u32_e32 v27, v5, v27
	s_waitcnt lgkmcnt(0)
	v_add_u32_e32 v28, v6, v28
	v_cndmask_b32_e32 v6, v28, v6, vcc
	v_cndmask_b32_e32 v5, v27, v5, vcc
	ds_bpermute_b32 v27, v83, v5
	ds_bpermute_b32 v28, v83, v6
	v_cmp_le_u32_e32 vcc, v84, v8
	s_waitcnt lgkmcnt(1)
	v_cndmask_b32_e32 v8, 0, v27, vcc
	s_waitcnt lgkmcnt(0)
	v_cndmask_b32_e32 v27, 0, v28, vcc
	v_add3_u32 v6, v27, v4, v6
	v_add3_u32 v5, v8, v3, v5
.LBB1782_127:                           ;   in Loop: Header=BB1782_128 Depth=1
	s_and_b64 vcc, exec, s[14:15]
	s_cbranch_vccnz .LBB1782_133
.LBB1782_128:                           ; =>This Loop Header: Depth=1
                                        ;     Child Loop BB1782_131 Depth 2
	v_mov_b32_e32 v3, v5
	v_cmp_ne_u16_sdwa s[14:15], v7, v72 src0_sel:BYTE_0 src1_sel:DWORD
	v_mov_b32_e32 v4, v6
	s_cmp_lg_u64 s[14:15], exec
	s_mov_b64 s[14:15], -1
                                        ; implicit-def: $vgpr7
                                        ; implicit-def: $vgpr5_vgpr6
	s_cbranch_scc1 .LBB1782_127
; %bb.129:                              ;   in Loop: Header=BB1782_128 Depth=1
	v_lshlrev_b64 v[5:6], 4, v[23:24]
	v_mov_b32_e32 v7, s13
	v_add_co_u32_e32 v27, vcc, s12, v5
	v_addc_co_u32_e32 v28, vcc, v7, v6, vcc
	;;#ASMSTART
	global_load_dwordx4 v[5:8], v[27:28] off glc	
s_waitcnt vmcnt(0)
	;;#ASMEND
	v_cmp_eq_u16_sdwa s[16:17], v7, v24 src0_sel:BYTE_0 src1_sel:DWORD
	s_and_saveexec_b64 s[14:15], s[16:17]
	s_cbranch_execz .LBB1782_126
; %bb.130:                              ;   in Loop: Header=BB1782_128 Depth=1
	s_mov_b64 s[16:17], 0
.LBB1782_131:                           ;   Parent Loop BB1782_128 Depth=1
                                        ; =>  This Inner Loop Header: Depth=2
	;;#ASMSTART
	global_load_dwordx4 v[5:8], v[27:28] off glc	
s_waitcnt vmcnt(0)
	;;#ASMEND
	v_cmp_ne_u16_sdwa s[20:21], v7, v24 src0_sel:BYTE_0 src1_sel:DWORD
	s_or_b64 s[16:17], s[20:21], s[16:17]
	s_andn2_b64 exec, exec, s[16:17]
	s_cbranch_execnz .LBB1782_131
	s_branch .LBB1782_125
.LBB1782_132:
                                        ; implicit-def: $vgpr22
                                        ; implicit-def: $vgpr3
                                        ; implicit-def: $vgpr23
	s_cbranch_execnz .LBB1782_138
	s_branch .LBB1782_147
.LBB1782_133:
	s_and_saveexec_b64 s[14:15], s[8:9]
	s_cbranch_execnz .LBB1782_375
; %bb.134:
	s_or_b64 exec, exec, s[14:15]
	s_and_saveexec_b64 s[6:7], s[8:9]
	s_cbranch_execnz .LBB1782_376
.LBB1782_135:
	s_or_b64 exec, exec, s[6:7]
	v_cmp_eq_u32_e32 vcc, 0, v0
	s_and_b64 exec, exec, vcc
.LBB1782_136:
	v_mov_b32_e32 v1, 0
	ds_write_b64 v1, v[3:4] offset:24
.LBB1782_137:
	s_or_b64 exec, exec, s[10:11]
	v_mov_b32_e32 v1, 0
	s_waitcnt lgkmcnt(0)
	s_barrier
	ds_read_b64 v[5:6], v1 offset:24
	v_cndmask_b32_e64 v2, v71, v22, s[8:9]
	v_cndmask_b32_e64 v3, v70, v21, s[8:9]
	s_waitcnt lgkmcnt(0)
	s_barrier
	v_add_u32_e32 v7, v5, v3
	v_add_u32_e32 v8, v6, v2
	ds_read_b128 v[1:4], v1 offset:13312
	v_cmp_eq_u32_e32 vcc, 0, v0
	v_cndmask_b32_e32 v22, v8, v6, vcc
	v_cndmask_b32_e32 v23, v7, v5, vcc
	s_branch .LBB1782_147
.LBB1782_138:
	s_waitcnt lgkmcnt(0)
	v_mov_b32_dpp v1, v68 row_shr:1 row_mask:0xf bank_mask:0xf
	v_mov_b32_dpp v2, v69 row_shr:1 row_mask:0xf bank_mask:0xf
	v_add_u32_e32 v1, v1, v68
	v_add_u32_e32 v2, v2, v69
	v_cndmask_b32_e64 v2, v2, v69, s[4:5]
	v_cndmask_b32_e64 v1, v1, v68, s[4:5]
	v_cmp_lt_u32_e32 vcc, 3, v67
	v_mov_b32_dpp v4, v2 row_shr:2 row_mask:0xf bank_mask:0xf
	v_mov_b32_dpp v3, v1 row_shr:2 row_mask:0xf bank_mask:0xf
	v_add_u32_e32 v3, v1, v3
	v_add_u32_e32 v4, v2, v4
	v_cndmask_b32_e64 v2, v2, v4, s[2:3]
	v_cndmask_b32_e64 v1, v1, v3, s[2:3]
	v_cmp_eq_u32_e64 s[2:3], v0, v65
	v_mov_b32_dpp v4, v2 row_shr:4 row_mask:0xf bank_mask:0xf
	v_mov_b32_dpp v3, v1 row_shr:4 row_mask:0xf bank_mask:0xf
	v_add_u32_e32 v3, v1, v3
	v_add_u32_e32 v4, v2, v4
	v_cndmask_b32_e32 v2, v2, v4, vcc
	v_cndmask_b32_e32 v1, v1, v3, vcc
	v_cmp_lt_u32_e32 vcc, 7, v67
	v_mov_b32_dpp v4, v2 row_shr:8 row_mask:0xf bank_mask:0xf
	v_mov_b32_dpp v3, v1 row_shr:8 row_mask:0xf bank_mask:0xf
	v_add_u32_e32 v3, v1, v3
	v_add_u32_e32 v4, v2, v4
	v_cndmask_b32_e32 v2, v2, v4, vcc
	v_cndmask_b32_e32 v3, v1, v3, vcc
	v_cmp_eq_u32_e32 vcc, 0, v66
	v_mov_b32_dpp v4, v2 row_bcast:15 row_mask:0xf bank_mask:0xf
	v_mov_b32_dpp v1, v3 row_bcast:15 row_mask:0xf bank_mask:0xf
	v_add_u32_e32 v5, v3, v1
	v_add_u32_e32 v1, v2, v4
	v_cndmask_b32_e32 v1, v1, v2, vcc
	v_cndmask_b32_e32 v2, v5, v3, vcc
	v_cmp_lt_u32_e32 vcc, 31, v63
	v_mov_b32_dpp v3, v1 row_bcast:31 row_mask:0xf bank_mask:0xf
	v_mov_b32_dpp v4, v2 row_bcast:31 row_mask:0xf bank_mask:0xf
	v_add_u32_e32 v3, v1, v3
	v_add_u32_e32 v4, v2, v4
	s_and_saveexec_b64 s[4:5], s[2:3]
; %bb.139:
	v_cndmask_b32_e32 v5, v2, v4, vcc
	v_cndmask_b32_e32 v6, v1, v3, vcc
	v_lshlrev_b32_e32 v7, 3, v64
	ds_write_b64 v7, v[5:6]
; %bb.140:
	s_or_b64 exec, exec, s[4:5]
	v_cmp_gt_u32_e64 s[2:3], 4, v0
	s_waitcnt lgkmcnt(0)
	s_barrier
	s_and_saveexec_b64 s[4:5], s[2:3]
	s_cbranch_execz .LBB1782_142
; %bb.141:
	v_lshlrev_b32_e32 v7, 3, v0
	ds_read_b64 v[5:6], v7
	v_and_b32_e32 v8, 3, v63
	v_cmp_eq_u32_e64 s[2:3], 0, v8
	s_waitcnt lgkmcnt(0)
	v_mov_b32_dpp v21, v5 row_shr:1 row_mask:0xf bank_mask:0xf
	v_mov_b32_dpp v22, v6 row_shr:1 row_mask:0xf bank_mask:0xf
	v_add_u32_e32 v21, v21, v5
	v_add_u32_e32 v22, v22, v6
	v_cndmask_b32_e64 v6, v22, v6, s[2:3]
	v_cndmask_b32_e64 v5, v21, v5, s[2:3]
	v_cmp_lt_u32_e64 s[2:3], 1, v8
	v_mov_b32_dpp v22, v6 row_shr:2 row_mask:0xf bank_mask:0xf
	v_mov_b32_dpp v21, v5 row_shr:2 row_mask:0xf bank_mask:0xf
	v_cndmask_b32_e64 v8, 0, v21, s[2:3]
	v_cndmask_b32_e64 v21, 0, v22, s[2:3]
	v_add_u32_e32 v6, v21, v6
	v_add_u32_e32 v5, v8, v5
	ds_write_b64 v7, v[5:6]
.LBB1782_142:
	s_or_b64 exec, exec, s[4:5]
	v_cmp_lt_u32_e64 s[2:3], 63, v0
	v_mov_b32_e32 v7, 0
	v_mov_b32_e32 v5, 0
	;; [unrolled: 1-line block ×3, first 2 shown]
	s_waitcnt lgkmcnt(0)
	s_barrier
	s_and_saveexec_b64 s[4:5], s[2:3]
; %bb.143:
	v_lshl_add_u32 v5, v64, 3, -8
	ds_read_b64 v[5:6], v5
; %bb.144:
	s_or_b64 exec, exec, s[4:5]
	v_cndmask_b32_e32 v2, v2, v4, vcc
	v_cndmask_b32_e32 v1, v1, v3, vcc
	v_subrev_co_u32_e32 v3, vcc, 1, v63
	v_and_b32_e32 v4, 64, v63
	v_cmp_lt_i32_e64 s[2:3], v3, v4
	v_cndmask_b32_e64 v3, v3, v63, s[2:3]
	s_waitcnt lgkmcnt(0)
	v_add_u32_e32 v1, v6, v1
	v_add_u32_e32 v2, v5, v2
	v_lshlrev_b32_e32 v3, 2, v3
	ds_bpermute_b32 v8, v3, v2
	ds_bpermute_b32 v21, v3, v1
	ds_read_b64 v[1:2], v7 offset:24
	v_cmp_eq_u32_e64 s[2:3], 0, v0
	s_and_saveexec_b64 s[4:5], s[2:3]
	s_cbranch_execz .LBB1782_146
; %bb.145:
	s_add_u32 s6, s12, 0x400
	s_addc_u32 s7, s13, 0
	v_mov_b32_e32 v23, s7
	v_mov_b32_e32 v3, 2
	;; [unrolled: 1-line block ×4, first 2 shown]
	s_waitcnt lgkmcnt(0)
	;;#ASMSTART
	global_store_dwordx4 v[22:23], v[1:4] off	
s_waitcnt vmcnt(0)
	;;#ASMEND
.LBB1782_146:
	s_or_b64 exec, exec, s[4:5]
	s_waitcnt lgkmcnt(2)
	v_cndmask_b32_e32 v3, v8, v5, vcc
	s_waitcnt lgkmcnt(1)
	v_cndmask_b32_e32 v4, v21, v6, vcc
	v_cndmask_b32_e64 v22, v4, 0, s[2:3]
	v_cndmask_b32_e64 v23, v3, 0, s[2:3]
	v_mov_b32_e32 v4, 0
	v_mov_b32_e32 v3, 0
	s_waitcnt lgkmcnt(0)
	s_barrier
.LBB1782_147:
	v_mov_b32_e32 v6, s49
	s_waitcnt lgkmcnt(0)
	v_add_co_u32_e32 v5, vcc, s48, v3
	v_addc_co_u32_e32 v6, vcc, 0, v6, vcc
	v_mov_b32_e32 v27, s51
	v_sub_co_u32_e32 v28, vcc, s50, v1
	v_subbrev_co_u32_e32 v69, vcc, 0, v27, vcc
	v_add_co_u32_e32 v27, vcc, v28, v4
	v_add_u32_e32 v49, v22, v49
	v_addc_co_u32_e32 v28, vcc, 0, v69, vcc
	v_lshlrev_b32_e32 v69, 1, v1
	v_sub_u32_e32 v22, v22, v4
	v_lshrrev_b32_e32 v26, 8, v37
	v_add_u32_e32 v48, v23, v48
	v_add_u32_e32 v70, v69, v2
	v_sub_u32_e32 v23, v23, v3
	v_add_u32_e32 v22, v22, v1
	v_add_u32_e32 v30, v70, v30
	v_and_b32_e32 v26, 1, v26
	v_add_u32_e32 v71, v23, v22
	v_and_b32_e32 v70, 1, v31
	v_sub_u32_e32 v71, v30, v71
	v_cmp_eq_u32_e32 vcc, 1, v26
	v_cndmask_b32_e32 v22, v71, v22, vcc
	v_cmp_eq_u32_e32 vcc, 1, v70
	v_cndmask_b32_e32 v22, v22, v23, vcc
	v_lshlrev_b32_e32 v22, 2, v22
	v_sub_u32_e32 v23, v49, v4
	v_lshrrev_b32_e32 v25, 8, v31
	ds_write_b32 v22, v19
	v_sub_u32_e32 v19, v48, v3
	v_add_u32_e32 v23, v23, v1
	v_add_u32_e32 v45, v48, v45
	v_and_b32_e32 v22, 1, v25
	v_mov_b32_e32 v25, 1
	v_add_u32_e32 v48, v23, v19
	v_and_b32_sdwa v26, v25, v37 dst_sel:DWORD dst_unused:UNUSED_PAD src0_sel:DWORD src1_sel:WORD_1
	v_sub_u32_e32 v48, v30, v48
	v_add_u32_e32 v48, 1, v48
	v_cmp_eq_u32_e32 vcc, 1, v26
	v_cndmask_b32_e32 v23, v48, v23, vcc
	v_cmp_eq_u32_e32 vcc, 1, v22
	v_add_u32_e32 v57, v49, v57
	v_cndmask_b32_e32 v19, v23, v19, vcc
	v_lshlrev_b32_e32 v19, 2, v19
	v_sub_u32_e32 v22, v57, v4
	ds_write_b32 v19, v20
	v_sub_u32_e32 v19, v45, v3
	v_add_u32_e32 v22, v22, v1
	v_add_u32_e32 v26, v22, v19
	v_and_b32_e32 v23, 1, v44
	v_sub_u32_e32 v26, v30, v26
	v_and_b32_sdwa v20, v25, v31 dst_sel:DWORD dst_unused:UNUSED_PAD src0_sel:DWORD src1_sel:WORD_1
	v_add_u32_e32 v26, 2, v26
	v_cmp_eq_u32_e32 vcc, 1, v23
	v_cndmask_b32_e32 v22, v26, v22, vcc
	v_cmp_eq_u32_e32 vcc, 1, v20
	v_add_u32_e32 v63, v57, v44
	v_cndmask_b32_e32 v19, v22, v19, vcc
	v_add_u32_e32 v50, v45, v50
	v_lshlrev_b32_e32 v19, 2, v19
	v_sub_u32_e32 v20, v63, v4
	ds_write_b32 v19, v17
	v_sub_u32_e32 v17, v50, v3
	v_add_u32_e32 v20, v20, v1
	v_add_u32_e32 v23, v17, v20
	v_and_b32_e32 v22, 1, v32
	v_sub_u32_e32 v23, v30, v23
	v_and_b32_e32 v19, 1, v43
	v_add_u32_e32 v23, 3, v23
	v_cmp_eq_u32_e32 vcc, 1, v22
	v_cndmask_b32_e32 v20, v23, v20, vcc
	v_cmp_eq_u32_e32 vcc, 1, v19
	v_add_u32_e32 v58, v63, v58
	v_cndmask_b32_e32 v17, v20, v17, vcc
	v_add_u32_e32 v64, v50, v43
	v_lshlrev_b32_e32 v17, 2, v17
	v_sub_u32_e32 v19, v58, v4
	ds_write_b32 v17, v18
	v_sub_u32_e32 v17, v64, v3
	v_add_u32_e32 v19, v19, v1
	v_lshrrev_b32_e32 v24, 8, v32
	v_add_u32_e32 v22, v17, v19
	v_and_b32_e32 v20, 1, v24
	v_sub_u32_e32 v22, v30, v22
	v_and_b32_e32 v18, 1, v33
	v_add_u32_e32 v22, 4, v22
	v_cmp_eq_u32_e32 vcc, 1, v20
	v_cndmask_b32_e32 v19, v22, v19, vcc
	v_cmp_eq_u32_e32 vcc, 1, v18
	v_add_u32_e32 v52, v58, v52
	v_cndmask_b32_e32 v17, v19, v17, vcc
	v_add_u32_e32 v51, v64, v51
	v_lshlrev_b32_e32 v17, 2, v17
	v_sub_u32_e32 v18, v52, v4
	ds_write_b32 v17, v15
	v_sub_u32_e32 v15, v51, v3
	v_add_u32_e32 v18, v18, v1
	v_add_u32_e32 v20, v15, v18
	v_lshrrev_b32_e32 v21, 8, v33
	v_and_b32_sdwa v19, v25, v32 dst_sel:DWORD dst_unused:UNUSED_PAD src0_sel:DWORD src1_sel:WORD_1
	v_sub_u32_e32 v20, v30, v20
	v_and_b32_e32 v17, 1, v21
	v_add_u32_e32 v20, 5, v20
	v_cmp_eq_u32_e32 vcc, 1, v19
	v_cndmask_b32_e32 v18, v20, v18, vcc
	v_cmp_eq_u32_e32 vcc, 1, v17
	v_add_u32_e32 v59, v52, v59
	v_cndmask_b32_e32 v15, v18, v15, vcc
	v_add_u32_e32 v46, v51, v46
	v_lshlrev_b32_e32 v15, 2, v15
	v_sub_u32_e32 v17, v59, v4
	ds_write_b32 v15, v16
	v_sub_u32_e32 v15, v46, v3
	v_add_u32_e32 v17, v17, v1
	v_add_u32_e32 v19, v15, v17
	v_and_b32_e32 v18, 1, v42
	v_sub_u32_e32 v19, v30, v19
	v_and_b32_sdwa v16, v25, v33 dst_sel:DWORD dst_unused:UNUSED_PAD src0_sel:DWORD src1_sel:WORD_1
	v_add_u32_e32 v19, 6, v19
	v_cmp_eq_u32_e32 vcc, 1, v18
	v_cndmask_b32_e32 v17, v19, v17, vcc
	v_cmp_eq_u32_e32 vcc, 1, v16
	v_add_u32_e32 v65, v59, v42
	v_cndmask_b32_e32 v15, v17, v15, vcc
	v_add_u32_e32 v53, v46, v53
	v_lshlrev_b32_e32 v15, 2, v15
	v_sub_u32_e32 v16, v65, v4
	ds_write_b32 v15, v13
	v_sub_u32_e32 v13, v53, v3
	v_add_u32_e32 v16, v16, v1
	v_add_u32_e32 v18, v13, v16
	v_and_b32_e32 v17, 1, v34
	v_sub_u32_e32 v18, v30, v18
	v_and_b32_e32 v15, 1, v41
	v_add_u32_e32 v18, 7, v18
	v_cmp_eq_u32_e32 vcc, 1, v17
	v_cndmask_b32_e32 v16, v18, v16, vcc
	v_cmp_eq_u32_e32 vcc, 1, v15
	v_add_u32_e32 v60, v65, v60
	v_cndmask_b32_e32 v13, v16, v13, vcc
	v_add_u32_e32 v66, v53, v41
	v_lshlrev_b32_e32 v13, 2, v13
	v_sub_u32_e32 v15, v60, v4
	ds_write_b32 v13, v14
	v_sub_u32_e32 v13, v66, v3
	v_add_u32_e32 v15, v15, v1
	v_lshrrev_b32_e32 v8, 8, v34
	v_add_u32_e32 v16, v13, v15
	v_and_b32_e32 v8, 1, v8
	v_sub_u32_e32 v16, v30, v16
	v_and_b32_e32 v14, 1, v36
	v_add_u32_e32 v16, 8, v16
	v_cmp_eq_u32_e32 vcc, 1, v8
	v_cndmask_b32_e32 v8, v16, v15, vcc
	v_cmp_eq_u32_e32 vcc, 1, v14
	v_cndmask_b32_e32 v8, v8, v13, vcc
	v_add_u32_e32 v55, v60, v55
	v_lshlrev_b32_e32 v8, 2, v8
	v_add_u32_e32 v54, v66, v54
	ds_write_b32 v8, v11
	v_sub_u32_e32 v11, v55, v4
	v_sub_u32_e32 v8, v54, v3
	v_add_u32_e32 v11, v11, v1
	v_add_u32_e32 v14, v8, v11
	v_lshrrev_b32_e32 v7, 8, v36
	v_and_b32_sdwa v13, v25, v34 dst_sel:DWORD dst_unused:UNUSED_PAD src0_sel:DWORD src1_sel:WORD_1
	v_sub_u32_e32 v14, v30, v14
	v_and_b32_e32 v7, 1, v7
	v_add_u32_e32 v14, 9, v14
	v_cmp_eq_u32_e32 vcc, 1, v13
	v_cndmask_b32_e32 v11, v14, v11, vcc
	v_cmp_eq_u32_e32 vcc, 1, v7
	v_add_u32_e32 v61, v55, v61
	v_cndmask_b32_e32 v7, v11, v8, vcc
	v_add_u32_e32 v47, v54, v47
	v_lshlrev_b32_e32 v7, 2, v7
	v_sub_u32_e32 v11, v61, v4
	ds_write_b32 v7, v12
	v_sub_u32_e32 v7, v47, v3
	v_add_u32_e32 v11, v11, v1
	v_add_u32_e32 v13, v7, v11
	v_and_b32_e32 v12, 1, v40
	v_sub_u32_e32 v13, v30, v13
	v_and_b32_sdwa v8, v25, v36 dst_sel:DWORD dst_unused:UNUSED_PAD src0_sel:DWORD src1_sel:WORD_1
	v_add_u32_e32 v13, 10, v13
	v_cmp_eq_u32_e32 vcc, 1, v12
	v_cndmask_b32_e32 v11, v13, v11, vcc
	v_cmp_eq_u32_e32 vcc, 1, v8
	v_cndmask_b32_e32 v7, v11, v7, vcc
	v_add_u32_e32 v67, v61, v40
	v_lshlrev_b32_e32 v7, 2, v7
	v_add_u32_e32 v56, v47, v56
	ds_write_b32 v7, v9
	v_sub_u32_e32 v9, v67, v4
	v_sub_u32_e32 v7, v56, v3
	v_add_u32_e32 v9, v9, v1
	v_add_u32_e32 v12, v7, v9
	v_and_b32_e32 v11, 1, v35
	v_sub_u32_e32 v12, v30, v12
	v_and_b32_e32 v8, 1, v39
	v_add_u32_e32 v12, 11, v12
	v_cmp_eq_u32_e32 vcc, 1, v11
	v_add_u32_e32 v62, v67, v62
	v_cndmask_b32_e32 v9, v12, v9, vcc
	v_cmp_eq_u32_e32 vcc, 1, v8
	v_add_u32_e32 v68, v56, v39
	v_cndmask_b32_e32 v7, v9, v7, vcc
	v_sub_u32_e32 v8, v62, v4
	v_lshlrev_b32_e32 v7, 2, v7
	v_sub_u32_e32 v3, v68, v3
	v_add_u32_e32 v8, v8, v1
	ds_write_b32 v7, v10
	v_add_u32_e32 v10, v3, v8
	v_and_b32_e32 v9, 1, v38
	v_sub_u32_e32 v10, v30, v10
	v_and_b32_e32 v7, 1, v37
	v_add_u32_e32 v10, 12, v10
	v_cmp_eq_u32_e32 vcc, 1, v9
	v_cndmask_b32_e32 v8, v10, v8, vcc
	v_cmp_eq_u32_e32 vcc, 1, v7
	v_cndmask_b32_e32 v3, v8, v3, vcc
	v_lshlrev_b32_e32 v3, 2, v3
	ds_write_b32 v3, v29
	v_add_co_u32_e32 v3, vcc, v2, v69
	v_addc_co_u32_e64 v7, s[2:3], 0, 0, vcc
	v_add_co_u32_e32 v3, vcc, v3, v27
	v_addc_co_u32_e32 v7, vcc, v7, v28, vcc
	s_add_u32 s4, s56, s33
	v_add_co_u32_e32 v3, vcc, v3, v5
	s_addc_u32 s5, s57, 0
	v_addc_co_u32_e32 v7, vcc, v7, v6, vcc
	v_mov_b32_e32 v8, s5
	v_sub_co_u32_e32 v3, vcc, s4, v3
	v_subb_co_u32_e32 v11, vcc, v8, v7, vcc
	v_lshlrev_b64 v[7:8], 2, v[27:28]
	v_mov_b32_e32 v9, s55
	v_add_co_u32_e32 v7, vcc, s54, v7
	v_addc_co_u32_e32 v8, vcc, v9, v8, vcc
	v_lshlrev_b64 v[9:10], 2, v[5:6]
	v_mov_b32_e32 v13, s53
	v_add_co_u32_e32 v9, vcc, s52, v9
	v_addc_co_u32_e32 v10, vcc, v13, v10, vcc
	v_add_u32_e32 v12, v1, v2
	s_and_b64 vcc, exec, s[0:1]
	s_mov_b64 s[0:1], -1
	s_waitcnt lgkmcnt(0)
	s_barrier
	s_cbranch_vccz .LBB1782_151
; %bb.148:
	s_and_b64 vcc, exec, s[0:1]
	s_cbranch_vccnz .LBB1782_256
.LBB1782_149:
	v_cmp_eq_u32_e32 vcc, 0, v0
	s_and_b64 s[0:1], vcc, s[34:35]
	s_and_saveexec_b64 s[2:3], s[0:1]
	s_cbranch_execnz .LBB1782_374
.LBB1782_150:
	s_endpgm
.LBB1782_151:
	v_cmp_ge_u32_e32 vcc, v0, v1
	s_and_saveexec_b64 s[0:1], vcc
	s_xor_b64 s[0:1], exec, s[0:1]
	s_cbranch_execz .LBB1782_157
; %bb.152:
	v_cmp_ge_u32_e32 vcc, v0, v12
	s_and_saveexec_b64 s[2:3], vcc
	s_xor_b64 s[2:3], exec, s[2:3]
	s_cbranch_execz .LBB1782_154
; %bb.153:
	v_add_co_u32_e32 v13, vcc, v3, v0
	v_lshlrev_b32_e32 v15, 2, v0
	v_addc_co_u32_e32 v14, vcc, 0, v11, vcc
	ds_read_b32 v15, v15
	v_lshlrev_b64 v[13:14], 2, v[13:14]
	v_mov_b32_e32 v16, s47
	v_sub_co_u32_e32 v13, vcc, s46, v13
	v_subb_co_u32_e32 v14, vcc, v16, v14, vcc
	s_waitcnt lgkmcnt(0)
	global_store_dword v[13:14], v15, off offset:-4
.LBB1782_154:
	s_andn2_saveexec_b64 s[2:3], s[2:3]
	s_cbranch_execz .LBB1782_156
; %bb.155:
	v_lshlrev_b32_e32 v13, 2, v0
	ds_read_b32 v14, v13
	v_readfirstlane_b32 s4, v7
	v_readfirstlane_b32 s5, v8
	s_waitcnt lgkmcnt(0)
	s_nop 3
	global_store_dword v13, v14, s[4:5]
.LBB1782_156:
	s_or_b64 exec, exec, s[2:3]
.LBB1782_157:
	s_andn2_saveexec_b64 s[0:1], s[0:1]
	s_cbranch_execz .LBB1782_159
; %bb.158:
	v_lshlrev_b32_e32 v13, 2, v0
	ds_read_b32 v14, v13
	v_readfirstlane_b32 s2, v9
	v_readfirstlane_b32 s3, v10
	s_waitcnt lgkmcnt(0)
	s_nop 3
	global_store_dword v13, v14, s[2:3]
.LBB1782_159:
	s_or_b64 exec, exec, s[0:1]
	v_or_b32_e32 v13, 0x100, v0
	v_cmp_ge_u32_e32 vcc, v13, v1
	s_and_saveexec_b64 s[0:1], vcc
	s_xor_b64 s[0:1], exec, s[0:1]
	s_cbranch_execz .LBB1782_165
; %bb.160:
	v_cmp_ge_u32_e32 vcc, v13, v12
	s_and_saveexec_b64 s[2:3], vcc
	s_xor_b64 s[2:3], exec, s[2:3]
	s_cbranch_execz .LBB1782_162
; %bb.161:
	v_lshlrev_b32_e32 v13, 2, v0
	ds_read_b32 v15, v13 offset:1024
	v_add_co_u32_e32 v13, vcc, v3, v0
	v_addc_co_u32_e32 v14, vcc, 0, v11, vcc
	v_lshlrev_b64 v[13:14], 2, v[13:14]
	v_mov_b32_e32 v16, s47
	v_sub_co_u32_e32 v13, vcc, s46, v13
	v_subb_co_u32_e32 v14, vcc, v16, v14, vcc
	s_waitcnt lgkmcnt(0)
	global_store_dword v[13:14], v15, off offset:-1028
.LBB1782_162:
	s_andn2_saveexec_b64 s[2:3], s[2:3]
	s_cbranch_execz .LBB1782_164
; %bb.163:
	v_lshlrev_b32_e32 v13, 2, v0
	ds_read_b32 v14, v13 offset:1024
	v_readfirstlane_b32 s4, v7
	v_readfirstlane_b32 s5, v8
	s_waitcnt lgkmcnt(0)
	s_nop 3
	global_store_dword v13, v14, s[4:5] offset:1024
.LBB1782_164:
	s_or_b64 exec, exec, s[2:3]
.LBB1782_165:
	s_andn2_saveexec_b64 s[0:1], s[0:1]
	s_cbranch_execz .LBB1782_167
; %bb.166:
	v_lshlrev_b32_e32 v13, 2, v0
	ds_read_b32 v14, v13 offset:1024
	v_readfirstlane_b32 s2, v9
	v_readfirstlane_b32 s3, v10
	s_waitcnt lgkmcnt(0)
	s_nop 3
	global_store_dword v13, v14, s[2:3] offset:1024
.LBB1782_167:
	s_or_b64 exec, exec, s[0:1]
	v_or_b32_e32 v13, 0x200, v0
	v_cmp_ge_u32_e32 vcc, v13, v1
	s_and_saveexec_b64 s[0:1], vcc
	s_xor_b64 s[0:1], exec, s[0:1]
	s_cbranch_execz .LBB1782_173
; %bb.168:
	v_cmp_ge_u32_e32 vcc, v13, v12
	s_and_saveexec_b64 s[2:3], vcc
	s_xor_b64 s[2:3], exec, s[2:3]
	s_cbranch_execz .LBB1782_170
; %bb.169:
	v_lshlrev_b32_e32 v13, 2, v0
	ds_read_b32 v15, v13 offset:2048
	v_add_co_u32_e32 v13, vcc, v3, v0
	v_addc_co_u32_e32 v14, vcc, 0, v11, vcc
	v_lshlrev_b64 v[13:14], 2, v[13:14]
	v_mov_b32_e32 v16, s47
	v_sub_co_u32_e32 v13, vcc, s46, v13
	v_subb_co_u32_e32 v14, vcc, v16, v14, vcc
	s_waitcnt lgkmcnt(0)
	global_store_dword v[13:14], v15, off offset:-2052
.LBB1782_170:
	s_andn2_saveexec_b64 s[2:3], s[2:3]
	s_cbranch_execz .LBB1782_172
; %bb.171:
	v_lshlrev_b32_e32 v13, 2, v0
	ds_read_b32 v14, v13 offset:2048
	v_readfirstlane_b32 s4, v7
	v_readfirstlane_b32 s5, v8
	s_waitcnt lgkmcnt(0)
	s_nop 3
	global_store_dword v13, v14, s[4:5] offset:2048
.LBB1782_172:
	s_or_b64 exec, exec, s[2:3]
.LBB1782_173:
	s_andn2_saveexec_b64 s[0:1], s[0:1]
	s_cbranch_execz .LBB1782_175
; %bb.174:
	v_lshlrev_b32_e32 v13, 2, v0
	ds_read_b32 v14, v13 offset:2048
	v_readfirstlane_b32 s2, v9
	v_readfirstlane_b32 s3, v10
	s_waitcnt lgkmcnt(0)
	s_nop 3
	global_store_dword v13, v14, s[2:3] offset:2048
.LBB1782_175:
	;; [unrolled: 47-line block ×3, first 2 shown]
	s_or_b64 exec, exec, s[0:1]
	v_or_b32_e32 v13, 0x400, v0
	v_cmp_ge_u32_e32 vcc, v13, v1
	s_and_saveexec_b64 s[0:1], vcc
	s_xor_b64 s[0:1], exec, s[0:1]
	s_cbranch_execz .LBB1782_189
; %bb.184:
	v_cmp_ge_u32_e32 vcc, v13, v12
	s_and_saveexec_b64 s[2:3], vcc
	s_xor_b64 s[2:3], exec, s[2:3]
	s_cbranch_execz .LBB1782_186
; %bb.185:
	v_lshlrev_b32_e32 v13, 2, v0
	ds_read_b32 v15, v13 offset:4096
	v_add_co_u32_e32 v13, vcc, v3, v0
	v_addc_co_u32_e32 v14, vcc, 0, v11, vcc
	v_lshlrev_b64 v[13:14], 2, v[13:14]
	v_mov_b32_e32 v16, s47
	v_sub_co_u32_e32 v13, vcc, s46, v13
	v_subb_co_u32_e32 v14, vcc, v16, v14, vcc
	v_add_co_u32_e32 v13, vcc, 0xfffff000, v13
	v_addc_co_u32_e32 v14, vcc, -1, v14, vcc
	s_waitcnt lgkmcnt(0)
	global_store_dword v[13:14], v15, off offset:-4
                                        ; implicit-def: $vgpr13
.LBB1782_186:
	s_andn2_saveexec_b64 s[2:3], s[2:3]
	s_cbranch_execz .LBB1782_188
; %bb.187:
	v_lshlrev_b32_e32 v14, 2, v0
	ds_read_b32 v14, v14 offset:4096
	v_lshlrev_b32_e32 v13, 2, v13
	v_readfirstlane_b32 s4, v7
	v_readfirstlane_b32 s5, v8
	s_waitcnt lgkmcnt(0)
	s_nop 3
	global_store_dword v13, v14, s[4:5]
.LBB1782_188:
	s_or_b64 exec, exec, s[2:3]
                                        ; implicit-def: $vgpr13
.LBB1782_189:
	s_andn2_saveexec_b64 s[0:1], s[0:1]
	s_cbranch_execz .LBB1782_191
; %bb.190:
	v_lshlrev_b32_e32 v14, 2, v0
	ds_read_b32 v14, v14 offset:4096
	v_lshlrev_b32_e32 v13, 2, v13
	v_readfirstlane_b32 s2, v9
	v_readfirstlane_b32 s3, v10
	s_waitcnt lgkmcnt(0)
	s_nop 3
	global_store_dword v13, v14, s[2:3]
.LBB1782_191:
	s_or_b64 exec, exec, s[0:1]
	v_or_b32_e32 v13, 0x500, v0
	v_cmp_ge_u32_e32 vcc, v13, v1
	s_and_saveexec_b64 s[0:1], vcc
	s_xor_b64 s[0:1], exec, s[0:1]
	s_cbranch_execz .LBB1782_197
; %bb.192:
	v_cmp_ge_u32_e32 vcc, v13, v12
	s_and_saveexec_b64 s[2:3], vcc
	s_xor_b64 s[2:3], exec, s[2:3]
	s_cbranch_execz .LBB1782_194
; %bb.193:
	v_add_co_u32_e32 v13, vcc, v3, v13
	v_lshlrev_b32_e32 v15, 2, v0
	v_addc_co_u32_e32 v14, vcc, 0, v11, vcc
	ds_read_b32 v15, v15 offset:5120
	v_lshlrev_b64 v[13:14], 2, v[13:14]
	v_mov_b32_e32 v16, s47
	v_sub_co_u32_e32 v13, vcc, s46, v13
	v_subb_co_u32_e32 v14, vcc, v16, v14, vcc
	s_waitcnt lgkmcnt(0)
	global_store_dword v[13:14], v15, off offset:-4
                                        ; implicit-def: $vgpr13
.LBB1782_194:
	s_andn2_saveexec_b64 s[2:3], s[2:3]
	s_cbranch_execz .LBB1782_196
; %bb.195:
	v_lshlrev_b32_e32 v14, 2, v0
	ds_read_b32 v14, v14 offset:5120
	v_lshlrev_b32_e32 v13, 2, v13
	v_readfirstlane_b32 s4, v7
	v_readfirstlane_b32 s5, v8
	s_waitcnt lgkmcnt(0)
	s_nop 3
	global_store_dword v13, v14, s[4:5]
.LBB1782_196:
	s_or_b64 exec, exec, s[2:3]
                                        ; implicit-def: $vgpr13
.LBB1782_197:
	s_andn2_saveexec_b64 s[0:1], s[0:1]
	s_cbranch_execz .LBB1782_199
; %bb.198:
	v_lshlrev_b32_e32 v14, 2, v0
	ds_read_b32 v14, v14 offset:5120
	v_lshlrev_b32_e32 v13, 2, v13
	v_readfirstlane_b32 s2, v9
	v_readfirstlane_b32 s3, v10
	s_waitcnt lgkmcnt(0)
	s_nop 3
	global_store_dword v13, v14, s[2:3]
.LBB1782_199:
	s_or_b64 exec, exec, s[0:1]
	v_or_b32_e32 v13, 0x600, v0
	v_cmp_ge_u32_e32 vcc, v13, v1
	s_and_saveexec_b64 s[0:1], vcc
	s_xor_b64 s[0:1], exec, s[0:1]
	s_cbranch_execz .LBB1782_205
; %bb.200:
	v_cmp_ge_u32_e32 vcc, v13, v12
	s_and_saveexec_b64 s[2:3], vcc
	s_xor_b64 s[2:3], exec, s[2:3]
	s_cbranch_execz .LBB1782_202
; %bb.201:
	v_add_co_u32_e32 v13, vcc, v3, v13
	v_lshlrev_b32_e32 v15, 2, v0
	v_addc_co_u32_e32 v14, vcc, 0, v11, vcc
	ds_read_b32 v15, v15 offset:6144
	v_lshlrev_b64 v[13:14], 2, v[13:14]
	v_mov_b32_e32 v16, s47
	v_sub_co_u32_e32 v13, vcc, s46, v13
	v_subb_co_u32_e32 v14, vcc, v16, v14, vcc
	s_waitcnt lgkmcnt(0)
	global_store_dword v[13:14], v15, off offset:-4
                                        ; implicit-def: $vgpr13
.LBB1782_202:
	s_andn2_saveexec_b64 s[2:3], s[2:3]
	s_cbranch_execz .LBB1782_204
; %bb.203:
	v_lshlrev_b32_e32 v14, 2, v0
	ds_read_b32 v14, v14 offset:6144
	v_lshlrev_b32_e32 v13, 2, v13
	v_readfirstlane_b32 s4, v7
	v_readfirstlane_b32 s5, v8
	s_waitcnt lgkmcnt(0)
	s_nop 3
	global_store_dword v13, v14, s[4:5]
.LBB1782_204:
	s_or_b64 exec, exec, s[2:3]
                                        ; implicit-def: $vgpr13
.LBB1782_205:
	;; [unrolled: 51-line block ×8, first 2 shown]
	s_andn2_saveexec_b64 s[0:1], s[0:1]
	s_cbranch_execz .LBB1782_255
; %bb.254:
	v_lshlrev_b32_e32 v14, 2, v0
	ds_read_b32 v14, v14 offset:12288
	v_lshlrev_b32_e32 v13, 2, v13
	v_readfirstlane_b32 s2, v9
	v_readfirstlane_b32 s3, v10
	s_waitcnt lgkmcnt(0)
	s_nop 3
	global_store_dword v13, v14, s[2:3]
.LBB1782_255:
	s_or_b64 exec, exec, s[0:1]
	s_branch .LBB1782_149
.LBB1782_256:
	v_cmp_gt_u32_e32 vcc, s18, v0
	s_and_saveexec_b64 s[0:1], vcc
	s_cbranch_execz .LBB1782_265
; %bb.257:
	v_cmp_ge_u32_e32 vcc, v0, v1
	s_and_saveexec_b64 s[2:3], vcc
	s_xor_b64 s[2:3], exec, s[2:3]
	s_cbranch_execz .LBB1782_263
; %bb.258:
	v_cmp_ge_u32_e32 vcc, v0, v12
	s_and_saveexec_b64 s[4:5], vcc
	s_xor_b64 s[4:5], exec, s[4:5]
	s_cbranch_execz .LBB1782_260
; %bb.259:
	v_add_co_u32_e32 v13, vcc, v3, v0
	v_lshlrev_b32_e32 v15, 2, v0
	v_addc_co_u32_e32 v14, vcc, 0, v11, vcc
	ds_read_b32 v15, v15
	v_lshlrev_b64 v[13:14], 2, v[13:14]
	v_mov_b32_e32 v16, s47
	v_sub_co_u32_e32 v13, vcc, s46, v13
	v_subb_co_u32_e32 v14, vcc, v16, v14, vcc
	s_waitcnt lgkmcnt(0)
	global_store_dword v[13:14], v15, off offset:-4
.LBB1782_260:
	s_andn2_saveexec_b64 s[4:5], s[4:5]
	s_cbranch_execz .LBB1782_262
; %bb.261:
	v_lshlrev_b32_e32 v13, 2, v0
	ds_read_b32 v14, v13
	v_readfirstlane_b32 s6, v7
	v_readfirstlane_b32 s7, v8
	s_waitcnt lgkmcnt(0)
	s_nop 3
	global_store_dword v13, v14, s[6:7]
.LBB1782_262:
	s_or_b64 exec, exec, s[4:5]
.LBB1782_263:
	s_andn2_saveexec_b64 s[2:3], s[2:3]
	s_cbranch_execz .LBB1782_265
; %bb.264:
	v_lshlrev_b32_e32 v13, 2, v0
	ds_read_b32 v14, v13
	v_readfirstlane_b32 s2, v9
	v_readfirstlane_b32 s3, v10
	s_waitcnt lgkmcnt(0)
	s_nop 3
	global_store_dword v13, v14, s[2:3]
.LBB1782_265:
	s_or_b64 exec, exec, s[0:1]
	v_or_b32_e32 v13, 0x100, v0
	v_cmp_gt_u32_e32 vcc, s18, v13
	s_and_saveexec_b64 s[0:1], vcc
	s_cbranch_execz .LBB1782_274
; %bb.266:
	v_cmp_ge_u32_e32 vcc, v13, v1
	s_and_saveexec_b64 s[2:3], vcc
	s_xor_b64 s[2:3], exec, s[2:3]
	s_cbranch_execz .LBB1782_272
; %bb.267:
	v_cmp_ge_u32_e32 vcc, v13, v12
	s_and_saveexec_b64 s[4:5], vcc
	s_xor_b64 s[4:5], exec, s[4:5]
	s_cbranch_execz .LBB1782_269
; %bb.268:
	v_lshlrev_b32_e32 v13, 2, v0
	ds_read_b32 v15, v13 offset:1024
	v_add_co_u32_e32 v13, vcc, v3, v0
	v_addc_co_u32_e32 v14, vcc, 0, v11, vcc
	v_lshlrev_b64 v[13:14], 2, v[13:14]
	v_mov_b32_e32 v16, s47
	v_sub_co_u32_e32 v13, vcc, s46, v13
	v_subb_co_u32_e32 v14, vcc, v16, v14, vcc
	s_waitcnt lgkmcnt(0)
	global_store_dword v[13:14], v15, off offset:-1028
.LBB1782_269:
	s_andn2_saveexec_b64 s[4:5], s[4:5]
	s_cbranch_execz .LBB1782_271
; %bb.270:
	v_lshlrev_b32_e32 v13, 2, v0
	ds_read_b32 v14, v13 offset:1024
	v_readfirstlane_b32 s6, v7
	v_readfirstlane_b32 s7, v8
	s_waitcnt lgkmcnt(0)
	s_nop 3
	global_store_dword v13, v14, s[6:7] offset:1024
.LBB1782_271:
	s_or_b64 exec, exec, s[4:5]
.LBB1782_272:
	s_andn2_saveexec_b64 s[2:3], s[2:3]
	s_cbranch_execz .LBB1782_274
; %bb.273:
	v_lshlrev_b32_e32 v13, 2, v0
	ds_read_b32 v14, v13 offset:1024
	v_readfirstlane_b32 s2, v9
	v_readfirstlane_b32 s3, v10
	s_waitcnt lgkmcnt(0)
	s_nop 3
	global_store_dword v13, v14, s[2:3] offset:1024
.LBB1782_274:
	s_or_b64 exec, exec, s[0:1]
	v_or_b32_e32 v13, 0x200, v0
	v_cmp_gt_u32_e32 vcc, s18, v13
	s_and_saveexec_b64 s[0:1], vcc
	s_cbranch_execz .LBB1782_283
; %bb.275:
	v_cmp_ge_u32_e32 vcc, v13, v1
	s_and_saveexec_b64 s[2:3], vcc
	s_xor_b64 s[2:3], exec, s[2:3]
	s_cbranch_execz .LBB1782_281
; %bb.276:
	v_cmp_ge_u32_e32 vcc, v13, v12
	s_and_saveexec_b64 s[4:5], vcc
	s_xor_b64 s[4:5], exec, s[4:5]
	s_cbranch_execz .LBB1782_278
; %bb.277:
	v_lshlrev_b32_e32 v13, 2, v0
	ds_read_b32 v15, v13 offset:2048
	v_add_co_u32_e32 v13, vcc, v3, v0
	v_addc_co_u32_e32 v14, vcc, 0, v11, vcc
	v_lshlrev_b64 v[13:14], 2, v[13:14]
	v_mov_b32_e32 v16, s47
	v_sub_co_u32_e32 v13, vcc, s46, v13
	v_subb_co_u32_e32 v14, vcc, v16, v14, vcc
	s_waitcnt lgkmcnt(0)
	global_store_dword v[13:14], v15, off offset:-2052
.LBB1782_278:
	s_andn2_saveexec_b64 s[4:5], s[4:5]
	s_cbranch_execz .LBB1782_280
; %bb.279:
	v_lshlrev_b32_e32 v13, 2, v0
	ds_read_b32 v14, v13 offset:2048
	v_readfirstlane_b32 s6, v7
	v_readfirstlane_b32 s7, v8
	s_waitcnt lgkmcnt(0)
	s_nop 3
	global_store_dword v13, v14, s[6:7] offset:2048
.LBB1782_280:
	s_or_b64 exec, exec, s[4:5]
.LBB1782_281:
	s_andn2_saveexec_b64 s[2:3], s[2:3]
	s_cbranch_execz .LBB1782_283
; %bb.282:
	v_lshlrev_b32_e32 v13, 2, v0
	ds_read_b32 v14, v13 offset:2048
	v_readfirstlane_b32 s2, v9
	v_readfirstlane_b32 s3, v10
	s_waitcnt lgkmcnt(0)
	s_nop 3
	global_store_dword v13, v14, s[2:3] offset:2048
.LBB1782_283:
	;; [unrolled: 51-line block ×3, first 2 shown]
	s_or_b64 exec, exec, s[0:1]
	v_or_b32_e32 v13, 0x400, v0
	v_cmp_gt_u32_e32 vcc, s18, v13
	s_and_saveexec_b64 s[0:1], vcc
	s_cbranch_execz .LBB1782_301
; %bb.293:
	v_cmp_ge_u32_e32 vcc, v13, v1
	s_and_saveexec_b64 s[2:3], vcc
	s_xor_b64 s[2:3], exec, s[2:3]
	s_cbranch_execz .LBB1782_299
; %bb.294:
	v_cmp_ge_u32_e32 vcc, v13, v12
	s_and_saveexec_b64 s[4:5], vcc
	s_xor_b64 s[4:5], exec, s[4:5]
	s_cbranch_execz .LBB1782_296
; %bb.295:
	v_lshlrev_b32_e32 v13, 2, v0
	ds_read_b32 v15, v13 offset:4096
	v_add_co_u32_e32 v13, vcc, v3, v0
	v_addc_co_u32_e32 v14, vcc, 0, v11, vcc
	v_lshlrev_b64 v[13:14], 2, v[13:14]
	v_mov_b32_e32 v16, s47
	v_sub_co_u32_e32 v13, vcc, s46, v13
	v_subb_co_u32_e32 v14, vcc, v16, v14, vcc
	v_add_co_u32_e32 v13, vcc, 0xfffff000, v13
	v_addc_co_u32_e32 v14, vcc, -1, v14, vcc
	s_waitcnt lgkmcnt(0)
	global_store_dword v[13:14], v15, off offset:-4
                                        ; implicit-def: $vgpr13
.LBB1782_296:
	s_andn2_saveexec_b64 s[4:5], s[4:5]
	s_cbranch_execz .LBB1782_298
; %bb.297:
	v_lshlrev_b32_e32 v14, 2, v0
	ds_read_b32 v14, v14 offset:4096
	v_lshlrev_b32_e32 v13, 2, v13
	v_readfirstlane_b32 s6, v7
	v_readfirstlane_b32 s7, v8
	s_waitcnt lgkmcnt(0)
	s_nop 3
	global_store_dword v13, v14, s[6:7]
.LBB1782_298:
	s_or_b64 exec, exec, s[4:5]
                                        ; implicit-def: $vgpr13
.LBB1782_299:
	s_andn2_saveexec_b64 s[2:3], s[2:3]
	s_cbranch_execz .LBB1782_301
; %bb.300:
	v_lshlrev_b32_e32 v14, 2, v0
	ds_read_b32 v14, v14 offset:4096
	v_lshlrev_b32_e32 v13, 2, v13
	v_readfirstlane_b32 s2, v9
	v_readfirstlane_b32 s3, v10
	s_waitcnt lgkmcnt(0)
	s_nop 3
	global_store_dword v13, v14, s[2:3]
.LBB1782_301:
	s_or_b64 exec, exec, s[0:1]
	v_or_b32_e32 v13, 0x500, v0
	v_cmp_gt_u32_e32 vcc, s18, v13
	s_and_saveexec_b64 s[0:1], vcc
	s_cbranch_execz .LBB1782_310
; %bb.302:
	v_cmp_ge_u32_e32 vcc, v13, v1
	s_and_saveexec_b64 s[2:3], vcc
	s_xor_b64 s[2:3], exec, s[2:3]
	s_cbranch_execz .LBB1782_308
; %bb.303:
	v_cmp_ge_u32_e32 vcc, v13, v12
	s_and_saveexec_b64 s[4:5], vcc
	s_xor_b64 s[4:5], exec, s[4:5]
	s_cbranch_execz .LBB1782_305
; %bb.304:
	v_add_co_u32_e32 v13, vcc, v3, v13
	v_lshlrev_b32_e32 v15, 2, v0
	v_addc_co_u32_e32 v14, vcc, 0, v11, vcc
	ds_read_b32 v15, v15 offset:5120
	v_lshlrev_b64 v[13:14], 2, v[13:14]
	v_mov_b32_e32 v16, s47
	v_sub_co_u32_e32 v13, vcc, s46, v13
	v_subb_co_u32_e32 v14, vcc, v16, v14, vcc
	s_waitcnt lgkmcnt(0)
	global_store_dword v[13:14], v15, off offset:-4
                                        ; implicit-def: $vgpr13
.LBB1782_305:
	s_andn2_saveexec_b64 s[4:5], s[4:5]
	s_cbranch_execz .LBB1782_307
; %bb.306:
	v_lshlrev_b32_e32 v14, 2, v0
	ds_read_b32 v14, v14 offset:5120
	v_lshlrev_b32_e32 v13, 2, v13
	v_readfirstlane_b32 s6, v7
	v_readfirstlane_b32 s7, v8
	s_waitcnt lgkmcnt(0)
	s_nop 3
	global_store_dword v13, v14, s[6:7]
.LBB1782_307:
	s_or_b64 exec, exec, s[4:5]
                                        ; implicit-def: $vgpr13
.LBB1782_308:
	s_andn2_saveexec_b64 s[2:3], s[2:3]
	s_cbranch_execz .LBB1782_310
; %bb.309:
	v_lshlrev_b32_e32 v14, 2, v0
	ds_read_b32 v14, v14 offset:5120
	v_lshlrev_b32_e32 v13, 2, v13
	v_readfirstlane_b32 s2, v9
	v_readfirstlane_b32 s3, v10
	s_waitcnt lgkmcnt(0)
	s_nop 3
	global_store_dword v13, v14, s[2:3]
.LBB1782_310:
	s_or_b64 exec, exec, s[0:1]
	v_or_b32_e32 v13, 0x600, v0
	v_cmp_gt_u32_e32 vcc, s18, v13
	s_and_saveexec_b64 s[0:1], vcc
	s_cbranch_execz .LBB1782_319
; %bb.311:
	v_cmp_ge_u32_e32 vcc, v13, v1
	s_and_saveexec_b64 s[2:3], vcc
	s_xor_b64 s[2:3], exec, s[2:3]
	s_cbranch_execz .LBB1782_317
; %bb.312:
	v_cmp_ge_u32_e32 vcc, v13, v12
	s_and_saveexec_b64 s[4:5], vcc
	s_xor_b64 s[4:5], exec, s[4:5]
	s_cbranch_execz .LBB1782_314
; %bb.313:
	v_add_co_u32_e32 v13, vcc, v3, v13
	v_lshlrev_b32_e32 v15, 2, v0
	v_addc_co_u32_e32 v14, vcc, 0, v11, vcc
	ds_read_b32 v15, v15 offset:6144
	v_lshlrev_b64 v[13:14], 2, v[13:14]
	v_mov_b32_e32 v16, s47
	v_sub_co_u32_e32 v13, vcc, s46, v13
	v_subb_co_u32_e32 v14, vcc, v16, v14, vcc
	s_waitcnt lgkmcnt(0)
	global_store_dword v[13:14], v15, off offset:-4
                                        ; implicit-def: $vgpr13
.LBB1782_314:
	s_andn2_saveexec_b64 s[4:5], s[4:5]
	s_cbranch_execz .LBB1782_316
; %bb.315:
	v_lshlrev_b32_e32 v14, 2, v0
	ds_read_b32 v14, v14 offset:6144
	v_lshlrev_b32_e32 v13, 2, v13
	v_readfirstlane_b32 s6, v7
	v_readfirstlane_b32 s7, v8
	s_waitcnt lgkmcnt(0)
	s_nop 3
	global_store_dword v13, v14, s[6:7]
.LBB1782_316:
	s_or_b64 exec, exec, s[4:5]
                                        ; implicit-def: $vgpr13
.LBB1782_317:
	s_andn2_saveexec_b64 s[2:3], s[2:3]
	s_cbranch_execz .LBB1782_319
; %bb.318:
	v_lshlrev_b32_e32 v14, 2, v0
	ds_read_b32 v14, v14 offset:6144
	v_lshlrev_b32_e32 v13, 2, v13
	v_readfirstlane_b32 s2, v9
	v_readfirstlane_b32 s3, v10
	s_waitcnt lgkmcnt(0)
	s_nop 3
	global_store_dword v13, v14, s[2:3]
.LBB1782_319:
	;; [unrolled: 55-line block ×7, first 2 shown]
	s_or_b64 exec, exec, s[0:1]
	v_or_b32_e32 v13, 0xc00, v0
	v_cmp_gt_u32_e32 vcc, s18, v13
	s_and_saveexec_b64 s[0:1], vcc
	s_cbranch_execz .LBB1782_373
; %bb.365:
	v_cmp_ge_u32_e32 vcc, v13, v1
	s_and_saveexec_b64 s[2:3], vcc
	s_xor_b64 s[2:3], exec, s[2:3]
	s_cbranch_execz .LBB1782_371
; %bb.366:
	v_cmp_ge_u32_e32 vcc, v13, v12
	s_and_saveexec_b64 s[4:5], vcc
	s_xor_b64 s[4:5], exec, s[4:5]
	s_cbranch_execz .LBB1782_368
; %bb.367:
	v_add_co_u32_e32 v7, vcc, v3, v13
	v_lshlrev_b32_e32 v3, 2, v0
	v_addc_co_u32_e32 v8, vcc, 0, v11, vcc
	ds_read_b32 v3, v3 offset:12288
	v_lshlrev_b64 v[7:8], 2, v[7:8]
	v_mov_b32_e32 v9, s47
	v_sub_co_u32_e32 v7, vcc, s46, v7
	v_subb_co_u32_e32 v8, vcc, v9, v8, vcc
	s_waitcnt lgkmcnt(0)
	global_store_dword v[7:8], v3, off offset:-4
                                        ; implicit-def: $vgpr13
                                        ; implicit-def: $vgpr7_vgpr8
.LBB1782_368:
	s_andn2_saveexec_b64 s[4:5], s[4:5]
	s_cbranch_execz .LBB1782_370
; %bb.369:
	v_lshlrev_b32_e32 v3, 2, v0
	ds_read_b32 v3, v3 offset:12288
	v_lshlrev_b32_e32 v9, 2, v13
	v_readfirstlane_b32 s6, v7
	v_readfirstlane_b32 s7, v8
	s_waitcnt lgkmcnt(0)
	s_nop 3
	global_store_dword v9, v3, s[6:7]
.LBB1782_370:
	s_or_b64 exec, exec, s[4:5]
                                        ; implicit-def: $vgpr13
                                        ; implicit-def: $vgpr9_vgpr10
.LBB1782_371:
	s_andn2_saveexec_b64 s[2:3], s[2:3]
	s_cbranch_execz .LBB1782_373
; %bb.372:
	v_lshlrev_b32_e32 v3, 2, v0
	ds_read_b32 v3, v3 offset:12288
	v_lshlrev_b32_e32 v7, 2, v13
	v_readfirstlane_b32 s2, v9
	v_readfirstlane_b32 s3, v10
	s_waitcnt lgkmcnt(0)
	s_nop 3
	global_store_dword v7, v3, s[2:3]
.LBB1782_373:
	s_or_b64 exec, exec, s[0:1]
	v_cmp_eq_u32_e32 vcc, 0, v0
	s_and_b64 s[0:1], vcc, s[34:35]
	s_and_saveexec_b64 s[2:3], s[0:1]
	s_cbranch_execz .LBB1782_150
.LBB1782_374:
	v_mov_b32_e32 v0, s51
	v_add_co_u32_e32 v2, vcc, s50, v2
	v_addc_co_u32_e32 v0, vcc, 0, v0, vcc
	v_add_co_u32_e32 v2, vcc, v2, v4
	v_addc_co_u32_e32 v3, vcc, 0, v0, vcc
	v_add_co_u32_e32 v0, vcc, v5, v1
	v_mov_b32_e32 v7, 0
	v_addc_co_u32_e32 v1, vcc, 0, v6, vcc
	global_store_dwordx4 v7, v[0:3], s[44:45]
	s_endpgm
.LBB1782_375:
	s_add_i32 s6, s6, 64
	s_mov_b32 s7, 0
	s_lshl_b64 s[6:7], s[6:7], 4
	s_add_u32 s6, s12, s6
	s_addc_u32 s7, s13, s7
	v_mov_b32_e32 v24, s7
	v_add_u32_e32 v6, v4, v2
	v_add_u32_e32 v5, v3, v1
	v_mov_b32_e32 v7, 2
	v_mov_b32_e32 v8, 0
	;; [unrolled: 1-line block ×3, first 2 shown]
	;;#ASMSTART
	global_store_dwordx4 v[23:24], v[5:8] off	
s_waitcnt vmcnt(0)
	;;#ASMEND
	s_or_b64 exec, exec, s[14:15]
	s_and_saveexec_b64 s[6:7], s[8:9]
	s_cbranch_execz .LBB1782_135
.LBB1782_376:
	v_mov_b32_e32 v5, 0
	ds_write_b128 v5, v[1:4] offset:13312
	s_or_b64 exec, exec, s[6:7]
	v_cmp_eq_u32_e32 vcc, 0, v0
	s_and_b64 exec, exec, vcc
	s_cbranch_execnz .LBB1782_136
	s_branch .LBB1782_137
	.section	.rodata,"a",@progbits
	.p2align	6, 0x0
	.amdhsa_kernel _ZN7rocprim17ROCPRIM_400000_NS6detail17trampoline_kernelINS0_13select_configILj256ELj13ELNS0_17block_load_methodE3ELS4_3ELS4_3ELNS0_20block_scan_algorithmE0ELj4294967295EEENS1_25partition_config_selectorILNS1_17partition_subalgoE4EjNS0_10empty_typeEbEEZZNS1_14partition_implILS8_4ELb0ES6_15HIP_vector_typeIjLj2EENS0_17counting_iteratorIjlEEPS9_SG_NS0_5tupleIJPjSI_NS0_16reverse_iteratorISI_EEEEENSH_IJSG_SG_SG_EEES9_SI_JZNS1_25segmented_radix_sort_implINS0_14default_configELb0EPK6__halfPSP_PKlPlN2at6native12_GLOBAL__N_18offset_tEEE10hipError_tPvRmT1_PNSt15iterator_traitsIS13_E10value_typeET2_T3_PNS14_IS19_E10value_typeET4_jRbjT5_S1F_jjP12ihipStream_tbEUljE_ZNSN_ISO_Lb0ESR_SS_SU_SV_SZ_EES10_S11_S12_S13_S17_S18_S19_S1C_S1D_jS1E_jS1F_S1F_jjS1H_bEUljE0_EEES10_S11_S12_S19_S1D_S1F_T6_T7_T9_mT8_S1H_bDpT10_ENKUlT_T0_E_clISt17integral_constantIbLb0EES1V_EEDaS1Q_S1R_EUlS1Q_E_NS1_11comp_targetILNS1_3genE2ELNS1_11target_archE906ELNS1_3gpuE6ELNS1_3repE0EEENS1_30default_config_static_selectorELNS0_4arch9wavefront6targetE1EEEvS13_
		.amdhsa_group_segment_fixed_size 13328
		.amdhsa_private_segment_fixed_size 0
		.amdhsa_kernarg_size 176
		.amdhsa_user_sgpr_count 6
		.amdhsa_user_sgpr_private_segment_buffer 1
		.amdhsa_user_sgpr_dispatch_ptr 0
		.amdhsa_user_sgpr_queue_ptr 0
		.amdhsa_user_sgpr_kernarg_segment_ptr 1
		.amdhsa_user_sgpr_dispatch_id 0
		.amdhsa_user_sgpr_flat_scratch_init 0
		.amdhsa_user_sgpr_private_segment_size 0
		.amdhsa_uses_dynamic_stack 0
		.amdhsa_system_sgpr_private_segment_wavefront_offset 0
		.amdhsa_system_sgpr_workgroup_id_x 1
		.amdhsa_system_sgpr_workgroup_id_y 0
		.amdhsa_system_sgpr_workgroup_id_z 0
		.amdhsa_system_sgpr_workgroup_info 0
		.amdhsa_system_vgpr_workitem_id 0
		.amdhsa_next_free_vgpr 86
		.amdhsa_next_free_sgpr 98
		.amdhsa_reserve_vcc 1
		.amdhsa_reserve_flat_scratch 0
		.amdhsa_float_round_mode_32 0
		.amdhsa_float_round_mode_16_64 0
		.amdhsa_float_denorm_mode_32 3
		.amdhsa_float_denorm_mode_16_64 3
		.amdhsa_dx10_clamp 1
		.amdhsa_ieee_mode 1
		.amdhsa_fp16_overflow 0
		.amdhsa_exception_fp_ieee_invalid_op 0
		.amdhsa_exception_fp_denorm_src 0
		.amdhsa_exception_fp_ieee_div_zero 0
		.amdhsa_exception_fp_ieee_overflow 0
		.amdhsa_exception_fp_ieee_underflow 0
		.amdhsa_exception_fp_ieee_inexact 0
		.amdhsa_exception_int_div_zero 0
	.end_amdhsa_kernel
	.section	.text._ZN7rocprim17ROCPRIM_400000_NS6detail17trampoline_kernelINS0_13select_configILj256ELj13ELNS0_17block_load_methodE3ELS4_3ELS4_3ELNS0_20block_scan_algorithmE0ELj4294967295EEENS1_25partition_config_selectorILNS1_17partition_subalgoE4EjNS0_10empty_typeEbEEZZNS1_14partition_implILS8_4ELb0ES6_15HIP_vector_typeIjLj2EENS0_17counting_iteratorIjlEEPS9_SG_NS0_5tupleIJPjSI_NS0_16reverse_iteratorISI_EEEEENSH_IJSG_SG_SG_EEES9_SI_JZNS1_25segmented_radix_sort_implINS0_14default_configELb0EPK6__halfPSP_PKlPlN2at6native12_GLOBAL__N_18offset_tEEE10hipError_tPvRmT1_PNSt15iterator_traitsIS13_E10value_typeET2_T3_PNS14_IS19_E10value_typeET4_jRbjT5_S1F_jjP12ihipStream_tbEUljE_ZNSN_ISO_Lb0ESR_SS_SU_SV_SZ_EES10_S11_S12_S13_S17_S18_S19_S1C_S1D_jS1E_jS1F_S1F_jjS1H_bEUljE0_EEES10_S11_S12_S19_S1D_S1F_T6_T7_T9_mT8_S1H_bDpT10_ENKUlT_T0_E_clISt17integral_constantIbLb0EES1V_EEDaS1Q_S1R_EUlS1Q_E_NS1_11comp_targetILNS1_3genE2ELNS1_11target_archE906ELNS1_3gpuE6ELNS1_3repE0EEENS1_30default_config_static_selectorELNS0_4arch9wavefront6targetE1EEEvS13_,"axG",@progbits,_ZN7rocprim17ROCPRIM_400000_NS6detail17trampoline_kernelINS0_13select_configILj256ELj13ELNS0_17block_load_methodE3ELS4_3ELS4_3ELNS0_20block_scan_algorithmE0ELj4294967295EEENS1_25partition_config_selectorILNS1_17partition_subalgoE4EjNS0_10empty_typeEbEEZZNS1_14partition_implILS8_4ELb0ES6_15HIP_vector_typeIjLj2EENS0_17counting_iteratorIjlEEPS9_SG_NS0_5tupleIJPjSI_NS0_16reverse_iteratorISI_EEEEENSH_IJSG_SG_SG_EEES9_SI_JZNS1_25segmented_radix_sort_implINS0_14default_configELb0EPK6__halfPSP_PKlPlN2at6native12_GLOBAL__N_18offset_tEEE10hipError_tPvRmT1_PNSt15iterator_traitsIS13_E10value_typeET2_T3_PNS14_IS19_E10value_typeET4_jRbjT5_S1F_jjP12ihipStream_tbEUljE_ZNSN_ISO_Lb0ESR_SS_SU_SV_SZ_EES10_S11_S12_S13_S17_S18_S19_S1C_S1D_jS1E_jS1F_S1F_jjS1H_bEUljE0_EEES10_S11_S12_S19_S1D_S1F_T6_T7_T9_mT8_S1H_bDpT10_ENKUlT_T0_E_clISt17integral_constantIbLb0EES1V_EEDaS1Q_S1R_EUlS1Q_E_NS1_11comp_targetILNS1_3genE2ELNS1_11target_archE906ELNS1_3gpuE6ELNS1_3repE0EEENS1_30default_config_static_selectorELNS0_4arch9wavefront6targetE1EEEvS13_,comdat
.Lfunc_end1782:
	.size	_ZN7rocprim17ROCPRIM_400000_NS6detail17trampoline_kernelINS0_13select_configILj256ELj13ELNS0_17block_load_methodE3ELS4_3ELS4_3ELNS0_20block_scan_algorithmE0ELj4294967295EEENS1_25partition_config_selectorILNS1_17partition_subalgoE4EjNS0_10empty_typeEbEEZZNS1_14partition_implILS8_4ELb0ES6_15HIP_vector_typeIjLj2EENS0_17counting_iteratorIjlEEPS9_SG_NS0_5tupleIJPjSI_NS0_16reverse_iteratorISI_EEEEENSH_IJSG_SG_SG_EEES9_SI_JZNS1_25segmented_radix_sort_implINS0_14default_configELb0EPK6__halfPSP_PKlPlN2at6native12_GLOBAL__N_18offset_tEEE10hipError_tPvRmT1_PNSt15iterator_traitsIS13_E10value_typeET2_T3_PNS14_IS19_E10value_typeET4_jRbjT5_S1F_jjP12ihipStream_tbEUljE_ZNSN_ISO_Lb0ESR_SS_SU_SV_SZ_EES10_S11_S12_S13_S17_S18_S19_S1C_S1D_jS1E_jS1F_S1F_jjS1H_bEUljE0_EEES10_S11_S12_S19_S1D_S1F_T6_T7_T9_mT8_S1H_bDpT10_ENKUlT_T0_E_clISt17integral_constantIbLb0EES1V_EEDaS1Q_S1R_EUlS1Q_E_NS1_11comp_targetILNS1_3genE2ELNS1_11target_archE906ELNS1_3gpuE6ELNS1_3repE0EEENS1_30default_config_static_selectorELNS0_4arch9wavefront6targetE1EEEvS13_, .Lfunc_end1782-_ZN7rocprim17ROCPRIM_400000_NS6detail17trampoline_kernelINS0_13select_configILj256ELj13ELNS0_17block_load_methodE3ELS4_3ELS4_3ELNS0_20block_scan_algorithmE0ELj4294967295EEENS1_25partition_config_selectorILNS1_17partition_subalgoE4EjNS0_10empty_typeEbEEZZNS1_14partition_implILS8_4ELb0ES6_15HIP_vector_typeIjLj2EENS0_17counting_iteratorIjlEEPS9_SG_NS0_5tupleIJPjSI_NS0_16reverse_iteratorISI_EEEEENSH_IJSG_SG_SG_EEES9_SI_JZNS1_25segmented_radix_sort_implINS0_14default_configELb0EPK6__halfPSP_PKlPlN2at6native12_GLOBAL__N_18offset_tEEE10hipError_tPvRmT1_PNSt15iterator_traitsIS13_E10value_typeET2_T3_PNS14_IS19_E10value_typeET4_jRbjT5_S1F_jjP12ihipStream_tbEUljE_ZNSN_ISO_Lb0ESR_SS_SU_SV_SZ_EES10_S11_S12_S13_S17_S18_S19_S1C_S1D_jS1E_jS1F_S1F_jjS1H_bEUljE0_EEES10_S11_S12_S19_S1D_S1F_T6_T7_T9_mT8_S1H_bDpT10_ENKUlT_T0_E_clISt17integral_constantIbLb0EES1V_EEDaS1Q_S1R_EUlS1Q_E_NS1_11comp_targetILNS1_3genE2ELNS1_11target_archE906ELNS1_3gpuE6ELNS1_3repE0EEENS1_30default_config_static_selectorELNS0_4arch9wavefront6targetE1EEEvS13_
                                        ; -- End function
	.set _ZN7rocprim17ROCPRIM_400000_NS6detail17trampoline_kernelINS0_13select_configILj256ELj13ELNS0_17block_load_methodE3ELS4_3ELS4_3ELNS0_20block_scan_algorithmE0ELj4294967295EEENS1_25partition_config_selectorILNS1_17partition_subalgoE4EjNS0_10empty_typeEbEEZZNS1_14partition_implILS8_4ELb0ES6_15HIP_vector_typeIjLj2EENS0_17counting_iteratorIjlEEPS9_SG_NS0_5tupleIJPjSI_NS0_16reverse_iteratorISI_EEEEENSH_IJSG_SG_SG_EEES9_SI_JZNS1_25segmented_radix_sort_implINS0_14default_configELb0EPK6__halfPSP_PKlPlN2at6native12_GLOBAL__N_18offset_tEEE10hipError_tPvRmT1_PNSt15iterator_traitsIS13_E10value_typeET2_T3_PNS14_IS19_E10value_typeET4_jRbjT5_S1F_jjP12ihipStream_tbEUljE_ZNSN_ISO_Lb0ESR_SS_SU_SV_SZ_EES10_S11_S12_S13_S17_S18_S19_S1C_S1D_jS1E_jS1F_S1F_jjS1H_bEUljE0_EEES10_S11_S12_S19_S1D_S1F_T6_T7_T9_mT8_S1H_bDpT10_ENKUlT_T0_E_clISt17integral_constantIbLb0EES1V_EEDaS1Q_S1R_EUlS1Q_E_NS1_11comp_targetILNS1_3genE2ELNS1_11target_archE906ELNS1_3gpuE6ELNS1_3repE0EEENS1_30default_config_static_selectorELNS0_4arch9wavefront6targetE1EEEvS13_.num_vgpr, 86
	.set _ZN7rocprim17ROCPRIM_400000_NS6detail17trampoline_kernelINS0_13select_configILj256ELj13ELNS0_17block_load_methodE3ELS4_3ELS4_3ELNS0_20block_scan_algorithmE0ELj4294967295EEENS1_25partition_config_selectorILNS1_17partition_subalgoE4EjNS0_10empty_typeEbEEZZNS1_14partition_implILS8_4ELb0ES6_15HIP_vector_typeIjLj2EENS0_17counting_iteratorIjlEEPS9_SG_NS0_5tupleIJPjSI_NS0_16reverse_iteratorISI_EEEEENSH_IJSG_SG_SG_EEES9_SI_JZNS1_25segmented_radix_sort_implINS0_14default_configELb0EPK6__halfPSP_PKlPlN2at6native12_GLOBAL__N_18offset_tEEE10hipError_tPvRmT1_PNSt15iterator_traitsIS13_E10value_typeET2_T3_PNS14_IS19_E10value_typeET4_jRbjT5_S1F_jjP12ihipStream_tbEUljE_ZNSN_ISO_Lb0ESR_SS_SU_SV_SZ_EES10_S11_S12_S13_S17_S18_S19_S1C_S1D_jS1E_jS1F_S1F_jjS1H_bEUljE0_EEES10_S11_S12_S19_S1D_S1F_T6_T7_T9_mT8_S1H_bDpT10_ENKUlT_T0_E_clISt17integral_constantIbLb0EES1V_EEDaS1Q_S1R_EUlS1Q_E_NS1_11comp_targetILNS1_3genE2ELNS1_11target_archE906ELNS1_3gpuE6ELNS1_3repE0EEENS1_30default_config_static_selectorELNS0_4arch9wavefront6targetE1EEEvS13_.num_agpr, 0
	.set _ZN7rocprim17ROCPRIM_400000_NS6detail17trampoline_kernelINS0_13select_configILj256ELj13ELNS0_17block_load_methodE3ELS4_3ELS4_3ELNS0_20block_scan_algorithmE0ELj4294967295EEENS1_25partition_config_selectorILNS1_17partition_subalgoE4EjNS0_10empty_typeEbEEZZNS1_14partition_implILS8_4ELb0ES6_15HIP_vector_typeIjLj2EENS0_17counting_iteratorIjlEEPS9_SG_NS0_5tupleIJPjSI_NS0_16reverse_iteratorISI_EEEEENSH_IJSG_SG_SG_EEES9_SI_JZNS1_25segmented_radix_sort_implINS0_14default_configELb0EPK6__halfPSP_PKlPlN2at6native12_GLOBAL__N_18offset_tEEE10hipError_tPvRmT1_PNSt15iterator_traitsIS13_E10value_typeET2_T3_PNS14_IS19_E10value_typeET4_jRbjT5_S1F_jjP12ihipStream_tbEUljE_ZNSN_ISO_Lb0ESR_SS_SU_SV_SZ_EES10_S11_S12_S13_S17_S18_S19_S1C_S1D_jS1E_jS1F_S1F_jjS1H_bEUljE0_EEES10_S11_S12_S19_S1D_S1F_T6_T7_T9_mT8_S1H_bDpT10_ENKUlT_T0_E_clISt17integral_constantIbLb0EES1V_EEDaS1Q_S1R_EUlS1Q_E_NS1_11comp_targetILNS1_3genE2ELNS1_11target_archE906ELNS1_3gpuE6ELNS1_3repE0EEENS1_30default_config_static_selectorELNS0_4arch9wavefront6targetE1EEEvS13_.numbered_sgpr, 90
	.set _ZN7rocprim17ROCPRIM_400000_NS6detail17trampoline_kernelINS0_13select_configILj256ELj13ELNS0_17block_load_methodE3ELS4_3ELS4_3ELNS0_20block_scan_algorithmE0ELj4294967295EEENS1_25partition_config_selectorILNS1_17partition_subalgoE4EjNS0_10empty_typeEbEEZZNS1_14partition_implILS8_4ELb0ES6_15HIP_vector_typeIjLj2EENS0_17counting_iteratorIjlEEPS9_SG_NS0_5tupleIJPjSI_NS0_16reverse_iteratorISI_EEEEENSH_IJSG_SG_SG_EEES9_SI_JZNS1_25segmented_radix_sort_implINS0_14default_configELb0EPK6__halfPSP_PKlPlN2at6native12_GLOBAL__N_18offset_tEEE10hipError_tPvRmT1_PNSt15iterator_traitsIS13_E10value_typeET2_T3_PNS14_IS19_E10value_typeET4_jRbjT5_S1F_jjP12ihipStream_tbEUljE_ZNSN_ISO_Lb0ESR_SS_SU_SV_SZ_EES10_S11_S12_S13_S17_S18_S19_S1C_S1D_jS1E_jS1F_S1F_jjS1H_bEUljE0_EEES10_S11_S12_S19_S1D_S1F_T6_T7_T9_mT8_S1H_bDpT10_ENKUlT_T0_E_clISt17integral_constantIbLb0EES1V_EEDaS1Q_S1R_EUlS1Q_E_NS1_11comp_targetILNS1_3genE2ELNS1_11target_archE906ELNS1_3gpuE6ELNS1_3repE0EEENS1_30default_config_static_selectorELNS0_4arch9wavefront6targetE1EEEvS13_.num_named_barrier, 0
	.set _ZN7rocprim17ROCPRIM_400000_NS6detail17trampoline_kernelINS0_13select_configILj256ELj13ELNS0_17block_load_methodE3ELS4_3ELS4_3ELNS0_20block_scan_algorithmE0ELj4294967295EEENS1_25partition_config_selectorILNS1_17partition_subalgoE4EjNS0_10empty_typeEbEEZZNS1_14partition_implILS8_4ELb0ES6_15HIP_vector_typeIjLj2EENS0_17counting_iteratorIjlEEPS9_SG_NS0_5tupleIJPjSI_NS0_16reverse_iteratorISI_EEEEENSH_IJSG_SG_SG_EEES9_SI_JZNS1_25segmented_radix_sort_implINS0_14default_configELb0EPK6__halfPSP_PKlPlN2at6native12_GLOBAL__N_18offset_tEEE10hipError_tPvRmT1_PNSt15iterator_traitsIS13_E10value_typeET2_T3_PNS14_IS19_E10value_typeET4_jRbjT5_S1F_jjP12ihipStream_tbEUljE_ZNSN_ISO_Lb0ESR_SS_SU_SV_SZ_EES10_S11_S12_S13_S17_S18_S19_S1C_S1D_jS1E_jS1F_S1F_jjS1H_bEUljE0_EEES10_S11_S12_S19_S1D_S1F_T6_T7_T9_mT8_S1H_bDpT10_ENKUlT_T0_E_clISt17integral_constantIbLb0EES1V_EEDaS1Q_S1R_EUlS1Q_E_NS1_11comp_targetILNS1_3genE2ELNS1_11target_archE906ELNS1_3gpuE6ELNS1_3repE0EEENS1_30default_config_static_selectorELNS0_4arch9wavefront6targetE1EEEvS13_.private_seg_size, 0
	.set _ZN7rocprim17ROCPRIM_400000_NS6detail17trampoline_kernelINS0_13select_configILj256ELj13ELNS0_17block_load_methodE3ELS4_3ELS4_3ELNS0_20block_scan_algorithmE0ELj4294967295EEENS1_25partition_config_selectorILNS1_17partition_subalgoE4EjNS0_10empty_typeEbEEZZNS1_14partition_implILS8_4ELb0ES6_15HIP_vector_typeIjLj2EENS0_17counting_iteratorIjlEEPS9_SG_NS0_5tupleIJPjSI_NS0_16reverse_iteratorISI_EEEEENSH_IJSG_SG_SG_EEES9_SI_JZNS1_25segmented_radix_sort_implINS0_14default_configELb0EPK6__halfPSP_PKlPlN2at6native12_GLOBAL__N_18offset_tEEE10hipError_tPvRmT1_PNSt15iterator_traitsIS13_E10value_typeET2_T3_PNS14_IS19_E10value_typeET4_jRbjT5_S1F_jjP12ihipStream_tbEUljE_ZNSN_ISO_Lb0ESR_SS_SU_SV_SZ_EES10_S11_S12_S13_S17_S18_S19_S1C_S1D_jS1E_jS1F_S1F_jjS1H_bEUljE0_EEES10_S11_S12_S19_S1D_S1F_T6_T7_T9_mT8_S1H_bDpT10_ENKUlT_T0_E_clISt17integral_constantIbLb0EES1V_EEDaS1Q_S1R_EUlS1Q_E_NS1_11comp_targetILNS1_3genE2ELNS1_11target_archE906ELNS1_3gpuE6ELNS1_3repE0EEENS1_30default_config_static_selectorELNS0_4arch9wavefront6targetE1EEEvS13_.uses_vcc, 1
	.set _ZN7rocprim17ROCPRIM_400000_NS6detail17trampoline_kernelINS0_13select_configILj256ELj13ELNS0_17block_load_methodE3ELS4_3ELS4_3ELNS0_20block_scan_algorithmE0ELj4294967295EEENS1_25partition_config_selectorILNS1_17partition_subalgoE4EjNS0_10empty_typeEbEEZZNS1_14partition_implILS8_4ELb0ES6_15HIP_vector_typeIjLj2EENS0_17counting_iteratorIjlEEPS9_SG_NS0_5tupleIJPjSI_NS0_16reverse_iteratorISI_EEEEENSH_IJSG_SG_SG_EEES9_SI_JZNS1_25segmented_radix_sort_implINS0_14default_configELb0EPK6__halfPSP_PKlPlN2at6native12_GLOBAL__N_18offset_tEEE10hipError_tPvRmT1_PNSt15iterator_traitsIS13_E10value_typeET2_T3_PNS14_IS19_E10value_typeET4_jRbjT5_S1F_jjP12ihipStream_tbEUljE_ZNSN_ISO_Lb0ESR_SS_SU_SV_SZ_EES10_S11_S12_S13_S17_S18_S19_S1C_S1D_jS1E_jS1F_S1F_jjS1H_bEUljE0_EEES10_S11_S12_S19_S1D_S1F_T6_T7_T9_mT8_S1H_bDpT10_ENKUlT_T0_E_clISt17integral_constantIbLb0EES1V_EEDaS1Q_S1R_EUlS1Q_E_NS1_11comp_targetILNS1_3genE2ELNS1_11target_archE906ELNS1_3gpuE6ELNS1_3repE0EEENS1_30default_config_static_selectorELNS0_4arch9wavefront6targetE1EEEvS13_.uses_flat_scratch, 0
	.set _ZN7rocprim17ROCPRIM_400000_NS6detail17trampoline_kernelINS0_13select_configILj256ELj13ELNS0_17block_load_methodE3ELS4_3ELS4_3ELNS0_20block_scan_algorithmE0ELj4294967295EEENS1_25partition_config_selectorILNS1_17partition_subalgoE4EjNS0_10empty_typeEbEEZZNS1_14partition_implILS8_4ELb0ES6_15HIP_vector_typeIjLj2EENS0_17counting_iteratorIjlEEPS9_SG_NS0_5tupleIJPjSI_NS0_16reverse_iteratorISI_EEEEENSH_IJSG_SG_SG_EEES9_SI_JZNS1_25segmented_radix_sort_implINS0_14default_configELb0EPK6__halfPSP_PKlPlN2at6native12_GLOBAL__N_18offset_tEEE10hipError_tPvRmT1_PNSt15iterator_traitsIS13_E10value_typeET2_T3_PNS14_IS19_E10value_typeET4_jRbjT5_S1F_jjP12ihipStream_tbEUljE_ZNSN_ISO_Lb0ESR_SS_SU_SV_SZ_EES10_S11_S12_S13_S17_S18_S19_S1C_S1D_jS1E_jS1F_S1F_jjS1H_bEUljE0_EEES10_S11_S12_S19_S1D_S1F_T6_T7_T9_mT8_S1H_bDpT10_ENKUlT_T0_E_clISt17integral_constantIbLb0EES1V_EEDaS1Q_S1R_EUlS1Q_E_NS1_11comp_targetILNS1_3genE2ELNS1_11target_archE906ELNS1_3gpuE6ELNS1_3repE0EEENS1_30default_config_static_selectorELNS0_4arch9wavefront6targetE1EEEvS13_.has_dyn_sized_stack, 0
	.set _ZN7rocprim17ROCPRIM_400000_NS6detail17trampoline_kernelINS0_13select_configILj256ELj13ELNS0_17block_load_methodE3ELS4_3ELS4_3ELNS0_20block_scan_algorithmE0ELj4294967295EEENS1_25partition_config_selectorILNS1_17partition_subalgoE4EjNS0_10empty_typeEbEEZZNS1_14partition_implILS8_4ELb0ES6_15HIP_vector_typeIjLj2EENS0_17counting_iteratorIjlEEPS9_SG_NS0_5tupleIJPjSI_NS0_16reverse_iteratorISI_EEEEENSH_IJSG_SG_SG_EEES9_SI_JZNS1_25segmented_radix_sort_implINS0_14default_configELb0EPK6__halfPSP_PKlPlN2at6native12_GLOBAL__N_18offset_tEEE10hipError_tPvRmT1_PNSt15iterator_traitsIS13_E10value_typeET2_T3_PNS14_IS19_E10value_typeET4_jRbjT5_S1F_jjP12ihipStream_tbEUljE_ZNSN_ISO_Lb0ESR_SS_SU_SV_SZ_EES10_S11_S12_S13_S17_S18_S19_S1C_S1D_jS1E_jS1F_S1F_jjS1H_bEUljE0_EEES10_S11_S12_S19_S1D_S1F_T6_T7_T9_mT8_S1H_bDpT10_ENKUlT_T0_E_clISt17integral_constantIbLb0EES1V_EEDaS1Q_S1R_EUlS1Q_E_NS1_11comp_targetILNS1_3genE2ELNS1_11target_archE906ELNS1_3gpuE6ELNS1_3repE0EEENS1_30default_config_static_selectorELNS0_4arch9wavefront6targetE1EEEvS13_.has_recursion, 0
	.set _ZN7rocprim17ROCPRIM_400000_NS6detail17trampoline_kernelINS0_13select_configILj256ELj13ELNS0_17block_load_methodE3ELS4_3ELS4_3ELNS0_20block_scan_algorithmE0ELj4294967295EEENS1_25partition_config_selectorILNS1_17partition_subalgoE4EjNS0_10empty_typeEbEEZZNS1_14partition_implILS8_4ELb0ES6_15HIP_vector_typeIjLj2EENS0_17counting_iteratorIjlEEPS9_SG_NS0_5tupleIJPjSI_NS0_16reverse_iteratorISI_EEEEENSH_IJSG_SG_SG_EEES9_SI_JZNS1_25segmented_radix_sort_implINS0_14default_configELb0EPK6__halfPSP_PKlPlN2at6native12_GLOBAL__N_18offset_tEEE10hipError_tPvRmT1_PNSt15iterator_traitsIS13_E10value_typeET2_T3_PNS14_IS19_E10value_typeET4_jRbjT5_S1F_jjP12ihipStream_tbEUljE_ZNSN_ISO_Lb0ESR_SS_SU_SV_SZ_EES10_S11_S12_S13_S17_S18_S19_S1C_S1D_jS1E_jS1F_S1F_jjS1H_bEUljE0_EEES10_S11_S12_S19_S1D_S1F_T6_T7_T9_mT8_S1H_bDpT10_ENKUlT_T0_E_clISt17integral_constantIbLb0EES1V_EEDaS1Q_S1R_EUlS1Q_E_NS1_11comp_targetILNS1_3genE2ELNS1_11target_archE906ELNS1_3gpuE6ELNS1_3repE0EEENS1_30default_config_static_selectorELNS0_4arch9wavefront6targetE1EEEvS13_.has_indirect_call, 0
	.section	.AMDGPU.csdata,"",@progbits
; Kernel info:
; codeLenInByte = 15480
; TotalNumSgprs: 94
; NumVgprs: 86
; ScratchSize: 0
; MemoryBound: 0
; FloatMode: 240
; IeeeMode: 1
; LDSByteSize: 13328 bytes/workgroup (compile time only)
; SGPRBlocks: 12
; VGPRBlocks: 21
; NumSGPRsForWavesPerEU: 102
; NumVGPRsForWavesPerEU: 86
; Occupancy: 2
; WaveLimiterHint : 1
; COMPUTE_PGM_RSRC2:SCRATCH_EN: 0
; COMPUTE_PGM_RSRC2:USER_SGPR: 6
; COMPUTE_PGM_RSRC2:TRAP_HANDLER: 0
; COMPUTE_PGM_RSRC2:TGID_X_EN: 1
; COMPUTE_PGM_RSRC2:TGID_Y_EN: 0
; COMPUTE_PGM_RSRC2:TGID_Z_EN: 0
; COMPUTE_PGM_RSRC2:TIDIG_COMP_CNT: 0
	.section	.text._ZN7rocprim17ROCPRIM_400000_NS6detail17trampoline_kernelINS0_13select_configILj256ELj13ELNS0_17block_load_methodE3ELS4_3ELS4_3ELNS0_20block_scan_algorithmE0ELj4294967295EEENS1_25partition_config_selectorILNS1_17partition_subalgoE4EjNS0_10empty_typeEbEEZZNS1_14partition_implILS8_4ELb0ES6_15HIP_vector_typeIjLj2EENS0_17counting_iteratorIjlEEPS9_SG_NS0_5tupleIJPjSI_NS0_16reverse_iteratorISI_EEEEENSH_IJSG_SG_SG_EEES9_SI_JZNS1_25segmented_radix_sort_implINS0_14default_configELb0EPK6__halfPSP_PKlPlN2at6native12_GLOBAL__N_18offset_tEEE10hipError_tPvRmT1_PNSt15iterator_traitsIS13_E10value_typeET2_T3_PNS14_IS19_E10value_typeET4_jRbjT5_S1F_jjP12ihipStream_tbEUljE_ZNSN_ISO_Lb0ESR_SS_SU_SV_SZ_EES10_S11_S12_S13_S17_S18_S19_S1C_S1D_jS1E_jS1F_S1F_jjS1H_bEUljE0_EEES10_S11_S12_S19_S1D_S1F_T6_T7_T9_mT8_S1H_bDpT10_ENKUlT_T0_E_clISt17integral_constantIbLb0EES1V_EEDaS1Q_S1R_EUlS1Q_E_NS1_11comp_targetILNS1_3genE10ELNS1_11target_archE1200ELNS1_3gpuE4ELNS1_3repE0EEENS1_30default_config_static_selectorELNS0_4arch9wavefront6targetE1EEEvS13_,"axG",@progbits,_ZN7rocprim17ROCPRIM_400000_NS6detail17trampoline_kernelINS0_13select_configILj256ELj13ELNS0_17block_load_methodE3ELS4_3ELS4_3ELNS0_20block_scan_algorithmE0ELj4294967295EEENS1_25partition_config_selectorILNS1_17partition_subalgoE4EjNS0_10empty_typeEbEEZZNS1_14partition_implILS8_4ELb0ES6_15HIP_vector_typeIjLj2EENS0_17counting_iteratorIjlEEPS9_SG_NS0_5tupleIJPjSI_NS0_16reverse_iteratorISI_EEEEENSH_IJSG_SG_SG_EEES9_SI_JZNS1_25segmented_radix_sort_implINS0_14default_configELb0EPK6__halfPSP_PKlPlN2at6native12_GLOBAL__N_18offset_tEEE10hipError_tPvRmT1_PNSt15iterator_traitsIS13_E10value_typeET2_T3_PNS14_IS19_E10value_typeET4_jRbjT5_S1F_jjP12ihipStream_tbEUljE_ZNSN_ISO_Lb0ESR_SS_SU_SV_SZ_EES10_S11_S12_S13_S17_S18_S19_S1C_S1D_jS1E_jS1F_S1F_jjS1H_bEUljE0_EEES10_S11_S12_S19_S1D_S1F_T6_T7_T9_mT8_S1H_bDpT10_ENKUlT_T0_E_clISt17integral_constantIbLb0EES1V_EEDaS1Q_S1R_EUlS1Q_E_NS1_11comp_targetILNS1_3genE10ELNS1_11target_archE1200ELNS1_3gpuE4ELNS1_3repE0EEENS1_30default_config_static_selectorELNS0_4arch9wavefront6targetE1EEEvS13_,comdat
	.globl	_ZN7rocprim17ROCPRIM_400000_NS6detail17trampoline_kernelINS0_13select_configILj256ELj13ELNS0_17block_load_methodE3ELS4_3ELS4_3ELNS0_20block_scan_algorithmE0ELj4294967295EEENS1_25partition_config_selectorILNS1_17partition_subalgoE4EjNS0_10empty_typeEbEEZZNS1_14partition_implILS8_4ELb0ES6_15HIP_vector_typeIjLj2EENS0_17counting_iteratorIjlEEPS9_SG_NS0_5tupleIJPjSI_NS0_16reverse_iteratorISI_EEEEENSH_IJSG_SG_SG_EEES9_SI_JZNS1_25segmented_radix_sort_implINS0_14default_configELb0EPK6__halfPSP_PKlPlN2at6native12_GLOBAL__N_18offset_tEEE10hipError_tPvRmT1_PNSt15iterator_traitsIS13_E10value_typeET2_T3_PNS14_IS19_E10value_typeET4_jRbjT5_S1F_jjP12ihipStream_tbEUljE_ZNSN_ISO_Lb0ESR_SS_SU_SV_SZ_EES10_S11_S12_S13_S17_S18_S19_S1C_S1D_jS1E_jS1F_S1F_jjS1H_bEUljE0_EEES10_S11_S12_S19_S1D_S1F_T6_T7_T9_mT8_S1H_bDpT10_ENKUlT_T0_E_clISt17integral_constantIbLb0EES1V_EEDaS1Q_S1R_EUlS1Q_E_NS1_11comp_targetILNS1_3genE10ELNS1_11target_archE1200ELNS1_3gpuE4ELNS1_3repE0EEENS1_30default_config_static_selectorELNS0_4arch9wavefront6targetE1EEEvS13_ ; -- Begin function _ZN7rocprim17ROCPRIM_400000_NS6detail17trampoline_kernelINS0_13select_configILj256ELj13ELNS0_17block_load_methodE3ELS4_3ELS4_3ELNS0_20block_scan_algorithmE0ELj4294967295EEENS1_25partition_config_selectorILNS1_17partition_subalgoE4EjNS0_10empty_typeEbEEZZNS1_14partition_implILS8_4ELb0ES6_15HIP_vector_typeIjLj2EENS0_17counting_iteratorIjlEEPS9_SG_NS0_5tupleIJPjSI_NS0_16reverse_iteratorISI_EEEEENSH_IJSG_SG_SG_EEES9_SI_JZNS1_25segmented_radix_sort_implINS0_14default_configELb0EPK6__halfPSP_PKlPlN2at6native12_GLOBAL__N_18offset_tEEE10hipError_tPvRmT1_PNSt15iterator_traitsIS13_E10value_typeET2_T3_PNS14_IS19_E10value_typeET4_jRbjT5_S1F_jjP12ihipStream_tbEUljE_ZNSN_ISO_Lb0ESR_SS_SU_SV_SZ_EES10_S11_S12_S13_S17_S18_S19_S1C_S1D_jS1E_jS1F_S1F_jjS1H_bEUljE0_EEES10_S11_S12_S19_S1D_S1F_T6_T7_T9_mT8_S1H_bDpT10_ENKUlT_T0_E_clISt17integral_constantIbLb0EES1V_EEDaS1Q_S1R_EUlS1Q_E_NS1_11comp_targetILNS1_3genE10ELNS1_11target_archE1200ELNS1_3gpuE4ELNS1_3repE0EEENS1_30default_config_static_selectorELNS0_4arch9wavefront6targetE1EEEvS13_
	.p2align	8
	.type	_ZN7rocprim17ROCPRIM_400000_NS6detail17trampoline_kernelINS0_13select_configILj256ELj13ELNS0_17block_load_methodE3ELS4_3ELS4_3ELNS0_20block_scan_algorithmE0ELj4294967295EEENS1_25partition_config_selectorILNS1_17partition_subalgoE4EjNS0_10empty_typeEbEEZZNS1_14partition_implILS8_4ELb0ES6_15HIP_vector_typeIjLj2EENS0_17counting_iteratorIjlEEPS9_SG_NS0_5tupleIJPjSI_NS0_16reverse_iteratorISI_EEEEENSH_IJSG_SG_SG_EEES9_SI_JZNS1_25segmented_radix_sort_implINS0_14default_configELb0EPK6__halfPSP_PKlPlN2at6native12_GLOBAL__N_18offset_tEEE10hipError_tPvRmT1_PNSt15iterator_traitsIS13_E10value_typeET2_T3_PNS14_IS19_E10value_typeET4_jRbjT5_S1F_jjP12ihipStream_tbEUljE_ZNSN_ISO_Lb0ESR_SS_SU_SV_SZ_EES10_S11_S12_S13_S17_S18_S19_S1C_S1D_jS1E_jS1F_S1F_jjS1H_bEUljE0_EEES10_S11_S12_S19_S1D_S1F_T6_T7_T9_mT8_S1H_bDpT10_ENKUlT_T0_E_clISt17integral_constantIbLb0EES1V_EEDaS1Q_S1R_EUlS1Q_E_NS1_11comp_targetILNS1_3genE10ELNS1_11target_archE1200ELNS1_3gpuE4ELNS1_3repE0EEENS1_30default_config_static_selectorELNS0_4arch9wavefront6targetE1EEEvS13_,@function
_ZN7rocprim17ROCPRIM_400000_NS6detail17trampoline_kernelINS0_13select_configILj256ELj13ELNS0_17block_load_methodE3ELS4_3ELS4_3ELNS0_20block_scan_algorithmE0ELj4294967295EEENS1_25partition_config_selectorILNS1_17partition_subalgoE4EjNS0_10empty_typeEbEEZZNS1_14partition_implILS8_4ELb0ES6_15HIP_vector_typeIjLj2EENS0_17counting_iteratorIjlEEPS9_SG_NS0_5tupleIJPjSI_NS0_16reverse_iteratorISI_EEEEENSH_IJSG_SG_SG_EEES9_SI_JZNS1_25segmented_radix_sort_implINS0_14default_configELb0EPK6__halfPSP_PKlPlN2at6native12_GLOBAL__N_18offset_tEEE10hipError_tPvRmT1_PNSt15iterator_traitsIS13_E10value_typeET2_T3_PNS14_IS19_E10value_typeET4_jRbjT5_S1F_jjP12ihipStream_tbEUljE_ZNSN_ISO_Lb0ESR_SS_SU_SV_SZ_EES10_S11_S12_S13_S17_S18_S19_S1C_S1D_jS1E_jS1F_S1F_jjS1H_bEUljE0_EEES10_S11_S12_S19_S1D_S1F_T6_T7_T9_mT8_S1H_bDpT10_ENKUlT_T0_E_clISt17integral_constantIbLb0EES1V_EEDaS1Q_S1R_EUlS1Q_E_NS1_11comp_targetILNS1_3genE10ELNS1_11target_archE1200ELNS1_3gpuE4ELNS1_3repE0EEENS1_30default_config_static_selectorELNS0_4arch9wavefront6targetE1EEEvS13_: ; @_ZN7rocprim17ROCPRIM_400000_NS6detail17trampoline_kernelINS0_13select_configILj256ELj13ELNS0_17block_load_methodE3ELS4_3ELS4_3ELNS0_20block_scan_algorithmE0ELj4294967295EEENS1_25partition_config_selectorILNS1_17partition_subalgoE4EjNS0_10empty_typeEbEEZZNS1_14partition_implILS8_4ELb0ES6_15HIP_vector_typeIjLj2EENS0_17counting_iteratorIjlEEPS9_SG_NS0_5tupleIJPjSI_NS0_16reverse_iteratorISI_EEEEENSH_IJSG_SG_SG_EEES9_SI_JZNS1_25segmented_radix_sort_implINS0_14default_configELb0EPK6__halfPSP_PKlPlN2at6native12_GLOBAL__N_18offset_tEEE10hipError_tPvRmT1_PNSt15iterator_traitsIS13_E10value_typeET2_T3_PNS14_IS19_E10value_typeET4_jRbjT5_S1F_jjP12ihipStream_tbEUljE_ZNSN_ISO_Lb0ESR_SS_SU_SV_SZ_EES10_S11_S12_S13_S17_S18_S19_S1C_S1D_jS1E_jS1F_S1F_jjS1H_bEUljE0_EEES10_S11_S12_S19_S1D_S1F_T6_T7_T9_mT8_S1H_bDpT10_ENKUlT_T0_E_clISt17integral_constantIbLb0EES1V_EEDaS1Q_S1R_EUlS1Q_E_NS1_11comp_targetILNS1_3genE10ELNS1_11target_archE1200ELNS1_3gpuE4ELNS1_3repE0EEENS1_30default_config_static_selectorELNS0_4arch9wavefront6targetE1EEEvS13_
; %bb.0:
	.section	.rodata,"a",@progbits
	.p2align	6, 0x0
	.amdhsa_kernel _ZN7rocprim17ROCPRIM_400000_NS6detail17trampoline_kernelINS0_13select_configILj256ELj13ELNS0_17block_load_methodE3ELS4_3ELS4_3ELNS0_20block_scan_algorithmE0ELj4294967295EEENS1_25partition_config_selectorILNS1_17partition_subalgoE4EjNS0_10empty_typeEbEEZZNS1_14partition_implILS8_4ELb0ES6_15HIP_vector_typeIjLj2EENS0_17counting_iteratorIjlEEPS9_SG_NS0_5tupleIJPjSI_NS0_16reverse_iteratorISI_EEEEENSH_IJSG_SG_SG_EEES9_SI_JZNS1_25segmented_radix_sort_implINS0_14default_configELb0EPK6__halfPSP_PKlPlN2at6native12_GLOBAL__N_18offset_tEEE10hipError_tPvRmT1_PNSt15iterator_traitsIS13_E10value_typeET2_T3_PNS14_IS19_E10value_typeET4_jRbjT5_S1F_jjP12ihipStream_tbEUljE_ZNSN_ISO_Lb0ESR_SS_SU_SV_SZ_EES10_S11_S12_S13_S17_S18_S19_S1C_S1D_jS1E_jS1F_S1F_jjS1H_bEUljE0_EEES10_S11_S12_S19_S1D_S1F_T6_T7_T9_mT8_S1H_bDpT10_ENKUlT_T0_E_clISt17integral_constantIbLb0EES1V_EEDaS1Q_S1R_EUlS1Q_E_NS1_11comp_targetILNS1_3genE10ELNS1_11target_archE1200ELNS1_3gpuE4ELNS1_3repE0EEENS1_30default_config_static_selectorELNS0_4arch9wavefront6targetE1EEEvS13_
		.amdhsa_group_segment_fixed_size 0
		.amdhsa_private_segment_fixed_size 0
		.amdhsa_kernarg_size 176
		.amdhsa_user_sgpr_count 6
		.amdhsa_user_sgpr_private_segment_buffer 1
		.amdhsa_user_sgpr_dispatch_ptr 0
		.amdhsa_user_sgpr_queue_ptr 0
		.amdhsa_user_sgpr_kernarg_segment_ptr 1
		.amdhsa_user_sgpr_dispatch_id 0
		.amdhsa_user_sgpr_flat_scratch_init 0
		.amdhsa_user_sgpr_private_segment_size 0
		.amdhsa_uses_dynamic_stack 0
		.amdhsa_system_sgpr_private_segment_wavefront_offset 0
		.amdhsa_system_sgpr_workgroup_id_x 1
		.amdhsa_system_sgpr_workgroup_id_y 0
		.amdhsa_system_sgpr_workgroup_id_z 0
		.amdhsa_system_sgpr_workgroup_info 0
		.amdhsa_system_vgpr_workitem_id 0
		.amdhsa_next_free_vgpr 1
		.amdhsa_next_free_sgpr 0
		.amdhsa_reserve_vcc 0
		.amdhsa_reserve_flat_scratch 0
		.amdhsa_float_round_mode_32 0
		.amdhsa_float_round_mode_16_64 0
		.amdhsa_float_denorm_mode_32 3
		.amdhsa_float_denorm_mode_16_64 3
		.amdhsa_dx10_clamp 1
		.amdhsa_ieee_mode 1
		.amdhsa_fp16_overflow 0
		.amdhsa_exception_fp_ieee_invalid_op 0
		.amdhsa_exception_fp_denorm_src 0
		.amdhsa_exception_fp_ieee_div_zero 0
		.amdhsa_exception_fp_ieee_overflow 0
		.amdhsa_exception_fp_ieee_underflow 0
		.amdhsa_exception_fp_ieee_inexact 0
		.amdhsa_exception_int_div_zero 0
	.end_amdhsa_kernel
	.section	.text._ZN7rocprim17ROCPRIM_400000_NS6detail17trampoline_kernelINS0_13select_configILj256ELj13ELNS0_17block_load_methodE3ELS4_3ELS4_3ELNS0_20block_scan_algorithmE0ELj4294967295EEENS1_25partition_config_selectorILNS1_17partition_subalgoE4EjNS0_10empty_typeEbEEZZNS1_14partition_implILS8_4ELb0ES6_15HIP_vector_typeIjLj2EENS0_17counting_iteratorIjlEEPS9_SG_NS0_5tupleIJPjSI_NS0_16reverse_iteratorISI_EEEEENSH_IJSG_SG_SG_EEES9_SI_JZNS1_25segmented_radix_sort_implINS0_14default_configELb0EPK6__halfPSP_PKlPlN2at6native12_GLOBAL__N_18offset_tEEE10hipError_tPvRmT1_PNSt15iterator_traitsIS13_E10value_typeET2_T3_PNS14_IS19_E10value_typeET4_jRbjT5_S1F_jjP12ihipStream_tbEUljE_ZNSN_ISO_Lb0ESR_SS_SU_SV_SZ_EES10_S11_S12_S13_S17_S18_S19_S1C_S1D_jS1E_jS1F_S1F_jjS1H_bEUljE0_EEES10_S11_S12_S19_S1D_S1F_T6_T7_T9_mT8_S1H_bDpT10_ENKUlT_T0_E_clISt17integral_constantIbLb0EES1V_EEDaS1Q_S1R_EUlS1Q_E_NS1_11comp_targetILNS1_3genE10ELNS1_11target_archE1200ELNS1_3gpuE4ELNS1_3repE0EEENS1_30default_config_static_selectorELNS0_4arch9wavefront6targetE1EEEvS13_,"axG",@progbits,_ZN7rocprim17ROCPRIM_400000_NS6detail17trampoline_kernelINS0_13select_configILj256ELj13ELNS0_17block_load_methodE3ELS4_3ELS4_3ELNS0_20block_scan_algorithmE0ELj4294967295EEENS1_25partition_config_selectorILNS1_17partition_subalgoE4EjNS0_10empty_typeEbEEZZNS1_14partition_implILS8_4ELb0ES6_15HIP_vector_typeIjLj2EENS0_17counting_iteratorIjlEEPS9_SG_NS0_5tupleIJPjSI_NS0_16reverse_iteratorISI_EEEEENSH_IJSG_SG_SG_EEES9_SI_JZNS1_25segmented_radix_sort_implINS0_14default_configELb0EPK6__halfPSP_PKlPlN2at6native12_GLOBAL__N_18offset_tEEE10hipError_tPvRmT1_PNSt15iterator_traitsIS13_E10value_typeET2_T3_PNS14_IS19_E10value_typeET4_jRbjT5_S1F_jjP12ihipStream_tbEUljE_ZNSN_ISO_Lb0ESR_SS_SU_SV_SZ_EES10_S11_S12_S13_S17_S18_S19_S1C_S1D_jS1E_jS1F_S1F_jjS1H_bEUljE0_EEES10_S11_S12_S19_S1D_S1F_T6_T7_T9_mT8_S1H_bDpT10_ENKUlT_T0_E_clISt17integral_constantIbLb0EES1V_EEDaS1Q_S1R_EUlS1Q_E_NS1_11comp_targetILNS1_3genE10ELNS1_11target_archE1200ELNS1_3gpuE4ELNS1_3repE0EEENS1_30default_config_static_selectorELNS0_4arch9wavefront6targetE1EEEvS13_,comdat
.Lfunc_end1783:
	.size	_ZN7rocprim17ROCPRIM_400000_NS6detail17trampoline_kernelINS0_13select_configILj256ELj13ELNS0_17block_load_methodE3ELS4_3ELS4_3ELNS0_20block_scan_algorithmE0ELj4294967295EEENS1_25partition_config_selectorILNS1_17partition_subalgoE4EjNS0_10empty_typeEbEEZZNS1_14partition_implILS8_4ELb0ES6_15HIP_vector_typeIjLj2EENS0_17counting_iteratorIjlEEPS9_SG_NS0_5tupleIJPjSI_NS0_16reverse_iteratorISI_EEEEENSH_IJSG_SG_SG_EEES9_SI_JZNS1_25segmented_radix_sort_implINS0_14default_configELb0EPK6__halfPSP_PKlPlN2at6native12_GLOBAL__N_18offset_tEEE10hipError_tPvRmT1_PNSt15iterator_traitsIS13_E10value_typeET2_T3_PNS14_IS19_E10value_typeET4_jRbjT5_S1F_jjP12ihipStream_tbEUljE_ZNSN_ISO_Lb0ESR_SS_SU_SV_SZ_EES10_S11_S12_S13_S17_S18_S19_S1C_S1D_jS1E_jS1F_S1F_jjS1H_bEUljE0_EEES10_S11_S12_S19_S1D_S1F_T6_T7_T9_mT8_S1H_bDpT10_ENKUlT_T0_E_clISt17integral_constantIbLb0EES1V_EEDaS1Q_S1R_EUlS1Q_E_NS1_11comp_targetILNS1_3genE10ELNS1_11target_archE1200ELNS1_3gpuE4ELNS1_3repE0EEENS1_30default_config_static_selectorELNS0_4arch9wavefront6targetE1EEEvS13_, .Lfunc_end1783-_ZN7rocprim17ROCPRIM_400000_NS6detail17trampoline_kernelINS0_13select_configILj256ELj13ELNS0_17block_load_methodE3ELS4_3ELS4_3ELNS0_20block_scan_algorithmE0ELj4294967295EEENS1_25partition_config_selectorILNS1_17partition_subalgoE4EjNS0_10empty_typeEbEEZZNS1_14partition_implILS8_4ELb0ES6_15HIP_vector_typeIjLj2EENS0_17counting_iteratorIjlEEPS9_SG_NS0_5tupleIJPjSI_NS0_16reverse_iteratorISI_EEEEENSH_IJSG_SG_SG_EEES9_SI_JZNS1_25segmented_radix_sort_implINS0_14default_configELb0EPK6__halfPSP_PKlPlN2at6native12_GLOBAL__N_18offset_tEEE10hipError_tPvRmT1_PNSt15iterator_traitsIS13_E10value_typeET2_T3_PNS14_IS19_E10value_typeET4_jRbjT5_S1F_jjP12ihipStream_tbEUljE_ZNSN_ISO_Lb0ESR_SS_SU_SV_SZ_EES10_S11_S12_S13_S17_S18_S19_S1C_S1D_jS1E_jS1F_S1F_jjS1H_bEUljE0_EEES10_S11_S12_S19_S1D_S1F_T6_T7_T9_mT8_S1H_bDpT10_ENKUlT_T0_E_clISt17integral_constantIbLb0EES1V_EEDaS1Q_S1R_EUlS1Q_E_NS1_11comp_targetILNS1_3genE10ELNS1_11target_archE1200ELNS1_3gpuE4ELNS1_3repE0EEENS1_30default_config_static_selectorELNS0_4arch9wavefront6targetE1EEEvS13_
                                        ; -- End function
	.set _ZN7rocprim17ROCPRIM_400000_NS6detail17trampoline_kernelINS0_13select_configILj256ELj13ELNS0_17block_load_methodE3ELS4_3ELS4_3ELNS0_20block_scan_algorithmE0ELj4294967295EEENS1_25partition_config_selectorILNS1_17partition_subalgoE4EjNS0_10empty_typeEbEEZZNS1_14partition_implILS8_4ELb0ES6_15HIP_vector_typeIjLj2EENS0_17counting_iteratorIjlEEPS9_SG_NS0_5tupleIJPjSI_NS0_16reverse_iteratorISI_EEEEENSH_IJSG_SG_SG_EEES9_SI_JZNS1_25segmented_radix_sort_implINS0_14default_configELb0EPK6__halfPSP_PKlPlN2at6native12_GLOBAL__N_18offset_tEEE10hipError_tPvRmT1_PNSt15iterator_traitsIS13_E10value_typeET2_T3_PNS14_IS19_E10value_typeET4_jRbjT5_S1F_jjP12ihipStream_tbEUljE_ZNSN_ISO_Lb0ESR_SS_SU_SV_SZ_EES10_S11_S12_S13_S17_S18_S19_S1C_S1D_jS1E_jS1F_S1F_jjS1H_bEUljE0_EEES10_S11_S12_S19_S1D_S1F_T6_T7_T9_mT8_S1H_bDpT10_ENKUlT_T0_E_clISt17integral_constantIbLb0EES1V_EEDaS1Q_S1R_EUlS1Q_E_NS1_11comp_targetILNS1_3genE10ELNS1_11target_archE1200ELNS1_3gpuE4ELNS1_3repE0EEENS1_30default_config_static_selectorELNS0_4arch9wavefront6targetE1EEEvS13_.num_vgpr, 0
	.set _ZN7rocprim17ROCPRIM_400000_NS6detail17trampoline_kernelINS0_13select_configILj256ELj13ELNS0_17block_load_methodE3ELS4_3ELS4_3ELNS0_20block_scan_algorithmE0ELj4294967295EEENS1_25partition_config_selectorILNS1_17partition_subalgoE4EjNS0_10empty_typeEbEEZZNS1_14partition_implILS8_4ELb0ES6_15HIP_vector_typeIjLj2EENS0_17counting_iteratorIjlEEPS9_SG_NS0_5tupleIJPjSI_NS0_16reverse_iteratorISI_EEEEENSH_IJSG_SG_SG_EEES9_SI_JZNS1_25segmented_radix_sort_implINS0_14default_configELb0EPK6__halfPSP_PKlPlN2at6native12_GLOBAL__N_18offset_tEEE10hipError_tPvRmT1_PNSt15iterator_traitsIS13_E10value_typeET2_T3_PNS14_IS19_E10value_typeET4_jRbjT5_S1F_jjP12ihipStream_tbEUljE_ZNSN_ISO_Lb0ESR_SS_SU_SV_SZ_EES10_S11_S12_S13_S17_S18_S19_S1C_S1D_jS1E_jS1F_S1F_jjS1H_bEUljE0_EEES10_S11_S12_S19_S1D_S1F_T6_T7_T9_mT8_S1H_bDpT10_ENKUlT_T0_E_clISt17integral_constantIbLb0EES1V_EEDaS1Q_S1R_EUlS1Q_E_NS1_11comp_targetILNS1_3genE10ELNS1_11target_archE1200ELNS1_3gpuE4ELNS1_3repE0EEENS1_30default_config_static_selectorELNS0_4arch9wavefront6targetE1EEEvS13_.num_agpr, 0
	.set _ZN7rocprim17ROCPRIM_400000_NS6detail17trampoline_kernelINS0_13select_configILj256ELj13ELNS0_17block_load_methodE3ELS4_3ELS4_3ELNS0_20block_scan_algorithmE0ELj4294967295EEENS1_25partition_config_selectorILNS1_17partition_subalgoE4EjNS0_10empty_typeEbEEZZNS1_14partition_implILS8_4ELb0ES6_15HIP_vector_typeIjLj2EENS0_17counting_iteratorIjlEEPS9_SG_NS0_5tupleIJPjSI_NS0_16reverse_iteratorISI_EEEEENSH_IJSG_SG_SG_EEES9_SI_JZNS1_25segmented_radix_sort_implINS0_14default_configELb0EPK6__halfPSP_PKlPlN2at6native12_GLOBAL__N_18offset_tEEE10hipError_tPvRmT1_PNSt15iterator_traitsIS13_E10value_typeET2_T3_PNS14_IS19_E10value_typeET4_jRbjT5_S1F_jjP12ihipStream_tbEUljE_ZNSN_ISO_Lb0ESR_SS_SU_SV_SZ_EES10_S11_S12_S13_S17_S18_S19_S1C_S1D_jS1E_jS1F_S1F_jjS1H_bEUljE0_EEES10_S11_S12_S19_S1D_S1F_T6_T7_T9_mT8_S1H_bDpT10_ENKUlT_T0_E_clISt17integral_constantIbLb0EES1V_EEDaS1Q_S1R_EUlS1Q_E_NS1_11comp_targetILNS1_3genE10ELNS1_11target_archE1200ELNS1_3gpuE4ELNS1_3repE0EEENS1_30default_config_static_selectorELNS0_4arch9wavefront6targetE1EEEvS13_.numbered_sgpr, 0
	.set _ZN7rocprim17ROCPRIM_400000_NS6detail17trampoline_kernelINS0_13select_configILj256ELj13ELNS0_17block_load_methodE3ELS4_3ELS4_3ELNS0_20block_scan_algorithmE0ELj4294967295EEENS1_25partition_config_selectorILNS1_17partition_subalgoE4EjNS0_10empty_typeEbEEZZNS1_14partition_implILS8_4ELb0ES6_15HIP_vector_typeIjLj2EENS0_17counting_iteratorIjlEEPS9_SG_NS0_5tupleIJPjSI_NS0_16reverse_iteratorISI_EEEEENSH_IJSG_SG_SG_EEES9_SI_JZNS1_25segmented_radix_sort_implINS0_14default_configELb0EPK6__halfPSP_PKlPlN2at6native12_GLOBAL__N_18offset_tEEE10hipError_tPvRmT1_PNSt15iterator_traitsIS13_E10value_typeET2_T3_PNS14_IS19_E10value_typeET4_jRbjT5_S1F_jjP12ihipStream_tbEUljE_ZNSN_ISO_Lb0ESR_SS_SU_SV_SZ_EES10_S11_S12_S13_S17_S18_S19_S1C_S1D_jS1E_jS1F_S1F_jjS1H_bEUljE0_EEES10_S11_S12_S19_S1D_S1F_T6_T7_T9_mT8_S1H_bDpT10_ENKUlT_T0_E_clISt17integral_constantIbLb0EES1V_EEDaS1Q_S1R_EUlS1Q_E_NS1_11comp_targetILNS1_3genE10ELNS1_11target_archE1200ELNS1_3gpuE4ELNS1_3repE0EEENS1_30default_config_static_selectorELNS0_4arch9wavefront6targetE1EEEvS13_.num_named_barrier, 0
	.set _ZN7rocprim17ROCPRIM_400000_NS6detail17trampoline_kernelINS0_13select_configILj256ELj13ELNS0_17block_load_methodE3ELS4_3ELS4_3ELNS0_20block_scan_algorithmE0ELj4294967295EEENS1_25partition_config_selectorILNS1_17partition_subalgoE4EjNS0_10empty_typeEbEEZZNS1_14partition_implILS8_4ELb0ES6_15HIP_vector_typeIjLj2EENS0_17counting_iteratorIjlEEPS9_SG_NS0_5tupleIJPjSI_NS0_16reverse_iteratorISI_EEEEENSH_IJSG_SG_SG_EEES9_SI_JZNS1_25segmented_radix_sort_implINS0_14default_configELb0EPK6__halfPSP_PKlPlN2at6native12_GLOBAL__N_18offset_tEEE10hipError_tPvRmT1_PNSt15iterator_traitsIS13_E10value_typeET2_T3_PNS14_IS19_E10value_typeET4_jRbjT5_S1F_jjP12ihipStream_tbEUljE_ZNSN_ISO_Lb0ESR_SS_SU_SV_SZ_EES10_S11_S12_S13_S17_S18_S19_S1C_S1D_jS1E_jS1F_S1F_jjS1H_bEUljE0_EEES10_S11_S12_S19_S1D_S1F_T6_T7_T9_mT8_S1H_bDpT10_ENKUlT_T0_E_clISt17integral_constantIbLb0EES1V_EEDaS1Q_S1R_EUlS1Q_E_NS1_11comp_targetILNS1_3genE10ELNS1_11target_archE1200ELNS1_3gpuE4ELNS1_3repE0EEENS1_30default_config_static_selectorELNS0_4arch9wavefront6targetE1EEEvS13_.private_seg_size, 0
	.set _ZN7rocprim17ROCPRIM_400000_NS6detail17trampoline_kernelINS0_13select_configILj256ELj13ELNS0_17block_load_methodE3ELS4_3ELS4_3ELNS0_20block_scan_algorithmE0ELj4294967295EEENS1_25partition_config_selectorILNS1_17partition_subalgoE4EjNS0_10empty_typeEbEEZZNS1_14partition_implILS8_4ELb0ES6_15HIP_vector_typeIjLj2EENS0_17counting_iteratorIjlEEPS9_SG_NS0_5tupleIJPjSI_NS0_16reverse_iteratorISI_EEEEENSH_IJSG_SG_SG_EEES9_SI_JZNS1_25segmented_radix_sort_implINS0_14default_configELb0EPK6__halfPSP_PKlPlN2at6native12_GLOBAL__N_18offset_tEEE10hipError_tPvRmT1_PNSt15iterator_traitsIS13_E10value_typeET2_T3_PNS14_IS19_E10value_typeET4_jRbjT5_S1F_jjP12ihipStream_tbEUljE_ZNSN_ISO_Lb0ESR_SS_SU_SV_SZ_EES10_S11_S12_S13_S17_S18_S19_S1C_S1D_jS1E_jS1F_S1F_jjS1H_bEUljE0_EEES10_S11_S12_S19_S1D_S1F_T6_T7_T9_mT8_S1H_bDpT10_ENKUlT_T0_E_clISt17integral_constantIbLb0EES1V_EEDaS1Q_S1R_EUlS1Q_E_NS1_11comp_targetILNS1_3genE10ELNS1_11target_archE1200ELNS1_3gpuE4ELNS1_3repE0EEENS1_30default_config_static_selectorELNS0_4arch9wavefront6targetE1EEEvS13_.uses_vcc, 0
	.set _ZN7rocprim17ROCPRIM_400000_NS6detail17trampoline_kernelINS0_13select_configILj256ELj13ELNS0_17block_load_methodE3ELS4_3ELS4_3ELNS0_20block_scan_algorithmE0ELj4294967295EEENS1_25partition_config_selectorILNS1_17partition_subalgoE4EjNS0_10empty_typeEbEEZZNS1_14partition_implILS8_4ELb0ES6_15HIP_vector_typeIjLj2EENS0_17counting_iteratorIjlEEPS9_SG_NS0_5tupleIJPjSI_NS0_16reverse_iteratorISI_EEEEENSH_IJSG_SG_SG_EEES9_SI_JZNS1_25segmented_radix_sort_implINS0_14default_configELb0EPK6__halfPSP_PKlPlN2at6native12_GLOBAL__N_18offset_tEEE10hipError_tPvRmT1_PNSt15iterator_traitsIS13_E10value_typeET2_T3_PNS14_IS19_E10value_typeET4_jRbjT5_S1F_jjP12ihipStream_tbEUljE_ZNSN_ISO_Lb0ESR_SS_SU_SV_SZ_EES10_S11_S12_S13_S17_S18_S19_S1C_S1D_jS1E_jS1F_S1F_jjS1H_bEUljE0_EEES10_S11_S12_S19_S1D_S1F_T6_T7_T9_mT8_S1H_bDpT10_ENKUlT_T0_E_clISt17integral_constantIbLb0EES1V_EEDaS1Q_S1R_EUlS1Q_E_NS1_11comp_targetILNS1_3genE10ELNS1_11target_archE1200ELNS1_3gpuE4ELNS1_3repE0EEENS1_30default_config_static_selectorELNS0_4arch9wavefront6targetE1EEEvS13_.uses_flat_scratch, 0
	.set _ZN7rocprim17ROCPRIM_400000_NS6detail17trampoline_kernelINS0_13select_configILj256ELj13ELNS0_17block_load_methodE3ELS4_3ELS4_3ELNS0_20block_scan_algorithmE0ELj4294967295EEENS1_25partition_config_selectorILNS1_17partition_subalgoE4EjNS0_10empty_typeEbEEZZNS1_14partition_implILS8_4ELb0ES6_15HIP_vector_typeIjLj2EENS0_17counting_iteratorIjlEEPS9_SG_NS0_5tupleIJPjSI_NS0_16reverse_iteratorISI_EEEEENSH_IJSG_SG_SG_EEES9_SI_JZNS1_25segmented_radix_sort_implINS0_14default_configELb0EPK6__halfPSP_PKlPlN2at6native12_GLOBAL__N_18offset_tEEE10hipError_tPvRmT1_PNSt15iterator_traitsIS13_E10value_typeET2_T3_PNS14_IS19_E10value_typeET4_jRbjT5_S1F_jjP12ihipStream_tbEUljE_ZNSN_ISO_Lb0ESR_SS_SU_SV_SZ_EES10_S11_S12_S13_S17_S18_S19_S1C_S1D_jS1E_jS1F_S1F_jjS1H_bEUljE0_EEES10_S11_S12_S19_S1D_S1F_T6_T7_T9_mT8_S1H_bDpT10_ENKUlT_T0_E_clISt17integral_constantIbLb0EES1V_EEDaS1Q_S1R_EUlS1Q_E_NS1_11comp_targetILNS1_3genE10ELNS1_11target_archE1200ELNS1_3gpuE4ELNS1_3repE0EEENS1_30default_config_static_selectorELNS0_4arch9wavefront6targetE1EEEvS13_.has_dyn_sized_stack, 0
	.set _ZN7rocprim17ROCPRIM_400000_NS6detail17trampoline_kernelINS0_13select_configILj256ELj13ELNS0_17block_load_methodE3ELS4_3ELS4_3ELNS0_20block_scan_algorithmE0ELj4294967295EEENS1_25partition_config_selectorILNS1_17partition_subalgoE4EjNS0_10empty_typeEbEEZZNS1_14partition_implILS8_4ELb0ES6_15HIP_vector_typeIjLj2EENS0_17counting_iteratorIjlEEPS9_SG_NS0_5tupleIJPjSI_NS0_16reverse_iteratorISI_EEEEENSH_IJSG_SG_SG_EEES9_SI_JZNS1_25segmented_radix_sort_implINS0_14default_configELb0EPK6__halfPSP_PKlPlN2at6native12_GLOBAL__N_18offset_tEEE10hipError_tPvRmT1_PNSt15iterator_traitsIS13_E10value_typeET2_T3_PNS14_IS19_E10value_typeET4_jRbjT5_S1F_jjP12ihipStream_tbEUljE_ZNSN_ISO_Lb0ESR_SS_SU_SV_SZ_EES10_S11_S12_S13_S17_S18_S19_S1C_S1D_jS1E_jS1F_S1F_jjS1H_bEUljE0_EEES10_S11_S12_S19_S1D_S1F_T6_T7_T9_mT8_S1H_bDpT10_ENKUlT_T0_E_clISt17integral_constantIbLb0EES1V_EEDaS1Q_S1R_EUlS1Q_E_NS1_11comp_targetILNS1_3genE10ELNS1_11target_archE1200ELNS1_3gpuE4ELNS1_3repE0EEENS1_30default_config_static_selectorELNS0_4arch9wavefront6targetE1EEEvS13_.has_recursion, 0
	.set _ZN7rocprim17ROCPRIM_400000_NS6detail17trampoline_kernelINS0_13select_configILj256ELj13ELNS0_17block_load_methodE3ELS4_3ELS4_3ELNS0_20block_scan_algorithmE0ELj4294967295EEENS1_25partition_config_selectorILNS1_17partition_subalgoE4EjNS0_10empty_typeEbEEZZNS1_14partition_implILS8_4ELb0ES6_15HIP_vector_typeIjLj2EENS0_17counting_iteratorIjlEEPS9_SG_NS0_5tupleIJPjSI_NS0_16reverse_iteratorISI_EEEEENSH_IJSG_SG_SG_EEES9_SI_JZNS1_25segmented_radix_sort_implINS0_14default_configELb0EPK6__halfPSP_PKlPlN2at6native12_GLOBAL__N_18offset_tEEE10hipError_tPvRmT1_PNSt15iterator_traitsIS13_E10value_typeET2_T3_PNS14_IS19_E10value_typeET4_jRbjT5_S1F_jjP12ihipStream_tbEUljE_ZNSN_ISO_Lb0ESR_SS_SU_SV_SZ_EES10_S11_S12_S13_S17_S18_S19_S1C_S1D_jS1E_jS1F_S1F_jjS1H_bEUljE0_EEES10_S11_S12_S19_S1D_S1F_T6_T7_T9_mT8_S1H_bDpT10_ENKUlT_T0_E_clISt17integral_constantIbLb0EES1V_EEDaS1Q_S1R_EUlS1Q_E_NS1_11comp_targetILNS1_3genE10ELNS1_11target_archE1200ELNS1_3gpuE4ELNS1_3repE0EEENS1_30default_config_static_selectorELNS0_4arch9wavefront6targetE1EEEvS13_.has_indirect_call, 0
	.section	.AMDGPU.csdata,"",@progbits
; Kernel info:
; codeLenInByte = 0
; TotalNumSgprs: 4
; NumVgprs: 0
; ScratchSize: 0
; MemoryBound: 0
; FloatMode: 240
; IeeeMode: 1
; LDSByteSize: 0 bytes/workgroup (compile time only)
; SGPRBlocks: 0
; VGPRBlocks: 0
; NumSGPRsForWavesPerEU: 4
; NumVGPRsForWavesPerEU: 1
; Occupancy: 10
; WaveLimiterHint : 0
; COMPUTE_PGM_RSRC2:SCRATCH_EN: 0
; COMPUTE_PGM_RSRC2:USER_SGPR: 6
; COMPUTE_PGM_RSRC2:TRAP_HANDLER: 0
; COMPUTE_PGM_RSRC2:TGID_X_EN: 1
; COMPUTE_PGM_RSRC2:TGID_Y_EN: 0
; COMPUTE_PGM_RSRC2:TGID_Z_EN: 0
; COMPUTE_PGM_RSRC2:TIDIG_COMP_CNT: 0
	.section	.text._ZN7rocprim17ROCPRIM_400000_NS6detail17trampoline_kernelINS0_13select_configILj256ELj13ELNS0_17block_load_methodE3ELS4_3ELS4_3ELNS0_20block_scan_algorithmE0ELj4294967295EEENS1_25partition_config_selectorILNS1_17partition_subalgoE4EjNS0_10empty_typeEbEEZZNS1_14partition_implILS8_4ELb0ES6_15HIP_vector_typeIjLj2EENS0_17counting_iteratorIjlEEPS9_SG_NS0_5tupleIJPjSI_NS0_16reverse_iteratorISI_EEEEENSH_IJSG_SG_SG_EEES9_SI_JZNS1_25segmented_radix_sort_implINS0_14default_configELb0EPK6__halfPSP_PKlPlN2at6native12_GLOBAL__N_18offset_tEEE10hipError_tPvRmT1_PNSt15iterator_traitsIS13_E10value_typeET2_T3_PNS14_IS19_E10value_typeET4_jRbjT5_S1F_jjP12ihipStream_tbEUljE_ZNSN_ISO_Lb0ESR_SS_SU_SV_SZ_EES10_S11_S12_S13_S17_S18_S19_S1C_S1D_jS1E_jS1F_S1F_jjS1H_bEUljE0_EEES10_S11_S12_S19_S1D_S1F_T6_T7_T9_mT8_S1H_bDpT10_ENKUlT_T0_E_clISt17integral_constantIbLb0EES1V_EEDaS1Q_S1R_EUlS1Q_E_NS1_11comp_targetILNS1_3genE9ELNS1_11target_archE1100ELNS1_3gpuE3ELNS1_3repE0EEENS1_30default_config_static_selectorELNS0_4arch9wavefront6targetE1EEEvS13_,"axG",@progbits,_ZN7rocprim17ROCPRIM_400000_NS6detail17trampoline_kernelINS0_13select_configILj256ELj13ELNS0_17block_load_methodE3ELS4_3ELS4_3ELNS0_20block_scan_algorithmE0ELj4294967295EEENS1_25partition_config_selectorILNS1_17partition_subalgoE4EjNS0_10empty_typeEbEEZZNS1_14partition_implILS8_4ELb0ES6_15HIP_vector_typeIjLj2EENS0_17counting_iteratorIjlEEPS9_SG_NS0_5tupleIJPjSI_NS0_16reverse_iteratorISI_EEEEENSH_IJSG_SG_SG_EEES9_SI_JZNS1_25segmented_radix_sort_implINS0_14default_configELb0EPK6__halfPSP_PKlPlN2at6native12_GLOBAL__N_18offset_tEEE10hipError_tPvRmT1_PNSt15iterator_traitsIS13_E10value_typeET2_T3_PNS14_IS19_E10value_typeET4_jRbjT5_S1F_jjP12ihipStream_tbEUljE_ZNSN_ISO_Lb0ESR_SS_SU_SV_SZ_EES10_S11_S12_S13_S17_S18_S19_S1C_S1D_jS1E_jS1F_S1F_jjS1H_bEUljE0_EEES10_S11_S12_S19_S1D_S1F_T6_T7_T9_mT8_S1H_bDpT10_ENKUlT_T0_E_clISt17integral_constantIbLb0EES1V_EEDaS1Q_S1R_EUlS1Q_E_NS1_11comp_targetILNS1_3genE9ELNS1_11target_archE1100ELNS1_3gpuE3ELNS1_3repE0EEENS1_30default_config_static_selectorELNS0_4arch9wavefront6targetE1EEEvS13_,comdat
	.globl	_ZN7rocprim17ROCPRIM_400000_NS6detail17trampoline_kernelINS0_13select_configILj256ELj13ELNS0_17block_load_methodE3ELS4_3ELS4_3ELNS0_20block_scan_algorithmE0ELj4294967295EEENS1_25partition_config_selectorILNS1_17partition_subalgoE4EjNS0_10empty_typeEbEEZZNS1_14partition_implILS8_4ELb0ES6_15HIP_vector_typeIjLj2EENS0_17counting_iteratorIjlEEPS9_SG_NS0_5tupleIJPjSI_NS0_16reverse_iteratorISI_EEEEENSH_IJSG_SG_SG_EEES9_SI_JZNS1_25segmented_radix_sort_implINS0_14default_configELb0EPK6__halfPSP_PKlPlN2at6native12_GLOBAL__N_18offset_tEEE10hipError_tPvRmT1_PNSt15iterator_traitsIS13_E10value_typeET2_T3_PNS14_IS19_E10value_typeET4_jRbjT5_S1F_jjP12ihipStream_tbEUljE_ZNSN_ISO_Lb0ESR_SS_SU_SV_SZ_EES10_S11_S12_S13_S17_S18_S19_S1C_S1D_jS1E_jS1F_S1F_jjS1H_bEUljE0_EEES10_S11_S12_S19_S1D_S1F_T6_T7_T9_mT8_S1H_bDpT10_ENKUlT_T0_E_clISt17integral_constantIbLb0EES1V_EEDaS1Q_S1R_EUlS1Q_E_NS1_11comp_targetILNS1_3genE9ELNS1_11target_archE1100ELNS1_3gpuE3ELNS1_3repE0EEENS1_30default_config_static_selectorELNS0_4arch9wavefront6targetE1EEEvS13_ ; -- Begin function _ZN7rocprim17ROCPRIM_400000_NS6detail17trampoline_kernelINS0_13select_configILj256ELj13ELNS0_17block_load_methodE3ELS4_3ELS4_3ELNS0_20block_scan_algorithmE0ELj4294967295EEENS1_25partition_config_selectorILNS1_17partition_subalgoE4EjNS0_10empty_typeEbEEZZNS1_14partition_implILS8_4ELb0ES6_15HIP_vector_typeIjLj2EENS0_17counting_iteratorIjlEEPS9_SG_NS0_5tupleIJPjSI_NS0_16reverse_iteratorISI_EEEEENSH_IJSG_SG_SG_EEES9_SI_JZNS1_25segmented_radix_sort_implINS0_14default_configELb0EPK6__halfPSP_PKlPlN2at6native12_GLOBAL__N_18offset_tEEE10hipError_tPvRmT1_PNSt15iterator_traitsIS13_E10value_typeET2_T3_PNS14_IS19_E10value_typeET4_jRbjT5_S1F_jjP12ihipStream_tbEUljE_ZNSN_ISO_Lb0ESR_SS_SU_SV_SZ_EES10_S11_S12_S13_S17_S18_S19_S1C_S1D_jS1E_jS1F_S1F_jjS1H_bEUljE0_EEES10_S11_S12_S19_S1D_S1F_T6_T7_T9_mT8_S1H_bDpT10_ENKUlT_T0_E_clISt17integral_constantIbLb0EES1V_EEDaS1Q_S1R_EUlS1Q_E_NS1_11comp_targetILNS1_3genE9ELNS1_11target_archE1100ELNS1_3gpuE3ELNS1_3repE0EEENS1_30default_config_static_selectorELNS0_4arch9wavefront6targetE1EEEvS13_
	.p2align	8
	.type	_ZN7rocprim17ROCPRIM_400000_NS6detail17trampoline_kernelINS0_13select_configILj256ELj13ELNS0_17block_load_methodE3ELS4_3ELS4_3ELNS0_20block_scan_algorithmE0ELj4294967295EEENS1_25partition_config_selectorILNS1_17partition_subalgoE4EjNS0_10empty_typeEbEEZZNS1_14partition_implILS8_4ELb0ES6_15HIP_vector_typeIjLj2EENS0_17counting_iteratorIjlEEPS9_SG_NS0_5tupleIJPjSI_NS0_16reverse_iteratorISI_EEEEENSH_IJSG_SG_SG_EEES9_SI_JZNS1_25segmented_radix_sort_implINS0_14default_configELb0EPK6__halfPSP_PKlPlN2at6native12_GLOBAL__N_18offset_tEEE10hipError_tPvRmT1_PNSt15iterator_traitsIS13_E10value_typeET2_T3_PNS14_IS19_E10value_typeET4_jRbjT5_S1F_jjP12ihipStream_tbEUljE_ZNSN_ISO_Lb0ESR_SS_SU_SV_SZ_EES10_S11_S12_S13_S17_S18_S19_S1C_S1D_jS1E_jS1F_S1F_jjS1H_bEUljE0_EEES10_S11_S12_S19_S1D_S1F_T6_T7_T9_mT8_S1H_bDpT10_ENKUlT_T0_E_clISt17integral_constantIbLb0EES1V_EEDaS1Q_S1R_EUlS1Q_E_NS1_11comp_targetILNS1_3genE9ELNS1_11target_archE1100ELNS1_3gpuE3ELNS1_3repE0EEENS1_30default_config_static_selectorELNS0_4arch9wavefront6targetE1EEEvS13_,@function
_ZN7rocprim17ROCPRIM_400000_NS6detail17trampoline_kernelINS0_13select_configILj256ELj13ELNS0_17block_load_methodE3ELS4_3ELS4_3ELNS0_20block_scan_algorithmE0ELj4294967295EEENS1_25partition_config_selectorILNS1_17partition_subalgoE4EjNS0_10empty_typeEbEEZZNS1_14partition_implILS8_4ELb0ES6_15HIP_vector_typeIjLj2EENS0_17counting_iteratorIjlEEPS9_SG_NS0_5tupleIJPjSI_NS0_16reverse_iteratorISI_EEEEENSH_IJSG_SG_SG_EEES9_SI_JZNS1_25segmented_radix_sort_implINS0_14default_configELb0EPK6__halfPSP_PKlPlN2at6native12_GLOBAL__N_18offset_tEEE10hipError_tPvRmT1_PNSt15iterator_traitsIS13_E10value_typeET2_T3_PNS14_IS19_E10value_typeET4_jRbjT5_S1F_jjP12ihipStream_tbEUljE_ZNSN_ISO_Lb0ESR_SS_SU_SV_SZ_EES10_S11_S12_S13_S17_S18_S19_S1C_S1D_jS1E_jS1F_S1F_jjS1H_bEUljE0_EEES10_S11_S12_S19_S1D_S1F_T6_T7_T9_mT8_S1H_bDpT10_ENKUlT_T0_E_clISt17integral_constantIbLb0EES1V_EEDaS1Q_S1R_EUlS1Q_E_NS1_11comp_targetILNS1_3genE9ELNS1_11target_archE1100ELNS1_3gpuE3ELNS1_3repE0EEENS1_30default_config_static_selectorELNS0_4arch9wavefront6targetE1EEEvS13_: ; @_ZN7rocprim17ROCPRIM_400000_NS6detail17trampoline_kernelINS0_13select_configILj256ELj13ELNS0_17block_load_methodE3ELS4_3ELS4_3ELNS0_20block_scan_algorithmE0ELj4294967295EEENS1_25partition_config_selectorILNS1_17partition_subalgoE4EjNS0_10empty_typeEbEEZZNS1_14partition_implILS8_4ELb0ES6_15HIP_vector_typeIjLj2EENS0_17counting_iteratorIjlEEPS9_SG_NS0_5tupleIJPjSI_NS0_16reverse_iteratorISI_EEEEENSH_IJSG_SG_SG_EEES9_SI_JZNS1_25segmented_radix_sort_implINS0_14default_configELb0EPK6__halfPSP_PKlPlN2at6native12_GLOBAL__N_18offset_tEEE10hipError_tPvRmT1_PNSt15iterator_traitsIS13_E10value_typeET2_T3_PNS14_IS19_E10value_typeET4_jRbjT5_S1F_jjP12ihipStream_tbEUljE_ZNSN_ISO_Lb0ESR_SS_SU_SV_SZ_EES10_S11_S12_S13_S17_S18_S19_S1C_S1D_jS1E_jS1F_S1F_jjS1H_bEUljE0_EEES10_S11_S12_S19_S1D_S1F_T6_T7_T9_mT8_S1H_bDpT10_ENKUlT_T0_E_clISt17integral_constantIbLb0EES1V_EEDaS1Q_S1R_EUlS1Q_E_NS1_11comp_targetILNS1_3genE9ELNS1_11target_archE1100ELNS1_3gpuE3ELNS1_3repE0EEENS1_30default_config_static_selectorELNS0_4arch9wavefront6targetE1EEEvS13_
; %bb.0:
	.section	.rodata,"a",@progbits
	.p2align	6, 0x0
	.amdhsa_kernel _ZN7rocprim17ROCPRIM_400000_NS6detail17trampoline_kernelINS0_13select_configILj256ELj13ELNS0_17block_load_methodE3ELS4_3ELS4_3ELNS0_20block_scan_algorithmE0ELj4294967295EEENS1_25partition_config_selectorILNS1_17partition_subalgoE4EjNS0_10empty_typeEbEEZZNS1_14partition_implILS8_4ELb0ES6_15HIP_vector_typeIjLj2EENS0_17counting_iteratorIjlEEPS9_SG_NS0_5tupleIJPjSI_NS0_16reverse_iteratorISI_EEEEENSH_IJSG_SG_SG_EEES9_SI_JZNS1_25segmented_radix_sort_implINS0_14default_configELb0EPK6__halfPSP_PKlPlN2at6native12_GLOBAL__N_18offset_tEEE10hipError_tPvRmT1_PNSt15iterator_traitsIS13_E10value_typeET2_T3_PNS14_IS19_E10value_typeET4_jRbjT5_S1F_jjP12ihipStream_tbEUljE_ZNSN_ISO_Lb0ESR_SS_SU_SV_SZ_EES10_S11_S12_S13_S17_S18_S19_S1C_S1D_jS1E_jS1F_S1F_jjS1H_bEUljE0_EEES10_S11_S12_S19_S1D_S1F_T6_T7_T9_mT8_S1H_bDpT10_ENKUlT_T0_E_clISt17integral_constantIbLb0EES1V_EEDaS1Q_S1R_EUlS1Q_E_NS1_11comp_targetILNS1_3genE9ELNS1_11target_archE1100ELNS1_3gpuE3ELNS1_3repE0EEENS1_30default_config_static_selectorELNS0_4arch9wavefront6targetE1EEEvS13_
		.amdhsa_group_segment_fixed_size 0
		.amdhsa_private_segment_fixed_size 0
		.amdhsa_kernarg_size 176
		.amdhsa_user_sgpr_count 6
		.amdhsa_user_sgpr_private_segment_buffer 1
		.amdhsa_user_sgpr_dispatch_ptr 0
		.amdhsa_user_sgpr_queue_ptr 0
		.amdhsa_user_sgpr_kernarg_segment_ptr 1
		.amdhsa_user_sgpr_dispatch_id 0
		.amdhsa_user_sgpr_flat_scratch_init 0
		.amdhsa_user_sgpr_private_segment_size 0
		.amdhsa_uses_dynamic_stack 0
		.amdhsa_system_sgpr_private_segment_wavefront_offset 0
		.amdhsa_system_sgpr_workgroup_id_x 1
		.amdhsa_system_sgpr_workgroup_id_y 0
		.amdhsa_system_sgpr_workgroup_id_z 0
		.amdhsa_system_sgpr_workgroup_info 0
		.amdhsa_system_vgpr_workitem_id 0
		.amdhsa_next_free_vgpr 1
		.amdhsa_next_free_sgpr 0
		.amdhsa_reserve_vcc 0
		.amdhsa_reserve_flat_scratch 0
		.amdhsa_float_round_mode_32 0
		.amdhsa_float_round_mode_16_64 0
		.amdhsa_float_denorm_mode_32 3
		.amdhsa_float_denorm_mode_16_64 3
		.amdhsa_dx10_clamp 1
		.amdhsa_ieee_mode 1
		.amdhsa_fp16_overflow 0
		.amdhsa_exception_fp_ieee_invalid_op 0
		.amdhsa_exception_fp_denorm_src 0
		.amdhsa_exception_fp_ieee_div_zero 0
		.amdhsa_exception_fp_ieee_overflow 0
		.amdhsa_exception_fp_ieee_underflow 0
		.amdhsa_exception_fp_ieee_inexact 0
		.amdhsa_exception_int_div_zero 0
	.end_amdhsa_kernel
	.section	.text._ZN7rocprim17ROCPRIM_400000_NS6detail17trampoline_kernelINS0_13select_configILj256ELj13ELNS0_17block_load_methodE3ELS4_3ELS4_3ELNS0_20block_scan_algorithmE0ELj4294967295EEENS1_25partition_config_selectorILNS1_17partition_subalgoE4EjNS0_10empty_typeEbEEZZNS1_14partition_implILS8_4ELb0ES6_15HIP_vector_typeIjLj2EENS0_17counting_iteratorIjlEEPS9_SG_NS0_5tupleIJPjSI_NS0_16reverse_iteratorISI_EEEEENSH_IJSG_SG_SG_EEES9_SI_JZNS1_25segmented_radix_sort_implINS0_14default_configELb0EPK6__halfPSP_PKlPlN2at6native12_GLOBAL__N_18offset_tEEE10hipError_tPvRmT1_PNSt15iterator_traitsIS13_E10value_typeET2_T3_PNS14_IS19_E10value_typeET4_jRbjT5_S1F_jjP12ihipStream_tbEUljE_ZNSN_ISO_Lb0ESR_SS_SU_SV_SZ_EES10_S11_S12_S13_S17_S18_S19_S1C_S1D_jS1E_jS1F_S1F_jjS1H_bEUljE0_EEES10_S11_S12_S19_S1D_S1F_T6_T7_T9_mT8_S1H_bDpT10_ENKUlT_T0_E_clISt17integral_constantIbLb0EES1V_EEDaS1Q_S1R_EUlS1Q_E_NS1_11comp_targetILNS1_3genE9ELNS1_11target_archE1100ELNS1_3gpuE3ELNS1_3repE0EEENS1_30default_config_static_selectorELNS0_4arch9wavefront6targetE1EEEvS13_,"axG",@progbits,_ZN7rocprim17ROCPRIM_400000_NS6detail17trampoline_kernelINS0_13select_configILj256ELj13ELNS0_17block_load_methodE3ELS4_3ELS4_3ELNS0_20block_scan_algorithmE0ELj4294967295EEENS1_25partition_config_selectorILNS1_17partition_subalgoE4EjNS0_10empty_typeEbEEZZNS1_14partition_implILS8_4ELb0ES6_15HIP_vector_typeIjLj2EENS0_17counting_iteratorIjlEEPS9_SG_NS0_5tupleIJPjSI_NS0_16reverse_iteratorISI_EEEEENSH_IJSG_SG_SG_EEES9_SI_JZNS1_25segmented_radix_sort_implINS0_14default_configELb0EPK6__halfPSP_PKlPlN2at6native12_GLOBAL__N_18offset_tEEE10hipError_tPvRmT1_PNSt15iterator_traitsIS13_E10value_typeET2_T3_PNS14_IS19_E10value_typeET4_jRbjT5_S1F_jjP12ihipStream_tbEUljE_ZNSN_ISO_Lb0ESR_SS_SU_SV_SZ_EES10_S11_S12_S13_S17_S18_S19_S1C_S1D_jS1E_jS1F_S1F_jjS1H_bEUljE0_EEES10_S11_S12_S19_S1D_S1F_T6_T7_T9_mT8_S1H_bDpT10_ENKUlT_T0_E_clISt17integral_constantIbLb0EES1V_EEDaS1Q_S1R_EUlS1Q_E_NS1_11comp_targetILNS1_3genE9ELNS1_11target_archE1100ELNS1_3gpuE3ELNS1_3repE0EEENS1_30default_config_static_selectorELNS0_4arch9wavefront6targetE1EEEvS13_,comdat
.Lfunc_end1784:
	.size	_ZN7rocprim17ROCPRIM_400000_NS6detail17trampoline_kernelINS0_13select_configILj256ELj13ELNS0_17block_load_methodE3ELS4_3ELS4_3ELNS0_20block_scan_algorithmE0ELj4294967295EEENS1_25partition_config_selectorILNS1_17partition_subalgoE4EjNS0_10empty_typeEbEEZZNS1_14partition_implILS8_4ELb0ES6_15HIP_vector_typeIjLj2EENS0_17counting_iteratorIjlEEPS9_SG_NS0_5tupleIJPjSI_NS0_16reverse_iteratorISI_EEEEENSH_IJSG_SG_SG_EEES9_SI_JZNS1_25segmented_radix_sort_implINS0_14default_configELb0EPK6__halfPSP_PKlPlN2at6native12_GLOBAL__N_18offset_tEEE10hipError_tPvRmT1_PNSt15iterator_traitsIS13_E10value_typeET2_T3_PNS14_IS19_E10value_typeET4_jRbjT5_S1F_jjP12ihipStream_tbEUljE_ZNSN_ISO_Lb0ESR_SS_SU_SV_SZ_EES10_S11_S12_S13_S17_S18_S19_S1C_S1D_jS1E_jS1F_S1F_jjS1H_bEUljE0_EEES10_S11_S12_S19_S1D_S1F_T6_T7_T9_mT8_S1H_bDpT10_ENKUlT_T0_E_clISt17integral_constantIbLb0EES1V_EEDaS1Q_S1R_EUlS1Q_E_NS1_11comp_targetILNS1_3genE9ELNS1_11target_archE1100ELNS1_3gpuE3ELNS1_3repE0EEENS1_30default_config_static_selectorELNS0_4arch9wavefront6targetE1EEEvS13_, .Lfunc_end1784-_ZN7rocprim17ROCPRIM_400000_NS6detail17trampoline_kernelINS0_13select_configILj256ELj13ELNS0_17block_load_methodE3ELS4_3ELS4_3ELNS0_20block_scan_algorithmE0ELj4294967295EEENS1_25partition_config_selectorILNS1_17partition_subalgoE4EjNS0_10empty_typeEbEEZZNS1_14partition_implILS8_4ELb0ES6_15HIP_vector_typeIjLj2EENS0_17counting_iteratorIjlEEPS9_SG_NS0_5tupleIJPjSI_NS0_16reverse_iteratorISI_EEEEENSH_IJSG_SG_SG_EEES9_SI_JZNS1_25segmented_radix_sort_implINS0_14default_configELb0EPK6__halfPSP_PKlPlN2at6native12_GLOBAL__N_18offset_tEEE10hipError_tPvRmT1_PNSt15iterator_traitsIS13_E10value_typeET2_T3_PNS14_IS19_E10value_typeET4_jRbjT5_S1F_jjP12ihipStream_tbEUljE_ZNSN_ISO_Lb0ESR_SS_SU_SV_SZ_EES10_S11_S12_S13_S17_S18_S19_S1C_S1D_jS1E_jS1F_S1F_jjS1H_bEUljE0_EEES10_S11_S12_S19_S1D_S1F_T6_T7_T9_mT8_S1H_bDpT10_ENKUlT_T0_E_clISt17integral_constantIbLb0EES1V_EEDaS1Q_S1R_EUlS1Q_E_NS1_11comp_targetILNS1_3genE9ELNS1_11target_archE1100ELNS1_3gpuE3ELNS1_3repE0EEENS1_30default_config_static_selectorELNS0_4arch9wavefront6targetE1EEEvS13_
                                        ; -- End function
	.set _ZN7rocprim17ROCPRIM_400000_NS6detail17trampoline_kernelINS0_13select_configILj256ELj13ELNS0_17block_load_methodE3ELS4_3ELS4_3ELNS0_20block_scan_algorithmE0ELj4294967295EEENS1_25partition_config_selectorILNS1_17partition_subalgoE4EjNS0_10empty_typeEbEEZZNS1_14partition_implILS8_4ELb0ES6_15HIP_vector_typeIjLj2EENS0_17counting_iteratorIjlEEPS9_SG_NS0_5tupleIJPjSI_NS0_16reverse_iteratorISI_EEEEENSH_IJSG_SG_SG_EEES9_SI_JZNS1_25segmented_radix_sort_implINS0_14default_configELb0EPK6__halfPSP_PKlPlN2at6native12_GLOBAL__N_18offset_tEEE10hipError_tPvRmT1_PNSt15iterator_traitsIS13_E10value_typeET2_T3_PNS14_IS19_E10value_typeET4_jRbjT5_S1F_jjP12ihipStream_tbEUljE_ZNSN_ISO_Lb0ESR_SS_SU_SV_SZ_EES10_S11_S12_S13_S17_S18_S19_S1C_S1D_jS1E_jS1F_S1F_jjS1H_bEUljE0_EEES10_S11_S12_S19_S1D_S1F_T6_T7_T9_mT8_S1H_bDpT10_ENKUlT_T0_E_clISt17integral_constantIbLb0EES1V_EEDaS1Q_S1R_EUlS1Q_E_NS1_11comp_targetILNS1_3genE9ELNS1_11target_archE1100ELNS1_3gpuE3ELNS1_3repE0EEENS1_30default_config_static_selectorELNS0_4arch9wavefront6targetE1EEEvS13_.num_vgpr, 0
	.set _ZN7rocprim17ROCPRIM_400000_NS6detail17trampoline_kernelINS0_13select_configILj256ELj13ELNS0_17block_load_methodE3ELS4_3ELS4_3ELNS0_20block_scan_algorithmE0ELj4294967295EEENS1_25partition_config_selectorILNS1_17partition_subalgoE4EjNS0_10empty_typeEbEEZZNS1_14partition_implILS8_4ELb0ES6_15HIP_vector_typeIjLj2EENS0_17counting_iteratorIjlEEPS9_SG_NS0_5tupleIJPjSI_NS0_16reverse_iteratorISI_EEEEENSH_IJSG_SG_SG_EEES9_SI_JZNS1_25segmented_radix_sort_implINS0_14default_configELb0EPK6__halfPSP_PKlPlN2at6native12_GLOBAL__N_18offset_tEEE10hipError_tPvRmT1_PNSt15iterator_traitsIS13_E10value_typeET2_T3_PNS14_IS19_E10value_typeET4_jRbjT5_S1F_jjP12ihipStream_tbEUljE_ZNSN_ISO_Lb0ESR_SS_SU_SV_SZ_EES10_S11_S12_S13_S17_S18_S19_S1C_S1D_jS1E_jS1F_S1F_jjS1H_bEUljE0_EEES10_S11_S12_S19_S1D_S1F_T6_T7_T9_mT8_S1H_bDpT10_ENKUlT_T0_E_clISt17integral_constantIbLb0EES1V_EEDaS1Q_S1R_EUlS1Q_E_NS1_11comp_targetILNS1_3genE9ELNS1_11target_archE1100ELNS1_3gpuE3ELNS1_3repE0EEENS1_30default_config_static_selectorELNS0_4arch9wavefront6targetE1EEEvS13_.num_agpr, 0
	.set _ZN7rocprim17ROCPRIM_400000_NS6detail17trampoline_kernelINS0_13select_configILj256ELj13ELNS0_17block_load_methodE3ELS4_3ELS4_3ELNS0_20block_scan_algorithmE0ELj4294967295EEENS1_25partition_config_selectorILNS1_17partition_subalgoE4EjNS0_10empty_typeEbEEZZNS1_14partition_implILS8_4ELb0ES6_15HIP_vector_typeIjLj2EENS0_17counting_iteratorIjlEEPS9_SG_NS0_5tupleIJPjSI_NS0_16reverse_iteratorISI_EEEEENSH_IJSG_SG_SG_EEES9_SI_JZNS1_25segmented_radix_sort_implINS0_14default_configELb0EPK6__halfPSP_PKlPlN2at6native12_GLOBAL__N_18offset_tEEE10hipError_tPvRmT1_PNSt15iterator_traitsIS13_E10value_typeET2_T3_PNS14_IS19_E10value_typeET4_jRbjT5_S1F_jjP12ihipStream_tbEUljE_ZNSN_ISO_Lb0ESR_SS_SU_SV_SZ_EES10_S11_S12_S13_S17_S18_S19_S1C_S1D_jS1E_jS1F_S1F_jjS1H_bEUljE0_EEES10_S11_S12_S19_S1D_S1F_T6_T7_T9_mT8_S1H_bDpT10_ENKUlT_T0_E_clISt17integral_constantIbLb0EES1V_EEDaS1Q_S1R_EUlS1Q_E_NS1_11comp_targetILNS1_3genE9ELNS1_11target_archE1100ELNS1_3gpuE3ELNS1_3repE0EEENS1_30default_config_static_selectorELNS0_4arch9wavefront6targetE1EEEvS13_.numbered_sgpr, 0
	.set _ZN7rocprim17ROCPRIM_400000_NS6detail17trampoline_kernelINS0_13select_configILj256ELj13ELNS0_17block_load_methodE3ELS4_3ELS4_3ELNS0_20block_scan_algorithmE0ELj4294967295EEENS1_25partition_config_selectorILNS1_17partition_subalgoE4EjNS0_10empty_typeEbEEZZNS1_14partition_implILS8_4ELb0ES6_15HIP_vector_typeIjLj2EENS0_17counting_iteratorIjlEEPS9_SG_NS0_5tupleIJPjSI_NS0_16reverse_iteratorISI_EEEEENSH_IJSG_SG_SG_EEES9_SI_JZNS1_25segmented_radix_sort_implINS0_14default_configELb0EPK6__halfPSP_PKlPlN2at6native12_GLOBAL__N_18offset_tEEE10hipError_tPvRmT1_PNSt15iterator_traitsIS13_E10value_typeET2_T3_PNS14_IS19_E10value_typeET4_jRbjT5_S1F_jjP12ihipStream_tbEUljE_ZNSN_ISO_Lb0ESR_SS_SU_SV_SZ_EES10_S11_S12_S13_S17_S18_S19_S1C_S1D_jS1E_jS1F_S1F_jjS1H_bEUljE0_EEES10_S11_S12_S19_S1D_S1F_T6_T7_T9_mT8_S1H_bDpT10_ENKUlT_T0_E_clISt17integral_constantIbLb0EES1V_EEDaS1Q_S1R_EUlS1Q_E_NS1_11comp_targetILNS1_3genE9ELNS1_11target_archE1100ELNS1_3gpuE3ELNS1_3repE0EEENS1_30default_config_static_selectorELNS0_4arch9wavefront6targetE1EEEvS13_.num_named_barrier, 0
	.set _ZN7rocprim17ROCPRIM_400000_NS6detail17trampoline_kernelINS0_13select_configILj256ELj13ELNS0_17block_load_methodE3ELS4_3ELS4_3ELNS0_20block_scan_algorithmE0ELj4294967295EEENS1_25partition_config_selectorILNS1_17partition_subalgoE4EjNS0_10empty_typeEbEEZZNS1_14partition_implILS8_4ELb0ES6_15HIP_vector_typeIjLj2EENS0_17counting_iteratorIjlEEPS9_SG_NS0_5tupleIJPjSI_NS0_16reverse_iteratorISI_EEEEENSH_IJSG_SG_SG_EEES9_SI_JZNS1_25segmented_radix_sort_implINS0_14default_configELb0EPK6__halfPSP_PKlPlN2at6native12_GLOBAL__N_18offset_tEEE10hipError_tPvRmT1_PNSt15iterator_traitsIS13_E10value_typeET2_T3_PNS14_IS19_E10value_typeET4_jRbjT5_S1F_jjP12ihipStream_tbEUljE_ZNSN_ISO_Lb0ESR_SS_SU_SV_SZ_EES10_S11_S12_S13_S17_S18_S19_S1C_S1D_jS1E_jS1F_S1F_jjS1H_bEUljE0_EEES10_S11_S12_S19_S1D_S1F_T6_T7_T9_mT8_S1H_bDpT10_ENKUlT_T0_E_clISt17integral_constantIbLb0EES1V_EEDaS1Q_S1R_EUlS1Q_E_NS1_11comp_targetILNS1_3genE9ELNS1_11target_archE1100ELNS1_3gpuE3ELNS1_3repE0EEENS1_30default_config_static_selectorELNS0_4arch9wavefront6targetE1EEEvS13_.private_seg_size, 0
	.set _ZN7rocprim17ROCPRIM_400000_NS6detail17trampoline_kernelINS0_13select_configILj256ELj13ELNS0_17block_load_methodE3ELS4_3ELS4_3ELNS0_20block_scan_algorithmE0ELj4294967295EEENS1_25partition_config_selectorILNS1_17partition_subalgoE4EjNS0_10empty_typeEbEEZZNS1_14partition_implILS8_4ELb0ES6_15HIP_vector_typeIjLj2EENS0_17counting_iteratorIjlEEPS9_SG_NS0_5tupleIJPjSI_NS0_16reverse_iteratorISI_EEEEENSH_IJSG_SG_SG_EEES9_SI_JZNS1_25segmented_radix_sort_implINS0_14default_configELb0EPK6__halfPSP_PKlPlN2at6native12_GLOBAL__N_18offset_tEEE10hipError_tPvRmT1_PNSt15iterator_traitsIS13_E10value_typeET2_T3_PNS14_IS19_E10value_typeET4_jRbjT5_S1F_jjP12ihipStream_tbEUljE_ZNSN_ISO_Lb0ESR_SS_SU_SV_SZ_EES10_S11_S12_S13_S17_S18_S19_S1C_S1D_jS1E_jS1F_S1F_jjS1H_bEUljE0_EEES10_S11_S12_S19_S1D_S1F_T6_T7_T9_mT8_S1H_bDpT10_ENKUlT_T0_E_clISt17integral_constantIbLb0EES1V_EEDaS1Q_S1R_EUlS1Q_E_NS1_11comp_targetILNS1_3genE9ELNS1_11target_archE1100ELNS1_3gpuE3ELNS1_3repE0EEENS1_30default_config_static_selectorELNS0_4arch9wavefront6targetE1EEEvS13_.uses_vcc, 0
	.set _ZN7rocprim17ROCPRIM_400000_NS6detail17trampoline_kernelINS0_13select_configILj256ELj13ELNS0_17block_load_methodE3ELS4_3ELS4_3ELNS0_20block_scan_algorithmE0ELj4294967295EEENS1_25partition_config_selectorILNS1_17partition_subalgoE4EjNS0_10empty_typeEbEEZZNS1_14partition_implILS8_4ELb0ES6_15HIP_vector_typeIjLj2EENS0_17counting_iteratorIjlEEPS9_SG_NS0_5tupleIJPjSI_NS0_16reverse_iteratorISI_EEEEENSH_IJSG_SG_SG_EEES9_SI_JZNS1_25segmented_radix_sort_implINS0_14default_configELb0EPK6__halfPSP_PKlPlN2at6native12_GLOBAL__N_18offset_tEEE10hipError_tPvRmT1_PNSt15iterator_traitsIS13_E10value_typeET2_T3_PNS14_IS19_E10value_typeET4_jRbjT5_S1F_jjP12ihipStream_tbEUljE_ZNSN_ISO_Lb0ESR_SS_SU_SV_SZ_EES10_S11_S12_S13_S17_S18_S19_S1C_S1D_jS1E_jS1F_S1F_jjS1H_bEUljE0_EEES10_S11_S12_S19_S1D_S1F_T6_T7_T9_mT8_S1H_bDpT10_ENKUlT_T0_E_clISt17integral_constantIbLb0EES1V_EEDaS1Q_S1R_EUlS1Q_E_NS1_11comp_targetILNS1_3genE9ELNS1_11target_archE1100ELNS1_3gpuE3ELNS1_3repE0EEENS1_30default_config_static_selectorELNS0_4arch9wavefront6targetE1EEEvS13_.uses_flat_scratch, 0
	.set _ZN7rocprim17ROCPRIM_400000_NS6detail17trampoline_kernelINS0_13select_configILj256ELj13ELNS0_17block_load_methodE3ELS4_3ELS4_3ELNS0_20block_scan_algorithmE0ELj4294967295EEENS1_25partition_config_selectorILNS1_17partition_subalgoE4EjNS0_10empty_typeEbEEZZNS1_14partition_implILS8_4ELb0ES6_15HIP_vector_typeIjLj2EENS0_17counting_iteratorIjlEEPS9_SG_NS0_5tupleIJPjSI_NS0_16reverse_iteratorISI_EEEEENSH_IJSG_SG_SG_EEES9_SI_JZNS1_25segmented_radix_sort_implINS0_14default_configELb0EPK6__halfPSP_PKlPlN2at6native12_GLOBAL__N_18offset_tEEE10hipError_tPvRmT1_PNSt15iterator_traitsIS13_E10value_typeET2_T3_PNS14_IS19_E10value_typeET4_jRbjT5_S1F_jjP12ihipStream_tbEUljE_ZNSN_ISO_Lb0ESR_SS_SU_SV_SZ_EES10_S11_S12_S13_S17_S18_S19_S1C_S1D_jS1E_jS1F_S1F_jjS1H_bEUljE0_EEES10_S11_S12_S19_S1D_S1F_T6_T7_T9_mT8_S1H_bDpT10_ENKUlT_T0_E_clISt17integral_constantIbLb0EES1V_EEDaS1Q_S1R_EUlS1Q_E_NS1_11comp_targetILNS1_3genE9ELNS1_11target_archE1100ELNS1_3gpuE3ELNS1_3repE0EEENS1_30default_config_static_selectorELNS0_4arch9wavefront6targetE1EEEvS13_.has_dyn_sized_stack, 0
	.set _ZN7rocprim17ROCPRIM_400000_NS6detail17trampoline_kernelINS0_13select_configILj256ELj13ELNS0_17block_load_methodE3ELS4_3ELS4_3ELNS0_20block_scan_algorithmE0ELj4294967295EEENS1_25partition_config_selectorILNS1_17partition_subalgoE4EjNS0_10empty_typeEbEEZZNS1_14partition_implILS8_4ELb0ES6_15HIP_vector_typeIjLj2EENS0_17counting_iteratorIjlEEPS9_SG_NS0_5tupleIJPjSI_NS0_16reverse_iteratorISI_EEEEENSH_IJSG_SG_SG_EEES9_SI_JZNS1_25segmented_radix_sort_implINS0_14default_configELb0EPK6__halfPSP_PKlPlN2at6native12_GLOBAL__N_18offset_tEEE10hipError_tPvRmT1_PNSt15iterator_traitsIS13_E10value_typeET2_T3_PNS14_IS19_E10value_typeET4_jRbjT5_S1F_jjP12ihipStream_tbEUljE_ZNSN_ISO_Lb0ESR_SS_SU_SV_SZ_EES10_S11_S12_S13_S17_S18_S19_S1C_S1D_jS1E_jS1F_S1F_jjS1H_bEUljE0_EEES10_S11_S12_S19_S1D_S1F_T6_T7_T9_mT8_S1H_bDpT10_ENKUlT_T0_E_clISt17integral_constantIbLb0EES1V_EEDaS1Q_S1R_EUlS1Q_E_NS1_11comp_targetILNS1_3genE9ELNS1_11target_archE1100ELNS1_3gpuE3ELNS1_3repE0EEENS1_30default_config_static_selectorELNS0_4arch9wavefront6targetE1EEEvS13_.has_recursion, 0
	.set _ZN7rocprim17ROCPRIM_400000_NS6detail17trampoline_kernelINS0_13select_configILj256ELj13ELNS0_17block_load_methodE3ELS4_3ELS4_3ELNS0_20block_scan_algorithmE0ELj4294967295EEENS1_25partition_config_selectorILNS1_17partition_subalgoE4EjNS0_10empty_typeEbEEZZNS1_14partition_implILS8_4ELb0ES6_15HIP_vector_typeIjLj2EENS0_17counting_iteratorIjlEEPS9_SG_NS0_5tupleIJPjSI_NS0_16reverse_iteratorISI_EEEEENSH_IJSG_SG_SG_EEES9_SI_JZNS1_25segmented_radix_sort_implINS0_14default_configELb0EPK6__halfPSP_PKlPlN2at6native12_GLOBAL__N_18offset_tEEE10hipError_tPvRmT1_PNSt15iterator_traitsIS13_E10value_typeET2_T3_PNS14_IS19_E10value_typeET4_jRbjT5_S1F_jjP12ihipStream_tbEUljE_ZNSN_ISO_Lb0ESR_SS_SU_SV_SZ_EES10_S11_S12_S13_S17_S18_S19_S1C_S1D_jS1E_jS1F_S1F_jjS1H_bEUljE0_EEES10_S11_S12_S19_S1D_S1F_T6_T7_T9_mT8_S1H_bDpT10_ENKUlT_T0_E_clISt17integral_constantIbLb0EES1V_EEDaS1Q_S1R_EUlS1Q_E_NS1_11comp_targetILNS1_3genE9ELNS1_11target_archE1100ELNS1_3gpuE3ELNS1_3repE0EEENS1_30default_config_static_selectorELNS0_4arch9wavefront6targetE1EEEvS13_.has_indirect_call, 0
	.section	.AMDGPU.csdata,"",@progbits
; Kernel info:
; codeLenInByte = 0
; TotalNumSgprs: 4
; NumVgprs: 0
; ScratchSize: 0
; MemoryBound: 0
; FloatMode: 240
; IeeeMode: 1
; LDSByteSize: 0 bytes/workgroup (compile time only)
; SGPRBlocks: 0
; VGPRBlocks: 0
; NumSGPRsForWavesPerEU: 4
; NumVGPRsForWavesPerEU: 1
; Occupancy: 10
; WaveLimiterHint : 0
; COMPUTE_PGM_RSRC2:SCRATCH_EN: 0
; COMPUTE_PGM_RSRC2:USER_SGPR: 6
; COMPUTE_PGM_RSRC2:TRAP_HANDLER: 0
; COMPUTE_PGM_RSRC2:TGID_X_EN: 1
; COMPUTE_PGM_RSRC2:TGID_Y_EN: 0
; COMPUTE_PGM_RSRC2:TGID_Z_EN: 0
; COMPUTE_PGM_RSRC2:TIDIG_COMP_CNT: 0
	.section	.text._ZN7rocprim17ROCPRIM_400000_NS6detail17trampoline_kernelINS0_13select_configILj256ELj13ELNS0_17block_load_methodE3ELS4_3ELS4_3ELNS0_20block_scan_algorithmE0ELj4294967295EEENS1_25partition_config_selectorILNS1_17partition_subalgoE4EjNS0_10empty_typeEbEEZZNS1_14partition_implILS8_4ELb0ES6_15HIP_vector_typeIjLj2EENS0_17counting_iteratorIjlEEPS9_SG_NS0_5tupleIJPjSI_NS0_16reverse_iteratorISI_EEEEENSH_IJSG_SG_SG_EEES9_SI_JZNS1_25segmented_radix_sort_implINS0_14default_configELb0EPK6__halfPSP_PKlPlN2at6native12_GLOBAL__N_18offset_tEEE10hipError_tPvRmT1_PNSt15iterator_traitsIS13_E10value_typeET2_T3_PNS14_IS19_E10value_typeET4_jRbjT5_S1F_jjP12ihipStream_tbEUljE_ZNSN_ISO_Lb0ESR_SS_SU_SV_SZ_EES10_S11_S12_S13_S17_S18_S19_S1C_S1D_jS1E_jS1F_S1F_jjS1H_bEUljE0_EEES10_S11_S12_S19_S1D_S1F_T6_T7_T9_mT8_S1H_bDpT10_ENKUlT_T0_E_clISt17integral_constantIbLb0EES1V_EEDaS1Q_S1R_EUlS1Q_E_NS1_11comp_targetILNS1_3genE8ELNS1_11target_archE1030ELNS1_3gpuE2ELNS1_3repE0EEENS1_30default_config_static_selectorELNS0_4arch9wavefront6targetE1EEEvS13_,"axG",@progbits,_ZN7rocprim17ROCPRIM_400000_NS6detail17trampoline_kernelINS0_13select_configILj256ELj13ELNS0_17block_load_methodE3ELS4_3ELS4_3ELNS0_20block_scan_algorithmE0ELj4294967295EEENS1_25partition_config_selectorILNS1_17partition_subalgoE4EjNS0_10empty_typeEbEEZZNS1_14partition_implILS8_4ELb0ES6_15HIP_vector_typeIjLj2EENS0_17counting_iteratorIjlEEPS9_SG_NS0_5tupleIJPjSI_NS0_16reverse_iteratorISI_EEEEENSH_IJSG_SG_SG_EEES9_SI_JZNS1_25segmented_radix_sort_implINS0_14default_configELb0EPK6__halfPSP_PKlPlN2at6native12_GLOBAL__N_18offset_tEEE10hipError_tPvRmT1_PNSt15iterator_traitsIS13_E10value_typeET2_T3_PNS14_IS19_E10value_typeET4_jRbjT5_S1F_jjP12ihipStream_tbEUljE_ZNSN_ISO_Lb0ESR_SS_SU_SV_SZ_EES10_S11_S12_S13_S17_S18_S19_S1C_S1D_jS1E_jS1F_S1F_jjS1H_bEUljE0_EEES10_S11_S12_S19_S1D_S1F_T6_T7_T9_mT8_S1H_bDpT10_ENKUlT_T0_E_clISt17integral_constantIbLb0EES1V_EEDaS1Q_S1R_EUlS1Q_E_NS1_11comp_targetILNS1_3genE8ELNS1_11target_archE1030ELNS1_3gpuE2ELNS1_3repE0EEENS1_30default_config_static_selectorELNS0_4arch9wavefront6targetE1EEEvS13_,comdat
	.globl	_ZN7rocprim17ROCPRIM_400000_NS6detail17trampoline_kernelINS0_13select_configILj256ELj13ELNS0_17block_load_methodE3ELS4_3ELS4_3ELNS0_20block_scan_algorithmE0ELj4294967295EEENS1_25partition_config_selectorILNS1_17partition_subalgoE4EjNS0_10empty_typeEbEEZZNS1_14partition_implILS8_4ELb0ES6_15HIP_vector_typeIjLj2EENS0_17counting_iteratorIjlEEPS9_SG_NS0_5tupleIJPjSI_NS0_16reverse_iteratorISI_EEEEENSH_IJSG_SG_SG_EEES9_SI_JZNS1_25segmented_radix_sort_implINS0_14default_configELb0EPK6__halfPSP_PKlPlN2at6native12_GLOBAL__N_18offset_tEEE10hipError_tPvRmT1_PNSt15iterator_traitsIS13_E10value_typeET2_T3_PNS14_IS19_E10value_typeET4_jRbjT5_S1F_jjP12ihipStream_tbEUljE_ZNSN_ISO_Lb0ESR_SS_SU_SV_SZ_EES10_S11_S12_S13_S17_S18_S19_S1C_S1D_jS1E_jS1F_S1F_jjS1H_bEUljE0_EEES10_S11_S12_S19_S1D_S1F_T6_T7_T9_mT8_S1H_bDpT10_ENKUlT_T0_E_clISt17integral_constantIbLb0EES1V_EEDaS1Q_S1R_EUlS1Q_E_NS1_11comp_targetILNS1_3genE8ELNS1_11target_archE1030ELNS1_3gpuE2ELNS1_3repE0EEENS1_30default_config_static_selectorELNS0_4arch9wavefront6targetE1EEEvS13_ ; -- Begin function _ZN7rocprim17ROCPRIM_400000_NS6detail17trampoline_kernelINS0_13select_configILj256ELj13ELNS0_17block_load_methodE3ELS4_3ELS4_3ELNS0_20block_scan_algorithmE0ELj4294967295EEENS1_25partition_config_selectorILNS1_17partition_subalgoE4EjNS0_10empty_typeEbEEZZNS1_14partition_implILS8_4ELb0ES6_15HIP_vector_typeIjLj2EENS0_17counting_iteratorIjlEEPS9_SG_NS0_5tupleIJPjSI_NS0_16reverse_iteratorISI_EEEEENSH_IJSG_SG_SG_EEES9_SI_JZNS1_25segmented_radix_sort_implINS0_14default_configELb0EPK6__halfPSP_PKlPlN2at6native12_GLOBAL__N_18offset_tEEE10hipError_tPvRmT1_PNSt15iterator_traitsIS13_E10value_typeET2_T3_PNS14_IS19_E10value_typeET4_jRbjT5_S1F_jjP12ihipStream_tbEUljE_ZNSN_ISO_Lb0ESR_SS_SU_SV_SZ_EES10_S11_S12_S13_S17_S18_S19_S1C_S1D_jS1E_jS1F_S1F_jjS1H_bEUljE0_EEES10_S11_S12_S19_S1D_S1F_T6_T7_T9_mT8_S1H_bDpT10_ENKUlT_T0_E_clISt17integral_constantIbLb0EES1V_EEDaS1Q_S1R_EUlS1Q_E_NS1_11comp_targetILNS1_3genE8ELNS1_11target_archE1030ELNS1_3gpuE2ELNS1_3repE0EEENS1_30default_config_static_selectorELNS0_4arch9wavefront6targetE1EEEvS13_
	.p2align	8
	.type	_ZN7rocprim17ROCPRIM_400000_NS6detail17trampoline_kernelINS0_13select_configILj256ELj13ELNS0_17block_load_methodE3ELS4_3ELS4_3ELNS0_20block_scan_algorithmE0ELj4294967295EEENS1_25partition_config_selectorILNS1_17partition_subalgoE4EjNS0_10empty_typeEbEEZZNS1_14partition_implILS8_4ELb0ES6_15HIP_vector_typeIjLj2EENS0_17counting_iteratorIjlEEPS9_SG_NS0_5tupleIJPjSI_NS0_16reverse_iteratorISI_EEEEENSH_IJSG_SG_SG_EEES9_SI_JZNS1_25segmented_radix_sort_implINS0_14default_configELb0EPK6__halfPSP_PKlPlN2at6native12_GLOBAL__N_18offset_tEEE10hipError_tPvRmT1_PNSt15iterator_traitsIS13_E10value_typeET2_T3_PNS14_IS19_E10value_typeET4_jRbjT5_S1F_jjP12ihipStream_tbEUljE_ZNSN_ISO_Lb0ESR_SS_SU_SV_SZ_EES10_S11_S12_S13_S17_S18_S19_S1C_S1D_jS1E_jS1F_S1F_jjS1H_bEUljE0_EEES10_S11_S12_S19_S1D_S1F_T6_T7_T9_mT8_S1H_bDpT10_ENKUlT_T0_E_clISt17integral_constantIbLb0EES1V_EEDaS1Q_S1R_EUlS1Q_E_NS1_11comp_targetILNS1_3genE8ELNS1_11target_archE1030ELNS1_3gpuE2ELNS1_3repE0EEENS1_30default_config_static_selectorELNS0_4arch9wavefront6targetE1EEEvS13_,@function
_ZN7rocprim17ROCPRIM_400000_NS6detail17trampoline_kernelINS0_13select_configILj256ELj13ELNS0_17block_load_methodE3ELS4_3ELS4_3ELNS0_20block_scan_algorithmE0ELj4294967295EEENS1_25partition_config_selectorILNS1_17partition_subalgoE4EjNS0_10empty_typeEbEEZZNS1_14partition_implILS8_4ELb0ES6_15HIP_vector_typeIjLj2EENS0_17counting_iteratorIjlEEPS9_SG_NS0_5tupleIJPjSI_NS0_16reverse_iteratorISI_EEEEENSH_IJSG_SG_SG_EEES9_SI_JZNS1_25segmented_radix_sort_implINS0_14default_configELb0EPK6__halfPSP_PKlPlN2at6native12_GLOBAL__N_18offset_tEEE10hipError_tPvRmT1_PNSt15iterator_traitsIS13_E10value_typeET2_T3_PNS14_IS19_E10value_typeET4_jRbjT5_S1F_jjP12ihipStream_tbEUljE_ZNSN_ISO_Lb0ESR_SS_SU_SV_SZ_EES10_S11_S12_S13_S17_S18_S19_S1C_S1D_jS1E_jS1F_S1F_jjS1H_bEUljE0_EEES10_S11_S12_S19_S1D_S1F_T6_T7_T9_mT8_S1H_bDpT10_ENKUlT_T0_E_clISt17integral_constantIbLb0EES1V_EEDaS1Q_S1R_EUlS1Q_E_NS1_11comp_targetILNS1_3genE8ELNS1_11target_archE1030ELNS1_3gpuE2ELNS1_3repE0EEENS1_30default_config_static_selectorELNS0_4arch9wavefront6targetE1EEEvS13_: ; @_ZN7rocprim17ROCPRIM_400000_NS6detail17trampoline_kernelINS0_13select_configILj256ELj13ELNS0_17block_load_methodE3ELS4_3ELS4_3ELNS0_20block_scan_algorithmE0ELj4294967295EEENS1_25partition_config_selectorILNS1_17partition_subalgoE4EjNS0_10empty_typeEbEEZZNS1_14partition_implILS8_4ELb0ES6_15HIP_vector_typeIjLj2EENS0_17counting_iteratorIjlEEPS9_SG_NS0_5tupleIJPjSI_NS0_16reverse_iteratorISI_EEEEENSH_IJSG_SG_SG_EEES9_SI_JZNS1_25segmented_radix_sort_implINS0_14default_configELb0EPK6__halfPSP_PKlPlN2at6native12_GLOBAL__N_18offset_tEEE10hipError_tPvRmT1_PNSt15iterator_traitsIS13_E10value_typeET2_T3_PNS14_IS19_E10value_typeET4_jRbjT5_S1F_jjP12ihipStream_tbEUljE_ZNSN_ISO_Lb0ESR_SS_SU_SV_SZ_EES10_S11_S12_S13_S17_S18_S19_S1C_S1D_jS1E_jS1F_S1F_jjS1H_bEUljE0_EEES10_S11_S12_S19_S1D_S1F_T6_T7_T9_mT8_S1H_bDpT10_ENKUlT_T0_E_clISt17integral_constantIbLb0EES1V_EEDaS1Q_S1R_EUlS1Q_E_NS1_11comp_targetILNS1_3genE8ELNS1_11target_archE1030ELNS1_3gpuE2ELNS1_3repE0EEENS1_30default_config_static_selectorELNS0_4arch9wavefront6targetE1EEEvS13_
; %bb.0:
	.section	.rodata,"a",@progbits
	.p2align	6, 0x0
	.amdhsa_kernel _ZN7rocprim17ROCPRIM_400000_NS6detail17trampoline_kernelINS0_13select_configILj256ELj13ELNS0_17block_load_methodE3ELS4_3ELS4_3ELNS0_20block_scan_algorithmE0ELj4294967295EEENS1_25partition_config_selectorILNS1_17partition_subalgoE4EjNS0_10empty_typeEbEEZZNS1_14partition_implILS8_4ELb0ES6_15HIP_vector_typeIjLj2EENS0_17counting_iteratorIjlEEPS9_SG_NS0_5tupleIJPjSI_NS0_16reverse_iteratorISI_EEEEENSH_IJSG_SG_SG_EEES9_SI_JZNS1_25segmented_radix_sort_implINS0_14default_configELb0EPK6__halfPSP_PKlPlN2at6native12_GLOBAL__N_18offset_tEEE10hipError_tPvRmT1_PNSt15iterator_traitsIS13_E10value_typeET2_T3_PNS14_IS19_E10value_typeET4_jRbjT5_S1F_jjP12ihipStream_tbEUljE_ZNSN_ISO_Lb0ESR_SS_SU_SV_SZ_EES10_S11_S12_S13_S17_S18_S19_S1C_S1D_jS1E_jS1F_S1F_jjS1H_bEUljE0_EEES10_S11_S12_S19_S1D_S1F_T6_T7_T9_mT8_S1H_bDpT10_ENKUlT_T0_E_clISt17integral_constantIbLb0EES1V_EEDaS1Q_S1R_EUlS1Q_E_NS1_11comp_targetILNS1_3genE8ELNS1_11target_archE1030ELNS1_3gpuE2ELNS1_3repE0EEENS1_30default_config_static_selectorELNS0_4arch9wavefront6targetE1EEEvS13_
		.amdhsa_group_segment_fixed_size 0
		.amdhsa_private_segment_fixed_size 0
		.amdhsa_kernarg_size 176
		.amdhsa_user_sgpr_count 6
		.amdhsa_user_sgpr_private_segment_buffer 1
		.amdhsa_user_sgpr_dispatch_ptr 0
		.amdhsa_user_sgpr_queue_ptr 0
		.amdhsa_user_sgpr_kernarg_segment_ptr 1
		.amdhsa_user_sgpr_dispatch_id 0
		.amdhsa_user_sgpr_flat_scratch_init 0
		.amdhsa_user_sgpr_private_segment_size 0
		.amdhsa_uses_dynamic_stack 0
		.amdhsa_system_sgpr_private_segment_wavefront_offset 0
		.amdhsa_system_sgpr_workgroup_id_x 1
		.amdhsa_system_sgpr_workgroup_id_y 0
		.amdhsa_system_sgpr_workgroup_id_z 0
		.amdhsa_system_sgpr_workgroup_info 0
		.amdhsa_system_vgpr_workitem_id 0
		.amdhsa_next_free_vgpr 1
		.amdhsa_next_free_sgpr 0
		.amdhsa_reserve_vcc 0
		.amdhsa_reserve_flat_scratch 0
		.amdhsa_float_round_mode_32 0
		.amdhsa_float_round_mode_16_64 0
		.amdhsa_float_denorm_mode_32 3
		.amdhsa_float_denorm_mode_16_64 3
		.amdhsa_dx10_clamp 1
		.amdhsa_ieee_mode 1
		.amdhsa_fp16_overflow 0
		.amdhsa_exception_fp_ieee_invalid_op 0
		.amdhsa_exception_fp_denorm_src 0
		.amdhsa_exception_fp_ieee_div_zero 0
		.amdhsa_exception_fp_ieee_overflow 0
		.amdhsa_exception_fp_ieee_underflow 0
		.amdhsa_exception_fp_ieee_inexact 0
		.amdhsa_exception_int_div_zero 0
	.end_amdhsa_kernel
	.section	.text._ZN7rocprim17ROCPRIM_400000_NS6detail17trampoline_kernelINS0_13select_configILj256ELj13ELNS0_17block_load_methodE3ELS4_3ELS4_3ELNS0_20block_scan_algorithmE0ELj4294967295EEENS1_25partition_config_selectorILNS1_17partition_subalgoE4EjNS0_10empty_typeEbEEZZNS1_14partition_implILS8_4ELb0ES6_15HIP_vector_typeIjLj2EENS0_17counting_iteratorIjlEEPS9_SG_NS0_5tupleIJPjSI_NS0_16reverse_iteratorISI_EEEEENSH_IJSG_SG_SG_EEES9_SI_JZNS1_25segmented_radix_sort_implINS0_14default_configELb0EPK6__halfPSP_PKlPlN2at6native12_GLOBAL__N_18offset_tEEE10hipError_tPvRmT1_PNSt15iterator_traitsIS13_E10value_typeET2_T3_PNS14_IS19_E10value_typeET4_jRbjT5_S1F_jjP12ihipStream_tbEUljE_ZNSN_ISO_Lb0ESR_SS_SU_SV_SZ_EES10_S11_S12_S13_S17_S18_S19_S1C_S1D_jS1E_jS1F_S1F_jjS1H_bEUljE0_EEES10_S11_S12_S19_S1D_S1F_T6_T7_T9_mT8_S1H_bDpT10_ENKUlT_T0_E_clISt17integral_constantIbLb0EES1V_EEDaS1Q_S1R_EUlS1Q_E_NS1_11comp_targetILNS1_3genE8ELNS1_11target_archE1030ELNS1_3gpuE2ELNS1_3repE0EEENS1_30default_config_static_selectorELNS0_4arch9wavefront6targetE1EEEvS13_,"axG",@progbits,_ZN7rocprim17ROCPRIM_400000_NS6detail17trampoline_kernelINS0_13select_configILj256ELj13ELNS0_17block_load_methodE3ELS4_3ELS4_3ELNS0_20block_scan_algorithmE0ELj4294967295EEENS1_25partition_config_selectorILNS1_17partition_subalgoE4EjNS0_10empty_typeEbEEZZNS1_14partition_implILS8_4ELb0ES6_15HIP_vector_typeIjLj2EENS0_17counting_iteratorIjlEEPS9_SG_NS0_5tupleIJPjSI_NS0_16reverse_iteratorISI_EEEEENSH_IJSG_SG_SG_EEES9_SI_JZNS1_25segmented_radix_sort_implINS0_14default_configELb0EPK6__halfPSP_PKlPlN2at6native12_GLOBAL__N_18offset_tEEE10hipError_tPvRmT1_PNSt15iterator_traitsIS13_E10value_typeET2_T3_PNS14_IS19_E10value_typeET4_jRbjT5_S1F_jjP12ihipStream_tbEUljE_ZNSN_ISO_Lb0ESR_SS_SU_SV_SZ_EES10_S11_S12_S13_S17_S18_S19_S1C_S1D_jS1E_jS1F_S1F_jjS1H_bEUljE0_EEES10_S11_S12_S19_S1D_S1F_T6_T7_T9_mT8_S1H_bDpT10_ENKUlT_T0_E_clISt17integral_constantIbLb0EES1V_EEDaS1Q_S1R_EUlS1Q_E_NS1_11comp_targetILNS1_3genE8ELNS1_11target_archE1030ELNS1_3gpuE2ELNS1_3repE0EEENS1_30default_config_static_selectorELNS0_4arch9wavefront6targetE1EEEvS13_,comdat
.Lfunc_end1785:
	.size	_ZN7rocprim17ROCPRIM_400000_NS6detail17trampoline_kernelINS0_13select_configILj256ELj13ELNS0_17block_load_methodE3ELS4_3ELS4_3ELNS0_20block_scan_algorithmE0ELj4294967295EEENS1_25partition_config_selectorILNS1_17partition_subalgoE4EjNS0_10empty_typeEbEEZZNS1_14partition_implILS8_4ELb0ES6_15HIP_vector_typeIjLj2EENS0_17counting_iteratorIjlEEPS9_SG_NS0_5tupleIJPjSI_NS0_16reverse_iteratorISI_EEEEENSH_IJSG_SG_SG_EEES9_SI_JZNS1_25segmented_radix_sort_implINS0_14default_configELb0EPK6__halfPSP_PKlPlN2at6native12_GLOBAL__N_18offset_tEEE10hipError_tPvRmT1_PNSt15iterator_traitsIS13_E10value_typeET2_T3_PNS14_IS19_E10value_typeET4_jRbjT5_S1F_jjP12ihipStream_tbEUljE_ZNSN_ISO_Lb0ESR_SS_SU_SV_SZ_EES10_S11_S12_S13_S17_S18_S19_S1C_S1D_jS1E_jS1F_S1F_jjS1H_bEUljE0_EEES10_S11_S12_S19_S1D_S1F_T6_T7_T9_mT8_S1H_bDpT10_ENKUlT_T0_E_clISt17integral_constantIbLb0EES1V_EEDaS1Q_S1R_EUlS1Q_E_NS1_11comp_targetILNS1_3genE8ELNS1_11target_archE1030ELNS1_3gpuE2ELNS1_3repE0EEENS1_30default_config_static_selectorELNS0_4arch9wavefront6targetE1EEEvS13_, .Lfunc_end1785-_ZN7rocprim17ROCPRIM_400000_NS6detail17trampoline_kernelINS0_13select_configILj256ELj13ELNS0_17block_load_methodE3ELS4_3ELS4_3ELNS0_20block_scan_algorithmE0ELj4294967295EEENS1_25partition_config_selectorILNS1_17partition_subalgoE4EjNS0_10empty_typeEbEEZZNS1_14partition_implILS8_4ELb0ES6_15HIP_vector_typeIjLj2EENS0_17counting_iteratorIjlEEPS9_SG_NS0_5tupleIJPjSI_NS0_16reverse_iteratorISI_EEEEENSH_IJSG_SG_SG_EEES9_SI_JZNS1_25segmented_radix_sort_implINS0_14default_configELb0EPK6__halfPSP_PKlPlN2at6native12_GLOBAL__N_18offset_tEEE10hipError_tPvRmT1_PNSt15iterator_traitsIS13_E10value_typeET2_T3_PNS14_IS19_E10value_typeET4_jRbjT5_S1F_jjP12ihipStream_tbEUljE_ZNSN_ISO_Lb0ESR_SS_SU_SV_SZ_EES10_S11_S12_S13_S17_S18_S19_S1C_S1D_jS1E_jS1F_S1F_jjS1H_bEUljE0_EEES10_S11_S12_S19_S1D_S1F_T6_T7_T9_mT8_S1H_bDpT10_ENKUlT_T0_E_clISt17integral_constantIbLb0EES1V_EEDaS1Q_S1R_EUlS1Q_E_NS1_11comp_targetILNS1_3genE8ELNS1_11target_archE1030ELNS1_3gpuE2ELNS1_3repE0EEENS1_30default_config_static_selectorELNS0_4arch9wavefront6targetE1EEEvS13_
                                        ; -- End function
	.set _ZN7rocprim17ROCPRIM_400000_NS6detail17trampoline_kernelINS0_13select_configILj256ELj13ELNS0_17block_load_methodE3ELS4_3ELS4_3ELNS0_20block_scan_algorithmE0ELj4294967295EEENS1_25partition_config_selectorILNS1_17partition_subalgoE4EjNS0_10empty_typeEbEEZZNS1_14partition_implILS8_4ELb0ES6_15HIP_vector_typeIjLj2EENS0_17counting_iteratorIjlEEPS9_SG_NS0_5tupleIJPjSI_NS0_16reverse_iteratorISI_EEEEENSH_IJSG_SG_SG_EEES9_SI_JZNS1_25segmented_radix_sort_implINS0_14default_configELb0EPK6__halfPSP_PKlPlN2at6native12_GLOBAL__N_18offset_tEEE10hipError_tPvRmT1_PNSt15iterator_traitsIS13_E10value_typeET2_T3_PNS14_IS19_E10value_typeET4_jRbjT5_S1F_jjP12ihipStream_tbEUljE_ZNSN_ISO_Lb0ESR_SS_SU_SV_SZ_EES10_S11_S12_S13_S17_S18_S19_S1C_S1D_jS1E_jS1F_S1F_jjS1H_bEUljE0_EEES10_S11_S12_S19_S1D_S1F_T6_T7_T9_mT8_S1H_bDpT10_ENKUlT_T0_E_clISt17integral_constantIbLb0EES1V_EEDaS1Q_S1R_EUlS1Q_E_NS1_11comp_targetILNS1_3genE8ELNS1_11target_archE1030ELNS1_3gpuE2ELNS1_3repE0EEENS1_30default_config_static_selectorELNS0_4arch9wavefront6targetE1EEEvS13_.num_vgpr, 0
	.set _ZN7rocprim17ROCPRIM_400000_NS6detail17trampoline_kernelINS0_13select_configILj256ELj13ELNS0_17block_load_methodE3ELS4_3ELS4_3ELNS0_20block_scan_algorithmE0ELj4294967295EEENS1_25partition_config_selectorILNS1_17partition_subalgoE4EjNS0_10empty_typeEbEEZZNS1_14partition_implILS8_4ELb0ES6_15HIP_vector_typeIjLj2EENS0_17counting_iteratorIjlEEPS9_SG_NS0_5tupleIJPjSI_NS0_16reverse_iteratorISI_EEEEENSH_IJSG_SG_SG_EEES9_SI_JZNS1_25segmented_radix_sort_implINS0_14default_configELb0EPK6__halfPSP_PKlPlN2at6native12_GLOBAL__N_18offset_tEEE10hipError_tPvRmT1_PNSt15iterator_traitsIS13_E10value_typeET2_T3_PNS14_IS19_E10value_typeET4_jRbjT5_S1F_jjP12ihipStream_tbEUljE_ZNSN_ISO_Lb0ESR_SS_SU_SV_SZ_EES10_S11_S12_S13_S17_S18_S19_S1C_S1D_jS1E_jS1F_S1F_jjS1H_bEUljE0_EEES10_S11_S12_S19_S1D_S1F_T6_T7_T9_mT8_S1H_bDpT10_ENKUlT_T0_E_clISt17integral_constantIbLb0EES1V_EEDaS1Q_S1R_EUlS1Q_E_NS1_11comp_targetILNS1_3genE8ELNS1_11target_archE1030ELNS1_3gpuE2ELNS1_3repE0EEENS1_30default_config_static_selectorELNS0_4arch9wavefront6targetE1EEEvS13_.num_agpr, 0
	.set _ZN7rocprim17ROCPRIM_400000_NS6detail17trampoline_kernelINS0_13select_configILj256ELj13ELNS0_17block_load_methodE3ELS4_3ELS4_3ELNS0_20block_scan_algorithmE0ELj4294967295EEENS1_25partition_config_selectorILNS1_17partition_subalgoE4EjNS0_10empty_typeEbEEZZNS1_14partition_implILS8_4ELb0ES6_15HIP_vector_typeIjLj2EENS0_17counting_iteratorIjlEEPS9_SG_NS0_5tupleIJPjSI_NS0_16reverse_iteratorISI_EEEEENSH_IJSG_SG_SG_EEES9_SI_JZNS1_25segmented_radix_sort_implINS0_14default_configELb0EPK6__halfPSP_PKlPlN2at6native12_GLOBAL__N_18offset_tEEE10hipError_tPvRmT1_PNSt15iterator_traitsIS13_E10value_typeET2_T3_PNS14_IS19_E10value_typeET4_jRbjT5_S1F_jjP12ihipStream_tbEUljE_ZNSN_ISO_Lb0ESR_SS_SU_SV_SZ_EES10_S11_S12_S13_S17_S18_S19_S1C_S1D_jS1E_jS1F_S1F_jjS1H_bEUljE0_EEES10_S11_S12_S19_S1D_S1F_T6_T7_T9_mT8_S1H_bDpT10_ENKUlT_T0_E_clISt17integral_constantIbLb0EES1V_EEDaS1Q_S1R_EUlS1Q_E_NS1_11comp_targetILNS1_3genE8ELNS1_11target_archE1030ELNS1_3gpuE2ELNS1_3repE0EEENS1_30default_config_static_selectorELNS0_4arch9wavefront6targetE1EEEvS13_.numbered_sgpr, 0
	.set _ZN7rocprim17ROCPRIM_400000_NS6detail17trampoline_kernelINS0_13select_configILj256ELj13ELNS0_17block_load_methodE3ELS4_3ELS4_3ELNS0_20block_scan_algorithmE0ELj4294967295EEENS1_25partition_config_selectorILNS1_17partition_subalgoE4EjNS0_10empty_typeEbEEZZNS1_14partition_implILS8_4ELb0ES6_15HIP_vector_typeIjLj2EENS0_17counting_iteratorIjlEEPS9_SG_NS0_5tupleIJPjSI_NS0_16reverse_iteratorISI_EEEEENSH_IJSG_SG_SG_EEES9_SI_JZNS1_25segmented_radix_sort_implINS0_14default_configELb0EPK6__halfPSP_PKlPlN2at6native12_GLOBAL__N_18offset_tEEE10hipError_tPvRmT1_PNSt15iterator_traitsIS13_E10value_typeET2_T3_PNS14_IS19_E10value_typeET4_jRbjT5_S1F_jjP12ihipStream_tbEUljE_ZNSN_ISO_Lb0ESR_SS_SU_SV_SZ_EES10_S11_S12_S13_S17_S18_S19_S1C_S1D_jS1E_jS1F_S1F_jjS1H_bEUljE0_EEES10_S11_S12_S19_S1D_S1F_T6_T7_T9_mT8_S1H_bDpT10_ENKUlT_T0_E_clISt17integral_constantIbLb0EES1V_EEDaS1Q_S1R_EUlS1Q_E_NS1_11comp_targetILNS1_3genE8ELNS1_11target_archE1030ELNS1_3gpuE2ELNS1_3repE0EEENS1_30default_config_static_selectorELNS0_4arch9wavefront6targetE1EEEvS13_.num_named_barrier, 0
	.set _ZN7rocprim17ROCPRIM_400000_NS6detail17trampoline_kernelINS0_13select_configILj256ELj13ELNS0_17block_load_methodE3ELS4_3ELS4_3ELNS0_20block_scan_algorithmE0ELj4294967295EEENS1_25partition_config_selectorILNS1_17partition_subalgoE4EjNS0_10empty_typeEbEEZZNS1_14partition_implILS8_4ELb0ES6_15HIP_vector_typeIjLj2EENS0_17counting_iteratorIjlEEPS9_SG_NS0_5tupleIJPjSI_NS0_16reverse_iteratorISI_EEEEENSH_IJSG_SG_SG_EEES9_SI_JZNS1_25segmented_radix_sort_implINS0_14default_configELb0EPK6__halfPSP_PKlPlN2at6native12_GLOBAL__N_18offset_tEEE10hipError_tPvRmT1_PNSt15iterator_traitsIS13_E10value_typeET2_T3_PNS14_IS19_E10value_typeET4_jRbjT5_S1F_jjP12ihipStream_tbEUljE_ZNSN_ISO_Lb0ESR_SS_SU_SV_SZ_EES10_S11_S12_S13_S17_S18_S19_S1C_S1D_jS1E_jS1F_S1F_jjS1H_bEUljE0_EEES10_S11_S12_S19_S1D_S1F_T6_T7_T9_mT8_S1H_bDpT10_ENKUlT_T0_E_clISt17integral_constantIbLb0EES1V_EEDaS1Q_S1R_EUlS1Q_E_NS1_11comp_targetILNS1_3genE8ELNS1_11target_archE1030ELNS1_3gpuE2ELNS1_3repE0EEENS1_30default_config_static_selectorELNS0_4arch9wavefront6targetE1EEEvS13_.private_seg_size, 0
	.set _ZN7rocprim17ROCPRIM_400000_NS6detail17trampoline_kernelINS0_13select_configILj256ELj13ELNS0_17block_load_methodE3ELS4_3ELS4_3ELNS0_20block_scan_algorithmE0ELj4294967295EEENS1_25partition_config_selectorILNS1_17partition_subalgoE4EjNS0_10empty_typeEbEEZZNS1_14partition_implILS8_4ELb0ES6_15HIP_vector_typeIjLj2EENS0_17counting_iteratorIjlEEPS9_SG_NS0_5tupleIJPjSI_NS0_16reverse_iteratorISI_EEEEENSH_IJSG_SG_SG_EEES9_SI_JZNS1_25segmented_radix_sort_implINS0_14default_configELb0EPK6__halfPSP_PKlPlN2at6native12_GLOBAL__N_18offset_tEEE10hipError_tPvRmT1_PNSt15iterator_traitsIS13_E10value_typeET2_T3_PNS14_IS19_E10value_typeET4_jRbjT5_S1F_jjP12ihipStream_tbEUljE_ZNSN_ISO_Lb0ESR_SS_SU_SV_SZ_EES10_S11_S12_S13_S17_S18_S19_S1C_S1D_jS1E_jS1F_S1F_jjS1H_bEUljE0_EEES10_S11_S12_S19_S1D_S1F_T6_T7_T9_mT8_S1H_bDpT10_ENKUlT_T0_E_clISt17integral_constantIbLb0EES1V_EEDaS1Q_S1R_EUlS1Q_E_NS1_11comp_targetILNS1_3genE8ELNS1_11target_archE1030ELNS1_3gpuE2ELNS1_3repE0EEENS1_30default_config_static_selectorELNS0_4arch9wavefront6targetE1EEEvS13_.uses_vcc, 0
	.set _ZN7rocprim17ROCPRIM_400000_NS6detail17trampoline_kernelINS0_13select_configILj256ELj13ELNS0_17block_load_methodE3ELS4_3ELS4_3ELNS0_20block_scan_algorithmE0ELj4294967295EEENS1_25partition_config_selectorILNS1_17partition_subalgoE4EjNS0_10empty_typeEbEEZZNS1_14partition_implILS8_4ELb0ES6_15HIP_vector_typeIjLj2EENS0_17counting_iteratorIjlEEPS9_SG_NS0_5tupleIJPjSI_NS0_16reverse_iteratorISI_EEEEENSH_IJSG_SG_SG_EEES9_SI_JZNS1_25segmented_radix_sort_implINS0_14default_configELb0EPK6__halfPSP_PKlPlN2at6native12_GLOBAL__N_18offset_tEEE10hipError_tPvRmT1_PNSt15iterator_traitsIS13_E10value_typeET2_T3_PNS14_IS19_E10value_typeET4_jRbjT5_S1F_jjP12ihipStream_tbEUljE_ZNSN_ISO_Lb0ESR_SS_SU_SV_SZ_EES10_S11_S12_S13_S17_S18_S19_S1C_S1D_jS1E_jS1F_S1F_jjS1H_bEUljE0_EEES10_S11_S12_S19_S1D_S1F_T6_T7_T9_mT8_S1H_bDpT10_ENKUlT_T0_E_clISt17integral_constantIbLb0EES1V_EEDaS1Q_S1R_EUlS1Q_E_NS1_11comp_targetILNS1_3genE8ELNS1_11target_archE1030ELNS1_3gpuE2ELNS1_3repE0EEENS1_30default_config_static_selectorELNS0_4arch9wavefront6targetE1EEEvS13_.uses_flat_scratch, 0
	.set _ZN7rocprim17ROCPRIM_400000_NS6detail17trampoline_kernelINS0_13select_configILj256ELj13ELNS0_17block_load_methodE3ELS4_3ELS4_3ELNS0_20block_scan_algorithmE0ELj4294967295EEENS1_25partition_config_selectorILNS1_17partition_subalgoE4EjNS0_10empty_typeEbEEZZNS1_14partition_implILS8_4ELb0ES6_15HIP_vector_typeIjLj2EENS0_17counting_iteratorIjlEEPS9_SG_NS0_5tupleIJPjSI_NS0_16reverse_iteratorISI_EEEEENSH_IJSG_SG_SG_EEES9_SI_JZNS1_25segmented_radix_sort_implINS0_14default_configELb0EPK6__halfPSP_PKlPlN2at6native12_GLOBAL__N_18offset_tEEE10hipError_tPvRmT1_PNSt15iterator_traitsIS13_E10value_typeET2_T3_PNS14_IS19_E10value_typeET4_jRbjT5_S1F_jjP12ihipStream_tbEUljE_ZNSN_ISO_Lb0ESR_SS_SU_SV_SZ_EES10_S11_S12_S13_S17_S18_S19_S1C_S1D_jS1E_jS1F_S1F_jjS1H_bEUljE0_EEES10_S11_S12_S19_S1D_S1F_T6_T7_T9_mT8_S1H_bDpT10_ENKUlT_T0_E_clISt17integral_constantIbLb0EES1V_EEDaS1Q_S1R_EUlS1Q_E_NS1_11comp_targetILNS1_3genE8ELNS1_11target_archE1030ELNS1_3gpuE2ELNS1_3repE0EEENS1_30default_config_static_selectorELNS0_4arch9wavefront6targetE1EEEvS13_.has_dyn_sized_stack, 0
	.set _ZN7rocprim17ROCPRIM_400000_NS6detail17trampoline_kernelINS0_13select_configILj256ELj13ELNS0_17block_load_methodE3ELS4_3ELS4_3ELNS0_20block_scan_algorithmE0ELj4294967295EEENS1_25partition_config_selectorILNS1_17partition_subalgoE4EjNS0_10empty_typeEbEEZZNS1_14partition_implILS8_4ELb0ES6_15HIP_vector_typeIjLj2EENS0_17counting_iteratorIjlEEPS9_SG_NS0_5tupleIJPjSI_NS0_16reverse_iteratorISI_EEEEENSH_IJSG_SG_SG_EEES9_SI_JZNS1_25segmented_radix_sort_implINS0_14default_configELb0EPK6__halfPSP_PKlPlN2at6native12_GLOBAL__N_18offset_tEEE10hipError_tPvRmT1_PNSt15iterator_traitsIS13_E10value_typeET2_T3_PNS14_IS19_E10value_typeET4_jRbjT5_S1F_jjP12ihipStream_tbEUljE_ZNSN_ISO_Lb0ESR_SS_SU_SV_SZ_EES10_S11_S12_S13_S17_S18_S19_S1C_S1D_jS1E_jS1F_S1F_jjS1H_bEUljE0_EEES10_S11_S12_S19_S1D_S1F_T6_T7_T9_mT8_S1H_bDpT10_ENKUlT_T0_E_clISt17integral_constantIbLb0EES1V_EEDaS1Q_S1R_EUlS1Q_E_NS1_11comp_targetILNS1_3genE8ELNS1_11target_archE1030ELNS1_3gpuE2ELNS1_3repE0EEENS1_30default_config_static_selectorELNS0_4arch9wavefront6targetE1EEEvS13_.has_recursion, 0
	.set _ZN7rocprim17ROCPRIM_400000_NS6detail17trampoline_kernelINS0_13select_configILj256ELj13ELNS0_17block_load_methodE3ELS4_3ELS4_3ELNS0_20block_scan_algorithmE0ELj4294967295EEENS1_25partition_config_selectorILNS1_17partition_subalgoE4EjNS0_10empty_typeEbEEZZNS1_14partition_implILS8_4ELb0ES6_15HIP_vector_typeIjLj2EENS0_17counting_iteratorIjlEEPS9_SG_NS0_5tupleIJPjSI_NS0_16reverse_iteratorISI_EEEEENSH_IJSG_SG_SG_EEES9_SI_JZNS1_25segmented_radix_sort_implINS0_14default_configELb0EPK6__halfPSP_PKlPlN2at6native12_GLOBAL__N_18offset_tEEE10hipError_tPvRmT1_PNSt15iterator_traitsIS13_E10value_typeET2_T3_PNS14_IS19_E10value_typeET4_jRbjT5_S1F_jjP12ihipStream_tbEUljE_ZNSN_ISO_Lb0ESR_SS_SU_SV_SZ_EES10_S11_S12_S13_S17_S18_S19_S1C_S1D_jS1E_jS1F_S1F_jjS1H_bEUljE0_EEES10_S11_S12_S19_S1D_S1F_T6_T7_T9_mT8_S1H_bDpT10_ENKUlT_T0_E_clISt17integral_constantIbLb0EES1V_EEDaS1Q_S1R_EUlS1Q_E_NS1_11comp_targetILNS1_3genE8ELNS1_11target_archE1030ELNS1_3gpuE2ELNS1_3repE0EEENS1_30default_config_static_selectorELNS0_4arch9wavefront6targetE1EEEvS13_.has_indirect_call, 0
	.section	.AMDGPU.csdata,"",@progbits
; Kernel info:
; codeLenInByte = 0
; TotalNumSgprs: 4
; NumVgprs: 0
; ScratchSize: 0
; MemoryBound: 0
; FloatMode: 240
; IeeeMode: 1
; LDSByteSize: 0 bytes/workgroup (compile time only)
; SGPRBlocks: 0
; VGPRBlocks: 0
; NumSGPRsForWavesPerEU: 4
; NumVGPRsForWavesPerEU: 1
; Occupancy: 10
; WaveLimiterHint : 0
; COMPUTE_PGM_RSRC2:SCRATCH_EN: 0
; COMPUTE_PGM_RSRC2:USER_SGPR: 6
; COMPUTE_PGM_RSRC2:TRAP_HANDLER: 0
; COMPUTE_PGM_RSRC2:TGID_X_EN: 1
; COMPUTE_PGM_RSRC2:TGID_Y_EN: 0
; COMPUTE_PGM_RSRC2:TGID_Z_EN: 0
; COMPUTE_PGM_RSRC2:TIDIG_COMP_CNT: 0
	.section	.text._ZN7rocprim17ROCPRIM_400000_NS6detail17trampoline_kernelINS0_13select_configILj256ELj13ELNS0_17block_load_methodE3ELS4_3ELS4_3ELNS0_20block_scan_algorithmE0ELj4294967295EEENS1_25partition_config_selectorILNS1_17partition_subalgoE4EjNS0_10empty_typeEbEEZZNS1_14partition_implILS8_4ELb0ES6_15HIP_vector_typeIjLj2EENS0_17counting_iteratorIjlEEPS9_SG_NS0_5tupleIJPjSI_NS0_16reverse_iteratorISI_EEEEENSH_IJSG_SG_SG_EEES9_SI_JZNS1_25segmented_radix_sort_implINS0_14default_configELb0EPK6__halfPSP_PKlPlN2at6native12_GLOBAL__N_18offset_tEEE10hipError_tPvRmT1_PNSt15iterator_traitsIS13_E10value_typeET2_T3_PNS14_IS19_E10value_typeET4_jRbjT5_S1F_jjP12ihipStream_tbEUljE_ZNSN_ISO_Lb0ESR_SS_SU_SV_SZ_EES10_S11_S12_S13_S17_S18_S19_S1C_S1D_jS1E_jS1F_S1F_jjS1H_bEUljE0_EEES10_S11_S12_S19_S1D_S1F_T6_T7_T9_mT8_S1H_bDpT10_ENKUlT_T0_E_clISt17integral_constantIbLb1EES1V_EEDaS1Q_S1R_EUlS1Q_E_NS1_11comp_targetILNS1_3genE0ELNS1_11target_archE4294967295ELNS1_3gpuE0ELNS1_3repE0EEENS1_30default_config_static_selectorELNS0_4arch9wavefront6targetE1EEEvS13_,"axG",@progbits,_ZN7rocprim17ROCPRIM_400000_NS6detail17trampoline_kernelINS0_13select_configILj256ELj13ELNS0_17block_load_methodE3ELS4_3ELS4_3ELNS0_20block_scan_algorithmE0ELj4294967295EEENS1_25partition_config_selectorILNS1_17partition_subalgoE4EjNS0_10empty_typeEbEEZZNS1_14partition_implILS8_4ELb0ES6_15HIP_vector_typeIjLj2EENS0_17counting_iteratorIjlEEPS9_SG_NS0_5tupleIJPjSI_NS0_16reverse_iteratorISI_EEEEENSH_IJSG_SG_SG_EEES9_SI_JZNS1_25segmented_radix_sort_implINS0_14default_configELb0EPK6__halfPSP_PKlPlN2at6native12_GLOBAL__N_18offset_tEEE10hipError_tPvRmT1_PNSt15iterator_traitsIS13_E10value_typeET2_T3_PNS14_IS19_E10value_typeET4_jRbjT5_S1F_jjP12ihipStream_tbEUljE_ZNSN_ISO_Lb0ESR_SS_SU_SV_SZ_EES10_S11_S12_S13_S17_S18_S19_S1C_S1D_jS1E_jS1F_S1F_jjS1H_bEUljE0_EEES10_S11_S12_S19_S1D_S1F_T6_T7_T9_mT8_S1H_bDpT10_ENKUlT_T0_E_clISt17integral_constantIbLb1EES1V_EEDaS1Q_S1R_EUlS1Q_E_NS1_11comp_targetILNS1_3genE0ELNS1_11target_archE4294967295ELNS1_3gpuE0ELNS1_3repE0EEENS1_30default_config_static_selectorELNS0_4arch9wavefront6targetE1EEEvS13_,comdat
	.globl	_ZN7rocprim17ROCPRIM_400000_NS6detail17trampoline_kernelINS0_13select_configILj256ELj13ELNS0_17block_load_methodE3ELS4_3ELS4_3ELNS0_20block_scan_algorithmE0ELj4294967295EEENS1_25partition_config_selectorILNS1_17partition_subalgoE4EjNS0_10empty_typeEbEEZZNS1_14partition_implILS8_4ELb0ES6_15HIP_vector_typeIjLj2EENS0_17counting_iteratorIjlEEPS9_SG_NS0_5tupleIJPjSI_NS0_16reverse_iteratorISI_EEEEENSH_IJSG_SG_SG_EEES9_SI_JZNS1_25segmented_radix_sort_implINS0_14default_configELb0EPK6__halfPSP_PKlPlN2at6native12_GLOBAL__N_18offset_tEEE10hipError_tPvRmT1_PNSt15iterator_traitsIS13_E10value_typeET2_T3_PNS14_IS19_E10value_typeET4_jRbjT5_S1F_jjP12ihipStream_tbEUljE_ZNSN_ISO_Lb0ESR_SS_SU_SV_SZ_EES10_S11_S12_S13_S17_S18_S19_S1C_S1D_jS1E_jS1F_S1F_jjS1H_bEUljE0_EEES10_S11_S12_S19_S1D_S1F_T6_T7_T9_mT8_S1H_bDpT10_ENKUlT_T0_E_clISt17integral_constantIbLb1EES1V_EEDaS1Q_S1R_EUlS1Q_E_NS1_11comp_targetILNS1_3genE0ELNS1_11target_archE4294967295ELNS1_3gpuE0ELNS1_3repE0EEENS1_30default_config_static_selectorELNS0_4arch9wavefront6targetE1EEEvS13_ ; -- Begin function _ZN7rocprim17ROCPRIM_400000_NS6detail17trampoline_kernelINS0_13select_configILj256ELj13ELNS0_17block_load_methodE3ELS4_3ELS4_3ELNS0_20block_scan_algorithmE0ELj4294967295EEENS1_25partition_config_selectorILNS1_17partition_subalgoE4EjNS0_10empty_typeEbEEZZNS1_14partition_implILS8_4ELb0ES6_15HIP_vector_typeIjLj2EENS0_17counting_iteratorIjlEEPS9_SG_NS0_5tupleIJPjSI_NS0_16reverse_iteratorISI_EEEEENSH_IJSG_SG_SG_EEES9_SI_JZNS1_25segmented_radix_sort_implINS0_14default_configELb0EPK6__halfPSP_PKlPlN2at6native12_GLOBAL__N_18offset_tEEE10hipError_tPvRmT1_PNSt15iterator_traitsIS13_E10value_typeET2_T3_PNS14_IS19_E10value_typeET4_jRbjT5_S1F_jjP12ihipStream_tbEUljE_ZNSN_ISO_Lb0ESR_SS_SU_SV_SZ_EES10_S11_S12_S13_S17_S18_S19_S1C_S1D_jS1E_jS1F_S1F_jjS1H_bEUljE0_EEES10_S11_S12_S19_S1D_S1F_T6_T7_T9_mT8_S1H_bDpT10_ENKUlT_T0_E_clISt17integral_constantIbLb1EES1V_EEDaS1Q_S1R_EUlS1Q_E_NS1_11comp_targetILNS1_3genE0ELNS1_11target_archE4294967295ELNS1_3gpuE0ELNS1_3repE0EEENS1_30default_config_static_selectorELNS0_4arch9wavefront6targetE1EEEvS13_
	.p2align	8
	.type	_ZN7rocprim17ROCPRIM_400000_NS6detail17trampoline_kernelINS0_13select_configILj256ELj13ELNS0_17block_load_methodE3ELS4_3ELS4_3ELNS0_20block_scan_algorithmE0ELj4294967295EEENS1_25partition_config_selectorILNS1_17partition_subalgoE4EjNS0_10empty_typeEbEEZZNS1_14partition_implILS8_4ELb0ES6_15HIP_vector_typeIjLj2EENS0_17counting_iteratorIjlEEPS9_SG_NS0_5tupleIJPjSI_NS0_16reverse_iteratorISI_EEEEENSH_IJSG_SG_SG_EEES9_SI_JZNS1_25segmented_radix_sort_implINS0_14default_configELb0EPK6__halfPSP_PKlPlN2at6native12_GLOBAL__N_18offset_tEEE10hipError_tPvRmT1_PNSt15iterator_traitsIS13_E10value_typeET2_T3_PNS14_IS19_E10value_typeET4_jRbjT5_S1F_jjP12ihipStream_tbEUljE_ZNSN_ISO_Lb0ESR_SS_SU_SV_SZ_EES10_S11_S12_S13_S17_S18_S19_S1C_S1D_jS1E_jS1F_S1F_jjS1H_bEUljE0_EEES10_S11_S12_S19_S1D_S1F_T6_T7_T9_mT8_S1H_bDpT10_ENKUlT_T0_E_clISt17integral_constantIbLb1EES1V_EEDaS1Q_S1R_EUlS1Q_E_NS1_11comp_targetILNS1_3genE0ELNS1_11target_archE4294967295ELNS1_3gpuE0ELNS1_3repE0EEENS1_30default_config_static_selectorELNS0_4arch9wavefront6targetE1EEEvS13_,@function
_ZN7rocprim17ROCPRIM_400000_NS6detail17trampoline_kernelINS0_13select_configILj256ELj13ELNS0_17block_load_methodE3ELS4_3ELS4_3ELNS0_20block_scan_algorithmE0ELj4294967295EEENS1_25partition_config_selectorILNS1_17partition_subalgoE4EjNS0_10empty_typeEbEEZZNS1_14partition_implILS8_4ELb0ES6_15HIP_vector_typeIjLj2EENS0_17counting_iteratorIjlEEPS9_SG_NS0_5tupleIJPjSI_NS0_16reverse_iteratorISI_EEEEENSH_IJSG_SG_SG_EEES9_SI_JZNS1_25segmented_radix_sort_implINS0_14default_configELb0EPK6__halfPSP_PKlPlN2at6native12_GLOBAL__N_18offset_tEEE10hipError_tPvRmT1_PNSt15iterator_traitsIS13_E10value_typeET2_T3_PNS14_IS19_E10value_typeET4_jRbjT5_S1F_jjP12ihipStream_tbEUljE_ZNSN_ISO_Lb0ESR_SS_SU_SV_SZ_EES10_S11_S12_S13_S17_S18_S19_S1C_S1D_jS1E_jS1F_S1F_jjS1H_bEUljE0_EEES10_S11_S12_S19_S1D_S1F_T6_T7_T9_mT8_S1H_bDpT10_ENKUlT_T0_E_clISt17integral_constantIbLb1EES1V_EEDaS1Q_S1R_EUlS1Q_E_NS1_11comp_targetILNS1_3genE0ELNS1_11target_archE4294967295ELNS1_3gpuE0ELNS1_3repE0EEENS1_30default_config_static_selectorELNS0_4arch9wavefront6targetE1EEEvS13_: ; @_ZN7rocprim17ROCPRIM_400000_NS6detail17trampoline_kernelINS0_13select_configILj256ELj13ELNS0_17block_load_methodE3ELS4_3ELS4_3ELNS0_20block_scan_algorithmE0ELj4294967295EEENS1_25partition_config_selectorILNS1_17partition_subalgoE4EjNS0_10empty_typeEbEEZZNS1_14partition_implILS8_4ELb0ES6_15HIP_vector_typeIjLj2EENS0_17counting_iteratorIjlEEPS9_SG_NS0_5tupleIJPjSI_NS0_16reverse_iteratorISI_EEEEENSH_IJSG_SG_SG_EEES9_SI_JZNS1_25segmented_radix_sort_implINS0_14default_configELb0EPK6__halfPSP_PKlPlN2at6native12_GLOBAL__N_18offset_tEEE10hipError_tPvRmT1_PNSt15iterator_traitsIS13_E10value_typeET2_T3_PNS14_IS19_E10value_typeET4_jRbjT5_S1F_jjP12ihipStream_tbEUljE_ZNSN_ISO_Lb0ESR_SS_SU_SV_SZ_EES10_S11_S12_S13_S17_S18_S19_S1C_S1D_jS1E_jS1F_S1F_jjS1H_bEUljE0_EEES10_S11_S12_S19_S1D_S1F_T6_T7_T9_mT8_S1H_bDpT10_ENKUlT_T0_E_clISt17integral_constantIbLb1EES1V_EEDaS1Q_S1R_EUlS1Q_E_NS1_11comp_targetILNS1_3genE0ELNS1_11target_archE4294967295ELNS1_3gpuE0ELNS1_3repE0EEENS1_30default_config_static_selectorELNS0_4arch9wavefront6targetE1EEEvS13_
; %bb.0:
	.section	.rodata,"a",@progbits
	.p2align	6, 0x0
	.amdhsa_kernel _ZN7rocprim17ROCPRIM_400000_NS6detail17trampoline_kernelINS0_13select_configILj256ELj13ELNS0_17block_load_methodE3ELS4_3ELS4_3ELNS0_20block_scan_algorithmE0ELj4294967295EEENS1_25partition_config_selectorILNS1_17partition_subalgoE4EjNS0_10empty_typeEbEEZZNS1_14partition_implILS8_4ELb0ES6_15HIP_vector_typeIjLj2EENS0_17counting_iteratorIjlEEPS9_SG_NS0_5tupleIJPjSI_NS0_16reverse_iteratorISI_EEEEENSH_IJSG_SG_SG_EEES9_SI_JZNS1_25segmented_radix_sort_implINS0_14default_configELb0EPK6__halfPSP_PKlPlN2at6native12_GLOBAL__N_18offset_tEEE10hipError_tPvRmT1_PNSt15iterator_traitsIS13_E10value_typeET2_T3_PNS14_IS19_E10value_typeET4_jRbjT5_S1F_jjP12ihipStream_tbEUljE_ZNSN_ISO_Lb0ESR_SS_SU_SV_SZ_EES10_S11_S12_S13_S17_S18_S19_S1C_S1D_jS1E_jS1F_S1F_jjS1H_bEUljE0_EEES10_S11_S12_S19_S1D_S1F_T6_T7_T9_mT8_S1H_bDpT10_ENKUlT_T0_E_clISt17integral_constantIbLb1EES1V_EEDaS1Q_S1R_EUlS1Q_E_NS1_11comp_targetILNS1_3genE0ELNS1_11target_archE4294967295ELNS1_3gpuE0ELNS1_3repE0EEENS1_30default_config_static_selectorELNS0_4arch9wavefront6targetE1EEEvS13_
		.amdhsa_group_segment_fixed_size 0
		.amdhsa_private_segment_fixed_size 0
		.amdhsa_kernarg_size 184
		.amdhsa_user_sgpr_count 6
		.amdhsa_user_sgpr_private_segment_buffer 1
		.amdhsa_user_sgpr_dispatch_ptr 0
		.amdhsa_user_sgpr_queue_ptr 0
		.amdhsa_user_sgpr_kernarg_segment_ptr 1
		.amdhsa_user_sgpr_dispatch_id 0
		.amdhsa_user_sgpr_flat_scratch_init 0
		.amdhsa_user_sgpr_private_segment_size 0
		.amdhsa_uses_dynamic_stack 0
		.amdhsa_system_sgpr_private_segment_wavefront_offset 0
		.amdhsa_system_sgpr_workgroup_id_x 1
		.amdhsa_system_sgpr_workgroup_id_y 0
		.amdhsa_system_sgpr_workgroup_id_z 0
		.amdhsa_system_sgpr_workgroup_info 0
		.amdhsa_system_vgpr_workitem_id 0
		.amdhsa_next_free_vgpr 1
		.amdhsa_next_free_sgpr 0
		.amdhsa_reserve_vcc 0
		.amdhsa_reserve_flat_scratch 0
		.amdhsa_float_round_mode_32 0
		.amdhsa_float_round_mode_16_64 0
		.amdhsa_float_denorm_mode_32 3
		.amdhsa_float_denorm_mode_16_64 3
		.amdhsa_dx10_clamp 1
		.amdhsa_ieee_mode 1
		.amdhsa_fp16_overflow 0
		.amdhsa_exception_fp_ieee_invalid_op 0
		.amdhsa_exception_fp_denorm_src 0
		.amdhsa_exception_fp_ieee_div_zero 0
		.amdhsa_exception_fp_ieee_overflow 0
		.amdhsa_exception_fp_ieee_underflow 0
		.amdhsa_exception_fp_ieee_inexact 0
		.amdhsa_exception_int_div_zero 0
	.end_amdhsa_kernel
	.section	.text._ZN7rocprim17ROCPRIM_400000_NS6detail17trampoline_kernelINS0_13select_configILj256ELj13ELNS0_17block_load_methodE3ELS4_3ELS4_3ELNS0_20block_scan_algorithmE0ELj4294967295EEENS1_25partition_config_selectorILNS1_17partition_subalgoE4EjNS0_10empty_typeEbEEZZNS1_14partition_implILS8_4ELb0ES6_15HIP_vector_typeIjLj2EENS0_17counting_iteratorIjlEEPS9_SG_NS0_5tupleIJPjSI_NS0_16reverse_iteratorISI_EEEEENSH_IJSG_SG_SG_EEES9_SI_JZNS1_25segmented_radix_sort_implINS0_14default_configELb0EPK6__halfPSP_PKlPlN2at6native12_GLOBAL__N_18offset_tEEE10hipError_tPvRmT1_PNSt15iterator_traitsIS13_E10value_typeET2_T3_PNS14_IS19_E10value_typeET4_jRbjT5_S1F_jjP12ihipStream_tbEUljE_ZNSN_ISO_Lb0ESR_SS_SU_SV_SZ_EES10_S11_S12_S13_S17_S18_S19_S1C_S1D_jS1E_jS1F_S1F_jjS1H_bEUljE0_EEES10_S11_S12_S19_S1D_S1F_T6_T7_T9_mT8_S1H_bDpT10_ENKUlT_T0_E_clISt17integral_constantIbLb1EES1V_EEDaS1Q_S1R_EUlS1Q_E_NS1_11comp_targetILNS1_3genE0ELNS1_11target_archE4294967295ELNS1_3gpuE0ELNS1_3repE0EEENS1_30default_config_static_selectorELNS0_4arch9wavefront6targetE1EEEvS13_,"axG",@progbits,_ZN7rocprim17ROCPRIM_400000_NS6detail17trampoline_kernelINS0_13select_configILj256ELj13ELNS0_17block_load_methodE3ELS4_3ELS4_3ELNS0_20block_scan_algorithmE0ELj4294967295EEENS1_25partition_config_selectorILNS1_17partition_subalgoE4EjNS0_10empty_typeEbEEZZNS1_14partition_implILS8_4ELb0ES6_15HIP_vector_typeIjLj2EENS0_17counting_iteratorIjlEEPS9_SG_NS0_5tupleIJPjSI_NS0_16reverse_iteratorISI_EEEEENSH_IJSG_SG_SG_EEES9_SI_JZNS1_25segmented_radix_sort_implINS0_14default_configELb0EPK6__halfPSP_PKlPlN2at6native12_GLOBAL__N_18offset_tEEE10hipError_tPvRmT1_PNSt15iterator_traitsIS13_E10value_typeET2_T3_PNS14_IS19_E10value_typeET4_jRbjT5_S1F_jjP12ihipStream_tbEUljE_ZNSN_ISO_Lb0ESR_SS_SU_SV_SZ_EES10_S11_S12_S13_S17_S18_S19_S1C_S1D_jS1E_jS1F_S1F_jjS1H_bEUljE0_EEES10_S11_S12_S19_S1D_S1F_T6_T7_T9_mT8_S1H_bDpT10_ENKUlT_T0_E_clISt17integral_constantIbLb1EES1V_EEDaS1Q_S1R_EUlS1Q_E_NS1_11comp_targetILNS1_3genE0ELNS1_11target_archE4294967295ELNS1_3gpuE0ELNS1_3repE0EEENS1_30default_config_static_selectorELNS0_4arch9wavefront6targetE1EEEvS13_,comdat
.Lfunc_end1786:
	.size	_ZN7rocprim17ROCPRIM_400000_NS6detail17trampoline_kernelINS0_13select_configILj256ELj13ELNS0_17block_load_methodE3ELS4_3ELS4_3ELNS0_20block_scan_algorithmE0ELj4294967295EEENS1_25partition_config_selectorILNS1_17partition_subalgoE4EjNS0_10empty_typeEbEEZZNS1_14partition_implILS8_4ELb0ES6_15HIP_vector_typeIjLj2EENS0_17counting_iteratorIjlEEPS9_SG_NS0_5tupleIJPjSI_NS0_16reverse_iteratorISI_EEEEENSH_IJSG_SG_SG_EEES9_SI_JZNS1_25segmented_radix_sort_implINS0_14default_configELb0EPK6__halfPSP_PKlPlN2at6native12_GLOBAL__N_18offset_tEEE10hipError_tPvRmT1_PNSt15iterator_traitsIS13_E10value_typeET2_T3_PNS14_IS19_E10value_typeET4_jRbjT5_S1F_jjP12ihipStream_tbEUljE_ZNSN_ISO_Lb0ESR_SS_SU_SV_SZ_EES10_S11_S12_S13_S17_S18_S19_S1C_S1D_jS1E_jS1F_S1F_jjS1H_bEUljE0_EEES10_S11_S12_S19_S1D_S1F_T6_T7_T9_mT8_S1H_bDpT10_ENKUlT_T0_E_clISt17integral_constantIbLb1EES1V_EEDaS1Q_S1R_EUlS1Q_E_NS1_11comp_targetILNS1_3genE0ELNS1_11target_archE4294967295ELNS1_3gpuE0ELNS1_3repE0EEENS1_30default_config_static_selectorELNS0_4arch9wavefront6targetE1EEEvS13_, .Lfunc_end1786-_ZN7rocprim17ROCPRIM_400000_NS6detail17trampoline_kernelINS0_13select_configILj256ELj13ELNS0_17block_load_methodE3ELS4_3ELS4_3ELNS0_20block_scan_algorithmE0ELj4294967295EEENS1_25partition_config_selectorILNS1_17partition_subalgoE4EjNS0_10empty_typeEbEEZZNS1_14partition_implILS8_4ELb0ES6_15HIP_vector_typeIjLj2EENS0_17counting_iteratorIjlEEPS9_SG_NS0_5tupleIJPjSI_NS0_16reverse_iteratorISI_EEEEENSH_IJSG_SG_SG_EEES9_SI_JZNS1_25segmented_radix_sort_implINS0_14default_configELb0EPK6__halfPSP_PKlPlN2at6native12_GLOBAL__N_18offset_tEEE10hipError_tPvRmT1_PNSt15iterator_traitsIS13_E10value_typeET2_T3_PNS14_IS19_E10value_typeET4_jRbjT5_S1F_jjP12ihipStream_tbEUljE_ZNSN_ISO_Lb0ESR_SS_SU_SV_SZ_EES10_S11_S12_S13_S17_S18_S19_S1C_S1D_jS1E_jS1F_S1F_jjS1H_bEUljE0_EEES10_S11_S12_S19_S1D_S1F_T6_T7_T9_mT8_S1H_bDpT10_ENKUlT_T0_E_clISt17integral_constantIbLb1EES1V_EEDaS1Q_S1R_EUlS1Q_E_NS1_11comp_targetILNS1_3genE0ELNS1_11target_archE4294967295ELNS1_3gpuE0ELNS1_3repE0EEENS1_30default_config_static_selectorELNS0_4arch9wavefront6targetE1EEEvS13_
                                        ; -- End function
	.set _ZN7rocprim17ROCPRIM_400000_NS6detail17trampoline_kernelINS0_13select_configILj256ELj13ELNS0_17block_load_methodE3ELS4_3ELS4_3ELNS0_20block_scan_algorithmE0ELj4294967295EEENS1_25partition_config_selectorILNS1_17partition_subalgoE4EjNS0_10empty_typeEbEEZZNS1_14partition_implILS8_4ELb0ES6_15HIP_vector_typeIjLj2EENS0_17counting_iteratorIjlEEPS9_SG_NS0_5tupleIJPjSI_NS0_16reverse_iteratorISI_EEEEENSH_IJSG_SG_SG_EEES9_SI_JZNS1_25segmented_radix_sort_implINS0_14default_configELb0EPK6__halfPSP_PKlPlN2at6native12_GLOBAL__N_18offset_tEEE10hipError_tPvRmT1_PNSt15iterator_traitsIS13_E10value_typeET2_T3_PNS14_IS19_E10value_typeET4_jRbjT5_S1F_jjP12ihipStream_tbEUljE_ZNSN_ISO_Lb0ESR_SS_SU_SV_SZ_EES10_S11_S12_S13_S17_S18_S19_S1C_S1D_jS1E_jS1F_S1F_jjS1H_bEUljE0_EEES10_S11_S12_S19_S1D_S1F_T6_T7_T9_mT8_S1H_bDpT10_ENKUlT_T0_E_clISt17integral_constantIbLb1EES1V_EEDaS1Q_S1R_EUlS1Q_E_NS1_11comp_targetILNS1_3genE0ELNS1_11target_archE4294967295ELNS1_3gpuE0ELNS1_3repE0EEENS1_30default_config_static_selectorELNS0_4arch9wavefront6targetE1EEEvS13_.num_vgpr, 0
	.set _ZN7rocprim17ROCPRIM_400000_NS6detail17trampoline_kernelINS0_13select_configILj256ELj13ELNS0_17block_load_methodE3ELS4_3ELS4_3ELNS0_20block_scan_algorithmE0ELj4294967295EEENS1_25partition_config_selectorILNS1_17partition_subalgoE4EjNS0_10empty_typeEbEEZZNS1_14partition_implILS8_4ELb0ES6_15HIP_vector_typeIjLj2EENS0_17counting_iteratorIjlEEPS9_SG_NS0_5tupleIJPjSI_NS0_16reverse_iteratorISI_EEEEENSH_IJSG_SG_SG_EEES9_SI_JZNS1_25segmented_radix_sort_implINS0_14default_configELb0EPK6__halfPSP_PKlPlN2at6native12_GLOBAL__N_18offset_tEEE10hipError_tPvRmT1_PNSt15iterator_traitsIS13_E10value_typeET2_T3_PNS14_IS19_E10value_typeET4_jRbjT5_S1F_jjP12ihipStream_tbEUljE_ZNSN_ISO_Lb0ESR_SS_SU_SV_SZ_EES10_S11_S12_S13_S17_S18_S19_S1C_S1D_jS1E_jS1F_S1F_jjS1H_bEUljE0_EEES10_S11_S12_S19_S1D_S1F_T6_T7_T9_mT8_S1H_bDpT10_ENKUlT_T0_E_clISt17integral_constantIbLb1EES1V_EEDaS1Q_S1R_EUlS1Q_E_NS1_11comp_targetILNS1_3genE0ELNS1_11target_archE4294967295ELNS1_3gpuE0ELNS1_3repE0EEENS1_30default_config_static_selectorELNS0_4arch9wavefront6targetE1EEEvS13_.num_agpr, 0
	.set _ZN7rocprim17ROCPRIM_400000_NS6detail17trampoline_kernelINS0_13select_configILj256ELj13ELNS0_17block_load_methodE3ELS4_3ELS4_3ELNS0_20block_scan_algorithmE0ELj4294967295EEENS1_25partition_config_selectorILNS1_17partition_subalgoE4EjNS0_10empty_typeEbEEZZNS1_14partition_implILS8_4ELb0ES6_15HIP_vector_typeIjLj2EENS0_17counting_iteratorIjlEEPS9_SG_NS0_5tupleIJPjSI_NS0_16reverse_iteratorISI_EEEEENSH_IJSG_SG_SG_EEES9_SI_JZNS1_25segmented_radix_sort_implINS0_14default_configELb0EPK6__halfPSP_PKlPlN2at6native12_GLOBAL__N_18offset_tEEE10hipError_tPvRmT1_PNSt15iterator_traitsIS13_E10value_typeET2_T3_PNS14_IS19_E10value_typeET4_jRbjT5_S1F_jjP12ihipStream_tbEUljE_ZNSN_ISO_Lb0ESR_SS_SU_SV_SZ_EES10_S11_S12_S13_S17_S18_S19_S1C_S1D_jS1E_jS1F_S1F_jjS1H_bEUljE0_EEES10_S11_S12_S19_S1D_S1F_T6_T7_T9_mT8_S1H_bDpT10_ENKUlT_T0_E_clISt17integral_constantIbLb1EES1V_EEDaS1Q_S1R_EUlS1Q_E_NS1_11comp_targetILNS1_3genE0ELNS1_11target_archE4294967295ELNS1_3gpuE0ELNS1_3repE0EEENS1_30default_config_static_selectorELNS0_4arch9wavefront6targetE1EEEvS13_.numbered_sgpr, 0
	.set _ZN7rocprim17ROCPRIM_400000_NS6detail17trampoline_kernelINS0_13select_configILj256ELj13ELNS0_17block_load_methodE3ELS4_3ELS4_3ELNS0_20block_scan_algorithmE0ELj4294967295EEENS1_25partition_config_selectorILNS1_17partition_subalgoE4EjNS0_10empty_typeEbEEZZNS1_14partition_implILS8_4ELb0ES6_15HIP_vector_typeIjLj2EENS0_17counting_iteratorIjlEEPS9_SG_NS0_5tupleIJPjSI_NS0_16reverse_iteratorISI_EEEEENSH_IJSG_SG_SG_EEES9_SI_JZNS1_25segmented_radix_sort_implINS0_14default_configELb0EPK6__halfPSP_PKlPlN2at6native12_GLOBAL__N_18offset_tEEE10hipError_tPvRmT1_PNSt15iterator_traitsIS13_E10value_typeET2_T3_PNS14_IS19_E10value_typeET4_jRbjT5_S1F_jjP12ihipStream_tbEUljE_ZNSN_ISO_Lb0ESR_SS_SU_SV_SZ_EES10_S11_S12_S13_S17_S18_S19_S1C_S1D_jS1E_jS1F_S1F_jjS1H_bEUljE0_EEES10_S11_S12_S19_S1D_S1F_T6_T7_T9_mT8_S1H_bDpT10_ENKUlT_T0_E_clISt17integral_constantIbLb1EES1V_EEDaS1Q_S1R_EUlS1Q_E_NS1_11comp_targetILNS1_3genE0ELNS1_11target_archE4294967295ELNS1_3gpuE0ELNS1_3repE0EEENS1_30default_config_static_selectorELNS0_4arch9wavefront6targetE1EEEvS13_.num_named_barrier, 0
	.set _ZN7rocprim17ROCPRIM_400000_NS6detail17trampoline_kernelINS0_13select_configILj256ELj13ELNS0_17block_load_methodE3ELS4_3ELS4_3ELNS0_20block_scan_algorithmE0ELj4294967295EEENS1_25partition_config_selectorILNS1_17partition_subalgoE4EjNS0_10empty_typeEbEEZZNS1_14partition_implILS8_4ELb0ES6_15HIP_vector_typeIjLj2EENS0_17counting_iteratorIjlEEPS9_SG_NS0_5tupleIJPjSI_NS0_16reverse_iteratorISI_EEEEENSH_IJSG_SG_SG_EEES9_SI_JZNS1_25segmented_radix_sort_implINS0_14default_configELb0EPK6__halfPSP_PKlPlN2at6native12_GLOBAL__N_18offset_tEEE10hipError_tPvRmT1_PNSt15iterator_traitsIS13_E10value_typeET2_T3_PNS14_IS19_E10value_typeET4_jRbjT5_S1F_jjP12ihipStream_tbEUljE_ZNSN_ISO_Lb0ESR_SS_SU_SV_SZ_EES10_S11_S12_S13_S17_S18_S19_S1C_S1D_jS1E_jS1F_S1F_jjS1H_bEUljE0_EEES10_S11_S12_S19_S1D_S1F_T6_T7_T9_mT8_S1H_bDpT10_ENKUlT_T0_E_clISt17integral_constantIbLb1EES1V_EEDaS1Q_S1R_EUlS1Q_E_NS1_11comp_targetILNS1_3genE0ELNS1_11target_archE4294967295ELNS1_3gpuE0ELNS1_3repE0EEENS1_30default_config_static_selectorELNS0_4arch9wavefront6targetE1EEEvS13_.private_seg_size, 0
	.set _ZN7rocprim17ROCPRIM_400000_NS6detail17trampoline_kernelINS0_13select_configILj256ELj13ELNS0_17block_load_methodE3ELS4_3ELS4_3ELNS0_20block_scan_algorithmE0ELj4294967295EEENS1_25partition_config_selectorILNS1_17partition_subalgoE4EjNS0_10empty_typeEbEEZZNS1_14partition_implILS8_4ELb0ES6_15HIP_vector_typeIjLj2EENS0_17counting_iteratorIjlEEPS9_SG_NS0_5tupleIJPjSI_NS0_16reverse_iteratorISI_EEEEENSH_IJSG_SG_SG_EEES9_SI_JZNS1_25segmented_radix_sort_implINS0_14default_configELb0EPK6__halfPSP_PKlPlN2at6native12_GLOBAL__N_18offset_tEEE10hipError_tPvRmT1_PNSt15iterator_traitsIS13_E10value_typeET2_T3_PNS14_IS19_E10value_typeET4_jRbjT5_S1F_jjP12ihipStream_tbEUljE_ZNSN_ISO_Lb0ESR_SS_SU_SV_SZ_EES10_S11_S12_S13_S17_S18_S19_S1C_S1D_jS1E_jS1F_S1F_jjS1H_bEUljE0_EEES10_S11_S12_S19_S1D_S1F_T6_T7_T9_mT8_S1H_bDpT10_ENKUlT_T0_E_clISt17integral_constantIbLb1EES1V_EEDaS1Q_S1R_EUlS1Q_E_NS1_11comp_targetILNS1_3genE0ELNS1_11target_archE4294967295ELNS1_3gpuE0ELNS1_3repE0EEENS1_30default_config_static_selectorELNS0_4arch9wavefront6targetE1EEEvS13_.uses_vcc, 0
	.set _ZN7rocprim17ROCPRIM_400000_NS6detail17trampoline_kernelINS0_13select_configILj256ELj13ELNS0_17block_load_methodE3ELS4_3ELS4_3ELNS0_20block_scan_algorithmE0ELj4294967295EEENS1_25partition_config_selectorILNS1_17partition_subalgoE4EjNS0_10empty_typeEbEEZZNS1_14partition_implILS8_4ELb0ES6_15HIP_vector_typeIjLj2EENS0_17counting_iteratorIjlEEPS9_SG_NS0_5tupleIJPjSI_NS0_16reverse_iteratorISI_EEEEENSH_IJSG_SG_SG_EEES9_SI_JZNS1_25segmented_radix_sort_implINS0_14default_configELb0EPK6__halfPSP_PKlPlN2at6native12_GLOBAL__N_18offset_tEEE10hipError_tPvRmT1_PNSt15iterator_traitsIS13_E10value_typeET2_T3_PNS14_IS19_E10value_typeET4_jRbjT5_S1F_jjP12ihipStream_tbEUljE_ZNSN_ISO_Lb0ESR_SS_SU_SV_SZ_EES10_S11_S12_S13_S17_S18_S19_S1C_S1D_jS1E_jS1F_S1F_jjS1H_bEUljE0_EEES10_S11_S12_S19_S1D_S1F_T6_T7_T9_mT8_S1H_bDpT10_ENKUlT_T0_E_clISt17integral_constantIbLb1EES1V_EEDaS1Q_S1R_EUlS1Q_E_NS1_11comp_targetILNS1_3genE0ELNS1_11target_archE4294967295ELNS1_3gpuE0ELNS1_3repE0EEENS1_30default_config_static_selectorELNS0_4arch9wavefront6targetE1EEEvS13_.uses_flat_scratch, 0
	.set _ZN7rocprim17ROCPRIM_400000_NS6detail17trampoline_kernelINS0_13select_configILj256ELj13ELNS0_17block_load_methodE3ELS4_3ELS4_3ELNS0_20block_scan_algorithmE0ELj4294967295EEENS1_25partition_config_selectorILNS1_17partition_subalgoE4EjNS0_10empty_typeEbEEZZNS1_14partition_implILS8_4ELb0ES6_15HIP_vector_typeIjLj2EENS0_17counting_iteratorIjlEEPS9_SG_NS0_5tupleIJPjSI_NS0_16reverse_iteratorISI_EEEEENSH_IJSG_SG_SG_EEES9_SI_JZNS1_25segmented_radix_sort_implINS0_14default_configELb0EPK6__halfPSP_PKlPlN2at6native12_GLOBAL__N_18offset_tEEE10hipError_tPvRmT1_PNSt15iterator_traitsIS13_E10value_typeET2_T3_PNS14_IS19_E10value_typeET4_jRbjT5_S1F_jjP12ihipStream_tbEUljE_ZNSN_ISO_Lb0ESR_SS_SU_SV_SZ_EES10_S11_S12_S13_S17_S18_S19_S1C_S1D_jS1E_jS1F_S1F_jjS1H_bEUljE0_EEES10_S11_S12_S19_S1D_S1F_T6_T7_T9_mT8_S1H_bDpT10_ENKUlT_T0_E_clISt17integral_constantIbLb1EES1V_EEDaS1Q_S1R_EUlS1Q_E_NS1_11comp_targetILNS1_3genE0ELNS1_11target_archE4294967295ELNS1_3gpuE0ELNS1_3repE0EEENS1_30default_config_static_selectorELNS0_4arch9wavefront6targetE1EEEvS13_.has_dyn_sized_stack, 0
	.set _ZN7rocprim17ROCPRIM_400000_NS6detail17trampoline_kernelINS0_13select_configILj256ELj13ELNS0_17block_load_methodE3ELS4_3ELS4_3ELNS0_20block_scan_algorithmE0ELj4294967295EEENS1_25partition_config_selectorILNS1_17partition_subalgoE4EjNS0_10empty_typeEbEEZZNS1_14partition_implILS8_4ELb0ES6_15HIP_vector_typeIjLj2EENS0_17counting_iteratorIjlEEPS9_SG_NS0_5tupleIJPjSI_NS0_16reverse_iteratorISI_EEEEENSH_IJSG_SG_SG_EEES9_SI_JZNS1_25segmented_radix_sort_implINS0_14default_configELb0EPK6__halfPSP_PKlPlN2at6native12_GLOBAL__N_18offset_tEEE10hipError_tPvRmT1_PNSt15iterator_traitsIS13_E10value_typeET2_T3_PNS14_IS19_E10value_typeET4_jRbjT5_S1F_jjP12ihipStream_tbEUljE_ZNSN_ISO_Lb0ESR_SS_SU_SV_SZ_EES10_S11_S12_S13_S17_S18_S19_S1C_S1D_jS1E_jS1F_S1F_jjS1H_bEUljE0_EEES10_S11_S12_S19_S1D_S1F_T6_T7_T9_mT8_S1H_bDpT10_ENKUlT_T0_E_clISt17integral_constantIbLb1EES1V_EEDaS1Q_S1R_EUlS1Q_E_NS1_11comp_targetILNS1_3genE0ELNS1_11target_archE4294967295ELNS1_3gpuE0ELNS1_3repE0EEENS1_30default_config_static_selectorELNS0_4arch9wavefront6targetE1EEEvS13_.has_recursion, 0
	.set _ZN7rocprim17ROCPRIM_400000_NS6detail17trampoline_kernelINS0_13select_configILj256ELj13ELNS0_17block_load_methodE3ELS4_3ELS4_3ELNS0_20block_scan_algorithmE0ELj4294967295EEENS1_25partition_config_selectorILNS1_17partition_subalgoE4EjNS0_10empty_typeEbEEZZNS1_14partition_implILS8_4ELb0ES6_15HIP_vector_typeIjLj2EENS0_17counting_iteratorIjlEEPS9_SG_NS0_5tupleIJPjSI_NS0_16reverse_iteratorISI_EEEEENSH_IJSG_SG_SG_EEES9_SI_JZNS1_25segmented_radix_sort_implINS0_14default_configELb0EPK6__halfPSP_PKlPlN2at6native12_GLOBAL__N_18offset_tEEE10hipError_tPvRmT1_PNSt15iterator_traitsIS13_E10value_typeET2_T3_PNS14_IS19_E10value_typeET4_jRbjT5_S1F_jjP12ihipStream_tbEUljE_ZNSN_ISO_Lb0ESR_SS_SU_SV_SZ_EES10_S11_S12_S13_S17_S18_S19_S1C_S1D_jS1E_jS1F_S1F_jjS1H_bEUljE0_EEES10_S11_S12_S19_S1D_S1F_T6_T7_T9_mT8_S1H_bDpT10_ENKUlT_T0_E_clISt17integral_constantIbLb1EES1V_EEDaS1Q_S1R_EUlS1Q_E_NS1_11comp_targetILNS1_3genE0ELNS1_11target_archE4294967295ELNS1_3gpuE0ELNS1_3repE0EEENS1_30default_config_static_selectorELNS0_4arch9wavefront6targetE1EEEvS13_.has_indirect_call, 0
	.section	.AMDGPU.csdata,"",@progbits
; Kernel info:
; codeLenInByte = 0
; TotalNumSgprs: 4
; NumVgprs: 0
; ScratchSize: 0
; MemoryBound: 0
; FloatMode: 240
; IeeeMode: 1
; LDSByteSize: 0 bytes/workgroup (compile time only)
; SGPRBlocks: 0
; VGPRBlocks: 0
; NumSGPRsForWavesPerEU: 4
; NumVGPRsForWavesPerEU: 1
; Occupancy: 10
; WaveLimiterHint : 0
; COMPUTE_PGM_RSRC2:SCRATCH_EN: 0
; COMPUTE_PGM_RSRC2:USER_SGPR: 6
; COMPUTE_PGM_RSRC2:TRAP_HANDLER: 0
; COMPUTE_PGM_RSRC2:TGID_X_EN: 1
; COMPUTE_PGM_RSRC2:TGID_Y_EN: 0
; COMPUTE_PGM_RSRC2:TGID_Z_EN: 0
; COMPUTE_PGM_RSRC2:TIDIG_COMP_CNT: 0
	.section	.text._ZN7rocprim17ROCPRIM_400000_NS6detail17trampoline_kernelINS0_13select_configILj256ELj13ELNS0_17block_load_methodE3ELS4_3ELS4_3ELNS0_20block_scan_algorithmE0ELj4294967295EEENS1_25partition_config_selectorILNS1_17partition_subalgoE4EjNS0_10empty_typeEbEEZZNS1_14partition_implILS8_4ELb0ES6_15HIP_vector_typeIjLj2EENS0_17counting_iteratorIjlEEPS9_SG_NS0_5tupleIJPjSI_NS0_16reverse_iteratorISI_EEEEENSH_IJSG_SG_SG_EEES9_SI_JZNS1_25segmented_radix_sort_implINS0_14default_configELb0EPK6__halfPSP_PKlPlN2at6native12_GLOBAL__N_18offset_tEEE10hipError_tPvRmT1_PNSt15iterator_traitsIS13_E10value_typeET2_T3_PNS14_IS19_E10value_typeET4_jRbjT5_S1F_jjP12ihipStream_tbEUljE_ZNSN_ISO_Lb0ESR_SS_SU_SV_SZ_EES10_S11_S12_S13_S17_S18_S19_S1C_S1D_jS1E_jS1F_S1F_jjS1H_bEUljE0_EEES10_S11_S12_S19_S1D_S1F_T6_T7_T9_mT8_S1H_bDpT10_ENKUlT_T0_E_clISt17integral_constantIbLb1EES1V_EEDaS1Q_S1R_EUlS1Q_E_NS1_11comp_targetILNS1_3genE5ELNS1_11target_archE942ELNS1_3gpuE9ELNS1_3repE0EEENS1_30default_config_static_selectorELNS0_4arch9wavefront6targetE1EEEvS13_,"axG",@progbits,_ZN7rocprim17ROCPRIM_400000_NS6detail17trampoline_kernelINS0_13select_configILj256ELj13ELNS0_17block_load_methodE3ELS4_3ELS4_3ELNS0_20block_scan_algorithmE0ELj4294967295EEENS1_25partition_config_selectorILNS1_17partition_subalgoE4EjNS0_10empty_typeEbEEZZNS1_14partition_implILS8_4ELb0ES6_15HIP_vector_typeIjLj2EENS0_17counting_iteratorIjlEEPS9_SG_NS0_5tupleIJPjSI_NS0_16reverse_iteratorISI_EEEEENSH_IJSG_SG_SG_EEES9_SI_JZNS1_25segmented_radix_sort_implINS0_14default_configELb0EPK6__halfPSP_PKlPlN2at6native12_GLOBAL__N_18offset_tEEE10hipError_tPvRmT1_PNSt15iterator_traitsIS13_E10value_typeET2_T3_PNS14_IS19_E10value_typeET4_jRbjT5_S1F_jjP12ihipStream_tbEUljE_ZNSN_ISO_Lb0ESR_SS_SU_SV_SZ_EES10_S11_S12_S13_S17_S18_S19_S1C_S1D_jS1E_jS1F_S1F_jjS1H_bEUljE0_EEES10_S11_S12_S19_S1D_S1F_T6_T7_T9_mT8_S1H_bDpT10_ENKUlT_T0_E_clISt17integral_constantIbLb1EES1V_EEDaS1Q_S1R_EUlS1Q_E_NS1_11comp_targetILNS1_3genE5ELNS1_11target_archE942ELNS1_3gpuE9ELNS1_3repE0EEENS1_30default_config_static_selectorELNS0_4arch9wavefront6targetE1EEEvS13_,comdat
	.globl	_ZN7rocprim17ROCPRIM_400000_NS6detail17trampoline_kernelINS0_13select_configILj256ELj13ELNS0_17block_load_methodE3ELS4_3ELS4_3ELNS0_20block_scan_algorithmE0ELj4294967295EEENS1_25partition_config_selectorILNS1_17partition_subalgoE4EjNS0_10empty_typeEbEEZZNS1_14partition_implILS8_4ELb0ES6_15HIP_vector_typeIjLj2EENS0_17counting_iteratorIjlEEPS9_SG_NS0_5tupleIJPjSI_NS0_16reverse_iteratorISI_EEEEENSH_IJSG_SG_SG_EEES9_SI_JZNS1_25segmented_radix_sort_implINS0_14default_configELb0EPK6__halfPSP_PKlPlN2at6native12_GLOBAL__N_18offset_tEEE10hipError_tPvRmT1_PNSt15iterator_traitsIS13_E10value_typeET2_T3_PNS14_IS19_E10value_typeET4_jRbjT5_S1F_jjP12ihipStream_tbEUljE_ZNSN_ISO_Lb0ESR_SS_SU_SV_SZ_EES10_S11_S12_S13_S17_S18_S19_S1C_S1D_jS1E_jS1F_S1F_jjS1H_bEUljE0_EEES10_S11_S12_S19_S1D_S1F_T6_T7_T9_mT8_S1H_bDpT10_ENKUlT_T0_E_clISt17integral_constantIbLb1EES1V_EEDaS1Q_S1R_EUlS1Q_E_NS1_11comp_targetILNS1_3genE5ELNS1_11target_archE942ELNS1_3gpuE9ELNS1_3repE0EEENS1_30default_config_static_selectorELNS0_4arch9wavefront6targetE1EEEvS13_ ; -- Begin function _ZN7rocprim17ROCPRIM_400000_NS6detail17trampoline_kernelINS0_13select_configILj256ELj13ELNS0_17block_load_methodE3ELS4_3ELS4_3ELNS0_20block_scan_algorithmE0ELj4294967295EEENS1_25partition_config_selectorILNS1_17partition_subalgoE4EjNS0_10empty_typeEbEEZZNS1_14partition_implILS8_4ELb0ES6_15HIP_vector_typeIjLj2EENS0_17counting_iteratorIjlEEPS9_SG_NS0_5tupleIJPjSI_NS0_16reverse_iteratorISI_EEEEENSH_IJSG_SG_SG_EEES9_SI_JZNS1_25segmented_radix_sort_implINS0_14default_configELb0EPK6__halfPSP_PKlPlN2at6native12_GLOBAL__N_18offset_tEEE10hipError_tPvRmT1_PNSt15iterator_traitsIS13_E10value_typeET2_T3_PNS14_IS19_E10value_typeET4_jRbjT5_S1F_jjP12ihipStream_tbEUljE_ZNSN_ISO_Lb0ESR_SS_SU_SV_SZ_EES10_S11_S12_S13_S17_S18_S19_S1C_S1D_jS1E_jS1F_S1F_jjS1H_bEUljE0_EEES10_S11_S12_S19_S1D_S1F_T6_T7_T9_mT8_S1H_bDpT10_ENKUlT_T0_E_clISt17integral_constantIbLb1EES1V_EEDaS1Q_S1R_EUlS1Q_E_NS1_11comp_targetILNS1_3genE5ELNS1_11target_archE942ELNS1_3gpuE9ELNS1_3repE0EEENS1_30default_config_static_selectorELNS0_4arch9wavefront6targetE1EEEvS13_
	.p2align	8
	.type	_ZN7rocprim17ROCPRIM_400000_NS6detail17trampoline_kernelINS0_13select_configILj256ELj13ELNS0_17block_load_methodE3ELS4_3ELS4_3ELNS0_20block_scan_algorithmE0ELj4294967295EEENS1_25partition_config_selectorILNS1_17partition_subalgoE4EjNS0_10empty_typeEbEEZZNS1_14partition_implILS8_4ELb0ES6_15HIP_vector_typeIjLj2EENS0_17counting_iteratorIjlEEPS9_SG_NS0_5tupleIJPjSI_NS0_16reverse_iteratorISI_EEEEENSH_IJSG_SG_SG_EEES9_SI_JZNS1_25segmented_radix_sort_implINS0_14default_configELb0EPK6__halfPSP_PKlPlN2at6native12_GLOBAL__N_18offset_tEEE10hipError_tPvRmT1_PNSt15iterator_traitsIS13_E10value_typeET2_T3_PNS14_IS19_E10value_typeET4_jRbjT5_S1F_jjP12ihipStream_tbEUljE_ZNSN_ISO_Lb0ESR_SS_SU_SV_SZ_EES10_S11_S12_S13_S17_S18_S19_S1C_S1D_jS1E_jS1F_S1F_jjS1H_bEUljE0_EEES10_S11_S12_S19_S1D_S1F_T6_T7_T9_mT8_S1H_bDpT10_ENKUlT_T0_E_clISt17integral_constantIbLb1EES1V_EEDaS1Q_S1R_EUlS1Q_E_NS1_11comp_targetILNS1_3genE5ELNS1_11target_archE942ELNS1_3gpuE9ELNS1_3repE0EEENS1_30default_config_static_selectorELNS0_4arch9wavefront6targetE1EEEvS13_,@function
_ZN7rocprim17ROCPRIM_400000_NS6detail17trampoline_kernelINS0_13select_configILj256ELj13ELNS0_17block_load_methodE3ELS4_3ELS4_3ELNS0_20block_scan_algorithmE0ELj4294967295EEENS1_25partition_config_selectorILNS1_17partition_subalgoE4EjNS0_10empty_typeEbEEZZNS1_14partition_implILS8_4ELb0ES6_15HIP_vector_typeIjLj2EENS0_17counting_iteratorIjlEEPS9_SG_NS0_5tupleIJPjSI_NS0_16reverse_iteratorISI_EEEEENSH_IJSG_SG_SG_EEES9_SI_JZNS1_25segmented_radix_sort_implINS0_14default_configELb0EPK6__halfPSP_PKlPlN2at6native12_GLOBAL__N_18offset_tEEE10hipError_tPvRmT1_PNSt15iterator_traitsIS13_E10value_typeET2_T3_PNS14_IS19_E10value_typeET4_jRbjT5_S1F_jjP12ihipStream_tbEUljE_ZNSN_ISO_Lb0ESR_SS_SU_SV_SZ_EES10_S11_S12_S13_S17_S18_S19_S1C_S1D_jS1E_jS1F_S1F_jjS1H_bEUljE0_EEES10_S11_S12_S19_S1D_S1F_T6_T7_T9_mT8_S1H_bDpT10_ENKUlT_T0_E_clISt17integral_constantIbLb1EES1V_EEDaS1Q_S1R_EUlS1Q_E_NS1_11comp_targetILNS1_3genE5ELNS1_11target_archE942ELNS1_3gpuE9ELNS1_3repE0EEENS1_30default_config_static_selectorELNS0_4arch9wavefront6targetE1EEEvS13_: ; @_ZN7rocprim17ROCPRIM_400000_NS6detail17trampoline_kernelINS0_13select_configILj256ELj13ELNS0_17block_load_methodE3ELS4_3ELS4_3ELNS0_20block_scan_algorithmE0ELj4294967295EEENS1_25partition_config_selectorILNS1_17partition_subalgoE4EjNS0_10empty_typeEbEEZZNS1_14partition_implILS8_4ELb0ES6_15HIP_vector_typeIjLj2EENS0_17counting_iteratorIjlEEPS9_SG_NS0_5tupleIJPjSI_NS0_16reverse_iteratorISI_EEEEENSH_IJSG_SG_SG_EEES9_SI_JZNS1_25segmented_radix_sort_implINS0_14default_configELb0EPK6__halfPSP_PKlPlN2at6native12_GLOBAL__N_18offset_tEEE10hipError_tPvRmT1_PNSt15iterator_traitsIS13_E10value_typeET2_T3_PNS14_IS19_E10value_typeET4_jRbjT5_S1F_jjP12ihipStream_tbEUljE_ZNSN_ISO_Lb0ESR_SS_SU_SV_SZ_EES10_S11_S12_S13_S17_S18_S19_S1C_S1D_jS1E_jS1F_S1F_jjS1H_bEUljE0_EEES10_S11_S12_S19_S1D_S1F_T6_T7_T9_mT8_S1H_bDpT10_ENKUlT_T0_E_clISt17integral_constantIbLb1EES1V_EEDaS1Q_S1R_EUlS1Q_E_NS1_11comp_targetILNS1_3genE5ELNS1_11target_archE942ELNS1_3gpuE9ELNS1_3repE0EEENS1_30default_config_static_selectorELNS0_4arch9wavefront6targetE1EEEvS13_
; %bb.0:
	.section	.rodata,"a",@progbits
	.p2align	6, 0x0
	.amdhsa_kernel _ZN7rocprim17ROCPRIM_400000_NS6detail17trampoline_kernelINS0_13select_configILj256ELj13ELNS0_17block_load_methodE3ELS4_3ELS4_3ELNS0_20block_scan_algorithmE0ELj4294967295EEENS1_25partition_config_selectorILNS1_17partition_subalgoE4EjNS0_10empty_typeEbEEZZNS1_14partition_implILS8_4ELb0ES6_15HIP_vector_typeIjLj2EENS0_17counting_iteratorIjlEEPS9_SG_NS0_5tupleIJPjSI_NS0_16reverse_iteratorISI_EEEEENSH_IJSG_SG_SG_EEES9_SI_JZNS1_25segmented_radix_sort_implINS0_14default_configELb0EPK6__halfPSP_PKlPlN2at6native12_GLOBAL__N_18offset_tEEE10hipError_tPvRmT1_PNSt15iterator_traitsIS13_E10value_typeET2_T3_PNS14_IS19_E10value_typeET4_jRbjT5_S1F_jjP12ihipStream_tbEUljE_ZNSN_ISO_Lb0ESR_SS_SU_SV_SZ_EES10_S11_S12_S13_S17_S18_S19_S1C_S1D_jS1E_jS1F_S1F_jjS1H_bEUljE0_EEES10_S11_S12_S19_S1D_S1F_T6_T7_T9_mT8_S1H_bDpT10_ENKUlT_T0_E_clISt17integral_constantIbLb1EES1V_EEDaS1Q_S1R_EUlS1Q_E_NS1_11comp_targetILNS1_3genE5ELNS1_11target_archE942ELNS1_3gpuE9ELNS1_3repE0EEENS1_30default_config_static_selectorELNS0_4arch9wavefront6targetE1EEEvS13_
		.amdhsa_group_segment_fixed_size 0
		.amdhsa_private_segment_fixed_size 0
		.amdhsa_kernarg_size 184
		.amdhsa_user_sgpr_count 6
		.amdhsa_user_sgpr_private_segment_buffer 1
		.amdhsa_user_sgpr_dispatch_ptr 0
		.amdhsa_user_sgpr_queue_ptr 0
		.amdhsa_user_sgpr_kernarg_segment_ptr 1
		.amdhsa_user_sgpr_dispatch_id 0
		.amdhsa_user_sgpr_flat_scratch_init 0
		.amdhsa_user_sgpr_private_segment_size 0
		.amdhsa_uses_dynamic_stack 0
		.amdhsa_system_sgpr_private_segment_wavefront_offset 0
		.amdhsa_system_sgpr_workgroup_id_x 1
		.amdhsa_system_sgpr_workgroup_id_y 0
		.amdhsa_system_sgpr_workgroup_id_z 0
		.amdhsa_system_sgpr_workgroup_info 0
		.amdhsa_system_vgpr_workitem_id 0
		.amdhsa_next_free_vgpr 1
		.amdhsa_next_free_sgpr 0
		.amdhsa_reserve_vcc 0
		.amdhsa_reserve_flat_scratch 0
		.amdhsa_float_round_mode_32 0
		.amdhsa_float_round_mode_16_64 0
		.amdhsa_float_denorm_mode_32 3
		.amdhsa_float_denorm_mode_16_64 3
		.amdhsa_dx10_clamp 1
		.amdhsa_ieee_mode 1
		.amdhsa_fp16_overflow 0
		.amdhsa_exception_fp_ieee_invalid_op 0
		.amdhsa_exception_fp_denorm_src 0
		.amdhsa_exception_fp_ieee_div_zero 0
		.amdhsa_exception_fp_ieee_overflow 0
		.amdhsa_exception_fp_ieee_underflow 0
		.amdhsa_exception_fp_ieee_inexact 0
		.amdhsa_exception_int_div_zero 0
	.end_amdhsa_kernel
	.section	.text._ZN7rocprim17ROCPRIM_400000_NS6detail17trampoline_kernelINS0_13select_configILj256ELj13ELNS0_17block_load_methodE3ELS4_3ELS4_3ELNS0_20block_scan_algorithmE0ELj4294967295EEENS1_25partition_config_selectorILNS1_17partition_subalgoE4EjNS0_10empty_typeEbEEZZNS1_14partition_implILS8_4ELb0ES6_15HIP_vector_typeIjLj2EENS0_17counting_iteratorIjlEEPS9_SG_NS0_5tupleIJPjSI_NS0_16reverse_iteratorISI_EEEEENSH_IJSG_SG_SG_EEES9_SI_JZNS1_25segmented_radix_sort_implINS0_14default_configELb0EPK6__halfPSP_PKlPlN2at6native12_GLOBAL__N_18offset_tEEE10hipError_tPvRmT1_PNSt15iterator_traitsIS13_E10value_typeET2_T3_PNS14_IS19_E10value_typeET4_jRbjT5_S1F_jjP12ihipStream_tbEUljE_ZNSN_ISO_Lb0ESR_SS_SU_SV_SZ_EES10_S11_S12_S13_S17_S18_S19_S1C_S1D_jS1E_jS1F_S1F_jjS1H_bEUljE0_EEES10_S11_S12_S19_S1D_S1F_T6_T7_T9_mT8_S1H_bDpT10_ENKUlT_T0_E_clISt17integral_constantIbLb1EES1V_EEDaS1Q_S1R_EUlS1Q_E_NS1_11comp_targetILNS1_3genE5ELNS1_11target_archE942ELNS1_3gpuE9ELNS1_3repE0EEENS1_30default_config_static_selectorELNS0_4arch9wavefront6targetE1EEEvS13_,"axG",@progbits,_ZN7rocprim17ROCPRIM_400000_NS6detail17trampoline_kernelINS0_13select_configILj256ELj13ELNS0_17block_load_methodE3ELS4_3ELS4_3ELNS0_20block_scan_algorithmE0ELj4294967295EEENS1_25partition_config_selectorILNS1_17partition_subalgoE4EjNS0_10empty_typeEbEEZZNS1_14partition_implILS8_4ELb0ES6_15HIP_vector_typeIjLj2EENS0_17counting_iteratorIjlEEPS9_SG_NS0_5tupleIJPjSI_NS0_16reverse_iteratorISI_EEEEENSH_IJSG_SG_SG_EEES9_SI_JZNS1_25segmented_radix_sort_implINS0_14default_configELb0EPK6__halfPSP_PKlPlN2at6native12_GLOBAL__N_18offset_tEEE10hipError_tPvRmT1_PNSt15iterator_traitsIS13_E10value_typeET2_T3_PNS14_IS19_E10value_typeET4_jRbjT5_S1F_jjP12ihipStream_tbEUljE_ZNSN_ISO_Lb0ESR_SS_SU_SV_SZ_EES10_S11_S12_S13_S17_S18_S19_S1C_S1D_jS1E_jS1F_S1F_jjS1H_bEUljE0_EEES10_S11_S12_S19_S1D_S1F_T6_T7_T9_mT8_S1H_bDpT10_ENKUlT_T0_E_clISt17integral_constantIbLb1EES1V_EEDaS1Q_S1R_EUlS1Q_E_NS1_11comp_targetILNS1_3genE5ELNS1_11target_archE942ELNS1_3gpuE9ELNS1_3repE0EEENS1_30default_config_static_selectorELNS0_4arch9wavefront6targetE1EEEvS13_,comdat
.Lfunc_end1787:
	.size	_ZN7rocprim17ROCPRIM_400000_NS6detail17trampoline_kernelINS0_13select_configILj256ELj13ELNS0_17block_load_methodE3ELS4_3ELS4_3ELNS0_20block_scan_algorithmE0ELj4294967295EEENS1_25partition_config_selectorILNS1_17partition_subalgoE4EjNS0_10empty_typeEbEEZZNS1_14partition_implILS8_4ELb0ES6_15HIP_vector_typeIjLj2EENS0_17counting_iteratorIjlEEPS9_SG_NS0_5tupleIJPjSI_NS0_16reverse_iteratorISI_EEEEENSH_IJSG_SG_SG_EEES9_SI_JZNS1_25segmented_radix_sort_implINS0_14default_configELb0EPK6__halfPSP_PKlPlN2at6native12_GLOBAL__N_18offset_tEEE10hipError_tPvRmT1_PNSt15iterator_traitsIS13_E10value_typeET2_T3_PNS14_IS19_E10value_typeET4_jRbjT5_S1F_jjP12ihipStream_tbEUljE_ZNSN_ISO_Lb0ESR_SS_SU_SV_SZ_EES10_S11_S12_S13_S17_S18_S19_S1C_S1D_jS1E_jS1F_S1F_jjS1H_bEUljE0_EEES10_S11_S12_S19_S1D_S1F_T6_T7_T9_mT8_S1H_bDpT10_ENKUlT_T0_E_clISt17integral_constantIbLb1EES1V_EEDaS1Q_S1R_EUlS1Q_E_NS1_11comp_targetILNS1_3genE5ELNS1_11target_archE942ELNS1_3gpuE9ELNS1_3repE0EEENS1_30default_config_static_selectorELNS0_4arch9wavefront6targetE1EEEvS13_, .Lfunc_end1787-_ZN7rocprim17ROCPRIM_400000_NS6detail17trampoline_kernelINS0_13select_configILj256ELj13ELNS0_17block_load_methodE3ELS4_3ELS4_3ELNS0_20block_scan_algorithmE0ELj4294967295EEENS1_25partition_config_selectorILNS1_17partition_subalgoE4EjNS0_10empty_typeEbEEZZNS1_14partition_implILS8_4ELb0ES6_15HIP_vector_typeIjLj2EENS0_17counting_iteratorIjlEEPS9_SG_NS0_5tupleIJPjSI_NS0_16reverse_iteratorISI_EEEEENSH_IJSG_SG_SG_EEES9_SI_JZNS1_25segmented_radix_sort_implINS0_14default_configELb0EPK6__halfPSP_PKlPlN2at6native12_GLOBAL__N_18offset_tEEE10hipError_tPvRmT1_PNSt15iterator_traitsIS13_E10value_typeET2_T3_PNS14_IS19_E10value_typeET4_jRbjT5_S1F_jjP12ihipStream_tbEUljE_ZNSN_ISO_Lb0ESR_SS_SU_SV_SZ_EES10_S11_S12_S13_S17_S18_S19_S1C_S1D_jS1E_jS1F_S1F_jjS1H_bEUljE0_EEES10_S11_S12_S19_S1D_S1F_T6_T7_T9_mT8_S1H_bDpT10_ENKUlT_T0_E_clISt17integral_constantIbLb1EES1V_EEDaS1Q_S1R_EUlS1Q_E_NS1_11comp_targetILNS1_3genE5ELNS1_11target_archE942ELNS1_3gpuE9ELNS1_3repE0EEENS1_30default_config_static_selectorELNS0_4arch9wavefront6targetE1EEEvS13_
                                        ; -- End function
	.set _ZN7rocprim17ROCPRIM_400000_NS6detail17trampoline_kernelINS0_13select_configILj256ELj13ELNS0_17block_load_methodE3ELS4_3ELS4_3ELNS0_20block_scan_algorithmE0ELj4294967295EEENS1_25partition_config_selectorILNS1_17partition_subalgoE4EjNS0_10empty_typeEbEEZZNS1_14partition_implILS8_4ELb0ES6_15HIP_vector_typeIjLj2EENS0_17counting_iteratorIjlEEPS9_SG_NS0_5tupleIJPjSI_NS0_16reverse_iteratorISI_EEEEENSH_IJSG_SG_SG_EEES9_SI_JZNS1_25segmented_radix_sort_implINS0_14default_configELb0EPK6__halfPSP_PKlPlN2at6native12_GLOBAL__N_18offset_tEEE10hipError_tPvRmT1_PNSt15iterator_traitsIS13_E10value_typeET2_T3_PNS14_IS19_E10value_typeET4_jRbjT5_S1F_jjP12ihipStream_tbEUljE_ZNSN_ISO_Lb0ESR_SS_SU_SV_SZ_EES10_S11_S12_S13_S17_S18_S19_S1C_S1D_jS1E_jS1F_S1F_jjS1H_bEUljE0_EEES10_S11_S12_S19_S1D_S1F_T6_T7_T9_mT8_S1H_bDpT10_ENKUlT_T0_E_clISt17integral_constantIbLb1EES1V_EEDaS1Q_S1R_EUlS1Q_E_NS1_11comp_targetILNS1_3genE5ELNS1_11target_archE942ELNS1_3gpuE9ELNS1_3repE0EEENS1_30default_config_static_selectorELNS0_4arch9wavefront6targetE1EEEvS13_.num_vgpr, 0
	.set _ZN7rocprim17ROCPRIM_400000_NS6detail17trampoline_kernelINS0_13select_configILj256ELj13ELNS0_17block_load_methodE3ELS4_3ELS4_3ELNS0_20block_scan_algorithmE0ELj4294967295EEENS1_25partition_config_selectorILNS1_17partition_subalgoE4EjNS0_10empty_typeEbEEZZNS1_14partition_implILS8_4ELb0ES6_15HIP_vector_typeIjLj2EENS0_17counting_iteratorIjlEEPS9_SG_NS0_5tupleIJPjSI_NS0_16reverse_iteratorISI_EEEEENSH_IJSG_SG_SG_EEES9_SI_JZNS1_25segmented_radix_sort_implINS0_14default_configELb0EPK6__halfPSP_PKlPlN2at6native12_GLOBAL__N_18offset_tEEE10hipError_tPvRmT1_PNSt15iterator_traitsIS13_E10value_typeET2_T3_PNS14_IS19_E10value_typeET4_jRbjT5_S1F_jjP12ihipStream_tbEUljE_ZNSN_ISO_Lb0ESR_SS_SU_SV_SZ_EES10_S11_S12_S13_S17_S18_S19_S1C_S1D_jS1E_jS1F_S1F_jjS1H_bEUljE0_EEES10_S11_S12_S19_S1D_S1F_T6_T7_T9_mT8_S1H_bDpT10_ENKUlT_T0_E_clISt17integral_constantIbLb1EES1V_EEDaS1Q_S1R_EUlS1Q_E_NS1_11comp_targetILNS1_3genE5ELNS1_11target_archE942ELNS1_3gpuE9ELNS1_3repE0EEENS1_30default_config_static_selectorELNS0_4arch9wavefront6targetE1EEEvS13_.num_agpr, 0
	.set _ZN7rocprim17ROCPRIM_400000_NS6detail17trampoline_kernelINS0_13select_configILj256ELj13ELNS0_17block_load_methodE3ELS4_3ELS4_3ELNS0_20block_scan_algorithmE0ELj4294967295EEENS1_25partition_config_selectorILNS1_17partition_subalgoE4EjNS0_10empty_typeEbEEZZNS1_14partition_implILS8_4ELb0ES6_15HIP_vector_typeIjLj2EENS0_17counting_iteratorIjlEEPS9_SG_NS0_5tupleIJPjSI_NS0_16reverse_iteratorISI_EEEEENSH_IJSG_SG_SG_EEES9_SI_JZNS1_25segmented_radix_sort_implINS0_14default_configELb0EPK6__halfPSP_PKlPlN2at6native12_GLOBAL__N_18offset_tEEE10hipError_tPvRmT1_PNSt15iterator_traitsIS13_E10value_typeET2_T3_PNS14_IS19_E10value_typeET4_jRbjT5_S1F_jjP12ihipStream_tbEUljE_ZNSN_ISO_Lb0ESR_SS_SU_SV_SZ_EES10_S11_S12_S13_S17_S18_S19_S1C_S1D_jS1E_jS1F_S1F_jjS1H_bEUljE0_EEES10_S11_S12_S19_S1D_S1F_T6_T7_T9_mT8_S1H_bDpT10_ENKUlT_T0_E_clISt17integral_constantIbLb1EES1V_EEDaS1Q_S1R_EUlS1Q_E_NS1_11comp_targetILNS1_3genE5ELNS1_11target_archE942ELNS1_3gpuE9ELNS1_3repE0EEENS1_30default_config_static_selectorELNS0_4arch9wavefront6targetE1EEEvS13_.numbered_sgpr, 0
	.set _ZN7rocprim17ROCPRIM_400000_NS6detail17trampoline_kernelINS0_13select_configILj256ELj13ELNS0_17block_load_methodE3ELS4_3ELS4_3ELNS0_20block_scan_algorithmE0ELj4294967295EEENS1_25partition_config_selectorILNS1_17partition_subalgoE4EjNS0_10empty_typeEbEEZZNS1_14partition_implILS8_4ELb0ES6_15HIP_vector_typeIjLj2EENS0_17counting_iteratorIjlEEPS9_SG_NS0_5tupleIJPjSI_NS0_16reverse_iteratorISI_EEEEENSH_IJSG_SG_SG_EEES9_SI_JZNS1_25segmented_radix_sort_implINS0_14default_configELb0EPK6__halfPSP_PKlPlN2at6native12_GLOBAL__N_18offset_tEEE10hipError_tPvRmT1_PNSt15iterator_traitsIS13_E10value_typeET2_T3_PNS14_IS19_E10value_typeET4_jRbjT5_S1F_jjP12ihipStream_tbEUljE_ZNSN_ISO_Lb0ESR_SS_SU_SV_SZ_EES10_S11_S12_S13_S17_S18_S19_S1C_S1D_jS1E_jS1F_S1F_jjS1H_bEUljE0_EEES10_S11_S12_S19_S1D_S1F_T6_T7_T9_mT8_S1H_bDpT10_ENKUlT_T0_E_clISt17integral_constantIbLb1EES1V_EEDaS1Q_S1R_EUlS1Q_E_NS1_11comp_targetILNS1_3genE5ELNS1_11target_archE942ELNS1_3gpuE9ELNS1_3repE0EEENS1_30default_config_static_selectorELNS0_4arch9wavefront6targetE1EEEvS13_.num_named_barrier, 0
	.set _ZN7rocprim17ROCPRIM_400000_NS6detail17trampoline_kernelINS0_13select_configILj256ELj13ELNS0_17block_load_methodE3ELS4_3ELS4_3ELNS0_20block_scan_algorithmE0ELj4294967295EEENS1_25partition_config_selectorILNS1_17partition_subalgoE4EjNS0_10empty_typeEbEEZZNS1_14partition_implILS8_4ELb0ES6_15HIP_vector_typeIjLj2EENS0_17counting_iteratorIjlEEPS9_SG_NS0_5tupleIJPjSI_NS0_16reverse_iteratorISI_EEEEENSH_IJSG_SG_SG_EEES9_SI_JZNS1_25segmented_radix_sort_implINS0_14default_configELb0EPK6__halfPSP_PKlPlN2at6native12_GLOBAL__N_18offset_tEEE10hipError_tPvRmT1_PNSt15iterator_traitsIS13_E10value_typeET2_T3_PNS14_IS19_E10value_typeET4_jRbjT5_S1F_jjP12ihipStream_tbEUljE_ZNSN_ISO_Lb0ESR_SS_SU_SV_SZ_EES10_S11_S12_S13_S17_S18_S19_S1C_S1D_jS1E_jS1F_S1F_jjS1H_bEUljE0_EEES10_S11_S12_S19_S1D_S1F_T6_T7_T9_mT8_S1H_bDpT10_ENKUlT_T0_E_clISt17integral_constantIbLb1EES1V_EEDaS1Q_S1R_EUlS1Q_E_NS1_11comp_targetILNS1_3genE5ELNS1_11target_archE942ELNS1_3gpuE9ELNS1_3repE0EEENS1_30default_config_static_selectorELNS0_4arch9wavefront6targetE1EEEvS13_.private_seg_size, 0
	.set _ZN7rocprim17ROCPRIM_400000_NS6detail17trampoline_kernelINS0_13select_configILj256ELj13ELNS0_17block_load_methodE3ELS4_3ELS4_3ELNS0_20block_scan_algorithmE0ELj4294967295EEENS1_25partition_config_selectorILNS1_17partition_subalgoE4EjNS0_10empty_typeEbEEZZNS1_14partition_implILS8_4ELb0ES6_15HIP_vector_typeIjLj2EENS0_17counting_iteratorIjlEEPS9_SG_NS0_5tupleIJPjSI_NS0_16reverse_iteratorISI_EEEEENSH_IJSG_SG_SG_EEES9_SI_JZNS1_25segmented_radix_sort_implINS0_14default_configELb0EPK6__halfPSP_PKlPlN2at6native12_GLOBAL__N_18offset_tEEE10hipError_tPvRmT1_PNSt15iterator_traitsIS13_E10value_typeET2_T3_PNS14_IS19_E10value_typeET4_jRbjT5_S1F_jjP12ihipStream_tbEUljE_ZNSN_ISO_Lb0ESR_SS_SU_SV_SZ_EES10_S11_S12_S13_S17_S18_S19_S1C_S1D_jS1E_jS1F_S1F_jjS1H_bEUljE0_EEES10_S11_S12_S19_S1D_S1F_T6_T7_T9_mT8_S1H_bDpT10_ENKUlT_T0_E_clISt17integral_constantIbLb1EES1V_EEDaS1Q_S1R_EUlS1Q_E_NS1_11comp_targetILNS1_3genE5ELNS1_11target_archE942ELNS1_3gpuE9ELNS1_3repE0EEENS1_30default_config_static_selectorELNS0_4arch9wavefront6targetE1EEEvS13_.uses_vcc, 0
	.set _ZN7rocprim17ROCPRIM_400000_NS6detail17trampoline_kernelINS0_13select_configILj256ELj13ELNS0_17block_load_methodE3ELS4_3ELS4_3ELNS0_20block_scan_algorithmE0ELj4294967295EEENS1_25partition_config_selectorILNS1_17partition_subalgoE4EjNS0_10empty_typeEbEEZZNS1_14partition_implILS8_4ELb0ES6_15HIP_vector_typeIjLj2EENS0_17counting_iteratorIjlEEPS9_SG_NS0_5tupleIJPjSI_NS0_16reverse_iteratorISI_EEEEENSH_IJSG_SG_SG_EEES9_SI_JZNS1_25segmented_radix_sort_implINS0_14default_configELb0EPK6__halfPSP_PKlPlN2at6native12_GLOBAL__N_18offset_tEEE10hipError_tPvRmT1_PNSt15iterator_traitsIS13_E10value_typeET2_T3_PNS14_IS19_E10value_typeET4_jRbjT5_S1F_jjP12ihipStream_tbEUljE_ZNSN_ISO_Lb0ESR_SS_SU_SV_SZ_EES10_S11_S12_S13_S17_S18_S19_S1C_S1D_jS1E_jS1F_S1F_jjS1H_bEUljE0_EEES10_S11_S12_S19_S1D_S1F_T6_T7_T9_mT8_S1H_bDpT10_ENKUlT_T0_E_clISt17integral_constantIbLb1EES1V_EEDaS1Q_S1R_EUlS1Q_E_NS1_11comp_targetILNS1_3genE5ELNS1_11target_archE942ELNS1_3gpuE9ELNS1_3repE0EEENS1_30default_config_static_selectorELNS0_4arch9wavefront6targetE1EEEvS13_.uses_flat_scratch, 0
	.set _ZN7rocprim17ROCPRIM_400000_NS6detail17trampoline_kernelINS0_13select_configILj256ELj13ELNS0_17block_load_methodE3ELS4_3ELS4_3ELNS0_20block_scan_algorithmE0ELj4294967295EEENS1_25partition_config_selectorILNS1_17partition_subalgoE4EjNS0_10empty_typeEbEEZZNS1_14partition_implILS8_4ELb0ES6_15HIP_vector_typeIjLj2EENS0_17counting_iteratorIjlEEPS9_SG_NS0_5tupleIJPjSI_NS0_16reverse_iteratorISI_EEEEENSH_IJSG_SG_SG_EEES9_SI_JZNS1_25segmented_radix_sort_implINS0_14default_configELb0EPK6__halfPSP_PKlPlN2at6native12_GLOBAL__N_18offset_tEEE10hipError_tPvRmT1_PNSt15iterator_traitsIS13_E10value_typeET2_T3_PNS14_IS19_E10value_typeET4_jRbjT5_S1F_jjP12ihipStream_tbEUljE_ZNSN_ISO_Lb0ESR_SS_SU_SV_SZ_EES10_S11_S12_S13_S17_S18_S19_S1C_S1D_jS1E_jS1F_S1F_jjS1H_bEUljE0_EEES10_S11_S12_S19_S1D_S1F_T6_T7_T9_mT8_S1H_bDpT10_ENKUlT_T0_E_clISt17integral_constantIbLb1EES1V_EEDaS1Q_S1R_EUlS1Q_E_NS1_11comp_targetILNS1_3genE5ELNS1_11target_archE942ELNS1_3gpuE9ELNS1_3repE0EEENS1_30default_config_static_selectorELNS0_4arch9wavefront6targetE1EEEvS13_.has_dyn_sized_stack, 0
	.set _ZN7rocprim17ROCPRIM_400000_NS6detail17trampoline_kernelINS0_13select_configILj256ELj13ELNS0_17block_load_methodE3ELS4_3ELS4_3ELNS0_20block_scan_algorithmE0ELj4294967295EEENS1_25partition_config_selectorILNS1_17partition_subalgoE4EjNS0_10empty_typeEbEEZZNS1_14partition_implILS8_4ELb0ES6_15HIP_vector_typeIjLj2EENS0_17counting_iteratorIjlEEPS9_SG_NS0_5tupleIJPjSI_NS0_16reverse_iteratorISI_EEEEENSH_IJSG_SG_SG_EEES9_SI_JZNS1_25segmented_radix_sort_implINS0_14default_configELb0EPK6__halfPSP_PKlPlN2at6native12_GLOBAL__N_18offset_tEEE10hipError_tPvRmT1_PNSt15iterator_traitsIS13_E10value_typeET2_T3_PNS14_IS19_E10value_typeET4_jRbjT5_S1F_jjP12ihipStream_tbEUljE_ZNSN_ISO_Lb0ESR_SS_SU_SV_SZ_EES10_S11_S12_S13_S17_S18_S19_S1C_S1D_jS1E_jS1F_S1F_jjS1H_bEUljE0_EEES10_S11_S12_S19_S1D_S1F_T6_T7_T9_mT8_S1H_bDpT10_ENKUlT_T0_E_clISt17integral_constantIbLb1EES1V_EEDaS1Q_S1R_EUlS1Q_E_NS1_11comp_targetILNS1_3genE5ELNS1_11target_archE942ELNS1_3gpuE9ELNS1_3repE0EEENS1_30default_config_static_selectorELNS0_4arch9wavefront6targetE1EEEvS13_.has_recursion, 0
	.set _ZN7rocprim17ROCPRIM_400000_NS6detail17trampoline_kernelINS0_13select_configILj256ELj13ELNS0_17block_load_methodE3ELS4_3ELS4_3ELNS0_20block_scan_algorithmE0ELj4294967295EEENS1_25partition_config_selectorILNS1_17partition_subalgoE4EjNS0_10empty_typeEbEEZZNS1_14partition_implILS8_4ELb0ES6_15HIP_vector_typeIjLj2EENS0_17counting_iteratorIjlEEPS9_SG_NS0_5tupleIJPjSI_NS0_16reverse_iteratorISI_EEEEENSH_IJSG_SG_SG_EEES9_SI_JZNS1_25segmented_radix_sort_implINS0_14default_configELb0EPK6__halfPSP_PKlPlN2at6native12_GLOBAL__N_18offset_tEEE10hipError_tPvRmT1_PNSt15iterator_traitsIS13_E10value_typeET2_T3_PNS14_IS19_E10value_typeET4_jRbjT5_S1F_jjP12ihipStream_tbEUljE_ZNSN_ISO_Lb0ESR_SS_SU_SV_SZ_EES10_S11_S12_S13_S17_S18_S19_S1C_S1D_jS1E_jS1F_S1F_jjS1H_bEUljE0_EEES10_S11_S12_S19_S1D_S1F_T6_T7_T9_mT8_S1H_bDpT10_ENKUlT_T0_E_clISt17integral_constantIbLb1EES1V_EEDaS1Q_S1R_EUlS1Q_E_NS1_11comp_targetILNS1_3genE5ELNS1_11target_archE942ELNS1_3gpuE9ELNS1_3repE0EEENS1_30default_config_static_selectorELNS0_4arch9wavefront6targetE1EEEvS13_.has_indirect_call, 0
	.section	.AMDGPU.csdata,"",@progbits
; Kernel info:
; codeLenInByte = 0
; TotalNumSgprs: 4
; NumVgprs: 0
; ScratchSize: 0
; MemoryBound: 0
; FloatMode: 240
; IeeeMode: 1
; LDSByteSize: 0 bytes/workgroup (compile time only)
; SGPRBlocks: 0
; VGPRBlocks: 0
; NumSGPRsForWavesPerEU: 4
; NumVGPRsForWavesPerEU: 1
; Occupancy: 10
; WaveLimiterHint : 0
; COMPUTE_PGM_RSRC2:SCRATCH_EN: 0
; COMPUTE_PGM_RSRC2:USER_SGPR: 6
; COMPUTE_PGM_RSRC2:TRAP_HANDLER: 0
; COMPUTE_PGM_RSRC2:TGID_X_EN: 1
; COMPUTE_PGM_RSRC2:TGID_Y_EN: 0
; COMPUTE_PGM_RSRC2:TGID_Z_EN: 0
; COMPUTE_PGM_RSRC2:TIDIG_COMP_CNT: 0
	.section	.text._ZN7rocprim17ROCPRIM_400000_NS6detail17trampoline_kernelINS0_13select_configILj256ELj13ELNS0_17block_load_methodE3ELS4_3ELS4_3ELNS0_20block_scan_algorithmE0ELj4294967295EEENS1_25partition_config_selectorILNS1_17partition_subalgoE4EjNS0_10empty_typeEbEEZZNS1_14partition_implILS8_4ELb0ES6_15HIP_vector_typeIjLj2EENS0_17counting_iteratorIjlEEPS9_SG_NS0_5tupleIJPjSI_NS0_16reverse_iteratorISI_EEEEENSH_IJSG_SG_SG_EEES9_SI_JZNS1_25segmented_radix_sort_implINS0_14default_configELb0EPK6__halfPSP_PKlPlN2at6native12_GLOBAL__N_18offset_tEEE10hipError_tPvRmT1_PNSt15iterator_traitsIS13_E10value_typeET2_T3_PNS14_IS19_E10value_typeET4_jRbjT5_S1F_jjP12ihipStream_tbEUljE_ZNSN_ISO_Lb0ESR_SS_SU_SV_SZ_EES10_S11_S12_S13_S17_S18_S19_S1C_S1D_jS1E_jS1F_S1F_jjS1H_bEUljE0_EEES10_S11_S12_S19_S1D_S1F_T6_T7_T9_mT8_S1H_bDpT10_ENKUlT_T0_E_clISt17integral_constantIbLb1EES1V_EEDaS1Q_S1R_EUlS1Q_E_NS1_11comp_targetILNS1_3genE4ELNS1_11target_archE910ELNS1_3gpuE8ELNS1_3repE0EEENS1_30default_config_static_selectorELNS0_4arch9wavefront6targetE1EEEvS13_,"axG",@progbits,_ZN7rocprim17ROCPRIM_400000_NS6detail17trampoline_kernelINS0_13select_configILj256ELj13ELNS0_17block_load_methodE3ELS4_3ELS4_3ELNS0_20block_scan_algorithmE0ELj4294967295EEENS1_25partition_config_selectorILNS1_17partition_subalgoE4EjNS0_10empty_typeEbEEZZNS1_14partition_implILS8_4ELb0ES6_15HIP_vector_typeIjLj2EENS0_17counting_iteratorIjlEEPS9_SG_NS0_5tupleIJPjSI_NS0_16reverse_iteratorISI_EEEEENSH_IJSG_SG_SG_EEES9_SI_JZNS1_25segmented_radix_sort_implINS0_14default_configELb0EPK6__halfPSP_PKlPlN2at6native12_GLOBAL__N_18offset_tEEE10hipError_tPvRmT1_PNSt15iterator_traitsIS13_E10value_typeET2_T3_PNS14_IS19_E10value_typeET4_jRbjT5_S1F_jjP12ihipStream_tbEUljE_ZNSN_ISO_Lb0ESR_SS_SU_SV_SZ_EES10_S11_S12_S13_S17_S18_S19_S1C_S1D_jS1E_jS1F_S1F_jjS1H_bEUljE0_EEES10_S11_S12_S19_S1D_S1F_T6_T7_T9_mT8_S1H_bDpT10_ENKUlT_T0_E_clISt17integral_constantIbLb1EES1V_EEDaS1Q_S1R_EUlS1Q_E_NS1_11comp_targetILNS1_3genE4ELNS1_11target_archE910ELNS1_3gpuE8ELNS1_3repE0EEENS1_30default_config_static_selectorELNS0_4arch9wavefront6targetE1EEEvS13_,comdat
	.globl	_ZN7rocprim17ROCPRIM_400000_NS6detail17trampoline_kernelINS0_13select_configILj256ELj13ELNS0_17block_load_methodE3ELS4_3ELS4_3ELNS0_20block_scan_algorithmE0ELj4294967295EEENS1_25partition_config_selectorILNS1_17partition_subalgoE4EjNS0_10empty_typeEbEEZZNS1_14partition_implILS8_4ELb0ES6_15HIP_vector_typeIjLj2EENS0_17counting_iteratorIjlEEPS9_SG_NS0_5tupleIJPjSI_NS0_16reverse_iteratorISI_EEEEENSH_IJSG_SG_SG_EEES9_SI_JZNS1_25segmented_radix_sort_implINS0_14default_configELb0EPK6__halfPSP_PKlPlN2at6native12_GLOBAL__N_18offset_tEEE10hipError_tPvRmT1_PNSt15iterator_traitsIS13_E10value_typeET2_T3_PNS14_IS19_E10value_typeET4_jRbjT5_S1F_jjP12ihipStream_tbEUljE_ZNSN_ISO_Lb0ESR_SS_SU_SV_SZ_EES10_S11_S12_S13_S17_S18_S19_S1C_S1D_jS1E_jS1F_S1F_jjS1H_bEUljE0_EEES10_S11_S12_S19_S1D_S1F_T6_T7_T9_mT8_S1H_bDpT10_ENKUlT_T0_E_clISt17integral_constantIbLb1EES1V_EEDaS1Q_S1R_EUlS1Q_E_NS1_11comp_targetILNS1_3genE4ELNS1_11target_archE910ELNS1_3gpuE8ELNS1_3repE0EEENS1_30default_config_static_selectorELNS0_4arch9wavefront6targetE1EEEvS13_ ; -- Begin function _ZN7rocprim17ROCPRIM_400000_NS6detail17trampoline_kernelINS0_13select_configILj256ELj13ELNS0_17block_load_methodE3ELS4_3ELS4_3ELNS0_20block_scan_algorithmE0ELj4294967295EEENS1_25partition_config_selectorILNS1_17partition_subalgoE4EjNS0_10empty_typeEbEEZZNS1_14partition_implILS8_4ELb0ES6_15HIP_vector_typeIjLj2EENS0_17counting_iteratorIjlEEPS9_SG_NS0_5tupleIJPjSI_NS0_16reverse_iteratorISI_EEEEENSH_IJSG_SG_SG_EEES9_SI_JZNS1_25segmented_radix_sort_implINS0_14default_configELb0EPK6__halfPSP_PKlPlN2at6native12_GLOBAL__N_18offset_tEEE10hipError_tPvRmT1_PNSt15iterator_traitsIS13_E10value_typeET2_T3_PNS14_IS19_E10value_typeET4_jRbjT5_S1F_jjP12ihipStream_tbEUljE_ZNSN_ISO_Lb0ESR_SS_SU_SV_SZ_EES10_S11_S12_S13_S17_S18_S19_S1C_S1D_jS1E_jS1F_S1F_jjS1H_bEUljE0_EEES10_S11_S12_S19_S1D_S1F_T6_T7_T9_mT8_S1H_bDpT10_ENKUlT_T0_E_clISt17integral_constantIbLb1EES1V_EEDaS1Q_S1R_EUlS1Q_E_NS1_11comp_targetILNS1_3genE4ELNS1_11target_archE910ELNS1_3gpuE8ELNS1_3repE0EEENS1_30default_config_static_selectorELNS0_4arch9wavefront6targetE1EEEvS13_
	.p2align	8
	.type	_ZN7rocprim17ROCPRIM_400000_NS6detail17trampoline_kernelINS0_13select_configILj256ELj13ELNS0_17block_load_methodE3ELS4_3ELS4_3ELNS0_20block_scan_algorithmE0ELj4294967295EEENS1_25partition_config_selectorILNS1_17partition_subalgoE4EjNS0_10empty_typeEbEEZZNS1_14partition_implILS8_4ELb0ES6_15HIP_vector_typeIjLj2EENS0_17counting_iteratorIjlEEPS9_SG_NS0_5tupleIJPjSI_NS0_16reverse_iteratorISI_EEEEENSH_IJSG_SG_SG_EEES9_SI_JZNS1_25segmented_radix_sort_implINS0_14default_configELb0EPK6__halfPSP_PKlPlN2at6native12_GLOBAL__N_18offset_tEEE10hipError_tPvRmT1_PNSt15iterator_traitsIS13_E10value_typeET2_T3_PNS14_IS19_E10value_typeET4_jRbjT5_S1F_jjP12ihipStream_tbEUljE_ZNSN_ISO_Lb0ESR_SS_SU_SV_SZ_EES10_S11_S12_S13_S17_S18_S19_S1C_S1D_jS1E_jS1F_S1F_jjS1H_bEUljE0_EEES10_S11_S12_S19_S1D_S1F_T6_T7_T9_mT8_S1H_bDpT10_ENKUlT_T0_E_clISt17integral_constantIbLb1EES1V_EEDaS1Q_S1R_EUlS1Q_E_NS1_11comp_targetILNS1_3genE4ELNS1_11target_archE910ELNS1_3gpuE8ELNS1_3repE0EEENS1_30default_config_static_selectorELNS0_4arch9wavefront6targetE1EEEvS13_,@function
_ZN7rocprim17ROCPRIM_400000_NS6detail17trampoline_kernelINS0_13select_configILj256ELj13ELNS0_17block_load_methodE3ELS4_3ELS4_3ELNS0_20block_scan_algorithmE0ELj4294967295EEENS1_25partition_config_selectorILNS1_17partition_subalgoE4EjNS0_10empty_typeEbEEZZNS1_14partition_implILS8_4ELb0ES6_15HIP_vector_typeIjLj2EENS0_17counting_iteratorIjlEEPS9_SG_NS0_5tupleIJPjSI_NS0_16reverse_iteratorISI_EEEEENSH_IJSG_SG_SG_EEES9_SI_JZNS1_25segmented_radix_sort_implINS0_14default_configELb0EPK6__halfPSP_PKlPlN2at6native12_GLOBAL__N_18offset_tEEE10hipError_tPvRmT1_PNSt15iterator_traitsIS13_E10value_typeET2_T3_PNS14_IS19_E10value_typeET4_jRbjT5_S1F_jjP12ihipStream_tbEUljE_ZNSN_ISO_Lb0ESR_SS_SU_SV_SZ_EES10_S11_S12_S13_S17_S18_S19_S1C_S1D_jS1E_jS1F_S1F_jjS1H_bEUljE0_EEES10_S11_S12_S19_S1D_S1F_T6_T7_T9_mT8_S1H_bDpT10_ENKUlT_T0_E_clISt17integral_constantIbLb1EES1V_EEDaS1Q_S1R_EUlS1Q_E_NS1_11comp_targetILNS1_3genE4ELNS1_11target_archE910ELNS1_3gpuE8ELNS1_3repE0EEENS1_30default_config_static_selectorELNS0_4arch9wavefront6targetE1EEEvS13_: ; @_ZN7rocprim17ROCPRIM_400000_NS6detail17trampoline_kernelINS0_13select_configILj256ELj13ELNS0_17block_load_methodE3ELS4_3ELS4_3ELNS0_20block_scan_algorithmE0ELj4294967295EEENS1_25partition_config_selectorILNS1_17partition_subalgoE4EjNS0_10empty_typeEbEEZZNS1_14partition_implILS8_4ELb0ES6_15HIP_vector_typeIjLj2EENS0_17counting_iteratorIjlEEPS9_SG_NS0_5tupleIJPjSI_NS0_16reverse_iteratorISI_EEEEENSH_IJSG_SG_SG_EEES9_SI_JZNS1_25segmented_radix_sort_implINS0_14default_configELb0EPK6__halfPSP_PKlPlN2at6native12_GLOBAL__N_18offset_tEEE10hipError_tPvRmT1_PNSt15iterator_traitsIS13_E10value_typeET2_T3_PNS14_IS19_E10value_typeET4_jRbjT5_S1F_jjP12ihipStream_tbEUljE_ZNSN_ISO_Lb0ESR_SS_SU_SV_SZ_EES10_S11_S12_S13_S17_S18_S19_S1C_S1D_jS1E_jS1F_S1F_jjS1H_bEUljE0_EEES10_S11_S12_S19_S1D_S1F_T6_T7_T9_mT8_S1H_bDpT10_ENKUlT_T0_E_clISt17integral_constantIbLb1EES1V_EEDaS1Q_S1R_EUlS1Q_E_NS1_11comp_targetILNS1_3genE4ELNS1_11target_archE910ELNS1_3gpuE8ELNS1_3repE0EEENS1_30default_config_static_selectorELNS0_4arch9wavefront6targetE1EEEvS13_
; %bb.0:
	.section	.rodata,"a",@progbits
	.p2align	6, 0x0
	.amdhsa_kernel _ZN7rocprim17ROCPRIM_400000_NS6detail17trampoline_kernelINS0_13select_configILj256ELj13ELNS0_17block_load_methodE3ELS4_3ELS4_3ELNS0_20block_scan_algorithmE0ELj4294967295EEENS1_25partition_config_selectorILNS1_17partition_subalgoE4EjNS0_10empty_typeEbEEZZNS1_14partition_implILS8_4ELb0ES6_15HIP_vector_typeIjLj2EENS0_17counting_iteratorIjlEEPS9_SG_NS0_5tupleIJPjSI_NS0_16reverse_iteratorISI_EEEEENSH_IJSG_SG_SG_EEES9_SI_JZNS1_25segmented_radix_sort_implINS0_14default_configELb0EPK6__halfPSP_PKlPlN2at6native12_GLOBAL__N_18offset_tEEE10hipError_tPvRmT1_PNSt15iterator_traitsIS13_E10value_typeET2_T3_PNS14_IS19_E10value_typeET4_jRbjT5_S1F_jjP12ihipStream_tbEUljE_ZNSN_ISO_Lb0ESR_SS_SU_SV_SZ_EES10_S11_S12_S13_S17_S18_S19_S1C_S1D_jS1E_jS1F_S1F_jjS1H_bEUljE0_EEES10_S11_S12_S19_S1D_S1F_T6_T7_T9_mT8_S1H_bDpT10_ENKUlT_T0_E_clISt17integral_constantIbLb1EES1V_EEDaS1Q_S1R_EUlS1Q_E_NS1_11comp_targetILNS1_3genE4ELNS1_11target_archE910ELNS1_3gpuE8ELNS1_3repE0EEENS1_30default_config_static_selectorELNS0_4arch9wavefront6targetE1EEEvS13_
		.amdhsa_group_segment_fixed_size 0
		.amdhsa_private_segment_fixed_size 0
		.amdhsa_kernarg_size 184
		.amdhsa_user_sgpr_count 6
		.amdhsa_user_sgpr_private_segment_buffer 1
		.amdhsa_user_sgpr_dispatch_ptr 0
		.amdhsa_user_sgpr_queue_ptr 0
		.amdhsa_user_sgpr_kernarg_segment_ptr 1
		.amdhsa_user_sgpr_dispatch_id 0
		.amdhsa_user_sgpr_flat_scratch_init 0
		.amdhsa_user_sgpr_private_segment_size 0
		.amdhsa_uses_dynamic_stack 0
		.amdhsa_system_sgpr_private_segment_wavefront_offset 0
		.amdhsa_system_sgpr_workgroup_id_x 1
		.amdhsa_system_sgpr_workgroup_id_y 0
		.amdhsa_system_sgpr_workgroup_id_z 0
		.amdhsa_system_sgpr_workgroup_info 0
		.amdhsa_system_vgpr_workitem_id 0
		.amdhsa_next_free_vgpr 1
		.amdhsa_next_free_sgpr 0
		.amdhsa_reserve_vcc 0
		.amdhsa_reserve_flat_scratch 0
		.amdhsa_float_round_mode_32 0
		.amdhsa_float_round_mode_16_64 0
		.amdhsa_float_denorm_mode_32 3
		.amdhsa_float_denorm_mode_16_64 3
		.amdhsa_dx10_clamp 1
		.amdhsa_ieee_mode 1
		.amdhsa_fp16_overflow 0
		.amdhsa_exception_fp_ieee_invalid_op 0
		.amdhsa_exception_fp_denorm_src 0
		.amdhsa_exception_fp_ieee_div_zero 0
		.amdhsa_exception_fp_ieee_overflow 0
		.amdhsa_exception_fp_ieee_underflow 0
		.amdhsa_exception_fp_ieee_inexact 0
		.amdhsa_exception_int_div_zero 0
	.end_amdhsa_kernel
	.section	.text._ZN7rocprim17ROCPRIM_400000_NS6detail17trampoline_kernelINS0_13select_configILj256ELj13ELNS0_17block_load_methodE3ELS4_3ELS4_3ELNS0_20block_scan_algorithmE0ELj4294967295EEENS1_25partition_config_selectorILNS1_17partition_subalgoE4EjNS0_10empty_typeEbEEZZNS1_14partition_implILS8_4ELb0ES6_15HIP_vector_typeIjLj2EENS0_17counting_iteratorIjlEEPS9_SG_NS0_5tupleIJPjSI_NS0_16reverse_iteratorISI_EEEEENSH_IJSG_SG_SG_EEES9_SI_JZNS1_25segmented_radix_sort_implINS0_14default_configELb0EPK6__halfPSP_PKlPlN2at6native12_GLOBAL__N_18offset_tEEE10hipError_tPvRmT1_PNSt15iterator_traitsIS13_E10value_typeET2_T3_PNS14_IS19_E10value_typeET4_jRbjT5_S1F_jjP12ihipStream_tbEUljE_ZNSN_ISO_Lb0ESR_SS_SU_SV_SZ_EES10_S11_S12_S13_S17_S18_S19_S1C_S1D_jS1E_jS1F_S1F_jjS1H_bEUljE0_EEES10_S11_S12_S19_S1D_S1F_T6_T7_T9_mT8_S1H_bDpT10_ENKUlT_T0_E_clISt17integral_constantIbLb1EES1V_EEDaS1Q_S1R_EUlS1Q_E_NS1_11comp_targetILNS1_3genE4ELNS1_11target_archE910ELNS1_3gpuE8ELNS1_3repE0EEENS1_30default_config_static_selectorELNS0_4arch9wavefront6targetE1EEEvS13_,"axG",@progbits,_ZN7rocprim17ROCPRIM_400000_NS6detail17trampoline_kernelINS0_13select_configILj256ELj13ELNS0_17block_load_methodE3ELS4_3ELS4_3ELNS0_20block_scan_algorithmE0ELj4294967295EEENS1_25partition_config_selectorILNS1_17partition_subalgoE4EjNS0_10empty_typeEbEEZZNS1_14partition_implILS8_4ELb0ES6_15HIP_vector_typeIjLj2EENS0_17counting_iteratorIjlEEPS9_SG_NS0_5tupleIJPjSI_NS0_16reverse_iteratorISI_EEEEENSH_IJSG_SG_SG_EEES9_SI_JZNS1_25segmented_radix_sort_implINS0_14default_configELb0EPK6__halfPSP_PKlPlN2at6native12_GLOBAL__N_18offset_tEEE10hipError_tPvRmT1_PNSt15iterator_traitsIS13_E10value_typeET2_T3_PNS14_IS19_E10value_typeET4_jRbjT5_S1F_jjP12ihipStream_tbEUljE_ZNSN_ISO_Lb0ESR_SS_SU_SV_SZ_EES10_S11_S12_S13_S17_S18_S19_S1C_S1D_jS1E_jS1F_S1F_jjS1H_bEUljE0_EEES10_S11_S12_S19_S1D_S1F_T6_T7_T9_mT8_S1H_bDpT10_ENKUlT_T0_E_clISt17integral_constantIbLb1EES1V_EEDaS1Q_S1R_EUlS1Q_E_NS1_11comp_targetILNS1_3genE4ELNS1_11target_archE910ELNS1_3gpuE8ELNS1_3repE0EEENS1_30default_config_static_selectorELNS0_4arch9wavefront6targetE1EEEvS13_,comdat
.Lfunc_end1788:
	.size	_ZN7rocprim17ROCPRIM_400000_NS6detail17trampoline_kernelINS0_13select_configILj256ELj13ELNS0_17block_load_methodE3ELS4_3ELS4_3ELNS0_20block_scan_algorithmE0ELj4294967295EEENS1_25partition_config_selectorILNS1_17partition_subalgoE4EjNS0_10empty_typeEbEEZZNS1_14partition_implILS8_4ELb0ES6_15HIP_vector_typeIjLj2EENS0_17counting_iteratorIjlEEPS9_SG_NS0_5tupleIJPjSI_NS0_16reverse_iteratorISI_EEEEENSH_IJSG_SG_SG_EEES9_SI_JZNS1_25segmented_radix_sort_implINS0_14default_configELb0EPK6__halfPSP_PKlPlN2at6native12_GLOBAL__N_18offset_tEEE10hipError_tPvRmT1_PNSt15iterator_traitsIS13_E10value_typeET2_T3_PNS14_IS19_E10value_typeET4_jRbjT5_S1F_jjP12ihipStream_tbEUljE_ZNSN_ISO_Lb0ESR_SS_SU_SV_SZ_EES10_S11_S12_S13_S17_S18_S19_S1C_S1D_jS1E_jS1F_S1F_jjS1H_bEUljE0_EEES10_S11_S12_S19_S1D_S1F_T6_T7_T9_mT8_S1H_bDpT10_ENKUlT_T0_E_clISt17integral_constantIbLb1EES1V_EEDaS1Q_S1R_EUlS1Q_E_NS1_11comp_targetILNS1_3genE4ELNS1_11target_archE910ELNS1_3gpuE8ELNS1_3repE0EEENS1_30default_config_static_selectorELNS0_4arch9wavefront6targetE1EEEvS13_, .Lfunc_end1788-_ZN7rocprim17ROCPRIM_400000_NS6detail17trampoline_kernelINS0_13select_configILj256ELj13ELNS0_17block_load_methodE3ELS4_3ELS4_3ELNS0_20block_scan_algorithmE0ELj4294967295EEENS1_25partition_config_selectorILNS1_17partition_subalgoE4EjNS0_10empty_typeEbEEZZNS1_14partition_implILS8_4ELb0ES6_15HIP_vector_typeIjLj2EENS0_17counting_iteratorIjlEEPS9_SG_NS0_5tupleIJPjSI_NS0_16reverse_iteratorISI_EEEEENSH_IJSG_SG_SG_EEES9_SI_JZNS1_25segmented_radix_sort_implINS0_14default_configELb0EPK6__halfPSP_PKlPlN2at6native12_GLOBAL__N_18offset_tEEE10hipError_tPvRmT1_PNSt15iterator_traitsIS13_E10value_typeET2_T3_PNS14_IS19_E10value_typeET4_jRbjT5_S1F_jjP12ihipStream_tbEUljE_ZNSN_ISO_Lb0ESR_SS_SU_SV_SZ_EES10_S11_S12_S13_S17_S18_S19_S1C_S1D_jS1E_jS1F_S1F_jjS1H_bEUljE0_EEES10_S11_S12_S19_S1D_S1F_T6_T7_T9_mT8_S1H_bDpT10_ENKUlT_T0_E_clISt17integral_constantIbLb1EES1V_EEDaS1Q_S1R_EUlS1Q_E_NS1_11comp_targetILNS1_3genE4ELNS1_11target_archE910ELNS1_3gpuE8ELNS1_3repE0EEENS1_30default_config_static_selectorELNS0_4arch9wavefront6targetE1EEEvS13_
                                        ; -- End function
	.set _ZN7rocprim17ROCPRIM_400000_NS6detail17trampoline_kernelINS0_13select_configILj256ELj13ELNS0_17block_load_methodE3ELS4_3ELS4_3ELNS0_20block_scan_algorithmE0ELj4294967295EEENS1_25partition_config_selectorILNS1_17partition_subalgoE4EjNS0_10empty_typeEbEEZZNS1_14partition_implILS8_4ELb0ES6_15HIP_vector_typeIjLj2EENS0_17counting_iteratorIjlEEPS9_SG_NS0_5tupleIJPjSI_NS0_16reverse_iteratorISI_EEEEENSH_IJSG_SG_SG_EEES9_SI_JZNS1_25segmented_radix_sort_implINS0_14default_configELb0EPK6__halfPSP_PKlPlN2at6native12_GLOBAL__N_18offset_tEEE10hipError_tPvRmT1_PNSt15iterator_traitsIS13_E10value_typeET2_T3_PNS14_IS19_E10value_typeET4_jRbjT5_S1F_jjP12ihipStream_tbEUljE_ZNSN_ISO_Lb0ESR_SS_SU_SV_SZ_EES10_S11_S12_S13_S17_S18_S19_S1C_S1D_jS1E_jS1F_S1F_jjS1H_bEUljE0_EEES10_S11_S12_S19_S1D_S1F_T6_T7_T9_mT8_S1H_bDpT10_ENKUlT_T0_E_clISt17integral_constantIbLb1EES1V_EEDaS1Q_S1R_EUlS1Q_E_NS1_11comp_targetILNS1_3genE4ELNS1_11target_archE910ELNS1_3gpuE8ELNS1_3repE0EEENS1_30default_config_static_selectorELNS0_4arch9wavefront6targetE1EEEvS13_.num_vgpr, 0
	.set _ZN7rocprim17ROCPRIM_400000_NS6detail17trampoline_kernelINS0_13select_configILj256ELj13ELNS0_17block_load_methodE3ELS4_3ELS4_3ELNS0_20block_scan_algorithmE0ELj4294967295EEENS1_25partition_config_selectorILNS1_17partition_subalgoE4EjNS0_10empty_typeEbEEZZNS1_14partition_implILS8_4ELb0ES6_15HIP_vector_typeIjLj2EENS0_17counting_iteratorIjlEEPS9_SG_NS0_5tupleIJPjSI_NS0_16reverse_iteratorISI_EEEEENSH_IJSG_SG_SG_EEES9_SI_JZNS1_25segmented_radix_sort_implINS0_14default_configELb0EPK6__halfPSP_PKlPlN2at6native12_GLOBAL__N_18offset_tEEE10hipError_tPvRmT1_PNSt15iterator_traitsIS13_E10value_typeET2_T3_PNS14_IS19_E10value_typeET4_jRbjT5_S1F_jjP12ihipStream_tbEUljE_ZNSN_ISO_Lb0ESR_SS_SU_SV_SZ_EES10_S11_S12_S13_S17_S18_S19_S1C_S1D_jS1E_jS1F_S1F_jjS1H_bEUljE0_EEES10_S11_S12_S19_S1D_S1F_T6_T7_T9_mT8_S1H_bDpT10_ENKUlT_T0_E_clISt17integral_constantIbLb1EES1V_EEDaS1Q_S1R_EUlS1Q_E_NS1_11comp_targetILNS1_3genE4ELNS1_11target_archE910ELNS1_3gpuE8ELNS1_3repE0EEENS1_30default_config_static_selectorELNS0_4arch9wavefront6targetE1EEEvS13_.num_agpr, 0
	.set _ZN7rocprim17ROCPRIM_400000_NS6detail17trampoline_kernelINS0_13select_configILj256ELj13ELNS0_17block_load_methodE3ELS4_3ELS4_3ELNS0_20block_scan_algorithmE0ELj4294967295EEENS1_25partition_config_selectorILNS1_17partition_subalgoE4EjNS0_10empty_typeEbEEZZNS1_14partition_implILS8_4ELb0ES6_15HIP_vector_typeIjLj2EENS0_17counting_iteratorIjlEEPS9_SG_NS0_5tupleIJPjSI_NS0_16reverse_iteratorISI_EEEEENSH_IJSG_SG_SG_EEES9_SI_JZNS1_25segmented_radix_sort_implINS0_14default_configELb0EPK6__halfPSP_PKlPlN2at6native12_GLOBAL__N_18offset_tEEE10hipError_tPvRmT1_PNSt15iterator_traitsIS13_E10value_typeET2_T3_PNS14_IS19_E10value_typeET4_jRbjT5_S1F_jjP12ihipStream_tbEUljE_ZNSN_ISO_Lb0ESR_SS_SU_SV_SZ_EES10_S11_S12_S13_S17_S18_S19_S1C_S1D_jS1E_jS1F_S1F_jjS1H_bEUljE0_EEES10_S11_S12_S19_S1D_S1F_T6_T7_T9_mT8_S1H_bDpT10_ENKUlT_T0_E_clISt17integral_constantIbLb1EES1V_EEDaS1Q_S1R_EUlS1Q_E_NS1_11comp_targetILNS1_3genE4ELNS1_11target_archE910ELNS1_3gpuE8ELNS1_3repE0EEENS1_30default_config_static_selectorELNS0_4arch9wavefront6targetE1EEEvS13_.numbered_sgpr, 0
	.set _ZN7rocprim17ROCPRIM_400000_NS6detail17trampoline_kernelINS0_13select_configILj256ELj13ELNS0_17block_load_methodE3ELS4_3ELS4_3ELNS0_20block_scan_algorithmE0ELj4294967295EEENS1_25partition_config_selectorILNS1_17partition_subalgoE4EjNS0_10empty_typeEbEEZZNS1_14partition_implILS8_4ELb0ES6_15HIP_vector_typeIjLj2EENS0_17counting_iteratorIjlEEPS9_SG_NS0_5tupleIJPjSI_NS0_16reverse_iteratorISI_EEEEENSH_IJSG_SG_SG_EEES9_SI_JZNS1_25segmented_radix_sort_implINS0_14default_configELb0EPK6__halfPSP_PKlPlN2at6native12_GLOBAL__N_18offset_tEEE10hipError_tPvRmT1_PNSt15iterator_traitsIS13_E10value_typeET2_T3_PNS14_IS19_E10value_typeET4_jRbjT5_S1F_jjP12ihipStream_tbEUljE_ZNSN_ISO_Lb0ESR_SS_SU_SV_SZ_EES10_S11_S12_S13_S17_S18_S19_S1C_S1D_jS1E_jS1F_S1F_jjS1H_bEUljE0_EEES10_S11_S12_S19_S1D_S1F_T6_T7_T9_mT8_S1H_bDpT10_ENKUlT_T0_E_clISt17integral_constantIbLb1EES1V_EEDaS1Q_S1R_EUlS1Q_E_NS1_11comp_targetILNS1_3genE4ELNS1_11target_archE910ELNS1_3gpuE8ELNS1_3repE0EEENS1_30default_config_static_selectorELNS0_4arch9wavefront6targetE1EEEvS13_.num_named_barrier, 0
	.set _ZN7rocprim17ROCPRIM_400000_NS6detail17trampoline_kernelINS0_13select_configILj256ELj13ELNS0_17block_load_methodE3ELS4_3ELS4_3ELNS0_20block_scan_algorithmE0ELj4294967295EEENS1_25partition_config_selectorILNS1_17partition_subalgoE4EjNS0_10empty_typeEbEEZZNS1_14partition_implILS8_4ELb0ES6_15HIP_vector_typeIjLj2EENS0_17counting_iteratorIjlEEPS9_SG_NS0_5tupleIJPjSI_NS0_16reverse_iteratorISI_EEEEENSH_IJSG_SG_SG_EEES9_SI_JZNS1_25segmented_radix_sort_implINS0_14default_configELb0EPK6__halfPSP_PKlPlN2at6native12_GLOBAL__N_18offset_tEEE10hipError_tPvRmT1_PNSt15iterator_traitsIS13_E10value_typeET2_T3_PNS14_IS19_E10value_typeET4_jRbjT5_S1F_jjP12ihipStream_tbEUljE_ZNSN_ISO_Lb0ESR_SS_SU_SV_SZ_EES10_S11_S12_S13_S17_S18_S19_S1C_S1D_jS1E_jS1F_S1F_jjS1H_bEUljE0_EEES10_S11_S12_S19_S1D_S1F_T6_T7_T9_mT8_S1H_bDpT10_ENKUlT_T0_E_clISt17integral_constantIbLb1EES1V_EEDaS1Q_S1R_EUlS1Q_E_NS1_11comp_targetILNS1_3genE4ELNS1_11target_archE910ELNS1_3gpuE8ELNS1_3repE0EEENS1_30default_config_static_selectorELNS0_4arch9wavefront6targetE1EEEvS13_.private_seg_size, 0
	.set _ZN7rocprim17ROCPRIM_400000_NS6detail17trampoline_kernelINS0_13select_configILj256ELj13ELNS0_17block_load_methodE3ELS4_3ELS4_3ELNS0_20block_scan_algorithmE0ELj4294967295EEENS1_25partition_config_selectorILNS1_17partition_subalgoE4EjNS0_10empty_typeEbEEZZNS1_14partition_implILS8_4ELb0ES6_15HIP_vector_typeIjLj2EENS0_17counting_iteratorIjlEEPS9_SG_NS0_5tupleIJPjSI_NS0_16reverse_iteratorISI_EEEEENSH_IJSG_SG_SG_EEES9_SI_JZNS1_25segmented_radix_sort_implINS0_14default_configELb0EPK6__halfPSP_PKlPlN2at6native12_GLOBAL__N_18offset_tEEE10hipError_tPvRmT1_PNSt15iterator_traitsIS13_E10value_typeET2_T3_PNS14_IS19_E10value_typeET4_jRbjT5_S1F_jjP12ihipStream_tbEUljE_ZNSN_ISO_Lb0ESR_SS_SU_SV_SZ_EES10_S11_S12_S13_S17_S18_S19_S1C_S1D_jS1E_jS1F_S1F_jjS1H_bEUljE0_EEES10_S11_S12_S19_S1D_S1F_T6_T7_T9_mT8_S1H_bDpT10_ENKUlT_T0_E_clISt17integral_constantIbLb1EES1V_EEDaS1Q_S1R_EUlS1Q_E_NS1_11comp_targetILNS1_3genE4ELNS1_11target_archE910ELNS1_3gpuE8ELNS1_3repE0EEENS1_30default_config_static_selectorELNS0_4arch9wavefront6targetE1EEEvS13_.uses_vcc, 0
	.set _ZN7rocprim17ROCPRIM_400000_NS6detail17trampoline_kernelINS0_13select_configILj256ELj13ELNS0_17block_load_methodE3ELS4_3ELS4_3ELNS0_20block_scan_algorithmE0ELj4294967295EEENS1_25partition_config_selectorILNS1_17partition_subalgoE4EjNS0_10empty_typeEbEEZZNS1_14partition_implILS8_4ELb0ES6_15HIP_vector_typeIjLj2EENS0_17counting_iteratorIjlEEPS9_SG_NS0_5tupleIJPjSI_NS0_16reverse_iteratorISI_EEEEENSH_IJSG_SG_SG_EEES9_SI_JZNS1_25segmented_radix_sort_implINS0_14default_configELb0EPK6__halfPSP_PKlPlN2at6native12_GLOBAL__N_18offset_tEEE10hipError_tPvRmT1_PNSt15iterator_traitsIS13_E10value_typeET2_T3_PNS14_IS19_E10value_typeET4_jRbjT5_S1F_jjP12ihipStream_tbEUljE_ZNSN_ISO_Lb0ESR_SS_SU_SV_SZ_EES10_S11_S12_S13_S17_S18_S19_S1C_S1D_jS1E_jS1F_S1F_jjS1H_bEUljE0_EEES10_S11_S12_S19_S1D_S1F_T6_T7_T9_mT8_S1H_bDpT10_ENKUlT_T0_E_clISt17integral_constantIbLb1EES1V_EEDaS1Q_S1R_EUlS1Q_E_NS1_11comp_targetILNS1_3genE4ELNS1_11target_archE910ELNS1_3gpuE8ELNS1_3repE0EEENS1_30default_config_static_selectorELNS0_4arch9wavefront6targetE1EEEvS13_.uses_flat_scratch, 0
	.set _ZN7rocprim17ROCPRIM_400000_NS6detail17trampoline_kernelINS0_13select_configILj256ELj13ELNS0_17block_load_methodE3ELS4_3ELS4_3ELNS0_20block_scan_algorithmE0ELj4294967295EEENS1_25partition_config_selectorILNS1_17partition_subalgoE4EjNS0_10empty_typeEbEEZZNS1_14partition_implILS8_4ELb0ES6_15HIP_vector_typeIjLj2EENS0_17counting_iteratorIjlEEPS9_SG_NS0_5tupleIJPjSI_NS0_16reverse_iteratorISI_EEEEENSH_IJSG_SG_SG_EEES9_SI_JZNS1_25segmented_radix_sort_implINS0_14default_configELb0EPK6__halfPSP_PKlPlN2at6native12_GLOBAL__N_18offset_tEEE10hipError_tPvRmT1_PNSt15iterator_traitsIS13_E10value_typeET2_T3_PNS14_IS19_E10value_typeET4_jRbjT5_S1F_jjP12ihipStream_tbEUljE_ZNSN_ISO_Lb0ESR_SS_SU_SV_SZ_EES10_S11_S12_S13_S17_S18_S19_S1C_S1D_jS1E_jS1F_S1F_jjS1H_bEUljE0_EEES10_S11_S12_S19_S1D_S1F_T6_T7_T9_mT8_S1H_bDpT10_ENKUlT_T0_E_clISt17integral_constantIbLb1EES1V_EEDaS1Q_S1R_EUlS1Q_E_NS1_11comp_targetILNS1_3genE4ELNS1_11target_archE910ELNS1_3gpuE8ELNS1_3repE0EEENS1_30default_config_static_selectorELNS0_4arch9wavefront6targetE1EEEvS13_.has_dyn_sized_stack, 0
	.set _ZN7rocprim17ROCPRIM_400000_NS6detail17trampoline_kernelINS0_13select_configILj256ELj13ELNS0_17block_load_methodE3ELS4_3ELS4_3ELNS0_20block_scan_algorithmE0ELj4294967295EEENS1_25partition_config_selectorILNS1_17partition_subalgoE4EjNS0_10empty_typeEbEEZZNS1_14partition_implILS8_4ELb0ES6_15HIP_vector_typeIjLj2EENS0_17counting_iteratorIjlEEPS9_SG_NS0_5tupleIJPjSI_NS0_16reverse_iteratorISI_EEEEENSH_IJSG_SG_SG_EEES9_SI_JZNS1_25segmented_radix_sort_implINS0_14default_configELb0EPK6__halfPSP_PKlPlN2at6native12_GLOBAL__N_18offset_tEEE10hipError_tPvRmT1_PNSt15iterator_traitsIS13_E10value_typeET2_T3_PNS14_IS19_E10value_typeET4_jRbjT5_S1F_jjP12ihipStream_tbEUljE_ZNSN_ISO_Lb0ESR_SS_SU_SV_SZ_EES10_S11_S12_S13_S17_S18_S19_S1C_S1D_jS1E_jS1F_S1F_jjS1H_bEUljE0_EEES10_S11_S12_S19_S1D_S1F_T6_T7_T9_mT8_S1H_bDpT10_ENKUlT_T0_E_clISt17integral_constantIbLb1EES1V_EEDaS1Q_S1R_EUlS1Q_E_NS1_11comp_targetILNS1_3genE4ELNS1_11target_archE910ELNS1_3gpuE8ELNS1_3repE0EEENS1_30default_config_static_selectorELNS0_4arch9wavefront6targetE1EEEvS13_.has_recursion, 0
	.set _ZN7rocprim17ROCPRIM_400000_NS6detail17trampoline_kernelINS0_13select_configILj256ELj13ELNS0_17block_load_methodE3ELS4_3ELS4_3ELNS0_20block_scan_algorithmE0ELj4294967295EEENS1_25partition_config_selectorILNS1_17partition_subalgoE4EjNS0_10empty_typeEbEEZZNS1_14partition_implILS8_4ELb0ES6_15HIP_vector_typeIjLj2EENS0_17counting_iteratorIjlEEPS9_SG_NS0_5tupleIJPjSI_NS0_16reverse_iteratorISI_EEEEENSH_IJSG_SG_SG_EEES9_SI_JZNS1_25segmented_radix_sort_implINS0_14default_configELb0EPK6__halfPSP_PKlPlN2at6native12_GLOBAL__N_18offset_tEEE10hipError_tPvRmT1_PNSt15iterator_traitsIS13_E10value_typeET2_T3_PNS14_IS19_E10value_typeET4_jRbjT5_S1F_jjP12ihipStream_tbEUljE_ZNSN_ISO_Lb0ESR_SS_SU_SV_SZ_EES10_S11_S12_S13_S17_S18_S19_S1C_S1D_jS1E_jS1F_S1F_jjS1H_bEUljE0_EEES10_S11_S12_S19_S1D_S1F_T6_T7_T9_mT8_S1H_bDpT10_ENKUlT_T0_E_clISt17integral_constantIbLb1EES1V_EEDaS1Q_S1R_EUlS1Q_E_NS1_11comp_targetILNS1_3genE4ELNS1_11target_archE910ELNS1_3gpuE8ELNS1_3repE0EEENS1_30default_config_static_selectorELNS0_4arch9wavefront6targetE1EEEvS13_.has_indirect_call, 0
	.section	.AMDGPU.csdata,"",@progbits
; Kernel info:
; codeLenInByte = 0
; TotalNumSgprs: 4
; NumVgprs: 0
; ScratchSize: 0
; MemoryBound: 0
; FloatMode: 240
; IeeeMode: 1
; LDSByteSize: 0 bytes/workgroup (compile time only)
; SGPRBlocks: 0
; VGPRBlocks: 0
; NumSGPRsForWavesPerEU: 4
; NumVGPRsForWavesPerEU: 1
; Occupancy: 10
; WaveLimiterHint : 0
; COMPUTE_PGM_RSRC2:SCRATCH_EN: 0
; COMPUTE_PGM_RSRC2:USER_SGPR: 6
; COMPUTE_PGM_RSRC2:TRAP_HANDLER: 0
; COMPUTE_PGM_RSRC2:TGID_X_EN: 1
; COMPUTE_PGM_RSRC2:TGID_Y_EN: 0
; COMPUTE_PGM_RSRC2:TGID_Z_EN: 0
; COMPUTE_PGM_RSRC2:TIDIG_COMP_CNT: 0
	.section	.text._ZN7rocprim17ROCPRIM_400000_NS6detail17trampoline_kernelINS0_13select_configILj256ELj13ELNS0_17block_load_methodE3ELS4_3ELS4_3ELNS0_20block_scan_algorithmE0ELj4294967295EEENS1_25partition_config_selectorILNS1_17partition_subalgoE4EjNS0_10empty_typeEbEEZZNS1_14partition_implILS8_4ELb0ES6_15HIP_vector_typeIjLj2EENS0_17counting_iteratorIjlEEPS9_SG_NS0_5tupleIJPjSI_NS0_16reverse_iteratorISI_EEEEENSH_IJSG_SG_SG_EEES9_SI_JZNS1_25segmented_radix_sort_implINS0_14default_configELb0EPK6__halfPSP_PKlPlN2at6native12_GLOBAL__N_18offset_tEEE10hipError_tPvRmT1_PNSt15iterator_traitsIS13_E10value_typeET2_T3_PNS14_IS19_E10value_typeET4_jRbjT5_S1F_jjP12ihipStream_tbEUljE_ZNSN_ISO_Lb0ESR_SS_SU_SV_SZ_EES10_S11_S12_S13_S17_S18_S19_S1C_S1D_jS1E_jS1F_S1F_jjS1H_bEUljE0_EEES10_S11_S12_S19_S1D_S1F_T6_T7_T9_mT8_S1H_bDpT10_ENKUlT_T0_E_clISt17integral_constantIbLb1EES1V_EEDaS1Q_S1R_EUlS1Q_E_NS1_11comp_targetILNS1_3genE3ELNS1_11target_archE908ELNS1_3gpuE7ELNS1_3repE0EEENS1_30default_config_static_selectorELNS0_4arch9wavefront6targetE1EEEvS13_,"axG",@progbits,_ZN7rocprim17ROCPRIM_400000_NS6detail17trampoline_kernelINS0_13select_configILj256ELj13ELNS0_17block_load_methodE3ELS4_3ELS4_3ELNS0_20block_scan_algorithmE0ELj4294967295EEENS1_25partition_config_selectorILNS1_17partition_subalgoE4EjNS0_10empty_typeEbEEZZNS1_14partition_implILS8_4ELb0ES6_15HIP_vector_typeIjLj2EENS0_17counting_iteratorIjlEEPS9_SG_NS0_5tupleIJPjSI_NS0_16reverse_iteratorISI_EEEEENSH_IJSG_SG_SG_EEES9_SI_JZNS1_25segmented_radix_sort_implINS0_14default_configELb0EPK6__halfPSP_PKlPlN2at6native12_GLOBAL__N_18offset_tEEE10hipError_tPvRmT1_PNSt15iterator_traitsIS13_E10value_typeET2_T3_PNS14_IS19_E10value_typeET4_jRbjT5_S1F_jjP12ihipStream_tbEUljE_ZNSN_ISO_Lb0ESR_SS_SU_SV_SZ_EES10_S11_S12_S13_S17_S18_S19_S1C_S1D_jS1E_jS1F_S1F_jjS1H_bEUljE0_EEES10_S11_S12_S19_S1D_S1F_T6_T7_T9_mT8_S1H_bDpT10_ENKUlT_T0_E_clISt17integral_constantIbLb1EES1V_EEDaS1Q_S1R_EUlS1Q_E_NS1_11comp_targetILNS1_3genE3ELNS1_11target_archE908ELNS1_3gpuE7ELNS1_3repE0EEENS1_30default_config_static_selectorELNS0_4arch9wavefront6targetE1EEEvS13_,comdat
	.globl	_ZN7rocprim17ROCPRIM_400000_NS6detail17trampoline_kernelINS0_13select_configILj256ELj13ELNS0_17block_load_methodE3ELS4_3ELS4_3ELNS0_20block_scan_algorithmE0ELj4294967295EEENS1_25partition_config_selectorILNS1_17partition_subalgoE4EjNS0_10empty_typeEbEEZZNS1_14partition_implILS8_4ELb0ES6_15HIP_vector_typeIjLj2EENS0_17counting_iteratorIjlEEPS9_SG_NS0_5tupleIJPjSI_NS0_16reverse_iteratorISI_EEEEENSH_IJSG_SG_SG_EEES9_SI_JZNS1_25segmented_radix_sort_implINS0_14default_configELb0EPK6__halfPSP_PKlPlN2at6native12_GLOBAL__N_18offset_tEEE10hipError_tPvRmT1_PNSt15iterator_traitsIS13_E10value_typeET2_T3_PNS14_IS19_E10value_typeET4_jRbjT5_S1F_jjP12ihipStream_tbEUljE_ZNSN_ISO_Lb0ESR_SS_SU_SV_SZ_EES10_S11_S12_S13_S17_S18_S19_S1C_S1D_jS1E_jS1F_S1F_jjS1H_bEUljE0_EEES10_S11_S12_S19_S1D_S1F_T6_T7_T9_mT8_S1H_bDpT10_ENKUlT_T0_E_clISt17integral_constantIbLb1EES1V_EEDaS1Q_S1R_EUlS1Q_E_NS1_11comp_targetILNS1_3genE3ELNS1_11target_archE908ELNS1_3gpuE7ELNS1_3repE0EEENS1_30default_config_static_selectorELNS0_4arch9wavefront6targetE1EEEvS13_ ; -- Begin function _ZN7rocprim17ROCPRIM_400000_NS6detail17trampoline_kernelINS0_13select_configILj256ELj13ELNS0_17block_load_methodE3ELS4_3ELS4_3ELNS0_20block_scan_algorithmE0ELj4294967295EEENS1_25partition_config_selectorILNS1_17partition_subalgoE4EjNS0_10empty_typeEbEEZZNS1_14partition_implILS8_4ELb0ES6_15HIP_vector_typeIjLj2EENS0_17counting_iteratorIjlEEPS9_SG_NS0_5tupleIJPjSI_NS0_16reverse_iteratorISI_EEEEENSH_IJSG_SG_SG_EEES9_SI_JZNS1_25segmented_radix_sort_implINS0_14default_configELb0EPK6__halfPSP_PKlPlN2at6native12_GLOBAL__N_18offset_tEEE10hipError_tPvRmT1_PNSt15iterator_traitsIS13_E10value_typeET2_T3_PNS14_IS19_E10value_typeET4_jRbjT5_S1F_jjP12ihipStream_tbEUljE_ZNSN_ISO_Lb0ESR_SS_SU_SV_SZ_EES10_S11_S12_S13_S17_S18_S19_S1C_S1D_jS1E_jS1F_S1F_jjS1H_bEUljE0_EEES10_S11_S12_S19_S1D_S1F_T6_T7_T9_mT8_S1H_bDpT10_ENKUlT_T0_E_clISt17integral_constantIbLb1EES1V_EEDaS1Q_S1R_EUlS1Q_E_NS1_11comp_targetILNS1_3genE3ELNS1_11target_archE908ELNS1_3gpuE7ELNS1_3repE0EEENS1_30default_config_static_selectorELNS0_4arch9wavefront6targetE1EEEvS13_
	.p2align	8
	.type	_ZN7rocprim17ROCPRIM_400000_NS6detail17trampoline_kernelINS0_13select_configILj256ELj13ELNS0_17block_load_methodE3ELS4_3ELS4_3ELNS0_20block_scan_algorithmE0ELj4294967295EEENS1_25partition_config_selectorILNS1_17partition_subalgoE4EjNS0_10empty_typeEbEEZZNS1_14partition_implILS8_4ELb0ES6_15HIP_vector_typeIjLj2EENS0_17counting_iteratorIjlEEPS9_SG_NS0_5tupleIJPjSI_NS0_16reverse_iteratorISI_EEEEENSH_IJSG_SG_SG_EEES9_SI_JZNS1_25segmented_radix_sort_implINS0_14default_configELb0EPK6__halfPSP_PKlPlN2at6native12_GLOBAL__N_18offset_tEEE10hipError_tPvRmT1_PNSt15iterator_traitsIS13_E10value_typeET2_T3_PNS14_IS19_E10value_typeET4_jRbjT5_S1F_jjP12ihipStream_tbEUljE_ZNSN_ISO_Lb0ESR_SS_SU_SV_SZ_EES10_S11_S12_S13_S17_S18_S19_S1C_S1D_jS1E_jS1F_S1F_jjS1H_bEUljE0_EEES10_S11_S12_S19_S1D_S1F_T6_T7_T9_mT8_S1H_bDpT10_ENKUlT_T0_E_clISt17integral_constantIbLb1EES1V_EEDaS1Q_S1R_EUlS1Q_E_NS1_11comp_targetILNS1_3genE3ELNS1_11target_archE908ELNS1_3gpuE7ELNS1_3repE0EEENS1_30default_config_static_selectorELNS0_4arch9wavefront6targetE1EEEvS13_,@function
_ZN7rocprim17ROCPRIM_400000_NS6detail17trampoline_kernelINS0_13select_configILj256ELj13ELNS0_17block_load_methodE3ELS4_3ELS4_3ELNS0_20block_scan_algorithmE0ELj4294967295EEENS1_25partition_config_selectorILNS1_17partition_subalgoE4EjNS0_10empty_typeEbEEZZNS1_14partition_implILS8_4ELb0ES6_15HIP_vector_typeIjLj2EENS0_17counting_iteratorIjlEEPS9_SG_NS0_5tupleIJPjSI_NS0_16reverse_iteratorISI_EEEEENSH_IJSG_SG_SG_EEES9_SI_JZNS1_25segmented_radix_sort_implINS0_14default_configELb0EPK6__halfPSP_PKlPlN2at6native12_GLOBAL__N_18offset_tEEE10hipError_tPvRmT1_PNSt15iterator_traitsIS13_E10value_typeET2_T3_PNS14_IS19_E10value_typeET4_jRbjT5_S1F_jjP12ihipStream_tbEUljE_ZNSN_ISO_Lb0ESR_SS_SU_SV_SZ_EES10_S11_S12_S13_S17_S18_S19_S1C_S1D_jS1E_jS1F_S1F_jjS1H_bEUljE0_EEES10_S11_S12_S19_S1D_S1F_T6_T7_T9_mT8_S1H_bDpT10_ENKUlT_T0_E_clISt17integral_constantIbLb1EES1V_EEDaS1Q_S1R_EUlS1Q_E_NS1_11comp_targetILNS1_3genE3ELNS1_11target_archE908ELNS1_3gpuE7ELNS1_3repE0EEENS1_30default_config_static_selectorELNS0_4arch9wavefront6targetE1EEEvS13_: ; @_ZN7rocprim17ROCPRIM_400000_NS6detail17trampoline_kernelINS0_13select_configILj256ELj13ELNS0_17block_load_methodE3ELS4_3ELS4_3ELNS0_20block_scan_algorithmE0ELj4294967295EEENS1_25partition_config_selectorILNS1_17partition_subalgoE4EjNS0_10empty_typeEbEEZZNS1_14partition_implILS8_4ELb0ES6_15HIP_vector_typeIjLj2EENS0_17counting_iteratorIjlEEPS9_SG_NS0_5tupleIJPjSI_NS0_16reverse_iteratorISI_EEEEENSH_IJSG_SG_SG_EEES9_SI_JZNS1_25segmented_radix_sort_implINS0_14default_configELb0EPK6__halfPSP_PKlPlN2at6native12_GLOBAL__N_18offset_tEEE10hipError_tPvRmT1_PNSt15iterator_traitsIS13_E10value_typeET2_T3_PNS14_IS19_E10value_typeET4_jRbjT5_S1F_jjP12ihipStream_tbEUljE_ZNSN_ISO_Lb0ESR_SS_SU_SV_SZ_EES10_S11_S12_S13_S17_S18_S19_S1C_S1D_jS1E_jS1F_S1F_jjS1H_bEUljE0_EEES10_S11_S12_S19_S1D_S1F_T6_T7_T9_mT8_S1H_bDpT10_ENKUlT_T0_E_clISt17integral_constantIbLb1EES1V_EEDaS1Q_S1R_EUlS1Q_E_NS1_11comp_targetILNS1_3genE3ELNS1_11target_archE908ELNS1_3gpuE7ELNS1_3repE0EEENS1_30default_config_static_selectorELNS0_4arch9wavefront6targetE1EEEvS13_
; %bb.0:
	.section	.rodata,"a",@progbits
	.p2align	6, 0x0
	.amdhsa_kernel _ZN7rocprim17ROCPRIM_400000_NS6detail17trampoline_kernelINS0_13select_configILj256ELj13ELNS0_17block_load_methodE3ELS4_3ELS4_3ELNS0_20block_scan_algorithmE0ELj4294967295EEENS1_25partition_config_selectorILNS1_17partition_subalgoE4EjNS0_10empty_typeEbEEZZNS1_14partition_implILS8_4ELb0ES6_15HIP_vector_typeIjLj2EENS0_17counting_iteratorIjlEEPS9_SG_NS0_5tupleIJPjSI_NS0_16reverse_iteratorISI_EEEEENSH_IJSG_SG_SG_EEES9_SI_JZNS1_25segmented_radix_sort_implINS0_14default_configELb0EPK6__halfPSP_PKlPlN2at6native12_GLOBAL__N_18offset_tEEE10hipError_tPvRmT1_PNSt15iterator_traitsIS13_E10value_typeET2_T3_PNS14_IS19_E10value_typeET4_jRbjT5_S1F_jjP12ihipStream_tbEUljE_ZNSN_ISO_Lb0ESR_SS_SU_SV_SZ_EES10_S11_S12_S13_S17_S18_S19_S1C_S1D_jS1E_jS1F_S1F_jjS1H_bEUljE0_EEES10_S11_S12_S19_S1D_S1F_T6_T7_T9_mT8_S1H_bDpT10_ENKUlT_T0_E_clISt17integral_constantIbLb1EES1V_EEDaS1Q_S1R_EUlS1Q_E_NS1_11comp_targetILNS1_3genE3ELNS1_11target_archE908ELNS1_3gpuE7ELNS1_3repE0EEENS1_30default_config_static_selectorELNS0_4arch9wavefront6targetE1EEEvS13_
		.amdhsa_group_segment_fixed_size 0
		.amdhsa_private_segment_fixed_size 0
		.amdhsa_kernarg_size 184
		.amdhsa_user_sgpr_count 6
		.amdhsa_user_sgpr_private_segment_buffer 1
		.amdhsa_user_sgpr_dispatch_ptr 0
		.amdhsa_user_sgpr_queue_ptr 0
		.amdhsa_user_sgpr_kernarg_segment_ptr 1
		.amdhsa_user_sgpr_dispatch_id 0
		.amdhsa_user_sgpr_flat_scratch_init 0
		.amdhsa_user_sgpr_private_segment_size 0
		.amdhsa_uses_dynamic_stack 0
		.amdhsa_system_sgpr_private_segment_wavefront_offset 0
		.amdhsa_system_sgpr_workgroup_id_x 1
		.amdhsa_system_sgpr_workgroup_id_y 0
		.amdhsa_system_sgpr_workgroup_id_z 0
		.amdhsa_system_sgpr_workgroup_info 0
		.amdhsa_system_vgpr_workitem_id 0
		.amdhsa_next_free_vgpr 1
		.amdhsa_next_free_sgpr 0
		.amdhsa_reserve_vcc 0
		.amdhsa_reserve_flat_scratch 0
		.amdhsa_float_round_mode_32 0
		.amdhsa_float_round_mode_16_64 0
		.amdhsa_float_denorm_mode_32 3
		.amdhsa_float_denorm_mode_16_64 3
		.amdhsa_dx10_clamp 1
		.amdhsa_ieee_mode 1
		.amdhsa_fp16_overflow 0
		.amdhsa_exception_fp_ieee_invalid_op 0
		.amdhsa_exception_fp_denorm_src 0
		.amdhsa_exception_fp_ieee_div_zero 0
		.amdhsa_exception_fp_ieee_overflow 0
		.amdhsa_exception_fp_ieee_underflow 0
		.amdhsa_exception_fp_ieee_inexact 0
		.amdhsa_exception_int_div_zero 0
	.end_amdhsa_kernel
	.section	.text._ZN7rocprim17ROCPRIM_400000_NS6detail17trampoline_kernelINS0_13select_configILj256ELj13ELNS0_17block_load_methodE3ELS4_3ELS4_3ELNS0_20block_scan_algorithmE0ELj4294967295EEENS1_25partition_config_selectorILNS1_17partition_subalgoE4EjNS0_10empty_typeEbEEZZNS1_14partition_implILS8_4ELb0ES6_15HIP_vector_typeIjLj2EENS0_17counting_iteratorIjlEEPS9_SG_NS0_5tupleIJPjSI_NS0_16reverse_iteratorISI_EEEEENSH_IJSG_SG_SG_EEES9_SI_JZNS1_25segmented_radix_sort_implINS0_14default_configELb0EPK6__halfPSP_PKlPlN2at6native12_GLOBAL__N_18offset_tEEE10hipError_tPvRmT1_PNSt15iterator_traitsIS13_E10value_typeET2_T3_PNS14_IS19_E10value_typeET4_jRbjT5_S1F_jjP12ihipStream_tbEUljE_ZNSN_ISO_Lb0ESR_SS_SU_SV_SZ_EES10_S11_S12_S13_S17_S18_S19_S1C_S1D_jS1E_jS1F_S1F_jjS1H_bEUljE0_EEES10_S11_S12_S19_S1D_S1F_T6_T7_T9_mT8_S1H_bDpT10_ENKUlT_T0_E_clISt17integral_constantIbLb1EES1V_EEDaS1Q_S1R_EUlS1Q_E_NS1_11comp_targetILNS1_3genE3ELNS1_11target_archE908ELNS1_3gpuE7ELNS1_3repE0EEENS1_30default_config_static_selectorELNS0_4arch9wavefront6targetE1EEEvS13_,"axG",@progbits,_ZN7rocprim17ROCPRIM_400000_NS6detail17trampoline_kernelINS0_13select_configILj256ELj13ELNS0_17block_load_methodE3ELS4_3ELS4_3ELNS0_20block_scan_algorithmE0ELj4294967295EEENS1_25partition_config_selectorILNS1_17partition_subalgoE4EjNS0_10empty_typeEbEEZZNS1_14partition_implILS8_4ELb0ES6_15HIP_vector_typeIjLj2EENS0_17counting_iteratorIjlEEPS9_SG_NS0_5tupleIJPjSI_NS0_16reverse_iteratorISI_EEEEENSH_IJSG_SG_SG_EEES9_SI_JZNS1_25segmented_radix_sort_implINS0_14default_configELb0EPK6__halfPSP_PKlPlN2at6native12_GLOBAL__N_18offset_tEEE10hipError_tPvRmT1_PNSt15iterator_traitsIS13_E10value_typeET2_T3_PNS14_IS19_E10value_typeET4_jRbjT5_S1F_jjP12ihipStream_tbEUljE_ZNSN_ISO_Lb0ESR_SS_SU_SV_SZ_EES10_S11_S12_S13_S17_S18_S19_S1C_S1D_jS1E_jS1F_S1F_jjS1H_bEUljE0_EEES10_S11_S12_S19_S1D_S1F_T6_T7_T9_mT8_S1H_bDpT10_ENKUlT_T0_E_clISt17integral_constantIbLb1EES1V_EEDaS1Q_S1R_EUlS1Q_E_NS1_11comp_targetILNS1_3genE3ELNS1_11target_archE908ELNS1_3gpuE7ELNS1_3repE0EEENS1_30default_config_static_selectorELNS0_4arch9wavefront6targetE1EEEvS13_,comdat
.Lfunc_end1789:
	.size	_ZN7rocprim17ROCPRIM_400000_NS6detail17trampoline_kernelINS0_13select_configILj256ELj13ELNS0_17block_load_methodE3ELS4_3ELS4_3ELNS0_20block_scan_algorithmE0ELj4294967295EEENS1_25partition_config_selectorILNS1_17partition_subalgoE4EjNS0_10empty_typeEbEEZZNS1_14partition_implILS8_4ELb0ES6_15HIP_vector_typeIjLj2EENS0_17counting_iteratorIjlEEPS9_SG_NS0_5tupleIJPjSI_NS0_16reverse_iteratorISI_EEEEENSH_IJSG_SG_SG_EEES9_SI_JZNS1_25segmented_radix_sort_implINS0_14default_configELb0EPK6__halfPSP_PKlPlN2at6native12_GLOBAL__N_18offset_tEEE10hipError_tPvRmT1_PNSt15iterator_traitsIS13_E10value_typeET2_T3_PNS14_IS19_E10value_typeET4_jRbjT5_S1F_jjP12ihipStream_tbEUljE_ZNSN_ISO_Lb0ESR_SS_SU_SV_SZ_EES10_S11_S12_S13_S17_S18_S19_S1C_S1D_jS1E_jS1F_S1F_jjS1H_bEUljE0_EEES10_S11_S12_S19_S1D_S1F_T6_T7_T9_mT8_S1H_bDpT10_ENKUlT_T0_E_clISt17integral_constantIbLb1EES1V_EEDaS1Q_S1R_EUlS1Q_E_NS1_11comp_targetILNS1_3genE3ELNS1_11target_archE908ELNS1_3gpuE7ELNS1_3repE0EEENS1_30default_config_static_selectorELNS0_4arch9wavefront6targetE1EEEvS13_, .Lfunc_end1789-_ZN7rocprim17ROCPRIM_400000_NS6detail17trampoline_kernelINS0_13select_configILj256ELj13ELNS0_17block_load_methodE3ELS4_3ELS4_3ELNS0_20block_scan_algorithmE0ELj4294967295EEENS1_25partition_config_selectorILNS1_17partition_subalgoE4EjNS0_10empty_typeEbEEZZNS1_14partition_implILS8_4ELb0ES6_15HIP_vector_typeIjLj2EENS0_17counting_iteratorIjlEEPS9_SG_NS0_5tupleIJPjSI_NS0_16reverse_iteratorISI_EEEEENSH_IJSG_SG_SG_EEES9_SI_JZNS1_25segmented_radix_sort_implINS0_14default_configELb0EPK6__halfPSP_PKlPlN2at6native12_GLOBAL__N_18offset_tEEE10hipError_tPvRmT1_PNSt15iterator_traitsIS13_E10value_typeET2_T3_PNS14_IS19_E10value_typeET4_jRbjT5_S1F_jjP12ihipStream_tbEUljE_ZNSN_ISO_Lb0ESR_SS_SU_SV_SZ_EES10_S11_S12_S13_S17_S18_S19_S1C_S1D_jS1E_jS1F_S1F_jjS1H_bEUljE0_EEES10_S11_S12_S19_S1D_S1F_T6_T7_T9_mT8_S1H_bDpT10_ENKUlT_T0_E_clISt17integral_constantIbLb1EES1V_EEDaS1Q_S1R_EUlS1Q_E_NS1_11comp_targetILNS1_3genE3ELNS1_11target_archE908ELNS1_3gpuE7ELNS1_3repE0EEENS1_30default_config_static_selectorELNS0_4arch9wavefront6targetE1EEEvS13_
                                        ; -- End function
	.set _ZN7rocprim17ROCPRIM_400000_NS6detail17trampoline_kernelINS0_13select_configILj256ELj13ELNS0_17block_load_methodE3ELS4_3ELS4_3ELNS0_20block_scan_algorithmE0ELj4294967295EEENS1_25partition_config_selectorILNS1_17partition_subalgoE4EjNS0_10empty_typeEbEEZZNS1_14partition_implILS8_4ELb0ES6_15HIP_vector_typeIjLj2EENS0_17counting_iteratorIjlEEPS9_SG_NS0_5tupleIJPjSI_NS0_16reverse_iteratorISI_EEEEENSH_IJSG_SG_SG_EEES9_SI_JZNS1_25segmented_radix_sort_implINS0_14default_configELb0EPK6__halfPSP_PKlPlN2at6native12_GLOBAL__N_18offset_tEEE10hipError_tPvRmT1_PNSt15iterator_traitsIS13_E10value_typeET2_T3_PNS14_IS19_E10value_typeET4_jRbjT5_S1F_jjP12ihipStream_tbEUljE_ZNSN_ISO_Lb0ESR_SS_SU_SV_SZ_EES10_S11_S12_S13_S17_S18_S19_S1C_S1D_jS1E_jS1F_S1F_jjS1H_bEUljE0_EEES10_S11_S12_S19_S1D_S1F_T6_T7_T9_mT8_S1H_bDpT10_ENKUlT_T0_E_clISt17integral_constantIbLb1EES1V_EEDaS1Q_S1R_EUlS1Q_E_NS1_11comp_targetILNS1_3genE3ELNS1_11target_archE908ELNS1_3gpuE7ELNS1_3repE0EEENS1_30default_config_static_selectorELNS0_4arch9wavefront6targetE1EEEvS13_.num_vgpr, 0
	.set _ZN7rocprim17ROCPRIM_400000_NS6detail17trampoline_kernelINS0_13select_configILj256ELj13ELNS0_17block_load_methodE3ELS4_3ELS4_3ELNS0_20block_scan_algorithmE0ELj4294967295EEENS1_25partition_config_selectorILNS1_17partition_subalgoE4EjNS0_10empty_typeEbEEZZNS1_14partition_implILS8_4ELb0ES6_15HIP_vector_typeIjLj2EENS0_17counting_iteratorIjlEEPS9_SG_NS0_5tupleIJPjSI_NS0_16reverse_iteratorISI_EEEEENSH_IJSG_SG_SG_EEES9_SI_JZNS1_25segmented_radix_sort_implINS0_14default_configELb0EPK6__halfPSP_PKlPlN2at6native12_GLOBAL__N_18offset_tEEE10hipError_tPvRmT1_PNSt15iterator_traitsIS13_E10value_typeET2_T3_PNS14_IS19_E10value_typeET4_jRbjT5_S1F_jjP12ihipStream_tbEUljE_ZNSN_ISO_Lb0ESR_SS_SU_SV_SZ_EES10_S11_S12_S13_S17_S18_S19_S1C_S1D_jS1E_jS1F_S1F_jjS1H_bEUljE0_EEES10_S11_S12_S19_S1D_S1F_T6_T7_T9_mT8_S1H_bDpT10_ENKUlT_T0_E_clISt17integral_constantIbLb1EES1V_EEDaS1Q_S1R_EUlS1Q_E_NS1_11comp_targetILNS1_3genE3ELNS1_11target_archE908ELNS1_3gpuE7ELNS1_3repE0EEENS1_30default_config_static_selectorELNS0_4arch9wavefront6targetE1EEEvS13_.num_agpr, 0
	.set _ZN7rocprim17ROCPRIM_400000_NS6detail17trampoline_kernelINS0_13select_configILj256ELj13ELNS0_17block_load_methodE3ELS4_3ELS4_3ELNS0_20block_scan_algorithmE0ELj4294967295EEENS1_25partition_config_selectorILNS1_17partition_subalgoE4EjNS0_10empty_typeEbEEZZNS1_14partition_implILS8_4ELb0ES6_15HIP_vector_typeIjLj2EENS0_17counting_iteratorIjlEEPS9_SG_NS0_5tupleIJPjSI_NS0_16reverse_iteratorISI_EEEEENSH_IJSG_SG_SG_EEES9_SI_JZNS1_25segmented_radix_sort_implINS0_14default_configELb0EPK6__halfPSP_PKlPlN2at6native12_GLOBAL__N_18offset_tEEE10hipError_tPvRmT1_PNSt15iterator_traitsIS13_E10value_typeET2_T3_PNS14_IS19_E10value_typeET4_jRbjT5_S1F_jjP12ihipStream_tbEUljE_ZNSN_ISO_Lb0ESR_SS_SU_SV_SZ_EES10_S11_S12_S13_S17_S18_S19_S1C_S1D_jS1E_jS1F_S1F_jjS1H_bEUljE0_EEES10_S11_S12_S19_S1D_S1F_T6_T7_T9_mT8_S1H_bDpT10_ENKUlT_T0_E_clISt17integral_constantIbLb1EES1V_EEDaS1Q_S1R_EUlS1Q_E_NS1_11comp_targetILNS1_3genE3ELNS1_11target_archE908ELNS1_3gpuE7ELNS1_3repE0EEENS1_30default_config_static_selectorELNS0_4arch9wavefront6targetE1EEEvS13_.numbered_sgpr, 0
	.set _ZN7rocprim17ROCPRIM_400000_NS6detail17trampoline_kernelINS0_13select_configILj256ELj13ELNS0_17block_load_methodE3ELS4_3ELS4_3ELNS0_20block_scan_algorithmE0ELj4294967295EEENS1_25partition_config_selectorILNS1_17partition_subalgoE4EjNS0_10empty_typeEbEEZZNS1_14partition_implILS8_4ELb0ES6_15HIP_vector_typeIjLj2EENS0_17counting_iteratorIjlEEPS9_SG_NS0_5tupleIJPjSI_NS0_16reverse_iteratorISI_EEEEENSH_IJSG_SG_SG_EEES9_SI_JZNS1_25segmented_radix_sort_implINS0_14default_configELb0EPK6__halfPSP_PKlPlN2at6native12_GLOBAL__N_18offset_tEEE10hipError_tPvRmT1_PNSt15iterator_traitsIS13_E10value_typeET2_T3_PNS14_IS19_E10value_typeET4_jRbjT5_S1F_jjP12ihipStream_tbEUljE_ZNSN_ISO_Lb0ESR_SS_SU_SV_SZ_EES10_S11_S12_S13_S17_S18_S19_S1C_S1D_jS1E_jS1F_S1F_jjS1H_bEUljE0_EEES10_S11_S12_S19_S1D_S1F_T6_T7_T9_mT8_S1H_bDpT10_ENKUlT_T0_E_clISt17integral_constantIbLb1EES1V_EEDaS1Q_S1R_EUlS1Q_E_NS1_11comp_targetILNS1_3genE3ELNS1_11target_archE908ELNS1_3gpuE7ELNS1_3repE0EEENS1_30default_config_static_selectorELNS0_4arch9wavefront6targetE1EEEvS13_.num_named_barrier, 0
	.set _ZN7rocprim17ROCPRIM_400000_NS6detail17trampoline_kernelINS0_13select_configILj256ELj13ELNS0_17block_load_methodE3ELS4_3ELS4_3ELNS0_20block_scan_algorithmE0ELj4294967295EEENS1_25partition_config_selectorILNS1_17partition_subalgoE4EjNS0_10empty_typeEbEEZZNS1_14partition_implILS8_4ELb0ES6_15HIP_vector_typeIjLj2EENS0_17counting_iteratorIjlEEPS9_SG_NS0_5tupleIJPjSI_NS0_16reverse_iteratorISI_EEEEENSH_IJSG_SG_SG_EEES9_SI_JZNS1_25segmented_radix_sort_implINS0_14default_configELb0EPK6__halfPSP_PKlPlN2at6native12_GLOBAL__N_18offset_tEEE10hipError_tPvRmT1_PNSt15iterator_traitsIS13_E10value_typeET2_T3_PNS14_IS19_E10value_typeET4_jRbjT5_S1F_jjP12ihipStream_tbEUljE_ZNSN_ISO_Lb0ESR_SS_SU_SV_SZ_EES10_S11_S12_S13_S17_S18_S19_S1C_S1D_jS1E_jS1F_S1F_jjS1H_bEUljE0_EEES10_S11_S12_S19_S1D_S1F_T6_T7_T9_mT8_S1H_bDpT10_ENKUlT_T0_E_clISt17integral_constantIbLb1EES1V_EEDaS1Q_S1R_EUlS1Q_E_NS1_11comp_targetILNS1_3genE3ELNS1_11target_archE908ELNS1_3gpuE7ELNS1_3repE0EEENS1_30default_config_static_selectorELNS0_4arch9wavefront6targetE1EEEvS13_.private_seg_size, 0
	.set _ZN7rocprim17ROCPRIM_400000_NS6detail17trampoline_kernelINS0_13select_configILj256ELj13ELNS0_17block_load_methodE3ELS4_3ELS4_3ELNS0_20block_scan_algorithmE0ELj4294967295EEENS1_25partition_config_selectorILNS1_17partition_subalgoE4EjNS0_10empty_typeEbEEZZNS1_14partition_implILS8_4ELb0ES6_15HIP_vector_typeIjLj2EENS0_17counting_iteratorIjlEEPS9_SG_NS0_5tupleIJPjSI_NS0_16reverse_iteratorISI_EEEEENSH_IJSG_SG_SG_EEES9_SI_JZNS1_25segmented_radix_sort_implINS0_14default_configELb0EPK6__halfPSP_PKlPlN2at6native12_GLOBAL__N_18offset_tEEE10hipError_tPvRmT1_PNSt15iterator_traitsIS13_E10value_typeET2_T3_PNS14_IS19_E10value_typeET4_jRbjT5_S1F_jjP12ihipStream_tbEUljE_ZNSN_ISO_Lb0ESR_SS_SU_SV_SZ_EES10_S11_S12_S13_S17_S18_S19_S1C_S1D_jS1E_jS1F_S1F_jjS1H_bEUljE0_EEES10_S11_S12_S19_S1D_S1F_T6_T7_T9_mT8_S1H_bDpT10_ENKUlT_T0_E_clISt17integral_constantIbLb1EES1V_EEDaS1Q_S1R_EUlS1Q_E_NS1_11comp_targetILNS1_3genE3ELNS1_11target_archE908ELNS1_3gpuE7ELNS1_3repE0EEENS1_30default_config_static_selectorELNS0_4arch9wavefront6targetE1EEEvS13_.uses_vcc, 0
	.set _ZN7rocprim17ROCPRIM_400000_NS6detail17trampoline_kernelINS0_13select_configILj256ELj13ELNS0_17block_load_methodE3ELS4_3ELS4_3ELNS0_20block_scan_algorithmE0ELj4294967295EEENS1_25partition_config_selectorILNS1_17partition_subalgoE4EjNS0_10empty_typeEbEEZZNS1_14partition_implILS8_4ELb0ES6_15HIP_vector_typeIjLj2EENS0_17counting_iteratorIjlEEPS9_SG_NS0_5tupleIJPjSI_NS0_16reverse_iteratorISI_EEEEENSH_IJSG_SG_SG_EEES9_SI_JZNS1_25segmented_radix_sort_implINS0_14default_configELb0EPK6__halfPSP_PKlPlN2at6native12_GLOBAL__N_18offset_tEEE10hipError_tPvRmT1_PNSt15iterator_traitsIS13_E10value_typeET2_T3_PNS14_IS19_E10value_typeET4_jRbjT5_S1F_jjP12ihipStream_tbEUljE_ZNSN_ISO_Lb0ESR_SS_SU_SV_SZ_EES10_S11_S12_S13_S17_S18_S19_S1C_S1D_jS1E_jS1F_S1F_jjS1H_bEUljE0_EEES10_S11_S12_S19_S1D_S1F_T6_T7_T9_mT8_S1H_bDpT10_ENKUlT_T0_E_clISt17integral_constantIbLb1EES1V_EEDaS1Q_S1R_EUlS1Q_E_NS1_11comp_targetILNS1_3genE3ELNS1_11target_archE908ELNS1_3gpuE7ELNS1_3repE0EEENS1_30default_config_static_selectorELNS0_4arch9wavefront6targetE1EEEvS13_.uses_flat_scratch, 0
	.set _ZN7rocprim17ROCPRIM_400000_NS6detail17trampoline_kernelINS0_13select_configILj256ELj13ELNS0_17block_load_methodE3ELS4_3ELS4_3ELNS0_20block_scan_algorithmE0ELj4294967295EEENS1_25partition_config_selectorILNS1_17partition_subalgoE4EjNS0_10empty_typeEbEEZZNS1_14partition_implILS8_4ELb0ES6_15HIP_vector_typeIjLj2EENS0_17counting_iteratorIjlEEPS9_SG_NS0_5tupleIJPjSI_NS0_16reverse_iteratorISI_EEEEENSH_IJSG_SG_SG_EEES9_SI_JZNS1_25segmented_radix_sort_implINS0_14default_configELb0EPK6__halfPSP_PKlPlN2at6native12_GLOBAL__N_18offset_tEEE10hipError_tPvRmT1_PNSt15iterator_traitsIS13_E10value_typeET2_T3_PNS14_IS19_E10value_typeET4_jRbjT5_S1F_jjP12ihipStream_tbEUljE_ZNSN_ISO_Lb0ESR_SS_SU_SV_SZ_EES10_S11_S12_S13_S17_S18_S19_S1C_S1D_jS1E_jS1F_S1F_jjS1H_bEUljE0_EEES10_S11_S12_S19_S1D_S1F_T6_T7_T9_mT8_S1H_bDpT10_ENKUlT_T0_E_clISt17integral_constantIbLb1EES1V_EEDaS1Q_S1R_EUlS1Q_E_NS1_11comp_targetILNS1_3genE3ELNS1_11target_archE908ELNS1_3gpuE7ELNS1_3repE0EEENS1_30default_config_static_selectorELNS0_4arch9wavefront6targetE1EEEvS13_.has_dyn_sized_stack, 0
	.set _ZN7rocprim17ROCPRIM_400000_NS6detail17trampoline_kernelINS0_13select_configILj256ELj13ELNS0_17block_load_methodE3ELS4_3ELS4_3ELNS0_20block_scan_algorithmE0ELj4294967295EEENS1_25partition_config_selectorILNS1_17partition_subalgoE4EjNS0_10empty_typeEbEEZZNS1_14partition_implILS8_4ELb0ES6_15HIP_vector_typeIjLj2EENS0_17counting_iteratorIjlEEPS9_SG_NS0_5tupleIJPjSI_NS0_16reverse_iteratorISI_EEEEENSH_IJSG_SG_SG_EEES9_SI_JZNS1_25segmented_radix_sort_implINS0_14default_configELb0EPK6__halfPSP_PKlPlN2at6native12_GLOBAL__N_18offset_tEEE10hipError_tPvRmT1_PNSt15iterator_traitsIS13_E10value_typeET2_T3_PNS14_IS19_E10value_typeET4_jRbjT5_S1F_jjP12ihipStream_tbEUljE_ZNSN_ISO_Lb0ESR_SS_SU_SV_SZ_EES10_S11_S12_S13_S17_S18_S19_S1C_S1D_jS1E_jS1F_S1F_jjS1H_bEUljE0_EEES10_S11_S12_S19_S1D_S1F_T6_T7_T9_mT8_S1H_bDpT10_ENKUlT_T0_E_clISt17integral_constantIbLb1EES1V_EEDaS1Q_S1R_EUlS1Q_E_NS1_11comp_targetILNS1_3genE3ELNS1_11target_archE908ELNS1_3gpuE7ELNS1_3repE0EEENS1_30default_config_static_selectorELNS0_4arch9wavefront6targetE1EEEvS13_.has_recursion, 0
	.set _ZN7rocprim17ROCPRIM_400000_NS6detail17trampoline_kernelINS0_13select_configILj256ELj13ELNS0_17block_load_methodE3ELS4_3ELS4_3ELNS0_20block_scan_algorithmE0ELj4294967295EEENS1_25partition_config_selectorILNS1_17partition_subalgoE4EjNS0_10empty_typeEbEEZZNS1_14partition_implILS8_4ELb0ES6_15HIP_vector_typeIjLj2EENS0_17counting_iteratorIjlEEPS9_SG_NS0_5tupleIJPjSI_NS0_16reverse_iteratorISI_EEEEENSH_IJSG_SG_SG_EEES9_SI_JZNS1_25segmented_radix_sort_implINS0_14default_configELb0EPK6__halfPSP_PKlPlN2at6native12_GLOBAL__N_18offset_tEEE10hipError_tPvRmT1_PNSt15iterator_traitsIS13_E10value_typeET2_T3_PNS14_IS19_E10value_typeET4_jRbjT5_S1F_jjP12ihipStream_tbEUljE_ZNSN_ISO_Lb0ESR_SS_SU_SV_SZ_EES10_S11_S12_S13_S17_S18_S19_S1C_S1D_jS1E_jS1F_S1F_jjS1H_bEUljE0_EEES10_S11_S12_S19_S1D_S1F_T6_T7_T9_mT8_S1H_bDpT10_ENKUlT_T0_E_clISt17integral_constantIbLb1EES1V_EEDaS1Q_S1R_EUlS1Q_E_NS1_11comp_targetILNS1_3genE3ELNS1_11target_archE908ELNS1_3gpuE7ELNS1_3repE0EEENS1_30default_config_static_selectorELNS0_4arch9wavefront6targetE1EEEvS13_.has_indirect_call, 0
	.section	.AMDGPU.csdata,"",@progbits
; Kernel info:
; codeLenInByte = 0
; TotalNumSgprs: 4
; NumVgprs: 0
; ScratchSize: 0
; MemoryBound: 0
; FloatMode: 240
; IeeeMode: 1
; LDSByteSize: 0 bytes/workgroup (compile time only)
; SGPRBlocks: 0
; VGPRBlocks: 0
; NumSGPRsForWavesPerEU: 4
; NumVGPRsForWavesPerEU: 1
; Occupancy: 10
; WaveLimiterHint : 0
; COMPUTE_PGM_RSRC2:SCRATCH_EN: 0
; COMPUTE_PGM_RSRC2:USER_SGPR: 6
; COMPUTE_PGM_RSRC2:TRAP_HANDLER: 0
; COMPUTE_PGM_RSRC2:TGID_X_EN: 1
; COMPUTE_PGM_RSRC2:TGID_Y_EN: 0
; COMPUTE_PGM_RSRC2:TGID_Z_EN: 0
; COMPUTE_PGM_RSRC2:TIDIG_COMP_CNT: 0
	.section	.text._ZN7rocprim17ROCPRIM_400000_NS6detail17trampoline_kernelINS0_13select_configILj256ELj13ELNS0_17block_load_methodE3ELS4_3ELS4_3ELNS0_20block_scan_algorithmE0ELj4294967295EEENS1_25partition_config_selectorILNS1_17partition_subalgoE4EjNS0_10empty_typeEbEEZZNS1_14partition_implILS8_4ELb0ES6_15HIP_vector_typeIjLj2EENS0_17counting_iteratorIjlEEPS9_SG_NS0_5tupleIJPjSI_NS0_16reverse_iteratorISI_EEEEENSH_IJSG_SG_SG_EEES9_SI_JZNS1_25segmented_radix_sort_implINS0_14default_configELb0EPK6__halfPSP_PKlPlN2at6native12_GLOBAL__N_18offset_tEEE10hipError_tPvRmT1_PNSt15iterator_traitsIS13_E10value_typeET2_T3_PNS14_IS19_E10value_typeET4_jRbjT5_S1F_jjP12ihipStream_tbEUljE_ZNSN_ISO_Lb0ESR_SS_SU_SV_SZ_EES10_S11_S12_S13_S17_S18_S19_S1C_S1D_jS1E_jS1F_S1F_jjS1H_bEUljE0_EEES10_S11_S12_S19_S1D_S1F_T6_T7_T9_mT8_S1H_bDpT10_ENKUlT_T0_E_clISt17integral_constantIbLb1EES1V_EEDaS1Q_S1R_EUlS1Q_E_NS1_11comp_targetILNS1_3genE2ELNS1_11target_archE906ELNS1_3gpuE6ELNS1_3repE0EEENS1_30default_config_static_selectorELNS0_4arch9wavefront6targetE1EEEvS13_,"axG",@progbits,_ZN7rocprim17ROCPRIM_400000_NS6detail17trampoline_kernelINS0_13select_configILj256ELj13ELNS0_17block_load_methodE3ELS4_3ELS4_3ELNS0_20block_scan_algorithmE0ELj4294967295EEENS1_25partition_config_selectorILNS1_17partition_subalgoE4EjNS0_10empty_typeEbEEZZNS1_14partition_implILS8_4ELb0ES6_15HIP_vector_typeIjLj2EENS0_17counting_iteratorIjlEEPS9_SG_NS0_5tupleIJPjSI_NS0_16reverse_iteratorISI_EEEEENSH_IJSG_SG_SG_EEES9_SI_JZNS1_25segmented_radix_sort_implINS0_14default_configELb0EPK6__halfPSP_PKlPlN2at6native12_GLOBAL__N_18offset_tEEE10hipError_tPvRmT1_PNSt15iterator_traitsIS13_E10value_typeET2_T3_PNS14_IS19_E10value_typeET4_jRbjT5_S1F_jjP12ihipStream_tbEUljE_ZNSN_ISO_Lb0ESR_SS_SU_SV_SZ_EES10_S11_S12_S13_S17_S18_S19_S1C_S1D_jS1E_jS1F_S1F_jjS1H_bEUljE0_EEES10_S11_S12_S19_S1D_S1F_T6_T7_T9_mT8_S1H_bDpT10_ENKUlT_T0_E_clISt17integral_constantIbLb1EES1V_EEDaS1Q_S1R_EUlS1Q_E_NS1_11comp_targetILNS1_3genE2ELNS1_11target_archE906ELNS1_3gpuE6ELNS1_3repE0EEENS1_30default_config_static_selectorELNS0_4arch9wavefront6targetE1EEEvS13_,comdat
	.globl	_ZN7rocprim17ROCPRIM_400000_NS6detail17trampoline_kernelINS0_13select_configILj256ELj13ELNS0_17block_load_methodE3ELS4_3ELS4_3ELNS0_20block_scan_algorithmE0ELj4294967295EEENS1_25partition_config_selectorILNS1_17partition_subalgoE4EjNS0_10empty_typeEbEEZZNS1_14partition_implILS8_4ELb0ES6_15HIP_vector_typeIjLj2EENS0_17counting_iteratorIjlEEPS9_SG_NS0_5tupleIJPjSI_NS0_16reverse_iteratorISI_EEEEENSH_IJSG_SG_SG_EEES9_SI_JZNS1_25segmented_radix_sort_implINS0_14default_configELb0EPK6__halfPSP_PKlPlN2at6native12_GLOBAL__N_18offset_tEEE10hipError_tPvRmT1_PNSt15iterator_traitsIS13_E10value_typeET2_T3_PNS14_IS19_E10value_typeET4_jRbjT5_S1F_jjP12ihipStream_tbEUljE_ZNSN_ISO_Lb0ESR_SS_SU_SV_SZ_EES10_S11_S12_S13_S17_S18_S19_S1C_S1D_jS1E_jS1F_S1F_jjS1H_bEUljE0_EEES10_S11_S12_S19_S1D_S1F_T6_T7_T9_mT8_S1H_bDpT10_ENKUlT_T0_E_clISt17integral_constantIbLb1EES1V_EEDaS1Q_S1R_EUlS1Q_E_NS1_11comp_targetILNS1_3genE2ELNS1_11target_archE906ELNS1_3gpuE6ELNS1_3repE0EEENS1_30default_config_static_selectorELNS0_4arch9wavefront6targetE1EEEvS13_ ; -- Begin function _ZN7rocprim17ROCPRIM_400000_NS6detail17trampoline_kernelINS0_13select_configILj256ELj13ELNS0_17block_load_methodE3ELS4_3ELS4_3ELNS0_20block_scan_algorithmE0ELj4294967295EEENS1_25partition_config_selectorILNS1_17partition_subalgoE4EjNS0_10empty_typeEbEEZZNS1_14partition_implILS8_4ELb0ES6_15HIP_vector_typeIjLj2EENS0_17counting_iteratorIjlEEPS9_SG_NS0_5tupleIJPjSI_NS0_16reverse_iteratorISI_EEEEENSH_IJSG_SG_SG_EEES9_SI_JZNS1_25segmented_radix_sort_implINS0_14default_configELb0EPK6__halfPSP_PKlPlN2at6native12_GLOBAL__N_18offset_tEEE10hipError_tPvRmT1_PNSt15iterator_traitsIS13_E10value_typeET2_T3_PNS14_IS19_E10value_typeET4_jRbjT5_S1F_jjP12ihipStream_tbEUljE_ZNSN_ISO_Lb0ESR_SS_SU_SV_SZ_EES10_S11_S12_S13_S17_S18_S19_S1C_S1D_jS1E_jS1F_S1F_jjS1H_bEUljE0_EEES10_S11_S12_S19_S1D_S1F_T6_T7_T9_mT8_S1H_bDpT10_ENKUlT_T0_E_clISt17integral_constantIbLb1EES1V_EEDaS1Q_S1R_EUlS1Q_E_NS1_11comp_targetILNS1_3genE2ELNS1_11target_archE906ELNS1_3gpuE6ELNS1_3repE0EEENS1_30default_config_static_selectorELNS0_4arch9wavefront6targetE1EEEvS13_
	.p2align	8
	.type	_ZN7rocprim17ROCPRIM_400000_NS6detail17trampoline_kernelINS0_13select_configILj256ELj13ELNS0_17block_load_methodE3ELS4_3ELS4_3ELNS0_20block_scan_algorithmE0ELj4294967295EEENS1_25partition_config_selectorILNS1_17partition_subalgoE4EjNS0_10empty_typeEbEEZZNS1_14partition_implILS8_4ELb0ES6_15HIP_vector_typeIjLj2EENS0_17counting_iteratorIjlEEPS9_SG_NS0_5tupleIJPjSI_NS0_16reverse_iteratorISI_EEEEENSH_IJSG_SG_SG_EEES9_SI_JZNS1_25segmented_radix_sort_implINS0_14default_configELb0EPK6__halfPSP_PKlPlN2at6native12_GLOBAL__N_18offset_tEEE10hipError_tPvRmT1_PNSt15iterator_traitsIS13_E10value_typeET2_T3_PNS14_IS19_E10value_typeET4_jRbjT5_S1F_jjP12ihipStream_tbEUljE_ZNSN_ISO_Lb0ESR_SS_SU_SV_SZ_EES10_S11_S12_S13_S17_S18_S19_S1C_S1D_jS1E_jS1F_S1F_jjS1H_bEUljE0_EEES10_S11_S12_S19_S1D_S1F_T6_T7_T9_mT8_S1H_bDpT10_ENKUlT_T0_E_clISt17integral_constantIbLb1EES1V_EEDaS1Q_S1R_EUlS1Q_E_NS1_11comp_targetILNS1_3genE2ELNS1_11target_archE906ELNS1_3gpuE6ELNS1_3repE0EEENS1_30default_config_static_selectorELNS0_4arch9wavefront6targetE1EEEvS13_,@function
_ZN7rocprim17ROCPRIM_400000_NS6detail17trampoline_kernelINS0_13select_configILj256ELj13ELNS0_17block_load_methodE3ELS4_3ELS4_3ELNS0_20block_scan_algorithmE0ELj4294967295EEENS1_25partition_config_selectorILNS1_17partition_subalgoE4EjNS0_10empty_typeEbEEZZNS1_14partition_implILS8_4ELb0ES6_15HIP_vector_typeIjLj2EENS0_17counting_iteratorIjlEEPS9_SG_NS0_5tupleIJPjSI_NS0_16reverse_iteratorISI_EEEEENSH_IJSG_SG_SG_EEES9_SI_JZNS1_25segmented_radix_sort_implINS0_14default_configELb0EPK6__halfPSP_PKlPlN2at6native12_GLOBAL__N_18offset_tEEE10hipError_tPvRmT1_PNSt15iterator_traitsIS13_E10value_typeET2_T3_PNS14_IS19_E10value_typeET4_jRbjT5_S1F_jjP12ihipStream_tbEUljE_ZNSN_ISO_Lb0ESR_SS_SU_SV_SZ_EES10_S11_S12_S13_S17_S18_S19_S1C_S1D_jS1E_jS1F_S1F_jjS1H_bEUljE0_EEES10_S11_S12_S19_S1D_S1F_T6_T7_T9_mT8_S1H_bDpT10_ENKUlT_T0_E_clISt17integral_constantIbLb1EES1V_EEDaS1Q_S1R_EUlS1Q_E_NS1_11comp_targetILNS1_3genE2ELNS1_11target_archE906ELNS1_3gpuE6ELNS1_3repE0EEENS1_30default_config_static_selectorELNS0_4arch9wavefront6targetE1EEEvS13_: ; @_ZN7rocprim17ROCPRIM_400000_NS6detail17trampoline_kernelINS0_13select_configILj256ELj13ELNS0_17block_load_methodE3ELS4_3ELS4_3ELNS0_20block_scan_algorithmE0ELj4294967295EEENS1_25partition_config_selectorILNS1_17partition_subalgoE4EjNS0_10empty_typeEbEEZZNS1_14partition_implILS8_4ELb0ES6_15HIP_vector_typeIjLj2EENS0_17counting_iteratorIjlEEPS9_SG_NS0_5tupleIJPjSI_NS0_16reverse_iteratorISI_EEEEENSH_IJSG_SG_SG_EEES9_SI_JZNS1_25segmented_radix_sort_implINS0_14default_configELb0EPK6__halfPSP_PKlPlN2at6native12_GLOBAL__N_18offset_tEEE10hipError_tPvRmT1_PNSt15iterator_traitsIS13_E10value_typeET2_T3_PNS14_IS19_E10value_typeET4_jRbjT5_S1F_jjP12ihipStream_tbEUljE_ZNSN_ISO_Lb0ESR_SS_SU_SV_SZ_EES10_S11_S12_S13_S17_S18_S19_S1C_S1D_jS1E_jS1F_S1F_jjS1H_bEUljE0_EEES10_S11_S12_S19_S1D_S1F_T6_T7_T9_mT8_S1H_bDpT10_ENKUlT_T0_E_clISt17integral_constantIbLb1EES1V_EEDaS1Q_S1R_EUlS1Q_E_NS1_11comp_targetILNS1_3genE2ELNS1_11target_archE906ELNS1_3gpuE6ELNS1_3repE0EEENS1_30default_config_static_selectorELNS0_4arch9wavefront6targetE1EEEvS13_
; %bb.0:
	s_endpgm
	.section	.rodata,"a",@progbits
	.p2align	6, 0x0
	.amdhsa_kernel _ZN7rocprim17ROCPRIM_400000_NS6detail17trampoline_kernelINS0_13select_configILj256ELj13ELNS0_17block_load_methodE3ELS4_3ELS4_3ELNS0_20block_scan_algorithmE0ELj4294967295EEENS1_25partition_config_selectorILNS1_17partition_subalgoE4EjNS0_10empty_typeEbEEZZNS1_14partition_implILS8_4ELb0ES6_15HIP_vector_typeIjLj2EENS0_17counting_iteratorIjlEEPS9_SG_NS0_5tupleIJPjSI_NS0_16reverse_iteratorISI_EEEEENSH_IJSG_SG_SG_EEES9_SI_JZNS1_25segmented_radix_sort_implINS0_14default_configELb0EPK6__halfPSP_PKlPlN2at6native12_GLOBAL__N_18offset_tEEE10hipError_tPvRmT1_PNSt15iterator_traitsIS13_E10value_typeET2_T3_PNS14_IS19_E10value_typeET4_jRbjT5_S1F_jjP12ihipStream_tbEUljE_ZNSN_ISO_Lb0ESR_SS_SU_SV_SZ_EES10_S11_S12_S13_S17_S18_S19_S1C_S1D_jS1E_jS1F_S1F_jjS1H_bEUljE0_EEES10_S11_S12_S19_S1D_S1F_T6_T7_T9_mT8_S1H_bDpT10_ENKUlT_T0_E_clISt17integral_constantIbLb1EES1V_EEDaS1Q_S1R_EUlS1Q_E_NS1_11comp_targetILNS1_3genE2ELNS1_11target_archE906ELNS1_3gpuE6ELNS1_3repE0EEENS1_30default_config_static_selectorELNS0_4arch9wavefront6targetE1EEEvS13_
		.amdhsa_group_segment_fixed_size 0
		.amdhsa_private_segment_fixed_size 0
		.amdhsa_kernarg_size 184
		.amdhsa_user_sgpr_count 6
		.amdhsa_user_sgpr_private_segment_buffer 1
		.amdhsa_user_sgpr_dispatch_ptr 0
		.amdhsa_user_sgpr_queue_ptr 0
		.amdhsa_user_sgpr_kernarg_segment_ptr 1
		.amdhsa_user_sgpr_dispatch_id 0
		.amdhsa_user_sgpr_flat_scratch_init 0
		.amdhsa_user_sgpr_private_segment_size 0
		.amdhsa_uses_dynamic_stack 0
		.amdhsa_system_sgpr_private_segment_wavefront_offset 0
		.amdhsa_system_sgpr_workgroup_id_x 1
		.amdhsa_system_sgpr_workgroup_id_y 0
		.amdhsa_system_sgpr_workgroup_id_z 0
		.amdhsa_system_sgpr_workgroup_info 0
		.amdhsa_system_vgpr_workitem_id 0
		.amdhsa_next_free_vgpr 1
		.amdhsa_next_free_sgpr 0
		.amdhsa_reserve_vcc 0
		.amdhsa_reserve_flat_scratch 0
		.amdhsa_float_round_mode_32 0
		.amdhsa_float_round_mode_16_64 0
		.amdhsa_float_denorm_mode_32 3
		.amdhsa_float_denorm_mode_16_64 3
		.amdhsa_dx10_clamp 1
		.amdhsa_ieee_mode 1
		.amdhsa_fp16_overflow 0
		.amdhsa_exception_fp_ieee_invalid_op 0
		.amdhsa_exception_fp_denorm_src 0
		.amdhsa_exception_fp_ieee_div_zero 0
		.amdhsa_exception_fp_ieee_overflow 0
		.amdhsa_exception_fp_ieee_underflow 0
		.amdhsa_exception_fp_ieee_inexact 0
		.amdhsa_exception_int_div_zero 0
	.end_amdhsa_kernel
	.section	.text._ZN7rocprim17ROCPRIM_400000_NS6detail17trampoline_kernelINS0_13select_configILj256ELj13ELNS0_17block_load_methodE3ELS4_3ELS4_3ELNS0_20block_scan_algorithmE0ELj4294967295EEENS1_25partition_config_selectorILNS1_17partition_subalgoE4EjNS0_10empty_typeEbEEZZNS1_14partition_implILS8_4ELb0ES6_15HIP_vector_typeIjLj2EENS0_17counting_iteratorIjlEEPS9_SG_NS0_5tupleIJPjSI_NS0_16reverse_iteratorISI_EEEEENSH_IJSG_SG_SG_EEES9_SI_JZNS1_25segmented_radix_sort_implINS0_14default_configELb0EPK6__halfPSP_PKlPlN2at6native12_GLOBAL__N_18offset_tEEE10hipError_tPvRmT1_PNSt15iterator_traitsIS13_E10value_typeET2_T3_PNS14_IS19_E10value_typeET4_jRbjT5_S1F_jjP12ihipStream_tbEUljE_ZNSN_ISO_Lb0ESR_SS_SU_SV_SZ_EES10_S11_S12_S13_S17_S18_S19_S1C_S1D_jS1E_jS1F_S1F_jjS1H_bEUljE0_EEES10_S11_S12_S19_S1D_S1F_T6_T7_T9_mT8_S1H_bDpT10_ENKUlT_T0_E_clISt17integral_constantIbLb1EES1V_EEDaS1Q_S1R_EUlS1Q_E_NS1_11comp_targetILNS1_3genE2ELNS1_11target_archE906ELNS1_3gpuE6ELNS1_3repE0EEENS1_30default_config_static_selectorELNS0_4arch9wavefront6targetE1EEEvS13_,"axG",@progbits,_ZN7rocprim17ROCPRIM_400000_NS6detail17trampoline_kernelINS0_13select_configILj256ELj13ELNS0_17block_load_methodE3ELS4_3ELS4_3ELNS0_20block_scan_algorithmE0ELj4294967295EEENS1_25partition_config_selectorILNS1_17partition_subalgoE4EjNS0_10empty_typeEbEEZZNS1_14partition_implILS8_4ELb0ES6_15HIP_vector_typeIjLj2EENS0_17counting_iteratorIjlEEPS9_SG_NS0_5tupleIJPjSI_NS0_16reverse_iteratorISI_EEEEENSH_IJSG_SG_SG_EEES9_SI_JZNS1_25segmented_radix_sort_implINS0_14default_configELb0EPK6__halfPSP_PKlPlN2at6native12_GLOBAL__N_18offset_tEEE10hipError_tPvRmT1_PNSt15iterator_traitsIS13_E10value_typeET2_T3_PNS14_IS19_E10value_typeET4_jRbjT5_S1F_jjP12ihipStream_tbEUljE_ZNSN_ISO_Lb0ESR_SS_SU_SV_SZ_EES10_S11_S12_S13_S17_S18_S19_S1C_S1D_jS1E_jS1F_S1F_jjS1H_bEUljE0_EEES10_S11_S12_S19_S1D_S1F_T6_T7_T9_mT8_S1H_bDpT10_ENKUlT_T0_E_clISt17integral_constantIbLb1EES1V_EEDaS1Q_S1R_EUlS1Q_E_NS1_11comp_targetILNS1_3genE2ELNS1_11target_archE906ELNS1_3gpuE6ELNS1_3repE0EEENS1_30default_config_static_selectorELNS0_4arch9wavefront6targetE1EEEvS13_,comdat
.Lfunc_end1790:
	.size	_ZN7rocprim17ROCPRIM_400000_NS6detail17trampoline_kernelINS0_13select_configILj256ELj13ELNS0_17block_load_methodE3ELS4_3ELS4_3ELNS0_20block_scan_algorithmE0ELj4294967295EEENS1_25partition_config_selectorILNS1_17partition_subalgoE4EjNS0_10empty_typeEbEEZZNS1_14partition_implILS8_4ELb0ES6_15HIP_vector_typeIjLj2EENS0_17counting_iteratorIjlEEPS9_SG_NS0_5tupleIJPjSI_NS0_16reverse_iteratorISI_EEEEENSH_IJSG_SG_SG_EEES9_SI_JZNS1_25segmented_radix_sort_implINS0_14default_configELb0EPK6__halfPSP_PKlPlN2at6native12_GLOBAL__N_18offset_tEEE10hipError_tPvRmT1_PNSt15iterator_traitsIS13_E10value_typeET2_T3_PNS14_IS19_E10value_typeET4_jRbjT5_S1F_jjP12ihipStream_tbEUljE_ZNSN_ISO_Lb0ESR_SS_SU_SV_SZ_EES10_S11_S12_S13_S17_S18_S19_S1C_S1D_jS1E_jS1F_S1F_jjS1H_bEUljE0_EEES10_S11_S12_S19_S1D_S1F_T6_T7_T9_mT8_S1H_bDpT10_ENKUlT_T0_E_clISt17integral_constantIbLb1EES1V_EEDaS1Q_S1R_EUlS1Q_E_NS1_11comp_targetILNS1_3genE2ELNS1_11target_archE906ELNS1_3gpuE6ELNS1_3repE0EEENS1_30default_config_static_selectorELNS0_4arch9wavefront6targetE1EEEvS13_, .Lfunc_end1790-_ZN7rocprim17ROCPRIM_400000_NS6detail17trampoline_kernelINS0_13select_configILj256ELj13ELNS0_17block_load_methodE3ELS4_3ELS4_3ELNS0_20block_scan_algorithmE0ELj4294967295EEENS1_25partition_config_selectorILNS1_17partition_subalgoE4EjNS0_10empty_typeEbEEZZNS1_14partition_implILS8_4ELb0ES6_15HIP_vector_typeIjLj2EENS0_17counting_iteratorIjlEEPS9_SG_NS0_5tupleIJPjSI_NS0_16reverse_iteratorISI_EEEEENSH_IJSG_SG_SG_EEES9_SI_JZNS1_25segmented_radix_sort_implINS0_14default_configELb0EPK6__halfPSP_PKlPlN2at6native12_GLOBAL__N_18offset_tEEE10hipError_tPvRmT1_PNSt15iterator_traitsIS13_E10value_typeET2_T3_PNS14_IS19_E10value_typeET4_jRbjT5_S1F_jjP12ihipStream_tbEUljE_ZNSN_ISO_Lb0ESR_SS_SU_SV_SZ_EES10_S11_S12_S13_S17_S18_S19_S1C_S1D_jS1E_jS1F_S1F_jjS1H_bEUljE0_EEES10_S11_S12_S19_S1D_S1F_T6_T7_T9_mT8_S1H_bDpT10_ENKUlT_T0_E_clISt17integral_constantIbLb1EES1V_EEDaS1Q_S1R_EUlS1Q_E_NS1_11comp_targetILNS1_3genE2ELNS1_11target_archE906ELNS1_3gpuE6ELNS1_3repE0EEENS1_30default_config_static_selectorELNS0_4arch9wavefront6targetE1EEEvS13_
                                        ; -- End function
	.set _ZN7rocprim17ROCPRIM_400000_NS6detail17trampoline_kernelINS0_13select_configILj256ELj13ELNS0_17block_load_methodE3ELS4_3ELS4_3ELNS0_20block_scan_algorithmE0ELj4294967295EEENS1_25partition_config_selectorILNS1_17partition_subalgoE4EjNS0_10empty_typeEbEEZZNS1_14partition_implILS8_4ELb0ES6_15HIP_vector_typeIjLj2EENS0_17counting_iteratorIjlEEPS9_SG_NS0_5tupleIJPjSI_NS0_16reverse_iteratorISI_EEEEENSH_IJSG_SG_SG_EEES9_SI_JZNS1_25segmented_radix_sort_implINS0_14default_configELb0EPK6__halfPSP_PKlPlN2at6native12_GLOBAL__N_18offset_tEEE10hipError_tPvRmT1_PNSt15iterator_traitsIS13_E10value_typeET2_T3_PNS14_IS19_E10value_typeET4_jRbjT5_S1F_jjP12ihipStream_tbEUljE_ZNSN_ISO_Lb0ESR_SS_SU_SV_SZ_EES10_S11_S12_S13_S17_S18_S19_S1C_S1D_jS1E_jS1F_S1F_jjS1H_bEUljE0_EEES10_S11_S12_S19_S1D_S1F_T6_T7_T9_mT8_S1H_bDpT10_ENKUlT_T0_E_clISt17integral_constantIbLb1EES1V_EEDaS1Q_S1R_EUlS1Q_E_NS1_11comp_targetILNS1_3genE2ELNS1_11target_archE906ELNS1_3gpuE6ELNS1_3repE0EEENS1_30default_config_static_selectorELNS0_4arch9wavefront6targetE1EEEvS13_.num_vgpr, 0
	.set _ZN7rocprim17ROCPRIM_400000_NS6detail17trampoline_kernelINS0_13select_configILj256ELj13ELNS0_17block_load_methodE3ELS4_3ELS4_3ELNS0_20block_scan_algorithmE0ELj4294967295EEENS1_25partition_config_selectorILNS1_17partition_subalgoE4EjNS0_10empty_typeEbEEZZNS1_14partition_implILS8_4ELb0ES6_15HIP_vector_typeIjLj2EENS0_17counting_iteratorIjlEEPS9_SG_NS0_5tupleIJPjSI_NS0_16reverse_iteratorISI_EEEEENSH_IJSG_SG_SG_EEES9_SI_JZNS1_25segmented_radix_sort_implINS0_14default_configELb0EPK6__halfPSP_PKlPlN2at6native12_GLOBAL__N_18offset_tEEE10hipError_tPvRmT1_PNSt15iterator_traitsIS13_E10value_typeET2_T3_PNS14_IS19_E10value_typeET4_jRbjT5_S1F_jjP12ihipStream_tbEUljE_ZNSN_ISO_Lb0ESR_SS_SU_SV_SZ_EES10_S11_S12_S13_S17_S18_S19_S1C_S1D_jS1E_jS1F_S1F_jjS1H_bEUljE0_EEES10_S11_S12_S19_S1D_S1F_T6_T7_T9_mT8_S1H_bDpT10_ENKUlT_T0_E_clISt17integral_constantIbLb1EES1V_EEDaS1Q_S1R_EUlS1Q_E_NS1_11comp_targetILNS1_3genE2ELNS1_11target_archE906ELNS1_3gpuE6ELNS1_3repE0EEENS1_30default_config_static_selectorELNS0_4arch9wavefront6targetE1EEEvS13_.num_agpr, 0
	.set _ZN7rocprim17ROCPRIM_400000_NS6detail17trampoline_kernelINS0_13select_configILj256ELj13ELNS0_17block_load_methodE3ELS4_3ELS4_3ELNS0_20block_scan_algorithmE0ELj4294967295EEENS1_25partition_config_selectorILNS1_17partition_subalgoE4EjNS0_10empty_typeEbEEZZNS1_14partition_implILS8_4ELb0ES6_15HIP_vector_typeIjLj2EENS0_17counting_iteratorIjlEEPS9_SG_NS0_5tupleIJPjSI_NS0_16reverse_iteratorISI_EEEEENSH_IJSG_SG_SG_EEES9_SI_JZNS1_25segmented_radix_sort_implINS0_14default_configELb0EPK6__halfPSP_PKlPlN2at6native12_GLOBAL__N_18offset_tEEE10hipError_tPvRmT1_PNSt15iterator_traitsIS13_E10value_typeET2_T3_PNS14_IS19_E10value_typeET4_jRbjT5_S1F_jjP12ihipStream_tbEUljE_ZNSN_ISO_Lb0ESR_SS_SU_SV_SZ_EES10_S11_S12_S13_S17_S18_S19_S1C_S1D_jS1E_jS1F_S1F_jjS1H_bEUljE0_EEES10_S11_S12_S19_S1D_S1F_T6_T7_T9_mT8_S1H_bDpT10_ENKUlT_T0_E_clISt17integral_constantIbLb1EES1V_EEDaS1Q_S1R_EUlS1Q_E_NS1_11comp_targetILNS1_3genE2ELNS1_11target_archE906ELNS1_3gpuE6ELNS1_3repE0EEENS1_30default_config_static_selectorELNS0_4arch9wavefront6targetE1EEEvS13_.numbered_sgpr, 0
	.set _ZN7rocprim17ROCPRIM_400000_NS6detail17trampoline_kernelINS0_13select_configILj256ELj13ELNS0_17block_load_methodE3ELS4_3ELS4_3ELNS0_20block_scan_algorithmE0ELj4294967295EEENS1_25partition_config_selectorILNS1_17partition_subalgoE4EjNS0_10empty_typeEbEEZZNS1_14partition_implILS8_4ELb0ES6_15HIP_vector_typeIjLj2EENS0_17counting_iteratorIjlEEPS9_SG_NS0_5tupleIJPjSI_NS0_16reverse_iteratorISI_EEEEENSH_IJSG_SG_SG_EEES9_SI_JZNS1_25segmented_radix_sort_implINS0_14default_configELb0EPK6__halfPSP_PKlPlN2at6native12_GLOBAL__N_18offset_tEEE10hipError_tPvRmT1_PNSt15iterator_traitsIS13_E10value_typeET2_T3_PNS14_IS19_E10value_typeET4_jRbjT5_S1F_jjP12ihipStream_tbEUljE_ZNSN_ISO_Lb0ESR_SS_SU_SV_SZ_EES10_S11_S12_S13_S17_S18_S19_S1C_S1D_jS1E_jS1F_S1F_jjS1H_bEUljE0_EEES10_S11_S12_S19_S1D_S1F_T6_T7_T9_mT8_S1H_bDpT10_ENKUlT_T0_E_clISt17integral_constantIbLb1EES1V_EEDaS1Q_S1R_EUlS1Q_E_NS1_11comp_targetILNS1_3genE2ELNS1_11target_archE906ELNS1_3gpuE6ELNS1_3repE0EEENS1_30default_config_static_selectorELNS0_4arch9wavefront6targetE1EEEvS13_.num_named_barrier, 0
	.set _ZN7rocprim17ROCPRIM_400000_NS6detail17trampoline_kernelINS0_13select_configILj256ELj13ELNS0_17block_load_methodE3ELS4_3ELS4_3ELNS0_20block_scan_algorithmE0ELj4294967295EEENS1_25partition_config_selectorILNS1_17partition_subalgoE4EjNS0_10empty_typeEbEEZZNS1_14partition_implILS8_4ELb0ES6_15HIP_vector_typeIjLj2EENS0_17counting_iteratorIjlEEPS9_SG_NS0_5tupleIJPjSI_NS0_16reverse_iteratorISI_EEEEENSH_IJSG_SG_SG_EEES9_SI_JZNS1_25segmented_radix_sort_implINS0_14default_configELb0EPK6__halfPSP_PKlPlN2at6native12_GLOBAL__N_18offset_tEEE10hipError_tPvRmT1_PNSt15iterator_traitsIS13_E10value_typeET2_T3_PNS14_IS19_E10value_typeET4_jRbjT5_S1F_jjP12ihipStream_tbEUljE_ZNSN_ISO_Lb0ESR_SS_SU_SV_SZ_EES10_S11_S12_S13_S17_S18_S19_S1C_S1D_jS1E_jS1F_S1F_jjS1H_bEUljE0_EEES10_S11_S12_S19_S1D_S1F_T6_T7_T9_mT8_S1H_bDpT10_ENKUlT_T0_E_clISt17integral_constantIbLb1EES1V_EEDaS1Q_S1R_EUlS1Q_E_NS1_11comp_targetILNS1_3genE2ELNS1_11target_archE906ELNS1_3gpuE6ELNS1_3repE0EEENS1_30default_config_static_selectorELNS0_4arch9wavefront6targetE1EEEvS13_.private_seg_size, 0
	.set _ZN7rocprim17ROCPRIM_400000_NS6detail17trampoline_kernelINS0_13select_configILj256ELj13ELNS0_17block_load_methodE3ELS4_3ELS4_3ELNS0_20block_scan_algorithmE0ELj4294967295EEENS1_25partition_config_selectorILNS1_17partition_subalgoE4EjNS0_10empty_typeEbEEZZNS1_14partition_implILS8_4ELb0ES6_15HIP_vector_typeIjLj2EENS0_17counting_iteratorIjlEEPS9_SG_NS0_5tupleIJPjSI_NS0_16reverse_iteratorISI_EEEEENSH_IJSG_SG_SG_EEES9_SI_JZNS1_25segmented_radix_sort_implINS0_14default_configELb0EPK6__halfPSP_PKlPlN2at6native12_GLOBAL__N_18offset_tEEE10hipError_tPvRmT1_PNSt15iterator_traitsIS13_E10value_typeET2_T3_PNS14_IS19_E10value_typeET4_jRbjT5_S1F_jjP12ihipStream_tbEUljE_ZNSN_ISO_Lb0ESR_SS_SU_SV_SZ_EES10_S11_S12_S13_S17_S18_S19_S1C_S1D_jS1E_jS1F_S1F_jjS1H_bEUljE0_EEES10_S11_S12_S19_S1D_S1F_T6_T7_T9_mT8_S1H_bDpT10_ENKUlT_T0_E_clISt17integral_constantIbLb1EES1V_EEDaS1Q_S1R_EUlS1Q_E_NS1_11comp_targetILNS1_3genE2ELNS1_11target_archE906ELNS1_3gpuE6ELNS1_3repE0EEENS1_30default_config_static_selectorELNS0_4arch9wavefront6targetE1EEEvS13_.uses_vcc, 0
	.set _ZN7rocprim17ROCPRIM_400000_NS6detail17trampoline_kernelINS0_13select_configILj256ELj13ELNS0_17block_load_methodE3ELS4_3ELS4_3ELNS0_20block_scan_algorithmE0ELj4294967295EEENS1_25partition_config_selectorILNS1_17partition_subalgoE4EjNS0_10empty_typeEbEEZZNS1_14partition_implILS8_4ELb0ES6_15HIP_vector_typeIjLj2EENS0_17counting_iteratorIjlEEPS9_SG_NS0_5tupleIJPjSI_NS0_16reverse_iteratorISI_EEEEENSH_IJSG_SG_SG_EEES9_SI_JZNS1_25segmented_radix_sort_implINS0_14default_configELb0EPK6__halfPSP_PKlPlN2at6native12_GLOBAL__N_18offset_tEEE10hipError_tPvRmT1_PNSt15iterator_traitsIS13_E10value_typeET2_T3_PNS14_IS19_E10value_typeET4_jRbjT5_S1F_jjP12ihipStream_tbEUljE_ZNSN_ISO_Lb0ESR_SS_SU_SV_SZ_EES10_S11_S12_S13_S17_S18_S19_S1C_S1D_jS1E_jS1F_S1F_jjS1H_bEUljE0_EEES10_S11_S12_S19_S1D_S1F_T6_T7_T9_mT8_S1H_bDpT10_ENKUlT_T0_E_clISt17integral_constantIbLb1EES1V_EEDaS1Q_S1R_EUlS1Q_E_NS1_11comp_targetILNS1_3genE2ELNS1_11target_archE906ELNS1_3gpuE6ELNS1_3repE0EEENS1_30default_config_static_selectorELNS0_4arch9wavefront6targetE1EEEvS13_.uses_flat_scratch, 0
	.set _ZN7rocprim17ROCPRIM_400000_NS6detail17trampoline_kernelINS0_13select_configILj256ELj13ELNS0_17block_load_methodE3ELS4_3ELS4_3ELNS0_20block_scan_algorithmE0ELj4294967295EEENS1_25partition_config_selectorILNS1_17partition_subalgoE4EjNS0_10empty_typeEbEEZZNS1_14partition_implILS8_4ELb0ES6_15HIP_vector_typeIjLj2EENS0_17counting_iteratorIjlEEPS9_SG_NS0_5tupleIJPjSI_NS0_16reverse_iteratorISI_EEEEENSH_IJSG_SG_SG_EEES9_SI_JZNS1_25segmented_radix_sort_implINS0_14default_configELb0EPK6__halfPSP_PKlPlN2at6native12_GLOBAL__N_18offset_tEEE10hipError_tPvRmT1_PNSt15iterator_traitsIS13_E10value_typeET2_T3_PNS14_IS19_E10value_typeET4_jRbjT5_S1F_jjP12ihipStream_tbEUljE_ZNSN_ISO_Lb0ESR_SS_SU_SV_SZ_EES10_S11_S12_S13_S17_S18_S19_S1C_S1D_jS1E_jS1F_S1F_jjS1H_bEUljE0_EEES10_S11_S12_S19_S1D_S1F_T6_T7_T9_mT8_S1H_bDpT10_ENKUlT_T0_E_clISt17integral_constantIbLb1EES1V_EEDaS1Q_S1R_EUlS1Q_E_NS1_11comp_targetILNS1_3genE2ELNS1_11target_archE906ELNS1_3gpuE6ELNS1_3repE0EEENS1_30default_config_static_selectorELNS0_4arch9wavefront6targetE1EEEvS13_.has_dyn_sized_stack, 0
	.set _ZN7rocprim17ROCPRIM_400000_NS6detail17trampoline_kernelINS0_13select_configILj256ELj13ELNS0_17block_load_methodE3ELS4_3ELS4_3ELNS0_20block_scan_algorithmE0ELj4294967295EEENS1_25partition_config_selectorILNS1_17partition_subalgoE4EjNS0_10empty_typeEbEEZZNS1_14partition_implILS8_4ELb0ES6_15HIP_vector_typeIjLj2EENS0_17counting_iteratorIjlEEPS9_SG_NS0_5tupleIJPjSI_NS0_16reverse_iteratorISI_EEEEENSH_IJSG_SG_SG_EEES9_SI_JZNS1_25segmented_radix_sort_implINS0_14default_configELb0EPK6__halfPSP_PKlPlN2at6native12_GLOBAL__N_18offset_tEEE10hipError_tPvRmT1_PNSt15iterator_traitsIS13_E10value_typeET2_T3_PNS14_IS19_E10value_typeET4_jRbjT5_S1F_jjP12ihipStream_tbEUljE_ZNSN_ISO_Lb0ESR_SS_SU_SV_SZ_EES10_S11_S12_S13_S17_S18_S19_S1C_S1D_jS1E_jS1F_S1F_jjS1H_bEUljE0_EEES10_S11_S12_S19_S1D_S1F_T6_T7_T9_mT8_S1H_bDpT10_ENKUlT_T0_E_clISt17integral_constantIbLb1EES1V_EEDaS1Q_S1R_EUlS1Q_E_NS1_11comp_targetILNS1_3genE2ELNS1_11target_archE906ELNS1_3gpuE6ELNS1_3repE0EEENS1_30default_config_static_selectorELNS0_4arch9wavefront6targetE1EEEvS13_.has_recursion, 0
	.set _ZN7rocprim17ROCPRIM_400000_NS6detail17trampoline_kernelINS0_13select_configILj256ELj13ELNS0_17block_load_methodE3ELS4_3ELS4_3ELNS0_20block_scan_algorithmE0ELj4294967295EEENS1_25partition_config_selectorILNS1_17partition_subalgoE4EjNS0_10empty_typeEbEEZZNS1_14partition_implILS8_4ELb0ES6_15HIP_vector_typeIjLj2EENS0_17counting_iteratorIjlEEPS9_SG_NS0_5tupleIJPjSI_NS0_16reverse_iteratorISI_EEEEENSH_IJSG_SG_SG_EEES9_SI_JZNS1_25segmented_radix_sort_implINS0_14default_configELb0EPK6__halfPSP_PKlPlN2at6native12_GLOBAL__N_18offset_tEEE10hipError_tPvRmT1_PNSt15iterator_traitsIS13_E10value_typeET2_T3_PNS14_IS19_E10value_typeET4_jRbjT5_S1F_jjP12ihipStream_tbEUljE_ZNSN_ISO_Lb0ESR_SS_SU_SV_SZ_EES10_S11_S12_S13_S17_S18_S19_S1C_S1D_jS1E_jS1F_S1F_jjS1H_bEUljE0_EEES10_S11_S12_S19_S1D_S1F_T6_T7_T9_mT8_S1H_bDpT10_ENKUlT_T0_E_clISt17integral_constantIbLb1EES1V_EEDaS1Q_S1R_EUlS1Q_E_NS1_11comp_targetILNS1_3genE2ELNS1_11target_archE906ELNS1_3gpuE6ELNS1_3repE0EEENS1_30default_config_static_selectorELNS0_4arch9wavefront6targetE1EEEvS13_.has_indirect_call, 0
	.section	.AMDGPU.csdata,"",@progbits
; Kernel info:
; codeLenInByte = 4
; TotalNumSgprs: 4
; NumVgprs: 0
; ScratchSize: 0
; MemoryBound: 0
; FloatMode: 240
; IeeeMode: 1
; LDSByteSize: 0 bytes/workgroup (compile time only)
; SGPRBlocks: 0
; VGPRBlocks: 0
; NumSGPRsForWavesPerEU: 4
; NumVGPRsForWavesPerEU: 1
; Occupancy: 10
; WaveLimiterHint : 0
; COMPUTE_PGM_RSRC2:SCRATCH_EN: 0
; COMPUTE_PGM_RSRC2:USER_SGPR: 6
; COMPUTE_PGM_RSRC2:TRAP_HANDLER: 0
; COMPUTE_PGM_RSRC2:TGID_X_EN: 1
; COMPUTE_PGM_RSRC2:TGID_Y_EN: 0
; COMPUTE_PGM_RSRC2:TGID_Z_EN: 0
; COMPUTE_PGM_RSRC2:TIDIG_COMP_CNT: 0
	.section	.text._ZN7rocprim17ROCPRIM_400000_NS6detail17trampoline_kernelINS0_13select_configILj256ELj13ELNS0_17block_load_methodE3ELS4_3ELS4_3ELNS0_20block_scan_algorithmE0ELj4294967295EEENS1_25partition_config_selectorILNS1_17partition_subalgoE4EjNS0_10empty_typeEbEEZZNS1_14partition_implILS8_4ELb0ES6_15HIP_vector_typeIjLj2EENS0_17counting_iteratorIjlEEPS9_SG_NS0_5tupleIJPjSI_NS0_16reverse_iteratorISI_EEEEENSH_IJSG_SG_SG_EEES9_SI_JZNS1_25segmented_radix_sort_implINS0_14default_configELb0EPK6__halfPSP_PKlPlN2at6native12_GLOBAL__N_18offset_tEEE10hipError_tPvRmT1_PNSt15iterator_traitsIS13_E10value_typeET2_T3_PNS14_IS19_E10value_typeET4_jRbjT5_S1F_jjP12ihipStream_tbEUljE_ZNSN_ISO_Lb0ESR_SS_SU_SV_SZ_EES10_S11_S12_S13_S17_S18_S19_S1C_S1D_jS1E_jS1F_S1F_jjS1H_bEUljE0_EEES10_S11_S12_S19_S1D_S1F_T6_T7_T9_mT8_S1H_bDpT10_ENKUlT_T0_E_clISt17integral_constantIbLb1EES1V_EEDaS1Q_S1R_EUlS1Q_E_NS1_11comp_targetILNS1_3genE10ELNS1_11target_archE1200ELNS1_3gpuE4ELNS1_3repE0EEENS1_30default_config_static_selectorELNS0_4arch9wavefront6targetE1EEEvS13_,"axG",@progbits,_ZN7rocprim17ROCPRIM_400000_NS6detail17trampoline_kernelINS0_13select_configILj256ELj13ELNS0_17block_load_methodE3ELS4_3ELS4_3ELNS0_20block_scan_algorithmE0ELj4294967295EEENS1_25partition_config_selectorILNS1_17partition_subalgoE4EjNS0_10empty_typeEbEEZZNS1_14partition_implILS8_4ELb0ES6_15HIP_vector_typeIjLj2EENS0_17counting_iteratorIjlEEPS9_SG_NS0_5tupleIJPjSI_NS0_16reverse_iteratorISI_EEEEENSH_IJSG_SG_SG_EEES9_SI_JZNS1_25segmented_radix_sort_implINS0_14default_configELb0EPK6__halfPSP_PKlPlN2at6native12_GLOBAL__N_18offset_tEEE10hipError_tPvRmT1_PNSt15iterator_traitsIS13_E10value_typeET2_T3_PNS14_IS19_E10value_typeET4_jRbjT5_S1F_jjP12ihipStream_tbEUljE_ZNSN_ISO_Lb0ESR_SS_SU_SV_SZ_EES10_S11_S12_S13_S17_S18_S19_S1C_S1D_jS1E_jS1F_S1F_jjS1H_bEUljE0_EEES10_S11_S12_S19_S1D_S1F_T6_T7_T9_mT8_S1H_bDpT10_ENKUlT_T0_E_clISt17integral_constantIbLb1EES1V_EEDaS1Q_S1R_EUlS1Q_E_NS1_11comp_targetILNS1_3genE10ELNS1_11target_archE1200ELNS1_3gpuE4ELNS1_3repE0EEENS1_30default_config_static_selectorELNS0_4arch9wavefront6targetE1EEEvS13_,comdat
	.globl	_ZN7rocprim17ROCPRIM_400000_NS6detail17trampoline_kernelINS0_13select_configILj256ELj13ELNS0_17block_load_methodE3ELS4_3ELS4_3ELNS0_20block_scan_algorithmE0ELj4294967295EEENS1_25partition_config_selectorILNS1_17partition_subalgoE4EjNS0_10empty_typeEbEEZZNS1_14partition_implILS8_4ELb0ES6_15HIP_vector_typeIjLj2EENS0_17counting_iteratorIjlEEPS9_SG_NS0_5tupleIJPjSI_NS0_16reverse_iteratorISI_EEEEENSH_IJSG_SG_SG_EEES9_SI_JZNS1_25segmented_radix_sort_implINS0_14default_configELb0EPK6__halfPSP_PKlPlN2at6native12_GLOBAL__N_18offset_tEEE10hipError_tPvRmT1_PNSt15iterator_traitsIS13_E10value_typeET2_T3_PNS14_IS19_E10value_typeET4_jRbjT5_S1F_jjP12ihipStream_tbEUljE_ZNSN_ISO_Lb0ESR_SS_SU_SV_SZ_EES10_S11_S12_S13_S17_S18_S19_S1C_S1D_jS1E_jS1F_S1F_jjS1H_bEUljE0_EEES10_S11_S12_S19_S1D_S1F_T6_T7_T9_mT8_S1H_bDpT10_ENKUlT_T0_E_clISt17integral_constantIbLb1EES1V_EEDaS1Q_S1R_EUlS1Q_E_NS1_11comp_targetILNS1_3genE10ELNS1_11target_archE1200ELNS1_3gpuE4ELNS1_3repE0EEENS1_30default_config_static_selectorELNS0_4arch9wavefront6targetE1EEEvS13_ ; -- Begin function _ZN7rocprim17ROCPRIM_400000_NS6detail17trampoline_kernelINS0_13select_configILj256ELj13ELNS0_17block_load_methodE3ELS4_3ELS4_3ELNS0_20block_scan_algorithmE0ELj4294967295EEENS1_25partition_config_selectorILNS1_17partition_subalgoE4EjNS0_10empty_typeEbEEZZNS1_14partition_implILS8_4ELb0ES6_15HIP_vector_typeIjLj2EENS0_17counting_iteratorIjlEEPS9_SG_NS0_5tupleIJPjSI_NS0_16reverse_iteratorISI_EEEEENSH_IJSG_SG_SG_EEES9_SI_JZNS1_25segmented_radix_sort_implINS0_14default_configELb0EPK6__halfPSP_PKlPlN2at6native12_GLOBAL__N_18offset_tEEE10hipError_tPvRmT1_PNSt15iterator_traitsIS13_E10value_typeET2_T3_PNS14_IS19_E10value_typeET4_jRbjT5_S1F_jjP12ihipStream_tbEUljE_ZNSN_ISO_Lb0ESR_SS_SU_SV_SZ_EES10_S11_S12_S13_S17_S18_S19_S1C_S1D_jS1E_jS1F_S1F_jjS1H_bEUljE0_EEES10_S11_S12_S19_S1D_S1F_T6_T7_T9_mT8_S1H_bDpT10_ENKUlT_T0_E_clISt17integral_constantIbLb1EES1V_EEDaS1Q_S1R_EUlS1Q_E_NS1_11comp_targetILNS1_3genE10ELNS1_11target_archE1200ELNS1_3gpuE4ELNS1_3repE0EEENS1_30default_config_static_selectorELNS0_4arch9wavefront6targetE1EEEvS13_
	.p2align	8
	.type	_ZN7rocprim17ROCPRIM_400000_NS6detail17trampoline_kernelINS0_13select_configILj256ELj13ELNS0_17block_load_methodE3ELS4_3ELS4_3ELNS0_20block_scan_algorithmE0ELj4294967295EEENS1_25partition_config_selectorILNS1_17partition_subalgoE4EjNS0_10empty_typeEbEEZZNS1_14partition_implILS8_4ELb0ES6_15HIP_vector_typeIjLj2EENS0_17counting_iteratorIjlEEPS9_SG_NS0_5tupleIJPjSI_NS0_16reverse_iteratorISI_EEEEENSH_IJSG_SG_SG_EEES9_SI_JZNS1_25segmented_radix_sort_implINS0_14default_configELb0EPK6__halfPSP_PKlPlN2at6native12_GLOBAL__N_18offset_tEEE10hipError_tPvRmT1_PNSt15iterator_traitsIS13_E10value_typeET2_T3_PNS14_IS19_E10value_typeET4_jRbjT5_S1F_jjP12ihipStream_tbEUljE_ZNSN_ISO_Lb0ESR_SS_SU_SV_SZ_EES10_S11_S12_S13_S17_S18_S19_S1C_S1D_jS1E_jS1F_S1F_jjS1H_bEUljE0_EEES10_S11_S12_S19_S1D_S1F_T6_T7_T9_mT8_S1H_bDpT10_ENKUlT_T0_E_clISt17integral_constantIbLb1EES1V_EEDaS1Q_S1R_EUlS1Q_E_NS1_11comp_targetILNS1_3genE10ELNS1_11target_archE1200ELNS1_3gpuE4ELNS1_3repE0EEENS1_30default_config_static_selectorELNS0_4arch9wavefront6targetE1EEEvS13_,@function
_ZN7rocprim17ROCPRIM_400000_NS6detail17trampoline_kernelINS0_13select_configILj256ELj13ELNS0_17block_load_methodE3ELS4_3ELS4_3ELNS0_20block_scan_algorithmE0ELj4294967295EEENS1_25partition_config_selectorILNS1_17partition_subalgoE4EjNS0_10empty_typeEbEEZZNS1_14partition_implILS8_4ELb0ES6_15HIP_vector_typeIjLj2EENS0_17counting_iteratorIjlEEPS9_SG_NS0_5tupleIJPjSI_NS0_16reverse_iteratorISI_EEEEENSH_IJSG_SG_SG_EEES9_SI_JZNS1_25segmented_radix_sort_implINS0_14default_configELb0EPK6__halfPSP_PKlPlN2at6native12_GLOBAL__N_18offset_tEEE10hipError_tPvRmT1_PNSt15iterator_traitsIS13_E10value_typeET2_T3_PNS14_IS19_E10value_typeET4_jRbjT5_S1F_jjP12ihipStream_tbEUljE_ZNSN_ISO_Lb0ESR_SS_SU_SV_SZ_EES10_S11_S12_S13_S17_S18_S19_S1C_S1D_jS1E_jS1F_S1F_jjS1H_bEUljE0_EEES10_S11_S12_S19_S1D_S1F_T6_T7_T9_mT8_S1H_bDpT10_ENKUlT_T0_E_clISt17integral_constantIbLb1EES1V_EEDaS1Q_S1R_EUlS1Q_E_NS1_11comp_targetILNS1_3genE10ELNS1_11target_archE1200ELNS1_3gpuE4ELNS1_3repE0EEENS1_30default_config_static_selectorELNS0_4arch9wavefront6targetE1EEEvS13_: ; @_ZN7rocprim17ROCPRIM_400000_NS6detail17trampoline_kernelINS0_13select_configILj256ELj13ELNS0_17block_load_methodE3ELS4_3ELS4_3ELNS0_20block_scan_algorithmE0ELj4294967295EEENS1_25partition_config_selectorILNS1_17partition_subalgoE4EjNS0_10empty_typeEbEEZZNS1_14partition_implILS8_4ELb0ES6_15HIP_vector_typeIjLj2EENS0_17counting_iteratorIjlEEPS9_SG_NS0_5tupleIJPjSI_NS0_16reverse_iteratorISI_EEEEENSH_IJSG_SG_SG_EEES9_SI_JZNS1_25segmented_radix_sort_implINS0_14default_configELb0EPK6__halfPSP_PKlPlN2at6native12_GLOBAL__N_18offset_tEEE10hipError_tPvRmT1_PNSt15iterator_traitsIS13_E10value_typeET2_T3_PNS14_IS19_E10value_typeET4_jRbjT5_S1F_jjP12ihipStream_tbEUljE_ZNSN_ISO_Lb0ESR_SS_SU_SV_SZ_EES10_S11_S12_S13_S17_S18_S19_S1C_S1D_jS1E_jS1F_S1F_jjS1H_bEUljE0_EEES10_S11_S12_S19_S1D_S1F_T6_T7_T9_mT8_S1H_bDpT10_ENKUlT_T0_E_clISt17integral_constantIbLb1EES1V_EEDaS1Q_S1R_EUlS1Q_E_NS1_11comp_targetILNS1_3genE10ELNS1_11target_archE1200ELNS1_3gpuE4ELNS1_3repE0EEENS1_30default_config_static_selectorELNS0_4arch9wavefront6targetE1EEEvS13_
; %bb.0:
	.section	.rodata,"a",@progbits
	.p2align	6, 0x0
	.amdhsa_kernel _ZN7rocprim17ROCPRIM_400000_NS6detail17trampoline_kernelINS0_13select_configILj256ELj13ELNS0_17block_load_methodE3ELS4_3ELS4_3ELNS0_20block_scan_algorithmE0ELj4294967295EEENS1_25partition_config_selectorILNS1_17partition_subalgoE4EjNS0_10empty_typeEbEEZZNS1_14partition_implILS8_4ELb0ES6_15HIP_vector_typeIjLj2EENS0_17counting_iteratorIjlEEPS9_SG_NS0_5tupleIJPjSI_NS0_16reverse_iteratorISI_EEEEENSH_IJSG_SG_SG_EEES9_SI_JZNS1_25segmented_radix_sort_implINS0_14default_configELb0EPK6__halfPSP_PKlPlN2at6native12_GLOBAL__N_18offset_tEEE10hipError_tPvRmT1_PNSt15iterator_traitsIS13_E10value_typeET2_T3_PNS14_IS19_E10value_typeET4_jRbjT5_S1F_jjP12ihipStream_tbEUljE_ZNSN_ISO_Lb0ESR_SS_SU_SV_SZ_EES10_S11_S12_S13_S17_S18_S19_S1C_S1D_jS1E_jS1F_S1F_jjS1H_bEUljE0_EEES10_S11_S12_S19_S1D_S1F_T6_T7_T9_mT8_S1H_bDpT10_ENKUlT_T0_E_clISt17integral_constantIbLb1EES1V_EEDaS1Q_S1R_EUlS1Q_E_NS1_11comp_targetILNS1_3genE10ELNS1_11target_archE1200ELNS1_3gpuE4ELNS1_3repE0EEENS1_30default_config_static_selectorELNS0_4arch9wavefront6targetE1EEEvS13_
		.amdhsa_group_segment_fixed_size 0
		.amdhsa_private_segment_fixed_size 0
		.amdhsa_kernarg_size 184
		.amdhsa_user_sgpr_count 6
		.amdhsa_user_sgpr_private_segment_buffer 1
		.amdhsa_user_sgpr_dispatch_ptr 0
		.amdhsa_user_sgpr_queue_ptr 0
		.amdhsa_user_sgpr_kernarg_segment_ptr 1
		.amdhsa_user_sgpr_dispatch_id 0
		.amdhsa_user_sgpr_flat_scratch_init 0
		.amdhsa_user_sgpr_private_segment_size 0
		.amdhsa_uses_dynamic_stack 0
		.amdhsa_system_sgpr_private_segment_wavefront_offset 0
		.amdhsa_system_sgpr_workgroup_id_x 1
		.amdhsa_system_sgpr_workgroup_id_y 0
		.amdhsa_system_sgpr_workgroup_id_z 0
		.amdhsa_system_sgpr_workgroup_info 0
		.amdhsa_system_vgpr_workitem_id 0
		.amdhsa_next_free_vgpr 1
		.amdhsa_next_free_sgpr 0
		.amdhsa_reserve_vcc 0
		.amdhsa_reserve_flat_scratch 0
		.amdhsa_float_round_mode_32 0
		.amdhsa_float_round_mode_16_64 0
		.amdhsa_float_denorm_mode_32 3
		.amdhsa_float_denorm_mode_16_64 3
		.amdhsa_dx10_clamp 1
		.amdhsa_ieee_mode 1
		.amdhsa_fp16_overflow 0
		.amdhsa_exception_fp_ieee_invalid_op 0
		.amdhsa_exception_fp_denorm_src 0
		.amdhsa_exception_fp_ieee_div_zero 0
		.amdhsa_exception_fp_ieee_overflow 0
		.amdhsa_exception_fp_ieee_underflow 0
		.amdhsa_exception_fp_ieee_inexact 0
		.amdhsa_exception_int_div_zero 0
	.end_amdhsa_kernel
	.section	.text._ZN7rocprim17ROCPRIM_400000_NS6detail17trampoline_kernelINS0_13select_configILj256ELj13ELNS0_17block_load_methodE3ELS4_3ELS4_3ELNS0_20block_scan_algorithmE0ELj4294967295EEENS1_25partition_config_selectorILNS1_17partition_subalgoE4EjNS0_10empty_typeEbEEZZNS1_14partition_implILS8_4ELb0ES6_15HIP_vector_typeIjLj2EENS0_17counting_iteratorIjlEEPS9_SG_NS0_5tupleIJPjSI_NS0_16reverse_iteratorISI_EEEEENSH_IJSG_SG_SG_EEES9_SI_JZNS1_25segmented_radix_sort_implINS0_14default_configELb0EPK6__halfPSP_PKlPlN2at6native12_GLOBAL__N_18offset_tEEE10hipError_tPvRmT1_PNSt15iterator_traitsIS13_E10value_typeET2_T3_PNS14_IS19_E10value_typeET4_jRbjT5_S1F_jjP12ihipStream_tbEUljE_ZNSN_ISO_Lb0ESR_SS_SU_SV_SZ_EES10_S11_S12_S13_S17_S18_S19_S1C_S1D_jS1E_jS1F_S1F_jjS1H_bEUljE0_EEES10_S11_S12_S19_S1D_S1F_T6_T7_T9_mT8_S1H_bDpT10_ENKUlT_T0_E_clISt17integral_constantIbLb1EES1V_EEDaS1Q_S1R_EUlS1Q_E_NS1_11comp_targetILNS1_3genE10ELNS1_11target_archE1200ELNS1_3gpuE4ELNS1_3repE0EEENS1_30default_config_static_selectorELNS0_4arch9wavefront6targetE1EEEvS13_,"axG",@progbits,_ZN7rocprim17ROCPRIM_400000_NS6detail17trampoline_kernelINS0_13select_configILj256ELj13ELNS0_17block_load_methodE3ELS4_3ELS4_3ELNS0_20block_scan_algorithmE0ELj4294967295EEENS1_25partition_config_selectorILNS1_17partition_subalgoE4EjNS0_10empty_typeEbEEZZNS1_14partition_implILS8_4ELb0ES6_15HIP_vector_typeIjLj2EENS0_17counting_iteratorIjlEEPS9_SG_NS0_5tupleIJPjSI_NS0_16reverse_iteratorISI_EEEEENSH_IJSG_SG_SG_EEES9_SI_JZNS1_25segmented_radix_sort_implINS0_14default_configELb0EPK6__halfPSP_PKlPlN2at6native12_GLOBAL__N_18offset_tEEE10hipError_tPvRmT1_PNSt15iterator_traitsIS13_E10value_typeET2_T3_PNS14_IS19_E10value_typeET4_jRbjT5_S1F_jjP12ihipStream_tbEUljE_ZNSN_ISO_Lb0ESR_SS_SU_SV_SZ_EES10_S11_S12_S13_S17_S18_S19_S1C_S1D_jS1E_jS1F_S1F_jjS1H_bEUljE0_EEES10_S11_S12_S19_S1D_S1F_T6_T7_T9_mT8_S1H_bDpT10_ENKUlT_T0_E_clISt17integral_constantIbLb1EES1V_EEDaS1Q_S1R_EUlS1Q_E_NS1_11comp_targetILNS1_3genE10ELNS1_11target_archE1200ELNS1_3gpuE4ELNS1_3repE0EEENS1_30default_config_static_selectorELNS0_4arch9wavefront6targetE1EEEvS13_,comdat
.Lfunc_end1791:
	.size	_ZN7rocprim17ROCPRIM_400000_NS6detail17trampoline_kernelINS0_13select_configILj256ELj13ELNS0_17block_load_methodE3ELS4_3ELS4_3ELNS0_20block_scan_algorithmE0ELj4294967295EEENS1_25partition_config_selectorILNS1_17partition_subalgoE4EjNS0_10empty_typeEbEEZZNS1_14partition_implILS8_4ELb0ES6_15HIP_vector_typeIjLj2EENS0_17counting_iteratorIjlEEPS9_SG_NS0_5tupleIJPjSI_NS0_16reverse_iteratorISI_EEEEENSH_IJSG_SG_SG_EEES9_SI_JZNS1_25segmented_radix_sort_implINS0_14default_configELb0EPK6__halfPSP_PKlPlN2at6native12_GLOBAL__N_18offset_tEEE10hipError_tPvRmT1_PNSt15iterator_traitsIS13_E10value_typeET2_T3_PNS14_IS19_E10value_typeET4_jRbjT5_S1F_jjP12ihipStream_tbEUljE_ZNSN_ISO_Lb0ESR_SS_SU_SV_SZ_EES10_S11_S12_S13_S17_S18_S19_S1C_S1D_jS1E_jS1F_S1F_jjS1H_bEUljE0_EEES10_S11_S12_S19_S1D_S1F_T6_T7_T9_mT8_S1H_bDpT10_ENKUlT_T0_E_clISt17integral_constantIbLb1EES1V_EEDaS1Q_S1R_EUlS1Q_E_NS1_11comp_targetILNS1_3genE10ELNS1_11target_archE1200ELNS1_3gpuE4ELNS1_3repE0EEENS1_30default_config_static_selectorELNS0_4arch9wavefront6targetE1EEEvS13_, .Lfunc_end1791-_ZN7rocprim17ROCPRIM_400000_NS6detail17trampoline_kernelINS0_13select_configILj256ELj13ELNS0_17block_load_methodE3ELS4_3ELS4_3ELNS0_20block_scan_algorithmE0ELj4294967295EEENS1_25partition_config_selectorILNS1_17partition_subalgoE4EjNS0_10empty_typeEbEEZZNS1_14partition_implILS8_4ELb0ES6_15HIP_vector_typeIjLj2EENS0_17counting_iteratorIjlEEPS9_SG_NS0_5tupleIJPjSI_NS0_16reverse_iteratorISI_EEEEENSH_IJSG_SG_SG_EEES9_SI_JZNS1_25segmented_radix_sort_implINS0_14default_configELb0EPK6__halfPSP_PKlPlN2at6native12_GLOBAL__N_18offset_tEEE10hipError_tPvRmT1_PNSt15iterator_traitsIS13_E10value_typeET2_T3_PNS14_IS19_E10value_typeET4_jRbjT5_S1F_jjP12ihipStream_tbEUljE_ZNSN_ISO_Lb0ESR_SS_SU_SV_SZ_EES10_S11_S12_S13_S17_S18_S19_S1C_S1D_jS1E_jS1F_S1F_jjS1H_bEUljE0_EEES10_S11_S12_S19_S1D_S1F_T6_T7_T9_mT8_S1H_bDpT10_ENKUlT_T0_E_clISt17integral_constantIbLb1EES1V_EEDaS1Q_S1R_EUlS1Q_E_NS1_11comp_targetILNS1_3genE10ELNS1_11target_archE1200ELNS1_3gpuE4ELNS1_3repE0EEENS1_30default_config_static_selectorELNS0_4arch9wavefront6targetE1EEEvS13_
                                        ; -- End function
	.set _ZN7rocprim17ROCPRIM_400000_NS6detail17trampoline_kernelINS0_13select_configILj256ELj13ELNS0_17block_load_methodE3ELS4_3ELS4_3ELNS0_20block_scan_algorithmE0ELj4294967295EEENS1_25partition_config_selectorILNS1_17partition_subalgoE4EjNS0_10empty_typeEbEEZZNS1_14partition_implILS8_4ELb0ES6_15HIP_vector_typeIjLj2EENS0_17counting_iteratorIjlEEPS9_SG_NS0_5tupleIJPjSI_NS0_16reverse_iteratorISI_EEEEENSH_IJSG_SG_SG_EEES9_SI_JZNS1_25segmented_radix_sort_implINS0_14default_configELb0EPK6__halfPSP_PKlPlN2at6native12_GLOBAL__N_18offset_tEEE10hipError_tPvRmT1_PNSt15iterator_traitsIS13_E10value_typeET2_T3_PNS14_IS19_E10value_typeET4_jRbjT5_S1F_jjP12ihipStream_tbEUljE_ZNSN_ISO_Lb0ESR_SS_SU_SV_SZ_EES10_S11_S12_S13_S17_S18_S19_S1C_S1D_jS1E_jS1F_S1F_jjS1H_bEUljE0_EEES10_S11_S12_S19_S1D_S1F_T6_T7_T9_mT8_S1H_bDpT10_ENKUlT_T0_E_clISt17integral_constantIbLb1EES1V_EEDaS1Q_S1R_EUlS1Q_E_NS1_11comp_targetILNS1_3genE10ELNS1_11target_archE1200ELNS1_3gpuE4ELNS1_3repE0EEENS1_30default_config_static_selectorELNS0_4arch9wavefront6targetE1EEEvS13_.num_vgpr, 0
	.set _ZN7rocprim17ROCPRIM_400000_NS6detail17trampoline_kernelINS0_13select_configILj256ELj13ELNS0_17block_load_methodE3ELS4_3ELS4_3ELNS0_20block_scan_algorithmE0ELj4294967295EEENS1_25partition_config_selectorILNS1_17partition_subalgoE4EjNS0_10empty_typeEbEEZZNS1_14partition_implILS8_4ELb0ES6_15HIP_vector_typeIjLj2EENS0_17counting_iteratorIjlEEPS9_SG_NS0_5tupleIJPjSI_NS0_16reverse_iteratorISI_EEEEENSH_IJSG_SG_SG_EEES9_SI_JZNS1_25segmented_radix_sort_implINS0_14default_configELb0EPK6__halfPSP_PKlPlN2at6native12_GLOBAL__N_18offset_tEEE10hipError_tPvRmT1_PNSt15iterator_traitsIS13_E10value_typeET2_T3_PNS14_IS19_E10value_typeET4_jRbjT5_S1F_jjP12ihipStream_tbEUljE_ZNSN_ISO_Lb0ESR_SS_SU_SV_SZ_EES10_S11_S12_S13_S17_S18_S19_S1C_S1D_jS1E_jS1F_S1F_jjS1H_bEUljE0_EEES10_S11_S12_S19_S1D_S1F_T6_T7_T9_mT8_S1H_bDpT10_ENKUlT_T0_E_clISt17integral_constantIbLb1EES1V_EEDaS1Q_S1R_EUlS1Q_E_NS1_11comp_targetILNS1_3genE10ELNS1_11target_archE1200ELNS1_3gpuE4ELNS1_3repE0EEENS1_30default_config_static_selectorELNS0_4arch9wavefront6targetE1EEEvS13_.num_agpr, 0
	.set _ZN7rocprim17ROCPRIM_400000_NS6detail17trampoline_kernelINS0_13select_configILj256ELj13ELNS0_17block_load_methodE3ELS4_3ELS4_3ELNS0_20block_scan_algorithmE0ELj4294967295EEENS1_25partition_config_selectorILNS1_17partition_subalgoE4EjNS0_10empty_typeEbEEZZNS1_14partition_implILS8_4ELb0ES6_15HIP_vector_typeIjLj2EENS0_17counting_iteratorIjlEEPS9_SG_NS0_5tupleIJPjSI_NS0_16reverse_iteratorISI_EEEEENSH_IJSG_SG_SG_EEES9_SI_JZNS1_25segmented_radix_sort_implINS0_14default_configELb0EPK6__halfPSP_PKlPlN2at6native12_GLOBAL__N_18offset_tEEE10hipError_tPvRmT1_PNSt15iterator_traitsIS13_E10value_typeET2_T3_PNS14_IS19_E10value_typeET4_jRbjT5_S1F_jjP12ihipStream_tbEUljE_ZNSN_ISO_Lb0ESR_SS_SU_SV_SZ_EES10_S11_S12_S13_S17_S18_S19_S1C_S1D_jS1E_jS1F_S1F_jjS1H_bEUljE0_EEES10_S11_S12_S19_S1D_S1F_T6_T7_T9_mT8_S1H_bDpT10_ENKUlT_T0_E_clISt17integral_constantIbLb1EES1V_EEDaS1Q_S1R_EUlS1Q_E_NS1_11comp_targetILNS1_3genE10ELNS1_11target_archE1200ELNS1_3gpuE4ELNS1_3repE0EEENS1_30default_config_static_selectorELNS0_4arch9wavefront6targetE1EEEvS13_.numbered_sgpr, 0
	.set _ZN7rocprim17ROCPRIM_400000_NS6detail17trampoline_kernelINS0_13select_configILj256ELj13ELNS0_17block_load_methodE3ELS4_3ELS4_3ELNS0_20block_scan_algorithmE0ELj4294967295EEENS1_25partition_config_selectorILNS1_17partition_subalgoE4EjNS0_10empty_typeEbEEZZNS1_14partition_implILS8_4ELb0ES6_15HIP_vector_typeIjLj2EENS0_17counting_iteratorIjlEEPS9_SG_NS0_5tupleIJPjSI_NS0_16reverse_iteratorISI_EEEEENSH_IJSG_SG_SG_EEES9_SI_JZNS1_25segmented_radix_sort_implINS0_14default_configELb0EPK6__halfPSP_PKlPlN2at6native12_GLOBAL__N_18offset_tEEE10hipError_tPvRmT1_PNSt15iterator_traitsIS13_E10value_typeET2_T3_PNS14_IS19_E10value_typeET4_jRbjT5_S1F_jjP12ihipStream_tbEUljE_ZNSN_ISO_Lb0ESR_SS_SU_SV_SZ_EES10_S11_S12_S13_S17_S18_S19_S1C_S1D_jS1E_jS1F_S1F_jjS1H_bEUljE0_EEES10_S11_S12_S19_S1D_S1F_T6_T7_T9_mT8_S1H_bDpT10_ENKUlT_T0_E_clISt17integral_constantIbLb1EES1V_EEDaS1Q_S1R_EUlS1Q_E_NS1_11comp_targetILNS1_3genE10ELNS1_11target_archE1200ELNS1_3gpuE4ELNS1_3repE0EEENS1_30default_config_static_selectorELNS0_4arch9wavefront6targetE1EEEvS13_.num_named_barrier, 0
	.set _ZN7rocprim17ROCPRIM_400000_NS6detail17trampoline_kernelINS0_13select_configILj256ELj13ELNS0_17block_load_methodE3ELS4_3ELS4_3ELNS0_20block_scan_algorithmE0ELj4294967295EEENS1_25partition_config_selectorILNS1_17partition_subalgoE4EjNS0_10empty_typeEbEEZZNS1_14partition_implILS8_4ELb0ES6_15HIP_vector_typeIjLj2EENS0_17counting_iteratorIjlEEPS9_SG_NS0_5tupleIJPjSI_NS0_16reverse_iteratorISI_EEEEENSH_IJSG_SG_SG_EEES9_SI_JZNS1_25segmented_radix_sort_implINS0_14default_configELb0EPK6__halfPSP_PKlPlN2at6native12_GLOBAL__N_18offset_tEEE10hipError_tPvRmT1_PNSt15iterator_traitsIS13_E10value_typeET2_T3_PNS14_IS19_E10value_typeET4_jRbjT5_S1F_jjP12ihipStream_tbEUljE_ZNSN_ISO_Lb0ESR_SS_SU_SV_SZ_EES10_S11_S12_S13_S17_S18_S19_S1C_S1D_jS1E_jS1F_S1F_jjS1H_bEUljE0_EEES10_S11_S12_S19_S1D_S1F_T6_T7_T9_mT8_S1H_bDpT10_ENKUlT_T0_E_clISt17integral_constantIbLb1EES1V_EEDaS1Q_S1R_EUlS1Q_E_NS1_11comp_targetILNS1_3genE10ELNS1_11target_archE1200ELNS1_3gpuE4ELNS1_3repE0EEENS1_30default_config_static_selectorELNS0_4arch9wavefront6targetE1EEEvS13_.private_seg_size, 0
	.set _ZN7rocprim17ROCPRIM_400000_NS6detail17trampoline_kernelINS0_13select_configILj256ELj13ELNS0_17block_load_methodE3ELS4_3ELS4_3ELNS0_20block_scan_algorithmE0ELj4294967295EEENS1_25partition_config_selectorILNS1_17partition_subalgoE4EjNS0_10empty_typeEbEEZZNS1_14partition_implILS8_4ELb0ES6_15HIP_vector_typeIjLj2EENS0_17counting_iteratorIjlEEPS9_SG_NS0_5tupleIJPjSI_NS0_16reverse_iteratorISI_EEEEENSH_IJSG_SG_SG_EEES9_SI_JZNS1_25segmented_radix_sort_implINS0_14default_configELb0EPK6__halfPSP_PKlPlN2at6native12_GLOBAL__N_18offset_tEEE10hipError_tPvRmT1_PNSt15iterator_traitsIS13_E10value_typeET2_T3_PNS14_IS19_E10value_typeET4_jRbjT5_S1F_jjP12ihipStream_tbEUljE_ZNSN_ISO_Lb0ESR_SS_SU_SV_SZ_EES10_S11_S12_S13_S17_S18_S19_S1C_S1D_jS1E_jS1F_S1F_jjS1H_bEUljE0_EEES10_S11_S12_S19_S1D_S1F_T6_T7_T9_mT8_S1H_bDpT10_ENKUlT_T0_E_clISt17integral_constantIbLb1EES1V_EEDaS1Q_S1R_EUlS1Q_E_NS1_11comp_targetILNS1_3genE10ELNS1_11target_archE1200ELNS1_3gpuE4ELNS1_3repE0EEENS1_30default_config_static_selectorELNS0_4arch9wavefront6targetE1EEEvS13_.uses_vcc, 0
	.set _ZN7rocprim17ROCPRIM_400000_NS6detail17trampoline_kernelINS0_13select_configILj256ELj13ELNS0_17block_load_methodE3ELS4_3ELS4_3ELNS0_20block_scan_algorithmE0ELj4294967295EEENS1_25partition_config_selectorILNS1_17partition_subalgoE4EjNS0_10empty_typeEbEEZZNS1_14partition_implILS8_4ELb0ES6_15HIP_vector_typeIjLj2EENS0_17counting_iteratorIjlEEPS9_SG_NS0_5tupleIJPjSI_NS0_16reverse_iteratorISI_EEEEENSH_IJSG_SG_SG_EEES9_SI_JZNS1_25segmented_radix_sort_implINS0_14default_configELb0EPK6__halfPSP_PKlPlN2at6native12_GLOBAL__N_18offset_tEEE10hipError_tPvRmT1_PNSt15iterator_traitsIS13_E10value_typeET2_T3_PNS14_IS19_E10value_typeET4_jRbjT5_S1F_jjP12ihipStream_tbEUljE_ZNSN_ISO_Lb0ESR_SS_SU_SV_SZ_EES10_S11_S12_S13_S17_S18_S19_S1C_S1D_jS1E_jS1F_S1F_jjS1H_bEUljE0_EEES10_S11_S12_S19_S1D_S1F_T6_T7_T9_mT8_S1H_bDpT10_ENKUlT_T0_E_clISt17integral_constantIbLb1EES1V_EEDaS1Q_S1R_EUlS1Q_E_NS1_11comp_targetILNS1_3genE10ELNS1_11target_archE1200ELNS1_3gpuE4ELNS1_3repE0EEENS1_30default_config_static_selectorELNS0_4arch9wavefront6targetE1EEEvS13_.uses_flat_scratch, 0
	.set _ZN7rocprim17ROCPRIM_400000_NS6detail17trampoline_kernelINS0_13select_configILj256ELj13ELNS0_17block_load_methodE3ELS4_3ELS4_3ELNS0_20block_scan_algorithmE0ELj4294967295EEENS1_25partition_config_selectorILNS1_17partition_subalgoE4EjNS0_10empty_typeEbEEZZNS1_14partition_implILS8_4ELb0ES6_15HIP_vector_typeIjLj2EENS0_17counting_iteratorIjlEEPS9_SG_NS0_5tupleIJPjSI_NS0_16reverse_iteratorISI_EEEEENSH_IJSG_SG_SG_EEES9_SI_JZNS1_25segmented_radix_sort_implINS0_14default_configELb0EPK6__halfPSP_PKlPlN2at6native12_GLOBAL__N_18offset_tEEE10hipError_tPvRmT1_PNSt15iterator_traitsIS13_E10value_typeET2_T3_PNS14_IS19_E10value_typeET4_jRbjT5_S1F_jjP12ihipStream_tbEUljE_ZNSN_ISO_Lb0ESR_SS_SU_SV_SZ_EES10_S11_S12_S13_S17_S18_S19_S1C_S1D_jS1E_jS1F_S1F_jjS1H_bEUljE0_EEES10_S11_S12_S19_S1D_S1F_T6_T7_T9_mT8_S1H_bDpT10_ENKUlT_T0_E_clISt17integral_constantIbLb1EES1V_EEDaS1Q_S1R_EUlS1Q_E_NS1_11comp_targetILNS1_3genE10ELNS1_11target_archE1200ELNS1_3gpuE4ELNS1_3repE0EEENS1_30default_config_static_selectorELNS0_4arch9wavefront6targetE1EEEvS13_.has_dyn_sized_stack, 0
	.set _ZN7rocprim17ROCPRIM_400000_NS6detail17trampoline_kernelINS0_13select_configILj256ELj13ELNS0_17block_load_methodE3ELS4_3ELS4_3ELNS0_20block_scan_algorithmE0ELj4294967295EEENS1_25partition_config_selectorILNS1_17partition_subalgoE4EjNS0_10empty_typeEbEEZZNS1_14partition_implILS8_4ELb0ES6_15HIP_vector_typeIjLj2EENS0_17counting_iteratorIjlEEPS9_SG_NS0_5tupleIJPjSI_NS0_16reverse_iteratorISI_EEEEENSH_IJSG_SG_SG_EEES9_SI_JZNS1_25segmented_radix_sort_implINS0_14default_configELb0EPK6__halfPSP_PKlPlN2at6native12_GLOBAL__N_18offset_tEEE10hipError_tPvRmT1_PNSt15iterator_traitsIS13_E10value_typeET2_T3_PNS14_IS19_E10value_typeET4_jRbjT5_S1F_jjP12ihipStream_tbEUljE_ZNSN_ISO_Lb0ESR_SS_SU_SV_SZ_EES10_S11_S12_S13_S17_S18_S19_S1C_S1D_jS1E_jS1F_S1F_jjS1H_bEUljE0_EEES10_S11_S12_S19_S1D_S1F_T6_T7_T9_mT8_S1H_bDpT10_ENKUlT_T0_E_clISt17integral_constantIbLb1EES1V_EEDaS1Q_S1R_EUlS1Q_E_NS1_11comp_targetILNS1_3genE10ELNS1_11target_archE1200ELNS1_3gpuE4ELNS1_3repE0EEENS1_30default_config_static_selectorELNS0_4arch9wavefront6targetE1EEEvS13_.has_recursion, 0
	.set _ZN7rocprim17ROCPRIM_400000_NS6detail17trampoline_kernelINS0_13select_configILj256ELj13ELNS0_17block_load_methodE3ELS4_3ELS4_3ELNS0_20block_scan_algorithmE0ELj4294967295EEENS1_25partition_config_selectorILNS1_17partition_subalgoE4EjNS0_10empty_typeEbEEZZNS1_14partition_implILS8_4ELb0ES6_15HIP_vector_typeIjLj2EENS0_17counting_iteratorIjlEEPS9_SG_NS0_5tupleIJPjSI_NS0_16reverse_iteratorISI_EEEEENSH_IJSG_SG_SG_EEES9_SI_JZNS1_25segmented_radix_sort_implINS0_14default_configELb0EPK6__halfPSP_PKlPlN2at6native12_GLOBAL__N_18offset_tEEE10hipError_tPvRmT1_PNSt15iterator_traitsIS13_E10value_typeET2_T3_PNS14_IS19_E10value_typeET4_jRbjT5_S1F_jjP12ihipStream_tbEUljE_ZNSN_ISO_Lb0ESR_SS_SU_SV_SZ_EES10_S11_S12_S13_S17_S18_S19_S1C_S1D_jS1E_jS1F_S1F_jjS1H_bEUljE0_EEES10_S11_S12_S19_S1D_S1F_T6_T7_T9_mT8_S1H_bDpT10_ENKUlT_T0_E_clISt17integral_constantIbLb1EES1V_EEDaS1Q_S1R_EUlS1Q_E_NS1_11comp_targetILNS1_3genE10ELNS1_11target_archE1200ELNS1_3gpuE4ELNS1_3repE0EEENS1_30default_config_static_selectorELNS0_4arch9wavefront6targetE1EEEvS13_.has_indirect_call, 0
	.section	.AMDGPU.csdata,"",@progbits
; Kernel info:
; codeLenInByte = 0
; TotalNumSgprs: 4
; NumVgprs: 0
; ScratchSize: 0
; MemoryBound: 0
; FloatMode: 240
; IeeeMode: 1
; LDSByteSize: 0 bytes/workgroup (compile time only)
; SGPRBlocks: 0
; VGPRBlocks: 0
; NumSGPRsForWavesPerEU: 4
; NumVGPRsForWavesPerEU: 1
; Occupancy: 10
; WaveLimiterHint : 0
; COMPUTE_PGM_RSRC2:SCRATCH_EN: 0
; COMPUTE_PGM_RSRC2:USER_SGPR: 6
; COMPUTE_PGM_RSRC2:TRAP_HANDLER: 0
; COMPUTE_PGM_RSRC2:TGID_X_EN: 1
; COMPUTE_PGM_RSRC2:TGID_Y_EN: 0
; COMPUTE_PGM_RSRC2:TGID_Z_EN: 0
; COMPUTE_PGM_RSRC2:TIDIG_COMP_CNT: 0
	.section	.text._ZN7rocprim17ROCPRIM_400000_NS6detail17trampoline_kernelINS0_13select_configILj256ELj13ELNS0_17block_load_methodE3ELS4_3ELS4_3ELNS0_20block_scan_algorithmE0ELj4294967295EEENS1_25partition_config_selectorILNS1_17partition_subalgoE4EjNS0_10empty_typeEbEEZZNS1_14partition_implILS8_4ELb0ES6_15HIP_vector_typeIjLj2EENS0_17counting_iteratorIjlEEPS9_SG_NS0_5tupleIJPjSI_NS0_16reverse_iteratorISI_EEEEENSH_IJSG_SG_SG_EEES9_SI_JZNS1_25segmented_radix_sort_implINS0_14default_configELb0EPK6__halfPSP_PKlPlN2at6native12_GLOBAL__N_18offset_tEEE10hipError_tPvRmT1_PNSt15iterator_traitsIS13_E10value_typeET2_T3_PNS14_IS19_E10value_typeET4_jRbjT5_S1F_jjP12ihipStream_tbEUljE_ZNSN_ISO_Lb0ESR_SS_SU_SV_SZ_EES10_S11_S12_S13_S17_S18_S19_S1C_S1D_jS1E_jS1F_S1F_jjS1H_bEUljE0_EEES10_S11_S12_S19_S1D_S1F_T6_T7_T9_mT8_S1H_bDpT10_ENKUlT_T0_E_clISt17integral_constantIbLb1EES1V_EEDaS1Q_S1R_EUlS1Q_E_NS1_11comp_targetILNS1_3genE9ELNS1_11target_archE1100ELNS1_3gpuE3ELNS1_3repE0EEENS1_30default_config_static_selectorELNS0_4arch9wavefront6targetE1EEEvS13_,"axG",@progbits,_ZN7rocprim17ROCPRIM_400000_NS6detail17trampoline_kernelINS0_13select_configILj256ELj13ELNS0_17block_load_methodE3ELS4_3ELS4_3ELNS0_20block_scan_algorithmE0ELj4294967295EEENS1_25partition_config_selectorILNS1_17partition_subalgoE4EjNS0_10empty_typeEbEEZZNS1_14partition_implILS8_4ELb0ES6_15HIP_vector_typeIjLj2EENS0_17counting_iteratorIjlEEPS9_SG_NS0_5tupleIJPjSI_NS0_16reverse_iteratorISI_EEEEENSH_IJSG_SG_SG_EEES9_SI_JZNS1_25segmented_radix_sort_implINS0_14default_configELb0EPK6__halfPSP_PKlPlN2at6native12_GLOBAL__N_18offset_tEEE10hipError_tPvRmT1_PNSt15iterator_traitsIS13_E10value_typeET2_T3_PNS14_IS19_E10value_typeET4_jRbjT5_S1F_jjP12ihipStream_tbEUljE_ZNSN_ISO_Lb0ESR_SS_SU_SV_SZ_EES10_S11_S12_S13_S17_S18_S19_S1C_S1D_jS1E_jS1F_S1F_jjS1H_bEUljE0_EEES10_S11_S12_S19_S1D_S1F_T6_T7_T9_mT8_S1H_bDpT10_ENKUlT_T0_E_clISt17integral_constantIbLb1EES1V_EEDaS1Q_S1R_EUlS1Q_E_NS1_11comp_targetILNS1_3genE9ELNS1_11target_archE1100ELNS1_3gpuE3ELNS1_3repE0EEENS1_30default_config_static_selectorELNS0_4arch9wavefront6targetE1EEEvS13_,comdat
	.globl	_ZN7rocprim17ROCPRIM_400000_NS6detail17trampoline_kernelINS0_13select_configILj256ELj13ELNS0_17block_load_methodE3ELS4_3ELS4_3ELNS0_20block_scan_algorithmE0ELj4294967295EEENS1_25partition_config_selectorILNS1_17partition_subalgoE4EjNS0_10empty_typeEbEEZZNS1_14partition_implILS8_4ELb0ES6_15HIP_vector_typeIjLj2EENS0_17counting_iteratorIjlEEPS9_SG_NS0_5tupleIJPjSI_NS0_16reverse_iteratorISI_EEEEENSH_IJSG_SG_SG_EEES9_SI_JZNS1_25segmented_radix_sort_implINS0_14default_configELb0EPK6__halfPSP_PKlPlN2at6native12_GLOBAL__N_18offset_tEEE10hipError_tPvRmT1_PNSt15iterator_traitsIS13_E10value_typeET2_T3_PNS14_IS19_E10value_typeET4_jRbjT5_S1F_jjP12ihipStream_tbEUljE_ZNSN_ISO_Lb0ESR_SS_SU_SV_SZ_EES10_S11_S12_S13_S17_S18_S19_S1C_S1D_jS1E_jS1F_S1F_jjS1H_bEUljE0_EEES10_S11_S12_S19_S1D_S1F_T6_T7_T9_mT8_S1H_bDpT10_ENKUlT_T0_E_clISt17integral_constantIbLb1EES1V_EEDaS1Q_S1R_EUlS1Q_E_NS1_11comp_targetILNS1_3genE9ELNS1_11target_archE1100ELNS1_3gpuE3ELNS1_3repE0EEENS1_30default_config_static_selectorELNS0_4arch9wavefront6targetE1EEEvS13_ ; -- Begin function _ZN7rocprim17ROCPRIM_400000_NS6detail17trampoline_kernelINS0_13select_configILj256ELj13ELNS0_17block_load_methodE3ELS4_3ELS4_3ELNS0_20block_scan_algorithmE0ELj4294967295EEENS1_25partition_config_selectorILNS1_17partition_subalgoE4EjNS0_10empty_typeEbEEZZNS1_14partition_implILS8_4ELb0ES6_15HIP_vector_typeIjLj2EENS0_17counting_iteratorIjlEEPS9_SG_NS0_5tupleIJPjSI_NS0_16reverse_iteratorISI_EEEEENSH_IJSG_SG_SG_EEES9_SI_JZNS1_25segmented_radix_sort_implINS0_14default_configELb0EPK6__halfPSP_PKlPlN2at6native12_GLOBAL__N_18offset_tEEE10hipError_tPvRmT1_PNSt15iterator_traitsIS13_E10value_typeET2_T3_PNS14_IS19_E10value_typeET4_jRbjT5_S1F_jjP12ihipStream_tbEUljE_ZNSN_ISO_Lb0ESR_SS_SU_SV_SZ_EES10_S11_S12_S13_S17_S18_S19_S1C_S1D_jS1E_jS1F_S1F_jjS1H_bEUljE0_EEES10_S11_S12_S19_S1D_S1F_T6_T7_T9_mT8_S1H_bDpT10_ENKUlT_T0_E_clISt17integral_constantIbLb1EES1V_EEDaS1Q_S1R_EUlS1Q_E_NS1_11comp_targetILNS1_3genE9ELNS1_11target_archE1100ELNS1_3gpuE3ELNS1_3repE0EEENS1_30default_config_static_selectorELNS0_4arch9wavefront6targetE1EEEvS13_
	.p2align	8
	.type	_ZN7rocprim17ROCPRIM_400000_NS6detail17trampoline_kernelINS0_13select_configILj256ELj13ELNS0_17block_load_methodE3ELS4_3ELS4_3ELNS0_20block_scan_algorithmE0ELj4294967295EEENS1_25partition_config_selectorILNS1_17partition_subalgoE4EjNS0_10empty_typeEbEEZZNS1_14partition_implILS8_4ELb0ES6_15HIP_vector_typeIjLj2EENS0_17counting_iteratorIjlEEPS9_SG_NS0_5tupleIJPjSI_NS0_16reverse_iteratorISI_EEEEENSH_IJSG_SG_SG_EEES9_SI_JZNS1_25segmented_radix_sort_implINS0_14default_configELb0EPK6__halfPSP_PKlPlN2at6native12_GLOBAL__N_18offset_tEEE10hipError_tPvRmT1_PNSt15iterator_traitsIS13_E10value_typeET2_T3_PNS14_IS19_E10value_typeET4_jRbjT5_S1F_jjP12ihipStream_tbEUljE_ZNSN_ISO_Lb0ESR_SS_SU_SV_SZ_EES10_S11_S12_S13_S17_S18_S19_S1C_S1D_jS1E_jS1F_S1F_jjS1H_bEUljE0_EEES10_S11_S12_S19_S1D_S1F_T6_T7_T9_mT8_S1H_bDpT10_ENKUlT_T0_E_clISt17integral_constantIbLb1EES1V_EEDaS1Q_S1R_EUlS1Q_E_NS1_11comp_targetILNS1_3genE9ELNS1_11target_archE1100ELNS1_3gpuE3ELNS1_3repE0EEENS1_30default_config_static_selectorELNS0_4arch9wavefront6targetE1EEEvS13_,@function
_ZN7rocprim17ROCPRIM_400000_NS6detail17trampoline_kernelINS0_13select_configILj256ELj13ELNS0_17block_load_methodE3ELS4_3ELS4_3ELNS0_20block_scan_algorithmE0ELj4294967295EEENS1_25partition_config_selectorILNS1_17partition_subalgoE4EjNS0_10empty_typeEbEEZZNS1_14partition_implILS8_4ELb0ES6_15HIP_vector_typeIjLj2EENS0_17counting_iteratorIjlEEPS9_SG_NS0_5tupleIJPjSI_NS0_16reverse_iteratorISI_EEEEENSH_IJSG_SG_SG_EEES9_SI_JZNS1_25segmented_radix_sort_implINS0_14default_configELb0EPK6__halfPSP_PKlPlN2at6native12_GLOBAL__N_18offset_tEEE10hipError_tPvRmT1_PNSt15iterator_traitsIS13_E10value_typeET2_T3_PNS14_IS19_E10value_typeET4_jRbjT5_S1F_jjP12ihipStream_tbEUljE_ZNSN_ISO_Lb0ESR_SS_SU_SV_SZ_EES10_S11_S12_S13_S17_S18_S19_S1C_S1D_jS1E_jS1F_S1F_jjS1H_bEUljE0_EEES10_S11_S12_S19_S1D_S1F_T6_T7_T9_mT8_S1H_bDpT10_ENKUlT_T0_E_clISt17integral_constantIbLb1EES1V_EEDaS1Q_S1R_EUlS1Q_E_NS1_11comp_targetILNS1_3genE9ELNS1_11target_archE1100ELNS1_3gpuE3ELNS1_3repE0EEENS1_30default_config_static_selectorELNS0_4arch9wavefront6targetE1EEEvS13_: ; @_ZN7rocprim17ROCPRIM_400000_NS6detail17trampoline_kernelINS0_13select_configILj256ELj13ELNS0_17block_load_methodE3ELS4_3ELS4_3ELNS0_20block_scan_algorithmE0ELj4294967295EEENS1_25partition_config_selectorILNS1_17partition_subalgoE4EjNS0_10empty_typeEbEEZZNS1_14partition_implILS8_4ELb0ES6_15HIP_vector_typeIjLj2EENS0_17counting_iteratorIjlEEPS9_SG_NS0_5tupleIJPjSI_NS0_16reverse_iteratorISI_EEEEENSH_IJSG_SG_SG_EEES9_SI_JZNS1_25segmented_radix_sort_implINS0_14default_configELb0EPK6__halfPSP_PKlPlN2at6native12_GLOBAL__N_18offset_tEEE10hipError_tPvRmT1_PNSt15iterator_traitsIS13_E10value_typeET2_T3_PNS14_IS19_E10value_typeET4_jRbjT5_S1F_jjP12ihipStream_tbEUljE_ZNSN_ISO_Lb0ESR_SS_SU_SV_SZ_EES10_S11_S12_S13_S17_S18_S19_S1C_S1D_jS1E_jS1F_S1F_jjS1H_bEUljE0_EEES10_S11_S12_S19_S1D_S1F_T6_T7_T9_mT8_S1H_bDpT10_ENKUlT_T0_E_clISt17integral_constantIbLb1EES1V_EEDaS1Q_S1R_EUlS1Q_E_NS1_11comp_targetILNS1_3genE9ELNS1_11target_archE1100ELNS1_3gpuE3ELNS1_3repE0EEENS1_30default_config_static_selectorELNS0_4arch9wavefront6targetE1EEEvS13_
; %bb.0:
	.section	.rodata,"a",@progbits
	.p2align	6, 0x0
	.amdhsa_kernel _ZN7rocprim17ROCPRIM_400000_NS6detail17trampoline_kernelINS0_13select_configILj256ELj13ELNS0_17block_load_methodE3ELS4_3ELS4_3ELNS0_20block_scan_algorithmE0ELj4294967295EEENS1_25partition_config_selectorILNS1_17partition_subalgoE4EjNS0_10empty_typeEbEEZZNS1_14partition_implILS8_4ELb0ES6_15HIP_vector_typeIjLj2EENS0_17counting_iteratorIjlEEPS9_SG_NS0_5tupleIJPjSI_NS0_16reverse_iteratorISI_EEEEENSH_IJSG_SG_SG_EEES9_SI_JZNS1_25segmented_radix_sort_implINS0_14default_configELb0EPK6__halfPSP_PKlPlN2at6native12_GLOBAL__N_18offset_tEEE10hipError_tPvRmT1_PNSt15iterator_traitsIS13_E10value_typeET2_T3_PNS14_IS19_E10value_typeET4_jRbjT5_S1F_jjP12ihipStream_tbEUljE_ZNSN_ISO_Lb0ESR_SS_SU_SV_SZ_EES10_S11_S12_S13_S17_S18_S19_S1C_S1D_jS1E_jS1F_S1F_jjS1H_bEUljE0_EEES10_S11_S12_S19_S1D_S1F_T6_T7_T9_mT8_S1H_bDpT10_ENKUlT_T0_E_clISt17integral_constantIbLb1EES1V_EEDaS1Q_S1R_EUlS1Q_E_NS1_11comp_targetILNS1_3genE9ELNS1_11target_archE1100ELNS1_3gpuE3ELNS1_3repE0EEENS1_30default_config_static_selectorELNS0_4arch9wavefront6targetE1EEEvS13_
		.amdhsa_group_segment_fixed_size 0
		.amdhsa_private_segment_fixed_size 0
		.amdhsa_kernarg_size 184
		.amdhsa_user_sgpr_count 6
		.amdhsa_user_sgpr_private_segment_buffer 1
		.amdhsa_user_sgpr_dispatch_ptr 0
		.amdhsa_user_sgpr_queue_ptr 0
		.amdhsa_user_sgpr_kernarg_segment_ptr 1
		.amdhsa_user_sgpr_dispatch_id 0
		.amdhsa_user_sgpr_flat_scratch_init 0
		.amdhsa_user_sgpr_private_segment_size 0
		.amdhsa_uses_dynamic_stack 0
		.amdhsa_system_sgpr_private_segment_wavefront_offset 0
		.amdhsa_system_sgpr_workgroup_id_x 1
		.amdhsa_system_sgpr_workgroup_id_y 0
		.amdhsa_system_sgpr_workgroup_id_z 0
		.amdhsa_system_sgpr_workgroup_info 0
		.amdhsa_system_vgpr_workitem_id 0
		.amdhsa_next_free_vgpr 1
		.amdhsa_next_free_sgpr 0
		.amdhsa_reserve_vcc 0
		.amdhsa_reserve_flat_scratch 0
		.amdhsa_float_round_mode_32 0
		.amdhsa_float_round_mode_16_64 0
		.amdhsa_float_denorm_mode_32 3
		.amdhsa_float_denorm_mode_16_64 3
		.amdhsa_dx10_clamp 1
		.amdhsa_ieee_mode 1
		.amdhsa_fp16_overflow 0
		.amdhsa_exception_fp_ieee_invalid_op 0
		.amdhsa_exception_fp_denorm_src 0
		.amdhsa_exception_fp_ieee_div_zero 0
		.amdhsa_exception_fp_ieee_overflow 0
		.amdhsa_exception_fp_ieee_underflow 0
		.amdhsa_exception_fp_ieee_inexact 0
		.amdhsa_exception_int_div_zero 0
	.end_amdhsa_kernel
	.section	.text._ZN7rocprim17ROCPRIM_400000_NS6detail17trampoline_kernelINS0_13select_configILj256ELj13ELNS0_17block_load_methodE3ELS4_3ELS4_3ELNS0_20block_scan_algorithmE0ELj4294967295EEENS1_25partition_config_selectorILNS1_17partition_subalgoE4EjNS0_10empty_typeEbEEZZNS1_14partition_implILS8_4ELb0ES6_15HIP_vector_typeIjLj2EENS0_17counting_iteratorIjlEEPS9_SG_NS0_5tupleIJPjSI_NS0_16reverse_iteratorISI_EEEEENSH_IJSG_SG_SG_EEES9_SI_JZNS1_25segmented_radix_sort_implINS0_14default_configELb0EPK6__halfPSP_PKlPlN2at6native12_GLOBAL__N_18offset_tEEE10hipError_tPvRmT1_PNSt15iterator_traitsIS13_E10value_typeET2_T3_PNS14_IS19_E10value_typeET4_jRbjT5_S1F_jjP12ihipStream_tbEUljE_ZNSN_ISO_Lb0ESR_SS_SU_SV_SZ_EES10_S11_S12_S13_S17_S18_S19_S1C_S1D_jS1E_jS1F_S1F_jjS1H_bEUljE0_EEES10_S11_S12_S19_S1D_S1F_T6_T7_T9_mT8_S1H_bDpT10_ENKUlT_T0_E_clISt17integral_constantIbLb1EES1V_EEDaS1Q_S1R_EUlS1Q_E_NS1_11comp_targetILNS1_3genE9ELNS1_11target_archE1100ELNS1_3gpuE3ELNS1_3repE0EEENS1_30default_config_static_selectorELNS0_4arch9wavefront6targetE1EEEvS13_,"axG",@progbits,_ZN7rocprim17ROCPRIM_400000_NS6detail17trampoline_kernelINS0_13select_configILj256ELj13ELNS0_17block_load_methodE3ELS4_3ELS4_3ELNS0_20block_scan_algorithmE0ELj4294967295EEENS1_25partition_config_selectorILNS1_17partition_subalgoE4EjNS0_10empty_typeEbEEZZNS1_14partition_implILS8_4ELb0ES6_15HIP_vector_typeIjLj2EENS0_17counting_iteratorIjlEEPS9_SG_NS0_5tupleIJPjSI_NS0_16reverse_iteratorISI_EEEEENSH_IJSG_SG_SG_EEES9_SI_JZNS1_25segmented_radix_sort_implINS0_14default_configELb0EPK6__halfPSP_PKlPlN2at6native12_GLOBAL__N_18offset_tEEE10hipError_tPvRmT1_PNSt15iterator_traitsIS13_E10value_typeET2_T3_PNS14_IS19_E10value_typeET4_jRbjT5_S1F_jjP12ihipStream_tbEUljE_ZNSN_ISO_Lb0ESR_SS_SU_SV_SZ_EES10_S11_S12_S13_S17_S18_S19_S1C_S1D_jS1E_jS1F_S1F_jjS1H_bEUljE0_EEES10_S11_S12_S19_S1D_S1F_T6_T7_T9_mT8_S1H_bDpT10_ENKUlT_T0_E_clISt17integral_constantIbLb1EES1V_EEDaS1Q_S1R_EUlS1Q_E_NS1_11comp_targetILNS1_3genE9ELNS1_11target_archE1100ELNS1_3gpuE3ELNS1_3repE0EEENS1_30default_config_static_selectorELNS0_4arch9wavefront6targetE1EEEvS13_,comdat
.Lfunc_end1792:
	.size	_ZN7rocprim17ROCPRIM_400000_NS6detail17trampoline_kernelINS0_13select_configILj256ELj13ELNS0_17block_load_methodE3ELS4_3ELS4_3ELNS0_20block_scan_algorithmE0ELj4294967295EEENS1_25partition_config_selectorILNS1_17partition_subalgoE4EjNS0_10empty_typeEbEEZZNS1_14partition_implILS8_4ELb0ES6_15HIP_vector_typeIjLj2EENS0_17counting_iteratorIjlEEPS9_SG_NS0_5tupleIJPjSI_NS0_16reverse_iteratorISI_EEEEENSH_IJSG_SG_SG_EEES9_SI_JZNS1_25segmented_radix_sort_implINS0_14default_configELb0EPK6__halfPSP_PKlPlN2at6native12_GLOBAL__N_18offset_tEEE10hipError_tPvRmT1_PNSt15iterator_traitsIS13_E10value_typeET2_T3_PNS14_IS19_E10value_typeET4_jRbjT5_S1F_jjP12ihipStream_tbEUljE_ZNSN_ISO_Lb0ESR_SS_SU_SV_SZ_EES10_S11_S12_S13_S17_S18_S19_S1C_S1D_jS1E_jS1F_S1F_jjS1H_bEUljE0_EEES10_S11_S12_S19_S1D_S1F_T6_T7_T9_mT8_S1H_bDpT10_ENKUlT_T0_E_clISt17integral_constantIbLb1EES1V_EEDaS1Q_S1R_EUlS1Q_E_NS1_11comp_targetILNS1_3genE9ELNS1_11target_archE1100ELNS1_3gpuE3ELNS1_3repE0EEENS1_30default_config_static_selectorELNS0_4arch9wavefront6targetE1EEEvS13_, .Lfunc_end1792-_ZN7rocprim17ROCPRIM_400000_NS6detail17trampoline_kernelINS0_13select_configILj256ELj13ELNS0_17block_load_methodE3ELS4_3ELS4_3ELNS0_20block_scan_algorithmE0ELj4294967295EEENS1_25partition_config_selectorILNS1_17partition_subalgoE4EjNS0_10empty_typeEbEEZZNS1_14partition_implILS8_4ELb0ES6_15HIP_vector_typeIjLj2EENS0_17counting_iteratorIjlEEPS9_SG_NS0_5tupleIJPjSI_NS0_16reverse_iteratorISI_EEEEENSH_IJSG_SG_SG_EEES9_SI_JZNS1_25segmented_radix_sort_implINS0_14default_configELb0EPK6__halfPSP_PKlPlN2at6native12_GLOBAL__N_18offset_tEEE10hipError_tPvRmT1_PNSt15iterator_traitsIS13_E10value_typeET2_T3_PNS14_IS19_E10value_typeET4_jRbjT5_S1F_jjP12ihipStream_tbEUljE_ZNSN_ISO_Lb0ESR_SS_SU_SV_SZ_EES10_S11_S12_S13_S17_S18_S19_S1C_S1D_jS1E_jS1F_S1F_jjS1H_bEUljE0_EEES10_S11_S12_S19_S1D_S1F_T6_T7_T9_mT8_S1H_bDpT10_ENKUlT_T0_E_clISt17integral_constantIbLb1EES1V_EEDaS1Q_S1R_EUlS1Q_E_NS1_11comp_targetILNS1_3genE9ELNS1_11target_archE1100ELNS1_3gpuE3ELNS1_3repE0EEENS1_30default_config_static_selectorELNS0_4arch9wavefront6targetE1EEEvS13_
                                        ; -- End function
	.set _ZN7rocprim17ROCPRIM_400000_NS6detail17trampoline_kernelINS0_13select_configILj256ELj13ELNS0_17block_load_methodE3ELS4_3ELS4_3ELNS0_20block_scan_algorithmE0ELj4294967295EEENS1_25partition_config_selectorILNS1_17partition_subalgoE4EjNS0_10empty_typeEbEEZZNS1_14partition_implILS8_4ELb0ES6_15HIP_vector_typeIjLj2EENS0_17counting_iteratorIjlEEPS9_SG_NS0_5tupleIJPjSI_NS0_16reverse_iteratorISI_EEEEENSH_IJSG_SG_SG_EEES9_SI_JZNS1_25segmented_radix_sort_implINS0_14default_configELb0EPK6__halfPSP_PKlPlN2at6native12_GLOBAL__N_18offset_tEEE10hipError_tPvRmT1_PNSt15iterator_traitsIS13_E10value_typeET2_T3_PNS14_IS19_E10value_typeET4_jRbjT5_S1F_jjP12ihipStream_tbEUljE_ZNSN_ISO_Lb0ESR_SS_SU_SV_SZ_EES10_S11_S12_S13_S17_S18_S19_S1C_S1D_jS1E_jS1F_S1F_jjS1H_bEUljE0_EEES10_S11_S12_S19_S1D_S1F_T6_T7_T9_mT8_S1H_bDpT10_ENKUlT_T0_E_clISt17integral_constantIbLb1EES1V_EEDaS1Q_S1R_EUlS1Q_E_NS1_11comp_targetILNS1_3genE9ELNS1_11target_archE1100ELNS1_3gpuE3ELNS1_3repE0EEENS1_30default_config_static_selectorELNS0_4arch9wavefront6targetE1EEEvS13_.num_vgpr, 0
	.set _ZN7rocprim17ROCPRIM_400000_NS6detail17trampoline_kernelINS0_13select_configILj256ELj13ELNS0_17block_load_methodE3ELS4_3ELS4_3ELNS0_20block_scan_algorithmE0ELj4294967295EEENS1_25partition_config_selectorILNS1_17partition_subalgoE4EjNS0_10empty_typeEbEEZZNS1_14partition_implILS8_4ELb0ES6_15HIP_vector_typeIjLj2EENS0_17counting_iteratorIjlEEPS9_SG_NS0_5tupleIJPjSI_NS0_16reverse_iteratorISI_EEEEENSH_IJSG_SG_SG_EEES9_SI_JZNS1_25segmented_radix_sort_implINS0_14default_configELb0EPK6__halfPSP_PKlPlN2at6native12_GLOBAL__N_18offset_tEEE10hipError_tPvRmT1_PNSt15iterator_traitsIS13_E10value_typeET2_T3_PNS14_IS19_E10value_typeET4_jRbjT5_S1F_jjP12ihipStream_tbEUljE_ZNSN_ISO_Lb0ESR_SS_SU_SV_SZ_EES10_S11_S12_S13_S17_S18_S19_S1C_S1D_jS1E_jS1F_S1F_jjS1H_bEUljE0_EEES10_S11_S12_S19_S1D_S1F_T6_T7_T9_mT8_S1H_bDpT10_ENKUlT_T0_E_clISt17integral_constantIbLb1EES1V_EEDaS1Q_S1R_EUlS1Q_E_NS1_11comp_targetILNS1_3genE9ELNS1_11target_archE1100ELNS1_3gpuE3ELNS1_3repE0EEENS1_30default_config_static_selectorELNS0_4arch9wavefront6targetE1EEEvS13_.num_agpr, 0
	.set _ZN7rocprim17ROCPRIM_400000_NS6detail17trampoline_kernelINS0_13select_configILj256ELj13ELNS0_17block_load_methodE3ELS4_3ELS4_3ELNS0_20block_scan_algorithmE0ELj4294967295EEENS1_25partition_config_selectorILNS1_17partition_subalgoE4EjNS0_10empty_typeEbEEZZNS1_14partition_implILS8_4ELb0ES6_15HIP_vector_typeIjLj2EENS0_17counting_iteratorIjlEEPS9_SG_NS0_5tupleIJPjSI_NS0_16reverse_iteratorISI_EEEEENSH_IJSG_SG_SG_EEES9_SI_JZNS1_25segmented_radix_sort_implINS0_14default_configELb0EPK6__halfPSP_PKlPlN2at6native12_GLOBAL__N_18offset_tEEE10hipError_tPvRmT1_PNSt15iterator_traitsIS13_E10value_typeET2_T3_PNS14_IS19_E10value_typeET4_jRbjT5_S1F_jjP12ihipStream_tbEUljE_ZNSN_ISO_Lb0ESR_SS_SU_SV_SZ_EES10_S11_S12_S13_S17_S18_S19_S1C_S1D_jS1E_jS1F_S1F_jjS1H_bEUljE0_EEES10_S11_S12_S19_S1D_S1F_T6_T7_T9_mT8_S1H_bDpT10_ENKUlT_T0_E_clISt17integral_constantIbLb1EES1V_EEDaS1Q_S1R_EUlS1Q_E_NS1_11comp_targetILNS1_3genE9ELNS1_11target_archE1100ELNS1_3gpuE3ELNS1_3repE0EEENS1_30default_config_static_selectorELNS0_4arch9wavefront6targetE1EEEvS13_.numbered_sgpr, 0
	.set _ZN7rocprim17ROCPRIM_400000_NS6detail17trampoline_kernelINS0_13select_configILj256ELj13ELNS0_17block_load_methodE3ELS4_3ELS4_3ELNS0_20block_scan_algorithmE0ELj4294967295EEENS1_25partition_config_selectorILNS1_17partition_subalgoE4EjNS0_10empty_typeEbEEZZNS1_14partition_implILS8_4ELb0ES6_15HIP_vector_typeIjLj2EENS0_17counting_iteratorIjlEEPS9_SG_NS0_5tupleIJPjSI_NS0_16reverse_iteratorISI_EEEEENSH_IJSG_SG_SG_EEES9_SI_JZNS1_25segmented_radix_sort_implINS0_14default_configELb0EPK6__halfPSP_PKlPlN2at6native12_GLOBAL__N_18offset_tEEE10hipError_tPvRmT1_PNSt15iterator_traitsIS13_E10value_typeET2_T3_PNS14_IS19_E10value_typeET4_jRbjT5_S1F_jjP12ihipStream_tbEUljE_ZNSN_ISO_Lb0ESR_SS_SU_SV_SZ_EES10_S11_S12_S13_S17_S18_S19_S1C_S1D_jS1E_jS1F_S1F_jjS1H_bEUljE0_EEES10_S11_S12_S19_S1D_S1F_T6_T7_T9_mT8_S1H_bDpT10_ENKUlT_T0_E_clISt17integral_constantIbLb1EES1V_EEDaS1Q_S1R_EUlS1Q_E_NS1_11comp_targetILNS1_3genE9ELNS1_11target_archE1100ELNS1_3gpuE3ELNS1_3repE0EEENS1_30default_config_static_selectorELNS0_4arch9wavefront6targetE1EEEvS13_.num_named_barrier, 0
	.set _ZN7rocprim17ROCPRIM_400000_NS6detail17trampoline_kernelINS0_13select_configILj256ELj13ELNS0_17block_load_methodE3ELS4_3ELS4_3ELNS0_20block_scan_algorithmE0ELj4294967295EEENS1_25partition_config_selectorILNS1_17partition_subalgoE4EjNS0_10empty_typeEbEEZZNS1_14partition_implILS8_4ELb0ES6_15HIP_vector_typeIjLj2EENS0_17counting_iteratorIjlEEPS9_SG_NS0_5tupleIJPjSI_NS0_16reverse_iteratorISI_EEEEENSH_IJSG_SG_SG_EEES9_SI_JZNS1_25segmented_radix_sort_implINS0_14default_configELb0EPK6__halfPSP_PKlPlN2at6native12_GLOBAL__N_18offset_tEEE10hipError_tPvRmT1_PNSt15iterator_traitsIS13_E10value_typeET2_T3_PNS14_IS19_E10value_typeET4_jRbjT5_S1F_jjP12ihipStream_tbEUljE_ZNSN_ISO_Lb0ESR_SS_SU_SV_SZ_EES10_S11_S12_S13_S17_S18_S19_S1C_S1D_jS1E_jS1F_S1F_jjS1H_bEUljE0_EEES10_S11_S12_S19_S1D_S1F_T6_T7_T9_mT8_S1H_bDpT10_ENKUlT_T0_E_clISt17integral_constantIbLb1EES1V_EEDaS1Q_S1R_EUlS1Q_E_NS1_11comp_targetILNS1_3genE9ELNS1_11target_archE1100ELNS1_3gpuE3ELNS1_3repE0EEENS1_30default_config_static_selectorELNS0_4arch9wavefront6targetE1EEEvS13_.private_seg_size, 0
	.set _ZN7rocprim17ROCPRIM_400000_NS6detail17trampoline_kernelINS0_13select_configILj256ELj13ELNS0_17block_load_methodE3ELS4_3ELS4_3ELNS0_20block_scan_algorithmE0ELj4294967295EEENS1_25partition_config_selectorILNS1_17partition_subalgoE4EjNS0_10empty_typeEbEEZZNS1_14partition_implILS8_4ELb0ES6_15HIP_vector_typeIjLj2EENS0_17counting_iteratorIjlEEPS9_SG_NS0_5tupleIJPjSI_NS0_16reverse_iteratorISI_EEEEENSH_IJSG_SG_SG_EEES9_SI_JZNS1_25segmented_radix_sort_implINS0_14default_configELb0EPK6__halfPSP_PKlPlN2at6native12_GLOBAL__N_18offset_tEEE10hipError_tPvRmT1_PNSt15iterator_traitsIS13_E10value_typeET2_T3_PNS14_IS19_E10value_typeET4_jRbjT5_S1F_jjP12ihipStream_tbEUljE_ZNSN_ISO_Lb0ESR_SS_SU_SV_SZ_EES10_S11_S12_S13_S17_S18_S19_S1C_S1D_jS1E_jS1F_S1F_jjS1H_bEUljE0_EEES10_S11_S12_S19_S1D_S1F_T6_T7_T9_mT8_S1H_bDpT10_ENKUlT_T0_E_clISt17integral_constantIbLb1EES1V_EEDaS1Q_S1R_EUlS1Q_E_NS1_11comp_targetILNS1_3genE9ELNS1_11target_archE1100ELNS1_3gpuE3ELNS1_3repE0EEENS1_30default_config_static_selectorELNS0_4arch9wavefront6targetE1EEEvS13_.uses_vcc, 0
	.set _ZN7rocprim17ROCPRIM_400000_NS6detail17trampoline_kernelINS0_13select_configILj256ELj13ELNS0_17block_load_methodE3ELS4_3ELS4_3ELNS0_20block_scan_algorithmE0ELj4294967295EEENS1_25partition_config_selectorILNS1_17partition_subalgoE4EjNS0_10empty_typeEbEEZZNS1_14partition_implILS8_4ELb0ES6_15HIP_vector_typeIjLj2EENS0_17counting_iteratorIjlEEPS9_SG_NS0_5tupleIJPjSI_NS0_16reverse_iteratorISI_EEEEENSH_IJSG_SG_SG_EEES9_SI_JZNS1_25segmented_radix_sort_implINS0_14default_configELb0EPK6__halfPSP_PKlPlN2at6native12_GLOBAL__N_18offset_tEEE10hipError_tPvRmT1_PNSt15iterator_traitsIS13_E10value_typeET2_T3_PNS14_IS19_E10value_typeET4_jRbjT5_S1F_jjP12ihipStream_tbEUljE_ZNSN_ISO_Lb0ESR_SS_SU_SV_SZ_EES10_S11_S12_S13_S17_S18_S19_S1C_S1D_jS1E_jS1F_S1F_jjS1H_bEUljE0_EEES10_S11_S12_S19_S1D_S1F_T6_T7_T9_mT8_S1H_bDpT10_ENKUlT_T0_E_clISt17integral_constantIbLb1EES1V_EEDaS1Q_S1R_EUlS1Q_E_NS1_11comp_targetILNS1_3genE9ELNS1_11target_archE1100ELNS1_3gpuE3ELNS1_3repE0EEENS1_30default_config_static_selectorELNS0_4arch9wavefront6targetE1EEEvS13_.uses_flat_scratch, 0
	.set _ZN7rocprim17ROCPRIM_400000_NS6detail17trampoline_kernelINS0_13select_configILj256ELj13ELNS0_17block_load_methodE3ELS4_3ELS4_3ELNS0_20block_scan_algorithmE0ELj4294967295EEENS1_25partition_config_selectorILNS1_17partition_subalgoE4EjNS0_10empty_typeEbEEZZNS1_14partition_implILS8_4ELb0ES6_15HIP_vector_typeIjLj2EENS0_17counting_iteratorIjlEEPS9_SG_NS0_5tupleIJPjSI_NS0_16reverse_iteratorISI_EEEEENSH_IJSG_SG_SG_EEES9_SI_JZNS1_25segmented_radix_sort_implINS0_14default_configELb0EPK6__halfPSP_PKlPlN2at6native12_GLOBAL__N_18offset_tEEE10hipError_tPvRmT1_PNSt15iterator_traitsIS13_E10value_typeET2_T3_PNS14_IS19_E10value_typeET4_jRbjT5_S1F_jjP12ihipStream_tbEUljE_ZNSN_ISO_Lb0ESR_SS_SU_SV_SZ_EES10_S11_S12_S13_S17_S18_S19_S1C_S1D_jS1E_jS1F_S1F_jjS1H_bEUljE0_EEES10_S11_S12_S19_S1D_S1F_T6_T7_T9_mT8_S1H_bDpT10_ENKUlT_T0_E_clISt17integral_constantIbLb1EES1V_EEDaS1Q_S1R_EUlS1Q_E_NS1_11comp_targetILNS1_3genE9ELNS1_11target_archE1100ELNS1_3gpuE3ELNS1_3repE0EEENS1_30default_config_static_selectorELNS0_4arch9wavefront6targetE1EEEvS13_.has_dyn_sized_stack, 0
	.set _ZN7rocprim17ROCPRIM_400000_NS6detail17trampoline_kernelINS0_13select_configILj256ELj13ELNS0_17block_load_methodE3ELS4_3ELS4_3ELNS0_20block_scan_algorithmE0ELj4294967295EEENS1_25partition_config_selectorILNS1_17partition_subalgoE4EjNS0_10empty_typeEbEEZZNS1_14partition_implILS8_4ELb0ES6_15HIP_vector_typeIjLj2EENS0_17counting_iteratorIjlEEPS9_SG_NS0_5tupleIJPjSI_NS0_16reverse_iteratorISI_EEEEENSH_IJSG_SG_SG_EEES9_SI_JZNS1_25segmented_radix_sort_implINS0_14default_configELb0EPK6__halfPSP_PKlPlN2at6native12_GLOBAL__N_18offset_tEEE10hipError_tPvRmT1_PNSt15iterator_traitsIS13_E10value_typeET2_T3_PNS14_IS19_E10value_typeET4_jRbjT5_S1F_jjP12ihipStream_tbEUljE_ZNSN_ISO_Lb0ESR_SS_SU_SV_SZ_EES10_S11_S12_S13_S17_S18_S19_S1C_S1D_jS1E_jS1F_S1F_jjS1H_bEUljE0_EEES10_S11_S12_S19_S1D_S1F_T6_T7_T9_mT8_S1H_bDpT10_ENKUlT_T0_E_clISt17integral_constantIbLb1EES1V_EEDaS1Q_S1R_EUlS1Q_E_NS1_11comp_targetILNS1_3genE9ELNS1_11target_archE1100ELNS1_3gpuE3ELNS1_3repE0EEENS1_30default_config_static_selectorELNS0_4arch9wavefront6targetE1EEEvS13_.has_recursion, 0
	.set _ZN7rocprim17ROCPRIM_400000_NS6detail17trampoline_kernelINS0_13select_configILj256ELj13ELNS0_17block_load_methodE3ELS4_3ELS4_3ELNS0_20block_scan_algorithmE0ELj4294967295EEENS1_25partition_config_selectorILNS1_17partition_subalgoE4EjNS0_10empty_typeEbEEZZNS1_14partition_implILS8_4ELb0ES6_15HIP_vector_typeIjLj2EENS0_17counting_iteratorIjlEEPS9_SG_NS0_5tupleIJPjSI_NS0_16reverse_iteratorISI_EEEEENSH_IJSG_SG_SG_EEES9_SI_JZNS1_25segmented_radix_sort_implINS0_14default_configELb0EPK6__halfPSP_PKlPlN2at6native12_GLOBAL__N_18offset_tEEE10hipError_tPvRmT1_PNSt15iterator_traitsIS13_E10value_typeET2_T3_PNS14_IS19_E10value_typeET4_jRbjT5_S1F_jjP12ihipStream_tbEUljE_ZNSN_ISO_Lb0ESR_SS_SU_SV_SZ_EES10_S11_S12_S13_S17_S18_S19_S1C_S1D_jS1E_jS1F_S1F_jjS1H_bEUljE0_EEES10_S11_S12_S19_S1D_S1F_T6_T7_T9_mT8_S1H_bDpT10_ENKUlT_T0_E_clISt17integral_constantIbLb1EES1V_EEDaS1Q_S1R_EUlS1Q_E_NS1_11comp_targetILNS1_3genE9ELNS1_11target_archE1100ELNS1_3gpuE3ELNS1_3repE0EEENS1_30default_config_static_selectorELNS0_4arch9wavefront6targetE1EEEvS13_.has_indirect_call, 0
	.section	.AMDGPU.csdata,"",@progbits
; Kernel info:
; codeLenInByte = 0
; TotalNumSgprs: 4
; NumVgprs: 0
; ScratchSize: 0
; MemoryBound: 0
; FloatMode: 240
; IeeeMode: 1
; LDSByteSize: 0 bytes/workgroup (compile time only)
; SGPRBlocks: 0
; VGPRBlocks: 0
; NumSGPRsForWavesPerEU: 4
; NumVGPRsForWavesPerEU: 1
; Occupancy: 10
; WaveLimiterHint : 0
; COMPUTE_PGM_RSRC2:SCRATCH_EN: 0
; COMPUTE_PGM_RSRC2:USER_SGPR: 6
; COMPUTE_PGM_RSRC2:TRAP_HANDLER: 0
; COMPUTE_PGM_RSRC2:TGID_X_EN: 1
; COMPUTE_PGM_RSRC2:TGID_Y_EN: 0
; COMPUTE_PGM_RSRC2:TGID_Z_EN: 0
; COMPUTE_PGM_RSRC2:TIDIG_COMP_CNT: 0
	.section	.text._ZN7rocprim17ROCPRIM_400000_NS6detail17trampoline_kernelINS0_13select_configILj256ELj13ELNS0_17block_load_methodE3ELS4_3ELS4_3ELNS0_20block_scan_algorithmE0ELj4294967295EEENS1_25partition_config_selectorILNS1_17partition_subalgoE4EjNS0_10empty_typeEbEEZZNS1_14partition_implILS8_4ELb0ES6_15HIP_vector_typeIjLj2EENS0_17counting_iteratorIjlEEPS9_SG_NS0_5tupleIJPjSI_NS0_16reverse_iteratorISI_EEEEENSH_IJSG_SG_SG_EEES9_SI_JZNS1_25segmented_radix_sort_implINS0_14default_configELb0EPK6__halfPSP_PKlPlN2at6native12_GLOBAL__N_18offset_tEEE10hipError_tPvRmT1_PNSt15iterator_traitsIS13_E10value_typeET2_T3_PNS14_IS19_E10value_typeET4_jRbjT5_S1F_jjP12ihipStream_tbEUljE_ZNSN_ISO_Lb0ESR_SS_SU_SV_SZ_EES10_S11_S12_S13_S17_S18_S19_S1C_S1D_jS1E_jS1F_S1F_jjS1H_bEUljE0_EEES10_S11_S12_S19_S1D_S1F_T6_T7_T9_mT8_S1H_bDpT10_ENKUlT_T0_E_clISt17integral_constantIbLb1EES1V_EEDaS1Q_S1R_EUlS1Q_E_NS1_11comp_targetILNS1_3genE8ELNS1_11target_archE1030ELNS1_3gpuE2ELNS1_3repE0EEENS1_30default_config_static_selectorELNS0_4arch9wavefront6targetE1EEEvS13_,"axG",@progbits,_ZN7rocprim17ROCPRIM_400000_NS6detail17trampoline_kernelINS0_13select_configILj256ELj13ELNS0_17block_load_methodE3ELS4_3ELS4_3ELNS0_20block_scan_algorithmE0ELj4294967295EEENS1_25partition_config_selectorILNS1_17partition_subalgoE4EjNS0_10empty_typeEbEEZZNS1_14partition_implILS8_4ELb0ES6_15HIP_vector_typeIjLj2EENS0_17counting_iteratorIjlEEPS9_SG_NS0_5tupleIJPjSI_NS0_16reverse_iteratorISI_EEEEENSH_IJSG_SG_SG_EEES9_SI_JZNS1_25segmented_radix_sort_implINS0_14default_configELb0EPK6__halfPSP_PKlPlN2at6native12_GLOBAL__N_18offset_tEEE10hipError_tPvRmT1_PNSt15iterator_traitsIS13_E10value_typeET2_T3_PNS14_IS19_E10value_typeET4_jRbjT5_S1F_jjP12ihipStream_tbEUljE_ZNSN_ISO_Lb0ESR_SS_SU_SV_SZ_EES10_S11_S12_S13_S17_S18_S19_S1C_S1D_jS1E_jS1F_S1F_jjS1H_bEUljE0_EEES10_S11_S12_S19_S1D_S1F_T6_T7_T9_mT8_S1H_bDpT10_ENKUlT_T0_E_clISt17integral_constantIbLb1EES1V_EEDaS1Q_S1R_EUlS1Q_E_NS1_11comp_targetILNS1_3genE8ELNS1_11target_archE1030ELNS1_3gpuE2ELNS1_3repE0EEENS1_30default_config_static_selectorELNS0_4arch9wavefront6targetE1EEEvS13_,comdat
	.globl	_ZN7rocprim17ROCPRIM_400000_NS6detail17trampoline_kernelINS0_13select_configILj256ELj13ELNS0_17block_load_methodE3ELS4_3ELS4_3ELNS0_20block_scan_algorithmE0ELj4294967295EEENS1_25partition_config_selectorILNS1_17partition_subalgoE4EjNS0_10empty_typeEbEEZZNS1_14partition_implILS8_4ELb0ES6_15HIP_vector_typeIjLj2EENS0_17counting_iteratorIjlEEPS9_SG_NS0_5tupleIJPjSI_NS0_16reverse_iteratorISI_EEEEENSH_IJSG_SG_SG_EEES9_SI_JZNS1_25segmented_radix_sort_implINS0_14default_configELb0EPK6__halfPSP_PKlPlN2at6native12_GLOBAL__N_18offset_tEEE10hipError_tPvRmT1_PNSt15iterator_traitsIS13_E10value_typeET2_T3_PNS14_IS19_E10value_typeET4_jRbjT5_S1F_jjP12ihipStream_tbEUljE_ZNSN_ISO_Lb0ESR_SS_SU_SV_SZ_EES10_S11_S12_S13_S17_S18_S19_S1C_S1D_jS1E_jS1F_S1F_jjS1H_bEUljE0_EEES10_S11_S12_S19_S1D_S1F_T6_T7_T9_mT8_S1H_bDpT10_ENKUlT_T0_E_clISt17integral_constantIbLb1EES1V_EEDaS1Q_S1R_EUlS1Q_E_NS1_11comp_targetILNS1_3genE8ELNS1_11target_archE1030ELNS1_3gpuE2ELNS1_3repE0EEENS1_30default_config_static_selectorELNS0_4arch9wavefront6targetE1EEEvS13_ ; -- Begin function _ZN7rocprim17ROCPRIM_400000_NS6detail17trampoline_kernelINS0_13select_configILj256ELj13ELNS0_17block_load_methodE3ELS4_3ELS4_3ELNS0_20block_scan_algorithmE0ELj4294967295EEENS1_25partition_config_selectorILNS1_17partition_subalgoE4EjNS0_10empty_typeEbEEZZNS1_14partition_implILS8_4ELb0ES6_15HIP_vector_typeIjLj2EENS0_17counting_iteratorIjlEEPS9_SG_NS0_5tupleIJPjSI_NS0_16reverse_iteratorISI_EEEEENSH_IJSG_SG_SG_EEES9_SI_JZNS1_25segmented_radix_sort_implINS0_14default_configELb0EPK6__halfPSP_PKlPlN2at6native12_GLOBAL__N_18offset_tEEE10hipError_tPvRmT1_PNSt15iterator_traitsIS13_E10value_typeET2_T3_PNS14_IS19_E10value_typeET4_jRbjT5_S1F_jjP12ihipStream_tbEUljE_ZNSN_ISO_Lb0ESR_SS_SU_SV_SZ_EES10_S11_S12_S13_S17_S18_S19_S1C_S1D_jS1E_jS1F_S1F_jjS1H_bEUljE0_EEES10_S11_S12_S19_S1D_S1F_T6_T7_T9_mT8_S1H_bDpT10_ENKUlT_T0_E_clISt17integral_constantIbLb1EES1V_EEDaS1Q_S1R_EUlS1Q_E_NS1_11comp_targetILNS1_3genE8ELNS1_11target_archE1030ELNS1_3gpuE2ELNS1_3repE0EEENS1_30default_config_static_selectorELNS0_4arch9wavefront6targetE1EEEvS13_
	.p2align	8
	.type	_ZN7rocprim17ROCPRIM_400000_NS6detail17trampoline_kernelINS0_13select_configILj256ELj13ELNS0_17block_load_methodE3ELS4_3ELS4_3ELNS0_20block_scan_algorithmE0ELj4294967295EEENS1_25partition_config_selectorILNS1_17partition_subalgoE4EjNS0_10empty_typeEbEEZZNS1_14partition_implILS8_4ELb0ES6_15HIP_vector_typeIjLj2EENS0_17counting_iteratorIjlEEPS9_SG_NS0_5tupleIJPjSI_NS0_16reverse_iteratorISI_EEEEENSH_IJSG_SG_SG_EEES9_SI_JZNS1_25segmented_radix_sort_implINS0_14default_configELb0EPK6__halfPSP_PKlPlN2at6native12_GLOBAL__N_18offset_tEEE10hipError_tPvRmT1_PNSt15iterator_traitsIS13_E10value_typeET2_T3_PNS14_IS19_E10value_typeET4_jRbjT5_S1F_jjP12ihipStream_tbEUljE_ZNSN_ISO_Lb0ESR_SS_SU_SV_SZ_EES10_S11_S12_S13_S17_S18_S19_S1C_S1D_jS1E_jS1F_S1F_jjS1H_bEUljE0_EEES10_S11_S12_S19_S1D_S1F_T6_T7_T9_mT8_S1H_bDpT10_ENKUlT_T0_E_clISt17integral_constantIbLb1EES1V_EEDaS1Q_S1R_EUlS1Q_E_NS1_11comp_targetILNS1_3genE8ELNS1_11target_archE1030ELNS1_3gpuE2ELNS1_3repE0EEENS1_30default_config_static_selectorELNS0_4arch9wavefront6targetE1EEEvS13_,@function
_ZN7rocprim17ROCPRIM_400000_NS6detail17trampoline_kernelINS0_13select_configILj256ELj13ELNS0_17block_load_methodE3ELS4_3ELS4_3ELNS0_20block_scan_algorithmE0ELj4294967295EEENS1_25partition_config_selectorILNS1_17partition_subalgoE4EjNS0_10empty_typeEbEEZZNS1_14partition_implILS8_4ELb0ES6_15HIP_vector_typeIjLj2EENS0_17counting_iteratorIjlEEPS9_SG_NS0_5tupleIJPjSI_NS0_16reverse_iteratorISI_EEEEENSH_IJSG_SG_SG_EEES9_SI_JZNS1_25segmented_radix_sort_implINS0_14default_configELb0EPK6__halfPSP_PKlPlN2at6native12_GLOBAL__N_18offset_tEEE10hipError_tPvRmT1_PNSt15iterator_traitsIS13_E10value_typeET2_T3_PNS14_IS19_E10value_typeET4_jRbjT5_S1F_jjP12ihipStream_tbEUljE_ZNSN_ISO_Lb0ESR_SS_SU_SV_SZ_EES10_S11_S12_S13_S17_S18_S19_S1C_S1D_jS1E_jS1F_S1F_jjS1H_bEUljE0_EEES10_S11_S12_S19_S1D_S1F_T6_T7_T9_mT8_S1H_bDpT10_ENKUlT_T0_E_clISt17integral_constantIbLb1EES1V_EEDaS1Q_S1R_EUlS1Q_E_NS1_11comp_targetILNS1_3genE8ELNS1_11target_archE1030ELNS1_3gpuE2ELNS1_3repE0EEENS1_30default_config_static_selectorELNS0_4arch9wavefront6targetE1EEEvS13_: ; @_ZN7rocprim17ROCPRIM_400000_NS6detail17trampoline_kernelINS0_13select_configILj256ELj13ELNS0_17block_load_methodE3ELS4_3ELS4_3ELNS0_20block_scan_algorithmE0ELj4294967295EEENS1_25partition_config_selectorILNS1_17partition_subalgoE4EjNS0_10empty_typeEbEEZZNS1_14partition_implILS8_4ELb0ES6_15HIP_vector_typeIjLj2EENS0_17counting_iteratorIjlEEPS9_SG_NS0_5tupleIJPjSI_NS0_16reverse_iteratorISI_EEEEENSH_IJSG_SG_SG_EEES9_SI_JZNS1_25segmented_radix_sort_implINS0_14default_configELb0EPK6__halfPSP_PKlPlN2at6native12_GLOBAL__N_18offset_tEEE10hipError_tPvRmT1_PNSt15iterator_traitsIS13_E10value_typeET2_T3_PNS14_IS19_E10value_typeET4_jRbjT5_S1F_jjP12ihipStream_tbEUljE_ZNSN_ISO_Lb0ESR_SS_SU_SV_SZ_EES10_S11_S12_S13_S17_S18_S19_S1C_S1D_jS1E_jS1F_S1F_jjS1H_bEUljE0_EEES10_S11_S12_S19_S1D_S1F_T6_T7_T9_mT8_S1H_bDpT10_ENKUlT_T0_E_clISt17integral_constantIbLb1EES1V_EEDaS1Q_S1R_EUlS1Q_E_NS1_11comp_targetILNS1_3genE8ELNS1_11target_archE1030ELNS1_3gpuE2ELNS1_3repE0EEENS1_30default_config_static_selectorELNS0_4arch9wavefront6targetE1EEEvS13_
; %bb.0:
	.section	.rodata,"a",@progbits
	.p2align	6, 0x0
	.amdhsa_kernel _ZN7rocprim17ROCPRIM_400000_NS6detail17trampoline_kernelINS0_13select_configILj256ELj13ELNS0_17block_load_methodE3ELS4_3ELS4_3ELNS0_20block_scan_algorithmE0ELj4294967295EEENS1_25partition_config_selectorILNS1_17partition_subalgoE4EjNS0_10empty_typeEbEEZZNS1_14partition_implILS8_4ELb0ES6_15HIP_vector_typeIjLj2EENS0_17counting_iteratorIjlEEPS9_SG_NS0_5tupleIJPjSI_NS0_16reverse_iteratorISI_EEEEENSH_IJSG_SG_SG_EEES9_SI_JZNS1_25segmented_radix_sort_implINS0_14default_configELb0EPK6__halfPSP_PKlPlN2at6native12_GLOBAL__N_18offset_tEEE10hipError_tPvRmT1_PNSt15iterator_traitsIS13_E10value_typeET2_T3_PNS14_IS19_E10value_typeET4_jRbjT5_S1F_jjP12ihipStream_tbEUljE_ZNSN_ISO_Lb0ESR_SS_SU_SV_SZ_EES10_S11_S12_S13_S17_S18_S19_S1C_S1D_jS1E_jS1F_S1F_jjS1H_bEUljE0_EEES10_S11_S12_S19_S1D_S1F_T6_T7_T9_mT8_S1H_bDpT10_ENKUlT_T0_E_clISt17integral_constantIbLb1EES1V_EEDaS1Q_S1R_EUlS1Q_E_NS1_11comp_targetILNS1_3genE8ELNS1_11target_archE1030ELNS1_3gpuE2ELNS1_3repE0EEENS1_30default_config_static_selectorELNS0_4arch9wavefront6targetE1EEEvS13_
		.amdhsa_group_segment_fixed_size 0
		.amdhsa_private_segment_fixed_size 0
		.amdhsa_kernarg_size 184
		.amdhsa_user_sgpr_count 6
		.amdhsa_user_sgpr_private_segment_buffer 1
		.amdhsa_user_sgpr_dispatch_ptr 0
		.amdhsa_user_sgpr_queue_ptr 0
		.amdhsa_user_sgpr_kernarg_segment_ptr 1
		.amdhsa_user_sgpr_dispatch_id 0
		.amdhsa_user_sgpr_flat_scratch_init 0
		.amdhsa_user_sgpr_private_segment_size 0
		.amdhsa_uses_dynamic_stack 0
		.amdhsa_system_sgpr_private_segment_wavefront_offset 0
		.amdhsa_system_sgpr_workgroup_id_x 1
		.amdhsa_system_sgpr_workgroup_id_y 0
		.amdhsa_system_sgpr_workgroup_id_z 0
		.amdhsa_system_sgpr_workgroup_info 0
		.amdhsa_system_vgpr_workitem_id 0
		.amdhsa_next_free_vgpr 1
		.amdhsa_next_free_sgpr 0
		.amdhsa_reserve_vcc 0
		.amdhsa_reserve_flat_scratch 0
		.amdhsa_float_round_mode_32 0
		.amdhsa_float_round_mode_16_64 0
		.amdhsa_float_denorm_mode_32 3
		.amdhsa_float_denorm_mode_16_64 3
		.amdhsa_dx10_clamp 1
		.amdhsa_ieee_mode 1
		.amdhsa_fp16_overflow 0
		.amdhsa_exception_fp_ieee_invalid_op 0
		.amdhsa_exception_fp_denorm_src 0
		.amdhsa_exception_fp_ieee_div_zero 0
		.amdhsa_exception_fp_ieee_overflow 0
		.amdhsa_exception_fp_ieee_underflow 0
		.amdhsa_exception_fp_ieee_inexact 0
		.amdhsa_exception_int_div_zero 0
	.end_amdhsa_kernel
	.section	.text._ZN7rocprim17ROCPRIM_400000_NS6detail17trampoline_kernelINS0_13select_configILj256ELj13ELNS0_17block_load_methodE3ELS4_3ELS4_3ELNS0_20block_scan_algorithmE0ELj4294967295EEENS1_25partition_config_selectorILNS1_17partition_subalgoE4EjNS0_10empty_typeEbEEZZNS1_14partition_implILS8_4ELb0ES6_15HIP_vector_typeIjLj2EENS0_17counting_iteratorIjlEEPS9_SG_NS0_5tupleIJPjSI_NS0_16reverse_iteratorISI_EEEEENSH_IJSG_SG_SG_EEES9_SI_JZNS1_25segmented_radix_sort_implINS0_14default_configELb0EPK6__halfPSP_PKlPlN2at6native12_GLOBAL__N_18offset_tEEE10hipError_tPvRmT1_PNSt15iterator_traitsIS13_E10value_typeET2_T3_PNS14_IS19_E10value_typeET4_jRbjT5_S1F_jjP12ihipStream_tbEUljE_ZNSN_ISO_Lb0ESR_SS_SU_SV_SZ_EES10_S11_S12_S13_S17_S18_S19_S1C_S1D_jS1E_jS1F_S1F_jjS1H_bEUljE0_EEES10_S11_S12_S19_S1D_S1F_T6_T7_T9_mT8_S1H_bDpT10_ENKUlT_T0_E_clISt17integral_constantIbLb1EES1V_EEDaS1Q_S1R_EUlS1Q_E_NS1_11comp_targetILNS1_3genE8ELNS1_11target_archE1030ELNS1_3gpuE2ELNS1_3repE0EEENS1_30default_config_static_selectorELNS0_4arch9wavefront6targetE1EEEvS13_,"axG",@progbits,_ZN7rocprim17ROCPRIM_400000_NS6detail17trampoline_kernelINS0_13select_configILj256ELj13ELNS0_17block_load_methodE3ELS4_3ELS4_3ELNS0_20block_scan_algorithmE0ELj4294967295EEENS1_25partition_config_selectorILNS1_17partition_subalgoE4EjNS0_10empty_typeEbEEZZNS1_14partition_implILS8_4ELb0ES6_15HIP_vector_typeIjLj2EENS0_17counting_iteratorIjlEEPS9_SG_NS0_5tupleIJPjSI_NS0_16reverse_iteratorISI_EEEEENSH_IJSG_SG_SG_EEES9_SI_JZNS1_25segmented_radix_sort_implINS0_14default_configELb0EPK6__halfPSP_PKlPlN2at6native12_GLOBAL__N_18offset_tEEE10hipError_tPvRmT1_PNSt15iterator_traitsIS13_E10value_typeET2_T3_PNS14_IS19_E10value_typeET4_jRbjT5_S1F_jjP12ihipStream_tbEUljE_ZNSN_ISO_Lb0ESR_SS_SU_SV_SZ_EES10_S11_S12_S13_S17_S18_S19_S1C_S1D_jS1E_jS1F_S1F_jjS1H_bEUljE0_EEES10_S11_S12_S19_S1D_S1F_T6_T7_T9_mT8_S1H_bDpT10_ENKUlT_T0_E_clISt17integral_constantIbLb1EES1V_EEDaS1Q_S1R_EUlS1Q_E_NS1_11comp_targetILNS1_3genE8ELNS1_11target_archE1030ELNS1_3gpuE2ELNS1_3repE0EEENS1_30default_config_static_selectorELNS0_4arch9wavefront6targetE1EEEvS13_,comdat
.Lfunc_end1793:
	.size	_ZN7rocprim17ROCPRIM_400000_NS6detail17trampoline_kernelINS0_13select_configILj256ELj13ELNS0_17block_load_methodE3ELS4_3ELS4_3ELNS0_20block_scan_algorithmE0ELj4294967295EEENS1_25partition_config_selectorILNS1_17partition_subalgoE4EjNS0_10empty_typeEbEEZZNS1_14partition_implILS8_4ELb0ES6_15HIP_vector_typeIjLj2EENS0_17counting_iteratorIjlEEPS9_SG_NS0_5tupleIJPjSI_NS0_16reverse_iteratorISI_EEEEENSH_IJSG_SG_SG_EEES9_SI_JZNS1_25segmented_radix_sort_implINS0_14default_configELb0EPK6__halfPSP_PKlPlN2at6native12_GLOBAL__N_18offset_tEEE10hipError_tPvRmT1_PNSt15iterator_traitsIS13_E10value_typeET2_T3_PNS14_IS19_E10value_typeET4_jRbjT5_S1F_jjP12ihipStream_tbEUljE_ZNSN_ISO_Lb0ESR_SS_SU_SV_SZ_EES10_S11_S12_S13_S17_S18_S19_S1C_S1D_jS1E_jS1F_S1F_jjS1H_bEUljE0_EEES10_S11_S12_S19_S1D_S1F_T6_T7_T9_mT8_S1H_bDpT10_ENKUlT_T0_E_clISt17integral_constantIbLb1EES1V_EEDaS1Q_S1R_EUlS1Q_E_NS1_11comp_targetILNS1_3genE8ELNS1_11target_archE1030ELNS1_3gpuE2ELNS1_3repE0EEENS1_30default_config_static_selectorELNS0_4arch9wavefront6targetE1EEEvS13_, .Lfunc_end1793-_ZN7rocprim17ROCPRIM_400000_NS6detail17trampoline_kernelINS0_13select_configILj256ELj13ELNS0_17block_load_methodE3ELS4_3ELS4_3ELNS0_20block_scan_algorithmE0ELj4294967295EEENS1_25partition_config_selectorILNS1_17partition_subalgoE4EjNS0_10empty_typeEbEEZZNS1_14partition_implILS8_4ELb0ES6_15HIP_vector_typeIjLj2EENS0_17counting_iteratorIjlEEPS9_SG_NS0_5tupleIJPjSI_NS0_16reverse_iteratorISI_EEEEENSH_IJSG_SG_SG_EEES9_SI_JZNS1_25segmented_radix_sort_implINS0_14default_configELb0EPK6__halfPSP_PKlPlN2at6native12_GLOBAL__N_18offset_tEEE10hipError_tPvRmT1_PNSt15iterator_traitsIS13_E10value_typeET2_T3_PNS14_IS19_E10value_typeET4_jRbjT5_S1F_jjP12ihipStream_tbEUljE_ZNSN_ISO_Lb0ESR_SS_SU_SV_SZ_EES10_S11_S12_S13_S17_S18_S19_S1C_S1D_jS1E_jS1F_S1F_jjS1H_bEUljE0_EEES10_S11_S12_S19_S1D_S1F_T6_T7_T9_mT8_S1H_bDpT10_ENKUlT_T0_E_clISt17integral_constantIbLb1EES1V_EEDaS1Q_S1R_EUlS1Q_E_NS1_11comp_targetILNS1_3genE8ELNS1_11target_archE1030ELNS1_3gpuE2ELNS1_3repE0EEENS1_30default_config_static_selectorELNS0_4arch9wavefront6targetE1EEEvS13_
                                        ; -- End function
	.set _ZN7rocprim17ROCPRIM_400000_NS6detail17trampoline_kernelINS0_13select_configILj256ELj13ELNS0_17block_load_methodE3ELS4_3ELS4_3ELNS0_20block_scan_algorithmE0ELj4294967295EEENS1_25partition_config_selectorILNS1_17partition_subalgoE4EjNS0_10empty_typeEbEEZZNS1_14partition_implILS8_4ELb0ES6_15HIP_vector_typeIjLj2EENS0_17counting_iteratorIjlEEPS9_SG_NS0_5tupleIJPjSI_NS0_16reverse_iteratorISI_EEEEENSH_IJSG_SG_SG_EEES9_SI_JZNS1_25segmented_radix_sort_implINS0_14default_configELb0EPK6__halfPSP_PKlPlN2at6native12_GLOBAL__N_18offset_tEEE10hipError_tPvRmT1_PNSt15iterator_traitsIS13_E10value_typeET2_T3_PNS14_IS19_E10value_typeET4_jRbjT5_S1F_jjP12ihipStream_tbEUljE_ZNSN_ISO_Lb0ESR_SS_SU_SV_SZ_EES10_S11_S12_S13_S17_S18_S19_S1C_S1D_jS1E_jS1F_S1F_jjS1H_bEUljE0_EEES10_S11_S12_S19_S1D_S1F_T6_T7_T9_mT8_S1H_bDpT10_ENKUlT_T0_E_clISt17integral_constantIbLb1EES1V_EEDaS1Q_S1R_EUlS1Q_E_NS1_11comp_targetILNS1_3genE8ELNS1_11target_archE1030ELNS1_3gpuE2ELNS1_3repE0EEENS1_30default_config_static_selectorELNS0_4arch9wavefront6targetE1EEEvS13_.num_vgpr, 0
	.set _ZN7rocprim17ROCPRIM_400000_NS6detail17trampoline_kernelINS0_13select_configILj256ELj13ELNS0_17block_load_methodE3ELS4_3ELS4_3ELNS0_20block_scan_algorithmE0ELj4294967295EEENS1_25partition_config_selectorILNS1_17partition_subalgoE4EjNS0_10empty_typeEbEEZZNS1_14partition_implILS8_4ELb0ES6_15HIP_vector_typeIjLj2EENS0_17counting_iteratorIjlEEPS9_SG_NS0_5tupleIJPjSI_NS0_16reverse_iteratorISI_EEEEENSH_IJSG_SG_SG_EEES9_SI_JZNS1_25segmented_radix_sort_implINS0_14default_configELb0EPK6__halfPSP_PKlPlN2at6native12_GLOBAL__N_18offset_tEEE10hipError_tPvRmT1_PNSt15iterator_traitsIS13_E10value_typeET2_T3_PNS14_IS19_E10value_typeET4_jRbjT5_S1F_jjP12ihipStream_tbEUljE_ZNSN_ISO_Lb0ESR_SS_SU_SV_SZ_EES10_S11_S12_S13_S17_S18_S19_S1C_S1D_jS1E_jS1F_S1F_jjS1H_bEUljE0_EEES10_S11_S12_S19_S1D_S1F_T6_T7_T9_mT8_S1H_bDpT10_ENKUlT_T0_E_clISt17integral_constantIbLb1EES1V_EEDaS1Q_S1R_EUlS1Q_E_NS1_11comp_targetILNS1_3genE8ELNS1_11target_archE1030ELNS1_3gpuE2ELNS1_3repE0EEENS1_30default_config_static_selectorELNS0_4arch9wavefront6targetE1EEEvS13_.num_agpr, 0
	.set _ZN7rocprim17ROCPRIM_400000_NS6detail17trampoline_kernelINS0_13select_configILj256ELj13ELNS0_17block_load_methodE3ELS4_3ELS4_3ELNS0_20block_scan_algorithmE0ELj4294967295EEENS1_25partition_config_selectorILNS1_17partition_subalgoE4EjNS0_10empty_typeEbEEZZNS1_14partition_implILS8_4ELb0ES6_15HIP_vector_typeIjLj2EENS0_17counting_iteratorIjlEEPS9_SG_NS0_5tupleIJPjSI_NS0_16reverse_iteratorISI_EEEEENSH_IJSG_SG_SG_EEES9_SI_JZNS1_25segmented_radix_sort_implINS0_14default_configELb0EPK6__halfPSP_PKlPlN2at6native12_GLOBAL__N_18offset_tEEE10hipError_tPvRmT1_PNSt15iterator_traitsIS13_E10value_typeET2_T3_PNS14_IS19_E10value_typeET4_jRbjT5_S1F_jjP12ihipStream_tbEUljE_ZNSN_ISO_Lb0ESR_SS_SU_SV_SZ_EES10_S11_S12_S13_S17_S18_S19_S1C_S1D_jS1E_jS1F_S1F_jjS1H_bEUljE0_EEES10_S11_S12_S19_S1D_S1F_T6_T7_T9_mT8_S1H_bDpT10_ENKUlT_T0_E_clISt17integral_constantIbLb1EES1V_EEDaS1Q_S1R_EUlS1Q_E_NS1_11comp_targetILNS1_3genE8ELNS1_11target_archE1030ELNS1_3gpuE2ELNS1_3repE0EEENS1_30default_config_static_selectorELNS0_4arch9wavefront6targetE1EEEvS13_.numbered_sgpr, 0
	.set _ZN7rocprim17ROCPRIM_400000_NS6detail17trampoline_kernelINS0_13select_configILj256ELj13ELNS0_17block_load_methodE3ELS4_3ELS4_3ELNS0_20block_scan_algorithmE0ELj4294967295EEENS1_25partition_config_selectorILNS1_17partition_subalgoE4EjNS0_10empty_typeEbEEZZNS1_14partition_implILS8_4ELb0ES6_15HIP_vector_typeIjLj2EENS0_17counting_iteratorIjlEEPS9_SG_NS0_5tupleIJPjSI_NS0_16reverse_iteratorISI_EEEEENSH_IJSG_SG_SG_EEES9_SI_JZNS1_25segmented_radix_sort_implINS0_14default_configELb0EPK6__halfPSP_PKlPlN2at6native12_GLOBAL__N_18offset_tEEE10hipError_tPvRmT1_PNSt15iterator_traitsIS13_E10value_typeET2_T3_PNS14_IS19_E10value_typeET4_jRbjT5_S1F_jjP12ihipStream_tbEUljE_ZNSN_ISO_Lb0ESR_SS_SU_SV_SZ_EES10_S11_S12_S13_S17_S18_S19_S1C_S1D_jS1E_jS1F_S1F_jjS1H_bEUljE0_EEES10_S11_S12_S19_S1D_S1F_T6_T7_T9_mT8_S1H_bDpT10_ENKUlT_T0_E_clISt17integral_constantIbLb1EES1V_EEDaS1Q_S1R_EUlS1Q_E_NS1_11comp_targetILNS1_3genE8ELNS1_11target_archE1030ELNS1_3gpuE2ELNS1_3repE0EEENS1_30default_config_static_selectorELNS0_4arch9wavefront6targetE1EEEvS13_.num_named_barrier, 0
	.set _ZN7rocprim17ROCPRIM_400000_NS6detail17trampoline_kernelINS0_13select_configILj256ELj13ELNS0_17block_load_methodE3ELS4_3ELS4_3ELNS0_20block_scan_algorithmE0ELj4294967295EEENS1_25partition_config_selectorILNS1_17partition_subalgoE4EjNS0_10empty_typeEbEEZZNS1_14partition_implILS8_4ELb0ES6_15HIP_vector_typeIjLj2EENS0_17counting_iteratorIjlEEPS9_SG_NS0_5tupleIJPjSI_NS0_16reverse_iteratorISI_EEEEENSH_IJSG_SG_SG_EEES9_SI_JZNS1_25segmented_radix_sort_implINS0_14default_configELb0EPK6__halfPSP_PKlPlN2at6native12_GLOBAL__N_18offset_tEEE10hipError_tPvRmT1_PNSt15iterator_traitsIS13_E10value_typeET2_T3_PNS14_IS19_E10value_typeET4_jRbjT5_S1F_jjP12ihipStream_tbEUljE_ZNSN_ISO_Lb0ESR_SS_SU_SV_SZ_EES10_S11_S12_S13_S17_S18_S19_S1C_S1D_jS1E_jS1F_S1F_jjS1H_bEUljE0_EEES10_S11_S12_S19_S1D_S1F_T6_T7_T9_mT8_S1H_bDpT10_ENKUlT_T0_E_clISt17integral_constantIbLb1EES1V_EEDaS1Q_S1R_EUlS1Q_E_NS1_11comp_targetILNS1_3genE8ELNS1_11target_archE1030ELNS1_3gpuE2ELNS1_3repE0EEENS1_30default_config_static_selectorELNS0_4arch9wavefront6targetE1EEEvS13_.private_seg_size, 0
	.set _ZN7rocprim17ROCPRIM_400000_NS6detail17trampoline_kernelINS0_13select_configILj256ELj13ELNS0_17block_load_methodE3ELS4_3ELS4_3ELNS0_20block_scan_algorithmE0ELj4294967295EEENS1_25partition_config_selectorILNS1_17partition_subalgoE4EjNS0_10empty_typeEbEEZZNS1_14partition_implILS8_4ELb0ES6_15HIP_vector_typeIjLj2EENS0_17counting_iteratorIjlEEPS9_SG_NS0_5tupleIJPjSI_NS0_16reverse_iteratorISI_EEEEENSH_IJSG_SG_SG_EEES9_SI_JZNS1_25segmented_radix_sort_implINS0_14default_configELb0EPK6__halfPSP_PKlPlN2at6native12_GLOBAL__N_18offset_tEEE10hipError_tPvRmT1_PNSt15iterator_traitsIS13_E10value_typeET2_T3_PNS14_IS19_E10value_typeET4_jRbjT5_S1F_jjP12ihipStream_tbEUljE_ZNSN_ISO_Lb0ESR_SS_SU_SV_SZ_EES10_S11_S12_S13_S17_S18_S19_S1C_S1D_jS1E_jS1F_S1F_jjS1H_bEUljE0_EEES10_S11_S12_S19_S1D_S1F_T6_T7_T9_mT8_S1H_bDpT10_ENKUlT_T0_E_clISt17integral_constantIbLb1EES1V_EEDaS1Q_S1R_EUlS1Q_E_NS1_11comp_targetILNS1_3genE8ELNS1_11target_archE1030ELNS1_3gpuE2ELNS1_3repE0EEENS1_30default_config_static_selectorELNS0_4arch9wavefront6targetE1EEEvS13_.uses_vcc, 0
	.set _ZN7rocprim17ROCPRIM_400000_NS6detail17trampoline_kernelINS0_13select_configILj256ELj13ELNS0_17block_load_methodE3ELS4_3ELS4_3ELNS0_20block_scan_algorithmE0ELj4294967295EEENS1_25partition_config_selectorILNS1_17partition_subalgoE4EjNS0_10empty_typeEbEEZZNS1_14partition_implILS8_4ELb0ES6_15HIP_vector_typeIjLj2EENS0_17counting_iteratorIjlEEPS9_SG_NS0_5tupleIJPjSI_NS0_16reverse_iteratorISI_EEEEENSH_IJSG_SG_SG_EEES9_SI_JZNS1_25segmented_radix_sort_implINS0_14default_configELb0EPK6__halfPSP_PKlPlN2at6native12_GLOBAL__N_18offset_tEEE10hipError_tPvRmT1_PNSt15iterator_traitsIS13_E10value_typeET2_T3_PNS14_IS19_E10value_typeET4_jRbjT5_S1F_jjP12ihipStream_tbEUljE_ZNSN_ISO_Lb0ESR_SS_SU_SV_SZ_EES10_S11_S12_S13_S17_S18_S19_S1C_S1D_jS1E_jS1F_S1F_jjS1H_bEUljE0_EEES10_S11_S12_S19_S1D_S1F_T6_T7_T9_mT8_S1H_bDpT10_ENKUlT_T0_E_clISt17integral_constantIbLb1EES1V_EEDaS1Q_S1R_EUlS1Q_E_NS1_11comp_targetILNS1_3genE8ELNS1_11target_archE1030ELNS1_3gpuE2ELNS1_3repE0EEENS1_30default_config_static_selectorELNS0_4arch9wavefront6targetE1EEEvS13_.uses_flat_scratch, 0
	.set _ZN7rocprim17ROCPRIM_400000_NS6detail17trampoline_kernelINS0_13select_configILj256ELj13ELNS0_17block_load_methodE3ELS4_3ELS4_3ELNS0_20block_scan_algorithmE0ELj4294967295EEENS1_25partition_config_selectorILNS1_17partition_subalgoE4EjNS0_10empty_typeEbEEZZNS1_14partition_implILS8_4ELb0ES6_15HIP_vector_typeIjLj2EENS0_17counting_iteratorIjlEEPS9_SG_NS0_5tupleIJPjSI_NS0_16reverse_iteratorISI_EEEEENSH_IJSG_SG_SG_EEES9_SI_JZNS1_25segmented_radix_sort_implINS0_14default_configELb0EPK6__halfPSP_PKlPlN2at6native12_GLOBAL__N_18offset_tEEE10hipError_tPvRmT1_PNSt15iterator_traitsIS13_E10value_typeET2_T3_PNS14_IS19_E10value_typeET4_jRbjT5_S1F_jjP12ihipStream_tbEUljE_ZNSN_ISO_Lb0ESR_SS_SU_SV_SZ_EES10_S11_S12_S13_S17_S18_S19_S1C_S1D_jS1E_jS1F_S1F_jjS1H_bEUljE0_EEES10_S11_S12_S19_S1D_S1F_T6_T7_T9_mT8_S1H_bDpT10_ENKUlT_T0_E_clISt17integral_constantIbLb1EES1V_EEDaS1Q_S1R_EUlS1Q_E_NS1_11comp_targetILNS1_3genE8ELNS1_11target_archE1030ELNS1_3gpuE2ELNS1_3repE0EEENS1_30default_config_static_selectorELNS0_4arch9wavefront6targetE1EEEvS13_.has_dyn_sized_stack, 0
	.set _ZN7rocprim17ROCPRIM_400000_NS6detail17trampoline_kernelINS0_13select_configILj256ELj13ELNS0_17block_load_methodE3ELS4_3ELS4_3ELNS0_20block_scan_algorithmE0ELj4294967295EEENS1_25partition_config_selectorILNS1_17partition_subalgoE4EjNS0_10empty_typeEbEEZZNS1_14partition_implILS8_4ELb0ES6_15HIP_vector_typeIjLj2EENS0_17counting_iteratorIjlEEPS9_SG_NS0_5tupleIJPjSI_NS0_16reverse_iteratorISI_EEEEENSH_IJSG_SG_SG_EEES9_SI_JZNS1_25segmented_radix_sort_implINS0_14default_configELb0EPK6__halfPSP_PKlPlN2at6native12_GLOBAL__N_18offset_tEEE10hipError_tPvRmT1_PNSt15iterator_traitsIS13_E10value_typeET2_T3_PNS14_IS19_E10value_typeET4_jRbjT5_S1F_jjP12ihipStream_tbEUljE_ZNSN_ISO_Lb0ESR_SS_SU_SV_SZ_EES10_S11_S12_S13_S17_S18_S19_S1C_S1D_jS1E_jS1F_S1F_jjS1H_bEUljE0_EEES10_S11_S12_S19_S1D_S1F_T6_T7_T9_mT8_S1H_bDpT10_ENKUlT_T0_E_clISt17integral_constantIbLb1EES1V_EEDaS1Q_S1R_EUlS1Q_E_NS1_11comp_targetILNS1_3genE8ELNS1_11target_archE1030ELNS1_3gpuE2ELNS1_3repE0EEENS1_30default_config_static_selectorELNS0_4arch9wavefront6targetE1EEEvS13_.has_recursion, 0
	.set _ZN7rocprim17ROCPRIM_400000_NS6detail17trampoline_kernelINS0_13select_configILj256ELj13ELNS0_17block_load_methodE3ELS4_3ELS4_3ELNS0_20block_scan_algorithmE0ELj4294967295EEENS1_25partition_config_selectorILNS1_17partition_subalgoE4EjNS0_10empty_typeEbEEZZNS1_14partition_implILS8_4ELb0ES6_15HIP_vector_typeIjLj2EENS0_17counting_iteratorIjlEEPS9_SG_NS0_5tupleIJPjSI_NS0_16reverse_iteratorISI_EEEEENSH_IJSG_SG_SG_EEES9_SI_JZNS1_25segmented_radix_sort_implINS0_14default_configELb0EPK6__halfPSP_PKlPlN2at6native12_GLOBAL__N_18offset_tEEE10hipError_tPvRmT1_PNSt15iterator_traitsIS13_E10value_typeET2_T3_PNS14_IS19_E10value_typeET4_jRbjT5_S1F_jjP12ihipStream_tbEUljE_ZNSN_ISO_Lb0ESR_SS_SU_SV_SZ_EES10_S11_S12_S13_S17_S18_S19_S1C_S1D_jS1E_jS1F_S1F_jjS1H_bEUljE0_EEES10_S11_S12_S19_S1D_S1F_T6_T7_T9_mT8_S1H_bDpT10_ENKUlT_T0_E_clISt17integral_constantIbLb1EES1V_EEDaS1Q_S1R_EUlS1Q_E_NS1_11comp_targetILNS1_3genE8ELNS1_11target_archE1030ELNS1_3gpuE2ELNS1_3repE0EEENS1_30default_config_static_selectorELNS0_4arch9wavefront6targetE1EEEvS13_.has_indirect_call, 0
	.section	.AMDGPU.csdata,"",@progbits
; Kernel info:
; codeLenInByte = 0
; TotalNumSgprs: 4
; NumVgprs: 0
; ScratchSize: 0
; MemoryBound: 0
; FloatMode: 240
; IeeeMode: 1
; LDSByteSize: 0 bytes/workgroup (compile time only)
; SGPRBlocks: 0
; VGPRBlocks: 0
; NumSGPRsForWavesPerEU: 4
; NumVGPRsForWavesPerEU: 1
; Occupancy: 10
; WaveLimiterHint : 0
; COMPUTE_PGM_RSRC2:SCRATCH_EN: 0
; COMPUTE_PGM_RSRC2:USER_SGPR: 6
; COMPUTE_PGM_RSRC2:TRAP_HANDLER: 0
; COMPUTE_PGM_RSRC2:TGID_X_EN: 1
; COMPUTE_PGM_RSRC2:TGID_Y_EN: 0
; COMPUTE_PGM_RSRC2:TGID_Z_EN: 0
; COMPUTE_PGM_RSRC2:TIDIG_COMP_CNT: 0
	.section	.text._ZN7rocprim17ROCPRIM_400000_NS6detail17trampoline_kernelINS0_13select_configILj256ELj13ELNS0_17block_load_methodE3ELS4_3ELS4_3ELNS0_20block_scan_algorithmE0ELj4294967295EEENS1_25partition_config_selectorILNS1_17partition_subalgoE4EjNS0_10empty_typeEbEEZZNS1_14partition_implILS8_4ELb0ES6_15HIP_vector_typeIjLj2EENS0_17counting_iteratorIjlEEPS9_SG_NS0_5tupleIJPjSI_NS0_16reverse_iteratorISI_EEEEENSH_IJSG_SG_SG_EEES9_SI_JZNS1_25segmented_radix_sort_implINS0_14default_configELb0EPK6__halfPSP_PKlPlN2at6native12_GLOBAL__N_18offset_tEEE10hipError_tPvRmT1_PNSt15iterator_traitsIS13_E10value_typeET2_T3_PNS14_IS19_E10value_typeET4_jRbjT5_S1F_jjP12ihipStream_tbEUljE_ZNSN_ISO_Lb0ESR_SS_SU_SV_SZ_EES10_S11_S12_S13_S17_S18_S19_S1C_S1D_jS1E_jS1F_S1F_jjS1H_bEUljE0_EEES10_S11_S12_S19_S1D_S1F_T6_T7_T9_mT8_S1H_bDpT10_ENKUlT_T0_E_clISt17integral_constantIbLb1EES1U_IbLb0EEEEDaS1Q_S1R_EUlS1Q_E_NS1_11comp_targetILNS1_3genE0ELNS1_11target_archE4294967295ELNS1_3gpuE0ELNS1_3repE0EEENS1_30default_config_static_selectorELNS0_4arch9wavefront6targetE1EEEvS13_,"axG",@progbits,_ZN7rocprim17ROCPRIM_400000_NS6detail17trampoline_kernelINS0_13select_configILj256ELj13ELNS0_17block_load_methodE3ELS4_3ELS4_3ELNS0_20block_scan_algorithmE0ELj4294967295EEENS1_25partition_config_selectorILNS1_17partition_subalgoE4EjNS0_10empty_typeEbEEZZNS1_14partition_implILS8_4ELb0ES6_15HIP_vector_typeIjLj2EENS0_17counting_iteratorIjlEEPS9_SG_NS0_5tupleIJPjSI_NS0_16reverse_iteratorISI_EEEEENSH_IJSG_SG_SG_EEES9_SI_JZNS1_25segmented_radix_sort_implINS0_14default_configELb0EPK6__halfPSP_PKlPlN2at6native12_GLOBAL__N_18offset_tEEE10hipError_tPvRmT1_PNSt15iterator_traitsIS13_E10value_typeET2_T3_PNS14_IS19_E10value_typeET4_jRbjT5_S1F_jjP12ihipStream_tbEUljE_ZNSN_ISO_Lb0ESR_SS_SU_SV_SZ_EES10_S11_S12_S13_S17_S18_S19_S1C_S1D_jS1E_jS1F_S1F_jjS1H_bEUljE0_EEES10_S11_S12_S19_S1D_S1F_T6_T7_T9_mT8_S1H_bDpT10_ENKUlT_T0_E_clISt17integral_constantIbLb1EES1U_IbLb0EEEEDaS1Q_S1R_EUlS1Q_E_NS1_11comp_targetILNS1_3genE0ELNS1_11target_archE4294967295ELNS1_3gpuE0ELNS1_3repE0EEENS1_30default_config_static_selectorELNS0_4arch9wavefront6targetE1EEEvS13_,comdat
	.globl	_ZN7rocprim17ROCPRIM_400000_NS6detail17trampoline_kernelINS0_13select_configILj256ELj13ELNS0_17block_load_methodE3ELS4_3ELS4_3ELNS0_20block_scan_algorithmE0ELj4294967295EEENS1_25partition_config_selectorILNS1_17partition_subalgoE4EjNS0_10empty_typeEbEEZZNS1_14partition_implILS8_4ELb0ES6_15HIP_vector_typeIjLj2EENS0_17counting_iteratorIjlEEPS9_SG_NS0_5tupleIJPjSI_NS0_16reverse_iteratorISI_EEEEENSH_IJSG_SG_SG_EEES9_SI_JZNS1_25segmented_radix_sort_implINS0_14default_configELb0EPK6__halfPSP_PKlPlN2at6native12_GLOBAL__N_18offset_tEEE10hipError_tPvRmT1_PNSt15iterator_traitsIS13_E10value_typeET2_T3_PNS14_IS19_E10value_typeET4_jRbjT5_S1F_jjP12ihipStream_tbEUljE_ZNSN_ISO_Lb0ESR_SS_SU_SV_SZ_EES10_S11_S12_S13_S17_S18_S19_S1C_S1D_jS1E_jS1F_S1F_jjS1H_bEUljE0_EEES10_S11_S12_S19_S1D_S1F_T6_T7_T9_mT8_S1H_bDpT10_ENKUlT_T0_E_clISt17integral_constantIbLb1EES1U_IbLb0EEEEDaS1Q_S1R_EUlS1Q_E_NS1_11comp_targetILNS1_3genE0ELNS1_11target_archE4294967295ELNS1_3gpuE0ELNS1_3repE0EEENS1_30default_config_static_selectorELNS0_4arch9wavefront6targetE1EEEvS13_ ; -- Begin function _ZN7rocprim17ROCPRIM_400000_NS6detail17trampoline_kernelINS0_13select_configILj256ELj13ELNS0_17block_load_methodE3ELS4_3ELS4_3ELNS0_20block_scan_algorithmE0ELj4294967295EEENS1_25partition_config_selectorILNS1_17partition_subalgoE4EjNS0_10empty_typeEbEEZZNS1_14partition_implILS8_4ELb0ES6_15HIP_vector_typeIjLj2EENS0_17counting_iteratorIjlEEPS9_SG_NS0_5tupleIJPjSI_NS0_16reverse_iteratorISI_EEEEENSH_IJSG_SG_SG_EEES9_SI_JZNS1_25segmented_radix_sort_implINS0_14default_configELb0EPK6__halfPSP_PKlPlN2at6native12_GLOBAL__N_18offset_tEEE10hipError_tPvRmT1_PNSt15iterator_traitsIS13_E10value_typeET2_T3_PNS14_IS19_E10value_typeET4_jRbjT5_S1F_jjP12ihipStream_tbEUljE_ZNSN_ISO_Lb0ESR_SS_SU_SV_SZ_EES10_S11_S12_S13_S17_S18_S19_S1C_S1D_jS1E_jS1F_S1F_jjS1H_bEUljE0_EEES10_S11_S12_S19_S1D_S1F_T6_T7_T9_mT8_S1H_bDpT10_ENKUlT_T0_E_clISt17integral_constantIbLb1EES1U_IbLb0EEEEDaS1Q_S1R_EUlS1Q_E_NS1_11comp_targetILNS1_3genE0ELNS1_11target_archE4294967295ELNS1_3gpuE0ELNS1_3repE0EEENS1_30default_config_static_selectorELNS0_4arch9wavefront6targetE1EEEvS13_
	.p2align	8
	.type	_ZN7rocprim17ROCPRIM_400000_NS6detail17trampoline_kernelINS0_13select_configILj256ELj13ELNS0_17block_load_methodE3ELS4_3ELS4_3ELNS0_20block_scan_algorithmE0ELj4294967295EEENS1_25partition_config_selectorILNS1_17partition_subalgoE4EjNS0_10empty_typeEbEEZZNS1_14partition_implILS8_4ELb0ES6_15HIP_vector_typeIjLj2EENS0_17counting_iteratorIjlEEPS9_SG_NS0_5tupleIJPjSI_NS0_16reverse_iteratorISI_EEEEENSH_IJSG_SG_SG_EEES9_SI_JZNS1_25segmented_radix_sort_implINS0_14default_configELb0EPK6__halfPSP_PKlPlN2at6native12_GLOBAL__N_18offset_tEEE10hipError_tPvRmT1_PNSt15iterator_traitsIS13_E10value_typeET2_T3_PNS14_IS19_E10value_typeET4_jRbjT5_S1F_jjP12ihipStream_tbEUljE_ZNSN_ISO_Lb0ESR_SS_SU_SV_SZ_EES10_S11_S12_S13_S17_S18_S19_S1C_S1D_jS1E_jS1F_S1F_jjS1H_bEUljE0_EEES10_S11_S12_S19_S1D_S1F_T6_T7_T9_mT8_S1H_bDpT10_ENKUlT_T0_E_clISt17integral_constantIbLb1EES1U_IbLb0EEEEDaS1Q_S1R_EUlS1Q_E_NS1_11comp_targetILNS1_3genE0ELNS1_11target_archE4294967295ELNS1_3gpuE0ELNS1_3repE0EEENS1_30default_config_static_selectorELNS0_4arch9wavefront6targetE1EEEvS13_,@function
_ZN7rocprim17ROCPRIM_400000_NS6detail17trampoline_kernelINS0_13select_configILj256ELj13ELNS0_17block_load_methodE3ELS4_3ELS4_3ELNS0_20block_scan_algorithmE0ELj4294967295EEENS1_25partition_config_selectorILNS1_17partition_subalgoE4EjNS0_10empty_typeEbEEZZNS1_14partition_implILS8_4ELb0ES6_15HIP_vector_typeIjLj2EENS0_17counting_iteratorIjlEEPS9_SG_NS0_5tupleIJPjSI_NS0_16reverse_iteratorISI_EEEEENSH_IJSG_SG_SG_EEES9_SI_JZNS1_25segmented_radix_sort_implINS0_14default_configELb0EPK6__halfPSP_PKlPlN2at6native12_GLOBAL__N_18offset_tEEE10hipError_tPvRmT1_PNSt15iterator_traitsIS13_E10value_typeET2_T3_PNS14_IS19_E10value_typeET4_jRbjT5_S1F_jjP12ihipStream_tbEUljE_ZNSN_ISO_Lb0ESR_SS_SU_SV_SZ_EES10_S11_S12_S13_S17_S18_S19_S1C_S1D_jS1E_jS1F_S1F_jjS1H_bEUljE0_EEES10_S11_S12_S19_S1D_S1F_T6_T7_T9_mT8_S1H_bDpT10_ENKUlT_T0_E_clISt17integral_constantIbLb1EES1U_IbLb0EEEEDaS1Q_S1R_EUlS1Q_E_NS1_11comp_targetILNS1_3genE0ELNS1_11target_archE4294967295ELNS1_3gpuE0ELNS1_3repE0EEENS1_30default_config_static_selectorELNS0_4arch9wavefront6targetE1EEEvS13_: ; @_ZN7rocprim17ROCPRIM_400000_NS6detail17trampoline_kernelINS0_13select_configILj256ELj13ELNS0_17block_load_methodE3ELS4_3ELS4_3ELNS0_20block_scan_algorithmE0ELj4294967295EEENS1_25partition_config_selectorILNS1_17partition_subalgoE4EjNS0_10empty_typeEbEEZZNS1_14partition_implILS8_4ELb0ES6_15HIP_vector_typeIjLj2EENS0_17counting_iteratorIjlEEPS9_SG_NS0_5tupleIJPjSI_NS0_16reverse_iteratorISI_EEEEENSH_IJSG_SG_SG_EEES9_SI_JZNS1_25segmented_radix_sort_implINS0_14default_configELb0EPK6__halfPSP_PKlPlN2at6native12_GLOBAL__N_18offset_tEEE10hipError_tPvRmT1_PNSt15iterator_traitsIS13_E10value_typeET2_T3_PNS14_IS19_E10value_typeET4_jRbjT5_S1F_jjP12ihipStream_tbEUljE_ZNSN_ISO_Lb0ESR_SS_SU_SV_SZ_EES10_S11_S12_S13_S17_S18_S19_S1C_S1D_jS1E_jS1F_S1F_jjS1H_bEUljE0_EEES10_S11_S12_S19_S1D_S1F_T6_T7_T9_mT8_S1H_bDpT10_ENKUlT_T0_E_clISt17integral_constantIbLb1EES1U_IbLb0EEEEDaS1Q_S1R_EUlS1Q_E_NS1_11comp_targetILNS1_3genE0ELNS1_11target_archE4294967295ELNS1_3gpuE0ELNS1_3repE0EEENS1_30default_config_static_selectorELNS0_4arch9wavefront6targetE1EEEvS13_
; %bb.0:
	.section	.rodata,"a",@progbits
	.p2align	6, 0x0
	.amdhsa_kernel _ZN7rocprim17ROCPRIM_400000_NS6detail17trampoline_kernelINS0_13select_configILj256ELj13ELNS0_17block_load_methodE3ELS4_3ELS4_3ELNS0_20block_scan_algorithmE0ELj4294967295EEENS1_25partition_config_selectorILNS1_17partition_subalgoE4EjNS0_10empty_typeEbEEZZNS1_14partition_implILS8_4ELb0ES6_15HIP_vector_typeIjLj2EENS0_17counting_iteratorIjlEEPS9_SG_NS0_5tupleIJPjSI_NS0_16reverse_iteratorISI_EEEEENSH_IJSG_SG_SG_EEES9_SI_JZNS1_25segmented_radix_sort_implINS0_14default_configELb0EPK6__halfPSP_PKlPlN2at6native12_GLOBAL__N_18offset_tEEE10hipError_tPvRmT1_PNSt15iterator_traitsIS13_E10value_typeET2_T3_PNS14_IS19_E10value_typeET4_jRbjT5_S1F_jjP12ihipStream_tbEUljE_ZNSN_ISO_Lb0ESR_SS_SU_SV_SZ_EES10_S11_S12_S13_S17_S18_S19_S1C_S1D_jS1E_jS1F_S1F_jjS1H_bEUljE0_EEES10_S11_S12_S19_S1D_S1F_T6_T7_T9_mT8_S1H_bDpT10_ENKUlT_T0_E_clISt17integral_constantIbLb1EES1U_IbLb0EEEEDaS1Q_S1R_EUlS1Q_E_NS1_11comp_targetILNS1_3genE0ELNS1_11target_archE4294967295ELNS1_3gpuE0ELNS1_3repE0EEENS1_30default_config_static_selectorELNS0_4arch9wavefront6targetE1EEEvS13_
		.amdhsa_group_segment_fixed_size 0
		.amdhsa_private_segment_fixed_size 0
		.amdhsa_kernarg_size 176
		.amdhsa_user_sgpr_count 6
		.amdhsa_user_sgpr_private_segment_buffer 1
		.amdhsa_user_sgpr_dispatch_ptr 0
		.amdhsa_user_sgpr_queue_ptr 0
		.amdhsa_user_sgpr_kernarg_segment_ptr 1
		.amdhsa_user_sgpr_dispatch_id 0
		.amdhsa_user_sgpr_flat_scratch_init 0
		.amdhsa_user_sgpr_private_segment_size 0
		.amdhsa_uses_dynamic_stack 0
		.amdhsa_system_sgpr_private_segment_wavefront_offset 0
		.amdhsa_system_sgpr_workgroup_id_x 1
		.amdhsa_system_sgpr_workgroup_id_y 0
		.amdhsa_system_sgpr_workgroup_id_z 0
		.amdhsa_system_sgpr_workgroup_info 0
		.amdhsa_system_vgpr_workitem_id 0
		.amdhsa_next_free_vgpr 1
		.amdhsa_next_free_sgpr 0
		.amdhsa_reserve_vcc 0
		.amdhsa_reserve_flat_scratch 0
		.amdhsa_float_round_mode_32 0
		.amdhsa_float_round_mode_16_64 0
		.amdhsa_float_denorm_mode_32 3
		.amdhsa_float_denorm_mode_16_64 3
		.amdhsa_dx10_clamp 1
		.amdhsa_ieee_mode 1
		.amdhsa_fp16_overflow 0
		.amdhsa_exception_fp_ieee_invalid_op 0
		.amdhsa_exception_fp_denorm_src 0
		.amdhsa_exception_fp_ieee_div_zero 0
		.amdhsa_exception_fp_ieee_overflow 0
		.amdhsa_exception_fp_ieee_underflow 0
		.amdhsa_exception_fp_ieee_inexact 0
		.amdhsa_exception_int_div_zero 0
	.end_amdhsa_kernel
	.section	.text._ZN7rocprim17ROCPRIM_400000_NS6detail17trampoline_kernelINS0_13select_configILj256ELj13ELNS0_17block_load_methodE3ELS4_3ELS4_3ELNS0_20block_scan_algorithmE0ELj4294967295EEENS1_25partition_config_selectorILNS1_17partition_subalgoE4EjNS0_10empty_typeEbEEZZNS1_14partition_implILS8_4ELb0ES6_15HIP_vector_typeIjLj2EENS0_17counting_iteratorIjlEEPS9_SG_NS0_5tupleIJPjSI_NS0_16reverse_iteratorISI_EEEEENSH_IJSG_SG_SG_EEES9_SI_JZNS1_25segmented_radix_sort_implINS0_14default_configELb0EPK6__halfPSP_PKlPlN2at6native12_GLOBAL__N_18offset_tEEE10hipError_tPvRmT1_PNSt15iterator_traitsIS13_E10value_typeET2_T3_PNS14_IS19_E10value_typeET4_jRbjT5_S1F_jjP12ihipStream_tbEUljE_ZNSN_ISO_Lb0ESR_SS_SU_SV_SZ_EES10_S11_S12_S13_S17_S18_S19_S1C_S1D_jS1E_jS1F_S1F_jjS1H_bEUljE0_EEES10_S11_S12_S19_S1D_S1F_T6_T7_T9_mT8_S1H_bDpT10_ENKUlT_T0_E_clISt17integral_constantIbLb1EES1U_IbLb0EEEEDaS1Q_S1R_EUlS1Q_E_NS1_11comp_targetILNS1_3genE0ELNS1_11target_archE4294967295ELNS1_3gpuE0ELNS1_3repE0EEENS1_30default_config_static_selectorELNS0_4arch9wavefront6targetE1EEEvS13_,"axG",@progbits,_ZN7rocprim17ROCPRIM_400000_NS6detail17trampoline_kernelINS0_13select_configILj256ELj13ELNS0_17block_load_methodE3ELS4_3ELS4_3ELNS0_20block_scan_algorithmE0ELj4294967295EEENS1_25partition_config_selectorILNS1_17partition_subalgoE4EjNS0_10empty_typeEbEEZZNS1_14partition_implILS8_4ELb0ES6_15HIP_vector_typeIjLj2EENS0_17counting_iteratorIjlEEPS9_SG_NS0_5tupleIJPjSI_NS0_16reverse_iteratorISI_EEEEENSH_IJSG_SG_SG_EEES9_SI_JZNS1_25segmented_radix_sort_implINS0_14default_configELb0EPK6__halfPSP_PKlPlN2at6native12_GLOBAL__N_18offset_tEEE10hipError_tPvRmT1_PNSt15iterator_traitsIS13_E10value_typeET2_T3_PNS14_IS19_E10value_typeET4_jRbjT5_S1F_jjP12ihipStream_tbEUljE_ZNSN_ISO_Lb0ESR_SS_SU_SV_SZ_EES10_S11_S12_S13_S17_S18_S19_S1C_S1D_jS1E_jS1F_S1F_jjS1H_bEUljE0_EEES10_S11_S12_S19_S1D_S1F_T6_T7_T9_mT8_S1H_bDpT10_ENKUlT_T0_E_clISt17integral_constantIbLb1EES1U_IbLb0EEEEDaS1Q_S1R_EUlS1Q_E_NS1_11comp_targetILNS1_3genE0ELNS1_11target_archE4294967295ELNS1_3gpuE0ELNS1_3repE0EEENS1_30default_config_static_selectorELNS0_4arch9wavefront6targetE1EEEvS13_,comdat
.Lfunc_end1794:
	.size	_ZN7rocprim17ROCPRIM_400000_NS6detail17trampoline_kernelINS0_13select_configILj256ELj13ELNS0_17block_load_methodE3ELS4_3ELS4_3ELNS0_20block_scan_algorithmE0ELj4294967295EEENS1_25partition_config_selectorILNS1_17partition_subalgoE4EjNS0_10empty_typeEbEEZZNS1_14partition_implILS8_4ELb0ES6_15HIP_vector_typeIjLj2EENS0_17counting_iteratorIjlEEPS9_SG_NS0_5tupleIJPjSI_NS0_16reverse_iteratorISI_EEEEENSH_IJSG_SG_SG_EEES9_SI_JZNS1_25segmented_radix_sort_implINS0_14default_configELb0EPK6__halfPSP_PKlPlN2at6native12_GLOBAL__N_18offset_tEEE10hipError_tPvRmT1_PNSt15iterator_traitsIS13_E10value_typeET2_T3_PNS14_IS19_E10value_typeET4_jRbjT5_S1F_jjP12ihipStream_tbEUljE_ZNSN_ISO_Lb0ESR_SS_SU_SV_SZ_EES10_S11_S12_S13_S17_S18_S19_S1C_S1D_jS1E_jS1F_S1F_jjS1H_bEUljE0_EEES10_S11_S12_S19_S1D_S1F_T6_T7_T9_mT8_S1H_bDpT10_ENKUlT_T0_E_clISt17integral_constantIbLb1EES1U_IbLb0EEEEDaS1Q_S1R_EUlS1Q_E_NS1_11comp_targetILNS1_3genE0ELNS1_11target_archE4294967295ELNS1_3gpuE0ELNS1_3repE0EEENS1_30default_config_static_selectorELNS0_4arch9wavefront6targetE1EEEvS13_, .Lfunc_end1794-_ZN7rocprim17ROCPRIM_400000_NS6detail17trampoline_kernelINS0_13select_configILj256ELj13ELNS0_17block_load_methodE3ELS4_3ELS4_3ELNS0_20block_scan_algorithmE0ELj4294967295EEENS1_25partition_config_selectorILNS1_17partition_subalgoE4EjNS0_10empty_typeEbEEZZNS1_14partition_implILS8_4ELb0ES6_15HIP_vector_typeIjLj2EENS0_17counting_iteratorIjlEEPS9_SG_NS0_5tupleIJPjSI_NS0_16reverse_iteratorISI_EEEEENSH_IJSG_SG_SG_EEES9_SI_JZNS1_25segmented_radix_sort_implINS0_14default_configELb0EPK6__halfPSP_PKlPlN2at6native12_GLOBAL__N_18offset_tEEE10hipError_tPvRmT1_PNSt15iterator_traitsIS13_E10value_typeET2_T3_PNS14_IS19_E10value_typeET4_jRbjT5_S1F_jjP12ihipStream_tbEUljE_ZNSN_ISO_Lb0ESR_SS_SU_SV_SZ_EES10_S11_S12_S13_S17_S18_S19_S1C_S1D_jS1E_jS1F_S1F_jjS1H_bEUljE0_EEES10_S11_S12_S19_S1D_S1F_T6_T7_T9_mT8_S1H_bDpT10_ENKUlT_T0_E_clISt17integral_constantIbLb1EES1U_IbLb0EEEEDaS1Q_S1R_EUlS1Q_E_NS1_11comp_targetILNS1_3genE0ELNS1_11target_archE4294967295ELNS1_3gpuE0ELNS1_3repE0EEENS1_30default_config_static_selectorELNS0_4arch9wavefront6targetE1EEEvS13_
                                        ; -- End function
	.set _ZN7rocprim17ROCPRIM_400000_NS6detail17trampoline_kernelINS0_13select_configILj256ELj13ELNS0_17block_load_methodE3ELS4_3ELS4_3ELNS0_20block_scan_algorithmE0ELj4294967295EEENS1_25partition_config_selectorILNS1_17partition_subalgoE4EjNS0_10empty_typeEbEEZZNS1_14partition_implILS8_4ELb0ES6_15HIP_vector_typeIjLj2EENS0_17counting_iteratorIjlEEPS9_SG_NS0_5tupleIJPjSI_NS0_16reverse_iteratorISI_EEEEENSH_IJSG_SG_SG_EEES9_SI_JZNS1_25segmented_radix_sort_implINS0_14default_configELb0EPK6__halfPSP_PKlPlN2at6native12_GLOBAL__N_18offset_tEEE10hipError_tPvRmT1_PNSt15iterator_traitsIS13_E10value_typeET2_T3_PNS14_IS19_E10value_typeET4_jRbjT5_S1F_jjP12ihipStream_tbEUljE_ZNSN_ISO_Lb0ESR_SS_SU_SV_SZ_EES10_S11_S12_S13_S17_S18_S19_S1C_S1D_jS1E_jS1F_S1F_jjS1H_bEUljE0_EEES10_S11_S12_S19_S1D_S1F_T6_T7_T9_mT8_S1H_bDpT10_ENKUlT_T0_E_clISt17integral_constantIbLb1EES1U_IbLb0EEEEDaS1Q_S1R_EUlS1Q_E_NS1_11comp_targetILNS1_3genE0ELNS1_11target_archE4294967295ELNS1_3gpuE0ELNS1_3repE0EEENS1_30default_config_static_selectorELNS0_4arch9wavefront6targetE1EEEvS13_.num_vgpr, 0
	.set _ZN7rocprim17ROCPRIM_400000_NS6detail17trampoline_kernelINS0_13select_configILj256ELj13ELNS0_17block_load_methodE3ELS4_3ELS4_3ELNS0_20block_scan_algorithmE0ELj4294967295EEENS1_25partition_config_selectorILNS1_17partition_subalgoE4EjNS0_10empty_typeEbEEZZNS1_14partition_implILS8_4ELb0ES6_15HIP_vector_typeIjLj2EENS0_17counting_iteratorIjlEEPS9_SG_NS0_5tupleIJPjSI_NS0_16reverse_iteratorISI_EEEEENSH_IJSG_SG_SG_EEES9_SI_JZNS1_25segmented_radix_sort_implINS0_14default_configELb0EPK6__halfPSP_PKlPlN2at6native12_GLOBAL__N_18offset_tEEE10hipError_tPvRmT1_PNSt15iterator_traitsIS13_E10value_typeET2_T3_PNS14_IS19_E10value_typeET4_jRbjT5_S1F_jjP12ihipStream_tbEUljE_ZNSN_ISO_Lb0ESR_SS_SU_SV_SZ_EES10_S11_S12_S13_S17_S18_S19_S1C_S1D_jS1E_jS1F_S1F_jjS1H_bEUljE0_EEES10_S11_S12_S19_S1D_S1F_T6_T7_T9_mT8_S1H_bDpT10_ENKUlT_T0_E_clISt17integral_constantIbLb1EES1U_IbLb0EEEEDaS1Q_S1R_EUlS1Q_E_NS1_11comp_targetILNS1_3genE0ELNS1_11target_archE4294967295ELNS1_3gpuE0ELNS1_3repE0EEENS1_30default_config_static_selectorELNS0_4arch9wavefront6targetE1EEEvS13_.num_agpr, 0
	.set _ZN7rocprim17ROCPRIM_400000_NS6detail17trampoline_kernelINS0_13select_configILj256ELj13ELNS0_17block_load_methodE3ELS4_3ELS4_3ELNS0_20block_scan_algorithmE0ELj4294967295EEENS1_25partition_config_selectorILNS1_17partition_subalgoE4EjNS0_10empty_typeEbEEZZNS1_14partition_implILS8_4ELb0ES6_15HIP_vector_typeIjLj2EENS0_17counting_iteratorIjlEEPS9_SG_NS0_5tupleIJPjSI_NS0_16reverse_iteratorISI_EEEEENSH_IJSG_SG_SG_EEES9_SI_JZNS1_25segmented_radix_sort_implINS0_14default_configELb0EPK6__halfPSP_PKlPlN2at6native12_GLOBAL__N_18offset_tEEE10hipError_tPvRmT1_PNSt15iterator_traitsIS13_E10value_typeET2_T3_PNS14_IS19_E10value_typeET4_jRbjT5_S1F_jjP12ihipStream_tbEUljE_ZNSN_ISO_Lb0ESR_SS_SU_SV_SZ_EES10_S11_S12_S13_S17_S18_S19_S1C_S1D_jS1E_jS1F_S1F_jjS1H_bEUljE0_EEES10_S11_S12_S19_S1D_S1F_T6_T7_T9_mT8_S1H_bDpT10_ENKUlT_T0_E_clISt17integral_constantIbLb1EES1U_IbLb0EEEEDaS1Q_S1R_EUlS1Q_E_NS1_11comp_targetILNS1_3genE0ELNS1_11target_archE4294967295ELNS1_3gpuE0ELNS1_3repE0EEENS1_30default_config_static_selectorELNS0_4arch9wavefront6targetE1EEEvS13_.numbered_sgpr, 0
	.set _ZN7rocprim17ROCPRIM_400000_NS6detail17trampoline_kernelINS0_13select_configILj256ELj13ELNS0_17block_load_methodE3ELS4_3ELS4_3ELNS0_20block_scan_algorithmE0ELj4294967295EEENS1_25partition_config_selectorILNS1_17partition_subalgoE4EjNS0_10empty_typeEbEEZZNS1_14partition_implILS8_4ELb0ES6_15HIP_vector_typeIjLj2EENS0_17counting_iteratorIjlEEPS9_SG_NS0_5tupleIJPjSI_NS0_16reverse_iteratorISI_EEEEENSH_IJSG_SG_SG_EEES9_SI_JZNS1_25segmented_radix_sort_implINS0_14default_configELb0EPK6__halfPSP_PKlPlN2at6native12_GLOBAL__N_18offset_tEEE10hipError_tPvRmT1_PNSt15iterator_traitsIS13_E10value_typeET2_T3_PNS14_IS19_E10value_typeET4_jRbjT5_S1F_jjP12ihipStream_tbEUljE_ZNSN_ISO_Lb0ESR_SS_SU_SV_SZ_EES10_S11_S12_S13_S17_S18_S19_S1C_S1D_jS1E_jS1F_S1F_jjS1H_bEUljE0_EEES10_S11_S12_S19_S1D_S1F_T6_T7_T9_mT8_S1H_bDpT10_ENKUlT_T0_E_clISt17integral_constantIbLb1EES1U_IbLb0EEEEDaS1Q_S1R_EUlS1Q_E_NS1_11comp_targetILNS1_3genE0ELNS1_11target_archE4294967295ELNS1_3gpuE0ELNS1_3repE0EEENS1_30default_config_static_selectorELNS0_4arch9wavefront6targetE1EEEvS13_.num_named_barrier, 0
	.set _ZN7rocprim17ROCPRIM_400000_NS6detail17trampoline_kernelINS0_13select_configILj256ELj13ELNS0_17block_load_methodE3ELS4_3ELS4_3ELNS0_20block_scan_algorithmE0ELj4294967295EEENS1_25partition_config_selectorILNS1_17partition_subalgoE4EjNS0_10empty_typeEbEEZZNS1_14partition_implILS8_4ELb0ES6_15HIP_vector_typeIjLj2EENS0_17counting_iteratorIjlEEPS9_SG_NS0_5tupleIJPjSI_NS0_16reverse_iteratorISI_EEEEENSH_IJSG_SG_SG_EEES9_SI_JZNS1_25segmented_radix_sort_implINS0_14default_configELb0EPK6__halfPSP_PKlPlN2at6native12_GLOBAL__N_18offset_tEEE10hipError_tPvRmT1_PNSt15iterator_traitsIS13_E10value_typeET2_T3_PNS14_IS19_E10value_typeET4_jRbjT5_S1F_jjP12ihipStream_tbEUljE_ZNSN_ISO_Lb0ESR_SS_SU_SV_SZ_EES10_S11_S12_S13_S17_S18_S19_S1C_S1D_jS1E_jS1F_S1F_jjS1H_bEUljE0_EEES10_S11_S12_S19_S1D_S1F_T6_T7_T9_mT8_S1H_bDpT10_ENKUlT_T0_E_clISt17integral_constantIbLb1EES1U_IbLb0EEEEDaS1Q_S1R_EUlS1Q_E_NS1_11comp_targetILNS1_3genE0ELNS1_11target_archE4294967295ELNS1_3gpuE0ELNS1_3repE0EEENS1_30default_config_static_selectorELNS0_4arch9wavefront6targetE1EEEvS13_.private_seg_size, 0
	.set _ZN7rocprim17ROCPRIM_400000_NS6detail17trampoline_kernelINS0_13select_configILj256ELj13ELNS0_17block_load_methodE3ELS4_3ELS4_3ELNS0_20block_scan_algorithmE0ELj4294967295EEENS1_25partition_config_selectorILNS1_17partition_subalgoE4EjNS0_10empty_typeEbEEZZNS1_14partition_implILS8_4ELb0ES6_15HIP_vector_typeIjLj2EENS0_17counting_iteratorIjlEEPS9_SG_NS0_5tupleIJPjSI_NS0_16reverse_iteratorISI_EEEEENSH_IJSG_SG_SG_EEES9_SI_JZNS1_25segmented_radix_sort_implINS0_14default_configELb0EPK6__halfPSP_PKlPlN2at6native12_GLOBAL__N_18offset_tEEE10hipError_tPvRmT1_PNSt15iterator_traitsIS13_E10value_typeET2_T3_PNS14_IS19_E10value_typeET4_jRbjT5_S1F_jjP12ihipStream_tbEUljE_ZNSN_ISO_Lb0ESR_SS_SU_SV_SZ_EES10_S11_S12_S13_S17_S18_S19_S1C_S1D_jS1E_jS1F_S1F_jjS1H_bEUljE0_EEES10_S11_S12_S19_S1D_S1F_T6_T7_T9_mT8_S1H_bDpT10_ENKUlT_T0_E_clISt17integral_constantIbLb1EES1U_IbLb0EEEEDaS1Q_S1R_EUlS1Q_E_NS1_11comp_targetILNS1_3genE0ELNS1_11target_archE4294967295ELNS1_3gpuE0ELNS1_3repE0EEENS1_30default_config_static_selectorELNS0_4arch9wavefront6targetE1EEEvS13_.uses_vcc, 0
	.set _ZN7rocprim17ROCPRIM_400000_NS6detail17trampoline_kernelINS0_13select_configILj256ELj13ELNS0_17block_load_methodE3ELS4_3ELS4_3ELNS0_20block_scan_algorithmE0ELj4294967295EEENS1_25partition_config_selectorILNS1_17partition_subalgoE4EjNS0_10empty_typeEbEEZZNS1_14partition_implILS8_4ELb0ES6_15HIP_vector_typeIjLj2EENS0_17counting_iteratorIjlEEPS9_SG_NS0_5tupleIJPjSI_NS0_16reverse_iteratorISI_EEEEENSH_IJSG_SG_SG_EEES9_SI_JZNS1_25segmented_radix_sort_implINS0_14default_configELb0EPK6__halfPSP_PKlPlN2at6native12_GLOBAL__N_18offset_tEEE10hipError_tPvRmT1_PNSt15iterator_traitsIS13_E10value_typeET2_T3_PNS14_IS19_E10value_typeET4_jRbjT5_S1F_jjP12ihipStream_tbEUljE_ZNSN_ISO_Lb0ESR_SS_SU_SV_SZ_EES10_S11_S12_S13_S17_S18_S19_S1C_S1D_jS1E_jS1F_S1F_jjS1H_bEUljE0_EEES10_S11_S12_S19_S1D_S1F_T6_T7_T9_mT8_S1H_bDpT10_ENKUlT_T0_E_clISt17integral_constantIbLb1EES1U_IbLb0EEEEDaS1Q_S1R_EUlS1Q_E_NS1_11comp_targetILNS1_3genE0ELNS1_11target_archE4294967295ELNS1_3gpuE0ELNS1_3repE0EEENS1_30default_config_static_selectorELNS0_4arch9wavefront6targetE1EEEvS13_.uses_flat_scratch, 0
	.set _ZN7rocprim17ROCPRIM_400000_NS6detail17trampoline_kernelINS0_13select_configILj256ELj13ELNS0_17block_load_methodE3ELS4_3ELS4_3ELNS0_20block_scan_algorithmE0ELj4294967295EEENS1_25partition_config_selectorILNS1_17partition_subalgoE4EjNS0_10empty_typeEbEEZZNS1_14partition_implILS8_4ELb0ES6_15HIP_vector_typeIjLj2EENS0_17counting_iteratorIjlEEPS9_SG_NS0_5tupleIJPjSI_NS0_16reverse_iteratorISI_EEEEENSH_IJSG_SG_SG_EEES9_SI_JZNS1_25segmented_radix_sort_implINS0_14default_configELb0EPK6__halfPSP_PKlPlN2at6native12_GLOBAL__N_18offset_tEEE10hipError_tPvRmT1_PNSt15iterator_traitsIS13_E10value_typeET2_T3_PNS14_IS19_E10value_typeET4_jRbjT5_S1F_jjP12ihipStream_tbEUljE_ZNSN_ISO_Lb0ESR_SS_SU_SV_SZ_EES10_S11_S12_S13_S17_S18_S19_S1C_S1D_jS1E_jS1F_S1F_jjS1H_bEUljE0_EEES10_S11_S12_S19_S1D_S1F_T6_T7_T9_mT8_S1H_bDpT10_ENKUlT_T0_E_clISt17integral_constantIbLb1EES1U_IbLb0EEEEDaS1Q_S1R_EUlS1Q_E_NS1_11comp_targetILNS1_3genE0ELNS1_11target_archE4294967295ELNS1_3gpuE0ELNS1_3repE0EEENS1_30default_config_static_selectorELNS0_4arch9wavefront6targetE1EEEvS13_.has_dyn_sized_stack, 0
	.set _ZN7rocprim17ROCPRIM_400000_NS6detail17trampoline_kernelINS0_13select_configILj256ELj13ELNS0_17block_load_methodE3ELS4_3ELS4_3ELNS0_20block_scan_algorithmE0ELj4294967295EEENS1_25partition_config_selectorILNS1_17partition_subalgoE4EjNS0_10empty_typeEbEEZZNS1_14partition_implILS8_4ELb0ES6_15HIP_vector_typeIjLj2EENS0_17counting_iteratorIjlEEPS9_SG_NS0_5tupleIJPjSI_NS0_16reverse_iteratorISI_EEEEENSH_IJSG_SG_SG_EEES9_SI_JZNS1_25segmented_radix_sort_implINS0_14default_configELb0EPK6__halfPSP_PKlPlN2at6native12_GLOBAL__N_18offset_tEEE10hipError_tPvRmT1_PNSt15iterator_traitsIS13_E10value_typeET2_T3_PNS14_IS19_E10value_typeET4_jRbjT5_S1F_jjP12ihipStream_tbEUljE_ZNSN_ISO_Lb0ESR_SS_SU_SV_SZ_EES10_S11_S12_S13_S17_S18_S19_S1C_S1D_jS1E_jS1F_S1F_jjS1H_bEUljE0_EEES10_S11_S12_S19_S1D_S1F_T6_T7_T9_mT8_S1H_bDpT10_ENKUlT_T0_E_clISt17integral_constantIbLb1EES1U_IbLb0EEEEDaS1Q_S1R_EUlS1Q_E_NS1_11comp_targetILNS1_3genE0ELNS1_11target_archE4294967295ELNS1_3gpuE0ELNS1_3repE0EEENS1_30default_config_static_selectorELNS0_4arch9wavefront6targetE1EEEvS13_.has_recursion, 0
	.set _ZN7rocprim17ROCPRIM_400000_NS6detail17trampoline_kernelINS0_13select_configILj256ELj13ELNS0_17block_load_methodE3ELS4_3ELS4_3ELNS0_20block_scan_algorithmE0ELj4294967295EEENS1_25partition_config_selectorILNS1_17partition_subalgoE4EjNS0_10empty_typeEbEEZZNS1_14partition_implILS8_4ELb0ES6_15HIP_vector_typeIjLj2EENS0_17counting_iteratorIjlEEPS9_SG_NS0_5tupleIJPjSI_NS0_16reverse_iteratorISI_EEEEENSH_IJSG_SG_SG_EEES9_SI_JZNS1_25segmented_radix_sort_implINS0_14default_configELb0EPK6__halfPSP_PKlPlN2at6native12_GLOBAL__N_18offset_tEEE10hipError_tPvRmT1_PNSt15iterator_traitsIS13_E10value_typeET2_T3_PNS14_IS19_E10value_typeET4_jRbjT5_S1F_jjP12ihipStream_tbEUljE_ZNSN_ISO_Lb0ESR_SS_SU_SV_SZ_EES10_S11_S12_S13_S17_S18_S19_S1C_S1D_jS1E_jS1F_S1F_jjS1H_bEUljE0_EEES10_S11_S12_S19_S1D_S1F_T6_T7_T9_mT8_S1H_bDpT10_ENKUlT_T0_E_clISt17integral_constantIbLb1EES1U_IbLb0EEEEDaS1Q_S1R_EUlS1Q_E_NS1_11comp_targetILNS1_3genE0ELNS1_11target_archE4294967295ELNS1_3gpuE0ELNS1_3repE0EEENS1_30default_config_static_selectorELNS0_4arch9wavefront6targetE1EEEvS13_.has_indirect_call, 0
	.section	.AMDGPU.csdata,"",@progbits
; Kernel info:
; codeLenInByte = 0
; TotalNumSgprs: 4
; NumVgprs: 0
; ScratchSize: 0
; MemoryBound: 0
; FloatMode: 240
; IeeeMode: 1
; LDSByteSize: 0 bytes/workgroup (compile time only)
; SGPRBlocks: 0
; VGPRBlocks: 0
; NumSGPRsForWavesPerEU: 4
; NumVGPRsForWavesPerEU: 1
; Occupancy: 10
; WaveLimiterHint : 0
; COMPUTE_PGM_RSRC2:SCRATCH_EN: 0
; COMPUTE_PGM_RSRC2:USER_SGPR: 6
; COMPUTE_PGM_RSRC2:TRAP_HANDLER: 0
; COMPUTE_PGM_RSRC2:TGID_X_EN: 1
; COMPUTE_PGM_RSRC2:TGID_Y_EN: 0
; COMPUTE_PGM_RSRC2:TGID_Z_EN: 0
; COMPUTE_PGM_RSRC2:TIDIG_COMP_CNT: 0
	.section	.text._ZN7rocprim17ROCPRIM_400000_NS6detail17trampoline_kernelINS0_13select_configILj256ELj13ELNS0_17block_load_methodE3ELS4_3ELS4_3ELNS0_20block_scan_algorithmE0ELj4294967295EEENS1_25partition_config_selectorILNS1_17partition_subalgoE4EjNS0_10empty_typeEbEEZZNS1_14partition_implILS8_4ELb0ES6_15HIP_vector_typeIjLj2EENS0_17counting_iteratorIjlEEPS9_SG_NS0_5tupleIJPjSI_NS0_16reverse_iteratorISI_EEEEENSH_IJSG_SG_SG_EEES9_SI_JZNS1_25segmented_radix_sort_implINS0_14default_configELb0EPK6__halfPSP_PKlPlN2at6native12_GLOBAL__N_18offset_tEEE10hipError_tPvRmT1_PNSt15iterator_traitsIS13_E10value_typeET2_T3_PNS14_IS19_E10value_typeET4_jRbjT5_S1F_jjP12ihipStream_tbEUljE_ZNSN_ISO_Lb0ESR_SS_SU_SV_SZ_EES10_S11_S12_S13_S17_S18_S19_S1C_S1D_jS1E_jS1F_S1F_jjS1H_bEUljE0_EEES10_S11_S12_S19_S1D_S1F_T6_T7_T9_mT8_S1H_bDpT10_ENKUlT_T0_E_clISt17integral_constantIbLb1EES1U_IbLb0EEEEDaS1Q_S1R_EUlS1Q_E_NS1_11comp_targetILNS1_3genE5ELNS1_11target_archE942ELNS1_3gpuE9ELNS1_3repE0EEENS1_30default_config_static_selectorELNS0_4arch9wavefront6targetE1EEEvS13_,"axG",@progbits,_ZN7rocprim17ROCPRIM_400000_NS6detail17trampoline_kernelINS0_13select_configILj256ELj13ELNS0_17block_load_methodE3ELS4_3ELS4_3ELNS0_20block_scan_algorithmE0ELj4294967295EEENS1_25partition_config_selectorILNS1_17partition_subalgoE4EjNS0_10empty_typeEbEEZZNS1_14partition_implILS8_4ELb0ES6_15HIP_vector_typeIjLj2EENS0_17counting_iteratorIjlEEPS9_SG_NS0_5tupleIJPjSI_NS0_16reverse_iteratorISI_EEEEENSH_IJSG_SG_SG_EEES9_SI_JZNS1_25segmented_radix_sort_implINS0_14default_configELb0EPK6__halfPSP_PKlPlN2at6native12_GLOBAL__N_18offset_tEEE10hipError_tPvRmT1_PNSt15iterator_traitsIS13_E10value_typeET2_T3_PNS14_IS19_E10value_typeET4_jRbjT5_S1F_jjP12ihipStream_tbEUljE_ZNSN_ISO_Lb0ESR_SS_SU_SV_SZ_EES10_S11_S12_S13_S17_S18_S19_S1C_S1D_jS1E_jS1F_S1F_jjS1H_bEUljE0_EEES10_S11_S12_S19_S1D_S1F_T6_T7_T9_mT8_S1H_bDpT10_ENKUlT_T0_E_clISt17integral_constantIbLb1EES1U_IbLb0EEEEDaS1Q_S1R_EUlS1Q_E_NS1_11comp_targetILNS1_3genE5ELNS1_11target_archE942ELNS1_3gpuE9ELNS1_3repE0EEENS1_30default_config_static_selectorELNS0_4arch9wavefront6targetE1EEEvS13_,comdat
	.globl	_ZN7rocprim17ROCPRIM_400000_NS6detail17trampoline_kernelINS0_13select_configILj256ELj13ELNS0_17block_load_methodE3ELS4_3ELS4_3ELNS0_20block_scan_algorithmE0ELj4294967295EEENS1_25partition_config_selectorILNS1_17partition_subalgoE4EjNS0_10empty_typeEbEEZZNS1_14partition_implILS8_4ELb0ES6_15HIP_vector_typeIjLj2EENS0_17counting_iteratorIjlEEPS9_SG_NS0_5tupleIJPjSI_NS0_16reverse_iteratorISI_EEEEENSH_IJSG_SG_SG_EEES9_SI_JZNS1_25segmented_radix_sort_implINS0_14default_configELb0EPK6__halfPSP_PKlPlN2at6native12_GLOBAL__N_18offset_tEEE10hipError_tPvRmT1_PNSt15iterator_traitsIS13_E10value_typeET2_T3_PNS14_IS19_E10value_typeET4_jRbjT5_S1F_jjP12ihipStream_tbEUljE_ZNSN_ISO_Lb0ESR_SS_SU_SV_SZ_EES10_S11_S12_S13_S17_S18_S19_S1C_S1D_jS1E_jS1F_S1F_jjS1H_bEUljE0_EEES10_S11_S12_S19_S1D_S1F_T6_T7_T9_mT8_S1H_bDpT10_ENKUlT_T0_E_clISt17integral_constantIbLb1EES1U_IbLb0EEEEDaS1Q_S1R_EUlS1Q_E_NS1_11comp_targetILNS1_3genE5ELNS1_11target_archE942ELNS1_3gpuE9ELNS1_3repE0EEENS1_30default_config_static_selectorELNS0_4arch9wavefront6targetE1EEEvS13_ ; -- Begin function _ZN7rocprim17ROCPRIM_400000_NS6detail17trampoline_kernelINS0_13select_configILj256ELj13ELNS0_17block_load_methodE3ELS4_3ELS4_3ELNS0_20block_scan_algorithmE0ELj4294967295EEENS1_25partition_config_selectorILNS1_17partition_subalgoE4EjNS0_10empty_typeEbEEZZNS1_14partition_implILS8_4ELb0ES6_15HIP_vector_typeIjLj2EENS0_17counting_iteratorIjlEEPS9_SG_NS0_5tupleIJPjSI_NS0_16reverse_iteratorISI_EEEEENSH_IJSG_SG_SG_EEES9_SI_JZNS1_25segmented_radix_sort_implINS0_14default_configELb0EPK6__halfPSP_PKlPlN2at6native12_GLOBAL__N_18offset_tEEE10hipError_tPvRmT1_PNSt15iterator_traitsIS13_E10value_typeET2_T3_PNS14_IS19_E10value_typeET4_jRbjT5_S1F_jjP12ihipStream_tbEUljE_ZNSN_ISO_Lb0ESR_SS_SU_SV_SZ_EES10_S11_S12_S13_S17_S18_S19_S1C_S1D_jS1E_jS1F_S1F_jjS1H_bEUljE0_EEES10_S11_S12_S19_S1D_S1F_T6_T7_T9_mT8_S1H_bDpT10_ENKUlT_T0_E_clISt17integral_constantIbLb1EES1U_IbLb0EEEEDaS1Q_S1R_EUlS1Q_E_NS1_11comp_targetILNS1_3genE5ELNS1_11target_archE942ELNS1_3gpuE9ELNS1_3repE0EEENS1_30default_config_static_selectorELNS0_4arch9wavefront6targetE1EEEvS13_
	.p2align	8
	.type	_ZN7rocprim17ROCPRIM_400000_NS6detail17trampoline_kernelINS0_13select_configILj256ELj13ELNS0_17block_load_methodE3ELS4_3ELS4_3ELNS0_20block_scan_algorithmE0ELj4294967295EEENS1_25partition_config_selectorILNS1_17partition_subalgoE4EjNS0_10empty_typeEbEEZZNS1_14partition_implILS8_4ELb0ES6_15HIP_vector_typeIjLj2EENS0_17counting_iteratorIjlEEPS9_SG_NS0_5tupleIJPjSI_NS0_16reverse_iteratorISI_EEEEENSH_IJSG_SG_SG_EEES9_SI_JZNS1_25segmented_radix_sort_implINS0_14default_configELb0EPK6__halfPSP_PKlPlN2at6native12_GLOBAL__N_18offset_tEEE10hipError_tPvRmT1_PNSt15iterator_traitsIS13_E10value_typeET2_T3_PNS14_IS19_E10value_typeET4_jRbjT5_S1F_jjP12ihipStream_tbEUljE_ZNSN_ISO_Lb0ESR_SS_SU_SV_SZ_EES10_S11_S12_S13_S17_S18_S19_S1C_S1D_jS1E_jS1F_S1F_jjS1H_bEUljE0_EEES10_S11_S12_S19_S1D_S1F_T6_T7_T9_mT8_S1H_bDpT10_ENKUlT_T0_E_clISt17integral_constantIbLb1EES1U_IbLb0EEEEDaS1Q_S1R_EUlS1Q_E_NS1_11comp_targetILNS1_3genE5ELNS1_11target_archE942ELNS1_3gpuE9ELNS1_3repE0EEENS1_30default_config_static_selectorELNS0_4arch9wavefront6targetE1EEEvS13_,@function
_ZN7rocprim17ROCPRIM_400000_NS6detail17trampoline_kernelINS0_13select_configILj256ELj13ELNS0_17block_load_methodE3ELS4_3ELS4_3ELNS0_20block_scan_algorithmE0ELj4294967295EEENS1_25partition_config_selectorILNS1_17partition_subalgoE4EjNS0_10empty_typeEbEEZZNS1_14partition_implILS8_4ELb0ES6_15HIP_vector_typeIjLj2EENS0_17counting_iteratorIjlEEPS9_SG_NS0_5tupleIJPjSI_NS0_16reverse_iteratorISI_EEEEENSH_IJSG_SG_SG_EEES9_SI_JZNS1_25segmented_radix_sort_implINS0_14default_configELb0EPK6__halfPSP_PKlPlN2at6native12_GLOBAL__N_18offset_tEEE10hipError_tPvRmT1_PNSt15iterator_traitsIS13_E10value_typeET2_T3_PNS14_IS19_E10value_typeET4_jRbjT5_S1F_jjP12ihipStream_tbEUljE_ZNSN_ISO_Lb0ESR_SS_SU_SV_SZ_EES10_S11_S12_S13_S17_S18_S19_S1C_S1D_jS1E_jS1F_S1F_jjS1H_bEUljE0_EEES10_S11_S12_S19_S1D_S1F_T6_T7_T9_mT8_S1H_bDpT10_ENKUlT_T0_E_clISt17integral_constantIbLb1EES1U_IbLb0EEEEDaS1Q_S1R_EUlS1Q_E_NS1_11comp_targetILNS1_3genE5ELNS1_11target_archE942ELNS1_3gpuE9ELNS1_3repE0EEENS1_30default_config_static_selectorELNS0_4arch9wavefront6targetE1EEEvS13_: ; @_ZN7rocprim17ROCPRIM_400000_NS6detail17trampoline_kernelINS0_13select_configILj256ELj13ELNS0_17block_load_methodE3ELS4_3ELS4_3ELNS0_20block_scan_algorithmE0ELj4294967295EEENS1_25partition_config_selectorILNS1_17partition_subalgoE4EjNS0_10empty_typeEbEEZZNS1_14partition_implILS8_4ELb0ES6_15HIP_vector_typeIjLj2EENS0_17counting_iteratorIjlEEPS9_SG_NS0_5tupleIJPjSI_NS0_16reverse_iteratorISI_EEEEENSH_IJSG_SG_SG_EEES9_SI_JZNS1_25segmented_radix_sort_implINS0_14default_configELb0EPK6__halfPSP_PKlPlN2at6native12_GLOBAL__N_18offset_tEEE10hipError_tPvRmT1_PNSt15iterator_traitsIS13_E10value_typeET2_T3_PNS14_IS19_E10value_typeET4_jRbjT5_S1F_jjP12ihipStream_tbEUljE_ZNSN_ISO_Lb0ESR_SS_SU_SV_SZ_EES10_S11_S12_S13_S17_S18_S19_S1C_S1D_jS1E_jS1F_S1F_jjS1H_bEUljE0_EEES10_S11_S12_S19_S1D_S1F_T6_T7_T9_mT8_S1H_bDpT10_ENKUlT_T0_E_clISt17integral_constantIbLb1EES1U_IbLb0EEEEDaS1Q_S1R_EUlS1Q_E_NS1_11comp_targetILNS1_3genE5ELNS1_11target_archE942ELNS1_3gpuE9ELNS1_3repE0EEENS1_30default_config_static_selectorELNS0_4arch9wavefront6targetE1EEEvS13_
; %bb.0:
	.section	.rodata,"a",@progbits
	.p2align	6, 0x0
	.amdhsa_kernel _ZN7rocprim17ROCPRIM_400000_NS6detail17trampoline_kernelINS0_13select_configILj256ELj13ELNS0_17block_load_methodE3ELS4_3ELS4_3ELNS0_20block_scan_algorithmE0ELj4294967295EEENS1_25partition_config_selectorILNS1_17partition_subalgoE4EjNS0_10empty_typeEbEEZZNS1_14partition_implILS8_4ELb0ES6_15HIP_vector_typeIjLj2EENS0_17counting_iteratorIjlEEPS9_SG_NS0_5tupleIJPjSI_NS0_16reverse_iteratorISI_EEEEENSH_IJSG_SG_SG_EEES9_SI_JZNS1_25segmented_radix_sort_implINS0_14default_configELb0EPK6__halfPSP_PKlPlN2at6native12_GLOBAL__N_18offset_tEEE10hipError_tPvRmT1_PNSt15iterator_traitsIS13_E10value_typeET2_T3_PNS14_IS19_E10value_typeET4_jRbjT5_S1F_jjP12ihipStream_tbEUljE_ZNSN_ISO_Lb0ESR_SS_SU_SV_SZ_EES10_S11_S12_S13_S17_S18_S19_S1C_S1D_jS1E_jS1F_S1F_jjS1H_bEUljE0_EEES10_S11_S12_S19_S1D_S1F_T6_T7_T9_mT8_S1H_bDpT10_ENKUlT_T0_E_clISt17integral_constantIbLb1EES1U_IbLb0EEEEDaS1Q_S1R_EUlS1Q_E_NS1_11comp_targetILNS1_3genE5ELNS1_11target_archE942ELNS1_3gpuE9ELNS1_3repE0EEENS1_30default_config_static_selectorELNS0_4arch9wavefront6targetE1EEEvS13_
		.amdhsa_group_segment_fixed_size 0
		.amdhsa_private_segment_fixed_size 0
		.amdhsa_kernarg_size 176
		.amdhsa_user_sgpr_count 6
		.amdhsa_user_sgpr_private_segment_buffer 1
		.amdhsa_user_sgpr_dispatch_ptr 0
		.amdhsa_user_sgpr_queue_ptr 0
		.amdhsa_user_sgpr_kernarg_segment_ptr 1
		.amdhsa_user_sgpr_dispatch_id 0
		.amdhsa_user_sgpr_flat_scratch_init 0
		.amdhsa_user_sgpr_private_segment_size 0
		.amdhsa_uses_dynamic_stack 0
		.amdhsa_system_sgpr_private_segment_wavefront_offset 0
		.amdhsa_system_sgpr_workgroup_id_x 1
		.amdhsa_system_sgpr_workgroup_id_y 0
		.amdhsa_system_sgpr_workgroup_id_z 0
		.amdhsa_system_sgpr_workgroup_info 0
		.amdhsa_system_vgpr_workitem_id 0
		.amdhsa_next_free_vgpr 1
		.amdhsa_next_free_sgpr 0
		.amdhsa_reserve_vcc 0
		.amdhsa_reserve_flat_scratch 0
		.amdhsa_float_round_mode_32 0
		.amdhsa_float_round_mode_16_64 0
		.amdhsa_float_denorm_mode_32 3
		.amdhsa_float_denorm_mode_16_64 3
		.amdhsa_dx10_clamp 1
		.amdhsa_ieee_mode 1
		.amdhsa_fp16_overflow 0
		.amdhsa_exception_fp_ieee_invalid_op 0
		.amdhsa_exception_fp_denorm_src 0
		.amdhsa_exception_fp_ieee_div_zero 0
		.amdhsa_exception_fp_ieee_overflow 0
		.amdhsa_exception_fp_ieee_underflow 0
		.amdhsa_exception_fp_ieee_inexact 0
		.amdhsa_exception_int_div_zero 0
	.end_amdhsa_kernel
	.section	.text._ZN7rocprim17ROCPRIM_400000_NS6detail17trampoline_kernelINS0_13select_configILj256ELj13ELNS0_17block_load_methodE3ELS4_3ELS4_3ELNS0_20block_scan_algorithmE0ELj4294967295EEENS1_25partition_config_selectorILNS1_17partition_subalgoE4EjNS0_10empty_typeEbEEZZNS1_14partition_implILS8_4ELb0ES6_15HIP_vector_typeIjLj2EENS0_17counting_iteratorIjlEEPS9_SG_NS0_5tupleIJPjSI_NS0_16reverse_iteratorISI_EEEEENSH_IJSG_SG_SG_EEES9_SI_JZNS1_25segmented_radix_sort_implINS0_14default_configELb0EPK6__halfPSP_PKlPlN2at6native12_GLOBAL__N_18offset_tEEE10hipError_tPvRmT1_PNSt15iterator_traitsIS13_E10value_typeET2_T3_PNS14_IS19_E10value_typeET4_jRbjT5_S1F_jjP12ihipStream_tbEUljE_ZNSN_ISO_Lb0ESR_SS_SU_SV_SZ_EES10_S11_S12_S13_S17_S18_S19_S1C_S1D_jS1E_jS1F_S1F_jjS1H_bEUljE0_EEES10_S11_S12_S19_S1D_S1F_T6_T7_T9_mT8_S1H_bDpT10_ENKUlT_T0_E_clISt17integral_constantIbLb1EES1U_IbLb0EEEEDaS1Q_S1R_EUlS1Q_E_NS1_11comp_targetILNS1_3genE5ELNS1_11target_archE942ELNS1_3gpuE9ELNS1_3repE0EEENS1_30default_config_static_selectorELNS0_4arch9wavefront6targetE1EEEvS13_,"axG",@progbits,_ZN7rocprim17ROCPRIM_400000_NS6detail17trampoline_kernelINS0_13select_configILj256ELj13ELNS0_17block_load_methodE3ELS4_3ELS4_3ELNS0_20block_scan_algorithmE0ELj4294967295EEENS1_25partition_config_selectorILNS1_17partition_subalgoE4EjNS0_10empty_typeEbEEZZNS1_14partition_implILS8_4ELb0ES6_15HIP_vector_typeIjLj2EENS0_17counting_iteratorIjlEEPS9_SG_NS0_5tupleIJPjSI_NS0_16reverse_iteratorISI_EEEEENSH_IJSG_SG_SG_EEES9_SI_JZNS1_25segmented_radix_sort_implINS0_14default_configELb0EPK6__halfPSP_PKlPlN2at6native12_GLOBAL__N_18offset_tEEE10hipError_tPvRmT1_PNSt15iterator_traitsIS13_E10value_typeET2_T3_PNS14_IS19_E10value_typeET4_jRbjT5_S1F_jjP12ihipStream_tbEUljE_ZNSN_ISO_Lb0ESR_SS_SU_SV_SZ_EES10_S11_S12_S13_S17_S18_S19_S1C_S1D_jS1E_jS1F_S1F_jjS1H_bEUljE0_EEES10_S11_S12_S19_S1D_S1F_T6_T7_T9_mT8_S1H_bDpT10_ENKUlT_T0_E_clISt17integral_constantIbLb1EES1U_IbLb0EEEEDaS1Q_S1R_EUlS1Q_E_NS1_11comp_targetILNS1_3genE5ELNS1_11target_archE942ELNS1_3gpuE9ELNS1_3repE0EEENS1_30default_config_static_selectorELNS0_4arch9wavefront6targetE1EEEvS13_,comdat
.Lfunc_end1795:
	.size	_ZN7rocprim17ROCPRIM_400000_NS6detail17trampoline_kernelINS0_13select_configILj256ELj13ELNS0_17block_load_methodE3ELS4_3ELS4_3ELNS0_20block_scan_algorithmE0ELj4294967295EEENS1_25partition_config_selectorILNS1_17partition_subalgoE4EjNS0_10empty_typeEbEEZZNS1_14partition_implILS8_4ELb0ES6_15HIP_vector_typeIjLj2EENS0_17counting_iteratorIjlEEPS9_SG_NS0_5tupleIJPjSI_NS0_16reverse_iteratorISI_EEEEENSH_IJSG_SG_SG_EEES9_SI_JZNS1_25segmented_radix_sort_implINS0_14default_configELb0EPK6__halfPSP_PKlPlN2at6native12_GLOBAL__N_18offset_tEEE10hipError_tPvRmT1_PNSt15iterator_traitsIS13_E10value_typeET2_T3_PNS14_IS19_E10value_typeET4_jRbjT5_S1F_jjP12ihipStream_tbEUljE_ZNSN_ISO_Lb0ESR_SS_SU_SV_SZ_EES10_S11_S12_S13_S17_S18_S19_S1C_S1D_jS1E_jS1F_S1F_jjS1H_bEUljE0_EEES10_S11_S12_S19_S1D_S1F_T6_T7_T9_mT8_S1H_bDpT10_ENKUlT_T0_E_clISt17integral_constantIbLb1EES1U_IbLb0EEEEDaS1Q_S1R_EUlS1Q_E_NS1_11comp_targetILNS1_3genE5ELNS1_11target_archE942ELNS1_3gpuE9ELNS1_3repE0EEENS1_30default_config_static_selectorELNS0_4arch9wavefront6targetE1EEEvS13_, .Lfunc_end1795-_ZN7rocprim17ROCPRIM_400000_NS6detail17trampoline_kernelINS0_13select_configILj256ELj13ELNS0_17block_load_methodE3ELS4_3ELS4_3ELNS0_20block_scan_algorithmE0ELj4294967295EEENS1_25partition_config_selectorILNS1_17partition_subalgoE4EjNS0_10empty_typeEbEEZZNS1_14partition_implILS8_4ELb0ES6_15HIP_vector_typeIjLj2EENS0_17counting_iteratorIjlEEPS9_SG_NS0_5tupleIJPjSI_NS0_16reverse_iteratorISI_EEEEENSH_IJSG_SG_SG_EEES9_SI_JZNS1_25segmented_radix_sort_implINS0_14default_configELb0EPK6__halfPSP_PKlPlN2at6native12_GLOBAL__N_18offset_tEEE10hipError_tPvRmT1_PNSt15iterator_traitsIS13_E10value_typeET2_T3_PNS14_IS19_E10value_typeET4_jRbjT5_S1F_jjP12ihipStream_tbEUljE_ZNSN_ISO_Lb0ESR_SS_SU_SV_SZ_EES10_S11_S12_S13_S17_S18_S19_S1C_S1D_jS1E_jS1F_S1F_jjS1H_bEUljE0_EEES10_S11_S12_S19_S1D_S1F_T6_T7_T9_mT8_S1H_bDpT10_ENKUlT_T0_E_clISt17integral_constantIbLb1EES1U_IbLb0EEEEDaS1Q_S1R_EUlS1Q_E_NS1_11comp_targetILNS1_3genE5ELNS1_11target_archE942ELNS1_3gpuE9ELNS1_3repE0EEENS1_30default_config_static_selectorELNS0_4arch9wavefront6targetE1EEEvS13_
                                        ; -- End function
	.set _ZN7rocprim17ROCPRIM_400000_NS6detail17trampoline_kernelINS0_13select_configILj256ELj13ELNS0_17block_load_methodE3ELS4_3ELS4_3ELNS0_20block_scan_algorithmE0ELj4294967295EEENS1_25partition_config_selectorILNS1_17partition_subalgoE4EjNS0_10empty_typeEbEEZZNS1_14partition_implILS8_4ELb0ES6_15HIP_vector_typeIjLj2EENS0_17counting_iteratorIjlEEPS9_SG_NS0_5tupleIJPjSI_NS0_16reverse_iteratorISI_EEEEENSH_IJSG_SG_SG_EEES9_SI_JZNS1_25segmented_radix_sort_implINS0_14default_configELb0EPK6__halfPSP_PKlPlN2at6native12_GLOBAL__N_18offset_tEEE10hipError_tPvRmT1_PNSt15iterator_traitsIS13_E10value_typeET2_T3_PNS14_IS19_E10value_typeET4_jRbjT5_S1F_jjP12ihipStream_tbEUljE_ZNSN_ISO_Lb0ESR_SS_SU_SV_SZ_EES10_S11_S12_S13_S17_S18_S19_S1C_S1D_jS1E_jS1F_S1F_jjS1H_bEUljE0_EEES10_S11_S12_S19_S1D_S1F_T6_T7_T9_mT8_S1H_bDpT10_ENKUlT_T0_E_clISt17integral_constantIbLb1EES1U_IbLb0EEEEDaS1Q_S1R_EUlS1Q_E_NS1_11comp_targetILNS1_3genE5ELNS1_11target_archE942ELNS1_3gpuE9ELNS1_3repE0EEENS1_30default_config_static_selectorELNS0_4arch9wavefront6targetE1EEEvS13_.num_vgpr, 0
	.set _ZN7rocprim17ROCPRIM_400000_NS6detail17trampoline_kernelINS0_13select_configILj256ELj13ELNS0_17block_load_methodE3ELS4_3ELS4_3ELNS0_20block_scan_algorithmE0ELj4294967295EEENS1_25partition_config_selectorILNS1_17partition_subalgoE4EjNS0_10empty_typeEbEEZZNS1_14partition_implILS8_4ELb0ES6_15HIP_vector_typeIjLj2EENS0_17counting_iteratorIjlEEPS9_SG_NS0_5tupleIJPjSI_NS0_16reverse_iteratorISI_EEEEENSH_IJSG_SG_SG_EEES9_SI_JZNS1_25segmented_radix_sort_implINS0_14default_configELb0EPK6__halfPSP_PKlPlN2at6native12_GLOBAL__N_18offset_tEEE10hipError_tPvRmT1_PNSt15iterator_traitsIS13_E10value_typeET2_T3_PNS14_IS19_E10value_typeET4_jRbjT5_S1F_jjP12ihipStream_tbEUljE_ZNSN_ISO_Lb0ESR_SS_SU_SV_SZ_EES10_S11_S12_S13_S17_S18_S19_S1C_S1D_jS1E_jS1F_S1F_jjS1H_bEUljE0_EEES10_S11_S12_S19_S1D_S1F_T6_T7_T9_mT8_S1H_bDpT10_ENKUlT_T0_E_clISt17integral_constantIbLb1EES1U_IbLb0EEEEDaS1Q_S1R_EUlS1Q_E_NS1_11comp_targetILNS1_3genE5ELNS1_11target_archE942ELNS1_3gpuE9ELNS1_3repE0EEENS1_30default_config_static_selectorELNS0_4arch9wavefront6targetE1EEEvS13_.num_agpr, 0
	.set _ZN7rocprim17ROCPRIM_400000_NS6detail17trampoline_kernelINS0_13select_configILj256ELj13ELNS0_17block_load_methodE3ELS4_3ELS4_3ELNS0_20block_scan_algorithmE0ELj4294967295EEENS1_25partition_config_selectorILNS1_17partition_subalgoE4EjNS0_10empty_typeEbEEZZNS1_14partition_implILS8_4ELb0ES6_15HIP_vector_typeIjLj2EENS0_17counting_iteratorIjlEEPS9_SG_NS0_5tupleIJPjSI_NS0_16reverse_iteratorISI_EEEEENSH_IJSG_SG_SG_EEES9_SI_JZNS1_25segmented_radix_sort_implINS0_14default_configELb0EPK6__halfPSP_PKlPlN2at6native12_GLOBAL__N_18offset_tEEE10hipError_tPvRmT1_PNSt15iterator_traitsIS13_E10value_typeET2_T3_PNS14_IS19_E10value_typeET4_jRbjT5_S1F_jjP12ihipStream_tbEUljE_ZNSN_ISO_Lb0ESR_SS_SU_SV_SZ_EES10_S11_S12_S13_S17_S18_S19_S1C_S1D_jS1E_jS1F_S1F_jjS1H_bEUljE0_EEES10_S11_S12_S19_S1D_S1F_T6_T7_T9_mT8_S1H_bDpT10_ENKUlT_T0_E_clISt17integral_constantIbLb1EES1U_IbLb0EEEEDaS1Q_S1R_EUlS1Q_E_NS1_11comp_targetILNS1_3genE5ELNS1_11target_archE942ELNS1_3gpuE9ELNS1_3repE0EEENS1_30default_config_static_selectorELNS0_4arch9wavefront6targetE1EEEvS13_.numbered_sgpr, 0
	.set _ZN7rocprim17ROCPRIM_400000_NS6detail17trampoline_kernelINS0_13select_configILj256ELj13ELNS0_17block_load_methodE3ELS4_3ELS4_3ELNS0_20block_scan_algorithmE0ELj4294967295EEENS1_25partition_config_selectorILNS1_17partition_subalgoE4EjNS0_10empty_typeEbEEZZNS1_14partition_implILS8_4ELb0ES6_15HIP_vector_typeIjLj2EENS0_17counting_iteratorIjlEEPS9_SG_NS0_5tupleIJPjSI_NS0_16reverse_iteratorISI_EEEEENSH_IJSG_SG_SG_EEES9_SI_JZNS1_25segmented_radix_sort_implINS0_14default_configELb0EPK6__halfPSP_PKlPlN2at6native12_GLOBAL__N_18offset_tEEE10hipError_tPvRmT1_PNSt15iterator_traitsIS13_E10value_typeET2_T3_PNS14_IS19_E10value_typeET4_jRbjT5_S1F_jjP12ihipStream_tbEUljE_ZNSN_ISO_Lb0ESR_SS_SU_SV_SZ_EES10_S11_S12_S13_S17_S18_S19_S1C_S1D_jS1E_jS1F_S1F_jjS1H_bEUljE0_EEES10_S11_S12_S19_S1D_S1F_T6_T7_T9_mT8_S1H_bDpT10_ENKUlT_T0_E_clISt17integral_constantIbLb1EES1U_IbLb0EEEEDaS1Q_S1R_EUlS1Q_E_NS1_11comp_targetILNS1_3genE5ELNS1_11target_archE942ELNS1_3gpuE9ELNS1_3repE0EEENS1_30default_config_static_selectorELNS0_4arch9wavefront6targetE1EEEvS13_.num_named_barrier, 0
	.set _ZN7rocprim17ROCPRIM_400000_NS6detail17trampoline_kernelINS0_13select_configILj256ELj13ELNS0_17block_load_methodE3ELS4_3ELS4_3ELNS0_20block_scan_algorithmE0ELj4294967295EEENS1_25partition_config_selectorILNS1_17partition_subalgoE4EjNS0_10empty_typeEbEEZZNS1_14partition_implILS8_4ELb0ES6_15HIP_vector_typeIjLj2EENS0_17counting_iteratorIjlEEPS9_SG_NS0_5tupleIJPjSI_NS0_16reverse_iteratorISI_EEEEENSH_IJSG_SG_SG_EEES9_SI_JZNS1_25segmented_radix_sort_implINS0_14default_configELb0EPK6__halfPSP_PKlPlN2at6native12_GLOBAL__N_18offset_tEEE10hipError_tPvRmT1_PNSt15iterator_traitsIS13_E10value_typeET2_T3_PNS14_IS19_E10value_typeET4_jRbjT5_S1F_jjP12ihipStream_tbEUljE_ZNSN_ISO_Lb0ESR_SS_SU_SV_SZ_EES10_S11_S12_S13_S17_S18_S19_S1C_S1D_jS1E_jS1F_S1F_jjS1H_bEUljE0_EEES10_S11_S12_S19_S1D_S1F_T6_T7_T9_mT8_S1H_bDpT10_ENKUlT_T0_E_clISt17integral_constantIbLb1EES1U_IbLb0EEEEDaS1Q_S1R_EUlS1Q_E_NS1_11comp_targetILNS1_3genE5ELNS1_11target_archE942ELNS1_3gpuE9ELNS1_3repE0EEENS1_30default_config_static_selectorELNS0_4arch9wavefront6targetE1EEEvS13_.private_seg_size, 0
	.set _ZN7rocprim17ROCPRIM_400000_NS6detail17trampoline_kernelINS0_13select_configILj256ELj13ELNS0_17block_load_methodE3ELS4_3ELS4_3ELNS0_20block_scan_algorithmE0ELj4294967295EEENS1_25partition_config_selectorILNS1_17partition_subalgoE4EjNS0_10empty_typeEbEEZZNS1_14partition_implILS8_4ELb0ES6_15HIP_vector_typeIjLj2EENS0_17counting_iteratorIjlEEPS9_SG_NS0_5tupleIJPjSI_NS0_16reverse_iteratorISI_EEEEENSH_IJSG_SG_SG_EEES9_SI_JZNS1_25segmented_radix_sort_implINS0_14default_configELb0EPK6__halfPSP_PKlPlN2at6native12_GLOBAL__N_18offset_tEEE10hipError_tPvRmT1_PNSt15iterator_traitsIS13_E10value_typeET2_T3_PNS14_IS19_E10value_typeET4_jRbjT5_S1F_jjP12ihipStream_tbEUljE_ZNSN_ISO_Lb0ESR_SS_SU_SV_SZ_EES10_S11_S12_S13_S17_S18_S19_S1C_S1D_jS1E_jS1F_S1F_jjS1H_bEUljE0_EEES10_S11_S12_S19_S1D_S1F_T6_T7_T9_mT8_S1H_bDpT10_ENKUlT_T0_E_clISt17integral_constantIbLb1EES1U_IbLb0EEEEDaS1Q_S1R_EUlS1Q_E_NS1_11comp_targetILNS1_3genE5ELNS1_11target_archE942ELNS1_3gpuE9ELNS1_3repE0EEENS1_30default_config_static_selectorELNS0_4arch9wavefront6targetE1EEEvS13_.uses_vcc, 0
	.set _ZN7rocprim17ROCPRIM_400000_NS6detail17trampoline_kernelINS0_13select_configILj256ELj13ELNS0_17block_load_methodE3ELS4_3ELS4_3ELNS0_20block_scan_algorithmE0ELj4294967295EEENS1_25partition_config_selectorILNS1_17partition_subalgoE4EjNS0_10empty_typeEbEEZZNS1_14partition_implILS8_4ELb0ES6_15HIP_vector_typeIjLj2EENS0_17counting_iteratorIjlEEPS9_SG_NS0_5tupleIJPjSI_NS0_16reverse_iteratorISI_EEEEENSH_IJSG_SG_SG_EEES9_SI_JZNS1_25segmented_radix_sort_implINS0_14default_configELb0EPK6__halfPSP_PKlPlN2at6native12_GLOBAL__N_18offset_tEEE10hipError_tPvRmT1_PNSt15iterator_traitsIS13_E10value_typeET2_T3_PNS14_IS19_E10value_typeET4_jRbjT5_S1F_jjP12ihipStream_tbEUljE_ZNSN_ISO_Lb0ESR_SS_SU_SV_SZ_EES10_S11_S12_S13_S17_S18_S19_S1C_S1D_jS1E_jS1F_S1F_jjS1H_bEUljE0_EEES10_S11_S12_S19_S1D_S1F_T6_T7_T9_mT8_S1H_bDpT10_ENKUlT_T0_E_clISt17integral_constantIbLb1EES1U_IbLb0EEEEDaS1Q_S1R_EUlS1Q_E_NS1_11comp_targetILNS1_3genE5ELNS1_11target_archE942ELNS1_3gpuE9ELNS1_3repE0EEENS1_30default_config_static_selectorELNS0_4arch9wavefront6targetE1EEEvS13_.uses_flat_scratch, 0
	.set _ZN7rocprim17ROCPRIM_400000_NS6detail17trampoline_kernelINS0_13select_configILj256ELj13ELNS0_17block_load_methodE3ELS4_3ELS4_3ELNS0_20block_scan_algorithmE0ELj4294967295EEENS1_25partition_config_selectorILNS1_17partition_subalgoE4EjNS0_10empty_typeEbEEZZNS1_14partition_implILS8_4ELb0ES6_15HIP_vector_typeIjLj2EENS0_17counting_iteratorIjlEEPS9_SG_NS0_5tupleIJPjSI_NS0_16reverse_iteratorISI_EEEEENSH_IJSG_SG_SG_EEES9_SI_JZNS1_25segmented_radix_sort_implINS0_14default_configELb0EPK6__halfPSP_PKlPlN2at6native12_GLOBAL__N_18offset_tEEE10hipError_tPvRmT1_PNSt15iterator_traitsIS13_E10value_typeET2_T3_PNS14_IS19_E10value_typeET4_jRbjT5_S1F_jjP12ihipStream_tbEUljE_ZNSN_ISO_Lb0ESR_SS_SU_SV_SZ_EES10_S11_S12_S13_S17_S18_S19_S1C_S1D_jS1E_jS1F_S1F_jjS1H_bEUljE0_EEES10_S11_S12_S19_S1D_S1F_T6_T7_T9_mT8_S1H_bDpT10_ENKUlT_T0_E_clISt17integral_constantIbLb1EES1U_IbLb0EEEEDaS1Q_S1R_EUlS1Q_E_NS1_11comp_targetILNS1_3genE5ELNS1_11target_archE942ELNS1_3gpuE9ELNS1_3repE0EEENS1_30default_config_static_selectorELNS0_4arch9wavefront6targetE1EEEvS13_.has_dyn_sized_stack, 0
	.set _ZN7rocprim17ROCPRIM_400000_NS6detail17trampoline_kernelINS0_13select_configILj256ELj13ELNS0_17block_load_methodE3ELS4_3ELS4_3ELNS0_20block_scan_algorithmE0ELj4294967295EEENS1_25partition_config_selectorILNS1_17partition_subalgoE4EjNS0_10empty_typeEbEEZZNS1_14partition_implILS8_4ELb0ES6_15HIP_vector_typeIjLj2EENS0_17counting_iteratorIjlEEPS9_SG_NS0_5tupleIJPjSI_NS0_16reverse_iteratorISI_EEEEENSH_IJSG_SG_SG_EEES9_SI_JZNS1_25segmented_radix_sort_implINS0_14default_configELb0EPK6__halfPSP_PKlPlN2at6native12_GLOBAL__N_18offset_tEEE10hipError_tPvRmT1_PNSt15iterator_traitsIS13_E10value_typeET2_T3_PNS14_IS19_E10value_typeET4_jRbjT5_S1F_jjP12ihipStream_tbEUljE_ZNSN_ISO_Lb0ESR_SS_SU_SV_SZ_EES10_S11_S12_S13_S17_S18_S19_S1C_S1D_jS1E_jS1F_S1F_jjS1H_bEUljE0_EEES10_S11_S12_S19_S1D_S1F_T6_T7_T9_mT8_S1H_bDpT10_ENKUlT_T0_E_clISt17integral_constantIbLb1EES1U_IbLb0EEEEDaS1Q_S1R_EUlS1Q_E_NS1_11comp_targetILNS1_3genE5ELNS1_11target_archE942ELNS1_3gpuE9ELNS1_3repE0EEENS1_30default_config_static_selectorELNS0_4arch9wavefront6targetE1EEEvS13_.has_recursion, 0
	.set _ZN7rocprim17ROCPRIM_400000_NS6detail17trampoline_kernelINS0_13select_configILj256ELj13ELNS0_17block_load_methodE3ELS4_3ELS4_3ELNS0_20block_scan_algorithmE0ELj4294967295EEENS1_25partition_config_selectorILNS1_17partition_subalgoE4EjNS0_10empty_typeEbEEZZNS1_14partition_implILS8_4ELb0ES6_15HIP_vector_typeIjLj2EENS0_17counting_iteratorIjlEEPS9_SG_NS0_5tupleIJPjSI_NS0_16reverse_iteratorISI_EEEEENSH_IJSG_SG_SG_EEES9_SI_JZNS1_25segmented_radix_sort_implINS0_14default_configELb0EPK6__halfPSP_PKlPlN2at6native12_GLOBAL__N_18offset_tEEE10hipError_tPvRmT1_PNSt15iterator_traitsIS13_E10value_typeET2_T3_PNS14_IS19_E10value_typeET4_jRbjT5_S1F_jjP12ihipStream_tbEUljE_ZNSN_ISO_Lb0ESR_SS_SU_SV_SZ_EES10_S11_S12_S13_S17_S18_S19_S1C_S1D_jS1E_jS1F_S1F_jjS1H_bEUljE0_EEES10_S11_S12_S19_S1D_S1F_T6_T7_T9_mT8_S1H_bDpT10_ENKUlT_T0_E_clISt17integral_constantIbLb1EES1U_IbLb0EEEEDaS1Q_S1R_EUlS1Q_E_NS1_11comp_targetILNS1_3genE5ELNS1_11target_archE942ELNS1_3gpuE9ELNS1_3repE0EEENS1_30default_config_static_selectorELNS0_4arch9wavefront6targetE1EEEvS13_.has_indirect_call, 0
	.section	.AMDGPU.csdata,"",@progbits
; Kernel info:
; codeLenInByte = 0
; TotalNumSgprs: 4
; NumVgprs: 0
; ScratchSize: 0
; MemoryBound: 0
; FloatMode: 240
; IeeeMode: 1
; LDSByteSize: 0 bytes/workgroup (compile time only)
; SGPRBlocks: 0
; VGPRBlocks: 0
; NumSGPRsForWavesPerEU: 4
; NumVGPRsForWavesPerEU: 1
; Occupancy: 10
; WaveLimiterHint : 0
; COMPUTE_PGM_RSRC2:SCRATCH_EN: 0
; COMPUTE_PGM_RSRC2:USER_SGPR: 6
; COMPUTE_PGM_RSRC2:TRAP_HANDLER: 0
; COMPUTE_PGM_RSRC2:TGID_X_EN: 1
; COMPUTE_PGM_RSRC2:TGID_Y_EN: 0
; COMPUTE_PGM_RSRC2:TGID_Z_EN: 0
; COMPUTE_PGM_RSRC2:TIDIG_COMP_CNT: 0
	.section	.text._ZN7rocprim17ROCPRIM_400000_NS6detail17trampoline_kernelINS0_13select_configILj256ELj13ELNS0_17block_load_methodE3ELS4_3ELS4_3ELNS0_20block_scan_algorithmE0ELj4294967295EEENS1_25partition_config_selectorILNS1_17partition_subalgoE4EjNS0_10empty_typeEbEEZZNS1_14partition_implILS8_4ELb0ES6_15HIP_vector_typeIjLj2EENS0_17counting_iteratorIjlEEPS9_SG_NS0_5tupleIJPjSI_NS0_16reverse_iteratorISI_EEEEENSH_IJSG_SG_SG_EEES9_SI_JZNS1_25segmented_radix_sort_implINS0_14default_configELb0EPK6__halfPSP_PKlPlN2at6native12_GLOBAL__N_18offset_tEEE10hipError_tPvRmT1_PNSt15iterator_traitsIS13_E10value_typeET2_T3_PNS14_IS19_E10value_typeET4_jRbjT5_S1F_jjP12ihipStream_tbEUljE_ZNSN_ISO_Lb0ESR_SS_SU_SV_SZ_EES10_S11_S12_S13_S17_S18_S19_S1C_S1D_jS1E_jS1F_S1F_jjS1H_bEUljE0_EEES10_S11_S12_S19_S1D_S1F_T6_T7_T9_mT8_S1H_bDpT10_ENKUlT_T0_E_clISt17integral_constantIbLb1EES1U_IbLb0EEEEDaS1Q_S1R_EUlS1Q_E_NS1_11comp_targetILNS1_3genE4ELNS1_11target_archE910ELNS1_3gpuE8ELNS1_3repE0EEENS1_30default_config_static_selectorELNS0_4arch9wavefront6targetE1EEEvS13_,"axG",@progbits,_ZN7rocprim17ROCPRIM_400000_NS6detail17trampoline_kernelINS0_13select_configILj256ELj13ELNS0_17block_load_methodE3ELS4_3ELS4_3ELNS0_20block_scan_algorithmE0ELj4294967295EEENS1_25partition_config_selectorILNS1_17partition_subalgoE4EjNS0_10empty_typeEbEEZZNS1_14partition_implILS8_4ELb0ES6_15HIP_vector_typeIjLj2EENS0_17counting_iteratorIjlEEPS9_SG_NS0_5tupleIJPjSI_NS0_16reverse_iteratorISI_EEEEENSH_IJSG_SG_SG_EEES9_SI_JZNS1_25segmented_radix_sort_implINS0_14default_configELb0EPK6__halfPSP_PKlPlN2at6native12_GLOBAL__N_18offset_tEEE10hipError_tPvRmT1_PNSt15iterator_traitsIS13_E10value_typeET2_T3_PNS14_IS19_E10value_typeET4_jRbjT5_S1F_jjP12ihipStream_tbEUljE_ZNSN_ISO_Lb0ESR_SS_SU_SV_SZ_EES10_S11_S12_S13_S17_S18_S19_S1C_S1D_jS1E_jS1F_S1F_jjS1H_bEUljE0_EEES10_S11_S12_S19_S1D_S1F_T6_T7_T9_mT8_S1H_bDpT10_ENKUlT_T0_E_clISt17integral_constantIbLb1EES1U_IbLb0EEEEDaS1Q_S1R_EUlS1Q_E_NS1_11comp_targetILNS1_3genE4ELNS1_11target_archE910ELNS1_3gpuE8ELNS1_3repE0EEENS1_30default_config_static_selectorELNS0_4arch9wavefront6targetE1EEEvS13_,comdat
	.globl	_ZN7rocprim17ROCPRIM_400000_NS6detail17trampoline_kernelINS0_13select_configILj256ELj13ELNS0_17block_load_methodE3ELS4_3ELS4_3ELNS0_20block_scan_algorithmE0ELj4294967295EEENS1_25partition_config_selectorILNS1_17partition_subalgoE4EjNS0_10empty_typeEbEEZZNS1_14partition_implILS8_4ELb0ES6_15HIP_vector_typeIjLj2EENS0_17counting_iteratorIjlEEPS9_SG_NS0_5tupleIJPjSI_NS0_16reverse_iteratorISI_EEEEENSH_IJSG_SG_SG_EEES9_SI_JZNS1_25segmented_radix_sort_implINS0_14default_configELb0EPK6__halfPSP_PKlPlN2at6native12_GLOBAL__N_18offset_tEEE10hipError_tPvRmT1_PNSt15iterator_traitsIS13_E10value_typeET2_T3_PNS14_IS19_E10value_typeET4_jRbjT5_S1F_jjP12ihipStream_tbEUljE_ZNSN_ISO_Lb0ESR_SS_SU_SV_SZ_EES10_S11_S12_S13_S17_S18_S19_S1C_S1D_jS1E_jS1F_S1F_jjS1H_bEUljE0_EEES10_S11_S12_S19_S1D_S1F_T6_T7_T9_mT8_S1H_bDpT10_ENKUlT_T0_E_clISt17integral_constantIbLb1EES1U_IbLb0EEEEDaS1Q_S1R_EUlS1Q_E_NS1_11comp_targetILNS1_3genE4ELNS1_11target_archE910ELNS1_3gpuE8ELNS1_3repE0EEENS1_30default_config_static_selectorELNS0_4arch9wavefront6targetE1EEEvS13_ ; -- Begin function _ZN7rocprim17ROCPRIM_400000_NS6detail17trampoline_kernelINS0_13select_configILj256ELj13ELNS0_17block_load_methodE3ELS4_3ELS4_3ELNS0_20block_scan_algorithmE0ELj4294967295EEENS1_25partition_config_selectorILNS1_17partition_subalgoE4EjNS0_10empty_typeEbEEZZNS1_14partition_implILS8_4ELb0ES6_15HIP_vector_typeIjLj2EENS0_17counting_iteratorIjlEEPS9_SG_NS0_5tupleIJPjSI_NS0_16reverse_iteratorISI_EEEEENSH_IJSG_SG_SG_EEES9_SI_JZNS1_25segmented_radix_sort_implINS0_14default_configELb0EPK6__halfPSP_PKlPlN2at6native12_GLOBAL__N_18offset_tEEE10hipError_tPvRmT1_PNSt15iterator_traitsIS13_E10value_typeET2_T3_PNS14_IS19_E10value_typeET4_jRbjT5_S1F_jjP12ihipStream_tbEUljE_ZNSN_ISO_Lb0ESR_SS_SU_SV_SZ_EES10_S11_S12_S13_S17_S18_S19_S1C_S1D_jS1E_jS1F_S1F_jjS1H_bEUljE0_EEES10_S11_S12_S19_S1D_S1F_T6_T7_T9_mT8_S1H_bDpT10_ENKUlT_T0_E_clISt17integral_constantIbLb1EES1U_IbLb0EEEEDaS1Q_S1R_EUlS1Q_E_NS1_11comp_targetILNS1_3genE4ELNS1_11target_archE910ELNS1_3gpuE8ELNS1_3repE0EEENS1_30default_config_static_selectorELNS0_4arch9wavefront6targetE1EEEvS13_
	.p2align	8
	.type	_ZN7rocprim17ROCPRIM_400000_NS6detail17trampoline_kernelINS0_13select_configILj256ELj13ELNS0_17block_load_methodE3ELS4_3ELS4_3ELNS0_20block_scan_algorithmE0ELj4294967295EEENS1_25partition_config_selectorILNS1_17partition_subalgoE4EjNS0_10empty_typeEbEEZZNS1_14partition_implILS8_4ELb0ES6_15HIP_vector_typeIjLj2EENS0_17counting_iteratorIjlEEPS9_SG_NS0_5tupleIJPjSI_NS0_16reverse_iteratorISI_EEEEENSH_IJSG_SG_SG_EEES9_SI_JZNS1_25segmented_radix_sort_implINS0_14default_configELb0EPK6__halfPSP_PKlPlN2at6native12_GLOBAL__N_18offset_tEEE10hipError_tPvRmT1_PNSt15iterator_traitsIS13_E10value_typeET2_T3_PNS14_IS19_E10value_typeET4_jRbjT5_S1F_jjP12ihipStream_tbEUljE_ZNSN_ISO_Lb0ESR_SS_SU_SV_SZ_EES10_S11_S12_S13_S17_S18_S19_S1C_S1D_jS1E_jS1F_S1F_jjS1H_bEUljE0_EEES10_S11_S12_S19_S1D_S1F_T6_T7_T9_mT8_S1H_bDpT10_ENKUlT_T0_E_clISt17integral_constantIbLb1EES1U_IbLb0EEEEDaS1Q_S1R_EUlS1Q_E_NS1_11comp_targetILNS1_3genE4ELNS1_11target_archE910ELNS1_3gpuE8ELNS1_3repE0EEENS1_30default_config_static_selectorELNS0_4arch9wavefront6targetE1EEEvS13_,@function
_ZN7rocprim17ROCPRIM_400000_NS6detail17trampoline_kernelINS0_13select_configILj256ELj13ELNS0_17block_load_methodE3ELS4_3ELS4_3ELNS0_20block_scan_algorithmE0ELj4294967295EEENS1_25partition_config_selectorILNS1_17partition_subalgoE4EjNS0_10empty_typeEbEEZZNS1_14partition_implILS8_4ELb0ES6_15HIP_vector_typeIjLj2EENS0_17counting_iteratorIjlEEPS9_SG_NS0_5tupleIJPjSI_NS0_16reverse_iteratorISI_EEEEENSH_IJSG_SG_SG_EEES9_SI_JZNS1_25segmented_radix_sort_implINS0_14default_configELb0EPK6__halfPSP_PKlPlN2at6native12_GLOBAL__N_18offset_tEEE10hipError_tPvRmT1_PNSt15iterator_traitsIS13_E10value_typeET2_T3_PNS14_IS19_E10value_typeET4_jRbjT5_S1F_jjP12ihipStream_tbEUljE_ZNSN_ISO_Lb0ESR_SS_SU_SV_SZ_EES10_S11_S12_S13_S17_S18_S19_S1C_S1D_jS1E_jS1F_S1F_jjS1H_bEUljE0_EEES10_S11_S12_S19_S1D_S1F_T6_T7_T9_mT8_S1H_bDpT10_ENKUlT_T0_E_clISt17integral_constantIbLb1EES1U_IbLb0EEEEDaS1Q_S1R_EUlS1Q_E_NS1_11comp_targetILNS1_3genE4ELNS1_11target_archE910ELNS1_3gpuE8ELNS1_3repE0EEENS1_30default_config_static_selectorELNS0_4arch9wavefront6targetE1EEEvS13_: ; @_ZN7rocprim17ROCPRIM_400000_NS6detail17trampoline_kernelINS0_13select_configILj256ELj13ELNS0_17block_load_methodE3ELS4_3ELS4_3ELNS0_20block_scan_algorithmE0ELj4294967295EEENS1_25partition_config_selectorILNS1_17partition_subalgoE4EjNS0_10empty_typeEbEEZZNS1_14partition_implILS8_4ELb0ES6_15HIP_vector_typeIjLj2EENS0_17counting_iteratorIjlEEPS9_SG_NS0_5tupleIJPjSI_NS0_16reverse_iteratorISI_EEEEENSH_IJSG_SG_SG_EEES9_SI_JZNS1_25segmented_radix_sort_implINS0_14default_configELb0EPK6__halfPSP_PKlPlN2at6native12_GLOBAL__N_18offset_tEEE10hipError_tPvRmT1_PNSt15iterator_traitsIS13_E10value_typeET2_T3_PNS14_IS19_E10value_typeET4_jRbjT5_S1F_jjP12ihipStream_tbEUljE_ZNSN_ISO_Lb0ESR_SS_SU_SV_SZ_EES10_S11_S12_S13_S17_S18_S19_S1C_S1D_jS1E_jS1F_S1F_jjS1H_bEUljE0_EEES10_S11_S12_S19_S1D_S1F_T6_T7_T9_mT8_S1H_bDpT10_ENKUlT_T0_E_clISt17integral_constantIbLb1EES1U_IbLb0EEEEDaS1Q_S1R_EUlS1Q_E_NS1_11comp_targetILNS1_3genE4ELNS1_11target_archE910ELNS1_3gpuE8ELNS1_3repE0EEENS1_30default_config_static_selectorELNS0_4arch9wavefront6targetE1EEEvS13_
; %bb.0:
	.section	.rodata,"a",@progbits
	.p2align	6, 0x0
	.amdhsa_kernel _ZN7rocprim17ROCPRIM_400000_NS6detail17trampoline_kernelINS0_13select_configILj256ELj13ELNS0_17block_load_methodE3ELS4_3ELS4_3ELNS0_20block_scan_algorithmE0ELj4294967295EEENS1_25partition_config_selectorILNS1_17partition_subalgoE4EjNS0_10empty_typeEbEEZZNS1_14partition_implILS8_4ELb0ES6_15HIP_vector_typeIjLj2EENS0_17counting_iteratorIjlEEPS9_SG_NS0_5tupleIJPjSI_NS0_16reverse_iteratorISI_EEEEENSH_IJSG_SG_SG_EEES9_SI_JZNS1_25segmented_radix_sort_implINS0_14default_configELb0EPK6__halfPSP_PKlPlN2at6native12_GLOBAL__N_18offset_tEEE10hipError_tPvRmT1_PNSt15iterator_traitsIS13_E10value_typeET2_T3_PNS14_IS19_E10value_typeET4_jRbjT5_S1F_jjP12ihipStream_tbEUljE_ZNSN_ISO_Lb0ESR_SS_SU_SV_SZ_EES10_S11_S12_S13_S17_S18_S19_S1C_S1D_jS1E_jS1F_S1F_jjS1H_bEUljE0_EEES10_S11_S12_S19_S1D_S1F_T6_T7_T9_mT8_S1H_bDpT10_ENKUlT_T0_E_clISt17integral_constantIbLb1EES1U_IbLb0EEEEDaS1Q_S1R_EUlS1Q_E_NS1_11comp_targetILNS1_3genE4ELNS1_11target_archE910ELNS1_3gpuE8ELNS1_3repE0EEENS1_30default_config_static_selectorELNS0_4arch9wavefront6targetE1EEEvS13_
		.amdhsa_group_segment_fixed_size 0
		.amdhsa_private_segment_fixed_size 0
		.amdhsa_kernarg_size 176
		.amdhsa_user_sgpr_count 6
		.amdhsa_user_sgpr_private_segment_buffer 1
		.amdhsa_user_sgpr_dispatch_ptr 0
		.amdhsa_user_sgpr_queue_ptr 0
		.amdhsa_user_sgpr_kernarg_segment_ptr 1
		.amdhsa_user_sgpr_dispatch_id 0
		.amdhsa_user_sgpr_flat_scratch_init 0
		.amdhsa_user_sgpr_private_segment_size 0
		.amdhsa_uses_dynamic_stack 0
		.amdhsa_system_sgpr_private_segment_wavefront_offset 0
		.amdhsa_system_sgpr_workgroup_id_x 1
		.amdhsa_system_sgpr_workgroup_id_y 0
		.amdhsa_system_sgpr_workgroup_id_z 0
		.amdhsa_system_sgpr_workgroup_info 0
		.amdhsa_system_vgpr_workitem_id 0
		.amdhsa_next_free_vgpr 1
		.amdhsa_next_free_sgpr 0
		.amdhsa_reserve_vcc 0
		.amdhsa_reserve_flat_scratch 0
		.amdhsa_float_round_mode_32 0
		.amdhsa_float_round_mode_16_64 0
		.amdhsa_float_denorm_mode_32 3
		.amdhsa_float_denorm_mode_16_64 3
		.amdhsa_dx10_clamp 1
		.amdhsa_ieee_mode 1
		.amdhsa_fp16_overflow 0
		.amdhsa_exception_fp_ieee_invalid_op 0
		.amdhsa_exception_fp_denorm_src 0
		.amdhsa_exception_fp_ieee_div_zero 0
		.amdhsa_exception_fp_ieee_overflow 0
		.amdhsa_exception_fp_ieee_underflow 0
		.amdhsa_exception_fp_ieee_inexact 0
		.amdhsa_exception_int_div_zero 0
	.end_amdhsa_kernel
	.section	.text._ZN7rocprim17ROCPRIM_400000_NS6detail17trampoline_kernelINS0_13select_configILj256ELj13ELNS0_17block_load_methodE3ELS4_3ELS4_3ELNS0_20block_scan_algorithmE0ELj4294967295EEENS1_25partition_config_selectorILNS1_17partition_subalgoE4EjNS0_10empty_typeEbEEZZNS1_14partition_implILS8_4ELb0ES6_15HIP_vector_typeIjLj2EENS0_17counting_iteratorIjlEEPS9_SG_NS0_5tupleIJPjSI_NS0_16reverse_iteratorISI_EEEEENSH_IJSG_SG_SG_EEES9_SI_JZNS1_25segmented_radix_sort_implINS0_14default_configELb0EPK6__halfPSP_PKlPlN2at6native12_GLOBAL__N_18offset_tEEE10hipError_tPvRmT1_PNSt15iterator_traitsIS13_E10value_typeET2_T3_PNS14_IS19_E10value_typeET4_jRbjT5_S1F_jjP12ihipStream_tbEUljE_ZNSN_ISO_Lb0ESR_SS_SU_SV_SZ_EES10_S11_S12_S13_S17_S18_S19_S1C_S1D_jS1E_jS1F_S1F_jjS1H_bEUljE0_EEES10_S11_S12_S19_S1D_S1F_T6_T7_T9_mT8_S1H_bDpT10_ENKUlT_T0_E_clISt17integral_constantIbLb1EES1U_IbLb0EEEEDaS1Q_S1R_EUlS1Q_E_NS1_11comp_targetILNS1_3genE4ELNS1_11target_archE910ELNS1_3gpuE8ELNS1_3repE0EEENS1_30default_config_static_selectorELNS0_4arch9wavefront6targetE1EEEvS13_,"axG",@progbits,_ZN7rocprim17ROCPRIM_400000_NS6detail17trampoline_kernelINS0_13select_configILj256ELj13ELNS0_17block_load_methodE3ELS4_3ELS4_3ELNS0_20block_scan_algorithmE0ELj4294967295EEENS1_25partition_config_selectorILNS1_17partition_subalgoE4EjNS0_10empty_typeEbEEZZNS1_14partition_implILS8_4ELb0ES6_15HIP_vector_typeIjLj2EENS0_17counting_iteratorIjlEEPS9_SG_NS0_5tupleIJPjSI_NS0_16reverse_iteratorISI_EEEEENSH_IJSG_SG_SG_EEES9_SI_JZNS1_25segmented_radix_sort_implINS0_14default_configELb0EPK6__halfPSP_PKlPlN2at6native12_GLOBAL__N_18offset_tEEE10hipError_tPvRmT1_PNSt15iterator_traitsIS13_E10value_typeET2_T3_PNS14_IS19_E10value_typeET4_jRbjT5_S1F_jjP12ihipStream_tbEUljE_ZNSN_ISO_Lb0ESR_SS_SU_SV_SZ_EES10_S11_S12_S13_S17_S18_S19_S1C_S1D_jS1E_jS1F_S1F_jjS1H_bEUljE0_EEES10_S11_S12_S19_S1D_S1F_T6_T7_T9_mT8_S1H_bDpT10_ENKUlT_T0_E_clISt17integral_constantIbLb1EES1U_IbLb0EEEEDaS1Q_S1R_EUlS1Q_E_NS1_11comp_targetILNS1_3genE4ELNS1_11target_archE910ELNS1_3gpuE8ELNS1_3repE0EEENS1_30default_config_static_selectorELNS0_4arch9wavefront6targetE1EEEvS13_,comdat
.Lfunc_end1796:
	.size	_ZN7rocprim17ROCPRIM_400000_NS6detail17trampoline_kernelINS0_13select_configILj256ELj13ELNS0_17block_load_methodE3ELS4_3ELS4_3ELNS0_20block_scan_algorithmE0ELj4294967295EEENS1_25partition_config_selectorILNS1_17partition_subalgoE4EjNS0_10empty_typeEbEEZZNS1_14partition_implILS8_4ELb0ES6_15HIP_vector_typeIjLj2EENS0_17counting_iteratorIjlEEPS9_SG_NS0_5tupleIJPjSI_NS0_16reverse_iteratorISI_EEEEENSH_IJSG_SG_SG_EEES9_SI_JZNS1_25segmented_radix_sort_implINS0_14default_configELb0EPK6__halfPSP_PKlPlN2at6native12_GLOBAL__N_18offset_tEEE10hipError_tPvRmT1_PNSt15iterator_traitsIS13_E10value_typeET2_T3_PNS14_IS19_E10value_typeET4_jRbjT5_S1F_jjP12ihipStream_tbEUljE_ZNSN_ISO_Lb0ESR_SS_SU_SV_SZ_EES10_S11_S12_S13_S17_S18_S19_S1C_S1D_jS1E_jS1F_S1F_jjS1H_bEUljE0_EEES10_S11_S12_S19_S1D_S1F_T6_T7_T9_mT8_S1H_bDpT10_ENKUlT_T0_E_clISt17integral_constantIbLb1EES1U_IbLb0EEEEDaS1Q_S1R_EUlS1Q_E_NS1_11comp_targetILNS1_3genE4ELNS1_11target_archE910ELNS1_3gpuE8ELNS1_3repE0EEENS1_30default_config_static_selectorELNS0_4arch9wavefront6targetE1EEEvS13_, .Lfunc_end1796-_ZN7rocprim17ROCPRIM_400000_NS6detail17trampoline_kernelINS0_13select_configILj256ELj13ELNS0_17block_load_methodE3ELS4_3ELS4_3ELNS0_20block_scan_algorithmE0ELj4294967295EEENS1_25partition_config_selectorILNS1_17partition_subalgoE4EjNS0_10empty_typeEbEEZZNS1_14partition_implILS8_4ELb0ES6_15HIP_vector_typeIjLj2EENS0_17counting_iteratorIjlEEPS9_SG_NS0_5tupleIJPjSI_NS0_16reverse_iteratorISI_EEEEENSH_IJSG_SG_SG_EEES9_SI_JZNS1_25segmented_radix_sort_implINS0_14default_configELb0EPK6__halfPSP_PKlPlN2at6native12_GLOBAL__N_18offset_tEEE10hipError_tPvRmT1_PNSt15iterator_traitsIS13_E10value_typeET2_T3_PNS14_IS19_E10value_typeET4_jRbjT5_S1F_jjP12ihipStream_tbEUljE_ZNSN_ISO_Lb0ESR_SS_SU_SV_SZ_EES10_S11_S12_S13_S17_S18_S19_S1C_S1D_jS1E_jS1F_S1F_jjS1H_bEUljE0_EEES10_S11_S12_S19_S1D_S1F_T6_T7_T9_mT8_S1H_bDpT10_ENKUlT_T0_E_clISt17integral_constantIbLb1EES1U_IbLb0EEEEDaS1Q_S1R_EUlS1Q_E_NS1_11comp_targetILNS1_3genE4ELNS1_11target_archE910ELNS1_3gpuE8ELNS1_3repE0EEENS1_30default_config_static_selectorELNS0_4arch9wavefront6targetE1EEEvS13_
                                        ; -- End function
	.set _ZN7rocprim17ROCPRIM_400000_NS6detail17trampoline_kernelINS0_13select_configILj256ELj13ELNS0_17block_load_methodE3ELS4_3ELS4_3ELNS0_20block_scan_algorithmE0ELj4294967295EEENS1_25partition_config_selectorILNS1_17partition_subalgoE4EjNS0_10empty_typeEbEEZZNS1_14partition_implILS8_4ELb0ES6_15HIP_vector_typeIjLj2EENS0_17counting_iteratorIjlEEPS9_SG_NS0_5tupleIJPjSI_NS0_16reverse_iteratorISI_EEEEENSH_IJSG_SG_SG_EEES9_SI_JZNS1_25segmented_radix_sort_implINS0_14default_configELb0EPK6__halfPSP_PKlPlN2at6native12_GLOBAL__N_18offset_tEEE10hipError_tPvRmT1_PNSt15iterator_traitsIS13_E10value_typeET2_T3_PNS14_IS19_E10value_typeET4_jRbjT5_S1F_jjP12ihipStream_tbEUljE_ZNSN_ISO_Lb0ESR_SS_SU_SV_SZ_EES10_S11_S12_S13_S17_S18_S19_S1C_S1D_jS1E_jS1F_S1F_jjS1H_bEUljE0_EEES10_S11_S12_S19_S1D_S1F_T6_T7_T9_mT8_S1H_bDpT10_ENKUlT_T0_E_clISt17integral_constantIbLb1EES1U_IbLb0EEEEDaS1Q_S1R_EUlS1Q_E_NS1_11comp_targetILNS1_3genE4ELNS1_11target_archE910ELNS1_3gpuE8ELNS1_3repE0EEENS1_30default_config_static_selectorELNS0_4arch9wavefront6targetE1EEEvS13_.num_vgpr, 0
	.set _ZN7rocprim17ROCPRIM_400000_NS6detail17trampoline_kernelINS0_13select_configILj256ELj13ELNS0_17block_load_methodE3ELS4_3ELS4_3ELNS0_20block_scan_algorithmE0ELj4294967295EEENS1_25partition_config_selectorILNS1_17partition_subalgoE4EjNS0_10empty_typeEbEEZZNS1_14partition_implILS8_4ELb0ES6_15HIP_vector_typeIjLj2EENS0_17counting_iteratorIjlEEPS9_SG_NS0_5tupleIJPjSI_NS0_16reverse_iteratorISI_EEEEENSH_IJSG_SG_SG_EEES9_SI_JZNS1_25segmented_radix_sort_implINS0_14default_configELb0EPK6__halfPSP_PKlPlN2at6native12_GLOBAL__N_18offset_tEEE10hipError_tPvRmT1_PNSt15iterator_traitsIS13_E10value_typeET2_T3_PNS14_IS19_E10value_typeET4_jRbjT5_S1F_jjP12ihipStream_tbEUljE_ZNSN_ISO_Lb0ESR_SS_SU_SV_SZ_EES10_S11_S12_S13_S17_S18_S19_S1C_S1D_jS1E_jS1F_S1F_jjS1H_bEUljE0_EEES10_S11_S12_S19_S1D_S1F_T6_T7_T9_mT8_S1H_bDpT10_ENKUlT_T0_E_clISt17integral_constantIbLb1EES1U_IbLb0EEEEDaS1Q_S1R_EUlS1Q_E_NS1_11comp_targetILNS1_3genE4ELNS1_11target_archE910ELNS1_3gpuE8ELNS1_3repE0EEENS1_30default_config_static_selectorELNS0_4arch9wavefront6targetE1EEEvS13_.num_agpr, 0
	.set _ZN7rocprim17ROCPRIM_400000_NS6detail17trampoline_kernelINS0_13select_configILj256ELj13ELNS0_17block_load_methodE3ELS4_3ELS4_3ELNS0_20block_scan_algorithmE0ELj4294967295EEENS1_25partition_config_selectorILNS1_17partition_subalgoE4EjNS0_10empty_typeEbEEZZNS1_14partition_implILS8_4ELb0ES6_15HIP_vector_typeIjLj2EENS0_17counting_iteratorIjlEEPS9_SG_NS0_5tupleIJPjSI_NS0_16reverse_iteratorISI_EEEEENSH_IJSG_SG_SG_EEES9_SI_JZNS1_25segmented_radix_sort_implINS0_14default_configELb0EPK6__halfPSP_PKlPlN2at6native12_GLOBAL__N_18offset_tEEE10hipError_tPvRmT1_PNSt15iterator_traitsIS13_E10value_typeET2_T3_PNS14_IS19_E10value_typeET4_jRbjT5_S1F_jjP12ihipStream_tbEUljE_ZNSN_ISO_Lb0ESR_SS_SU_SV_SZ_EES10_S11_S12_S13_S17_S18_S19_S1C_S1D_jS1E_jS1F_S1F_jjS1H_bEUljE0_EEES10_S11_S12_S19_S1D_S1F_T6_T7_T9_mT8_S1H_bDpT10_ENKUlT_T0_E_clISt17integral_constantIbLb1EES1U_IbLb0EEEEDaS1Q_S1R_EUlS1Q_E_NS1_11comp_targetILNS1_3genE4ELNS1_11target_archE910ELNS1_3gpuE8ELNS1_3repE0EEENS1_30default_config_static_selectorELNS0_4arch9wavefront6targetE1EEEvS13_.numbered_sgpr, 0
	.set _ZN7rocprim17ROCPRIM_400000_NS6detail17trampoline_kernelINS0_13select_configILj256ELj13ELNS0_17block_load_methodE3ELS4_3ELS4_3ELNS0_20block_scan_algorithmE0ELj4294967295EEENS1_25partition_config_selectorILNS1_17partition_subalgoE4EjNS0_10empty_typeEbEEZZNS1_14partition_implILS8_4ELb0ES6_15HIP_vector_typeIjLj2EENS0_17counting_iteratorIjlEEPS9_SG_NS0_5tupleIJPjSI_NS0_16reverse_iteratorISI_EEEEENSH_IJSG_SG_SG_EEES9_SI_JZNS1_25segmented_radix_sort_implINS0_14default_configELb0EPK6__halfPSP_PKlPlN2at6native12_GLOBAL__N_18offset_tEEE10hipError_tPvRmT1_PNSt15iterator_traitsIS13_E10value_typeET2_T3_PNS14_IS19_E10value_typeET4_jRbjT5_S1F_jjP12ihipStream_tbEUljE_ZNSN_ISO_Lb0ESR_SS_SU_SV_SZ_EES10_S11_S12_S13_S17_S18_S19_S1C_S1D_jS1E_jS1F_S1F_jjS1H_bEUljE0_EEES10_S11_S12_S19_S1D_S1F_T6_T7_T9_mT8_S1H_bDpT10_ENKUlT_T0_E_clISt17integral_constantIbLb1EES1U_IbLb0EEEEDaS1Q_S1R_EUlS1Q_E_NS1_11comp_targetILNS1_3genE4ELNS1_11target_archE910ELNS1_3gpuE8ELNS1_3repE0EEENS1_30default_config_static_selectorELNS0_4arch9wavefront6targetE1EEEvS13_.num_named_barrier, 0
	.set _ZN7rocprim17ROCPRIM_400000_NS6detail17trampoline_kernelINS0_13select_configILj256ELj13ELNS0_17block_load_methodE3ELS4_3ELS4_3ELNS0_20block_scan_algorithmE0ELj4294967295EEENS1_25partition_config_selectorILNS1_17partition_subalgoE4EjNS0_10empty_typeEbEEZZNS1_14partition_implILS8_4ELb0ES6_15HIP_vector_typeIjLj2EENS0_17counting_iteratorIjlEEPS9_SG_NS0_5tupleIJPjSI_NS0_16reverse_iteratorISI_EEEEENSH_IJSG_SG_SG_EEES9_SI_JZNS1_25segmented_radix_sort_implINS0_14default_configELb0EPK6__halfPSP_PKlPlN2at6native12_GLOBAL__N_18offset_tEEE10hipError_tPvRmT1_PNSt15iterator_traitsIS13_E10value_typeET2_T3_PNS14_IS19_E10value_typeET4_jRbjT5_S1F_jjP12ihipStream_tbEUljE_ZNSN_ISO_Lb0ESR_SS_SU_SV_SZ_EES10_S11_S12_S13_S17_S18_S19_S1C_S1D_jS1E_jS1F_S1F_jjS1H_bEUljE0_EEES10_S11_S12_S19_S1D_S1F_T6_T7_T9_mT8_S1H_bDpT10_ENKUlT_T0_E_clISt17integral_constantIbLb1EES1U_IbLb0EEEEDaS1Q_S1R_EUlS1Q_E_NS1_11comp_targetILNS1_3genE4ELNS1_11target_archE910ELNS1_3gpuE8ELNS1_3repE0EEENS1_30default_config_static_selectorELNS0_4arch9wavefront6targetE1EEEvS13_.private_seg_size, 0
	.set _ZN7rocprim17ROCPRIM_400000_NS6detail17trampoline_kernelINS0_13select_configILj256ELj13ELNS0_17block_load_methodE3ELS4_3ELS4_3ELNS0_20block_scan_algorithmE0ELj4294967295EEENS1_25partition_config_selectorILNS1_17partition_subalgoE4EjNS0_10empty_typeEbEEZZNS1_14partition_implILS8_4ELb0ES6_15HIP_vector_typeIjLj2EENS0_17counting_iteratorIjlEEPS9_SG_NS0_5tupleIJPjSI_NS0_16reverse_iteratorISI_EEEEENSH_IJSG_SG_SG_EEES9_SI_JZNS1_25segmented_radix_sort_implINS0_14default_configELb0EPK6__halfPSP_PKlPlN2at6native12_GLOBAL__N_18offset_tEEE10hipError_tPvRmT1_PNSt15iterator_traitsIS13_E10value_typeET2_T3_PNS14_IS19_E10value_typeET4_jRbjT5_S1F_jjP12ihipStream_tbEUljE_ZNSN_ISO_Lb0ESR_SS_SU_SV_SZ_EES10_S11_S12_S13_S17_S18_S19_S1C_S1D_jS1E_jS1F_S1F_jjS1H_bEUljE0_EEES10_S11_S12_S19_S1D_S1F_T6_T7_T9_mT8_S1H_bDpT10_ENKUlT_T0_E_clISt17integral_constantIbLb1EES1U_IbLb0EEEEDaS1Q_S1R_EUlS1Q_E_NS1_11comp_targetILNS1_3genE4ELNS1_11target_archE910ELNS1_3gpuE8ELNS1_3repE0EEENS1_30default_config_static_selectorELNS0_4arch9wavefront6targetE1EEEvS13_.uses_vcc, 0
	.set _ZN7rocprim17ROCPRIM_400000_NS6detail17trampoline_kernelINS0_13select_configILj256ELj13ELNS0_17block_load_methodE3ELS4_3ELS4_3ELNS0_20block_scan_algorithmE0ELj4294967295EEENS1_25partition_config_selectorILNS1_17partition_subalgoE4EjNS0_10empty_typeEbEEZZNS1_14partition_implILS8_4ELb0ES6_15HIP_vector_typeIjLj2EENS0_17counting_iteratorIjlEEPS9_SG_NS0_5tupleIJPjSI_NS0_16reverse_iteratorISI_EEEEENSH_IJSG_SG_SG_EEES9_SI_JZNS1_25segmented_radix_sort_implINS0_14default_configELb0EPK6__halfPSP_PKlPlN2at6native12_GLOBAL__N_18offset_tEEE10hipError_tPvRmT1_PNSt15iterator_traitsIS13_E10value_typeET2_T3_PNS14_IS19_E10value_typeET4_jRbjT5_S1F_jjP12ihipStream_tbEUljE_ZNSN_ISO_Lb0ESR_SS_SU_SV_SZ_EES10_S11_S12_S13_S17_S18_S19_S1C_S1D_jS1E_jS1F_S1F_jjS1H_bEUljE0_EEES10_S11_S12_S19_S1D_S1F_T6_T7_T9_mT8_S1H_bDpT10_ENKUlT_T0_E_clISt17integral_constantIbLb1EES1U_IbLb0EEEEDaS1Q_S1R_EUlS1Q_E_NS1_11comp_targetILNS1_3genE4ELNS1_11target_archE910ELNS1_3gpuE8ELNS1_3repE0EEENS1_30default_config_static_selectorELNS0_4arch9wavefront6targetE1EEEvS13_.uses_flat_scratch, 0
	.set _ZN7rocprim17ROCPRIM_400000_NS6detail17trampoline_kernelINS0_13select_configILj256ELj13ELNS0_17block_load_methodE3ELS4_3ELS4_3ELNS0_20block_scan_algorithmE0ELj4294967295EEENS1_25partition_config_selectorILNS1_17partition_subalgoE4EjNS0_10empty_typeEbEEZZNS1_14partition_implILS8_4ELb0ES6_15HIP_vector_typeIjLj2EENS0_17counting_iteratorIjlEEPS9_SG_NS0_5tupleIJPjSI_NS0_16reverse_iteratorISI_EEEEENSH_IJSG_SG_SG_EEES9_SI_JZNS1_25segmented_radix_sort_implINS0_14default_configELb0EPK6__halfPSP_PKlPlN2at6native12_GLOBAL__N_18offset_tEEE10hipError_tPvRmT1_PNSt15iterator_traitsIS13_E10value_typeET2_T3_PNS14_IS19_E10value_typeET4_jRbjT5_S1F_jjP12ihipStream_tbEUljE_ZNSN_ISO_Lb0ESR_SS_SU_SV_SZ_EES10_S11_S12_S13_S17_S18_S19_S1C_S1D_jS1E_jS1F_S1F_jjS1H_bEUljE0_EEES10_S11_S12_S19_S1D_S1F_T6_T7_T9_mT8_S1H_bDpT10_ENKUlT_T0_E_clISt17integral_constantIbLb1EES1U_IbLb0EEEEDaS1Q_S1R_EUlS1Q_E_NS1_11comp_targetILNS1_3genE4ELNS1_11target_archE910ELNS1_3gpuE8ELNS1_3repE0EEENS1_30default_config_static_selectorELNS0_4arch9wavefront6targetE1EEEvS13_.has_dyn_sized_stack, 0
	.set _ZN7rocprim17ROCPRIM_400000_NS6detail17trampoline_kernelINS0_13select_configILj256ELj13ELNS0_17block_load_methodE3ELS4_3ELS4_3ELNS0_20block_scan_algorithmE0ELj4294967295EEENS1_25partition_config_selectorILNS1_17partition_subalgoE4EjNS0_10empty_typeEbEEZZNS1_14partition_implILS8_4ELb0ES6_15HIP_vector_typeIjLj2EENS0_17counting_iteratorIjlEEPS9_SG_NS0_5tupleIJPjSI_NS0_16reverse_iteratorISI_EEEEENSH_IJSG_SG_SG_EEES9_SI_JZNS1_25segmented_radix_sort_implINS0_14default_configELb0EPK6__halfPSP_PKlPlN2at6native12_GLOBAL__N_18offset_tEEE10hipError_tPvRmT1_PNSt15iterator_traitsIS13_E10value_typeET2_T3_PNS14_IS19_E10value_typeET4_jRbjT5_S1F_jjP12ihipStream_tbEUljE_ZNSN_ISO_Lb0ESR_SS_SU_SV_SZ_EES10_S11_S12_S13_S17_S18_S19_S1C_S1D_jS1E_jS1F_S1F_jjS1H_bEUljE0_EEES10_S11_S12_S19_S1D_S1F_T6_T7_T9_mT8_S1H_bDpT10_ENKUlT_T0_E_clISt17integral_constantIbLb1EES1U_IbLb0EEEEDaS1Q_S1R_EUlS1Q_E_NS1_11comp_targetILNS1_3genE4ELNS1_11target_archE910ELNS1_3gpuE8ELNS1_3repE0EEENS1_30default_config_static_selectorELNS0_4arch9wavefront6targetE1EEEvS13_.has_recursion, 0
	.set _ZN7rocprim17ROCPRIM_400000_NS6detail17trampoline_kernelINS0_13select_configILj256ELj13ELNS0_17block_load_methodE3ELS4_3ELS4_3ELNS0_20block_scan_algorithmE0ELj4294967295EEENS1_25partition_config_selectorILNS1_17partition_subalgoE4EjNS0_10empty_typeEbEEZZNS1_14partition_implILS8_4ELb0ES6_15HIP_vector_typeIjLj2EENS0_17counting_iteratorIjlEEPS9_SG_NS0_5tupleIJPjSI_NS0_16reverse_iteratorISI_EEEEENSH_IJSG_SG_SG_EEES9_SI_JZNS1_25segmented_radix_sort_implINS0_14default_configELb0EPK6__halfPSP_PKlPlN2at6native12_GLOBAL__N_18offset_tEEE10hipError_tPvRmT1_PNSt15iterator_traitsIS13_E10value_typeET2_T3_PNS14_IS19_E10value_typeET4_jRbjT5_S1F_jjP12ihipStream_tbEUljE_ZNSN_ISO_Lb0ESR_SS_SU_SV_SZ_EES10_S11_S12_S13_S17_S18_S19_S1C_S1D_jS1E_jS1F_S1F_jjS1H_bEUljE0_EEES10_S11_S12_S19_S1D_S1F_T6_T7_T9_mT8_S1H_bDpT10_ENKUlT_T0_E_clISt17integral_constantIbLb1EES1U_IbLb0EEEEDaS1Q_S1R_EUlS1Q_E_NS1_11comp_targetILNS1_3genE4ELNS1_11target_archE910ELNS1_3gpuE8ELNS1_3repE0EEENS1_30default_config_static_selectorELNS0_4arch9wavefront6targetE1EEEvS13_.has_indirect_call, 0
	.section	.AMDGPU.csdata,"",@progbits
; Kernel info:
; codeLenInByte = 0
; TotalNumSgprs: 4
; NumVgprs: 0
; ScratchSize: 0
; MemoryBound: 0
; FloatMode: 240
; IeeeMode: 1
; LDSByteSize: 0 bytes/workgroup (compile time only)
; SGPRBlocks: 0
; VGPRBlocks: 0
; NumSGPRsForWavesPerEU: 4
; NumVGPRsForWavesPerEU: 1
; Occupancy: 10
; WaveLimiterHint : 0
; COMPUTE_PGM_RSRC2:SCRATCH_EN: 0
; COMPUTE_PGM_RSRC2:USER_SGPR: 6
; COMPUTE_PGM_RSRC2:TRAP_HANDLER: 0
; COMPUTE_PGM_RSRC2:TGID_X_EN: 1
; COMPUTE_PGM_RSRC2:TGID_Y_EN: 0
; COMPUTE_PGM_RSRC2:TGID_Z_EN: 0
; COMPUTE_PGM_RSRC2:TIDIG_COMP_CNT: 0
	.section	.text._ZN7rocprim17ROCPRIM_400000_NS6detail17trampoline_kernelINS0_13select_configILj256ELj13ELNS0_17block_load_methodE3ELS4_3ELS4_3ELNS0_20block_scan_algorithmE0ELj4294967295EEENS1_25partition_config_selectorILNS1_17partition_subalgoE4EjNS0_10empty_typeEbEEZZNS1_14partition_implILS8_4ELb0ES6_15HIP_vector_typeIjLj2EENS0_17counting_iteratorIjlEEPS9_SG_NS0_5tupleIJPjSI_NS0_16reverse_iteratorISI_EEEEENSH_IJSG_SG_SG_EEES9_SI_JZNS1_25segmented_radix_sort_implINS0_14default_configELb0EPK6__halfPSP_PKlPlN2at6native12_GLOBAL__N_18offset_tEEE10hipError_tPvRmT1_PNSt15iterator_traitsIS13_E10value_typeET2_T3_PNS14_IS19_E10value_typeET4_jRbjT5_S1F_jjP12ihipStream_tbEUljE_ZNSN_ISO_Lb0ESR_SS_SU_SV_SZ_EES10_S11_S12_S13_S17_S18_S19_S1C_S1D_jS1E_jS1F_S1F_jjS1H_bEUljE0_EEES10_S11_S12_S19_S1D_S1F_T6_T7_T9_mT8_S1H_bDpT10_ENKUlT_T0_E_clISt17integral_constantIbLb1EES1U_IbLb0EEEEDaS1Q_S1R_EUlS1Q_E_NS1_11comp_targetILNS1_3genE3ELNS1_11target_archE908ELNS1_3gpuE7ELNS1_3repE0EEENS1_30default_config_static_selectorELNS0_4arch9wavefront6targetE1EEEvS13_,"axG",@progbits,_ZN7rocprim17ROCPRIM_400000_NS6detail17trampoline_kernelINS0_13select_configILj256ELj13ELNS0_17block_load_methodE3ELS4_3ELS4_3ELNS0_20block_scan_algorithmE0ELj4294967295EEENS1_25partition_config_selectorILNS1_17partition_subalgoE4EjNS0_10empty_typeEbEEZZNS1_14partition_implILS8_4ELb0ES6_15HIP_vector_typeIjLj2EENS0_17counting_iteratorIjlEEPS9_SG_NS0_5tupleIJPjSI_NS0_16reverse_iteratorISI_EEEEENSH_IJSG_SG_SG_EEES9_SI_JZNS1_25segmented_radix_sort_implINS0_14default_configELb0EPK6__halfPSP_PKlPlN2at6native12_GLOBAL__N_18offset_tEEE10hipError_tPvRmT1_PNSt15iterator_traitsIS13_E10value_typeET2_T3_PNS14_IS19_E10value_typeET4_jRbjT5_S1F_jjP12ihipStream_tbEUljE_ZNSN_ISO_Lb0ESR_SS_SU_SV_SZ_EES10_S11_S12_S13_S17_S18_S19_S1C_S1D_jS1E_jS1F_S1F_jjS1H_bEUljE0_EEES10_S11_S12_S19_S1D_S1F_T6_T7_T9_mT8_S1H_bDpT10_ENKUlT_T0_E_clISt17integral_constantIbLb1EES1U_IbLb0EEEEDaS1Q_S1R_EUlS1Q_E_NS1_11comp_targetILNS1_3genE3ELNS1_11target_archE908ELNS1_3gpuE7ELNS1_3repE0EEENS1_30default_config_static_selectorELNS0_4arch9wavefront6targetE1EEEvS13_,comdat
	.globl	_ZN7rocprim17ROCPRIM_400000_NS6detail17trampoline_kernelINS0_13select_configILj256ELj13ELNS0_17block_load_methodE3ELS4_3ELS4_3ELNS0_20block_scan_algorithmE0ELj4294967295EEENS1_25partition_config_selectorILNS1_17partition_subalgoE4EjNS0_10empty_typeEbEEZZNS1_14partition_implILS8_4ELb0ES6_15HIP_vector_typeIjLj2EENS0_17counting_iteratorIjlEEPS9_SG_NS0_5tupleIJPjSI_NS0_16reverse_iteratorISI_EEEEENSH_IJSG_SG_SG_EEES9_SI_JZNS1_25segmented_radix_sort_implINS0_14default_configELb0EPK6__halfPSP_PKlPlN2at6native12_GLOBAL__N_18offset_tEEE10hipError_tPvRmT1_PNSt15iterator_traitsIS13_E10value_typeET2_T3_PNS14_IS19_E10value_typeET4_jRbjT5_S1F_jjP12ihipStream_tbEUljE_ZNSN_ISO_Lb0ESR_SS_SU_SV_SZ_EES10_S11_S12_S13_S17_S18_S19_S1C_S1D_jS1E_jS1F_S1F_jjS1H_bEUljE0_EEES10_S11_S12_S19_S1D_S1F_T6_T7_T9_mT8_S1H_bDpT10_ENKUlT_T0_E_clISt17integral_constantIbLb1EES1U_IbLb0EEEEDaS1Q_S1R_EUlS1Q_E_NS1_11comp_targetILNS1_3genE3ELNS1_11target_archE908ELNS1_3gpuE7ELNS1_3repE0EEENS1_30default_config_static_selectorELNS0_4arch9wavefront6targetE1EEEvS13_ ; -- Begin function _ZN7rocprim17ROCPRIM_400000_NS6detail17trampoline_kernelINS0_13select_configILj256ELj13ELNS0_17block_load_methodE3ELS4_3ELS4_3ELNS0_20block_scan_algorithmE0ELj4294967295EEENS1_25partition_config_selectorILNS1_17partition_subalgoE4EjNS0_10empty_typeEbEEZZNS1_14partition_implILS8_4ELb0ES6_15HIP_vector_typeIjLj2EENS0_17counting_iteratorIjlEEPS9_SG_NS0_5tupleIJPjSI_NS0_16reverse_iteratorISI_EEEEENSH_IJSG_SG_SG_EEES9_SI_JZNS1_25segmented_radix_sort_implINS0_14default_configELb0EPK6__halfPSP_PKlPlN2at6native12_GLOBAL__N_18offset_tEEE10hipError_tPvRmT1_PNSt15iterator_traitsIS13_E10value_typeET2_T3_PNS14_IS19_E10value_typeET4_jRbjT5_S1F_jjP12ihipStream_tbEUljE_ZNSN_ISO_Lb0ESR_SS_SU_SV_SZ_EES10_S11_S12_S13_S17_S18_S19_S1C_S1D_jS1E_jS1F_S1F_jjS1H_bEUljE0_EEES10_S11_S12_S19_S1D_S1F_T6_T7_T9_mT8_S1H_bDpT10_ENKUlT_T0_E_clISt17integral_constantIbLb1EES1U_IbLb0EEEEDaS1Q_S1R_EUlS1Q_E_NS1_11comp_targetILNS1_3genE3ELNS1_11target_archE908ELNS1_3gpuE7ELNS1_3repE0EEENS1_30default_config_static_selectorELNS0_4arch9wavefront6targetE1EEEvS13_
	.p2align	8
	.type	_ZN7rocprim17ROCPRIM_400000_NS6detail17trampoline_kernelINS0_13select_configILj256ELj13ELNS0_17block_load_methodE3ELS4_3ELS4_3ELNS0_20block_scan_algorithmE0ELj4294967295EEENS1_25partition_config_selectorILNS1_17partition_subalgoE4EjNS0_10empty_typeEbEEZZNS1_14partition_implILS8_4ELb0ES6_15HIP_vector_typeIjLj2EENS0_17counting_iteratorIjlEEPS9_SG_NS0_5tupleIJPjSI_NS0_16reverse_iteratorISI_EEEEENSH_IJSG_SG_SG_EEES9_SI_JZNS1_25segmented_radix_sort_implINS0_14default_configELb0EPK6__halfPSP_PKlPlN2at6native12_GLOBAL__N_18offset_tEEE10hipError_tPvRmT1_PNSt15iterator_traitsIS13_E10value_typeET2_T3_PNS14_IS19_E10value_typeET4_jRbjT5_S1F_jjP12ihipStream_tbEUljE_ZNSN_ISO_Lb0ESR_SS_SU_SV_SZ_EES10_S11_S12_S13_S17_S18_S19_S1C_S1D_jS1E_jS1F_S1F_jjS1H_bEUljE0_EEES10_S11_S12_S19_S1D_S1F_T6_T7_T9_mT8_S1H_bDpT10_ENKUlT_T0_E_clISt17integral_constantIbLb1EES1U_IbLb0EEEEDaS1Q_S1R_EUlS1Q_E_NS1_11comp_targetILNS1_3genE3ELNS1_11target_archE908ELNS1_3gpuE7ELNS1_3repE0EEENS1_30default_config_static_selectorELNS0_4arch9wavefront6targetE1EEEvS13_,@function
_ZN7rocprim17ROCPRIM_400000_NS6detail17trampoline_kernelINS0_13select_configILj256ELj13ELNS0_17block_load_methodE3ELS4_3ELS4_3ELNS0_20block_scan_algorithmE0ELj4294967295EEENS1_25partition_config_selectorILNS1_17partition_subalgoE4EjNS0_10empty_typeEbEEZZNS1_14partition_implILS8_4ELb0ES6_15HIP_vector_typeIjLj2EENS0_17counting_iteratorIjlEEPS9_SG_NS0_5tupleIJPjSI_NS0_16reverse_iteratorISI_EEEEENSH_IJSG_SG_SG_EEES9_SI_JZNS1_25segmented_radix_sort_implINS0_14default_configELb0EPK6__halfPSP_PKlPlN2at6native12_GLOBAL__N_18offset_tEEE10hipError_tPvRmT1_PNSt15iterator_traitsIS13_E10value_typeET2_T3_PNS14_IS19_E10value_typeET4_jRbjT5_S1F_jjP12ihipStream_tbEUljE_ZNSN_ISO_Lb0ESR_SS_SU_SV_SZ_EES10_S11_S12_S13_S17_S18_S19_S1C_S1D_jS1E_jS1F_S1F_jjS1H_bEUljE0_EEES10_S11_S12_S19_S1D_S1F_T6_T7_T9_mT8_S1H_bDpT10_ENKUlT_T0_E_clISt17integral_constantIbLb1EES1U_IbLb0EEEEDaS1Q_S1R_EUlS1Q_E_NS1_11comp_targetILNS1_3genE3ELNS1_11target_archE908ELNS1_3gpuE7ELNS1_3repE0EEENS1_30default_config_static_selectorELNS0_4arch9wavefront6targetE1EEEvS13_: ; @_ZN7rocprim17ROCPRIM_400000_NS6detail17trampoline_kernelINS0_13select_configILj256ELj13ELNS0_17block_load_methodE3ELS4_3ELS4_3ELNS0_20block_scan_algorithmE0ELj4294967295EEENS1_25partition_config_selectorILNS1_17partition_subalgoE4EjNS0_10empty_typeEbEEZZNS1_14partition_implILS8_4ELb0ES6_15HIP_vector_typeIjLj2EENS0_17counting_iteratorIjlEEPS9_SG_NS0_5tupleIJPjSI_NS0_16reverse_iteratorISI_EEEEENSH_IJSG_SG_SG_EEES9_SI_JZNS1_25segmented_radix_sort_implINS0_14default_configELb0EPK6__halfPSP_PKlPlN2at6native12_GLOBAL__N_18offset_tEEE10hipError_tPvRmT1_PNSt15iterator_traitsIS13_E10value_typeET2_T3_PNS14_IS19_E10value_typeET4_jRbjT5_S1F_jjP12ihipStream_tbEUljE_ZNSN_ISO_Lb0ESR_SS_SU_SV_SZ_EES10_S11_S12_S13_S17_S18_S19_S1C_S1D_jS1E_jS1F_S1F_jjS1H_bEUljE0_EEES10_S11_S12_S19_S1D_S1F_T6_T7_T9_mT8_S1H_bDpT10_ENKUlT_T0_E_clISt17integral_constantIbLb1EES1U_IbLb0EEEEDaS1Q_S1R_EUlS1Q_E_NS1_11comp_targetILNS1_3genE3ELNS1_11target_archE908ELNS1_3gpuE7ELNS1_3repE0EEENS1_30default_config_static_selectorELNS0_4arch9wavefront6targetE1EEEvS13_
; %bb.0:
	.section	.rodata,"a",@progbits
	.p2align	6, 0x0
	.amdhsa_kernel _ZN7rocprim17ROCPRIM_400000_NS6detail17trampoline_kernelINS0_13select_configILj256ELj13ELNS0_17block_load_methodE3ELS4_3ELS4_3ELNS0_20block_scan_algorithmE0ELj4294967295EEENS1_25partition_config_selectorILNS1_17partition_subalgoE4EjNS0_10empty_typeEbEEZZNS1_14partition_implILS8_4ELb0ES6_15HIP_vector_typeIjLj2EENS0_17counting_iteratorIjlEEPS9_SG_NS0_5tupleIJPjSI_NS0_16reverse_iteratorISI_EEEEENSH_IJSG_SG_SG_EEES9_SI_JZNS1_25segmented_radix_sort_implINS0_14default_configELb0EPK6__halfPSP_PKlPlN2at6native12_GLOBAL__N_18offset_tEEE10hipError_tPvRmT1_PNSt15iterator_traitsIS13_E10value_typeET2_T3_PNS14_IS19_E10value_typeET4_jRbjT5_S1F_jjP12ihipStream_tbEUljE_ZNSN_ISO_Lb0ESR_SS_SU_SV_SZ_EES10_S11_S12_S13_S17_S18_S19_S1C_S1D_jS1E_jS1F_S1F_jjS1H_bEUljE0_EEES10_S11_S12_S19_S1D_S1F_T6_T7_T9_mT8_S1H_bDpT10_ENKUlT_T0_E_clISt17integral_constantIbLb1EES1U_IbLb0EEEEDaS1Q_S1R_EUlS1Q_E_NS1_11comp_targetILNS1_3genE3ELNS1_11target_archE908ELNS1_3gpuE7ELNS1_3repE0EEENS1_30default_config_static_selectorELNS0_4arch9wavefront6targetE1EEEvS13_
		.amdhsa_group_segment_fixed_size 0
		.amdhsa_private_segment_fixed_size 0
		.amdhsa_kernarg_size 176
		.amdhsa_user_sgpr_count 6
		.amdhsa_user_sgpr_private_segment_buffer 1
		.amdhsa_user_sgpr_dispatch_ptr 0
		.amdhsa_user_sgpr_queue_ptr 0
		.amdhsa_user_sgpr_kernarg_segment_ptr 1
		.amdhsa_user_sgpr_dispatch_id 0
		.amdhsa_user_sgpr_flat_scratch_init 0
		.amdhsa_user_sgpr_private_segment_size 0
		.amdhsa_uses_dynamic_stack 0
		.amdhsa_system_sgpr_private_segment_wavefront_offset 0
		.amdhsa_system_sgpr_workgroup_id_x 1
		.amdhsa_system_sgpr_workgroup_id_y 0
		.amdhsa_system_sgpr_workgroup_id_z 0
		.amdhsa_system_sgpr_workgroup_info 0
		.amdhsa_system_vgpr_workitem_id 0
		.amdhsa_next_free_vgpr 1
		.amdhsa_next_free_sgpr 0
		.amdhsa_reserve_vcc 0
		.amdhsa_reserve_flat_scratch 0
		.amdhsa_float_round_mode_32 0
		.amdhsa_float_round_mode_16_64 0
		.amdhsa_float_denorm_mode_32 3
		.amdhsa_float_denorm_mode_16_64 3
		.amdhsa_dx10_clamp 1
		.amdhsa_ieee_mode 1
		.amdhsa_fp16_overflow 0
		.amdhsa_exception_fp_ieee_invalid_op 0
		.amdhsa_exception_fp_denorm_src 0
		.amdhsa_exception_fp_ieee_div_zero 0
		.amdhsa_exception_fp_ieee_overflow 0
		.amdhsa_exception_fp_ieee_underflow 0
		.amdhsa_exception_fp_ieee_inexact 0
		.amdhsa_exception_int_div_zero 0
	.end_amdhsa_kernel
	.section	.text._ZN7rocprim17ROCPRIM_400000_NS6detail17trampoline_kernelINS0_13select_configILj256ELj13ELNS0_17block_load_methodE3ELS4_3ELS4_3ELNS0_20block_scan_algorithmE0ELj4294967295EEENS1_25partition_config_selectorILNS1_17partition_subalgoE4EjNS0_10empty_typeEbEEZZNS1_14partition_implILS8_4ELb0ES6_15HIP_vector_typeIjLj2EENS0_17counting_iteratorIjlEEPS9_SG_NS0_5tupleIJPjSI_NS0_16reverse_iteratorISI_EEEEENSH_IJSG_SG_SG_EEES9_SI_JZNS1_25segmented_radix_sort_implINS0_14default_configELb0EPK6__halfPSP_PKlPlN2at6native12_GLOBAL__N_18offset_tEEE10hipError_tPvRmT1_PNSt15iterator_traitsIS13_E10value_typeET2_T3_PNS14_IS19_E10value_typeET4_jRbjT5_S1F_jjP12ihipStream_tbEUljE_ZNSN_ISO_Lb0ESR_SS_SU_SV_SZ_EES10_S11_S12_S13_S17_S18_S19_S1C_S1D_jS1E_jS1F_S1F_jjS1H_bEUljE0_EEES10_S11_S12_S19_S1D_S1F_T6_T7_T9_mT8_S1H_bDpT10_ENKUlT_T0_E_clISt17integral_constantIbLb1EES1U_IbLb0EEEEDaS1Q_S1R_EUlS1Q_E_NS1_11comp_targetILNS1_3genE3ELNS1_11target_archE908ELNS1_3gpuE7ELNS1_3repE0EEENS1_30default_config_static_selectorELNS0_4arch9wavefront6targetE1EEEvS13_,"axG",@progbits,_ZN7rocprim17ROCPRIM_400000_NS6detail17trampoline_kernelINS0_13select_configILj256ELj13ELNS0_17block_load_methodE3ELS4_3ELS4_3ELNS0_20block_scan_algorithmE0ELj4294967295EEENS1_25partition_config_selectorILNS1_17partition_subalgoE4EjNS0_10empty_typeEbEEZZNS1_14partition_implILS8_4ELb0ES6_15HIP_vector_typeIjLj2EENS0_17counting_iteratorIjlEEPS9_SG_NS0_5tupleIJPjSI_NS0_16reverse_iteratorISI_EEEEENSH_IJSG_SG_SG_EEES9_SI_JZNS1_25segmented_radix_sort_implINS0_14default_configELb0EPK6__halfPSP_PKlPlN2at6native12_GLOBAL__N_18offset_tEEE10hipError_tPvRmT1_PNSt15iterator_traitsIS13_E10value_typeET2_T3_PNS14_IS19_E10value_typeET4_jRbjT5_S1F_jjP12ihipStream_tbEUljE_ZNSN_ISO_Lb0ESR_SS_SU_SV_SZ_EES10_S11_S12_S13_S17_S18_S19_S1C_S1D_jS1E_jS1F_S1F_jjS1H_bEUljE0_EEES10_S11_S12_S19_S1D_S1F_T6_T7_T9_mT8_S1H_bDpT10_ENKUlT_T0_E_clISt17integral_constantIbLb1EES1U_IbLb0EEEEDaS1Q_S1R_EUlS1Q_E_NS1_11comp_targetILNS1_3genE3ELNS1_11target_archE908ELNS1_3gpuE7ELNS1_3repE0EEENS1_30default_config_static_selectorELNS0_4arch9wavefront6targetE1EEEvS13_,comdat
.Lfunc_end1797:
	.size	_ZN7rocprim17ROCPRIM_400000_NS6detail17trampoline_kernelINS0_13select_configILj256ELj13ELNS0_17block_load_methodE3ELS4_3ELS4_3ELNS0_20block_scan_algorithmE0ELj4294967295EEENS1_25partition_config_selectorILNS1_17partition_subalgoE4EjNS0_10empty_typeEbEEZZNS1_14partition_implILS8_4ELb0ES6_15HIP_vector_typeIjLj2EENS0_17counting_iteratorIjlEEPS9_SG_NS0_5tupleIJPjSI_NS0_16reverse_iteratorISI_EEEEENSH_IJSG_SG_SG_EEES9_SI_JZNS1_25segmented_radix_sort_implINS0_14default_configELb0EPK6__halfPSP_PKlPlN2at6native12_GLOBAL__N_18offset_tEEE10hipError_tPvRmT1_PNSt15iterator_traitsIS13_E10value_typeET2_T3_PNS14_IS19_E10value_typeET4_jRbjT5_S1F_jjP12ihipStream_tbEUljE_ZNSN_ISO_Lb0ESR_SS_SU_SV_SZ_EES10_S11_S12_S13_S17_S18_S19_S1C_S1D_jS1E_jS1F_S1F_jjS1H_bEUljE0_EEES10_S11_S12_S19_S1D_S1F_T6_T7_T9_mT8_S1H_bDpT10_ENKUlT_T0_E_clISt17integral_constantIbLb1EES1U_IbLb0EEEEDaS1Q_S1R_EUlS1Q_E_NS1_11comp_targetILNS1_3genE3ELNS1_11target_archE908ELNS1_3gpuE7ELNS1_3repE0EEENS1_30default_config_static_selectorELNS0_4arch9wavefront6targetE1EEEvS13_, .Lfunc_end1797-_ZN7rocprim17ROCPRIM_400000_NS6detail17trampoline_kernelINS0_13select_configILj256ELj13ELNS0_17block_load_methodE3ELS4_3ELS4_3ELNS0_20block_scan_algorithmE0ELj4294967295EEENS1_25partition_config_selectorILNS1_17partition_subalgoE4EjNS0_10empty_typeEbEEZZNS1_14partition_implILS8_4ELb0ES6_15HIP_vector_typeIjLj2EENS0_17counting_iteratorIjlEEPS9_SG_NS0_5tupleIJPjSI_NS0_16reverse_iteratorISI_EEEEENSH_IJSG_SG_SG_EEES9_SI_JZNS1_25segmented_radix_sort_implINS0_14default_configELb0EPK6__halfPSP_PKlPlN2at6native12_GLOBAL__N_18offset_tEEE10hipError_tPvRmT1_PNSt15iterator_traitsIS13_E10value_typeET2_T3_PNS14_IS19_E10value_typeET4_jRbjT5_S1F_jjP12ihipStream_tbEUljE_ZNSN_ISO_Lb0ESR_SS_SU_SV_SZ_EES10_S11_S12_S13_S17_S18_S19_S1C_S1D_jS1E_jS1F_S1F_jjS1H_bEUljE0_EEES10_S11_S12_S19_S1D_S1F_T6_T7_T9_mT8_S1H_bDpT10_ENKUlT_T0_E_clISt17integral_constantIbLb1EES1U_IbLb0EEEEDaS1Q_S1R_EUlS1Q_E_NS1_11comp_targetILNS1_3genE3ELNS1_11target_archE908ELNS1_3gpuE7ELNS1_3repE0EEENS1_30default_config_static_selectorELNS0_4arch9wavefront6targetE1EEEvS13_
                                        ; -- End function
	.set _ZN7rocprim17ROCPRIM_400000_NS6detail17trampoline_kernelINS0_13select_configILj256ELj13ELNS0_17block_load_methodE3ELS4_3ELS4_3ELNS0_20block_scan_algorithmE0ELj4294967295EEENS1_25partition_config_selectorILNS1_17partition_subalgoE4EjNS0_10empty_typeEbEEZZNS1_14partition_implILS8_4ELb0ES6_15HIP_vector_typeIjLj2EENS0_17counting_iteratorIjlEEPS9_SG_NS0_5tupleIJPjSI_NS0_16reverse_iteratorISI_EEEEENSH_IJSG_SG_SG_EEES9_SI_JZNS1_25segmented_radix_sort_implINS0_14default_configELb0EPK6__halfPSP_PKlPlN2at6native12_GLOBAL__N_18offset_tEEE10hipError_tPvRmT1_PNSt15iterator_traitsIS13_E10value_typeET2_T3_PNS14_IS19_E10value_typeET4_jRbjT5_S1F_jjP12ihipStream_tbEUljE_ZNSN_ISO_Lb0ESR_SS_SU_SV_SZ_EES10_S11_S12_S13_S17_S18_S19_S1C_S1D_jS1E_jS1F_S1F_jjS1H_bEUljE0_EEES10_S11_S12_S19_S1D_S1F_T6_T7_T9_mT8_S1H_bDpT10_ENKUlT_T0_E_clISt17integral_constantIbLb1EES1U_IbLb0EEEEDaS1Q_S1R_EUlS1Q_E_NS1_11comp_targetILNS1_3genE3ELNS1_11target_archE908ELNS1_3gpuE7ELNS1_3repE0EEENS1_30default_config_static_selectorELNS0_4arch9wavefront6targetE1EEEvS13_.num_vgpr, 0
	.set _ZN7rocprim17ROCPRIM_400000_NS6detail17trampoline_kernelINS0_13select_configILj256ELj13ELNS0_17block_load_methodE3ELS4_3ELS4_3ELNS0_20block_scan_algorithmE0ELj4294967295EEENS1_25partition_config_selectorILNS1_17partition_subalgoE4EjNS0_10empty_typeEbEEZZNS1_14partition_implILS8_4ELb0ES6_15HIP_vector_typeIjLj2EENS0_17counting_iteratorIjlEEPS9_SG_NS0_5tupleIJPjSI_NS0_16reverse_iteratorISI_EEEEENSH_IJSG_SG_SG_EEES9_SI_JZNS1_25segmented_radix_sort_implINS0_14default_configELb0EPK6__halfPSP_PKlPlN2at6native12_GLOBAL__N_18offset_tEEE10hipError_tPvRmT1_PNSt15iterator_traitsIS13_E10value_typeET2_T3_PNS14_IS19_E10value_typeET4_jRbjT5_S1F_jjP12ihipStream_tbEUljE_ZNSN_ISO_Lb0ESR_SS_SU_SV_SZ_EES10_S11_S12_S13_S17_S18_S19_S1C_S1D_jS1E_jS1F_S1F_jjS1H_bEUljE0_EEES10_S11_S12_S19_S1D_S1F_T6_T7_T9_mT8_S1H_bDpT10_ENKUlT_T0_E_clISt17integral_constantIbLb1EES1U_IbLb0EEEEDaS1Q_S1R_EUlS1Q_E_NS1_11comp_targetILNS1_3genE3ELNS1_11target_archE908ELNS1_3gpuE7ELNS1_3repE0EEENS1_30default_config_static_selectorELNS0_4arch9wavefront6targetE1EEEvS13_.num_agpr, 0
	.set _ZN7rocprim17ROCPRIM_400000_NS6detail17trampoline_kernelINS0_13select_configILj256ELj13ELNS0_17block_load_methodE3ELS4_3ELS4_3ELNS0_20block_scan_algorithmE0ELj4294967295EEENS1_25partition_config_selectorILNS1_17partition_subalgoE4EjNS0_10empty_typeEbEEZZNS1_14partition_implILS8_4ELb0ES6_15HIP_vector_typeIjLj2EENS0_17counting_iteratorIjlEEPS9_SG_NS0_5tupleIJPjSI_NS0_16reverse_iteratorISI_EEEEENSH_IJSG_SG_SG_EEES9_SI_JZNS1_25segmented_radix_sort_implINS0_14default_configELb0EPK6__halfPSP_PKlPlN2at6native12_GLOBAL__N_18offset_tEEE10hipError_tPvRmT1_PNSt15iterator_traitsIS13_E10value_typeET2_T3_PNS14_IS19_E10value_typeET4_jRbjT5_S1F_jjP12ihipStream_tbEUljE_ZNSN_ISO_Lb0ESR_SS_SU_SV_SZ_EES10_S11_S12_S13_S17_S18_S19_S1C_S1D_jS1E_jS1F_S1F_jjS1H_bEUljE0_EEES10_S11_S12_S19_S1D_S1F_T6_T7_T9_mT8_S1H_bDpT10_ENKUlT_T0_E_clISt17integral_constantIbLb1EES1U_IbLb0EEEEDaS1Q_S1R_EUlS1Q_E_NS1_11comp_targetILNS1_3genE3ELNS1_11target_archE908ELNS1_3gpuE7ELNS1_3repE0EEENS1_30default_config_static_selectorELNS0_4arch9wavefront6targetE1EEEvS13_.numbered_sgpr, 0
	.set _ZN7rocprim17ROCPRIM_400000_NS6detail17trampoline_kernelINS0_13select_configILj256ELj13ELNS0_17block_load_methodE3ELS4_3ELS4_3ELNS0_20block_scan_algorithmE0ELj4294967295EEENS1_25partition_config_selectorILNS1_17partition_subalgoE4EjNS0_10empty_typeEbEEZZNS1_14partition_implILS8_4ELb0ES6_15HIP_vector_typeIjLj2EENS0_17counting_iteratorIjlEEPS9_SG_NS0_5tupleIJPjSI_NS0_16reverse_iteratorISI_EEEEENSH_IJSG_SG_SG_EEES9_SI_JZNS1_25segmented_radix_sort_implINS0_14default_configELb0EPK6__halfPSP_PKlPlN2at6native12_GLOBAL__N_18offset_tEEE10hipError_tPvRmT1_PNSt15iterator_traitsIS13_E10value_typeET2_T3_PNS14_IS19_E10value_typeET4_jRbjT5_S1F_jjP12ihipStream_tbEUljE_ZNSN_ISO_Lb0ESR_SS_SU_SV_SZ_EES10_S11_S12_S13_S17_S18_S19_S1C_S1D_jS1E_jS1F_S1F_jjS1H_bEUljE0_EEES10_S11_S12_S19_S1D_S1F_T6_T7_T9_mT8_S1H_bDpT10_ENKUlT_T0_E_clISt17integral_constantIbLb1EES1U_IbLb0EEEEDaS1Q_S1R_EUlS1Q_E_NS1_11comp_targetILNS1_3genE3ELNS1_11target_archE908ELNS1_3gpuE7ELNS1_3repE0EEENS1_30default_config_static_selectorELNS0_4arch9wavefront6targetE1EEEvS13_.num_named_barrier, 0
	.set _ZN7rocprim17ROCPRIM_400000_NS6detail17trampoline_kernelINS0_13select_configILj256ELj13ELNS0_17block_load_methodE3ELS4_3ELS4_3ELNS0_20block_scan_algorithmE0ELj4294967295EEENS1_25partition_config_selectorILNS1_17partition_subalgoE4EjNS0_10empty_typeEbEEZZNS1_14partition_implILS8_4ELb0ES6_15HIP_vector_typeIjLj2EENS0_17counting_iteratorIjlEEPS9_SG_NS0_5tupleIJPjSI_NS0_16reverse_iteratorISI_EEEEENSH_IJSG_SG_SG_EEES9_SI_JZNS1_25segmented_radix_sort_implINS0_14default_configELb0EPK6__halfPSP_PKlPlN2at6native12_GLOBAL__N_18offset_tEEE10hipError_tPvRmT1_PNSt15iterator_traitsIS13_E10value_typeET2_T3_PNS14_IS19_E10value_typeET4_jRbjT5_S1F_jjP12ihipStream_tbEUljE_ZNSN_ISO_Lb0ESR_SS_SU_SV_SZ_EES10_S11_S12_S13_S17_S18_S19_S1C_S1D_jS1E_jS1F_S1F_jjS1H_bEUljE0_EEES10_S11_S12_S19_S1D_S1F_T6_T7_T9_mT8_S1H_bDpT10_ENKUlT_T0_E_clISt17integral_constantIbLb1EES1U_IbLb0EEEEDaS1Q_S1R_EUlS1Q_E_NS1_11comp_targetILNS1_3genE3ELNS1_11target_archE908ELNS1_3gpuE7ELNS1_3repE0EEENS1_30default_config_static_selectorELNS0_4arch9wavefront6targetE1EEEvS13_.private_seg_size, 0
	.set _ZN7rocprim17ROCPRIM_400000_NS6detail17trampoline_kernelINS0_13select_configILj256ELj13ELNS0_17block_load_methodE3ELS4_3ELS4_3ELNS0_20block_scan_algorithmE0ELj4294967295EEENS1_25partition_config_selectorILNS1_17partition_subalgoE4EjNS0_10empty_typeEbEEZZNS1_14partition_implILS8_4ELb0ES6_15HIP_vector_typeIjLj2EENS0_17counting_iteratorIjlEEPS9_SG_NS0_5tupleIJPjSI_NS0_16reverse_iteratorISI_EEEEENSH_IJSG_SG_SG_EEES9_SI_JZNS1_25segmented_radix_sort_implINS0_14default_configELb0EPK6__halfPSP_PKlPlN2at6native12_GLOBAL__N_18offset_tEEE10hipError_tPvRmT1_PNSt15iterator_traitsIS13_E10value_typeET2_T3_PNS14_IS19_E10value_typeET4_jRbjT5_S1F_jjP12ihipStream_tbEUljE_ZNSN_ISO_Lb0ESR_SS_SU_SV_SZ_EES10_S11_S12_S13_S17_S18_S19_S1C_S1D_jS1E_jS1F_S1F_jjS1H_bEUljE0_EEES10_S11_S12_S19_S1D_S1F_T6_T7_T9_mT8_S1H_bDpT10_ENKUlT_T0_E_clISt17integral_constantIbLb1EES1U_IbLb0EEEEDaS1Q_S1R_EUlS1Q_E_NS1_11comp_targetILNS1_3genE3ELNS1_11target_archE908ELNS1_3gpuE7ELNS1_3repE0EEENS1_30default_config_static_selectorELNS0_4arch9wavefront6targetE1EEEvS13_.uses_vcc, 0
	.set _ZN7rocprim17ROCPRIM_400000_NS6detail17trampoline_kernelINS0_13select_configILj256ELj13ELNS0_17block_load_methodE3ELS4_3ELS4_3ELNS0_20block_scan_algorithmE0ELj4294967295EEENS1_25partition_config_selectorILNS1_17partition_subalgoE4EjNS0_10empty_typeEbEEZZNS1_14partition_implILS8_4ELb0ES6_15HIP_vector_typeIjLj2EENS0_17counting_iteratorIjlEEPS9_SG_NS0_5tupleIJPjSI_NS0_16reverse_iteratorISI_EEEEENSH_IJSG_SG_SG_EEES9_SI_JZNS1_25segmented_radix_sort_implINS0_14default_configELb0EPK6__halfPSP_PKlPlN2at6native12_GLOBAL__N_18offset_tEEE10hipError_tPvRmT1_PNSt15iterator_traitsIS13_E10value_typeET2_T3_PNS14_IS19_E10value_typeET4_jRbjT5_S1F_jjP12ihipStream_tbEUljE_ZNSN_ISO_Lb0ESR_SS_SU_SV_SZ_EES10_S11_S12_S13_S17_S18_S19_S1C_S1D_jS1E_jS1F_S1F_jjS1H_bEUljE0_EEES10_S11_S12_S19_S1D_S1F_T6_T7_T9_mT8_S1H_bDpT10_ENKUlT_T0_E_clISt17integral_constantIbLb1EES1U_IbLb0EEEEDaS1Q_S1R_EUlS1Q_E_NS1_11comp_targetILNS1_3genE3ELNS1_11target_archE908ELNS1_3gpuE7ELNS1_3repE0EEENS1_30default_config_static_selectorELNS0_4arch9wavefront6targetE1EEEvS13_.uses_flat_scratch, 0
	.set _ZN7rocprim17ROCPRIM_400000_NS6detail17trampoline_kernelINS0_13select_configILj256ELj13ELNS0_17block_load_methodE3ELS4_3ELS4_3ELNS0_20block_scan_algorithmE0ELj4294967295EEENS1_25partition_config_selectorILNS1_17partition_subalgoE4EjNS0_10empty_typeEbEEZZNS1_14partition_implILS8_4ELb0ES6_15HIP_vector_typeIjLj2EENS0_17counting_iteratorIjlEEPS9_SG_NS0_5tupleIJPjSI_NS0_16reverse_iteratorISI_EEEEENSH_IJSG_SG_SG_EEES9_SI_JZNS1_25segmented_radix_sort_implINS0_14default_configELb0EPK6__halfPSP_PKlPlN2at6native12_GLOBAL__N_18offset_tEEE10hipError_tPvRmT1_PNSt15iterator_traitsIS13_E10value_typeET2_T3_PNS14_IS19_E10value_typeET4_jRbjT5_S1F_jjP12ihipStream_tbEUljE_ZNSN_ISO_Lb0ESR_SS_SU_SV_SZ_EES10_S11_S12_S13_S17_S18_S19_S1C_S1D_jS1E_jS1F_S1F_jjS1H_bEUljE0_EEES10_S11_S12_S19_S1D_S1F_T6_T7_T9_mT8_S1H_bDpT10_ENKUlT_T0_E_clISt17integral_constantIbLb1EES1U_IbLb0EEEEDaS1Q_S1R_EUlS1Q_E_NS1_11comp_targetILNS1_3genE3ELNS1_11target_archE908ELNS1_3gpuE7ELNS1_3repE0EEENS1_30default_config_static_selectorELNS0_4arch9wavefront6targetE1EEEvS13_.has_dyn_sized_stack, 0
	.set _ZN7rocprim17ROCPRIM_400000_NS6detail17trampoline_kernelINS0_13select_configILj256ELj13ELNS0_17block_load_methodE3ELS4_3ELS4_3ELNS0_20block_scan_algorithmE0ELj4294967295EEENS1_25partition_config_selectorILNS1_17partition_subalgoE4EjNS0_10empty_typeEbEEZZNS1_14partition_implILS8_4ELb0ES6_15HIP_vector_typeIjLj2EENS0_17counting_iteratorIjlEEPS9_SG_NS0_5tupleIJPjSI_NS0_16reverse_iteratorISI_EEEEENSH_IJSG_SG_SG_EEES9_SI_JZNS1_25segmented_radix_sort_implINS0_14default_configELb0EPK6__halfPSP_PKlPlN2at6native12_GLOBAL__N_18offset_tEEE10hipError_tPvRmT1_PNSt15iterator_traitsIS13_E10value_typeET2_T3_PNS14_IS19_E10value_typeET4_jRbjT5_S1F_jjP12ihipStream_tbEUljE_ZNSN_ISO_Lb0ESR_SS_SU_SV_SZ_EES10_S11_S12_S13_S17_S18_S19_S1C_S1D_jS1E_jS1F_S1F_jjS1H_bEUljE0_EEES10_S11_S12_S19_S1D_S1F_T6_T7_T9_mT8_S1H_bDpT10_ENKUlT_T0_E_clISt17integral_constantIbLb1EES1U_IbLb0EEEEDaS1Q_S1R_EUlS1Q_E_NS1_11comp_targetILNS1_3genE3ELNS1_11target_archE908ELNS1_3gpuE7ELNS1_3repE0EEENS1_30default_config_static_selectorELNS0_4arch9wavefront6targetE1EEEvS13_.has_recursion, 0
	.set _ZN7rocprim17ROCPRIM_400000_NS6detail17trampoline_kernelINS0_13select_configILj256ELj13ELNS0_17block_load_methodE3ELS4_3ELS4_3ELNS0_20block_scan_algorithmE0ELj4294967295EEENS1_25partition_config_selectorILNS1_17partition_subalgoE4EjNS0_10empty_typeEbEEZZNS1_14partition_implILS8_4ELb0ES6_15HIP_vector_typeIjLj2EENS0_17counting_iteratorIjlEEPS9_SG_NS0_5tupleIJPjSI_NS0_16reverse_iteratorISI_EEEEENSH_IJSG_SG_SG_EEES9_SI_JZNS1_25segmented_radix_sort_implINS0_14default_configELb0EPK6__halfPSP_PKlPlN2at6native12_GLOBAL__N_18offset_tEEE10hipError_tPvRmT1_PNSt15iterator_traitsIS13_E10value_typeET2_T3_PNS14_IS19_E10value_typeET4_jRbjT5_S1F_jjP12ihipStream_tbEUljE_ZNSN_ISO_Lb0ESR_SS_SU_SV_SZ_EES10_S11_S12_S13_S17_S18_S19_S1C_S1D_jS1E_jS1F_S1F_jjS1H_bEUljE0_EEES10_S11_S12_S19_S1D_S1F_T6_T7_T9_mT8_S1H_bDpT10_ENKUlT_T0_E_clISt17integral_constantIbLb1EES1U_IbLb0EEEEDaS1Q_S1R_EUlS1Q_E_NS1_11comp_targetILNS1_3genE3ELNS1_11target_archE908ELNS1_3gpuE7ELNS1_3repE0EEENS1_30default_config_static_selectorELNS0_4arch9wavefront6targetE1EEEvS13_.has_indirect_call, 0
	.section	.AMDGPU.csdata,"",@progbits
; Kernel info:
; codeLenInByte = 0
; TotalNumSgprs: 4
; NumVgprs: 0
; ScratchSize: 0
; MemoryBound: 0
; FloatMode: 240
; IeeeMode: 1
; LDSByteSize: 0 bytes/workgroup (compile time only)
; SGPRBlocks: 0
; VGPRBlocks: 0
; NumSGPRsForWavesPerEU: 4
; NumVGPRsForWavesPerEU: 1
; Occupancy: 10
; WaveLimiterHint : 0
; COMPUTE_PGM_RSRC2:SCRATCH_EN: 0
; COMPUTE_PGM_RSRC2:USER_SGPR: 6
; COMPUTE_PGM_RSRC2:TRAP_HANDLER: 0
; COMPUTE_PGM_RSRC2:TGID_X_EN: 1
; COMPUTE_PGM_RSRC2:TGID_Y_EN: 0
; COMPUTE_PGM_RSRC2:TGID_Z_EN: 0
; COMPUTE_PGM_RSRC2:TIDIG_COMP_CNT: 0
	.section	.text._ZN7rocprim17ROCPRIM_400000_NS6detail17trampoline_kernelINS0_13select_configILj256ELj13ELNS0_17block_load_methodE3ELS4_3ELS4_3ELNS0_20block_scan_algorithmE0ELj4294967295EEENS1_25partition_config_selectorILNS1_17partition_subalgoE4EjNS0_10empty_typeEbEEZZNS1_14partition_implILS8_4ELb0ES6_15HIP_vector_typeIjLj2EENS0_17counting_iteratorIjlEEPS9_SG_NS0_5tupleIJPjSI_NS0_16reverse_iteratorISI_EEEEENSH_IJSG_SG_SG_EEES9_SI_JZNS1_25segmented_radix_sort_implINS0_14default_configELb0EPK6__halfPSP_PKlPlN2at6native12_GLOBAL__N_18offset_tEEE10hipError_tPvRmT1_PNSt15iterator_traitsIS13_E10value_typeET2_T3_PNS14_IS19_E10value_typeET4_jRbjT5_S1F_jjP12ihipStream_tbEUljE_ZNSN_ISO_Lb0ESR_SS_SU_SV_SZ_EES10_S11_S12_S13_S17_S18_S19_S1C_S1D_jS1E_jS1F_S1F_jjS1H_bEUljE0_EEES10_S11_S12_S19_S1D_S1F_T6_T7_T9_mT8_S1H_bDpT10_ENKUlT_T0_E_clISt17integral_constantIbLb1EES1U_IbLb0EEEEDaS1Q_S1R_EUlS1Q_E_NS1_11comp_targetILNS1_3genE2ELNS1_11target_archE906ELNS1_3gpuE6ELNS1_3repE0EEENS1_30default_config_static_selectorELNS0_4arch9wavefront6targetE1EEEvS13_,"axG",@progbits,_ZN7rocprim17ROCPRIM_400000_NS6detail17trampoline_kernelINS0_13select_configILj256ELj13ELNS0_17block_load_methodE3ELS4_3ELS4_3ELNS0_20block_scan_algorithmE0ELj4294967295EEENS1_25partition_config_selectorILNS1_17partition_subalgoE4EjNS0_10empty_typeEbEEZZNS1_14partition_implILS8_4ELb0ES6_15HIP_vector_typeIjLj2EENS0_17counting_iteratorIjlEEPS9_SG_NS0_5tupleIJPjSI_NS0_16reverse_iteratorISI_EEEEENSH_IJSG_SG_SG_EEES9_SI_JZNS1_25segmented_radix_sort_implINS0_14default_configELb0EPK6__halfPSP_PKlPlN2at6native12_GLOBAL__N_18offset_tEEE10hipError_tPvRmT1_PNSt15iterator_traitsIS13_E10value_typeET2_T3_PNS14_IS19_E10value_typeET4_jRbjT5_S1F_jjP12ihipStream_tbEUljE_ZNSN_ISO_Lb0ESR_SS_SU_SV_SZ_EES10_S11_S12_S13_S17_S18_S19_S1C_S1D_jS1E_jS1F_S1F_jjS1H_bEUljE0_EEES10_S11_S12_S19_S1D_S1F_T6_T7_T9_mT8_S1H_bDpT10_ENKUlT_T0_E_clISt17integral_constantIbLb1EES1U_IbLb0EEEEDaS1Q_S1R_EUlS1Q_E_NS1_11comp_targetILNS1_3genE2ELNS1_11target_archE906ELNS1_3gpuE6ELNS1_3repE0EEENS1_30default_config_static_selectorELNS0_4arch9wavefront6targetE1EEEvS13_,comdat
	.globl	_ZN7rocprim17ROCPRIM_400000_NS6detail17trampoline_kernelINS0_13select_configILj256ELj13ELNS0_17block_load_methodE3ELS4_3ELS4_3ELNS0_20block_scan_algorithmE0ELj4294967295EEENS1_25partition_config_selectorILNS1_17partition_subalgoE4EjNS0_10empty_typeEbEEZZNS1_14partition_implILS8_4ELb0ES6_15HIP_vector_typeIjLj2EENS0_17counting_iteratorIjlEEPS9_SG_NS0_5tupleIJPjSI_NS0_16reverse_iteratorISI_EEEEENSH_IJSG_SG_SG_EEES9_SI_JZNS1_25segmented_radix_sort_implINS0_14default_configELb0EPK6__halfPSP_PKlPlN2at6native12_GLOBAL__N_18offset_tEEE10hipError_tPvRmT1_PNSt15iterator_traitsIS13_E10value_typeET2_T3_PNS14_IS19_E10value_typeET4_jRbjT5_S1F_jjP12ihipStream_tbEUljE_ZNSN_ISO_Lb0ESR_SS_SU_SV_SZ_EES10_S11_S12_S13_S17_S18_S19_S1C_S1D_jS1E_jS1F_S1F_jjS1H_bEUljE0_EEES10_S11_S12_S19_S1D_S1F_T6_T7_T9_mT8_S1H_bDpT10_ENKUlT_T0_E_clISt17integral_constantIbLb1EES1U_IbLb0EEEEDaS1Q_S1R_EUlS1Q_E_NS1_11comp_targetILNS1_3genE2ELNS1_11target_archE906ELNS1_3gpuE6ELNS1_3repE0EEENS1_30default_config_static_selectorELNS0_4arch9wavefront6targetE1EEEvS13_ ; -- Begin function _ZN7rocprim17ROCPRIM_400000_NS6detail17trampoline_kernelINS0_13select_configILj256ELj13ELNS0_17block_load_methodE3ELS4_3ELS4_3ELNS0_20block_scan_algorithmE0ELj4294967295EEENS1_25partition_config_selectorILNS1_17partition_subalgoE4EjNS0_10empty_typeEbEEZZNS1_14partition_implILS8_4ELb0ES6_15HIP_vector_typeIjLj2EENS0_17counting_iteratorIjlEEPS9_SG_NS0_5tupleIJPjSI_NS0_16reverse_iteratorISI_EEEEENSH_IJSG_SG_SG_EEES9_SI_JZNS1_25segmented_radix_sort_implINS0_14default_configELb0EPK6__halfPSP_PKlPlN2at6native12_GLOBAL__N_18offset_tEEE10hipError_tPvRmT1_PNSt15iterator_traitsIS13_E10value_typeET2_T3_PNS14_IS19_E10value_typeET4_jRbjT5_S1F_jjP12ihipStream_tbEUljE_ZNSN_ISO_Lb0ESR_SS_SU_SV_SZ_EES10_S11_S12_S13_S17_S18_S19_S1C_S1D_jS1E_jS1F_S1F_jjS1H_bEUljE0_EEES10_S11_S12_S19_S1D_S1F_T6_T7_T9_mT8_S1H_bDpT10_ENKUlT_T0_E_clISt17integral_constantIbLb1EES1U_IbLb0EEEEDaS1Q_S1R_EUlS1Q_E_NS1_11comp_targetILNS1_3genE2ELNS1_11target_archE906ELNS1_3gpuE6ELNS1_3repE0EEENS1_30default_config_static_selectorELNS0_4arch9wavefront6targetE1EEEvS13_
	.p2align	8
	.type	_ZN7rocprim17ROCPRIM_400000_NS6detail17trampoline_kernelINS0_13select_configILj256ELj13ELNS0_17block_load_methodE3ELS4_3ELS4_3ELNS0_20block_scan_algorithmE0ELj4294967295EEENS1_25partition_config_selectorILNS1_17partition_subalgoE4EjNS0_10empty_typeEbEEZZNS1_14partition_implILS8_4ELb0ES6_15HIP_vector_typeIjLj2EENS0_17counting_iteratorIjlEEPS9_SG_NS0_5tupleIJPjSI_NS0_16reverse_iteratorISI_EEEEENSH_IJSG_SG_SG_EEES9_SI_JZNS1_25segmented_radix_sort_implINS0_14default_configELb0EPK6__halfPSP_PKlPlN2at6native12_GLOBAL__N_18offset_tEEE10hipError_tPvRmT1_PNSt15iterator_traitsIS13_E10value_typeET2_T3_PNS14_IS19_E10value_typeET4_jRbjT5_S1F_jjP12ihipStream_tbEUljE_ZNSN_ISO_Lb0ESR_SS_SU_SV_SZ_EES10_S11_S12_S13_S17_S18_S19_S1C_S1D_jS1E_jS1F_S1F_jjS1H_bEUljE0_EEES10_S11_S12_S19_S1D_S1F_T6_T7_T9_mT8_S1H_bDpT10_ENKUlT_T0_E_clISt17integral_constantIbLb1EES1U_IbLb0EEEEDaS1Q_S1R_EUlS1Q_E_NS1_11comp_targetILNS1_3genE2ELNS1_11target_archE906ELNS1_3gpuE6ELNS1_3repE0EEENS1_30default_config_static_selectorELNS0_4arch9wavefront6targetE1EEEvS13_,@function
_ZN7rocprim17ROCPRIM_400000_NS6detail17trampoline_kernelINS0_13select_configILj256ELj13ELNS0_17block_load_methodE3ELS4_3ELS4_3ELNS0_20block_scan_algorithmE0ELj4294967295EEENS1_25partition_config_selectorILNS1_17partition_subalgoE4EjNS0_10empty_typeEbEEZZNS1_14partition_implILS8_4ELb0ES6_15HIP_vector_typeIjLj2EENS0_17counting_iteratorIjlEEPS9_SG_NS0_5tupleIJPjSI_NS0_16reverse_iteratorISI_EEEEENSH_IJSG_SG_SG_EEES9_SI_JZNS1_25segmented_radix_sort_implINS0_14default_configELb0EPK6__halfPSP_PKlPlN2at6native12_GLOBAL__N_18offset_tEEE10hipError_tPvRmT1_PNSt15iterator_traitsIS13_E10value_typeET2_T3_PNS14_IS19_E10value_typeET4_jRbjT5_S1F_jjP12ihipStream_tbEUljE_ZNSN_ISO_Lb0ESR_SS_SU_SV_SZ_EES10_S11_S12_S13_S17_S18_S19_S1C_S1D_jS1E_jS1F_S1F_jjS1H_bEUljE0_EEES10_S11_S12_S19_S1D_S1F_T6_T7_T9_mT8_S1H_bDpT10_ENKUlT_T0_E_clISt17integral_constantIbLb1EES1U_IbLb0EEEEDaS1Q_S1R_EUlS1Q_E_NS1_11comp_targetILNS1_3genE2ELNS1_11target_archE906ELNS1_3gpuE6ELNS1_3repE0EEENS1_30default_config_static_selectorELNS0_4arch9wavefront6targetE1EEEvS13_: ; @_ZN7rocprim17ROCPRIM_400000_NS6detail17trampoline_kernelINS0_13select_configILj256ELj13ELNS0_17block_load_methodE3ELS4_3ELS4_3ELNS0_20block_scan_algorithmE0ELj4294967295EEENS1_25partition_config_selectorILNS1_17partition_subalgoE4EjNS0_10empty_typeEbEEZZNS1_14partition_implILS8_4ELb0ES6_15HIP_vector_typeIjLj2EENS0_17counting_iteratorIjlEEPS9_SG_NS0_5tupleIJPjSI_NS0_16reverse_iteratorISI_EEEEENSH_IJSG_SG_SG_EEES9_SI_JZNS1_25segmented_radix_sort_implINS0_14default_configELb0EPK6__halfPSP_PKlPlN2at6native12_GLOBAL__N_18offset_tEEE10hipError_tPvRmT1_PNSt15iterator_traitsIS13_E10value_typeET2_T3_PNS14_IS19_E10value_typeET4_jRbjT5_S1F_jjP12ihipStream_tbEUljE_ZNSN_ISO_Lb0ESR_SS_SU_SV_SZ_EES10_S11_S12_S13_S17_S18_S19_S1C_S1D_jS1E_jS1F_S1F_jjS1H_bEUljE0_EEES10_S11_S12_S19_S1D_S1F_T6_T7_T9_mT8_S1H_bDpT10_ENKUlT_T0_E_clISt17integral_constantIbLb1EES1U_IbLb0EEEEDaS1Q_S1R_EUlS1Q_E_NS1_11comp_targetILNS1_3genE2ELNS1_11target_archE906ELNS1_3gpuE6ELNS1_3repE0EEENS1_30default_config_static_selectorELNS0_4arch9wavefront6targetE1EEEvS13_
; %bb.0:
	s_endpgm
	.section	.rodata,"a",@progbits
	.p2align	6, 0x0
	.amdhsa_kernel _ZN7rocprim17ROCPRIM_400000_NS6detail17trampoline_kernelINS0_13select_configILj256ELj13ELNS0_17block_load_methodE3ELS4_3ELS4_3ELNS0_20block_scan_algorithmE0ELj4294967295EEENS1_25partition_config_selectorILNS1_17partition_subalgoE4EjNS0_10empty_typeEbEEZZNS1_14partition_implILS8_4ELb0ES6_15HIP_vector_typeIjLj2EENS0_17counting_iteratorIjlEEPS9_SG_NS0_5tupleIJPjSI_NS0_16reverse_iteratorISI_EEEEENSH_IJSG_SG_SG_EEES9_SI_JZNS1_25segmented_radix_sort_implINS0_14default_configELb0EPK6__halfPSP_PKlPlN2at6native12_GLOBAL__N_18offset_tEEE10hipError_tPvRmT1_PNSt15iterator_traitsIS13_E10value_typeET2_T3_PNS14_IS19_E10value_typeET4_jRbjT5_S1F_jjP12ihipStream_tbEUljE_ZNSN_ISO_Lb0ESR_SS_SU_SV_SZ_EES10_S11_S12_S13_S17_S18_S19_S1C_S1D_jS1E_jS1F_S1F_jjS1H_bEUljE0_EEES10_S11_S12_S19_S1D_S1F_T6_T7_T9_mT8_S1H_bDpT10_ENKUlT_T0_E_clISt17integral_constantIbLb1EES1U_IbLb0EEEEDaS1Q_S1R_EUlS1Q_E_NS1_11comp_targetILNS1_3genE2ELNS1_11target_archE906ELNS1_3gpuE6ELNS1_3repE0EEENS1_30default_config_static_selectorELNS0_4arch9wavefront6targetE1EEEvS13_
		.amdhsa_group_segment_fixed_size 0
		.amdhsa_private_segment_fixed_size 0
		.amdhsa_kernarg_size 176
		.amdhsa_user_sgpr_count 6
		.amdhsa_user_sgpr_private_segment_buffer 1
		.amdhsa_user_sgpr_dispatch_ptr 0
		.amdhsa_user_sgpr_queue_ptr 0
		.amdhsa_user_sgpr_kernarg_segment_ptr 1
		.amdhsa_user_sgpr_dispatch_id 0
		.amdhsa_user_sgpr_flat_scratch_init 0
		.amdhsa_user_sgpr_private_segment_size 0
		.amdhsa_uses_dynamic_stack 0
		.amdhsa_system_sgpr_private_segment_wavefront_offset 0
		.amdhsa_system_sgpr_workgroup_id_x 1
		.amdhsa_system_sgpr_workgroup_id_y 0
		.amdhsa_system_sgpr_workgroup_id_z 0
		.amdhsa_system_sgpr_workgroup_info 0
		.amdhsa_system_vgpr_workitem_id 0
		.amdhsa_next_free_vgpr 1
		.amdhsa_next_free_sgpr 0
		.amdhsa_reserve_vcc 0
		.amdhsa_reserve_flat_scratch 0
		.amdhsa_float_round_mode_32 0
		.amdhsa_float_round_mode_16_64 0
		.amdhsa_float_denorm_mode_32 3
		.amdhsa_float_denorm_mode_16_64 3
		.amdhsa_dx10_clamp 1
		.amdhsa_ieee_mode 1
		.amdhsa_fp16_overflow 0
		.amdhsa_exception_fp_ieee_invalid_op 0
		.amdhsa_exception_fp_denorm_src 0
		.amdhsa_exception_fp_ieee_div_zero 0
		.amdhsa_exception_fp_ieee_overflow 0
		.amdhsa_exception_fp_ieee_underflow 0
		.amdhsa_exception_fp_ieee_inexact 0
		.amdhsa_exception_int_div_zero 0
	.end_amdhsa_kernel
	.section	.text._ZN7rocprim17ROCPRIM_400000_NS6detail17trampoline_kernelINS0_13select_configILj256ELj13ELNS0_17block_load_methodE3ELS4_3ELS4_3ELNS0_20block_scan_algorithmE0ELj4294967295EEENS1_25partition_config_selectorILNS1_17partition_subalgoE4EjNS0_10empty_typeEbEEZZNS1_14partition_implILS8_4ELb0ES6_15HIP_vector_typeIjLj2EENS0_17counting_iteratorIjlEEPS9_SG_NS0_5tupleIJPjSI_NS0_16reverse_iteratorISI_EEEEENSH_IJSG_SG_SG_EEES9_SI_JZNS1_25segmented_radix_sort_implINS0_14default_configELb0EPK6__halfPSP_PKlPlN2at6native12_GLOBAL__N_18offset_tEEE10hipError_tPvRmT1_PNSt15iterator_traitsIS13_E10value_typeET2_T3_PNS14_IS19_E10value_typeET4_jRbjT5_S1F_jjP12ihipStream_tbEUljE_ZNSN_ISO_Lb0ESR_SS_SU_SV_SZ_EES10_S11_S12_S13_S17_S18_S19_S1C_S1D_jS1E_jS1F_S1F_jjS1H_bEUljE0_EEES10_S11_S12_S19_S1D_S1F_T6_T7_T9_mT8_S1H_bDpT10_ENKUlT_T0_E_clISt17integral_constantIbLb1EES1U_IbLb0EEEEDaS1Q_S1R_EUlS1Q_E_NS1_11comp_targetILNS1_3genE2ELNS1_11target_archE906ELNS1_3gpuE6ELNS1_3repE0EEENS1_30default_config_static_selectorELNS0_4arch9wavefront6targetE1EEEvS13_,"axG",@progbits,_ZN7rocprim17ROCPRIM_400000_NS6detail17trampoline_kernelINS0_13select_configILj256ELj13ELNS0_17block_load_methodE3ELS4_3ELS4_3ELNS0_20block_scan_algorithmE0ELj4294967295EEENS1_25partition_config_selectorILNS1_17partition_subalgoE4EjNS0_10empty_typeEbEEZZNS1_14partition_implILS8_4ELb0ES6_15HIP_vector_typeIjLj2EENS0_17counting_iteratorIjlEEPS9_SG_NS0_5tupleIJPjSI_NS0_16reverse_iteratorISI_EEEEENSH_IJSG_SG_SG_EEES9_SI_JZNS1_25segmented_radix_sort_implINS0_14default_configELb0EPK6__halfPSP_PKlPlN2at6native12_GLOBAL__N_18offset_tEEE10hipError_tPvRmT1_PNSt15iterator_traitsIS13_E10value_typeET2_T3_PNS14_IS19_E10value_typeET4_jRbjT5_S1F_jjP12ihipStream_tbEUljE_ZNSN_ISO_Lb0ESR_SS_SU_SV_SZ_EES10_S11_S12_S13_S17_S18_S19_S1C_S1D_jS1E_jS1F_S1F_jjS1H_bEUljE0_EEES10_S11_S12_S19_S1D_S1F_T6_T7_T9_mT8_S1H_bDpT10_ENKUlT_T0_E_clISt17integral_constantIbLb1EES1U_IbLb0EEEEDaS1Q_S1R_EUlS1Q_E_NS1_11comp_targetILNS1_3genE2ELNS1_11target_archE906ELNS1_3gpuE6ELNS1_3repE0EEENS1_30default_config_static_selectorELNS0_4arch9wavefront6targetE1EEEvS13_,comdat
.Lfunc_end1798:
	.size	_ZN7rocprim17ROCPRIM_400000_NS6detail17trampoline_kernelINS0_13select_configILj256ELj13ELNS0_17block_load_methodE3ELS4_3ELS4_3ELNS0_20block_scan_algorithmE0ELj4294967295EEENS1_25partition_config_selectorILNS1_17partition_subalgoE4EjNS0_10empty_typeEbEEZZNS1_14partition_implILS8_4ELb0ES6_15HIP_vector_typeIjLj2EENS0_17counting_iteratorIjlEEPS9_SG_NS0_5tupleIJPjSI_NS0_16reverse_iteratorISI_EEEEENSH_IJSG_SG_SG_EEES9_SI_JZNS1_25segmented_radix_sort_implINS0_14default_configELb0EPK6__halfPSP_PKlPlN2at6native12_GLOBAL__N_18offset_tEEE10hipError_tPvRmT1_PNSt15iterator_traitsIS13_E10value_typeET2_T3_PNS14_IS19_E10value_typeET4_jRbjT5_S1F_jjP12ihipStream_tbEUljE_ZNSN_ISO_Lb0ESR_SS_SU_SV_SZ_EES10_S11_S12_S13_S17_S18_S19_S1C_S1D_jS1E_jS1F_S1F_jjS1H_bEUljE0_EEES10_S11_S12_S19_S1D_S1F_T6_T7_T9_mT8_S1H_bDpT10_ENKUlT_T0_E_clISt17integral_constantIbLb1EES1U_IbLb0EEEEDaS1Q_S1R_EUlS1Q_E_NS1_11comp_targetILNS1_3genE2ELNS1_11target_archE906ELNS1_3gpuE6ELNS1_3repE0EEENS1_30default_config_static_selectorELNS0_4arch9wavefront6targetE1EEEvS13_, .Lfunc_end1798-_ZN7rocprim17ROCPRIM_400000_NS6detail17trampoline_kernelINS0_13select_configILj256ELj13ELNS0_17block_load_methodE3ELS4_3ELS4_3ELNS0_20block_scan_algorithmE0ELj4294967295EEENS1_25partition_config_selectorILNS1_17partition_subalgoE4EjNS0_10empty_typeEbEEZZNS1_14partition_implILS8_4ELb0ES6_15HIP_vector_typeIjLj2EENS0_17counting_iteratorIjlEEPS9_SG_NS0_5tupleIJPjSI_NS0_16reverse_iteratorISI_EEEEENSH_IJSG_SG_SG_EEES9_SI_JZNS1_25segmented_radix_sort_implINS0_14default_configELb0EPK6__halfPSP_PKlPlN2at6native12_GLOBAL__N_18offset_tEEE10hipError_tPvRmT1_PNSt15iterator_traitsIS13_E10value_typeET2_T3_PNS14_IS19_E10value_typeET4_jRbjT5_S1F_jjP12ihipStream_tbEUljE_ZNSN_ISO_Lb0ESR_SS_SU_SV_SZ_EES10_S11_S12_S13_S17_S18_S19_S1C_S1D_jS1E_jS1F_S1F_jjS1H_bEUljE0_EEES10_S11_S12_S19_S1D_S1F_T6_T7_T9_mT8_S1H_bDpT10_ENKUlT_T0_E_clISt17integral_constantIbLb1EES1U_IbLb0EEEEDaS1Q_S1R_EUlS1Q_E_NS1_11comp_targetILNS1_3genE2ELNS1_11target_archE906ELNS1_3gpuE6ELNS1_3repE0EEENS1_30default_config_static_selectorELNS0_4arch9wavefront6targetE1EEEvS13_
                                        ; -- End function
	.set _ZN7rocprim17ROCPRIM_400000_NS6detail17trampoline_kernelINS0_13select_configILj256ELj13ELNS0_17block_load_methodE3ELS4_3ELS4_3ELNS0_20block_scan_algorithmE0ELj4294967295EEENS1_25partition_config_selectorILNS1_17partition_subalgoE4EjNS0_10empty_typeEbEEZZNS1_14partition_implILS8_4ELb0ES6_15HIP_vector_typeIjLj2EENS0_17counting_iteratorIjlEEPS9_SG_NS0_5tupleIJPjSI_NS0_16reverse_iteratorISI_EEEEENSH_IJSG_SG_SG_EEES9_SI_JZNS1_25segmented_radix_sort_implINS0_14default_configELb0EPK6__halfPSP_PKlPlN2at6native12_GLOBAL__N_18offset_tEEE10hipError_tPvRmT1_PNSt15iterator_traitsIS13_E10value_typeET2_T3_PNS14_IS19_E10value_typeET4_jRbjT5_S1F_jjP12ihipStream_tbEUljE_ZNSN_ISO_Lb0ESR_SS_SU_SV_SZ_EES10_S11_S12_S13_S17_S18_S19_S1C_S1D_jS1E_jS1F_S1F_jjS1H_bEUljE0_EEES10_S11_S12_S19_S1D_S1F_T6_T7_T9_mT8_S1H_bDpT10_ENKUlT_T0_E_clISt17integral_constantIbLb1EES1U_IbLb0EEEEDaS1Q_S1R_EUlS1Q_E_NS1_11comp_targetILNS1_3genE2ELNS1_11target_archE906ELNS1_3gpuE6ELNS1_3repE0EEENS1_30default_config_static_selectorELNS0_4arch9wavefront6targetE1EEEvS13_.num_vgpr, 0
	.set _ZN7rocprim17ROCPRIM_400000_NS6detail17trampoline_kernelINS0_13select_configILj256ELj13ELNS0_17block_load_methodE3ELS4_3ELS4_3ELNS0_20block_scan_algorithmE0ELj4294967295EEENS1_25partition_config_selectorILNS1_17partition_subalgoE4EjNS0_10empty_typeEbEEZZNS1_14partition_implILS8_4ELb0ES6_15HIP_vector_typeIjLj2EENS0_17counting_iteratorIjlEEPS9_SG_NS0_5tupleIJPjSI_NS0_16reverse_iteratorISI_EEEEENSH_IJSG_SG_SG_EEES9_SI_JZNS1_25segmented_radix_sort_implINS0_14default_configELb0EPK6__halfPSP_PKlPlN2at6native12_GLOBAL__N_18offset_tEEE10hipError_tPvRmT1_PNSt15iterator_traitsIS13_E10value_typeET2_T3_PNS14_IS19_E10value_typeET4_jRbjT5_S1F_jjP12ihipStream_tbEUljE_ZNSN_ISO_Lb0ESR_SS_SU_SV_SZ_EES10_S11_S12_S13_S17_S18_S19_S1C_S1D_jS1E_jS1F_S1F_jjS1H_bEUljE0_EEES10_S11_S12_S19_S1D_S1F_T6_T7_T9_mT8_S1H_bDpT10_ENKUlT_T0_E_clISt17integral_constantIbLb1EES1U_IbLb0EEEEDaS1Q_S1R_EUlS1Q_E_NS1_11comp_targetILNS1_3genE2ELNS1_11target_archE906ELNS1_3gpuE6ELNS1_3repE0EEENS1_30default_config_static_selectorELNS0_4arch9wavefront6targetE1EEEvS13_.num_agpr, 0
	.set _ZN7rocprim17ROCPRIM_400000_NS6detail17trampoline_kernelINS0_13select_configILj256ELj13ELNS0_17block_load_methodE3ELS4_3ELS4_3ELNS0_20block_scan_algorithmE0ELj4294967295EEENS1_25partition_config_selectorILNS1_17partition_subalgoE4EjNS0_10empty_typeEbEEZZNS1_14partition_implILS8_4ELb0ES6_15HIP_vector_typeIjLj2EENS0_17counting_iteratorIjlEEPS9_SG_NS0_5tupleIJPjSI_NS0_16reverse_iteratorISI_EEEEENSH_IJSG_SG_SG_EEES9_SI_JZNS1_25segmented_radix_sort_implINS0_14default_configELb0EPK6__halfPSP_PKlPlN2at6native12_GLOBAL__N_18offset_tEEE10hipError_tPvRmT1_PNSt15iterator_traitsIS13_E10value_typeET2_T3_PNS14_IS19_E10value_typeET4_jRbjT5_S1F_jjP12ihipStream_tbEUljE_ZNSN_ISO_Lb0ESR_SS_SU_SV_SZ_EES10_S11_S12_S13_S17_S18_S19_S1C_S1D_jS1E_jS1F_S1F_jjS1H_bEUljE0_EEES10_S11_S12_S19_S1D_S1F_T6_T7_T9_mT8_S1H_bDpT10_ENKUlT_T0_E_clISt17integral_constantIbLb1EES1U_IbLb0EEEEDaS1Q_S1R_EUlS1Q_E_NS1_11comp_targetILNS1_3genE2ELNS1_11target_archE906ELNS1_3gpuE6ELNS1_3repE0EEENS1_30default_config_static_selectorELNS0_4arch9wavefront6targetE1EEEvS13_.numbered_sgpr, 0
	.set _ZN7rocprim17ROCPRIM_400000_NS6detail17trampoline_kernelINS0_13select_configILj256ELj13ELNS0_17block_load_methodE3ELS4_3ELS4_3ELNS0_20block_scan_algorithmE0ELj4294967295EEENS1_25partition_config_selectorILNS1_17partition_subalgoE4EjNS0_10empty_typeEbEEZZNS1_14partition_implILS8_4ELb0ES6_15HIP_vector_typeIjLj2EENS0_17counting_iteratorIjlEEPS9_SG_NS0_5tupleIJPjSI_NS0_16reverse_iteratorISI_EEEEENSH_IJSG_SG_SG_EEES9_SI_JZNS1_25segmented_radix_sort_implINS0_14default_configELb0EPK6__halfPSP_PKlPlN2at6native12_GLOBAL__N_18offset_tEEE10hipError_tPvRmT1_PNSt15iterator_traitsIS13_E10value_typeET2_T3_PNS14_IS19_E10value_typeET4_jRbjT5_S1F_jjP12ihipStream_tbEUljE_ZNSN_ISO_Lb0ESR_SS_SU_SV_SZ_EES10_S11_S12_S13_S17_S18_S19_S1C_S1D_jS1E_jS1F_S1F_jjS1H_bEUljE0_EEES10_S11_S12_S19_S1D_S1F_T6_T7_T9_mT8_S1H_bDpT10_ENKUlT_T0_E_clISt17integral_constantIbLb1EES1U_IbLb0EEEEDaS1Q_S1R_EUlS1Q_E_NS1_11comp_targetILNS1_3genE2ELNS1_11target_archE906ELNS1_3gpuE6ELNS1_3repE0EEENS1_30default_config_static_selectorELNS0_4arch9wavefront6targetE1EEEvS13_.num_named_barrier, 0
	.set _ZN7rocprim17ROCPRIM_400000_NS6detail17trampoline_kernelINS0_13select_configILj256ELj13ELNS0_17block_load_methodE3ELS4_3ELS4_3ELNS0_20block_scan_algorithmE0ELj4294967295EEENS1_25partition_config_selectorILNS1_17partition_subalgoE4EjNS0_10empty_typeEbEEZZNS1_14partition_implILS8_4ELb0ES6_15HIP_vector_typeIjLj2EENS0_17counting_iteratorIjlEEPS9_SG_NS0_5tupleIJPjSI_NS0_16reverse_iteratorISI_EEEEENSH_IJSG_SG_SG_EEES9_SI_JZNS1_25segmented_radix_sort_implINS0_14default_configELb0EPK6__halfPSP_PKlPlN2at6native12_GLOBAL__N_18offset_tEEE10hipError_tPvRmT1_PNSt15iterator_traitsIS13_E10value_typeET2_T3_PNS14_IS19_E10value_typeET4_jRbjT5_S1F_jjP12ihipStream_tbEUljE_ZNSN_ISO_Lb0ESR_SS_SU_SV_SZ_EES10_S11_S12_S13_S17_S18_S19_S1C_S1D_jS1E_jS1F_S1F_jjS1H_bEUljE0_EEES10_S11_S12_S19_S1D_S1F_T6_T7_T9_mT8_S1H_bDpT10_ENKUlT_T0_E_clISt17integral_constantIbLb1EES1U_IbLb0EEEEDaS1Q_S1R_EUlS1Q_E_NS1_11comp_targetILNS1_3genE2ELNS1_11target_archE906ELNS1_3gpuE6ELNS1_3repE0EEENS1_30default_config_static_selectorELNS0_4arch9wavefront6targetE1EEEvS13_.private_seg_size, 0
	.set _ZN7rocprim17ROCPRIM_400000_NS6detail17trampoline_kernelINS0_13select_configILj256ELj13ELNS0_17block_load_methodE3ELS4_3ELS4_3ELNS0_20block_scan_algorithmE0ELj4294967295EEENS1_25partition_config_selectorILNS1_17partition_subalgoE4EjNS0_10empty_typeEbEEZZNS1_14partition_implILS8_4ELb0ES6_15HIP_vector_typeIjLj2EENS0_17counting_iteratorIjlEEPS9_SG_NS0_5tupleIJPjSI_NS0_16reverse_iteratorISI_EEEEENSH_IJSG_SG_SG_EEES9_SI_JZNS1_25segmented_radix_sort_implINS0_14default_configELb0EPK6__halfPSP_PKlPlN2at6native12_GLOBAL__N_18offset_tEEE10hipError_tPvRmT1_PNSt15iterator_traitsIS13_E10value_typeET2_T3_PNS14_IS19_E10value_typeET4_jRbjT5_S1F_jjP12ihipStream_tbEUljE_ZNSN_ISO_Lb0ESR_SS_SU_SV_SZ_EES10_S11_S12_S13_S17_S18_S19_S1C_S1D_jS1E_jS1F_S1F_jjS1H_bEUljE0_EEES10_S11_S12_S19_S1D_S1F_T6_T7_T9_mT8_S1H_bDpT10_ENKUlT_T0_E_clISt17integral_constantIbLb1EES1U_IbLb0EEEEDaS1Q_S1R_EUlS1Q_E_NS1_11comp_targetILNS1_3genE2ELNS1_11target_archE906ELNS1_3gpuE6ELNS1_3repE0EEENS1_30default_config_static_selectorELNS0_4arch9wavefront6targetE1EEEvS13_.uses_vcc, 0
	.set _ZN7rocprim17ROCPRIM_400000_NS6detail17trampoline_kernelINS0_13select_configILj256ELj13ELNS0_17block_load_methodE3ELS4_3ELS4_3ELNS0_20block_scan_algorithmE0ELj4294967295EEENS1_25partition_config_selectorILNS1_17partition_subalgoE4EjNS0_10empty_typeEbEEZZNS1_14partition_implILS8_4ELb0ES6_15HIP_vector_typeIjLj2EENS0_17counting_iteratorIjlEEPS9_SG_NS0_5tupleIJPjSI_NS0_16reverse_iteratorISI_EEEEENSH_IJSG_SG_SG_EEES9_SI_JZNS1_25segmented_radix_sort_implINS0_14default_configELb0EPK6__halfPSP_PKlPlN2at6native12_GLOBAL__N_18offset_tEEE10hipError_tPvRmT1_PNSt15iterator_traitsIS13_E10value_typeET2_T3_PNS14_IS19_E10value_typeET4_jRbjT5_S1F_jjP12ihipStream_tbEUljE_ZNSN_ISO_Lb0ESR_SS_SU_SV_SZ_EES10_S11_S12_S13_S17_S18_S19_S1C_S1D_jS1E_jS1F_S1F_jjS1H_bEUljE0_EEES10_S11_S12_S19_S1D_S1F_T6_T7_T9_mT8_S1H_bDpT10_ENKUlT_T0_E_clISt17integral_constantIbLb1EES1U_IbLb0EEEEDaS1Q_S1R_EUlS1Q_E_NS1_11comp_targetILNS1_3genE2ELNS1_11target_archE906ELNS1_3gpuE6ELNS1_3repE0EEENS1_30default_config_static_selectorELNS0_4arch9wavefront6targetE1EEEvS13_.uses_flat_scratch, 0
	.set _ZN7rocprim17ROCPRIM_400000_NS6detail17trampoline_kernelINS0_13select_configILj256ELj13ELNS0_17block_load_methodE3ELS4_3ELS4_3ELNS0_20block_scan_algorithmE0ELj4294967295EEENS1_25partition_config_selectorILNS1_17partition_subalgoE4EjNS0_10empty_typeEbEEZZNS1_14partition_implILS8_4ELb0ES6_15HIP_vector_typeIjLj2EENS0_17counting_iteratorIjlEEPS9_SG_NS0_5tupleIJPjSI_NS0_16reverse_iteratorISI_EEEEENSH_IJSG_SG_SG_EEES9_SI_JZNS1_25segmented_radix_sort_implINS0_14default_configELb0EPK6__halfPSP_PKlPlN2at6native12_GLOBAL__N_18offset_tEEE10hipError_tPvRmT1_PNSt15iterator_traitsIS13_E10value_typeET2_T3_PNS14_IS19_E10value_typeET4_jRbjT5_S1F_jjP12ihipStream_tbEUljE_ZNSN_ISO_Lb0ESR_SS_SU_SV_SZ_EES10_S11_S12_S13_S17_S18_S19_S1C_S1D_jS1E_jS1F_S1F_jjS1H_bEUljE0_EEES10_S11_S12_S19_S1D_S1F_T6_T7_T9_mT8_S1H_bDpT10_ENKUlT_T0_E_clISt17integral_constantIbLb1EES1U_IbLb0EEEEDaS1Q_S1R_EUlS1Q_E_NS1_11comp_targetILNS1_3genE2ELNS1_11target_archE906ELNS1_3gpuE6ELNS1_3repE0EEENS1_30default_config_static_selectorELNS0_4arch9wavefront6targetE1EEEvS13_.has_dyn_sized_stack, 0
	.set _ZN7rocprim17ROCPRIM_400000_NS6detail17trampoline_kernelINS0_13select_configILj256ELj13ELNS0_17block_load_methodE3ELS4_3ELS4_3ELNS0_20block_scan_algorithmE0ELj4294967295EEENS1_25partition_config_selectorILNS1_17partition_subalgoE4EjNS0_10empty_typeEbEEZZNS1_14partition_implILS8_4ELb0ES6_15HIP_vector_typeIjLj2EENS0_17counting_iteratorIjlEEPS9_SG_NS0_5tupleIJPjSI_NS0_16reverse_iteratorISI_EEEEENSH_IJSG_SG_SG_EEES9_SI_JZNS1_25segmented_radix_sort_implINS0_14default_configELb0EPK6__halfPSP_PKlPlN2at6native12_GLOBAL__N_18offset_tEEE10hipError_tPvRmT1_PNSt15iterator_traitsIS13_E10value_typeET2_T3_PNS14_IS19_E10value_typeET4_jRbjT5_S1F_jjP12ihipStream_tbEUljE_ZNSN_ISO_Lb0ESR_SS_SU_SV_SZ_EES10_S11_S12_S13_S17_S18_S19_S1C_S1D_jS1E_jS1F_S1F_jjS1H_bEUljE0_EEES10_S11_S12_S19_S1D_S1F_T6_T7_T9_mT8_S1H_bDpT10_ENKUlT_T0_E_clISt17integral_constantIbLb1EES1U_IbLb0EEEEDaS1Q_S1R_EUlS1Q_E_NS1_11comp_targetILNS1_3genE2ELNS1_11target_archE906ELNS1_3gpuE6ELNS1_3repE0EEENS1_30default_config_static_selectorELNS0_4arch9wavefront6targetE1EEEvS13_.has_recursion, 0
	.set _ZN7rocprim17ROCPRIM_400000_NS6detail17trampoline_kernelINS0_13select_configILj256ELj13ELNS0_17block_load_methodE3ELS4_3ELS4_3ELNS0_20block_scan_algorithmE0ELj4294967295EEENS1_25partition_config_selectorILNS1_17partition_subalgoE4EjNS0_10empty_typeEbEEZZNS1_14partition_implILS8_4ELb0ES6_15HIP_vector_typeIjLj2EENS0_17counting_iteratorIjlEEPS9_SG_NS0_5tupleIJPjSI_NS0_16reverse_iteratorISI_EEEEENSH_IJSG_SG_SG_EEES9_SI_JZNS1_25segmented_radix_sort_implINS0_14default_configELb0EPK6__halfPSP_PKlPlN2at6native12_GLOBAL__N_18offset_tEEE10hipError_tPvRmT1_PNSt15iterator_traitsIS13_E10value_typeET2_T3_PNS14_IS19_E10value_typeET4_jRbjT5_S1F_jjP12ihipStream_tbEUljE_ZNSN_ISO_Lb0ESR_SS_SU_SV_SZ_EES10_S11_S12_S13_S17_S18_S19_S1C_S1D_jS1E_jS1F_S1F_jjS1H_bEUljE0_EEES10_S11_S12_S19_S1D_S1F_T6_T7_T9_mT8_S1H_bDpT10_ENKUlT_T0_E_clISt17integral_constantIbLb1EES1U_IbLb0EEEEDaS1Q_S1R_EUlS1Q_E_NS1_11comp_targetILNS1_3genE2ELNS1_11target_archE906ELNS1_3gpuE6ELNS1_3repE0EEENS1_30default_config_static_selectorELNS0_4arch9wavefront6targetE1EEEvS13_.has_indirect_call, 0
	.section	.AMDGPU.csdata,"",@progbits
; Kernel info:
; codeLenInByte = 4
; TotalNumSgprs: 4
; NumVgprs: 0
; ScratchSize: 0
; MemoryBound: 0
; FloatMode: 240
; IeeeMode: 1
; LDSByteSize: 0 bytes/workgroup (compile time only)
; SGPRBlocks: 0
; VGPRBlocks: 0
; NumSGPRsForWavesPerEU: 4
; NumVGPRsForWavesPerEU: 1
; Occupancy: 10
; WaveLimiterHint : 0
; COMPUTE_PGM_RSRC2:SCRATCH_EN: 0
; COMPUTE_PGM_RSRC2:USER_SGPR: 6
; COMPUTE_PGM_RSRC2:TRAP_HANDLER: 0
; COMPUTE_PGM_RSRC2:TGID_X_EN: 1
; COMPUTE_PGM_RSRC2:TGID_Y_EN: 0
; COMPUTE_PGM_RSRC2:TGID_Z_EN: 0
; COMPUTE_PGM_RSRC2:TIDIG_COMP_CNT: 0
	.section	.text._ZN7rocprim17ROCPRIM_400000_NS6detail17trampoline_kernelINS0_13select_configILj256ELj13ELNS0_17block_load_methodE3ELS4_3ELS4_3ELNS0_20block_scan_algorithmE0ELj4294967295EEENS1_25partition_config_selectorILNS1_17partition_subalgoE4EjNS0_10empty_typeEbEEZZNS1_14partition_implILS8_4ELb0ES6_15HIP_vector_typeIjLj2EENS0_17counting_iteratorIjlEEPS9_SG_NS0_5tupleIJPjSI_NS0_16reverse_iteratorISI_EEEEENSH_IJSG_SG_SG_EEES9_SI_JZNS1_25segmented_radix_sort_implINS0_14default_configELb0EPK6__halfPSP_PKlPlN2at6native12_GLOBAL__N_18offset_tEEE10hipError_tPvRmT1_PNSt15iterator_traitsIS13_E10value_typeET2_T3_PNS14_IS19_E10value_typeET4_jRbjT5_S1F_jjP12ihipStream_tbEUljE_ZNSN_ISO_Lb0ESR_SS_SU_SV_SZ_EES10_S11_S12_S13_S17_S18_S19_S1C_S1D_jS1E_jS1F_S1F_jjS1H_bEUljE0_EEES10_S11_S12_S19_S1D_S1F_T6_T7_T9_mT8_S1H_bDpT10_ENKUlT_T0_E_clISt17integral_constantIbLb1EES1U_IbLb0EEEEDaS1Q_S1R_EUlS1Q_E_NS1_11comp_targetILNS1_3genE10ELNS1_11target_archE1200ELNS1_3gpuE4ELNS1_3repE0EEENS1_30default_config_static_selectorELNS0_4arch9wavefront6targetE1EEEvS13_,"axG",@progbits,_ZN7rocprim17ROCPRIM_400000_NS6detail17trampoline_kernelINS0_13select_configILj256ELj13ELNS0_17block_load_methodE3ELS4_3ELS4_3ELNS0_20block_scan_algorithmE0ELj4294967295EEENS1_25partition_config_selectorILNS1_17partition_subalgoE4EjNS0_10empty_typeEbEEZZNS1_14partition_implILS8_4ELb0ES6_15HIP_vector_typeIjLj2EENS0_17counting_iteratorIjlEEPS9_SG_NS0_5tupleIJPjSI_NS0_16reverse_iteratorISI_EEEEENSH_IJSG_SG_SG_EEES9_SI_JZNS1_25segmented_radix_sort_implINS0_14default_configELb0EPK6__halfPSP_PKlPlN2at6native12_GLOBAL__N_18offset_tEEE10hipError_tPvRmT1_PNSt15iterator_traitsIS13_E10value_typeET2_T3_PNS14_IS19_E10value_typeET4_jRbjT5_S1F_jjP12ihipStream_tbEUljE_ZNSN_ISO_Lb0ESR_SS_SU_SV_SZ_EES10_S11_S12_S13_S17_S18_S19_S1C_S1D_jS1E_jS1F_S1F_jjS1H_bEUljE0_EEES10_S11_S12_S19_S1D_S1F_T6_T7_T9_mT8_S1H_bDpT10_ENKUlT_T0_E_clISt17integral_constantIbLb1EES1U_IbLb0EEEEDaS1Q_S1R_EUlS1Q_E_NS1_11comp_targetILNS1_3genE10ELNS1_11target_archE1200ELNS1_3gpuE4ELNS1_3repE0EEENS1_30default_config_static_selectorELNS0_4arch9wavefront6targetE1EEEvS13_,comdat
	.globl	_ZN7rocprim17ROCPRIM_400000_NS6detail17trampoline_kernelINS0_13select_configILj256ELj13ELNS0_17block_load_methodE3ELS4_3ELS4_3ELNS0_20block_scan_algorithmE0ELj4294967295EEENS1_25partition_config_selectorILNS1_17partition_subalgoE4EjNS0_10empty_typeEbEEZZNS1_14partition_implILS8_4ELb0ES6_15HIP_vector_typeIjLj2EENS0_17counting_iteratorIjlEEPS9_SG_NS0_5tupleIJPjSI_NS0_16reverse_iteratorISI_EEEEENSH_IJSG_SG_SG_EEES9_SI_JZNS1_25segmented_radix_sort_implINS0_14default_configELb0EPK6__halfPSP_PKlPlN2at6native12_GLOBAL__N_18offset_tEEE10hipError_tPvRmT1_PNSt15iterator_traitsIS13_E10value_typeET2_T3_PNS14_IS19_E10value_typeET4_jRbjT5_S1F_jjP12ihipStream_tbEUljE_ZNSN_ISO_Lb0ESR_SS_SU_SV_SZ_EES10_S11_S12_S13_S17_S18_S19_S1C_S1D_jS1E_jS1F_S1F_jjS1H_bEUljE0_EEES10_S11_S12_S19_S1D_S1F_T6_T7_T9_mT8_S1H_bDpT10_ENKUlT_T0_E_clISt17integral_constantIbLb1EES1U_IbLb0EEEEDaS1Q_S1R_EUlS1Q_E_NS1_11comp_targetILNS1_3genE10ELNS1_11target_archE1200ELNS1_3gpuE4ELNS1_3repE0EEENS1_30default_config_static_selectorELNS0_4arch9wavefront6targetE1EEEvS13_ ; -- Begin function _ZN7rocprim17ROCPRIM_400000_NS6detail17trampoline_kernelINS0_13select_configILj256ELj13ELNS0_17block_load_methodE3ELS4_3ELS4_3ELNS0_20block_scan_algorithmE0ELj4294967295EEENS1_25partition_config_selectorILNS1_17partition_subalgoE4EjNS0_10empty_typeEbEEZZNS1_14partition_implILS8_4ELb0ES6_15HIP_vector_typeIjLj2EENS0_17counting_iteratorIjlEEPS9_SG_NS0_5tupleIJPjSI_NS0_16reverse_iteratorISI_EEEEENSH_IJSG_SG_SG_EEES9_SI_JZNS1_25segmented_radix_sort_implINS0_14default_configELb0EPK6__halfPSP_PKlPlN2at6native12_GLOBAL__N_18offset_tEEE10hipError_tPvRmT1_PNSt15iterator_traitsIS13_E10value_typeET2_T3_PNS14_IS19_E10value_typeET4_jRbjT5_S1F_jjP12ihipStream_tbEUljE_ZNSN_ISO_Lb0ESR_SS_SU_SV_SZ_EES10_S11_S12_S13_S17_S18_S19_S1C_S1D_jS1E_jS1F_S1F_jjS1H_bEUljE0_EEES10_S11_S12_S19_S1D_S1F_T6_T7_T9_mT8_S1H_bDpT10_ENKUlT_T0_E_clISt17integral_constantIbLb1EES1U_IbLb0EEEEDaS1Q_S1R_EUlS1Q_E_NS1_11comp_targetILNS1_3genE10ELNS1_11target_archE1200ELNS1_3gpuE4ELNS1_3repE0EEENS1_30default_config_static_selectorELNS0_4arch9wavefront6targetE1EEEvS13_
	.p2align	8
	.type	_ZN7rocprim17ROCPRIM_400000_NS6detail17trampoline_kernelINS0_13select_configILj256ELj13ELNS0_17block_load_methodE3ELS4_3ELS4_3ELNS0_20block_scan_algorithmE0ELj4294967295EEENS1_25partition_config_selectorILNS1_17partition_subalgoE4EjNS0_10empty_typeEbEEZZNS1_14partition_implILS8_4ELb0ES6_15HIP_vector_typeIjLj2EENS0_17counting_iteratorIjlEEPS9_SG_NS0_5tupleIJPjSI_NS0_16reverse_iteratorISI_EEEEENSH_IJSG_SG_SG_EEES9_SI_JZNS1_25segmented_radix_sort_implINS0_14default_configELb0EPK6__halfPSP_PKlPlN2at6native12_GLOBAL__N_18offset_tEEE10hipError_tPvRmT1_PNSt15iterator_traitsIS13_E10value_typeET2_T3_PNS14_IS19_E10value_typeET4_jRbjT5_S1F_jjP12ihipStream_tbEUljE_ZNSN_ISO_Lb0ESR_SS_SU_SV_SZ_EES10_S11_S12_S13_S17_S18_S19_S1C_S1D_jS1E_jS1F_S1F_jjS1H_bEUljE0_EEES10_S11_S12_S19_S1D_S1F_T6_T7_T9_mT8_S1H_bDpT10_ENKUlT_T0_E_clISt17integral_constantIbLb1EES1U_IbLb0EEEEDaS1Q_S1R_EUlS1Q_E_NS1_11comp_targetILNS1_3genE10ELNS1_11target_archE1200ELNS1_3gpuE4ELNS1_3repE0EEENS1_30default_config_static_selectorELNS0_4arch9wavefront6targetE1EEEvS13_,@function
_ZN7rocprim17ROCPRIM_400000_NS6detail17trampoline_kernelINS0_13select_configILj256ELj13ELNS0_17block_load_methodE3ELS4_3ELS4_3ELNS0_20block_scan_algorithmE0ELj4294967295EEENS1_25partition_config_selectorILNS1_17partition_subalgoE4EjNS0_10empty_typeEbEEZZNS1_14partition_implILS8_4ELb0ES6_15HIP_vector_typeIjLj2EENS0_17counting_iteratorIjlEEPS9_SG_NS0_5tupleIJPjSI_NS0_16reverse_iteratorISI_EEEEENSH_IJSG_SG_SG_EEES9_SI_JZNS1_25segmented_radix_sort_implINS0_14default_configELb0EPK6__halfPSP_PKlPlN2at6native12_GLOBAL__N_18offset_tEEE10hipError_tPvRmT1_PNSt15iterator_traitsIS13_E10value_typeET2_T3_PNS14_IS19_E10value_typeET4_jRbjT5_S1F_jjP12ihipStream_tbEUljE_ZNSN_ISO_Lb0ESR_SS_SU_SV_SZ_EES10_S11_S12_S13_S17_S18_S19_S1C_S1D_jS1E_jS1F_S1F_jjS1H_bEUljE0_EEES10_S11_S12_S19_S1D_S1F_T6_T7_T9_mT8_S1H_bDpT10_ENKUlT_T0_E_clISt17integral_constantIbLb1EES1U_IbLb0EEEEDaS1Q_S1R_EUlS1Q_E_NS1_11comp_targetILNS1_3genE10ELNS1_11target_archE1200ELNS1_3gpuE4ELNS1_3repE0EEENS1_30default_config_static_selectorELNS0_4arch9wavefront6targetE1EEEvS13_: ; @_ZN7rocprim17ROCPRIM_400000_NS6detail17trampoline_kernelINS0_13select_configILj256ELj13ELNS0_17block_load_methodE3ELS4_3ELS4_3ELNS0_20block_scan_algorithmE0ELj4294967295EEENS1_25partition_config_selectorILNS1_17partition_subalgoE4EjNS0_10empty_typeEbEEZZNS1_14partition_implILS8_4ELb0ES6_15HIP_vector_typeIjLj2EENS0_17counting_iteratorIjlEEPS9_SG_NS0_5tupleIJPjSI_NS0_16reverse_iteratorISI_EEEEENSH_IJSG_SG_SG_EEES9_SI_JZNS1_25segmented_radix_sort_implINS0_14default_configELb0EPK6__halfPSP_PKlPlN2at6native12_GLOBAL__N_18offset_tEEE10hipError_tPvRmT1_PNSt15iterator_traitsIS13_E10value_typeET2_T3_PNS14_IS19_E10value_typeET4_jRbjT5_S1F_jjP12ihipStream_tbEUljE_ZNSN_ISO_Lb0ESR_SS_SU_SV_SZ_EES10_S11_S12_S13_S17_S18_S19_S1C_S1D_jS1E_jS1F_S1F_jjS1H_bEUljE0_EEES10_S11_S12_S19_S1D_S1F_T6_T7_T9_mT8_S1H_bDpT10_ENKUlT_T0_E_clISt17integral_constantIbLb1EES1U_IbLb0EEEEDaS1Q_S1R_EUlS1Q_E_NS1_11comp_targetILNS1_3genE10ELNS1_11target_archE1200ELNS1_3gpuE4ELNS1_3repE0EEENS1_30default_config_static_selectorELNS0_4arch9wavefront6targetE1EEEvS13_
; %bb.0:
	.section	.rodata,"a",@progbits
	.p2align	6, 0x0
	.amdhsa_kernel _ZN7rocprim17ROCPRIM_400000_NS6detail17trampoline_kernelINS0_13select_configILj256ELj13ELNS0_17block_load_methodE3ELS4_3ELS4_3ELNS0_20block_scan_algorithmE0ELj4294967295EEENS1_25partition_config_selectorILNS1_17partition_subalgoE4EjNS0_10empty_typeEbEEZZNS1_14partition_implILS8_4ELb0ES6_15HIP_vector_typeIjLj2EENS0_17counting_iteratorIjlEEPS9_SG_NS0_5tupleIJPjSI_NS0_16reverse_iteratorISI_EEEEENSH_IJSG_SG_SG_EEES9_SI_JZNS1_25segmented_radix_sort_implINS0_14default_configELb0EPK6__halfPSP_PKlPlN2at6native12_GLOBAL__N_18offset_tEEE10hipError_tPvRmT1_PNSt15iterator_traitsIS13_E10value_typeET2_T3_PNS14_IS19_E10value_typeET4_jRbjT5_S1F_jjP12ihipStream_tbEUljE_ZNSN_ISO_Lb0ESR_SS_SU_SV_SZ_EES10_S11_S12_S13_S17_S18_S19_S1C_S1D_jS1E_jS1F_S1F_jjS1H_bEUljE0_EEES10_S11_S12_S19_S1D_S1F_T6_T7_T9_mT8_S1H_bDpT10_ENKUlT_T0_E_clISt17integral_constantIbLb1EES1U_IbLb0EEEEDaS1Q_S1R_EUlS1Q_E_NS1_11comp_targetILNS1_3genE10ELNS1_11target_archE1200ELNS1_3gpuE4ELNS1_3repE0EEENS1_30default_config_static_selectorELNS0_4arch9wavefront6targetE1EEEvS13_
		.amdhsa_group_segment_fixed_size 0
		.amdhsa_private_segment_fixed_size 0
		.amdhsa_kernarg_size 176
		.amdhsa_user_sgpr_count 6
		.amdhsa_user_sgpr_private_segment_buffer 1
		.amdhsa_user_sgpr_dispatch_ptr 0
		.amdhsa_user_sgpr_queue_ptr 0
		.amdhsa_user_sgpr_kernarg_segment_ptr 1
		.amdhsa_user_sgpr_dispatch_id 0
		.amdhsa_user_sgpr_flat_scratch_init 0
		.amdhsa_user_sgpr_private_segment_size 0
		.amdhsa_uses_dynamic_stack 0
		.amdhsa_system_sgpr_private_segment_wavefront_offset 0
		.amdhsa_system_sgpr_workgroup_id_x 1
		.amdhsa_system_sgpr_workgroup_id_y 0
		.amdhsa_system_sgpr_workgroup_id_z 0
		.amdhsa_system_sgpr_workgroup_info 0
		.amdhsa_system_vgpr_workitem_id 0
		.amdhsa_next_free_vgpr 1
		.amdhsa_next_free_sgpr 0
		.amdhsa_reserve_vcc 0
		.amdhsa_reserve_flat_scratch 0
		.amdhsa_float_round_mode_32 0
		.amdhsa_float_round_mode_16_64 0
		.amdhsa_float_denorm_mode_32 3
		.amdhsa_float_denorm_mode_16_64 3
		.amdhsa_dx10_clamp 1
		.amdhsa_ieee_mode 1
		.amdhsa_fp16_overflow 0
		.amdhsa_exception_fp_ieee_invalid_op 0
		.amdhsa_exception_fp_denorm_src 0
		.amdhsa_exception_fp_ieee_div_zero 0
		.amdhsa_exception_fp_ieee_overflow 0
		.amdhsa_exception_fp_ieee_underflow 0
		.amdhsa_exception_fp_ieee_inexact 0
		.amdhsa_exception_int_div_zero 0
	.end_amdhsa_kernel
	.section	.text._ZN7rocprim17ROCPRIM_400000_NS6detail17trampoline_kernelINS0_13select_configILj256ELj13ELNS0_17block_load_methodE3ELS4_3ELS4_3ELNS0_20block_scan_algorithmE0ELj4294967295EEENS1_25partition_config_selectorILNS1_17partition_subalgoE4EjNS0_10empty_typeEbEEZZNS1_14partition_implILS8_4ELb0ES6_15HIP_vector_typeIjLj2EENS0_17counting_iteratorIjlEEPS9_SG_NS0_5tupleIJPjSI_NS0_16reverse_iteratorISI_EEEEENSH_IJSG_SG_SG_EEES9_SI_JZNS1_25segmented_radix_sort_implINS0_14default_configELb0EPK6__halfPSP_PKlPlN2at6native12_GLOBAL__N_18offset_tEEE10hipError_tPvRmT1_PNSt15iterator_traitsIS13_E10value_typeET2_T3_PNS14_IS19_E10value_typeET4_jRbjT5_S1F_jjP12ihipStream_tbEUljE_ZNSN_ISO_Lb0ESR_SS_SU_SV_SZ_EES10_S11_S12_S13_S17_S18_S19_S1C_S1D_jS1E_jS1F_S1F_jjS1H_bEUljE0_EEES10_S11_S12_S19_S1D_S1F_T6_T7_T9_mT8_S1H_bDpT10_ENKUlT_T0_E_clISt17integral_constantIbLb1EES1U_IbLb0EEEEDaS1Q_S1R_EUlS1Q_E_NS1_11comp_targetILNS1_3genE10ELNS1_11target_archE1200ELNS1_3gpuE4ELNS1_3repE0EEENS1_30default_config_static_selectorELNS0_4arch9wavefront6targetE1EEEvS13_,"axG",@progbits,_ZN7rocprim17ROCPRIM_400000_NS6detail17trampoline_kernelINS0_13select_configILj256ELj13ELNS0_17block_load_methodE3ELS4_3ELS4_3ELNS0_20block_scan_algorithmE0ELj4294967295EEENS1_25partition_config_selectorILNS1_17partition_subalgoE4EjNS0_10empty_typeEbEEZZNS1_14partition_implILS8_4ELb0ES6_15HIP_vector_typeIjLj2EENS0_17counting_iteratorIjlEEPS9_SG_NS0_5tupleIJPjSI_NS0_16reverse_iteratorISI_EEEEENSH_IJSG_SG_SG_EEES9_SI_JZNS1_25segmented_radix_sort_implINS0_14default_configELb0EPK6__halfPSP_PKlPlN2at6native12_GLOBAL__N_18offset_tEEE10hipError_tPvRmT1_PNSt15iterator_traitsIS13_E10value_typeET2_T3_PNS14_IS19_E10value_typeET4_jRbjT5_S1F_jjP12ihipStream_tbEUljE_ZNSN_ISO_Lb0ESR_SS_SU_SV_SZ_EES10_S11_S12_S13_S17_S18_S19_S1C_S1D_jS1E_jS1F_S1F_jjS1H_bEUljE0_EEES10_S11_S12_S19_S1D_S1F_T6_T7_T9_mT8_S1H_bDpT10_ENKUlT_T0_E_clISt17integral_constantIbLb1EES1U_IbLb0EEEEDaS1Q_S1R_EUlS1Q_E_NS1_11comp_targetILNS1_3genE10ELNS1_11target_archE1200ELNS1_3gpuE4ELNS1_3repE0EEENS1_30default_config_static_selectorELNS0_4arch9wavefront6targetE1EEEvS13_,comdat
.Lfunc_end1799:
	.size	_ZN7rocprim17ROCPRIM_400000_NS6detail17trampoline_kernelINS0_13select_configILj256ELj13ELNS0_17block_load_methodE3ELS4_3ELS4_3ELNS0_20block_scan_algorithmE0ELj4294967295EEENS1_25partition_config_selectorILNS1_17partition_subalgoE4EjNS0_10empty_typeEbEEZZNS1_14partition_implILS8_4ELb0ES6_15HIP_vector_typeIjLj2EENS0_17counting_iteratorIjlEEPS9_SG_NS0_5tupleIJPjSI_NS0_16reverse_iteratorISI_EEEEENSH_IJSG_SG_SG_EEES9_SI_JZNS1_25segmented_radix_sort_implINS0_14default_configELb0EPK6__halfPSP_PKlPlN2at6native12_GLOBAL__N_18offset_tEEE10hipError_tPvRmT1_PNSt15iterator_traitsIS13_E10value_typeET2_T3_PNS14_IS19_E10value_typeET4_jRbjT5_S1F_jjP12ihipStream_tbEUljE_ZNSN_ISO_Lb0ESR_SS_SU_SV_SZ_EES10_S11_S12_S13_S17_S18_S19_S1C_S1D_jS1E_jS1F_S1F_jjS1H_bEUljE0_EEES10_S11_S12_S19_S1D_S1F_T6_T7_T9_mT8_S1H_bDpT10_ENKUlT_T0_E_clISt17integral_constantIbLb1EES1U_IbLb0EEEEDaS1Q_S1R_EUlS1Q_E_NS1_11comp_targetILNS1_3genE10ELNS1_11target_archE1200ELNS1_3gpuE4ELNS1_3repE0EEENS1_30default_config_static_selectorELNS0_4arch9wavefront6targetE1EEEvS13_, .Lfunc_end1799-_ZN7rocprim17ROCPRIM_400000_NS6detail17trampoline_kernelINS0_13select_configILj256ELj13ELNS0_17block_load_methodE3ELS4_3ELS4_3ELNS0_20block_scan_algorithmE0ELj4294967295EEENS1_25partition_config_selectorILNS1_17partition_subalgoE4EjNS0_10empty_typeEbEEZZNS1_14partition_implILS8_4ELb0ES6_15HIP_vector_typeIjLj2EENS0_17counting_iteratorIjlEEPS9_SG_NS0_5tupleIJPjSI_NS0_16reverse_iteratorISI_EEEEENSH_IJSG_SG_SG_EEES9_SI_JZNS1_25segmented_radix_sort_implINS0_14default_configELb0EPK6__halfPSP_PKlPlN2at6native12_GLOBAL__N_18offset_tEEE10hipError_tPvRmT1_PNSt15iterator_traitsIS13_E10value_typeET2_T3_PNS14_IS19_E10value_typeET4_jRbjT5_S1F_jjP12ihipStream_tbEUljE_ZNSN_ISO_Lb0ESR_SS_SU_SV_SZ_EES10_S11_S12_S13_S17_S18_S19_S1C_S1D_jS1E_jS1F_S1F_jjS1H_bEUljE0_EEES10_S11_S12_S19_S1D_S1F_T6_T7_T9_mT8_S1H_bDpT10_ENKUlT_T0_E_clISt17integral_constantIbLb1EES1U_IbLb0EEEEDaS1Q_S1R_EUlS1Q_E_NS1_11comp_targetILNS1_3genE10ELNS1_11target_archE1200ELNS1_3gpuE4ELNS1_3repE0EEENS1_30default_config_static_selectorELNS0_4arch9wavefront6targetE1EEEvS13_
                                        ; -- End function
	.set _ZN7rocprim17ROCPRIM_400000_NS6detail17trampoline_kernelINS0_13select_configILj256ELj13ELNS0_17block_load_methodE3ELS4_3ELS4_3ELNS0_20block_scan_algorithmE0ELj4294967295EEENS1_25partition_config_selectorILNS1_17partition_subalgoE4EjNS0_10empty_typeEbEEZZNS1_14partition_implILS8_4ELb0ES6_15HIP_vector_typeIjLj2EENS0_17counting_iteratorIjlEEPS9_SG_NS0_5tupleIJPjSI_NS0_16reverse_iteratorISI_EEEEENSH_IJSG_SG_SG_EEES9_SI_JZNS1_25segmented_radix_sort_implINS0_14default_configELb0EPK6__halfPSP_PKlPlN2at6native12_GLOBAL__N_18offset_tEEE10hipError_tPvRmT1_PNSt15iterator_traitsIS13_E10value_typeET2_T3_PNS14_IS19_E10value_typeET4_jRbjT5_S1F_jjP12ihipStream_tbEUljE_ZNSN_ISO_Lb0ESR_SS_SU_SV_SZ_EES10_S11_S12_S13_S17_S18_S19_S1C_S1D_jS1E_jS1F_S1F_jjS1H_bEUljE0_EEES10_S11_S12_S19_S1D_S1F_T6_T7_T9_mT8_S1H_bDpT10_ENKUlT_T0_E_clISt17integral_constantIbLb1EES1U_IbLb0EEEEDaS1Q_S1R_EUlS1Q_E_NS1_11comp_targetILNS1_3genE10ELNS1_11target_archE1200ELNS1_3gpuE4ELNS1_3repE0EEENS1_30default_config_static_selectorELNS0_4arch9wavefront6targetE1EEEvS13_.num_vgpr, 0
	.set _ZN7rocprim17ROCPRIM_400000_NS6detail17trampoline_kernelINS0_13select_configILj256ELj13ELNS0_17block_load_methodE3ELS4_3ELS4_3ELNS0_20block_scan_algorithmE0ELj4294967295EEENS1_25partition_config_selectorILNS1_17partition_subalgoE4EjNS0_10empty_typeEbEEZZNS1_14partition_implILS8_4ELb0ES6_15HIP_vector_typeIjLj2EENS0_17counting_iteratorIjlEEPS9_SG_NS0_5tupleIJPjSI_NS0_16reverse_iteratorISI_EEEEENSH_IJSG_SG_SG_EEES9_SI_JZNS1_25segmented_radix_sort_implINS0_14default_configELb0EPK6__halfPSP_PKlPlN2at6native12_GLOBAL__N_18offset_tEEE10hipError_tPvRmT1_PNSt15iterator_traitsIS13_E10value_typeET2_T3_PNS14_IS19_E10value_typeET4_jRbjT5_S1F_jjP12ihipStream_tbEUljE_ZNSN_ISO_Lb0ESR_SS_SU_SV_SZ_EES10_S11_S12_S13_S17_S18_S19_S1C_S1D_jS1E_jS1F_S1F_jjS1H_bEUljE0_EEES10_S11_S12_S19_S1D_S1F_T6_T7_T9_mT8_S1H_bDpT10_ENKUlT_T0_E_clISt17integral_constantIbLb1EES1U_IbLb0EEEEDaS1Q_S1R_EUlS1Q_E_NS1_11comp_targetILNS1_3genE10ELNS1_11target_archE1200ELNS1_3gpuE4ELNS1_3repE0EEENS1_30default_config_static_selectorELNS0_4arch9wavefront6targetE1EEEvS13_.num_agpr, 0
	.set _ZN7rocprim17ROCPRIM_400000_NS6detail17trampoline_kernelINS0_13select_configILj256ELj13ELNS0_17block_load_methodE3ELS4_3ELS4_3ELNS0_20block_scan_algorithmE0ELj4294967295EEENS1_25partition_config_selectorILNS1_17partition_subalgoE4EjNS0_10empty_typeEbEEZZNS1_14partition_implILS8_4ELb0ES6_15HIP_vector_typeIjLj2EENS0_17counting_iteratorIjlEEPS9_SG_NS0_5tupleIJPjSI_NS0_16reverse_iteratorISI_EEEEENSH_IJSG_SG_SG_EEES9_SI_JZNS1_25segmented_radix_sort_implINS0_14default_configELb0EPK6__halfPSP_PKlPlN2at6native12_GLOBAL__N_18offset_tEEE10hipError_tPvRmT1_PNSt15iterator_traitsIS13_E10value_typeET2_T3_PNS14_IS19_E10value_typeET4_jRbjT5_S1F_jjP12ihipStream_tbEUljE_ZNSN_ISO_Lb0ESR_SS_SU_SV_SZ_EES10_S11_S12_S13_S17_S18_S19_S1C_S1D_jS1E_jS1F_S1F_jjS1H_bEUljE0_EEES10_S11_S12_S19_S1D_S1F_T6_T7_T9_mT8_S1H_bDpT10_ENKUlT_T0_E_clISt17integral_constantIbLb1EES1U_IbLb0EEEEDaS1Q_S1R_EUlS1Q_E_NS1_11comp_targetILNS1_3genE10ELNS1_11target_archE1200ELNS1_3gpuE4ELNS1_3repE0EEENS1_30default_config_static_selectorELNS0_4arch9wavefront6targetE1EEEvS13_.numbered_sgpr, 0
	.set _ZN7rocprim17ROCPRIM_400000_NS6detail17trampoline_kernelINS0_13select_configILj256ELj13ELNS0_17block_load_methodE3ELS4_3ELS4_3ELNS0_20block_scan_algorithmE0ELj4294967295EEENS1_25partition_config_selectorILNS1_17partition_subalgoE4EjNS0_10empty_typeEbEEZZNS1_14partition_implILS8_4ELb0ES6_15HIP_vector_typeIjLj2EENS0_17counting_iteratorIjlEEPS9_SG_NS0_5tupleIJPjSI_NS0_16reverse_iteratorISI_EEEEENSH_IJSG_SG_SG_EEES9_SI_JZNS1_25segmented_radix_sort_implINS0_14default_configELb0EPK6__halfPSP_PKlPlN2at6native12_GLOBAL__N_18offset_tEEE10hipError_tPvRmT1_PNSt15iterator_traitsIS13_E10value_typeET2_T3_PNS14_IS19_E10value_typeET4_jRbjT5_S1F_jjP12ihipStream_tbEUljE_ZNSN_ISO_Lb0ESR_SS_SU_SV_SZ_EES10_S11_S12_S13_S17_S18_S19_S1C_S1D_jS1E_jS1F_S1F_jjS1H_bEUljE0_EEES10_S11_S12_S19_S1D_S1F_T6_T7_T9_mT8_S1H_bDpT10_ENKUlT_T0_E_clISt17integral_constantIbLb1EES1U_IbLb0EEEEDaS1Q_S1R_EUlS1Q_E_NS1_11comp_targetILNS1_3genE10ELNS1_11target_archE1200ELNS1_3gpuE4ELNS1_3repE0EEENS1_30default_config_static_selectorELNS0_4arch9wavefront6targetE1EEEvS13_.num_named_barrier, 0
	.set _ZN7rocprim17ROCPRIM_400000_NS6detail17trampoline_kernelINS0_13select_configILj256ELj13ELNS0_17block_load_methodE3ELS4_3ELS4_3ELNS0_20block_scan_algorithmE0ELj4294967295EEENS1_25partition_config_selectorILNS1_17partition_subalgoE4EjNS0_10empty_typeEbEEZZNS1_14partition_implILS8_4ELb0ES6_15HIP_vector_typeIjLj2EENS0_17counting_iteratorIjlEEPS9_SG_NS0_5tupleIJPjSI_NS0_16reverse_iteratorISI_EEEEENSH_IJSG_SG_SG_EEES9_SI_JZNS1_25segmented_radix_sort_implINS0_14default_configELb0EPK6__halfPSP_PKlPlN2at6native12_GLOBAL__N_18offset_tEEE10hipError_tPvRmT1_PNSt15iterator_traitsIS13_E10value_typeET2_T3_PNS14_IS19_E10value_typeET4_jRbjT5_S1F_jjP12ihipStream_tbEUljE_ZNSN_ISO_Lb0ESR_SS_SU_SV_SZ_EES10_S11_S12_S13_S17_S18_S19_S1C_S1D_jS1E_jS1F_S1F_jjS1H_bEUljE0_EEES10_S11_S12_S19_S1D_S1F_T6_T7_T9_mT8_S1H_bDpT10_ENKUlT_T0_E_clISt17integral_constantIbLb1EES1U_IbLb0EEEEDaS1Q_S1R_EUlS1Q_E_NS1_11comp_targetILNS1_3genE10ELNS1_11target_archE1200ELNS1_3gpuE4ELNS1_3repE0EEENS1_30default_config_static_selectorELNS0_4arch9wavefront6targetE1EEEvS13_.private_seg_size, 0
	.set _ZN7rocprim17ROCPRIM_400000_NS6detail17trampoline_kernelINS0_13select_configILj256ELj13ELNS0_17block_load_methodE3ELS4_3ELS4_3ELNS0_20block_scan_algorithmE0ELj4294967295EEENS1_25partition_config_selectorILNS1_17partition_subalgoE4EjNS0_10empty_typeEbEEZZNS1_14partition_implILS8_4ELb0ES6_15HIP_vector_typeIjLj2EENS0_17counting_iteratorIjlEEPS9_SG_NS0_5tupleIJPjSI_NS0_16reverse_iteratorISI_EEEEENSH_IJSG_SG_SG_EEES9_SI_JZNS1_25segmented_radix_sort_implINS0_14default_configELb0EPK6__halfPSP_PKlPlN2at6native12_GLOBAL__N_18offset_tEEE10hipError_tPvRmT1_PNSt15iterator_traitsIS13_E10value_typeET2_T3_PNS14_IS19_E10value_typeET4_jRbjT5_S1F_jjP12ihipStream_tbEUljE_ZNSN_ISO_Lb0ESR_SS_SU_SV_SZ_EES10_S11_S12_S13_S17_S18_S19_S1C_S1D_jS1E_jS1F_S1F_jjS1H_bEUljE0_EEES10_S11_S12_S19_S1D_S1F_T6_T7_T9_mT8_S1H_bDpT10_ENKUlT_T0_E_clISt17integral_constantIbLb1EES1U_IbLb0EEEEDaS1Q_S1R_EUlS1Q_E_NS1_11comp_targetILNS1_3genE10ELNS1_11target_archE1200ELNS1_3gpuE4ELNS1_3repE0EEENS1_30default_config_static_selectorELNS0_4arch9wavefront6targetE1EEEvS13_.uses_vcc, 0
	.set _ZN7rocprim17ROCPRIM_400000_NS6detail17trampoline_kernelINS0_13select_configILj256ELj13ELNS0_17block_load_methodE3ELS4_3ELS4_3ELNS0_20block_scan_algorithmE0ELj4294967295EEENS1_25partition_config_selectorILNS1_17partition_subalgoE4EjNS0_10empty_typeEbEEZZNS1_14partition_implILS8_4ELb0ES6_15HIP_vector_typeIjLj2EENS0_17counting_iteratorIjlEEPS9_SG_NS0_5tupleIJPjSI_NS0_16reverse_iteratorISI_EEEEENSH_IJSG_SG_SG_EEES9_SI_JZNS1_25segmented_radix_sort_implINS0_14default_configELb0EPK6__halfPSP_PKlPlN2at6native12_GLOBAL__N_18offset_tEEE10hipError_tPvRmT1_PNSt15iterator_traitsIS13_E10value_typeET2_T3_PNS14_IS19_E10value_typeET4_jRbjT5_S1F_jjP12ihipStream_tbEUljE_ZNSN_ISO_Lb0ESR_SS_SU_SV_SZ_EES10_S11_S12_S13_S17_S18_S19_S1C_S1D_jS1E_jS1F_S1F_jjS1H_bEUljE0_EEES10_S11_S12_S19_S1D_S1F_T6_T7_T9_mT8_S1H_bDpT10_ENKUlT_T0_E_clISt17integral_constantIbLb1EES1U_IbLb0EEEEDaS1Q_S1R_EUlS1Q_E_NS1_11comp_targetILNS1_3genE10ELNS1_11target_archE1200ELNS1_3gpuE4ELNS1_3repE0EEENS1_30default_config_static_selectorELNS0_4arch9wavefront6targetE1EEEvS13_.uses_flat_scratch, 0
	.set _ZN7rocprim17ROCPRIM_400000_NS6detail17trampoline_kernelINS0_13select_configILj256ELj13ELNS0_17block_load_methodE3ELS4_3ELS4_3ELNS0_20block_scan_algorithmE0ELj4294967295EEENS1_25partition_config_selectorILNS1_17partition_subalgoE4EjNS0_10empty_typeEbEEZZNS1_14partition_implILS8_4ELb0ES6_15HIP_vector_typeIjLj2EENS0_17counting_iteratorIjlEEPS9_SG_NS0_5tupleIJPjSI_NS0_16reverse_iteratorISI_EEEEENSH_IJSG_SG_SG_EEES9_SI_JZNS1_25segmented_radix_sort_implINS0_14default_configELb0EPK6__halfPSP_PKlPlN2at6native12_GLOBAL__N_18offset_tEEE10hipError_tPvRmT1_PNSt15iterator_traitsIS13_E10value_typeET2_T3_PNS14_IS19_E10value_typeET4_jRbjT5_S1F_jjP12ihipStream_tbEUljE_ZNSN_ISO_Lb0ESR_SS_SU_SV_SZ_EES10_S11_S12_S13_S17_S18_S19_S1C_S1D_jS1E_jS1F_S1F_jjS1H_bEUljE0_EEES10_S11_S12_S19_S1D_S1F_T6_T7_T9_mT8_S1H_bDpT10_ENKUlT_T0_E_clISt17integral_constantIbLb1EES1U_IbLb0EEEEDaS1Q_S1R_EUlS1Q_E_NS1_11comp_targetILNS1_3genE10ELNS1_11target_archE1200ELNS1_3gpuE4ELNS1_3repE0EEENS1_30default_config_static_selectorELNS0_4arch9wavefront6targetE1EEEvS13_.has_dyn_sized_stack, 0
	.set _ZN7rocprim17ROCPRIM_400000_NS6detail17trampoline_kernelINS0_13select_configILj256ELj13ELNS0_17block_load_methodE3ELS4_3ELS4_3ELNS0_20block_scan_algorithmE0ELj4294967295EEENS1_25partition_config_selectorILNS1_17partition_subalgoE4EjNS0_10empty_typeEbEEZZNS1_14partition_implILS8_4ELb0ES6_15HIP_vector_typeIjLj2EENS0_17counting_iteratorIjlEEPS9_SG_NS0_5tupleIJPjSI_NS0_16reverse_iteratorISI_EEEEENSH_IJSG_SG_SG_EEES9_SI_JZNS1_25segmented_radix_sort_implINS0_14default_configELb0EPK6__halfPSP_PKlPlN2at6native12_GLOBAL__N_18offset_tEEE10hipError_tPvRmT1_PNSt15iterator_traitsIS13_E10value_typeET2_T3_PNS14_IS19_E10value_typeET4_jRbjT5_S1F_jjP12ihipStream_tbEUljE_ZNSN_ISO_Lb0ESR_SS_SU_SV_SZ_EES10_S11_S12_S13_S17_S18_S19_S1C_S1D_jS1E_jS1F_S1F_jjS1H_bEUljE0_EEES10_S11_S12_S19_S1D_S1F_T6_T7_T9_mT8_S1H_bDpT10_ENKUlT_T0_E_clISt17integral_constantIbLb1EES1U_IbLb0EEEEDaS1Q_S1R_EUlS1Q_E_NS1_11comp_targetILNS1_3genE10ELNS1_11target_archE1200ELNS1_3gpuE4ELNS1_3repE0EEENS1_30default_config_static_selectorELNS0_4arch9wavefront6targetE1EEEvS13_.has_recursion, 0
	.set _ZN7rocprim17ROCPRIM_400000_NS6detail17trampoline_kernelINS0_13select_configILj256ELj13ELNS0_17block_load_methodE3ELS4_3ELS4_3ELNS0_20block_scan_algorithmE0ELj4294967295EEENS1_25partition_config_selectorILNS1_17partition_subalgoE4EjNS0_10empty_typeEbEEZZNS1_14partition_implILS8_4ELb0ES6_15HIP_vector_typeIjLj2EENS0_17counting_iteratorIjlEEPS9_SG_NS0_5tupleIJPjSI_NS0_16reverse_iteratorISI_EEEEENSH_IJSG_SG_SG_EEES9_SI_JZNS1_25segmented_radix_sort_implINS0_14default_configELb0EPK6__halfPSP_PKlPlN2at6native12_GLOBAL__N_18offset_tEEE10hipError_tPvRmT1_PNSt15iterator_traitsIS13_E10value_typeET2_T3_PNS14_IS19_E10value_typeET4_jRbjT5_S1F_jjP12ihipStream_tbEUljE_ZNSN_ISO_Lb0ESR_SS_SU_SV_SZ_EES10_S11_S12_S13_S17_S18_S19_S1C_S1D_jS1E_jS1F_S1F_jjS1H_bEUljE0_EEES10_S11_S12_S19_S1D_S1F_T6_T7_T9_mT8_S1H_bDpT10_ENKUlT_T0_E_clISt17integral_constantIbLb1EES1U_IbLb0EEEEDaS1Q_S1R_EUlS1Q_E_NS1_11comp_targetILNS1_3genE10ELNS1_11target_archE1200ELNS1_3gpuE4ELNS1_3repE0EEENS1_30default_config_static_selectorELNS0_4arch9wavefront6targetE1EEEvS13_.has_indirect_call, 0
	.section	.AMDGPU.csdata,"",@progbits
; Kernel info:
; codeLenInByte = 0
; TotalNumSgprs: 4
; NumVgprs: 0
; ScratchSize: 0
; MemoryBound: 0
; FloatMode: 240
; IeeeMode: 1
; LDSByteSize: 0 bytes/workgroup (compile time only)
; SGPRBlocks: 0
; VGPRBlocks: 0
; NumSGPRsForWavesPerEU: 4
; NumVGPRsForWavesPerEU: 1
; Occupancy: 10
; WaveLimiterHint : 0
; COMPUTE_PGM_RSRC2:SCRATCH_EN: 0
; COMPUTE_PGM_RSRC2:USER_SGPR: 6
; COMPUTE_PGM_RSRC2:TRAP_HANDLER: 0
; COMPUTE_PGM_RSRC2:TGID_X_EN: 1
; COMPUTE_PGM_RSRC2:TGID_Y_EN: 0
; COMPUTE_PGM_RSRC2:TGID_Z_EN: 0
; COMPUTE_PGM_RSRC2:TIDIG_COMP_CNT: 0
	.section	.text._ZN7rocprim17ROCPRIM_400000_NS6detail17trampoline_kernelINS0_13select_configILj256ELj13ELNS0_17block_load_methodE3ELS4_3ELS4_3ELNS0_20block_scan_algorithmE0ELj4294967295EEENS1_25partition_config_selectorILNS1_17partition_subalgoE4EjNS0_10empty_typeEbEEZZNS1_14partition_implILS8_4ELb0ES6_15HIP_vector_typeIjLj2EENS0_17counting_iteratorIjlEEPS9_SG_NS0_5tupleIJPjSI_NS0_16reverse_iteratorISI_EEEEENSH_IJSG_SG_SG_EEES9_SI_JZNS1_25segmented_radix_sort_implINS0_14default_configELb0EPK6__halfPSP_PKlPlN2at6native12_GLOBAL__N_18offset_tEEE10hipError_tPvRmT1_PNSt15iterator_traitsIS13_E10value_typeET2_T3_PNS14_IS19_E10value_typeET4_jRbjT5_S1F_jjP12ihipStream_tbEUljE_ZNSN_ISO_Lb0ESR_SS_SU_SV_SZ_EES10_S11_S12_S13_S17_S18_S19_S1C_S1D_jS1E_jS1F_S1F_jjS1H_bEUljE0_EEES10_S11_S12_S19_S1D_S1F_T6_T7_T9_mT8_S1H_bDpT10_ENKUlT_T0_E_clISt17integral_constantIbLb1EES1U_IbLb0EEEEDaS1Q_S1R_EUlS1Q_E_NS1_11comp_targetILNS1_3genE9ELNS1_11target_archE1100ELNS1_3gpuE3ELNS1_3repE0EEENS1_30default_config_static_selectorELNS0_4arch9wavefront6targetE1EEEvS13_,"axG",@progbits,_ZN7rocprim17ROCPRIM_400000_NS6detail17trampoline_kernelINS0_13select_configILj256ELj13ELNS0_17block_load_methodE3ELS4_3ELS4_3ELNS0_20block_scan_algorithmE0ELj4294967295EEENS1_25partition_config_selectorILNS1_17partition_subalgoE4EjNS0_10empty_typeEbEEZZNS1_14partition_implILS8_4ELb0ES6_15HIP_vector_typeIjLj2EENS0_17counting_iteratorIjlEEPS9_SG_NS0_5tupleIJPjSI_NS0_16reverse_iteratorISI_EEEEENSH_IJSG_SG_SG_EEES9_SI_JZNS1_25segmented_radix_sort_implINS0_14default_configELb0EPK6__halfPSP_PKlPlN2at6native12_GLOBAL__N_18offset_tEEE10hipError_tPvRmT1_PNSt15iterator_traitsIS13_E10value_typeET2_T3_PNS14_IS19_E10value_typeET4_jRbjT5_S1F_jjP12ihipStream_tbEUljE_ZNSN_ISO_Lb0ESR_SS_SU_SV_SZ_EES10_S11_S12_S13_S17_S18_S19_S1C_S1D_jS1E_jS1F_S1F_jjS1H_bEUljE0_EEES10_S11_S12_S19_S1D_S1F_T6_T7_T9_mT8_S1H_bDpT10_ENKUlT_T0_E_clISt17integral_constantIbLb1EES1U_IbLb0EEEEDaS1Q_S1R_EUlS1Q_E_NS1_11comp_targetILNS1_3genE9ELNS1_11target_archE1100ELNS1_3gpuE3ELNS1_3repE0EEENS1_30default_config_static_selectorELNS0_4arch9wavefront6targetE1EEEvS13_,comdat
	.globl	_ZN7rocprim17ROCPRIM_400000_NS6detail17trampoline_kernelINS0_13select_configILj256ELj13ELNS0_17block_load_methodE3ELS4_3ELS4_3ELNS0_20block_scan_algorithmE0ELj4294967295EEENS1_25partition_config_selectorILNS1_17partition_subalgoE4EjNS0_10empty_typeEbEEZZNS1_14partition_implILS8_4ELb0ES6_15HIP_vector_typeIjLj2EENS0_17counting_iteratorIjlEEPS9_SG_NS0_5tupleIJPjSI_NS0_16reverse_iteratorISI_EEEEENSH_IJSG_SG_SG_EEES9_SI_JZNS1_25segmented_radix_sort_implINS0_14default_configELb0EPK6__halfPSP_PKlPlN2at6native12_GLOBAL__N_18offset_tEEE10hipError_tPvRmT1_PNSt15iterator_traitsIS13_E10value_typeET2_T3_PNS14_IS19_E10value_typeET4_jRbjT5_S1F_jjP12ihipStream_tbEUljE_ZNSN_ISO_Lb0ESR_SS_SU_SV_SZ_EES10_S11_S12_S13_S17_S18_S19_S1C_S1D_jS1E_jS1F_S1F_jjS1H_bEUljE0_EEES10_S11_S12_S19_S1D_S1F_T6_T7_T9_mT8_S1H_bDpT10_ENKUlT_T0_E_clISt17integral_constantIbLb1EES1U_IbLb0EEEEDaS1Q_S1R_EUlS1Q_E_NS1_11comp_targetILNS1_3genE9ELNS1_11target_archE1100ELNS1_3gpuE3ELNS1_3repE0EEENS1_30default_config_static_selectorELNS0_4arch9wavefront6targetE1EEEvS13_ ; -- Begin function _ZN7rocprim17ROCPRIM_400000_NS6detail17trampoline_kernelINS0_13select_configILj256ELj13ELNS0_17block_load_methodE3ELS4_3ELS4_3ELNS0_20block_scan_algorithmE0ELj4294967295EEENS1_25partition_config_selectorILNS1_17partition_subalgoE4EjNS0_10empty_typeEbEEZZNS1_14partition_implILS8_4ELb0ES6_15HIP_vector_typeIjLj2EENS0_17counting_iteratorIjlEEPS9_SG_NS0_5tupleIJPjSI_NS0_16reverse_iteratorISI_EEEEENSH_IJSG_SG_SG_EEES9_SI_JZNS1_25segmented_radix_sort_implINS0_14default_configELb0EPK6__halfPSP_PKlPlN2at6native12_GLOBAL__N_18offset_tEEE10hipError_tPvRmT1_PNSt15iterator_traitsIS13_E10value_typeET2_T3_PNS14_IS19_E10value_typeET4_jRbjT5_S1F_jjP12ihipStream_tbEUljE_ZNSN_ISO_Lb0ESR_SS_SU_SV_SZ_EES10_S11_S12_S13_S17_S18_S19_S1C_S1D_jS1E_jS1F_S1F_jjS1H_bEUljE0_EEES10_S11_S12_S19_S1D_S1F_T6_T7_T9_mT8_S1H_bDpT10_ENKUlT_T0_E_clISt17integral_constantIbLb1EES1U_IbLb0EEEEDaS1Q_S1R_EUlS1Q_E_NS1_11comp_targetILNS1_3genE9ELNS1_11target_archE1100ELNS1_3gpuE3ELNS1_3repE0EEENS1_30default_config_static_selectorELNS0_4arch9wavefront6targetE1EEEvS13_
	.p2align	8
	.type	_ZN7rocprim17ROCPRIM_400000_NS6detail17trampoline_kernelINS0_13select_configILj256ELj13ELNS0_17block_load_methodE3ELS4_3ELS4_3ELNS0_20block_scan_algorithmE0ELj4294967295EEENS1_25partition_config_selectorILNS1_17partition_subalgoE4EjNS0_10empty_typeEbEEZZNS1_14partition_implILS8_4ELb0ES6_15HIP_vector_typeIjLj2EENS0_17counting_iteratorIjlEEPS9_SG_NS0_5tupleIJPjSI_NS0_16reverse_iteratorISI_EEEEENSH_IJSG_SG_SG_EEES9_SI_JZNS1_25segmented_radix_sort_implINS0_14default_configELb0EPK6__halfPSP_PKlPlN2at6native12_GLOBAL__N_18offset_tEEE10hipError_tPvRmT1_PNSt15iterator_traitsIS13_E10value_typeET2_T3_PNS14_IS19_E10value_typeET4_jRbjT5_S1F_jjP12ihipStream_tbEUljE_ZNSN_ISO_Lb0ESR_SS_SU_SV_SZ_EES10_S11_S12_S13_S17_S18_S19_S1C_S1D_jS1E_jS1F_S1F_jjS1H_bEUljE0_EEES10_S11_S12_S19_S1D_S1F_T6_T7_T9_mT8_S1H_bDpT10_ENKUlT_T0_E_clISt17integral_constantIbLb1EES1U_IbLb0EEEEDaS1Q_S1R_EUlS1Q_E_NS1_11comp_targetILNS1_3genE9ELNS1_11target_archE1100ELNS1_3gpuE3ELNS1_3repE0EEENS1_30default_config_static_selectorELNS0_4arch9wavefront6targetE1EEEvS13_,@function
_ZN7rocprim17ROCPRIM_400000_NS6detail17trampoline_kernelINS0_13select_configILj256ELj13ELNS0_17block_load_methodE3ELS4_3ELS4_3ELNS0_20block_scan_algorithmE0ELj4294967295EEENS1_25partition_config_selectorILNS1_17partition_subalgoE4EjNS0_10empty_typeEbEEZZNS1_14partition_implILS8_4ELb0ES6_15HIP_vector_typeIjLj2EENS0_17counting_iteratorIjlEEPS9_SG_NS0_5tupleIJPjSI_NS0_16reverse_iteratorISI_EEEEENSH_IJSG_SG_SG_EEES9_SI_JZNS1_25segmented_radix_sort_implINS0_14default_configELb0EPK6__halfPSP_PKlPlN2at6native12_GLOBAL__N_18offset_tEEE10hipError_tPvRmT1_PNSt15iterator_traitsIS13_E10value_typeET2_T3_PNS14_IS19_E10value_typeET4_jRbjT5_S1F_jjP12ihipStream_tbEUljE_ZNSN_ISO_Lb0ESR_SS_SU_SV_SZ_EES10_S11_S12_S13_S17_S18_S19_S1C_S1D_jS1E_jS1F_S1F_jjS1H_bEUljE0_EEES10_S11_S12_S19_S1D_S1F_T6_T7_T9_mT8_S1H_bDpT10_ENKUlT_T0_E_clISt17integral_constantIbLb1EES1U_IbLb0EEEEDaS1Q_S1R_EUlS1Q_E_NS1_11comp_targetILNS1_3genE9ELNS1_11target_archE1100ELNS1_3gpuE3ELNS1_3repE0EEENS1_30default_config_static_selectorELNS0_4arch9wavefront6targetE1EEEvS13_: ; @_ZN7rocprim17ROCPRIM_400000_NS6detail17trampoline_kernelINS0_13select_configILj256ELj13ELNS0_17block_load_methodE3ELS4_3ELS4_3ELNS0_20block_scan_algorithmE0ELj4294967295EEENS1_25partition_config_selectorILNS1_17partition_subalgoE4EjNS0_10empty_typeEbEEZZNS1_14partition_implILS8_4ELb0ES6_15HIP_vector_typeIjLj2EENS0_17counting_iteratorIjlEEPS9_SG_NS0_5tupleIJPjSI_NS0_16reverse_iteratorISI_EEEEENSH_IJSG_SG_SG_EEES9_SI_JZNS1_25segmented_radix_sort_implINS0_14default_configELb0EPK6__halfPSP_PKlPlN2at6native12_GLOBAL__N_18offset_tEEE10hipError_tPvRmT1_PNSt15iterator_traitsIS13_E10value_typeET2_T3_PNS14_IS19_E10value_typeET4_jRbjT5_S1F_jjP12ihipStream_tbEUljE_ZNSN_ISO_Lb0ESR_SS_SU_SV_SZ_EES10_S11_S12_S13_S17_S18_S19_S1C_S1D_jS1E_jS1F_S1F_jjS1H_bEUljE0_EEES10_S11_S12_S19_S1D_S1F_T6_T7_T9_mT8_S1H_bDpT10_ENKUlT_T0_E_clISt17integral_constantIbLb1EES1U_IbLb0EEEEDaS1Q_S1R_EUlS1Q_E_NS1_11comp_targetILNS1_3genE9ELNS1_11target_archE1100ELNS1_3gpuE3ELNS1_3repE0EEENS1_30default_config_static_selectorELNS0_4arch9wavefront6targetE1EEEvS13_
; %bb.0:
	.section	.rodata,"a",@progbits
	.p2align	6, 0x0
	.amdhsa_kernel _ZN7rocprim17ROCPRIM_400000_NS6detail17trampoline_kernelINS0_13select_configILj256ELj13ELNS0_17block_load_methodE3ELS4_3ELS4_3ELNS0_20block_scan_algorithmE0ELj4294967295EEENS1_25partition_config_selectorILNS1_17partition_subalgoE4EjNS0_10empty_typeEbEEZZNS1_14partition_implILS8_4ELb0ES6_15HIP_vector_typeIjLj2EENS0_17counting_iteratorIjlEEPS9_SG_NS0_5tupleIJPjSI_NS0_16reverse_iteratorISI_EEEEENSH_IJSG_SG_SG_EEES9_SI_JZNS1_25segmented_radix_sort_implINS0_14default_configELb0EPK6__halfPSP_PKlPlN2at6native12_GLOBAL__N_18offset_tEEE10hipError_tPvRmT1_PNSt15iterator_traitsIS13_E10value_typeET2_T3_PNS14_IS19_E10value_typeET4_jRbjT5_S1F_jjP12ihipStream_tbEUljE_ZNSN_ISO_Lb0ESR_SS_SU_SV_SZ_EES10_S11_S12_S13_S17_S18_S19_S1C_S1D_jS1E_jS1F_S1F_jjS1H_bEUljE0_EEES10_S11_S12_S19_S1D_S1F_T6_T7_T9_mT8_S1H_bDpT10_ENKUlT_T0_E_clISt17integral_constantIbLb1EES1U_IbLb0EEEEDaS1Q_S1R_EUlS1Q_E_NS1_11comp_targetILNS1_3genE9ELNS1_11target_archE1100ELNS1_3gpuE3ELNS1_3repE0EEENS1_30default_config_static_selectorELNS0_4arch9wavefront6targetE1EEEvS13_
		.amdhsa_group_segment_fixed_size 0
		.amdhsa_private_segment_fixed_size 0
		.amdhsa_kernarg_size 176
		.amdhsa_user_sgpr_count 6
		.amdhsa_user_sgpr_private_segment_buffer 1
		.amdhsa_user_sgpr_dispatch_ptr 0
		.amdhsa_user_sgpr_queue_ptr 0
		.amdhsa_user_sgpr_kernarg_segment_ptr 1
		.amdhsa_user_sgpr_dispatch_id 0
		.amdhsa_user_sgpr_flat_scratch_init 0
		.amdhsa_user_sgpr_private_segment_size 0
		.amdhsa_uses_dynamic_stack 0
		.amdhsa_system_sgpr_private_segment_wavefront_offset 0
		.amdhsa_system_sgpr_workgroup_id_x 1
		.amdhsa_system_sgpr_workgroup_id_y 0
		.amdhsa_system_sgpr_workgroup_id_z 0
		.amdhsa_system_sgpr_workgroup_info 0
		.amdhsa_system_vgpr_workitem_id 0
		.amdhsa_next_free_vgpr 1
		.amdhsa_next_free_sgpr 0
		.amdhsa_reserve_vcc 0
		.amdhsa_reserve_flat_scratch 0
		.amdhsa_float_round_mode_32 0
		.amdhsa_float_round_mode_16_64 0
		.amdhsa_float_denorm_mode_32 3
		.amdhsa_float_denorm_mode_16_64 3
		.amdhsa_dx10_clamp 1
		.amdhsa_ieee_mode 1
		.amdhsa_fp16_overflow 0
		.amdhsa_exception_fp_ieee_invalid_op 0
		.amdhsa_exception_fp_denorm_src 0
		.amdhsa_exception_fp_ieee_div_zero 0
		.amdhsa_exception_fp_ieee_overflow 0
		.amdhsa_exception_fp_ieee_underflow 0
		.amdhsa_exception_fp_ieee_inexact 0
		.amdhsa_exception_int_div_zero 0
	.end_amdhsa_kernel
	.section	.text._ZN7rocprim17ROCPRIM_400000_NS6detail17trampoline_kernelINS0_13select_configILj256ELj13ELNS0_17block_load_methodE3ELS4_3ELS4_3ELNS0_20block_scan_algorithmE0ELj4294967295EEENS1_25partition_config_selectorILNS1_17partition_subalgoE4EjNS0_10empty_typeEbEEZZNS1_14partition_implILS8_4ELb0ES6_15HIP_vector_typeIjLj2EENS0_17counting_iteratorIjlEEPS9_SG_NS0_5tupleIJPjSI_NS0_16reverse_iteratorISI_EEEEENSH_IJSG_SG_SG_EEES9_SI_JZNS1_25segmented_radix_sort_implINS0_14default_configELb0EPK6__halfPSP_PKlPlN2at6native12_GLOBAL__N_18offset_tEEE10hipError_tPvRmT1_PNSt15iterator_traitsIS13_E10value_typeET2_T3_PNS14_IS19_E10value_typeET4_jRbjT5_S1F_jjP12ihipStream_tbEUljE_ZNSN_ISO_Lb0ESR_SS_SU_SV_SZ_EES10_S11_S12_S13_S17_S18_S19_S1C_S1D_jS1E_jS1F_S1F_jjS1H_bEUljE0_EEES10_S11_S12_S19_S1D_S1F_T6_T7_T9_mT8_S1H_bDpT10_ENKUlT_T0_E_clISt17integral_constantIbLb1EES1U_IbLb0EEEEDaS1Q_S1R_EUlS1Q_E_NS1_11comp_targetILNS1_3genE9ELNS1_11target_archE1100ELNS1_3gpuE3ELNS1_3repE0EEENS1_30default_config_static_selectorELNS0_4arch9wavefront6targetE1EEEvS13_,"axG",@progbits,_ZN7rocprim17ROCPRIM_400000_NS6detail17trampoline_kernelINS0_13select_configILj256ELj13ELNS0_17block_load_methodE3ELS4_3ELS4_3ELNS0_20block_scan_algorithmE0ELj4294967295EEENS1_25partition_config_selectorILNS1_17partition_subalgoE4EjNS0_10empty_typeEbEEZZNS1_14partition_implILS8_4ELb0ES6_15HIP_vector_typeIjLj2EENS0_17counting_iteratorIjlEEPS9_SG_NS0_5tupleIJPjSI_NS0_16reverse_iteratorISI_EEEEENSH_IJSG_SG_SG_EEES9_SI_JZNS1_25segmented_radix_sort_implINS0_14default_configELb0EPK6__halfPSP_PKlPlN2at6native12_GLOBAL__N_18offset_tEEE10hipError_tPvRmT1_PNSt15iterator_traitsIS13_E10value_typeET2_T3_PNS14_IS19_E10value_typeET4_jRbjT5_S1F_jjP12ihipStream_tbEUljE_ZNSN_ISO_Lb0ESR_SS_SU_SV_SZ_EES10_S11_S12_S13_S17_S18_S19_S1C_S1D_jS1E_jS1F_S1F_jjS1H_bEUljE0_EEES10_S11_S12_S19_S1D_S1F_T6_T7_T9_mT8_S1H_bDpT10_ENKUlT_T0_E_clISt17integral_constantIbLb1EES1U_IbLb0EEEEDaS1Q_S1R_EUlS1Q_E_NS1_11comp_targetILNS1_3genE9ELNS1_11target_archE1100ELNS1_3gpuE3ELNS1_3repE0EEENS1_30default_config_static_selectorELNS0_4arch9wavefront6targetE1EEEvS13_,comdat
.Lfunc_end1800:
	.size	_ZN7rocprim17ROCPRIM_400000_NS6detail17trampoline_kernelINS0_13select_configILj256ELj13ELNS0_17block_load_methodE3ELS4_3ELS4_3ELNS0_20block_scan_algorithmE0ELj4294967295EEENS1_25partition_config_selectorILNS1_17partition_subalgoE4EjNS0_10empty_typeEbEEZZNS1_14partition_implILS8_4ELb0ES6_15HIP_vector_typeIjLj2EENS0_17counting_iteratorIjlEEPS9_SG_NS0_5tupleIJPjSI_NS0_16reverse_iteratorISI_EEEEENSH_IJSG_SG_SG_EEES9_SI_JZNS1_25segmented_radix_sort_implINS0_14default_configELb0EPK6__halfPSP_PKlPlN2at6native12_GLOBAL__N_18offset_tEEE10hipError_tPvRmT1_PNSt15iterator_traitsIS13_E10value_typeET2_T3_PNS14_IS19_E10value_typeET4_jRbjT5_S1F_jjP12ihipStream_tbEUljE_ZNSN_ISO_Lb0ESR_SS_SU_SV_SZ_EES10_S11_S12_S13_S17_S18_S19_S1C_S1D_jS1E_jS1F_S1F_jjS1H_bEUljE0_EEES10_S11_S12_S19_S1D_S1F_T6_T7_T9_mT8_S1H_bDpT10_ENKUlT_T0_E_clISt17integral_constantIbLb1EES1U_IbLb0EEEEDaS1Q_S1R_EUlS1Q_E_NS1_11comp_targetILNS1_3genE9ELNS1_11target_archE1100ELNS1_3gpuE3ELNS1_3repE0EEENS1_30default_config_static_selectorELNS0_4arch9wavefront6targetE1EEEvS13_, .Lfunc_end1800-_ZN7rocprim17ROCPRIM_400000_NS6detail17trampoline_kernelINS0_13select_configILj256ELj13ELNS0_17block_load_methodE3ELS4_3ELS4_3ELNS0_20block_scan_algorithmE0ELj4294967295EEENS1_25partition_config_selectorILNS1_17partition_subalgoE4EjNS0_10empty_typeEbEEZZNS1_14partition_implILS8_4ELb0ES6_15HIP_vector_typeIjLj2EENS0_17counting_iteratorIjlEEPS9_SG_NS0_5tupleIJPjSI_NS0_16reverse_iteratorISI_EEEEENSH_IJSG_SG_SG_EEES9_SI_JZNS1_25segmented_radix_sort_implINS0_14default_configELb0EPK6__halfPSP_PKlPlN2at6native12_GLOBAL__N_18offset_tEEE10hipError_tPvRmT1_PNSt15iterator_traitsIS13_E10value_typeET2_T3_PNS14_IS19_E10value_typeET4_jRbjT5_S1F_jjP12ihipStream_tbEUljE_ZNSN_ISO_Lb0ESR_SS_SU_SV_SZ_EES10_S11_S12_S13_S17_S18_S19_S1C_S1D_jS1E_jS1F_S1F_jjS1H_bEUljE0_EEES10_S11_S12_S19_S1D_S1F_T6_T7_T9_mT8_S1H_bDpT10_ENKUlT_T0_E_clISt17integral_constantIbLb1EES1U_IbLb0EEEEDaS1Q_S1R_EUlS1Q_E_NS1_11comp_targetILNS1_3genE9ELNS1_11target_archE1100ELNS1_3gpuE3ELNS1_3repE0EEENS1_30default_config_static_selectorELNS0_4arch9wavefront6targetE1EEEvS13_
                                        ; -- End function
	.set _ZN7rocprim17ROCPRIM_400000_NS6detail17trampoline_kernelINS0_13select_configILj256ELj13ELNS0_17block_load_methodE3ELS4_3ELS4_3ELNS0_20block_scan_algorithmE0ELj4294967295EEENS1_25partition_config_selectorILNS1_17partition_subalgoE4EjNS0_10empty_typeEbEEZZNS1_14partition_implILS8_4ELb0ES6_15HIP_vector_typeIjLj2EENS0_17counting_iteratorIjlEEPS9_SG_NS0_5tupleIJPjSI_NS0_16reverse_iteratorISI_EEEEENSH_IJSG_SG_SG_EEES9_SI_JZNS1_25segmented_radix_sort_implINS0_14default_configELb0EPK6__halfPSP_PKlPlN2at6native12_GLOBAL__N_18offset_tEEE10hipError_tPvRmT1_PNSt15iterator_traitsIS13_E10value_typeET2_T3_PNS14_IS19_E10value_typeET4_jRbjT5_S1F_jjP12ihipStream_tbEUljE_ZNSN_ISO_Lb0ESR_SS_SU_SV_SZ_EES10_S11_S12_S13_S17_S18_S19_S1C_S1D_jS1E_jS1F_S1F_jjS1H_bEUljE0_EEES10_S11_S12_S19_S1D_S1F_T6_T7_T9_mT8_S1H_bDpT10_ENKUlT_T0_E_clISt17integral_constantIbLb1EES1U_IbLb0EEEEDaS1Q_S1R_EUlS1Q_E_NS1_11comp_targetILNS1_3genE9ELNS1_11target_archE1100ELNS1_3gpuE3ELNS1_3repE0EEENS1_30default_config_static_selectorELNS0_4arch9wavefront6targetE1EEEvS13_.num_vgpr, 0
	.set _ZN7rocprim17ROCPRIM_400000_NS6detail17trampoline_kernelINS0_13select_configILj256ELj13ELNS0_17block_load_methodE3ELS4_3ELS4_3ELNS0_20block_scan_algorithmE0ELj4294967295EEENS1_25partition_config_selectorILNS1_17partition_subalgoE4EjNS0_10empty_typeEbEEZZNS1_14partition_implILS8_4ELb0ES6_15HIP_vector_typeIjLj2EENS0_17counting_iteratorIjlEEPS9_SG_NS0_5tupleIJPjSI_NS0_16reverse_iteratorISI_EEEEENSH_IJSG_SG_SG_EEES9_SI_JZNS1_25segmented_radix_sort_implINS0_14default_configELb0EPK6__halfPSP_PKlPlN2at6native12_GLOBAL__N_18offset_tEEE10hipError_tPvRmT1_PNSt15iterator_traitsIS13_E10value_typeET2_T3_PNS14_IS19_E10value_typeET4_jRbjT5_S1F_jjP12ihipStream_tbEUljE_ZNSN_ISO_Lb0ESR_SS_SU_SV_SZ_EES10_S11_S12_S13_S17_S18_S19_S1C_S1D_jS1E_jS1F_S1F_jjS1H_bEUljE0_EEES10_S11_S12_S19_S1D_S1F_T6_T7_T9_mT8_S1H_bDpT10_ENKUlT_T0_E_clISt17integral_constantIbLb1EES1U_IbLb0EEEEDaS1Q_S1R_EUlS1Q_E_NS1_11comp_targetILNS1_3genE9ELNS1_11target_archE1100ELNS1_3gpuE3ELNS1_3repE0EEENS1_30default_config_static_selectorELNS0_4arch9wavefront6targetE1EEEvS13_.num_agpr, 0
	.set _ZN7rocprim17ROCPRIM_400000_NS6detail17trampoline_kernelINS0_13select_configILj256ELj13ELNS0_17block_load_methodE3ELS4_3ELS4_3ELNS0_20block_scan_algorithmE0ELj4294967295EEENS1_25partition_config_selectorILNS1_17partition_subalgoE4EjNS0_10empty_typeEbEEZZNS1_14partition_implILS8_4ELb0ES6_15HIP_vector_typeIjLj2EENS0_17counting_iteratorIjlEEPS9_SG_NS0_5tupleIJPjSI_NS0_16reverse_iteratorISI_EEEEENSH_IJSG_SG_SG_EEES9_SI_JZNS1_25segmented_radix_sort_implINS0_14default_configELb0EPK6__halfPSP_PKlPlN2at6native12_GLOBAL__N_18offset_tEEE10hipError_tPvRmT1_PNSt15iterator_traitsIS13_E10value_typeET2_T3_PNS14_IS19_E10value_typeET4_jRbjT5_S1F_jjP12ihipStream_tbEUljE_ZNSN_ISO_Lb0ESR_SS_SU_SV_SZ_EES10_S11_S12_S13_S17_S18_S19_S1C_S1D_jS1E_jS1F_S1F_jjS1H_bEUljE0_EEES10_S11_S12_S19_S1D_S1F_T6_T7_T9_mT8_S1H_bDpT10_ENKUlT_T0_E_clISt17integral_constantIbLb1EES1U_IbLb0EEEEDaS1Q_S1R_EUlS1Q_E_NS1_11comp_targetILNS1_3genE9ELNS1_11target_archE1100ELNS1_3gpuE3ELNS1_3repE0EEENS1_30default_config_static_selectorELNS0_4arch9wavefront6targetE1EEEvS13_.numbered_sgpr, 0
	.set _ZN7rocprim17ROCPRIM_400000_NS6detail17trampoline_kernelINS0_13select_configILj256ELj13ELNS0_17block_load_methodE3ELS4_3ELS4_3ELNS0_20block_scan_algorithmE0ELj4294967295EEENS1_25partition_config_selectorILNS1_17partition_subalgoE4EjNS0_10empty_typeEbEEZZNS1_14partition_implILS8_4ELb0ES6_15HIP_vector_typeIjLj2EENS0_17counting_iteratorIjlEEPS9_SG_NS0_5tupleIJPjSI_NS0_16reverse_iteratorISI_EEEEENSH_IJSG_SG_SG_EEES9_SI_JZNS1_25segmented_radix_sort_implINS0_14default_configELb0EPK6__halfPSP_PKlPlN2at6native12_GLOBAL__N_18offset_tEEE10hipError_tPvRmT1_PNSt15iterator_traitsIS13_E10value_typeET2_T3_PNS14_IS19_E10value_typeET4_jRbjT5_S1F_jjP12ihipStream_tbEUljE_ZNSN_ISO_Lb0ESR_SS_SU_SV_SZ_EES10_S11_S12_S13_S17_S18_S19_S1C_S1D_jS1E_jS1F_S1F_jjS1H_bEUljE0_EEES10_S11_S12_S19_S1D_S1F_T6_T7_T9_mT8_S1H_bDpT10_ENKUlT_T0_E_clISt17integral_constantIbLb1EES1U_IbLb0EEEEDaS1Q_S1R_EUlS1Q_E_NS1_11comp_targetILNS1_3genE9ELNS1_11target_archE1100ELNS1_3gpuE3ELNS1_3repE0EEENS1_30default_config_static_selectorELNS0_4arch9wavefront6targetE1EEEvS13_.num_named_barrier, 0
	.set _ZN7rocprim17ROCPRIM_400000_NS6detail17trampoline_kernelINS0_13select_configILj256ELj13ELNS0_17block_load_methodE3ELS4_3ELS4_3ELNS0_20block_scan_algorithmE0ELj4294967295EEENS1_25partition_config_selectorILNS1_17partition_subalgoE4EjNS0_10empty_typeEbEEZZNS1_14partition_implILS8_4ELb0ES6_15HIP_vector_typeIjLj2EENS0_17counting_iteratorIjlEEPS9_SG_NS0_5tupleIJPjSI_NS0_16reverse_iteratorISI_EEEEENSH_IJSG_SG_SG_EEES9_SI_JZNS1_25segmented_radix_sort_implINS0_14default_configELb0EPK6__halfPSP_PKlPlN2at6native12_GLOBAL__N_18offset_tEEE10hipError_tPvRmT1_PNSt15iterator_traitsIS13_E10value_typeET2_T3_PNS14_IS19_E10value_typeET4_jRbjT5_S1F_jjP12ihipStream_tbEUljE_ZNSN_ISO_Lb0ESR_SS_SU_SV_SZ_EES10_S11_S12_S13_S17_S18_S19_S1C_S1D_jS1E_jS1F_S1F_jjS1H_bEUljE0_EEES10_S11_S12_S19_S1D_S1F_T6_T7_T9_mT8_S1H_bDpT10_ENKUlT_T0_E_clISt17integral_constantIbLb1EES1U_IbLb0EEEEDaS1Q_S1R_EUlS1Q_E_NS1_11comp_targetILNS1_3genE9ELNS1_11target_archE1100ELNS1_3gpuE3ELNS1_3repE0EEENS1_30default_config_static_selectorELNS0_4arch9wavefront6targetE1EEEvS13_.private_seg_size, 0
	.set _ZN7rocprim17ROCPRIM_400000_NS6detail17trampoline_kernelINS0_13select_configILj256ELj13ELNS0_17block_load_methodE3ELS4_3ELS4_3ELNS0_20block_scan_algorithmE0ELj4294967295EEENS1_25partition_config_selectorILNS1_17partition_subalgoE4EjNS0_10empty_typeEbEEZZNS1_14partition_implILS8_4ELb0ES6_15HIP_vector_typeIjLj2EENS0_17counting_iteratorIjlEEPS9_SG_NS0_5tupleIJPjSI_NS0_16reverse_iteratorISI_EEEEENSH_IJSG_SG_SG_EEES9_SI_JZNS1_25segmented_radix_sort_implINS0_14default_configELb0EPK6__halfPSP_PKlPlN2at6native12_GLOBAL__N_18offset_tEEE10hipError_tPvRmT1_PNSt15iterator_traitsIS13_E10value_typeET2_T3_PNS14_IS19_E10value_typeET4_jRbjT5_S1F_jjP12ihipStream_tbEUljE_ZNSN_ISO_Lb0ESR_SS_SU_SV_SZ_EES10_S11_S12_S13_S17_S18_S19_S1C_S1D_jS1E_jS1F_S1F_jjS1H_bEUljE0_EEES10_S11_S12_S19_S1D_S1F_T6_T7_T9_mT8_S1H_bDpT10_ENKUlT_T0_E_clISt17integral_constantIbLb1EES1U_IbLb0EEEEDaS1Q_S1R_EUlS1Q_E_NS1_11comp_targetILNS1_3genE9ELNS1_11target_archE1100ELNS1_3gpuE3ELNS1_3repE0EEENS1_30default_config_static_selectorELNS0_4arch9wavefront6targetE1EEEvS13_.uses_vcc, 0
	.set _ZN7rocprim17ROCPRIM_400000_NS6detail17trampoline_kernelINS0_13select_configILj256ELj13ELNS0_17block_load_methodE3ELS4_3ELS4_3ELNS0_20block_scan_algorithmE0ELj4294967295EEENS1_25partition_config_selectorILNS1_17partition_subalgoE4EjNS0_10empty_typeEbEEZZNS1_14partition_implILS8_4ELb0ES6_15HIP_vector_typeIjLj2EENS0_17counting_iteratorIjlEEPS9_SG_NS0_5tupleIJPjSI_NS0_16reverse_iteratorISI_EEEEENSH_IJSG_SG_SG_EEES9_SI_JZNS1_25segmented_radix_sort_implINS0_14default_configELb0EPK6__halfPSP_PKlPlN2at6native12_GLOBAL__N_18offset_tEEE10hipError_tPvRmT1_PNSt15iterator_traitsIS13_E10value_typeET2_T3_PNS14_IS19_E10value_typeET4_jRbjT5_S1F_jjP12ihipStream_tbEUljE_ZNSN_ISO_Lb0ESR_SS_SU_SV_SZ_EES10_S11_S12_S13_S17_S18_S19_S1C_S1D_jS1E_jS1F_S1F_jjS1H_bEUljE0_EEES10_S11_S12_S19_S1D_S1F_T6_T7_T9_mT8_S1H_bDpT10_ENKUlT_T0_E_clISt17integral_constantIbLb1EES1U_IbLb0EEEEDaS1Q_S1R_EUlS1Q_E_NS1_11comp_targetILNS1_3genE9ELNS1_11target_archE1100ELNS1_3gpuE3ELNS1_3repE0EEENS1_30default_config_static_selectorELNS0_4arch9wavefront6targetE1EEEvS13_.uses_flat_scratch, 0
	.set _ZN7rocprim17ROCPRIM_400000_NS6detail17trampoline_kernelINS0_13select_configILj256ELj13ELNS0_17block_load_methodE3ELS4_3ELS4_3ELNS0_20block_scan_algorithmE0ELj4294967295EEENS1_25partition_config_selectorILNS1_17partition_subalgoE4EjNS0_10empty_typeEbEEZZNS1_14partition_implILS8_4ELb0ES6_15HIP_vector_typeIjLj2EENS0_17counting_iteratorIjlEEPS9_SG_NS0_5tupleIJPjSI_NS0_16reverse_iteratorISI_EEEEENSH_IJSG_SG_SG_EEES9_SI_JZNS1_25segmented_radix_sort_implINS0_14default_configELb0EPK6__halfPSP_PKlPlN2at6native12_GLOBAL__N_18offset_tEEE10hipError_tPvRmT1_PNSt15iterator_traitsIS13_E10value_typeET2_T3_PNS14_IS19_E10value_typeET4_jRbjT5_S1F_jjP12ihipStream_tbEUljE_ZNSN_ISO_Lb0ESR_SS_SU_SV_SZ_EES10_S11_S12_S13_S17_S18_S19_S1C_S1D_jS1E_jS1F_S1F_jjS1H_bEUljE0_EEES10_S11_S12_S19_S1D_S1F_T6_T7_T9_mT8_S1H_bDpT10_ENKUlT_T0_E_clISt17integral_constantIbLb1EES1U_IbLb0EEEEDaS1Q_S1R_EUlS1Q_E_NS1_11comp_targetILNS1_3genE9ELNS1_11target_archE1100ELNS1_3gpuE3ELNS1_3repE0EEENS1_30default_config_static_selectorELNS0_4arch9wavefront6targetE1EEEvS13_.has_dyn_sized_stack, 0
	.set _ZN7rocprim17ROCPRIM_400000_NS6detail17trampoline_kernelINS0_13select_configILj256ELj13ELNS0_17block_load_methodE3ELS4_3ELS4_3ELNS0_20block_scan_algorithmE0ELj4294967295EEENS1_25partition_config_selectorILNS1_17partition_subalgoE4EjNS0_10empty_typeEbEEZZNS1_14partition_implILS8_4ELb0ES6_15HIP_vector_typeIjLj2EENS0_17counting_iteratorIjlEEPS9_SG_NS0_5tupleIJPjSI_NS0_16reverse_iteratorISI_EEEEENSH_IJSG_SG_SG_EEES9_SI_JZNS1_25segmented_radix_sort_implINS0_14default_configELb0EPK6__halfPSP_PKlPlN2at6native12_GLOBAL__N_18offset_tEEE10hipError_tPvRmT1_PNSt15iterator_traitsIS13_E10value_typeET2_T3_PNS14_IS19_E10value_typeET4_jRbjT5_S1F_jjP12ihipStream_tbEUljE_ZNSN_ISO_Lb0ESR_SS_SU_SV_SZ_EES10_S11_S12_S13_S17_S18_S19_S1C_S1D_jS1E_jS1F_S1F_jjS1H_bEUljE0_EEES10_S11_S12_S19_S1D_S1F_T6_T7_T9_mT8_S1H_bDpT10_ENKUlT_T0_E_clISt17integral_constantIbLb1EES1U_IbLb0EEEEDaS1Q_S1R_EUlS1Q_E_NS1_11comp_targetILNS1_3genE9ELNS1_11target_archE1100ELNS1_3gpuE3ELNS1_3repE0EEENS1_30default_config_static_selectorELNS0_4arch9wavefront6targetE1EEEvS13_.has_recursion, 0
	.set _ZN7rocprim17ROCPRIM_400000_NS6detail17trampoline_kernelINS0_13select_configILj256ELj13ELNS0_17block_load_methodE3ELS4_3ELS4_3ELNS0_20block_scan_algorithmE0ELj4294967295EEENS1_25partition_config_selectorILNS1_17partition_subalgoE4EjNS0_10empty_typeEbEEZZNS1_14partition_implILS8_4ELb0ES6_15HIP_vector_typeIjLj2EENS0_17counting_iteratorIjlEEPS9_SG_NS0_5tupleIJPjSI_NS0_16reverse_iteratorISI_EEEEENSH_IJSG_SG_SG_EEES9_SI_JZNS1_25segmented_radix_sort_implINS0_14default_configELb0EPK6__halfPSP_PKlPlN2at6native12_GLOBAL__N_18offset_tEEE10hipError_tPvRmT1_PNSt15iterator_traitsIS13_E10value_typeET2_T3_PNS14_IS19_E10value_typeET4_jRbjT5_S1F_jjP12ihipStream_tbEUljE_ZNSN_ISO_Lb0ESR_SS_SU_SV_SZ_EES10_S11_S12_S13_S17_S18_S19_S1C_S1D_jS1E_jS1F_S1F_jjS1H_bEUljE0_EEES10_S11_S12_S19_S1D_S1F_T6_T7_T9_mT8_S1H_bDpT10_ENKUlT_T0_E_clISt17integral_constantIbLb1EES1U_IbLb0EEEEDaS1Q_S1R_EUlS1Q_E_NS1_11comp_targetILNS1_3genE9ELNS1_11target_archE1100ELNS1_3gpuE3ELNS1_3repE0EEENS1_30default_config_static_selectorELNS0_4arch9wavefront6targetE1EEEvS13_.has_indirect_call, 0
	.section	.AMDGPU.csdata,"",@progbits
; Kernel info:
; codeLenInByte = 0
; TotalNumSgprs: 4
; NumVgprs: 0
; ScratchSize: 0
; MemoryBound: 0
; FloatMode: 240
; IeeeMode: 1
; LDSByteSize: 0 bytes/workgroup (compile time only)
; SGPRBlocks: 0
; VGPRBlocks: 0
; NumSGPRsForWavesPerEU: 4
; NumVGPRsForWavesPerEU: 1
; Occupancy: 10
; WaveLimiterHint : 0
; COMPUTE_PGM_RSRC2:SCRATCH_EN: 0
; COMPUTE_PGM_RSRC2:USER_SGPR: 6
; COMPUTE_PGM_RSRC2:TRAP_HANDLER: 0
; COMPUTE_PGM_RSRC2:TGID_X_EN: 1
; COMPUTE_PGM_RSRC2:TGID_Y_EN: 0
; COMPUTE_PGM_RSRC2:TGID_Z_EN: 0
; COMPUTE_PGM_RSRC2:TIDIG_COMP_CNT: 0
	.section	.text._ZN7rocprim17ROCPRIM_400000_NS6detail17trampoline_kernelINS0_13select_configILj256ELj13ELNS0_17block_load_methodE3ELS4_3ELS4_3ELNS0_20block_scan_algorithmE0ELj4294967295EEENS1_25partition_config_selectorILNS1_17partition_subalgoE4EjNS0_10empty_typeEbEEZZNS1_14partition_implILS8_4ELb0ES6_15HIP_vector_typeIjLj2EENS0_17counting_iteratorIjlEEPS9_SG_NS0_5tupleIJPjSI_NS0_16reverse_iteratorISI_EEEEENSH_IJSG_SG_SG_EEES9_SI_JZNS1_25segmented_radix_sort_implINS0_14default_configELb0EPK6__halfPSP_PKlPlN2at6native12_GLOBAL__N_18offset_tEEE10hipError_tPvRmT1_PNSt15iterator_traitsIS13_E10value_typeET2_T3_PNS14_IS19_E10value_typeET4_jRbjT5_S1F_jjP12ihipStream_tbEUljE_ZNSN_ISO_Lb0ESR_SS_SU_SV_SZ_EES10_S11_S12_S13_S17_S18_S19_S1C_S1D_jS1E_jS1F_S1F_jjS1H_bEUljE0_EEES10_S11_S12_S19_S1D_S1F_T6_T7_T9_mT8_S1H_bDpT10_ENKUlT_T0_E_clISt17integral_constantIbLb1EES1U_IbLb0EEEEDaS1Q_S1R_EUlS1Q_E_NS1_11comp_targetILNS1_3genE8ELNS1_11target_archE1030ELNS1_3gpuE2ELNS1_3repE0EEENS1_30default_config_static_selectorELNS0_4arch9wavefront6targetE1EEEvS13_,"axG",@progbits,_ZN7rocprim17ROCPRIM_400000_NS6detail17trampoline_kernelINS0_13select_configILj256ELj13ELNS0_17block_load_methodE3ELS4_3ELS4_3ELNS0_20block_scan_algorithmE0ELj4294967295EEENS1_25partition_config_selectorILNS1_17partition_subalgoE4EjNS0_10empty_typeEbEEZZNS1_14partition_implILS8_4ELb0ES6_15HIP_vector_typeIjLj2EENS0_17counting_iteratorIjlEEPS9_SG_NS0_5tupleIJPjSI_NS0_16reverse_iteratorISI_EEEEENSH_IJSG_SG_SG_EEES9_SI_JZNS1_25segmented_radix_sort_implINS0_14default_configELb0EPK6__halfPSP_PKlPlN2at6native12_GLOBAL__N_18offset_tEEE10hipError_tPvRmT1_PNSt15iterator_traitsIS13_E10value_typeET2_T3_PNS14_IS19_E10value_typeET4_jRbjT5_S1F_jjP12ihipStream_tbEUljE_ZNSN_ISO_Lb0ESR_SS_SU_SV_SZ_EES10_S11_S12_S13_S17_S18_S19_S1C_S1D_jS1E_jS1F_S1F_jjS1H_bEUljE0_EEES10_S11_S12_S19_S1D_S1F_T6_T7_T9_mT8_S1H_bDpT10_ENKUlT_T0_E_clISt17integral_constantIbLb1EES1U_IbLb0EEEEDaS1Q_S1R_EUlS1Q_E_NS1_11comp_targetILNS1_3genE8ELNS1_11target_archE1030ELNS1_3gpuE2ELNS1_3repE0EEENS1_30default_config_static_selectorELNS0_4arch9wavefront6targetE1EEEvS13_,comdat
	.globl	_ZN7rocprim17ROCPRIM_400000_NS6detail17trampoline_kernelINS0_13select_configILj256ELj13ELNS0_17block_load_methodE3ELS4_3ELS4_3ELNS0_20block_scan_algorithmE0ELj4294967295EEENS1_25partition_config_selectorILNS1_17partition_subalgoE4EjNS0_10empty_typeEbEEZZNS1_14partition_implILS8_4ELb0ES6_15HIP_vector_typeIjLj2EENS0_17counting_iteratorIjlEEPS9_SG_NS0_5tupleIJPjSI_NS0_16reverse_iteratorISI_EEEEENSH_IJSG_SG_SG_EEES9_SI_JZNS1_25segmented_radix_sort_implINS0_14default_configELb0EPK6__halfPSP_PKlPlN2at6native12_GLOBAL__N_18offset_tEEE10hipError_tPvRmT1_PNSt15iterator_traitsIS13_E10value_typeET2_T3_PNS14_IS19_E10value_typeET4_jRbjT5_S1F_jjP12ihipStream_tbEUljE_ZNSN_ISO_Lb0ESR_SS_SU_SV_SZ_EES10_S11_S12_S13_S17_S18_S19_S1C_S1D_jS1E_jS1F_S1F_jjS1H_bEUljE0_EEES10_S11_S12_S19_S1D_S1F_T6_T7_T9_mT8_S1H_bDpT10_ENKUlT_T0_E_clISt17integral_constantIbLb1EES1U_IbLb0EEEEDaS1Q_S1R_EUlS1Q_E_NS1_11comp_targetILNS1_3genE8ELNS1_11target_archE1030ELNS1_3gpuE2ELNS1_3repE0EEENS1_30default_config_static_selectorELNS0_4arch9wavefront6targetE1EEEvS13_ ; -- Begin function _ZN7rocprim17ROCPRIM_400000_NS6detail17trampoline_kernelINS0_13select_configILj256ELj13ELNS0_17block_load_methodE3ELS4_3ELS4_3ELNS0_20block_scan_algorithmE0ELj4294967295EEENS1_25partition_config_selectorILNS1_17partition_subalgoE4EjNS0_10empty_typeEbEEZZNS1_14partition_implILS8_4ELb0ES6_15HIP_vector_typeIjLj2EENS0_17counting_iteratorIjlEEPS9_SG_NS0_5tupleIJPjSI_NS0_16reverse_iteratorISI_EEEEENSH_IJSG_SG_SG_EEES9_SI_JZNS1_25segmented_radix_sort_implINS0_14default_configELb0EPK6__halfPSP_PKlPlN2at6native12_GLOBAL__N_18offset_tEEE10hipError_tPvRmT1_PNSt15iterator_traitsIS13_E10value_typeET2_T3_PNS14_IS19_E10value_typeET4_jRbjT5_S1F_jjP12ihipStream_tbEUljE_ZNSN_ISO_Lb0ESR_SS_SU_SV_SZ_EES10_S11_S12_S13_S17_S18_S19_S1C_S1D_jS1E_jS1F_S1F_jjS1H_bEUljE0_EEES10_S11_S12_S19_S1D_S1F_T6_T7_T9_mT8_S1H_bDpT10_ENKUlT_T0_E_clISt17integral_constantIbLb1EES1U_IbLb0EEEEDaS1Q_S1R_EUlS1Q_E_NS1_11comp_targetILNS1_3genE8ELNS1_11target_archE1030ELNS1_3gpuE2ELNS1_3repE0EEENS1_30default_config_static_selectorELNS0_4arch9wavefront6targetE1EEEvS13_
	.p2align	8
	.type	_ZN7rocprim17ROCPRIM_400000_NS6detail17trampoline_kernelINS0_13select_configILj256ELj13ELNS0_17block_load_methodE3ELS4_3ELS4_3ELNS0_20block_scan_algorithmE0ELj4294967295EEENS1_25partition_config_selectorILNS1_17partition_subalgoE4EjNS0_10empty_typeEbEEZZNS1_14partition_implILS8_4ELb0ES6_15HIP_vector_typeIjLj2EENS0_17counting_iteratorIjlEEPS9_SG_NS0_5tupleIJPjSI_NS0_16reverse_iteratorISI_EEEEENSH_IJSG_SG_SG_EEES9_SI_JZNS1_25segmented_radix_sort_implINS0_14default_configELb0EPK6__halfPSP_PKlPlN2at6native12_GLOBAL__N_18offset_tEEE10hipError_tPvRmT1_PNSt15iterator_traitsIS13_E10value_typeET2_T3_PNS14_IS19_E10value_typeET4_jRbjT5_S1F_jjP12ihipStream_tbEUljE_ZNSN_ISO_Lb0ESR_SS_SU_SV_SZ_EES10_S11_S12_S13_S17_S18_S19_S1C_S1D_jS1E_jS1F_S1F_jjS1H_bEUljE0_EEES10_S11_S12_S19_S1D_S1F_T6_T7_T9_mT8_S1H_bDpT10_ENKUlT_T0_E_clISt17integral_constantIbLb1EES1U_IbLb0EEEEDaS1Q_S1R_EUlS1Q_E_NS1_11comp_targetILNS1_3genE8ELNS1_11target_archE1030ELNS1_3gpuE2ELNS1_3repE0EEENS1_30default_config_static_selectorELNS0_4arch9wavefront6targetE1EEEvS13_,@function
_ZN7rocprim17ROCPRIM_400000_NS6detail17trampoline_kernelINS0_13select_configILj256ELj13ELNS0_17block_load_methodE3ELS4_3ELS4_3ELNS0_20block_scan_algorithmE0ELj4294967295EEENS1_25partition_config_selectorILNS1_17partition_subalgoE4EjNS0_10empty_typeEbEEZZNS1_14partition_implILS8_4ELb0ES6_15HIP_vector_typeIjLj2EENS0_17counting_iteratorIjlEEPS9_SG_NS0_5tupleIJPjSI_NS0_16reverse_iteratorISI_EEEEENSH_IJSG_SG_SG_EEES9_SI_JZNS1_25segmented_radix_sort_implINS0_14default_configELb0EPK6__halfPSP_PKlPlN2at6native12_GLOBAL__N_18offset_tEEE10hipError_tPvRmT1_PNSt15iterator_traitsIS13_E10value_typeET2_T3_PNS14_IS19_E10value_typeET4_jRbjT5_S1F_jjP12ihipStream_tbEUljE_ZNSN_ISO_Lb0ESR_SS_SU_SV_SZ_EES10_S11_S12_S13_S17_S18_S19_S1C_S1D_jS1E_jS1F_S1F_jjS1H_bEUljE0_EEES10_S11_S12_S19_S1D_S1F_T6_T7_T9_mT8_S1H_bDpT10_ENKUlT_T0_E_clISt17integral_constantIbLb1EES1U_IbLb0EEEEDaS1Q_S1R_EUlS1Q_E_NS1_11comp_targetILNS1_3genE8ELNS1_11target_archE1030ELNS1_3gpuE2ELNS1_3repE0EEENS1_30default_config_static_selectorELNS0_4arch9wavefront6targetE1EEEvS13_: ; @_ZN7rocprim17ROCPRIM_400000_NS6detail17trampoline_kernelINS0_13select_configILj256ELj13ELNS0_17block_load_methodE3ELS4_3ELS4_3ELNS0_20block_scan_algorithmE0ELj4294967295EEENS1_25partition_config_selectorILNS1_17partition_subalgoE4EjNS0_10empty_typeEbEEZZNS1_14partition_implILS8_4ELb0ES6_15HIP_vector_typeIjLj2EENS0_17counting_iteratorIjlEEPS9_SG_NS0_5tupleIJPjSI_NS0_16reverse_iteratorISI_EEEEENSH_IJSG_SG_SG_EEES9_SI_JZNS1_25segmented_radix_sort_implINS0_14default_configELb0EPK6__halfPSP_PKlPlN2at6native12_GLOBAL__N_18offset_tEEE10hipError_tPvRmT1_PNSt15iterator_traitsIS13_E10value_typeET2_T3_PNS14_IS19_E10value_typeET4_jRbjT5_S1F_jjP12ihipStream_tbEUljE_ZNSN_ISO_Lb0ESR_SS_SU_SV_SZ_EES10_S11_S12_S13_S17_S18_S19_S1C_S1D_jS1E_jS1F_S1F_jjS1H_bEUljE0_EEES10_S11_S12_S19_S1D_S1F_T6_T7_T9_mT8_S1H_bDpT10_ENKUlT_T0_E_clISt17integral_constantIbLb1EES1U_IbLb0EEEEDaS1Q_S1R_EUlS1Q_E_NS1_11comp_targetILNS1_3genE8ELNS1_11target_archE1030ELNS1_3gpuE2ELNS1_3repE0EEENS1_30default_config_static_selectorELNS0_4arch9wavefront6targetE1EEEvS13_
; %bb.0:
	.section	.rodata,"a",@progbits
	.p2align	6, 0x0
	.amdhsa_kernel _ZN7rocprim17ROCPRIM_400000_NS6detail17trampoline_kernelINS0_13select_configILj256ELj13ELNS0_17block_load_methodE3ELS4_3ELS4_3ELNS0_20block_scan_algorithmE0ELj4294967295EEENS1_25partition_config_selectorILNS1_17partition_subalgoE4EjNS0_10empty_typeEbEEZZNS1_14partition_implILS8_4ELb0ES6_15HIP_vector_typeIjLj2EENS0_17counting_iteratorIjlEEPS9_SG_NS0_5tupleIJPjSI_NS0_16reverse_iteratorISI_EEEEENSH_IJSG_SG_SG_EEES9_SI_JZNS1_25segmented_radix_sort_implINS0_14default_configELb0EPK6__halfPSP_PKlPlN2at6native12_GLOBAL__N_18offset_tEEE10hipError_tPvRmT1_PNSt15iterator_traitsIS13_E10value_typeET2_T3_PNS14_IS19_E10value_typeET4_jRbjT5_S1F_jjP12ihipStream_tbEUljE_ZNSN_ISO_Lb0ESR_SS_SU_SV_SZ_EES10_S11_S12_S13_S17_S18_S19_S1C_S1D_jS1E_jS1F_S1F_jjS1H_bEUljE0_EEES10_S11_S12_S19_S1D_S1F_T6_T7_T9_mT8_S1H_bDpT10_ENKUlT_T0_E_clISt17integral_constantIbLb1EES1U_IbLb0EEEEDaS1Q_S1R_EUlS1Q_E_NS1_11comp_targetILNS1_3genE8ELNS1_11target_archE1030ELNS1_3gpuE2ELNS1_3repE0EEENS1_30default_config_static_selectorELNS0_4arch9wavefront6targetE1EEEvS13_
		.amdhsa_group_segment_fixed_size 0
		.amdhsa_private_segment_fixed_size 0
		.amdhsa_kernarg_size 176
		.amdhsa_user_sgpr_count 6
		.amdhsa_user_sgpr_private_segment_buffer 1
		.amdhsa_user_sgpr_dispatch_ptr 0
		.amdhsa_user_sgpr_queue_ptr 0
		.amdhsa_user_sgpr_kernarg_segment_ptr 1
		.amdhsa_user_sgpr_dispatch_id 0
		.amdhsa_user_sgpr_flat_scratch_init 0
		.amdhsa_user_sgpr_private_segment_size 0
		.amdhsa_uses_dynamic_stack 0
		.amdhsa_system_sgpr_private_segment_wavefront_offset 0
		.amdhsa_system_sgpr_workgroup_id_x 1
		.amdhsa_system_sgpr_workgroup_id_y 0
		.amdhsa_system_sgpr_workgroup_id_z 0
		.amdhsa_system_sgpr_workgroup_info 0
		.amdhsa_system_vgpr_workitem_id 0
		.amdhsa_next_free_vgpr 1
		.amdhsa_next_free_sgpr 0
		.amdhsa_reserve_vcc 0
		.amdhsa_reserve_flat_scratch 0
		.amdhsa_float_round_mode_32 0
		.amdhsa_float_round_mode_16_64 0
		.amdhsa_float_denorm_mode_32 3
		.amdhsa_float_denorm_mode_16_64 3
		.amdhsa_dx10_clamp 1
		.amdhsa_ieee_mode 1
		.amdhsa_fp16_overflow 0
		.amdhsa_exception_fp_ieee_invalid_op 0
		.amdhsa_exception_fp_denorm_src 0
		.amdhsa_exception_fp_ieee_div_zero 0
		.amdhsa_exception_fp_ieee_overflow 0
		.amdhsa_exception_fp_ieee_underflow 0
		.amdhsa_exception_fp_ieee_inexact 0
		.amdhsa_exception_int_div_zero 0
	.end_amdhsa_kernel
	.section	.text._ZN7rocprim17ROCPRIM_400000_NS6detail17trampoline_kernelINS0_13select_configILj256ELj13ELNS0_17block_load_methodE3ELS4_3ELS4_3ELNS0_20block_scan_algorithmE0ELj4294967295EEENS1_25partition_config_selectorILNS1_17partition_subalgoE4EjNS0_10empty_typeEbEEZZNS1_14partition_implILS8_4ELb0ES6_15HIP_vector_typeIjLj2EENS0_17counting_iteratorIjlEEPS9_SG_NS0_5tupleIJPjSI_NS0_16reverse_iteratorISI_EEEEENSH_IJSG_SG_SG_EEES9_SI_JZNS1_25segmented_radix_sort_implINS0_14default_configELb0EPK6__halfPSP_PKlPlN2at6native12_GLOBAL__N_18offset_tEEE10hipError_tPvRmT1_PNSt15iterator_traitsIS13_E10value_typeET2_T3_PNS14_IS19_E10value_typeET4_jRbjT5_S1F_jjP12ihipStream_tbEUljE_ZNSN_ISO_Lb0ESR_SS_SU_SV_SZ_EES10_S11_S12_S13_S17_S18_S19_S1C_S1D_jS1E_jS1F_S1F_jjS1H_bEUljE0_EEES10_S11_S12_S19_S1D_S1F_T6_T7_T9_mT8_S1H_bDpT10_ENKUlT_T0_E_clISt17integral_constantIbLb1EES1U_IbLb0EEEEDaS1Q_S1R_EUlS1Q_E_NS1_11comp_targetILNS1_3genE8ELNS1_11target_archE1030ELNS1_3gpuE2ELNS1_3repE0EEENS1_30default_config_static_selectorELNS0_4arch9wavefront6targetE1EEEvS13_,"axG",@progbits,_ZN7rocprim17ROCPRIM_400000_NS6detail17trampoline_kernelINS0_13select_configILj256ELj13ELNS0_17block_load_methodE3ELS4_3ELS4_3ELNS0_20block_scan_algorithmE0ELj4294967295EEENS1_25partition_config_selectorILNS1_17partition_subalgoE4EjNS0_10empty_typeEbEEZZNS1_14partition_implILS8_4ELb0ES6_15HIP_vector_typeIjLj2EENS0_17counting_iteratorIjlEEPS9_SG_NS0_5tupleIJPjSI_NS0_16reverse_iteratorISI_EEEEENSH_IJSG_SG_SG_EEES9_SI_JZNS1_25segmented_radix_sort_implINS0_14default_configELb0EPK6__halfPSP_PKlPlN2at6native12_GLOBAL__N_18offset_tEEE10hipError_tPvRmT1_PNSt15iterator_traitsIS13_E10value_typeET2_T3_PNS14_IS19_E10value_typeET4_jRbjT5_S1F_jjP12ihipStream_tbEUljE_ZNSN_ISO_Lb0ESR_SS_SU_SV_SZ_EES10_S11_S12_S13_S17_S18_S19_S1C_S1D_jS1E_jS1F_S1F_jjS1H_bEUljE0_EEES10_S11_S12_S19_S1D_S1F_T6_T7_T9_mT8_S1H_bDpT10_ENKUlT_T0_E_clISt17integral_constantIbLb1EES1U_IbLb0EEEEDaS1Q_S1R_EUlS1Q_E_NS1_11comp_targetILNS1_3genE8ELNS1_11target_archE1030ELNS1_3gpuE2ELNS1_3repE0EEENS1_30default_config_static_selectorELNS0_4arch9wavefront6targetE1EEEvS13_,comdat
.Lfunc_end1801:
	.size	_ZN7rocprim17ROCPRIM_400000_NS6detail17trampoline_kernelINS0_13select_configILj256ELj13ELNS0_17block_load_methodE3ELS4_3ELS4_3ELNS0_20block_scan_algorithmE0ELj4294967295EEENS1_25partition_config_selectorILNS1_17partition_subalgoE4EjNS0_10empty_typeEbEEZZNS1_14partition_implILS8_4ELb0ES6_15HIP_vector_typeIjLj2EENS0_17counting_iteratorIjlEEPS9_SG_NS0_5tupleIJPjSI_NS0_16reverse_iteratorISI_EEEEENSH_IJSG_SG_SG_EEES9_SI_JZNS1_25segmented_radix_sort_implINS0_14default_configELb0EPK6__halfPSP_PKlPlN2at6native12_GLOBAL__N_18offset_tEEE10hipError_tPvRmT1_PNSt15iterator_traitsIS13_E10value_typeET2_T3_PNS14_IS19_E10value_typeET4_jRbjT5_S1F_jjP12ihipStream_tbEUljE_ZNSN_ISO_Lb0ESR_SS_SU_SV_SZ_EES10_S11_S12_S13_S17_S18_S19_S1C_S1D_jS1E_jS1F_S1F_jjS1H_bEUljE0_EEES10_S11_S12_S19_S1D_S1F_T6_T7_T9_mT8_S1H_bDpT10_ENKUlT_T0_E_clISt17integral_constantIbLb1EES1U_IbLb0EEEEDaS1Q_S1R_EUlS1Q_E_NS1_11comp_targetILNS1_3genE8ELNS1_11target_archE1030ELNS1_3gpuE2ELNS1_3repE0EEENS1_30default_config_static_selectorELNS0_4arch9wavefront6targetE1EEEvS13_, .Lfunc_end1801-_ZN7rocprim17ROCPRIM_400000_NS6detail17trampoline_kernelINS0_13select_configILj256ELj13ELNS0_17block_load_methodE3ELS4_3ELS4_3ELNS0_20block_scan_algorithmE0ELj4294967295EEENS1_25partition_config_selectorILNS1_17partition_subalgoE4EjNS0_10empty_typeEbEEZZNS1_14partition_implILS8_4ELb0ES6_15HIP_vector_typeIjLj2EENS0_17counting_iteratorIjlEEPS9_SG_NS0_5tupleIJPjSI_NS0_16reverse_iteratorISI_EEEEENSH_IJSG_SG_SG_EEES9_SI_JZNS1_25segmented_radix_sort_implINS0_14default_configELb0EPK6__halfPSP_PKlPlN2at6native12_GLOBAL__N_18offset_tEEE10hipError_tPvRmT1_PNSt15iterator_traitsIS13_E10value_typeET2_T3_PNS14_IS19_E10value_typeET4_jRbjT5_S1F_jjP12ihipStream_tbEUljE_ZNSN_ISO_Lb0ESR_SS_SU_SV_SZ_EES10_S11_S12_S13_S17_S18_S19_S1C_S1D_jS1E_jS1F_S1F_jjS1H_bEUljE0_EEES10_S11_S12_S19_S1D_S1F_T6_T7_T9_mT8_S1H_bDpT10_ENKUlT_T0_E_clISt17integral_constantIbLb1EES1U_IbLb0EEEEDaS1Q_S1R_EUlS1Q_E_NS1_11comp_targetILNS1_3genE8ELNS1_11target_archE1030ELNS1_3gpuE2ELNS1_3repE0EEENS1_30default_config_static_selectorELNS0_4arch9wavefront6targetE1EEEvS13_
                                        ; -- End function
	.set _ZN7rocprim17ROCPRIM_400000_NS6detail17trampoline_kernelINS0_13select_configILj256ELj13ELNS0_17block_load_methodE3ELS4_3ELS4_3ELNS0_20block_scan_algorithmE0ELj4294967295EEENS1_25partition_config_selectorILNS1_17partition_subalgoE4EjNS0_10empty_typeEbEEZZNS1_14partition_implILS8_4ELb0ES6_15HIP_vector_typeIjLj2EENS0_17counting_iteratorIjlEEPS9_SG_NS0_5tupleIJPjSI_NS0_16reverse_iteratorISI_EEEEENSH_IJSG_SG_SG_EEES9_SI_JZNS1_25segmented_radix_sort_implINS0_14default_configELb0EPK6__halfPSP_PKlPlN2at6native12_GLOBAL__N_18offset_tEEE10hipError_tPvRmT1_PNSt15iterator_traitsIS13_E10value_typeET2_T3_PNS14_IS19_E10value_typeET4_jRbjT5_S1F_jjP12ihipStream_tbEUljE_ZNSN_ISO_Lb0ESR_SS_SU_SV_SZ_EES10_S11_S12_S13_S17_S18_S19_S1C_S1D_jS1E_jS1F_S1F_jjS1H_bEUljE0_EEES10_S11_S12_S19_S1D_S1F_T6_T7_T9_mT8_S1H_bDpT10_ENKUlT_T0_E_clISt17integral_constantIbLb1EES1U_IbLb0EEEEDaS1Q_S1R_EUlS1Q_E_NS1_11comp_targetILNS1_3genE8ELNS1_11target_archE1030ELNS1_3gpuE2ELNS1_3repE0EEENS1_30default_config_static_selectorELNS0_4arch9wavefront6targetE1EEEvS13_.num_vgpr, 0
	.set _ZN7rocprim17ROCPRIM_400000_NS6detail17trampoline_kernelINS0_13select_configILj256ELj13ELNS0_17block_load_methodE3ELS4_3ELS4_3ELNS0_20block_scan_algorithmE0ELj4294967295EEENS1_25partition_config_selectorILNS1_17partition_subalgoE4EjNS0_10empty_typeEbEEZZNS1_14partition_implILS8_4ELb0ES6_15HIP_vector_typeIjLj2EENS0_17counting_iteratorIjlEEPS9_SG_NS0_5tupleIJPjSI_NS0_16reverse_iteratorISI_EEEEENSH_IJSG_SG_SG_EEES9_SI_JZNS1_25segmented_radix_sort_implINS0_14default_configELb0EPK6__halfPSP_PKlPlN2at6native12_GLOBAL__N_18offset_tEEE10hipError_tPvRmT1_PNSt15iterator_traitsIS13_E10value_typeET2_T3_PNS14_IS19_E10value_typeET4_jRbjT5_S1F_jjP12ihipStream_tbEUljE_ZNSN_ISO_Lb0ESR_SS_SU_SV_SZ_EES10_S11_S12_S13_S17_S18_S19_S1C_S1D_jS1E_jS1F_S1F_jjS1H_bEUljE0_EEES10_S11_S12_S19_S1D_S1F_T6_T7_T9_mT8_S1H_bDpT10_ENKUlT_T0_E_clISt17integral_constantIbLb1EES1U_IbLb0EEEEDaS1Q_S1R_EUlS1Q_E_NS1_11comp_targetILNS1_3genE8ELNS1_11target_archE1030ELNS1_3gpuE2ELNS1_3repE0EEENS1_30default_config_static_selectorELNS0_4arch9wavefront6targetE1EEEvS13_.num_agpr, 0
	.set _ZN7rocprim17ROCPRIM_400000_NS6detail17trampoline_kernelINS0_13select_configILj256ELj13ELNS0_17block_load_methodE3ELS4_3ELS4_3ELNS0_20block_scan_algorithmE0ELj4294967295EEENS1_25partition_config_selectorILNS1_17partition_subalgoE4EjNS0_10empty_typeEbEEZZNS1_14partition_implILS8_4ELb0ES6_15HIP_vector_typeIjLj2EENS0_17counting_iteratorIjlEEPS9_SG_NS0_5tupleIJPjSI_NS0_16reverse_iteratorISI_EEEEENSH_IJSG_SG_SG_EEES9_SI_JZNS1_25segmented_radix_sort_implINS0_14default_configELb0EPK6__halfPSP_PKlPlN2at6native12_GLOBAL__N_18offset_tEEE10hipError_tPvRmT1_PNSt15iterator_traitsIS13_E10value_typeET2_T3_PNS14_IS19_E10value_typeET4_jRbjT5_S1F_jjP12ihipStream_tbEUljE_ZNSN_ISO_Lb0ESR_SS_SU_SV_SZ_EES10_S11_S12_S13_S17_S18_S19_S1C_S1D_jS1E_jS1F_S1F_jjS1H_bEUljE0_EEES10_S11_S12_S19_S1D_S1F_T6_T7_T9_mT8_S1H_bDpT10_ENKUlT_T0_E_clISt17integral_constantIbLb1EES1U_IbLb0EEEEDaS1Q_S1R_EUlS1Q_E_NS1_11comp_targetILNS1_3genE8ELNS1_11target_archE1030ELNS1_3gpuE2ELNS1_3repE0EEENS1_30default_config_static_selectorELNS0_4arch9wavefront6targetE1EEEvS13_.numbered_sgpr, 0
	.set _ZN7rocprim17ROCPRIM_400000_NS6detail17trampoline_kernelINS0_13select_configILj256ELj13ELNS0_17block_load_methodE3ELS4_3ELS4_3ELNS0_20block_scan_algorithmE0ELj4294967295EEENS1_25partition_config_selectorILNS1_17partition_subalgoE4EjNS0_10empty_typeEbEEZZNS1_14partition_implILS8_4ELb0ES6_15HIP_vector_typeIjLj2EENS0_17counting_iteratorIjlEEPS9_SG_NS0_5tupleIJPjSI_NS0_16reverse_iteratorISI_EEEEENSH_IJSG_SG_SG_EEES9_SI_JZNS1_25segmented_radix_sort_implINS0_14default_configELb0EPK6__halfPSP_PKlPlN2at6native12_GLOBAL__N_18offset_tEEE10hipError_tPvRmT1_PNSt15iterator_traitsIS13_E10value_typeET2_T3_PNS14_IS19_E10value_typeET4_jRbjT5_S1F_jjP12ihipStream_tbEUljE_ZNSN_ISO_Lb0ESR_SS_SU_SV_SZ_EES10_S11_S12_S13_S17_S18_S19_S1C_S1D_jS1E_jS1F_S1F_jjS1H_bEUljE0_EEES10_S11_S12_S19_S1D_S1F_T6_T7_T9_mT8_S1H_bDpT10_ENKUlT_T0_E_clISt17integral_constantIbLb1EES1U_IbLb0EEEEDaS1Q_S1R_EUlS1Q_E_NS1_11comp_targetILNS1_3genE8ELNS1_11target_archE1030ELNS1_3gpuE2ELNS1_3repE0EEENS1_30default_config_static_selectorELNS0_4arch9wavefront6targetE1EEEvS13_.num_named_barrier, 0
	.set _ZN7rocprim17ROCPRIM_400000_NS6detail17trampoline_kernelINS0_13select_configILj256ELj13ELNS0_17block_load_methodE3ELS4_3ELS4_3ELNS0_20block_scan_algorithmE0ELj4294967295EEENS1_25partition_config_selectorILNS1_17partition_subalgoE4EjNS0_10empty_typeEbEEZZNS1_14partition_implILS8_4ELb0ES6_15HIP_vector_typeIjLj2EENS0_17counting_iteratorIjlEEPS9_SG_NS0_5tupleIJPjSI_NS0_16reverse_iteratorISI_EEEEENSH_IJSG_SG_SG_EEES9_SI_JZNS1_25segmented_radix_sort_implINS0_14default_configELb0EPK6__halfPSP_PKlPlN2at6native12_GLOBAL__N_18offset_tEEE10hipError_tPvRmT1_PNSt15iterator_traitsIS13_E10value_typeET2_T3_PNS14_IS19_E10value_typeET4_jRbjT5_S1F_jjP12ihipStream_tbEUljE_ZNSN_ISO_Lb0ESR_SS_SU_SV_SZ_EES10_S11_S12_S13_S17_S18_S19_S1C_S1D_jS1E_jS1F_S1F_jjS1H_bEUljE0_EEES10_S11_S12_S19_S1D_S1F_T6_T7_T9_mT8_S1H_bDpT10_ENKUlT_T0_E_clISt17integral_constantIbLb1EES1U_IbLb0EEEEDaS1Q_S1R_EUlS1Q_E_NS1_11comp_targetILNS1_3genE8ELNS1_11target_archE1030ELNS1_3gpuE2ELNS1_3repE0EEENS1_30default_config_static_selectorELNS0_4arch9wavefront6targetE1EEEvS13_.private_seg_size, 0
	.set _ZN7rocprim17ROCPRIM_400000_NS6detail17trampoline_kernelINS0_13select_configILj256ELj13ELNS0_17block_load_methodE3ELS4_3ELS4_3ELNS0_20block_scan_algorithmE0ELj4294967295EEENS1_25partition_config_selectorILNS1_17partition_subalgoE4EjNS0_10empty_typeEbEEZZNS1_14partition_implILS8_4ELb0ES6_15HIP_vector_typeIjLj2EENS0_17counting_iteratorIjlEEPS9_SG_NS0_5tupleIJPjSI_NS0_16reverse_iteratorISI_EEEEENSH_IJSG_SG_SG_EEES9_SI_JZNS1_25segmented_radix_sort_implINS0_14default_configELb0EPK6__halfPSP_PKlPlN2at6native12_GLOBAL__N_18offset_tEEE10hipError_tPvRmT1_PNSt15iterator_traitsIS13_E10value_typeET2_T3_PNS14_IS19_E10value_typeET4_jRbjT5_S1F_jjP12ihipStream_tbEUljE_ZNSN_ISO_Lb0ESR_SS_SU_SV_SZ_EES10_S11_S12_S13_S17_S18_S19_S1C_S1D_jS1E_jS1F_S1F_jjS1H_bEUljE0_EEES10_S11_S12_S19_S1D_S1F_T6_T7_T9_mT8_S1H_bDpT10_ENKUlT_T0_E_clISt17integral_constantIbLb1EES1U_IbLb0EEEEDaS1Q_S1R_EUlS1Q_E_NS1_11comp_targetILNS1_3genE8ELNS1_11target_archE1030ELNS1_3gpuE2ELNS1_3repE0EEENS1_30default_config_static_selectorELNS0_4arch9wavefront6targetE1EEEvS13_.uses_vcc, 0
	.set _ZN7rocprim17ROCPRIM_400000_NS6detail17trampoline_kernelINS0_13select_configILj256ELj13ELNS0_17block_load_methodE3ELS4_3ELS4_3ELNS0_20block_scan_algorithmE0ELj4294967295EEENS1_25partition_config_selectorILNS1_17partition_subalgoE4EjNS0_10empty_typeEbEEZZNS1_14partition_implILS8_4ELb0ES6_15HIP_vector_typeIjLj2EENS0_17counting_iteratorIjlEEPS9_SG_NS0_5tupleIJPjSI_NS0_16reverse_iteratorISI_EEEEENSH_IJSG_SG_SG_EEES9_SI_JZNS1_25segmented_radix_sort_implINS0_14default_configELb0EPK6__halfPSP_PKlPlN2at6native12_GLOBAL__N_18offset_tEEE10hipError_tPvRmT1_PNSt15iterator_traitsIS13_E10value_typeET2_T3_PNS14_IS19_E10value_typeET4_jRbjT5_S1F_jjP12ihipStream_tbEUljE_ZNSN_ISO_Lb0ESR_SS_SU_SV_SZ_EES10_S11_S12_S13_S17_S18_S19_S1C_S1D_jS1E_jS1F_S1F_jjS1H_bEUljE0_EEES10_S11_S12_S19_S1D_S1F_T6_T7_T9_mT8_S1H_bDpT10_ENKUlT_T0_E_clISt17integral_constantIbLb1EES1U_IbLb0EEEEDaS1Q_S1R_EUlS1Q_E_NS1_11comp_targetILNS1_3genE8ELNS1_11target_archE1030ELNS1_3gpuE2ELNS1_3repE0EEENS1_30default_config_static_selectorELNS0_4arch9wavefront6targetE1EEEvS13_.uses_flat_scratch, 0
	.set _ZN7rocprim17ROCPRIM_400000_NS6detail17trampoline_kernelINS0_13select_configILj256ELj13ELNS0_17block_load_methodE3ELS4_3ELS4_3ELNS0_20block_scan_algorithmE0ELj4294967295EEENS1_25partition_config_selectorILNS1_17partition_subalgoE4EjNS0_10empty_typeEbEEZZNS1_14partition_implILS8_4ELb0ES6_15HIP_vector_typeIjLj2EENS0_17counting_iteratorIjlEEPS9_SG_NS0_5tupleIJPjSI_NS0_16reverse_iteratorISI_EEEEENSH_IJSG_SG_SG_EEES9_SI_JZNS1_25segmented_radix_sort_implINS0_14default_configELb0EPK6__halfPSP_PKlPlN2at6native12_GLOBAL__N_18offset_tEEE10hipError_tPvRmT1_PNSt15iterator_traitsIS13_E10value_typeET2_T3_PNS14_IS19_E10value_typeET4_jRbjT5_S1F_jjP12ihipStream_tbEUljE_ZNSN_ISO_Lb0ESR_SS_SU_SV_SZ_EES10_S11_S12_S13_S17_S18_S19_S1C_S1D_jS1E_jS1F_S1F_jjS1H_bEUljE0_EEES10_S11_S12_S19_S1D_S1F_T6_T7_T9_mT8_S1H_bDpT10_ENKUlT_T0_E_clISt17integral_constantIbLb1EES1U_IbLb0EEEEDaS1Q_S1R_EUlS1Q_E_NS1_11comp_targetILNS1_3genE8ELNS1_11target_archE1030ELNS1_3gpuE2ELNS1_3repE0EEENS1_30default_config_static_selectorELNS0_4arch9wavefront6targetE1EEEvS13_.has_dyn_sized_stack, 0
	.set _ZN7rocprim17ROCPRIM_400000_NS6detail17trampoline_kernelINS0_13select_configILj256ELj13ELNS0_17block_load_methodE3ELS4_3ELS4_3ELNS0_20block_scan_algorithmE0ELj4294967295EEENS1_25partition_config_selectorILNS1_17partition_subalgoE4EjNS0_10empty_typeEbEEZZNS1_14partition_implILS8_4ELb0ES6_15HIP_vector_typeIjLj2EENS0_17counting_iteratorIjlEEPS9_SG_NS0_5tupleIJPjSI_NS0_16reverse_iteratorISI_EEEEENSH_IJSG_SG_SG_EEES9_SI_JZNS1_25segmented_radix_sort_implINS0_14default_configELb0EPK6__halfPSP_PKlPlN2at6native12_GLOBAL__N_18offset_tEEE10hipError_tPvRmT1_PNSt15iterator_traitsIS13_E10value_typeET2_T3_PNS14_IS19_E10value_typeET4_jRbjT5_S1F_jjP12ihipStream_tbEUljE_ZNSN_ISO_Lb0ESR_SS_SU_SV_SZ_EES10_S11_S12_S13_S17_S18_S19_S1C_S1D_jS1E_jS1F_S1F_jjS1H_bEUljE0_EEES10_S11_S12_S19_S1D_S1F_T6_T7_T9_mT8_S1H_bDpT10_ENKUlT_T0_E_clISt17integral_constantIbLb1EES1U_IbLb0EEEEDaS1Q_S1R_EUlS1Q_E_NS1_11comp_targetILNS1_3genE8ELNS1_11target_archE1030ELNS1_3gpuE2ELNS1_3repE0EEENS1_30default_config_static_selectorELNS0_4arch9wavefront6targetE1EEEvS13_.has_recursion, 0
	.set _ZN7rocprim17ROCPRIM_400000_NS6detail17trampoline_kernelINS0_13select_configILj256ELj13ELNS0_17block_load_methodE3ELS4_3ELS4_3ELNS0_20block_scan_algorithmE0ELj4294967295EEENS1_25partition_config_selectorILNS1_17partition_subalgoE4EjNS0_10empty_typeEbEEZZNS1_14partition_implILS8_4ELb0ES6_15HIP_vector_typeIjLj2EENS0_17counting_iteratorIjlEEPS9_SG_NS0_5tupleIJPjSI_NS0_16reverse_iteratorISI_EEEEENSH_IJSG_SG_SG_EEES9_SI_JZNS1_25segmented_radix_sort_implINS0_14default_configELb0EPK6__halfPSP_PKlPlN2at6native12_GLOBAL__N_18offset_tEEE10hipError_tPvRmT1_PNSt15iterator_traitsIS13_E10value_typeET2_T3_PNS14_IS19_E10value_typeET4_jRbjT5_S1F_jjP12ihipStream_tbEUljE_ZNSN_ISO_Lb0ESR_SS_SU_SV_SZ_EES10_S11_S12_S13_S17_S18_S19_S1C_S1D_jS1E_jS1F_S1F_jjS1H_bEUljE0_EEES10_S11_S12_S19_S1D_S1F_T6_T7_T9_mT8_S1H_bDpT10_ENKUlT_T0_E_clISt17integral_constantIbLb1EES1U_IbLb0EEEEDaS1Q_S1R_EUlS1Q_E_NS1_11comp_targetILNS1_3genE8ELNS1_11target_archE1030ELNS1_3gpuE2ELNS1_3repE0EEENS1_30default_config_static_selectorELNS0_4arch9wavefront6targetE1EEEvS13_.has_indirect_call, 0
	.section	.AMDGPU.csdata,"",@progbits
; Kernel info:
; codeLenInByte = 0
; TotalNumSgprs: 4
; NumVgprs: 0
; ScratchSize: 0
; MemoryBound: 0
; FloatMode: 240
; IeeeMode: 1
; LDSByteSize: 0 bytes/workgroup (compile time only)
; SGPRBlocks: 0
; VGPRBlocks: 0
; NumSGPRsForWavesPerEU: 4
; NumVGPRsForWavesPerEU: 1
; Occupancy: 10
; WaveLimiterHint : 0
; COMPUTE_PGM_RSRC2:SCRATCH_EN: 0
; COMPUTE_PGM_RSRC2:USER_SGPR: 6
; COMPUTE_PGM_RSRC2:TRAP_HANDLER: 0
; COMPUTE_PGM_RSRC2:TGID_X_EN: 1
; COMPUTE_PGM_RSRC2:TGID_Y_EN: 0
; COMPUTE_PGM_RSRC2:TGID_Z_EN: 0
; COMPUTE_PGM_RSRC2:TIDIG_COMP_CNT: 0
	.section	.text._ZN7rocprim17ROCPRIM_400000_NS6detail17trampoline_kernelINS0_13select_configILj256ELj13ELNS0_17block_load_methodE3ELS4_3ELS4_3ELNS0_20block_scan_algorithmE0ELj4294967295EEENS1_25partition_config_selectorILNS1_17partition_subalgoE4EjNS0_10empty_typeEbEEZZNS1_14partition_implILS8_4ELb0ES6_15HIP_vector_typeIjLj2EENS0_17counting_iteratorIjlEEPS9_SG_NS0_5tupleIJPjSI_NS0_16reverse_iteratorISI_EEEEENSH_IJSG_SG_SG_EEES9_SI_JZNS1_25segmented_radix_sort_implINS0_14default_configELb0EPK6__halfPSP_PKlPlN2at6native12_GLOBAL__N_18offset_tEEE10hipError_tPvRmT1_PNSt15iterator_traitsIS13_E10value_typeET2_T3_PNS14_IS19_E10value_typeET4_jRbjT5_S1F_jjP12ihipStream_tbEUljE_ZNSN_ISO_Lb0ESR_SS_SU_SV_SZ_EES10_S11_S12_S13_S17_S18_S19_S1C_S1D_jS1E_jS1F_S1F_jjS1H_bEUljE0_EEES10_S11_S12_S19_S1D_S1F_T6_T7_T9_mT8_S1H_bDpT10_ENKUlT_T0_E_clISt17integral_constantIbLb0EES1U_IbLb1EEEEDaS1Q_S1R_EUlS1Q_E_NS1_11comp_targetILNS1_3genE0ELNS1_11target_archE4294967295ELNS1_3gpuE0ELNS1_3repE0EEENS1_30default_config_static_selectorELNS0_4arch9wavefront6targetE1EEEvS13_,"axG",@progbits,_ZN7rocprim17ROCPRIM_400000_NS6detail17trampoline_kernelINS0_13select_configILj256ELj13ELNS0_17block_load_methodE3ELS4_3ELS4_3ELNS0_20block_scan_algorithmE0ELj4294967295EEENS1_25partition_config_selectorILNS1_17partition_subalgoE4EjNS0_10empty_typeEbEEZZNS1_14partition_implILS8_4ELb0ES6_15HIP_vector_typeIjLj2EENS0_17counting_iteratorIjlEEPS9_SG_NS0_5tupleIJPjSI_NS0_16reverse_iteratorISI_EEEEENSH_IJSG_SG_SG_EEES9_SI_JZNS1_25segmented_radix_sort_implINS0_14default_configELb0EPK6__halfPSP_PKlPlN2at6native12_GLOBAL__N_18offset_tEEE10hipError_tPvRmT1_PNSt15iterator_traitsIS13_E10value_typeET2_T3_PNS14_IS19_E10value_typeET4_jRbjT5_S1F_jjP12ihipStream_tbEUljE_ZNSN_ISO_Lb0ESR_SS_SU_SV_SZ_EES10_S11_S12_S13_S17_S18_S19_S1C_S1D_jS1E_jS1F_S1F_jjS1H_bEUljE0_EEES10_S11_S12_S19_S1D_S1F_T6_T7_T9_mT8_S1H_bDpT10_ENKUlT_T0_E_clISt17integral_constantIbLb0EES1U_IbLb1EEEEDaS1Q_S1R_EUlS1Q_E_NS1_11comp_targetILNS1_3genE0ELNS1_11target_archE4294967295ELNS1_3gpuE0ELNS1_3repE0EEENS1_30default_config_static_selectorELNS0_4arch9wavefront6targetE1EEEvS13_,comdat
	.globl	_ZN7rocprim17ROCPRIM_400000_NS6detail17trampoline_kernelINS0_13select_configILj256ELj13ELNS0_17block_load_methodE3ELS4_3ELS4_3ELNS0_20block_scan_algorithmE0ELj4294967295EEENS1_25partition_config_selectorILNS1_17partition_subalgoE4EjNS0_10empty_typeEbEEZZNS1_14partition_implILS8_4ELb0ES6_15HIP_vector_typeIjLj2EENS0_17counting_iteratorIjlEEPS9_SG_NS0_5tupleIJPjSI_NS0_16reverse_iteratorISI_EEEEENSH_IJSG_SG_SG_EEES9_SI_JZNS1_25segmented_radix_sort_implINS0_14default_configELb0EPK6__halfPSP_PKlPlN2at6native12_GLOBAL__N_18offset_tEEE10hipError_tPvRmT1_PNSt15iterator_traitsIS13_E10value_typeET2_T3_PNS14_IS19_E10value_typeET4_jRbjT5_S1F_jjP12ihipStream_tbEUljE_ZNSN_ISO_Lb0ESR_SS_SU_SV_SZ_EES10_S11_S12_S13_S17_S18_S19_S1C_S1D_jS1E_jS1F_S1F_jjS1H_bEUljE0_EEES10_S11_S12_S19_S1D_S1F_T6_T7_T9_mT8_S1H_bDpT10_ENKUlT_T0_E_clISt17integral_constantIbLb0EES1U_IbLb1EEEEDaS1Q_S1R_EUlS1Q_E_NS1_11comp_targetILNS1_3genE0ELNS1_11target_archE4294967295ELNS1_3gpuE0ELNS1_3repE0EEENS1_30default_config_static_selectorELNS0_4arch9wavefront6targetE1EEEvS13_ ; -- Begin function _ZN7rocprim17ROCPRIM_400000_NS6detail17trampoline_kernelINS0_13select_configILj256ELj13ELNS0_17block_load_methodE3ELS4_3ELS4_3ELNS0_20block_scan_algorithmE0ELj4294967295EEENS1_25partition_config_selectorILNS1_17partition_subalgoE4EjNS0_10empty_typeEbEEZZNS1_14partition_implILS8_4ELb0ES6_15HIP_vector_typeIjLj2EENS0_17counting_iteratorIjlEEPS9_SG_NS0_5tupleIJPjSI_NS0_16reverse_iteratorISI_EEEEENSH_IJSG_SG_SG_EEES9_SI_JZNS1_25segmented_radix_sort_implINS0_14default_configELb0EPK6__halfPSP_PKlPlN2at6native12_GLOBAL__N_18offset_tEEE10hipError_tPvRmT1_PNSt15iterator_traitsIS13_E10value_typeET2_T3_PNS14_IS19_E10value_typeET4_jRbjT5_S1F_jjP12ihipStream_tbEUljE_ZNSN_ISO_Lb0ESR_SS_SU_SV_SZ_EES10_S11_S12_S13_S17_S18_S19_S1C_S1D_jS1E_jS1F_S1F_jjS1H_bEUljE0_EEES10_S11_S12_S19_S1D_S1F_T6_T7_T9_mT8_S1H_bDpT10_ENKUlT_T0_E_clISt17integral_constantIbLb0EES1U_IbLb1EEEEDaS1Q_S1R_EUlS1Q_E_NS1_11comp_targetILNS1_3genE0ELNS1_11target_archE4294967295ELNS1_3gpuE0ELNS1_3repE0EEENS1_30default_config_static_selectorELNS0_4arch9wavefront6targetE1EEEvS13_
	.p2align	8
	.type	_ZN7rocprim17ROCPRIM_400000_NS6detail17trampoline_kernelINS0_13select_configILj256ELj13ELNS0_17block_load_methodE3ELS4_3ELS4_3ELNS0_20block_scan_algorithmE0ELj4294967295EEENS1_25partition_config_selectorILNS1_17partition_subalgoE4EjNS0_10empty_typeEbEEZZNS1_14partition_implILS8_4ELb0ES6_15HIP_vector_typeIjLj2EENS0_17counting_iteratorIjlEEPS9_SG_NS0_5tupleIJPjSI_NS0_16reverse_iteratorISI_EEEEENSH_IJSG_SG_SG_EEES9_SI_JZNS1_25segmented_radix_sort_implINS0_14default_configELb0EPK6__halfPSP_PKlPlN2at6native12_GLOBAL__N_18offset_tEEE10hipError_tPvRmT1_PNSt15iterator_traitsIS13_E10value_typeET2_T3_PNS14_IS19_E10value_typeET4_jRbjT5_S1F_jjP12ihipStream_tbEUljE_ZNSN_ISO_Lb0ESR_SS_SU_SV_SZ_EES10_S11_S12_S13_S17_S18_S19_S1C_S1D_jS1E_jS1F_S1F_jjS1H_bEUljE0_EEES10_S11_S12_S19_S1D_S1F_T6_T7_T9_mT8_S1H_bDpT10_ENKUlT_T0_E_clISt17integral_constantIbLb0EES1U_IbLb1EEEEDaS1Q_S1R_EUlS1Q_E_NS1_11comp_targetILNS1_3genE0ELNS1_11target_archE4294967295ELNS1_3gpuE0ELNS1_3repE0EEENS1_30default_config_static_selectorELNS0_4arch9wavefront6targetE1EEEvS13_,@function
_ZN7rocprim17ROCPRIM_400000_NS6detail17trampoline_kernelINS0_13select_configILj256ELj13ELNS0_17block_load_methodE3ELS4_3ELS4_3ELNS0_20block_scan_algorithmE0ELj4294967295EEENS1_25partition_config_selectorILNS1_17partition_subalgoE4EjNS0_10empty_typeEbEEZZNS1_14partition_implILS8_4ELb0ES6_15HIP_vector_typeIjLj2EENS0_17counting_iteratorIjlEEPS9_SG_NS0_5tupleIJPjSI_NS0_16reverse_iteratorISI_EEEEENSH_IJSG_SG_SG_EEES9_SI_JZNS1_25segmented_radix_sort_implINS0_14default_configELb0EPK6__halfPSP_PKlPlN2at6native12_GLOBAL__N_18offset_tEEE10hipError_tPvRmT1_PNSt15iterator_traitsIS13_E10value_typeET2_T3_PNS14_IS19_E10value_typeET4_jRbjT5_S1F_jjP12ihipStream_tbEUljE_ZNSN_ISO_Lb0ESR_SS_SU_SV_SZ_EES10_S11_S12_S13_S17_S18_S19_S1C_S1D_jS1E_jS1F_S1F_jjS1H_bEUljE0_EEES10_S11_S12_S19_S1D_S1F_T6_T7_T9_mT8_S1H_bDpT10_ENKUlT_T0_E_clISt17integral_constantIbLb0EES1U_IbLb1EEEEDaS1Q_S1R_EUlS1Q_E_NS1_11comp_targetILNS1_3genE0ELNS1_11target_archE4294967295ELNS1_3gpuE0ELNS1_3repE0EEENS1_30default_config_static_selectorELNS0_4arch9wavefront6targetE1EEEvS13_: ; @_ZN7rocprim17ROCPRIM_400000_NS6detail17trampoline_kernelINS0_13select_configILj256ELj13ELNS0_17block_load_methodE3ELS4_3ELS4_3ELNS0_20block_scan_algorithmE0ELj4294967295EEENS1_25partition_config_selectorILNS1_17partition_subalgoE4EjNS0_10empty_typeEbEEZZNS1_14partition_implILS8_4ELb0ES6_15HIP_vector_typeIjLj2EENS0_17counting_iteratorIjlEEPS9_SG_NS0_5tupleIJPjSI_NS0_16reverse_iteratorISI_EEEEENSH_IJSG_SG_SG_EEES9_SI_JZNS1_25segmented_radix_sort_implINS0_14default_configELb0EPK6__halfPSP_PKlPlN2at6native12_GLOBAL__N_18offset_tEEE10hipError_tPvRmT1_PNSt15iterator_traitsIS13_E10value_typeET2_T3_PNS14_IS19_E10value_typeET4_jRbjT5_S1F_jjP12ihipStream_tbEUljE_ZNSN_ISO_Lb0ESR_SS_SU_SV_SZ_EES10_S11_S12_S13_S17_S18_S19_S1C_S1D_jS1E_jS1F_S1F_jjS1H_bEUljE0_EEES10_S11_S12_S19_S1D_S1F_T6_T7_T9_mT8_S1H_bDpT10_ENKUlT_T0_E_clISt17integral_constantIbLb0EES1U_IbLb1EEEEDaS1Q_S1R_EUlS1Q_E_NS1_11comp_targetILNS1_3genE0ELNS1_11target_archE4294967295ELNS1_3gpuE0ELNS1_3repE0EEENS1_30default_config_static_selectorELNS0_4arch9wavefront6targetE1EEEvS13_
; %bb.0:
	.section	.rodata,"a",@progbits
	.p2align	6, 0x0
	.amdhsa_kernel _ZN7rocprim17ROCPRIM_400000_NS6detail17trampoline_kernelINS0_13select_configILj256ELj13ELNS0_17block_load_methodE3ELS4_3ELS4_3ELNS0_20block_scan_algorithmE0ELj4294967295EEENS1_25partition_config_selectorILNS1_17partition_subalgoE4EjNS0_10empty_typeEbEEZZNS1_14partition_implILS8_4ELb0ES6_15HIP_vector_typeIjLj2EENS0_17counting_iteratorIjlEEPS9_SG_NS0_5tupleIJPjSI_NS0_16reverse_iteratorISI_EEEEENSH_IJSG_SG_SG_EEES9_SI_JZNS1_25segmented_radix_sort_implINS0_14default_configELb0EPK6__halfPSP_PKlPlN2at6native12_GLOBAL__N_18offset_tEEE10hipError_tPvRmT1_PNSt15iterator_traitsIS13_E10value_typeET2_T3_PNS14_IS19_E10value_typeET4_jRbjT5_S1F_jjP12ihipStream_tbEUljE_ZNSN_ISO_Lb0ESR_SS_SU_SV_SZ_EES10_S11_S12_S13_S17_S18_S19_S1C_S1D_jS1E_jS1F_S1F_jjS1H_bEUljE0_EEES10_S11_S12_S19_S1D_S1F_T6_T7_T9_mT8_S1H_bDpT10_ENKUlT_T0_E_clISt17integral_constantIbLb0EES1U_IbLb1EEEEDaS1Q_S1R_EUlS1Q_E_NS1_11comp_targetILNS1_3genE0ELNS1_11target_archE4294967295ELNS1_3gpuE0ELNS1_3repE0EEENS1_30default_config_static_selectorELNS0_4arch9wavefront6targetE1EEEvS13_
		.amdhsa_group_segment_fixed_size 0
		.amdhsa_private_segment_fixed_size 0
		.amdhsa_kernarg_size 184
		.amdhsa_user_sgpr_count 6
		.amdhsa_user_sgpr_private_segment_buffer 1
		.amdhsa_user_sgpr_dispatch_ptr 0
		.amdhsa_user_sgpr_queue_ptr 0
		.amdhsa_user_sgpr_kernarg_segment_ptr 1
		.amdhsa_user_sgpr_dispatch_id 0
		.amdhsa_user_sgpr_flat_scratch_init 0
		.amdhsa_user_sgpr_private_segment_size 0
		.amdhsa_uses_dynamic_stack 0
		.amdhsa_system_sgpr_private_segment_wavefront_offset 0
		.amdhsa_system_sgpr_workgroup_id_x 1
		.amdhsa_system_sgpr_workgroup_id_y 0
		.amdhsa_system_sgpr_workgroup_id_z 0
		.amdhsa_system_sgpr_workgroup_info 0
		.amdhsa_system_vgpr_workitem_id 0
		.amdhsa_next_free_vgpr 1
		.amdhsa_next_free_sgpr 0
		.amdhsa_reserve_vcc 0
		.amdhsa_reserve_flat_scratch 0
		.amdhsa_float_round_mode_32 0
		.amdhsa_float_round_mode_16_64 0
		.amdhsa_float_denorm_mode_32 3
		.amdhsa_float_denorm_mode_16_64 3
		.amdhsa_dx10_clamp 1
		.amdhsa_ieee_mode 1
		.amdhsa_fp16_overflow 0
		.amdhsa_exception_fp_ieee_invalid_op 0
		.amdhsa_exception_fp_denorm_src 0
		.amdhsa_exception_fp_ieee_div_zero 0
		.amdhsa_exception_fp_ieee_overflow 0
		.amdhsa_exception_fp_ieee_underflow 0
		.amdhsa_exception_fp_ieee_inexact 0
		.amdhsa_exception_int_div_zero 0
	.end_amdhsa_kernel
	.section	.text._ZN7rocprim17ROCPRIM_400000_NS6detail17trampoline_kernelINS0_13select_configILj256ELj13ELNS0_17block_load_methodE3ELS4_3ELS4_3ELNS0_20block_scan_algorithmE0ELj4294967295EEENS1_25partition_config_selectorILNS1_17partition_subalgoE4EjNS0_10empty_typeEbEEZZNS1_14partition_implILS8_4ELb0ES6_15HIP_vector_typeIjLj2EENS0_17counting_iteratorIjlEEPS9_SG_NS0_5tupleIJPjSI_NS0_16reverse_iteratorISI_EEEEENSH_IJSG_SG_SG_EEES9_SI_JZNS1_25segmented_radix_sort_implINS0_14default_configELb0EPK6__halfPSP_PKlPlN2at6native12_GLOBAL__N_18offset_tEEE10hipError_tPvRmT1_PNSt15iterator_traitsIS13_E10value_typeET2_T3_PNS14_IS19_E10value_typeET4_jRbjT5_S1F_jjP12ihipStream_tbEUljE_ZNSN_ISO_Lb0ESR_SS_SU_SV_SZ_EES10_S11_S12_S13_S17_S18_S19_S1C_S1D_jS1E_jS1F_S1F_jjS1H_bEUljE0_EEES10_S11_S12_S19_S1D_S1F_T6_T7_T9_mT8_S1H_bDpT10_ENKUlT_T0_E_clISt17integral_constantIbLb0EES1U_IbLb1EEEEDaS1Q_S1R_EUlS1Q_E_NS1_11comp_targetILNS1_3genE0ELNS1_11target_archE4294967295ELNS1_3gpuE0ELNS1_3repE0EEENS1_30default_config_static_selectorELNS0_4arch9wavefront6targetE1EEEvS13_,"axG",@progbits,_ZN7rocprim17ROCPRIM_400000_NS6detail17trampoline_kernelINS0_13select_configILj256ELj13ELNS0_17block_load_methodE3ELS4_3ELS4_3ELNS0_20block_scan_algorithmE0ELj4294967295EEENS1_25partition_config_selectorILNS1_17partition_subalgoE4EjNS0_10empty_typeEbEEZZNS1_14partition_implILS8_4ELb0ES6_15HIP_vector_typeIjLj2EENS0_17counting_iteratorIjlEEPS9_SG_NS0_5tupleIJPjSI_NS0_16reverse_iteratorISI_EEEEENSH_IJSG_SG_SG_EEES9_SI_JZNS1_25segmented_radix_sort_implINS0_14default_configELb0EPK6__halfPSP_PKlPlN2at6native12_GLOBAL__N_18offset_tEEE10hipError_tPvRmT1_PNSt15iterator_traitsIS13_E10value_typeET2_T3_PNS14_IS19_E10value_typeET4_jRbjT5_S1F_jjP12ihipStream_tbEUljE_ZNSN_ISO_Lb0ESR_SS_SU_SV_SZ_EES10_S11_S12_S13_S17_S18_S19_S1C_S1D_jS1E_jS1F_S1F_jjS1H_bEUljE0_EEES10_S11_S12_S19_S1D_S1F_T6_T7_T9_mT8_S1H_bDpT10_ENKUlT_T0_E_clISt17integral_constantIbLb0EES1U_IbLb1EEEEDaS1Q_S1R_EUlS1Q_E_NS1_11comp_targetILNS1_3genE0ELNS1_11target_archE4294967295ELNS1_3gpuE0ELNS1_3repE0EEENS1_30default_config_static_selectorELNS0_4arch9wavefront6targetE1EEEvS13_,comdat
.Lfunc_end1802:
	.size	_ZN7rocprim17ROCPRIM_400000_NS6detail17trampoline_kernelINS0_13select_configILj256ELj13ELNS0_17block_load_methodE3ELS4_3ELS4_3ELNS0_20block_scan_algorithmE0ELj4294967295EEENS1_25partition_config_selectorILNS1_17partition_subalgoE4EjNS0_10empty_typeEbEEZZNS1_14partition_implILS8_4ELb0ES6_15HIP_vector_typeIjLj2EENS0_17counting_iteratorIjlEEPS9_SG_NS0_5tupleIJPjSI_NS0_16reverse_iteratorISI_EEEEENSH_IJSG_SG_SG_EEES9_SI_JZNS1_25segmented_radix_sort_implINS0_14default_configELb0EPK6__halfPSP_PKlPlN2at6native12_GLOBAL__N_18offset_tEEE10hipError_tPvRmT1_PNSt15iterator_traitsIS13_E10value_typeET2_T3_PNS14_IS19_E10value_typeET4_jRbjT5_S1F_jjP12ihipStream_tbEUljE_ZNSN_ISO_Lb0ESR_SS_SU_SV_SZ_EES10_S11_S12_S13_S17_S18_S19_S1C_S1D_jS1E_jS1F_S1F_jjS1H_bEUljE0_EEES10_S11_S12_S19_S1D_S1F_T6_T7_T9_mT8_S1H_bDpT10_ENKUlT_T0_E_clISt17integral_constantIbLb0EES1U_IbLb1EEEEDaS1Q_S1R_EUlS1Q_E_NS1_11comp_targetILNS1_3genE0ELNS1_11target_archE4294967295ELNS1_3gpuE0ELNS1_3repE0EEENS1_30default_config_static_selectorELNS0_4arch9wavefront6targetE1EEEvS13_, .Lfunc_end1802-_ZN7rocprim17ROCPRIM_400000_NS6detail17trampoline_kernelINS0_13select_configILj256ELj13ELNS0_17block_load_methodE3ELS4_3ELS4_3ELNS0_20block_scan_algorithmE0ELj4294967295EEENS1_25partition_config_selectorILNS1_17partition_subalgoE4EjNS0_10empty_typeEbEEZZNS1_14partition_implILS8_4ELb0ES6_15HIP_vector_typeIjLj2EENS0_17counting_iteratorIjlEEPS9_SG_NS0_5tupleIJPjSI_NS0_16reverse_iteratorISI_EEEEENSH_IJSG_SG_SG_EEES9_SI_JZNS1_25segmented_radix_sort_implINS0_14default_configELb0EPK6__halfPSP_PKlPlN2at6native12_GLOBAL__N_18offset_tEEE10hipError_tPvRmT1_PNSt15iterator_traitsIS13_E10value_typeET2_T3_PNS14_IS19_E10value_typeET4_jRbjT5_S1F_jjP12ihipStream_tbEUljE_ZNSN_ISO_Lb0ESR_SS_SU_SV_SZ_EES10_S11_S12_S13_S17_S18_S19_S1C_S1D_jS1E_jS1F_S1F_jjS1H_bEUljE0_EEES10_S11_S12_S19_S1D_S1F_T6_T7_T9_mT8_S1H_bDpT10_ENKUlT_T0_E_clISt17integral_constantIbLb0EES1U_IbLb1EEEEDaS1Q_S1R_EUlS1Q_E_NS1_11comp_targetILNS1_3genE0ELNS1_11target_archE4294967295ELNS1_3gpuE0ELNS1_3repE0EEENS1_30default_config_static_selectorELNS0_4arch9wavefront6targetE1EEEvS13_
                                        ; -- End function
	.set _ZN7rocprim17ROCPRIM_400000_NS6detail17trampoline_kernelINS0_13select_configILj256ELj13ELNS0_17block_load_methodE3ELS4_3ELS4_3ELNS0_20block_scan_algorithmE0ELj4294967295EEENS1_25partition_config_selectorILNS1_17partition_subalgoE4EjNS0_10empty_typeEbEEZZNS1_14partition_implILS8_4ELb0ES6_15HIP_vector_typeIjLj2EENS0_17counting_iteratorIjlEEPS9_SG_NS0_5tupleIJPjSI_NS0_16reverse_iteratorISI_EEEEENSH_IJSG_SG_SG_EEES9_SI_JZNS1_25segmented_radix_sort_implINS0_14default_configELb0EPK6__halfPSP_PKlPlN2at6native12_GLOBAL__N_18offset_tEEE10hipError_tPvRmT1_PNSt15iterator_traitsIS13_E10value_typeET2_T3_PNS14_IS19_E10value_typeET4_jRbjT5_S1F_jjP12ihipStream_tbEUljE_ZNSN_ISO_Lb0ESR_SS_SU_SV_SZ_EES10_S11_S12_S13_S17_S18_S19_S1C_S1D_jS1E_jS1F_S1F_jjS1H_bEUljE0_EEES10_S11_S12_S19_S1D_S1F_T6_T7_T9_mT8_S1H_bDpT10_ENKUlT_T0_E_clISt17integral_constantIbLb0EES1U_IbLb1EEEEDaS1Q_S1R_EUlS1Q_E_NS1_11comp_targetILNS1_3genE0ELNS1_11target_archE4294967295ELNS1_3gpuE0ELNS1_3repE0EEENS1_30default_config_static_selectorELNS0_4arch9wavefront6targetE1EEEvS13_.num_vgpr, 0
	.set _ZN7rocprim17ROCPRIM_400000_NS6detail17trampoline_kernelINS0_13select_configILj256ELj13ELNS0_17block_load_methodE3ELS4_3ELS4_3ELNS0_20block_scan_algorithmE0ELj4294967295EEENS1_25partition_config_selectorILNS1_17partition_subalgoE4EjNS0_10empty_typeEbEEZZNS1_14partition_implILS8_4ELb0ES6_15HIP_vector_typeIjLj2EENS0_17counting_iteratorIjlEEPS9_SG_NS0_5tupleIJPjSI_NS0_16reverse_iteratorISI_EEEEENSH_IJSG_SG_SG_EEES9_SI_JZNS1_25segmented_radix_sort_implINS0_14default_configELb0EPK6__halfPSP_PKlPlN2at6native12_GLOBAL__N_18offset_tEEE10hipError_tPvRmT1_PNSt15iterator_traitsIS13_E10value_typeET2_T3_PNS14_IS19_E10value_typeET4_jRbjT5_S1F_jjP12ihipStream_tbEUljE_ZNSN_ISO_Lb0ESR_SS_SU_SV_SZ_EES10_S11_S12_S13_S17_S18_S19_S1C_S1D_jS1E_jS1F_S1F_jjS1H_bEUljE0_EEES10_S11_S12_S19_S1D_S1F_T6_T7_T9_mT8_S1H_bDpT10_ENKUlT_T0_E_clISt17integral_constantIbLb0EES1U_IbLb1EEEEDaS1Q_S1R_EUlS1Q_E_NS1_11comp_targetILNS1_3genE0ELNS1_11target_archE4294967295ELNS1_3gpuE0ELNS1_3repE0EEENS1_30default_config_static_selectorELNS0_4arch9wavefront6targetE1EEEvS13_.num_agpr, 0
	.set _ZN7rocprim17ROCPRIM_400000_NS6detail17trampoline_kernelINS0_13select_configILj256ELj13ELNS0_17block_load_methodE3ELS4_3ELS4_3ELNS0_20block_scan_algorithmE0ELj4294967295EEENS1_25partition_config_selectorILNS1_17partition_subalgoE4EjNS0_10empty_typeEbEEZZNS1_14partition_implILS8_4ELb0ES6_15HIP_vector_typeIjLj2EENS0_17counting_iteratorIjlEEPS9_SG_NS0_5tupleIJPjSI_NS0_16reverse_iteratorISI_EEEEENSH_IJSG_SG_SG_EEES9_SI_JZNS1_25segmented_radix_sort_implINS0_14default_configELb0EPK6__halfPSP_PKlPlN2at6native12_GLOBAL__N_18offset_tEEE10hipError_tPvRmT1_PNSt15iterator_traitsIS13_E10value_typeET2_T3_PNS14_IS19_E10value_typeET4_jRbjT5_S1F_jjP12ihipStream_tbEUljE_ZNSN_ISO_Lb0ESR_SS_SU_SV_SZ_EES10_S11_S12_S13_S17_S18_S19_S1C_S1D_jS1E_jS1F_S1F_jjS1H_bEUljE0_EEES10_S11_S12_S19_S1D_S1F_T6_T7_T9_mT8_S1H_bDpT10_ENKUlT_T0_E_clISt17integral_constantIbLb0EES1U_IbLb1EEEEDaS1Q_S1R_EUlS1Q_E_NS1_11comp_targetILNS1_3genE0ELNS1_11target_archE4294967295ELNS1_3gpuE0ELNS1_3repE0EEENS1_30default_config_static_selectorELNS0_4arch9wavefront6targetE1EEEvS13_.numbered_sgpr, 0
	.set _ZN7rocprim17ROCPRIM_400000_NS6detail17trampoline_kernelINS0_13select_configILj256ELj13ELNS0_17block_load_methodE3ELS4_3ELS4_3ELNS0_20block_scan_algorithmE0ELj4294967295EEENS1_25partition_config_selectorILNS1_17partition_subalgoE4EjNS0_10empty_typeEbEEZZNS1_14partition_implILS8_4ELb0ES6_15HIP_vector_typeIjLj2EENS0_17counting_iteratorIjlEEPS9_SG_NS0_5tupleIJPjSI_NS0_16reverse_iteratorISI_EEEEENSH_IJSG_SG_SG_EEES9_SI_JZNS1_25segmented_radix_sort_implINS0_14default_configELb0EPK6__halfPSP_PKlPlN2at6native12_GLOBAL__N_18offset_tEEE10hipError_tPvRmT1_PNSt15iterator_traitsIS13_E10value_typeET2_T3_PNS14_IS19_E10value_typeET4_jRbjT5_S1F_jjP12ihipStream_tbEUljE_ZNSN_ISO_Lb0ESR_SS_SU_SV_SZ_EES10_S11_S12_S13_S17_S18_S19_S1C_S1D_jS1E_jS1F_S1F_jjS1H_bEUljE0_EEES10_S11_S12_S19_S1D_S1F_T6_T7_T9_mT8_S1H_bDpT10_ENKUlT_T0_E_clISt17integral_constantIbLb0EES1U_IbLb1EEEEDaS1Q_S1R_EUlS1Q_E_NS1_11comp_targetILNS1_3genE0ELNS1_11target_archE4294967295ELNS1_3gpuE0ELNS1_3repE0EEENS1_30default_config_static_selectorELNS0_4arch9wavefront6targetE1EEEvS13_.num_named_barrier, 0
	.set _ZN7rocprim17ROCPRIM_400000_NS6detail17trampoline_kernelINS0_13select_configILj256ELj13ELNS0_17block_load_methodE3ELS4_3ELS4_3ELNS0_20block_scan_algorithmE0ELj4294967295EEENS1_25partition_config_selectorILNS1_17partition_subalgoE4EjNS0_10empty_typeEbEEZZNS1_14partition_implILS8_4ELb0ES6_15HIP_vector_typeIjLj2EENS0_17counting_iteratorIjlEEPS9_SG_NS0_5tupleIJPjSI_NS0_16reverse_iteratorISI_EEEEENSH_IJSG_SG_SG_EEES9_SI_JZNS1_25segmented_radix_sort_implINS0_14default_configELb0EPK6__halfPSP_PKlPlN2at6native12_GLOBAL__N_18offset_tEEE10hipError_tPvRmT1_PNSt15iterator_traitsIS13_E10value_typeET2_T3_PNS14_IS19_E10value_typeET4_jRbjT5_S1F_jjP12ihipStream_tbEUljE_ZNSN_ISO_Lb0ESR_SS_SU_SV_SZ_EES10_S11_S12_S13_S17_S18_S19_S1C_S1D_jS1E_jS1F_S1F_jjS1H_bEUljE0_EEES10_S11_S12_S19_S1D_S1F_T6_T7_T9_mT8_S1H_bDpT10_ENKUlT_T0_E_clISt17integral_constantIbLb0EES1U_IbLb1EEEEDaS1Q_S1R_EUlS1Q_E_NS1_11comp_targetILNS1_3genE0ELNS1_11target_archE4294967295ELNS1_3gpuE0ELNS1_3repE0EEENS1_30default_config_static_selectorELNS0_4arch9wavefront6targetE1EEEvS13_.private_seg_size, 0
	.set _ZN7rocprim17ROCPRIM_400000_NS6detail17trampoline_kernelINS0_13select_configILj256ELj13ELNS0_17block_load_methodE3ELS4_3ELS4_3ELNS0_20block_scan_algorithmE0ELj4294967295EEENS1_25partition_config_selectorILNS1_17partition_subalgoE4EjNS0_10empty_typeEbEEZZNS1_14partition_implILS8_4ELb0ES6_15HIP_vector_typeIjLj2EENS0_17counting_iteratorIjlEEPS9_SG_NS0_5tupleIJPjSI_NS0_16reverse_iteratorISI_EEEEENSH_IJSG_SG_SG_EEES9_SI_JZNS1_25segmented_radix_sort_implINS0_14default_configELb0EPK6__halfPSP_PKlPlN2at6native12_GLOBAL__N_18offset_tEEE10hipError_tPvRmT1_PNSt15iterator_traitsIS13_E10value_typeET2_T3_PNS14_IS19_E10value_typeET4_jRbjT5_S1F_jjP12ihipStream_tbEUljE_ZNSN_ISO_Lb0ESR_SS_SU_SV_SZ_EES10_S11_S12_S13_S17_S18_S19_S1C_S1D_jS1E_jS1F_S1F_jjS1H_bEUljE0_EEES10_S11_S12_S19_S1D_S1F_T6_T7_T9_mT8_S1H_bDpT10_ENKUlT_T0_E_clISt17integral_constantIbLb0EES1U_IbLb1EEEEDaS1Q_S1R_EUlS1Q_E_NS1_11comp_targetILNS1_3genE0ELNS1_11target_archE4294967295ELNS1_3gpuE0ELNS1_3repE0EEENS1_30default_config_static_selectorELNS0_4arch9wavefront6targetE1EEEvS13_.uses_vcc, 0
	.set _ZN7rocprim17ROCPRIM_400000_NS6detail17trampoline_kernelINS0_13select_configILj256ELj13ELNS0_17block_load_methodE3ELS4_3ELS4_3ELNS0_20block_scan_algorithmE0ELj4294967295EEENS1_25partition_config_selectorILNS1_17partition_subalgoE4EjNS0_10empty_typeEbEEZZNS1_14partition_implILS8_4ELb0ES6_15HIP_vector_typeIjLj2EENS0_17counting_iteratorIjlEEPS9_SG_NS0_5tupleIJPjSI_NS0_16reverse_iteratorISI_EEEEENSH_IJSG_SG_SG_EEES9_SI_JZNS1_25segmented_radix_sort_implINS0_14default_configELb0EPK6__halfPSP_PKlPlN2at6native12_GLOBAL__N_18offset_tEEE10hipError_tPvRmT1_PNSt15iterator_traitsIS13_E10value_typeET2_T3_PNS14_IS19_E10value_typeET4_jRbjT5_S1F_jjP12ihipStream_tbEUljE_ZNSN_ISO_Lb0ESR_SS_SU_SV_SZ_EES10_S11_S12_S13_S17_S18_S19_S1C_S1D_jS1E_jS1F_S1F_jjS1H_bEUljE0_EEES10_S11_S12_S19_S1D_S1F_T6_T7_T9_mT8_S1H_bDpT10_ENKUlT_T0_E_clISt17integral_constantIbLb0EES1U_IbLb1EEEEDaS1Q_S1R_EUlS1Q_E_NS1_11comp_targetILNS1_3genE0ELNS1_11target_archE4294967295ELNS1_3gpuE0ELNS1_3repE0EEENS1_30default_config_static_selectorELNS0_4arch9wavefront6targetE1EEEvS13_.uses_flat_scratch, 0
	.set _ZN7rocprim17ROCPRIM_400000_NS6detail17trampoline_kernelINS0_13select_configILj256ELj13ELNS0_17block_load_methodE3ELS4_3ELS4_3ELNS0_20block_scan_algorithmE0ELj4294967295EEENS1_25partition_config_selectorILNS1_17partition_subalgoE4EjNS0_10empty_typeEbEEZZNS1_14partition_implILS8_4ELb0ES6_15HIP_vector_typeIjLj2EENS0_17counting_iteratorIjlEEPS9_SG_NS0_5tupleIJPjSI_NS0_16reverse_iteratorISI_EEEEENSH_IJSG_SG_SG_EEES9_SI_JZNS1_25segmented_radix_sort_implINS0_14default_configELb0EPK6__halfPSP_PKlPlN2at6native12_GLOBAL__N_18offset_tEEE10hipError_tPvRmT1_PNSt15iterator_traitsIS13_E10value_typeET2_T3_PNS14_IS19_E10value_typeET4_jRbjT5_S1F_jjP12ihipStream_tbEUljE_ZNSN_ISO_Lb0ESR_SS_SU_SV_SZ_EES10_S11_S12_S13_S17_S18_S19_S1C_S1D_jS1E_jS1F_S1F_jjS1H_bEUljE0_EEES10_S11_S12_S19_S1D_S1F_T6_T7_T9_mT8_S1H_bDpT10_ENKUlT_T0_E_clISt17integral_constantIbLb0EES1U_IbLb1EEEEDaS1Q_S1R_EUlS1Q_E_NS1_11comp_targetILNS1_3genE0ELNS1_11target_archE4294967295ELNS1_3gpuE0ELNS1_3repE0EEENS1_30default_config_static_selectorELNS0_4arch9wavefront6targetE1EEEvS13_.has_dyn_sized_stack, 0
	.set _ZN7rocprim17ROCPRIM_400000_NS6detail17trampoline_kernelINS0_13select_configILj256ELj13ELNS0_17block_load_methodE3ELS4_3ELS4_3ELNS0_20block_scan_algorithmE0ELj4294967295EEENS1_25partition_config_selectorILNS1_17partition_subalgoE4EjNS0_10empty_typeEbEEZZNS1_14partition_implILS8_4ELb0ES6_15HIP_vector_typeIjLj2EENS0_17counting_iteratorIjlEEPS9_SG_NS0_5tupleIJPjSI_NS0_16reverse_iteratorISI_EEEEENSH_IJSG_SG_SG_EEES9_SI_JZNS1_25segmented_radix_sort_implINS0_14default_configELb0EPK6__halfPSP_PKlPlN2at6native12_GLOBAL__N_18offset_tEEE10hipError_tPvRmT1_PNSt15iterator_traitsIS13_E10value_typeET2_T3_PNS14_IS19_E10value_typeET4_jRbjT5_S1F_jjP12ihipStream_tbEUljE_ZNSN_ISO_Lb0ESR_SS_SU_SV_SZ_EES10_S11_S12_S13_S17_S18_S19_S1C_S1D_jS1E_jS1F_S1F_jjS1H_bEUljE0_EEES10_S11_S12_S19_S1D_S1F_T6_T7_T9_mT8_S1H_bDpT10_ENKUlT_T0_E_clISt17integral_constantIbLb0EES1U_IbLb1EEEEDaS1Q_S1R_EUlS1Q_E_NS1_11comp_targetILNS1_3genE0ELNS1_11target_archE4294967295ELNS1_3gpuE0ELNS1_3repE0EEENS1_30default_config_static_selectorELNS0_4arch9wavefront6targetE1EEEvS13_.has_recursion, 0
	.set _ZN7rocprim17ROCPRIM_400000_NS6detail17trampoline_kernelINS0_13select_configILj256ELj13ELNS0_17block_load_methodE3ELS4_3ELS4_3ELNS0_20block_scan_algorithmE0ELj4294967295EEENS1_25partition_config_selectorILNS1_17partition_subalgoE4EjNS0_10empty_typeEbEEZZNS1_14partition_implILS8_4ELb0ES6_15HIP_vector_typeIjLj2EENS0_17counting_iteratorIjlEEPS9_SG_NS0_5tupleIJPjSI_NS0_16reverse_iteratorISI_EEEEENSH_IJSG_SG_SG_EEES9_SI_JZNS1_25segmented_radix_sort_implINS0_14default_configELb0EPK6__halfPSP_PKlPlN2at6native12_GLOBAL__N_18offset_tEEE10hipError_tPvRmT1_PNSt15iterator_traitsIS13_E10value_typeET2_T3_PNS14_IS19_E10value_typeET4_jRbjT5_S1F_jjP12ihipStream_tbEUljE_ZNSN_ISO_Lb0ESR_SS_SU_SV_SZ_EES10_S11_S12_S13_S17_S18_S19_S1C_S1D_jS1E_jS1F_S1F_jjS1H_bEUljE0_EEES10_S11_S12_S19_S1D_S1F_T6_T7_T9_mT8_S1H_bDpT10_ENKUlT_T0_E_clISt17integral_constantIbLb0EES1U_IbLb1EEEEDaS1Q_S1R_EUlS1Q_E_NS1_11comp_targetILNS1_3genE0ELNS1_11target_archE4294967295ELNS1_3gpuE0ELNS1_3repE0EEENS1_30default_config_static_selectorELNS0_4arch9wavefront6targetE1EEEvS13_.has_indirect_call, 0
	.section	.AMDGPU.csdata,"",@progbits
; Kernel info:
; codeLenInByte = 0
; TotalNumSgprs: 4
; NumVgprs: 0
; ScratchSize: 0
; MemoryBound: 0
; FloatMode: 240
; IeeeMode: 1
; LDSByteSize: 0 bytes/workgroup (compile time only)
; SGPRBlocks: 0
; VGPRBlocks: 0
; NumSGPRsForWavesPerEU: 4
; NumVGPRsForWavesPerEU: 1
; Occupancy: 10
; WaveLimiterHint : 0
; COMPUTE_PGM_RSRC2:SCRATCH_EN: 0
; COMPUTE_PGM_RSRC2:USER_SGPR: 6
; COMPUTE_PGM_RSRC2:TRAP_HANDLER: 0
; COMPUTE_PGM_RSRC2:TGID_X_EN: 1
; COMPUTE_PGM_RSRC2:TGID_Y_EN: 0
; COMPUTE_PGM_RSRC2:TGID_Z_EN: 0
; COMPUTE_PGM_RSRC2:TIDIG_COMP_CNT: 0
	.section	.text._ZN7rocprim17ROCPRIM_400000_NS6detail17trampoline_kernelINS0_13select_configILj256ELj13ELNS0_17block_load_methodE3ELS4_3ELS4_3ELNS0_20block_scan_algorithmE0ELj4294967295EEENS1_25partition_config_selectorILNS1_17partition_subalgoE4EjNS0_10empty_typeEbEEZZNS1_14partition_implILS8_4ELb0ES6_15HIP_vector_typeIjLj2EENS0_17counting_iteratorIjlEEPS9_SG_NS0_5tupleIJPjSI_NS0_16reverse_iteratorISI_EEEEENSH_IJSG_SG_SG_EEES9_SI_JZNS1_25segmented_radix_sort_implINS0_14default_configELb0EPK6__halfPSP_PKlPlN2at6native12_GLOBAL__N_18offset_tEEE10hipError_tPvRmT1_PNSt15iterator_traitsIS13_E10value_typeET2_T3_PNS14_IS19_E10value_typeET4_jRbjT5_S1F_jjP12ihipStream_tbEUljE_ZNSN_ISO_Lb0ESR_SS_SU_SV_SZ_EES10_S11_S12_S13_S17_S18_S19_S1C_S1D_jS1E_jS1F_S1F_jjS1H_bEUljE0_EEES10_S11_S12_S19_S1D_S1F_T6_T7_T9_mT8_S1H_bDpT10_ENKUlT_T0_E_clISt17integral_constantIbLb0EES1U_IbLb1EEEEDaS1Q_S1R_EUlS1Q_E_NS1_11comp_targetILNS1_3genE5ELNS1_11target_archE942ELNS1_3gpuE9ELNS1_3repE0EEENS1_30default_config_static_selectorELNS0_4arch9wavefront6targetE1EEEvS13_,"axG",@progbits,_ZN7rocprim17ROCPRIM_400000_NS6detail17trampoline_kernelINS0_13select_configILj256ELj13ELNS0_17block_load_methodE3ELS4_3ELS4_3ELNS0_20block_scan_algorithmE0ELj4294967295EEENS1_25partition_config_selectorILNS1_17partition_subalgoE4EjNS0_10empty_typeEbEEZZNS1_14partition_implILS8_4ELb0ES6_15HIP_vector_typeIjLj2EENS0_17counting_iteratorIjlEEPS9_SG_NS0_5tupleIJPjSI_NS0_16reverse_iteratorISI_EEEEENSH_IJSG_SG_SG_EEES9_SI_JZNS1_25segmented_radix_sort_implINS0_14default_configELb0EPK6__halfPSP_PKlPlN2at6native12_GLOBAL__N_18offset_tEEE10hipError_tPvRmT1_PNSt15iterator_traitsIS13_E10value_typeET2_T3_PNS14_IS19_E10value_typeET4_jRbjT5_S1F_jjP12ihipStream_tbEUljE_ZNSN_ISO_Lb0ESR_SS_SU_SV_SZ_EES10_S11_S12_S13_S17_S18_S19_S1C_S1D_jS1E_jS1F_S1F_jjS1H_bEUljE0_EEES10_S11_S12_S19_S1D_S1F_T6_T7_T9_mT8_S1H_bDpT10_ENKUlT_T0_E_clISt17integral_constantIbLb0EES1U_IbLb1EEEEDaS1Q_S1R_EUlS1Q_E_NS1_11comp_targetILNS1_3genE5ELNS1_11target_archE942ELNS1_3gpuE9ELNS1_3repE0EEENS1_30default_config_static_selectorELNS0_4arch9wavefront6targetE1EEEvS13_,comdat
	.globl	_ZN7rocprim17ROCPRIM_400000_NS6detail17trampoline_kernelINS0_13select_configILj256ELj13ELNS0_17block_load_methodE3ELS4_3ELS4_3ELNS0_20block_scan_algorithmE0ELj4294967295EEENS1_25partition_config_selectorILNS1_17partition_subalgoE4EjNS0_10empty_typeEbEEZZNS1_14partition_implILS8_4ELb0ES6_15HIP_vector_typeIjLj2EENS0_17counting_iteratorIjlEEPS9_SG_NS0_5tupleIJPjSI_NS0_16reverse_iteratorISI_EEEEENSH_IJSG_SG_SG_EEES9_SI_JZNS1_25segmented_radix_sort_implINS0_14default_configELb0EPK6__halfPSP_PKlPlN2at6native12_GLOBAL__N_18offset_tEEE10hipError_tPvRmT1_PNSt15iterator_traitsIS13_E10value_typeET2_T3_PNS14_IS19_E10value_typeET4_jRbjT5_S1F_jjP12ihipStream_tbEUljE_ZNSN_ISO_Lb0ESR_SS_SU_SV_SZ_EES10_S11_S12_S13_S17_S18_S19_S1C_S1D_jS1E_jS1F_S1F_jjS1H_bEUljE0_EEES10_S11_S12_S19_S1D_S1F_T6_T7_T9_mT8_S1H_bDpT10_ENKUlT_T0_E_clISt17integral_constantIbLb0EES1U_IbLb1EEEEDaS1Q_S1R_EUlS1Q_E_NS1_11comp_targetILNS1_3genE5ELNS1_11target_archE942ELNS1_3gpuE9ELNS1_3repE0EEENS1_30default_config_static_selectorELNS0_4arch9wavefront6targetE1EEEvS13_ ; -- Begin function _ZN7rocprim17ROCPRIM_400000_NS6detail17trampoline_kernelINS0_13select_configILj256ELj13ELNS0_17block_load_methodE3ELS4_3ELS4_3ELNS0_20block_scan_algorithmE0ELj4294967295EEENS1_25partition_config_selectorILNS1_17partition_subalgoE4EjNS0_10empty_typeEbEEZZNS1_14partition_implILS8_4ELb0ES6_15HIP_vector_typeIjLj2EENS0_17counting_iteratorIjlEEPS9_SG_NS0_5tupleIJPjSI_NS0_16reverse_iteratorISI_EEEEENSH_IJSG_SG_SG_EEES9_SI_JZNS1_25segmented_radix_sort_implINS0_14default_configELb0EPK6__halfPSP_PKlPlN2at6native12_GLOBAL__N_18offset_tEEE10hipError_tPvRmT1_PNSt15iterator_traitsIS13_E10value_typeET2_T3_PNS14_IS19_E10value_typeET4_jRbjT5_S1F_jjP12ihipStream_tbEUljE_ZNSN_ISO_Lb0ESR_SS_SU_SV_SZ_EES10_S11_S12_S13_S17_S18_S19_S1C_S1D_jS1E_jS1F_S1F_jjS1H_bEUljE0_EEES10_S11_S12_S19_S1D_S1F_T6_T7_T9_mT8_S1H_bDpT10_ENKUlT_T0_E_clISt17integral_constantIbLb0EES1U_IbLb1EEEEDaS1Q_S1R_EUlS1Q_E_NS1_11comp_targetILNS1_3genE5ELNS1_11target_archE942ELNS1_3gpuE9ELNS1_3repE0EEENS1_30default_config_static_selectorELNS0_4arch9wavefront6targetE1EEEvS13_
	.p2align	8
	.type	_ZN7rocprim17ROCPRIM_400000_NS6detail17trampoline_kernelINS0_13select_configILj256ELj13ELNS0_17block_load_methodE3ELS4_3ELS4_3ELNS0_20block_scan_algorithmE0ELj4294967295EEENS1_25partition_config_selectorILNS1_17partition_subalgoE4EjNS0_10empty_typeEbEEZZNS1_14partition_implILS8_4ELb0ES6_15HIP_vector_typeIjLj2EENS0_17counting_iteratorIjlEEPS9_SG_NS0_5tupleIJPjSI_NS0_16reverse_iteratorISI_EEEEENSH_IJSG_SG_SG_EEES9_SI_JZNS1_25segmented_radix_sort_implINS0_14default_configELb0EPK6__halfPSP_PKlPlN2at6native12_GLOBAL__N_18offset_tEEE10hipError_tPvRmT1_PNSt15iterator_traitsIS13_E10value_typeET2_T3_PNS14_IS19_E10value_typeET4_jRbjT5_S1F_jjP12ihipStream_tbEUljE_ZNSN_ISO_Lb0ESR_SS_SU_SV_SZ_EES10_S11_S12_S13_S17_S18_S19_S1C_S1D_jS1E_jS1F_S1F_jjS1H_bEUljE0_EEES10_S11_S12_S19_S1D_S1F_T6_T7_T9_mT8_S1H_bDpT10_ENKUlT_T0_E_clISt17integral_constantIbLb0EES1U_IbLb1EEEEDaS1Q_S1R_EUlS1Q_E_NS1_11comp_targetILNS1_3genE5ELNS1_11target_archE942ELNS1_3gpuE9ELNS1_3repE0EEENS1_30default_config_static_selectorELNS0_4arch9wavefront6targetE1EEEvS13_,@function
_ZN7rocprim17ROCPRIM_400000_NS6detail17trampoline_kernelINS0_13select_configILj256ELj13ELNS0_17block_load_methodE3ELS4_3ELS4_3ELNS0_20block_scan_algorithmE0ELj4294967295EEENS1_25partition_config_selectorILNS1_17partition_subalgoE4EjNS0_10empty_typeEbEEZZNS1_14partition_implILS8_4ELb0ES6_15HIP_vector_typeIjLj2EENS0_17counting_iteratorIjlEEPS9_SG_NS0_5tupleIJPjSI_NS0_16reverse_iteratorISI_EEEEENSH_IJSG_SG_SG_EEES9_SI_JZNS1_25segmented_radix_sort_implINS0_14default_configELb0EPK6__halfPSP_PKlPlN2at6native12_GLOBAL__N_18offset_tEEE10hipError_tPvRmT1_PNSt15iterator_traitsIS13_E10value_typeET2_T3_PNS14_IS19_E10value_typeET4_jRbjT5_S1F_jjP12ihipStream_tbEUljE_ZNSN_ISO_Lb0ESR_SS_SU_SV_SZ_EES10_S11_S12_S13_S17_S18_S19_S1C_S1D_jS1E_jS1F_S1F_jjS1H_bEUljE0_EEES10_S11_S12_S19_S1D_S1F_T6_T7_T9_mT8_S1H_bDpT10_ENKUlT_T0_E_clISt17integral_constantIbLb0EES1U_IbLb1EEEEDaS1Q_S1R_EUlS1Q_E_NS1_11comp_targetILNS1_3genE5ELNS1_11target_archE942ELNS1_3gpuE9ELNS1_3repE0EEENS1_30default_config_static_selectorELNS0_4arch9wavefront6targetE1EEEvS13_: ; @_ZN7rocprim17ROCPRIM_400000_NS6detail17trampoline_kernelINS0_13select_configILj256ELj13ELNS0_17block_load_methodE3ELS4_3ELS4_3ELNS0_20block_scan_algorithmE0ELj4294967295EEENS1_25partition_config_selectorILNS1_17partition_subalgoE4EjNS0_10empty_typeEbEEZZNS1_14partition_implILS8_4ELb0ES6_15HIP_vector_typeIjLj2EENS0_17counting_iteratorIjlEEPS9_SG_NS0_5tupleIJPjSI_NS0_16reverse_iteratorISI_EEEEENSH_IJSG_SG_SG_EEES9_SI_JZNS1_25segmented_radix_sort_implINS0_14default_configELb0EPK6__halfPSP_PKlPlN2at6native12_GLOBAL__N_18offset_tEEE10hipError_tPvRmT1_PNSt15iterator_traitsIS13_E10value_typeET2_T3_PNS14_IS19_E10value_typeET4_jRbjT5_S1F_jjP12ihipStream_tbEUljE_ZNSN_ISO_Lb0ESR_SS_SU_SV_SZ_EES10_S11_S12_S13_S17_S18_S19_S1C_S1D_jS1E_jS1F_S1F_jjS1H_bEUljE0_EEES10_S11_S12_S19_S1D_S1F_T6_T7_T9_mT8_S1H_bDpT10_ENKUlT_T0_E_clISt17integral_constantIbLb0EES1U_IbLb1EEEEDaS1Q_S1R_EUlS1Q_E_NS1_11comp_targetILNS1_3genE5ELNS1_11target_archE942ELNS1_3gpuE9ELNS1_3repE0EEENS1_30default_config_static_selectorELNS0_4arch9wavefront6targetE1EEEvS13_
; %bb.0:
	.section	.rodata,"a",@progbits
	.p2align	6, 0x0
	.amdhsa_kernel _ZN7rocprim17ROCPRIM_400000_NS6detail17trampoline_kernelINS0_13select_configILj256ELj13ELNS0_17block_load_methodE3ELS4_3ELS4_3ELNS0_20block_scan_algorithmE0ELj4294967295EEENS1_25partition_config_selectorILNS1_17partition_subalgoE4EjNS0_10empty_typeEbEEZZNS1_14partition_implILS8_4ELb0ES6_15HIP_vector_typeIjLj2EENS0_17counting_iteratorIjlEEPS9_SG_NS0_5tupleIJPjSI_NS0_16reverse_iteratorISI_EEEEENSH_IJSG_SG_SG_EEES9_SI_JZNS1_25segmented_radix_sort_implINS0_14default_configELb0EPK6__halfPSP_PKlPlN2at6native12_GLOBAL__N_18offset_tEEE10hipError_tPvRmT1_PNSt15iterator_traitsIS13_E10value_typeET2_T3_PNS14_IS19_E10value_typeET4_jRbjT5_S1F_jjP12ihipStream_tbEUljE_ZNSN_ISO_Lb0ESR_SS_SU_SV_SZ_EES10_S11_S12_S13_S17_S18_S19_S1C_S1D_jS1E_jS1F_S1F_jjS1H_bEUljE0_EEES10_S11_S12_S19_S1D_S1F_T6_T7_T9_mT8_S1H_bDpT10_ENKUlT_T0_E_clISt17integral_constantIbLb0EES1U_IbLb1EEEEDaS1Q_S1R_EUlS1Q_E_NS1_11comp_targetILNS1_3genE5ELNS1_11target_archE942ELNS1_3gpuE9ELNS1_3repE0EEENS1_30default_config_static_selectorELNS0_4arch9wavefront6targetE1EEEvS13_
		.amdhsa_group_segment_fixed_size 0
		.amdhsa_private_segment_fixed_size 0
		.amdhsa_kernarg_size 184
		.amdhsa_user_sgpr_count 6
		.amdhsa_user_sgpr_private_segment_buffer 1
		.amdhsa_user_sgpr_dispatch_ptr 0
		.amdhsa_user_sgpr_queue_ptr 0
		.amdhsa_user_sgpr_kernarg_segment_ptr 1
		.amdhsa_user_sgpr_dispatch_id 0
		.amdhsa_user_sgpr_flat_scratch_init 0
		.amdhsa_user_sgpr_private_segment_size 0
		.amdhsa_uses_dynamic_stack 0
		.amdhsa_system_sgpr_private_segment_wavefront_offset 0
		.amdhsa_system_sgpr_workgroup_id_x 1
		.amdhsa_system_sgpr_workgroup_id_y 0
		.amdhsa_system_sgpr_workgroup_id_z 0
		.amdhsa_system_sgpr_workgroup_info 0
		.amdhsa_system_vgpr_workitem_id 0
		.amdhsa_next_free_vgpr 1
		.amdhsa_next_free_sgpr 0
		.amdhsa_reserve_vcc 0
		.amdhsa_reserve_flat_scratch 0
		.amdhsa_float_round_mode_32 0
		.amdhsa_float_round_mode_16_64 0
		.amdhsa_float_denorm_mode_32 3
		.amdhsa_float_denorm_mode_16_64 3
		.amdhsa_dx10_clamp 1
		.amdhsa_ieee_mode 1
		.amdhsa_fp16_overflow 0
		.amdhsa_exception_fp_ieee_invalid_op 0
		.amdhsa_exception_fp_denorm_src 0
		.amdhsa_exception_fp_ieee_div_zero 0
		.amdhsa_exception_fp_ieee_overflow 0
		.amdhsa_exception_fp_ieee_underflow 0
		.amdhsa_exception_fp_ieee_inexact 0
		.amdhsa_exception_int_div_zero 0
	.end_amdhsa_kernel
	.section	.text._ZN7rocprim17ROCPRIM_400000_NS6detail17trampoline_kernelINS0_13select_configILj256ELj13ELNS0_17block_load_methodE3ELS4_3ELS4_3ELNS0_20block_scan_algorithmE0ELj4294967295EEENS1_25partition_config_selectorILNS1_17partition_subalgoE4EjNS0_10empty_typeEbEEZZNS1_14partition_implILS8_4ELb0ES6_15HIP_vector_typeIjLj2EENS0_17counting_iteratorIjlEEPS9_SG_NS0_5tupleIJPjSI_NS0_16reverse_iteratorISI_EEEEENSH_IJSG_SG_SG_EEES9_SI_JZNS1_25segmented_radix_sort_implINS0_14default_configELb0EPK6__halfPSP_PKlPlN2at6native12_GLOBAL__N_18offset_tEEE10hipError_tPvRmT1_PNSt15iterator_traitsIS13_E10value_typeET2_T3_PNS14_IS19_E10value_typeET4_jRbjT5_S1F_jjP12ihipStream_tbEUljE_ZNSN_ISO_Lb0ESR_SS_SU_SV_SZ_EES10_S11_S12_S13_S17_S18_S19_S1C_S1D_jS1E_jS1F_S1F_jjS1H_bEUljE0_EEES10_S11_S12_S19_S1D_S1F_T6_T7_T9_mT8_S1H_bDpT10_ENKUlT_T0_E_clISt17integral_constantIbLb0EES1U_IbLb1EEEEDaS1Q_S1R_EUlS1Q_E_NS1_11comp_targetILNS1_3genE5ELNS1_11target_archE942ELNS1_3gpuE9ELNS1_3repE0EEENS1_30default_config_static_selectorELNS0_4arch9wavefront6targetE1EEEvS13_,"axG",@progbits,_ZN7rocprim17ROCPRIM_400000_NS6detail17trampoline_kernelINS0_13select_configILj256ELj13ELNS0_17block_load_methodE3ELS4_3ELS4_3ELNS0_20block_scan_algorithmE0ELj4294967295EEENS1_25partition_config_selectorILNS1_17partition_subalgoE4EjNS0_10empty_typeEbEEZZNS1_14partition_implILS8_4ELb0ES6_15HIP_vector_typeIjLj2EENS0_17counting_iteratorIjlEEPS9_SG_NS0_5tupleIJPjSI_NS0_16reverse_iteratorISI_EEEEENSH_IJSG_SG_SG_EEES9_SI_JZNS1_25segmented_radix_sort_implINS0_14default_configELb0EPK6__halfPSP_PKlPlN2at6native12_GLOBAL__N_18offset_tEEE10hipError_tPvRmT1_PNSt15iterator_traitsIS13_E10value_typeET2_T3_PNS14_IS19_E10value_typeET4_jRbjT5_S1F_jjP12ihipStream_tbEUljE_ZNSN_ISO_Lb0ESR_SS_SU_SV_SZ_EES10_S11_S12_S13_S17_S18_S19_S1C_S1D_jS1E_jS1F_S1F_jjS1H_bEUljE0_EEES10_S11_S12_S19_S1D_S1F_T6_T7_T9_mT8_S1H_bDpT10_ENKUlT_T0_E_clISt17integral_constantIbLb0EES1U_IbLb1EEEEDaS1Q_S1R_EUlS1Q_E_NS1_11comp_targetILNS1_3genE5ELNS1_11target_archE942ELNS1_3gpuE9ELNS1_3repE0EEENS1_30default_config_static_selectorELNS0_4arch9wavefront6targetE1EEEvS13_,comdat
.Lfunc_end1803:
	.size	_ZN7rocprim17ROCPRIM_400000_NS6detail17trampoline_kernelINS0_13select_configILj256ELj13ELNS0_17block_load_methodE3ELS4_3ELS4_3ELNS0_20block_scan_algorithmE0ELj4294967295EEENS1_25partition_config_selectorILNS1_17partition_subalgoE4EjNS0_10empty_typeEbEEZZNS1_14partition_implILS8_4ELb0ES6_15HIP_vector_typeIjLj2EENS0_17counting_iteratorIjlEEPS9_SG_NS0_5tupleIJPjSI_NS0_16reverse_iteratorISI_EEEEENSH_IJSG_SG_SG_EEES9_SI_JZNS1_25segmented_radix_sort_implINS0_14default_configELb0EPK6__halfPSP_PKlPlN2at6native12_GLOBAL__N_18offset_tEEE10hipError_tPvRmT1_PNSt15iterator_traitsIS13_E10value_typeET2_T3_PNS14_IS19_E10value_typeET4_jRbjT5_S1F_jjP12ihipStream_tbEUljE_ZNSN_ISO_Lb0ESR_SS_SU_SV_SZ_EES10_S11_S12_S13_S17_S18_S19_S1C_S1D_jS1E_jS1F_S1F_jjS1H_bEUljE0_EEES10_S11_S12_S19_S1D_S1F_T6_T7_T9_mT8_S1H_bDpT10_ENKUlT_T0_E_clISt17integral_constantIbLb0EES1U_IbLb1EEEEDaS1Q_S1R_EUlS1Q_E_NS1_11comp_targetILNS1_3genE5ELNS1_11target_archE942ELNS1_3gpuE9ELNS1_3repE0EEENS1_30default_config_static_selectorELNS0_4arch9wavefront6targetE1EEEvS13_, .Lfunc_end1803-_ZN7rocprim17ROCPRIM_400000_NS6detail17trampoline_kernelINS0_13select_configILj256ELj13ELNS0_17block_load_methodE3ELS4_3ELS4_3ELNS0_20block_scan_algorithmE0ELj4294967295EEENS1_25partition_config_selectorILNS1_17partition_subalgoE4EjNS0_10empty_typeEbEEZZNS1_14partition_implILS8_4ELb0ES6_15HIP_vector_typeIjLj2EENS0_17counting_iteratorIjlEEPS9_SG_NS0_5tupleIJPjSI_NS0_16reverse_iteratorISI_EEEEENSH_IJSG_SG_SG_EEES9_SI_JZNS1_25segmented_radix_sort_implINS0_14default_configELb0EPK6__halfPSP_PKlPlN2at6native12_GLOBAL__N_18offset_tEEE10hipError_tPvRmT1_PNSt15iterator_traitsIS13_E10value_typeET2_T3_PNS14_IS19_E10value_typeET4_jRbjT5_S1F_jjP12ihipStream_tbEUljE_ZNSN_ISO_Lb0ESR_SS_SU_SV_SZ_EES10_S11_S12_S13_S17_S18_S19_S1C_S1D_jS1E_jS1F_S1F_jjS1H_bEUljE0_EEES10_S11_S12_S19_S1D_S1F_T6_T7_T9_mT8_S1H_bDpT10_ENKUlT_T0_E_clISt17integral_constantIbLb0EES1U_IbLb1EEEEDaS1Q_S1R_EUlS1Q_E_NS1_11comp_targetILNS1_3genE5ELNS1_11target_archE942ELNS1_3gpuE9ELNS1_3repE0EEENS1_30default_config_static_selectorELNS0_4arch9wavefront6targetE1EEEvS13_
                                        ; -- End function
	.set _ZN7rocprim17ROCPRIM_400000_NS6detail17trampoline_kernelINS0_13select_configILj256ELj13ELNS0_17block_load_methodE3ELS4_3ELS4_3ELNS0_20block_scan_algorithmE0ELj4294967295EEENS1_25partition_config_selectorILNS1_17partition_subalgoE4EjNS0_10empty_typeEbEEZZNS1_14partition_implILS8_4ELb0ES6_15HIP_vector_typeIjLj2EENS0_17counting_iteratorIjlEEPS9_SG_NS0_5tupleIJPjSI_NS0_16reverse_iteratorISI_EEEEENSH_IJSG_SG_SG_EEES9_SI_JZNS1_25segmented_radix_sort_implINS0_14default_configELb0EPK6__halfPSP_PKlPlN2at6native12_GLOBAL__N_18offset_tEEE10hipError_tPvRmT1_PNSt15iterator_traitsIS13_E10value_typeET2_T3_PNS14_IS19_E10value_typeET4_jRbjT5_S1F_jjP12ihipStream_tbEUljE_ZNSN_ISO_Lb0ESR_SS_SU_SV_SZ_EES10_S11_S12_S13_S17_S18_S19_S1C_S1D_jS1E_jS1F_S1F_jjS1H_bEUljE0_EEES10_S11_S12_S19_S1D_S1F_T6_T7_T9_mT8_S1H_bDpT10_ENKUlT_T0_E_clISt17integral_constantIbLb0EES1U_IbLb1EEEEDaS1Q_S1R_EUlS1Q_E_NS1_11comp_targetILNS1_3genE5ELNS1_11target_archE942ELNS1_3gpuE9ELNS1_3repE0EEENS1_30default_config_static_selectorELNS0_4arch9wavefront6targetE1EEEvS13_.num_vgpr, 0
	.set _ZN7rocprim17ROCPRIM_400000_NS6detail17trampoline_kernelINS0_13select_configILj256ELj13ELNS0_17block_load_methodE3ELS4_3ELS4_3ELNS0_20block_scan_algorithmE0ELj4294967295EEENS1_25partition_config_selectorILNS1_17partition_subalgoE4EjNS0_10empty_typeEbEEZZNS1_14partition_implILS8_4ELb0ES6_15HIP_vector_typeIjLj2EENS0_17counting_iteratorIjlEEPS9_SG_NS0_5tupleIJPjSI_NS0_16reverse_iteratorISI_EEEEENSH_IJSG_SG_SG_EEES9_SI_JZNS1_25segmented_radix_sort_implINS0_14default_configELb0EPK6__halfPSP_PKlPlN2at6native12_GLOBAL__N_18offset_tEEE10hipError_tPvRmT1_PNSt15iterator_traitsIS13_E10value_typeET2_T3_PNS14_IS19_E10value_typeET4_jRbjT5_S1F_jjP12ihipStream_tbEUljE_ZNSN_ISO_Lb0ESR_SS_SU_SV_SZ_EES10_S11_S12_S13_S17_S18_S19_S1C_S1D_jS1E_jS1F_S1F_jjS1H_bEUljE0_EEES10_S11_S12_S19_S1D_S1F_T6_T7_T9_mT8_S1H_bDpT10_ENKUlT_T0_E_clISt17integral_constantIbLb0EES1U_IbLb1EEEEDaS1Q_S1R_EUlS1Q_E_NS1_11comp_targetILNS1_3genE5ELNS1_11target_archE942ELNS1_3gpuE9ELNS1_3repE0EEENS1_30default_config_static_selectorELNS0_4arch9wavefront6targetE1EEEvS13_.num_agpr, 0
	.set _ZN7rocprim17ROCPRIM_400000_NS6detail17trampoline_kernelINS0_13select_configILj256ELj13ELNS0_17block_load_methodE3ELS4_3ELS4_3ELNS0_20block_scan_algorithmE0ELj4294967295EEENS1_25partition_config_selectorILNS1_17partition_subalgoE4EjNS0_10empty_typeEbEEZZNS1_14partition_implILS8_4ELb0ES6_15HIP_vector_typeIjLj2EENS0_17counting_iteratorIjlEEPS9_SG_NS0_5tupleIJPjSI_NS0_16reverse_iteratorISI_EEEEENSH_IJSG_SG_SG_EEES9_SI_JZNS1_25segmented_radix_sort_implINS0_14default_configELb0EPK6__halfPSP_PKlPlN2at6native12_GLOBAL__N_18offset_tEEE10hipError_tPvRmT1_PNSt15iterator_traitsIS13_E10value_typeET2_T3_PNS14_IS19_E10value_typeET4_jRbjT5_S1F_jjP12ihipStream_tbEUljE_ZNSN_ISO_Lb0ESR_SS_SU_SV_SZ_EES10_S11_S12_S13_S17_S18_S19_S1C_S1D_jS1E_jS1F_S1F_jjS1H_bEUljE0_EEES10_S11_S12_S19_S1D_S1F_T6_T7_T9_mT8_S1H_bDpT10_ENKUlT_T0_E_clISt17integral_constantIbLb0EES1U_IbLb1EEEEDaS1Q_S1R_EUlS1Q_E_NS1_11comp_targetILNS1_3genE5ELNS1_11target_archE942ELNS1_3gpuE9ELNS1_3repE0EEENS1_30default_config_static_selectorELNS0_4arch9wavefront6targetE1EEEvS13_.numbered_sgpr, 0
	.set _ZN7rocprim17ROCPRIM_400000_NS6detail17trampoline_kernelINS0_13select_configILj256ELj13ELNS0_17block_load_methodE3ELS4_3ELS4_3ELNS0_20block_scan_algorithmE0ELj4294967295EEENS1_25partition_config_selectorILNS1_17partition_subalgoE4EjNS0_10empty_typeEbEEZZNS1_14partition_implILS8_4ELb0ES6_15HIP_vector_typeIjLj2EENS0_17counting_iteratorIjlEEPS9_SG_NS0_5tupleIJPjSI_NS0_16reverse_iteratorISI_EEEEENSH_IJSG_SG_SG_EEES9_SI_JZNS1_25segmented_radix_sort_implINS0_14default_configELb0EPK6__halfPSP_PKlPlN2at6native12_GLOBAL__N_18offset_tEEE10hipError_tPvRmT1_PNSt15iterator_traitsIS13_E10value_typeET2_T3_PNS14_IS19_E10value_typeET4_jRbjT5_S1F_jjP12ihipStream_tbEUljE_ZNSN_ISO_Lb0ESR_SS_SU_SV_SZ_EES10_S11_S12_S13_S17_S18_S19_S1C_S1D_jS1E_jS1F_S1F_jjS1H_bEUljE0_EEES10_S11_S12_S19_S1D_S1F_T6_T7_T9_mT8_S1H_bDpT10_ENKUlT_T0_E_clISt17integral_constantIbLb0EES1U_IbLb1EEEEDaS1Q_S1R_EUlS1Q_E_NS1_11comp_targetILNS1_3genE5ELNS1_11target_archE942ELNS1_3gpuE9ELNS1_3repE0EEENS1_30default_config_static_selectorELNS0_4arch9wavefront6targetE1EEEvS13_.num_named_barrier, 0
	.set _ZN7rocprim17ROCPRIM_400000_NS6detail17trampoline_kernelINS0_13select_configILj256ELj13ELNS0_17block_load_methodE3ELS4_3ELS4_3ELNS0_20block_scan_algorithmE0ELj4294967295EEENS1_25partition_config_selectorILNS1_17partition_subalgoE4EjNS0_10empty_typeEbEEZZNS1_14partition_implILS8_4ELb0ES6_15HIP_vector_typeIjLj2EENS0_17counting_iteratorIjlEEPS9_SG_NS0_5tupleIJPjSI_NS0_16reverse_iteratorISI_EEEEENSH_IJSG_SG_SG_EEES9_SI_JZNS1_25segmented_radix_sort_implINS0_14default_configELb0EPK6__halfPSP_PKlPlN2at6native12_GLOBAL__N_18offset_tEEE10hipError_tPvRmT1_PNSt15iterator_traitsIS13_E10value_typeET2_T3_PNS14_IS19_E10value_typeET4_jRbjT5_S1F_jjP12ihipStream_tbEUljE_ZNSN_ISO_Lb0ESR_SS_SU_SV_SZ_EES10_S11_S12_S13_S17_S18_S19_S1C_S1D_jS1E_jS1F_S1F_jjS1H_bEUljE0_EEES10_S11_S12_S19_S1D_S1F_T6_T7_T9_mT8_S1H_bDpT10_ENKUlT_T0_E_clISt17integral_constantIbLb0EES1U_IbLb1EEEEDaS1Q_S1R_EUlS1Q_E_NS1_11comp_targetILNS1_3genE5ELNS1_11target_archE942ELNS1_3gpuE9ELNS1_3repE0EEENS1_30default_config_static_selectorELNS0_4arch9wavefront6targetE1EEEvS13_.private_seg_size, 0
	.set _ZN7rocprim17ROCPRIM_400000_NS6detail17trampoline_kernelINS0_13select_configILj256ELj13ELNS0_17block_load_methodE3ELS4_3ELS4_3ELNS0_20block_scan_algorithmE0ELj4294967295EEENS1_25partition_config_selectorILNS1_17partition_subalgoE4EjNS0_10empty_typeEbEEZZNS1_14partition_implILS8_4ELb0ES6_15HIP_vector_typeIjLj2EENS0_17counting_iteratorIjlEEPS9_SG_NS0_5tupleIJPjSI_NS0_16reverse_iteratorISI_EEEEENSH_IJSG_SG_SG_EEES9_SI_JZNS1_25segmented_radix_sort_implINS0_14default_configELb0EPK6__halfPSP_PKlPlN2at6native12_GLOBAL__N_18offset_tEEE10hipError_tPvRmT1_PNSt15iterator_traitsIS13_E10value_typeET2_T3_PNS14_IS19_E10value_typeET4_jRbjT5_S1F_jjP12ihipStream_tbEUljE_ZNSN_ISO_Lb0ESR_SS_SU_SV_SZ_EES10_S11_S12_S13_S17_S18_S19_S1C_S1D_jS1E_jS1F_S1F_jjS1H_bEUljE0_EEES10_S11_S12_S19_S1D_S1F_T6_T7_T9_mT8_S1H_bDpT10_ENKUlT_T0_E_clISt17integral_constantIbLb0EES1U_IbLb1EEEEDaS1Q_S1R_EUlS1Q_E_NS1_11comp_targetILNS1_3genE5ELNS1_11target_archE942ELNS1_3gpuE9ELNS1_3repE0EEENS1_30default_config_static_selectorELNS0_4arch9wavefront6targetE1EEEvS13_.uses_vcc, 0
	.set _ZN7rocprim17ROCPRIM_400000_NS6detail17trampoline_kernelINS0_13select_configILj256ELj13ELNS0_17block_load_methodE3ELS4_3ELS4_3ELNS0_20block_scan_algorithmE0ELj4294967295EEENS1_25partition_config_selectorILNS1_17partition_subalgoE4EjNS0_10empty_typeEbEEZZNS1_14partition_implILS8_4ELb0ES6_15HIP_vector_typeIjLj2EENS0_17counting_iteratorIjlEEPS9_SG_NS0_5tupleIJPjSI_NS0_16reverse_iteratorISI_EEEEENSH_IJSG_SG_SG_EEES9_SI_JZNS1_25segmented_radix_sort_implINS0_14default_configELb0EPK6__halfPSP_PKlPlN2at6native12_GLOBAL__N_18offset_tEEE10hipError_tPvRmT1_PNSt15iterator_traitsIS13_E10value_typeET2_T3_PNS14_IS19_E10value_typeET4_jRbjT5_S1F_jjP12ihipStream_tbEUljE_ZNSN_ISO_Lb0ESR_SS_SU_SV_SZ_EES10_S11_S12_S13_S17_S18_S19_S1C_S1D_jS1E_jS1F_S1F_jjS1H_bEUljE0_EEES10_S11_S12_S19_S1D_S1F_T6_T7_T9_mT8_S1H_bDpT10_ENKUlT_T0_E_clISt17integral_constantIbLb0EES1U_IbLb1EEEEDaS1Q_S1R_EUlS1Q_E_NS1_11comp_targetILNS1_3genE5ELNS1_11target_archE942ELNS1_3gpuE9ELNS1_3repE0EEENS1_30default_config_static_selectorELNS0_4arch9wavefront6targetE1EEEvS13_.uses_flat_scratch, 0
	.set _ZN7rocprim17ROCPRIM_400000_NS6detail17trampoline_kernelINS0_13select_configILj256ELj13ELNS0_17block_load_methodE3ELS4_3ELS4_3ELNS0_20block_scan_algorithmE0ELj4294967295EEENS1_25partition_config_selectorILNS1_17partition_subalgoE4EjNS0_10empty_typeEbEEZZNS1_14partition_implILS8_4ELb0ES6_15HIP_vector_typeIjLj2EENS0_17counting_iteratorIjlEEPS9_SG_NS0_5tupleIJPjSI_NS0_16reverse_iteratorISI_EEEEENSH_IJSG_SG_SG_EEES9_SI_JZNS1_25segmented_radix_sort_implINS0_14default_configELb0EPK6__halfPSP_PKlPlN2at6native12_GLOBAL__N_18offset_tEEE10hipError_tPvRmT1_PNSt15iterator_traitsIS13_E10value_typeET2_T3_PNS14_IS19_E10value_typeET4_jRbjT5_S1F_jjP12ihipStream_tbEUljE_ZNSN_ISO_Lb0ESR_SS_SU_SV_SZ_EES10_S11_S12_S13_S17_S18_S19_S1C_S1D_jS1E_jS1F_S1F_jjS1H_bEUljE0_EEES10_S11_S12_S19_S1D_S1F_T6_T7_T9_mT8_S1H_bDpT10_ENKUlT_T0_E_clISt17integral_constantIbLb0EES1U_IbLb1EEEEDaS1Q_S1R_EUlS1Q_E_NS1_11comp_targetILNS1_3genE5ELNS1_11target_archE942ELNS1_3gpuE9ELNS1_3repE0EEENS1_30default_config_static_selectorELNS0_4arch9wavefront6targetE1EEEvS13_.has_dyn_sized_stack, 0
	.set _ZN7rocprim17ROCPRIM_400000_NS6detail17trampoline_kernelINS0_13select_configILj256ELj13ELNS0_17block_load_methodE3ELS4_3ELS4_3ELNS0_20block_scan_algorithmE0ELj4294967295EEENS1_25partition_config_selectorILNS1_17partition_subalgoE4EjNS0_10empty_typeEbEEZZNS1_14partition_implILS8_4ELb0ES6_15HIP_vector_typeIjLj2EENS0_17counting_iteratorIjlEEPS9_SG_NS0_5tupleIJPjSI_NS0_16reverse_iteratorISI_EEEEENSH_IJSG_SG_SG_EEES9_SI_JZNS1_25segmented_radix_sort_implINS0_14default_configELb0EPK6__halfPSP_PKlPlN2at6native12_GLOBAL__N_18offset_tEEE10hipError_tPvRmT1_PNSt15iterator_traitsIS13_E10value_typeET2_T3_PNS14_IS19_E10value_typeET4_jRbjT5_S1F_jjP12ihipStream_tbEUljE_ZNSN_ISO_Lb0ESR_SS_SU_SV_SZ_EES10_S11_S12_S13_S17_S18_S19_S1C_S1D_jS1E_jS1F_S1F_jjS1H_bEUljE0_EEES10_S11_S12_S19_S1D_S1F_T6_T7_T9_mT8_S1H_bDpT10_ENKUlT_T0_E_clISt17integral_constantIbLb0EES1U_IbLb1EEEEDaS1Q_S1R_EUlS1Q_E_NS1_11comp_targetILNS1_3genE5ELNS1_11target_archE942ELNS1_3gpuE9ELNS1_3repE0EEENS1_30default_config_static_selectorELNS0_4arch9wavefront6targetE1EEEvS13_.has_recursion, 0
	.set _ZN7rocprim17ROCPRIM_400000_NS6detail17trampoline_kernelINS0_13select_configILj256ELj13ELNS0_17block_load_methodE3ELS4_3ELS4_3ELNS0_20block_scan_algorithmE0ELj4294967295EEENS1_25partition_config_selectorILNS1_17partition_subalgoE4EjNS0_10empty_typeEbEEZZNS1_14partition_implILS8_4ELb0ES6_15HIP_vector_typeIjLj2EENS0_17counting_iteratorIjlEEPS9_SG_NS0_5tupleIJPjSI_NS0_16reverse_iteratorISI_EEEEENSH_IJSG_SG_SG_EEES9_SI_JZNS1_25segmented_radix_sort_implINS0_14default_configELb0EPK6__halfPSP_PKlPlN2at6native12_GLOBAL__N_18offset_tEEE10hipError_tPvRmT1_PNSt15iterator_traitsIS13_E10value_typeET2_T3_PNS14_IS19_E10value_typeET4_jRbjT5_S1F_jjP12ihipStream_tbEUljE_ZNSN_ISO_Lb0ESR_SS_SU_SV_SZ_EES10_S11_S12_S13_S17_S18_S19_S1C_S1D_jS1E_jS1F_S1F_jjS1H_bEUljE0_EEES10_S11_S12_S19_S1D_S1F_T6_T7_T9_mT8_S1H_bDpT10_ENKUlT_T0_E_clISt17integral_constantIbLb0EES1U_IbLb1EEEEDaS1Q_S1R_EUlS1Q_E_NS1_11comp_targetILNS1_3genE5ELNS1_11target_archE942ELNS1_3gpuE9ELNS1_3repE0EEENS1_30default_config_static_selectorELNS0_4arch9wavefront6targetE1EEEvS13_.has_indirect_call, 0
	.section	.AMDGPU.csdata,"",@progbits
; Kernel info:
; codeLenInByte = 0
; TotalNumSgprs: 4
; NumVgprs: 0
; ScratchSize: 0
; MemoryBound: 0
; FloatMode: 240
; IeeeMode: 1
; LDSByteSize: 0 bytes/workgroup (compile time only)
; SGPRBlocks: 0
; VGPRBlocks: 0
; NumSGPRsForWavesPerEU: 4
; NumVGPRsForWavesPerEU: 1
; Occupancy: 10
; WaveLimiterHint : 0
; COMPUTE_PGM_RSRC2:SCRATCH_EN: 0
; COMPUTE_PGM_RSRC2:USER_SGPR: 6
; COMPUTE_PGM_RSRC2:TRAP_HANDLER: 0
; COMPUTE_PGM_RSRC2:TGID_X_EN: 1
; COMPUTE_PGM_RSRC2:TGID_Y_EN: 0
; COMPUTE_PGM_RSRC2:TGID_Z_EN: 0
; COMPUTE_PGM_RSRC2:TIDIG_COMP_CNT: 0
	.section	.text._ZN7rocprim17ROCPRIM_400000_NS6detail17trampoline_kernelINS0_13select_configILj256ELj13ELNS0_17block_load_methodE3ELS4_3ELS4_3ELNS0_20block_scan_algorithmE0ELj4294967295EEENS1_25partition_config_selectorILNS1_17partition_subalgoE4EjNS0_10empty_typeEbEEZZNS1_14partition_implILS8_4ELb0ES6_15HIP_vector_typeIjLj2EENS0_17counting_iteratorIjlEEPS9_SG_NS0_5tupleIJPjSI_NS0_16reverse_iteratorISI_EEEEENSH_IJSG_SG_SG_EEES9_SI_JZNS1_25segmented_radix_sort_implINS0_14default_configELb0EPK6__halfPSP_PKlPlN2at6native12_GLOBAL__N_18offset_tEEE10hipError_tPvRmT1_PNSt15iterator_traitsIS13_E10value_typeET2_T3_PNS14_IS19_E10value_typeET4_jRbjT5_S1F_jjP12ihipStream_tbEUljE_ZNSN_ISO_Lb0ESR_SS_SU_SV_SZ_EES10_S11_S12_S13_S17_S18_S19_S1C_S1D_jS1E_jS1F_S1F_jjS1H_bEUljE0_EEES10_S11_S12_S19_S1D_S1F_T6_T7_T9_mT8_S1H_bDpT10_ENKUlT_T0_E_clISt17integral_constantIbLb0EES1U_IbLb1EEEEDaS1Q_S1R_EUlS1Q_E_NS1_11comp_targetILNS1_3genE4ELNS1_11target_archE910ELNS1_3gpuE8ELNS1_3repE0EEENS1_30default_config_static_selectorELNS0_4arch9wavefront6targetE1EEEvS13_,"axG",@progbits,_ZN7rocprim17ROCPRIM_400000_NS6detail17trampoline_kernelINS0_13select_configILj256ELj13ELNS0_17block_load_methodE3ELS4_3ELS4_3ELNS0_20block_scan_algorithmE0ELj4294967295EEENS1_25partition_config_selectorILNS1_17partition_subalgoE4EjNS0_10empty_typeEbEEZZNS1_14partition_implILS8_4ELb0ES6_15HIP_vector_typeIjLj2EENS0_17counting_iteratorIjlEEPS9_SG_NS0_5tupleIJPjSI_NS0_16reverse_iteratorISI_EEEEENSH_IJSG_SG_SG_EEES9_SI_JZNS1_25segmented_radix_sort_implINS0_14default_configELb0EPK6__halfPSP_PKlPlN2at6native12_GLOBAL__N_18offset_tEEE10hipError_tPvRmT1_PNSt15iterator_traitsIS13_E10value_typeET2_T3_PNS14_IS19_E10value_typeET4_jRbjT5_S1F_jjP12ihipStream_tbEUljE_ZNSN_ISO_Lb0ESR_SS_SU_SV_SZ_EES10_S11_S12_S13_S17_S18_S19_S1C_S1D_jS1E_jS1F_S1F_jjS1H_bEUljE0_EEES10_S11_S12_S19_S1D_S1F_T6_T7_T9_mT8_S1H_bDpT10_ENKUlT_T0_E_clISt17integral_constantIbLb0EES1U_IbLb1EEEEDaS1Q_S1R_EUlS1Q_E_NS1_11comp_targetILNS1_3genE4ELNS1_11target_archE910ELNS1_3gpuE8ELNS1_3repE0EEENS1_30default_config_static_selectorELNS0_4arch9wavefront6targetE1EEEvS13_,comdat
	.globl	_ZN7rocprim17ROCPRIM_400000_NS6detail17trampoline_kernelINS0_13select_configILj256ELj13ELNS0_17block_load_methodE3ELS4_3ELS4_3ELNS0_20block_scan_algorithmE0ELj4294967295EEENS1_25partition_config_selectorILNS1_17partition_subalgoE4EjNS0_10empty_typeEbEEZZNS1_14partition_implILS8_4ELb0ES6_15HIP_vector_typeIjLj2EENS0_17counting_iteratorIjlEEPS9_SG_NS0_5tupleIJPjSI_NS0_16reverse_iteratorISI_EEEEENSH_IJSG_SG_SG_EEES9_SI_JZNS1_25segmented_radix_sort_implINS0_14default_configELb0EPK6__halfPSP_PKlPlN2at6native12_GLOBAL__N_18offset_tEEE10hipError_tPvRmT1_PNSt15iterator_traitsIS13_E10value_typeET2_T3_PNS14_IS19_E10value_typeET4_jRbjT5_S1F_jjP12ihipStream_tbEUljE_ZNSN_ISO_Lb0ESR_SS_SU_SV_SZ_EES10_S11_S12_S13_S17_S18_S19_S1C_S1D_jS1E_jS1F_S1F_jjS1H_bEUljE0_EEES10_S11_S12_S19_S1D_S1F_T6_T7_T9_mT8_S1H_bDpT10_ENKUlT_T0_E_clISt17integral_constantIbLb0EES1U_IbLb1EEEEDaS1Q_S1R_EUlS1Q_E_NS1_11comp_targetILNS1_3genE4ELNS1_11target_archE910ELNS1_3gpuE8ELNS1_3repE0EEENS1_30default_config_static_selectorELNS0_4arch9wavefront6targetE1EEEvS13_ ; -- Begin function _ZN7rocprim17ROCPRIM_400000_NS6detail17trampoline_kernelINS0_13select_configILj256ELj13ELNS0_17block_load_methodE3ELS4_3ELS4_3ELNS0_20block_scan_algorithmE0ELj4294967295EEENS1_25partition_config_selectorILNS1_17partition_subalgoE4EjNS0_10empty_typeEbEEZZNS1_14partition_implILS8_4ELb0ES6_15HIP_vector_typeIjLj2EENS0_17counting_iteratorIjlEEPS9_SG_NS0_5tupleIJPjSI_NS0_16reverse_iteratorISI_EEEEENSH_IJSG_SG_SG_EEES9_SI_JZNS1_25segmented_radix_sort_implINS0_14default_configELb0EPK6__halfPSP_PKlPlN2at6native12_GLOBAL__N_18offset_tEEE10hipError_tPvRmT1_PNSt15iterator_traitsIS13_E10value_typeET2_T3_PNS14_IS19_E10value_typeET4_jRbjT5_S1F_jjP12ihipStream_tbEUljE_ZNSN_ISO_Lb0ESR_SS_SU_SV_SZ_EES10_S11_S12_S13_S17_S18_S19_S1C_S1D_jS1E_jS1F_S1F_jjS1H_bEUljE0_EEES10_S11_S12_S19_S1D_S1F_T6_T7_T9_mT8_S1H_bDpT10_ENKUlT_T0_E_clISt17integral_constantIbLb0EES1U_IbLb1EEEEDaS1Q_S1R_EUlS1Q_E_NS1_11comp_targetILNS1_3genE4ELNS1_11target_archE910ELNS1_3gpuE8ELNS1_3repE0EEENS1_30default_config_static_selectorELNS0_4arch9wavefront6targetE1EEEvS13_
	.p2align	8
	.type	_ZN7rocprim17ROCPRIM_400000_NS6detail17trampoline_kernelINS0_13select_configILj256ELj13ELNS0_17block_load_methodE3ELS4_3ELS4_3ELNS0_20block_scan_algorithmE0ELj4294967295EEENS1_25partition_config_selectorILNS1_17partition_subalgoE4EjNS0_10empty_typeEbEEZZNS1_14partition_implILS8_4ELb0ES6_15HIP_vector_typeIjLj2EENS0_17counting_iteratorIjlEEPS9_SG_NS0_5tupleIJPjSI_NS0_16reverse_iteratorISI_EEEEENSH_IJSG_SG_SG_EEES9_SI_JZNS1_25segmented_radix_sort_implINS0_14default_configELb0EPK6__halfPSP_PKlPlN2at6native12_GLOBAL__N_18offset_tEEE10hipError_tPvRmT1_PNSt15iterator_traitsIS13_E10value_typeET2_T3_PNS14_IS19_E10value_typeET4_jRbjT5_S1F_jjP12ihipStream_tbEUljE_ZNSN_ISO_Lb0ESR_SS_SU_SV_SZ_EES10_S11_S12_S13_S17_S18_S19_S1C_S1D_jS1E_jS1F_S1F_jjS1H_bEUljE0_EEES10_S11_S12_S19_S1D_S1F_T6_T7_T9_mT8_S1H_bDpT10_ENKUlT_T0_E_clISt17integral_constantIbLb0EES1U_IbLb1EEEEDaS1Q_S1R_EUlS1Q_E_NS1_11comp_targetILNS1_3genE4ELNS1_11target_archE910ELNS1_3gpuE8ELNS1_3repE0EEENS1_30default_config_static_selectorELNS0_4arch9wavefront6targetE1EEEvS13_,@function
_ZN7rocprim17ROCPRIM_400000_NS6detail17trampoline_kernelINS0_13select_configILj256ELj13ELNS0_17block_load_methodE3ELS4_3ELS4_3ELNS0_20block_scan_algorithmE0ELj4294967295EEENS1_25partition_config_selectorILNS1_17partition_subalgoE4EjNS0_10empty_typeEbEEZZNS1_14partition_implILS8_4ELb0ES6_15HIP_vector_typeIjLj2EENS0_17counting_iteratorIjlEEPS9_SG_NS0_5tupleIJPjSI_NS0_16reverse_iteratorISI_EEEEENSH_IJSG_SG_SG_EEES9_SI_JZNS1_25segmented_radix_sort_implINS0_14default_configELb0EPK6__halfPSP_PKlPlN2at6native12_GLOBAL__N_18offset_tEEE10hipError_tPvRmT1_PNSt15iterator_traitsIS13_E10value_typeET2_T3_PNS14_IS19_E10value_typeET4_jRbjT5_S1F_jjP12ihipStream_tbEUljE_ZNSN_ISO_Lb0ESR_SS_SU_SV_SZ_EES10_S11_S12_S13_S17_S18_S19_S1C_S1D_jS1E_jS1F_S1F_jjS1H_bEUljE0_EEES10_S11_S12_S19_S1D_S1F_T6_T7_T9_mT8_S1H_bDpT10_ENKUlT_T0_E_clISt17integral_constantIbLb0EES1U_IbLb1EEEEDaS1Q_S1R_EUlS1Q_E_NS1_11comp_targetILNS1_3genE4ELNS1_11target_archE910ELNS1_3gpuE8ELNS1_3repE0EEENS1_30default_config_static_selectorELNS0_4arch9wavefront6targetE1EEEvS13_: ; @_ZN7rocprim17ROCPRIM_400000_NS6detail17trampoline_kernelINS0_13select_configILj256ELj13ELNS0_17block_load_methodE3ELS4_3ELS4_3ELNS0_20block_scan_algorithmE0ELj4294967295EEENS1_25partition_config_selectorILNS1_17partition_subalgoE4EjNS0_10empty_typeEbEEZZNS1_14partition_implILS8_4ELb0ES6_15HIP_vector_typeIjLj2EENS0_17counting_iteratorIjlEEPS9_SG_NS0_5tupleIJPjSI_NS0_16reverse_iteratorISI_EEEEENSH_IJSG_SG_SG_EEES9_SI_JZNS1_25segmented_radix_sort_implINS0_14default_configELb0EPK6__halfPSP_PKlPlN2at6native12_GLOBAL__N_18offset_tEEE10hipError_tPvRmT1_PNSt15iterator_traitsIS13_E10value_typeET2_T3_PNS14_IS19_E10value_typeET4_jRbjT5_S1F_jjP12ihipStream_tbEUljE_ZNSN_ISO_Lb0ESR_SS_SU_SV_SZ_EES10_S11_S12_S13_S17_S18_S19_S1C_S1D_jS1E_jS1F_S1F_jjS1H_bEUljE0_EEES10_S11_S12_S19_S1D_S1F_T6_T7_T9_mT8_S1H_bDpT10_ENKUlT_T0_E_clISt17integral_constantIbLb0EES1U_IbLb1EEEEDaS1Q_S1R_EUlS1Q_E_NS1_11comp_targetILNS1_3genE4ELNS1_11target_archE910ELNS1_3gpuE8ELNS1_3repE0EEENS1_30default_config_static_selectorELNS0_4arch9wavefront6targetE1EEEvS13_
; %bb.0:
	.section	.rodata,"a",@progbits
	.p2align	6, 0x0
	.amdhsa_kernel _ZN7rocprim17ROCPRIM_400000_NS6detail17trampoline_kernelINS0_13select_configILj256ELj13ELNS0_17block_load_methodE3ELS4_3ELS4_3ELNS0_20block_scan_algorithmE0ELj4294967295EEENS1_25partition_config_selectorILNS1_17partition_subalgoE4EjNS0_10empty_typeEbEEZZNS1_14partition_implILS8_4ELb0ES6_15HIP_vector_typeIjLj2EENS0_17counting_iteratorIjlEEPS9_SG_NS0_5tupleIJPjSI_NS0_16reverse_iteratorISI_EEEEENSH_IJSG_SG_SG_EEES9_SI_JZNS1_25segmented_radix_sort_implINS0_14default_configELb0EPK6__halfPSP_PKlPlN2at6native12_GLOBAL__N_18offset_tEEE10hipError_tPvRmT1_PNSt15iterator_traitsIS13_E10value_typeET2_T3_PNS14_IS19_E10value_typeET4_jRbjT5_S1F_jjP12ihipStream_tbEUljE_ZNSN_ISO_Lb0ESR_SS_SU_SV_SZ_EES10_S11_S12_S13_S17_S18_S19_S1C_S1D_jS1E_jS1F_S1F_jjS1H_bEUljE0_EEES10_S11_S12_S19_S1D_S1F_T6_T7_T9_mT8_S1H_bDpT10_ENKUlT_T0_E_clISt17integral_constantIbLb0EES1U_IbLb1EEEEDaS1Q_S1R_EUlS1Q_E_NS1_11comp_targetILNS1_3genE4ELNS1_11target_archE910ELNS1_3gpuE8ELNS1_3repE0EEENS1_30default_config_static_selectorELNS0_4arch9wavefront6targetE1EEEvS13_
		.amdhsa_group_segment_fixed_size 0
		.amdhsa_private_segment_fixed_size 0
		.amdhsa_kernarg_size 184
		.amdhsa_user_sgpr_count 6
		.amdhsa_user_sgpr_private_segment_buffer 1
		.amdhsa_user_sgpr_dispatch_ptr 0
		.amdhsa_user_sgpr_queue_ptr 0
		.amdhsa_user_sgpr_kernarg_segment_ptr 1
		.amdhsa_user_sgpr_dispatch_id 0
		.amdhsa_user_sgpr_flat_scratch_init 0
		.amdhsa_user_sgpr_private_segment_size 0
		.amdhsa_uses_dynamic_stack 0
		.amdhsa_system_sgpr_private_segment_wavefront_offset 0
		.amdhsa_system_sgpr_workgroup_id_x 1
		.amdhsa_system_sgpr_workgroup_id_y 0
		.amdhsa_system_sgpr_workgroup_id_z 0
		.amdhsa_system_sgpr_workgroup_info 0
		.amdhsa_system_vgpr_workitem_id 0
		.amdhsa_next_free_vgpr 1
		.amdhsa_next_free_sgpr 0
		.amdhsa_reserve_vcc 0
		.amdhsa_reserve_flat_scratch 0
		.amdhsa_float_round_mode_32 0
		.amdhsa_float_round_mode_16_64 0
		.amdhsa_float_denorm_mode_32 3
		.amdhsa_float_denorm_mode_16_64 3
		.amdhsa_dx10_clamp 1
		.amdhsa_ieee_mode 1
		.amdhsa_fp16_overflow 0
		.amdhsa_exception_fp_ieee_invalid_op 0
		.amdhsa_exception_fp_denorm_src 0
		.amdhsa_exception_fp_ieee_div_zero 0
		.amdhsa_exception_fp_ieee_overflow 0
		.amdhsa_exception_fp_ieee_underflow 0
		.amdhsa_exception_fp_ieee_inexact 0
		.amdhsa_exception_int_div_zero 0
	.end_amdhsa_kernel
	.section	.text._ZN7rocprim17ROCPRIM_400000_NS6detail17trampoline_kernelINS0_13select_configILj256ELj13ELNS0_17block_load_methodE3ELS4_3ELS4_3ELNS0_20block_scan_algorithmE0ELj4294967295EEENS1_25partition_config_selectorILNS1_17partition_subalgoE4EjNS0_10empty_typeEbEEZZNS1_14partition_implILS8_4ELb0ES6_15HIP_vector_typeIjLj2EENS0_17counting_iteratorIjlEEPS9_SG_NS0_5tupleIJPjSI_NS0_16reverse_iteratorISI_EEEEENSH_IJSG_SG_SG_EEES9_SI_JZNS1_25segmented_radix_sort_implINS0_14default_configELb0EPK6__halfPSP_PKlPlN2at6native12_GLOBAL__N_18offset_tEEE10hipError_tPvRmT1_PNSt15iterator_traitsIS13_E10value_typeET2_T3_PNS14_IS19_E10value_typeET4_jRbjT5_S1F_jjP12ihipStream_tbEUljE_ZNSN_ISO_Lb0ESR_SS_SU_SV_SZ_EES10_S11_S12_S13_S17_S18_S19_S1C_S1D_jS1E_jS1F_S1F_jjS1H_bEUljE0_EEES10_S11_S12_S19_S1D_S1F_T6_T7_T9_mT8_S1H_bDpT10_ENKUlT_T0_E_clISt17integral_constantIbLb0EES1U_IbLb1EEEEDaS1Q_S1R_EUlS1Q_E_NS1_11comp_targetILNS1_3genE4ELNS1_11target_archE910ELNS1_3gpuE8ELNS1_3repE0EEENS1_30default_config_static_selectorELNS0_4arch9wavefront6targetE1EEEvS13_,"axG",@progbits,_ZN7rocprim17ROCPRIM_400000_NS6detail17trampoline_kernelINS0_13select_configILj256ELj13ELNS0_17block_load_methodE3ELS4_3ELS4_3ELNS0_20block_scan_algorithmE0ELj4294967295EEENS1_25partition_config_selectorILNS1_17partition_subalgoE4EjNS0_10empty_typeEbEEZZNS1_14partition_implILS8_4ELb0ES6_15HIP_vector_typeIjLj2EENS0_17counting_iteratorIjlEEPS9_SG_NS0_5tupleIJPjSI_NS0_16reverse_iteratorISI_EEEEENSH_IJSG_SG_SG_EEES9_SI_JZNS1_25segmented_radix_sort_implINS0_14default_configELb0EPK6__halfPSP_PKlPlN2at6native12_GLOBAL__N_18offset_tEEE10hipError_tPvRmT1_PNSt15iterator_traitsIS13_E10value_typeET2_T3_PNS14_IS19_E10value_typeET4_jRbjT5_S1F_jjP12ihipStream_tbEUljE_ZNSN_ISO_Lb0ESR_SS_SU_SV_SZ_EES10_S11_S12_S13_S17_S18_S19_S1C_S1D_jS1E_jS1F_S1F_jjS1H_bEUljE0_EEES10_S11_S12_S19_S1D_S1F_T6_T7_T9_mT8_S1H_bDpT10_ENKUlT_T0_E_clISt17integral_constantIbLb0EES1U_IbLb1EEEEDaS1Q_S1R_EUlS1Q_E_NS1_11comp_targetILNS1_3genE4ELNS1_11target_archE910ELNS1_3gpuE8ELNS1_3repE0EEENS1_30default_config_static_selectorELNS0_4arch9wavefront6targetE1EEEvS13_,comdat
.Lfunc_end1804:
	.size	_ZN7rocprim17ROCPRIM_400000_NS6detail17trampoline_kernelINS0_13select_configILj256ELj13ELNS0_17block_load_methodE3ELS4_3ELS4_3ELNS0_20block_scan_algorithmE0ELj4294967295EEENS1_25partition_config_selectorILNS1_17partition_subalgoE4EjNS0_10empty_typeEbEEZZNS1_14partition_implILS8_4ELb0ES6_15HIP_vector_typeIjLj2EENS0_17counting_iteratorIjlEEPS9_SG_NS0_5tupleIJPjSI_NS0_16reverse_iteratorISI_EEEEENSH_IJSG_SG_SG_EEES9_SI_JZNS1_25segmented_radix_sort_implINS0_14default_configELb0EPK6__halfPSP_PKlPlN2at6native12_GLOBAL__N_18offset_tEEE10hipError_tPvRmT1_PNSt15iterator_traitsIS13_E10value_typeET2_T3_PNS14_IS19_E10value_typeET4_jRbjT5_S1F_jjP12ihipStream_tbEUljE_ZNSN_ISO_Lb0ESR_SS_SU_SV_SZ_EES10_S11_S12_S13_S17_S18_S19_S1C_S1D_jS1E_jS1F_S1F_jjS1H_bEUljE0_EEES10_S11_S12_S19_S1D_S1F_T6_T7_T9_mT8_S1H_bDpT10_ENKUlT_T0_E_clISt17integral_constantIbLb0EES1U_IbLb1EEEEDaS1Q_S1R_EUlS1Q_E_NS1_11comp_targetILNS1_3genE4ELNS1_11target_archE910ELNS1_3gpuE8ELNS1_3repE0EEENS1_30default_config_static_selectorELNS0_4arch9wavefront6targetE1EEEvS13_, .Lfunc_end1804-_ZN7rocprim17ROCPRIM_400000_NS6detail17trampoline_kernelINS0_13select_configILj256ELj13ELNS0_17block_load_methodE3ELS4_3ELS4_3ELNS0_20block_scan_algorithmE0ELj4294967295EEENS1_25partition_config_selectorILNS1_17partition_subalgoE4EjNS0_10empty_typeEbEEZZNS1_14partition_implILS8_4ELb0ES6_15HIP_vector_typeIjLj2EENS0_17counting_iteratorIjlEEPS9_SG_NS0_5tupleIJPjSI_NS0_16reverse_iteratorISI_EEEEENSH_IJSG_SG_SG_EEES9_SI_JZNS1_25segmented_radix_sort_implINS0_14default_configELb0EPK6__halfPSP_PKlPlN2at6native12_GLOBAL__N_18offset_tEEE10hipError_tPvRmT1_PNSt15iterator_traitsIS13_E10value_typeET2_T3_PNS14_IS19_E10value_typeET4_jRbjT5_S1F_jjP12ihipStream_tbEUljE_ZNSN_ISO_Lb0ESR_SS_SU_SV_SZ_EES10_S11_S12_S13_S17_S18_S19_S1C_S1D_jS1E_jS1F_S1F_jjS1H_bEUljE0_EEES10_S11_S12_S19_S1D_S1F_T6_T7_T9_mT8_S1H_bDpT10_ENKUlT_T0_E_clISt17integral_constantIbLb0EES1U_IbLb1EEEEDaS1Q_S1R_EUlS1Q_E_NS1_11comp_targetILNS1_3genE4ELNS1_11target_archE910ELNS1_3gpuE8ELNS1_3repE0EEENS1_30default_config_static_selectorELNS0_4arch9wavefront6targetE1EEEvS13_
                                        ; -- End function
	.set _ZN7rocprim17ROCPRIM_400000_NS6detail17trampoline_kernelINS0_13select_configILj256ELj13ELNS0_17block_load_methodE3ELS4_3ELS4_3ELNS0_20block_scan_algorithmE0ELj4294967295EEENS1_25partition_config_selectorILNS1_17partition_subalgoE4EjNS0_10empty_typeEbEEZZNS1_14partition_implILS8_4ELb0ES6_15HIP_vector_typeIjLj2EENS0_17counting_iteratorIjlEEPS9_SG_NS0_5tupleIJPjSI_NS0_16reverse_iteratorISI_EEEEENSH_IJSG_SG_SG_EEES9_SI_JZNS1_25segmented_radix_sort_implINS0_14default_configELb0EPK6__halfPSP_PKlPlN2at6native12_GLOBAL__N_18offset_tEEE10hipError_tPvRmT1_PNSt15iterator_traitsIS13_E10value_typeET2_T3_PNS14_IS19_E10value_typeET4_jRbjT5_S1F_jjP12ihipStream_tbEUljE_ZNSN_ISO_Lb0ESR_SS_SU_SV_SZ_EES10_S11_S12_S13_S17_S18_S19_S1C_S1D_jS1E_jS1F_S1F_jjS1H_bEUljE0_EEES10_S11_S12_S19_S1D_S1F_T6_T7_T9_mT8_S1H_bDpT10_ENKUlT_T0_E_clISt17integral_constantIbLb0EES1U_IbLb1EEEEDaS1Q_S1R_EUlS1Q_E_NS1_11comp_targetILNS1_3genE4ELNS1_11target_archE910ELNS1_3gpuE8ELNS1_3repE0EEENS1_30default_config_static_selectorELNS0_4arch9wavefront6targetE1EEEvS13_.num_vgpr, 0
	.set _ZN7rocprim17ROCPRIM_400000_NS6detail17trampoline_kernelINS0_13select_configILj256ELj13ELNS0_17block_load_methodE3ELS4_3ELS4_3ELNS0_20block_scan_algorithmE0ELj4294967295EEENS1_25partition_config_selectorILNS1_17partition_subalgoE4EjNS0_10empty_typeEbEEZZNS1_14partition_implILS8_4ELb0ES6_15HIP_vector_typeIjLj2EENS0_17counting_iteratorIjlEEPS9_SG_NS0_5tupleIJPjSI_NS0_16reverse_iteratorISI_EEEEENSH_IJSG_SG_SG_EEES9_SI_JZNS1_25segmented_radix_sort_implINS0_14default_configELb0EPK6__halfPSP_PKlPlN2at6native12_GLOBAL__N_18offset_tEEE10hipError_tPvRmT1_PNSt15iterator_traitsIS13_E10value_typeET2_T3_PNS14_IS19_E10value_typeET4_jRbjT5_S1F_jjP12ihipStream_tbEUljE_ZNSN_ISO_Lb0ESR_SS_SU_SV_SZ_EES10_S11_S12_S13_S17_S18_S19_S1C_S1D_jS1E_jS1F_S1F_jjS1H_bEUljE0_EEES10_S11_S12_S19_S1D_S1F_T6_T7_T9_mT8_S1H_bDpT10_ENKUlT_T0_E_clISt17integral_constantIbLb0EES1U_IbLb1EEEEDaS1Q_S1R_EUlS1Q_E_NS1_11comp_targetILNS1_3genE4ELNS1_11target_archE910ELNS1_3gpuE8ELNS1_3repE0EEENS1_30default_config_static_selectorELNS0_4arch9wavefront6targetE1EEEvS13_.num_agpr, 0
	.set _ZN7rocprim17ROCPRIM_400000_NS6detail17trampoline_kernelINS0_13select_configILj256ELj13ELNS0_17block_load_methodE3ELS4_3ELS4_3ELNS0_20block_scan_algorithmE0ELj4294967295EEENS1_25partition_config_selectorILNS1_17partition_subalgoE4EjNS0_10empty_typeEbEEZZNS1_14partition_implILS8_4ELb0ES6_15HIP_vector_typeIjLj2EENS0_17counting_iteratorIjlEEPS9_SG_NS0_5tupleIJPjSI_NS0_16reverse_iteratorISI_EEEEENSH_IJSG_SG_SG_EEES9_SI_JZNS1_25segmented_radix_sort_implINS0_14default_configELb0EPK6__halfPSP_PKlPlN2at6native12_GLOBAL__N_18offset_tEEE10hipError_tPvRmT1_PNSt15iterator_traitsIS13_E10value_typeET2_T3_PNS14_IS19_E10value_typeET4_jRbjT5_S1F_jjP12ihipStream_tbEUljE_ZNSN_ISO_Lb0ESR_SS_SU_SV_SZ_EES10_S11_S12_S13_S17_S18_S19_S1C_S1D_jS1E_jS1F_S1F_jjS1H_bEUljE0_EEES10_S11_S12_S19_S1D_S1F_T6_T7_T9_mT8_S1H_bDpT10_ENKUlT_T0_E_clISt17integral_constantIbLb0EES1U_IbLb1EEEEDaS1Q_S1R_EUlS1Q_E_NS1_11comp_targetILNS1_3genE4ELNS1_11target_archE910ELNS1_3gpuE8ELNS1_3repE0EEENS1_30default_config_static_selectorELNS0_4arch9wavefront6targetE1EEEvS13_.numbered_sgpr, 0
	.set _ZN7rocprim17ROCPRIM_400000_NS6detail17trampoline_kernelINS0_13select_configILj256ELj13ELNS0_17block_load_methodE3ELS4_3ELS4_3ELNS0_20block_scan_algorithmE0ELj4294967295EEENS1_25partition_config_selectorILNS1_17partition_subalgoE4EjNS0_10empty_typeEbEEZZNS1_14partition_implILS8_4ELb0ES6_15HIP_vector_typeIjLj2EENS0_17counting_iteratorIjlEEPS9_SG_NS0_5tupleIJPjSI_NS0_16reverse_iteratorISI_EEEEENSH_IJSG_SG_SG_EEES9_SI_JZNS1_25segmented_radix_sort_implINS0_14default_configELb0EPK6__halfPSP_PKlPlN2at6native12_GLOBAL__N_18offset_tEEE10hipError_tPvRmT1_PNSt15iterator_traitsIS13_E10value_typeET2_T3_PNS14_IS19_E10value_typeET4_jRbjT5_S1F_jjP12ihipStream_tbEUljE_ZNSN_ISO_Lb0ESR_SS_SU_SV_SZ_EES10_S11_S12_S13_S17_S18_S19_S1C_S1D_jS1E_jS1F_S1F_jjS1H_bEUljE0_EEES10_S11_S12_S19_S1D_S1F_T6_T7_T9_mT8_S1H_bDpT10_ENKUlT_T0_E_clISt17integral_constantIbLb0EES1U_IbLb1EEEEDaS1Q_S1R_EUlS1Q_E_NS1_11comp_targetILNS1_3genE4ELNS1_11target_archE910ELNS1_3gpuE8ELNS1_3repE0EEENS1_30default_config_static_selectorELNS0_4arch9wavefront6targetE1EEEvS13_.num_named_barrier, 0
	.set _ZN7rocprim17ROCPRIM_400000_NS6detail17trampoline_kernelINS0_13select_configILj256ELj13ELNS0_17block_load_methodE3ELS4_3ELS4_3ELNS0_20block_scan_algorithmE0ELj4294967295EEENS1_25partition_config_selectorILNS1_17partition_subalgoE4EjNS0_10empty_typeEbEEZZNS1_14partition_implILS8_4ELb0ES6_15HIP_vector_typeIjLj2EENS0_17counting_iteratorIjlEEPS9_SG_NS0_5tupleIJPjSI_NS0_16reverse_iteratorISI_EEEEENSH_IJSG_SG_SG_EEES9_SI_JZNS1_25segmented_radix_sort_implINS0_14default_configELb0EPK6__halfPSP_PKlPlN2at6native12_GLOBAL__N_18offset_tEEE10hipError_tPvRmT1_PNSt15iterator_traitsIS13_E10value_typeET2_T3_PNS14_IS19_E10value_typeET4_jRbjT5_S1F_jjP12ihipStream_tbEUljE_ZNSN_ISO_Lb0ESR_SS_SU_SV_SZ_EES10_S11_S12_S13_S17_S18_S19_S1C_S1D_jS1E_jS1F_S1F_jjS1H_bEUljE0_EEES10_S11_S12_S19_S1D_S1F_T6_T7_T9_mT8_S1H_bDpT10_ENKUlT_T0_E_clISt17integral_constantIbLb0EES1U_IbLb1EEEEDaS1Q_S1R_EUlS1Q_E_NS1_11comp_targetILNS1_3genE4ELNS1_11target_archE910ELNS1_3gpuE8ELNS1_3repE0EEENS1_30default_config_static_selectorELNS0_4arch9wavefront6targetE1EEEvS13_.private_seg_size, 0
	.set _ZN7rocprim17ROCPRIM_400000_NS6detail17trampoline_kernelINS0_13select_configILj256ELj13ELNS0_17block_load_methodE3ELS4_3ELS4_3ELNS0_20block_scan_algorithmE0ELj4294967295EEENS1_25partition_config_selectorILNS1_17partition_subalgoE4EjNS0_10empty_typeEbEEZZNS1_14partition_implILS8_4ELb0ES6_15HIP_vector_typeIjLj2EENS0_17counting_iteratorIjlEEPS9_SG_NS0_5tupleIJPjSI_NS0_16reverse_iteratorISI_EEEEENSH_IJSG_SG_SG_EEES9_SI_JZNS1_25segmented_radix_sort_implINS0_14default_configELb0EPK6__halfPSP_PKlPlN2at6native12_GLOBAL__N_18offset_tEEE10hipError_tPvRmT1_PNSt15iterator_traitsIS13_E10value_typeET2_T3_PNS14_IS19_E10value_typeET4_jRbjT5_S1F_jjP12ihipStream_tbEUljE_ZNSN_ISO_Lb0ESR_SS_SU_SV_SZ_EES10_S11_S12_S13_S17_S18_S19_S1C_S1D_jS1E_jS1F_S1F_jjS1H_bEUljE0_EEES10_S11_S12_S19_S1D_S1F_T6_T7_T9_mT8_S1H_bDpT10_ENKUlT_T0_E_clISt17integral_constantIbLb0EES1U_IbLb1EEEEDaS1Q_S1R_EUlS1Q_E_NS1_11comp_targetILNS1_3genE4ELNS1_11target_archE910ELNS1_3gpuE8ELNS1_3repE0EEENS1_30default_config_static_selectorELNS0_4arch9wavefront6targetE1EEEvS13_.uses_vcc, 0
	.set _ZN7rocprim17ROCPRIM_400000_NS6detail17trampoline_kernelINS0_13select_configILj256ELj13ELNS0_17block_load_methodE3ELS4_3ELS4_3ELNS0_20block_scan_algorithmE0ELj4294967295EEENS1_25partition_config_selectorILNS1_17partition_subalgoE4EjNS0_10empty_typeEbEEZZNS1_14partition_implILS8_4ELb0ES6_15HIP_vector_typeIjLj2EENS0_17counting_iteratorIjlEEPS9_SG_NS0_5tupleIJPjSI_NS0_16reverse_iteratorISI_EEEEENSH_IJSG_SG_SG_EEES9_SI_JZNS1_25segmented_radix_sort_implINS0_14default_configELb0EPK6__halfPSP_PKlPlN2at6native12_GLOBAL__N_18offset_tEEE10hipError_tPvRmT1_PNSt15iterator_traitsIS13_E10value_typeET2_T3_PNS14_IS19_E10value_typeET4_jRbjT5_S1F_jjP12ihipStream_tbEUljE_ZNSN_ISO_Lb0ESR_SS_SU_SV_SZ_EES10_S11_S12_S13_S17_S18_S19_S1C_S1D_jS1E_jS1F_S1F_jjS1H_bEUljE0_EEES10_S11_S12_S19_S1D_S1F_T6_T7_T9_mT8_S1H_bDpT10_ENKUlT_T0_E_clISt17integral_constantIbLb0EES1U_IbLb1EEEEDaS1Q_S1R_EUlS1Q_E_NS1_11comp_targetILNS1_3genE4ELNS1_11target_archE910ELNS1_3gpuE8ELNS1_3repE0EEENS1_30default_config_static_selectorELNS0_4arch9wavefront6targetE1EEEvS13_.uses_flat_scratch, 0
	.set _ZN7rocprim17ROCPRIM_400000_NS6detail17trampoline_kernelINS0_13select_configILj256ELj13ELNS0_17block_load_methodE3ELS4_3ELS4_3ELNS0_20block_scan_algorithmE0ELj4294967295EEENS1_25partition_config_selectorILNS1_17partition_subalgoE4EjNS0_10empty_typeEbEEZZNS1_14partition_implILS8_4ELb0ES6_15HIP_vector_typeIjLj2EENS0_17counting_iteratorIjlEEPS9_SG_NS0_5tupleIJPjSI_NS0_16reverse_iteratorISI_EEEEENSH_IJSG_SG_SG_EEES9_SI_JZNS1_25segmented_radix_sort_implINS0_14default_configELb0EPK6__halfPSP_PKlPlN2at6native12_GLOBAL__N_18offset_tEEE10hipError_tPvRmT1_PNSt15iterator_traitsIS13_E10value_typeET2_T3_PNS14_IS19_E10value_typeET4_jRbjT5_S1F_jjP12ihipStream_tbEUljE_ZNSN_ISO_Lb0ESR_SS_SU_SV_SZ_EES10_S11_S12_S13_S17_S18_S19_S1C_S1D_jS1E_jS1F_S1F_jjS1H_bEUljE0_EEES10_S11_S12_S19_S1D_S1F_T6_T7_T9_mT8_S1H_bDpT10_ENKUlT_T0_E_clISt17integral_constantIbLb0EES1U_IbLb1EEEEDaS1Q_S1R_EUlS1Q_E_NS1_11comp_targetILNS1_3genE4ELNS1_11target_archE910ELNS1_3gpuE8ELNS1_3repE0EEENS1_30default_config_static_selectorELNS0_4arch9wavefront6targetE1EEEvS13_.has_dyn_sized_stack, 0
	.set _ZN7rocprim17ROCPRIM_400000_NS6detail17trampoline_kernelINS0_13select_configILj256ELj13ELNS0_17block_load_methodE3ELS4_3ELS4_3ELNS0_20block_scan_algorithmE0ELj4294967295EEENS1_25partition_config_selectorILNS1_17partition_subalgoE4EjNS0_10empty_typeEbEEZZNS1_14partition_implILS8_4ELb0ES6_15HIP_vector_typeIjLj2EENS0_17counting_iteratorIjlEEPS9_SG_NS0_5tupleIJPjSI_NS0_16reverse_iteratorISI_EEEEENSH_IJSG_SG_SG_EEES9_SI_JZNS1_25segmented_radix_sort_implINS0_14default_configELb0EPK6__halfPSP_PKlPlN2at6native12_GLOBAL__N_18offset_tEEE10hipError_tPvRmT1_PNSt15iterator_traitsIS13_E10value_typeET2_T3_PNS14_IS19_E10value_typeET4_jRbjT5_S1F_jjP12ihipStream_tbEUljE_ZNSN_ISO_Lb0ESR_SS_SU_SV_SZ_EES10_S11_S12_S13_S17_S18_S19_S1C_S1D_jS1E_jS1F_S1F_jjS1H_bEUljE0_EEES10_S11_S12_S19_S1D_S1F_T6_T7_T9_mT8_S1H_bDpT10_ENKUlT_T0_E_clISt17integral_constantIbLb0EES1U_IbLb1EEEEDaS1Q_S1R_EUlS1Q_E_NS1_11comp_targetILNS1_3genE4ELNS1_11target_archE910ELNS1_3gpuE8ELNS1_3repE0EEENS1_30default_config_static_selectorELNS0_4arch9wavefront6targetE1EEEvS13_.has_recursion, 0
	.set _ZN7rocprim17ROCPRIM_400000_NS6detail17trampoline_kernelINS0_13select_configILj256ELj13ELNS0_17block_load_methodE3ELS4_3ELS4_3ELNS0_20block_scan_algorithmE0ELj4294967295EEENS1_25partition_config_selectorILNS1_17partition_subalgoE4EjNS0_10empty_typeEbEEZZNS1_14partition_implILS8_4ELb0ES6_15HIP_vector_typeIjLj2EENS0_17counting_iteratorIjlEEPS9_SG_NS0_5tupleIJPjSI_NS0_16reverse_iteratorISI_EEEEENSH_IJSG_SG_SG_EEES9_SI_JZNS1_25segmented_radix_sort_implINS0_14default_configELb0EPK6__halfPSP_PKlPlN2at6native12_GLOBAL__N_18offset_tEEE10hipError_tPvRmT1_PNSt15iterator_traitsIS13_E10value_typeET2_T3_PNS14_IS19_E10value_typeET4_jRbjT5_S1F_jjP12ihipStream_tbEUljE_ZNSN_ISO_Lb0ESR_SS_SU_SV_SZ_EES10_S11_S12_S13_S17_S18_S19_S1C_S1D_jS1E_jS1F_S1F_jjS1H_bEUljE0_EEES10_S11_S12_S19_S1D_S1F_T6_T7_T9_mT8_S1H_bDpT10_ENKUlT_T0_E_clISt17integral_constantIbLb0EES1U_IbLb1EEEEDaS1Q_S1R_EUlS1Q_E_NS1_11comp_targetILNS1_3genE4ELNS1_11target_archE910ELNS1_3gpuE8ELNS1_3repE0EEENS1_30default_config_static_selectorELNS0_4arch9wavefront6targetE1EEEvS13_.has_indirect_call, 0
	.section	.AMDGPU.csdata,"",@progbits
; Kernel info:
; codeLenInByte = 0
; TotalNumSgprs: 4
; NumVgprs: 0
; ScratchSize: 0
; MemoryBound: 0
; FloatMode: 240
; IeeeMode: 1
; LDSByteSize: 0 bytes/workgroup (compile time only)
; SGPRBlocks: 0
; VGPRBlocks: 0
; NumSGPRsForWavesPerEU: 4
; NumVGPRsForWavesPerEU: 1
; Occupancy: 10
; WaveLimiterHint : 0
; COMPUTE_PGM_RSRC2:SCRATCH_EN: 0
; COMPUTE_PGM_RSRC2:USER_SGPR: 6
; COMPUTE_PGM_RSRC2:TRAP_HANDLER: 0
; COMPUTE_PGM_RSRC2:TGID_X_EN: 1
; COMPUTE_PGM_RSRC2:TGID_Y_EN: 0
; COMPUTE_PGM_RSRC2:TGID_Z_EN: 0
; COMPUTE_PGM_RSRC2:TIDIG_COMP_CNT: 0
	.section	.text._ZN7rocprim17ROCPRIM_400000_NS6detail17trampoline_kernelINS0_13select_configILj256ELj13ELNS0_17block_load_methodE3ELS4_3ELS4_3ELNS0_20block_scan_algorithmE0ELj4294967295EEENS1_25partition_config_selectorILNS1_17partition_subalgoE4EjNS0_10empty_typeEbEEZZNS1_14partition_implILS8_4ELb0ES6_15HIP_vector_typeIjLj2EENS0_17counting_iteratorIjlEEPS9_SG_NS0_5tupleIJPjSI_NS0_16reverse_iteratorISI_EEEEENSH_IJSG_SG_SG_EEES9_SI_JZNS1_25segmented_radix_sort_implINS0_14default_configELb0EPK6__halfPSP_PKlPlN2at6native12_GLOBAL__N_18offset_tEEE10hipError_tPvRmT1_PNSt15iterator_traitsIS13_E10value_typeET2_T3_PNS14_IS19_E10value_typeET4_jRbjT5_S1F_jjP12ihipStream_tbEUljE_ZNSN_ISO_Lb0ESR_SS_SU_SV_SZ_EES10_S11_S12_S13_S17_S18_S19_S1C_S1D_jS1E_jS1F_S1F_jjS1H_bEUljE0_EEES10_S11_S12_S19_S1D_S1F_T6_T7_T9_mT8_S1H_bDpT10_ENKUlT_T0_E_clISt17integral_constantIbLb0EES1U_IbLb1EEEEDaS1Q_S1R_EUlS1Q_E_NS1_11comp_targetILNS1_3genE3ELNS1_11target_archE908ELNS1_3gpuE7ELNS1_3repE0EEENS1_30default_config_static_selectorELNS0_4arch9wavefront6targetE1EEEvS13_,"axG",@progbits,_ZN7rocprim17ROCPRIM_400000_NS6detail17trampoline_kernelINS0_13select_configILj256ELj13ELNS0_17block_load_methodE3ELS4_3ELS4_3ELNS0_20block_scan_algorithmE0ELj4294967295EEENS1_25partition_config_selectorILNS1_17partition_subalgoE4EjNS0_10empty_typeEbEEZZNS1_14partition_implILS8_4ELb0ES6_15HIP_vector_typeIjLj2EENS0_17counting_iteratorIjlEEPS9_SG_NS0_5tupleIJPjSI_NS0_16reverse_iteratorISI_EEEEENSH_IJSG_SG_SG_EEES9_SI_JZNS1_25segmented_radix_sort_implINS0_14default_configELb0EPK6__halfPSP_PKlPlN2at6native12_GLOBAL__N_18offset_tEEE10hipError_tPvRmT1_PNSt15iterator_traitsIS13_E10value_typeET2_T3_PNS14_IS19_E10value_typeET4_jRbjT5_S1F_jjP12ihipStream_tbEUljE_ZNSN_ISO_Lb0ESR_SS_SU_SV_SZ_EES10_S11_S12_S13_S17_S18_S19_S1C_S1D_jS1E_jS1F_S1F_jjS1H_bEUljE0_EEES10_S11_S12_S19_S1D_S1F_T6_T7_T9_mT8_S1H_bDpT10_ENKUlT_T0_E_clISt17integral_constantIbLb0EES1U_IbLb1EEEEDaS1Q_S1R_EUlS1Q_E_NS1_11comp_targetILNS1_3genE3ELNS1_11target_archE908ELNS1_3gpuE7ELNS1_3repE0EEENS1_30default_config_static_selectorELNS0_4arch9wavefront6targetE1EEEvS13_,comdat
	.globl	_ZN7rocprim17ROCPRIM_400000_NS6detail17trampoline_kernelINS0_13select_configILj256ELj13ELNS0_17block_load_methodE3ELS4_3ELS4_3ELNS0_20block_scan_algorithmE0ELj4294967295EEENS1_25partition_config_selectorILNS1_17partition_subalgoE4EjNS0_10empty_typeEbEEZZNS1_14partition_implILS8_4ELb0ES6_15HIP_vector_typeIjLj2EENS0_17counting_iteratorIjlEEPS9_SG_NS0_5tupleIJPjSI_NS0_16reverse_iteratorISI_EEEEENSH_IJSG_SG_SG_EEES9_SI_JZNS1_25segmented_radix_sort_implINS0_14default_configELb0EPK6__halfPSP_PKlPlN2at6native12_GLOBAL__N_18offset_tEEE10hipError_tPvRmT1_PNSt15iterator_traitsIS13_E10value_typeET2_T3_PNS14_IS19_E10value_typeET4_jRbjT5_S1F_jjP12ihipStream_tbEUljE_ZNSN_ISO_Lb0ESR_SS_SU_SV_SZ_EES10_S11_S12_S13_S17_S18_S19_S1C_S1D_jS1E_jS1F_S1F_jjS1H_bEUljE0_EEES10_S11_S12_S19_S1D_S1F_T6_T7_T9_mT8_S1H_bDpT10_ENKUlT_T0_E_clISt17integral_constantIbLb0EES1U_IbLb1EEEEDaS1Q_S1R_EUlS1Q_E_NS1_11comp_targetILNS1_3genE3ELNS1_11target_archE908ELNS1_3gpuE7ELNS1_3repE0EEENS1_30default_config_static_selectorELNS0_4arch9wavefront6targetE1EEEvS13_ ; -- Begin function _ZN7rocprim17ROCPRIM_400000_NS6detail17trampoline_kernelINS0_13select_configILj256ELj13ELNS0_17block_load_methodE3ELS4_3ELS4_3ELNS0_20block_scan_algorithmE0ELj4294967295EEENS1_25partition_config_selectorILNS1_17partition_subalgoE4EjNS0_10empty_typeEbEEZZNS1_14partition_implILS8_4ELb0ES6_15HIP_vector_typeIjLj2EENS0_17counting_iteratorIjlEEPS9_SG_NS0_5tupleIJPjSI_NS0_16reverse_iteratorISI_EEEEENSH_IJSG_SG_SG_EEES9_SI_JZNS1_25segmented_radix_sort_implINS0_14default_configELb0EPK6__halfPSP_PKlPlN2at6native12_GLOBAL__N_18offset_tEEE10hipError_tPvRmT1_PNSt15iterator_traitsIS13_E10value_typeET2_T3_PNS14_IS19_E10value_typeET4_jRbjT5_S1F_jjP12ihipStream_tbEUljE_ZNSN_ISO_Lb0ESR_SS_SU_SV_SZ_EES10_S11_S12_S13_S17_S18_S19_S1C_S1D_jS1E_jS1F_S1F_jjS1H_bEUljE0_EEES10_S11_S12_S19_S1D_S1F_T6_T7_T9_mT8_S1H_bDpT10_ENKUlT_T0_E_clISt17integral_constantIbLb0EES1U_IbLb1EEEEDaS1Q_S1R_EUlS1Q_E_NS1_11comp_targetILNS1_3genE3ELNS1_11target_archE908ELNS1_3gpuE7ELNS1_3repE0EEENS1_30default_config_static_selectorELNS0_4arch9wavefront6targetE1EEEvS13_
	.p2align	8
	.type	_ZN7rocprim17ROCPRIM_400000_NS6detail17trampoline_kernelINS0_13select_configILj256ELj13ELNS0_17block_load_methodE3ELS4_3ELS4_3ELNS0_20block_scan_algorithmE0ELj4294967295EEENS1_25partition_config_selectorILNS1_17partition_subalgoE4EjNS0_10empty_typeEbEEZZNS1_14partition_implILS8_4ELb0ES6_15HIP_vector_typeIjLj2EENS0_17counting_iteratorIjlEEPS9_SG_NS0_5tupleIJPjSI_NS0_16reverse_iteratorISI_EEEEENSH_IJSG_SG_SG_EEES9_SI_JZNS1_25segmented_radix_sort_implINS0_14default_configELb0EPK6__halfPSP_PKlPlN2at6native12_GLOBAL__N_18offset_tEEE10hipError_tPvRmT1_PNSt15iterator_traitsIS13_E10value_typeET2_T3_PNS14_IS19_E10value_typeET4_jRbjT5_S1F_jjP12ihipStream_tbEUljE_ZNSN_ISO_Lb0ESR_SS_SU_SV_SZ_EES10_S11_S12_S13_S17_S18_S19_S1C_S1D_jS1E_jS1F_S1F_jjS1H_bEUljE0_EEES10_S11_S12_S19_S1D_S1F_T6_T7_T9_mT8_S1H_bDpT10_ENKUlT_T0_E_clISt17integral_constantIbLb0EES1U_IbLb1EEEEDaS1Q_S1R_EUlS1Q_E_NS1_11comp_targetILNS1_3genE3ELNS1_11target_archE908ELNS1_3gpuE7ELNS1_3repE0EEENS1_30default_config_static_selectorELNS0_4arch9wavefront6targetE1EEEvS13_,@function
_ZN7rocprim17ROCPRIM_400000_NS6detail17trampoline_kernelINS0_13select_configILj256ELj13ELNS0_17block_load_methodE3ELS4_3ELS4_3ELNS0_20block_scan_algorithmE0ELj4294967295EEENS1_25partition_config_selectorILNS1_17partition_subalgoE4EjNS0_10empty_typeEbEEZZNS1_14partition_implILS8_4ELb0ES6_15HIP_vector_typeIjLj2EENS0_17counting_iteratorIjlEEPS9_SG_NS0_5tupleIJPjSI_NS0_16reverse_iteratorISI_EEEEENSH_IJSG_SG_SG_EEES9_SI_JZNS1_25segmented_radix_sort_implINS0_14default_configELb0EPK6__halfPSP_PKlPlN2at6native12_GLOBAL__N_18offset_tEEE10hipError_tPvRmT1_PNSt15iterator_traitsIS13_E10value_typeET2_T3_PNS14_IS19_E10value_typeET4_jRbjT5_S1F_jjP12ihipStream_tbEUljE_ZNSN_ISO_Lb0ESR_SS_SU_SV_SZ_EES10_S11_S12_S13_S17_S18_S19_S1C_S1D_jS1E_jS1F_S1F_jjS1H_bEUljE0_EEES10_S11_S12_S19_S1D_S1F_T6_T7_T9_mT8_S1H_bDpT10_ENKUlT_T0_E_clISt17integral_constantIbLb0EES1U_IbLb1EEEEDaS1Q_S1R_EUlS1Q_E_NS1_11comp_targetILNS1_3genE3ELNS1_11target_archE908ELNS1_3gpuE7ELNS1_3repE0EEENS1_30default_config_static_selectorELNS0_4arch9wavefront6targetE1EEEvS13_: ; @_ZN7rocprim17ROCPRIM_400000_NS6detail17trampoline_kernelINS0_13select_configILj256ELj13ELNS0_17block_load_methodE3ELS4_3ELS4_3ELNS0_20block_scan_algorithmE0ELj4294967295EEENS1_25partition_config_selectorILNS1_17partition_subalgoE4EjNS0_10empty_typeEbEEZZNS1_14partition_implILS8_4ELb0ES6_15HIP_vector_typeIjLj2EENS0_17counting_iteratorIjlEEPS9_SG_NS0_5tupleIJPjSI_NS0_16reverse_iteratorISI_EEEEENSH_IJSG_SG_SG_EEES9_SI_JZNS1_25segmented_radix_sort_implINS0_14default_configELb0EPK6__halfPSP_PKlPlN2at6native12_GLOBAL__N_18offset_tEEE10hipError_tPvRmT1_PNSt15iterator_traitsIS13_E10value_typeET2_T3_PNS14_IS19_E10value_typeET4_jRbjT5_S1F_jjP12ihipStream_tbEUljE_ZNSN_ISO_Lb0ESR_SS_SU_SV_SZ_EES10_S11_S12_S13_S17_S18_S19_S1C_S1D_jS1E_jS1F_S1F_jjS1H_bEUljE0_EEES10_S11_S12_S19_S1D_S1F_T6_T7_T9_mT8_S1H_bDpT10_ENKUlT_T0_E_clISt17integral_constantIbLb0EES1U_IbLb1EEEEDaS1Q_S1R_EUlS1Q_E_NS1_11comp_targetILNS1_3genE3ELNS1_11target_archE908ELNS1_3gpuE7ELNS1_3repE0EEENS1_30default_config_static_selectorELNS0_4arch9wavefront6targetE1EEEvS13_
; %bb.0:
	.section	.rodata,"a",@progbits
	.p2align	6, 0x0
	.amdhsa_kernel _ZN7rocprim17ROCPRIM_400000_NS6detail17trampoline_kernelINS0_13select_configILj256ELj13ELNS0_17block_load_methodE3ELS4_3ELS4_3ELNS0_20block_scan_algorithmE0ELj4294967295EEENS1_25partition_config_selectorILNS1_17partition_subalgoE4EjNS0_10empty_typeEbEEZZNS1_14partition_implILS8_4ELb0ES6_15HIP_vector_typeIjLj2EENS0_17counting_iteratorIjlEEPS9_SG_NS0_5tupleIJPjSI_NS0_16reverse_iteratorISI_EEEEENSH_IJSG_SG_SG_EEES9_SI_JZNS1_25segmented_radix_sort_implINS0_14default_configELb0EPK6__halfPSP_PKlPlN2at6native12_GLOBAL__N_18offset_tEEE10hipError_tPvRmT1_PNSt15iterator_traitsIS13_E10value_typeET2_T3_PNS14_IS19_E10value_typeET4_jRbjT5_S1F_jjP12ihipStream_tbEUljE_ZNSN_ISO_Lb0ESR_SS_SU_SV_SZ_EES10_S11_S12_S13_S17_S18_S19_S1C_S1D_jS1E_jS1F_S1F_jjS1H_bEUljE0_EEES10_S11_S12_S19_S1D_S1F_T6_T7_T9_mT8_S1H_bDpT10_ENKUlT_T0_E_clISt17integral_constantIbLb0EES1U_IbLb1EEEEDaS1Q_S1R_EUlS1Q_E_NS1_11comp_targetILNS1_3genE3ELNS1_11target_archE908ELNS1_3gpuE7ELNS1_3repE0EEENS1_30default_config_static_selectorELNS0_4arch9wavefront6targetE1EEEvS13_
		.amdhsa_group_segment_fixed_size 0
		.amdhsa_private_segment_fixed_size 0
		.amdhsa_kernarg_size 184
		.amdhsa_user_sgpr_count 6
		.amdhsa_user_sgpr_private_segment_buffer 1
		.amdhsa_user_sgpr_dispatch_ptr 0
		.amdhsa_user_sgpr_queue_ptr 0
		.amdhsa_user_sgpr_kernarg_segment_ptr 1
		.amdhsa_user_sgpr_dispatch_id 0
		.amdhsa_user_sgpr_flat_scratch_init 0
		.amdhsa_user_sgpr_private_segment_size 0
		.amdhsa_uses_dynamic_stack 0
		.amdhsa_system_sgpr_private_segment_wavefront_offset 0
		.amdhsa_system_sgpr_workgroup_id_x 1
		.amdhsa_system_sgpr_workgroup_id_y 0
		.amdhsa_system_sgpr_workgroup_id_z 0
		.amdhsa_system_sgpr_workgroup_info 0
		.amdhsa_system_vgpr_workitem_id 0
		.amdhsa_next_free_vgpr 1
		.amdhsa_next_free_sgpr 0
		.amdhsa_reserve_vcc 0
		.amdhsa_reserve_flat_scratch 0
		.amdhsa_float_round_mode_32 0
		.amdhsa_float_round_mode_16_64 0
		.amdhsa_float_denorm_mode_32 3
		.amdhsa_float_denorm_mode_16_64 3
		.amdhsa_dx10_clamp 1
		.amdhsa_ieee_mode 1
		.amdhsa_fp16_overflow 0
		.amdhsa_exception_fp_ieee_invalid_op 0
		.amdhsa_exception_fp_denorm_src 0
		.amdhsa_exception_fp_ieee_div_zero 0
		.amdhsa_exception_fp_ieee_overflow 0
		.amdhsa_exception_fp_ieee_underflow 0
		.amdhsa_exception_fp_ieee_inexact 0
		.amdhsa_exception_int_div_zero 0
	.end_amdhsa_kernel
	.section	.text._ZN7rocprim17ROCPRIM_400000_NS6detail17trampoline_kernelINS0_13select_configILj256ELj13ELNS0_17block_load_methodE3ELS4_3ELS4_3ELNS0_20block_scan_algorithmE0ELj4294967295EEENS1_25partition_config_selectorILNS1_17partition_subalgoE4EjNS0_10empty_typeEbEEZZNS1_14partition_implILS8_4ELb0ES6_15HIP_vector_typeIjLj2EENS0_17counting_iteratorIjlEEPS9_SG_NS0_5tupleIJPjSI_NS0_16reverse_iteratorISI_EEEEENSH_IJSG_SG_SG_EEES9_SI_JZNS1_25segmented_radix_sort_implINS0_14default_configELb0EPK6__halfPSP_PKlPlN2at6native12_GLOBAL__N_18offset_tEEE10hipError_tPvRmT1_PNSt15iterator_traitsIS13_E10value_typeET2_T3_PNS14_IS19_E10value_typeET4_jRbjT5_S1F_jjP12ihipStream_tbEUljE_ZNSN_ISO_Lb0ESR_SS_SU_SV_SZ_EES10_S11_S12_S13_S17_S18_S19_S1C_S1D_jS1E_jS1F_S1F_jjS1H_bEUljE0_EEES10_S11_S12_S19_S1D_S1F_T6_T7_T9_mT8_S1H_bDpT10_ENKUlT_T0_E_clISt17integral_constantIbLb0EES1U_IbLb1EEEEDaS1Q_S1R_EUlS1Q_E_NS1_11comp_targetILNS1_3genE3ELNS1_11target_archE908ELNS1_3gpuE7ELNS1_3repE0EEENS1_30default_config_static_selectorELNS0_4arch9wavefront6targetE1EEEvS13_,"axG",@progbits,_ZN7rocprim17ROCPRIM_400000_NS6detail17trampoline_kernelINS0_13select_configILj256ELj13ELNS0_17block_load_methodE3ELS4_3ELS4_3ELNS0_20block_scan_algorithmE0ELj4294967295EEENS1_25partition_config_selectorILNS1_17partition_subalgoE4EjNS0_10empty_typeEbEEZZNS1_14partition_implILS8_4ELb0ES6_15HIP_vector_typeIjLj2EENS0_17counting_iteratorIjlEEPS9_SG_NS0_5tupleIJPjSI_NS0_16reverse_iteratorISI_EEEEENSH_IJSG_SG_SG_EEES9_SI_JZNS1_25segmented_radix_sort_implINS0_14default_configELb0EPK6__halfPSP_PKlPlN2at6native12_GLOBAL__N_18offset_tEEE10hipError_tPvRmT1_PNSt15iterator_traitsIS13_E10value_typeET2_T3_PNS14_IS19_E10value_typeET4_jRbjT5_S1F_jjP12ihipStream_tbEUljE_ZNSN_ISO_Lb0ESR_SS_SU_SV_SZ_EES10_S11_S12_S13_S17_S18_S19_S1C_S1D_jS1E_jS1F_S1F_jjS1H_bEUljE0_EEES10_S11_S12_S19_S1D_S1F_T6_T7_T9_mT8_S1H_bDpT10_ENKUlT_T0_E_clISt17integral_constantIbLb0EES1U_IbLb1EEEEDaS1Q_S1R_EUlS1Q_E_NS1_11comp_targetILNS1_3genE3ELNS1_11target_archE908ELNS1_3gpuE7ELNS1_3repE0EEENS1_30default_config_static_selectorELNS0_4arch9wavefront6targetE1EEEvS13_,comdat
.Lfunc_end1805:
	.size	_ZN7rocprim17ROCPRIM_400000_NS6detail17trampoline_kernelINS0_13select_configILj256ELj13ELNS0_17block_load_methodE3ELS4_3ELS4_3ELNS0_20block_scan_algorithmE0ELj4294967295EEENS1_25partition_config_selectorILNS1_17partition_subalgoE4EjNS0_10empty_typeEbEEZZNS1_14partition_implILS8_4ELb0ES6_15HIP_vector_typeIjLj2EENS0_17counting_iteratorIjlEEPS9_SG_NS0_5tupleIJPjSI_NS0_16reverse_iteratorISI_EEEEENSH_IJSG_SG_SG_EEES9_SI_JZNS1_25segmented_radix_sort_implINS0_14default_configELb0EPK6__halfPSP_PKlPlN2at6native12_GLOBAL__N_18offset_tEEE10hipError_tPvRmT1_PNSt15iterator_traitsIS13_E10value_typeET2_T3_PNS14_IS19_E10value_typeET4_jRbjT5_S1F_jjP12ihipStream_tbEUljE_ZNSN_ISO_Lb0ESR_SS_SU_SV_SZ_EES10_S11_S12_S13_S17_S18_S19_S1C_S1D_jS1E_jS1F_S1F_jjS1H_bEUljE0_EEES10_S11_S12_S19_S1D_S1F_T6_T7_T9_mT8_S1H_bDpT10_ENKUlT_T0_E_clISt17integral_constantIbLb0EES1U_IbLb1EEEEDaS1Q_S1R_EUlS1Q_E_NS1_11comp_targetILNS1_3genE3ELNS1_11target_archE908ELNS1_3gpuE7ELNS1_3repE0EEENS1_30default_config_static_selectorELNS0_4arch9wavefront6targetE1EEEvS13_, .Lfunc_end1805-_ZN7rocprim17ROCPRIM_400000_NS6detail17trampoline_kernelINS0_13select_configILj256ELj13ELNS0_17block_load_methodE3ELS4_3ELS4_3ELNS0_20block_scan_algorithmE0ELj4294967295EEENS1_25partition_config_selectorILNS1_17partition_subalgoE4EjNS0_10empty_typeEbEEZZNS1_14partition_implILS8_4ELb0ES6_15HIP_vector_typeIjLj2EENS0_17counting_iteratorIjlEEPS9_SG_NS0_5tupleIJPjSI_NS0_16reverse_iteratorISI_EEEEENSH_IJSG_SG_SG_EEES9_SI_JZNS1_25segmented_radix_sort_implINS0_14default_configELb0EPK6__halfPSP_PKlPlN2at6native12_GLOBAL__N_18offset_tEEE10hipError_tPvRmT1_PNSt15iterator_traitsIS13_E10value_typeET2_T3_PNS14_IS19_E10value_typeET4_jRbjT5_S1F_jjP12ihipStream_tbEUljE_ZNSN_ISO_Lb0ESR_SS_SU_SV_SZ_EES10_S11_S12_S13_S17_S18_S19_S1C_S1D_jS1E_jS1F_S1F_jjS1H_bEUljE0_EEES10_S11_S12_S19_S1D_S1F_T6_T7_T9_mT8_S1H_bDpT10_ENKUlT_T0_E_clISt17integral_constantIbLb0EES1U_IbLb1EEEEDaS1Q_S1R_EUlS1Q_E_NS1_11comp_targetILNS1_3genE3ELNS1_11target_archE908ELNS1_3gpuE7ELNS1_3repE0EEENS1_30default_config_static_selectorELNS0_4arch9wavefront6targetE1EEEvS13_
                                        ; -- End function
	.set _ZN7rocprim17ROCPRIM_400000_NS6detail17trampoline_kernelINS0_13select_configILj256ELj13ELNS0_17block_load_methodE3ELS4_3ELS4_3ELNS0_20block_scan_algorithmE0ELj4294967295EEENS1_25partition_config_selectorILNS1_17partition_subalgoE4EjNS0_10empty_typeEbEEZZNS1_14partition_implILS8_4ELb0ES6_15HIP_vector_typeIjLj2EENS0_17counting_iteratorIjlEEPS9_SG_NS0_5tupleIJPjSI_NS0_16reverse_iteratorISI_EEEEENSH_IJSG_SG_SG_EEES9_SI_JZNS1_25segmented_radix_sort_implINS0_14default_configELb0EPK6__halfPSP_PKlPlN2at6native12_GLOBAL__N_18offset_tEEE10hipError_tPvRmT1_PNSt15iterator_traitsIS13_E10value_typeET2_T3_PNS14_IS19_E10value_typeET4_jRbjT5_S1F_jjP12ihipStream_tbEUljE_ZNSN_ISO_Lb0ESR_SS_SU_SV_SZ_EES10_S11_S12_S13_S17_S18_S19_S1C_S1D_jS1E_jS1F_S1F_jjS1H_bEUljE0_EEES10_S11_S12_S19_S1D_S1F_T6_T7_T9_mT8_S1H_bDpT10_ENKUlT_T0_E_clISt17integral_constantIbLb0EES1U_IbLb1EEEEDaS1Q_S1R_EUlS1Q_E_NS1_11comp_targetILNS1_3genE3ELNS1_11target_archE908ELNS1_3gpuE7ELNS1_3repE0EEENS1_30default_config_static_selectorELNS0_4arch9wavefront6targetE1EEEvS13_.num_vgpr, 0
	.set _ZN7rocprim17ROCPRIM_400000_NS6detail17trampoline_kernelINS0_13select_configILj256ELj13ELNS0_17block_load_methodE3ELS4_3ELS4_3ELNS0_20block_scan_algorithmE0ELj4294967295EEENS1_25partition_config_selectorILNS1_17partition_subalgoE4EjNS0_10empty_typeEbEEZZNS1_14partition_implILS8_4ELb0ES6_15HIP_vector_typeIjLj2EENS0_17counting_iteratorIjlEEPS9_SG_NS0_5tupleIJPjSI_NS0_16reverse_iteratorISI_EEEEENSH_IJSG_SG_SG_EEES9_SI_JZNS1_25segmented_radix_sort_implINS0_14default_configELb0EPK6__halfPSP_PKlPlN2at6native12_GLOBAL__N_18offset_tEEE10hipError_tPvRmT1_PNSt15iterator_traitsIS13_E10value_typeET2_T3_PNS14_IS19_E10value_typeET4_jRbjT5_S1F_jjP12ihipStream_tbEUljE_ZNSN_ISO_Lb0ESR_SS_SU_SV_SZ_EES10_S11_S12_S13_S17_S18_S19_S1C_S1D_jS1E_jS1F_S1F_jjS1H_bEUljE0_EEES10_S11_S12_S19_S1D_S1F_T6_T7_T9_mT8_S1H_bDpT10_ENKUlT_T0_E_clISt17integral_constantIbLb0EES1U_IbLb1EEEEDaS1Q_S1R_EUlS1Q_E_NS1_11comp_targetILNS1_3genE3ELNS1_11target_archE908ELNS1_3gpuE7ELNS1_3repE0EEENS1_30default_config_static_selectorELNS0_4arch9wavefront6targetE1EEEvS13_.num_agpr, 0
	.set _ZN7rocprim17ROCPRIM_400000_NS6detail17trampoline_kernelINS0_13select_configILj256ELj13ELNS0_17block_load_methodE3ELS4_3ELS4_3ELNS0_20block_scan_algorithmE0ELj4294967295EEENS1_25partition_config_selectorILNS1_17partition_subalgoE4EjNS0_10empty_typeEbEEZZNS1_14partition_implILS8_4ELb0ES6_15HIP_vector_typeIjLj2EENS0_17counting_iteratorIjlEEPS9_SG_NS0_5tupleIJPjSI_NS0_16reverse_iteratorISI_EEEEENSH_IJSG_SG_SG_EEES9_SI_JZNS1_25segmented_radix_sort_implINS0_14default_configELb0EPK6__halfPSP_PKlPlN2at6native12_GLOBAL__N_18offset_tEEE10hipError_tPvRmT1_PNSt15iterator_traitsIS13_E10value_typeET2_T3_PNS14_IS19_E10value_typeET4_jRbjT5_S1F_jjP12ihipStream_tbEUljE_ZNSN_ISO_Lb0ESR_SS_SU_SV_SZ_EES10_S11_S12_S13_S17_S18_S19_S1C_S1D_jS1E_jS1F_S1F_jjS1H_bEUljE0_EEES10_S11_S12_S19_S1D_S1F_T6_T7_T9_mT8_S1H_bDpT10_ENKUlT_T0_E_clISt17integral_constantIbLb0EES1U_IbLb1EEEEDaS1Q_S1R_EUlS1Q_E_NS1_11comp_targetILNS1_3genE3ELNS1_11target_archE908ELNS1_3gpuE7ELNS1_3repE0EEENS1_30default_config_static_selectorELNS0_4arch9wavefront6targetE1EEEvS13_.numbered_sgpr, 0
	.set _ZN7rocprim17ROCPRIM_400000_NS6detail17trampoline_kernelINS0_13select_configILj256ELj13ELNS0_17block_load_methodE3ELS4_3ELS4_3ELNS0_20block_scan_algorithmE0ELj4294967295EEENS1_25partition_config_selectorILNS1_17partition_subalgoE4EjNS0_10empty_typeEbEEZZNS1_14partition_implILS8_4ELb0ES6_15HIP_vector_typeIjLj2EENS0_17counting_iteratorIjlEEPS9_SG_NS0_5tupleIJPjSI_NS0_16reverse_iteratorISI_EEEEENSH_IJSG_SG_SG_EEES9_SI_JZNS1_25segmented_radix_sort_implINS0_14default_configELb0EPK6__halfPSP_PKlPlN2at6native12_GLOBAL__N_18offset_tEEE10hipError_tPvRmT1_PNSt15iterator_traitsIS13_E10value_typeET2_T3_PNS14_IS19_E10value_typeET4_jRbjT5_S1F_jjP12ihipStream_tbEUljE_ZNSN_ISO_Lb0ESR_SS_SU_SV_SZ_EES10_S11_S12_S13_S17_S18_S19_S1C_S1D_jS1E_jS1F_S1F_jjS1H_bEUljE0_EEES10_S11_S12_S19_S1D_S1F_T6_T7_T9_mT8_S1H_bDpT10_ENKUlT_T0_E_clISt17integral_constantIbLb0EES1U_IbLb1EEEEDaS1Q_S1R_EUlS1Q_E_NS1_11comp_targetILNS1_3genE3ELNS1_11target_archE908ELNS1_3gpuE7ELNS1_3repE0EEENS1_30default_config_static_selectorELNS0_4arch9wavefront6targetE1EEEvS13_.num_named_barrier, 0
	.set _ZN7rocprim17ROCPRIM_400000_NS6detail17trampoline_kernelINS0_13select_configILj256ELj13ELNS0_17block_load_methodE3ELS4_3ELS4_3ELNS0_20block_scan_algorithmE0ELj4294967295EEENS1_25partition_config_selectorILNS1_17partition_subalgoE4EjNS0_10empty_typeEbEEZZNS1_14partition_implILS8_4ELb0ES6_15HIP_vector_typeIjLj2EENS0_17counting_iteratorIjlEEPS9_SG_NS0_5tupleIJPjSI_NS0_16reverse_iteratorISI_EEEEENSH_IJSG_SG_SG_EEES9_SI_JZNS1_25segmented_radix_sort_implINS0_14default_configELb0EPK6__halfPSP_PKlPlN2at6native12_GLOBAL__N_18offset_tEEE10hipError_tPvRmT1_PNSt15iterator_traitsIS13_E10value_typeET2_T3_PNS14_IS19_E10value_typeET4_jRbjT5_S1F_jjP12ihipStream_tbEUljE_ZNSN_ISO_Lb0ESR_SS_SU_SV_SZ_EES10_S11_S12_S13_S17_S18_S19_S1C_S1D_jS1E_jS1F_S1F_jjS1H_bEUljE0_EEES10_S11_S12_S19_S1D_S1F_T6_T7_T9_mT8_S1H_bDpT10_ENKUlT_T0_E_clISt17integral_constantIbLb0EES1U_IbLb1EEEEDaS1Q_S1R_EUlS1Q_E_NS1_11comp_targetILNS1_3genE3ELNS1_11target_archE908ELNS1_3gpuE7ELNS1_3repE0EEENS1_30default_config_static_selectorELNS0_4arch9wavefront6targetE1EEEvS13_.private_seg_size, 0
	.set _ZN7rocprim17ROCPRIM_400000_NS6detail17trampoline_kernelINS0_13select_configILj256ELj13ELNS0_17block_load_methodE3ELS4_3ELS4_3ELNS0_20block_scan_algorithmE0ELj4294967295EEENS1_25partition_config_selectorILNS1_17partition_subalgoE4EjNS0_10empty_typeEbEEZZNS1_14partition_implILS8_4ELb0ES6_15HIP_vector_typeIjLj2EENS0_17counting_iteratorIjlEEPS9_SG_NS0_5tupleIJPjSI_NS0_16reverse_iteratorISI_EEEEENSH_IJSG_SG_SG_EEES9_SI_JZNS1_25segmented_radix_sort_implINS0_14default_configELb0EPK6__halfPSP_PKlPlN2at6native12_GLOBAL__N_18offset_tEEE10hipError_tPvRmT1_PNSt15iterator_traitsIS13_E10value_typeET2_T3_PNS14_IS19_E10value_typeET4_jRbjT5_S1F_jjP12ihipStream_tbEUljE_ZNSN_ISO_Lb0ESR_SS_SU_SV_SZ_EES10_S11_S12_S13_S17_S18_S19_S1C_S1D_jS1E_jS1F_S1F_jjS1H_bEUljE0_EEES10_S11_S12_S19_S1D_S1F_T6_T7_T9_mT8_S1H_bDpT10_ENKUlT_T0_E_clISt17integral_constantIbLb0EES1U_IbLb1EEEEDaS1Q_S1R_EUlS1Q_E_NS1_11comp_targetILNS1_3genE3ELNS1_11target_archE908ELNS1_3gpuE7ELNS1_3repE0EEENS1_30default_config_static_selectorELNS0_4arch9wavefront6targetE1EEEvS13_.uses_vcc, 0
	.set _ZN7rocprim17ROCPRIM_400000_NS6detail17trampoline_kernelINS0_13select_configILj256ELj13ELNS0_17block_load_methodE3ELS4_3ELS4_3ELNS0_20block_scan_algorithmE0ELj4294967295EEENS1_25partition_config_selectorILNS1_17partition_subalgoE4EjNS0_10empty_typeEbEEZZNS1_14partition_implILS8_4ELb0ES6_15HIP_vector_typeIjLj2EENS0_17counting_iteratorIjlEEPS9_SG_NS0_5tupleIJPjSI_NS0_16reverse_iteratorISI_EEEEENSH_IJSG_SG_SG_EEES9_SI_JZNS1_25segmented_radix_sort_implINS0_14default_configELb0EPK6__halfPSP_PKlPlN2at6native12_GLOBAL__N_18offset_tEEE10hipError_tPvRmT1_PNSt15iterator_traitsIS13_E10value_typeET2_T3_PNS14_IS19_E10value_typeET4_jRbjT5_S1F_jjP12ihipStream_tbEUljE_ZNSN_ISO_Lb0ESR_SS_SU_SV_SZ_EES10_S11_S12_S13_S17_S18_S19_S1C_S1D_jS1E_jS1F_S1F_jjS1H_bEUljE0_EEES10_S11_S12_S19_S1D_S1F_T6_T7_T9_mT8_S1H_bDpT10_ENKUlT_T0_E_clISt17integral_constantIbLb0EES1U_IbLb1EEEEDaS1Q_S1R_EUlS1Q_E_NS1_11comp_targetILNS1_3genE3ELNS1_11target_archE908ELNS1_3gpuE7ELNS1_3repE0EEENS1_30default_config_static_selectorELNS0_4arch9wavefront6targetE1EEEvS13_.uses_flat_scratch, 0
	.set _ZN7rocprim17ROCPRIM_400000_NS6detail17trampoline_kernelINS0_13select_configILj256ELj13ELNS0_17block_load_methodE3ELS4_3ELS4_3ELNS0_20block_scan_algorithmE0ELj4294967295EEENS1_25partition_config_selectorILNS1_17partition_subalgoE4EjNS0_10empty_typeEbEEZZNS1_14partition_implILS8_4ELb0ES6_15HIP_vector_typeIjLj2EENS0_17counting_iteratorIjlEEPS9_SG_NS0_5tupleIJPjSI_NS0_16reverse_iteratorISI_EEEEENSH_IJSG_SG_SG_EEES9_SI_JZNS1_25segmented_radix_sort_implINS0_14default_configELb0EPK6__halfPSP_PKlPlN2at6native12_GLOBAL__N_18offset_tEEE10hipError_tPvRmT1_PNSt15iterator_traitsIS13_E10value_typeET2_T3_PNS14_IS19_E10value_typeET4_jRbjT5_S1F_jjP12ihipStream_tbEUljE_ZNSN_ISO_Lb0ESR_SS_SU_SV_SZ_EES10_S11_S12_S13_S17_S18_S19_S1C_S1D_jS1E_jS1F_S1F_jjS1H_bEUljE0_EEES10_S11_S12_S19_S1D_S1F_T6_T7_T9_mT8_S1H_bDpT10_ENKUlT_T0_E_clISt17integral_constantIbLb0EES1U_IbLb1EEEEDaS1Q_S1R_EUlS1Q_E_NS1_11comp_targetILNS1_3genE3ELNS1_11target_archE908ELNS1_3gpuE7ELNS1_3repE0EEENS1_30default_config_static_selectorELNS0_4arch9wavefront6targetE1EEEvS13_.has_dyn_sized_stack, 0
	.set _ZN7rocprim17ROCPRIM_400000_NS6detail17trampoline_kernelINS0_13select_configILj256ELj13ELNS0_17block_load_methodE3ELS4_3ELS4_3ELNS0_20block_scan_algorithmE0ELj4294967295EEENS1_25partition_config_selectorILNS1_17partition_subalgoE4EjNS0_10empty_typeEbEEZZNS1_14partition_implILS8_4ELb0ES6_15HIP_vector_typeIjLj2EENS0_17counting_iteratorIjlEEPS9_SG_NS0_5tupleIJPjSI_NS0_16reverse_iteratorISI_EEEEENSH_IJSG_SG_SG_EEES9_SI_JZNS1_25segmented_radix_sort_implINS0_14default_configELb0EPK6__halfPSP_PKlPlN2at6native12_GLOBAL__N_18offset_tEEE10hipError_tPvRmT1_PNSt15iterator_traitsIS13_E10value_typeET2_T3_PNS14_IS19_E10value_typeET4_jRbjT5_S1F_jjP12ihipStream_tbEUljE_ZNSN_ISO_Lb0ESR_SS_SU_SV_SZ_EES10_S11_S12_S13_S17_S18_S19_S1C_S1D_jS1E_jS1F_S1F_jjS1H_bEUljE0_EEES10_S11_S12_S19_S1D_S1F_T6_T7_T9_mT8_S1H_bDpT10_ENKUlT_T0_E_clISt17integral_constantIbLb0EES1U_IbLb1EEEEDaS1Q_S1R_EUlS1Q_E_NS1_11comp_targetILNS1_3genE3ELNS1_11target_archE908ELNS1_3gpuE7ELNS1_3repE0EEENS1_30default_config_static_selectorELNS0_4arch9wavefront6targetE1EEEvS13_.has_recursion, 0
	.set _ZN7rocprim17ROCPRIM_400000_NS6detail17trampoline_kernelINS0_13select_configILj256ELj13ELNS0_17block_load_methodE3ELS4_3ELS4_3ELNS0_20block_scan_algorithmE0ELj4294967295EEENS1_25partition_config_selectorILNS1_17partition_subalgoE4EjNS0_10empty_typeEbEEZZNS1_14partition_implILS8_4ELb0ES6_15HIP_vector_typeIjLj2EENS0_17counting_iteratorIjlEEPS9_SG_NS0_5tupleIJPjSI_NS0_16reverse_iteratorISI_EEEEENSH_IJSG_SG_SG_EEES9_SI_JZNS1_25segmented_radix_sort_implINS0_14default_configELb0EPK6__halfPSP_PKlPlN2at6native12_GLOBAL__N_18offset_tEEE10hipError_tPvRmT1_PNSt15iterator_traitsIS13_E10value_typeET2_T3_PNS14_IS19_E10value_typeET4_jRbjT5_S1F_jjP12ihipStream_tbEUljE_ZNSN_ISO_Lb0ESR_SS_SU_SV_SZ_EES10_S11_S12_S13_S17_S18_S19_S1C_S1D_jS1E_jS1F_S1F_jjS1H_bEUljE0_EEES10_S11_S12_S19_S1D_S1F_T6_T7_T9_mT8_S1H_bDpT10_ENKUlT_T0_E_clISt17integral_constantIbLb0EES1U_IbLb1EEEEDaS1Q_S1R_EUlS1Q_E_NS1_11comp_targetILNS1_3genE3ELNS1_11target_archE908ELNS1_3gpuE7ELNS1_3repE0EEENS1_30default_config_static_selectorELNS0_4arch9wavefront6targetE1EEEvS13_.has_indirect_call, 0
	.section	.AMDGPU.csdata,"",@progbits
; Kernel info:
; codeLenInByte = 0
; TotalNumSgprs: 4
; NumVgprs: 0
; ScratchSize: 0
; MemoryBound: 0
; FloatMode: 240
; IeeeMode: 1
; LDSByteSize: 0 bytes/workgroup (compile time only)
; SGPRBlocks: 0
; VGPRBlocks: 0
; NumSGPRsForWavesPerEU: 4
; NumVGPRsForWavesPerEU: 1
; Occupancy: 10
; WaveLimiterHint : 0
; COMPUTE_PGM_RSRC2:SCRATCH_EN: 0
; COMPUTE_PGM_RSRC2:USER_SGPR: 6
; COMPUTE_PGM_RSRC2:TRAP_HANDLER: 0
; COMPUTE_PGM_RSRC2:TGID_X_EN: 1
; COMPUTE_PGM_RSRC2:TGID_Y_EN: 0
; COMPUTE_PGM_RSRC2:TGID_Z_EN: 0
; COMPUTE_PGM_RSRC2:TIDIG_COMP_CNT: 0
	.section	.text._ZN7rocprim17ROCPRIM_400000_NS6detail17trampoline_kernelINS0_13select_configILj256ELj13ELNS0_17block_load_methodE3ELS4_3ELS4_3ELNS0_20block_scan_algorithmE0ELj4294967295EEENS1_25partition_config_selectorILNS1_17partition_subalgoE4EjNS0_10empty_typeEbEEZZNS1_14partition_implILS8_4ELb0ES6_15HIP_vector_typeIjLj2EENS0_17counting_iteratorIjlEEPS9_SG_NS0_5tupleIJPjSI_NS0_16reverse_iteratorISI_EEEEENSH_IJSG_SG_SG_EEES9_SI_JZNS1_25segmented_radix_sort_implINS0_14default_configELb0EPK6__halfPSP_PKlPlN2at6native12_GLOBAL__N_18offset_tEEE10hipError_tPvRmT1_PNSt15iterator_traitsIS13_E10value_typeET2_T3_PNS14_IS19_E10value_typeET4_jRbjT5_S1F_jjP12ihipStream_tbEUljE_ZNSN_ISO_Lb0ESR_SS_SU_SV_SZ_EES10_S11_S12_S13_S17_S18_S19_S1C_S1D_jS1E_jS1F_S1F_jjS1H_bEUljE0_EEES10_S11_S12_S19_S1D_S1F_T6_T7_T9_mT8_S1H_bDpT10_ENKUlT_T0_E_clISt17integral_constantIbLb0EES1U_IbLb1EEEEDaS1Q_S1R_EUlS1Q_E_NS1_11comp_targetILNS1_3genE2ELNS1_11target_archE906ELNS1_3gpuE6ELNS1_3repE0EEENS1_30default_config_static_selectorELNS0_4arch9wavefront6targetE1EEEvS13_,"axG",@progbits,_ZN7rocprim17ROCPRIM_400000_NS6detail17trampoline_kernelINS0_13select_configILj256ELj13ELNS0_17block_load_methodE3ELS4_3ELS4_3ELNS0_20block_scan_algorithmE0ELj4294967295EEENS1_25partition_config_selectorILNS1_17partition_subalgoE4EjNS0_10empty_typeEbEEZZNS1_14partition_implILS8_4ELb0ES6_15HIP_vector_typeIjLj2EENS0_17counting_iteratorIjlEEPS9_SG_NS0_5tupleIJPjSI_NS0_16reverse_iteratorISI_EEEEENSH_IJSG_SG_SG_EEES9_SI_JZNS1_25segmented_radix_sort_implINS0_14default_configELb0EPK6__halfPSP_PKlPlN2at6native12_GLOBAL__N_18offset_tEEE10hipError_tPvRmT1_PNSt15iterator_traitsIS13_E10value_typeET2_T3_PNS14_IS19_E10value_typeET4_jRbjT5_S1F_jjP12ihipStream_tbEUljE_ZNSN_ISO_Lb0ESR_SS_SU_SV_SZ_EES10_S11_S12_S13_S17_S18_S19_S1C_S1D_jS1E_jS1F_S1F_jjS1H_bEUljE0_EEES10_S11_S12_S19_S1D_S1F_T6_T7_T9_mT8_S1H_bDpT10_ENKUlT_T0_E_clISt17integral_constantIbLb0EES1U_IbLb1EEEEDaS1Q_S1R_EUlS1Q_E_NS1_11comp_targetILNS1_3genE2ELNS1_11target_archE906ELNS1_3gpuE6ELNS1_3repE0EEENS1_30default_config_static_selectorELNS0_4arch9wavefront6targetE1EEEvS13_,comdat
	.globl	_ZN7rocprim17ROCPRIM_400000_NS6detail17trampoline_kernelINS0_13select_configILj256ELj13ELNS0_17block_load_methodE3ELS4_3ELS4_3ELNS0_20block_scan_algorithmE0ELj4294967295EEENS1_25partition_config_selectorILNS1_17partition_subalgoE4EjNS0_10empty_typeEbEEZZNS1_14partition_implILS8_4ELb0ES6_15HIP_vector_typeIjLj2EENS0_17counting_iteratorIjlEEPS9_SG_NS0_5tupleIJPjSI_NS0_16reverse_iteratorISI_EEEEENSH_IJSG_SG_SG_EEES9_SI_JZNS1_25segmented_radix_sort_implINS0_14default_configELb0EPK6__halfPSP_PKlPlN2at6native12_GLOBAL__N_18offset_tEEE10hipError_tPvRmT1_PNSt15iterator_traitsIS13_E10value_typeET2_T3_PNS14_IS19_E10value_typeET4_jRbjT5_S1F_jjP12ihipStream_tbEUljE_ZNSN_ISO_Lb0ESR_SS_SU_SV_SZ_EES10_S11_S12_S13_S17_S18_S19_S1C_S1D_jS1E_jS1F_S1F_jjS1H_bEUljE0_EEES10_S11_S12_S19_S1D_S1F_T6_T7_T9_mT8_S1H_bDpT10_ENKUlT_T0_E_clISt17integral_constantIbLb0EES1U_IbLb1EEEEDaS1Q_S1R_EUlS1Q_E_NS1_11comp_targetILNS1_3genE2ELNS1_11target_archE906ELNS1_3gpuE6ELNS1_3repE0EEENS1_30default_config_static_selectorELNS0_4arch9wavefront6targetE1EEEvS13_ ; -- Begin function _ZN7rocprim17ROCPRIM_400000_NS6detail17trampoline_kernelINS0_13select_configILj256ELj13ELNS0_17block_load_methodE3ELS4_3ELS4_3ELNS0_20block_scan_algorithmE0ELj4294967295EEENS1_25partition_config_selectorILNS1_17partition_subalgoE4EjNS0_10empty_typeEbEEZZNS1_14partition_implILS8_4ELb0ES6_15HIP_vector_typeIjLj2EENS0_17counting_iteratorIjlEEPS9_SG_NS0_5tupleIJPjSI_NS0_16reverse_iteratorISI_EEEEENSH_IJSG_SG_SG_EEES9_SI_JZNS1_25segmented_radix_sort_implINS0_14default_configELb0EPK6__halfPSP_PKlPlN2at6native12_GLOBAL__N_18offset_tEEE10hipError_tPvRmT1_PNSt15iterator_traitsIS13_E10value_typeET2_T3_PNS14_IS19_E10value_typeET4_jRbjT5_S1F_jjP12ihipStream_tbEUljE_ZNSN_ISO_Lb0ESR_SS_SU_SV_SZ_EES10_S11_S12_S13_S17_S18_S19_S1C_S1D_jS1E_jS1F_S1F_jjS1H_bEUljE0_EEES10_S11_S12_S19_S1D_S1F_T6_T7_T9_mT8_S1H_bDpT10_ENKUlT_T0_E_clISt17integral_constantIbLb0EES1U_IbLb1EEEEDaS1Q_S1R_EUlS1Q_E_NS1_11comp_targetILNS1_3genE2ELNS1_11target_archE906ELNS1_3gpuE6ELNS1_3repE0EEENS1_30default_config_static_selectorELNS0_4arch9wavefront6targetE1EEEvS13_
	.p2align	8
	.type	_ZN7rocprim17ROCPRIM_400000_NS6detail17trampoline_kernelINS0_13select_configILj256ELj13ELNS0_17block_load_methodE3ELS4_3ELS4_3ELNS0_20block_scan_algorithmE0ELj4294967295EEENS1_25partition_config_selectorILNS1_17partition_subalgoE4EjNS0_10empty_typeEbEEZZNS1_14partition_implILS8_4ELb0ES6_15HIP_vector_typeIjLj2EENS0_17counting_iteratorIjlEEPS9_SG_NS0_5tupleIJPjSI_NS0_16reverse_iteratorISI_EEEEENSH_IJSG_SG_SG_EEES9_SI_JZNS1_25segmented_radix_sort_implINS0_14default_configELb0EPK6__halfPSP_PKlPlN2at6native12_GLOBAL__N_18offset_tEEE10hipError_tPvRmT1_PNSt15iterator_traitsIS13_E10value_typeET2_T3_PNS14_IS19_E10value_typeET4_jRbjT5_S1F_jjP12ihipStream_tbEUljE_ZNSN_ISO_Lb0ESR_SS_SU_SV_SZ_EES10_S11_S12_S13_S17_S18_S19_S1C_S1D_jS1E_jS1F_S1F_jjS1H_bEUljE0_EEES10_S11_S12_S19_S1D_S1F_T6_T7_T9_mT8_S1H_bDpT10_ENKUlT_T0_E_clISt17integral_constantIbLb0EES1U_IbLb1EEEEDaS1Q_S1R_EUlS1Q_E_NS1_11comp_targetILNS1_3genE2ELNS1_11target_archE906ELNS1_3gpuE6ELNS1_3repE0EEENS1_30default_config_static_selectorELNS0_4arch9wavefront6targetE1EEEvS13_,@function
_ZN7rocprim17ROCPRIM_400000_NS6detail17trampoline_kernelINS0_13select_configILj256ELj13ELNS0_17block_load_methodE3ELS4_3ELS4_3ELNS0_20block_scan_algorithmE0ELj4294967295EEENS1_25partition_config_selectorILNS1_17partition_subalgoE4EjNS0_10empty_typeEbEEZZNS1_14partition_implILS8_4ELb0ES6_15HIP_vector_typeIjLj2EENS0_17counting_iteratorIjlEEPS9_SG_NS0_5tupleIJPjSI_NS0_16reverse_iteratorISI_EEEEENSH_IJSG_SG_SG_EEES9_SI_JZNS1_25segmented_radix_sort_implINS0_14default_configELb0EPK6__halfPSP_PKlPlN2at6native12_GLOBAL__N_18offset_tEEE10hipError_tPvRmT1_PNSt15iterator_traitsIS13_E10value_typeET2_T3_PNS14_IS19_E10value_typeET4_jRbjT5_S1F_jjP12ihipStream_tbEUljE_ZNSN_ISO_Lb0ESR_SS_SU_SV_SZ_EES10_S11_S12_S13_S17_S18_S19_S1C_S1D_jS1E_jS1F_S1F_jjS1H_bEUljE0_EEES10_S11_S12_S19_S1D_S1F_T6_T7_T9_mT8_S1H_bDpT10_ENKUlT_T0_E_clISt17integral_constantIbLb0EES1U_IbLb1EEEEDaS1Q_S1R_EUlS1Q_E_NS1_11comp_targetILNS1_3genE2ELNS1_11target_archE906ELNS1_3gpuE6ELNS1_3repE0EEENS1_30default_config_static_selectorELNS0_4arch9wavefront6targetE1EEEvS13_: ; @_ZN7rocprim17ROCPRIM_400000_NS6detail17trampoline_kernelINS0_13select_configILj256ELj13ELNS0_17block_load_methodE3ELS4_3ELS4_3ELNS0_20block_scan_algorithmE0ELj4294967295EEENS1_25partition_config_selectorILNS1_17partition_subalgoE4EjNS0_10empty_typeEbEEZZNS1_14partition_implILS8_4ELb0ES6_15HIP_vector_typeIjLj2EENS0_17counting_iteratorIjlEEPS9_SG_NS0_5tupleIJPjSI_NS0_16reverse_iteratorISI_EEEEENSH_IJSG_SG_SG_EEES9_SI_JZNS1_25segmented_radix_sort_implINS0_14default_configELb0EPK6__halfPSP_PKlPlN2at6native12_GLOBAL__N_18offset_tEEE10hipError_tPvRmT1_PNSt15iterator_traitsIS13_E10value_typeET2_T3_PNS14_IS19_E10value_typeET4_jRbjT5_S1F_jjP12ihipStream_tbEUljE_ZNSN_ISO_Lb0ESR_SS_SU_SV_SZ_EES10_S11_S12_S13_S17_S18_S19_S1C_S1D_jS1E_jS1F_S1F_jjS1H_bEUljE0_EEES10_S11_S12_S19_S1D_S1F_T6_T7_T9_mT8_S1H_bDpT10_ENKUlT_T0_E_clISt17integral_constantIbLb0EES1U_IbLb1EEEEDaS1Q_S1R_EUlS1Q_E_NS1_11comp_targetILNS1_3genE2ELNS1_11target_archE906ELNS1_3gpuE6ELNS1_3repE0EEENS1_30default_config_static_selectorELNS0_4arch9wavefront6targetE1EEEvS13_
; %bb.0:
	s_load_dwordx2 s[52:53], s[4:5], 0x10
	s_load_dwordx4 s[48:51], s[4:5], 0x28
	s_load_dwordx2 s[30:31], s[4:5], 0x38
	s_load_dwordx4 s[44:47], s[4:5], 0x58
	s_load_dwordx2 s[6:7], s[4:5], 0x68
	s_load_dwordx2 s[54:55], s[4:5], 0x78
	;; [unrolled: 1-line block ×3, first 2 shown]
	s_load_dwordx8 s[36:43], s[4:5], 0x90
	v_cmp_eq_u32_e64 s[0:1], 0, v0
	s_and_saveexec_b64 s[2:3], s[0:1]
	s_cbranch_execz .LBB1806_4
; %bb.1:
	s_mov_b64 s[10:11], exec
	v_mbcnt_lo_u32_b32 v1, s10, 0
	v_mbcnt_hi_u32_b32 v1, s11, v1
	v_cmp_eq_u32_e32 vcc, 0, v1
                                        ; implicit-def: $vgpr2
	s_and_saveexec_b64 s[8:9], vcc
	s_cbranch_execz .LBB1806_3
; %bb.2:
	s_load_dwordx2 s[12:13], s[4:5], 0x88
	s_bcnt1_i32_b64 s10, s[10:11]
	v_mov_b32_e32 v2, 0
	v_mov_b32_e32 v3, s10
	s_waitcnt lgkmcnt(0)
	global_atomic_add v2, v2, v3, s[12:13] glc
.LBB1806_3:
	s_or_b64 exec, exec, s[8:9]
	s_waitcnt vmcnt(0)
	v_readfirstlane_b32 s8, v2
	v_add_u32_e32 v1, s8, v1
	v_mov_b32_e32 v2, 0
	ds_write_b32 v2, v1
.LBB1806_4:
	s_or_b64 exec, exec, s[2:3]
	v_mov_b32_e32 v1, 0
	s_load_dword s2, s[4:5], 0x8
	s_load_dword s8, s[4:5], 0x80
	s_waitcnt lgkmcnt(0)
	s_barrier
	ds_read_b32 v7, v1
	s_waitcnt lgkmcnt(0)
	s_barrier
	global_load_dwordx4 v[1:4], v1, s[46:47]
	s_add_i32 s9, s2, s52
	s_movk_i32 s2, 0xd00
	s_add_i32 s4, s8, -1
	s_mulk_i32 s8, 0xd00
	v_mul_lo_u32 v33, v7, s2
	s_add_u32 s2, s52, s8
	s_addc_u32 s3, s53, 0
	v_mov_b32_e32 v6, s3
	v_mov_b32_e32 v5, s2
	v_readfirstlane_b32 s33, v7
	v_cmp_gt_u64_e32 vcc, s[6:7], v[5:6]
	s_cmp_eq_u32 s33, s4
	v_cmp_ne_u32_e64 s[2:3], s4, v7
	s_cselect_b64 s[34:35], -1, 0
	s_or_b64 s[4:5], vcc, s[2:3]
	v_add_u32_e32 v5, s9, v33
	s_mov_b64 s[2:3], -1
	s_and_b64 vcc, exec, s[4:5]
	v_add_u32_e32 v5, v5, v0
	s_cbranch_vccz .LBB1806_6
; %bb.5:
	v_add_u32_e32 v6, 0x100, v5
	v_lshlrev_b32_e32 v18, 2, v0
	v_add_u32_e32 v7, 0x200, v5
	v_add_u32_e32 v8, 0x300, v5
	v_add_u32_e32 v9, 0x400, v5
	v_add_u32_e32 v10, 0x500, v5
	v_add_u32_e32 v11, 0x600, v5
	v_add_u32_e32 v12, 0x700, v5
	v_add_u32_e32 v13, 0x800, v5
	v_add_u32_e32 v14, 0x900, v5
	v_add_u32_e32 v15, 0xa00, v5
	v_add_u32_e32 v16, 0xb00, v5
	v_add_u32_e32 v17, 0xc00, v5
	ds_write2st64_b32 v18, v5, v6 offset1:4
	ds_write2st64_b32 v18, v7, v8 offset0:8 offset1:12
	ds_write2st64_b32 v18, v9, v10 offset0:16 offset1:20
	;; [unrolled: 1-line block ×5, first 2 shown]
	ds_write_b32 v18, v17 offset:12288
	s_waitcnt vmcnt(0) lgkmcnt(0)
	s_barrier
	s_mov_b64 s[2:3], 0
.LBB1806_6:
	s_andn2_b64 vcc, exec, s[2:3]
	s_add_i32 s8, s8, s52
	s_cbranch_vccnz .LBB1806_8
; %bb.7:
	v_add_u32_e32 v6, 0x100, v5
	v_lshlrev_b32_e32 v18, 2, v0
	v_add_u32_e32 v7, 0x200, v5
	v_add_u32_e32 v8, 0x300, v5
	;; [unrolled: 1-line block ×11, first 2 shown]
	ds_write2st64_b32 v18, v5, v6 offset1:4
	ds_write2st64_b32 v18, v7, v8 offset0:8 offset1:12
	ds_write2st64_b32 v18, v9, v10 offset0:16 offset1:20
	;; [unrolled: 1-line block ×5, first 2 shown]
	ds_write_b32 v18, v17 offset:12288
	s_waitcnt vmcnt(0) lgkmcnt(0)
	s_barrier
.LBB1806_8:
	v_mul_u32_u24_e32 v35, 13, v0
	v_lshlrev_b32_e32 v5, 2, v35
	ds_read_b32 v34, v5 offset:48
	ds_read2_b32 v[13:14], v5 offset0:10 offset1:11
	ds_read2_b32 v[15:16], v5 offset0:8 offset1:9
	ds_read2_b32 v[17:18], v5 offset0:6 offset1:7
	ds_read2_b32 v[19:20], v5 offset0:4 offset1:5
	ds_read2_b32 v[23:24], v5 offset1:1
	ds_read2_b32 v[21:22], v5 offset0:2 offset1:3
	v_cndmask_b32_e64 v5, 0, 1, s[4:5]
	s_sub_i32 s86, s6, s8
	v_cmp_ne_u32_e64 s[2:3], 1, v5
	s_andn2_b64 vcc, exec, s[4:5]
	s_waitcnt vmcnt(0) lgkmcnt(0)
	s_barrier
	s_cbranch_vccnz .LBB1806_36
; %bb.9:
	v_add_u32_e32 v5, s37, v23
	v_add_u32_e32 v6, s39, v23
	v_mul_lo_u32 v5, v5, s36
	v_mul_lo_u32 v6, v6, s38
	s_mov_b64 s[58:59], 0
	s_mov_b64 s[46:47], 0
	v_sub_u32_e32 v5, v5, v6
	v_cmp_lt_u32_e32 vcc, s40, v5
	v_cmp_ge_u32_e64 s[4:5], s40, v5
	s_and_saveexec_b64 s[6:7], s[4:5]
	s_cbranch_execz .LBB1806_11
; %bb.10:
	v_add_u32_e32 v5, s42, v23
	v_add_u32_e32 v6, s56, v23
	v_mul_lo_u32 v5, v5, s41
	v_mul_lo_u32 v6, v6, s43
	v_sub_u32_e32 v5, v5, v6
	v_cmp_lt_u32_e64 s[4:5], s57, v5
	s_and_b64 s[46:47], s[4:5], exec
.LBB1806_11:
	s_or_b64 exec, exec, s[6:7]
	v_add_u32_e32 v5, s37, v24
	v_add_u32_e32 v6, s39, v24
	v_mul_lo_u32 v5, v5, s36
	v_mul_lo_u32 v6, v6, s38
	v_sub_u32_e32 v5, v5, v6
	v_cmp_lt_u32_e64 s[4:5], s40, v5
	v_cmp_ge_u32_e64 s[6:7], s40, v5
	s_and_saveexec_b64 s[8:9], s[6:7]
	s_cbranch_execz .LBB1806_13
; %bb.12:
	v_add_u32_e32 v5, s42, v24
	v_add_u32_e32 v6, s56, v24
	v_mul_lo_u32 v5, v5, s41
	v_mul_lo_u32 v6, v6, s43
	v_sub_u32_e32 v5, v5, v6
	v_cmp_lt_u32_e64 s[6:7], s57, v5
	s_and_b64 s[58:59], s[6:7], exec
.LBB1806_13:
	s_or_b64 exec, exec, s[8:9]
	v_add_u32_e32 v5, s37, v21
	v_add_u32_e32 v6, s39, v21
	v_mul_lo_u32 v5, v5, s36
	v_mul_lo_u32 v6, v6, s38
	s_mov_b64 s[62:63], 0
	s_mov_b64 s[60:61], 0
	v_sub_u32_e32 v5, v5, v6
	v_cmp_lt_u32_e64 s[6:7], s40, v5
	v_cmp_ge_u32_e64 s[8:9], s40, v5
	s_and_saveexec_b64 s[10:11], s[8:9]
	s_cbranch_execz .LBB1806_15
; %bb.14:
	v_add_u32_e32 v5, s42, v21
	v_add_u32_e32 v6, s56, v21
	v_mul_lo_u32 v5, v5, s41
	v_mul_lo_u32 v6, v6, s43
	v_sub_u32_e32 v5, v5, v6
	v_cmp_lt_u32_e64 s[8:9], s57, v5
	s_and_b64 s[60:61], s[8:9], exec
.LBB1806_15:
	s_or_b64 exec, exec, s[10:11]
	v_add_u32_e32 v5, s37, v22
	v_add_u32_e32 v6, s39, v22
	v_mul_lo_u32 v5, v5, s36
	v_mul_lo_u32 v6, v6, s38
	v_sub_u32_e32 v5, v5, v6
	v_cmp_lt_u32_e64 s[8:9], s40, v5
	v_cmp_ge_u32_e64 s[10:11], s40, v5
	s_and_saveexec_b64 s[12:13], s[10:11]
	s_cbranch_execz .LBB1806_17
; %bb.16:
	v_add_u32_e32 v5, s42, v22
	v_add_u32_e32 v6, s56, v22
	v_mul_lo_u32 v5, v5, s41
	v_mul_lo_u32 v6, v6, s43
	v_sub_u32_e32 v5, v5, v6
	v_cmp_lt_u32_e64 s[10:11], s57, v5
	s_and_b64 s[62:63], s[10:11], exec
.LBB1806_17:
	s_or_b64 exec, exec, s[12:13]
	v_add_u32_e32 v5, s37, v19
	v_add_u32_e32 v6, s39, v19
	v_mul_lo_u32 v5, v5, s36
	v_mul_lo_u32 v6, v6, s38
	s_mov_b64 s[66:67], 0
	s_mov_b64 s[64:65], 0
	v_sub_u32_e32 v5, v5, v6
	v_cmp_lt_u32_e64 s[10:11], s40, v5
	;; [unrolled: 40-line block ×6, first 2 shown]
	v_cmp_ge_u32_e64 s[28:29], s40, v5
	s_and_saveexec_b64 s[84:85], s[28:29]
	s_cbranch_execz .LBB1806_35
; %bb.34:
	v_add_u32_e32 v5, s42, v34
	v_add_u32_e32 v6, s56, v34
	v_mul_lo_u32 v5, v5, s41
	v_mul_lo_u32 v6, v6, s43
	v_sub_u32_e32 v5, v5, v6
	v_cmp_lt_u32_e64 s[28:29], s57, v5
	s_and_b64 s[82:83], s[28:29], exec
.LBB1806_35:
	s_or_b64 exec, exec, s[84:85]
	v_cndmask_b32_e64 v6, 0, 1, s[4:5]
	v_cndmask_b32_e64 v5, 0, 1, vcc
	v_cndmask_b32_e64 v8, 0, 1, s[8:9]
	v_lshlrev_b16_e32 v6, 8, v6
	v_cndmask_b32_e64 v7, 0, 1, s[6:7]
	v_or_b32_e32 v5, v5, v6
	v_lshlrev_b16_e32 v6, 8, v8
	v_cndmask_b32_e64 v10, 0, 1, s[12:13]
	v_cndmask_b32_e64 v12, 0, 1, s[16:17]
	v_or_b32_sdwa v6, v7, v6 dst_sel:WORD_1 dst_unused:UNUSED_PAD src0_sel:DWORD src1_sel:DWORD
	v_cndmask_b32_e64 v9, 0, 1, s[10:11]
	v_cndmask_b32_e64 v11, 0, 1, s[14:15]
	v_or_b32_sdwa v36, v5, v6 dst_sel:DWORD dst_unused:UNUSED_PAD src0_sel:WORD_0 src1_sel:DWORD
	v_lshlrev_b16_e32 v5, 8, v10
	v_lshlrev_b16_e32 v6, 8, v12
	v_cndmask_b32_e64 v26, 0, 1, s[20:21]
	v_cndmask_b32_e64 v29, 0, 1, s[24:25]
	v_or_b32_e32 v5, v9, v5
	v_or_b32_sdwa v6, v11, v6 dst_sel:WORD_1 dst_unused:UNUSED_PAD src0_sel:DWORD src1_sel:DWORD
	v_cndmask_b32_e64 v25, 0, 1, s[18:19]
	v_cndmask_b32_e64 v27, 0, 1, s[22:23]
	v_or_b32_sdwa v38, v5, v6 dst_sel:DWORD dst_unused:UNUSED_PAD src0_sel:WORD_0 src1_sel:DWORD
	v_lshlrev_b16_e32 v5, 8, v26
	v_lshlrev_b16_e32 v6, 8, v29
	v_cndmask_b32_e64 v42, 0, 1, s[60:61]
	v_cndmask_b32_e64 v47, 0, 1, s[46:47]
	v_or_b32_e32 v5, v25, v5
	;; [unrolled: 9-line block ×4, first 2 shown]
	v_or_b32_sdwa v6, v39, v6 dst_sel:WORD_1 dst_unused:UNUSED_PAD src0_sel:DWORD src1_sel:DWORD
	v_cndmask_b32_e64 v30, 0, 1, s[74:75]
	v_cndmask_b32_e64 v32, 0, 1, s[70:71]
	v_or_b32_sdwa v37, v5, v6 dst_sel:DWORD dst_unused:UNUSED_PAD src0_sel:WORD_0 src1_sel:DWORD
	v_lshlrev_b16_e32 v5, 8, v31
	v_lshlrev_b16_e32 v6, 8, v28
	v_or_b32_e32 v5, v32, v5
	v_or_b32_sdwa v6, v30, v6 dst_sel:WORD_1 dst_unused:UNUSED_PAD src0_sel:DWORD src1_sel:DWORD
	v_cndmask_b32_e64 v40, 0, 1, s[78:79]
	v_cndmask_b32_e64 v43, 0, 1, s[82:83]
	v_or_b32_sdwa v39, v5, v6 dst_sel:DWORD dst_unused:UNUSED_PAD src0_sel:WORD_0 src1_sel:DWORD
	s_add_i32 s16, s86, 0xd00
	s_and_b64 vcc, exec, s[76:77]
	s_cbranch_vccnz .LBB1806_37
	s_branch .LBB1806_114
.LBB1806_36:
                                        ; implicit-def: $vgpr43
                                        ; implicit-def: $vgpr40
                                        ; implicit-def: $vgpr39
                                        ; implicit-def: $vgpr37
                                        ; implicit-def: $vgpr42
                                        ; implicit-def: $vgpr41
                                        ; implicit-def: $vgpr38
                                        ; implicit-def: $vgpr36
	s_add_i32 s16, s86, 0xd00
	s_cbranch_execz .LBB1806_114
.LBB1806_37:
	v_cmp_gt_u32_e32 vcc, s16, v35
	v_mov_b32_e32 v6, 0
	v_mov_b32_e32 v5, 0
	s_and_saveexec_b64 s[6:7], vcc
	s_cbranch_execz .LBB1806_41
; %bb.38:
	v_add_u32_e32 v5, s37, v23
	v_add_u32_e32 v6, s39, v23
	v_mul_lo_u32 v5, v5, s36
	v_mul_lo_u32 v6, v6, s38
	s_mov_b64 s[10:11], 0
	v_sub_u32_e32 v5, v5, v6
	v_cmp_lt_u32_e32 vcc, s40, v5
	v_cmp_ge_u32_e64 s[4:5], s40, v5
	s_and_saveexec_b64 s[8:9], s[4:5]
	s_cbranch_execz .LBB1806_40
; %bb.39:
	v_add_u32_e32 v5, s42, v23
	v_add_u32_e32 v6, s56, v23
	v_mul_lo_u32 v5, v5, s41
	v_mul_lo_u32 v6, v6, s43
	v_sub_u32_e32 v5, v5, v6
	v_cmp_lt_u32_e64 s[4:5], s57, v5
	s_and_b64 s[10:11], s[4:5], exec
.LBB1806_40:
	s_or_b64 exec, exec, s[8:9]
	v_cndmask_b32_e64 v6, 0, 1, s[10:11]
	v_cndmask_b32_e64 v5, 0, 1, vcc
.LBB1806_41:
	s_or_b64 exec, exec, s[6:7]
	v_lshlrev_b16_e32 v11, 8, v6
	v_add_u32_e32 v6, 1, v35
	v_cmp_le_u32_e32 vcc, s16, v6
	v_lshlrev_b16_e64 v8, 8, 0
                                        ; implicit-def: $vgpr7
                                        ; implicit-def: $vgpr9
                                        ; implicit-def: $vgpr10
                                        ; implicit-def: $vgpr6
                                        ; implicit-def: $vgpr12
	s_and_saveexec_b64 s[4:5], vcc
	s_xor_b64 s[4:5], exec, s[4:5]
; %bb.42:
	v_mov_b32_e32 v6, 8
	v_lshrrev_b32_sdwa v7, v6, v11 dst_sel:BYTE_1 dst_unused:UNUSED_PAD src0_sel:DWORD src1_sel:DWORD
	v_and_b32_e32 v12, 0xff, v5
	v_or_b32_sdwa v5, v11, v7 dst_sel:DWORD dst_unused:UNUSED_PAD src0_sel:BYTE_0 src1_sel:DWORD
	v_mov_b32_e32 v9, 0
	v_lshlrev_b16_e64 v8, 8, 0
	v_lshlrev_b16_e64 v6, 8, 0
	v_and_b32_e32 v10, 0xffff, v5
	v_lshlrev_b16_e64 v7, 8, 0
                                        ; implicit-def: $vgpr5
                                        ; implicit-def: $vgpr11
; %bb.43:
	s_andn2_saveexec_b64 s[6:7], s[4:5]
	s_cbranch_execz .LBB1806_47
; %bb.44:
	v_add_u32_e32 v6, s37, v24
	v_add_u32_e32 v7, s39, v24
	v_mul_lo_u32 v6, v6, s36
	v_mul_lo_u32 v7, v7, s38
	s_mov_b64 s[8:9], 0
	v_sub_u32_e32 v6, v6, v7
	v_cmp_lt_u32_e32 vcc, s40, v6
	v_cmp_ge_u32_e64 s[4:5], s40, v6
	s_and_saveexec_b64 s[10:11], s[4:5]
	s_cbranch_execz .LBB1806_46
; %bb.45:
	v_add_u32_e32 v6, s42, v24
	v_add_u32_e32 v7, s56, v24
	v_mul_lo_u32 v6, v6, s41
	v_mul_lo_u32 v7, v7, s43
	v_sub_u32_e32 v6, v6, v7
	v_cmp_lt_u32_e64 s[4:5], s57, v6
	s_and_b64 s[8:9], s[4:5], exec
.LBB1806_46:
	s_or_b64 exec, exec, s[10:11]
	v_cndmask_b32_e64 v7, 0, 1, vcc
	v_lshlrev_b16_e32 v7, 8, v7
	v_or_b32_sdwa v5, v5, v7 dst_sel:DWORD dst_unused:UNUSED_PAD src0_sel:BYTE_0 src1_sel:DWORD
	v_and_b32_e32 v12, 0xffff, v5
	v_mov_b32_e32 v5, 8
	v_lshrrev_b32_sdwa v5, v5, v11 dst_sel:BYTE_1 dst_unused:UNUSED_PAD src0_sel:DWORD src1_sel:DWORD
	v_or_b32_sdwa v5, v11, v5 dst_sel:DWORD dst_unused:UNUSED_PAD src0_sel:BYTE_0 src1_sel:DWORD
	v_and_b32_e32 v5, 0xffff, v5
	v_cndmask_b32_e64 v7, 0, 1, s[8:9]
	v_mov_b32_e32 v6, 0
	v_mov_b32_e32 v9, 0
	v_lshl_or_b32 v10, v7, 16, v5
	v_lshlrev_b16_e64 v7, 8, 0
.LBB1806_47:
	s_or_b64 exec, exec, s[6:7]
	v_add_u32_e32 v5, 2, v35
	v_cmp_le_u32_e32 vcc, s16, v5
	v_lshrrev_b32_e32 v25, 24, v12
                                        ; implicit-def: $vgpr5
                                        ; implicit-def: $vgpr11
	s_and_saveexec_b64 s[4:5], vcc
	s_xor_b64 s[4:5], exec, s[4:5]
	s_cbranch_execz .LBB1806_49
; %bb.48:
	s_mov_b32 s6, 0x40c0100
	v_perm_b32 v11, v25, v12, s6
	v_mov_b32_e32 v12, 8
	v_lshrrev_b32_sdwa v12, v12, v11 dst_sel:BYTE_1 dst_unused:UNUSED_PAD src0_sel:DWORD src1_sel:DWORD
	v_or_b32_sdwa v12, v11, v12 dst_sel:DWORD dst_unused:UNUSED_PAD src0_sel:BYTE_0 src1_sel:DWORD
	v_and_b32_e32 v12, 0xffff, v12
	s_mov_b32 s6, 0xff000000
	v_and_or_b32 v11, v11, s6, v12
	s_mov_b32 s6, 0x3060504
	v_and_b32_e32 v5, 0xff0000, v10
	v_perm_b32 v8, v8, v8, s6
	s_mov_b32 s6, 0x3020504
	v_perm_b32 v5, v10, v5, s6
                                        ; implicit-def: $vgpr12
                                        ; implicit-def: $vgpr25
                                        ; implicit-def: $vgpr10
.LBB1806_49:
	s_andn2_saveexec_b64 s[6:7], s[4:5]
	s_cbranch_execz .LBB1806_53
; %bb.50:
	v_add_u32_e32 v5, s37, v21
	v_add_u32_e32 v11, s39, v21
	v_mul_lo_u32 v5, v5, s36
	v_mul_lo_u32 v11, v11, s38
	s_mov_b64 s[8:9], 0
	v_sub_u32_e32 v5, v5, v11
	v_cmp_lt_u32_e32 vcc, s40, v5
	v_cmp_ge_u32_e64 s[4:5], s40, v5
	s_and_saveexec_b64 s[10:11], s[4:5]
	s_cbranch_execz .LBB1806_52
; %bb.51:
	v_add_u32_e32 v5, s42, v21
	v_add_u32_e32 v11, s56, v21
	v_mul_lo_u32 v5, v5, s41
	v_mul_lo_u32 v11, v11, s43
	v_sub_u32_e32 v5, v5, v11
	v_cmp_lt_u32_e64 s[4:5], s57, v5
	s_and_b64 s[8:9], s[4:5], exec
.LBB1806_52:
	s_or_b64 exec, exec, s[10:11]
	v_mov_b32_e32 v27, 8
	v_lshrrev_b32_sdwa v11, v27, v12 dst_sel:BYTE_1 dst_unused:UNUSED_PAD src0_sel:DWORD src1_sel:DWORD
	v_cndmask_b32_e64 v5, 0, 1, vcc
	v_or_b32_sdwa v11, v12, v11 dst_sel:DWORD dst_unused:UNUSED_PAD src0_sel:BYTE_0 src1_sel:DWORD
	v_lshlrev_b16_e32 v12, 8, v25
	v_or_b32_sdwa v5, v5, v12 dst_sel:WORD_1 dst_unused:UNUSED_PAD src0_sel:DWORD src1_sel:DWORD
	v_cndmask_b32_e64 v26, 0, 1, s[8:9]
	s_movk_i32 s4, 0xff
	v_or_b32_sdwa v11, v11, v5 dst_sel:DWORD dst_unused:UNUSED_PAD src0_sel:WORD_0 src1_sel:DWORD
	v_lshrrev_b32_sdwa v5, v27, v10 dst_sel:BYTE_1 dst_unused:UNUSED_PAD src0_sel:DWORD src1_sel:DWORD
	v_or_b32_sdwa v5, v10, v5 dst_sel:DWORD dst_unused:UNUSED_PAD src0_sel:BYTE_0 src1_sel:DWORD
	v_lshlrev_b16_e32 v12, 8, v26
	v_and_b32_sdwa v10, v10, s4 dst_sel:DWORD dst_unused:UNUSED_PAD src0_sel:WORD_1 src1_sel:DWORD
	v_or_b32_sdwa v10, v10, v12 dst_sel:WORD_1 dst_unused:UNUSED_PAD src0_sel:DWORD src1_sel:DWORD
	v_or_b32_sdwa v5, v5, v10 dst_sel:DWORD dst_unused:UNUSED_PAD src0_sel:WORD_0 src1_sel:DWORD
.LBB1806_53:
	s_or_b64 exec, exec, s[6:7]
	v_add_u32_e32 v10, 3, v35
	v_cmp_le_u32_e32 vcc, s16, v10
	v_lshrrev_b32_e32 v12, 24, v9
                                        ; implicit-def: $vgpr10
                                        ; implicit-def: $vgpr36
	s_and_saveexec_b64 s[4:5], vcc
	s_xor_b64 s[4:5], exec, s[4:5]
	s_cbranch_execz .LBB1806_55
; %bb.54:
	v_and_b32_e32 v10, 0xff0000, v11
	s_mov_b32 s6, 0x3020504
	s_movk_i32 s7, 0xff
	v_perm_b32 v36, v11, v10, s6
	v_lshlrev_b16_e32 v10, 8, v12
	v_and_b32_sdwa v11, v9, s7 dst_sel:DWORD dst_unused:UNUSED_PAD src0_sel:WORD_1 src1_sel:DWORD
	s_mov_b32 s6, 0x3060504
	v_or_b32_sdwa v10, v11, v10 dst_sel:WORD_1 dst_unused:UNUSED_PAD src0_sel:DWORD src1_sel:DWORD
	v_mov_b32_e32 v11, 8
	v_perm_b32 v8, v8, v8, s6
	v_lshrrev_b32_sdwa v10, v11, v9 dst_sel:BYTE_1 dst_unused:UNUSED_PRESERVE src0_sel:DWORD src1_sel:DWORD
	v_perm_b32 v7, v7, v7, s6
                                        ; implicit-def: $vgpr11
                                        ; implicit-def: $vgpr12
                                        ; implicit-def: $vgpr9
.LBB1806_55:
	s_andn2_saveexec_b64 s[6:7], s[4:5]
	s_cbranch_execz .LBB1806_59
; %bb.56:
	v_add_u32_e32 v10, s37, v22
	v_add_u32_e32 v25, s39, v22
	v_mul_lo_u32 v10, v10, s36
	v_mul_lo_u32 v25, v25, s38
	s_mov_b64 s[8:9], 0
	v_sub_u32_e32 v10, v10, v25
	v_cmp_lt_u32_e32 vcc, s40, v10
	v_cmp_ge_u32_e64 s[4:5], s40, v10
	s_and_saveexec_b64 s[10:11], s[4:5]
	s_cbranch_execz .LBB1806_58
; %bb.57:
	v_add_u32_e32 v10, s42, v22
	v_add_u32_e32 v25, s56, v22
	v_mul_lo_u32 v10, v10, s41
	v_mul_lo_u32 v25, v25, s43
	v_sub_u32_e32 v10, v10, v25
	v_cmp_lt_u32_e64 s[4:5], s57, v10
	s_and_b64 s[8:9], s[4:5], exec
.LBB1806_58:
	s_or_b64 exec, exec, s[10:11]
	v_mov_b32_e32 v26, 8
	v_cndmask_b32_e64 v10, 0, 1, vcc
	s_movk_i32 s4, 0xff
	v_lshrrev_b32_sdwa v27, v26, v11 dst_sel:BYTE_1 dst_unused:UNUSED_PAD src0_sel:DWORD src1_sel:DWORD
	v_or_b32_sdwa v27, v11, v27 dst_sel:DWORD dst_unused:UNUSED_PAD src0_sel:BYTE_0 src1_sel:DWORD
	v_lshlrev_b16_e32 v10, 8, v10
	v_and_b32_sdwa v11, v11, s4 dst_sel:DWORD dst_unused:UNUSED_PAD src0_sel:WORD_1 src1_sel:DWORD
	v_or_b32_sdwa v10, v11, v10 dst_sel:WORD_1 dst_unused:UNUSED_PAD src0_sel:DWORD src1_sel:DWORD
	v_cndmask_b32_e64 v25, 0, 1, s[8:9]
	v_or_b32_sdwa v36, v27, v10 dst_sel:DWORD dst_unused:UNUSED_PAD src0_sel:WORD_0 src1_sel:DWORD
	v_lshlrev_b16_e32 v10, 8, v12
	v_and_b32_sdwa v11, v9, s4 dst_sel:DWORD dst_unused:UNUSED_PAD src0_sel:WORD_1 src1_sel:DWORD
	v_lshrrev_b32_sdwa v9, v26, v9 dst_sel:BYTE_1 dst_unused:UNUSED_PAD src0_sel:DWORD src1_sel:DWORD
	v_or_b32_sdwa v10, v11, v10 dst_sel:WORD_1 dst_unused:UNUSED_PAD src0_sel:DWORD src1_sel:DWORD
	v_or_b32_e32 v9, v25, v9
	v_or_b32_sdwa v10, v9, v10 dst_sel:DWORD dst_unused:UNUSED_PAD src0_sel:WORD_0 src1_sel:DWORD
.LBB1806_59:
	s_or_b64 exec, exec, s[6:7]
	v_add_u32_e32 v9, 4, v35
	v_cmp_le_u32_e32 vcc, s16, v9
	v_lshrrev_b32_e32 v25, 24, v8
	v_lshrrev_b32_e32 v12, 24, v10
                                        ; implicit-def: $vgpr11
                                        ; implicit-def: $vgpr9
	s_and_saveexec_b64 s[4:5], vcc
	s_xor_b64 s[4:5], exec, s[4:5]
	s_cbranch_execz .LBB1806_61
; %bb.60:
	s_movk_i32 s6, 0xff
	v_lshlrev_b16_e32 v9, 8, v25
	v_and_b32_sdwa v25, v8, s6 dst_sel:DWORD dst_unused:UNUSED_PAD src0_sel:WORD_1 src1_sel:DWORD
	v_mov_b32_e32 v11, 8
	v_or_b32_sdwa v9, v25, v9 dst_sel:WORD_1 dst_unused:UNUSED_PAD src0_sel:DWORD src1_sel:DWORD
	v_lshrrev_b32_sdwa v9, v11, v8 dst_sel:BYTE_1 dst_unused:UNUSED_PRESERVE src0_sel:DWORD src1_sel:DWORD
	v_lshlrev_b16_e32 v8, 8, v12
	v_and_b32_sdwa v11, v10, s6 dst_sel:DWORD dst_unused:UNUSED_PAD src0_sel:WORD_1 src1_sel:DWORD
	v_or_b32_e32 v8, v11, v8
	s_mov_b32 s6, 0x5040c00
	v_perm_b32 v11, v8, v10, s6
	s_mov_b32 s6, 0x3060504
	v_perm_b32 v7, v7, v7, s6
                                        ; implicit-def: $vgpr25
                                        ; implicit-def: $vgpr8
                                        ; implicit-def: $vgpr10
                                        ; implicit-def: $vgpr12
.LBB1806_61:
	s_andn2_saveexec_b64 s[6:7], s[4:5]
	s_cbranch_execz .LBB1806_65
; %bb.62:
	v_add_u32_e32 v9, s37, v19
	v_add_u32_e32 v11, s39, v19
	v_mul_lo_u32 v9, v9, s36
	v_mul_lo_u32 v11, v11, s38
	s_mov_b64 s[8:9], 0
	v_sub_u32_e32 v9, v9, v11
	v_cmp_lt_u32_e32 vcc, s40, v9
	v_cmp_ge_u32_e64 s[4:5], s40, v9
	s_and_saveexec_b64 s[10:11], s[4:5]
	s_cbranch_execz .LBB1806_64
; %bb.63:
	v_add_u32_e32 v9, s42, v19
	v_add_u32_e32 v11, s56, v19
	v_mul_lo_u32 v9, v9, s41
	v_mul_lo_u32 v11, v11, s43
	v_sub_u32_e32 v9, v9, v11
	v_cmp_lt_u32_e64 s[4:5], s57, v9
	s_and_b64 s[8:9], s[4:5], exec
.LBB1806_64:
	s_or_b64 exec, exec, s[10:11]
	s_movk_i32 s4, 0xff
	v_lshlrev_b16_e32 v25, 8, v25
	v_and_b32_sdwa v26, v8, s4 dst_sel:DWORD dst_unused:UNUSED_PAD src0_sel:WORD_1 src1_sel:DWORD
	v_or_b32_sdwa v25, v26, v25 dst_sel:WORD_1 dst_unused:UNUSED_PAD src0_sel:DWORD src1_sel:DWORD
	v_mov_b32_e32 v26, 8
	v_cndmask_b32_e64 v9, 0, 1, vcc
	v_lshrrev_b32_sdwa v8, v26, v8 dst_sel:BYTE_1 dst_unused:UNUSED_PAD src0_sel:DWORD src1_sel:DWORD
	v_cndmask_b32_e64 v11, 0, 1, s[8:9]
	v_or_b32_e32 v8, v9, v8
	v_or_b32_sdwa v9, v8, v25 dst_sel:DWORD dst_unused:UNUSED_PAD src0_sel:WORD_0 src1_sel:DWORD
	v_lshlrev_b16_e32 v8, 8, v11
	v_or_b32_sdwa v8, v10, v8 dst_sel:DWORD dst_unused:UNUSED_PAD src0_sel:BYTE_0 src1_sel:DWORD
	v_lshlrev_b16_e32 v11, 8, v12
	v_and_b32_sdwa v10, v10, s4 dst_sel:DWORD dst_unused:UNUSED_PAD src0_sel:WORD_1 src1_sel:DWORD
	v_or_b32_sdwa v10, v10, v11 dst_sel:WORD_1 dst_unused:UNUSED_PAD src0_sel:DWORD src1_sel:DWORD
	v_or_b32_sdwa v11, v8, v10 dst_sel:DWORD dst_unused:UNUSED_PAD src0_sel:WORD_0 src1_sel:DWORD
.LBB1806_65:
	s_or_b64 exec, exec, s[6:7]
	v_add_u32_e32 v8, 5, v35
	v_cmp_le_u32_e32 vcc, s16, v8
	v_lshrrev_b32_e32 v12, 24, v11
	v_lshrrev_b32_e32 v25, 24, v9
                                        ; implicit-def: $vgpr8
                                        ; implicit-def: $vgpr10
	s_and_saveexec_b64 s[4:5], vcc
	s_xor_b64 s[4:5], exec, s[4:5]
	s_cbranch_execz .LBB1806_67
; %bb.66:
	s_mov_b32 s6, 0x40c0100
	v_perm_b32 v8, v12, v11, s6
	s_movk_i32 s6, 0xff
	v_lshlrev_b16_e32 v10, 8, v25
	v_and_b32_sdwa v11, v9, s6 dst_sel:DWORD dst_unused:UNUSED_PAD src0_sel:WORD_1 src1_sel:DWORD
	v_or_b32_e32 v10, v11, v10
	s_mov_b32 s6, 0x5040c00
	v_perm_b32 v10, v10, v9, s6
	v_mov_b32_e32 v9, 8
	v_lshrrev_b32_sdwa v9, v9, v8 dst_sel:BYTE_1 dst_unused:UNUSED_PAD src0_sel:DWORD src1_sel:DWORD
	v_or_b32_sdwa v9, v8, v9 dst_sel:DWORD dst_unused:UNUSED_PAD src0_sel:BYTE_0 src1_sel:DWORD
	v_and_b32_e32 v9, 0xffff, v9
	s_mov_b32 s6, 0xff000000
	v_and_or_b32 v8, v8, s6, v9
	s_mov_b32 s6, 0x3060504
	v_perm_b32 v7, v7, v7, s6
                                        ; implicit-def: $vgpr9
                                        ; implicit-def: $vgpr25
                                        ; implicit-def: $vgpr11
                                        ; implicit-def: $vgpr12
.LBB1806_67:
	s_andn2_saveexec_b64 s[6:7], s[4:5]
	s_cbranch_execz .LBB1806_71
; %bb.68:
	v_add_u32_e32 v8, s37, v20
	v_add_u32_e32 v10, s39, v20
	v_mul_lo_u32 v8, v8, s36
	v_mul_lo_u32 v10, v10, s38
	s_mov_b64 s[8:9], 0
	v_sub_u32_e32 v8, v8, v10
	v_cmp_lt_u32_e32 vcc, s40, v8
	v_cmp_ge_u32_e64 s[4:5], s40, v8
	s_and_saveexec_b64 s[10:11], s[4:5]
	s_cbranch_execz .LBB1806_70
; %bb.69:
	v_add_u32_e32 v8, s42, v20
	v_add_u32_e32 v10, s56, v20
	v_mul_lo_u32 v8, v8, s41
	v_mul_lo_u32 v10, v10, s43
	v_sub_u32_e32 v8, v8, v10
	v_cmp_lt_u32_e64 s[4:5], s57, v8
	s_and_b64 s[8:9], s[4:5], exec
.LBB1806_70:
	s_or_b64 exec, exec, s[10:11]
	v_cndmask_b32_e64 v8, 0, 1, vcc
	v_lshlrev_b16_e32 v8, 8, v8
	s_movk_i32 s4, 0xff
	v_or_b32_sdwa v8, v9, v8 dst_sel:DWORD dst_unused:UNUSED_PAD src0_sel:BYTE_0 src1_sel:DWORD
	v_lshlrev_b16_e32 v10, 8, v25
	v_and_b32_sdwa v9, v9, s4 dst_sel:DWORD dst_unused:UNUSED_PAD src0_sel:WORD_1 src1_sel:DWORD
	v_or_b32_sdwa v9, v9, v10 dst_sel:WORD_1 dst_unused:UNUSED_PAD src0_sel:DWORD src1_sel:DWORD
	v_or_b32_sdwa v10, v8, v9 dst_sel:DWORD dst_unused:UNUSED_PAD src0_sel:WORD_0 src1_sel:DWORD
	v_mov_b32_e32 v8, 8
	v_cndmask_b32_e64 v26, 0, 1, s[8:9]
	v_lshrrev_b32_sdwa v8, v8, v11 dst_sel:BYTE_1 dst_unused:UNUSED_PAD src0_sel:DWORD src1_sel:DWORD
	v_lshlrev_b16_e32 v9, 8, v12
	v_or_b32_sdwa v8, v11, v8 dst_sel:DWORD dst_unused:UNUSED_PAD src0_sel:BYTE_0 src1_sel:DWORD
	v_or_b32_sdwa v9, v26, v9 dst_sel:WORD_1 dst_unused:UNUSED_PAD src0_sel:DWORD src1_sel:DWORD
	v_or_b32_sdwa v8, v8, v9 dst_sel:DWORD dst_unused:UNUSED_PAD src0_sel:WORD_0 src1_sel:DWORD
.LBB1806_71:
	s_or_b64 exec, exec, s[6:7]
	v_add_u32_e32 v9, 6, v35
	v_cmp_le_u32_e32 vcc, s16, v9
	v_lshrrev_b32_e32 v11, 24, v10
                                        ; implicit-def: $vgpr37
                                        ; implicit-def: $vgpr9
	s_and_saveexec_b64 s[4:5], vcc
	s_xor_b64 s[4:5], exec, s[4:5]
	s_cbranch_execz .LBB1806_73
; %bb.72:
	s_mov_b32 s6, 0x40c0100
	v_perm_b32 v9, v11, v10, s6
	v_mov_b32_e32 v10, 8
	v_lshrrev_b32_sdwa v10, v10, v9 dst_sel:BYTE_1 dst_unused:UNUSED_PAD src0_sel:DWORD src1_sel:DWORD
	v_or_b32_sdwa v10, v9, v10 dst_sel:DWORD dst_unused:UNUSED_PAD src0_sel:BYTE_0 src1_sel:DWORD
	v_and_b32_e32 v10, 0xffff, v10
	s_mov_b32 s6, 0xff000000
	v_and_b32_e32 v12, 0xff0000, v8
	v_and_or_b32 v9, v9, s6, v10
	s_mov_b32 s6, 0x3020504
	v_perm_b32 v37, v8, v12, s6
	s_mov_b32 s6, 0x3060504
	v_perm_b32 v7, v7, v7, s6
                                        ; implicit-def: $vgpr10
                                        ; implicit-def: $vgpr11
                                        ; implicit-def: $vgpr8
.LBB1806_73:
	s_andn2_saveexec_b64 s[6:7], s[4:5]
	s_cbranch_execz .LBB1806_77
; %bb.74:
	v_add_u32_e32 v9, s37, v17
	v_add_u32_e32 v12, s39, v17
	v_mul_lo_u32 v9, v9, s36
	v_mul_lo_u32 v12, v12, s38
	s_mov_b64 s[8:9], 0
	v_sub_u32_e32 v9, v9, v12
	v_cmp_lt_u32_e32 vcc, s40, v9
	v_cmp_ge_u32_e64 s[4:5], s40, v9
	s_and_saveexec_b64 s[10:11], s[4:5]
	s_cbranch_execz .LBB1806_76
; %bb.75:
	v_add_u32_e32 v9, s42, v17
	v_add_u32_e32 v12, s56, v17
	v_mul_lo_u32 v9, v9, s41
	v_mul_lo_u32 v12, v12, s43
	v_sub_u32_e32 v9, v9, v12
	v_cmp_lt_u32_e64 s[4:5], s57, v9
	s_and_b64 s[8:9], s[4:5], exec
.LBB1806_76:
	s_or_b64 exec, exec, s[10:11]
	v_mov_b32_e32 v25, 8
	v_cndmask_b32_e64 v9, 0, 1, vcc
	v_lshrrev_b32_sdwa v26, v25, v10 dst_sel:BYTE_1 dst_unused:UNUSED_PAD src0_sel:DWORD src1_sel:DWORD
	v_lshlrev_b16_e32 v11, 8, v11
	v_or_b32_sdwa v10, v10, v26 dst_sel:DWORD dst_unused:UNUSED_PAD src0_sel:BYTE_0 src1_sel:DWORD
	v_or_b32_sdwa v9, v9, v11 dst_sel:WORD_1 dst_unused:UNUSED_PAD src0_sel:DWORD src1_sel:DWORD
	v_cndmask_b32_e64 v12, 0, 1, s[8:9]
	s_movk_i32 s4, 0xff
	v_or_b32_sdwa v9, v10, v9 dst_sel:DWORD dst_unused:UNUSED_PAD src0_sel:WORD_0 src1_sel:DWORD
	v_lshrrev_b32_sdwa v10, v25, v8 dst_sel:BYTE_1 dst_unused:UNUSED_PAD src0_sel:DWORD src1_sel:DWORD
	v_or_b32_sdwa v10, v8, v10 dst_sel:DWORD dst_unused:UNUSED_PAD src0_sel:BYTE_0 src1_sel:DWORD
	v_lshlrev_b16_e32 v11, 8, v12
	v_and_b32_sdwa v8, v8, s4 dst_sel:DWORD dst_unused:UNUSED_PAD src0_sel:WORD_1 src1_sel:DWORD
	v_or_b32_sdwa v8, v8, v11 dst_sel:WORD_1 dst_unused:UNUSED_PAD src0_sel:DWORD src1_sel:DWORD
	v_or_b32_sdwa v37, v10, v8 dst_sel:DWORD dst_unused:UNUSED_PAD src0_sel:WORD_0 src1_sel:DWORD
.LBB1806_77:
	s_or_b64 exec, exec, s[6:7]
	v_add_u32_e32 v8, 7, v35
	v_cmp_le_u32_e32 vcc, s16, v8
	v_lshrrev_b32_e32 v10, 24, v7
                                        ; implicit-def: $vgpr8
                                        ; implicit-def: $vgpr38
	s_and_saveexec_b64 s[4:5], vcc
	s_xor_b64 s[4:5], exec, s[4:5]
; %bb.78:
	v_and_b32_e32 v8, 0xff0000, v9
	s_mov_b32 s6, 0x3020504
	v_perm_b32 v38, v9, v8, s6
	s_movk_i32 s6, 0xff
	v_lshlrev_b16_e32 v8, 8, v10
	v_and_b32_sdwa v9, v7, s6 dst_sel:DWORD dst_unused:UNUSED_PAD src0_sel:WORD_1 src1_sel:DWORD
	v_mov_b32_e32 v11, 8
	v_or_b32_sdwa v8, v9, v8 dst_sel:WORD_1 dst_unused:UNUSED_PAD src0_sel:DWORD src1_sel:DWORD
	v_lshrrev_b32_sdwa v8, v11, v7 dst_sel:BYTE_1 dst_unused:UNUSED_PRESERVE src0_sel:DWORD src1_sel:DWORD
                                        ; implicit-def: $vgpr9
                                        ; implicit-def: $vgpr10
                                        ; implicit-def: $vgpr7
; %bb.79:
	s_andn2_saveexec_b64 s[6:7], s[4:5]
	s_cbranch_execz .LBB1806_83
; %bb.80:
	v_add_u32_e32 v8, s37, v18
	v_add_u32_e32 v11, s39, v18
	v_mul_lo_u32 v8, v8, s36
	v_mul_lo_u32 v11, v11, s38
	s_mov_b64 s[8:9], 0
	v_sub_u32_e32 v8, v8, v11
	v_cmp_lt_u32_e32 vcc, s40, v8
	v_cmp_ge_u32_e64 s[4:5], s40, v8
	s_and_saveexec_b64 s[10:11], s[4:5]
	s_cbranch_execz .LBB1806_82
; %bb.81:
	v_add_u32_e32 v8, s42, v18
	v_add_u32_e32 v11, s56, v18
	v_mul_lo_u32 v8, v8, s41
	v_mul_lo_u32 v11, v11, s43
	v_sub_u32_e32 v8, v8, v11
	v_cmp_lt_u32_e64 s[4:5], s57, v8
	s_and_b64 s[8:9], s[4:5], exec
.LBB1806_82:
	s_or_b64 exec, exec, s[10:11]
	v_mov_b32_e32 v12, 8
	v_cndmask_b32_e64 v8, 0, 1, vcc
	s_movk_i32 s4, 0xff
	v_lshrrev_b32_sdwa v25, v12, v9 dst_sel:BYTE_1 dst_unused:UNUSED_PAD src0_sel:DWORD src1_sel:DWORD
	v_or_b32_sdwa v25, v9, v25 dst_sel:DWORD dst_unused:UNUSED_PAD src0_sel:BYTE_0 src1_sel:DWORD
	v_lshlrev_b16_e32 v8, 8, v8
	v_and_b32_sdwa v9, v9, s4 dst_sel:DWORD dst_unused:UNUSED_PAD src0_sel:WORD_1 src1_sel:DWORD
	v_or_b32_sdwa v8, v9, v8 dst_sel:WORD_1 dst_unused:UNUSED_PAD src0_sel:DWORD src1_sel:DWORD
	v_cndmask_b32_e64 v11, 0, 1, s[8:9]
	v_or_b32_sdwa v38, v25, v8 dst_sel:DWORD dst_unused:UNUSED_PAD src0_sel:WORD_0 src1_sel:DWORD
	v_lshlrev_b16_e32 v8, 8, v10
	v_and_b32_sdwa v9, v7, s4 dst_sel:DWORD dst_unused:UNUSED_PAD src0_sel:WORD_1 src1_sel:DWORD
	v_lshrrev_b32_sdwa v7, v12, v7 dst_sel:BYTE_1 dst_unused:UNUSED_PAD src0_sel:DWORD src1_sel:DWORD
	v_or_b32_sdwa v8, v9, v8 dst_sel:WORD_1 dst_unused:UNUSED_PAD src0_sel:DWORD src1_sel:DWORD
	v_or_b32_e32 v7, v11, v7
	v_or_b32_sdwa v8, v7, v8 dst_sel:DWORD dst_unused:UNUSED_PAD src0_sel:WORD_0 src1_sel:DWORD
.LBB1806_83:
	s_or_b64 exec, exec, s[6:7]
	v_add_u32_e32 v7, 8, v35
	v_cmp_le_u32_e32 vcc, s16, v7
	v_lshrrev_b32_e32 v10, 24, v8
	v_lshrrev_b32_e32 v11, 24, v6
                                        ; implicit-def: $vgpr9
                                        ; implicit-def: $vgpr7
	s_and_saveexec_b64 s[4:5], vcc
	s_xor_b64 s[4:5], exec, s[4:5]
	s_cbranch_execz .LBB1806_85
; %bb.84:
	s_movk_i32 s6, 0xff
	v_lshlrev_b16_e32 v7, 8, v11
	v_and_b32_sdwa v9, v6, s6 dst_sel:DWORD dst_unused:UNUSED_PAD src0_sel:WORD_1 src1_sel:DWORD
	v_or_b32_sdwa v7, v9, v7 dst_sel:WORD_1 dst_unused:UNUSED_PAD src0_sel:DWORD src1_sel:DWORD
	v_mov_b32_e32 v9, 8
	v_lshrrev_b32_sdwa v7, v9, v6 dst_sel:BYTE_1 dst_unused:UNUSED_PRESERVE src0_sel:DWORD src1_sel:DWORD
	v_lshlrev_b16_e32 v6, 8, v10
	v_and_b32_sdwa v9, v8, s6 dst_sel:DWORD dst_unused:UNUSED_PAD src0_sel:WORD_1 src1_sel:DWORD
	s_mov_b32 s7, 0x3060504
	v_or_b32_e32 v6, v9, v6
	s_mov_b32 s6, 0x5040c00
	v_perm_b32 v5, v5, v5, s7
	v_perm_b32 v9, v6, v8, s6
                                        ; implicit-def: $vgpr11
                                        ; implicit-def: $vgpr6
                                        ; implicit-def: $vgpr8
                                        ; implicit-def: $vgpr10
.LBB1806_85:
	s_andn2_saveexec_b64 s[6:7], s[4:5]
	s_cbranch_execz .LBB1806_89
; %bb.86:
	v_add_u32_e32 v7, s37, v15
	v_add_u32_e32 v9, s39, v15
	v_mul_lo_u32 v7, v7, s36
	v_mul_lo_u32 v9, v9, s38
	s_mov_b64 s[8:9], 0
	v_sub_u32_e32 v7, v7, v9
	v_cmp_lt_u32_e32 vcc, s40, v7
	v_cmp_ge_u32_e64 s[4:5], s40, v7
	s_and_saveexec_b64 s[10:11], s[4:5]
	s_cbranch_execz .LBB1806_88
; %bb.87:
	v_add_u32_e32 v7, s42, v15
	v_add_u32_e32 v9, s56, v15
	v_mul_lo_u32 v7, v7, s41
	v_mul_lo_u32 v9, v9, s43
	v_sub_u32_e32 v7, v7, v9
	v_cmp_lt_u32_e64 s[4:5], s57, v7
	s_and_b64 s[8:9], s[4:5], exec
.LBB1806_88:
	s_or_b64 exec, exec, s[10:11]
	s_movk_i32 s4, 0xff
	v_lshlrev_b16_e32 v11, 8, v11
	v_and_b32_sdwa v12, v6, s4 dst_sel:DWORD dst_unused:UNUSED_PAD src0_sel:WORD_1 src1_sel:DWORD
	v_or_b32_sdwa v11, v12, v11 dst_sel:WORD_1 dst_unused:UNUSED_PAD src0_sel:DWORD src1_sel:DWORD
	v_mov_b32_e32 v12, 8
	v_cndmask_b32_e64 v7, 0, 1, vcc
	v_lshrrev_b32_sdwa v6, v12, v6 dst_sel:BYTE_1 dst_unused:UNUSED_PAD src0_sel:DWORD src1_sel:DWORD
	v_cndmask_b32_e64 v9, 0, 1, s[8:9]
	v_or_b32_e32 v6, v7, v6
	v_or_b32_sdwa v7, v6, v11 dst_sel:DWORD dst_unused:UNUSED_PAD src0_sel:WORD_0 src1_sel:DWORD
	v_lshlrev_b16_e32 v6, 8, v9
	v_or_b32_sdwa v6, v8, v6 dst_sel:DWORD dst_unused:UNUSED_PAD src0_sel:BYTE_0 src1_sel:DWORD
	v_lshlrev_b16_e32 v9, 8, v10
	v_and_b32_sdwa v8, v8, s4 dst_sel:DWORD dst_unused:UNUSED_PAD src0_sel:WORD_1 src1_sel:DWORD
	v_or_b32_sdwa v8, v8, v9 dst_sel:WORD_1 dst_unused:UNUSED_PAD src0_sel:DWORD src1_sel:DWORD
	v_or_b32_sdwa v9, v6, v8 dst_sel:DWORD dst_unused:UNUSED_PAD src0_sel:WORD_0 src1_sel:DWORD
.LBB1806_89:
	s_or_b64 exec, exec, s[6:7]
	v_add_u32_e32 v6, 9, v35
	v_cmp_le_u32_e32 vcc, s16, v6
	v_lshrrev_b32_e32 v10, 24, v9
	v_lshrrev_b32_e32 v11, 24, v7
                                        ; implicit-def: $vgpr6
                                        ; implicit-def: $vgpr8
	s_and_saveexec_b64 s[4:5], vcc
	s_xor_b64 s[4:5], exec, s[4:5]
	s_cbranch_execz .LBB1806_91
; %bb.90:
	s_mov_b32 s6, 0x40c0100
	v_perm_b32 v6, v10, v9, s6
	v_mov_b32_e32 v8, 8
	s_movk_i32 s6, 0xff
	v_lshrrev_b32_sdwa v9, v8, v6 dst_sel:BYTE_1 dst_unused:UNUSED_PAD src0_sel:DWORD src1_sel:DWORD
	v_lshlrev_b16_e32 v8, 8, v11
	v_and_b32_sdwa v10, v7, s6 dst_sel:DWORD dst_unused:UNUSED_PAD src0_sel:WORD_1 src1_sel:DWORD
	v_or_b32_e32 v8, v10, v8
	s_mov_b32 s6, 0x5040c00
	v_perm_b32 v8, v8, v7, s6
	s_mov_b32 s6, 0x3060504
	v_or_b32_sdwa v7, v6, v9 dst_sel:DWORD dst_unused:UNUSED_PAD src0_sel:BYTE_0 src1_sel:DWORD
	v_perm_b32 v5, v5, v5, s6
	v_and_b32_e32 v7, 0xffff, v7
	s_mov_b32 s6, 0xff000000
	v_and_or_b32 v6, v6, s6, v7
                                        ; implicit-def: $vgpr7
                                        ; implicit-def: $vgpr11
                                        ; implicit-def: $vgpr9
                                        ; implicit-def: $vgpr10
.LBB1806_91:
	s_andn2_saveexec_b64 s[6:7], s[4:5]
	s_cbranch_execz .LBB1806_95
; %bb.92:
	v_add_u32_e32 v6, s37, v16
	v_add_u32_e32 v8, s39, v16
	v_mul_lo_u32 v6, v6, s36
	v_mul_lo_u32 v8, v8, s38
	s_mov_b64 s[8:9], 0
	v_sub_u32_e32 v6, v6, v8
	v_cmp_lt_u32_e32 vcc, s40, v6
	v_cmp_ge_u32_e64 s[4:5], s40, v6
	s_and_saveexec_b64 s[10:11], s[4:5]
	s_cbranch_execz .LBB1806_94
; %bb.93:
	v_add_u32_e32 v6, s42, v16
	v_add_u32_e32 v8, s56, v16
	v_mul_lo_u32 v6, v6, s41
	v_mul_lo_u32 v8, v8, s43
	v_sub_u32_e32 v6, v6, v8
	v_cmp_lt_u32_e64 s[4:5], s57, v6
	s_and_b64 s[8:9], s[4:5], exec
.LBB1806_94:
	s_or_b64 exec, exec, s[10:11]
	v_cndmask_b32_e64 v6, 0, 1, vcc
	v_lshlrev_b16_e32 v6, 8, v6
	s_movk_i32 s4, 0xff
	v_or_b32_sdwa v6, v7, v6 dst_sel:DWORD dst_unused:UNUSED_PAD src0_sel:BYTE_0 src1_sel:DWORD
	v_lshlrev_b16_e32 v8, 8, v11
	v_and_b32_sdwa v7, v7, s4 dst_sel:DWORD dst_unused:UNUSED_PAD src0_sel:WORD_1 src1_sel:DWORD
	v_or_b32_sdwa v7, v7, v8 dst_sel:WORD_1 dst_unused:UNUSED_PAD src0_sel:DWORD src1_sel:DWORD
	v_or_b32_sdwa v8, v6, v7 dst_sel:DWORD dst_unused:UNUSED_PAD src0_sel:WORD_0 src1_sel:DWORD
	v_mov_b32_e32 v6, 8
	v_cndmask_b32_e64 v12, 0, 1, s[8:9]
	v_lshrrev_b32_sdwa v6, v6, v9 dst_sel:BYTE_1 dst_unused:UNUSED_PAD src0_sel:DWORD src1_sel:DWORD
	v_lshlrev_b16_e32 v7, 8, v10
	v_or_b32_sdwa v6, v9, v6 dst_sel:DWORD dst_unused:UNUSED_PAD src0_sel:BYTE_0 src1_sel:DWORD
	v_or_b32_sdwa v7, v12, v7 dst_sel:WORD_1 dst_unused:UNUSED_PAD src0_sel:DWORD src1_sel:DWORD
	v_or_b32_sdwa v6, v6, v7 dst_sel:DWORD dst_unused:UNUSED_PAD src0_sel:WORD_0 src1_sel:DWORD
.LBB1806_95:
	s_or_b64 exec, exec, s[6:7]
	v_add_u32_e32 v7, 10, v35
	v_cmp_le_u32_e32 vcc, s16, v7
	v_lshrrev_b32_e32 v9, 24, v8
                                        ; implicit-def: $vgpr39
                                        ; implicit-def: $vgpr7
	s_and_saveexec_b64 s[4:5], vcc
	s_xor_b64 s[4:5], exec, s[4:5]
	s_cbranch_execz .LBB1806_97
; %bb.96:
	s_mov_b32 s6, 0x40c0100
	v_perm_b32 v7, v9, v8, s6
	v_mov_b32_e32 v8, 8
	v_lshrrev_b32_sdwa v8, v8, v7 dst_sel:BYTE_1 dst_unused:UNUSED_PAD src0_sel:DWORD src1_sel:DWORD
	v_or_b32_sdwa v8, v7, v8 dst_sel:DWORD dst_unused:UNUSED_PAD src0_sel:BYTE_0 src1_sel:DWORD
	v_and_b32_e32 v8, 0xffff, v8
	s_mov_b32 s6, 0xff000000
	v_and_or_b32 v7, v7, s6, v8
	s_mov_b32 s6, 0x3060504
	v_and_b32_e32 v10, 0xff0000, v6
	v_perm_b32 v5, v5, v5, s6
	s_mov_b32 s6, 0x3020504
	v_perm_b32 v39, v6, v10, s6
                                        ; implicit-def: $vgpr8
                                        ; implicit-def: $vgpr9
                                        ; implicit-def: $vgpr6
.LBB1806_97:
	s_andn2_saveexec_b64 s[6:7], s[4:5]
	s_cbranch_execz .LBB1806_101
; %bb.98:
	v_add_u32_e32 v7, s37, v13
	v_add_u32_e32 v10, s39, v13
	v_mul_lo_u32 v7, v7, s36
	v_mul_lo_u32 v10, v10, s38
	s_mov_b64 s[8:9], 0
	v_sub_u32_e32 v7, v7, v10
	v_cmp_lt_u32_e32 vcc, s40, v7
	v_cmp_ge_u32_e64 s[4:5], s40, v7
	s_and_saveexec_b64 s[10:11], s[4:5]
	s_cbranch_execz .LBB1806_100
; %bb.99:
	v_add_u32_e32 v7, s42, v13
	v_add_u32_e32 v10, s56, v13
	v_mul_lo_u32 v7, v7, s41
	v_mul_lo_u32 v10, v10, s43
	v_sub_u32_e32 v7, v7, v10
	v_cmp_lt_u32_e64 s[4:5], s57, v7
	s_and_b64 s[8:9], s[4:5], exec
.LBB1806_100:
	s_or_b64 exec, exec, s[10:11]
	v_mov_b32_e32 v11, 8
	v_cndmask_b32_e64 v7, 0, 1, vcc
	v_lshrrev_b32_sdwa v12, v11, v8 dst_sel:BYTE_1 dst_unused:UNUSED_PAD src0_sel:DWORD src1_sel:DWORD
	v_lshlrev_b16_e32 v9, 8, v9
	v_or_b32_sdwa v8, v8, v12 dst_sel:DWORD dst_unused:UNUSED_PAD src0_sel:BYTE_0 src1_sel:DWORD
	v_or_b32_sdwa v7, v7, v9 dst_sel:WORD_1 dst_unused:UNUSED_PAD src0_sel:DWORD src1_sel:DWORD
	v_cndmask_b32_e64 v10, 0, 1, s[8:9]
	s_movk_i32 s4, 0xff
	v_or_b32_sdwa v7, v8, v7 dst_sel:DWORD dst_unused:UNUSED_PAD src0_sel:WORD_0 src1_sel:DWORD
	v_lshrrev_b32_sdwa v8, v11, v6 dst_sel:BYTE_1 dst_unused:UNUSED_PAD src0_sel:DWORD src1_sel:DWORD
	v_or_b32_sdwa v8, v6, v8 dst_sel:DWORD dst_unused:UNUSED_PAD src0_sel:BYTE_0 src1_sel:DWORD
	v_lshlrev_b16_e32 v9, 8, v10
	v_and_b32_sdwa v6, v6, s4 dst_sel:DWORD dst_unused:UNUSED_PAD src0_sel:WORD_1 src1_sel:DWORD
	v_or_b32_sdwa v6, v6, v9 dst_sel:WORD_1 dst_unused:UNUSED_PAD src0_sel:DWORD src1_sel:DWORD
	v_or_b32_sdwa v39, v8, v6 dst_sel:DWORD dst_unused:UNUSED_PAD src0_sel:WORD_0 src1_sel:DWORD
.LBB1806_101:
	s_or_b64 exec, exec, s[6:7]
	v_add_u32_e32 v6, 11, v35
	v_mov_b32_e32 v40, 0
	v_cmp_le_u32_e32 vcc, s16, v6
                                        ; implicit-def: $vgpr41
	s_and_saveexec_b64 s[4:5], vcc
	s_xor_b64 s[4:5], exec, s[4:5]
; %bb.102:
	v_and_b32_e32 v6, 0xff0000, v7
	s_mov_b32 s6, 0x3020504
	v_perm_b32 v41, v7, v6, s6
	s_mov_b32 s6, 0x3060504
	v_perm_b32 v5, v5, v5, s6
                                        ; implicit-def: $vgpr7
; %bb.103:
	s_andn2_saveexec_b64 s[6:7], s[4:5]
	s_cbranch_execz .LBB1806_107
; %bb.104:
	v_add_u32_e32 v6, s37, v14
	v_add_u32_e32 v8, s39, v14
	v_mul_lo_u32 v6, v6, s36
	v_mul_lo_u32 v8, v8, s38
	s_mov_b64 s[8:9], 0
	v_sub_u32_e32 v6, v6, v8
	v_cmp_lt_u32_e32 vcc, s40, v6
	v_cmp_ge_u32_e64 s[4:5], s40, v6
	s_and_saveexec_b64 s[10:11], s[4:5]
	s_cbranch_execz .LBB1806_106
; %bb.105:
	v_add_u32_e32 v6, s42, v14
	v_add_u32_e32 v8, s56, v14
	v_mul_lo_u32 v6, v6, s41
	v_mul_lo_u32 v8, v8, s43
	v_sub_u32_e32 v6, v6, v8
	v_cmp_lt_u32_e64 s[4:5], s57, v6
	s_and_b64 s[8:9], s[4:5], exec
.LBB1806_106:
	s_or_b64 exec, exec, s[10:11]
	v_mov_b32_e32 v8, 8
	v_cndmask_b32_e64 v6, 0, 1, vcc
	s_movk_i32 s4, 0xff
	v_lshrrev_b32_sdwa v8, v8, v7 dst_sel:BYTE_1 dst_unused:UNUSED_PAD src0_sel:DWORD src1_sel:DWORD
	v_or_b32_sdwa v8, v7, v8 dst_sel:DWORD dst_unused:UNUSED_PAD src0_sel:BYTE_0 src1_sel:DWORD
	v_lshlrev_b16_e32 v6, 8, v6
	v_and_b32_sdwa v7, v7, s4 dst_sel:DWORD dst_unused:UNUSED_PAD src0_sel:WORD_1 src1_sel:DWORD
	v_or_b32_sdwa v6, v7, v6 dst_sel:WORD_1 dst_unused:UNUSED_PAD src0_sel:DWORD src1_sel:DWORD
	v_cndmask_b32_e64 v40, 0, 1, s[8:9]
	v_or_b32_sdwa v41, v8, v6 dst_sel:DWORD dst_unused:UNUSED_PAD src0_sel:WORD_0 src1_sel:DWORD
.LBB1806_107:
	s_or_b64 exec, exec, s[6:7]
	v_add_u32_e32 v6, 12, v35
	v_cmp_le_u32_e32 vcc, s16, v6
	v_lshrrev_b32_e32 v6, 24, v5
                                        ; implicit-def: $vgpr42
	s_and_saveexec_b64 s[4:5], vcc
	s_xor_b64 s[4:5], exec, s[4:5]
; %bb.108:
	s_movk_i32 s6, 0xff
	v_lshlrev_b16_e32 v6, 8, v6
	v_and_b32_sdwa v8, v5, s6 dst_sel:DWORD dst_unused:UNUSED_PAD src0_sel:WORD_1 src1_sel:DWORD
	v_mov_b32_e32 v7, 8
	v_or_b32_sdwa v42, v8, v6 dst_sel:WORD_1 dst_unused:UNUSED_PAD src0_sel:DWORD src1_sel:DWORD
	v_lshrrev_b32_sdwa v42, v7, v5 dst_sel:BYTE_1 dst_unused:UNUSED_PRESERVE src0_sel:DWORD src1_sel:DWORD
                                        ; implicit-def: $vgpr6
                                        ; implicit-def: $vgpr5
; %bb.109:
	s_or_saveexec_b64 s[6:7], s[4:5]
	v_mov_b32_e32 v43, 0
	s_xor_b64 exec, exec, s[6:7]
	s_cbranch_execz .LBB1806_113
; %bb.110:
	v_add_u32_e32 v7, s37, v34
	v_add_u32_e32 v8, s39, v34
	v_mul_lo_u32 v7, v7, s36
	v_mul_lo_u32 v8, v8, s38
	s_mov_b64 s[8:9], 0
	v_sub_u32_e32 v7, v7, v8
	v_cmp_lt_u32_e32 vcc, s40, v7
	v_cmp_ge_u32_e64 s[4:5], s40, v7
	s_and_saveexec_b64 s[10:11], s[4:5]
	s_cbranch_execz .LBB1806_112
; %bb.111:
	v_add_u32_e32 v7, s42, v34
	v_add_u32_e32 v8, s56, v34
	v_mul_lo_u32 v7, v7, s41
	v_mul_lo_u32 v8, v8, s43
	v_sub_u32_e32 v7, v7, v8
	v_cmp_lt_u32_e64 s[4:5], s57, v7
	s_and_b64 s[8:9], s[4:5], exec
.LBB1806_112:
	s_or_b64 exec, exec, s[10:11]
	s_movk_i32 s4, 0xff
	v_lshlrev_b16_e32 v6, 8, v6
	v_and_b32_sdwa v8, v5, s4 dst_sel:DWORD dst_unused:UNUSED_PAD src0_sel:WORD_1 src1_sel:DWORD
	v_or_b32_sdwa v6, v8, v6 dst_sel:WORD_1 dst_unused:UNUSED_PAD src0_sel:DWORD src1_sel:DWORD
	v_mov_b32_e32 v8, 8
	v_cndmask_b32_e64 v7, 0, 1, vcc
	v_lshrrev_b32_sdwa v5, v8, v5 dst_sel:BYTE_1 dst_unused:UNUSED_PAD src0_sel:DWORD src1_sel:DWORD
	v_or_b32_e32 v5, v7, v5
	v_cndmask_b32_e64 v43, 0, 1, s[8:9]
	v_or_b32_sdwa v42, v5, v6 dst_sel:DWORD dst_unused:UNUSED_PAD src0_sel:WORD_0 src1_sel:DWORD
.LBB1806_113:
	s_or_b64 exec, exec, s[6:7]
.LBB1806_114:
	v_and_b32_e32 v53, 0xff, v36
	v_bfe_u32 v50, v36, 8, 8
	v_bfe_u32 v55, v36, 16, 8
	v_lshrrev_b32_e32 v48, 24, v36
	v_and_b32_e32 v56, 0xff, v38
	v_add3_u32 v8, v50, v53, v55
	v_bfe_u32 v51, v38, 8, 8
	v_bfe_u32 v58, v38, 16, 8
	v_add3_u32 v8, v8, v48, v56
	v_bfe_u32 v54, v42, 8, 8
	v_bfe_u32 v62, v42, 16, 8
	v_lshrrev_b32_e32 v49, 24, v42
	v_lshrrev_b32_e32 v46, 24, v38
	v_and_b32_e32 v59, 0xff, v41
	v_add3_u32 v8, v8, v51, v58
	v_and_b32_e32 v63, 0xff, v37
	v_bfe_u32 v57, v37, 8, 8
	v_bfe_u32 v52, v41, 8, 8
	;; [unrolled: 1-line block ×3, first 2 shown]
	v_add3_u32 v7, v62, v54, v49
	v_add3_u32 v8, v8, v46, v59
	v_bfe_u32 v64, v37, 16, 8
	v_lshrrev_b32_e32 v47, 24, v37
	v_lshrrev_b32_e32 v44, 24, v41
	v_and_b32_e32 v5, 0xff, v42
	v_add3_u32 v7, v7, v63, v57
	v_add3_u32 v8, v8, v52, v61
	v_and_b32_e32 v65, 0xff, v39
	v_bfe_u32 v60, v39, 8, 8
	v_add3_u32 v7, v7, v64, v47
	v_add3_u32 v73, v8, v44, v5
	v_mbcnt_lo_u32_b32 v5, -1, 0
	v_bfe_u32 v66, v39, 16, 8
	v_lshrrev_b32_e32 v45, 24, v39
	v_add3_u32 v7, v7, v65, v60
	v_mbcnt_hi_u32_b32 v68, -1, v5
	v_and_b32_e32 v67, 0xff, v40
	v_and_b32_e32 v6, 0xff, v43
	v_add3_u32 v7, v7, v66, v45
	v_and_b32_e32 v72, 15, v68
	s_cmp_lg_u32 s33, 0
	v_add3_u32 v74, v7, v67, v6
	v_cmp_eq_u32_e64 s[6:7], 0, v72
	v_cmp_lt_u32_e64 s[4:5], 1, v72
	v_cmp_lt_u32_e64 s[10:11], 3, v72
	;; [unrolled: 1-line block ×3, first 2 shown]
	v_and_b32_e32 v71, 16, v68
	v_cmp_lt_u32_e32 vcc, 31, v68
	v_lshrrev_b32_e32 v69, 6, v0
	v_or_b32_e32 v70, 63, v0
	s_cbranch_scc0 .LBB1806_136
; %bb.115:
	v_mov_b32_dpp v5, v73 row_shr:1 row_mask:0xf bank_mask:0xf
	v_mov_b32_dpp v6, v74 row_shr:1 row_mask:0xf bank_mask:0xf
	v_add_u32_e32 v5, v5, v73
	v_add_u32_e32 v6, v6, v74
	v_cndmask_b32_e64 v6, v6, v74, s[6:7]
	v_cndmask_b32_e64 v5, v5, v73, s[6:7]
	s_nop 0
	v_mov_b32_dpp v8, v6 row_shr:2 row_mask:0xf bank_mask:0xf
	v_mov_b32_dpp v7, v5 row_shr:2 row_mask:0xf bank_mask:0xf
	v_add_u32_e32 v7, v5, v7
	v_add_u32_e32 v8, v6, v8
	v_cndmask_b32_e64 v6, v6, v8, s[4:5]
	v_cndmask_b32_e64 v5, v5, v7, s[4:5]
	s_nop 0
	;; [unrolled: 7-line block ×3, first 2 shown]
	v_mov_b32_dpp v8, v6 row_shr:8 row_mask:0xf bank_mask:0xf
	v_mov_b32_dpp v7, v5 row_shr:8 row_mask:0xf bank_mask:0xf
	v_add_u32_e32 v7, v5, v7
	v_add_u32_e32 v8, v6, v8
	v_cndmask_b32_e64 v6, v6, v8, s[8:9]
	v_cndmask_b32_e64 v7, v5, v7, s[8:9]
	v_cmp_eq_u32_e64 s[8:9], 0, v71
	v_mov_b32_dpp v8, v6 row_bcast:15 row_mask:0xf bank_mask:0xf
	v_mov_b32_dpp v5, v7 row_bcast:15 row_mask:0xf bank_mask:0xf
	v_add_u32_e32 v9, v7, v5
	v_add_u32_e32 v5, v6, v8
	v_cndmask_b32_e64 v5, v5, v6, s[8:9]
	v_cndmask_b32_e64 v6, v9, v7, s[8:9]
	v_cmp_eq_u32_e64 s[8:9], v0, v70
	v_mov_b32_dpp v7, v5 row_bcast:31 row_mask:0xf bank_mask:0xf
	v_mov_b32_dpp v8, v6 row_bcast:31 row_mask:0xf bank_mask:0xf
	v_add_u32_e32 v7, v5, v7
	v_add_u32_e32 v8, v6, v8
	s_and_saveexec_b64 s[10:11], s[8:9]
; %bb.116:
	v_lshlrev_b32_e32 v11, 3, v69
	v_cndmask_b32_e32 v10, v5, v7, vcc
	v_cndmask_b32_e32 v9, v6, v8, vcc
	ds_write_b64 v11, v[9:10]
; %bb.117:
	s_or_b64 exec, exec, s[10:11]
	v_cmp_gt_u32_e64 s[8:9], 4, v0
	s_waitcnt lgkmcnt(0)
	s_barrier
	s_and_saveexec_b64 s[10:11], s[8:9]
	s_cbranch_execz .LBB1806_119
; %bb.118:
	v_lshlrev_b32_e32 v11, 3, v0
	ds_read_b64 v[9:10], v11
	v_and_b32_e32 v12, 3, v68
	v_cmp_eq_u32_e64 s[8:9], 0, v12
	s_waitcnt lgkmcnt(0)
	v_mov_b32_dpp v25, v9 row_shr:1 row_mask:0xf bank_mask:0xf
	v_mov_b32_dpp v26, v10 row_shr:1 row_mask:0xf bank_mask:0xf
	v_add_u32_e32 v25, v25, v9
	v_add_u32_e32 v26, v26, v10
	v_cndmask_b32_e64 v10, v26, v10, s[8:9]
	v_cndmask_b32_e64 v9, v25, v9, s[8:9]
	v_cmp_lt_u32_e64 s[8:9], 1, v12
	v_mov_b32_dpp v26, v10 row_shr:2 row_mask:0xf bank_mask:0xf
	v_mov_b32_dpp v25, v9 row_shr:2 row_mask:0xf bank_mask:0xf
	v_cndmask_b32_e64 v12, 0, v25, s[8:9]
	v_cndmask_b32_e64 v25, 0, v26, s[8:9]
	v_add_u32_e32 v10, v25, v10
	v_add_u32_e32 v9, v12, v9
	ds_write_b64 v11, v[9:10]
.LBB1806_119:
	s_or_b64 exec, exec, s[10:11]
	v_cndmask_b32_e32 v5, v5, v7, vcc
	v_cndmask_b32_e32 v6, v6, v8, vcc
	v_cmp_gt_u32_e32 vcc, 64, v0
	v_cmp_lt_u32_e64 s[8:9], 63, v0
	s_waitcnt lgkmcnt(0)
	s_barrier
                                        ; implicit-def: $vgpr25
	s_and_saveexec_b64 s[10:11], s[8:9]
	s_cbranch_execz .LBB1806_121
; %bb.120:
	v_lshl_add_u32 v7, v69, 3, -8
	ds_read_b64 v[25:26], v7
	s_waitcnt lgkmcnt(0)
	v_add_u32_e32 v5, v26, v5
	v_add_u32_e32 v6, v25, v6
.LBB1806_121:
	s_or_b64 exec, exec, s[10:11]
	v_subrev_co_u32_e64 v7, s[8:9], 1, v68
	v_and_b32_e32 v8, 64, v68
	v_cmp_lt_i32_e64 s[10:11], v7, v8
	v_cndmask_b32_e64 v7, v7, v68, s[10:11]
	v_lshlrev_b32_e32 v7, 2, v7
	ds_bpermute_b32 v75, v7, v6
	ds_bpermute_b32 v76, v7, v5
	s_and_saveexec_b64 s[10:11], vcc
	s_cbranch_execz .LBB1806_141
; %bb.122:
	v_mov_b32_e32 v8, 0
	ds_read_b64 v[5:6], v8 offset:24
	s_and_saveexec_b64 s[12:13], s[8:9]
	s_cbranch_execz .LBB1806_124
; %bb.123:
	s_add_i32 s14, s33, 64
	s_mov_b32 s15, 0
	s_lshl_b64 s[14:15], s[14:15], 4
	s_add_u32 s14, s54, s14
	s_addc_u32 s15, s55, s15
	v_mov_b32_e32 v9, s14
	v_mov_b32_e32 v7, 1
	;; [unrolled: 1-line block ×3, first 2 shown]
	s_waitcnt lgkmcnt(0)
	;;#ASMSTART
	global_store_dwordx4 v[9:10], v[5:8] off	
s_waitcnt vmcnt(0)
	;;#ASMEND
.LBB1806_124:
	s_or_b64 exec, exec, s[12:13]
	v_xad_u32 v27, v68, -1, s33
	v_add_u32_e32 v7, 64, v27
	v_lshlrev_b64 v[9:10], 4, v[7:8]
	v_mov_b32_e32 v7, s55
	v_add_co_u32_e32 v28, vcc, s54, v9
	v_addc_co_u32_e32 v29, vcc, v7, v10, vcc
	;;#ASMSTART
	global_load_dwordx4 v[9:12], v[28:29] off glc	
s_waitcnt vmcnt(0)
	;;#ASMEND
	v_cmp_eq_u16_sdwa s[14:15], v11, v8 src0_sel:BYTE_0 src1_sel:DWORD
	s_and_saveexec_b64 s[12:13], s[14:15]
	s_cbranch_execz .LBB1806_128
; %bb.125:
	s_mov_b64 s[14:15], 0
	v_mov_b32_e32 v7, 0
.LBB1806_126:                           ; =>This Inner Loop Header: Depth=1
	;;#ASMSTART
	global_load_dwordx4 v[9:12], v[28:29] off glc	
s_waitcnt vmcnt(0)
	;;#ASMEND
	v_cmp_ne_u16_sdwa s[18:19], v11, v7 src0_sel:BYTE_0 src1_sel:DWORD
	s_or_b64 s[14:15], s[18:19], s[14:15]
	s_andn2_b64 exec, exec, s[14:15]
	s_cbranch_execnz .LBB1806_126
; %bb.127:
	s_or_b64 exec, exec, s[14:15]
.LBB1806_128:
	s_or_b64 exec, exec, s[12:13]
	v_and_b32_e32 v78, 63, v68
	v_cmp_ne_u32_e32 vcc, 63, v78
	v_mov_b32_e32 v77, 2
	v_lshlrev_b64 v[29:30], v68, -1
	v_addc_co_u32_e32 v12, vcc, 0, v68, vcc
	v_cmp_eq_u16_sdwa s[12:13], v11, v77 src0_sel:BYTE_0 src1_sel:DWORD
	v_lshlrev_b32_e32 v79, 2, v12
	v_and_b32_e32 v7, s13, v30
	ds_bpermute_b32 v12, v79, v9
	ds_bpermute_b32 v28, v79, v10
	v_or_b32_e32 v7, 0x80000000, v7
	v_and_b32_e32 v8, s12, v29
	v_ffbl_b32_e32 v7, v7
	v_add_u32_e32 v7, 32, v7
	v_ffbl_b32_e32 v8, v8
	v_min_u32_e32 v7, v8, v7
	s_waitcnt lgkmcnt(1)
	v_add_u32_e32 v8, v12, v9
	s_waitcnt lgkmcnt(0)
	v_add_u32_e32 v12, v28, v10
	v_cmp_lt_u32_e32 vcc, v78, v7
	v_cndmask_b32_e32 v10, v10, v12, vcc
	v_cndmask_b32_e32 v8, v9, v8, vcc
	v_cmp_gt_u32_e32 vcc, 62, v78
	v_cndmask_b32_e64 v9, 0, 2, vcc
	v_add_lshl_u32 v80, v9, v68, 2
	ds_bpermute_b32 v9, v80, v8
	ds_bpermute_b32 v12, v80, v10
	v_add_u32_e32 v81, 2, v78
	v_cmp_gt_u32_e32 vcc, v81, v7
	v_add_u32_e32 v83, 4, v78
	s_waitcnt lgkmcnt(1)
	v_add_u32_e32 v9, v8, v9
	s_waitcnt lgkmcnt(0)
	v_add_u32_e32 v12, v10, v12
	v_cndmask_b32_e32 v10, v12, v10, vcc
	v_cndmask_b32_e32 v8, v9, v8, vcc
	v_cmp_gt_u32_e32 vcc, 60, v78
	v_cndmask_b32_e64 v9, 0, 4, vcc
	v_add_lshl_u32 v82, v9, v68, 2
	ds_bpermute_b32 v9, v82, v8
	ds_bpermute_b32 v12, v82, v10
	v_cmp_gt_u32_e32 vcc, v83, v7
	v_add_u32_e32 v85, 8, v78
	v_add_u32_e32 v87, 16, v78
	s_waitcnt lgkmcnt(1)
	v_add_u32_e32 v9, v8, v9
	s_waitcnt lgkmcnt(0)
	v_add_u32_e32 v12, v10, v12
	v_cndmask_b32_e32 v10, v12, v10, vcc
	v_cndmask_b32_e32 v8, v9, v8, vcc
	v_cmp_gt_u32_e32 vcc, 56, v78
	v_cndmask_b32_e64 v9, 0, 8, vcc
	v_add_lshl_u32 v84, v9, v68, 2
	ds_bpermute_b32 v9, v84, v8
	ds_bpermute_b32 v12, v84, v10
	v_cmp_gt_u32_e32 vcc, v85, v7
	v_add_u32_e32 v89, 32, v78
	v_mov_b32_e32 v28, 0
	s_waitcnt lgkmcnt(1)
	v_add_u32_e32 v9, v8, v9
	s_waitcnt lgkmcnt(0)
	v_add_u32_e32 v12, v10, v12
	v_cndmask_b32_e32 v10, v12, v10, vcc
	v_cndmask_b32_e32 v8, v9, v8, vcc
	v_cmp_gt_u32_e32 vcc, 48, v78
	v_cndmask_b32_e64 v9, 0, 16, vcc
	v_add_lshl_u32 v86, v9, v68, 2
	ds_bpermute_b32 v9, v86, v8
	ds_bpermute_b32 v12, v86, v10
	v_cmp_gt_u32_e32 vcc, v87, v7
	s_waitcnt lgkmcnt(1)
	v_add_u32_e32 v9, v8, v9
	s_waitcnt lgkmcnt(0)
	v_add_u32_e32 v12, v10, v12
	v_cndmask_b32_e32 v8, v9, v8, vcc
	v_mov_b32_e32 v9, 0x80
	v_cndmask_b32_e32 v10, v12, v10, vcc
	v_lshl_or_b32 v88, v68, 2, v9
	ds_bpermute_b32 v9, v88, v8
	ds_bpermute_b32 v12, v88, v10
	v_cmp_le_u32_e32 vcc, v89, v7
	s_waitcnt lgkmcnt(1)
	v_cndmask_b32_e32 v7, 0, v9, vcc
	s_waitcnt lgkmcnt(0)
	v_cndmask_b32_e32 v9, 0, v12, vcc
	v_add_u32_e32 v10, v10, v9
	v_add_u32_e32 v9, v8, v7
	s_branch .LBB1806_132
.LBB1806_129:                           ;   in Loop: Header=BB1806_132 Depth=1
	s_or_b64 exec, exec, s[14:15]
.LBB1806_130:                           ;   in Loop: Header=BB1806_132 Depth=1
	s_or_b64 exec, exec, s[12:13]
	v_cmp_eq_u16_sdwa s[12:13], v11, v77 src0_sel:BYTE_0 src1_sel:DWORD
	v_and_b32_e32 v12, s13, v30
	ds_bpermute_b32 v32, v79, v9
	ds_bpermute_b32 v90, v79, v10
	v_or_b32_e32 v12, 0x80000000, v12
	v_and_b32_e32 v31, s12, v29
	v_ffbl_b32_e32 v12, v12
	v_add_u32_e32 v12, 32, v12
	v_ffbl_b32_e32 v31, v31
	v_min_u32_e32 v12, v31, v12
	s_waitcnt lgkmcnt(1)
	v_add_u32_e32 v31, v32, v9
	s_waitcnt lgkmcnt(0)
	v_add_u32_e32 v32, v90, v10
	v_cmp_lt_u32_e32 vcc, v78, v12
	v_cndmask_b32_e32 v10, v10, v32, vcc
	v_cndmask_b32_e32 v9, v9, v31, vcc
	ds_bpermute_b32 v31, v80, v9
	ds_bpermute_b32 v32, v80, v10
	v_cmp_gt_u32_e32 vcc, v81, v12
	v_subrev_u32_e32 v27, 64, v27
	s_mov_b64 s[12:13], 0
	s_waitcnt lgkmcnt(1)
	v_add_u32_e32 v31, v9, v31
	s_waitcnt lgkmcnt(0)
	v_add_u32_e32 v32, v10, v32
	v_cndmask_b32_e32 v10, v32, v10, vcc
	v_cndmask_b32_e32 v9, v31, v9, vcc
	ds_bpermute_b32 v31, v82, v9
	ds_bpermute_b32 v32, v82, v10
	v_cmp_gt_u32_e32 vcc, v83, v12
	s_waitcnt lgkmcnt(1)
	v_add_u32_e32 v31, v9, v31
	s_waitcnt lgkmcnt(0)
	v_add_u32_e32 v32, v10, v32
	v_cndmask_b32_e32 v10, v32, v10, vcc
	v_cndmask_b32_e32 v9, v31, v9, vcc
	ds_bpermute_b32 v31, v84, v9
	ds_bpermute_b32 v32, v84, v10
	v_cmp_gt_u32_e32 vcc, v85, v12
	;; [unrolled: 9-line block ×3, first 2 shown]
	s_waitcnt lgkmcnt(1)
	v_add_u32_e32 v31, v9, v31
	s_waitcnt lgkmcnt(0)
	v_add_u32_e32 v32, v10, v32
	v_cndmask_b32_e32 v10, v32, v10, vcc
	v_cndmask_b32_e32 v9, v31, v9, vcc
	ds_bpermute_b32 v31, v88, v9
	ds_bpermute_b32 v32, v88, v10
	v_cmp_le_u32_e32 vcc, v89, v12
	s_waitcnt lgkmcnt(1)
	v_cndmask_b32_e32 v12, 0, v31, vcc
	s_waitcnt lgkmcnt(0)
	v_cndmask_b32_e32 v31, 0, v32, vcc
	v_add3_u32 v10, v31, v8, v10
	v_add3_u32 v9, v12, v7, v9
.LBB1806_131:                           ;   in Loop: Header=BB1806_132 Depth=1
	s_and_b64 vcc, exec, s[12:13]
	s_cbranch_vccnz .LBB1806_137
.LBB1806_132:                           ; =>This Loop Header: Depth=1
                                        ;     Child Loop BB1806_135 Depth 2
	v_mov_b32_e32 v7, v9
	v_cmp_ne_u16_sdwa s[12:13], v11, v77 src0_sel:BYTE_0 src1_sel:DWORD
	v_mov_b32_e32 v8, v10
	s_cmp_lg_u64 s[12:13], exec
	s_mov_b64 s[12:13], -1
                                        ; implicit-def: $vgpr11
                                        ; implicit-def: $vgpr9_vgpr10
	s_cbranch_scc1 .LBB1806_131
; %bb.133:                              ;   in Loop: Header=BB1806_132 Depth=1
	v_lshlrev_b64 v[9:10], 4, v[27:28]
	v_mov_b32_e32 v11, s55
	v_add_co_u32_e32 v31, vcc, s54, v9
	v_addc_co_u32_e32 v32, vcc, v11, v10, vcc
	;;#ASMSTART
	global_load_dwordx4 v[9:12], v[31:32] off glc	
s_waitcnt vmcnt(0)
	;;#ASMEND
	v_cmp_eq_u16_sdwa s[14:15], v11, v28 src0_sel:BYTE_0 src1_sel:DWORD
	s_and_saveexec_b64 s[12:13], s[14:15]
	s_cbranch_execz .LBB1806_130
; %bb.134:                              ;   in Loop: Header=BB1806_132 Depth=1
	s_mov_b64 s[14:15], 0
.LBB1806_135:                           ;   Parent Loop BB1806_132 Depth=1
                                        ; =>  This Inner Loop Header: Depth=2
	;;#ASMSTART
	global_load_dwordx4 v[9:12], v[31:32] off glc	
s_waitcnt vmcnt(0)
	;;#ASMEND
	v_cmp_ne_u16_sdwa s[18:19], v11, v28 src0_sel:BYTE_0 src1_sel:DWORD
	s_or_b64 s[14:15], s[18:19], s[14:15]
	s_andn2_b64 exec, exec, s[14:15]
	s_cbranch_execnz .LBB1806_135
	s_branch .LBB1806_129
.LBB1806_136:
                                        ; implicit-def: $vgpr12
                                        ; implicit-def: $vgpr7
                                        ; implicit-def: $vgpr25
	s_cbranch_execnz .LBB1806_142
	s_branch .LBB1806_151
.LBB1806_137:
	s_and_saveexec_b64 s[12:13], s[8:9]
	s_cbranch_execnz .LBB1806_379
; %bb.138:
	s_or_b64 exec, exec, s[12:13]
	s_and_saveexec_b64 s[12:13], s[8:9]
	s_cbranch_execnz .LBB1806_380
.LBB1806_139:
	s_or_b64 exec, exec, s[12:13]
	s_and_b64 exec, exec, s[0:1]
.LBB1806_140:
	v_mov_b32_e32 v5, 0
	ds_write_b64 v5, v[7:8] offset:24
.LBB1806_141:
	s_or_b64 exec, exec, s[10:11]
	v_mov_b32_e32 v5, 0
	s_waitcnt lgkmcnt(0)
	s_barrier
	ds_read_b64 v[9:10], v5 offset:24
	v_cndmask_b32_e64 v6, v75, v25, s[8:9]
	s_waitcnt lgkmcnt(0)
	s_barrier
	v_add_u32_e32 v25, v9, v6
	ds_read_b128 v[5:8], v5 offset:13312
	v_cndmask_b32_e64 v11, v76, v26, s[8:9]
	v_add_u32_e32 v11, v10, v11
	v_cndmask_b32_e64 v12, v11, v10, s[0:1]
	v_cndmask_b32_e64 v25, v25, v9, s[0:1]
	s_branch .LBB1806_151
.LBB1806_142:
	s_waitcnt lgkmcnt(0)
	v_mov_b32_dpp v5, v73 row_shr:1 row_mask:0xf bank_mask:0xf
	v_mov_b32_dpp v6, v74 row_shr:1 row_mask:0xf bank_mask:0xf
	v_add_u32_e32 v5, v5, v73
	v_add_u32_e32 v6, v6, v74
	v_cndmask_b32_e64 v6, v6, v74, s[6:7]
	v_cndmask_b32_e64 v5, v5, v73, s[6:7]
	v_cmp_lt_u32_e32 vcc, 3, v72
	v_mov_b32_dpp v8, v6 row_shr:2 row_mask:0xf bank_mask:0xf
	v_mov_b32_dpp v7, v5 row_shr:2 row_mask:0xf bank_mask:0xf
	v_add_u32_e32 v7, v5, v7
	v_add_u32_e32 v8, v6, v8
	v_cndmask_b32_e64 v6, v6, v8, s[4:5]
	v_cndmask_b32_e64 v5, v5, v7, s[4:5]
	v_cmp_eq_u32_e64 s[4:5], v0, v70
	v_mov_b32_dpp v8, v6 row_shr:4 row_mask:0xf bank_mask:0xf
	v_mov_b32_dpp v7, v5 row_shr:4 row_mask:0xf bank_mask:0xf
	v_add_u32_e32 v7, v5, v7
	v_add_u32_e32 v8, v6, v8
	v_cndmask_b32_e32 v6, v6, v8, vcc
	v_cndmask_b32_e32 v5, v5, v7, vcc
	v_cmp_lt_u32_e32 vcc, 7, v72
	v_mov_b32_dpp v8, v6 row_shr:8 row_mask:0xf bank_mask:0xf
	v_mov_b32_dpp v7, v5 row_shr:8 row_mask:0xf bank_mask:0xf
	v_add_u32_e32 v7, v5, v7
	v_add_u32_e32 v8, v6, v8
	v_cndmask_b32_e32 v6, v6, v8, vcc
	v_cndmask_b32_e32 v7, v5, v7, vcc
	v_cmp_eq_u32_e32 vcc, 0, v71
	v_mov_b32_dpp v8, v6 row_bcast:15 row_mask:0xf bank_mask:0xf
	v_mov_b32_dpp v5, v7 row_bcast:15 row_mask:0xf bank_mask:0xf
	v_add_u32_e32 v9, v7, v5
	v_add_u32_e32 v5, v6, v8
	v_cndmask_b32_e32 v5, v5, v6, vcc
	v_cndmask_b32_e32 v6, v9, v7, vcc
	v_cmp_lt_u32_e32 vcc, 31, v68
	v_mov_b32_dpp v7, v5 row_bcast:31 row_mask:0xf bank_mask:0xf
	v_mov_b32_dpp v8, v6 row_bcast:31 row_mask:0xf bank_mask:0xf
	v_add_u32_e32 v7, v5, v7
	v_add_u32_e32 v8, v6, v8
	s_and_saveexec_b64 s[6:7], s[4:5]
; %bb.143:
	v_cndmask_b32_e32 v9, v6, v8, vcc
	v_cndmask_b32_e32 v10, v5, v7, vcc
	v_lshlrev_b32_e32 v11, 3, v69
	ds_write_b64 v11, v[9:10]
; %bb.144:
	s_or_b64 exec, exec, s[6:7]
	v_cmp_gt_u32_e64 s[4:5], 4, v0
	s_waitcnt lgkmcnt(0)
	s_barrier
	s_and_saveexec_b64 s[6:7], s[4:5]
	s_cbranch_execz .LBB1806_146
; %bb.145:
	v_lshlrev_b32_e32 v11, 3, v0
	ds_read_b64 v[9:10], v11
	v_and_b32_e32 v12, 3, v68
	v_cmp_eq_u32_e64 s[4:5], 0, v12
	s_waitcnt lgkmcnt(0)
	v_mov_b32_dpp v25, v9 row_shr:1 row_mask:0xf bank_mask:0xf
	v_mov_b32_dpp v26, v10 row_shr:1 row_mask:0xf bank_mask:0xf
	v_add_u32_e32 v25, v25, v9
	v_add_u32_e32 v26, v26, v10
	v_cndmask_b32_e64 v10, v26, v10, s[4:5]
	v_cndmask_b32_e64 v9, v25, v9, s[4:5]
	v_cmp_lt_u32_e64 s[4:5], 1, v12
	v_mov_b32_dpp v26, v10 row_shr:2 row_mask:0xf bank_mask:0xf
	v_mov_b32_dpp v25, v9 row_shr:2 row_mask:0xf bank_mask:0xf
	v_cndmask_b32_e64 v12, 0, v25, s[4:5]
	v_cndmask_b32_e64 v25, 0, v26, s[4:5]
	v_add_u32_e32 v10, v25, v10
	v_add_u32_e32 v9, v12, v9
	ds_write_b64 v11, v[9:10]
.LBB1806_146:
	s_or_b64 exec, exec, s[6:7]
	v_cmp_lt_u32_e64 s[4:5], 63, v0
	v_mov_b32_e32 v11, 0
	v_mov_b32_e32 v9, 0
	;; [unrolled: 1-line block ×3, first 2 shown]
	s_waitcnt lgkmcnt(0)
	s_barrier
	s_and_saveexec_b64 s[6:7], s[4:5]
; %bb.147:
	v_lshl_add_u32 v9, v69, 3, -8
	ds_read_b64 v[9:10], v9
; %bb.148:
	s_or_b64 exec, exec, s[6:7]
	v_cndmask_b32_e32 v6, v6, v8, vcc
	v_cndmask_b32_e32 v5, v5, v7, vcc
	v_subrev_co_u32_e32 v7, vcc, 1, v68
	v_and_b32_e32 v8, 64, v68
	v_cmp_lt_i32_e64 s[4:5], v7, v8
	v_cndmask_b32_e64 v7, v7, v68, s[4:5]
	s_waitcnt lgkmcnt(0)
	v_add_u32_e32 v5, v10, v5
	v_add_u32_e32 v6, v9, v6
	v_lshlrev_b32_e32 v7, 2, v7
	ds_bpermute_b32 v12, v7, v6
	ds_bpermute_b32 v25, v7, v5
	ds_read_b64 v[5:6], v11 offset:24
	s_and_saveexec_b64 s[4:5], s[0:1]
	s_cbranch_execz .LBB1806_150
; %bb.149:
	s_add_u32 s6, s54, 0x400
	s_addc_u32 s7, s55, 0
	v_mov_b32_e32 v27, s7
	v_mov_b32_e32 v7, 2
	;; [unrolled: 1-line block ×4, first 2 shown]
	s_waitcnt lgkmcnt(0)
	;;#ASMSTART
	global_store_dwordx4 v[26:27], v[5:8] off	
s_waitcnt vmcnt(0)
	;;#ASMEND
.LBB1806_150:
	s_or_b64 exec, exec, s[4:5]
	s_waitcnt lgkmcnt(2)
	v_cndmask_b32_e32 v7, v12, v9, vcc
	s_waitcnt lgkmcnt(1)
	v_cndmask_b32_e32 v8, v25, v10, vcc
	v_cndmask_b32_e64 v12, v8, 0, s[0:1]
	v_cndmask_b32_e64 v25, v7, 0, s[0:1]
	v_mov_b32_e32 v8, 0
	v_mov_b32_e32 v7, 0
	s_waitcnt lgkmcnt(0)
	s_barrier
.LBB1806_151:
	s_waitcnt lgkmcnt(0)
	v_add_co_u32_e32 v1, vcc, v1, v7
	v_addc_co_u32_e32 v2, vcc, 0, v2, vcc
	v_sub_co_u32_e32 v29, vcc, v3, v5
	v_add_u32_e32 v32, v12, v54
	v_subbrev_co_u32_e32 v30, vcc, 0, v4, vcc
	v_lshlrev_b32_e32 v72, 1, v5
	v_sub_u32_e32 v12, v12, v8
	v_lshrrev_b32_e32 v28, 8, v42
	v_add_u32_e32 v31, v25, v53
	v_add_co_u32_e32 v29, vcc, v29, v8
	v_add_u32_e32 v73, v72, v6
	v_sub_u32_e32 v25, v25, v7
	v_add_u32_e32 v12, v12, v5
	v_addc_co_u32_e32 v30, vcc, 0, v30, vcc
	v_add_u32_e32 v35, v73, v35
	v_and_b32_e32 v28, 1, v28
	v_add_u32_e32 v74, v25, v12
	v_and_b32_e32 v73, 1, v36
	v_sub_u32_e32 v74, v35, v74
	v_cmp_eq_u32_e32 vcc, 1, v28
	v_cndmask_b32_e32 v12, v74, v12, vcc
	v_cmp_eq_u32_e32 vcc, 1, v73
	v_cndmask_b32_e32 v12, v12, v25, vcc
	v_lshlrev_b32_e32 v12, 2, v12
	v_sub_u32_e32 v25, v32, v8
	v_lshrrev_b32_e32 v27, 8, v36
	ds_write_b32 v12, v23
	v_sub_u32_e32 v12, v31, v7
	v_add_u32_e32 v25, v25, v5
	v_add_u32_e32 v50, v31, v50
	v_and_b32_e32 v23, 1, v27
	v_mov_b32_e32 v27, 1
	v_add_u32_e32 v31, v25, v12
	v_and_b32_sdwa v28, v27, v42 dst_sel:DWORD dst_unused:UNUSED_PAD src0_sel:DWORD src1_sel:WORD_1
	v_sub_u32_e32 v31, v35, v31
	v_add_u32_e32 v31, 1, v31
	v_cmp_eq_u32_e32 vcc, 1, v28
	v_cndmask_b32_e32 v25, v31, v25, vcc
	v_cmp_eq_u32_e32 vcc, 1, v23
	v_cndmask_b32_e32 v12, v25, v12, vcc
	v_add_u32_e32 v53, v32, v62
	v_lshlrev_b32_e32 v12, 2, v12
	ds_write_b32 v12, v24
	v_sub_u32_e32 v24, v53, v8
	v_sub_u32_e32 v12, v50, v7
	v_add_u32_e32 v24, v24, v5
	v_add_u32_e32 v28, v24, v12
	v_and_b32_e32 v25, 1, v49
	v_sub_u32_e32 v28, v35, v28
	v_and_b32_sdwa v23, v27, v36 dst_sel:DWORD dst_unused:UNUSED_PAD src0_sel:DWORD src1_sel:WORD_1
	v_add_u32_e32 v28, 2, v28
	v_cmp_eq_u32_e32 vcc, 1, v25
	v_cndmask_b32_e32 v24, v28, v24, vcc
	v_cmp_eq_u32_e32 vcc, 1, v23
	v_add_u32_e32 v54, v50, v55
	v_add_u32_e32 v55, v53, v49
	v_cndmask_b32_e32 v12, v24, v12, vcc
	v_lshlrev_b32_e32 v12, 2, v12
	v_sub_u32_e32 v23, v55, v8
	ds_write_b32 v12, v21
	v_sub_u32_e32 v12, v54, v7
	v_add_u32_e32 v23, v23, v5
	v_add_u32_e32 v25, v12, v23
	v_and_b32_e32 v24, 1, v37
	v_sub_u32_e32 v25, v35, v25
	v_and_b32_e32 v21, 1, v48
	v_add_u32_e32 v25, 3, v25
	v_cmp_eq_u32_e32 vcc, 1, v24
	v_cndmask_b32_e32 v23, v25, v23, vcc
	v_cmp_eq_u32_e32 vcc, 1, v21
	v_cndmask_b32_e32 v12, v23, v12, vcc
	v_add_u32_e32 v62, v55, v63
	v_lshlrev_b32_e32 v12, 2, v12
	v_add_u32_e32 v63, v54, v48
	ds_write_b32 v12, v22
	v_sub_u32_e32 v22, v62, v8
	v_sub_u32_e32 v12, v63, v7
	v_add_u32_e32 v22, v22, v5
	v_lshrrev_b32_e32 v26, 8, v37
	v_add_u32_e32 v24, v12, v22
	v_and_b32_e32 v23, 1, v26
	v_sub_u32_e32 v24, v35, v24
	v_and_b32_e32 v21, 1, v38
	v_add_u32_e32 v24, 4, v24
	v_cmp_eq_u32_e32 vcc, 1, v23
	v_cndmask_b32_e32 v22, v24, v22, vcc
	v_cmp_eq_u32_e32 vcc, 1, v21
	v_cndmask_b32_e32 v12, v22, v12, vcc
	v_add_u32_e32 v57, v62, v57
	v_lshlrev_b32_e32 v12, 2, v12
	v_add_u32_e32 v56, v63, v56
	ds_write_b32 v12, v19
	v_sub_u32_e32 v19, v57, v8
	v_sub_u32_e32 v12, v56, v7
	v_add_u32_e32 v19, v19, v5
	v_add_u32_e32 v22, v12, v19
	v_lshrrev_b32_e32 v11, 8, v38
	v_and_b32_sdwa v21, v27, v37 dst_sel:DWORD dst_unused:UNUSED_PAD src0_sel:DWORD src1_sel:WORD_1
	v_sub_u32_e32 v22, v35, v22
	v_and_b32_e32 v11, 1, v11
	v_add_u32_e32 v22, 5, v22
	v_cmp_eq_u32_e32 vcc, 1, v21
	v_cndmask_b32_e32 v19, v22, v19, vcc
	v_cmp_eq_u32_e32 vcc, 1, v11
	v_add_u32_e32 v64, v57, v64
	v_cndmask_b32_e32 v11, v19, v12, vcc
	v_add_u32_e32 v51, v56, v51
	v_lshlrev_b32_e32 v11, 2, v11
	v_sub_u32_e32 v19, v64, v8
	ds_write_b32 v11, v20
	v_sub_u32_e32 v11, v51, v7
	v_add_u32_e32 v19, v19, v5
	v_add_u32_e32 v21, v11, v19
	v_and_b32_e32 v20, 1, v47
	v_sub_u32_e32 v21, v35, v21
	v_and_b32_sdwa v12, v27, v38 dst_sel:DWORD dst_unused:UNUSED_PAD src0_sel:DWORD src1_sel:WORD_1
	v_add_u32_e32 v21, 6, v21
	v_cmp_eq_u32_e32 vcc, 1, v20
	v_cndmask_b32_e32 v19, v21, v19, vcc
	v_cmp_eq_u32_e32 vcc, 1, v12
	v_cndmask_b32_e32 v11, v19, v11, vcc
	v_add_u32_e32 v68, v64, v47
	v_lshlrev_b32_e32 v11, 2, v11
	v_add_u32_e32 v58, v51, v58
	ds_write_b32 v11, v17
	v_sub_u32_e32 v17, v68, v8
	v_sub_u32_e32 v11, v58, v7
	v_add_u32_e32 v17, v17, v5
	v_add_u32_e32 v20, v11, v17
	v_and_b32_e32 v19, 1, v39
	v_sub_u32_e32 v20, v35, v20
	v_and_b32_e32 v12, 1, v46
	v_add_u32_e32 v20, 7, v20
	v_cmp_eq_u32_e32 vcc, 1, v19
	v_cndmask_b32_e32 v17, v20, v17, vcc
	v_cmp_eq_u32_e32 vcc, 1, v12
	v_add_u32_e32 v65, v68, v65
	v_cndmask_b32_e32 v11, v17, v11, vcc
	v_add_u32_e32 v69, v58, v46
	v_lshlrev_b32_e32 v11, 2, v11
	v_sub_u32_e32 v17, v65, v8
	ds_write_b32 v11, v18
	v_sub_u32_e32 v11, v69, v7
	v_add_u32_e32 v17, v17, v5
	v_lshrrev_b32_e32 v10, 8, v39
	v_add_u32_e32 v18, v11, v17
	v_and_b32_e32 v10, 1, v10
	v_sub_u32_e32 v18, v35, v18
	v_and_b32_e32 v12, 1, v41
	v_add_u32_e32 v18, 8, v18
	v_cmp_eq_u32_e32 vcc, 1, v10
	v_cndmask_b32_e32 v10, v18, v17, vcc
	v_cmp_eq_u32_e32 vcc, 1, v12
	v_add_u32_e32 v60, v65, v60
	v_cndmask_b32_e32 v10, v10, v11, vcc
	v_add_u32_e32 v59, v69, v59
	v_lshlrev_b32_e32 v10, 2, v10
	v_sub_u32_e32 v11, v60, v8
	ds_write_b32 v10, v15
	v_sub_u32_e32 v10, v59, v7
	v_add_u32_e32 v11, v11, v5
	v_add_u32_e32 v15, v10, v11
	v_lshrrev_b32_e32 v9, 8, v41
	v_and_b32_sdwa v12, v27, v39 dst_sel:DWORD dst_unused:UNUSED_PAD src0_sel:DWORD src1_sel:WORD_1
	v_sub_u32_e32 v15, v35, v15
	v_and_b32_e32 v9, 1, v9
	v_add_u32_e32 v15, 9, v15
	v_cmp_eq_u32_e32 vcc, 1, v12
	v_cndmask_b32_e32 v11, v15, v11, vcc
	v_cmp_eq_u32_e32 vcc, 1, v9
	v_add_u32_e32 v66, v60, v66
	v_cndmask_b32_e32 v9, v11, v10, vcc
	v_add_u32_e32 v52, v59, v52
	v_lshlrev_b32_e32 v9, 2, v9
	v_sub_u32_e32 v11, v66, v8
	ds_write_b32 v9, v16
	v_sub_u32_e32 v9, v52, v7
	v_add_u32_e32 v11, v11, v5
	v_add_u32_e32 v15, v9, v11
	v_and_b32_e32 v12, 1, v45
	v_sub_u32_e32 v15, v35, v15
	v_and_b32_sdwa v10, v27, v41 dst_sel:DWORD dst_unused:UNUSED_PAD src0_sel:DWORD src1_sel:WORD_1
	v_add_u32_e32 v15, 10, v15
	v_cmp_eq_u32_e32 vcc, 1, v12
	v_cndmask_b32_e32 v11, v15, v11, vcc
	v_cmp_eq_u32_e32 vcc, 1, v10
	v_add_u32_e32 v70, v66, v45
	v_cndmask_b32_e32 v9, v11, v9, vcc
	v_add_u32_e32 v61, v52, v61
	v_lshlrev_b32_e32 v9, 2, v9
	v_sub_u32_e32 v11, v70, v8
	ds_write_b32 v9, v13
	v_sub_u32_e32 v9, v61, v7
	v_add_u32_e32 v11, v11, v5
	v_add_u32_e32 v13, v9, v11
	v_and_b32_e32 v12, 1, v40
	v_sub_u32_e32 v13, v35, v13
	v_add_u32_e32 v67, v70, v67
	v_and_b32_e32 v10, 1, v44
	v_add_u32_e32 v13, 11, v13
	v_cmp_eq_u32_e32 vcc, 1, v12
	v_add_u32_e32 v71, v61, v44
	v_cndmask_b32_e32 v11, v13, v11, vcc
	v_cmp_eq_u32_e32 vcc, 1, v10
	v_sub_u32_e32 v10, v67, v8
	v_sub_u32_e32 v7, v71, v7
	v_add_u32_e32 v10, v10, v5
	v_cndmask_b32_e32 v9, v11, v9, vcc
	v_add_u32_e32 v12, v7, v10
	v_lshlrev_b32_e32 v9, 2, v9
	v_and_b32_e32 v11, 1, v43
	v_sub_u32_e32 v12, v35, v12
	ds_write_b32 v9, v14
	v_and_b32_e32 v9, 1, v42
	v_add_u32_e32 v12, 12, v12
	v_cmp_eq_u32_e32 vcc, 1, v11
	v_cndmask_b32_e32 v10, v12, v10, vcc
	v_cmp_eq_u32_e32 vcc, 1, v9
	v_cndmask_b32_e32 v7, v10, v7, vcc
	v_lshlrev_b32_e32 v7, 2, v7
	ds_write_b32 v7, v34
	v_mov_b32_e32 v7, s53
	v_add_co_u32_e32 v9, vcc, s52, v33
	v_addc_co_u32_e32 v10, vcc, 0, v7, vcc
	v_add_co_u32_e32 v7, vcc, v6, v72
	v_addc_co_u32_e64 v11, s[4:5], 0, 0, vcc
	v_add_co_u32_e32 v7, vcc, v7, v29
	v_addc_co_u32_e32 v11, vcc, v11, v30, vcc
	v_add_co_u32_e32 v7, vcc, v7, v1
	v_addc_co_u32_e32 v11, vcc, v11, v2, vcc
	v_sub_co_u32_e32 v7, vcc, v9, v7
	v_subb_co_u32_e32 v13, vcc, v10, v11, vcc
	v_lshlrev_b64 v[9:10], 2, v[29:30]
	v_mov_b32_e32 v11, s51
	v_add_co_u32_e32 v9, vcc, s50, v9
	v_addc_co_u32_e32 v10, vcc, v11, v10, vcc
	v_lshlrev_b64 v[11:12], 2, v[1:2]
	v_mov_b32_e32 v15, s49
	v_add_co_u32_e32 v11, vcc, s48, v11
	v_addc_co_u32_e32 v12, vcc, v15, v12, vcc
	v_add_u32_e32 v14, v5, v6
	s_and_b64 vcc, exec, s[2:3]
	s_mov_b64 s[2:3], -1
	s_waitcnt lgkmcnt(0)
	s_barrier
	s_cbranch_vccz .LBB1806_155
; %bb.152:
	s_and_b64 vcc, exec, s[2:3]
	s_cbranch_vccnz .LBB1806_260
.LBB1806_153:
	s_and_b64 s[0:1], s[0:1], s[34:35]
	s_and_saveexec_b64 s[2:3], s[0:1]
	s_cbranch_execnz .LBB1806_378
.LBB1806_154:
	s_endpgm
.LBB1806_155:
	v_cmp_ge_u32_e32 vcc, v0, v5
	s_and_saveexec_b64 s[2:3], vcc
	s_xor_b64 s[2:3], exec, s[2:3]
	s_cbranch_execz .LBB1806_161
; %bb.156:
	v_cmp_ge_u32_e32 vcc, v0, v14
	s_and_saveexec_b64 s[4:5], vcc
	s_xor_b64 s[4:5], exec, s[4:5]
	s_cbranch_execz .LBB1806_158
; %bb.157:
	v_add_co_u32_e32 v15, vcc, v7, v0
	v_lshlrev_b32_e32 v17, 2, v0
	v_addc_co_u32_e32 v16, vcc, 0, v13, vcc
	ds_read_b32 v17, v17
	v_lshlrev_b64 v[15:16], 2, v[15:16]
	v_mov_b32_e32 v18, s31
	v_sub_co_u32_e32 v15, vcc, s30, v15
	v_subb_co_u32_e32 v16, vcc, v18, v16, vcc
	s_waitcnt lgkmcnt(0)
	global_store_dword v[15:16], v17, off offset:-4
.LBB1806_158:
	s_andn2_saveexec_b64 s[4:5], s[4:5]
	s_cbranch_execz .LBB1806_160
; %bb.159:
	v_lshlrev_b32_e32 v15, 2, v0
	ds_read_b32 v16, v15
	v_readfirstlane_b32 s6, v9
	v_readfirstlane_b32 s7, v10
	s_waitcnt lgkmcnt(0)
	s_nop 3
	global_store_dword v15, v16, s[6:7]
.LBB1806_160:
	s_or_b64 exec, exec, s[4:5]
.LBB1806_161:
	s_andn2_saveexec_b64 s[2:3], s[2:3]
	s_cbranch_execz .LBB1806_163
; %bb.162:
	v_lshlrev_b32_e32 v15, 2, v0
	ds_read_b32 v16, v15
	v_readfirstlane_b32 s4, v11
	v_readfirstlane_b32 s5, v12
	s_waitcnt lgkmcnt(0)
	s_nop 3
	global_store_dword v15, v16, s[4:5]
.LBB1806_163:
	s_or_b64 exec, exec, s[2:3]
	v_or_b32_e32 v15, 0x100, v0
	v_cmp_ge_u32_e32 vcc, v15, v5
	s_and_saveexec_b64 s[2:3], vcc
	s_xor_b64 s[2:3], exec, s[2:3]
	s_cbranch_execz .LBB1806_169
; %bb.164:
	v_cmp_ge_u32_e32 vcc, v15, v14
	s_and_saveexec_b64 s[4:5], vcc
	s_xor_b64 s[4:5], exec, s[4:5]
	s_cbranch_execz .LBB1806_166
; %bb.165:
	v_lshlrev_b32_e32 v15, 2, v0
	ds_read_b32 v17, v15 offset:1024
	v_add_co_u32_e32 v15, vcc, v7, v0
	v_addc_co_u32_e32 v16, vcc, 0, v13, vcc
	v_lshlrev_b64 v[15:16], 2, v[15:16]
	v_mov_b32_e32 v18, s31
	v_sub_co_u32_e32 v15, vcc, s30, v15
	v_subb_co_u32_e32 v16, vcc, v18, v16, vcc
	s_waitcnt lgkmcnt(0)
	global_store_dword v[15:16], v17, off offset:-1028
.LBB1806_166:
	s_andn2_saveexec_b64 s[4:5], s[4:5]
	s_cbranch_execz .LBB1806_168
; %bb.167:
	v_lshlrev_b32_e32 v15, 2, v0
	ds_read_b32 v16, v15 offset:1024
	v_readfirstlane_b32 s6, v9
	v_readfirstlane_b32 s7, v10
	s_waitcnt lgkmcnt(0)
	s_nop 3
	global_store_dword v15, v16, s[6:7] offset:1024
.LBB1806_168:
	s_or_b64 exec, exec, s[4:5]
.LBB1806_169:
	s_andn2_saveexec_b64 s[2:3], s[2:3]
	s_cbranch_execz .LBB1806_171
; %bb.170:
	v_lshlrev_b32_e32 v15, 2, v0
	ds_read_b32 v16, v15 offset:1024
	v_readfirstlane_b32 s4, v11
	v_readfirstlane_b32 s5, v12
	s_waitcnt lgkmcnt(0)
	s_nop 3
	global_store_dword v15, v16, s[4:5] offset:1024
.LBB1806_171:
	s_or_b64 exec, exec, s[2:3]
	v_or_b32_e32 v15, 0x200, v0
	v_cmp_ge_u32_e32 vcc, v15, v5
	s_and_saveexec_b64 s[2:3], vcc
	s_xor_b64 s[2:3], exec, s[2:3]
	s_cbranch_execz .LBB1806_177
; %bb.172:
	v_cmp_ge_u32_e32 vcc, v15, v14
	s_and_saveexec_b64 s[4:5], vcc
	s_xor_b64 s[4:5], exec, s[4:5]
	s_cbranch_execz .LBB1806_174
; %bb.173:
	v_lshlrev_b32_e32 v15, 2, v0
	ds_read_b32 v17, v15 offset:2048
	v_add_co_u32_e32 v15, vcc, v7, v0
	v_addc_co_u32_e32 v16, vcc, 0, v13, vcc
	v_lshlrev_b64 v[15:16], 2, v[15:16]
	v_mov_b32_e32 v18, s31
	v_sub_co_u32_e32 v15, vcc, s30, v15
	v_subb_co_u32_e32 v16, vcc, v18, v16, vcc
	s_waitcnt lgkmcnt(0)
	global_store_dword v[15:16], v17, off offset:-2052
.LBB1806_174:
	s_andn2_saveexec_b64 s[4:5], s[4:5]
	s_cbranch_execz .LBB1806_176
; %bb.175:
	v_lshlrev_b32_e32 v15, 2, v0
	ds_read_b32 v16, v15 offset:2048
	v_readfirstlane_b32 s6, v9
	v_readfirstlane_b32 s7, v10
	s_waitcnt lgkmcnt(0)
	s_nop 3
	global_store_dword v15, v16, s[6:7] offset:2048
.LBB1806_176:
	s_or_b64 exec, exec, s[4:5]
.LBB1806_177:
	s_andn2_saveexec_b64 s[2:3], s[2:3]
	s_cbranch_execz .LBB1806_179
; %bb.178:
	v_lshlrev_b32_e32 v15, 2, v0
	ds_read_b32 v16, v15 offset:2048
	v_readfirstlane_b32 s4, v11
	v_readfirstlane_b32 s5, v12
	s_waitcnt lgkmcnt(0)
	s_nop 3
	global_store_dword v15, v16, s[4:5] offset:2048
.LBB1806_179:
	;; [unrolled: 47-line block ×3, first 2 shown]
	s_or_b64 exec, exec, s[2:3]
	v_or_b32_e32 v15, 0x400, v0
	v_cmp_ge_u32_e32 vcc, v15, v5
	s_and_saveexec_b64 s[2:3], vcc
	s_xor_b64 s[2:3], exec, s[2:3]
	s_cbranch_execz .LBB1806_193
; %bb.188:
	v_cmp_ge_u32_e32 vcc, v15, v14
	s_and_saveexec_b64 s[4:5], vcc
	s_xor_b64 s[4:5], exec, s[4:5]
	s_cbranch_execz .LBB1806_190
; %bb.189:
	v_lshlrev_b32_e32 v15, 2, v0
	ds_read_b32 v17, v15 offset:4096
	v_add_co_u32_e32 v15, vcc, v7, v0
	v_addc_co_u32_e32 v16, vcc, 0, v13, vcc
	v_lshlrev_b64 v[15:16], 2, v[15:16]
	v_mov_b32_e32 v18, s31
	v_sub_co_u32_e32 v15, vcc, s30, v15
	v_subb_co_u32_e32 v16, vcc, v18, v16, vcc
	v_add_co_u32_e32 v15, vcc, 0xfffff000, v15
	v_addc_co_u32_e32 v16, vcc, -1, v16, vcc
	s_waitcnt lgkmcnt(0)
	global_store_dword v[15:16], v17, off offset:-4
                                        ; implicit-def: $vgpr15
.LBB1806_190:
	s_andn2_saveexec_b64 s[4:5], s[4:5]
	s_cbranch_execz .LBB1806_192
; %bb.191:
	v_lshlrev_b32_e32 v16, 2, v0
	ds_read_b32 v16, v16 offset:4096
	v_lshlrev_b32_e32 v15, 2, v15
	v_readfirstlane_b32 s6, v9
	v_readfirstlane_b32 s7, v10
	s_waitcnt lgkmcnt(0)
	s_nop 3
	global_store_dword v15, v16, s[6:7]
.LBB1806_192:
	s_or_b64 exec, exec, s[4:5]
                                        ; implicit-def: $vgpr15
.LBB1806_193:
	s_andn2_saveexec_b64 s[2:3], s[2:3]
	s_cbranch_execz .LBB1806_195
; %bb.194:
	v_lshlrev_b32_e32 v16, 2, v0
	ds_read_b32 v16, v16 offset:4096
	v_lshlrev_b32_e32 v15, 2, v15
	v_readfirstlane_b32 s4, v11
	v_readfirstlane_b32 s5, v12
	s_waitcnt lgkmcnt(0)
	s_nop 3
	global_store_dword v15, v16, s[4:5]
.LBB1806_195:
	s_or_b64 exec, exec, s[2:3]
	v_or_b32_e32 v15, 0x500, v0
	v_cmp_ge_u32_e32 vcc, v15, v5
	s_and_saveexec_b64 s[2:3], vcc
	s_xor_b64 s[2:3], exec, s[2:3]
	s_cbranch_execz .LBB1806_201
; %bb.196:
	v_cmp_ge_u32_e32 vcc, v15, v14
	s_and_saveexec_b64 s[4:5], vcc
	s_xor_b64 s[4:5], exec, s[4:5]
	s_cbranch_execz .LBB1806_198
; %bb.197:
	v_add_co_u32_e32 v15, vcc, v7, v15
	v_lshlrev_b32_e32 v17, 2, v0
	v_addc_co_u32_e32 v16, vcc, 0, v13, vcc
	ds_read_b32 v17, v17 offset:5120
	v_lshlrev_b64 v[15:16], 2, v[15:16]
	v_mov_b32_e32 v18, s31
	v_sub_co_u32_e32 v15, vcc, s30, v15
	v_subb_co_u32_e32 v16, vcc, v18, v16, vcc
	s_waitcnt lgkmcnt(0)
	global_store_dword v[15:16], v17, off offset:-4
                                        ; implicit-def: $vgpr15
.LBB1806_198:
	s_andn2_saveexec_b64 s[4:5], s[4:5]
	s_cbranch_execz .LBB1806_200
; %bb.199:
	v_lshlrev_b32_e32 v16, 2, v0
	ds_read_b32 v16, v16 offset:5120
	v_lshlrev_b32_e32 v15, 2, v15
	v_readfirstlane_b32 s6, v9
	v_readfirstlane_b32 s7, v10
	s_waitcnt lgkmcnt(0)
	s_nop 3
	global_store_dword v15, v16, s[6:7]
.LBB1806_200:
	s_or_b64 exec, exec, s[4:5]
                                        ; implicit-def: $vgpr15
.LBB1806_201:
	s_andn2_saveexec_b64 s[2:3], s[2:3]
	s_cbranch_execz .LBB1806_203
; %bb.202:
	v_lshlrev_b32_e32 v16, 2, v0
	ds_read_b32 v16, v16 offset:5120
	v_lshlrev_b32_e32 v15, 2, v15
	v_readfirstlane_b32 s4, v11
	v_readfirstlane_b32 s5, v12
	s_waitcnt lgkmcnt(0)
	s_nop 3
	global_store_dword v15, v16, s[4:5]
.LBB1806_203:
	s_or_b64 exec, exec, s[2:3]
	v_or_b32_e32 v15, 0x600, v0
	v_cmp_ge_u32_e32 vcc, v15, v5
	s_and_saveexec_b64 s[2:3], vcc
	s_xor_b64 s[2:3], exec, s[2:3]
	s_cbranch_execz .LBB1806_209
; %bb.204:
	v_cmp_ge_u32_e32 vcc, v15, v14
	s_and_saveexec_b64 s[4:5], vcc
	s_xor_b64 s[4:5], exec, s[4:5]
	s_cbranch_execz .LBB1806_206
; %bb.205:
	v_add_co_u32_e32 v15, vcc, v7, v15
	v_lshlrev_b32_e32 v17, 2, v0
	v_addc_co_u32_e32 v16, vcc, 0, v13, vcc
	ds_read_b32 v17, v17 offset:6144
	v_lshlrev_b64 v[15:16], 2, v[15:16]
	v_mov_b32_e32 v18, s31
	v_sub_co_u32_e32 v15, vcc, s30, v15
	v_subb_co_u32_e32 v16, vcc, v18, v16, vcc
	s_waitcnt lgkmcnt(0)
	global_store_dword v[15:16], v17, off offset:-4
                                        ; implicit-def: $vgpr15
.LBB1806_206:
	s_andn2_saveexec_b64 s[4:5], s[4:5]
	s_cbranch_execz .LBB1806_208
; %bb.207:
	v_lshlrev_b32_e32 v16, 2, v0
	ds_read_b32 v16, v16 offset:6144
	v_lshlrev_b32_e32 v15, 2, v15
	v_readfirstlane_b32 s6, v9
	v_readfirstlane_b32 s7, v10
	s_waitcnt lgkmcnt(0)
	s_nop 3
	global_store_dword v15, v16, s[6:7]
.LBB1806_208:
	s_or_b64 exec, exec, s[4:5]
                                        ; implicit-def: $vgpr15
.LBB1806_209:
	;; [unrolled: 51-line block ×8, first 2 shown]
	s_andn2_saveexec_b64 s[2:3], s[2:3]
	s_cbranch_execz .LBB1806_259
; %bb.258:
	v_lshlrev_b32_e32 v16, 2, v0
	ds_read_b32 v16, v16 offset:12288
	v_lshlrev_b32_e32 v15, 2, v15
	v_readfirstlane_b32 s4, v11
	v_readfirstlane_b32 s5, v12
	s_waitcnt lgkmcnt(0)
	s_nop 3
	global_store_dword v15, v16, s[4:5]
.LBB1806_259:
	s_or_b64 exec, exec, s[2:3]
	s_branch .LBB1806_153
.LBB1806_260:
	v_cmp_gt_u32_e32 vcc, s16, v0
	s_and_saveexec_b64 s[2:3], vcc
	s_cbranch_execz .LBB1806_269
; %bb.261:
	v_cmp_ge_u32_e32 vcc, v0, v5
	s_and_saveexec_b64 s[4:5], vcc
	s_xor_b64 s[4:5], exec, s[4:5]
	s_cbranch_execz .LBB1806_267
; %bb.262:
	v_cmp_ge_u32_e32 vcc, v0, v14
	s_and_saveexec_b64 s[6:7], vcc
	s_xor_b64 s[6:7], exec, s[6:7]
	s_cbranch_execz .LBB1806_264
; %bb.263:
	v_add_co_u32_e32 v15, vcc, v7, v0
	v_lshlrev_b32_e32 v17, 2, v0
	v_addc_co_u32_e32 v16, vcc, 0, v13, vcc
	ds_read_b32 v17, v17
	v_lshlrev_b64 v[15:16], 2, v[15:16]
	v_mov_b32_e32 v18, s31
	v_sub_co_u32_e32 v15, vcc, s30, v15
	v_subb_co_u32_e32 v16, vcc, v18, v16, vcc
	s_waitcnt lgkmcnt(0)
	global_store_dword v[15:16], v17, off offset:-4
.LBB1806_264:
	s_andn2_saveexec_b64 s[6:7], s[6:7]
	s_cbranch_execz .LBB1806_266
; %bb.265:
	v_lshlrev_b32_e32 v15, 2, v0
	ds_read_b32 v16, v15
	v_readfirstlane_b32 s8, v9
	v_readfirstlane_b32 s9, v10
	s_waitcnt lgkmcnt(0)
	s_nop 3
	global_store_dword v15, v16, s[8:9]
.LBB1806_266:
	s_or_b64 exec, exec, s[6:7]
.LBB1806_267:
	s_andn2_saveexec_b64 s[4:5], s[4:5]
	s_cbranch_execz .LBB1806_269
; %bb.268:
	v_lshlrev_b32_e32 v15, 2, v0
	ds_read_b32 v16, v15
	v_readfirstlane_b32 s4, v11
	v_readfirstlane_b32 s5, v12
	s_waitcnt lgkmcnt(0)
	s_nop 3
	global_store_dword v15, v16, s[4:5]
.LBB1806_269:
	s_or_b64 exec, exec, s[2:3]
	v_or_b32_e32 v15, 0x100, v0
	v_cmp_gt_u32_e32 vcc, s16, v15
	s_and_saveexec_b64 s[2:3], vcc
	s_cbranch_execz .LBB1806_278
; %bb.270:
	v_cmp_ge_u32_e32 vcc, v15, v5
	s_and_saveexec_b64 s[4:5], vcc
	s_xor_b64 s[4:5], exec, s[4:5]
	s_cbranch_execz .LBB1806_276
; %bb.271:
	v_cmp_ge_u32_e32 vcc, v15, v14
	s_and_saveexec_b64 s[6:7], vcc
	s_xor_b64 s[6:7], exec, s[6:7]
	s_cbranch_execz .LBB1806_273
; %bb.272:
	v_lshlrev_b32_e32 v15, 2, v0
	ds_read_b32 v17, v15 offset:1024
	v_add_co_u32_e32 v15, vcc, v7, v0
	v_addc_co_u32_e32 v16, vcc, 0, v13, vcc
	v_lshlrev_b64 v[15:16], 2, v[15:16]
	v_mov_b32_e32 v18, s31
	v_sub_co_u32_e32 v15, vcc, s30, v15
	v_subb_co_u32_e32 v16, vcc, v18, v16, vcc
	s_waitcnt lgkmcnt(0)
	global_store_dword v[15:16], v17, off offset:-1028
.LBB1806_273:
	s_andn2_saveexec_b64 s[6:7], s[6:7]
	s_cbranch_execz .LBB1806_275
; %bb.274:
	v_lshlrev_b32_e32 v15, 2, v0
	ds_read_b32 v16, v15 offset:1024
	v_readfirstlane_b32 s8, v9
	v_readfirstlane_b32 s9, v10
	s_waitcnt lgkmcnt(0)
	s_nop 3
	global_store_dword v15, v16, s[8:9] offset:1024
.LBB1806_275:
	s_or_b64 exec, exec, s[6:7]
.LBB1806_276:
	s_andn2_saveexec_b64 s[4:5], s[4:5]
	s_cbranch_execz .LBB1806_278
; %bb.277:
	v_lshlrev_b32_e32 v15, 2, v0
	ds_read_b32 v16, v15 offset:1024
	v_readfirstlane_b32 s4, v11
	v_readfirstlane_b32 s5, v12
	s_waitcnt lgkmcnt(0)
	s_nop 3
	global_store_dword v15, v16, s[4:5] offset:1024
.LBB1806_278:
	s_or_b64 exec, exec, s[2:3]
	v_or_b32_e32 v15, 0x200, v0
	v_cmp_gt_u32_e32 vcc, s16, v15
	s_and_saveexec_b64 s[2:3], vcc
	s_cbranch_execz .LBB1806_287
; %bb.279:
	v_cmp_ge_u32_e32 vcc, v15, v5
	s_and_saveexec_b64 s[4:5], vcc
	s_xor_b64 s[4:5], exec, s[4:5]
	s_cbranch_execz .LBB1806_285
; %bb.280:
	v_cmp_ge_u32_e32 vcc, v15, v14
	s_and_saveexec_b64 s[6:7], vcc
	s_xor_b64 s[6:7], exec, s[6:7]
	s_cbranch_execz .LBB1806_282
; %bb.281:
	v_lshlrev_b32_e32 v15, 2, v0
	ds_read_b32 v17, v15 offset:2048
	v_add_co_u32_e32 v15, vcc, v7, v0
	v_addc_co_u32_e32 v16, vcc, 0, v13, vcc
	v_lshlrev_b64 v[15:16], 2, v[15:16]
	v_mov_b32_e32 v18, s31
	v_sub_co_u32_e32 v15, vcc, s30, v15
	v_subb_co_u32_e32 v16, vcc, v18, v16, vcc
	s_waitcnt lgkmcnt(0)
	global_store_dword v[15:16], v17, off offset:-2052
.LBB1806_282:
	s_andn2_saveexec_b64 s[6:7], s[6:7]
	s_cbranch_execz .LBB1806_284
; %bb.283:
	v_lshlrev_b32_e32 v15, 2, v0
	ds_read_b32 v16, v15 offset:2048
	v_readfirstlane_b32 s8, v9
	v_readfirstlane_b32 s9, v10
	s_waitcnt lgkmcnt(0)
	s_nop 3
	global_store_dword v15, v16, s[8:9] offset:2048
.LBB1806_284:
	s_or_b64 exec, exec, s[6:7]
.LBB1806_285:
	s_andn2_saveexec_b64 s[4:5], s[4:5]
	s_cbranch_execz .LBB1806_287
; %bb.286:
	v_lshlrev_b32_e32 v15, 2, v0
	ds_read_b32 v16, v15 offset:2048
	v_readfirstlane_b32 s4, v11
	v_readfirstlane_b32 s5, v12
	s_waitcnt lgkmcnt(0)
	s_nop 3
	global_store_dword v15, v16, s[4:5] offset:2048
.LBB1806_287:
	;; [unrolled: 51-line block ×3, first 2 shown]
	s_or_b64 exec, exec, s[2:3]
	v_or_b32_e32 v15, 0x400, v0
	v_cmp_gt_u32_e32 vcc, s16, v15
	s_and_saveexec_b64 s[2:3], vcc
	s_cbranch_execz .LBB1806_305
; %bb.297:
	v_cmp_ge_u32_e32 vcc, v15, v5
	s_and_saveexec_b64 s[4:5], vcc
	s_xor_b64 s[4:5], exec, s[4:5]
	s_cbranch_execz .LBB1806_303
; %bb.298:
	v_cmp_ge_u32_e32 vcc, v15, v14
	s_and_saveexec_b64 s[6:7], vcc
	s_xor_b64 s[6:7], exec, s[6:7]
	s_cbranch_execz .LBB1806_300
; %bb.299:
	v_lshlrev_b32_e32 v15, 2, v0
	ds_read_b32 v17, v15 offset:4096
	v_add_co_u32_e32 v15, vcc, v7, v0
	v_addc_co_u32_e32 v16, vcc, 0, v13, vcc
	v_lshlrev_b64 v[15:16], 2, v[15:16]
	v_mov_b32_e32 v18, s31
	v_sub_co_u32_e32 v15, vcc, s30, v15
	v_subb_co_u32_e32 v16, vcc, v18, v16, vcc
	v_add_co_u32_e32 v15, vcc, 0xfffff000, v15
	v_addc_co_u32_e32 v16, vcc, -1, v16, vcc
	s_waitcnt lgkmcnt(0)
	global_store_dword v[15:16], v17, off offset:-4
                                        ; implicit-def: $vgpr15
.LBB1806_300:
	s_andn2_saveexec_b64 s[6:7], s[6:7]
	s_cbranch_execz .LBB1806_302
; %bb.301:
	v_lshlrev_b32_e32 v16, 2, v0
	ds_read_b32 v16, v16 offset:4096
	v_lshlrev_b32_e32 v15, 2, v15
	v_readfirstlane_b32 s8, v9
	v_readfirstlane_b32 s9, v10
	s_waitcnt lgkmcnt(0)
	s_nop 3
	global_store_dword v15, v16, s[8:9]
.LBB1806_302:
	s_or_b64 exec, exec, s[6:7]
                                        ; implicit-def: $vgpr15
.LBB1806_303:
	s_andn2_saveexec_b64 s[4:5], s[4:5]
	s_cbranch_execz .LBB1806_305
; %bb.304:
	v_lshlrev_b32_e32 v16, 2, v0
	ds_read_b32 v16, v16 offset:4096
	v_lshlrev_b32_e32 v15, 2, v15
	v_readfirstlane_b32 s4, v11
	v_readfirstlane_b32 s5, v12
	s_waitcnt lgkmcnt(0)
	s_nop 3
	global_store_dword v15, v16, s[4:5]
.LBB1806_305:
	s_or_b64 exec, exec, s[2:3]
	v_or_b32_e32 v15, 0x500, v0
	v_cmp_gt_u32_e32 vcc, s16, v15
	s_and_saveexec_b64 s[2:3], vcc
	s_cbranch_execz .LBB1806_314
; %bb.306:
	v_cmp_ge_u32_e32 vcc, v15, v5
	s_and_saveexec_b64 s[4:5], vcc
	s_xor_b64 s[4:5], exec, s[4:5]
	s_cbranch_execz .LBB1806_312
; %bb.307:
	v_cmp_ge_u32_e32 vcc, v15, v14
	s_and_saveexec_b64 s[6:7], vcc
	s_xor_b64 s[6:7], exec, s[6:7]
	s_cbranch_execz .LBB1806_309
; %bb.308:
	v_add_co_u32_e32 v15, vcc, v7, v15
	v_lshlrev_b32_e32 v17, 2, v0
	v_addc_co_u32_e32 v16, vcc, 0, v13, vcc
	ds_read_b32 v17, v17 offset:5120
	v_lshlrev_b64 v[15:16], 2, v[15:16]
	v_mov_b32_e32 v18, s31
	v_sub_co_u32_e32 v15, vcc, s30, v15
	v_subb_co_u32_e32 v16, vcc, v18, v16, vcc
	s_waitcnt lgkmcnt(0)
	global_store_dword v[15:16], v17, off offset:-4
                                        ; implicit-def: $vgpr15
.LBB1806_309:
	s_andn2_saveexec_b64 s[6:7], s[6:7]
	s_cbranch_execz .LBB1806_311
; %bb.310:
	v_lshlrev_b32_e32 v16, 2, v0
	ds_read_b32 v16, v16 offset:5120
	v_lshlrev_b32_e32 v15, 2, v15
	v_readfirstlane_b32 s8, v9
	v_readfirstlane_b32 s9, v10
	s_waitcnt lgkmcnt(0)
	s_nop 3
	global_store_dword v15, v16, s[8:9]
.LBB1806_311:
	s_or_b64 exec, exec, s[6:7]
                                        ; implicit-def: $vgpr15
.LBB1806_312:
	s_andn2_saveexec_b64 s[4:5], s[4:5]
	s_cbranch_execz .LBB1806_314
; %bb.313:
	v_lshlrev_b32_e32 v16, 2, v0
	ds_read_b32 v16, v16 offset:5120
	v_lshlrev_b32_e32 v15, 2, v15
	v_readfirstlane_b32 s4, v11
	v_readfirstlane_b32 s5, v12
	s_waitcnt lgkmcnt(0)
	s_nop 3
	global_store_dword v15, v16, s[4:5]
.LBB1806_314:
	s_or_b64 exec, exec, s[2:3]
	v_or_b32_e32 v15, 0x600, v0
	v_cmp_gt_u32_e32 vcc, s16, v15
	s_and_saveexec_b64 s[2:3], vcc
	s_cbranch_execz .LBB1806_323
; %bb.315:
	v_cmp_ge_u32_e32 vcc, v15, v5
	s_and_saveexec_b64 s[4:5], vcc
	s_xor_b64 s[4:5], exec, s[4:5]
	s_cbranch_execz .LBB1806_321
; %bb.316:
	v_cmp_ge_u32_e32 vcc, v15, v14
	s_and_saveexec_b64 s[6:7], vcc
	s_xor_b64 s[6:7], exec, s[6:7]
	s_cbranch_execz .LBB1806_318
; %bb.317:
	v_add_co_u32_e32 v15, vcc, v7, v15
	v_lshlrev_b32_e32 v17, 2, v0
	v_addc_co_u32_e32 v16, vcc, 0, v13, vcc
	ds_read_b32 v17, v17 offset:6144
	v_lshlrev_b64 v[15:16], 2, v[15:16]
	v_mov_b32_e32 v18, s31
	v_sub_co_u32_e32 v15, vcc, s30, v15
	v_subb_co_u32_e32 v16, vcc, v18, v16, vcc
	s_waitcnt lgkmcnt(0)
	global_store_dword v[15:16], v17, off offset:-4
                                        ; implicit-def: $vgpr15
.LBB1806_318:
	s_andn2_saveexec_b64 s[6:7], s[6:7]
	s_cbranch_execz .LBB1806_320
; %bb.319:
	v_lshlrev_b32_e32 v16, 2, v0
	ds_read_b32 v16, v16 offset:6144
	v_lshlrev_b32_e32 v15, 2, v15
	v_readfirstlane_b32 s8, v9
	v_readfirstlane_b32 s9, v10
	s_waitcnt lgkmcnt(0)
	s_nop 3
	global_store_dword v15, v16, s[8:9]
.LBB1806_320:
	s_or_b64 exec, exec, s[6:7]
                                        ; implicit-def: $vgpr15
.LBB1806_321:
	s_andn2_saveexec_b64 s[4:5], s[4:5]
	s_cbranch_execz .LBB1806_323
; %bb.322:
	v_lshlrev_b32_e32 v16, 2, v0
	ds_read_b32 v16, v16 offset:6144
	v_lshlrev_b32_e32 v15, 2, v15
	v_readfirstlane_b32 s4, v11
	v_readfirstlane_b32 s5, v12
	s_waitcnt lgkmcnt(0)
	s_nop 3
	global_store_dword v15, v16, s[4:5]
.LBB1806_323:
	;; [unrolled: 55-line block ×7, first 2 shown]
	s_or_b64 exec, exec, s[2:3]
	v_or_b32_e32 v15, 0xc00, v0
	v_cmp_gt_u32_e32 vcc, s16, v15
	s_and_saveexec_b64 s[2:3], vcc
	s_cbranch_execz .LBB1806_377
; %bb.369:
	v_cmp_ge_u32_e32 vcc, v15, v5
	s_and_saveexec_b64 s[4:5], vcc
	s_xor_b64 s[4:5], exec, s[4:5]
	s_cbranch_execz .LBB1806_375
; %bb.370:
	v_cmp_ge_u32_e32 vcc, v15, v14
	s_and_saveexec_b64 s[6:7], vcc
	s_xor_b64 s[6:7], exec, s[6:7]
	s_cbranch_execz .LBB1806_372
; %bb.371:
	v_add_co_u32_e32 v9, vcc, v7, v15
	v_lshlrev_b32_e32 v0, 2, v0
	v_addc_co_u32_e32 v10, vcc, 0, v13, vcc
	ds_read_b32 v0, v0 offset:12288
	v_lshlrev_b64 v[9:10], 2, v[9:10]
	v_mov_b32_e32 v7, s31
	v_sub_co_u32_e32 v9, vcc, s30, v9
	v_subb_co_u32_e32 v10, vcc, v7, v10, vcc
	s_waitcnt lgkmcnt(0)
	global_store_dword v[9:10], v0, off offset:-4
                                        ; implicit-def: $vgpr0
                                        ; implicit-def: $vgpr15
                                        ; implicit-def: $vgpr9_vgpr10
.LBB1806_372:
	s_andn2_saveexec_b64 s[6:7], s[6:7]
	s_cbranch_execz .LBB1806_374
; %bb.373:
	v_lshlrev_b32_e32 v0, 2, v0
	ds_read_b32 v0, v0 offset:12288
	v_lshlrev_b32_e32 v7, 2, v15
	v_readfirstlane_b32 s8, v9
	v_readfirstlane_b32 s9, v10
	s_waitcnt lgkmcnt(0)
	s_nop 3
	global_store_dword v7, v0, s[8:9]
.LBB1806_374:
	s_or_b64 exec, exec, s[6:7]
                                        ; implicit-def: $vgpr0
                                        ; implicit-def: $vgpr15
                                        ; implicit-def: $vgpr11_vgpr12
.LBB1806_375:
	s_andn2_saveexec_b64 s[4:5], s[4:5]
	s_cbranch_execz .LBB1806_377
; %bb.376:
	v_lshlrev_b32_e32 v0, 2, v0
	ds_read_b32 v0, v0 offset:12288
	v_lshlrev_b32_e32 v7, 2, v15
	v_readfirstlane_b32 s4, v11
	v_readfirstlane_b32 s5, v12
	s_waitcnt lgkmcnt(0)
	s_nop 3
	global_store_dword v7, v0, s[4:5]
.LBB1806_377:
	s_or_b64 exec, exec, s[2:3]
	s_and_b64 s[0:1], s[0:1], s[34:35]
	s_and_saveexec_b64 s[2:3], s[0:1]
	s_cbranch_execz .LBB1806_154
.LBB1806_378:
	v_add_co_u32_e32 v3, vcc, v3, v6
	v_addc_co_u32_e32 v4, vcc, 0, v4, vcc
	v_add_co_u32_e32 v3, vcc, v3, v8
	v_addc_co_u32_e32 v4, vcc, 0, v4, vcc
	v_add_co_u32_e32 v1, vcc, v1, v5
	v_mov_b32_e32 v0, 0
	v_addc_co_u32_e32 v2, vcc, 0, v2, vcc
	global_store_dwordx4 v0, v[1:4], s[44:45]
	s_endpgm
.LBB1806_379:
	s_add_i32 s14, s33, 64
	s_mov_b32 s15, 0
	s_lshl_b64 s[14:15], s[14:15], 4
	s_add_u32 s14, s54, s14
	s_addc_u32 s15, s55, s15
	v_mov_b32_e32 v28, s15
	v_add_u32_e32 v10, v8, v6
	v_add_u32_e32 v9, v7, v5
	v_mov_b32_e32 v11, 2
	v_mov_b32_e32 v12, 0
	;; [unrolled: 1-line block ×3, first 2 shown]
	;;#ASMSTART
	global_store_dwordx4 v[27:28], v[9:12] off	
s_waitcnt vmcnt(0)
	;;#ASMEND
	s_or_b64 exec, exec, s[12:13]
	s_and_saveexec_b64 s[12:13], s[8:9]
	s_cbranch_execz .LBB1806_139
.LBB1806_380:
	v_mov_b32_e32 v9, 0
	ds_write_b128 v9, v[5:8] offset:13312
	s_or_b64 exec, exec, s[12:13]
	s_and_b64 exec, exec, s[0:1]
	s_cbranch_execnz .LBB1806_140
	s_branch .LBB1806_141
	.section	.rodata,"a",@progbits
	.p2align	6, 0x0
	.amdhsa_kernel _ZN7rocprim17ROCPRIM_400000_NS6detail17trampoline_kernelINS0_13select_configILj256ELj13ELNS0_17block_load_methodE3ELS4_3ELS4_3ELNS0_20block_scan_algorithmE0ELj4294967295EEENS1_25partition_config_selectorILNS1_17partition_subalgoE4EjNS0_10empty_typeEbEEZZNS1_14partition_implILS8_4ELb0ES6_15HIP_vector_typeIjLj2EENS0_17counting_iteratorIjlEEPS9_SG_NS0_5tupleIJPjSI_NS0_16reverse_iteratorISI_EEEEENSH_IJSG_SG_SG_EEES9_SI_JZNS1_25segmented_radix_sort_implINS0_14default_configELb0EPK6__halfPSP_PKlPlN2at6native12_GLOBAL__N_18offset_tEEE10hipError_tPvRmT1_PNSt15iterator_traitsIS13_E10value_typeET2_T3_PNS14_IS19_E10value_typeET4_jRbjT5_S1F_jjP12ihipStream_tbEUljE_ZNSN_ISO_Lb0ESR_SS_SU_SV_SZ_EES10_S11_S12_S13_S17_S18_S19_S1C_S1D_jS1E_jS1F_S1F_jjS1H_bEUljE0_EEES10_S11_S12_S19_S1D_S1F_T6_T7_T9_mT8_S1H_bDpT10_ENKUlT_T0_E_clISt17integral_constantIbLb0EES1U_IbLb1EEEEDaS1Q_S1R_EUlS1Q_E_NS1_11comp_targetILNS1_3genE2ELNS1_11target_archE906ELNS1_3gpuE6ELNS1_3repE0EEENS1_30default_config_static_selectorELNS0_4arch9wavefront6targetE1EEEvS13_
		.amdhsa_group_segment_fixed_size 13328
		.amdhsa_private_segment_fixed_size 0
		.amdhsa_kernarg_size 184
		.amdhsa_user_sgpr_count 6
		.amdhsa_user_sgpr_private_segment_buffer 1
		.amdhsa_user_sgpr_dispatch_ptr 0
		.amdhsa_user_sgpr_queue_ptr 0
		.amdhsa_user_sgpr_kernarg_segment_ptr 1
		.amdhsa_user_sgpr_dispatch_id 0
		.amdhsa_user_sgpr_flat_scratch_init 0
		.amdhsa_user_sgpr_private_segment_size 0
		.amdhsa_uses_dynamic_stack 0
		.amdhsa_system_sgpr_private_segment_wavefront_offset 0
		.amdhsa_system_sgpr_workgroup_id_x 1
		.amdhsa_system_sgpr_workgroup_id_y 0
		.amdhsa_system_sgpr_workgroup_id_z 0
		.amdhsa_system_sgpr_workgroup_info 0
		.amdhsa_system_vgpr_workitem_id 0
		.amdhsa_next_free_vgpr 91
		.amdhsa_next_free_sgpr 98
		.amdhsa_reserve_vcc 1
		.amdhsa_reserve_flat_scratch 0
		.amdhsa_float_round_mode_32 0
		.amdhsa_float_round_mode_16_64 0
		.amdhsa_float_denorm_mode_32 3
		.amdhsa_float_denorm_mode_16_64 3
		.amdhsa_dx10_clamp 1
		.amdhsa_ieee_mode 1
		.amdhsa_fp16_overflow 0
		.amdhsa_exception_fp_ieee_invalid_op 0
		.amdhsa_exception_fp_denorm_src 0
		.amdhsa_exception_fp_ieee_div_zero 0
		.amdhsa_exception_fp_ieee_overflow 0
		.amdhsa_exception_fp_ieee_underflow 0
		.amdhsa_exception_fp_ieee_inexact 0
		.amdhsa_exception_int_div_zero 0
	.end_amdhsa_kernel
	.section	.text._ZN7rocprim17ROCPRIM_400000_NS6detail17trampoline_kernelINS0_13select_configILj256ELj13ELNS0_17block_load_methodE3ELS4_3ELS4_3ELNS0_20block_scan_algorithmE0ELj4294967295EEENS1_25partition_config_selectorILNS1_17partition_subalgoE4EjNS0_10empty_typeEbEEZZNS1_14partition_implILS8_4ELb0ES6_15HIP_vector_typeIjLj2EENS0_17counting_iteratorIjlEEPS9_SG_NS0_5tupleIJPjSI_NS0_16reverse_iteratorISI_EEEEENSH_IJSG_SG_SG_EEES9_SI_JZNS1_25segmented_radix_sort_implINS0_14default_configELb0EPK6__halfPSP_PKlPlN2at6native12_GLOBAL__N_18offset_tEEE10hipError_tPvRmT1_PNSt15iterator_traitsIS13_E10value_typeET2_T3_PNS14_IS19_E10value_typeET4_jRbjT5_S1F_jjP12ihipStream_tbEUljE_ZNSN_ISO_Lb0ESR_SS_SU_SV_SZ_EES10_S11_S12_S13_S17_S18_S19_S1C_S1D_jS1E_jS1F_S1F_jjS1H_bEUljE0_EEES10_S11_S12_S19_S1D_S1F_T6_T7_T9_mT8_S1H_bDpT10_ENKUlT_T0_E_clISt17integral_constantIbLb0EES1U_IbLb1EEEEDaS1Q_S1R_EUlS1Q_E_NS1_11comp_targetILNS1_3genE2ELNS1_11target_archE906ELNS1_3gpuE6ELNS1_3repE0EEENS1_30default_config_static_selectorELNS0_4arch9wavefront6targetE1EEEvS13_,"axG",@progbits,_ZN7rocprim17ROCPRIM_400000_NS6detail17trampoline_kernelINS0_13select_configILj256ELj13ELNS0_17block_load_methodE3ELS4_3ELS4_3ELNS0_20block_scan_algorithmE0ELj4294967295EEENS1_25partition_config_selectorILNS1_17partition_subalgoE4EjNS0_10empty_typeEbEEZZNS1_14partition_implILS8_4ELb0ES6_15HIP_vector_typeIjLj2EENS0_17counting_iteratorIjlEEPS9_SG_NS0_5tupleIJPjSI_NS0_16reverse_iteratorISI_EEEEENSH_IJSG_SG_SG_EEES9_SI_JZNS1_25segmented_radix_sort_implINS0_14default_configELb0EPK6__halfPSP_PKlPlN2at6native12_GLOBAL__N_18offset_tEEE10hipError_tPvRmT1_PNSt15iterator_traitsIS13_E10value_typeET2_T3_PNS14_IS19_E10value_typeET4_jRbjT5_S1F_jjP12ihipStream_tbEUljE_ZNSN_ISO_Lb0ESR_SS_SU_SV_SZ_EES10_S11_S12_S13_S17_S18_S19_S1C_S1D_jS1E_jS1F_S1F_jjS1H_bEUljE0_EEES10_S11_S12_S19_S1D_S1F_T6_T7_T9_mT8_S1H_bDpT10_ENKUlT_T0_E_clISt17integral_constantIbLb0EES1U_IbLb1EEEEDaS1Q_S1R_EUlS1Q_E_NS1_11comp_targetILNS1_3genE2ELNS1_11target_archE906ELNS1_3gpuE6ELNS1_3repE0EEENS1_30default_config_static_selectorELNS0_4arch9wavefront6targetE1EEEvS13_,comdat
.Lfunc_end1806:
	.size	_ZN7rocprim17ROCPRIM_400000_NS6detail17trampoline_kernelINS0_13select_configILj256ELj13ELNS0_17block_load_methodE3ELS4_3ELS4_3ELNS0_20block_scan_algorithmE0ELj4294967295EEENS1_25partition_config_selectorILNS1_17partition_subalgoE4EjNS0_10empty_typeEbEEZZNS1_14partition_implILS8_4ELb0ES6_15HIP_vector_typeIjLj2EENS0_17counting_iteratorIjlEEPS9_SG_NS0_5tupleIJPjSI_NS0_16reverse_iteratorISI_EEEEENSH_IJSG_SG_SG_EEES9_SI_JZNS1_25segmented_radix_sort_implINS0_14default_configELb0EPK6__halfPSP_PKlPlN2at6native12_GLOBAL__N_18offset_tEEE10hipError_tPvRmT1_PNSt15iterator_traitsIS13_E10value_typeET2_T3_PNS14_IS19_E10value_typeET4_jRbjT5_S1F_jjP12ihipStream_tbEUljE_ZNSN_ISO_Lb0ESR_SS_SU_SV_SZ_EES10_S11_S12_S13_S17_S18_S19_S1C_S1D_jS1E_jS1F_S1F_jjS1H_bEUljE0_EEES10_S11_S12_S19_S1D_S1F_T6_T7_T9_mT8_S1H_bDpT10_ENKUlT_T0_E_clISt17integral_constantIbLb0EES1U_IbLb1EEEEDaS1Q_S1R_EUlS1Q_E_NS1_11comp_targetILNS1_3genE2ELNS1_11target_archE906ELNS1_3gpuE6ELNS1_3repE0EEENS1_30default_config_static_selectorELNS0_4arch9wavefront6targetE1EEEvS13_, .Lfunc_end1806-_ZN7rocprim17ROCPRIM_400000_NS6detail17trampoline_kernelINS0_13select_configILj256ELj13ELNS0_17block_load_methodE3ELS4_3ELS4_3ELNS0_20block_scan_algorithmE0ELj4294967295EEENS1_25partition_config_selectorILNS1_17partition_subalgoE4EjNS0_10empty_typeEbEEZZNS1_14partition_implILS8_4ELb0ES6_15HIP_vector_typeIjLj2EENS0_17counting_iteratorIjlEEPS9_SG_NS0_5tupleIJPjSI_NS0_16reverse_iteratorISI_EEEEENSH_IJSG_SG_SG_EEES9_SI_JZNS1_25segmented_radix_sort_implINS0_14default_configELb0EPK6__halfPSP_PKlPlN2at6native12_GLOBAL__N_18offset_tEEE10hipError_tPvRmT1_PNSt15iterator_traitsIS13_E10value_typeET2_T3_PNS14_IS19_E10value_typeET4_jRbjT5_S1F_jjP12ihipStream_tbEUljE_ZNSN_ISO_Lb0ESR_SS_SU_SV_SZ_EES10_S11_S12_S13_S17_S18_S19_S1C_S1D_jS1E_jS1F_S1F_jjS1H_bEUljE0_EEES10_S11_S12_S19_S1D_S1F_T6_T7_T9_mT8_S1H_bDpT10_ENKUlT_T0_E_clISt17integral_constantIbLb0EES1U_IbLb1EEEEDaS1Q_S1R_EUlS1Q_E_NS1_11comp_targetILNS1_3genE2ELNS1_11target_archE906ELNS1_3gpuE6ELNS1_3repE0EEENS1_30default_config_static_selectorELNS0_4arch9wavefront6targetE1EEEvS13_
                                        ; -- End function
	.set _ZN7rocprim17ROCPRIM_400000_NS6detail17trampoline_kernelINS0_13select_configILj256ELj13ELNS0_17block_load_methodE3ELS4_3ELS4_3ELNS0_20block_scan_algorithmE0ELj4294967295EEENS1_25partition_config_selectorILNS1_17partition_subalgoE4EjNS0_10empty_typeEbEEZZNS1_14partition_implILS8_4ELb0ES6_15HIP_vector_typeIjLj2EENS0_17counting_iteratorIjlEEPS9_SG_NS0_5tupleIJPjSI_NS0_16reverse_iteratorISI_EEEEENSH_IJSG_SG_SG_EEES9_SI_JZNS1_25segmented_radix_sort_implINS0_14default_configELb0EPK6__halfPSP_PKlPlN2at6native12_GLOBAL__N_18offset_tEEE10hipError_tPvRmT1_PNSt15iterator_traitsIS13_E10value_typeET2_T3_PNS14_IS19_E10value_typeET4_jRbjT5_S1F_jjP12ihipStream_tbEUljE_ZNSN_ISO_Lb0ESR_SS_SU_SV_SZ_EES10_S11_S12_S13_S17_S18_S19_S1C_S1D_jS1E_jS1F_S1F_jjS1H_bEUljE0_EEES10_S11_S12_S19_S1D_S1F_T6_T7_T9_mT8_S1H_bDpT10_ENKUlT_T0_E_clISt17integral_constantIbLb0EES1U_IbLb1EEEEDaS1Q_S1R_EUlS1Q_E_NS1_11comp_targetILNS1_3genE2ELNS1_11target_archE906ELNS1_3gpuE6ELNS1_3repE0EEENS1_30default_config_static_selectorELNS0_4arch9wavefront6targetE1EEEvS13_.num_vgpr, 91
	.set _ZN7rocprim17ROCPRIM_400000_NS6detail17trampoline_kernelINS0_13select_configILj256ELj13ELNS0_17block_load_methodE3ELS4_3ELS4_3ELNS0_20block_scan_algorithmE0ELj4294967295EEENS1_25partition_config_selectorILNS1_17partition_subalgoE4EjNS0_10empty_typeEbEEZZNS1_14partition_implILS8_4ELb0ES6_15HIP_vector_typeIjLj2EENS0_17counting_iteratorIjlEEPS9_SG_NS0_5tupleIJPjSI_NS0_16reverse_iteratorISI_EEEEENSH_IJSG_SG_SG_EEES9_SI_JZNS1_25segmented_radix_sort_implINS0_14default_configELb0EPK6__halfPSP_PKlPlN2at6native12_GLOBAL__N_18offset_tEEE10hipError_tPvRmT1_PNSt15iterator_traitsIS13_E10value_typeET2_T3_PNS14_IS19_E10value_typeET4_jRbjT5_S1F_jjP12ihipStream_tbEUljE_ZNSN_ISO_Lb0ESR_SS_SU_SV_SZ_EES10_S11_S12_S13_S17_S18_S19_S1C_S1D_jS1E_jS1F_S1F_jjS1H_bEUljE0_EEES10_S11_S12_S19_S1D_S1F_T6_T7_T9_mT8_S1H_bDpT10_ENKUlT_T0_E_clISt17integral_constantIbLb0EES1U_IbLb1EEEEDaS1Q_S1R_EUlS1Q_E_NS1_11comp_targetILNS1_3genE2ELNS1_11target_archE906ELNS1_3gpuE6ELNS1_3repE0EEENS1_30default_config_static_selectorELNS0_4arch9wavefront6targetE1EEEvS13_.num_agpr, 0
	.set _ZN7rocprim17ROCPRIM_400000_NS6detail17trampoline_kernelINS0_13select_configILj256ELj13ELNS0_17block_load_methodE3ELS4_3ELS4_3ELNS0_20block_scan_algorithmE0ELj4294967295EEENS1_25partition_config_selectorILNS1_17partition_subalgoE4EjNS0_10empty_typeEbEEZZNS1_14partition_implILS8_4ELb0ES6_15HIP_vector_typeIjLj2EENS0_17counting_iteratorIjlEEPS9_SG_NS0_5tupleIJPjSI_NS0_16reverse_iteratorISI_EEEEENSH_IJSG_SG_SG_EEES9_SI_JZNS1_25segmented_radix_sort_implINS0_14default_configELb0EPK6__halfPSP_PKlPlN2at6native12_GLOBAL__N_18offset_tEEE10hipError_tPvRmT1_PNSt15iterator_traitsIS13_E10value_typeET2_T3_PNS14_IS19_E10value_typeET4_jRbjT5_S1F_jjP12ihipStream_tbEUljE_ZNSN_ISO_Lb0ESR_SS_SU_SV_SZ_EES10_S11_S12_S13_S17_S18_S19_S1C_S1D_jS1E_jS1F_S1F_jjS1H_bEUljE0_EEES10_S11_S12_S19_S1D_S1F_T6_T7_T9_mT8_S1H_bDpT10_ENKUlT_T0_E_clISt17integral_constantIbLb0EES1U_IbLb1EEEEDaS1Q_S1R_EUlS1Q_E_NS1_11comp_targetILNS1_3genE2ELNS1_11target_archE906ELNS1_3gpuE6ELNS1_3repE0EEENS1_30default_config_static_selectorELNS0_4arch9wavefront6targetE1EEEvS13_.numbered_sgpr, 87
	.set _ZN7rocprim17ROCPRIM_400000_NS6detail17trampoline_kernelINS0_13select_configILj256ELj13ELNS0_17block_load_methodE3ELS4_3ELS4_3ELNS0_20block_scan_algorithmE0ELj4294967295EEENS1_25partition_config_selectorILNS1_17partition_subalgoE4EjNS0_10empty_typeEbEEZZNS1_14partition_implILS8_4ELb0ES6_15HIP_vector_typeIjLj2EENS0_17counting_iteratorIjlEEPS9_SG_NS0_5tupleIJPjSI_NS0_16reverse_iteratorISI_EEEEENSH_IJSG_SG_SG_EEES9_SI_JZNS1_25segmented_radix_sort_implINS0_14default_configELb0EPK6__halfPSP_PKlPlN2at6native12_GLOBAL__N_18offset_tEEE10hipError_tPvRmT1_PNSt15iterator_traitsIS13_E10value_typeET2_T3_PNS14_IS19_E10value_typeET4_jRbjT5_S1F_jjP12ihipStream_tbEUljE_ZNSN_ISO_Lb0ESR_SS_SU_SV_SZ_EES10_S11_S12_S13_S17_S18_S19_S1C_S1D_jS1E_jS1F_S1F_jjS1H_bEUljE0_EEES10_S11_S12_S19_S1D_S1F_T6_T7_T9_mT8_S1H_bDpT10_ENKUlT_T0_E_clISt17integral_constantIbLb0EES1U_IbLb1EEEEDaS1Q_S1R_EUlS1Q_E_NS1_11comp_targetILNS1_3genE2ELNS1_11target_archE906ELNS1_3gpuE6ELNS1_3repE0EEENS1_30default_config_static_selectorELNS0_4arch9wavefront6targetE1EEEvS13_.num_named_barrier, 0
	.set _ZN7rocprim17ROCPRIM_400000_NS6detail17trampoline_kernelINS0_13select_configILj256ELj13ELNS0_17block_load_methodE3ELS4_3ELS4_3ELNS0_20block_scan_algorithmE0ELj4294967295EEENS1_25partition_config_selectorILNS1_17partition_subalgoE4EjNS0_10empty_typeEbEEZZNS1_14partition_implILS8_4ELb0ES6_15HIP_vector_typeIjLj2EENS0_17counting_iteratorIjlEEPS9_SG_NS0_5tupleIJPjSI_NS0_16reverse_iteratorISI_EEEEENSH_IJSG_SG_SG_EEES9_SI_JZNS1_25segmented_radix_sort_implINS0_14default_configELb0EPK6__halfPSP_PKlPlN2at6native12_GLOBAL__N_18offset_tEEE10hipError_tPvRmT1_PNSt15iterator_traitsIS13_E10value_typeET2_T3_PNS14_IS19_E10value_typeET4_jRbjT5_S1F_jjP12ihipStream_tbEUljE_ZNSN_ISO_Lb0ESR_SS_SU_SV_SZ_EES10_S11_S12_S13_S17_S18_S19_S1C_S1D_jS1E_jS1F_S1F_jjS1H_bEUljE0_EEES10_S11_S12_S19_S1D_S1F_T6_T7_T9_mT8_S1H_bDpT10_ENKUlT_T0_E_clISt17integral_constantIbLb0EES1U_IbLb1EEEEDaS1Q_S1R_EUlS1Q_E_NS1_11comp_targetILNS1_3genE2ELNS1_11target_archE906ELNS1_3gpuE6ELNS1_3repE0EEENS1_30default_config_static_selectorELNS0_4arch9wavefront6targetE1EEEvS13_.private_seg_size, 0
	.set _ZN7rocprim17ROCPRIM_400000_NS6detail17trampoline_kernelINS0_13select_configILj256ELj13ELNS0_17block_load_methodE3ELS4_3ELS4_3ELNS0_20block_scan_algorithmE0ELj4294967295EEENS1_25partition_config_selectorILNS1_17partition_subalgoE4EjNS0_10empty_typeEbEEZZNS1_14partition_implILS8_4ELb0ES6_15HIP_vector_typeIjLj2EENS0_17counting_iteratorIjlEEPS9_SG_NS0_5tupleIJPjSI_NS0_16reverse_iteratorISI_EEEEENSH_IJSG_SG_SG_EEES9_SI_JZNS1_25segmented_radix_sort_implINS0_14default_configELb0EPK6__halfPSP_PKlPlN2at6native12_GLOBAL__N_18offset_tEEE10hipError_tPvRmT1_PNSt15iterator_traitsIS13_E10value_typeET2_T3_PNS14_IS19_E10value_typeET4_jRbjT5_S1F_jjP12ihipStream_tbEUljE_ZNSN_ISO_Lb0ESR_SS_SU_SV_SZ_EES10_S11_S12_S13_S17_S18_S19_S1C_S1D_jS1E_jS1F_S1F_jjS1H_bEUljE0_EEES10_S11_S12_S19_S1D_S1F_T6_T7_T9_mT8_S1H_bDpT10_ENKUlT_T0_E_clISt17integral_constantIbLb0EES1U_IbLb1EEEEDaS1Q_S1R_EUlS1Q_E_NS1_11comp_targetILNS1_3genE2ELNS1_11target_archE906ELNS1_3gpuE6ELNS1_3repE0EEENS1_30default_config_static_selectorELNS0_4arch9wavefront6targetE1EEEvS13_.uses_vcc, 1
	.set _ZN7rocprim17ROCPRIM_400000_NS6detail17trampoline_kernelINS0_13select_configILj256ELj13ELNS0_17block_load_methodE3ELS4_3ELS4_3ELNS0_20block_scan_algorithmE0ELj4294967295EEENS1_25partition_config_selectorILNS1_17partition_subalgoE4EjNS0_10empty_typeEbEEZZNS1_14partition_implILS8_4ELb0ES6_15HIP_vector_typeIjLj2EENS0_17counting_iteratorIjlEEPS9_SG_NS0_5tupleIJPjSI_NS0_16reverse_iteratorISI_EEEEENSH_IJSG_SG_SG_EEES9_SI_JZNS1_25segmented_radix_sort_implINS0_14default_configELb0EPK6__halfPSP_PKlPlN2at6native12_GLOBAL__N_18offset_tEEE10hipError_tPvRmT1_PNSt15iterator_traitsIS13_E10value_typeET2_T3_PNS14_IS19_E10value_typeET4_jRbjT5_S1F_jjP12ihipStream_tbEUljE_ZNSN_ISO_Lb0ESR_SS_SU_SV_SZ_EES10_S11_S12_S13_S17_S18_S19_S1C_S1D_jS1E_jS1F_S1F_jjS1H_bEUljE0_EEES10_S11_S12_S19_S1D_S1F_T6_T7_T9_mT8_S1H_bDpT10_ENKUlT_T0_E_clISt17integral_constantIbLb0EES1U_IbLb1EEEEDaS1Q_S1R_EUlS1Q_E_NS1_11comp_targetILNS1_3genE2ELNS1_11target_archE906ELNS1_3gpuE6ELNS1_3repE0EEENS1_30default_config_static_selectorELNS0_4arch9wavefront6targetE1EEEvS13_.uses_flat_scratch, 0
	.set _ZN7rocprim17ROCPRIM_400000_NS6detail17trampoline_kernelINS0_13select_configILj256ELj13ELNS0_17block_load_methodE3ELS4_3ELS4_3ELNS0_20block_scan_algorithmE0ELj4294967295EEENS1_25partition_config_selectorILNS1_17partition_subalgoE4EjNS0_10empty_typeEbEEZZNS1_14partition_implILS8_4ELb0ES6_15HIP_vector_typeIjLj2EENS0_17counting_iteratorIjlEEPS9_SG_NS0_5tupleIJPjSI_NS0_16reverse_iteratorISI_EEEEENSH_IJSG_SG_SG_EEES9_SI_JZNS1_25segmented_radix_sort_implINS0_14default_configELb0EPK6__halfPSP_PKlPlN2at6native12_GLOBAL__N_18offset_tEEE10hipError_tPvRmT1_PNSt15iterator_traitsIS13_E10value_typeET2_T3_PNS14_IS19_E10value_typeET4_jRbjT5_S1F_jjP12ihipStream_tbEUljE_ZNSN_ISO_Lb0ESR_SS_SU_SV_SZ_EES10_S11_S12_S13_S17_S18_S19_S1C_S1D_jS1E_jS1F_S1F_jjS1H_bEUljE0_EEES10_S11_S12_S19_S1D_S1F_T6_T7_T9_mT8_S1H_bDpT10_ENKUlT_T0_E_clISt17integral_constantIbLb0EES1U_IbLb1EEEEDaS1Q_S1R_EUlS1Q_E_NS1_11comp_targetILNS1_3genE2ELNS1_11target_archE906ELNS1_3gpuE6ELNS1_3repE0EEENS1_30default_config_static_selectorELNS0_4arch9wavefront6targetE1EEEvS13_.has_dyn_sized_stack, 0
	.set _ZN7rocprim17ROCPRIM_400000_NS6detail17trampoline_kernelINS0_13select_configILj256ELj13ELNS0_17block_load_methodE3ELS4_3ELS4_3ELNS0_20block_scan_algorithmE0ELj4294967295EEENS1_25partition_config_selectorILNS1_17partition_subalgoE4EjNS0_10empty_typeEbEEZZNS1_14partition_implILS8_4ELb0ES6_15HIP_vector_typeIjLj2EENS0_17counting_iteratorIjlEEPS9_SG_NS0_5tupleIJPjSI_NS0_16reverse_iteratorISI_EEEEENSH_IJSG_SG_SG_EEES9_SI_JZNS1_25segmented_radix_sort_implINS0_14default_configELb0EPK6__halfPSP_PKlPlN2at6native12_GLOBAL__N_18offset_tEEE10hipError_tPvRmT1_PNSt15iterator_traitsIS13_E10value_typeET2_T3_PNS14_IS19_E10value_typeET4_jRbjT5_S1F_jjP12ihipStream_tbEUljE_ZNSN_ISO_Lb0ESR_SS_SU_SV_SZ_EES10_S11_S12_S13_S17_S18_S19_S1C_S1D_jS1E_jS1F_S1F_jjS1H_bEUljE0_EEES10_S11_S12_S19_S1D_S1F_T6_T7_T9_mT8_S1H_bDpT10_ENKUlT_T0_E_clISt17integral_constantIbLb0EES1U_IbLb1EEEEDaS1Q_S1R_EUlS1Q_E_NS1_11comp_targetILNS1_3genE2ELNS1_11target_archE906ELNS1_3gpuE6ELNS1_3repE0EEENS1_30default_config_static_selectorELNS0_4arch9wavefront6targetE1EEEvS13_.has_recursion, 0
	.set _ZN7rocprim17ROCPRIM_400000_NS6detail17trampoline_kernelINS0_13select_configILj256ELj13ELNS0_17block_load_methodE3ELS4_3ELS4_3ELNS0_20block_scan_algorithmE0ELj4294967295EEENS1_25partition_config_selectorILNS1_17partition_subalgoE4EjNS0_10empty_typeEbEEZZNS1_14partition_implILS8_4ELb0ES6_15HIP_vector_typeIjLj2EENS0_17counting_iteratorIjlEEPS9_SG_NS0_5tupleIJPjSI_NS0_16reverse_iteratorISI_EEEEENSH_IJSG_SG_SG_EEES9_SI_JZNS1_25segmented_radix_sort_implINS0_14default_configELb0EPK6__halfPSP_PKlPlN2at6native12_GLOBAL__N_18offset_tEEE10hipError_tPvRmT1_PNSt15iterator_traitsIS13_E10value_typeET2_T3_PNS14_IS19_E10value_typeET4_jRbjT5_S1F_jjP12ihipStream_tbEUljE_ZNSN_ISO_Lb0ESR_SS_SU_SV_SZ_EES10_S11_S12_S13_S17_S18_S19_S1C_S1D_jS1E_jS1F_S1F_jjS1H_bEUljE0_EEES10_S11_S12_S19_S1D_S1F_T6_T7_T9_mT8_S1H_bDpT10_ENKUlT_T0_E_clISt17integral_constantIbLb0EES1U_IbLb1EEEEDaS1Q_S1R_EUlS1Q_E_NS1_11comp_targetILNS1_3genE2ELNS1_11target_archE906ELNS1_3gpuE6ELNS1_3repE0EEENS1_30default_config_static_selectorELNS0_4arch9wavefront6targetE1EEEvS13_.has_indirect_call, 0
	.section	.AMDGPU.csdata,"",@progbits
; Kernel info:
; codeLenInByte = 15580
; TotalNumSgprs: 91
; NumVgprs: 91
; ScratchSize: 0
; MemoryBound: 0
; FloatMode: 240
; IeeeMode: 1
; LDSByteSize: 13328 bytes/workgroup (compile time only)
; SGPRBlocks: 12
; VGPRBlocks: 22
; NumSGPRsForWavesPerEU: 102
; NumVGPRsForWavesPerEU: 91
; Occupancy: 2
; WaveLimiterHint : 1
; COMPUTE_PGM_RSRC2:SCRATCH_EN: 0
; COMPUTE_PGM_RSRC2:USER_SGPR: 6
; COMPUTE_PGM_RSRC2:TRAP_HANDLER: 0
; COMPUTE_PGM_RSRC2:TGID_X_EN: 1
; COMPUTE_PGM_RSRC2:TGID_Y_EN: 0
; COMPUTE_PGM_RSRC2:TGID_Z_EN: 0
; COMPUTE_PGM_RSRC2:TIDIG_COMP_CNT: 0
	.section	.text._ZN7rocprim17ROCPRIM_400000_NS6detail17trampoline_kernelINS0_13select_configILj256ELj13ELNS0_17block_load_methodE3ELS4_3ELS4_3ELNS0_20block_scan_algorithmE0ELj4294967295EEENS1_25partition_config_selectorILNS1_17partition_subalgoE4EjNS0_10empty_typeEbEEZZNS1_14partition_implILS8_4ELb0ES6_15HIP_vector_typeIjLj2EENS0_17counting_iteratorIjlEEPS9_SG_NS0_5tupleIJPjSI_NS0_16reverse_iteratorISI_EEEEENSH_IJSG_SG_SG_EEES9_SI_JZNS1_25segmented_radix_sort_implINS0_14default_configELb0EPK6__halfPSP_PKlPlN2at6native12_GLOBAL__N_18offset_tEEE10hipError_tPvRmT1_PNSt15iterator_traitsIS13_E10value_typeET2_T3_PNS14_IS19_E10value_typeET4_jRbjT5_S1F_jjP12ihipStream_tbEUljE_ZNSN_ISO_Lb0ESR_SS_SU_SV_SZ_EES10_S11_S12_S13_S17_S18_S19_S1C_S1D_jS1E_jS1F_S1F_jjS1H_bEUljE0_EEES10_S11_S12_S19_S1D_S1F_T6_T7_T9_mT8_S1H_bDpT10_ENKUlT_T0_E_clISt17integral_constantIbLb0EES1U_IbLb1EEEEDaS1Q_S1R_EUlS1Q_E_NS1_11comp_targetILNS1_3genE10ELNS1_11target_archE1200ELNS1_3gpuE4ELNS1_3repE0EEENS1_30default_config_static_selectorELNS0_4arch9wavefront6targetE1EEEvS13_,"axG",@progbits,_ZN7rocprim17ROCPRIM_400000_NS6detail17trampoline_kernelINS0_13select_configILj256ELj13ELNS0_17block_load_methodE3ELS4_3ELS4_3ELNS0_20block_scan_algorithmE0ELj4294967295EEENS1_25partition_config_selectorILNS1_17partition_subalgoE4EjNS0_10empty_typeEbEEZZNS1_14partition_implILS8_4ELb0ES6_15HIP_vector_typeIjLj2EENS0_17counting_iteratorIjlEEPS9_SG_NS0_5tupleIJPjSI_NS0_16reverse_iteratorISI_EEEEENSH_IJSG_SG_SG_EEES9_SI_JZNS1_25segmented_radix_sort_implINS0_14default_configELb0EPK6__halfPSP_PKlPlN2at6native12_GLOBAL__N_18offset_tEEE10hipError_tPvRmT1_PNSt15iterator_traitsIS13_E10value_typeET2_T3_PNS14_IS19_E10value_typeET4_jRbjT5_S1F_jjP12ihipStream_tbEUljE_ZNSN_ISO_Lb0ESR_SS_SU_SV_SZ_EES10_S11_S12_S13_S17_S18_S19_S1C_S1D_jS1E_jS1F_S1F_jjS1H_bEUljE0_EEES10_S11_S12_S19_S1D_S1F_T6_T7_T9_mT8_S1H_bDpT10_ENKUlT_T0_E_clISt17integral_constantIbLb0EES1U_IbLb1EEEEDaS1Q_S1R_EUlS1Q_E_NS1_11comp_targetILNS1_3genE10ELNS1_11target_archE1200ELNS1_3gpuE4ELNS1_3repE0EEENS1_30default_config_static_selectorELNS0_4arch9wavefront6targetE1EEEvS13_,comdat
	.globl	_ZN7rocprim17ROCPRIM_400000_NS6detail17trampoline_kernelINS0_13select_configILj256ELj13ELNS0_17block_load_methodE3ELS4_3ELS4_3ELNS0_20block_scan_algorithmE0ELj4294967295EEENS1_25partition_config_selectorILNS1_17partition_subalgoE4EjNS0_10empty_typeEbEEZZNS1_14partition_implILS8_4ELb0ES6_15HIP_vector_typeIjLj2EENS0_17counting_iteratorIjlEEPS9_SG_NS0_5tupleIJPjSI_NS0_16reverse_iteratorISI_EEEEENSH_IJSG_SG_SG_EEES9_SI_JZNS1_25segmented_radix_sort_implINS0_14default_configELb0EPK6__halfPSP_PKlPlN2at6native12_GLOBAL__N_18offset_tEEE10hipError_tPvRmT1_PNSt15iterator_traitsIS13_E10value_typeET2_T3_PNS14_IS19_E10value_typeET4_jRbjT5_S1F_jjP12ihipStream_tbEUljE_ZNSN_ISO_Lb0ESR_SS_SU_SV_SZ_EES10_S11_S12_S13_S17_S18_S19_S1C_S1D_jS1E_jS1F_S1F_jjS1H_bEUljE0_EEES10_S11_S12_S19_S1D_S1F_T6_T7_T9_mT8_S1H_bDpT10_ENKUlT_T0_E_clISt17integral_constantIbLb0EES1U_IbLb1EEEEDaS1Q_S1R_EUlS1Q_E_NS1_11comp_targetILNS1_3genE10ELNS1_11target_archE1200ELNS1_3gpuE4ELNS1_3repE0EEENS1_30default_config_static_selectorELNS0_4arch9wavefront6targetE1EEEvS13_ ; -- Begin function _ZN7rocprim17ROCPRIM_400000_NS6detail17trampoline_kernelINS0_13select_configILj256ELj13ELNS0_17block_load_methodE3ELS4_3ELS4_3ELNS0_20block_scan_algorithmE0ELj4294967295EEENS1_25partition_config_selectorILNS1_17partition_subalgoE4EjNS0_10empty_typeEbEEZZNS1_14partition_implILS8_4ELb0ES6_15HIP_vector_typeIjLj2EENS0_17counting_iteratorIjlEEPS9_SG_NS0_5tupleIJPjSI_NS0_16reverse_iteratorISI_EEEEENSH_IJSG_SG_SG_EEES9_SI_JZNS1_25segmented_radix_sort_implINS0_14default_configELb0EPK6__halfPSP_PKlPlN2at6native12_GLOBAL__N_18offset_tEEE10hipError_tPvRmT1_PNSt15iterator_traitsIS13_E10value_typeET2_T3_PNS14_IS19_E10value_typeET4_jRbjT5_S1F_jjP12ihipStream_tbEUljE_ZNSN_ISO_Lb0ESR_SS_SU_SV_SZ_EES10_S11_S12_S13_S17_S18_S19_S1C_S1D_jS1E_jS1F_S1F_jjS1H_bEUljE0_EEES10_S11_S12_S19_S1D_S1F_T6_T7_T9_mT8_S1H_bDpT10_ENKUlT_T0_E_clISt17integral_constantIbLb0EES1U_IbLb1EEEEDaS1Q_S1R_EUlS1Q_E_NS1_11comp_targetILNS1_3genE10ELNS1_11target_archE1200ELNS1_3gpuE4ELNS1_3repE0EEENS1_30default_config_static_selectorELNS0_4arch9wavefront6targetE1EEEvS13_
	.p2align	8
	.type	_ZN7rocprim17ROCPRIM_400000_NS6detail17trampoline_kernelINS0_13select_configILj256ELj13ELNS0_17block_load_methodE3ELS4_3ELS4_3ELNS0_20block_scan_algorithmE0ELj4294967295EEENS1_25partition_config_selectorILNS1_17partition_subalgoE4EjNS0_10empty_typeEbEEZZNS1_14partition_implILS8_4ELb0ES6_15HIP_vector_typeIjLj2EENS0_17counting_iteratorIjlEEPS9_SG_NS0_5tupleIJPjSI_NS0_16reverse_iteratorISI_EEEEENSH_IJSG_SG_SG_EEES9_SI_JZNS1_25segmented_radix_sort_implINS0_14default_configELb0EPK6__halfPSP_PKlPlN2at6native12_GLOBAL__N_18offset_tEEE10hipError_tPvRmT1_PNSt15iterator_traitsIS13_E10value_typeET2_T3_PNS14_IS19_E10value_typeET4_jRbjT5_S1F_jjP12ihipStream_tbEUljE_ZNSN_ISO_Lb0ESR_SS_SU_SV_SZ_EES10_S11_S12_S13_S17_S18_S19_S1C_S1D_jS1E_jS1F_S1F_jjS1H_bEUljE0_EEES10_S11_S12_S19_S1D_S1F_T6_T7_T9_mT8_S1H_bDpT10_ENKUlT_T0_E_clISt17integral_constantIbLb0EES1U_IbLb1EEEEDaS1Q_S1R_EUlS1Q_E_NS1_11comp_targetILNS1_3genE10ELNS1_11target_archE1200ELNS1_3gpuE4ELNS1_3repE0EEENS1_30default_config_static_selectorELNS0_4arch9wavefront6targetE1EEEvS13_,@function
_ZN7rocprim17ROCPRIM_400000_NS6detail17trampoline_kernelINS0_13select_configILj256ELj13ELNS0_17block_load_methodE3ELS4_3ELS4_3ELNS0_20block_scan_algorithmE0ELj4294967295EEENS1_25partition_config_selectorILNS1_17partition_subalgoE4EjNS0_10empty_typeEbEEZZNS1_14partition_implILS8_4ELb0ES6_15HIP_vector_typeIjLj2EENS0_17counting_iteratorIjlEEPS9_SG_NS0_5tupleIJPjSI_NS0_16reverse_iteratorISI_EEEEENSH_IJSG_SG_SG_EEES9_SI_JZNS1_25segmented_radix_sort_implINS0_14default_configELb0EPK6__halfPSP_PKlPlN2at6native12_GLOBAL__N_18offset_tEEE10hipError_tPvRmT1_PNSt15iterator_traitsIS13_E10value_typeET2_T3_PNS14_IS19_E10value_typeET4_jRbjT5_S1F_jjP12ihipStream_tbEUljE_ZNSN_ISO_Lb0ESR_SS_SU_SV_SZ_EES10_S11_S12_S13_S17_S18_S19_S1C_S1D_jS1E_jS1F_S1F_jjS1H_bEUljE0_EEES10_S11_S12_S19_S1D_S1F_T6_T7_T9_mT8_S1H_bDpT10_ENKUlT_T0_E_clISt17integral_constantIbLb0EES1U_IbLb1EEEEDaS1Q_S1R_EUlS1Q_E_NS1_11comp_targetILNS1_3genE10ELNS1_11target_archE1200ELNS1_3gpuE4ELNS1_3repE0EEENS1_30default_config_static_selectorELNS0_4arch9wavefront6targetE1EEEvS13_: ; @_ZN7rocprim17ROCPRIM_400000_NS6detail17trampoline_kernelINS0_13select_configILj256ELj13ELNS0_17block_load_methodE3ELS4_3ELS4_3ELNS0_20block_scan_algorithmE0ELj4294967295EEENS1_25partition_config_selectorILNS1_17partition_subalgoE4EjNS0_10empty_typeEbEEZZNS1_14partition_implILS8_4ELb0ES6_15HIP_vector_typeIjLj2EENS0_17counting_iteratorIjlEEPS9_SG_NS0_5tupleIJPjSI_NS0_16reverse_iteratorISI_EEEEENSH_IJSG_SG_SG_EEES9_SI_JZNS1_25segmented_radix_sort_implINS0_14default_configELb0EPK6__halfPSP_PKlPlN2at6native12_GLOBAL__N_18offset_tEEE10hipError_tPvRmT1_PNSt15iterator_traitsIS13_E10value_typeET2_T3_PNS14_IS19_E10value_typeET4_jRbjT5_S1F_jjP12ihipStream_tbEUljE_ZNSN_ISO_Lb0ESR_SS_SU_SV_SZ_EES10_S11_S12_S13_S17_S18_S19_S1C_S1D_jS1E_jS1F_S1F_jjS1H_bEUljE0_EEES10_S11_S12_S19_S1D_S1F_T6_T7_T9_mT8_S1H_bDpT10_ENKUlT_T0_E_clISt17integral_constantIbLb0EES1U_IbLb1EEEEDaS1Q_S1R_EUlS1Q_E_NS1_11comp_targetILNS1_3genE10ELNS1_11target_archE1200ELNS1_3gpuE4ELNS1_3repE0EEENS1_30default_config_static_selectorELNS0_4arch9wavefront6targetE1EEEvS13_
; %bb.0:
	.section	.rodata,"a",@progbits
	.p2align	6, 0x0
	.amdhsa_kernel _ZN7rocprim17ROCPRIM_400000_NS6detail17trampoline_kernelINS0_13select_configILj256ELj13ELNS0_17block_load_methodE3ELS4_3ELS4_3ELNS0_20block_scan_algorithmE0ELj4294967295EEENS1_25partition_config_selectorILNS1_17partition_subalgoE4EjNS0_10empty_typeEbEEZZNS1_14partition_implILS8_4ELb0ES6_15HIP_vector_typeIjLj2EENS0_17counting_iteratorIjlEEPS9_SG_NS0_5tupleIJPjSI_NS0_16reverse_iteratorISI_EEEEENSH_IJSG_SG_SG_EEES9_SI_JZNS1_25segmented_radix_sort_implINS0_14default_configELb0EPK6__halfPSP_PKlPlN2at6native12_GLOBAL__N_18offset_tEEE10hipError_tPvRmT1_PNSt15iterator_traitsIS13_E10value_typeET2_T3_PNS14_IS19_E10value_typeET4_jRbjT5_S1F_jjP12ihipStream_tbEUljE_ZNSN_ISO_Lb0ESR_SS_SU_SV_SZ_EES10_S11_S12_S13_S17_S18_S19_S1C_S1D_jS1E_jS1F_S1F_jjS1H_bEUljE0_EEES10_S11_S12_S19_S1D_S1F_T6_T7_T9_mT8_S1H_bDpT10_ENKUlT_T0_E_clISt17integral_constantIbLb0EES1U_IbLb1EEEEDaS1Q_S1R_EUlS1Q_E_NS1_11comp_targetILNS1_3genE10ELNS1_11target_archE1200ELNS1_3gpuE4ELNS1_3repE0EEENS1_30default_config_static_selectorELNS0_4arch9wavefront6targetE1EEEvS13_
		.amdhsa_group_segment_fixed_size 0
		.amdhsa_private_segment_fixed_size 0
		.amdhsa_kernarg_size 184
		.amdhsa_user_sgpr_count 6
		.amdhsa_user_sgpr_private_segment_buffer 1
		.amdhsa_user_sgpr_dispatch_ptr 0
		.amdhsa_user_sgpr_queue_ptr 0
		.amdhsa_user_sgpr_kernarg_segment_ptr 1
		.amdhsa_user_sgpr_dispatch_id 0
		.amdhsa_user_sgpr_flat_scratch_init 0
		.amdhsa_user_sgpr_private_segment_size 0
		.amdhsa_uses_dynamic_stack 0
		.amdhsa_system_sgpr_private_segment_wavefront_offset 0
		.amdhsa_system_sgpr_workgroup_id_x 1
		.amdhsa_system_sgpr_workgroup_id_y 0
		.amdhsa_system_sgpr_workgroup_id_z 0
		.amdhsa_system_sgpr_workgroup_info 0
		.amdhsa_system_vgpr_workitem_id 0
		.amdhsa_next_free_vgpr 1
		.amdhsa_next_free_sgpr 0
		.amdhsa_reserve_vcc 0
		.amdhsa_reserve_flat_scratch 0
		.amdhsa_float_round_mode_32 0
		.amdhsa_float_round_mode_16_64 0
		.amdhsa_float_denorm_mode_32 3
		.amdhsa_float_denorm_mode_16_64 3
		.amdhsa_dx10_clamp 1
		.amdhsa_ieee_mode 1
		.amdhsa_fp16_overflow 0
		.amdhsa_exception_fp_ieee_invalid_op 0
		.amdhsa_exception_fp_denorm_src 0
		.amdhsa_exception_fp_ieee_div_zero 0
		.amdhsa_exception_fp_ieee_overflow 0
		.amdhsa_exception_fp_ieee_underflow 0
		.amdhsa_exception_fp_ieee_inexact 0
		.amdhsa_exception_int_div_zero 0
	.end_amdhsa_kernel
	.section	.text._ZN7rocprim17ROCPRIM_400000_NS6detail17trampoline_kernelINS0_13select_configILj256ELj13ELNS0_17block_load_methodE3ELS4_3ELS4_3ELNS0_20block_scan_algorithmE0ELj4294967295EEENS1_25partition_config_selectorILNS1_17partition_subalgoE4EjNS0_10empty_typeEbEEZZNS1_14partition_implILS8_4ELb0ES6_15HIP_vector_typeIjLj2EENS0_17counting_iteratorIjlEEPS9_SG_NS0_5tupleIJPjSI_NS0_16reverse_iteratorISI_EEEEENSH_IJSG_SG_SG_EEES9_SI_JZNS1_25segmented_radix_sort_implINS0_14default_configELb0EPK6__halfPSP_PKlPlN2at6native12_GLOBAL__N_18offset_tEEE10hipError_tPvRmT1_PNSt15iterator_traitsIS13_E10value_typeET2_T3_PNS14_IS19_E10value_typeET4_jRbjT5_S1F_jjP12ihipStream_tbEUljE_ZNSN_ISO_Lb0ESR_SS_SU_SV_SZ_EES10_S11_S12_S13_S17_S18_S19_S1C_S1D_jS1E_jS1F_S1F_jjS1H_bEUljE0_EEES10_S11_S12_S19_S1D_S1F_T6_T7_T9_mT8_S1H_bDpT10_ENKUlT_T0_E_clISt17integral_constantIbLb0EES1U_IbLb1EEEEDaS1Q_S1R_EUlS1Q_E_NS1_11comp_targetILNS1_3genE10ELNS1_11target_archE1200ELNS1_3gpuE4ELNS1_3repE0EEENS1_30default_config_static_selectorELNS0_4arch9wavefront6targetE1EEEvS13_,"axG",@progbits,_ZN7rocprim17ROCPRIM_400000_NS6detail17trampoline_kernelINS0_13select_configILj256ELj13ELNS0_17block_load_methodE3ELS4_3ELS4_3ELNS0_20block_scan_algorithmE0ELj4294967295EEENS1_25partition_config_selectorILNS1_17partition_subalgoE4EjNS0_10empty_typeEbEEZZNS1_14partition_implILS8_4ELb0ES6_15HIP_vector_typeIjLj2EENS0_17counting_iteratorIjlEEPS9_SG_NS0_5tupleIJPjSI_NS0_16reverse_iteratorISI_EEEEENSH_IJSG_SG_SG_EEES9_SI_JZNS1_25segmented_radix_sort_implINS0_14default_configELb0EPK6__halfPSP_PKlPlN2at6native12_GLOBAL__N_18offset_tEEE10hipError_tPvRmT1_PNSt15iterator_traitsIS13_E10value_typeET2_T3_PNS14_IS19_E10value_typeET4_jRbjT5_S1F_jjP12ihipStream_tbEUljE_ZNSN_ISO_Lb0ESR_SS_SU_SV_SZ_EES10_S11_S12_S13_S17_S18_S19_S1C_S1D_jS1E_jS1F_S1F_jjS1H_bEUljE0_EEES10_S11_S12_S19_S1D_S1F_T6_T7_T9_mT8_S1H_bDpT10_ENKUlT_T0_E_clISt17integral_constantIbLb0EES1U_IbLb1EEEEDaS1Q_S1R_EUlS1Q_E_NS1_11comp_targetILNS1_3genE10ELNS1_11target_archE1200ELNS1_3gpuE4ELNS1_3repE0EEENS1_30default_config_static_selectorELNS0_4arch9wavefront6targetE1EEEvS13_,comdat
.Lfunc_end1807:
	.size	_ZN7rocprim17ROCPRIM_400000_NS6detail17trampoline_kernelINS0_13select_configILj256ELj13ELNS0_17block_load_methodE3ELS4_3ELS4_3ELNS0_20block_scan_algorithmE0ELj4294967295EEENS1_25partition_config_selectorILNS1_17partition_subalgoE4EjNS0_10empty_typeEbEEZZNS1_14partition_implILS8_4ELb0ES6_15HIP_vector_typeIjLj2EENS0_17counting_iteratorIjlEEPS9_SG_NS0_5tupleIJPjSI_NS0_16reverse_iteratorISI_EEEEENSH_IJSG_SG_SG_EEES9_SI_JZNS1_25segmented_radix_sort_implINS0_14default_configELb0EPK6__halfPSP_PKlPlN2at6native12_GLOBAL__N_18offset_tEEE10hipError_tPvRmT1_PNSt15iterator_traitsIS13_E10value_typeET2_T3_PNS14_IS19_E10value_typeET4_jRbjT5_S1F_jjP12ihipStream_tbEUljE_ZNSN_ISO_Lb0ESR_SS_SU_SV_SZ_EES10_S11_S12_S13_S17_S18_S19_S1C_S1D_jS1E_jS1F_S1F_jjS1H_bEUljE0_EEES10_S11_S12_S19_S1D_S1F_T6_T7_T9_mT8_S1H_bDpT10_ENKUlT_T0_E_clISt17integral_constantIbLb0EES1U_IbLb1EEEEDaS1Q_S1R_EUlS1Q_E_NS1_11comp_targetILNS1_3genE10ELNS1_11target_archE1200ELNS1_3gpuE4ELNS1_3repE0EEENS1_30default_config_static_selectorELNS0_4arch9wavefront6targetE1EEEvS13_, .Lfunc_end1807-_ZN7rocprim17ROCPRIM_400000_NS6detail17trampoline_kernelINS0_13select_configILj256ELj13ELNS0_17block_load_methodE3ELS4_3ELS4_3ELNS0_20block_scan_algorithmE0ELj4294967295EEENS1_25partition_config_selectorILNS1_17partition_subalgoE4EjNS0_10empty_typeEbEEZZNS1_14partition_implILS8_4ELb0ES6_15HIP_vector_typeIjLj2EENS0_17counting_iteratorIjlEEPS9_SG_NS0_5tupleIJPjSI_NS0_16reverse_iteratorISI_EEEEENSH_IJSG_SG_SG_EEES9_SI_JZNS1_25segmented_radix_sort_implINS0_14default_configELb0EPK6__halfPSP_PKlPlN2at6native12_GLOBAL__N_18offset_tEEE10hipError_tPvRmT1_PNSt15iterator_traitsIS13_E10value_typeET2_T3_PNS14_IS19_E10value_typeET4_jRbjT5_S1F_jjP12ihipStream_tbEUljE_ZNSN_ISO_Lb0ESR_SS_SU_SV_SZ_EES10_S11_S12_S13_S17_S18_S19_S1C_S1D_jS1E_jS1F_S1F_jjS1H_bEUljE0_EEES10_S11_S12_S19_S1D_S1F_T6_T7_T9_mT8_S1H_bDpT10_ENKUlT_T0_E_clISt17integral_constantIbLb0EES1U_IbLb1EEEEDaS1Q_S1R_EUlS1Q_E_NS1_11comp_targetILNS1_3genE10ELNS1_11target_archE1200ELNS1_3gpuE4ELNS1_3repE0EEENS1_30default_config_static_selectorELNS0_4arch9wavefront6targetE1EEEvS13_
                                        ; -- End function
	.set _ZN7rocprim17ROCPRIM_400000_NS6detail17trampoline_kernelINS0_13select_configILj256ELj13ELNS0_17block_load_methodE3ELS4_3ELS4_3ELNS0_20block_scan_algorithmE0ELj4294967295EEENS1_25partition_config_selectorILNS1_17partition_subalgoE4EjNS0_10empty_typeEbEEZZNS1_14partition_implILS8_4ELb0ES6_15HIP_vector_typeIjLj2EENS0_17counting_iteratorIjlEEPS9_SG_NS0_5tupleIJPjSI_NS0_16reverse_iteratorISI_EEEEENSH_IJSG_SG_SG_EEES9_SI_JZNS1_25segmented_radix_sort_implINS0_14default_configELb0EPK6__halfPSP_PKlPlN2at6native12_GLOBAL__N_18offset_tEEE10hipError_tPvRmT1_PNSt15iterator_traitsIS13_E10value_typeET2_T3_PNS14_IS19_E10value_typeET4_jRbjT5_S1F_jjP12ihipStream_tbEUljE_ZNSN_ISO_Lb0ESR_SS_SU_SV_SZ_EES10_S11_S12_S13_S17_S18_S19_S1C_S1D_jS1E_jS1F_S1F_jjS1H_bEUljE0_EEES10_S11_S12_S19_S1D_S1F_T6_T7_T9_mT8_S1H_bDpT10_ENKUlT_T0_E_clISt17integral_constantIbLb0EES1U_IbLb1EEEEDaS1Q_S1R_EUlS1Q_E_NS1_11comp_targetILNS1_3genE10ELNS1_11target_archE1200ELNS1_3gpuE4ELNS1_3repE0EEENS1_30default_config_static_selectorELNS0_4arch9wavefront6targetE1EEEvS13_.num_vgpr, 0
	.set _ZN7rocprim17ROCPRIM_400000_NS6detail17trampoline_kernelINS0_13select_configILj256ELj13ELNS0_17block_load_methodE3ELS4_3ELS4_3ELNS0_20block_scan_algorithmE0ELj4294967295EEENS1_25partition_config_selectorILNS1_17partition_subalgoE4EjNS0_10empty_typeEbEEZZNS1_14partition_implILS8_4ELb0ES6_15HIP_vector_typeIjLj2EENS0_17counting_iteratorIjlEEPS9_SG_NS0_5tupleIJPjSI_NS0_16reverse_iteratorISI_EEEEENSH_IJSG_SG_SG_EEES9_SI_JZNS1_25segmented_radix_sort_implINS0_14default_configELb0EPK6__halfPSP_PKlPlN2at6native12_GLOBAL__N_18offset_tEEE10hipError_tPvRmT1_PNSt15iterator_traitsIS13_E10value_typeET2_T3_PNS14_IS19_E10value_typeET4_jRbjT5_S1F_jjP12ihipStream_tbEUljE_ZNSN_ISO_Lb0ESR_SS_SU_SV_SZ_EES10_S11_S12_S13_S17_S18_S19_S1C_S1D_jS1E_jS1F_S1F_jjS1H_bEUljE0_EEES10_S11_S12_S19_S1D_S1F_T6_T7_T9_mT8_S1H_bDpT10_ENKUlT_T0_E_clISt17integral_constantIbLb0EES1U_IbLb1EEEEDaS1Q_S1R_EUlS1Q_E_NS1_11comp_targetILNS1_3genE10ELNS1_11target_archE1200ELNS1_3gpuE4ELNS1_3repE0EEENS1_30default_config_static_selectorELNS0_4arch9wavefront6targetE1EEEvS13_.num_agpr, 0
	.set _ZN7rocprim17ROCPRIM_400000_NS6detail17trampoline_kernelINS0_13select_configILj256ELj13ELNS0_17block_load_methodE3ELS4_3ELS4_3ELNS0_20block_scan_algorithmE0ELj4294967295EEENS1_25partition_config_selectorILNS1_17partition_subalgoE4EjNS0_10empty_typeEbEEZZNS1_14partition_implILS8_4ELb0ES6_15HIP_vector_typeIjLj2EENS0_17counting_iteratorIjlEEPS9_SG_NS0_5tupleIJPjSI_NS0_16reverse_iteratorISI_EEEEENSH_IJSG_SG_SG_EEES9_SI_JZNS1_25segmented_radix_sort_implINS0_14default_configELb0EPK6__halfPSP_PKlPlN2at6native12_GLOBAL__N_18offset_tEEE10hipError_tPvRmT1_PNSt15iterator_traitsIS13_E10value_typeET2_T3_PNS14_IS19_E10value_typeET4_jRbjT5_S1F_jjP12ihipStream_tbEUljE_ZNSN_ISO_Lb0ESR_SS_SU_SV_SZ_EES10_S11_S12_S13_S17_S18_S19_S1C_S1D_jS1E_jS1F_S1F_jjS1H_bEUljE0_EEES10_S11_S12_S19_S1D_S1F_T6_T7_T9_mT8_S1H_bDpT10_ENKUlT_T0_E_clISt17integral_constantIbLb0EES1U_IbLb1EEEEDaS1Q_S1R_EUlS1Q_E_NS1_11comp_targetILNS1_3genE10ELNS1_11target_archE1200ELNS1_3gpuE4ELNS1_3repE0EEENS1_30default_config_static_selectorELNS0_4arch9wavefront6targetE1EEEvS13_.numbered_sgpr, 0
	.set _ZN7rocprim17ROCPRIM_400000_NS6detail17trampoline_kernelINS0_13select_configILj256ELj13ELNS0_17block_load_methodE3ELS4_3ELS4_3ELNS0_20block_scan_algorithmE0ELj4294967295EEENS1_25partition_config_selectorILNS1_17partition_subalgoE4EjNS0_10empty_typeEbEEZZNS1_14partition_implILS8_4ELb0ES6_15HIP_vector_typeIjLj2EENS0_17counting_iteratorIjlEEPS9_SG_NS0_5tupleIJPjSI_NS0_16reverse_iteratorISI_EEEEENSH_IJSG_SG_SG_EEES9_SI_JZNS1_25segmented_radix_sort_implINS0_14default_configELb0EPK6__halfPSP_PKlPlN2at6native12_GLOBAL__N_18offset_tEEE10hipError_tPvRmT1_PNSt15iterator_traitsIS13_E10value_typeET2_T3_PNS14_IS19_E10value_typeET4_jRbjT5_S1F_jjP12ihipStream_tbEUljE_ZNSN_ISO_Lb0ESR_SS_SU_SV_SZ_EES10_S11_S12_S13_S17_S18_S19_S1C_S1D_jS1E_jS1F_S1F_jjS1H_bEUljE0_EEES10_S11_S12_S19_S1D_S1F_T6_T7_T9_mT8_S1H_bDpT10_ENKUlT_T0_E_clISt17integral_constantIbLb0EES1U_IbLb1EEEEDaS1Q_S1R_EUlS1Q_E_NS1_11comp_targetILNS1_3genE10ELNS1_11target_archE1200ELNS1_3gpuE4ELNS1_3repE0EEENS1_30default_config_static_selectorELNS0_4arch9wavefront6targetE1EEEvS13_.num_named_barrier, 0
	.set _ZN7rocprim17ROCPRIM_400000_NS6detail17trampoline_kernelINS0_13select_configILj256ELj13ELNS0_17block_load_methodE3ELS4_3ELS4_3ELNS0_20block_scan_algorithmE0ELj4294967295EEENS1_25partition_config_selectorILNS1_17partition_subalgoE4EjNS0_10empty_typeEbEEZZNS1_14partition_implILS8_4ELb0ES6_15HIP_vector_typeIjLj2EENS0_17counting_iteratorIjlEEPS9_SG_NS0_5tupleIJPjSI_NS0_16reverse_iteratorISI_EEEEENSH_IJSG_SG_SG_EEES9_SI_JZNS1_25segmented_radix_sort_implINS0_14default_configELb0EPK6__halfPSP_PKlPlN2at6native12_GLOBAL__N_18offset_tEEE10hipError_tPvRmT1_PNSt15iterator_traitsIS13_E10value_typeET2_T3_PNS14_IS19_E10value_typeET4_jRbjT5_S1F_jjP12ihipStream_tbEUljE_ZNSN_ISO_Lb0ESR_SS_SU_SV_SZ_EES10_S11_S12_S13_S17_S18_S19_S1C_S1D_jS1E_jS1F_S1F_jjS1H_bEUljE0_EEES10_S11_S12_S19_S1D_S1F_T6_T7_T9_mT8_S1H_bDpT10_ENKUlT_T0_E_clISt17integral_constantIbLb0EES1U_IbLb1EEEEDaS1Q_S1R_EUlS1Q_E_NS1_11comp_targetILNS1_3genE10ELNS1_11target_archE1200ELNS1_3gpuE4ELNS1_3repE0EEENS1_30default_config_static_selectorELNS0_4arch9wavefront6targetE1EEEvS13_.private_seg_size, 0
	.set _ZN7rocprim17ROCPRIM_400000_NS6detail17trampoline_kernelINS0_13select_configILj256ELj13ELNS0_17block_load_methodE3ELS4_3ELS4_3ELNS0_20block_scan_algorithmE0ELj4294967295EEENS1_25partition_config_selectorILNS1_17partition_subalgoE4EjNS0_10empty_typeEbEEZZNS1_14partition_implILS8_4ELb0ES6_15HIP_vector_typeIjLj2EENS0_17counting_iteratorIjlEEPS9_SG_NS0_5tupleIJPjSI_NS0_16reverse_iteratorISI_EEEEENSH_IJSG_SG_SG_EEES9_SI_JZNS1_25segmented_radix_sort_implINS0_14default_configELb0EPK6__halfPSP_PKlPlN2at6native12_GLOBAL__N_18offset_tEEE10hipError_tPvRmT1_PNSt15iterator_traitsIS13_E10value_typeET2_T3_PNS14_IS19_E10value_typeET4_jRbjT5_S1F_jjP12ihipStream_tbEUljE_ZNSN_ISO_Lb0ESR_SS_SU_SV_SZ_EES10_S11_S12_S13_S17_S18_S19_S1C_S1D_jS1E_jS1F_S1F_jjS1H_bEUljE0_EEES10_S11_S12_S19_S1D_S1F_T6_T7_T9_mT8_S1H_bDpT10_ENKUlT_T0_E_clISt17integral_constantIbLb0EES1U_IbLb1EEEEDaS1Q_S1R_EUlS1Q_E_NS1_11comp_targetILNS1_3genE10ELNS1_11target_archE1200ELNS1_3gpuE4ELNS1_3repE0EEENS1_30default_config_static_selectorELNS0_4arch9wavefront6targetE1EEEvS13_.uses_vcc, 0
	.set _ZN7rocprim17ROCPRIM_400000_NS6detail17trampoline_kernelINS0_13select_configILj256ELj13ELNS0_17block_load_methodE3ELS4_3ELS4_3ELNS0_20block_scan_algorithmE0ELj4294967295EEENS1_25partition_config_selectorILNS1_17partition_subalgoE4EjNS0_10empty_typeEbEEZZNS1_14partition_implILS8_4ELb0ES6_15HIP_vector_typeIjLj2EENS0_17counting_iteratorIjlEEPS9_SG_NS0_5tupleIJPjSI_NS0_16reverse_iteratorISI_EEEEENSH_IJSG_SG_SG_EEES9_SI_JZNS1_25segmented_radix_sort_implINS0_14default_configELb0EPK6__halfPSP_PKlPlN2at6native12_GLOBAL__N_18offset_tEEE10hipError_tPvRmT1_PNSt15iterator_traitsIS13_E10value_typeET2_T3_PNS14_IS19_E10value_typeET4_jRbjT5_S1F_jjP12ihipStream_tbEUljE_ZNSN_ISO_Lb0ESR_SS_SU_SV_SZ_EES10_S11_S12_S13_S17_S18_S19_S1C_S1D_jS1E_jS1F_S1F_jjS1H_bEUljE0_EEES10_S11_S12_S19_S1D_S1F_T6_T7_T9_mT8_S1H_bDpT10_ENKUlT_T0_E_clISt17integral_constantIbLb0EES1U_IbLb1EEEEDaS1Q_S1R_EUlS1Q_E_NS1_11comp_targetILNS1_3genE10ELNS1_11target_archE1200ELNS1_3gpuE4ELNS1_3repE0EEENS1_30default_config_static_selectorELNS0_4arch9wavefront6targetE1EEEvS13_.uses_flat_scratch, 0
	.set _ZN7rocprim17ROCPRIM_400000_NS6detail17trampoline_kernelINS0_13select_configILj256ELj13ELNS0_17block_load_methodE3ELS4_3ELS4_3ELNS0_20block_scan_algorithmE0ELj4294967295EEENS1_25partition_config_selectorILNS1_17partition_subalgoE4EjNS0_10empty_typeEbEEZZNS1_14partition_implILS8_4ELb0ES6_15HIP_vector_typeIjLj2EENS0_17counting_iteratorIjlEEPS9_SG_NS0_5tupleIJPjSI_NS0_16reverse_iteratorISI_EEEEENSH_IJSG_SG_SG_EEES9_SI_JZNS1_25segmented_radix_sort_implINS0_14default_configELb0EPK6__halfPSP_PKlPlN2at6native12_GLOBAL__N_18offset_tEEE10hipError_tPvRmT1_PNSt15iterator_traitsIS13_E10value_typeET2_T3_PNS14_IS19_E10value_typeET4_jRbjT5_S1F_jjP12ihipStream_tbEUljE_ZNSN_ISO_Lb0ESR_SS_SU_SV_SZ_EES10_S11_S12_S13_S17_S18_S19_S1C_S1D_jS1E_jS1F_S1F_jjS1H_bEUljE0_EEES10_S11_S12_S19_S1D_S1F_T6_T7_T9_mT8_S1H_bDpT10_ENKUlT_T0_E_clISt17integral_constantIbLb0EES1U_IbLb1EEEEDaS1Q_S1R_EUlS1Q_E_NS1_11comp_targetILNS1_3genE10ELNS1_11target_archE1200ELNS1_3gpuE4ELNS1_3repE0EEENS1_30default_config_static_selectorELNS0_4arch9wavefront6targetE1EEEvS13_.has_dyn_sized_stack, 0
	.set _ZN7rocprim17ROCPRIM_400000_NS6detail17trampoline_kernelINS0_13select_configILj256ELj13ELNS0_17block_load_methodE3ELS4_3ELS4_3ELNS0_20block_scan_algorithmE0ELj4294967295EEENS1_25partition_config_selectorILNS1_17partition_subalgoE4EjNS0_10empty_typeEbEEZZNS1_14partition_implILS8_4ELb0ES6_15HIP_vector_typeIjLj2EENS0_17counting_iteratorIjlEEPS9_SG_NS0_5tupleIJPjSI_NS0_16reverse_iteratorISI_EEEEENSH_IJSG_SG_SG_EEES9_SI_JZNS1_25segmented_radix_sort_implINS0_14default_configELb0EPK6__halfPSP_PKlPlN2at6native12_GLOBAL__N_18offset_tEEE10hipError_tPvRmT1_PNSt15iterator_traitsIS13_E10value_typeET2_T3_PNS14_IS19_E10value_typeET4_jRbjT5_S1F_jjP12ihipStream_tbEUljE_ZNSN_ISO_Lb0ESR_SS_SU_SV_SZ_EES10_S11_S12_S13_S17_S18_S19_S1C_S1D_jS1E_jS1F_S1F_jjS1H_bEUljE0_EEES10_S11_S12_S19_S1D_S1F_T6_T7_T9_mT8_S1H_bDpT10_ENKUlT_T0_E_clISt17integral_constantIbLb0EES1U_IbLb1EEEEDaS1Q_S1R_EUlS1Q_E_NS1_11comp_targetILNS1_3genE10ELNS1_11target_archE1200ELNS1_3gpuE4ELNS1_3repE0EEENS1_30default_config_static_selectorELNS0_4arch9wavefront6targetE1EEEvS13_.has_recursion, 0
	.set _ZN7rocprim17ROCPRIM_400000_NS6detail17trampoline_kernelINS0_13select_configILj256ELj13ELNS0_17block_load_methodE3ELS4_3ELS4_3ELNS0_20block_scan_algorithmE0ELj4294967295EEENS1_25partition_config_selectorILNS1_17partition_subalgoE4EjNS0_10empty_typeEbEEZZNS1_14partition_implILS8_4ELb0ES6_15HIP_vector_typeIjLj2EENS0_17counting_iteratorIjlEEPS9_SG_NS0_5tupleIJPjSI_NS0_16reverse_iteratorISI_EEEEENSH_IJSG_SG_SG_EEES9_SI_JZNS1_25segmented_radix_sort_implINS0_14default_configELb0EPK6__halfPSP_PKlPlN2at6native12_GLOBAL__N_18offset_tEEE10hipError_tPvRmT1_PNSt15iterator_traitsIS13_E10value_typeET2_T3_PNS14_IS19_E10value_typeET4_jRbjT5_S1F_jjP12ihipStream_tbEUljE_ZNSN_ISO_Lb0ESR_SS_SU_SV_SZ_EES10_S11_S12_S13_S17_S18_S19_S1C_S1D_jS1E_jS1F_S1F_jjS1H_bEUljE0_EEES10_S11_S12_S19_S1D_S1F_T6_T7_T9_mT8_S1H_bDpT10_ENKUlT_T0_E_clISt17integral_constantIbLb0EES1U_IbLb1EEEEDaS1Q_S1R_EUlS1Q_E_NS1_11comp_targetILNS1_3genE10ELNS1_11target_archE1200ELNS1_3gpuE4ELNS1_3repE0EEENS1_30default_config_static_selectorELNS0_4arch9wavefront6targetE1EEEvS13_.has_indirect_call, 0
	.section	.AMDGPU.csdata,"",@progbits
; Kernel info:
; codeLenInByte = 0
; TotalNumSgprs: 4
; NumVgprs: 0
; ScratchSize: 0
; MemoryBound: 0
; FloatMode: 240
; IeeeMode: 1
; LDSByteSize: 0 bytes/workgroup (compile time only)
; SGPRBlocks: 0
; VGPRBlocks: 0
; NumSGPRsForWavesPerEU: 4
; NumVGPRsForWavesPerEU: 1
; Occupancy: 10
; WaveLimiterHint : 0
; COMPUTE_PGM_RSRC2:SCRATCH_EN: 0
; COMPUTE_PGM_RSRC2:USER_SGPR: 6
; COMPUTE_PGM_RSRC2:TRAP_HANDLER: 0
; COMPUTE_PGM_RSRC2:TGID_X_EN: 1
; COMPUTE_PGM_RSRC2:TGID_Y_EN: 0
; COMPUTE_PGM_RSRC2:TGID_Z_EN: 0
; COMPUTE_PGM_RSRC2:TIDIG_COMP_CNT: 0
	.section	.text._ZN7rocprim17ROCPRIM_400000_NS6detail17trampoline_kernelINS0_13select_configILj256ELj13ELNS0_17block_load_methodE3ELS4_3ELS4_3ELNS0_20block_scan_algorithmE0ELj4294967295EEENS1_25partition_config_selectorILNS1_17partition_subalgoE4EjNS0_10empty_typeEbEEZZNS1_14partition_implILS8_4ELb0ES6_15HIP_vector_typeIjLj2EENS0_17counting_iteratorIjlEEPS9_SG_NS0_5tupleIJPjSI_NS0_16reverse_iteratorISI_EEEEENSH_IJSG_SG_SG_EEES9_SI_JZNS1_25segmented_radix_sort_implINS0_14default_configELb0EPK6__halfPSP_PKlPlN2at6native12_GLOBAL__N_18offset_tEEE10hipError_tPvRmT1_PNSt15iterator_traitsIS13_E10value_typeET2_T3_PNS14_IS19_E10value_typeET4_jRbjT5_S1F_jjP12ihipStream_tbEUljE_ZNSN_ISO_Lb0ESR_SS_SU_SV_SZ_EES10_S11_S12_S13_S17_S18_S19_S1C_S1D_jS1E_jS1F_S1F_jjS1H_bEUljE0_EEES10_S11_S12_S19_S1D_S1F_T6_T7_T9_mT8_S1H_bDpT10_ENKUlT_T0_E_clISt17integral_constantIbLb0EES1U_IbLb1EEEEDaS1Q_S1R_EUlS1Q_E_NS1_11comp_targetILNS1_3genE9ELNS1_11target_archE1100ELNS1_3gpuE3ELNS1_3repE0EEENS1_30default_config_static_selectorELNS0_4arch9wavefront6targetE1EEEvS13_,"axG",@progbits,_ZN7rocprim17ROCPRIM_400000_NS6detail17trampoline_kernelINS0_13select_configILj256ELj13ELNS0_17block_load_methodE3ELS4_3ELS4_3ELNS0_20block_scan_algorithmE0ELj4294967295EEENS1_25partition_config_selectorILNS1_17partition_subalgoE4EjNS0_10empty_typeEbEEZZNS1_14partition_implILS8_4ELb0ES6_15HIP_vector_typeIjLj2EENS0_17counting_iteratorIjlEEPS9_SG_NS0_5tupleIJPjSI_NS0_16reverse_iteratorISI_EEEEENSH_IJSG_SG_SG_EEES9_SI_JZNS1_25segmented_radix_sort_implINS0_14default_configELb0EPK6__halfPSP_PKlPlN2at6native12_GLOBAL__N_18offset_tEEE10hipError_tPvRmT1_PNSt15iterator_traitsIS13_E10value_typeET2_T3_PNS14_IS19_E10value_typeET4_jRbjT5_S1F_jjP12ihipStream_tbEUljE_ZNSN_ISO_Lb0ESR_SS_SU_SV_SZ_EES10_S11_S12_S13_S17_S18_S19_S1C_S1D_jS1E_jS1F_S1F_jjS1H_bEUljE0_EEES10_S11_S12_S19_S1D_S1F_T6_T7_T9_mT8_S1H_bDpT10_ENKUlT_T0_E_clISt17integral_constantIbLb0EES1U_IbLb1EEEEDaS1Q_S1R_EUlS1Q_E_NS1_11comp_targetILNS1_3genE9ELNS1_11target_archE1100ELNS1_3gpuE3ELNS1_3repE0EEENS1_30default_config_static_selectorELNS0_4arch9wavefront6targetE1EEEvS13_,comdat
	.globl	_ZN7rocprim17ROCPRIM_400000_NS6detail17trampoline_kernelINS0_13select_configILj256ELj13ELNS0_17block_load_methodE3ELS4_3ELS4_3ELNS0_20block_scan_algorithmE0ELj4294967295EEENS1_25partition_config_selectorILNS1_17partition_subalgoE4EjNS0_10empty_typeEbEEZZNS1_14partition_implILS8_4ELb0ES6_15HIP_vector_typeIjLj2EENS0_17counting_iteratorIjlEEPS9_SG_NS0_5tupleIJPjSI_NS0_16reverse_iteratorISI_EEEEENSH_IJSG_SG_SG_EEES9_SI_JZNS1_25segmented_radix_sort_implINS0_14default_configELb0EPK6__halfPSP_PKlPlN2at6native12_GLOBAL__N_18offset_tEEE10hipError_tPvRmT1_PNSt15iterator_traitsIS13_E10value_typeET2_T3_PNS14_IS19_E10value_typeET4_jRbjT5_S1F_jjP12ihipStream_tbEUljE_ZNSN_ISO_Lb0ESR_SS_SU_SV_SZ_EES10_S11_S12_S13_S17_S18_S19_S1C_S1D_jS1E_jS1F_S1F_jjS1H_bEUljE0_EEES10_S11_S12_S19_S1D_S1F_T6_T7_T9_mT8_S1H_bDpT10_ENKUlT_T0_E_clISt17integral_constantIbLb0EES1U_IbLb1EEEEDaS1Q_S1R_EUlS1Q_E_NS1_11comp_targetILNS1_3genE9ELNS1_11target_archE1100ELNS1_3gpuE3ELNS1_3repE0EEENS1_30default_config_static_selectorELNS0_4arch9wavefront6targetE1EEEvS13_ ; -- Begin function _ZN7rocprim17ROCPRIM_400000_NS6detail17trampoline_kernelINS0_13select_configILj256ELj13ELNS0_17block_load_methodE3ELS4_3ELS4_3ELNS0_20block_scan_algorithmE0ELj4294967295EEENS1_25partition_config_selectorILNS1_17partition_subalgoE4EjNS0_10empty_typeEbEEZZNS1_14partition_implILS8_4ELb0ES6_15HIP_vector_typeIjLj2EENS0_17counting_iteratorIjlEEPS9_SG_NS0_5tupleIJPjSI_NS0_16reverse_iteratorISI_EEEEENSH_IJSG_SG_SG_EEES9_SI_JZNS1_25segmented_radix_sort_implINS0_14default_configELb0EPK6__halfPSP_PKlPlN2at6native12_GLOBAL__N_18offset_tEEE10hipError_tPvRmT1_PNSt15iterator_traitsIS13_E10value_typeET2_T3_PNS14_IS19_E10value_typeET4_jRbjT5_S1F_jjP12ihipStream_tbEUljE_ZNSN_ISO_Lb0ESR_SS_SU_SV_SZ_EES10_S11_S12_S13_S17_S18_S19_S1C_S1D_jS1E_jS1F_S1F_jjS1H_bEUljE0_EEES10_S11_S12_S19_S1D_S1F_T6_T7_T9_mT8_S1H_bDpT10_ENKUlT_T0_E_clISt17integral_constantIbLb0EES1U_IbLb1EEEEDaS1Q_S1R_EUlS1Q_E_NS1_11comp_targetILNS1_3genE9ELNS1_11target_archE1100ELNS1_3gpuE3ELNS1_3repE0EEENS1_30default_config_static_selectorELNS0_4arch9wavefront6targetE1EEEvS13_
	.p2align	8
	.type	_ZN7rocprim17ROCPRIM_400000_NS6detail17trampoline_kernelINS0_13select_configILj256ELj13ELNS0_17block_load_methodE3ELS4_3ELS4_3ELNS0_20block_scan_algorithmE0ELj4294967295EEENS1_25partition_config_selectorILNS1_17partition_subalgoE4EjNS0_10empty_typeEbEEZZNS1_14partition_implILS8_4ELb0ES6_15HIP_vector_typeIjLj2EENS0_17counting_iteratorIjlEEPS9_SG_NS0_5tupleIJPjSI_NS0_16reverse_iteratorISI_EEEEENSH_IJSG_SG_SG_EEES9_SI_JZNS1_25segmented_radix_sort_implINS0_14default_configELb0EPK6__halfPSP_PKlPlN2at6native12_GLOBAL__N_18offset_tEEE10hipError_tPvRmT1_PNSt15iterator_traitsIS13_E10value_typeET2_T3_PNS14_IS19_E10value_typeET4_jRbjT5_S1F_jjP12ihipStream_tbEUljE_ZNSN_ISO_Lb0ESR_SS_SU_SV_SZ_EES10_S11_S12_S13_S17_S18_S19_S1C_S1D_jS1E_jS1F_S1F_jjS1H_bEUljE0_EEES10_S11_S12_S19_S1D_S1F_T6_T7_T9_mT8_S1H_bDpT10_ENKUlT_T0_E_clISt17integral_constantIbLb0EES1U_IbLb1EEEEDaS1Q_S1R_EUlS1Q_E_NS1_11comp_targetILNS1_3genE9ELNS1_11target_archE1100ELNS1_3gpuE3ELNS1_3repE0EEENS1_30default_config_static_selectorELNS0_4arch9wavefront6targetE1EEEvS13_,@function
_ZN7rocprim17ROCPRIM_400000_NS6detail17trampoline_kernelINS0_13select_configILj256ELj13ELNS0_17block_load_methodE3ELS4_3ELS4_3ELNS0_20block_scan_algorithmE0ELj4294967295EEENS1_25partition_config_selectorILNS1_17partition_subalgoE4EjNS0_10empty_typeEbEEZZNS1_14partition_implILS8_4ELb0ES6_15HIP_vector_typeIjLj2EENS0_17counting_iteratorIjlEEPS9_SG_NS0_5tupleIJPjSI_NS0_16reverse_iteratorISI_EEEEENSH_IJSG_SG_SG_EEES9_SI_JZNS1_25segmented_radix_sort_implINS0_14default_configELb0EPK6__halfPSP_PKlPlN2at6native12_GLOBAL__N_18offset_tEEE10hipError_tPvRmT1_PNSt15iterator_traitsIS13_E10value_typeET2_T3_PNS14_IS19_E10value_typeET4_jRbjT5_S1F_jjP12ihipStream_tbEUljE_ZNSN_ISO_Lb0ESR_SS_SU_SV_SZ_EES10_S11_S12_S13_S17_S18_S19_S1C_S1D_jS1E_jS1F_S1F_jjS1H_bEUljE0_EEES10_S11_S12_S19_S1D_S1F_T6_T7_T9_mT8_S1H_bDpT10_ENKUlT_T0_E_clISt17integral_constantIbLb0EES1U_IbLb1EEEEDaS1Q_S1R_EUlS1Q_E_NS1_11comp_targetILNS1_3genE9ELNS1_11target_archE1100ELNS1_3gpuE3ELNS1_3repE0EEENS1_30default_config_static_selectorELNS0_4arch9wavefront6targetE1EEEvS13_: ; @_ZN7rocprim17ROCPRIM_400000_NS6detail17trampoline_kernelINS0_13select_configILj256ELj13ELNS0_17block_load_methodE3ELS4_3ELS4_3ELNS0_20block_scan_algorithmE0ELj4294967295EEENS1_25partition_config_selectorILNS1_17partition_subalgoE4EjNS0_10empty_typeEbEEZZNS1_14partition_implILS8_4ELb0ES6_15HIP_vector_typeIjLj2EENS0_17counting_iteratorIjlEEPS9_SG_NS0_5tupleIJPjSI_NS0_16reverse_iteratorISI_EEEEENSH_IJSG_SG_SG_EEES9_SI_JZNS1_25segmented_radix_sort_implINS0_14default_configELb0EPK6__halfPSP_PKlPlN2at6native12_GLOBAL__N_18offset_tEEE10hipError_tPvRmT1_PNSt15iterator_traitsIS13_E10value_typeET2_T3_PNS14_IS19_E10value_typeET4_jRbjT5_S1F_jjP12ihipStream_tbEUljE_ZNSN_ISO_Lb0ESR_SS_SU_SV_SZ_EES10_S11_S12_S13_S17_S18_S19_S1C_S1D_jS1E_jS1F_S1F_jjS1H_bEUljE0_EEES10_S11_S12_S19_S1D_S1F_T6_T7_T9_mT8_S1H_bDpT10_ENKUlT_T0_E_clISt17integral_constantIbLb0EES1U_IbLb1EEEEDaS1Q_S1R_EUlS1Q_E_NS1_11comp_targetILNS1_3genE9ELNS1_11target_archE1100ELNS1_3gpuE3ELNS1_3repE0EEENS1_30default_config_static_selectorELNS0_4arch9wavefront6targetE1EEEvS13_
; %bb.0:
	.section	.rodata,"a",@progbits
	.p2align	6, 0x0
	.amdhsa_kernel _ZN7rocprim17ROCPRIM_400000_NS6detail17trampoline_kernelINS0_13select_configILj256ELj13ELNS0_17block_load_methodE3ELS4_3ELS4_3ELNS0_20block_scan_algorithmE0ELj4294967295EEENS1_25partition_config_selectorILNS1_17partition_subalgoE4EjNS0_10empty_typeEbEEZZNS1_14partition_implILS8_4ELb0ES6_15HIP_vector_typeIjLj2EENS0_17counting_iteratorIjlEEPS9_SG_NS0_5tupleIJPjSI_NS0_16reverse_iteratorISI_EEEEENSH_IJSG_SG_SG_EEES9_SI_JZNS1_25segmented_radix_sort_implINS0_14default_configELb0EPK6__halfPSP_PKlPlN2at6native12_GLOBAL__N_18offset_tEEE10hipError_tPvRmT1_PNSt15iterator_traitsIS13_E10value_typeET2_T3_PNS14_IS19_E10value_typeET4_jRbjT5_S1F_jjP12ihipStream_tbEUljE_ZNSN_ISO_Lb0ESR_SS_SU_SV_SZ_EES10_S11_S12_S13_S17_S18_S19_S1C_S1D_jS1E_jS1F_S1F_jjS1H_bEUljE0_EEES10_S11_S12_S19_S1D_S1F_T6_T7_T9_mT8_S1H_bDpT10_ENKUlT_T0_E_clISt17integral_constantIbLb0EES1U_IbLb1EEEEDaS1Q_S1R_EUlS1Q_E_NS1_11comp_targetILNS1_3genE9ELNS1_11target_archE1100ELNS1_3gpuE3ELNS1_3repE0EEENS1_30default_config_static_selectorELNS0_4arch9wavefront6targetE1EEEvS13_
		.amdhsa_group_segment_fixed_size 0
		.amdhsa_private_segment_fixed_size 0
		.amdhsa_kernarg_size 184
		.amdhsa_user_sgpr_count 6
		.amdhsa_user_sgpr_private_segment_buffer 1
		.amdhsa_user_sgpr_dispatch_ptr 0
		.amdhsa_user_sgpr_queue_ptr 0
		.amdhsa_user_sgpr_kernarg_segment_ptr 1
		.amdhsa_user_sgpr_dispatch_id 0
		.amdhsa_user_sgpr_flat_scratch_init 0
		.amdhsa_user_sgpr_private_segment_size 0
		.amdhsa_uses_dynamic_stack 0
		.amdhsa_system_sgpr_private_segment_wavefront_offset 0
		.amdhsa_system_sgpr_workgroup_id_x 1
		.amdhsa_system_sgpr_workgroup_id_y 0
		.amdhsa_system_sgpr_workgroup_id_z 0
		.amdhsa_system_sgpr_workgroup_info 0
		.amdhsa_system_vgpr_workitem_id 0
		.amdhsa_next_free_vgpr 1
		.amdhsa_next_free_sgpr 0
		.amdhsa_reserve_vcc 0
		.amdhsa_reserve_flat_scratch 0
		.amdhsa_float_round_mode_32 0
		.amdhsa_float_round_mode_16_64 0
		.amdhsa_float_denorm_mode_32 3
		.amdhsa_float_denorm_mode_16_64 3
		.amdhsa_dx10_clamp 1
		.amdhsa_ieee_mode 1
		.amdhsa_fp16_overflow 0
		.amdhsa_exception_fp_ieee_invalid_op 0
		.amdhsa_exception_fp_denorm_src 0
		.amdhsa_exception_fp_ieee_div_zero 0
		.amdhsa_exception_fp_ieee_overflow 0
		.amdhsa_exception_fp_ieee_underflow 0
		.amdhsa_exception_fp_ieee_inexact 0
		.amdhsa_exception_int_div_zero 0
	.end_amdhsa_kernel
	.section	.text._ZN7rocprim17ROCPRIM_400000_NS6detail17trampoline_kernelINS0_13select_configILj256ELj13ELNS0_17block_load_methodE3ELS4_3ELS4_3ELNS0_20block_scan_algorithmE0ELj4294967295EEENS1_25partition_config_selectorILNS1_17partition_subalgoE4EjNS0_10empty_typeEbEEZZNS1_14partition_implILS8_4ELb0ES6_15HIP_vector_typeIjLj2EENS0_17counting_iteratorIjlEEPS9_SG_NS0_5tupleIJPjSI_NS0_16reverse_iteratorISI_EEEEENSH_IJSG_SG_SG_EEES9_SI_JZNS1_25segmented_radix_sort_implINS0_14default_configELb0EPK6__halfPSP_PKlPlN2at6native12_GLOBAL__N_18offset_tEEE10hipError_tPvRmT1_PNSt15iterator_traitsIS13_E10value_typeET2_T3_PNS14_IS19_E10value_typeET4_jRbjT5_S1F_jjP12ihipStream_tbEUljE_ZNSN_ISO_Lb0ESR_SS_SU_SV_SZ_EES10_S11_S12_S13_S17_S18_S19_S1C_S1D_jS1E_jS1F_S1F_jjS1H_bEUljE0_EEES10_S11_S12_S19_S1D_S1F_T6_T7_T9_mT8_S1H_bDpT10_ENKUlT_T0_E_clISt17integral_constantIbLb0EES1U_IbLb1EEEEDaS1Q_S1R_EUlS1Q_E_NS1_11comp_targetILNS1_3genE9ELNS1_11target_archE1100ELNS1_3gpuE3ELNS1_3repE0EEENS1_30default_config_static_selectorELNS0_4arch9wavefront6targetE1EEEvS13_,"axG",@progbits,_ZN7rocprim17ROCPRIM_400000_NS6detail17trampoline_kernelINS0_13select_configILj256ELj13ELNS0_17block_load_methodE3ELS4_3ELS4_3ELNS0_20block_scan_algorithmE0ELj4294967295EEENS1_25partition_config_selectorILNS1_17partition_subalgoE4EjNS0_10empty_typeEbEEZZNS1_14partition_implILS8_4ELb0ES6_15HIP_vector_typeIjLj2EENS0_17counting_iteratorIjlEEPS9_SG_NS0_5tupleIJPjSI_NS0_16reverse_iteratorISI_EEEEENSH_IJSG_SG_SG_EEES9_SI_JZNS1_25segmented_radix_sort_implINS0_14default_configELb0EPK6__halfPSP_PKlPlN2at6native12_GLOBAL__N_18offset_tEEE10hipError_tPvRmT1_PNSt15iterator_traitsIS13_E10value_typeET2_T3_PNS14_IS19_E10value_typeET4_jRbjT5_S1F_jjP12ihipStream_tbEUljE_ZNSN_ISO_Lb0ESR_SS_SU_SV_SZ_EES10_S11_S12_S13_S17_S18_S19_S1C_S1D_jS1E_jS1F_S1F_jjS1H_bEUljE0_EEES10_S11_S12_S19_S1D_S1F_T6_T7_T9_mT8_S1H_bDpT10_ENKUlT_T0_E_clISt17integral_constantIbLb0EES1U_IbLb1EEEEDaS1Q_S1R_EUlS1Q_E_NS1_11comp_targetILNS1_3genE9ELNS1_11target_archE1100ELNS1_3gpuE3ELNS1_3repE0EEENS1_30default_config_static_selectorELNS0_4arch9wavefront6targetE1EEEvS13_,comdat
.Lfunc_end1808:
	.size	_ZN7rocprim17ROCPRIM_400000_NS6detail17trampoline_kernelINS0_13select_configILj256ELj13ELNS0_17block_load_methodE3ELS4_3ELS4_3ELNS0_20block_scan_algorithmE0ELj4294967295EEENS1_25partition_config_selectorILNS1_17partition_subalgoE4EjNS0_10empty_typeEbEEZZNS1_14partition_implILS8_4ELb0ES6_15HIP_vector_typeIjLj2EENS0_17counting_iteratorIjlEEPS9_SG_NS0_5tupleIJPjSI_NS0_16reverse_iteratorISI_EEEEENSH_IJSG_SG_SG_EEES9_SI_JZNS1_25segmented_radix_sort_implINS0_14default_configELb0EPK6__halfPSP_PKlPlN2at6native12_GLOBAL__N_18offset_tEEE10hipError_tPvRmT1_PNSt15iterator_traitsIS13_E10value_typeET2_T3_PNS14_IS19_E10value_typeET4_jRbjT5_S1F_jjP12ihipStream_tbEUljE_ZNSN_ISO_Lb0ESR_SS_SU_SV_SZ_EES10_S11_S12_S13_S17_S18_S19_S1C_S1D_jS1E_jS1F_S1F_jjS1H_bEUljE0_EEES10_S11_S12_S19_S1D_S1F_T6_T7_T9_mT8_S1H_bDpT10_ENKUlT_T0_E_clISt17integral_constantIbLb0EES1U_IbLb1EEEEDaS1Q_S1R_EUlS1Q_E_NS1_11comp_targetILNS1_3genE9ELNS1_11target_archE1100ELNS1_3gpuE3ELNS1_3repE0EEENS1_30default_config_static_selectorELNS0_4arch9wavefront6targetE1EEEvS13_, .Lfunc_end1808-_ZN7rocprim17ROCPRIM_400000_NS6detail17trampoline_kernelINS0_13select_configILj256ELj13ELNS0_17block_load_methodE3ELS4_3ELS4_3ELNS0_20block_scan_algorithmE0ELj4294967295EEENS1_25partition_config_selectorILNS1_17partition_subalgoE4EjNS0_10empty_typeEbEEZZNS1_14partition_implILS8_4ELb0ES6_15HIP_vector_typeIjLj2EENS0_17counting_iteratorIjlEEPS9_SG_NS0_5tupleIJPjSI_NS0_16reverse_iteratorISI_EEEEENSH_IJSG_SG_SG_EEES9_SI_JZNS1_25segmented_radix_sort_implINS0_14default_configELb0EPK6__halfPSP_PKlPlN2at6native12_GLOBAL__N_18offset_tEEE10hipError_tPvRmT1_PNSt15iterator_traitsIS13_E10value_typeET2_T3_PNS14_IS19_E10value_typeET4_jRbjT5_S1F_jjP12ihipStream_tbEUljE_ZNSN_ISO_Lb0ESR_SS_SU_SV_SZ_EES10_S11_S12_S13_S17_S18_S19_S1C_S1D_jS1E_jS1F_S1F_jjS1H_bEUljE0_EEES10_S11_S12_S19_S1D_S1F_T6_T7_T9_mT8_S1H_bDpT10_ENKUlT_T0_E_clISt17integral_constantIbLb0EES1U_IbLb1EEEEDaS1Q_S1R_EUlS1Q_E_NS1_11comp_targetILNS1_3genE9ELNS1_11target_archE1100ELNS1_3gpuE3ELNS1_3repE0EEENS1_30default_config_static_selectorELNS0_4arch9wavefront6targetE1EEEvS13_
                                        ; -- End function
	.set _ZN7rocprim17ROCPRIM_400000_NS6detail17trampoline_kernelINS0_13select_configILj256ELj13ELNS0_17block_load_methodE3ELS4_3ELS4_3ELNS0_20block_scan_algorithmE0ELj4294967295EEENS1_25partition_config_selectorILNS1_17partition_subalgoE4EjNS0_10empty_typeEbEEZZNS1_14partition_implILS8_4ELb0ES6_15HIP_vector_typeIjLj2EENS0_17counting_iteratorIjlEEPS9_SG_NS0_5tupleIJPjSI_NS0_16reverse_iteratorISI_EEEEENSH_IJSG_SG_SG_EEES9_SI_JZNS1_25segmented_radix_sort_implINS0_14default_configELb0EPK6__halfPSP_PKlPlN2at6native12_GLOBAL__N_18offset_tEEE10hipError_tPvRmT1_PNSt15iterator_traitsIS13_E10value_typeET2_T3_PNS14_IS19_E10value_typeET4_jRbjT5_S1F_jjP12ihipStream_tbEUljE_ZNSN_ISO_Lb0ESR_SS_SU_SV_SZ_EES10_S11_S12_S13_S17_S18_S19_S1C_S1D_jS1E_jS1F_S1F_jjS1H_bEUljE0_EEES10_S11_S12_S19_S1D_S1F_T6_T7_T9_mT8_S1H_bDpT10_ENKUlT_T0_E_clISt17integral_constantIbLb0EES1U_IbLb1EEEEDaS1Q_S1R_EUlS1Q_E_NS1_11comp_targetILNS1_3genE9ELNS1_11target_archE1100ELNS1_3gpuE3ELNS1_3repE0EEENS1_30default_config_static_selectorELNS0_4arch9wavefront6targetE1EEEvS13_.num_vgpr, 0
	.set _ZN7rocprim17ROCPRIM_400000_NS6detail17trampoline_kernelINS0_13select_configILj256ELj13ELNS0_17block_load_methodE3ELS4_3ELS4_3ELNS0_20block_scan_algorithmE0ELj4294967295EEENS1_25partition_config_selectorILNS1_17partition_subalgoE4EjNS0_10empty_typeEbEEZZNS1_14partition_implILS8_4ELb0ES6_15HIP_vector_typeIjLj2EENS0_17counting_iteratorIjlEEPS9_SG_NS0_5tupleIJPjSI_NS0_16reverse_iteratorISI_EEEEENSH_IJSG_SG_SG_EEES9_SI_JZNS1_25segmented_radix_sort_implINS0_14default_configELb0EPK6__halfPSP_PKlPlN2at6native12_GLOBAL__N_18offset_tEEE10hipError_tPvRmT1_PNSt15iterator_traitsIS13_E10value_typeET2_T3_PNS14_IS19_E10value_typeET4_jRbjT5_S1F_jjP12ihipStream_tbEUljE_ZNSN_ISO_Lb0ESR_SS_SU_SV_SZ_EES10_S11_S12_S13_S17_S18_S19_S1C_S1D_jS1E_jS1F_S1F_jjS1H_bEUljE0_EEES10_S11_S12_S19_S1D_S1F_T6_T7_T9_mT8_S1H_bDpT10_ENKUlT_T0_E_clISt17integral_constantIbLb0EES1U_IbLb1EEEEDaS1Q_S1R_EUlS1Q_E_NS1_11comp_targetILNS1_3genE9ELNS1_11target_archE1100ELNS1_3gpuE3ELNS1_3repE0EEENS1_30default_config_static_selectorELNS0_4arch9wavefront6targetE1EEEvS13_.num_agpr, 0
	.set _ZN7rocprim17ROCPRIM_400000_NS6detail17trampoline_kernelINS0_13select_configILj256ELj13ELNS0_17block_load_methodE3ELS4_3ELS4_3ELNS0_20block_scan_algorithmE0ELj4294967295EEENS1_25partition_config_selectorILNS1_17partition_subalgoE4EjNS0_10empty_typeEbEEZZNS1_14partition_implILS8_4ELb0ES6_15HIP_vector_typeIjLj2EENS0_17counting_iteratorIjlEEPS9_SG_NS0_5tupleIJPjSI_NS0_16reverse_iteratorISI_EEEEENSH_IJSG_SG_SG_EEES9_SI_JZNS1_25segmented_radix_sort_implINS0_14default_configELb0EPK6__halfPSP_PKlPlN2at6native12_GLOBAL__N_18offset_tEEE10hipError_tPvRmT1_PNSt15iterator_traitsIS13_E10value_typeET2_T3_PNS14_IS19_E10value_typeET4_jRbjT5_S1F_jjP12ihipStream_tbEUljE_ZNSN_ISO_Lb0ESR_SS_SU_SV_SZ_EES10_S11_S12_S13_S17_S18_S19_S1C_S1D_jS1E_jS1F_S1F_jjS1H_bEUljE0_EEES10_S11_S12_S19_S1D_S1F_T6_T7_T9_mT8_S1H_bDpT10_ENKUlT_T0_E_clISt17integral_constantIbLb0EES1U_IbLb1EEEEDaS1Q_S1R_EUlS1Q_E_NS1_11comp_targetILNS1_3genE9ELNS1_11target_archE1100ELNS1_3gpuE3ELNS1_3repE0EEENS1_30default_config_static_selectorELNS0_4arch9wavefront6targetE1EEEvS13_.numbered_sgpr, 0
	.set _ZN7rocprim17ROCPRIM_400000_NS6detail17trampoline_kernelINS0_13select_configILj256ELj13ELNS0_17block_load_methodE3ELS4_3ELS4_3ELNS0_20block_scan_algorithmE0ELj4294967295EEENS1_25partition_config_selectorILNS1_17partition_subalgoE4EjNS0_10empty_typeEbEEZZNS1_14partition_implILS8_4ELb0ES6_15HIP_vector_typeIjLj2EENS0_17counting_iteratorIjlEEPS9_SG_NS0_5tupleIJPjSI_NS0_16reverse_iteratorISI_EEEEENSH_IJSG_SG_SG_EEES9_SI_JZNS1_25segmented_radix_sort_implINS0_14default_configELb0EPK6__halfPSP_PKlPlN2at6native12_GLOBAL__N_18offset_tEEE10hipError_tPvRmT1_PNSt15iterator_traitsIS13_E10value_typeET2_T3_PNS14_IS19_E10value_typeET4_jRbjT5_S1F_jjP12ihipStream_tbEUljE_ZNSN_ISO_Lb0ESR_SS_SU_SV_SZ_EES10_S11_S12_S13_S17_S18_S19_S1C_S1D_jS1E_jS1F_S1F_jjS1H_bEUljE0_EEES10_S11_S12_S19_S1D_S1F_T6_T7_T9_mT8_S1H_bDpT10_ENKUlT_T0_E_clISt17integral_constantIbLb0EES1U_IbLb1EEEEDaS1Q_S1R_EUlS1Q_E_NS1_11comp_targetILNS1_3genE9ELNS1_11target_archE1100ELNS1_3gpuE3ELNS1_3repE0EEENS1_30default_config_static_selectorELNS0_4arch9wavefront6targetE1EEEvS13_.num_named_barrier, 0
	.set _ZN7rocprim17ROCPRIM_400000_NS6detail17trampoline_kernelINS0_13select_configILj256ELj13ELNS0_17block_load_methodE3ELS4_3ELS4_3ELNS0_20block_scan_algorithmE0ELj4294967295EEENS1_25partition_config_selectorILNS1_17partition_subalgoE4EjNS0_10empty_typeEbEEZZNS1_14partition_implILS8_4ELb0ES6_15HIP_vector_typeIjLj2EENS0_17counting_iteratorIjlEEPS9_SG_NS0_5tupleIJPjSI_NS0_16reverse_iteratorISI_EEEEENSH_IJSG_SG_SG_EEES9_SI_JZNS1_25segmented_radix_sort_implINS0_14default_configELb0EPK6__halfPSP_PKlPlN2at6native12_GLOBAL__N_18offset_tEEE10hipError_tPvRmT1_PNSt15iterator_traitsIS13_E10value_typeET2_T3_PNS14_IS19_E10value_typeET4_jRbjT5_S1F_jjP12ihipStream_tbEUljE_ZNSN_ISO_Lb0ESR_SS_SU_SV_SZ_EES10_S11_S12_S13_S17_S18_S19_S1C_S1D_jS1E_jS1F_S1F_jjS1H_bEUljE0_EEES10_S11_S12_S19_S1D_S1F_T6_T7_T9_mT8_S1H_bDpT10_ENKUlT_T0_E_clISt17integral_constantIbLb0EES1U_IbLb1EEEEDaS1Q_S1R_EUlS1Q_E_NS1_11comp_targetILNS1_3genE9ELNS1_11target_archE1100ELNS1_3gpuE3ELNS1_3repE0EEENS1_30default_config_static_selectorELNS0_4arch9wavefront6targetE1EEEvS13_.private_seg_size, 0
	.set _ZN7rocprim17ROCPRIM_400000_NS6detail17trampoline_kernelINS0_13select_configILj256ELj13ELNS0_17block_load_methodE3ELS4_3ELS4_3ELNS0_20block_scan_algorithmE0ELj4294967295EEENS1_25partition_config_selectorILNS1_17partition_subalgoE4EjNS0_10empty_typeEbEEZZNS1_14partition_implILS8_4ELb0ES6_15HIP_vector_typeIjLj2EENS0_17counting_iteratorIjlEEPS9_SG_NS0_5tupleIJPjSI_NS0_16reverse_iteratorISI_EEEEENSH_IJSG_SG_SG_EEES9_SI_JZNS1_25segmented_radix_sort_implINS0_14default_configELb0EPK6__halfPSP_PKlPlN2at6native12_GLOBAL__N_18offset_tEEE10hipError_tPvRmT1_PNSt15iterator_traitsIS13_E10value_typeET2_T3_PNS14_IS19_E10value_typeET4_jRbjT5_S1F_jjP12ihipStream_tbEUljE_ZNSN_ISO_Lb0ESR_SS_SU_SV_SZ_EES10_S11_S12_S13_S17_S18_S19_S1C_S1D_jS1E_jS1F_S1F_jjS1H_bEUljE0_EEES10_S11_S12_S19_S1D_S1F_T6_T7_T9_mT8_S1H_bDpT10_ENKUlT_T0_E_clISt17integral_constantIbLb0EES1U_IbLb1EEEEDaS1Q_S1R_EUlS1Q_E_NS1_11comp_targetILNS1_3genE9ELNS1_11target_archE1100ELNS1_3gpuE3ELNS1_3repE0EEENS1_30default_config_static_selectorELNS0_4arch9wavefront6targetE1EEEvS13_.uses_vcc, 0
	.set _ZN7rocprim17ROCPRIM_400000_NS6detail17trampoline_kernelINS0_13select_configILj256ELj13ELNS0_17block_load_methodE3ELS4_3ELS4_3ELNS0_20block_scan_algorithmE0ELj4294967295EEENS1_25partition_config_selectorILNS1_17partition_subalgoE4EjNS0_10empty_typeEbEEZZNS1_14partition_implILS8_4ELb0ES6_15HIP_vector_typeIjLj2EENS0_17counting_iteratorIjlEEPS9_SG_NS0_5tupleIJPjSI_NS0_16reverse_iteratorISI_EEEEENSH_IJSG_SG_SG_EEES9_SI_JZNS1_25segmented_radix_sort_implINS0_14default_configELb0EPK6__halfPSP_PKlPlN2at6native12_GLOBAL__N_18offset_tEEE10hipError_tPvRmT1_PNSt15iterator_traitsIS13_E10value_typeET2_T3_PNS14_IS19_E10value_typeET4_jRbjT5_S1F_jjP12ihipStream_tbEUljE_ZNSN_ISO_Lb0ESR_SS_SU_SV_SZ_EES10_S11_S12_S13_S17_S18_S19_S1C_S1D_jS1E_jS1F_S1F_jjS1H_bEUljE0_EEES10_S11_S12_S19_S1D_S1F_T6_T7_T9_mT8_S1H_bDpT10_ENKUlT_T0_E_clISt17integral_constantIbLb0EES1U_IbLb1EEEEDaS1Q_S1R_EUlS1Q_E_NS1_11comp_targetILNS1_3genE9ELNS1_11target_archE1100ELNS1_3gpuE3ELNS1_3repE0EEENS1_30default_config_static_selectorELNS0_4arch9wavefront6targetE1EEEvS13_.uses_flat_scratch, 0
	.set _ZN7rocprim17ROCPRIM_400000_NS6detail17trampoline_kernelINS0_13select_configILj256ELj13ELNS0_17block_load_methodE3ELS4_3ELS4_3ELNS0_20block_scan_algorithmE0ELj4294967295EEENS1_25partition_config_selectorILNS1_17partition_subalgoE4EjNS0_10empty_typeEbEEZZNS1_14partition_implILS8_4ELb0ES6_15HIP_vector_typeIjLj2EENS0_17counting_iteratorIjlEEPS9_SG_NS0_5tupleIJPjSI_NS0_16reverse_iteratorISI_EEEEENSH_IJSG_SG_SG_EEES9_SI_JZNS1_25segmented_radix_sort_implINS0_14default_configELb0EPK6__halfPSP_PKlPlN2at6native12_GLOBAL__N_18offset_tEEE10hipError_tPvRmT1_PNSt15iterator_traitsIS13_E10value_typeET2_T3_PNS14_IS19_E10value_typeET4_jRbjT5_S1F_jjP12ihipStream_tbEUljE_ZNSN_ISO_Lb0ESR_SS_SU_SV_SZ_EES10_S11_S12_S13_S17_S18_S19_S1C_S1D_jS1E_jS1F_S1F_jjS1H_bEUljE0_EEES10_S11_S12_S19_S1D_S1F_T6_T7_T9_mT8_S1H_bDpT10_ENKUlT_T0_E_clISt17integral_constantIbLb0EES1U_IbLb1EEEEDaS1Q_S1R_EUlS1Q_E_NS1_11comp_targetILNS1_3genE9ELNS1_11target_archE1100ELNS1_3gpuE3ELNS1_3repE0EEENS1_30default_config_static_selectorELNS0_4arch9wavefront6targetE1EEEvS13_.has_dyn_sized_stack, 0
	.set _ZN7rocprim17ROCPRIM_400000_NS6detail17trampoline_kernelINS0_13select_configILj256ELj13ELNS0_17block_load_methodE3ELS4_3ELS4_3ELNS0_20block_scan_algorithmE0ELj4294967295EEENS1_25partition_config_selectorILNS1_17partition_subalgoE4EjNS0_10empty_typeEbEEZZNS1_14partition_implILS8_4ELb0ES6_15HIP_vector_typeIjLj2EENS0_17counting_iteratorIjlEEPS9_SG_NS0_5tupleIJPjSI_NS0_16reverse_iteratorISI_EEEEENSH_IJSG_SG_SG_EEES9_SI_JZNS1_25segmented_radix_sort_implINS0_14default_configELb0EPK6__halfPSP_PKlPlN2at6native12_GLOBAL__N_18offset_tEEE10hipError_tPvRmT1_PNSt15iterator_traitsIS13_E10value_typeET2_T3_PNS14_IS19_E10value_typeET4_jRbjT5_S1F_jjP12ihipStream_tbEUljE_ZNSN_ISO_Lb0ESR_SS_SU_SV_SZ_EES10_S11_S12_S13_S17_S18_S19_S1C_S1D_jS1E_jS1F_S1F_jjS1H_bEUljE0_EEES10_S11_S12_S19_S1D_S1F_T6_T7_T9_mT8_S1H_bDpT10_ENKUlT_T0_E_clISt17integral_constantIbLb0EES1U_IbLb1EEEEDaS1Q_S1R_EUlS1Q_E_NS1_11comp_targetILNS1_3genE9ELNS1_11target_archE1100ELNS1_3gpuE3ELNS1_3repE0EEENS1_30default_config_static_selectorELNS0_4arch9wavefront6targetE1EEEvS13_.has_recursion, 0
	.set _ZN7rocprim17ROCPRIM_400000_NS6detail17trampoline_kernelINS0_13select_configILj256ELj13ELNS0_17block_load_methodE3ELS4_3ELS4_3ELNS0_20block_scan_algorithmE0ELj4294967295EEENS1_25partition_config_selectorILNS1_17partition_subalgoE4EjNS0_10empty_typeEbEEZZNS1_14partition_implILS8_4ELb0ES6_15HIP_vector_typeIjLj2EENS0_17counting_iteratorIjlEEPS9_SG_NS0_5tupleIJPjSI_NS0_16reverse_iteratorISI_EEEEENSH_IJSG_SG_SG_EEES9_SI_JZNS1_25segmented_radix_sort_implINS0_14default_configELb0EPK6__halfPSP_PKlPlN2at6native12_GLOBAL__N_18offset_tEEE10hipError_tPvRmT1_PNSt15iterator_traitsIS13_E10value_typeET2_T3_PNS14_IS19_E10value_typeET4_jRbjT5_S1F_jjP12ihipStream_tbEUljE_ZNSN_ISO_Lb0ESR_SS_SU_SV_SZ_EES10_S11_S12_S13_S17_S18_S19_S1C_S1D_jS1E_jS1F_S1F_jjS1H_bEUljE0_EEES10_S11_S12_S19_S1D_S1F_T6_T7_T9_mT8_S1H_bDpT10_ENKUlT_T0_E_clISt17integral_constantIbLb0EES1U_IbLb1EEEEDaS1Q_S1R_EUlS1Q_E_NS1_11comp_targetILNS1_3genE9ELNS1_11target_archE1100ELNS1_3gpuE3ELNS1_3repE0EEENS1_30default_config_static_selectorELNS0_4arch9wavefront6targetE1EEEvS13_.has_indirect_call, 0
	.section	.AMDGPU.csdata,"",@progbits
; Kernel info:
; codeLenInByte = 0
; TotalNumSgprs: 4
; NumVgprs: 0
; ScratchSize: 0
; MemoryBound: 0
; FloatMode: 240
; IeeeMode: 1
; LDSByteSize: 0 bytes/workgroup (compile time only)
; SGPRBlocks: 0
; VGPRBlocks: 0
; NumSGPRsForWavesPerEU: 4
; NumVGPRsForWavesPerEU: 1
; Occupancy: 10
; WaveLimiterHint : 0
; COMPUTE_PGM_RSRC2:SCRATCH_EN: 0
; COMPUTE_PGM_RSRC2:USER_SGPR: 6
; COMPUTE_PGM_RSRC2:TRAP_HANDLER: 0
; COMPUTE_PGM_RSRC2:TGID_X_EN: 1
; COMPUTE_PGM_RSRC2:TGID_Y_EN: 0
; COMPUTE_PGM_RSRC2:TGID_Z_EN: 0
; COMPUTE_PGM_RSRC2:TIDIG_COMP_CNT: 0
	.section	.text._ZN7rocprim17ROCPRIM_400000_NS6detail17trampoline_kernelINS0_13select_configILj256ELj13ELNS0_17block_load_methodE3ELS4_3ELS4_3ELNS0_20block_scan_algorithmE0ELj4294967295EEENS1_25partition_config_selectorILNS1_17partition_subalgoE4EjNS0_10empty_typeEbEEZZNS1_14partition_implILS8_4ELb0ES6_15HIP_vector_typeIjLj2EENS0_17counting_iteratorIjlEEPS9_SG_NS0_5tupleIJPjSI_NS0_16reverse_iteratorISI_EEEEENSH_IJSG_SG_SG_EEES9_SI_JZNS1_25segmented_radix_sort_implINS0_14default_configELb0EPK6__halfPSP_PKlPlN2at6native12_GLOBAL__N_18offset_tEEE10hipError_tPvRmT1_PNSt15iterator_traitsIS13_E10value_typeET2_T3_PNS14_IS19_E10value_typeET4_jRbjT5_S1F_jjP12ihipStream_tbEUljE_ZNSN_ISO_Lb0ESR_SS_SU_SV_SZ_EES10_S11_S12_S13_S17_S18_S19_S1C_S1D_jS1E_jS1F_S1F_jjS1H_bEUljE0_EEES10_S11_S12_S19_S1D_S1F_T6_T7_T9_mT8_S1H_bDpT10_ENKUlT_T0_E_clISt17integral_constantIbLb0EES1U_IbLb1EEEEDaS1Q_S1R_EUlS1Q_E_NS1_11comp_targetILNS1_3genE8ELNS1_11target_archE1030ELNS1_3gpuE2ELNS1_3repE0EEENS1_30default_config_static_selectorELNS0_4arch9wavefront6targetE1EEEvS13_,"axG",@progbits,_ZN7rocprim17ROCPRIM_400000_NS6detail17trampoline_kernelINS0_13select_configILj256ELj13ELNS0_17block_load_methodE3ELS4_3ELS4_3ELNS0_20block_scan_algorithmE0ELj4294967295EEENS1_25partition_config_selectorILNS1_17partition_subalgoE4EjNS0_10empty_typeEbEEZZNS1_14partition_implILS8_4ELb0ES6_15HIP_vector_typeIjLj2EENS0_17counting_iteratorIjlEEPS9_SG_NS0_5tupleIJPjSI_NS0_16reverse_iteratorISI_EEEEENSH_IJSG_SG_SG_EEES9_SI_JZNS1_25segmented_radix_sort_implINS0_14default_configELb0EPK6__halfPSP_PKlPlN2at6native12_GLOBAL__N_18offset_tEEE10hipError_tPvRmT1_PNSt15iterator_traitsIS13_E10value_typeET2_T3_PNS14_IS19_E10value_typeET4_jRbjT5_S1F_jjP12ihipStream_tbEUljE_ZNSN_ISO_Lb0ESR_SS_SU_SV_SZ_EES10_S11_S12_S13_S17_S18_S19_S1C_S1D_jS1E_jS1F_S1F_jjS1H_bEUljE0_EEES10_S11_S12_S19_S1D_S1F_T6_T7_T9_mT8_S1H_bDpT10_ENKUlT_T0_E_clISt17integral_constantIbLb0EES1U_IbLb1EEEEDaS1Q_S1R_EUlS1Q_E_NS1_11comp_targetILNS1_3genE8ELNS1_11target_archE1030ELNS1_3gpuE2ELNS1_3repE0EEENS1_30default_config_static_selectorELNS0_4arch9wavefront6targetE1EEEvS13_,comdat
	.globl	_ZN7rocprim17ROCPRIM_400000_NS6detail17trampoline_kernelINS0_13select_configILj256ELj13ELNS0_17block_load_methodE3ELS4_3ELS4_3ELNS0_20block_scan_algorithmE0ELj4294967295EEENS1_25partition_config_selectorILNS1_17partition_subalgoE4EjNS0_10empty_typeEbEEZZNS1_14partition_implILS8_4ELb0ES6_15HIP_vector_typeIjLj2EENS0_17counting_iteratorIjlEEPS9_SG_NS0_5tupleIJPjSI_NS0_16reverse_iteratorISI_EEEEENSH_IJSG_SG_SG_EEES9_SI_JZNS1_25segmented_radix_sort_implINS0_14default_configELb0EPK6__halfPSP_PKlPlN2at6native12_GLOBAL__N_18offset_tEEE10hipError_tPvRmT1_PNSt15iterator_traitsIS13_E10value_typeET2_T3_PNS14_IS19_E10value_typeET4_jRbjT5_S1F_jjP12ihipStream_tbEUljE_ZNSN_ISO_Lb0ESR_SS_SU_SV_SZ_EES10_S11_S12_S13_S17_S18_S19_S1C_S1D_jS1E_jS1F_S1F_jjS1H_bEUljE0_EEES10_S11_S12_S19_S1D_S1F_T6_T7_T9_mT8_S1H_bDpT10_ENKUlT_T0_E_clISt17integral_constantIbLb0EES1U_IbLb1EEEEDaS1Q_S1R_EUlS1Q_E_NS1_11comp_targetILNS1_3genE8ELNS1_11target_archE1030ELNS1_3gpuE2ELNS1_3repE0EEENS1_30default_config_static_selectorELNS0_4arch9wavefront6targetE1EEEvS13_ ; -- Begin function _ZN7rocprim17ROCPRIM_400000_NS6detail17trampoline_kernelINS0_13select_configILj256ELj13ELNS0_17block_load_methodE3ELS4_3ELS4_3ELNS0_20block_scan_algorithmE0ELj4294967295EEENS1_25partition_config_selectorILNS1_17partition_subalgoE4EjNS0_10empty_typeEbEEZZNS1_14partition_implILS8_4ELb0ES6_15HIP_vector_typeIjLj2EENS0_17counting_iteratorIjlEEPS9_SG_NS0_5tupleIJPjSI_NS0_16reverse_iteratorISI_EEEEENSH_IJSG_SG_SG_EEES9_SI_JZNS1_25segmented_radix_sort_implINS0_14default_configELb0EPK6__halfPSP_PKlPlN2at6native12_GLOBAL__N_18offset_tEEE10hipError_tPvRmT1_PNSt15iterator_traitsIS13_E10value_typeET2_T3_PNS14_IS19_E10value_typeET4_jRbjT5_S1F_jjP12ihipStream_tbEUljE_ZNSN_ISO_Lb0ESR_SS_SU_SV_SZ_EES10_S11_S12_S13_S17_S18_S19_S1C_S1D_jS1E_jS1F_S1F_jjS1H_bEUljE0_EEES10_S11_S12_S19_S1D_S1F_T6_T7_T9_mT8_S1H_bDpT10_ENKUlT_T0_E_clISt17integral_constantIbLb0EES1U_IbLb1EEEEDaS1Q_S1R_EUlS1Q_E_NS1_11comp_targetILNS1_3genE8ELNS1_11target_archE1030ELNS1_3gpuE2ELNS1_3repE0EEENS1_30default_config_static_selectorELNS0_4arch9wavefront6targetE1EEEvS13_
	.p2align	8
	.type	_ZN7rocprim17ROCPRIM_400000_NS6detail17trampoline_kernelINS0_13select_configILj256ELj13ELNS0_17block_load_methodE3ELS4_3ELS4_3ELNS0_20block_scan_algorithmE0ELj4294967295EEENS1_25partition_config_selectorILNS1_17partition_subalgoE4EjNS0_10empty_typeEbEEZZNS1_14partition_implILS8_4ELb0ES6_15HIP_vector_typeIjLj2EENS0_17counting_iteratorIjlEEPS9_SG_NS0_5tupleIJPjSI_NS0_16reverse_iteratorISI_EEEEENSH_IJSG_SG_SG_EEES9_SI_JZNS1_25segmented_radix_sort_implINS0_14default_configELb0EPK6__halfPSP_PKlPlN2at6native12_GLOBAL__N_18offset_tEEE10hipError_tPvRmT1_PNSt15iterator_traitsIS13_E10value_typeET2_T3_PNS14_IS19_E10value_typeET4_jRbjT5_S1F_jjP12ihipStream_tbEUljE_ZNSN_ISO_Lb0ESR_SS_SU_SV_SZ_EES10_S11_S12_S13_S17_S18_S19_S1C_S1D_jS1E_jS1F_S1F_jjS1H_bEUljE0_EEES10_S11_S12_S19_S1D_S1F_T6_T7_T9_mT8_S1H_bDpT10_ENKUlT_T0_E_clISt17integral_constantIbLb0EES1U_IbLb1EEEEDaS1Q_S1R_EUlS1Q_E_NS1_11comp_targetILNS1_3genE8ELNS1_11target_archE1030ELNS1_3gpuE2ELNS1_3repE0EEENS1_30default_config_static_selectorELNS0_4arch9wavefront6targetE1EEEvS13_,@function
_ZN7rocprim17ROCPRIM_400000_NS6detail17trampoline_kernelINS0_13select_configILj256ELj13ELNS0_17block_load_methodE3ELS4_3ELS4_3ELNS0_20block_scan_algorithmE0ELj4294967295EEENS1_25partition_config_selectorILNS1_17partition_subalgoE4EjNS0_10empty_typeEbEEZZNS1_14partition_implILS8_4ELb0ES6_15HIP_vector_typeIjLj2EENS0_17counting_iteratorIjlEEPS9_SG_NS0_5tupleIJPjSI_NS0_16reverse_iteratorISI_EEEEENSH_IJSG_SG_SG_EEES9_SI_JZNS1_25segmented_radix_sort_implINS0_14default_configELb0EPK6__halfPSP_PKlPlN2at6native12_GLOBAL__N_18offset_tEEE10hipError_tPvRmT1_PNSt15iterator_traitsIS13_E10value_typeET2_T3_PNS14_IS19_E10value_typeET4_jRbjT5_S1F_jjP12ihipStream_tbEUljE_ZNSN_ISO_Lb0ESR_SS_SU_SV_SZ_EES10_S11_S12_S13_S17_S18_S19_S1C_S1D_jS1E_jS1F_S1F_jjS1H_bEUljE0_EEES10_S11_S12_S19_S1D_S1F_T6_T7_T9_mT8_S1H_bDpT10_ENKUlT_T0_E_clISt17integral_constantIbLb0EES1U_IbLb1EEEEDaS1Q_S1R_EUlS1Q_E_NS1_11comp_targetILNS1_3genE8ELNS1_11target_archE1030ELNS1_3gpuE2ELNS1_3repE0EEENS1_30default_config_static_selectorELNS0_4arch9wavefront6targetE1EEEvS13_: ; @_ZN7rocprim17ROCPRIM_400000_NS6detail17trampoline_kernelINS0_13select_configILj256ELj13ELNS0_17block_load_methodE3ELS4_3ELS4_3ELNS0_20block_scan_algorithmE0ELj4294967295EEENS1_25partition_config_selectorILNS1_17partition_subalgoE4EjNS0_10empty_typeEbEEZZNS1_14partition_implILS8_4ELb0ES6_15HIP_vector_typeIjLj2EENS0_17counting_iteratorIjlEEPS9_SG_NS0_5tupleIJPjSI_NS0_16reverse_iteratorISI_EEEEENSH_IJSG_SG_SG_EEES9_SI_JZNS1_25segmented_radix_sort_implINS0_14default_configELb0EPK6__halfPSP_PKlPlN2at6native12_GLOBAL__N_18offset_tEEE10hipError_tPvRmT1_PNSt15iterator_traitsIS13_E10value_typeET2_T3_PNS14_IS19_E10value_typeET4_jRbjT5_S1F_jjP12ihipStream_tbEUljE_ZNSN_ISO_Lb0ESR_SS_SU_SV_SZ_EES10_S11_S12_S13_S17_S18_S19_S1C_S1D_jS1E_jS1F_S1F_jjS1H_bEUljE0_EEES10_S11_S12_S19_S1D_S1F_T6_T7_T9_mT8_S1H_bDpT10_ENKUlT_T0_E_clISt17integral_constantIbLb0EES1U_IbLb1EEEEDaS1Q_S1R_EUlS1Q_E_NS1_11comp_targetILNS1_3genE8ELNS1_11target_archE1030ELNS1_3gpuE2ELNS1_3repE0EEENS1_30default_config_static_selectorELNS0_4arch9wavefront6targetE1EEEvS13_
; %bb.0:
	.section	.rodata,"a",@progbits
	.p2align	6, 0x0
	.amdhsa_kernel _ZN7rocprim17ROCPRIM_400000_NS6detail17trampoline_kernelINS0_13select_configILj256ELj13ELNS0_17block_load_methodE3ELS4_3ELS4_3ELNS0_20block_scan_algorithmE0ELj4294967295EEENS1_25partition_config_selectorILNS1_17partition_subalgoE4EjNS0_10empty_typeEbEEZZNS1_14partition_implILS8_4ELb0ES6_15HIP_vector_typeIjLj2EENS0_17counting_iteratorIjlEEPS9_SG_NS0_5tupleIJPjSI_NS0_16reverse_iteratorISI_EEEEENSH_IJSG_SG_SG_EEES9_SI_JZNS1_25segmented_radix_sort_implINS0_14default_configELb0EPK6__halfPSP_PKlPlN2at6native12_GLOBAL__N_18offset_tEEE10hipError_tPvRmT1_PNSt15iterator_traitsIS13_E10value_typeET2_T3_PNS14_IS19_E10value_typeET4_jRbjT5_S1F_jjP12ihipStream_tbEUljE_ZNSN_ISO_Lb0ESR_SS_SU_SV_SZ_EES10_S11_S12_S13_S17_S18_S19_S1C_S1D_jS1E_jS1F_S1F_jjS1H_bEUljE0_EEES10_S11_S12_S19_S1D_S1F_T6_T7_T9_mT8_S1H_bDpT10_ENKUlT_T0_E_clISt17integral_constantIbLb0EES1U_IbLb1EEEEDaS1Q_S1R_EUlS1Q_E_NS1_11comp_targetILNS1_3genE8ELNS1_11target_archE1030ELNS1_3gpuE2ELNS1_3repE0EEENS1_30default_config_static_selectorELNS0_4arch9wavefront6targetE1EEEvS13_
		.amdhsa_group_segment_fixed_size 0
		.amdhsa_private_segment_fixed_size 0
		.amdhsa_kernarg_size 184
		.amdhsa_user_sgpr_count 6
		.amdhsa_user_sgpr_private_segment_buffer 1
		.amdhsa_user_sgpr_dispatch_ptr 0
		.amdhsa_user_sgpr_queue_ptr 0
		.amdhsa_user_sgpr_kernarg_segment_ptr 1
		.amdhsa_user_sgpr_dispatch_id 0
		.amdhsa_user_sgpr_flat_scratch_init 0
		.amdhsa_user_sgpr_private_segment_size 0
		.amdhsa_uses_dynamic_stack 0
		.amdhsa_system_sgpr_private_segment_wavefront_offset 0
		.amdhsa_system_sgpr_workgroup_id_x 1
		.amdhsa_system_sgpr_workgroup_id_y 0
		.amdhsa_system_sgpr_workgroup_id_z 0
		.amdhsa_system_sgpr_workgroup_info 0
		.amdhsa_system_vgpr_workitem_id 0
		.amdhsa_next_free_vgpr 1
		.amdhsa_next_free_sgpr 0
		.amdhsa_reserve_vcc 0
		.amdhsa_reserve_flat_scratch 0
		.amdhsa_float_round_mode_32 0
		.amdhsa_float_round_mode_16_64 0
		.amdhsa_float_denorm_mode_32 3
		.amdhsa_float_denorm_mode_16_64 3
		.amdhsa_dx10_clamp 1
		.amdhsa_ieee_mode 1
		.amdhsa_fp16_overflow 0
		.amdhsa_exception_fp_ieee_invalid_op 0
		.amdhsa_exception_fp_denorm_src 0
		.amdhsa_exception_fp_ieee_div_zero 0
		.amdhsa_exception_fp_ieee_overflow 0
		.amdhsa_exception_fp_ieee_underflow 0
		.amdhsa_exception_fp_ieee_inexact 0
		.amdhsa_exception_int_div_zero 0
	.end_amdhsa_kernel
	.section	.text._ZN7rocprim17ROCPRIM_400000_NS6detail17trampoline_kernelINS0_13select_configILj256ELj13ELNS0_17block_load_methodE3ELS4_3ELS4_3ELNS0_20block_scan_algorithmE0ELj4294967295EEENS1_25partition_config_selectorILNS1_17partition_subalgoE4EjNS0_10empty_typeEbEEZZNS1_14partition_implILS8_4ELb0ES6_15HIP_vector_typeIjLj2EENS0_17counting_iteratorIjlEEPS9_SG_NS0_5tupleIJPjSI_NS0_16reverse_iteratorISI_EEEEENSH_IJSG_SG_SG_EEES9_SI_JZNS1_25segmented_radix_sort_implINS0_14default_configELb0EPK6__halfPSP_PKlPlN2at6native12_GLOBAL__N_18offset_tEEE10hipError_tPvRmT1_PNSt15iterator_traitsIS13_E10value_typeET2_T3_PNS14_IS19_E10value_typeET4_jRbjT5_S1F_jjP12ihipStream_tbEUljE_ZNSN_ISO_Lb0ESR_SS_SU_SV_SZ_EES10_S11_S12_S13_S17_S18_S19_S1C_S1D_jS1E_jS1F_S1F_jjS1H_bEUljE0_EEES10_S11_S12_S19_S1D_S1F_T6_T7_T9_mT8_S1H_bDpT10_ENKUlT_T0_E_clISt17integral_constantIbLb0EES1U_IbLb1EEEEDaS1Q_S1R_EUlS1Q_E_NS1_11comp_targetILNS1_3genE8ELNS1_11target_archE1030ELNS1_3gpuE2ELNS1_3repE0EEENS1_30default_config_static_selectorELNS0_4arch9wavefront6targetE1EEEvS13_,"axG",@progbits,_ZN7rocprim17ROCPRIM_400000_NS6detail17trampoline_kernelINS0_13select_configILj256ELj13ELNS0_17block_load_methodE3ELS4_3ELS4_3ELNS0_20block_scan_algorithmE0ELj4294967295EEENS1_25partition_config_selectorILNS1_17partition_subalgoE4EjNS0_10empty_typeEbEEZZNS1_14partition_implILS8_4ELb0ES6_15HIP_vector_typeIjLj2EENS0_17counting_iteratorIjlEEPS9_SG_NS0_5tupleIJPjSI_NS0_16reverse_iteratorISI_EEEEENSH_IJSG_SG_SG_EEES9_SI_JZNS1_25segmented_radix_sort_implINS0_14default_configELb0EPK6__halfPSP_PKlPlN2at6native12_GLOBAL__N_18offset_tEEE10hipError_tPvRmT1_PNSt15iterator_traitsIS13_E10value_typeET2_T3_PNS14_IS19_E10value_typeET4_jRbjT5_S1F_jjP12ihipStream_tbEUljE_ZNSN_ISO_Lb0ESR_SS_SU_SV_SZ_EES10_S11_S12_S13_S17_S18_S19_S1C_S1D_jS1E_jS1F_S1F_jjS1H_bEUljE0_EEES10_S11_S12_S19_S1D_S1F_T6_T7_T9_mT8_S1H_bDpT10_ENKUlT_T0_E_clISt17integral_constantIbLb0EES1U_IbLb1EEEEDaS1Q_S1R_EUlS1Q_E_NS1_11comp_targetILNS1_3genE8ELNS1_11target_archE1030ELNS1_3gpuE2ELNS1_3repE0EEENS1_30default_config_static_selectorELNS0_4arch9wavefront6targetE1EEEvS13_,comdat
.Lfunc_end1809:
	.size	_ZN7rocprim17ROCPRIM_400000_NS6detail17trampoline_kernelINS0_13select_configILj256ELj13ELNS0_17block_load_methodE3ELS4_3ELS4_3ELNS0_20block_scan_algorithmE0ELj4294967295EEENS1_25partition_config_selectorILNS1_17partition_subalgoE4EjNS0_10empty_typeEbEEZZNS1_14partition_implILS8_4ELb0ES6_15HIP_vector_typeIjLj2EENS0_17counting_iteratorIjlEEPS9_SG_NS0_5tupleIJPjSI_NS0_16reverse_iteratorISI_EEEEENSH_IJSG_SG_SG_EEES9_SI_JZNS1_25segmented_radix_sort_implINS0_14default_configELb0EPK6__halfPSP_PKlPlN2at6native12_GLOBAL__N_18offset_tEEE10hipError_tPvRmT1_PNSt15iterator_traitsIS13_E10value_typeET2_T3_PNS14_IS19_E10value_typeET4_jRbjT5_S1F_jjP12ihipStream_tbEUljE_ZNSN_ISO_Lb0ESR_SS_SU_SV_SZ_EES10_S11_S12_S13_S17_S18_S19_S1C_S1D_jS1E_jS1F_S1F_jjS1H_bEUljE0_EEES10_S11_S12_S19_S1D_S1F_T6_T7_T9_mT8_S1H_bDpT10_ENKUlT_T0_E_clISt17integral_constantIbLb0EES1U_IbLb1EEEEDaS1Q_S1R_EUlS1Q_E_NS1_11comp_targetILNS1_3genE8ELNS1_11target_archE1030ELNS1_3gpuE2ELNS1_3repE0EEENS1_30default_config_static_selectorELNS0_4arch9wavefront6targetE1EEEvS13_, .Lfunc_end1809-_ZN7rocprim17ROCPRIM_400000_NS6detail17trampoline_kernelINS0_13select_configILj256ELj13ELNS0_17block_load_methodE3ELS4_3ELS4_3ELNS0_20block_scan_algorithmE0ELj4294967295EEENS1_25partition_config_selectorILNS1_17partition_subalgoE4EjNS0_10empty_typeEbEEZZNS1_14partition_implILS8_4ELb0ES6_15HIP_vector_typeIjLj2EENS0_17counting_iteratorIjlEEPS9_SG_NS0_5tupleIJPjSI_NS0_16reverse_iteratorISI_EEEEENSH_IJSG_SG_SG_EEES9_SI_JZNS1_25segmented_radix_sort_implINS0_14default_configELb0EPK6__halfPSP_PKlPlN2at6native12_GLOBAL__N_18offset_tEEE10hipError_tPvRmT1_PNSt15iterator_traitsIS13_E10value_typeET2_T3_PNS14_IS19_E10value_typeET4_jRbjT5_S1F_jjP12ihipStream_tbEUljE_ZNSN_ISO_Lb0ESR_SS_SU_SV_SZ_EES10_S11_S12_S13_S17_S18_S19_S1C_S1D_jS1E_jS1F_S1F_jjS1H_bEUljE0_EEES10_S11_S12_S19_S1D_S1F_T6_T7_T9_mT8_S1H_bDpT10_ENKUlT_T0_E_clISt17integral_constantIbLb0EES1U_IbLb1EEEEDaS1Q_S1R_EUlS1Q_E_NS1_11comp_targetILNS1_3genE8ELNS1_11target_archE1030ELNS1_3gpuE2ELNS1_3repE0EEENS1_30default_config_static_selectorELNS0_4arch9wavefront6targetE1EEEvS13_
                                        ; -- End function
	.set _ZN7rocprim17ROCPRIM_400000_NS6detail17trampoline_kernelINS0_13select_configILj256ELj13ELNS0_17block_load_methodE3ELS4_3ELS4_3ELNS0_20block_scan_algorithmE0ELj4294967295EEENS1_25partition_config_selectorILNS1_17partition_subalgoE4EjNS0_10empty_typeEbEEZZNS1_14partition_implILS8_4ELb0ES6_15HIP_vector_typeIjLj2EENS0_17counting_iteratorIjlEEPS9_SG_NS0_5tupleIJPjSI_NS0_16reverse_iteratorISI_EEEEENSH_IJSG_SG_SG_EEES9_SI_JZNS1_25segmented_radix_sort_implINS0_14default_configELb0EPK6__halfPSP_PKlPlN2at6native12_GLOBAL__N_18offset_tEEE10hipError_tPvRmT1_PNSt15iterator_traitsIS13_E10value_typeET2_T3_PNS14_IS19_E10value_typeET4_jRbjT5_S1F_jjP12ihipStream_tbEUljE_ZNSN_ISO_Lb0ESR_SS_SU_SV_SZ_EES10_S11_S12_S13_S17_S18_S19_S1C_S1D_jS1E_jS1F_S1F_jjS1H_bEUljE0_EEES10_S11_S12_S19_S1D_S1F_T6_T7_T9_mT8_S1H_bDpT10_ENKUlT_T0_E_clISt17integral_constantIbLb0EES1U_IbLb1EEEEDaS1Q_S1R_EUlS1Q_E_NS1_11comp_targetILNS1_3genE8ELNS1_11target_archE1030ELNS1_3gpuE2ELNS1_3repE0EEENS1_30default_config_static_selectorELNS0_4arch9wavefront6targetE1EEEvS13_.num_vgpr, 0
	.set _ZN7rocprim17ROCPRIM_400000_NS6detail17trampoline_kernelINS0_13select_configILj256ELj13ELNS0_17block_load_methodE3ELS4_3ELS4_3ELNS0_20block_scan_algorithmE0ELj4294967295EEENS1_25partition_config_selectorILNS1_17partition_subalgoE4EjNS0_10empty_typeEbEEZZNS1_14partition_implILS8_4ELb0ES6_15HIP_vector_typeIjLj2EENS0_17counting_iteratorIjlEEPS9_SG_NS0_5tupleIJPjSI_NS0_16reverse_iteratorISI_EEEEENSH_IJSG_SG_SG_EEES9_SI_JZNS1_25segmented_radix_sort_implINS0_14default_configELb0EPK6__halfPSP_PKlPlN2at6native12_GLOBAL__N_18offset_tEEE10hipError_tPvRmT1_PNSt15iterator_traitsIS13_E10value_typeET2_T3_PNS14_IS19_E10value_typeET4_jRbjT5_S1F_jjP12ihipStream_tbEUljE_ZNSN_ISO_Lb0ESR_SS_SU_SV_SZ_EES10_S11_S12_S13_S17_S18_S19_S1C_S1D_jS1E_jS1F_S1F_jjS1H_bEUljE0_EEES10_S11_S12_S19_S1D_S1F_T6_T7_T9_mT8_S1H_bDpT10_ENKUlT_T0_E_clISt17integral_constantIbLb0EES1U_IbLb1EEEEDaS1Q_S1R_EUlS1Q_E_NS1_11comp_targetILNS1_3genE8ELNS1_11target_archE1030ELNS1_3gpuE2ELNS1_3repE0EEENS1_30default_config_static_selectorELNS0_4arch9wavefront6targetE1EEEvS13_.num_agpr, 0
	.set _ZN7rocprim17ROCPRIM_400000_NS6detail17trampoline_kernelINS0_13select_configILj256ELj13ELNS0_17block_load_methodE3ELS4_3ELS4_3ELNS0_20block_scan_algorithmE0ELj4294967295EEENS1_25partition_config_selectorILNS1_17partition_subalgoE4EjNS0_10empty_typeEbEEZZNS1_14partition_implILS8_4ELb0ES6_15HIP_vector_typeIjLj2EENS0_17counting_iteratorIjlEEPS9_SG_NS0_5tupleIJPjSI_NS0_16reverse_iteratorISI_EEEEENSH_IJSG_SG_SG_EEES9_SI_JZNS1_25segmented_radix_sort_implINS0_14default_configELb0EPK6__halfPSP_PKlPlN2at6native12_GLOBAL__N_18offset_tEEE10hipError_tPvRmT1_PNSt15iterator_traitsIS13_E10value_typeET2_T3_PNS14_IS19_E10value_typeET4_jRbjT5_S1F_jjP12ihipStream_tbEUljE_ZNSN_ISO_Lb0ESR_SS_SU_SV_SZ_EES10_S11_S12_S13_S17_S18_S19_S1C_S1D_jS1E_jS1F_S1F_jjS1H_bEUljE0_EEES10_S11_S12_S19_S1D_S1F_T6_T7_T9_mT8_S1H_bDpT10_ENKUlT_T0_E_clISt17integral_constantIbLb0EES1U_IbLb1EEEEDaS1Q_S1R_EUlS1Q_E_NS1_11comp_targetILNS1_3genE8ELNS1_11target_archE1030ELNS1_3gpuE2ELNS1_3repE0EEENS1_30default_config_static_selectorELNS0_4arch9wavefront6targetE1EEEvS13_.numbered_sgpr, 0
	.set _ZN7rocprim17ROCPRIM_400000_NS6detail17trampoline_kernelINS0_13select_configILj256ELj13ELNS0_17block_load_methodE3ELS4_3ELS4_3ELNS0_20block_scan_algorithmE0ELj4294967295EEENS1_25partition_config_selectorILNS1_17partition_subalgoE4EjNS0_10empty_typeEbEEZZNS1_14partition_implILS8_4ELb0ES6_15HIP_vector_typeIjLj2EENS0_17counting_iteratorIjlEEPS9_SG_NS0_5tupleIJPjSI_NS0_16reverse_iteratorISI_EEEEENSH_IJSG_SG_SG_EEES9_SI_JZNS1_25segmented_radix_sort_implINS0_14default_configELb0EPK6__halfPSP_PKlPlN2at6native12_GLOBAL__N_18offset_tEEE10hipError_tPvRmT1_PNSt15iterator_traitsIS13_E10value_typeET2_T3_PNS14_IS19_E10value_typeET4_jRbjT5_S1F_jjP12ihipStream_tbEUljE_ZNSN_ISO_Lb0ESR_SS_SU_SV_SZ_EES10_S11_S12_S13_S17_S18_S19_S1C_S1D_jS1E_jS1F_S1F_jjS1H_bEUljE0_EEES10_S11_S12_S19_S1D_S1F_T6_T7_T9_mT8_S1H_bDpT10_ENKUlT_T0_E_clISt17integral_constantIbLb0EES1U_IbLb1EEEEDaS1Q_S1R_EUlS1Q_E_NS1_11comp_targetILNS1_3genE8ELNS1_11target_archE1030ELNS1_3gpuE2ELNS1_3repE0EEENS1_30default_config_static_selectorELNS0_4arch9wavefront6targetE1EEEvS13_.num_named_barrier, 0
	.set _ZN7rocprim17ROCPRIM_400000_NS6detail17trampoline_kernelINS0_13select_configILj256ELj13ELNS0_17block_load_methodE3ELS4_3ELS4_3ELNS0_20block_scan_algorithmE0ELj4294967295EEENS1_25partition_config_selectorILNS1_17partition_subalgoE4EjNS0_10empty_typeEbEEZZNS1_14partition_implILS8_4ELb0ES6_15HIP_vector_typeIjLj2EENS0_17counting_iteratorIjlEEPS9_SG_NS0_5tupleIJPjSI_NS0_16reverse_iteratorISI_EEEEENSH_IJSG_SG_SG_EEES9_SI_JZNS1_25segmented_radix_sort_implINS0_14default_configELb0EPK6__halfPSP_PKlPlN2at6native12_GLOBAL__N_18offset_tEEE10hipError_tPvRmT1_PNSt15iterator_traitsIS13_E10value_typeET2_T3_PNS14_IS19_E10value_typeET4_jRbjT5_S1F_jjP12ihipStream_tbEUljE_ZNSN_ISO_Lb0ESR_SS_SU_SV_SZ_EES10_S11_S12_S13_S17_S18_S19_S1C_S1D_jS1E_jS1F_S1F_jjS1H_bEUljE0_EEES10_S11_S12_S19_S1D_S1F_T6_T7_T9_mT8_S1H_bDpT10_ENKUlT_T0_E_clISt17integral_constantIbLb0EES1U_IbLb1EEEEDaS1Q_S1R_EUlS1Q_E_NS1_11comp_targetILNS1_3genE8ELNS1_11target_archE1030ELNS1_3gpuE2ELNS1_3repE0EEENS1_30default_config_static_selectorELNS0_4arch9wavefront6targetE1EEEvS13_.private_seg_size, 0
	.set _ZN7rocprim17ROCPRIM_400000_NS6detail17trampoline_kernelINS0_13select_configILj256ELj13ELNS0_17block_load_methodE3ELS4_3ELS4_3ELNS0_20block_scan_algorithmE0ELj4294967295EEENS1_25partition_config_selectorILNS1_17partition_subalgoE4EjNS0_10empty_typeEbEEZZNS1_14partition_implILS8_4ELb0ES6_15HIP_vector_typeIjLj2EENS0_17counting_iteratorIjlEEPS9_SG_NS0_5tupleIJPjSI_NS0_16reverse_iteratorISI_EEEEENSH_IJSG_SG_SG_EEES9_SI_JZNS1_25segmented_radix_sort_implINS0_14default_configELb0EPK6__halfPSP_PKlPlN2at6native12_GLOBAL__N_18offset_tEEE10hipError_tPvRmT1_PNSt15iterator_traitsIS13_E10value_typeET2_T3_PNS14_IS19_E10value_typeET4_jRbjT5_S1F_jjP12ihipStream_tbEUljE_ZNSN_ISO_Lb0ESR_SS_SU_SV_SZ_EES10_S11_S12_S13_S17_S18_S19_S1C_S1D_jS1E_jS1F_S1F_jjS1H_bEUljE0_EEES10_S11_S12_S19_S1D_S1F_T6_T7_T9_mT8_S1H_bDpT10_ENKUlT_T0_E_clISt17integral_constantIbLb0EES1U_IbLb1EEEEDaS1Q_S1R_EUlS1Q_E_NS1_11comp_targetILNS1_3genE8ELNS1_11target_archE1030ELNS1_3gpuE2ELNS1_3repE0EEENS1_30default_config_static_selectorELNS0_4arch9wavefront6targetE1EEEvS13_.uses_vcc, 0
	.set _ZN7rocprim17ROCPRIM_400000_NS6detail17trampoline_kernelINS0_13select_configILj256ELj13ELNS0_17block_load_methodE3ELS4_3ELS4_3ELNS0_20block_scan_algorithmE0ELj4294967295EEENS1_25partition_config_selectorILNS1_17partition_subalgoE4EjNS0_10empty_typeEbEEZZNS1_14partition_implILS8_4ELb0ES6_15HIP_vector_typeIjLj2EENS0_17counting_iteratorIjlEEPS9_SG_NS0_5tupleIJPjSI_NS0_16reverse_iteratorISI_EEEEENSH_IJSG_SG_SG_EEES9_SI_JZNS1_25segmented_radix_sort_implINS0_14default_configELb0EPK6__halfPSP_PKlPlN2at6native12_GLOBAL__N_18offset_tEEE10hipError_tPvRmT1_PNSt15iterator_traitsIS13_E10value_typeET2_T3_PNS14_IS19_E10value_typeET4_jRbjT5_S1F_jjP12ihipStream_tbEUljE_ZNSN_ISO_Lb0ESR_SS_SU_SV_SZ_EES10_S11_S12_S13_S17_S18_S19_S1C_S1D_jS1E_jS1F_S1F_jjS1H_bEUljE0_EEES10_S11_S12_S19_S1D_S1F_T6_T7_T9_mT8_S1H_bDpT10_ENKUlT_T0_E_clISt17integral_constantIbLb0EES1U_IbLb1EEEEDaS1Q_S1R_EUlS1Q_E_NS1_11comp_targetILNS1_3genE8ELNS1_11target_archE1030ELNS1_3gpuE2ELNS1_3repE0EEENS1_30default_config_static_selectorELNS0_4arch9wavefront6targetE1EEEvS13_.uses_flat_scratch, 0
	.set _ZN7rocprim17ROCPRIM_400000_NS6detail17trampoline_kernelINS0_13select_configILj256ELj13ELNS0_17block_load_methodE3ELS4_3ELS4_3ELNS0_20block_scan_algorithmE0ELj4294967295EEENS1_25partition_config_selectorILNS1_17partition_subalgoE4EjNS0_10empty_typeEbEEZZNS1_14partition_implILS8_4ELb0ES6_15HIP_vector_typeIjLj2EENS0_17counting_iteratorIjlEEPS9_SG_NS0_5tupleIJPjSI_NS0_16reverse_iteratorISI_EEEEENSH_IJSG_SG_SG_EEES9_SI_JZNS1_25segmented_radix_sort_implINS0_14default_configELb0EPK6__halfPSP_PKlPlN2at6native12_GLOBAL__N_18offset_tEEE10hipError_tPvRmT1_PNSt15iterator_traitsIS13_E10value_typeET2_T3_PNS14_IS19_E10value_typeET4_jRbjT5_S1F_jjP12ihipStream_tbEUljE_ZNSN_ISO_Lb0ESR_SS_SU_SV_SZ_EES10_S11_S12_S13_S17_S18_S19_S1C_S1D_jS1E_jS1F_S1F_jjS1H_bEUljE0_EEES10_S11_S12_S19_S1D_S1F_T6_T7_T9_mT8_S1H_bDpT10_ENKUlT_T0_E_clISt17integral_constantIbLb0EES1U_IbLb1EEEEDaS1Q_S1R_EUlS1Q_E_NS1_11comp_targetILNS1_3genE8ELNS1_11target_archE1030ELNS1_3gpuE2ELNS1_3repE0EEENS1_30default_config_static_selectorELNS0_4arch9wavefront6targetE1EEEvS13_.has_dyn_sized_stack, 0
	.set _ZN7rocprim17ROCPRIM_400000_NS6detail17trampoline_kernelINS0_13select_configILj256ELj13ELNS0_17block_load_methodE3ELS4_3ELS4_3ELNS0_20block_scan_algorithmE0ELj4294967295EEENS1_25partition_config_selectorILNS1_17partition_subalgoE4EjNS0_10empty_typeEbEEZZNS1_14partition_implILS8_4ELb0ES6_15HIP_vector_typeIjLj2EENS0_17counting_iteratorIjlEEPS9_SG_NS0_5tupleIJPjSI_NS0_16reverse_iteratorISI_EEEEENSH_IJSG_SG_SG_EEES9_SI_JZNS1_25segmented_radix_sort_implINS0_14default_configELb0EPK6__halfPSP_PKlPlN2at6native12_GLOBAL__N_18offset_tEEE10hipError_tPvRmT1_PNSt15iterator_traitsIS13_E10value_typeET2_T3_PNS14_IS19_E10value_typeET4_jRbjT5_S1F_jjP12ihipStream_tbEUljE_ZNSN_ISO_Lb0ESR_SS_SU_SV_SZ_EES10_S11_S12_S13_S17_S18_S19_S1C_S1D_jS1E_jS1F_S1F_jjS1H_bEUljE0_EEES10_S11_S12_S19_S1D_S1F_T6_T7_T9_mT8_S1H_bDpT10_ENKUlT_T0_E_clISt17integral_constantIbLb0EES1U_IbLb1EEEEDaS1Q_S1R_EUlS1Q_E_NS1_11comp_targetILNS1_3genE8ELNS1_11target_archE1030ELNS1_3gpuE2ELNS1_3repE0EEENS1_30default_config_static_selectorELNS0_4arch9wavefront6targetE1EEEvS13_.has_recursion, 0
	.set _ZN7rocprim17ROCPRIM_400000_NS6detail17trampoline_kernelINS0_13select_configILj256ELj13ELNS0_17block_load_methodE3ELS4_3ELS4_3ELNS0_20block_scan_algorithmE0ELj4294967295EEENS1_25partition_config_selectorILNS1_17partition_subalgoE4EjNS0_10empty_typeEbEEZZNS1_14partition_implILS8_4ELb0ES6_15HIP_vector_typeIjLj2EENS0_17counting_iteratorIjlEEPS9_SG_NS0_5tupleIJPjSI_NS0_16reverse_iteratorISI_EEEEENSH_IJSG_SG_SG_EEES9_SI_JZNS1_25segmented_radix_sort_implINS0_14default_configELb0EPK6__halfPSP_PKlPlN2at6native12_GLOBAL__N_18offset_tEEE10hipError_tPvRmT1_PNSt15iterator_traitsIS13_E10value_typeET2_T3_PNS14_IS19_E10value_typeET4_jRbjT5_S1F_jjP12ihipStream_tbEUljE_ZNSN_ISO_Lb0ESR_SS_SU_SV_SZ_EES10_S11_S12_S13_S17_S18_S19_S1C_S1D_jS1E_jS1F_S1F_jjS1H_bEUljE0_EEES10_S11_S12_S19_S1D_S1F_T6_T7_T9_mT8_S1H_bDpT10_ENKUlT_T0_E_clISt17integral_constantIbLb0EES1U_IbLb1EEEEDaS1Q_S1R_EUlS1Q_E_NS1_11comp_targetILNS1_3genE8ELNS1_11target_archE1030ELNS1_3gpuE2ELNS1_3repE0EEENS1_30default_config_static_selectorELNS0_4arch9wavefront6targetE1EEEvS13_.has_indirect_call, 0
	.section	.AMDGPU.csdata,"",@progbits
; Kernel info:
; codeLenInByte = 0
; TotalNumSgprs: 4
; NumVgprs: 0
; ScratchSize: 0
; MemoryBound: 0
; FloatMode: 240
; IeeeMode: 1
; LDSByteSize: 0 bytes/workgroup (compile time only)
; SGPRBlocks: 0
; VGPRBlocks: 0
; NumSGPRsForWavesPerEU: 4
; NumVGPRsForWavesPerEU: 1
; Occupancy: 10
; WaveLimiterHint : 0
; COMPUTE_PGM_RSRC2:SCRATCH_EN: 0
; COMPUTE_PGM_RSRC2:USER_SGPR: 6
; COMPUTE_PGM_RSRC2:TRAP_HANDLER: 0
; COMPUTE_PGM_RSRC2:TGID_X_EN: 1
; COMPUTE_PGM_RSRC2:TGID_Y_EN: 0
; COMPUTE_PGM_RSRC2:TGID_Z_EN: 0
; COMPUTE_PGM_RSRC2:TIDIG_COMP_CNT: 0
	.section	.text._ZN7rocprim17ROCPRIM_400000_NS6detail17trampoline_kernelINS0_13select_configILj256ELj13ELNS0_17block_load_methodE3ELS4_3ELS4_3ELNS0_20block_scan_algorithmE0ELj4294967295EEENS1_25partition_config_selectorILNS1_17partition_subalgoE3EjNS0_10empty_typeEbEEZZNS1_14partition_implILS8_3ELb0ES6_jNS0_17counting_iteratorIjlEEPS9_SE_NS0_5tupleIJPjSE_EEENSF_IJSE_SE_EEES9_SG_JZNS1_25segmented_radix_sort_implINS0_14default_configELb0EPK6__halfPSL_PKlPlN2at6native12_GLOBAL__N_18offset_tEEE10hipError_tPvRmT1_PNSt15iterator_traitsISZ_E10value_typeET2_T3_PNS10_IS15_E10value_typeET4_jRbjT5_S1B_jjP12ihipStream_tbEUljE_EEESW_SX_SY_S15_S19_S1B_T6_T7_T9_mT8_S1D_bDpT10_ENKUlT_T0_E_clISt17integral_constantIbLb0EES1Q_EEDaS1L_S1M_EUlS1L_E_NS1_11comp_targetILNS1_3genE0ELNS1_11target_archE4294967295ELNS1_3gpuE0ELNS1_3repE0EEENS1_30default_config_static_selectorELNS0_4arch9wavefront6targetE1EEEvSZ_,"axG",@progbits,_ZN7rocprim17ROCPRIM_400000_NS6detail17trampoline_kernelINS0_13select_configILj256ELj13ELNS0_17block_load_methodE3ELS4_3ELS4_3ELNS0_20block_scan_algorithmE0ELj4294967295EEENS1_25partition_config_selectorILNS1_17partition_subalgoE3EjNS0_10empty_typeEbEEZZNS1_14partition_implILS8_3ELb0ES6_jNS0_17counting_iteratorIjlEEPS9_SE_NS0_5tupleIJPjSE_EEENSF_IJSE_SE_EEES9_SG_JZNS1_25segmented_radix_sort_implINS0_14default_configELb0EPK6__halfPSL_PKlPlN2at6native12_GLOBAL__N_18offset_tEEE10hipError_tPvRmT1_PNSt15iterator_traitsISZ_E10value_typeET2_T3_PNS10_IS15_E10value_typeET4_jRbjT5_S1B_jjP12ihipStream_tbEUljE_EEESW_SX_SY_S15_S19_S1B_T6_T7_T9_mT8_S1D_bDpT10_ENKUlT_T0_E_clISt17integral_constantIbLb0EES1Q_EEDaS1L_S1M_EUlS1L_E_NS1_11comp_targetILNS1_3genE0ELNS1_11target_archE4294967295ELNS1_3gpuE0ELNS1_3repE0EEENS1_30default_config_static_selectorELNS0_4arch9wavefront6targetE1EEEvSZ_,comdat
	.globl	_ZN7rocprim17ROCPRIM_400000_NS6detail17trampoline_kernelINS0_13select_configILj256ELj13ELNS0_17block_load_methodE3ELS4_3ELS4_3ELNS0_20block_scan_algorithmE0ELj4294967295EEENS1_25partition_config_selectorILNS1_17partition_subalgoE3EjNS0_10empty_typeEbEEZZNS1_14partition_implILS8_3ELb0ES6_jNS0_17counting_iteratorIjlEEPS9_SE_NS0_5tupleIJPjSE_EEENSF_IJSE_SE_EEES9_SG_JZNS1_25segmented_radix_sort_implINS0_14default_configELb0EPK6__halfPSL_PKlPlN2at6native12_GLOBAL__N_18offset_tEEE10hipError_tPvRmT1_PNSt15iterator_traitsISZ_E10value_typeET2_T3_PNS10_IS15_E10value_typeET4_jRbjT5_S1B_jjP12ihipStream_tbEUljE_EEESW_SX_SY_S15_S19_S1B_T6_T7_T9_mT8_S1D_bDpT10_ENKUlT_T0_E_clISt17integral_constantIbLb0EES1Q_EEDaS1L_S1M_EUlS1L_E_NS1_11comp_targetILNS1_3genE0ELNS1_11target_archE4294967295ELNS1_3gpuE0ELNS1_3repE0EEENS1_30default_config_static_selectorELNS0_4arch9wavefront6targetE1EEEvSZ_ ; -- Begin function _ZN7rocprim17ROCPRIM_400000_NS6detail17trampoline_kernelINS0_13select_configILj256ELj13ELNS0_17block_load_methodE3ELS4_3ELS4_3ELNS0_20block_scan_algorithmE0ELj4294967295EEENS1_25partition_config_selectorILNS1_17partition_subalgoE3EjNS0_10empty_typeEbEEZZNS1_14partition_implILS8_3ELb0ES6_jNS0_17counting_iteratorIjlEEPS9_SE_NS0_5tupleIJPjSE_EEENSF_IJSE_SE_EEES9_SG_JZNS1_25segmented_radix_sort_implINS0_14default_configELb0EPK6__halfPSL_PKlPlN2at6native12_GLOBAL__N_18offset_tEEE10hipError_tPvRmT1_PNSt15iterator_traitsISZ_E10value_typeET2_T3_PNS10_IS15_E10value_typeET4_jRbjT5_S1B_jjP12ihipStream_tbEUljE_EEESW_SX_SY_S15_S19_S1B_T6_T7_T9_mT8_S1D_bDpT10_ENKUlT_T0_E_clISt17integral_constantIbLb0EES1Q_EEDaS1L_S1M_EUlS1L_E_NS1_11comp_targetILNS1_3genE0ELNS1_11target_archE4294967295ELNS1_3gpuE0ELNS1_3repE0EEENS1_30default_config_static_selectorELNS0_4arch9wavefront6targetE1EEEvSZ_
	.p2align	8
	.type	_ZN7rocprim17ROCPRIM_400000_NS6detail17trampoline_kernelINS0_13select_configILj256ELj13ELNS0_17block_load_methodE3ELS4_3ELS4_3ELNS0_20block_scan_algorithmE0ELj4294967295EEENS1_25partition_config_selectorILNS1_17partition_subalgoE3EjNS0_10empty_typeEbEEZZNS1_14partition_implILS8_3ELb0ES6_jNS0_17counting_iteratorIjlEEPS9_SE_NS0_5tupleIJPjSE_EEENSF_IJSE_SE_EEES9_SG_JZNS1_25segmented_radix_sort_implINS0_14default_configELb0EPK6__halfPSL_PKlPlN2at6native12_GLOBAL__N_18offset_tEEE10hipError_tPvRmT1_PNSt15iterator_traitsISZ_E10value_typeET2_T3_PNS10_IS15_E10value_typeET4_jRbjT5_S1B_jjP12ihipStream_tbEUljE_EEESW_SX_SY_S15_S19_S1B_T6_T7_T9_mT8_S1D_bDpT10_ENKUlT_T0_E_clISt17integral_constantIbLb0EES1Q_EEDaS1L_S1M_EUlS1L_E_NS1_11comp_targetILNS1_3genE0ELNS1_11target_archE4294967295ELNS1_3gpuE0ELNS1_3repE0EEENS1_30default_config_static_selectorELNS0_4arch9wavefront6targetE1EEEvSZ_,@function
_ZN7rocprim17ROCPRIM_400000_NS6detail17trampoline_kernelINS0_13select_configILj256ELj13ELNS0_17block_load_methodE3ELS4_3ELS4_3ELNS0_20block_scan_algorithmE0ELj4294967295EEENS1_25partition_config_selectorILNS1_17partition_subalgoE3EjNS0_10empty_typeEbEEZZNS1_14partition_implILS8_3ELb0ES6_jNS0_17counting_iteratorIjlEEPS9_SE_NS0_5tupleIJPjSE_EEENSF_IJSE_SE_EEES9_SG_JZNS1_25segmented_radix_sort_implINS0_14default_configELb0EPK6__halfPSL_PKlPlN2at6native12_GLOBAL__N_18offset_tEEE10hipError_tPvRmT1_PNSt15iterator_traitsISZ_E10value_typeET2_T3_PNS10_IS15_E10value_typeET4_jRbjT5_S1B_jjP12ihipStream_tbEUljE_EEESW_SX_SY_S15_S19_S1B_T6_T7_T9_mT8_S1D_bDpT10_ENKUlT_T0_E_clISt17integral_constantIbLb0EES1Q_EEDaS1L_S1M_EUlS1L_E_NS1_11comp_targetILNS1_3genE0ELNS1_11target_archE4294967295ELNS1_3gpuE0ELNS1_3repE0EEENS1_30default_config_static_selectorELNS0_4arch9wavefront6targetE1EEEvSZ_: ; @_ZN7rocprim17ROCPRIM_400000_NS6detail17trampoline_kernelINS0_13select_configILj256ELj13ELNS0_17block_load_methodE3ELS4_3ELS4_3ELNS0_20block_scan_algorithmE0ELj4294967295EEENS1_25partition_config_selectorILNS1_17partition_subalgoE3EjNS0_10empty_typeEbEEZZNS1_14partition_implILS8_3ELb0ES6_jNS0_17counting_iteratorIjlEEPS9_SE_NS0_5tupleIJPjSE_EEENSF_IJSE_SE_EEES9_SG_JZNS1_25segmented_radix_sort_implINS0_14default_configELb0EPK6__halfPSL_PKlPlN2at6native12_GLOBAL__N_18offset_tEEE10hipError_tPvRmT1_PNSt15iterator_traitsISZ_E10value_typeET2_T3_PNS10_IS15_E10value_typeET4_jRbjT5_S1B_jjP12ihipStream_tbEUljE_EEESW_SX_SY_S15_S19_S1B_T6_T7_T9_mT8_S1D_bDpT10_ENKUlT_T0_E_clISt17integral_constantIbLb0EES1Q_EEDaS1L_S1M_EUlS1L_E_NS1_11comp_targetILNS1_3genE0ELNS1_11target_archE4294967295ELNS1_3gpuE0ELNS1_3repE0EEENS1_30default_config_static_selectorELNS0_4arch9wavefront6targetE1EEEvSZ_
; %bb.0:
	.section	.rodata,"a",@progbits
	.p2align	6, 0x0
	.amdhsa_kernel _ZN7rocprim17ROCPRIM_400000_NS6detail17trampoline_kernelINS0_13select_configILj256ELj13ELNS0_17block_load_methodE3ELS4_3ELS4_3ELNS0_20block_scan_algorithmE0ELj4294967295EEENS1_25partition_config_selectorILNS1_17partition_subalgoE3EjNS0_10empty_typeEbEEZZNS1_14partition_implILS8_3ELb0ES6_jNS0_17counting_iteratorIjlEEPS9_SE_NS0_5tupleIJPjSE_EEENSF_IJSE_SE_EEES9_SG_JZNS1_25segmented_radix_sort_implINS0_14default_configELb0EPK6__halfPSL_PKlPlN2at6native12_GLOBAL__N_18offset_tEEE10hipError_tPvRmT1_PNSt15iterator_traitsISZ_E10value_typeET2_T3_PNS10_IS15_E10value_typeET4_jRbjT5_S1B_jjP12ihipStream_tbEUljE_EEESW_SX_SY_S15_S19_S1B_T6_T7_T9_mT8_S1D_bDpT10_ENKUlT_T0_E_clISt17integral_constantIbLb0EES1Q_EEDaS1L_S1M_EUlS1L_E_NS1_11comp_targetILNS1_3genE0ELNS1_11target_archE4294967295ELNS1_3gpuE0ELNS1_3repE0EEENS1_30default_config_static_selectorELNS0_4arch9wavefront6targetE1EEEvSZ_
		.amdhsa_group_segment_fixed_size 0
		.amdhsa_private_segment_fixed_size 0
		.amdhsa_kernarg_size 144
		.amdhsa_user_sgpr_count 6
		.amdhsa_user_sgpr_private_segment_buffer 1
		.amdhsa_user_sgpr_dispatch_ptr 0
		.amdhsa_user_sgpr_queue_ptr 0
		.amdhsa_user_sgpr_kernarg_segment_ptr 1
		.amdhsa_user_sgpr_dispatch_id 0
		.amdhsa_user_sgpr_flat_scratch_init 0
		.amdhsa_user_sgpr_private_segment_size 0
		.amdhsa_uses_dynamic_stack 0
		.amdhsa_system_sgpr_private_segment_wavefront_offset 0
		.amdhsa_system_sgpr_workgroup_id_x 1
		.amdhsa_system_sgpr_workgroup_id_y 0
		.amdhsa_system_sgpr_workgroup_id_z 0
		.amdhsa_system_sgpr_workgroup_info 0
		.amdhsa_system_vgpr_workitem_id 0
		.amdhsa_next_free_vgpr 1
		.amdhsa_next_free_sgpr 0
		.amdhsa_reserve_vcc 0
		.amdhsa_reserve_flat_scratch 0
		.amdhsa_float_round_mode_32 0
		.amdhsa_float_round_mode_16_64 0
		.amdhsa_float_denorm_mode_32 3
		.amdhsa_float_denorm_mode_16_64 3
		.amdhsa_dx10_clamp 1
		.amdhsa_ieee_mode 1
		.amdhsa_fp16_overflow 0
		.amdhsa_exception_fp_ieee_invalid_op 0
		.amdhsa_exception_fp_denorm_src 0
		.amdhsa_exception_fp_ieee_div_zero 0
		.amdhsa_exception_fp_ieee_overflow 0
		.amdhsa_exception_fp_ieee_underflow 0
		.amdhsa_exception_fp_ieee_inexact 0
		.amdhsa_exception_int_div_zero 0
	.end_amdhsa_kernel
	.section	.text._ZN7rocprim17ROCPRIM_400000_NS6detail17trampoline_kernelINS0_13select_configILj256ELj13ELNS0_17block_load_methodE3ELS4_3ELS4_3ELNS0_20block_scan_algorithmE0ELj4294967295EEENS1_25partition_config_selectorILNS1_17partition_subalgoE3EjNS0_10empty_typeEbEEZZNS1_14partition_implILS8_3ELb0ES6_jNS0_17counting_iteratorIjlEEPS9_SE_NS0_5tupleIJPjSE_EEENSF_IJSE_SE_EEES9_SG_JZNS1_25segmented_radix_sort_implINS0_14default_configELb0EPK6__halfPSL_PKlPlN2at6native12_GLOBAL__N_18offset_tEEE10hipError_tPvRmT1_PNSt15iterator_traitsISZ_E10value_typeET2_T3_PNS10_IS15_E10value_typeET4_jRbjT5_S1B_jjP12ihipStream_tbEUljE_EEESW_SX_SY_S15_S19_S1B_T6_T7_T9_mT8_S1D_bDpT10_ENKUlT_T0_E_clISt17integral_constantIbLb0EES1Q_EEDaS1L_S1M_EUlS1L_E_NS1_11comp_targetILNS1_3genE0ELNS1_11target_archE4294967295ELNS1_3gpuE0ELNS1_3repE0EEENS1_30default_config_static_selectorELNS0_4arch9wavefront6targetE1EEEvSZ_,"axG",@progbits,_ZN7rocprim17ROCPRIM_400000_NS6detail17trampoline_kernelINS0_13select_configILj256ELj13ELNS0_17block_load_methodE3ELS4_3ELS4_3ELNS0_20block_scan_algorithmE0ELj4294967295EEENS1_25partition_config_selectorILNS1_17partition_subalgoE3EjNS0_10empty_typeEbEEZZNS1_14partition_implILS8_3ELb0ES6_jNS0_17counting_iteratorIjlEEPS9_SE_NS0_5tupleIJPjSE_EEENSF_IJSE_SE_EEES9_SG_JZNS1_25segmented_radix_sort_implINS0_14default_configELb0EPK6__halfPSL_PKlPlN2at6native12_GLOBAL__N_18offset_tEEE10hipError_tPvRmT1_PNSt15iterator_traitsISZ_E10value_typeET2_T3_PNS10_IS15_E10value_typeET4_jRbjT5_S1B_jjP12ihipStream_tbEUljE_EEESW_SX_SY_S15_S19_S1B_T6_T7_T9_mT8_S1D_bDpT10_ENKUlT_T0_E_clISt17integral_constantIbLb0EES1Q_EEDaS1L_S1M_EUlS1L_E_NS1_11comp_targetILNS1_3genE0ELNS1_11target_archE4294967295ELNS1_3gpuE0ELNS1_3repE0EEENS1_30default_config_static_selectorELNS0_4arch9wavefront6targetE1EEEvSZ_,comdat
.Lfunc_end1810:
	.size	_ZN7rocprim17ROCPRIM_400000_NS6detail17trampoline_kernelINS0_13select_configILj256ELj13ELNS0_17block_load_methodE3ELS4_3ELS4_3ELNS0_20block_scan_algorithmE0ELj4294967295EEENS1_25partition_config_selectorILNS1_17partition_subalgoE3EjNS0_10empty_typeEbEEZZNS1_14partition_implILS8_3ELb0ES6_jNS0_17counting_iteratorIjlEEPS9_SE_NS0_5tupleIJPjSE_EEENSF_IJSE_SE_EEES9_SG_JZNS1_25segmented_radix_sort_implINS0_14default_configELb0EPK6__halfPSL_PKlPlN2at6native12_GLOBAL__N_18offset_tEEE10hipError_tPvRmT1_PNSt15iterator_traitsISZ_E10value_typeET2_T3_PNS10_IS15_E10value_typeET4_jRbjT5_S1B_jjP12ihipStream_tbEUljE_EEESW_SX_SY_S15_S19_S1B_T6_T7_T9_mT8_S1D_bDpT10_ENKUlT_T0_E_clISt17integral_constantIbLb0EES1Q_EEDaS1L_S1M_EUlS1L_E_NS1_11comp_targetILNS1_3genE0ELNS1_11target_archE4294967295ELNS1_3gpuE0ELNS1_3repE0EEENS1_30default_config_static_selectorELNS0_4arch9wavefront6targetE1EEEvSZ_, .Lfunc_end1810-_ZN7rocprim17ROCPRIM_400000_NS6detail17trampoline_kernelINS0_13select_configILj256ELj13ELNS0_17block_load_methodE3ELS4_3ELS4_3ELNS0_20block_scan_algorithmE0ELj4294967295EEENS1_25partition_config_selectorILNS1_17partition_subalgoE3EjNS0_10empty_typeEbEEZZNS1_14partition_implILS8_3ELb0ES6_jNS0_17counting_iteratorIjlEEPS9_SE_NS0_5tupleIJPjSE_EEENSF_IJSE_SE_EEES9_SG_JZNS1_25segmented_radix_sort_implINS0_14default_configELb0EPK6__halfPSL_PKlPlN2at6native12_GLOBAL__N_18offset_tEEE10hipError_tPvRmT1_PNSt15iterator_traitsISZ_E10value_typeET2_T3_PNS10_IS15_E10value_typeET4_jRbjT5_S1B_jjP12ihipStream_tbEUljE_EEESW_SX_SY_S15_S19_S1B_T6_T7_T9_mT8_S1D_bDpT10_ENKUlT_T0_E_clISt17integral_constantIbLb0EES1Q_EEDaS1L_S1M_EUlS1L_E_NS1_11comp_targetILNS1_3genE0ELNS1_11target_archE4294967295ELNS1_3gpuE0ELNS1_3repE0EEENS1_30default_config_static_selectorELNS0_4arch9wavefront6targetE1EEEvSZ_
                                        ; -- End function
	.set _ZN7rocprim17ROCPRIM_400000_NS6detail17trampoline_kernelINS0_13select_configILj256ELj13ELNS0_17block_load_methodE3ELS4_3ELS4_3ELNS0_20block_scan_algorithmE0ELj4294967295EEENS1_25partition_config_selectorILNS1_17partition_subalgoE3EjNS0_10empty_typeEbEEZZNS1_14partition_implILS8_3ELb0ES6_jNS0_17counting_iteratorIjlEEPS9_SE_NS0_5tupleIJPjSE_EEENSF_IJSE_SE_EEES9_SG_JZNS1_25segmented_radix_sort_implINS0_14default_configELb0EPK6__halfPSL_PKlPlN2at6native12_GLOBAL__N_18offset_tEEE10hipError_tPvRmT1_PNSt15iterator_traitsISZ_E10value_typeET2_T3_PNS10_IS15_E10value_typeET4_jRbjT5_S1B_jjP12ihipStream_tbEUljE_EEESW_SX_SY_S15_S19_S1B_T6_T7_T9_mT8_S1D_bDpT10_ENKUlT_T0_E_clISt17integral_constantIbLb0EES1Q_EEDaS1L_S1M_EUlS1L_E_NS1_11comp_targetILNS1_3genE0ELNS1_11target_archE4294967295ELNS1_3gpuE0ELNS1_3repE0EEENS1_30default_config_static_selectorELNS0_4arch9wavefront6targetE1EEEvSZ_.num_vgpr, 0
	.set _ZN7rocprim17ROCPRIM_400000_NS6detail17trampoline_kernelINS0_13select_configILj256ELj13ELNS0_17block_load_methodE3ELS4_3ELS4_3ELNS0_20block_scan_algorithmE0ELj4294967295EEENS1_25partition_config_selectorILNS1_17partition_subalgoE3EjNS0_10empty_typeEbEEZZNS1_14partition_implILS8_3ELb0ES6_jNS0_17counting_iteratorIjlEEPS9_SE_NS0_5tupleIJPjSE_EEENSF_IJSE_SE_EEES9_SG_JZNS1_25segmented_radix_sort_implINS0_14default_configELb0EPK6__halfPSL_PKlPlN2at6native12_GLOBAL__N_18offset_tEEE10hipError_tPvRmT1_PNSt15iterator_traitsISZ_E10value_typeET2_T3_PNS10_IS15_E10value_typeET4_jRbjT5_S1B_jjP12ihipStream_tbEUljE_EEESW_SX_SY_S15_S19_S1B_T6_T7_T9_mT8_S1D_bDpT10_ENKUlT_T0_E_clISt17integral_constantIbLb0EES1Q_EEDaS1L_S1M_EUlS1L_E_NS1_11comp_targetILNS1_3genE0ELNS1_11target_archE4294967295ELNS1_3gpuE0ELNS1_3repE0EEENS1_30default_config_static_selectorELNS0_4arch9wavefront6targetE1EEEvSZ_.num_agpr, 0
	.set _ZN7rocprim17ROCPRIM_400000_NS6detail17trampoline_kernelINS0_13select_configILj256ELj13ELNS0_17block_load_methodE3ELS4_3ELS4_3ELNS0_20block_scan_algorithmE0ELj4294967295EEENS1_25partition_config_selectorILNS1_17partition_subalgoE3EjNS0_10empty_typeEbEEZZNS1_14partition_implILS8_3ELb0ES6_jNS0_17counting_iteratorIjlEEPS9_SE_NS0_5tupleIJPjSE_EEENSF_IJSE_SE_EEES9_SG_JZNS1_25segmented_radix_sort_implINS0_14default_configELb0EPK6__halfPSL_PKlPlN2at6native12_GLOBAL__N_18offset_tEEE10hipError_tPvRmT1_PNSt15iterator_traitsISZ_E10value_typeET2_T3_PNS10_IS15_E10value_typeET4_jRbjT5_S1B_jjP12ihipStream_tbEUljE_EEESW_SX_SY_S15_S19_S1B_T6_T7_T9_mT8_S1D_bDpT10_ENKUlT_T0_E_clISt17integral_constantIbLb0EES1Q_EEDaS1L_S1M_EUlS1L_E_NS1_11comp_targetILNS1_3genE0ELNS1_11target_archE4294967295ELNS1_3gpuE0ELNS1_3repE0EEENS1_30default_config_static_selectorELNS0_4arch9wavefront6targetE1EEEvSZ_.numbered_sgpr, 0
	.set _ZN7rocprim17ROCPRIM_400000_NS6detail17trampoline_kernelINS0_13select_configILj256ELj13ELNS0_17block_load_methodE3ELS4_3ELS4_3ELNS0_20block_scan_algorithmE0ELj4294967295EEENS1_25partition_config_selectorILNS1_17partition_subalgoE3EjNS0_10empty_typeEbEEZZNS1_14partition_implILS8_3ELb0ES6_jNS0_17counting_iteratorIjlEEPS9_SE_NS0_5tupleIJPjSE_EEENSF_IJSE_SE_EEES9_SG_JZNS1_25segmented_radix_sort_implINS0_14default_configELb0EPK6__halfPSL_PKlPlN2at6native12_GLOBAL__N_18offset_tEEE10hipError_tPvRmT1_PNSt15iterator_traitsISZ_E10value_typeET2_T3_PNS10_IS15_E10value_typeET4_jRbjT5_S1B_jjP12ihipStream_tbEUljE_EEESW_SX_SY_S15_S19_S1B_T6_T7_T9_mT8_S1D_bDpT10_ENKUlT_T0_E_clISt17integral_constantIbLb0EES1Q_EEDaS1L_S1M_EUlS1L_E_NS1_11comp_targetILNS1_3genE0ELNS1_11target_archE4294967295ELNS1_3gpuE0ELNS1_3repE0EEENS1_30default_config_static_selectorELNS0_4arch9wavefront6targetE1EEEvSZ_.num_named_barrier, 0
	.set _ZN7rocprim17ROCPRIM_400000_NS6detail17trampoline_kernelINS0_13select_configILj256ELj13ELNS0_17block_load_methodE3ELS4_3ELS4_3ELNS0_20block_scan_algorithmE0ELj4294967295EEENS1_25partition_config_selectorILNS1_17partition_subalgoE3EjNS0_10empty_typeEbEEZZNS1_14partition_implILS8_3ELb0ES6_jNS0_17counting_iteratorIjlEEPS9_SE_NS0_5tupleIJPjSE_EEENSF_IJSE_SE_EEES9_SG_JZNS1_25segmented_radix_sort_implINS0_14default_configELb0EPK6__halfPSL_PKlPlN2at6native12_GLOBAL__N_18offset_tEEE10hipError_tPvRmT1_PNSt15iterator_traitsISZ_E10value_typeET2_T3_PNS10_IS15_E10value_typeET4_jRbjT5_S1B_jjP12ihipStream_tbEUljE_EEESW_SX_SY_S15_S19_S1B_T6_T7_T9_mT8_S1D_bDpT10_ENKUlT_T0_E_clISt17integral_constantIbLb0EES1Q_EEDaS1L_S1M_EUlS1L_E_NS1_11comp_targetILNS1_3genE0ELNS1_11target_archE4294967295ELNS1_3gpuE0ELNS1_3repE0EEENS1_30default_config_static_selectorELNS0_4arch9wavefront6targetE1EEEvSZ_.private_seg_size, 0
	.set _ZN7rocprim17ROCPRIM_400000_NS6detail17trampoline_kernelINS0_13select_configILj256ELj13ELNS0_17block_load_methodE3ELS4_3ELS4_3ELNS0_20block_scan_algorithmE0ELj4294967295EEENS1_25partition_config_selectorILNS1_17partition_subalgoE3EjNS0_10empty_typeEbEEZZNS1_14partition_implILS8_3ELb0ES6_jNS0_17counting_iteratorIjlEEPS9_SE_NS0_5tupleIJPjSE_EEENSF_IJSE_SE_EEES9_SG_JZNS1_25segmented_radix_sort_implINS0_14default_configELb0EPK6__halfPSL_PKlPlN2at6native12_GLOBAL__N_18offset_tEEE10hipError_tPvRmT1_PNSt15iterator_traitsISZ_E10value_typeET2_T3_PNS10_IS15_E10value_typeET4_jRbjT5_S1B_jjP12ihipStream_tbEUljE_EEESW_SX_SY_S15_S19_S1B_T6_T7_T9_mT8_S1D_bDpT10_ENKUlT_T0_E_clISt17integral_constantIbLb0EES1Q_EEDaS1L_S1M_EUlS1L_E_NS1_11comp_targetILNS1_3genE0ELNS1_11target_archE4294967295ELNS1_3gpuE0ELNS1_3repE0EEENS1_30default_config_static_selectorELNS0_4arch9wavefront6targetE1EEEvSZ_.uses_vcc, 0
	.set _ZN7rocprim17ROCPRIM_400000_NS6detail17trampoline_kernelINS0_13select_configILj256ELj13ELNS0_17block_load_methodE3ELS4_3ELS4_3ELNS0_20block_scan_algorithmE0ELj4294967295EEENS1_25partition_config_selectorILNS1_17partition_subalgoE3EjNS0_10empty_typeEbEEZZNS1_14partition_implILS8_3ELb0ES6_jNS0_17counting_iteratorIjlEEPS9_SE_NS0_5tupleIJPjSE_EEENSF_IJSE_SE_EEES9_SG_JZNS1_25segmented_radix_sort_implINS0_14default_configELb0EPK6__halfPSL_PKlPlN2at6native12_GLOBAL__N_18offset_tEEE10hipError_tPvRmT1_PNSt15iterator_traitsISZ_E10value_typeET2_T3_PNS10_IS15_E10value_typeET4_jRbjT5_S1B_jjP12ihipStream_tbEUljE_EEESW_SX_SY_S15_S19_S1B_T6_T7_T9_mT8_S1D_bDpT10_ENKUlT_T0_E_clISt17integral_constantIbLb0EES1Q_EEDaS1L_S1M_EUlS1L_E_NS1_11comp_targetILNS1_3genE0ELNS1_11target_archE4294967295ELNS1_3gpuE0ELNS1_3repE0EEENS1_30default_config_static_selectorELNS0_4arch9wavefront6targetE1EEEvSZ_.uses_flat_scratch, 0
	.set _ZN7rocprim17ROCPRIM_400000_NS6detail17trampoline_kernelINS0_13select_configILj256ELj13ELNS0_17block_load_methodE3ELS4_3ELS4_3ELNS0_20block_scan_algorithmE0ELj4294967295EEENS1_25partition_config_selectorILNS1_17partition_subalgoE3EjNS0_10empty_typeEbEEZZNS1_14partition_implILS8_3ELb0ES6_jNS0_17counting_iteratorIjlEEPS9_SE_NS0_5tupleIJPjSE_EEENSF_IJSE_SE_EEES9_SG_JZNS1_25segmented_radix_sort_implINS0_14default_configELb0EPK6__halfPSL_PKlPlN2at6native12_GLOBAL__N_18offset_tEEE10hipError_tPvRmT1_PNSt15iterator_traitsISZ_E10value_typeET2_T3_PNS10_IS15_E10value_typeET4_jRbjT5_S1B_jjP12ihipStream_tbEUljE_EEESW_SX_SY_S15_S19_S1B_T6_T7_T9_mT8_S1D_bDpT10_ENKUlT_T0_E_clISt17integral_constantIbLb0EES1Q_EEDaS1L_S1M_EUlS1L_E_NS1_11comp_targetILNS1_3genE0ELNS1_11target_archE4294967295ELNS1_3gpuE0ELNS1_3repE0EEENS1_30default_config_static_selectorELNS0_4arch9wavefront6targetE1EEEvSZ_.has_dyn_sized_stack, 0
	.set _ZN7rocprim17ROCPRIM_400000_NS6detail17trampoline_kernelINS0_13select_configILj256ELj13ELNS0_17block_load_methodE3ELS4_3ELS4_3ELNS0_20block_scan_algorithmE0ELj4294967295EEENS1_25partition_config_selectorILNS1_17partition_subalgoE3EjNS0_10empty_typeEbEEZZNS1_14partition_implILS8_3ELb0ES6_jNS0_17counting_iteratorIjlEEPS9_SE_NS0_5tupleIJPjSE_EEENSF_IJSE_SE_EEES9_SG_JZNS1_25segmented_radix_sort_implINS0_14default_configELb0EPK6__halfPSL_PKlPlN2at6native12_GLOBAL__N_18offset_tEEE10hipError_tPvRmT1_PNSt15iterator_traitsISZ_E10value_typeET2_T3_PNS10_IS15_E10value_typeET4_jRbjT5_S1B_jjP12ihipStream_tbEUljE_EEESW_SX_SY_S15_S19_S1B_T6_T7_T9_mT8_S1D_bDpT10_ENKUlT_T0_E_clISt17integral_constantIbLb0EES1Q_EEDaS1L_S1M_EUlS1L_E_NS1_11comp_targetILNS1_3genE0ELNS1_11target_archE4294967295ELNS1_3gpuE0ELNS1_3repE0EEENS1_30default_config_static_selectorELNS0_4arch9wavefront6targetE1EEEvSZ_.has_recursion, 0
	.set _ZN7rocprim17ROCPRIM_400000_NS6detail17trampoline_kernelINS0_13select_configILj256ELj13ELNS0_17block_load_methodE3ELS4_3ELS4_3ELNS0_20block_scan_algorithmE0ELj4294967295EEENS1_25partition_config_selectorILNS1_17partition_subalgoE3EjNS0_10empty_typeEbEEZZNS1_14partition_implILS8_3ELb0ES6_jNS0_17counting_iteratorIjlEEPS9_SE_NS0_5tupleIJPjSE_EEENSF_IJSE_SE_EEES9_SG_JZNS1_25segmented_radix_sort_implINS0_14default_configELb0EPK6__halfPSL_PKlPlN2at6native12_GLOBAL__N_18offset_tEEE10hipError_tPvRmT1_PNSt15iterator_traitsISZ_E10value_typeET2_T3_PNS10_IS15_E10value_typeET4_jRbjT5_S1B_jjP12ihipStream_tbEUljE_EEESW_SX_SY_S15_S19_S1B_T6_T7_T9_mT8_S1D_bDpT10_ENKUlT_T0_E_clISt17integral_constantIbLb0EES1Q_EEDaS1L_S1M_EUlS1L_E_NS1_11comp_targetILNS1_3genE0ELNS1_11target_archE4294967295ELNS1_3gpuE0ELNS1_3repE0EEENS1_30default_config_static_selectorELNS0_4arch9wavefront6targetE1EEEvSZ_.has_indirect_call, 0
	.section	.AMDGPU.csdata,"",@progbits
; Kernel info:
; codeLenInByte = 0
; TotalNumSgprs: 4
; NumVgprs: 0
; ScratchSize: 0
; MemoryBound: 0
; FloatMode: 240
; IeeeMode: 1
; LDSByteSize: 0 bytes/workgroup (compile time only)
; SGPRBlocks: 0
; VGPRBlocks: 0
; NumSGPRsForWavesPerEU: 4
; NumVGPRsForWavesPerEU: 1
; Occupancy: 10
; WaveLimiterHint : 0
; COMPUTE_PGM_RSRC2:SCRATCH_EN: 0
; COMPUTE_PGM_RSRC2:USER_SGPR: 6
; COMPUTE_PGM_RSRC2:TRAP_HANDLER: 0
; COMPUTE_PGM_RSRC2:TGID_X_EN: 1
; COMPUTE_PGM_RSRC2:TGID_Y_EN: 0
; COMPUTE_PGM_RSRC2:TGID_Z_EN: 0
; COMPUTE_PGM_RSRC2:TIDIG_COMP_CNT: 0
	.section	.text._ZN7rocprim17ROCPRIM_400000_NS6detail17trampoline_kernelINS0_13select_configILj256ELj13ELNS0_17block_load_methodE3ELS4_3ELS4_3ELNS0_20block_scan_algorithmE0ELj4294967295EEENS1_25partition_config_selectorILNS1_17partition_subalgoE3EjNS0_10empty_typeEbEEZZNS1_14partition_implILS8_3ELb0ES6_jNS0_17counting_iteratorIjlEEPS9_SE_NS0_5tupleIJPjSE_EEENSF_IJSE_SE_EEES9_SG_JZNS1_25segmented_radix_sort_implINS0_14default_configELb0EPK6__halfPSL_PKlPlN2at6native12_GLOBAL__N_18offset_tEEE10hipError_tPvRmT1_PNSt15iterator_traitsISZ_E10value_typeET2_T3_PNS10_IS15_E10value_typeET4_jRbjT5_S1B_jjP12ihipStream_tbEUljE_EEESW_SX_SY_S15_S19_S1B_T6_T7_T9_mT8_S1D_bDpT10_ENKUlT_T0_E_clISt17integral_constantIbLb0EES1Q_EEDaS1L_S1M_EUlS1L_E_NS1_11comp_targetILNS1_3genE5ELNS1_11target_archE942ELNS1_3gpuE9ELNS1_3repE0EEENS1_30default_config_static_selectorELNS0_4arch9wavefront6targetE1EEEvSZ_,"axG",@progbits,_ZN7rocprim17ROCPRIM_400000_NS6detail17trampoline_kernelINS0_13select_configILj256ELj13ELNS0_17block_load_methodE3ELS4_3ELS4_3ELNS0_20block_scan_algorithmE0ELj4294967295EEENS1_25partition_config_selectorILNS1_17partition_subalgoE3EjNS0_10empty_typeEbEEZZNS1_14partition_implILS8_3ELb0ES6_jNS0_17counting_iteratorIjlEEPS9_SE_NS0_5tupleIJPjSE_EEENSF_IJSE_SE_EEES9_SG_JZNS1_25segmented_radix_sort_implINS0_14default_configELb0EPK6__halfPSL_PKlPlN2at6native12_GLOBAL__N_18offset_tEEE10hipError_tPvRmT1_PNSt15iterator_traitsISZ_E10value_typeET2_T3_PNS10_IS15_E10value_typeET4_jRbjT5_S1B_jjP12ihipStream_tbEUljE_EEESW_SX_SY_S15_S19_S1B_T6_T7_T9_mT8_S1D_bDpT10_ENKUlT_T0_E_clISt17integral_constantIbLb0EES1Q_EEDaS1L_S1M_EUlS1L_E_NS1_11comp_targetILNS1_3genE5ELNS1_11target_archE942ELNS1_3gpuE9ELNS1_3repE0EEENS1_30default_config_static_selectorELNS0_4arch9wavefront6targetE1EEEvSZ_,comdat
	.globl	_ZN7rocprim17ROCPRIM_400000_NS6detail17trampoline_kernelINS0_13select_configILj256ELj13ELNS0_17block_load_methodE3ELS4_3ELS4_3ELNS0_20block_scan_algorithmE0ELj4294967295EEENS1_25partition_config_selectorILNS1_17partition_subalgoE3EjNS0_10empty_typeEbEEZZNS1_14partition_implILS8_3ELb0ES6_jNS0_17counting_iteratorIjlEEPS9_SE_NS0_5tupleIJPjSE_EEENSF_IJSE_SE_EEES9_SG_JZNS1_25segmented_radix_sort_implINS0_14default_configELb0EPK6__halfPSL_PKlPlN2at6native12_GLOBAL__N_18offset_tEEE10hipError_tPvRmT1_PNSt15iterator_traitsISZ_E10value_typeET2_T3_PNS10_IS15_E10value_typeET4_jRbjT5_S1B_jjP12ihipStream_tbEUljE_EEESW_SX_SY_S15_S19_S1B_T6_T7_T9_mT8_S1D_bDpT10_ENKUlT_T0_E_clISt17integral_constantIbLb0EES1Q_EEDaS1L_S1M_EUlS1L_E_NS1_11comp_targetILNS1_3genE5ELNS1_11target_archE942ELNS1_3gpuE9ELNS1_3repE0EEENS1_30default_config_static_selectorELNS0_4arch9wavefront6targetE1EEEvSZ_ ; -- Begin function _ZN7rocprim17ROCPRIM_400000_NS6detail17trampoline_kernelINS0_13select_configILj256ELj13ELNS0_17block_load_methodE3ELS4_3ELS4_3ELNS0_20block_scan_algorithmE0ELj4294967295EEENS1_25partition_config_selectorILNS1_17partition_subalgoE3EjNS0_10empty_typeEbEEZZNS1_14partition_implILS8_3ELb0ES6_jNS0_17counting_iteratorIjlEEPS9_SE_NS0_5tupleIJPjSE_EEENSF_IJSE_SE_EEES9_SG_JZNS1_25segmented_radix_sort_implINS0_14default_configELb0EPK6__halfPSL_PKlPlN2at6native12_GLOBAL__N_18offset_tEEE10hipError_tPvRmT1_PNSt15iterator_traitsISZ_E10value_typeET2_T3_PNS10_IS15_E10value_typeET4_jRbjT5_S1B_jjP12ihipStream_tbEUljE_EEESW_SX_SY_S15_S19_S1B_T6_T7_T9_mT8_S1D_bDpT10_ENKUlT_T0_E_clISt17integral_constantIbLb0EES1Q_EEDaS1L_S1M_EUlS1L_E_NS1_11comp_targetILNS1_3genE5ELNS1_11target_archE942ELNS1_3gpuE9ELNS1_3repE0EEENS1_30default_config_static_selectorELNS0_4arch9wavefront6targetE1EEEvSZ_
	.p2align	8
	.type	_ZN7rocprim17ROCPRIM_400000_NS6detail17trampoline_kernelINS0_13select_configILj256ELj13ELNS0_17block_load_methodE3ELS4_3ELS4_3ELNS0_20block_scan_algorithmE0ELj4294967295EEENS1_25partition_config_selectorILNS1_17partition_subalgoE3EjNS0_10empty_typeEbEEZZNS1_14partition_implILS8_3ELb0ES6_jNS0_17counting_iteratorIjlEEPS9_SE_NS0_5tupleIJPjSE_EEENSF_IJSE_SE_EEES9_SG_JZNS1_25segmented_radix_sort_implINS0_14default_configELb0EPK6__halfPSL_PKlPlN2at6native12_GLOBAL__N_18offset_tEEE10hipError_tPvRmT1_PNSt15iterator_traitsISZ_E10value_typeET2_T3_PNS10_IS15_E10value_typeET4_jRbjT5_S1B_jjP12ihipStream_tbEUljE_EEESW_SX_SY_S15_S19_S1B_T6_T7_T9_mT8_S1D_bDpT10_ENKUlT_T0_E_clISt17integral_constantIbLb0EES1Q_EEDaS1L_S1M_EUlS1L_E_NS1_11comp_targetILNS1_3genE5ELNS1_11target_archE942ELNS1_3gpuE9ELNS1_3repE0EEENS1_30default_config_static_selectorELNS0_4arch9wavefront6targetE1EEEvSZ_,@function
_ZN7rocprim17ROCPRIM_400000_NS6detail17trampoline_kernelINS0_13select_configILj256ELj13ELNS0_17block_load_methodE3ELS4_3ELS4_3ELNS0_20block_scan_algorithmE0ELj4294967295EEENS1_25partition_config_selectorILNS1_17partition_subalgoE3EjNS0_10empty_typeEbEEZZNS1_14partition_implILS8_3ELb0ES6_jNS0_17counting_iteratorIjlEEPS9_SE_NS0_5tupleIJPjSE_EEENSF_IJSE_SE_EEES9_SG_JZNS1_25segmented_radix_sort_implINS0_14default_configELb0EPK6__halfPSL_PKlPlN2at6native12_GLOBAL__N_18offset_tEEE10hipError_tPvRmT1_PNSt15iterator_traitsISZ_E10value_typeET2_T3_PNS10_IS15_E10value_typeET4_jRbjT5_S1B_jjP12ihipStream_tbEUljE_EEESW_SX_SY_S15_S19_S1B_T6_T7_T9_mT8_S1D_bDpT10_ENKUlT_T0_E_clISt17integral_constantIbLb0EES1Q_EEDaS1L_S1M_EUlS1L_E_NS1_11comp_targetILNS1_3genE5ELNS1_11target_archE942ELNS1_3gpuE9ELNS1_3repE0EEENS1_30default_config_static_selectorELNS0_4arch9wavefront6targetE1EEEvSZ_: ; @_ZN7rocprim17ROCPRIM_400000_NS6detail17trampoline_kernelINS0_13select_configILj256ELj13ELNS0_17block_load_methodE3ELS4_3ELS4_3ELNS0_20block_scan_algorithmE0ELj4294967295EEENS1_25partition_config_selectorILNS1_17partition_subalgoE3EjNS0_10empty_typeEbEEZZNS1_14partition_implILS8_3ELb0ES6_jNS0_17counting_iteratorIjlEEPS9_SE_NS0_5tupleIJPjSE_EEENSF_IJSE_SE_EEES9_SG_JZNS1_25segmented_radix_sort_implINS0_14default_configELb0EPK6__halfPSL_PKlPlN2at6native12_GLOBAL__N_18offset_tEEE10hipError_tPvRmT1_PNSt15iterator_traitsISZ_E10value_typeET2_T3_PNS10_IS15_E10value_typeET4_jRbjT5_S1B_jjP12ihipStream_tbEUljE_EEESW_SX_SY_S15_S19_S1B_T6_T7_T9_mT8_S1D_bDpT10_ENKUlT_T0_E_clISt17integral_constantIbLb0EES1Q_EEDaS1L_S1M_EUlS1L_E_NS1_11comp_targetILNS1_3genE5ELNS1_11target_archE942ELNS1_3gpuE9ELNS1_3repE0EEENS1_30default_config_static_selectorELNS0_4arch9wavefront6targetE1EEEvSZ_
; %bb.0:
	.section	.rodata,"a",@progbits
	.p2align	6, 0x0
	.amdhsa_kernel _ZN7rocprim17ROCPRIM_400000_NS6detail17trampoline_kernelINS0_13select_configILj256ELj13ELNS0_17block_load_methodE3ELS4_3ELS4_3ELNS0_20block_scan_algorithmE0ELj4294967295EEENS1_25partition_config_selectorILNS1_17partition_subalgoE3EjNS0_10empty_typeEbEEZZNS1_14partition_implILS8_3ELb0ES6_jNS0_17counting_iteratorIjlEEPS9_SE_NS0_5tupleIJPjSE_EEENSF_IJSE_SE_EEES9_SG_JZNS1_25segmented_radix_sort_implINS0_14default_configELb0EPK6__halfPSL_PKlPlN2at6native12_GLOBAL__N_18offset_tEEE10hipError_tPvRmT1_PNSt15iterator_traitsISZ_E10value_typeET2_T3_PNS10_IS15_E10value_typeET4_jRbjT5_S1B_jjP12ihipStream_tbEUljE_EEESW_SX_SY_S15_S19_S1B_T6_T7_T9_mT8_S1D_bDpT10_ENKUlT_T0_E_clISt17integral_constantIbLb0EES1Q_EEDaS1L_S1M_EUlS1L_E_NS1_11comp_targetILNS1_3genE5ELNS1_11target_archE942ELNS1_3gpuE9ELNS1_3repE0EEENS1_30default_config_static_selectorELNS0_4arch9wavefront6targetE1EEEvSZ_
		.amdhsa_group_segment_fixed_size 0
		.amdhsa_private_segment_fixed_size 0
		.amdhsa_kernarg_size 144
		.amdhsa_user_sgpr_count 6
		.amdhsa_user_sgpr_private_segment_buffer 1
		.amdhsa_user_sgpr_dispatch_ptr 0
		.amdhsa_user_sgpr_queue_ptr 0
		.amdhsa_user_sgpr_kernarg_segment_ptr 1
		.amdhsa_user_sgpr_dispatch_id 0
		.amdhsa_user_sgpr_flat_scratch_init 0
		.amdhsa_user_sgpr_private_segment_size 0
		.amdhsa_uses_dynamic_stack 0
		.amdhsa_system_sgpr_private_segment_wavefront_offset 0
		.amdhsa_system_sgpr_workgroup_id_x 1
		.amdhsa_system_sgpr_workgroup_id_y 0
		.amdhsa_system_sgpr_workgroup_id_z 0
		.amdhsa_system_sgpr_workgroup_info 0
		.amdhsa_system_vgpr_workitem_id 0
		.amdhsa_next_free_vgpr 1
		.amdhsa_next_free_sgpr 0
		.amdhsa_reserve_vcc 0
		.amdhsa_reserve_flat_scratch 0
		.amdhsa_float_round_mode_32 0
		.amdhsa_float_round_mode_16_64 0
		.amdhsa_float_denorm_mode_32 3
		.amdhsa_float_denorm_mode_16_64 3
		.amdhsa_dx10_clamp 1
		.amdhsa_ieee_mode 1
		.amdhsa_fp16_overflow 0
		.amdhsa_exception_fp_ieee_invalid_op 0
		.amdhsa_exception_fp_denorm_src 0
		.amdhsa_exception_fp_ieee_div_zero 0
		.amdhsa_exception_fp_ieee_overflow 0
		.amdhsa_exception_fp_ieee_underflow 0
		.amdhsa_exception_fp_ieee_inexact 0
		.amdhsa_exception_int_div_zero 0
	.end_amdhsa_kernel
	.section	.text._ZN7rocprim17ROCPRIM_400000_NS6detail17trampoline_kernelINS0_13select_configILj256ELj13ELNS0_17block_load_methodE3ELS4_3ELS4_3ELNS0_20block_scan_algorithmE0ELj4294967295EEENS1_25partition_config_selectorILNS1_17partition_subalgoE3EjNS0_10empty_typeEbEEZZNS1_14partition_implILS8_3ELb0ES6_jNS0_17counting_iteratorIjlEEPS9_SE_NS0_5tupleIJPjSE_EEENSF_IJSE_SE_EEES9_SG_JZNS1_25segmented_radix_sort_implINS0_14default_configELb0EPK6__halfPSL_PKlPlN2at6native12_GLOBAL__N_18offset_tEEE10hipError_tPvRmT1_PNSt15iterator_traitsISZ_E10value_typeET2_T3_PNS10_IS15_E10value_typeET4_jRbjT5_S1B_jjP12ihipStream_tbEUljE_EEESW_SX_SY_S15_S19_S1B_T6_T7_T9_mT8_S1D_bDpT10_ENKUlT_T0_E_clISt17integral_constantIbLb0EES1Q_EEDaS1L_S1M_EUlS1L_E_NS1_11comp_targetILNS1_3genE5ELNS1_11target_archE942ELNS1_3gpuE9ELNS1_3repE0EEENS1_30default_config_static_selectorELNS0_4arch9wavefront6targetE1EEEvSZ_,"axG",@progbits,_ZN7rocprim17ROCPRIM_400000_NS6detail17trampoline_kernelINS0_13select_configILj256ELj13ELNS0_17block_load_methodE3ELS4_3ELS4_3ELNS0_20block_scan_algorithmE0ELj4294967295EEENS1_25partition_config_selectorILNS1_17partition_subalgoE3EjNS0_10empty_typeEbEEZZNS1_14partition_implILS8_3ELb0ES6_jNS0_17counting_iteratorIjlEEPS9_SE_NS0_5tupleIJPjSE_EEENSF_IJSE_SE_EEES9_SG_JZNS1_25segmented_radix_sort_implINS0_14default_configELb0EPK6__halfPSL_PKlPlN2at6native12_GLOBAL__N_18offset_tEEE10hipError_tPvRmT1_PNSt15iterator_traitsISZ_E10value_typeET2_T3_PNS10_IS15_E10value_typeET4_jRbjT5_S1B_jjP12ihipStream_tbEUljE_EEESW_SX_SY_S15_S19_S1B_T6_T7_T9_mT8_S1D_bDpT10_ENKUlT_T0_E_clISt17integral_constantIbLb0EES1Q_EEDaS1L_S1M_EUlS1L_E_NS1_11comp_targetILNS1_3genE5ELNS1_11target_archE942ELNS1_3gpuE9ELNS1_3repE0EEENS1_30default_config_static_selectorELNS0_4arch9wavefront6targetE1EEEvSZ_,comdat
.Lfunc_end1811:
	.size	_ZN7rocprim17ROCPRIM_400000_NS6detail17trampoline_kernelINS0_13select_configILj256ELj13ELNS0_17block_load_methodE3ELS4_3ELS4_3ELNS0_20block_scan_algorithmE0ELj4294967295EEENS1_25partition_config_selectorILNS1_17partition_subalgoE3EjNS0_10empty_typeEbEEZZNS1_14partition_implILS8_3ELb0ES6_jNS0_17counting_iteratorIjlEEPS9_SE_NS0_5tupleIJPjSE_EEENSF_IJSE_SE_EEES9_SG_JZNS1_25segmented_radix_sort_implINS0_14default_configELb0EPK6__halfPSL_PKlPlN2at6native12_GLOBAL__N_18offset_tEEE10hipError_tPvRmT1_PNSt15iterator_traitsISZ_E10value_typeET2_T3_PNS10_IS15_E10value_typeET4_jRbjT5_S1B_jjP12ihipStream_tbEUljE_EEESW_SX_SY_S15_S19_S1B_T6_T7_T9_mT8_S1D_bDpT10_ENKUlT_T0_E_clISt17integral_constantIbLb0EES1Q_EEDaS1L_S1M_EUlS1L_E_NS1_11comp_targetILNS1_3genE5ELNS1_11target_archE942ELNS1_3gpuE9ELNS1_3repE0EEENS1_30default_config_static_selectorELNS0_4arch9wavefront6targetE1EEEvSZ_, .Lfunc_end1811-_ZN7rocprim17ROCPRIM_400000_NS6detail17trampoline_kernelINS0_13select_configILj256ELj13ELNS0_17block_load_methodE3ELS4_3ELS4_3ELNS0_20block_scan_algorithmE0ELj4294967295EEENS1_25partition_config_selectorILNS1_17partition_subalgoE3EjNS0_10empty_typeEbEEZZNS1_14partition_implILS8_3ELb0ES6_jNS0_17counting_iteratorIjlEEPS9_SE_NS0_5tupleIJPjSE_EEENSF_IJSE_SE_EEES9_SG_JZNS1_25segmented_radix_sort_implINS0_14default_configELb0EPK6__halfPSL_PKlPlN2at6native12_GLOBAL__N_18offset_tEEE10hipError_tPvRmT1_PNSt15iterator_traitsISZ_E10value_typeET2_T3_PNS10_IS15_E10value_typeET4_jRbjT5_S1B_jjP12ihipStream_tbEUljE_EEESW_SX_SY_S15_S19_S1B_T6_T7_T9_mT8_S1D_bDpT10_ENKUlT_T0_E_clISt17integral_constantIbLb0EES1Q_EEDaS1L_S1M_EUlS1L_E_NS1_11comp_targetILNS1_3genE5ELNS1_11target_archE942ELNS1_3gpuE9ELNS1_3repE0EEENS1_30default_config_static_selectorELNS0_4arch9wavefront6targetE1EEEvSZ_
                                        ; -- End function
	.set _ZN7rocprim17ROCPRIM_400000_NS6detail17trampoline_kernelINS0_13select_configILj256ELj13ELNS0_17block_load_methodE3ELS4_3ELS4_3ELNS0_20block_scan_algorithmE0ELj4294967295EEENS1_25partition_config_selectorILNS1_17partition_subalgoE3EjNS0_10empty_typeEbEEZZNS1_14partition_implILS8_3ELb0ES6_jNS0_17counting_iteratorIjlEEPS9_SE_NS0_5tupleIJPjSE_EEENSF_IJSE_SE_EEES9_SG_JZNS1_25segmented_radix_sort_implINS0_14default_configELb0EPK6__halfPSL_PKlPlN2at6native12_GLOBAL__N_18offset_tEEE10hipError_tPvRmT1_PNSt15iterator_traitsISZ_E10value_typeET2_T3_PNS10_IS15_E10value_typeET4_jRbjT5_S1B_jjP12ihipStream_tbEUljE_EEESW_SX_SY_S15_S19_S1B_T6_T7_T9_mT8_S1D_bDpT10_ENKUlT_T0_E_clISt17integral_constantIbLb0EES1Q_EEDaS1L_S1M_EUlS1L_E_NS1_11comp_targetILNS1_3genE5ELNS1_11target_archE942ELNS1_3gpuE9ELNS1_3repE0EEENS1_30default_config_static_selectorELNS0_4arch9wavefront6targetE1EEEvSZ_.num_vgpr, 0
	.set _ZN7rocprim17ROCPRIM_400000_NS6detail17trampoline_kernelINS0_13select_configILj256ELj13ELNS0_17block_load_methodE3ELS4_3ELS4_3ELNS0_20block_scan_algorithmE0ELj4294967295EEENS1_25partition_config_selectorILNS1_17partition_subalgoE3EjNS0_10empty_typeEbEEZZNS1_14partition_implILS8_3ELb0ES6_jNS0_17counting_iteratorIjlEEPS9_SE_NS0_5tupleIJPjSE_EEENSF_IJSE_SE_EEES9_SG_JZNS1_25segmented_radix_sort_implINS0_14default_configELb0EPK6__halfPSL_PKlPlN2at6native12_GLOBAL__N_18offset_tEEE10hipError_tPvRmT1_PNSt15iterator_traitsISZ_E10value_typeET2_T3_PNS10_IS15_E10value_typeET4_jRbjT5_S1B_jjP12ihipStream_tbEUljE_EEESW_SX_SY_S15_S19_S1B_T6_T7_T9_mT8_S1D_bDpT10_ENKUlT_T0_E_clISt17integral_constantIbLb0EES1Q_EEDaS1L_S1M_EUlS1L_E_NS1_11comp_targetILNS1_3genE5ELNS1_11target_archE942ELNS1_3gpuE9ELNS1_3repE0EEENS1_30default_config_static_selectorELNS0_4arch9wavefront6targetE1EEEvSZ_.num_agpr, 0
	.set _ZN7rocprim17ROCPRIM_400000_NS6detail17trampoline_kernelINS0_13select_configILj256ELj13ELNS0_17block_load_methodE3ELS4_3ELS4_3ELNS0_20block_scan_algorithmE0ELj4294967295EEENS1_25partition_config_selectorILNS1_17partition_subalgoE3EjNS0_10empty_typeEbEEZZNS1_14partition_implILS8_3ELb0ES6_jNS0_17counting_iteratorIjlEEPS9_SE_NS0_5tupleIJPjSE_EEENSF_IJSE_SE_EEES9_SG_JZNS1_25segmented_radix_sort_implINS0_14default_configELb0EPK6__halfPSL_PKlPlN2at6native12_GLOBAL__N_18offset_tEEE10hipError_tPvRmT1_PNSt15iterator_traitsISZ_E10value_typeET2_T3_PNS10_IS15_E10value_typeET4_jRbjT5_S1B_jjP12ihipStream_tbEUljE_EEESW_SX_SY_S15_S19_S1B_T6_T7_T9_mT8_S1D_bDpT10_ENKUlT_T0_E_clISt17integral_constantIbLb0EES1Q_EEDaS1L_S1M_EUlS1L_E_NS1_11comp_targetILNS1_3genE5ELNS1_11target_archE942ELNS1_3gpuE9ELNS1_3repE0EEENS1_30default_config_static_selectorELNS0_4arch9wavefront6targetE1EEEvSZ_.numbered_sgpr, 0
	.set _ZN7rocprim17ROCPRIM_400000_NS6detail17trampoline_kernelINS0_13select_configILj256ELj13ELNS0_17block_load_methodE3ELS4_3ELS4_3ELNS0_20block_scan_algorithmE0ELj4294967295EEENS1_25partition_config_selectorILNS1_17partition_subalgoE3EjNS0_10empty_typeEbEEZZNS1_14partition_implILS8_3ELb0ES6_jNS0_17counting_iteratorIjlEEPS9_SE_NS0_5tupleIJPjSE_EEENSF_IJSE_SE_EEES9_SG_JZNS1_25segmented_radix_sort_implINS0_14default_configELb0EPK6__halfPSL_PKlPlN2at6native12_GLOBAL__N_18offset_tEEE10hipError_tPvRmT1_PNSt15iterator_traitsISZ_E10value_typeET2_T3_PNS10_IS15_E10value_typeET4_jRbjT5_S1B_jjP12ihipStream_tbEUljE_EEESW_SX_SY_S15_S19_S1B_T6_T7_T9_mT8_S1D_bDpT10_ENKUlT_T0_E_clISt17integral_constantIbLb0EES1Q_EEDaS1L_S1M_EUlS1L_E_NS1_11comp_targetILNS1_3genE5ELNS1_11target_archE942ELNS1_3gpuE9ELNS1_3repE0EEENS1_30default_config_static_selectorELNS0_4arch9wavefront6targetE1EEEvSZ_.num_named_barrier, 0
	.set _ZN7rocprim17ROCPRIM_400000_NS6detail17trampoline_kernelINS0_13select_configILj256ELj13ELNS0_17block_load_methodE3ELS4_3ELS4_3ELNS0_20block_scan_algorithmE0ELj4294967295EEENS1_25partition_config_selectorILNS1_17partition_subalgoE3EjNS0_10empty_typeEbEEZZNS1_14partition_implILS8_3ELb0ES6_jNS0_17counting_iteratorIjlEEPS9_SE_NS0_5tupleIJPjSE_EEENSF_IJSE_SE_EEES9_SG_JZNS1_25segmented_radix_sort_implINS0_14default_configELb0EPK6__halfPSL_PKlPlN2at6native12_GLOBAL__N_18offset_tEEE10hipError_tPvRmT1_PNSt15iterator_traitsISZ_E10value_typeET2_T3_PNS10_IS15_E10value_typeET4_jRbjT5_S1B_jjP12ihipStream_tbEUljE_EEESW_SX_SY_S15_S19_S1B_T6_T7_T9_mT8_S1D_bDpT10_ENKUlT_T0_E_clISt17integral_constantIbLb0EES1Q_EEDaS1L_S1M_EUlS1L_E_NS1_11comp_targetILNS1_3genE5ELNS1_11target_archE942ELNS1_3gpuE9ELNS1_3repE0EEENS1_30default_config_static_selectorELNS0_4arch9wavefront6targetE1EEEvSZ_.private_seg_size, 0
	.set _ZN7rocprim17ROCPRIM_400000_NS6detail17trampoline_kernelINS0_13select_configILj256ELj13ELNS0_17block_load_methodE3ELS4_3ELS4_3ELNS0_20block_scan_algorithmE0ELj4294967295EEENS1_25partition_config_selectorILNS1_17partition_subalgoE3EjNS0_10empty_typeEbEEZZNS1_14partition_implILS8_3ELb0ES6_jNS0_17counting_iteratorIjlEEPS9_SE_NS0_5tupleIJPjSE_EEENSF_IJSE_SE_EEES9_SG_JZNS1_25segmented_radix_sort_implINS0_14default_configELb0EPK6__halfPSL_PKlPlN2at6native12_GLOBAL__N_18offset_tEEE10hipError_tPvRmT1_PNSt15iterator_traitsISZ_E10value_typeET2_T3_PNS10_IS15_E10value_typeET4_jRbjT5_S1B_jjP12ihipStream_tbEUljE_EEESW_SX_SY_S15_S19_S1B_T6_T7_T9_mT8_S1D_bDpT10_ENKUlT_T0_E_clISt17integral_constantIbLb0EES1Q_EEDaS1L_S1M_EUlS1L_E_NS1_11comp_targetILNS1_3genE5ELNS1_11target_archE942ELNS1_3gpuE9ELNS1_3repE0EEENS1_30default_config_static_selectorELNS0_4arch9wavefront6targetE1EEEvSZ_.uses_vcc, 0
	.set _ZN7rocprim17ROCPRIM_400000_NS6detail17trampoline_kernelINS0_13select_configILj256ELj13ELNS0_17block_load_methodE3ELS4_3ELS4_3ELNS0_20block_scan_algorithmE0ELj4294967295EEENS1_25partition_config_selectorILNS1_17partition_subalgoE3EjNS0_10empty_typeEbEEZZNS1_14partition_implILS8_3ELb0ES6_jNS0_17counting_iteratorIjlEEPS9_SE_NS0_5tupleIJPjSE_EEENSF_IJSE_SE_EEES9_SG_JZNS1_25segmented_radix_sort_implINS0_14default_configELb0EPK6__halfPSL_PKlPlN2at6native12_GLOBAL__N_18offset_tEEE10hipError_tPvRmT1_PNSt15iterator_traitsISZ_E10value_typeET2_T3_PNS10_IS15_E10value_typeET4_jRbjT5_S1B_jjP12ihipStream_tbEUljE_EEESW_SX_SY_S15_S19_S1B_T6_T7_T9_mT8_S1D_bDpT10_ENKUlT_T0_E_clISt17integral_constantIbLb0EES1Q_EEDaS1L_S1M_EUlS1L_E_NS1_11comp_targetILNS1_3genE5ELNS1_11target_archE942ELNS1_3gpuE9ELNS1_3repE0EEENS1_30default_config_static_selectorELNS0_4arch9wavefront6targetE1EEEvSZ_.uses_flat_scratch, 0
	.set _ZN7rocprim17ROCPRIM_400000_NS6detail17trampoline_kernelINS0_13select_configILj256ELj13ELNS0_17block_load_methodE3ELS4_3ELS4_3ELNS0_20block_scan_algorithmE0ELj4294967295EEENS1_25partition_config_selectorILNS1_17partition_subalgoE3EjNS0_10empty_typeEbEEZZNS1_14partition_implILS8_3ELb0ES6_jNS0_17counting_iteratorIjlEEPS9_SE_NS0_5tupleIJPjSE_EEENSF_IJSE_SE_EEES9_SG_JZNS1_25segmented_radix_sort_implINS0_14default_configELb0EPK6__halfPSL_PKlPlN2at6native12_GLOBAL__N_18offset_tEEE10hipError_tPvRmT1_PNSt15iterator_traitsISZ_E10value_typeET2_T3_PNS10_IS15_E10value_typeET4_jRbjT5_S1B_jjP12ihipStream_tbEUljE_EEESW_SX_SY_S15_S19_S1B_T6_T7_T9_mT8_S1D_bDpT10_ENKUlT_T0_E_clISt17integral_constantIbLb0EES1Q_EEDaS1L_S1M_EUlS1L_E_NS1_11comp_targetILNS1_3genE5ELNS1_11target_archE942ELNS1_3gpuE9ELNS1_3repE0EEENS1_30default_config_static_selectorELNS0_4arch9wavefront6targetE1EEEvSZ_.has_dyn_sized_stack, 0
	.set _ZN7rocprim17ROCPRIM_400000_NS6detail17trampoline_kernelINS0_13select_configILj256ELj13ELNS0_17block_load_methodE3ELS4_3ELS4_3ELNS0_20block_scan_algorithmE0ELj4294967295EEENS1_25partition_config_selectorILNS1_17partition_subalgoE3EjNS0_10empty_typeEbEEZZNS1_14partition_implILS8_3ELb0ES6_jNS0_17counting_iteratorIjlEEPS9_SE_NS0_5tupleIJPjSE_EEENSF_IJSE_SE_EEES9_SG_JZNS1_25segmented_radix_sort_implINS0_14default_configELb0EPK6__halfPSL_PKlPlN2at6native12_GLOBAL__N_18offset_tEEE10hipError_tPvRmT1_PNSt15iterator_traitsISZ_E10value_typeET2_T3_PNS10_IS15_E10value_typeET4_jRbjT5_S1B_jjP12ihipStream_tbEUljE_EEESW_SX_SY_S15_S19_S1B_T6_T7_T9_mT8_S1D_bDpT10_ENKUlT_T0_E_clISt17integral_constantIbLb0EES1Q_EEDaS1L_S1M_EUlS1L_E_NS1_11comp_targetILNS1_3genE5ELNS1_11target_archE942ELNS1_3gpuE9ELNS1_3repE0EEENS1_30default_config_static_selectorELNS0_4arch9wavefront6targetE1EEEvSZ_.has_recursion, 0
	.set _ZN7rocprim17ROCPRIM_400000_NS6detail17trampoline_kernelINS0_13select_configILj256ELj13ELNS0_17block_load_methodE3ELS4_3ELS4_3ELNS0_20block_scan_algorithmE0ELj4294967295EEENS1_25partition_config_selectorILNS1_17partition_subalgoE3EjNS0_10empty_typeEbEEZZNS1_14partition_implILS8_3ELb0ES6_jNS0_17counting_iteratorIjlEEPS9_SE_NS0_5tupleIJPjSE_EEENSF_IJSE_SE_EEES9_SG_JZNS1_25segmented_radix_sort_implINS0_14default_configELb0EPK6__halfPSL_PKlPlN2at6native12_GLOBAL__N_18offset_tEEE10hipError_tPvRmT1_PNSt15iterator_traitsISZ_E10value_typeET2_T3_PNS10_IS15_E10value_typeET4_jRbjT5_S1B_jjP12ihipStream_tbEUljE_EEESW_SX_SY_S15_S19_S1B_T6_T7_T9_mT8_S1D_bDpT10_ENKUlT_T0_E_clISt17integral_constantIbLb0EES1Q_EEDaS1L_S1M_EUlS1L_E_NS1_11comp_targetILNS1_3genE5ELNS1_11target_archE942ELNS1_3gpuE9ELNS1_3repE0EEENS1_30default_config_static_selectorELNS0_4arch9wavefront6targetE1EEEvSZ_.has_indirect_call, 0
	.section	.AMDGPU.csdata,"",@progbits
; Kernel info:
; codeLenInByte = 0
; TotalNumSgprs: 4
; NumVgprs: 0
; ScratchSize: 0
; MemoryBound: 0
; FloatMode: 240
; IeeeMode: 1
; LDSByteSize: 0 bytes/workgroup (compile time only)
; SGPRBlocks: 0
; VGPRBlocks: 0
; NumSGPRsForWavesPerEU: 4
; NumVGPRsForWavesPerEU: 1
; Occupancy: 10
; WaveLimiterHint : 0
; COMPUTE_PGM_RSRC2:SCRATCH_EN: 0
; COMPUTE_PGM_RSRC2:USER_SGPR: 6
; COMPUTE_PGM_RSRC2:TRAP_HANDLER: 0
; COMPUTE_PGM_RSRC2:TGID_X_EN: 1
; COMPUTE_PGM_RSRC2:TGID_Y_EN: 0
; COMPUTE_PGM_RSRC2:TGID_Z_EN: 0
; COMPUTE_PGM_RSRC2:TIDIG_COMP_CNT: 0
	.section	.text._ZN7rocprim17ROCPRIM_400000_NS6detail17trampoline_kernelINS0_13select_configILj256ELj13ELNS0_17block_load_methodE3ELS4_3ELS4_3ELNS0_20block_scan_algorithmE0ELj4294967295EEENS1_25partition_config_selectorILNS1_17partition_subalgoE3EjNS0_10empty_typeEbEEZZNS1_14partition_implILS8_3ELb0ES6_jNS0_17counting_iteratorIjlEEPS9_SE_NS0_5tupleIJPjSE_EEENSF_IJSE_SE_EEES9_SG_JZNS1_25segmented_radix_sort_implINS0_14default_configELb0EPK6__halfPSL_PKlPlN2at6native12_GLOBAL__N_18offset_tEEE10hipError_tPvRmT1_PNSt15iterator_traitsISZ_E10value_typeET2_T3_PNS10_IS15_E10value_typeET4_jRbjT5_S1B_jjP12ihipStream_tbEUljE_EEESW_SX_SY_S15_S19_S1B_T6_T7_T9_mT8_S1D_bDpT10_ENKUlT_T0_E_clISt17integral_constantIbLb0EES1Q_EEDaS1L_S1M_EUlS1L_E_NS1_11comp_targetILNS1_3genE4ELNS1_11target_archE910ELNS1_3gpuE8ELNS1_3repE0EEENS1_30default_config_static_selectorELNS0_4arch9wavefront6targetE1EEEvSZ_,"axG",@progbits,_ZN7rocprim17ROCPRIM_400000_NS6detail17trampoline_kernelINS0_13select_configILj256ELj13ELNS0_17block_load_methodE3ELS4_3ELS4_3ELNS0_20block_scan_algorithmE0ELj4294967295EEENS1_25partition_config_selectorILNS1_17partition_subalgoE3EjNS0_10empty_typeEbEEZZNS1_14partition_implILS8_3ELb0ES6_jNS0_17counting_iteratorIjlEEPS9_SE_NS0_5tupleIJPjSE_EEENSF_IJSE_SE_EEES9_SG_JZNS1_25segmented_radix_sort_implINS0_14default_configELb0EPK6__halfPSL_PKlPlN2at6native12_GLOBAL__N_18offset_tEEE10hipError_tPvRmT1_PNSt15iterator_traitsISZ_E10value_typeET2_T3_PNS10_IS15_E10value_typeET4_jRbjT5_S1B_jjP12ihipStream_tbEUljE_EEESW_SX_SY_S15_S19_S1B_T6_T7_T9_mT8_S1D_bDpT10_ENKUlT_T0_E_clISt17integral_constantIbLb0EES1Q_EEDaS1L_S1M_EUlS1L_E_NS1_11comp_targetILNS1_3genE4ELNS1_11target_archE910ELNS1_3gpuE8ELNS1_3repE0EEENS1_30default_config_static_selectorELNS0_4arch9wavefront6targetE1EEEvSZ_,comdat
	.globl	_ZN7rocprim17ROCPRIM_400000_NS6detail17trampoline_kernelINS0_13select_configILj256ELj13ELNS0_17block_load_methodE3ELS4_3ELS4_3ELNS0_20block_scan_algorithmE0ELj4294967295EEENS1_25partition_config_selectorILNS1_17partition_subalgoE3EjNS0_10empty_typeEbEEZZNS1_14partition_implILS8_3ELb0ES6_jNS0_17counting_iteratorIjlEEPS9_SE_NS0_5tupleIJPjSE_EEENSF_IJSE_SE_EEES9_SG_JZNS1_25segmented_radix_sort_implINS0_14default_configELb0EPK6__halfPSL_PKlPlN2at6native12_GLOBAL__N_18offset_tEEE10hipError_tPvRmT1_PNSt15iterator_traitsISZ_E10value_typeET2_T3_PNS10_IS15_E10value_typeET4_jRbjT5_S1B_jjP12ihipStream_tbEUljE_EEESW_SX_SY_S15_S19_S1B_T6_T7_T9_mT8_S1D_bDpT10_ENKUlT_T0_E_clISt17integral_constantIbLb0EES1Q_EEDaS1L_S1M_EUlS1L_E_NS1_11comp_targetILNS1_3genE4ELNS1_11target_archE910ELNS1_3gpuE8ELNS1_3repE0EEENS1_30default_config_static_selectorELNS0_4arch9wavefront6targetE1EEEvSZ_ ; -- Begin function _ZN7rocprim17ROCPRIM_400000_NS6detail17trampoline_kernelINS0_13select_configILj256ELj13ELNS0_17block_load_methodE3ELS4_3ELS4_3ELNS0_20block_scan_algorithmE0ELj4294967295EEENS1_25partition_config_selectorILNS1_17partition_subalgoE3EjNS0_10empty_typeEbEEZZNS1_14partition_implILS8_3ELb0ES6_jNS0_17counting_iteratorIjlEEPS9_SE_NS0_5tupleIJPjSE_EEENSF_IJSE_SE_EEES9_SG_JZNS1_25segmented_radix_sort_implINS0_14default_configELb0EPK6__halfPSL_PKlPlN2at6native12_GLOBAL__N_18offset_tEEE10hipError_tPvRmT1_PNSt15iterator_traitsISZ_E10value_typeET2_T3_PNS10_IS15_E10value_typeET4_jRbjT5_S1B_jjP12ihipStream_tbEUljE_EEESW_SX_SY_S15_S19_S1B_T6_T7_T9_mT8_S1D_bDpT10_ENKUlT_T0_E_clISt17integral_constantIbLb0EES1Q_EEDaS1L_S1M_EUlS1L_E_NS1_11comp_targetILNS1_3genE4ELNS1_11target_archE910ELNS1_3gpuE8ELNS1_3repE0EEENS1_30default_config_static_selectorELNS0_4arch9wavefront6targetE1EEEvSZ_
	.p2align	8
	.type	_ZN7rocprim17ROCPRIM_400000_NS6detail17trampoline_kernelINS0_13select_configILj256ELj13ELNS0_17block_load_methodE3ELS4_3ELS4_3ELNS0_20block_scan_algorithmE0ELj4294967295EEENS1_25partition_config_selectorILNS1_17partition_subalgoE3EjNS0_10empty_typeEbEEZZNS1_14partition_implILS8_3ELb0ES6_jNS0_17counting_iteratorIjlEEPS9_SE_NS0_5tupleIJPjSE_EEENSF_IJSE_SE_EEES9_SG_JZNS1_25segmented_radix_sort_implINS0_14default_configELb0EPK6__halfPSL_PKlPlN2at6native12_GLOBAL__N_18offset_tEEE10hipError_tPvRmT1_PNSt15iterator_traitsISZ_E10value_typeET2_T3_PNS10_IS15_E10value_typeET4_jRbjT5_S1B_jjP12ihipStream_tbEUljE_EEESW_SX_SY_S15_S19_S1B_T6_T7_T9_mT8_S1D_bDpT10_ENKUlT_T0_E_clISt17integral_constantIbLb0EES1Q_EEDaS1L_S1M_EUlS1L_E_NS1_11comp_targetILNS1_3genE4ELNS1_11target_archE910ELNS1_3gpuE8ELNS1_3repE0EEENS1_30default_config_static_selectorELNS0_4arch9wavefront6targetE1EEEvSZ_,@function
_ZN7rocprim17ROCPRIM_400000_NS6detail17trampoline_kernelINS0_13select_configILj256ELj13ELNS0_17block_load_methodE3ELS4_3ELS4_3ELNS0_20block_scan_algorithmE0ELj4294967295EEENS1_25partition_config_selectorILNS1_17partition_subalgoE3EjNS0_10empty_typeEbEEZZNS1_14partition_implILS8_3ELb0ES6_jNS0_17counting_iteratorIjlEEPS9_SE_NS0_5tupleIJPjSE_EEENSF_IJSE_SE_EEES9_SG_JZNS1_25segmented_radix_sort_implINS0_14default_configELb0EPK6__halfPSL_PKlPlN2at6native12_GLOBAL__N_18offset_tEEE10hipError_tPvRmT1_PNSt15iterator_traitsISZ_E10value_typeET2_T3_PNS10_IS15_E10value_typeET4_jRbjT5_S1B_jjP12ihipStream_tbEUljE_EEESW_SX_SY_S15_S19_S1B_T6_T7_T9_mT8_S1D_bDpT10_ENKUlT_T0_E_clISt17integral_constantIbLb0EES1Q_EEDaS1L_S1M_EUlS1L_E_NS1_11comp_targetILNS1_3genE4ELNS1_11target_archE910ELNS1_3gpuE8ELNS1_3repE0EEENS1_30default_config_static_selectorELNS0_4arch9wavefront6targetE1EEEvSZ_: ; @_ZN7rocprim17ROCPRIM_400000_NS6detail17trampoline_kernelINS0_13select_configILj256ELj13ELNS0_17block_load_methodE3ELS4_3ELS4_3ELNS0_20block_scan_algorithmE0ELj4294967295EEENS1_25partition_config_selectorILNS1_17partition_subalgoE3EjNS0_10empty_typeEbEEZZNS1_14partition_implILS8_3ELb0ES6_jNS0_17counting_iteratorIjlEEPS9_SE_NS0_5tupleIJPjSE_EEENSF_IJSE_SE_EEES9_SG_JZNS1_25segmented_radix_sort_implINS0_14default_configELb0EPK6__halfPSL_PKlPlN2at6native12_GLOBAL__N_18offset_tEEE10hipError_tPvRmT1_PNSt15iterator_traitsISZ_E10value_typeET2_T3_PNS10_IS15_E10value_typeET4_jRbjT5_S1B_jjP12ihipStream_tbEUljE_EEESW_SX_SY_S15_S19_S1B_T6_T7_T9_mT8_S1D_bDpT10_ENKUlT_T0_E_clISt17integral_constantIbLb0EES1Q_EEDaS1L_S1M_EUlS1L_E_NS1_11comp_targetILNS1_3genE4ELNS1_11target_archE910ELNS1_3gpuE8ELNS1_3repE0EEENS1_30default_config_static_selectorELNS0_4arch9wavefront6targetE1EEEvSZ_
; %bb.0:
	.section	.rodata,"a",@progbits
	.p2align	6, 0x0
	.amdhsa_kernel _ZN7rocprim17ROCPRIM_400000_NS6detail17trampoline_kernelINS0_13select_configILj256ELj13ELNS0_17block_load_methodE3ELS4_3ELS4_3ELNS0_20block_scan_algorithmE0ELj4294967295EEENS1_25partition_config_selectorILNS1_17partition_subalgoE3EjNS0_10empty_typeEbEEZZNS1_14partition_implILS8_3ELb0ES6_jNS0_17counting_iteratorIjlEEPS9_SE_NS0_5tupleIJPjSE_EEENSF_IJSE_SE_EEES9_SG_JZNS1_25segmented_radix_sort_implINS0_14default_configELb0EPK6__halfPSL_PKlPlN2at6native12_GLOBAL__N_18offset_tEEE10hipError_tPvRmT1_PNSt15iterator_traitsISZ_E10value_typeET2_T3_PNS10_IS15_E10value_typeET4_jRbjT5_S1B_jjP12ihipStream_tbEUljE_EEESW_SX_SY_S15_S19_S1B_T6_T7_T9_mT8_S1D_bDpT10_ENKUlT_T0_E_clISt17integral_constantIbLb0EES1Q_EEDaS1L_S1M_EUlS1L_E_NS1_11comp_targetILNS1_3genE4ELNS1_11target_archE910ELNS1_3gpuE8ELNS1_3repE0EEENS1_30default_config_static_selectorELNS0_4arch9wavefront6targetE1EEEvSZ_
		.amdhsa_group_segment_fixed_size 0
		.amdhsa_private_segment_fixed_size 0
		.amdhsa_kernarg_size 144
		.amdhsa_user_sgpr_count 6
		.amdhsa_user_sgpr_private_segment_buffer 1
		.amdhsa_user_sgpr_dispatch_ptr 0
		.amdhsa_user_sgpr_queue_ptr 0
		.amdhsa_user_sgpr_kernarg_segment_ptr 1
		.amdhsa_user_sgpr_dispatch_id 0
		.amdhsa_user_sgpr_flat_scratch_init 0
		.amdhsa_user_sgpr_private_segment_size 0
		.amdhsa_uses_dynamic_stack 0
		.amdhsa_system_sgpr_private_segment_wavefront_offset 0
		.amdhsa_system_sgpr_workgroup_id_x 1
		.amdhsa_system_sgpr_workgroup_id_y 0
		.amdhsa_system_sgpr_workgroup_id_z 0
		.amdhsa_system_sgpr_workgroup_info 0
		.amdhsa_system_vgpr_workitem_id 0
		.amdhsa_next_free_vgpr 1
		.amdhsa_next_free_sgpr 0
		.amdhsa_reserve_vcc 0
		.amdhsa_reserve_flat_scratch 0
		.amdhsa_float_round_mode_32 0
		.amdhsa_float_round_mode_16_64 0
		.amdhsa_float_denorm_mode_32 3
		.amdhsa_float_denorm_mode_16_64 3
		.amdhsa_dx10_clamp 1
		.amdhsa_ieee_mode 1
		.amdhsa_fp16_overflow 0
		.amdhsa_exception_fp_ieee_invalid_op 0
		.amdhsa_exception_fp_denorm_src 0
		.amdhsa_exception_fp_ieee_div_zero 0
		.amdhsa_exception_fp_ieee_overflow 0
		.amdhsa_exception_fp_ieee_underflow 0
		.amdhsa_exception_fp_ieee_inexact 0
		.amdhsa_exception_int_div_zero 0
	.end_amdhsa_kernel
	.section	.text._ZN7rocprim17ROCPRIM_400000_NS6detail17trampoline_kernelINS0_13select_configILj256ELj13ELNS0_17block_load_methodE3ELS4_3ELS4_3ELNS0_20block_scan_algorithmE0ELj4294967295EEENS1_25partition_config_selectorILNS1_17partition_subalgoE3EjNS0_10empty_typeEbEEZZNS1_14partition_implILS8_3ELb0ES6_jNS0_17counting_iteratorIjlEEPS9_SE_NS0_5tupleIJPjSE_EEENSF_IJSE_SE_EEES9_SG_JZNS1_25segmented_radix_sort_implINS0_14default_configELb0EPK6__halfPSL_PKlPlN2at6native12_GLOBAL__N_18offset_tEEE10hipError_tPvRmT1_PNSt15iterator_traitsISZ_E10value_typeET2_T3_PNS10_IS15_E10value_typeET4_jRbjT5_S1B_jjP12ihipStream_tbEUljE_EEESW_SX_SY_S15_S19_S1B_T6_T7_T9_mT8_S1D_bDpT10_ENKUlT_T0_E_clISt17integral_constantIbLb0EES1Q_EEDaS1L_S1M_EUlS1L_E_NS1_11comp_targetILNS1_3genE4ELNS1_11target_archE910ELNS1_3gpuE8ELNS1_3repE0EEENS1_30default_config_static_selectorELNS0_4arch9wavefront6targetE1EEEvSZ_,"axG",@progbits,_ZN7rocprim17ROCPRIM_400000_NS6detail17trampoline_kernelINS0_13select_configILj256ELj13ELNS0_17block_load_methodE3ELS4_3ELS4_3ELNS0_20block_scan_algorithmE0ELj4294967295EEENS1_25partition_config_selectorILNS1_17partition_subalgoE3EjNS0_10empty_typeEbEEZZNS1_14partition_implILS8_3ELb0ES6_jNS0_17counting_iteratorIjlEEPS9_SE_NS0_5tupleIJPjSE_EEENSF_IJSE_SE_EEES9_SG_JZNS1_25segmented_radix_sort_implINS0_14default_configELb0EPK6__halfPSL_PKlPlN2at6native12_GLOBAL__N_18offset_tEEE10hipError_tPvRmT1_PNSt15iterator_traitsISZ_E10value_typeET2_T3_PNS10_IS15_E10value_typeET4_jRbjT5_S1B_jjP12ihipStream_tbEUljE_EEESW_SX_SY_S15_S19_S1B_T6_T7_T9_mT8_S1D_bDpT10_ENKUlT_T0_E_clISt17integral_constantIbLb0EES1Q_EEDaS1L_S1M_EUlS1L_E_NS1_11comp_targetILNS1_3genE4ELNS1_11target_archE910ELNS1_3gpuE8ELNS1_3repE0EEENS1_30default_config_static_selectorELNS0_4arch9wavefront6targetE1EEEvSZ_,comdat
.Lfunc_end1812:
	.size	_ZN7rocprim17ROCPRIM_400000_NS6detail17trampoline_kernelINS0_13select_configILj256ELj13ELNS0_17block_load_methodE3ELS4_3ELS4_3ELNS0_20block_scan_algorithmE0ELj4294967295EEENS1_25partition_config_selectorILNS1_17partition_subalgoE3EjNS0_10empty_typeEbEEZZNS1_14partition_implILS8_3ELb0ES6_jNS0_17counting_iteratorIjlEEPS9_SE_NS0_5tupleIJPjSE_EEENSF_IJSE_SE_EEES9_SG_JZNS1_25segmented_radix_sort_implINS0_14default_configELb0EPK6__halfPSL_PKlPlN2at6native12_GLOBAL__N_18offset_tEEE10hipError_tPvRmT1_PNSt15iterator_traitsISZ_E10value_typeET2_T3_PNS10_IS15_E10value_typeET4_jRbjT5_S1B_jjP12ihipStream_tbEUljE_EEESW_SX_SY_S15_S19_S1B_T6_T7_T9_mT8_S1D_bDpT10_ENKUlT_T0_E_clISt17integral_constantIbLb0EES1Q_EEDaS1L_S1M_EUlS1L_E_NS1_11comp_targetILNS1_3genE4ELNS1_11target_archE910ELNS1_3gpuE8ELNS1_3repE0EEENS1_30default_config_static_selectorELNS0_4arch9wavefront6targetE1EEEvSZ_, .Lfunc_end1812-_ZN7rocprim17ROCPRIM_400000_NS6detail17trampoline_kernelINS0_13select_configILj256ELj13ELNS0_17block_load_methodE3ELS4_3ELS4_3ELNS0_20block_scan_algorithmE0ELj4294967295EEENS1_25partition_config_selectorILNS1_17partition_subalgoE3EjNS0_10empty_typeEbEEZZNS1_14partition_implILS8_3ELb0ES6_jNS0_17counting_iteratorIjlEEPS9_SE_NS0_5tupleIJPjSE_EEENSF_IJSE_SE_EEES9_SG_JZNS1_25segmented_radix_sort_implINS0_14default_configELb0EPK6__halfPSL_PKlPlN2at6native12_GLOBAL__N_18offset_tEEE10hipError_tPvRmT1_PNSt15iterator_traitsISZ_E10value_typeET2_T3_PNS10_IS15_E10value_typeET4_jRbjT5_S1B_jjP12ihipStream_tbEUljE_EEESW_SX_SY_S15_S19_S1B_T6_T7_T9_mT8_S1D_bDpT10_ENKUlT_T0_E_clISt17integral_constantIbLb0EES1Q_EEDaS1L_S1M_EUlS1L_E_NS1_11comp_targetILNS1_3genE4ELNS1_11target_archE910ELNS1_3gpuE8ELNS1_3repE0EEENS1_30default_config_static_selectorELNS0_4arch9wavefront6targetE1EEEvSZ_
                                        ; -- End function
	.set _ZN7rocprim17ROCPRIM_400000_NS6detail17trampoline_kernelINS0_13select_configILj256ELj13ELNS0_17block_load_methodE3ELS4_3ELS4_3ELNS0_20block_scan_algorithmE0ELj4294967295EEENS1_25partition_config_selectorILNS1_17partition_subalgoE3EjNS0_10empty_typeEbEEZZNS1_14partition_implILS8_3ELb0ES6_jNS0_17counting_iteratorIjlEEPS9_SE_NS0_5tupleIJPjSE_EEENSF_IJSE_SE_EEES9_SG_JZNS1_25segmented_radix_sort_implINS0_14default_configELb0EPK6__halfPSL_PKlPlN2at6native12_GLOBAL__N_18offset_tEEE10hipError_tPvRmT1_PNSt15iterator_traitsISZ_E10value_typeET2_T3_PNS10_IS15_E10value_typeET4_jRbjT5_S1B_jjP12ihipStream_tbEUljE_EEESW_SX_SY_S15_S19_S1B_T6_T7_T9_mT8_S1D_bDpT10_ENKUlT_T0_E_clISt17integral_constantIbLb0EES1Q_EEDaS1L_S1M_EUlS1L_E_NS1_11comp_targetILNS1_3genE4ELNS1_11target_archE910ELNS1_3gpuE8ELNS1_3repE0EEENS1_30default_config_static_selectorELNS0_4arch9wavefront6targetE1EEEvSZ_.num_vgpr, 0
	.set _ZN7rocprim17ROCPRIM_400000_NS6detail17trampoline_kernelINS0_13select_configILj256ELj13ELNS0_17block_load_methodE3ELS4_3ELS4_3ELNS0_20block_scan_algorithmE0ELj4294967295EEENS1_25partition_config_selectorILNS1_17partition_subalgoE3EjNS0_10empty_typeEbEEZZNS1_14partition_implILS8_3ELb0ES6_jNS0_17counting_iteratorIjlEEPS9_SE_NS0_5tupleIJPjSE_EEENSF_IJSE_SE_EEES9_SG_JZNS1_25segmented_radix_sort_implINS0_14default_configELb0EPK6__halfPSL_PKlPlN2at6native12_GLOBAL__N_18offset_tEEE10hipError_tPvRmT1_PNSt15iterator_traitsISZ_E10value_typeET2_T3_PNS10_IS15_E10value_typeET4_jRbjT5_S1B_jjP12ihipStream_tbEUljE_EEESW_SX_SY_S15_S19_S1B_T6_T7_T9_mT8_S1D_bDpT10_ENKUlT_T0_E_clISt17integral_constantIbLb0EES1Q_EEDaS1L_S1M_EUlS1L_E_NS1_11comp_targetILNS1_3genE4ELNS1_11target_archE910ELNS1_3gpuE8ELNS1_3repE0EEENS1_30default_config_static_selectorELNS0_4arch9wavefront6targetE1EEEvSZ_.num_agpr, 0
	.set _ZN7rocprim17ROCPRIM_400000_NS6detail17trampoline_kernelINS0_13select_configILj256ELj13ELNS0_17block_load_methodE3ELS4_3ELS4_3ELNS0_20block_scan_algorithmE0ELj4294967295EEENS1_25partition_config_selectorILNS1_17partition_subalgoE3EjNS0_10empty_typeEbEEZZNS1_14partition_implILS8_3ELb0ES6_jNS0_17counting_iteratorIjlEEPS9_SE_NS0_5tupleIJPjSE_EEENSF_IJSE_SE_EEES9_SG_JZNS1_25segmented_radix_sort_implINS0_14default_configELb0EPK6__halfPSL_PKlPlN2at6native12_GLOBAL__N_18offset_tEEE10hipError_tPvRmT1_PNSt15iterator_traitsISZ_E10value_typeET2_T3_PNS10_IS15_E10value_typeET4_jRbjT5_S1B_jjP12ihipStream_tbEUljE_EEESW_SX_SY_S15_S19_S1B_T6_T7_T9_mT8_S1D_bDpT10_ENKUlT_T0_E_clISt17integral_constantIbLb0EES1Q_EEDaS1L_S1M_EUlS1L_E_NS1_11comp_targetILNS1_3genE4ELNS1_11target_archE910ELNS1_3gpuE8ELNS1_3repE0EEENS1_30default_config_static_selectorELNS0_4arch9wavefront6targetE1EEEvSZ_.numbered_sgpr, 0
	.set _ZN7rocprim17ROCPRIM_400000_NS6detail17trampoline_kernelINS0_13select_configILj256ELj13ELNS0_17block_load_methodE3ELS4_3ELS4_3ELNS0_20block_scan_algorithmE0ELj4294967295EEENS1_25partition_config_selectorILNS1_17partition_subalgoE3EjNS0_10empty_typeEbEEZZNS1_14partition_implILS8_3ELb0ES6_jNS0_17counting_iteratorIjlEEPS9_SE_NS0_5tupleIJPjSE_EEENSF_IJSE_SE_EEES9_SG_JZNS1_25segmented_radix_sort_implINS0_14default_configELb0EPK6__halfPSL_PKlPlN2at6native12_GLOBAL__N_18offset_tEEE10hipError_tPvRmT1_PNSt15iterator_traitsISZ_E10value_typeET2_T3_PNS10_IS15_E10value_typeET4_jRbjT5_S1B_jjP12ihipStream_tbEUljE_EEESW_SX_SY_S15_S19_S1B_T6_T7_T9_mT8_S1D_bDpT10_ENKUlT_T0_E_clISt17integral_constantIbLb0EES1Q_EEDaS1L_S1M_EUlS1L_E_NS1_11comp_targetILNS1_3genE4ELNS1_11target_archE910ELNS1_3gpuE8ELNS1_3repE0EEENS1_30default_config_static_selectorELNS0_4arch9wavefront6targetE1EEEvSZ_.num_named_barrier, 0
	.set _ZN7rocprim17ROCPRIM_400000_NS6detail17trampoline_kernelINS0_13select_configILj256ELj13ELNS0_17block_load_methodE3ELS4_3ELS4_3ELNS0_20block_scan_algorithmE0ELj4294967295EEENS1_25partition_config_selectorILNS1_17partition_subalgoE3EjNS0_10empty_typeEbEEZZNS1_14partition_implILS8_3ELb0ES6_jNS0_17counting_iteratorIjlEEPS9_SE_NS0_5tupleIJPjSE_EEENSF_IJSE_SE_EEES9_SG_JZNS1_25segmented_radix_sort_implINS0_14default_configELb0EPK6__halfPSL_PKlPlN2at6native12_GLOBAL__N_18offset_tEEE10hipError_tPvRmT1_PNSt15iterator_traitsISZ_E10value_typeET2_T3_PNS10_IS15_E10value_typeET4_jRbjT5_S1B_jjP12ihipStream_tbEUljE_EEESW_SX_SY_S15_S19_S1B_T6_T7_T9_mT8_S1D_bDpT10_ENKUlT_T0_E_clISt17integral_constantIbLb0EES1Q_EEDaS1L_S1M_EUlS1L_E_NS1_11comp_targetILNS1_3genE4ELNS1_11target_archE910ELNS1_3gpuE8ELNS1_3repE0EEENS1_30default_config_static_selectorELNS0_4arch9wavefront6targetE1EEEvSZ_.private_seg_size, 0
	.set _ZN7rocprim17ROCPRIM_400000_NS6detail17trampoline_kernelINS0_13select_configILj256ELj13ELNS0_17block_load_methodE3ELS4_3ELS4_3ELNS0_20block_scan_algorithmE0ELj4294967295EEENS1_25partition_config_selectorILNS1_17partition_subalgoE3EjNS0_10empty_typeEbEEZZNS1_14partition_implILS8_3ELb0ES6_jNS0_17counting_iteratorIjlEEPS9_SE_NS0_5tupleIJPjSE_EEENSF_IJSE_SE_EEES9_SG_JZNS1_25segmented_radix_sort_implINS0_14default_configELb0EPK6__halfPSL_PKlPlN2at6native12_GLOBAL__N_18offset_tEEE10hipError_tPvRmT1_PNSt15iterator_traitsISZ_E10value_typeET2_T3_PNS10_IS15_E10value_typeET4_jRbjT5_S1B_jjP12ihipStream_tbEUljE_EEESW_SX_SY_S15_S19_S1B_T6_T7_T9_mT8_S1D_bDpT10_ENKUlT_T0_E_clISt17integral_constantIbLb0EES1Q_EEDaS1L_S1M_EUlS1L_E_NS1_11comp_targetILNS1_3genE4ELNS1_11target_archE910ELNS1_3gpuE8ELNS1_3repE0EEENS1_30default_config_static_selectorELNS0_4arch9wavefront6targetE1EEEvSZ_.uses_vcc, 0
	.set _ZN7rocprim17ROCPRIM_400000_NS6detail17trampoline_kernelINS0_13select_configILj256ELj13ELNS0_17block_load_methodE3ELS4_3ELS4_3ELNS0_20block_scan_algorithmE0ELj4294967295EEENS1_25partition_config_selectorILNS1_17partition_subalgoE3EjNS0_10empty_typeEbEEZZNS1_14partition_implILS8_3ELb0ES6_jNS0_17counting_iteratorIjlEEPS9_SE_NS0_5tupleIJPjSE_EEENSF_IJSE_SE_EEES9_SG_JZNS1_25segmented_radix_sort_implINS0_14default_configELb0EPK6__halfPSL_PKlPlN2at6native12_GLOBAL__N_18offset_tEEE10hipError_tPvRmT1_PNSt15iterator_traitsISZ_E10value_typeET2_T3_PNS10_IS15_E10value_typeET4_jRbjT5_S1B_jjP12ihipStream_tbEUljE_EEESW_SX_SY_S15_S19_S1B_T6_T7_T9_mT8_S1D_bDpT10_ENKUlT_T0_E_clISt17integral_constantIbLb0EES1Q_EEDaS1L_S1M_EUlS1L_E_NS1_11comp_targetILNS1_3genE4ELNS1_11target_archE910ELNS1_3gpuE8ELNS1_3repE0EEENS1_30default_config_static_selectorELNS0_4arch9wavefront6targetE1EEEvSZ_.uses_flat_scratch, 0
	.set _ZN7rocprim17ROCPRIM_400000_NS6detail17trampoline_kernelINS0_13select_configILj256ELj13ELNS0_17block_load_methodE3ELS4_3ELS4_3ELNS0_20block_scan_algorithmE0ELj4294967295EEENS1_25partition_config_selectorILNS1_17partition_subalgoE3EjNS0_10empty_typeEbEEZZNS1_14partition_implILS8_3ELb0ES6_jNS0_17counting_iteratorIjlEEPS9_SE_NS0_5tupleIJPjSE_EEENSF_IJSE_SE_EEES9_SG_JZNS1_25segmented_radix_sort_implINS0_14default_configELb0EPK6__halfPSL_PKlPlN2at6native12_GLOBAL__N_18offset_tEEE10hipError_tPvRmT1_PNSt15iterator_traitsISZ_E10value_typeET2_T3_PNS10_IS15_E10value_typeET4_jRbjT5_S1B_jjP12ihipStream_tbEUljE_EEESW_SX_SY_S15_S19_S1B_T6_T7_T9_mT8_S1D_bDpT10_ENKUlT_T0_E_clISt17integral_constantIbLb0EES1Q_EEDaS1L_S1M_EUlS1L_E_NS1_11comp_targetILNS1_3genE4ELNS1_11target_archE910ELNS1_3gpuE8ELNS1_3repE0EEENS1_30default_config_static_selectorELNS0_4arch9wavefront6targetE1EEEvSZ_.has_dyn_sized_stack, 0
	.set _ZN7rocprim17ROCPRIM_400000_NS6detail17trampoline_kernelINS0_13select_configILj256ELj13ELNS0_17block_load_methodE3ELS4_3ELS4_3ELNS0_20block_scan_algorithmE0ELj4294967295EEENS1_25partition_config_selectorILNS1_17partition_subalgoE3EjNS0_10empty_typeEbEEZZNS1_14partition_implILS8_3ELb0ES6_jNS0_17counting_iteratorIjlEEPS9_SE_NS0_5tupleIJPjSE_EEENSF_IJSE_SE_EEES9_SG_JZNS1_25segmented_radix_sort_implINS0_14default_configELb0EPK6__halfPSL_PKlPlN2at6native12_GLOBAL__N_18offset_tEEE10hipError_tPvRmT1_PNSt15iterator_traitsISZ_E10value_typeET2_T3_PNS10_IS15_E10value_typeET4_jRbjT5_S1B_jjP12ihipStream_tbEUljE_EEESW_SX_SY_S15_S19_S1B_T6_T7_T9_mT8_S1D_bDpT10_ENKUlT_T0_E_clISt17integral_constantIbLb0EES1Q_EEDaS1L_S1M_EUlS1L_E_NS1_11comp_targetILNS1_3genE4ELNS1_11target_archE910ELNS1_3gpuE8ELNS1_3repE0EEENS1_30default_config_static_selectorELNS0_4arch9wavefront6targetE1EEEvSZ_.has_recursion, 0
	.set _ZN7rocprim17ROCPRIM_400000_NS6detail17trampoline_kernelINS0_13select_configILj256ELj13ELNS0_17block_load_methodE3ELS4_3ELS4_3ELNS0_20block_scan_algorithmE0ELj4294967295EEENS1_25partition_config_selectorILNS1_17partition_subalgoE3EjNS0_10empty_typeEbEEZZNS1_14partition_implILS8_3ELb0ES6_jNS0_17counting_iteratorIjlEEPS9_SE_NS0_5tupleIJPjSE_EEENSF_IJSE_SE_EEES9_SG_JZNS1_25segmented_radix_sort_implINS0_14default_configELb0EPK6__halfPSL_PKlPlN2at6native12_GLOBAL__N_18offset_tEEE10hipError_tPvRmT1_PNSt15iterator_traitsISZ_E10value_typeET2_T3_PNS10_IS15_E10value_typeET4_jRbjT5_S1B_jjP12ihipStream_tbEUljE_EEESW_SX_SY_S15_S19_S1B_T6_T7_T9_mT8_S1D_bDpT10_ENKUlT_T0_E_clISt17integral_constantIbLb0EES1Q_EEDaS1L_S1M_EUlS1L_E_NS1_11comp_targetILNS1_3genE4ELNS1_11target_archE910ELNS1_3gpuE8ELNS1_3repE0EEENS1_30default_config_static_selectorELNS0_4arch9wavefront6targetE1EEEvSZ_.has_indirect_call, 0
	.section	.AMDGPU.csdata,"",@progbits
; Kernel info:
; codeLenInByte = 0
; TotalNumSgprs: 4
; NumVgprs: 0
; ScratchSize: 0
; MemoryBound: 0
; FloatMode: 240
; IeeeMode: 1
; LDSByteSize: 0 bytes/workgroup (compile time only)
; SGPRBlocks: 0
; VGPRBlocks: 0
; NumSGPRsForWavesPerEU: 4
; NumVGPRsForWavesPerEU: 1
; Occupancy: 10
; WaveLimiterHint : 0
; COMPUTE_PGM_RSRC2:SCRATCH_EN: 0
; COMPUTE_PGM_RSRC2:USER_SGPR: 6
; COMPUTE_PGM_RSRC2:TRAP_HANDLER: 0
; COMPUTE_PGM_RSRC2:TGID_X_EN: 1
; COMPUTE_PGM_RSRC2:TGID_Y_EN: 0
; COMPUTE_PGM_RSRC2:TGID_Z_EN: 0
; COMPUTE_PGM_RSRC2:TIDIG_COMP_CNT: 0
	.section	.text._ZN7rocprim17ROCPRIM_400000_NS6detail17trampoline_kernelINS0_13select_configILj256ELj13ELNS0_17block_load_methodE3ELS4_3ELS4_3ELNS0_20block_scan_algorithmE0ELj4294967295EEENS1_25partition_config_selectorILNS1_17partition_subalgoE3EjNS0_10empty_typeEbEEZZNS1_14partition_implILS8_3ELb0ES6_jNS0_17counting_iteratorIjlEEPS9_SE_NS0_5tupleIJPjSE_EEENSF_IJSE_SE_EEES9_SG_JZNS1_25segmented_radix_sort_implINS0_14default_configELb0EPK6__halfPSL_PKlPlN2at6native12_GLOBAL__N_18offset_tEEE10hipError_tPvRmT1_PNSt15iterator_traitsISZ_E10value_typeET2_T3_PNS10_IS15_E10value_typeET4_jRbjT5_S1B_jjP12ihipStream_tbEUljE_EEESW_SX_SY_S15_S19_S1B_T6_T7_T9_mT8_S1D_bDpT10_ENKUlT_T0_E_clISt17integral_constantIbLb0EES1Q_EEDaS1L_S1M_EUlS1L_E_NS1_11comp_targetILNS1_3genE3ELNS1_11target_archE908ELNS1_3gpuE7ELNS1_3repE0EEENS1_30default_config_static_selectorELNS0_4arch9wavefront6targetE1EEEvSZ_,"axG",@progbits,_ZN7rocprim17ROCPRIM_400000_NS6detail17trampoline_kernelINS0_13select_configILj256ELj13ELNS0_17block_load_methodE3ELS4_3ELS4_3ELNS0_20block_scan_algorithmE0ELj4294967295EEENS1_25partition_config_selectorILNS1_17partition_subalgoE3EjNS0_10empty_typeEbEEZZNS1_14partition_implILS8_3ELb0ES6_jNS0_17counting_iteratorIjlEEPS9_SE_NS0_5tupleIJPjSE_EEENSF_IJSE_SE_EEES9_SG_JZNS1_25segmented_radix_sort_implINS0_14default_configELb0EPK6__halfPSL_PKlPlN2at6native12_GLOBAL__N_18offset_tEEE10hipError_tPvRmT1_PNSt15iterator_traitsISZ_E10value_typeET2_T3_PNS10_IS15_E10value_typeET4_jRbjT5_S1B_jjP12ihipStream_tbEUljE_EEESW_SX_SY_S15_S19_S1B_T6_T7_T9_mT8_S1D_bDpT10_ENKUlT_T0_E_clISt17integral_constantIbLb0EES1Q_EEDaS1L_S1M_EUlS1L_E_NS1_11comp_targetILNS1_3genE3ELNS1_11target_archE908ELNS1_3gpuE7ELNS1_3repE0EEENS1_30default_config_static_selectorELNS0_4arch9wavefront6targetE1EEEvSZ_,comdat
	.globl	_ZN7rocprim17ROCPRIM_400000_NS6detail17trampoline_kernelINS0_13select_configILj256ELj13ELNS0_17block_load_methodE3ELS4_3ELS4_3ELNS0_20block_scan_algorithmE0ELj4294967295EEENS1_25partition_config_selectorILNS1_17partition_subalgoE3EjNS0_10empty_typeEbEEZZNS1_14partition_implILS8_3ELb0ES6_jNS0_17counting_iteratorIjlEEPS9_SE_NS0_5tupleIJPjSE_EEENSF_IJSE_SE_EEES9_SG_JZNS1_25segmented_radix_sort_implINS0_14default_configELb0EPK6__halfPSL_PKlPlN2at6native12_GLOBAL__N_18offset_tEEE10hipError_tPvRmT1_PNSt15iterator_traitsISZ_E10value_typeET2_T3_PNS10_IS15_E10value_typeET4_jRbjT5_S1B_jjP12ihipStream_tbEUljE_EEESW_SX_SY_S15_S19_S1B_T6_T7_T9_mT8_S1D_bDpT10_ENKUlT_T0_E_clISt17integral_constantIbLb0EES1Q_EEDaS1L_S1M_EUlS1L_E_NS1_11comp_targetILNS1_3genE3ELNS1_11target_archE908ELNS1_3gpuE7ELNS1_3repE0EEENS1_30default_config_static_selectorELNS0_4arch9wavefront6targetE1EEEvSZ_ ; -- Begin function _ZN7rocprim17ROCPRIM_400000_NS6detail17trampoline_kernelINS0_13select_configILj256ELj13ELNS0_17block_load_methodE3ELS4_3ELS4_3ELNS0_20block_scan_algorithmE0ELj4294967295EEENS1_25partition_config_selectorILNS1_17partition_subalgoE3EjNS0_10empty_typeEbEEZZNS1_14partition_implILS8_3ELb0ES6_jNS0_17counting_iteratorIjlEEPS9_SE_NS0_5tupleIJPjSE_EEENSF_IJSE_SE_EEES9_SG_JZNS1_25segmented_radix_sort_implINS0_14default_configELb0EPK6__halfPSL_PKlPlN2at6native12_GLOBAL__N_18offset_tEEE10hipError_tPvRmT1_PNSt15iterator_traitsISZ_E10value_typeET2_T3_PNS10_IS15_E10value_typeET4_jRbjT5_S1B_jjP12ihipStream_tbEUljE_EEESW_SX_SY_S15_S19_S1B_T6_T7_T9_mT8_S1D_bDpT10_ENKUlT_T0_E_clISt17integral_constantIbLb0EES1Q_EEDaS1L_S1M_EUlS1L_E_NS1_11comp_targetILNS1_3genE3ELNS1_11target_archE908ELNS1_3gpuE7ELNS1_3repE0EEENS1_30default_config_static_selectorELNS0_4arch9wavefront6targetE1EEEvSZ_
	.p2align	8
	.type	_ZN7rocprim17ROCPRIM_400000_NS6detail17trampoline_kernelINS0_13select_configILj256ELj13ELNS0_17block_load_methodE3ELS4_3ELS4_3ELNS0_20block_scan_algorithmE0ELj4294967295EEENS1_25partition_config_selectorILNS1_17partition_subalgoE3EjNS0_10empty_typeEbEEZZNS1_14partition_implILS8_3ELb0ES6_jNS0_17counting_iteratorIjlEEPS9_SE_NS0_5tupleIJPjSE_EEENSF_IJSE_SE_EEES9_SG_JZNS1_25segmented_radix_sort_implINS0_14default_configELb0EPK6__halfPSL_PKlPlN2at6native12_GLOBAL__N_18offset_tEEE10hipError_tPvRmT1_PNSt15iterator_traitsISZ_E10value_typeET2_T3_PNS10_IS15_E10value_typeET4_jRbjT5_S1B_jjP12ihipStream_tbEUljE_EEESW_SX_SY_S15_S19_S1B_T6_T7_T9_mT8_S1D_bDpT10_ENKUlT_T0_E_clISt17integral_constantIbLb0EES1Q_EEDaS1L_S1M_EUlS1L_E_NS1_11comp_targetILNS1_3genE3ELNS1_11target_archE908ELNS1_3gpuE7ELNS1_3repE0EEENS1_30default_config_static_selectorELNS0_4arch9wavefront6targetE1EEEvSZ_,@function
_ZN7rocprim17ROCPRIM_400000_NS6detail17trampoline_kernelINS0_13select_configILj256ELj13ELNS0_17block_load_methodE3ELS4_3ELS4_3ELNS0_20block_scan_algorithmE0ELj4294967295EEENS1_25partition_config_selectorILNS1_17partition_subalgoE3EjNS0_10empty_typeEbEEZZNS1_14partition_implILS8_3ELb0ES6_jNS0_17counting_iteratorIjlEEPS9_SE_NS0_5tupleIJPjSE_EEENSF_IJSE_SE_EEES9_SG_JZNS1_25segmented_radix_sort_implINS0_14default_configELb0EPK6__halfPSL_PKlPlN2at6native12_GLOBAL__N_18offset_tEEE10hipError_tPvRmT1_PNSt15iterator_traitsISZ_E10value_typeET2_T3_PNS10_IS15_E10value_typeET4_jRbjT5_S1B_jjP12ihipStream_tbEUljE_EEESW_SX_SY_S15_S19_S1B_T6_T7_T9_mT8_S1D_bDpT10_ENKUlT_T0_E_clISt17integral_constantIbLb0EES1Q_EEDaS1L_S1M_EUlS1L_E_NS1_11comp_targetILNS1_3genE3ELNS1_11target_archE908ELNS1_3gpuE7ELNS1_3repE0EEENS1_30default_config_static_selectorELNS0_4arch9wavefront6targetE1EEEvSZ_: ; @_ZN7rocprim17ROCPRIM_400000_NS6detail17trampoline_kernelINS0_13select_configILj256ELj13ELNS0_17block_load_methodE3ELS4_3ELS4_3ELNS0_20block_scan_algorithmE0ELj4294967295EEENS1_25partition_config_selectorILNS1_17partition_subalgoE3EjNS0_10empty_typeEbEEZZNS1_14partition_implILS8_3ELb0ES6_jNS0_17counting_iteratorIjlEEPS9_SE_NS0_5tupleIJPjSE_EEENSF_IJSE_SE_EEES9_SG_JZNS1_25segmented_radix_sort_implINS0_14default_configELb0EPK6__halfPSL_PKlPlN2at6native12_GLOBAL__N_18offset_tEEE10hipError_tPvRmT1_PNSt15iterator_traitsISZ_E10value_typeET2_T3_PNS10_IS15_E10value_typeET4_jRbjT5_S1B_jjP12ihipStream_tbEUljE_EEESW_SX_SY_S15_S19_S1B_T6_T7_T9_mT8_S1D_bDpT10_ENKUlT_T0_E_clISt17integral_constantIbLb0EES1Q_EEDaS1L_S1M_EUlS1L_E_NS1_11comp_targetILNS1_3genE3ELNS1_11target_archE908ELNS1_3gpuE7ELNS1_3repE0EEENS1_30default_config_static_selectorELNS0_4arch9wavefront6targetE1EEEvSZ_
; %bb.0:
	.section	.rodata,"a",@progbits
	.p2align	6, 0x0
	.amdhsa_kernel _ZN7rocprim17ROCPRIM_400000_NS6detail17trampoline_kernelINS0_13select_configILj256ELj13ELNS0_17block_load_methodE3ELS4_3ELS4_3ELNS0_20block_scan_algorithmE0ELj4294967295EEENS1_25partition_config_selectorILNS1_17partition_subalgoE3EjNS0_10empty_typeEbEEZZNS1_14partition_implILS8_3ELb0ES6_jNS0_17counting_iteratorIjlEEPS9_SE_NS0_5tupleIJPjSE_EEENSF_IJSE_SE_EEES9_SG_JZNS1_25segmented_radix_sort_implINS0_14default_configELb0EPK6__halfPSL_PKlPlN2at6native12_GLOBAL__N_18offset_tEEE10hipError_tPvRmT1_PNSt15iterator_traitsISZ_E10value_typeET2_T3_PNS10_IS15_E10value_typeET4_jRbjT5_S1B_jjP12ihipStream_tbEUljE_EEESW_SX_SY_S15_S19_S1B_T6_T7_T9_mT8_S1D_bDpT10_ENKUlT_T0_E_clISt17integral_constantIbLb0EES1Q_EEDaS1L_S1M_EUlS1L_E_NS1_11comp_targetILNS1_3genE3ELNS1_11target_archE908ELNS1_3gpuE7ELNS1_3repE0EEENS1_30default_config_static_selectorELNS0_4arch9wavefront6targetE1EEEvSZ_
		.amdhsa_group_segment_fixed_size 0
		.amdhsa_private_segment_fixed_size 0
		.amdhsa_kernarg_size 144
		.amdhsa_user_sgpr_count 6
		.amdhsa_user_sgpr_private_segment_buffer 1
		.amdhsa_user_sgpr_dispatch_ptr 0
		.amdhsa_user_sgpr_queue_ptr 0
		.amdhsa_user_sgpr_kernarg_segment_ptr 1
		.amdhsa_user_sgpr_dispatch_id 0
		.amdhsa_user_sgpr_flat_scratch_init 0
		.amdhsa_user_sgpr_private_segment_size 0
		.amdhsa_uses_dynamic_stack 0
		.amdhsa_system_sgpr_private_segment_wavefront_offset 0
		.amdhsa_system_sgpr_workgroup_id_x 1
		.amdhsa_system_sgpr_workgroup_id_y 0
		.amdhsa_system_sgpr_workgroup_id_z 0
		.amdhsa_system_sgpr_workgroup_info 0
		.amdhsa_system_vgpr_workitem_id 0
		.amdhsa_next_free_vgpr 1
		.amdhsa_next_free_sgpr 0
		.amdhsa_reserve_vcc 0
		.amdhsa_reserve_flat_scratch 0
		.amdhsa_float_round_mode_32 0
		.amdhsa_float_round_mode_16_64 0
		.amdhsa_float_denorm_mode_32 3
		.amdhsa_float_denorm_mode_16_64 3
		.amdhsa_dx10_clamp 1
		.amdhsa_ieee_mode 1
		.amdhsa_fp16_overflow 0
		.amdhsa_exception_fp_ieee_invalid_op 0
		.amdhsa_exception_fp_denorm_src 0
		.amdhsa_exception_fp_ieee_div_zero 0
		.amdhsa_exception_fp_ieee_overflow 0
		.amdhsa_exception_fp_ieee_underflow 0
		.amdhsa_exception_fp_ieee_inexact 0
		.amdhsa_exception_int_div_zero 0
	.end_amdhsa_kernel
	.section	.text._ZN7rocprim17ROCPRIM_400000_NS6detail17trampoline_kernelINS0_13select_configILj256ELj13ELNS0_17block_load_methodE3ELS4_3ELS4_3ELNS0_20block_scan_algorithmE0ELj4294967295EEENS1_25partition_config_selectorILNS1_17partition_subalgoE3EjNS0_10empty_typeEbEEZZNS1_14partition_implILS8_3ELb0ES6_jNS0_17counting_iteratorIjlEEPS9_SE_NS0_5tupleIJPjSE_EEENSF_IJSE_SE_EEES9_SG_JZNS1_25segmented_radix_sort_implINS0_14default_configELb0EPK6__halfPSL_PKlPlN2at6native12_GLOBAL__N_18offset_tEEE10hipError_tPvRmT1_PNSt15iterator_traitsISZ_E10value_typeET2_T3_PNS10_IS15_E10value_typeET4_jRbjT5_S1B_jjP12ihipStream_tbEUljE_EEESW_SX_SY_S15_S19_S1B_T6_T7_T9_mT8_S1D_bDpT10_ENKUlT_T0_E_clISt17integral_constantIbLb0EES1Q_EEDaS1L_S1M_EUlS1L_E_NS1_11comp_targetILNS1_3genE3ELNS1_11target_archE908ELNS1_3gpuE7ELNS1_3repE0EEENS1_30default_config_static_selectorELNS0_4arch9wavefront6targetE1EEEvSZ_,"axG",@progbits,_ZN7rocprim17ROCPRIM_400000_NS6detail17trampoline_kernelINS0_13select_configILj256ELj13ELNS0_17block_load_methodE3ELS4_3ELS4_3ELNS0_20block_scan_algorithmE0ELj4294967295EEENS1_25partition_config_selectorILNS1_17partition_subalgoE3EjNS0_10empty_typeEbEEZZNS1_14partition_implILS8_3ELb0ES6_jNS0_17counting_iteratorIjlEEPS9_SE_NS0_5tupleIJPjSE_EEENSF_IJSE_SE_EEES9_SG_JZNS1_25segmented_radix_sort_implINS0_14default_configELb0EPK6__halfPSL_PKlPlN2at6native12_GLOBAL__N_18offset_tEEE10hipError_tPvRmT1_PNSt15iterator_traitsISZ_E10value_typeET2_T3_PNS10_IS15_E10value_typeET4_jRbjT5_S1B_jjP12ihipStream_tbEUljE_EEESW_SX_SY_S15_S19_S1B_T6_T7_T9_mT8_S1D_bDpT10_ENKUlT_T0_E_clISt17integral_constantIbLb0EES1Q_EEDaS1L_S1M_EUlS1L_E_NS1_11comp_targetILNS1_3genE3ELNS1_11target_archE908ELNS1_3gpuE7ELNS1_3repE0EEENS1_30default_config_static_selectorELNS0_4arch9wavefront6targetE1EEEvSZ_,comdat
.Lfunc_end1813:
	.size	_ZN7rocprim17ROCPRIM_400000_NS6detail17trampoline_kernelINS0_13select_configILj256ELj13ELNS0_17block_load_methodE3ELS4_3ELS4_3ELNS0_20block_scan_algorithmE0ELj4294967295EEENS1_25partition_config_selectorILNS1_17partition_subalgoE3EjNS0_10empty_typeEbEEZZNS1_14partition_implILS8_3ELb0ES6_jNS0_17counting_iteratorIjlEEPS9_SE_NS0_5tupleIJPjSE_EEENSF_IJSE_SE_EEES9_SG_JZNS1_25segmented_radix_sort_implINS0_14default_configELb0EPK6__halfPSL_PKlPlN2at6native12_GLOBAL__N_18offset_tEEE10hipError_tPvRmT1_PNSt15iterator_traitsISZ_E10value_typeET2_T3_PNS10_IS15_E10value_typeET4_jRbjT5_S1B_jjP12ihipStream_tbEUljE_EEESW_SX_SY_S15_S19_S1B_T6_T7_T9_mT8_S1D_bDpT10_ENKUlT_T0_E_clISt17integral_constantIbLb0EES1Q_EEDaS1L_S1M_EUlS1L_E_NS1_11comp_targetILNS1_3genE3ELNS1_11target_archE908ELNS1_3gpuE7ELNS1_3repE0EEENS1_30default_config_static_selectorELNS0_4arch9wavefront6targetE1EEEvSZ_, .Lfunc_end1813-_ZN7rocprim17ROCPRIM_400000_NS6detail17trampoline_kernelINS0_13select_configILj256ELj13ELNS0_17block_load_methodE3ELS4_3ELS4_3ELNS0_20block_scan_algorithmE0ELj4294967295EEENS1_25partition_config_selectorILNS1_17partition_subalgoE3EjNS0_10empty_typeEbEEZZNS1_14partition_implILS8_3ELb0ES6_jNS0_17counting_iteratorIjlEEPS9_SE_NS0_5tupleIJPjSE_EEENSF_IJSE_SE_EEES9_SG_JZNS1_25segmented_radix_sort_implINS0_14default_configELb0EPK6__halfPSL_PKlPlN2at6native12_GLOBAL__N_18offset_tEEE10hipError_tPvRmT1_PNSt15iterator_traitsISZ_E10value_typeET2_T3_PNS10_IS15_E10value_typeET4_jRbjT5_S1B_jjP12ihipStream_tbEUljE_EEESW_SX_SY_S15_S19_S1B_T6_T7_T9_mT8_S1D_bDpT10_ENKUlT_T0_E_clISt17integral_constantIbLb0EES1Q_EEDaS1L_S1M_EUlS1L_E_NS1_11comp_targetILNS1_3genE3ELNS1_11target_archE908ELNS1_3gpuE7ELNS1_3repE0EEENS1_30default_config_static_selectorELNS0_4arch9wavefront6targetE1EEEvSZ_
                                        ; -- End function
	.set _ZN7rocprim17ROCPRIM_400000_NS6detail17trampoline_kernelINS0_13select_configILj256ELj13ELNS0_17block_load_methodE3ELS4_3ELS4_3ELNS0_20block_scan_algorithmE0ELj4294967295EEENS1_25partition_config_selectorILNS1_17partition_subalgoE3EjNS0_10empty_typeEbEEZZNS1_14partition_implILS8_3ELb0ES6_jNS0_17counting_iteratorIjlEEPS9_SE_NS0_5tupleIJPjSE_EEENSF_IJSE_SE_EEES9_SG_JZNS1_25segmented_radix_sort_implINS0_14default_configELb0EPK6__halfPSL_PKlPlN2at6native12_GLOBAL__N_18offset_tEEE10hipError_tPvRmT1_PNSt15iterator_traitsISZ_E10value_typeET2_T3_PNS10_IS15_E10value_typeET4_jRbjT5_S1B_jjP12ihipStream_tbEUljE_EEESW_SX_SY_S15_S19_S1B_T6_T7_T9_mT8_S1D_bDpT10_ENKUlT_T0_E_clISt17integral_constantIbLb0EES1Q_EEDaS1L_S1M_EUlS1L_E_NS1_11comp_targetILNS1_3genE3ELNS1_11target_archE908ELNS1_3gpuE7ELNS1_3repE0EEENS1_30default_config_static_selectorELNS0_4arch9wavefront6targetE1EEEvSZ_.num_vgpr, 0
	.set _ZN7rocprim17ROCPRIM_400000_NS6detail17trampoline_kernelINS0_13select_configILj256ELj13ELNS0_17block_load_methodE3ELS4_3ELS4_3ELNS0_20block_scan_algorithmE0ELj4294967295EEENS1_25partition_config_selectorILNS1_17partition_subalgoE3EjNS0_10empty_typeEbEEZZNS1_14partition_implILS8_3ELb0ES6_jNS0_17counting_iteratorIjlEEPS9_SE_NS0_5tupleIJPjSE_EEENSF_IJSE_SE_EEES9_SG_JZNS1_25segmented_radix_sort_implINS0_14default_configELb0EPK6__halfPSL_PKlPlN2at6native12_GLOBAL__N_18offset_tEEE10hipError_tPvRmT1_PNSt15iterator_traitsISZ_E10value_typeET2_T3_PNS10_IS15_E10value_typeET4_jRbjT5_S1B_jjP12ihipStream_tbEUljE_EEESW_SX_SY_S15_S19_S1B_T6_T7_T9_mT8_S1D_bDpT10_ENKUlT_T0_E_clISt17integral_constantIbLb0EES1Q_EEDaS1L_S1M_EUlS1L_E_NS1_11comp_targetILNS1_3genE3ELNS1_11target_archE908ELNS1_3gpuE7ELNS1_3repE0EEENS1_30default_config_static_selectorELNS0_4arch9wavefront6targetE1EEEvSZ_.num_agpr, 0
	.set _ZN7rocprim17ROCPRIM_400000_NS6detail17trampoline_kernelINS0_13select_configILj256ELj13ELNS0_17block_load_methodE3ELS4_3ELS4_3ELNS0_20block_scan_algorithmE0ELj4294967295EEENS1_25partition_config_selectorILNS1_17partition_subalgoE3EjNS0_10empty_typeEbEEZZNS1_14partition_implILS8_3ELb0ES6_jNS0_17counting_iteratorIjlEEPS9_SE_NS0_5tupleIJPjSE_EEENSF_IJSE_SE_EEES9_SG_JZNS1_25segmented_radix_sort_implINS0_14default_configELb0EPK6__halfPSL_PKlPlN2at6native12_GLOBAL__N_18offset_tEEE10hipError_tPvRmT1_PNSt15iterator_traitsISZ_E10value_typeET2_T3_PNS10_IS15_E10value_typeET4_jRbjT5_S1B_jjP12ihipStream_tbEUljE_EEESW_SX_SY_S15_S19_S1B_T6_T7_T9_mT8_S1D_bDpT10_ENKUlT_T0_E_clISt17integral_constantIbLb0EES1Q_EEDaS1L_S1M_EUlS1L_E_NS1_11comp_targetILNS1_3genE3ELNS1_11target_archE908ELNS1_3gpuE7ELNS1_3repE0EEENS1_30default_config_static_selectorELNS0_4arch9wavefront6targetE1EEEvSZ_.numbered_sgpr, 0
	.set _ZN7rocprim17ROCPRIM_400000_NS6detail17trampoline_kernelINS0_13select_configILj256ELj13ELNS0_17block_load_methodE3ELS4_3ELS4_3ELNS0_20block_scan_algorithmE0ELj4294967295EEENS1_25partition_config_selectorILNS1_17partition_subalgoE3EjNS0_10empty_typeEbEEZZNS1_14partition_implILS8_3ELb0ES6_jNS0_17counting_iteratorIjlEEPS9_SE_NS0_5tupleIJPjSE_EEENSF_IJSE_SE_EEES9_SG_JZNS1_25segmented_radix_sort_implINS0_14default_configELb0EPK6__halfPSL_PKlPlN2at6native12_GLOBAL__N_18offset_tEEE10hipError_tPvRmT1_PNSt15iterator_traitsISZ_E10value_typeET2_T3_PNS10_IS15_E10value_typeET4_jRbjT5_S1B_jjP12ihipStream_tbEUljE_EEESW_SX_SY_S15_S19_S1B_T6_T7_T9_mT8_S1D_bDpT10_ENKUlT_T0_E_clISt17integral_constantIbLb0EES1Q_EEDaS1L_S1M_EUlS1L_E_NS1_11comp_targetILNS1_3genE3ELNS1_11target_archE908ELNS1_3gpuE7ELNS1_3repE0EEENS1_30default_config_static_selectorELNS0_4arch9wavefront6targetE1EEEvSZ_.num_named_barrier, 0
	.set _ZN7rocprim17ROCPRIM_400000_NS6detail17trampoline_kernelINS0_13select_configILj256ELj13ELNS0_17block_load_methodE3ELS4_3ELS4_3ELNS0_20block_scan_algorithmE0ELj4294967295EEENS1_25partition_config_selectorILNS1_17partition_subalgoE3EjNS0_10empty_typeEbEEZZNS1_14partition_implILS8_3ELb0ES6_jNS0_17counting_iteratorIjlEEPS9_SE_NS0_5tupleIJPjSE_EEENSF_IJSE_SE_EEES9_SG_JZNS1_25segmented_radix_sort_implINS0_14default_configELb0EPK6__halfPSL_PKlPlN2at6native12_GLOBAL__N_18offset_tEEE10hipError_tPvRmT1_PNSt15iterator_traitsISZ_E10value_typeET2_T3_PNS10_IS15_E10value_typeET4_jRbjT5_S1B_jjP12ihipStream_tbEUljE_EEESW_SX_SY_S15_S19_S1B_T6_T7_T9_mT8_S1D_bDpT10_ENKUlT_T0_E_clISt17integral_constantIbLb0EES1Q_EEDaS1L_S1M_EUlS1L_E_NS1_11comp_targetILNS1_3genE3ELNS1_11target_archE908ELNS1_3gpuE7ELNS1_3repE0EEENS1_30default_config_static_selectorELNS0_4arch9wavefront6targetE1EEEvSZ_.private_seg_size, 0
	.set _ZN7rocprim17ROCPRIM_400000_NS6detail17trampoline_kernelINS0_13select_configILj256ELj13ELNS0_17block_load_methodE3ELS4_3ELS4_3ELNS0_20block_scan_algorithmE0ELj4294967295EEENS1_25partition_config_selectorILNS1_17partition_subalgoE3EjNS0_10empty_typeEbEEZZNS1_14partition_implILS8_3ELb0ES6_jNS0_17counting_iteratorIjlEEPS9_SE_NS0_5tupleIJPjSE_EEENSF_IJSE_SE_EEES9_SG_JZNS1_25segmented_radix_sort_implINS0_14default_configELb0EPK6__halfPSL_PKlPlN2at6native12_GLOBAL__N_18offset_tEEE10hipError_tPvRmT1_PNSt15iterator_traitsISZ_E10value_typeET2_T3_PNS10_IS15_E10value_typeET4_jRbjT5_S1B_jjP12ihipStream_tbEUljE_EEESW_SX_SY_S15_S19_S1B_T6_T7_T9_mT8_S1D_bDpT10_ENKUlT_T0_E_clISt17integral_constantIbLb0EES1Q_EEDaS1L_S1M_EUlS1L_E_NS1_11comp_targetILNS1_3genE3ELNS1_11target_archE908ELNS1_3gpuE7ELNS1_3repE0EEENS1_30default_config_static_selectorELNS0_4arch9wavefront6targetE1EEEvSZ_.uses_vcc, 0
	.set _ZN7rocprim17ROCPRIM_400000_NS6detail17trampoline_kernelINS0_13select_configILj256ELj13ELNS0_17block_load_methodE3ELS4_3ELS4_3ELNS0_20block_scan_algorithmE0ELj4294967295EEENS1_25partition_config_selectorILNS1_17partition_subalgoE3EjNS0_10empty_typeEbEEZZNS1_14partition_implILS8_3ELb0ES6_jNS0_17counting_iteratorIjlEEPS9_SE_NS0_5tupleIJPjSE_EEENSF_IJSE_SE_EEES9_SG_JZNS1_25segmented_radix_sort_implINS0_14default_configELb0EPK6__halfPSL_PKlPlN2at6native12_GLOBAL__N_18offset_tEEE10hipError_tPvRmT1_PNSt15iterator_traitsISZ_E10value_typeET2_T3_PNS10_IS15_E10value_typeET4_jRbjT5_S1B_jjP12ihipStream_tbEUljE_EEESW_SX_SY_S15_S19_S1B_T6_T7_T9_mT8_S1D_bDpT10_ENKUlT_T0_E_clISt17integral_constantIbLb0EES1Q_EEDaS1L_S1M_EUlS1L_E_NS1_11comp_targetILNS1_3genE3ELNS1_11target_archE908ELNS1_3gpuE7ELNS1_3repE0EEENS1_30default_config_static_selectorELNS0_4arch9wavefront6targetE1EEEvSZ_.uses_flat_scratch, 0
	.set _ZN7rocprim17ROCPRIM_400000_NS6detail17trampoline_kernelINS0_13select_configILj256ELj13ELNS0_17block_load_methodE3ELS4_3ELS4_3ELNS0_20block_scan_algorithmE0ELj4294967295EEENS1_25partition_config_selectorILNS1_17partition_subalgoE3EjNS0_10empty_typeEbEEZZNS1_14partition_implILS8_3ELb0ES6_jNS0_17counting_iteratorIjlEEPS9_SE_NS0_5tupleIJPjSE_EEENSF_IJSE_SE_EEES9_SG_JZNS1_25segmented_radix_sort_implINS0_14default_configELb0EPK6__halfPSL_PKlPlN2at6native12_GLOBAL__N_18offset_tEEE10hipError_tPvRmT1_PNSt15iterator_traitsISZ_E10value_typeET2_T3_PNS10_IS15_E10value_typeET4_jRbjT5_S1B_jjP12ihipStream_tbEUljE_EEESW_SX_SY_S15_S19_S1B_T6_T7_T9_mT8_S1D_bDpT10_ENKUlT_T0_E_clISt17integral_constantIbLb0EES1Q_EEDaS1L_S1M_EUlS1L_E_NS1_11comp_targetILNS1_3genE3ELNS1_11target_archE908ELNS1_3gpuE7ELNS1_3repE0EEENS1_30default_config_static_selectorELNS0_4arch9wavefront6targetE1EEEvSZ_.has_dyn_sized_stack, 0
	.set _ZN7rocprim17ROCPRIM_400000_NS6detail17trampoline_kernelINS0_13select_configILj256ELj13ELNS0_17block_load_methodE3ELS4_3ELS4_3ELNS0_20block_scan_algorithmE0ELj4294967295EEENS1_25partition_config_selectorILNS1_17partition_subalgoE3EjNS0_10empty_typeEbEEZZNS1_14partition_implILS8_3ELb0ES6_jNS0_17counting_iteratorIjlEEPS9_SE_NS0_5tupleIJPjSE_EEENSF_IJSE_SE_EEES9_SG_JZNS1_25segmented_radix_sort_implINS0_14default_configELb0EPK6__halfPSL_PKlPlN2at6native12_GLOBAL__N_18offset_tEEE10hipError_tPvRmT1_PNSt15iterator_traitsISZ_E10value_typeET2_T3_PNS10_IS15_E10value_typeET4_jRbjT5_S1B_jjP12ihipStream_tbEUljE_EEESW_SX_SY_S15_S19_S1B_T6_T7_T9_mT8_S1D_bDpT10_ENKUlT_T0_E_clISt17integral_constantIbLb0EES1Q_EEDaS1L_S1M_EUlS1L_E_NS1_11comp_targetILNS1_3genE3ELNS1_11target_archE908ELNS1_3gpuE7ELNS1_3repE0EEENS1_30default_config_static_selectorELNS0_4arch9wavefront6targetE1EEEvSZ_.has_recursion, 0
	.set _ZN7rocprim17ROCPRIM_400000_NS6detail17trampoline_kernelINS0_13select_configILj256ELj13ELNS0_17block_load_methodE3ELS4_3ELS4_3ELNS0_20block_scan_algorithmE0ELj4294967295EEENS1_25partition_config_selectorILNS1_17partition_subalgoE3EjNS0_10empty_typeEbEEZZNS1_14partition_implILS8_3ELb0ES6_jNS0_17counting_iteratorIjlEEPS9_SE_NS0_5tupleIJPjSE_EEENSF_IJSE_SE_EEES9_SG_JZNS1_25segmented_radix_sort_implINS0_14default_configELb0EPK6__halfPSL_PKlPlN2at6native12_GLOBAL__N_18offset_tEEE10hipError_tPvRmT1_PNSt15iterator_traitsISZ_E10value_typeET2_T3_PNS10_IS15_E10value_typeET4_jRbjT5_S1B_jjP12ihipStream_tbEUljE_EEESW_SX_SY_S15_S19_S1B_T6_T7_T9_mT8_S1D_bDpT10_ENKUlT_T0_E_clISt17integral_constantIbLb0EES1Q_EEDaS1L_S1M_EUlS1L_E_NS1_11comp_targetILNS1_3genE3ELNS1_11target_archE908ELNS1_3gpuE7ELNS1_3repE0EEENS1_30default_config_static_selectorELNS0_4arch9wavefront6targetE1EEEvSZ_.has_indirect_call, 0
	.section	.AMDGPU.csdata,"",@progbits
; Kernel info:
; codeLenInByte = 0
; TotalNumSgprs: 4
; NumVgprs: 0
; ScratchSize: 0
; MemoryBound: 0
; FloatMode: 240
; IeeeMode: 1
; LDSByteSize: 0 bytes/workgroup (compile time only)
; SGPRBlocks: 0
; VGPRBlocks: 0
; NumSGPRsForWavesPerEU: 4
; NumVGPRsForWavesPerEU: 1
; Occupancy: 10
; WaveLimiterHint : 0
; COMPUTE_PGM_RSRC2:SCRATCH_EN: 0
; COMPUTE_PGM_RSRC2:USER_SGPR: 6
; COMPUTE_PGM_RSRC2:TRAP_HANDLER: 0
; COMPUTE_PGM_RSRC2:TGID_X_EN: 1
; COMPUTE_PGM_RSRC2:TGID_Y_EN: 0
; COMPUTE_PGM_RSRC2:TGID_Z_EN: 0
; COMPUTE_PGM_RSRC2:TIDIG_COMP_CNT: 0
	.section	.text._ZN7rocprim17ROCPRIM_400000_NS6detail17trampoline_kernelINS0_13select_configILj256ELj13ELNS0_17block_load_methodE3ELS4_3ELS4_3ELNS0_20block_scan_algorithmE0ELj4294967295EEENS1_25partition_config_selectorILNS1_17partition_subalgoE3EjNS0_10empty_typeEbEEZZNS1_14partition_implILS8_3ELb0ES6_jNS0_17counting_iteratorIjlEEPS9_SE_NS0_5tupleIJPjSE_EEENSF_IJSE_SE_EEES9_SG_JZNS1_25segmented_radix_sort_implINS0_14default_configELb0EPK6__halfPSL_PKlPlN2at6native12_GLOBAL__N_18offset_tEEE10hipError_tPvRmT1_PNSt15iterator_traitsISZ_E10value_typeET2_T3_PNS10_IS15_E10value_typeET4_jRbjT5_S1B_jjP12ihipStream_tbEUljE_EEESW_SX_SY_S15_S19_S1B_T6_T7_T9_mT8_S1D_bDpT10_ENKUlT_T0_E_clISt17integral_constantIbLb0EES1Q_EEDaS1L_S1M_EUlS1L_E_NS1_11comp_targetILNS1_3genE2ELNS1_11target_archE906ELNS1_3gpuE6ELNS1_3repE0EEENS1_30default_config_static_selectorELNS0_4arch9wavefront6targetE1EEEvSZ_,"axG",@progbits,_ZN7rocprim17ROCPRIM_400000_NS6detail17trampoline_kernelINS0_13select_configILj256ELj13ELNS0_17block_load_methodE3ELS4_3ELS4_3ELNS0_20block_scan_algorithmE0ELj4294967295EEENS1_25partition_config_selectorILNS1_17partition_subalgoE3EjNS0_10empty_typeEbEEZZNS1_14partition_implILS8_3ELb0ES6_jNS0_17counting_iteratorIjlEEPS9_SE_NS0_5tupleIJPjSE_EEENSF_IJSE_SE_EEES9_SG_JZNS1_25segmented_radix_sort_implINS0_14default_configELb0EPK6__halfPSL_PKlPlN2at6native12_GLOBAL__N_18offset_tEEE10hipError_tPvRmT1_PNSt15iterator_traitsISZ_E10value_typeET2_T3_PNS10_IS15_E10value_typeET4_jRbjT5_S1B_jjP12ihipStream_tbEUljE_EEESW_SX_SY_S15_S19_S1B_T6_T7_T9_mT8_S1D_bDpT10_ENKUlT_T0_E_clISt17integral_constantIbLb0EES1Q_EEDaS1L_S1M_EUlS1L_E_NS1_11comp_targetILNS1_3genE2ELNS1_11target_archE906ELNS1_3gpuE6ELNS1_3repE0EEENS1_30default_config_static_selectorELNS0_4arch9wavefront6targetE1EEEvSZ_,comdat
	.globl	_ZN7rocprim17ROCPRIM_400000_NS6detail17trampoline_kernelINS0_13select_configILj256ELj13ELNS0_17block_load_methodE3ELS4_3ELS4_3ELNS0_20block_scan_algorithmE0ELj4294967295EEENS1_25partition_config_selectorILNS1_17partition_subalgoE3EjNS0_10empty_typeEbEEZZNS1_14partition_implILS8_3ELb0ES6_jNS0_17counting_iteratorIjlEEPS9_SE_NS0_5tupleIJPjSE_EEENSF_IJSE_SE_EEES9_SG_JZNS1_25segmented_radix_sort_implINS0_14default_configELb0EPK6__halfPSL_PKlPlN2at6native12_GLOBAL__N_18offset_tEEE10hipError_tPvRmT1_PNSt15iterator_traitsISZ_E10value_typeET2_T3_PNS10_IS15_E10value_typeET4_jRbjT5_S1B_jjP12ihipStream_tbEUljE_EEESW_SX_SY_S15_S19_S1B_T6_T7_T9_mT8_S1D_bDpT10_ENKUlT_T0_E_clISt17integral_constantIbLb0EES1Q_EEDaS1L_S1M_EUlS1L_E_NS1_11comp_targetILNS1_3genE2ELNS1_11target_archE906ELNS1_3gpuE6ELNS1_3repE0EEENS1_30default_config_static_selectorELNS0_4arch9wavefront6targetE1EEEvSZ_ ; -- Begin function _ZN7rocprim17ROCPRIM_400000_NS6detail17trampoline_kernelINS0_13select_configILj256ELj13ELNS0_17block_load_methodE3ELS4_3ELS4_3ELNS0_20block_scan_algorithmE0ELj4294967295EEENS1_25partition_config_selectorILNS1_17partition_subalgoE3EjNS0_10empty_typeEbEEZZNS1_14partition_implILS8_3ELb0ES6_jNS0_17counting_iteratorIjlEEPS9_SE_NS0_5tupleIJPjSE_EEENSF_IJSE_SE_EEES9_SG_JZNS1_25segmented_radix_sort_implINS0_14default_configELb0EPK6__halfPSL_PKlPlN2at6native12_GLOBAL__N_18offset_tEEE10hipError_tPvRmT1_PNSt15iterator_traitsISZ_E10value_typeET2_T3_PNS10_IS15_E10value_typeET4_jRbjT5_S1B_jjP12ihipStream_tbEUljE_EEESW_SX_SY_S15_S19_S1B_T6_T7_T9_mT8_S1D_bDpT10_ENKUlT_T0_E_clISt17integral_constantIbLb0EES1Q_EEDaS1L_S1M_EUlS1L_E_NS1_11comp_targetILNS1_3genE2ELNS1_11target_archE906ELNS1_3gpuE6ELNS1_3repE0EEENS1_30default_config_static_selectorELNS0_4arch9wavefront6targetE1EEEvSZ_
	.p2align	8
	.type	_ZN7rocprim17ROCPRIM_400000_NS6detail17trampoline_kernelINS0_13select_configILj256ELj13ELNS0_17block_load_methodE3ELS4_3ELS4_3ELNS0_20block_scan_algorithmE0ELj4294967295EEENS1_25partition_config_selectorILNS1_17partition_subalgoE3EjNS0_10empty_typeEbEEZZNS1_14partition_implILS8_3ELb0ES6_jNS0_17counting_iteratorIjlEEPS9_SE_NS0_5tupleIJPjSE_EEENSF_IJSE_SE_EEES9_SG_JZNS1_25segmented_radix_sort_implINS0_14default_configELb0EPK6__halfPSL_PKlPlN2at6native12_GLOBAL__N_18offset_tEEE10hipError_tPvRmT1_PNSt15iterator_traitsISZ_E10value_typeET2_T3_PNS10_IS15_E10value_typeET4_jRbjT5_S1B_jjP12ihipStream_tbEUljE_EEESW_SX_SY_S15_S19_S1B_T6_T7_T9_mT8_S1D_bDpT10_ENKUlT_T0_E_clISt17integral_constantIbLb0EES1Q_EEDaS1L_S1M_EUlS1L_E_NS1_11comp_targetILNS1_3genE2ELNS1_11target_archE906ELNS1_3gpuE6ELNS1_3repE0EEENS1_30default_config_static_selectorELNS0_4arch9wavefront6targetE1EEEvSZ_,@function
_ZN7rocprim17ROCPRIM_400000_NS6detail17trampoline_kernelINS0_13select_configILj256ELj13ELNS0_17block_load_methodE3ELS4_3ELS4_3ELNS0_20block_scan_algorithmE0ELj4294967295EEENS1_25partition_config_selectorILNS1_17partition_subalgoE3EjNS0_10empty_typeEbEEZZNS1_14partition_implILS8_3ELb0ES6_jNS0_17counting_iteratorIjlEEPS9_SE_NS0_5tupleIJPjSE_EEENSF_IJSE_SE_EEES9_SG_JZNS1_25segmented_radix_sort_implINS0_14default_configELb0EPK6__halfPSL_PKlPlN2at6native12_GLOBAL__N_18offset_tEEE10hipError_tPvRmT1_PNSt15iterator_traitsISZ_E10value_typeET2_T3_PNS10_IS15_E10value_typeET4_jRbjT5_S1B_jjP12ihipStream_tbEUljE_EEESW_SX_SY_S15_S19_S1B_T6_T7_T9_mT8_S1D_bDpT10_ENKUlT_T0_E_clISt17integral_constantIbLb0EES1Q_EEDaS1L_S1M_EUlS1L_E_NS1_11comp_targetILNS1_3genE2ELNS1_11target_archE906ELNS1_3gpuE6ELNS1_3repE0EEENS1_30default_config_static_selectorELNS0_4arch9wavefront6targetE1EEEvSZ_: ; @_ZN7rocprim17ROCPRIM_400000_NS6detail17trampoline_kernelINS0_13select_configILj256ELj13ELNS0_17block_load_methodE3ELS4_3ELS4_3ELNS0_20block_scan_algorithmE0ELj4294967295EEENS1_25partition_config_selectorILNS1_17partition_subalgoE3EjNS0_10empty_typeEbEEZZNS1_14partition_implILS8_3ELb0ES6_jNS0_17counting_iteratorIjlEEPS9_SE_NS0_5tupleIJPjSE_EEENSF_IJSE_SE_EEES9_SG_JZNS1_25segmented_radix_sort_implINS0_14default_configELb0EPK6__halfPSL_PKlPlN2at6native12_GLOBAL__N_18offset_tEEE10hipError_tPvRmT1_PNSt15iterator_traitsISZ_E10value_typeET2_T3_PNS10_IS15_E10value_typeET4_jRbjT5_S1B_jjP12ihipStream_tbEUljE_EEESW_SX_SY_S15_S19_S1B_T6_T7_T9_mT8_S1D_bDpT10_ENKUlT_T0_E_clISt17integral_constantIbLb0EES1Q_EEDaS1L_S1M_EUlS1L_E_NS1_11comp_targetILNS1_3genE2ELNS1_11target_archE906ELNS1_3gpuE6ELNS1_3repE0EEENS1_30default_config_static_selectorELNS0_4arch9wavefront6targetE1EEEvSZ_
; %bb.0:
	s_load_dwordx2 s[28:29], s[4:5], 0x58
	s_load_dwordx4 s[24:27], s[4:5], 0x48
	s_load_dword s12, s[4:5], 0x8
	s_load_dwordx2 s[30:31], s[4:5], 0x10
	s_load_dword s0, s[4:5], 0x70
	s_load_dword s7, s[4:5], 0x88
	s_load_dwordx4 s[8:11], s[4:5], 0x78
	s_waitcnt lgkmcnt(0)
	s_load_dwordx2 s[34:35], s[26:27], 0x0
	s_mul_i32 s44, s6, 0xd00
	s_add_i32 s2, s0, -1
	s_mulk_i32 s0, 0xd00
	s_add_i32 s1, s0, s30
	s_sub_i32 s33, s28, s1
	s_addk_i32 s33, 0xd00
	s_add_u32 s0, s30, s0
	s_addc_u32 s1, s31, 0
	v_mov_b32_e32 v2, s1
	v_mov_b32_e32 v1, s0
	s_cmp_eq_u32 s6, s2
	v_cmp_gt_u64_e32 vcc, s[28:29], v[1:2]
	s_cselect_b64 s[22:23], -1, 0
	s_cmp_lg_u32 s6, s2
	s_cselect_b64 s[0:1], -1, 0
	s_add_i32 s12, s12, s44
	s_or_b64 s[2:3], s[0:1], vcc
	s_add_i32 s12, s12, s30
	s_mov_b64 s[0:1], -1
	s_and_b64 vcc, exec, s[2:3]
	v_add_u32_e32 v1, s12, v0
	v_lshlrev_b32_e32 v23, 2, v0
	s_cbranch_vccz .LBB1814_2
; %bb.1:
	v_add_u32_e32 v2, 0x100, v1
	v_add_u32_e32 v3, 0x200, v1
	;; [unrolled: 1-line block ×12, first 2 shown]
	ds_write2st64_b32 v23, v1, v2 offset1:4
	ds_write2st64_b32 v23, v3, v4 offset0:8 offset1:12
	ds_write2st64_b32 v23, v5, v6 offset0:16 offset1:20
	;; [unrolled: 1-line block ×5, first 2 shown]
	ds_write_b32 v23, v13 offset:12288
	s_waitcnt lgkmcnt(0)
	s_barrier
	s_mov_b64 s[0:1], 0
.LBB1814_2:
	s_andn2_b64 vcc, exec, s[0:1]
	v_cmp_gt_u32_e64 s[0:1], s33, v0
	s_cbranch_vccnz .LBB1814_4
; %bb.3:
	v_or_b32_e32 v2, 0x100, v0
	v_add_u32_e32 v3, s12, v2
	v_cmp_gt_u32_e32 vcc, s33, v2
	v_cndmask_b32_e32 v2, 0, v3, vcc
	v_or_b32_e32 v3, 0x200, v0
	v_add_u32_e32 v4, s12, v3
	v_cmp_gt_u32_e32 vcc, s33, v3
	v_cndmask_b32_e32 v3, 0, v4, vcc
	;; [unrolled: 4-line block ×11, first 2 shown]
	v_or_b32_e32 v13, 0xc00, v0
	v_cndmask_b32_e64 v1, 0, v1, s[0:1]
	v_add_u32_e32 v14, s12, v13
	v_cmp_gt_u32_e32 vcc, s33, v13
	v_cndmask_b32_e32 v13, 0, v14, vcc
	ds_write2st64_b32 v23, v1, v2 offset1:4
	ds_write2st64_b32 v23, v3, v4 offset0:8 offset1:12
	ds_write2st64_b32 v23, v5, v6 offset0:16 offset1:20
	;; [unrolled: 1-line block ×5, first 2 shown]
	ds_write_b32 v23, v13 offset:12288
	s_waitcnt lgkmcnt(0)
	s_barrier
.LBB1814_4:
	v_mul_u32_u24_e32 v25, 13, v0
	v_lshlrev_b32_e32 v1, 2, v25
	s_waitcnt lgkmcnt(0)
	ds_read2_b32 v[13:14], v1 offset1:1
	ds_read2_b32 v[11:12], v1 offset0:2 offset1:3
	ds_read2_b32 v[9:10], v1 offset0:4 offset1:5
	ds_read2_b32 v[7:8], v1 offset0:6 offset1:7
	ds_read2_b32 v[5:6], v1 offset0:8 offset1:9
	ds_read2_b32 v[3:4], v1 offset0:10 offset1:11
	ds_read_b32 v24, v1 offset:48
	v_cndmask_b32_e64 v1, 0, 1, s[2:3]
	v_cmp_ne_u32_e64 s[0:1], 1, v1
	s_andn2_b64 vcc, exec, s[2:3]
	s_waitcnt lgkmcnt(0)
	s_barrier
	s_cbranch_vccnz .LBB1814_6
; %bb.5:
	v_add_u32_e32 v1, s9, v13
	v_add_u32_e32 v2, s11, v13
	v_mul_lo_u32 v1, v1, s8
	v_mul_lo_u32 v2, v2, s10
	v_add_u32_e32 v15, s9, v11
	v_add_u32_e32 v16, s11, v11
	v_mul_lo_u32 v15, v15, s8
	v_sub_u32_e32 v1, v1, v2
	v_cmp_lt_u32_e32 vcc, s7, v1
	v_add_u32_e32 v1, s9, v14
	v_add_u32_e32 v2, s11, v14
	v_mul_lo_u32 v1, v1, s8
	v_mul_lo_u32 v2, v2, s10
	;; [unrolled: 1-line block ×3, first 2 shown]
	v_cndmask_b32_e64 v26, 0, 1, vcc
	v_sub_u32_e32 v1, v1, v2
	v_cmp_lt_u32_e32 vcc, s7, v1
	v_sub_u32_e32 v1, v15, v16
	v_cndmask_b32_e64 v27, 0, 1, vcc
	v_cmp_lt_u32_e32 vcc, s7, v1
	v_add_u32_e32 v1, s9, v12
	v_add_u32_e32 v2, s11, v12
	v_mul_lo_u32 v1, v1, s8
	v_mul_lo_u32 v2, v2, s10
	v_add_u32_e32 v15, s9, v9
	v_add_u32_e32 v16, s11, v9
	v_mul_lo_u32 v15, v15, s8
	v_mul_lo_u32 v16, v16, s10
	v_sub_u32_e32 v1, v1, v2
	v_cndmask_b32_e64 v28, 0, 1, vcc
	v_cmp_lt_u32_e32 vcc, s7, v1
	v_sub_u32_e32 v1, v15, v16
	v_cndmask_b32_e64 v29, 0, 1, vcc
	v_cmp_lt_u32_e32 vcc, s7, v1
	v_add_u32_e32 v1, s9, v10
	v_add_u32_e32 v2, s11, v10
	v_mul_lo_u32 v1, v1, s8
	v_mul_lo_u32 v2, v2, s10
	v_add_u32_e32 v15, s9, v7
	v_add_u32_e32 v16, s11, v7
	v_mul_lo_u32 v15, v15, s8
	v_mul_lo_u32 v16, v16, s10
	v_sub_u32_e32 v1, v1, v2
	v_cndmask_b32_e64 v30, 0, 1, vcc
	;; [unrolled: 14-line block ×5, first 2 shown]
	v_cmp_lt_u32_e32 vcc, s7, v1
	v_sub_u32_e32 v1, v15, v16
	v_cndmask_b32_e64 v37, 0, 1, vcc
	v_cmp_lt_u32_e64 s[38:39], s7, v1
	s_load_dwordx2 s[26:27], s[4:5], 0x28
	s_load_dwordx2 s[36:37], s[4:5], 0x68
	s_cbranch_execz .LBB1814_7
	s_branch .LBB1814_34
.LBB1814_6:
                                        ; implicit-def: $sgpr38_sgpr39
                                        ; implicit-def: $vgpr37
                                        ; implicit-def: $vgpr36
                                        ; implicit-def: $vgpr35
                                        ; implicit-def: $vgpr34
                                        ; implicit-def: $vgpr33
                                        ; implicit-def: $vgpr32
                                        ; implicit-def: $vgpr31
                                        ; implicit-def: $vgpr30
                                        ; implicit-def: $vgpr26
                                        ; implicit-def: $vgpr27
                                        ; implicit-def: $vgpr28
                                        ; implicit-def: $vgpr29
	s_load_dwordx2 s[26:27], s[4:5], 0x28
	s_load_dwordx2 s[36:37], s[4:5], 0x68
.LBB1814_7:
	v_cmp_gt_u32_e32 vcc, s33, v25
	v_mov_b32_e32 v27, 0
	v_mov_b32_e32 v26, 0
	s_and_saveexec_b64 s[2:3], vcc
	s_cbranch_execz .LBB1814_9
; %bb.8:
	v_add_u32_e32 v1, s9, v13
	v_add_u32_e32 v2, s11, v13
	v_mul_lo_u32 v1, v1, s8
	v_mul_lo_u32 v2, v2, s10
	v_sub_u32_e32 v1, v1, v2
	v_cmp_lt_u32_e32 vcc, s7, v1
	v_cndmask_b32_e64 v26, 0, 1, vcc
.LBB1814_9:
	s_or_b64 exec, exec, s[2:3]
	v_add_u32_e32 v1, 1, v25
	v_cmp_gt_u32_e32 vcc, s33, v1
	s_and_saveexec_b64 s[2:3], vcc
	s_cbranch_execz .LBB1814_11
; %bb.10:
	v_add_u32_e32 v1, s9, v14
	v_add_u32_e32 v2, s11, v14
	v_mul_lo_u32 v1, v1, s8
	v_mul_lo_u32 v2, v2, s10
	v_sub_u32_e32 v1, v1, v2
	v_cmp_lt_u32_e32 vcc, s7, v1
	v_cndmask_b32_e64 v27, 0, 1, vcc
.LBB1814_11:
	s_or_b64 exec, exec, s[2:3]
	v_add_u32_e32 v1, 2, v25
	v_cmp_gt_u32_e32 vcc, s33, v1
	v_mov_b32_e32 v29, 0
	v_mov_b32_e32 v28, 0
	s_and_saveexec_b64 s[2:3], vcc
	s_cbranch_execz .LBB1814_13
; %bb.12:
	v_add_u32_e32 v1, s9, v11
	v_add_u32_e32 v2, s11, v11
	v_mul_lo_u32 v1, v1, s8
	v_mul_lo_u32 v2, v2, s10
	v_sub_u32_e32 v1, v1, v2
	v_cmp_lt_u32_e32 vcc, s7, v1
	v_cndmask_b32_e64 v28, 0, 1, vcc
.LBB1814_13:
	s_or_b64 exec, exec, s[2:3]
	v_add_u32_e32 v1, 3, v25
	v_cmp_gt_u32_e32 vcc, s33, v1
	s_and_saveexec_b64 s[2:3], vcc
	s_cbranch_execz .LBB1814_15
; %bb.14:
	v_add_u32_e32 v1, s9, v12
	v_add_u32_e32 v2, s11, v12
	v_mul_lo_u32 v1, v1, s8
	v_mul_lo_u32 v2, v2, s10
	v_sub_u32_e32 v1, v1, v2
	v_cmp_lt_u32_e32 vcc, s7, v1
	v_cndmask_b32_e64 v29, 0, 1, vcc
.LBB1814_15:
	s_or_b64 exec, exec, s[2:3]
	v_add_u32_e32 v1, 4, v25
	;; [unrolled: 30-line block ×6, first 2 shown]
	v_cmp_gt_u32_e32 vcc, s33, v1
	s_mov_b64 s[38:39], 0
	s_and_saveexec_b64 s[2:3], vcc
	s_cbranch_execz .LBB1814_33
; %bb.32:
	v_add_u32_e32 v1, s9, v24
	v_add_u32_e32 v2, s11, v24
	v_mul_lo_u32 v1, v1, s8
	v_mul_lo_u32 v2, v2, s10
	v_sub_u32_e32 v1, v1, v2
	v_cmp_lt_u32_e32 vcc, s7, v1
	s_and_b64 s[38:39], vcc, exec
.LBB1814_33:
	s_or_b64 exec, exec, s[2:3]
.LBB1814_34:
	v_and_b32_e32 v40, 0xff, v27
	v_and_b32_e32 v41, 0xff, v28
	;; [unrolled: 1-line block ×5, first 2 shown]
	v_add3_u32 v2, v41, v42, v40
	v_and_b32_e32 v44, 0xff, v31
	v_and_b32_e32 v45, 0xff, v32
	v_add3_u32 v2, v2, v39, v43
	v_and_b32_e32 v46, 0xff, v33
	v_and_b32_e32 v47, 0xff, v34
	;; [unrolled: 3-line block ×3, first 2 shown]
	v_add3_u32 v2, v2, v46, v47
	v_and_b32_e32 v38, 0xff, v37
	v_cndmask_b32_e64 v1, 0, 1, s[38:39]
	v_add3_u32 v2, v2, v48, v49
	v_add3_u32 v52, v2, v38, v1
	v_mbcnt_lo_u32_b32 v1, -1, 0
	v_mbcnt_hi_u32_b32 v50, -1, v1
	v_and_b32_e32 v1, 15, v50
	v_cmp_eq_u32_e64 s[14:15], 0, v1
	v_cmp_lt_u32_e64 s[12:13], 1, v1
	v_cmp_lt_u32_e64 s[10:11], 3, v1
	;; [unrolled: 1-line block ×3, first 2 shown]
	v_and_b32_e32 v1, 16, v50
	v_cmp_eq_u32_e64 s[18:19], 0, v1
	v_or_b32_e32 v1, 63, v0
	s_cmp_lg_u32 s6, 0
	v_cmp_lt_u32_e64 s[2:3], 31, v50
	v_lshrrev_b32_e32 v51, 6, v0
	v_cmp_eq_u32_e64 s[4:5], v0, v1
	s_cbranch_scc0 .LBB1814_56
; %bb.35:
	v_mov_b32_dpp v1, v52 row_shr:1 row_mask:0xf bank_mask:0xf
	v_cndmask_b32_e64 v1, v1, 0, s[14:15]
	v_add_u32_e32 v1, v1, v52
	s_nop 1
	v_mov_b32_dpp v2, v1 row_shr:2 row_mask:0xf bank_mask:0xf
	v_cndmask_b32_e64 v2, 0, v2, s[12:13]
	v_add_u32_e32 v1, v1, v2
	s_nop 1
	;; [unrolled: 4-line block ×4, first 2 shown]
	v_mov_b32_dpp v2, v1 row_bcast:15 row_mask:0xf bank_mask:0xf
	v_cndmask_b32_e64 v2, v2, 0, s[18:19]
	v_add_u32_e32 v1, v1, v2
	s_nop 1
	v_mov_b32_dpp v2, v1 row_bcast:31 row_mask:0xf bank_mask:0xf
	v_cndmask_b32_e64 v2, 0, v2, s[2:3]
	v_add_u32_e32 v1, v1, v2
	s_and_saveexec_b64 s[16:17], s[4:5]
; %bb.36:
	v_lshlrev_b32_e32 v2, 2, v51
	ds_write_b32 v2, v1
; %bb.37:
	s_or_b64 exec, exec, s[16:17]
	v_cmp_gt_u32_e32 vcc, 4, v0
	s_waitcnt lgkmcnt(0)
	s_barrier
	s_and_saveexec_b64 s[16:17], vcc
	s_cbranch_execz .LBB1814_39
; %bb.38:
	ds_read_b32 v2, v23
	v_and_b32_e32 v15, 3, v50
	v_cmp_ne_u32_e32 vcc, 0, v15
	s_waitcnt lgkmcnt(0)
	v_mov_b32_dpp v16, v2 row_shr:1 row_mask:0xf bank_mask:0xf
	v_cndmask_b32_e32 v16, 0, v16, vcc
	v_add_u32_e32 v2, v16, v2
	v_cmp_lt_u32_e32 vcc, 1, v15
	s_nop 0
	v_mov_b32_dpp v16, v2 row_shr:2 row_mask:0xf bank_mask:0xf
	v_cndmask_b32_e32 v15, 0, v16, vcc
	v_add_u32_e32 v2, v2, v15
	ds_write_b32 v23, v2
.LBB1814_39:
	s_or_b64 exec, exec, s[16:17]
	v_cmp_gt_u32_e32 vcc, 64, v0
	v_cmp_lt_u32_e64 s[16:17], 63, v0
	s_waitcnt lgkmcnt(0)
	s_barrier
                                        ; implicit-def: $vgpr53
	s_and_saveexec_b64 s[20:21], s[16:17]
	s_cbranch_execz .LBB1814_41
; %bb.40:
	v_lshl_add_u32 v2, v51, 2, -4
	ds_read_b32 v53, v2
	s_waitcnt lgkmcnt(0)
	v_add_u32_e32 v1, v53, v1
.LBB1814_41:
	s_or_b64 exec, exec, s[20:21]
	v_subrev_co_u32_e64 v2, s[16:17], 1, v50
	v_and_b32_e32 v15, 64, v50
	v_cmp_lt_i32_e64 s[20:21], v2, v15
	v_cndmask_b32_e64 v2, v2, v50, s[20:21]
	v_lshlrev_b32_e32 v2, 2, v2
	ds_bpermute_b32 v54, v2, v1
	s_and_saveexec_b64 s[20:21], vcc
	s_cbranch_execz .LBB1814_61
; %bb.42:
	v_mov_b32_e32 v19, 0
	ds_read_b32 v1, v19 offset:12
	s_and_saveexec_b64 s[40:41], s[16:17]
	s_cbranch_execz .LBB1814_44
; %bb.43:
	s_add_i32 s42, s6, 64
	s_mov_b32 s43, 0
	s_lshl_b64 s[42:43], s[42:43], 3
	s_add_u32 s42, s36, s42
	v_mov_b32_e32 v2, 1
	s_addc_u32 s43, s37, s43
	s_waitcnt lgkmcnt(0)
	global_store_dwordx2 v19, v[1:2], s[42:43]
.LBB1814_44:
	s_or_b64 exec, exec, s[40:41]
	v_xad_u32 v15, v50, -1, s6
	v_add_u32_e32 v18, 64, v15
	v_lshlrev_b64 v[16:17], 3, v[18:19]
	v_mov_b32_e32 v2, s37
	v_add_co_u32_e32 v20, vcc, s36, v16
	v_addc_co_u32_e32 v21, vcc, v2, v17, vcc
	global_load_dwordx2 v[17:18], v[20:21], off glc
	s_waitcnt vmcnt(0)
	v_cmp_eq_u16_sdwa s[42:43], v18, v19 src0_sel:BYTE_0 src1_sel:DWORD
	s_and_saveexec_b64 s[40:41], s[42:43]
	s_cbranch_execz .LBB1814_48
; %bb.45:
	s_mov_b64 s[42:43], 0
	v_mov_b32_e32 v2, 0
.LBB1814_46:                            ; =>This Inner Loop Header: Depth=1
	global_load_dwordx2 v[17:18], v[20:21], off glc
	s_waitcnt vmcnt(0)
	v_cmp_ne_u16_sdwa s[46:47], v18, v2 src0_sel:BYTE_0 src1_sel:DWORD
	s_or_b64 s[42:43], s[46:47], s[42:43]
	s_andn2_b64 exec, exec, s[42:43]
	s_cbranch_execnz .LBB1814_46
; %bb.47:
	s_or_b64 exec, exec, s[42:43]
.LBB1814_48:
	s_or_b64 exec, exec, s[40:41]
	v_and_b32_e32 v56, 63, v50
	v_mov_b32_e32 v55, 2
	v_lshlrev_b64 v[19:20], v50, -1
	v_cmp_ne_u32_e32 vcc, 63, v56
	v_cmp_eq_u16_sdwa s[40:41], v18, v55 src0_sel:BYTE_0 src1_sel:DWORD
	v_addc_co_u32_e32 v21, vcc, 0, v50, vcc
	v_and_b32_e32 v2, s41, v20
	v_lshlrev_b32_e32 v57, 2, v21
	v_or_b32_e32 v2, 0x80000000, v2
	ds_bpermute_b32 v21, v57, v17
	v_and_b32_e32 v16, s40, v19
	v_ffbl_b32_e32 v2, v2
	v_add_u32_e32 v2, 32, v2
	v_ffbl_b32_e32 v16, v16
	v_min_u32_e32 v2, v16, v2
	v_cmp_lt_u32_e32 vcc, v56, v2
	s_waitcnt lgkmcnt(0)
	v_cndmask_b32_e32 v16, 0, v21, vcc
	v_cmp_gt_u32_e32 vcc, 62, v56
	v_add_u32_e32 v16, v16, v17
	v_cndmask_b32_e64 v17, 0, 2, vcc
	v_add_lshl_u32 v58, v17, v50, 2
	ds_bpermute_b32 v17, v58, v16
	v_add_u32_e32 v59, 2, v56
	v_cmp_le_u32_e32 vcc, v59, v2
	v_add_u32_e32 v61, 4, v56
	v_add_u32_e32 v63, 8, v56
	s_waitcnt lgkmcnt(0)
	v_cndmask_b32_e32 v17, 0, v17, vcc
	v_cmp_gt_u32_e32 vcc, 60, v56
	v_add_u32_e32 v16, v16, v17
	v_cndmask_b32_e64 v17, 0, 4, vcc
	v_add_lshl_u32 v60, v17, v50, 2
	ds_bpermute_b32 v17, v60, v16
	v_cmp_le_u32_e32 vcc, v61, v2
	v_add_u32_e32 v65, 16, v56
	v_add_u32_e32 v67, 32, v56
	s_waitcnt lgkmcnt(0)
	v_cndmask_b32_e32 v17, 0, v17, vcc
	v_cmp_gt_u32_e32 vcc, 56, v56
	v_add_u32_e32 v16, v16, v17
	v_cndmask_b32_e64 v17, 0, 8, vcc
	v_add_lshl_u32 v62, v17, v50, 2
	ds_bpermute_b32 v17, v62, v16
	v_cmp_le_u32_e32 vcc, v63, v2
	s_waitcnt lgkmcnt(0)
	v_cndmask_b32_e32 v17, 0, v17, vcc
	v_cmp_gt_u32_e32 vcc, 48, v56
	v_add_u32_e32 v16, v16, v17
	v_cndmask_b32_e64 v17, 0, 16, vcc
	v_add_lshl_u32 v64, v17, v50, 2
	ds_bpermute_b32 v17, v64, v16
	v_cmp_le_u32_e32 vcc, v65, v2
	s_waitcnt lgkmcnt(0)
	v_cndmask_b32_e32 v17, 0, v17, vcc
	v_add_u32_e32 v16, v16, v17
	v_mov_b32_e32 v17, 0x80
	v_lshl_or_b32 v66, v50, 2, v17
	ds_bpermute_b32 v17, v66, v16
	v_cmp_le_u32_e32 vcc, v67, v2
	s_waitcnt lgkmcnt(0)
	v_cndmask_b32_e32 v2, 0, v17, vcc
	v_add_u32_e32 v17, v16, v2
	v_mov_b32_e32 v16, 0
	s_branch .LBB1814_52
.LBB1814_49:                            ;   in Loop: Header=BB1814_52 Depth=1
	s_or_b64 exec, exec, s[42:43]
.LBB1814_50:                            ;   in Loop: Header=BB1814_52 Depth=1
	s_or_b64 exec, exec, s[40:41]
	v_cmp_eq_u16_sdwa s[40:41], v18, v55 src0_sel:BYTE_0 src1_sel:DWORD
	v_and_b32_e32 v21, s41, v20
	v_or_b32_e32 v21, 0x80000000, v21
	ds_bpermute_b32 v68, v57, v17
	v_and_b32_e32 v22, s40, v19
	v_ffbl_b32_e32 v21, v21
	v_add_u32_e32 v21, 32, v21
	v_ffbl_b32_e32 v22, v22
	v_min_u32_e32 v21, v22, v21
	v_cmp_lt_u32_e32 vcc, v56, v21
	s_waitcnt lgkmcnt(0)
	v_cndmask_b32_e32 v22, 0, v68, vcc
	v_add_u32_e32 v17, v22, v17
	ds_bpermute_b32 v22, v58, v17
	v_cmp_le_u32_e32 vcc, v59, v21
	v_subrev_u32_e32 v15, 64, v15
	s_mov_b64 s[40:41], 0
	s_waitcnt lgkmcnt(0)
	v_cndmask_b32_e32 v22, 0, v22, vcc
	v_add_u32_e32 v17, v17, v22
	ds_bpermute_b32 v22, v60, v17
	v_cmp_le_u32_e32 vcc, v61, v21
	s_waitcnt lgkmcnt(0)
	v_cndmask_b32_e32 v22, 0, v22, vcc
	v_add_u32_e32 v17, v17, v22
	ds_bpermute_b32 v22, v62, v17
	v_cmp_le_u32_e32 vcc, v63, v21
	;; [unrolled: 5-line block ×4, first 2 shown]
	s_waitcnt lgkmcnt(0)
	v_cndmask_b32_e32 v21, 0, v22, vcc
	v_add3_u32 v17, v21, v2, v17
.LBB1814_51:                            ;   in Loop: Header=BB1814_52 Depth=1
	s_and_b64 vcc, exec, s[40:41]
	s_cbranch_vccnz .LBB1814_57
.LBB1814_52:                            ; =>This Loop Header: Depth=1
                                        ;     Child Loop BB1814_55 Depth 2
	v_cmp_ne_u16_sdwa s[40:41], v18, v55 src0_sel:BYTE_0 src1_sel:DWORD
	v_mov_b32_e32 v2, v17
	s_cmp_lg_u64 s[40:41], exec
	s_mov_b64 s[40:41], -1
                                        ; implicit-def: $vgpr17
                                        ; implicit-def: $vgpr18
	s_cbranch_scc1 .LBB1814_51
; %bb.53:                               ;   in Loop: Header=BB1814_52 Depth=1
	v_lshlrev_b64 v[17:18], 3, v[15:16]
	v_mov_b32_e32 v22, s37
	v_add_co_u32_e32 v21, vcc, s36, v17
	v_addc_co_u32_e32 v22, vcc, v22, v18, vcc
	global_load_dwordx2 v[17:18], v[21:22], off glc
	s_waitcnt vmcnt(0)
	v_cmp_eq_u16_sdwa s[42:43], v18, v16 src0_sel:BYTE_0 src1_sel:DWORD
	s_and_saveexec_b64 s[40:41], s[42:43]
	s_cbranch_execz .LBB1814_50
; %bb.54:                               ;   in Loop: Header=BB1814_52 Depth=1
	s_mov_b64 s[42:43], 0
.LBB1814_55:                            ;   Parent Loop BB1814_52 Depth=1
                                        ; =>  This Inner Loop Header: Depth=2
	global_load_dwordx2 v[17:18], v[21:22], off glc
	s_waitcnt vmcnt(0)
	v_cmp_ne_u16_sdwa s[46:47], v18, v16 src0_sel:BYTE_0 src1_sel:DWORD
	s_or_b64 s[42:43], s[46:47], s[42:43]
	s_andn2_b64 exec, exec, s[42:43]
	s_cbranch_execnz .LBB1814_55
	s_branch .LBB1814_49
.LBB1814_56:
                                        ; implicit-def: $vgpr2
                                        ; implicit-def: $vgpr15
	s_cbranch_execnz .LBB1814_62
	s_branch .LBB1814_71
.LBB1814_57:
	s_and_saveexec_b64 s[40:41], s[16:17]
	s_cbranch_execz .LBB1814_59
; %bb.58:
	s_add_i32 s6, s6, 64
	s_mov_b32 s7, 0
	s_lshl_b64 s[6:7], s[6:7], 3
	s_add_u32 s6, s36, s6
	v_add_u32_e32 v15, v2, v1
	v_mov_b32_e32 v16, 2
	s_addc_u32 s7, s37, s7
	v_mov_b32_e32 v17, 0
	global_store_dwordx2 v17, v[15:16], s[6:7]
	ds_write_b64 v17, v[1:2] offset:13312
.LBB1814_59:
	s_or_b64 exec, exec, s[40:41]
	v_cmp_eq_u32_e32 vcc, 0, v0
	s_and_b64 exec, exec, vcc
; %bb.60:
	v_mov_b32_e32 v1, 0
	ds_write_b32 v1, v2 offset:12
.LBB1814_61:
	s_or_b64 exec, exec, s[20:21]
	v_mov_b32_e32 v1, 0
	s_waitcnt vmcnt(0) lgkmcnt(0)
	s_barrier
	ds_read_b32 v16, v1 offset:12
	s_waitcnt lgkmcnt(0)
	s_barrier
	ds_read_b64 v[1:2], v1 offset:13312
	v_cndmask_b32_e64 v15, v54, v53, s[16:17]
	v_cmp_ne_u32_e32 vcc, 0, v0
	v_cndmask_b32_e32 v15, 0, v15, vcc
	v_add_u32_e32 v15, v16, v15
	s_branch .LBB1814_71
.LBB1814_62:
	s_waitcnt lgkmcnt(0)
	v_mov_b32_dpp v1, v52 row_shr:1 row_mask:0xf bank_mask:0xf
	v_cndmask_b32_e64 v1, v1, 0, s[14:15]
	v_add_u32_e32 v1, v1, v52
	s_nop 1
	v_mov_b32_dpp v2, v1 row_shr:2 row_mask:0xf bank_mask:0xf
	v_cndmask_b32_e64 v2, 0, v2, s[12:13]
	v_add_u32_e32 v1, v1, v2
	s_nop 1
	;; [unrolled: 4-line block ×4, first 2 shown]
	v_mov_b32_dpp v2, v1 row_bcast:15 row_mask:0xf bank_mask:0xf
	v_cndmask_b32_e64 v2, v2, 0, s[18:19]
	v_add_u32_e32 v1, v1, v2
	s_nop 1
	v_mov_b32_dpp v2, v1 row_bcast:31 row_mask:0xf bank_mask:0xf
	v_cndmask_b32_e64 v2, 0, v2, s[2:3]
	v_add_u32_e32 v1, v1, v2
	s_and_saveexec_b64 s[2:3], s[4:5]
; %bb.63:
	v_lshlrev_b32_e32 v2, 2, v51
	ds_write_b32 v2, v1
; %bb.64:
	s_or_b64 exec, exec, s[2:3]
	v_cmp_gt_u32_e32 vcc, 4, v0
	s_waitcnt lgkmcnt(0)
	s_barrier
	s_and_saveexec_b64 s[2:3], vcc
	s_cbranch_execz .LBB1814_66
; %bb.65:
	ds_read_b32 v2, v23
	v_and_b32_e32 v15, 3, v50
	v_cmp_ne_u32_e32 vcc, 0, v15
	s_waitcnt lgkmcnt(0)
	v_mov_b32_dpp v16, v2 row_shr:1 row_mask:0xf bank_mask:0xf
	v_cndmask_b32_e32 v16, 0, v16, vcc
	v_add_u32_e32 v2, v16, v2
	v_cmp_lt_u32_e32 vcc, 1, v15
	s_nop 0
	v_mov_b32_dpp v16, v2 row_shr:2 row_mask:0xf bank_mask:0xf
	v_cndmask_b32_e32 v15, 0, v16, vcc
	v_add_u32_e32 v2, v2, v15
	ds_write_b32 v23, v2
.LBB1814_66:
	s_or_b64 exec, exec, s[2:3]
	v_cmp_lt_u32_e32 vcc, 63, v0
	v_mov_b32_e32 v2, 0
	v_mov_b32_e32 v15, 0
	s_waitcnt lgkmcnt(0)
	s_barrier
	s_and_saveexec_b64 s[2:3], vcc
; %bb.67:
	v_lshl_add_u32 v15, v51, 2, -4
	ds_read_b32 v15, v15
; %bb.68:
	s_or_b64 exec, exec, s[2:3]
	v_subrev_co_u32_e32 v16, vcc, 1, v50
	v_and_b32_e32 v17, 64, v50
	v_cmp_lt_i32_e64 s[2:3], v16, v17
	v_cndmask_b32_e64 v16, v16, v50, s[2:3]
	s_waitcnt lgkmcnt(0)
	v_add_u32_e32 v1, v15, v1
	v_lshlrev_b32_e32 v16, 2, v16
	ds_bpermute_b32 v16, v16, v1
	ds_read_b32 v1, v2 offset:12
	v_cmp_eq_u32_e64 s[2:3], 0, v0
	s_and_saveexec_b64 s[4:5], s[2:3]
	s_cbranch_execz .LBB1814_70
; %bb.69:
	v_mov_b32_e32 v17, 0
	v_mov_b32_e32 v2, 2
	s_waitcnt lgkmcnt(0)
	global_store_dwordx2 v17, v[1:2], s[36:37] offset:512
.LBB1814_70:
	s_or_b64 exec, exec, s[4:5]
	s_waitcnt lgkmcnt(1)
	v_cndmask_b32_e32 v2, v16, v15, vcc
	v_cndmask_b32_e64 v15, v2, 0, s[2:3]
	s_waitcnt vmcnt(0) lgkmcnt(0)
	s_barrier
	v_mov_b32_e32 v2, 0
.LBB1814_71:
	v_add_u32_e32 v16, v15, v39
	v_add_u32_e32 v17, v16, v40
	;; [unrolled: 1-line block ×4, first 2 shown]
	s_waitcnt lgkmcnt(0)
	v_add_u32_e32 v25, v1, v25
	v_sub_u32_e32 v15, v15, v2
	v_and_b32_e32 v26, 1, v26
	v_add_u32_e32 v20, v19, v43
	v_sub_u32_e32 v43, v25, v15
	v_cmp_eq_u32_e32 vcc, 1, v26
	v_cndmask_b32_e32 v15, v43, v15, vcc
	v_lshlrev_b32_e32 v15, 2, v15
	ds_write_b32 v15, v13
	v_sub_u32_e32 v13, v16, v2
	v_sub_u32_e32 v15, v25, v13
	v_and_b32_e32 v16, 1, v27
	v_add_u32_e32 v15, 1, v15
	v_cmp_eq_u32_e32 vcc, 1, v16
	v_cndmask_b32_e32 v13, v15, v13, vcc
	v_lshlrev_b32_e32 v13, 2, v13
	ds_write_b32 v13, v14
	v_sub_u32_e32 v13, v17, v2
	v_sub_u32_e32 v14, v25, v13
	v_and_b32_e32 v15, 1, v28
	v_add_u32_e32 v14, 2, v14
	;; [unrolled: 8-line block ×5, first 2 shown]
	v_cmp_eq_u32_e32 vcc, 1, v12
	v_cndmask_b32_e32 v9, v11, v9, vcc
	v_add_u32_e32 v21, v20, v44
	v_lshlrev_b32_e32 v9, 2, v9
	ds_write_b32 v9, v10
	v_sub_u32_e32 v9, v21, v2
	v_sub_u32_e32 v10, v25, v9
	v_and_b32_e32 v11, 1, v32
	v_add_u32_e32 v10, 6, v10
	v_cmp_eq_u32_e32 vcc, 1, v11
	v_cndmask_b32_e32 v9, v10, v9, vcc
	v_add_u32_e32 v22, v21, v45
	v_lshlrev_b32_e32 v9, 2, v9
	ds_write_b32 v9, v7
	v_sub_u32_e32 v7, v22, v2
	v_sub_u32_e32 v9, v25, v7
	v_and_b32_e32 v10, 1, v33
	v_add_u32_e32 v9, 7, v9
	;; [unrolled: 9-line block ×6, first 2 shown]
	v_cmp_eq_u32_e32 vcc, 1, v6
	v_cndmask_b32_e32 v3, v5, v3, vcc
	v_lshlrev_b32_e32 v3, 2, v3
	ds_write_b32 v3, v4
	v_sub_u32_e32 v3, v38, v2
	v_add_u32_e32 v3, v42, v3
	v_sub_u32_e32 v4, v25, v3
	v_add_u32_e32 v4, 12, v4
	v_cndmask_b32_e64 v3, v4, v3, s[38:39]
	v_lshlrev_b32_e32 v3, 2, v3
	ds_write_b32 v3, v24
	s_waitcnt lgkmcnt(0)
	s_barrier
	ds_read2st64_b32 v[13:14], v23 offset1:4
	ds_read2st64_b32 v[11:12], v23 offset0:8 offset1:12
	ds_read2st64_b32 v[9:10], v23 offset0:16 offset1:20
	;; [unrolled: 1-line block ×5, first 2 shown]
	ds_read_b32 v19, v23 offset:12288
	v_mov_b32_e32 v15, s35
	s_and_b64 vcc, exec, s[0:1]
	v_add_co_u32_e64 v17, s[0:1], s34, v2
	v_or_b32_e32 v33, 0x100, v0
	v_or_b32_e32 v31, 0x200, v0
	;; [unrolled: 1-line block ×12, first 2 shown]
	v_addc_co_u32_e64 v18, s[0:1], 0, v15, s[0:1]
	s_cbranch_vccnz .LBB1814_125
; %bb.72:
	v_mov_b32_e32 v2, s31
	v_subrev_co_u32_e32 v15, vcc, s30, v17
	s_sub_u32 s0, s28, s44
	v_subb_co_u32_e32 v16, vcc, v18, v2, vcc
	s_subb_u32 s1, s29, 0
	v_mov_b32_e32 v2, s1
	v_add_co_u32_e32 v23, vcc, s0, v1
	v_addc_co_u32_e32 v32, vcc, 0, v2, vcc
	v_add_co_u32_e32 v2, vcc, v23, v15
	v_addc_co_u32_e32 v23, vcc, v32, v16, vcc
	v_cmp_ge_u32_e32 vcc, v0, v1
                                        ; implicit-def: $vgpr15_vgpr16
	s_and_saveexec_b64 s[0:1], vcc
	s_xor_b64 s[0:1], exec, s[0:1]
; %bb.73:
	v_not_b32_e32 v15, v0
	v_ashrrev_i32_e32 v16, 31, v15
	v_add_co_u32_e32 v15, vcc, v2, v15
	v_addc_co_u32_e32 v16, vcc, v23, v16, vcc
; %bb.74:
	s_andn2_saveexec_b64 s[0:1], s[0:1]
; %bb.75:
	v_add_co_u32_e32 v15, vcc, v17, v0
	v_addc_co_u32_e32 v16, vcc, 0, v18, vcc
; %bb.76:
	s_or_b64 exec, exec, s[0:1]
	v_lshlrev_b64 v[15:16], 2, v[15:16]
	v_mov_b32_e32 v32, s27
	v_add_co_u32_e32 v15, vcc, s26, v15
	v_addc_co_u32_e32 v16, vcc, v32, v16, vcc
	v_cmp_ge_u32_e32 vcc, v33, v1
	s_waitcnt lgkmcnt(6)
	global_store_dword v[15:16], v13, off
                                        ; implicit-def: $vgpr15_vgpr16
	s_and_saveexec_b64 s[0:1], vcc
	s_xor_b64 s[0:1], exec, s[0:1]
; %bb.77:
	v_xor_b32_e32 v15, 0xfffffeff, v0
	v_ashrrev_i32_e32 v16, 31, v15
	v_add_co_u32_e32 v15, vcc, v2, v15
	v_addc_co_u32_e32 v16, vcc, v23, v16, vcc
; %bb.78:
	s_andn2_saveexec_b64 s[0:1], s[0:1]
; %bb.79:
	v_add_co_u32_e32 v15, vcc, v17, v33
	v_addc_co_u32_e32 v16, vcc, 0, v18, vcc
; %bb.80:
	s_or_b64 exec, exec, s[0:1]
	v_lshlrev_b64 v[15:16], 2, v[15:16]
	v_mov_b32_e32 v32, s27
	v_add_co_u32_e32 v15, vcc, s26, v15
	v_addc_co_u32_e32 v16, vcc, v32, v16, vcc
	v_cmp_ge_u32_e32 vcc, v31, v1
	global_store_dword v[15:16], v14, off
                                        ; implicit-def: $vgpr15_vgpr16
	s_and_saveexec_b64 s[0:1], vcc
	s_xor_b64 s[0:1], exec, s[0:1]
; %bb.81:
	v_xor_b32_e32 v15, 0xfffffdff, v0
	v_ashrrev_i32_e32 v16, 31, v15
	v_add_co_u32_e32 v15, vcc, v2, v15
	v_addc_co_u32_e32 v16, vcc, v23, v16, vcc
; %bb.82:
	s_andn2_saveexec_b64 s[0:1], s[0:1]
; %bb.83:
	v_add_co_u32_e32 v15, vcc, v17, v31
	v_addc_co_u32_e32 v16, vcc, 0, v18, vcc
; %bb.84:
	s_or_b64 exec, exec, s[0:1]
	v_lshlrev_b64 v[15:16], 2, v[15:16]
	v_mov_b32_e32 v32, s27
	v_add_co_u32_e32 v15, vcc, s26, v15
	v_addc_co_u32_e32 v16, vcc, v32, v16, vcc
	v_cmp_ge_u32_e32 vcc, v30, v1
	s_waitcnt lgkmcnt(5)
	global_store_dword v[15:16], v11, off
                                        ; implicit-def: $vgpr15_vgpr16
	s_and_saveexec_b64 s[0:1], vcc
	s_xor_b64 s[0:1], exec, s[0:1]
; %bb.85:
	v_xor_b32_e32 v15, 0xfffffcff, v0
	v_ashrrev_i32_e32 v16, 31, v15
	v_add_co_u32_e32 v15, vcc, v2, v15
	v_addc_co_u32_e32 v16, vcc, v23, v16, vcc
; %bb.86:
	s_andn2_saveexec_b64 s[0:1], s[0:1]
; %bb.87:
	v_add_co_u32_e32 v15, vcc, v17, v30
	v_addc_co_u32_e32 v16, vcc, 0, v18, vcc
; %bb.88:
	s_or_b64 exec, exec, s[0:1]
	v_lshlrev_b64 v[15:16], 2, v[15:16]
	v_mov_b32_e32 v32, s27
	v_add_co_u32_e32 v15, vcc, s26, v15
	v_addc_co_u32_e32 v16, vcc, v32, v16, vcc
	v_cmp_ge_u32_e32 vcc, v29, v1
	global_store_dword v[15:16], v12, off
                                        ; implicit-def: $vgpr15_vgpr16
	s_and_saveexec_b64 s[0:1], vcc
	s_xor_b64 s[0:1], exec, s[0:1]
; %bb.89:
	v_xor_b32_e32 v15, 0xfffffbff, v0
	;; [unrolled: 43-line block ×6, first 2 shown]
	v_ashrrev_i32_e32 v16, 31, v15
	v_add_co_u32_e32 v15, vcc, v2, v15
	v_addc_co_u32_e32 v16, vcc, v23, v16, vcc
; %bb.122:
	s_andn2_saveexec_b64 s[0:1], s[0:1]
; %bb.123:
	v_add_co_u32_e32 v15, vcc, v17, v20
	v_addc_co_u32_e32 v16, vcc, 0, v18, vcc
; %bb.124:
	s_or_b64 exec, exec, s[0:1]
	s_mov_b64 s[0:1], -1
	s_branch .LBB1814_205
.LBB1814_125:
	s_mov_b64 s[0:1], 0
                                        ; implicit-def: $vgpr15_vgpr16
	s_cbranch_execz .LBB1814_205
; %bb.126:
	s_add_u32 s2, s30, s44
	s_addc_u32 s3, s31, 0
	s_sub_u32 s2, s28, s2
	s_subb_u32 s3, s29, s3
	v_mov_b32_e32 v2, s3
	v_add_co_u32_e32 v15, vcc, s2, v1
	v_addc_co_u32_e32 v2, vcc, 0, v2, vcc
	v_add_co_u32_e32 v23, vcc, v15, v17
	v_addc_co_u32_e32 v32, vcc, v2, v18, vcc
	v_cmp_gt_u32_e32 vcc, s33, v0
	s_and_saveexec_b64 s[2:3], vcc
	s_cbranch_execz .LBB1814_162
; %bb.127:
	v_cmp_ge_u32_e32 vcc, v0, v1
                                        ; implicit-def: $vgpr15_vgpr16
	s_and_saveexec_b64 s[4:5], vcc
	s_xor_b64 s[4:5], exec, s[4:5]
; %bb.128:
	v_not_b32_e32 v2, v0
	v_ashrrev_i32_e32 v16, 31, v2
	v_add_co_u32_e32 v15, vcc, v23, v2
	v_addc_co_u32_e32 v16, vcc, v32, v16, vcc
; %bb.129:
	s_andn2_saveexec_b64 s[4:5], s[4:5]
; %bb.130:
	v_add_co_u32_e32 v15, vcc, v17, v0
	v_addc_co_u32_e32 v16, vcc, 0, v18, vcc
; %bb.131:
	s_or_b64 exec, exec, s[4:5]
	v_lshlrev_b64 v[15:16], 2, v[15:16]
	v_mov_b32_e32 v2, s27
	v_add_co_u32_e32 v15, vcc, s26, v15
	v_addc_co_u32_e32 v16, vcc, v2, v16, vcc
	s_waitcnt lgkmcnt(6)
	global_store_dword v[15:16], v13, off
	s_or_b64 exec, exec, s[2:3]
	v_cmp_gt_u32_e32 vcc, s33, v33
	s_and_saveexec_b64 s[2:3], vcc
	s_cbranch_execnz .LBB1814_163
.LBB1814_132:
	s_or_b64 exec, exec, s[2:3]
	v_cmp_gt_u32_e32 vcc, s33, v31
	s_and_saveexec_b64 s[2:3], vcc
	s_cbranch_execz .LBB1814_168
.LBB1814_133:
	v_cmp_ge_u32_e32 vcc, v31, v1
                                        ; implicit-def: $vgpr13_vgpr14
	s_and_saveexec_b64 s[4:5], vcc
	s_xor_b64 s[4:5], exec, s[4:5]
	s_cbranch_execz .LBB1814_135
; %bb.134:
	v_xor_b32_e32 v2, 0xfffffdff, v0
	s_waitcnt lgkmcnt(6)
	v_ashrrev_i32_e32 v14, 31, v2
	v_add_co_u32_e32 v13, vcc, v23, v2
	v_addc_co_u32_e32 v14, vcc, v32, v14, vcc
                                        ; implicit-def: $vgpr31
.LBB1814_135:
	s_andn2_saveexec_b64 s[4:5], s[4:5]
	s_cbranch_execz .LBB1814_137
; %bb.136:
	s_waitcnt lgkmcnt(6)
	v_add_co_u32_e32 v13, vcc, v17, v31
	v_addc_co_u32_e32 v14, vcc, 0, v18, vcc
.LBB1814_137:
	s_or_b64 exec, exec, s[4:5]
	s_waitcnt lgkmcnt(6)
	v_lshlrev_b64 v[13:14], 2, v[13:14]
	v_mov_b32_e32 v2, s27
	v_add_co_u32_e32 v13, vcc, s26, v13
	v_addc_co_u32_e32 v14, vcc, v2, v14, vcc
	s_waitcnt lgkmcnt(5)
	global_store_dword v[13:14], v11, off
	s_or_b64 exec, exec, s[2:3]
	v_cmp_gt_u32_e32 vcc, s33, v30
	s_and_saveexec_b64 s[2:3], vcc
	s_cbranch_execnz .LBB1814_169
.LBB1814_138:
	s_or_b64 exec, exec, s[2:3]
	v_cmp_gt_u32_e32 vcc, s33, v29
	s_and_saveexec_b64 s[2:3], vcc
	s_cbranch_execz .LBB1814_174
.LBB1814_139:
	v_cmp_ge_u32_e32 vcc, v29, v1
                                        ; implicit-def: $vgpr11_vgpr12
	s_and_saveexec_b64 s[4:5], vcc
	s_xor_b64 s[4:5], exec, s[4:5]
	s_cbranch_execz .LBB1814_141
; %bb.140:
	v_xor_b32_e32 v2, 0xfffffbff, v0
	s_waitcnt lgkmcnt(5)
	v_ashrrev_i32_e32 v12, 31, v2
	v_add_co_u32_e32 v11, vcc, v23, v2
	v_addc_co_u32_e32 v12, vcc, v32, v12, vcc
                                        ; implicit-def: $vgpr29
.LBB1814_141:
	s_andn2_saveexec_b64 s[4:5], s[4:5]
	s_cbranch_execz .LBB1814_143
; %bb.142:
	s_waitcnt lgkmcnt(5)
	v_add_co_u32_e32 v11, vcc, v17, v29
	v_addc_co_u32_e32 v12, vcc, 0, v18, vcc
.LBB1814_143:
	s_or_b64 exec, exec, s[4:5]
	s_waitcnt lgkmcnt(5)
	v_lshlrev_b64 v[11:12], 2, v[11:12]
	v_mov_b32_e32 v2, s27
	v_add_co_u32_e32 v11, vcc, s26, v11
	v_addc_co_u32_e32 v12, vcc, v2, v12, vcc
	s_waitcnt lgkmcnt(4)
	global_store_dword v[11:12], v9, off
	s_or_b64 exec, exec, s[2:3]
	v_cmp_gt_u32_e32 vcc, s33, v28
	s_and_saveexec_b64 s[2:3], vcc
	s_cbranch_execnz .LBB1814_175
.LBB1814_144:
	s_or_b64 exec, exec, s[2:3]
	v_cmp_gt_u32_e32 vcc, s33, v27
	s_and_saveexec_b64 s[2:3], vcc
	s_cbranch_execz .LBB1814_180
.LBB1814_145:
	v_cmp_ge_u32_e32 vcc, v27, v1
                                        ; implicit-def: $vgpr9_vgpr10
	s_and_saveexec_b64 s[4:5], vcc
	s_xor_b64 s[4:5], exec, s[4:5]
	s_cbranch_execz .LBB1814_147
; %bb.146:
	v_xor_b32_e32 v2, 0xfffff9ff, v0
	s_waitcnt lgkmcnt(4)
	v_ashrrev_i32_e32 v10, 31, v2
	v_add_co_u32_e32 v9, vcc, v23, v2
	v_addc_co_u32_e32 v10, vcc, v32, v10, vcc
                                        ; implicit-def: $vgpr27
.LBB1814_147:
	s_andn2_saveexec_b64 s[4:5], s[4:5]
	s_cbranch_execz .LBB1814_149
; %bb.148:
	s_waitcnt lgkmcnt(4)
	v_add_co_u32_e32 v9, vcc, v17, v27
	v_addc_co_u32_e32 v10, vcc, 0, v18, vcc
.LBB1814_149:
	s_or_b64 exec, exec, s[4:5]
	s_waitcnt lgkmcnt(4)
	v_lshlrev_b64 v[9:10], 2, v[9:10]
	v_mov_b32_e32 v2, s27
	v_add_co_u32_e32 v9, vcc, s26, v9
	v_addc_co_u32_e32 v10, vcc, v2, v10, vcc
	s_waitcnt lgkmcnt(3)
	global_store_dword v[9:10], v7, off
	s_or_b64 exec, exec, s[2:3]
	v_cmp_gt_u32_e32 vcc, s33, v26
	s_and_saveexec_b64 s[2:3], vcc
	s_cbranch_execnz .LBB1814_181
.LBB1814_150:
	s_or_b64 exec, exec, s[2:3]
	v_cmp_gt_u32_e32 vcc, s33, v25
	s_and_saveexec_b64 s[2:3], vcc
	s_cbranch_execz .LBB1814_186
.LBB1814_151:
	v_cmp_ge_u32_e32 vcc, v25, v1
                                        ; implicit-def: $vgpr7_vgpr8
	s_and_saveexec_b64 s[4:5], vcc
	s_xor_b64 s[4:5], exec, s[4:5]
	s_cbranch_execz .LBB1814_153
; %bb.152:
	v_xor_b32_e32 v2, 0xfffff7ff, v0
	s_waitcnt lgkmcnt(3)
	v_ashrrev_i32_e32 v8, 31, v2
	v_add_co_u32_e32 v7, vcc, v23, v2
	v_addc_co_u32_e32 v8, vcc, v32, v8, vcc
                                        ; implicit-def: $vgpr25
.LBB1814_153:
	s_andn2_saveexec_b64 s[4:5], s[4:5]
	s_cbranch_execz .LBB1814_155
; %bb.154:
	s_waitcnt lgkmcnt(3)
	v_add_co_u32_e32 v7, vcc, v17, v25
	v_addc_co_u32_e32 v8, vcc, 0, v18, vcc
.LBB1814_155:
	s_or_b64 exec, exec, s[4:5]
	s_waitcnt lgkmcnt(3)
	v_lshlrev_b64 v[7:8], 2, v[7:8]
	v_mov_b32_e32 v2, s27
	v_add_co_u32_e32 v7, vcc, s26, v7
	v_addc_co_u32_e32 v8, vcc, v2, v8, vcc
	s_waitcnt lgkmcnt(2)
	global_store_dword v[7:8], v5, off
	s_or_b64 exec, exec, s[2:3]
	v_cmp_gt_u32_e32 vcc, s33, v24
	s_and_saveexec_b64 s[2:3], vcc
	s_cbranch_execnz .LBB1814_187
.LBB1814_156:
	s_or_b64 exec, exec, s[2:3]
	v_cmp_gt_u32_e32 vcc, s33, v22
	s_and_saveexec_b64 s[2:3], vcc
	s_cbranch_execz .LBB1814_192
.LBB1814_157:
	v_cmp_ge_u32_e32 vcc, v22, v1
                                        ; implicit-def: $vgpr5_vgpr6
	s_and_saveexec_b64 s[4:5], vcc
	s_xor_b64 s[4:5], exec, s[4:5]
	s_cbranch_execz .LBB1814_159
; %bb.158:
	v_xor_b32_e32 v2, 0xfffff5ff, v0
	s_waitcnt lgkmcnt(2)
	v_ashrrev_i32_e32 v6, 31, v2
	v_add_co_u32_e32 v5, vcc, v23, v2
	v_addc_co_u32_e32 v6, vcc, v32, v6, vcc
                                        ; implicit-def: $vgpr22
.LBB1814_159:
	s_andn2_saveexec_b64 s[4:5], s[4:5]
	s_cbranch_execz .LBB1814_161
; %bb.160:
	s_waitcnt lgkmcnt(2)
	v_add_co_u32_e32 v5, vcc, v17, v22
	v_addc_co_u32_e32 v6, vcc, 0, v18, vcc
.LBB1814_161:
	s_or_b64 exec, exec, s[4:5]
	s_waitcnt lgkmcnt(2)
	v_lshlrev_b64 v[5:6], 2, v[5:6]
	v_mov_b32_e32 v2, s27
	v_add_co_u32_e32 v5, vcc, s26, v5
	v_addc_co_u32_e32 v6, vcc, v2, v6, vcc
	s_waitcnt lgkmcnt(1)
	global_store_dword v[5:6], v3, off
	s_or_b64 exec, exec, s[2:3]
	v_cmp_gt_u32_e32 vcc, s33, v21
	s_and_saveexec_b64 s[2:3], vcc
	s_cbranch_execz .LBB1814_198
	s_branch .LBB1814_193
.LBB1814_162:
	s_or_b64 exec, exec, s[2:3]
	v_cmp_gt_u32_e32 vcc, s33, v33
	s_and_saveexec_b64 s[2:3], vcc
	s_cbranch_execz .LBB1814_132
.LBB1814_163:
	v_cmp_ge_u32_e32 vcc, v33, v1
                                        ; implicit-def: $vgpr15_vgpr16
	s_and_saveexec_b64 s[4:5], vcc
	s_xor_b64 s[4:5], exec, s[4:5]
	s_cbranch_execz .LBB1814_165
; %bb.164:
	v_xor_b32_e32 v2, 0xfffffeff, v0
	s_waitcnt lgkmcnt(6)
	v_ashrrev_i32_e32 v13, 31, v2
	v_add_co_u32_e32 v15, vcc, v23, v2
	v_addc_co_u32_e32 v16, vcc, v32, v13, vcc
                                        ; implicit-def: $vgpr33
.LBB1814_165:
	s_andn2_saveexec_b64 s[4:5], s[4:5]
; %bb.166:
	v_add_co_u32_e32 v15, vcc, v17, v33
	v_addc_co_u32_e32 v16, vcc, 0, v18, vcc
; %bb.167:
	s_or_b64 exec, exec, s[4:5]
	v_lshlrev_b64 v[15:16], 2, v[15:16]
	v_mov_b32_e32 v2, s27
	v_add_co_u32_e32 v15, vcc, s26, v15
	v_addc_co_u32_e32 v16, vcc, v2, v16, vcc
	s_waitcnt lgkmcnt(6)
	global_store_dword v[15:16], v14, off
	s_or_b64 exec, exec, s[2:3]
	v_cmp_gt_u32_e32 vcc, s33, v31
	s_and_saveexec_b64 s[2:3], vcc
	s_cbranch_execnz .LBB1814_133
.LBB1814_168:
	s_or_b64 exec, exec, s[2:3]
	v_cmp_gt_u32_e32 vcc, s33, v30
	s_and_saveexec_b64 s[2:3], vcc
	s_cbranch_execz .LBB1814_138
.LBB1814_169:
	v_cmp_ge_u32_e32 vcc, v30, v1
                                        ; implicit-def: $vgpr13_vgpr14
	s_and_saveexec_b64 s[4:5], vcc
	s_xor_b64 s[4:5], exec, s[4:5]
	s_cbranch_execz .LBB1814_171
; %bb.170:
	v_xor_b32_e32 v2, 0xfffffcff, v0
	s_waitcnt lgkmcnt(5)
	v_ashrrev_i32_e32 v11, 31, v2
	v_add_co_u32_e32 v13, vcc, v23, v2
	v_addc_co_u32_e32 v14, vcc, v32, v11, vcc
                                        ; implicit-def: $vgpr30
.LBB1814_171:
	s_andn2_saveexec_b64 s[4:5], s[4:5]
	s_cbranch_execz .LBB1814_173
; %bb.172:
	s_waitcnt lgkmcnt(6)
	v_add_co_u32_e32 v13, vcc, v17, v30
	v_addc_co_u32_e32 v14, vcc, 0, v18, vcc
.LBB1814_173:
	s_or_b64 exec, exec, s[4:5]
	s_waitcnt lgkmcnt(6)
	v_lshlrev_b64 v[13:14], 2, v[13:14]
	v_mov_b32_e32 v2, s27
	v_add_co_u32_e32 v13, vcc, s26, v13
	v_addc_co_u32_e32 v14, vcc, v2, v14, vcc
	s_waitcnt lgkmcnt(5)
	global_store_dword v[13:14], v12, off
	s_or_b64 exec, exec, s[2:3]
	v_cmp_gt_u32_e32 vcc, s33, v29
	s_and_saveexec_b64 s[2:3], vcc
	s_cbranch_execnz .LBB1814_139
.LBB1814_174:
	s_or_b64 exec, exec, s[2:3]
	v_cmp_gt_u32_e32 vcc, s33, v28
	s_and_saveexec_b64 s[2:3], vcc
	s_cbranch_execz .LBB1814_144
.LBB1814_175:
	v_cmp_ge_u32_e32 vcc, v28, v1
                                        ; implicit-def: $vgpr11_vgpr12
	s_and_saveexec_b64 s[4:5], vcc
	s_xor_b64 s[4:5], exec, s[4:5]
	s_cbranch_execz .LBB1814_177
; %bb.176:
	v_xor_b32_e32 v2, 0xfffffaff, v0
	s_waitcnt lgkmcnt(4)
	v_ashrrev_i32_e32 v9, 31, v2
	v_add_co_u32_e32 v11, vcc, v23, v2
	v_addc_co_u32_e32 v12, vcc, v32, v9, vcc
                                        ; implicit-def: $vgpr28
.LBB1814_177:
	s_andn2_saveexec_b64 s[4:5], s[4:5]
	s_cbranch_execz .LBB1814_179
; %bb.178:
	s_waitcnt lgkmcnt(5)
	v_add_co_u32_e32 v11, vcc, v17, v28
	v_addc_co_u32_e32 v12, vcc, 0, v18, vcc
.LBB1814_179:
	s_or_b64 exec, exec, s[4:5]
	s_waitcnt lgkmcnt(5)
	v_lshlrev_b64 v[11:12], 2, v[11:12]
	v_mov_b32_e32 v2, s27
	v_add_co_u32_e32 v11, vcc, s26, v11
	v_addc_co_u32_e32 v12, vcc, v2, v12, vcc
	s_waitcnt lgkmcnt(4)
	global_store_dword v[11:12], v10, off
	s_or_b64 exec, exec, s[2:3]
	v_cmp_gt_u32_e32 vcc, s33, v27
	s_and_saveexec_b64 s[2:3], vcc
	s_cbranch_execnz .LBB1814_145
.LBB1814_180:
	s_or_b64 exec, exec, s[2:3]
	v_cmp_gt_u32_e32 vcc, s33, v26
	s_and_saveexec_b64 s[2:3], vcc
	s_cbranch_execz .LBB1814_150
.LBB1814_181:
	v_cmp_ge_u32_e32 vcc, v26, v1
                                        ; implicit-def: $vgpr9_vgpr10
	s_and_saveexec_b64 s[4:5], vcc
	s_xor_b64 s[4:5], exec, s[4:5]
	s_cbranch_execz .LBB1814_183
; %bb.182:
	v_xor_b32_e32 v2, 0xfffff8ff, v0
	s_waitcnt lgkmcnt(3)
	v_ashrrev_i32_e32 v7, 31, v2
	v_add_co_u32_e32 v9, vcc, v23, v2
	v_addc_co_u32_e32 v10, vcc, v32, v7, vcc
                                        ; implicit-def: $vgpr26
.LBB1814_183:
	s_andn2_saveexec_b64 s[4:5], s[4:5]
	s_cbranch_execz .LBB1814_185
; %bb.184:
	s_waitcnt lgkmcnt(4)
	v_add_co_u32_e32 v9, vcc, v17, v26
	v_addc_co_u32_e32 v10, vcc, 0, v18, vcc
.LBB1814_185:
	s_or_b64 exec, exec, s[4:5]
	s_waitcnt lgkmcnt(4)
	v_lshlrev_b64 v[9:10], 2, v[9:10]
	v_mov_b32_e32 v2, s27
	v_add_co_u32_e32 v9, vcc, s26, v9
	v_addc_co_u32_e32 v10, vcc, v2, v10, vcc
	s_waitcnt lgkmcnt(3)
	global_store_dword v[9:10], v8, off
	s_or_b64 exec, exec, s[2:3]
	v_cmp_gt_u32_e32 vcc, s33, v25
	s_and_saveexec_b64 s[2:3], vcc
	s_cbranch_execnz .LBB1814_151
.LBB1814_186:
	s_or_b64 exec, exec, s[2:3]
	v_cmp_gt_u32_e32 vcc, s33, v24
	s_and_saveexec_b64 s[2:3], vcc
	s_cbranch_execz .LBB1814_156
.LBB1814_187:
	v_cmp_ge_u32_e32 vcc, v24, v1
                                        ; implicit-def: $vgpr7_vgpr8
	s_and_saveexec_b64 s[4:5], vcc
	s_xor_b64 s[4:5], exec, s[4:5]
	s_cbranch_execz .LBB1814_189
; %bb.188:
	v_xor_b32_e32 v2, 0xfffff6ff, v0
	s_waitcnt lgkmcnt(2)
	v_ashrrev_i32_e32 v5, 31, v2
	v_add_co_u32_e32 v7, vcc, v23, v2
	v_addc_co_u32_e32 v8, vcc, v32, v5, vcc
                                        ; implicit-def: $vgpr24
.LBB1814_189:
	s_andn2_saveexec_b64 s[4:5], s[4:5]
	s_cbranch_execz .LBB1814_191
; %bb.190:
	s_waitcnt lgkmcnt(3)
	v_add_co_u32_e32 v7, vcc, v17, v24
	v_addc_co_u32_e32 v8, vcc, 0, v18, vcc
.LBB1814_191:
	s_or_b64 exec, exec, s[4:5]
	s_waitcnt lgkmcnt(3)
	v_lshlrev_b64 v[7:8], 2, v[7:8]
	v_mov_b32_e32 v2, s27
	v_add_co_u32_e32 v7, vcc, s26, v7
	v_addc_co_u32_e32 v8, vcc, v2, v8, vcc
	s_waitcnt lgkmcnt(2)
	global_store_dword v[7:8], v6, off
	s_or_b64 exec, exec, s[2:3]
	v_cmp_gt_u32_e32 vcc, s33, v22
	s_and_saveexec_b64 s[2:3], vcc
	s_cbranch_execnz .LBB1814_157
.LBB1814_192:
	s_or_b64 exec, exec, s[2:3]
	v_cmp_gt_u32_e32 vcc, s33, v21
	s_and_saveexec_b64 s[2:3], vcc
	s_cbranch_execz .LBB1814_198
.LBB1814_193:
	v_cmp_ge_u32_e32 vcc, v21, v1
                                        ; implicit-def: $vgpr2_vgpr3
	s_and_saveexec_b64 s[4:5], vcc
	s_xor_b64 s[4:5], exec, s[4:5]
	s_cbranch_execz .LBB1814_195
; %bb.194:
	v_xor_b32_e32 v2, 0xfffff4ff, v0
	s_waitcnt lgkmcnt(1)
	v_ashrrev_i32_e32 v3, 31, v2
	v_add_co_u32_e32 v2, vcc, v23, v2
	v_addc_co_u32_e32 v3, vcc, v32, v3, vcc
                                        ; implicit-def: $vgpr21
.LBB1814_195:
	s_andn2_saveexec_b64 s[4:5], s[4:5]
	s_cbranch_execz .LBB1814_197
; %bb.196:
	v_add_co_u32_e32 v2, vcc, v17, v21
	s_waitcnt lgkmcnt(1)
	v_addc_co_u32_e32 v3, vcc, 0, v18, vcc
.LBB1814_197:
	s_or_b64 exec, exec, s[4:5]
	s_waitcnt lgkmcnt(1)
	v_lshlrev_b64 v[2:3], 2, v[2:3]
	v_mov_b32_e32 v5, s27
	v_add_co_u32_e32 v2, vcc, s26, v2
	v_addc_co_u32_e32 v3, vcc, v5, v3, vcc
	global_store_dword v[2:3], v4, off
.LBB1814_198:
	s_or_b64 exec, exec, s[2:3]
	v_cmp_gt_u32_e32 vcc, s33, v20
                                        ; implicit-def: $vgpr15_vgpr16
	s_and_saveexec_b64 s[2:3], vcc
	s_cbranch_execz .LBB1814_204
; %bb.199:
	v_cmp_ge_u32_e32 vcc, v20, v1
                                        ; implicit-def: $vgpr15_vgpr16
	s_and_saveexec_b64 s[4:5], vcc
	s_xor_b64 s[4:5], exec, s[4:5]
	s_cbranch_execz .LBB1814_201
; %bb.200:
	v_xor_b32_e32 v2, 0xfffff3ff, v0
	s_waitcnt lgkmcnt(1)
	v_ashrrev_i32_e32 v3, 31, v2
	v_add_co_u32_e32 v15, vcc, v23, v2
	v_addc_co_u32_e32 v16, vcc, v32, v3, vcc
                                        ; implicit-def: $vgpr20
.LBB1814_201:
	s_andn2_saveexec_b64 s[4:5], s[4:5]
; %bb.202:
	v_add_co_u32_e32 v15, vcc, v17, v20
	v_addc_co_u32_e32 v16, vcc, 0, v18, vcc
; %bb.203:
	s_or_b64 exec, exec, s[4:5]
	s_or_b64 s[0:1], s[0:1], exec
.LBB1814_204:
	s_or_b64 exec, exec, s[2:3]
.LBB1814_205:
	s_and_saveexec_b64 s[2:3], s[0:1]
	s_cbranch_execz .LBB1814_207
; %bb.206:
	s_waitcnt lgkmcnt(1)
	v_lshlrev_b64 v[2:3], 2, v[15:16]
	v_mov_b32_e32 v4, s27
	v_add_co_u32_e32 v2, vcc, s26, v2
	v_addc_co_u32_e32 v3, vcc, v4, v3, vcc
	s_waitcnt lgkmcnt(0)
	global_store_dword v[2:3], v19, off
.LBB1814_207:
	s_or_b64 exec, exec, s[2:3]
	v_cmp_eq_u32_e32 vcc, 0, v0
	s_and_b64 s[0:1], vcc, s[22:23]
	s_and_saveexec_b64 s[2:3], s[0:1]
	s_cbranch_execz .LBB1814_209
; %bb.208:
	v_add_co_u32_e32 v0, vcc, v17, v1
	v_mov_b32_e32 v2, 0
	v_addc_co_u32_e32 v1, vcc, 0, v18, vcc
	global_store_dwordx2 v2, v[0:1], s[24:25]
.LBB1814_209:
	s_endpgm
	.section	.rodata,"a",@progbits
	.p2align	6, 0x0
	.amdhsa_kernel _ZN7rocprim17ROCPRIM_400000_NS6detail17trampoline_kernelINS0_13select_configILj256ELj13ELNS0_17block_load_methodE3ELS4_3ELS4_3ELNS0_20block_scan_algorithmE0ELj4294967295EEENS1_25partition_config_selectorILNS1_17partition_subalgoE3EjNS0_10empty_typeEbEEZZNS1_14partition_implILS8_3ELb0ES6_jNS0_17counting_iteratorIjlEEPS9_SE_NS0_5tupleIJPjSE_EEENSF_IJSE_SE_EEES9_SG_JZNS1_25segmented_radix_sort_implINS0_14default_configELb0EPK6__halfPSL_PKlPlN2at6native12_GLOBAL__N_18offset_tEEE10hipError_tPvRmT1_PNSt15iterator_traitsISZ_E10value_typeET2_T3_PNS10_IS15_E10value_typeET4_jRbjT5_S1B_jjP12ihipStream_tbEUljE_EEESW_SX_SY_S15_S19_S1B_T6_T7_T9_mT8_S1D_bDpT10_ENKUlT_T0_E_clISt17integral_constantIbLb0EES1Q_EEDaS1L_S1M_EUlS1L_E_NS1_11comp_targetILNS1_3genE2ELNS1_11target_archE906ELNS1_3gpuE6ELNS1_3repE0EEENS1_30default_config_static_selectorELNS0_4arch9wavefront6targetE1EEEvSZ_
		.amdhsa_group_segment_fixed_size 13320
		.amdhsa_private_segment_fixed_size 0
		.amdhsa_kernarg_size 144
		.amdhsa_user_sgpr_count 6
		.amdhsa_user_sgpr_private_segment_buffer 1
		.amdhsa_user_sgpr_dispatch_ptr 0
		.amdhsa_user_sgpr_queue_ptr 0
		.amdhsa_user_sgpr_kernarg_segment_ptr 1
		.amdhsa_user_sgpr_dispatch_id 0
		.amdhsa_user_sgpr_flat_scratch_init 0
		.amdhsa_user_sgpr_private_segment_size 0
		.amdhsa_uses_dynamic_stack 0
		.amdhsa_system_sgpr_private_segment_wavefront_offset 0
		.amdhsa_system_sgpr_workgroup_id_x 1
		.amdhsa_system_sgpr_workgroup_id_y 0
		.amdhsa_system_sgpr_workgroup_id_z 0
		.amdhsa_system_sgpr_workgroup_info 0
		.amdhsa_system_vgpr_workitem_id 0
		.amdhsa_next_free_vgpr 69
		.amdhsa_next_free_sgpr 98
		.amdhsa_reserve_vcc 1
		.amdhsa_reserve_flat_scratch 0
		.amdhsa_float_round_mode_32 0
		.amdhsa_float_round_mode_16_64 0
		.amdhsa_float_denorm_mode_32 3
		.amdhsa_float_denorm_mode_16_64 3
		.amdhsa_dx10_clamp 1
		.amdhsa_ieee_mode 1
		.amdhsa_fp16_overflow 0
		.amdhsa_exception_fp_ieee_invalid_op 0
		.amdhsa_exception_fp_denorm_src 0
		.amdhsa_exception_fp_ieee_div_zero 0
		.amdhsa_exception_fp_ieee_overflow 0
		.amdhsa_exception_fp_ieee_underflow 0
		.amdhsa_exception_fp_ieee_inexact 0
		.amdhsa_exception_int_div_zero 0
	.end_amdhsa_kernel
	.section	.text._ZN7rocprim17ROCPRIM_400000_NS6detail17trampoline_kernelINS0_13select_configILj256ELj13ELNS0_17block_load_methodE3ELS4_3ELS4_3ELNS0_20block_scan_algorithmE0ELj4294967295EEENS1_25partition_config_selectorILNS1_17partition_subalgoE3EjNS0_10empty_typeEbEEZZNS1_14partition_implILS8_3ELb0ES6_jNS0_17counting_iteratorIjlEEPS9_SE_NS0_5tupleIJPjSE_EEENSF_IJSE_SE_EEES9_SG_JZNS1_25segmented_radix_sort_implINS0_14default_configELb0EPK6__halfPSL_PKlPlN2at6native12_GLOBAL__N_18offset_tEEE10hipError_tPvRmT1_PNSt15iterator_traitsISZ_E10value_typeET2_T3_PNS10_IS15_E10value_typeET4_jRbjT5_S1B_jjP12ihipStream_tbEUljE_EEESW_SX_SY_S15_S19_S1B_T6_T7_T9_mT8_S1D_bDpT10_ENKUlT_T0_E_clISt17integral_constantIbLb0EES1Q_EEDaS1L_S1M_EUlS1L_E_NS1_11comp_targetILNS1_3genE2ELNS1_11target_archE906ELNS1_3gpuE6ELNS1_3repE0EEENS1_30default_config_static_selectorELNS0_4arch9wavefront6targetE1EEEvSZ_,"axG",@progbits,_ZN7rocprim17ROCPRIM_400000_NS6detail17trampoline_kernelINS0_13select_configILj256ELj13ELNS0_17block_load_methodE3ELS4_3ELS4_3ELNS0_20block_scan_algorithmE0ELj4294967295EEENS1_25partition_config_selectorILNS1_17partition_subalgoE3EjNS0_10empty_typeEbEEZZNS1_14partition_implILS8_3ELb0ES6_jNS0_17counting_iteratorIjlEEPS9_SE_NS0_5tupleIJPjSE_EEENSF_IJSE_SE_EEES9_SG_JZNS1_25segmented_radix_sort_implINS0_14default_configELb0EPK6__halfPSL_PKlPlN2at6native12_GLOBAL__N_18offset_tEEE10hipError_tPvRmT1_PNSt15iterator_traitsISZ_E10value_typeET2_T3_PNS10_IS15_E10value_typeET4_jRbjT5_S1B_jjP12ihipStream_tbEUljE_EEESW_SX_SY_S15_S19_S1B_T6_T7_T9_mT8_S1D_bDpT10_ENKUlT_T0_E_clISt17integral_constantIbLb0EES1Q_EEDaS1L_S1M_EUlS1L_E_NS1_11comp_targetILNS1_3genE2ELNS1_11target_archE906ELNS1_3gpuE6ELNS1_3repE0EEENS1_30default_config_static_selectorELNS0_4arch9wavefront6targetE1EEEvSZ_,comdat
.Lfunc_end1814:
	.size	_ZN7rocprim17ROCPRIM_400000_NS6detail17trampoline_kernelINS0_13select_configILj256ELj13ELNS0_17block_load_methodE3ELS4_3ELS4_3ELNS0_20block_scan_algorithmE0ELj4294967295EEENS1_25partition_config_selectorILNS1_17partition_subalgoE3EjNS0_10empty_typeEbEEZZNS1_14partition_implILS8_3ELb0ES6_jNS0_17counting_iteratorIjlEEPS9_SE_NS0_5tupleIJPjSE_EEENSF_IJSE_SE_EEES9_SG_JZNS1_25segmented_radix_sort_implINS0_14default_configELb0EPK6__halfPSL_PKlPlN2at6native12_GLOBAL__N_18offset_tEEE10hipError_tPvRmT1_PNSt15iterator_traitsISZ_E10value_typeET2_T3_PNS10_IS15_E10value_typeET4_jRbjT5_S1B_jjP12ihipStream_tbEUljE_EEESW_SX_SY_S15_S19_S1B_T6_T7_T9_mT8_S1D_bDpT10_ENKUlT_T0_E_clISt17integral_constantIbLb0EES1Q_EEDaS1L_S1M_EUlS1L_E_NS1_11comp_targetILNS1_3genE2ELNS1_11target_archE906ELNS1_3gpuE6ELNS1_3repE0EEENS1_30default_config_static_selectorELNS0_4arch9wavefront6targetE1EEEvSZ_, .Lfunc_end1814-_ZN7rocprim17ROCPRIM_400000_NS6detail17trampoline_kernelINS0_13select_configILj256ELj13ELNS0_17block_load_methodE3ELS4_3ELS4_3ELNS0_20block_scan_algorithmE0ELj4294967295EEENS1_25partition_config_selectorILNS1_17partition_subalgoE3EjNS0_10empty_typeEbEEZZNS1_14partition_implILS8_3ELb0ES6_jNS0_17counting_iteratorIjlEEPS9_SE_NS0_5tupleIJPjSE_EEENSF_IJSE_SE_EEES9_SG_JZNS1_25segmented_radix_sort_implINS0_14default_configELb0EPK6__halfPSL_PKlPlN2at6native12_GLOBAL__N_18offset_tEEE10hipError_tPvRmT1_PNSt15iterator_traitsISZ_E10value_typeET2_T3_PNS10_IS15_E10value_typeET4_jRbjT5_S1B_jjP12ihipStream_tbEUljE_EEESW_SX_SY_S15_S19_S1B_T6_T7_T9_mT8_S1D_bDpT10_ENKUlT_T0_E_clISt17integral_constantIbLb0EES1Q_EEDaS1L_S1M_EUlS1L_E_NS1_11comp_targetILNS1_3genE2ELNS1_11target_archE906ELNS1_3gpuE6ELNS1_3repE0EEENS1_30default_config_static_selectorELNS0_4arch9wavefront6targetE1EEEvSZ_
                                        ; -- End function
	.set _ZN7rocprim17ROCPRIM_400000_NS6detail17trampoline_kernelINS0_13select_configILj256ELj13ELNS0_17block_load_methodE3ELS4_3ELS4_3ELNS0_20block_scan_algorithmE0ELj4294967295EEENS1_25partition_config_selectorILNS1_17partition_subalgoE3EjNS0_10empty_typeEbEEZZNS1_14partition_implILS8_3ELb0ES6_jNS0_17counting_iteratorIjlEEPS9_SE_NS0_5tupleIJPjSE_EEENSF_IJSE_SE_EEES9_SG_JZNS1_25segmented_radix_sort_implINS0_14default_configELb0EPK6__halfPSL_PKlPlN2at6native12_GLOBAL__N_18offset_tEEE10hipError_tPvRmT1_PNSt15iterator_traitsISZ_E10value_typeET2_T3_PNS10_IS15_E10value_typeET4_jRbjT5_S1B_jjP12ihipStream_tbEUljE_EEESW_SX_SY_S15_S19_S1B_T6_T7_T9_mT8_S1D_bDpT10_ENKUlT_T0_E_clISt17integral_constantIbLb0EES1Q_EEDaS1L_S1M_EUlS1L_E_NS1_11comp_targetILNS1_3genE2ELNS1_11target_archE906ELNS1_3gpuE6ELNS1_3repE0EEENS1_30default_config_static_selectorELNS0_4arch9wavefront6targetE1EEEvSZ_.num_vgpr, 69
	.set _ZN7rocprim17ROCPRIM_400000_NS6detail17trampoline_kernelINS0_13select_configILj256ELj13ELNS0_17block_load_methodE3ELS4_3ELS4_3ELNS0_20block_scan_algorithmE0ELj4294967295EEENS1_25partition_config_selectorILNS1_17partition_subalgoE3EjNS0_10empty_typeEbEEZZNS1_14partition_implILS8_3ELb0ES6_jNS0_17counting_iteratorIjlEEPS9_SE_NS0_5tupleIJPjSE_EEENSF_IJSE_SE_EEES9_SG_JZNS1_25segmented_radix_sort_implINS0_14default_configELb0EPK6__halfPSL_PKlPlN2at6native12_GLOBAL__N_18offset_tEEE10hipError_tPvRmT1_PNSt15iterator_traitsISZ_E10value_typeET2_T3_PNS10_IS15_E10value_typeET4_jRbjT5_S1B_jjP12ihipStream_tbEUljE_EEESW_SX_SY_S15_S19_S1B_T6_T7_T9_mT8_S1D_bDpT10_ENKUlT_T0_E_clISt17integral_constantIbLb0EES1Q_EEDaS1L_S1M_EUlS1L_E_NS1_11comp_targetILNS1_3genE2ELNS1_11target_archE906ELNS1_3gpuE6ELNS1_3repE0EEENS1_30default_config_static_selectorELNS0_4arch9wavefront6targetE1EEEvSZ_.num_agpr, 0
	.set _ZN7rocprim17ROCPRIM_400000_NS6detail17trampoline_kernelINS0_13select_configILj256ELj13ELNS0_17block_load_methodE3ELS4_3ELS4_3ELNS0_20block_scan_algorithmE0ELj4294967295EEENS1_25partition_config_selectorILNS1_17partition_subalgoE3EjNS0_10empty_typeEbEEZZNS1_14partition_implILS8_3ELb0ES6_jNS0_17counting_iteratorIjlEEPS9_SE_NS0_5tupleIJPjSE_EEENSF_IJSE_SE_EEES9_SG_JZNS1_25segmented_radix_sort_implINS0_14default_configELb0EPK6__halfPSL_PKlPlN2at6native12_GLOBAL__N_18offset_tEEE10hipError_tPvRmT1_PNSt15iterator_traitsISZ_E10value_typeET2_T3_PNS10_IS15_E10value_typeET4_jRbjT5_S1B_jjP12ihipStream_tbEUljE_EEESW_SX_SY_S15_S19_S1B_T6_T7_T9_mT8_S1D_bDpT10_ENKUlT_T0_E_clISt17integral_constantIbLb0EES1Q_EEDaS1L_S1M_EUlS1L_E_NS1_11comp_targetILNS1_3genE2ELNS1_11target_archE906ELNS1_3gpuE6ELNS1_3repE0EEENS1_30default_config_static_selectorELNS0_4arch9wavefront6targetE1EEEvSZ_.numbered_sgpr, 48
	.set _ZN7rocprim17ROCPRIM_400000_NS6detail17trampoline_kernelINS0_13select_configILj256ELj13ELNS0_17block_load_methodE3ELS4_3ELS4_3ELNS0_20block_scan_algorithmE0ELj4294967295EEENS1_25partition_config_selectorILNS1_17partition_subalgoE3EjNS0_10empty_typeEbEEZZNS1_14partition_implILS8_3ELb0ES6_jNS0_17counting_iteratorIjlEEPS9_SE_NS0_5tupleIJPjSE_EEENSF_IJSE_SE_EEES9_SG_JZNS1_25segmented_radix_sort_implINS0_14default_configELb0EPK6__halfPSL_PKlPlN2at6native12_GLOBAL__N_18offset_tEEE10hipError_tPvRmT1_PNSt15iterator_traitsISZ_E10value_typeET2_T3_PNS10_IS15_E10value_typeET4_jRbjT5_S1B_jjP12ihipStream_tbEUljE_EEESW_SX_SY_S15_S19_S1B_T6_T7_T9_mT8_S1D_bDpT10_ENKUlT_T0_E_clISt17integral_constantIbLb0EES1Q_EEDaS1L_S1M_EUlS1L_E_NS1_11comp_targetILNS1_3genE2ELNS1_11target_archE906ELNS1_3gpuE6ELNS1_3repE0EEENS1_30default_config_static_selectorELNS0_4arch9wavefront6targetE1EEEvSZ_.num_named_barrier, 0
	.set _ZN7rocprim17ROCPRIM_400000_NS6detail17trampoline_kernelINS0_13select_configILj256ELj13ELNS0_17block_load_methodE3ELS4_3ELS4_3ELNS0_20block_scan_algorithmE0ELj4294967295EEENS1_25partition_config_selectorILNS1_17partition_subalgoE3EjNS0_10empty_typeEbEEZZNS1_14partition_implILS8_3ELb0ES6_jNS0_17counting_iteratorIjlEEPS9_SE_NS0_5tupleIJPjSE_EEENSF_IJSE_SE_EEES9_SG_JZNS1_25segmented_radix_sort_implINS0_14default_configELb0EPK6__halfPSL_PKlPlN2at6native12_GLOBAL__N_18offset_tEEE10hipError_tPvRmT1_PNSt15iterator_traitsISZ_E10value_typeET2_T3_PNS10_IS15_E10value_typeET4_jRbjT5_S1B_jjP12ihipStream_tbEUljE_EEESW_SX_SY_S15_S19_S1B_T6_T7_T9_mT8_S1D_bDpT10_ENKUlT_T0_E_clISt17integral_constantIbLb0EES1Q_EEDaS1L_S1M_EUlS1L_E_NS1_11comp_targetILNS1_3genE2ELNS1_11target_archE906ELNS1_3gpuE6ELNS1_3repE0EEENS1_30default_config_static_selectorELNS0_4arch9wavefront6targetE1EEEvSZ_.private_seg_size, 0
	.set _ZN7rocprim17ROCPRIM_400000_NS6detail17trampoline_kernelINS0_13select_configILj256ELj13ELNS0_17block_load_methodE3ELS4_3ELS4_3ELNS0_20block_scan_algorithmE0ELj4294967295EEENS1_25partition_config_selectorILNS1_17partition_subalgoE3EjNS0_10empty_typeEbEEZZNS1_14partition_implILS8_3ELb0ES6_jNS0_17counting_iteratorIjlEEPS9_SE_NS0_5tupleIJPjSE_EEENSF_IJSE_SE_EEES9_SG_JZNS1_25segmented_radix_sort_implINS0_14default_configELb0EPK6__halfPSL_PKlPlN2at6native12_GLOBAL__N_18offset_tEEE10hipError_tPvRmT1_PNSt15iterator_traitsISZ_E10value_typeET2_T3_PNS10_IS15_E10value_typeET4_jRbjT5_S1B_jjP12ihipStream_tbEUljE_EEESW_SX_SY_S15_S19_S1B_T6_T7_T9_mT8_S1D_bDpT10_ENKUlT_T0_E_clISt17integral_constantIbLb0EES1Q_EEDaS1L_S1M_EUlS1L_E_NS1_11comp_targetILNS1_3genE2ELNS1_11target_archE906ELNS1_3gpuE6ELNS1_3repE0EEENS1_30default_config_static_selectorELNS0_4arch9wavefront6targetE1EEEvSZ_.uses_vcc, 1
	.set _ZN7rocprim17ROCPRIM_400000_NS6detail17trampoline_kernelINS0_13select_configILj256ELj13ELNS0_17block_load_methodE3ELS4_3ELS4_3ELNS0_20block_scan_algorithmE0ELj4294967295EEENS1_25partition_config_selectorILNS1_17partition_subalgoE3EjNS0_10empty_typeEbEEZZNS1_14partition_implILS8_3ELb0ES6_jNS0_17counting_iteratorIjlEEPS9_SE_NS0_5tupleIJPjSE_EEENSF_IJSE_SE_EEES9_SG_JZNS1_25segmented_radix_sort_implINS0_14default_configELb0EPK6__halfPSL_PKlPlN2at6native12_GLOBAL__N_18offset_tEEE10hipError_tPvRmT1_PNSt15iterator_traitsISZ_E10value_typeET2_T3_PNS10_IS15_E10value_typeET4_jRbjT5_S1B_jjP12ihipStream_tbEUljE_EEESW_SX_SY_S15_S19_S1B_T6_T7_T9_mT8_S1D_bDpT10_ENKUlT_T0_E_clISt17integral_constantIbLb0EES1Q_EEDaS1L_S1M_EUlS1L_E_NS1_11comp_targetILNS1_3genE2ELNS1_11target_archE906ELNS1_3gpuE6ELNS1_3repE0EEENS1_30default_config_static_selectorELNS0_4arch9wavefront6targetE1EEEvSZ_.uses_flat_scratch, 0
	.set _ZN7rocprim17ROCPRIM_400000_NS6detail17trampoline_kernelINS0_13select_configILj256ELj13ELNS0_17block_load_methodE3ELS4_3ELS4_3ELNS0_20block_scan_algorithmE0ELj4294967295EEENS1_25partition_config_selectorILNS1_17partition_subalgoE3EjNS0_10empty_typeEbEEZZNS1_14partition_implILS8_3ELb0ES6_jNS0_17counting_iteratorIjlEEPS9_SE_NS0_5tupleIJPjSE_EEENSF_IJSE_SE_EEES9_SG_JZNS1_25segmented_radix_sort_implINS0_14default_configELb0EPK6__halfPSL_PKlPlN2at6native12_GLOBAL__N_18offset_tEEE10hipError_tPvRmT1_PNSt15iterator_traitsISZ_E10value_typeET2_T3_PNS10_IS15_E10value_typeET4_jRbjT5_S1B_jjP12ihipStream_tbEUljE_EEESW_SX_SY_S15_S19_S1B_T6_T7_T9_mT8_S1D_bDpT10_ENKUlT_T0_E_clISt17integral_constantIbLb0EES1Q_EEDaS1L_S1M_EUlS1L_E_NS1_11comp_targetILNS1_3genE2ELNS1_11target_archE906ELNS1_3gpuE6ELNS1_3repE0EEENS1_30default_config_static_selectorELNS0_4arch9wavefront6targetE1EEEvSZ_.has_dyn_sized_stack, 0
	.set _ZN7rocprim17ROCPRIM_400000_NS6detail17trampoline_kernelINS0_13select_configILj256ELj13ELNS0_17block_load_methodE3ELS4_3ELS4_3ELNS0_20block_scan_algorithmE0ELj4294967295EEENS1_25partition_config_selectorILNS1_17partition_subalgoE3EjNS0_10empty_typeEbEEZZNS1_14partition_implILS8_3ELb0ES6_jNS0_17counting_iteratorIjlEEPS9_SE_NS0_5tupleIJPjSE_EEENSF_IJSE_SE_EEES9_SG_JZNS1_25segmented_radix_sort_implINS0_14default_configELb0EPK6__halfPSL_PKlPlN2at6native12_GLOBAL__N_18offset_tEEE10hipError_tPvRmT1_PNSt15iterator_traitsISZ_E10value_typeET2_T3_PNS10_IS15_E10value_typeET4_jRbjT5_S1B_jjP12ihipStream_tbEUljE_EEESW_SX_SY_S15_S19_S1B_T6_T7_T9_mT8_S1D_bDpT10_ENKUlT_T0_E_clISt17integral_constantIbLb0EES1Q_EEDaS1L_S1M_EUlS1L_E_NS1_11comp_targetILNS1_3genE2ELNS1_11target_archE906ELNS1_3gpuE6ELNS1_3repE0EEENS1_30default_config_static_selectorELNS0_4arch9wavefront6targetE1EEEvSZ_.has_recursion, 0
	.set _ZN7rocprim17ROCPRIM_400000_NS6detail17trampoline_kernelINS0_13select_configILj256ELj13ELNS0_17block_load_methodE3ELS4_3ELS4_3ELNS0_20block_scan_algorithmE0ELj4294967295EEENS1_25partition_config_selectorILNS1_17partition_subalgoE3EjNS0_10empty_typeEbEEZZNS1_14partition_implILS8_3ELb0ES6_jNS0_17counting_iteratorIjlEEPS9_SE_NS0_5tupleIJPjSE_EEENSF_IJSE_SE_EEES9_SG_JZNS1_25segmented_radix_sort_implINS0_14default_configELb0EPK6__halfPSL_PKlPlN2at6native12_GLOBAL__N_18offset_tEEE10hipError_tPvRmT1_PNSt15iterator_traitsISZ_E10value_typeET2_T3_PNS10_IS15_E10value_typeET4_jRbjT5_S1B_jjP12ihipStream_tbEUljE_EEESW_SX_SY_S15_S19_S1B_T6_T7_T9_mT8_S1D_bDpT10_ENKUlT_T0_E_clISt17integral_constantIbLb0EES1Q_EEDaS1L_S1M_EUlS1L_E_NS1_11comp_targetILNS1_3genE2ELNS1_11target_archE906ELNS1_3gpuE6ELNS1_3repE0EEENS1_30default_config_static_selectorELNS0_4arch9wavefront6targetE1EEEvSZ_.has_indirect_call, 0
	.section	.AMDGPU.csdata,"",@progbits
; Kernel info:
; codeLenInByte = 7612
; TotalNumSgprs: 52
; NumVgprs: 69
; ScratchSize: 0
; MemoryBound: 0
; FloatMode: 240
; IeeeMode: 1
; LDSByteSize: 13320 bytes/workgroup (compile time only)
; SGPRBlocks: 12
; VGPRBlocks: 17
; NumSGPRsForWavesPerEU: 102
; NumVGPRsForWavesPerEU: 69
; Occupancy: 3
; WaveLimiterHint : 0
; COMPUTE_PGM_RSRC2:SCRATCH_EN: 0
; COMPUTE_PGM_RSRC2:USER_SGPR: 6
; COMPUTE_PGM_RSRC2:TRAP_HANDLER: 0
; COMPUTE_PGM_RSRC2:TGID_X_EN: 1
; COMPUTE_PGM_RSRC2:TGID_Y_EN: 0
; COMPUTE_PGM_RSRC2:TGID_Z_EN: 0
; COMPUTE_PGM_RSRC2:TIDIG_COMP_CNT: 0
	.section	.text._ZN7rocprim17ROCPRIM_400000_NS6detail17trampoline_kernelINS0_13select_configILj256ELj13ELNS0_17block_load_methodE3ELS4_3ELS4_3ELNS0_20block_scan_algorithmE0ELj4294967295EEENS1_25partition_config_selectorILNS1_17partition_subalgoE3EjNS0_10empty_typeEbEEZZNS1_14partition_implILS8_3ELb0ES6_jNS0_17counting_iteratorIjlEEPS9_SE_NS0_5tupleIJPjSE_EEENSF_IJSE_SE_EEES9_SG_JZNS1_25segmented_radix_sort_implINS0_14default_configELb0EPK6__halfPSL_PKlPlN2at6native12_GLOBAL__N_18offset_tEEE10hipError_tPvRmT1_PNSt15iterator_traitsISZ_E10value_typeET2_T3_PNS10_IS15_E10value_typeET4_jRbjT5_S1B_jjP12ihipStream_tbEUljE_EEESW_SX_SY_S15_S19_S1B_T6_T7_T9_mT8_S1D_bDpT10_ENKUlT_T0_E_clISt17integral_constantIbLb0EES1Q_EEDaS1L_S1M_EUlS1L_E_NS1_11comp_targetILNS1_3genE10ELNS1_11target_archE1200ELNS1_3gpuE4ELNS1_3repE0EEENS1_30default_config_static_selectorELNS0_4arch9wavefront6targetE1EEEvSZ_,"axG",@progbits,_ZN7rocprim17ROCPRIM_400000_NS6detail17trampoline_kernelINS0_13select_configILj256ELj13ELNS0_17block_load_methodE3ELS4_3ELS4_3ELNS0_20block_scan_algorithmE0ELj4294967295EEENS1_25partition_config_selectorILNS1_17partition_subalgoE3EjNS0_10empty_typeEbEEZZNS1_14partition_implILS8_3ELb0ES6_jNS0_17counting_iteratorIjlEEPS9_SE_NS0_5tupleIJPjSE_EEENSF_IJSE_SE_EEES9_SG_JZNS1_25segmented_radix_sort_implINS0_14default_configELb0EPK6__halfPSL_PKlPlN2at6native12_GLOBAL__N_18offset_tEEE10hipError_tPvRmT1_PNSt15iterator_traitsISZ_E10value_typeET2_T3_PNS10_IS15_E10value_typeET4_jRbjT5_S1B_jjP12ihipStream_tbEUljE_EEESW_SX_SY_S15_S19_S1B_T6_T7_T9_mT8_S1D_bDpT10_ENKUlT_T0_E_clISt17integral_constantIbLb0EES1Q_EEDaS1L_S1M_EUlS1L_E_NS1_11comp_targetILNS1_3genE10ELNS1_11target_archE1200ELNS1_3gpuE4ELNS1_3repE0EEENS1_30default_config_static_selectorELNS0_4arch9wavefront6targetE1EEEvSZ_,comdat
	.globl	_ZN7rocprim17ROCPRIM_400000_NS6detail17trampoline_kernelINS0_13select_configILj256ELj13ELNS0_17block_load_methodE3ELS4_3ELS4_3ELNS0_20block_scan_algorithmE0ELj4294967295EEENS1_25partition_config_selectorILNS1_17partition_subalgoE3EjNS0_10empty_typeEbEEZZNS1_14partition_implILS8_3ELb0ES6_jNS0_17counting_iteratorIjlEEPS9_SE_NS0_5tupleIJPjSE_EEENSF_IJSE_SE_EEES9_SG_JZNS1_25segmented_radix_sort_implINS0_14default_configELb0EPK6__halfPSL_PKlPlN2at6native12_GLOBAL__N_18offset_tEEE10hipError_tPvRmT1_PNSt15iterator_traitsISZ_E10value_typeET2_T3_PNS10_IS15_E10value_typeET4_jRbjT5_S1B_jjP12ihipStream_tbEUljE_EEESW_SX_SY_S15_S19_S1B_T6_T7_T9_mT8_S1D_bDpT10_ENKUlT_T0_E_clISt17integral_constantIbLb0EES1Q_EEDaS1L_S1M_EUlS1L_E_NS1_11comp_targetILNS1_3genE10ELNS1_11target_archE1200ELNS1_3gpuE4ELNS1_3repE0EEENS1_30default_config_static_selectorELNS0_4arch9wavefront6targetE1EEEvSZ_ ; -- Begin function _ZN7rocprim17ROCPRIM_400000_NS6detail17trampoline_kernelINS0_13select_configILj256ELj13ELNS0_17block_load_methodE3ELS4_3ELS4_3ELNS0_20block_scan_algorithmE0ELj4294967295EEENS1_25partition_config_selectorILNS1_17partition_subalgoE3EjNS0_10empty_typeEbEEZZNS1_14partition_implILS8_3ELb0ES6_jNS0_17counting_iteratorIjlEEPS9_SE_NS0_5tupleIJPjSE_EEENSF_IJSE_SE_EEES9_SG_JZNS1_25segmented_radix_sort_implINS0_14default_configELb0EPK6__halfPSL_PKlPlN2at6native12_GLOBAL__N_18offset_tEEE10hipError_tPvRmT1_PNSt15iterator_traitsISZ_E10value_typeET2_T3_PNS10_IS15_E10value_typeET4_jRbjT5_S1B_jjP12ihipStream_tbEUljE_EEESW_SX_SY_S15_S19_S1B_T6_T7_T9_mT8_S1D_bDpT10_ENKUlT_T0_E_clISt17integral_constantIbLb0EES1Q_EEDaS1L_S1M_EUlS1L_E_NS1_11comp_targetILNS1_3genE10ELNS1_11target_archE1200ELNS1_3gpuE4ELNS1_3repE0EEENS1_30default_config_static_selectorELNS0_4arch9wavefront6targetE1EEEvSZ_
	.p2align	8
	.type	_ZN7rocprim17ROCPRIM_400000_NS6detail17trampoline_kernelINS0_13select_configILj256ELj13ELNS0_17block_load_methodE3ELS4_3ELS4_3ELNS0_20block_scan_algorithmE0ELj4294967295EEENS1_25partition_config_selectorILNS1_17partition_subalgoE3EjNS0_10empty_typeEbEEZZNS1_14partition_implILS8_3ELb0ES6_jNS0_17counting_iteratorIjlEEPS9_SE_NS0_5tupleIJPjSE_EEENSF_IJSE_SE_EEES9_SG_JZNS1_25segmented_radix_sort_implINS0_14default_configELb0EPK6__halfPSL_PKlPlN2at6native12_GLOBAL__N_18offset_tEEE10hipError_tPvRmT1_PNSt15iterator_traitsISZ_E10value_typeET2_T3_PNS10_IS15_E10value_typeET4_jRbjT5_S1B_jjP12ihipStream_tbEUljE_EEESW_SX_SY_S15_S19_S1B_T6_T7_T9_mT8_S1D_bDpT10_ENKUlT_T0_E_clISt17integral_constantIbLb0EES1Q_EEDaS1L_S1M_EUlS1L_E_NS1_11comp_targetILNS1_3genE10ELNS1_11target_archE1200ELNS1_3gpuE4ELNS1_3repE0EEENS1_30default_config_static_selectorELNS0_4arch9wavefront6targetE1EEEvSZ_,@function
_ZN7rocprim17ROCPRIM_400000_NS6detail17trampoline_kernelINS0_13select_configILj256ELj13ELNS0_17block_load_methodE3ELS4_3ELS4_3ELNS0_20block_scan_algorithmE0ELj4294967295EEENS1_25partition_config_selectorILNS1_17partition_subalgoE3EjNS0_10empty_typeEbEEZZNS1_14partition_implILS8_3ELb0ES6_jNS0_17counting_iteratorIjlEEPS9_SE_NS0_5tupleIJPjSE_EEENSF_IJSE_SE_EEES9_SG_JZNS1_25segmented_radix_sort_implINS0_14default_configELb0EPK6__halfPSL_PKlPlN2at6native12_GLOBAL__N_18offset_tEEE10hipError_tPvRmT1_PNSt15iterator_traitsISZ_E10value_typeET2_T3_PNS10_IS15_E10value_typeET4_jRbjT5_S1B_jjP12ihipStream_tbEUljE_EEESW_SX_SY_S15_S19_S1B_T6_T7_T9_mT8_S1D_bDpT10_ENKUlT_T0_E_clISt17integral_constantIbLb0EES1Q_EEDaS1L_S1M_EUlS1L_E_NS1_11comp_targetILNS1_3genE10ELNS1_11target_archE1200ELNS1_3gpuE4ELNS1_3repE0EEENS1_30default_config_static_selectorELNS0_4arch9wavefront6targetE1EEEvSZ_: ; @_ZN7rocprim17ROCPRIM_400000_NS6detail17trampoline_kernelINS0_13select_configILj256ELj13ELNS0_17block_load_methodE3ELS4_3ELS4_3ELNS0_20block_scan_algorithmE0ELj4294967295EEENS1_25partition_config_selectorILNS1_17partition_subalgoE3EjNS0_10empty_typeEbEEZZNS1_14partition_implILS8_3ELb0ES6_jNS0_17counting_iteratorIjlEEPS9_SE_NS0_5tupleIJPjSE_EEENSF_IJSE_SE_EEES9_SG_JZNS1_25segmented_radix_sort_implINS0_14default_configELb0EPK6__halfPSL_PKlPlN2at6native12_GLOBAL__N_18offset_tEEE10hipError_tPvRmT1_PNSt15iterator_traitsISZ_E10value_typeET2_T3_PNS10_IS15_E10value_typeET4_jRbjT5_S1B_jjP12ihipStream_tbEUljE_EEESW_SX_SY_S15_S19_S1B_T6_T7_T9_mT8_S1D_bDpT10_ENKUlT_T0_E_clISt17integral_constantIbLb0EES1Q_EEDaS1L_S1M_EUlS1L_E_NS1_11comp_targetILNS1_3genE10ELNS1_11target_archE1200ELNS1_3gpuE4ELNS1_3repE0EEENS1_30default_config_static_selectorELNS0_4arch9wavefront6targetE1EEEvSZ_
; %bb.0:
	.section	.rodata,"a",@progbits
	.p2align	6, 0x0
	.amdhsa_kernel _ZN7rocprim17ROCPRIM_400000_NS6detail17trampoline_kernelINS0_13select_configILj256ELj13ELNS0_17block_load_methodE3ELS4_3ELS4_3ELNS0_20block_scan_algorithmE0ELj4294967295EEENS1_25partition_config_selectorILNS1_17partition_subalgoE3EjNS0_10empty_typeEbEEZZNS1_14partition_implILS8_3ELb0ES6_jNS0_17counting_iteratorIjlEEPS9_SE_NS0_5tupleIJPjSE_EEENSF_IJSE_SE_EEES9_SG_JZNS1_25segmented_radix_sort_implINS0_14default_configELb0EPK6__halfPSL_PKlPlN2at6native12_GLOBAL__N_18offset_tEEE10hipError_tPvRmT1_PNSt15iterator_traitsISZ_E10value_typeET2_T3_PNS10_IS15_E10value_typeET4_jRbjT5_S1B_jjP12ihipStream_tbEUljE_EEESW_SX_SY_S15_S19_S1B_T6_T7_T9_mT8_S1D_bDpT10_ENKUlT_T0_E_clISt17integral_constantIbLb0EES1Q_EEDaS1L_S1M_EUlS1L_E_NS1_11comp_targetILNS1_3genE10ELNS1_11target_archE1200ELNS1_3gpuE4ELNS1_3repE0EEENS1_30default_config_static_selectorELNS0_4arch9wavefront6targetE1EEEvSZ_
		.amdhsa_group_segment_fixed_size 0
		.amdhsa_private_segment_fixed_size 0
		.amdhsa_kernarg_size 144
		.amdhsa_user_sgpr_count 6
		.amdhsa_user_sgpr_private_segment_buffer 1
		.amdhsa_user_sgpr_dispatch_ptr 0
		.amdhsa_user_sgpr_queue_ptr 0
		.amdhsa_user_sgpr_kernarg_segment_ptr 1
		.amdhsa_user_sgpr_dispatch_id 0
		.amdhsa_user_sgpr_flat_scratch_init 0
		.amdhsa_user_sgpr_private_segment_size 0
		.amdhsa_uses_dynamic_stack 0
		.amdhsa_system_sgpr_private_segment_wavefront_offset 0
		.amdhsa_system_sgpr_workgroup_id_x 1
		.amdhsa_system_sgpr_workgroup_id_y 0
		.amdhsa_system_sgpr_workgroup_id_z 0
		.amdhsa_system_sgpr_workgroup_info 0
		.amdhsa_system_vgpr_workitem_id 0
		.amdhsa_next_free_vgpr 1
		.amdhsa_next_free_sgpr 0
		.amdhsa_reserve_vcc 0
		.amdhsa_reserve_flat_scratch 0
		.amdhsa_float_round_mode_32 0
		.amdhsa_float_round_mode_16_64 0
		.amdhsa_float_denorm_mode_32 3
		.amdhsa_float_denorm_mode_16_64 3
		.amdhsa_dx10_clamp 1
		.amdhsa_ieee_mode 1
		.amdhsa_fp16_overflow 0
		.amdhsa_exception_fp_ieee_invalid_op 0
		.amdhsa_exception_fp_denorm_src 0
		.amdhsa_exception_fp_ieee_div_zero 0
		.amdhsa_exception_fp_ieee_overflow 0
		.amdhsa_exception_fp_ieee_underflow 0
		.amdhsa_exception_fp_ieee_inexact 0
		.amdhsa_exception_int_div_zero 0
	.end_amdhsa_kernel
	.section	.text._ZN7rocprim17ROCPRIM_400000_NS6detail17trampoline_kernelINS0_13select_configILj256ELj13ELNS0_17block_load_methodE3ELS4_3ELS4_3ELNS0_20block_scan_algorithmE0ELj4294967295EEENS1_25partition_config_selectorILNS1_17partition_subalgoE3EjNS0_10empty_typeEbEEZZNS1_14partition_implILS8_3ELb0ES6_jNS0_17counting_iteratorIjlEEPS9_SE_NS0_5tupleIJPjSE_EEENSF_IJSE_SE_EEES9_SG_JZNS1_25segmented_radix_sort_implINS0_14default_configELb0EPK6__halfPSL_PKlPlN2at6native12_GLOBAL__N_18offset_tEEE10hipError_tPvRmT1_PNSt15iterator_traitsISZ_E10value_typeET2_T3_PNS10_IS15_E10value_typeET4_jRbjT5_S1B_jjP12ihipStream_tbEUljE_EEESW_SX_SY_S15_S19_S1B_T6_T7_T9_mT8_S1D_bDpT10_ENKUlT_T0_E_clISt17integral_constantIbLb0EES1Q_EEDaS1L_S1M_EUlS1L_E_NS1_11comp_targetILNS1_3genE10ELNS1_11target_archE1200ELNS1_3gpuE4ELNS1_3repE0EEENS1_30default_config_static_selectorELNS0_4arch9wavefront6targetE1EEEvSZ_,"axG",@progbits,_ZN7rocprim17ROCPRIM_400000_NS6detail17trampoline_kernelINS0_13select_configILj256ELj13ELNS0_17block_load_methodE3ELS4_3ELS4_3ELNS0_20block_scan_algorithmE0ELj4294967295EEENS1_25partition_config_selectorILNS1_17partition_subalgoE3EjNS0_10empty_typeEbEEZZNS1_14partition_implILS8_3ELb0ES6_jNS0_17counting_iteratorIjlEEPS9_SE_NS0_5tupleIJPjSE_EEENSF_IJSE_SE_EEES9_SG_JZNS1_25segmented_radix_sort_implINS0_14default_configELb0EPK6__halfPSL_PKlPlN2at6native12_GLOBAL__N_18offset_tEEE10hipError_tPvRmT1_PNSt15iterator_traitsISZ_E10value_typeET2_T3_PNS10_IS15_E10value_typeET4_jRbjT5_S1B_jjP12ihipStream_tbEUljE_EEESW_SX_SY_S15_S19_S1B_T6_T7_T9_mT8_S1D_bDpT10_ENKUlT_T0_E_clISt17integral_constantIbLb0EES1Q_EEDaS1L_S1M_EUlS1L_E_NS1_11comp_targetILNS1_3genE10ELNS1_11target_archE1200ELNS1_3gpuE4ELNS1_3repE0EEENS1_30default_config_static_selectorELNS0_4arch9wavefront6targetE1EEEvSZ_,comdat
.Lfunc_end1815:
	.size	_ZN7rocprim17ROCPRIM_400000_NS6detail17trampoline_kernelINS0_13select_configILj256ELj13ELNS0_17block_load_methodE3ELS4_3ELS4_3ELNS0_20block_scan_algorithmE0ELj4294967295EEENS1_25partition_config_selectorILNS1_17partition_subalgoE3EjNS0_10empty_typeEbEEZZNS1_14partition_implILS8_3ELb0ES6_jNS0_17counting_iteratorIjlEEPS9_SE_NS0_5tupleIJPjSE_EEENSF_IJSE_SE_EEES9_SG_JZNS1_25segmented_radix_sort_implINS0_14default_configELb0EPK6__halfPSL_PKlPlN2at6native12_GLOBAL__N_18offset_tEEE10hipError_tPvRmT1_PNSt15iterator_traitsISZ_E10value_typeET2_T3_PNS10_IS15_E10value_typeET4_jRbjT5_S1B_jjP12ihipStream_tbEUljE_EEESW_SX_SY_S15_S19_S1B_T6_T7_T9_mT8_S1D_bDpT10_ENKUlT_T0_E_clISt17integral_constantIbLb0EES1Q_EEDaS1L_S1M_EUlS1L_E_NS1_11comp_targetILNS1_3genE10ELNS1_11target_archE1200ELNS1_3gpuE4ELNS1_3repE0EEENS1_30default_config_static_selectorELNS0_4arch9wavefront6targetE1EEEvSZ_, .Lfunc_end1815-_ZN7rocprim17ROCPRIM_400000_NS6detail17trampoline_kernelINS0_13select_configILj256ELj13ELNS0_17block_load_methodE3ELS4_3ELS4_3ELNS0_20block_scan_algorithmE0ELj4294967295EEENS1_25partition_config_selectorILNS1_17partition_subalgoE3EjNS0_10empty_typeEbEEZZNS1_14partition_implILS8_3ELb0ES6_jNS0_17counting_iteratorIjlEEPS9_SE_NS0_5tupleIJPjSE_EEENSF_IJSE_SE_EEES9_SG_JZNS1_25segmented_radix_sort_implINS0_14default_configELb0EPK6__halfPSL_PKlPlN2at6native12_GLOBAL__N_18offset_tEEE10hipError_tPvRmT1_PNSt15iterator_traitsISZ_E10value_typeET2_T3_PNS10_IS15_E10value_typeET4_jRbjT5_S1B_jjP12ihipStream_tbEUljE_EEESW_SX_SY_S15_S19_S1B_T6_T7_T9_mT8_S1D_bDpT10_ENKUlT_T0_E_clISt17integral_constantIbLb0EES1Q_EEDaS1L_S1M_EUlS1L_E_NS1_11comp_targetILNS1_3genE10ELNS1_11target_archE1200ELNS1_3gpuE4ELNS1_3repE0EEENS1_30default_config_static_selectorELNS0_4arch9wavefront6targetE1EEEvSZ_
                                        ; -- End function
	.set _ZN7rocprim17ROCPRIM_400000_NS6detail17trampoline_kernelINS0_13select_configILj256ELj13ELNS0_17block_load_methodE3ELS4_3ELS4_3ELNS0_20block_scan_algorithmE0ELj4294967295EEENS1_25partition_config_selectorILNS1_17partition_subalgoE3EjNS0_10empty_typeEbEEZZNS1_14partition_implILS8_3ELb0ES6_jNS0_17counting_iteratorIjlEEPS9_SE_NS0_5tupleIJPjSE_EEENSF_IJSE_SE_EEES9_SG_JZNS1_25segmented_radix_sort_implINS0_14default_configELb0EPK6__halfPSL_PKlPlN2at6native12_GLOBAL__N_18offset_tEEE10hipError_tPvRmT1_PNSt15iterator_traitsISZ_E10value_typeET2_T3_PNS10_IS15_E10value_typeET4_jRbjT5_S1B_jjP12ihipStream_tbEUljE_EEESW_SX_SY_S15_S19_S1B_T6_T7_T9_mT8_S1D_bDpT10_ENKUlT_T0_E_clISt17integral_constantIbLb0EES1Q_EEDaS1L_S1M_EUlS1L_E_NS1_11comp_targetILNS1_3genE10ELNS1_11target_archE1200ELNS1_3gpuE4ELNS1_3repE0EEENS1_30default_config_static_selectorELNS0_4arch9wavefront6targetE1EEEvSZ_.num_vgpr, 0
	.set _ZN7rocprim17ROCPRIM_400000_NS6detail17trampoline_kernelINS0_13select_configILj256ELj13ELNS0_17block_load_methodE3ELS4_3ELS4_3ELNS0_20block_scan_algorithmE0ELj4294967295EEENS1_25partition_config_selectorILNS1_17partition_subalgoE3EjNS0_10empty_typeEbEEZZNS1_14partition_implILS8_3ELb0ES6_jNS0_17counting_iteratorIjlEEPS9_SE_NS0_5tupleIJPjSE_EEENSF_IJSE_SE_EEES9_SG_JZNS1_25segmented_radix_sort_implINS0_14default_configELb0EPK6__halfPSL_PKlPlN2at6native12_GLOBAL__N_18offset_tEEE10hipError_tPvRmT1_PNSt15iterator_traitsISZ_E10value_typeET2_T3_PNS10_IS15_E10value_typeET4_jRbjT5_S1B_jjP12ihipStream_tbEUljE_EEESW_SX_SY_S15_S19_S1B_T6_T7_T9_mT8_S1D_bDpT10_ENKUlT_T0_E_clISt17integral_constantIbLb0EES1Q_EEDaS1L_S1M_EUlS1L_E_NS1_11comp_targetILNS1_3genE10ELNS1_11target_archE1200ELNS1_3gpuE4ELNS1_3repE0EEENS1_30default_config_static_selectorELNS0_4arch9wavefront6targetE1EEEvSZ_.num_agpr, 0
	.set _ZN7rocprim17ROCPRIM_400000_NS6detail17trampoline_kernelINS0_13select_configILj256ELj13ELNS0_17block_load_methodE3ELS4_3ELS4_3ELNS0_20block_scan_algorithmE0ELj4294967295EEENS1_25partition_config_selectorILNS1_17partition_subalgoE3EjNS0_10empty_typeEbEEZZNS1_14partition_implILS8_3ELb0ES6_jNS0_17counting_iteratorIjlEEPS9_SE_NS0_5tupleIJPjSE_EEENSF_IJSE_SE_EEES9_SG_JZNS1_25segmented_radix_sort_implINS0_14default_configELb0EPK6__halfPSL_PKlPlN2at6native12_GLOBAL__N_18offset_tEEE10hipError_tPvRmT1_PNSt15iterator_traitsISZ_E10value_typeET2_T3_PNS10_IS15_E10value_typeET4_jRbjT5_S1B_jjP12ihipStream_tbEUljE_EEESW_SX_SY_S15_S19_S1B_T6_T7_T9_mT8_S1D_bDpT10_ENKUlT_T0_E_clISt17integral_constantIbLb0EES1Q_EEDaS1L_S1M_EUlS1L_E_NS1_11comp_targetILNS1_3genE10ELNS1_11target_archE1200ELNS1_3gpuE4ELNS1_3repE0EEENS1_30default_config_static_selectorELNS0_4arch9wavefront6targetE1EEEvSZ_.numbered_sgpr, 0
	.set _ZN7rocprim17ROCPRIM_400000_NS6detail17trampoline_kernelINS0_13select_configILj256ELj13ELNS0_17block_load_methodE3ELS4_3ELS4_3ELNS0_20block_scan_algorithmE0ELj4294967295EEENS1_25partition_config_selectorILNS1_17partition_subalgoE3EjNS0_10empty_typeEbEEZZNS1_14partition_implILS8_3ELb0ES6_jNS0_17counting_iteratorIjlEEPS9_SE_NS0_5tupleIJPjSE_EEENSF_IJSE_SE_EEES9_SG_JZNS1_25segmented_radix_sort_implINS0_14default_configELb0EPK6__halfPSL_PKlPlN2at6native12_GLOBAL__N_18offset_tEEE10hipError_tPvRmT1_PNSt15iterator_traitsISZ_E10value_typeET2_T3_PNS10_IS15_E10value_typeET4_jRbjT5_S1B_jjP12ihipStream_tbEUljE_EEESW_SX_SY_S15_S19_S1B_T6_T7_T9_mT8_S1D_bDpT10_ENKUlT_T0_E_clISt17integral_constantIbLb0EES1Q_EEDaS1L_S1M_EUlS1L_E_NS1_11comp_targetILNS1_3genE10ELNS1_11target_archE1200ELNS1_3gpuE4ELNS1_3repE0EEENS1_30default_config_static_selectorELNS0_4arch9wavefront6targetE1EEEvSZ_.num_named_barrier, 0
	.set _ZN7rocprim17ROCPRIM_400000_NS6detail17trampoline_kernelINS0_13select_configILj256ELj13ELNS0_17block_load_methodE3ELS4_3ELS4_3ELNS0_20block_scan_algorithmE0ELj4294967295EEENS1_25partition_config_selectorILNS1_17partition_subalgoE3EjNS0_10empty_typeEbEEZZNS1_14partition_implILS8_3ELb0ES6_jNS0_17counting_iteratorIjlEEPS9_SE_NS0_5tupleIJPjSE_EEENSF_IJSE_SE_EEES9_SG_JZNS1_25segmented_radix_sort_implINS0_14default_configELb0EPK6__halfPSL_PKlPlN2at6native12_GLOBAL__N_18offset_tEEE10hipError_tPvRmT1_PNSt15iterator_traitsISZ_E10value_typeET2_T3_PNS10_IS15_E10value_typeET4_jRbjT5_S1B_jjP12ihipStream_tbEUljE_EEESW_SX_SY_S15_S19_S1B_T6_T7_T9_mT8_S1D_bDpT10_ENKUlT_T0_E_clISt17integral_constantIbLb0EES1Q_EEDaS1L_S1M_EUlS1L_E_NS1_11comp_targetILNS1_3genE10ELNS1_11target_archE1200ELNS1_3gpuE4ELNS1_3repE0EEENS1_30default_config_static_selectorELNS0_4arch9wavefront6targetE1EEEvSZ_.private_seg_size, 0
	.set _ZN7rocprim17ROCPRIM_400000_NS6detail17trampoline_kernelINS0_13select_configILj256ELj13ELNS0_17block_load_methodE3ELS4_3ELS4_3ELNS0_20block_scan_algorithmE0ELj4294967295EEENS1_25partition_config_selectorILNS1_17partition_subalgoE3EjNS0_10empty_typeEbEEZZNS1_14partition_implILS8_3ELb0ES6_jNS0_17counting_iteratorIjlEEPS9_SE_NS0_5tupleIJPjSE_EEENSF_IJSE_SE_EEES9_SG_JZNS1_25segmented_radix_sort_implINS0_14default_configELb0EPK6__halfPSL_PKlPlN2at6native12_GLOBAL__N_18offset_tEEE10hipError_tPvRmT1_PNSt15iterator_traitsISZ_E10value_typeET2_T3_PNS10_IS15_E10value_typeET4_jRbjT5_S1B_jjP12ihipStream_tbEUljE_EEESW_SX_SY_S15_S19_S1B_T6_T7_T9_mT8_S1D_bDpT10_ENKUlT_T0_E_clISt17integral_constantIbLb0EES1Q_EEDaS1L_S1M_EUlS1L_E_NS1_11comp_targetILNS1_3genE10ELNS1_11target_archE1200ELNS1_3gpuE4ELNS1_3repE0EEENS1_30default_config_static_selectorELNS0_4arch9wavefront6targetE1EEEvSZ_.uses_vcc, 0
	.set _ZN7rocprim17ROCPRIM_400000_NS6detail17trampoline_kernelINS0_13select_configILj256ELj13ELNS0_17block_load_methodE3ELS4_3ELS4_3ELNS0_20block_scan_algorithmE0ELj4294967295EEENS1_25partition_config_selectorILNS1_17partition_subalgoE3EjNS0_10empty_typeEbEEZZNS1_14partition_implILS8_3ELb0ES6_jNS0_17counting_iteratorIjlEEPS9_SE_NS0_5tupleIJPjSE_EEENSF_IJSE_SE_EEES9_SG_JZNS1_25segmented_radix_sort_implINS0_14default_configELb0EPK6__halfPSL_PKlPlN2at6native12_GLOBAL__N_18offset_tEEE10hipError_tPvRmT1_PNSt15iterator_traitsISZ_E10value_typeET2_T3_PNS10_IS15_E10value_typeET4_jRbjT5_S1B_jjP12ihipStream_tbEUljE_EEESW_SX_SY_S15_S19_S1B_T6_T7_T9_mT8_S1D_bDpT10_ENKUlT_T0_E_clISt17integral_constantIbLb0EES1Q_EEDaS1L_S1M_EUlS1L_E_NS1_11comp_targetILNS1_3genE10ELNS1_11target_archE1200ELNS1_3gpuE4ELNS1_3repE0EEENS1_30default_config_static_selectorELNS0_4arch9wavefront6targetE1EEEvSZ_.uses_flat_scratch, 0
	.set _ZN7rocprim17ROCPRIM_400000_NS6detail17trampoline_kernelINS0_13select_configILj256ELj13ELNS0_17block_load_methodE3ELS4_3ELS4_3ELNS0_20block_scan_algorithmE0ELj4294967295EEENS1_25partition_config_selectorILNS1_17partition_subalgoE3EjNS0_10empty_typeEbEEZZNS1_14partition_implILS8_3ELb0ES6_jNS0_17counting_iteratorIjlEEPS9_SE_NS0_5tupleIJPjSE_EEENSF_IJSE_SE_EEES9_SG_JZNS1_25segmented_radix_sort_implINS0_14default_configELb0EPK6__halfPSL_PKlPlN2at6native12_GLOBAL__N_18offset_tEEE10hipError_tPvRmT1_PNSt15iterator_traitsISZ_E10value_typeET2_T3_PNS10_IS15_E10value_typeET4_jRbjT5_S1B_jjP12ihipStream_tbEUljE_EEESW_SX_SY_S15_S19_S1B_T6_T7_T9_mT8_S1D_bDpT10_ENKUlT_T0_E_clISt17integral_constantIbLb0EES1Q_EEDaS1L_S1M_EUlS1L_E_NS1_11comp_targetILNS1_3genE10ELNS1_11target_archE1200ELNS1_3gpuE4ELNS1_3repE0EEENS1_30default_config_static_selectorELNS0_4arch9wavefront6targetE1EEEvSZ_.has_dyn_sized_stack, 0
	.set _ZN7rocprim17ROCPRIM_400000_NS6detail17trampoline_kernelINS0_13select_configILj256ELj13ELNS0_17block_load_methodE3ELS4_3ELS4_3ELNS0_20block_scan_algorithmE0ELj4294967295EEENS1_25partition_config_selectorILNS1_17partition_subalgoE3EjNS0_10empty_typeEbEEZZNS1_14partition_implILS8_3ELb0ES6_jNS0_17counting_iteratorIjlEEPS9_SE_NS0_5tupleIJPjSE_EEENSF_IJSE_SE_EEES9_SG_JZNS1_25segmented_radix_sort_implINS0_14default_configELb0EPK6__halfPSL_PKlPlN2at6native12_GLOBAL__N_18offset_tEEE10hipError_tPvRmT1_PNSt15iterator_traitsISZ_E10value_typeET2_T3_PNS10_IS15_E10value_typeET4_jRbjT5_S1B_jjP12ihipStream_tbEUljE_EEESW_SX_SY_S15_S19_S1B_T6_T7_T9_mT8_S1D_bDpT10_ENKUlT_T0_E_clISt17integral_constantIbLb0EES1Q_EEDaS1L_S1M_EUlS1L_E_NS1_11comp_targetILNS1_3genE10ELNS1_11target_archE1200ELNS1_3gpuE4ELNS1_3repE0EEENS1_30default_config_static_selectorELNS0_4arch9wavefront6targetE1EEEvSZ_.has_recursion, 0
	.set _ZN7rocprim17ROCPRIM_400000_NS6detail17trampoline_kernelINS0_13select_configILj256ELj13ELNS0_17block_load_methodE3ELS4_3ELS4_3ELNS0_20block_scan_algorithmE0ELj4294967295EEENS1_25partition_config_selectorILNS1_17partition_subalgoE3EjNS0_10empty_typeEbEEZZNS1_14partition_implILS8_3ELb0ES6_jNS0_17counting_iteratorIjlEEPS9_SE_NS0_5tupleIJPjSE_EEENSF_IJSE_SE_EEES9_SG_JZNS1_25segmented_radix_sort_implINS0_14default_configELb0EPK6__halfPSL_PKlPlN2at6native12_GLOBAL__N_18offset_tEEE10hipError_tPvRmT1_PNSt15iterator_traitsISZ_E10value_typeET2_T3_PNS10_IS15_E10value_typeET4_jRbjT5_S1B_jjP12ihipStream_tbEUljE_EEESW_SX_SY_S15_S19_S1B_T6_T7_T9_mT8_S1D_bDpT10_ENKUlT_T0_E_clISt17integral_constantIbLb0EES1Q_EEDaS1L_S1M_EUlS1L_E_NS1_11comp_targetILNS1_3genE10ELNS1_11target_archE1200ELNS1_3gpuE4ELNS1_3repE0EEENS1_30default_config_static_selectorELNS0_4arch9wavefront6targetE1EEEvSZ_.has_indirect_call, 0
	.section	.AMDGPU.csdata,"",@progbits
; Kernel info:
; codeLenInByte = 0
; TotalNumSgprs: 4
; NumVgprs: 0
; ScratchSize: 0
; MemoryBound: 0
; FloatMode: 240
; IeeeMode: 1
; LDSByteSize: 0 bytes/workgroup (compile time only)
; SGPRBlocks: 0
; VGPRBlocks: 0
; NumSGPRsForWavesPerEU: 4
; NumVGPRsForWavesPerEU: 1
; Occupancy: 10
; WaveLimiterHint : 0
; COMPUTE_PGM_RSRC2:SCRATCH_EN: 0
; COMPUTE_PGM_RSRC2:USER_SGPR: 6
; COMPUTE_PGM_RSRC2:TRAP_HANDLER: 0
; COMPUTE_PGM_RSRC2:TGID_X_EN: 1
; COMPUTE_PGM_RSRC2:TGID_Y_EN: 0
; COMPUTE_PGM_RSRC2:TGID_Z_EN: 0
; COMPUTE_PGM_RSRC2:TIDIG_COMP_CNT: 0
	.section	.text._ZN7rocprim17ROCPRIM_400000_NS6detail17trampoline_kernelINS0_13select_configILj256ELj13ELNS0_17block_load_methodE3ELS4_3ELS4_3ELNS0_20block_scan_algorithmE0ELj4294967295EEENS1_25partition_config_selectorILNS1_17partition_subalgoE3EjNS0_10empty_typeEbEEZZNS1_14partition_implILS8_3ELb0ES6_jNS0_17counting_iteratorIjlEEPS9_SE_NS0_5tupleIJPjSE_EEENSF_IJSE_SE_EEES9_SG_JZNS1_25segmented_radix_sort_implINS0_14default_configELb0EPK6__halfPSL_PKlPlN2at6native12_GLOBAL__N_18offset_tEEE10hipError_tPvRmT1_PNSt15iterator_traitsISZ_E10value_typeET2_T3_PNS10_IS15_E10value_typeET4_jRbjT5_S1B_jjP12ihipStream_tbEUljE_EEESW_SX_SY_S15_S19_S1B_T6_T7_T9_mT8_S1D_bDpT10_ENKUlT_T0_E_clISt17integral_constantIbLb0EES1Q_EEDaS1L_S1M_EUlS1L_E_NS1_11comp_targetILNS1_3genE9ELNS1_11target_archE1100ELNS1_3gpuE3ELNS1_3repE0EEENS1_30default_config_static_selectorELNS0_4arch9wavefront6targetE1EEEvSZ_,"axG",@progbits,_ZN7rocprim17ROCPRIM_400000_NS6detail17trampoline_kernelINS0_13select_configILj256ELj13ELNS0_17block_load_methodE3ELS4_3ELS4_3ELNS0_20block_scan_algorithmE0ELj4294967295EEENS1_25partition_config_selectorILNS1_17partition_subalgoE3EjNS0_10empty_typeEbEEZZNS1_14partition_implILS8_3ELb0ES6_jNS0_17counting_iteratorIjlEEPS9_SE_NS0_5tupleIJPjSE_EEENSF_IJSE_SE_EEES9_SG_JZNS1_25segmented_radix_sort_implINS0_14default_configELb0EPK6__halfPSL_PKlPlN2at6native12_GLOBAL__N_18offset_tEEE10hipError_tPvRmT1_PNSt15iterator_traitsISZ_E10value_typeET2_T3_PNS10_IS15_E10value_typeET4_jRbjT5_S1B_jjP12ihipStream_tbEUljE_EEESW_SX_SY_S15_S19_S1B_T6_T7_T9_mT8_S1D_bDpT10_ENKUlT_T0_E_clISt17integral_constantIbLb0EES1Q_EEDaS1L_S1M_EUlS1L_E_NS1_11comp_targetILNS1_3genE9ELNS1_11target_archE1100ELNS1_3gpuE3ELNS1_3repE0EEENS1_30default_config_static_selectorELNS0_4arch9wavefront6targetE1EEEvSZ_,comdat
	.globl	_ZN7rocprim17ROCPRIM_400000_NS6detail17trampoline_kernelINS0_13select_configILj256ELj13ELNS0_17block_load_methodE3ELS4_3ELS4_3ELNS0_20block_scan_algorithmE0ELj4294967295EEENS1_25partition_config_selectorILNS1_17partition_subalgoE3EjNS0_10empty_typeEbEEZZNS1_14partition_implILS8_3ELb0ES6_jNS0_17counting_iteratorIjlEEPS9_SE_NS0_5tupleIJPjSE_EEENSF_IJSE_SE_EEES9_SG_JZNS1_25segmented_radix_sort_implINS0_14default_configELb0EPK6__halfPSL_PKlPlN2at6native12_GLOBAL__N_18offset_tEEE10hipError_tPvRmT1_PNSt15iterator_traitsISZ_E10value_typeET2_T3_PNS10_IS15_E10value_typeET4_jRbjT5_S1B_jjP12ihipStream_tbEUljE_EEESW_SX_SY_S15_S19_S1B_T6_T7_T9_mT8_S1D_bDpT10_ENKUlT_T0_E_clISt17integral_constantIbLb0EES1Q_EEDaS1L_S1M_EUlS1L_E_NS1_11comp_targetILNS1_3genE9ELNS1_11target_archE1100ELNS1_3gpuE3ELNS1_3repE0EEENS1_30default_config_static_selectorELNS0_4arch9wavefront6targetE1EEEvSZ_ ; -- Begin function _ZN7rocprim17ROCPRIM_400000_NS6detail17trampoline_kernelINS0_13select_configILj256ELj13ELNS0_17block_load_methodE3ELS4_3ELS4_3ELNS0_20block_scan_algorithmE0ELj4294967295EEENS1_25partition_config_selectorILNS1_17partition_subalgoE3EjNS0_10empty_typeEbEEZZNS1_14partition_implILS8_3ELb0ES6_jNS0_17counting_iteratorIjlEEPS9_SE_NS0_5tupleIJPjSE_EEENSF_IJSE_SE_EEES9_SG_JZNS1_25segmented_radix_sort_implINS0_14default_configELb0EPK6__halfPSL_PKlPlN2at6native12_GLOBAL__N_18offset_tEEE10hipError_tPvRmT1_PNSt15iterator_traitsISZ_E10value_typeET2_T3_PNS10_IS15_E10value_typeET4_jRbjT5_S1B_jjP12ihipStream_tbEUljE_EEESW_SX_SY_S15_S19_S1B_T6_T7_T9_mT8_S1D_bDpT10_ENKUlT_T0_E_clISt17integral_constantIbLb0EES1Q_EEDaS1L_S1M_EUlS1L_E_NS1_11comp_targetILNS1_3genE9ELNS1_11target_archE1100ELNS1_3gpuE3ELNS1_3repE0EEENS1_30default_config_static_selectorELNS0_4arch9wavefront6targetE1EEEvSZ_
	.p2align	8
	.type	_ZN7rocprim17ROCPRIM_400000_NS6detail17trampoline_kernelINS0_13select_configILj256ELj13ELNS0_17block_load_methodE3ELS4_3ELS4_3ELNS0_20block_scan_algorithmE0ELj4294967295EEENS1_25partition_config_selectorILNS1_17partition_subalgoE3EjNS0_10empty_typeEbEEZZNS1_14partition_implILS8_3ELb0ES6_jNS0_17counting_iteratorIjlEEPS9_SE_NS0_5tupleIJPjSE_EEENSF_IJSE_SE_EEES9_SG_JZNS1_25segmented_radix_sort_implINS0_14default_configELb0EPK6__halfPSL_PKlPlN2at6native12_GLOBAL__N_18offset_tEEE10hipError_tPvRmT1_PNSt15iterator_traitsISZ_E10value_typeET2_T3_PNS10_IS15_E10value_typeET4_jRbjT5_S1B_jjP12ihipStream_tbEUljE_EEESW_SX_SY_S15_S19_S1B_T6_T7_T9_mT8_S1D_bDpT10_ENKUlT_T0_E_clISt17integral_constantIbLb0EES1Q_EEDaS1L_S1M_EUlS1L_E_NS1_11comp_targetILNS1_3genE9ELNS1_11target_archE1100ELNS1_3gpuE3ELNS1_3repE0EEENS1_30default_config_static_selectorELNS0_4arch9wavefront6targetE1EEEvSZ_,@function
_ZN7rocprim17ROCPRIM_400000_NS6detail17trampoline_kernelINS0_13select_configILj256ELj13ELNS0_17block_load_methodE3ELS4_3ELS4_3ELNS0_20block_scan_algorithmE0ELj4294967295EEENS1_25partition_config_selectorILNS1_17partition_subalgoE3EjNS0_10empty_typeEbEEZZNS1_14partition_implILS8_3ELb0ES6_jNS0_17counting_iteratorIjlEEPS9_SE_NS0_5tupleIJPjSE_EEENSF_IJSE_SE_EEES9_SG_JZNS1_25segmented_radix_sort_implINS0_14default_configELb0EPK6__halfPSL_PKlPlN2at6native12_GLOBAL__N_18offset_tEEE10hipError_tPvRmT1_PNSt15iterator_traitsISZ_E10value_typeET2_T3_PNS10_IS15_E10value_typeET4_jRbjT5_S1B_jjP12ihipStream_tbEUljE_EEESW_SX_SY_S15_S19_S1B_T6_T7_T9_mT8_S1D_bDpT10_ENKUlT_T0_E_clISt17integral_constantIbLb0EES1Q_EEDaS1L_S1M_EUlS1L_E_NS1_11comp_targetILNS1_3genE9ELNS1_11target_archE1100ELNS1_3gpuE3ELNS1_3repE0EEENS1_30default_config_static_selectorELNS0_4arch9wavefront6targetE1EEEvSZ_: ; @_ZN7rocprim17ROCPRIM_400000_NS6detail17trampoline_kernelINS0_13select_configILj256ELj13ELNS0_17block_load_methodE3ELS4_3ELS4_3ELNS0_20block_scan_algorithmE0ELj4294967295EEENS1_25partition_config_selectorILNS1_17partition_subalgoE3EjNS0_10empty_typeEbEEZZNS1_14partition_implILS8_3ELb0ES6_jNS0_17counting_iteratorIjlEEPS9_SE_NS0_5tupleIJPjSE_EEENSF_IJSE_SE_EEES9_SG_JZNS1_25segmented_radix_sort_implINS0_14default_configELb0EPK6__halfPSL_PKlPlN2at6native12_GLOBAL__N_18offset_tEEE10hipError_tPvRmT1_PNSt15iterator_traitsISZ_E10value_typeET2_T3_PNS10_IS15_E10value_typeET4_jRbjT5_S1B_jjP12ihipStream_tbEUljE_EEESW_SX_SY_S15_S19_S1B_T6_T7_T9_mT8_S1D_bDpT10_ENKUlT_T0_E_clISt17integral_constantIbLb0EES1Q_EEDaS1L_S1M_EUlS1L_E_NS1_11comp_targetILNS1_3genE9ELNS1_11target_archE1100ELNS1_3gpuE3ELNS1_3repE0EEENS1_30default_config_static_selectorELNS0_4arch9wavefront6targetE1EEEvSZ_
; %bb.0:
	.section	.rodata,"a",@progbits
	.p2align	6, 0x0
	.amdhsa_kernel _ZN7rocprim17ROCPRIM_400000_NS6detail17trampoline_kernelINS0_13select_configILj256ELj13ELNS0_17block_load_methodE3ELS4_3ELS4_3ELNS0_20block_scan_algorithmE0ELj4294967295EEENS1_25partition_config_selectorILNS1_17partition_subalgoE3EjNS0_10empty_typeEbEEZZNS1_14partition_implILS8_3ELb0ES6_jNS0_17counting_iteratorIjlEEPS9_SE_NS0_5tupleIJPjSE_EEENSF_IJSE_SE_EEES9_SG_JZNS1_25segmented_radix_sort_implINS0_14default_configELb0EPK6__halfPSL_PKlPlN2at6native12_GLOBAL__N_18offset_tEEE10hipError_tPvRmT1_PNSt15iterator_traitsISZ_E10value_typeET2_T3_PNS10_IS15_E10value_typeET4_jRbjT5_S1B_jjP12ihipStream_tbEUljE_EEESW_SX_SY_S15_S19_S1B_T6_T7_T9_mT8_S1D_bDpT10_ENKUlT_T0_E_clISt17integral_constantIbLb0EES1Q_EEDaS1L_S1M_EUlS1L_E_NS1_11comp_targetILNS1_3genE9ELNS1_11target_archE1100ELNS1_3gpuE3ELNS1_3repE0EEENS1_30default_config_static_selectorELNS0_4arch9wavefront6targetE1EEEvSZ_
		.amdhsa_group_segment_fixed_size 0
		.amdhsa_private_segment_fixed_size 0
		.amdhsa_kernarg_size 144
		.amdhsa_user_sgpr_count 6
		.amdhsa_user_sgpr_private_segment_buffer 1
		.amdhsa_user_sgpr_dispatch_ptr 0
		.amdhsa_user_sgpr_queue_ptr 0
		.amdhsa_user_sgpr_kernarg_segment_ptr 1
		.amdhsa_user_sgpr_dispatch_id 0
		.amdhsa_user_sgpr_flat_scratch_init 0
		.amdhsa_user_sgpr_private_segment_size 0
		.amdhsa_uses_dynamic_stack 0
		.amdhsa_system_sgpr_private_segment_wavefront_offset 0
		.amdhsa_system_sgpr_workgroup_id_x 1
		.amdhsa_system_sgpr_workgroup_id_y 0
		.amdhsa_system_sgpr_workgroup_id_z 0
		.amdhsa_system_sgpr_workgroup_info 0
		.amdhsa_system_vgpr_workitem_id 0
		.amdhsa_next_free_vgpr 1
		.amdhsa_next_free_sgpr 0
		.amdhsa_reserve_vcc 0
		.amdhsa_reserve_flat_scratch 0
		.amdhsa_float_round_mode_32 0
		.amdhsa_float_round_mode_16_64 0
		.amdhsa_float_denorm_mode_32 3
		.amdhsa_float_denorm_mode_16_64 3
		.amdhsa_dx10_clamp 1
		.amdhsa_ieee_mode 1
		.amdhsa_fp16_overflow 0
		.amdhsa_exception_fp_ieee_invalid_op 0
		.amdhsa_exception_fp_denorm_src 0
		.amdhsa_exception_fp_ieee_div_zero 0
		.amdhsa_exception_fp_ieee_overflow 0
		.amdhsa_exception_fp_ieee_underflow 0
		.amdhsa_exception_fp_ieee_inexact 0
		.amdhsa_exception_int_div_zero 0
	.end_amdhsa_kernel
	.section	.text._ZN7rocprim17ROCPRIM_400000_NS6detail17trampoline_kernelINS0_13select_configILj256ELj13ELNS0_17block_load_methodE3ELS4_3ELS4_3ELNS0_20block_scan_algorithmE0ELj4294967295EEENS1_25partition_config_selectorILNS1_17partition_subalgoE3EjNS0_10empty_typeEbEEZZNS1_14partition_implILS8_3ELb0ES6_jNS0_17counting_iteratorIjlEEPS9_SE_NS0_5tupleIJPjSE_EEENSF_IJSE_SE_EEES9_SG_JZNS1_25segmented_radix_sort_implINS0_14default_configELb0EPK6__halfPSL_PKlPlN2at6native12_GLOBAL__N_18offset_tEEE10hipError_tPvRmT1_PNSt15iterator_traitsISZ_E10value_typeET2_T3_PNS10_IS15_E10value_typeET4_jRbjT5_S1B_jjP12ihipStream_tbEUljE_EEESW_SX_SY_S15_S19_S1B_T6_T7_T9_mT8_S1D_bDpT10_ENKUlT_T0_E_clISt17integral_constantIbLb0EES1Q_EEDaS1L_S1M_EUlS1L_E_NS1_11comp_targetILNS1_3genE9ELNS1_11target_archE1100ELNS1_3gpuE3ELNS1_3repE0EEENS1_30default_config_static_selectorELNS0_4arch9wavefront6targetE1EEEvSZ_,"axG",@progbits,_ZN7rocprim17ROCPRIM_400000_NS6detail17trampoline_kernelINS0_13select_configILj256ELj13ELNS0_17block_load_methodE3ELS4_3ELS4_3ELNS0_20block_scan_algorithmE0ELj4294967295EEENS1_25partition_config_selectorILNS1_17partition_subalgoE3EjNS0_10empty_typeEbEEZZNS1_14partition_implILS8_3ELb0ES6_jNS0_17counting_iteratorIjlEEPS9_SE_NS0_5tupleIJPjSE_EEENSF_IJSE_SE_EEES9_SG_JZNS1_25segmented_radix_sort_implINS0_14default_configELb0EPK6__halfPSL_PKlPlN2at6native12_GLOBAL__N_18offset_tEEE10hipError_tPvRmT1_PNSt15iterator_traitsISZ_E10value_typeET2_T3_PNS10_IS15_E10value_typeET4_jRbjT5_S1B_jjP12ihipStream_tbEUljE_EEESW_SX_SY_S15_S19_S1B_T6_T7_T9_mT8_S1D_bDpT10_ENKUlT_T0_E_clISt17integral_constantIbLb0EES1Q_EEDaS1L_S1M_EUlS1L_E_NS1_11comp_targetILNS1_3genE9ELNS1_11target_archE1100ELNS1_3gpuE3ELNS1_3repE0EEENS1_30default_config_static_selectorELNS0_4arch9wavefront6targetE1EEEvSZ_,comdat
.Lfunc_end1816:
	.size	_ZN7rocprim17ROCPRIM_400000_NS6detail17trampoline_kernelINS0_13select_configILj256ELj13ELNS0_17block_load_methodE3ELS4_3ELS4_3ELNS0_20block_scan_algorithmE0ELj4294967295EEENS1_25partition_config_selectorILNS1_17partition_subalgoE3EjNS0_10empty_typeEbEEZZNS1_14partition_implILS8_3ELb0ES6_jNS0_17counting_iteratorIjlEEPS9_SE_NS0_5tupleIJPjSE_EEENSF_IJSE_SE_EEES9_SG_JZNS1_25segmented_radix_sort_implINS0_14default_configELb0EPK6__halfPSL_PKlPlN2at6native12_GLOBAL__N_18offset_tEEE10hipError_tPvRmT1_PNSt15iterator_traitsISZ_E10value_typeET2_T3_PNS10_IS15_E10value_typeET4_jRbjT5_S1B_jjP12ihipStream_tbEUljE_EEESW_SX_SY_S15_S19_S1B_T6_T7_T9_mT8_S1D_bDpT10_ENKUlT_T0_E_clISt17integral_constantIbLb0EES1Q_EEDaS1L_S1M_EUlS1L_E_NS1_11comp_targetILNS1_3genE9ELNS1_11target_archE1100ELNS1_3gpuE3ELNS1_3repE0EEENS1_30default_config_static_selectorELNS0_4arch9wavefront6targetE1EEEvSZ_, .Lfunc_end1816-_ZN7rocprim17ROCPRIM_400000_NS6detail17trampoline_kernelINS0_13select_configILj256ELj13ELNS0_17block_load_methodE3ELS4_3ELS4_3ELNS0_20block_scan_algorithmE0ELj4294967295EEENS1_25partition_config_selectorILNS1_17partition_subalgoE3EjNS0_10empty_typeEbEEZZNS1_14partition_implILS8_3ELb0ES6_jNS0_17counting_iteratorIjlEEPS9_SE_NS0_5tupleIJPjSE_EEENSF_IJSE_SE_EEES9_SG_JZNS1_25segmented_radix_sort_implINS0_14default_configELb0EPK6__halfPSL_PKlPlN2at6native12_GLOBAL__N_18offset_tEEE10hipError_tPvRmT1_PNSt15iterator_traitsISZ_E10value_typeET2_T3_PNS10_IS15_E10value_typeET4_jRbjT5_S1B_jjP12ihipStream_tbEUljE_EEESW_SX_SY_S15_S19_S1B_T6_T7_T9_mT8_S1D_bDpT10_ENKUlT_T0_E_clISt17integral_constantIbLb0EES1Q_EEDaS1L_S1M_EUlS1L_E_NS1_11comp_targetILNS1_3genE9ELNS1_11target_archE1100ELNS1_3gpuE3ELNS1_3repE0EEENS1_30default_config_static_selectorELNS0_4arch9wavefront6targetE1EEEvSZ_
                                        ; -- End function
	.set _ZN7rocprim17ROCPRIM_400000_NS6detail17trampoline_kernelINS0_13select_configILj256ELj13ELNS0_17block_load_methodE3ELS4_3ELS4_3ELNS0_20block_scan_algorithmE0ELj4294967295EEENS1_25partition_config_selectorILNS1_17partition_subalgoE3EjNS0_10empty_typeEbEEZZNS1_14partition_implILS8_3ELb0ES6_jNS0_17counting_iteratorIjlEEPS9_SE_NS0_5tupleIJPjSE_EEENSF_IJSE_SE_EEES9_SG_JZNS1_25segmented_radix_sort_implINS0_14default_configELb0EPK6__halfPSL_PKlPlN2at6native12_GLOBAL__N_18offset_tEEE10hipError_tPvRmT1_PNSt15iterator_traitsISZ_E10value_typeET2_T3_PNS10_IS15_E10value_typeET4_jRbjT5_S1B_jjP12ihipStream_tbEUljE_EEESW_SX_SY_S15_S19_S1B_T6_T7_T9_mT8_S1D_bDpT10_ENKUlT_T0_E_clISt17integral_constantIbLb0EES1Q_EEDaS1L_S1M_EUlS1L_E_NS1_11comp_targetILNS1_3genE9ELNS1_11target_archE1100ELNS1_3gpuE3ELNS1_3repE0EEENS1_30default_config_static_selectorELNS0_4arch9wavefront6targetE1EEEvSZ_.num_vgpr, 0
	.set _ZN7rocprim17ROCPRIM_400000_NS6detail17trampoline_kernelINS0_13select_configILj256ELj13ELNS0_17block_load_methodE3ELS4_3ELS4_3ELNS0_20block_scan_algorithmE0ELj4294967295EEENS1_25partition_config_selectorILNS1_17partition_subalgoE3EjNS0_10empty_typeEbEEZZNS1_14partition_implILS8_3ELb0ES6_jNS0_17counting_iteratorIjlEEPS9_SE_NS0_5tupleIJPjSE_EEENSF_IJSE_SE_EEES9_SG_JZNS1_25segmented_radix_sort_implINS0_14default_configELb0EPK6__halfPSL_PKlPlN2at6native12_GLOBAL__N_18offset_tEEE10hipError_tPvRmT1_PNSt15iterator_traitsISZ_E10value_typeET2_T3_PNS10_IS15_E10value_typeET4_jRbjT5_S1B_jjP12ihipStream_tbEUljE_EEESW_SX_SY_S15_S19_S1B_T6_T7_T9_mT8_S1D_bDpT10_ENKUlT_T0_E_clISt17integral_constantIbLb0EES1Q_EEDaS1L_S1M_EUlS1L_E_NS1_11comp_targetILNS1_3genE9ELNS1_11target_archE1100ELNS1_3gpuE3ELNS1_3repE0EEENS1_30default_config_static_selectorELNS0_4arch9wavefront6targetE1EEEvSZ_.num_agpr, 0
	.set _ZN7rocprim17ROCPRIM_400000_NS6detail17trampoline_kernelINS0_13select_configILj256ELj13ELNS0_17block_load_methodE3ELS4_3ELS4_3ELNS0_20block_scan_algorithmE0ELj4294967295EEENS1_25partition_config_selectorILNS1_17partition_subalgoE3EjNS0_10empty_typeEbEEZZNS1_14partition_implILS8_3ELb0ES6_jNS0_17counting_iteratorIjlEEPS9_SE_NS0_5tupleIJPjSE_EEENSF_IJSE_SE_EEES9_SG_JZNS1_25segmented_radix_sort_implINS0_14default_configELb0EPK6__halfPSL_PKlPlN2at6native12_GLOBAL__N_18offset_tEEE10hipError_tPvRmT1_PNSt15iterator_traitsISZ_E10value_typeET2_T3_PNS10_IS15_E10value_typeET4_jRbjT5_S1B_jjP12ihipStream_tbEUljE_EEESW_SX_SY_S15_S19_S1B_T6_T7_T9_mT8_S1D_bDpT10_ENKUlT_T0_E_clISt17integral_constantIbLb0EES1Q_EEDaS1L_S1M_EUlS1L_E_NS1_11comp_targetILNS1_3genE9ELNS1_11target_archE1100ELNS1_3gpuE3ELNS1_3repE0EEENS1_30default_config_static_selectorELNS0_4arch9wavefront6targetE1EEEvSZ_.numbered_sgpr, 0
	.set _ZN7rocprim17ROCPRIM_400000_NS6detail17trampoline_kernelINS0_13select_configILj256ELj13ELNS0_17block_load_methodE3ELS4_3ELS4_3ELNS0_20block_scan_algorithmE0ELj4294967295EEENS1_25partition_config_selectorILNS1_17partition_subalgoE3EjNS0_10empty_typeEbEEZZNS1_14partition_implILS8_3ELb0ES6_jNS0_17counting_iteratorIjlEEPS9_SE_NS0_5tupleIJPjSE_EEENSF_IJSE_SE_EEES9_SG_JZNS1_25segmented_radix_sort_implINS0_14default_configELb0EPK6__halfPSL_PKlPlN2at6native12_GLOBAL__N_18offset_tEEE10hipError_tPvRmT1_PNSt15iterator_traitsISZ_E10value_typeET2_T3_PNS10_IS15_E10value_typeET4_jRbjT5_S1B_jjP12ihipStream_tbEUljE_EEESW_SX_SY_S15_S19_S1B_T6_T7_T9_mT8_S1D_bDpT10_ENKUlT_T0_E_clISt17integral_constantIbLb0EES1Q_EEDaS1L_S1M_EUlS1L_E_NS1_11comp_targetILNS1_3genE9ELNS1_11target_archE1100ELNS1_3gpuE3ELNS1_3repE0EEENS1_30default_config_static_selectorELNS0_4arch9wavefront6targetE1EEEvSZ_.num_named_barrier, 0
	.set _ZN7rocprim17ROCPRIM_400000_NS6detail17trampoline_kernelINS0_13select_configILj256ELj13ELNS0_17block_load_methodE3ELS4_3ELS4_3ELNS0_20block_scan_algorithmE0ELj4294967295EEENS1_25partition_config_selectorILNS1_17partition_subalgoE3EjNS0_10empty_typeEbEEZZNS1_14partition_implILS8_3ELb0ES6_jNS0_17counting_iteratorIjlEEPS9_SE_NS0_5tupleIJPjSE_EEENSF_IJSE_SE_EEES9_SG_JZNS1_25segmented_radix_sort_implINS0_14default_configELb0EPK6__halfPSL_PKlPlN2at6native12_GLOBAL__N_18offset_tEEE10hipError_tPvRmT1_PNSt15iterator_traitsISZ_E10value_typeET2_T3_PNS10_IS15_E10value_typeET4_jRbjT5_S1B_jjP12ihipStream_tbEUljE_EEESW_SX_SY_S15_S19_S1B_T6_T7_T9_mT8_S1D_bDpT10_ENKUlT_T0_E_clISt17integral_constantIbLb0EES1Q_EEDaS1L_S1M_EUlS1L_E_NS1_11comp_targetILNS1_3genE9ELNS1_11target_archE1100ELNS1_3gpuE3ELNS1_3repE0EEENS1_30default_config_static_selectorELNS0_4arch9wavefront6targetE1EEEvSZ_.private_seg_size, 0
	.set _ZN7rocprim17ROCPRIM_400000_NS6detail17trampoline_kernelINS0_13select_configILj256ELj13ELNS0_17block_load_methodE3ELS4_3ELS4_3ELNS0_20block_scan_algorithmE0ELj4294967295EEENS1_25partition_config_selectorILNS1_17partition_subalgoE3EjNS0_10empty_typeEbEEZZNS1_14partition_implILS8_3ELb0ES6_jNS0_17counting_iteratorIjlEEPS9_SE_NS0_5tupleIJPjSE_EEENSF_IJSE_SE_EEES9_SG_JZNS1_25segmented_radix_sort_implINS0_14default_configELb0EPK6__halfPSL_PKlPlN2at6native12_GLOBAL__N_18offset_tEEE10hipError_tPvRmT1_PNSt15iterator_traitsISZ_E10value_typeET2_T3_PNS10_IS15_E10value_typeET4_jRbjT5_S1B_jjP12ihipStream_tbEUljE_EEESW_SX_SY_S15_S19_S1B_T6_T7_T9_mT8_S1D_bDpT10_ENKUlT_T0_E_clISt17integral_constantIbLb0EES1Q_EEDaS1L_S1M_EUlS1L_E_NS1_11comp_targetILNS1_3genE9ELNS1_11target_archE1100ELNS1_3gpuE3ELNS1_3repE0EEENS1_30default_config_static_selectorELNS0_4arch9wavefront6targetE1EEEvSZ_.uses_vcc, 0
	.set _ZN7rocprim17ROCPRIM_400000_NS6detail17trampoline_kernelINS0_13select_configILj256ELj13ELNS0_17block_load_methodE3ELS4_3ELS4_3ELNS0_20block_scan_algorithmE0ELj4294967295EEENS1_25partition_config_selectorILNS1_17partition_subalgoE3EjNS0_10empty_typeEbEEZZNS1_14partition_implILS8_3ELb0ES6_jNS0_17counting_iteratorIjlEEPS9_SE_NS0_5tupleIJPjSE_EEENSF_IJSE_SE_EEES9_SG_JZNS1_25segmented_radix_sort_implINS0_14default_configELb0EPK6__halfPSL_PKlPlN2at6native12_GLOBAL__N_18offset_tEEE10hipError_tPvRmT1_PNSt15iterator_traitsISZ_E10value_typeET2_T3_PNS10_IS15_E10value_typeET4_jRbjT5_S1B_jjP12ihipStream_tbEUljE_EEESW_SX_SY_S15_S19_S1B_T6_T7_T9_mT8_S1D_bDpT10_ENKUlT_T0_E_clISt17integral_constantIbLb0EES1Q_EEDaS1L_S1M_EUlS1L_E_NS1_11comp_targetILNS1_3genE9ELNS1_11target_archE1100ELNS1_3gpuE3ELNS1_3repE0EEENS1_30default_config_static_selectorELNS0_4arch9wavefront6targetE1EEEvSZ_.uses_flat_scratch, 0
	.set _ZN7rocprim17ROCPRIM_400000_NS6detail17trampoline_kernelINS0_13select_configILj256ELj13ELNS0_17block_load_methodE3ELS4_3ELS4_3ELNS0_20block_scan_algorithmE0ELj4294967295EEENS1_25partition_config_selectorILNS1_17partition_subalgoE3EjNS0_10empty_typeEbEEZZNS1_14partition_implILS8_3ELb0ES6_jNS0_17counting_iteratorIjlEEPS9_SE_NS0_5tupleIJPjSE_EEENSF_IJSE_SE_EEES9_SG_JZNS1_25segmented_radix_sort_implINS0_14default_configELb0EPK6__halfPSL_PKlPlN2at6native12_GLOBAL__N_18offset_tEEE10hipError_tPvRmT1_PNSt15iterator_traitsISZ_E10value_typeET2_T3_PNS10_IS15_E10value_typeET4_jRbjT5_S1B_jjP12ihipStream_tbEUljE_EEESW_SX_SY_S15_S19_S1B_T6_T7_T9_mT8_S1D_bDpT10_ENKUlT_T0_E_clISt17integral_constantIbLb0EES1Q_EEDaS1L_S1M_EUlS1L_E_NS1_11comp_targetILNS1_3genE9ELNS1_11target_archE1100ELNS1_3gpuE3ELNS1_3repE0EEENS1_30default_config_static_selectorELNS0_4arch9wavefront6targetE1EEEvSZ_.has_dyn_sized_stack, 0
	.set _ZN7rocprim17ROCPRIM_400000_NS6detail17trampoline_kernelINS0_13select_configILj256ELj13ELNS0_17block_load_methodE3ELS4_3ELS4_3ELNS0_20block_scan_algorithmE0ELj4294967295EEENS1_25partition_config_selectorILNS1_17partition_subalgoE3EjNS0_10empty_typeEbEEZZNS1_14partition_implILS8_3ELb0ES6_jNS0_17counting_iteratorIjlEEPS9_SE_NS0_5tupleIJPjSE_EEENSF_IJSE_SE_EEES9_SG_JZNS1_25segmented_radix_sort_implINS0_14default_configELb0EPK6__halfPSL_PKlPlN2at6native12_GLOBAL__N_18offset_tEEE10hipError_tPvRmT1_PNSt15iterator_traitsISZ_E10value_typeET2_T3_PNS10_IS15_E10value_typeET4_jRbjT5_S1B_jjP12ihipStream_tbEUljE_EEESW_SX_SY_S15_S19_S1B_T6_T7_T9_mT8_S1D_bDpT10_ENKUlT_T0_E_clISt17integral_constantIbLb0EES1Q_EEDaS1L_S1M_EUlS1L_E_NS1_11comp_targetILNS1_3genE9ELNS1_11target_archE1100ELNS1_3gpuE3ELNS1_3repE0EEENS1_30default_config_static_selectorELNS0_4arch9wavefront6targetE1EEEvSZ_.has_recursion, 0
	.set _ZN7rocprim17ROCPRIM_400000_NS6detail17trampoline_kernelINS0_13select_configILj256ELj13ELNS0_17block_load_methodE3ELS4_3ELS4_3ELNS0_20block_scan_algorithmE0ELj4294967295EEENS1_25partition_config_selectorILNS1_17partition_subalgoE3EjNS0_10empty_typeEbEEZZNS1_14partition_implILS8_3ELb0ES6_jNS0_17counting_iteratorIjlEEPS9_SE_NS0_5tupleIJPjSE_EEENSF_IJSE_SE_EEES9_SG_JZNS1_25segmented_radix_sort_implINS0_14default_configELb0EPK6__halfPSL_PKlPlN2at6native12_GLOBAL__N_18offset_tEEE10hipError_tPvRmT1_PNSt15iterator_traitsISZ_E10value_typeET2_T3_PNS10_IS15_E10value_typeET4_jRbjT5_S1B_jjP12ihipStream_tbEUljE_EEESW_SX_SY_S15_S19_S1B_T6_T7_T9_mT8_S1D_bDpT10_ENKUlT_T0_E_clISt17integral_constantIbLb0EES1Q_EEDaS1L_S1M_EUlS1L_E_NS1_11comp_targetILNS1_3genE9ELNS1_11target_archE1100ELNS1_3gpuE3ELNS1_3repE0EEENS1_30default_config_static_selectorELNS0_4arch9wavefront6targetE1EEEvSZ_.has_indirect_call, 0
	.section	.AMDGPU.csdata,"",@progbits
; Kernel info:
; codeLenInByte = 0
; TotalNumSgprs: 4
; NumVgprs: 0
; ScratchSize: 0
; MemoryBound: 0
; FloatMode: 240
; IeeeMode: 1
; LDSByteSize: 0 bytes/workgroup (compile time only)
; SGPRBlocks: 0
; VGPRBlocks: 0
; NumSGPRsForWavesPerEU: 4
; NumVGPRsForWavesPerEU: 1
; Occupancy: 10
; WaveLimiterHint : 0
; COMPUTE_PGM_RSRC2:SCRATCH_EN: 0
; COMPUTE_PGM_RSRC2:USER_SGPR: 6
; COMPUTE_PGM_RSRC2:TRAP_HANDLER: 0
; COMPUTE_PGM_RSRC2:TGID_X_EN: 1
; COMPUTE_PGM_RSRC2:TGID_Y_EN: 0
; COMPUTE_PGM_RSRC2:TGID_Z_EN: 0
; COMPUTE_PGM_RSRC2:TIDIG_COMP_CNT: 0
	.section	.text._ZN7rocprim17ROCPRIM_400000_NS6detail17trampoline_kernelINS0_13select_configILj256ELj13ELNS0_17block_load_methodE3ELS4_3ELS4_3ELNS0_20block_scan_algorithmE0ELj4294967295EEENS1_25partition_config_selectorILNS1_17partition_subalgoE3EjNS0_10empty_typeEbEEZZNS1_14partition_implILS8_3ELb0ES6_jNS0_17counting_iteratorIjlEEPS9_SE_NS0_5tupleIJPjSE_EEENSF_IJSE_SE_EEES9_SG_JZNS1_25segmented_radix_sort_implINS0_14default_configELb0EPK6__halfPSL_PKlPlN2at6native12_GLOBAL__N_18offset_tEEE10hipError_tPvRmT1_PNSt15iterator_traitsISZ_E10value_typeET2_T3_PNS10_IS15_E10value_typeET4_jRbjT5_S1B_jjP12ihipStream_tbEUljE_EEESW_SX_SY_S15_S19_S1B_T6_T7_T9_mT8_S1D_bDpT10_ENKUlT_T0_E_clISt17integral_constantIbLb0EES1Q_EEDaS1L_S1M_EUlS1L_E_NS1_11comp_targetILNS1_3genE8ELNS1_11target_archE1030ELNS1_3gpuE2ELNS1_3repE0EEENS1_30default_config_static_selectorELNS0_4arch9wavefront6targetE1EEEvSZ_,"axG",@progbits,_ZN7rocprim17ROCPRIM_400000_NS6detail17trampoline_kernelINS0_13select_configILj256ELj13ELNS0_17block_load_methodE3ELS4_3ELS4_3ELNS0_20block_scan_algorithmE0ELj4294967295EEENS1_25partition_config_selectorILNS1_17partition_subalgoE3EjNS0_10empty_typeEbEEZZNS1_14partition_implILS8_3ELb0ES6_jNS0_17counting_iteratorIjlEEPS9_SE_NS0_5tupleIJPjSE_EEENSF_IJSE_SE_EEES9_SG_JZNS1_25segmented_radix_sort_implINS0_14default_configELb0EPK6__halfPSL_PKlPlN2at6native12_GLOBAL__N_18offset_tEEE10hipError_tPvRmT1_PNSt15iterator_traitsISZ_E10value_typeET2_T3_PNS10_IS15_E10value_typeET4_jRbjT5_S1B_jjP12ihipStream_tbEUljE_EEESW_SX_SY_S15_S19_S1B_T6_T7_T9_mT8_S1D_bDpT10_ENKUlT_T0_E_clISt17integral_constantIbLb0EES1Q_EEDaS1L_S1M_EUlS1L_E_NS1_11comp_targetILNS1_3genE8ELNS1_11target_archE1030ELNS1_3gpuE2ELNS1_3repE0EEENS1_30default_config_static_selectorELNS0_4arch9wavefront6targetE1EEEvSZ_,comdat
	.globl	_ZN7rocprim17ROCPRIM_400000_NS6detail17trampoline_kernelINS0_13select_configILj256ELj13ELNS0_17block_load_methodE3ELS4_3ELS4_3ELNS0_20block_scan_algorithmE0ELj4294967295EEENS1_25partition_config_selectorILNS1_17partition_subalgoE3EjNS0_10empty_typeEbEEZZNS1_14partition_implILS8_3ELb0ES6_jNS0_17counting_iteratorIjlEEPS9_SE_NS0_5tupleIJPjSE_EEENSF_IJSE_SE_EEES9_SG_JZNS1_25segmented_radix_sort_implINS0_14default_configELb0EPK6__halfPSL_PKlPlN2at6native12_GLOBAL__N_18offset_tEEE10hipError_tPvRmT1_PNSt15iterator_traitsISZ_E10value_typeET2_T3_PNS10_IS15_E10value_typeET4_jRbjT5_S1B_jjP12ihipStream_tbEUljE_EEESW_SX_SY_S15_S19_S1B_T6_T7_T9_mT8_S1D_bDpT10_ENKUlT_T0_E_clISt17integral_constantIbLb0EES1Q_EEDaS1L_S1M_EUlS1L_E_NS1_11comp_targetILNS1_3genE8ELNS1_11target_archE1030ELNS1_3gpuE2ELNS1_3repE0EEENS1_30default_config_static_selectorELNS0_4arch9wavefront6targetE1EEEvSZ_ ; -- Begin function _ZN7rocprim17ROCPRIM_400000_NS6detail17trampoline_kernelINS0_13select_configILj256ELj13ELNS0_17block_load_methodE3ELS4_3ELS4_3ELNS0_20block_scan_algorithmE0ELj4294967295EEENS1_25partition_config_selectorILNS1_17partition_subalgoE3EjNS0_10empty_typeEbEEZZNS1_14partition_implILS8_3ELb0ES6_jNS0_17counting_iteratorIjlEEPS9_SE_NS0_5tupleIJPjSE_EEENSF_IJSE_SE_EEES9_SG_JZNS1_25segmented_radix_sort_implINS0_14default_configELb0EPK6__halfPSL_PKlPlN2at6native12_GLOBAL__N_18offset_tEEE10hipError_tPvRmT1_PNSt15iterator_traitsISZ_E10value_typeET2_T3_PNS10_IS15_E10value_typeET4_jRbjT5_S1B_jjP12ihipStream_tbEUljE_EEESW_SX_SY_S15_S19_S1B_T6_T7_T9_mT8_S1D_bDpT10_ENKUlT_T0_E_clISt17integral_constantIbLb0EES1Q_EEDaS1L_S1M_EUlS1L_E_NS1_11comp_targetILNS1_3genE8ELNS1_11target_archE1030ELNS1_3gpuE2ELNS1_3repE0EEENS1_30default_config_static_selectorELNS0_4arch9wavefront6targetE1EEEvSZ_
	.p2align	8
	.type	_ZN7rocprim17ROCPRIM_400000_NS6detail17trampoline_kernelINS0_13select_configILj256ELj13ELNS0_17block_load_methodE3ELS4_3ELS4_3ELNS0_20block_scan_algorithmE0ELj4294967295EEENS1_25partition_config_selectorILNS1_17partition_subalgoE3EjNS0_10empty_typeEbEEZZNS1_14partition_implILS8_3ELb0ES6_jNS0_17counting_iteratorIjlEEPS9_SE_NS0_5tupleIJPjSE_EEENSF_IJSE_SE_EEES9_SG_JZNS1_25segmented_radix_sort_implINS0_14default_configELb0EPK6__halfPSL_PKlPlN2at6native12_GLOBAL__N_18offset_tEEE10hipError_tPvRmT1_PNSt15iterator_traitsISZ_E10value_typeET2_T3_PNS10_IS15_E10value_typeET4_jRbjT5_S1B_jjP12ihipStream_tbEUljE_EEESW_SX_SY_S15_S19_S1B_T6_T7_T9_mT8_S1D_bDpT10_ENKUlT_T0_E_clISt17integral_constantIbLb0EES1Q_EEDaS1L_S1M_EUlS1L_E_NS1_11comp_targetILNS1_3genE8ELNS1_11target_archE1030ELNS1_3gpuE2ELNS1_3repE0EEENS1_30default_config_static_selectorELNS0_4arch9wavefront6targetE1EEEvSZ_,@function
_ZN7rocprim17ROCPRIM_400000_NS6detail17trampoline_kernelINS0_13select_configILj256ELj13ELNS0_17block_load_methodE3ELS4_3ELS4_3ELNS0_20block_scan_algorithmE0ELj4294967295EEENS1_25partition_config_selectorILNS1_17partition_subalgoE3EjNS0_10empty_typeEbEEZZNS1_14partition_implILS8_3ELb0ES6_jNS0_17counting_iteratorIjlEEPS9_SE_NS0_5tupleIJPjSE_EEENSF_IJSE_SE_EEES9_SG_JZNS1_25segmented_radix_sort_implINS0_14default_configELb0EPK6__halfPSL_PKlPlN2at6native12_GLOBAL__N_18offset_tEEE10hipError_tPvRmT1_PNSt15iterator_traitsISZ_E10value_typeET2_T3_PNS10_IS15_E10value_typeET4_jRbjT5_S1B_jjP12ihipStream_tbEUljE_EEESW_SX_SY_S15_S19_S1B_T6_T7_T9_mT8_S1D_bDpT10_ENKUlT_T0_E_clISt17integral_constantIbLb0EES1Q_EEDaS1L_S1M_EUlS1L_E_NS1_11comp_targetILNS1_3genE8ELNS1_11target_archE1030ELNS1_3gpuE2ELNS1_3repE0EEENS1_30default_config_static_selectorELNS0_4arch9wavefront6targetE1EEEvSZ_: ; @_ZN7rocprim17ROCPRIM_400000_NS6detail17trampoline_kernelINS0_13select_configILj256ELj13ELNS0_17block_load_methodE3ELS4_3ELS4_3ELNS0_20block_scan_algorithmE0ELj4294967295EEENS1_25partition_config_selectorILNS1_17partition_subalgoE3EjNS0_10empty_typeEbEEZZNS1_14partition_implILS8_3ELb0ES6_jNS0_17counting_iteratorIjlEEPS9_SE_NS0_5tupleIJPjSE_EEENSF_IJSE_SE_EEES9_SG_JZNS1_25segmented_radix_sort_implINS0_14default_configELb0EPK6__halfPSL_PKlPlN2at6native12_GLOBAL__N_18offset_tEEE10hipError_tPvRmT1_PNSt15iterator_traitsISZ_E10value_typeET2_T3_PNS10_IS15_E10value_typeET4_jRbjT5_S1B_jjP12ihipStream_tbEUljE_EEESW_SX_SY_S15_S19_S1B_T6_T7_T9_mT8_S1D_bDpT10_ENKUlT_T0_E_clISt17integral_constantIbLb0EES1Q_EEDaS1L_S1M_EUlS1L_E_NS1_11comp_targetILNS1_3genE8ELNS1_11target_archE1030ELNS1_3gpuE2ELNS1_3repE0EEENS1_30default_config_static_selectorELNS0_4arch9wavefront6targetE1EEEvSZ_
; %bb.0:
	.section	.rodata,"a",@progbits
	.p2align	6, 0x0
	.amdhsa_kernel _ZN7rocprim17ROCPRIM_400000_NS6detail17trampoline_kernelINS0_13select_configILj256ELj13ELNS0_17block_load_methodE3ELS4_3ELS4_3ELNS0_20block_scan_algorithmE0ELj4294967295EEENS1_25partition_config_selectorILNS1_17partition_subalgoE3EjNS0_10empty_typeEbEEZZNS1_14partition_implILS8_3ELb0ES6_jNS0_17counting_iteratorIjlEEPS9_SE_NS0_5tupleIJPjSE_EEENSF_IJSE_SE_EEES9_SG_JZNS1_25segmented_radix_sort_implINS0_14default_configELb0EPK6__halfPSL_PKlPlN2at6native12_GLOBAL__N_18offset_tEEE10hipError_tPvRmT1_PNSt15iterator_traitsISZ_E10value_typeET2_T3_PNS10_IS15_E10value_typeET4_jRbjT5_S1B_jjP12ihipStream_tbEUljE_EEESW_SX_SY_S15_S19_S1B_T6_T7_T9_mT8_S1D_bDpT10_ENKUlT_T0_E_clISt17integral_constantIbLb0EES1Q_EEDaS1L_S1M_EUlS1L_E_NS1_11comp_targetILNS1_3genE8ELNS1_11target_archE1030ELNS1_3gpuE2ELNS1_3repE0EEENS1_30default_config_static_selectorELNS0_4arch9wavefront6targetE1EEEvSZ_
		.amdhsa_group_segment_fixed_size 0
		.amdhsa_private_segment_fixed_size 0
		.amdhsa_kernarg_size 144
		.amdhsa_user_sgpr_count 6
		.amdhsa_user_sgpr_private_segment_buffer 1
		.amdhsa_user_sgpr_dispatch_ptr 0
		.amdhsa_user_sgpr_queue_ptr 0
		.amdhsa_user_sgpr_kernarg_segment_ptr 1
		.amdhsa_user_sgpr_dispatch_id 0
		.amdhsa_user_sgpr_flat_scratch_init 0
		.amdhsa_user_sgpr_private_segment_size 0
		.amdhsa_uses_dynamic_stack 0
		.amdhsa_system_sgpr_private_segment_wavefront_offset 0
		.amdhsa_system_sgpr_workgroup_id_x 1
		.amdhsa_system_sgpr_workgroup_id_y 0
		.amdhsa_system_sgpr_workgroup_id_z 0
		.amdhsa_system_sgpr_workgroup_info 0
		.amdhsa_system_vgpr_workitem_id 0
		.amdhsa_next_free_vgpr 1
		.amdhsa_next_free_sgpr 0
		.amdhsa_reserve_vcc 0
		.amdhsa_reserve_flat_scratch 0
		.amdhsa_float_round_mode_32 0
		.amdhsa_float_round_mode_16_64 0
		.amdhsa_float_denorm_mode_32 3
		.amdhsa_float_denorm_mode_16_64 3
		.amdhsa_dx10_clamp 1
		.amdhsa_ieee_mode 1
		.amdhsa_fp16_overflow 0
		.amdhsa_exception_fp_ieee_invalid_op 0
		.amdhsa_exception_fp_denorm_src 0
		.amdhsa_exception_fp_ieee_div_zero 0
		.amdhsa_exception_fp_ieee_overflow 0
		.amdhsa_exception_fp_ieee_underflow 0
		.amdhsa_exception_fp_ieee_inexact 0
		.amdhsa_exception_int_div_zero 0
	.end_amdhsa_kernel
	.section	.text._ZN7rocprim17ROCPRIM_400000_NS6detail17trampoline_kernelINS0_13select_configILj256ELj13ELNS0_17block_load_methodE3ELS4_3ELS4_3ELNS0_20block_scan_algorithmE0ELj4294967295EEENS1_25partition_config_selectorILNS1_17partition_subalgoE3EjNS0_10empty_typeEbEEZZNS1_14partition_implILS8_3ELb0ES6_jNS0_17counting_iteratorIjlEEPS9_SE_NS0_5tupleIJPjSE_EEENSF_IJSE_SE_EEES9_SG_JZNS1_25segmented_radix_sort_implINS0_14default_configELb0EPK6__halfPSL_PKlPlN2at6native12_GLOBAL__N_18offset_tEEE10hipError_tPvRmT1_PNSt15iterator_traitsISZ_E10value_typeET2_T3_PNS10_IS15_E10value_typeET4_jRbjT5_S1B_jjP12ihipStream_tbEUljE_EEESW_SX_SY_S15_S19_S1B_T6_T7_T9_mT8_S1D_bDpT10_ENKUlT_T0_E_clISt17integral_constantIbLb0EES1Q_EEDaS1L_S1M_EUlS1L_E_NS1_11comp_targetILNS1_3genE8ELNS1_11target_archE1030ELNS1_3gpuE2ELNS1_3repE0EEENS1_30default_config_static_selectorELNS0_4arch9wavefront6targetE1EEEvSZ_,"axG",@progbits,_ZN7rocprim17ROCPRIM_400000_NS6detail17trampoline_kernelINS0_13select_configILj256ELj13ELNS0_17block_load_methodE3ELS4_3ELS4_3ELNS0_20block_scan_algorithmE0ELj4294967295EEENS1_25partition_config_selectorILNS1_17partition_subalgoE3EjNS0_10empty_typeEbEEZZNS1_14partition_implILS8_3ELb0ES6_jNS0_17counting_iteratorIjlEEPS9_SE_NS0_5tupleIJPjSE_EEENSF_IJSE_SE_EEES9_SG_JZNS1_25segmented_radix_sort_implINS0_14default_configELb0EPK6__halfPSL_PKlPlN2at6native12_GLOBAL__N_18offset_tEEE10hipError_tPvRmT1_PNSt15iterator_traitsISZ_E10value_typeET2_T3_PNS10_IS15_E10value_typeET4_jRbjT5_S1B_jjP12ihipStream_tbEUljE_EEESW_SX_SY_S15_S19_S1B_T6_T7_T9_mT8_S1D_bDpT10_ENKUlT_T0_E_clISt17integral_constantIbLb0EES1Q_EEDaS1L_S1M_EUlS1L_E_NS1_11comp_targetILNS1_3genE8ELNS1_11target_archE1030ELNS1_3gpuE2ELNS1_3repE0EEENS1_30default_config_static_selectorELNS0_4arch9wavefront6targetE1EEEvSZ_,comdat
.Lfunc_end1817:
	.size	_ZN7rocprim17ROCPRIM_400000_NS6detail17trampoline_kernelINS0_13select_configILj256ELj13ELNS0_17block_load_methodE3ELS4_3ELS4_3ELNS0_20block_scan_algorithmE0ELj4294967295EEENS1_25partition_config_selectorILNS1_17partition_subalgoE3EjNS0_10empty_typeEbEEZZNS1_14partition_implILS8_3ELb0ES6_jNS0_17counting_iteratorIjlEEPS9_SE_NS0_5tupleIJPjSE_EEENSF_IJSE_SE_EEES9_SG_JZNS1_25segmented_radix_sort_implINS0_14default_configELb0EPK6__halfPSL_PKlPlN2at6native12_GLOBAL__N_18offset_tEEE10hipError_tPvRmT1_PNSt15iterator_traitsISZ_E10value_typeET2_T3_PNS10_IS15_E10value_typeET4_jRbjT5_S1B_jjP12ihipStream_tbEUljE_EEESW_SX_SY_S15_S19_S1B_T6_T7_T9_mT8_S1D_bDpT10_ENKUlT_T0_E_clISt17integral_constantIbLb0EES1Q_EEDaS1L_S1M_EUlS1L_E_NS1_11comp_targetILNS1_3genE8ELNS1_11target_archE1030ELNS1_3gpuE2ELNS1_3repE0EEENS1_30default_config_static_selectorELNS0_4arch9wavefront6targetE1EEEvSZ_, .Lfunc_end1817-_ZN7rocprim17ROCPRIM_400000_NS6detail17trampoline_kernelINS0_13select_configILj256ELj13ELNS0_17block_load_methodE3ELS4_3ELS4_3ELNS0_20block_scan_algorithmE0ELj4294967295EEENS1_25partition_config_selectorILNS1_17partition_subalgoE3EjNS0_10empty_typeEbEEZZNS1_14partition_implILS8_3ELb0ES6_jNS0_17counting_iteratorIjlEEPS9_SE_NS0_5tupleIJPjSE_EEENSF_IJSE_SE_EEES9_SG_JZNS1_25segmented_radix_sort_implINS0_14default_configELb0EPK6__halfPSL_PKlPlN2at6native12_GLOBAL__N_18offset_tEEE10hipError_tPvRmT1_PNSt15iterator_traitsISZ_E10value_typeET2_T3_PNS10_IS15_E10value_typeET4_jRbjT5_S1B_jjP12ihipStream_tbEUljE_EEESW_SX_SY_S15_S19_S1B_T6_T7_T9_mT8_S1D_bDpT10_ENKUlT_T0_E_clISt17integral_constantIbLb0EES1Q_EEDaS1L_S1M_EUlS1L_E_NS1_11comp_targetILNS1_3genE8ELNS1_11target_archE1030ELNS1_3gpuE2ELNS1_3repE0EEENS1_30default_config_static_selectorELNS0_4arch9wavefront6targetE1EEEvSZ_
                                        ; -- End function
	.set _ZN7rocprim17ROCPRIM_400000_NS6detail17trampoline_kernelINS0_13select_configILj256ELj13ELNS0_17block_load_methodE3ELS4_3ELS4_3ELNS0_20block_scan_algorithmE0ELj4294967295EEENS1_25partition_config_selectorILNS1_17partition_subalgoE3EjNS0_10empty_typeEbEEZZNS1_14partition_implILS8_3ELb0ES6_jNS0_17counting_iteratorIjlEEPS9_SE_NS0_5tupleIJPjSE_EEENSF_IJSE_SE_EEES9_SG_JZNS1_25segmented_radix_sort_implINS0_14default_configELb0EPK6__halfPSL_PKlPlN2at6native12_GLOBAL__N_18offset_tEEE10hipError_tPvRmT1_PNSt15iterator_traitsISZ_E10value_typeET2_T3_PNS10_IS15_E10value_typeET4_jRbjT5_S1B_jjP12ihipStream_tbEUljE_EEESW_SX_SY_S15_S19_S1B_T6_T7_T9_mT8_S1D_bDpT10_ENKUlT_T0_E_clISt17integral_constantIbLb0EES1Q_EEDaS1L_S1M_EUlS1L_E_NS1_11comp_targetILNS1_3genE8ELNS1_11target_archE1030ELNS1_3gpuE2ELNS1_3repE0EEENS1_30default_config_static_selectorELNS0_4arch9wavefront6targetE1EEEvSZ_.num_vgpr, 0
	.set _ZN7rocprim17ROCPRIM_400000_NS6detail17trampoline_kernelINS0_13select_configILj256ELj13ELNS0_17block_load_methodE3ELS4_3ELS4_3ELNS0_20block_scan_algorithmE0ELj4294967295EEENS1_25partition_config_selectorILNS1_17partition_subalgoE3EjNS0_10empty_typeEbEEZZNS1_14partition_implILS8_3ELb0ES6_jNS0_17counting_iteratorIjlEEPS9_SE_NS0_5tupleIJPjSE_EEENSF_IJSE_SE_EEES9_SG_JZNS1_25segmented_radix_sort_implINS0_14default_configELb0EPK6__halfPSL_PKlPlN2at6native12_GLOBAL__N_18offset_tEEE10hipError_tPvRmT1_PNSt15iterator_traitsISZ_E10value_typeET2_T3_PNS10_IS15_E10value_typeET4_jRbjT5_S1B_jjP12ihipStream_tbEUljE_EEESW_SX_SY_S15_S19_S1B_T6_T7_T9_mT8_S1D_bDpT10_ENKUlT_T0_E_clISt17integral_constantIbLb0EES1Q_EEDaS1L_S1M_EUlS1L_E_NS1_11comp_targetILNS1_3genE8ELNS1_11target_archE1030ELNS1_3gpuE2ELNS1_3repE0EEENS1_30default_config_static_selectorELNS0_4arch9wavefront6targetE1EEEvSZ_.num_agpr, 0
	.set _ZN7rocprim17ROCPRIM_400000_NS6detail17trampoline_kernelINS0_13select_configILj256ELj13ELNS0_17block_load_methodE3ELS4_3ELS4_3ELNS0_20block_scan_algorithmE0ELj4294967295EEENS1_25partition_config_selectorILNS1_17partition_subalgoE3EjNS0_10empty_typeEbEEZZNS1_14partition_implILS8_3ELb0ES6_jNS0_17counting_iteratorIjlEEPS9_SE_NS0_5tupleIJPjSE_EEENSF_IJSE_SE_EEES9_SG_JZNS1_25segmented_radix_sort_implINS0_14default_configELb0EPK6__halfPSL_PKlPlN2at6native12_GLOBAL__N_18offset_tEEE10hipError_tPvRmT1_PNSt15iterator_traitsISZ_E10value_typeET2_T3_PNS10_IS15_E10value_typeET4_jRbjT5_S1B_jjP12ihipStream_tbEUljE_EEESW_SX_SY_S15_S19_S1B_T6_T7_T9_mT8_S1D_bDpT10_ENKUlT_T0_E_clISt17integral_constantIbLb0EES1Q_EEDaS1L_S1M_EUlS1L_E_NS1_11comp_targetILNS1_3genE8ELNS1_11target_archE1030ELNS1_3gpuE2ELNS1_3repE0EEENS1_30default_config_static_selectorELNS0_4arch9wavefront6targetE1EEEvSZ_.numbered_sgpr, 0
	.set _ZN7rocprim17ROCPRIM_400000_NS6detail17trampoline_kernelINS0_13select_configILj256ELj13ELNS0_17block_load_methodE3ELS4_3ELS4_3ELNS0_20block_scan_algorithmE0ELj4294967295EEENS1_25partition_config_selectorILNS1_17partition_subalgoE3EjNS0_10empty_typeEbEEZZNS1_14partition_implILS8_3ELb0ES6_jNS0_17counting_iteratorIjlEEPS9_SE_NS0_5tupleIJPjSE_EEENSF_IJSE_SE_EEES9_SG_JZNS1_25segmented_radix_sort_implINS0_14default_configELb0EPK6__halfPSL_PKlPlN2at6native12_GLOBAL__N_18offset_tEEE10hipError_tPvRmT1_PNSt15iterator_traitsISZ_E10value_typeET2_T3_PNS10_IS15_E10value_typeET4_jRbjT5_S1B_jjP12ihipStream_tbEUljE_EEESW_SX_SY_S15_S19_S1B_T6_T7_T9_mT8_S1D_bDpT10_ENKUlT_T0_E_clISt17integral_constantIbLb0EES1Q_EEDaS1L_S1M_EUlS1L_E_NS1_11comp_targetILNS1_3genE8ELNS1_11target_archE1030ELNS1_3gpuE2ELNS1_3repE0EEENS1_30default_config_static_selectorELNS0_4arch9wavefront6targetE1EEEvSZ_.num_named_barrier, 0
	.set _ZN7rocprim17ROCPRIM_400000_NS6detail17trampoline_kernelINS0_13select_configILj256ELj13ELNS0_17block_load_methodE3ELS4_3ELS4_3ELNS0_20block_scan_algorithmE0ELj4294967295EEENS1_25partition_config_selectorILNS1_17partition_subalgoE3EjNS0_10empty_typeEbEEZZNS1_14partition_implILS8_3ELb0ES6_jNS0_17counting_iteratorIjlEEPS9_SE_NS0_5tupleIJPjSE_EEENSF_IJSE_SE_EEES9_SG_JZNS1_25segmented_radix_sort_implINS0_14default_configELb0EPK6__halfPSL_PKlPlN2at6native12_GLOBAL__N_18offset_tEEE10hipError_tPvRmT1_PNSt15iterator_traitsISZ_E10value_typeET2_T3_PNS10_IS15_E10value_typeET4_jRbjT5_S1B_jjP12ihipStream_tbEUljE_EEESW_SX_SY_S15_S19_S1B_T6_T7_T9_mT8_S1D_bDpT10_ENKUlT_T0_E_clISt17integral_constantIbLb0EES1Q_EEDaS1L_S1M_EUlS1L_E_NS1_11comp_targetILNS1_3genE8ELNS1_11target_archE1030ELNS1_3gpuE2ELNS1_3repE0EEENS1_30default_config_static_selectorELNS0_4arch9wavefront6targetE1EEEvSZ_.private_seg_size, 0
	.set _ZN7rocprim17ROCPRIM_400000_NS6detail17trampoline_kernelINS0_13select_configILj256ELj13ELNS0_17block_load_methodE3ELS4_3ELS4_3ELNS0_20block_scan_algorithmE0ELj4294967295EEENS1_25partition_config_selectorILNS1_17partition_subalgoE3EjNS0_10empty_typeEbEEZZNS1_14partition_implILS8_3ELb0ES6_jNS0_17counting_iteratorIjlEEPS9_SE_NS0_5tupleIJPjSE_EEENSF_IJSE_SE_EEES9_SG_JZNS1_25segmented_radix_sort_implINS0_14default_configELb0EPK6__halfPSL_PKlPlN2at6native12_GLOBAL__N_18offset_tEEE10hipError_tPvRmT1_PNSt15iterator_traitsISZ_E10value_typeET2_T3_PNS10_IS15_E10value_typeET4_jRbjT5_S1B_jjP12ihipStream_tbEUljE_EEESW_SX_SY_S15_S19_S1B_T6_T7_T9_mT8_S1D_bDpT10_ENKUlT_T0_E_clISt17integral_constantIbLb0EES1Q_EEDaS1L_S1M_EUlS1L_E_NS1_11comp_targetILNS1_3genE8ELNS1_11target_archE1030ELNS1_3gpuE2ELNS1_3repE0EEENS1_30default_config_static_selectorELNS0_4arch9wavefront6targetE1EEEvSZ_.uses_vcc, 0
	.set _ZN7rocprim17ROCPRIM_400000_NS6detail17trampoline_kernelINS0_13select_configILj256ELj13ELNS0_17block_load_methodE3ELS4_3ELS4_3ELNS0_20block_scan_algorithmE0ELj4294967295EEENS1_25partition_config_selectorILNS1_17partition_subalgoE3EjNS0_10empty_typeEbEEZZNS1_14partition_implILS8_3ELb0ES6_jNS0_17counting_iteratorIjlEEPS9_SE_NS0_5tupleIJPjSE_EEENSF_IJSE_SE_EEES9_SG_JZNS1_25segmented_radix_sort_implINS0_14default_configELb0EPK6__halfPSL_PKlPlN2at6native12_GLOBAL__N_18offset_tEEE10hipError_tPvRmT1_PNSt15iterator_traitsISZ_E10value_typeET2_T3_PNS10_IS15_E10value_typeET4_jRbjT5_S1B_jjP12ihipStream_tbEUljE_EEESW_SX_SY_S15_S19_S1B_T6_T7_T9_mT8_S1D_bDpT10_ENKUlT_T0_E_clISt17integral_constantIbLb0EES1Q_EEDaS1L_S1M_EUlS1L_E_NS1_11comp_targetILNS1_3genE8ELNS1_11target_archE1030ELNS1_3gpuE2ELNS1_3repE0EEENS1_30default_config_static_selectorELNS0_4arch9wavefront6targetE1EEEvSZ_.uses_flat_scratch, 0
	.set _ZN7rocprim17ROCPRIM_400000_NS6detail17trampoline_kernelINS0_13select_configILj256ELj13ELNS0_17block_load_methodE3ELS4_3ELS4_3ELNS0_20block_scan_algorithmE0ELj4294967295EEENS1_25partition_config_selectorILNS1_17partition_subalgoE3EjNS0_10empty_typeEbEEZZNS1_14partition_implILS8_3ELb0ES6_jNS0_17counting_iteratorIjlEEPS9_SE_NS0_5tupleIJPjSE_EEENSF_IJSE_SE_EEES9_SG_JZNS1_25segmented_radix_sort_implINS0_14default_configELb0EPK6__halfPSL_PKlPlN2at6native12_GLOBAL__N_18offset_tEEE10hipError_tPvRmT1_PNSt15iterator_traitsISZ_E10value_typeET2_T3_PNS10_IS15_E10value_typeET4_jRbjT5_S1B_jjP12ihipStream_tbEUljE_EEESW_SX_SY_S15_S19_S1B_T6_T7_T9_mT8_S1D_bDpT10_ENKUlT_T0_E_clISt17integral_constantIbLb0EES1Q_EEDaS1L_S1M_EUlS1L_E_NS1_11comp_targetILNS1_3genE8ELNS1_11target_archE1030ELNS1_3gpuE2ELNS1_3repE0EEENS1_30default_config_static_selectorELNS0_4arch9wavefront6targetE1EEEvSZ_.has_dyn_sized_stack, 0
	.set _ZN7rocprim17ROCPRIM_400000_NS6detail17trampoline_kernelINS0_13select_configILj256ELj13ELNS0_17block_load_methodE3ELS4_3ELS4_3ELNS0_20block_scan_algorithmE0ELj4294967295EEENS1_25partition_config_selectorILNS1_17partition_subalgoE3EjNS0_10empty_typeEbEEZZNS1_14partition_implILS8_3ELb0ES6_jNS0_17counting_iteratorIjlEEPS9_SE_NS0_5tupleIJPjSE_EEENSF_IJSE_SE_EEES9_SG_JZNS1_25segmented_radix_sort_implINS0_14default_configELb0EPK6__halfPSL_PKlPlN2at6native12_GLOBAL__N_18offset_tEEE10hipError_tPvRmT1_PNSt15iterator_traitsISZ_E10value_typeET2_T3_PNS10_IS15_E10value_typeET4_jRbjT5_S1B_jjP12ihipStream_tbEUljE_EEESW_SX_SY_S15_S19_S1B_T6_T7_T9_mT8_S1D_bDpT10_ENKUlT_T0_E_clISt17integral_constantIbLb0EES1Q_EEDaS1L_S1M_EUlS1L_E_NS1_11comp_targetILNS1_3genE8ELNS1_11target_archE1030ELNS1_3gpuE2ELNS1_3repE0EEENS1_30default_config_static_selectorELNS0_4arch9wavefront6targetE1EEEvSZ_.has_recursion, 0
	.set _ZN7rocprim17ROCPRIM_400000_NS6detail17trampoline_kernelINS0_13select_configILj256ELj13ELNS0_17block_load_methodE3ELS4_3ELS4_3ELNS0_20block_scan_algorithmE0ELj4294967295EEENS1_25partition_config_selectorILNS1_17partition_subalgoE3EjNS0_10empty_typeEbEEZZNS1_14partition_implILS8_3ELb0ES6_jNS0_17counting_iteratorIjlEEPS9_SE_NS0_5tupleIJPjSE_EEENSF_IJSE_SE_EEES9_SG_JZNS1_25segmented_radix_sort_implINS0_14default_configELb0EPK6__halfPSL_PKlPlN2at6native12_GLOBAL__N_18offset_tEEE10hipError_tPvRmT1_PNSt15iterator_traitsISZ_E10value_typeET2_T3_PNS10_IS15_E10value_typeET4_jRbjT5_S1B_jjP12ihipStream_tbEUljE_EEESW_SX_SY_S15_S19_S1B_T6_T7_T9_mT8_S1D_bDpT10_ENKUlT_T0_E_clISt17integral_constantIbLb0EES1Q_EEDaS1L_S1M_EUlS1L_E_NS1_11comp_targetILNS1_3genE8ELNS1_11target_archE1030ELNS1_3gpuE2ELNS1_3repE0EEENS1_30default_config_static_selectorELNS0_4arch9wavefront6targetE1EEEvSZ_.has_indirect_call, 0
	.section	.AMDGPU.csdata,"",@progbits
; Kernel info:
; codeLenInByte = 0
; TotalNumSgprs: 4
; NumVgprs: 0
; ScratchSize: 0
; MemoryBound: 0
; FloatMode: 240
; IeeeMode: 1
; LDSByteSize: 0 bytes/workgroup (compile time only)
; SGPRBlocks: 0
; VGPRBlocks: 0
; NumSGPRsForWavesPerEU: 4
; NumVGPRsForWavesPerEU: 1
; Occupancy: 10
; WaveLimiterHint : 0
; COMPUTE_PGM_RSRC2:SCRATCH_EN: 0
; COMPUTE_PGM_RSRC2:USER_SGPR: 6
; COMPUTE_PGM_RSRC2:TRAP_HANDLER: 0
; COMPUTE_PGM_RSRC2:TGID_X_EN: 1
; COMPUTE_PGM_RSRC2:TGID_Y_EN: 0
; COMPUTE_PGM_RSRC2:TGID_Z_EN: 0
; COMPUTE_PGM_RSRC2:TIDIG_COMP_CNT: 0
	.section	.text._ZN7rocprim17ROCPRIM_400000_NS6detail17trampoline_kernelINS0_13select_configILj256ELj13ELNS0_17block_load_methodE3ELS4_3ELS4_3ELNS0_20block_scan_algorithmE0ELj4294967295EEENS1_25partition_config_selectorILNS1_17partition_subalgoE3EjNS0_10empty_typeEbEEZZNS1_14partition_implILS8_3ELb0ES6_jNS0_17counting_iteratorIjlEEPS9_SE_NS0_5tupleIJPjSE_EEENSF_IJSE_SE_EEES9_SG_JZNS1_25segmented_radix_sort_implINS0_14default_configELb0EPK6__halfPSL_PKlPlN2at6native12_GLOBAL__N_18offset_tEEE10hipError_tPvRmT1_PNSt15iterator_traitsISZ_E10value_typeET2_T3_PNS10_IS15_E10value_typeET4_jRbjT5_S1B_jjP12ihipStream_tbEUljE_EEESW_SX_SY_S15_S19_S1B_T6_T7_T9_mT8_S1D_bDpT10_ENKUlT_T0_E_clISt17integral_constantIbLb1EES1Q_EEDaS1L_S1M_EUlS1L_E_NS1_11comp_targetILNS1_3genE0ELNS1_11target_archE4294967295ELNS1_3gpuE0ELNS1_3repE0EEENS1_30default_config_static_selectorELNS0_4arch9wavefront6targetE1EEEvSZ_,"axG",@progbits,_ZN7rocprim17ROCPRIM_400000_NS6detail17trampoline_kernelINS0_13select_configILj256ELj13ELNS0_17block_load_methodE3ELS4_3ELS4_3ELNS0_20block_scan_algorithmE0ELj4294967295EEENS1_25partition_config_selectorILNS1_17partition_subalgoE3EjNS0_10empty_typeEbEEZZNS1_14partition_implILS8_3ELb0ES6_jNS0_17counting_iteratorIjlEEPS9_SE_NS0_5tupleIJPjSE_EEENSF_IJSE_SE_EEES9_SG_JZNS1_25segmented_radix_sort_implINS0_14default_configELb0EPK6__halfPSL_PKlPlN2at6native12_GLOBAL__N_18offset_tEEE10hipError_tPvRmT1_PNSt15iterator_traitsISZ_E10value_typeET2_T3_PNS10_IS15_E10value_typeET4_jRbjT5_S1B_jjP12ihipStream_tbEUljE_EEESW_SX_SY_S15_S19_S1B_T6_T7_T9_mT8_S1D_bDpT10_ENKUlT_T0_E_clISt17integral_constantIbLb1EES1Q_EEDaS1L_S1M_EUlS1L_E_NS1_11comp_targetILNS1_3genE0ELNS1_11target_archE4294967295ELNS1_3gpuE0ELNS1_3repE0EEENS1_30default_config_static_selectorELNS0_4arch9wavefront6targetE1EEEvSZ_,comdat
	.globl	_ZN7rocprim17ROCPRIM_400000_NS6detail17trampoline_kernelINS0_13select_configILj256ELj13ELNS0_17block_load_methodE3ELS4_3ELS4_3ELNS0_20block_scan_algorithmE0ELj4294967295EEENS1_25partition_config_selectorILNS1_17partition_subalgoE3EjNS0_10empty_typeEbEEZZNS1_14partition_implILS8_3ELb0ES6_jNS0_17counting_iteratorIjlEEPS9_SE_NS0_5tupleIJPjSE_EEENSF_IJSE_SE_EEES9_SG_JZNS1_25segmented_radix_sort_implINS0_14default_configELb0EPK6__halfPSL_PKlPlN2at6native12_GLOBAL__N_18offset_tEEE10hipError_tPvRmT1_PNSt15iterator_traitsISZ_E10value_typeET2_T3_PNS10_IS15_E10value_typeET4_jRbjT5_S1B_jjP12ihipStream_tbEUljE_EEESW_SX_SY_S15_S19_S1B_T6_T7_T9_mT8_S1D_bDpT10_ENKUlT_T0_E_clISt17integral_constantIbLb1EES1Q_EEDaS1L_S1M_EUlS1L_E_NS1_11comp_targetILNS1_3genE0ELNS1_11target_archE4294967295ELNS1_3gpuE0ELNS1_3repE0EEENS1_30default_config_static_selectorELNS0_4arch9wavefront6targetE1EEEvSZ_ ; -- Begin function _ZN7rocprim17ROCPRIM_400000_NS6detail17trampoline_kernelINS0_13select_configILj256ELj13ELNS0_17block_load_methodE3ELS4_3ELS4_3ELNS0_20block_scan_algorithmE0ELj4294967295EEENS1_25partition_config_selectorILNS1_17partition_subalgoE3EjNS0_10empty_typeEbEEZZNS1_14partition_implILS8_3ELb0ES6_jNS0_17counting_iteratorIjlEEPS9_SE_NS0_5tupleIJPjSE_EEENSF_IJSE_SE_EEES9_SG_JZNS1_25segmented_radix_sort_implINS0_14default_configELb0EPK6__halfPSL_PKlPlN2at6native12_GLOBAL__N_18offset_tEEE10hipError_tPvRmT1_PNSt15iterator_traitsISZ_E10value_typeET2_T3_PNS10_IS15_E10value_typeET4_jRbjT5_S1B_jjP12ihipStream_tbEUljE_EEESW_SX_SY_S15_S19_S1B_T6_T7_T9_mT8_S1D_bDpT10_ENKUlT_T0_E_clISt17integral_constantIbLb1EES1Q_EEDaS1L_S1M_EUlS1L_E_NS1_11comp_targetILNS1_3genE0ELNS1_11target_archE4294967295ELNS1_3gpuE0ELNS1_3repE0EEENS1_30default_config_static_selectorELNS0_4arch9wavefront6targetE1EEEvSZ_
	.p2align	8
	.type	_ZN7rocprim17ROCPRIM_400000_NS6detail17trampoline_kernelINS0_13select_configILj256ELj13ELNS0_17block_load_methodE3ELS4_3ELS4_3ELNS0_20block_scan_algorithmE0ELj4294967295EEENS1_25partition_config_selectorILNS1_17partition_subalgoE3EjNS0_10empty_typeEbEEZZNS1_14partition_implILS8_3ELb0ES6_jNS0_17counting_iteratorIjlEEPS9_SE_NS0_5tupleIJPjSE_EEENSF_IJSE_SE_EEES9_SG_JZNS1_25segmented_radix_sort_implINS0_14default_configELb0EPK6__halfPSL_PKlPlN2at6native12_GLOBAL__N_18offset_tEEE10hipError_tPvRmT1_PNSt15iterator_traitsISZ_E10value_typeET2_T3_PNS10_IS15_E10value_typeET4_jRbjT5_S1B_jjP12ihipStream_tbEUljE_EEESW_SX_SY_S15_S19_S1B_T6_T7_T9_mT8_S1D_bDpT10_ENKUlT_T0_E_clISt17integral_constantIbLb1EES1Q_EEDaS1L_S1M_EUlS1L_E_NS1_11comp_targetILNS1_3genE0ELNS1_11target_archE4294967295ELNS1_3gpuE0ELNS1_3repE0EEENS1_30default_config_static_selectorELNS0_4arch9wavefront6targetE1EEEvSZ_,@function
_ZN7rocprim17ROCPRIM_400000_NS6detail17trampoline_kernelINS0_13select_configILj256ELj13ELNS0_17block_load_methodE3ELS4_3ELS4_3ELNS0_20block_scan_algorithmE0ELj4294967295EEENS1_25partition_config_selectorILNS1_17partition_subalgoE3EjNS0_10empty_typeEbEEZZNS1_14partition_implILS8_3ELb0ES6_jNS0_17counting_iteratorIjlEEPS9_SE_NS0_5tupleIJPjSE_EEENSF_IJSE_SE_EEES9_SG_JZNS1_25segmented_radix_sort_implINS0_14default_configELb0EPK6__halfPSL_PKlPlN2at6native12_GLOBAL__N_18offset_tEEE10hipError_tPvRmT1_PNSt15iterator_traitsISZ_E10value_typeET2_T3_PNS10_IS15_E10value_typeET4_jRbjT5_S1B_jjP12ihipStream_tbEUljE_EEESW_SX_SY_S15_S19_S1B_T6_T7_T9_mT8_S1D_bDpT10_ENKUlT_T0_E_clISt17integral_constantIbLb1EES1Q_EEDaS1L_S1M_EUlS1L_E_NS1_11comp_targetILNS1_3genE0ELNS1_11target_archE4294967295ELNS1_3gpuE0ELNS1_3repE0EEENS1_30default_config_static_selectorELNS0_4arch9wavefront6targetE1EEEvSZ_: ; @_ZN7rocprim17ROCPRIM_400000_NS6detail17trampoline_kernelINS0_13select_configILj256ELj13ELNS0_17block_load_methodE3ELS4_3ELS4_3ELNS0_20block_scan_algorithmE0ELj4294967295EEENS1_25partition_config_selectorILNS1_17partition_subalgoE3EjNS0_10empty_typeEbEEZZNS1_14partition_implILS8_3ELb0ES6_jNS0_17counting_iteratorIjlEEPS9_SE_NS0_5tupleIJPjSE_EEENSF_IJSE_SE_EEES9_SG_JZNS1_25segmented_radix_sort_implINS0_14default_configELb0EPK6__halfPSL_PKlPlN2at6native12_GLOBAL__N_18offset_tEEE10hipError_tPvRmT1_PNSt15iterator_traitsISZ_E10value_typeET2_T3_PNS10_IS15_E10value_typeET4_jRbjT5_S1B_jjP12ihipStream_tbEUljE_EEESW_SX_SY_S15_S19_S1B_T6_T7_T9_mT8_S1D_bDpT10_ENKUlT_T0_E_clISt17integral_constantIbLb1EES1Q_EEDaS1L_S1M_EUlS1L_E_NS1_11comp_targetILNS1_3genE0ELNS1_11target_archE4294967295ELNS1_3gpuE0ELNS1_3repE0EEENS1_30default_config_static_selectorELNS0_4arch9wavefront6targetE1EEEvSZ_
; %bb.0:
	.section	.rodata,"a",@progbits
	.p2align	6, 0x0
	.amdhsa_kernel _ZN7rocprim17ROCPRIM_400000_NS6detail17trampoline_kernelINS0_13select_configILj256ELj13ELNS0_17block_load_methodE3ELS4_3ELS4_3ELNS0_20block_scan_algorithmE0ELj4294967295EEENS1_25partition_config_selectorILNS1_17partition_subalgoE3EjNS0_10empty_typeEbEEZZNS1_14partition_implILS8_3ELb0ES6_jNS0_17counting_iteratorIjlEEPS9_SE_NS0_5tupleIJPjSE_EEENSF_IJSE_SE_EEES9_SG_JZNS1_25segmented_radix_sort_implINS0_14default_configELb0EPK6__halfPSL_PKlPlN2at6native12_GLOBAL__N_18offset_tEEE10hipError_tPvRmT1_PNSt15iterator_traitsISZ_E10value_typeET2_T3_PNS10_IS15_E10value_typeET4_jRbjT5_S1B_jjP12ihipStream_tbEUljE_EEESW_SX_SY_S15_S19_S1B_T6_T7_T9_mT8_S1D_bDpT10_ENKUlT_T0_E_clISt17integral_constantIbLb1EES1Q_EEDaS1L_S1M_EUlS1L_E_NS1_11comp_targetILNS1_3genE0ELNS1_11target_archE4294967295ELNS1_3gpuE0ELNS1_3repE0EEENS1_30default_config_static_selectorELNS0_4arch9wavefront6targetE1EEEvSZ_
		.amdhsa_group_segment_fixed_size 0
		.amdhsa_private_segment_fixed_size 0
		.amdhsa_kernarg_size 152
		.amdhsa_user_sgpr_count 6
		.amdhsa_user_sgpr_private_segment_buffer 1
		.amdhsa_user_sgpr_dispatch_ptr 0
		.amdhsa_user_sgpr_queue_ptr 0
		.amdhsa_user_sgpr_kernarg_segment_ptr 1
		.amdhsa_user_sgpr_dispatch_id 0
		.amdhsa_user_sgpr_flat_scratch_init 0
		.amdhsa_user_sgpr_private_segment_size 0
		.amdhsa_uses_dynamic_stack 0
		.amdhsa_system_sgpr_private_segment_wavefront_offset 0
		.amdhsa_system_sgpr_workgroup_id_x 1
		.amdhsa_system_sgpr_workgroup_id_y 0
		.amdhsa_system_sgpr_workgroup_id_z 0
		.amdhsa_system_sgpr_workgroup_info 0
		.amdhsa_system_vgpr_workitem_id 0
		.amdhsa_next_free_vgpr 1
		.amdhsa_next_free_sgpr 0
		.amdhsa_reserve_vcc 0
		.amdhsa_reserve_flat_scratch 0
		.amdhsa_float_round_mode_32 0
		.amdhsa_float_round_mode_16_64 0
		.amdhsa_float_denorm_mode_32 3
		.amdhsa_float_denorm_mode_16_64 3
		.amdhsa_dx10_clamp 1
		.amdhsa_ieee_mode 1
		.amdhsa_fp16_overflow 0
		.amdhsa_exception_fp_ieee_invalid_op 0
		.amdhsa_exception_fp_denorm_src 0
		.amdhsa_exception_fp_ieee_div_zero 0
		.amdhsa_exception_fp_ieee_overflow 0
		.amdhsa_exception_fp_ieee_underflow 0
		.amdhsa_exception_fp_ieee_inexact 0
		.amdhsa_exception_int_div_zero 0
	.end_amdhsa_kernel
	.section	.text._ZN7rocprim17ROCPRIM_400000_NS6detail17trampoline_kernelINS0_13select_configILj256ELj13ELNS0_17block_load_methodE3ELS4_3ELS4_3ELNS0_20block_scan_algorithmE0ELj4294967295EEENS1_25partition_config_selectorILNS1_17partition_subalgoE3EjNS0_10empty_typeEbEEZZNS1_14partition_implILS8_3ELb0ES6_jNS0_17counting_iteratorIjlEEPS9_SE_NS0_5tupleIJPjSE_EEENSF_IJSE_SE_EEES9_SG_JZNS1_25segmented_radix_sort_implINS0_14default_configELb0EPK6__halfPSL_PKlPlN2at6native12_GLOBAL__N_18offset_tEEE10hipError_tPvRmT1_PNSt15iterator_traitsISZ_E10value_typeET2_T3_PNS10_IS15_E10value_typeET4_jRbjT5_S1B_jjP12ihipStream_tbEUljE_EEESW_SX_SY_S15_S19_S1B_T6_T7_T9_mT8_S1D_bDpT10_ENKUlT_T0_E_clISt17integral_constantIbLb1EES1Q_EEDaS1L_S1M_EUlS1L_E_NS1_11comp_targetILNS1_3genE0ELNS1_11target_archE4294967295ELNS1_3gpuE0ELNS1_3repE0EEENS1_30default_config_static_selectorELNS0_4arch9wavefront6targetE1EEEvSZ_,"axG",@progbits,_ZN7rocprim17ROCPRIM_400000_NS6detail17trampoline_kernelINS0_13select_configILj256ELj13ELNS0_17block_load_methodE3ELS4_3ELS4_3ELNS0_20block_scan_algorithmE0ELj4294967295EEENS1_25partition_config_selectorILNS1_17partition_subalgoE3EjNS0_10empty_typeEbEEZZNS1_14partition_implILS8_3ELb0ES6_jNS0_17counting_iteratorIjlEEPS9_SE_NS0_5tupleIJPjSE_EEENSF_IJSE_SE_EEES9_SG_JZNS1_25segmented_radix_sort_implINS0_14default_configELb0EPK6__halfPSL_PKlPlN2at6native12_GLOBAL__N_18offset_tEEE10hipError_tPvRmT1_PNSt15iterator_traitsISZ_E10value_typeET2_T3_PNS10_IS15_E10value_typeET4_jRbjT5_S1B_jjP12ihipStream_tbEUljE_EEESW_SX_SY_S15_S19_S1B_T6_T7_T9_mT8_S1D_bDpT10_ENKUlT_T0_E_clISt17integral_constantIbLb1EES1Q_EEDaS1L_S1M_EUlS1L_E_NS1_11comp_targetILNS1_3genE0ELNS1_11target_archE4294967295ELNS1_3gpuE0ELNS1_3repE0EEENS1_30default_config_static_selectorELNS0_4arch9wavefront6targetE1EEEvSZ_,comdat
.Lfunc_end1818:
	.size	_ZN7rocprim17ROCPRIM_400000_NS6detail17trampoline_kernelINS0_13select_configILj256ELj13ELNS0_17block_load_methodE3ELS4_3ELS4_3ELNS0_20block_scan_algorithmE0ELj4294967295EEENS1_25partition_config_selectorILNS1_17partition_subalgoE3EjNS0_10empty_typeEbEEZZNS1_14partition_implILS8_3ELb0ES6_jNS0_17counting_iteratorIjlEEPS9_SE_NS0_5tupleIJPjSE_EEENSF_IJSE_SE_EEES9_SG_JZNS1_25segmented_radix_sort_implINS0_14default_configELb0EPK6__halfPSL_PKlPlN2at6native12_GLOBAL__N_18offset_tEEE10hipError_tPvRmT1_PNSt15iterator_traitsISZ_E10value_typeET2_T3_PNS10_IS15_E10value_typeET4_jRbjT5_S1B_jjP12ihipStream_tbEUljE_EEESW_SX_SY_S15_S19_S1B_T6_T7_T9_mT8_S1D_bDpT10_ENKUlT_T0_E_clISt17integral_constantIbLb1EES1Q_EEDaS1L_S1M_EUlS1L_E_NS1_11comp_targetILNS1_3genE0ELNS1_11target_archE4294967295ELNS1_3gpuE0ELNS1_3repE0EEENS1_30default_config_static_selectorELNS0_4arch9wavefront6targetE1EEEvSZ_, .Lfunc_end1818-_ZN7rocprim17ROCPRIM_400000_NS6detail17trampoline_kernelINS0_13select_configILj256ELj13ELNS0_17block_load_methodE3ELS4_3ELS4_3ELNS0_20block_scan_algorithmE0ELj4294967295EEENS1_25partition_config_selectorILNS1_17partition_subalgoE3EjNS0_10empty_typeEbEEZZNS1_14partition_implILS8_3ELb0ES6_jNS0_17counting_iteratorIjlEEPS9_SE_NS0_5tupleIJPjSE_EEENSF_IJSE_SE_EEES9_SG_JZNS1_25segmented_radix_sort_implINS0_14default_configELb0EPK6__halfPSL_PKlPlN2at6native12_GLOBAL__N_18offset_tEEE10hipError_tPvRmT1_PNSt15iterator_traitsISZ_E10value_typeET2_T3_PNS10_IS15_E10value_typeET4_jRbjT5_S1B_jjP12ihipStream_tbEUljE_EEESW_SX_SY_S15_S19_S1B_T6_T7_T9_mT8_S1D_bDpT10_ENKUlT_T0_E_clISt17integral_constantIbLb1EES1Q_EEDaS1L_S1M_EUlS1L_E_NS1_11comp_targetILNS1_3genE0ELNS1_11target_archE4294967295ELNS1_3gpuE0ELNS1_3repE0EEENS1_30default_config_static_selectorELNS0_4arch9wavefront6targetE1EEEvSZ_
                                        ; -- End function
	.set _ZN7rocprim17ROCPRIM_400000_NS6detail17trampoline_kernelINS0_13select_configILj256ELj13ELNS0_17block_load_methodE3ELS4_3ELS4_3ELNS0_20block_scan_algorithmE0ELj4294967295EEENS1_25partition_config_selectorILNS1_17partition_subalgoE3EjNS0_10empty_typeEbEEZZNS1_14partition_implILS8_3ELb0ES6_jNS0_17counting_iteratorIjlEEPS9_SE_NS0_5tupleIJPjSE_EEENSF_IJSE_SE_EEES9_SG_JZNS1_25segmented_radix_sort_implINS0_14default_configELb0EPK6__halfPSL_PKlPlN2at6native12_GLOBAL__N_18offset_tEEE10hipError_tPvRmT1_PNSt15iterator_traitsISZ_E10value_typeET2_T3_PNS10_IS15_E10value_typeET4_jRbjT5_S1B_jjP12ihipStream_tbEUljE_EEESW_SX_SY_S15_S19_S1B_T6_T7_T9_mT8_S1D_bDpT10_ENKUlT_T0_E_clISt17integral_constantIbLb1EES1Q_EEDaS1L_S1M_EUlS1L_E_NS1_11comp_targetILNS1_3genE0ELNS1_11target_archE4294967295ELNS1_3gpuE0ELNS1_3repE0EEENS1_30default_config_static_selectorELNS0_4arch9wavefront6targetE1EEEvSZ_.num_vgpr, 0
	.set _ZN7rocprim17ROCPRIM_400000_NS6detail17trampoline_kernelINS0_13select_configILj256ELj13ELNS0_17block_load_methodE3ELS4_3ELS4_3ELNS0_20block_scan_algorithmE0ELj4294967295EEENS1_25partition_config_selectorILNS1_17partition_subalgoE3EjNS0_10empty_typeEbEEZZNS1_14partition_implILS8_3ELb0ES6_jNS0_17counting_iteratorIjlEEPS9_SE_NS0_5tupleIJPjSE_EEENSF_IJSE_SE_EEES9_SG_JZNS1_25segmented_radix_sort_implINS0_14default_configELb0EPK6__halfPSL_PKlPlN2at6native12_GLOBAL__N_18offset_tEEE10hipError_tPvRmT1_PNSt15iterator_traitsISZ_E10value_typeET2_T3_PNS10_IS15_E10value_typeET4_jRbjT5_S1B_jjP12ihipStream_tbEUljE_EEESW_SX_SY_S15_S19_S1B_T6_T7_T9_mT8_S1D_bDpT10_ENKUlT_T0_E_clISt17integral_constantIbLb1EES1Q_EEDaS1L_S1M_EUlS1L_E_NS1_11comp_targetILNS1_3genE0ELNS1_11target_archE4294967295ELNS1_3gpuE0ELNS1_3repE0EEENS1_30default_config_static_selectorELNS0_4arch9wavefront6targetE1EEEvSZ_.num_agpr, 0
	.set _ZN7rocprim17ROCPRIM_400000_NS6detail17trampoline_kernelINS0_13select_configILj256ELj13ELNS0_17block_load_methodE3ELS4_3ELS4_3ELNS0_20block_scan_algorithmE0ELj4294967295EEENS1_25partition_config_selectorILNS1_17partition_subalgoE3EjNS0_10empty_typeEbEEZZNS1_14partition_implILS8_3ELb0ES6_jNS0_17counting_iteratorIjlEEPS9_SE_NS0_5tupleIJPjSE_EEENSF_IJSE_SE_EEES9_SG_JZNS1_25segmented_radix_sort_implINS0_14default_configELb0EPK6__halfPSL_PKlPlN2at6native12_GLOBAL__N_18offset_tEEE10hipError_tPvRmT1_PNSt15iterator_traitsISZ_E10value_typeET2_T3_PNS10_IS15_E10value_typeET4_jRbjT5_S1B_jjP12ihipStream_tbEUljE_EEESW_SX_SY_S15_S19_S1B_T6_T7_T9_mT8_S1D_bDpT10_ENKUlT_T0_E_clISt17integral_constantIbLb1EES1Q_EEDaS1L_S1M_EUlS1L_E_NS1_11comp_targetILNS1_3genE0ELNS1_11target_archE4294967295ELNS1_3gpuE0ELNS1_3repE0EEENS1_30default_config_static_selectorELNS0_4arch9wavefront6targetE1EEEvSZ_.numbered_sgpr, 0
	.set _ZN7rocprim17ROCPRIM_400000_NS6detail17trampoline_kernelINS0_13select_configILj256ELj13ELNS0_17block_load_methodE3ELS4_3ELS4_3ELNS0_20block_scan_algorithmE0ELj4294967295EEENS1_25partition_config_selectorILNS1_17partition_subalgoE3EjNS0_10empty_typeEbEEZZNS1_14partition_implILS8_3ELb0ES6_jNS0_17counting_iteratorIjlEEPS9_SE_NS0_5tupleIJPjSE_EEENSF_IJSE_SE_EEES9_SG_JZNS1_25segmented_radix_sort_implINS0_14default_configELb0EPK6__halfPSL_PKlPlN2at6native12_GLOBAL__N_18offset_tEEE10hipError_tPvRmT1_PNSt15iterator_traitsISZ_E10value_typeET2_T3_PNS10_IS15_E10value_typeET4_jRbjT5_S1B_jjP12ihipStream_tbEUljE_EEESW_SX_SY_S15_S19_S1B_T6_T7_T9_mT8_S1D_bDpT10_ENKUlT_T0_E_clISt17integral_constantIbLb1EES1Q_EEDaS1L_S1M_EUlS1L_E_NS1_11comp_targetILNS1_3genE0ELNS1_11target_archE4294967295ELNS1_3gpuE0ELNS1_3repE0EEENS1_30default_config_static_selectorELNS0_4arch9wavefront6targetE1EEEvSZ_.num_named_barrier, 0
	.set _ZN7rocprim17ROCPRIM_400000_NS6detail17trampoline_kernelINS0_13select_configILj256ELj13ELNS0_17block_load_methodE3ELS4_3ELS4_3ELNS0_20block_scan_algorithmE0ELj4294967295EEENS1_25partition_config_selectorILNS1_17partition_subalgoE3EjNS0_10empty_typeEbEEZZNS1_14partition_implILS8_3ELb0ES6_jNS0_17counting_iteratorIjlEEPS9_SE_NS0_5tupleIJPjSE_EEENSF_IJSE_SE_EEES9_SG_JZNS1_25segmented_radix_sort_implINS0_14default_configELb0EPK6__halfPSL_PKlPlN2at6native12_GLOBAL__N_18offset_tEEE10hipError_tPvRmT1_PNSt15iterator_traitsISZ_E10value_typeET2_T3_PNS10_IS15_E10value_typeET4_jRbjT5_S1B_jjP12ihipStream_tbEUljE_EEESW_SX_SY_S15_S19_S1B_T6_T7_T9_mT8_S1D_bDpT10_ENKUlT_T0_E_clISt17integral_constantIbLb1EES1Q_EEDaS1L_S1M_EUlS1L_E_NS1_11comp_targetILNS1_3genE0ELNS1_11target_archE4294967295ELNS1_3gpuE0ELNS1_3repE0EEENS1_30default_config_static_selectorELNS0_4arch9wavefront6targetE1EEEvSZ_.private_seg_size, 0
	.set _ZN7rocprim17ROCPRIM_400000_NS6detail17trampoline_kernelINS0_13select_configILj256ELj13ELNS0_17block_load_methodE3ELS4_3ELS4_3ELNS0_20block_scan_algorithmE0ELj4294967295EEENS1_25partition_config_selectorILNS1_17partition_subalgoE3EjNS0_10empty_typeEbEEZZNS1_14partition_implILS8_3ELb0ES6_jNS0_17counting_iteratorIjlEEPS9_SE_NS0_5tupleIJPjSE_EEENSF_IJSE_SE_EEES9_SG_JZNS1_25segmented_radix_sort_implINS0_14default_configELb0EPK6__halfPSL_PKlPlN2at6native12_GLOBAL__N_18offset_tEEE10hipError_tPvRmT1_PNSt15iterator_traitsISZ_E10value_typeET2_T3_PNS10_IS15_E10value_typeET4_jRbjT5_S1B_jjP12ihipStream_tbEUljE_EEESW_SX_SY_S15_S19_S1B_T6_T7_T9_mT8_S1D_bDpT10_ENKUlT_T0_E_clISt17integral_constantIbLb1EES1Q_EEDaS1L_S1M_EUlS1L_E_NS1_11comp_targetILNS1_3genE0ELNS1_11target_archE4294967295ELNS1_3gpuE0ELNS1_3repE0EEENS1_30default_config_static_selectorELNS0_4arch9wavefront6targetE1EEEvSZ_.uses_vcc, 0
	.set _ZN7rocprim17ROCPRIM_400000_NS6detail17trampoline_kernelINS0_13select_configILj256ELj13ELNS0_17block_load_methodE3ELS4_3ELS4_3ELNS0_20block_scan_algorithmE0ELj4294967295EEENS1_25partition_config_selectorILNS1_17partition_subalgoE3EjNS0_10empty_typeEbEEZZNS1_14partition_implILS8_3ELb0ES6_jNS0_17counting_iteratorIjlEEPS9_SE_NS0_5tupleIJPjSE_EEENSF_IJSE_SE_EEES9_SG_JZNS1_25segmented_radix_sort_implINS0_14default_configELb0EPK6__halfPSL_PKlPlN2at6native12_GLOBAL__N_18offset_tEEE10hipError_tPvRmT1_PNSt15iterator_traitsISZ_E10value_typeET2_T3_PNS10_IS15_E10value_typeET4_jRbjT5_S1B_jjP12ihipStream_tbEUljE_EEESW_SX_SY_S15_S19_S1B_T6_T7_T9_mT8_S1D_bDpT10_ENKUlT_T0_E_clISt17integral_constantIbLb1EES1Q_EEDaS1L_S1M_EUlS1L_E_NS1_11comp_targetILNS1_3genE0ELNS1_11target_archE4294967295ELNS1_3gpuE0ELNS1_3repE0EEENS1_30default_config_static_selectorELNS0_4arch9wavefront6targetE1EEEvSZ_.uses_flat_scratch, 0
	.set _ZN7rocprim17ROCPRIM_400000_NS6detail17trampoline_kernelINS0_13select_configILj256ELj13ELNS0_17block_load_methodE3ELS4_3ELS4_3ELNS0_20block_scan_algorithmE0ELj4294967295EEENS1_25partition_config_selectorILNS1_17partition_subalgoE3EjNS0_10empty_typeEbEEZZNS1_14partition_implILS8_3ELb0ES6_jNS0_17counting_iteratorIjlEEPS9_SE_NS0_5tupleIJPjSE_EEENSF_IJSE_SE_EEES9_SG_JZNS1_25segmented_radix_sort_implINS0_14default_configELb0EPK6__halfPSL_PKlPlN2at6native12_GLOBAL__N_18offset_tEEE10hipError_tPvRmT1_PNSt15iterator_traitsISZ_E10value_typeET2_T3_PNS10_IS15_E10value_typeET4_jRbjT5_S1B_jjP12ihipStream_tbEUljE_EEESW_SX_SY_S15_S19_S1B_T6_T7_T9_mT8_S1D_bDpT10_ENKUlT_T0_E_clISt17integral_constantIbLb1EES1Q_EEDaS1L_S1M_EUlS1L_E_NS1_11comp_targetILNS1_3genE0ELNS1_11target_archE4294967295ELNS1_3gpuE0ELNS1_3repE0EEENS1_30default_config_static_selectorELNS0_4arch9wavefront6targetE1EEEvSZ_.has_dyn_sized_stack, 0
	.set _ZN7rocprim17ROCPRIM_400000_NS6detail17trampoline_kernelINS0_13select_configILj256ELj13ELNS0_17block_load_methodE3ELS4_3ELS4_3ELNS0_20block_scan_algorithmE0ELj4294967295EEENS1_25partition_config_selectorILNS1_17partition_subalgoE3EjNS0_10empty_typeEbEEZZNS1_14partition_implILS8_3ELb0ES6_jNS0_17counting_iteratorIjlEEPS9_SE_NS0_5tupleIJPjSE_EEENSF_IJSE_SE_EEES9_SG_JZNS1_25segmented_radix_sort_implINS0_14default_configELb0EPK6__halfPSL_PKlPlN2at6native12_GLOBAL__N_18offset_tEEE10hipError_tPvRmT1_PNSt15iterator_traitsISZ_E10value_typeET2_T3_PNS10_IS15_E10value_typeET4_jRbjT5_S1B_jjP12ihipStream_tbEUljE_EEESW_SX_SY_S15_S19_S1B_T6_T7_T9_mT8_S1D_bDpT10_ENKUlT_T0_E_clISt17integral_constantIbLb1EES1Q_EEDaS1L_S1M_EUlS1L_E_NS1_11comp_targetILNS1_3genE0ELNS1_11target_archE4294967295ELNS1_3gpuE0ELNS1_3repE0EEENS1_30default_config_static_selectorELNS0_4arch9wavefront6targetE1EEEvSZ_.has_recursion, 0
	.set _ZN7rocprim17ROCPRIM_400000_NS6detail17trampoline_kernelINS0_13select_configILj256ELj13ELNS0_17block_load_methodE3ELS4_3ELS4_3ELNS0_20block_scan_algorithmE0ELj4294967295EEENS1_25partition_config_selectorILNS1_17partition_subalgoE3EjNS0_10empty_typeEbEEZZNS1_14partition_implILS8_3ELb0ES6_jNS0_17counting_iteratorIjlEEPS9_SE_NS0_5tupleIJPjSE_EEENSF_IJSE_SE_EEES9_SG_JZNS1_25segmented_radix_sort_implINS0_14default_configELb0EPK6__halfPSL_PKlPlN2at6native12_GLOBAL__N_18offset_tEEE10hipError_tPvRmT1_PNSt15iterator_traitsISZ_E10value_typeET2_T3_PNS10_IS15_E10value_typeET4_jRbjT5_S1B_jjP12ihipStream_tbEUljE_EEESW_SX_SY_S15_S19_S1B_T6_T7_T9_mT8_S1D_bDpT10_ENKUlT_T0_E_clISt17integral_constantIbLb1EES1Q_EEDaS1L_S1M_EUlS1L_E_NS1_11comp_targetILNS1_3genE0ELNS1_11target_archE4294967295ELNS1_3gpuE0ELNS1_3repE0EEENS1_30default_config_static_selectorELNS0_4arch9wavefront6targetE1EEEvSZ_.has_indirect_call, 0
	.section	.AMDGPU.csdata,"",@progbits
; Kernel info:
; codeLenInByte = 0
; TotalNumSgprs: 4
; NumVgprs: 0
; ScratchSize: 0
; MemoryBound: 0
; FloatMode: 240
; IeeeMode: 1
; LDSByteSize: 0 bytes/workgroup (compile time only)
; SGPRBlocks: 0
; VGPRBlocks: 0
; NumSGPRsForWavesPerEU: 4
; NumVGPRsForWavesPerEU: 1
; Occupancy: 10
; WaveLimiterHint : 0
; COMPUTE_PGM_RSRC2:SCRATCH_EN: 0
; COMPUTE_PGM_RSRC2:USER_SGPR: 6
; COMPUTE_PGM_RSRC2:TRAP_HANDLER: 0
; COMPUTE_PGM_RSRC2:TGID_X_EN: 1
; COMPUTE_PGM_RSRC2:TGID_Y_EN: 0
; COMPUTE_PGM_RSRC2:TGID_Z_EN: 0
; COMPUTE_PGM_RSRC2:TIDIG_COMP_CNT: 0
	.section	.text._ZN7rocprim17ROCPRIM_400000_NS6detail17trampoline_kernelINS0_13select_configILj256ELj13ELNS0_17block_load_methodE3ELS4_3ELS4_3ELNS0_20block_scan_algorithmE0ELj4294967295EEENS1_25partition_config_selectorILNS1_17partition_subalgoE3EjNS0_10empty_typeEbEEZZNS1_14partition_implILS8_3ELb0ES6_jNS0_17counting_iteratorIjlEEPS9_SE_NS0_5tupleIJPjSE_EEENSF_IJSE_SE_EEES9_SG_JZNS1_25segmented_radix_sort_implINS0_14default_configELb0EPK6__halfPSL_PKlPlN2at6native12_GLOBAL__N_18offset_tEEE10hipError_tPvRmT1_PNSt15iterator_traitsISZ_E10value_typeET2_T3_PNS10_IS15_E10value_typeET4_jRbjT5_S1B_jjP12ihipStream_tbEUljE_EEESW_SX_SY_S15_S19_S1B_T6_T7_T9_mT8_S1D_bDpT10_ENKUlT_T0_E_clISt17integral_constantIbLb1EES1Q_EEDaS1L_S1M_EUlS1L_E_NS1_11comp_targetILNS1_3genE5ELNS1_11target_archE942ELNS1_3gpuE9ELNS1_3repE0EEENS1_30default_config_static_selectorELNS0_4arch9wavefront6targetE1EEEvSZ_,"axG",@progbits,_ZN7rocprim17ROCPRIM_400000_NS6detail17trampoline_kernelINS0_13select_configILj256ELj13ELNS0_17block_load_methodE3ELS4_3ELS4_3ELNS0_20block_scan_algorithmE0ELj4294967295EEENS1_25partition_config_selectorILNS1_17partition_subalgoE3EjNS0_10empty_typeEbEEZZNS1_14partition_implILS8_3ELb0ES6_jNS0_17counting_iteratorIjlEEPS9_SE_NS0_5tupleIJPjSE_EEENSF_IJSE_SE_EEES9_SG_JZNS1_25segmented_radix_sort_implINS0_14default_configELb0EPK6__halfPSL_PKlPlN2at6native12_GLOBAL__N_18offset_tEEE10hipError_tPvRmT1_PNSt15iterator_traitsISZ_E10value_typeET2_T3_PNS10_IS15_E10value_typeET4_jRbjT5_S1B_jjP12ihipStream_tbEUljE_EEESW_SX_SY_S15_S19_S1B_T6_T7_T9_mT8_S1D_bDpT10_ENKUlT_T0_E_clISt17integral_constantIbLb1EES1Q_EEDaS1L_S1M_EUlS1L_E_NS1_11comp_targetILNS1_3genE5ELNS1_11target_archE942ELNS1_3gpuE9ELNS1_3repE0EEENS1_30default_config_static_selectorELNS0_4arch9wavefront6targetE1EEEvSZ_,comdat
	.globl	_ZN7rocprim17ROCPRIM_400000_NS6detail17trampoline_kernelINS0_13select_configILj256ELj13ELNS0_17block_load_methodE3ELS4_3ELS4_3ELNS0_20block_scan_algorithmE0ELj4294967295EEENS1_25partition_config_selectorILNS1_17partition_subalgoE3EjNS0_10empty_typeEbEEZZNS1_14partition_implILS8_3ELb0ES6_jNS0_17counting_iteratorIjlEEPS9_SE_NS0_5tupleIJPjSE_EEENSF_IJSE_SE_EEES9_SG_JZNS1_25segmented_radix_sort_implINS0_14default_configELb0EPK6__halfPSL_PKlPlN2at6native12_GLOBAL__N_18offset_tEEE10hipError_tPvRmT1_PNSt15iterator_traitsISZ_E10value_typeET2_T3_PNS10_IS15_E10value_typeET4_jRbjT5_S1B_jjP12ihipStream_tbEUljE_EEESW_SX_SY_S15_S19_S1B_T6_T7_T9_mT8_S1D_bDpT10_ENKUlT_T0_E_clISt17integral_constantIbLb1EES1Q_EEDaS1L_S1M_EUlS1L_E_NS1_11comp_targetILNS1_3genE5ELNS1_11target_archE942ELNS1_3gpuE9ELNS1_3repE0EEENS1_30default_config_static_selectorELNS0_4arch9wavefront6targetE1EEEvSZ_ ; -- Begin function _ZN7rocprim17ROCPRIM_400000_NS6detail17trampoline_kernelINS0_13select_configILj256ELj13ELNS0_17block_load_methodE3ELS4_3ELS4_3ELNS0_20block_scan_algorithmE0ELj4294967295EEENS1_25partition_config_selectorILNS1_17partition_subalgoE3EjNS0_10empty_typeEbEEZZNS1_14partition_implILS8_3ELb0ES6_jNS0_17counting_iteratorIjlEEPS9_SE_NS0_5tupleIJPjSE_EEENSF_IJSE_SE_EEES9_SG_JZNS1_25segmented_radix_sort_implINS0_14default_configELb0EPK6__halfPSL_PKlPlN2at6native12_GLOBAL__N_18offset_tEEE10hipError_tPvRmT1_PNSt15iterator_traitsISZ_E10value_typeET2_T3_PNS10_IS15_E10value_typeET4_jRbjT5_S1B_jjP12ihipStream_tbEUljE_EEESW_SX_SY_S15_S19_S1B_T6_T7_T9_mT8_S1D_bDpT10_ENKUlT_T0_E_clISt17integral_constantIbLb1EES1Q_EEDaS1L_S1M_EUlS1L_E_NS1_11comp_targetILNS1_3genE5ELNS1_11target_archE942ELNS1_3gpuE9ELNS1_3repE0EEENS1_30default_config_static_selectorELNS0_4arch9wavefront6targetE1EEEvSZ_
	.p2align	8
	.type	_ZN7rocprim17ROCPRIM_400000_NS6detail17trampoline_kernelINS0_13select_configILj256ELj13ELNS0_17block_load_methodE3ELS4_3ELS4_3ELNS0_20block_scan_algorithmE0ELj4294967295EEENS1_25partition_config_selectorILNS1_17partition_subalgoE3EjNS0_10empty_typeEbEEZZNS1_14partition_implILS8_3ELb0ES6_jNS0_17counting_iteratorIjlEEPS9_SE_NS0_5tupleIJPjSE_EEENSF_IJSE_SE_EEES9_SG_JZNS1_25segmented_radix_sort_implINS0_14default_configELb0EPK6__halfPSL_PKlPlN2at6native12_GLOBAL__N_18offset_tEEE10hipError_tPvRmT1_PNSt15iterator_traitsISZ_E10value_typeET2_T3_PNS10_IS15_E10value_typeET4_jRbjT5_S1B_jjP12ihipStream_tbEUljE_EEESW_SX_SY_S15_S19_S1B_T6_T7_T9_mT8_S1D_bDpT10_ENKUlT_T0_E_clISt17integral_constantIbLb1EES1Q_EEDaS1L_S1M_EUlS1L_E_NS1_11comp_targetILNS1_3genE5ELNS1_11target_archE942ELNS1_3gpuE9ELNS1_3repE0EEENS1_30default_config_static_selectorELNS0_4arch9wavefront6targetE1EEEvSZ_,@function
_ZN7rocprim17ROCPRIM_400000_NS6detail17trampoline_kernelINS0_13select_configILj256ELj13ELNS0_17block_load_methodE3ELS4_3ELS4_3ELNS0_20block_scan_algorithmE0ELj4294967295EEENS1_25partition_config_selectorILNS1_17partition_subalgoE3EjNS0_10empty_typeEbEEZZNS1_14partition_implILS8_3ELb0ES6_jNS0_17counting_iteratorIjlEEPS9_SE_NS0_5tupleIJPjSE_EEENSF_IJSE_SE_EEES9_SG_JZNS1_25segmented_radix_sort_implINS0_14default_configELb0EPK6__halfPSL_PKlPlN2at6native12_GLOBAL__N_18offset_tEEE10hipError_tPvRmT1_PNSt15iterator_traitsISZ_E10value_typeET2_T3_PNS10_IS15_E10value_typeET4_jRbjT5_S1B_jjP12ihipStream_tbEUljE_EEESW_SX_SY_S15_S19_S1B_T6_T7_T9_mT8_S1D_bDpT10_ENKUlT_T0_E_clISt17integral_constantIbLb1EES1Q_EEDaS1L_S1M_EUlS1L_E_NS1_11comp_targetILNS1_3genE5ELNS1_11target_archE942ELNS1_3gpuE9ELNS1_3repE0EEENS1_30default_config_static_selectorELNS0_4arch9wavefront6targetE1EEEvSZ_: ; @_ZN7rocprim17ROCPRIM_400000_NS6detail17trampoline_kernelINS0_13select_configILj256ELj13ELNS0_17block_load_methodE3ELS4_3ELS4_3ELNS0_20block_scan_algorithmE0ELj4294967295EEENS1_25partition_config_selectorILNS1_17partition_subalgoE3EjNS0_10empty_typeEbEEZZNS1_14partition_implILS8_3ELb0ES6_jNS0_17counting_iteratorIjlEEPS9_SE_NS0_5tupleIJPjSE_EEENSF_IJSE_SE_EEES9_SG_JZNS1_25segmented_radix_sort_implINS0_14default_configELb0EPK6__halfPSL_PKlPlN2at6native12_GLOBAL__N_18offset_tEEE10hipError_tPvRmT1_PNSt15iterator_traitsISZ_E10value_typeET2_T3_PNS10_IS15_E10value_typeET4_jRbjT5_S1B_jjP12ihipStream_tbEUljE_EEESW_SX_SY_S15_S19_S1B_T6_T7_T9_mT8_S1D_bDpT10_ENKUlT_T0_E_clISt17integral_constantIbLb1EES1Q_EEDaS1L_S1M_EUlS1L_E_NS1_11comp_targetILNS1_3genE5ELNS1_11target_archE942ELNS1_3gpuE9ELNS1_3repE0EEENS1_30default_config_static_selectorELNS0_4arch9wavefront6targetE1EEEvSZ_
; %bb.0:
	.section	.rodata,"a",@progbits
	.p2align	6, 0x0
	.amdhsa_kernel _ZN7rocprim17ROCPRIM_400000_NS6detail17trampoline_kernelINS0_13select_configILj256ELj13ELNS0_17block_load_methodE3ELS4_3ELS4_3ELNS0_20block_scan_algorithmE0ELj4294967295EEENS1_25partition_config_selectorILNS1_17partition_subalgoE3EjNS0_10empty_typeEbEEZZNS1_14partition_implILS8_3ELb0ES6_jNS0_17counting_iteratorIjlEEPS9_SE_NS0_5tupleIJPjSE_EEENSF_IJSE_SE_EEES9_SG_JZNS1_25segmented_radix_sort_implINS0_14default_configELb0EPK6__halfPSL_PKlPlN2at6native12_GLOBAL__N_18offset_tEEE10hipError_tPvRmT1_PNSt15iterator_traitsISZ_E10value_typeET2_T3_PNS10_IS15_E10value_typeET4_jRbjT5_S1B_jjP12ihipStream_tbEUljE_EEESW_SX_SY_S15_S19_S1B_T6_T7_T9_mT8_S1D_bDpT10_ENKUlT_T0_E_clISt17integral_constantIbLb1EES1Q_EEDaS1L_S1M_EUlS1L_E_NS1_11comp_targetILNS1_3genE5ELNS1_11target_archE942ELNS1_3gpuE9ELNS1_3repE0EEENS1_30default_config_static_selectorELNS0_4arch9wavefront6targetE1EEEvSZ_
		.amdhsa_group_segment_fixed_size 0
		.amdhsa_private_segment_fixed_size 0
		.amdhsa_kernarg_size 152
		.amdhsa_user_sgpr_count 6
		.amdhsa_user_sgpr_private_segment_buffer 1
		.amdhsa_user_sgpr_dispatch_ptr 0
		.amdhsa_user_sgpr_queue_ptr 0
		.amdhsa_user_sgpr_kernarg_segment_ptr 1
		.amdhsa_user_sgpr_dispatch_id 0
		.amdhsa_user_sgpr_flat_scratch_init 0
		.amdhsa_user_sgpr_private_segment_size 0
		.amdhsa_uses_dynamic_stack 0
		.amdhsa_system_sgpr_private_segment_wavefront_offset 0
		.amdhsa_system_sgpr_workgroup_id_x 1
		.amdhsa_system_sgpr_workgroup_id_y 0
		.amdhsa_system_sgpr_workgroup_id_z 0
		.amdhsa_system_sgpr_workgroup_info 0
		.amdhsa_system_vgpr_workitem_id 0
		.amdhsa_next_free_vgpr 1
		.amdhsa_next_free_sgpr 0
		.amdhsa_reserve_vcc 0
		.amdhsa_reserve_flat_scratch 0
		.amdhsa_float_round_mode_32 0
		.amdhsa_float_round_mode_16_64 0
		.amdhsa_float_denorm_mode_32 3
		.amdhsa_float_denorm_mode_16_64 3
		.amdhsa_dx10_clamp 1
		.amdhsa_ieee_mode 1
		.amdhsa_fp16_overflow 0
		.amdhsa_exception_fp_ieee_invalid_op 0
		.amdhsa_exception_fp_denorm_src 0
		.amdhsa_exception_fp_ieee_div_zero 0
		.amdhsa_exception_fp_ieee_overflow 0
		.amdhsa_exception_fp_ieee_underflow 0
		.amdhsa_exception_fp_ieee_inexact 0
		.amdhsa_exception_int_div_zero 0
	.end_amdhsa_kernel
	.section	.text._ZN7rocprim17ROCPRIM_400000_NS6detail17trampoline_kernelINS0_13select_configILj256ELj13ELNS0_17block_load_methodE3ELS4_3ELS4_3ELNS0_20block_scan_algorithmE0ELj4294967295EEENS1_25partition_config_selectorILNS1_17partition_subalgoE3EjNS0_10empty_typeEbEEZZNS1_14partition_implILS8_3ELb0ES6_jNS0_17counting_iteratorIjlEEPS9_SE_NS0_5tupleIJPjSE_EEENSF_IJSE_SE_EEES9_SG_JZNS1_25segmented_radix_sort_implINS0_14default_configELb0EPK6__halfPSL_PKlPlN2at6native12_GLOBAL__N_18offset_tEEE10hipError_tPvRmT1_PNSt15iterator_traitsISZ_E10value_typeET2_T3_PNS10_IS15_E10value_typeET4_jRbjT5_S1B_jjP12ihipStream_tbEUljE_EEESW_SX_SY_S15_S19_S1B_T6_T7_T9_mT8_S1D_bDpT10_ENKUlT_T0_E_clISt17integral_constantIbLb1EES1Q_EEDaS1L_S1M_EUlS1L_E_NS1_11comp_targetILNS1_3genE5ELNS1_11target_archE942ELNS1_3gpuE9ELNS1_3repE0EEENS1_30default_config_static_selectorELNS0_4arch9wavefront6targetE1EEEvSZ_,"axG",@progbits,_ZN7rocprim17ROCPRIM_400000_NS6detail17trampoline_kernelINS0_13select_configILj256ELj13ELNS0_17block_load_methodE3ELS4_3ELS4_3ELNS0_20block_scan_algorithmE0ELj4294967295EEENS1_25partition_config_selectorILNS1_17partition_subalgoE3EjNS0_10empty_typeEbEEZZNS1_14partition_implILS8_3ELb0ES6_jNS0_17counting_iteratorIjlEEPS9_SE_NS0_5tupleIJPjSE_EEENSF_IJSE_SE_EEES9_SG_JZNS1_25segmented_radix_sort_implINS0_14default_configELb0EPK6__halfPSL_PKlPlN2at6native12_GLOBAL__N_18offset_tEEE10hipError_tPvRmT1_PNSt15iterator_traitsISZ_E10value_typeET2_T3_PNS10_IS15_E10value_typeET4_jRbjT5_S1B_jjP12ihipStream_tbEUljE_EEESW_SX_SY_S15_S19_S1B_T6_T7_T9_mT8_S1D_bDpT10_ENKUlT_T0_E_clISt17integral_constantIbLb1EES1Q_EEDaS1L_S1M_EUlS1L_E_NS1_11comp_targetILNS1_3genE5ELNS1_11target_archE942ELNS1_3gpuE9ELNS1_3repE0EEENS1_30default_config_static_selectorELNS0_4arch9wavefront6targetE1EEEvSZ_,comdat
.Lfunc_end1819:
	.size	_ZN7rocprim17ROCPRIM_400000_NS6detail17trampoline_kernelINS0_13select_configILj256ELj13ELNS0_17block_load_methodE3ELS4_3ELS4_3ELNS0_20block_scan_algorithmE0ELj4294967295EEENS1_25partition_config_selectorILNS1_17partition_subalgoE3EjNS0_10empty_typeEbEEZZNS1_14partition_implILS8_3ELb0ES6_jNS0_17counting_iteratorIjlEEPS9_SE_NS0_5tupleIJPjSE_EEENSF_IJSE_SE_EEES9_SG_JZNS1_25segmented_radix_sort_implINS0_14default_configELb0EPK6__halfPSL_PKlPlN2at6native12_GLOBAL__N_18offset_tEEE10hipError_tPvRmT1_PNSt15iterator_traitsISZ_E10value_typeET2_T3_PNS10_IS15_E10value_typeET4_jRbjT5_S1B_jjP12ihipStream_tbEUljE_EEESW_SX_SY_S15_S19_S1B_T6_T7_T9_mT8_S1D_bDpT10_ENKUlT_T0_E_clISt17integral_constantIbLb1EES1Q_EEDaS1L_S1M_EUlS1L_E_NS1_11comp_targetILNS1_3genE5ELNS1_11target_archE942ELNS1_3gpuE9ELNS1_3repE0EEENS1_30default_config_static_selectorELNS0_4arch9wavefront6targetE1EEEvSZ_, .Lfunc_end1819-_ZN7rocprim17ROCPRIM_400000_NS6detail17trampoline_kernelINS0_13select_configILj256ELj13ELNS0_17block_load_methodE3ELS4_3ELS4_3ELNS0_20block_scan_algorithmE0ELj4294967295EEENS1_25partition_config_selectorILNS1_17partition_subalgoE3EjNS0_10empty_typeEbEEZZNS1_14partition_implILS8_3ELb0ES6_jNS0_17counting_iteratorIjlEEPS9_SE_NS0_5tupleIJPjSE_EEENSF_IJSE_SE_EEES9_SG_JZNS1_25segmented_radix_sort_implINS0_14default_configELb0EPK6__halfPSL_PKlPlN2at6native12_GLOBAL__N_18offset_tEEE10hipError_tPvRmT1_PNSt15iterator_traitsISZ_E10value_typeET2_T3_PNS10_IS15_E10value_typeET4_jRbjT5_S1B_jjP12ihipStream_tbEUljE_EEESW_SX_SY_S15_S19_S1B_T6_T7_T9_mT8_S1D_bDpT10_ENKUlT_T0_E_clISt17integral_constantIbLb1EES1Q_EEDaS1L_S1M_EUlS1L_E_NS1_11comp_targetILNS1_3genE5ELNS1_11target_archE942ELNS1_3gpuE9ELNS1_3repE0EEENS1_30default_config_static_selectorELNS0_4arch9wavefront6targetE1EEEvSZ_
                                        ; -- End function
	.set _ZN7rocprim17ROCPRIM_400000_NS6detail17trampoline_kernelINS0_13select_configILj256ELj13ELNS0_17block_load_methodE3ELS4_3ELS4_3ELNS0_20block_scan_algorithmE0ELj4294967295EEENS1_25partition_config_selectorILNS1_17partition_subalgoE3EjNS0_10empty_typeEbEEZZNS1_14partition_implILS8_3ELb0ES6_jNS0_17counting_iteratorIjlEEPS9_SE_NS0_5tupleIJPjSE_EEENSF_IJSE_SE_EEES9_SG_JZNS1_25segmented_radix_sort_implINS0_14default_configELb0EPK6__halfPSL_PKlPlN2at6native12_GLOBAL__N_18offset_tEEE10hipError_tPvRmT1_PNSt15iterator_traitsISZ_E10value_typeET2_T3_PNS10_IS15_E10value_typeET4_jRbjT5_S1B_jjP12ihipStream_tbEUljE_EEESW_SX_SY_S15_S19_S1B_T6_T7_T9_mT8_S1D_bDpT10_ENKUlT_T0_E_clISt17integral_constantIbLb1EES1Q_EEDaS1L_S1M_EUlS1L_E_NS1_11comp_targetILNS1_3genE5ELNS1_11target_archE942ELNS1_3gpuE9ELNS1_3repE0EEENS1_30default_config_static_selectorELNS0_4arch9wavefront6targetE1EEEvSZ_.num_vgpr, 0
	.set _ZN7rocprim17ROCPRIM_400000_NS6detail17trampoline_kernelINS0_13select_configILj256ELj13ELNS0_17block_load_methodE3ELS4_3ELS4_3ELNS0_20block_scan_algorithmE0ELj4294967295EEENS1_25partition_config_selectorILNS1_17partition_subalgoE3EjNS0_10empty_typeEbEEZZNS1_14partition_implILS8_3ELb0ES6_jNS0_17counting_iteratorIjlEEPS9_SE_NS0_5tupleIJPjSE_EEENSF_IJSE_SE_EEES9_SG_JZNS1_25segmented_radix_sort_implINS0_14default_configELb0EPK6__halfPSL_PKlPlN2at6native12_GLOBAL__N_18offset_tEEE10hipError_tPvRmT1_PNSt15iterator_traitsISZ_E10value_typeET2_T3_PNS10_IS15_E10value_typeET4_jRbjT5_S1B_jjP12ihipStream_tbEUljE_EEESW_SX_SY_S15_S19_S1B_T6_T7_T9_mT8_S1D_bDpT10_ENKUlT_T0_E_clISt17integral_constantIbLb1EES1Q_EEDaS1L_S1M_EUlS1L_E_NS1_11comp_targetILNS1_3genE5ELNS1_11target_archE942ELNS1_3gpuE9ELNS1_3repE0EEENS1_30default_config_static_selectorELNS0_4arch9wavefront6targetE1EEEvSZ_.num_agpr, 0
	.set _ZN7rocprim17ROCPRIM_400000_NS6detail17trampoline_kernelINS0_13select_configILj256ELj13ELNS0_17block_load_methodE3ELS4_3ELS4_3ELNS0_20block_scan_algorithmE0ELj4294967295EEENS1_25partition_config_selectorILNS1_17partition_subalgoE3EjNS0_10empty_typeEbEEZZNS1_14partition_implILS8_3ELb0ES6_jNS0_17counting_iteratorIjlEEPS9_SE_NS0_5tupleIJPjSE_EEENSF_IJSE_SE_EEES9_SG_JZNS1_25segmented_radix_sort_implINS0_14default_configELb0EPK6__halfPSL_PKlPlN2at6native12_GLOBAL__N_18offset_tEEE10hipError_tPvRmT1_PNSt15iterator_traitsISZ_E10value_typeET2_T3_PNS10_IS15_E10value_typeET4_jRbjT5_S1B_jjP12ihipStream_tbEUljE_EEESW_SX_SY_S15_S19_S1B_T6_T7_T9_mT8_S1D_bDpT10_ENKUlT_T0_E_clISt17integral_constantIbLb1EES1Q_EEDaS1L_S1M_EUlS1L_E_NS1_11comp_targetILNS1_3genE5ELNS1_11target_archE942ELNS1_3gpuE9ELNS1_3repE0EEENS1_30default_config_static_selectorELNS0_4arch9wavefront6targetE1EEEvSZ_.numbered_sgpr, 0
	.set _ZN7rocprim17ROCPRIM_400000_NS6detail17trampoline_kernelINS0_13select_configILj256ELj13ELNS0_17block_load_methodE3ELS4_3ELS4_3ELNS0_20block_scan_algorithmE0ELj4294967295EEENS1_25partition_config_selectorILNS1_17partition_subalgoE3EjNS0_10empty_typeEbEEZZNS1_14partition_implILS8_3ELb0ES6_jNS0_17counting_iteratorIjlEEPS9_SE_NS0_5tupleIJPjSE_EEENSF_IJSE_SE_EEES9_SG_JZNS1_25segmented_radix_sort_implINS0_14default_configELb0EPK6__halfPSL_PKlPlN2at6native12_GLOBAL__N_18offset_tEEE10hipError_tPvRmT1_PNSt15iterator_traitsISZ_E10value_typeET2_T3_PNS10_IS15_E10value_typeET4_jRbjT5_S1B_jjP12ihipStream_tbEUljE_EEESW_SX_SY_S15_S19_S1B_T6_T7_T9_mT8_S1D_bDpT10_ENKUlT_T0_E_clISt17integral_constantIbLb1EES1Q_EEDaS1L_S1M_EUlS1L_E_NS1_11comp_targetILNS1_3genE5ELNS1_11target_archE942ELNS1_3gpuE9ELNS1_3repE0EEENS1_30default_config_static_selectorELNS0_4arch9wavefront6targetE1EEEvSZ_.num_named_barrier, 0
	.set _ZN7rocprim17ROCPRIM_400000_NS6detail17trampoline_kernelINS0_13select_configILj256ELj13ELNS0_17block_load_methodE3ELS4_3ELS4_3ELNS0_20block_scan_algorithmE0ELj4294967295EEENS1_25partition_config_selectorILNS1_17partition_subalgoE3EjNS0_10empty_typeEbEEZZNS1_14partition_implILS8_3ELb0ES6_jNS0_17counting_iteratorIjlEEPS9_SE_NS0_5tupleIJPjSE_EEENSF_IJSE_SE_EEES9_SG_JZNS1_25segmented_radix_sort_implINS0_14default_configELb0EPK6__halfPSL_PKlPlN2at6native12_GLOBAL__N_18offset_tEEE10hipError_tPvRmT1_PNSt15iterator_traitsISZ_E10value_typeET2_T3_PNS10_IS15_E10value_typeET4_jRbjT5_S1B_jjP12ihipStream_tbEUljE_EEESW_SX_SY_S15_S19_S1B_T6_T7_T9_mT8_S1D_bDpT10_ENKUlT_T0_E_clISt17integral_constantIbLb1EES1Q_EEDaS1L_S1M_EUlS1L_E_NS1_11comp_targetILNS1_3genE5ELNS1_11target_archE942ELNS1_3gpuE9ELNS1_3repE0EEENS1_30default_config_static_selectorELNS0_4arch9wavefront6targetE1EEEvSZ_.private_seg_size, 0
	.set _ZN7rocprim17ROCPRIM_400000_NS6detail17trampoline_kernelINS0_13select_configILj256ELj13ELNS0_17block_load_methodE3ELS4_3ELS4_3ELNS0_20block_scan_algorithmE0ELj4294967295EEENS1_25partition_config_selectorILNS1_17partition_subalgoE3EjNS0_10empty_typeEbEEZZNS1_14partition_implILS8_3ELb0ES6_jNS0_17counting_iteratorIjlEEPS9_SE_NS0_5tupleIJPjSE_EEENSF_IJSE_SE_EEES9_SG_JZNS1_25segmented_radix_sort_implINS0_14default_configELb0EPK6__halfPSL_PKlPlN2at6native12_GLOBAL__N_18offset_tEEE10hipError_tPvRmT1_PNSt15iterator_traitsISZ_E10value_typeET2_T3_PNS10_IS15_E10value_typeET4_jRbjT5_S1B_jjP12ihipStream_tbEUljE_EEESW_SX_SY_S15_S19_S1B_T6_T7_T9_mT8_S1D_bDpT10_ENKUlT_T0_E_clISt17integral_constantIbLb1EES1Q_EEDaS1L_S1M_EUlS1L_E_NS1_11comp_targetILNS1_3genE5ELNS1_11target_archE942ELNS1_3gpuE9ELNS1_3repE0EEENS1_30default_config_static_selectorELNS0_4arch9wavefront6targetE1EEEvSZ_.uses_vcc, 0
	.set _ZN7rocprim17ROCPRIM_400000_NS6detail17trampoline_kernelINS0_13select_configILj256ELj13ELNS0_17block_load_methodE3ELS4_3ELS4_3ELNS0_20block_scan_algorithmE0ELj4294967295EEENS1_25partition_config_selectorILNS1_17partition_subalgoE3EjNS0_10empty_typeEbEEZZNS1_14partition_implILS8_3ELb0ES6_jNS0_17counting_iteratorIjlEEPS9_SE_NS0_5tupleIJPjSE_EEENSF_IJSE_SE_EEES9_SG_JZNS1_25segmented_radix_sort_implINS0_14default_configELb0EPK6__halfPSL_PKlPlN2at6native12_GLOBAL__N_18offset_tEEE10hipError_tPvRmT1_PNSt15iterator_traitsISZ_E10value_typeET2_T3_PNS10_IS15_E10value_typeET4_jRbjT5_S1B_jjP12ihipStream_tbEUljE_EEESW_SX_SY_S15_S19_S1B_T6_T7_T9_mT8_S1D_bDpT10_ENKUlT_T0_E_clISt17integral_constantIbLb1EES1Q_EEDaS1L_S1M_EUlS1L_E_NS1_11comp_targetILNS1_3genE5ELNS1_11target_archE942ELNS1_3gpuE9ELNS1_3repE0EEENS1_30default_config_static_selectorELNS0_4arch9wavefront6targetE1EEEvSZ_.uses_flat_scratch, 0
	.set _ZN7rocprim17ROCPRIM_400000_NS6detail17trampoline_kernelINS0_13select_configILj256ELj13ELNS0_17block_load_methodE3ELS4_3ELS4_3ELNS0_20block_scan_algorithmE0ELj4294967295EEENS1_25partition_config_selectorILNS1_17partition_subalgoE3EjNS0_10empty_typeEbEEZZNS1_14partition_implILS8_3ELb0ES6_jNS0_17counting_iteratorIjlEEPS9_SE_NS0_5tupleIJPjSE_EEENSF_IJSE_SE_EEES9_SG_JZNS1_25segmented_radix_sort_implINS0_14default_configELb0EPK6__halfPSL_PKlPlN2at6native12_GLOBAL__N_18offset_tEEE10hipError_tPvRmT1_PNSt15iterator_traitsISZ_E10value_typeET2_T3_PNS10_IS15_E10value_typeET4_jRbjT5_S1B_jjP12ihipStream_tbEUljE_EEESW_SX_SY_S15_S19_S1B_T6_T7_T9_mT8_S1D_bDpT10_ENKUlT_T0_E_clISt17integral_constantIbLb1EES1Q_EEDaS1L_S1M_EUlS1L_E_NS1_11comp_targetILNS1_3genE5ELNS1_11target_archE942ELNS1_3gpuE9ELNS1_3repE0EEENS1_30default_config_static_selectorELNS0_4arch9wavefront6targetE1EEEvSZ_.has_dyn_sized_stack, 0
	.set _ZN7rocprim17ROCPRIM_400000_NS6detail17trampoline_kernelINS0_13select_configILj256ELj13ELNS0_17block_load_methodE3ELS4_3ELS4_3ELNS0_20block_scan_algorithmE0ELj4294967295EEENS1_25partition_config_selectorILNS1_17partition_subalgoE3EjNS0_10empty_typeEbEEZZNS1_14partition_implILS8_3ELb0ES6_jNS0_17counting_iteratorIjlEEPS9_SE_NS0_5tupleIJPjSE_EEENSF_IJSE_SE_EEES9_SG_JZNS1_25segmented_radix_sort_implINS0_14default_configELb0EPK6__halfPSL_PKlPlN2at6native12_GLOBAL__N_18offset_tEEE10hipError_tPvRmT1_PNSt15iterator_traitsISZ_E10value_typeET2_T3_PNS10_IS15_E10value_typeET4_jRbjT5_S1B_jjP12ihipStream_tbEUljE_EEESW_SX_SY_S15_S19_S1B_T6_T7_T9_mT8_S1D_bDpT10_ENKUlT_T0_E_clISt17integral_constantIbLb1EES1Q_EEDaS1L_S1M_EUlS1L_E_NS1_11comp_targetILNS1_3genE5ELNS1_11target_archE942ELNS1_3gpuE9ELNS1_3repE0EEENS1_30default_config_static_selectorELNS0_4arch9wavefront6targetE1EEEvSZ_.has_recursion, 0
	.set _ZN7rocprim17ROCPRIM_400000_NS6detail17trampoline_kernelINS0_13select_configILj256ELj13ELNS0_17block_load_methodE3ELS4_3ELS4_3ELNS0_20block_scan_algorithmE0ELj4294967295EEENS1_25partition_config_selectorILNS1_17partition_subalgoE3EjNS0_10empty_typeEbEEZZNS1_14partition_implILS8_3ELb0ES6_jNS0_17counting_iteratorIjlEEPS9_SE_NS0_5tupleIJPjSE_EEENSF_IJSE_SE_EEES9_SG_JZNS1_25segmented_radix_sort_implINS0_14default_configELb0EPK6__halfPSL_PKlPlN2at6native12_GLOBAL__N_18offset_tEEE10hipError_tPvRmT1_PNSt15iterator_traitsISZ_E10value_typeET2_T3_PNS10_IS15_E10value_typeET4_jRbjT5_S1B_jjP12ihipStream_tbEUljE_EEESW_SX_SY_S15_S19_S1B_T6_T7_T9_mT8_S1D_bDpT10_ENKUlT_T0_E_clISt17integral_constantIbLb1EES1Q_EEDaS1L_S1M_EUlS1L_E_NS1_11comp_targetILNS1_3genE5ELNS1_11target_archE942ELNS1_3gpuE9ELNS1_3repE0EEENS1_30default_config_static_selectorELNS0_4arch9wavefront6targetE1EEEvSZ_.has_indirect_call, 0
	.section	.AMDGPU.csdata,"",@progbits
; Kernel info:
; codeLenInByte = 0
; TotalNumSgprs: 4
; NumVgprs: 0
; ScratchSize: 0
; MemoryBound: 0
; FloatMode: 240
; IeeeMode: 1
; LDSByteSize: 0 bytes/workgroup (compile time only)
; SGPRBlocks: 0
; VGPRBlocks: 0
; NumSGPRsForWavesPerEU: 4
; NumVGPRsForWavesPerEU: 1
; Occupancy: 10
; WaveLimiterHint : 0
; COMPUTE_PGM_RSRC2:SCRATCH_EN: 0
; COMPUTE_PGM_RSRC2:USER_SGPR: 6
; COMPUTE_PGM_RSRC2:TRAP_HANDLER: 0
; COMPUTE_PGM_RSRC2:TGID_X_EN: 1
; COMPUTE_PGM_RSRC2:TGID_Y_EN: 0
; COMPUTE_PGM_RSRC2:TGID_Z_EN: 0
; COMPUTE_PGM_RSRC2:TIDIG_COMP_CNT: 0
	.section	.text._ZN7rocprim17ROCPRIM_400000_NS6detail17trampoline_kernelINS0_13select_configILj256ELj13ELNS0_17block_load_methodE3ELS4_3ELS4_3ELNS0_20block_scan_algorithmE0ELj4294967295EEENS1_25partition_config_selectorILNS1_17partition_subalgoE3EjNS0_10empty_typeEbEEZZNS1_14partition_implILS8_3ELb0ES6_jNS0_17counting_iteratorIjlEEPS9_SE_NS0_5tupleIJPjSE_EEENSF_IJSE_SE_EEES9_SG_JZNS1_25segmented_radix_sort_implINS0_14default_configELb0EPK6__halfPSL_PKlPlN2at6native12_GLOBAL__N_18offset_tEEE10hipError_tPvRmT1_PNSt15iterator_traitsISZ_E10value_typeET2_T3_PNS10_IS15_E10value_typeET4_jRbjT5_S1B_jjP12ihipStream_tbEUljE_EEESW_SX_SY_S15_S19_S1B_T6_T7_T9_mT8_S1D_bDpT10_ENKUlT_T0_E_clISt17integral_constantIbLb1EES1Q_EEDaS1L_S1M_EUlS1L_E_NS1_11comp_targetILNS1_3genE4ELNS1_11target_archE910ELNS1_3gpuE8ELNS1_3repE0EEENS1_30default_config_static_selectorELNS0_4arch9wavefront6targetE1EEEvSZ_,"axG",@progbits,_ZN7rocprim17ROCPRIM_400000_NS6detail17trampoline_kernelINS0_13select_configILj256ELj13ELNS0_17block_load_methodE3ELS4_3ELS4_3ELNS0_20block_scan_algorithmE0ELj4294967295EEENS1_25partition_config_selectorILNS1_17partition_subalgoE3EjNS0_10empty_typeEbEEZZNS1_14partition_implILS8_3ELb0ES6_jNS0_17counting_iteratorIjlEEPS9_SE_NS0_5tupleIJPjSE_EEENSF_IJSE_SE_EEES9_SG_JZNS1_25segmented_radix_sort_implINS0_14default_configELb0EPK6__halfPSL_PKlPlN2at6native12_GLOBAL__N_18offset_tEEE10hipError_tPvRmT1_PNSt15iterator_traitsISZ_E10value_typeET2_T3_PNS10_IS15_E10value_typeET4_jRbjT5_S1B_jjP12ihipStream_tbEUljE_EEESW_SX_SY_S15_S19_S1B_T6_T7_T9_mT8_S1D_bDpT10_ENKUlT_T0_E_clISt17integral_constantIbLb1EES1Q_EEDaS1L_S1M_EUlS1L_E_NS1_11comp_targetILNS1_3genE4ELNS1_11target_archE910ELNS1_3gpuE8ELNS1_3repE0EEENS1_30default_config_static_selectorELNS0_4arch9wavefront6targetE1EEEvSZ_,comdat
	.globl	_ZN7rocprim17ROCPRIM_400000_NS6detail17trampoline_kernelINS0_13select_configILj256ELj13ELNS0_17block_load_methodE3ELS4_3ELS4_3ELNS0_20block_scan_algorithmE0ELj4294967295EEENS1_25partition_config_selectorILNS1_17partition_subalgoE3EjNS0_10empty_typeEbEEZZNS1_14partition_implILS8_3ELb0ES6_jNS0_17counting_iteratorIjlEEPS9_SE_NS0_5tupleIJPjSE_EEENSF_IJSE_SE_EEES9_SG_JZNS1_25segmented_radix_sort_implINS0_14default_configELb0EPK6__halfPSL_PKlPlN2at6native12_GLOBAL__N_18offset_tEEE10hipError_tPvRmT1_PNSt15iterator_traitsISZ_E10value_typeET2_T3_PNS10_IS15_E10value_typeET4_jRbjT5_S1B_jjP12ihipStream_tbEUljE_EEESW_SX_SY_S15_S19_S1B_T6_T7_T9_mT8_S1D_bDpT10_ENKUlT_T0_E_clISt17integral_constantIbLb1EES1Q_EEDaS1L_S1M_EUlS1L_E_NS1_11comp_targetILNS1_3genE4ELNS1_11target_archE910ELNS1_3gpuE8ELNS1_3repE0EEENS1_30default_config_static_selectorELNS0_4arch9wavefront6targetE1EEEvSZ_ ; -- Begin function _ZN7rocprim17ROCPRIM_400000_NS6detail17trampoline_kernelINS0_13select_configILj256ELj13ELNS0_17block_load_methodE3ELS4_3ELS4_3ELNS0_20block_scan_algorithmE0ELj4294967295EEENS1_25partition_config_selectorILNS1_17partition_subalgoE3EjNS0_10empty_typeEbEEZZNS1_14partition_implILS8_3ELb0ES6_jNS0_17counting_iteratorIjlEEPS9_SE_NS0_5tupleIJPjSE_EEENSF_IJSE_SE_EEES9_SG_JZNS1_25segmented_radix_sort_implINS0_14default_configELb0EPK6__halfPSL_PKlPlN2at6native12_GLOBAL__N_18offset_tEEE10hipError_tPvRmT1_PNSt15iterator_traitsISZ_E10value_typeET2_T3_PNS10_IS15_E10value_typeET4_jRbjT5_S1B_jjP12ihipStream_tbEUljE_EEESW_SX_SY_S15_S19_S1B_T6_T7_T9_mT8_S1D_bDpT10_ENKUlT_T0_E_clISt17integral_constantIbLb1EES1Q_EEDaS1L_S1M_EUlS1L_E_NS1_11comp_targetILNS1_3genE4ELNS1_11target_archE910ELNS1_3gpuE8ELNS1_3repE0EEENS1_30default_config_static_selectorELNS0_4arch9wavefront6targetE1EEEvSZ_
	.p2align	8
	.type	_ZN7rocprim17ROCPRIM_400000_NS6detail17trampoline_kernelINS0_13select_configILj256ELj13ELNS0_17block_load_methodE3ELS4_3ELS4_3ELNS0_20block_scan_algorithmE0ELj4294967295EEENS1_25partition_config_selectorILNS1_17partition_subalgoE3EjNS0_10empty_typeEbEEZZNS1_14partition_implILS8_3ELb0ES6_jNS0_17counting_iteratorIjlEEPS9_SE_NS0_5tupleIJPjSE_EEENSF_IJSE_SE_EEES9_SG_JZNS1_25segmented_radix_sort_implINS0_14default_configELb0EPK6__halfPSL_PKlPlN2at6native12_GLOBAL__N_18offset_tEEE10hipError_tPvRmT1_PNSt15iterator_traitsISZ_E10value_typeET2_T3_PNS10_IS15_E10value_typeET4_jRbjT5_S1B_jjP12ihipStream_tbEUljE_EEESW_SX_SY_S15_S19_S1B_T6_T7_T9_mT8_S1D_bDpT10_ENKUlT_T0_E_clISt17integral_constantIbLb1EES1Q_EEDaS1L_S1M_EUlS1L_E_NS1_11comp_targetILNS1_3genE4ELNS1_11target_archE910ELNS1_3gpuE8ELNS1_3repE0EEENS1_30default_config_static_selectorELNS0_4arch9wavefront6targetE1EEEvSZ_,@function
_ZN7rocprim17ROCPRIM_400000_NS6detail17trampoline_kernelINS0_13select_configILj256ELj13ELNS0_17block_load_methodE3ELS4_3ELS4_3ELNS0_20block_scan_algorithmE0ELj4294967295EEENS1_25partition_config_selectorILNS1_17partition_subalgoE3EjNS0_10empty_typeEbEEZZNS1_14partition_implILS8_3ELb0ES6_jNS0_17counting_iteratorIjlEEPS9_SE_NS0_5tupleIJPjSE_EEENSF_IJSE_SE_EEES9_SG_JZNS1_25segmented_radix_sort_implINS0_14default_configELb0EPK6__halfPSL_PKlPlN2at6native12_GLOBAL__N_18offset_tEEE10hipError_tPvRmT1_PNSt15iterator_traitsISZ_E10value_typeET2_T3_PNS10_IS15_E10value_typeET4_jRbjT5_S1B_jjP12ihipStream_tbEUljE_EEESW_SX_SY_S15_S19_S1B_T6_T7_T9_mT8_S1D_bDpT10_ENKUlT_T0_E_clISt17integral_constantIbLb1EES1Q_EEDaS1L_S1M_EUlS1L_E_NS1_11comp_targetILNS1_3genE4ELNS1_11target_archE910ELNS1_3gpuE8ELNS1_3repE0EEENS1_30default_config_static_selectorELNS0_4arch9wavefront6targetE1EEEvSZ_: ; @_ZN7rocprim17ROCPRIM_400000_NS6detail17trampoline_kernelINS0_13select_configILj256ELj13ELNS0_17block_load_methodE3ELS4_3ELS4_3ELNS0_20block_scan_algorithmE0ELj4294967295EEENS1_25partition_config_selectorILNS1_17partition_subalgoE3EjNS0_10empty_typeEbEEZZNS1_14partition_implILS8_3ELb0ES6_jNS0_17counting_iteratorIjlEEPS9_SE_NS0_5tupleIJPjSE_EEENSF_IJSE_SE_EEES9_SG_JZNS1_25segmented_radix_sort_implINS0_14default_configELb0EPK6__halfPSL_PKlPlN2at6native12_GLOBAL__N_18offset_tEEE10hipError_tPvRmT1_PNSt15iterator_traitsISZ_E10value_typeET2_T3_PNS10_IS15_E10value_typeET4_jRbjT5_S1B_jjP12ihipStream_tbEUljE_EEESW_SX_SY_S15_S19_S1B_T6_T7_T9_mT8_S1D_bDpT10_ENKUlT_T0_E_clISt17integral_constantIbLb1EES1Q_EEDaS1L_S1M_EUlS1L_E_NS1_11comp_targetILNS1_3genE4ELNS1_11target_archE910ELNS1_3gpuE8ELNS1_3repE0EEENS1_30default_config_static_selectorELNS0_4arch9wavefront6targetE1EEEvSZ_
; %bb.0:
	.section	.rodata,"a",@progbits
	.p2align	6, 0x0
	.amdhsa_kernel _ZN7rocprim17ROCPRIM_400000_NS6detail17trampoline_kernelINS0_13select_configILj256ELj13ELNS0_17block_load_methodE3ELS4_3ELS4_3ELNS0_20block_scan_algorithmE0ELj4294967295EEENS1_25partition_config_selectorILNS1_17partition_subalgoE3EjNS0_10empty_typeEbEEZZNS1_14partition_implILS8_3ELb0ES6_jNS0_17counting_iteratorIjlEEPS9_SE_NS0_5tupleIJPjSE_EEENSF_IJSE_SE_EEES9_SG_JZNS1_25segmented_radix_sort_implINS0_14default_configELb0EPK6__halfPSL_PKlPlN2at6native12_GLOBAL__N_18offset_tEEE10hipError_tPvRmT1_PNSt15iterator_traitsISZ_E10value_typeET2_T3_PNS10_IS15_E10value_typeET4_jRbjT5_S1B_jjP12ihipStream_tbEUljE_EEESW_SX_SY_S15_S19_S1B_T6_T7_T9_mT8_S1D_bDpT10_ENKUlT_T0_E_clISt17integral_constantIbLb1EES1Q_EEDaS1L_S1M_EUlS1L_E_NS1_11comp_targetILNS1_3genE4ELNS1_11target_archE910ELNS1_3gpuE8ELNS1_3repE0EEENS1_30default_config_static_selectorELNS0_4arch9wavefront6targetE1EEEvSZ_
		.amdhsa_group_segment_fixed_size 0
		.amdhsa_private_segment_fixed_size 0
		.amdhsa_kernarg_size 152
		.amdhsa_user_sgpr_count 6
		.amdhsa_user_sgpr_private_segment_buffer 1
		.amdhsa_user_sgpr_dispatch_ptr 0
		.amdhsa_user_sgpr_queue_ptr 0
		.amdhsa_user_sgpr_kernarg_segment_ptr 1
		.amdhsa_user_sgpr_dispatch_id 0
		.amdhsa_user_sgpr_flat_scratch_init 0
		.amdhsa_user_sgpr_private_segment_size 0
		.amdhsa_uses_dynamic_stack 0
		.amdhsa_system_sgpr_private_segment_wavefront_offset 0
		.amdhsa_system_sgpr_workgroup_id_x 1
		.amdhsa_system_sgpr_workgroup_id_y 0
		.amdhsa_system_sgpr_workgroup_id_z 0
		.amdhsa_system_sgpr_workgroup_info 0
		.amdhsa_system_vgpr_workitem_id 0
		.amdhsa_next_free_vgpr 1
		.amdhsa_next_free_sgpr 0
		.amdhsa_reserve_vcc 0
		.amdhsa_reserve_flat_scratch 0
		.amdhsa_float_round_mode_32 0
		.amdhsa_float_round_mode_16_64 0
		.amdhsa_float_denorm_mode_32 3
		.amdhsa_float_denorm_mode_16_64 3
		.amdhsa_dx10_clamp 1
		.amdhsa_ieee_mode 1
		.amdhsa_fp16_overflow 0
		.amdhsa_exception_fp_ieee_invalid_op 0
		.amdhsa_exception_fp_denorm_src 0
		.amdhsa_exception_fp_ieee_div_zero 0
		.amdhsa_exception_fp_ieee_overflow 0
		.amdhsa_exception_fp_ieee_underflow 0
		.amdhsa_exception_fp_ieee_inexact 0
		.amdhsa_exception_int_div_zero 0
	.end_amdhsa_kernel
	.section	.text._ZN7rocprim17ROCPRIM_400000_NS6detail17trampoline_kernelINS0_13select_configILj256ELj13ELNS0_17block_load_methodE3ELS4_3ELS4_3ELNS0_20block_scan_algorithmE0ELj4294967295EEENS1_25partition_config_selectorILNS1_17partition_subalgoE3EjNS0_10empty_typeEbEEZZNS1_14partition_implILS8_3ELb0ES6_jNS0_17counting_iteratorIjlEEPS9_SE_NS0_5tupleIJPjSE_EEENSF_IJSE_SE_EEES9_SG_JZNS1_25segmented_radix_sort_implINS0_14default_configELb0EPK6__halfPSL_PKlPlN2at6native12_GLOBAL__N_18offset_tEEE10hipError_tPvRmT1_PNSt15iterator_traitsISZ_E10value_typeET2_T3_PNS10_IS15_E10value_typeET4_jRbjT5_S1B_jjP12ihipStream_tbEUljE_EEESW_SX_SY_S15_S19_S1B_T6_T7_T9_mT8_S1D_bDpT10_ENKUlT_T0_E_clISt17integral_constantIbLb1EES1Q_EEDaS1L_S1M_EUlS1L_E_NS1_11comp_targetILNS1_3genE4ELNS1_11target_archE910ELNS1_3gpuE8ELNS1_3repE0EEENS1_30default_config_static_selectorELNS0_4arch9wavefront6targetE1EEEvSZ_,"axG",@progbits,_ZN7rocprim17ROCPRIM_400000_NS6detail17trampoline_kernelINS0_13select_configILj256ELj13ELNS0_17block_load_methodE3ELS4_3ELS4_3ELNS0_20block_scan_algorithmE0ELj4294967295EEENS1_25partition_config_selectorILNS1_17partition_subalgoE3EjNS0_10empty_typeEbEEZZNS1_14partition_implILS8_3ELb0ES6_jNS0_17counting_iteratorIjlEEPS9_SE_NS0_5tupleIJPjSE_EEENSF_IJSE_SE_EEES9_SG_JZNS1_25segmented_radix_sort_implINS0_14default_configELb0EPK6__halfPSL_PKlPlN2at6native12_GLOBAL__N_18offset_tEEE10hipError_tPvRmT1_PNSt15iterator_traitsISZ_E10value_typeET2_T3_PNS10_IS15_E10value_typeET4_jRbjT5_S1B_jjP12ihipStream_tbEUljE_EEESW_SX_SY_S15_S19_S1B_T6_T7_T9_mT8_S1D_bDpT10_ENKUlT_T0_E_clISt17integral_constantIbLb1EES1Q_EEDaS1L_S1M_EUlS1L_E_NS1_11comp_targetILNS1_3genE4ELNS1_11target_archE910ELNS1_3gpuE8ELNS1_3repE0EEENS1_30default_config_static_selectorELNS0_4arch9wavefront6targetE1EEEvSZ_,comdat
.Lfunc_end1820:
	.size	_ZN7rocprim17ROCPRIM_400000_NS6detail17trampoline_kernelINS0_13select_configILj256ELj13ELNS0_17block_load_methodE3ELS4_3ELS4_3ELNS0_20block_scan_algorithmE0ELj4294967295EEENS1_25partition_config_selectorILNS1_17partition_subalgoE3EjNS0_10empty_typeEbEEZZNS1_14partition_implILS8_3ELb0ES6_jNS0_17counting_iteratorIjlEEPS9_SE_NS0_5tupleIJPjSE_EEENSF_IJSE_SE_EEES9_SG_JZNS1_25segmented_radix_sort_implINS0_14default_configELb0EPK6__halfPSL_PKlPlN2at6native12_GLOBAL__N_18offset_tEEE10hipError_tPvRmT1_PNSt15iterator_traitsISZ_E10value_typeET2_T3_PNS10_IS15_E10value_typeET4_jRbjT5_S1B_jjP12ihipStream_tbEUljE_EEESW_SX_SY_S15_S19_S1B_T6_T7_T9_mT8_S1D_bDpT10_ENKUlT_T0_E_clISt17integral_constantIbLb1EES1Q_EEDaS1L_S1M_EUlS1L_E_NS1_11comp_targetILNS1_3genE4ELNS1_11target_archE910ELNS1_3gpuE8ELNS1_3repE0EEENS1_30default_config_static_selectorELNS0_4arch9wavefront6targetE1EEEvSZ_, .Lfunc_end1820-_ZN7rocprim17ROCPRIM_400000_NS6detail17trampoline_kernelINS0_13select_configILj256ELj13ELNS0_17block_load_methodE3ELS4_3ELS4_3ELNS0_20block_scan_algorithmE0ELj4294967295EEENS1_25partition_config_selectorILNS1_17partition_subalgoE3EjNS0_10empty_typeEbEEZZNS1_14partition_implILS8_3ELb0ES6_jNS0_17counting_iteratorIjlEEPS9_SE_NS0_5tupleIJPjSE_EEENSF_IJSE_SE_EEES9_SG_JZNS1_25segmented_radix_sort_implINS0_14default_configELb0EPK6__halfPSL_PKlPlN2at6native12_GLOBAL__N_18offset_tEEE10hipError_tPvRmT1_PNSt15iterator_traitsISZ_E10value_typeET2_T3_PNS10_IS15_E10value_typeET4_jRbjT5_S1B_jjP12ihipStream_tbEUljE_EEESW_SX_SY_S15_S19_S1B_T6_T7_T9_mT8_S1D_bDpT10_ENKUlT_T0_E_clISt17integral_constantIbLb1EES1Q_EEDaS1L_S1M_EUlS1L_E_NS1_11comp_targetILNS1_3genE4ELNS1_11target_archE910ELNS1_3gpuE8ELNS1_3repE0EEENS1_30default_config_static_selectorELNS0_4arch9wavefront6targetE1EEEvSZ_
                                        ; -- End function
	.set _ZN7rocprim17ROCPRIM_400000_NS6detail17trampoline_kernelINS0_13select_configILj256ELj13ELNS0_17block_load_methodE3ELS4_3ELS4_3ELNS0_20block_scan_algorithmE0ELj4294967295EEENS1_25partition_config_selectorILNS1_17partition_subalgoE3EjNS0_10empty_typeEbEEZZNS1_14partition_implILS8_3ELb0ES6_jNS0_17counting_iteratorIjlEEPS9_SE_NS0_5tupleIJPjSE_EEENSF_IJSE_SE_EEES9_SG_JZNS1_25segmented_radix_sort_implINS0_14default_configELb0EPK6__halfPSL_PKlPlN2at6native12_GLOBAL__N_18offset_tEEE10hipError_tPvRmT1_PNSt15iterator_traitsISZ_E10value_typeET2_T3_PNS10_IS15_E10value_typeET4_jRbjT5_S1B_jjP12ihipStream_tbEUljE_EEESW_SX_SY_S15_S19_S1B_T6_T7_T9_mT8_S1D_bDpT10_ENKUlT_T0_E_clISt17integral_constantIbLb1EES1Q_EEDaS1L_S1M_EUlS1L_E_NS1_11comp_targetILNS1_3genE4ELNS1_11target_archE910ELNS1_3gpuE8ELNS1_3repE0EEENS1_30default_config_static_selectorELNS0_4arch9wavefront6targetE1EEEvSZ_.num_vgpr, 0
	.set _ZN7rocprim17ROCPRIM_400000_NS6detail17trampoline_kernelINS0_13select_configILj256ELj13ELNS0_17block_load_methodE3ELS4_3ELS4_3ELNS0_20block_scan_algorithmE0ELj4294967295EEENS1_25partition_config_selectorILNS1_17partition_subalgoE3EjNS0_10empty_typeEbEEZZNS1_14partition_implILS8_3ELb0ES6_jNS0_17counting_iteratorIjlEEPS9_SE_NS0_5tupleIJPjSE_EEENSF_IJSE_SE_EEES9_SG_JZNS1_25segmented_radix_sort_implINS0_14default_configELb0EPK6__halfPSL_PKlPlN2at6native12_GLOBAL__N_18offset_tEEE10hipError_tPvRmT1_PNSt15iterator_traitsISZ_E10value_typeET2_T3_PNS10_IS15_E10value_typeET4_jRbjT5_S1B_jjP12ihipStream_tbEUljE_EEESW_SX_SY_S15_S19_S1B_T6_T7_T9_mT8_S1D_bDpT10_ENKUlT_T0_E_clISt17integral_constantIbLb1EES1Q_EEDaS1L_S1M_EUlS1L_E_NS1_11comp_targetILNS1_3genE4ELNS1_11target_archE910ELNS1_3gpuE8ELNS1_3repE0EEENS1_30default_config_static_selectorELNS0_4arch9wavefront6targetE1EEEvSZ_.num_agpr, 0
	.set _ZN7rocprim17ROCPRIM_400000_NS6detail17trampoline_kernelINS0_13select_configILj256ELj13ELNS0_17block_load_methodE3ELS4_3ELS4_3ELNS0_20block_scan_algorithmE0ELj4294967295EEENS1_25partition_config_selectorILNS1_17partition_subalgoE3EjNS0_10empty_typeEbEEZZNS1_14partition_implILS8_3ELb0ES6_jNS0_17counting_iteratorIjlEEPS9_SE_NS0_5tupleIJPjSE_EEENSF_IJSE_SE_EEES9_SG_JZNS1_25segmented_radix_sort_implINS0_14default_configELb0EPK6__halfPSL_PKlPlN2at6native12_GLOBAL__N_18offset_tEEE10hipError_tPvRmT1_PNSt15iterator_traitsISZ_E10value_typeET2_T3_PNS10_IS15_E10value_typeET4_jRbjT5_S1B_jjP12ihipStream_tbEUljE_EEESW_SX_SY_S15_S19_S1B_T6_T7_T9_mT8_S1D_bDpT10_ENKUlT_T0_E_clISt17integral_constantIbLb1EES1Q_EEDaS1L_S1M_EUlS1L_E_NS1_11comp_targetILNS1_3genE4ELNS1_11target_archE910ELNS1_3gpuE8ELNS1_3repE0EEENS1_30default_config_static_selectorELNS0_4arch9wavefront6targetE1EEEvSZ_.numbered_sgpr, 0
	.set _ZN7rocprim17ROCPRIM_400000_NS6detail17trampoline_kernelINS0_13select_configILj256ELj13ELNS0_17block_load_methodE3ELS4_3ELS4_3ELNS0_20block_scan_algorithmE0ELj4294967295EEENS1_25partition_config_selectorILNS1_17partition_subalgoE3EjNS0_10empty_typeEbEEZZNS1_14partition_implILS8_3ELb0ES6_jNS0_17counting_iteratorIjlEEPS9_SE_NS0_5tupleIJPjSE_EEENSF_IJSE_SE_EEES9_SG_JZNS1_25segmented_radix_sort_implINS0_14default_configELb0EPK6__halfPSL_PKlPlN2at6native12_GLOBAL__N_18offset_tEEE10hipError_tPvRmT1_PNSt15iterator_traitsISZ_E10value_typeET2_T3_PNS10_IS15_E10value_typeET4_jRbjT5_S1B_jjP12ihipStream_tbEUljE_EEESW_SX_SY_S15_S19_S1B_T6_T7_T9_mT8_S1D_bDpT10_ENKUlT_T0_E_clISt17integral_constantIbLb1EES1Q_EEDaS1L_S1M_EUlS1L_E_NS1_11comp_targetILNS1_3genE4ELNS1_11target_archE910ELNS1_3gpuE8ELNS1_3repE0EEENS1_30default_config_static_selectorELNS0_4arch9wavefront6targetE1EEEvSZ_.num_named_barrier, 0
	.set _ZN7rocprim17ROCPRIM_400000_NS6detail17trampoline_kernelINS0_13select_configILj256ELj13ELNS0_17block_load_methodE3ELS4_3ELS4_3ELNS0_20block_scan_algorithmE0ELj4294967295EEENS1_25partition_config_selectorILNS1_17partition_subalgoE3EjNS0_10empty_typeEbEEZZNS1_14partition_implILS8_3ELb0ES6_jNS0_17counting_iteratorIjlEEPS9_SE_NS0_5tupleIJPjSE_EEENSF_IJSE_SE_EEES9_SG_JZNS1_25segmented_radix_sort_implINS0_14default_configELb0EPK6__halfPSL_PKlPlN2at6native12_GLOBAL__N_18offset_tEEE10hipError_tPvRmT1_PNSt15iterator_traitsISZ_E10value_typeET2_T3_PNS10_IS15_E10value_typeET4_jRbjT5_S1B_jjP12ihipStream_tbEUljE_EEESW_SX_SY_S15_S19_S1B_T6_T7_T9_mT8_S1D_bDpT10_ENKUlT_T0_E_clISt17integral_constantIbLb1EES1Q_EEDaS1L_S1M_EUlS1L_E_NS1_11comp_targetILNS1_3genE4ELNS1_11target_archE910ELNS1_3gpuE8ELNS1_3repE0EEENS1_30default_config_static_selectorELNS0_4arch9wavefront6targetE1EEEvSZ_.private_seg_size, 0
	.set _ZN7rocprim17ROCPRIM_400000_NS6detail17trampoline_kernelINS0_13select_configILj256ELj13ELNS0_17block_load_methodE3ELS4_3ELS4_3ELNS0_20block_scan_algorithmE0ELj4294967295EEENS1_25partition_config_selectorILNS1_17partition_subalgoE3EjNS0_10empty_typeEbEEZZNS1_14partition_implILS8_3ELb0ES6_jNS0_17counting_iteratorIjlEEPS9_SE_NS0_5tupleIJPjSE_EEENSF_IJSE_SE_EEES9_SG_JZNS1_25segmented_radix_sort_implINS0_14default_configELb0EPK6__halfPSL_PKlPlN2at6native12_GLOBAL__N_18offset_tEEE10hipError_tPvRmT1_PNSt15iterator_traitsISZ_E10value_typeET2_T3_PNS10_IS15_E10value_typeET4_jRbjT5_S1B_jjP12ihipStream_tbEUljE_EEESW_SX_SY_S15_S19_S1B_T6_T7_T9_mT8_S1D_bDpT10_ENKUlT_T0_E_clISt17integral_constantIbLb1EES1Q_EEDaS1L_S1M_EUlS1L_E_NS1_11comp_targetILNS1_3genE4ELNS1_11target_archE910ELNS1_3gpuE8ELNS1_3repE0EEENS1_30default_config_static_selectorELNS0_4arch9wavefront6targetE1EEEvSZ_.uses_vcc, 0
	.set _ZN7rocprim17ROCPRIM_400000_NS6detail17trampoline_kernelINS0_13select_configILj256ELj13ELNS0_17block_load_methodE3ELS4_3ELS4_3ELNS0_20block_scan_algorithmE0ELj4294967295EEENS1_25partition_config_selectorILNS1_17partition_subalgoE3EjNS0_10empty_typeEbEEZZNS1_14partition_implILS8_3ELb0ES6_jNS0_17counting_iteratorIjlEEPS9_SE_NS0_5tupleIJPjSE_EEENSF_IJSE_SE_EEES9_SG_JZNS1_25segmented_radix_sort_implINS0_14default_configELb0EPK6__halfPSL_PKlPlN2at6native12_GLOBAL__N_18offset_tEEE10hipError_tPvRmT1_PNSt15iterator_traitsISZ_E10value_typeET2_T3_PNS10_IS15_E10value_typeET4_jRbjT5_S1B_jjP12ihipStream_tbEUljE_EEESW_SX_SY_S15_S19_S1B_T6_T7_T9_mT8_S1D_bDpT10_ENKUlT_T0_E_clISt17integral_constantIbLb1EES1Q_EEDaS1L_S1M_EUlS1L_E_NS1_11comp_targetILNS1_3genE4ELNS1_11target_archE910ELNS1_3gpuE8ELNS1_3repE0EEENS1_30default_config_static_selectorELNS0_4arch9wavefront6targetE1EEEvSZ_.uses_flat_scratch, 0
	.set _ZN7rocprim17ROCPRIM_400000_NS6detail17trampoline_kernelINS0_13select_configILj256ELj13ELNS0_17block_load_methodE3ELS4_3ELS4_3ELNS0_20block_scan_algorithmE0ELj4294967295EEENS1_25partition_config_selectorILNS1_17partition_subalgoE3EjNS0_10empty_typeEbEEZZNS1_14partition_implILS8_3ELb0ES6_jNS0_17counting_iteratorIjlEEPS9_SE_NS0_5tupleIJPjSE_EEENSF_IJSE_SE_EEES9_SG_JZNS1_25segmented_radix_sort_implINS0_14default_configELb0EPK6__halfPSL_PKlPlN2at6native12_GLOBAL__N_18offset_tEEE10hipError_tPvRmT1_PNSt15iterator_traitsISZ_E10value_typeET2_T3_PNS10_IS15_E10value_typeET4_jRbjT5_S1B_jjP12ihipStream_tbEUljE_EEESW_SX_SY_S15_S19_S1B_T6_T7_T9_mT8_S1D_bDpT10_ENKUlT_T0_E_clISt17integral_constantIbLb1EES1Q_EEDaS1L_S1M_EUlS1L_E_NS1_11comp_targetILNS1_3genE4ELNS1_11target_archE910ELNS1_3gpuE8ELNS1_3repE0EEENS1_30default_config_static_selectorELNS0_4arch9wavefront6targetE1EEEvSZ_.has_dyn_sized_stack, 0
	.set _ZN7rocprim17ROCPRIM_400000_NS6detail17trampoline_kernelINS0_13select_configILj256ELj13ELNS0_17block_load_methodE3ELS4_3ELS4_3ELNS0_20block_scan_algorithmE0ELj4294967295EEENS1_25partition_config_selectorILNS1_17partition_subalgoE3EjNS0_10empty_typeEbEEZZNS1_14partition_implILS8_3ELb0ES6_jNS0_17counting_iteratorIjlEEPS9_SE_NS0_5tupleIJPjSE_EEENSF_IJSE_SE_EEES9_SG_JZNS1_25segmented_radix_sort_implINS0_14default_configELb0EPK6__halfPSL_PKlPlN2at6native12_GLOBAL__N_18offset_tEEE10hipError_tPvRmT1_PNSt15iterator_traitsISZ_E10value_typeET2_T3_PNS10_IS15_E10value_typeET4_jRbjT5_S1B_jjP12ihipStream_tbEUljE_EEESW_SX_SY_S15_S19_S1B_T6_T7_T9_mT8_S1D_bDpT10_ENKUlT_T0_E_clISt17integral_constantIbLb1EES1Q_EEDaS1L_S1M_EUlS1L_E_NS1_11comp_targetILNS1_3genE4ELNS1_11target_archE910ELNS1_3gpuE8ELNS1_3repE0EEENS1_30default_config_static_selectorELNS0_4arch9wavefront6targetE1EEEvSZ_.has_recursion, 0
	.set _ZN7rocprim17ROCPRIM_400000_NS6detail17trampoline_kernelINS0_13select_configILj256ELj13ELNS0_17block_load_methodE3ELS4_3ELS4_3ELNS0_20block_scan_algorithmE0ELj4294967295EEENS1_25partition_config_selectorILNS1_17partition_subalgoE3EjNS0_10empty_typeEbEEZZNS1_14partition_implILS8_3ELb0ES6_jNS0_17counting_iteratorIjlEEPS9_SE_NS0_5tupleIJPjSE_EEENSF_IJSE_SE_EEES9_SG_JZNS1_25segmented_radix_sort_implINS0_14default_configELb0EPK6__halfPSL_PKlPlN2at6native12_GLOBAL__N_18offset_tEEE10hipError_tPvRmT1_PNSt15iterator_traitsISZ_E10value_typeET2_T3_PNS10_IS15_E10value_typeET4_jRbjT5_S1B_jjP12ihipStream_tbEUljE_EEESW_SX_SY_S15_S19_S1B_T6_T7_T9_mT8_S1D_bDpT10_ENKUlT_T0_E_clISt17integral_constantIbLb1EES1Q_EEDaS1L_S1M_EUlS1L_E_NS1_11comp_targetILNS1_3genE4ELNS1_11target_archE910ELNS1_3gpuE8ELNS1_3repE0EEENS1_30default_config_static_selectorELNS0_4arch9wavefront6targetE1EEEvSZ_.has_indirect_call, 0
	.section	.AMDGPU.csdata,"",@progbits
; Kernel info:
; codeLenInByte = 0
; TotalNumSgprs: 4
; NumVgprs: 0
; ScratchSize: 0
; MemoryBound: 0
; FloatMode: 240
; IeeeMode: 1
; LDSByteSize: 0 bytes/workgroup (compile time only)
; SGPRBlocks: 0
; VGPRBlocks: 0
; NumSGPRsForWavesPerEU: 4
; NumVGPRsForWavesPerEU: 1
; Occupancy: 10
; WaveLimiterHint : 0
; COMPUTE_PGM_RSRC2:SCRATCH_EN: 0
; COMPUTE_PGM_RSRC2:USER_SGPR: 6
; COMPUTE_PGM_RSRC2:TRAP_HANDLER: 0
; COMPUTE_PGM_RSRC2:TGID_X_EN: 1
; COMPUTE_PGM_RSRC2:TGID_Y_EN: 0
; COMPUTE_PGM_RSRC2:TGID_Z_EN: 0
; COMPUTE_PGM_RSRC2:TIDIG_COMP_CNT: 0
	.section	.text._ZN7rocprim17ROCPRIM_400000_NS6detail17trampoline_kernelINS0_13select_configILj256ELj13ELNS0_17block_load_methodE3ELS4_3ELS4_3ELNS0_20block_scan_algorithmE0ELj4294967295EEENS1_25partition_config_selectorILNS1_17partition_subalgoE3EjNS0_10empty_typeEbEEZZNS1_14partition_implILS8_3ELb0ES6_jNS0_17counting_iteratorIjlEEPS9_SE_NS0_5tupleIJPjSE_EEENSF_IJSE_SE_EEES9_SG_JZNS1_25segmented_radix_sort_implINS0_14default_configELb0EPK6__halfPSL_PKlPlN2at6native12_GLOBAL__N_18offset_tEEE10hipError_tPvRmT1_PNSt15iterator_traitsISZ_E10value_typeET2_T3_PNS10_IS15_E10value_typeET4_jRbjT5_S1B_jjP12ihipStream_tbEUljE_EEESW_SX_SY_S15_S19_S1B_T6_T7_T9_mT8_S1D_bDpT10_ENKUlT_T0_E_clISt17integral_constantIbLb1EES1Q_EEDaS1L_S1M_EUlS1L_E_NS1_11comp_targetILNS1_3genE3ELNS1_11target_archE908ELNS1_3gpuE7ELNS1_3repE0EEENS1_30default_config_static_selectorELNS0_4arch9wavefront6targetE1EEEvSZ_,"axG",@progbits,_ZN7rocprim17ROCPRIM_400000_NS6detail17trampoline_kernelINS0_13select_configILj256ELj13ELNS0_17block_load_methodE3ELS4_3ELS4_3ELNS0_20block_scan_algorithmE0ELj4294967295EEENS1_25partition_config_selectorILNS1_17partition_subalgoE3EjNS0_10empty_typeEbEEZZNS1_14partition_implILS8_3ELb0ES6_jNS0_17counting_iteratorIjlEEPS9_SE_NS0_5tupleIJPjSE_EEENSF_IJSE_SE_EEES9_SG_JZNS1_25segmented_radix_sort_implINS0_14default_configELb0EPK6__halfPSL_PKlPlN2at6native12_GLOBAL__N_18offset_tEEE10hipError_tPvRmT1_PNSt15iterator_traitsISZ_E10value_typeET2_T3_PNS10_IS15_E10value_typeET4_jRbjT5_S1B_jjP12ihipStream_tbEUljE_EEESW_SX_SY_S15_S19_S1B_T6_T7_T9_mT8_S1D_bDpT10_ENKUlT_T0_E_clISt17integral_constantIbLb1EES1Q_EEDaS1L_S1M_EUlS1L_E_NS1_11comp_targetILNS1_3genE3ELNS1_11target_archE908ELNS1_3gpuE7ELNS1_3repE0EEENS1_30default_config_static_selectorELNS0_4arch9wavefront6targetE1EEEvSZ_,comdat
	.globl	_ZN7rocprim17ROCPRIM_400000_NS6detail17trampoline_kernelINS0_13select_configILj256ELj13ELNS0_17block_load_methodE3ELS4_3ELS4_3ELNS0_20block_scan_algorithmE0ELj4294967295EEENS1_25partition_config_selectorILNS1_17partition_subalgoE3EjNS0_10empty_typeEbEEZZNS1_14partition_implILS8_3ELb0ES6_jNS0_17counting_iteratorIjlEEPS9_SE_NS0_5tupleIJPjSE_EEENSF_IJSE_SE_EEES9_SG_JZNS1_25segmented_radix_sort_implINS0_14default_configELb0EPK6__halfPSL_PKlPlN2at6native12_GLOBAL__N_18offset_tEEE10hipError_tPvRmT1_PNSt15iterator_traitsISZ_E10value_typeET2_T3_PNS10_IS15_E10value_typeET4_jRbjT5_S1B_jjP12ihipStream_tbEUljE_EEESW_SX_SY_S15_S19_S1B_T6_T7_T9_mT8_S1D_bDpT10_ENKUlT_T0_E_clISt17integral_constantIbLb1EES1Q_EEDaS1L_S1M_EUlS1L_E_NS1_11comp_targetILNS1_3genE3ELNS1_11target_archE908ELNS1_3gpuE7ELNS1_3repE0EEENS1_30default_config_static_selectorELNS0_4arch9wavefront6targetE1EEEvSZ_ ; -- Begin function _ZN7rocprim17ROCPRIM_400000_NS6detail17trampoline_kernelINS0_13select_configILj256ELj13ELNS0_17block_load_methodE3ELS4_3ELS4_3ELNS0_20block_scan_algorithmE0ELj4294967295EEENS1_25partition_config_selectorILNS1_17partition_subalgoE3EjNS0_10empty_typeEbEEZZNS1_14partition_implILS8_3ELb0ES6_jNS0_17counting_iteratorIjlEEPS9_SE_NS0_5tupleIJPjSE_EEENSF_IJSE_SE_EEES9_SG_JZNS1_25segmented_radix_sort_implINS0_14default_configELb0EPK6__halfPSL_PKlPlN2at6native12_GLOBAL__N_18offset_tEEE10hipError_tPvRmT1_PNSt15iterator_traitsISZ_E10value_typeET2_T3_PNS10_IS15_E10value_typeET4_jRbjT5_S1B_jjP12ihipStream_tbEUljE_EEESW_SX_SY_S15_S19_S1B_T6_T7_T9_mT8_S1D_bDpT10_ENKUlT_T0_E_clISt17integral_constantIbLb1EES1Q_EEDaS1L_S1M_EUlS1L_E_NS1_11comp_targetILNS1_3genE3ELNS1_11target_archE908ELNS1_3gpuE7ELNS1_3repE0EEENS1_30default_config_static_selectorELNS0_4arch9wavefront6targetE1EEEvSZ_
	.p2align	8
	.type	_ZN7rocprim17ROCPRIM_400000_NS6detail17trampoline_kernelINS0_13select_configILj256ELj13ELNS0_17block_load_methodE3ELS4_3ELS4_3ELNS0_20block_scan_algorithmE0ELj4294967295EEENS1_25partition_config_selectorILNS1_17partition_subalgoE3EjNS0_10empty_typeEbEEZZNS1_14partition_implILS8_3ELb0ES6_jNS0_17counting_iteratorIjlEEPS9_SE_NS0_5tupleIJPjSE_EEENSF_IJSE_SE_EEES9_SG_JZNS1_25segmented_radix_sort_implINS0_14default_configELb0EPK6__halfPSL_PKlPlN2at6native12_GLOBAL__N_18offset_tEEE10hipError_tPvRmT1_PNSt15iterator_traitsISZ_E10value_typeET2_T3_PNS10_IS15_E10value_typeET4_jRbjT5_S1B_jjP12ihipStream_tbEUljE_EEESW_SX_SY_S15_S19_S1B_T6_T7_T9_mT8_S1D_bDpT10_ENKUlT_T0_E_clISt17integral_constantIbLb1EES1Q_EEDaS1L_S1M_EUlS1L_E_NS1_11comp_targetILNS1_3genE3ELNS1_11target_archE908ELNS1_3gpuE7ELNS1_3repE0EEENS1_30default_config_static_selectorELNS0_4arch9wavefront6targetE1EEEvSZ_,@function
_ZN7rocprim17ROCPRIM_400000_NS6detail17trampoline_kernelINS0_13select_configILj256ELj13ELNS0_17block_load_methodE3ELS4_3ELS4_3ELNS0_20block_scan_algorithmE0ELj4294967295EEENS1_25partition_config_selectorILNS1_17partition_subalgoE3EjNS0_10empty_typeEbEEZZNS1_14partition_implILS8_3ELb0ES6_jNS0_17counting_iteratorIjlEEPS9_SE_NS0_5tupleIJPjSE_EEENSF_IJSE_SE_EEES9_SG_JZNS1_25segmented_radix_sort_implINS0_14default_configELb0EPK6__halfPSL_PKlPlN2at6native12_GLOBAL__N_18offset_tEEE10hipError_tPvRmT1_PNSt15iterator_traitsISZ_E10value_typeET2_T3_PNS10_IS15_E10value_typeET4_jRbjT5_S1B_jjP12ihipStream_tbEUljE_EEESW_SX_SY_S15_S19_S1B_T6_T7_T9_mT8_S1D_bDpT10_ENKUlT_T0_E_clISt17integral_constantIbLb1EES1Q_EEDaS1L_S1M_EUlS1L_E_NS1_11comp_targetILNS1_3genE3ELNS1_11target_archE908ELNS1_3gpuE7ELNS1_3repE0EEENS1_30default_config_static_selectorELNS0_4arch9wavefront6targetE1EEEvSZ_: ; @_ZN7rocprim17ROCPRIM_400000_NS6detail17trampoline_kernelINS0_13select_configILj256ELj13ELNS0_17block_load_methodE3ELS4_3ELS4_3ELNS0_20block_scan_algorithmE0ELj4294967295EEENS1_25partition_config_selectorILNS1_17partition_subalgoE3EjNS0_10empty_typeEbEEZZNS1_14partition_implILS8_3ELb0ES6_jNS0_17counting_iteratorIjlEEPS9_SE_NS0_5tupleIJPjSE_EEENSF_IJSE_SE_EEES9_SG_JZNS1_25segmented_radix_sort_implINS0_14default_configELb0EPK6__halfPSL_PKlPlN2at6native12_GLOBAL__N_18offset_tEEE10hipError_tPvRmT1_PNSt15iterator_traitsISZ_E10value_typeET2_T3_PNS10_IS15_E10value_typeET4_jRbjT5_S1B_jjP12ihipStream_tbEUljE_EEESW_SX_SY_S15_S19_S1B_T6_T7_T9_mT8_S1D_bDpT10_ENKUlT_T0_E_clISt17integral_constantIbLb1EES1Q_EEDaS1L_S1M_EUlS1L_E_NS1_11comp_targetILNS1_3genE3ELNS1_11target_archE908ELNS1_3gpuE7ELNS1_3repE0EEENS1_30default_config_static_selectorELNS0_4arch9wavefront6targetE1EEEvSZ_
; %bb.0:
	.section	.rodata,"a",@progbits
	.p2align	6, 0x0
	.amdhsa_kernel _ZN7rocprim17ROCPRIM_400000_NS6detail17trampoline_kernelINS0_13select_configILj256ELj13ELNS0_17block_load_methodE3ELS4_3ELS4_3ELNS0_20block_scan_algorithmE0ELj4294967295EEENS1_25partition_config_selectorILNS1_17partition_subalgoE3EjNS0_10empty_typeEbEEZZNS1_14partition_implILS8_3ELb0ES6_jNS0_17counting_iteratorIjlEEPS9_SE_NS0_5tupleIJPjSE_EEENSF_IJSE_SE_EEES9_SG_JZNS1_25segmented_radix_sort_implINS0_14default_configELb0EPK6__halfPSL_PKlPlN2at6native12_GLOBAL__N_18offset_tEEE10hipError_tPvRmT1_PNSt15iterator_traitsISZ_E10value_typeET2_T3_PNS10_IS15_E10value_typeET4_jRbjT5_S1B_jjP12ihipStream_tbEUljE_EEESW_SX_SY_S15_S19_S1B_T6_T7_T9_mT8_S1D_bDpT10_ENKUlT_T0_E_clISt17integral_constantIbLb1EES1Q_EEDaS1L_S1M_EUlS1L_E_NS1_11comp_targetILNS1_3genE3ELNS1_11target_archE908ELNS1_3gpuE7ELNS1_3repE0EEENS1_30default_config_static_selectorELNS0_4arch9wavefront6targetE1EEEvSZ_
		.amdhsa_group_segment_fixed_size 0
		.amdhsa_private_segment_fixed_size 0
		.amdhsa_kernarg_size 152
		.amdhsa_user_sgpr_count 6
		.amdhsa_user_sgpr_private_segment_buffer 1
		.amdhsa_user_sgpr_dispatch_ptr 0
		.amdhsa_user_sgpr_queue_ptr 0
		.amdhsa_user_sgpr_kernarg_segment_ptr 1
		.amdhsa_user_sgpr_dispatch_id 0
		.amdhsa_user_sgpr_flat_scratch_init 0
		.amdhsa_user_sgpr_private_segment_size 0
		.amdhsa_uses_dynamic_stack 0
		.amdhsa_system_sgpr_private_segment_wavefront_offset 0
		.amdhsa_system_sgpr_workgroup_id_x 1
		.amdhsa_system_sgpr_workgroup_id_y 0
		.amdhsa_system_sgpr_workgroup_id_z 0
		.amdhsa_system_sgpr_workgroup_info 0
		.amdhsa_system_vgpr_workitem_id 0
		.amdhsa_next_free_vgpr 1
		.amdhsa_next_free_sgpr 0
		.amdhsa_reserve_vcc 0
		.amdhsa_reserve_flat_scratch 0
		.amdhsa_float_round_mode_32 0
		.amdhsa_float_round_mode_16_64 0
		.amdhsa_float_denorm_mode_32 3
		.amdhsa_float_denorm_mode_16_64 3
		.amdhsa_dx10_clamp 1
		.amdhsa_ieee_mode 1
		.amdhsa_fp16_overflow 0
		.amdhsa_exception_fp_ieee_invalid_op 0
		.amdhsa_exception_fp_denorm_src 0
		.amdhsa_exception_fp_ieee_div_zero 0
		.amdhsa_exception_fp_ieee_overflow 0
		.amdhsa_exception_fp_ieee_underflow 0
		.amdhsa_exception_fp_ieee_inexact 0
		.amdhsa_exception_int_div_zero 0
	.end_amdhsa_kernel
	.section	.text._ZN7rocprim17ROCPRIM_400000_NS6detail17trampoline_kernelINS0_13select_configILj256ELj13ELNS0_17block_load_methodE3ELS4_3ELS4_3ELNS0_20block_scan_algorithmE0ELj4294967295EEENS1_25partition_config_selectorILNS1_17partition_subalgoE3EjNS0_10empty_typeEbEEZZNS1_14partition_implILS8_3ELb0ES6_jNS0_17counting_iteratorIjlEEPS9_SE_NS0_5tupleIJPjSE_EEENSF_IJSE_SE_EEES9_SG_JZNS1_25segmented_radix_sort_implINS0_14default_configELb0EPK6__halfPSL_PKlPlN2at6native12_GLOBAL__N_18offset_tEEE10hipError_tPvRmT1_PNSt15iterator_traitsISZ_E10value_typeET2_T3_PNS10_IS15_E10value_typeET4_jRbjT5_S1B_jjP12ihipStream_tbEUljE_EEESW_SX_SY_S15_S19_S1B_T6_T7_T9_mT8_S1D_bDpT10_ENKUlT_T0_E_clISt17integral_constantIbLb1EES1Q_EEDaS1L_S1M_EUlS1L_E_NS1_11comp_targetILNS1_3genE3ELNS1_11target_archE908ELNS1_3gpuE7ELNS1_3repE0EEENS1_30default_config_static_selectorELNS0_4arch9wavefront6targetE1EEEvSZ_,"axG",@progbits,_ZN7rocprim17ROCPRIM_400000_NS6detail17trampoline_kernelINS0_13select_configILj256ELj13ELNS0_17block_load_methodE3ELS4_3ELS4_3ELNS0_20block_scan_algorithmE0ELj4294967295EEENS1_25partition_config_selectorILNS1_17partition_subalgoE3EjNS0_10empty_typeEbEEZZNS1_14partition_implILS8_3ELb0ES6_jNS0_17counting_iteratorIjlEEPS9_SE_NS0_5tupleIJPjSE_EEENSF_IJSE_SE_EEES9_SG_JZNS1_25segmented_radix_sort_implINS0_14default_configELb0EPK6__halfPSL_PKlPlN2at6native12_GLOBAL__N_18offset_tEEE10hipError_tPvRmT1_PNSt15iterator_traitsISZ_E10value_typeET2_T3_PNS10_IS15_E10value_typeET4_jRbjT5_S1B_jjP12ihipStream_tbEUljE_EEESW_SX_SY_S15_S19_S1B_T6_T7_T9_mT8_S1D_bDpT10_ENKUlT_T0_E_clISt17integral_constantIbLb1EES1Q_EEDaS1L_S1M_EUlS1L_E_NS1_11comp_targetILNS1_3genE3ELNS1_11target_archE908ELNS1_3gpuE7ELNS1_3repE0EEENS1_30default_config_static_selectorELNS0_4arch9wavefront6targetE1EEEvSZ_,comdat
.Lfunc_end1821:
	.size	_ZN7rocprim17ROCPRIM_400000_NS6detail17trampoline_kernelINS0_13select_configILj256ELj13ELNS0_17block_load_methodE3ELS4_3ELS4_3ELNS0_20block_scan_algorithmE0ELj4294967295EEENS1_25partition_config_selectorILNS1_17partition_subalgoE3EjNS0_10empty_typeEbEEZZNS1_14partition_implILS8_3ELb0ES6_jNS0_17counting_iteratorIjlEEPS9_SE_NS0_5tupleIJPjSE_EEENSF_IJSE_SE_EEES9_SG_JZNS1_25segmented_radix_sort_implINS0_14default_configELb0EPK6__halfPSL_PKlPlN2at6native12_GLOBAL__N_18offset_tEEE10hipError_tPvRmT1_PNSt15iterator_traitsISZ_E10value_typeET2_T3_PNS10_IS15_E10value_typeET4_jRbjT5_S1B_jjP12ihipStream_tbEUljE_EEESW_SX_SY_S15_S19_S1B_T6_T7_T9_mT8_S1D_bDpT10_ENKUlT_T0_E_clISt17integral_constantIbLb1EES1Q_EEDaS1L_S1M_EUlS1L_E_NS1_11comp_targetILNS1_3genE3ELNS1_11target_archE908ELNS1_3gpuE7ELNS1_3repE0EEENS1_30default_config_static_selectorELNS0_4arch9wavefront6targetE1EEEvSZ_, .Lfunc_end1821-_ZN7rocprim17ROCPRIM_400000_NS6detail17trampoline_kernelINS0_13select_configILj256ELj13ELNS0_17block_load_methodE3ELS4_3ELS4_3ELNS0_20block_scan_algorithmE0ELj4294967295EEENS1_25partition_config_selectorILNS1_17partition_subalgoE3EjNS0_10empty_typeEbEEZZNS1_14partition_implILS8_3ELb0ES6_jNS0_17counting_iteratorIjlEEPS9_SE_NS0_5tupleIJPjSE_EEENSF_IJSE_SE_EEES9_SG_JZNS1_25segmented_radix_sort_implINS0_14default_configELb0EPK6__halfPSL_PKlPlN2at6native12_GLOBAL__N_18offset_tEEE10hipError_tPvRmT1_PNSt15iterator_traitsISZ_E10value_typeET2_T3_PNS10_IS15_E10value_typeET4_jRbjT5_S1B_jjP12ihipStream_tbEUljE_EEESW_SX_SY_S15_S19_S1B_T6_T7_T9_mT8_S1D_bDpT10_ENKUlT_T0_E_clISt17integral_constantIbLb1EES1Q_EEDaS1L_S1M_EUlS1L_E_NS1_11comp_targetILNS1_3genE3ELNS1_11target_archE908ELNS1_3gpuE7ELNS1_3repE0EEENS1_30default_config_static_selectorELNS0_4arch9wavefront6targetE1EEEvSZ_
                                        ; -- End function
	.set _ZN7rocprim17ROCPRIM_400000_NS6detail17trampoline_kernelINS0_13select_configILj256ELj13ELNS0_17block_load_methodE3ELS4_3ELS4_3ELNS0_20block_scan_algorithmE0ELj4294967295EEENS1_25partition_config_selectorILNS1_17partition_subalgoE3EjNS0_10empty_typeEbEEZZNS1_14partition_implILS8_3ELb0ES6_jNS0_17counting_iteratorIjlEEPS9_SE_NS0_5tupleIJPjSE_EEENSF_IJSE_SE_EEES9_SG_JZNS1_25segmented_radix_sort_implINS0_14default_configELb0EPK6__halfPSL_PKlPlN2at6native12_GLOBAL__N_18offset_tEEE10hipError_tPvRmT1_PNSt15iterator_traitsISZ_E10value_typeET2_T3_PNS10_IS15_E10value_typeET4_jRbjT5_S1B_jjP12ihipStream_tbEUljE_EEESW_SX_SY_S15_S19_S1B_T6_T7_T9_mT8_S1D_bDpT10_ENKUlT_T0_E_clISt17integral_constantIbLb1EES1Q_EEDaS1L_S1M_EUlS1L_E_NS1_11comp_targetILNS1_3genE3ELNS1_11target_archE908ELNS1_3gpuE7ELNS1_3repE0EEENS1_30default_config_static_selectorELNS0_4arch9wavefront6targetE1EEEvSZ_.num_vgpr, 0
	.set _ZN7rocprim17ROCPRIM_400000_NS6detail17trampoline_kernelINS0_13select_configILj256ELj13ELNS0_17block_load_methodE3ELS4_3ELS4_3ELNS0_20block_scan_algorithmE0ELj4294967295EEENS1_25partition_config_selectorILNS1_17partition_subalgoE3EjNS0_10empty_typeEbEEZZNS1_14partition_implILS8_3ELb0ES6_jNS0_17counting_iteratorIjlEEPS9_SE_NS0_5tupleIJPjSE_EEENSF_IJSE_SE_EEES9_SG_JZNS1_25segmented_radix_sort_implINS0_14default_configELb0EPK6__halfPSL_PKlPlN2at6native12_GLOBAL__N_18offset_tEEE10hipError_tPvRmT1_PNSt15iterator_traitsISZ_E10value_typeET2_T3_PNS10_IS15_E10value_typeET4_jRbjT5_S1B_jjP12ihipStream_tbEUljE_EEESW_SX_SY_S15_S19_S1B_T6_T7_T9_mT8_S1D_bDpT10_ENKUlT_T0_E_clISt17integral_constantIbLb1EES1Q_EEDaS1L_S1M_EUlS1L_E_NS1_11comp_targetILNS1_3genE3ELNS1_11target_archE908ELNS1_3gpuE7ELNS1_3repE0EEENS1_30default_config_static_selectorELNS0_4arch9wavefront6targetE1EEEvSZ_.num_agpr, 0
	.set _ZN7rocprim17ROCPRIM_400000_NS6detail17trampoline_kernelINS0_13select_configILj256ELj13ELNS0_17block_load_methodE3ELS4_3ELS4_3ELNS0_20block_scan_algorithmE0ELj4294967295EEENS1_25partition_config_selectorILNS1_17partition_subalgoE3EjNS0_10empty_typeEbEEZZNS1_14partition_implILS8_3ELb0ES6_jNS0_17counting_iteratorIjlEEPS9_SE_NS0_5tupleIJPjSE_EEENSF_IJSE_SE_EEES9_SG_JZNS1_25segmented_radix_sort_implINS0_14default_configELb0EPK6__halfPSL_PKlPlN2at6native12_GLOBAL__N_18offset_tEEE10hipError_tPvRmT1_PNSt15iterator_traitsISZ_E10value_typeET2_T3_PNS10_IS15_E10value_typeET4_jRbjT5_S1B_jjP12ihipStream_tbEUljE_EEESW_SX_SY_S15_S19_S1B_T6_T7_T9_mT8_S1D_bDpT10_ENKUlT_T0_E_clISt17integral_constantIbLb1EES1Q_EEDaS1L_S1M_EUlS1L_E_NS1_11comp_targetILNS1_3genE3ELNS1_11target_archE908ELNS1_3gpuE7ELNS1_3repE0EEENS1_30default_config_static_selectorELNS0_4arch9wavefront6targetE1EEEvSZ_.numbered_sgpr, 0
	.set _ZN7rocprim17ROCPRIM_400000_NS6detail17trampoline_kernelINS0_13select_configILj256ELj13ELNS0_17block_load_methodE3ELS4_3ELS4_3ELNS0_20block_scan_algorithmE0ELj4294967295EEENS1_25partition_config_selectorILNS1_17partition_subalgoE3EjNS0_10empty_typeEbEEZZNS1_14partition_implILS8_3ELb0ES6_jNS0_17counting_iteratorIjlEEPS9_SE_NS0_5tupleIJPjSE_EEENSF_IJSE_SE_EEES9_SG_JZNS1_25segmented_radix_sort_implINS0_14default_configELb0EPK6__halfPSL_PKlPlN2at6native12_GLOBAL__N_18offset_tEEE10hipError_tPvRmT1_PNSt15iterator_traitsISZ_E10value_typeET2_T3_PNS10_IS15_E10value_typeET4_jRbjT5_S1B_jjP12ihipStream_tbEUljE_EEESW_SX_SY_S15_S19_S1B_T6_T7_T9_mT8_S1D_bDpT10_ENKUlT_T0_E_clISt17integral_constantIbLb1EES1Q_EEDaS1L_S1M_EUlS1L_E_NS1_11comp_targetILNS1_3genE3ELNS1_11target_archE908ELNS1_3gpuE7ELNS1_3repE0EEENS1_30default_config_static_selectorELNS0_4arch9wavefront6targetE1EEEvSZ_.num_named_barrier, 0
	.set _ZN7rocprim17ROCPRIM_400000_NS6detail17trampoline_kernelINS0_13select_configILj256ELj13ELNS0_17block_load_methodE3ELS4_3ELS4_3ELNS0_20block_scan_algorithmE0ELj4294967295EEENS1_25partition_config_selectorILNS1_17partition_subalgoE3EjNS0_10empty_typeEbEEZZNS1_14partition_implILS8_3ELb0ES6_jNS0_17counting_iteratorIjlEEPS9_SE_NS0_5tupleIJPjSE_EEENSF_IJSE_SE_EEES9_SG_JZNS1_25segmented_radix_sort_implINS0_14default_configELb0EPK6__halfPSL_PKlPlN2at6native12_GLOBAL__N_18offset_tEEE10hipError_tPvRmT1_PNSt15iterator_traitsISZ_E10value_typeET2_T3_PNS10_IS15_E10value_typeET4_jRbjT5_S1B_jjP12ihipStream_tbEUljE_EEESW_SX_SY_S15_S19_S1B_T6_T7_T9_mT8_S1D_bDpT10_ENKUlT_T0_E_clISt17integral_constantIbLb1EES1Q_EEDaS1L_S1M_EUlS1L_E_NS1_11comp_targetILNS1_3genE3ELNS1_11target_archE908ELNS1_3gpuE7ELNS1_3repE0EEENS1_30default_config_static_selectorELNS0_4arch9wavefront6targetE1EEEvSZ_.private_seg_size, 0
	.set _ZN7rocprim17ROCPRIM_400000_NS6detail17trampoline_kernelINS0_13select_configILj256ELj13ELNS0_17block_load_methodE3ELS4_3ELS4_3ELNS0_20block_scan_algorithmE0ELj4294967295EEENS1_25partition_config_selectorILNS1_17partition_subalgoE3EjNS0_10empty_typeEbEEZZNS1_14partition_implILS8_3ELb0ES6_jNS0_17counting_iteratorIjlEEPS9_SE_NS0_5tupleIJPjSE_EEENSF_IJSE_SE_EEES9_SG_JZNS1_25segmented_radix_sort_implINS0_14default_configELb0EPK6__halfPSL_PKlPlN2at6native12_GLOBAL__N_18offset_tEEE10hipError_tPvRmT1_PNSt15iterator_traitsISZ_E10value_typeET2_T3_PNS10_IS15_E10value_typeET4_jRbjT5_S1B_jjP12ihipStream_tbEUljE_EEESW_SX_SY_S15_S19_S1B_T6_T7_T9_mT8_S1D_bDpT10_ENKUlT_T0_E_clISt17integral_constantIbLb1EES1Q_EEDaS1L_S1M_EUlS1L_E_NS1_11comp_targetILNS1_3genE3ELNS1_11target_archE908ELNS1_3gpuE7ELNS1_3repE0EEENS1_30default_config_static_selectorELNS0_4arch9wavefront6targetE1EEEvSZ_.uses_vcc, 0
	.set _ZN7rocprim17ROCPRIM_400000_NS6detail17trampoline_kernelINS0_13select_configILj256ELj13ELNS0_17block_load_methodE3ELS4_3ELS4_3ELNS0_20block_scan_algorithmE0ELj4294967295EEENS1_25partition_config_selectorILNS1_17partition_subalgoE3EjNS0_10empty_typeEbEEZZNS1_14partition_implILS8_3ELb0ES6_jNS0_17counting_iteratorIjlEEPS9_SE_NS0_5tupleIJPjSE_EEENSF_IJSE_SE_EEES9_SG_JZNS1_25segmented_radix_sort_implINS0_14default_configELb0EPK6__halfPSL_PKlPlN2at6native12_GLOBAL__N_18offset_tEEE10hipError_tPvRmT1_PNSt15iterator_traitsISZ_E10value_typeET2_T3_PNS10_IS15_E10value_typeET4_jRbjT5_S1B_jjP12ihipStream_tbEUljE_EEESW_SX_SY_S15_S19_S1B_T6_T7_T9_mT8_S1D_bDpT10_ENKUlT_T0_E_clISt17integral_constantIbLb1EES1Q_EEDaS1L_S1M_EUlS1L_E_NS1_11comp_targetILNS1_3genE3ELNS1_11target_archE908ELNS1_3gpuE7ELNS1_3repE0EEENS1_30default_config_static_selectorELNS0_4arch9wavefront6targetE1EEEvSZ_.uses_flat_scratch, 0
	.set _ZN7rocprim17ROCPRIM_400000_NS6detail17trampoline_kernelINS0_13select_configILj256ELj13ELNS0_17block_load_methodE3ELS4_3ELS4_3ELNS0_20block_scan_algorithmE0ELj4294967295EEENS1_25partition_config_selectorILNS1_17partition_subalgoE3EjNS0_10empty_typeEbEEZZNS1_14partition_implILS8_3ELb0ES6_jNS0_17counting_iteratorIjlEEPS9_SE_NS0_5tupleIJPjSE_EEENSF_IJSE_SE_EEES9_SG_JZNS1_25segmented_radix_sort_implINS0_14default_configELb0EPK6__halfPSL_PKlPlN2at6native12_GLOBAL__N_18offset_tEEE10hipError_tPvRmT1_PNSt15iterator_traitsISZ_E10value_typeET2_T3_PNS10_IS15_E10value_typeET4_jRbjT5_S1B_jjP12ihipStream_tbEUljE_EEESW_SX_SY_S15_S19_S1B_T6_T7_T9_mT8_S1D_bDpT10_ENKUlT_T0_E_clISt17integral_constantIbLb1EES1Q_EEDaS1L_S1M_EUlS1L_E_NS1_11comp_targetILNS1_3genE3ELNS1_11target_archE908ELNS1_3gpuE7ELNS1_3repE0EEENS1_30default_config_static_selectorELNS0_4arch9wavefront6targetE1EEEvSZ_.has_dyn_sized_stack, 0
	.set _ZN7rocprim17ROCPRIM_400000_NS6detail17trampoline_kernelINS0_13select_configILj256ELj13ELNS0_17block_load_methodE3ELS4_3ELS4_3ELNS0_20block_scan_algorithmE0ELj4294967295EEENS1_25partition_config_selectorILNS1_17partition_subalgoE3EjNS0_10empty_typeEbEEZZNS1_14partition_implILS8_3ELb0ES6_jNS0_17counting_iteratorIjlEEPS9_SE_NS0_5tupleIJPjSE_EEENSF_IJSE_SE_EEES9_SG_JZNS1_25segmented_radix_sort_implINS0_14default_configELb0EPK6__halfPSL_PKlPlN2at6native12_GLOBAL__N_18offset_tEEE10hipError_tPvRmT1_PNSt15iterator_traitsISZ_E10value_typeET2_T3_PNS10_IS15_E10value_typeET4_jRbjT5_S1B_jjP12ihipStream_tbEUljE_EEESW_SX_SY_S15_S19_S1B_T6_T7_T9_mT8_S1D_bDpT10_ENKUlT_T0_E_clISt17integral_constantIbLb1EES1Q_EEDaS1L_S1M_EUlS1L_E_NS1_11comp_targetILNS1_3genE3ELNS1_11target_archE908ELNS1_3gpuE7ELNS1_3repE0EEENS1_30default_config_static_selectorELNS0_4arch9wavefront6targetE1EEEvSZ_.has_recursion, 0
	.set _ZN7rocprim17ROCPRIM_400000_NS6detail17trampoline_kernelINS0_13select_configILj256ELj13ELNS0_17block_load_methodE3ELS4_3ELS4_3ELNS0_20block_scan_algorithmE0ELj4294967295EEENS1_25partition_config_selectorILNS1_17partition_subalgoE3EjNS0_10empty_typeEbEEZZNS1_14partition_implILS8_3ELb0ES6_jNS0_17counting_iteratorIjlEEPS9_SE_NS0_5tupleIJPjSE_EEENSF_IJSE_SE_EEES9_SG_JZNS1_25segmented_radix_sort_implINS0_14default_configELb0EPK6__halfPSL_PKlPlN2at6native12_GLOBAL__N_18offset_tEEE10hipError_tPvRmT1_PNSt15iterator_traitsISZ_E10value_typeET2_T3_PNS10_IS15_E10value_typeET4_jRbjT5_S1B_jjP12ihipStream_tbEUljE_EEESW_SX_SY_S15_S19_S1B_T6_T7_T9_mT8_S1D_bDpT10_ENKUlT_T0_E_clISt17integral_constantIbLb1EES1Q_EEDaS1L_S1M_EUlS1L_E_NS1_11comp_targetILNS1_3genE3ELNS1_11target_archE908ELNS1_3gpuE7ELNS1_3repE0EEENS1_30default_config_static_selectorELNS0_4arch9wavefront6targetE1EEEvSZ_.has_indirect_call, 0
	.section	.AMDGPU.csdata,"",@progbits
; Kernel info:
; codeLenInByte = 0
; TotalNumSgprs: 4
; NumVgprs: 0
; ScratchSize: 0
; MemoryBound: 0
; FloatMode: 240
; IeeeMode: 1
; LDSByteSize: 0 bytes/workgroup (compile time only)
; SGPRBlocks: 0
; VGPRBlocks: 0
; NumSGPRsForWavesPerEU: 4
; NumVGPRsForWavesPerEU: 1
; Occupancy: 10
; WaveLimiterHint : 0
; COMPUTE_PGM_RSRC2:SCRATCH_EN: 0
; COMPUTE_PGM_RSRC2:USER_SGPR: 6
; COMPUTE_PGM_RSRC2:TRAP_HANDLER: 0
; COMPUTE_PGM_RSRC2:TGID_X_EN: 1
; COMPUTE_PGM_RSRC2:TGID_Y_EN: 0
; COMPUTE_PGM_RSRC2:TGID_Z_EN: 0
; COMPUTE_PGM_RSRC2:TIDIG_COMP_CNT: 0
	.section	.text._ZN7rocprim17ROCPRIM_400000_NS6detail17trampoline_kernelINS0_13select_configILj256ELj13ELNS0_17block_load_methodE3ELS4_3ELS4_3ELNS0_20block_scan_algorithmE0ELj4294967295EEENS1_25partition_config_selectorILNS1_17partition_subalgoE3EjNS0_10empty_typeEbEEZZNS1_14partition_implILS8_3ELb0ES6_jNS0_17counting_iteratorIjlEEPS9_SE_NS0_5tupleIJPjSE_EEENSF_IJSE_SE_EEES9_SG_JZNS1_25segmented_radix_sort_implINS0_14default_configELb0EPK6__halfPSL_PKlPlN2at6native12_GLOBAL__N_18offset_tEEE10hipError_tPvRmT1_PNSt15iterator_traitsISZ_E10value_typeET2_T3_PNS10_IS15_E10value_typeET4_jRbjT5_S1B_jjP12ihipStream_tbEUljE_EEESW_SX_SY_S15_S19_S1B_T6_T7_T9_mT8_S1D_bDpT10_ENKUlT_T0_E_clISt17integral_constantIbLb1EES1Q_EEDaS1L_S1M_EUlS1L_E_NS1_11comp_targetILNS1_3genE2ELNS1_11target_archE906ELNS1_3gpuE6ELNS1_3repE0EEENS1_30default_config_static_selectorELNS0_4arch9wavefront6targetE1EEEvSZ_,"axG",@progbits,_ZN7rocprim17ROCPRIM_400000_NS6detail17trampoline_kernelINS0_13select_configILj256ELj13ELNS0_17block_load_methodE3ELS4_3ELS4_3ELNS0_20block_scan_algorithmE0ELj4294967295EEENS1_25partition_config_selectorILNS1_17partition_subalgoE3EjNS0_10empty_typeEbEEZZNS1_14partition_implILS8_3ELb0ES6_jNS0_17counting_iteratorIjlEEPS9_SE_NS0_5tupleIJPjSE_EEENSF_IJSE_SE_EEES9_SG_JZNS1_25segmented_radix_sort_implINS0_14default_configELb0EPK6__halfPSL_PKlPlN2at6native12_GLOBAL__N_18offset_tEEE10hipError_tPvRmT1_PNSt15iterator_traitsISZ_E10value_typeET2_T3_PNS10_IS15_E10value_typeET4_jRbjT5_S1B_jjP12ihipStream_tbEUljE_EEESW_SX_SY_S15_S19_S1B_T6_T7_T9_mT8_S1D_bDpT10_ENKUlT_T0_E_clISt17integral_constantIbLb1EES1Q_EEDaS1L_S1M_EUlS1L_E_NS1_11comp_targetILNS1_3genE2ELNS1_11target_archE906ELNS1_3gpuE6ELNS1_3repE0EEENS1_30default_config_static_selectorELNS0_4arch9wavefront6targetE1EEEvSZ_,comdat
	.globl	_ZN7rocprim17ROCPRIM_400000_NS6detail17trampoline_kernelINS0_13select_configILj256ELj13ELNS0_17block_load_methodE3ELS4_3ELS4_3ELNS0_20block_scan_algorithmE0ELj4294967295EEENS1_25partition_config_selectorILNS1_17partition_subalgoE3EjNS0_10empty_typeEbEEZZNS1_14partition_implILS8_3ELb0ES6_jNS0_17counting_iteratorIjlEEPS9_SE_NS0_5tupleIJPjSE_EEENSF_IJSE_SE_EEES9_SG_JZNS1_25segmented_radix_sort_implINS0_14default_configELb0EPK6__halfPSL_PKlPlN2at6native12_GLOBAL__N_18offset_tEEE10hipError_tPvRmT1_PNSt15iterator_traitsISZ_E10value_typeET2_T3_PNS10_IS15_E10value_typeET4_jRbjT5_S1B_jjP12ihipStream_tbEUljE_EEESW_SX_SY_S15_S19_S1B_T6_T7_T9_mT8_S1D_bDpT10_ENKUlT_T0_E_clISt17integral_constantIbLb1EES1Q_EEDaS1L_S1M_EUlS1L_E_NS1_11comp_targetILNS1_3genE2ELNS1_11target_archE906ELNS1_3gpuE6ELNS1_3repE0EEENS1_30default_config_static_selectorELNS0_4arch9wavefront6targetE1EEEvSZ_ ; -- Begin function _ZN7rocprim17ROCPRIM_400000_NS6detail17trampoline_kernelINS0_13select_configILj256ELj13ELNS0_17block_load_methodE3ELS4_3ELS4_3ELNS0_20block_scan_algorithmE0ELj4294967295EEENS1_25partition_config_selectorILNS1_17partition_subalgoE3EjNS0_10empty_typeEbEEZZNS1_14partition_implILS8_3ELb0ES6_jNS0_17counting_iteratorIjlEEPS9_SE_NS0_5tupleIJPjSE_EEENSF_IJSE_SE_EEES9_SG_JZNS1_25segmented_radix_sort_implINS0_14default_configELb0EPK6__halfPSL_PKlPlN2at6native12_GLOBAL__N_18offset_tEEE10hipError_tPvRmT1_PNSt15iterator_traitsISZ_E10value_typeET2_T3_PNS10_IS15_E10value_typeET4_jRbjT5_S1B_jjP12ihipStream_tbEUljE_EEESW_SX_SY_S15_S19_S1B_T6_T7_T9_mT8_S1D_bDpT10_ENKUlT_T0_E_clISt17integral_constantIbLb1EES1Q_EEDaS1L_S1M_EUlS1L_E_NS1_11comp_targetILNS1_3genE2ELNS1_11target_archE906ELNS1_3gpuE6ELNS1_3repE0EEENS1_30default_config_static_selectorELNS0_4arch9wavefront6targetE1EEEvSZ_
	.p2align	8
	.type	_ZN7rocprim17ROCPRIM_400000_NS6detail17trampoline_kernelINS0_13select_configILj256ELj13ELNS0_17block_load_methodE3ELS4_3ELS4_3ELNS0_20block_scan_algorithmE0ELj4294967295EEENS1_25partition_config_selectorILNS1_17partition_subalgoE3EjNS0_10empty_typeEbEEZZNS1_14partition_implILS8_3ELb0ES6_jNS0_17counting_iteratorIjlEEPS9_SE_NS0_5tupleIJPjSE_EEENSF_IJSE_SE_EEES9_SG_JZNS1_25segmented_radix_sort_implINS0_14default_configELb0EPK6__halfPSL_PKlPlN2at6native12_GLOBAL__N_18offset_tEEE10hipError_tPvRmT1_PNSt15iterator_traitsISZ_E10value_typeET2_T3_PNS10_IS15_E10value_typeET4_jRbjT5_S1B_jjP12ihipStream_tbEUljE_EEESW_SX_SY_S15_S19_S1B_T6_T7_T9_mT8_S1D_bDpT10_ENKUlT_T0_E_clISt17integral_constantIbLb1EES1Q_EEDaS1L_S1M_EUlS1L_E_NS1_11comp_targetILNS1_3genE2ELNS1_11target_archE906ELNS1_3gpuE6ELNS1_3repE0EEENS1_30default_config_static_selectorELNS0_4arch9wavefront6targetE1EEEvSZ_,@function
_ZN7rocprim17ROCPRIM_400000_NS6detail17trampoline_kernelINS0_13select_configILj256ELj13ELNS0_17block_load_methodE3ELS4_3ELS4_3ELNS0_20block_scan_algorithmE0ELj4294967295EEENS1_25partition_config_selectorILNS1_17partition_subalgoE3EjNS0_10empty_typeEbEEZZNS1_14partition_implILS8_3ELb0ES6_jNS0_17counting_iteratorIjlEEPS9_SE_NS0_5tupleIJPjSE_EEENSF_IJSE_SE_EEES9_SG_JZNS1_25segmented_radix_sort_implINS0_14default_configELb0EPK6__halfPSL_PKlPlN2at6native12_GLOBAL__N_18offset_tEEE10hipError_tPvRmT1_PNSt15iterator_traitsISZ_E10value_typeET2_T3_PNS10_IS15_E10value_typeET4_jRbjT5_S1B_jjP12ihipStream_tbEUljE_EEESW_SX_SY_S15_S19_S1B_T6_T7_T9_mT8_S1D_bDpT10_ENKUlT_T0_E_clISt17integral_constantIbLb1EES1Q_EEDaS1L_S1M_EUlS1L_E_NS1_11comp_targetILNS1_3genE2ELNS1_11target_archE906ELNS1_3gpuE6ELNS1_3repE0EEENS1_30default_config_static_selectorELNS0_4arch9wavefront6targetE1EEEvSZ_: ; @_ZN7rocprim17ROCPRIM_400000_NS6detail17trampoline_kernelINS0_13select_configILj256ELj13ELNS0_17block_load_methodE3ELS4_3ELS4_3ELNS0_20block_scan_algorithmE0ELj4294967295EEENS1_25partition_config_selectorILNS1_17partition_subalgoE3EjNS0_10empty_typeEbEEZZNS1_14partition_implILS8_3ELb0ES6_jNS0_17counting_iteratorIjlEEPS9_SE_NS0_5tupleIJPjSE_EEENSF_IJSE_SE_EEES9_SG_JZNS1_25segmented_radix_sort_implINS0_14default_configELb0EPK6__halfPSL_PKlPlN2at6native12_GLOBAL__N_18offset_tEEE10hipError_tPvRmT1_PNSt15iterator_traitsISZ_E10value_typeET2_T3_PNS10_IS15_E10value_typeET4_jRbjT5_S1B_jjP12ihipStream_tbEUljE_EEESW_SX_SY_S15_S19_S1B_T6_T7_T9_mT8_S1D_bDpT10_ENKUlT_T0_E_clISt17integral_constantIbLb1EES1Q_EEDaS1L_S1M_EUlS1L_E_NS1_11comp_targetILNS1_3genE2ELNS1_11target_archE906ELNS1_3gpuE6ELNS1_3repE0EEENS1_30default_config_static_selectorELNS0_4arch9wavefront6targetE1EEEvSZ_
; %bb.0:
	s_endpgm
	.section	.rodata,"a",@progbits
	.p2align	6, 0x0
	.amdhsa_kernel _ZN7rocprim17ROCPRIM_400000_NS6detail17trampoline_kernelINS0_13select_configILj256ELj13ELNS0_17block_load_methodE3ELS4_3ELS4_3ELNS0_20block_scan_algorithmE0ELj4294967295EEENS1_25partition_config_selectorILNS1_17partition_subalgoE3EjNS0_10empty_typeEbEEZZNS1_14partition_implILS8_3ELb0ES6_jNS0_17counting_iteratorIjlEEPS9_SE_NS0_5tupleIJPjSE_EEENSF_IJSE_SE_EEES9_SG_JZNS1_25segmented_radix_sort_implINS0_14default_configELb0EPK6__halfPSL_PKlPlN2at6native12_GLOBAL__N_18offset_tEEE10hipError_tPvRmT1_PNSt15iterator_traitsISZ_E10value_typeET2_T3_PNS10_IS15_E10value_typeET4_jRbjT5_S1B_jjP12ihipStream_tbEUljE_EEESW_SX_SY_S15_S19_S1B_T6_T7_T9_mT8_S1D_bDpT10_ENKUlT_T0_E_clISt17integral_constantIbLb1EES1Q_EEDaS1L_S1M_EUlS1L_E_NS1_11comp_targetILNS1_3genE2ELNS1_11target_archE906ELNS1_3gpuE6ELNS1_3repE0EEENS1_30default_config_static_selectorELNS0_4arch9wavefront6targetE1EEEvSZ_
		.amdhsa_group_segment_fixed_size 0
		.amdhsa_private_segment_fixed_size 0
		.amdhsa_kernarg_size 152
		.amdhsa_user_sgpr_count 6
		.amdhsa_user_sgpr_private_segment_buffer 1
		.amdhsa_user_sgpr_dispatch_ptr 0
		.amdhsa_user_sgpr_queue_ptr 0
		.amdhsa_user_sgpr_kernarg_segment_ptr 1
		.amdhsa_user_sgpr_dispatch_id 0
		.amdhsa_user_sgpr_flat_scratch_init 0
		.amdhsa_user_sgpr_private_segment_size 0
		.amdhsa_uses_dynamic_stack 0
		.amdhsa_system_sgpr_private_segment_wavefront_offset 0
		.amdhsa_system_sgpr_workgroup_id_x 1
		.amdhsa_system_sgpr_workgroup_id_y 0
		.amdhsa_system_sgpr_workgroup_id_z 0
		.amdhsa_system_sgpr_workgroup_info 0
		.amdhsa_system_vgpr_workitem_id 0
		.amdhsa_next_free_vgpr 1
		.amdhsa_next_free_sgpr 0
		.amdhsa_reserve_vcc 0
		.amdhsa_reserve_flat_scratch 0
		.amdhsa_float_round_mode_32 0
		.amdhsa_float_round_mode_16_64 0
		.amdhsa_float_denorm_mode_32 3
		.amdhsa_float_denorm_mode_16_64 3
		.amdhsa_dx10_clamp 1
		.amdhsa_ieee_mode 1
		.amdhsa_fp16_overflow 0
		.amdhsa_exception_fp_ieee_invalid_op 0
		.amdhsa_exception_fp_denorm_src 0
		.amdhsa_exception_fp_ieee_div_zero 0
		.amdhsa_exception_fp_ieee_overflow 0
		.amdhsa_exception_fp_ieee_underflow 0
		.amdhsa_exception_fp_ieee_inexact 0
		.amdhsa_exception_int_div_zero 0
	.end_amdhsa_kernel
	.section	.text._ZN7rocprim17ROCPRIM_400000_NS6detail17trampoline_kernelINS0_13select_configILj256ELj13ELNS0_17block_load_methodE3ELS4_3ELS4_3ELNS0_20block_scan_algorithmE0ELj4294967295EEENS1_25partition_config_selectorILNS1_17partition_subalgoE3EjNS0_10empty_typeEbEEZZNS1_14partition_implILS8_3ELb0ES6_jNS0_17counting_iteratorIjlEEPS9_SE_NS0_5tupleIJPjSE_EEENSF_IJSE_SE_EEES9_SG_JZNS1_25segmented_radix_sort_implINS0_14default_configELb0EPK6__halfPSL_PKlPlN2at6native12_GLOBAL__N_18offset_tEEE10hipError_tPvRmT1_PNSt15iterator_traitsISZ_E10value_typeET2_T3_PNS10_IS15_E10value_typeET4_jRbjT5_S1B_jjP12ihipStream_tbEUljE_EEESW_SX_SY_S15_S19_S1B_T6_T7_T9_mT8_S1D_bDpT10_ENKUlT_T0_E_clISt17integral_constantIbLb1EES1Q_EEDaS1L_S1M_EUlS1L_E_NS1_11comp_targetILNS1_3genE2ELNS1_11target_archE906ELNS1_3gpuE6ELNS1_3repE0EEENS1_30default_config_static_selectorELNS0_4arch9wavefront6targetE1EEEvSZ_,"axG",@progbits,_ZN7rocprim17ROCPRIM_400000_NS6detail17trampoline_kernelINS0_13select_configILj256ELj13ELNS0_17block_load_methodE3ELS4_3ELS4_3ELNS0_20block_scan_algorithmE0ELj4294967295EEENS1_25partition_config_selectorILNS1_17partition_subalgoE3EjNS0_10empty_typeEbEEZZNS1_14partition_implILS8_3ELb0ES6_jNS0_17counting_iteratorIjlEEPS9_SE_NS0_5tupleIJPjSE_EEENSF_IJSE_SE_EEES9_SG_JZNS1_25segmented_radix_sort_implINS0_14default_configELb0EPK6__halfPSL_PKlPlN2at6native12_GLOBAL__N_18offset_tEEE10hipError_tPvRmT1_PNSt15iterator_traitsISZ_E10value_typeET2_T3_PNS10_IS15_E10value_typeET4_jRbjT5_S1B_jjP12ihipStream_tbEUljE_EEESW_SX_SY_S15_S19_S1B_T6_T7_T9_mT8_S1D_bDpT10_ENKUlT_T0_E_clISt17integral_constantIbLb1EES1Q_EEDaS1L_S1M_EUlS1L_E_NS1_11comp_targetILNS1_3genE2ELNS1_11target_archE906ELNS1_3gpuE6ELNS1_3repE0EEENS1_30default_config_static_selectorELNS0_4arch9wavefront6targetE1EEEvSZ_,comdat
.Lfunc_end1822:
	.size	_ZN7rocprim17ROCPRIM_400000_NS6detail17trampoline_kernelINS0_13select_configILj256ELj13ELNS0_17block_load_methodE3ELS4_3ELS4_3ELNS0_20block_scan_algorithmE0ELj4294967295EEENS1_25partition_config_selectorILNS1_17partition_subalgoE3EjNS0_10empty_typeEbEEZZNS1_14partition_implILS8_3ELb0ES6_jNS0_17counting_iteratorIjlEEPS9_SE_NS0_5tupleIJPjSE_EEENSF_IJSE_SE_EEES9_SG_JZNS1_25segmented_radix_sort_implINS0_14default_configELb0EPK6__halfPSL_PKlPlN2at6native12_GLOBAL__N_18offset_tEEE10hipError_tPvRmT1_PNSt15iterator_traitsISZ_E10value_typeET2_T3_PNS10_IS15_E10value_typeET4_jRbjT5_S1B_jjP12ihipStream_tbEUljE_EEESW_SX_SY_S15_S19_S1B_T6_T7_T9_mT8_S1D_bDpT10_ENKUlT_T0_E_clISt17integral_constantIbLb1EES1Q_EEDaS1L_S1M_EUlS1L_E_NS1_11comp_targetILNS1_3genE2ELNS1_11target_archE906ELNS1_3gpuE6ELNS1_3repE0EEENS1_30default_config_static_selectorELNS0_4arch9wavefront6targetE1EEEvSZ_, .Lfunc_end1822-_ZN7rocprim17ROCPRIM_400000_NS6detail17trampoline_kernelINS0_13select_configILj256ELj13ELNS0_17block_load_methodE3ELS4_3ELS4_3ELNS0_20block_scan_algorithmE0ELj4294967295EEENS1_25partition_config_selectorILNS1_17partition_subalgoE3EjNS0_10empty_typeEbEEZZNS1_14partition_implILS8_3ELb0ES6_jNS0_17counting_iteratorIjlEEPS9_SE_NS0_5tupleIJPjSE_EEENSF_IJSE_SE_EEES9_SG_JZNS1_25segmented_radix_sort_implINS0_14default_configELb0EPK6__halfPSL_PKlPlN2at6native12_GLOBAL__N_18offset_tEEE10hipError_tPvRmT1_PNSt15iterator_traitsISZ_E10value_typeET2_T3_PNS10_IS15_E10value_typeET4_jRbjT5_S1B_jjP12ihipStream_tbEUljE_EEESW_SX_SY_S15_S19_S1B_T6_T7_T9_mT8_S1D_bDpT10_ENKUlT_T0_E_clISt17integral_constantIbLb1EES1Q_EEDaS1L_S1M_EUlS1L_E_NS1_11comp_targetILNS1_3genE2ELNS1_11target_archE906ELNS1_3gpuE6ELNS1_3repE0EEENS1_30default_config_static_selectorELNS0_4arch9wavefront6targetE1EEEvSZ_
                                        ; -- End function
	.set _ZN7rocprim17ROCPRIM_400000_NS6detail17trampoline_kernelINS0_13select_configILj256ELj13ELNS0_17block_load_methodE3ELS4_3ELS4_3ELNS0_20block_scan_algorithmE0ELj4294967295EEENS1_25partition_config_selectorILNS1_17partition_subalgoE3EjNS0_10empty_typeEbEEZZNS1_14partition_implILS8_3ELb0ES6_jNS0_17counting_iteratorIjlEEPS9_SE_NS0_5tupleIJPjSE_EEENSF_IJSE_SE_EEES9_SG_JZNS1_25segmented_radix_sort_implINS0_14default_configELb0EPK6__halfPSL_PKlPlN2at6native12_GLOBAL__N_18offset_tEEE10hipError_tPvRmT1_PNSt15iterator_traitsISZ_E10value_typeET2_T3_PNS10_IS15_E10value_typeET4_jRbjT5_S1B_jjP12ihipStream_tbEUljE_EEESW_SX_SY_S15_S19_S1B_T6_T7_T9_mT8_S1D_bDpT10_ENKUlT_T0_E_clISt17integral_constantIbLb1EES1Q_EEDaS1L_S1M_EUlS1L_E_NS1_11comp_targetILNS1_3genE2ELNS1_11target_archE906ELNS1_3gpuE6ELNS1_3repE0EEENS1_30default_config_static_selectorELNS0_4arch9wavefront6targetE1EEEvSZ_.num_vgpr, 0
	.set _ZN7rocprim17ROCPRIM_400000_NS6detail17trampoline_kernelINS0_13select_configILj256ELj13ELNS0_17block_load_methodE3ELS4_3ELS4_3ELNS0_20block_scan_algorithmE0ELj4294967295EEENS1_25partition_config_selectorILNS1_17partition_subalgoE3EjNS0_10empty_typeEbEEZZNS1_14partition_implILS8_3ELb0ES6_jNS0_17counting_iteratorIjlEEPS9_SE_NS0_5tupleIJPjSE_EEENSF_IJSE_SE_EEES9_SG_JZNS1_25segmented_radix_sort_implINS0_14default_configELb0EPK6__halfPSL_PKlPlN2at6native12_GLOBAL__N_18offset_tEEE10hipError_tPvRmT1_PNSt15iterator_traitsISZ_E10value_typeET2_T3_PNS10_IS15_E10value_typeET4_jRbjT5_S1B_jjP12ihipStream_tbEUljE_EEESW_SX_SY_S15_S19_S1B_T6_T7_T9_mT8_S1D_bDpT10_ENKUlT_T0_E_clISt17integral_constantIbLb1EES1Q_EEDaS1L_S1M_EUlS1L_E_NS1_11comp_targetILNS1_3genE2ELNS1_11target_archE906ELNS1_3gpuE6ELNS1_3repE0EEENS1_30default_config_static_selectorELNS0_4arch9wavefront6targetE1EEEvSZ_.num_agpr, 0
	.set _ZN7rocprim17ROCPRIM_400000_NS6detail17trampoline_kernelINS0_13select_configILj256ELj13ELNS0_17block_load_methodE3ELS4_3ELS4_3ELNS0_20block_scan_algorithmE0ELj4294967295EEENS1_25partition_config_selectorILNS1_17partition_subalgoE3EjNS0_10empty_typeEbEEZZNS1_14partition_implILS8_3ELb0ES6_jNS0_17counting_iteratorIjlEEPS9_SE_NS0_5tupleIJPjSE_EEENSF_IJSE_SE_EEES9_SG_JZNS1_25segmented_radix_sort_implINS0_14default_configELb0EPK6__halfPSL_PKlPlN2at6native12_GLOBAL__N_18offset_tEEE10hipError_tPvRmT1_PNSt15iterator_traitsISZ_E10value_typeET2_T3_PNS10_IS15_E10value_typeET4_jRbjT5_S1B_jjP12ihipStream_tbEUljE_EEESW_SX_SY_S15_S19_S1B_T6_T7_T9_mT8_S1D_bDpT10_ENKUlT_T0_E_clISt17integral_constantIbLb1EES1Q_EEDaS1L_S1M_EUlS1L_E_NS1_11comp_targetILNS1_3genE2ELNS1_11target_archE906ELNS1_3gpuE6ELNS1_3repE0EEENS1_30default_config_static_selectorELNS0_4arch9wavefront6targetE1EEEvSZ_.numbered_sgpr, 0
	.set _ZN7rocprim17ROCPRIM_400000_NS6detail17trampoline_kernelINS0_13select_configILj256ELj13ELNS0_17block_load_methodE3ELS4_3ELS4_3ELNS0_20block_scan_algorithmE0ELj4294967295EEENS1_25partition_config_selectorILNS1_17partition_subalgoE3EjNS0_10empty_typeEbEEZZNS1_14partition_implILS8_3ELb0ES6_jNS0_17counting_iteratorIjlEEPS9_SE_NS0_5tupleIJPjSE_EEENSF_IJSE_SE_EEES9_SG_JZNS1_25segmented_radix_sort_implINS0_14default_configELb0EPK6__halfPSL_PKlPlN2at6native12_GLOBAL__N_18offset_tEEE10hipError_tPvRmT1_PNSt15iterator_traitsISZ_E10value_typeET2_T3_PNS10_IS15_E10value_typeET4_jRbjT5_S1B_jjP12ihipStream_tbEUljE_EEESW_SX_SY_S15_S19_S1B_T6_T7_T9_mT8_S1D_bDpT10_ENKUlT_T0_E_clISt17integral_constantIbLb1EES1Q_EEDaS1L_S1M_EUlS1L_E_NS1_11comp_targetILNS1_3genE2ELNS1_11target_archE906ELNS1_3gpuE6ELNS1_3repE0EEENS1_30default_config_static_selectorELNS0_4arch9wavefront6targetE1EEEvSZ_.num_named_barrier, 0
	.set _ZN7rocprim17ROCPRIM_400000_NS6detail17trampoline_kernelINS0_13select_configILj256ELj13ELNS0_17block_load_methodE3ELS4_3ELS4_3ELNS0_20block_scan_algorithmE0ELj4294967295EEENS1_25partition_config_selectorILNS1_17partition_subalgoE3EjNS0_10empty_typeEbEEZZNS1_14partition_implILS8_3ELb0ES6_jNS0_17counting_iteratorIjlEEPS9_SE_NS0_5tupleIJPjSE_EEENSF_IJSE_SE_EEES9_SG_JZNS1_25segmented_radix_sort_implINS0_14default_configELb0EPK6__halfPSL_PKlPlN2at6native12_GLOBAL__N_18offset_tEEE10hipError_tPvRmT1_PNSt15iterator_traitsISZ_E10value_typeET2_T3_PNS10_IS15_E10value_typeET4_jRbjT5_S1B_jjP12ihipStream_tbEUljE_EEESW_SX_SY_S15_S19_S1B_T6_T7_T9_mT8_S1D_bDpT10_ENKUlT_T0_E_clISt17integral_constantIbLb1EES1Q_EEDaS1L_S1M_EUlS1L_E_NS1_11comp_targetILNS1_3genE2ELNS1_11target_archE906ELNS1_3gpuE6ELNS1_3repE0EEENS1_30default_config_static_selectorELNS0_4arch9wavefront6targetE1EEEvSZ_.private_seg_size, 0
	.set _ZN7rocprim17ROCPRIM_400000_NS6detail17trampoline_kernelINS0_13select_configILj256ELj13ELNS0_17block_load_methodE3ELS4_3ELS4_3ELNS0_20block_scan_algorithmE0ELj4294967295EEENS1_25partition_config_selectorILNS1_17partition_subalgoE3EjNS0_10empty_typeEbEEZZNS1_14partition_implILS8_3ELb0ES6_jNS0_17counting_iteratorIjlEEPS9_SE_NS0_5tupleIJPjSE_EEENSF_IJSE_SE_EEES9_SG_JZNS1_25segmented_radix_sort_implINS0_14default_configELb0EPK6__halfPSL_PKlPlN2at6native12_GLOBAL__N_18offset_tEEE10hipError_tPvRmT1_PNSt15iterator_traitsISZ_E10value_typeET2_T3_PNS10_IS15_E10value_typeET4_jRbjT5_S1B_jjP12ihipStream_tbEUljE_EEESW_SX_SY_S15_S19_S1B_T6_T7_T9_mT8_S1D_bDpT10_ENKUlT_T0_E_clISt17integral_constantIbLb1EES1Q_EEDaS1L_S1M_EUlS1L_E_NS1_11comp_targetILNS1_3genE2ELNS1_11target_archE906ELNS1_3gpuE6ELNS1_3repE0EEENS1_30default_config_static_selectorELNS0_4arch9wavefront6targetE1EEEvSZ_.uses_vcc, 0
	.set _ZN7rocprim17ROCPRIM_400000_NS6detail17trampoline_kernelINS0_13select_configILj256ELj13ELNS0_17block_load_methodE3ELS4_3ELS4_3ELNS0_20block_scan_algorithmE0ELj4294967295EEENS1_25partition_config_selectorILNS1_17partition_subalgoE3EjNS0_10empty_typeEbEEZZNS1_14partition_implILS8_3ELb0ES6_jNS0_17counting_iteratorIjlEEPS9_SE_NS0_5tupleIJPjSE_EEENSF_IJSE_SE_EEES9_SG_JZNS1_25segmented_radix_sort_implINS0_14default_configELb0EPK6__halfPSL_PKlPlN2at6native12_GLOBAL__N_18offset_tEEE10hipError_tPvRmT1_PNSt15iterator_traitsISZ_E10value_typeET2_T3_PNS10_IS15_E10value_typeET4_jRbjT5_S1B_jjP12ihipStream_tbEUljE_EEESW_SX_SY_S15_S19_S1B_T6_T7_T9_mT8_S1D_bDpT10_ENKUlT_T0_E_clISt17integral_constantIbLb1EES1Q_EEDaS1L_S1M_EUlS1L_E_NS1_11comp_targetILNS1_3genE2ELNS1_11target_archE906ELNS1_3gpuE6ELNS1_3repE0EEENS1_30default_config_static_selectorELNS0_4arch9wavefront6targetE1EEEvSZ_.uses_flat_scratch, 0
	.set _ZN7rocprim17ROCPRIM_400000_NS6detail17trampoline_kernelINS0_13select_configILj256ELj13ELNS0_17block_load_methodE3ELS4_3ELS4_3ELNS0_20block_scan_algorithmE0ELj4294967295EEENS1_25partition_config_selectorILNS1_17partition_subalgoE3EjNS0_10empty_typeEbEEZZNS1_14partition_implILS8_3ELb0ES6_jNS0_17counting_iteratorIjlEEPS9_SE_NS0_5tupleIJPjSE_EEENSF_IJSE_SE_EEES9_SG_JZNS1_25segmented_radix_sort_implINS0_14default_configELb0EPK6__halfPSL_PKlPlN2at6native12_GLOBAL__N_18offset_tEEE10hipError_tPvRmT1_PNSt15iterator_traitsISZ_E10value_typeET2_T3_PNS10_IS15_E10value_typeET4_jRbjT5_S1B_jjP12ihipStream_tbEUljE_EEESW_SX_SY_S15_S19_S1B_T6_T7_T9_mT8_S1D_bDpT10_ENKUlT_T0_E_clISt17integral_constantIbLb1EES1Q_EEDaS1L_S1M_EUlS1L_E_NS1_11comp_targetILNS1_3genE2ELNS1_11target_archE906ELNS1_3gpuE6ELNS1_3repE0EEENS1_30default_config_static_selectorELNS0_4arch9wavefront6targetE1EEEvSZ_.has_dyn_sized_stack, 0
	.set _ZN7rocprim17ROCPRIM_400000_NS6detail17trampoline_kernelINS0_13select_configILj256ELj13ELNS0_17block_load_methodE3ELS4_3ELS4_3ELNS0_20block_scan_algorithmE0ELj4294967295EEENS1_25partition_config_selectorILNS1_17partition_subalgoE3EjNS0_10empty_typeEbEEZZNS1_14partition_implILS8_3ELb0ES6_jNS0_17counting_iteratorIjlEEPS9_SE_NS0_5tupleIJPjSE_EEENSF_IJSE_SE_EEES9_SG_JZNS1_25segmented_radix_sort_implINS0_14default_configELb0EPK6__halfPSL_PKlPlN2at6native12_GLOBAL__N_18offset_tEEE10hipError_tPvRmT1_PNSt15iterator_traitsISZ_E10value_typeET2_T3_PNS10_IS15_E10value_typeET4_jRbjT5_S1B_jjP12ihipStream_tbEUljE_EEESW_SX_SY_S15_S19_S1B_T6_T7_T9_mT8_S1D_bDpT10_ENKUlT_T0_E_clISt17integral_constantIbLb1EES1Q_EEDaS1L_S1M_EUlS1L_E_NS1_11comp_targetILNS1_3genE2ELNS1_11target_archE906ELNS1_3gpuE6ELNS1_3repE0EEENS1_30default_config_static_selectorELNS0_4arch9wavefront6targetE1EEEvSZ_.has_recursion, 0
	.set _ZN7rocprim17ROCPRIM_400000_NS6detail17trampoline_kernelINS0_13select_configILj256ELj13ELNS0_17block_load_methodE3ELS4_3ELS4_3ELNS0_20block_scan_algorithmE0ELj4294967295EEENS1_25partition_config_selectorILNS1_17partition_subalgoE3EjNS0_10empty_typeEbEEZZNS1_14partition_implILS8_3ELb0ES6_jNS0_17counting_iteratorIjlEEPS9_SE_NS0_5tupleIJPjSE_EEENSF_IJSE_SE_EEES9_SG_JZNS1_25segmented_radix_sort_implINS0_14default_configELb0EPK6__halfPSL_PKlPlN2at6native12_GLOBAL__N_18offset_tEEE10hipError_tPvRmT1_PNSt15iterator_traitsISZ_E10value_typeET2_T3_PNS10_IS15_E10value_typeET4_jRbjT5_S1B_jjP12ihipStream_tbEUljE_EEESW_SX_SY_S15_S19_S1B_T6_T7_T9_mT8_S1D_bDpT10_ENKUlT_T0_E_clISt17integral_constantIbLb1EES1Q_EEDaS1L_S1M_EUlS1L_E_NS1_11comp_targetILNS1_3genE2ELNS1_11target_archE906ELNS1_3gpuE6ELNS1_3repE0EEENS1_30default_config_static_selectorELNS0_4arch9wavefront6targetE1EEEvSZ_.has_indirect_call, 0
	.section	.AMDGPU.csdata,"",@progbits
; Kernel info:
; codeLenInByte = 4
; TotalNumSgprs: 4
; NumVgprs: 0
; ScratchSize: 0
; MemoryBound: 0
; FloatMode: 240
; IeeeMode: 1
; LDSByteSize: 0 bytes/workgroup (compile time only)
; SGPRBlocks: 0
; VGPRBlocks: 0
; NumSGPRsForWavesPerEU: 4
; NumVGPRsForWavesPerEU: 1
; Occupancy: 10
; WaveLimiterHint : 0
; COMPUTE_PGM_RSRC2:SCRATCH_EN: 0
; COMPUTE_PGM_RSRC2:USER_SGPR: 6
; COMPUTE_PGM_RSRC2:TRAP_HANDLER: 0
; COMPUTE_PGM_RSRC2:TGID_X_EN: 1
; COMPUTE_PGM_RSRC2:TGID_Y_EN: 0
; COMPUTE_PGM_RSRC2:TGID_Z_EN: 0
; COMPUTE_PGM_RSRC2:TIDIG_COMP_CNT: 0
	.section	.text._ZN7rocprim17ROCPRIM_400000_NS6detail17trampoline_kernelINS0_13select_configILj256ELj13ELNS0_17block_load_methodE3ELS4_3ELS4_3ELNS0_20block_scan_algorithmE0ELj4294967295EEENS1_25partition_config_selectorILNS1_17partition_subalgoE3EjNS0_10empty_typeEbEEZZNS1_14partition_implILS8_3ELb0ES6_jNS0_17counting_iteratorIjlEEPS9_SE_NS0_5tupleIJPjSE_EEENSF_IJSE_SE_EEES9_SG_JZNS1_25segmented_radix_sort_implINS0_14default_configELb0EPK6__halfPSL_PKlPlN2at6native12_GLOBAL__N_18offset_tEEE10hipError_tPvRmT1_PNSt15iterator_traitsISZ_E10value_typeET2_T3_PNS10_IS15_E10value_typeET4_jRbjT5_S1B_jjP12ihipStream_tbEUljE_EEESW_SX_SY_S15_S19_S1B_T6_T7_T9_mT8_S1D_bDpT10_ENKUlT_T0_E_clISt17integral_constantIbLb1EES1Q_EEDaS1L_S1M_EUlS1L_E_NS1_11comp_targetILNS1_3genE10ELNS1_11target_archE1200ELNS1_3gpuE4ELNS1_3repE0EEENS1_30default_config_static_selectorELNS0_4arch9wavefront6targetE1EEEvSZ_,"axG",@progbits,_ZN7rocprim17ROCPRIM_400000_NS6detail17trampoline_kernelINS0_13select_configILj256ELj13ELNS0_17block_load_methodE3ELS4_3ELS4_3ELNS0_20block_scan_algorithmE0ELj4294967295EEENS1_25partition_config_selectorILNS1_17partition_subalgoE3EjNS0_10empty_typeEbEEZZNS1_14partition_implILS8_3ELb0ES6_jNS0_17counting_iteratorIjlEEPS9_SE_NS0_5tupleIJPjSE_EEENSF_IJSE_SE_EEES9_SG_JZNS1_25segmented_radix_sort_implINS0_14default_configELb0EPK6__halfPSL_PKlPlN2at6native12_GLOBAL__N_18offset_tEEE10hipError_tPvRmT1_PNSt15iterator_traitsISZ_E10value_typeET2_T3_PNS10_IS15_E10value_typeET4_jRbjT5_S1B_jjP12ihipStream_tbEUljE_EEESW_SX_SY_S15_S19_S1B_T6_T7_T9_mT8_S1D_bDpT10_ENKUlT_T0_E_clISt17integral_constantIbLb1EES1Q_EEDaS1L_S1M_EUlS1L_E_NS1_11comp_targetILNS1_3genE10ELNS1_11target_archE1200ELNS1_3gpuE4ELNS1_3repE0EEENS1_30default_config_static_selectorELNS0_4arch9wavefront6targetE1EEEvSZ_,comdat
	.globl	_ZN7rocprim17ROCPRIM_400000_NS6detail17trampoline_kernelINS0_13select_configILj256ELj13ELNS0_17block_load_methodE3ELS4_3ELS4_3ELNS0_20block_scan_algorithmE0ELj4294967295EEENS1_25partition_config_selectorILNS1_17partition_subalgoE3EjNS0_10empty_typeEbEEZZNS1_14partition_implILS8_3ELb0ES6_jNS0_17counting_iteratorIjlEEPS9_SE_NS0_5tupleIJPjSE_EEENSF_IJSE_SE_EEES9_SG_JZNS1_25segmented_radix_sort_implINS0_14default_configELb0EPK6__halfPSL_PKlPlN2at6native12_GLOBAL__N_18offset_tEEE10hipError_tPvRmT1_PNSt15iterator_traitsISZ_E10value_typeET2_T3_PNS10_IS15_E10value_typeET4_jRbjT5_S1B_jjP12ihipStream_tbEUljE_EEESW_SX_SY_S15_S19_S1B_T6_T7_T9_mT8_S1D_bDpT10_ENKUlT_T0_E_clISt17integral_constantIbLb1EES1Q_EEDaS1L_S1M_EUlS1L_E_NS1_11comp_targetILNS1_3genE10ELNS1_11target_archE1200ELNS1_3gpuE4ELNS1_3repE0EEENS1_30default_config_static_selectorELNS0_4arch9wavefront6targetE1EEEvSZ_ ; -- Begin function _ZN7rocprim17ROCPRIM_400000_NS6detail17trampoline_kernelINS0_13select_configILj256ELj13ELNS0_17block_load_methodE3ELS4_3ELS4_3ELNS0_20block_scan_algorithmE0ELj4294967295EEENS1_25partition_config_selectorILNS1_17partition_subalgoE3EjNS0_10empty_typeEbEEZZNS1_14partition_implILS8_3ELb0ES6_jNS0_17counting_iteratorIjlEEPS9_SE_NS0_5tupleIJPjSE_EEENSF_IJSE_SE_EEES9_SG_JZNS1_25segmented_radix_sort_implINS0_14default_configELb0EPK6__halfPSL_PKlPlN2at6native12_GLOBAL__N_18offset_tEEE10hipError_tPvRmT1_PNSt15iterator_traitsISZ_E10value_typeET2_T3_PNS10_IS15_E10value_typeET4_jRbjT5_S1B_jjP12ihipStream_tbEUljE_EEESW_SX_SY_S15_S19_S1B_T6_T7_T9_mT8_S1D_bDpT10_ENKUlT_T0_E_clISt17integral_constantIbLb1EES1Q_EEDaS1L_S1M_EUlS1L_E_NS1_11comp_targetILNS1_3genE10ELNS1_11target_archE1200ELNS1_3gpuE4ELNS1_3repE0EEENS1_30default_config_static_selectorELNS0_4arch9wavefront6targetE1EEEvSZ_
	.p2align	8
	.type	_ZN7rocprim17ROCPRIM_400000_NS6detail17trampoline_kernelINS0_13select_configILj256ELj13ELNS0_17block_load_methodE3ELS4_3ELS4_3ELNS0_20block_scan_algorithmE0ELj4294967295EEENS1_25partition_config_selectorILNS1_17partition_subalgoE3EjNS0_10empty_typeEbEEZZNS1_14partition_implILS8_3ELb0ES6_jNS0_17counting_iteratorIjlEEPS9_SE_NS0_5tupleIJPjSE_EEENSF_IJSE_SE_EEES9_SG_JZNS1_25segmented_radix_sort_implINS0_14default_configELb0EPK6__halfPSL_PKlPlN2at6native12_GLOBAL__N_18offset_tEEE10hipError_tPvRmT1_PNSt15iterator_traitsISZ_E10value_typeET2_T3_PNS10_IS15_E10value_typeET4_jRbjT5_S1B_jjP12ihipStream_tbEUljE_EEESW_SX_SY_S15_S19_S1B_T6_T7_T9_mT8_S1D_bDpT10_ENKUlT_T0_E_clISt17integral_constantIbLb1EES1Q_EEDaS1L_S1M_EUlS1L_E_NS1_11comp_targetILNS1_3genE10ELNS1_11target_archE1200ELNS1_3gpuE4ELNS1_3repE0EEENS1_30default_config_static_selectorELNS0_4arch9wavefront6targetE1EEEvSZ_,@function
_ZN7rocprim17ROCPRIM_400000_NS6detail17trampoline_kernelINS0_13select_configILj256ELj13ELNS0_17block_load_methodE3ELS4_3ELS4_3ELNS0_20block_scan_algorithmE0ELj4294967295EEENS1_25partition_config_selectorILNS1_17partition_subalgoE3EjNS0_10empty_typeEbEEZZNS1_14partition_implILS8_3ELb0ES6_jNS0_17counting_iteratorIjlEEPS9_SE_NS0_5tupleIJPjSE_EEENSF_IJSE_SE_EEES9_SG_JZNS1_25segmented_radix_sort_implINS0_14default_configELb0EPK6__halfPSL_PKlPlN2at6native12_GLOBAL__N_18offset_tEEE10hipError_tPvRmT1_PNSt15iterator_traitsISZ_E10value_typeET2_T3_PNS10_IS15_E10value_typeET4_jRbjT5_S1B_jjP12ihipStream_tbEUljE_EEESW_SX_SY_S15_S19_S1B_T6_T7_T9_mT8_S1D_bDpT10_ENKUlT_T0_E_clISt17integral_constantIbLb1EES1Q_EEDaS1L_S1M_EUlS1L_E_NS1_11comp_targetILNS1_3genE10ELNS1_11target_archE1200ELNS1_3gpuE4ELNS1_3repE0EEENS1_30default_config_static_selectorELNS0_4arch9wavefront6targetE1EEEvSZ_: ; @_ZN7rocprim17ROCPRIM_400000_NS6detail17trampoline_kernelINS0_13select_configILj256ELj13ELNS0_17block_load_methodE3ELS4_3ELS4_3ELNS0_20block_scan_algorithmE0ELj4294967295EEENS1_25partition_config_selectorILNS1_17partition_subalgoE3EjNS0_10empty_typeEbEEZZNS1_14partition_implILS8_3ELb0ES6_jNS0_17counting_iteratorIjlEEPS9_SE_NS0_5tupleIJPjSE_EEENSF_IJSE_SE_EEES9_SG_JZNS1_25segmented_radix_sort_implINS0_14default_configELb0EPK6__halfPSL_PKlPlN2at6native12_GLOBAL__N_18offset_tEEE10hipError_tPvRmT1_PNSt15iterator_traitsISZ_E10value_typeET2_T3_PNS10_IS15_E10value_typeET4_jRbjT5_S1B_jjP12ihipStream_tbEUljE_EEESW_SX_SY_S15_S19_S1B_T6_T7_T9_mT8_S1D_bDpT10_ENKUlT_T0_E_clISt17integral_constantIbLb1EES1Q_EEDaS1L_S1M_EUlS1L_E_NS1_11comp_targetILNS1_3genE10ELNS1_11target_archE1200ELNS1_3gpuE4ELNS1_3repE0EEENS1_30default_config_static_selectorELNS0_4arch9wavefront6targetE1EEEvSZ_
; %bb.0:
	.section	.rodata,"a",@progbits
	.p2align	6, 0x0
	.amdhsa_kernel _ZN7rocprim17ROCPRIM_400000_NS6detail17trampoline_kernelINS0_13select_configILj256ELj13ELNS0_17block_load_methodE3ELS4_3ELS4_3ELNS0_20block_scan_algorithmE0ELj4294967295EEENS1_25partition_config_selectorILNS1_17partition_subalgoE3EjNS0_10empty_typeEbEEZZNS1_14partition_implILS8_3ELb0ES6_jNS0_17counting_iteratorIjlEEPS9_SE_NS0_5tupleIJPjSE_EEENSF_IJSE_SE_EEES9_SG_JZNS1_25segmented_radix_sort_implINS0_14default_configELb0EPK6__halfPSL_PKlPlN2at6native12_GLOBAL__N_18offset_tEEE10hipError_tPvRmT1_PNSt15iterator_traitsISZ_E10value_typeET2_T3_PNS10_IS15_E10value_typeET4_jRbjT5_S1B_jjP12ihipStream_tbEUljE_EEESW_SX_SY_S15_S19_S1B_T6_T7_T9_mT8_S1D_bDpT10_ENKUlT_T0_E_clISt17integral_constantIbLb1EES1Q_EEDaS1L_S1M_EUlS1L_E_NS1_11comp_targetILNS1_3genE10ELNS1_11target_archE1200ELNS1_3gpuE4ELNS1_3repE0EEENS1_30default_config_static_selectorELNS0_4arch9wavefront6targetE1EEEvSZ_
		.amdhsa_group_segment_fixed_size 0
		.amdhsa_private_segment_fixed_size 0
		.amdhsa_kernarg_size 152
		.amdhsa_user_sgpr_count 6
		.amdhsa_user_sgpr_private_segment_buffer 1
		.amdhsa_user_sgpr_dispatch_ptr 0
		.amdhsa_user_sgpr_queue_ptr 0
		.amdhsa_user_sgpr_kernarg_segment_ptr 1
		.amdhsa_user_sgpr_dispatch_id 0
		.amdhsa_user_sgpr_flat_scratch_init 0
		.amdhsa_user_sgpr_private_segment_size 0
		.amdhsa_uses_dynamic_stack 0
		.amdhsa_system_sgpr_private_segment_wavefront_offset 0
		.amdhsa_system_sgpr_workgroup_id_x 1
		.amdhsa_system_sgpr_workgroup_id_y 0
		.amdhsa_system_sgpr_workgroup_id_z 0
		.amdhsa_system_sgpr_workgroup_info 0
		.amdhsa_system_vgpr_workitem_id 0
		.amdhsa_next_free_vgpr 1
		.amdhsa_next_free_sgpr 0
		.amdhsa_reserve_vcc 0
		.amdhsa_reserve_flat_scratch 0
		.amdhsa_float_round_mode_32 0
		.amdhsa_float_round_mode_16_64 0
		.amdhsa_float_denorm_mode_32 3
		.amdhsa_float_denorm_mode_16_64 3
		.amdhsa_dx10_clamp 1
		.amdhsa_ieee_mode 1
		.amdhsa_fp16_overflow 0
		.amdhsa_exception_fp_ieee_invalid_op 0
		.amdhsa_exception_fp_denorm_src 0
		.amdhsa_exception_fp_ieee_div_zero 0
		.amdhsa_exception_fp_ieee_overflow 0
		.amdhsa_exception_fp_ieee_underflow 0
		.amdhsa_exception_fp_ieee_inexact 0
		.amdhsa_exception_int_div_zero 0
	.end_amdhsa_kernel
	.section	.text._ZN7rocprim17ROCPRIM_400000_NS6detail17trampoline_kernelINS0_13select_configILj256ELj13ELNS0_17block_load_methodE3ELS4_3ELS4_3ELNS0_20block_scan_algorithmE0ELj4294967295EEENS1_25partition_config_selectorILNS1_17partition_subalgoE3EjNS0_10empty_typeEbEEZZNS1_14partition_implILS8_3ELb0ES6_jNS0_17counting_iteratorIjlEEPS9_SE_NS0_5tupleIJPjSE_EEENSF_IJSE_SE_EEES9_SG_JZNS1_25segmented_radix_sort_implINS0_14default_configELb0EPK6__halfPSL_PKlPlN2at6native12_GLOBAL__N_18offset_tEEE10hipError_tPvRmT1_PNSt15iterator_traitsISZ_E10value_typeET2_T3_PNS10_IS15_E10value_typeET4_jRbjT5_S1B_jjP12ihipStream_tbEUljE_EEESW_SX_SY_S15_S19_S1B_T6_T7_T9_mT8_S1D_bDpT10_ENKUlT_T0_E_clISt17integral_constantIbLb1EES1Q_EEDaS1L_S1M_EUlS1L_E_NS1_11comp_targetILNS1_3genE10ELNS1_11target_archE1200ELNS1_3gpuE4ELNS1_3repE0EEENS1_30default_config_static_selectorELNS0_4arch9wavefront6targetE1EEEvSZ_,"axG",@progbits,_ZN7rocprim17ROCPRIM_400000_NS6detail17trampoline_kernelINS0_13select_configILj256ELj13ELNS0_17block_load_methodE3ELS4_3ELS4_3ELNS0_20block_scan_algorithmE0ELj4294967295EEENS1_25partition_config_selectorILNS1_17partition_subalgoE3EjNS0_10empty_typeEbEEZZNS1_14partition_implILS8_3ELb0ES6_jNS0_17counting_iteratorIjlEEPS9_SE_NS0_5tupleIJPjSE_EEENSF_IJSE_SE_EEES9_SG_JZNS1_25segmented_radix_sort_implINS0_14default_configELb0EPK6__halfPSL_PKlPlN2at6native12_GLOBAL__N_18offset_tEEE10hipError_tPvRmT1_PNSt15iterator_traitsISZ_E10value_typeET2_T3_PNS10_IS15_E10value_typeET4_jRbjT5_S1B_jjP12ihipStream_tbEUljE_EEESW_SX_SY_S15_S19_S1B_T6_T7_T9_mT8_S1D_bDpT10_ENKUlT_T0_E_clISt17integral_constantIbLb1EES1Q_EEDaS1L_S1M_EUlS1L_E_NS1_11comp_targetILNS1_3genE10ELNS1_11target_archE1200ELNS1_3gpuE4ELNS1_3repE0EEENS1_30default_config_static_selectorELNS0_4arch9wavefront6targetE1EEEvSZ_,comdat
.Lfunc_end1823:
	.size	_ZN7rocprim17ROCPRIM_400000_NS6detail17trampoline_kernelINS0_13select_configILj256ELj13ELNS0_17block_load_methodE3ELS4_3ELS4_3ELNS0_20block_scan_algorithmE0ELj4294967295EEENS1_25partition_config_selectorILNS1_17partition_subalgoE3EjNS0_10empty_typeEbEEZZNS1_14partition_implILS8_3ELb0ES6_jNS0_17counting_iteratorIjlEEPS9_SE_NS0_5tupleIJPjSE_EEENSF_IJSE_SE_EEES9_SG_JZNS1_25segmented_radix_sort_implINS0_14default_configELb0EPK6__halfPSL_PKlPlN2at6native12_GLOBAL__N_18offset_tEEE10hipError_tPvRmT1_PNSt15iterator_traitsISZ_E10value_typeET2_T3_PNS10_IS15_E10value_typeET4_jRbjT5_S1B_jjP12ihipStream_tbEUljE_EEESW_SX_SY_S15_S19_S1B_T6_T7_T9_mT8_S1D_bDpT10_ENKUlT_T0_E_clISt17integral_constantIbLb1EES1Q_EEDaS1L_S1M_EUlS1L_E_NS1_11comp_targetILNS1_3genE10ELNS1_11target_archE1200ELNS1_3gpuE4ELNS1_3repE0EEENS1_30default_config_static_selectorELNS0_4arch9wavefront6targetE1EEEvSZ_, .Lfunc_end1823-_ZN7rocprim17ROCPRIM_400000_NS6detail17trampoline_kernelINS0_13select_configILj256ELj13ELNS0_17block_load_methodE3ELS4_3ELS4_3ELNS0_20block_scan_algorithmE0ELj4294967295EEENS1_25partition_config_selectorILNS1_17partition_subalgoE3EjNS0_10empty_typeEbEEZZNS1_14partition_implILS8_3ELb0ES6_jNS0_17counting_iteratorIjlEEPS9_SE_NS0_5tupleIJPjSE_EEENSF_IJSE_SE_EEES9_SG_JZNS1_25segmented_radix_sort_implINS0_14default_configELb0EPK6__halfPSL_PKlPlN2at6native12_GLOBAL__N_18offset_tEEE10hipError_tPvRmT1_PNSt15iterator_traitsISZ_E10value_typeET2_T3_PNS10_IS15_E10value_typeET4_jRbjT5_S1B_jjP12ihipStream_tbEUljE_EEESW_SX_SY_S15_S19_S1B_T6_T7_T9_mT8_S1D_bDpT10_ENKUlT_T0_E_clISt17integral_constantIbLb1EES1Q_EEDaS1L_S1M_EUlS1L_E_NS1_11comp_targetILNS1_3genE10ELNS1_11target_archE1200ELNS1_3gpuE4ELNS1_3repE0EEENS1_30default_config_static_selectorELNS0_4arch9wavefront6targetE1EEEvSZ_
                                        ; -- End function
	.set _ZN7rocprim17ROCPRIM_400000_NS6detail17trampoline_kernelINS0_13select_configILj256ELj13ELNS0_17block_load_methodE3ELS4_3ELS4_3ELNS0_20block_scan_algorithmE0ELj4294967295EEENS1_25partition_config_selectorILNS1_17partition_subalgoE3EjNS0_10empty_typeEbEEZZNS1_14partition_implILS8_3ELb0ES6_jNS0_17counting_iteratorIjlEEPS9_SE_NS0_5tupleIJPjSE_EEENSF_IJSE_SE_EEES9_SG_JZNS1_25segmented_radix_sort_implINS0_14default_configELb0EPK6__halfPSL_PKlPlN2at6native12_GLOBAL__N_18offset_tEEE10hipError_tPvRmT1_PNSt15iterator_traitsISZ_E10value_typeET2_T3_PNS10_IS15_E10value_typeET4_jRbjT5_S1B_jjP12ihipStream_tbEUljE_EEESW_SX_SY_S15_S19_S1B_T6_T7_T9_mT8_S1D_bDpT10_ENKUlT_T0_E_clISt17integral_constantIbLb1EES1Q_EEDaS1L_S1M_EUlS1L_E_NS1_11comp_targetILNS1_3genE10ELNS1_11target_archE1200ELNS1_3gpuE4ELNS1_3repE0EEENS1_30default_config_static_selectorELNS0_4arch9wavefront6targetE1EEEvSZ_.num_vgpr, 0
	.set _ZN7rocprim17ROCPRIM_400000_NS6detail17trampoline_kernelINS0_13select_configILj256ELj13ELNS0_17block_load_methodE3ELS4_3ELS4_3ELNS0_20block_scan_algorithmE0ELj4294967295EEENS1_25partition_config_selectorILNS1_17partition_subalgoE3EjNS0_10empty_typeEbEEZZNS1_14partition_implILS8_3ELb0ES6_jNS0_17counting_iteratorIjlEEPS9_SE_NS0_5tupleIJPjSE_EEENSF_IJSE_SE_EEES9_SG_JZNS1_25segmented_radix_sort_implINS0_14default_configELb0EPK6__halfPSL_PKlPlN2at6native12_GLOBAL__N_18offset_tEEE10hipError_tPvRmT1_PNSt15iterator_traitsISZ_E10value_typeET2_T3_PNS10_IS15_E10value_typeET4_jRbjT5_S1B_jjP12ihipStream_tbEUljE_EEESW_SX_SY_S15_S19_S1B_T6_T7_T9_mT8_S1D_bDpT10_ENKUlT_T0_E_clISt17integral_constantIbLb1EES1Q_EEDaS1L_S1M_EUlS1L_E_NS1_11comp_targetILNS1_3genE10ELNS1_11target_archE1200ELNS1_3gpuE4ELNS1_3repE0EEENS1_30default_config_static_selectorELNS0_4arch9wavefront6targetE1EEEvSZ_.num_agpr, 0
	.set _ZN7rocprim17ROCPRIM_400000_NS6detail17trampoline_kernelINS0_13select_configILj256ELj13ELNS0_17block_load_methodE3ELS4_3ELS4_3ELNS0_20block_scan_algorithmE0ELj4294967295EEENS1_25partition_config_selectorILNS1_17partition_subalgoE3EjNS0_10empty_typeEbEEZZNS1_14partition_implILS8_3ELb0ES6_jNS0_17counting_iteratorIjlEEPS9_SE_NS0_5tupleIJPjSE_EEENSF_IJSE_SE_EEES9_SG_JZNS1_25segmented_radix_sort_implINS0_14default_configELb0EPK6__halfPSL_PKlPlN2at6native12_GLOBAL__N_18offset_tEEE10hipError_tPvRmT1_PNSt15iterator_traitsISZ_E10value_typeET2_T3_PNS10_IS15_E10value_typeET4_jRbjT5_S1B_jjP12ihipStream_tbEUljE_EEESW_SX_SY_S15_S19_S1B_T6_T7_T9_mT8_S1D_bDpT10_ENKUlT_T0_E_clISt17integral_constantIbLb1EES1Q_EEDaS1L_S1M_EUlS1L_E_NS1_11comp_targetILNS1_3genE10ELNS1_11target_archE1200ELNS1_3gpuE4ELNS1_3repE0EEENS1_30default_config_static_selectorELNS0_4arch9wavefront6targetE1EEEvSZ_.numbered_sgpr, 0
	.set _ZN7rocprim17ROCPRIM_400000_NS6detail17trampoline_kernelINS0_13select_configILj256ELj13ELNS0_17block_load_methodE3ELS4_3ELS4_3ELNS0_20block_scan_algorithmE0ELj4294967295EEENS1_25partition_config_selectorILNS1_17partition_subalgoE3EjNS0_10empty_typeEbEEZZNS1_14partition_implILS8_3ELb0ES6_jNS0_17counting_iteratorIjlEEPS9_SE_NS0_5tupleIJPjSE_EEENSF_IJSE_SE_EEES9_SG_JZNS1_25segmented_radix_sort_implINS0_14default_configELb0EPK6__halfPSL_PKlPlN2at6native12_GLOBAL__N_18offset_tEEE10hipError_tPvRmT1_PNSt15iterator_traitsISZ_E10value_typeET2_T3_PNS10_IS15_E10value_typeET4_jRbjT5_S1B_jjP12ihipStream_tbEUljE_EEESW_SX_SY_S15_S19_S1B_T6_T7_T9_mT8_S1D_bDpT10_ENKUlT_T0_E_clISt17integral_constantIbLb1EES1Q_EEDaS1L_S1M_EUlS1L_E_NS1_11comp_targetILNS1_3genE10ELNS1_11target_archE1200ELNS1_3gpuE4ELNS1_3repE0EEENS1_30default_config_static_selectorELNS0_4arch9wavefront6targetE1EEEvSZ_.num_named_barrier, 0
	.set _ZN7rocprim17ROCPRIM_400000_NS6detail17trampoline_kernelINS0_13select_configILj256ELj13ELNS0_17block_load_methodE3ELS4_3ELS4_3ELNS0_20block_scan_algorithmE0ELj4294967295EEENS1_25partition_config_selectorILNS1_17partition_subalgoE3EjNS0_10empty_typeEbEEZZNS1_14partition_implILS8_3ELb0ES6_jNS0_17counting_iteratorIjlEEPS9_SE_NS0_5tupleIJPjSE_EEENSF_IJSE_SE_EEES9_SG_JZNS1_25segmented_radix_sort_implINS0_14default_configELb0EPK6__halfPSL_PKlPlN2at6native12_GLOBAL__N_18offset_tEEE10hipError_tPvRmT1_PNSt15iterator_traitsISZ_E10value_typeET2_T3_PNS10_IS15_E10value_typeET4_jRbjT5_S1B_jjP12ihipStream_tbEUljE_EEESW_SX_SY_S15_S19_S1B_T6_T7_T9_mT8_S1D_bDpT10_ENKUlT_T0_E_clISt17integral_constantIbLb1EES1Q_EEDaS1L_S1M_EUlS1L_E_NS1_11comp_targetILNS1_3genE10ELNS1_11target_archE1200ELNS1_3gpuE4ELNS1_3repE0EEENS1_30default_config_static_selectorELNS0_4arch9wavefront6targetE1EEEvSZ_.private_seg_size, 0
	.set _ZN7rocprim17ROCPRIM_400000_NS6detail17trampoline_kernelINS0_13select_configILj256ELj13ELNS0_17block_load_methodE3ELS4_3ELS4_3ELNS0_20block_scan_algorithmE0ELj4294967295EEENS1_25partition_config_selectorILNS1_17partition_subalgoE3EjNS0_10empty_typeEbEEZZNS1_14partition_implILS8_3ELb0ES6_jNS0_17counting_iteratorIjlEEPS9_SE_NS0_5tupleIJPjSE_EEENSF_IJSE_SE_EEES9_SG_JZNS1_25segmented_radix_sort_implINS0_14default_configELb0EPK6__halfPSL_PKlPlN2at6native12_GLOBAL__N_18offset_tEEE10hipError_tPvRmT1_PNSt15iterator_traitsISZ_E10value_typeET2_T3_PNS10_IS15_E10value_typeET4_jRbjT5_S1B_jjP12ihipStream_tbEUljE_EEESW_SX_SY_S15_S19_S1B_T6_T7_T9_mT8_S1D_bDpT10_ENKUlT_T0_E_clISt17integral_constantIbLb1EES1Q_EEDaS1L_S1M_EUlS1L_E_NS1_11comp_targetILNS1_3genE10ELNS1_11target_archE1200ELNS1_3gpuE4ELNS1_3repE0EEENS1_30default_config_static_selectorELNS0_4arch9wavefront6targetE1EEEvSZ_.uses_vcc, 0
	.set _ZN7rocprim17ROCPRIM_400000_NS6detail17trampoline_kernelINS0_13select_configILj256ELj13ELNS0_17block_load_methodE3ELS4_3ELS4_3ELNS0_20block_scan_algorithmE0ELj4294967295EEENS1_25partition_config_selectorILNS1_17partition_subalgoE3EjNS0_10empty_typeEbEEZZNS1_14partition_implILS8_3ELb0ES6_jNS0_17counting_iteratorIjlEEPS9_SE_NS0_5tupleIJPjSE_EEENSF_IJSE_SE_EEES9_SG_JZNS1_25segmented_radix_sort_implINS0_14default_configELb0EPK6__halfPSL_PKlPlN2at6native12_GLOBAL__N_18offset_tEEE10hipError_tPvRmT1_PNSt15iterator_traitsISZ_E10value_typeET2_T3_PNS10_IS15_E10value_typeET4_jRbjT5_S1B_jjP12ihipStream_tbEUljE_EEESW_SX_SY_S15_S19_S1B_T6_T7_T9_mT8_S1D_bDpT10_ENKUlT_T0_E_clISt17integral_constantIbLb1EES1Q_EEDaS1L_S1M_EUlS1L_E_NS1_11comp_targetILNS1_3genE10ELNS1_11target_archE1200ELNS1_3gpuE4ELNS1_3repE0EEENS1_30default_config_static_selectorELNS0_4arch9wavefront6targetE1EEEvSZ_.uses_flat_scratch, 0
	.set _ZN7rocprim17ROCPRIM_400000_NS6detail17trampoline_kernelINS0_13select_configILj256ELj13ELNS0_17block_load_methodE3ELS4_3ELS4_3ELNS0_20block_scan_algorithmE0ELj4294967295EEENS1_25partition_config_selectorILNS1_17partition_subalgoE3EjNS0_10empty_typeEbEEZZNS1_14partition_implILS8_3ELb0ES6_jNS0_17counting_iteratorIjlEEPS9_SE_NS0_5tupleIJPjSE_EEENSF_IJSE_SE_EEES9_SG_JZNS1_25segmented_radix_sort_implINS0_14default_configELb0EPK6__halfPSL_PKlPlN2at6native12_GLOBAL__N_18offset_tEEE10hipError_tPvRmT1_PNSt15iterator_traitsISZ_E10value_typeET2_T3_PNS10_IS15_E10value_typeET4_jRbjT5_S1B_jjP12ihipStream_tbEUljE_EEESW_SX_SY_S15_S19_S1B_T6_T7_T9_mT8_S1D_bDpT10_ENKUlT_T0_E_clISt17integral_constantIbLb1EES1Q_EEDaS1L_S1M_EUlS1L_E_NS1_11comp_targetILNS1_3genE10ELNS1_11target_archE1200ELNS1_3gpuE4ELNS1_3repE0EEENS1_30default_config_static_selectorELNS0_4arch9wavefront6targetE1EEEvSZ_.has_dyn_sized_stack, 0
	.set _ZN7rocprim17ROCPRIM_400000_NS6detail17trampoline_kernelINS0_13select_configILj256ELj13ELNS0_17block_load_methodE3ELS4_3ELS4_3ELNS0_20block_scan_algorithmE0ELj4294967295EEENS1_25partition_config_selectorILNS1_17partition_subalgoE3EjNS0_10empty_typeEbEEZZNS1_14partition_implILS8_3ELb0ES6_jNS0_17counting_iteratorIjlEEPS9_SE_NS0_5tupleIJPjSE_EEENSF_IJSE_SE_EEES9_SG_JZNS1_25segmented_radix_sort_implINS0_14default_configELb0EPK6__halfPSL_PKlPlN2at6native12_GLOBAL__N_18offset_tEEE10hipError_tPvRmT1_PNSt15iterator_traitsISZ_E10value_typeET2_T3_PNS10_IS15_E10value_typeET4_jRbjT5_S1B_jjP12ihipStream_tbEUljE_EEESW_SX_SY_S15_S19_S1B_T6_T7_T9_mT8_S1D_bDpT10_ENKUlT_T0_E_clISt17integral_constantIbLb1EES1Q_EEDaS1L_S1M_EUlS1L_E_NS1_11comp_targetILNS1_3genE10ELNS1_11target_archE1200ELNS1_3gpuE4ELNS1_3repE0EEENS1_30default_config_static_selectorELNS0_4arch9wavefront6targetE1EEEvSZ_.has_recursion, 0
	.set _ZN7rocprim17ROCPRIM_400000_NS6detail17trampoline_kernelINS0_13select_configILj256ELj13ELNS0_17block_load_methodE3ELS4_3ELS4_3ELNS0_20block_scan_algorithmE0ELj4294967295EEENS1_25partition_config_selectorILNS1_17partition_subalgoE3EjNS0_10empty_typeEbEEZZNS1_14partition_implILS8_3ELb0ES6_jNS0_17counting_iteratorIjlEEPS9_SE_NS0_5tupleIJPjSE_EEENSF_IJSE_SE_EEES9_SG_JZNS1_25segmented_radix_sort_implINS0_14default_configELb0EPK6__halfPSL_PKlPlN2at6native12_GLOBAL__N_18offset_tEEE10hipError_tPvRmT1_PNSt15iterator_traitsISZ_E10value_typeET2_T3_PNS10_IS15_E10value_typeET4_jRbjT5_S1B_jjP12ihipStream_tbEUljE_EEESW_SX_SY_S15_S19_S1B_T6_T7_T9_mT8_S1D_bDpT10_ENKUlT_T0_E_clISt17integral_constantIbLb1EES1Q_EEDaS1L_S1M_EUlS1L_E_NS1_11comp_targetILNS1_3genE10ELNS1_11target_archE1200ELNS1_3gpuE4ELNS1_3repE0EEENS1_30default_config_static_selectorELNS0_4arch9wavefront6targetE1EEEvSZ_.has_indirect_call, 0
	.section	.AMDGPU.csdata,"",@progbits
; Kernel info:
; codeLenInByte = 0
; TotalNumSgprs: 4
; NumVgprs: 0
; ScratchSize: 0
; MemoryBound: 0
; FloatMode: 240
; IeeeMode: 1
; LDSByteSize: 0 bytes/workgroup (compile time only)
; SGPRBlocks: 0
; VGPRBlocks: 0
; NumSGPRsForWavesPerEU: 4
; NumVGPRsForWavesPerEU: 1
; Occupancy: 10
; WaveLimiterHint : 0
; COMPUTE_PGM_RSRC2:SCRATCH_EN: 0
; COMPUTE_PGM_RSRC2:USER_SGPR: 6
; COMPUTE_PGM_RSRC2:TRAP_HANDLER: 0
; COMPUTE_PGM_RSRC2:TGID_X_EN: 1
; COMPUTE_PGM_RSRC2:TGID_Y_EN: 0
; COMPUTE_PGM_RSRC2:TGID_Z_EN: 0
; COMPUTE_PGM_RSRC2:TIDIG_COMP_CNT: 0
	.section	.text._ZN7rocprim17ROCPRIM_400000_NS6detail17trampoline_kernelINS0_13select_configILj256ELj13ELNS0_17block_load_methodE3ELS4_3ELS4_3ELNS0_20block_scan_algorithmE0ELj4294967295EEENS1_25partition_config_selectorILNS1_17partition_subalgoE3EjNS0_10empty_typeEbEEZZNS1_14partition_implILS8_3ELb0ES6_jNS0_17counting_iteratorIjlEEPS9_SE_NS0_5tupleIJPjSE_EEENSF_IJSE_SE_EEES9_SG_JZNS1_25segmented_radix_sort_implINS0_14default_configELb0EPK6__halfPSL_PKlPlN2at6native12_GLOBAL__N_18offset_tEEE10hipError_tPvRmT1_PNSt15iterator_traitsISZ_E10value_typeET2_T3_PNS10_IS15_E10value_typeET4_jRbjT5_S1B_jjP12ihipStream_tbEUljE_EEESW_SX_SY_S15_S19_S1B_T6_T7_T9_mT8_S1D_bDpT10_ENKUlT_T0_E_clISt17integral_constantIbLb1EES1Q_EEDaS1L_S1M_EUlS1L_E_NS1_11comp_targetILNS1_3genE9ELNS1_11target_archE1100ELNS1_3gpuE3ELNS1_3repE0EEENS1_30default_config_static_selectorELNS0_4arch9wavefront6targetE1EEEvSZ_,"axG",@progbits,_ZN7rocprim17ROCPRIM_400000_NS6detail17trampoline_kernelINS0_13select_configILj256ELj13ELNS0_17block_load_methodE3ELS4_3ELS4_3ELNS0_20block_scan_algorithmE0ELj4294967295EEENS1_25partition_config_selectorILNS1_17partition_subalgoE3EjNS0_10empty_typeEbEEZZNS1_14partition_implILS8_3ELb0ES6_jNS0_17counting_iteratorIjlEEPS9_SE_NS0_5tupleIJPjSE_EEENSF_IJSE_SE_EEES9_SG_JZNS1_25segmented_radix_sort_implINS0_14default_configELb0EPK6__halfPSL_PKlPlN2at6native12_GLOBAL__N_18offset_tEEE10hipError_tPvRmT1_PNSt15iterator_traitsISZ_E10value_typeET2_T3_PNS10_IS15_E10value_typeET4_jRbjT5_S1B_jjP12ihipStream_tbEUljE_EEESW_SX_SY_S15_S19_S1B_T6_T7_T9_mT8_S1D_bDpT10_ENKUlT_T0_E_clISt17integral_constantIbLb1EES1Q_EEDaS1L_S1M_EUlS1L_E_NS1_11comp_targetILNS1_3genE9ELNS1_11target_archE1100ELNS1_3gpuE3ELNS1_3repE0EEENS1_30default_config_static_selectorELNS0_4arch9wavefront6targetE1EEEvSZ_,comdat
	.globl	_ZN7rocprim17ROCPRIM_400000_NS6detail17trampoline_kernelINS0_13select_configILj256ELj13ELNS0_17block_load_methodE3ELS4_3ELS4_3ELNS0_20block_scan_algorithmE0ELj4294967295EEENS1_25partition_config_selectorILNS1_17partition_subalgoE3EjNS0_10empty_typeEbEEZZNS1_14partition_implILS8_3ELb0ES6_jNS0_17counting_iteratorIjlEEPS9_SE_NS0_5tupleIJPjSE_EEENSF_IJSE_SE_EEES9_SG_JZNS1_25segmented_radix_sort_implINS0_14default_configELb0EPK6__halfPSL_PKlPlN2at6native12_GLOBAL__N_18offset_tEEE10hipError_tPvRmT1_PNSt15iterator_traitsISZ_E10value_typeET2_T3_PNS10_IS15_E10value_typeET4_jRbjT5_S1B_jjP12ihipStream_tbEUljE_EEESW_SX_SY_S15_S19_S1B_T6_T7_T9_mT8_S1D_bDpT10_ENKUlT_T0_E_clISt17integral_constantIbLb1EES1Q_EEDaS1L_S1M_EUlS1L_E_NS1_11comp_targetILNS1_3genE9ELNS1_11target_archE1100ELNS1_3gpuE3ELNS1_3repE0EEENS1_30default_config_static_selectorELNS0_4arch9wavefront6targetE1EEEvSZ_ ; -- Begin function _ZN7rocprim17ROCPRIM_400000_NS6detail17trampoline_kernelINS0_13select_configILj256ELj13ELNS0_17block_load_methodE3ELS4_3ELS4_3ELNS0_20block_scan_algorithmE0ELj4294967295EEENS1_25partition_config_selectorILNS1_17partition_subalgoE3EjNS0_10empty_typeEbEEZZNS1_14partition_implILS8_3ELb0ES6_jNS0_17counting_iteratorIjlEEPS9_SE_NS0_5tupleIJPjSE_EEENSF_IJSE_SE_EEES9_SG_JZNS1_25segmented_radix_sort_implINS0_14default_configELb0EPK6__halfPSL_PKlPlN2at6native12_GLOBAL__N_18offset_tEEE10hipError_tPvRmT1_PNSt15iterator_traitsISZ_E10value_typeET2_T3_PNS10_IS15_E10value_typeET4_jRbjT5_S1B_jjP12ihipStream_tbEUljE_EEESW_SX_SY_S15_S19_S1B_T6_T7_T9_mT8_S1D_bDpT10_ENKUlT_T0_E_clISt17integral_constantIbLb1EES1Q_EEDaS1L_S1M_EUlS1L_E_NS1_11comp_targetILNS1_3genE9ELNS1_11target_archE1100ELNS1_3gpuE3ELNS1_3repE0EEENS1_30default_config_static_selectorELNS0_4arch9wavefront6targetE1EEEvSZ_
	.p2align	8
	.type	_ZN7rocprim17ROCPRIM_400000_NS6detail17trampoline_kernelINS0_13select_configILj256ELj13ELNS0_17block_load_methodE3ELS4_3ELS4_3ELNS0_20block_scan_algorithmE0ELj4294967295EEENS1_25partition_config_selectorILNS1_17partition_subalgoE3EjNS0_10empty_typeEbEEZZNS1_14partition_implILS8_3ELb0ES6_jNS0_17counting_iteratorIjlEEPS9_SE_NS0_5tupleIJPjSE_EEENSF_IJSE_SE_EEES9_SG_JZNS1_25segmented_radix_sort_implINS0_14default_configELb0EPK6__halfPSL_PKlPlN2at6native12_GLOBAL__N_18offset_tEEE10hipError_tPvRmT1_PNSt15iterator_traitsISZ_E10value_typeET2_T3_PNS10_IS15_E10value_typeET4_jRbjT5_S1B_jjP12ihipStream_tbEUljE_EEESW_SX_SY_S15_S19_S1B_T6_T7_T9_mT8_S1D_bDpT10_ENKUlT_T0_E_clISt17integral_constantIbLb1EES1Q_EEDaS1L_S1M_EUlS1L_E_NS1_11comp_targetILNS1_3genE9ELNS1_11target_archE1100ELNS1_3gpuE3ELNS1_3repE0EEENS1_30default_config_static_selectorELNS0_4arch9wavefront6targetE1EEEvSZ_,@function
_ZN7rocprim17ROCPRIM_400000_NS6detail17trampoline_kernelINS0_13select_configILj256ELj13ELNS0_17block_load_methodE3ELS4_3ELS4_3ELNS0_20block_scan_algorithmE0ELj4294967295EEENS1_25partition_config_selectorILNS1_17partition_subalgoE3EjNS0_10empty_typeEbEEZZNS1_14partition_implILS8_3ELb0ES6_jNS0_17counting_iteratorIjlEEPS9_SE_NS0_5tupleIJPjSE_EEENSF_IJSE_SE_EEES9_SG_JZNS1_25segmented_radix_sort_implINS0_14default_configELb0EPK6__halfPSL_PKlPlN2at6native12_GLOBAL__N_18offset_tEEE10hipError_tPvRmT1_PNSt15iterator_traitsISZ_E10value_typeET2_T3_PNS10_IS15_E10value_typeET4_jRbjT5_S1B_jjP12ihipStream_tbEUljE_EEESW_SX_SY_S15_S19_S1B_T6_T7_T9_mT8_S1D_bDpT10_ENKUlT_T0_E_clISt17integral_constantIbLb1EES1Q_EEDaS1L_S1M_EUlS1L_E_NS1_11comp_targetILNS1_3genE9ELNS1_11target_archE1100ELNS1_3gpuE3ELNS1_3repE0EEENS1_30default_config_static_selectorELNS0_4arch9wavefront6targetE1EEEvSZ_: ; @_ZN7rocprim17ROCPRIM_400000_NS6detail17trampoline_kernelINS0_13select_configILj256ELj13ELNS0_17block_load_methodE3ELS4_3ELS4_3ELNS0_20block_scan_algorithmE0ELj4294967295EEENS1_25partition_config_selectorILNS1_17partition_subalgoE3EjNS0_10empty_typeEbEEZZNS1_14partition_implILS8_3ELb0ES6_jNS0_17counting_iteratorIjlEEPS9_SE_NS0_5tupleIJPjSE_EEENSF_IJSE_SE_EEES9_SG_JZNS1_25segmented_radix_sort_implINS0_14default_configELb0EPK6__halfPSL_PKlPlN2at6native12_GLOBAL__N_18offset_tEEE10hipError_tPvRmT1_PNSt15iterator_traitsISZ_E10value_typeET2_T3_PNS10_IS15_E10value_typeET4_jRbjT5_S1B_jjP12ihipStream_tbEUljE_EEESW_SX_SY_S15_S19_S1B_T6_T7_T9_mT8_S1D_bDpT10_ENKUlT_T0_E_clISt17integral_constantIbLb1EES1Q_EEDaS1L_S1M_EUlS1L_E_NS1_11comp_targetILNS1_3genE9ELNS1_11target_archE1100ELNS1_3gpuE3ELNS1_3repE0EEENS1_30default_config_static_selectorELNS0_4arch9wavefront6targetE1EEEvSZ_
; %bb.0:
	.section	.rodata,"a",@progbits
	.p2align	6, 0x0
	.amdhsa_kernel _ZN7rocprim17ROCPRIM_400000_NS6detail17trampoline_kernelINS0_13select_configILj256ELj13ELNS0_17block_load_methodE3ELS4_3ELS4_3ELNS0_20block_scan_algorithmE0ELj4294967295EEENS1_25partition_config_selectorILNS1_17partition_subalgoE3EjNS0_10empty_typeEbEEZZNS1_14partition_implILS8_3ELb0ES6_jNS0_17counting_iteratorIjlEEPS9_SE_NS0_5tupleIJPjSE_EEENSF_IJSE_SE_EEES9_SG_JZNS1_25segmented_radix_sort_implINS0_14default_configELb0EPK6__halfPSL_PKlPlN2at6native12_GLOBAL__N_18offset_tEEE10hipError_tPvRmT1_PNSt15iterator_traitsISZ_E10value_typeET2_T3_PNS10_IS15_E10value_typeET4_jRbjT5_S1B_jjP12ihipStream_tbEUljE_EEESW_SX_SY_S15_S19_S1B_T6_T7_T9_mT8_S1D_bDpT10_ENKUlT_T0_E_clISt17integral_constantIbLb1EES1Q_EEDaS1L_S1M_EUlS1L_E_NS1_11comp_targetILNS1_3genE9ELNS1_11target_archE1100ELNS1_3gpuE3ELNS1_3repE0EEENS1_30default_config_static_selectorELNS0_4arch9wavefront6targetE1EEEvSZ_
		.amdhsa_group_segment_fixed_size 0
		.amdhsa_private_segment_fixed_size 0
		.amdhsa_kernarg_size 152
		.amdhsa_user_sgpr_count 6
		.amdhsa_user_sgpr_private_segment_buffer 1
		.amdhsa_user_sgpr_dispatch_ptr 0
		.amdhsa_user_sgpr_queue_ptr 0
		.amdhsa_user_sgpr_kernarg_segment_ptr 1
		.amdhsa_user_sgpr_dispatch_id 0
		.amdhsa_user_sgpr_flat_scratch_init 0
		.amdhsa_user_sgpr_private_segment_size 0
		.amdhsa_uses_dynamic_stack 0
		.amdhsa_system_sgpr_private_segment_wavefront_offset 0
		.amdhsa_system_sgpr_workgroup_id_x 1
		.amdhsa_system_sgpr_workgroup_id_y 0
		.amdhsa_system_sgpr_workgroup_id_z 0
		.amdhsa_system_sgpr_workgroup_info 0
		.amdhsa_system_vgpr_workitem_id 0
		.amdhsa_next_free_vgpr 1
		.amdhsa_next_free_sgpr 0
		.amdhsa_reserve_vcc 0
		.amdhsa_reserve_flat_scratch 0
		.amdhsa_float_round_mode_32 0
		.amdhsa_float_round_mode_16_64 0
		.amdhsa_float_denorm_mode_32 3
		.amdhsa_float_denorm_mode_16_64 3
		.amdhsa_dx10_clamp 1
		.amdhsa_ieee_mode 1
		.amdhsa_fp16_overflow 0
		.amdhsa_exception_fp_ieee_invalid_op 0
		.amdhsa_exception_fp_denorm_src 0
		.amdhsa_exception_fp_ieee_div_zero 0
		.amdhsa_exception_fp_ieee_overflow 0
		.amdhsa_exception_fp_ieee_underflow 0
		.amdhsa_exception_fp_ieee_inexact 0
		.amdhsa_exception_int_div_zero 0
	.end_amdhsa_kernel
	.section	.text._ZN7rocprim17ROCPRIM_400000_NS6detail17trampoline_kernelINS0_13select_configILj256ELj13ELNS0_17block_load_methodE3ELS4_3ELS4_3ELNS0_20block_scan_algorithmE0ELj4294967295EEENS1_25partition_config_selectorILNS1_17partition_subalgoE3EjNS0_10empty_typeEbEEZZNS1_14partition_implILS8_3ELb0ES6_jNS0_17counting_iteratorIjlEEPS9_SE_NS0_5tupleIJPjSE_EEENSF_IJSE_SE_EEES9_SG_JZNS1_25segmented_radix_sort_implINS0_14default_configELb0EPK6__halfPSL_PKlPlN2at6native12_GLOBAL__N_18offset_tEEE10hipError_tPvRmT1_PNSt15iterator_traitsISZ_E10value_typeET2_T3_PNS10_IS15_E10value_typeET4_jRbjT5_S1B_jjP12ihipStream_tbEUljE_EEESW_SX_SY_S15_S19_S1B_T6_T7_T9_mT8_S1D_bDpT10_ENKUlT_T0_E_clISt17integral_constantIbLb1EES1Q_EEDaS1L_S1M_EUlS1L_E_NS1_11comp_targetILNS1_3genE9ELNS1_11target_archE1100ELNS1_3gpuE3ELNS1_3repE0EEENS1_30default_config_static_selectorELNS0_4arch9wavefront6targetE1EEEvSZ_,"axG",@progbits,_ZN7rocprim17ROCPRIM_400000_NS6detail17trampoline_kernelINS0_13select_configILj256ELj13ELNS0_17block_load_methodE3ELS4_3ELS4_3ELNS0_20block_scan_algorithmE0ELj4294967295EEENS1_25partition_config_selectorILNS1_17partition_subalgoE3EjNS0_10empty_typeEbEEZZNS1_14partition_implILS8_3ELb0ES6_jNS0_17counting_iteratorIjlEEPS9_SE_NS0_5tupleIJPjSE_EEENSF_IJSE_SE_EEES9_SG_JZNS1_25segmented_radix_sort_implINS0_14default_configELb0EPK6__halfPSL_PKlPlN2at6native12_GLOBAL__N_18offset_tEEE10hipError_tPvRmT1_PNSt15iterator_traitsISZ_E10value_typeET2_T3_PNS10_IS15_E10value_typeET4_jRbjT5_S1B_jjP12ihipStream_tbEUljE_EEESW_SX_SY_S15_S19_S1B_T6_T7_T9_mT8_S1D_bDpT10_ENKUlT_T0_E_clISt17integral_constantIbLb1EES1Q_EEDaS1L_S1M_EUlS1L_E_NS1_11comp_targetILNS1_3genE9ELNS1_11target_archE1100ELNS1_3gpuE3ELNS1_3repE0EEENS1_30default_config_static_selectorELNS0_4arch9wavefront6targetE1EEEvSZ_,comdat
.Lfunc_end1824:
	.size	_ZN7rocprim17ROCPRIM_400000_NS6detail17trampoline_kernelINS0_13select_configILj256ELj13ELNS0_17block_load_methodE3ELS4_3ELS4_3ELNS0_20block_scan_algorithmE0ELj4294967295EEENS1_25partition_config_selectorILNS1_17partition_subalgoE3EjNS0_10empty_typeEbEEZZNS1_14partition_implILS8_3ELb0ES6_jNS0_17counting_iteratorIjlEEPS9_SE_NS0_5tupleIJPjSE_EEENSF_IJSE_SE_EEES9_SG_JZNS1_25segmented_radix_sort_implINS0_14default_configELb0EPK6__halfPSL_PKlPlN2at6native12_GLOBAL__N_18offset_tEEE10hipError_tPvRmT1_PNSt15iterator_traitsISZ_E10value_typeET2_T3_PNS10_IS15_E10value_typeET4_jRbjT5_S1B_jjP12ihipStream_tbEUljE_EEESW_SX_SY_S15_S19_S1B_T6_T7_T9_mT8_S1D_bDpT10_ENKUlT_T0_E_clISt17integral_constantIbLb1EES1Q_EEDaS1L_S1M_EUlS1L_E_NS1_11comp_targetILNS1_3genE9ELNS1_11target_archE1100ELNS1_3gpuE3ELNS1_3repE0EEENS1_30default_config_static_selectorELNS0_4arch9wavefront6targetE1EEEvSZ_, .Lfunc_end1824-_ZN7rocprim17ROCPRIM_400000_NS6detail17trampoline_kernelINS0_13select_configILj256ELj13ELNS0_17block_load_methodE3ELS4_3ELS4_3ELNS0_20block_scan_algorithmE0ELj4294967295EEENS1_25partition_config_selectorILNS1_17partition_subalgoE3EjNS0_10empty_typeEbEEZZNS1_14partition_implILS8_3ELb0ES6_jNS0_17counting_iteratorIjlEEPS9_SE_NS0_5tupleIJPjSE_EEENSF_IJSE_SE_EEES9_SG_JZNS1_25segmented_radix_sort_implINS0_14default_configELb0EPK6__halfPSL_PKlPlN2at6native12_GLOBAL__N_18offset_tEEE10hipError_tPvRmT1_PNSt15iterator_traitsISZ_E10value_typeET2_T3_PNS10_IS15_E10value_typeET4_jRbjT5_S1B_jjP12ihipStream_tbEUljE_EEESW_SX_SY_S15_S19_S1B_T6_T7_T9_mT8_S1D_bDpT10_ENKUlT_T0_E_clISt17integral_constantIbLb1EES1Q_EEDaS1L_S1M_EUlS1L_E_NS1_11comp_targetILNS1_3genE9ELNS1_11target_archE1100ELNS1_3gpuE3ELNS1_3repE0EEENS1_30default_config_static_selectorELNS0_4arch9wavefront6targetE1EEEvSZ_
                                        ; -- End function
	.set _ZN7rocprim17ROCPRIM_400000_NS6detail17trampoline_kernelINS0_13select_configILj256ELj13ELNS0_17block_load_methodE3ELS4_3ELS4_3ELNS0_20block_scan_algorithmE0ELj4294967295EEENS1_25partition_config_selectorILNS1_17partition_subalgoE3EjNS0_10empty_typeEbEEZZNS1_14partition_implILS8_3ELb0ES6_jNS0_17counting_iteratorIjlEEPS9_SE_NS0_5tupleIJPjSE_EEENSF_IJSE_SE_EEES9_SG_JZNS1_25segmented_radix_sort_implINS0_14default_configELb0EPK6__halfPSL_PKlPlN2at6native12_GLOBAL__N_18offset_tEEE10hipError_tPvRmT1_PNSt15iterator_traitsISZ_E10value_typeET2_T3_PNS10_IS15_E10value_typeET4_jRbjT5_S1B_jjP12ihipStream_tbEUljE_EEESW_SX_SY_S15_S19_S1B_T6_T7_T9_mT8_S1D_bDpT10_ENKUlT_T0_E_clISt17integral_constantIbLb1EES1Q_EEDaS1L_S1M_EUlS1L_E_NS1_11comp_targetILNS1_3genE9ELNS1_11target_archE1100ELNS1_3gpuE3ELNS1_3repE0EEENS1_30default_config_static_selectorELNS0_4arch9wavefront6targetE1EEEvSZ_.num_vgpr, 0
	.set _ZN7rocprim17ROCPRIM_400000_NS6detail17trampoline_kernelINS0_13select_configILj256ELj13ELNS0_17block_load_methodE3ELS4_3ELS4_3ELNS0_20block_scan_algorithmE0ELj4294967295EEENS1_25partition_config_selectorILNS1_17partition_subalgoE3EjNS0_10empty_typeEbEEZZNS1_14partition_implILS8_3ELb0ES6_jNS0_17counting_iteratorIjlEEPS9_SE_NS0_5tupleIJPjSE_EEENSF_IJSE_SE_EEES9_SG_JZNS1_25segmented_radix_sort_implINS0_14default_configELb0EPK6__halfPSL_PKlPlN2at6native12_GLOBAL__N_18offset_tEEE10hipError_tPvRmT1_PNSt15iterator_traitsISZ_E10value_typeET2_T3_PNS10_IS15_E10value_typeET4_jRbjT5_S1B_jjP12ihipStream_tbEUljE_EEESW_SX_SY_S15_S19_S1B_T6_T7_T9_mT8_S1D_bDpT10_ENKUlT_T0_E_clISt17integral_constantIbLb1EES1Q_EEDaS1L_S1M_EUlS1L_E_NS1_11comp_targetILNS1_3genE9ELNS1_11target_archE1100ELNS1_3gpuE3ELNS1_3repE0EEENS1_30default_config_static_selectorELNS0_4arch9wavefront6targetE1EEEvSZ_.num_agpr, 0
	.set _ZN7rocprim17ROCPRIM_400000_NS6detail17trampoline_kernelINS0_13select_configILj256ELj13ELNS0_17block_load_methodE3ELS4_3ELS4_3ELNS0_20block_scan_algorithmE0ELj4294967295EEENS1_25partition_config_selectorILNS1_17partition_subalgoE3EjNS0_10empty_typeEbEEZZNS1_14partition_implILS8_3ELb0ES6_jNS0_17counting_iteratorIjlEEPS9_SE_NS0_5tupleIJPjSE_EEENSF_IJSE_SE_EEES9_SG_JZNS1_25segmented_radix_sort_implINS0_14default_configELb0EPK6__halfPSL_PKlPlN2at6native12_GLOBAL__N_18offset_tEEE10hipError_tPvRmT1_PNSt15iterator_traitsISZ_E10value_typeET2_T3_PNS10_IS15_E10value_typeET4_jRbjT5_S1B_jjP12ihipStream_tbEUljE_EEESW_SX_SY_S15_S19_S1B_T6_T7_T9_mT8_S1D_bDpT10_ENKUlT_T0_E_clISt17integral_constantIbLb1EES1Q_EEDaS1L_S1M_EUlS1L_E_NS1_11comp_targetILNS1_3genE9ELNS1_11target_archE1100ELNS1_3gpuE3ELNS1_3repE0EEENS1_30default_config_static_selectorELNS0_4arch9wavefront6targetE1EEEvSZ_.numbered_sgpr, 0
	.set _ZN7rocprim17ROCPRIM_400000_NS6detail17trampoline_kernelINS0_13select_configILj256ELj13ELNS0_17block_load_methodE3ELS4_3ELS4_3ELNS0_20block_scan_algorithmE0ELj4294967295EEENS1_25partition_config_selectorILNS1_17partition_subalgoE3EjNS0_10empty_typeEbEEZZNS1_14partition_implILS8_3ELb0ES6_jNS0_17counting_iteratorIjlEEPS9_SE_NS0_5tupleIJPjSE_EEENSF_IJSE_SE_EEES9_SG_JZNS1_25segmented_radix_sort_implINS0_14default_configELb0EPK6__halfPSL_PKlPlN2at6native12_GLOBAL__N_18offset_tEEE10hipError_tPvRmT1_PNSt15iterator_traitsISZ_E10value_typeET2_T3_PNS10_IS15_E10value_typeET4_jRbjT5_S1B_jjP12ihipStream_tbEUljE_EEESW_SX_SY_S15_S19_S1B_T6_T7_T9_mT8_S1D_bDpT10_ENKUlT_T0_E_clISt17integral_constantIbLb1EES1Q_EEDaS1L_S1M_EUlS1L_E_NS1_11comp_targetILNS1_3genE9ELNS1_11target_archE1100ELNS1_3gpuE3ELNS1_3repE0EEENS1_30default_config_static_selectorELNS0_4arch9wavefront6targetE1EEEvSZ_.num_named_barrier, 0
	.set _ZN7rocprim17ROCPRIM_400000_NS6detail17trampoline_kernelINS0_13select_configILj256ELj13ELNS0_17block_load_methodE3ELS4_3ELS4_3ELNS0_20block_scan_algorithmE0ELj4294967295EEENS1_25partition_config_selectorILNS1_17partition_subalgoE3EjNS0_10empty_typeEbEEZZNS1_14partition_implILS8_3ELb0ES6_jNS0_17counting_iteratorIjlEEPS9_SE_NS0_5tupleIJPjSE_EEENSF_IJSE_SE_EEES9_SG_JZNS1_25segmented_radix_sort_implINS0_14default_configELb0EPK6__halfPSL_PKlPlN2at6native12_GLOBAL__N_18offset_tEEE10hipError_tPvRmT1_PNSt15iterator_traitsISZ_E10value_typeET2_T3_PNS10_IS15_E10value_typeET4_jRbjT5_S1B_jjP12ihipStream_tbEUljE_EEESW_SX_SY_S15_S19_S1B_T6_T7_T9_mT8_S1D_bDpT10_ENKUlT_T0_E_clISt17integral_constantIbLb1EES1Q_EEDaS1L_S1M_EUlS1L_E_NS1_11comp_targetILNS1_3genE9ELNS1_11target_archE1100ELNS1_3gpuE3ELNS1_3repE0EEENS1_30default_config_static_selectorELNS0_4arch9wavefront6targetE1EEEvSZ_.private_seg_size, 0
	.set _ZN7rocprim17ROCPRIM_400000_NS6detail17trampoline_kernelINS0_13select_configILj256ELj13ELNS0_17block_load_methodE3ELS4_3ELS4_3ELNS0_20block_scan_algorithmE0ELj4294967295EEENS1_25partition_config_selectorILNS1_17partition_subalgoE3EjNS0_10empty_typeEbEEZZNS1_14partition_implILS8_3ELb0ES6_jNS0_17counting_iteratorIjlEEPS9_SE_NS0_5tupleIJPjSE_EEENSF_IJSE_SE_EEES9_SG_JZNS1_25segmented_radix_sort_implINS0_14default_configELb0EPK6__halfPSL_PKlPlN2at6native12_GLOBAL__N_18offset_tEEE10hipError_tPvRmT1_PNSt15iterator_traitsISZ_E10value_typeET2_T3_PNS10_IS15_E10value_typeET4_jRbjT5_S1B_jjP12ihipStream_tbEUljE_EEESW_SX_SY_S15_S19_S1B_T6_T7_T9_mT8_S1D_bDpT10_ENKUlT_T0_E_clISt17integral_constantIbLb1EES1Q_EEDaS1L_S1M_EUlS1L_E_NS1_11comp_targetILNS1_3genE9ELNS1_11target_archE1100ELNS1_3gpuE3ELNS1_3repE0EEENS1_30default_config_static_selectorELNS0_4arch9wavefront6targetE1EEEvSZ_.uses_vcc, 0
	.set _ZN7rocprim17ROCPRIM_400000_NS6detail17trampoline_kernelINS0_13select_configILj256ELj13ELNS0_17block_load_methodE3ELS4_3ELS4_3ELNS0_20block_scan_algorithmE0ELj4294967295EEENS1_25partition_config_selectorILNS1_17partition_subalgoE3EjNS0_10empty_typeEbEEZZNS1_14partition_implILS8_3ELb0ES6_jNS0_17counting_iteratorIjlEEPS9_SE_NS0_5tupleIJPjSE_EEENSF_IJSE_SE_EEES9_SG_JZNS1_25segmented_radix_sort_implINS0_14default_configELb0EPK6__halfPSL_PKlPlN2at6native12_GLOBAL__N_18offset_tEEE10hipError_tPvRmT1_PNSt15iterator_traitsISZ_E10value_typeET2_T3_PNS10_IS15_E10value_typeET4_jRbjT5_S1B_jjP12ihipStream_tbEUljE_EEESW_SX_SY_S15_S19_S1B_T6_T7_T9_mT8_S1D_bDpT10_ENKUlT_T0_E_clISt17integral_constantIbLb1EES1Q_EEDaS1L_S1M_EUlS1L_E_NS1_11comp_targetILNS1_3genE9ELNS1_11target_archE1100ELNS1_3gpuE3ELNS1_3repE0EEENS1_30default_config_static_selectorELNS0_4arch9wavefront6targetE1EEEvSZ_.uses_flat_scratch, 0
	.set _ZN7rocprim17ROCPRIM_400000_NS6detail17trampoline_kernelINS0_13select_configILj256ELj13ELNS0_17block_load_methodE3ELS4_3ELS4_3ELNS0_20block_scan_algorithmE0ELj4294967295EEENS1_25partition_config_selectorILNS1_17partition_subalgoE3EjNS0_10empty_typeEbEEZZNS1_14partition_implILS8_3ELb0ES6_jNS0_17counting_iteratorIjlEEPS9_SE_NS0_5tupleIJPjSE_EEENSF_IJSE_SE_EEES9_SG_JZNS1_25segmented_radix_sort_implINS0_14default_configELb0EPK6__halfPSL_PKlPlN2at6native12_GLOBAL__N_18offset_tEEE10hipError_tPvRmT1_PNSt15iterator_traitsISZ_E10value_typeET2_T3_PNS10_IS15_E10value_typeET4_jRbjT5_S1B_jjP12ihipStream_tbEUljE_EEESW_SX_SY_S15_S19_S1B_T6_T7_T9_mT8_S1D_bDpT10_ENKUlT_T0_E_clISt17integral_constantIbLb1EES1Q_EEDaS1L_S1M_EUlS1L_E_NS1_11comp_targetILNS1_3genE9ELNS1_11target_archE1100ELNS1_3gpuE3ELNS1_3repE0EEENS1_30default_config_static_selectorELNS0_4arch9wavefront6targetE1EEEvSZ_.has_dyn_sized_stack, 0
	.set _ZN7rocprim17ROCPRIM_400000_NS6detail17trampoline_kernelINS0_13select_configILj256ELj13ELNS0_17block_load_methodE3ELS4_3ELS4_3ELNS0_20block_scan_algorithmE0ELj4294967295EEENS1_25partition_config_selectorILNS1_17partition_subalgoE3EjNS0_10empty_typeEbEEZZNS1_14partition_implILS8_3ELb0ES6_jNS0_17counting_iteratorIjlEEPS9_SE_NS0_5tupleIJPjSE_EEENSF_IJSE_SE_EEES9_SG_JZNS1_25segmented_radix_sort_implINS0_14default_configELb0EPK6__halfPSL_PKlPlN2at6native12_GLOBAL__N_18offset_tEEE10hipError_tPvRmT1_PNSt15iterator_traitsISZ_E10value_typeET2_T3_PNS10_IS15_E10value_typeET4_jRbjT5_S1B_jjP12ihipStream_tbEUljE_EEESW_SX_SY_S15_S19_S1B_T6_T7_T9_mT8_S1D_bDpT10_ENKUlT_T0_E_clISt17integral_constantIbLb1EES1Q_EEDaS1L_S1M_EUlS1L_E_NS1_11comp_targetILNS1_3genE9ELNS1_11target_archE1100ELNS1_3gpuE3ELNS1_3repE0EEENS1_30default_config_static_selectorELNS0_4arch9wavefront6targetE1EEEvSZ_.has_recursion, 0
	.set _ZN7rocprim17ROCPRIM_400000_NS6detail17trampoline_kernelINS0_13select_configILj256ELj13ELNS0_17block_load_methodE3ELS4_3ELS4_3ELNS0_20block_scan_algorithmE0ELj4294967295EEENS1_25partition_config_selectorILNS1_17partition_subalgoE3EjNS0_10empty_typeEbEEZZNS1_14partition_implILS8_3ELb0ES6_jNS0_17counting_iteratorIjlEEPS9_SE_NS0_5tupleIJPjSE_EEENSF_IJSE_SE_EEES9_SG_JZNS1_25segmented_radix_sort_implINS0_14default_configELb0EPK6__halfPSL_PKlPlN2at6native12_GLOBAL__N_18offset_tEEE10hipError_tPvRmT1_PNSt15iterator_traitsISZ_E10value_typeET2_T3_PNS10_IS15_E10value_typeET4_jRbjT5_S1B_jjP12ihipStream_tbEUljE_EEESW_SX_SY_S15_S19_S1B_T6_T7_T9_mT8_S1D_bDpT10_ENKUlT_T0_E_clISt17integral_constantIbLb1EES1Q_EEDaS1L_S1M_EUlS1L_E_NS1_11comp_targetILNS1_3genE9ELNS1_11target_archE1100ELNS1_3gpuE3ELNS1_3repE0EEENS1_30default_config_static_selectorELNS0_4arch9wavefront6targetE1EEEvSZ_.has_indirect_call, 0
	.section	.AMDGPU.csdata,"",@progbits
; Kernel info:
; codeLenInByte = 0
; TotalNumSgprs: 4
; NumVgprs: 0
; ScratchSize: 0
; MemoryBound: 0
; FloatMode: 240
; IeeeMode: 1
; LDSByteSize: 0 bytes/workgroup (compile time only)
; SGPRBlocks: 0
; VGPRBlocks: 0
; NumSGPRsForWavesPerEU: 4
; NumVGPRsForWavesPerEU: 1
; Occupancy: 10
; WaveLimiterHint : 0
; COMPUTE_PGM_RSRC2:SCRATCH_EN: 0
; COMPUTE_PGM_RSRC2:USER_SGPR: 6
; COMPUTE_PGM_RSRC2:TRAP_HANDLER: 0
; COMPUTE_PGM_RSRC2:TGID_X_EN: 1
; COMPUTE_PGM_RSRC2:TGID_Y_EN: 0
; COMPUTE_PGM_RSRC2:TGID_Z_EN: 0
; COMPUTE_PGM_RSRC2:TIDIG_COMP_CNT: 0
	.section	.text._ZN7rocprim17ROCPRIM_400000_NS6detail17trampoline_kernelINS0_13select_configILj256ELj13ELNS0_17block_load_methodE3ELS4_3ELS4_3ELNS0_20block_scan_algorithmE0ELj4294967295EEENS1_25partition_config_selectorILNS1_17partition_subalgoE3EjNS0_10empty_typeEbEEZZNS1_14partition_implILS8_3ELb0ES6_jNS0_17counting_iteratorIjlEEPS9_SE_NS0_5tupleIJPjSE_EEENSF_IJSE_SE_EEES9_SG_JZNS1_25segmented_radix_sort_implINS0_14default_configELb0EPK6__halfPSL_PKlPlN2at6native12_GLOBAL__N_18offset_tEEE10hipError_tPvRmT1_PNSt15iterator_traitsISZ_E10value_typeET2_T3_PNS10_IS15_E10value_typeET4_jRbjT5_S1B_jjP12ihipStream_tbEUljE_EEESW_SX_SY_S15_S19_S1B_T6_T7_T9_mT8_S1D_bDpT10_ENKUlT_T0_E_clISt17integral_constantIbLb1EES1Q_EEDaS1L_S1M_EUlS1L_E_NS1_11comp_targetILNS1_3genE8ELNS1_11target_archE1030ELNS1_3gpuE2ELNS1_3repE0EEENS1_30default_config_static_selectorELNS0_4arch9wavefront6targetE1EEEvSZ_,"axG",@progbits,_ZN7rocprim17ROCPRIM_400000_NS6detail17trampoline_kernelINS0_13select_configILj256ELj13ELNS0_17block_load_methodE3ELS4_3ELS4_3ELNS0_20block_scan_algorithmE0ELj4294967295EEENS1_25partition_config_selectorILNS1_17partition_subalgoE3EjNS0_10empty_typeEbEEZZNS1_14partition_implILS8_3ELb0ES6_jNS0_17counting_iteratorIjlEEPS9_SE_NS0_5tupleIJPjSE_EEENSF_IJSE_SE_EEES9_SG_JZNS1_25segmented_radix_sort_implINS0_14default_configELb0EPK6__halfPSL_PKlPlN2at6native12_GLOBAL__N_18offset_tEEE10hipError_tPvRmT1_PNSt15iterator_traitsISZ_E10value_typeET2_T3_PNS10_IS15_E10value_typeET4_jRbjT5_S1B_jjP12ihipStream_tbEUljE_EEESW_SX_SY_S15_S19_S1B_T6_T7_T9_mT8_S1D_bDpT10_ENKUlT_T0_E_clISt17integral_constantIbLb1EES1Q_EEDaS1L_S1M_EUlS1L_E_NS1_11comp_targetILNS1_3genE8ELNS1_11target_archE1030ELNS1_3gpuE2ELNS1_3repE0EEENS1_30default_config_static_selectorELNS0_4arch9wavefront6targetE1EEEvSZ_,comdat
	.globl	_ZN7rocprim17ROCPRIM_400000_NS6detail17trampoline_kernelINS0_13select_configILj256ELj13ELNS0_17block_load_methodE3ELS4_3ELS4_3ELNS0_20block_scan_algorithmE0ELj4294967295EEENS1_25partition_config_selectorILNS1_17partition_subalgoE3EjNS0_10empty_typeEbEEZZNS1_14partition_implILS8_3ELb0ES6_jNS0_17counting_iteratorIjlEEPS9_SE_NS0_5tupleIJPjSE_EEENSF_IJSE_SE_EEES9_SG_JZNS1_25segmented_radix_sort_implINS0_14default_configELb0EPK6__halfPSL_PKlPlN2at6native12_GLOBAL__N_18offset_tEEE10hipError_tPvRmT1_PNSt15iterator_traitsISZ_E10value_typeET2_T3_PNS10_IS15_E10value_typeET4_jRbjT5_S1B_jjP12ihipStream_tbEUljE_EEESW_SX_SY_S15_S19_S1B_T6_T7_T9_mT8_S1D_bDpT10_ENKUlT_T0_E_clISt17integral_constantIbLb1EES1Q_EEDaS1L_S1M_EUlS1L_E_NS1_11comp_targetILNS1_3genE8ELNS1_11target_archE1030ELNS1_3gpuE2ELNS1_3repE0EEENS1_30default_config_static_selectorELNS0_4arch9wavefront6targetE1EEEvSZ_ ; -- Begin function _ZN7rocprim17ROCPRIM_400000_NS6detail17trampoline_kernelINS0_13select_configILj256ELj13ELNS0_17block_load_methodE3ELS4_3ELS4_3ELNS0_20block_scan_algorithmE0ELj4294967295EEENS1_25partition_config_selectorILNS1_17partition_subalgoE3EjNS0_10empty_typeEbEEZZNS1_14partition_implILS8_3ELb0ES6_jNS0_17counting_iteratorIjlEEPS9_SE_NS0_5tupleIJPjSE_EEENSF_IJSE_SE_EEES9_SG_JZNS1_25segmented_radix_sort_implINS0_14default_configELb0EPK6__halfPSL_PKlPlN2at6native12_GLOBAL__N_18offset_tEEE10hipError_tPvRmT1_PNSt15iterator_traitsISZ_E10value_typeET2_T3_PNS10_IS15_E10value_typeET4_jRbjT5_S1B_jjP12ihipStream_tbEUljE_EEESW_SX_SY_S15_S19_S1B_T6_T7_T9_mT8_S1D_bDpT10_ENKUlT_T0_E_clISt17integral_constantIbLb1EES1Q_EEDaS1L_S1M_EUlS1L_E_NS1_11comp_targetILNS1_3genE8ELNS1_11target_archE1030ELNS1_3gpuE2ELNS1_3repE0EEENS1_30default_config_static_selectorELNS0_4arch9wavefront6targetE1EEEvSZ_
	.p2align	8
	.type	_ZN7rocprim17ROCPRIM_400000_NS6detail17trampoline_kernelINS0_13select_configILj256ELj13ELNS0_17block_load_methodE3ELS4_3ELS4_3ELNS0_20block_scan_algorithmE0ELj4294967295EEENS1_25partition_config_selectorILNS1_17partition_subalgoE3EjNS0_10empty_typeEbEEZZNS1_14partition_implILS8_3ELb0ES6_jNS0_17counting_iteratorIjlEEPS9_SE_NS0_5tupleIJPjSE_EEENSF_IJSE_SE_EEES9_SG_JZNS1_25segmented_radix_sort_implINS0_14default_configELb0EPK6__halfPSL_PKlPlN2at6native12_GLOBAL__N_18offset_tEEE10hipError_tPvRmT1_PNSt15iterator_traitsISZ_E10value_typeET2_T3_PNS10_IS15_E10value_typeET4_jRbjT5_S1B_jjP12ihipStream_tbEUljE_EEESW_SX_SY_S15_S19_S1B_T6_T7_T9_mT8_S1D_bDpT10_ENKUlT_T0_E_clISt17integral_constantIbLb1EES1Q_EEDaS1L_S1M_EUlS1L_E_NS1_11comp_targetILNS1_3genE8ELNS1_11target_archE1030ELNS1_3gpuE2ELNS1_3repE0EEENS1_30default_config_static_selectorELNS0_4arch9wavefront6targetE1EEEvSZ_,@function
_ZN7rocprim17ROCPRIM_400000_NS6detail17trampoline_kernelINS0_13select_configILj256ELj13ELNS0_17block_load_methodE3ELS4_3ELS4_3ELNS0_20block_scan_algorithmE0ELj4294967295EEENS1_25partition_config_selectorILNS1_17partition_subalgoE3EjNS0_10empty_typeEbEEZZNS1_14partition_implILS8_3ELb0ES6_jNS0_17counting_iteratorIjlEEPS9_SE_NS0_5tupleIJPjSE_EEENSF_IJSE_SE_EEES9_SG_JZNS1_25segmented_radix_sort_implINS0_14default_configELb0EPK6__halfPSL_PKlPlN2at6native12_GLOBAL__N_18offset_tEEE10hipError_tPvRmT1_PNSt15iterator_traitsISZ_E10value_typeET2_T3_PNS10_IS15_E10value_typeET4_jRbjT5_S1B_jjP12ihipStream_tbEUljE_EEESW_SX_SY_S15_S19_S1B_T6_T7_T9_mT8_S1D_bDpT10_ENKUlT_T0_E_clISt17integral_constantIbLb1EES1Q_EEDaS1L_S1M_EUlS1L_E_NS1_11comp_targetILNS1_3genE8ELNS1_11target_archE1030ELNS1_3gpuE2ELNS1_3repE0EEENS1_30default_config_static_selectorELNS0_4arch9wavefront6targetE1EEEvSZ_: ; @_ZN7rocprim17ROCPRIM_400000_NS6detail17trampoline_kernelINS0_13select_configILj256ELj13ELNS0_17block_load_methodE3ELS4_3ELS4_3ELNS0_20block_scan_algorithmE0ELj4294967295EEENS1_25partition_config_selectorILNS1_17partition_subalgoE3EjNS0_10empty_typeEbEEZZNS1_14partition_implILS8_3ELb0ES6_jNS0_17counting_iteratorIjlEEPS9_SE_NS0_5tupleIJPjSE_EEENSF_IJSE_SE_EEES9_SG_JZNS1_25segmented_radix_sort_implINS0_14default_configELb0EPK6__halfPSL_PKlPlN2at6native12_GLOBAL__N_18offset_tEEE10hipError_tPvRmT1_PNSt15iterator_traitsISZ_E10value_typeET2_T3_PNS10_IS15_E10value_typeET4_jRbjT5_S1B_jjP12ihipStream_tbEUljE_EEESW_SX_SY_S15_S19_S1B_T6_T7_T9_mT8_S1D_bDpT10_ENKUlT_T0_E_clISt17integral_constantIbLb1EES1Q_EEDaS1L_S1M_EUlS1L_E_NS1_11comp_targetILNS1_3genE8ELNS1_11target_archE1030ELNS1_3gpuE2ELNS1_3repE0EEENS1_30default_config_static_selectorELNS0_4arch9wavefront6targetE1EEEvSZ_
; %bb.0:
	.section	.rodata,"a",@progbits
	.p2align	6, 0x0
	.amdhsa_kernel _ZN7rocprim17ROCPRIM_400000_NS6detail17trampoline_kernelINS0_13select_configILj256ELj13ELNS0_17block_load_methodE3ELS4_3ELS4_3ELNS0_20block_scan_algorithmE0ELj4294967295EEENS1_25partition_config_selectorILNS1_17partition_subalgoE3EjNS0_10empty_typeEbEEZZNS1_14partition_implILS8_3ELb0ES6_jNS0_17counting_iteratorIjlEEPS9_SE_NS0_5tupleIJPjSE_EEENSF_IJSE_SE_EEES9_SG_JZNS1_25segmented_radix_sort_implINS0_14default_configELb0EPK6__halfPSL_PKlPlN2at6native12_GLOBAL__N_18offset_tEEE10hipError_tPvRmT1_PNSt15iterator_traitsISZ_E10value_typeET2_T3_PNS10_IS15_E10value_typeET4_jRbjT5_S1B_jjP12ihipStream_tbEUljE_EEESW_SX_SY_S15_S19_S1B_T6_T7_T9_mT8_S1D_bDpT10_ENKUlT_T0_E_clISt17integral_constantIbLb1EES1Q_EEDaS1L_S1M_EUlS1L_E_NS1_11comp_targetILNS1_3genE8ELNS1_11target_archE1030ELNS1_3gpuE2ELNS1_3repE0EEENS1_30default_config_static_selectorELNS0_4arch9wavefront6targetE1EEEvSZ_
		.amdhsa_group_segment_fixed_size 0
		.amdhsa_private_segment_fixed_size 0
		.amdhsa_kernarg_size 152
		.amdhsa_user_sgpr_count 6
		.amdhsa_user_sgpr_private_segment_buffer 1
		.amdhsa_user_sgpr_dispatch_ptr 0
		.amdhsa_user_sgpr_queue_ptr 0
		.amdhsa_user_sgpr_kernarg_segment_ptr 1
		.amdhsa_user_sgpr_dispatch_id 0
		.amdhsa_user_sgpr_flat_scratch_init 0
		.amdhsa_user_sgpr_private_segment_size 0
		.amdhsa_uses_dynamic_stack 0
		.amdhsa_system_sgpr_private_segment_wavefront_offset 0
		.amdhsa_system_sgpr_workgroup_id_x 1
		.amdhsa_system_sgpr_workgroup_id_y 0
		.amdhsa_system_sgpr_workgroup_id_z 0
		.amdhsa_system_sgpr_workgroup_info 0
		.amdhsa_system_vgpr_workitem_id 0
		.amdhsa_next_free_vgpr 1
		.amdhsa_next_free_sgpr 0
		.amdhsa_reserve_vcc 0
		.amdhsa_reserve_flat_scratch 0
		.amdhsa_float_round_mode_32 0
		.amdhsa_float_round_mode_16_64 0
		.amdhsa_float_denorm_mode_32 3
		.amdhsa_float_denorm_mode_16_64 3
		.amdhsa_dx10_clamp 1
		.amdhsa_ieee_mode 1
		.amdhsa_fp16_overflow 0
		.amdhsa_exception_fp_ieee_invalid_op 0
		.amdhsa_exception_fp_denorm_src 0
		.amdhsa_exception_fp_ieee_div_zero 0
		.amdhsa_exception_fp_ieee_overflow 0
		.amdhsa_exception_fp_ieee_underflow 0
		.amdhsa_exception_fp_ieee_inexact 0
		.amdhsa_exception_int_div_zero 0
	.end_amdhsa_kernel
	.section	.text._ZN7rocprim17ROCPRIM_400000_NS6detail17trampoline_kernelINS0_13select_configILj256ELj13ELNS0_17block_load_methodE3ELS4_3ELS4_3ELNS0_20block_scan_algorithmE0ELj4294967295EEENS1_25partition_config_selectorILNS1_17partition_subalgoE3EjNS0_10empty_typeEbEEZZNS1_14partition_implILS8_3ELb0ES6_jNS0_17counting_iteratorIjlEEPS9_SE_NS0_5tupleIJPjSE_EEENSF_IJSE_SE_EEES9_SG_JZNS1_25segmented_radix_sort_implINS0_14default_configELb0EPK6__halfPSL_PKlPlN2at6native12_GLOBAL__N_18offset_tEEE10hipError_tPvRmT1_PNSt15iterator_traitsISZ_E10value_typeET2_T3_PNS10_IS15_E10value_typeET4_jRbjT5_S1B_jjP12ihipStream_tbEUljE_EEESW_SX_SY_S15_S19_S1B_T6_T7_T9_mT8_S1D_bDpT10_ENKUlT_T0_E_clISt17integral_constantIbLb1EES1Q_EEDaS1L_S1M_EUlS1L_E_NS1_11comp_targetILNS1_3genE8ELNS1_11target_archE1030ELNS1_3gpuE2ELNS1_3repE0EEENS1_30default_config_static_selectorELNS0_4arch9wavefront6targetE1EEEvSZ_,"axG",@progbits,_ZN7rocprim17ROCPRIM_400000_NS6detail17trampoline_kernelINS0_13select_configILj256ELj13ELNS0_17block_load_methodE3ELS4_3ELS4_3ELNS0_20block_scan_algorithmE0ELj4294967295EEENS1_25partition_config_selectorILNS1_17partition_subalgoE3EjNS0_10empty_typeEbEEZZNS1_14partition_implILS8_3ELb0ES6_jNS0_17counting_iteratorIjlEEPS9_SE_NS0_5tupleIJPjSE_EEENSF_IJSE_SE_EEES9_SG_JZNS1_25segmented_radix_sort_implINS0_14default_configELb0EPK6__halfPSL_PKlPlN2at6native12_GLOBAL__N_18offset_tEEE10hipError_tPvRmT1_PNSt15iterator_traitsISZ_E10value_typeET2_T3_PNS10_IS15_E10value_typeET4_jRbjT5_S1B_jjP12ihipStream_tbEUljE_EEESW_SX_SY_S15_S19_S1B_T6_T7_T9_mT8_S1D_bDpT10_ENKUlT_T0_E_clISt17integral_constantIbLb1EES1Q_EEDaS1L_S1M_EUlS1L_E_NS1_11comp_targetILNS1_3genE8ELNS1_11target_archE1030ELNS1_3gpuE2ELNS1_3repE0EEENS1_30default_config_static_selectorELNS0_4arch9wavefront6targetE1EEEvSZ_,comdat
.Lfunc_end1825:
	.size	_ZN7rocprim17ROCPRIM_400000_NS6detail17trampoline_kernelINS0_13select_configILj256ELj13ELNS0_17block_load_methodE3ELS4_3ELS4_3ELNS0_20block_scan_algorithmE0ELj4294967295EEENS1_25partition_config_selectorILNS1_17partition_subalgoE3EjNS0_10empty_typeEbEEZZNS1_14partition_implILS8_3ELb0ES6_jNS0_17counting_iteratorIjlEEPS9_SE_NS0_5tupleIJPjSE_EEENSF_IJSE_SE_EEES9_SG_JZNS1_25segmented_radix_sort_implINS0_14default_configELb0EPK6__halfPSL_PKlPlN2at6native12_GLOBAL__N_18offset_tEEE10hipError_tPvRmT1_PNSt15iterator_traitsISZ_E10value_typeET2_T3_PNS10_IS15_E10value_typeET4_jRbjT5_S1B_jjP12ihipStream_tbEUljE_EEESW_SX_SY_S15_S19_S1B_T6_T7_T9_mT8_S1D_bDpT10_ENKUlT_T0_E_clISt17integral_constantIbLb1EES1Q_EEDaS1L_S1M_EUlS1L_E_NS1_11comp_targetILNS1_3genE8ELNS1_11target_archE1030ELNS1_3gpuE2ELNS1_3repE0EEENS1_30default_config_static_selectorELNS0_4arch9wavefront6targetE1EEEvSZ_, .Lfunc_end1825-_ZN7rocprim17ROCPRIM_400000_NS6detail17trampoline_kernelINS0_13select_configILj256ELj13ELNS0_17block_load_methodE3ELS4_3ELS4_3ELNS0_20block_scan_algorithmE0ELj4294967295EEENS1_25partition_config_selectorILNS1_17partition_subalgoE3EjNS0_10empty_typeEbEEZZNS1_14partition_implILS8_3ELb0ES6_jNS0_17counting_iteratorIjlEEPS9_SE_NS0_5tupleIJPjSE_EEENSF_IJSE_SE_EEES9_SG_JZNS1_25segmented_radix_sort_implINS0_14default_configELb0EPK6__halfPSL_PKlPlN2at6native12_GLOBAL__N_18offset_tEEE10hipError_tPvRmT1_PNSt15iterator_traitsISZ_E10value_typeET2_T3_PNS10_IS15_E10value_typeET4_jRbjT5_S1B_jjP12ihipStream_tbEUljE_EEESW_SX_SY_S15_S19_S1B_T6_T7_T9_mT8_S1D_bDpT10_ENKUlT_T0_E_clISt17integral_constantIbLb1EES1Q_EEDaS1L_S1M_EUlS1L_E_NS1_11comp_targetILNS1_3genE8ELNS1_11target_archE1030ELNS1_3gpuE2ELNS1_3repE0EEENS1_30default_config_static_selectorELNS0_4arch9wavefront6targetE1EEEvSZ_
                                        ; -- End function
	.set _ZN7rocprim17ROCPRIM_400000_NS6detail17trampoline_kernelINS0_13select_configILj256ELj13ELNS0_17block_load_methodE3ELS4_3ELS4_3ELNS0_20block_scan_algorithmE0ELj4294967295EEENS1_25partition_config_selectorILNS1_17partition_subalgoE3EjNS0_10empty_typeEbEEZZNS1_14partition_implILS8_3ELb0ES6_jNS0_17counting_iteratorIjlEEPS9_SE_NS0_5tupleIJPjSE_EEENSF_IJSE_SE_EEES9_SG_JZNS1_25segmented_radix_sort_implINS0_14default_configELb0EPK6__halfPSL_PKlPlN2at6native12_GLOBAL__N_18offset_tEEE10hipError_tPvRmT1_PNSt15iterator_traitsISZ_E10value_typeET2_T3_PNS10_IS15_E10value_typeET4_jRbjT5_S1B_jjP12ihipStream_tbEUljE_EEESW_SX_SY_S15_S19_S1B_T6_T7_T9_mT8_S1D_bDpT10_ENKUlT_T0_E_clISt17integral_constantIbLb1EES1Q_EEDaS1L_S1M_EUlS1L_E_NS1_11comp_targetILNS1_3genE8ELNS1_11target_archE1030ELNS1_3gpuE2ELNS1_3repE0EEENS1_30default_config_static_selectorELNS0_4arch9wavefront6targetE1EEEvSZ_.num_vgpr, 0
	.set _ZN7rocprim17ROCPRIM_400000_NS6detail17trampoline_kernelINS0_13select_configILj256ELj13ELNS0_17block_load_methodE3ELS4_3ELS4_3ELNS0_20block_scan_algorithmE0ELj4294967295EEENS1_25partition_config_selectorILNS1_17partition_subalgoE3EjNS0_10empty_typeEbEEZZNS1_14partition_implILS8_3ELb0ES6_jNS0_17counting_iteratorIjlEEPS9_SE_NS0_5tupleIJPjSE_EEENSF_IJSE_SE_EEES9_SG_JZNS1_25segmented_radix_sort_implINS0_14default_configELb0EPK6__halfPSL_PKlPlN2at6native12_GLOBAL__N_18offset_tEEE10hipError_tPvRmT1_PNSt15iterator_traitsISZ_E10value_typeET2_T3_PNS10_IS15_E10value_typeET4_jRbjT5_S1B_jjP12ihipStream_tbEUljE_EEESW_SX_SY_S15_S19_S1B_T6_T7_T9_mT8_S1D_bDpT10_ENKUlT_T0_E_clISt17integral_constantIbLb1EES1Q_EEDaS1L_S1M_EUlS1L_E_NS1_11comp_targetILNS1_3genE8ELNS1_11target_archE1030ELNS1_3gpuE2ELNS1_3repE0EEENS1_30default_config_static_selectorELNS0_4arch9wavefront6targetE1EEEvSZ_.num_agpr, 0
	.set _ZN7rocprim17ROCPRIM_400000_NS6detail17trampoline_kernelINS0_13select_configILj256ELj13ELNS0_17block_load_methodE3ELS4_3ELS4_3ELNS0_20block_scan_algorithmE0ELj4294967295EEENS1_25partition_config_selectorILNS1_17partition_subalgoE3EjNS0_10empty_typeEbEEZZNS1_14partition_implILS8_3ELb0ES6_jNS0_17counting_iteratorIjlEEPS9_SE_NS0_5tupleIJPjSE_EEENSF_IJSE_SE_EEES9_SG_JZNS1_25segmented_radix_sort_implINS0_14default_configELb0EPK6__halfPSL_PKlPlN2at6native12_GLOBAL__N_18offset_tEEE10hipError_tPvRmT1_PNSt15iterator_traitsISZ_E10value_typeET2_T3_PNS10_IS15_E10value_typeET4_jRbjT5_S1B_jjP12ihipStream_tbEUljE_EEESW_SX_SY_S15_S19_S1B_T6_T7_T9_mT8_S1D_bDpT10_ENKUlT_T0_E_clISt17integral_constantIbLb1EES1Q_EEDaS1L_S1M_EUlS1L_E_NS1_11comp_targetILNS1_3genE8ELNS1_11target_archE1030ELNS1_3gpuE2ELNS1_3repE0EEENS1_30default_config_static_selectorELNS0_4arch9wavefront6targetE1EEEvSZ_.numbered_sgpr, 0
	.set _ZN7rocprim17ROCPRIM_400000_NS6detail17trampoline_kernelINS0_13select_configILj256ELj13ELNS0_17block_load_methodE3ELS4_3ELS4_3ELNS0_20block_scan_algorithmE0ELj4294967295EEENS1_25partition_config_selectorILNS1_17partition_subalgoE3EjNS0_10empty_typeEbEEZZNS1_14partition_implILS8_3ELb0ES6_jNS0_17counting_iteratorIjlEEPS9_SE_NS0_5tupleIJPjSE_EEENSF_IJSE_SE_EEES9_SG_JZNS1_25segmented_radix_sort_implINS0_14default_configELb0EPK6__halfPSL_PKlPlN2at6native12_GLOBAL__N_18offset_tEEE10hipError_tPvRmT1_PNSt15iterator_traitsISZ_E10value_typeET2_T3_PNS10_IS15_E10value_typeET4_jRbjT5_S1B_jjP12ihipStream_tbEUljE_EEESW_SX_SY_S15_S19_S1B_T6_T7_T9_mT8_S1D_bDpT10_ENKUlT_T0_E_clISt17integral_constantIbLb1EES1Q_EEDaS1L_S1M_EUlS1L_E_NS1_11comp_targetILNS1_3genE8ELNS1_11target_archE1030ELNS1_3gpuE2ELNS1_3repE0EEENS1_30default_config_static_selectorELNS0_4arch9wavefront6targetE1EEEvSZ_.num_named_barrier, 0
	.set _ZN7rocprim17ROCPRIM_400000_NS6detail17trampoline_kernelINS0_13select_configILj256ELj13ELNS0_17block_load_methodE3ELS4_3ELS4_3ELNS0_20block_scan_algorithmE0ELj4294967295EEENS1_25partition_config_selectorILNS1_17partition_subalgoE3EjNS0_10empty_typeEbEEZZNS1_14partition_implILS8_3ELb0ES6_jNS0_17counting_iteratorIjlEEPS9_SE_NS0_5tupleIJPjSE_EEENSF_IJSE_SE_EEES9_SG_JZNS1_25segmented_radix_sort_implINS0_14default_configELb0EPK6__halfPSL_PKlPlN2at6native12_GLOBAL__N_18offset_tEEE10hipError_tPvRmT1_PNSt15iterator_traitsISZ_E10value_typeET2_T3_PNS10_IS15_E10value_typeET4_jRbjT5_S1B_jjP12ihipStream_tbEUljE_EEESW_SX_SY_S15_S19_S1B_T6_T7_T9_mT8_S1D_bDpT10_ENKUlT_T0_E_clISt17integral_constantIbLb1EES1Q_EEDaS1L_S1M_EUlS1L_E_NS1_11comp_targetILNS1_3genE8ELNS1_11target_archE1030ELNS1_3gpuE2ELNS1_3repE0EEENS1_30default_config_static_selectorELNS0_4arch9wavefront6targetE1EEEvSZ_.private_seg_size, 0
	.set _ZN7rocprim17ROCPRIM_400000_NS6detail17trampoline_kernelINS0_13select_configILj256ELj13ELNS0_17block_load_methodE3ELS4_3ELS4_3ELNS0_20block_scan_algorithmE0ELj4294967295EEENS1_25partition_config_selectorILNS1_17partition_subalgoE3EjNS0_10empty_typeEbEEZZNS1_14partition_implILS8_3ELb0ES6_jNS0_17counting_iteratorIjlEEPS9_SE_NS0_5tupleIJPjSE_EEENSF_IJSE_SE_EEES9_SG_JZNS1_25segmented_radix_sort_implINS0_14default_configELb0EPK6__halfPSL_PKlPlN2at6native12_GLOBAL__N_18offset_tEEE10hipError_tPvRmT1_PNSt15iterator_traitsISZ_E10value_typeET2_T3_PNS10_IS15_E10value_typeET4_jRbjT5_S1B_jjP12ihipStream_tbEUljE_EEESW_SX_SY_S15_S19_S1B_T6_T7_T9_mT8_S1D_bDpT10_ENKUlT_T0_E_clISt17integral_constantIbLb1EES1Q_EEDaS1L_S1M_EUlS1L_E_NS1_11comp_targetILNS1_3genE8ELNS1_11target_archE1030ELNS1_3gpuE2ELNS1_3repE0EEENS1_30default_config_static_selectorELNS0_4arch9wavefront6targetE1EEEvSZ_.uses_vcc, 0
	.set _ZN7rocprim17ROCPRIM_400000_NS6detail17trampoline_kernelINS0_13select_configILj256ELj13ELNS0_17block_load_methodE3ELS4_3ELS4_3ELNS0_20block_scan_algorithmE0ELj4294967295EEENS1_25partition_config_selectorILNS1_17partition_subalgoE3EjNS0_10empty_typeEbEEZZNS1_14partition_implILS8_3ELb0ES6_jNS0_17counting_iteratorIjlEEPS9_SE_NS0_5tupleIJPjSE_EEENSF_IJSE_SE_EEES9_SG_JZNS1_25segmented_radix_sort_implINS0_14default_configELb0EPK6__halfPSL_PKlPlN2at6native12_GLOBAL__N_18offset_tEEE10hipError_tPvRmT1_PNSt15iterator_traitsISZ_E10value_typeET2_T3_PNS10_IS15_E10value_typeET4_jRbjT5_S1B_jjP12ihipStream_tbEUljE_EEESW_SX_SY_S15_S19_S1B_T6_T7_T9_mT8_S1D_bDpT10_ENKUlT_T0_E_clISt17integral_constantIbLb1EES1Q_EEDaS1L_S1M_EUlS1L_E_NS1_11comp_targetILNS1_3genE8ELNS1_11target_archE1030ELNS1_3gpuE2ELNS1_3repE0EEENS1_30default_config_static_selectorELNS0_4arch9wavefront6targetE1EEEvSZ_.uses_flat_scratch, 0
	.set _ZN7rocprim17ROCPRIM_400000_NS6detail17trampoline_kernelINS0_13select_configILj256ELj13ELNS0_17block_load_methodE3ELS4_3ELS4_3ELNS0_20block_scan_algorithmE0ELj4294967295EEENS1_25partition_config_selectorILNS1_17partition_subalgoE3EjNS0_10empty_typeEbEEZZNS1_14partition_implILS8_3ELb0ES6_jNS0_17counting_iteratorIjlEEPS9_SE_NS0_5tupleIJPjSE_EEENSF_IJSE_SE_EEES9_SG_JZNS1_25segmented_radix_sort_implINS0_14default_configELb0EPK6__halfPSL_PKlPlN2at6native12_GLOBAL__N_18offset_tEEE10hipError_tPvRmT1_PNSt15iterator_traitsISZ_E10value_typeET2_T3_PNS10_IS15_E10value_typeET4_jRbjT5_S1B_jjP12ihipStream_tbEUljE_EEESW_SX_SY_S15_S19_S1B_T6_T7_T9_mT8_S1D_bDpT10_ENKUlT_T0_E_clISt17integral_constantIbLb1EES1Q_EEDaS1L_S1M_EUlS1L_E_NS1_11comp_targetILNS1_3genE8ELNS1_11target_archE1030ELNS1_3gpuE2ELNS1_3repE0EEENS1_30default_config_static_selectorELNS0_4arch9wavefront6targetE1EEEvSZ_.has_dyn_sized_stack, 0
	.set _ZN7rocprim17ROCPRIM_400000_NS6detail17trampoline_kernelINS0_13select_configILj256ELj13ELNS0_17block_load_methodE3ELS4_3ELS4_3ELNS0_20block_scan_algorithmE0ELj4294967295EEENS1_25partition_config_selectorILNS1_17partition_subalgoE3EjNS0_10empty_typeEbEEZZNS1_14partition_implILS8_3ELb0ES6_jNS0_17counting_iteratorIjlEEPS9_SE_NS0_5tupleIJPjSE_EEENSF_IJSE_SE_EEES9_SG_JZNS1_25segmented_radix_sort_implINS0_14default_configELb0EPK6__halfPSL_PKlPlN2at6native12_GLOBAL__N_18offset_tEEE10hipError_tPvRmT1_PNSt15iterator_traitsISZ_E10value_typeET2_T3_PNS10_IS15_E10value_typeET4_jRbjT5_S1B_jjP12ihipStream_tbEUljE_EEESW_SX_SY_S15_S19_S1B_T6_T7_T9_mT8_S1D_bDpT10_ENKUlT_T0_E_clISt17integral_constantIbLb1EES1Q_EEDaS1L_S1M_EUlS1L_E_NS1_11comp_targetILNS1_3genE8ELNS1_11target_archE1030ELNS1_3gpuE2ELNS1_3repE0EEENS1_30default_config_static_selectorELNS0_4arch9wavefront6targetE1EEEvSZ_.has_recursion, 0
	.set _ZN7rocprim17ROCPRIM_400000_NS6detail17trampoline_kernelINS0_13select_configILj256ELj13ELNS0_17block_load_methodE3ELS4_3ELS4_3ELNS0_20block_scan_algorithmE0ELj4294967295EEENS1_25partition_config_selectorILNS1_17partition_subalgoE3EjNS0_10empty_typeEbEEZZNS1_14partition_implILS8_3ELb0ES6_jNS0_17counting_iteratorIjlEEPS9_SE_NS0_5tupleIJPjSE_EEENSF_IJSE_SE_EEES9_SG_JZNS1_25segmented_radix_sort_implINS0_14default_configELb0EPK6__halfPSL_PKlPlN2at6native12_GLOBAL__N_18offset_tEEE10hipError_tPvRmT1_PNSt15iterator_traitsISZ_E10value_typeET2_T3_PNS10_IS15_E10value_typeET4_jRbjT5_S1B_jjP12ihipStream_tbEUljE_EEESW_SX_SY_S15_S19_S1B_T6_T7_T9_mT8_S1D_bDpT10_ENKUlT_T0_E_clISt17integral_constantIbLb1EES1Q_EEDaS1L_S1M_EUlS1L_E_NS1_11comp_targetILNS1_3genE8ELNS1_11target_archE1030ELNS1_3gpuE2ELNS1_3repE0EEENS1_30default_config_static_selectorELNS0_4arch9wavefront6targetE1EEEvSZ_.has_indirect_call, 0
	.section	.AMDGPU.csdata,"",@progbits
; Kernel info:
; codeLenInByte = 0
; TotalNumSgprs: 4
; NumVgprs: 0
; ScratchSize: 0
; MemoryBound: 0
; FloatMode: 240
; IeeeMode: 1
; LDSByteSize: 0 bytes/workgroup (compile time only)
; SGPRBlocks: 0
; VGPRBlocks: 0
; NumSGPRsForWavesPerEU: 4
; NumVGPRsForWavesPerEU: 1
; Occupancy: 10
; WaveLimiterHint : 0
; COMPUTE_PGM_RSRC2:SCRATCH_EN: 0
; COMPUTE_PGM_RSRC2:USER_SGPR: 6
; COMPUTE_PGM_RSRC2:TRAP_HANDLER: 0
; COMPUTE_PGM_RSRC2:TGID_X_EN: 1
; COMPUTE_PGM_RSRC2:TGID_Y_EN: 0
; COMPUTE_PGM_RSRC2:TGID_Z_EN: 0
; COMPUTE_PGM_RSRC2:TIDIG_COMP_CNT: 0
	.section	.text._ZN7rocprim17ROCPRIM_400000_NS6detail17trampoline_kernelINS0_13select_configILj256ELj13ELNS0_17block_load_methodE3ELS4_3ELS4_3ELNS0_20block_scan_algorithmE0ELj4294967295EEENS1_25partition_config_selectorILNS1_17partition_subalgoE3EjNS0_10empty_typeEbEEZZNS1_14partition_implILS8_3ELb0ES6_jNS0_17counting_iteratorIjlEEPS9_SE_NS0_5tupleIJPjSE_EEENSF_IJSE_SE_EEES9_SG_JZNS1_25segmented_radix_sort_implINS0_14default_configELb0EPK6__halfPSL_PKlPlN2at6native12_GLOBAL__N_18offset_tEEE10hipError_tPvRmT1_PNSt15iterator_traitsISZ_E10value_typeET2_T3_PNS10_IS15_E10value_typeET4_jRbjT5_S1B_jjP12ihipStream_tbEUljE_EEESW_SX_SY_S15_S19_S1B_T6_T7_T9_mT8_S1D_bDpT10_ENKUlT_T0_E_clISt17integral_constantIbLb1EES1P_IbLb0EEEEDaS1L_S1M_EUlS1L_E_NS1_11comp_targetILNS1_3genE0ELNS1_11target_archE4294967295ELNS1_3gpuE0ELNS1_3repE0EEENS1_30default_config_static_selectorELNS0_4arch9wavefront6targetE1EEEvSZ_,"axG",@progbits,_ZN7rocprim17ROCPRIM_400000_NS6detail17trampoline_kernelINS0_13select_configILj256ELj13ELNS0_17block_load_methodE3ELS4_3ELS4_3ELNS0_20block_scan_algorithmE0ELj4294967295EEENS1_25partition_config_selectorILNS1_17partition_subalgoE3EjNS0_10empty_typeEbEEZZNS1_14partition_implILS8_3ELb0ES6_jNS0_17counting_iteratorIjlEEPS9_SE_NS0_5tupleIJPjSE_EEENSF_IJSE_SE_EEES9_SG_JZNS1_25segmented_radix_sort_implINS0_14default_configELb0EPK6__halfPSL_PKlPlN2at6native12_GLOBAL__N_18offset_tEEE10hipError_tPvRmT1_PNSt15iterator_traitsISZ_E10value_typeET2_T3_PNS10_IS15_E10value_typeET4_jRbjT5_S1B_jjP12ihipStream_tbEUljE_EEESW_SX_SY_S15_S19_S1B_T6_T7_T9_mT8_S1D_bDpT10_ENKUlT_T0_E_clISt17integral_constantIbLb1EES1P_IbLb0EEEEDaS1L_S1M_EUlS1L_E_NS1_11comp_targetILNS1_3genE0ELNS1_11target_archE4294967295ELNS1_3gpuE0ELNS1_3repE0EEENS1_30default_config_static_selectorELNS0_4arch9wavefront6targetE1EEEvSZ_,comdat
	.globl	_ZN7rocprim17ROCPRIM_400000_NS6detail17trampoline_kernelINS0_13select_configILj256ELj13ELNS0_17block_load_methodE3ELS4_3ELS4_3ELNS0_20block_scan_algorithmE0ELj4294967295EEENS1_25partition_config_selectorILNS1_17partition_subalgoE3EjNS0_10empty_typeEbEEZZNS1_14partition_implILS8_3ELb0ES6_jNS0_17counting_iteratorIjlEEPS9_SE_NS0_5tupleIJPjSE_EEENSF_IJSE_SE_EEES9_SG_JZNS1_25segmented_radix_sort_implINS0_14default_configELb0EPK6__halfPSL_PKlPlN2at6native12_GLOBAL__N_18offset_tEEE10hipError_tPvRmT1_PNSt15iterator_traitsISZ_E10value_typeET2_T3_PNS10_IS15_E10value_typeET4_jRbjT5_S1B_jjP12ihipStream_tbEUljE_EEESW_SX_SY_S15_S19_S1B_T6_T7_T9_mT8_S1D_bDpT10_ENKUlT_T0_E_clISt17integral_constantIbLb1EES1P_IbLb0EEEEDaS1L_S1M_EUlS1L_E_NS1_11comp_targetILNS1_3genE0ELNS1_11target_archE4294967295ELNS1_3gpuE0ELNS1_3repE0EEENS1_30default_config_static_selectorELNS0_4arch9wavefront6targetE1EEEvSZ_ ; -- Begin function _ZN7rocprim17ROCPRIM_400000_NS6detail17trampoline_kernelINS0_13select_configILj256ELj13ELNS0_17block_load_methodE3ELS4_3ELS4_3ELNS0_20block_scan_algorithmE0ELj4294967295EEENS1_25partition_config_selectorILNS1_17partition_subalgoE3EjNS0_10empty_typeEbEEZZNS1_14partition_implILS8_3ELb0ES6_jNS0_17counting_iteratorIjlEEPS9_SE_NS0_5tupleIJPjSE_EEENSF_IJSE_SE_EEES9_SG_JZNS1_25segmented_radix_sort_implINS0_14default_configELb0EPK6__halfPSL_PKlPlN2at6native12_GLOBAL__N_18offset_tEEE10hipError_tPvRmT1_PNSt15iterator_traitsISZ_E10value_typeET2_T3_PNS10_IS15_E10value_typeET4_jRbjT5_S1B_jjP12ihipStream_tbEUljE_EEESW_SX_SY_S15_S19_S1B_T6_T7_T9_mT8_S1D_bDpT10_ENKUlT_T0_E_clISt17integral_constantIbLb1EES1P_IbLb0EEEEDaS1L_S1M_EUlS1L_E_NS1_11comp_targetILNS1_3genE0ELNS1_11target_archE4294967295ELNS1_3gpuE0ELNS1_3repE0EEENS1_30default_config_static_selectorELNS0_4arch9wavefront6targetE1EEEvSZ_
	.p2align	8
	.type	_ZN7rocprim17ROCPRIM_400000_NS6detail17trampoline_kernelINS0_13select_configILj256ELj13ELNS0_17block_load_methodE3ELS4_3ELS4_3ELNS0_20block_scan_algorithmE0ELj4294967295EEENS1_25partition_config_selectorILNS1_17partition_subalgoE3EjNS0_10empty_typeEbEEZZNS1_14partition_implILS8_3ELb0ES6_jNS0_17counting_iteratorIjlEEPS9_SE_NS0_5tupleIJPjSE_EEENSF_IJSE_SE_EEES9_SG_JZNS1_25segmented_radix_sort_implINS0_14default_configELb0EPK6__halfPSL_PKlPlN2at6native12_GLOBAL__N_18offset_tEEE10hipError_tPvRmT1_PNSt15iterator_traitsISZ_E10value_typeET2_T3_PNS10_IS15_E10value_typeET4_jRbjT5_S1B_jjP12ihipStream_tbEUljE_EEESW_SX_SY_S15_S19_S1B_T6_T7_T9_mT8_S1D_bDpT10_ENKUlT_T0_E_clISt17integral_constantIbLb1EES1P_IbLb0EEEEDaS1L_S1M_EUlS1L_E_NS1_11comp_targetILNS1_3genE0ELNS1_11target_archE4294967295ELNS1_3gpuE0ELNS1_3repE0EEENS1_30default_config_static_selectorELNS0_4arch9wavefront6targetE1EEEvSZ_,@function
_ZN7rocprim17ROCPRIM_400000_NS6detail17trampoline_kernelINS0_13select_configILj256ELj13ELNS0_17block_load_methodE3ELS4_3ELS4_3ELNS0_20block_scan_algorithmE0ELj4294967295EEENS1_25partition_config_selectorILNS1_17partition_subalgoE3EjNS0_10empty_typeEbEEZZNS1_14partition_implILS8_3ELb0ES6_jNS0_17counting_iteratorIjlEEPS9_SE_NS0_5tupleIJPjSE_EEENSF_IJSE_SE_EEES9_SG_JZNS1_25segmented_radix_sort_implINS0_14default_configELb0EPK6__halfPSL_PKlPlN2at6native12_GLOBAL__N_18offset_tEEE10hipError_tPvRmT1_PNSt15iterator_traitsISZ_E10value_typeET2_T3_PNS10_IS15_E10value_typeET4_jRbjT5_S1B_jjP12ihipStream_tbEUljE_EEESW_SX_SY_S15_S19_S1B_T6_T7_T9_mT8_S1D_bDpT10_ENKUlT_T0_E_clISt17integral_constantIbLb1EES1P_IbLb0EEEEDaS1L_S1M_EUlS1L_E_NS1_11comp_targetILNS1_3genE0ELNS1_11target_archE4294967295ELNS1_3gpuE0ELNS1_3repE0EEENS1_30default_config_static_selectorELNS0_4arch9wavefront6targetE1EEEvSZ_: ; @_ZN7rocprim17ROCPRIM_400000_NS6detail17trampoline_kernelINS0_13select_configILj256ELj13ELNS0_17block_load_methodE3ELS4_3ELS4_3ELNS0_20block_scan_algorithmE0ELj4294967295EEENS1_25partition_config_selectorILNS1_17partition_subalgoE3EjNS0_10empty_typeEbEEZZNS1_14partition_implILS8_3ELb0ES6_jNS0_17counting_iteratorIjlEEPS9_SE_NS0_5tupleIJPjSE_EEENSF_IJSE_SE_EEES9_SG_JZNS1_25segmented_radix_sort_implINS0_14default_configELb0EPK6__halfPSL_PKlPlN2at6native12_GLOBAL__N_18offset_tEEE10hipError_tPvRmT1_PNSt15iterator_traitsISZ_E10value_typeET2_T3_PNS10_IS15_E10value_typeET4_jRbjT5_S1B_jjP12ihipStream_tbEUljE_EEESW_SX_SY_S15_S19_S1B_T6_T7_T9_mT8_S1D_bDpT10_ENKUlT_T0_E_clISt17integral_constantIbLb1EES1P_IbLb0EEEEDaS1L_S1M_EUlS1L_E_NS1_11comp_targetILNS1_3genE0ELNS1_11target_archE4294967295ELNS1_3gpuE0ELNS1_3repE0EEENS1_30default_config_static_selectorELNS0_4arch9wavefront6targetE1EEEvSZ_
; %bb.0:
	.section	.rodata,"a",@progbits
	.p2align	6, 0x0
	.amdhsa_kernel _ZN7rocprim17ROCPRIM_400000_NS6detail17trampoline_kernelINS0_13select_configILj256ELj13ELNS0_17block_load_methodE3ELS4_3ELS4_3ELNS0_20block_scan_algorithmE0ELj4294967295EEENS1_25partition_config_selectorILNS1_17partition_subalgoE3EjNS0_10empty_typeEbEEZZNS1_14partition_implILS8_3ELb0ES6_jNS0_17counting_iteratorIjlEEPS9_SE_NS0_5tupleIJPjSE_EEENSF_IJSE_SE_EEES9_SG_JZNS1_25segmented_radix_sort_implINS0_14default_configELb0EPK6__halfPSL_PKlPlN2at6native12_GLOBAL__N_18offset_tEEE10hipError_tPvRmT1_PNSt15iterator_traitsISZ_E10value_typeET2_T3_PNS10_IS15_E10value_typeET4_jRbjT5_S1B_jjP12ihipStream_tbEUljE_EEESW_SX_SY_S15_S19_S1B_T6_T7_T9_mT8_S1D_bDpT10_ENKUlT_T0_E_clISt17integral_constantIbLb1EES1P_IbLb0EEEEDaS1L_S1M_EUlS1L_E_NS1_11comp_targetILNS1_3genE0ELNS1_11target_archE4294967295ELNS1_3gpuE0ELNS1_3repE0EEENS1_30default_config_static_selectorELNS0_4arch9wavefront6targetE1EEEvSZ_
		.amdhsa_group_segment_fixed_size 0
		.amdhsa_private_segment_fixed_size 0
		.amdhsa_kernarg_size 144
		.amdhsa_user_sgpr_count 6
		.amdhsa_user_sgpr_private_segment_buffer 1
		.amdhsa_user_sgpr_dispatch_ptr 0
		.amdhsa_user_sgpr_queue_ptr 0
		.amdhsa_user_sgpr_kernarg_segment_ptr 1
		.amdhsa_user_sgpr_dispatch_id 0
		.amdhsa_user_sgpr_flat_scratch_init 0
		.amdhsa_user_sgpr_private_segment_size 0
		.amdhsa_uses_dynamic_stack 0
		.amdhsa_system_sgpr_private_segment_wavefront_offset 0
		.amdhsa_system_sgpr_workgroup_id_x 1
		.amdhsa_system_sgpr_workgroup_id_y 0
		.amdhsa_system_sgpr_workgroup_id_z 0
		.amdhsa_system_sgpr_workgroup_info 0
		.amdhsa_system_vgpr_workitem_id 0
		.amdhsa_next_free_vgpr 1
		.amdhsa_next_free_sgpr 0
		.amdhsa_reserve_vcc 0
		.amdhsa_reserve_flat_scratch 0
		.amdhsa_float_round_mode_32 0
		.amdhsa_float_round_mode_16_64 0
		.amdhsa_float_denorm_mode_32 3
		.amdhsa_float_denorm_mode_16_64 3
		.amdhsa_dx10_clamp 1
		.amdhsa_ieee_mode 1
		.amdhsa_fp16_overflow 0
		.amdhsa_exception_fp_ieee_invalid_op 0
		.amdhsa_exception_fp_denorm_src 0
		.amdhsa_exception_fp_ieee_div_zero 0
		.amdhsa_exception_fp_ieee_overflow 0
		.amdhsa_exception_fp_ieee_underflow 0
		.amdhsa_exception_fp_ieee_inexact 0
		.amdhsa_exception_int_div_zero 0
	.end_amdhsa_kernel
	.section	.text._ZN7rocprim17ROCPRIM_400000_NS6detail17trampoline_kernelINS0_13select_configILj256ELj13ELNS0_17block_load_methodE3ELS4_3ELS4_3ELNS0_20block_scan_algorithmE0ELj4294967295EEENS1_25partition_config_selectorILNS1_17partition_subalgoE3EjNS0_10empty_typeEbEEZZNS1_14partition_implILS8_3ELb0ES6_jNS0_17counting_iteratorIjlEEPS9_SE_NS0_5tupleIJPjSE_EEENSF_IJSE_SE_EEES9_SG_JZNS1_25segmented_radix_sort_implINS0_14default_configELb0EPK6__halfPSL_PKlPlN2at6native12_GLOBAL__N_18offset_tEEE10hipError_tPvRmT1_PNSt15iterator_traitsISZ_E10value_typeET2_T3_PNS10_IS15_E10value_typeET4_jRbjT5_S1B_jjP12ihipStream_tbEUljE_EEESW_SX_SY_S15_S19_S1B_T6_T7_T9_mT8_S1D_bDpT10_ENKUlT_T0_E_clISt17integral_constantIbLb1EES1P_IbLb0EEEEDaS1L_S1M_EUlS1L_E_NS1_11comp_targetILNS1_3genE0ELNS1_11target_archE4294967295ELNS1_3gpuE0ELNS1_3repE0EEENS1_30default_config_static_selectorELNS0_4arch9wavefront6targetE1EEEvSZ_,"axG",@progbits,_ZN7rocprim17ROCPRIM_400000_NS6detail17trampoline_kernelINS0_13select_configILj256ELj13ELNS0_17block_load_methodE3ELS4_3ELS4_3ELNS0_20block_scan_algorithmE0ELj4294967295EEENS1_25partition_config_selectorILNS1_17partition_subalgoE3EjNS0_10empty_typeEbEEZZNS1_14partition_implILS8_3ELb0ES6_jNS0_17counting_iteratorIjlEEPS9_SE_NS0_5tupleIJPjSE_EEENSF_IJSE_SE_EEES9_SG_JZNS1_25segmented_radix_sort_implINS0_14default_configELb0EPK6__halfPSL_PKlPlN2at6native12_GLOBAL__N_18offset_tEEE10hipError_tPvRmT1_PNSt15iterator_traitsISZ_E10value_typeET2_T3_PNS10_IS15_E10value_typeET4_jRbjT5_S1B_jjP12ihipStream_tbEUljE_EEESW_SX_SY_S15_S19_S1B_T6_T7_T9_mT8_S1D_bDpT10_ENKUlT_T0_E_clISt17integral_constantIbLb1EES1P_IbLb0EEEEDaS1L_S1M_EUlS1L_E_NS1_11comp_targetILNS1_3genE0ELNS1_11target_archE4294967295ELNS1_3gpuE0ELNS1_3repE0EEENS1_30default_config_static_selectorELNS0_4arch9wavefront6targetE1EEEvSZ_,comdat
.Lfunc_end1826:
	.size	_ZN7rocprim17ROCPRIM_400000_NS6detail17trampoline_kernelINS0_13select_configILj256ELj13ELNS0_17block_load_methodE3ELS4_3ELS4_3ELNS0_20block_scan_algorithmE0ELj4294967295EEENS1_25partition_config_selectorILNS1_17partition_subalgoE3EjNS0_10empty_typeEbEEZZNS1_14partition_implILS8_3ELb0ES6_jNS0_17counting_iteratorIjlEEPS9_SE_NS0_5tupleIJPjSE_EEENSF_IJSE_SE_EEES9_SG_JZNS1_25segmented_radix_sort_implINS0_14default_configELb0EPK6__halfPSL_PKlPlN2at6native12_GLOBAL__N_18offset_tEEE10hipError_tPvRmT1_PNSt15iterator_traitsISZ_E10value_typeET2_T3_PNS10_IS15_E10value_typeET4_jRbjT5_S1B_jjP12ihipStream_tbEUljE_EEESW_SX_SY_S15_S19_S1B_T6_T7_T9_mT8_S1D_bDpT10_ENKUlT_T0_E_clISt17integral_constantIbLb1EES1P_IbLb0EEEEDaS1L_S1M_EUlS1L_E_NS1_11comp_targetILNS1_3genE0ELNS1_11target_archE4294967295ELNS1_3gpuE0ELNS1_3repE0EEENS1_30default_config_static_selectorELNS0_4arch9wavefront6targetE1EEEvSZ_, .Lfunc_end1826-_ZN7rocprim17ROCPRIM_400000_NS6detail17trampoline_kernelINS0_13select_configILj256ELj13ELNS0_17block_load_methodE3ELS4_3ELS4_3ELNS0_20block_scan_algorithmE0ELj4294967295EEENS1_25partition_config_selectorILNS1_17partition_subalgoE3EjNS0_10empty_typeEbEEZZNS1_14partition_implILS8_3ELb0ES6_jNS0_17counting_iteratorIjlEEPS9_SE_NS0_5tupleIJPjSE_EEENSF_IJSE_SE_EEES9_SG_JZNS1_25segmented_radix_sort_implINS0_14default_configELb0EPK6__halfPSL_PKlPlN2at6native12_GLOBAL__N_18offset_tEEE10hipError_tPvRmT1_PNSt15iterator_traitsISZ_E10value_typeET2_T3_PNS10_IS15_E10value_typeET4_jRbjT5_S1B_jjP12ihipStream_tbEUljE_EEESW_SX_SY_S15_S19_S1B_T6_T7_T9_mT8_S1D_bDpT10_ENKUlT_T0_E_clISt17integral_constantIbLb1EES1P_IbLb0EEEEDaS1L_S1M_EUlS1L_E_NS1_11comp_targetILNS1_3genE0ELNS1_11target_archE4294967295ELNS1_3gpuE0ELNS1_3repE0EEENS1_30default_config_static_selectorELNS0_4arch9wavefront6targetE1EEEvSZ_
                                        ; -- End function
	.set _ZN7rocprim17ROCPRIM_400000_NS6detail17trampoline_kernelINS0_13select_configILj256ELj13ELNS0_17block_load_methodE3ELS4_3ELS4_3ELNS0_20block_scan_algorithmE0ELj4294967295EEENS1_25partition_config_selectorILNS1_17partition_subalgoE3EjNS0_10empty_typeEbEEZZNS1_14partition_implILS8_3ELb0ES6_jNS0_17counting_iteratorIjlEEPS9_SE_NS0_5tupleIJPjSE_EEENSF_IJSE_SE_EEES9_SG_JZNS1_25segmented_radix_sort_implINS0_14default_configELb0EPK6__halfPSL_PKlPlN2at6native12_GLOBAL__N_18offset_tEEE10hipError_tPvRmT1_PNSt15iterator_traitsISZ_E10value_typeET2_T3_PNS10_IS15_E10value_typeET4_jRbjT5_S1B_jjP12ihipStream_tbEUljE_EEESW_SX_SY_S15_S19_S1B_T6_T7_T9_mT8_S1D_bDpT10_ENKUlT_T0_E_clISt17integral_constantIbLb1EES1P_IbLb0EEEEDaS1L_S1M_EUlS1L_E_NS1_11comp_targetILNS1_3genE0ELNS1_11target_archE4294967295ELNS1_3gpuE0ELNS1_3repE0EEENS1_30default_config_static_selectorELNS0_4arch9wavefront6targetE1EEEvSZ_.num_vgpr, 0
	.set _ZN7rocprim17ROCPRIM_400000_NS6detail17trampoline_kernelINS0_13select_configILj256ELj13ELNS0_17block_load_methodE3ELS4_3ELS4_3ELNS0_20block_scan_algorithmE0ELj4294967295EEENS1_25partition_config_selectorILNS1_17partition_subalgoE3EjNS0_10empty_typeEbEEZZNS1_14partition_implILS8_3ELb0ES6_jNS0_17counting_iteratorIjlEEPS9_SE_NS0_5tupleIJPjSE_EEENSF_IJSE_SE_EEES9_SG_JZNS1_25segmented_radix_sort_implINS0_14default_configELb0EPK6__halfPSL_PKlPlN2at6native12_GLOBAL__N_18offset_tEEE10hipError_tPvRmT1_PNSt15iterator_traitsISZ_E10value_typeET2_T3_PNS10_IS15_E10value_typeET4_jRbjT5_S1B_jjP12ihipStream_tbEUljE_EEESW_SX_SY_S15_S19_S1B_T6_T7_T9_mT8_S1D_bDpT10_ENKUlT_T0_E_clISt17integral_constantIbLb1EES1P_IbLb0EEEEDaS1L_S1M_EUlS1L_E_NS1_11comp_targetILNS1_3genE0ELNS1_11target_archE4294967295ELNS1_3gpuE0ELNS1_3repE0EEENS1_30default_config_static_selectorELNS0_4arch9wavefront6targetE1EEEvSZ_.num_agpr, 0
	.set _ZN7rocprim17ROCPRIM_400000_NS6detail17trampoline_kernelINS0_13select_configILj256ELj13ELNS0_17block_load_methodE3ELS4_3ELS4_3ELNS0_20block_scan_algorithmE0ELj4294967295EEENS1_25partition_config_selectorILNS1_17partition_subalgoE3EjNS0_10empty_typeEbEEZZNS1_14partition_implILS8_3ELb0ES6_jNS0_17counting_iteratorIjlEEPS9_SE_NS0_5tupleIJPjSE_EEENSF_IJSE_SE_EEES9_SG_JZNS1_25segmented_radix_sort_implINS0_14default_configELb0EPK6__halfPSL_PKlPlN2at6native12_GLOBAL__N_18offset_tEEE10hipError_tPvRmT1_PNSt15iterator_traitsISZ_E10value_typeET2_T3_PNS10_IS15_E10value_typeET4_jRbjT5_S1B_jjP12ihipStream_tbEUljE_EEESW_SX_SY_S15_S19_S1B_T6_T7_T9_mT8_S1D_bDpT10_ENKUlT_T0_E_clISt17integral_constantIbLb1EES1P_IbLb0EEEEDaS1L_S1M_EUlS1L_E_NS1_11comp_targetILNS1_3genE0ELNS1_11target_archE4294967295ELNS1_3gpuE0ELNS1_3repE0EEENS1_30default_config_static_selectorELNS0_4arch9wavefront6targetE1EEEvSZ_.numbered_sgpr, 0
	.set _ZN7rocprim17ROCPRIM_400000_NS6detail17trampoline_kernelINS0_13select_configILj256ELj13ELNS0_17block_load_methodE3ELS4_3ELS4_3ELNS0_20block_scan_algorithmE0ELj4294967295EEENS1_25partition_config_selectorILNS1_17partition_subalgoE3EjNS0_10empty_typeEbEEZZNS1_14partition_implILS8_3ELb0ES6_jNS0_17counting_iteratorIjlEEPS9_SE_NS0_5tupleIJPjSE_EEENSF_IJSE_SE_EEES9_SG_JZNS1_25segmented_radix_sort_implINS0_14default_configELb0EPK6__halfPSL_PKlPlN2at6native12_GLOBAL__N_18offset_tEEE10hipError_tPvRmT1_PNSt15iterator_traitsISZ_E10value_typeET2_T3_PNS10_IS15_E10value_typeET4_jRbjT5_S1B_jjP12ihipStream_tbEUljE_EEESW_SX_SY_S15_S19_S1B_T6_T7_T9_mT8_S1D_bDpT10_ENKUlT_T0_E_clISt17integral_constantIbLb1EES1P_IbLb0EEEEDaS1L_S1M_EUlS1L_E_NS1_11comp_targetILNS1_3genE0ELNS1_11target_archE4294967295ELNS1_3gpuE0ELNS1_3repE0EEENS1_30default_config_static_selectorELNS0_4arch9wavefront6targetE1EEEvSZ_.num_named_barrier, 0
	.set _ZN7rocprim17ROCPRIM_400000_NS6detail17trampoline_kernelINS0_13select_configILj256ELj13ELNS0_17block_load_methodE3ELS4_3ELS4_3ELNS0_20block_scan_algorithmE0ELj4294967295EEENS1_25partition_config_selectorILNS1_17partition_subalgoE3EjNS0_10empty_typeEbEEZZNS1_14partition_implILS8_3ELb0ES6_jNS0_17counting_iteratorIjlEEPS9_SE_NS0_5tupleIJPjSE_EEENSF_IJSE_SE_EEES9_SG_JZNS1_25segmented_radix_sort_implINS0_14default_configELb0EPK6__halfPSL_PKlPlN2at6native12_GLOBAL__N_18offset_tEEE10hipError_tPvRmT1_PNSt15iterator_traitsISZ_E10value_typeET2_T3_PNS10_IS15_E10value_typeET4_jRbjT5_S1B_jjP12ihipStream_tbEUljE_EEESW_SX_SY_S15_S19_S1B_T6_T7_T9_mT8_S1D_bDpT10_ENKUlT_T0_E_clISt17integral_constantIbLb1EES1P_IbLb0EEEEDaS1L_S1M_EUlS1L_E_NS1_11comp_targetILNS1_3genE0ELNS1_11target_archE4294967295ELNS1_3gpuE0ELNS1_3repE0EEENS1_30default_config_static_selectorELNS0_4arch9wavefront6targetE1EEEvSZ_.private_seg_size, 0
	.set _ZN7rocprim17ROCPRIM_400000_NS6detail17trampoline_kernelINS0_13select_configILj256ELj13ELNS0_17block_load_methodE3ELS4_3ELS4_3ELNS0_20block_scan_algorithmE0ELj4294967295EEENS1_25partition_config_selectorILNS1_17partition_subalgoE3EjNS0_10empty_typeEbEEZZNS1_14partition_implILS8_3ELb0ES6_jNS0_17counting_iteratorIjlEEPS9_SE_NS0_5tupleIJPjSE_EEENSF_IJSE_SE_EEES9_SG_JZNS1_25segmented_radix_sort_implINS0_14default_configELb0EPK6__halfPSL_PKlPlN2at6native12_GLOBAL__N_18offset_tEEE10hipError_tPvRmT1_PNSt15iterator_traitsISZ_E10value_typeET2_T3_PNS10_IS15_E10value_typeET4_jRbjT5_S1B_jjP12ihipStream_tbEUljE_EEESW_SX_SY_S15_S19_S1B_T6_T7_T9_mT8_S1D_bDpT10_ENKUlT_T0_E_clISt17integral_constantIbLb1EES1P_IbLb0EEEEDaS1L_S1M_EUlS1L_E_NS1_11comp_targetILNS1_3genE0ELNS1_11target_archE4294967295ELNS1_3gpuE0ELNS1_3repE0EEENS1_30default_config_static_selectorELNS0_4arch9wavefront6targetE1EEEvSZ_.uses_vcc, 0
	.set _ZN7rocprim17ROCPRIM_400000_NS6detail17trampoline_kernelINS0_13select_configILj256ELj13ELNS0_17block_load_methodE3ELS4_3ELS4_3ELNS0_20block_scan_algorithmE0ELj4294967295EEENS1_25partition_config_selectorILNS1_17partition_subalgoE3EjNS0_10empty_typeEbEEZZNS1_14partition_implILS8_3ELb0ES6_jNS0_17counting_iteratorIjlEEPS9_SE_NS0_5tupleIJPjSE_EEENSF_IJSE_SE_EEES9_SG_JZNS1_25segmented_radix_sort_implINS0_14default_configELb0EPK6__halfPSL_PKlPlN2at6native12_GLOBAL__N_18offset_tEEE10hipError_tPvRmT1_PNSt15iterator_traitsISZ_E10value_typeET2_T3_PNS10_IS15_E10value_typeET4_jRbjT5_S1B_jjP12ihipStream_tbEUljE_EEESW_SX_SY_S15_S19_S1B_T6_T7_T9_mT8_S1D_bDpT10_ENKUlT_T0_E_clISt17integral_constantIbLb1EES1P_IbLb0EEEEDaS1L_S1M_EUlS1L_E_NS1_11comp_targetILNS1_3genE0ELNS1_11target_archE4294967295ELNS1_3gpuE0ELNS1_3repE0EEENS1_30default_config_static_selectorELNS0_4arch9wavefront6targetE1EEEvSZ_.uses_flat_scratch, 0
	.set _ZN7rocprim17ROCPRIM_400000_NS6detail17trampoline_kernelINS0_13select_configILj256ELj13ELNS0_17block_load_methodE3ELS4_3ELS4_3ELNS0_20block_scan_algorithmE0ELj4294967295EEENS1_25partition_config_selectorILNS1_17partition_subalgoE3EjNS0_10empty_typeEbEEZZNS1_14partition_implILS8_3ELb0ES6_jNS0_17counting_iteratorIjlEEPS9_SE_NS0_5tupleIJPjSE_EEENSF_IJSE_SE_EEES9_SG_JZNS1_25segmented_radix_sort_implINS0_14default_configELb0EPK6__halfPSL_PKlPlN2at6native12_GLOBAL__N_18offset_tEEE10hipError_tPvRmT1_PNSt15iterator_traitsISZ_E10value_typeET2_T3_PNS10_IS15_E10value_typeET4_jRbjT5_S1B_jjP12ihipStream_tbEUljE_EEESW_SX_SY_S15_S19_S1B_T6_T7_T9_mT8_S1D_bDpT10_ENKUlT_T0_E_clISt17integral_constantIbLb1EES1P_IbLb0EEEEDaS1L_S1M_EUlS1L_E_NS1_11comp_targetILNS1_3genE0ELNS1_11target_archE4294967295ELNS1_3gpuE0ELNS1_3repE0EEENS1_30default_config_static_selectorELNS0_4arch9wavefront6targetE1EEEvSZ_.has_dyn_sized_stack, 0
	.set _ZN7rocprim17ROCPRIM_400000_NS6detail17trampoline_kernelINS0_13select_configILj256ELj13ELNS0_17block_load_methodE3ELS4_3ELS4_3ELNS0_20block_scan_algorithmE0ELj4294967295EEENS1_25partition_config_selectorILNS1_17partition_subalgoE3EjNS0_10empty_typeEbEEZZNS1_14partition_implILS8_3ELb0ES6_jNS0_17counting_iteratorIjlEEPS9_SE_NS0_5tupleIJPjSE_EEENSF_IJSE_SE_EEES9_SG_JZNS1_25segmented_radix_sort_implINS0_14default_configELb0EPK6__halfPSL_PKlPlN2at6native12_GLOBAL__N_18offset_tEEE10hipError_tPvRmT1_PNSt15iterator_traitsISZ_E10value_typeET2_T3_PNS10_IS15_E10value_typeET4_jRbjT5_S1B_jjP12ihipStream_tbEUljE_EEESW_SX_SY_S15_S19_S1B_T6_T7_T9_mT8_S1D_bDpT10_ENKUlT_T0_E_clISt17integral_constantIbLb1EES1P_IbLb0EEEEDaS1L_S1M_EUlS1L_E_NS1_11comp_targetILNS1_3genE0ELNS1_11target_archE4294967295ELNS1_3gpuE0ELNS1_3repE0EEENS1_30default_config_static_selectorELNS0_4arch9wavefront6targetE1EEEvSZ_.has_recursion, 0
	.set _ZN7rocprim17ROCPRIM_400000_NS6detail17trampoline_kernelINS0_13select_configILj256ELj13ELNS0_17block_load_methodE3ELS4_3ELS4_3ELNS0_20block_scan_algorithmE0ELj4294967295EEENS1_25partition_config_selectorILNS1_17partition_subalgoE3EjNS0_10empty_typeEbEEZZNS1_14partition_implILS8_3ELb0ES6_jNS0_17counting_iteratorIjlEEPS9_SE_NS0_5tupleIJPjSE_EEENSF_IJSE_SE_EEES9_SG_JZNS1_25segmented_radix_sort_implINS0_14default_configELb0EPK6__halfPSL_PKlPlN2at6native12_GLOBAL__N_18offset_tEEE10hipError_tPvRmT1_PNSt15iterator_traitsISZ_E10value_typeET2_T3_PNS10_IS15_E10value_typeET4_jRbjT5_S1B_jjP12ihipStream_tbEUljE_EEESW_SX_SY_S15_S19_S1B_T6_T7_T9_mT8_S1D_bDpT10_ENKUlT_T0_E_clISt17integral_constantIbLb1EES1P_IbLb0EEEEDaS1L_S1M_EUlS1L_E_NS1_11comp_targetILNS1_3genE0ELNS1_11target_archE4294967295ELNS1_3gpuE0ELNS1_3repE0EEENS1_30default_config_static_selectorELNS0_4arch9wavefront6targetE1EEEvSZ_.has_indirect_call, 0
	.section	.AMDGPU.csdata,"",@progbits
; Kernel info:
; codeLenInByte = 0
; TotalNumSgprs: 4
; NumVgprs: 0
; ScratchSize: 0
; MemoryBound: 0
; FloatMode: 240
; IeeeMode: 1
; LDSByteSize: 0 bytes/workgroup (compile time only)
; SGPRBlocks: 0
; VGPRBlocks: 0
; NumSGPRsForWavesPerEU: 4
; NumVGPRsForWavesPerEU: 1
; Occupancy: 10
; WaveLimiterHint : 0
; COMPUTE_PGM_RSRC2:SCRATCH_EN: 0
; COMPUTE_PGM_RSRC2:USER_SGPR: 6
; COMPUTE_PGM_RSRC2:TRAP_HANDLER: 0
; COMPUTE_PGM_RSRC2:TGID_X_EN: 1
; COMPUTE_PGM_RSRC2:TGID_Y_EN: 0
; COMPUTE_PGM_RSRC2:TGID_Z_EN: 0
; COMPUTE_PGM_RSRC2:TIDIG_COMP_CNT: 0
	.section	.text._ZN7rocprim17ROCPRIM_400000_NS6detail17trampoline_kernelINS0_13select_configILj256ELj13ELNS0_17block_load_methodE3ELS4_3ELS4_3ELNS0_20block_scan_algorithmE0ELj4294967295EEENS1_25partition_config_selectorILNS1_17partition_subalgoE3EjNS0_10empty_typeEbEEZZNS1_14partition_implILS8_3ELb0ES6_jNS0_17counting_iteratorIjlEEPS9_SE_NS0_5tupleIJPjSE_EEENSF_IJSE_SE_EEES9_SG_JZNS1_25segmented_radix_sort_implINS0_14default_configELb0EPK6__halfPSL_PKlPlN2at6native12_GLOBAL__N_18offset_tEEE10hipError_tPvRmT1_PNSt15iterator_traitsISZ_E10value_typeET2_T3_PNS10_IS15_E10value_typeET4_jRbjT5_S1B_jjP12ihipStream_tbEUljE_EEESW_SX_SY_S15_S19_S1B_T6_T7_T9_mT8_S1D_bDpT10_ENKUlT_T0_E_clISt17integral_constantIbLb1EES1P_IbLb0EEEEDaS1L_S1M_EUlS1L_E_NS1_11comp_targetILNS1_3genE5ELNS1_11target_archE942ELNS1_3gpuE9ELNS1_3repE0EEENS1_30default_config_static_selectorELNS0_4arch9wavefront6targetE1EEEvSZ_,"axG",@progbits,_ZN7rocprim17ROCPRIM_400000_NS6detail17trampoline_kernelINS0_13select_configILj256ELj13ELNS0_17block_load_methodE3ELS4_3ELS4_3ELNS0_20block_scan_algorithmE0ELj4294967295EEENS1_25partition_config_selectorILNS1_17partition_subalgoE3EjNS0_10empty_typeEbEEZZNS1_14partition_implILS8_3ELb0ES6_jNS0_17counting_iteratorIjlEEPS9_SE_NS0_5tupleIJPjSE_EEENSF_IJSE_SE_EEES9_SG_JZNS1_25segmented_radix_sort_implINS0_14default_configELb0EPK6__halfPSL_PKlPlN2at6native12_GLOBAL__N_18offset_tEEE10hipError_tPvRmT1_PNSt15iterator_traitsISZ_E10value_typeET2_T3_PNS10_IS15_E10value_typeET4_jRbjT5_S1B_jjP12ihipStream_tbEUljE_EEESW_SX_SY_S15_S19_S1B_T6_T7_T9_mT8_S1D_bDpT10_ENKUlT_T0_E_clISt17integral_constantIbLb1EES1P_IbLb0EEEEDaS1L_S1M_EUlS1L_E_NS1_11comp_targetILNS1_3genE5ELNS1_11target_archE942ELNS1_3gpuE9ELNS1_3repE0EEENS1_30default_config_static_selectorELNS0_4arch9wavefront6targetE1EEEvSZ_,comdat
	.globl	_ZN7rocprim17ROCPRIM_400000_NS6detail17trampoline_kernelINS0_13select_configILj256ELj13ELNS0_17block_load_methodE3ELS4_3ELS4_3ELNS0_20block_scan_algorithmE0ELj4294967295EEENS1_25partition_config_selectorILNS1_17partition_subalgoE3EjNS0_10empty_typeEbEEZZNS1_14partition_implILS8_3ELb0ES6_jNS0_17counting_iteratorIjlEEPS9_SE_NS0_5tupleIJPjSE_EEENSF_IJSE_SE_EEES9_SG_JZNS1_25segmented_radix_sort_implINS0_14default_configELb0EPK6__halfPSL_PKlPlN2at6native12_GLOBAL__N_18offset_tEEE10hipError_tPvRmT1_PNSt15iterator_traitsISZ_E10value_typeET2_T3_PNS10_IS15_E10value_typeET4_jRbjT5_S1B_jjP12ihipStream_tbEUljE_EEESW_SX_SY_S15_S19_S1B_T6_T7_T9_mT8_S1D_bDpT10_ENKUlT_T0_E_clISt17integral_constantIbLb1EES1P_IbLb0EEEEDaS1L_S1M_EUlS1L_E_NS1_11comp_targetILNS1_3genE5ELNS1_11target_archE942ELNS1_3gpuE9ELNS1_3repE0EEENS1_30default_config_static_selectorELNS0_4arch9wavefront6targetE1EEEvSZ_ ; -- Begin function _ZN7rocprim17ROCPRIM_400000_NS6detail17trampoline_kernelINS0_13select_configILj256ELj13ELNS0_17block_load_methodE3ELS4_3ELS4_3ELNS0_20block_scan_algorithmE0ELj4294967295EEENS1_25partition_config_selectorILNS1_17partition_subalgoE3EjNS0_10empty_typeEbEEZZNS1_14partition_implILS8_3ELb0ES6_jNS0_17counting_iteratorIjlEEPS9_SE_NS0_5tupleIJPjSE_EEENSF_IJSE_SE_EEES9_SG_JZNS1_25segmented_radix_sort_implINS0_14default_configELb0EPK6__halfPSL_PKlPlN2at6native12_GLOBAL__N_18offset_tEEE10hipError_tPvRmT1_PNSt15iterator_traitsISZ_E10value_typeET2_T3_PNS10_IS15_E10value_typeET4_jRbjT5_S1B_jjP12ihipStream_tbEUljE_EEESW_SX_SY_S15_S19_S1B_T6_T7_T9_mT8_S1D_bDpT10_ENKUlT_T0_E_clISt17integral_constantIbLb1EES1P_IbLb0EEEEDaS1L_S1M_EUlS1L_E_NS1_11comp_targetILNS1_3genE5ELNS1_11target_archE942ELNS1_3gpuE9ELNS1_3repE0EEENS1_30default_config_static_selectorELNS0_4arch9wavefront6targetE1EEEvSZ_
	.p2align	8
	.type	_ZN7rocprim17ROCPRIM_400000_NS6detail17trampoline_kernelINS0_13select_configILj256ELj13ELNS0_17block_load_methodE3ELS4_3ELS4_3ELNS0_20block_scan_algorithmE0ELj4294967295EEENS1_25partition_config_selectorILNS1_17partition_subalgoE3EjNS0_10empty_typeEbEEZZNS1_14partition_implILS8_3ELb0ES6_jNS0_17counting_iteratorIjlEEPS9_SE_NS0_5tupleIJPjSE_EEENSF_IJSE_SE_EEES9_SG_JZNS1_25segmented_radix_sort_implINS0_14default_configELb0EPK6__halfPSL_PKlPlN2at6native12_GLOBAL__N_18offset_tEEE10hipError_tPvRmT1_PNSt15iterator_traitsISZ_E10value_typeET2_T3_PNS10_IS15_E10value_typeET4_jRbjT5_S1B_jjP12ihipStream_tbEUljE_EEESW_SX_SY_S15_S19_S1B_T6_T7_T9_mT8_S1D_bDpT10_ENKUlT_T0_E_clISt17integral_constantIbLb1EES1P_IbLb0EEEEDaS1L_S1M_EUlS1L_E_NS1_11comp_targetILNS1_3genE5ELNS1_11target_archE942ELNS1_3gpuE9ELNS1_3repE0EEENS1_30default_config_static_selectorELNS0_4arch9wavefront6targetE1EEEvSZ_,@function
_ZN7rocprim17ROCPRIM_400000_NS6detail17trampoline_kernelINS0_13select_configILj256ELj13ELNS0_17block_load_methodE3ELS4_3ELS4_3ELNS0_20block_scan_algorithmE0ELj4294967295EEENS1_25partition_config_selectorILNS1_17partition_subalgoE3EjNS0_10empty_typeEbEEZZNS1_14partition_implILS8_3ELb0ES6_jNS0_17counting_iteratorIjlEEPS9_SE_NS0_5tupleIJPjSE_EEENSF_IJSE_SE_EEES9_SG_JZNS1_25segmented_radix_sort_implINS0_14default_configELb0EPK6__halfPSL_PKlPlN2at6native12_GLOBAL__N_18offset_tEEE10hipError_tPvRmT1_PNSt15iterator_traitsISZ_E10value_typeET2_T3_PNS10_IS15_E10value_typeET4_jRbjT5_S1B_jjP12ihipStream_tbEUljE_EEESW_SX_SY_S15_S19_S1B_T6_T7_T9_mT8_S1D_bDpT10_ENKUlT_T0_E_clISt17integral_constantIbLb1EES1P_IbLb0EEEEDaS1L_S1M_EUlS1L_E_NS1_11comp_targetILNS1_3genE5ELNS1_11target_archE942ELNS1_3gpuE9ELNS1_3repE0EEENS1_30default_config_static_selectorELNS0_4arch9wavefront6targetE1EEEvSZ_: ; @_ZN7rocprim17ROCPRIM_400000_NS6detail17trampoline_kernelINS0_13select_configILj256ELj13ELNS0_17block_load_methodE3ELS4_3ELS4_3ELNS0_20block_scan_algorithmE0ELj4294967295EEENS1_25partition_config_selectorILNS1_17partition_subalgoE3EjNS0_10empty_typeEbEEZZNS1_14partition_implILS8_3ELb0ES6_jNS0_17counting_iteratorIjlEEPS9_SE_NS0_5tupleIJPjSE_EEENSF_IJSE_SE_EEES9_SG_JZNS1_25segmented_radix_sort_implINS0_14default_configELb0EPK6__halfPSL_PKlPlN2at6native12_GLOBAL__N_18offset_tEEE10hipError_tPvRmT1_PNSt15iterator_traitsISZ_E10value_typeET2_T3_PNS10_IS15_E10value_typeET4_jRbjT5_S1B_jjP12ihipStream_tbEUljE_EEESW_SX_SY_S15_S19_S1B_T6_T7_T9_mT8_S1D_bDpT10_ENKUlT_T0_E_clISt17integral_constantIbLb1EES1P_IbLb0EEEEDaS1L_S1M_EUlS1L_E_NS1_11comp_targetILNS1_3genE5ELNS1_11target_archE942ELNS1_3gpuE9ELNS1_3repE0EEENS1_30default_config_static_selectorELNS0_4arch9wavefront6targetE1EEEvSZ_
; %bb.0:
	.section	.rodata,"a",@progbits
	.p2align	6, 0x0
	.amdhsa_kernel _ZN7rocprim17ROCPRIM_400000_NS6detail17trampoline_kernelINS0_13select_configILj256ELj13ELNS0_17block_load_methodE3ELS4_3ELS4_3ELNS0_20block_scan_algorithmE0ELj4294967295EEENS1_25partition_config_selectorILNS1_17partition_subalgoE3EjNS0_10empty_typeEbEEZZNS1_14partition_implILS8_3ELb0ES6_jNS0_17counting_iteratorIjlEEPS9_SE_NS0_5tupleIJPjSE_EEENSF_IJSE_SE_EEES9_SG_JZNS1_25segmented_radix_sort_implINS0_14default_configELb0EPK6__halfPSL_PKlPlN2at6native12_GLOBAL__N_18offset_tEEE10hipError_tPvRmT1_PNSt15iterator_traitsISZ_E10value_typeET2_T3_PNS10_IS15_E10value_typeET4_jRbjT5_S1B_jjP12ihipStream_tbEUljE_EEESW_SX_SY_S15_S19_S1B_T6_T7_T9_mT8_S1D_bDpT10_ENKUlT_T0_E_clISt17integral_constantIbLb1EES1P_IbLb0EEEEDaS1L_S1M_EUlS1L_E_NS1_11comp_targetILNS1_3genE5ELNS1_11target_archE942ELNS1_3gpuE9ELNS1_3repE0EEENS1_30default_config_static_selectorELNS0_4arch9wavefront6targetE1EEEvSZ_
		.amdhsa_group_segment_fixed_size 0
		.amdhsa_private_segment_fixed_size 0
		.amdhsa_kernarg_size 144
		.amdhsa_user_sgpr_count 6
		.amdhsa_user_sgpr_private_segment_buffer 1
		.amdhsa_user_sgpr_dispatch_ptr 0
		.amdhsa_user_sgpr_queue_ptr 0
		.amdhsa_user_sgpr_kernarg_segment_ptr 1
		.amdhsa_user_sgpr_dispatch_id 0
		.amdhsa_user_sgpr_flat_scratch_init 0
		.amdhsa_user_sgpr_private_segment_size 0
		.amdhsa_uses_dynamic_stack 0
		.amdhsa_system_sgpr_private_segment_wavefront_offset 0
		.amdhsa_system_sgpr_workgroup_id_x 1
		.amdhsa_system_sgpr_workgroup_id_y 0
		.amdhsa_system_sgpr_workgroup_id_z 0
		.amdhsa_system_sgpr_workgroup_info 0
		.amdhsa_system_vgpr_workitem_id 0
		.amdhsa_next_free_vgpr 1
		.amdhsa_next_free_sgpr 0
		.amdhsa_reserve_vcc 0
		.amdhsa_reserve_flat_scratch 0
		.amdhsa_float_round_mode_32 0
		.amdhsa_float_round_mode_16_64 0
		.amdhsa_float_denorm_mode_32 3
		.amdhsa_float_denorm_mode_16_64 3
		.amdhsa_dx10_clamp 1
		.amdhsa_ieee_mode 1
		.amdhsa_fp16_overflow 0
		.amdhsa_exception_fp_ieee_invalid_op 0
		.amdhsa_exception_fp_denorm_src 0
		.amdhsa_exception_fp_ieee_div_zero 0
		.amdhsa_exception_fp_ieee_overflow 0
		.amdhsa_exception_fp_ieee_underflow 0
		.amdhsa_exception_fp_ieee_inexact 0
		.amdhsa_exception_int_div_zero 0
	.end_amdhsa_kernel
	.section	.text._ZN7rocprim17ROCPRIM_400000_NS6detail17trampoline_kernelINS0_13select_configILj256ELj13ELNS0_17block_load_methodE3ELS4_3ELS4_3ELNS0_20block_scan_algorithmE0ELj4294967295EEENS1_25partition_config_selectorILNS1_17partition_subalgoE3EjNS0_10empty_typeEbEEZZNS1_14partition_implILS8_3ELb0ES6_jNS0_17counting_iteratorIjlEEPS9_SE_NS0_5tupleIJPjSE_EEENSF_IJSE_SE_EEES9_SG_JZNS1_25segmented_radix_sort_implINS0_14default_configELb0EPK6__halfPSL_PKlPlN2at6native12_GLOBAL__N_18offset_tEEE10hipError_tPvRmT1_PNSt15iterator_traitsISZ_E10value_typeET2_T3_PNS10_IS15_E10value_typeET4_jRbjT5_S1B_jjP12ihipStream_tbEUljE_EEESW_SX_SY_S15_S19_S1B_T6_T7_T9_mT8_S1D_bDpT10_ENKUlT_T0_E_clISt17integral_constantIbLb1EES1P_IbLb0EEEEDaS1L_S1M_EUlS1L_E_NS1_11comp_targetILNS1_3genE5ELNS1_11target_archE942ELNS1_3gpuE9ELNS1_3repE0EEENS1_30default_config_static_selectorELNS0_4arch9wavefront6targetE1EEEvSZ_,"axG",@progbits,_ZN7rocprim17ROCPRIM_400000_NS6detail17trampoline_kernelINS0_13select_configILj256ELj13ELNS0_17block_load_methodE3ELS4_3ELS4_3ELNS0_20block_scan_algorithmE0ELj4294967295EEENS1_25partition_config_selectorILNS1_17partition_subalgoE3EjNS0_10empty_typeEbEEZZNS1_14partition_implILS8_3ELb0ES6_jNS0_17counting_iteratorIjlEEPS9_SE_NS0_5tupleIJPjSE_EEENSF_IJSE_SE_EEES9_SG_JZNS1_25segmented_radix_sort_implINS0_14default_configELb0EPK6__halfPSL_PKlPlN2at6native12_GLOBAL__N_18offset_tEEE10hipError_tPvRmT1_PNSt15iterator_traitsISZ_E10value_typeET2_T3_PNS10_IS15_E10value_typeET4_jRbjT5_S1B_jjP12ihipStream_tbEUljE_EEESW_SX_SY_S15_S19_S1B_T6_T7_T9_mT8_S1D_bDpT10_ENKUlT_T0_E_clISt17integral_constantIbLb1EES1P_IbLb0EEEEDaS1L_S1M_EUlS1L_E_NS1_11comp_targetILNS1_3genE5ELNS1_11target_archE942ELNS1_3gpuE9ELNS1_3repE0EEENS1_30default_config_static_selectorELNS0_4arch9wavefront6targetE1EEEvSZ_,comdat
.Lfunc_end1827:
	.size	_ZN7rocprim17ROCPRIM_400000_NS6detail17trampoline_kernelINS0_13select_configILj256ELj13ELNS0_17block_load_methodE3ELS4_3ELS4_3ELNS0_20block_scan_algorithmE0ELj4294967295EEENS1_25partition_config_selectorILNS1_17partition_subalgoE3EjNS0_10empty_typeEbEEZZNS1_14partition_implILS8_3ELb0ES6_jNS0_17counting_iteratorIjlEEPS9_SE_NS0_5tupleIJPjSE_EEENSF_IJSE_SE_EEES9_SG_JZNS1_25segmented_radix_sort_implINS0_14default_configELb0EPK6__halfPSL_PKlPlN2at6native12_GLOBAL__N_18offset_tEEE10hipError_tPvRmT1_PNSt15iterator_traitsISZ_E10value_typeET2_T3_PNS10_IS15_E10value_typeET4_jRbjT5_S1B_jjP12ihipStream_tbEUljE_EEESW_SX_SY_S15_S19_S1B_T6_T7_T9_mT8_S1D_bDpT10_ENKUlT_T0_E_clISt17integral_constantIbLb1EES1P_IbLb0EEEEDaS1L_S1M_EUlS1L_E_NS1_11comp_targetILNS1_3genE5ELNS1_11target_archE942ELNS1_3gpuE9ELNS1_3repE0EEENS1_30default_config_static_selectorELNS0_4arch9wavefront6targetE1EEEvSZ_, .Lfunc_end1827-_ZN7rocprim17ROCPRIM_400000_NS6detail17trampoline_kernelINS0_13select_configILj256ELj13ELNS0_17block_load_methodE3ELS4_3ELS4_3ELNS0_20block_scan_algorithmE0ELj4294967295EEENS1_25partition_config_selectorILNS1_17partition_subalgoE3EjNS0_10empty_typeEbEEZZNS1_14partition_implILS8_3ELb0ES6_jNS0_17counting_iteratorIjlEEPS9_SE_NS0_5tupleIJPjSE_EEENSF_IJSE_SE_EEES9_SG_JZNS1_25segmented_radix_sort_implINS0_14default_configELb0EPK6__halfPSL_PKlPlN2at6native12_GLOBAL__N_18offset_tEEE10hipError_tPvRmT1_PNSt15iterator_traitsISZ_E10value_typeET2_T3_PNS10_IS15_E10value_typeET4_jRbjT5_S1B_jjP12ihipStream_tbEUljE_EEESW_SX_SY_S15_S19_S1B_T6_T7_T9_mT8_S1D_bDpT10_ENKUlT_T0_E_clISt17integral_constantIbLb1EES1P_IbLb0EEEEDaS1L_S1M_EUlS1L_E_NS1_11comp_targetILNS1_3genE5ELNS1_11target_archE942ELNS1_3gpuE9ELNS1_3repE0EEENS1_30default_config_static_selectorELNS0_4arch9wavefront6targetE1EEEvSZ_
                                        ; -- End function
	.set _ZN7rocprim17ROCPRIM_400000_NS6detail17trampoline_kernelINS0_13select_configILj256ELj13ELNS0_17block_load_methodE3ELS4_3ELS4_3ELNS0_20block_scan_algorithmE0ELj4294967295EEENS1_25partition_config_selectorILNS1_17partition_subalgoE3EjNS0_10empty_typeEbEEZZNS1_14partition_implILS8_3ELb0ES6_jNS0_17counting_iteratorIjlEEPS9_SE_NS0_5tupleIJPjSE_EEENSF_IJSE_SE_EEES9_SG_JZNS1_25segmented_radix_sort_implINS0_14default_configELb0EPK6__halfPSL_PKlPlN2at6native12_GLOBAL__N_18offset_tEEE10hipError_tPvRmT1_PNSt15iterator_traitsISZ_E10value_typeET2_T3_PNS10_IS15_E10value_typeET4_jRbjT5_S1B_jjP12ihipStream_tbEUljE_EEESW_SX_SY_S15_S19_S1B_T6_T7_T9_mT8_S1D_bDpT10_ENKUlT_T0_E_clISt17integral_constantIbLb1EES1P_IbLb0EEEEDaS1L_S1M_EUlS1L_E_NS1_11comp_targetILNS1_3genE5ELNS1_11target_archE942ELNS1_3gpuE9ELNS1_3repE0EEENS1_30default_config_static_selectorELNS0_4arch9wavefront6targetE1EEEvSZ_.num_vgpr, 0
	.set _ZN7rocprim17ROCPRIM_400000_NS6detail17trampoline_kernelINS0_13select_configILj256ELj13ELNS0_17block_load_methodE3ELS4_3ELS4_3ELNS0_20block_scan_algorithmE0ELj4294967295EEENS1_25partition_config_selectorILNS1_17partition_subalgoE3EjNS0_10empty_typeEbEEZZNS1_14partition_implILS8_3ELb0ES6_jNS0_17counting_iteratorIjlEEPS9_SE_NS0_5tupleIJPjSE_EEENSF_IJSE_SE_EEES9_SG_JZNS1_25segmented_radix_sort_implINS0_14default_configELb0EPK6__halfPSL_PKlPlN2at6native12_GLOBAL__N_18offset_tEEE10hipError_tPvRmT1_PNSt15iterator_traitsISZ_E10value_typeET2_T3_PNS10_IS15_E10value_typeET4_jRbjT5_S1B_jjP12ihipStream_tbEUljE_EEESW_SX_SY_S15_S19_S1B_T6_T7_T9_mT8_S1D_bDpT10_ENKUlT_T0_E_clISt17integral_constantIbLb1EES1P_IbLb0EEEEDaS1L_S1M_EUlS1L_E_NS1_11comp_targetILNS1_3genE5ELNS1_11target_archE942ELNS1_3gpuE9ELNS1_3repE0EEENS1_30default_config_static_selectorELNS0_4arch9wavefront6targetE1EEEvSZ_.num_agpr, 0
	.set _ZN7rocprim17ROCPRIM_400000_NS6detail17trampoline_kernelINS0_13select_configILj256ELj13ELNS0_17block_load_methodE3ELS4_3ELS4_3ELNS0_20block_scan_algorithmE0ELj4294967295EEENS1_25partition_config_selectorILNS1_17partition_subalgoE3EjNS0_10empty_typeEbEEZZNS1_14partition_implILS8_3ELb0ES6_jNS0_17counting_iteratorIjlEEPS9_SE_NS0_5tupleIJPjSE_EEENSF_IJSE_SE_EEES9_SG_JZNS1_25segmented_radix_sort_implINS0_14default_configELb0EPK6__halfPSL_PKlPlN2at6native12_GLOBAL__N_18offset_tEEE10hipError_tPvRmT1_PNSt15iterator_traitsISZ_E10value_typeET2_T3_PNS10_IS15_E10value_typeET4_jRbjT5_S1B_jjP12ihipStream_tbEUljE_EEESW_SX_SY_S15_S19_S1B_T6_T7_T9_mT8_S1D_bDpT10_ENKUlT_T0_E_clISt17integral_constantIbLb1EES1P_IbLb0EEEEDaS1L_S1M_EUlS1L_E_NS1_11comp_targetILNS1_3genE5ELNS1_11target_archE942ELNS1_3gpuE9ELNS1_3repE0EEENS1_30default_config_static_selectorELNS0_4arch9wavefront6targetE1EEEvSZ_.numbered_sgpr, 0
	.set _ZN7rocprim17ROCPRIM_400000_NS6detail17trampoline_kernelINS0_13select_configILj256ELj13ELNS0_17block_load_methodE3ELS4_3ELS4_3ELNS0_20block_scan_algorithmE0ELj4294967295EEENS1_25partition_config_selectorILNS1_17partition_subalgoE3EjNS0_10empty_typeEbEEZZNS1_14partition_implILS8_3ELb0ES6_jNS0_17counting_iteratorIjlEEPS9_SE_NS0_5tupleIJPjSE_EEENSF_IJSE_SE_EEES9_SG_JZNS1_25segmented_radix_sort_implINS0_14default_configELb0EPK6__halfPSL_PKlPlN2at6native12_GLOBAL__N_18offset_tEEE10hipError_tPvRmT1_PNSt15iterator_traitsISZ_E10value_typeET2_T3_PNS10_IS15_E10value_typeET4_jRbjT5_S1B_jjP12ihipStream_tbEUljE_EEESW_SX_SY_S15_S19_S1B_T6_T7_T9_mT8_S1D_bDpT10_ENKUlT_T0_E_clISt17integral_constantIbLb1EES1P_IbLb0EEEEDaS1L_S1M_EUlS1L_E_NS1_11comp_targetILNS1_3genE5ELNS1_11target_archE942ELNS1_3gpuE9ELNS1_3repE0EEENS1_30default_config_static_selectorELNS0_4arch9wavefront6targetE1EEEvSZ_.num_named_barrier, 0
	.set _ZN7rocprim17ROCPRIM_400000_NS6detail17trampoline_kernelINS0_13select_configILj256ELj13ELNS0_17block_load_methodE3ELS4_3ELS4_3ELNS0_20block_scan_algorithmE0ELj4294967295EEENS1_25partition_config_selectorILNS1_17partition_subalgoE3EjNS0_10empty_typeEbEEZZNS1_14partition_implILS8_3ELb0ES6_jNS0_17counting_iteratorIjlEEPS9_SE_NS0_5tupleIJPjSE_EEENSF_IJSE_SE_EEES9_SG_JZNS1_25segmented_radix_sort_implINS0_14default_configELb0EPK6__halfPSL_PKlPlN2at6native12_GLOBAL__N_18offset_tEEE10hipError_tPvRmT1_PNSt15iterator_traitsISZ_E10value_typeET2_T3_PNS10_IS15_E10value_typeET4_jRbjT5_S1B_jjP12ihipStream_tbEUljE_EEESW_SX_SY_S15_S19_S1B_T6_T7_T9_mT8_S1D_bDpT10_ENKUlT_T0_E_clISt17integral_constantIbLb1EES1P_IbLb0EEEEDaS1L_S1M_EUlS1L_E_NS1_11comp_targetILNS1_3genE5ELNS1_11target_archE942ELNS1_3gpuE9ELNS1_3repE0EEENS1_30default_config_static_selectorELNS0_4arch9wavefront6targetE1EEEvSZ_.private_seg_size, 0
	.set _ZN7rocprim17ROCPRIM_400000_NS6detail17trampoline_kernelINS0_13select_configILj256ELj13ELNS0_17block_load_methodE3ELS4_3ELS4_3ELNS0_20block_scan_algorithmE0ELj4294967295EEENS1_25partition_config_selectorILNS1_17partition_subalgoE3EjNS0_10empty_typeEbEEZZNS1_14partition_implILS8_3ELb0ES6_jNS0_17counting_iteratorIjlEEPS9_SE_NS0_5tupleIJPjSE_EEENSF_IJSE_SE_EEES9_SG_JZNS1_25segmented_radix_sort_implINS0_14default_configELb0EPK6__halfPSL_PKlPlN2at6native12_GLOBAL__N_18offset_tEEE10hipError_tPvRmT1_PNSt15iterator_traitsISZ_E10value_typeET2_T3_PNS10_IS15_E10value_typeET4_jRbjT5_S1B_jjP12ihipStream_tbEUljE_EEESW_SX_SY_S15_S19_S1B_T6_T7_T9_mT8_S1D_bDpT10_ENKUlT_T0_E_clISt17integral_constantIbLb1EES1P_IbLb0EEEEDaS1L_S1M_EUlS1L_E_NS1_11comp_targetILNS1_3genE5ELNS1_11target_archE942ELNS1_3gpuE9ELNS1_3repE0EEENS1_30default_config_static_selectorELNS0_4arch9wavefront6targetE1EEEvSZ_.uses_vcc, 0
	.set _ZN7rocprim17ROCPRIM_400000_NS6detail17trampoline_kernelINS0_13select_configILj256ELj13ELNS0_17block_load_methodE3ELS4_3ELS4_3ELNS0_20block_scan_algorithmE0ELj4294967295EEENS1_25partition_config_selectorILNS1_17partition_subalgoE3EjNS0_10empty_typeEbEEZZNS1_14partition_implILS8_3ELb0ES6_jNS0_17counting_iteratorIjlEEPS9_SE_NS0_5tupleIJPjSE_EEENSF_IJSE_SE_EEES9_SG_JZNS1_25segmented_radix_sort_implINS0_14default_configELb0EPK6__halfPSL_PKlPlN2at6native12_GLOBAL__N_18offset_tEEE10hipError_tPvRmT1_PNSt15iterator_traitsISZ_E10value_typeET2_T3_PNS10_IS15_E10value_typeET4_jRbjT5_S1B_jjP12ihipStream_tbEUljE_EEESW_SX_SY_S15_S19_S1B_T6_T7_T9_mT8_S1D_bDpT10_ENKUlT_T0_E_clISt17integral_constantIbLb1EES1P_IbLb0EEEEDaS1L_S1M_EUlS1L_E_NS1_11comp_targetILNS1_3genE5ELNS1_11target_archE942ELNS1_3gpuE9ELNS1_3repE0EEENS1_30default_config_static_selectorELNS0_4arch9wavefront6targetE1EEEvSZ_.uses_flat_scratch, 0
	.set _ZN7rocprim17ROCPRIM_400000_NS6detail17trampoline_kernelINS0_13select_configILj256ELj13ELNS0_17block_load_methodE3ELS4_3ELS4_3ELNS0_20block_scan_algorithmE0ELj4294967295EEENS1_25partition_config_selectorILNS1_17partition_subalgoE3EjNS0_10empty_typeEbEEZZNS1_14partition_implILS8_3ELb0ES6_jNS0_17counting_iteratorIjlEEPS9_SE_NS0_5tupleIJPjSE_EEENSF_IJSE_SE_EEES9_SG_JZNS1_25segmented_radix_sort_implINS0_14default_configELb0EPK6__halfPSL_PKlPlN2at6native12_GLOBAL__N_18offset_tEEE10hipError_tPvRmT1_PNSt15iterator_traitsISZ_E10value_typeET2_T3_PNS10_IS15_E10value_typeET4_jRbjT5_S1B_jjP12ihipStream_tbEUljE_EEESW_SX_SY_S15_S19_S1B_T6_T7_T9_mT8_S1D_bDpT10_ENKUlT_T0_E_clISt17integral_constantIbLb1EES1P_IbLb0EEEEDaS1L_S1M_EUlS1L_E_NS1_11comp_targetILNS1_3genE5ELNS1_11target_archE942ELNS1_3gpuE9ELNS1_3repE0EEENS1_30default_config_static_selectorELNS0_4arch9wavefront6targetE1EEEvSZ_.has_dyn_sized_stack, 0
	.set _ZN7rocprim17ROCPRIM_400000_NS6detail17trampoline_kernelINS0_13select_configILj256ELj13ELNS0_17block_load_methodE3ELS4_3ELS4_3ELNS0_20block_scan_algorithmE0ELj4294967295EEENS1_25partition_config_selectorILNS1_17partition_subalgoE3EjNS0_10empty_typeEbEEZZNS1_14partition_implILS8_3ELb0ES6_jNS0_17counting_iteratorIjlEEPS9_SE_NS0_5tupleIJPjSE_EEENSF_IJSE_SE_EEES9_SG_JZNS1_25segmented_radix_sort_implINS0_14default_configELb0EPK6__halfPSL_PKlPlN2at6native12_GLOBAL__N_18offset_tEEE10hipError_tPvRmT1_PNSt15iterator_traitsISZ_E10value_typeET2_T3_PNS10_IS15_E10value_typeET4_jRbjT5_S1B_jjP12ihipStream_tbEUljE_EEESW_SX_SY_S15_S19_S1B_T6_T7_T9_mT8_S1D_bDpT10_ENKUlT_T0_E_clISt17integral_constantIbLb1EES1P_IbLb0EEEEDaS1L_S1M_EUlS1L_E_NS1_11comp_targetILNS1_3genE5ELNS1_11target_archE942ELNS1_3gpuE9ELNS1_3repE0EEENS1_30default_config_static_selectorELNS0_4arch9wavefront6targetE1EEEvSZ_.has_recursion, 0
	.set _ZN7rocprim17ROCPRIM_400000_NS6detail17trampoline_kernelINS0_13select_configILj256ELj13ELNS0_17block_load_methodE3ELS4_3ELS4_3ELNS0_20block_scan_algorithmE0ELj4294967295EEENS1_25partition_config_selectorILNS1_17partition_subalgoE3EjNS0_10empty_typeEbEEZZNS1_14partition_implILS8_3ELb0ES6_jNS0_17counting_iteratorIjlEEPS9_SE_NS0_5tupleIJPjSE_EEENSF_IJSE_SE_EEES9_SG_JZNS1_25segmented_radix_sort_implINS0_14default_configELb0EPK6__halfPSL_PKlPlN2at6native12_GLOBAL__N_18offset_tEEE10hipError_tPvRmT1_PNSt15iterator_traitsISZ_E10value_typeET2_T3_PNS10_IS15_E10value_typeET4_jRbjT5_S1B_jjP12ihipStream_tbEUljE_EEESW_SX_SY_S15_S19_S1B_T6_T7_T9_mT8_S1D_bDpT10_ENKUlT_T0_E_clISt17integral_constantIbLb1EES1P_IbLb0EEEEDaS1L_S1M_EUlS1L_E_NS1_11comp_targetILNS1_3genE5ELNS1_11target_archE942ELNS1_3gpuE9ELNS1_3repE0EEENS1_30default_config_static_selectorELNS0_4arch9wavefront6targetE1EEEvSZ_.has_indirect_call, 0
	.section	.AMDGPU.csdata,"",@progbits
; Kernel info:
; codeLenInByte = 0
; TotalNumSgprs: 4
; NumVgprs: 0
; ScratchSize: 0
; MemoryBound: 0
; FloatMode: 240
; IeeeMode: 1
; LDSByteSize: 0 bytes/workgroup (compile time only)
; SGPRBlocks: 0
; VGPRBlocks: 0
; NumSGPRsForWavesPerEU: 4
; NumVGPRsForWavesPerEU: 1
; Occupancy: 10
; WaveLimiterHint : 0
; COMPUTE_PGM_RSRC2:SCRATCH_EN: 0
; COMPUTE_PGM_RSRC2:USER_SGPR: 6
; COMPUTE_PGM_RSRC2:TRAP_HANDLER: 0
; COMPUTE_PGM_RSRC2:TGID_X_EN: 1
; COMPUTE_PGM_RSRC2:TGID_Y_EN: 0
; COMPUTE_PGM_RSRC2:TGID_Z_EN: 0
; COMPUTE_PGM_RSRC2:TIDIG_COMP_CNT: 0
	.section	.text._ZN7rocprim17ROCPRIM_400000_NS6detail17trampoline_kernelINS0_13select_configILj256ELj13ELNS0_17block_load_methodE3ELS4_3ELS4_3ELNS0_20block_scan_algorithmE0ELj4294967295EEENS1_25partition_config_selectorILNS1_17partition_subalgoE3EjNS0_10empty_typeEbEEZZNS1_14partition_implILS8_3ELb0ES6_jNS0_17counting_iteratorIjlEEPS9_SE_NS0_5tupleIJPjSE_EEENSF_IJSE_SE_EEES9_SG_JZNS1_25segmented_radix_sort_implINS0_14default_configELb0EPK6__halfPSL_PKlPlN2at6native12_GLOBAL__N_18offset_tEEE10hipError_tPvRmT1_PNSt15iterator_traitsISZ_E10value_typeET2_T3_PNS10_IS15_E10value_typeET4_jRbjT5_S1B_jjP12ihipStream_tbEUljE_EEESW_SX_SY_S15_S19_S1B_T6_T7_T9_mT8_S1D_bDpT10_ENKUlT_T0_E_clISt17integral_constantIbLb1EES1P_IbLb0EEEEDaS1L_S1M_EUlS1L_E_NS1_11comp_targetILNS1_3genE4ELNS1_11target_archE910ELNS1_3gpuE8ELNS1_3repE0EEENS1_30default_config_static_selectorELNS0_4arch9wavefront6targetE1EEEvSZ_,"axG",@progbits,_ZN7rocprim17ROCPRIM_400000_NS6detail17trampoline_kernelINS0_13select_configILj256ELj13ELNS0_17block_load_methodE3ELS4_3ELS4_3ELNS0_20block_scan_algorithmE0ELj4294967295EEENS1_25partition_config_selectorILNS1_17partition_subalgoE3EjNS0_10empty_typeEbEEZZNS1_14partition_implILS8_3ELb0ES6_jNS0_17counting_iteratorIjlEEPS9_SE_NS0_5tupleIJPjSE_EEENSF_IJSE_SE_EEES9_SG_JZNS1_25segmented_radix_sort_implINS0_14default_configELb0EPK6__halfPSL_PKlPlN2at6native12_GLOBAL__N_18offset_tEEE10hipError_tPvRmT1_PNSt15iterator_traitsISZ_E10value_typeET2_T3_PNS10_IS15_E10value_typeET4_jRbjT5_S1B_jjP12ihipStream_tbEUljE_EEESW_SX_SY_S15_S19_S1B_T6_T7_T9_mT8_S1D_bDpT10_ENKUlT_T0_E_clISt17integral_constantIbLb1EES1P_IbLb0EEEEDaS1L_S1M_EUlS1L_E_NS1_11comp_targetILNS1_3genE4ELNS1_11target_archE910ELNS1_3gpuE8ELNS1_3repE0EEENS1_30default_config_static_selectorELNS0_4arch9wavefront6targetE1EEEvSZ_,comdat
	.globl	_ZN7rocprim17ROCPRIM_400000_NS6detail17trampoline_kernelINS0_13select_configILj256ELj13ELNS0_17block_load_methodE3ELS4_3ELS4_3ELNS0_20block_scan_algorithmE0ELj4294967295EEENS1_25partition_config_selectorILNS1_17partition_subalgoE3EjNS0_10empty_typeEbEEZZNS1_14partition_implILS8_3ELb0ES6_jNS0_17counting_iteratorIjlEEPS9_SE_NS0_5tupleIJPjSE_EEENSF_IJSE_SE_EEES9_SG_JZNS1_25segmented_radix_sort_implINS0_14default_configELb0EPK6__halfPSL_PKlPlN2at6native12_GLOBAL__N_18offset_tEEE10hipError_tPvRmT1_PNSt15iterator_traitsISZ_E10value_typeET2_T3_PNS10_IS15_E10value_typeET4_jRbjT5_S1B_jjP12ihipStream_tbEUljE_EEESW_SX_SY_S15_S19_S1B_T6_T7_T9_mT8_S1D_bDpT10_ENKUlT_T0_E_clISt17integral_constantIbLb1EES1P_IbLb0EEEEDaS1L_S1M_EUlS1L_E_NS1_11comp_targetILNS1_3genE4ELNS1_11target_archE910ELNS1_3gpuE8ELNS1_3repE0EEENS1_30default_config_static_selectorELNS0_4arch9wavefront6targetE1EEEvSZ_ ; -- Begin function _ZN7rocprim17ROCPRIM_400000_NS6detail17trampoline_kernelINS0_13select_configILj256ELj13ELNS0_17block_load_methodE3ELS4_3ELS4_3ELNS0_20block_scan_algorithmE0ELj4294967295EEENS1_25partition_config_selectorILNS1_17partition_subalgoE3EjNS0_10empty_typeEbEEZZNS1_14partition_implILS8_3ELb0ES6_jNS0_17counting_iteratorIjlEEPS9_SE_NS0_5tupleIJPjSE_EEENSF_IJSE_SE_EEES9_SG_JZNS1_25segmented_radix_sort_implINS0_14default_configELb0EPK6__halfPSL_PKlPlN2at6native12_GLOBAL__N_18offset_tEEE10hipError_tPvRmT1_PNSt15iterator_traitsISZ_E10value_typeET2_T3_PNS10_IS15_E10value_typeET4_jRbjT5_S1B_jjP12ihipStream_tbEUljE_EEESW_SX_SY_S15_S19_S1B_T6_T7_T9_mT8_S1D_bDpT10_ENKUlT_T0_E_clISt17integral_constantIbLb1EES1P_IbLb0EEEEDaS1L_S1M_EUlS1L_E_NS1_11comp_targetILNS1_3genE4ELNS1_11target_archE910ELNS1_3gpuE8ELNS1_3repE0EEENS1_30default_config_static_selectorELNS0_4arch9wavefront6targetE1EEEvSZ_
	.p2align	8
	.type	_ZN7rocprim17ROCPRIM_400000_NS6detail17trampoline_kernelINS0_13select_configILj256ELj13ELNS0_17block_load_methodE3ELS4_3ELS4_3ELNS0_20block_scan_algorithmE0ELj4294967295EEENS1_25partition_config_selectorILNS1_17partition_subalgoE3EjNS0_10empty_typeEbEEZZNS1_14partition_implILS8_3ELb0ES6_jNS0_17counting_iteratorIjlEEPS9_SE_NS0_5tupleIJPjSE_EEENSF_IJSE_SE_EEES9_SG_JZNS1_25segmented_radix_sort_implINS0_14default_configELb0EPK6__halfPSL_PKlPlN2at6native12_GLOBAL__N_18offset_tEEE10hipError_tPvRmT1_PNSt15iterator_traitsISZ_E10value_typeET2_T3_PNS10_IS15_E10value_typeET4_jRbjT5_S1B_jjP12ihipStream_tbEUljE_EEESW_SX_SY_S15_S19_S1B_T6_T7_T9_mT8_S1D_bDpT10_ENKUlT_T0_E_clISt17integral_constantIbLb1EES1P_IbLb0EEEEDaS1L_S1M_EUlS1L_E_NS1_11comp_targetILNS1_3genE4ELNS1_11target_archE910ELNS1_3gpuE8ELNS1_3repE0EEENS1_30default_config_static_selectorELNS0_4arch9wavefront6targetE1EEEvSZ_,@function
_ZN7rocprim17ROCPRIM_400000_NS6detail17trampoline_kernelINS0_13select_configILj256ELj13ELNS0_17block_load_methodE3ELS4_3ELS4_3ELNS0_20block_scan_algorithmE0ELj4294967295EEENS1_25partition_config_selectorILNS1_17partition_subalgoE3EjNS0_10empty_typeEbEEZZNS1_14partition_implILS8_3ELb0ES6_jNS0_17counting_iteratorIjlEEPS9_SE_NS0_5tupleIJPjSE_EEENSF_IJSE_SE_EEES9_SG_JZNS1_25segmented_radix_sort_implINS0_14default_configELb0EPK6__halfPSL_PKlPlN2at6native12_GLOBAL__N_18offset_tEEE10hipError_tPvRmT1_PNSt15iterator_traitsISZ_E10value_typeET2_T3_PNS10_IS15_E10value_typeET4_jRbjT5_S1B_jjP12ihipStream_tbEUljE_EEESW_SX_SY_S15_S19_S1B_T6_T7_T9_mT8_S1D_bDpT10_ENKUlT_T0_E_clISt17integral_constantIbLb1EES1P_IbLb0EEEEDaS1L_S1M_EUlS1L_E_NS1_11comp_targetILNS1_3genE4ELNS1_11target_archE910ELNS1_3gpuE8ELNS1_3repE0EEENS1_30default_config_static_selectorELNS0_4arch9wavefront6targetE1EEEvSZ_: ; @_ZN7rocprim17ROCPRIM_400000_NS6detail17trampoline_kernelINS0_13select_configILj256ELj13ELNS0_17block_load_methodE3ELS4_3ELS4_3ELNS0_20block_scan_algorithmE0ELj4294967295EEENS1_25partition_config_selectorILNS1_17partition_subalgoE3EjNS0_10empty_typeEbEEZZNS1_14partition_implILS8_3ELb0ES6_jNS0_17counting_iteratorIjlEEPS9_SE_NS0_5tupleIJPjSE_EEENSF_IJSE_SE_EEES9_SG_JZNS1_25segmented_radix_sort_implINS0_14default_configELb0EPK6__halfPSL_PKlPlN2at6native12_GLOBAL__N_18offset_tEEE10hipError_tPvRmT1_PNSt15iterator_traitsISZ_E10value_typeET2_T3_PNS10_IS15_E10value_typeET4_jRbjT5_S1B_jjP12ihipStream_tbEUljE_EEESW_SX_SY_S15_S19_S1B_T6_T7_T9_mT8_S1D_bDpT10_ENKUlT_T0_E_clISt17integral_constantIbLb1EES1P_IbLb0EEEEDaS1L_S1M_EUlS1L_E_NS1_11comp_targetILNS1_3genE4ELNS1_11target_archE910ELNS1_3gpuE8ELNS1_3repE0EEENS1_30default_config_static_selectorELNS0_4arch9wavefront6targetE1EEEvSZ_
; %bb.0:
	.section	.rodata,"a",@progbits
	.p2align	6, 0x0
	.amdhsa_kernel _ZN7rocprim17ROCPRIM_400000_NS6detail17trampoline_kernelINS0_13select_configILj256ELj13ELNS0_17block_load_methodE3ELS4_3ELS4_3ELNS0_20block_scan_algorithmE0ELj4294967295EEENS1_25partition_config_selectorILNS1_17partition_subalgoE3EjNS0_10empty_typeEbEEZZNS1_14partition_implILS8_3ELb0ES6_jNS0_17counting_iteratorIjlEEPS9_SE_NS0_5tupleIJPjSE_EEENSF_IJSE_SE_EEES9_SG_JZNS1_25segmented_radix_sort_implINS0_14default_configELb0EPK6__halfPSL_PKlPlN2at6native12_GLOBAL__N_18offset_tEEE10hipError_tPvRmT1_PNSt15iterator_traitsISZ_E10value_typeET2_T3_PNS10_IS15_E10value_typeET4_jRbjT5_S1B_jjP12ihipStream_tbEUljE_EEESW_SX_SY_S15_S19_S1B_T6_T7_T9_mT8_S1D_bDpT10_ENKUlT_T0_E_clISt17integral_constantIbLb1EES1P_IbLb0EEEEDaS1L_S1M_EUlS1L_E_NS1_11comp_targetILNS1_3genE4ELNS1_11target_archE910ELNS1_3gpuE8ELNS1_3repE0EEENS1_30default_config_static_selectorELNS0_4arch9wavefront6targetE1EEEvSZ_
		.amdhsa_group_segment_fixed_size 0
		.amdhsa_private_segment_fixed_size 0
		.amdhsa_kernarg_size 144
		.amdhsa_user_sgpr_count 6
		.amdhsa_user_sgpr_private_segment_buffer 1
		.amdhsa_user_sgpr_dispatch_ptr 0
		.amdhsa_user_sgpr_queue_ptr 0
		.amdhsa_user_sgpr_kernarg_segment_ptr 1
		.amdhsa_user_sgpr_dispatch_id 0
		.amdhsa_user_sgpr_flat_scratch_init 0
		.amdhsa_user_sgpr_private_segment_size 0
		.amdhsa_uses_dynamic_stack 0
		.amdhsa_system_sgpr_private_segment_wavefront_offset 0
		.amdhsa_system_sgpr_workgroup_id_x 1
		.amdhsa_system_sgpr_workgroup_id_y 0
		.amdhsa_system_sgpr_workgroup_id_z 0
		.amdhsa_system_sgpr_workgroup_info 0
		.amdhsa_system_vgpr_workitem_id 0
		.amdhsa_next_free_vgpr 1
		.amdhsa_next_free_sgpr 0
		.amdhsa_reserve_vcc 0
		.amdhsa_reserve_flat_scratch 0
		.amdhsa_float_round_mode_32 0
		.amdhsa_float_round_mode_16_64 0
		.amdhsa_float_denorm_mode_32 3
		.amdhsa_float_denorm_mode_16_64 3
		.amdhsa_dx10_clamp 1
		.amdhsa_ieee_mode 1
		.amdhsa_fp16_overflow 0
		.amdhsa_exception_fp_ieee_invalid_op 0
		.amdhsa_exception_fp_denorm_src 0
		.amdhsa_exception_fp_ieee_div_zero 0
		.amdhsa_exception_fp_ieee_overflow 0
		.amdhsa_exception_fp_ieee_underflow 0
		.amdhsa_exception_fp_ieee_inexact 0
		.amdhsa_exception_int_div_zero 0
	.end_amdhsa_kernel
	.section	.text._ZN7rocprim17ROCPRIM_400000_NS6detail17trampoline_kernelINS0_13select_configILj256ELj13ELNS0_17block_load_methodE3ELS4_3ELS4_3ELNS0_20block_scan_algorithmE0ELj4294967295EEENS1_25partition_config_selectorILNS1_17partition_subalgoE3EjNS0_10empty_typeEbEEZZNS1_14partition_implILS8_3ELb0ES6_jNS0_17counting_iteratorIjlEEPS9_SE_NS0_5tupleIJPjSE_EEENSF_IJSE_SE_EEES9_SG_JZNS1_25segmented_radix_sort_implINS0_14default_configELb0EPK6__halfPSL_PKlPlN2at6native12_GLOBAL__N_18offset_tEEE10hipError_tPvRmT1_PNSt15iterator_traitsISZ_E10value_typeET2_T3_PNS10_IS15_E10value_typeET4_jRbjT5_S1B_jjP12ihipStream_tbEUljE_EEESW_SX_SY_S15_S19_S1B_T6_T7_T9_mT8_S1D_bDpT10_ENKUlT_T0_E_clISt17integral_constantIbLb1EES1P_IbLb0EEEEDaS1L_S1M_EUlS1L_E_NS1_11comp_targetILNS1_3genE4ELNS1_11target_archE910ELNS1_3gpuE8ELNS1_3repE0EEENS1_30default_config_static_selectorELNS0_4arch9wavefront6targetE1EEEvSZ_,"axG",@progbits,_ZN7rocprim17ROCPRIM_400000_NS6detail17trampoline_kernelINS0_13select_configILj256ELj13ELNS0_17block_load_methodE3ELS4_3ELS4_3ELNS0_20block_scan_algorithmE0ELj4294967295EEENS1_25partition_config_selectorILNS1_17partition_subalgoE3EjNS0_10empty_typeEbEEZZNS1_14partition_implILS8_3ELb0ES6_jNS0_17counting_iteratorIjlEEPS9_SE_NS0_5tupleIJPjSE_EEENSF_IJSE_SE_EEES9_SG_JZNS1_25segmented_radix_sort_implINS0_14default_configELb0EPK6__halfPSL_PKlPlN2at6native12_GLOBAL__N_18offset_tEEE10hipError_tPvRmT1_PNSt15iterator_traitsISZ_E10value_typeET2_T3_PNS10_IS15_E10value_typeET4_jRbjT5_S1B_jjP12ihipStream_tbEUljE_EEESW_SX_SY_S15_S19_S1B_T6_T7_T9_mT8_S1D_bDpT10_ENKUlT_T0_E_clISt17integral_constantIbLb1EES1P_IbLb0EEEEDaS1L_S1M_EUlS1L_E_NS1_11comp_targetILNS1_3genE4ELNS1_11target_archE910ELNS1_3gpuE8ELNS1_3repE0EEENS1_30default_config_static_selectorELNS0_4arch9wavefront6targetE1EEEvSZ_,comdat
.Lfunc_end1828:
	.size	_ZN7rocprim17ROCPRIM_400000_NS6detail17trampoline_kernelINS0_13select_configILj256ELj13ELNS0_17block_load_methodE3ELS4_3ELS4_3ELNS0_20block_scan_algorithmE0ELj4294967295EEENS1_25partition_config_selectorILNS1_17partition_subalgoE3EjNS0_10empty_typeEbEEZZNS1_14partition_implILS8_3ELb0ES6_jNS0_17counting_iteratorIjlEEPS9_SE_NS0_5tupleIJPjSE_EEENSF_IJSE_SE_EEES9_SG_JZNS1_25segmented_radix_sort_implINS0_14default_configELb0EPK6__halfPSL_PKlPlN2at6native12_GLOBAL__N_18offset_tEEE10hipError_tPvRmT1_PNSt15iterator_traitsISZ_E10value_typeET2_T3_PNS10_IS15_E10value_typeET4_jRbjT5_S1B_jjP12ihipStream_tbEUljE_EEESW_SX_SY_S15_S19_S1B_T6_T7_T9_mT8_S1D_bDpT10_ENKUlT_T0_E_clISt17integral_constantIbLb1EES1P_IbLb0EEEEDaS1L_S1M_EUlS1L_E_NS1_11comp_targetILNS1_3genE4ELNS1_11target_archE910ELNS1_3gpuE8ELNS1_3repE0EEENS1_30default_config_static_selectorELNS0_4arch9wavefront6targetE1EEEvSZ_, .Lfunc_end1828-_ZN7rocprim17ROCPRIM_400000_NS6detail17trampoline_kernelINS0_13select_configILj256ELj13ELNS0_17block_load_methodE3ELS4_3ELS4_3ELNS0_20block_scan_algorithmE0ELj4294967295EEENS1_25partition_config_selectorILNS1_17partition_subalgoE3EjNS0_10empty_typeEbEEZZNS1_14partition_implILS8_3ELb0ES6_jNS0_17counting_iteratorIjlEEPS9_SE_NS0_5tupleIJPjSE_EEENSF_IJSE_SE_EEES9_SG_JZNS1_25segmented_radix_sort_implINS0_14default_configELb0EPK6__halfPSL_PKlPlN2at6native12_GLOBAL__N_18offset_tEEE10hipError_tPvRmT1_PNSt15iterator_traitsISZ_E10value_typeET2_T3_PNS10_IS15_E10value_typeET4_jRbjT5_S1B_jjP12ihipStream_tbEUljE_EEESW_SX_SY_S15_S19_S1B_T6_T7_T9_mT8_S1D_bDpT10_ENKUlT_T0_E_clISt17integral_constantIbLb1EES1P_IbLb0EEEEDaS1L_S1M_EUlS1L_E_NS1_11comp_targetILNS1_3genE4ELNS1_11target_archE910ELNS1_3gpuE8ELNS1_3repE0EEENS1_30default_config_static_selectorELNS0_4arch9wavefront6targetE1EEEvSZ_
                                        ; -- End function
	.set _ZN7rocprim17ROCPRIM_400000_NS6detail17trampoline_kernelINS0_13select_configILj256ELj13ELNS0_17block_load_methodE3ELS4_3ELS4_3ELNS0_20block_scan_algorithmE0ELj4294967295EEENS1_25partition_config_selectorILNS1_17partition_subalgoE3EjNS0_10empty_typeEbEEZZNS1_14partition_implILS8_3ELb0ES6_jNS0_17counting_iteratorIjlEEPS9_SE_NS0_5tupleIJPjSE_EEENSF_IJSE_SE_EEES9_SG_JZNS1_25segmented_radix_sort_implINS0_14default_configELb0EPK6__halfPSL_PKlPlN2at6native12_GLOBAL__N_18offset_tEEE10hipError_tPvRmT1_PNSt15iterator_traitsISZ_E10value_typeET2_T3_PNS10_IS15_E10value_typeET4_jRbjT5_S1B_jjP12ihipStream_tbEUljE_EEESW_SX_SY_S15_S19_S1B_T6_T7_T9_mT8_S1D_bDpT10_ENKUlT_T0_E_clISt17integral_constantIbLb1EES1P_IbLb0EEEEDaS1L_S1M_EUlS1L_E_NS1_11comp_targetILNS1_3genE4ELNS1_11target_archE910ELNS1_3gpuE8ELNS1_3repE0EEENS1_30default_config_static_selectorELNS0_4arch9wavefront6targetE1EEEvSZ_.num_vgpr, 0
	.set _ZN7rocprim17ROCPRIM_400000_NS6detail17trampoline_kernelINS0_13select_configILj256ELj13ELNS0_17block_load_methodE3ELS4_3ELS4_3ELNS0_20block_scan_algorithmE0ELj4294967295EEENS1_25partition_config_selectorILNS1_17partition_subalgoE3EjNS0_10empty_typeEbEEZZNS1_14partition_implILS8_3ELb0ES6_jNS0_17counting_iteratorIjlEEPS9_SE_NS0_5tupleIJPjSE_EEENSF_IJSE_SE_EEES9_SG_JZNS1_25segmented_radix_sort_implINS0_14default_configELb0EPK6__halfPSL_PKlPlN2at6native12_GLOBAL__N_18offset_tEEE10hipError_tPvRmT1_PNSt15iterator_traitsISZ_E10value_typeET2_T3_PNS10_IS15_E10value_typeET4_jRbjT5_S1B_jjP12ihipStream_tbEUljE_EEESW_SX_SY_S15_S19_S1B_T6_T7_T9_mT8_S1D_bDpT10_ENKUlT_T0_E_clISt17integral_constantIbLb1EES1P_IbLb0EEEEDaS1L_S1M_EUlS1L_E_NS1_11comp_targetILNS1_3genE4ELNS1_11target_archE910ELNS1_3gpuE8ELNS1_3repE0EEENS1_30default_config_static_selectorELNS0_4arch9wavefront6targetE1EEEvSZ_.num_agpr, 0
	.set _ZN7rocprim17ROCPRIM_400000_NS6detail17trampoline_kernelINS0_13select_configILj256ELj13ELNS0_17block_load_methodE3ELS4_3ELS4_3ELNS0_20block_scan_algorithmE0ELj4294967295EEENS1_25partition_config_selectorILNS1_17partition_subalgoE3EjNS0_10empty_typeEbEEZZNS1_14partition_implILS8_3ELb0ES6_jNS0_17counting_iteratorIjlEEPS9_SE_NS0_5tupleIJPjSE_EEENSF_IJSE_SE_EEES9_SG_JZNS1_25segmented_radix_sort_implINS0_14default_configELb0EPK6__halfPSL_PKlPlN2at6native12_GLOBAL__N_18offset_tEEE10hipError_tPvRmT1_PNSt15iterator_traitsISZ_E10value_typeET2_T3_PNS10_IS15_E10value_typeET4_jRbjT5_S1B_jjP12ihipStream_tbEUljE_EEESW_SX_SY_S15_S19_S1B_T6_T7_T9_mT8_S1D_bDpT10_ENKUlT_T0_E_clISt17integral_constantIbLb1EES1P_IbLb0EEEEDaS1L_S1M_EUlS1L_E_NS1_11comp_targetILNS1_3genE4ELNS1_11target_archE910ELNS1_3gpuE8ELNS1_3repE0EEENS1_30default_config_static_selectorELNS0_4arch9wavefront6targetE1EEEvSZ_.numbered_sgpr, 0
	.set _ZN7rocprim17ROCPRIM_400000_NS6detail17trampoline_kernelINS0_13select_configILj256ELj13ELNS0_17block_load_methodE3ELS4_3ELS4_3ELNS0_20block_scan_algorithmE0ELj4294967295EEENS1_25partition_config_selectorILNS1_17partition_subalgoE3EjNS0_10empty_typeEbEEZZNS1_14partition_implILS8_3ELb0ES6_jNS0_17counting_iteratorIjlEEPS9_SE_NS0_5tupleIJPjSE_EEENSF_IJSE_SE_EEES9_SG_JZNS1_25segmented_radix_sort_implINS0_14default_configELb0EPK6__halfPSL_PKlPlN2at6native12_GLOBAL__N_18offset_tEEE10hipError_tPvRmT1_PNSt15iterator_traitsISZ_E10value_typeET2_T3_PNS10_IS15_E10value_typeET4_jRbjT5_S1B_jjP12ihipStream_tbEUljE_EEESW_SX_SY_S15_S19_S1B_T6_T7_T9_mT8_S1D_bDpT10_ENKUlT_T0_E_clISt17integral_constantIbLb1EES1P_IbLb0EEEEDaS1L_S1M_EUlS1L_E_NS1_11comp_targetILNS1_3genE4ELNS1_11target_archE910ELNS1_3gpuE8ELNS1_3repE0EEENS1_30default_config_static_selectorELNS0_4arch9wavefront6targetE1EEEvSZ_.num_named_barrier, 0
	.set _ZN7rocprim17ROCPRIM_400000_NS6detail17trampoline_kernelINS0_13select_configILj256ELj13ELNS0_17block_load_methodE3ELS4_3ELS4_3ELNS0_20block_scan_algorithmE0ELj4294967295EEENS1_25partition_config_selectorILNS1_17partition_subalgoE3EjNS0_10empty_typeEbEEZZNS1_14partition_implILS8_3ELb0ES6_jNS0_17counting_iteratorIjlEEPS9_SE_NS0_5tupleIJPjSE_EEENSF_IJSE_SE_EEES9_SG_JZNS1_25segmented_radix_sort_implINS0_14default_configELb0EPK6__halfPSL_PKlPlN2at6native12_GLOBAL__N_18offset_tEEE10hipError_tPvRmT1_PNSt15iterator_traitsISZ_E10value_typeET2_T3_PNS10_IS15_E10value_typeET4_jRbjT5_S1B_jjP12ihipStream_tbEUljE_EEESW_SX_SY_S15_S19_S1B_T6_T7_T9_mT8_S1D_bDpT10_ENKUlT_T0_E_clISt17integral_constantIbLb1EES1P_IbLb0EEEEDaS1L_S1M_EUlS1L_E_NS1_11comp_targetILNS1_3genE4ELNS1_11target_archE910ELNS1_3gpuE8ELNS1_3repE0EEENS1_30default_config_static_selectorELNS0_4arch9wavefront6targetE1EEEvSZ_.private_seg_size, 0
	.set _ZN7rocprim17ROCPRIM_400000_NS6detail17trampoline_kernelINS0_13select_configILj256ELj13ELNS0_17block_load_methodE3ELS4_3ELS4_3ELNS0_20block_scan_algorithmE0ELj4294967295EEENS1_25partition_config_selectorILNS1_17partition_subalgoE3EjNS0_10empty_typeEbEEZZNS1_14partition_implILS8_3ELb0ES6_jNS0_17counting_iteratorIjlEEPS9_SE_NS0_5tupleIJPjSE_EEENSF_IJSE_SE_EEES9_SG_JZNS1_25segmented_radix_sort_implINS0_14default_configELb0EPK6__halfPSL_PKlPlN2at6native12_GLOBAL__N_18offset_tEEE10hipError_tPvRmT1_PNSt15iterator_traitsISZ_E10value_typeET2_T3_PNS10_IS15_E10value_typeET4_jRbjT5_S1B_jjP12ihipStream_tbEUljE_EEESW_SX_SY_S15_S19_S1B_T6_T7_T9_mT8_S1D_bDpT10_ENKUlT_T0_E_clISt17integral_constantIbLb1EES1P_IbLb0EEEEDaS1L_S1M_EUlS1L_E_NS1_11comp_targetILNS1_3genE4ELNS1_11target_archE910ELNS1_3gpuE8ELNS1_3repE0EEENS1_30default_config_static_selectorELNS0_4arch9wavefront6targetE1EEEvSZ_.uses_vcc, 0
	.set _ZN7rocprim17ROCPRIM_400000_NS6detail17trampoline_kernelINS0_13select_configILj256ELj13ELNS0_17block_load_methodE3ELS4_3ELS4_3ELNS0_20block_scan_algorithmE0ELj4294967295EEENS1_25partition_config_selectorILNS1_17partition_subalgoE3EjNS0_10empty_typeEbEEZZNS1_14partition_implILS8_3ELb0ES6_jNS0_17counting_iteratorIjlEEPS9_SE_NS0_5tupleIJPjSE_EEENSF_IJSE_SE_EEES9_SG_JZNS1_25segmented_radix_sort_implINS0_14default_configELb0EPK6__halfPSL_PKlPlN2at6native12_GLOBAL__N_18offset_tEEE10hipError_tPvRmT1_PNSt15iterator_traitsISZ_E10value_typeET2_T3_PNS10_IS15_E10value_typeET4_jRbjT5_S1B_jjP12ihipStream_tbEUljE_EEESW_SX_SY_S15_S19_S1B_T6_T7_T9_mT8_S1D_bDpT10_ENKUlT_T0_E_clISt17integral_constantIbLb1EES1P_IbLb0EEEEDaS1L_S1M_EUlS1L_E_NS1_11comp_targetILNS1_3genE4ELNS1_11target_archE910ELNS1_3gpuE8ELNS1_3repE0EEENS1_30default_config_static_selectorELNS0_4arch9wavefront6targetE1EEEvSZ_.uses_flat_scratch, 0
	.set _ZN7rocprim17ROCPRIM_400000_NS6detail17trampoline_kernelINS0_13select_configILj256ELj13ELNS0_17block_load_methodE3ELS4_3ELS4_3ELNS0_20block_scan_algorithmE0ELj4294967295EEENS1_25partition_config_selectorILNS1_17partition_subalgoE3EjNS0_10empty_typeEbEEZZNS1_14partition_implILS8_3ELb0ES6_jNS0_17counting_iteratorIjlEEPS9_SE_NS0_5tupleIJPjSE_EEENSF_IJSE_SE_EEES9_SG_JZNS1_25segmented_radix_sort_implINS0_14default_configELb0EPK6__halfPSL_PKlPlN2at6native12_GLOBAL__N_18offset_tEEE10hipError_tPvRmT1_PNSt15iterator_traitsISZ_E10value_typeET2_T3_PNS10_IS15_E10value_typeET4_jRbjT5_S1B_jjP12ihipStream_tbEUljE_EEESW_SX_SY_S15_S19_S1B_T6_T7_T9_mT8_S1D_bDpT10_ENKUlT_T0_E_clISt17integral_constantIbLb1EES1P_IbLb0EEEEDaS1L_S1M_EUlS1L_E_NS1_11comp_targetILNS1_3genE4ELNS1_11target_archE910ELNS1_3gpuE8ELNS1_3repE0EEENS1_30default_config_static_selectorELNS0_4arch9wavefront6targetE1EEEvSZ_.has_dyn_sized_stack, 0
	.set _ZN7rocprim17ROCPRIM_400000_NS6detail17trampoline_kernelINS0_13select_configILj256ELj13ELNS0_17block_load_methodE3ELS4_3ELS4_3ELNS0_20block_scan_algorithmE0ELj4294967295EEENS1_25partition_config_selectorILNS1_17partition_subalgoE3EjNS0_10empty_typeEbEEZZNS1_14partition_implILS8_3ELb0ES6_jNS0_17counting_iteratorIjlEEPS9_SE_NS0_5tupleIJPjSE_EEENSF_IJSE_SE_EEES9_SG_JZNS1_25segmented_radix_sort_implINS0_14default_configELb0EPK6__halfPSL_PKlPlN2at6native12_GLOBAL__N_18offset_tEEE10hipError_tPvRmT1_PNSt15iterator_traitsISZ_E10value_typeET2_T3_PNS10_IS15_E10value_typeET4_jRbjT5_S1B_jjP12ihipStream_tbEUljE_EEESW_SX_SY_S15_S19_S1B_T6_T7_T9_mT8_S1D_bDpT10_ENKUlT_T0_E_clISt17integral_constantIbLb1EES1P_IbLb0EEEEDaS1L_S1M_EUlS1L_E_NS1_11comp_targetILNS1_3genE4ELNS1_11target_archE910ELNS1_3gpuE8ELNS1_3repE0EEENS1_30default_config_static_selectorELNS0_4arch9wavefront6targetE1EEEvSZ_.has_recursion, 0
	.set _ZN7rocprim17ROCPRIM_400000_NS6detail17trampoline_kernelINS0_13select_configILj256ELj13ELNS0_17block_load_methodE3ELS4_3ELS4_3ELNS0_20block_scan_algorithmE0ELj4294967295EEENS1_25partition_config_selectorILNS1_17partition_subalgoE3EjNS0_10empty_typeEbEEZZNS1_14partition_implILS8_3ELb0ES6_jNS0_17counting_iteratorIjlEEPS9_SE_NS0_5tupleIJPjSE_EEENSF_IJSE_SE_EEES9_SG_JZNS1_25segmented_radix_sort_implINS0_14default_configELb0EPK6__halfPSL_PKlPlN2at6native12_GLOBAL__N_18offset_tEEE10hipError_tPvRmT1_PNSt15iterator_traitsISZ_E10value_typeET2_T3_PNS10_IS15_E10value_typeET4_jRbjT5_S1B_jjP12ihipStream_tbEUljE_EEESW_SX_SY_S15_S19_S1B_T6_T7_T9_mT8_S1D_bDpT10_ENKUlT_T0_E_clISt17integral_constantIbLb1EES1P_IbLb0EEEEDaS1L_S1M_EUlS1L_E_NS1_11comp_targetILNS1_3genE4ELNS1_11target_archE910ELNS1_3gpuE8ELNS1_3repE0EEENS1_30default_config_static_selectorELNS0_4arch9wavefront6targetE1EEEvSZ_.has_indirect_call, 0
	.section	.AMDGPU.csdata,"",@progbits
; Kernel info:
; codeLenInByte = 0
; TotalNumSgprs: 4
; NumVgprs: 0
; ScratchSize: 0
; MemoryBound: 0
; FloatMode: 240
; IeeeMode: 1
; LDSByteSize: 0 bytes/workgroup (compile time only)
; SGPRBlocks: 0
; VGPRBlocks: 0
; NumSGPRsForWavesPerEU: 4
; NumVGPRsForWavesPerEU: 1
; Occupancy: 10
; WaveLimiterHint : 0
; COMPUTE_PGM_RSRC2:SCRATCH_EN: 0
; COMPUTE_PGM_RSRC2:USER_SGPR: 6
; COMPUTE_PGM_RSRC2:TRAP_HANDLER: 0
; COMPUTE_PGM_RSRC2:TGID_X_EN: 1
; COMPUTE_PGM_RSRC2:TGID_Y_EN: 0
; COMPUTE_PGM_RSRC2:TGID_Z_EN: 0
; COMPUTE_PGM_RSRC2:TIDIG_COMP_CNT: 0
	.section	.text._ZN7rocprim17ROCPRIM_400000_NS6detail17trampoline_kernelINS0_13select_configILj256ELj13ELNS0_17block_load_methodE3ELS4_3ELS4_3ELNS0_20block_scan_algorithmE0ELj4294967295EEENS1_25partition_config_selectorILNS1_17partition_subalgoE3EjNS0_10empty_typeEbEEZZNS1_14partition_implILS8_3ELb0ES6_jNS0_17counting_iteratorIjlEEPS9_SE_NS0_5tupleIJPjSE_EEENSF_IJSE_SE_EEES9_SG_JZNS1_25segmented_radix_sort_implINS0_14default_configELb0EPK6__halfPSL_PKlPlN2at6native12_GLOBAL__N_18offset_tEEE10hipError_tPvRmT1_PNSt15iterator_traitsISZ_E10value_typeET2_T3_PNS10_IS15_E10value_typeET4_jRbjT5_S1B_jjP12ihipStream_tbEUljE_EEESW_SX_SY_S15_S19_S1B_T6_T7_T9_mT8_S1D_bDpT10_ENKUlT_T0_E_clISt17integral_constantIbLb1EES1P_IbLb0EEEEDaS1L_S1M_EUlS1L_E_NS1_11comp_targetILNS1_3genE3ELNS1_11target_archE908ELNS1_3gpuE7ELNS1_3repE0EEENS1_30default_config_static_selectorELNS0_4arch9wavefront6targetE1EEEvSZ_,"axG",@progbits,_ZN7rocprim17ROCPRIM_400000_NS6detail17trampoline_kernelINS0_13select_configILj256ELj13ELNS0_17block_load_methodE3ELS4_3ELS4_3ELNS0_20block_scan_algorithmE0ELj4294967295EEENS1_25partition_config_selectorILNS1_17partition_subalgoE3EjNS0_10empty_typeEbEEZZNS1_14partition_implILS8_3ELb0ES6_jNS0_17counting_iteratorIjlEEPS9_SE_NS0_5tupleIJPjSE_EEENSF_IJSE_SE_EEES9_SG_JZNS1_25segmented_radix_sort_implINS0_14default_configELb0EPK6__halfPSL_PKlPlN2at6native12_GLOBAL__N_18offset_tEEE10hipError_tPvRmT1_PNSt15iterator_traitsISZ_E10value_typeET2_T3_PNS10_IS15_E10value_typeET4_jRbjT5_S1B_jjP12ihipStream_tbEUljE_EEESW_SX_SY_S15_S19_S1B_T6_T7_T9_mT8_S1D_bDpT10_ENKUlT_T0_E_clISt17integral_constantIbLb1EES1P_IbLb0EEEEDaS1L_S1M_EUlS1L_E_NS1_11comp_targetILNS1_3genE3ELNS1_11target_archE908ELNS1_3gpuE7ELNS1_3repE0EEENS1_30default_config_static_selectorELNS0_4arch9wavefront6targetE1EEEvSZ_,comdat
	.globl	_ZN7rocprim17ROCPRIM_400000_NS6detail17trampoline_kernelINS0_13select_configILj256ELj13ELNS0_17block_load_methodE3ELS4_3ELS4_3ELNS0_20block_scan_algorithmE0ELj4294967295EEENS1_25partition_config_selectorILNS1_17partition_subalgoE3EjNS0_10empty_typeEbEEZZNS1_14partition_implILS8_3ELb0ES6_jNS0_17counting_iteratorIjlEEPS9_SE_NS0_5tupleIJPjSE_EEENSF_IJSE_SE_EEES9_SG_JZNS1_25segmented_radix_sort_implINS0_14default_configELb0EPK6__halfPSL_PKlPlN2at6native12_GLOBAL__N_18offset_tEEE10hipError_tPvRmT1_PNSt15iterator_traitsISZ_E10value_typeET2_T3_PNS10_IS15_E10value_typeET4_jRbjT5_S1B_jjP12ihipStream_tbEUljE_EEESW_SX_SY_S15_S19_S1B_T6_T7_T9_mT8_S1D_bDpT10_ENKUlT_T0_E_clISt17integral_constantIbLb1EES1P_IbLb0EEEEDaS1L_S1M_EUlS1L_E_NS1_11comp_targetILNS1_3genE3ELNS1_11target_archE908ELNS1_3gpuE7ELNS1_3repE0EEENS1_30default_config_static_selectorELNS0_4arch9wavefront6targetE1EEEvSZ_ ; -- Begin function _ZN7rocprim17ROCPRIM_400000_NS6detail17trampoline_kernelINS0_13select_configILj256ELj13ELNS0_17block_load_methodE3ELS4_3ELS4_3ELNS0_20block_scan_algorithmE0ELj4294967295EEENS1_25partition_config_selectorILNS1_17partition_subalgoE3EjNS0_10empty_typeEbEEZZNS1_14partition_implILS8_3ELb0ES6_jNS0_17counting_iteratorIjlEEPS9_SE_NS0_5tupleIJPjSE_EEENSF_IJSE_SE_EEES9_SG_JZNS1_25segmented_radix_sort_implINS0_14default_configELb0EPK6__halfPSL_PKlPlN2at6native12_GLOBAL__N_18offset_tEEE10hipError_tPvRmT1_PNSt15iterator_traitsISZ_E10value_typeET2_T3_PNS10_IS15_E10value_typeET4_jRbjT5_S1B_jjP12ihipStream_tbEUljE_EEESW_SX_SY_S15_S19_S1B_T6_T7_T9_mT8_S1D_bDpT10_ENKUlT_T0_E_clISt17integral_constantIbLb1EES1P_IbLb0EEEEDaS1L_S1M_EUlS1L_E_NS1_11comp_targetILNS1_3genE3ELNS1_11target_archE908ELNS1_3gpuE7ELNS1_3repE0EEENS1_30default_config_static_selectorELNS0_4arch9wavefront6targetE1EEEvSZ_
	.p2align	8
	.type	_ZN7rocprim17ROCPRIM_400000_NS6detail17trampoline_kernelINS0_13select_configILj256ELj13ELNS0_17block_load_methodE3ELS4_3ELS4_3ELNS0_20block_scan_algorithmE0ELj4294967295EEENS1_25partition_config_selectorILNS1_17partition_subalgoE3EjNS0_10empty_typeEbEEZZNS1_14partition_implILS8_3ELb0ES6_jNS0_17counting_iteratorIjlEEPS9_SE_NS0_5tupleIJPjSE_EEENSF_IJSE_SE_EEES9_SG_JZNS1_25segmented_radix_sort_implINS0_14default_configELb0EPK6__halfPSL_PKlPlN2at6native12_GLOBAL__N_18offset_tEEE10hipError_tPvRmT1_PNSt15iterator_traitsISZ_E10value_typeET2_T3_PNS10_IS15_E10value_typeET4_jRbjT5_S1B_jjP12ihipStream_tbEUljE_EEESW_SX_SY_S15_S19_S1B_T6_T7_T9_mT8_S1D_bDpT10_ENKUlT_T0_E_clISt17integral_constantIbLb1EES1P_IbLb0EEEEDaS1L_S1M_EUlS1L_E_NS1_11comp_targetILNS1_3genE3ELNS1_11target_archE908ELNS1_3gpuE7ELNS1_3repE0EEENS1_30default_config_static_selectorELNS0_4arch9wavefront6targetE1EEEvSZ_,@function
_ZN7rocprim17ROCPRIM_400000_NS6detail17trampoline_kernelINS0_13select_configILj256ELj13ELNS0_17block_load_methodE3ELS4_3ELS4_3ELNS0_20block_scan_algorithmE0ELj4294967295EEENS1_25partition_config_selectorILNS1_17partition_subalgoE3EjNS0_10empty_typeEbEEZZNS1_14partition_implILS8_3ELb0ES6_jNS0_17counting_iteratorIjlEEPS9_SE_NS0_5tupleIJPjSE_EEENSF_IJSE_SE_EEES9_SG_JZNS1_25segmented_radix_sort_implINS0_14default_configELb0EPK6__halfPSL_PKlPlN2at6native12_GLOBAL__N_18offset_tEEE10hipError_tPvRmT1_PNSt15iterator_traitsISZ_E10value_typeET2_T3_PNS10_IS15_E10value_typeET4_jRbjT5_S1B_jjP12ihipStream_tbEUljE_EEESW_SX_SY_S15_S19_S1B_T6_T7_T9_mT8_S1D_bDpT10_ENKUlT_T0_E_clISt17integral_constantIbLb1EES1P_IbLb0EEEEDaS1L_S1M_EUlS1L_E_NS1_11comp_targetILNS1_3genE3ELNS1_11target_archE908ELNS1_3gpuE7ELNS1_3repE0EEENS1_30default_config_static_selectorELNS0_4arch9wavefront6targetE1EEEvSZ_: ; @_ZN7rocprim17ROCPRIM_400000_NS6detail17trampoline_kernelINS0_13select_configILj256ELj13ELNS0_17block_load_methodE3ELS4_3ELS4_3ELNS0_20block_scan_algorithmE0ELj4294967295EEENS1_25partition_config_selectorILNS1_17partition_subalgoE3EjNS0_10empty_typeEbEEZZNS1_14partition_implILS8_3ELb0ES6_jNS0_17counting_iteratorIjlEEPS9_SE_NS0_5tupleIJPjSE_EEENSF_IJSE_SE_EEES9_SG_JZNS1_25segmented_radix_sort_implINS0_14default_configELb0EPK6__halfPSL_PKlPlN2at6native12_GLOBAL__N_18offset_tEEE10hipError_tPvRmT1_PNSt15iterator_traitsISZ_E10value_typeET2_T3_PNS10_IS15_E10value_typeET4_jRbjT5_S1B_jjP12ihipStream_tbEUljE_EEESW_SX_SY_S15_S19_S1B_T6_T7_T9_mT8_S1D_bDpT10_ENKUlT_T0_E_clISt17integral_constantIbLb1EES1P_IbLb0EEEEDaS1L_S1M_EUlS1L_E_NS1_11comp_targetILNS1_3genE3ELNS1_11target_archE908ELNS1_3gpuE7ELNS1_3repE0EEENS1_30default_config_static_selectorELNS0_4arch9wavefront6targetE1EEEvSZ_
; %bb.0:
	.section	.rodata,"a",@progbits
	.p2align	6, 0x0
	.amdhsa_kernel _ZN7rocprim17ROCPRIM_400000_NS6detail17trampoline_kernelINS0_13select_configILj256ELj13ELNS0_17block_load_methodE3ELS4_3ELS4_3ELNS0_20block_scan_algorithmE0ELj4294967295EEENS1_25partition_config_selectorILNS1_17partition_subalgoE3EjNS0_10empty_typeEbEEZZNS1_14partition_implILS8_3ELb0ES6_jNS0_17counting_iteratorIjlEEPS9_SE_NS0_5tupleIJPjSE_EEENSF_IJSE_SE_EEES9_SG_JZNS1_25segmented_radix_sort_implINS0_14default_configELb0EPK6__halfPSL_PKlPlN2at6native12_GLOBAL__N_18offset_tEEE10hipError_tPvRmT1_PNSt15iterator_traitsISZ_E10value_typeET2_T3_PNS10_IS15_E10value_typeET4_jRbjT5_S1B_jjP12ihipStream_tbEUljE_EEESW_SX_SY_S15_S19_S1B_T6_T7_T9_mT8_S1D_bDpT10_ENKUlT_T0_E_clISt17integral_constantIbLb1EES1P_IbLb0EEEEDaS1L_S1M_EUlS1L_E_NS1_11comp_targetILNS1_3genE3ELNS1_11target_archE908ELNS1_3gpuE7ELNS1_3repE0EEENS1_30default_config_static_selectorELNS0_4arch9wavefront6targetE1EEEvSZ_
		.amdhsa_group_segment_fixed_size 0
		.amdhsa_private_segment_fixed_size 0
		.amdhsa_kernarg_size 144
		.amdhsa_user_sgpr_count 6
		.amdhsa_user_sgpr_private_segment_buffer 1
		.amdhsa_user_sgpr_dispatch_ptr 0
		.amdhsa_user_sgpr_queue_ptr 0
		.amdhsa_user_sgpr_kernarg_segment_ptr 1
		.amdhsa_user_sgpr_dispatch_id 0
		.amdhsa_user_sgpr_flat_scratch_init 0
		.amdhsa_user_sgpr_private_segment_size 0
		.amdhsa_uses_dynamic_stack 0
		.amdhsa_system_sgpr_private_segment_wavefront_offset 0
		.amdhsa_system_sgpr_workgroup_id_x 1
		.amdhsa_system_sgpr_workgroup_id_y 0
		.amdhsa_system_sgpr_workgroup_id_z 0
		.amdhsa_system_sgpr_workgroup_info 0
		.amdhsa_system_vgpr_workitem_id 0
		.amdhsa_next_free_vgpr 1
		.amdhsa_next_free_sgpr 0
		.amdhsa_reserve_vcc 0
		.amdhsa_reserve_flat_scratch 0
		.amdhsa_float_round_mode_32 0
		.amdhsa_float_round_mode_16_64 0
		.amdhsa_float_denorm_mode_32 3
		.amdhsa_float_denorm_mode_16_64 3
		.amdhsa_dx10_clamp 1
		.amdhsa_ieee_mode 1
		.amdhsa_fp16_overflow 0
		.amdhsa_exception_fp_ieee_invalid_op 0
		.amdhsa_exception_fp_denorm_src 0
		.amdhsa_exception_fp_ieee_div_zero 0
		.amdhsa_exception_fp_ieee_overflow 0
		.amdhsa_exception_fp_ieee_underflow 0
		.amdhsa_exception_fp_ieee_inexact 0
		.amdhsa_exception_int_div_zero 0
	.end_amdhsa_kernel
	.section	.text._ZN7rocprim17ROCPRIM_400000_NS6detail17trampoline_kernelINS0_13select_configILj256ELj13ELNS0_17block_load_methodE3ELS4_3ELS4_3ELNS0_20block_scan_algorithmE0ELj4294967295EEENS1_25partition_config_selectorILNS1_17partition_subalgoE3EjNS0_10empty_typeEbEEZZNS1_14partition_implILS8_3ELb0ES6_jNS0_17counting_iteratorIjlEEPS9_SE_NS0_5tupleIJPjSE_EEENSF_IJSE_SE_EEES9_SG_JZNS1_25segmented_radix_sort_implINS0_14default_configELb0EPK6__halfPSL_PKlPlN2at6native12_GLOBAL__N_18offset_tEEE10hipError_tPvRmT1_PNSt15iterator_traitsISZ_E10value_typeET2_T3_PNS10_IS15_E10value_typeET4_jRbjT5_S1B_jjP12ihipStream_tbEUljE_EEESW_SX_SY_S15_S19_S1B_T6_T7_T9_mT8_S1D_bDpT10_ENKUlT_T0_E_clISt17integral_constantIbLb1EES1P_IbLb0EEEEDaS1L_S1M_EUlS1L_E_NS1_11comp_targetILNS1_3genE3ELNS1_11target_archE908ELNS1_3gpuE7ELNS1_3repE0EEENS1_30default_config_static_selectorELNS0_4arch9wavefront6targetE1EEEvSZ_,"axG",@progbits,_ZN7rocprim17ROCPRIM_400000_NS6detail17trampoline_kernelINS0_13select_configILj256ELj13ELNS0_17block_load_methodE3ELS4_3ELS4_3ELNS0_20block_scan_algorithmE0ELj4294967295EEENS1_25partition_config_selectorILNS1_17partition_subalgoE3EjNS0_10empty_typeEbEEZZNS1_14partition_implILS8_3ELb0ES6_jNS0_17counting_iteratorIjlEEPS9_SE_NS0_5tupleIJPjSE_EEENSF_IJSE_SE_EEES9_SG_JZNS1_25segmented_radix_sort_implINS0_14default_configELb0EPK6__halfPSL_PKlPlN2at6native12_GLOBAL__N_18offset_tEEE10hipError_tPvRmT1_PNSt15iterator_traitsISZ_E10value_typeET2_T3_PNS10_IS15_E10value_typeET4_jRbjT5_S1B_jjP12ihipStream_tbEUljE_EEESW_SX_SY_S15_S19_S1B_T6_T7_T9_mT8_S1D_bDpT10_ENKUlT_T0_E_clISt17integral_constantIbLb1EES1P_IbLb0EEEEDaS1L_S1M_EUlS1L_E_NS1_11comp_targetILNS1_3genE3ELNS1_11target_archE908ELNS1_3gpuE7ELNS1_3repE0EEENS1_30default_config_static_selectorELNS0_4arch9wavefront6targetE1EEEvSZ_,comdat
.Lfunc_end1829:
	.size	_ZN7rocprim17ROCPRIM_400000_NS6detail17trampoline_kernelINS0_13select_configILj256ELj13ELNS0_17block_load_methodE3ELS4_3ELS4_3ELNS0_20block_scan_algorithmE0ELj4294967295EEENS1_25partition_config_selectorILNS1_17partition_subalgoE3EjNS0_10empty_typeEbEEZZNS1_14partition_implILS8_3ELb0ES6_jNS0_17counting_iteratorIjlEEPS9_SE_NS0_5tupleIJPjSE_EEENSF_IJSE_SE_EEES9_SG_JZNS1_25segmented_radix_sort_implINS0_14default_configELb0EPK6__halfPSL_PKlPlN2at6native12_GLOBAL__N_18offset_tEEE10hipError_tPvRmT1_PNSt15iterator_traitsISZ_E10value_typeET2_T3_PNS10_IS15_E10value_typeET4_jRbjT5_S1B_jjP12ihipStream_tbEUljE_EEESW_SX_SY_S15_S19_S1B_T6_T7_T9_mT8_S1D_bDpT10_ENKUlT_T0_E_clISt17integral_constantIbLb1EES1P_IbLb0EEEEDaS1L_S1M_EUlS1L_E_NS1_11comp_targetILNS1_3genE3ELNS1_11target_archE908ELNS1_3gpuE7ELNS1_3repE0EEENS1_30default_config_static_selectorELNS0_4arch9wavefront6targetE1EEEvSZ_, .Lfunc_end1829-_ZN7rocprim17ROCPRIM_400000_NS6detail17trampoline_kernelINS0_13select_configILj256ELj13ELNS0_17block_load_methodE3ELS4_3ELS4_3ELNS0_20block_scan_algorithmE0ELj4294967295EEENS1_25partition_config_selectorILNS1_17partition_subalgoE3EjNS0_10empty_typeEbEEZZNS1_14partition_implILS8_3ELb0ES6_jNS0_17counting_iteratorIjlEEPS9_SE_NS0_5tupleIJPjSE_EEENSF_IJSE_SE_EEES9_SG_JZNS1_25segmented_radix_sort_implINS0_14default_configELb0EPK6__halfPSL_PKlPlN2at6native12_GLOBAL__N_18offset_tEEE10hipError_tPvRmT1_PNSt15iterator_traitsISZ_E10value_typeET2_T3_PNS10_IS15_E10value_typeET4_jRbjT5_S1B_jjP12ihipStream_tbEUljE_EEESW_SX_SY_S15_S19_S1B_T6_T7_T9_mT8_S1D_bDpT10_ENKUlT_T0_E_clISt17integral_constantIbLb1EES1P_IbLb0EEEEDaS1L_S1M_EUlS1L_E_NS1_11comp_targetILNS1_3genE3ELNS1_11target_archE908ELNS1_3gpuE7ELNS1_3repE0EEENS1_30default_config_static_selectorELNS0_4arch9wavefront6targetE1EEEvSZ_
                                        ; -- End function
	.set _ZN7rocprim17ROCPRIM_400000_NS6detail17trampoline_kernelINS0_13select_configILj256ELj13ELNS0_17block_load_methodE3ELS4_3ELS4_3ELNS0_20block_scan_algorithmE0ELj4294967295EEENS1_25partition_config_selectorILNS1_17partition_subalgoE3EjNS0_10empty_typeEbEEZZNS1_14partition_implILS8_3ELb0ES6_jNS0_17counting_iteratorIjlEEPS9_SE_NS0_5tupleIJPjSE_EEENSF_IJSE_SE_EEES9_SG_JZNS1_25segmented_radix_sort_implINS0_14default_configELb0EPK6__halfPSL_PKlPlN2at6native12_GLOBAL__N_18offset_tEEE10hipError_tPvRmT1_PNSt15iterator_traitsISZ_E10value_typeET2_T3_PNS10_IS15_E10value_typeET4_jRbjT5_S1B_jjP12ihipStream_tbEUljE_EEESW_SX_SY_S15_S19_S1B_T6_T7_T9_mT8_S1D_bDpT10_ENKUlT_T0_E_clISt17integral_constantIbLb1EES1P_IbLb0EEEEDaS1L_S1M_EUlS1L_E_NS1_11comp_targetILNS1_3genE3ELNS1_11target_archE908ELNS1_3gpuE7ELNS1_3repE0EEENS1_30default_config_static_selectorELNS0_4arch9wavefront6targetE1EEEvSZ_.num_vgpr, 0
	.set _ZN7rocprim17ROCPRIM_400000_NS6detail17trampoline_kernelINS0_13select_configILj256ELj13ELNS0_17block_load_methodE3ELS4_3ELS4_3ELNS0_20block_scan_algorithmE0ELj4294967295EEENS1_25partition_config_selectorILNS1_17partition_subalgoE3EjNS0_10empty_typeEbEEZZNS1_14partition_implILS8_3ELb0ES6_jNS0_17counting_iteratorIjlEEPS9_SE_NS0_5tupleIJPjSE_EEENSF_IJSE_SE_EEES9_SG_JZNS1_25segmented_radix_sort_implINS0_14default_configELb0EPK6__halfPSL_PKlPlN2at6native12_GLOBAL__N_18offset_tEEE10hipError_tPvRmT1_PNSt15iterator_traitsISZ_E10value_typeET2_T3_PNS10_IS15_E10value_typeET4_jRbjT5_S1B_jjP12ihipStream_tbEUljE_EEESW_SX_SY_S15_S19_S1B_T6_T7_T9_mT8_S1D_bDpT10_ENKUlT_T0_E_clISt17integral_constantIbLb1EES1P_IbLb0EEEEDaS1L_S1M_EUlS1L_E_NS1_11comp_targetILNS1_3genE3ELNS1_11target_archE908ELNS1_3gpuE7ELNS1_3repE0EEENS1_30default_config_static_selectorELNS0_4arch9wavefront6targetE1EEEvSZ_.num_agpr, 0
	.set _ZN7rocprim17ROCPRIM_400000_NS6detail17trampoline_kernelINS0_13select_configILj256ELj13ELNS0_17block_load_methodE3ELS4_3ELS4_3ELNS0_20block_scan_algorithmE0ELj4294967295EEENS1_25partition_config_selectorILNS1_17partition_subalgoE3EjNS0_10empty_typeEbEEZZNS1_14partition_implILS8_3ELb0ES6_jNS0_17counting_iteratorIjlEEPS9_SE_NS0_5tupleIJPjSE_EEENSF_IJSE_SE_EEES9_SG_JZNS1_25segmented_radix_sort_implINS0_14default_configELb0EPK6__halfPSL_PKlPlN2at6native12_GLOBAL__N_18offset_tEEE10hipError_tPvRmT1_PNSt15iterator_traitsISZ_E10value_typeET2_T3_PNS10_IS15_E10value_typeET4_jRbjT5_S1B_jjP12ihipStream_tbEUljE_EEESW_SX_SY_S15_S19_S1B_T6_T7_T9_mT8_S1D_bDpT10_ENKUlT_T0_E_clISt17integral_constantIbLb1EES1P_IbLb0EEEEDaS1L_S1M_EUlS1L_E_NS1_11comp_targetILNS1_3genE3ELNS1_11target_archE908ELNS1_3gpuE7ELNS1_3repE0EEENS1_30default_config_static_selectorELNS0_4arch9wavefront6targetE1EEEvSZ_.numbered_sgpr, 0
	.set _ZN7rocprim17ROCPRIM_400000_NS6detail17trampoline_kernelINS0_13select_configILj256ELj13ELNS0_17block_load_methodE3ELS4_3ELS4_3ELNS0_20block_scan_algorithmE0ELj4294967295EEENS1_25partition_config_selectorILNS1_17partition_subalgoE3EjNS0_10empty_typeEbEEZZNS1_14partition_implILS8_3ELb0ES6_jNS0_17counting_iteratorIjlEEPS9_SE_NS0_5tupleIJPjSE_EEENSF_IJSE_SE_EEES9_SG_JZNS1_25segmented_radix_sort_implINS0_14default_configELb0EPK6__halfPSL_PKlPlN2at6native12_GLOBAL__N_18offset_tEEE10hipError_tPvRmT1_PNSt15iterator_traitsISZ_E10value_typeET2_T3_PNS10_IS15_E10value_typeET4_jRbjT5_S1B_jjP12ihipStream_tbEUljE_EEESW_SX_SY_S15_S19_S1B_T6_T7_T9_mT8_S1D_bDpT10_ENKUlT_T0_E_clISt17integral_constantIbLb1EES1P_IbLb0EEEEDaS1L_S1M_EUlS1L_E_NS1_11comp_targetILNS1_3genE3ELNS1_11target_archE908ELNS1_3gpuE7ELNS1_3repE0EEENS1_30default_config_static_selectorELNS0_4arch9wavefront6targetE1EEEvSZ_.num_named_barrier, 0
	.set _ZN7rocprim17ROCPRIM_400000_NS6detail17trampoline_kernelINS0_13select_configILj256ELj13ELNS0_17block_load_methodE3ELS4_3ELS4_3ELNS0_20block_scan_algorithmE0ELj4294967295EEENS1_25partition_config_selectorILNS1_17partition_subalgoE3EjNS0_10empty_typeEbEEZZNS1_14partition_implILS8_3ELb0ES6_jNS0_17counting_iteratorIjlEEPS9_SE_NS0_5tupleIJPjSE_EEENSF_IJSE_SE_EEES9_SG_JZNS1_25segmented_radix_sort_implINS0_14default_configELb0EPK6__halfPSL_PKlPlN2at6native12_GLOBAL__N_18offset_tEEE10hipError_tPvRmT1_PNSt15iterator_traitsISZ_E10value_typeET2_T3_PNS10_IS15_E10value_typeET4_jRbjT5_S1B_jjP12ihipStream_tbEUljE_EEESW_SX_SY_S15_S19_S1B_T6_T7_T9_mT8_S1D_bDpT10_ENKUlT_T0_E_clISt17integral_constantIbLb1EES1P_IbLb0EEEEDaS1L_S1M_EUlS1L_E_NS1_11comp_targetILNS1_3genE3ELNS1_11target_archE908ELNS1_3gpuE7ELNS1_3repE0EEENS1_30default_config_static_selectorELNS0_4arch9wavefront6targetE1EEEvSZ_.private_seg_size, 0
	.set _ZN7rocprim17ROCPRIM_400000_NS6detail17trampoline_kernelINS0_13select_configILj256ELj13ELNS0_17block_load_methodE3ELS4_3ELS4_3ELNS0_20block_scan_algorithmE0ELj4294967295EEENS1_25partition_config_selectorILNS1_17partition_subalgoE3EjNS0_10empty_typeEbEEZZNS1_14partition_implILS8_3ELb0ES6_jNS0_17counting_iteratorIjlEEPS9_SE_NS0_5tupleIJPjSE_EEENSF_IJSE_SE_EEES9_SG_JZNS1_25segmented_radix_sort_implINS0_14default_configELb0EPK6__halfPSL_PKlPlN2at6native12_GLOBAL__N_18offset_tEEE10hipError_tPvRmT1_PNSt15iterator_traitsISZ_E10value_typeET2_T3_PNS10_IS15_E10value_typeET4_jRbjT5_S1B_jjP12ihipStream_tbEUljE_EEESW_SX_SY_S15_S19_S1B_T6_T7_T9_mT8_S1D_bDpT10_ENKUlT_T0_E_clISt17integral_constantIbLb1EES1P_IbLb0EEEEDaS1L_S1M_EUlS1L_E_NS1_11comp_targetILNS1_3genE3ELNS1_11target_archE908ELNS1_3gpuE7ELNS1_3repE0EEENS1_30default_config_static_selectorELNS0_4arch9wavefront6targetE1EEEvSZ_.uses_vcc, 0
	.set _ZN7rocprim17ROCPRIM_400000_NS6detail17trampoline_kernelINS0_13select_configILj256ELj13ELNS0_17block_load_methodE3ELS4_3ELS4_3ELNS0_20block_scan_algorithmE0ELj4294967295EEENS1_25partition_config_selectorILNS1_17partition_subalgoE3EjNS0_10empty_typeEbEEZZNS1_14partition_implILS8_3ELb0ES6_jNS0_17counting_iteratorIjlEEPS9_SE_NS0_5tupleIJPjSE_EEENSF_IJSE_SE_EEES9_SG_JZNS1_25segmented_radix_sort_implINS0_14default_configELb0EPK6__halfPSL_PKlPlN2at6native12_GLOBAL__N_18offset_tEEE10hipError_tPvRmT1_PNSt15iterator_traitsISZ_E10value_typeET2_T3_PNS10_IS15_E10value_typeET4_jRbjT5_S1B_jjP12ihipStream_tbEUljE_EEESW_SX_SY_S15_S19_S1B_T6_T7_T9_mT8_S1D_bDpT10_ENKUlT_T0_E_clISt17integral_constantIbLb1EES1P_IbLb0EEEEDaS1L_S1M_EUlS1L_E_NS1_11comp_targetILNS1_3genE3ELNS1_11target_archE908ELNS1_3gpuE7ELNS1_3repE0EEENS1_30default_config_static_selectorELNS0_4arch9wavefront6targetE1EEEvSZ_.uses_flat_scratch, 0
	.set _ZN7rocprim17ROCPRIM_400000_NS6detail17trampoline_kernelINS0_13select_configILj256ELj13ELNS0_17block_load_methodE3ELS4_3ELS4_3ELNS0_20block_scan_algorithmE0ELj4294967295EEENS1_25partition_config_selectorILNS1_17partition_subalgoE3EjNS0_10empty_typeEbEEZZNS1_14partition_implILS8_3ELb0ES6_jNS0_17counting_iteratorIjlEEPS9_SE_NS0_5tupleIJPjSE_EEENSF_IJSE_SE_EEES9_SG_JZNS1_25segmented_radix_sort_implINS0_14default_configELb0EPK6__halfPSL_PKlPlN2at6native12_GLOBAL__N_18offset_tEEE10hipError_tPvRmT1_PNSt15iterator_traitsISZ_E10value_typeET2_T3_PNS10_IS15_E10value_typeET4_jRbjT5_S1B_jjP12ihipStream_tbEUljE_EEESW_SX_SY_S15_S19_S1B_T6_T7_T9_mT8_S1D_bDpT10_ENKUlT_T0_E_clISt17integral_constantIbLb1EES1P_IbLb0EEEEDaS1L_S1M_EUlS1L_E_NS1_11comp_targetILNS1_3genE3ELNS1_11target_archE908ELNS1_3gpuE7ELNS1_3repE0EEENS1_30default_config_static_selectorELNS0_4arch9wavefront6targetE1EEEvSZ_.has_dyn_sized_stack, 0
	.set _ZN7rocprim17ROCPRIM_400000_NS6detail17trampoline_kernelINS0_13select_configILj256ELj13ELNS0_17block_load_methodE3ELS4_3ELS4_3ELNS0_20block_scan_algorithmE0ELj4294967295EEENS1_25partition_config_selectorILNS1_17partition_subalgoE3EjNS0_10empty_typeEbEEZZNS1_14partition_implILS8_3ELb0ES6_jNS0_17counting_iteratorIjlEEPS9_SE_NS0_5tupleIJPjSE_EEENSF_IJSE_SE_EEES9_SG_JZNS1_25segmented_radix_sort_implINS0_14default_configELb0EPK6__halfPSL_PKlPlN2at6native12_GLOBAL__N_18offset_tEEE10hipError_tPvRmT1_PNSt15iterator_traitsISZ_E10value_typeET2_T3_PNS10_IS15_E10value_typeET4_jRbjT5_S1B_jjP12ihipStream_tbEUljE_EEESW_SX_SY_S15_S19_S1B_T6_T7_T9_mT8_S1D_bDpT10_ENKUlT_T0_E_clISt17integral_constantIbLb1EES1P_IbLb0EEEEDaS1L_S1M_EUlS1L_E_NS1_11comp_targetILNS1_3genE3ELNS1_11target_archE908ELNS1_3gpuE7ELNS1_3repE0EEENS1_30default_config_static_selectorELNS0_4arch9wavefront6targetE1EEEvSZ_.has_recursion, 0
	.set _ZN7rocprim17ROCPRIM_400000_NS6detail17trampoline_kernelINS0_13select_configILj256ELj13ELNS0_17block_load_methodE3ELS4_3ELS4_3ELNS0_20block_scan_algorithmE0ELj4294967295EEENS1_25partition_config_selectorILNS1_17partition_subalgoE3EjNS0_10empty_typeEbEEZZNS1_14partition_implILS8_3ELb0ES6_jNS0_17counting_iteratorIjlEEPS9_SE_NS0_5tupleIJPjSE_EEENSF_IJSE_SE_EEES9_SG_JZNS1_25segmented_radix_sort_implINS0_14default_configELb0EPK6__halfPSL_PKlPlN2at6native12_GLOBAL__N_18offset_tEEE10hipError_tPvRmT1_PNSt15iterator_traitsISZ_E10value_typeET2_T3_PNS10_IS15_E10value_typeET4_jRbjT5_S1B_jjP12ihipStream_tbEUljE_EEESW_SX_SY_S15_S19_S1B_T6_T7_T9_mT8_S1D_bDpT10_ENKUlT_T0_E_clISt17integral_constantIbLb1EES1P_IbLb0EEEEDaS1L_S1M_EUlS1L_E_NS1_11comp_targetILNS1_3genE3ELNS1_11target_archE908ELNS1_3gpuE7ELNS1_3repE0EEENS1_30default_config_static_selectorELNS0_4arch9wavefront6targetE1EEEvSZ_.has_indirect_call, 0
	.section	.AMDGPU.csdata,"",@progbits
; Kernel info:
; codeLenInByte = 0
; TotalNumSgprs: 4
; NumVgprs: 0
; ScratchSize: 0
; MemoryBound: 0
; FloatMode: 240
; IeeeMode: 1
; LDSByteSize: 0 bytes/workgroup (compile time only)
; SGPRBlocks: 0
; VGPRBlocks: 0
; NumSGPRsForWavesPerEU: 4
; NumVGPRsForWavesPerEU: 1
; Occupancy: 10
; WaveLimiterHint : 0
; COMPUTE_PGM_RSRC2:SCRATCH_EN: 0
; COMPUTE_PGM_RSRC2:USER_SGPR: 6
; COMPUTE_PGM_RSRC2:TRAP_HANDLER: 0
; COMPUTE_PGM_RSRC2:TGID_X_EN: 1
; COMPUTE_PGM_RSRC2:TGID_Y_EN: 0
; COMPUTE_PGM_RSRC2:TGID_Z_EN: 0
; COMPUTE_PGM_RSRC2:TIDIG_COMP_CNT: 0
	.section	.text._ZN7rocprim17ROCPRIM_400000_NS6detail17trampoline_kernelINS0_13select_configILj256ELj13ELNS0_17block_load_methodE3ELS4_3ELS4_3ELNS0_20block_scan_algorithmE0ELj4294967295EEENS1_25partition_config_selectorILNS1_17partition_subalgoE3EjNS0_10empty_typeEbEEZZNS1_14partition_implILS8_3ELb0ES6_jNS0_17counting_iteratorIjlEEPS9_SE_NS0_5tupleIJPjSE_EEENSF_IJSE_SE_EEES9_SG_JZNS1_25segmented_radix_sort_implINS0_14default_configELb0EPK6__halfPSL_PKlPlN2at6native12_GLOBAL__N_18offset_tEEE10hipError_tPvRmT1_PNSt15iterator_traitsISZ_E10value_typeET2_T3_PNS10_IS15_E10value_typeET4_jRbjT5_S1B_jjP12ihipStream_tbEUljE_EEESW_SX_SY_S15_S19_S1B_T6_T7_T9_mT8_S1D_bDpT10_ENKUlT_T0_E_clISt17integral_constantIbLb1EES1P_IbLb0EEEEDaS1L_S1M_EUlS1L_E_NS1_11comp_targetILNS1_3genE2ELNS1_11target_archE906ELNS1_3gpuE6ELNS1_3repE0EEENS1_30default_config_static_selectorELNS0_4arch9wavefront6targetE1EEEvSZ_,"axG",@progbits,_ZN7rocprim17ROCPRIM_400000_NS6detail17trampoline_kernelINS0_13select_configILj256ELj13ELNS0_17block_load_methodE3ELS4_3ELS4_3ELNS0_20block_scan_algorithmE0ELj4294967295EEENS1_25partition_config_selectorILNS1_17partition_subalgoE3EjNS0_10empty_typeEbEEZZNS1_14partition_implILS8_3ELb0ES6_jNS0_17counting_iteratorIjlEEPS9_SE_NS0_5tupleIJPjSE_EEENSF_IJSE_SE_EEES9_SG_JZNS1_25segmented_radix_sort_implINS0_14default_configELb0EPK6__halfPSL_PKlPlN2at6native12_GLOBAL__N_18offset_tEEE10hipError_tPvRmT1_PNSt15iterator_traitsISZ_E10value_typeET2_T3_PNS10_IS15_E10value_typeET4_jRbjT5_S1B_jjP12ihipStream_tbEUljE_EEESW_SX_SY_S15_S19_S1B_T6_T7_T9_mT8_S1D_bDpT10_ENKUlT_T0_E_clISt17integral_constantIbLb1EES1P_IbLb0EEEEDaS1L_S1M_EUlS1L_E_NS1_11comp_targetILNS1_3genE2ELNS1_11target_archE906ELNS1_3gpuE6ELNS1_3repE0EEENS1_30default_config_static_selectorELNS0_4arch9wavefront6targetE1EEEvSZ_,comdat
	.globl	_ZN7rocprim17ROCPRIM_400000_NS6detail17trampoline_kernelINS0_13select_configILj256ELj13ELNS0_17block_load_methodE3ELS4_3ELS4_3ELNS0_20block_scan_algorithmE0ELj4294967295EEENS1_25partition_config_selectorILNS1_17partition_subalgoE3EjNS0_10empty_typeEbEEZZNS1_14partition_implILS8_3ELb0ES6_jNS0_17counting_iteratorIjlEEPS9_SE_NS0_5tupleIJPjSE_EEENSF_IJSE_SE_EEES9_SG_JZNS1_25segmented_radix_sort_implINS0_14default_configELb0EPK6__halfPSL_PKlPlN2at6native12_GLOBAL__N_18offset_tEEE10hipError_tPvRmT1_PNSt15iterator_traitsISZ_E10value_typeET2_T3_PNS10_IS15_E10value_typeET4_jRbjT5_S1B_jjP12ihipStream_tbEUljE_EEESW_SX_SY_S15_S19_S1B_T6_T7_T9_mT8_S1D_bDpT10_ENKUlT_T0_E_clISt17integral_constantIbLb1EES1P_IbLb0EEEEDaS1L_S1M_EUlS1L_E_NS1_11comp_targetILNS1_3genE2ELNS1_11target_archE906ELNS1_3gpuE6ELNS1_3repE0EEENS1_30default_config_static_selectorELNS0_4arch9wavefront6targetE1EEEvSZ_ ; -- Begin function _ZN7rocprim17ROCPRIM_400000_NS6detail17trampoline_kernelINS0_13select_configILj256ELj13ELNS0_17block_load_methodE3ELS4_3ELS4_3ELNS0_20block_scan_algorithmE0ELj4294967295EEENS1_25partition_config_selectorILNS1_17partition_subalgoE3EjNS0_10empty_typeEbEEZZNS1_14partition_implILS8_3ELb0ES6_jNS0_17counting_iteratorIjlEEPS9_SE_NS0_5tupleIJPjSE_EEENSF_IJSE_SE_EEES9_SG_JZNS1_25segmented_radix_sort_implINS0_14default_configELb0EPK6__halfPSL_PKlPlN2at6native12_GLOBAL__N_18offset_tEEE10hipError_tPvRmT1_PNSt15iterator_traitsISZ_E10value_typeET2_T3_PNS10_IS15_E10value_typeET4_jRbjT5_S1B_jjP12ihipStream_tbEUljE_EEESW_SX_SY_S15_S19_S1B_T6_T7_T9_mT8_S1D_bDpT10_ENKUlT_T0_E_clISt17integral_constantIbLb1EES1P_IbLb0EEEEDaS1L_S1M_EUlS1L_E_NS1_11comp_targetILNS1_3genE2ELNS1_11target_archE906ELNS1_3gpuE6ELNS1_3repE0EEENS1_30default_config_static_selectorELNS0_4arch9wavefront6targetE1EEEvSZ_
	.p2align	8
	.type	_ZN7rocprim17ROCPRIM_400000_NS6detail17trampoline_kernelINS0_13select_configILj256ELj13ELNS0_17block_load_methodE3ELS4_3ELS4_3ELNS0_20block_scan_algorithmE0ELj4294967295EEENS1_25partition_config_selectorILNS1_17partition_subalgoE3EjNS0_10empty_typeEbEEZZNS1_14partition_implILS8_3ELb0ES6_jNS0_17counting_iteratorIjlEEPS9_SE_NS0_5tupleIJPjSE_EEENSF_IJSE_SE_EEES9_SG_JZNS1_25segmented_radix_sort_implINS0_14default_configELb0EPK6__halfPSL_PKlPlN2at6native12_GLOBAL__N_18offset_tEEE10hipError_tPvRmT1_PNSt15iterator_traitsISZ_E10value_typeET2_T3_PNS10_IS15_E10value_typeET4_jRbjT5_S1B_jjP12ihipStream_tbEUljE_EEESW_SX_SY_S15_S19_S1B_T6_T7_T9_mT8_S1D_bDpT10_ENKUlT_T0_E_clISt17integral_constantIbLb1EES1P_IbLb0EEEEDaS1L_S1M_EUlS1L_E_NS1_11comp_targetILNS1_3genE2ELNS1_11target_archE906ELNS1_3gpuE6ELNS1_3repE0EEENS1_30default_config_static_selectorELNS0_4arch9wavefront6targetE1EEEvSZ_,@function
_ZN7rocprim17ROCPRIM_400000_NS6detail17trampoline_kernelINS0_13select_configILj256ELj13ELNS0_17block_load_methodE3ELS4_3ELS4_3ELNS0_20block_scan_algorithmE0ELj4294967295EEENS1_25partition_config_selectorILNS1_17partition_subalgoE3EjNS0_10empty_typeEbEEZZNS1_14partition_implILS8_3ELb0ES6_jNS0_17counting_iteratorIjlEEPS9_SE_NS0_5tupleIJPjSE_EEENSF_IJSE_SE_EEES9_SG_JZNS1_25segmented_radix_sort_implINS0_14default_configELb0EPK6__halfPSL_PKlPlN2at6native12_GLOBAL__N_18offset_tEEE10hipError_tPvRmT1_PNSt15iterator_traitsISZ_E10value_typeET2_T3_PNS10_IS15_E10value_typeET4_jRbjT5_S1B_jjP12ihipStream_tbEUljE_EEESW_SX_SY_S15_S19_S1B_T6_T7_T9_mT8_S1D_bDpT10_ENKUlT_T0_E_clISt17integral_constantIbLb1EES1P_IbLb0EEEEDaS1L_S1M_EUlS1L_E_NS1_11comp_targetILNS1_3genE2ELNS1_11target_archE906ELNS1_3gpuE6ELNS1_3repE0EEENS1_30default_config_static_selectorELNS0_4arch9wavefront6targetE1EEEvSZ_: ; @_ZN7rocprim17ROCPRIM_400000_NS6detail17trampoline_kernelINS0_13select_configILj256ELj13ELNS0_17block_load_methodE3ELS4_3ELS4_3ELNS0_20block_scan_algorithmE0ELj4294967295EEENS1_25partition_config_selectorILNS1_17partition_subalgoE3EjNS0_10empty_typeEbEEZZNS1_14partition_implILS8_3ELb0ES6_jNS0_17counting_iteratorIjlEEPS9_SE_NS0_5tupleIJPjSE_EEENSF_IJSE_SE_EEES9_SG_JZNS1_25segmented_radix_sort_implINS0_14default_configELb0EPK6__halfPSL_PKlPlN2at6native12_GLOBAL__N_18offset_tEEE10hipError_tPvRmT1_PNSt15iterator_traitsISZ_E10value_typeET2_T3_PNS10_IS15_E10value_typeET4_jRbjT5_S1B_jjP12ihipStream_tbEUljE_EEESW_SX_SY_S15_S19_S1B_T6_T7_T9_mT8_S1D_bDpT10_ENKUlT_T0_E_clISt17integral_constantIbLb1EES1P_IbLb0EEEEDaS1L_S1M_EUlS1L_E_NS1_11comp_targetILNS1_3genE2ELNS1_11target_archE906ELNS1_3gpuE6ELNS1_3repE0EEENS1_30default_config_static_selectorELNS0_4arch9wavefront6targetE1EEEvSZ_
; %bb.0:
	s_endpgm
	.section	.rodata,"a",@progbits
	.p2align	6, 0x0
	.amdhsa_kernel _ZN7rocprim17ROCPRIM_400000_NS6detail17trampoline_kernelINS0_13select_configILj256ELj13ELNS0_17block_load_methodE3ELS4_3ELS4_3ELNS0_20block_scan_algorithmE0ELj4294967295EEENS1_25partition_config_selectorILNS1_17partition_subalgoE3EjNS0_10empty_typeEbEEZZNS1_14partition_implILS8_3ELb0ES6_jNS0_17counting_iteratorIjlEEPS9_SE_NS0_5tupleIJPjSE_EEENSF_IJSE_SE_EEES9_SG_JZNS1_25segmented_radix_sort_implINS0_14default_configELb0EPK6__halfPSL_PKlPlN2at6native12_GLOBAL__N_18offset_tEEE10hipError_tPvRmT1_PNSt15iterator_traitsISZ_E10value_typeET2_T3_PNS10_IS15_E10value_typeET4_jRbjT5_S1B_jjP12ihipStream_tbEUljE_EEESW_SX_SY_S15_S19_S1B_T6_T7_T9_mT8_S1D_bDpT10_ENKUlT_T0_E_clISt17integral_constantIbLb1EES1P_IbLb0EEEEDaS1L_S1M_EUlS1L_E_NS1_11comp_targetILNS1_3genE2ELNS1_11target_archE906ELNS1_3gpuE6ELNS1_3repE0EEENS1_30default_config_static_selectorELNS0_4arch9wavefront6targetE1EEEvSZ_
		.amdhsa_group_segment_fixed_size 0
		.amdhsa_private_segment_fixed_size 0
		.amdhsa_kernarg_size 144
		.amdhsa_user_sgpr_count 6
		.amdhsa_user_sgpr_private_segment_buffer 1
		.amdhsa_user_sgpr_dispatch_ptr 0
		.amdhsa_user_sgpr_queue_ptr 0
		.amdhsa_user_sgpr_kernarg_segment_ptr 1
		.amdhsa_user_sgpr_dispatch_id 0
		.amdhsa_user_sgpr_flat_scratch_init 0
		.amdhsa_user_sgpr_private_segment_size 0
		.amdhsa_uses_dynamic_stack 0
		.amdhsa_system_sgpr_private_segment_wavefront_offset 0
		.amdhsa_system_sgpr_workgroup_id_x 1
		.amdhsa_system_sgpr_workgroup_id_y 0
		.amdhsa_system_sgpr_workgroup_id_z 0
		.amdhsa_system_sgpr_workgroup_info 0
		.amdhsa_system_vgpr_workitem_id 0
		.amdhsa_next_free_vgpr 1
		.amdhsa_next_free_sgpr 0
		.amdhsa_reserve_vcc 0
		.amdhsa_reserve_flat_scratch 0
		.amdhsa_float_round_mode_32 0
		.amdhsa_float_round_mode_16_64 0
		.amdhsa_float_denorm_mode_32 3
		.amdhsa_float_denorm_mode_16_64 3
		.amdhsa_dx10_clamp 1
		.amdhsa_ieee_mode 1
		.amdhsa_fp16_overflow 0
		.amdhsa_exception_fp_ieee_invalid_op 0
		.amdhsa_exception_fp_denorm_src 0
		.amdhsa_exception_fp_ieee_div_zero 0
		.amdhsa_exception_fp_ieee_overflow 0
		.amdhsa_exception_fp_ieee_underflow 0
		.amdhsa_exception_fp_ieee_inexact 0
		.amdhsa_exception_int_div_zero 0
	.end_amdhsa_kernel
	.section	.text._ZN7rocprim17ROCPRIM_400000_NS6detail17trampoline_kernelINS0_13select_configILj256ELj13ELNS0_17block_load_methodE3ELS4_3ELS4_3ELNS0_20block_scan_algorithmE0ELj4294967295EEENS1_25partition_config_selectorILNS1_17partition_subalgoE3EjNS0_10empty_typeEbEEZZNS1_14partition_implILS8_3ELb0ES6_jNS0_17counting_iteratorIjlEEPS9_SE_NS0_5tupleIJPjSE_EEENSF_IJSE_SE_EEES9_SG_JZNS1_25segmented_radix_sort_implINS0_14default_configELb0EPK6__halfPSL_PKlPlN2at6native12_GLOBAL__N_18offset_tEEE10hipError_tPvRmT1_PNSt15iterator_traitsISZ_E10value_typeET2_T3_PNS10_IS15_E10value_typeET4_jRbjT5_S1B_jjP12ihipStream_tbEUljE_EEESW_SX_SY_S15_S19_S1B_T6_T7_T9_mT8_S1D_bDpT10_ENKUlT_T0_E_clISt17integral_constantIbLb1EES1P_IbLb0EEEEDaS1L_S1M_EUlS1L_E_NS1_11comp_targetILNS1_3genE2ELNS1_11target_archE906ELNS1_3gpuE6ELNS1_3repE0EEENS1_30default_config_static_selectorELNS0_4arch9wavefront6targetE1EEEvSZ_,"axG",@progbits,_ZN7rocprim17ROCPRIM_400000_NS6detail17trampoline_kernelINS0_13select_configILj256ELj13ELNS0_17block_load_methodE3ELS4_3ELS4_3ELNS0_20block_scan_algorithmE0ELj4294967295EEENS1_25partition_config_selectorILNS1_17partition_subalgoE3EjNS0_10empty_typeEbEEZZNS1_14partition_implILS8_3ELb0ES6_jNS0_17counting_iteratorIjlEEPS9_SE_NS0_5tupleIJPjSE_EEENSF_IJSE_SE_EEES9_SG_JZNS1_25segmented_radix_sort_implINS0_14default_configELb0EPK6__halfPSL_PKlPlN2at6native12_GLOBAL__N_18offset_tEEE10hipError_tPvRmT1_PNSt15iterator_traitsISZ_E10value_typeET2_T3_PNS10_IS15_E10value_typeET4_jRbjT5_S1B_jjP12ihipStream_tbEUljE_EEESW_SX_SY_S15_S19_S1B_T6_T7_T9_mT8_S1D_bDpT10_ENKUlT_T0_E_clISt17integral_constantIbLb1EES1P_IbLb0EEEEDaS1L_S1M_EUlS1L_E_NS1_11comp_targetILNS1_3genE2ELNS1_11target_archE906ELNS1_3gpuE6ELNS1_3repE0EEENS1_30default_config_static_selectorELNS0_4arch9wavefront6targetE1EEEvSZ_,comdat
.Lfunc_end1830:
	.size	_ZN7rocprim17ROCPRIM_400000_NS6detail17trampoline_kernelINS0_13select_configILj256ELj13ELNS0_17block_load_methodE3ELS4_3ELS4_3ELNS0_20block_scan_algorithmE0ELj4294967295EEENS1_25partition_config_selectorILNS1_17partition_subalgoE3EjNS0_10empty_typeEbEEZZNS1_14partition_implILS8_3ELb0ES6_jNS0_17counting_iteratorIjlEEPS9_SE_NS0_5tupleIJPjSE_EEENSF_IJSE_SE_EEES9_SG_JZNS1_25segmented_radix_sort_implINS0_14default_configELb0EPK6__halfPSL_PKlPlN2at6native12_GLOBAL__N_18offset_tEEE10hipError_tPvRmT1_PNSt15iterator_traitsISZ_E10value_typeET2_T3_PNS10_IS15_E10value_typeET4_jRbjT5_S1B_jjP12ihipStream_tbEUljE_EEESW_SX_SY_S15_S19_S1B_T6_T7_T9_mT8_S1D_bDpT10_ENKUlT_T0_E_clISt17integral_constantIbLb1EES1P_IbLb0EEEEDaS1L_S1M_EUlS1L_E_NS1_11comp_targetILNS1_3genE2ELNS1_11target_archE906ELNS1_3gpuE6ELNS1_3repE0EEENS1_30default_config_static_selectorELNS0_4arch9wavefront6targetE1EEEvSZ_, .Lfunc_end1830-_ZN7rocprim17ROCPRIM_400000_NS6detail17trampoline_kernelINS0_13select_configILj256ELj13ELNS0_17block_load_methodE3ELS4_3ELS4_3ELNS0_20block_scan_algorithmE0ELj4294967295EEENS1_25partition_config_selectorILNS1_17partition_subalgoE3EjNS0_10empty_typeEbEEZZNS1_14partition_implILS8_3ELb0ES6_jNS0_17counting_iteratorIjlEEPS9_SE_NS0_5tupleIJPjSE_EEENSF_IJSE_SE_EEES9_SG_JZNS1_25segmented_radix_sort_implINS0_14default_configELb0EPK6__halfPSL_PKlPlN2at6native12_GLOBAL__N_18offset_tEEE10hipError_tPvRmT1_PNSt15iterator_traitsISZ_E10value_typeET2_T3_PNS10_IS15_E10value_typeET4_jRbjT5_S1B_jjP12ihipStream_tbEUljE_EEESW_SX_SY_S15_S19_S1B_T6_T7_T9_mT8_S1D_bDpT10_ENKUlT_T0_E_clISt17integral_constantIbLb1EES1P_IbLb0EEEEDaS1L_S1M_EUlS1L_E_NS1_11comp_targetILNS1_3genE2ELNS1_11target_archE906ELNS1_3gpuE6ELNS1_3repE0EEENS1_30default_config_static_selectorELNS0_4arch9wavefront6targetE1EEEvSZ_
                                        ; -- End function
	.set _ZN7rocprim17ROCPRIM_400000_NS6detail17trampoline_kernelINS0_13select_configILj256ELj13ELNS0_17block_load_methodE3ELS4_3ELS4_3ELNS0_20block_scan_algorithmE0ELj4294967295EEENS1_25partition_config_selectorILNS1_17partition_subalgoE3EjNS0_10empty_typeEbEEZZNS1_14partition_implILS8_3ELb0ES6_jNS0_17counting_iteratorIjlEEPS9_SE_NS0_5tupleIJPjSE_EEENSF_IJSE_SE_EEES9_SG_JZNS1_25segmented_radix_sort_implINS0_14default_configELb0EPK6__halfPSL_PKlPlN2at6native12_GLOBAL__N_18offset_tEEE10hipError_tPvRmT1_PNSt15iterator_traitsISZ_E10value_typeET2_T3_PNS10_IS15_E10value_typeET4_jRbjT5_S1B_jjP12ihipStream_tbEUljE_EEESW_SX_SY_S15_S19_S1B_T6_T7_T9_mT8_S1D_bDpT10_ENKUlT_T0_E_clISt17integral_constantIbLb1EES1P_IbLb0EEEEDaS1L_S1M_EUlS1L_E_NS1_11comp_targetILNS1_3genE2ELNS1_11target_archE906ELNS1_3gpuE6ELNS1_3repE0EEENS1_30default_config_static_selectorELNS0_4arch9wavefront6targetE1EEEvSZ_.num_vgpr, 0
	.set _ZN7rocprim17ROCPRIM_400000_NS6detail17trampoline_kernelINS0_13select_configILj256ELj13ELNS0_17block_load_methodE3ELS4_3ELS4_3ELNS0_20block_scan_algorithmE0ELj4294967295EEENS1_25partition_config_selectorILNS1_17partition_subalgoE3EjNS0_10empty_typeEbEEZZNS1_14partition_implILS8_3ELb0ES6_jNS0_17counting_iteratorIjlEEPS9_SE_NS0_5tupleIJPjSE_EEENSF_IJSE_SE_EEES9_SG_JZNS1_25segmented_radix_sort_implINS0_14default_configELb0EPK6__halfPSL_PKlPlN2at6native12_GLOBAL__N_18offset_tEEE10hipError_tPvRmT1_PNSt15iterator_traitsISZ_E10value_typeET2_T3_PNS10_IS15_E10value_typeET4_jRbjT5_S1B_jjP12ihipStream_tbEUljE_EEESW_SX_SY_S15_S19_S1B_T6_T7_T9_mT8_S1D_bDpT10_ENKUlT_T0_E_clISt17integral_constantIbLb1EES1P_IbLb0EEEEDaS1L_S1M_EUlS1L_E_NS1_11comp_targetILNS1_3genE2ELNS1_11target_archE906ELNS1_3gpuE6ELNS1_3repE0EEENS1_30default_config_static_selectorELNS0_4arch9wavefront6targetE1EEEvSZ_.num_agpr, 0
	.set _ZN7rocprim17ROCPRIM_400000_NS6detail17trampoline_kernelINS0_13select_configILj256ELj13ELNS0_17block_load_methodE3ELS4_3ELS4_3ELNS0_20block_scan_algorithmE0ELj4294967295EEENS1_25partition_config_selectorILNS1_17partition_subalgoE3EjNS0_10empty_typeEbEEZZNS1_14partition_implILS8_3ELb0ES6_jNS0_17counting_iteratorIjlEEPS9_SE_NS0_5tupleIJPjSE_EEENSF_IJSE_SE_EEES9_SG_JZNS1_25segmented_radix_sort_implINS0_14default_configELb0EPK6__halfPSL_PKlPlN2at6native12_GLOBAL__N_18offset_tEEE10hipError_tPvRmT1_PNSt15iterator_traitsISZ_E10value_typeET2_T3_PNS10_IS15_E10value_typeET4_jRbjT5_S1B_jjP12ihipStream_tbEUljE_EEESW_SX_SY_S15_S19_S1B_T6_T7_T9_mT8_S1D_bDpT10_ENKUlT_T0_E_clISt17integral_constantIbLb1EES1P_IbLb0EEEEDaS1L_S1M_EUlS1L_E_NS1_11comp_targetILNS1_3genE2ELNS1_11target_archE906ELNS1_3gpuE6ELNS1_3repE0EEENS1_30default_config_static_selectorELNS0_4arch9wavefront6targetE1EEEvSZ_.numbered_sgpr, 0
	.set _ZN7rocprim17ROCPRIM_400000_NS6detail17trampoline_kernelINS0_13select_configILj256ELj13ELNS0_17block_load_methodE3ELS4_3ELS4_3ELNS0_20block_scan_algorithmE0ELj4294967295EEENS1_25partition_config_selectorILNS1_17partition_subalgoE3EjNS0_10empty_typeEbEEZZNS1_14partition_implILS8_3ELb0ES6_jNS0_17counting_iteratorIjlEEPS9_SE_NS0_5tupleIJPjSE_EEENSF_IJSE_SE_EEES9_SG_JZNS1_25segmented_radix_sort_implINS0_14default_configELb0EPK6__halfPSL_PKlPlN2at6native12_GLOBAL__N_18offset_tEEE10hipError_tPvRmT1_PNSt15iterator_traitsISZ_E10value_typeET2_T3_PNS10_IS15_E10value_typeET4_jRbjT5_S1B_jjP12ihipStream_tbEUljE_EEESW_SX_SY_S15_S19_S1B_T6_T7_T9_mT8_S1D_bDpT10_ENKUlT_T0_E_clISt17integral_constantIbLb1EES1P_IbLb0EEEEDaS1L_S1M_EUlS1L_E_NS1_11comp_targetILNS1_3genE2ELNS1_11target_archE906ELNS1_3gpuE6ELNS1_3repE0EEENS1_30default_config_static_selectorELNS0_4arch9wavefront6targetE1EEEvSZ_.num_named_barrier, 0
	.set _ZN7rocprim17ROCPRIM_400000_NS6detail17trampoline_kernelINS0_13select_configILj256ELj13ELNS0_17block_load_methodE3ELS4_3ELS4_3ELNS0_20block_scan_algorithmE0ELj4294967295EEENS1_25partition_config_selectorILNS1_17partition_subalgoE3EjNS0_10empty_typeEbEEZZNS1_14partition_implILS8_3ELb0ES6_jNS0_17counting_iteratorIjlEEPS9_SE_NS0_5tupleIJPjSE_EEENSF_IJSE_SE_EEES9_SG_JZNS1_25segmented_radix_sort_implINS0_14default_configELb0EPK6__halfPSL_PKlPlN2at6native12_GLOBAL__N_18offset_tEEE10hipError_tPvRmT1_PNSt15iterator_traitsISZ_E10value_typeET2_T3_PNS10_IS15_E10value_typeET4_jRbjT5_S1B_jjP12ihipStream_tbEUljE_EEESW_SX_SY_S15_S19_S1B_T6_T7_T9_mT8_S1D_bDpT10_ENKUlT_T0_E_clISt17integral_constantIbLb1EES1P_IbLb0EEEEDaS1L_S1M_EUlS1L_E_NS1_11comp_targetILNS1_3genE2ELNS1_11target_archE906ELNS1_3gpuE6ELNS1_3repE0EEENS1_30default_config_static_selectorELNS0_4arch9wavefront6targetE1EEEvSZ_.private_seg_size, 0
	.set _ZN7rocprim17ROCPRIM_400000_NS6detail17trampoline_kernelINS0_13select_configILj256ELj13ELNS0_17block_load_methodE3ELS4_3ELS4_3ELNS0_20block_scan_algorithmE0ELj4294967295EEENS1_25partition_config_selectorILNS1_17partition_subalgoE3EjNS0_10empty_typeEbEEZZNS1_14partition_implILS8_3ELb0ES6_jNS0_17counting_iteratorIjlEEPS9_SE_NS0_5tupleIJPjSE_EEENSF_IJSE_SE_EEES9_SG_JZNS1_25segmented_radix_sort_implINS0_14default_configELb0EPK6__halfPSL_PKlPlN2at6native12_GLOBAL__N_18offset_tEEE10hipError_tPvRmT1_PNSt15iterator_traitsISZ_E10value_typeET2_T3_PNS10_IS15_E10value_typeET4_jRbjT5_S1B_jjP12ihipStream_tbEUljE_EEESW_SX_SY_S15_S19_S1B_T6_T7_T9_mT8_S1D_bDpT10_ENKUlT_T0_E_clISt17integral_constantIbLb1EES1P_IbLb0EEEEDaS1L_S1M_EUlS1L_E_NS1_11comp_targetILNS1_3genE2ELNS1_11target_archE906ELNS1_3gpuE6ELNS1_3repE0EEENS1_30default_config_static_selectorELNS0_4arch9wavefront6targetE1EEEvSZ_.uses_vcc, 0
	.set _ZN7rocprim17ROCPRIM_400000_NS6detail17trampoline_kernelINS0_13select_configILj256ELj13ELNS0_17block_load_methodE3ELS4_3ELS4_3ELNS0_20block_scan_algorithmE0ELj4294967295EEENS1_25partition_config_selectorILNS1_17partition_subalgoE3EjNS0_10empty_typeEbEEZZNS1_14partition_implILS8_3ELb0ES6_jNS0_17counting_iteratorIjlEEPS9_SE_NS0_5tupleIJPjSE_EEENSF_IJSE_SE_EEES9_SG_JZNS1_25segmented_radix_sort_implINS0_14default_configELb0EPK6__halfPSL_PKlPlN2at6native12_GLOBAL__N_18offset_tEEE10hipError_tPvRmT1_PNSt15iterator_traitsISZ_E10value_typeET2_T3_PNS10_IS15_E10value_typeET4_jRbjT5_S1B_jjP12ihipStream_tbEUljE_EEESW_SX_SY_S15_S19_S1B_T6_T7_T9_mT8_S1D_bDpT10_ENKUlT_T0_E_clISt17integral_constantIbLb1EES1P_IbLb0EEEEDaS1L_S1M_EUlS1L_E_NS1_11comp_targetILNS1_3genE2ELNS1_11target_archE906ELNS1_3gpuE6ELNS1_3repE0EEENS1_30default_config_static_selectorELNS0_4arch9wavefront6targetE1EEEvSZ_.uses_flat_scratch, 0
	.set _ZN7rocprim17ROCPRIM_400000_NS6detail17trampoline_kernelINS0_13select_configILj256ELj13ELNS0_17block_load_methodE3ELS4_3ELS4_3ELNS0_20block_scan_algorithmE0ELj4294967295EEENS1_25partition_config_selectorILNS1_17partition_subalgoE3EjNS0_10empty_typeEbEEZZNS1_14partition_implILS8_3ELb0ES6_jNS0_17counting_iteratorIjlEEPS9_SE_NS0_5tupleIJPjSE_EEENSF_IJSE_SE_EEES9_SG_JZNS1_25segmented_radix_sort_implINS0_14default_configELb0EPK6__halfPSL_PKlPlN2at6native12_GLOBAL__N_18offset_tEEE10hipError_tPvRmT1_PNSt15iterator_traitsISZ_E10value_typeET2_T3_PNS10_IS15_E10value_typeET4_jRbjT5_S1B_jjP12ihipStream_tbEUljE_EEESW_SX_SY_S15_S19_S1B_T6_T7_T9_mT8_S1D_bDpT10_ENKUlT_T0_E_clISt17integral_constantIbLb1EES1P_IbLb0EEEEDaS1L_S1M_EUlS1L_E_NS1_11comp_targetILNS1_3genE2ELNS1_11target_archE906ELNS1_3gpuE6ELNS1_3repE0EEENS1_30default_config_static_selectorELNS0_4arch9wavefront6targetE1EEEvSZ_.has_dyn_sized_stack, 0
	.set _ZN7rocprim17ROCPRIM_400000_NS6detail17trampoline_kernelINS0_13select_configILj256ELj13ELNS0_17block_load_methodE3ELS4_3ELS4_3ELNS0_20block_scan_algorithmE0ELj4294967295EEENS1_25partition_config_selectorILNS1_17partition_subalgoE3EjNS0_10empty_typeEbEEZZNS1_14partition_implILS8_3ELb0ES6_jNS0_17counting_iteratorIjlEEPS9_SE_NS0_5tupleIJPjSE_EEENSF_IJSE_SE_EEES9_SG_JZNS1_25segmented_radix_sort_implINS0_14default_configELb0EPK6__halfPSL_PKlPlN2at6native12_GLOBAL__N_18offset_tEEE10hipError_tPvRmT1_PNSt15iterator_traitsISZ_E10value_typeET2_T3_PNS10_IS15_E10value_typeET4_jRbjT5_S1B_jjP12ihipStream_tbEUljE_EEESW_SX_SY_S15_S19_S1B_T6_T7_T9_mT8_S1D_bDpT10_ENKUlT_T0_E_clISt17integral_constantIbLb1EES1P_IbLb0EEEEDaS1L_S1M_EUlS1L_E_NS1_11comp_targetILNS1_3genE2ELNS1_11target_archE906ELNS1_3gpuE6ELNS1_3repE0EEENS1_30default_config_static_selectorELNS0_4arch9wavefront6targetE1EEEvSZ_.has_recursion, 0
	.set _ZN7rocprim17ROCPRIM_400000_NS6detail17trampoline_kernelINS0_13select_configILj256ELj13ELNS0_17block_load_methodE3ELS4_3ELS4_3ELNS0_20block_scan_algorithmE0ELj4294967295EEENS1_25partition_config_selectorILNS1_17partition_subalgoE3EjNS0_10empty_typeEbEEZZNS1_14partition_implILS8_3ELb0ES6_jNS0_17counting_iteratorIjlEEPS9_SE_NS0_5tupleIJPjSE_EEENSF_IJSE_SE_EEES9_SG_JZNS1_25segmented_radix_sort_implINS0_14default_configELb0EPK6__halfPSL_PKlPlN2at6native12_GLOBAL__N_18offset_tEEE10hipError_tPvRmT1_PNSt15iterator_traitsISZ_E10value_typeET2_T3_PNS10_IS15_E10value_typeET4_jRbjT5_S1B_jjP12ihipStream_tbEUljE_EEESW_SX_SY_S15_S19_S1B_T6_T7_T9_mT8_S1D_bDpT10_ENKUlT_T0_E_clISt17integral_constantIbLb1EES1P_IbLb0EEEEDaS1L_S1M_EUlS1L_E_NS1_11comp_targetILNS1_3genE2ELNS1_11target_archE906ELNS1_3gpuE6ELNS1_3repE0EEENS1_30default_config_static_selectorELNS0_4arch9wavefront6targetE1EEEvSZ_.has_indirect_call, 0
	.section	.AMDGPU.csdata,"",@progbits
; Kernel info:
; codeLenInByte = 4
; TotalNumSgprs: 4
; NumVgprs: 0
; ScratchSize: 0
; MemoryBound: 0
; FloatMode: 240
; IeeeMode: 1
; LDSByteSize: 0 bytes/workgroup (compile time only)
; SGPRBlocks: 0
; VGPRBlocks: 0
; NumSGPRsForWavesPerEU: 4
; NumVGPRsForWavesPerEU: 1
; Occupancy: 10
; WaveLimiterHint : 0
; COMPUTE_PGM_RSRC2:SCRATCH_EN: 0
; COMPUTE_PGM_RSRC2:USER_SGPR: 6
; COMPUTE_PGM_RSRC2:TRAP_HANDLER: 0
; COMPUTE_PGM_RSRC2:TGID_X_EN: 1
; COMPUTE_PGM_RSRC2:TGID_Y_EN: 0
; COMPUTE_PGM_RSRC2:TGID_Z_EN: 0
; COMPUTE_PGM_RSRC2:TIDIG_COMP_CNT: 0
	.section	.text._ZN7rocprim17ROCPRIM_400000_NS6detail17trampoline_kernelINS0_13select_configILj256ELj13ELNS0_17block_load_methodE3ELS4_3ELS4_3ELNS0_20block_scan_algorithmE0ELj4294967295EEENS1_25partition_config_selectorILNS1_17partition_subalgoE3EjNS0_10empty_typeEbEEZZNS1_14partition_implILS8_3ELb0ES6_jNS0_17counting_iteratorIjlEEPS9_SE_NS0_5tupleIJPjSE_EEENSF_IJSE_SE_EEES9_SG_JZNS1_25segmented_radix_sort_implINS0_14default_configELb0EPK6__halfPSL_PKlPlN2at6native12_GLOBAL__N_18offset_tEEE10hipError_tPvRmT1_PNSt15iterator_traitsISZ_E10value_typeET2_T3_PNS10_IS15_E10value_typeET4_jRbjT5_S1B_jjP12ihipStream_tbEUljE_EEESW_SX_SY_S15_S19_S1B_T6_T7_T9_mT8_S1D_bDpT10_ENKUlT_T0_E_clISt17integral_constantIbLb1EES1P_IbLb0EEEEDaS1L_S1M_EUlS1L_E_NS1_11comp_targetILNS1_3genE10ELNS1_11target_archE1200ELNS1_3gpuE4ELNS1_3repE0EEENS1_30default_config_static_selectorELNS0_4arch9wavefront6targetE1EEEvSZ_,"axG",@progbits,_ZN7rocprim17ROCPRIM_400000_NS6detail17trampoline_kernelINS0_13select_configILj256ELj13ELNS0_17block_load_methodE3ELS4_3ELS4_3ELNS0_20block_scan_algorithmE0ELj4294967295EEENS1_25partition_config_selectorILNS1_17partition_subalgoE3EjNS0_10empty_typeEbEEZZNS1_14partition_implILS8_3ELb0ES6_jNS0_17counting_iteratorIjlEEPS9_SE_NS0_5tupleIJPjSE_EEENSF_IJSE_SE_EEES9_SG_JZNS1_25segmented_radix_sort_implINS0_14default_configELb0EPK6__halfPSL_PKlPlN2at6native12_GLOBAL__N_18offset_tEEE10hipError_tPvRmT1_PNSt15iterator_traitsISZ_E10value_typeET2_T3_PNS10_IS15_E10value_typeET4_jRbjT5_S1B_jjP12ihipStream_tbEUljE_EEESW_SX_SY_S15_S19_S1B_T6_T7_T9_mT8_S1D_bDpT10_ENKUlT_T0_E_clISt17integral_constantIbLb1EES1P_IbLb0EEEEDaS1L_S1M_EUlS1L_E_NS1_11comp_targetILNS1_3genE10ELNS1_11target_archE1200ELNS1_3gpuE4ELNS1_3repE0EEENS1_30default_config_static_selectorELNS0_4arch9wavefront6targetE1EEEvSZ_,comdat
	.globl	_ZN7rocprim17ROCPRIM_400000_NS6detail17trampoline_kernelINS0_13select_configILj256ELj13ELNS0_17block_load_methodE3ELS4_3ELS4_3ELNS0_20block_scan_algorithmE0ELj4294967295EEENS1_25partition_config_selectorILNS1_17partition_subalgoE3EjNS0_10empty_typeEbEEZZNS1_14partition_implILS8_3ELb0ES6_jNS0_17counting_iteratorIjlEEPS9_SE_NS0_5tupleIJPjSE_EEENSF_IJSE_SE_EEES9_SG_JZNS1_25segmented_radix_sort_implINS0_14default_configELb0EPK6__halfPSL_PKlPlN2at6native12_GLOBAL__N_18offset_tEEE10hipError_tPvRmT1_PNSt15iterator_traitsISZ_E10value_typeET2_T3_PNS10_IS15_E10value_typeET4_jRbjT5_S1B_jjP12ihipStream_tbEUljE_EEESW_SX_SY_S15_S19_S1B_T6_T7_T9_mT8_S1D_bDpT10_ENKUlT_T0_E_clISt17integral_constantIbLb1EES1P_IbLb0EEEEDaS1L_S1M_EUlS1L_E_NS1_11comp_targetILNS1_3genE10ELNS1_11target_archE1200ELNS1_3gpuE4ELNS1_3repE0EEENS1_30default_config_static_selectorELNS0_4arch9wavefront6targetE1EEEvSZ_ ; -- Begin function _ZN7rocprim17ROCPRIM_400000_NS6detail17trampoline_kernelINS0_13select_configILj256ELj13ELNS0_17block_load_methodE3ELS4_3ELS4_3ELNS0_20block_scan_algorithmE0ELj4294967295EEENS1_25partition_config_selectorILNS1_17partition_subalgoE3EjNS0_10empty_typeEbEEZZNS1_14partition_implILS8_3ELb0ES6_jNS0_17counting_iteratorIjlEEPS9_SE_NS0_5tupleIJPjSE_EEENSF_IJSE_SE_EEES9_SG_JZNS1_25segmented_radix_sort_implINS0_14default_configELb0EPK6__halfPSL_PKlPlN2at6native12_GLOBAL__N_18offset_tEEE10hipError_tPvRmT1_PNSt15iterator_traitsISZ_E10value_typeET2_T3_PNS10_IS15_E10value_typeET4_jRbjT5_S1B_jjP12ihipStream_tbEUljE_EEESW_SX_SY_S15_S19_S1B_T6_T7_T9_mT8_S1D_bDpT10_ENKUlT_T0_E_clISt17integral_constantIbLb1EES1P_IbLb0EEEEDaS1L_S1M_EUlS1L_E_NS1_11comp_targetILNS1_3genE10ELNS1_11target_archE1200ELNS1_3gpuE4ELNS1_3repE0EEENS1_30default_config_static_selectorELNS0_4arch9wavefront6targetE1EEEvSZ_
	.p2align	8
	.type	_ZN7rocprim17ROCPRIM_400000_NS6detail17trampoline_kernelINS0_13select_configILj256ELj13ELNS0_17block_load_methodE3ELS4_3ELS4_3ELNS0_20block_scan_algorithmE0ELj4294967295EEENS1_25partition_config_selectorILNS1_17partition_subalgoE3EjNS0_10empty_typeEbEEZZNS1_14partition_implILS8_3ELb0ES6_jNS0_17counting_iteratorIjlEEPS9_SE_NS0_5tupleIJPjSE_EEENSF_IJSE_SE_EEES9_SG_JZNS1_25segmented_radix_sort_implINS0_14default_configELb0EPK6__halfPSL_PKlPlN2at6native12_GLOBAL__N_18offset_tEEE10hipError_tPvRmT1_PNSt15iterator_traitsISZ_E10value_typeET2_T3_PNS10_IS15_E10value_typeET4_jRbjT5_S1B_jjP12ihipStream_tbEUljE_EEESW_SX_SY_S15_S19_S1B_T6_T7_T9_mT8_S1D_bDpT10_ENKUlT_T0_E_clISt17integral_constantIbLb1EES1P_IbLb0EEEEDaS1L_S1M_EUlS1L_E_NS1_11comp_targetILNS1_3genE10ELNS1_11target_archE1200ELNS1_3gpuE4ELNS1_3repE0EEENS1_30default_config_static_selectorELNS0_4arch9wavefront6targetE1EEEvSZ_,@function
_ZN7rocprim17ROCPRIM_400000_NS6detail17trampoline_kernelINS0_13select_configILj256ELj13ELNS0_17block_load_methodE3ELS4_3ELS4_3ELNS0_20block_scan_algorithmE0ELj4294967295EEENS1_25partition_config_selectorILNS1_17partition_subalgoE3EjNS0_10empty_typeEbEEZZNS1_14partition_implILS8_3ELb0ES6_jNS0_17counting_iteratorIjlEEPS9_SE_NS0_5tupleIJPjSE_EEENSF_IJSE_SE_EEES9_SG_JZNS1_25segmented_radix_sort_implINS0_14default_configELb0EPK6__halfPSL_PKlPlN2at6native12_GLOBAL__N_18offset_tEEE10hipError_tPvRmT1_PNSt15iterator_traitsISZ_E10value_typeET2_T3_PNS10_IS15_E10value_typeET4_jRbjT5_S1B_jjP12ihipStream_tbEUljE_EEESW_SX_SY_S15_S19_S1B_T6_T7_T9_mT8_S1D_bDpT10_ENKUlT_T0_E_clISt17integral_constantIbLb1EES1P_IbLb0EEEEDaS1L_S1M_EUlS1L_E_NS1_11comp_targetILNS1_3genE10ELNS1_11target_archE1200ELNS1_3gpuE4ELNS1_3repE0EEENS1_30default_config_static_selectorELNS0_4arch9wavefront6targetE1EEEvSZ_: ; @_ZN7rocprim17ROCPRIM_400000_NS6detail17trampoline_kernelINS0_13select_configILj256ELj13ELNS0_17block_load_methodE3ELS4_3ELS4_3ELNS0_20block_scan_algorithmE0ELj4294967295EEENS1_25partition_config_selectorILNS1_17partition_subalgoE3EjNS0_10empty_typeEbEEZZNS1_14partition_implILS8_3ELb0ES6_jNS0_17counting_iteratorIjlEEPS9_SE_NS0_5tupleIJPjSE_EEENSF_IJSE_SE_EEES9_SG_JZNS1_25segmented_radix_sort_implINS0_14default_configELb0EPK6__halfPSL_PKlPlN2at6native12_GLOBAL__N_18offset_tEEE10hipError_tPvRmT1_PNSt15iterator_traitsISZ_E10value_typeET2_T3_PNS10_IS15_E10value_typeET4_jRbjT5_S1B_jjP12ihipStream_tbEUljE_EEESW_SX_SY_S15_S19_S1B_T6_T7_T9_mT8_S1D_bDpT10_ENKUlT_T0_E_clISt17integral_constantIbLb1EES1P_IbLb0EEEEDaS1L_S1M_EUlS1L_E_NS1_11comp_targetILNS1_3genE10ELNS1_11target_archE1200ELNS1_3gpuE4ELNS1_3repE0EEENS1_30default_config_static_selectorELNS0_4arch9wavefront6targetE1EEEvSZ_
; %bb.0:
	.section	.rodata,"a",@progbits
	.p2align	6, 0x0
	.amdhsa_kernel _ZN7rocprim17ROCPRIM_400000_NS6detail17trampoline_kernelINS0_13select_configILj256ELj13ELNS0_17block_load_methodE3ELS4_3ELS4_3ELNS0_20block_scan_algorithmE0ELj4294967295EEENS1_25partition_config_selectorILNS1_17partition_subalgoE3EjNS0_10empty_typeEbEEZZNS1_14partition_implILS8_3ELb0ES6_jNS0_17counting_iteratorIjlEEPS9_SE_NS0_5tupleIJPjSE_EEENSF_IJSE_SE_EEES9_SG_JZNS1_25segmented_radix_sort_implINS0_14default_configELb0EPK6__halfPSL_PKlPlN2at6native12_GLOBAL__N_18offset_tEEE10hipError_tPvRmT1_PNSt15iterator_traitsISZ_E10value_typeET2_T3_PNS10_IS15_E10value_typeET4_jRbjT5_S1B_jjP12ihipStream_tbEUljE_EEESW_SX_SY_S15_S19_S1B_T6_T7_T9_mT8_S1D_bDpT10_ENKUlT_T0_E_clISt17integral_constantIbLb1EES1P_IbLb0EEEEDaS1L_S1M_EUlS1L_E_NS1_11comp_targetILNS1_3genE10ELNS1_11target_archE1200ELNS1_3gpuE4ELNS1_3repE0EEENS1_30default_config_static_selectorELNS0_4arch9wavefront6targetE1EEEvSZ_
		.amdhsa_group_segment_fixed_size 0
		.amdhsa_private_segment_fixed_size 0
		.amdhsa_kernarg_size 144
		.amdhsa_user_sgpr_count 6
		.amdhsa_user_sgpr_private_segment_buffer 1
		.amdhsa_user_sgpr_dispatch_ptr 0
		.amdhsa_user_sgpr_queue_ptr 0
		.amdhsa_user_sgpr_kernarg_segment_ptr 1
		.amdhsa_user_sgpr_dispatch_id 0
		.amdhsa_user_sgpr_flat_scratch_init 0
		.amdhsa_user_sgpr_private_segment_size 0
		.amdhsa_uses_dynamic_stack 0
		.amdhsa_system_sgpr_private_segment_wavefront_offset 0
		.amdhsa_system_sgpr_workgroup_id_x 1
		.amdhsa_system_sgpr_workgroup_id_y 0
		.amdhsa_system_sgpr_workgroup_id_z 0
		.amdhsa_system_sgpr_workgroup_info 0
		.amdhsa_system_vgpr_workitem_id 0
		.amdhsa_next_free_vgpr 1
		.amdhsa_next_free_sgpr 0
		.amdhsa_reserve_vcc 0
		.amdhsa_reserve_flat_scratch 0
		.amdhsa_float_round_mode_32 0
		.amdhsa_float_round_mode_16_64 0
		.amdhsa_float_denorm_mode_32 3
		.amdhsa_float_denorm_mode_16_64 3
		.amdhsa_dx10_clamp 1
		.amdhsa_ieee_mode 1
		.amdhsa_fp16_overflow 0
		.amdhsa_exception_fp_ieee_invalid_op 0
		.amdhsa_exception_fp_denorm_src 0
		.amdhsa_exception_fp_ieee_div_zero 0
		.amdhsa_exception_fp_ieee_overflow 0
		.amdhsa_exception_fp_ieee_underflow 0
		.amdhsa_exception_fp_ieee_inexact 0
		.amdhsa_exception_int_div_zero 0
	.end_amdhsa_kernel
	.section	.text._ZN7rocprim17ROCPRIM_400000_NS6detail17trampoline_kernelINS0_13select_configILj256ELj13ELNS0_17block_load_methodE3ELS4_3ELS4_3ELNS0_20block_scan_algorithmE0ELj4294967295EEENS1_25partition_config_selectorILNS1_17partition_subalgoE3EjNS0_10empty_typeEbEEZZNS1_14partition_implILS8_3ELb0ES6_jNS0_17counting_iteratorIjlEEPS9_SE_NS0_5tupleIJPjSE_EEENSF_IJSE_SE_EEES9_SG_JZNS1_25segmented_radix_sort_implINS0_14default_configELb0EPK6__halfPSL_PKlPlN2at6native12_GLOBAL__N_18offset_tEEE10hipError_tPvRmT1_PNSt15iterator_traitsISZ_E10value_typeET2_T3_PNS10_IS15_E10value_typeET4_jRbjT5_S1B_jjP12ihipStream_tbEUljE_EEESW_SX_SY_S15_S19_S1B_T6_T7_T9_mT8_S1D_bDpT10_ENKUlT_T0_E_clISt17integral_constantIbLb1EES1P_IbLb0EEEEDaS1L_S1M_EUlS1L_E_NS1_11comp_targetILNS1_3genE10ELNS1_11target_archE1200ELNS1_3gpuE4ELNS1_3repE0EEENS1_30default_config_static_selectorELNS0_4arch9wavefront6targetE1EEEvSZ_,"axG",@progbits,_ZN7rocprim17ROCPRIM_400000_NS6detail17trampoline_kernelINS0_13select_configILj256ELj13ELNS0_17block_load_methodE3ELS4_3ELS4_3ELNS0_20block_scan_algorithmE0ELj4294967295EEENS1_25partition_config_selectorILNS1_17partition_subalgoE3EjNS0_10empty_typeEbEEZZNS1_14partition_implILS8_3ELb0ES6_jNS0_17counting_iteratorIjlEEPS9_SE_NS0_5tupleIJPjSE_EEENSF_IJSE_SE_EEES9_SG_JZNS1_25segmented_radix_sort_implINS0_14default_configELb0EPK6__halfPSL_PKlPlN2at6native12_GLOBAL__N_18offset_tEEE10hipError_tPvRmT1_PNSt15iterator_traitsISZ_E10value_typeET2_T3_PNS10_IS15_E10value_typeET4_jRbjT5_S1B_jjP12ihipStream_tbEUljE_EEESW_SX_SY_S15_S19_S1B_T6_T7_T9_mT8_S1D_bDpT10_ENKUlT_T0_E_clISt17integral_constantIbLb1EES1P_IbLb0EEEEDaS1L_S1M_EUlS1L_E_NS1_11comp_targetILNS1_3genE10ELNS1_11target_archE1200ELNS1_3gpuE4ELNS1_3repE0EEENS1_30default_config_static_selectorELNS0_4arch9wavefront6targetE1EEEvSZ_,comdat
.Lfunc_end1831:
	.size	_ZN7rocprim17ROCPRIM_400000_NS6detail17trampoline_kernelINS0_13select_configILj256ELj13ELNS0_17block_load_methodE3ELS4_3ELS4_3ELNS0_20block_scan_algorithmE0ELj4294967295EEENS1_25partition_config_selectorILNS1_17partition_subalgoE3EjNS0_10empty_typeEbEEZZNS1_14partition_implILS8_3ELb0ES6_jNS0_17counting_iteratorIjlEEPS9_SE_NS0_5tupleIJPjSE_EEENSF_IJSE_SE_EEES9_SG_JZNS1_25segmented_radix_sort_implINS0_14default_configELb0EPK6__halfPSL_PKlPlN2at6native12_GLOBAL__N_18offset_tEEE10hipError_tPvRmT1_PNSt15iterator_traitsISZ_E10value_typeET2_T3_PNS10_IS15_E10value_typeET4_jRbjT5_S1B_jjP12ihipStream_tbEUljE_EEESW_SX_SY_S15_S19_S1B_T6_T7_T9_mT8_S1D_bDpT10_ENKUlT_T0_E_clISt17integral_constantIbLb1EES1P_IbLb0EEEEDaS1L_S1M_EUlS1L_E_NS1_11comp_targetILNS1_3genE10ELNS1_11target_archE1200ELNS1_3gpuE4ELNS1_3repE0EEENS1_30default_config_static_selectorELNS0_4arch9wavefront6targetE1EEEvSZ_, .Lfunc_end1831-_ZN7rocprim17ROCPRIM_400000_NS6detail17trampoline_kernelINS0_13select_configILj256ELj13ELNS0_17block_load_methodE3ELS4_3ELS4_3ELNS0_20block_scan_algorithmE0ELj4294967295EEENS1_25partition_config_selectorILNS1_17partition_subalgoE3EjNS0_10empty_typeEbEEZZNS1_14partition_implILS8_3ELb0ES6_jNS0_17counting_iteratorIjlEEPS9_SE_NS0_5tupleIJPjSE_EEENSF_IJSE_SE_EEES9_SG_JZNS1_25segmented_radix_sort_implINS0_14default_configELb0EPK6__halfPSL_PKlPlN2at6native12_GLOBAL__N_18offset_tEEE10hipError_tPvRmT1_PNSt15iterator_traitsISZ_E10value_typeET2_T3_PNS10_IS15_E10value_typeET4_jRbjT5_S1B_jjP12ihipStream_tbEUljE_EEESW_SX_SY_S15_S19_S1B_T6_T7_T9_mT8_S1D_bDpT10_ENKUlT_T0_E_clISt17integral_constantIbLb1EES1P_IbLb0EEEEDaS1L_S1M_EUlS1L_E_NS1_11comp_targetILNS1_3genE10ELNS1_11target_archE1200ELNS1_3gpuE4ELNS1_3repE0EEENS1_30default_config_static_selectorELNS0_4arch9wavefront6targetE1EEEvSZ_
                                        ; -- End function
	.set _ZN7rocprim17ROCPRIM_400000_NS6detail17trampoline_kernelINS0_13select_configILj256ELj13ELNS0_17block_load_methodE3ELS4_3ELS4_3ELNS0_20block_scan_algorithmE0ELj4294967295EEENS1_25partition_config_selectorILNS1_17partition_subalgoE3EjNS0_10empty_typeEbEEZZNS1_14partition_implILS8_3ELb0ES6_jNS0_17counting_iteratorIjlEEPS9_SE_NS0_5tupleIJPjSE_EEENSF_IJSE_SE_EEES9_SG_JZNS1_25segmented_radix_sort_implINS0_14default_configELb0EPK6__halfPSL_PKlPlN2at6native12_GLOBAL__N_18offset_tEEE10hipError_tPvRmT1_PNSt15iterator_traitsISZ_E10value_typeET2_T3_PNS10_IS15_E10value_typeET4_jRbjT5_S1B_jjP12ihipStream_tbEUljE_EEESW_SX_SY_S15_S19_S1B_T6_T7_T9_mT8_S1D_bDpT10_ENKUlT_T0_E_clISt17integral_constantIbLb1EES1P_IbLb0EEEEDaS1L_S1M_EUlS1L_E_NS1_11comp_targetILNS1_3genE10ELNS1_11target_archE1200ELNS1_3gpuE4ELNS1_3repE0EEENS1_30default_config_static_selectorELNS0_4arch9wavefront6targetE1EEEvSZ_.num_vgpr, 0
	.set _ZN7rocprim17ROCPRIM_400000_NS6detail17trampoline_kernelINS0_13select_configILj256ELj13ELNS0_17block_load_methodE3ELS4_3ELS4_3ELNS0_20block_scan_algorithmE0ELj4294967295EEENS1_25partition_config_selectorILNS1_17partition_subalgoE3EjNS0_10empty_typeEbEEZZNS1_14partition_implILS8_3ELb0ES6_jNS0_17counting_iteratorIjlEEPS9_SE_NS0_5tupleIJPjSE_EEENSF_IJSE_SE_EEES9_SG_JZNS1_25segmented_radix_sort_implINS0_14default_configELb0EPK6__halfPSL_PKlPlN2at6native12_GLOBAL__N_18offset_tEEE10hipError_tPvRmT1_PNSt15iterator_traitsISZ_E10value_typeET2_T3_PNS10_IS15_E10value_typeET4_jRbjT5_S1B_jjP12ihipStream_tbEUljE_EEESW_SX_SY_S15_S19_S1B_T6_T7_T9_mT8_S1D_bDpT10_ENKUlT_T0_E_clISt17integral_constantIbLb1EES1P_IbLb0EEEEDaS1L_S1M_EUlS1L_E_NS1_11comp_targetILNS1_3genE10ELNS1_11target_archE1200ELNS1_3gpuE4ELNS1_3repE0EEENS1_30default_config_static_selectorELNS0_4arch9wavefront6targetE1EEEvSZ_.num_agpr, 0
	.set _ZN7rocprim17ROCPRIM_400000_NS6detail17trampoline_kernelINS0_13select_configILj256ELj13ELNS0_17block_load_methodE3ELS4_3ELS4_3ELNS0_20block_scan_algorithmE0ELj4294967295EEENS1_25partition_config_selectorILNS1_17partition_subalgoE3EjNS0_10empty_typeEbEEZZNS1_14partition_implILS8_3ELb0ES6_jNS0_17counting_iteratorIjlEEPS9_SE_NS0_5tupleIJPjSE_EEENSF_IJSE_SE_EEES9_SG_JZNS1_25segmented_radix_sort_implINS0_14default_configELb0EPK6__halfPSL_PKlPlN2at6native12_GLOBAL__N_18offset_tEEE10hipError_tPvRmT1_PNSt15iterator_traitsISZ_E10value_typeET2_T3_PNS10_IS15_E10value_typeET4_jRbjT5_S1B_jjP12ihipStream_tbEUljE_EEESW_SX_SY_S15_S19_S1B_T6_T7_T9_mT8_S1D_bDpT10_ENKUlT_T0_E_clISt17integral_constantIbLb1EES1P_IbLb0EEEEDaS1L_S1M_EUlS1L_E_NS1_11comp_targetILNS1_3genE10ELNS1_11target_archE1200ELNS1_3gpuE4ELNS1_3repE0EEENS1_30default_config_static_selectorELNS0_4arch9wavefront6targetE1EEEvSZ_.numbered_sgpr, 0
	.set _ZN7rocprim17ROCPRIM_400000_NS6detail17trampoline_kernelINS0_13select_configILj256ELj13ELNS0_17block_load_methodE3ELS4_3ELS4_3ELNS0_20block_scan_algorithmE0ELj4294967295EEENS1_25partition_config_selectorILNS1_17partition_subalgoE3EjNS0_10empty_typeEbEEZZNS1_14partition_implILS8_3ELb0ES6_jNS0_17counting_iteratorIjlEEPS9_SE_NS0_5tupleIJPjSE_EEENSF_IJSE_SE_EEES9_SG_JZNS1_25segmented_radix_sort_implINS0_14default_configELb0EPK6__halfPSL_PKlPlN2at6native12_GLOBAL__N_18offset_tEEE10hipError_tPvRmT1_PNSt15iterator_traitsISZ_E10value_typeET2_T3_PNS10_IS15_E10value_typeET4_jRbjT5_S1B_jjP12ihipStream_tbEUljE_EEESW_SX_SY_S15_S19_S1B_T6_T7_T9_mT8_S1D_bDpT10_ENKUlT_T0_E_clISt17integral_constantIbLb1EES1P_IbLb0EEEEDaS1L_S1M_EUlS1L_E_NS1_11comp_targetILNS1_3genE10ELNS1_11target_archE1200ELNS1_3gpuE4ELNS1_3repE0EEENS1_30default_config_static_selectorELNS0_4arch9wavefront6targetE1EEEvSZ_.num_named_barrier, 0
	.set _ZN7rocprim17ROCPRIM_400000_NS6detail17trampoline_kernelINS0_13select_configILj256ELj13ELNS0_17block_load_methodE3ELS4_3ELS4_3ELNS0_20block_scan_algorithmE0ELj4294967295EEENS1_25partition_config_selectorILNS1_17partition_subalgoE3EjNS0_10empty_typeEbEEZZNS1_14partition_implILS8_3ELb0ES6_jNS0_17counting_iteratorIjlEEPS9_SE_NS0_5tupleIJPjSE_EEENSF_IJSE_SE_EEES9_SG_JZNS1_25segmented_radix_sort_implINS0_14default_configELb0EPK6__halfPSL_PKlPlN2at6native12_GLOBAL__N_18offset_tEEE10hipError_tPvRmT1_PNSt15iterator_traitsISZ_E10value_typeET2_T3_PNS10_IS15_E10value_typeET4_jRbjT5_S1B_jjP12ihipStream_tbEUljE_EEESW_SX_SY_S15_S19_S1B_T6_T7_T9_mT8_S1D_bDpT10_ENKUlT_T0_E_clISt17integral_constantIbLb1EES1P_IbLb0EEEEDaS1L_S1M_EUlS1L_E_NS1_11comp_targetILNS1_3genE10ELNS1_11target_archE1200ELNS1_3gpuE4ELNS1_3repE0EEENS1_30default_config_static_selectorELNS0_4arch9wavefront6targetE1EEEvSZ_.private_seg_size, 0
	.set _ZN7rocprim17ROCPRIM_400000_NS6detail17trampoline_kernelINS0_13select_configILj256ELj13ELNS0_17block_load_methodE3ELS4_3ELS4_3ELNS0_20block_scan_algorithmE0ELj4294967295EEENS1_25partition_config_selectorILNS1_17partition_subalgoE3EjNS0_10empty_typeEbEEZZNS1_14partition_implILS8_3ELb0ES6_jNS0_17counting_iteratorIjlEEPS9_SE_NS0_5tupleIJPjSE_EEENSF_IJSE_SE_EEES9_SG_JZNS1_25segmented_radix_sort_implINS0_14default_configELb0EPK6__halfPSL_PKlPlN2at6native12_GLOBAL__N_18offset_tEEE10hipError_tPvRmT1_PNSt15iterator_traitsISZ_E10value_typeET2_T3_PNS10_IS15_E10value_typeET4_jRbjT5_S1B_jjP12ihipStream_tbEUljE_EEESW_SX_SY_S15_S19_S1B_T6_T7_T9_mT8_S1D_bDpT10_ENKUlT_T0_E_clISt17integral_constantIbLb1EES1P_IbLb0EEEEDaS1L_S1M_EUlS1L_E_NS1_11comp_targetILNS1_3genE10ELNS1_11target_archE1200ELNS1_3gpuE4ELNS1_3repE0EEENS1_30default_config_static_selectorELNS0_4arch9wavefront6targetE1EEEvSZ_.uses_vcc, 0
	.set _ZN7rocprim17ROCPRIM_400000_NS6detail17trampoline_kernelINS0_13select_configILj256ELj13ELNS0_17block_load_methodE3ELS4_3ELS4_3ELNS0_20block_scan_algorithmE0ELj4294967295EEENS1_25partition_config_selectorILNS1_17partition_subalgoE3EjNS0_10empty_typeEbEEZZNS1_14partition_implILS8_3ELb0ES6_jNS0_17counting_iteratorIjlEEPS9_SE_NS0_5tupleIJPjSE_EEENSF_IJSE_SE_EEES9_SG_JZNS1_25segmented_radix_sort_implINS0_14default_configELb0EPK6__halfPSL_PKlPlN2at6native12_GLOBAL__N_18offset_tEEE10hipError_tPvRmT1_PNSt15iterator_traitsISZ_E10value_typeET2_T3_PNS10_IS15_E10value_typeET4_jRbjT5_S1B_jjP12ihipStream_tbEUljE_EEESW_SX_SY_S15_S19_S1B_T6_T7_T9_mT8_S1D_bDpT10_ENKUlT_T0_E_clISt17integral_constantIbLb1EES1P_IbLb0EEEEDaS1L_S1M_EUlS1L_E_NS1_11comp_targetILNS1_3genE10ELNS1_11target_archE1200ELNS1_3gpuE4ELNS1_3repE0EEENS1_30default_config_static_selectorELNS0_4arch9wavefront6targetE1EEEvSZ_.uses_flat_scratch, 0
	.set _ZN7rocprim17ROCPRIM_400000_NS6detail17trampoline_kernelINS0_13select_configILj256ELj13ELNS0_17block_load_methodE3ELS4_3ELS4_3ELNS0_20block_scan_algorithmE0ELj4294967295EEENS1_25partition_config_selectorILNS1_17partition_subalgoE3EjNS0_10empty_typeEbEEZZNS1_14partition_implILS8_3ELb0ES6_jNS0_17counting_iteratorIjlEEPS9_SE_NS0_5tupleIJPjSE_EEENSF_IJSE_SE_EEES9_SG_JZNS1_25segmented_radix_sort_implINS0_14default_configELb0EPK6__halfPSL_PKlPlN2at6native12_GLOBAL__N_18offset_tEEE10hipError_tPvRmT1_PNSt15iterator_traitsISZ_E10value_typeET2_T3_PNS10_IS15_E10value_typeET4_jRbjT5_S1B_jjP12ihipStream_tbEUljE_EEESW_SX_SY_S15_S19_S1B_T6_T7_T9_mT8_S1D_bDpT10_ENKUlT_T0_E_clISt17integral_constantIbLb1EES1P_IbLb0EEEEDaS1L_S1M_EUlS1L_E_NS1_11comp_targetILNS1_3genE10ELNS1_11target_archE1200ELNS1_3gpuE4ELNS1_3repE0EEENS1_30default_config_static_selectorELNS0_4arch9wavefront6targetE1EEEvSZ_.has_dyn_sized_stack, 0
	.set _ZN7rocprim17ROCPRIM_400000_NS6detail17trampoline_kernelINS0_13select_configILj256ELj13ELNS0_17block_load_methodE3ELS4_3ELS4_3ELNS0_20block_scan_algorithmE0ELj4294967295EEENS1_25partition_config_selectorILNS1_17partition_subalgoE3EjNS0_10empty_typeEbEEZZNS1_14partition_implILS8_3ELb0ES6_jNS0_17counting_iteratorIjlEEPS9_SE_NS0_5tupleIJPjSE_EEENSF_IJSE_SE_EEES9_SG_JZNS1_25segmented_radix_sort_implINS0_14default_configELb0EPK6__halfPSL_PKlPlN2at6native12_GLOBAL__N_18offset_tEEE10hipError_tPvRmT1_PNSt15iterator_traitsISZ_E10value_typeET2_T3_PNS10_IS15_E10value_typeET4_jRbjT5_S1B_jjP12ihipStream_tbEUljE_EEESW_SX_SY_S15_S19_S1B_T6_T7_T9_mT8_S1D_bDpT10_ENKUlT_T0_E_clISt17integral_constantIbLb1EES1P_IbLb0EEEEDaS1L_S1M_EUlS1L_E_NS1_11comp_targetILNS1_3genE10ELNS1_11target_archE1200ELNS1_3gpuE4ELNS1_3repE0EEENS1_30default_config_static_selectorELNS0_4arch9wavefront6targetE1EEEvSZ_.has_recursion, 0
	.set _ZN7rocprim17ROCPRIM_400000_NS6detail17trampoline_kernelINS0_13select_configILj256ELj13ELNS0_17block_load_methodE3ELS4_3ELS4_3ELNS0_20block_scan_algorithmE0ELj4294967295EEENS1_25partition_config_selectorILNS1_17partition_subalgoE3EjNS0_10empty_typeEbEEZZNS1_14partition_implILS8_3ELb0ES6_jNS0_17counting_iteratorIjlEEPS9_SE_NS0_5tupleIJPjSE_EEENSF_IJSE_SE_EEES9_SG_JZNS1_25segmented_radix_sort_implINS0_14default_configELb0EPK6__halfPSL_PKlPlN2at6native12_GLOBAL__N_18offset_tEEE10hipError_tPvRmT1_PNSt15iterator_traitsISZ_E10value_typeET2_T3_PNS10_IS15_E10value_typeET4_jRbjT5_S1B_jjP12ihipStream_tbEUljE_EEESW_SX_SY_S15_S19_S1B_T6_T7_T9_mT8_S1D_bDpT10_ENKUlT_T0_E_clISt17integral_constantIbLb1EES1P_IbLb0EEEEDaS1L_S1M_EUlS1L_E_NS1_11comp_targetILNS1_3genE10ELNS1_11target_archE1200ELNS1_3gpuE4ELNS1_3repE0EEENS1_30default_config_static_selectorELNS0_4arch9wavefront6targetE1EEEvSZ_.has_indirect_call, 0
	.section	.AMDGPU.csdata,"",@progbits
; Kernel info:
; codeLenInByte = 0
; TotalNumSgprs: 4
; NumVgprs: 0
; ScratchSize: 0
; MemoryBound: 0
; FloatMode: 240
; IeeeMode: 1
; LDSByteSize: 0 bytes/workgroup (compile time only)
; SGPRBlocks: 0
; VGPRBlocks: 0
; NumSGPRsForWavesPerEU: 4
; NumVGPRsForWavesPerEU: 1
; Occupancy: 10
; WaveLimiterHint : 0
; COMPUTE_PGM_RSRC2:SCRATCH_EN: 0
; COMPUTE_PGM_RSRC2:USER_SGPR: 6
; COMPUTE_PGM_RSRC2:TRAP_HANDLER: 0
; COMPUTE_PGM_RSRC2:TGID_X_EN: 1
; COMPUTE_PGM_RSRC2:TGID_Y_EN: 0
; COMPUTE_PGM_RSRC2:TGID_Z_EN: 0
; COMPUTE_PGM_RSRC2:TIDIG_COMP_CNT: 0
	.section	.text._ZN7rocprim17ROCPRIM_400000_NS6detail17trampoline_kernelINS0_13select_configILj256ELj13ELNS0_17block_load_methodE3ELS4_3ELS4_3ELNS0_20block_scan_algorithmE0ELj4294967295EEENS1_25partition_config_selectorILNS1_17partition_subalgoE3EjNS0_10empty_typeEbEEZZNS1_14partition_implILS8_3ELb0ES6_jNS0_17counting_iteratorIjlEEPS9_SE_NS0_5tupleIJPjSE_EEENSF_IJSE_SE_EEES9_SG_JZNS1_25segmented_radix_sort_implINS0_14default_configELb0EPK6__halfPSL_PKlPlN2at6native12_GLOBAL__N_18offset_tEEE10hipError_tPvRmT1_PNSt15iterator_traitsISZ_E10value_typeET2_T3_PNS10_IS15_E10value_typeET4_jRbjT5_S1B_jjP12ihipStream_tbEUljE_EEESW_SX_SY_S15_S19_S1B_T6_T7_T9_mT8_S1D_bDpT10_ENKUlT_T0_E_clISt17integral_constantIbLb1EES1P_IbLb0EEEEDaS1L_S1M_EUlS1L_E_NS1_11comp_targetILNS1_3genE9ELNS1_11target_archE1100ELNS1_3gpuE3ELNS1_3repE0EEENS1_30default_config_static_selectorELNS0_4arch9wavefront6targetE1EEEvSZ_,"axG",@progbits,_ZN7rocprim17ROCPRIM_400000_NS6detail17trampoline_kernelINS0_13select_configILj256ELj13ELNS0_17block_load_methodE3ELS4_3ELS4_3ELNS0_20block_scan_algorithmE0ELj4294967295EEENS1_25partition_config_selectorILNS1_17partition_subalgoE3EjNS0_10empty_typeEbEEZZNS1_14partition_implILS8_3ELb0ES6_jNS0_17counting_iteratorIjlEEPS9_SE_NS0_5tupleIJPjSE_EEENSF_IJSE_SE_EEES9_SG_JZNS1_25segmented_radix_sort_implINS0_14default_configELb0EPK6__halfPSL_PKlPlN2at6native12_GLOBAL__N_18offset_tEEE10hipError_tPvRmT1_PNSt15iterator_traitsISZ_E10value_typeET2_T3_PNS10_IS15_E10value_typeET4_jRbjT5_S1B_jjP12ihipStream_tbEUljE_EEESW_SX_SY_S15_S19_S1B_T6_T7_T9_mT8_S1D_bDpT10_ENKUlT_T0_E_clISt17integral_constantIbLb1EES1P_IbLb0EEEEDaS1L_S1M_EUlS1L_E_NS1_11comp_targetILNS1_3genE9ELNS1_11target_archE1100ELNS1_3gpuE3ELNS1_3repE0EEENS1_30default_config_static_selectorELNS0_4arch9wavefront6targetE1EEEvSZ_,comdat
	.globl	_ZN7rocprim17ROCPRIM_400000_NS6detail17trampoline_kernelINS0_13select_configILj256ELj13ELNS0_17block_load_methodE3ELS4_3ELS4_3ELNS0_20block_scan_algorithmE0ELj4294967295EEENS1_25partition_config_selectorILNS1_17partition_subalgoE3EjNS0_10empty_typeEbEEZZNS1_14partition_implILS8_3ELb0ES6_jNS0_17counting_iteratorIjlEEPS9_SE_NS0_5tupleIJPjSE_EEENSF_IJSE_SE_EEES9_SG_JZNS1_25segmented_radix_sort_implINS0_14default_configELb0EPK6__halfPSL_PKlPlN2at6native12_GLOBAL__N_18offset_tEEE10hipError_tPvRmT1_PNSt15iterator_traitsISZ_E10value_typeET2_T3_PNS10_IS15_E10value_typeET4_jRbjT5_S1B_jjP12ihipStream_tbEUljE_EEESW_SX_SY_S15_S19_S1B_T6_T7_T9_mT8_S1D_bDpT10_ENKUlT_T0_E_clISt17integral_constantIbLb1EES1P_IbLb0EEEEDaS1L_S1M_EUlS1L_E_NS1_11comp_targetILNS1_3genE9ELNS1_11target_archE1100ELNS1_3gpuE3ELNS1_3repE0EEENS1_30default_config_static_selectorELNS0_4arch9wavefront6targetE1EEEvSZ_ ; -- Begin function _ZN7rocprim17ROCPRIM_400000_NS6detail17trampoline_kernelINS0_13select_configILj256ELj13ELNS0_17block_load_methodE3ELS4_3ELS4_3ELNS0_20block_scan_algorithmE0ELj4294967295EEENS1_25partition_config_selectorILNS1_17partition_subalgoE3EjNS0_10empty_typeEbEEZZNS1_14partition_implILS8_3ELb0ES6_jNS0_17counting_iteratorIjlEEPS9_SE_NS0_5tupleIJPjSE_EEENSF_IJSE_SE_EEES9_SG_JZNS1_25segmented_radix_sort_implINS0_14default_configELb0EPK6__halfPSL_PKlPlN2at6native12_GLOBAL__N_18offset_tEEE10hipError_tPvRmT1_PNSt15iterator_traitsISZ_E10value_typeET2_T3_PNS10_IS15_E10value_typeET4_jRbjT5_S1B_jjP12ihipStream_tbEUljE_EEESW_SX_SY_S15_S19_S1B_T6_T7_T9_mT8_S1D_bDpT10_ENKUlT_T0_E_clISt17integral_constantIbLb1EES1P_IbLb0EEEEDaS1L_S1M_EUlS1L_E_NS1_11comp_targetILNS1_3genE9ELNS1_11target_archE1100ELNS1_3gpuE3ELNS1_3repE0EEENS1_30default_config_static_selectorELNS0_4arch9wavefront6targetE1EEEvSZ_
	.p2align	8
	.type	_ZN7rocprim17ROCPRIM_400000_NS6detail17trampoline_kernelINS0_13select_configILj256ELj13ELNS0_17block_load_methodE3ELS4_3ELS4_3ELNS0_20block_scan_algorithmE0ELj4294967295EEENS1_25partition_config_selectorILNS1_17partition_subalgoE3EjNS0_10empty_typeEbEEZZNS1_14partition_implILS8_3ELb0ES6_jNS0_17counting_iteratorIjlEEPS9_SE_NS0_5tupleIJPjSE_EEENSF_IJSE_SE_EEES9_SG_JZNS1_25segmented_radix_sort_implINS0_14default_configELb0EPK6__halfPSL_PKlPlN2at6native12_GLOBAL__N_18offset_tEEE10hipError_tPvRmT1_PNSt15iterator_traitsISZ_E10value_typeET2_T3_PNS10_IS15_E10value_typeET4_jRbjT5_S1B_jjP12ihipStream_tbEUljE_EEESW_SX_SY_S15_S19_S1B_T6_T7_T9_mT8_S1D_bDpT10_ENKUlT_T0_E_clISt17integral_constantIbLb1EES1P_IbLb0EEEEDaS1L_S1M_EUlS1L_E_NS1_11comp_targetILNS1_3genE9ELNS1_11target_archE1100ELNS1_3gpuE3ELNS1_3repE0EEENS1_30default_config_static_selectorELNS0_4arch9wavefront6targetE1EEEvSZ_,@function
_ZN7rocprim17ROCPRIM_400000_NS6detail17trampoline_kernelINS0_13select_configILj256ELj13ELNS0_17block_load_methodE3ELS4_3ELS4_3ELNS0_20block_scan_algorithmE0ELj4294967295EEENS1_25partition_config_selectorILNS1_17partition_subalgoE3EjNS0_10empty_typeEbEEZZNS1_14partition_implILS8_3ELb0ES6_jNS0_17counting_iteratorIjlEEPS9_SE_NS0_5tupleIJPjSE_EEENSF_IJSE_SE_EEES9_SG_JZNS1_25segmented_radix_sort_implINS0_14default_configELb0EPK6__halfPSL_PKlPlN2at6native12_GLOBAL__N_18offset_tEEE10hipError_tPvRmT1_PNSt15iterator_traitsISZ_E10value_typeET2_T3_PNS10_IS15_E10value_typeET4_jRbjT5_S1B_jjP12ihipStream_tbEUljE_EEESW_SX_SY_S15_S19_S1B_T6_T7_T9_mT8_S1D_bDpT10_ENKUlT_T0_E_clISt17integral_constantIbLb1EES1P_IbLb0EEEEDaS1L_S1M_EUlS1L_E_NS1_11comp_targetILNS1_3genE9ELNS1_11target_archE1100ELNS1_3gpuE3ELNS1_3repE0EEENS1_30default_config_static_selectorELNS0_4arch9wavefront6targetE1EEEvSZ_: ; @_ZN7rocprim17ROCPRIM_400000_NS6detail17trampoline_kernelINS0_13select_configILj256ELj13ELNS0_17block_load_methodE3ELS4_3ELS4_3ELNS0_20block_scan_algorithmE0ELj4294967295EEENS1_25partition_config_selectorILNS1_17partition_subalgoE3EjNS0_10empty_typeEbEEZZNS1_14partition_implILS8_3ELb0ES6_jNS0_17counting_iteratorIjlEEPS9_SE_NS0_5tupleIJPjSE_EEENSF_IJSE_SE_EEES9_SG_JZNS1_25segmented_radix_sort_implINS0_14default_configELb0EPK6__halfPSL_PKlPlN2at6native12_GLOBAL__N_18offset_tEEE10hipError_tPvRmT1_PNSt15iterator_traitsISZ_E10value_typeET2_T3_PNS10_IS15_E10value_typeET4_jRbjT5_S1B_jjP12ihipStream_tbEUljE_EEESW_SX_SY_S15_S19_S1B_T6_T7_T9_mT8_S1D_bDpT10_ENKUlT_T0_E_clISt17integral_constantIbLb1EES1P_IbLb0EEEEDaS1L_S1M_EUlS1L_E_NS1_11comp_targetILNS1_3genE9ELNS1_11target_archE1100ELNS1_3gpuE3ELNS1_3repE0EEENS1_30default_config_static_selectorELNS0_4arch9wavefront6targetE1EEEvSZ_
; %bb.0:
	.section	.rodata,"a",@progbits
	.p2align	6, 0x0
	.amdhsa_kernel _ZN7rocprim17ROCPRIM_400000_NS6detail17trampoline_kernelINS0_13select_configILj256ELj13ELNS0_17block_load_methodE3ELS4_3ELS4_3ELNS0_20block_scan_algorithmE0ELj4294967295EEENS1_25partition_config_selectorILNS1_17partition_subalgoE3EjNS0_10empty_typeEbEEZZNS1_14partition_implILS8_3ELb0ES6_jNS0_17counting_iteratorIjlEEPS9_SE_NS0_5tupleIJPjSE_EEENSF_IJSE_SE_EEES9_SG_JZNS1_25segmented_radix_sort_implINS0_14default_configELb0EPK6__halfPSL_PKlPlN2at6native12_GLOBAL__N_18offset_tEEE10hipError_tPvRmT1_PNSt15iterator_traitsISZ_E10value_typeET2_T3_PNS10_IS15_E10value_typeET4_jRbjT5_S1B_jjP12ihipStream_tbEUljE_EEESW_SX_SY_S15_S19_S1B_T6_T7_T9_mT8_S1D_bDpT10_ENKUlT_T0_E_clISt17integral_constantIbLb1EES1P_IbLb0EEEEDaS1L_S1M_EUlS1L_E_NS1_11comp_targetILNS1_3genE9ELNS1_11target_archE1100ELNS1_3gpuE3ELNS1_3repE0EEENS1_30default_config_static_selectorELNS0_4arch9wavefront6targetE1EEEvSZ_
		.amdhsa_group_segment_fixed_size 0
		.amdhsa_private_segment_fixed_size 0
		.amdhsa_kernarg_size 144
		.amdhsa_user_sgpr_count 6
		.amdhsa_user_sgpr_private_segment_buffer 1
		.amdhsa_user_sgpr_dispatch_ptr 0
		.amdhsa_user_sgpr_queue_ptr 0
		.amdhsa_user_sgpr_kernarg_segment_ptr 1
		.amdhsa_user_sgpr_dispatch_id 0
		.amdhsa_user_sgpr_flat_scratch_init 0
		.amdhsa_user_sgpr_private_segment_size 0
		.amdhsa_uses_dynamic_stack 0
		.amdhsa_system_sgpr_private_segment_wavefront_offset 0
		.amdhsa_system_sgpr_workgroup_id_x 1
		.amdhsa_system_sgpr_workgroup_id_y 0
		.amdhsa_system_sgpr_workgroup_id_z 0
		.amdhsa_system_sgpr_workgroup_info 0
		.amdhsa_system_vgpr_workitem_id 0
		.amdhsa_next_free_vgpr 1
		.amdhsa_next_free_sgpr 0
		.amdhsa_reserve_vcc 0
		.amdhsa_reserve_flat_scratch 0
		.amdhsa_float_round_mode_32 0
		.amdhsa_float_round_mode_16_64 0
		.amdhsa_float_denorm_mode_32 3
		.amdhsa_float_denorm_mode_16_64 3
		.amdhsa_dx10_clamp 1
		.amdhsa_ieee_mode 1
		.amdhsa_fp16_overflow 0
		.amdhsa_exception_fp_ieee_invalid_op 0
		.amdhsa_exception_fp_denorm_src 0
		.amdhsa_exception_fp_ieee_div_zero 0
		.amdhsa_exception_fp_ieee_overflow 0
		.amdhsa_exception_fp_ieee_underflow 0
		.amdhsa_exception_fp_ieee_inexact 0
		.amdhsa_exception_int_div_zero 0
	.end_amdhsa_kernel
	.section	.text._ZN7rocprim17ROCPRIM_400000_NS6detail17trampoline_kernelINS0_13select_configILj256ELj13ELNS0_17block_load_methodE3ELS4_3ELS4_3ELNS0_20block_scan_algorithmE0ELj4294967295EEENS1_25partition_config_selectorILNS1_17partition_subalgoE3EjNS0_10empty_typeEbEEZZNS1_14partition_implILS8_3ELb0ES6_jNS0_17counting_iteratorIjlEEPS9_SE_NS0_5tupleIJPjSE_EEENSF_IJSE_SE_EEES9_SG_JZNS1_25segmented_radix_sort_implINS0_14default_configELb0EPK6__halfPSL_PKlPlN2at6native12_GLOBAL__N_18offset_tEEE10hipError_tPvRmT1_PNSt15iterator_traitsISZ_E10value_typeET2_T3_PNS10_IS15_E10value_typeET4_jRbjT5_S1B_jjP12ihipStream_tbEUljE_EEESW_SX_SY_S15_S19_S1B_T6_T7_T9_mT8_S1D_bDpT10_ENKUlT_T0_E_clISt17integral_constantIbLb1EES1P_IbLb0EEEEDaS1L_S1M_EUlS1L_E_NS1_11comp_targetILNS1_3genE9ELNS1_11target_archE1100ELNS1_3gpuE3ELNS1_3repE0EEENS1_30default_config_static_selectorELNS0_4arch9wavefront6targetE1EEEvSZ_,"axG",@progbits,_ZN7rocprim17ROCPRIM_400000_NS6detail17trampoline_kernelINS0_13select_configILj256ELj13ELNS0_17block_load_methodE3ELS4_3ELS4_3ELNS0_20block_scan_algorithmE0ELj4294967295EEENS1_25partition_config_selectorILNS1_17partition_subalgoE3EjNS0_10empty_typeEbEEZZNS1_14partition_implILS8_3ELb0ES6_jNS0_17counting_iteratorIjlEEPS9_SE_NS0_5tupleIJPjSE_EEENSF_IJSE_SE_EEES9_SG_JZNS1_25segmented_radix_sort_implINS0_14default_configELb0EPK6__halfPSL_PKlPlN2at6native12_GLOBAL__N_18offset_tEEE10hipError_tPvRmT1_PNSt15iterator_traitsISZ_E10value_typeET2_T3_PNS10_IS15_E10value_typeET4_jRbjT5_S1B_jjP12ihipStream_tbEUljE_EEESW_SX_SY_S15_S19_S1B_T6_T7_T9_mT8_S1D_bDpT10_ENKUlT_T0_E_clISt17integral_constantIbLb1EES1P_IbLb0EEEEDaS1L_S1M_EUlS1L_E_NS1_11comp_targetILNS1_3genE9ELNS1_11target_archE1100ELNS1_3gpuE3ELNS1_3repE0EEENS1_30default_config_static_selectorELNS0_4arch9wavefront6targetE1EEEvSZ_,comdat
.Lfunc_end1832:
	.size	_ZN7rocprim17ROCPRIM_400000_NS6detail17trampoline_kernelINS0_13select_configILj256ELj13ELNS0_17block_load_methodE3ELS4_3ELS4_3ELNS0_20block_scan_algorithmE0ELj4294967295EEENS1_25partition_config_selectorILNS1_17partition_subalgoE3EjNS0_10empty_typeEbEEZZNS1_14partition_implILS8_3ELb0ES6_jNS0_17counting_iteratorIjlEEPS9_SE_NS0_5tupleIJPjSE_EEENSF_IJSE_SE_EEES9_SG_JZNS1_25segmented_radix_sort_implINS0_14default_configELb0EPK6__halfPSL_PKlPlN2at6native12_GLOBAL__N_18offset_tEEE10hipError_tPvRmT1_PNSt15iterator_traitsISZ_E10value_typeET2_T3_PNS10_IS15_E10value_typeET4_jRbjT5_S1B_jjP12ihipStream_tbEUljE_EEESW_SX_SY_S15_S19_S1B_T6_T7_T9_mT8_S1D_bDpT10_ENKUlT_T0_E_clISt17integral_constantIbLb1EES1P_IbLb0EEEEDaS1L_S1M_EUlS1L_E_NS1_11comp_targetILNS1_3genE9ELNS1_11target_archE1100ELNS1_3gpuE3ELNS1_3repE0EEENS1_30default_config_static_selectorELNS0_4arch9wavefront6targetE1EEEvSZ_, .Lfunc_end1832-_ZN7rocprim17ROCPRIM_400000_NS6detail17trampoline_kernelINS0_13select_configILj256ELj13ELNS0_17block_load_methodE3ELS4_3ELS4_3ELNS0_20block_scan_algorithmE0ELj4294967295EEENS1_25partition_config_selectorILNS1_17partition_subalgoE3EjNS0_10empty_typeEbEEZZNS1_14partition_implILS8_3ELb0ES6_jNS0_17counting_iteratorIjlEEPS9_SE_NS0_5tupleIJPjSE_EEENSF_IJSE_SE_EEES9_SG_JZNS1_25segmented_radix_sort_implINS0_14default_configELb0EPK6__halfPSL_PKlPlN2at6native12_GLOBAL__N_18offset_tEEE10hipError_tPvRmT1_PNSt15iterator_traitsISZ_E10value_typeET2_T3_PNS10_IS15_E10value_typeET4_jRbjT5_S1B_jjP12ihipStream_tbEUljE_EEESW_SX_SY_S15_S19_S1B_T6_T7_T9_mT8_S1D_bDpT10_ENKUlT_T0_E_clISt17integral_constantIbLb1EES1P_IbLb0EEEEDaS1L_S1M_EUlS1L_E_NS1_11comp_targetILNS1_3genE9ELNS1_11target_archE1100ELNS1_3gpuE3ELNS1_3repE0EEENS1_30default_config_static_selectorELNS0_4arch9wavefront6targetE1EEEvSZ_
                                        ; -- End function
	.set _ZN7rocprim17ROCPRIM_400000_NS6detail17trampoline_kernelINS0_13select_configILj256ELj13ELNS0_17block_load_methodE3ELS4_3ELS4_3ELNS0_20block_scan_algorithmE0ELj4294967295EEENS1_25partition_config_selectorILNS1_17partition_subalgoE3EjNS0_10empty_typeEbEEZZNS1_14partition_implILS8_3ELb0ES6_jNS0_17counting_iteratorIjlEEPS9_SE_NS0_5tupleIJPjSE_EEENSF_IJSE_SE_EEES9_SG_JZNS1_25segmented_radix_sort_implINS0_14default_configELb0EPK6__halfPSL_PKlPlN2at6native12_GLOBAL__N_18offset_tEEE10hipError_tPvRmT1_PNSt15iterator_traitsISZ_E10value_typeET2_T3_PNS10_IS15_E10value_typeET4_jRbjT5_S1B_jjP12ihipStream_tbEUljE_EEESW_SX_SY_S15_S19_S1B_T6_T7_T9_mT8_S1D_bDpT10_ENKUlT_T0_E_clISt17integral_constantIbLb1EES1P_IbLb0EEEEDaS1L_S1M_EUlS1L_E_NS1_11comp_targetILNS1_3genE9ELNS1_11target_archE1100ELNS1_3gpuE3ELNS1_3repE0EEENS1_30default_config_static_selectorELNS0_4arch9wavefront6targetE1EEEvSZ_.num_vgpr, 0
	.set _ZN7rocprim17ROCPRIM_400000_NS6detail17trampoline_kernelINS0_13select_configILj256ELj13ELNS0_17block_load_methodE3ELS4_3ELS4_3ELNS0_20block_scan_algorithmE0ELj4294967295EEENS1_25partition_config_selectorILNS1_17partition_subalgoE3EjNS0_10empty_typeEbEEZZNS1_14partition_implILS8_3ELb0ES6_jNS0_17counting_iteratorIjlEEPS9_SE_NS0_5tupleIJPjSE_EEENSF_IJSE_SE_EEES9_SG_JZNS1_25segmented_radix_sort_implINS0_14default_configELb0EPK6__halfPSL_PKlPlN2at6native12_GLOBAL__N_18offset_tEEE10hipError_tPvRmT1_PNSt15iterator_traitsISZ_E10value_typeET2_T3_PNS10_IS15_E10value_typeET4_jRbjT5_S1B_jjP12ihipStream_tbEUljE_EEESW_SX_SY_S15_S19_S1B_T6_T7_T9_mT8_S1D_bDpT10_ENKUlT_T0_E_clISt17integral_constantIbLb1EES1P_IbLb0EEEEDaS1L_S1M_EUlS1L_E_NS1_11comp_targetILNS1_3genE9ELNS1_11target_archE1100ELNS1_3gpuE3ELNS1_3repE0EEENS1_30default_config_static_selectorELNS0_4arch9wavefront6targetE1EEEvSZ_.num_agpr, 0
	.set _ZN7rocprim17ROCPRIM_400000_NS6detail17trampoline_kernelINS0_13select_configILj256ELj13ELNS0_17block_load_methodE3ELS4_3ELS4_3ELNS0_20block_scan_algorithmE0ELj4294967295EEENS1_25partition_config_selectorILNS1_17partition_subalgoE3EjNS0_10empty_typeEbEEZZNS1_14partition_implILS8_3ELb0ES6_jNS0_17counting_iteratorIjlEEPS9_SE_NS0_5tupleIJPjSE_EEENSF_IJSE_SE_EEES9_SG_JZNS1_25segmented_radix_sort_implINS0_14default_configELb0EPK6__halfPSL_PKlPlN2at6native12_GLOBAL__N_18offset_tEEE10hipError_tPvRmT1_PNSt15iterator_traitsISZ_E10value_typeET2_T3_PNS10_IS15_E10value_typeET4_jRbjT5_S1B_jjP12ihipStream_tbEUljE_EEESW_SX_SY_S15_S19_S1B_T6_T7_T9_mT8_S1D_bDpT10_ENKUlT_T0_E_clISt17integral_constantIbLb1EES1P_IbLb0EEEEDaS1L_S1M_EUlS1L_E_NS1_11comp_targetILNS1_3genE9ELNS1_11target_archE1100ELNS1_3gpuE3ELNS1_3repE0EEENS1_30default_config_static_selectorELNS0_4arch9wavefront6targetE1EEEvSZ_.numbered_sgpr, 0
	.set _ZN7rocprim17ROCPRIM_400000_NS6detail17trampoline_kernelINS0_13select_configILj256ELj13ELNS0_17block_load_methodE3ELS4_3ELS4_3ELNS0_20block_scan_algorithmE0ELj4294967295EEENS1_25partition_config_selectorILNS1_17partition_subalgoE3EjNS0_10empty_typeEbEEZZNS1_14partition_implILS8_3ELb0ES6_jNS0_17counting_iteratorIjlEEPS9_SE_NS0_5tupleIJPjSE_EEENSF_IJSE_SE_EEES9_SG_JZNS1_25segmented_radix_sort_implINS0_14default_configELb0EPK6__halfPSL_PKlPlN2at6native12_GLOBAL__N_18offset_tEEE10hipError_tPvRmT1_PNSt15iterator_traitsISZ_E10value_typeET2_T3_PNS10_IS15_E10value_typeET4_jRbjT5_S1B_jjP12ihipStream_tbEUljE_EEESW_SX_SY_S15_S19_S1B_T6_T7_T9_mT8_S1D_bDpT10_ENKUlT_T0_E_clISt17integral_constantIbLb1EES1P_IbLb0EEEEDaS1L_S1M_EUlS1L_E_NS1_11comp_targetILNS1_3genE9ELNS1_11target_archE1100ELNS1_3gpuE3ELNS1_3repE0EEENS1_30default_config_static_selectorELNS0_4arch9wavefront6targetE1EEEvSZ_.num_named_barrier, 0
	.set _ZN7rocprim17ROCPRIM_400000_NS6detail17trampoline_kernelINS0_13select_configILj256ELj13ELNS0_17block_load_methodE3ELS4_3ELS4_3ELNS0_20block_scan_algorithmE0ELj4294967295EEENS1_25partition_config_selectorILNS1_17partition_subalgoE3EjNS0_10empty_typeEbEEZZNS1_14partition_implILS8_3ELb0ES6_jNS0_17counting_iteratorIjlEEPS9_SE_NS0_5tupleIJPjSE_EEENSF_IJSE_SE_EEES9_SG_JZNS1_25segmented_radix_sort_implINS0_14default_configELb0EPK6__halfPSL_PKlPlN2at6native12_GLOBAL__N_18offset_tEEE10hipError_tPvRmT1_PNSt15iterator_traitsISZ_E10value_typeET2_T3_PNS10_IS15_E10value_typeET4_jRbjT5_S1B_jjP12ihipStream_tbEUljE_EEESW_SX_SY_S15_S19_S1B_T6_T7_T9_mT8_S1D_bDpT10_ENKUlT_T0_E_clISt17integral_constantIbLb1EES1P_IbLb0EEEEDaS1L_S1M_EUlS1L_E_NS1_11comp_targetILNS1_3genE9ELNS1_11target_archE1100ELNS1_3gpuE3ELNS1_3repE0EEENS1_30default_config_static_selectorELNS0_4arch9wavefront6targetE1EEEvSZ_.private_seg_size, 0
	.set _ZN7rocprim17ROCPRIM_400000_NS6detail17trampoline_kernelINS0_13select_configILj256ELj13ELNS0_17block_load_methodE3ELS4_3ELS4_3ELNS0_20block_scan_algorithmE0ELj4294967295EEENS1_25partition_config_selectorILNS1_17partition_subalgoE3EjNS0_10empty_typeEbEEZZNS1_14partition_implILS8_3ELb0ES6_jNS0_17counting_iteratorIjlEEPS9_SE_NS0_5tupleIJPjSE_EEENSF_IJSE_SE_EEES9_SG_JZNS1_25segmented_radix_sort_implINS0_14default_configELb0EPK6__halfPSL_PKlPlN2at6native12_GLOBAL__N_18offset_tEEE10hipError_tPvRmT1_PNSt15iterator_traitsISZ_E10value_typeET2_T3_PNS10_IS15_E10value_typeET4_jRbjT5_S1B_jjP12ihipStream_tbEUljE_EEESW_SX_SY_S15_S19_S1B_T6_T7_T9_mT8_S1D_bDpT10_ENKUlT_T0_E_clISt17integral_constantIbLb1EES1P_IbLb0EEEEDaS1L_S1M_EUlS1L_E_NS1_11comp_targetILNS1_3genE9ELNS1_11target_archE1100ELNS1_3gpuE3ELNS1_3repE0EEENS1_30default_config_static_selectorELNS0_4arch9wavefront6targetE1EEEvSZ_.uses_vcc, 0
	.set _ZN7rocprim17ROCPRIM_400000_NS6detail17trampoline_kernelINS0_13select_configILj256ELj13ELNS0_17block_load_methodE3ELS4_3ELS4_3ELNS0_20block_scan_algorithmE0ELj4294967295EEENS1_25partition_config_selectorILNS1_17partition_subalgoE3EjNS0_10empty_typeEbEEZZNS1_14partition_implILS8_3ELb0ES6_jNS0_17counting_iteratorIjlEEPS9_SE_NS0_5tupleIJPjSE_EEENSF_IJSE_SE_EEES9_SG_JZNS1_25segmented_radix_sort_implINS0_14default_configELb0EPK6__halfPSL_PKlPlN2at6native12_GLOBAL__N_18offset_tEEE10hipError_tPvRmT1_PNSt15iterator_traitsISZ_E10value_typeET2_T3_PNS10_IS15_E10value_typeET4_jRbjT5_S1B_jjP12ihipStream_tbEUljE_EEESW_SX_SY_S15_S19_S1B_T6_T7_T9_mT8_S1D_bDpT10_ENKUlT_T0_E_clISt17integral_constantIbLb1EES1P_IbLb0EEEEDaS1L_S1M_EUlS1L_E_NS1_11comp_targetILNS1_3genE9ELNS1_11target_archE1100ELNS1_3gpuE3ELNS1_3repE0EEENS1_30default_config_static_selectorELNS0_4arch9wavefront6targetE1EEEvSZ_.uses_flat_scratch, 0
	.set _ZN7rocprim17ROCPRIM_400000_NS6detail17trampoline_kernelINS0_13select_configILj256ELj13ELNS0_17block_load_methodE3ELS4_3ELS4_3ELNS0_20block_scan_algorithmE0ELj4294967295EEENS1_25partition_config_selectorILNS1_17partition_subalgoE3EjNS0_10empty_typeEbEEZZNS1_14partition_implILS8_3ELb0ES6_jNS0_17counting_iteratorIjlEEPS9_SE_NS0_5tupleIJPjSE_EEENSF_IJSE_SE_EEES9_SG_JZNS1_25segmented_radix_sort_implINS0_14default_configELb0EPK6__halfPSL_PKlPlN2at6native12_GLOBAL__N_18offset_tEEE10hipError_tPvRmT1_PNSt15iterator_traitsISZ_E10value_typeET2_T3_PNS10_IS15_E10value_typeET4_jRbjT5_S1B_jjP12ihipStream_tbEUljE_EEESW_SX_SY_S15_S19_S1B_T6_T7_T9_mT8_S1D_bDpT10_ENKUlT_T0_E_clISt17integral_constantIbLb1EES1P_IbLb0EEEEDaS1L_S1M_EUlS1L_E_NS1_11comp_targetILNS1_3genE9ELNS1_11target_archE1100ELNS1_3gpuE3ELNS1_3repE0EEENS1_30default_config_static_selectorELNS0_4arch9wavefront6targetE1EEEvSZ_.has_dyn_sized_stack, 0
	.set _ZN7rocprim17ROCPRIM_400000_NS6detail17trampoline_kernelINS0_13select_configILj256ELj13ELNS0_17block_load_methodE3ELS4_3ELS4_3ELNS0_20block_scan_algorithmE0ELj4294967295EEENS1_25partition_config_selectorILNS1_17partition_subalgoE3EjNS0_10empty_typeEbEEZZNS1_14partition_implILS8_3ELb0ES6_jNS0_17counting_iteratorIjlEEPS9_SE_NS0_5tupleIJPjSE_EEENSF_IJSE_SE_EEES9_SG_JZNS1_25segmented_radix_sort_implINS0_14default_configELb0EPK6__halfPSL_PKlPlN2at6native12_GLOBAL__N_18offset_tEEE10hipError_tPvRmT1_PNSt15iterator_traitsISZ_E10value_typeET2_T3_PNS10_IS15_E10value_typeET4_jRbjT5_S1B_jjP12ihipStream_tbEUljE_EEESW_SX_SY_S15_S19_S1B_T6_T7_T9_mT8_S1D_bDpT10_ENKUlT_T0_E_clISt17integral_constantIbLb1EES1P_IbLb0EEEEDaS1L_S1M_EUlS1L_E_NS1_11comp_targetILNS1_3genE9ELNS1_11target_archE1100ELNS1_3gpuE3ELNS1_3repE0EEENS1_30default_config_static_selectorELNS0_4arch9wavefront6targetE1EEEvSZ_.has_recursion, 0
	.set _ZN7rocprim17ROCPRIM_400000_NS6detail17trampoline_kernelINS0_13select_configILj256ELj13ELNS0_17block_load_methodE3ELS4_3ELS4_3ELNS0_20block_scan_algorithmE0ELj4294967295EEENS1_25partition_config_selectorILNS1_17partition_subalgoE3EjNS0_10empty_typeEbEEZZNS1_14partition_implILS8_3ELb0ES6_jNS0_17counting_iteratorIjlEEPS9_SE_NS0_5tupleIJPjSE_EEENSF_IJSE_SE_EEES9_SG_JZNS1_25segmented_radix_sort_implINS0_14default_configELb0EPK6__halfPSL_PKlPlN2at6native12_GLOBAL__N_18offset_tEEE10hipError_tPvRmT1_PNSt15iterator_traitsISZ_E10value_typeET2_T3_PNS10_IS15_E10value_typeET4_jRbjT5_S1B_jjP12ihipStream_tbEUljE_EEESW_SX_SY_S15_S19_S1B_T6_T7_T9_mT8_S1D_bDpT10_ENKUlT_T0_E_clISt17integral_constantIbLb1EES1P_IbLb0EEEEDaS1L_S1M_EUlS1L_E_NS1_11comp_targetILNS1_3genE9ELNS1_11target_archE1100ELNS1_3gpuE3ELNS1_3repE0EEENS1_30default_config_static_selectorELNS0_4arch9wavefront6targetE1EEEvSZ_.has_indirect_call, 0
	.section	.AMDGPU.csdata,"",@progbits
; Kernel info:
; codeLenInByte = 0
; TotalNumSgprs: 4
; NumVgprs: 0
; ScratchSize: 0
; MemoryBound: 0
; FloatMode: 240
; IeeeMode: 1
; LDSByteSize: 0 bytes/workgroup (compile time only)
; SGPRBlocks: 0
; VGPRBlocks: 0
; NumSGPRsForWavesPerEU: 4
; NumVGPRsForWavesPerEU: 1
; Occupancy: 10
; WaveLimiterHint : 0
; COMPUTE_PGM_RSRC2:SCRATCH_EN: 0
; COMPUTE_PGM_RSRC2:USER_SGPR: 6
; COMPUTE_PGM_RSRC2:TRAP_HANDLER: 0
; COMPUTE_PGM_RSRC2:TGID_X_EN: 1
; COMPUTE_PGM_RSRC2:TGID_Y_EN: 0
; COMPUTE_PGM_RSRC2:TGID_Z_EN: 0
; COMPUTE_PGM_RSRC2:TIDIG_COMP_CNT: 0
	.section	.text._ZN7rocprim17ROCPRIM_400000_NS6detail17trampoline_kernelINS0_13select_configILj256ELj13ELNS0_17block_load_methodE3ELS4_3ELS4_3ELNS0_20block_scan_algorithmE0ELj4294967295EEENS1_25partition_config_selectorILNS1_17partition_subalgoE3EjNS0_10empty_typeEbEEZZNS1_14partition_implILS8_3ELb0ES6_jNS0_17counting_iteratorIjlEEPS9_SE_NS0_5tupleIJPjSE_EEENSF_IJSE_SE_EEES9_SG_JZNS1_25segmented_radix_sort_implINS0_14default_configELb0EPK6__halfPSL_PKlPlN2at6native12_GLOBAL__N_18offset_tEEE10hipError_tPvRmT1_PNSt15iterator_traitsISZ_E10value_typeET2_T3_PNS10_IS15_E10value_typeET4_jRbjT5_S1B_jjP12ihipStream_tbEUljE_EEESW_SX_SY_S15_S19_S1B_T6_T7_T9_mT8_S1D_bDpT10_ENKUlT_T0_E_clISt17integral_constantIbLb1EES1P_IbLb0EEEEDaS1L_S1M_EUlS1L_E_NS1_11comp_targetILNS1_3genE8ELNS1_11target_archE1030ELNS1_3gpuE2ELNS1_3repE0EEENS1_30default_config_static_selectorELNS0_4arch9wavefront6targetE1EEEvSZ_,"axG",@progbits,_ZN7rocprim17ROCPRIM_400000_NS6detail17trampoline_kernelINS0_13select_configILj256ELj13ELNS0_17block_load_methodE3ELS4_3ELS4_3ELNS0_20block_scan_algorithmE0ELj4294967295EEENS1_25partition_config_selectorILNS1_17partition_subalgoE3EjNS0_10empty_typeEbEEZZNS1_14partition_implILS8_3ELb0ES6_jNS0_17counting_iteratorIjlEEPS9_SE_NS0_5tupleIJPjSE_EEENSF_IJSE_SE_EEES9_SG_JZNS1_25segmented_radix_sort_implINS0_14default_configELb0EPK6__halfPSL_PKlPlN2at6native12_GLOBAL__N_18offset_tEEE10hipError_tPvRmT1_PNSt15iterator_traitsISZ_E10value_typeET2_T3_PNS10_IS15_E10value_typeET4_jRbjT5_S1B_jjP12ihipStream_tbEUljE_EEESW_SX_SY_S15_S19_S1B_T6_T7_T9_mT8_S1D_bDpT10_ENKUlT_T0_E_clISt17integral_constantIbLb1EES1P_IbLb0EEEEDaS1L_S1M_EUlS1L_E_NS1_11comp_targetILNS1_3genE8ELNS1_11target_archE1030ELNS1_3gpuE2ELNS1_3repE0EEENS1_30default_config_static_selectorELNS0_4arch9wavefront6targetE1EEEvSZ_,comdat
	.globl	_ZN7rocprim17ROCPRIM_400000_NS6detail17trampoline_kernelINS0_13select_configILj256ELj13ELNS0_17block_load_methodE3ELS4_3ELS4_3ELNS0_20block_scan_algorithmE0ELj4294967295EEENS1_25partition_config_selectorILNS1_17partition_subalgoE3EjNS0_10empty_typeEbEEZZNS1_14partition_implILS8_3ELb0ES6_jNS0_17counting_iteratorIjlEEPS9_SE_NS0_5tupleIJPjSE_EEENSF_IJSE_SE_EEES9_SG_JZNS1_25segmented_radix_sort_implINS0_14default_configELb0EPK6__halfPSL_PKlPlN2at6native12_GLOBAL__N_18offset_tEEE10hipError_tPvRmT1_PNSt15iterator_traitsISZ_E10value_typeET2_T3_PNS10_IS15_E10value_typeET4_jRbjT5_S1B_jjP12ihipStream_tbEUljE_EEESW_SX_SY_S15_S19_S1B_T6_T7_T9_mT8_S1D_bDpT10_ENKUlT_T0_E_clISt17integral_constantIbLb1EES1P_IbLb0EEEEDaS1L_S1M_EUlS1L_E_NS1_11comp_targetILNS1_3genE8ELNS1_11target_archE1030ELNS1_3gpuE2ELNS1_3repE0EEENS1_30default_config_static_selectorELNS0_4arch9wavefront6targetE1EEEvSZ_ ; -- Begin function _ZN7rocprim17ROCPRIM_400000_NS6detail17trampoline_kernelINS0_13select_configILj256ELj13ELNS0_17block_load_methodE3ELS4_3ELS4_3ELNS0_20block_scan_algorithmE0ELj4294967295EEENS1_25partition_config_selectorILNS1_17partition_subalgoE3EjNS0_10empty_typeEbEEZZNS1_14partition_implILS8_3ELb0ES6_jNS0_17counting_iteratorIjlEEPS9_SE_NS0_5tupleIJPjSE_EEENSF_IJSE_SE_EEES9_SG_JZNS1_25segmented_radix_sort_implINS0_14default_configELb0EPK6__halfPSL_PKlPlN2at6native12_GLOBAL__N_18offset_tEEE10hipError_tPvRmT1_PNSt15iterator_traitsISZ_E10value_typeET2_T3_PNS10_IS15_E10value_typeET4_jRbjT5_S1B_jjP12ihipStream_tbEUljE_EEESW_SX_SY_S15_S19_S1B_T6_T7_T9_mT8_S1D_bDpT10_ENKUlT_T0_E_clISt17integral_constantIbLb1EES1P_IbLb0EEEEDaS1L_S1M_EUlS1L_E_NS1_11comp_targetILNS1_3genE8ELNS1_11target_archE1030ELNS1_3gpuE2ELNS1_3repE0EEENS1_30default_config_static_selectorELNS0_4arch9wavefront6targetE1EEEvSZ_
	.p2align	8
	.type	_ZN7rocprim17ROCPRIM_400000_NS6detail17trampoline_kernelINS0_13select_configILj256ELj13ELNS0_17block_load_methodE3ELS4_3ELS4_3ELNS0_20block_scan_algorithmE0ELj4294967295EEENS1_25partition_config_selectorILNS1_17partition_subalgoE3EjNS0_10empty_typeEbEEZZNS1_14partition_implILS8_3ELb0ES6_jNS0_17counting_iteratorIjlEEPS9_SE_NS0_5tupleIJPjSE_EEENSF_IJSE_SE_EEES9_SG_JZNS1_25segmented_radix_sort_implINS0_14default_configELb0EPK6__halfPSL_PKlPlN2at6native12_GLOBAL__N_18offset_tEEE10hipError_tPvRmT1_PNSt15iterator_traitsISZ_E10value_typeET2_T3_PNS10_IS15_E10value_typeET4_jRbjT5_S1B_jjP12ihipStream_tbEUljE_EEESW_SX_SY_S15_S19_S1B_T6_T7_T9_mT8_S1D_bDpT10_ENKUlT_T0_E_clISt17integral_constantIbLb1EES1P_IbLb0EEEEDaS1L_S1M_EUlS1L_E_NS1_11comp_targetILNS1_3genE8ELNS1_11target_archE1030ELNS1_3gpuE2ELNS1_3repE0EEENS1_30default_config_static_selectorELNS0_4arch9wavefront6targetE1EEEvSZ_,@function
_ZN7rocprim17ROCPRIM_400000_NS6detail17trampoline_kernelINS0_13select_configILj256ELj13ELNS0_17block_load_methodE3ELS4_3ELS4_3ELNS0_20block_scan_algorithmE0ELj4294967295EEENS1_25partition_config_selectorILNS1_17partition_subalgoE3EjNS0_10empty_typeEbEEZZNS1_14partition_implILS8_3ELb0ES6_jNS0_17counting_iteratorIjlEEPS9_SE_NS0_5tupleIJPjSE_EEENSF_IJSE_SE_EEES9_SG_JZNS1_25segmented_radix_sort_implINS0_14default_configELb0EPK6__halfPSL_PKlPlN2at6native12_GLOBAL__N_18offset_tEEE10hipError_tPvRmT1_PNSt15iterator_traitsISZ_E10value_typeET2_T3_PNS10_IS15_E10value_typeET4_jRbjT5_S1B_jjP12ihipStream_tbEUljE_EEESW_SX_SY_S15_S19_S1B_T6_T7_T9_mT8_S1D_bDpT10_ENKUlT_T0_E_clISt17integral_constantIbLb1EES1P_IbLb0EEEEDaS1L_S1M_EUlS1L_E_NS1_11comp_targetILNS1_3genE8ELNS1_11target_archE1030ELNS1_3gpuE2ELNS1_3repE0EEENS1_30default_config_static_selectorELNS0_4arch9wavefront6targetE1EEEvSZ_: ; @_ZN7rocprim17ROCPRIM_400000_NS6detail17trampoline_kernelINS0_13select_configILj256ELj13ELNS0_17block_load_methodE3ELS4_3ELS4_3ELNS0_20block_scan_algorithmE0ELj4294967295EEENS1_25partition_config_selectorILNS1_17partition_subalgoE3EjNS0_10empty_typeEbEEZZNS1_14partition_implILS8_3ELb0ES6_jNS0_17counting_iteratorIjlEEPS9_SE_NS0_5tupleIJPjSE_EEENSF_IJSE_SE_EEES9_SG_JZNS1_25segmented_radix_sort_implINS0_14default_configELb0EPK6__halfPSL_PKlPlN2at6native12_GLOBAL__N_18offset_tEEE10hipError_tPvRmT1_PNSt15iterator_traitsISZ_E10value_typeET2_T3_PNS10_IS15_E10value_typeET4_jRbjT5_S1B_jjP12ihipStream_tbEUljE_EEESW_SX_SY_S15_S19_S1B_T6_T7_T9_mT8_S1D_bDpT10_ENKUlT_T0_E_clISt17integral_constantIbLb1EES1P_IbLb0EEEEDaS1L_S1M_EUlS1L_E_NS1_11comp_targetILNS1_3genE8ELNS1_11target_archE1030ELNS1_3gpuE2ELNS1_3repE0EEENS1_30default_config_static_selectorELNS0_4arch9wavefront6targetE1EEEvSZ_
; %bb.0:
	.section	.rodata,"a",@progbits
	.p2align	6, 0x0
	.amdhsa_kernel _ZN7rocprim17ROCPRIM_400000_NS6detail17trampoline_kernelINS0_13select_configILj256ELj13ELNS0_17block_load_methodE3ELS4_3ELS4_3ELNS0_20block_scan_algorithmE0ELj4294967295EEENS1_25partition_config_selectorILNS1_17partition_subalgoE3EjNS0_10empty_typeEbEEZZNS1_14partition_implILS8_3ELb0ES6_jNS0_17counting_iteratorIjlEEPS9_SE_NS0_5tupleIJPjSE_EEENSF_IJSE_SE_EEES9_SG_JZNS1_25segmented_radix_sort_implINS0_14default_configELb0EPK6__halfPSL_PKlPlN2at6native12_GLOBAL__N_18offset_tEEE10hipError_tPvRmT1_PNSt15iterator_traitsISZ_E10value_typeET2_T3_PNS10_IS15_E10value_typeET4_jRbjT5_S1B_jjP12ihipStream_tbEUljE_EEESW_SX_SY_S15_S19_S1B_T6_T7_T9_mT8_S1D_bDpT10_ENKUlT_T0_E_clISt17integral_constantIbLb1EES1P_IbLb0EEEEDaS1L_S1M_EUlS1L_E_NS1_11comp_targetILNS1_3genE8ELNS1_11target_archE1030ELNS1_3gpuE2ELNS1_3repE0EEENS1_30default_config_static_selectorELNS0_4arch9wavefront6targetE1EEEvSZ_
		.amdhsa_group_segment_fixed_size 0
		.amdhsa_private_segment_fixed_size 0
		.amdhsa_kernarg_size 144
		.amdhsa_user_sgpr_count 6
		.amdhsa_user_sgpr_private_segment_buffer 1
		.amdhsa_user_sgpr_dispatch_ptr 0
		.amdhsa_user_sgpr_queue_ptr 0
		.amdhsa_user_sgpr_kernarg_segment_ptr 1
		.amdhsa_user_sgpr_dispatch_id 0
		.amdhsa_user_sgpr_flat_scratch_init 0
		.amdhsa_user_sgpr_private_segment_size 0
		.amdhsa_uses_dynamic_stack 0
		.amdhsa_system_sgpr_private_segment_wavefront_offset 0
		.amdhsa_system_sgpr_workgroup_id_x 1
		.amdhsa_system_sgpr_workgroup_id_y 0
		.amdhsa_system_sgpr_workgroup_id_z 0
		.amdhsa_system_sgpr_workgroup_info 0
		.amdhsa_system_vgpr_workitem_id 0
		.amdhsa_next_free_vgpr 1
		.amdhsa_next_free_sgpr 0
		.amdhsa_reserve_vcc 0
		.amdhsa_reserve_flat_scratch 0
		.amdhsa_float_round_mode_32 0
		.amdhsa_float_round_mode_16_64 0
		.amdhsa_float_denorm_mode_32 3
		.amdhsa_float_denorm_mode_16_64 3
		.amdhsa_dx10_clamp 1
		.amdhsa_ieee_mode 1
		.amdhsa_fp16_overflow 0
		.amdhsa_exception_fp_ieee_invalid_op 0
		.amdhsa_exception_fp_denorm_src 0
		.amdhsa_exception_fp_ieee_div_zero 0
		.amdhsa_exception_fp_ieee_overflow 0
		.amdhsa_exception_fp_ieee_underflow 0
		.amdhsa_exception_fp_ieee_inexact 0
		.amdhsa_exception_int_div_zero 0
	.end_amdhsa_kernel
	.section	.text._ZN7rocprim17ROCPRIM_400000_NS6detail17trampoline_kernelINS0_13select_configILj256ELj13ELNS0_17block_load_methodE3ELS4_3ELS4_3ELNS0_20block_scan_algorithmE0ELj4294967295EEENS1_25partition_config_selectorILNS1_17partition_subalgoE3EjNS0_10empty_typeEbEEZZNS1_14partition_implILS8_3ELb0ES6_jNS0_17counting_iteratorIjlEEPS9_SE_NS0_5tupleIJPjSE_EEENSF_IJSE_SE_EEES9_SG_JZNS1_25segmented_radix_sort_implINS0_14default_configELb0EPK6__halfPSL_PKlPlN2at6native12_GLOBAL__N_18offset_tEEE10hipError_tPvRmT1_PNSt15iterator_traitsISZ_E10value_typeET2_T3_PNS10_IS15_E10value_typeET4_jRbjT5_S1B_jjP12ihipStream_tbEUljE_EEESW_SX_SY_S15_S19_S1B_T6_T7_T9_mT8_S1D_bDpT10_ENKUlT_T0_E_clISt17integral_constantIbLb1EES1P_IbLb0EEEEDaS1L_S1M_EUlS1L_E_NS1_11comp_targetILNS1_3genE8ELNS1_11target_archE1030ELNS1_3gpuE2ELNS1_3repE0EEENS1_30default_config_static_selectorELNS0_4arch9wavefront6targetE1EEEvSZ_,"axG",@progbits,_ZN7rocprim17ROCPRIM_400000_NS6detail17trampoline_kernelINS0_13select_configILj256ELj13ELNS0_17block_load_methodE3ELS4_3ELS4_3ELNS0_20block_scan_algorithmE0ELj4294967295EEENS1_25partition_config_selectorILNS1_17partition_subalgoE3EjNS0_10empty_typeEbEEZZNS1_14partition_implILS8_3ELb0ES6_jNS0_17counting_iteratorIjlEEPS9_SE_NS0_5tupleIJPjSE_EEENSF_IJSE_SE_EEES9_SG_JZNS1_25segmented_radix_sort_implINS0_14default_configELb0EPK6__halfPSL_PKlPlN2at6native12_GLOBAL__N_18offset_tEEE10hipError_tPvRmT1_PNSt15iterator_traitsISZ_E10value_typeET2_T3_PNS10_IS15_E10value_typeET4_jRbjT5_S1B_jjP12ihipStream_tbEUljE_EEESW_SX_SY_S15_S19_S1B_T6_T7_T9_mT8_S1D_bDpT10_ENKUlT_T0_E_clISt17integral_constantIbLb1EES1P_IbLb0EEEEDaS1L_S1M_EUlS1L_E_NS1_11comp_targetILNS1_3genE8ELNS1_11target_archE1030ELNS1_3gpuE2ELNS1_3repE0EEENS1_30default_config_static_selectorELNS0_4arch9wavefront6targetE1EEEvSZ_,comdat
.Lfunc_end1833:
	.size	_ZN7rocprim17ROCPRIM_400000_NS6detail17trampoline_kernelINS0_13select_configILj256ELj13ELNS0_17block_load_methodE3ELS4_3ELS4_3ELNS0_20block_scan_algorithmE0ELj4294967295EEENS1_25partition_config_selectorILNS1_17partition_subalgoE3EjNS0_10empty_typeEbEEZZNS1_14partition_implILS8_3ELb0ES6_jNS0_17counting_iteratorIjlEEPS9_SE_NS0_5tupleIJPjSE_EEENSF_IJSE_SE_EEES9_SG_JZNS1_25segmented_radix_sort_implINS0_14default_configELb0EPK6__halfPSL_PKlPlN2at6native12_GLOBAL__N_18offset_tEEE10hipError_tPvRmT1_PNSt15iterator_traitsISZ_E10value_typeET2_T3_PNS10_IS15_E10value_typeET4_jRbjT5_S1B_jjP12ihipStream_tbEUljE_EEESW_SX_SY_S15_S19_S1B_T6_T7_T9_mT8_S1D_bDpT10_ENKUlT_T0_E_clISt17integral_constantIbLb1EES1P_IbLb0EEEEDaS1L_S1M_EUlS1L_E_NS1_11comp_targetILNS1_3genE8ELNS1_11target_archE1030ELNS1_3gpuE2ELNS1_3repE0EEENS1_30default_config_static_selectorELNS0_4arch9wavefront6targetE1EEEvSZ_, .Lfunc_end1833-_ZN7rocprim17ROCPRIM_400000_NS6detail17trampoline_kernelINS0_13select_configILj256ELj13ELNS0_17block_load_methodE3ELS4_3ELS4_3ELNS0_20block_scan_algorithmE0ELj4294967295EEENS1_25partition_config_selectorILNS1_17partition_subalgoE3EjNS0_10empty_typeEbEEZZNS1_14partition_implILS8_3ELb0ES6_jNS0_17counting_iteratorIjlEEPS9_SE_NS0_5tupleIJPjSE_EEENSF_IJSE_SE_EEES9_SG_JZNS1_25segmented_radix_sort_implINS0_14default_configELb0EPK6__halfPSL_PKlPlN2at6native12_GLOBAL__N_18offset_tEEE10hipError_tPvRmT1_PNSt15iterator_traitsISZ_E10value_typeET2_T3_PNS10_IS15_E10value_typeET4_jRbjT5_S1B_jjP12ihipStream_tbEUljE_EEESW_SX_SY_S15_S19_S1B_T6_T7_T9_mT8_S1D_bDpT10_ENKUlT_T0_E_clISt17integral_constantIbLb1EES1P_IbLb0EEEEDaS1L_S1M_EUlS1L_E_NS1_11comp_targetILNS1_3genE8ELNS1_11target_archE1030ELNS1_3gpuE2ELNS1_3repE0EEENS1_30default_config_static_selectorELNS0_4arch9wavefront6targetE1EEEvSZ_
                                        ; -- End function
	.set _ZN7rocprim17ROCPRIM_400000_NS6detail17trampoline_kernelINS0_13select_configILj256ELj13ELNS0_17block_load_methodE3ELS4_3ELS4_3ELNS0_20block_scan_algorithmE0ELj4294967295EEENS1_25partition_config_selectorILNS1_17partition_subalgoE3EjNS0_10empty_typeEbEEZZNS1_14partition_implILS8_3ELb0ES6_jNS0_17counting_iteratorIjlEEPS9_SE_NS0_5tupleIJPjSE_EEENSF_IJSE_SE_EEES9_SG_JZNS1_25segmented_radix_sort_implINS0_14default_configELb0EPK6__halfPSL_PKlPlN2at6native12_GLOBAL__N_18offset_tEEE10hipError_tPvRmT1_PNSt15iterator_traitsISZ_E10value_typeET2_T3_PNS10_IS15_E10value_typeET4_jRbjT5_S1B_jjP12ihipStream_tbEUljE_EEESW_SX_SY_S15_S19_S1B_T6_T7_T9_mT8_S1D_bDpT10_ENKUlT_T0_E_clISt17integral_constantIbLb1EES1P_IbLb0EEEEDaS1L_S1M_EUlS1L_E_NS1_11comp_targetILNS1_3genE8ELNS1_11target_archE1030ELNS1_3gpuE2ELNS1_3repE0EEENS1_30default_config_static_selectorELNS0_4arch9wavefront6targetE1EEEvSZ_.num_vgpr, 0
	.set _ZN7rocprim17ROCPRIM_400000_NS6detail17trampoline_kernelINS0_13select_configILj256ELj13ELNS0_17block_load_methodE3ELS4_3ELS4_3ELNS0_20block_scan_algorithmE0ELj4294967295EEENS1_25partition_config_selectorILNS1_17partition_subalgoE3EjNS0_10empty_typeEbEEZZNS1_14partition_implILS8_3ELb0ES6_jNS0_17counting_iteratorIjlEEPS9_SE_NS0_5tupleIJPjSE_EEENSF_IJSE_SE_EEES9_SG_JZNS1_25segmented_radix_sort_implINS0_14default_configELb0EPK6__halfPSL_PKlPlN2at6native12_GLOBAL__N_18offset_tEEE10hipError_tPvRmT1_PNSt15iterator_traitsISZ_E10value_typeET2_T3_PNS10_IS15_E10value_typeET4_jRbjT5_S1B_jjP12ihipStream_tbEUljE_EEESW_SX_SY_S15_S19_S1B_T6_T7_T9_mT8_S1D_bDpT10_ENKUlT_T0_E_clISt17integral_constantIbLb1EES1P_IbLb0EEEEDaS1L_S1M_EUlS1L_E_NS1_11comp_targetILNS1_3genE8ELNS1_11target_archE1030ELNS1_3gpuE2ELNS1_3repE0EEENS1_30default_config_static_selectorELNS0_4arch9wavefront6targetE1EEEvSZ_.num_agpr, 0
	.set _ZN7rocprim17ROCPRIM_400000_NS6detail17trampoline_kernelINS0_13select_configILj256ELj13ELNS0_17block_load_methodE3ELS4_3ELS4_3ELNS0_20block_scan_algorithmE0ELj4294967295EEENS1_25partition_config_selectorILNS1_17partition_subalgoE3EjNS0_10empty_typeEbEEZZNS1_14partition_implILS8_3ELb0ES6_jNS0_17counting_iteratorIjlEEPS9_SE_NS0_5tupleIJPjSE_EEENSF_IJSE_SE_EEES9_SG_JZNS1_25segmented_radix_sort_implINS0_14default_configELb0EPK6__halfPSL_PKlPlN2at6native12_GLOBAL__N_18offset_tEEE10hipError_tPvRmT1_PNSt15iterator_traitsISZ_E10value_typeET2_T3_PNS10_IS15_E10value_typeET4_jRbjT5_S1B_jjP12ihipStream_tbEUljE_EEESW_SX_SY_S15_S19_S1B_T6_T7_T9_mT8_S1D_bDpT10_ENKUlT_T0_E_clISt17integral_constantIbLb1EES1P_IbLb0EEEEDaS1L_S1M_EUlS1L_E_NS1_11comp_targetILNS1_3genE8ELNS1_11target_archE1030ELNS1_3gpuE2ELNS1_3repE0EEENS1_30default_config_static_selectorELNS0_4arch9wavefront6targetE1EEEvSZ_.numbered_sgpr, 0
	.set _ZN7rocprim17ROCPRIM_400000_NS6detail17trampoline_kernelINS0_13select_configILj256ELj13ELNS0_17block_load_methodE3ELS4_3ELS4_3ELNS0_20block_scan_algorithmE0ELj4294967295EEENS1_25partition_config_selectorILNS1_17partition_subalgoE3EjNS0_10empty_typeEbEEZZNS1_14partition_implILS8_3ELb0ES6_jNS0_17counting_iteratorIjlEEPS9_SE_NS0_5tupleIJPjSE_EEENSF_IJSE_SE_EEES9_SG_JZNS1_25segmented_radix_sort_implINS0_14default_configELb0EPK6__halfPSL_PKlPlN2at6native12_GLOBAL__N_18offset_tEEE10hipError_tPvRmT1_PNSt15iterator_traitsISZ_E10value_typeET2_T3_PNS10_IS15_E10value_typeET4_jRbjT5_S1B_jjP12ihipStream_tbEUljE_EEESW_SX_SY_S15_S19_S1B_T6_T7_T9_mT8_S1D_bDpT10_ENKUlT_T0_E_clISt17integral_constantIbLb1EES1P_IbLb0EEEEDaS1L_S1M_EUlS1L_E_NS1_11comp_targetILNS1_3genE8ELNS1_11target_archE1030ELNS1_3gpuE2ELNS1_3repE0EEENS1_30default_config_static_selectorELNS0_4arch9wavefront6targetE1EEEvSZ_.num_named_barrier, 0
	.set _ZN7rocprim17ROCPRIM_400000_NS6detail17trampoline_kernelINS0_13select_configILj256ELj13ELNS0_17block_load_methodE3ELS4_3ELS4_3ELNS0_20block_scan_algorithmE0ELj4294967295EEENS1_25partition_config_selectorILNS1_17partition_subalgoE3EjNS0_10empty_typeEbEEZZNS1_14partition_implILS8_3ELb0ES6_jNS0_17counting_iteratorIjlEEPS9_SE_NS0_5tupleIJPjSE_EEENSF_IJSE_SE_EEES9_SG_JZNS1_25segmented_radix_sort_implINS0_14default_configELb0EPK6__halfPSL_PKlPlN2at6native12_GLOBAL__N_18offset_tEEE10hipError_tPvRmT1_PNSt15iterator_traitsISZ_E10value_typeET2_T3_PNS10_IS15_E10value_typeET4_jRbjT5_S1B_jjP12ihipStream_tbEUljE_EEESW_SX_SY_S15_S19_S1B_T6_T7_T9_mT8_S1D_bDpT10_ENKUlT_T0_E_clISt17integral_constantIbLb1EES1P_IbLb0EEEEDaS1L_S1M_EUlS1L_E_NS1_11comp_targetILNS1_3genE8ELNS1_11target_archE1030ELNS1_3gpuE2ELNS1_3repE0EEENS1_30default_config_static_selectorELNS0_4arch9wavefront6targetE1EEEvSZ_.private_seg_size, 0
	.set _ZN7rocprim17ROCPRIM_400000_NS6detail17trampoline_kernelINS0_13select_configILj256ELj13ELNS0_17block_load_methodE3ELS4_3ELS4_3ELNS0_20block_scan_algorithmE0ELj4294967295EEENS1_25partition_config_selectorILNS1_17partition_subalgoE3EjNS0_10empty_typeEbEEZZNS1_14partition_implILS8_3ELb0ES6_jNS0_17counting_iteratorIjlEEPS9_SE_NS0_5tupleIJPjSE_EEENSF_IJSE_SE_EEES9_SG_JZNS1_25segmented_radix_sort_implINS0_14default_configELb0EPK6__halfPSL_PKlPlN2at6native12_GLOBAL__N_18offset_tEEE10hipError_tPvRmT1_PNSt15iterator_traitsISZ_E10value_typeET2_T3_PNS10_IS15_E10value_typeET4_jRbjT5_S1B_jjP12ihipStream_tbEUljE_EEESW_SX_SY_S15_S19_S1B_T6_T7_T9_mT8_S1D_bDpT10_ENKUlT_T0_E_clISt17integral_constantIbLb1EES1P_IbLb0EEEEDaS1L_S1M_EUlS1L_E_NS1_11comp_targetILNS1_3genE8ELNS1_11target_archE1030ELNS1_3gpuE2ELNS1_3repE0EEENS1_30default_config_static_selectorELNS0_4arch9wavefront6targetE1EEEvSZ_.uses_vcc, 0
	.set _ZN7rocprim17ROCPRIM_400000_NS6detail17trampoline_kernelINS0_13select_configILj256ELj13ELNS0_17block_load_methodE3ELS4_3ELS4_3ELNS0_20block_scan_algorithmE0ELj4294967295EEENS1_25partition_config_selectorILNS1_17partition_subalgoE3EjNS0_10empty_typeEbEEZZNS1_14partition_implILS8_3ELb0ES6_jNS0_17counting_iteratorIjlEEPS9_SE_NS0_5tupleIJPjSE_EEENSF_IJSE_SE_EEES9_SG_JZNS1_25segmented_radix_sort_implINS0_14default_configELb0EPK6__halfPSL_PKlPlN2at6native12_GLOBAL__N_18offset_tEEE10hipError_tPvRmT1_PNSt15iterator_traitsISZ_E10value_typeET2_T3_PNS10_IS15_E10value_typeET4_jRbjT5_S1B_jjP12ihipStream_tbEUljE_EEESW_SX_SY_S15_S19_S1B_T6_T7_T9_mT8_S1D_bDpT10_ENKUlT_T0_E_clISt17integral_constantIbLb1EES1P_IbLb0EEEEDaS1L_S1M_EUlS1L_E_NS1_11comp_targetILNS1_3genE8ELNS1_11target_archE1030ELNS1_3gpuE2ELNS1_3repE0EEENS1_30default_config_static_selectorELNS0_4arch9wavefront6targetE1EEEvSZ_.uses_flat_scratch, 0
	.set _ZN7rocprim17ROCPRIM_400000_NS6detail17trampoline_kernelINS0_13select_configILj256ELj13ELNS0_17block_load_methodE3ELS4_3ELS4_3ELNS0_20block_scan_algorithmE0ELj4294967295EEENS1_25partition_config_selectorILNS1_17partition_subalgoE3EjNS0_10empty_typeEbEEZZNS1_14partition_implILS8_3ELb0ES6_jNS0_17counting_iteratorIjlEEPS9_SE_NS0_5tupleIJPjSE_EEENSF_IJSE_SE_EEES9_SG_JZNS1_25segmented_radix_sort_implINS0_14default_configELb0EPK6__halfPSL_PKlPlN2at6native12_GLOBAL__N_18offset_tEEE10hipError_tPvRmT1_PNSt15iterator_traitsISZ_E10value_typeET2_T3_PNS10_IS15_E10value_typeET4_jRbjT5_S1B_jjP12ihipStream_tbEUljE_EEESW_SX_SY_S15_S19_S1B_T6_T7_T9_mT8_S1D_bDpT10_ENKUlT_T0_E_clISt17integral_constantIbLb1EES1P_IbLb0EEEEDaS1L_S1M_EUlS1L_E_NS1_11comp_targetILNS1_3genE8ELNS1_11target_archE1030ELNS1_3gpuE2ELNS1_3repE0EEENS1_30default_config_static_selectorELNS0_4arch9wavefront6targetE1EEEvSZ_.has_dyn_sized_stack, 0
	.set _ZN7rocprim17ROCPRIM_400000_NS6detail17trampoline_kernelINS0_13select_configILj256ELj13ELNS0_17block_load_methodE3ELS4_3ELS4_3ELNS0_20block_scan_algorithmE0ELj4294967295EEENS1_25partition_config_selectorILNS1_17partition_subalgoE3EjNS0_10empty_typeEbEEZZNS1_14partition_implILS8_3ELb0ES6_jNS0_17counting_iteratorIjlEEPS9_SE_NS0_5tupleIJPjSE_EEENSF_IJSE_SE_EEES9_SG_JZNS1_25segmented_radix_sort_implINS0_14default_configELb0EPK6__halfPSL_PKlPlN2at6native12_GLOBAL__N_18offset_tEEE10hipError_tPvRmT1_PNSt15iterator_traitsISZ_E10value_typeET2_T3_PNS10_IS15_E10value_typeET4_jRbjT5_S1B_jjP12ihipStream_tbEUljE_EEESW_SX_SY_S15_S19_S1B_T6_T7_T9_mT8_S1D_bDpT10_ENKUlT_T0_E_clISt17integral_constantIbLb1EES1P_IbLb0EEEEDaS1L_S1M_EUlS1L_E_NS1_11comp_targetILNS1_3genE8ELNS1_11target_archE1030ELNS1_3gpuE2ELNS1_3repE0EEENS1_30default_config_static_selectorELNS0_4arch9wavefront6targetE1EEEvSZ_.has_recursion, 0
	.set _ZN7rocprim17ROCPRIM_400000_NS6detail17trampoline_kernelINS0_13select_configILj256ELj13ELNS0_17block_load_methodE3ELS4_3ELS4_3ELNS0_20block_scan_algorithmE0ELj4294967295EEENS1_25partition_config_selectorILNS1_17partition_subalgoE3EjNS0_10empty_typeEbEEZZNS1_14partition_implILS8_3ELb0ES6_jNS0_17counting_iteratorIjlEEPS9_SE_NS0_5tupleIJPjSE_EEENSF_IJSE_SE_EEES9_SG_JZNS1_25segmented_radix_sort_implINS0_14default_configELb0EPK6__halfPSL_PKlPlN2at6native12_GLOBAL__N_18offset_tEEE10hipError_tPvRmT1_PNSt15iterator_traitsISZ_E10value_typeET2_T3_PNS10_IS15_E10value_typeET4_jRbjT5_S1B_jjP12ihipStream_tbEUljE_EEESW_SX_SY_S15_S19_S1B_T6_T7_T9_mT8_S1D_bDpT10_ENKUlT_T0_E_clISt17integral_constantIbLb1EES1P_IbLb0EEEEDaS1L_S1M_EUlS1L_E_NS1_11comp_targetILNS1_3genE8ELNS1_11target_archE1030ELNS1_3gpuE2ELNS1_3repE0EEENS1_30default_config_static_selectorELNS0_4arch9wavefront6targetE1EEEvSZ_.has_indirect_call, 0
	.section	.AMDGPU.csdata,"",@progbits
; Kernel info:
; codeLenInByte = 0
; TotalNumSgprs: 4
; NumVgprs: 0
; ScratchSize: 0
; MemoryBound: 0
; FloatMode: 240
; IeeeMode: 1
; LDSByteSize: 0 bytes/workgroup (compile time only)
; SGPRBlocks: 0
; VGPRBlocks: 0
; NumSGPRsForWavesPerEU: 4
; NumVGPRsForWavesPerEU: 1
; Occupancy: 10
; WaveLimiterHint : 0
; COMPUTE_PGM_RSRC2:SCRATCH_EN: 0
; COMPUTE_PGM_RSRC2:USER_SGPR: 6
; COMPUTE_PGM_RSRC2:TRAP_HANDLER: 0
; COMPUTE_PGM_RSRC2:TGID_X_EN: 1
; COMPUTE_PGM_RSRC2:TGID_Y_EN: 0
; COMPUTE_PGM_RSRC2:TGID_Z_EN: 0
; COMPUTE_PGM_RSRC2:TIDIG_COMP_CNT: 0
	.section	.text._ZN7rocprim17ROCPRIM_400000_NS6detail17trampoline_kernelINS0_13select_configILj256ELj13ELNS0_17block_load_methodE3ELS4_3ELS4_3ELNS0_20block_scan_algorithmE0ELj4294967295EEENS1_25partition_config_selectorILNS1_17partition_subalgoE3EjNS0_10empty_typeEbEEZZNS1_14partition_implILS8_3ELb0ES6_jNS0_17counting_iteratorIjlEEPS9_SE_NS0_5tupleIJPjSE_EEENSF_IJSE_SE_EEES9_SG_JZNS1_25segmented_radix_sort_implINS0_14default_configELb0EPK6__halfPSL_PKlPlN2at6native12_GLOBAL__N_18offset_tEEE10hipError_tPvRmT1_PNSt15iterator_traitsISZ_E10value_typeET2_T3_PNS10_IS15_E10value_typeET4_jRbjT5_S1B_jjP12ihipStream_tbEUljE_EEESW_SX_SY_S15_S19_S1B_T6_T7_T9_mT8_S1D_bDpT10_ENKUlT_T0_E_clISt17integral_constantIbLb0EES1P_IbLb1EEEEDaS1L_S1M_EUlS1L_E_NS1_11comp_targetILNS1_3genE0ELNS1_11target_archE4294967295ELNS1_3gpuE0ELNS1_3repE0EEENS1_30default_config_static_selectorELNS0_4arch9wavefront6targetE1EEEvSZ_,"axG",@progbits,_ZN7rocprim17ROCPRIM_400000_NS6detail17trampoline_kernelINS0_13select_configILj256ELj13ELNS0_17block_load_methodE3ELS4_3ELS4_3ELNS0_20block_scan_algorithmE0ELj4294967295EEENS1_25partition_config_selectorILNS1_17partition_subalgoE3EjNS0_10empty_typeEbEEZZNS1_14partition_implILS8_3ELb0ES6_jNS0_17counting_iteratorIjlEEPS9_SE_NS0_5tupleIJPjSE_EEENSF_IJSE_SE_EEES9_SG_JZNS1_25segmented_radix_sort_implINS0_14default_configELb0EPK6__halfPSL_PKlPlN2at6native12_GLOBAL__N_18offset_tEEE10hipError_tPvRmT1_PNSt15iterator_traitsISZ_E10value_typeET2_T3_PNS10_IS15_E10value_typeET4_jRbjT5_S1B_jjP12ihipStream_tbEUljE_EEESW_SX_SY_S15_S19_S1B_T6_T7_T9_mT8_S1D_bDpT10_ENKUlT_T0_E_clISt17integral_constantIbLb0EES1P_IbLb1EEEEDaS1L_S1M_EUlS1L_E_NS1_11comp_targetILNS1_3genE0ELNS1_11target_archE4294967295ELNS1_3gpuE0ELNS1_3repE0EEENS1_30default_config_static_selectorELNS0_4arch9wavefront6targetE1EEEvSZ_,comdat
	.globl	_ZN7rocprim17ROCPRIM_400000_NS6detail17trampoline_kernelINS0_13select_configILj256ELj13ELNS0_17block_load_methodE3ELS4_3ELS4_3ELNS0_20block_scan_algorithmE0ELj4294967295EEENS1_25partition_config_selectorILNS1_17partition_subalgoE3EjNS0_10empty_typeEbEEZZNS1_14partition_implILS8_3ELb0ES6_jNS0_17counting_iteratorIjlEEPS9_SE_NS0_5tupleIJPjSE_EEENSF_IJSE_SE_EEES9_SG_JZNS1_25segmented_radix_sort_implINS0_14default_configELb0EPK6__halfPSL_PKlPlN2at6native12_GLOBAL__N_18offset_tEEE10hipError_tPvRmT1_PNSt15iterator_traitsISZ_E10value_typeET2_T3_PNS10_IS15_E10value_typeET4_jRbjT5_S1B_jjP12ihipStream_tbEUljE_EEESW_SX_SY_S15_S19_S1B_T6_T7_T9_mT8_S1D_bDpT10_ENKUlT_T0_E_clISt17integral_constantIbLb0EES1P_IbLb1EEEEDaS1L_S1M_EUlS1L_E_NS1_11comp_targetILNS1_3genE0ELNS1_11target_archE4294967295ELNS1_3gpuE0ELNS1_3repE0EEENS1_30default_config_static_selectorELNS0_4arch9wavefront6targetE1EEEvSZ_ ; -- Begin function _ZN7rocprim17ROCPRIM_400000_NS6detail17trampoline_kernelINS0_13select_configILj256ELj13ELNS0_17block_load_methodE3ELS4_3ELS4_3ELNS0_20block_scan_algorithmE0ELj4294967295EEENS1_25partition_config_selectorILNS1_17partition_subalgoE3EjNS0_10empty_typeEbEEZZNS1_14partition_implILS8_3ELb0ES6_jNS0_17counting_iteratorIjlEEPS9_SE_NS0_5tupleIJPjSE_EEENSF_IJSE_SE_EEES9_SG_JZNS1_25segmented_radix_sort_implINS0_14default_configELb0EPK6__halfPSL_PKlPlN2at6native12_GLOBAL__N_18offset_tEEE10hipError_tPvRmT1_PNSt15iterator_traitsISZ_E10value_typeET2_T3_PNS10_IS15_E10value_typeET4_jRbjT5_S1B_jjP12ihipStream_tbEUljE_EEESW_SX_SY_S15_S19_S1B_T6_T7_T9_mT8_S1D_bDpT10_ENKUlT_T0_E_clISt17integral_constantIbLb0EES1P_IbLb1EEEEDaS1L_S1M_EUlS1L_E_NS1_11comp_targetILNS1_3genE0ELNS1_11target_archE4294967295ELNS1_3gpuE0ELNS1_3repE0EEENS1_30default_config_static_selectorELNS0_4arch9wavefront6targetE1EEEvSZ_
	.p2align	8
	.type	_ZN7rocprim17ROCPRIM_400000_NS6detail17trampoline_kernelINS0_13select_configILj256ELj13ELNS0_17block_load_methodE3ELS4_3ELS4_3ELNS0_20block_scan_algorithmE0ELj4294967295EEENS1_25partition_config_selectorILNS1_17partition_subalgoE3EjNS0_10empty_typeEbEEZZNS1_14partition_implILS8_3ELb0ES6_jNS0_17counting_iteratorIjlEEPS9_SE_NS0_5tupleIJPjSE_EEENSF_IJSE_SE_EEES9_SG_JZNS1_25segmented_radix_sort_implINS0_14default_configELb0EPK6__halfPSL_PKlPlN2at6native12_GLOBAL__N_18offset_tEEE10hipError_tPvRmT1_PNSt15iterator_traitsISZ_E10value_typeET2_T3_PNS10_IS15_E10value_typeET4_jRbjT5_S1B_jjP12ihipStream_tbEUljE_EEESW_SX_SY_S15_S19_S1B_T6_T7_T9_mT8_S1D_bDpT10_ENKUlT_T0_E_clISt17integral_constantIbLb0EES1P_IbLb1EEEEDaS1L_S1M_EUlS1L_E_NS1_11comp_targetILNS1_3genE0ELNS1_11target_archE4294967295ELNS1_3gpuE0ELNS1_3repE0EEENS1_30default_config_static_selectorELNS0_4arch9wavefront6targetE1EEEvSZ_,@function
_ZN7rocprim17ROCPRIM_400000_NS6detail17trampoline_kernelINS0_13select_configILj256ELj13ELNS0_17block_load_methodE3ELS4_3ELS4_3ELNS0_20block_scan_algorithmE0ELj4294967295EEENS1_25partition_config_selectorILNS1_17partition_subalgoE3EjNS0_10empty_typeEbEEZZNS1_14partition_implILS8_3ELb0ES6_jNS0_17counting_iteratorIjlEEPS9_SE_NS0_5tupleIJPjSE_EEENSF_IJSE_SE_EEES9_SG_JZNS1_25segmented_radix_sort_implINS0_14default_configELb0EPK6__halfPSL_PKlPlN2at6native12_GLOBAL__N_18offset_tEEE10hipError_tPvRmT1_PNSt15iterator_traitsISZ_E10value_typeET2_T3_PNS10_IS15_E10value_typeET4_jRbjT5_S1B_jjP12ihipStream_tbEUljE_EEESW_SX_SY_S15_S19_S1B_T6_T7_T9_mT8_S1D_bDpT10_ENKUlT_T0_E_clISt17integral_constantIbLb0EES1P_IbLb1EEEEDaS1L_S1M_EUlS1L_E_NS1_11comp_targetILNS1_3genE0ELNS1_11target_archE4294967295ELNS1_3gpuE0ELNS1_3repE0EEENS1_30default_config_static_selectorELNS0_4arch9wavefront6targetE1EEEvSZ_: ; @_ZN7rocprim17ROCPRIM_400000_NS6detail17trampoline_kernelINS0_13select_configILj256ELj13ELNS0_17block_load_methodE3ELS4_3ELS4_3ELNS0_20block_scan_algorithmE0ELj4294967295EEENS1_25partition_config_selectorILNS1_17partition_subalgoE3EjNS0_10empty_typeEbEEZZNS1_14partition_implILS8_3ELb0ES6_jNS0_17counting_iteratorIjlEEPS9_SE_NS0_5tupleIJPjSE_EEENSF_IJSE_SE_EEES9_SG_JZNS1_25segmented_radix_sort_implINS0_14default_configELb0EPK6__halfPSL_PKlPlN2at6native12_GLOBAL__N_18offset_tEEE10hipError_tPvRmT1_PNSt15iterator_traitsISZ_E10value_typeET2_T3_PNS10_IS15_E10value_typeET4_jRbjT5_S1B_jjP12ihipStream_tbEUljE_EEESW_SX_SY_S15_S19_S1B_T6_T7_T9_mT8_S1D_bDpT10_ENKUlT_T0_E_clISt17integral_constantIbLb0EES1P_IbLb1EEEEDaS1L_S1M_EUlS1L_E_NS1_11comp_targetILNS1_3genE0ELNS1_11target_archE4294967295ELNS1_3gpuE0ELNS1_3repE0EEENS1_30default_config_static_selectorELNS0_4arch9wavefront6targetE1EEEvSZ_
; %bb.0:
	.section	.rodata,"a",@progbits
	.p2align	6, 0x0
	.amdhsa_kernel _ZN7rocprim17ROCPRIM_400000_NS6detail17trampoline_kernelINS0_13select_configILj256ELj13ELNS0_17block_load_methodE3ELS4_3ELS4_3ELNS0_20block_scan_algorithmE0ELj4294967295EEENS1_25partition_config_selectorILNS1_17partition_subalgoE3EjNS0_10empty_typeEbEEZZNS1_14partition_implILS8_3ELb0ES6_jNS0_17counting_iteratorIjlEEPS9_SE_NS0_5tupleIJPjSE_EEENSF_IJSE_SE_EEES9_SG_JZNS1_25segmented_radix_sort_implINS0_14default_configELb0EPK6__halfPSL_PKlPlN2at6native12_GLOBAL__N_18offset_tEEE10hipError_tPvRmT1_PNSt15iterator_traitsISZ_E10value_typeET2_T3_PNS10_IS15_E10value_typeET4_jRbjT5_S1B_jjP12ihipStream_tbEUljE_EEESW_SX_SY_S15_S19_S1B_T6_T7_T9_mT8_S1D_bDpT10_ENKUlT_T0_E_clISt17integral_constantIbLb0EES1P_IbLb1EEEEDaS1L_S1M_EUlS1L_E_NS1_11comp_targetILNS1_3genE0ELNS1_11target_archE4294967295ELNS1_3gpuE0ELNS1_3repE0EEENS1_30default_config_static_selectorELNS0_4arch9wavefront6targetE1EEEvSZ_
		.amdhsa_group_segment_fixed_size 0
		.amdhsa_private_segment_fixed_size 0
		.amdhsa_kernarg_size 152
		.amdhsa_user_sgpr_count 6
		.amdhsa_user_sgpr_private_segment_buffer 1
		.amdhsa_user_sgpr_dispatch_ptr 0
		.amdhsa_user_sgpr_queue_ptr 0
		.amdhsa_user_sgpr_kernarg_segment_ptr 1
		.amdhsa_user_sgpr_dispatch_id 0
		.amdhsa_user_sgpr_flat_scratch_init 0
		.amdhsa_user_sgpr_private_segment_size 0
		.amdhsa_uses_dynamic_stack 0
		.amdhsa_system_sgpr_private_segment_wavefront_offset 0
		.amdhsa_system_sgpr_workgroup_id_x 1
		.amdhsa_system_sgpr_workgroup_id_y 0
		.amdhsa_system_sgpr_workgroup_id_z 0
		.amdhsa_system_sgpr_workgroup_info 0
		.amdhsa_system_vgpr_workitem_id 0
		.amdhsa_next_free_vgpr 1
		.amdhsa_next_free_sgpr 0
		.amdhsa_reserve_vcc 0
		.amdhsa_reserve_flat_scratch 0
		.amdhsa_float_round_mode_32 0
		.amdhsa_float_round_mode_16_64 0
		.amdhsa_float_denorm_mode_32 3
		.amdhsa_float_denorm_mode_16_64 3
		.amdhsa_dx10_clamp 1
		.amdhsa_ieee_mode 1
		.amdhsa_fp16_overflow 0
		.amdhsa_exception_fp_ieee_invalid_op 0
		.amdhsa_exception_fp_denorm_src 0
		.amdhsa_exception_fp_ieee_div_zero 0
		.amdhsa_exception_fp_ieee_overflow 0
		.amdhsa_exception_fp_ieee_underflow 0
		.amdhsa_exception_fp_ieee_inexact 0
		.amdhsa_exception_int_div_zero 0
	.end_amdhsa_kernel
	.section	.text._ZN7rocprim17ROCPRIM_400000_NS6detail17trampoline_kernelINS0_13select_configILj256ELj13ELNS0_17block_load_methodE3ELS4_3ELS4_3ELNS0_20block_scan_algorithmE0ELj4294967295EEENS1_25partition_config_selectorILNS1_17partition_subalgoE3EjNS0_10empty_typeEbEEZZNS1_14partition_implILS8_3ELb0ES6_jNS0_17counting_iteratorIjlEEPS9_SE_NS0_5tupleIJPjSE_EEENSF_IJSE_SE_EEES9_SG_JZNS1_25segmented_radix_sort_implINS0_14default_configELb0EPK6__halfPSL_PKlPlN2at6native12_GLOBAL__N_18offset_tEEE10hipError_tPvRmT1_PNSt15iterator_traitsISZ_E10value_typeET2_T3_PNS10_IS15_E10value_typeET4_jRbjT5_S1B_jjP12ihipStream_tbEUljE_EEESW_SX_SY_S15_S19_S1B_T6_T7_T9_mT8_S1D_bDpT10_ENKUlT_T0_E_clISt17integral_constantIbLb0EES1P_IbLb1EEEEDaS1L_S1M_EUlS1L_E_NS1_11comp_targetILNS1_3genE0ELNS1_11target_archE4294967295ELNS1_3gpuE0ELNS1_3repE0EEENS1_30default_config_static_selectorELNS0_4arch9wavefront6targetE1EEEvSZ_,"axG",@progbits,_ZN7rocprim17ROCPRIM_400000_NS6detail17trampoline_kernelINS0_13select_configILj256ELj13ELNS0_17block_load_methodE3ELS4_3ELS4_3ELNS0_20block_scan_algorithmE0ELj4294967295EEENS1_25partition_config_selectorILNS1_17partition_subalgoE3EjNS0_10empty_typeEbEEZZNS1_14partition_implILS8_3ELb0ES6_jNS0_17counting_iteratorIjlEEPS9_SE_NS0_5tupleIJPjSE_EEENSF_IJSE_SE_EEES9_SG_JZNS1_25segmented_radix_sort_implINS0_14default_configELb0EPK6__halfPSL_PKlPlN2at6native12_GLOBAL__N_18offset_tEEE10hipError_tPvRmT1_PNSt15iterator_traitsISZ_E10value_typeET2_T3_PNS10_IS15_E10value_typeET4_jRbjT5_S1B_jjP12ihipStream_tbEUljE_EEESW_SX_SY_S15_S19_S1B_T6_T7_T9_mT8_S1D_bDpT10_ENKUlT_T0_E_clISt17integral_constantIbLb0EES1P_IbLb1EEEEDaS1L_S1M_EUlS1L_E_NS1_11comp_targetILNS1_3genE0ELNS1_11target_archE4294967295ELNS1_3gpuE0ELNS1_3repE0EEENS1_30default_config_static_selectorELNS0_4arch9wavefront6targetE1EEEvSZ_,comdat
.Lfunc_end1834:
	.size	_ZN7rocprim17ROCPRIM_400000_NS6detail17trampoline_kernelINS0_13select_configILj256ELj13ELNS0_17block_load_methodE3ELS4_3ELS4_3ELNS0_20block_scan_algorithmE0ELj4294967295EEENS1_25partition_config_selectorILNS1_17partition_subalgoE3EjNS0_10empty_typeEbEEZZNS1_14partition_implILS8_3ELb0ES6_jNS0_17counting_iteratorIjlEEPS9_SE_NS0_5tupleIJPjSE_EEENSF_IJSE_SE_EEES9_SG_JZNS1_25segmented_radix_sort_implINS0_14default_configELb0EPK6__halfPSL_PKlPlN2at6native12_GLOBAL__N_18offset_tEEE10hipError_tPvRmT1_PNSt15iterator_traitsISZ_E10value_typeET2_T3_PNS10_IS15_E10value_typeET4_jRbjT5_S1B_jjP12ihipStream_tbEUljE_EEESW_SX_SY_S15_S19_S1B_T6_T7_T9_mT8_S1D_bDpT10_ENKUlT_T0_E_clISt17integral_constantIbLb0EES1P_IbLb1EEEEDaS1L_S1M_EUlS1L_E_NS1_11comp_targetILNS1_3genE0ELNS1_11target_archE4294967295ELNS1_3gpuE0ELNS1_3repE0EEENS1_30default_config_static_selectorELNS0_4arch9wavefront6targetE1EEEvSZ_, .Lfunc_end1834-_ZN7rocprim17ROCPRIM_400000_NS6detail17trampoline_kernelINS0_13select_configILj256ELj13ELNS0_17block_load_methodE3ELS4_3ELS4_3ELNS0_20block_scan_algorithmE0ELj4294967295EEENS1_25partition_config_selectorILNS1_17partition_subalgoE3EjNS0_10empty_typeEbEEZZNS1_14partition_implILS8_3ELb0ES6_jNS0_17counting_iteratorIjlEEPS9_SE_NS0_5tupleIJPjSE_EEENSF_IJSE_SE_EEES9_SG_JZNS1_25segmented_radix_sort_implINS0_14default_configELb0EPK6__halfPSL_PKlPlN2at6native12_GLOBAL__N_18offset_tEEE10hipError_tPvRmT1_PNSt15iterator_traitsISZ_E10value_typeET2_T3_PNS10_IS15_E10value_typeET4_jRbjT5_S1B_jjP12ihipStream_tbEUljE_EEESW_SX_SY_S15_S19_S1B_T6_T7_T9_mT8_S1D_bDpT10_ENKUlT_T0_E_clISt17integral_constantIbLb0EES1P_IbLb1EEEEDaS1L_S1M_EUlS1L_E_NS1_11comp_targetILNS1_3genE0ELNS1_11target_archE4294967295ELNS1_3gpuE0ELNS1_3repE0EEENS1_30default_config_static_selectorELNS0_4arch9wavefront6targetE1EEEvSZ_
                                        ; -- End function
	.set _ZN7rocprim17ROCPRIM_400000_NS6detail17trampoline_kernelINS0_13select_configILj256ELj13ELNS0_17block_load_methodE3ELS4_3ELS4_3ELNS0_20block_scan_algorithmE0ELj4294967295EEENS1_25partition_config_selectorILNS1_17partition_subalgoE3EjNS0_10empty_typeEbEEZZNS1_14partition_implILS8_3ELb0ES6_jNS0_17counting_iteratorIjlEEPS9_SE_NS0_5tupleIJPjSE_EEENSF_IJSE_SE_EEES9_SG_JZNS1_25segmented_radix_sort_implINS0_14default_configELb0EPK6__halfPSL_PKlPlN2at6native12_GLOBAL__N_18offset_tEEE10hipError_tPvRmT1_PNSt15iterator_traitsISZ_E10value_typeET2_T3_PNS10_IS15_E10value_typeET4_jRbjT5_S1B_jjP12ihipStream_tbEUljE_EEESW_SX_SY_S15_S19_S1B_T6_T7_T9_mT8_S1D_bDpT10_ENKUlT_T0_E_clISt17integral_constantIbLb0EES1P_IbLb1EEEEDaS1L_S1M_EUlS1L_E_NS1_11comp_targetILNS1_3genE0ELNS1_11target_archE4294967295ELNS1_3gpuE0ELNS1_3repE0EEENS1_30default_config_static_selectorELNS0_4arch9wavefront6targetE1EEEvSZ_.num_vgpr, 0
	.set _ZN7rocprim17ROCPRIM_400000_NS6detail17trampoline_kernelINS0_13select_configILj256ELj13ELNS0_17block_load_methodE3ELS4_3ELS4_3ELNS0_20block_scan_algorithmE0ELj4294967295EEENS1_25partition_config_selectorILNS1_17partition_subalgoE3EjNS0_10empty_typeEbEEZZNS1_14partition_implILS8_3ELb0ES6_jNS0_17counting_iteratorIjlEEPS9_SE_NS0_5tupleIJPjSE_EEENSF_IJSE_SE_EEES9_SG_JZNS1_25segmented_radix_sort_implINS0_14default_configELb0EPK6__halfPSL_PKlPlN2at6native12_GLOBAL__N_18offset_tEEE10hipError_tPvRmT1_PNSt15iterator_traitsISZ_E10value_typeET2_T3_PNS10_IS15_E10value_typeET4_jRbjT5_S1B_jjP12ihipStream_tbEUljE_EEESW_SX_SY_S15_S19_S1B_T6_T7_T9_mT8_S1D_bDpT10_ENKUlT_T0_E_clISt17integral_constantIbLb0EES1P_IbLb1EEEEDaS1L_S1M_EUlS1L_E_NS1_11comp_targetILNS1_3genE0ELNS1_11target_archE4294967295ELNS1_3gpuE0ELNS1_3repE0EEENS1_30default_config_static_selectorELNS0_4arch9wavefront6targetE1EEEvSZ_.num_agpr, 0
	.set _ZN7rocprim17ROCPRIM_400000_NS6detail17trampoline_kernelINS0_13select_configILj256ELj13ELNS0_17block_load_methodE3ELS4_3ELS4_3ELNS0_20block_scan_algorithmE0ELj4294967295EEENS1_25partition_config_selectorILNS1_17partition_subalgoE3EjNS0_10empty_typeEbEEZZNS1_14partition_implILS8_3ELb0ES6_jNS0_17counting_iteratorIjlEEPS9_SE_NS0_5tupleIJPjSE_EEENSF_IJSE_SE_EEES9_SG_JZNS1_25segmented_radix_sort_implINS0_14default_configELb0EPK6__halfPSL_PKlPlN2at6native12_GLOBAL__N_18offset_tEEE10hipError_tPvRmT1_PNSt15iterator_traitsISZ_E10value_typeET2_T3_PNS10_IS15_E10value_typeET4_jRbjT5_S1B_jjP12ihipStream_tbEUljE_EEESW_SX_SY_S15_S19_S1B_T6_T7_T9_mT8_S1D_bDpT10_ENKUlT_T0_E_clISt17integral_constantIbLb0EES1P_IbLb1EEEEDaS1L_S1M_EUlS1L_E_NS1_11comp_targetILNS1_3genE0ELNS1_11target_archE4294967295ELNS1_3gpuE0ELNS1_3repE0EEENS1_30default_config_static_selectorELNS0_4arch9wavefront6targetE1EEEvSZ_.numbered_sgpr, 0
	.set _ZN7rocprim17ROCPRIM_400000_NS6detail17trampoline_kernelINS0_13select_configILj256ELj13ELNS0_17block_load_methodE3ELS4_3ELS4_3ELNS0_20block_scan_algorithmE0ELj4294967295EEENS1_25partition_config_selectorILNS1_17partition_subalgoE3EjNS0_10empty_typeEbEEZZNS1_14partition_implILS8_3ELb0ES6_jNS0_17counting_iteratorIjlEEPS9_SE_NS0_5tupleIJPjSE_EEENSF_IJSE_SE_EEES9_SG_JZNS1_25segmented_radix_sort_implINS0_14default_configELb0EPK6__halfPSL_PKlPlN2at6native12_GLOBAL__N_18offset_tEEE10hipError_tPvRmT1_PNSt15iterator_traitsISZ_E10value_typeET2_T3_PNS10_IS15_E10value_typeET4_jRbjT5_S1B_jjP12ihipStream_tbEUljE_EEESW_SX_SY_S15_S19_S1B_T6_T7_T9_mT8_S1D_bDpT10_ENKUlT_T0_E_clISt17integral_constantIbLb0EES1P_IbLb1EEEEDaS1L_S1M_EUlS1L_E_NS1_11comp_targetILNS1_3genE0ELNS1_11target_archE4294967295ELNS1_3gpuE0ELNS1_3repE0EEENS1_30default_config_static_selectorELNS0_4arch9wavefront6targetE1EEEvSZ_.num_named_barrier, 0
	.set _ZN7rocprim17ROCPRIM_400000_NS6detail17trampoline_kernelINS0_13select_configILj256ELj13ELNS0_17block_load_methodE3ELS4_3ELS4_3ELNS0_20block_scan_algorithmE0ELj4294967295EEENS1_25partition_config_selectorILNS1_17partition_subalgoE3EjNS0_10empty_typeEbEEZZNS1_14partition_implILS8_3ELb0ES6_jNS0_17counting_iteratorIjlEEPS9_SE_NS0_5tupleIJPjSE_EEENSF_IJSE_SE_EEES9_SG_JZNS1_25segmented_radix_sort_implINS0_14default_configELb0EPK6__halfPSL_PKlPlN2at6native12_GLOBAL__N_18offset_tEEE10hipError_tPvRmT1_PNSt15iterator_traitsISZ_E10value_typeET2_T3_PNS10_IS15_E10value_typeET4_jRbjT5_S1B_jjP12ihipStream_tbEUljE_EEESW_SX_SY_S15_S19_S1B_T6_T7_T9_mT8_S1D_bDpT10_ENKUlT_T0_E_clISt17integral_constantIbLb0EES1P_IbLb1EEEEDaS1L_S1M_EUlS1L_E_NS1_11comp_targetILNS1_3genE0ELNS1_11target_archE4294967295ELNS1_3gpuE0ELNS1_3repE0EEENS1_30default_config_static_selectorELNS0_4arch9wavefront6targetE1EEEvSZ_.private_seg_size, 0
	.set _ZN7rocprim17ROCPRIM_400000_NS6detail17trampoline_kernelINS0_13select_configILj256ELj13ELNS0_17block_load_methodE3ELS4_3ELS4_3ELNS0_20block_scan_algorithmE0ELj4294967295EEENS1_25partition_config_selectorILNS1_17partition_subalgoE3EjNS0_10empty_typeEbEEZZNS1_14partition_implILS8_3ELb0ES6_jNS0_17counting_iteratorIjlEEPS9_SE_NS0_5tupleIJPjSE_EEENSF_IJSE_SE_EEES9_SG_JZNS1_25segmented_radix_sort_implINS0_14default_configELb0EPK6__halfPSL_PKlPlN2at6native12_GLOBAL__N_18offset_tEEE10hipError_tPvRmT1_PNSt15iterator_traitsISZ_E10value_typeET2_T3_PNS10_IS15_E10value_typeET4_jRbjT5_S1B_jjP12ihipStream_tbEUljE_EEESW_SX_SY_S15_S19_S1B_T6_T7_T9_mT8_S1D_bDpT10_ENKUlT_T0_E_clISt17integral_constantIbLb0EES1P_IbLb1EEEEDaS1L_S1M_EUlS1L_E_NS1_11comp_targetILNS1_3genE0ELNS1_11target_archE4294967295ELNS1_3gpuE0ELNS1_3repE0EEENS1_30default_config_static_selectorELNS0_4arch9wavefront6targetE1EEEvSZ_.uses_vcc, 0
	.set _ZN7rocprim17ROCPRIM_400000_NS6detail17trampoline_kernelINS0_13select_configILj256ELj13ELNS0_17block_load_methodE3ELS4_3ELS4_3ELNS0_20block_scan_algorithmE0ELj4294967295EEENS1_25partition_config_selectorILNS1_17partition_subalgoE3EjNS0_10empty_typeEbEEZZNS1_14partition_implILS8_3ELb0ES6_jNS0_17counting_iteratorIjlEEPS9_SE_NS0_5tupleIJPjSE_EEENSF_IJSE_SE_EEES9_SG_JZNS1_25segmented_radix_sort_implINS0_14default_configELb0EPK6__halfPSL_PKlPlN2at6native12_GLOBAL__N_18offset_tEEE10hipError_tPvRmT1_PNSt15iterator_traitsISZ_E10value_typeET2_T3_PNS10_IS15_E10value_typeET4_jRbjT5_S1B_jjP12ihipStream_tbEUljE_EEESW_SX_SY_S15_S19_S1B_T6_T7_T9_mT8_S1D_bDpT10_ENKUlT_T0_E_clISt17integral_constantIbLb0EES1P_IbLb1EEEEDaS1L_S1M_EUlS1L_E_NS1_11comp_targetILNS1_3genE0ELNS1_11target_archE4294967295ELNS1_3gpuE0ELNS1_3repE0EEENS1_30default_config_static_selectorELNS0_4arch9wavefront6targetE1EEEvSZ_.uses_flat_scratch, 0
	.set _ZN7rocprim17ROCPRIM_400000_NS6detail17trampoline_kernelINS0_13select_configILj256ELj13ELNS0_17block_load_methodE3ELS4_3ELS4_3ELNS0_20block_scan_algorithmE0ELj4294967295EEENS1_25partition_config_selectorILNS1_17partition_subalgoE3EjNS0_10empty_typeEbEEZZNS1_14partition_implILS8_3ELb0ES6_jNS0_17counting_iteratorIjlEEPS9_SE_NS0_5tupleIJPjSE_EEENSF_IJSE_SE_EEES9_SG_JZNS1_25segmented_radix_sort_implINS0_14default_configELb0EPK6__halfPSL_PKlPlN2at6native12_GLOBAL__N_18offset_tEEE10hipError_tPvRmT1_PNSt15iterator_traitsISZ_E10value_typeET2_T3_PNS10_IS15_E10value_typeET4_jRbjT5_S1B_jjP12ihipStream_tbEUljE_EEESW_SX_SY_S15_S19_S1B_T6_T7_T9_mT8_S1D_bDpT10_ENKUlT_T0_E_clISt17integral_constantIbLb0EES1P_IbLb1EEEEDaS1L_S1M_EUlS1L_E_NS1_11comp_targetILNS1_3genE0ELNS1_11target_archE4294967295ELNS1_3gpuE0ELNS1_3repE0EEENS1_30default_config_static_selectorELNS0_4arch9wavefront6targetE1EEEvSZ_.has_dyn_sized_stack, 0
	.set _ZN7rocprim17ROCPRIM_400000_NS6detail17trampoline_kernelINS0_13select_configILj256ELj13ELNS0_17block_load_methodE3ELS4_3ELS4_3ELNS0_20block_scan_algorithmE0ELj4294967295EEENS1_25partition_config_selectorILNS1_17partition_subalgoE3EjNS0_10empty_typeEbEEZZNS1_14partition_implILS8_3ELb0ES6_jNS0_17counting_iteratorIjlEEPS9_SE_NS0_5tupleIJPjSE_EEENSF_IJSE_SE_EEES9_SG_JZNS1_25segmented_radix_sort_implINS0_14default_configELb0EPK6__halfPSL_PKlPlN2at6native12_GLOBAL__N_18offset_tEEE10hipError_tPvRmT1_PNSt15iterator_traitsISZ_E10value_typeET2_T3_PNS10_IS15_E10value_typeET4_jRbjT5_S1B_jjP12ihipStream_tbEUljE_EEESW_SX_SY_S15_S19_S1B_T6_T7_T9_mT8_S1D_bDpT10_ENKUlT_T0_E_clISt17integral_constantIbLb0EES1P_IbLb1EEEEDaS1L_S1M_EUlS1L_E_NS1_11comp_targetILNS1_3genE0ELNS1_11target_archE4294967295ELNS1_3gpuE0ELNS1_3repE0EEENS1_30default_config_static_selectorELNS0_4arch9wavefront6targetE1EEEvSZ_.has_recursion, 0
	.set _ZN7rocprim17ROCPRIM_400000_NS6detail17trampoline_kernelINS0_13select_configILj256ELj13ELNS0_17block_load_methodE3ELS4_3ELS4_3ELNS0_20block_scan_algorithmE0ELj4294967295EEENS1_25partition_config_selectorILNS1_17partition_subalgoE3EjNS0_10empty_typeEbEEZZNS1_14partition_implILS8_3ELb0ES6_jNS0_17counting_iteratorIjlEEPS9_SE_NS0_5tupleIJPjSE_EEENSF_IJSE_SE_EEES9_SG_JZNS1_25segmented_radix_sort_implINS0_14default_configELb0EPK6__halfPSL_PKlPlN2at6native12_GLOBAL__N_18offset_tEEE10hipError_tPvRmT1_PNSt15iterator_traitsISZ_E10value_typeET2_T3_PNS10_IS15_E10value_typeET4_jRbjT5_S1B_jjP12ihipStream_tbEUljE_EEESW_SX_SY_S15_S19_S1B_T6_T7_T9_mT8_S1D_bDpT10_ENKUlT_T0_E_clISt17integral_constantIbLb0EES1P_IbLb1EEEEDaS1L_S1M_EUlS1L_E_NS1_11comp_targetILNS1_3genE0ELNS1_11target_archE4294967295ELNS1_3gpuE0ELNS1_3repE0EEENS1_30default_config_static_selectorELNS0_4arch9wavefront6targetE1EEEvSZ_.has_indirect_call, 0
	.section	.AMDGPU.csdata,"",@progbits
; Kernel info:
; codeLenInByte = 0
; TotalNumSgprs: 4
; NumVgprs: 0
; ScratchSize: 0
; MemoryBound: 0
; FloatMode: 240
; IeeeMode: 1
; LDSByteSize: 0 bytes/workgroup (compile time only)
; SGPRBlocks: 0
; VGPRBlocks: 0
; NumSGPRsForWavesPerEU: 4
; NumVGPRsForWavesPerEU: 1
; Occupancy: 10
; WaveLimiterHint : 0
; COMPUTE_PGM_RSRC2:SCRATCH_EN: 0
; COMPUTE_PGM_RSRC2:USER_SGPR: 6
; COMPUTE_PGM_RSRC2:TRAP_HANDLER: 0
; COMPUTE_PGM_RSRC2:TGID_X_EN: 1
; COMPUTE_PGM_RSRC2:TGID_Y_EN: 0
; COMPUTE_PGM_RSRC2:TGID_Z_EN: 0
; COMPUTE_PGM_RSRC2:TIDIG_COMP_CNT: 0
	.section	.text._ZN7rocprim17ROCPRIM_400000_NS6detail17trampoline_kernelINS0_13select_configILj256ELj13ELNS0_17block_load_methodE3ELS4_3ELS4_3ELNS0_20block_scan_algorithmE0ELj4294967295EEENS1_25partition_config_selectorILNS1_17partition_subalgoE3EjNS0_10empty_typeEbEEZZNS1_14partition_implILS8_3ELb0ES6_jNS0_17counting_iteratorIjlEEPS9_SE_NS0_5tupleIJPjSE_EEENSF_IJSE_SE_EEES9_SG_JZNS1_25segmented_radix_sort_implINS0_14default_configELb0EPK6__halfPSL_PKlPlN2at6native12_GLOBAL__N_18offset_tEEE10hipError_tPvRmT1_PNSt15iterator_traitsISZ_E10value_typeET2_T3_PNS10_IS15_E10value_typeET4_jRbjT5_S1B_jjP12ihipStream_tbEUljE_EEESW_SX_SY_S15_S19_S1B_T6_T7_T9_mT8_S1D_bDpT10_ENKUlT_T0_E_clISt17integral_constantIbLb0EES1P_IbLb1EEEEDaS1L_S1M_EUlS1L_E_NS1_11comp_targetILNS1_3genE5ELNS1_11target_archE942ELNS1_3gpuE9ELNS1_3repE0EEENS1_30default_config_static_selectorELNS0_4arch9wavefront6targetE1EEEvSZ_,"axG",@progbits,_ZN7rocprim17ROCPRIM_400000_NS6detail17trampoline_kernelINS0_13select_configILj256ELj13ELNS0_17block_load_methodE3ELS4_3ELS4_3ELNS0_20block_scan_algorithmE0ELj4294967295EEENS1_25partition_config_selectorILNS1_17partition_subalgoE3EjNS0_10empty_typeEbEEZZNS1_14partition_implILS8_3ELb0ES6_jNS0_17counting_iteratorIjlEEPS9_SE_NS0_5tupleIJPjSE_EEENSF_IJSE_SE_EEES9_SG_JZNS1_25segmented_radix_sort_implINS0_14default_configELb0EPK6__halfPSL_PKlPlN2at6native12_GLOBAL__N_18offset_tEEE10hipError_tPvRmT1_PNSt15iterator_traitsISZ_E10value_typeET2_T3_PNS10_IS15_E10value_typeET4_jRbjT5_S1B_jjP12ihipStream_tbEUljE_EEESW_SX_SY_S15_S19_S1B_T6_T7_T9_mT8_S1D_bDpT10_ENKUlT_T0_E_clISt17integral_constantIbLb0EES1P_IbLb1EEEEDaS1L_S1M_EUlS1L_E_NS1_11comp_targetILNS1_3genE5ELNS1_11target_archE942ELNS1_3gpuE9ELNS1_3repE0EEENS1_30default_config_static_selectorELNS0_4arch9wavefront6targetE1EEEvSZ_,comdat
	.globl	_ZN7rocprim17ROCPRIM_400000_NS6detail17trampoline_kernelINS0_13select_configILj256ELj13ELNS0_17block_load_methodE3ELS4_3ELS4_3ELNS0_20block_scan_algorithmE0ELj4294967295EEENS1_25partition_config_selectorILNS1_17partition_subalgoE3EjNS0_10empty_typeEbEEZZNS1_14partition_implILS8_3ELb0ES6_jNS0_17counting_iteratorIjlEEPS9_SE_NS0_5tupleIJPjSE_EEENSF_IJSE_SE_EEES9_SG_JZNS1_25segmented_radix_sort_implINS0_14default_configELb0EPK6__halfPSL_PKlPlN2at6native12_GLOBAL__N_18offset_tEEE10hipError_tPvRmT1_PNSt15iterator_traitsISZ_E10value_typeET2_T3_PNS10_IS15_E10value_typeET4_jRbjT5_S1B_jjP12ihipStream_tbEUljE_EEESW_SX_SY_S15_S19_S1B_T6_T7_T9_mT8_S1D_bDpT10_ENKUlT_T0_E_clISt17integral_constantIbLb0EES1P_IbLb1EEEEDaS1L_S1M_EUlS1L_E_NS1_11comp_targetILNS1_3genE5ELNS1_11target_archE942ELNS1_3gpuE9ELNS1_3repE0EEENS1_30default_config_static_selectorELNS0_4arch9wavefront6targetE1EEEvSZ_ ; -- Begin function _ZN7rocprim17ROCPRIM_400000_NS6detail17trampoline_kernelINS0_13select_configILj256ELj13ELNS0_17block_load_methodE3ELS4_3ELS4_3ELNS0_20block_scan_algorithmE0ELj4294967295EEENS1_25partition_config_selectorILNS1_17partition_subalgoE3EjNS0_10empty_typeEbEEZZNS1_14partition_implILS8_3ELb0ES6_jNS0_17counting_iteratorIjlEEPS9_SE_NS0_5tupleIJPjSE_EEENSF_IJSE_SE_EEES9_SG_JZNS1_25segmented_radix_sort_implINS0_14default_configELb0EPK6__halfPSL_PKlPlN2at6native12_GLOBAL__N_18offset_tEEE10hipError_tPvRmT1_PNSt15iterator_traitsISZ_E10value_typeET2_T3_PNS10_IS15_E10value_typeET4_jRbjT5_S1B_jjP12ihipStream_tbEUljE_EEESW_SX_SY_S15_S19_S1B_T6_T7_T9_mT8_S1D_bDpT10_ENKUlT_T0_E_clISt17integral_constantIbLb0EES1P_IbLb1EEEEDaS1L_S1M_EUlS1L_E_NS1_11comp_targetILNS1_3genE5ELNS1_11target_archE942ELNS1_3gpuE9ELNS1_3repE0EEENS1_30default_config_static_selectorELNS0_4arch9wavefront6targetE1EEEvSZ_
	.p2align	8
	.type	_ZN7rocprim17ROCPRIM_400000_NS6detail17trampoline_kernelINS0_13select_configILj256ELj13ELNS0_17block_load_methodE3ELS4_3ELS4_3ELNS0_20block_scan_algorithmE0ELj4294967295EEENS1_25partition_config_selectorILNS1_17partition_subalgoE3EjNS0_10empty_typeEbEEZZNS1_14partition_implILS8_3ELb0ES6_jNS0_17counting_iteratorIjlEEPS9_SE_NS0_5tupleIJPjSE_EEENSF_IJSE_SE_EEES9_SG_JZNS1_25segmented_radix_sort_implINS0_14default_configELb0EPK6__halfPSL_PKlPlN2at6native12_GLOBAL__N_18offset_tEEE10hipError_tPvRmT1_PNSt15iterator_traitsISZ_E10value_typeET2_T3_PNS10_IS15_E10value_typeET4_jRbjT5_S1B_jjP12ihipStream_tbEUljE_EEESW_SX_SY_S15_S19_S1B_T6_T7_T9_mT8_S1D_bDpT10_ENKUlT_T0_E_clISt17integral_constantIbLb0EES1P_IbLb1EEEEDaS1L_S1M_EUlS1L_E_NS1_11comp_targetILNS1_3genE5ELNS1_11target_archE942ELNS1_3gpuE9ELNS1_3repE0EEENS1_30default_config_static_selectorELNS0_4arch9wavefront6targetE1EEEvSZ_,@function
_ZN7rocprim17ROCPRIM_400000_NS6detail17trampoline_kernelINS0_13select_configILj256ELj13ELNS0_17block_load_methodE3ELS4_3ELS4_3ELNS0_20block_scan_algorithmE0ELj4294967295EEENS1_25partition_config_selectorILNS1_17partition_subalgoE3EjNS0_10empty_typeEbEEZZNS1_14partition_implILS8_3ELb0ES6_jNS0_17counting_iteratorIjlEEPS9_SE_NS0_5tupleIJPjSE_EEENSF_IJSE_SE_EEES9_SG_JZNS1_25segmented_radix_sort_implINS0_14default_configELb0EPK6__halfPSL_PKlPlN2at6native12_GLOBAL__N_18offset_tEEE10hipError_tPvRmT1_PNSt15iterator_traitsISZ_E10value_typeET2_T3_PNS10_IS15_E10value_typeET4_jRbjT5_S1B_jjP12ihipStream_tbEUljE_EEESW_SX_SY_S15_S19_S1B_T6_T7_T9_mT8_S1D_bDpT10_ENKUlT_T0_E_clISt17integral_constantIbLb0EES1P_IbLb1EEEEDaS1L_S1M_EUlS1L_E_NS1_11comp_targetILNS1_3genE5ELNS1_11target_archE942ELNS1_3gpuE9ELNS1_3repE0EEENS1_30default_config_static_selectorELNS0_4arch9wavefront6targetE1EEEvSZ_: ; @_ZN7rocprim17ROCPRIM_400000_NS6detail17trampoline_kernelINS0_13select_configILj256ELj13ELNS0_17block_load_methodE3ELS4_3ELS4_3ELNS0_20block_scan_algorithmE0ELj4294967295EEENS1_25partition_config_selectorILNS1_17partition_subalgoE3EjNS0_10empty_typeEbEEZZNS1_14partition_implILS8_3ELb0ES6_jNS0_17counting_iteratorIjlEEPS9_SE_NS0_5tupleIJPjSE_EEENSF_IJSE_SE_EEES9_SG_JZNS1_25segmented_radix_sort_implINS0_14default_configELb0EPK6__halfPSL_PKlPlN2at6native12_GLOBAL__N_18offset_tEEE10hipError_tPvRmT1_PNSt15iterator_traitsISZ_E10value_typeET2_T3_PNS10_IS15_E10value_typeET4_jRbjT5_S1B_jjP12ihipStream_tbEUljE_EEESW_SX_SY_S15_S19_S1B_T6_T7_T9_mT8_S1D_bDpT10_ENKUlT_T0_E_clISt17integral_constantIbLb0EES1P_IbLb1EEEEDaS1L_S1M_EUlS1L_E_NS1_11comp_targetILNS1_3genE5ELNS1_11target_archE942ELNS1_3gpuE9ELNS1_3repE0EEENS1_30default_config_static_selectorELNS0_4arch9wavefront6targetE1EEEvSZ_
; %bb.0:
	.section	.rodata,"a",@progbits
	.p2align	6, 0x0
	.amdhsa_kernel _ZN7rocprim17ROCPRIM_400000_NS6detail17trampoline_kernelINS0_13select_configILj256ELj13ELNS0_17block_load_methodE3ELS4_3ELS4_3ELNS0_20block_scan_algorithmE0ELj4294967295EEENS1_25partition_config_selectorILNS1_17partition_subalgoE3EjNS0_10empty_typeEbEEZZNS1_14partition_implILS8_3ELb0ES6_jNS0_17counting_iteratorIjlEEPS9_SE_NS0_5tupleIJPjSE_EEENSF_IJSE_SE_EEES9_SG_JZNS1_25segmented_radix_sort_implINS0_14default_configELb0EPK6__halfPSL_PKlPlN2at6native12_GLOBAL__N_18offset_tEEE10hipError_tPvRmT1_PNSt15iterator_traitsISZ_E10value_typeET2_T3_PNS10_IS15_E10value_typeET4_jRbjT5_S1B_jjP12ihipStream_tbEUljE_EEESW_SX_SY_S15_S19_S1B_T6_T7_T9_mT8_S1D_bDpT10_ENKUlT_T0_E_clISt17integral_constantIbLb0EES1P_IbLb1EEEEDaS1L_S1M_EUlS1L_E_NS1_11comp_targetILNS1_3genE5ELNS1_11target_archE942ELNS1_3gpuE9ELNS1_3repE0EEENS1_30default_config_static_selectorELNS0_4arch9wavefront6targetE1EEEvSZ_
		.amdhsa_group_segment_fixed_size 0
		.amdhsa_private_segment_fixed_size 0
		.amdhsa_kernarg_size 152
		.amdhsa_user_sgpr_count 6
		.amdhsa_user_sgpr_private_segment_buffer 1
		.amdhsa_user_sgpr_dispatch_ptr 0
		.amdhsa_user_sgpr_queue_ptr 0
		.amdhsa_user_sgpr_kernarg_segment_ptr 1
		.amdhsa_user_sgpr_dispatch_id 0
		.amdhsa_user_sgpr_flat_scratch_init 0
		.amdhsa_user_sgpr_private_segment_size 0
		.amdhsa_uses_dynamic_stack 0
		.amdhsa_system_sgpr_private_segment_wavefront_offset 0
		.amdhsa_system_sgpr_workgroup_id_x 1
		.amdhsa_system_sgpr_workgroup_id_y 0
		.amdhsa_system_sgpr_workgroup_id_z 0
		.amdhsa_system_sgpr_workgroup_info 0
		.amdhsa_system_vgpr_workitem_id 0
		.amdhsa_next_free_vgpr 1
		.amdhsa_next_free_sgpr 0
		.amdhsa_reserve_vcc 0
		.amdhsa_reserve_flat_scratch 0
		.amdhsa_float_round_mode_32 0
		.amdhsa_float_round_mode_16_64 0
		.amdhsa_float_denorm_mode_32 3
		.amdhsa_float_denorm_mode_16_64 3
		.amdhsa_dx10_clamp 1
		.amdhsa_ieee_mode 1
		.amdhsa_fp16_overflow 0
		.amdhsa_exception_fp_ieee_invalid_op 0
		.amdhsa_exception_fp_denorm_src 0
		.amdhsa_exception_fp_ieee_div_zero 0
		.amdhsa_exception_fp_ieee_overflow 0
		.amdhsa_exception_fp_ieee_underflow 0
		.amdhsa_exception_fp_ieee_inexact 0
		.amdhsa_exception_int_div_zero 0
	.end_amdhsa_kernel
	.section	.text._ZN7rocprim17ROCPRIM_400000_NS6detail17trampoline_kernelINS0_13select_configILj256ELj13ELNS0_17block_load_methodE3ELS4_3ELS4_3ELNS0_20block_scan_algorithmE0ELj4294967295EEENS1_25partition_config_selectorILNS1_17partition_subalgoE3EjNS0_10empty_typeEbEEZZNS1_14partition_implILS8_3ELb0ES6_jNS0_17counting_iteratorIjlEEPS9_SE_NS0_5tupleIJPjSE_EEENSF_IJSE_SE_EEES9_SG_JZNS1_25segmented_radix_sort_implINS0_14default_configELb0EPK6__halfPSL_PKlPlN2at6native12_GLOBAL__N_18offset_tEEE10hipError_tPvRmT1_PNSt15iterator_traitsISZ_E10value_typeET2_T3_PNS10_IS15_E10value_typeET4_jRbjT5_S1B_jjP12ihipStream_tbEUljE_EEESW_SX_SY_S15_S19_S1B_T6_T7_T9_mT8_S1D_bDpT10_ENKUlT_T0_E_clISt17integral_constantIbLb0EES1P_IbLb1EEEEDaS1L_S1M_EUlS1L_E_NS1_11comp_targetILNS1_3genE5ELNS1_11target_archE942ELNS1_3gpuE9ELNS1_3repE0EEENS1_30default_config_static_selectorELNS0_4arch9wavefront6targetE1EEEvSZ_,"axG",@progbits,_ZN7rocprim17ROCPRIM_400000_NS6detail17trampoline_kernelINS0_13select_configILj256ELj13ELNS0_17block_load_methodE3ELS4_3ELS4_3ELNS0_20block_scan_algorithmE0ELj4294967295EEENS1_25partition_config_selectorILNS1_17partition_subalgoE3EjNS0_10empty_typeEbEEZZNS1_14partition_implILS8_3ELb0ES6_jNS0_17counting_iteratorIjlEEPS9_SE_NS0_5tupleIJPjSE_EEENSF_IJSE_SE_EEES9_SG_JZNS1_25segmented_radix_sort_implINS0_14default_configELb0EPK6__halfPSL_PKlPlN2at6native12_GLOBAL__N_18offset_tEEE10hipError_tPvRmT1_PNSt15iterator_traitsISZ_E10value_typeET2_T3_PNS10_IS15_E10value_typeET4_jRbjT5_S1B_jjP12ihipStream_tbEUljE_EEESW_SX_SY_S15_S19_S1B_T6_T7_T9_mT8_S1D_bDpT10_ENKUlT_T0_E_clISt17integral_constantIbLb0EES1P_IbLb1EEEEDaS1L_S1M_EUlS1L_E_NS1_11comp_targetILNS1_3genE5ELNS1_11target_archE942ELNS1_3gpuE9ELNS1_3repE0EEENS1_30default_config_static_selectorELNS0_4arch9wavefront6targetE1EEEvSZ_,comdat
.Lfunc_end1835:
	.size	_ZN7rocprim17ROCPRIM_400000_NS6detail17trampoline_kernelINS0_13select_configILj256ELj13ELNS0_17block_load_methodE3ELS4_3ELS4_3ELNS0_20block_scan_algorithmE0ELj4294967295EEENS1_25partition_config_selectorILNS1_17partition_subalgoE3EjNS0_10empty_typeEbEEZZNS1_14partition_implILS8_3ELb0ES6_jNS0_17counting_iteratorIjlEEPS9_SE_NS0_5tupleIJPjSE_EEENSF_IJSE_SE_EEES9_SG_JZNS1_25segmented_radix_sort_implINS0_14default_configELb0EPK6__halfPSL_PKlPlN2at6native12_GLOBAL__N_18offset_tEEE10hipError_tPvRmT1_PNSt15iterator_traitsISZ_E10value_typeET2_T3_PNS10_IS15_E10value_typeET4_jRbjT5_S1B_jjP12ihipStream_tbEUljE_EEESW_SX_SY_S15_S19_S1B_T6_T7_T9_mT8_S1D_bDpT10_ENKUlT_T0_E_clISt17integral_constantIbLb0EES1P_IbLb1EEEEDaS1L_S1M_EUlS1L_E_NS1_11comp_targetILNS1_3genE5ELNS1_11target_archE942ELNS1_3gpuE9ELNS1_3repE0EEENS1_30default_config_static_selectorELNS0_4arch9wavefront6targetE1EEEvSZ_, .Lfunc_end1835-_ZN7rocprim17ROCPRIM_400000_NS6detail17trampoline_kernelINS0_13select_configILj256ELj13ELNS0_17block_load_methodE3ELS4_3ELS4_3ELNS0_20block_scan_algorithmE0ELj4294967295EEENS1_25partition_config_selectorILNS1_17partition_subalgoE3EjNS0_10empty_typeEbEEZZNS1_14partition_implILS8_3ELb0ES6_jNS0_17counting_iteratorIjlEEPS9_SE_NS0_5tupleIJPjSE_EEENSF_IJSE_SE_EEES9_SG_JZNS1_25segmented_radix_sort_implINS0_14default_configELb0EPK6__halfPSL_PKlPlN2at6native12_GLOBAL__N_18offset_tEEE10hipError_tPvRmT1_PNSt15iterator_traitsISZ_E10value_typeET2_T3_PNS10_IS15_E10value_typeET4_jRbjT5_S1B_jjP12ihipStream_tbEUljE_EEESW_SX_SY_S15_S19_S1B_T6_T7_T9_mT8_S1D_bDpT10_ENKUlT_T0_E_clISt17integral_constantIbLb0EES1P_IbLb1EEEEDaS1L_S1M_EUlS1L_E_NS1_11comp_targetILNS1_3genE5ELNS1_11target_archE942ELNS1_3gpuE9ELNS1_3repE0EEENS1_30default_config_static_selectorELNS0_4arch9wavefront6targetE1EEEvSZ_
                                        ; -- End function
	.set _ZN7rocprim17ROCPRIM_400000_NS6detail17trampoline_kernelINS0_13select_configILj256ELj13ELNS0_17block_load_methodE3ELS4_3ELS4_3ELNS0_20block_scan_algorithmE0ELj4294967295EEENS1_25partition_config_selectorILNS1_17partition_subalgoE3EjNS0_10empty_typeEbEEZZNS1_14partition_implILS8_3ELb0ES6_jNS0_17counting_iteratorIjlEEPS9_SE_NS0_5tupleIJPjSE_EEENSF_IJSE_SE_EEES9_SG_JZNS1_25segmented_radix_sort_implINS0_14default_configELb0EPK6__halfPSL_PKlPlN2at6native12_GLOBAL__N_18offset_tEEE10hipError_tPvRmT1_PNSt15iterator_traitsISZ_E10value_typeET2_T3_PNS10_IS15_E10value_typeET4_jRbjT5_S1B_jjP12ihipStream_tbEUljE_EEESW_SX_SY_S15_S19_S1B_T6_T7_T9_mT8_S1D_bDpT10_ENKUlT_T0_E_clISt17integral_constantIbLb0EES1P_IbLb1EEEEDaS1L_S1M_EUlS1L_E_NS1_11comp_targetILNS1_3genE5ELNS1_11target_archE942ELNS1_3gpuE9ELNS1_3repE0EEENS1_30default_config_static_selectorELNS0_4arch9wavefront6targetE1EEEvSZ_.num_vgpr, 0
	.set _ZN7rocprim17ROCPRIM_400000_NS6detail17trampoline_kernelINS0_13select_configILj256ELj13ELNS0_17block_load_methodE3ELS4_3ELS4_3ELNS0_20block_scan_algorithmE0ELj4294967295EEENS1_25partition_config_selectorILNS1_17partition_subalgoE3EjNS0_10empty_typeEbEEZZNS1_14partition_implILS8_3ELb0ES6_jNS0_17counting_iteratorIjlEEPS9_SE_NS0_5tupleIJPjSE_EEENSF_IJSE_SE_EEES9_SG_JZNS1_25segmented_radix_sort_implINS0_14default_configELb0EPK6__halfPSL_PKlPlN2at6native12_GLOBAL__N_18offset_tEEE10hipError_tPvRmT1_PNSt15iterator_traitsISZ_E10value_typeET2_T3_PNS10_IS15_E10value_typeET4_jRbjT5_S1B_jjP12ihipStream_tbEUljE_EEESW_SX_SY_S15_S19_S1B_T6_T7_T9_mT8_S1D_bDpT10_ENKUlT_T0_E_clISt17integral_constantIbLb0EES1P_IbLb1EEEEDaS1L_S1M_EUlS1L_E_NS1_11comp_targetILNS1_3genE5ELNS1_11target_archE942ELNS1_3gpuE9ELNS1_3repE0EEENS1_30default_config_static_selectorELNS0_4arch9wavefront6targetE1EEEvSZ_.num_agpr, 0
	.set _ZN7rocprim17ROCPRIM_400000_NS6detail17trampoline_kernelINS0_13select_configILj256ELj13ELNS0_17block_load_methodE3ELS4_3ELS4_3ELNS0_20block_scan_algorithmE0ELj4294967295EEENS1_25partition_config_selectorILNS1_17partition_subalgoE3EjNS0_10empty_typeEbEEZZNS1_14partition_implILS8_3ELb0ES6_jNS0_17counting_iteratorIjlEEPS9_SE_NS0_5tupleIJPjSE_EEENSF_IJSE_SE_EEES9_SG_JZNS1_25segmented_radix_sort_implINS0_14default_configELb0EPK6__halfPSL_PKlPlN2at6native12_GLOBAL__N_18offset_tEEE10hipError_tPvRmT1_PNSt15iterator_traitsISZ_E10value_typeET2_T3_PNS10_IS15_E10value_typeET4_jRbjT5_S1B_jjP12ihipStream_tbEUljE_EEESW_SX_SY_S15_S19_S1B_T6_T7_T9_mT8_S1D_bDpT10_ENKUlT_T0_E_clISt17integral_constantIbLb0EES1P_IbLb1EEEEDaS1L_S1M_EUlS1L_E_NS1_11comp_targetILNS1_3genE5ELNS1_11target_archE942ELNS1_3gpuE9ELNS1_3repE0EEENS1_30default_config_static_selectorELNS0_4arch9wavefront6targetE1EEEvSZ_.numbered_sgpr, 0
	.set _ZN7rocprim17ROCPRIM_400000_NS6detail17trampoline_kernelINS0_13select_configILj256ELj13ELNS0_17block_load_methodE3ELS4_3ELS4_3ELNS0_20block_scan_algorithmE0ELj4294967295EEENS1_25partition_config_selectorILNS1_17partition_subalgoE3EjNS0_10empty_typeEbEEZZNS1_14partition_implILS8_3ELb0ES6_jNS0_17counting_iteratorIjlEEPS9_SE_NS0_5tupleIJPjSE_EEENSF_IJSE_SE_EEES9_SG_JZNS1_25segmented_radix_sort_implINS0_14default_configELb0EPK6__halfPSL_PKlPlN2at6native12_GLOBAL__N_18offset_tEEE10hipError_tPvRmT1_PNSt15iterator_traitsISZ_E10value_typeET2_T3_PNS10_IS15_E10value_typeET4_jRbjT5_S1B_jjP12ihipStream_tbEUljE_EEESW_SX_SY_S15_S19_S1B_T6_T7_T9_mT8_S1D_bDpT10_ENKUlT_T0_E_clISt17integral_constantIbLb0EES1P_IbLb1EEEEDaS1L_S1M_EUlS1L_E_NS1_11comp_targetILNS1_3genE5ELNS1_11target_archE942ELNS1_3gpuE9ELNS1_3repE0EEENS1_30default_config_static_selectorELNS0_4arch9wavefront6targetE1EEEvSZ_.num_named_barrier, 0
	.set _ZN7rocprim17ROCPRIM_400000_NS6detail17trampoline_kernelINS0_13select_configILj256ELj13ELNS0_17block_load_methodE3ELS4_3ELS4_3ELNS0_20block_scan_algorithmE0ELj4294967295EEENS1_25partition_config_selectorILNS1_17partition_subalgoE3EjNS0_10empty_typeEbEEZZNS1_14partition_implILS8_3ELb0ES6_jNS0_17counting_iteratorIjlEEPS9_SE_NS0_5tupleIJPjSE_EEENSF_IJSE_SE_EEES9_SG_JZNS1_25segmented_radix_sort_implINS0_14default_configELb0EPK6__halfPSL_PKlPlN2at6native12_GLOBAL__N_18offset_tEEE10hipError_tPvRmT1_PNSt15iterator_traitsISZ_E10value_typeET2_T3_PNS10_IS15_E10value_typeET4_jRbjT5_S1B_jjP12ihipStream_tbEUljE_EEESW_SX_SY_S15_S19_S1B_T6_T7_T9_mT8_S1D_bDpT10_ENKUlT_T0_E_clISt17integral_constantIbLb0EES1P_IbLb1EEEEDaS1L_S1M_EUlS1L_E_NS1_11comp_targetILNS1_3genE5ELNS1_11target_archE942ELNS1_3gpuE9ELNS1_3repE0EEENS1_30default_config_static_selectorELNS0_4arch9wavefront6targetE1EEEvSZ_.private_seg_size, 0
	.set _ZN7rocprim17ROCPRIM_400000_NS6detail17trampoline_kernelINS0_13select_configILj256ELj13ELNS0_17block_load_methodE3ELS4_3ELS4_3ELNS0_20block_scan_algorithmE0ELj4294967295EEENS1_25partition_config_selectorILNS1_17partition_subalgoE3EjNS0_10empty_typeEbEEZZNS1_14partition_implILS8_3ELb0ES6_jNS0_17counting_iteratorIjlEEPS9_SE_NS0_5tupleIJPjSE_EEENSF_IJSE_SE_EEES9_SG_JZNS1_25segmented_radix_sort_implINS0_14default_configELb0EPK6__halfPSL_PKlPlN2at6native12_GLOBAL__N_18offset_tEEE10hipError_tPvRmT1_PNSt15iterator_traitsISZ_E10value_typeET2_T3_PNS10_IS15_E10value_typeET4_jRbjT5_S1B_jjP12ihipStream_tbEUljE_EEESW_SX_SY_S15_S19_S1B_T6_T7_T9_mT8_S1D_bDpT10_ENKUlT_T0_E_clISt17integral_constantIbLb0EES1P_IbLb1EEEEDaS1L_S1M_EUlS1L_E_NS1_11comp_targetILNS1_3genE5ELNS1_11target_archE942ELNS1_3gpuE9ELNS1_3repE0EEENS1_30default_config_static_selectorELNS0_4arch9wavefront6targetE1EEEvSZ_.uses_vcc, 0
	.set _ZN7rocprim17ROCPRIM_400000_NS6detail17trampoline_kernelINS0_13select_configILj256ELj13ELNS0_17block_load_methodE3ELS4_3ELS4_3ELNS0_20block_scan_algorithmE0ELj4294967295EEENS1_25partition_config_selectorILNS1_17partition_subalgoE3EjNS0_10empty_typeEbEEZZNS1_14partition_implILS8_3ELb0ES6_jNS0_17counting_iteratorIjlEEPS9_SE_NS0_5tupleIJPjSE_EEENSF_IJSE_SE_EEES9_SG_JZNS1_25segmented_radix_sort_implINS0_14default_configELb0EPK6__halfPSL_PKlPlN2at6native12_GLOBAL__N_18offset_tEEE10hipError_tPvRmT1_PNSt15iterator_traitsISZ_E10value_typeET2_T3_PNS10_IS15_E10value_typeET4_jRbjT5_S1B_jjP12ihipStream_tbEUljE_EEESW_SX_SY_S15_S19_S1B_T6_T7_T9_mT8_S1D_bDpT10_ENKUlT_T0_E_clISt17integral_constantIbLb0EES1P_IbLb1EEEEDaS1L_S1M_EUlS1L_E_NS1_11comp_targetILNS1_3genE5ELNS1_11target_archE942ELNS1_3gpuE9ELNS1_3repE0EEENS1_30default_config_static_selectorELNS0_4arch9wavefront6targetE1EEEvSZ_.uses_flat_scratch, 0
	.set _ZN7rocprim17ROCPRIM_400000_NS6detail17trampoline_kernelINS0_13select_configILj256ELj13ELNS0_17block_load_methodE3ELS4_3ELS4_3ELNS0_20block_scan_algorithmE0ELj4294967295EEENS1_25partition_config_selectorILNS1_17partition_subalgoE3EjNS0_10empty_typeEbEEZZNS1_14partition_implILS8_3ELb0ES6_jNS0_17counting_iteratorIjlEEPS9_SE_NS0_5tupleIJPjSE_EEENSF_IJSE_SE_EEES9_SG_JZNS1_25segmented_radix_sort_implINS0_14default_configELb0EPK6__halfPSL_PKlPlN2at6native12_GLOBAL__N_18offset_tEEE10hipError_tPvRmT1_PNSt15iterator_traitsISZ_E10value_typeET2_T3_PNS10_IS15_E10value_typeET4_jRbjT5_S1B_jjP12ihipStream_tbEUljE_EEESW_SX_SY_S15_S19_S1B_T6_T7_T9_mT8_S1D_bDpT10_ENKUlT_T0_E_clISt17integral_constantIbLb0EES1P_IbLb1EEEEDaS1L_S1M_EUlS1L_E_NS1_11comp_targetILNS1_3genE5ELNS1_11target_archE942ELNS1_3gpuE9ELNS1_3repE0EEENS1_30default_config_static_selectorELNS0_4arch9wavefront6targetE1EEEvSZ_.has_dyn_sized_stack, 0
	.set _ZN7rocprim17ROCPRIM_400000_NS6detail17trampoline_kernelINS0_13select_configILj256ELj13ELNS0_17block_load_methodE3ELS4_3ELS4_3ELNS0_20block_scan_algorithmE0ELj4294967295EEENS1_25partition_config_selectorILNS1_17partition_subalgoE3EjNS0_10empty_typeEbEEZZNS1_14partition_implILS8_3ELb0ES6_jNS0_17counting_iteratorIjlEEPS9_SE_NS0_5tupleIJPjSE_EEENSF_IJSE_SE_EEES9_SG_JZNS1_25segmented_radix_sort_implINS0_14default_configELb0EPK6__halfPSL_PKlPlN2at6native12_GLOBAL__N_18offset_tEEE10hipError_tPvRmT1_PNSt15iterator_traitsISZ_E10value_typeET2_T3_PNS10_IS15_E10value_typeET4_jRbjT5_S1B_jjP12ihipStream_tbEUljE_EEESW_SX_SY_S15_S19_S1B_T6_T7_T9_mT8_S1D_bDpT10_ENKUlT_T0_E_clISt17integral_constantIbLb0EES1P_IbLb1EEEEDaS1L_S1M_EUlS1L_E_NS1_11comp_targetILNS1_3genE5ELNS1_11target_archE942ELNS1_3gpuE9ELNS1_3repE0EEENS1_30default_config_static_selectorELNS0_4arch9wavefront6targetE1EEEvSZ_.has_recursion, 0
	.set _ZN7rocprim17ROCPRIM_400000_NS6detail17trampoline_kernelINS0_13select_configILj256ELj13ELNS0_17block_load_methodE3ELS4_3ELS4_3ELNS0_20block_scan_algorithmE0ELj4294967295EEENS1_25partition_config_selectorILNS1_17partition_subalgoE3EjNS0_10empty_typeEbEEZZNS1_14partition_implILS8_3ELb0ES6_jNS0_17counting_iteratorIjlEEPS9_SE_NS0_5tupleIJPjSE_EEENSF_IJSE_SE_EEES9_SG_JZNS1_25segmented_radix_sort_implINS0_14default_configELb0EPK6__halfPSL_PKlPlN2at6native12_GLOBAL__N_18offset_tEEE10hipError_tPvRmT1_PNSt15iterator_traitsISZ_E10value_typeET2_T3_PNS10_IS15_E10value_typeET4_jRbjT5_S1B_jjP12ihipStream_tbEUljE_EEESW_SX_SY_S15_S19_S1B_T6_T7_T9_mT8_S1D_bDpT10_ENKUlT_T0_E_clISt17integral_constantIbLb0EES1P_IbLb1EEEEDaS1L_S1M_EUlS1L_E_NS1_11comp_targetILNS1_3genE5ELNS1_11target_archE942ELNS1_3gpuE9ELNS1_3repE0EEENS1_30default_config_static_selectorELNS0_4arch9wavefront6targetE1EEEvSZ_.has_indirect_call, 0
	.section	.AMDGPU.csdata,"",@progbits
; Kernel info:
; codeLenInByte = 0
; TotalNumSgprs: 4
; NumVgprs: 0
; ScratchSize: 0
; MemoryBound: 0
; FloatMode: 240
; IeeeMode: 1
; LDSByteSize: 0 bytes/workgroup (compile time only)
; SGPRBlocks: 0
; VGPRBlocks: 0
; NumSGPRsForWavesPerEU: 4
; NumVGPRsForWavesPerEU: 1
; Occupancy: 10
; WaveLimiterHint : 0
; COMPUTE_PGM_RSRC2:SCRATCH_EN: 0
; COMPUTE_PGM_RSRC2:USER_SGPR: 6
; COMPUTE_PGM_RSRC2:TRAP_HANDLER: 0
; COMPUTE_PGM_RSRC2:TGID_X_EN: 1
; COMPUTE_PGM_RSRC2:TGID_Y_EN: 0
; COMPUTE_PGM_RSRC2:TGID_Z_EN: 0
; COMPUTE_PGM_RSRC2:TIDIG_COMP_CNT: 0
	.section	.text._ZN7rocprim17ROCPRIM_400000_NS6detail17trampoline_kernelINS0_13select_configILj256ELj13ELNS0_17block_load_methodE3ELS4_3ELS4_3ELNS0_20block_scan_algorithmE0ELj4294967295EEENS1_25partition_config_selectorILNS1_17partition_subalgoE3EjNS0_10empty_typeEbEEZZNS1_14partition_implILS8_3ELb0ES6_jNS0_17counting_iteratorIjlEEPS9_SE_NS0_5tupleIJPjSE_EEENSF_IJSE_SE_EEES9_SG_JZNS1_25segmented_radix_sort_implINS0_14default_configELb0EPK6__halfPSL_PKlPlN2at6native12_GLOBAL__N_18offset_tEEE10hipError_tPvRmT1_PNSt15iterator_traitsISZ_E10value_typeET2_T3_PNS10_IS15_E10value_typeET4_jRbjT5_S1B_jjP12ihipStream_tbEUljE_EEESW_SX_SY_S15_S19_S1B_T6_T7_T9_mT8_S1D_bDpT10_ENKUlT_T0_E_clISt17integral_constantIbLb0EES1P_IbLb1EEEEDaS1L_S1M_EUlS1L_E_NS1_11comp_targetILNS1_3genE4ELNS1_11target_archE910ELNS1_3gpuE8ELNS1_3repE0EEENS1_30default_config_static_selectorELNS0_4arch9wavefront6targetE1EEEvSZ_,"axG",@progbits,_ZN7rocprim17ROCPRIM_400000_NS6detail17trampoline_kernelINS0_13select_configILj256ELj13ELNS0_17block_load_methodE3ELS4_3ELS4_3ELNS0_20block_scan_algorithmE0ELj4294967295EEENS1_25partition_config_selectorILNS1_17partition_subalgoE3EjNS0_10empty_typeEbEEZZNS1_14partition_implILS8_3ELb0ES6_jNS0_17counting_iteratorIjlEEPS9_SE_NS0_5tupleIJPjSE_EEENSF_IJSE_SE_EEES9_SG_JZNS1_25segmented_radix_sort_implINS0_14default_configELb0EPK6__halfPSL_PKlPlN2at6native12_GLOBAL__N_18offset_tEEE10hipError_tPvRmT1_PNSt15iterator_traitsISZ_E10value_typeET2_T3_PNS10_IS15_E10value_typeET4_jRbjT5_S1B_jjP12ihipStream_tbEUljE_EEESW_SX_SY_S15_S19_S1B_T6_T7_T9_mT8_S1D_bDpT10_ENKUlT_T0_E_clISt17integral_constantIbLb0EES1P_IbLb1EEEEDaS1L_S1M_EUlS1L_E_NS1_11comp_targetILNS1_3genE4ELNS1_11target_archE910ELNS1_3gpuE8ELNS1_3repE0EEENS1_30default_config_static_selectorELNS0_4arch9wavefront6targetE1EEEvSZ_,comdat
	.globl	_ZN7rocprim17ROCPRIM_400000_NS6detail17trampoline_kernelINS0_13select_configILj256ELj13ELNS0_17block_load_methodE3ELS4_3ELS4_3ELNS0_20block_scan_algorithmE0ELj4294967295EEENS1_25partition_config_selectorILNS1_17partition_subalgoE3EjNS0_10empty_typeEbEEZZNS1_14partition_implILS8_3ELb0ES6_jNS0_17counting_iteratorIjlEEPS9_SE_NS0_5tupleIJPjSE_EEENSF_IJSE_SE_EEES9_SG_JZNS1_25segmented_radix_sort_implINS0_14default_configELb0EPK6__halfPSL_PKlPlN2at6native12_GLOBAL__N_18offset_tEEE10hipError_tPvRmT1_PNSt15iterator_traitsISZ_E10value_typeET2_T3_PNS10_IS15_E10value_typeET4_jRbjT5_S1B_jjP12ihipStream_tbEUljE_EEESW_SX_SY_S15_S19_S1B_T6_T7_T9_mT8_S1D_bDpT10_ENKUlT_T0_E_clISt17integral_constantIbLb0EES1P_IbLb1EEEEDaS1L_S1M_EUlS1L_E_NS1_11comp_targetILNS1_3genE4ELNS1_11target_archE910ELNS1_3gpuE8ELNS1_3repE0EEENS1_30default_config_static_selectorELNS0_4arch9wavefront6targetE1EEEvSZ_ ; -- Begin function _ZN7rocprim17ROCPRIM_400000_NS6detail17trampoline_kernelINS0_13select_configILj256ELj13ELNS0_17block_load_methodE3ELS4_3ELS4_3ELNS0_20block_scan_algorithmE0ELj4294967295EEENS1_25partition_config_selectorILNS1_17partition_subalgoE3EjNS0_10empty_typeEbEEZZNS1_14partition_implILS8_3ELb0ES6_jNS0_17counting_iteratorIjlEEPS9_SE_NS0_5tupleIJPjSE_EEENSF_IJSE_SE_EEES9_SG_JZNS1_25segmented_radix_sort_implINS0_14default_configELb0EPK6__halfPSL_PKlPlN2at6native12_GLOBAL__N_18offset_tEEE10hipError_tPvRmT1_PNSt15iterator_traitsISZ_E10value_typeET2_T3_PNS10_IS15_E10value_typeET4_jRbjT5_S1B_jjP12ihipStream_tbEUljE_EEESW_SX_SY_S15_S19_S1B_T6_T7_T9_mT8_S1D_bDpT10_ENKUlT_T0_E_clISt17integral_constantIbLb0EES1P_IbLb1EEEEDaS1L_S1M_EUlS1L_E_NS1_11comp_targetILNS1_3genE4ELNS1_11target_archE910ELNS1_3gpuE8ELNS1_3repE0EEENS1_30default_config_static_selectorELNS0_4arch9wavefront6targetE1EEEvSZ_
	.p2align	8
	.type	_ZN7rocprim17ROCPRIM_400000_NS6detail17trampoline_kernelINS0_13select_configILj256ELj13ELNS0_17block_load_methodE3ELS4_3ELS4_3ELNS0_20block_scan_algorithmE0ELj4294967295EEENS1_25partition_config_selectorILNS1_17partition_subalgoE3EjNS0_10empty_typeEbEEZZNS1_14partition_implILS8_3ELb0ES6_jNS0_17counting_iteratorIjlEEPS9_SE_NS0_5tupleIJPjSE_EEENSF_IJSE_SE_EEES9_SG_JZNS1_25segmented_radix_sort_implINS0_14default_configELb0EPK6__halfPSL_PKlPlN2at6native12_GLOBAL__N_18offset_tEEE10hipError_tPvRmT1_PNSt15iterator_traitsISZ_E10value_typeET2_T3_PNS10_IS15_E10value_typeET4_jRbjT5_S1B_jjP12ihipStream_tbEUljE_EEESW_SX_SY_S15_S19_S1B_T6_T7_T9_mT8_S1D_bDpT10_ENKUlT_T0_E_clISt17integral_constantIbLb0EES1P_IbLb1EEEEDaS1L_S1M_EUlS1L_E_NS1_11comp_targetILNS1_3genE4ELNS1_11target_archE910ELNS1_3gpuE8ELNS1_3repE0EEENS1_30default_config_static_selectorELNS0_4arch9wavefront6targetE1EEEvSZ_,@function
_ZN7rocprim17ROCPRIM_400000_NS6detail17trampoline_kernelINS0_13select_configILj256ELj13ELNS0_17block_load_methodE3ELS4_3ELS4_3ELNS0_20block_scan_algorithmE0ELj4294967295EEENS1_25partition_config_selectorILNS1_17partition_subalgoE3EjNS0_10empty_typeEbEEZZNS1_14partition_implILS8_3ELb0ES6_jNS0_17counting_iteratorIjlEEPS9_SE_NS0_5tupleIJPjSE_EEENSF_IJSE_SE_EEES9_SG_JZNS1_25segmented_radix_sort_implINS0_14default_configELb0EPK6__halfPSL_PKlPlN2at6native12_GLOBAL__N_18offset_tEEE10hipError_tPvRmT1_PNSt15iterator_traitsISZ_E10value_typeET2_T3_PNS10_IS15_E10value_typeET4_jRbjT5_S1B_jjP12ihipStream_tbEUljE_EEESW_SX_SY_S15_S19_S1B_T6_T7_T9_mT8_S1D_bDpT10_ENKUlT_T0_E_clISt17integral_constantIbLb0EES1P_IbLb1EEEEDaS1L_S1M_EUlS1L_E_NS1_11comp_targetILNS1_3genE4ELNS1_11target_archE910ELNS1_3gpuE8ELNS1_3repE0EEENS1_30default_config_static_selectorELNS0_4arch9wavefront6targetE1EEEvSZ_: ; @_ZN7rocprim17ROCPRIM_400000_NS6detail17trampoline_kernelINS0_13select_configILj256ELj13ELNS0_17block_load_methodE3ELS4_3ELS4_3ELNS0_20block_scan_algorithmE0ELj4294967295EEENS1_25partition_config_selectorILNS1_17partition_subalgoE3EjNS0_10empty_typeEbEEZZNS1_14partition_implILS8_3ELb0ES6_jNS0_17counting_iteratorIjlEEPS9_SE_NS0_5tupleIJPjSE_EEENSF_IJSE_SE_EEES9_SG_JZNS1_25segmented_radix_sort_implINS0_14default_configELb0EPK6__halfPSL_PKlPlN2at6native12_GLOBAL__N_18offset_tEEE10hipError_tPvRmT1_PNSt15iterator_traitsISZ_E10value_typeET2_T3_PNS10_IS15_E10value_typeET4_jRbjT5_S1B_jjP12ihipStream_tbEUljE_EEESW_SX_SY_S15_S19_S1B_T6_T7_T9_mT8_S1D_bDpT10_ENKUlT_T0_E_clISt17integral_constantIbLb0EES1P_IbLb1EEEEDaS1L_S1M_EUlS1L_E_NS1_11comp_targetILNS1_3genE4ELNS1_11target_archE910ELNS1_3gpuE8ELNS1_3repE0EEENS1_30default_config_static_selectorELNS0_4arch9wavefront6targetE1EEEvSZ_
; %bb.0:
	.section	.rodata,"a",@progbits
	.p2align	6, 0x0
	.amdhsa_kernel _ZN7rocprim17ROCPRIM_400000_NS6detail17trampoline_kernelINS0_13select_configILj256ELj13ELNS0_17block_load_methodE3ELS4_3ELS4_3ELNS0_20block_scan_algorithmE0ELj4294967295EEENS1_25partition_config_selectorILNS1_17partition_subalgoE3EjNS0_10empty_typeEbEEZZNS1_14partition_implILS8_3ELb0ES6_jNS0_17counting_iteratorIjlEEPS9_SE_NS0_5tupleIJPjSE_EEENSF_IJSE_SE_EEES9_SG_JZNS1_25segmented_radix_sort_implINS0_14default_configELb0EPK6__halfPSL_PKlPlN2at6native12_GLOBAL__N_18offset_tEEE10hipError_tPvRmT1_PNSt15iterator_traitsISZ_E10value_typeET2_T3_PNS10_IS15_E10value_typeET4_jRbjT5_S1B_jjP12ihipStream_tbEUljE_EEESW_SX_SY_S15_S19_S1B_T6_T7_T9_mT8_S1D_bDpT10_ENKUlT_T0_E_clISt17integral_constantIbLb0EES1P_IbLb1EEEEDaS1L_S1M_EUlS1L_E_NS1_11comp_targetILNS1_3genE4ELNS1_11target_archE910ELNS1_3gpuE8ELNS1_3repE0EEENS1_30default_config_static_selectorELNS0_4arch9wavefront6targetE1EEEvSZ_
		.amdhsa_group_segment_fixed_size 0
		.amdhsa_private_segment_fixed_size 0
		.amdhsa_kernarg_size 152
		.amdhsa_user_sgpr_count 6
		.amdhsa_user_sgpr_private_segment_buffer 1
		.amdhsa_user_sgpr_dispatch_ptr 0
		.amdhsa_user_sgpr_queue_ptr 0
		.amdhsa_user_sgpr_kernarg_segment_ptr 1
		.amdhsa_user_sgpr_dispatch_id 0
		.amdhsa_user_sgpr_flat_scratch_init 0
		.amdhsa_user_sgpr_private_segment_size 0
		.amdhsa_uses_dynamic_stack 0
		.amdhsa_system_sgpr_private_segment_wavefront_offset 0
		.amdhsa_system_sgpr_workgroup_id_x 1
		.amdhsa_system_sgpr_workgroup_id_y 0
		.amdhsa_system_sgpr_workgroup_id_z 0
		.amdhsa_system_sgpr_workgroup_info 0
		.amdhsa_system_vgpr_workitem_id 0
		.amdhsa_next_free_vgpr 1
		.amdhsa_next_free_sgpr 0
		.amdhsa_reserve_vcc 0
		.amdhsa_reserve_flat_scratch 0
		.amdhsa_float_round_mode_32 0
		.amdhsa_float_round_mode_16_64 0
		.amdhsa_float_denorm_mode_32 3
		.amdhsa_float_denorm_mode_16_64 3
		.amdhsa_dx10_clamp 1
		.amdhsa_ieee_mode 1
		.amdhsa_fp16_overflow 0
		.amdhsa_exception_fp_ieee_invalid_op 0
		.amdhsa_exception_fp_denorm_src 0
		.amdhsa_exception_fp_ieee_div_zero 0
		.amdhsa_exception_fp_ieee_overflow 0
		.amdhsa_exception_fp_ieee_underflow 0
		.amdhsa_exception_fp_ieee_inexact 0
		.amdhsa_exception_int_div_zero 0
	.end_amdhsa_kernel
	.section	.text._ZN7rocprim17ROCPRIM_400000_NS6detail17trampoline_kernelINS0_13select_configILj256ELj13ELNS0_17block_load_methodE3ELS4_3ELS4_3ELNS0_20block_scan_algorithmE0ELj4294967295EEENS1_25partition_config_selectorILNS1_17partition_subalgoE3EjNS0_10empty_typeEbEEZZNS1_14partition_implILS8_3ELb0ES6_jNS0_17counting_iteratorIjlEEPS9_SE_NS0_5tupleIJPjSE_EEENSF_IJSE_SE_EEES9_SG_JZNS1_25segmented_radix_sort_implINS0_14default_configELb0EPK6__halfPSL_PKlPlN2at6native12_GLOBAL__N_18offset_tEEE10hipError_tPvRmT1_PNSt15iterator_traitsISZ_E10value_typeET2_T3_PNS10_IS15_E10value_typeET4_jRbjT5_S1B_jjP12ihipStream_tbEUljE_EEESW_SX_SY_S15_S19_S1B_T6_T7_T9_mT8_S1D_bDpT10_ENKUlT_T0_E_clISt17integral_constantIbLb0EES1P_IbLb1EEEEDaS1L_S1M_EUlS1L_E_NS1_11comp_targetILNS1_3genE4ELNS1_11target_archE910ELNS1_3gpuE8ELNS1_3repE0EEENS1_30default_config_static_selectorELNS0_4arch9wavefront6targetE1EEEvSZ_,"axG",@progbits,_ZN7rocprim17ROCPRIM_400000_NS6detail17trampoline_kernelINS0_13select_configILj256ELj13ELNS0_17block_load_methodE3ELS4_3ELS4_3ELNS0_20block_scan_algorithmE0ELj4294967295EEENS1_25partition_config_selectorILNS1_17partition_subalgoE3EjNS0_10empty_typeEbEEZZNS1_14partition_implILS8_3ELb0ES6_jNS0_17counting_iteratorIjlEEPS9_SE_NS0_5tupleIJPjSE_EEENSF_IJSE_SE_EEES9_SG_JZNS1_25segmented_radix_sort_implINS0_14default_configELb0EPK6__halfPSL_PKlPlN2at6native12_GLOBAL__N_18offset_tEEE10hipError_tPvRmT1_PNSt15iterator_traitsISZ_E10value_typeET2_T3_PNS10_IS15_E10value_typeET4_jRbjT5_S1B_jjP12ihipStream_tbEUljE_EEESW_SX_SY_S15_S19_S1B_T6_T7_T9_mT8_S1D_bDpT10_ENKUlT_T0_E_clISt17integral_constantIbLb0EES1P_IbLb1EEEEDaS1L_S1M_EUlS1L_E_NS1_11comp_targetILNS1_3genE4ELNS1_11target_archE910ELNS1_3gpuE8ELNS1_3repE0EEENS1_30default_config_static_selectorELNS0_4arch9wavefront6targetE1EEEvSZ_,comdat
.Lfunc_end1836:
	.size	_ZN7rocprim17ROCPRIM_400000_NS6detail17trampoline_kernelINS0_13select_configILj256ELj13ELNS0_17block_load_methodE3ELS4_3ELS4_3ELNS0_20block_scan_algorithmE0ELj4294967295EEENS1_25partition_config_selectorILNS1_17partition_subalgoE3EjNS0_10empty_typeEbEEZZNS1_14partition_implILS8_3ELb0ES6_jNS0_17counting_iteratorIjlEEPS9_SE_NS0_5tupleIJPjSE_EEENSF_IJSE_SE_EEES9_SG_JZNS1_25segmented_radix_sort_implINS0_14default_configELb0EPK6__halfPSL_PKlPlN2at6native12_GLOBAL__N_18offset_tEEE10hipError_tPvRmT1_PNSt15iterator_traitsISZ_E10value_typeET2_T3_PNS10_IS15_E10value_typeET4_jRbjT5_S1B_jjP12ihipStream_tbEUljE_EEESW_SX_SY_S15_S19_S1B_T6_T7_T9_mT8_S1D_bDpT10_ENKUlT_T0_E_clISt17integral_constantIbLb0EES1P_IbLb1EEEEDaS1L_S1M_EUlS1L_E_NS1_11comp_targetILNS1_3genE4ELNS1_11target_archE910ELNS1_3gpuE8ELNS1_3repE0EEENS1_30default_config_static_selectorELNS0_4arch9wavefront6targetE1EEEvSZ_, .Lfunc_end1836-_ZN7rocprim17ROCPRIM_400000_NS6detail17trampoline_kernelINS0_13select_configILj256ELj13ELNS0_17block_load_methodE3ELS4_3ELS4_3ELNS0_20block_scan_algorithmE0ELj4294967295EEENS1_25partition_config_selectorILNS1_17partition_subalgoE3EjNS0_10empty_typeEbEEZZNS1_14partition_implILS8_3ELb0ES6_jNS0_17counting_iteratorIjlEEPS9_SE_NS0_5tupleIJPjSE_EEENSF_IJSE_SE_EEES9_SG_JZNS1_25segmented_radix_sort_implINS0_14default_configELb0EPK6__halfPSL_PKlPlN2at6native12_GLOBAL__N_18offset_tEEE10hipError_tPvRmT1_PNSt15iterator_traitsISZ_E10value_typeET2_T3_PNS10_IS15_E10value_typeET4_jRbjT5_S1B_jjP12ihipStream_tbEUljE_EEESW_SX_SY_S15_S19_S1B_T6_T7_T9_mT8_S1D_bDpT10_ENKUlT_T0_E_clISt17integral_constantIbLb0EES1P_IbLb1EEEEDaS1L_S1M_EUlS1L_E_NS1_11comp_targetILNS1_3genE4ELNS1_11target_archE910ELNS1_3gpuE8ELNS1_3repE0EEENS1_30default_config_static_selectorELNS0_4arch9wavefront6targetE1EEEvSZ_
                                        ; -- End function
	.set _ZN7rocprim17ROCPRIM_400000_NS6detail17trampoline_kernelINS0_13select_configILj256ELj13ELNS0_17block_load_methodE3ELS4_3ELS4_3ELNS0_20block_scan_algorithmE0ELj4294967295EEENS1_25partition_config_selectorILNS1_17partition_subalgoE3EjNS0_10empty_typeEbEEZZNS1_14partition_implILS8_3ELb0ES6_jNS0_17counting_iteratorIjlEEPS9_SE_NS0_5tupleIJPjSE_EEENSF_IJSE_SE_EEES9_SG_JZNS1_25segmented_radix_sort_implINS0_14default_configELb0EPK6__halfPSL_PKlPlN2at6native12_GLOBAL__N_18offset_tEEE10hipError_tPvRmT1_PNSt15iterator_traitsISZ_E10value_typeET2_T3_PNS10_IS15_E10value_typeET4_jRbjT5_S1B_jjP12ihipStream_tbEUljE_EEESW_SX_SY_S15_S19_S1B_T6_T7_T9_mT8_S1D_bDpT10_ENKUlT_T0_E_clISt17integral_constantIbLb0EES1P_IbLb1EEEEDaS1L_S1M_EUlS1L_E_NS1_11comp_targetILNS1_3genE4ELNS1_11target_archE910ELNS1_3gpuE8ELNS1_3repE0EEENS1_30default_config_static_selectorELNS0_4arch9wavefront6targetE1EEEvSZ_.num_vgpr, 0
	.set _ZN7rocprim17ROCPRIM_400000_NS6detail17trampoline_kernelINS0_13select_configILj256ELj13ELNS0_17block_load_methodE3ELS4_3ELS4_3ELNS0_20block_scan_algorithmE0ELj4294967295EEENS1_25partition_config_selectorILNS1_17partition_subalgoE3EjNS0_10empty_typeEbEEZZNS1_14partition_implILS8_3ELb0ES6_jNS0_17counting_iteratorIjlEEPS9_SE_NS0_5tupleIJPjSE_EEENSF_IJSE_SE_EEES9_SG_JZNS1_25segmented_radix_sort_implINS0_14default_configELb0EPK6__halfPSL_PKlPlN2at6native12_GLOBAL__N_18offset_tEEE10hipError_tPvRmT1_PNSt15iterator_traitsISZ_E10value_typeET2_T3_PNS10_IS15_E10value_typeET4_jRbjT5_S1B_jjP12ihipStream_tbEUljE_EEESW_SX_SY_S15_S19_S1B_T6_T7_T9_mT8_S1D_bDpT10_ENKUlT_T0_E_clISt17integral_constantIbLb0EES1P_IbLb1EEEEDaS1L_S1M_EUlS1L_E_NS1_11comp_targetILNS1_3genE4ELNS1_11target_archE910ELNS1_3gpuE8ELNS1_3repE0EEENS1_30default_config_static_selectorELNS0_4arch9wavefront6targetE1EEEvSZ_.num_agpr, 0
	.set _ZN7rocprim17ROCPRIM_400000_NS6detail17trampoline_kernelINS0_13select_configILj256ELj13ELNS0_17block_load_methodE3ELS4_3ELS4_3ELNS0_20block_scan_algorithmE0ELj4294967295EEENS1_25partition_config_selectorILNS1_17partition_subalgoE3EjNS0_10empty_typeEbEEZZNS1_14partition_implILS8_3ELb0ES6_jNS0_17counting_iteratorIjlEEPS9_SE_NS0_5tupleIJPjSE_EEENSF_IJSE_SE_EEES9_SG_JZNS1_25segmented_radix_sort_implINS0_14default_configELb0EPK6__halfPSL_PKlPlN2at6native12_GLOBAL__N_18offset_tEEE10hipError_tPvRmT1_PNSt15iterator_traitsISZ_E10value_typeET2_T3_PNS10_IS15_E10value_typeET4_jRbjT5_S1B_jjP12ihipStream_tbEUljE_EEESW_SX_SY_S15_S19_S1B_T6_T7_T9_mT8_S1D_bDpT10_ENKUlT_T0_E_clISt17integral_constantIbLb0EES1P_IbLb1EEEEDaS1L_S1M_EUlS1L_E_NS1_11comp_targetILNS1_3genE4ELNS1_11target_archE910ELNS1_3gpuE8ELNS1_3repE0EEENS1_30default_config_static_selectorELNS0_4arch9wavefront6targetE1EEEvSZ_.numbered_sgpr, 0
	.set _ZN7rocprim17ROCPRIM_400000_NS6detail17trampoline_kernelINS0_13select_configILj256ELj13ELNS0_17block_load_methodE3ELS4_3ELS4_3ELNS0_20block_scan_algorithmE0ELj4294967295EEENS1_25partition_config_selectorILNS1_17partition_subalgoE3EjNS0_10empty_typeEbEEZZNS1_14partition_implILS8_3ELb0ES6_jNS0_17counting_iteratorIjlEEPS9_SE_NS0_5tupleIJPjSE_EEENSF_IJSE_SE_EEES9_SG_JZNS1_25segmented_radix_sort_implINS0_14default_configELb0EPK6__halfPSL_PKlPlN2at6native12_GLOBAL__N_18offset_tEEE10hipError_tPvRmT1_PNSt15iterator_traitsISZ_E10value_typeET2_T3_PNS10_IS15_E10value_typeET4_jRbjT5_S1B_jjP12ihipStream_tbEUljE_EEESW_SX_SY_S15_S19_S1B_T6_T7_T9_mT8_S1D_bDpT10_ENKUlT_T0_E_clISt17integral_constantIbLb0EES1P_IbLb1EEEEDaS1L_S1M_EUlS1L_E_NS1_11comp_targetILNS1_3genE4ELNS1_11target_archE910ELNS1_3gpuE8ELNS1_3repE0EEENS1_30default_config_static_selectorELNS0_4arch9wavefront6targetE1EEEvSZ_.num_named_barrier, 0
	.set _ZN7rocprim17ROCPRIM_400000_NS6detail17trampoline_kernelINS0_13select_configILj256ELj13ELNS0_17block_load_methodE3ELS4_3ELS4_3ELNS0_20block_scan_algorithmE0ELj4294967295EEENS1_25partition_config_selectorILNS1_17partition_subalgoE3EjNS0_10empty_typeEbEEZZNS1_14partition_implILS8_3ELb0ES6_jNS0_17counting_iteratorIjlEEPS9_SE_NS0_5tupleIJPjSE_EEENSF_IJSE_SE_EEES9_SG_JZNS1_25segmented_radix_sort_implINS0_14default_configELb0EPK6__halfPSL_PKlPlN2at6native12_GLOBAL__N_18offset_tEEE10hipError_tPvRmT1_PNSt15iterator_traitsISZ_E10value_typeET2_T3_PNS10_IS15_E10value_typeET4_jRbjT5_S1B_jjP12ihipStream_tbEUljE_EEESW_SX_SY_S15_S19_S1B_T6_T7_T9_mT8_S1D_bDpT10_ENKUlT_T0_E_clISt17integral_constantIbLb0EES1P_IbLb1EEEEDaS1L_S1M_EUlS1L_E_NS1_11comp_targetILNS1_3genE4ELNS1_11target_archE910ELNS1_3gpuE8ELNS1_3repE0EEENS1_30default_config_static_selectorELNS0_4arch9wavefront6targetE1EEEvSZ_.private_seg_size, 0
	.set _ZN7rocprim17ROCPRIM_400000_NS6detail17trampoline_kernelINS0_13select_configILj256ELj13ELNS0_17block_load_methodE3ELS4_3ELS4_3ELNS0_20block_scan_algorithmE0ELj4294967295EEENS1_25partition_config_selectorILNS1_17partition_subalgoE3EjNS0_10empty_typeEbEEZZNS1_14partition_implILS8_3ELb0ES6_jNS0_17counting_iteratorIjlEEPS9_SE_NS0_5tupleIJPjSE_EEENSF_IJSE_SE_EEES9_SG_JZNS1_25segmented_radix_sort_implINS0_14default_configELb0EPK6__halfPSL_PKlPlN2at6native12_GLOBAL__N_18offset_tEEE10hipError_tPvRmT1_PNSt15iterator_traitsISZ_E10value_typeET2_T3_PNS10_IS15_E10value_typeET4_jRbjT5_S1B_jjP12ihipStream_tbEUljE_EEESW_SX_SY_S15_S19_S1B_T6_T7_T9_mT8_S1D_bDpT10_ENKUlT_T0_E_clISt17integral_constantIbLb0EES1P_IbLb1EEEEDaS1L_S1M_EUlS1L_E_NS1_11comp_targetILNS1_3genE4ELNS1_11target_archE910ELNS1_3gpuE8ELNS1_3repE0EEENS1_30default_config_static_selectorELNS0_4arch9wavefront6targetE1EEEvSZ_.uses_vcc, 0
	.set _ZN7rocprim17ROCPRIM_400000_NS6detail17trampoline_kernelINS0_13select_configILj256ELj13ELNS0_17block_load_methodE3ELS4_3ELS4_3ELNS0_20block_scan_algorithmE0ELj4294967295EEENS1_25partition_config_selectorILNS1_17partition_subalgoE3EjNS0_10empty_typeEbEEZZNS1_14partition_implILS8_3ELb0ES6_jNS0_17counting_iteratorIjlEEPS9_SE_NS0_5tupleIJPjSE_EEENSF_IJSE_SE_EEES9_SG_JZNS1_25segmented_radix_sort_implINS0_14default_configELb0EPK6__halfPSL_PKlPlN2at6native12_GLOBAL__N_18offset_tEEE10hipError_tPvRmT1_PNSt15iterator_traitsISZ_E10value_typeET2_T3_PNS10_IS15_E10value_typeET4_jRbjT5_S1B_jjP12ihipStream_tbEUljE_EEESW_SX_SY_S15_S19_S1B_T6_T7_T9_mT8_S1D_bDpT10_ENKUlT_T0_E_clISt17integral_constantIbLb0EES1P_IbLb1EEEEDaS1L_S1M_EUlS1L_E_NS1_11comp_targetILNS1_3genE4ELNS1_11target_archE910ELNS1_3gpuE8ELNS1_3repE0EEENS1_30default_config_static_selectorELNS0_4arch9wavefront6targetE1EEEvSZ_.uses_flat_scratch, 0
	.set _ZN7rocprim17ROCPRIM_400000_NS6detail17trampoline_kernelINS0_13select_configILj256ELj13ELNS0_17block_load_methodE3ELS4_3ELS4_3ELNS0_20block_scan_algorithmE0ELj4294967295EEENS1_25partition_config_selectorILNS1_17partition_subalgoE3EjNS0_10empty_typeEbEEZZNS1_14partition_implILS8_3ELb0ES6_jNS0_17counting_iteratorIjlEEPS9_SE_NS0_5tupleIJPjSE_EEENSF_IJSE_SE_EEES9_SG_JZNS1_25segmented_radix_sort_implINS0_14default_configELb0EPK6__halfPSL_PKlPlN2at6native12_GLOBAL__N_18offset_tEEE10hipError_tPvRmT1_PNSt15iterator_traitsISZ_E10value_typeET2_T3_PNS10_IS15_E10value_typeET4_jRbjT5_S1B_jjP12ihipStream_tbEUljE_EEESW_SX_SY_S15_S19_S1B_T6_T7_T9_mT8_S1D_bDpT10_ENKUlT_T0_E_clISt17integral_constantIbLb0EES1P_IbLb1EEEEDaS1L_S1M_EUlS1L_E_NS1_11comp_targetILNS1_3genE4ELNS1_11target_archE910ELNS1_3gpuE8ELNS1_3repE0EEENS1_30default_config_static_selectorELNS0_4arch9wavefront6targetE1EEEvSZ_.has_dyn_sized_stack, 0
	.set _ZN7rocprim17ROCPRIM_400000_NS6detail17trampoline_kernelINS0_13select_configILj256ELj13ELNS0_17block_load_methodE3ELS4_3ELS4_3ELNS0_20block_scan_algorithmE0ELj4294967295EEENS1_25partition_config_selectorILNS1_17partition_subalgoE3EjNS0_10empty_typeEbEEZZNS1_14partition_implILS8_3ELb0ES6_jNS0_17counting_iteratorIjlEEPS9_SE_NS0_5tupleIJPjSE_EEENSF_IJSE_SE_EEES9_SG_JZNS1_25segmented_radix_sort_implINS0_14default_configELb0EPK6__halfPSL_PKlPlN2at6native12_GLOBAL__N_18offset_tEEE10hipError_tPvRmT1_PNSt15iterator_traitsISZ_E10value_typeET2_T3_PNS10_IS15_E10value_typeET4_jRbjT5_S1B_jjP12ihipStream_tbEUljE_EEESW_SX_SY_S15_S19_S1B_T6_T7_T9_mT8_S1D_bDpT10_ENKUlT_T0_E_clISt17integral_constantIbLb0EES1P_IbLb1EEEEDaS1L_S1M_EUlS1L_E_NS1_11comp_targetILNS1_3genE4ELNS1_11target_archE910ELNS1_3gpuE8ELNS1_3repE0EEENS1_30default_config_static_selectorELNS0_4arch9wavefront6targetE1EEEvSZ_.has_recursion, 0
	.set _ZN7rocprim17ROCPRIM_400000_NS6detail17trampoline_kernelINS0_13select_configILj256ELj13ELNS0_17block_load_methodE3ELS4_3ELS4_3ELNS0_20block_scan_algorithmE0ELj4294967295EEENS1_25partition_config_selectorILNS1_17partition_subalgoE3EjNS0_10empty_typeEbEEZZNS1_14partition_implILS8_3ELb0ES6_jNS0_17counting_iteratorIjlEEPS9_SE_NS0_5tupleIJPjSE_EEENSF_IJSE_SE_EEES9_SG_JZNS1_25segmented_radix_sort_implINS0_14default_configELb0EPK6__halfPSL_PKlPlN2at6native12_GLOBAL__N_18offset_tEEE10hipError_tPvRmT1_PNSt15iterator_traitsISZ_E10value_typeET2_T3_PNS10_IS15_E10value_typeET4_jRbjT5_S1B_jjP12ihipStream_tbEUljE_EEESW_SX_SY_S15_S19_S1B_T6_T7_T9_mT8_S1D_bDpT10_ENKUlT_T0_E_clISt17integral_constantIbLb0EES1P_IbLb1EEEEDaS1L_S1M_EUlS1L_E_NS1_11comp_targetILNS1_3genE4ELNS1_11target_archE910ELNS1_3gpuE8ELNS1_3repE0EEENS1_30default_config_static_selectorELNS0_4arch9wavefront6targetE1EEEvSZ_.has_indirect_call, 0
	.section	.AMDGPU.csdata,"",@progbits
; Kernel info:
; codeLenInByte = 0
; TotalNumSgprs: 4
; NumVgprs: 0
; ScratchSize: 0
; MemoryBound: 0
; FloatMode: 240
; IeeeMode: 1
; LDSByteSize: 0 bytes/workgroup (compile time only)
; SGPRBlocks: 0
; VGPRBlocks: 0
; NumSGPRsForWavesPerEU: 4
; NumVGPRsForWavesPerEU: 1
; Occupancy: 10
; WaveLimiterHint : 0
; COMPUTE_PGM_RSRC2:SCRATCH_EN: 0
; COMPUTE_PGM_RSRC2:USER_SGPR: 6
; COMPUTE_PGM_RSRC2:TRAP_HANDLER: 0
; COMPUTE_PGM_RSRC2:TGID_X_EN: 1
; COMPUTE_PGM_RSRC2:TGID_Y_EN: 0
; COMPUTE_PGM_RSRC2:TGID_Z_EN: 0
; COMPUTE_PGM_RSRC2:TIDIG_COMP_CNT: 0
	.section	.text._ZN7rocprim17ROCPRIM_400000_NS6detail17trampoline_kernelINS0_13select_configILj256ELj13ELNS0_17block_load_methodE3ELS4_3ELS4_3ELNS0_20block_scan_algorithmE0ELj4294967295EEENS1_25partition_config_selectorILNS1_17partition_subalgoE3EjNS0_10empty_typeEbEEZZNS1_14partition_implILS8_3ELb0ES6_jNS0_17counting_iteratorIjlEEPS9_SE_NS0_5tupleIJPjSE_EEENSF_IJSE_SE_EEES9_SG_JZNS1_25segmented_radix_sort_implINS0_14default_configELb0EPK6__halfPSL_PKlPlN2at6native12_GLOBAL__N_18offset_tEEE10hipError_tPvRmT1_PNSt15iterator_traitsISZ_E10value_typeET2_T3_PNS10_IS15_E10value_typeET4_jRbjT5_S1B_jjP12ihipStream_tbEUljE_EEESW_SX_SY_S15_S19_S1B_T6_T7_T9_mT8_S1D_bDpT10_ENKUlT_T0_E_clISt17integral_constantIbLb0EES1P_IbLb1EEEEDaS1L_S1M_EUlS1L_E_NS1_11comp_targetILNS1_3genE3ELNS1_11target_archE908ELNS1_3gpuE7ELNS1_3repE0EEENS1_30default_config_static_selectorELNS0_4arch9wavefront6targetE1EEEvSZ_,"axG",@progbits,_ZN7rocprim17ROCPRIM_400000_NS6detail17trampoline_kernelINS0_13select_configILj256ELj13ELNS0_17block_load_methodE3ELS4_3ELS4_3ELNS0_20block_scan_algorithmE0ELj4294967295EEENS1_25partition_config_selectorILNS1_17partition_subalgoE3EjNS0_10empty_typeEbEEZZNS1_14partition_implILS8_3ELb0ES6_jNS0_17counting_iteratorIjlEEPS9_SE_NS0_5tupleIJPjSE_EEENSF_IJSE_SE_EEES9_SG_JZNS1_25segmented_radix_sort_implINS0_14default_configELb0EPK6__halfPSL_PKlPlN2at6native12_GLOBAL__N_18offset_tEEE10hipError_tPvRmT1_PNSt15iterator_traitsISZ_E10value_typeET2_T3_PNS10_IS15_E10value_typeET4_jRbjT5_S1B_jjP12ihipStream_tbEUljE_EEESW_SX_SY_S15_S19_S1B_T6_T7_T9_mT8_S1D_bDpT10_ENKUlT_T0_E_clISt17integral_constantIbLb0EES1P_IbLb1EEEEDaS1L_S1M_EUlS1L_E_NS1_11comp_targetILNS1_3genE3ELNS1_11target_archE908ELNS1_3gpuE7ELNS1_3repE0EEENS1_30default_config_static_selectorELNS0_4arch9wavefront6targetE1EEEvSZ_,comdat
	.globl	_ZN7rocprim17ROCPRIM_400000_NS6detail17trampoline_kernelINS0_13select_configILj256ELj13ELNS0_17block_load_methodE3ELS4_3ELS4_3ELNS0_20block_scan_algorithmE0ELj4294967295EEENS1_25partition_config_selectorILNS1_17partition_subalgoE3EjNS0_10empty_typeEbEEZZNS1_14partition_implILS8_3ELb0ES6_jNS0_17counting_iteratorIjlEEPS9_SE_NS0_5tupleIJPjSE_EEENSF_IJSE_SE_EEES9_SG_JZNS1_25segmented_radix_sort_implINS0_14default_configELb0EPK6__halfPSL_PKlPlN2at6native12_GLOBAL__N_18offset_tEEE10hipError_tPvRmT1_PNSt15iterator_traitsISZ_E10value_typeET2_T3_PNS10_IS15_E10value_typeET4_jRbjT5_S1B_jjP12ihipStream_tbEUljE_EEESW_SX_SY_S15_S19_S1B_T6_T7_T9_mT8_S1D_bDpT10_ENKUlT_T0_E_clISt17integral_constantIbLb0EES1P_IbLb1EEEEDaS1L_S1M_EUlS1L_E_NS1_11comp_targetILNS1_3genE3ELNS1_11target_archE908ELNS1_3gpuE7ELNS1_3repE0EEENS1_30default_config_static_selectorELNS0_4arch9wavefront6targetE1EEEvSZ_ ; -- Begin function _ZN7rocprim17ROCPRIM_400000_NS6detail17trampoline_kernelINS0_13select_configILj256ELj13ELNS0_17block_load_methodE3ELS4_3ELS4_3ELNS0_20block_scan_algorithmE0ELj4294967295EEENS1_25partition_config_selectorILNS1_17partition_subalgoE3EjNS0_10empty_typeEbEEZZNS1_14partition_implILS8_3ELb0ES6_jNS0_17counting_iteratorIjlEEPS9_SE_NS0_5tupleIJPjSE_EEENSF_IJSE_SE_EEES9_SG_JZNS1_25segmented_radix_sort_implINS0_14default_configELb0EPK6__halfPSL_PKlPlN2at6native12_GLOBAL__N_18offset_tEEE10hipError_tPvRmT1_PNSt15iterator_traitsISZ_E10value_typeET2_T3_PNS10_IS15_E10value_typeET4_jRbjT5_S1B_jjP12ihipStream_tbEUljE_EEESW_SX_SY_S15_S19_S1B_T6_T7_T9_mT8_S1D_bDpT10_ENKUlT_T0_E_clISt17integral_constantIbLb0EES1P_IbLb1EEEEDaS1L_S1M_EUlS1L_E_NS1_11comp_targetILNS1_3genE3ELNS1_11target_archE908ELNS1_3gpuE7ELNS1_3repE0EEENS1_30default_config_static_selectorELNS0_4arch9wavefront6targetE1EEEvSZ_
	.p2align	8
	.type	_ZN7rocprim17ROCPRIM_400000_NS6detail17trampoline_kernelINS0_13select_configILj256ELj13ELNS0_17block_load_methodE3ELS4_3ELS4_3ELNS0_20block_scan_algorithmE0ELj4294967295EEENS1_25partition_config_selectorILNS1_17partition_subalgoE3EjNS0_10empty_typeEbEEZZNS1_14partition_implILS8_3ELb0ES6_jNS0_17counting_iteratorIjlEEPS9_SE_NS0_5tupleIJPjSE_EEENSF_IJSE_SE_EEES9_SG_JZNS1_25segmented_radix_sort_implINS0_14default_configELb0EPK6__halfPSL_PKlPlN2at6native12_GLOBAL__N_18offset_tEEE10hipError_tPvRmT1_PNSt15iterator_traitsISZ_E10value_typeET2_T3_PNS10_IS15_E10value_typeET4_jRbjT5_S1B_jjP12ihipStream_tbEUljE_EEESW_SX_SY_S15_S19_S1B_T6_T7_T9_mT8_S1D_bDpT10_ENKUlT_T0_E_clISt17integral_constantIbLb0EES1P_IbLb1EEEEDaS1L_S1M_EUlS1L_E_NS1_11comp_targetILNS1_3genE3ELNS1_11target_archE908ELNS1_3gpuE7ELNS1_3repE0EEENS1_30default_config_static_selectorELNS0_4arch9wavefront6targetE1EEEvSZ_,@function
_ZN7rocprim17ROCPRIM_400000_NS6detail17trampoline_kernelINS0_13select_configILj256ELj13ELNS0_17block_load_methodE3ELS4_3ELS4_3ELNS0_20block_scan_algorithmE0ELj4294967295EEENS1_25partition_config_selectorILNS1_17partition_subalgoE3EjNS0_10empty_typeEbEEZZNS1_14partition_implILS8_3ELb0ES6_jNS0_17counting_iteratorIjlEEPS9_SE_NS0_5tupleIJPjSE_EEENSF_IJSE_SE_EEES9_SG_JZNS1_25segmented_radix_sort_implINS0_14default_configELb0EPK6__halfPSL_PKlPlN2at6native12_GLOBAL__N_18offset_tEEE10hipError_tPvRmT1_PNSt15iterator_traitsISZ_E10value_typeET2_T3_PNS10_IS15_E10value_typeET4_jRbjT5_S1B_jjP12ihipStream_tbEUljE_EEESW_SX_SY_S15_S19_S1B_T6_T7_T9_mT8_S1D_bDpT10_ENKUlT_T0_E_clISt17integral_constantIbLb0EES1P_IbLb1EEEEDaS1L_S1M_EUlS1L_E_NS1_11comp_targetILNS1_3genE3ELNS1_11target_archE908ELNS1_3gpuE7ELNS1_3repE0EEENS1_30default_config_static_selectorELNS0_4arch9wavefront6targetE1EEEvSZ_: ; @_ZN7rocprim17ROCPRIM_400000_NS6detail17trampoline_kernelINS0_13select_configILj256ELj13ELNS0_17block_load_methodE3ELS4_3ELS4_3ELNS0_20block_scan_algorithmE0ELj4294967295EEENS1_25partition_config_selectorILNS1_17partition_subalgoE3EjNS0_10empty_typeEbEEZZNS1_14partition_implILS8_3ELb0ES6_jNS0_17counting_iteratorIjlEEPS9_SE_NS0_5tupleIJPjSE_EEENSF_IJSE_SE_EEES9_SG_JZNS1_25segmented_radix_sort_implINS0_14default_configELb0EPK6__halfPSL_PKlPlN2at6native12_GLOBAL__N_18offset_tEEE10hipError_tPvRmT1_PNSt15iterator_traitsISZ_E10value_typeET2_T3_PNS10_IS15_E10value_typeET4_jRbjT5_S1B_jjP12ihipStream_tbEUljE_EEESW_SX_SY_S15_S19_S1B_T6_T7_T9_mT8_S1D_bDpT10_ENKUlT_T0_E_clISt17integral_constantIbLb0EES1P_IbLb1EEEEDaS1L_S1M_EUlS1L_E_NS1_11comp_targetILNS1_3genE3ELNS1_11target_archE908ELNS1_3gpuE7ELNS1_3repE0EEENS1_30default_config_static_selectorELNS0_4arch9wavefront6targetE1EEEvSZ_
; %bb.0:
	.section	.rodata,"a",@progbits
	.p2align	6, 0x0
	.amdhsa_kernel _ZN7rocprim17ROCPRIM_400000_NS6detail17trampoline_kernelINS0_13select_configILj256ELj13ELNS0_17block_load_methodE3ELS4_3ELS4_3ELNS0_20block_scan_algorithmE0ELj4294967295EEENS1_25partition_config_selectorILNS1_17partition_subalgoE3EjNS0_10empty_typeEbEEZZNS1_14partition_implILS8_3ELb0ES6_jNS0_17counting_iteratorIjlEEPS9_SE_NS0_5tupleIJPjSE_EEENSF_IJSE_SE_EEES9_SG_JZNS1_25segmented_radix_sort_implINS0_14default_configELb0EPK6__halfPSL_PKlPlN2at6native12_GLOBAL__N_18offset_tEEE10hipError_tPvRmT1_PNSt15iterator_traitsISZ_E10value_typeET2_T3_PNS10_IS15_E10value_typeET4_jRbjT5_S1B_jjP12ihipStream_tbEUljE_EEESW_SX_SY_S15_S19_S1B_T6_T7_T9_mT8_S1D_bDpT10_ENKUlT_T0_E_clISt17integral_constantIbLb0EES1P_IbLb1EEEEDaS1L_S1M_EUlS1L_E_NS1_11comp_targetILNS1_3genE3ELNS1_11target_archE908ELNS1_3gpuE7ELNS1_3repE0EEENS1_30default_config_static_selectorELNS0_4arch9wavefront6targetE1EEEvSZ_
		.amdhsa_group_segment_fixed_size 0
		.amdhsa_private_segment_fixed_size 0
		.amdhsa_kernarg_size 152
		.amdhsa_user_sgpr_count 6
		.amdhsa_user_sgpr_private_segment_buffer 1
		.amdhsa_user_sgpr_dispatch_ptr 0
		.amdhsa_user_sgpr_queue_ptr 0
		.amdhsa_user_sgpr_kernarg_segment_ptr 1
		.amdhsa_user_sgpr_dispatch_id 0
		.amdhsa_user_sgpr_flat_scratch_init 0
		.amdhsa_user_sgpr_private_segment_size 0
		.amdhsa_uses_dynamic_stack 0
		.amdhsa_system_sgpr_private_segment_wavefront_offset 0
		.amdhsa_system_sgpr_workgroup_id_x 1
		.amdhsa_system_sgpr_workgroup_id_y 0
		.amdhsa_system_sgpr_workgroup_id_z 0
		.amdhsa_system_sgpr_workgroup_info 0
		.amdhsa_system_vgpr_workitem_id 0
		.amdhsa_next_free_vgpr 1
		.amdhsa_next_free_sgpr 0
		.amdhsa_reserve_vcc 0
		.amdhsa_reserve_flat_scratch 0
		.amdhsa_float_round_mode_32 0
		.amdhsa_float_round_mode_16_64 0
		.amdhsa_float_denorm_mode_32 3
		.amdhsa_float_denorm_mode_16_64 3
		.amdhsa_dx10_clamp 1
		.amdhsa_ieee_mode 1
		.amdhsa_fp16_overflow 0
		.amdhsa_exception_fp_ieee_invalid_op 0
		.amdhsa_exception_fp_denorm_src 0
		.amdhsa_exception_fp_ieee_div_zero 0
		.amdhsa_exception_fp_ieee_overflow 0
		.amdhsa_exception_fp_ieee_underflow 0
		.amdhsa_exception_fp_ieee_inexact 0
		.amdhsa_exception_int_div_zero 0
	.end_amdhsa_kernel
	.section	.text._ZN7rocprim17ROCPRIM_400000_NS6detail17trampoline_kernelINS0_13select_configILj256ELj13ELNS0_17block_load_methodE3ELS4_3ELS4_3ELNS0_20block_scan_algorithmE0ELj4294967295EEENS1_25partition_config_selectorILNS1_17partition_subalgoE3EjNS0_10empty_typeEbEEZZNS1_14partition_implILS8_3ELb0ES6_jNS0_17counting_iteratorIjlEEPS9_SE_NS0_5tupleIJPjSE_EEENSF_IJSE_SE_EEES9_SG_JZNS1_25segmented_radix_sort_implINS0_14default_configELb0EPK6__halfPSL_PKlPlN2at6native12_GLOBAL__N_18offset_tEEE10hipError_tPvRmT1_PNSt15iterator_traitsISZ_E10value_typeET2_T3_PNS10_IS15_E10value_typeET4_jRbjT5_S1B_jjP12ihipStream_tbEUljE_EEESW_SX_SY_S15_S19_S1B_T6_T7_T9_mT8_S1D_bDpT10_ENKUlT_T0_E_clISt17integral_constantIbLb0EES1P_IbLb1EEEEDaS1L_S1M_EUlS1L_E_NS1_11comp_targetILNS1_3genE3ELNS1_11target_archE908ELNS1_3gpuE7ELNS1_3repE0EEENS1_30default_config_static_selectorELNS0_4arch9wavefront6targetE1EEEvSZ_,"axG",@progbits,_ZN7rocprim17ROCPRIM_400000_NS6detail17trampoline_kernelINS0_13select_configILj256ELj13ELNS0_17block_load_methodE3ELS4_3ELS4_3ELNS0_20block_scan_algorithmE0ELj4294967295EEENS1_25partition_config_selectorILNS1_17partition_subalgoE3EjNS0_10empty_typeEbEEZZNS1_14partition_implILS8_3ELb0ES6_jNS0_17counting_iteratorIjlEEPS9_SE_NS0_5tupleIJPjSE_EEENSF_IJSE_SE_EEES9_SG_JZNS1_25segmented_radix_sort_implINS0_14default_configELb0EPK6__halfPSL_PKlPlN2at6native12_GLOBAL__N_18offset_tEEE10hipError_tPvRmT1_PNSt15iterator_traitsISZ_E10value_typeET2_T3_PNS10_IS15_E10value_typeET4_jRbjT5_S1B_jjP12ihipStream_tbEUljE_EEESW_SX_SY_S15_S19_S1B_T6_T7_T9_mT8_S1D_bDpT10_ENKUlT_T0_E_clISt17integral_constantIbLb0EES1P_IbLb1EEEEDaS1L_S1M_EUlS1L_E_NS1_11comp_targetILNS1_3genE3ELNS1_11target_archE908ELNS1_3gpuE7ELNS1_3repE0EEENS1_30default_config_static_selectorELNS0_4arch9wavefront6targetE1EEEvSZ_,comdat
.Lfunc_end1837:
	.size	_ZN7rocprim17ROCPRIM_400000_NS6detail17trampoline_kernelINS0_13select_configILj256ELj13ELNS0_17block_load_methodE3ELS4_3ELS4_3ELNS0_20block_scan_algorithmE0ELj4294967295EEENS1_25partition_config_selectorILNS1_17partition_subalgoE3EjNS0_10empty_typeEbEEZZNS1_14partition_implILS8_3ELb0ES6_jNS0_17counting_iteratorIjlEEPS9_SE_NS0_5tupleIJPjSE_EEENSF_IJSE_SE_EEES9_SG_JZNS1_25segmented_radix_sort_implINS0_14default_configELb0EPK6__halfPSL_PKlPlN2at6native12_GLOBAL__N_18offset_tEEE10hipError_tPvRmT1_PNSt15iterator_traitsISZ_E10value_typeET2_T3_PNS10_IS15_E10value_typeET4_jRbjT5_S1B_jjP12ihipStream_tbEUljE_EEESW_SX_SY_S15_S19_S1B_T6_T7_T9_mT8_S1D_bDpT10_ENKUlT_T0_E_clISt17integral_constantIbLb0EES1P_IbLb1EEEEDaS1L_S1M_EUlS1L_E_NS1_11comp_targetILNS1_3genE3ELNS1_11target_archE908ELNS1_3gpuE7ELNS1_3repE0EEENS1_30default_config_static_selectorELNS0_4arch9wavefront6targetE1EEEvSZ_, .Lfunc_end1837-_ZN7rocprim17ROCPRIM_400000_NS6detail17trampoline_kernelINS0_13select_configILj256ELj13ELNS0_17block_load_methodE3ELS4_3ELS4_3ELNS0_20block_scan_algorithmE0ELj4294967295EEENS1_25partition_config_selectorILNS1_17partition_subalgoE3EjNS0_10empty_typeEbEEZZNS1_14partition_implILS8_3ELb0ES6_jNS0_17counting_iteratorIjlEEPS9_SE_NS0_5tupleIJPjSE_EEENSF_IJSE_SE_EEES9_SG_JZNS1_25segmented_radix_sort_implINS0_14default_configELb0EPK6__halfPSL_PKlPlN2at6native12_GLOBAL__N_18offset_tEEE10hipError_tPvRmT1_PNSt15iterator_traitsISZ_E10value_typeET2_T3_PNS10_IS15_E10value_typeET4_jRbjT5_S1B_jjP12ihipStream_tbEUljE_EEESW_SX_SY_S15_S19_S1B_T6_T7_T9_mT8_S1D_bDpT10_ENKUlT_T0_E_clISt17integral_constantIbLb0EES1P_IbLb1EEEEDaS1L_S1M_EUlS1L_E_NS1_11comp_targetILNS1_3genE3ELNS1_11target_archE908ELNS1_3gpuE7ELNS1_3repE0EEENS1_30default_config_static_selectorELNS0_4arch9wavefront6targetE1EEEvSZ_
                                        ; -- End function
	.set _ZN7rocprim17ROCPRIM_400000_NS6detail17trampoline_kernelINS0_13select_configILj256ELj13ELNS0_17block_load_methodE3ELS4_3ELS4_3ELNS0_20block_scan_algorithmE0ELj4294967295EEENS1_25partition_config_selectorILNS1_17partition_subalgoE3EjNS0_10empty_typeEbEEZZNS1_14partition_implILS8_3ELb0ES6_jNS0_17counting_iteratorIjlEEPS9_SE_NS0_5tupleIJPjSE_EEENSF_IJSE_SE_EEES9_SG_JZNS1_25segmented_radix_sort_implINS0_14default_configELb0EPK6__halfPSL_PKlPlN2at6native12_GLOBAL__N_18offset_tEEE10hipError_tPvRmT1_PNSt15iterator_traitsISZ_E10value_typeET2_T3_PNS10_IS15_E10value_typeET4_jRbjT5_S1B_jjP12ihipStream_tbEUljE_EEESW_SX_SY_S15_S19_S1B_T6_T7_T9_mT8_S1D_bDpT10_ENKUlT_T0_E_clISt17integral_constantIbLb0EES1P_IbLb1EEEEDaS1L_S1M_EUlS1L_E_NS1_11comp_targetILNS1_3genE3ELNS1_11target_archE908ELNS1_3gpuE7ELNS1_3repE0EEENS1_30default_config_static_selectorELNS0_4arch9wavefront6targetE1EEEvSZ_.num_vgpr, 0
	.set _ZN7rocprim17ROCPRIM_400000_NS6detail17trampoline_kernelINS0_13select_configILj256ELj13ELNS0_17block_load_methodE3ELS4_3ELS4_3ELNS0_20block_scan_algorithmE0ELj4294967295EEENS1_25partition_config_selectorILNS1_17partition_subalgoE3EjNS0_10empty_typeEbEEZZNS1_14partition_implILS8_3ELb0ES6_jNS0_17counting_iteratorIjlEEPS9_SE_NS0_5tupleIJPjSE_EEENSF_IJSE_SE_EEES9_SG_JZNS1_25segmented_radix_sort_implINS0_14default_configELb0EPK6__halfPSL_PKlPlN2at6native12_GLOBAL__N_18offset_tEEE10hipError_tPvRmT1_PNSt15iterator_traitsISZ_E10value_typeET2_T3_PNS10_IS15_E10value_typeET4_jRbjT5_S1B_jjP12ihipStream_tbEUljE_EEESW_SX_SY_S15_S19_S1B_T6_T7_T9_mT8_S1D_bDpT10_ENKUlT_T0_E_clISt17integral_constantIbLb0EES1P_IbLb1EEEEDaS1L_S1M_EUlS1L_E_NS1_11comp_targetILNS1_3genE3ELNS1_11target_archE908ELNS1_3gpuE7ELNS1_3repE0EEENS1_30default_config_static_selectorELNS0_4arch9wavefront6targetE1EEEvSZ_.num_agpr, 0
	.set _ZN7rocprim17ROCPRIM_400000_NS6detail17trampoline_kernelINS0_13select_configILj256ELj13ELNS0_17block_load_methodE3ELS4_3ELS4_3ELNS0_20block_scan_algorithmE0ELj4294967295EEENS1_25partition_config_selectorILNS1_17partition_subalgoE3EjNS0_10empty_typeEbEEZZNS1_14partition_implILS8_3ELb0ES6_jNS0_17counting_iteratorIjlEEPS9_SE_NS0_5tupleIJPjSE_EEENSF_IJSE_SE_EEES9_SG_JZNS1_25segmented_radix_sort_implINS0_14default_configELb0EPK6__halfPSL_PKlPlN2at6native12_GLOBAL__N_18offset_tEEE10hipError_tPvRmT1_PNSt15iterator_traitsISZ_E10value_typeET2_T3_PNS10_IS15_E10value_typeET4_jRbjT5_S1B_jjP12ihipStream_tbEUljE_EEESW_SX_SY_S15_S19_S1B_T6_T7_T9_mT8_S1D_bDpT10_ENKUlT_T0_E_clISt17integral_constantIbLb0EES1P_IbLb1EEEEDaS1L_S1M_EUlS1L_E_NS1_11comp_targetILNS1_3genE3ELNS1_11target_archE908ELNS1_3gpuE7ELNS1_3repE0EEENS1_30default_config_static_selectorELNS0_4arch9wavefront6targetE1EEEvSZ_.numbered_sgpr, 0
	.set _ZN7rocprim17ROCPRIM_400000_NS6detail17trampoline_kernelINS0_13select_configILj256ELj13ELNS0_17block_load_methodE3ELS4_3ELS4_3ELNS0_20block_scan_algorithmE0ELj4294967295EEENS1_25partition_config_selectorILNS1_17partition_subalgoE3EjNS0_10empty_typeEbEEZZNS1_14partition_implILS8_3ELb0ES6_jNS0_17counting_iteratorIjlEEPS9_SE_NS0_5tupleIJPjSE_EEENSF_IJSE_SE_EEES9_SG_JZNS1_25segmented_radix_sort_implINS0_14default_configELb0EPK6__halfPSL_PKlPlN2at6native12_GLOBAL__N_18offset_tEEE10hipError_tPvRmT1_PNSt15iterator_traitsISZ_E10value_typeET2_T3_PNS10_IS15_E10value_typeET4_jRbjT5_S1B_jjP12ihipStream_tbEUljE_EEESW_SX_SY_S15_S19_S1B_T6_T7_T9_mT8_S1D_bDpT10_ENKUlT_T0_E_clISt17integral_constantIbLb0EES1P_IbLb1EEEEDaS1L_S1M_EUlS1L_E_NS1_11comp_targetILNS1_3genE3ELNS1_11target_archE908ELNS1_3gpuE7ELNS1_3repE0EEENS1_30default_config_static_selectorELNS0_4arch9wavefront6targetE1EEEvSZ_.num_named_barrier, 0
	.set _ZN7rocprim17ROCPRIM_400000_NS6detail17trampoline_kernelINS0_13select_configILj256ELj13ELNS0_17block_load_methodE3ELS4_3ELS4_3ELNS0_20block_scan_algorithmE0ELj4294967295EEENS1_25partition_config_selectorILNS1_17partition_subalgoE3EjNS0_10empty_typeEbEEZZNS1_14partition_implILS8_3ELb0ES6_jNS0_17counting_iteratorIjlEEPS9_SE_NS0_5tupleIJPjSE_EEENSF_IJSE_SE_EEES9_SG_JZNS1_25segmented_radix_sort_implINS0_14default_configELb0EPK6__halfPSL_PKlPlN2at6native12_GLOBAL__N_18offset_tEEE10hipError_tPvRmT1_PNSt15iterator_traitsISZ_E10value_typeET2_T3_PNS10_IS15_E10value_typeET4_jRbjT5_S1B_jjP12ihipStream_tbEUljE_EEESW_SX_SY_S15_S19_S1B_T6_T7_T9_mT8_S1D_bDpT10_ENKUlT_T0_E_clISt17integral_constantIbLb0EES1P_IbLb1EEEEDaS1L_S1M_EUlS1L_E_NS1_11comp_targetILNS1_3genE3ELNS1_11target_archE908ELNS1_3gpuE7ELNS1_3repE0EEENS1_30default_config_static_selectorELNS0_4arch9wavefront6targetE1EEEvSZ_.private_seg_size, 0
	.set _ZN7rocprim17ROCPRIM_400000_NS6detail17trampoline_kernelINS0_13select_configILj256ELj13ELNS0_17block_load_methodE3ELS4_3ELS4_3ELNS0_20block_scan_algorithmE0ELj4294967295EEENS1_25partition_config_selectorILNS1_17partition_subalgoE3EjNS0_10empty_typeEbEEZZNS1_14partition_implILS8_3ELb0ES6_jNS0_17counting_iteratorIjlEEPS9_SE_NS0_5tupleIJPjSE_EEENSF_IJSE_SE_EEES9_SG_JZNS1_25segmented_radix_sort_implINS0_14default_configELb0EPK6__halfPSL_PKlPlN2at6native12_GLOBAL__N_18offset_tEEE10hipError_tPvRmT1_PNSt15iterator_traitsISZ_E10value_typeET2_T3_PNS10_IS15_E10value_typeET4_jRbjT5_S1B_jjP12ihipStream_tbEUljE_EEESW_SX_SY_S15_S19_S1B_T6_T7_T9_mT8_S1D_bDpT10_ENKUlT_T0_E_clISt17integral_constantIbLb0EES1P_IbLb1EEEEDaS1L_S1M_EUlS1L_E_NS1_11comp_targetILNS1_3genE3ELNS1_11target_archE908ELNS1_3gpuE7ELNS1_3repE0EEENS1_30default_config_static_selectorELNS0_4arch9wavefront6targetE1EEEvSZ_.uses_vcc, 0
	.set _ZN7rocprim17ROCPRIM_400000_NS6detail17trampoline_kernelINS0_13select_configILj256ELj13ELNS0_17block_load_methodE3ELS4_3ELS4_3ELNS0_20block_scan_algorithmE0ELj4294967295EEENS1_25partition_config_selectorILNS1_17partition_subalgoE3EjNS0_10empty_typeEbEEZZNS1_14partition_implILS8_3ELb0ES6_jNS0_17counting_iteratorIjlEEPS9_SE_NS0_5tupleIJPjSE_EEENSF_IJSE_SE_EEES9_SG_JZNS1_25segmented_radix_sort_implINS0_14default_configELb0EPK6__halfPSL_PKlPlN2at6native12_GLOBAL__N_18offset_tEEE10hipError_tPvRmT1_PNSt15iterator_traitsISZ_E10value_typeET2_T3_PNS10_IS15_E10value_typeET4_jRbjT5_S1B_jjP12ihipStream_tbEUljE_EEESW_SX_SY_S15_S19_S1B_T6_T7_T9_mT8_S1D_bDpT10_ENKUlT_T0_E_clISt17integral_constantIbLb0EES1P_IbLb1EEEEDaS1L_S1M_EUlS1L_E_NS1_11comp_targetILNS1_3genE3ELNS1_11target_archE908ELNS1_3gpuE7ELNS1_3repE0EEENS1_30default_config_static_selectorELNS0_4arch9wavefront6targetE1EEEvSZ_.uses_flat_scratch, 0
	.set _ZN7rocprim17ROCPRIM_400000_NS6detail17trampoline_kernelINS0_13select_configILj256ELj13ELNS0_17block_load_methodE3ELS4_3ELS4_3ELNS0_20block_scan_algorithmE0ELj4294967295EEENS1_25partition_config_selectorILNS1_17partition_subalgoE3EjNS0_10empty_typeEbEEZZNS1_14partition_implILS8_3ELb0ES6_jNS0_17counting_iteratorIjlEEPS9_SE_NS0_5tupleIJPjSE_EEENSF_IJSE_SE_EEES9_SG_JZNS1_25segmented_radix_sort_implINS0_14default_configELb0EPK6__halfPSL_PKlPlN2at6native12_GLOBAL__N_18offset_tEEE10hipError_tPvRmT1_PNSt15iterator_traitsISZ_E10value_typeET2_T3_PNS10_IS15_E10value_typeET4_jRbjT5_S1B_jjP12ihipStream_tbEUljE_EEESW_SX_SY_S15_S19_S1B_T6_T7_T9_mT8_S1D_bDpT10_ENKUlT_T0_E_clISt17integral_constantIbLb0EES1P_IbLb1EEEEDaS1L_S1M_EUlS1L_E_NS1_11comp_targetILNS1_3genE3ELNS1_11target_archE908ELNS1_3gpuE7ELNS1_3repE0EEENS1_30default_config_static_selectorELNS0_4arch9wavefront6targetE1EEEvSZ_.has_dyn_sized_stack, 0
	.set _ZN7rocprim17ROCPRIM_400000_NS6detail17trampoline_kernelINS0_13select_configILj256ELj13ELNS0_17block_load_methodE3ELS4_3ELS4_3ELNS0_20block_scan_algorithmE0ELj4294967295EEENS1_25partition_config_selectorILNS1_17partition_subalgoE3EjNS0_10empty_typeEbEEZZNS1_14partition_implILS8_3ELb0ES6_jNS0_17counting_iteratorIjlEEPS9_SE_NS0_5tupleIJPjSE_EEENSF_IJSE_SE_EEES9_SG_JZNS1_25segmented_radix_sort_implINS0_14default_configELb0EPK6__halfPSL_PKlPlN2at6native12_GLOBAL__N_18offset_tEEE10hipError_tPvRmT1_PNSt15iterator_traitsISZ_E10value_typeET2_T3_PNS10_IS15_E10value_typeET4_jRbjT5_S1B_jjP12ihipStream_tbEUljE_EEESW_SX_SY_S15_S19_S1B_T6_T7_T9_mT8_S1D_bDpT10_ENKUlT_T0_E_clISt17integral_constantIbLb0EES1P_IbLb1EEEEDaS1L_S1M_EUlS1L_E_NS1_11comp_targetILNS1_3genE3ELNS1_11target_archE908ELNS1_3gpuE7ELNS1_3repE0EEENS1_30default_config_static_selectorELNS0_4arch9wavefront6targetE1EEEvSZ_.has_recursion, 0
	.set _ZN7rocprim17ROCPRIM_400000_NS6detail17trampoline_kernelINS0_13select_configILj256ELj13ELNS0_17block_load_methodE3ELS4_3ELS4_3ELNS0_20block_scan_algorithmE0ELj4294967295EEENS1_25partition_config_selectorILNS1_17partition_subalgoE3EjNS0_10empty_typeEbEEZZNS1_14partition_implILS8_3ELb0ES6_jNS0_17counting_iteratorIjlEEPS9_SE_NS0_5tupleIJPjSE_EEENSF_IJSE_SE_EEES9_SG_JZNS1_25segmented_radix_sort_implINS0_14default_configELb0EPK6__halfPSL_PKlPlN2at6native12_GLOBAL__N_18offset_tEEE10hipError_tPvRmT1_PNSt15iterator_traitsISZ_E10value_typeET2_T3_PNS10_IS15_E10value_typeET4_jRbjT5_S1B_jjP12ihipStream_tbEUljE_EEESW_SX_SY_S15_S19_S1B_T6_T7_T9_mT8_S1D_bDpT10_ENKUlT_T0_E_clISt17integral_constantIbLb0EES1P_IbLb1EEEEDaS1L_S1M_EUlS1L_E_NS1_11comp_targetILNS1_3genE3ELNS1_11target_archE908ELNS1_3gpuE7ELNS1_3repE0EEENS1_30default_config_static_selectorELNS0_4arch9wavefront6targetE1EEEvSZ_.has_indirect_call, 0
	.section	.AMDGPU.csdata,"",@progbits
; Kernel info:
; codeLenInByte = 0
; TotalNumSgprs: 4
; NumVgprs: 0
; ScratchSize: 0
; MemoryBound: 0
; FloatMode: 240
; IeeeMode: 1
; LDSByteSize: 0 bytes/workgroup (compile time only)
; SGPRBlocks: 0
; VGPRBlocks: 0
; NumSGPRsForWavesPerEU: 4
; NumVGPRsForWavesPerEU: 1
; Occupancy: 10
; WaveLimiterHint : 0
; COMPUTE_PGM_RSRC2:SCRATCH_EN: 0
; COMPUTE_PGM_RSRC2:USER_SGPR: 6
; COMPUTE_PGM_RSRC2:TRAP_HANDLER: 0
; COMPUTE_PGM_RSRC2:TGID_X_EN: 1
; COMPUTE_PGM_RSRC2:TGID_Y_EN: 0
; COMPUTE_PGM_RSRC2:TGID_Z_EN: 0
; COMPUTE_PGM_RSRC2:TIDIG_COMP_CNT: 0
	.section	.text._ZN7rocprim17ROCPRIM_400000_NS6detail17trampoline_kernelINS0_13select_configILj256ELj13ELNS0_17block_load_methodE3ELS4_3ELS4_3ELNS0_20block_scan_algorithmE0ELj4294967295EEENS1_25partition_config_selectorILNS1_17partition_subalgoE3EjNS0_10empty_typeEbEEZZNS1_14partition_implILS8_3ELb0ES6_jNS0_17counting_iteratorIjlEEPS9_SE_NS0_5tupleIJPjSE_EEENSF_IJSE_SE_EEES9_SG_JZNS1_25segmented_radix_sort_implINS0_14default_configELb0EPK6__halfPSL_PKlPlN2at6native12_GLOBAL__N_18offset_tEEE10hipError_tPvRmT1_PNSt15iterator_traitsISZ_E10value_typeET2_T3_PNS10_IS15_E10value_typeET4_jRbjT5_S1B_jjP12ihipStream_tbEUljE_EEESW_SX_SY_S15_S19_S1B_T6_T7_T9_mT8_S1D_bDpT10_ENKUlT_T0_E_clISt17integral_constantIbLb0EES1P_IbLb1EEEEDaS1L_S1M_EUlS1L_E_NS1_11comp_targetILNS1_3genE2ELNS1_11target_archE906ELNS1_3gpuE6ELNS1_3repE0EEENS1_30default_config_static_selectorELNS0_4arch9wavefront6targetE1EEEvSZ_,"axG",@progbits,_ZN7rocprim17ROCPRIM_400000_NS6detail17trampoline_kernelINS0_13select_configILj256ELj13ELNS0_17block_load_methodE3ELS4_3ELS4_3ELNS0_20block_scan_algorithmE0ELj4294967295EEENS1_25partition_config_selectorILNS1_17partition_subalgoE3EjNS0_10empty_typeEbEEZZNS1_14partition_implILS8_3ELb0ES6_jNS0_17counting_iteratorIjlEEPS9_SE_NS0_5tupleIJPjSE_EEENSF_IJSE_SE_EEES9_SG_JZNS1_25segmented_radix_sort_implINS0_14default_configELb0EPK6__halfPSL_PKlPlN2at6native12_GLOBAL__N_18offset_tEEE10hipError_tPvRmT1_PNSt15iterator_traitsISZ_E10value_typeET2_T3_PNS10_IS15_E10value_typeET4_jRbjT5_S1B_jjP12ihipStream_tbEUljE_EEESW_SX_SY_S15_S19_S1B_T6_T7_T9_mT8_S1D_bDpT10_ENKUlT_T0_E_clISt17integral_constantIbLb0EES1P_IbLb1EEEEDaS1L_S1M_EUlS1L_E_NS1_11comp_targetILNS1_3genE2ELNS1_11target_archE906ELNS1_3gpuE6ELNS1_3repE0EEENS1_30default_config_static_selectorELNS0_4arch9wavefront6targetE1EEEvSZ_,comdat
	.globl	_ZN7rocprim17ROCPRIM_400000_NS6detail17trampoline_kernelINS0_13select_configILj256ELj13ELNS0_17block_load_methodE3ELS4_3ELS4_3ELNS0_20block_scan_algorithmE0ELj4294967295EEENS1_25partition_config_selectorILNS1_17partition_subalgoE3EjNS0_10empty_typeEbEEZZNS1_14partition_implILS8_3ELb0ES6_jNS0_17counting_iteratorIjlEEPS9_SE_NS0_5tupleIJPjSE_EEENSF_IJSE_SE_EEES9_SG_JZNS1_25segmented_radix_sort_implINS0_14default_configELb0EPK6__halfPSL_PKlPlN2at6native12_GLOBAL__N_18offset_tEEE10hipError_tPvRmT1_PNSt15iterator_traitsISZ_E10value_typeET2_T3_PNS10_IS15_E10value_typeET4_jRbjT5_S1B_jjP12ihipStream_tbEUljE_EEESW_SX_SY_S15_S19_S1B_T6_T7_T9_mT8_S1D_bDpT10_ENKUlT_T0_E_clISt17integral_constantIbLb0EES1P_IbLb1EEEEDaS1L_S1M_EUlS1L_E_NS1_11comp_targetILNS1_3genE2ELNS1_11target_archE906ELNS1_3gpuE6ELNS1_3repE0EEENS1_30default_config_static_selectorELNS0_4arch9wavefront6targetE1EEEvSZ_ ; -- Begin function _ZN7rocprim17ROCPRIM_400000_NS6detail17trampoline_kernelINS0_13select_configILj256ELj13ELNS0_17block_load_methodE3ELS4_3ELS4_3ELNS0_20block_scan_algorithmE0ELj4294967295EEENS1_25partition_config_selectorILNS1_17partition_subalgoE3EjNS0_10empty_typeEbEEZZNS1_14partition_implILS8_3ELb0ES6_jNS0_17counting_iteratorIjlEEPS9_SE_NS0_5tupleIJPjSE_EEENSF_IJSE_SE_EEES9_SG_JZNS1_25segmented_radix_sort_implINS0_14default_configELb0EPK6__halfPSL_PKlPlN2at6native12_GLOBAL__N_18offset_tEEE10hipError_tPvRmT1_PNSt15iterator_traitsISZ_E10value_typeET2_T3_PNS10_IS15_E10value_typeET4_jRbjT5_S1B_jjP12ihipStream_tbEUljE_EEESW_SX_SY_S15_S19_S1B_T6_T7_T9_mT8_S1D_bDpT10_ENKUlT_T0_E_clISt17integral_constantIbLb0EES1P_IbLb1EEEEDaS1L_S1M_EUlS1L_E_NS1_11comp_targetILNS1_3genE2ELNS1_11target_archE906ELNS1_3gpuE6ELNS1_3repE0EEENS1_30default_config_static_selectorELNS0_4arch9wavefront6targetE1EEEvSZ_
	.p2align	8
	.type	_ZN7rocprim17ROCPRIM_400000_NS6detail17trampoline_kernelINS0_13select_configILj256ELj13ELNS0_17block_load_methodE3ELS4_3ELS4_3ELNS0_20block_scan_algorithmE0ELj4294967295EEENS1_25partition_config_selectorILNS1_17partition_subalgoE3EjNS0_10empty_typeEbEEZZNS1_14partition_implILS8_3ELb0ES6_jNS0_17counting_iteratorIjlEEPS9_SE_NS0_5tupleIJPjSE_EEENSF_IJSE_SE_EEES9_SG_JZNS1_25segmented_radix_sort_implINS0_14default_configELb0EPK6__halfPSL_PKlPlN2at6native12_GLOBAL__N_18offset_tEEE10hipError_tPvRmT1_PNSt15iterator_traitsISZ_E10value_typeET2_T3_PNS10_IS15_E10value_typeET4_jRbjT5_S1B_jjP12ihipStream_tbEUljE_EEESW_SX_SY_S15_S19_S1B_T6_T7_T9_mT8_S1D_bDpT10_ENKUlT_T0_E_clISt17integral_constantIbLb0EES1P_IbLb1EEEEDaS1L_S1M_EUlS1L_E_NS1_11comp_targetILNS1_3genE2ELNS1_11target_archE906ELNS1_3gpuE6ELNS1_3repE0EEENS1_30default_config_static_selectorELNS0_4arch9wavefront6targetE1EEEvSZ_,@function
_ZN7rocprim17ROCPRIM_400000_NS6detail17trampoline_kernelINS0_13select_configILj256ELj13ELNS0_17block_load_methodE3ELS4_3ELS4_3ELNS0_20block_scan_algorithmE0ELj4294967295EEENS1_25partition_config_selectorILNS1_17partition_subalgoE3EjNS0_10empty_typeEbEEZZNS1_14partition_implILS8_3ELb0ES6_jNS0_17counting_iteratorIjlEEPS9_SE_NS0_5tupleIJPjSE_EEENSF_IJSE_SE_EEES9_SG_JZNS1_25segmented_radix_sort_implINS0_14default_configELb0EPK6__halfPSL_PKlPlN2at6native12_GLOBAL__N_18offset_tEEE10hipError_tPvRmT1_PNSt15iterator_traitsISZ_E10value_typeET2_T3_PNS10_IS15_E10value_typeET4_jRbjT5_S1B_jjP12ihipStream_tbEUljE_EEESW_SX_SY_S15_S19_S1B_T6_T7_T9_mT8_S1D_bDpT10_ENKUlT_T0_E_clISt17integral_constantIbLb0EES1P_IbLb1EEEEDaS1L_S1M_EUlS1L_E_NS1_11comp_targetILNS1_3genE2ELNS1_11target_archE906ELNS1_3gpuE6ELNS1_3repE0EEENS1_30default_config_static_selectorELNS0_4arch9wavefront6targetE1EEEvSZ_: ; @_ZN7rocprim17ROCPRIM_400000_NS6detail17trampoline_kernelINS0_13select_configILj256ELj13ELNS0_17block_load_methodE3ELS4_3ELS4_3ELNS0_20block_scan_algorithmE0ELj4294967295EEENS1_25partition_config_selectorILNS1_17partition_subalgoE3EjNS0_10empty_typeEbEEZZNS1_14partition_implILS8_3ELb0ES6_jNS0_17counting_iteratorIjlEEPS9_SE_NS0_5tupleIJPjSE_EEENSF_IJSE_SE_EEES9_SG_JZNS1_25segmented_radix_sort_implINS0_14default_configELb0EPK6__halfPSL_PKlPlN2at6native12_GLOBAL__N_18offset_tEEE10hipError_tPvRmT1_PNSt15iterator_traitsISZ_E10value_typeET2_T3_PNS10_IS15_E10value_typeET4_jRbjT5_S1B_jjP12ihipStream_tbEUljE_EEESW_SX_SY_S15_S19_S1B_T6_T7_T9_mT8_S1D_bDpT10_ENKUlT_T0_E_clISt17integral_constantIbLb0EES1P_IbLb1EEEEDaS1L_S1M_EUlS1L_E_NS1_11comp_targetILNS1_3genE2ELNS1_11target_archE906ELNS1_3gpuE6ELNS1_3repE0EEENS1_30default_config_static_selectorELNS0_4arch9wavefront6targetE1EEEvSZ_
; %bb.0:
	s_load_dwordx2 s[28:29], s[4:5], 0x10
	s_load_dwordx2 s[22:23], s[4:5], 0x28
	;; [unrolled: 1-line block ×3, first 2 shown]
	s_load_dwordx4 s[24:27], s[4:5], 0x48
	s_load_dword s14, s[4:5], 0x90
	s_load_dwordx2 s[34:35], s[4:5], 0x68
	s_load_dwordx4 s[8:11], s[4:5], 0x80
	v_cmp_eq_u32_e64 s[0:1], 0, v0
	s_and_saveexec_b64 s[2:3], s[0:1]
	s_cbranch_execz .LBB1838_4
; %bb.1:
	s_mov_b64 s[12:13], exec
	v_mbcnt_lo_u32_b32 v1, s12, 0
	v_mbcnt_hi_u32_b32 v1, s13, v1
	v_cmp_eq_u32_e32 vcc, 0, v1
                                        ; implicit-def: $vgpr2
	s_and_saveexec_b64 s[6:7], vcc
	s_cbranch_execz .LBB1838_3
; %bb.2:
	s_load_dwordx2 s[16:17], s[4:5], 0x78
	s_bcnt1_i32_b64 s12, s[12:13]
	v_mov_b32_e32 v2, 0
	v_mov_b32_e32 v3, s12
	s_waitcnt lgkmcnt(0)
	global_atomic_add v2, v2, v3, s[16:17] glc
.LBB1838_3:
	s_or_b64 exec, exec, s[6:7]
	s_waitcnt vmcnt(0)
	v_readfirstlane_b32 s6, v2
	v_add_u32_e32 v1, s6, v1
	v_mov_b32_e32 v2, 0
	ds_write_b32 v2, v1
.LBB1838_4:
	s_or_b64 exec, exec, s[2:3]
	v_mov_b32_e32 v1, 0
	s_load_dword s6, s[4:5], 0x8
	s_load_dword s2, s[4:5], 0x70
	s_waitcnt lgkmcnt(0)
	s_barrier
	ds_read_b32 v5, v1
	s_waitcnt lgkmcnt(0)
	s_barrier
	global_load_dwordx2 v[3:4], v1, s[26:27]
	s_add_i32 s4, s2, -1
	s_mulk_i32 s2, 0xd00
	s_add_i32 s3, s2, s28
	s_sub_i32 s33, s30, s3
	s_add_i32 s6, s6, s28
	s_addk_i32 s33, 0xd00
	s_add_u32 s2, s28, s2
	s_addc_u32 s3, s29, 0
	v_mov_b32_e32 v1, s2
	v_mov_b32_e32 v2, s3
	v_readfirstlane_b32 s43, v5
	v_cmp_gt_u64_e32 vcc, s[30:31], v[1:2]
	s_cmp_eq_u32 s43, s4
	v_cmp_ne_u32_e64 s[2:3], s4, v5
	s_cselect_b64 s[26:27], -1, 0
	s_or_b64 s[4:5], vcc, s[2:3]
	s_mul_i32 s42, s43, 0xd00
	s_mov_b64 s[2:3], -1
	s_and_b64 vcc, exec, s[4:5]
	v_lshlrev_b32_e32 v25, 2, v0
	s_cbranch_vccz .LBB1838_6
; %bb.5:
	s_add_i32 s2, s42, s6
	v_add_u32_e32 v1, s2, v0
	v_add_u32_e32 v2, 0x100, v1
	;; [unrolled: 1-line block ×13, first 2 shown]
	ds_write2st64_b32 v25, v1, v2 offset1:4
	ds_write2st64_b32 v25, v5, v6 offset0:8 offset1:12
	ds_write2st64_b32 v25, v7, v8 offset0:16 offset1:20
	;; [unrolled: 1-line block ×5, first 2 shown]
	ds_write_b32 v25, v15 offset:12288
	s_waitcnt vmcnt(0) lgkmcnt(0)
	s_barrier
	s_mov_b64 s[2:3], 0
.LBB1838_6:
	s_andn2_b64 vcc, exec, s[2:3]
	v_cmp_gt_u32_e64 s[2:3], s33, v0
	s_cbranch_vccnz .LBB1838_8
; %bb.7:
	s_add_i32 s6, s42, s6
	v_or_b32_e32 v2, 0x100, v0
	v_add_u32_e32 v5, s6, v2
	v_cmp_gt_u32_e32 vcc, s33, v2
	v_cndmask_b32_e32 v2, 0, v5, vcc
	v_or_b32_e32 v5, 0x200, v0
	v_add_u32_e32 v6, s6, v5
	v_cmp_gt_u32_e32 vcc, s33, v5
	v_cndmask_b32_e32 v5, 0, v6, vcc
	;; [unrolled: 4-line block ×10, first 2 shown]
	v_or_b32_e32 v14, 0xb00, v0
	v_add_u32_e32 v15, s6, v14
	v_cmp_gt_u32_e32 vcc, s33, v14
	v_add_u32_e32 v1, s6, v0
	v_cndmask_b32_e32 v14, 0, v15, vcc
	v_or_b32_e32 v15, 0xc00, v0
	v_cndmask_b32_e64 v1, 0, v1, s[2:3]
	v_add_u32_e32 v16, s6, v15
	v_cmp_gt_u32_e32 vcc, s33, v15
	v_cndmask_b32_e32 v15, 0, v16, vcc
	ds_write2st64_b32 v25, v1, v2 offset1:4
	ds_write2st64_b32 v25, v5, v6 offset0:8 offset1:12
	ds_write2st64_b32 v25, v7, v8 offset0:16 offset1:20
	;; [unrolled: 1-line block ×5, first 2 shown]
	ds_write_b32 v25, v15 offset:12288
	s_waitcnt vmcnt(0) lgkmcnt(0)
	s_barrier
.LBB1838_8:
	v_mul_u32_u24_e32 v27, 13, v0
	v_lshlrev_b32_e32 v1, 2, v27
	ds_read2_b32 v[15:16], v1 offset1:1
	ds_read2_b32 v[13:14], v1 offset0:2 offset1:3
	ds_read2_b32 v[11:12], v1 offset0:4 offset1:5
	;; [unrolled: 1-line block ×5, first 2 shown]
	ds_read_b32 v26, v1 offset:48
	v_cndmask_b32_e64 v1, 0, 1, s[4:5]
	v_cmp_ne_u32_e64 s[2:3], 1, v1
	s_andn2_b64 vcc, exec, s[4:5]
	s_waitcnt vmcnt(0) lgkmcnt(0)
	s_barrier
	s_cbranch_vccnz .LBB1838_10
; %bb.9:
	v_add_u32_e32 v1, s9, v15
	v_add_u32_e32 v2, s11, v15
	v_mul_lo_u32 v1, v1, s8
	v_mul_lo_u32 v2, v2, s10
	v_add_u32_e32 v17, s9, v13
	v_add_u32_e32 v18, s11, v13
	v_mul_lo_u32 v17, v17, s8
	v_sub_u32_e32 v1, v1, v2
	v_cmp_lt_u32_e32 vcc, s14, v1
	v_add_u32_e32 v1, s9, v16
	v_add_u32_e32 v2, s11, v16
	v_mul_lo_u32 v1, v1, s8
	v_mul_lo_u32 v2, v2, s10
	;; [unrolled: 1-line block ×3, first 2 shown]
	v_cndmask_b32_e64 v28, 0, 1, vcc
	v_sub_u32_e32 v1, v1, v2
	v_cmp_lt_u32_e32 vcc, s14, v1
	v_sub_u32_e32 v1, v17, v18
	v_cndmask_b32_e64 v29, 0, 1, vcc
	v_cmp_lt_u32_e32 vcc, s14, v1
	v_add_u32_e32 v1, s9, v14
	v_add_u32_e32 v2, s11, v14
	v_mul_lo_u32 v1, v1, s8
	v_mul_lo_u32 v2, v2, s10
	v_add_u32_e32 v17, s9, v11
	v_add_u32_e32 v18, s11, v11
	v_mul_lo_u32 v17, v17, s8
	v_mul_lo_u32 v18, v18, s10
	v_sub_u32_e32 v1, v1, v2
	v_cndmask_b32_e64 v30, 0, 1, vcc
	v_cmp_lt_u32_e32 vcc, s14, v1
	v_sub_u32_e32 v1, v17, v18
	v_cndmask_b32_e64 v31, 0, 1, vcc
	v_cmp_lt_u32_e32 vcc, s14, v1
	v_add_u32_e32 v1, s9, v12
	v_add_u32_e32 v2, s11, v12
	v_mul_lo_u32 v1, v1, s8
	v_mul_lo_u32 v2, v2, s10
	v_add_u32_e32 v17, s9, v9
	v_add_u32_e32 v18, s11, v9
	v_mul_lo_u32 v17, v17, s8
	v_mul_lo_u32 v18, v18, s10
	v_sub_u32_e32 v1, v1, v2
	v_cndmask_b32_e64 v32, 0, 1, vcc
	;; [unrolled: 14-line block ×5, first 2 shown]
	v_cmp_lt_u32_e32 vcc, s14, v1
	v_sub_u32_e32 v1, v17, v18
	v_cndmask_b32_e64 v39, 0, 1, vcc
	v_cmp_lt_u32_e64 s[36:37], s14, v1
	s_cbranch_execz .LBB1838_11
	s_branch .LBB1838_38
.LBB1838_10:
                                        ; implicit-def: $sgpr36_sgpr37
                                        ; implicit-def: $vgpr39
                                        ; implicit-def: $vgpr38
                                        ; implicit-def: $vgpr37
                                        ; implicit-def: $vgpr36
                                        ; implicit-def: $vgpr35
                                        ; implicit-def: $vgpr34
                                        ; implicit-def: $vgpr33
                                        ; implicit-def: $vgpr32
                                        ; implicit-def: $vgpr28
                                        ; implicit-def: $vgpr29
                                        ; implicit-def: $vgpr30
                                        ; implicit-def: $vgpr31
.LBB1838_11:
	v_cmp_gt_u32_e32 vcc, s33, v27
	v_mov_b32_e32 v29, 0
	v_mov_b32_e32 v28, 0
	s_and_saveexec_b64 s[4:5], vcc
	s_cbranch_execz .LBB1838_13
; %bb.12:
	v_add_u32_e32 v1, s9, v15
	v_add_u32_e32 v2, s11, v15
	v_mul_lo_u32 v1, v1, s8
	v_mul_lo_u32 v2, v2, s10
	v_sub_u32_e32 v1, v1, v2
	v_cmp_lt_u32_e32 vcc, s14, v1
	v_cndmask_b32_e64 v28, 0, 1, vcc
.LBB1838_13:
	s_or_b64 exec, exec, s[4:5]
	v_add_u32_e32 v1, 1, v27
	v_cmp_gt_u32_e32 vcc, s33, v1
	s_and_saveexec_b64 s[4:5], vcc
	s_cbranch_execz .LBB1838_15
; %bb.14:
	v_add_u32_e32 v1, s9, v16
	v_add_u32_e32 v2, s11, v16
	v_mul_lo_u32 v1, v1, s8
	v_mul_lo_u32 v2, v2, s10
	v_sub_u32_e32 v1, v1, v2
	v_cmp_lt_u32_e32 vcc, s14, v1
	v_cndmask_b32_e64 v29, 0, 1, vcc
.LBB1838_15:
	s_or_b64 exec, exec, s[4:5]
	v_add_u32_e32 v1, 2, v27
	v_cmp_gt_u32_e32 vcc, s33, v1
	v_mov_b32_e32 v31, 0
	v_mov_b32_e32 v30, 0
	s_and_saveexec_b64 s[4:5], vcc
	s_cbranch_execz .LBB1838_17
; %bb.16:
	v_add_u32_e32 v1, s9, v13
	v_add_u32_e32 v2, s11, v13
	v_mul_lo_u32 v1, v1, s8
	v_mul_lo_u32 v2, v2, s10
	v_sub_u32_e32 v1, v1, v2
	v_cmp_lt_u32_e32 vcc, s14, v1
	v_cndmask_b32_e64 v30, 0, 1, vcc
.LBB1838_17:
	s_or_b64 exec, exec, s[4:5]
	v_add_u32_e32 v1, 3, v27
	v_cmp_gt_u32_e32 vcc, s33, v1
	s_and_saveexec_b64 s[4:5], vcc
	s_cbranch_execz .LBB1838_19
; %bb.18:
	v_add_u32_e32 v1, s9, v14
	v_add_u32_e32 v2, s11, v14
	v_mul_lo_u32 v1, v1, s8
	v_mul_lo_u32 v2, v2, s10
	v_sub_u32_e32 v1, v1, v2
	v_cmp_lt_u32_e32 vcc, s14, v1
	v_cndmask_b32_e64 v31, 0, 1, vcc
.LBB1838_19:
	s_or_b64 exec, exec, s[4:5]
	v_add_u32_e32 v1, 4, v27
	;; [unrolled: 30-line block ×6, first 2 shown]
	v_cmp_gt_u32_e32 vcc, s33, v1
	s_mov_b64 s[36:37], 0
	s_and_saveexec_b64 s[4:5], vcc
	s_cbranch_execz .LBB1838_37
; %bb.36:
	v_add_u32_e32 v1, s9, v26
	v_add_u32_e32 v2, s11, v26
	v_mul_lo_u32 v1, v1, s8
	v_mul_lo_u32 v2, v2, s10
	v_sub_u32_e32 v1, v1, v2
	v_cmp_lt_u32_e32 vcc, s14, v1
	s_and_b64 s[36:37], vcc, exec
.LBB1838_37:
	s_or_b64 exec, exec, s[4:5]
.LBB1838_38:
	v_and_b32_e32 v42, 0xff, v29
	v_and_b32_e32 v43, 0xff, v30
	;; [unrolled: 1-line block ×5, first 2 shown]
	v_add3_u32 v2, v43, v44, v42
	v_and_b32_e32 v46, 0xff, v33
	v_and_b32_e32 v47, 0xff, v34
	v_add3_u32 v2, v2, v41, v45
	v_and_b32_e32 v48, 0xff, v35
	v_and_b32_e32 v49, 0xff, v36
	;; [unrolled: 3-line block ×3, first 2 shown]
	v_add3_u32 v2, v2, v48, v49
	v_and_b32_e32 v40, 0xff, v39
	v_cndmask_b32_e64 v1, 0, 1, s[36:37]
	v_add3_u32 v2, v2, v50, v51
	v_add3_u32 v54, v2, v40, v1
	v_mbcnt_lo_u32_b32 v1, -1, 0
	v_mbcnt_hi_u32_b32 v52, -1, v1
	v_and_b32_e32 v1, 15, v52
	v_cmp_eq_u32_e64 s[16:17], 0, v1
	v_cmp_lt_u32_e64 s[14:15], 1, v1
	v_cmp_lt_u32_e64 s[12:13], 3, v1
	;; [unrolled: 1-line block ×3, first 2 shown]
	v_and_b32_e32 v1, 16, v52
	v_cmp_eq_u32_e64 s[8:9], 0, v1
	v_or_b32_e32 v1, 63, v0
	s_cmp_lg_u32 s43, 0
	v_cmp_lt_u32_e64 s[4:5], 31, v52
	v_lshrrev_b32_e32 v53, 6, v0
	v_cmp_eq_u32_e64 s[6:7], v0, v1
	s_cbranch_scc0 .LBB1838_60
; %bb.39:
	v_mov_b32_dpp v1, v54 row_shr:1 row_mask:0xf bank_mask:0xf
	v_cndmask_b32_e64 v1, v1, 0, s[16:17]
	v_add_u32_e32 v1, v1, v54
	s_nop 1
	v_mov_b32_dpp v2, v1 row_shr:2 row_mask:0xf bank_mask:0xf
	v_cndmask_b32_e64 v2, 0, v2, s[14:15]
	v_add_u32_e32 v1, v1, v2
	s_nop 1
	v_mov_b32_dpp v2, v1 row_shr:4 row_mask:0xf bank_mask:0xf
	v_cndmask_b32_e64 v2, 0, v2, s[12:13]
	v_add_u32_e32 v1, v1, v2
	s_nop 1
	v_mov_b32_dpp v2, v1 row_shr:8 row_mask:0xf bank_mask:0xf
	v_cndmask_b32_e64 v2, 0, v2, s[10:11]
	v_add_u32_e32 v1, v1, v2
	s_nop 1
	v_mov_b32_dpp v2, v1 row_bcast:15 row_mask:0xf bank_mask:0xf
	v_cndmask_b32_e64 v2, v2, 0, s[8:9]
	v_add_u32_e32 v1, v1, v2
	s_nop 1
	v_mov_b32_dpp v2, v1 row_bcast:31 row_mask:0xf bank_mask:0xf
	v_cndmask_b32_e64 v2, 0, v2, s[4:5]
	v_add_u32_e32 v1, v1, v2
	s_and_saveexec_b64 s[18:19], s[6:7]
; %bb.40:
	v_lshlrev_b32_e32 v2, 2, v53
	ds_write_b32 v2, v1
; %bb.41:
	s_or_b64 exec, exec, s[18:19]
	v_cmp_gt_u32_e32 vcc, 4, v0
	s_waitcnt lgkmcnt(0)
	s_barrier
	s_and_saveexec_b64 s[18:19], vcc
	s_cbranch_execz .LBB1838_43
; %bb.42:
	ds_read_b32 v2, v25
	v_and_b32_e32 v17, 3, v52
	v_cmp_ne_u32_e32 vcc, 0, v17
	s_waitcnt lgkmcnt(0)
	v_mov_b32_dpp v18, v2 row_shr:1 row_mask:0xf bank_mask:0xf
	v_cndmask_b32_e32 v18, 0, v18, vcc
	v_add_u32_e32 v2, v18, v2
	v_cmp_lt_u32_e32 vcc, 1, v17
	s_nop 0
	v_mov_b32_dpp v18, v2 row_shr:2 row_mask:0xf bank_mask:0xf
	v_cndmask_b32_e32 v17, 0, v18, vcc
	v_add_u32_e32 v2, v2, v17
	ds_write_b32 v25, v2
.LBB1838_43:
	s_or_b64 exec, exec, s[18:19]
	v_cmp_gt_u32_e32 vcc, 64, v0
	v_cmp_lt_u32_e64 s[18:19], 63, v0
	s_waitcnt lgkmcnt(0)
	s_barrier
                                        ; implicit-def: $vgpr55
	s_and_saveexec_b64 s[20:21], s[18:19]
	s_cbranch_execz .LBB1838_45
; %bb.44:
	v_lshl_add_u32 v2, v53, 2, -4
	ds_read_b32 v55, v2
	s_waitcnt lgkmcnt(0)
	v_add_u32_e32 v1, v55, v1
.LBB1838_45:
	s_or_b64 exec, exec, s[20:21]
	v_subrev_co_u32_e64 v2, s[18:19], 1, v52
	v_and_b32_e32 v17, 64, v52
	v_cmp_lt_i32_e64 s[20:21], v2, v17
	v_cndmask_b32_e64 v2, v2, v52, s[20:21]
	v_lshlrev_b32_e32 v2, 2, v2
	ds_bpermute_b32 v56, v2, v1
	s_and_saveexec_b64 s[20:21], vcc
	s_cbranch_execz .LBB1838_65
; %bb.46:
	v_mov_b32_e32 v21, 0
	ds_read_b32 v1, v21 offset:12
	s_and_saveexec_b64 s[38:39], s[18:19]
	s_cbranch_execz .LBB1838_48
; %bb.47:
	s_add_i32 s40, s43, 64
	s_mov_b32 s41, 0
	s_lshl_b64 s[40:41], s[40:41], 3
	s_add_u32 s40, s34, s40
	v_mov_b32_e32 v2, 1
	s_addc_u32 s41, s35, s41
	s_waitcnt lgkmcnt(0)
	global_store_dwordx2 v21, v[1:2], s[40:41]
.LBB1838_48:
	s_or_b64 exec, exec, s[38:39]
	v_xad_u32 v17, v52, -1, s43
	v_add_u32_e32 v20, 64, v17
	v_lshlrev_b64 v[18:19], 3, v[20:21]
	v_mov_b32_e32 v2, s35
	v_add_co_u32_e32 v22, vcc, s34, v18
	v_addc_co_u32_e32 v23, vcc, v2, v19, vcc
	global_load_dwordx2 v[19:20], v[22:23], off glc
	s_waitcnt vmcnt(0)
	v_cmp_eq_u16_sdwa s[40:41], v20, v21 src0_sel:BYTE_0 src1_sel:DWORD
	s_and_saveexec_b64 s[38:39], s[40:41]
	s_cbranch_execz .LBB1838_52
; %bb.49:
	s_mov_b64 s[40:41], 0
	v_mov_b32_e32 v2, 0
.LBB1838_50:                            ; =>This Inner Loop Header: Depth=1
	global_load_dwordx2 v[19:20], v[22:23], off glc
	s_waitcnt vmcnt(0)
	v_cmp_ne_u16_sdwa s[44:45], v20, v2 src0_sel:BYTE_0 src1_sel:DWORD
	s_or_b64 s[40:41], s[44:45], s[40:41]
	s_andn2_b64 exec, exec, s[40:41]
	s_cbranch_execnz .LBB1838_50
; %bb.51:
	s_or_b64 exec, exec, s[40:41]
.LBB1838_52:
	s_or_b64 exec, exec, s[38:39]
	v_and_b32_e32 v58, 63, v52
	v_mov_b32_e32 v57, 2
	v_lshlrev_b64 v[21:22], v52, -1
	v_cmp_ne_u32_e32 vcc, 63, v58
	v_cmp_eq_u16_sdwa s[38:39], v20, v57 src0_sel:BYTE_0 src1_sel:DWORD
	v_addc_co_u32_e32 v23, vcc, 0, v52, vcc
	v_and_b32_e32 v2, s39, v22
	v_lshlrev_b32_e32 v59, 2, v23
	v_or_b32_e32 v2, 0x80000000, v2
	ds_bpermute_b32 v23, v59, v19
	v_and_b32_e32 v18, s38, v21
	v_ffbl_b32_e32 v2, v2
	v_add_u32_e32 v2, 32, v2
	v_ffbl_b32_e32 v18, v18
	v_min_u32_e32 v2, v18, v2
	v_cmp_lt_u32_e32 vcc, v58, v2
	s_waitcnt lgkmcnt(0)
	v_cndmask_b32_e32 v18, 0, v23, vcc
	v_cmp_gt_u32_e32 vcc, 62, v58
	v_add_u32_e32 v18, v18, v19
	v_cndmask_b32_e64 v19, 0, 2, vcc
	v_add_lshl_u32 v60, v19, v52, 2
	ds_bpermute_b32 v19, v60, v18
	v_add_u32_e32 v61, 2, v58
	v_cmp_le_u32_e32 vcc, v61, v2
	v_add_u32_e32 v63, 4, v58
	v_add_u32_e32 v65, 8, v58
	s_waitcnt lgkmcnt(0)
	v_cndmask_b32_e32 v19, 0, v19, vcc
	v_cmp_gt_u32_e32 vcc, 60, v58
	v_add_u32_e32 v18, v18, v19
	v_cndmask_b32_e64 v19, 0, 4, vcc
	v_add_lshl_u32 v62, v19, v52, 2
	ds_bpermute_b32 v19, v62, v18
	v_cmp_le_u32_e32 vcc, v63, v2
	v_add_u32_e32 v67, 16, v58
	v_add_u32_e32 v69, 32, v58
	s_waitcnt lgkmcnt(0)
	v_cndmask_b32_e32 v19, 0, v19, vcc
	v_cmp_gt_u32_e32 vcc, 56, v58
	v_add_u32_e32 v18, v18, v19
	v_cndmask_b32_e64 v19, 0, 8, vcc
	v_add_lshl_u32 v64, v19, v52, 2
	ds_bpermute_b32 v19, v64, v18
	v_cmp_le_u32_e32 vcc, v65, v2
	s_waitcnt lgkmcnt(0)
	v_cndmask_b32_e32 v19, 0, v19, vcc
	v_cmp_gt_u32_e32 vcc, 48, v58
	v_add_u32_e32 v18, v18, v19
	v_cndmask_b32_e64 v19, 0, 16, vcc
	v_add_lshl_u32 v66, v19, v52, 2
	ds_bpermute_b32 v19, v66, v18
	v_cmp_le_u32_e32 vcc, v67, v2
	s_waitcnt lgkmcnt(0)
	v_cndmask_b32_e32 v19, 0, v19, vcc
	v_add_u32_e32 v18, v18, v19
	v_mov_b32_e32 v19, 0x80
	v_lshl_or_b32 v68, v52, 2, v19
	ds_bpermute_b32 v19, v68, v18
	v_cmp_le_u32_e32 vcc, v69, v2
	s_waitcnt lgkmcnt(0)
	v_cndmask_b32_e32 v2, 0, v19, vcc
	v_add_u32_e32 v19, v18, v2
	v_mov_b32_e32 v18, 0
	s_branch .LBB1838_56
.LBB1838_53:                            ;   in Loop: Header=BB1838_56 Depth=1
	s_or_b64 exec, exec, s[40:41]
.LBB1838_54:                            ;   in Loop: Header=BB1838_56 Depth=1
	s_or_b64 exec, exec, s[38:39]
	v_cmp_eq_u16_sdwa s[38:39], v20, v57 src0_sel:BYTE_0 src1_sel:DWORD
	v_and_b32_e32 v23, s39, v22
	v_or_b32_e32 v23, 0x80000000, v23
	ds_bpermute_b32 v70, v59, v19
	v_and_b32_e32 v24, s38, v21
	v_ffbl_b32_e32 v23, v23
	v_add_u32_e32 v23, 32, v23
	v_ffbl_b32_e32 v24, v24
	v_min_u32_e32 v23, v24, v23
	v_cmp_lt_u32_e32 vcc, v58, v23
	s_waitcnt lgkmcnt(0)
	v_cndmask_b32_e32 v24, 0, v70, vcc
	v_add_u32_e32 v19, v24, v19
	ds_bpermute_b32 v24, v60, v19
	v_cmp_le_u32_e32 vcc, v61, v23
	v_subrev_u32_e32 v17, 64, v17
	s_mov_b64 s[38:39], 0
	s_waitcnt lgkmcnt(0)
	v_cndmask_b32_e32 v24, 0, v24, vcc
	v_add_u32_e32 v19, v19, v24
	ds_bpermute_b32 v24, v62, v19
	v_cmp_le_u32_e32 vcc, v63, v23
	s_waitcnt lgkmcnt(0)
	v_cndmask_b32_e32 v24, 0, v24, vcc
	v_add_u32_e32 v19, v19, v24
	ds_bpermute_b32 v24, v64, v19
	v_cmp_le_u32_e32 vcc, v65, v23
	;; [unrolled: 5-line block ×4, first 2 shown]
	s_waitcnt lgkmcnt(0)
	v_cndmask_b32_e32 v23, 0, v24, vcc
	v_add3_u32 v19, v23, v2, v19
.LBB1838_55:                            ;   in Loop: Header=BB1838_56 Depth=1
	s_and_b64 vcc, exec, s[38:39]
	s_cbranch_vccnz .LBB1838_61
.LBB1838_56:                            ; =>This Loop Header: Depth=1
                                        ;     Child Loop BB1838_59 Depth 2
	v_cmp_ne_u16_sdwa s[38:39], v20, v57 src0_sel:BYTE_0 src1_sel:DWORD
	v_mov_b32_e32 v2, v19
	s_cmp_lg_u64 s[38:39], exec
	s_mov_b64 s[38:39], -1
                                        ; implicit-def: $vgpr19
                                        ; implicit-def: $vgpr20
	s_cbranch_scc1 .LBB1838_55
; %bb.57:                               ;   in Loop: Header=BB1838_56 Depth=1
	v_lshlrev_b64 v[19:20], 3, v[17:18]
	v_mov_b32_e32 v24, s35
	v_add_co_u32_e32 v23, vcc, s34, v19
	v_addc_co_u32_e32 v24, vcc, v24, v20, vcc
	global_load_dwordx2 v[19:20], v[23:24], off glc
	s_waitcnt vmcnt(0)
	v_cmp_eq_u16_sdwa s[40:41], v20, v18 src0_sel:BYTE_0 src1_sel:DWORD
	s_and_saveexec_b64 s[38:39], s[40:41]
	s_cbranch_execz .LBB1838_54
; %bb.58:                               ;   in Loop: Header=BB1838_56 Depth=1
	s_mov_b64 s[40:41], 0
.LBB1838_59:                            ;   Parent Loop BB1838_56 Depth=1
                                        ; =>  This Inner Loop Header: Depth=2
	global_load_dwordx2 v[19:20], v[23:24], off glc
	s_waitcnt vmcnt(0)
	v_cmp_ne_u16_sdwa s[44:45], v20, v18 src0_sel:BYTE_0 src1_sel:DWORD
	s_or_b64 s[40:41], s[44:45], s[40:41]
	s_andn2_b64 exec, exec, s[40:41]
	s_cbranch_execnz .LBB1838_59
	s_branch .LBB1838_53
.LBB1838_60:
                                        ; implicit-def: $vgpr2
                                        ; implicit-def: $vgpr17
	s_cbranch_execnz .LBB1838_66
	s_branch .LBB1838_75
.LBB1838_61:
	s_and_saveexec_b64 s[38:39], s[18:19]
	s_cbranch_execz .LBB1838_63
; %bb.62:
	s_add_i32 s40, s43, 64
	s_mov_b32 s41, 0
	s_lshl_b64 s[40:41], s[40:41], 3
	s_add_u32 s40, s34, s40
	v_add_u32_e32 v17, v2, v1
	v_mov_b32_e32 v18, 2
	s_addc_u32 s41, s35, s41
	v_mov_b32_e32 v19, 0
	global_store_dwordx2 v19, v[17:18], s[40:41]
	ds_write_b64 v19, v[1:2] offset:13312
.LBB1838_63:
	s_or_b64 exec, exec, s[38:39]
	s_and_b64 exec, exec, s[0:1]
; %bb.64:
	v_mov_b32_e32 v1, 0
	ds_write_b32 v1, v2 offset:12
.LBB1838_65:
	s_or_b64 exec, exec, s[20:21]
	v_mov_b32_e32 v1, 0
	s_waitcnt vmcnt(0) lgkmcnt(0)
	s_barrier
	ds_read_b32 v17, v1 offset:12
	s_waitcnt lgkmcnt(0)
	s_barrier
	ds_read_b64 v[1:2], v1 offset:13312
	v_cndmask_b32_e64 v18, v56, v55, s[18:19]
	v_cndmask_b32_e64 v18, v18, 0, s[0:1]
	v_add_u32_e32 v17, v17, v18
	s_branch .LBB1838_75
.LBB1838_66:
	s_waitcnt lgkmcnt(0)
	v_mov_b32_dpp v1, v54 row_shr:1 row_mask:0xf bank_mask:0xf
	v_cndmask_b32_e64 v1, v1, 0, s[16:17]
	v_add_u32_e32 v1, v1, v54
	s_nop 1
	v_mov_b32_dpp v2, v1 row_shr:2 row_mask:0xf bank_mask:0xf
	v_cndmask_b32_e64 v2, 0, v2, s[14:15]
	v_add_u32_e32 v1, v1, v2
	s_nop 1
	;; [unrolled: 4-line block ×4, first 2 shown]
	v_mov_b32_dpp v2, v1 row_bcast:15 row_mask:0xf bank_mask:0xf
	v_cndmask_b32_e64 v2, v2, 0, s[8:9]
	v_add_u32_e32 v1, v1, v2
	s_nop 1
	v_mov_b32_dpp v2, v1 row_bcast:31 row_mask:0xf bank_mask:0xf
	v_cndmask_b32_e64 v2, 0, v2, s[4:5]
	v_add_u32_e32 v1, v1, v2
	s_and_saveexec_b64 s[4:5], s[6:7]
; %bb.67:
	v_lshlrev_b32_e32 v2, 2, v53
	ds_write_b32 v2, v1
; %bb.68:
	s_or_b64 exec, exec, s[4:5]
	v_cmp_gt_u32_e32 vcc, 4, v0
	s_waitcnt lgkmcnt(0)
	s_barrier
	s_and_saveexec_b64 s[4:5], vcc
	s_cbranch_execz .LBB1838_70
; %bb.69:
	ds_read_b32 v2, v25
	v_and_b32_e32 v17, 3, v52
	v_cmp_ne_u32_e32 vcc, 0, v17
	s_waitcnt lgkmcnt(0)
	v_mov_b32_dpp v18, v2 row_shr:1 row_mask:0xf bank_mask:0xf
	v_cndmask_b32_e32 v18, 0, v18, vcc
	v_add_u32_e32 v2, v18, v2
	v_cmp_lt_u32_e32 vcc, 1, v17
	s_nop 0
	v_mov_b32_dpp v18, v2 row_shr:2 row_mask:0xf bank_mask:0xf
	v_cndmask_b32_e32 v17, 0, v18, vcc
	v_add_u32_e32 v2, v2, v17
	ds_write_b32 v25, v2
.LBB1838_70:
	s_or_b64 exec, exec, s[4:5]
	v_cmp_lt_u32_e32 vcc, 63, v0
	v_mov_b32_e32 v2, 0
	v_mov_b32_e32 v17, 0
	s_waitcnt lgkmcnt(0)
	s_barrier
	s_and_saveexec_b64 s[4:5], vcc
; %bb.71:
	v_lshl_add_u32 v17, v53, 2, -4
	ds_read_b32 v17, v17
; %bb.72:
	s_or_b64 exec, exec, s[4:5]
	v_subrev_co_u32_e32 v18, vcc, 1, v52
	v_and_b32_e32 v19, 64, v52
	v_cmp_lt_i32_e64 s[4:5], v18, v19
	v_cndmask_b32_e64 v18, v18, v52, s[4:5]
	s_waitcnt lgkmcnt(0)
	v_add_u32_e32 v1, v17, v1
	v_lshlrev_b32_e32 v18, 2, v18
	ds_bpermute_b32 v18, v18, v1
	ds_read_b32 v1, v2 offset:12
	s_and_saveexec_b64 s[4:5], s[0:1]
	s_cbranch_execz .LBB1838_74
; %bb.73:
	v_mov_b32_e32 v19, 0
	v_mov_b32_e32 v2, 2
	s_waitcnt lgkmcnt(0)
	global_store_dwordx2 v19, v[1:2], s[34:35] offset:512
.LBB1838_74:
	s_or_b64 exec, exec, s[4:5]
	s_waitcnt lgkmcnt(1)
	v_cndmask_b32_e32 v2, v18, v17, vcc
	v_cndmask_b32_e64 v17, v2, 0, s[0:1]
	s_waitcnt vmcnt(0) lgkmcnt(0)
	s_barrier
	v_mov_b32_e32 v2, 0
.LBB1838_75:
	v_add_u32_e32 v18, v17, v41
	v_add_u32_e32 v19, v18, v42
	;; [unrolled: 1-line block ×4, first 2 shown]
	s_waitcnt lgkmcnt(0)
	v_add_u32_e32 v27, v1, v27
	v_sub_u32_e32 v17, v17, v2
	v_and_b32_e32 v28, 1, v28
	v_add_u32_e32 v22, v21, v45
	v_sub_u32_e32 v45, v27, v17
	v_cmp_eq_u32_e32 vcc, 1, v28
	v_cndmask_b32_e32 v17, v45, v17, vcc
	v_lshlrev_b32_e32 v17, 2, v17
	ds_write_b32 v17, v15
	v_sub_u32_e32 v15, v18, v2
	v_sub_u32_e32 v17, v27, v15
	v_and_b32_e32 v18, 1, v29
	v_add_u32_e32 v17, 1, v17
	v_cmp_eq_u32_e32 vcc, 1, v18
	v_cndmask_b32_e32 v15, v17, v15, vcc
	v_lshlrev_b32_e32 v15, 2, v15
	ds_write_b32 v15, v16
	v_sub_u32_e32 v15, v19, v2
	v_sub_u32_e32 v16, v27, v15
	v_and_b32_e32 v17, 1, v30
	v_add_u32_e32 v16, 2, v16
	;; [unrolled: 8-line block ×5, first 2 shown]
	v_cmp_eq_u32_e32 vcc, 1, v14
	v_cndmask_b32_e32 v11, v13, v11, vcc
	v_add_u32_e32 v23, v22, v46
	v_lshlrev_b32_e32 v11, 2, v11
	ds_write_b32 v11, v12
	v_sub_u32_e32 v11, v23, v2
	v_sub_u32_e32 v12, v27, v11
	v_and_b32_e32 v13, 1, v34
	v_add_u32_e32 v12, 6, v12
	v_cmp_eq_u32_e32 vcc, 1, v13
	v_cndmask_b32_e32 v11, v12, v11, vcc
	v_add_u32_e32 v24, v23, v47
	v_lshlrev_b32_e32 v11, 2, v11
	ds_write_b32 v11, v9
	v_sub_u32_e32 v9, v24, v2
	v_sub_u32_e32 v11, v27, v9
	v_and_b32_e32 v12, 1, v35
	v_add_u32_e32 v11, 7, v11
	;; [unrolled: 9-line block ×6, first 2 shown]
	v_cmp_eq_u32_e32 vcc, 1, v8
	v_cndmask_b32_e32 v5, v7, v5, vcc
	v_lshlrev_b32_e32 v5, 2, v5
	ds_write_b32 v5, v6
	v_sub_u32_e32 v5, v40, v2
	v_add_u32_e32 v5, v44, v5
	v_sub_u32_e32 v6, v27, v5
	v_add_u32_e32 v6, 12, v6
	v_cndmask_b32_e64 v5, v6, v5, s[36:37]
	v_lshlrev_b32_e32 v5, 2, v5
	ds_write_b32 v5, v26
	s_waitcnt lgkmcnt(0)
	s_barrier
	ds_read2st64_b32 v[15:16], v25 offset1:4
	ds_read2st64_b32 v[13:14], v25 offset0:8 offset1:12
	ds_read2st64_b32 v[11:12], v25 offset0:16 offset1:20
	;; [unrolled: 1-line block ×5, first 2 shown]
	ds_read_b32 v18, v25 offset:12288
	s_and_b64 vcc, exec, s[2:3]
	v_add_co_u32_e64 v17, s[2:3], v3, v2
	v_or_b32_e32 v32, 0x100, v0
	v_or_b32_e32 v30, 0x200, v0
	;; [unrolled: 1-line block ×12, first 2 shown]
	v_addc_co_u32_e64 v4, s[2:3], 0, v4, s[2:3]
	s_cbranch_vccnz .LBB1838_132
; %bb.76:
	v_mov_b32_e32 v2, s29
	v_subrev_co_u32_e32 v3, vcc, s28, v17
	s_sub_u32 s2, s30, s42
	v_subb_co_u32_e32 v2, vcc, v4, v2, vcc
	s_subb_u32 s3, s31, 0
	v_mov_b32_e32 v25, s3
	v_add_co_u32_e32 v31, vcc, s2, v1
	v_addc_co_u32_e32 v33, vcc, 0, v25, vcc
	v_add_co_u32_e32 v25, vcc, v31, v3
	v_addc_co_u32_e32 v31, vcc, v33, v2, vcc
	v_cmp_ge_u32_e32 vcc, v0, v1
                                        ; implicit-def: $vgpr2_vgpr3
	s_and_saveexec_b64 s[2:3], vcc
	s_xor_b64 s[2:3], exec, s[2:3]
; %bb.77:
	v_not_b32_e32 v2, v0
	v_ashrrev_i32_e32 v3, 31, v2
	v_add_co_u32_e32 v2, vcc, v25, v2
	v_addc_co_u32_e32 v3, vcc, v31, v3, vcc
; %bb.78:
	s_andn2_saveexec_b64 s[2:3], s[2:3]
; %bb.79:
	v_add_co_u32_e32 v2, vcc, v17, v0
	v_addc_co_u32_e32 v3, vcc, 0, v4, vcc
; %bb.80:
	s_or_b64 exec, exec, s[2:3]
	v_lshlrev_b64 v[2:3], 2, v[2:3]
	v_mov_b32_e32 v33, s23
	v_add_co_u32_e32 v2, vcc, s22, v2
	v_addc_co_u32_e32 v3, vcc, v33, v3, vcc
	v_cmp_ge_u32_e32 vcc, v32, v1
	s_waitcnt lgkmcnt(6)
	global_store_dword v[2:3], v15, off
                                        ; implicit-def: $vgpr2_vgpr3
	s_and_saveexec_b64 s[2:3], vcc
	s_xor_b64 s[2:3], exec, s[2:3]
; %bb.81:
	v_xor_b32_e32 v2, 0xfffffeff, v0
	v_ashrrev_i32_e32 v3, 31, v2
	v_add_co_u32_e32 v2, vcc, v25, v2
	v_addc_co_u32_e32 v3, vcc, v31, v3, vcc
; %bb.82:
	s_andn2_saveexec_b64 s[2:3], s[2:3]
; %bb.83:
	v_add_co_u32_e32 v2, vcc, v17, v32
	v_addc_co_u32_e32 v3, vcc, 0, v4, vcc
; %bb.84:
	s_or_b64 exec, exec, s[2:3]
	v_lshlrev_b64 v[2:3], 2, v[2:3]
	v_mov_b32_e32 v33, s23
	v_add_co_u32_e32 v2, vcc, s22, v2
	v_addc_co_u32_e32 v3, vcc, v33, v3, vcc
	v_cmp_ge_u32_e32 vcc, v30, v1
	global_store_dword v[2:3], v16, off
                                        ; implicit-def: $vgpr2_vgpr3
	s_and_saveexec_b64 s[2:3], vcc
	s_xor_b64 s[2:3], exec, s[2:3]
; %bb.85:
	v_xor_b32_e32 v2, 0xfffffdff, v0
	v_ashrrev_i32_e32 v3, 31, v2
	v_add_co_u32_e32 v2, vcc, v25, v2
	v_addc_co_u32_e32 v3, vcc, v31, v3, vcc
; %bb.86:
	s_andn2_saveexec_b64 s[2:3], s[2:3]
; %bb.87:
	v_add_co_u32_e32 v2, vcc, v17, v30
	v_addc_co_u32_e32 v3, vcc, 0, v4, vcc
; %bb.88:
	s_or_b64 exec, exec, s[2:3]
	v_lshlrev_b64 v[2:3], 2, v[2:3]
	v_mov_b32_e32 v33, s23
	v_add_co_u32_e32 v2, vcc, s22, v2
	v_addc_co_u32_e32 v3, vcc, v33, v3, vcc
	v_cmp_ge_u32_e32 vcc, v29, v1
	s_waitcnt lgkmcnt(5)
	global_store_dword v[2:3], v13, off
                                        ; implicit-def: $vgpr2_vgpr3
	s_and_saveexec_b64 s[2:3], vcc
	s_xor_b64 s[2:3], exec, s[2:3]
; %bb.89:
	v_xor_b32_e32 v2, 0xfffffcff, v0
	v_ashrrev_i32_e32 v3, 31, v2
	v_add_co_u32_e32 v2, vcc, v25, v2
	v_addc_co_u32_e32 v3, vcc, v31, v3, vcc
; %bb.90:
	s_andn2_saveexec_b64 s[2:3], s[2:3]
; %bb.91:
	v_add_co_u32_e32 v2, vcc, v17, v29
	v_addc_co_u32_e32 v3, vcc, 0, v4, vcc
; %bb.92:
	s_or_b64 exec, exec, s[2:3]
	v_lshlrev_b64 v[2:3], 2, v[2:3]
	v_mov_b32_e32 v33, s23
	v_add_co_u32_e32 v2, vcc, s22, v2
	v_addc_co_u32_e32 v3, vcc, v33, v3, vcc
	v_cmp_ge_u32_e32 vcc, v28, v1
	global_store_dword v[2:3], v14, off
                                        ; implicit-def: $vgpr2_vgpr3
	s_and_saveexec_b64 s[2:3], vcc
	s_xor_b64 s[2:3], exec, s[2:3]
; %bb.93:
	v_xor_b32_e32 v2, 0xfffffbff, v0
	;; [unrolled: 43-line block ×6, first 2 shown]
	v_ashrrev_i32_e32 v3, 31, v2
	v_add_co_u32_e32 v2, vcc, v25, v2
	v_addc_co_u32_e32 v3, vcc, v31, v3, vcc
; %bb.126:
	s_andn2_saveexec_b64 s[2:3], s[2:3]
; %bb.127:
	v_add_co_u32_e32 v2, vcc, v17, v19
	v_addc_co_u32_e32 v3, vcc, 0, v4, vcc
; %bb.128:
	s_or_b64 exec, exec, s[2:3]
	s_mov_b64 s[2:3], -1
.LBB1838_129:
	s_and_saveexec_b64 s[4:5], s[2:3]
	s_cbranch_execz .LBB1838_212
.LBB1838_130:
	v_lshlrev_b64 v[2:3], 2, v[2:3]
	v_mov_b32_e32 v0, s23
	v_add_co_u32_e32 v2, vcc, s22, v2
	v_addc_co_u32_e32 v3, vcc, v0, v3, vcc
	s_waitcnt lgkmcnt(0)
	global_store_dword v[2:3], v18, off
	s_or_b64 exec, exec, s[4:5]
	s_and_b64 s[0:1], s[0:1], s[26:27]
	s_and_saveexec_b64 s[2:3], s[0:1]
	s_cbranch_execnz .LBB1838_213
.LBB1838_131:
	s_endpgm
.LBB1838_132:
	s_mov_b64 s[2:3], 0
                                        ; implicit-def: $vgpr2_vgpr3
	s_cbranch_execz .LBB1838_129
; %bb.133:
	s_add_u32 s4, s28, s42
	s_addc_u32 s5, s29, 0
	s_sub_u32 s4, s30, s4
	s_subb_u32 s5, s31, s5
	v_mov_b32_e32 v2, s5
	v_add_co_u32_e32 v3, vcc, s4, v1
	v_addc_co_u32_e32 v2, vcc, 0, v2, vcc
	v_add_co_u32_e32 v25, vcc, v3, v17
	v_addc_co_u32_e32 v31, vcc, v2, v4, vcc
	v_cmp_gt_u32_e32 vcc, s33, v0
	s_and_saveexec_b64 s[4:5], vcc
	s_cbranch_execz .LBB1838_169
; %bb.134:
	v_cmp_ge_u32_e32 vcc, v0, v1
                                        ; implicit-def: $vgpr2_vgpr3
	s_and_saveexec_b64 s[6:7], vcc
	s_xor_b64 s[6:7], exec, s[6:7]
; %bb.135:
	v_not_b32_e32 v2, v0
	v_ashrrev_i32_e32 v3, 31, v2
	v_add_co_u32_e32 v2, vcc, v25, v2
	v_addc_co_u32_e32 v3, vcc, v31, v3, vcc
; %bb.136:
	s_andn2_saveexec_b64 s[6:7], s[6:7]
; %bb.137:
	v_add_co_u32_e32 v2, vcc, v17, v0
	v_addc_co_u32_e32 v3, vcc, 0, v4, vcc
; %bb.138:
	s_or_b64 exec, exec, s[6:7]
	v_lshlrev_b64 v[2:3], 2, v[2:3]
	v_mov_b32_e32 v33, s23
	v_add_co_u32_e32 v2, vcc, s22, v2
	v_addc_co_u32_e32 v3, vcc, v33, v3, vcc
	s_waitcnt lgkmcnt(6)
	global_store_dword v[2:3], v15, off
	s_or_b64 exec, exec, s[4:5]
	v_cmp_gt_u32_e32 vcc, s33, v32
	s_and_saveexec_b64 s[4:5], vcc
	s_cbranch_execnz .LBB1838_170
.LBB1838_139:
	s_or_b64 exec, exec, s[4:5]
	v_cmp_gt_u32_e32 vcc, s33, v30
	s_and_saveexec_b64 s[4:5], vcc
	s_cbranch_execz .LBB1838_175
.LBB1838_140:
	v_cmp_ge_u32_e32 vcc, v30, v1
                                        ; implicit-def: $vgpr2_vgpr3
	s_and_saveexec_b64 s[6:7], vcc
	s_xor_b64 s[6:7], exec, s[6:7]
; %bb.141:
	v_xor_b32_e32 v2, 0xfffffdff, v0
	v_ashrrev_i32_e32 v3, 31, v2
	v_add_co_u32_e32 v2, vcc, v25, v2
	v_addc_co_u32_e32 v3, vcc, v31, v3, vcc
                                        ; implicit-def: $vgpr30
; %bb.142:
	s_andn2_saveexec_b64 s[6:7], s[6:7]
; %bb.143:
	v_add_co_u32_e32 v2, vcc, v17, v30
	v_addc_co_u32_e32 v3, vcc, 0, v4, vcc
; %bb.144:
	s_or_b64 exec, exec, s[6:7]
	v_lshlrev_b64 v[2:3], 2, v[2:3]
	s_waitcnt lgkmcnt(6)
	v_mov_b32_e32 v15, s23
	v_add_co_u32_e32 v2, vcc, s22, v2
	v_addc_co_u32_e32 v3, vcc, v15, v3, vcc
	s_waitcnt lgkmcnt(5)
	global_store_dword v[2:3], v13, off
	s_or_b64 exec, exec, s[4:5]
	v_cmp_gt_u32_e32 vcc, s33, v29
	s_and_saveexec_b64 s[4:5], vcc
	s_cbranch_execnz .LBB1838_176
.LBB1838_145:
	s_or_b64 exec, exec, s[4:5]
	v_cmp_gt_u32_e32 vcc, s33, v28
	s_and_saveexec_b64 s[4:5], vcc
	s_cbranch_execz .LBB1838_181
.LBB1838_146:
	v_cmp_ge_u32_e32 vcc, v28, v1
                                        ; implicit-def: $vgpr2_vgpr3
	s_and_saveexec_b64 s[6:7], vcc
	s_xor_b64 s[6:7], exec, s[6:7]
; %bb.147:
	v_xor_b32_e32 v2, 0xfffffbff, v0
	v_ashrrev_i32_e32 v3, 31, v2
	v_add_co_u32_e32 v2, vcc, v25, v2
	v_addc_co_u32_e32 v3, vcc, v31, v3, vcc
                                        ; implicit-def: $vgpr28
; %bb.148:
	s_andn2_saveexec_b64 s[6:7], s[6:7]
; %bb.149:
	v_add_co_u32_e32 v2, vcc, v17, v28
	v_addc_co_u32_e32 v3, vcc, 0, v4, vcc
; %bb.150:
	s_or_b64 exec, exec, s[6:7]
	v_lshlrev_b64 v[2:3], 2, v[2:3]
	s_waitcnt lgkmcnt(5)
	v_mov_b32_e32 v13, s23
	v_add_co_u32_e32 v2, vcc, s22, v2
	v_addc_co_u32_e32 v3, vcc, v13, v3, vcc
	s_waitcnt lgkmcnt(4)
	global_store_dword v[2:3], v11, off
	s_or_b64 exec, exec, s[4:5]
	v_cmp_gt_u32_e32 vcc, s33, v27
	s_and_saveexec_b64 s[4:5], vcc
	s_cbranch_execnz .LBB1838_182
.LBB1838_151:
	s_or_b64 exec, exec, s[4:5]
	v_cmp_gt_u32_e32 vcc, s33, v26
	s_and_saveexec_b64 s[4:5], vcc
	s_cbranch_execz .LBB1838_187
.LBB1838_152:
	v_cmp_ge_u32_e32 vcc, v26, v1
                                        ; implicit-def: $vgpr2_vgpr3
	s_and_saveexec_b64 s[6:7], vcc
	s_xor_b64 s[6:7], exec, s[6:7]
; %bb.153:
	v_xor_b32_e32 v2, 0xfffff9ff, v0
	v_ashrrev_i32_e32 v3, 31, v2
	v_add_co_u32_e32 v2, vcc, v25, v2
	v_addc_co_u32_e32 v3, vcc, v31, v3, vcc
                                        ; implicit-def: $vgpr26
; %bb.154:
	s_andn2_saveexec_b64 s[6:7], s[6:7]
; %bb.155:
	v_add_co_u32_e32 v2, vcc, v17, v26
	v_addc_co_u32_e32 v3, vcc, 0, v4, vcc
; %bb.156:
	s_or_b64 exec, exec, s[6:7]
	v_lshlrev_b64 v[2:3], 2, v[2:3]
	s_waitcnt lgkmcnt(4)
	v_mov_b32_e32 v11, s23
	v_add_co_u32_e32 v2, vcc, s22, v2
	v_addc_co_u32_e32 v3, vcc, v11, v3, vcc
	s_waitcnt lgkmcnt(3)
	global_store_dword v[2:3], v9, off
	s_or_b64 exec, exec, s[4:5]
	v_cmp_gt_u32_e32 vcc, s33, v24
	s_and_saveexec_b64 s[4:5], vcc
	s_cbranch_execnz .LBB1838_188
.LBB1838_157:
	s_or_b64 exec, exec, s[4:5]
	v_cmp_gt_u32_e32 vcc, s33, v23
	s_and_saveexec_b64 s[4:5], vcc
	s_cbranch_execz .LBB1838_193
.LBB1838_158:
	v_cmp_ge_u32_e32 vcc, v23, v1
                                        ; implicit-def: $vgpr2_vgpr3
	s_and_saveexec_b64 s[6:7], vcc
	s_xor_b64 s[6:7], exec, s[6:7]
; %bb.159:
	v_xor_b32_e32 v2, 0xfffff7ff, v0
	v_ashrrev_i32_e32 v3, 31, v2
	v_add_co_u32_e32 v2, vcc, v25, v2
	v_addc_co_u32_e32 v3, vcc, v31, v3, vcc
                                        ; implicit-def: $vgpr23
; %bb.160:
	s_andn2_saveexec_b64 s[6:7], s[6:7]
; %bb.161:
	v_add_co_u32_e32 v2, vcc, v17, v23
	v_addc_co_u32_e32 v3, vcc, 0, v4, vcc
; %bb.162:
	s_or_b64 exec, exec, s[6:7]
	v_lshlrev_b64 v[2:3], 2, v[2:3]
	s_waitcnt lgkmcnt(3)
	v_mov_b32_e32 v9, s23
	v_add_co_u32_e32 v2, vcc, s22, v2
	v_addc_co_u32_e32 v3, vcc, v9, v3, vcc
	s_waitcnt lgkmcnt(2)
	global_store_dword v[2:3], v7, off
	s_or_b64 exec, exec, s[4:5]
	v_cmp_gt_u32_e32 vcc, s33, v22
	s_and_saveexec_b64 s[4:5], vcc
	s_cbranch_execnz .LBB1838_194
.LBB1838_163:
	s_or_b64 exec, exec, s[4:5]
	v_cmp_gt_u32_e32 vcc, s33, v21
	s_and_saveexec_b64 s[4:5], vcc
	s_cbranch_execz .LBB1838_199
.LBB1838_164:
	v_cmp_ge_u32_e32 vcc, v21, v1
                                        ; implicit-def: $vgpr2_vgpr3
	s_and_saveexec_b64 s[6:7], vcc
	s_xor_b64 s[6:7], exec, s[6:7]
; %bb.165:
	v_xor_b32_e32 v2, 0xfffff5ff, v0
	v_ashrrev_i32_e32 v3, 31, v2
	v_add_co_u32_e32 v2, vcc, v25, v2
	v_addc_co_u32_e32 v3, vcc, v31, v3, vcc
                                        ; implicit-def: $vgpr21
; %bb.166:
	s_andn2_saveexec_b64 s[6:7], s[6:7]
; %bb.167:
	v_add_co_u32_e32 v2, vcc, v17, v21
	v_addc_co_u32_e32 v3, vcc, 0, v4, vcc
; %bb.168:
	s_or_b64 exec, exec, s[6:7]
	v_lshlrev_b64 v[2:3], 2, v[2:3]
	s_waitcnt lgkmcnt(2)
	v_mov_b32_e32 v7, s23
	v_add_co_u32_e32 v2, vcc, s22, v2
	v_addc_co_u32_e32 v3, vcc, v7, v3, vcc
	s_waitcnt lgkmcnt(1)
	global_store_dword v[2:3], v5, off
	s_or_b64 exec, exec, s[4:5]
	v_cmp_gt_u32_e32 vcc, s33, v20
	s_and_saveexec_b64 s[4:5], vcc
	s_cbranch_execz .LBB1838_205
	s_branch .LBB1838_200
.LBB1838_169:
	s_or_b64 exec, exec, s[4:5]
	v_cmp_gt_u32_e32 vcc, s33, v32
	s_and_saveexec_b64 s[4:5], vcc
	s_cbranch_execz .LBB1838_139
.LBB1838_170:
	v_cmp_ge_u32_e32 vcc, v32, v1
                                        ; implicit-def: $vgpr2_vgpr3
	s_and_saveexec_b64 s[6:7], vcc
	s_xor_b64 s[6:7], exec, s[6:7]
; %bb.171:
	v_xor_b32_e32 v2, 0xfffffeff, v0
	v_ashrrev_i32_e32 v3, 31, v2
	v_add_co_u32_e32 v2, vcc, v25, v2
	v_addc_co_u32_e32 v3, vcc, v31, v3, vcc
                                        ; implicit-def: $vgpr32
; %bb.172:
	s_andn2_saveexec_b64 s[6:7], s[6:7]
; %bb.173:
	v_add_co_u32_e32 v2, vcc, v17, v32
	v_addc_co_u32_e32 v3, vcc, 0, v4, vcc
; %bb.174:
	s_or_b64 exec, exec, s[6:7]
	v_lshlrev_b64 v[2:3], 2, v[2:3]
	s_waitcnt lgkmcnt(6)
	v_mov_b32_e32 v15, s23
	v_add_co_u32_e32 v2, vcc, s22, v2
	v_addc_co_u32_e32 v3, vcc, v15, v3, vcc
	global_store_dword v[2:3], v16, off
	s_or_b64 exec, exec, s[4:5]
	v_cmp_gt_u32_e32 vcc, s33, v30
	s_and_saveexec_b64 s[4:5], vcc
	s_cbranch_execnz .LBB1838_140
.LBB1838_175:
	s_or_b64 exec, exec, s[4:5]
	v_cmp_gt_u32_e32 vcc, s33, v29
	s_and_saveexec_b64 s[4:5], vcc
	s_cbranch_execz .LBB1838_145
.LBB1838_176:
	v_cmp_ge_u32_e32 vcc, v29, v1
                                        ; implicit-def: $vgpr2_vgpr3
	s_and_saveexec_b64 s[6:7], vcc
	s_xor_b64 s[6:7], exec, s[6:7]
; %bb.177:
	v_xor_b32_e32 v2, 0xfffffcff, v0
	v_ashrrev_i32_e32 v3, 31, v2
	v_add_co_u32_e32 v2, vcc, v25, v2
	v_addc_co_u32_e32 v3, vcc, v31, v3, vcc
                                        ; implicit-def: $vgpr29
; %bb.178:
	s_andn2_saveexec_b64 s[6:7], s[6:7]
; %bb.179:
	v_add_co_u32_e32 v2, vcc, v17, v29
	v_addc_co_u32_e32 v3, vcc, 0, v4, vcc
; %bb.180:
	s_or_b64 exec, exec, s[6:7]
	v_lshlrev_b64 v[2:3], 2, v[2:3]
	s_waitcnt lgkmcnt(5)
	v_mov_b32_e32 v13, s23
	v_add_co_u32_e32 v2, vcc, s22, v2
	v_addc_co_u32_e32 v3, vcc, v13, v3, vcc
	global_store_dword v[2:3], v14, off
	s_or_b64 exec, exec, s[4:5]
	v_cmp_gt_u32_e32 vcc, s33, v28
	s_and_saveexec_b64 s[4:5], vcc
	s_cbranch_execnz .LBB1838_146
.LBB1838_181:
	s_or_b64 exec, exec, s[4:5]
	v_cmp_gt_u32_e32 vcc, s33, v27
	s_and_saveexec_b64 s[4:5], vcc
	s_cbranch_execz .LBB1838_151
.LBB1838_182:
	v_cmp_ge_u32_e32 vcc, v27, v1
                                        ; implicit-def: $vgpr2_vgpr3
	s_and_saveexec_b64 s[6:7], vcc
	s_xor_b64 s[6:7], exec, s[6:7]
; %bb.183:
	v_xor_b32_e32 v2, 0xfffffaff, v0
	v_ashrrev_i32_e32 v3, 31, v2
	v_add_co_u32_e32 v2, vcc, v25, v2
	v_addc_co_u32_e32 v3, vcc, v31, v3, vcc
                                        ; implicit-def: $vgpr27
; %bb.184:
	s_andn2_saveexec_b64 s[6:7], s[6:7]
; %bb.185:
	v_add_co_u32_e32 v2, vcc, v17, v27
	v_addc_co_u32_e32 v3, vcc, 0, v4, vcc
; %bb.186:
	s_or_b64 exec, exec, s[6:7]
	v_lshlrev_b64 v[2:3], 2, v[2:3]
	s_waitcnt lgkmcnt(4)
	v_mov_b32_e32 v11, s23
	v_add_co_u32_e32 v2, vcc, s22, v2
	v_addc_co_u32_e32 v3, vcc, v11, v3, vcc
	global_store_dword v[2:3], v12, off
	s_or_b64 exec, exec, s[4:5]
	v_cmp_gt_u32_e32 vcc, s33, v26
	s_and_saveexec_b64 s[4:5], vcc
	s_cbranch_execnz .LBB1838_152
.LBB1838_187:
	s_or_b64 exec, exec, s[4:5]
	v_cmp_gt_u32_e32 vcc, s33, v24
	s_and_saveexec_b64 s[4:5], vcc
	s_cbranch_execz .LBB1838_157
.LBB1838_188:
	v_cmp_ge_u32_e32 vcc, v24, v1
                                        ; implicit-def: $vgpr2_vgpr3
	s_and_saveexec_b64 s[6:7], vcc
	s_xor_b64 s[6:7], exec, s[6:7]
; %bb.189:
	v_xor_b32_e32 v2, 0xfffff8ff, v0
	v_ashrrev_i32_e32 v3, 31, v2
	v_add_co_u32_e32 v2, vcc, v25, v2
	v_addc_co_u32_e32 v3, vcc, v31, v3, vcc
                                        ; implicit-def: $vgpr24
; %bb.190:
	s_andn2_saveexec_b64 s[6:7], s[6:7]
; %bb.191:
	v_add_co_u32_e32 v2, vcc, v17, v24
	v_addc_co_u32_e32 v3, vcc, 0, v4, vcc
; %bb.192:
	s_or_b64 exec, exec, s[6:7]
	v_lshlrev_b64 v[2:3], 2, v[2:3]
	s_waitcnt lgkmcnt(3)
	v_mov_b32_e32 v9, s23
	v_add_co_u32_e32 v2, vcc, s22, v2
	v_addc_co_u32_e32 v3, vcc, v9, v3, vcc
	global_store_dword v[2:3], v10, off
	s_or_b64 exec, exec, s[4:5]
	v_cmp_gt_u32_e32 vcc, s33, v23
	s_and_saveexec_b64 s[4:5], vcc
	s_cbranch_execnz .LBB1838_158
.LBB1838_193:
	s_or_b64 exec, exec, s[4:5]
	v_cmp_gt_u32_e32 vcc, s33, v22
	s_and_saveexec_b64 s[4:5], vcc
	s_cbranch_execz .LBB1838_163
.LBB1838_194:
	v_cmp_ge_u32_e32 vcc, v22, v1
                                        ; implicit-def: $vgpr2_vgpr3
	s_and_saveexec_b64 s[6:7], vcc
	s_xor_b64 s[6:7], exec, s[6:7]
; %bb.195:
	v_xor_b32_e32 v2, 0xfffff6ff, v0
	v_ashrrev_i32_e32 v3, 31, v2
	v_add_co_u32_e32 v2, vcc, v25, v2
	v_addc_co_u32_e32 v3, vcc, v31, v3, vcc
                                        ; implicit-def: $vgpr22
; %bb.196:
	s_andn2_saveexec_b64 s[6:7], s[6:7]
; %bb.197:
	v_add_co_u32_e32 v2, vcc, v17, v22
	v_addc_co_u32_e32 v3, vcc, 0, v4, vcc
; %bb.198:
	s_or_b64 exec, exec, s[6:7]
	v_lshlrev_b64 v[2:3], 2, v[2:3]
	s_waitcnt lgkmcnt(2)
	v_mov_b32_e32 v7, s23
	v_add_co_u32_e32 v2, vcc, s22, v2
	v_addc_co_u32_e32 v3, vcc, v7, v3, vcc
	global_store_dword v[2:3], v8, off
	s_or_b64 exec, exec, s[4:5]
	v_cmp_gt_u32_e32 vcc, s33, v21
	s_and_saveexec_b64 s[4:5], vcc
	s_cbranch_execnz .LBB1838_164
.LBB1838_199:
	s_or_b64 exec, exec, s[4:5]
	v_cmp_gt_u32_e32 vcc, s33, v20
	s_and_saveexec_b64 s[4:5], vcc
	s_cbranch_execz .LBB1838_205
.LBB1838_200:
	v_cmp_ge_u32_e32 vcc, v20, v1
                                        ; implicit-def: $vgpr2_vgpr3
	s_and_saveexec_b64 s[6:7], vcc
	s_xor_b64 s[6:7], exec, s[6:7]
; %bb.201:
	v_xor_b32_e32 v2, 0xfffff4ff, v0
	v_ashrrev_i32_e32 v3, 31, v2
	v_add_co_u32_e32 v2, vcc, v25, v2
	v_addc_co_u32_e32 v3, vcc, v31, v3, vcc
                                        ; implicit-def: $vgpr20
; %bb.202:
	s_andn2_saveexec_b64 s[6:7], s[6:7]
; %bb.203:
	v_add_co_u32_e32 v2, vcc, v17, v20
	v_addc_co_u32_e32 v3, vcc, 0, v4, vcc
; %bb.204:
	s_or_b64 exec, exec, s[6:7]
	v_lshlrev_b64 v[2:3], 2, v[2:3]
	s_waitcnt lgkmcnt(1)
	v_mov_b32_e32 v5, s23
	v_add_co_u32_e32 v2, vcc, s22, v2
	v_addc_co_u32_e32 v3, vcc, v5, v3, vcc
	global_store_dword v[2:3], v6, off
.LBB1838_205:
	s_or_b64 exec, exec, s[4:5]
	v_cmp_gt_u32_e32 vcc, s33, v19
                                        ; implicit-def: $vgpr2_vgpr3
	s_and_saveexec_b64 s[4:5], vcc
	s_cbranch_execz .LBB1838_211
; %bb.206:
	v_cmp_ge_u32_e32 vcc, v19, v1
                                        ; implicit-def: $vgpr2_vgpr3
	s_and_saveexec_b64 s[6:7], vcc
	s_xor_b64 s[6:7], exec, s[6:7]
; %bb.207:
	v_xor_b32_e32 v0, 0xfffff3ff, v0
	v_ashrrev_i32_e32 v3, 31, v0
	v_add_co_u32_e32 v2, vcc, v25, v0
	v_addc_co_u32_e32 v3, vcc, v31, v3, vcc
                                        ; implicit-def: $vgpr19
; %bb.208:
	s_andn2_saveexec_b64 s[6:7], s[6:7]
; %bb.209:
	v_add_co_u32_e32 v2, vcc, v17, v19
	v_addc_co_u32_e32 v3, vcc, 0, v4, vcc
; %bb.210:
	s_or_b64 exec, exec, s[6:7]
	s_or_b64 s[2:3], s[2:3], exec
.LBB1838_211:
	s_or_b64 exec, exec, s[4:5]
	s_and_saveexec_b64 s[4:5], s[2:3]
	s_cbranch_execnz .LBB1838_130
.LBB1838_212:
	s_or_b64 exec, exec, s[4:5]
	s_and_b64 s[0:1], s[0:1], s[26:27]
	s_and_saveexec_b64 s[2:3], s[0:1]
	s_cbranch_execz .LBB1838_131
.LBB1838_213:
	v_add_co_u32_e32 v0, vcc, v17, v1
	v_mov_b32_e32 v2, 0
	v_addc_co_u32_e32 v1, vcc, 0, v4, vcc
	global_store_dwordx2 v2, v[0:1], s[24:25]
	s_endpgm
	.section	.rodata,"a",@progbits
	.p2align	6, 0x0
	.amdhsa_kernel _ZN7rocprim17ROCPRIM_400000_NS6detail17trampoline_kernelINS0_13select_configILj256ELj13ELNS0_17block_load_methodE3ELS4_3ELS4_3ELNS0_20block_scan_algorithmE0ELj4294967295EEENS1_25partition_config_selectorILNS1_17partition_subalgoE3EjNS0_10empty_typeEbEEZZNS1_14partition_implILS8_3ELb0ES6_jNS0_17counting_iteratorIjlEEPS9_SE_NS0_5tupleIJPjSE_EEENSF_IJSE_SE_EEES9_SG_JZNS1_25segmented_radix_sort_implINS0_14default_configELb0EPK6__halfPSL_PKlPlN2at6native12_GLOBAL__N_18offset_tEEE10hipError_tPvRmT1_PNSt15iterator_traitsISZ_E10value_typeET2_T3_PNS10_IS15_E10value_typeET4_jRbjT5_S1B_jjP12ihipStream_tbEUljE_EEESW_SX_SY_S15_S19_S1B_T6_T7_T9_mT8_S1D_bDpT10_ENKUlT_T0_E_clISt17integral_constantIbLb0EES1P_IbLb1EEEEDaS1L_S1M_EUlS1L_E_NS1_11comp_targetILNS1_3genE2ELNS1_11target_archE906ELNS1_3gpuE6ELNS1_3repE0EEENS1_30default_config_static_selectorELNS0_4arch9wavefront6targetE1EEEvSZ_
		.amdhsa_group_segment_fixed_size 13320
		.amdhsa_private_segment_fixed_size 0
		.amdhsa_kernarg_size 152
		.amdhsa_user_sgpr_count 6
		.amdhsa_user_sgpr_private_segment_buffer 1
		.amdhsa_user_sgpr_dispatch_ptr 0
		.amdhsa_user_sgpr_queue_ptr 0
		.amdhsa_user_sgpr_kernarg_segment_ptr 1
		.amdhsa_user_sgpr_dispatch_id 0
		.amdhsa_user_sgpr_flat_scratch_init 0
		.amdhsa_user_sgpr_private_segment_size 0
		.amdhsa_uses_dynamic_stack 0
		.amdhsa_system_sgpr_private_segment_wavefront_offset 0
		.amdhsa_system_sgpr_workgroup_id_x 1
		.amdhsa_system_sgpr_workgroup_id_y 0
		.amdhsa_system_sgpr_workgroup_id_z 0
		.amdhsa_system_sgpr_workgroup_info 0
		.amdhsa_system_vgpr_workitem_id 0
		.amdhsa_next_free_vgpr 71
		.amdhsa_next_free_sgpr 98
		.amdhsa_reserve_vcc 1
		.amdhsa_reserve_flat_scratch 0
		.amdhsa_float_round_mode_32 0
		.amdhsa_float_round_mode_16_64 0
		.amdhsa_float_denorm_mode_32 3
		.amdhsa_float_denorm_mode_16_64 3
		.amdhsa_dx10_clamp 1
		.amdhsa_ieee_mode 1
		.amdhsa_fp16_overflow 0
		.amdhsa_exception_fp_ieee_invalid_op 0
		.amdhsa_exception_fp_denorm_src 0
		.amdhsa_exception_fp_ieee_div_zero 0
		.amdhsa_exception_fp_ieee_overflow 0
		.amdhsa_exception_fp_ieee_underflow 0
		.amdhsa_exception_fp_ieee_inexact 0
		.amdhsa_exception_int_div_zero 0
	.end_amdhsa_kernel
	.section	.text._ZN7rocprim17ROCPRIM_400000_NS6detail17trampoline_kernelINS0_13select_configILj256ELj13ELNS0_17block_load_methodE3ELS4_3ELS4_3ELNS0_20block_scan_algorithmE0ELj4294967295EEENS1_25partition_config_selectorILNS1_17partition_subalgoE3EjNS0_10empty_typeEbEEZZNS1_14partition_implILS8_3ELb0ES6_jNS0_17counting_iteratorIjlEEPS9_SE_NS0_5tupleIJPjSE_EEENSF_IJSE_SE_EEES9_SG_JZNS1_25segmented_radix_sort_implINS0_14default_configELb0EPK6__halfPSL_PKlPlN2at6native12_GLOBAL__N_18offset_tEEE10hipError_tPvRmT1_PNSt15iterator_traitsISZ_E10value_typeET2_T3_PNS10_IS15_E10value_typeET4_jRbjT5_S1B_jjP12ihipStream_tbEUljE_EEESW_SX_SY_S15_S19_S1B_T6_T7_T9_mT8_S1D_bDpT10_ENKUlT_T0_E_clISt17integral_constantIbLb0EES1P_IbLb1EEEEDaS1L_S1M_EUlS1L_E_NS1_11comp_targetILNS1_3genE2ELNS1_11target_archE906ELNS1_3gpuE6ELNS1_3repE0EEENS1_30default_config_static_selectorELNS0_4arch9wavefront6targetE1EEEvSZ_,"axG",@progbits,_ZN7rocprim17ROCPRIM_400000_NS6detail17trampoline_kernelINS0_13select_configILj256ELj13ELNS0_17block_load_methodE3ELS4_3ELS4_3ELNS0_20block_scan_algorithmE0ELj4294967295EEENS1_25partition_config_selectorILNS1_17partition_subalgoE3EjNS0_10empty_typeEbEEZZNS1_14partition_implILS8_3ELb0ES6_jNS0_17counting_iteratorIjlEEPS9_SE_NS0_5tupleIJPjSE_EEENSF_IJSE_SE_EEES9_SG_JZNS1_25segmented_radix_sort_implINS0_14default_configELb0EPK6__halfPSL_PKlPlN2at6native12_GLOBAL__N_18offset_tEEE10hipError_tPvRmT1_PNSt15iterator_traitsISZ_E10value_typeET2_T3_PNS10_IS15_E10value_typeET4_jRbjT5_S1B_jjP12ihipStream_tbEUljE_EEESW_SX_SY_S15_S19_S1B_T6_T7_T9_mT8_S1D_bDpT10_ENKUlT_T0_E_clISt17integral_constantIbLb0EES1P_IbLb1EEEEDaS1L_S1M_EUlS1L_E_NS1_11comp_targetILNS1_3genE2ELNS1_11target_archE906ELNS1_3gpuE6ELNS1_3repE0EEENS1_30default_config_static_selectorELNS0_4arch9wavefront6targetE1EEEvSZ_,comdat
.Lfunc_end1838:
	.size	_ZN7rocprim17ROCPRIM_400000_NS6detail17trampoline_kernelINS0_13select_configILj256ELj13ELNS0_17block_load_methodE3ELS4_3ELS4_3ELNS0_20block_scan_algorithmE0ELj4294967295EEENS1_25partition_config_selectorILNS1_17partition_subalgoE3EjNS0_10empty_typeEbEEZZNS1_14partition_implILS8_3ELb0ES6_jNS0_17counting_iteratorIjlEEPS9_SE_NS0_5tupleIJPjSE_EEENSF_IJSE_SE_EEES9_SG_JZNS1_25segmented_radix_sort_implINS0_14default_configELb0EPK6__halfPSL_PKlPlN2at6native12_GLOBAL__N_18offset_tEEE10hipError_tPvRmT1_PNSt15iterator_traitsISZ_E10value_typeET2_T3_PNS10_IS15_E10value_typeET4_jRbjT5_S1B_jjP12ihipStream_tbEUljE_EEESW_SX_SY_S15_S19_S1B_T6_T7_T9_mT8_S1D_bDpT10_ENKUlT_T0_E_clISt17integral_constantIbLb0EES1P_IbLb1EEEEDaS1L_S1M_EUlS1L_E_NS1_11comp_targetILNS1_3genE2ELNS1_11target_archE906ELNS1_3gpuE6ELNS1_3repE0EEENS1_30default_config_static_selectorELNS0_4arch9wavefront6targetE1EEEvSZ_, .Lfunc_end1838-_ZN7rocprim17ROCPRIM_400000_NS6detail17trampoline_kernelINS0_13select_configILj256ELj13ELNS0_17block_load_methodE3ELS4_3ELS4_3ELNS0_20block_scan_algorithmE0ELj4294967295EEENS1_25partition_config_selectorILNS1_17partition_subalgoE3EjNS0_10empty_typeEbEEZZNS1_14partition_implILS8_3ELb0ES6_jNS0_17counting_iteratorIjlEEPS9_SE_NS0_5tupleIJPjSE_EEENSF_IJSE_SE_EEES9_SG_JZNS1_25segmented_radix_sort_implINS0_14default_configELb0EPK6__halfPSL_PKlPlN2at6native12_GLOBAL__N_18offset_tEEE10hipError_tPvRmT1_PNSt15iterator_traitsISZ_E10value_typeET2_T3_PNS10_IS15_E10value_typeET4_jRbjT5_S1B_jjP12ihipStream_tbEUljE_EEESW_SX_SY_S15_S19_S1B_T6_T7_T9_mT8_S1D_bDpT10_ENKUlT_T0_E_clISt17integral_constantIbLb0EES1P_IbLb1EEEEDaS1L_S1M_EUlS1L_E_NS1_11comp_targetILNS1_3genE2ELNS1_11target_archE906ELNS1_3gpuE6ELNS1_3repE0EEENS1_30default_config_static_selectorELNS0_4arch9wavefront6targetE1EEEvSZ_
                                        ; -- End function
	.set _ZN7rocprim17ROCPRIM_400000_NS6detail17trampoline_kernelINS0_13select_configILj256ELj13ELNS0_17block_load_methodE3ELS4_3ELS4_3ELNS0_20block_scan_algorithmE0ELj4294967295EEENS1_25partition_config_selectorILNS1_17partition_subalgoE3EjNS0_10empty_typeEbEEZZNS1_14partition_implILS8_3ELb0ES6_jNS0_17counting_iteratorIjlEEPS9_SE_NS0_5tupleIJPjSE_EEENSF_IJSE_SE_EEES9_SG_JZNS1_25segmented_radix_sort_implINS0_14default_configELb0EPK6__halfPSL_PKlPlN2at6native12_GLOBAL__N_18offset_tEEE10hipError_tPvRmT1_PNSt15iterator_traitsISZ_E10value_typeET2_T3_PNS10_IS15_E10value_typeET4_jRbjT5_S1B_jjP12ihipStream_tbEUljE_EEESW_SX_SY_S15_S19_S1B_T6_T7_T9_mT8_S1D_bDpT10_ENKUlT_T0_E_clISt17integral_constantIbLb0EES1P_IbLb1EEEEDaS1L_S1M_EUlS1L_E_NS1_11comp_targetILNS1_3genE2ELNS1_11target_archE906ELNS1_3gpuE6ELNS1_3repE0EEENS1_30default_config_static_selectorELNS0_4arch9wavefront6targetE1EEEvSZ_.num_vgpr, 71
	.set _ZN7rocprim17ROCPRIM_400000_NS6detail17trampoline_kernelINS0_13select_configILj256ELj13ELNS0_17block_load_methodE3ELS4_3ELS4_3ELNS0_20block_scan_algorithmE0ELj4294967295EEENS1_25partition_config_selectorILNS1_17partition_subalgoE3EjNS0_10empty_typeEbEEZZNS1_14partition_implILS8_3ELb0ES6_jNS0_17counting_iteratorIjlEEPS9_SE_NS0_5tupleIJPjSE_EEENSF_IJSE_SE_EEES9_SG_JZNS1_25segmented_radix_sort_implINS0_14default_configELb0EPK6__halfPSL_PKlPlN2at6native12_GLOBAL__N_18offset_tEEE10hipError_tPvRmT1_PNSt15iterator_traitsISZ_E10value_typeET2_T3_PNS10_IS15_E10value_typeET4_jRbjT5_S1B_jjP12ihipStream_tbEUljE_EEESW_SX_SY_S15_S19_S1B_T6_T7_T9_mT8_S1D_bDpT10_ENKUlT_T0_E_clISt17integral_constantIbLb0EES1P_IbLb1EEEEDaS1L_S1M_EUlS1L_E_NS1_11comp_targetILNS1_3genE2ELNS1_11target_archE906ELNS1_3gpuE6ELNS1_3repE0EEENS1_30default_config_static_selectorELNS0_4arch9wavefront6targetE1EEEvSZ_.num_agpr, 0
	.set _ZN7rocprim17ROCPRIM_400000_NS6detail17trampoline_kernelINS0_13select_configILj256ELj13ELNS0_17block_load_methodE3ELS4_3ELS4_3ELNS0_20block_scan_algorithmE0ELj4294967295EEENS1_25partition_config_selectorILNS1_17partition_subalgoE3EjNS0_10empty_typeEbEEZZNS1_14partition_implILS8_3ELb0ES6_jNS0_17counting_iteratorIjlEEPS9_SE_NS0_5tupleIJPjSE_EEENSF_IJSE_SE_EEES9_SG_JZNS1_25segmented_radix_sort_implINS0_14default_configELb0EPK6__halfPSL_PKlPlN2at6native12_GLOBAL__N_18offset_tEEE10hipError_tPvRmT1_PNSt15iterator_traitsISZ_E10value_typeET2_T3_PNS10_IS15_E10value_typeET4_jRbjT5_S1B_jjP12ihipStream_tbEUljE_EEESW_SX_SY_S15_S19_S1B_T6_T7_T9_mT8_S1D_bDpT10_ENKUlT_T0_E_clISt17integral_constantIbLb0EES1P_IbLb1EEEEDaS1L_S1M_EUlS1L_E_NS1_11comp_targetILNS1_3genE2ELNS1_11target_archE906ELNS1_3gpuE6ELNS1_3repE0EEENS1_30default_config_static_selectorELNS0_4arch9wavefront6targetE1EEEvSZ_.numbered_sgpr, 46
	.set _ZN7rocprim17ROCPRIM_400000_NS6detail17trampoline_kernelINS0_13select_configILj256ELj13ELNS0_17block_load_methodE3ELS4_3ELS4_3ELNS0_20block_scan_algorithmE0ELj4294967295EEENS1_25partition_config_selectorILNS1_17partition_subalgoE3EjNS0_10empty_typeEbEEZZNS1_14partition_implILS8_3ELb0ES6_jNS0_17counting_iteratorIjlEEPS9_SE_NS0_5tupleIJPjSE_EEENSF_IJSE_SE_EEES9_SG_JZNS1_25segmented_radix_sort_implINS0_14default_configELb0EPK6__halfPSL_PKlPlN2at6native12_GLOBAL__N_18offset_tEEE10hipError_tPvRmT1_PNSt15iterator_traitsISZ_E10value_typeET2_T3_PNS10_IS15_E10value_typeET4_jRbjT5_S1B_jjP12ihipStream_tbEUljE_EEESW_SX_SY_S15_S19_S1B_T6_T7_T9_mT8_S1D_bDpT10_ENKUlT_T0_E_clISt17integral_constantIbLb0EES1P_IbLb1EEEEDaS1L_S1M_EUlS1L_E_NS1_11comp_targetILNS1_3genE2ELNS1_11target_archE906ELNS1_3gpuE6ELNS1_3repE0EEENS1_30default_config_static_selectorELNS0_4arch9wavefront6targetE1EEEvSZ_.num_named_barrier, 0
	.set _ZN7rocprim17ROCPRIM_400000_NS6detail17trampoline_kernelINS0_13select_configILj256ELj13ELNS0_17block_load_methodE3ELS4_3ELS4_3ELNS0_20block_scan_algorithmE0ELj4294967295EEENS1_25partition_config_selectorILNS1_17partition_subalgoE3EjNS0_10empty_typeEbEEZZNS1_14partition_implILS8_3ELb0ES6_jNS0_17counting_iteratorIjlEEPS9_SE_NS0_5tupleIJPjSE_EEENSF_IJSE_SE_EEES9_SG_JZNS1_25segmented_radix_sort_implINS0_14default_configELb0EPK6__halfPSL_PKlPlN2at6native12_GLOBAL__N_18offset_tEEE10hipError_tPvRmT1_PNSt15iterator_traitsISZ_E10value_typeET2_T3_PNS10_IS15_E10value_typeET4_jRbjT5_S1B_jjP12ihipStream_tbEUljE_EEESW_SX_SY_S15_S19_S1B_T6_T7_T9_mT8_S1D_bDpT10_ENKUlT_T0_E_clISt17integral_constantIbLb0EES1P_IbLb1EEEEDaS1L_S1M_EUlS1L_E_NS1_11comp_targetILNS1_3genE2ELNS1_11target_archE906ELNS1_3gpuE6ELNS1_3repE0EEENS1_30default_config_static_selectorELNS0_4arch9wavefront6targetE1EEEvSZ_.private_seg_size, 0
	.set _ZN7rocprim17ROCPRIM_400000_NS6detail17trampoline_kernelINS0_13select_configILj256ELj13ELNS0_17block_load_methodE3ELS4_3ELS4_3ELNS0_20block_scan_algorithmE0ELj4294967295EEENS1_25partition_config_selectorILNS1_17partition_subalgoE3EjNS0_10empty_typeEbEEZZNS1_14partition_implILS8_3ELb0ES6_jNS0_17counting_iteratorIjlEEPS9_SE_NS0_5tupleIJPjSE_EEENSF_IJSE_SE_EEES9_SG_JZNS1_25segmented_radix_sort_implINS0_14default_configELb0EPK6__halfPSL_PKlPlN2at6native12_GLOBAL__N_18offset_tEEE10hipError_tPvRmT1_PNSt15iterator_traitsISZ_E10value_typeET2_T3_PNS10_IS15_E10value_typeET4_jRbjT5_S1B_jjP12ihipStream_tbEUljE_EEESW_SX_SY_S15_S19_S1B_T6_T7_T9_mT8_S1D_bDpT10_ENKUlT_T0_E_clISt17integral_constantIbLb0EES1P_IbLb1EEEEDaS1L_S1M_EUlS1L_E_NS1_11comp_targetILNS1_3genE2ELNS1_11target_archE906ELNS1_3gpuE6ELNS1_3repE0EEENS1_30default_config_static_selectorELNS0_4arch9wavefront6targetE1EEEvSZ_.uses_vcc, 1
	.set _ZN7rocprim17ROCPRIM_400000_NS6detail17trampoline_kernelINS0_13select_configILj256ELj13ELNS0_17block_load_methodE3ELS4_3ELS4_3ELNS0_20block_scan_algorithmE0ELj4294967295EEENS1_25partition_config_selectorILNS1_17partition_subalgoE3EjNS0_10empty_typeEbEEZZNS1_14partition_implILS8_3ELb0ES6_jNS0_17counting_iteratorIjlEEPS9_SE_NS0_5tupleIJPjSE_EEENSF_IJSE_SE_EEES9_SG_JZNS1_25segmented_radix_sort_implINS0_14default_configELb0EPK6__halfPSL_PKlPlN2at6native12_GLOBAL__N_18offset_tEEE10hipError_tPvRmT1_PNSt15iterator_traitsISZ_E10value_typeET2_T3_PNS10_IS15_E10value_typeET4_jRbjT5_S1B_jjP12ihipStream_tbEUljE_EEESW_SX_SY_S15_S19_S1B_T6_T7_T9_mT8_S1D_bDpT10_ENKUlT_T0_E_clISt17integral_constantIbLb0EES1P_IbLb1EEEEDaS1L_S1M_EUlS1L_E_NS1_11comp_targetILNS1_3genE2ELNS1_11target_archE906ELNS1_3gpuE6ELNS1_3repE0EEENS1_30default_config_static_selectorELNS0_4arch9wavefront6targetE1EEEvSZ_.uses_flat_scratch, 0
	.set _ZN7rocprim17ROCPRIM_400000_NS6detail17trampoline_kernelINS0_13select_configILj256ELj13ELNS0_17block_load_methodE3ELS4_3ELS4_3ELNS0_20block_scan_algorithmE0ELj4294967295EEENS1_25partition_config_selectorILNS1_17partition_subalgoE3EjNS0_10empty_typeEbEEZZNS1_14partition_implILS8_3ELb0ES6_jNS0_17counting_iteratorIjlEEPS9_SE_NS0_5tupleIJPjSE_EEENSF_IJSE_SE_EEES9_SG_JZNS1_25segmented_radix_sort_implINS0_14default_configELb0EPK6__halfPSL_PKlPlN2at6native12_GLOBAL__N_18offset_tEEE10hipError_tPvRmT1_PNSt15iterator_traitsISZ_E10value_typeET2_T3_PNS10_IS15_E10value_typeET4_jRbjT5_S1B_jjP12ihipStream_tbEUljE_EEESW_SX_SY_S15_S19_S1B_T6_T7_T9_mT8_S1D_bDpT10_ENKUlT_T0_E_clISt17integral_constantIbLb0EES1P_IbLb1EEEEDaS1L_S1M_EUlS1L_E_NS1_11comp_targetILNS1_3genE2ELNS1_11target_archE906ELNS1_3gpuE6ELNS1_3repE0EEENS1_30default_config_static_selectorELNS0_4arch9wavefront6targetE1EEEvSZ_.has_dyn_sized_stack, 0
	.set _ZN7rocprim17ROCPRIM_400000_NS6detail17trampoline_kernelINS0_13select_configILj256ELj13ELNS0_17block_load_methodE3ELS4_3ELS4_3ELNS0_20block_scan_algorithmE0ELj4294967295EEENS1_25partition_config_selectorILNS1_17partition_subalgoE3EjNS0_10empty_typeEbEEZZNS1_14partition_implILS8_3ELb0ES6_jNS0_17counting_iteratorIjlEEPS9_SE_NS0_5tupleIJPjSE_EEENSF_IJSE_SE_EEES9_SG_JZNS1_25segmented_radix_sort_implINS0_14default_configELb0EPK6__halfPSL_PKlPlN2at6native12_GLOBAL__N_18offset_tEEE10hipError_tPvRmT1_PNSt15iterator_traitsISZ_E10value_typeET2_T3_PNS10_IS15_E10value_typeET4_jRbjT5_S1B_jjP12ihipStream_tbEUljE_EEESW_SX_SY_S15_S19_S1B_T6_T7_T9_mT8_S1D_bDpT10_ENKUlT_T0_E_clISt17integral_constantIbLb0EES1P_IbLb1EEEEDaS1L_S1M_EUlS1L_E_NS1_11comp_targetILNS1_3genE2ELNS1_11target_archE906ELNS1_3gpuE6ELNS1_3repE0EEENS1_30default_config_static_selectorELNS0_4arch9wavefront6targetE1EEEvSZ_.has_recursion, 0
	.set _ZN7rocprim17ROCPRIM_400000_NS6detail17trampoline_kernelINS0_13select_configILj256ELj13ELNS0_17block_load_methodE3ELS4_3ELS4_3ELNS0_20block_scan_algorithmE0ELj4294967295EEENS1_25partition_config_selectorILNS1_17partition_subalgoE3EjNS0_10empty_typeEbEEZZNS1_14partition_implILS8_3ELb0ES6_jNS0_17counting_iteratorIjlEEPS9_SE_NS0_5tupleIJPjSE_EEENSF_IJSE_SE_EEES9_SG_JZNS1_25segmented_radix_sort_implINS0_14default_configELb0EPK6__halfPSL_PKlPlN2at6native12_GLOBAL__N_18offset_tEEE10hipError_tPvRmT1_PNSt15iterator_traitsISZ_E10value_typeET2_T3_PNS10_IS15_E10value_typeET4_jRbjT5_S1B_jjP12ihipStream_tbEUljE_EEESW_SX_SY_S15_S19_S1B_T6_T7_T9_mT8_S1D_bDpT10_ENKUlT_T0_E_clISt17integral_constantIbLb0EES1P_IbLb1EEEEDaS1L_S1M_EUlS1L_E_NS1_11comp_targetILNS1_3genE2ELNS1_11target_archE906ELNS1_3gpuE6ELNS1_3repE0EEENS1_30default_config_static_selectorELNS0_4arch9wavefront6targetE1EEEvSZ_.has_indirect_call, 0
	.section	.AMDGPU.csdata,"",@progbits
; Kernel info:
; codeLenInByte = 7548
; TotalNumSgprs: 50
; NumVgprs: 71
; ScratchSize: 0
; MemoryBound: 0
; FloatMode: 240
; IeeeMode: 1
; LDSByteSize: 13320 bytes/workgroup (compile time only)
; SGPRBlocks: 12
; VGPRBlocks: 17
; NumSGPRsForWavesPerEU: 102
; NumVGPRsForWavesPerEU: 71
; Occupancy: 3
; WaveLimiterHint : 0
; COMPUTE_PGM_RSRC2:SCRATCH_EN: 0
; COMPUTE_PGM_RSRC2:USER_SGPR: 6
; COMPUTE_PGM_RSRC2:TRAP_HANDLER: 0
; COMPUTE_PGM_RSRC2:TGID_X_EN: 1
; COMPUTE_PGM_RSRC2:TGID_Y_EN: 0
; COMPUTE_PGM_RSRC2:TGID_Z_EN: 0
; COMPUTE_PGM_RSRC2:TIDIG_COMP_CNT: 0
	.section	.text._ZN7rocprim17ROCPRIM_400000_NS6detail17trampoline_kernelINS0_13select_configILj256ELj13ELNS0_17block_load_methodE3ELS4_3ELS4_3ELNS0_20block_scan_algorithmE0ELj4294967295EEENS1_25partition_config_selectorILNS1_17partition_subalgoE3EjNS0_10empty_typeEbEEZZNS1_14partition_implILS8_3ELb0ES6_jNS0_17counting_iteratorIjlEEPS9_SE_NS0_5tupleIJPjSE_EEENSF_IJSE_SE_EEES9_SG_JZNS1_25segmented_radix_sort_implINS0_14default_configELb0EPK6__halfPSL_PKlPlN2at6native12_GLOBAL__N_18offset_tEEE10hipError_tPvRmT1_PNSt15iterator_traitsISZ_E10value_typeET2_T3_PNS10_IS15_E10value_typeET4_jRbjT5_S1B_jjP12ihipStream_tbEUljE_EEESW_SX_SY_S15_S19_S1B_T6_T7_T9_mT8_S1D_bDpT10_ENKUlT_T0_E_clISt17integral_constantIbLb0EES1P_IbLb1EEEEDaS1L_S1M_EUlS1L_E_NS1_11comp_targetILNS1_3genE10ELNS1_11target_archE1200ELNS1_3gpuE4ELNS1_3repE0EEENS1_30default_config_static_selectorELNS0_4arch9wavefront6targetE1EEEvSZ_,"axG",@progbits,_ZN7rocprim17ROCPRIM_400000_NS6detail17trampoline_kernelINS0_13select_configILj256ELj13ELNS0_17block_load_methodE3ELS4_3ELS4_3ELNS0_20block_scan_algorithmE0ELj4294967295EEENS1_25partition_config_selectorILNS1_17partition_subalgoE3EjNS0_10empty_typeEbEEZZNS1_14partition_implILS8_3ELb0ES6_jNS0_17counting_iteratorIjlEEPS9_SE_NS0_5tupleIJPjSE_EEENSF_IJSE_SE_EEES9_SG_JZNS1_25segmented_radix_sort_implINS0_14default_configELb0EPK6__halfPSL_PKlPlN2at6native12_GLOBAL__N_18offset_tEEE10hipError_tPvRmT1_PNSt15iterator_traitsISZ_E10value_typeET2_T3_PNS10_IS15_E10value_typeET4_jRbjT5_S1B_jjP12ihipStream_tbEUljE_EEESW_SX_SY_S15_S19_S1B_T6_T7_T9_mT8_S1D_bDpT10_ENKUlT_T0_E_clISt17integral_constantIbLb0EES1P_IbLb1EEEEDaS1L_S1M_EUlS1L_E_NS1_11comp_targetILNS1_3genE10ELNS1_11target_archE1200ELNS1_3gpuE4ELNS1_3repE0EEENS1_30default_config_static_selectorELNS0_4arch9wavefront6targetE1EEEvSZ_,comdat
	.globl	_ZN7rocprim17ROCPRIM_400000_NS6detail17trampoline_kernelINS0_13select_configILj256ELj13ELNS0_17block_load_methodE3ELS4_3ELS4_3ELNS0_20block_scan_algorithmE0ELj4294967295EEENS1_25partition_config_selectorILNS1_17partition_subalgoE3EjNS0_10empty_typeEbEEZZNS1_14partition_implILS8_3ELb0ES6_jNS0_17counting_iteratorIjlEEPS9_SE_NS0_5tupleIJPjSE_EEENSF_IJSE_SE_EEES9_SG_JZNS1_25segmented_radix_sort_implINS0_14default_configELb0EPK6__halfPSL_PKlPlN2at6native12_GLOBAL__N_18offset_tEEE10hipError_tPvRmT1_PNSt15iterator_traitsISZ_E10value_typeET2_T3_PNS10_IS15_E10value_typeET4_jRbjT5_S1B_jjP12ihipStream_tbEUljE_EEESW_SX_SY_S15_S19_S1B_T6_T7_T9_mT8_S1D_bDpT10_ENKUlT_T0_E_clISt17integral_constantIbLb0EES1P_IbLb1EEEEDaS1L_S1M_EUlS1L_E_NS1_11comp_targetILNS1_3genE10ELNS1_11target_archE1200ELNS1_3gpuE4ELNS1_3repE0EEENS1_30default_config_static_selectorELNS0_4arch9wavefront6targetE1EEEvSZ_ ; -- Begin function _ZN7rocprim17ROCPRIM_400000_NS6detail17trampoline_kernelINS0_13select_configILj256ELj13ELNS0_17block_load_methodE3ELS4_3ELS4_3ELNS0_20block_scan_algorithmE0ELj4294967295EEENS1_25partition_config_selectorILNS1_17partition_subalgoE3EjNS0_10empty_typeEbEEZZNS1_14partition_implILS8_3ELb0ES6_jNS0_17counting_iteratorIjlEEPS9_SE_NS0_5tupleIJPjSE_EEENSF_IJSE_SE_EEES9_SG_JZNS1_25segmented_radix_sort_implINS0_14default_configELb0EPK6__halfPSL_PKlPlN2at6native12_GLOBAL__N_18offset_tEEE10hipError_tPvRmT1_PNSt15iterator_traitsISZ_E10value_typeET2_T3_PNS10_IS15_E10value_typeET4_jRbjT5_S1B_jjP12ihipStream_tbEUljE_EEESW_SX_SY_S15_S19_S1B_T6_T7_T9_mT8_S1D_bDpT10_ENKUlT_T0_E_clISt17integral_constantIbLb0EES1P_IbLb1EEEEDaS1L_S1M_EUlS1L_E_NS1_11comp_targetILNS1_3genE10ELNS1_11target_archE1200ELNS1_3gpuE4ELNS1_3repE0EEENS1_30default_config_static_selectorELNS0_4arch9wavefront6targetE1EEEvSZ_
	.p2align	8
	.type	_ZN7rocprim17ROCPRIM_400000_NS6detail17trampoline_kernelINS0_13select_configILj256ELj13ELNS0_17block_load_methodE3ELS4_3ELS4_3ELNS0_20block_scan_algorithmE0ELj4294967295EEENS1_25partition_config_selectorILNS1_17partition_subalgoE3EjNS0_10empty_typeEbEEZZNS1_14partition_implILS8_3ELb0ES6_jNS0_17counting_iteratorIjlEEPS9_SE_NS0_5tupleIJPjSE_EEENSF_IJSE_SE_EEES9_SG_JZNS1_25segmented_radix_sort_implINS0_14default_configELb0EPK6__halfPSL_PKlPlN2at6native12_GLOBAL__N_18offset_tEEE10hipError_tPvRmT1_PNSt15iterator_traitsISZ_E10value_typeET2_T3_PNS10_IS15_E10value_typeET4_jRbjT5_S1B_jjP12ihipStream_tbEUljE_EEESW_SX_SY_S15_S19_S1B_T6_T7_T9_mT8_S1D_bDpT10_ENKUlT_T0_E_clISt17integral_constantIbLb0EES1P_IbLb1EEEEDaS1L_S1M_EUlS1L_E_NS1_11comp_targetILNS1_3genE10ELNS1_11target_archE1200ELNS1_3gpuE4ELNS1_3repE0EEENS1_30default_config_static_selectorELNS0_4arch9wavefront6targetE1EEEvSZ_,@function
_ZN7rocprim17ROCPRIM_400000_NS6detail17trampoline_kernelINS0_13select_configILj256ELj13ELNS0_17block_load_methodE3ELS4_3ELS4_3ELNS0_20block_scan_algorithmE0ELj4294967295EEENS1_25partition_config_selectorILNS1_17partition_subalgoE3EjNS0_10empty_typeEbEEZZNS1_14partition_implILS8_3ELb0ES6_jNS0_17counting_iteratorIjlEEPS9_SE_NS0_5tupleIJPjSE_EEENSF_IJSE_SE_EEES9_SG_JZNS1_25segmented_radix_sort_implINS0_14default_configELb0EPK6__halfPSL_PKlPlN2at6native12_GLOBAL__N_18offset_tEEE10hipError_tPvRmT1_PNSt15iterator_traitsISZ_E10value_typeET2_T3_PNS10_IS15_E10value_typeET4_jRbjT5_S1B_jjP12ihipStream_tbEUljE_EEESW_SX_SY_S15_S19_S1B_T6_T7_T9_mT8_S1D_bDpT10_ENKUlT_T0_E_clISt17integral_constantIbLb0EES1P_IbLb1EEEEDaS1L_S1M_EUlS1L_E_NS1_11comp_targetILNS1_3genE10ELNS1_11target_archE1200ELNS1_3gpuE4ELNS1_3repE0EEENS1_30default_config_static_selectorELNS0_4arch9wavefront6targetE1EEEvSZ_: ; @_ZN7rocprim17ROCPRIM_400000_NS6detail17trampoline_kernelINS0_13select_configILj256ELj13ELNS0_17block_load_methodE3ELS4_3ELS4_3ELNS0_20block_scan_algorithmE0ELj4294967295EEENS1_25partition_config_selectorILNS1_17partition_subalgoE3EjNS0_10empty_typeEbEEZZNS1_14partition_implILS8_3ELb0ES6_jNS0_17counting_iteratorIjlEEPS9_SE_NS0_5tupleIJPjSE_EEENSF_IJSE_SE_EEES9_SG_JZNS1_25segmented_radix_sort_implINS0_14default_configELb0EPK6__halfPSL_PKlPlN2at6native12_GLOBAL__N_18offset_tEEE10hipError_tPvRmT1_PNSt15iterator_traitsISZ_E10value_typeET2_T3_PNS10_IS15_E10value_typeET4_jRbjT5_S1B_jjP12ihipStream_tbEUljE_EEESW_SX_SY_S15_S19_S1B_T6_T7_T9_mT8_S1D_bDpT10_ENKUlT_T0_E_clISt17integral_constantIbLb0EES1P_IbLb1EEEEDaS1L_S1M_EUlS1L_E_NS1_11comp_targetILNS1_3genE10ELNS1_11target_archE1200ELNS1_3gpuE4ELNS1_3repE0EEENS1_30default_config_static_selectorELNS0_4arch9wavefront6targetE1EEEvSZ_
; %bb.0:
	.section	.rodata,"a",@progbits
	.p2align	6, 0x0
	.amdhsa_kernel _ZN7rocprim17ROCPRIM_400000_NS6detail17trampoline_kernelINS0_13select_configILj256ELj13ELNS0_17block_load_methodE3ELS4_3ELS4_3ELNS0_20block_scan_algorithmE0ELj4294967295EEENS1_25partition_config_selectorILNS1_17partition_subalgoE3EjNS0_10empty_typeEbEEZZNS1_14partition_implILS8_3ELb0ES6_jNS0_17counting_iteratorIjlEEPS9_SE_NS0_5tupleIJPjSE_EEENSF_IJSE_SE_EEES9_SG_JZNS1_25segmented_radix_sort_implINS0_14default_configELb0EPK6__halfPSL_PKlPlN2at6native12_GLOBAL__N_18offset_tEEE10hipError_tPvRmT1_PNSt15iterator_traitsISZ_E10value_typeET2_T3_PNS10_IS15_E10value_typeET4_jRbjT5_S1B_jjP12ihipStream_tbEUljE_EEESW_SX_SY_S15_S19_S1B_T6_T7_T9_mT8_S1D_bDpT10_ENKUlT_T0_E_clISt17integral_constantIbLb0EES1P_IbLb1EEEEDaS1L_S1M_EUlS1L_E_NS1_11comp_targetILNS1_3genE10ELNS1_11target_archE1200ELNS1_3gpuE4ELNS1_3repE0EEENS1_30default_config_static_selectorELNS0_4arch9wavefront6targetE1EEEvSZ_
		.amdhsa_group_segment_fixed_size 0
		.amdhsa_private_segment_fixed_size 0
		.amdhsa_kernarg_size 152
		.amdhsa_user_sgpr_count 6
		.amdhsa_user_sgpr_private_segment_buffer 1
		.amdhsa_user_sgpr_dispatch_ptr 0
		.amdhsa_user_sgpr_queue_ptr 0
		.amdhsa_user_sgpr_kernarg_segment_ptr 1
		.amdhsa_user_sgpr_dispatch_id 0
		.amdhsa_user_sgpr_flat_scratch_init 0
		.amdhsa_user_sgpr_private_segment_size 0
		.amdhsa_uses_dynamic_stack 0
		.amdhsa_system_sgpr_private_segment_wavefront_offset 0
		.amdhsa_system_sgpr_workgroup_id_x 1
		.amdhsa_system_sgpr_workgroup_id_y 0
		.amdhsa_system_sgpr_workgroup_id_z 0
		.amdhsa_system_sgpr_workgroup_info 0
		.amdhsa_system_vgpr_workitem_id 0
		.amdhsa_next_free_vgpr 1
		.amdhsa_next_free_sgpr 0
		.amdhsa_reserve_vcc 0
		.amdhsa_reserve_flat_scratch 0
		.amdhsa_float_round_mode_32 0
		.amdhsa_float_round_mode_16_64 0
		.amdhsa_float_denorm_mode_32 3
		.amdhsa_float_denorm_mode_16_64 3
		.amdhsa_dx10_clamp 1
		.amdhsa_ieee_mode 1
		.amdhsa_fp16_overflow 0
		.amdhsa_exception_fp_ieee_invalid_op 0
		.amdhsa_exception_fp_denorm_src 0
		.amdhsa_exception_fp_ieee_div_zero 0
		.amdhsa_exception_fp_ieee_overflow 0
		.amdhsa_exception_fp_ieee_underflow 0
		.amdhsa_exception_fp_ieee_inexact 0
		.amdhsa_exception_int_div_zero 0
	.end_amdhsa_kernel
	.section	.text._ZN7rocprim17ROCPRIM_400000_NS6detail17trampoline_kernelINS0_13select_configILj256ELj13ELNS0_17block_load_methodE3ELS4_3ELS4_3ELNS0_20block_scan_algorithmE0ELj4294967295EEENS1_25partition_config_selectorILNS1_17partition_subalgoE3EjNS0_10empty_typeEbEEZZNS1_14partition_implILS8_3ELb0ES6_jNS0_17counting_iteratorIjlEEPS9_SE_NS0_5tupleIJPjSE_EEENSF_IJSE_SE_EEES9_SG_JZNS1_25segmented_radix_sort_implINS0_14default_configELb0EPK6__halfPSL_PKlPlN2at6native12_GLOBAL__N_18offset_tEEE10hipError_tPvRmT1_PNSt15iterator_traitsISZ_E10value_typeET2_T3_PNS10_IS15_E10value_typeET4_jRbjT5_S1B_jjP12ihipStream_tbEUljE_EEESW_SX_SY_S15_S19_S1B_T6_T7_T9_mT8_S1D_bDpT10_ENKUlT_T0_E_clISt17integral_constantIbLb0EES1P_IbLb1EEEEDaS1L_S1M_EUlS1L_E_NS1_11comp_targetILNS1_3genE10ELNS1_11target_archE1200ELNS1_3gpuE4ELNS1_3repE0EEENS1_30default_config_static_selectorELNS0_4arch9wavefront6targetE1EEEvSZ_,"axG",@progbits,_ZN7rocprim17ROCPRIM_400000_NS6detail17trampoline_kernelINS0_13select_configILj256ELj13ELNS0_17block_load_methodE3ELS4_3ELS4_3ELNS0_20block_scan_algorithmE0ELj4294967295EEENS1_25partition_config_selectorILNS1_17partition_subalgoE3EjNS0_10empty_typeEbEEZZNS1_14partition_implILS8_3ELb0ES6_jNS0_17counting_iteratorIjlEEPS9_SE_NS0_5tupleIJPjSE_EEENSF_IJSE_SE_EEES9_SG_JZNS1_25segmented_radix_sort_implINS0_14default_configELb0EPK6__halfPSL_PKlPlN2at6native12_GLOBAL__N_18offset_tEEE10hipError_tPvRmT1_PNSt15iterator_traitsISZ_E10value_typeET2_T3_PNS10_IS15_E10value_typeET4_jRbjT5_S1B_jjP12ihipStream_tbEUljE_EEESW_SX_SY_S15_S19_S1B_T6_T7_T9_mT8_S1D_bDpT10_ENKUlT_T0_E_clISt17integral_constantIbLb0EES1P_IbLb1EEEEDaS1L_S1M_EUlS1L_E_NS1_11comp_targetILNS1_3genE10ELNS1_11target_archE1200ELNS1_3gpuE4ELNS1_3repE0EEENS1_30default_config_static_selectorELNS0_4arch9wavefront6targetE1EEEvSZ_,comdat
.Lfunc_end1839:
	.size	_ZN7rocprim17ROCPRIM_400000_NS6detail17trampoline_kernelINS0_13select_configILj256ELj13ELNS0_17block_load_methodE3ELS4_3ELS4_3ELNS0_20block_scan_algorithmE0ELj4294967295EEENS1_25partition_config_selectorILNS1_17partition_subalgoE3EjNS0_10empty_typeEbEEZZNS1_14partition_implILS8_3ELb0ES6_jNS0_17counting_iteratorIjlEEPS9_SE_NS0_5tupleIJPjSE_EEENSF_IJSE_SE_EEES9_SG_JZNS1_25segmented_radix_sort_implINS0_14default_configELb0EPK6__halfPSL_PKlPlN2at6native12_GLOBAL__N_18offset_tEEE10hipError_tPvRmT1_PNSt15iterator_traitsISZ_E10value_typeET2_T3_PNS10_IS15_E10value_typeET4_jRbjT5_S1B_jjP12ihipStream_tbEUljE_EEESW_SX_SY_S15_S19_S1B_T6_T7_T9_mT8_S1D_bDpT10_ENKUlT_T0_E_clISt17integral_constantIbLb0EES1P_IbLb1EEEEDaS1L_S1M_EUlS1L_E_NS1_11comp_targetILNS1_3genE10ELNS1_11target_archE1200ELNS1_3gpuE4ELNS1_3repE0EEENS1_30default_config_static_selectorELNS0_4arch9wavefront6targetE1EEEvSZ_, .Lfunc_end1839-_ZN7rocprim17ROCPRIM_400000_NS6detail17trampoline_kernelINS0_13select_configILj256ELj13ELNS0_17block_load_methodE3ELS4_3ELS4_3ELNS0_20block_scan_algorithmE0ELj4294967295EEENS1_25partition_config_selectorILNS1_17partition_subalgoE3EjNS0_10empty_typeEbEEZZNS1_14partition_implILS8_3ELb0ES6_jNS0_17counting_iteratorIjlEEPS9_SE_NS0_5tupleIJPjSE_EEENSF_IJSE_SE_EEES9_SG_JZNS1_25segmented_radix_sort_implINS0_14default_configELb0EPK6__halfPSL_PKlPlN2at6native12_GLOBAL__N_18offset_tEEE10hipError_tPvRmT1_PNSt15iterator_traitsISZ_E10value_typeET2_T3_PNS10_IS15_E10value_typeET4_jRbjT5_S1B_jjP12ihipStream_tbEUljE_EEESW_SX_SY_S15_S19_S1B_T6_T7_T9_mT8_S1D_bDpT10_ENKUlT_T0_E_clISt17integral_constantIbLb0EES1P_IbLb1EEEEDaS1L_S1M_EUlS1L_E_NS1_11comp_targetILNS1_3genE10ELNS1_11target_archE1200ELNS1_3gpuE4ELNS1_3repE0EEENS1_30default_config_static_selectorELNS0_4arch9wavefront6targetE1EEEvSZ_
                                        ; -- End function
	.set _ZN7rocprim17ROCPRIM_400000_NS6detail17trampoline_kernelINS0_13select_configILj256ELj13ELNS0_17block_load_methodE3ELS4_3ELS4_3ELNS0_20block_scan_algorithmE0ELj4294967295EEENS1_25partition_config_selectorILNS1_17partition_subalgoE3EjNS0_10empty_typeEbEEZZNS1_14partition_implILS8_3ELb0ES6_jNS0_17counting_iteratorIjlEEPS9_SE_NS0_5tupleIJPjSE_EEENSF_IJSE_SE_EEES9_SG_JZNS1_25segmented_radix_sort_implINS0_14default_configELb0EPK6__halfPSL_PKlPlN2at6native12_GLOBAL__N_18offset_tEEE10hipError_tPvRmT1_PNSt15iterator_traitsISZ_E10value_typeET2_T3_PNS10_IS15_E10value_typeET4_jRbjT5_S1B_jjP12ihipStream_tbEUljE_EEESW_SX_SY_S15_S19_S1B_T6_T7_T9_mT8_S1D_bDpT10_ENKUlT_T0_E_clISt17integral_constantIbLb0EES1P_IbLb1EEEEDaS1L_S1M_EUlS1L_E_NS1_11comp_targetILNS1_3genE10ELNS1_11target_archE1200ELNS1_3gpuE4ELNS1_3repE0EEENS1_30default_config_static_selectorELNS0_4arch9wavefront6targetE1EEEvSZ_.num_vgpr, 0
	.set _ZN7rocprim17ROCPRIM_400000_NS6detail17trampoline_kernelINS0_13select_configILj256ELj13ELNS0_17block_load_methodE3ELS4_3ELS4_3ELNS0_20block_scan_algorithmE0ELj4294967295EEENS1_25partition_config_selectorILNS1_17partition_subalgoE3EjNS0_10empty_typeEbEEZZNS1_14partition_implILS8_3ELb0ES6_jNS0_17counting_iteratorIjlEEPS9_SE_NS0_5tupleIJPjSE_EEENSF_IJSE_SE_EEES9_SG_JZNS1_25segmented_radix_sort_implINS0_14default_configELb0EPK6__halfPSL_PKlPlN2at6native12_GLOBAL__N_18offset_tEEE10hipError_tPvRmT1_PNSt15iterator_traitsISZ_E10value_typeET2_T3_PNS10_IS15_E10value_typeET4_jRbjT5_S1B_jjP12ihipStream_tbEUljE_EEESW_SX_SY_S15_S19_S1B_T6_T7_T9_mT8_S1D_bDpT10_ENKUlT_T0_E_clISt17integral_constantIbLb0EES1P_IbLb1EEEEDaS1L_S1M_EUlS1L_E_NS1_11comp_targetILNS1_3genE10ELNS1_11target_archE1200ELNS1_3gpuE4ELNS1_3repE0EEENS1_30default_config_static_selectorELNS0_4arch9wavefront6targetE1EEEvSZ_.num_agpr, 0
	.set _ZN7rocprim17ROCPRIM_400000_NS6detail17trampoline_kernelINS0_13select_configILj256ELj13ELNS0_17block_load_methodE3ELS4_3ELS4_3ELNS0_20block_scan_algorithmE0ELj4294967295EEENS1_25partition_config_selectorILNS1_17partition_subalgoE3EjNS0_10empty_typeEbEEZZNS1_14partition_implILS8_3ELb0ES6_jNS0_17counting_iteratorIjlEEPS9_SE_NS0_5tupleIJPjSE_EEENSF_IJSE_SE_EEES9_SG_JZNS1_25segmented_radix_sort_implINS0_14default_configELb0EPK6__halfPSL_PKlPlN2at6native12_GLOBAL__N_18offset_tEEE10hipError_tPvRmT1_PNSt15iterator_traitsISZ_E10value_typeET2_T3_PNS10_IS15_E10value_typeET4_jRbjT5_S1B_jjP12ihipStream_tbEUljE_EEESW_SX_SY_S15_S19_S1B_T6_T7_T9_mT8_S1D_bDpT10_ENKUlT_T0_E_clISt17integral_constantIbLb0EES1P_IbLb1EEEEDaS1L_S1M_EUlS1L_E_NS1_11comp_targetILNS1_3genE10ELNS1_11target_archE1200ELNS1_3gpuE4ELNS1_3repE0EEENS1_30default_config_static_selectorELNS0_4arch9wavefront6targetE1EEEvSZ_.numbered_sgpr, 0
	.set _ZN7rocprim17ROCPRIM_400000_NS6detail17trampoline_kernelINS0_13select_configILj256ELj13ELNS0_17block_load_methodE3ELS4_3ELS4_3ELNS0_20block_scan_algorithmE0ELj4294967295EEENS1_25partition_config_selectorILNS1_17partition_subalgoE3EjNS0_10empty_typeEbEEZZNS1_14partition_implILS8_3ELb0ES6_jNS0_17counting_iteratorIjlEEPS9_SE_NS0_5tupleIJPjSE_EEENSF_IJSE_SE_EEES9_SG_JZNS1_25segmented_radix_sort_implINS0_14default_configELb0EPK6__halfPSL_PKlPlN2at6native12_GLOBAL__N_18offset_tEEE10hipError_tPvRmT1_PNSt15iterator_traitsISZ_E10value_typeET2_T3_PNS10_IS15_E10value_typeET4_jRbjT5_S1B_jjP12ihipStream_tbEUljE_EEESW_SX_SY_S15_S19_S1B_T6_T7_T9_mT8_S1D_bDpT10_ENKUlT_T0_E_clISt17integral_constantIbLb0EES1P_IbLb1EEEEDaS1L_S1M_EUlS1L_E_NS1_11comp_targetILNS1_3genE10ELNS1_11target_archE1200ELNS1_3gpuE4ELNS1_3repE0EEENS1_30default_config_static_selectorELNS0_4arch9wavefront6targetE1EEEvSZ_.num_named_barrier, 0
	.set _ZN7rocprim17ROCPRIM_400000_NS6detail17trampoline_kernelINS0_13select_configILj256ELj13ELNS0_17block_load_methodE3ELS4_3ELS4_3ELNS0_20block_scan_algorithmE0ELj4294967295EEENS1_25partition_config_selectorILNS1_17partition_subalgoE3EjNS0_10empty_typeEbEEZZNS1_14partition_implILS8_3ELb0ES6_jNS0_17counting_iteratorIjlEEPS9_SE_NS0_5tupleIJPjSE_EEENSF_IJSE_SE_EEES9_SG_JZNS1_25segmented_radix_sort_implINS0_14default_configELb0EPK6__halfPSL_PKlPlN2at6native12_GLOBAL__N_18offset_tEEE10hipError_tPvRmT1_PNSt15iterator_traitsISZ_E10value_typeET2_T3_PNS10_IS15_E10value_typeET4_jRbjT5_S1B_jjP12ihipStream_tbEUljE_EEESW_SX_SY_S15_S19_S1B_T6_T7_T9_mT8_S1D_bDpT10_ENKUlT_T0_E_clISt17integral_constantIbLb0EES1P_IbLb1EEEEDaS1L_S1M_EUlS1L_E_NS1_11comp_targetILNS1_3genE10ELNS1_11target_archE1200ELNS1_3gpuE4ELNS1_3repE0EEENS1_30default_config_static_selectorELNS0_4arch9wavefront6targetE1EEEvSZ_.private_seg_size, 0
	.set _ZN7rocprim17ROCPRIM_400000_NS6detail17trampoline_kernelINS0_13select_configILj256ELj13ELNS0_17block_load_methodE3ELS4_3ELS4_3ELNS0_20block_scan_algorithmE0ELj4294967295EEENS1_25partition_config_selectorILNS1_17partition_subalgoE3EjNS0_10empty_typeEbEEZZNS1_14partition_implILS8_3ELb0ES6_jNS0_17counting_iteratorIjlEEPS9_SE_NS0_5tupleIJPjSE_EEENSF_IJSE_SE_EEES9_SG_JZNS1_25segmented_radix_sort_implINS0_14default_configELb0EPK6__halfPSL_PKlPlN2at6native12_GLOBAL__N_18offset_tEEE10hipError_tPvRmT1_PNSt15iterator_traitsISZ_E10value_typeET2_T3_PNS10_IS15_E10value_typeET4_jRbjT5_S1B_jjP12ihipStream_tbEUljE_EEESW_SX_SY_S15_S19_S1B_T6_T7_T9_mT8_S1D_bDpT10_ENKUlT_T0_E_clISt17integral_constantIbLb0EES1P_IbLb1EEEEDaS1L_S1M_EUlS1L_E_NS1_11comp_targetILNS1_3genE10ELNS1_11target_archE1200ELNS1_3gpuE4ELNS1_3repE0EEENS1_30default_config_static_selectorELNS0_4arch9wavefront6targetE1EEEvSZ_.uses_vcc, 0
	.set _ZN7rocprim17ROCPRIM_400000_NS6detail17trampoline_kernelINS0_13select_configILj256ELj13ELNS0_17block_load_methodE3ELS4_3ELS4_3ELNS0_20block_scan_algorithmE0ELj4294967295EEENS1_25partition_config_selectorILNS1_17partition_subalgoE3EjNS0_10empty_typeEbEEZZNS1_14partition_implILS8_3ELb0ES6_jNS0_17counting_iteratorIjlEEPS9_SE_NS0_5tupleIJPjSE_EEENSF_IJSE_SE_EEES9_SG_JZNS1_25segmented_radix_sort_implINS0_14default_configELb0EPK6__halfPSL_PKlPlN2at6native12_GLOBAL__N_18offset_tEEE10hipError_tPvRmT1_PNSt15iterator_traitsISZ_E10value_typeET2_T3_PNS10_IS15_E10value_typeET4_jRbjT5_S1B_jjP12ihipStream_tbEUljE_EEESW_SX_SY_S15_S19_S1B_T6_T7_T9_mT8_S1D_bDpT10_ENKUlT_T0_E_clISt17integral_constantIbLb0EES1P_IbLb1EEEEDaS1L_S1M_EUlS1L_E_NS1_11comp_targetILNS1_3genE10ELNS1_11target_archE1200ELNS1_3gpuE4ELNS1_3repE0EEENS1_30default_config_static_selectorELNS0_4arch9wavefront6targetE1EEEvSZ_.uses_flat_scratch, 0
	.set _ZN7rocprim17ROCPRIM_400000_NS6detail17trampoline_kernelINS0_13select_configILj256ELj13ELNS0_17block_load_methodE3ELS4_3ELS4_3ELNS0_20block_scan_algorithmE0ELj4294967295EEENS1_25partition_config_selectorILNS1_17partition_subalgoE3EjNS0_10empty_typeEbEEZZNS1_14partition_implILS8_3ELb0ES6_jNS0_17counting_iteratorIjlEEPS9_SE_NS0_5tupleIJPjSE_EEENSF_IJSE_SE_EEES9_SG_JZNS1_25segmented_radix_sort_implINS0_14default_configELb0EPK6__halfPSL_PKlPlN2at6native12_GLOBAL__N_18offset_tEEE10hipError_tPvRmT1_PNSt15iterator_traitsISZ_E10value_typeET2_T3_PNS10_IS15_E10value_typeET4_jRbjT5_S1B_jjP12ihipStream_tbEUljE_EEESW_SX_SY_S15_S19_S1B_T6_T7_T9_mT8_S1D_bDpT10_ENKUlT_T0_E_clISt17integral_constantIbLb0EES1P_IbLb1EEEEDaS1L_S1M_EUlS1L_E_NS1_11comp_targetILNS1_3genE10ELNS1_11target_archE1200ELNS1_3gpuE4ELNS1_3repE0EEENS1_30default_config_static_selectorELNS0_4arch9wavefront6targetE1EEEvSZ_.has_dyn_sized_stack, 0
	.set _ZN7rocprim17ROCPRIM_400000_NS6detail17trampoline_kernelINS0_13select_configILj256ELj13ELNS0_17block_load_methodE3ELS4_3ELS4_3ELNS0_20block_scan_algorithmE0ELj4294967295EEENS1_25partition_config_selectorILNS1_17partition_subalgoE3EjNS0_10empty_typeEbEEZZNS1_14partition_implILS8_3ELb0ES6_jNS0_17counting_iteratorIjlEEPS9_SE_NS0_5tupleIJPjSE_EEENSF_IJSE_SE_EEES9_SG_JZNS1_25segmented_radix_sort_implINS0_14default_configELb0EPK6__halfPSL_PKlPlN2at6native12_GLOBAL__N_18offset_tEEE10hipError_tPvRmT1_PNSt15iterator_traitsISZ_E10value_typeET2_T3_PNS10_IS15_E10value_typeET4_jRbjT5_S1B_jjP12ihipStream_tbEUljE_EEESW_SX_SY_S15_S19_S1B_T6_T7_T9_mT8_S1D_bDpT10_ENKUlT_T0_E_clISt17integral_constantIbLb0EES1P_IbLb1EEEEDaS1L_S1M_EUlS1L_E_NS1_11comp_targetILNS1_3genE10ELNS1_11target_archE1200ELNS1_3gpuE4ELNS1_3repE0EEENS1_30default_config_static_selectorELNS0_4arch9wavefront6targetE1EEEvSZ_.has_recursion, 0
	.set _ZN7rocprim17ROCPRIM_400000_NS6detail17trampoline_kernelINS0_13select_configILj256ELj13ELNS0_17block_load_methodE3ELS4_3ELS4_3ELNS0_20block_scan_algorithmE0ELj4294967295EEENS1_25partition_config_selectorILNS1_17partition_subalgoE3EjNS0_10empty_typeEbEEZZNS1_14partition_implILS8_3ELb0ES6_jNS0_17counting_iteratorIjlEEPS9_SE_NS0_5tupleIJPjSE_EEENSF_IJSE_SE_EEES9_SG_JZNS1_25segmented_radix_sort_implINS0_14default_configELb0EPK6__halfPSL_PKlPlN2at6native12_GLOBAL__N_18offset_tEEE10hipError_tPvRmT1_PNSt15iterator_traitsISZ_E10value_typeET2_T3_PNS10_IS15_E10value_typeET4_jRbjT5_S1B_jjP12ihipStream_tbEUljE_EEESW_SX_SY_S15_S19_S1B_T6_T7_T9_mT8_S1D_bDpT10_ENKUlT_T0_E_clISt17integral_constantIbLb0EES1P_IbLb1EEEEDaS1L_S1M_EUlS1L_E_NS1_11comp_targetILNS1_3genE10ELNS1_11target_archE1200ELNS1_3gpuE4ELNS1_3repE0EEENS1_30default_config_static_selectorELNS0_4arch9wavefront6targetE1EEEvSZ_.has_indirect_call, 0
	.section	.AMDGPU.csdata,"",@progbits
; Kernel info:
; codeLenInByte = 0
; TotalNumSgprs: 4
; NumVgprs: 0
; ScratchSize: 0
; MemoryBound: 0
; FloatMode: 240
; IeeeMode: 1
; LDSByteSize: 0 bytes/workgroup (compile time only)
; SGPRBlocks: 0
; VGPRBlocks: 0
; NumSGPRsForWavesPerEU: 4
; NumVGPRsForWavesPerEU: 1
; Occupancy: 10
; WaveLimiterHint : 0
; COMPUTE_PGM_RSRC2:SCRATCH_EN: 0
; COMPUTE_PGM_RSRC2:USER_SGPR: 6
; COMPUTE_PGM_RSRC2:TRAP_HANDLER: 0
; COMPUTE_PGM_RSRC2:TGID_X_EN: 1
; COMPUTE_PGM_RSRC2:TGID_Y_EN: 0
; COMPUTE_PGM_RSRC2:TGID_Z_EN: 0
; COMPUTE_PGM_RSRC2:TIDIG_COMP_CNT: 0
	.section	.text._ZN7rocprim17ROCPRIM_400000_NS6detail17trampoline_kernelINS0_13select_configILj256ELj13ELNS0_17block_load_methodE3ELS4_3ELS4_3ELNS0_20block_scan_algorithmE0ELj4294967295EEENS1_25partition_config_selectorILNS1_17partition_subalgoE3EjNS0_10empty_typeEbEEZZNS1_14partition_implILS8_3ELb0ES6_jNS0_17counting_iteratorIjlEEPS9_SE_NS0_5tupleIJPjSE_EEENSF_IJSE_SE_EEES9_SG_JZNS1_25segmented_radix_sort_implINS0_14default_configELb0EPK6__halfPSL_PKlPlN2at6native12_GLOBAL__N_18offset_tEEE10hipError_tPvRmT1_PNSt15iterator_traitsISZ_E10value_typeET2_T3_PNS10_IS15_E10value_typeET4_jRbjT5_S1B_jjP12ihipStream_tbEUljE_EEESW_SX_SY_S15_S19_S1B_T6_T7_T9_mT8_S1D_bDpT10_ENKUlT_T0_E_clISt17integral_constantIbLb0EES1P_IbLb1EEEEDaS1L_S1M_EUlS1L_E_NS1_11comp_targetILNS1_3genE9ELNS1_11target_archE1100ELNS1_3gpuE3ELNS1_3repE0EEENS1_30default_config_static_selectorELNS0_4arch9wavefront6targetE1EEEvSZ_,"axG",@progbits,_ZN7rocprim17ROCPRIM_400000_NS6detail17trampoline_kernelINS0_13select_configILj256ELj13ELNS0_17block_load_methodE3ELS4_3ELS4_3ELNS0_20block_scan_algorithmE0ELj4294967295EEENS1_25partition_config_selectorILNS1_17partition_subalgoE3EjNS0_10empty_typeEbEEZZNS1_14partition_implILS8_3ELb0ES6_jNS0_17counting_iteratorIjlEEPS9_SE_NS0_5tupleIJPjSE_EEENSF_IJSE_SE_EEES9_SG_JZNS1_25segmented_radix_sort_implINS0_14default_configELb0EPK6__halfPSL_PKlPlN2at6native12_GLOBAL__N_18offset_tEEE10hipError_tPvRmT1_PNSt15iterator_traitsISZ_E10value_typeET2_T3_PNS10_IS15_E10value_typeET4_jRbjT5_S1B_jjP12ihipStream_tbEUljE_EEESW_SX_SY_S15_S19_S1B_T6_T7_T9_mT8_S1D_bDpT10_ENKUlT_T0_E_clISt17integral_constantIbLb0EES1P_IbLb1EEEEDaS1L_S1M_EUlS1L_E_NS1_11comp_targetILNS1_3genE9ELNS1_11target_archE1100ELNS1_3gpuE3ELNS1_3repE0EEENS1_30default_config_static_selectorELNS0_4arch9wavefront6targetE1EEEvSZ_,comdat
	.globl	_ZN7rocprim17ROCPRIM_400000_NS6detail17trampoline_kernelINS0_13select_configILj256ELj13ELNS0_17block_load_methodE3ELS4_3ELS4_3ELNS0_20block_scan_algorithmE0ELj4294967295EEENS1_25partition_config_selectorILNS1_17partition_subalgoE3EjNS0_10empty_typeEbEEZZNS1_14partition_implILS8_3ELb0ES6_jNS0_17counting_iteratorIjlEEPS9_SE_NS0_5tupleIJPjSE_EEENSF_IJSE_SE_EEES9_SG_JZNS1_25segmented_radix_sort_implINS0_14default_configELb0EPK6__halfPSL_PKlPlN2at6native12_GLOBAL__N_18offset_tEEE10hipError_tPvRmT1_PNSt15iterator_traitsISZ_E10value_typeET2_T3_PNS10_IS15_E10value_typeET4_jRbjT5_S1B_jjP12ihipStream_tbEUljE_EEESW_SX_SY_S15_S19_S1B_T6_T7_T9_mT8_S1D_bDpT10_ENKUlT_T0_E_clISt17integral_constantIbLb0EES1P_IbLb1EEEEDaS1L_S1M_EUlS1L_E_NS1_11comp_targetILNS1_3genE9ELNS1_11target_archE1100ELNS1_3gpuE3ELNS1_3repE0EEENS1_30default_config_static_selectorELNS0_4arch9wavefront6targetE1EEEvSZ_ ; -- Begin function _ZN7rocprim17ROCPRIM_400000_NS6detail17trampoline_kernelINS0_13select_configILj256ELj13ELNS0_17block_load_methodE3ELS4_3ELS4_3ELNS0_20block_scan_algorithmE0ELj4294967295EEENS1_25partition_config_selectorILNS1_17partition_subalgoE3EjNS0_10empty_typeEbEEZZNS1_14partition_implILS8_3ELb0ES6_jNS0_17counting_iteratorIjlEEPS9_SE_NS0_5tupleIJPjSE_EEENSF_IJSE_SE_EEES9_SG_JZNS1_25segmented_radix_sort_implINS0_14default_configELb0EPK6__halfPSL_PKlPlN2at6native12_GLOBAL__N_18offset_tEEE10hipError_tPvRmT1_PNSt15iterator_traitsISZ_E10value_typeET2_T3_PNS10_IS15_E10value_typeET4_jRbjT5_S1B_jjP12ihipStream_tbEUljE_EEESW_SX_SY_S15_S19_S1B_T6_T7_T9_mT8_S1D_bDpT10_ENKUlT_T0_E_clISt17integral_constantIbLb0EES1P_IbLb1EEEEDaS1L_S1M_EUlS1L_E_NS1_11comp_targetILNS1_3genE9ELNS1_11target_archE1100ELNS1_3gpuE3ELNS1_3repE0EEENS1_30default_config_static_selectorELNS0_4arch9wavefront6targetE1EEEvSZ_
	.p2align	8
	.type	_ZN7rocprim17ROCPRIM_400000_NS6detail17trampoline_kernelINS0_13select_configILj256ELj13ELNS0_17block_load_methodE3ELS4_3ELS4_3ELNS0_20block_scan_algorithmE0ELj4294967295EEENS1_25partition_config_selectorILNS1_17partition_subalgoE3EjNS0_10empty_typeEbEEZZNS1_14partition_implILS8_3ELb0ES6_jNS0_17counting_iteratorIjlEEPS9_SE_NS0_5tupleIJPjSE_EEENSF_IJSE_SE_EEES9_SG_JZNS1_25segmented_radix_sort_implINS0_14default_configELb0EPK6__halfPSL_PKlPlN2at6native12_GLOBAL__N_18offset_tEEE10hipError_tPvRmT1_PNSt15iterator_traitsISZ_E10value_typeET2_T3_PNS10_IS15_E10value_typeET4_jRbjT5_S1B_jjP12ihipStream_tbEUljE_EEESW_SX_SY_S15_S19_S1B_T6_T7_T9_mT8_S1D_bDpT10_ENKUlT_T0_E_clISt17integral_constantIbLb0EES1P_IbLb1EEEEDaS1L_S1M_EUlS1L_E_NS1_11comp_targetILNS1_3genE9ELNS1_11target_archE1100ELNS1_3gpuE3ELNS1_3repE0EEENS1_30default_config_static_selectorELNS0_4arch9wavefront6targetE1EEEvSZ_,@function
_ZN7rocprim17ROCPRIM_400000_NS6detail17trampoline_kernelINS0_13select_configILj256ELj13ELNS0_17block_load_methodE3ELS4_3ELS4_3ELNS0_20block_scan_algorithmE0ELj4294967295EEENS1_25partition_config_selectorILNS1_17partition_subalgoE3EjNS0_10empty_typeEbEEZZNS1_14partition_implILS8_3ELb0ES6_jNS0_17counting_iteratorIjlEEPS9_SE_NS0_5tupleIJPjSE_EEENSF_IJSE_SE_EEES9_SG_JZNS1_25segmented_radix_sort_implINS0_14default_configELb0EPK6__halfPSL_PKlPlN2at6native12_GLOBAL__N_18offset_tEEE10hipError_tPvRmT1_PNSt15iterator_traitsISZ_E10value_typeET2_T3_PNS10_IS15_E10value_typeET4_jRbjT5_S1B_jjP12ihipStream_tbEUljE_EEESW_SX_SY_S15_S19_S1B_T6_T7_T9_mT8_S1D_bDpT10_ENKUlT_T0_E_clISt17integral_constantIbLb0EES1P_IbLb1EEEEDaS1L_S1M_EUlS1L_E_NS1_11comp_targetILNS1_3genE9ELNS1_11target_archE1100ELNS1_3gpuE3ELNS1_3repE0EEENS1_30default_config_static_selectorELNS0_4arch9wavefront6targetE1EEEvSZ_: ; @_ZN7rocprim17ROCPRIM_400000_NS6detail17trampoline_kernelINS0_13select_configILj256ELj13ELNS0_17block_load_methodE3ELS4_3ELS4_3ELNS0_20block_scan_algorithmE0ELj4294967295EEENS1_25partition_config_selectorILNS1_17partition_subalgoE3EjNS0_10empty_typeEbEEZZNS1_14partition_implILS8_3ELb0ES6_jNS0_17counting_iteratorIjlEEPS9_SE_NS0_5tupleIJPjSE_EEENSF_IJSE_SE_EEES9_SG_JZNS1_25segmented_radix_sort_implINS0_14default_configELb0EPK6__halfPSL_PKlPlN2at6native12_GLOBAL__N_18offset_tEEE10hipError_tPvRmT1_PNSt15iterator_traitsISZ_E10value_typeET2_T3_PNS10_IS15_E10value_typeET4_jRbjT5_S1B_jjP12ihipStream_tbEUljE_EEESW_SX_SY_S15_S19_S1B_T6_T7_T9_mT8_S1D_bDpT10_ENKUlT_T0_E_clISt17integral_constantIbLb0EES1P_IbLb1EEEEDaS1L_S1M_EUlS1L_E_NS1_11comp_targetILNS1_3genE9ELNS1_11target_archE1100ELNS1_3gpuE3ELNS1_3repE0EEENS1_30default_config_static_selectorELNS0_4arch9wavefront6targetE1EEEvSZ_
; %bb.0:
	.section	.rodata,"a",@progbits
	.p2align	6, 0x0
	.amdhsa_kernel _ZN7rocprim17ROCPRIM_400000_NS6detail17trampoline_kernelINS0_13select_configILj256ELj13ELNS0_17block_load_methodE3ELS4_3ELS4_3ELNS0_20block_scan_algorithmE0ELj4294967295EEENS1_25partition_config_selectorILNS1_17partition_subalgoE3EjNS0_10empty_typeEbEEZZNS1_14partition_implILS8_3ELb0ES6_jNS0_17counting_iteratorIjlEEPS9_SE_NS0_5tupleIJPjSE_EEENSF_IJSE_SE_EEES9_SG_JZNS1_25segmented_radix_sort_implINS0_14default_configELb0EPK6__halfPSL_PKlPlN2at6native12_GLOBAL__N_18offset_tEEE10hipError_tPvRmT1_PNSt15iterator_traitsISZ_E10value_typeET2_T3_PNS10_IS15_E10value_typeET4_jRbjT5_S1B_jjP12ihipStream_tbEUljE_EEESW_SX_SY_S15_S19_S1B_T6_T7_T9_mT8_S1D_bDpT10_ENKUlT_T0_E_clISt17integral_constantIbLb0EES1P_IbLb1EEEEDaS1L_S1M_EUlS1L_E_NS1_11comp_targetILNS1_3genE9ELNS1_11target_archE1100ELNS1_3gpuE3ELNS1_3repE0EEENS1_30default_config_static_selectorELNS0_4arch9wavefront6targetE1EEEvSZ_
		.amdhsa_group_segment_fixed_size 0
		.amdhsa_private_segment_fixed_size 0
		.amdhsa_kernarg_size 152
		.amdhsa_user_sgpr_count 6
		.amdhsa_user_sgpr_private_segment_buffer 1
		.amdhsa_user_sgpr_dispatch_ptr 0
		.amdhsa_user_sgpr_queue_ptr 0
		.amdhsa_user_sgpr_kernarg_segment_ptr 1
		.amdhsa_user_sgpr_dispatch_id 0
		.amdhsa_user_sgpr_flat_scratch_init 0
		.amdhsa_user_sgpr_private_segment_size 0
		.amdhsa_uses_dynamic_stack 0
		.amdhsa_system_sgpr_private_segment_wavefront_offset 0
		.amdhsa_system_sgpr_workgroup_id_x 1
		.amdhsa_system_sgpr_workgroup_id_y 0
		.amdhsa_system_sgpr_workgroup_id_z 0
		.amdhsa_system_sgpr_workgroup_info 0
		.amdhsa_system_vgpr_workitem_id 0
		.amdhsa_next_free_vgpr 1
		.amdhsa_next_free_sgpr 0
		.amdhsa_reserve_vcc 0
		.amdhsa_reserve_flat_scratch 0
		.amdhsa_float_round_mode_32 0
		.amdhsa_float_round_mode_16_64 0
		.amdhsa_float_denorm_mode_32 3
		.amdhsa_float_denorm_mode_16_64 3
		.amdhsa_dx10_clamp 1
		.amdhsa_ieee_mode 1
		.amdhsa_fp16_overflow 0
		.amdhsa_exception_fp_ieee_invalid_op 0
		.amdhsa_exception_fp_denorm_src 0
		.amdhsa_exception_fp_ieee_div_zero 0
		.amdhsa_exception_fp_ieee_overflow 0
		.amdhsa_exception_fp_ieee_underflow 0
		.amdhsa_exception_fp_ieee_inexact 0
		.amdhsa_exception_int_div_zero 0
	.end_amdhsa_kernel
	.section	.text._ZN7rocprim17ROCPRIM_400000_NS6detail17trampoline_kernelINS0_13select_configILj256ELj13ELNS0_17block_load_methodE3ELS4_3ELS4_3ELNS0_20block_scan_algorithmE0ELj4294967295EEENS1_25partition_config_selectorILNS1_17partition_subalgoE3EjNS0_10empty_typeEbEEZZNS1_14partition_implILS8_3ELb0ES6_jNS0_17counting_iteratorIjlEEPS9_SE_NS0_5tupleIJPjSE_EEENSF_IJSE_SE_EEES9_SG_JZNS1_25segmented_radix_sort_implINS0_14default_configELb0EPK6__halfPSL_PKlPlN2at6native12_GLOBAL__N_18offset_tEEE10hipError_tPvRmT1_PNSt15iterator_traitsISZ_E10value_typeET2_T3_PNS10_IS15_E10value_typeET4_jRbjT5_S1B_jjP12ihipStream_tbEUljE_EEESW_SX_SY_S15_S19_S1B_T6_T7_T9_mT8_S1D_bDpT10_ENKUlT_T0_E_clISt17integral_constantIbLb0EES1P_IbLb1EEEEDaS1L_S1M_EUlS1L_E_NS1_11comp_targetILNS1_3genE9ELNS1_11target_archE1100ELNS1_3gpuE3ELNS1_3repE0EEENS1_30default_config_static_selectorELNS0_4arch9wavefront6targetE1EEEvSZ_,"axG",@progbits,_ZN7rocprim17ROCPRIM_400000_NS6detail17trampoline_kernelINS0_13select_configILj256ELj13ELNS0_17block_load_methodE3ELS4_3ELS4_3ELNS0_20block_scan_algorithmE0ELj4294967295EEENS1_25partition_config_selectorILNS1_17partition_subalgoE3EjNS0_10empty_typeEbEEZZNS1_14partition_implILS8_3ELb0ES6_jNS0_17counting_iteratorIjlEEPS9_SE_NS0_5tupleIJPjSE_EEENSF_IJSE_SE_EEES9_SG_JZNS1_25segmented_radix_sort_implINS0_14default_configELb0EPK6__halfPSL_PKlPlN2at6native12_GLOBAL__N_18offset_tEEE10hipError_tPvRmT1_PNSt15iterator_traitsISZ_E10value_typeET2_T3_PNS10_IS15_E10value_typeET4_jRbjT5_S1B_jjP12ihipStream_tbEUljE_EEESW_SX_SY_S15_S19_S1B_T6_T7_T9_mT8_S1D_bDpT10_ENKUlT_T0_E_clISt17integral_constantIbLb0EES1P_IbLb1EEEEDaS1L_S1M_EUlS1L_E_NS1_11comp_targetILNS1_3genE9ELNS1_11target_archE1100ELNS1_3gpuE3ELNS1_3repE0EEENS1_30default_config_static_selectorELNS0_4arch9wavefront6targetE1EEEvSZ_,comdat
.Lfunc_end1840:
	.size	_ZN7rocprim17ROCPRIM_400000_NS6detail17trampoline_kernelINS0_13select_configILj256ELj13ELNS0_17block_load_methodE3ELS4_3ELS4_3ELNS0_20block_scan_algorithmE0ELj4294967295EEENS1_25partition_config_selectorILNS1_17partition_subalgoE3EjNS0_10empty_typeEbEEZZNS1_14partition_implILS8_3ELb0ES6_jNS0_17counting_iteratorIjlEEPS9_SE_NS0_5tupleIJPjSE_EEENSF_IJSE_SE_EEES9_SG_JZNS1_25segmented_radix_sort_implINS0_14default_configELb0EPK6__halfPSL_PKlPlN2at6native12_GLOBAL__N_18offset_tEEE10hipError_tPvRmT1_PNSt15iterator_traitsISZ_E10value_typeET2_T3_PNS10_IS15_E10value_typeET4_jRbjT5_S1B_jjP12ihipStream_tbEUljE_EEESW_SX_SY_S15_S19_S1B_T6_T7_T9_mT8_S1D_bDpT10_ENKUlT_T0_E_clISt17integral_constantIbLb0EES1P_IbLb1EEEEDaS1L_S1M_EUlS1L_E_NS1_11comp_targetILNS1_3genE9ELNS1_11target_archE1100ELNS1_3gpuE3ELNS1_3repE0EEENS1_30default_config_static_selectorELNS0_4arch9wavefront6targetE1EEEvSZ_, .Lfunc_end1840-_ZN7rocprim17ROCPRIM_400000_NS6detail17trampoline_kernelINS0_13select_configILj256ELj13ELNS0_17block_load_methodE3ELS4_3ELS4_3ELNS0_20block_scan_algorithmE0ELj4294967295EEENS1_25partition_config_selectorILNS1_17partition_subalgoE3EjNS0_10empty_typeEbEEZZNS1_14partition_implILS8_3ELb0ES6_jNS0_17counting_iteratorIjlEEPS9_SE_NS0_5tupleIJPjSE_EEENSF_IJSE_SE_EEES9_SG_JZNS1_25segmented_radix_sort_implINS0_14default_configELb0EPK6__halfPSL_PKlPlN2at6native12_GLOBAL__N_18offset_tEEE10hipError_tPvRmT1_PNSt15iterator_traitsISZ_E10value_typeET2_T3_PNS10_IS15_E10value_typeET4_jRbjT5_S1B_jjP12ihipStream_tbEUljE_EEESW_SX_SY_S15_S19_S1B_T6_T7_T9_mT8_S1D_bDpT10_ENKUlT_T0_E_clISt17integral_constantIbLb0EES1P_IbLb1EEEEDaS1L_S1M_EUlS1L_E_NS1_11comp_targetILNS1_3genE9ELNS1_11target_archE1100ELNS1_3gpuE3ELNS1_3repE0EEENS1_30default_config_static_selectorELNS0_4arch9wavefront6targetE1EEEvSZ_
                                        ; -- End function
	.set _ZN7rocprim17ROCPRIM_400000_NS6detail17trampoline_kernelINS0_13select_configILj256ELj13ELNS0_17block_load_methodE3ELS4_3ELS4_3ELNS0_20block_scan_algorithmE0ELj4294967295EEENS1_25partition_config_selectorILNS1_17partition_subalgoE3EjNS0_10empty_typeEbEEZZNS1_14partition_implILS8_3ELb0ES6_jNS0_17counting_iteratorIjlEEPS9_SE_NS0_5tupleIJPjSE_EEENSF_IJSE_SE_EEES9_SG_JZNS1_25segmented_radix_sort_implINS0_14default_configELb0EPK6__halfPSL_PKlPlN2at6native12_GLOBAL__N_18offset_tEEE10hipError_tPvRmT1_PNSt15iterator_traitsISZ_E10value_typeET2_T3_PNS10_IS15_E10value_typeET4_jRbjT5_S1B_jjP12ihipStream_tbEUljE_EEESW_SX_SY_S15_S19_S1B_T6_T7_T9_mT8_S1D_bDpT10_ENKUlT_T0_E_clISt17integral_constantIbLb0EES1P_IbLb1EEEEDaS1L_S1M_EUlS1L_E_NS1_11comp_targetILNS1_3genE9ELNS1_11target_archE1100ELNS1_3gpuE3ELNS1_3repE0EEENS1_30default_config_static_selectorELNS0_4arch9wavefront6targetE1EEEvSZ_.num_vgpr, 0
	.set _ZN7rocprim17ROCPRIM_400000_NS6detail17trampoline_kernelINS0_13select_configILj256ELj13ELNS0_17block_load_methodE3ELS4_3ELS4_3ELNS0_20block_scan_algorithmE0ELj4294967295EEENS1_25partition_config_selectorILNS1_17partition_subalgoE3EjNS0_10empty_typeEbEEZZNS1_14partition_implILS8_3ELb0ES6_jNS0_17counting_iteratorIjlEEPS9_SE_NS0_5tupleIJPjSE_EEENSF_IJSE_SE_EEES9_SG_JZNS1_25segmented_radix_sort_implINS0_14default_configELb0EPK6__halfPSL_PKlPlN2at6native12_GLOBAL__N_18offset_tEEE10hipError_tPvRmT1_PNSt15iterator_traitsISZ_E10value_typeET2_T3_PNS10_IS15_E10value_typeET4_jRbjT5_S1B_jjP12ihipStream_tbEUljE_EEESW_SX_SY_S15_S19_S1B_T6_T7_T9_mT8_S1D_bDpT10_ENKUlT_T0_E_clISt17integral_constantIbLb0EES1P_IbLb1EEEEDaS1L_S1M_EUlS1L_E_NS1_11comp_targetILNS1_3genE9ELNS1_11target_archE1100ELNS1_3gpuE3ELNS1_3repE0EEENS1_30default_config_static_selectorELNS0_4arch9wavefront6targetE1EEEvSZ_.num_agpr, 0
	.set _ZN7rocprim17ROCPRIM_400000_NS6detail17trampoline_kernelINS0_13select_configILj256ELj13ELNS0_17block_load_methodE3ELS4_3ELS4_3ELNS0_20block_scan_algorithmE0ELj4294967295EEENS1_25partition_config_selectorILNS1_17partition_subalgoE3EjNS0_10empty_typeEbEEZZNS1_14partition_implILS8_3ELb0ES6_jNS0_17counting_iteratorIjlEEPS9_SE_NS0_5tupleIJPjSE_EEENSF_IJSE_SE_EEES9_SG_JZNS1_25segmented_radix_sort_implINS0_14default_configELb0EPK6__halfPSL_PKlPlN2at6native12_GLOBAL__N_18offset_tEEE10hipError_tPvRmT1_PNSt15iterator_traitsISZ_E10value_typeET2_T3_PNS10_IS15_E10value_typeET4_jRbjT5_S1B_jjP12ihipStream_tbEUljE_EEESW_SX_SY_S15_S19_S1B_T6_T7_T9_mT8_S1D_bDpT10_ENKUlT_T0_E_clISt17integral_constantIbLb0EES1P_IbLb1EEEEDaS1L_S1M_EUlS1L_E_NS1_11comp_targetILNS1_3genE9ELNS1_11target_archE1100ELNS1_3gpuE3ELNS1_3repE0EEENS1_30default_config_static_selectorELNS0_4arch9wavefront6targetE1EEEvSZ_.numbered_sgpr, 0
	.set _ZN7rocprim17ROCPRIM_400000_NS6detail17trampoline_kernelINS0_13select_configILj256ELj13ELNS0_17block_load_methodE3ELS4_3ELS4_3ELNS0_20block_scan_algorithmE0ELj4294967295EEENS1_25partition_config_selectorILNS1_17partition_subalgoE3EjNS0_10empty_typeEbEEZZNS1_14partition_implILS8_3ELb0ES6_jNS0_17counting_iteratorIjlEEPS9_SE_NS0_5tupleIJPjSE_EEENSF_IJSE_SE_EEES9_SG_JZNS1_25segmented_radix_sort_implINS0_14default_configELb0EPK6__halfPSL_PKlPlN2at6native12_GLOBAL__N_18offset_tEEE10hipError_tPvRmT1_PNSt15iterator_traitsISZ_E10value_typeET2_T3_PNS10_IS15_E10value_typeET4_jRbjT5_S1B_jjP12ihipStream_tbEUljE_EEESW_SX_SY_S15_S19_S1B_T6_T7_T9_mT8_S1D_bDpT10_ENKUlT_T0_E_clISt17integral_constantIbLb0EES1P_IbLb1EEEEDaS1L_S1M_EUlS1L_E_NS1_11comp_targetILNS1_3genE9ELNS1_11target_archE1100ELNS1_3gpuE3ELNS1_3repE0EEENS1_30default_config_static_selectorELNS0_4arch9wavefront6targetE1EEEvSZ_.num_named_barrier, 0
	.set _ZN7rocprim17ROCPRIM_400000_NS6detail17trampoline_kernelINS0_13select_configILj256ELj13ELNS0_17block_load_methodE3ELS4_3ELS4_3ELNS0_20block_scan_algorithmE0ELj4294967295EEENS1_25partition_config_selectorILNS1_17partition_subalgoE3EjNS0_10empty_typeEbEEZZNS1_14partition_implILS8_3ELb0ES6_jNS0_17counting_iteratorIjlEEPS9_SE_NS0_5tupleIJPjSE_EEENSF_IJSE_SE_EEES9_SG_JZNS1_25segmented_radix_sort_implINS0_14default_configELb0EPK6__halfPSL_PKlPlN2at6native12_GLOBAL__N_18offset_tEEE10hipError_tPvRmT1_PNSt15iterator_traitsISZ_E10value_typeET2_T3_PNS10_IS15_E10value_typeET4_jRbjT5_S1B_jjP12ihipStream_tbEUljE_EEESW_SX_SY_S15_S19_S1B_T6_T7_T9_mT8_S1D_bDpT10_ENKUlT_T0_E_clISt17integral_constantIbLb0EES1P_IbLb1EEEEDaS1L_S1M_EUlS1L_E_NS1_11comp_targetILNS1_3genE9ELNS1_11target_archE1100ELNS1_3gpuE3ELNS1_3repE0EEENS1_30default_config_static_selectorELNS0_4arch9wavefront6targetE1EEEvSZ_.private_seg_size, 0
	.set _ZN7rocprim17ROCPRIM_400000_NS6detail17trampoline_kernelINS0_13select_configILj256ELj13ELNS0_17block_load_methodE3ELS4_3ELS4_3ELNS0_20block_scan_algorithmE0ELj4294967295EEENS1_25partition_config_selectorILNS1_17partition_subalgoE3EjNS0_10empty_typeEbEEZZNS1_14partition_implILS8_3ELb0ES6_jNS0_17counting_iteratorIjlEEPS9_SE_NS0_5tupleIJPjSE_EEENSF_IJSE_SE_EEES9_SG_JZNS1_25segmented_radix_sort_implINS0_14default_configELb0EPK6__halfPSL_PKlPlN2at6native12_GLOBAL__N_18offset_tEEE10hipError_tPvRmT1_PNSt15iterator_traitsISZ_E10value_typeET2_T3_PNS10_IS15_E10value_typeET4_jRbjT5_S1B_jjP12ihipStream_tbEUljE_EEESW_SX_SY_S15_S19_S1B_T6_T7_T9_mT8_S1D_bDpT10_ENKUlT_T0_E_clISt17integral_constantIbLb0EES1P_IbLb1EEEEDaS1L_S1M_EUlS1L_E_NS1_11comp_targetILNS1_3genE9ELNS1_11target_archE1100ELNS1_3gpuE3ELNS1_3repE0EEENS1_30default_config_static_selectorELNS0_4arch9wavefront6targetE1EEEvSZ_.uses_vcc, 0
	.set _ZN7rocprim17ROCPRIM_400000_NS6detail17trampoline_kernelINS0_13select_configILj256ELj13ELNS0_17block_load_methodE3ELS4_3ELS4_3ELNS0_20block_scan_algorithmE0ELj4294967295EEENS1_25partition_config_selectorILNS1_17partition_subalgoE3EjNS0_10empty_typeEbEEZZNS1_14partition_implILS8_3ELb0ES6_jNS0_17counting_iteratorIjlEEPS9_SE_NS0_5tupleIJPjSE_EEENSF_IJSE_SE_EEES9_SG_JZNS1_25segmented_radix_sort_implINS0_14default_configELb0EPK6__halfPSL_PKlPlN2at6native12_GLOBAL__N_18offset_tEEE10hipError_tPvRmT1_PNSt15iterator_traitsISZ_E10value_typeET2_T3_PNS10_IS15_E10value_typeET4_jRbjT5_S1B_jjP12ihipStream_tbEUljE_EEESW_SX_SY_S15_S19_S1B_T6_T7_T9_mT8_S1D_bDpT10_ENKUlT_T0_E_clISt17integral_constantIbLb0EES1P_IbLb1EEEEDaS1L_S1M_EUlS1L_E_NS1_11comp_targetILNS1_3genE9ELNS1_11target_archE1100ELNS1_3gpuE3ELNS1_3repE0EEENS1_30default_config_static_selectorELNS0_4arch9wavefront6targetE1EEEvSZ_.uses_flat_scratch, 0
	.set _ZN7rocprim17ROCPRIM_400000_NS6detail17trampoline_kernelINS0_13select_configILj256ELj13ELNS0_17block_load_methodE3ELS4_3ELS4_3ELNS0_20block_scan_algorithmE0ELj4294967295EEENS1_25partition_config_selectorILNS1_17partition_subalgoE3EjNS0_10empty_typeEbEEZZNS1_14partition_implILS8_3ELb0ES6_jNS0_17counting_iteratorIjlEEPS9_SE_NS0_5tupleIJPjSE_EEENSF_IJSE_SE_EEES9_SG_JZNS1_25segmented_radix_sort_implINS0_14default_configELb0EPK6__halfPSL_PKlPlN2at6native12_GLOBAL__N_18offset_tEEE10hipError_tPvRmT1_PNSt15iterator_traitsISZ_E10value_typeET2_T3_PNS10_IS15_E10value_typeET4_jRbjT5_S1B_jjP12ihipStream_tbEUljE_EEESW_SX_SY_S15_S19_S1B_T6_T7_T9_mT8_S1D_bDpT10_ENKUlT_T0_E_clISt17integral_constantIbLb0EES1P_IbLb1EEEEDaS1L_S1M_EUlS1L_E_NS1_11comp_targetILNS1_3genE9ELNS1_11target_archE1100ELNS1_3gpuE3ELNS1_3repE0EEENS1_30default_config_static_selectorELNS0_4arch9wavefront6targetE1EEEvSZ_.has_dyn_sized_stack, 0
	.set _ZN7rocprim17ROCPRIM_400000_NS6detail17trampoline_kernelINS0_13select_configILj256ELj13ELNS0_17block_load_methodE3ELS4_3ELS4_3ELNS0_20block_scan_algorithmE0ELj4294967295EEENS1_25partition_config_selectorILNS1_17partition_subalgoE3EjNS0_10empty_typeEbEEZZNS1_14partition_implILS8_3ELb0ES6_jNS0_17counting_iteratorIjlEEPS9_SE_NS0_5tupleIJPjSE_EEENSF_IJSE_SE_EEES9_SG_JZNS1_25segmented_radix_sort_implINS0_14default_configELb0EPK6__halfPSL_PKlPlN2at6native12_GLOBAL__N_18offset_tEEE10hipError_tPvRmT1_PNSt15iterator_traitsISZ_E10value_typeET2_T3_PNS10_IS15_E10value_typeET4_jRbjT5_S1B_jjP12ihipStream_tbEUljE_EEESW_SX_SY_S15_S19_S1B_T6_T7_T9_mT8_S1D_bDpT10_ENKUlT_T0_E_clISt17integral_constantIbLb0EES1P_IbLb1EEEEDaS1L_S1M_EUlS1L_E_NS1_11comp_targetILNS1_3genE9ELNS1_11target_archE1100ELNS1_3gpuE3ELNS1_3repE0EEENS1_30default_config_static_selectorELNS0_4arch9wavefront6targetE1EEEvSZ_.has_recursion, 0
	.set _ZN7rocprim17ROCPRIM_400000_NS6detail17trampoline_kernelINS0_13select_configILj256ELj13ELNS0_17block_load_methodE3ELS4_3ELS4_3ELNS0_20block_scan_algorithmE0ELj4294967295EEENS1_25partition_config_selectorILNS1_17partition_subalgoE3EjNS0_10empty_typeEbEEZZNS1_14partition_implILS8_3ELb0ES6_jNS0_17counting_iteratorIjlEEPS9_SE_NS0_5tupleIJPjSE_EEENSF_IJSE_SE_EEES9_SG_JZNS1_25segmented_radix_sort_implINS0_14default_configELb0EPK6__halfPSL_PKlPlN2at6native12_GLOBAL__N_18offset_tEEE10hipError_tPvRmT1_PNSt15iterator_traitsISZ_E10value_typeET2_T3_PNS10_IS15_E10value_typeET4_jRbjT5_S1B_jjP12ihipStream_tbEUljE_EEESW_SX_SY_S15_S19_S1B_T6_T7_T9_mT8_S1D_bDpT10_ENKUlT_T0_E_clISt17integral_constantIbLb0EES1P_IbLb1EEEEDaS1L_S1M_EUlS1L_E_NS1_11comp_targetILNS1_3genE9ELNS1_11target_archE1100ELNS1_3gpuE3ELNS1_3repE0EEENS1_30default_config_static_selectorELNS0_4arch9wavefront6targetE1EEEvSZ_.has_indirect_call, 0
	.section	.AMDGPU.csdata,"",@progbits
; Kernel info:
; codeLenInByte = 0
; TotalNumSgprs: 4
; NumVgprs: 0
; ScratchSize: 0
; MemoryBound: 0
; FloatMode: 240
; IeeeMode: 1
; LDSByteSize: 0 bytes/workgroup (compile time only)
; SGPRBlocks: 0
; VGPRBlocks: 0
; NumSGPRsForWavesPerEU: 4
; NumVGPRsForWavesPerEU: 1
; Occupancy: 10
; WaveLimiterHint : 0
; COMPUTE_PGM_RSRC2:SCRATCH_EN: 0
; COMPUTE_PGM_RSRC2:USER_SGPR: 6
; COMPUTE_PGM_RSRC2:TRAP_HANDLER: 0
; COMPUTE_PGM_RSRC2:TGID_X_EN: 1
; COMPUTE_PGM_RSRC2:TGID_Y_EN: 0
; COMPUTE_PGM_RSRC2:TGID_Z_EN: 0
; COMPUTE_PGM_RSRC2:TIDIG_COMP_CNT: 0
	.section	.text._ZN7rocprim17ROCPRIM_400000_NS6detail17trampoline_kernelINS0_13select_configILj256ELj13ELNS0_17block_load_methodE3ELS4_3ELS4_3ELNS0_20block_scan_algorithmE0ELj4294967295EEENS1_25partition_config_selectorILNS1_17partition_subalgoE3EjNS0_10empty_typeEbEEZZNS1_14partition_implILS8_3ELb0ES6_jNS0_17counting_iteratorIjlEEPS9_SE_NS0_5tupleIJPjSE_EEENSF_IJSE_SE_EEES9_SG_JZNS1_25segmented_radix_sort_implINS0_14default_configELb0EPK6__halfPSL_PKlPlN2at6native12_GLOBAL__N_18offset_tEEE10hipError_tPvRmT1_PNSt15iterator_traitsISZ_E10value_typeET2_T3_PNS10_IS15_E10value_typeET4_jRbjT5_S1B_jjP12ihipStream_tbEUljE_EEESW_SX_SY_S15_S19_S1B_T6_T7_T9_mT8_S1D_bDpT10_ENKUlT_T0_E_clISt17integral_constantIbLb0EES1P_IbLb1EEEEDaS1L_S1M_EUlS1L_E_NS1_11comp_targetILNS1_3genE8ELNS1_11target_archE1030ELNS1_3gpuE2ELNS1_3repE0EEENS1_30default_config_static_selectorELNS0_4arch9wavefront6targetE1EEEvSZ_,"axG",@progbits,_ZN7rocprim17ROCPRIM_400000_NS6detail17trampoline_kernelINS0_13select_configILj256ELj13ELNS0_17block_load_methodE3ELS4_3ELS4_3ELNS0_20block_scan_algorithmE0ELj4294967295EEENS1_25partition_config_selectorILNS1_17partition_subalgoE3EjNS0_10empty_typeEbEEZZNS1_14partition_implILS8_3ELb0ES6_jNS0_17counting_iteratorIjlEEPS9_SE_NS0_5tupleIJPjSE_EEENSF_IJSE_SE_EEES9_SG_JZNS1_25segmented_radix_sort_implINS0_14default_configELb0EPK6__halfPSL_PKlPlN2at6native12_GLOBAL__N_18offset_tEEE10hipError_tPvRmT1_PNSt15iterator_traitsISZ_E10value_typeET2_T3_PNS10_IS15_E10value_typeET4_jRbjT5_S1B_jjP12ihipStream_tbEUljE_EEESW_SX_SY_S15_S19_S1B_T6_T7_T9_mT8_S1D_bDpT10_ENKUlT_T0_E_clISt17integral_constantIbLb0EES1P_IbLb1EEEEDaS1L_S1M_EUlS1L_E_NS1_11comp_targetILNS1_3genE8ELNS1_11target_archE1030ELNS1_3gpuE2ELNS1_3repE0EEENS1_30default_config_static_selectorELNS0_4arch9wavefront6targetE1EEEvSZ_,comdat
	.globl	_ZN7rocprim17ROCPRIM_400000_NS6detail17trampoline_kernelINS0_13select_configILj256ELj13ELNS0_17block_load_methodE3ELS4_3ELS4_3ELNS0_20block_scan_algorithmE0ELj4294967295EEENS1_25partition_config_selectorILNS1_17partition_subalgoE3EjNS0_10empty_typeEbEEZZNS1_14partition_implILS8_3ELb0ES6_jNS0_17counting_iteratorIjlEEPS9_SE_NS0_5tupleIJPjSE_EEENSF_IJSE_SE_EEES9_SG_JZNS1_25segmented_radix_sort_implINS0_14default_configELb0EPK6__halfPSL_PKlPlN2at6native12_GLOBAL__N_18offset_tEEE10hipError_tPvRmT1_PNSt15iterator_traitsISZ_E10value_typeET2_T3_PNS10_IS15_E10value_typeET4_jRbjT5_S1B_jjP12ihipStream_tbEUljE_EEESW_SX_SY_S15_S19_S1B_T6_T7_T9_mT8_S1D_bDpT10_ENKUlT_T0_E_clISt17integral_constantIbLb0EES1P_IbLb1EEEEDaS1L_S1M_EUlS1L_E_NS1_11comp_targetILNS1_3genE8ELNS1_11target_archE1030ELNS1_3gpuE2ELNS1_3repE0EEENS1_30default_config_static_selectorELNS0_4arch9wavefront6targetE1EEEvSZ_ ; -- Begin function _ZN7rocprim17ROCPRIM_400000_NS6detail17trampoline_kernelINS0_13select_configILj256ELj13ELNS0_17block_load_methodE3ELS4_3ELS4_3ELNS0_20block_scan_algorithmE0ELj4294967295EEENS1_25partition_config_selectorILNS1_17partition_subalgoE3EjNS0_10empty_typeEbEEZZNS1_14partition_implILS8_3ELb0ES6_jNS0_17counting_iteratorIjlEEPS9_SE_NS0_5tupleIJPjSE_EEENSF_IJSE_SE_EEES9_SG_JZNS1_25segmented_radix_sort_implINS0_14default_configELb0EPK6__halfPSL_PKlPlN2at6native12_GLOBAL__N_18offset_tEEE10hipError_tPvRmT1_PNSt15iterator_traitsISZ_E10value_typeET2_T3_PNS10_IS15_E10value_typeET4_jRbjT5_S1B_jjP12ihipStream_tbEUljE_EEESW_SX_SY_S15_S19_S1B_T6_T7_T9_mT8_S1D_bDpT10_ENKUlT_T0_E_clISt17integral_constantIbLb0EES1P_IbLb1EEEEDaS1L_S1M_EUlS1L_E_NS1_11comp_targetILNS1_3genE8ELNS1_11target_archE1030ELNS1_3gpuE2ELNS1_3repE0EEENS1_30default_config_static_selectorELNS0_4arch9wavefront6targetE1EEEvSZ_
	.p2align	8
	.type	_ZN7rocprim17ROCPRIM_400000_NS6detail17trampoline_kernelINS0_13select_configILj256ELj13ELNS0_17block_load_methodE3ELS4_3ELS4_3ELNS0_20block_scan_algorithmE0ELj4294967295EEENS1_25partition_config_selectorILNS1_17partition_subalgoE3EjNS0_10empty_typeEbEEZZNS1_14partition_implILS8_3ELb0ES6_jNS0_17counting_iteratorIjlEEPS9_SE_NS0_5tupleIJPjSE_EEENSF_IJSE_SE_EEES9_SG_JZNS1_25segmented_radix_sort_implINS0_14default_configELb0EPK6__halfPSL_PKlPlN2at6native12_GLOBAL__N_18offset_tEEE10hipError_tPvRmT1_PNSt15iterator_traitsISZ_E10value_typeET2_T3_PNS10_IS15_E10value_typeET4_jRbjT5_S1B_jjP12ihipStream_tbEUljE_EEESW_SX_SY_S15_S19_S1B_T6_T7_T9_mT8_S1D_bDpT10_ENKUlT_T0_E_clISt17integral_constantIbLb0EES1P_IbLb1EEEEDaS1L_S1M_EUlS1L_E_NS1_11comp_targetILNS1_3genE8ELNS1_11target_archE1030ELNS1_3gpuE2ELNS1_3repE0EEENS1_30default_config_static_selectorELNS0_4arch9wavefront6targetE1EEEvSZ_,@function
_ZN7rocprim17ROCPRIM_400000_NS6detail17trampoline_kernelINS0_13select_configILj256ELj13ELNS0_17block_load_methodE3ELS4_3ELS4_3ELNS0_20block_scan_algorithmE0ELj4294967295EEENS1_25partition_config_selectorILNS1_17partition_subalgoE3EjNS0_10empty_typeEbEEZZNS1_14partition_implILS8_3ELb0ES6_jNS0_17counting_iteratorIjlEEPS9_SE_NS0_5tupleIJPjSE_EEENSF_IJSE_SE_EEES9_SG_JZNS1_25segmented_radix_sort_implINS0_14default_configELb0EPK6__halfPSL_PKlPlN2at6native12_GLOBAL__N_18offset_tEEE10hipError_tPvRmT1_PNSt15iterator_traitsISZ_E10value_typeET2_T3_PNS10_IS15_E10value_typeET4_jRbjT5_S1B_jjP12ihipStream_tbEUljE_EEESW_SX_SY_S15_S19_S1B_T6_T7_T9_mT8_S1D_bDpT10_ENKUlT_T0_E_clISt17integral_constantIbLb0EES1P_IbLb1EEEEDaS1L_S1M_EUlS1L_E_NS1_11comp_targetILNS1_3genE8ELNS1_11target_archE1030ELNS1_3gpuE2ELNS1_3repE0EEENS1_30default_config_static_selectorELNS0_4arch9wavefront6targetE1EEEvSZ_: ; @_ZN7rocprim17ROCPRIM_400000_NS6detail17trampoline_kernelINS0_13select_configILj256ELj13ELNS0_17block_load_methodE3ELS4_3ELS4_3ELNS0_20block_scan_algorithmE0ELj4294967295EEENS1_25partition_config_selectorILNS1_17partition_subalgoE3EjNS0_10empty_typeEbEEZZNS1_14partition_implILS8_3ELb0ES6_jNS0_17counting_iteratorIjlEEPS9_SE_NS0_5tupleIJPjSE_EEENSF_IJSE_SE_EEES9_SG_JZNS1_25segmented_radix_sort_implINS0_14default_configELb0EPK6__halfPSL_PKlPlN2at6native12_GLOBAL__N_18offset_tEEE10hipError_tPvRmT1_PNSt15iterator_traitsISZ_E10value_typeET2_T3_PNS10_IS15_E10value_typeET4_jRbjT5_S1B_jjP12ihipStream_tbEUljE_EEESW_SX_SY_S15_S19_S1B_T6_T7_T9_mT8_S1D_bDpT10_ENKUlT_T0_E_clISt17integral_constantIbLb0EES1P_IbLb1EEEEDaS1L_S1M_EUlS1L_E_NS1_11comp_targetILNS1_3genE8ELNS1_11target_archE1030ELNS1_3gpuE2ELNS1_3repE0EEENS1_30default_config_static_selectorELNS0_4arch9wavefront6targetE1EEEvSZ_
; %bb.0:
	.section	.rodata,"a",@progbits
	.p2align	6, 0x0
	.amdhsa_kernel _ZN7rocprim17ROCPRIM_400000_NS6detail17trampoline_kernelINS0_13select_configILj256ELj13ELNS0_17block_load_methodE3ELS4_3ELS4_3ELNS0_20block_scan_algorithmE0ELj4294967295EEENS1_25partition_config_selectorILNS1_17partition_subalgoE3EjNS0_10empty_typeEbEEZZNS1_14partition_implILS8_3ELb0ES6_jNS0_17counting_iteratorIjlEEPS9_SE_NS0_5tupleIJPjSE_EEENSF_IJSE_SE_EEES9_SG_JZNS1_25segmented_radix_sort_implINS0_14default_configELb0EPK6__halfPSL_PKlPlN2at6native12_GLOBAL__N_18offset_tEEE10hipError_tPvRmT1_PNSt15iterator_traitsISZ_E10value_typeET2_T3_PNS10_IS15_E10value_typeET4_jRbjT5_S1B_jjP12ihipStream_tbEUljE_EEESW_SX_SY_S15_S19_S1B_T6_T7_T9_mT8_S1D_bDpT10_ENKUlT_T0_E_clISt17integral_constantIbLb0EES1P_IbLb1EEEEDaS1L_S1M_EUlS1L_E_NS1_11comp_targetILNS1_3genE8ELNS1_11target_archE1030ELNS1_3gpuE2ELNS1_3repE0EEENS1_30default_config_static_selectorELNS0_4arch9wavefront6targetE1EEEvSZ_
		.amdhsa_group_segment_fixed_size 0
		.amdhsa_private_segment_fixed_size 0
		.amdhsa_kernarg_size 152
		.amdhsa_user_sgpr_count 6
		.amdhsa_user_sgpr_private_segment_buffer 1
		.amdhsa_user_sgpr_dispatch_ptr 0
		.amdhsa_user_sgpr_queue_ptr 0
		.amdhsa_user_sgpr_kernarg_segment_ptr 1
		.amdhsa_user_sgpr_dispatch_id 0
		.amdhsa_user_sgpr_flat_scratch_init 0
		.amdhsa_user_sgpr_private_segment_size 0
		.amdhsa_uses_dynamic_stack 0
		.amdhsa_system_sgpr_private_segment_wavefront_offset 0
		.amdhsa_system_sgpr_workgroup_id_x 1
		.amdhsa_system_sgpr_workgroup_id_y 0
		.amdhsa_system_sgpr_workgroup_id_z 0
		.amdhsa_system_sgpr_workgroup_info 0
		.amdhsa_system_vgpr_workitem_id 0
		.amdhsa_next_free_vgpr 1
		.amdhsa_next_free_sgpr 0
		.amdhsa_reserve_vcc 0
		.amdhsa_reserve_flat_scratch 0
		.amdhsa_float_round_mode_32 0
		.amdhsa_float_round_mode_16_64 0
		.amdhsa_float_denorm_mode_32 3
		.amdhsa_float_denorm_mode_16_64 3
		.amdhsa_dx10_clamp 1
		.amdhsa_ieee_mode 1
		.amdhsa_fp16_overflow 0
		.amdhsa_exception_fp_ieee_invalid_op 0
		.amdhsa_exception_fp_denorm_src 0
		.amdhsa_exception_fp_ieee_div_zero 0
		.amdhsa_exception_fp_ieee_overflow 0
		.amdhsa_exception_fp_ieee_underflow 0
		.amdhsa_exception_fp_ieee_inexact 0
		.amdhsa_exception_int_div_zero 0
	.end_amdhsa_kernel
	.section	.text._ZN7rocprim17ROCPRIM_400000_NS6detail17trampoline_kernelINS0_13select_configILj256ELj13ELNS0_17block_load_methodE3ELS4_3ELS4_3ELNS0_20block_scan_algorithmE0ELj4294967295EEENS1_25partition_config_selectorILNS1_17partition_subalgoE3EjNS0_10empty_typeEbEEZZNS1_14partition_implILS8_3ELb0ES6_jNS0_17counting_iteratorIjlEEPS9_SE_NS0_5tupleIJPjSE_EEENSF_IJSE_SE_EEES9_SG_JZNS1_25segmented_radix_sort_implINS0_14default_configELb0EPK6__halfPSL_PKlPlN2at6native12_GLOBAL__N_18offset_tEEE10hipError_tPvRmT1_PNSt15iterator_traitsISZ_E10value_typeET2_T3_PNS10_IS15_E10value_typeET4_jRbjT5_S1B_jjP12ihipStream_tbEUljE_EEESW_SX_SY_S15_S19_S1B_T6_T7_T9_mT8_S1D_bDpT10_ENKUlT_T0_E_clISt17integral_constantIbLb0EES1P_IbLb1EEEEDaS1L_S1M_EUlS1L_E_NS1_11comp_targetILNS1_3genE8ELNS1_11target_archE1030ELNS1_3gpuE2ELNS1_3repE0EEENS1_30default_config_static_selectorELNS0_4arch9wavefront6targetE1EEEvSZ_,"axG",@progbits,_ZN7rocprim17ROCPRIM_400000_NS6detail17trampoline_kernelINS0_13select_configILj256ELj13ELNS0_17block_load_methodE3ELS4_3ELS4_3ELNS0_20block_scan_algorithmE0ELj4294967295EEENS1_25partition_config_selectorILNS1_17partition_subalgoE3EjNS0_10empty_typeEbEEZZNS1_14partition_implILS8_3ELb0ES6_jNS0_17counting_iteratorIjlEEPS9_SE_NS0_5tupleIJPjSE_EEENSF_IJSE_SE_EEES9_SG_JZNS1_25segmented_radix_sort_implINS0_14default_configELb0EPK6__halfPSL_PKlPlN2at6native12_GLOBAL__N_18offset_tEEE10hipError_tPvRmT1_PNSt15iterator_traitsISZ_E10value_typeET2_T3_PNS10_IS15_E10value_typeET4_jRbjT5_S1B_jjP12ihipStream_tbEUljE_EEESW_SX_SY_S15_S19_S1B_T6_T7_T9_mT8_S1D_bDpT10_ENKUlT_T0_E_clISt17integral_constantIbLb0EES1P_IbLb1EEEEDaS1L_S1M_EUlS1L_E_NS1_11comp_targetILNS1_3genE8ELNS1_11target_archE1030ELNS1_3gpuE2ELNS1_3repE0EEENS1_30default_config_static_selectorELNS0_4arch9wavefront6targetE1EEEvSZ_,comdat
.Lfunc_end1841:
	.size	_ZN7rocprim17ROCPRIM_400000_NS6detail17trampoline_kernelINS0_13select_configILj256ELj13ELNS0_17block_load_methodE3ELS4_3ELS4_3ELNS0_20block_scan_algorithmE0ELj4294967295EEENS1_25partition_config_selectorILNS1_17partition_subalgoE3EjNS0_10empty_typeEbEEZZNS1_14partition_implILS8_3ELb0ES6_jNS0_17counting_iteratorIjlEEPS9_SE_NS0_5tupleIJPjSE_EEENSF_IJSE_SE_EEES9_SG_JZNS1_25segmented_radix_sort_implINS0_14default_configELb0EPK6__halfPSL_PKlPlN2at6native12_GLOBAL__N_18offset_tEEE10hipError_tPvRmT1_PNSt15iterator_traitsISZ_E10value_typeET2_T3_PNS10_IS15_E10value_typeET4_jRbjT5_S1B_jjP12ihipStream_tbEUljE_EEESW_SX_SY_S15_S19_S1B_T6_T7_T9_mT8_S1D_bDpT10_ENKUlT_T0_E_clISt17integral_constantIbLb0EES1P_IbLb1EEEEDaS1L_S1M_EUlS1L_E_NS1_11comp_targetILNS1_3genE8ELNS1_11target_archE1030ELNS1_3gpuE2ELNS1_3repE0EEENS1_30default_config_static_selectorELNS0_4arch9wavefront6targetE1EEEvSZ_, .Lfunc_end1841-_ZN7rocprim17ROCPRIM_400000_NS6detail17trampoline_kernelINS0_13select_configILj256ELj13ELNS0_17block_load_methodE3ELS4_3ELS4_3ELNS0_20block_scan_algorithmE0ELj4294967295EEENS1_25partition_config_selectorILNS1_17partition_subalgoE3EjNS0_10empty_typeEbEEZZNS1_14partition_implILS8_3ELb0ES6_jNS0_17counting_iteratorIjlEEPS9_SE_NS0_5tupleIJPjSE_EEENSF_IJSE_SE_EEES9_SG_JZNS1_25segmented_radix_sort_implINS0_14default_configELb0EPK6__halfPSL_PKlPlN2at6native12_GLOBAL__N_18offset_tEEE10hipError_tPvRmT1_PNSt15iterator_traitsISZ_E10value_typeET2_T3_PNS10_IS15_E10value_typeET4_jRbjT5_S1B_jjP12ihipStream_tbEUljE_EEESW_SX_SY_S15_S19_S1B_T6_T7_T9_mT8_S1D_bDpT10_ENKUlT_T0_E_clISt17integral_constantIbLb0EES1P_IbLb1EEEEDaS1L_S1M_EUlS1L_E_NS1_11comp_targetILNS1_3genE8ELNS1_11target_archE1030ELNS1_3gpuE2ELNS1_3repE0EEENS1_30default_config_static_selectorELNS0_4arch9wavefront6targetE1EEEvSZ_
                                        ; -- End function
	.set _ZN7rocprim17ROCPRIM_400000_NS6detail17trampoline_kernelINS0_13select_configILj256ELj13ELNS0_17block_load_methodE3ELS4_3ELS4_3ELNS0_20block_scan_algorithmE0ELj4294967295EEENS1_25partition_config_selectorILNS1_17partition_subalgoE3EjNS0_10empty_typeEbEEZZNS1_14partition_implILS8_3ELb0ES6_jNS0_17counting_iteratorIjlEEPS9_SE_NS0_5tupleIJPjSE_EEENSF_IJSE_SE_EEES9_SG_JZNS1_25segmented_radix_sort_implINS0_14default_configELb0EPK6__halfPSL_PKlPlN2at6native12_GLOBAL__N_18offset_tEEE10hipError_tPvRmT1_PNSt15iterator_traitsISZ_E10value_typeET2_T3_PNS10_IS15_E10value_typeET4_jRbjT5_S1B_jjP12ihipStream_tbEUljE_EEESW_SX_SY_S15_S19_S1B_T6_T7_T9_mT8_S1D_bDpT10_ENKUlT_T0_E_clISt17integral_constantIbLb0EES1P_IbLb1EEEEDaS1L_S1M_EUlS1L_E_NS1_11comp_targetILNS1_3genE8ELNS1_11target_archE1030ELNS1_3gpuE2ELNS1_3repE0EEENS1_30default_config_static_selectorELNS0_4arch9wavefront6targetE1EEEvSZ_.num_vgpr, 0
	.set _ZN7rocprim17ROCPRIM_400000_NS6detail17trampoline_kernelINS0_13select_configILj256ELj13ELNS0_17block_load_methodE3ELS4_3ELS4_3ELNS0_20block_scan_algorithmE0ELj4294967295EEENS1_25partition_config_selectorILNS1_17partition_subalgoE3EjNS0_10empty_typeEbEEZZNS1_14partition_implILS8_3ELb0ES6_jNS0_17counting_iteratorIjlEEPS9_SE_NS0_5tupleIJPjSE_EEENSF_IJSE_SE_EEES9_SG_JZNS1_25segmented_radix_sort_implINS0_14default_configELb0EPK6__halfPSL_PKlPlN2at6native12_GLOBAL__N_18offset_tEEE10hipError_tPvRmT1_PNSt15iterator_traitsISZ_E10value_typeET2_T3_PNS10_IS15_E10value_typeET4_jRbjT5_S1B_jjP12ihipStream_tbEUljE_EEESW_SX_SY_S15_S19_S1B_T6_T7_T9_mT8_S1D_bDpT10_ENKUlT_T0_E_clISt17integral_constantIbLb0EES1P_IbLb1EEEEDaS1L_S1M_EUlS1L_E_NS1_11comp_targetILNS1_3genE8ELNS1_11target_archE1030ELNS1_3gpuE2ELNS1_3repE0EEENS1_30default_config_static_selectorELNS0_4arch9wavefront6targetE1EEEvSZ_.num_agpr, 0
	.set _ZN7rocprim17ROCPRIM_400000_NS6detail17trampoline_kernelINS0_13select_configILj256ELj13ELNS0_17block_load_methodE3ELS4_3ELS4_3ELNS0_20block_scan_algorithmE0ELj4294967295EEENS1_25partition_config_selectorILNS1_17partition_subalgoE3EjNS0_10empty_typeEbEEZZNS1_14partition_implILS8_3ELb0ES6_jNS0_17counting_iteratorIjlEEPS9_SE_NS0_5tupleIJPjSE_EEENSF_IJSE_SE_EEES9_SG_JZNS1_25segmented_radix_sort_implINS0_14default_configELb0EPK6__halfPSL_PKlPlN2at6native12_GLOBAL__N_18offset_tEEE10hipError_tPvRmT1_PNSt15iterator_traitsISZ_E10value_typeET2_T3_PNS10_IS15_E10value_typeET4_jRbjT5_S1B_jjP12ihipStream_tbEUljE_EEESW_SX_SY_S15_S19_S1B_T6_T7_T9_mT8_S1D_bDpT10_ENKUlT_T0_E_clISt17integral_constantIbLb0EES1P_IbLb1EEEEDaS1L_S1M_EUlS1L_E_NS1_11comp_targetILNS1_3genE8ELNS1_11target_archE1030ELNS1_3gpuE2ELNS1_3repE0EEENS1_30default_config_static_selectorELNS0_4arch9wavefront6targetE1EEEvSZ_.numbered_sgpr, 0
	.set _ZN7rocprim17ROCPRIM_400000_NS6detail17trampoline_kernelINS0_13select_configILj256ELj13ELNS0_17block_load_methodE3ELS4_3ELS4_3ELNS0_20block_scan_algorithmE0ELj4294967295EEENS1_25partition_config_selectorILNS1_17partition_subalgoE3EjNS0_10empty_typeEbEEZZNS1_14partition_implILS8_3ELb0ES6_jNS0_17counting_iteratorIjlEEPS9_SE_NS0_5tupleIJPjSE_EEENSF_IJSE_SE_EEES9_SG_JZNS1_25segmented_radix_sort_implINS0_14default_configELb0EPK6__halfPSL_PKlPlN2at6native12_GLOBAL__N_18offset_tEEE10hipError_tPvRmT1_PNSt15iterator_traitsISZ_E10value_typeET2_T3_PNS10_IS15_E10value_typeET4_jRbjT5_S1B_jjP12ihipStream_tbEUljE_EEESW_SX_SY_S15_S19_S1B_T6_T7_T9_mT8_S1D_bDpT10_ENKUlT_T0_E_clISt17integral_constantIbLb0EES1P_IbLb1EEEEDaS1L_S1M_EUlS1L_E_NS1_11comp_targetILNS1_3genE8ELNS1_11target_archE1030ELNS1_3gpuE2ELNS1_3repE0EEENS1_30default_config_static_selectorELNS0_4arch9wavefront6targetE1EEEvSZ_.num_named_barrier, 0
	.set _ZN7rocprim17ROCPRIM_400000_NS6detail17trampoline_kernelINS0_13select_configILj256ELj13ELNS0_17block_load_methodE3ELS4_3ELS4_3ELNS0_20block_scan_algorithmE0ELj4294967295EEENS1_25partition_config_selectorILNS1_17partition_subalgoE3EjNS0_10empty_typeEbEEZZNS1_14partition_implILS8_3ELb0ES6_jNS0_17counting_iteratorIjlEEPS9_SE_NS0_5tupleIJPjSE_EEENSF_IJSE_SE_EEES9_SG_JZNS1_25segmented_radix_sort_implINS0_14default_configELb0EPK6__halfPSL_PKlPlN2at6native12_GLOBAL__N_18offset_tEEE10hipError_tPvRmT1_PNSt15iterator_traitsISZ_E10value_typeET2_T3_PNS10_IS15_E10value_typeET4_jRbjT5_S1B_jjP12ihipStream_tbEUljE_EEESW_SX_SY_S15_S19_S1B_T6_T7_T9_mT8_S1D_bDpT10_ENKUlT_T0_E_clISt17integral_constantIbLb0EES1P_IbLb1EEEEDaS1L_S1M_EUlS1L_E_NS1_11comp_targetILNS1_3genE8ELNS1_11target_archE1030ELNS1_3gpuE2ELNS1_3repE0EEENS1_30default_config_static_selectorELNS0_4arch9wavefront6targetE1EEEvSZ_.private_seg_size, 0
	.set _ZN7rocprim17ROCPRIM_400000_NS6detail17trampoline_kernelINS0_13select_configILj256ELj13ELNS0_17block_load_methodE3ELS4_3ELS4_3ELNS0_20block_scan_algorithmE0ELj4294967295EEENS1_25partition_config_selectorILNS1_17partition_subalgoE3EjNS0_10empty_typeEbEEZZNS1_14partition_implILS8_3ELb0ES6_jNS0_17counting_iteratorIjlEEPS9_SE_NS0_5tupleIJPjSE_EEENSF_IJSE_SE_EEES9_SG_JZNS1_25segmented_radix_sort_implINS0_14default_configELb0EPK6__halfPSL_PKlPlN2at6native12_GLOBAL__N_18offset_tEEE10hipError_tPvRmT1_PNSt15iterator_traitsISZ_E10value_typeET2_T3_PNS10_IS15_E10value_typeET4_jRbjT5_S1B_jjP12ihipStream_tbEUljE_EEESW_SX_SY_S15_S19_S1B_T6_T7_T9_mT8_S1D_bDpT10_ENKUlT_T0_E_clISt17integral_constantIbLb0EES1P_IbLb1EEEEDaS1L_S1M_EUlS1L_E_NS1_11comp_targetILNS1_3genE8ELNS1_11target_archE1030ELNS1_3gpuE2ELNS1_3repE0EEENS1_30default_config_static_selectorELNS0_4arch9wavefront6targetE1EEEvSZ_.uses_vcc, 0
	.set _ZN7rocprim17ROCPRIM_400000_NS6detail17trampoline_kernelINS0_13select_configILj256ELj13ELNS0_17block_load_methodE3ELS4_3ELS4_3ELNS0_20block_scan_algorithmE0ELj4294967295EEENS1_25partition_config_selectorILNS1_17partition_subalgoE3EjNS0_10empty_typeEbEEZZNS1_14partition_implILS8_3ELb0ES6_jNS0_17counting_iteratorIjlEEPS9_SE_NS0_5tupleIJPjSE_EEENSF_IJSE_SE_EEES9_SG_JZNS1_25segmented_radix_sort_implINS0_14default_configELb0EPK6__halfPSL_PKlPlN2at6native12_GLOBAL__N_18offset_tEEE10hipError_tPvRmT1_PNSt15iterator_traitsISZ_E10value_typeET2_T3_PNS10_IS15_E10value_typeET4_jRbjT5_S1B_jjP12ihipStream_tbEUljE_EEESW_SX_SY_S15_S19_S1B_T6_T7_T9_mT8_S1D_bDpT10_ENKUlT_T0_E_clISt17integral_constantIbLb0EES1P_IbLb1EEEEDaS1L_S1M_EUlS1L_E_NS1_11comp_targetILNS1_3genE8ELNS1_11target_archE1030ELNS1_3gpuE2ELNS1_3repE0EEENS1_30default_config_static_selectorELNS0_4arch9wavefront6targetE1EEEvSZ_.uses_flat_scratch, 0
	.set _ZN7rocprim17ROCPRIM_400000_NS6detail17trampoline_kernelINS0_13select_configILj256ELj13ELNS0_17block_load_methodE3ELS4_3ELS4_3ELNS0_20block_scan_algorithmE0ELj4294967295EEENS1_25partition_config_selectorILNS1_17partition_subalgoE3EjNS0_10empty_typeEbEEZZNS1_14partition_implILS8_3ELb0ES6_jNS0_17counting_iteratorIjlEEPS9_SE_NS0_5tupleIJPjSE_EEENSF_IJSE_SE_EEES9_SG_JZNS1_25segmented_radix_sort_implINS0_14default_configELb0EPK6__halfPSL_PKlPlN2at6native12_GLOBAL__N_18offset_tEEE10hipError_tPvRmT1_PNSt15iterator_traitsISZ_E10value_typeET2_T3_PNS10_IS15_E10value_typeET4_jRbjT5_S1B_jjP12ihipStream_tbEUljE_EEESW_SX_SY_S15_S19_S1B_T6_T7_T9_mT8_S1D_bDpT10_ENKUlT_T0_E_clISt17integral_constantIbLb0EES1P_IbLb1EEEEDaS1L_S1M_EUlS1L_E_NS1_11comp_targetILNS1_3genE8ELNS1_11target_archE1030ELNS1_3gpuE2ELNS1_3repE0EEENS1_30default_config_static_selectorELNS0_4arch9wavefront6targetE1EEEvSZ_.has_dyn_sized_stack, 0
	.set _ZN7rocprim17ROCPRIM_400000_NS6detail17trampoline_kernelINS0_13select_configILj256ELj13ELNS0_17block_load_methodE3ELS4_3ELS4_3ELNS0_20block_scan_algorithmE0ELj4294967295EEENS1_25partition_config_selectorILNS1_17partition_subalgoE3EjNS0_10empty_typeEbEEZZNS1_14partition_implILS8_3ELb0ES6_jNS0_17counting_iteratorIjlEEPS9_SE_NS0_5tupleIJPjSE_EEENSF_IJSE_SE_EEES9_SG_JZNS1_25segmented_radix_sort_implINS0_14default_configELb0EPK6__halfPSL_PKlPlN2at6native12_GLOBAL__N_18offset_tEEE10hipError_tPvRmT1_PNSt15iterator_traitsISZ_E10value_typeET2_T3_PNS10_IS15_E10value_typeET4_jRbjT5_S1B_jjP12ihipStream_tbEUljE_EEESW_SX_SY_S15_S19_S1B_T6_T7_T9_mT8_S1D_bDpT10_ENKUlT_T0_E_clISt17integral_constantIbLb0EES1P_IbLb1EEEEDaS1L_S1M_EUlS1L_E_NS1_11comp_targetILNS1_3genE8ELNS1_11target_archE1030ELNS1_3gpuE2ELNS1_3repE0EEENS1_30default_config_static_selectorELNS0_4arch9wavefront6targetE1EEEvSZ_.has_recursion, 0
	.set _ZN7rocprim17ROCPRIM_400000_NS6detail17trampoline_kernelINS0_13select_configILj256ELj13ELNS0_17block_load_methodE3ELS4_3ELS4_3ELNS0_20block_scan_algorithmE0ELj4294967295EEENS1_25partition_config_selectorILNS1_17partition_subalgoE3EjNS0_10empty_typeEbEEZZNS1_14partition_implILS8_3ELb0ES6_jNS0_17counting_iteratorIjlEEPS9_SE_NS0_5tupleIJPjSE_EEENSF_IJSE_SE_EEES9_SG_JZNS1_25segmented_radix_sort_implINS0_14default_configELb0EPK6__halfPSL_PKlPlN2at6native12_GLOBAL__N_18offset_tEEE10hipError_tPvRmT1_PNSt15iterator_traitsISZ_E10value_typeET2_T3_PNS10_IS15_E10value_typeET4_jRbjT5_S1B_jjP12ihipStream_tbEUljE_EEESW_SX_SY_S15_S19_S1B_T6_T7_T9_mT8_S1D_bDpT10_ENKUlT_T0_E_clISt17integral_constantIbLb0EES1P_IbLb1EEEEDaS1L_S1M_EUlS1L_E_NS1_11comp_targetILNS1_3genE8ELNS1_11target_archE1030ELNS1_3gpuE2ELNS1_3repE0EEENS1_30default_config_static_selectorELNS0_4arch9wavefront6targetE1EEEvSZ_.has_indirect_call, 0
	.section	.AMDGPU.csdata,"",@progbits
; Kernel info:
; codeLenInByte = 0
; TotalNumSgprs: 4
; NumVgprs: 0
; ScratchSize: 0
; MemoryBound: 0
; FloatMode: 240
; IeeeMode: 1
; LDSByteSize: 0 bytes/workgroup (compile time only)
; SGPRBlocks: 0
; VGPRBlocks: 0
; NumSGPRsForWavesPerEU: 4
; NumVGPRsForWavesPerEU: 1
; Occupancy: 10
; WaveLimiterHint : 0
; COMPUTE_PGM_RSRC2:SCRATCH_EN: 0
; COMPUTE_PGM_RSRC2:USER_SGPR: 6
; COMPUTE_PGM_RSRC2:TRAP_HANDLER: 0
; COMPUTE_PGM_RSRC2:TGID_X_EN: 1
; COMPUTE_PGM_RSRC2:TGID_Y_EN: 0
; COMPUTE_PGM_RSRC2:TGID_Z_EN: 0
; COMPUTE_PGM_RSRC2:TIDIG_COMP_CNT: 0
	.section	.text._ZN7rocprim17ROCPRIM_400000_NS6detail17trampoline_kernelINS0_14default_configENS1_36segmented_radix_sort_config_selectorI6__halflEEZNS1_25segmented_radix_sort_implIS3_Lb0EPKS5_PS5_PKlPlN2at6native12_GLOBAL__N_18offset_tEEE10hipError_tPvRmT1_PNSt15iterator_traitsISL_E10value_typeET2_T3_PNSM_ISR_E10value_typeET4_jRbjT5_SX_jjP12ihipStream_tbEUlT_E_NS1_11comp_targetILNS1_3genE0ELNS1_11target_archE4294967295ELNS1_3gpuE0ELNS1_3repE0EEENS1_30default_config_static_selectorELNS0_4arch9wavefront6targetE1EEEvSL_,"axG",@progbits,_ZN7rocprim17ROCPRIM_400000_NS6detail17trampoline_kernelINS0_14default_configENS1_36segmented_radix_sort_config_selectorI6__halflEEZNS1_25segmented_radix_sort_implIS3_Lb0EPKS5_PS5_PKlPlN2at6native12_GLOBAL__N_18offset_tEEE10hipError_tPvRmT1_PNSt15iterator_traitsISL_E10value_typeET2_T3_PNSM_ISR_E10value_typeET4_jRbjT5_SX_jjP12ihipStream_tbEUlT_E_NS1_11comp_targetILNS1_3genE0ELNS1_11target_archE4294967295ELNS1_3gpuE0ELNS1_3repE0EEENS1_30default_config_static_selectorELNS0_4arch9wavefront6targetE1EEEvSL_,comdat
	.globl	_ZN7rocprim17ROCPRIM_400000_NS6detail17trampoline_kernelINS0_14default_configENS1_36segmented_radix_sort_config_selectorI6__halflEEZNS1_25segmented_radix_sort_implIS3_Lb0EPKS5_PS5_PKlPlN2at6native12_GLOBAL__N_18offset_tEEE10hipError_tPvRmT1_PNSt15iterator_traitsISL_E10value_typeET2_T3_PNSM_ISR_E10value_typeET4_jRbjT5_SX_jjP12ihipStream_tbEUlT_E_NS1_11comp_targetILNS1_3genE0ELNS1_11target_archE4294967295ELNS1_3gpuE0ELNS1_3repE0EEENS1_30default_config_static_selectorELNS0_4arch9wavefront6targetE1EEEvSL_ ; -- Begin function _ZN7rocprim17ROCPRIM_400000_NS6detail17trampoline_kernelINS0_14default_configENS1_36segmented_radix_sort_config_selectorI6__halflEEZNS1_25segmented_radix_sort_implIS3_Lb0EPKS5_PS5_PKlPlN2at6native12_GLOBAL__N_18offset_tEEE10hipError_tPvRmT1_PNSt15iterator_traitsISL_E10value_typeET2_T3_PNSM_ISR_E10value_typeET4_jRbjT5_SX_jjP12ihipStream_tbEUlT_E_NS1_11comp_targetILNS1_3genE0ELNS1_11target_archE4294967295ELNS1_3gpuE0ELNS1_3repE0EEENS1_30default_config_static_selectorELNS0_4arch9wavefront6targetE1EEEvSL_
	.p2align	8
	.type	_ZN7rocprim17ROCPRIM_400000_NS6detail17trampoline_kernelINS0_14default_configENS1_36segmented_radix_sort_config_selectorI6__halflEEZNS1_25segmented_radix_sort_implIS3_Lb0EPKS5_PS5_PKlPlN2at6native12_GLOBAL__N_18offset_tEEE10hipError_tPvRmT1_PNSt15iterator_traitsISL_E10value_typeET2_T3_PNSM_ISR_E10value_typeET4_jRbjT5_SX_jjP12ihipStream_tbEUlT_E_NS1_11comp_targetILNS1_3genE0ELNS1_11target_archE4294967295ELNS1_3gpuE0ELNS1_3repE0EEENS1_30default_config_static_selectorELNS0_4arch9wavefront6targetE1EEEvSL_,@function
_ZN7rocprim17ROCPRIM_400000_NS6detail17trampoline_kernelINS0_14default_configENS1_36segmented_radix_sort_config_selectorI6__halflEEZNS1_25segmented_radix_sort_implIS3_Lb0EPKS5_PS5_PKlPlN2at6native12_GLOBAL__N_18offset_tEEE10hipError_tPvRmT1_PNSt15iterator_traitsISL_E10value_typeET2_T3_PNSM_ISR_E10value_typeET4_jRbjT5_SX_jjP12ihipStream_tbEUlT_E_NS1_11comp_targetILNS1_3genE0ELNS1_11target_archE4294967295ELNS1_3gpuE0ELNS1_3repE0EEENS1_30default_config_static_selectorELNS0_4arch9wavefront6targetE1EEEvSL_: ; @_ZN7rocprim17ROCPRIM_400000_NS6detail17trampoline_kernelINS0_14default_configENS1_36segmented_radix_sort_config_selectorI6__halflEEZNS1_25segmented_radix_sort_implIS3_Lb0EPKS5_PS5_PKlPlN2at6native12_GLOBAL__N_18offset_tEEE10hipError_tPvRmT1_PNSt15iterator_traitsISL_E10value_typeET2_T3_PNSM_ISR_E10value_typeET4_jRbjT5_SX_jjP12ihipStream_tbEUlT_E_NS1_11comp_targetILNS1_3genE0ELNS1_11target_archE4294967295ELNS1_3gpuE0ELNS1_3repE0EEENS1_30default_config_static_selectorELNS0_4arch9wavefront6targetE1EEEvSL_
; %bb.0:
	.section	.rodata,"a",@progbits
	.p2align	6, 0x0
	.amdhsa_kernel _ZN7rocprim17ROCPRIM_400000_NS6detail17trampoline_kernelINS0_14default_configENS1_36segmented_radix_sort_config_selectorI6__halflEEZNS1_25segmented_radix_sort_implIS3_Lb0EPKS5_PS5_PKlPlN2at6native12_GLOBAL__N_18offset_tEEE10hipError_tPvRmT1_PNSt15iterator_traitsISL_E10value_typeET2_T3_PNSM_ISR_E10value_typeET4_jRbjT5_SX_jjP12ihipStream_tbEUlT_E_NS1_11comp_targetILNS1_3genE0ELNS1_11target_archE4294967295ELNS1_3gpuE0ELNS1_3repE0EEENS1_30default_config_static_selectorELNS0_4arch9wavefront6targetE1EEEvSL_
		.amdhsa_group_segment_fixed_size 0
		.amdhsa_private_segment_fixed_size 0
		.amdhsa_kernarg_size 96
		.amdhsa_user_sgpr_count 6
		.amdhsa_user_sgpr_private_segment_buffer 1
		.amdhsa_user_sgpr_dispatch_ptr 0
		.amdhsa_user_sgpr_queue_ptr 0
		.amdhsa_user_sgpr_kernarg_segment_ptr 1
		.amdhsa_user_sgpr_dispatch_id 0
		.amdhsa_user_sgpr_flat_scratch_init 0
		.amdhsa_user_sgpr_private_segment_size 0
		.amdhsa_uses_dynamic_stack 0
		.amdhsa_system_sgpr_private_segment_wavefront_offset 0
		.amdhsa_system_sgpr_workgroup_id_x 1
		.amdhsa_system_sgpr_workgroup_id_y 0
		.amdhsa_system_sgpr_workgroup_id_z 0
		.amdhsa_system_sgpr_workgroup_info 0
		.amdhsa_system_vgpr_workitem_id 0
		.amdhsa_next_free_vgpr 1
		.amdhsa_next_free_sgpr 0
		.amdhsa_reserve_vcc 0
		.amdhsa_reserve_flat_scratch 0
		.amdhsa_float_round_mode_32 0
		.amdhsa_float_round_mode_16_64 0
		.amdhsa_float_denorm_mode_32 3
		.amdhsa_float_denorm_mode_16_64 3
		.amdhsa_dx10_clamp 1
		.amdhsa_ieee_mode 1
		.amdhsa_fp16_overflow 0
		.amdhsa_exception_fp_ieee_invalid_op 0
		.amdhsa_exception_fp_denorm_src 0
		.amdhsa_exception_fp_ieee_div_zero 0
		.amdhsa_exception_fp_ieee_overflow 0
		.amdhsa_exception_fp_ieee_underflow 0
		.amdhsa_exception_fp_ieee_inexact 0
		.amdhsa_exception_int_div_zero 0
	.end_amdhsa_kernel
	.section	.text._ZN7rocprim17ROCPRIM_400000_NS6detail17trampoline_kernelINS0_14default_configENS1_36segmented_radix_sort_config_selectorI6__halflEEZNS1_25segmented_radix_sort_implIS3_Lb0EPKS5_PS5_PKlPlN2at6native12_GLOBAL__N_18offset_tEEE10hipError_tPvRmT1_PNSt15iterator_traitsISL_E10value_typeET2_T3_PNSM_ISR_E10value_typeET4_jRbjT5_SX_jjP12ihipStream_tbEUlT_E_NS1_11comp_targetILNS1_3genE0ELNS1_11target_archE4294967295ELNS1_3gpuE0ELNS1_3repE0EEENS1_30default_config_static_selectorELNS0_4arch9wavefront6targetE1EEEvSL_,"axG",@progbits,_ZN7rocprim17ROCPRIM_400000_NS6detail17trampoline_kernelINS0_14default_configENS1_36segmented_radix_sort_config_selectorI6__halflEEZNS1_25segmented_radix_sort_implIS3_Lb0EPKS5_PS5_PKlPlN2at6native12_GLOBAL__N_18offset_tEEE10hipError_tPvRmT1_PNSt15iterator_traitsISL_E10value_typeET2_T3_PNSM_ISR_E10value_typeET4_jRbjT5_SX_jjP12ihipStream_tbEUlT_E_NS1_11comp_targetILNS1_3genE0ELNS1_11target_archE4294967295ELNS1_3gpuE0ELNS1_3repE0EEENS1_30default_config_static_selectorELNS0_4arch9wavefront6targetE1EEEvSL_,comdat
.Lfunc_end1842:
	.size	_ZN7rocprim17ROCPRIM_400000_NS6detail17trampoline_kernelINS0_14default_configENS1_36segmented_radix_sort_config_selectorI6__halflEEZNS1_25segmented_radix_sort_implIS3_Lb0EPKS5_PS5_PKlPlN2at6native12_GLOBAL__N_18offset_tEEE10hipError_tPvRmT1_PNSt15iterator_traitsISL_E10value_typeET2_T3_PNSM_ISR_E10value_typeET4_jRbjT5_SX_jjP12ihipStream_tbEUlT_E_NS1_11comp_targetILNS1_3genE0ELNS1_11target_archE4294967295ELNS1_3gpuE0ELNS1_3repE0EEENS1_30default_config_static_selectorELNS0_4arch9wavefront6targetE1EEEvSL_, .Lfunc_end1842-_ZN7rocprim17ROCPRIM_400000_NS6detail17trampoline_kernelINS0_14default_configENS1_36segmented_radix_sort_config_selectorI6__halflEEZNS1_25segmented_radix_sort_implIS3_Lb0EPKS5_PS5_PKlPlN2at6native12_GLOBAL__N_18offset_tEEE10hipError_tPvRmT1_PNSt15iterator_traitsISL_E10value_typeET2_T3_PNSM_ISR_E10value_typeET4_jRbjT5_SX_jjP12ihipStream_tbEUlT_E_NS1_11comp_targetILNS1_3genE0ELNS1_11target_archE4294967295ELNS1_3gpuE0ELNS1_3repE0EEENS1_30default_config_static_selectorELNS0_4arch9wavefront6targetE1EEEvSL_
                                        ; -- End function
	.set _ZN7rocprim17ROCPRIM_400000_NS6detail17trampoline_kernelINS0_14default_configENS1_36segmented_radix_sort_config_selectorI6__halflEEZNS1_25segmented_radix_sort_implIS3_Lb0EPKS5_PS5_PKlPlN2at6native12_GLOBAL__N_18offset_tEEE10hipError_tPvRmT1_PNSt15iterator_traitsISL_E10value_typeET2_T3_PNSM_ISR_E10value_typeET4_jRbjT5_SX_jjP12ihipStream_tbEUlT_E_NS1_11comp_targetILNS1_3genE0ELNS1_11target_archE4294967295ELNS1_3gpuE0ELNS1_3repE0EEENS1_30default_config_static_selectorELNS0_4arch9wavefront6targetE1EEEvSL_.num_vgpr, 0
	.set _ZN7rocprim17ROCPRIM_400000_NS6detail17trampoline_kernelINS0_14default_configENS1_36segmented_radix_sort_config_selectorI6__halflEEZNS1_25segmented_radix_sort_implIS3_Lb0EPKS5_PS5_PKlPlN2at6native12_GLOBAL__N_18offset_tEEE10hipError_tPvRmT1_PNSt15iterator_traitsISL_E10value_typeET2_T3_PNSM_ISR_E10value_typeET4_jRbjT5_SX_jjP12ihipStream_tbEUlT_E_NS1_11comp_targetILNS1_3genE0ELNS1_11target_archE4294967295ELNS1_3gpuE0ELNS1_3repE0EEENS1_30default_config_static_selectorELNS0_4arch9wavefront6targetE1EEEvSL_.num_agpr, 0
	.set _ZN7rocprim17ROCPRIM_400000_NS6detail17trampoline_kernelINS0_14default_configENS1_36segmented_radix_sort_config_selectorI6__halflEEZNS1_25segmented_radix_sort_implIS3_Lb0EPKS5_PS5_PKlPlN2at6native12_GLOBAL__N_18offset_tEEE10hipError_tPvRmT1_PNSt15iterator_traitsISL_E10value_typeET2_T3_PNSM_ISR_E10value_typeET4_jRbjT5_SX_jjP12ihipStream_tbEUlT_E_NS1_11comp_targetILNS1_3genE0ELNS1_11target_archE4294967295ELNS1_3gpuE0ELNS1_3repE0EEENS1_30default_config_static_selectorELNS0_4arch9wavefront6targetE1EEEvSL_.numbered_sgpr, 0
	.set _ZN7rocprim17ROCPRIM_400000_NS6detail17trampoline_kernelINS0_14default_configENS1_36segmented_radix_sort_config_selectorI6__halflEEZNS1_25segmented_radix_sort_implIS3_Lb0EPKS5_PS5_PKlPlN2at6native12_GLOBAL__N_18offset_tEEE10hipError_tPvRmT1_PNSt15iterator_traitsISL_E10value_typeET2_T3_PNSM_ISR_E10value_typeET4_jRbjT5_SX_jjP12ihipStream_tbEUlT_E_NS1_11comp_targetILNS1_3genE0ELNS1_11target_archE4294967295ELNS1_3gpuE0ELNS1_3repE0EEENS1_30default_config_static_selectorELNS0_4arch9wavefront6targetE1EEEvSL_.num_named_barrier, 0
	.set _ZN7rocprim17ROCPRIM_400000_NS6detail17trampoline_kernelINS0_14default_configENS1_36segmented_radix_sort_config_selectorI6__halflEEZNS1_25segmented_radix_sort_implIS3_Lb0EPKS5_PS5_PKlPlN2at6native12_GLOBAL__N_18offset_tEEE10hipError_tPvRmT1_PNSt15iterator_traitsISL_E10value_typeET2_T3_PNSM_ISR_E10value_typeET4_jRbjT5_SX_jjP12ihipStream_tbEUlT_E_NS1_11comp_targetILNS1_3genE0ELNS1_11target_archE4294967295ELNS1_3gpuE0ELNS1_3repE0EEENS1_30default_config_static_selectorELNS0_4arch9wavefront6targetE1EEEvSL_.private_seg_size, 0
	.set _ZN7rocprim17ROCPRIM_400000_NS6detail17trampoline_kernelINS0_14default_configENS1_36segmented_radix_sort_config_selectorI6__halflEEZNS1_25segmented_radix_sort_implIS3_Lb0EPKS5_PS5_PKlPlN2at6native12_GLOBAL__N_18offset_tEEE10hipError_tPvRmT1_PNSt15iterator_traitsISL_E10value_typeET2_T3_PNSM_ISR_E10value_typeET4_jRbjT5_SX_jjP12ihipStream_tbEUlT_E_NS1_11comp_targetILNS1_3genE0ELNS1_11target_archE4294967295ELNS1_3gpuE0ELNS1_3repE0EEENS1_30default_config_static_selectorELNS0_4arch9wavefront6targetE1EEEvSL_.uses_vcc, 0
	.set _ZN7rocprim17ROCPRIM_400000_NS6detail17trampoline_kernelINS0_14default_configENS1_36segmented_radix_sort_config_selectorI6__halflEEZNS1_25segmented_radix_sort_implIS3_Lb0EPKS5_PS5_PKlPlN2at6native12_GLOBAL__N_18offset_tEEE10hipError_tPvRmT1_PNSt15iterator_traitsISL_E10value_typeET2_T3_PNSM_ISR_E10value_typeET4_jRbjT5_SX_jjP12ihipStream_tbEUlT_E_NS1_11comp_targetILNS1_3genE0ELNS1_11target_archE4294967295ELNS1_3gpuE0ELNS1_3repE0EEENS1_30default_config_static_selectorELNS0_4arch9wavefront6targetE1EEEvSL_.uses_flat_scratch, 0
	.set _ZN7rocprim17ROCPRIM_400000_NS6detail17trampoline_kernelINS0_14default_configENS1_36segmented_radix_sort_config_selectorI6__halflEEZNS1_25segmented_radix_sort_implIS3_Lb0EPKS5_PS5_PKlPlN2at6native12_GLOBAL__N_18offset_tEEE10hipError_tPvRmT1_PNSt15iterator_traitsISL_E10value_typeET2_T3_PNSM_ISR_E10value_typeET4_jRbjT5_SX_jjP12ihipStream_tbEUlT_E_NS1_11comp_targetILNS1_3genE0ELNS1_11target_archE4294967295ELNS1_3gpuE0ELNS1_3repE0EEENS1_30default_config_static_selectorELNS0_4arch9wavefront6targetE1EEEvSL_.has_dyn_sized_stack, 0
	.set _ZN7rocprim17ROCPRIM_400000_NS6detail17trampoline_kernelINS0_14default_configENS1_36segmented_radix_sort_config_selectorI6__halflEEZNS1_25segmented_radix_sort_implIS3_Lb0EPKS5_PS5_PKlPlN2at6native12_GLOBAL__N_18offset_tEEE10hipError_tPvRmT1_PNSt15iterator_traitsISL_E10value_typeET2_T3_PNSM_ISR_E10value_typeET4_jRbjT5_SX_jjP12ihipStream_tbEUlT_E_NS1_11comp_targetILNS1_3genE0ELNS1_11target_archE4294967295ELNS1_3gpuE0ELNS1_3repE0EEENS1_30default_config_static_selectorELNS0_4arch9wavefront6targetE1EEEvSL_.has_recursion, 0
	.set _ZN7rocprim17ROCPRIM_400000_NS6detail17trampoline_kernelINS0_14default_configENS1_36segmented_radix_sort_config_selectorI6__halflEEZNS1_25segmented_radix_sort_implIS3_Lb0EPKS5_PS5_PKlPlN2at6native12_GLOBAL__N_18offset_tEEE10hipError_tPvRmT1_PNSt15iterator_traitsISL_E10value_typeET2_T3_PNSM_ISR_E10value_typeET4_jRbjT5_SX_jjP12ihipStream_tbEUlT_E_NS1_11comp_targetILNS1_3genE0ELNS1_11target_archE4294967295ELNS1_3gpuE0ELNS1_3repE0EEENS1_30default_config_static_selectorELNS0_4arch9wavefront6targetE1EEEvSL_.has_indirect_call, 0
	.section	.AMDGPU.csdata,"",@progbits
; Kernel info:
; codeLenInByte = 0
; TotalNumSgprs: 4
; NumVgprs: 0
; ScratchSize: 0
; MemoryBound: 0
; FloatMode: 240
; IeeeMode: 1
; LDSByteSize: 0 bytes/workgroup (compile time only)
; SGPRBlocks: 0
; VGPRBlocks: 0
; NumSGPRsForWavesPerEU: 4
; NumVGPRsForWavesPerEU: 1
; Occupancy: 10
; WaveLimiterHint : 0
; COMPUTE_PGM_RSRC2:SCRATCH_EN: 0
; COMPUTE_PGM_RSRC2:USER_SGPR: 6
; COMPUTE_PGM_RSRC2:TRAP_HANDLER: 0
; COMPUTE_PGM_RSRC2:TGID_X_EN: 1
; COMPUTE_PGM_RSRC2:TGID_Y_EN: 0
; COMPUTE_PGM_RSRC2:TGID_Z_EN: 0
; COMPUTE_PGM_RSRC2:TIDIG_COMP_CNT: 0
	.section	.text._ZN7rocprim17ROCPRIM_400000_NS6detail17trampoline_kernelINS0_14default_configENS1_36segmented_radix_sort_config_selectorI6__halflEEZNS1_25segmented_radix_sort_implIS3_Lb0EPKS5_PS5_PKlPlN2at6native12_GLOBAL__N_18offset_tEEE10hipError_tPvRmT1_PNSt15iterator_traitsISL_E10value_typeET2_T3_PNSM_ISR_E10value_typeET4_jRbjT5_SX_jjP12ihipStream_tbEUlT_E_NS1_11comp_targetILNS1_3genE5ELNS1_11target_archE942ELNS1_3gpuE9ELNS1_3repE0EEENS1_30default_config_static_selectorELNS0_4arch9wavefront6targetE1EEEvSL_,"axG",@progbits,_ZN7rocprim17ROCPRIM_400000_NS6detail17trampoline_kernelINS0_14default_configENS1_36segmented_radix_sort_config_selectorI6__halflEEZNS1_25segmented_radix_sort_implIS3_Lb0EPKS5_PS5_PKlPlN2at6native12_GLOBAL__N_18offset_tEEE10hipError_tPvRmT1_PNSt15iterator_traitsISL_E10value_typeET2_T3_PNSM_ISR_E10value_typeET4_jRbjT5_SX_jjP12ihipStream_tbEUlT_E_NS1_11comp_targetILNS1_3genE5ELNS1_11target_archE942ELNS1_3gpuE9ELNS1_3repE0EEENS1_30default_config_static_selectorELNS0_4arch9wavefront6targetE1EEEvSL_,comdat
	.globl	_ZN7rocprim17ROCPRIM_400000_NS6detail17trampoline_kernelINS0_14default_configENS1_36segmented_radix_sort_config_selectorI6__halflEEZNS1_25segmented_radix_sort_implIS3_Lb0EPKS5_PS5_PKlPlN2at6native12_GLOBAL__N_18offset_tEEE10hipError_tPvRmT1_PNSt15iterator_traitsISL_E10value_typeET2_T3_PNSM_ISR_E10value_typeET4_jRbjT5_SX_jjP12ihipStream_tbEUlT_E_NS1_11comp_targetILNS1_3genE5ELNS1_11target_archE942ELNS1_3gpuE9ELNS1_3repE0EEENS1_30default_config_static_selectorELNS0_4arch9wavefront6targetE1EEEvSL_ ; -- Begin function _ZN7rocprim17ROCPRIM_400000_NS6detail17trampoline_kernelINS0_14default_configENS1_36segmented_radix_sort_config_selectorI6__halflEEZNS1_25segmented_radix_sort_implIS3_Lb0EPKS5_PS5_PKlPlN2at6native12_GLOBAL__N_18offset_tEEE10hipError_tPvRmT1_PNSt15iterator_traitsISL_E10value_typeET2_T3_PNSM_ISR_E10value_typeET4_jRbjT5_SX_jjP12ihipStream_tbEUlT_E_NS1_11comp_targetILNS1_3genE5ELNS1_11target_archE942ELNS1_3gpuE9ELNS1_3repE0EEENS1_30default_config_static_selectorELNS0_4arch9wavefront6targetE1EEEvSL_
	.p2align	8
	.type	_ZN7rocprim17ROCPRIM_400000_NS6detail17trampoline_kernelINS0_14default_configENS1_36segmented_radix_sort_config_selectorI6__halflEEZNS1_25segmented_radix_sort_implIS3_Lb0EPKS5_PS5_PKlPlN2at6native12_GLOBAL__N_18offset_tEEE10hipError_tPvRmT1_PNSt15iterator_traitsISL_E10value_typeET2_T3_PNSM_ISR_E10value_typeET4_jRbjT5_SX_jjP12ihipStream_tbEUlT_E_NS1_11comp_targetILNS1_3genE5ELNS1_11target_archE942ELNS1_3gpuE9ELNS1_3repE0EEENS1_30default_config_static_selectorELNS0_4arch9wavefront6targetE1EEEvSL_,@function
_ZN7rocprim17ROCPRIM_400000_NS6detail17trampoline_kernelINS0_14default_configENS1_36segmented_radix_sort_config_selectorI6__halflEEZNS1_25segmented_radix_sort_implIS3_Lb0EPKS5_PS5_PKlPlN2at6native12_GLOBAL__N_18offset_tEEE10hipError_tPvRmT1_PNSt15iterator_traitsISL_E10value_typeET2_T3_PNSM_ISR_E10value_typeET4_jRbjT5_SX_jjP12ihipStream_tbEUlT_E_NS1_11comp_targetILNS1_3genE5ELNS1_11target_archE942ELNS1_3gpuE9ELNS1_3repE0EEENS1_30default_config_static_selectorELNS0_4arch9wavefront6targetE1EEEvSL_: ; @_ZN7rocprim17ROCPRIM_400000_NS6detail17trampoline_kernelINS0_14default_configENS1_36segmented_radix_sort_config_selectorI6__halflEEZNS1_25segmented_radix_sort_implIS3_Lb0EPKS5_PS5_PKlPlN2at6native12_GLOBAL__N_18offset_tEEE10hipError_tPvRmT1_PNSt15iterator_traitsISL_E10value_typeET2_T3_PNSM_ISR_E10value_typeET4_jRbjT5_SX_jjP12ihipStream_tbEUlT_E_NS1_11comp_targetILNS1_3genE5ELNS1_11target_archE942ELNS1_3gpuE9ELNS1_3repE0EEENS1_30default_config_static_selectorELNS0_4arch9wavefront6targetE1EEEvSL_
; %bb.0:
	.section	.rodata,"a",@progbits
	.p2align	6, 0x0
	.amdhsa_kernel _ZN7rocprim17ROCPRIM_400000_NS6detail17trampoline_kernelINS0_14default_configENS1_36segmented_radix_sort_config_selectorI6__halflEEZNS1_25segmented_radix_sort_implIS3_Lb0EPKS5_PS5_PKlPlN2at6native12_GLOBAL__N_18offset_tEEE10hipError_tPvRmT1_PNSt15iterator_traitsISL_E10value_typeET2_T3_PNSM_ISR_E10value_typeET4_jRbjT5_SX_jjP12ihipStream_tbEUlT_E_NS1_11comp_targetILNS1_3genE5ELNS1_11target_archE942ELNS1_3gpuE9ELNS1_3repE0EEENS1_30default_config_static_selectorELNS0_4arch9wavefront6targetE1EEEvSL_
		.amdhsa_group_segment_fixed_size 0
		.amdhsa_private_segment_fixed_size 0
		.amdhsa_kernarg_size 96
		.amdhsa_user_sgpr_count 6
		.amdhsa_user_sgpr_private_segment_buffer 1
		.amdhsa_user_sgpr_dispatch_ptr 0
		.amdhsa_user_sgpr_queue_ptr 0
		.amdhsa_user_sgpr_kernarg_segment_ptr 1
		.amdhsa_user_sgpr_dispatch_id 0
		.amdhsa_user_sgpr_flat_scratch_init 0
		.amdhsa_user_sgpr_private_segment_size 0
		.amdhsa_uses_dynamic_stack 0
		.amdhsa_system_sgpr_private_segment_wavefront_offset 0
		.amdhsa_system_sgpr_workgroup_id_x 1
		.amdhsa_system_sgpr_workgroup_id_y 0
		.amdhsa_system_sgpr_workgroup_id_z 0
		.amdhsa_system_sgpr_workgroup_info 0
		.amdhsa_system_vgpr_workitem_id 0
		.amdhsa_next_free_vgpr 1
		.amdhsa_next_free_sgpr 0
		.amdhsa_reserve_vcc 0
		.amdhsa_reserve_flat_scratch 0
		.amdhsa_float_round_mode_32 0
		.amdhsa_float_round_mode_16_64 0
		.amdhsa_float_denorm_mode_32 3
		.amdhsa_float_denorm_mode_16_64 3
		.amdhsa_dx10_clamp 1
		.amdhsa_ieee_mode 1
		.amdhsa_fp16_overflow 0
		.amdhsa_exception_fp_ieee_invalid_op 0
		.amdhsa_exception_fp_denorm_src 0
		.amdhsa_exception_fp_ieee_div_zero 0
		.amdhsa_exception_fp_ieee_overflow 0
		.amdhsa_exception_fp_ieee_underflow 0
		.amdhsa_exception_fp_ieee_inexact 0
		.amdhsa_exception_int_div_zero 0
	.end_amdhsa_kernel
	.section	.text._ZN7rocprim17ROCPRIM_400000_NS6detail17trampoline_kernelINS0_14default_configENS1_36segmented_radix_sort_config_selectorI6__halflEEZNS1_25segmented_radix_sort_implIS3_Lb0EPKS5_PS5_PKlPlN2at6native12_GLOBAL__N_18offset_tEEE10hipError_tPvRmT1_PNSt15iterator_traitsISL_E10value_typeET2_T3_PNSM_ISR_E10value_typeET4_jRbjT5_SX_jjP12ihipStream_tbEUlT_E_NS1_11comp_targetILNS1_3genE5ELNS1_11target_archE942ELNS1_3gpuE9ELNS1_3repE0EEENS1_30default_config_static_selectorELNS0_4arch9wavefront6targetE1EEEvSL_,"axG",@progbits,_ZN7rocprim17ROCPRIM_400000_NS6detail17trampoline_kernelINS0_14default_configENS1_36segmented_radix_sort_config_selectorI6__halflEEZNS1_25segmented_radix_sort_implIS3_Lb0EPKS5_PS5_PKlPlN2at6native12_GLOBAL__N_18offset_tEEE10hipError_tPvRmT1_PNSt15iterator_traitsISL_E10value_typeET2_T3_PNSM_ISR_E10value_typeET4_jRbjT5_SX_jjP12ihipStream_tbEUlT_E_NS1_11comp_targetILNS1_3genE5ELNS1_11target_archE942ELNS1_3gpuE9ELNS1_3repE0EEENS1_30default_config_static_selectorELNS0_4arch9wavefront6targetE1EEEvSL_,comdat
.Lfunc_end1843:
	.size	_ZN7rocprim17ROCPRIM_400000_NS6detail17trampoline_kernelINS0_14default_configENS1_36segmented_radix_sort_config_selectorI6__halflEEZNS1_25segmented_radix_sort_implIS3_Lb0EPKS5_PS5_PKlPlN2at6native12_GLOBAL__N_18offset_tEEE10hipError_tPvRmT1_PNSt15iterator_traitsISL_E10value_typeET2_T3_PNSM_ISR_E10value_typeET4_jRbjT5_SX_jjP12ihipStream_tbEUlT_E_NS1_11comp_targetILNS1_3genE5ELNS1_11target_archE942ELNS1_3gpuE9ELNS1_3repE0EEENS1_30default_config_static_selectorELNS0_4arch9wavefront6targetE1EEEvSL_, .Lfunc_end1843-_ZN7rocprim17ROCPRIM_400000_NS6detail17trampoline_kernelINS0_14default_configENS1_36segmented_radix_sort_config_selectorI6__halflEEZNS1_25segmented_radix_sort_implIS3_Lb0EPKS5_PS5_PKlPlN2at6native12_GLOBAL__N_18offset_tEEE10hipError_tPvRmT1_PNSt15iterator_traitsISL_E10value_typeET2_T3_PNSM_ISR_E10value_typeET4_jRbjT5_SX_jjP12ihipStream_tbEUlT_E_NS1_11comp_targetILNS1_3genE5ELNS1_11target_archE942ELNS1_3gpuE9ELNS1_3repE0EEENS1_30default_config_static_selectorELNS0_4arch9wavefront6targetE1EEEvSL_
                                        ; -- End function
	.set _ZN7rocprim17ROCPRIM_400000_NS6detail17trampoline_kernelINS0_14default_configENS1_36segmented_radix_sort_config_selectorI6__halflEEZNS1_25segmented_radix_sort_implIS3_Lb0EPKS5_PS5_PKlPlN2at6native12_GLOBAL__N_18offset_tEEE10hipError_tPvRmT1_PNSt15iterator_traitsISL_E10value_typeET2_T3_PNSM_ISR_E10value_typeET4_jRbjT5_SX_jjP12ihipStream_tbEUlT_E_NS1_11comp_targetILNS1_3genE5ELNS1_11target_archE942ELNS1_3gpuE9ELNS1_3repE0EEENS1_30default_config_static_selectorELNS0_4arch9wavefront6targetE1EEEvSL_.num_vgpr, 0
	.set _ZN7rocprim17ROCPRIM_400000_NS6detail17trampoline_kernelINS0_14default_configENS1_36segmented_radix_sort_config_selectorI6__halflEEZNS1_25segmented_radix_sort_implIS3_Lb0EPKS5_PS5_PKlPlN2at6native12_GLOBAL__N_18offset_tEEE10hipError_tPvRmT1_PNSt15iterator_traitsISL_E10value_typeET2_T3_PNSM_ISR_E10value_typeET4_jRbjT5_SX_jjP12ihipStream_tbEUlT_E_NS1_11comp_targetILNS1_3genE5ELNS1_11target_archE942ELNS1_3gpuE9ELNS1_3repE0EEENS1_30default_config_static_selectorELNS0_4arch9wavefront6targetE1EEEvSL_.num_agpr, 0
	.set _ZN7rocprim17ROCPRIM_400000_NS6detail17trampoline_kernelINS0_14default_configENS1_36segmented_radix_sort_config_selectorI6__halflEEZNS1_25segmented_radix_sort_implIS3_Lb0EPKS5_PS5_PKlPlN2at6native12_GLOBAL__N_18offset_tEEE10hipError_tPvRmT1_PNSt15iterator_traitsISL_E10value_typeET2_T3_PNSM_ISR_E10value_typeET4_jRbjT5_SX_jjP12ihipStream_tbEUlT_E_NS1_11comp_targetILNS1_3genE5ELNS1_11target_archE942ELNS1_3gpuE9ELNS1_3repE0EEENS1_30default_config_static_selectorELNS0_4arch9wavefront6targetE1EEEvSL_.numbered_sgpr, 0
	.set _ZN7rocprim17ROCPRIM_400000_NS6detail17trampoline_kernelINS0_14default_configENS1_36segmented_radix_sort_config_selectorI6__halflEEZNS1_25segmented_radix_sort_implIS3_Lb0EPKS5_PS5_PKlPlN2at6native12_GLOBAL__N_18offset_tEEE10hipError_tPvRmT1_PNSt15iterator_traitsISL_E10value_typeET2_T3_PNSM_ISR_E10value_typeET4_jRbjT5_SX_jjP12ihipStream_tbEUlT_E_NS1_11comp_targetILNS1_3genE5ELNS1_11target_archE942ELNS1_3gpuE9ELNS1_3repE0EEENS1_30default_config_static_selectorELNS0_4arch9wavefront6targetE1EEEvSL_.num_named_barrier, 0
	.set _ZN7rocprim17ROCPRIM_400000_NS6detail17trampoline_kernelINS0_14default_configENS1_36segmented_radix_sort_config_selectorI6__halflEEZNS1_25segmented_radix_sort_implIS3_Lb0EPKS5_PS5_PKlPlN2at6native12_GLOBAL__N_18offset_tEEE10hipError_tPvRmT1_PNSt15iterator_traitsISL_E10value_typeET2_T3_PNSM_ISR_E10value_typeET4_jRbjT5_SX_jjP12ihipStream_tbEUlT_E_NS1_11comp_targetILNS1_3genE5ELNS1_11target_archE942ELNS1_3gpuE9ELNS1_3repE0EEENS1_30default_config_static_selectorELNS0_4arch9wavefront6targetE1EEEvSL_.private_seg_size, 0
	.set _ZN7rocprim17ROCPRIM_400000_NS6detail17trampoline_kernelINS0_14default_configENS1_36segmented_radix_sort_config_selectorI6__halflEEZNS1_25segmented_radix_sort_implIS3_Lb0EPKS5_PS5_PKlPlN2at6native12_GLOBAL__N_18offset_tEEE10hipError_tPvRmT1_PNSt15iterator_traitsISL_E10value_typeET2_T3_PNSM_ISR_E10value_typeET4_jRbjT5_SX_jjP12ihipStream_tbEUlT_E_NS1_11comp_targetILNS1_3genE5ELNS1_11target_archE942ELNS1_3gpuE9ELNS1_3repE0EEENS1_30default_config_static_selectorELNS0_4arch9wavefront6targetE1EEEvSL_.uses_vcc, 0
	.set _ZN7rocprim17ROCPRIM_400000_NS6detail17trampoline_kernelINS0_14default_configENS1_36segmented_radix_sort_config_selectorI6__halflEEZNS1_25segmented_radix_sort_implIS3_Lb0EPKS5_PS5_PKlPlN2at6native12_GLOBAL__N_18offset_tEEE10hipError_tPvRmT1_PNSt15iterator_traitsISL_E10value_typeET2_T3_PNSM_ISR_E10value_typeET4_jRbjT5_SX_jjP12ihipStream_tbEUlT_E_NS1_11comp_targetILNS1_3genE5ELNS1_11target_archE942ELNS1_3gpuE9ELNS1_3repE0EEENS1_30default_config_static_selectorELNS0_4arch9wavefront6targetE1EEEvSL_.uses_flat_scratch, 0
	.set _ZN7rocprim17ROCPRIM_400000_NS6detail17trampoline_kernelINS0_14default_configENS1_36segmented_radix_sort_config_selectorI6__halflEEZNS1_25segmented_radix_sort_implIS3_Lb0EPKS5_PS5_PKlPlN2at6native12_GLOBAL__N_18offset_tEEE10hipError_tPvRmT1_PNSt15iterator_traitsISL_E10value_typeET2_T3_PNSM_ISR_E10value_typeET4_jRbjT5_SX_jjP12ihipStream_tbEUlT_E_NS1_11comp_targetILNS1_3genE5ELNS1_11target_archE942ELNS1_3gpuE9ELNS1_3repE0EEENS1_30default_config_static_selectorELNS0_4arch9wavefront6targetE1EEEvSL_.has_dyn_sized_stack, 0
	.set _ZN7rocprim17ROCPRIM_400000_NS6detail17trampoline_kernelINS0_14default_configENS1_36segmented_radix_sort_config_selectorI6__halflEEZNS1_25segmented_radix_sort_implIS3_Lb0EPKS5_PS5_PKlPlN2at6native12_GLOBAL__N_18offset_tEEE10hipError_tPvRmT1_PNSt15iterator_traitsISL_E10value_typeET2_T3_PNSM_ISR_E10value_typeET4_jRbjT5_SX_jjP12ihipStream_tbEUlT_E_NS1_11comp_targetILNS1_3genE5ELNS1_11target_archE942ELNS1_3gpuE9ELNS1_3repE0EEENS1_30default_config_static_selectorELNS0_4arch9wavefront6targetE1EEEvSL_.has_recursion, 0
	.set _ZN7rocprim17ROCPRIM_400000_NS6detail17trampoline_kernelINS0_14default_configENS1_36segmented_radix_sort_config_selectorI6__halflEEZNS1_25segmented_radix_sort_implIS3_Lb0EPKS5_PS5_PKlPlN2at6native12_GLOBAL__N_18offset_tEEE10hipError_tPvRmT1_PNSt15iterator_traitsISL_E10value_typeET2_T3_PNSM_ISR_E10value_typeET4_jRbjT5_SX_jjP12ihipStream_tbEUlT_E_NS1_11comp_targetILNS1_3genE5ELNS1_11target_archE942ELNS1_3gpuE9ELNS1_3repE0EEENS1_30default_config_static_selectorELNS0_4arch9wavefront6targetE1EEEvSL_.has_indirect_call, 0
	.section	.AMDGPU.csdata,"",@progbits
; Kernel info:
; codeLenInByte = 0
; TotalNumSgprs: 4
; NumVgprs: 0
; ScratchSize: 0
; MemoryBound: 0
; FloatMode: 240
; IeeeMode: 1
; LDSByteSize: 0 bytes/workgroup (compile time only)
; SGPRBlocks: 0
; VGPRBlocks: 0
; NumSGPRsForWavesPerEU: 4
; NumVGPRsForWavesPerEU: 1
; Occupancy: 10
; WaveLimiterHint : 0
; COMPUTE_PGM_RSRC2:SCRATCH_EN: 0
; COMPUTE_PGM_RSRC2:USER_SGPR: 6
; COMPUTE_PGM_RSRC2:TRAP_HANDLER: 0
; COMPUTE_PGM_RSRC2:TGID_X_EN: 1
; COMPUTE_PGM_RSRC2:TGID_Y_EN: 0
; COMPUTE_PGM_RSRC2:TGID_Z_EN: 0
; COMPUTE_PGM_RSRC2:TIDIG_COMP_CNT: 0
	.section	.text._ZN7rocprim17ROCPRIM_400000_NS6detail17trampoline_kernelINS0_14default_configENS1_36segmented_radix_sort_config_selectorI6__halflEEZNS1_25segmented_radix_sort_implIS3_Lb0EPKS5_PS5_PKlPlN2at6native12_GLOBAL__N_18offset_tEEE10hipError_tPvRmT1_PNSt15iterator_traitsISL_E10value_typeET2_T3_PNSM_ISR_E10value_typeET4_jRbjT5_SX_jjP12ihipStream_tbEUlT_E_NS1_11comp_targetILNS1_3genE4ELNS1_11target_archE910ELNS1_3gpuE8ELNS1_3repE0EEENS1_30default_config_static_selectorELNS0_4arch9wavefront6targetE1EEEvSL_,"axG",@progbits,_ZN7rocprim17ROCPRIM_400000_NS6detail17trampoline_kernelINS0_14default_configENS1_36segmented_radix_sort_config_selectorI6__halflEEZNS1_25segmented_radix_sort_implIS3_Lb0EPKS5_PS5_PKlPlN2at6native12_GLOBAL__N_18offset_tEEE10hipError_tPvRmT1_PNSt15iterator_traitsISL_E10value_typeET2_T3_PNSM_ISR_E10value_typeET4_jRbjT5_SX_jjP12ihipStream_tbEUlT_E_NS1_11comp_targetILNS1_3genE4ELNS1_11target_archE910ELNS1_3gpuE8ELNS1_3repE0EEENS1_30default_config_static_selectorELNS0_4arch9wavefront6targetE1EEEvSL_,comdat
	.globl	_ZN7rocprim17ROCPRIM_400000_NS6detail17trampoline_kernelINS0_14default_configENS1_36segmented_radix_sort_config_selectorI6__halflEEZNS1_25segmented_radix_sort_implIS3_Lb0EPKS5_PS5_PKlPlN2at6native12_GLOBAL__N_18offset_tEEE10hipError_tPvRmT1_PNSt15iterator_traitsISL_E10value_typeET2_T3_PNSM_ISR_E10value_typeET4_jRbjT5_SX_jjP12ihipStream_tbEUlT_E_NS1_11comp_targetILNS1_3genE4ELNS1_11target_archE910ELNS1_3gpuE8ELNS1_3repE0EEENS1_30default_config_static_selectorELNS0_4arch9wavefront6targetE1EEEvSL_ ; -- Begin function _ZN7rocprim17ROCPRIM_400000_NS6detail17trampoline_kernelINS0_14default_configENS1_36segmented_radix_sort_config_selectorI6__halflEEZNS1_25segmented_radix_sort_implIS3_Lb0EPKS5_PS5_PKlPlN2at6native12_GLOBAL__N_18offset_tEEE10hipError_tPvRmT1_PNSt15iterator_traitsISL_E10value_typeET2_T3_PNSM_ISR_E10value_typeET4_jRbjT5_SX_jjP12ihipStream_tbEUlT_E_NS1_11comp_targetILNS1_3genE4ELNS1_11target_archE910ELNS1_3gpuE8ELNS1_3repE0EEENS1_30default_config_static_selectorELNS0_4arch9wavefront6targetE1EEEvSL_
	.p2align	8
	.type	_ZN7rocprim17ROCPRIM_400000_NS6detail17trampoline_kernelINS0_14default_configENS1_36segmented_radix_sort_config_selectorI6__halflEEZNS1_25segmented_radix_sort_implIS3_Lb0EPKS5_PS5_PKlPlN2at6native12_GLOBAL__N_18offset_tEEE10hipError_tPvRmT1_PNSt15iterator_traitsISL_E10value_typeET2_T3_PNSM_ISR_E10value_typeET4_jRbjT5_SX_jjP12ihipStream_tbEUlT_E_NS1_11comp_targetILNS1_3genE4ELNS1_11target_archE910ELNS1_3gpuE8ELNS1_3repE0EEENS1_30default_config_static_selectorELNS0_4arch9wavefront6targetE1EEEvSL_,@function
_ZN7rocprim17ROCPRIM_400000_NS6detail17trampoline_kernelINS0_14default_configENS1_36segmented_radix_sort_config_selectorI6__halflEEZNS1_25segmented_radix_sort_implIS3_Lb0EPKS5_PS5_PKlPlN2at6native12_GLOBAL__N_18offset_tEEE10hipError_tPvRmT1_PNSt15iterator_traitsISL_E10value_typeET2_T3_PNSM_ISR_E10value_typeET4_jRbjT5_SX_jjP12ihipStream_tbEUlT_E_NS1_11comp_targetILNS1_3genE4ELNS1_11target_archE910ELNS1_3gpuE8ELNS1_3repE0EEENS1_30default_config_static_selectorELNS0_4arch9wavefront6targetE1EEEvSL_: ; @_ZN7rocprim17ROCPRIM_400000_NS6detail17trampoline_kernelINS0_14default_configENS1_36segmented_radix_sort_config_selectorI6__halflEEZNS1_25segmented_radix_sort_implIS3_Lb0EPKS5_PS5_PKlPlN2at6native12_GLOBAL__N_18offset_tEEE10hipError_tPvRmT1_PNSt15iterator_traitsISL_E10value_typeET2_T3_PNSM_ISR_E10value_typeET4_jRbjT5_SX_jjP12ihipStream_tbEUlT_E_NS1_11comp_targetILNS1_3genE4ELNS1_11target_archE910ELNS1_3gpuE8ELNS1_3repE0EEENS1_30default_config_static_selectorELNS0_4arch9wavefront6targetE1EEEvSL_
; %bb.0:
	.section	.rodata,"a",@progbits
	.p2align	6, 0x0
	.amdhsa_kernel _ZN7rocprim17ROCPRIM_400000_NS6detail17trampoline_kernelINS0_14default_configENS1_36segmented_radix_sort_config_selectorI6__halflEEZNS1_25segmented_radix_sort_implIS3_Lb0EPKS5_PS5_PKlPlN2at6native12_GLOBAL__N_18offset_tEEE10hipError_tPvRmT1_PNSt15iterator_traitsISL_E10value_typeET2_T3_PNSM_ISR_E10value_typeET4_jRbjT5_SX_jjP12ihipStream_tbEUlT_E_NS1_11comp_targetILNS1_3genE4ELNS1_11target_archE910ELNS1_3gpuE8ELNS1_3repE0EEENS1_30default_config_static_selectorELNS0_4arch9wavefront6targetE1EEEvSL_
		.amdhsa_group_segment_fixed_size 0
		.amdhsa_private_segment_fixed_size 0
		.amdhsa_kernarg_size 96
		.amdhsa_user_sgpr_count 6
		.amdhsa_user_sgpr_private_segment_buffer 1
		.amdhsa_user_sgpr_dispatch_ptr 0
		.amdhsa_user_sgpr_queue_ptr 0
		.amdhsa_user_sgpr_kernarg_segment_ptr 1
		.amdhsa_user_sgpr_dispatch_id 0
		.amdhsa_user_sgpr_flat_scratch_init 0
		.amdhsa_user_sgpr_private_segment_size 0
		.amdhsa_uses_dynamic_stack 0
		.amdhsa_system_sgpr_private_segment_wavefront_offset 0
		.amdhsa_system_sgpr_workgroup_id_x 1
		.amdhsa_system_sgpr_workgroup_id_y 0
		.amdhsa_system_sgpr_workgroup_id_z 0
		.amdhsa_system_sgpr_workgroup_info 0
		.amdhsa_system_vgpr_workitem_id 0
		.amdhsa_next_free_vgpr 1
		.amdhsa_next_free_sgpr 0
		.amdhsa_reserve_vcc 0
		.amdhsa_reserve_flat_scratch 0
		.amdhsa_float_round_mode_32 0
		.amdhsa_float_round_mode_16_64 0
		.amdhsa_float_denorm_mode_32 3
		.amdhsa_float_denorm_mode_16_64 3
		.amdhsa_dx10_clamp 1
		.amdhsa_ieee_mode 1
		.amdhsa_fp16_overflow 0
		.amdhsa_exception_fp_ieee_invalid_op 0
		.amdhsa_exception_fp_denorm_src 0
		.amdhsa_exception_fp_ieee_div_zero 0
		.amdhsa_exception_fp_ieee_overflow 0
		.amdhsa_exception_fp_ieee_underflow 0
		.amdhsa_exception_fp_ieee_inexact 0
		.amdhsa_exception_int_div_zero 0
	.end_amdhsa_kernel
	.section	.text._ZN7rocprim17ROCPRIM_400000_NS6detail17trampoline_kernelINS0_14default_configENS1_36segmented_radix_sort_config_selectorI6__halflEEZNS1_25segmented_radix_sort_implIS3_Lb0EPKS5_PS5_PKlPlN2at6native12_GLOBAL__N_18offset_tEEE10hipError_tPvRmT1_PNSt15iterator_traitsISL_E10value_typeET2_T3_PNSM_ISR_E10value_typeET4_jRbjT5_SX_jjP12ihipStream_tbEUlT_E_NS1_11comp_targetILNS1_3genE4ELNS1_11target_archE910ELNS1_3gpuE8ELNS1_3repE0EEENS1_30default_config_static_selectorELNS0_4arch9wavefront6targetE1EEEvSL_,"axG",@progbits,_ZN7rocprim17ROCPRIM_400000_NS6detail17trampoline_kernelINS0_14default_configENS1_36segmented_radix_sort_config_selectorI6__halflEEZNS1_25segmented_radix_sort_implIS3_Lb0EPKS5_PS5_PKlPlN2at6native12_GLOBAL__N_18offset_tEEE10hipError_tPvRmT1_PNSt15iterator_traitsISL_E10value_typeET2_T3_PNSM_ISR_E10value_typeET4_jRbjT5_SX_jjP12ihipStream_tbEUlT_E_NS1_11comp_targetILNS1_3genE4ELNS1_11target_archE910ELNS1_3gpuE8ELNS1_3repE0EEENS1_30default_config_static_selectorELNS0_4arch9wavefront6targetE1EEEvSL_,comdat
.Lfunc_end1844:
	.size	_ZN7rocprim17ROCPRIM_400000_NS6detail17trampoline_kernelINS0_14default_configENS1_36segmented_radix_sort_config_selectorI6__halflEEZNS1_25segmented_radix_sort_implIS3_Lb0EPKS5_PS5_PKlPlN2at6native12_GLOBAL__N_18offset_tEEE10hipError_tPvRmT1_PNSt15iterator_traitsISL_E10value_typeET2_T3_PNSM_ISR_E10value_typeET4_jRbjT5_SX_jjP12ihipStream_tbEUlT_E_NS1_11comp_targetILNS1_3genE4ELNS1_11target_archE910ELNS1_3gpuE8ELNS1_3repE0EEENS1_30default_config_static_selectorELNS0_4arch9wavefront6targetE1EEEvSL_, .Lfunc_end1844-_ZN7rocprim17ROCPRIM_400000_NS6detail17trampoline_kernelINS0_14default_configENS1_36segmented_radix_sort_config_selectorI6__halflEEZNS1_25segmented_radix_sort_implIS3_Lb0EPKS5_PS5_PKlPlN2at6native12_GLOBAL__N_18offset_tEEE10hipError_tPvRmT1_PNSt15iterator_traitsISL_E10value_typeET2_T3_PNSM_ISR_E10value_typeET4_jRbjT5_SX_jjP12ihipStream_tbEUlT_E_NS1_11comp_targetILNS1_3genE4ELNS1_11target_archE910ELNS1_3gpuE8ELNS1_3repE0EEENS1_30default_config_static_selectorELNS0_4arch9wavefront6targetE1EEEvSL_
                                        ; -- End function
	.set _ZN7rocprim17ROCPRIM_400000_NS6detail17trampoline_kernelINS0_14default_configENS1_36segmented_radix_sort_config_selectorI6__halflEEZNS1_25segmented_radix_sort_implIS3_Lb0EPKS5_PS5_PKlPlN2at6native12_GLOBAL__N_18offset_tEEE10hipError_tPvRmT1_PNSt15iterator_traitsISL_E10value_typeET2_T3_PNSM_ISR_E10value_typeET4_jRbjT5_SX_jjP12ihipStream_tbEUlT_E_NS1_11comp_targetILNS1_3genE4ELNS1_11target_archE910ELNS1_3gpuE8ELNS1_3repE0EEENS1_30default_config_static_selectorELNS0_4arch9wavefront6targetE1EEEvSL_.num_vgpr, 0
	.set _ZN7rocprim17ROCPRIM_400000_NS6detail17trampoline_kernelINS0_14default_configENS1_36segmented_radix_sort_config_selectorI6__halflEEZNS1_25segmented_radix_sort_implIS3_Lb0EPKS5_PS5_PKlPlN2at6native12_GLOBAL__N_18offset_tEEE10hipError_tPvRmT1_PNSt15iterator_traitsISL_E10value_typeET2_T3_PNSM_ISR_E10value_typeET4_jRbjT5_SX_jjP12ihipStream_tbEUlT_E_NS1_11comp_targetILNS1_3genE4ELNS1_11target_archE910ELNS1_3gpuE8ELNS1_3repE0EEENS1_30default_config_static_selectorELNS0_4arch9wavefront6targetE1EEEvSL_.num_agpr, 0
	.set _ZN7rocprim17ROCPRIM_400000_NS6detail17trampoline_kernelINS0_14default_configENS1_36segmented_radix_sort_config_selectorI6__halflEEZNS1_25segmented_radix_sort_implIS3_Lb0EPKS5_PS5_PKlPlN2at6native12_GLOBAL__N_18offset_tEEE10hipError_tPvRmT1_PNSt15iterator_traitsISL_E10value_typeET2_T3_PNSM_ISR_E10value_typeET4_jRbjT5_SX_jjP12ihipStream_tbEUlT_E_NS1_11comp_targetILNS1_3genE4ELNS1_11target_archE910ELNS1_3gpuE8ELNS1_3repE0EEENS1_30default_config_static_selectorELNS0_4arch9wavefront6targetE1EEEvSL_.numbered_sgpr, 0
	.set _ZN7rocprim17ROCPRIM_400000_NS6detail17trampoline_kernelINS0_14default_configENS1_36segmented_radix_sort_config_selectorI6__halflEEZNS1_25segmented_radix_sort_implIS3_Lb0EPKS5_PS5_PKlPlN2at6native12_GLOBAL__N_18offset_tEEE10hipError_tPvRmT1_PNSt15iterator_traitsISL_E10value_typeET2_T3_PNSM_ISR_E10value_typeET4_jRbjT5_SX_jjP12ihipStream_tbEUlT_E_NS1_11comp_targetILNS1_3genE4ELNS1_11target_archE910ELNS1_3gpuE8ELNS1_3repE0EEENS1_30default_config_static_selectorELNS0_4arch9wavefront6targetE1EEEvSL_.num_named_barrier, 0
	.set _ZN7rocprim17ROCPRIM_400000_NS6detail17trampoline_kernelINS0_14default_configENS1_36segmented_radix_sort_config_selectorI6__halflEEZNS1_25segmented_radix_sort_implIS3_Lb0EPKS5_PS5_PKlPlN2at6native12_GLOBAL__N_18offset_tEEE10hipError_tPvRmT1_PNSt15iterator_traitsISL_E10value_typeET2_T3_PNSM_ISR_E10value_typeET4_jRbjT5_SX_jjP12ihipStream_tbEUlT_E_NS1_11comp_targetILNS1_3genE4ELNS1_11target_archE910ELNS1_3gpuE8ELNS1_3repE0EEENS1_30default_config_static_selectorELNS0_4arch9wavefront6targetE1EEEvSL_.private_seg_size, 0
	.set _ZN7rocprim17ROCPRIM_400000_NS6detail17trampoline_kernelINS0_14default_configENS1_36segmented_radix_sort_config_selectorI6__halflEEZNS1_25segmented_radix_sort_implIS3_Lb0EPKS5_PS5_PKlPlN2at6native12_GLOBAL__N_18offset_tEEE10hipError_tPvRmT1_PNSt15iterator_traitsISL_E10value_typeET2_T3_PNSM_ISR_E10value_typeET4_jRbjT5_SX_jjP12ihipStream_tbEUlT_E_NS1_11comp_targetILNS1_3genE4ELNS1_11target_archE910ELNS1_3gpuE8ELNS1_3repE0EEENS1_30default_config_static_selectorELNS0_4arch9wavefront6targetE1EEEvSL_.uses_vcc, 0
	.set _ZN7rocprim17ROCPRIM_400000_NS6detail17trampoline_kernelINS0_14default_configENS1_36segmented_radix_sort_config_selectorI6__halflEEZNS1_25segmented_radix_sort_implIS3_Lb0EPKS5_PS5_PKlPlN2at6native12_GLOBAL__N_18offset_tEEE10hipError_tPvRmT1_PNSt15iterator_traitsISL_E10value_typeET2_T3_PNSM_ISR_E10value_typeET4_jRbjT5_SX_jjP12ihipStream_tbEUlT_E_NS1_11comp_targetILNS1_3genE4ELNS1_11target_archE910ELNS1_3gpuE8ELNS1_3repE0EEENS1_30default_config_static_selectorELNS0_4arch9wavefront6targetE1EEEvSL_.uses_flat_scratch, 0
	.set _ZN7rocprim17ROCPRIM_400000_NS6detail17trampoline_kernelINS0_14default_configENS1_36segmented_radix_sort_config_selectorI6__halflEEZNS1_25segmented_radix_sort_implIS3_Lb0EPKS5_PS5_PKlPlN2at6native12_GLOBAL__N_18offset_tEEE10hipError_tPvRmT1_PNSt15iterator_traitsISL_E10value_typeET2_T3_PNSM_ISR_E10value_typeET4_jRbjT5_SX_jjP12ihipStream_tbEUlT_E_NS1_11comp_targetILNS1_3genE4ELNS1_11target_archE910ELNS1_3gpuE8ELNS1_3repE0EEENS1_30default_config_static_selectorELNS0_4arch9wavefront6targetE1EEEvSL_.has_dyn_sized_stack, 0
	.set _ZN7rocprim17ROCPRIM_400000_NS6detail17trampoline_kernelINS0_14default_configENS1_36segmented_radix_sort_config_selectorI6__halflEEZNS1_25segmented_radix_sort_implIS3_Lb0EPKS5_PS5_PKlPlN2at6native12_GLOBAL__N_18offset_tEEE10hipError_tPvRmT1_PNSt15iterator_traitsISL_E10value_typeET2_T3_PNSM_ISR_E10value_typeET4_jRbjT5_SX_jjP12ihipStream_tbEUlT_E_NS1_11comp_targetILNS1_3genE4ELNS1_11target_archE910ELNS1_3gpuE8ELNS1_3repE0EEENS1_30default_config_static_selectorELNS0_4arch9wavefront6targetE1EEEvSL_.has_recursion, 0
	.set _ZN7rocprim17ROCPRIM_400000_NS6detail17trampoline_kernelINS0_14default_configENS1_36segmented_radix_sort_config_selectorI6__halflEEZNS1_25segmented_radix_sort_implIS3_Lb0EPKS5_PS5_PKlPlN2at6native12_GLOBAL__N_18offset_tEEE10hipError_tPvRmT1_PNSt15iterator_traitsISL_E10value_typeET2_T3_PNSM_ISR_E10value_typeET4_jRbjT5_SX_jjP12ihipStream_tbEUlT_E_NS1_11comp_targetILNS1_3genE4ELNS1_11target_archE910ELNS1_3gpuE8ELNS1_3repE0EEENS1_30default_config_static_selectorELNS0_4arch9wavefront6targetE1EEEvSL_.has_indirect_call, 0
	.section	.AMDGPU.csdata,"",@progbits
; Kernel info:
; codeLenInByte = 0
; TotalNumSgprs: 4
; NumVgprs: 0
; ScratchSize: 0
; MemoryBound: 0
; FloatMode: 240
; IeeeMode: 1
; LDSByteSize: 0 bytes/workgroup (compile time only)
; SGPRBlocks: 0
; VGPRBlocks: 0
; NumSGPRsForWavesPerEU: 4
; NumVGPRsForWavesPerEU: 1
; Occupancy: 10
; WaveLimiterHint : 0
; COMPUTE_PGM_RSRC2:SCRATCH_EN: 0
; COMPUTE_PGM_RSRC2:USER_SGPR: 6
; COMPUTE_PGM_RSRC2:TRAP_HANDLER: 0
; COMPUTE_PGM_RSRC2:TGID_X_EN: 1
; COMPUTE_PGM_RSRC2:TGID_Y_EN: 0
; COMPUTE_PGM_RSRC2:TGID_Z_EN: 0
; COMPUTE_PGM_RSRC2:TIDIG_COMP_CNT: 0
	.section	.text._ZN7rocprim17ROCPRIM_400000_NS6detail17trampoline_kernelINS0_14default_configENS1_36segmented_radix_sort_config_selectorI6__halflEEZNS1_25segmented_radix_sort_implIS3_Lb0EPKS5_PS5_PKlPlN2at6native12_GLOBAL__N_18offset_tEEE10hipError_tPvRmT1_PNSt15iterator_traitsISL_E10value_typeET2_T3_PNSM_ISR_E10value_typeET4_jRbjT5_SX_jjP12ihipStream_tbEUlT_E_NS1_11comp_targetILNS1_3genE3ELNS1_11target_archE908ELNS1_3gpuE7ELNS1_3repE0EEENS1_30default_config_static_selectorELNS0_4arch9wavefront6targetE1EEEvSL_,"axG",@progbits,_ZN7rocprim17ROCPRIM_400000_NS6detail17trampoline_kernelINS0_14default_configENS1_36segmented_radix_sort_config_selectorI6__halflEEZNS1_25segmented_radix_sort_implIS3_Lb0EPKS5_PS5_PKlPlN2at6native12_GLOBAL__N_18offset_tEEE10hipError_tPvRmT1_PNSt15iterator_traitsISL_E10value_typeET2_T3_PNSM_ISR_E10value_typeET4_jRbjT5_SX_jjP12ihipStream_tbEUlT_E_NS1_11comp_targetILNS1_3genE3ELNS1_11target_archE908ELNS1_3gpuE7ELNS1_3repE0EEENS1_30default_config_static_selectorELNS0_4arch9wavefront6targetE1EEEvSL_,comdat
	.globl	_ZN7rocprim17ROCPRIM_400000_NS6detail17trampoline_kernelINS0_14default_configENS1_36segmented_radix_sort_config_selectorI6__halflEEZNS1_25segmented_radix_sort_implIS3_Lb0EPKS5_PS5_PKlPlN2at6native12_GLOBAL__N_18offset_tEEE10hipError_tPvRmT1_PNSt15iterator_traitsISL_E10value_typeET2_T3_PNSM_ISR_E10value_typeET4_jRbjT5_SX_jjP12ihipStream_tbEUlT_E_NS1_11comp_targetILNS1_3genE3ELNS1_11target_archE908ELNS1_3gpuE7ELNS1_3repE0EEENS1_30default_config_static_selectorELNS0_4arch9wavefront6targetE1EEEvSL_ ; -- Begin function _ZN7rocprim17ROCPRIM_400000_NS6detail17trampoline_kernelINS0_14default_configENS1_36segmented_radix_sort_config_selectorI6__halflEEZNS1_25segmented_radix_sort_implIS3_Lb0EPKS5_PS5_PKlPlN2at6native12_GLOBAL__N_18offset_tEEE10hipError_tPvRmT1_PNSt15iterator_traitsISL_E10value_typeET2_T3_PNSM_ISR_E10value_typeET4_jRbjT5_SX_jjP12ihipStream_tbEUlT_E_NS1_11comp_targetILNS1_3genE3ELNS1_11target_archE908ELNS1_3gpuE7ELNS1_3repE0EEENS1_30default_config_static_selectorELNS0_4arch9wavefront6targetE1EEEvSL_
	.p2align	8
	.type	_ZN7rocprim17ROCPRIM_400000_NS6detail17trampoline_kernelINS0_14default_configENS1_36segmented_radix_sort_config_selectorI6__halflEEZNS1_25segmented_radix_sort_implIS3_Lb0EPKS5_PS5_PKlPlN2at6native12_GLOBAL__N_18offset_tEEE10hipError_tPvRmT1_PNSt15iterator_traitsISL_E10value_typeET2_T3_PNSM_ISR_E10value_typeET4_jRbjT5_SX_jjP12ihipStream_tbEUlT_E_NS1_11comp_targetILNS1_3genE3ELNS1_11target_archE908ELNS1_3gpuE7ELNS1_3repE0EEENS1_30default_config_static_selectorELNS0_4arch9wavefront6targetE1EEEvSL_,@function
_ZN7rocprim17ROCPRIM_400000_NS6detail17trampoline_kernelINS0_14default_configENS1_36segmented_radix_sort_config_selectorI6__halflEEZNS1_25segmented_radix_sort_implIS3_Lb0EPKS5_PS5_PKlPlN2at6native12_GLOBAL__N_18offset_tEEE10hipError_tPvRmT1_PNSt15iterator_traitsISL_E10value_typeET2_T3_PNSM_ISR_E10value_typeET4_jRbjT5_SX_jjP12ihipStream_tbEUlT_E_NS1_11comp_targetILNS1_3genE3ELNS1_11target_archE908ELNS1_3gpuE7ELNS1_3repE0EEENS1_30default_config_static_selectorELNS0_4arch9wavefront6targetE1EEEvSL_: ; @_ZN7rocprim17ROCPRIM_400000_NS6detail17trampoline_kernelINS0_14default_configENS1_36segmented_radix_sort_config_selectorI6__halflEEZNS1_25segmented_radix_sort_implIS3_Lb0EPKS5_PS5_PKlPlN2at6native12_GLOBAL__N_18offset_tEEE10hipError_tPvRmT1_PNSt15iterator_traitsISL_E10value_typeET2_T3_PNSM_ISR_E10value_typeET4_jRbjT5_SX_jjP12ihipStream_tbEUlT_E_NS1_11comp_targetILNS1_3genE3ELNS1_11target_archE908ELNS1_3gpuE7ELNS1_3repE0EEENS1_30default_config_static_selectorELNS0_4arch9wavefront6targetE1EEEvSL_
; %bb.0:
	.section	.rodata,"a",@progbits
	.p2align	6, 0x0
	.amdhsa_kernel _ZN7rocprim17ROCPRIM_400000_NS6detail17trampoline_kernelINS0_14default_configENS1_36segmented_radix_sort_config_selectorI6__halflEEZNS1_25segmented_radix_sort_implIS3_Lb0EPKS5_PS5_PKlPlN2at6native12_GLOBAL__N_18offset_tEEE10hipError_tPvRmT1_PNSt15iterator_traitsISL_E10value_typeET2_T3_PNSM_ISR_E10value_typeET4_jRbjT5_SX_jjP12ihipStream_tbEUlT_E_NS1_11comp_targetILNS1_3genE3ELNS1_11target_archE908ELNS1_3gpuE7ELNS1_3repE0EEENS1_30default_config_static_selectorELNS0_4arch9wavefront6targetE1EEEvSL_
		.amdhsa_group_segment_fixed_size 0
		.amdhsa_private_segment_fixed_size 0
		.amdhsa_kernarg_size 96
		.amdhsa_user_sgpr_count 6
		.amdhsa_user_sgpr_private_segment_buffer 1
		.amdhsa_user_sgpr_dispatch_ptr 0
		.amdhsa_user_sgpr_queue_ptr 0
		.amdhsa_user_sgpr_kernarg_segment_ptr 1
		.amdhsa_user_sgpr_dispatch_id 0
		.amdhsa_user_sgpr_flat_scratch_init 0
		.amdhsa_user_sgpr_private_segment_size 0
		.amdhsa_uses_dynamic_stack 0
		.amdhsa_system_sgpr_private_segment_wavefront_offset 0
		.amdhsa_system_sgpr_workgroup_id_x 1
		.amdhsa_system_sgpr_workgroup_id_y 0
		.amdhsa_system_sgpr_workgroup_id_z 0
		.amdhsa_system_sgpr_workgroup_info 0
		.amdhsa_system_vgpr_workitem_id 0
		.amdhsa_next_free_vgpr 1
		.amdhsa_next_free_sgpr 0
		.amdhsa_reserve_vcc 0
		.amdhsa_reserve_flat_scratch 0
		.amdhsa_float_round_mode_32 0
		.amdhsa_float_round_mode_16_64 0
		.amdhsa_float_denorm_mode_32 3
		.amdhsa_float_denorm_mode_16_64 3
		.amdhsa_dx10_clamp 1
		.amdhsa_ieee_mode 1
		.amdhsa_fp16_overflow 0
		.amdhsa_exception_fp_ieee_invalid_op 0
		.amdhsa_exception_fp_denorm_src 0
		.amdhsa_exception_fp_ieee_div_zero 0
		.amdhsa_exception_fp_ieee_overflow 0
		.amdhsa_exception_fp_ieee_underflow 0
		.amdhsa_exception_fp_ieee_inexact 0
		.amdhsa_exception_int_div_zero 0
	.end_amdhsa_kernel
	.section	.text._ZN7rocprim17ROCPRIM_400000_NS6detail17trampoline_kernelINS0_14default_configENS1_36segmented_radix_sort_config_selectorI6__halflEEZNS1_25segmented_radix_sort_implIS3_Lb0EPKS5_PS5_PKlPlN2at6native12_GLOBAL__N_18offset_tEEE10hipError_tPvRmT1_PNSt15iterator_traitsISL_E10value_typeET2_T3_PNSM_ISR_E10value_typeET4_jRbjT5_SX_jjP12ihipStream_tbEUlT_E_NS1_11comp_targetILNS1_3genE3ELNS1_11target_archE908ELNS1_3gpuE7ELNS1_3repE0EEENS1_30default_config_static_selectorELNS0_4arch9wavefront6targetE1EEEvSL_,"axG",@progbits,_ZN7rocprim17ROCPRIM_400000_NS6detail17trampoline_kernelINS0_14default_configENS1_36segmented_radix_sort_config_selectorI6__halflEEZNS1_25segmented_radix_sort_implIS3_Lb0EPKS5_PS5_PKlPlN2at6native12_GLOBAL__N_18offset_tEEE10hipError_tPvRmT1_PNSt15iterator_traitsISL_E10value_typeET2_T3_PNSM_ISR_E10value_typeET4_jRbjT5_SX_jjP12ihipStream_tbEUlT_E_NS1_11comp_targetILNS1_3genE3ELNS1_11target_archE908ELNS1_3gpuE7ELNS1_3repE0EEENS1_30default_config_static_selectorELNS0_4arch9wavefront6targetE1EEEvSL_,comdat
.Lfunc_end1845:
	.size	_ZN7rocprim17ROCPRIM_400000_NS6detail17trampoline_kernelINS0_14default_configENS1_36segmented_radix_sort_config_selectorI6__halflEEZNS1_25segmented_radix_sort_implIS3_Lb0EPKS5_PS5_PKlPlN2at6native12_GLOBAL__N_18offset_tEEE10hipError_tPvRmT1_PNSt15iterator_traitsISL_E10value_typeET2_T3_PNSM_ISR_E10value_typeET4_jRbjT5_SX_jjP12ihipStream_tbEUlT_E_NS1_11comp_targetILNS1_3genE3ELNS1_11target_archE908ELNS1_3gpuE7ELNS1_3repE0EEENS1_30default_config_static_selectorELNS0_4arch9wavefront6targetE1EEEvSL_, .Lfunc_end1845-_ZN7rocprim17ROCPRIM_400000_NS6detail17trampoline_kernelINS0_14default_configENS1_36segmented_radix_sort_config_selectorI6__halflEEZNS1_25segmented_radix_sort_implIS3_Lb0EPKS5_PS5_PKlPlN2at6native12_GLOBAL__N_18offset_tEEE10hipError_tPvRmT1_PNSt15iterator_traitsISL_E10value_typeET2_T3_PNSM_ISR_E10value_typeET4_jRbjT5_SX_jjP12ihipStream_tbEUlT_E_NS1_11comp_targetILNS1_3genE3ELNS1_11target_archE908ELNS1_3gpuE7ELNS1_3repE0EEENS1_30default_config_static_selectorELNS0_4arch9wavefront6targetE1EEEvSL_
                                        ; -- End function
	.set _ZN7rocprim17ROCPRIM_400000_NS6detail17trampoline_kernelINS0_14default_configENS1_36segmented_radix_sort_config_selectorI6__halflEEZNS1_25segmented_radix_sort_implIS3_Lb0EPKS5_PS5_PKlPlN2at6native12_GLOBAL__N_18offset_tEEE10hipError_tPvRmT1_PNSt15iterator_traitsISL_E10value_typeET2_T3_PNSM_ISR_E10value_typeET4_jRbjT5_SX_jjP12ihipStream_tbEUlT_E_NS1_11comp_targetILNS1_3genE3ELNS1_11target_archE908ELNS1_3gpuE7ELNS1_3repE0EEENS1_30default_config_static_selectorELNS0_4arch9wavefront6targetE1EEEvSL_.num_vgpr, 0
	.set _ZN7rocprim17ROCPRIM_400000_NS6detail17trampoline_kernelINS0_14default_configENS1_36segmented_radix_sort_config_selectorI6__halflEEZNS1_25segmented_radix_sort_implIS3_Lb0EPKS5_PS5_PKlPlN2at6native12_GLOBAL__N_18offset_tEEE10hipError_tPvRmT1_PNSt15iterator_traitsISL_E10value_typeET2_T3_PNSM_ISR_E10value_typeET4_jRbjT5_SX_jjP12ihipStream_tbEUlT_E_NS1_11comp_targetILNS1_3genE3ELNS1_11target_archE908ELNS1_3gpuE7ELNS1_3repE0EEENS1_30default_config_static_selectorELNS0_4arch9wavefront6targetE1EEEvSL_.num_agpr, 0
	.set _ZN7rocprim17ROCPRIM_400000_NS6detail17trampoline_kernelINS0_14default_configENS1_36segmented_radix_sort_config_selectorI6__halflEEZNS1_25segmented_radix_sort_implIS3_Lb0EPKS5_PS5_PKlPlN2at6native12_GLOBAL__N_18offset_tEEE10hipError_tPvRmT1_PNSt15iterator_traitsISL_E10value_typeET2_T3_PNSM_ISR_E10value_typeET4_jRbjT5_SX_jjP12ihipStream_tbEUlT_E_NS1_11comp_targetILNS1_3genE3ELNS1_11target_archE908ELNS1_3gpuE7ELNS1_3repE0EEENS1_30default_config_static_selectorELNS0_4arch9wavefront6targetE1EEEvSL_.numbered_sgpr, 0
	.set _ZN7rocprim17ROCPRIM_400000_NS6detail17trampoline_kernelINS0_14default_configENS1_36segmented_radix_sort_config_selectorI6__halflEEZNS1_25segmented_radix_sort_implIS3_Lb0EPKS5_PS5_PKlPlN2at6native12_GLOBAL__N_18offset_tEEE10hipError_tPvRmT1_PNSt15iterator_traitsISL_E10value_typeET2_T3_PNSM_ISR_E10value_typeET4_jRbjT5_SX_jjP12ihipStream_tbEUlT_E_NS1_11comp_targetILNS1_3genE3ELNS1_11target_archE908ELNS1_3gpuE7ELNS1_3repE0EEENS1_30default_config_static_selectorELNS0_4arch9wavefront6targetE1EEEvSL_.num_named_barrier, 0
	.set _ZN7rocprim17ROCPRIM_400000_NS6detail17trampoline_kernelINS0_14default_configENS1_36segmented_radix_sort_config_selectorI6__halflEEZNS1_25segmented_radix_sort_implIS3_Lb0EPKS5_PS5_PKlPlN2at6native12_GLOBAL__N_18offset_tEEE10hipError_tPvRmT1_PNSt15iterator_traitsISL_E10value_typeET2_T3_PNSM_ISR_E10value_typeET4_jRbjT5_SX_jjP12ihipStream_tbEUlT_E_NS1_11comp_targetILNS1_3genE3ELNS1_11target_archE908ELNS1_3gpuE7ELNS1_3repE0EEENS1_30default_config_static_selectorELNS0_4arch9wavefront6targetE1EEEvSL_.private_seg_size, 0
	.set _ZN7rocprim17ROCPRIM_400000_NS6detail17trampoline_kernelINS0_14default_configENS1_36segmented_radix_sort_config_selectorI6__halflEEZNS1_25segmented_radix_sort_implIS3_Lb0EPKS5_PS5_PKlPlN2at6native12_GLOBAL__N_18offset_tEEE10hipError_tPvRmT1_PNSt15iterator_traitsISL_E10value_typeET2_T3_PNSM_ISR_E10value_typeET4_jRbjT5_SX_jjP12ihipStream_tbEUlT_E_NS1_11comp_targetILNS1_3genE3ELNS1_11target_archE908ELNS1_3gpuE7ELNS1_3repE0EEENS1_30default_config_static_selectorELNS0_4arch9wavefront6targetE1EEEvSL_.uses_vcc, 0
	.set _ZN7rocprim17ROCPRIM_400000_NS6detail17trampoline_kernelINS0_14default_configENS1_36segmented_radix_sort_config_selectorI6__halflEEZNS1_25segmented_radix_sort_implIS3_Lb0EPKS5_PS5_PKlPlN2at6native12_GLOBAL__N_18offset_tEEE10hipError_tPvRmT1_PNSt15iterator_traitsISL_E10value_typeET2_T3_PNSM_ISR_E10value_typeET4_jRbjT5_SX_jjP12ihipStream_tbEUlT_E_NS1_11comp_targetILNS1_3genE3ELNS1_11target_archE908ELNS1_3gpuE7ELNS1_3repE0EEENS1_30default_config_static_selectorELNS0_4arch9wavefront6targetE1EEEvSL_.uses_flat_scratch, 0
	.set _ZN7rocprim17ROCPRIM_400000_NS6detail17trampoline_kernelINS0_14default_configENS1_36segmented_radix_sort_config_selectorI6__halflEEZNS1_25segmented_radix_sort_implIS3_Lb0EPKS5_PS5_PKlPlN2at6native12_GLOBAL__N_18offset_tEEE10hipError_tPvRmT1_PNSt15iterator_traitsISL_E10value_typeET2_T3_PNSM_ISR_E10value_typeET4_jRbjT5_SX_jjP12ihipStream_tbEUlT_E_NS1_11comp_targetILNS1_3genE3ELNS1_11target_archE908ELNS1_3gpuE7ELNS1_3repE0EEENS1_30default_config_static_selectorELNS0_4arch9wavefront6targetE1EEEvSL_.has_dyn_sized_stack, 0
	.set _ZN7rocprim17ROCPRIM_400000_NS6detail17trampoline_kernelINS0_14default_configENS1_36segmented_radix_sort_config_selectorI6__halflEEZNS1_25segmented_radix_sort_implIS3_Lb0EPKS5_PS5_PKlPlN2at6native12_GLOBAL__N_18offset_tEEE10hipError_tPvRmT1_PNSt15iterator_traitsISL_E10value_typeET2_T3_PNSM_ISR_E10value_typeET4_jRbjT5_SX_jjP12ihipStream_tbEUlT_E_NS1_11comp_targetILNS1_3genE3ELNS1_11target_archE908ELNS1_3gpuE7ELNS1_3repE0EEENS1_30default_config_static_selectorELNS0_4arch9wavefront6targetE1EEEvSL_.has_recursion, 0
	.set _ZN7rocprim17ROCPRIM_400000_NS6detail17trampoline_kernelINS0_14default_configENS1_36segmented_radix_sort_config_selectorI6__halflEEZNS1_25segmented_radix_sort_implIS3_Lb0EPKS5_PS5_PKlPlN2at6native12_GLOBAL__N_18offset_tEEE10hipError_tPvRmT1_PNSt15iterator_traitsISL_E10value_typeET2_T3_PNSM_ISR_E10value_typeET4_jRbjT5_SX_jjP12ihipStream_tbEUlT_E_NS1_11comp_targetILNS1_3genE3ELNS1_11target_archE908ELNS1_3gpuE7ELNS1_3repE0EEENS1_30default_config_static_selectorELNS0_4arch9wavefront6targetE1EEEvSL_.has_indirect_call, 0
	.section	.AMDGPU.csdata,"",@progbits
; Kernel info:
; codeLenInByte = 0
; TotalNumSgprs: 4
; NumVgprs: 0
; ScratchSize: 0
; MemoryBound: 0
; FloatMode: 240
; IeeeMode: 1
; LDSByteSize: 0 bytes/workgroup (compile time only)
; SGPRBlocks: 0
; VGPRBlocks: 0
; NumSGPRsForWavesPerEU: 4
; NumVGPRsForWavesPerEU: 1
; Occupancy: 10
; WaveLimiterHint : 0
; COMPUTE_PGM_RSRC2:SCRATCH_EN: 0
; COMPUTE_PGM_RSRC2:USER_SGPR: 6
; COMPUTE_PGM_RSRC2:TRAP_HANDLER: 0
; COMPUTE_PGM_RSRC2:TGID_X_EN: 1
; COMPUTE_PGM_RSRC2:TGID_Y_EN: 0
; COMPUTE_PGM_RSRC2:TGID_Z_EN: 0
; COMPUTE_PGM_RSRC2:TIDIG_COMP_CNT: 0
	.text
	.p2align	2                               ; -- Begin function _ZN7rocprim17ROCPRIM_400000_NS6detail40segmented_radix_sort_single_block_helperI6__halflLj256ELj8ELb0EE4sortIPKS3_PS3_PKlPlEEbT_T0_T1_T2_jjjjRNS4_12storage_typeE
	.type	_ZN7rocprim17ROCPRIM_400000_NS6detail40segmented_radix_sort_single_block_helperI6__halflLj256ELj8ELb0EE4sortIPKS3_PS3_PKlPlEEbT_T0_T1_T2_jjjjRNS4_12storage_typeE,@function
_ZN7rocprim17ROCPRIM_400000_NS6detail40segmented_radix_sort_single_block_helperI6__halflLj256ELj8ELb0EE4sortIPKS3_PS3_PKlPlEEbT_T0_T1_T2_jjjjRNS4_12storage_typeE: ; @_ZN7rocprim17ROCPRIM_400000_NS6detail40segmented_radix_sort_single_block_helperI6__halflLj256ELj8ELb0EE4sortIPKS3_PS3_PKlPlEEbT_T0_T1_T2_jjjjRNS4_12storage_typeE
; %bb.0:
	s_waitcnt vmcnt(0) expcnt(0) lgkmcnt(0)
	v_sub_u32_e32 v71, v9, v8
	s_movk_i32 s4, 0x801
	v_cmp_gt_u32_e32 vcc, s4, v71
	s_and_saveexec_b64 s[46:47], vcc
	s_cbranch_execz .LBB1846_199
; %bb.1:
	s_movk_i32 s4, 0x400
	v_cmp_lt_u32_e32 vcc, s4, v71
	v_bfe_u32 v17, v31, 10, 10
	v_bfe_u32 v18, v31, 20, 10
	v_mbcnt_lo_u32_b32 v19, -1, 0
	s_and_saveexec_b64 s[4:5], vcc
	s_xor_b64 s[56:57], exec, s[4:5]
	s_cbranch_execz .LBB1846_79
; %bb.2:
	s_load_dwordx2 s[4:5], s[8:9], 0x0
	v_mov_b32_e32 v9, 0
	v_lshlrev_b64 v[26:27], 1, v[8:9]
	v_and_b32_e32 v14, 0x3ff, v31
	v_add_co_u32_e32 v24, vcc, v0, v26
	s_waitcnt lgkmcnt(0)
	s_cmp_lt_u32 s13, s5
	s_cselect_b32 s5, 14, 20
	s_add_u32 s6, s8, s5
	s_addc_u32 s7, s9, 0
	s_cmp_lt_u32 s12, s4
	s_cselect_b32 s4, 12, 18
	s_add_u32 s4, s8, s4
	global_load_ushort v15, v9, s[6:7]
	s_addc_u32 s5, s9, 0
	global_load_ushort v22, v9, s[4:5]
	v_addc_co_u32_e32 v25, vcc, v1, v27, vcc
	v_mbcnt_hi_u32_b32 v19, -1, v19
	v_and_b32_e32 v20, 63, v19
	v_mov_b32_e32 v16, v9
	v_lshlrev_b32_e32 v23, 1, v20
	v_mov_b32_e32 v21, 0x7fff
	s_waitcnt vmcnt(1)
	v_mad_u32_u24 v0, v18, v15, v17
	s_waitcnt vmcnt(0)
	v_mad_u64_u32 v[0:1], s[4:5], v0, v22, v[14:15]
	v_add_co_u32_e32 v22, vcc, v24, v23
	v_lshlrev_b32_e32 v1, 3, v0
	v_and_b32_e32 v15, 0xfffffe00, v1
	v_lshlrev_b64 v[17:18], 1, v[15:16]
	v_addc_co_u32_e32 v23, vcc, 0, v25, vcc
	v_or_b32_e32 v1, v15, v20
	v_add_co_u32_e64 v17, s[4:5], v22, v17
	v_cmp_lt_u32_e32 vcc, v1, v71
	v_addc_co_u32_e64 v18, s[4:5], v23, v18, s[4:5]
	v_mov_b32_e32 v22, 0x7fff
	s_and_saveexec_b64 s[4:5], vcc
	s_cbranch_execz .LBB1846_4
; %bb.3:
	flat_load_ushort v22, v[17:18]
.LBB1846_4:
	s_or_b64 exec, exec, s[4:5]
	v_or_b32_e32 v23, 64, v1
	v_cmp_lt_u32_e64 s[4:5], v23, v71
	s_and_saveexec_b64 s[6:7], s[4:5]
	s_cbranch_execz .LBB1846_6
; %bb.5:
	flat_load_ushort v21, v[17:18] offset:128
.LBB1846_6:
	s_or_b64 exec, exec, s[6:7]
	v_or_b32_e32 v23, 0x80, v1
	v_cmp_lt_u32_e64 s[6:7], v23, v71
	v_mov_b32_e32 v23, 0x7fff
	v_mov_b32_e32 v28, 0x7fff
	s_and_saveexec_b64 s[10:11], s[6:7]
	s_cbranch_execz .LBB1846_8
; %bb.7:
	flat_load_ushort v28, v[17:18] offset:256
.LBB1846_8:
	s_or_b64 exec, exec, s[10:11]
	v_or_b32_e32 v24, 0xc0, v1
	v_cmp_lt_u32_e64 s[10:11], v24, v71
	s_and_saveexec_b64 s[14:15], s[10:11]
	s_cbranch_execz .LBB1846_10
; %bb.9:
	flat_load_ushort v23, v[17:18] offset:384
.LBB1846_10:
	s_or_b64 exec, exec, s[14:15]
	v_or_b32_e32 v24, 0x100, v1
	v_cmp_lt_u32_e64 s[20:21], v24, v71
	v_mov_b32_e32 v29, 0x7fff
	v_mov_b32_e32 v30, 0x7fff
	s_and_saveexec_b64 s[14:15], s[20:21]
	s_cbranch_execz .LBB1846_12
; %bb.11:
	flat_load_ushort v30, v[17:18] offset:512
.LBB1846_12:
	;; [unrolled: 18-line block ×3, first 2 shown]
	s_or_b64 exec, exec, s[18:19]
	v_or_b32_e32 v1, 0x1c0, v1
	v_cmp_lt_u32_e64 s[18:19], v1, v71
	s_and_saveexec_b64 s[22:23], s[18:19]
	s_cbranch_execz .LBB1846_18
; %bb.17:
	flat_load_ushort v31, v[17:18] offset:896
.LBB1846_18:
	s_or_b64 exec, exec, s[22:23]
	v_lshlrev_b64 v[24:25], 3, v[8:9]
                                        ; implicit-def: $vgpr34_vgpr35
	v_add_co_u32_e64 v1, s[22:23], v4, v24
	v_addc_co_u32_e64 v4, s[22:23], v5, v25, s[22:23]
	v_lshlrev_b32_e32 v5, 3, v20
	v_add_co_u32_e64 v1, s[22:23], v1, v5
	v_addc_co_u32_e64 v8, s[22:23], 0, v4, s[22:23]
	v_lshlrev_b64 v[4:5], 3, v[15:16]
	v_add_co_u32_e64 v4, s[22:23], v1, v4
	v_addc_co_u32_e64 v5, s[22:23], v8, v5, s[22:23]
	s_and_saveexec_b64 s[22:23], vcc
	s_cbranch_execnz .LBB1846_112
; %bb.19:
	s_or_b64 exec, exec, s[22:23]
                                        ; implicit-def: $vgpr36_vgpr37
	s_and_saveexec_b64 s[22:23], s[4:5]
	s_cbranch_execnz .LBB1846_113
.LBB1846_20:
	s_or_b64 exec, exec, s[22:23]
                                        ; implicit-def: $vgpr38_vgpr39
	s_and_saveexec_b64 s[4:5], s[6:7]
	s_cbranch_execnz .LBB1846_114
.LBB1846_21:
	s_or_b64 exec, exec, s[4:5]
                                        ; implicit-def: $vgpr48_vgpr49
	s_and_saveexec_b64 s[4:5], s[10:11]
	s_cbranch_execnz .LBB1846_115
.LBB1846_22:
	s_or_b64 exec, exec, s[4:5]
                                        ; implicit-def: $vgpr69_vgpr70
	s_and_saveexec_b64 s[4:5], s[20:21]
	s_cbranch_execnz .LBB1846_116
.LBB1846_23:
	s_or_b64 exec, exec, s[4:5]
                                        ; implicit-def: $vgpr81_vgpr82
	s_and_saveexec_b64 s[4:5], s[14:15]
	s_cbranch_execnz .LBB1846_117
.LBB1846_24:
	s_or_b64 exec, exec, s[4:5]
                                        ; implicit-def: $vgpr96_vgpr97
	s_and_saveexec_b64 s[4:5], s[16:17]
	s_cbranch_execnz .LBB1846_118
.LBB1846_25:
	s_or_b64 exec, exec, s[4:5]
                                        ; implicit-def: $vgpr112_vgpr113
	s_and_saveexec_b64 s[4:5], s[18:19]
	s_cbranch_execz .LBB1846_27
.LBB1846_26:
	flat_load_dwordx2 v[112:113], v[4:5] offset:3584
.LBB1846_27:
	s_or_b64 exec, exec, s[4:5]
	v_mov_b32_e32 v1, 0xffff8000
	s_waitcnt vmcnt(0) lgkmcnt(0)
	v_cmp_lt_i16_e32 vcc, -1, v22
	v_cndmask_b32_e32 v4, -1, v1, vcc
	v_cmp_lt_i16_e32 vcc, -1, v21
	v_xor_b32_e32 v51, v4, v22
	v_cndmask_b32_e32 v4, -1, v1, vcc
	v_cmp_lt_i16_e32 vcc, -1, v28
	v_xor_b32_e32 v53, v4, v21
	;; [unrolled: 3-line block ×7, first 2 shown]
	v_cndmask_b32_e32 v4, -1, v1, vcc
	v_xor_b32_e32 v194, v4, v31
	v_lshl_add_u32 v4, v14, 4, v12
	s_getpc_b64 s[4:5]
	s_add_u32 s4, s4, _ZN7rocprim17ROCPRIM_400000_NS16block_radix_sortI6__halfLj256ELj8ElLj1ELj1ELj8ELNS0_26block_radix_rank_algorithmE2ELNS0_18block_padding_hintE2ELNS0_4arch9wavefront6targetE1EE19radix_bits_per_passE@rel32@lo+4
	s_addc_u32 s5, s5, _ZN7rocprim17ROCPRIM_400000_NS16block_radix_sortI6__halfLj256ELj8ElLj1ELj1ELj8ELNS0_26block_radix_rank_algorithmE2ELNS0_18block_padding_hintE2ELNS0_4arch9wavefront6targetE1EE19radix_bits_per_passE@rel32@hi+12
	v_add_u32_e32 v23, 16, v4
	v_add_u32_e32 v87, 20, v4
	;; [unrolled: 1-line block ×4, first 2 shown]
	v_and_b32_e32 v4, 15, v19
	s_load_dword s62, s[4:5], 0x0
	v_cmp_eq_u32_e32 vcc, 0, v4
	v_cmp_lt_u32_e64 s[4:5], 1, v4
	v_cmp_lt_u32_e64 s[6:7], 3, v4
	;; [unrolled: 1-line block ×3, first 2 shown]
	v_and_b32_e32 v4, 16, v19
	v_cmp_eq_u32_e64 s[40:41], 0, v4
	v_and_b32_e32 v4, 0x3c0, v14
	v_min_u32_e32 v4, 0xc0, v4
	v_or_b32_e32 v4, 63, v4
	v_cmp_eq_u32_e64 s[16:17], v14, v4
	v_subrev_co_u32_e64 v4, s[22:23], 1, v19
	v_and_b32_e32 v5, 64, v19
	v_cmp_lt_i32_e64 s[24:25], v4, v5
	v_cndmask_b32_e64 v4, v4, v19, s[24:25]
	v_lshlrev_b32_e32 v131, 2, v4
	v_lshrrev_b32_e32 v4, 4, v14
	v_and_b32_e32 v4, 60, v4
	v_add_u32_e32 v132, v12, v4
	v_and_b32_e32 v4, 3, v19
	v_cmp_eq_u32_e64 s[26:27], 0, v4
	v_cmp_lt_u32_e64 s[28:29], 1, v4
	v_lshlrev_b32_e32 v4, 3, v14
	s_movk_i32 s42, 0x1e00
	v_and_or_b32 v4, v4, s42, v20
	v_lshl_add_u32 v135, v4, 1, v12
	v_mul_u32_u24_e32 v4, 6, v4
	v_add_u32_e32 v151, v135, v4
	v_lshrrev_b32_e32 v130, 6, v0
	v_cmp_lt_u32_e64 s[14:15], 31, v19
	v_cmp_gt_u32_e64 s[18:19], 4, v14
	v_cmp_lt_u32_e64 s[20:21], 63, v14
	v_cmp_eq_u32_e64 s[24:25], 0, v14
	v_mov_b32_e32 v5, 0
	v_lshl_add_u32 v133, v14, 2, v12
	v_add_u32_e32 v134, -4, v132
	v_add_u32_e32 v144, 0x80, v135
	v_add_u32_e32 v145, 0x100, v135
	;; [unrolled: 1-line block ×14, first 2 shown]
	v_sub_u32_e32 v167, v11, v10
	s_mov_b64 s[58:59], 0
	s_movk_i32 s63, 0x7fff
	s_waitcnt lgkmcnt(0)
	s_barrier
	s_branch .LBB1846_29
.LBB1846_28:                            ;   in Loop: Header=BB1846_29 Depth=1
	s_or_b64 exec, exec, s[44:45]
	s_and_b64 s[42:43], exec, s[60:61]
	s_or_b64 s[58:59], s[42:43], s[58:59]
	s_andn2_b64 exec, exec, s[58:59]
	s_cbranch_execz .LBB1846_53
.LBB1846_29:                            ; =>This Inner Loop Header: Depth=1
	v_mov_b32_e32 v183, v51
	v_min_u32_e32 v4, s62, v167
	v_mov_b32_e32 v28, v38
	v_lshlrev_b32_e64 v4, v4, -1
	v_cmp_ne_u16_e64 s[42:43], s63, v183
	v_mov_b32_e32 v29, v39
	v_not_b32_e32 v39, v4
	v_cndmask_b32_e64 v4, v1, v183, s[42:43]
	v_mov_b32_e32 v30, v36
	v_lshrrev_b32_sdwa v4, v10, v4 dst_sel:DWORD dst_unused:UNUSED_PAD src0_sel:DWORD src1_sel:WORD_0
	v_mov_b32_e32 v31, v37
	v_and_b32_e32 v36, v4, v39
	v_lshlrev_b32_e32 v4, 2, v36
	v_add_lshl_u32 v4, v4, v130, 2
	v_mov_b32_e32 v32, v34
	v_add_co_u32_e64 v4, s[42:43], v12, v4
	v_mov_b32_e32 v33, v35
	v_add_co_u32_e64 v4, s[42:43], 16, v4
	v_and_b32_e32 v34, 1, v36
	v_add_co_u32_e64 v35, s[42:43], -1, v34
	v_addc_co_u32_e64 v37, s[42:43], 0, -1, s[42:43]
	v_cmp_ne_u32_e64 s[42:43], 0, v34
	v_xor_b32_e32 v34, s43, v37
	v_xor_b32_e32 v35, s42, v35
	v_and_b32_e32 v37, exec_hi, v34
	v_and_b32_e32 v38, exec_lo, v35
	v_lshlrev_b32_e32 v35, 30, v36
	v_mov_b32_e32 v34, v5
	v_cmp_gt_i64_e64 s[42:43], 0, v[34:35]
	v_not_b32_e32 v34, v35
	v_ashrrev_i32_e32 v34, 31, v34
	v_xor_b32_e32 v35, s43, v34
	v_xor_b32_e32 v34, s42, v34
	v_and_b32_e32 v37, v37, v35
	v_and_b32_e32 v38, v38, v34
	v_lshlrev_b32_e32 v35, 29, v36
	v_mov_b32_e32 v34, v5
	v_cmp_gt_i64_e64 s[42:43], 0, v[34:35]
	v_not_b32_e32 v34, v35
	v_ashrrev_i32_e32 v34, 31, v34
	v_xor_b32_e32 v35, s43, v34
	v_xor_b32_e32 v34, s42, v34
	v_and_b32_e32 v37, v37, v35
	v_and_b32_e32 v38, v38, v34
	;; [unrolled: 9-line block ×7, first 2 shown]
	v_mbcnt_lo_u32_b32 v36, v34, 0
	v_mbcnt_hi_u32_b32 v36, v35, v36
	v_cmp_ne_u64_e64 s[42:43], 0, v[34:35]
	v_mov_b32_e32 v21, v48
	v_mov_b32_e32 v19, v69
	;; [unrolled: 1-line block ×5, first 2 shown]
	v_cmp_eq_u32_e64 s[44:45], 0, v36
	v_mov_b32_e32 v22, v49
	v_mov_b32_e32 v20, v70
	v_mov_b32_e32 v18, v82
	v_mov_b32_e32 v16, v97
	v_mov_b32_e32 v9, v113
	v_mov_b32_e32 v182, v53
	v_mov_b32_e32 v181, v55
	v_mov_b32_e32 v180, v65
	v_mov_b32_e32 v179, v67
	v_mov_b32_e32 v178, v192
	v_mov_b32_e32 v177, v193
	v_mov_b32_e32 v176, v194
	s_and_b64 s[44:45], s[42:43], s[44:45]
	ds_write_b32 v23, v5
	ds_write_b32 v87, v5
	;; [unrolled: 1-line block ×4, first 2 shown]
	s_waitcnt lgkmcnt(0)
	s_barrier
	; wave barrier
	s_and_saveexec_b64 s[42:43], s[44:45]
; %bb.30:                               ;   in Loop: Header=BB1846_29 Depth=1
	v_bcnt_u32_b32 v34, v34, 0
	v_bcnt_u32_b32 v34, v35, v34
	ds_write_b32 v4, v34
; %bb.31:                               ;   in Loop: Header=BB1846_29 Depth=1
	s_or_b64 exec, exec, s[42:43]
	v_cmp_ne_u16_e64 s[42:43], s63, v182
	v_cndmask_b32_e64 v34, v1, v182, s[42:43]
	v_lshrrev_b32_sdwa v34, v10, v34 dst_sel:DWORD dst_unused:UNUSED_PAD src0_sel:DWORD src1_sel:WORD_0
	v_and_b32_e32 v48, v34, v39
	v_lshl_add_u32 v34, v48, 2, v130
	v_lshl_add_u32 v34, v34, 2, v12
	; wave barrier
	v_add_u32_e32 v38, 16, v34
	ds_read_b32 v37, v34 offset:16
	v_and_b32_e32 v34, 1, v48
	v_add_co_u32_e64 v35, s[42:43], -1, v34
	v_addc_co_u32_e64 v49, s[42:43], 0, -1, s[42:43]
	v_cmp_ne_u32_e64 s[42:43], 0, v34
	v_xor_b32_e32 v34, s43, v49
	v_xor_b32_e32 v35, s42, v35
	v_and_b32_e32 v49, exec_hi, v34
	v_and_b32_e32 v50, exec_lo, v35
	v_lshlrev_b32_e32 v35, 30, v48
	v_mov_b32_e32 v34, v5
	v_cmp_gt_i64_e64 s[42:43], 0, v[34:35]
	v_not_b32_e32 v34, v35
	v_ashrrev_i32_e32 v34, 31, v34
	v_xor_b32_e32 v35, s43, v34
	v_xor_b32_e32 v34, s42, v34
	v_and_b32_e32 v49, v49, v35
	v_and_b32_e32 v50, v50, v34
	v_lshlrev_b32_e32 v35, 29, v48
	v_mov_b32_e32 v34, v5
	v_cmp_gt_i64_e64 s[42:43], 0, v[34:35]
	v_not_b32_e32 v34, v35
	v_ashrrev_i32_e32 v34, 31, v34
	v_xor_b32_e32 v35, s43, v34
	v_xor_b32_e32 v34, s42, v34
	v_and_b32_e32 v49, v49, v35
	v_and_b32_e32 v50, v50, v34
	;; [unrolled: 9-line block ×7, first 2 shown]
	v_mbcnt_lo_u32_b32 v48, v34, 0
	v_mbcnt_hi_u32_b32 v48, v35, v48
	v_cmp_ne_u64_e64 s[42:43], 0, v[34:35]
	v_cmp_eq_u32_e64 s[44:45], 0, v48
	s_and_b64 s[44:45], s[42:43], s[44:45]
	; wave barrier
	s_and_saveexec_b64 s[42:43], s[44:45]
	s_cbranch_execz .LBB1846_33
; %bb.32:                               ;   in Loop: Header=BB1846_29 Depth=1
	v_bcnt_u32_b32 v34, v34, 0
	v_bcnt_u32_b32 v34, v35, v34
	s_waitcnt lgkmcnt(0)
	v_add_u32_e32 v34, v37, v34
	ds_write_b32 v38, v34
.LBB1846_33:                            ;   in Loop: Header=BB1846_29 Depth=1
	s_or_b64 exec, exec, s[42:43]
	v_cmp_ne_u16_e64 s[42:43], s63, v181
	v_cndmask_b32_e64 v34, v1, v181, s[42:43]
	v_lshrrev_b32_sdwa v34, v10, v34 dst_sel:DWORD dst_unused:UNUSED_PAD src0_sel:DWORD src1_sel:WORD_0
	v_and_b32_e32 v51, v34, v39
	v_lshl_add_u32 v34, v51, 2, v130
	v_lshl_add_u32 v34, v34, 2, v12
	; wave barrier
	v_add_u32_e32 v50, 16, v34
	ds_read_b32 v49, v34 offset:16
	v_and_b32_e32 v34, 1, v51
	v_add_co_u32_e64 v35, s[42:43], -1, v34
	v_addc_co_u32_e64 v52, s[42:43], 0, -1, s[42:43]
	v_cmp_ne_u32_e64 s[42:43], 0, v34
	v_xor_b32_e32 v34, s43, v52
	v_xor_b32_e32 v35, s42, v35
	v_and_b32_e32 v52, exec_hi, v34
	v_and_b32_e32 v53, exec_lo, v35
	v_lshlrev_b32_e32 v35, 30, v51
	v_mov_b32_e32 v34, v5
	v_cmp_gt_i64_e64 s[42:43], 0, v[34:35]
	v_not_b32_e32 v34, v35
	v_ashrrev_i32_e32 v34, 31, v34
	v_xor_b32_e32 v35, s43, v34
	v_xor_b32_e32 v34, s42, v34
	v_and_b32_e32 v52, v52, v35
	v_and_b32_e32 v53, v53, v34
	v_lshlrev_b32_e32 v35, 29, v51
	v_mov_b32_e32 v34, v5
	v_cmp_gt_i64_e64 s[42:43], 0, v[34:35]
	v_not_b32_e32 v34, v35
	v_ashrrev_i32_e32 v34, 31, v34
	v_xor_b32_e32 v35, s43, v34
	v_xor_b32_e32 v34, s42, v34
	v_and_b32_e32 v52, v52, v35
	v_and_b32_e32 v53, v53, v34
	;; [unrolled: 9-line block ×7, first 2 shown]
	v_mbcnt_lo_u32_b32 v51, v34, 0
	v_mbcnt_hi_u32_b32 v51, v35, v51
	v_cmp_ne_u64_e64 s[42:43], 0, v[34:35]
	v_cmp_eq_u32_e64 s[44:45], 0, v51
	s_and_b64 s[44:45], s[42:43], s[44:45]
	; wave barrier
	s_and_saveexec_b64 s[42:43], s[44:45]
	s_cbranch_execz .LBB1846_35
; %bb.34:                               ;   in Loop: Header=BB1846_29 Depth=1
	v_bcnt_u32_b32 v34, v34, 0
	v_bcnt_u32_b32 v34, v35, v34
	s_waitcnt lgkmcnt(0)
	v_add_u32_e32 v34, v49, v34
	ds_write_b32 v50, v34
.LBB1846_35:                            ;   in Loop: Header=BB1846_29 Depth=1
	s_or_b64 exec, exec, s[42:43]
	v_cmp_ne_u16_e64 s[42:43], s63, v180
	v_cndmask_b32_e64 v34, v1, v180, s[42:43]
	v_lshrrev_b32_sdwa v34, v10, v34 dst_sel:DWORD dst_unused:UNUSED_PAD src0_sel:DWORD src1_sel:WORD_0
	v_and_b32_e32 v54, v34, v39
	v_lshl_add_u32 v34, v54, 2, v130
	v_lshl_add_u32 v34, v34, 2, v12
	; wave barrier
	v_add_u32_e32 v53, 16, v34
	ds_read_b32 v52, v34 offset:16
	v_and_b32_e32 v34, 1, v54
	v_add_co_u32_e64 v35, s[42:43], -1, v34
	v_addc_co_u32_e64 v55, s[42:43], 0, -1, s[42:43]
	v_cmp_ne_u32_e64 s[42:43], 0, v34
	v_xor_b32_e32 v34, s43, v55
	v_xor_b32_e32 v35, s42, v35
	v_and_b32_e32 v55, exec_hi, v34
	v_and_b32_e32 v64, exec_lo, v35
	v_lshlrev_b32_e32 v35, 30, v54
	v_mov_b32_e32 v34, v5
	v_cmp_gt_i64_e64 s[42:43], 0, v[34:35]
	v_not_b32_e32 v34, v35
	v_ashrrev_i32_e32 v34, 31, v34
	v_xor_b32_e32 v35, s43, v34
	v_xor_b32_e32 v34, s42, v34
	v_and_b32_e32 v55, v55, v35
	v_and_b32_e32 v64, v64, v34
	v_lshlrev_b32_e32 v35, 29, v54
	v_mov_b32_e32 v34, v5
	v_cmp_gt_i64_e64 s[42:43], 0, v[34:35]
	v_not_b32_e32 v34, v35
	v_ashrrev_i32_e32 v34, 31, v34
	v_xor_b32_e32 v35, s43, v34
	v_xor_b32_e32 v34, s42, v34
	v_and_b32_e32 v55, v55, v35
	v_and_b32_e32 v64, v64, v34
	;; [unrolled: 9-line block ×7, first 2 shown]
	v_mbcnt_lo_u32_b32 v54, v34, 0
	v_mbcnt_hi_u32_b32 v55, v35, v54
	v_cmp_ne_u64_e64 s[42:43], 0, v[34:35]
	v_cmp_eq_u32_e64 s[44:45], 0, v55
	s_and_b64 s[44:45], s[42:43], s[44:45]
	; wave barrier
	s_and_saveexec_b64 s[42:43], s[44:45]
	s_cbranch_execz .LBB1846_37
; %bb.36:                               ;   in Loop: Header=BB1846_29 Depth=1
	v_bcnt_u32_b32 v34, v34, 0
	v_bcnt_u32_b32 v34, v35, v34
	s_waitcnt lgkmcnt(0)
	v_add_u32_e32 v34, v52, v34
	ds_write_b32 v53, v34
.LBB1846_37:                            ;   in Loop: Header=BB1846_29 Depth=1
	s_or_b64 exec, exec, s[42:43]
	v_cmp_ne_u16_e64 s[42:43], s63, v179
	v_cndmask_b32_e64 v34, v1, v179, s[42:43]
	v_lshrrev_b32_sdwa v34, v10, v34 dst_sel:DWORD dst_unused:UNUSED_PAD src0_sel:DWORD src1_sel:WORD_0
	v_and_b32_e32 v54, v34, v39
	v_lshl_add_u32 v34, v54, 2, v130
	v_lshl_add_u32 v34, v34, 2, v12
	; wave barrier
	v_add_u32_e32 v65, 16, v34
	ds_read_b32 v64, v34 offset:16
	v_and_b32_e32 v34, 1, v54
	v_add_co_u32_e64 v35, s[42:43], -1, v34
	v_addc_co_u32_e64 v66, s[42:43], 0, -1, s[42:43]
	v_cmp_ne_u32_e64 s[42:43], 0, v34
	v_xor_b32_e32 v34, s43, v66
	v_xor_b32_e32 v35, s42, v35
	v_and_b32_e32 v66, exec_hi, v34
	v_and_b32_e32 v67, exec_lo, v35
	v_lshlrev_b32_e32 v35, 30, v54
	v_mov_b32_e32 v34, v5
	v_cmp_gt_i64_e64 s[42:43], 0, v[34:35]
	v_not_b32_e32 v34, v35
	v_ashrrev_i32_e32 v34, 31, v34
	v_xor_b32_e32 v35, s43, v34
	v_xor_b32_e32 v34, s42, v34
	v_and_b32_e32 v66, v66, v35
	v_and_b32_e32 v67, v67, v34
	v_lshlrev_b32_e32 v35, 29, v54
	v_mov_b32_e32 v34, v5
	v_cmp_gt_i64_e64 s[42:43], 0, v[34:35]
	v_not_b32_e32 v34, v35
	v_ashrrev_i32_e32 v34, 31, v34
	v_xor_b32_e32 v35, s43, v34
	v_xor_b32_e32 v34, s42, v34
	v_and_b32_e32 v66, v66, v35
	v_and_b32_e32 v67, v67, v34
	;; [unrolled: 9-line block ×7, first 2 shown]
	v_mbcnt_lo_u32_b32 v54, v34, 0
	v_mbcnt_hi_u32_b32 v66, v35, v54
	v_cmp_ne_u64_e64 s[42:43], 0, v[34:35]
	v_cmp_eq_u32_e64 s[44:45], 0, v66
	s_and_b64 s[44:45], s[42:43], s[44:45]
	; wave barrier
	s_and_saveexec_b64 s[42:43], s[44:45]
	s_cbranch_execz .LBB1846_39
; %bb.38:                               ;   in Loop: Header=BB1846_29 Depth=1
	v_bcnt_u32_b32 v34, v34, 0
	v_bcnt_u32_b32 v34, v35, v34
	s_waitcnt lgkmcnt(0)
	v_add_u32_e32 v34, v64, v34
	ds_write_b32 v65, v34
.LBB1846_39:                            ;   in Loop: Header=BB1846_29 Depth=1
	s_or_b64 exec, exec, s[42:43]
	v_cmp_ne_u16_e64 s[42:43], s63, v178
	v_cndmask_b32_e64 v34, v1, v178, s[42:43]
	v_lshrrev_b32_sdwa v34, v10, v34 dst_sel:DWORD dst_unused:UNUSED_PAD src0_sel:DWORD src1_sel:WORD_0
	v_and_b32_e32 v54, v34, v39
	v_lshl_add_u32 v34, v54, 2, v130
	v_lshl_add_u32 v34, v34, 2, v12
	; wave barrier
	v_add_u32_e32 v68, 16, v34
	ds_read_b32 v67, v34 offset:16
	v_and_b32_e32 v34, 1, v54
	v_add_co_u32_e64 v35, s[42:43], -1, v34
	v_addc_co_u32_e64 v69, s[42:43], 0, -1, s[42:43]
	v_cmp_ne_u32_e64 s[42:43], 0, v34
	v_xor_b32_e32 v34, s43, v69
	v_xor_b32_e32 v35, s42, v35
	v_and_b32_e32 v69, exec_hi, v34
	v_and_b32_e32 v70, exec_lo, v35
	v_lshlrev_b32_e32 v35, 30, v54
	v_mov_b32_e32 v34, v5
	v_cmp_gt_i64_e64 s[42:43], 0, v[34:35]
	v_not_b32_e32 v34, v35
	v_ashrrev_i32_e32 v34, 31, v34
	v_xor_b32_e32 v35, s43, v34
	v_xor_b32_e32 v34, s42, v34
	v_and_b32_e32 v69, v69, v35
	v_and_b32_e32 v70, v70, v34
	v_lshlrev_b32_e32 v35, 29, v54
	v_mov_b32_e32 v34, v5
	v_cmp_gt_i64_e64 s[42:43], 0, v[34:35]
	v_not_b32_e32 v34, v35
	v_ashrrev_i32_e32 v34, 31, v34
	v_xor_b32_e32 v35, s43, v34
	v_xor_b32_e32 v34, s42, v34
	v_and_b32_e32 v69, v69, v35
	v_and_b32_e32 v70, v70, v34
	;; [unrolled: 9-line block ×7, first 2 shown]
	v_mbcnt_lo_u32_b32 v54, v34, 0
	v_mbcnt_hi_u32_b32 v69, v35, v54
	v_cmp_ne_u64_e64 s[42:43], 0, v[34:35]
	v_cmp_eq_u32_e64 s[44:45], 0, v69
	s_and_b64 s[44:45], s[42:43], s[44:45]
	; wave barrier
	s_and_saveexec_b64 s[42:43], s[44:45]
	s_cbranch_execz .LBB1846_41
; %bb.40:                               ;   in Loop: Header=BB1846_29 Depth=1
	v_bcnt_u32_b32 v34, v34, 0
	v_bcnt_u32_b32 v34, v35, v34
	s_waitcnt lgkmcnt(0)
	v_add_u32_e32 v34, v67, v34
	ds_write_b32 v68, v34
.LBB1846_41:                            ;   in Loop: Header=BB1846_29 Depth=1
	s_or_b64 exec, exec, s[42:43]
	v_cmp_ne_u16_e64 s[42:43], s63, v177
	v_cndmask_b32_e64 v34, v1, v177, s[42:43]
	v_lshrrev_b32_sdwa v34, v10, v34 dst_sel:DWORD dst_unused:UNUSED_PAD src0_sel:DWORD src1_sel:WORD_0
	v_and_b32_e32 v54, v34, v39
	v_lshl_add_u32 v34, v54, 2, v130
	v_lshl_add_u32 v34, v34, 2, v12
	; wave barrier
	v_add_u32_e32 v80, 16, v34
	ds_read_b32 v70, v34 offset:16
	v_and_b32_e32 v34, 1, v54
	v_add_co_u32_e64 v35, s[42:43], -1, v34
	v_addc_co_u32_e64 v81, s[42:43], 0, -1, s[42:43]
	v_cmp_ne_u32_e64 s[42:43], 0, v34
	v_xor_b32_e32 v34, s43, v81
	v_xor_b32_e32 v35, s42, v35
	v_and_b32_e32 v81, exec_hi, v34
	v_and_b32_e32 v82, exec_lo, v35
	v_lshlrev_b32_e32 v35, 30, v54
	v_mov_b32_e32 v34, v5
	v_cmp_gt_i64_e64 s[42:43], 0, v[34:35]
	v_not_b32_e32 v34, v35
	v_ashrrev_i32_e32 v34, 31, v34
	v_xor_b32_e32 v35, s43, v34
	v_xor_b32_e32 v34, s42, v34
	v_and_b32_e32 v81, v81, v35
	v_and_b32_e32 v82, v82, v34
	v_lshlrev_b32_e32 v35, 29, v54
	v_mov_b32_e32 v34, v5
	v_cmp_gt_i64_e64 s[42:43], 0, v[34:35]
	v_not_b32_e32 v34, v35
	v_ashrrev_i32_e32 v34, 31, v34
	v_xor_b32_e32 v35, s43, v34
	v_xor_b32_e32 v34, s42, v34
	v_and_b32_e32 v81, v81, v35
	v_and_b32_e32 v82, v82, v34
	v_lshlrev_b32_e32 v35, 28, v54
	v_mov_b32_e32 v34, v5
	v_cmp_gt_i64_e64 s[42:43], 0, v[34:35]
	v_not_b32_e32 v34, v35
	v_ashrrev_i32_e32 v34, 31, v34
	v_xor_b32_e32 v35, s43, v34
	v_xor_b32_e32 v34, s42, v34
	v_and_b32_e32 v81, v81, v35
	v_and_b32_e32 v82, v82, v34
	v_lshlrev_b32_e32 v35, 27, v54
	v_mov_b32_e32 v34, v5
	v_cmp_gt_i64_e64 s[42:43], 0, v[34:35]
	v_not_b32_e32 v34, v35
	v_ashrrev_i32_e32 v34, 31, v34
	v_xor_b32_e32 v35, s43, v34
	v_xor_b32_e32 v34, s42, v34
	v_and_b32_e32 v81, v81, v35
	v_and_b32_e32 v82, v82, v34
	v_lshlrev_b32_e32 v35, 26, v54
	v_mov_b32_e32 v34, v5
	v_cmp_gt_i64_e64 s[42:43], 0, v[34:35]
	v_not_b32_e32 v34, v35
	v_ashrrev_i32_e32 v34, 31, v34
	v_xor_b32_e32 v35, s43, v34
	v_xor_b32_e32 v34, s42, v34
	v_and_b32_e32 v81, v81, v35
	v_and_b32_e32 v82, v82, v34
	v_lshlrev_b32_e32 v35, 25, v54
	v_mov_b32_e32 v34, v5
	v_cmp_gt_i64_e64 s[42:43], 0, v[34:35]
	v_not_b32_e32 v34, v35
	v_ashrrev_i32_e32 v34, 31, v34
	v_xor_b32_e32 v35, s43, v34
	v_xor_b32_e32 v34, s42, v34
	v_and_b32_e32 v81, v81, v35
	v_and_b32_e32 v82, v82, v34
	v_lshlrev_b32_e32 v35, 24, v54
	v_mov_b32_e32 v34, v5
	v_cmp_gt_i64_e64 s[42:43], 0, v[34:35]
	v_not_b32_e32 v34, v35
	v_ashrrev_i32_e32 v34, 31, v34
	v_xor_b32_e32 v35, s43, v34
	v_xor_b32_e32 v34, s42, v34
	v_and_b32_e32 v34, v82, v34
	v_and_b32_e32 v35, v81, v35
	v_mbcnt_lo_u32_b32 v54, v34, 0
	v_mbcnt_hi_u32_b32 v81, v35, v54
	v_cmp_ne_u64_e64 s[42:43], 0, v[34:35]
	v_cmp_eq_u32_e64 s[44:45], 0, v81
	s_and_b64 s[44:45], s[42:43], s[44:45]
	; wave barrier
	s_and_saveexec_b64 s[42:43], s[44:45]
	s_cbranch_execz .LBB1846_43
; %bb.42:                               ;   in Loop: Header=BB1846_29 Depth=1
	v_bcnt_u32_b32 v34, v34, 0
	v_bcnt_u32_b32 v34, v35, v34
	s_waitcnt lgkmcnt(0)
	v_add_u32_e32 v34, v70, v34
	ds_write_b32 v80, v34
.LBB1846_43:                            ;   in Loop: Header=BB1846_29 Depth=1
	s_or_b64 exec, exec, s[42:43]
	v_cmp_ne_u16_e64 s[42:43], s63, v176
	v_cndmask_b32_e64 v34, v1, v176, s[42:43]
	v_lshrrev_b32_sdwa v34, v10, v34 dst_sel:DWORD dst_unused:UNUSED_PAD src0_sel:DWORD src1_sel:WORD_0
	v_and_b32_e32 v54, v34, v39
	v_lshl_add_u32 v34, v54, 2, v130
	v_lshl_add_u32 v34, v34, 2, v12
	; wave barrier
	v_add_u32_e32 v82, 16, v34
	ds_read_b32 v39, v34 offset:16
	v_and_b32_e32 v34, 1, v54
	v_add_co_u32_e64 v35, s[42:43], -1, v34
	v_addc_co_u32_e64 v83, s[42:43], 0, -1, s[42:43]
	v_cmp_ne_u32_e64 s[42:43], 0, v34
	v_xor_b32_e32 v34, s43, v83
	v_xor_b32_e32 v35, s42, v35
	v_and_b32_e32 v83, exec_hi, v34
	v_and_b32_e32 v84, exec_lo, v35
	v_lshlrev_b32_e32 v35, 30, v54
	v_mov_b32_e32 v34, v5
	v_cmp_gt_i64_e64 s[42:43], 0, v[34:35]
	v_not_b32_e32 v34, v35
	v_ashrrev_i32_e32 v34, 31, v34
	v_xor_b32_e32 v35, s43, v34
	v_xor_b32_e32 v34, s42, v34
	v_and_b32_e32 v83, v83, v35
	v_and_b32_e32 v84, v84, v34
	v_lshlrev_b32_e32 v35, 29, v54
	v_mov_b32_e32 v34, v5
	v_cmp_gt_i64_e64 s[42:43], 0, v[34:35]
	v_not_b32_e32 v34, v35
	v_ashrrev_i32_e32 v34, 31, v34
	v_xor_b32_e32 v35, s43, v34
	v_xor_b32_e32 v34, s42, v34
	v_and_b32_e32 v83, v83, v35
	v_and_b32_e32 v84, v84, v34
	;; [unrolled: 9-line block ×7, first 2 shown]
	v_mbcnt_lo_u32_b32 v54, v34, 0
	v_mbcnt_hi_u32_b32 v83, v35, v54
	v_cmp_ne_u64_e64 s[42:43], 0, v[34:35]
	v_cmp_eq_u32_e64 s[44:45], 0, v83
	s_and_b64 s[44:45], s[42:43], s[44:45]
	; wave barrier
	s_and_saveexec_b64 s[42:43], s[44:45]
	s_cbranch_execz .LBB1846_45
; %bb.44:                               ;   in Loop: Header=BB1846_29 Depth=1
	v_bcnt_u32_b32 v34, v34, 0
	v_bcnt_u32_b32 v34, v35, v34
	s_waitcnt lgkmcnt(0)
	v_add_u32_e32 v34, v39, v34
	ds_write_b32 v82, v34
.LBB1846_45:                            ;   in Loop: Header=BB1846_29 Depth=1
	s_or_b64 exec, exec, s[42:43]
	; wave barrier
	s_waitcnt lgkmcnt(0)
	s_barrier
	ds_read_b32 v54, v23
	ds_read_b32 v35, v87
	;; [unrolled: 1-line block ×4, first 2 shown]
	s_waitcnt lgkmcnt(2)
	v_add_u32_e32 v85, v35, v54
	s_waitcnt lgkmcnt(0)
	v_add3_u32 v84, v85, v34, v84
	s_nop 1
	v_mov_b32_dpp v85, v84 row_shr:1 row_mask:0xf bank_mask:0xf
	v_cndmask_b32_e64 v85, v85, 0, vcc
	v_add_u32_e32 v84, v85, v84
	s_nop 1
	v_mov_b32_dpp v85, v84 row_shr:2 row_mask:0xf bank_mask:0xf
	v_cndmask_b32_e64 v85, 0, v85, s[4:5]
	v_add_u32_e32 v84, v84, v85
	s_nop 1
	v_mov_b32_dpp v85, v84 row_shr:4 row_mask:0xf bank_mask:0xf
	v_cndmask_b32_e64 v85, 0, v85, s[6:7]
	;; [unrolled: 4-line block ×3, first 2 shown]
	v_add_u32_e32 v84, v84, v85
	s_nop 1
	v_mov_b32_dpp v85, v84 row_bcast:15 row_mask:0xf bank_mask:0xf
	v_cndmask_b32_e64 v85, v85, 0, s[40:41]
	v_add_u32_e32 v84, v84, v85
	s_nop 1
	v_mov_b32_dpp v85, v84 row_bcast:31 row_mask:0xf bank_mask:0xf
	v_cndmask_b32_e64 v85, 0, v85, s[14:15]
	v_add_u32_e32 v84, v84, v85
	s_and_saveexec_b64 s[42:43], s[16:17]
; %bb.46:                               ;   in Loop: Header=BB1846_29 Depth=1
	ds_write_b32 v132, v84
; %bb.47:                               ;   in Loop: Header=BB1846_29 Depth=1
	s_or_b64 exec, exec, s[42:43]
	s_waitcnt lgkmcnt(0)
	s_barrier
	s_and_saveexec_b64 s[42:43], s[18:19]
	s_cbranch_execz .LBB1846_49
; %bb.48:                               ;   in Loop: Header=BB1846_29 Depth=1
	ds_read_b32 v85, v133
	s_waitcnt lgkmcnt(0)
	s_nop 0
	v_mov_b32_dpp v86, v85 row_shr:1 row_mask:0xf bank_mask:0xf
	v_cndmask_b32_e64 v86, v86, 0, s[26:27]
	v_add_u32_e32 v85, v86, v85
	s_nop 1
	v_mov_b32_dpp v86, v85 row_shr:2 row_mask:0xf bank_mask:0xf
	v_cndmask_b32_e64 v86, 0, v86, s[28:29]
	v_add_u32_e32 v85, v85, v86
	ds_write_b32 v133, v85
.LBB1846_49:                            ;   in Loop: Header=BB1846_29 Depth=1
	s_or_b64 exec, exec, s[42:43]
	v_mov_b32_e32 v85, 0
	s_waitcnt lgkmcnt(0)
	s_barrier
	s_and_saveexec_b64 s[42:43], s[20:21]
; %bb.50:                               ;   in Loop: Header=BB1846_29 Depth=1
	ds_read_b32 v85, v134
; %bb.51:                               ;   in Loop: Header=BB1846_29 Depth=1
	s_or_b64 exec, exec, s[42:43]
	s_waitcnt lgkmcnt(0)
	v_add_u32_e32 v84, v85, v84
	ds_bpermute_b32 v84, v131, v84
	v_add_u32_e32 v10, 8, v10
	v_cmp_lt_u32_e64 s[42:43], v10, v11
	s_mov_b64 s[60:61], -1
                                        ; implicit-def: $vgpr96_vgpr97
                                        ; implicit-def: $vgpr112_vgpr113
                                        ; implicit-def: $vgpr192
                                        ; implicit-def: $vgpr193
                                        ; implicit-def: $vgpr194
	s_waitcnt lgkmcnt(0)
	v_cndmask_b32_e64 v84, v84, v85, s[22:23]
	v_cndmask_b32_e64 v84, v84, 0, s[24:25]
	v_add_u32_e32 v54, v84, v54
	v_add_u32_e32 v35, v54, v35
	;; [unrolled: 1-line block ×3, first 2 shown]
	ds_write_b32 v23, v84
	ds_write_b32 v87, v54
	;; [unrolled: 1-line block ×4, first 2 shown]
	s_waitcnt lgkmcnt(0)
	s_barrier
	ds_read_b32 v4, v4
	ds_read_b32 v34, v38
	;; [unrolled: 1-line block ×3, first 2 shown]
	s_waitcnt lgkmcnt(2)
	v_add_u32_e32 v4, v4, v36
	s_waitcnt lgkmcnt(1)
	v_add3_u32 v54, v48, v37, v34
	s_waitcnt lgkmcnt(0)
	v_add3_u32 v50, v51, v49, v35
	ds_read_b32 v34, v53
	ds_read_b32 v35, v65
	;; [unrolled: 1-line block ×5, first 2 shown]
	s_waitcnt lgkmcnt(4)
	v_add3_u32 v80, v55, v52, v34
	s_waitcnt lgkmcnt(3)
	v_add3_u32 v68, v66, v64, v35
	v_lshlrev_b64 v[34:35], 1, v[4:5]
	v_mov_b32_e32 v55, v5
	s_waitcnt lgkmcnt(0)
	v_add3_u32 v52, v83, v39, v38
	v_add_co_u32_e64 v83, s[44:45], v12, v34
	v_addc_co_u32_e64 v84, s[44:45], v13, v35, s[44:45]
	v_lshlrev_b64 v[34:35], 1, v[54:55]
	v_mov_b32_e32 v51, v5
	v_add_co_u32_e64 v85, s[44:45], v12, v34
	v_addc_co_u32_e64 v86, s[44:45], v13, v35, s[44:45]
	v_lshlrev_b64 v[34:35], 1, v[50:51]
	v_add3_u32 v64, v81, v70, v37
	v_add_co_u32_e64 v98, s[44:45], v12, v34
	v_mov_b32_e32 v81, v5
	v_addc_co_u32_e64 v99, s[44:45], v13, v35, s[44:45]
	v_lshlrev_b64 v[34:35], 1, v[80:81]
	v_add3_u32 v66, v69, v67, v36
	v_add_co_u32_e64 v100, s[44:45], v12, v34
	v_mov_b32_e32 v69, v5
	v_addc_co_u32_e64 v101, s[44:45], v13, v35, s[44:45]
	v_lshlrev_b64 v[34:35], 1, v[68:69]
	v_mov_b32_e32 v67, v5
	v_add_co_u32_e64 v102, s[44:45], v12, v34
	v_addc_co_u32_e64 v103, s[44:45], v13, v35, s[44:45]
	v_lshlrev_b64 v[34:35], 1, v[66:67]
	v_mov_b32_e32 v65, v5
	v_add_co_u32_e64 v114, s[44:45], v12, v34
	;; [unrolled: 4-line block ×3, first 2 shown]
	v_addc_co_u32_e64 v117, s[44:45], v13, v35, s[44:45]
	v_lshlrev_b64 v[34:35], 1, v[52:53]
	v_add_co_u32_e64 v118, s[44:45], v12, v34
	v_addc_co_u32_e64 v119, s[44:45], v13, v35, s[44:45]
                                        ; implicit-def: $vgpr34_vgpr35
                                        ; implicit-def: $vgpr36_vgpr37
                                        ; implicit-def: $vgpr38_vgpr39
                                        ; implicit-def: $vgpr48_vgpr49
                                        ; implicit-def: $vgpr69_vgpr70
                                        ; implicit-def: $vgpr81_vgpr82
                                        ; implicit-def: $vgpr51
                                        ; implicit-def: $vgpr53
                                        ; implicit-def: $vgpr55
                                        ; implicit-def: $vgpr65
                                        ; implicit-def: $vgpr67
	s_and_saveexec_b64 s[44:45], s[42:43]
	s_cbranch_execz .LBB1846_28
; %bb.52:                               ;   in Loop: Header=BB1846_29 Depth=1
	v_mad_u64_u32 v[34:35], s[42:43], v4, 6, v[83:84]
	v_mad_u64_u32 v[35:36], s[42:43], v54, 6, v[85:86]
	;; [unrolled: 1-line block ×4, first 2 shown]
	s_barrier
	ds_write_b16 v83, v183
	ds_write_b16 v85, v182
	;; [unrolled: 1-line block ×8, first 2 shown]
	s_waitcnt lgkmcnt(0)
	s_barrier
	ds_read_u16 v51, v135
	ds_read_u16 v53, v144
	;; [unrolled: 1-line block ×8, first 2 shown]
	s_waitcnt lgkmcnt(0)
	s_barrier
	ds_write_b64 v34, v[32:33]
	ds_write_b64 v35, v[30:31]
	;; [unrolled: 1-line block ×4, first 2 shown]
	v_mad_u64_u32 v[34:35], s[42:43], v68, 6, v[102:103]
	v_mad_u64_u32 v[35:36], s[42:43], v66, 6, v[114:115]
	;; [unrolled: 1-line block ×4, first 2 shown]
	ds_write_b64 v34, v[19:20]
	ds_write_b64 v35, v[17:18]
	ds_write_b64 v36, v[15:16]
	ds_write_b64 v37, v[8:9]
	s_waitcnt lgkmcnt(0)
	s_barrier
	ds_read_b64 v[34:35], v151
	ds_read_b64 v[36:37], v160
	;; [unrolled: 1-line block ×8, first 2 shown]
	v_add_u32_e32 v167, -8, v167
	s_xor_b64 s[60:61], exec, -1
	s_waitcnt lgkmcnt(0)
	s_barrier
	s_branch .LBB1846_28
.LBB1846_53:
	s_or_b64 exec, exec, s[58:59]
	v_mad_u64_u32 v[10:11], s[4:5], v4, 6, v[83:84]
	v_lshl_add_u32 v1, v14, 1, v12
	v_mad_u64_u32 v[11:12], s[4:5], v54, 6, v[85:86]
	v_mad_u64_u32 v[12:13], s[4:5], v50, 6, v[98:99]
	;; [unrolled: 1-line block ×3, first 2 shown]
	s_barrier
	ds_write_b16 v83, v183
	ds_write_b16 v85, v182
	;; [unrolled: 1-line block ×8, first 2 shown]
	s_waitcnt lgkmcnt(0)
	s_barrier
	ds_read_u16 v48, v1
	ds_read_u16 v39, v1 offset:512
	ds_read_u16 v38, v1 offset:1024
	;; [unrolled: 1-line block ×7, first 2 shown]
	s_waitcnt lgkmcnt(0)
	s_barrier
	ds_write_b64 v10, v[32:33]
	ds_write_b64 v11, v[30:31]
	;; [unrolled: 1-line block ×4, first 2 shown]
	v_mad_u64_u32 v[10:11], s[4:5], v68, 6, v[102:103]
	v_mad_u64_u32 v[11:12], s[4:5], v66, 6, v[114:115]
	;; [unrolled: 1-line block ×3, first 2 shown]
	v_mul_u32_u24_e32 v4, 6, v14
	v_mad_u64_u32 v[21:22], s[4:5], v52, 6, v[118:119]
	v_add_u32_e32 v1, v1, v4
	ds_write_b64 v10, v[19:20]
	ds_write_b64 v11, v[17:18]
	;; [unrolled: 1-line block ×4, first 2 shown]
	s_waitcnt lgkmcnt(0)
	s_barrier
	ds_read2st64_b64 v[20:23], v1 offset1:4
	ds_read2st64_b64 v[16:19], v1 offset0:8 offset1:12
	ds_read2st64_b64 v[12:15], v1 offset0:16 offset1:20
	;; [unrolled: 1-line block ×3, first 2 shown]
	v_add_co_u32_e32 v4, vcc, v2, v26
	v_mov_b32_e32 v1, 0
	v_addc_co_u32_e32 v26, vcc, v3, v27, vcc
	v_lshlrev_b64 v[2:3], 1, v[0:1]
	s_waitcnt lgkmcnt(0)
	v_add_co_u32_e32 v2, vcc, v4, v2
	v_addc_co_u32_e32 v3, vcc, v26, v3, vcc
	v_cmp_lt_u32_e32 vcc, v0, v71
	s_barrier
	s_and_saveexec_b64 s[6:7], vcc
	s_cbranch_execz .LBB1846_55
; %bb.54:
	v_mov_b32_e32 v4, 0xffff8000
	v_cmp_lt_i16_e64 s[4:5], -1, v48
	v_cndmask_b32_e64 v4, v4, -1, s[4:5]
	v_xor_b32_e32 v4, v4, v48
	flat_store_short v[2:3], v4
.LBB1846_55:
	s_or_b64 exec, exec, s[6:7]
	v_add_u32_e32 v4, 0x100, v0
	v_cmp_lt_u32_e64 s[4:5], v4, v71
	s_and_saveexec_b64 s[10:11], s[4:5]
	s_cbranch_execz .LBB1846_57
; %bb.56:
	v_mov_b32_e32 v4, 0xffff8000
	v_cmp_lt_i16_e64 s[6:7], -1, v39
	v_cndmask_b32_e64 v4, v4, -1, s[6:7]
	v_xor_b32_e32 v4, v4, v39
	flat_store_short v[2:3], v4 offset:512
.LBB1846_57:
	s_or_b64 exec, exec, s[10:11]
	v_add_u32_e32 v4, 0x200, v0
	v_cmp_lt_u32_e64 s[6:7], v4, v71
	s_and_saveexec_b64 s[14:15], s[6:7]
	s_cbranch_execz .LBB1846_59
; %bb.58:
	v_mov_b32_e32 v4, 0xffff8000
	v_cmp_lt_i16_e64 s[10:11], -1, v38
	v_cndmask_b32_e64 v4, v4, -1, s[10:11]
	v_xor_b32_e32 v4, v4, v38
	flat_store_short v[2:3], v4 offset:1024
.LBB1846_59:
	;; [unrolled: 12-line block ×7, first 2 shown]
	s_or_b64 exec, exec, s[24:25]
	v_add_co_u32_e64 v2, s[22:23], v6, v24
	v_lshlrev_b64 v[0:1], 3, v[0:1]
	v_addc_co_u32_e64 v3, s[22:23], v7, v25, s[22:23]
	v_add_co_u32_e64 v0, s[22:23], v2, v0
	v_addc_co_u32_e64 v1, s[22:23], v3, v1, s[22:23]
	s_and_saveexec_b64 s[22:23], vcc
	s_cbranch_execnz .LBB1846_119
; %bb.70:
	s_or_b64 exec, exec, s[22:23]
	s_and_saveexec_b64 s[22:23], s[4:5]
	s_cbranch_execnz .LBB1846_120
.LBB1846_71:
	s_or_b64 exec, exec, s[22:23]
	s_and_saveexec_b64 s[4:5], s[6:7]
	s_cbranch_execnz .LBB1846_121
.LBB1846_72:
	s_or_b64 exec, exec, s[4:5]
	s_and_saveexec_b64 s[4:5], s[10:11]
	s_cbranch_execnz .LBB1846_122
.LBB1846_73:
	s_or_b64 exec, exec, s[4:5]
	s_and_saveexec_b64 s[4:5], s[20:21]
	s_cbranch_execnz .LBB1846_123
.LBB1846_74:
	s_or_b64 exec, exec, s[4:5]
	s_and_saveexec_b64 s[4:5], s[14:15]
	s_cbranch_execnz .LBB1846_124
.LBB1846_75:
	s_or_b64 exec, exec, s[4:5]
	s_and_saveexec_b64 s[4:5], s[16:17]
	s_cbranch_execnz .LBB1846_125
.LBB1846_76:
	s_or_b64 exec, exec, s[4:5]
	s_and_saveexec_b64 s[4:5], s[18:19]
	s_cbranch_execz .LBB1846_78
.LBB1846_77:
	v_add_co_u32_e32 v0, vcc, 0x3000, v0
	v_addc_co_u32_e32 v1, vcc, 0, v1, vcc
	flat_store_dwordx2 v[0:1], v[10:11] offset:2048
.LBB1846_78:
	s_or_b64 exec, exec, s[4:5]
                                        ; implicit-def: $vgpr71
                                        ; implicit-def: $vgpr0
                                        ; implicit-def: $vgpr1
                                        ; implicit-def: $vgpr2
                                        ; implicit-def: $vgpr3
                                        ; implicit-def: $vgpr4
                                        ; implicit-def: $vgpr5
                                        ; implicit-def: $vgpr6
                                        ; implicit-def: $vgpr7
                                        ; implicit-def: $vgpr8
                                        ; implicit-def: $vgpr10
                                        ; implicit-def: $vgpr11
                                        ; implicit-def: $vgpr12
                                        ; implicit-def: $vgpr13
                                        ; implicit-def: $vgpr31
                                        ; implicit-def: $vgpr17
                                        ; implicit-def: $vgpr18
                                        ; implicit-def: $vgpr19
.LBB1846_79:
	s_andn2_saveexec_b64 s[4:5], s[56:57]
	s_cbranch_execz .LBB1846_199
; %bb.80:
	s_movk_i32 s4, 0x200
	v_cmp_lt_u32_e32 vcc, s4, v71
	s_and_saveexec_b64 s[4:5], vcc
	s_xor_b64 s[56:57], exec, s[4:5]
	s_cbranch_execz .LBB1846_140
; %bb.81:
	s_load_dwordx2 s[4:5], s[8:9], 0x0
	v_mov_b32_e32 v9, 0
	v_and_b32_e32 v30, 0x3ff, v31
	v_lshlrev_b64 v[31:32], 1, v[8:9]
	v_mbcnt_hi_u32_b32 v19, -1, v19
	s_waitcnt lgkmcnt(0)
	s_cmp_lt_u32 s13, s5
	s_cselect_b32 s5, 14, 20
	s_add_u32 s6, s8, s5
	s_addc_u32 s7, s9, 0
	s_cmp_lt_u32 s12, s4
	s_cselect_b32 s4, 12, 18
	s_add_u32 s4, s8, s4
	global_load_ushort v14, v9, s[6:7]
	s_addc_u32 s5, s9, 0
	global_load_ushort v16, v9, s[4:5]
	v_add_co_u32_e32 v23, vcc, v0, v31
	v_addc_co_u32_e32 v24, vcc, v1, v32, vcc
	v_and_b32_e32 v20, 63, v19
	v_mov_b32_e32 v15, v9
	v_lshlrev_b32_e32 v22, 1, v20
	v_mov_b32_e32 v21, 0x7fff
	s_waitcnt vmcnt(0)
	v_mad_u32_u24 v0, v18, v14, v17
	v_add_co_u32_e32 v18, vcc, v23, v22
	v_mad_u64_u32 v[0:1], s[4:5], v0, v16, v[30:31]
	v_addc_co_u32_e32 v22, vcc, 0, v24, vcc
	v_lshlrev_b32_e32 v1, 2, v0
	v_and_b32_e32 v14, 0xffffff00, v1
	v_lshlrev_b64 v[16:17], 1, v[14:15]
	v_or_b32_e32 v1, v14, v20
	v_add_co_u32_e32 v16, vcc, v18, v16
	v_cmp_lt_u32_e64 s[10:11], v1, v71
	v_addc_co_u32_e32 v17, vcc, v22, v17, vcc
	v_mov_b32_e32 v18, 0x7fff
	s_and_saveexec_b64 s[4:5], s[10:11]
	s_cbranch_execz .LBB1846_83
; %bb.82:
	flat_load_ushort v18, v[16:17]
.LBB1846_83:
	s_or_b64 exec, exec, s[4:5]
	v_or_b32_e32 v22, 64, v1
	v_cmp_lt_u32_e64 s[6:7], v22, v71
	s_and_saveexec_b64 s[4:5], s[6:7]
	s_cbranch_execz .LBB1846_85
; %bb.84:
	flat_load_ushort v21, v[16:17] offset:128
.LBB1846_85:
	s_or_b64 exec, exec, s[4:5]
	v_or_b32_e32 v22, 0x80, v1
	v_cmp_lt_u32_e64 s[4:5], v22, v71
	v_mov_b32_e32 v35, 0x7fff
	v_mov_b32_e32 v37, 0x7fff
	s_and_saveexec_b64 s[14:15], s[4:5]
	s_cbranch_execz .LBB1846_87
; %bb.86:
	flat_load_ushort v37, v[16:17] offset:256
.LBB1846_87:
	s_or_b64 exec, exec, s[14:15]
	v_or_b32_e32 v1, 0xc0, v1
	v_cmp_lt_u32_e32 vcc, v1, v71
	s_and_saveexec_b64 s[14:15], vcc
	s_cbranch_execz .LBB1846_89
; %bb.88:
	flat_load_ushort v35, v[16:17] offset:384
.LBB1846_89:
	s_or_b64 exec, exec, s[14:15]
	v_lshlrev_b64 v[33:34], 3, v[8:9]
	v_mov_b32_e32 v22, 0
	v_add_co_u32_e64 v1, s[14:15], v4, v33
	v_addc_co_u32_e64 v4, s[14:15], v5, v34, s[14:15]
	v_lshlrev_b32_e32 v5, 3, v20
	v_add_co_u32_e64 v1, s[14:15], v1, v5
	v_addc_co_u32_e64 v8, s[14:15], 0, v4, s[14:15]
	v_lshlrev_b64 v[4:5], 3, v[14:15]
	v_mov_b32_e32 v23, v22
	v_add_co_u32_e64 v4, s[14:15], v1, v4
	v_addc_co_u32_e64 v5, s[14:15], v8, v5, s[14:15]
	v_mov_b32_e32 v24, v22
	v_mov_b32_e32 v25, v22
	v_mov_b32_e32 v26, v22
	v_mov_b32_e32 v27, v22
	v_mov_b32_e32 v28, v22
	v_mov_b32_e32 v29, v22
	s_and_saveexec_b64 s[14:15], s[10:11]
	s_cbranch_execnz .LBB1846_164
; %bb.90:
	s_or_b64 exec, exec, s[14:15]
	s_and_saveexec_b64 s[10:11], s[6:7]
	s_cbranch_execnz .LBB1846_165
.LBB1846_91:
	s_or_b64 exec, exec, s[10:11]
	s_and_saveexec_b64 s[6:7], s[4:5]
	s_cbranch_execnz .LBB1846_166
.LBB1846_92:
	s_or_b64 exec, exec, s[6:7]
	s_and_saveexec_b64 s[4:5], vcc
	s_cbranch_execz .LBB1846_94
.LBB1846_93:
	flat_load_dwordx2 v[28:29], v[4:5] offset:1536
.LBB1846_94:
	s_or_b64 exec, exec, s[4:5]
	v_mov_b32_e32 v1, 0xffff8000
	s_waitcnt vmcnt(0) lgkmcnt(0)
	v_cmp_lt_i16_e32 vcc, -1, v18
	v_cndmask_b32_e32 v4, -1, v1, vcc
	v_cmp_lt_i16_e32 vcc, -1, v21
	v_xor_b32_e32 v9, v4, v18
	v_cndmask_b32_e32 v4, -1, v1, vcc
	v_cmp_lt_i16_e32 vcc, -1, v37
	v_lshl_add_u32 v5, v30, 4, v12
	v_xor_b32_e32 v36, v4, v21
	v_cndmask_b32_e32 v4, -1, v1, vcc
	v_cmp_lt_i16_e32 vcc, -1, v35
	s_getpc_b64 s[4:5]
	s_add_u32 s4, s4, _ZN7rocprim17ROCPRIM_400000_NS16block_radix_sortI6__halfLj256ELj4ElLj1ELj1ELj8ELNS0_26block_radix_rank_algorithmE2ELNS0_18block_padding_hintE2ELNS0_4arch9wavefront6targetE1EE19radix_bits_per_passE@rel32@lo+4
	s_addc_u32 s5, s5, _ZN7rocprim17ROCPRIM_400000_NS16block_radix_sortI6__halfLj256ELj4ElLj1ELj1ELj8ELNS0_26block_radix_rank_algorithmE2ELNS0_18block_padding_hintE2ELNS0_4arch9wavefront6targetE1EE19radix_bits_per_passE@rel32@hi+12
	v_add_u32_e32 v54, 16, v5
	v_add_u32_e32 v55, 20, v5
	;; [unrolled: 1-line block ×4, first 2 shown]
	v_and_b32_e32 v5, 15, v19
	v_xor_b32_e32 v101, v4, v37
	v_cndmask_b32_e32 v4, -1, v1, vcc
	s_load_dword s62, s[4:5], 0x0
	v_cmp_eq_u32_e32 vcc, 0, v5
	v_cmp_lt_u32_e64 s[4:5], 1, v5
	v_cmp_lt_u32_e64 s[6:7], 3, v5
	;; [unrolled: 1-line block ×3, first 2 shown]
	v_and_b32_e32 v5, 16, v19
	v_cmp_eq_u32_e64 s[40:41], 0, v5
	v_and_b32_e32 v5, 0x3c0, v30
	v_min_u32_e32 v5, 0xc0, v5
	v_or_b32_e32 v5, 63, v5
	v_cmp_eq_u32_e64 s[16:17], v30, v5
	v_subrev_co_u32_e64 v5, s[22:23], 1, v19
	v_and_b32_e32 v8, 64, v19
	v_cmp_lt_i32_e64 s[24:25], v5, v8
	v_xor_b32_e32 v102, v4, v35
	v_lshlrev_b32_e32 v4, 2, v30
	v_cndmask_b32_e64 v5, v5, v19, s[24:25]
	s_movk_i32 s42, 0xf00
	v_lshlrev_b32_e32 v67, 2, v5
	v_lshrrev_b32_e32 v5, 4, v30
	v_add_u32_e32 v69, v12, v4
	v_and_or_b32 v4, v4, s42, v20
	v_and_b32_e32 v5, 60, v5
	v_lshl_add_u32 v80, v4, 1, v12
	v_mul_u32_u24_e32 v4, 6, v4
	v_add_u32_e32 v68, v12, v5
	v_and_b32_e32 v8, 3, v19
	v_add_u32_e32 v84, v80, v4
	v_lshrrev_b32_e32 v66, 6, v0
	v_cmp_lt_u32_e64 s[14:15], 31, v19
	v_cmp_gt_u32_e64 s[18:19], 4, v30
	v_cmp_lt_u32_e64 s[20:21], 63, v30
	v_cmp_eq_u32_e64 s[24:25], 0, v30
	v_mov_b32_e32 v5, 0
	v_cmp_eq_u32_e64 s[26:27], 0, v8
	v_cmp_lt_u32_e64 s[28:29], 1, v8
	v_add_u32_e32 v70, -4, v68
	v_add_u32_e32 v81, 0x80, v80
	v_add_u32_e32 v82, 0x100, v80
	;; [unrolled: 1-line block ×6, first 2 shown]
	v_sub_u32_e32 v96, v11, v10
	s_mov_b64 s[58:59], 0
	s_movk_i32 s63, 0x7fff
	s_waitcnt lgkmcnt(0)
	s_barrier
	s_branch .LBB1846_96
.LBB1846_95:                            ;   in Loop: Header=BB1846_96 Depth=1
	s_or_b64 exec, exec, s[44:45]
	s_and_b64 s[42:43], exec, s[60:61]
	s_or_b64 s[58:59], s[42:43], s[58:59]
	s_andn2_b64 exec, exec, s[58:59]
	s_cbranch_execz .LBB1846_126
.LBB1846_96:                            ; =>This Inner Loop Header: Depth=1
	v_mov_b32_e32 v100, v9
	v_min_u32_e32 v4, s62, v96
	v_mov_b32_e32 v14, v22
	v_lshlrev_b32_e64 v4, v4, -1
	v_cmp_ne_u16_e64 s[42:43], s63, v100
	v_mov_b32_e32 v15, v23
	v_mov_b32_e32 v16, v24
	;; [unrolled: 1-line block ×7, first 2 shown]
	v_not_b32_e32 v25, v4
	v_cndmask_b32_e64 v4, v1, v100, s[42:43]
	v_lshrrev_b32_sdwa v4, v10, v4 dst_sel:DWORD dst_unused:UNUSED_PAD src0_sel:DWORD src1_sel:WORD_0
	v_and_b32_e32 v22, v4, v25
	v_lshlrev_b32_e32 v4, 2, v22
	v_add_lshl_u32 v4, v4, v66, 2
	v_add_co_u32_e64 v4, s[42:43], v12, v4
	v_add_co_u32_e64 v4, s[42:43], 16, v4
	v_and_b32_e32 v8, 1, v22
	v_add_co_u32_e64 v9, s[42:43], -1, v8
	v_addc_co_u32_e64 v23, s[42:43], 0, -1, s[42:43]
	v_cmp_ne_u32_e64 s[42:43], 0, v8
	v_xor_b32_e32 v8, s43, v23
	v_xor_b32_e32 v9, s42, v9
	v_and_b32_e32 v23, exec_hi, v8
	v_and_b32_e32 v24, exec_lo, v9
	v_lshlrev_b32_e32 v9, 30, v22
	v_mov_b32_e32 v8, v5
	v_cmp_gt_i64_e64 s[42:43], 0, v[8:9]
	v_not_b32_e32 v8, v9
	v_ashrrev_i32_e32 v8, 31, v8
	v_xor_b32_e32 v9, s43, v8
	v_xor_b32_e32 v8, s42, v8
	v_and_b32_e32 v23, v23, v9
	v_and_b32_e32 v24, v24, v8
	v_lshlrev_b32_e32 v9, 29, v22
	v_mov_b32_e32 v8, v5
	v_cmp_gt_i64_e64 s[42:43], 0, v[8:9]
	v_not_b32_e32 v8, v9
	v_ashrrev_i32_e32 v8, 31, v8
	v_xor_b32_e32 v9, s43, v8
	v_xor_b32_e32 v8, s42, v8
	v_and_b32_e32 v23, v23, v9
	v_and_b32_e32 v24, v24, v8
	;; [unrolled: 9-line block ×7, first 2 shown]
	v_mbcnt_lo_u32_b32 v22, v8, 0
	v_mbcnt_hi_u32_b32 v22, v9, v22
	v_cmp_ne_u64_e64 s[42:43], 0, v[8:9]
	v_cmp_eq_u32_e64 s[44:45], 0, v22
	v_mov_b32_e32 v99, v36
	v_mov_b32_e32 v98, v101
	;; [unrolled: 1-line block ×3, first 2 shown]
	s_and_b64 s[44:45], s[42:43], s[44:45]
	ds_write_b32 v54, v5
	ds_write_b32 v55, v5
	;; [unrolled: 1-line block ×4, first 2 shown]
	s_waitcnt lgkmcnt(0)
	s_barrier
	; wave barrier
	s_and_saveexec_b64 s[42:43], s[44:45]
; %bb.97:                               ;   in Loop: Header=BB1846_96 Depth=1
	v_bcnt_u32_b32 v8, v8, 0
	v_bcnt_u32_b32 v8, v9, v8
	ds_write_b32 v4, v8
; %bb.98:                               ;   in Loop: Header=BB1846_96 Depth=1
	s_or_b64 exec, exec, s[42:43]
	v_cmp_ne_u16_e64 s[42:43], s63, v99
	v_cndmask_b32_e64 v8, v1, v99, s[42:43]
	v_lshrrev_b32_sdwa v8, v10, v8 dst_sel:DWORD dst_unused:UNUSED_PAD src0_sel:DWORD src1_sel:WORD_0
	v_and_b32_e32 v26, v8, v25
	v_lshl_add_u32 v8, v26, 2, v66
	v_lshl_add_u32 v8, v8, 2, v12
	; wave barrier
	v_add_u32_e32 v24, 16, v8
	ds_read_b32 v23, v8 offset:16
	v_and_b32_e32 v8, 1, v26
	v_add_co_u32_e64 v9, s[42:43], -1, v8
	v_addc_co_u32_e64 v27, s[42:43], 0, -1, s[42:43]
	v_cmp_ne_u32_e64 s[42:43], 0, v8
	v_xor_b32_e32 v8, s43, v27
	v_xor_b32_e32 v9, s42, v9
	v_and_b32_e32 v27, exec_hi, v8
	v_and_b32_e32 v28, exec_lo, v9
	v_lshlrev_b32_e32 v9, 30, v26
	v_mov_b32_e32 v8, v5
	v_cmp_gt_i64_e64 s[42:43], 0, v[8:9]
	v_not_b32_e32 v8, v9
	v_ashrrev_i32_e32 v8, 31, v8
	v_xor_b32_e32 v9, s43, v8
	v_xor_b32_e32 v8, s42, v8
	v_and_b32_e32 v27, v27, v9
	v_and_b32_e32 v28, v28, v8
	v_lshlrev_b32_e32 v9, 29, v26
	v_mov_b32_e32 v8, v5
	v_cmp_gt_i64_e64 s[42:43], 0, v[8:9]
	v_not_b32_e32 v8, v9
	v_ashrrev_i32_e32 v8, 31, v8
	v_xor_b32_e32 v9, s43, v8
	v_xor_b32_e32 v8, s42, v8
	v_and_b32_e32 v27, v27, v9
	v_and_b32_e32 v28, v28, v8
	;; [unrolled: 9-line block ×7, first 2 shown]
	v_mbcnt_lo_u32_b32 v26, v8, 0
	v_mbcnt_hi_u32_b32 v26, v9, v26
	v_cmp_ne_u64_e64 s[42:43], 0, v[8:9]
	v_cmp_eq_u32_e64 s[44:45], 0, v26
	s_and_b64 s[44:45], s[42:43], s[44:45]
	; wave barrier
	s_and_saveexec_b64 s[42:43], s[44:45]
	s_cbranch_execz .LBB1846_100
; %bb.99:                               ;   in Loop: Header=BB1846_96 Depth=1
	v_bcnt_u32_b32 v8, v8, 0
	v_bcnt_u32_b32 v8, v9, v8
	s_waitcnt lgkmcnt(0)
	v_add_u32_e32 v8, v23, v8
	ds_write_b32 v24, v8
.LBB1846_100:                           ;   in Loop: Header=BB1846_96 Depth=1
	s_or_b64 exec, exec, s[42:43]
	v_cmp_ne_u16_e64 s[42:43], s63, v98
	v_cndmask_b32_e64 v8, v1, v98, s[42:43]
	v_lshrrev_b32_sdwa v8, v10, v8 dst_sel:DWORD dst_unused:UNUSED_PAD src0_sel:DWORD src1_sel:WORD_0
	v_and_b32_e32 v29, v8, v25
	v_lshl_add_u32 v8, v29, 2, v66
	v_lshl_add_u32 v8, v8, 2, v12
	; wave barrier
	v_add_u32_e32 v28, 16, v8
	ds_read_b32 v27, v8 offset:16
	v_and_b32_e32 v8, 1, v29
	v_add_co_u32_e64 v9, s[42:43], -1, v8
	v_addc_co_u32_e64 v35, s[42:43], 0, -1, s[42:43]
	v_cmp_ne_u32_e64 s[42:43], 0, v8
	v_xor_b32_e32 v8, s43, v35
	v_xor_b32_e32 v9, s42, v9
	v_and_b32_e32 v35, exec_hi, v8
	v_and_b32_e32 v36, exec_lo, v9
	v_lshlrev_b32_e32 v9, 30, v29
	v_mov_b32_e32 v8, v5
	v_cmp_gt_i64_e64 s[42:43], 0, v[8:9]
	v_not_b32_e32 v8, v9
	v_ashrrev_i32_e32 v8, 31, v8
	v_xor_b32_e32 v9, s43, v8
	v_xor_b32_e32 v8, s42, v8
	v_and_b32_e32 v35, v35, v9
	v_and_b32_e32 v36, v36, v8
	v_lshlrev_b32_e32 v9, 29, v29
	v_mov_b32_e32 v8, v5
	v_cmp_gt_i64_e64 s[42:43], 0, v[8:9]
	v_not_b32_e32 v8, v9
	v_ashrrev_i32_e32 v8, 31, v8
	v_xor_b32_e32 v9, s43, v8
	v_xor_b32_e32 v8, s42, v8
	v_and_b32_e32 v35, v35, v9
	v_and_b32_e32 v36, v36, v8
	v_lshlrev_b32_e32 v9, 28, v29
	v_mov_b32_e32 v8, v5
	v_cmp_gt_i64_e64 s[42:43], 0, v[8:9]
	v_not_b32_e32 v8, v9
	v_ashrrev_i32_e32 v8, 31, v8
	v_xor_b32_e32 v9, s43, v8
	v_xor_b32_e32 v8, s42, v8
	v_and_b32_e32 v35, v35, v9
	v_and_b32_e32 v36, v36, v8
	v_lshlrev_b32_e32 v9, 27, v29
	v_mov_b32_e32 v8, v5
	v_cmp_gt_i64_e64 s[42:43], 0, v[8:9]
	v_not_b32_e32 v8, v9
	v_ashrrev_i32_e32 v8, 31, v8
	v_xor_b32_e32 v9, s43, v8
	v_xor_b32_e32 v8, s42, v8
	v_and_b32_e32 v35, v35, v9
	v_and_b32_e32 v36, v36, v8
	v_lshlrev_b32_e32 v9, 26, v29
	v_mov_b32_e32 v8, v5
	v_cmp_gt_i64_e64 s[42:43], 0, v[8:9]
	v_not_b32_e32 v8, v9
	v_ashrrev_i32_e32 v8, 31, v8
	v_xor_b32_e32 v9, s43, v8
	v_xor_b32_e32 v8, s42, v8
	v_and_b32_e32 v35, v35, v9
	v_and_b32_e32 v36, v36, v8
	v_lshlrev_b32_e32 v9, 25, v29
	v_mov_b32_e32 v8, v5
	v_cmp_gt_i64_e64 s[42:43], 0, v[8:9]
	v_not_b32_e32 v8, v9
	v_ashrrev_i32_e32 v8, 31, v8
	v_xor_b32_e32 v9, s43, v8
	v_xor_b32_e32 v8, s42, v8
	v_and_b32_e32 v35, v35, v9
	v_and_b32_e32 v36, v36, v8
	v_lshlrev_b32_e32 v9, 24, v29
	v_mov_b32_e32 v8, v5
	v_cmp_gt_i64_e64 s[42:43], 0, v[8:9]
	v_not_b32_e32 v8, v9
	v_ashrrev_i32_e32 v8, 31, v8
	v_xor_b32_e32 v9, s43, v8
	v_xor_b32_e32 v8, s42, v8
	v_and_b32_e32 v8, v36, v8
	v_and_b32_e32 v9, v35, v9
	v_mbcnt_lo_u32_b32 v29, v8, 0
	v_mbcnt_hi_u32_b32 v29, v9, v29
	v_cmp_ne_u64_e64 s[42:43], 0, v[8:9]
	v_cmp_eq_u32_e64 s[44:45], 0, v29
	s_and_b64 s[44:45], s[42:43], s[44:45]
	; wave barrier
	s_and_saveexec_b64 s[42:43], s[44:45]
	s_cbranch_execz .LBB1846_102
; %bb.101:                              ;   in Loop: Header=BB1846_96 Depth=1
	v_bcnt_u32_b32 v8, v8, 0
	v_bcnt_u32_b32 v8, v9, v8
	s_waitcnt lgkmcnt(0)
	v_add_u32_e32 v8, v27, v8
	ds_write_b32 v28, v8
.LBB1846_102:                           ;   in Loop: Header=BB1846_96 Depth=1
	s_or_b64 exec, exec, s[42:43]
	v_cmp_ne_u16_e64 s[42:43], s63, v97
	v_cndmask_b32_e64 v8, v1, v97, s[42:43]
	v_lshrrev_b32_sdwa v8, v10, v8 dst_sel:DWORD dst_unused:UNUSED_PAD src0_sel:DWORD src1_sel:WORD_0
	v_and_b32_e32 v36, v8, v25
	v_lshl_add_u32 v8, v36, 2, v66
	v_lshl_add_u32 v8, v8, 2, v12
	; wave barrier
	v_add_u32_e32 v35, 16, v8
	ds_read_b32 v25, v8 offset:16
	v_and_b32_e32 v8, 1, v36
	v_add_co_u32_e64 v9, s[42:43], -1, v8
	v_addc_co_u32_e64 v37, s[42:43], 0, -1, s[42:43]
	v_cmp_ne_u32_e64 s[42:43], 0, v8
	v_xor_b32_e32 v8, s43, v37
	v_xor_b32_e32 v9, s42, v9
	v_and_b32_e32 v37, exec_hi, v8
	v_and_b32_e32 v38, exec_lo, v9
	v_lshlrev_b32_e32 v9, 30, v36
	v_mov_b32_e32 v8, v5
	v_cmp_gt_i64_e64 s[42:43], 0, v[8:9]
	v_not_b32_e32 v8, v9
	v_ashrrev_i32_e32 v8, 31, v8
	v_xor_b32_e32 v9, s43, v8
	v_xor_b32_e32 v8, s42, v8
	v_and_b32_e32 v37, v37, v9
	v_and_b32_e32 v38, v38, v8
	v_lshlrev_b32_e32 v9, 29, v36
	v_mov_b32_e32 v8, v5
	v_cmp_gt_i64_e64 s[42:43], 0, v[8:9]
	v_not_b32_e32 v8, v9
	v_ashrrev_i32_e32 v8, 31, v8
	v_xor_b32_e32 v9, s43, v8
	v_xor_b32_e32 v8, s42, v8
	v_and_b32_e32 v37, v37, v9
	v_and_b32_e32 v38, v38, v8
	;; [unrolled: 9-line block ×7, first 2 shown]
	v_mbcnt_lo_u32_b32 v36, v8, 0
	v_mbcnt_hi_u32_b32 v36, v9, v36
	v_cmp_ne_u64_e64 s[42:43], 0, v[8:9]
	v_cmp_eq_u32_e64 s[44:45], 0, v36
	s_and_b64 s[44:45], s[42:43], s[44:45]
	; wave barrier
	s_and_saveexec_b64 s[42:43], s[44:45]
	s_cbranch_execz .LBB1846_104
; %bb.103:                              ;   in Loop: Header=BB1846_96 Depth=1
	v_bcnt_u32_b32 v8, v8, 0
	v_bcnt_u32_b32 v8, v9, v8
	s_waitcnt lgkmcnt(0)
	v_add_u32_e32 v8, v25, v8
	ds_write_b32 v35, v8
.LBB1846_104:                           ;   in Loop: Header=BB1846_96 Depth=1
	s_or_b64 exec, exec, s[42:43]
	; wave barrier
	s_waitcnt lgkmcnt(0)
	s_barrier
	ds_read_b32 v37, v54
	ds_read_b32 v9, v55
	;; [unrolled: 1-line block ×4, first 2 shown]
	s_waitcnt lgkmcnt(2)
	v_add_u32_e32 v39, v9, v37
	s_waitcnt lgkmcnt(0)
	v_add3_u32 v38, v39, v8, v38
	s_nop 1
	v_mov_b32_dpp v39, v38 row_shr:1 row_mask:0xf bank_mask:0xf
	v_cndmask_b32_e64 v39, v39, 0, vcc
	v_add_u32_e32 v38, v39, v38
	s_nop 1
	v_mov_b32_dpp v39, v38 row_shr:2 row_mask:0xf bank_mask:0xf
	v_cndmask_b32_e64 v39, 0, v39, s[4:5]
	v_add_u32_e32 v38, v38, v39
	s_nop 1
	v_mov_b32_dpp v39, v38 row_shr:4 row_mask:0xf bank_mask:0xf
	v_cndmask_b32_e64 v39, 0, v39, s[6:7]
	;; [unrolled: 4-line block ×3, first 2 shown]
	v_add_u32_e32 v38, v38, v39
	s_nop 1
	v_mov_b32_dpp v39, v38 row_bcast:15 row_mask:0xf bank_mask:0xf
	v_cndmask_b32_e64 v39, v39, 0, s[40:41]
	v_add_u32_e32 v38, v38, v39
	s_nop 1
	v_mov_b32_dpp v39, v38 row_bcast:31 row_mask:0xf bank_mask:0xf
	v_cndmask_b32_e64 v39, 0, v39, s[14:15]
	v_add_u32_e32 v38, v38, v39
	s_and_saveexec_b64 s[42:43], s[16:17]
; %bb.105:                              ;   in Loop: Header=BB1846_96 Depth=1
	ds_write_b32 v68, v38
; %bb.106:                              ;   in Loop: Header=BB1846_96 Depth=1
	s_or_b64 exec, exec, s[42:43]
	s_waitcnt lgkmcnt(0)
	s_barrier
	s_and_saveexec_b64 s[42:43], s[18:19]
	s_cbranch_execz .LBB1846_108
; %bb.107:                              ;   in Loop: Header=BB1846_96 Depth=1
	ds_read_b32 v39, v69
	s_waitcnt lgkmcnt(0)
	s_nop 0
	v_mov_b32_dpp v48, v39 row_shr:1 row_mask:0xf bank_mask:0xf
	v_cndmask_b32_e64 v48, v48, 0, s[26:27]
	v_add_u32_e32 v39, v48, v39
	s_nop 1
	v_mov_b32_dpp v48, v39 row_shr:2 row_mask:0xf bank_mask:0xf
	v_cndmask_b32_e64 v48, 0, v48, s[28:29]
	v_add_u32_e32 v39, v39, v48
	ds_write_b32 v69, v39
.LBB1846_108:                           ;   in Loop: Header=BB1846_96 Depth=1
	s_or_b64 exec, exec, s[42:43]
	v_mov_b32_e32 v39, 0
	s_waitcnt lgkmcnt(0)
	s_barrier
	s_and_saveexec_b64 s[42:43], s[20:21]
; %bb.109:                              ;   in Loop: Header=BB1846_96 Depth=1
	ds_read_b32 v39, v70
; %bb.110:                              ;   in Loop: Header=BB1846_96 Depth=1
	s_or_b64 exec, exec, s[42:43]
	s_waitcnt lgkmcnt(0)
	v_add_u32_e32 v38, v39, v38
	ds_bpermute_b32 v38, v67, v38
	v_add_u32_e32 v10, 8, v10
	v_cmp_lt_u32_e64 s[42:43], v10, v11
	s_mov_b64 s[60:61], -1
                                        ; implicit-def: $vgpr101
                                        ; implicit-def: $vgpr102
	s_waitcnt lgkmcnt(0)
	v_cndmask_b32_e64 v38, v38, v39, s[22:23]
	v_cndmask_b32_e64 v38, v38, 0, s[24:25]
	v_add_u32_e32 v37, v38, v37
	v_add_u32_e32 v9, v37, v9
	;; [unrolled: 1-line block ×3, first 2 shown]
	ds_write_b32 v54, v38
	ds_write_b32 v55, v37
	;; [unrolled: 1-line block ×4, first 2 shown]
	s_waitcnt lgkmcnt(0)
	s_barrier
	ds_read_b32 v4, v4
	ds_read_b32 v8, v24
	;; [unrolled: 1-line block ×4, first 2 shown]
	v_mov_b32_e32 v38, v5
	s_waitcnt lgkmcnt(3)
	v_add_u32_e32 v4, v4, v22
	s_waitcnt lgkmcnt(2)
	v_add3_u32 v37, v26, v23, v8
	v_lshlrev_b64 v[22:23], 1, v[4:5]
	s_waitcnt lgkmcnt(1)
	v_add3_u32 v35, v29, v27, v9
	v_add_co_u32_e64 v48, s[44:45], v12, v22
	v_addc_co_u32_e64 v49, s[44:45], v13, v23, s[44:45]
	v_lshlrev_b64 v[22:23], 1, v[37:38]
	s_waitcnt lgkmcnt(0)
	v_add3_u32 v8, v36, v25, v24
	v_add_co_u32_e64 v38, s[44:45], v12, v22
	v_mov_b32_e32 v36, v5
	v_addc_co_u32_e64 v39, s[44:45], v13, v23, s[44:45]
	v_lshlrev_b64 v[22:23], 1, v[35:36]
	v_mov_b32_e32 v9, v5
	v_add_co_u32_e64 v50, s[44:45], v12, v22
	v_addc_co_u32_e64 v51, s[44:45], v13, v23, s[44:45]
	v_lshlrev_b64 v[22:23], 1, v[8:9]
	v_add_co_u32_e64 v52, s[44:45], v12, v22
	v_addc_co_u32_e64 v53, s[44:45], v13, v23, s[44:45]
                                        ; implicit-def: $vgpr22_vgpr23_vgpr24_vgpr25_vgpr26_vgpr27_vgpr28_vgpr29
                                        ; implicit-def: $vgpr9
                                        ; implicit-def: $vgpr36
	s_and_saveexec_b64 s[44:45], s[42:43]
	s_cbranch_execz .LBB1846_95
; %bb.111:                              ;   in Loop: Header=BB1846_96 Depth=1
	v_mad_u64_u32 v[22:23], s[42:43], v4, 6, v[48:49]
	v_mad_u64_u32 v[23:24], s[42:43], v37, 6, v[38:39]
	;; [unrolled: 1-line block ×4, first 2 shown]
	s_barrier
	ds_write_b16 v48, v100
	ds_write_b16 v38, v99
	;; [unrolled: 1-line block ×4, first 2 shown]
	s_waitcnt lgkmcnt(0)
	s_barrier
	ds_read_u16 v9, v80
	ds_read_u16 v36, v81
	;; [unrolled: 1-line block ×4, first 2 shown]
	s_waitcnt lgkmcnt(0)
	s_barrier
	ds_write_b64 v22, v[14:15]
	ds_write_b64 v23, v[16:17]
	;; [unrolled: 1-line block ×4, first 2 shown]
	s_waitcnt lgkmcnt(0)
	s_barrier
	ds_read_b64 v[22:23], v84
	ds_read_b64 v[24:25], v85
	;; [unrolled: 1-line block ×4, first 2 shown]
	v_add_u32_e32 v96, -8, v96
	s_xor_b64 s[60:61], exec, -1
	s_waitcnt lgkmcnt(0)
	s_barrier
	s_branch .LBB1846_95
.LBB1846_112:
	flat_load_dwordx2 v[34:35], v[4:5]
	s_or_b64 exec, exec, s[22:23]
                                        ; implicit-def: $vgpr36_vgpr37
	s_and_saveexec_b64 s[22:23], s[4:5]
	s_cbranch_execz .LBB1846_20
.LBB1846_113:
	flat_load_dwordx2 v[36:37], v[4:5] offset:512
	s_or_b64 exec, exec, s[22:23]
                                        ; implicit-def: $vgpr38_vgpr39
	s_and_saveexec_b64 s[4:5], s[6:7]
	s_cbranch_execz .LBB1846_21
.LBB1846_114:
	flat_load_dwordx2 v[38:39], v[4:5] offset:1024
	s_or_b64 exec, exec, s[4:5]
                                        ; implicit-def: $vgpr48_vgpr49
	s_and_saveexec_b64 s[4:5], s[10:11]
	s_cbranch_execz .LBB1846_22
.LBB1846_115:
	flat_load_dwordx2 v[48:49], v[4:5] offset:1536
	s_or_b64 exec, exec, s[4:5]
                                        ; implicit-def: $vgpr69_vgpr70
	s_and_saveexec_b64 s[4:5], s[20:21]
	s_cbranch_execz .LBB1846_23
.LBB1846_116:
	flat_load_dwordx2 v[69:70], v[4:5] offset:2048
	s_or_b64 exec, exec, s[4:5]
                                        ; implicit-def: $vgpr81_vgpr82
	s_and_saveexec_b64 s[4:5], s[14:15]
	s_cbranch_execz .LBB1846_24
.LBB1846_117:
	flat_load_dwordx2 v[81:82], v[4:5] offset:2560
	s_or_b64 exec, exec, s[4:5]
                                        ; implicit-def: $vgpr96_vgpr97
	s_and_saveexec_b64 s[4:5], s[16:17]
	s_cbranch_execz .LBB1846_25
.LBB1846_118:
	flat_load_dwordx2 v[96:97], v[4:5] offset:3072
	s_or_b64 exec, exec, s[4:5]
                                        ; implicit-def: $vgpr112_vgpr113
	s_and_saveexec_b64 s[4:5], s[18:19]
	s_cbranch_execnz .LBB1846_26
	s_branch .LBB1846_27
.LBB1846_119:
	flat_store_dwordx2 v[0:1], v[20:21]
	s_or_b64 exec, exec, s[22:23]
	s_and_saveexec_b64 s[22:23], s[4:5]
	s_cbranch_execz .LBB1846_71
.LBB1846_120:
	flat_store_dwordx2 v[0:1], v[22:23] offset:2048
	s_or_b64 exec, exec, s[22:23]
	s_and_saveexec_b64 s[4:5], s[6:7]
	s_cbranch_execz .LBB1846_72
.LBB1846_121:
	v_add_co_u32_e32 v2, vcc, 0x1000, v0
	v_addc_co_u32_e32 v3, vcc, 0, v1, vcc
	flat_store_dwordx2 v[2:3], v[16:17]
	s_or_b64 exec, exec, s[4:5]
	s_and_saveexec_b64 s[4:5], s[10:11]
	s_cbranch_execz .LBB1846_73
.LBB1846_122:
	v_add_co_u32_e32 v2, vcc, 0x1000, v0
	v_addc_co_u32_e32 v3, vcc, 0, v1, vcc
	flat_store_dwordx2 v[2:3], v[18:19] offset:2048
	s_or_b64 exec, exec, s[4:5]
	s_and_saveexec_b64 s[4:5], s[20:21]
	s_cbranch_execz .LBB1846_74
.LBB1846_123:
	v_add_co_u32_e32 v2, vcc, 0x2000, v0
	v_addc_co_u32_e32 v3, vcc, 0, v1, vcc
	flat_store_dwordx2 v[2:3], v[12:13]
	s_or_b64 exec, exec, s[4:5]
	s_and_saveexec_b64 s[4:5], s[14:15]
	s_cbranch_execz .LBB1846_75
.LBB1846_124:
	v_add_co_u32_e32 v2, vcc, 0x2000, v0
	v_addc_co_u32_e32 v3, vcc, 0, v1, vcc
	flat_store_dwordx2 v[2:3], v[14:15] offset:2048
	s_or_b64 exec, exec, s[4:5]
	s_and_saveexec_b64 s[4:5], s[16:17]
	s_cbranch_execz .LBB1846_76
.LBB1846_125:
	v_add_co_u32_e32 v2, vcc, 0x3000, v0
	v_addc_co_u32_e32 v3, vcc, 0, v1, vcc
	flat_store_dwordx2 v[2:3], v[8:9]
	s_or_b64 exec, exec, s[4:5]
	s_and_saveexec_b64 s[4:5], s[18:19]
	s_cbranch_execnz .LBB1846_77
	s_branch .LBB1846_78
.LBB1846_126:
	s_or_b64 exec, exec, s[58:59]
	v_mad_u64_u32 v[9:10], s[4:5], v4, 6, v[48:49]
	v_mad_u64_u32 v[10:11], s[4:5], v37, 6, v[38:39]
	v_lshl_add_u32 v1, v30, 1, v12
	v_mad_u64_u32 v[11:12], s[4:5], v35, 6, v[50:51]
	v_mul_u32_u24_e32 v4, 6, v30
	s_barrier
	ds_write_b16 v48, v100
	ds_write_b16 v38, v99
	;; [unrolled: 1-line block ×4, first 2 shown]
	s_waitcnt lgkmcnt(0)
	s_barrier
	ds_read_u16 v24, v1
	ds_read_u16 v23, v1 offset:512
	ds_read_u16 v22, v1 offset:1024
	;; [unrolled: 1-line block ×3, first 2 shown]
	v_mad_u64_u32 v[12:13], s[4:5], v8, 6, v[52:53]
	v_add_u32_e32 v1, v1, v4
	s_waitcnt lgkmcnt(0)
	s_barrier
	ds_write_b64 v9, v[14:15]
	ds_write_b64 v10, v[16:17]
	;; [unrolled: 1-line block ×4, first 2 shown]
	s_waitcnt lgkmcnt(0)
	s_barrier
	ds_read2st64_b64 v[12:15], v1 offset1:4
	ds_read2st64_b64 v[8:11], v1 offset0:8 offset1:12
	v_add_co_u32_e32 v4, vcc, v2, v31
	v_mov_b32_e32 v1, 0
	v_addc_co_u32_e32 v16, vcc, v3, v32, vcc
	v_lshlrev_b64 v[2:3], 1, v[0:1]
	s_waitcnt lgkmcnt(0)
	v_add_co_u32_e32 v2, vcc, v4, v2
	v_addc_co_u32_e32 v3, vcc, v16, v3, vcc
	v_cmp_lt_u32_e32 vcc, v0, v71
	s_barrier
	s_and_saveexec_b64 s[6:7], vcc
	s_cbranch_execz .LBB1846_128
; %bb.127:
	v_mov_b32_e32 v4, 0xffff8000
	v_cmp_lt_i16_e64 s[4:5], -1, v24
	v_cndmask_b32_e64 v4, v4, -1, s[4:5]
	v_xor_b32_e32 v4, v4, v24
	flat_store_short v[2:3], v4
.LBB1846_128:
	s_or_b64 exec, exec, s[6:7]
	v_add_u32_e32 v4, 0x100, v0
	v_cmp_lt_u32_e64 s[4:5], v4, v71
	s_and_saveexec_b64 s[10:11], s[4:5]
	s_cbranch_execz .LBB1846_130
; %bb.129:
	v_mov_b32_e32 v4, 0xffff8000
	v_cmp_lt_i16_e64 s[6:7], -1, v23
	v_cndmask_b32_e64 v4, v4, -1, s[6:7]
	v_xor_b32_e32 v4, v4, v23
	flat_store_short v[2:3], v4 offset:512
.LBB1846_130:
	s_or_b64 exec, exec, s[10:11]
	v_add_u32_e32 v4, 0x200, v0
	v_cmp_lt_u32_e64 s[6:7], v4, v71
	s_and_saveexec_b64 s[14:15], s[6:7]
	s_cbranch_execz .LBB1846_132
; %bb.131:
	v_mov_b32_e32 v4, 0xffff8000
	v_cmp_lt_i16_e64 s[10:11], -1, v22
	v_cndmask_b32_e64 v4, v4, -1, s[10:11]
	v_xor_b32_e32 v4, v4, v22
	flat_store_short v[2:3], v4 offset:1024
.LBB1846_132:
	;; [unrolled: 12-line block ×3, first 2 shown]
	s_or_b64 exec, exec, s[16:17]
	v_add_co_u32_e64 v2, s[14:15], v6, v33
	v_lshlrev_b64 v[0:1], 3, v[0:1]
	v_addc_co_u32_e64 v3, s[14:15], v7, v34, s[14:15]
	v_add_co_u32_e64 v0, s[14:15], v2, v0
	v_addc_co_u32_e64 v1, s[14:15], v3, v1, s[14:15]
	s_and_saveexec_b64 s[14:15], vcc
	s_cbranch_execnz .LBB1846_167
; %bb.135:
	s_or_b64 exec, exec, s[14:15]
	s_and_saveexec_b64 s[14:15], s[4:5]
	s_cbranch_execnz .LBB1846_168
.LBB1846_136:
	s_or_b64 exec, exec, s[14:15]
	s_and_saveexec_b64 s[4:5], s[6:7]
	s_cbranch_execnz .LBB1846_169
.LBB1846_137:
	s_or_b64 exec, exec, s[4:5]
	s_and_saveexec_b64 s[4:5], s[10:11]
	s_cbranch_execz .LBB1846_139
.LBB1846_138:
	v_add_co_u32_e32 v0, vcc, 0x1000, v0
	v_addc_co_u32_e32 v1, vcc, 0, v1, vcc
	flat_store_dwordx2 v[0:1], v[10:11] offset:2048
.LBB1846_139:
	s_or_b64 exec, exec, s[4:5]
                                        ; implicit-def: $vgpr71
                                        ; implicit-def: $vgpr0
                                        ; implicit-def: $vgpr1
                                        ; implicit-def: $vgpr2
                                        ; implicit-def: $vgpr3
                                        ; implicit-def: $vgpr4
                                        ; implicit-def: $vgpr5
                                        ; implicit-def: $vgpr6
                                        ; implicit-def: $vgpr7
                                        ; implicit-def: $vgpr8
                                        ; implicit-def: $vgpr10
                                        ; implicit-def: $vgpr11
                                        ; implicit-def: $vgpr12
                                        ; implicit-def: $vgpr13
                                        ; implicit-def: $vgpr31
                                        ; implicit-def: $vgpr17
                                        ; implicit-def: $vgpr18
                                        ; implicit-def: $vgpr19
.LBB1846_140:
	s_andn2_saveexec_b64 s[4:5], s[56:57]
	s_cbranch_execz .LBB1846_199
; %bb.141:
	s_load_dwordx2 s[4:5], s[8:9], 0x0
	v_mov_b32_e32 v9, 0
	s_waitcnt lgkmcnt(0)
	s_cmp_lt_u32 s13, s5
	s_cselect_b32 s5, 14, 20
	s_add_u32 s6, s8, s5
	s_addc_u32 s7, s9, 0
	s_cmp_lt_u32 s12, s4
	s_cselect_b32 s4, 12, 18
	s_add_u32 s4, s8, s4
	global_load_ushort v14, v9, s[6:7]
	s_addc_u32 s5, s9, 0
	global_load_ushort v15, v9, s[4:5]
	s_waitcnt vmcnt(0)
	v_mad_u32_u24 v14, v18, v14, v17
	v_and_b32_e32 v18, 0x3ff, v31
	v_mad_u64_u32 v[14:15], s[4:5], v14, v15, v[18:19]
	s_movk_i32 s4, 0x100
	v_lshlrev_b64 v[16:17], 1, v[8:9]
	v_cmp_lt_u32_e32 vcc, s4, v71
	s_and_saveexec_b64 s[4:5], vcc
	s_xor_b64 s[42:43], exec, s[4:5]
	s_cbranch_execz .LBB1846_179
; %bb.142:
	v_mbcnt_hi_u32_b32 v26, -1, v19
	v_add_co_u32_e32 v0, vcc, v0, v16
	v_and_b32_e32 v25, 63, v26
	v_lshlrev_b32_e32 v15, 1, v14
	v_addc_co_u32_e32 v1, vcc, v1, v17, vcc
	v_and_b32_e32 v19, 0xffffff80, v15
	v_lshlrev_b32_e32 v15, 1, v25
	v_add_co_u32_e32 v15, vcc, v0, v15
	v_mov_b32_e32 v20, v9
	v_addc_co_u32_e32 v21, vcc, 0, v1, vcc
	v_lshlrev_b64 v[0:1], 1, v[19:20]
	v_mov_b32_e32 v27, 0x7fff
	v_add_co_u32_e32 v0, vcc, v15, v0
	v_addc_co_u32_e32 v1, vcc, v21, v1, vcc
	v_or_b32_e32 v15, v25, v19
	v_cmp_lt_u32_e32 vcc, v15, v71
	v_mov_b32_e32 v28, 0x7fff
	s_and_saveexec_b64 s[4:5], vcc
	s_cbranch_execz .LBB1846_144
; %bb.143:
	flat_load_ushort v28, v[0:1]
.LBB1846_144:
	s_or_b64 exec, exec, s[4:5]
	v_or_b32_e32 v15, 64, v15
	v_cmp_lt_u32_e64 s[4:5], v15, v71
	s_and_saveexec_b64 s[6:7], s[4:5]
	s_cbranch_execz .LBB1846_146
; %bb.145:
	flat_load_ushort v27, v[0:1] offset:128
.LBB1846_146:
	s_or_b64 exec, exec, s[6:7]
	v_lshlrev_b64 v[0:1], 3, v[8:9]
	v_lshlrev_b32_e32 v8, 3, v25
	v_add_co_u32_e64 v4, s[6:7], v4, v0
	v_addc_co_u32_e64 v5, s[6:7], v5, v1, s[6:7]
	v_add_co_u32_e64 v8, s[6:7], v4, v8
	v_addc_co_u32_e64 v9, s[6:7], 0, v5, s[6:7]
	v_lshlrev_b64 v[4:5], 3, v[19:20]
	v_mov_b32_e32 v23, 0
	v_mov_b32_e32 v21, 0
	v_add_co_u32_e64 v4, s[6:7], v8, v4
	v_mov_b32_e32 v24, 0
	v_mov_b32_e32 v22, 0
	v_addc_co_u32_e64 v5, s[6:7], v9, v5, s[6:7]
	s_and_saveexec_b64 s[6:7], vcc
	s_cbranch_execz .LBB1846_148
; %bb.147:
	flat_load_dwordx2 v[21:22], v[4:5]
.LBB1846_148:
	s_or_b64 exec, exec, s[6:7]
	s_and_saveexec_b64 s[6:7], s[4:5]
	s_cbranch_execz .LBB1846_150
; %bb.149:
	flat_load_dwordx2 v[23:24], v[4:5] offset:512
.LBB1846_150:
	s_or_b64 exec, exec, s[6:7]
	v_mov_b32_e32 v15, 0xffff8000
	s_waitcnt vmcnt(0) lgkmcnt(0)
	v_cmp_lt_i16_e32 vcc, -1, v28
	v_cndmask_b32_e32 v4, -1, v15, vcc
	v_cmp_lt_i16_e32 vcc, -1, v27
	v_xor_b32_e32 v55, v4, v28
	v_cndmask_b32_e32 v4, -1, v15, vcc
	v_xor_b32_e32 v64, v4, v27
	v_lshl_add_u32 v4, v18, 4, v12
	s_getpc_b64 s[4:5]
	s_add_u32 s4, s4, _ZN7rocprim17ROCPRIM_400000_NS16block_radix_sortI6__halfLj256ELj2ElLj1ELj1ELj8ELNS0_26block_radix_rank_algorithmE2ELNS0_18block_padding_hintE2ELNS0_4arch9wavefront6targetE1EE19radix_bits_per_passE@rel32@lo+4
	s_addc_u32 s5, s5, _ZN7rocprim17ROCPRIM_400000_NS16block_radix_sortI6__halfLj256ELj2ElLj1ELj1ELj8ELNS0_26block_radix_rank_algorithmE2ELNS0_18block_padding_hintE2ELNS0_4arch9wavefront6targetE1EE19radix_bits_per_passE@rel32@hi+12
	v_add_u32_e32 v31, 16, v4
	v_add_u32_e32 v32, 20, v4
	;; [unrolled: 1-line block ×4, first 2 shown]
	v_and_b32_e32 v4, 15, v26
	s_load_dword s58, s[4:5], 0x0
	v_cmp_eq_u32_e32 vcc, 0, v4
	v_cmp_lt_u32_e64 s[4:5], 1, v4
	v_cmp_lt_u32_e64 s[6:7], 3, v4
	;; [unrolled: 1-line block ×3, first 2 shown]
	v_and_b32_e32 v4, 16, v26
	v_cmp_eq_u32_e64 s[10:11], 0, v4
	v_and_b32_e32 v4, 0x3c0, v18
	v_min_u32_e32 v4, 0xc0, v4
	v_or_b32_e32 v4, 63, v4
	v_cmp_eq_u32_e64 s[14:15], v18, v4
	v_subrev_co_u32_e64 v4, s[20:21], 1, v26
	v_and_b32_e32 v5, 64, v26
	v_cmp_lt_i32_e64 s[22:23], v4, v5
	v_cndmask_b32_e64 v4, v4, v26, s[22:23]
	v_lshlrev_b32_e32 v36, 2, v4
	v_lshrrev_b32_e32 v4, 4, v18
	v_and_b32_e32 v4, 60, v4
	v_add_u32_e32 v37, v12, v4
	v_and_b32_e32 v4, 3, v26
	v_cmp_eq_u32_e64 s[24:25], 0, v4
	v_cmp_lt_u32_e64 s[26:27], 1, v4
	v_lshlrev_b32_e32 v4, 1, v18
	s_movk_i32 s28, 0x780
	v_and_or_b32 v4, v4, s28, v25
	v_lshl_add_u32 v48, v4, 1, v12
	v_mul_u32_u24_e32 v4, 6, v4
	v_add_u32_e32 v50, v48, v4
	v_lshrrev_b32_e32 v35, 6, v14
	v_cmp_lt_u32_e64 s[12:13], 31, v26
	v_cmp_gt_u32_e64 s[16:17], 4, v18
	v_cmp_lt_u32_e64 s[18:19], 63, v18
	v_cmp_eq_u32_e64 s[22:23], 0, v18
	v_mov_b32_e32 v5, 0
	v_lshl_add_u32 v38, v18, 2, v12
	v_add_u32_e32 v39, -4, v37
	v_add_u32_e32 v49, 0x80, v48
	v_add_u32_e32 v51, 0x200, v50
	v_sub_u32_e32 v52, v11, v10
	s_mov_b64 s[44:45], 0
	s_movk_i32 s59, 0x7fff
	s_waitcnt lgkmcnt(0)
	s_barrier
	s_branch .LBB1846_152
.LBB1846_151:                           ;   in Loop: Header=BB1846_152 Depth=1
	s_or_b64 exec, exec, s[40:41]
	s_and_b64 s[28:29], exec, s[56:57]
	s_or_b64 s[44:45], s[28:29], s[44:45]
	s_andn2_b64 exec, exec, s[44:45]
	s_cbranch_execz .LBB1846_170
.LBB1846_152:                           ; =>This Inner Loop Header: Depth=1
	v_mov_b32_e32 v54, v55
	v_min_u32_e32 v4, s58, v52
	v_mov_b32_e32 v8, v23
	v_lshlrev_b32_e64 v4, v4, -1
	v_cmp_ne_u16_e64 s[28:29], s59, v54
	v_mov_b32_e32 v9, v24
	v_not_b32_e32 v24, v4
	v_cndmask_b32_e64 v4, v15, v54, s[28:29]
	v_lshrrev_b32_sdwa v4, v10, v4 dst_sel:DWORD dst_unused:UNUSED_PAD src0_sel:DWORD src1_sel:WORD_0
	v_and_b32_e32 v23, v4, v24
	v_lshlrev_b32_e32 v4, 2, v23
	v_add_lshl_u32 v4, v4, v35, 2
	v_mov_b32_e32 v19, v21
	v_add_co_u32_e64 v4, s[28:29], v12, v4
	v_mov_b32_e32 v20, v22
	v_add_co_u32_e64 v4, s[28:29], 16, v4
	v_and_b32_e32 v21, 1, v23
	v_add_co_u32_e64 v22, s[28:29], -1, v21
	v_addc_co_u32_e64 v25, s[28:29], 0, -1, s[28:29]
	v_cmp_ne_u32_e64 s[28:29], 0, v21
	v_xor_b32_e32 v21, s29, v25
	v_xor_b32_e32 v22, s28, v22
	v_and_b32_e32 v25, exec_hi, v21
	v_and_b32_e32 v26, exec_lo, v22
	v_lshlrev_b32_e32 v22, 30, v23
	v_mov_b32_e32 v21, v5
	v_cmp_gt_i64_e64 s[28:29], 0, v[21:22]
	v_not_b32_e32 v21, v22
	v_ashrrev_i32_e32 v21, 31, v21
	v_xor_b32_e32 v22, s29, v21
	v_xor_b32_e32 v21, s28, v21
	v_and_b32_e32 v25, v25, v22
	v_and_b32_e32 v26, v26, v21
	v_lshlrev_b32_e32 v22, 29, v23
	v_mov_b32_e32 v21, v5
	v_cmp_gt_i64_e64 s[28:29], 0, v[21:22]
	v_not_b32_e32 v21, v22
	v_ashrrev_i32_e32 v21, 31, v21
	v_xor_b32_e32 v22, s29, v21
	v_xor_b32_e32 v21, s28, v21
	v_and_b32_e32 v25, v25, v22
	v_and_b32_e32 v26, v26, v21
	;; [unrolled: 9-line block ×7, first 2 shown]
	v_mbcnt_lo_u32_b32 v23, v21, 0
	v_mbcnt_hi_u32_b32 v23, v22, v23
	v_cmp_ne_u64_e64 s[28:29], 0, v[21:22]
	v_cmp_eq_u32_e64 s[40:41], 0, v23
	v_mov_b32_e32 v53, v64
	s_and_b64 s[40:41], s[28:29], s[40:41]
	ds_write_b32 v31, v5
	ds_write_b32 v32, v5
	;; [unrolled: 1-line block ×4, first 2 shown]
	s_waitcnt lgkmcnt(0)
	s_barrier
	; wave barrier
	s_and_saveexec_b64 s[28:29], s[40:41]
; %bb.153:                              ;   in Loop: Header=BB1846_152 Depth=1
	v_bcnt_u32_b32 v21, v21, 0
	v_bcnt_u32_b32 v21, v22, v21
	ds_write_b32 v4, v21
; %bb.154:                              ;   in Loop: Header=BB1846_152 Depth=1
	s_or_b64 exec, exec, s[28:29]
	v_cmp_ne_u16_e64 s[28:29], s59, v53
	v_cndmask_b32_e64 v21, v15, v53, s[28:29]
	v_lshrrev_b32_sdwa v21, v10, v21 dst_sel:DWORD dst_unused:UNUSED_PAD src0_sel:DWORD src1_sel:WORD_0
	v_and_b32_e32 v26, v21, v24
	v_lshl_add_u32 v21, v26, 2, v35
	v_lshl_add_u32 v21, v21, 2, v12
	; wave barrier
	v_add_u32_e32 v25, 16, v21
	ds_read_b32 v24, v21 offset:16
	v_and_b32_e32 v21, 1, v26
	v_add_co_u32_e64 v22, s[28:29], -1, v21
	v_addc_co_u32_e64 v27, s[28:29], 0, -1, s[28:29]
	v_cmp_ne_u32_e64 s[28:29], 0, v21
	v_xor_b32_e32 v21, s29, v27
	v_xor_b32_e32 v22, s28, v22
	v_and_b32_e32 v27, exec_hi, v21
	v_and_b32_e32 v28, exec_lo, v22
	v_lshlrev_b32_e32 v22, 30, v26
	v_mov_b32_e32 v21, v5
	v_cmp_gt_i64_e64 s[28:29], 0, v[21:22]
	v_not_b32_e32 v21, v22
	v_ashrrev_i32_e32 v21, 31, v21
	v_xor_b32_e32 v22, s29, v21
	v_xor_b32_e32 v21, s28, v21
	v_and_b32_e32 v27, v27, v22
	v_and_b32_e32 v28, v28, v21
	v_lshlrev_b32_e32 v22, 29, v26
	v_mov_b32_e32 v21, v5
	v_cmp_gt_i64_e64 s[28:29], 0, v[21:22]
	v_not_b32_e32 v21, v22
	v_ashrrev_i32_e32 v21, 31, v21
	v_xor_b32_e32 v22, s29, v21
	v_xor_b32_e32 v21, s28, v21
	v_and_b32_e32 v27, v27, v22
	v_and_b32_e32 v28, v28, v21
	;; [unrolled: 9-line block ×7, first 2 shown]
	v_mbcnt_lo_u32_b32 v26, v21, 0
	v_mbcnt_hi_u32_b32 v26, v22, v26
	v_cmp_ne_u64_e64 s[28:29], 0, v[21:22]
	v_cmp_eq_u32_e64 s[40:41], 0, v26
	s_and_b64 s[40:41], s[28:29], s[40:41]
	; wave barrier
	s_and_saveexec_b64 s[28:29], s[40:41]
	s_cbranch_execz .LBB1846_156
; %bb.155:                              ;   in Loop: Header=BB1846_152 Depth=1
	v_bcnt_u32_b32 v21, v21, 0
	v_bcnt_u32_b32 v21, v22, v21
	s_waitcnt lgkmcnt(0)
	v_add_u32_e32 v21, v24, v21
	ds_write_b32 v25, v21
.LBB1846_156:                           ;   in Loop: Header=BB1846_152 Depth=1
	s_or_b64 exec, exec, s[28:29]
	; wave barrier
	s_waitcnt lgkmcnt(0)
	s_barrier
	ds_read_b32 v27, v31
	ds_read_b32 v22, v32
	;; [unrolled: 1-line block ×4, first 2 shown]
	s_waitcnt lgkmcnt(2)
	v_add_u32_e32 v29, v22, v27
	s_waitcnt lgkmcnt(0)
	v_add3_u32 v28, v29, v21, v28
	s_nop 1
	v_mov_b32_dpp v29, v28 row_shr:1 row_mask:0xf bank_mask:0xf
	v_cndmask_b32_e64 v29, v29, 0, vcc
	v_add_u32_e32 v28, v29, v28
	s_nop 1
	v_mov_b32_dpp v29, v28 row_shr:2 row_mask:0xf bank_mask:0xf
	v_cndmask_b32_e64 v29, 0, v29, s[4:5]
	v_add_u32_e32 v28, v28, v29
	s_nop 1
	v_mov_b32_dpp v29, v28 row_shr:4 row_mask:0xf bank_mask:0xf
	v_cndmask_b32_e64 v29, 0, v29, s[6:7]
	;; [unrolled: 4-line block ×3, first 2 shown]
	v_add_u32_e32 v28, v28, v29
	s_nop 1
	v_mov_b32_dpp v29, v28 row_bcast:15 row_mask:0xf bank_mask:0xf
	v_cndmask_b32_e64 v29, v29, 0, s[10:11]
	v_add_u32_e32 v28, v28, v29
	s_nop 1
	v_mov_b32_dpp v29, v28 row_bcast:31 row_mask:0xf bank_mask:0xf
	v_cndmask_b32_e64 v29, 0, v29, s[12:13]
	v_add_u32_e32 v28, v28, v29
	s_and_saveexec_b64 s[28:29], s[14:15]
; %bb.157:                              ;   in Loop: Header=BB1846_152 Depth=1
	ds_write_b32 v37, v28
; %bb.158:                              ;   in Loop: Header=BB1846_152 Depth=1
	s_or_b64 exec, exec, s[28:29]
	s_waitcnt lgkmcnt(0)
	s_barrier
	s_and_saveexec_b64 s[28:29], s[16:17]
	s_cbranch_execz .LBB1846_160
; %bb.159:                              ;   in Loop: Header=BB1846_152 Depth=1
	ds_read_b32 v29, v38
	s_waitcnt lgkmcnt(0)
	s_nop 0
	v_mov_b32_dpp v30, v29 row_shr:1 row_mask:0xf bank_mask:0xf
	v_cndmask_b32_e64 v30, v30, 0, s[24:25]
	v_add_u32_e32 v29, v30, v29
	s_nop 1
	v_mov_b32_dpp v30, v29 row_shr:2 row_mask:0xf bank_mask:0xf
	v_cndmask_b32_e64 v30, 0, v30, s[26:27]
	v_add_u32_e32 v29, v29, v30
	ds_write_b32 v38, v29
.LBB1846_160:                           ;   in Loop: Header=BB1846_152 Depth=1
	s_or_b64 exec, exec, s[28:29]
	v_mov_b32_e32 v29, 0
	s_waitcnt lgkmcnt(0)
	s_barrier
	s_and_saveexec_b64 s[28:29], s[18:19]
; %bb.161:                              ;   in Loop: Header=BB1846_152 Depth=1
	ds_read_b32 v29, v39
; %bb.162:                              ;   in Loop: Header=BB1846_152 Depth=1
	s_or_b64 exec, exec, s[28:29]
	s_waitcnt lgkmcnt(0)
	v_add_u32_e32 v28, v29, v28
	ds_bpermute_b32 v28, v36, v28
	v_add_u32_e32 v10, 8, v10
	v_cmp_lt_u32_e64 s[28:29], v10, v11
	s_mov_b64 s[56:57], -1
                                        ; implicit-def: $vgpr55
                                        ; implicit-def: $vgpr64
	s_waitcnt lgkmcnt(0)
	v_cndmask_b32_e64 v28, v28, v29, s[20:21]
	v_cndmask_b32_e64 v28, v28, 0, s[22:23]
	v_add_u32_e32 v27, v28, v27
	v_add_u32_e32 v22, v27, v22
	;; [unrolled: 1-line block ×3, first 2 shown]
	ds_write_b32 v31, v28
	ds_write_b32 v32, v27
	;; [unrolled: 1-line block ×4, first 2 shown]
	s_waitcnt lgkmcnt(0)
	s_barrier
	ds_read_b32 v4, v4
	ds_read_b32 v21, v25
	s_waitcnt lgkmcnt(0)
	v_add_u32_e32 v4, v4, v23
	v_add3_u32 v25, v26, v24, v21
	v_lshlrev_b64 v[21:22], 1, v[4:5]
	v_mov_b32_e32 v26, v5
	v_add_co_u32_e64 v27, s[40:41], v12, v21
	v_addc_co_u32_e64 v28, s[40:41], v13, v22, s[40:41]
	v_lshlrev_b64 v[21:22], 1, v[25:26]
                                        ; implicit-def: $vgpr23_vgpr24
	v_add_co_u32_e64 v29, s[40:41], v12, v21
	v_addc_co_u32_e64 v30, s[40:41], v13, v22, s[40:41]
                                        ; implicit-def: $vgpr21_vgpr22
	s_and_saveexec_b64 s[40:41], s[28:29]
	s_cbranch_execz .LBB1846_151
; %bb.163:                              ;   in Loop: Header=BB1846_152 Depth=1
	v_mad_u64_u32 v[21:22], s[28:29], v4, 6, v[27:28]
	v_mad_u64_u32 v[22:23], s[28:29], v25, 6, v[29:30]
	s_barrier
	ds_write_b16 v27, v54
	ds_write_b16 v29, v53
	s_waitcnt lgkmcnt(0)
	s_barrier
	ds_read_u16 v55, v48
	ds_read_u16 v64, v49
	s_waitcnt lgkmcnt(0)
	s_barrier
	ds_write_b64 v21, v[19:20]
	ds_write_b64 v22, v[8:9]
	s_waitcnt lgkmcnt(0)
	s_barrier
	ds_read_b64 v[21:22], v50
	ds_read_b64 v[23:24], v51
	v_add_u32_e32 v52, -8, v52
	s_xor_b64 s[56:57], exec, -1
	s_waitcnt lgkmcnt(0)
	s_barrier
	s_branch .LBB1846_151
.LBB1846_164:
	flat_load_dwordx2 v[48:49], v[4:5]
	v_mov_b32_e32 v50, v22
	v_mov_b32_e32 v51, v22
	;; [unrolled: 1-line block ×6, first 2 shown]
	s_waitcnt vmcnt(0) lgkmcnt(0)
	v_mov_b32_e32 v22, v48
	v_mov_b32_e32 v23, v49
	;; [unrolled: 1-line block ×8, first 2 shown]
	s_or_b64 exec, exec, s[14:15]
	s_and_saveexec_b64 s[10:11], s[6:7]
	s_cbranch_execz .LBB1846_91
.LBB1846_165:
	flat_load_dwordx2 v[24:25], v[4:5] offset:512
	s_or_b64 exec, exec, s[10:11]
	s_and_saveexec_b64 s[6:7], s[4:5]
	s_cbranch_execz .LBB1846_92
.LBB1846_166:
	flat_load_dwordx2 v[26:27], v[4:5] offset:1024
	s_or_b64 exec, exec, s[6:7]
	s_and_saveexec_b64 s[4:5], vcc
	s_cbranch_execnz .LBB1846_93
	s_branch .LBB1846_94
.LBB1846_167:
	flat_store_dwordx2 v[0:1], v[12:13]
	s_or_b64 exec, exec, s[14:15]
	s_and_saveexec_b64 s[14:15], s[4:5]
	s_cbranch_execz .LBB1846_136
.LBB1846_168:
	flat_store_dwordx2 v[0:1], v[14:15] offset:2048
	s_or_b64 exec, exec, s[14:15]
	s_and_saveexec_b64 s[4:5], s[6:7]
	s_cbranch_execz .LBB1846_137
.LBB1846_169:
	v_add_co_u32_e32 v2, vcc, 0x1000, v0
	v_addc_co_u32_e32 v3, vcc, 0, v1, vcc
	flat_store_dwordx2 v[2:3], v[8:9]
	s_or_b64 exec, exec, s[4:5]
	s_and_saveexec_b64 s[4:5], s[10:11]
	s_cbranch_execnz .LBB1846_138
	s_branch .LBB1846_139
.LBB1846_170:
	s_or_b64 exec, exec, s[44:45]
	v_mad_u64_u32 v[10:11], s[4:5], v4, 6, v[27:28]
	v_mad_u64_u32 v[21:22], s[4:5], v25, 6, v[29:30]
	v_lshl_add_u32 v13, v18, 1, v12
	v_mul_u32_u24_e32 v4, 6, v18
	v_add_u32_e32 v4, v13, v4
	s_barrier
	ds_write_b16 v27, v54
	ds_write_b16 v29, v53
	s_waitcnt lgkmcnt(0)
	s_barrier
	ds_read_u16 v12, v13
	ds_read_u16 v5, v13 offset:512
	s_waitcnt lgkmcnt(0)
	s_barrier
	ds_write_b64 v10, v[19:20]
	ds_write_b64 v21, v[8:9]
	s_waitcnt lgkmcnt(0)
	s_barrier
	ds_read2st64_b64 v[8:11], v4 offset1:4
	v_add_co_u32_e32 v4, vcc, v2, v16
	v_mov_b32_e32 v15, 0
	v_addc_co_u32_e32 v13, vcc, v3, v17, vcc
	v_lshlrev_b64 v[2:3], 1, v[14:15]
	s_waitcnt lgkmcnt(0)
	v_add_co_u32_e32 v2, vcc, v4, v2
	v_addc_co_u32_e32 v3, vcc, v13, v3, vcc
	v_cmp_lt_u32_e32 vcc, v14, v71
	s_barrier
	s_and_saveexec_b64 s[6:7], vcc
	s_cbranch_execz .LBB1846_172
; %bb.171:
	v_mov_b32_e32 v4, 0xffff8000
	v_cmp_lt_i16_e64 s[4:5], -1, v12
	v_cndmask_b32_e64 v4, v4, -1, s[4:5]
	v_xor_b32_e32 v4, v4, v12
	flat_store_short v[2:3], v4
.LBB1846_172:
	s_or_b64 exec, exec, s[6:7]
	v_add_u32_e32 v4, 0x100, v14
	v_cmp_lt_u32_e64 s[4:5], v4, v71
	s_and_saveexec_b64 s[8:9], s[4:5]
	s_cbranch_execz .LBB1846_174
; %bb.173:
	v_mov_b32_e32 v4, 0xffff8000
	v_cmp_lt_i16_e64 s[6:7], -1, v5
	v_cndmask_b32_e64 v4, v4, -1, s[6:7]
	v_xor_b32_e32 v4, v4, v5
	flat_store_short v[2:3], v4 offset:512
.LBB1846_174:
	s_or_b64 exec, exec, s[8:9]
	v_add_co_u32_e64 v2, s[6:7], v6, v0
	v_addc_co_u32_e64 v3, s[6:7], v7, v1, s[6:7]
	v_lshlrev_b64 v[0:1], 3, v[14:15]
	v_add_co_u32_e64 v0, s[6:7], v2, v0
	v_addc_co_u32_e64 v1, s[6:7], v3, v1, s[6:7]
	s_and_saveexec_b64 s[6:7], vcc
	s_cbranch_execz .LBB1846_176
; %bb.175:
	flat_store_dwordx2 v[0:1], v[8:9]
.LBB1846_176:
	s_or_b64 exec, exec, s[6:7]
	s_and_saveexec_b64 s[6:7], s[4:5]
	s_cbranch_execz .LBB1846_178
; %bb.177:
	flat_store_dwordx2 v[0:1], v[10:11] offset:2048
.LBB1846_178:
	s_or_b64 exec, exec, s[6:7]
                                        ; implicit-def: $vgpr18
                                        ; implicit-def: $vgpr14_vgpr15
                                        ; implicit-def: $vgpr8_vgpr9
                                        ; implicit-def: $vgpr16_vgpr17
                                        ; implicit-def: $vgpr71
                                        ; implicit-def: $vgpr0
                                        ; implicit-def: $vgpr1
                                        ; implicit-def: $vgpr2
                                        ; implicit-def: $vgpr3
                                        ; implicit-def: $vgpr4
                                        ; implicit-def: $vgpr5
                                        ; implicit-def: $vgpr6
                                        ; implicit-def: $vgpr7
                                        ; implicit-def: $vgpr10
                                        ; implicit-def: $vgpr11
                                        ; implicit-def: $vgpr12
                                        ; implicit-def: $vgpr13
                                        ; implicit-def: $vgpr19
.LBB1846_179:
	s_andn2_saveexec_b64 s[4:5], s[42:43]
	s_cbranch_execz .LBB1846_199
; %bb.180:
	v_mbcnt_hi_u32_b32 v31, -1, v19
	v_bfi_b32 v15, 63, v31, v14
	v_and_b32_e32 v32, 63, v31
	v_and_b32_e32 v21, 0xffffffc0, v14
	v_cmp_lt_u32_e32 vcc, v15, v71
	v_mov_b32_e32 v23, 0x7fff
	s_and_saveexec_b64 s[6:7], vcc
	s_cbranch_execz .LBB1846_182
; %bb.181:
	v_add_co_u32_e64 v0, s[4:5], v0, v16
	v_addc_co_u32_e64 v1, s[4:5], v1, v17, s[4:5]
	v_lshlrev_b32_e32 v15, 1, v32
	v_mov_b32_e32 v22, 0
	v_add_co_u32_e64 v15, s[4:5], v0, v15
	v_addc_co_u32_e64 v19, s[4:5], 0, v1, s[4:5]
	v_lshlrev_b64 v[0:1], 1, v[21:22]
	v_add_co_u32_e64 v0, s[4:5], v15, v0
	v_addc_co_u32_e64 v1, s[4:5], v19, v1, s[4:5]
	flat_load_ushort v23, v[0:1]
.LBB1846_182:
	s_or_b64 exec, exec, s[6:7]
	v_lshlrev_b64 v[0:1], 3, v[8:9]
                                        ; implicit-def: $vgpr19_vgpr20
	s_and_saveexec_b64 s[4:5], vcc
	s_cbranch_execz .LBB1846_184
; %bb.183:
	v_add_co_u32_e32 v4, vcc, v4, v0
	v_addc_co_u32_e32 v5, vcc, v5, v1, vcc
	v_lshlrev_b32_e32 v8, 3, v32
	v_mov_b32_e32 v22, 0
	v_add_co_u32_e32 v8, vcc, v4, v8
	v_addc_co_u32_e32 v9, vcc, 0, v5, vcc
	v_lshlrev_b64 v[4:5], 3, v[21:22]
	v_add_co_u32_e32 v4, vcc, v8, v4
	v_addc_co_u32_e32 v5, vcc, v9, v5, vcc
	flat_load_dwordx2 v[19:20], v[4:5]
.LBB1846_184:
	s_or_b64 exec, exec, s[4:5]
	v_mov_b32_e32 v15, 0xffff8000
	s_waitcnt vmcnt(0) lgkmcnt(0)
	v_cmp_lt_i16_e32 vcc, -1, v23
	v_cndmask_b32_e32 v4, -1, v15, vcc
	v_lshl_add_u32 v8, v18, 4, v12
	v_xor_b32_e32 v36, v4, v23
	s_getpc_b64 s[4:5]
	s_add_u32 s4, s4, _ZN7rocprim17ROCPRIM_400000_NS16block_radix_sortI6__halfLj256ELj1ElLj1ELj1ELj8ELNS0_26block_radix_rank_algorithmE2ELNS0_18block_padding_hintE2ELNS0_4arch9wavefront6targetE1EE19radix_bits_per_passE@rel32@lo+4
	s_addc_u32 s5, s5, _ZN7rocprim17ROCPRIM_400000_NS16block_radix_sortI6__halfLj256ELj1ElLj1ELj1ELj8ELNS0_26block_radix_rank_algorithmE2ELNS0_18block_padding_hintE2ELNS0_4arch9wavefront6targetE1EE19radix_bits_per_passE@rel32@hi+12
	v_add_u32_e32 v23, 16, v8
	v_add_u32_e32 v24, 20, v8
	;; [unrolled: 1-line block ×4, first 2 shown]
	v_and_b32_e32 v8, 15, v31
	s_load_dword s56, s[4:5], 0x0
	v_cmp_eq_u32_e32 vcc, 0, v8
	v_cmp_lt_u32_e64 s[4:5], 1, v8
	v_cmp_lt_u32_e64 s[6:7], 3, v8
	;; [unrolled: 1-line block ×3, first 2 shown]
	v_and_b32_e32 v8, 16, v31
	v_cmp_eq_u32_e64 s[10:11], 0, v8
	v_and_b32_e32 v8, 0x3c0, v18
	v_min_u32_e32 v9, 0xc0, v8
	v_or_b32_e32 v9, 63, v9
	v_cmp_eq_u32_e64 s[14:15], v18, v9
	v_subrev_co_u32_e64 v9, s[20:21], 1, v31
	v_and_b32_e32 v21, 64, v31
	v_cmp_lt_i32_e64 s[22:23], v9, v21
	v_lshlrev_b32_e32 v4, 2, v18
	v_cndmask_b32_e64 v9, v9, v31, s[22:23]
	v_lshlrev_b32_e32 v29, 2, v9
	v_lshrrev_b32_e32 v9, 4, v18
	v_add_co_u32_e64 v28, s[24:25], v12, v4
	v_and_b32_e32 v4, 3, v31
	v_and_b32_e32 v9, 60, v9
	v_cmp_eq_u32_e64 s[24:25], 0, v4
	v_cmp_lt_u32_e64 s[26:27], 1, v4
	v_or_b32_e32 v4, v32, v8
	v_add_u32_e32 v30, v12, v9
	v_lshl_add_u32 v32, v4, 1, v12
	v_mul_u32_u24_e32 v4, 6, v4
	v_mov_b32_e32 v5, 0
	v_lshrrev_b32_e32 v27, 6, v14
	v_cmp_lt_u32_e64 s[12:13], 31, v31
	v_cmp_gt_u32_e64 s[16:17], 4, v18
	v_cmp_lt_u32_e64 s[18:19], 63, v18
	v_cmp_eq_u32_e64 s[22:23], 0, v18
	v_add_u32_e32 v31, -4, v30
	v_add_u32_e32 v33, v32, v4
	v_sub_u32_e32 v34, v11, v10
	s_mov_b64 s[42:43], 0
	s_movk_i32 s57, 0x7fff
	s_waitcnt lgkmcnt(0)
	s_barrier
	s_branch .LBB1846_186
.LBB1846_185:                           ;   in Loop: Header=BB1846_186 Depth=1
	s_or_b64 exec, exec, s[40:41]
	s_and_b64 s[28:29], exec, s[44:45]
	s_or_b64 s[42:43], s[28:29], s[42:43]
	s_andn2_b64 exec, exec, s[42:43]
	s_cbranch_execz .LBB1846_196
.LBB1846_186:                           ; =>This Inner Loop Header: Depth=1
	v_mov_b32_e32 v35, v36
	v_mov_b32_e32 v8, v19
	v_cmp_ne_u16_e64 s[28:29], s57, v35
	v_mov_b32_e32 v9, v20
	v_cndmask_b32_e64 v19, v15, v35, s[28:29]
	v_min_u32_e32 v4, s56, v34
	v_lshrrev_b32_sdwa v19, v10, v19 dst_sel:DWORD dst_unused:UNUSED_PAD src0_sel:DWORD src1_sel:WORD_0
	v_bfe_u32 v21, v19, 0, v4
	v_lshlrev_b32_e32 v4, 2, v21
	v_add_lshl_u32 v4, v4, v27, 2
	v_add_co_u32_e64 v4, s[28:29], v12, v4
	v_add_co_u32_e64 v4, s[28:29], 16, v4
	v_and_b32_e32 v19, 1, v21
	v_add_co_u32_e64 v20, s[28:29], -1, v19
	v_addc_co_u32_e64 v22, s[28:29], 0, -1, s[28:29]
	v_cmp_ne_u32_e64 s[28:29], 0, v19
	v_xor_b32_e32 v19, s29, v22
	v_xor_b32_e32 v20, s28, v20
	v_and_b32_e32 v22, exec_hi, v19
	v_and_b32_e32 v36, exec_lo, v20
	v_lshlrev_b32_e32 v20, 30, v21
	v_mov_b32_e32 v19, v5
	v_cmp_gt_i64_e64 s[28:29], 0, v[19:20]
	v_not_b32_e32 v19, v20
	v_ashrrev_i32_e32 v19, 31, v19
	v_xor_b32_e32 v20, s29, v19
	v_xor_b32_e32 v19, s28, v19
	v_and_b32_e32 v22, v22, v20
	v_and_b32_e32 v36, v36, v19
	v_lshlrev_b32_e32 v20, 29, v21
	v_mov_b32_e32 v19, v5
	v_cmp_gt_i64_e64 s[28:29], 0, v[19:20]
	v_not_b32_e32 v19, v20
	v_ashrrev_i32_e32 v19, 31, v19
	v_xor_b32_e32 v20, s29, v19
	v_xor_b32_e32 v19, s28, v19
	v_and_b32_e32 v22, v22, v20
	v_and_b32_e32 v36, v36, v19
	;; [unrolled: 9-line block ×7, first 2 shown]
	v_mbcnt_lo_u32_b32 v21, v19, 0
	v_mbcnt_hi_u32_b32 v21, v20, v21
	v_cmp_ne_u64_e64 s[28:29], 0, v[19:20]
	v_cmp_eq_u32_e64 s[40:41], 0, v21
	s_and_b64 s[40:41], s[28:29], s[40:41]
	ds_write_b32 v23, v5
	ds_write_b32 v24, v5
	;; [unrolled: 1-line block ×4, first 2 shown]
	s_waitcnt lgkmcnt(0)
	s_barrier
	; wave barrier
	s_and_saveexec_b64 s[28:29], s[40:41]
; %bb.187:                              ;   in Loop: Header=BB1846_186 Depth=1
	v_bcnt_u32_b32 v19, v19, 0
	v_bcnt_u32_b32 v19, v20, v19
	ds_write_b32 v4, v19
; %bb.188:                              ;   in Loop: Header=BB1846_186 Depth=1
	s_or_b64 exec, exec, s[28:29]
	; wave barrier
	s_waitcnt lgkmcnt(0)
	s_barrier
	ds_read_b32 v22, v23
	ds_read_b32 v20, v24
	;; [unrolled: 1-line block ×4, first 2 shown]
	s_waitcnt lgkmcnt(2)
	v_add_u32_e32 v37, v20, v22
	s_waitcnt lgkmcnt(0)
	v_add3_u32 v36, v37, v19, v36
	s_nop 1
	v_mov_b32_dpp v37, v36 row_shr:1 row_mask:0xf bank_mask:0xf
	v_cndmask_b32_e64 v37, v37, 0, vcc
	v_add_u32_e32 v36, v37, v36
	s_nop 1
	v_mov_b32_dpp v37, v36 row_shr:2 row_mask:0xf bank_mask:0xf
	v_cndmask_b32_e64 v37, 0, v37, s[4:5]
	v_add_u32_e32 v36, v36, v37
	s_nop 1
	v_mov_b32_dpp v37, v36 row_shr:4 row_mask:0xf bank_mask:0xf
	v_cndmask_b32_e64 v37, 0, v37, s[6:7]
	;; [unrolled: 4-line block ×3, first 2 shown]
	v_add_u32_e32 v36, v36, v37
	s_nop 1
	v_mov_b32_dpp v37, v36 row_bcast:15 row_mask:0xf bank_mask:0xf
	v_cndmask_b32_e64 v37, v37, 0, s[10:11]
	v_add_u32_e32 v36, v36, v37
	s_nop 1
	v_mov_b32_dpp v37, v36 row_bcast:31 row_mask:0xf bank_mask:0xf
	v_cndmask_b32_e64 v37, 0, v37, s[12:13]
	v_add_u32_e32 v36, v36, v37
	s_and_saveexec_b64 s[28:29], s[14:15]
; %bb.189:                              ;   in Loop: Header=BB1846_186 Depth=1
	ds_write_b32 v30, v36
; %bb.190:                              ;   in Loop: Header=BB1846_186 Depth=1
	s_or_b64 exec, exec, s[28:29]
	s_waitcnt lgkmcnt(0)
	s_barrier
	s_and_saveexec_b64 s[28:29], s[16:17]
	s_cbranch_execz .LBB1846_192
; %bb.191:                              ;   in Loop: Header=BB1846_186 Depth=1
	ds_read_b32 v37, v28
	s_waitcnt lgkmcnt(0)
	s_nop 0
	v_mov_b32_dpp v38, v37 row_shr:1 row_mask:0xf bank_mask:0xf
	v_cndmask_b32_e64 v38, v38, 0, s[24:25]
	v_add_u32_e32 v37, v38, v37
	s_nop 1
	v_mov_b32_dpp v38, v37 row_shr:2 row_mask:0xf bank_mask:0xf
	v_cndmask_b32_e64 v38, 0, v38, s[26:27]
	v_add_u32_e32 v37, v37, v38
	ds_write_b32 v28, v37
.LBB1846_192:                           ;   in Loop: Header=BB1846_186 Depth=1
	s_or_b64 exec, exec, s[28:29]
	v_mov_b32_e32 v37, 0
	s_waitcnt lgkmcnt(0)
	s_barrier
	s_and_saveexec_b64 s[28:29], s[18:19]
; %bb.193:                              ;   in Loop: Header=BB1846_186 Depth=1
	ds_read_b32 v37, v31
; %bb.194:                              ;   in Loop: Header=BB1846_186 Depth=1
	s_or_b64 exec, exec, s[28:29]
	s_waitcnt lgkmcnt(0)
	v_add_u32_e32 v36, v37, v36
	ds_bpermute_b32 v36, v29, v36
	v_add_u32_e32 v10, 8, v10
	v_cmp_lt_u32_e64 s[28:29], v10, v11
	s_mov_b64 s[44:45], -1
	s_waitcnt lgkmcnt(0)
	v_cndmask_b32_e64 v36, v36, v37, s[20:21]
	v_cndmask_b32_e64 v36, v36, 0, s[22:23]
	v_add_u32_e32 v22, v36, v22
	v_add_u32_e32 v20, v22, v20
	ds_write_b32 v23, v36
	ds_write_b32 v24, v22
	v_add_u32_e32 v19, v20, v19
	ds_write_b32 v25, v20
	ds_write_b32 v26, v19
	s_waitcnt lgkmcnt(0)
	s_barrier
	ds_read_b32 v4, v4
	s_waitcnt lgkmcnt(0)
                                        ; implicit-def: $vgpr36
	v_add_u32_e32 v4, v4, v21
	v_lshlrev_b64 v[19:20], 1, v[4:5]
	v_add_co_u32_e64 v21, s[40:41], v12, v19
	v_addc_co_u32_e64 v22, s[40:41], v13, v20, s[40:41]
                                        ; implicit-def: $vgpr19_vgpr20
	s_and_saveexec_b64 s[40:41], s[28:29]
	s_cbranch_execz .LBB1846_185
; %bb.195:                              ;   in Loop: Header=BB1846_186 Depth=1
	v_mad_u64_u32 v[19:20], s[28:29], v4, 6, v[21:22]
	s_barrier
	ds_write_b16 v21, v35
	s_waitcnt lgkmcnt(0)
	s_barrier
	ds_read_u16 v36, v32
	s_waitcnt lgkmcnt(0)
	s_barrier
	ds_write_b64 v19, v[8:9]
	s_waitcnt lgkmcnt(0)
	s_barrier
	ds_read_b64 v[19:20], v33
	v_add_u32_e32 v34, -8, v34
	s_xor_b64 s[44:45], exec, -1
	s_waitcnt lgkmcnt(0)
	s_barrier
	s_branch .LBB1846_185
.LBB1846_196:
	s_or_b64 exec, exec, s[42:43]
	v_lshlrev_b32_e32 v5, 1, v18
	v_sub_u32_e32 v11, v28, v5
	v_mad_u64_u32 v[4:5], s[4:5], v4, 6, v[21:22]
	s_barrier
	ds_write_b16 v21, v35
	s_waitcnt lgkmcnt(0)
	s_barrier
	ds_read_u16 v10, v11
	s_waitcnt lgkmcnt(0)
	s_barrier
	ds_write_b64 v4, v[8:9]
	v_mul_u32_u24_e32 v4, 6, v18
	v_add_u32_e32 v4, v11, v4
	s_waitcnt lgkmcnt(0)
	s_barrier
	ds_read_b64 v[4:5], v4
	v_cmp_lt_u32_e32 vcc, v14, v71
	s_waitcnt lgkmcnt(0)
	s_barrier
	s_and_saveexec_b64 s[4:5], vcc
	s_cbranch_execz .LBB1846_198
; %bb.197:
	v_add_co_u32_e32 v6, vcc, v6, v0
	v_mov_b32_e32 v15, 0
	v_addc_co_u32_e32 v7, vcc, v7, v1, vcc
	v_lshlrev_b64 v[0:1], 3, v[14:15]
	v_add_co_u32_e32 v0, vcc, v6, v0
	v_addc_co_u32_e32 v1, vcc, v7, v1, vcc
	v_mov_b32_e32 v6, 0xffff8000
	v_cmp_lt_i16_e32 vcc, -1, v10
	v_cndmask_b32_e64 v6, v6, -1, vcc
	v_add_co_u32_e32 v7, vcc, v2, v16
	v_addc_co_u32_e32 v8, vcc, v3, v17, vcc
	v_lshlrev_b64 v[2:3], 1, v[14:15]
	v_xor_b32_e32 v6, v6, v10
	v_add_co_u32_e32 v2, vcc, v7, v2
	v_addc_co_u32_e32 v3, vcc, v8, v3, vcc
	flat_store_short v[2:3], v6
	flat_store_dwordx2 v[0:1], v[4:5]
.LBB1846_198:
	s_or_b64 exec, exec, s[4:5]
.LBB1846_199:
	s_or_b64 exec, exec, s[46:47]
	s_waitcnt vmcnt(0) lgkmcnt(0)
	s_setpc_b64 s[30:31]
.Lfunc_end1846:
	.size	_ZN7rocprim17ROCPRIM_400000_NS6detail40segmented_radix_sort_single_block_helperI6__halflLj256ELj8ELb0EE4sortIPKS3_PS3_PKlPlEEbT_T0_T1_T2_jjjjRNS4_12storage_typeE, .Lfunc_end1846-_ZN7rocprim17ROCPRIM_400000_NS6detail40segmented_radix_sort_single_block_helperI6__halflLj256ELj8ELb0EE4sortIPKS3_PS3_PKlPlEEbT_T0_T1_T2_jjjjRNS4_12storage_typeE
                                        ; -- End function
	.set .L_ZN7rocprim17ROCPRIM_400000_NS6detail40segmented_radix_sort_single_block_helperI6__halflLj256ELj8ELb0EE4sortIPKS3_PS3_PKlPlEEbT_T0_T1_T2_jjjjRNS4_12storage_typeE.num_vgpr, 195
	.set .L_ZN7rocprim17ROCPRIM_400000_NS6detail40segmented_radix_sort_single_block_helperI6__halflLj256ELj8ELb0EE4sortIPKS3_PS3_PKlPlEEbT_T0_T1_T2_jjjjRNS4_12storage_typeE.num_agpr, 0
	.set .L_ZN7rocprim17ROCPRIM_400000_NS6detail40segmented_radix_sort_single_block_helperI6__halflLj256ELj8ELb0EE4sortIPKS3_PS3_PKlPlEEbT_T0_T1_T2_jjjjRNS4_12storage_typeE.numbered_sgpr, 64
	.set .L_ZN7rocprim17ROCPRIM_400000_NS6detail40segmented_radix_sort_single_block_helperI6__halflLj256ELj8ELb0EE4sortIPKS3_PS3_PKlPlEEbT_T0_T1_T2_jjjjRNS4_12storage_typeE.num_named_barrier, 0
	.set .L_ZN7rocprim17ROCPRIM_400000_NS6detail40segmented_radix_sort_single_block_helperI6__halflLj256ELj8ELb0EE4sortIPKS3_PS3_PKlPlEEbT_T0_T1_T2_jjjjRNS4_12storage_typeE.private_seg_size, 0
	.set .L_ZN7rocprim17ROCPRIM_400000_NS6detail40segmented_radix_sort_single_block_helperI6__halflLj256ELj8ELb0EE4sortIPKS3_PS3_PKlPlEEbT_T0_T1_T2_jjjjRNS4_12storage_typeE.uses_vcc, 1
	.set .L_ZN7rocprim17ROCPRIM_400000_NS6detail40segmented_radix_sort_single_block_helperI6__halflLj256ELj8ELb0EE4sortIPKS3_PS3_PKlPlEEbT_T0_T1_T2_jjjjRNS4_12storage_typeE.uses_flat_scratch, 0
	.set .L_ZN7rocprim17ROCPRIM_400000_NS6detail40segmented_radix_sort_single_block_helperI6__halflLj256ELj8ELb0EE4sortIPKS3_PS3_PKlPlEEbT_T0_T1_T2_jjjjRNS4_12storage_typeE.has_dyn_sized_stack, 0
	.set .L_ZN7rocprim17ROCPRIM_400000_NS6detail40segmented_radix_sort_single_block_helperI6__halflLj256ELj8ELb0EE4sortIPKS3_PS3_PKlPlEEbT_T0_T1_T2_jjjjRNS4_12storage_typeE.has_recursion, 0
	.set .L_ZN7rocprim17ROCPRIM_400000_NS6detail40segmented_radix_sort_single_block_helperI6__halflLj256ELj8ELb0EE4sortIPKS3_PS3_PKlPlEEbT_T0_T1_T2_jjjjRNS4_12storage_typeE.has_indirect_call, 0
	.section	.AMDGPU.csdata,"",@progbits
; Function info:
; codeLenInByte = 16748
; TotalNumSgprs: 68
; NumVgprs: 195
; ScratchSize: 0
; MemoryBound: 1
	.section	.text._ZN7rocprim17ROCPRIM_400000_NS6detail17trampoline_kernelINS0_14default_configENS1_36segmented_radix_sort_config_selectorI6__halflEEZNS1_25segmented_radix_sort_implIS3_Lb0EPKS5_PS5_PKlPlN2at6native12_GLOBAL__N_18offset_tEEE10hipError_tPvRmT1_PNSt15iterator_traitsISL_E10value_typeET2_T3_PNSM_ISR_E10value_typeET4_jRbjT5_SX_jjP12ihipStream_tbEUlT_E_NS1_11comp_targetILNS1_3genE2ELNS1_11target_archE906ELNS1_3gpuE6ELNS1_3repE0EEENS1_30default_config_static_selectorELNS0_4arch9wavefront6targetE1EEEvSL_,"axG",@progbits,_ZN7rocprim17ROCPRIM_400000_NS6detail17trampoline_kernelINS0_14default_configENS1_36segmented_radix_sort_config_selectorI6__halflEEZNS1_25segmented_radix_sort_implIS3_Lb0EPKS5_PS5_PKlPlN2at6native12_GLOBAL__N_18offset_tEEE10hipError_tPvRmT1_PNSt15iterator_traitsISL_E10value_typeET2_T3_PNSM_ISR_E10value_typeET4_jRbjT5_SX_jjP12ihipStream_tbEUlT_E_NS1_11comp_targetILNS1_3genE2ELNS1_11target_archE906ELNS1_3gpuE6ELNS1_3repE0EEENS1_30default_config_static_selectorELNS0_4arch9wavefront6targetE1EEEvSL_,comdat
	.globl	_ZN7rocprim17ROCPRIM_400000_NS6detail17trampoline_kernelINS0_14default_configENS1_36segmented_radix_sort_config_selectorI6__halflEEZNS1_25segmented_radix_sort_implIS3_Lb0EPKS5_PS5_PKlPlN2at6native12_GLOBAL__N_18offset_tEEE10hipError_tPvRmT1_PNSt15iterator_traitsISL_E10value_typeET2_T3_PNSM_ISR_E10value_typeET4_jRbjT5_SX_jjP12ihipStream_tbEUlT_E_NS1_11comp_targetILNS1_3genE2ELNS1_11target_archE906ELNS1_3gpuE6ELNS1_3repE0EEENS1_30default_config_static_selectorELNS0_4arch9wavefront6targetE1EEEvSL_ ; -- Begin function _ZN7rocprim17ROCPRIM_400000_NS6detail17trampoline_kernelINS0_14default_configENS1_36segmented_radix_sort_config_selectorI6__halflEEZNS1_25segmented_radix_sort_implIS3_Lb0EPKS5_PS5_PKlPlN2at6native12_GLOBAL__N_18offset_tEEE10hipError_tPvRmT1_PNSt15iterator_traitsISL_E10value_typeET2_T3_PNSM_ISR_E10value_typeET4_jRbjT5_SX_jjP12ihipStream_tbEUlT_E_NS1_11comp_targetILNS1_3genE2ELNS1_11target_archE906ELNS1_3gpuE6ELNS1_3repE0EEENS1_30default_config_static_selectorELNS0_4arch9wavefront6targetE1EEEvSL_
	.p2align	8
	.type	_ZN7rocprim17ROCPRIM_400000_NS6detail17trampoline_kernelINS0_14default_configENS1_36segmented_radix_sort_config_selectorI6__halflEEZNS1_25segmented_radix_sort_implIS3_Lb0EPKS5_PS5_PKlPlN2at6native12_GLOBAL__N_18offset_tEEE10hipError_tPvRmT1_PNSt15iterator_traitsISL_E10value_typeET2_T3_PNSM_ISR_E10value_typeET4_jRbjT5_SX_jjP12ihipStream_tbEUlT_E_NS1_11comp_targetILNS1_3genE2ELNS1_11target_archE906ELNS1_3gpuE6ELNS1_3repE0EEENS1_30default_config_static_selectorELNS0_4arch9wavefront6targetE1EEEvSL_,@function
_ZN7rocprim17ROCPRIM_400000_NS6detail17trampoline_kernelINS0_14default_configENS1_36segmented_radix_sort_config_selectorI6__halflEEZNS1_25segmented_radix_sort_implIS3_Lb0EPKS5_PS5_PKlPlN2at6native12_GLOBAL__N_18offset_tEEE10hipError_tPvRmT1_PNSt15iterator_traitsISL_E10value_typeET2_T3_PNSM_ISR_E10value_typeET4_jRbjT5_SX_jjP12ihipStream_tbEUlT_E_NS1_11comp_targetILNS1_3genE2ELNS1_11target_archE906ELNS1_3gpuE6ELNS1_3repE0EEENS1_30default_config_static_selectorELNS0_4arch9wavefront6targetE1EEEvSL_: ; @_ZN7rocprim17ROCPRIM_400000_NS6detail17trampoline_kernelINS0_14default_configENS1_36segmented_radix_sort_config_selectorI6__halflEEZNS1_25segmented_radix_sort_implIS3_Lb0EPKS5_PS5_PKlPlN2at6native12_GLOBAL__N_18offset_tEEE10hipError_tPvRmT1_PNSt15iterator_traitsISL_E10value_typeET2_T3_PNSM_ISR_E10value_typeET4_jRbjT5_SX_jjP12ihipStream_tbEUlT_E_NS1_11comp_targetILNS1_3genE2ELNS1_11target_archE906ELNS1_3gpuE6ELNS1_3repE0EEENS1_30default_config_static_selectorELNS0_4arch9wavefront6targetE1EEEvSL_
; %bb.0:
	s_add_u32 s0, s0, s8
	s_mov_b64 s[34:35], s[4:5]
	s_load_dwordx2 s[4:5], s[4:5], 0x38
	s_nop 0
	s_load_dwordx4 s[8:11], s[34:35], 0x40
	s_mov_b32 s33, s7
	s_mov_b32 s7, 0
	s_addc_u32 s1, s1, 0
	s_lshl_b64 s[12:13], s[6:7], 2
	s_waitcnt lgkmcnt(0)
	s_add_u32 s4, s4, s12
	s_addc_u32 s5, s5, s13
	s_load_dword s4, s[4:5], 0x0
	s_mov_b32 s32, 0
	s_waitcnt lgkmcnt(0)
	s_add_i32 s80, s4, s9
	s_add_i32 s81, s4, s11
	s_mul_i32 s80, s80, s8
	s_mul_i32 s81, s81, s10
	s_cmp_le_u32 s81, s80
	s_cbranch_scc1 .LBB1847_670
; %bb.1:
	s_load_dword s4, s[34:35], 0x30
	s_load_dwordx4 s[72:75], s[34:35], 0x20
	s_load_dwordx4 s[76:79], s[34:35], 0x50
	s_load_dwordx8 s[64:71], s[34:35], 0x0
	s_waitcnt lgkmcnt(0)
	s_bitcmp1_b32 s4, 0
	s_cselect_b64 s[54:55], -1, 0
	s_sub_i32 s79, s81, s80
	s_cmpk_lt_u32 s79, 0x801
	s_mov_b64 s[4:5], -1
	s_cbranch_scc0 .LBB1847_7
; %bb.2:
	s_and_b32 s4, s76, 1
	v_cndmask_b32_e64 v3, 0, 1, s[54:55]
	v_cmp_ne_u32_e32 vcc, s4, v3
	s_mov_b64 s[4:5], -1
	v_lshlrev_b32_e32 v41, 20, v2
	v_lshlrev_b32_e32 v42, 10, v1
	s_cbranch_vccnz .LBB1847_4
; %bb.3:
	s_add_u32 s8, s34, 0x60
	s_mov_b64 s[4:5], src_shared_base
	s_addc_u32 s9, s35, 0
	s_getpc_b64 s[10:11]
	s_add_u32 s10, s10, _ZN7rocprim17ROCPRIM_400000_NS6detail40segmented_radix_sort_single_block_helperI6__halflLj256ELj8ELb0EE4sortIPKS3_PS3_PKlPlEEbT_T0_T1_T2_jjjjRNS4_12storage_typeE@rel32@lo+4
	s_addc_u32 s11, s11, _ZN7rocprim17ROCPRIM_400000_NS6detail40segmented_radix_sort_single_block_helperI6__halflLj256ELj8ELb0EE4sortIPKS3_PS3_PKlPlEEbT_T0_T1_T2_jjjjRNS4_12storage_typeE@rel32@hi+12
	v_or3_b32 v31, v0, v42, v41
	s_mov_b32 s12, s6
	s_mov_b32 s13, s33
	v_mov_b32_e32 v40, v0
	v_mov_b32_e32 v0, s64
	;; [unrolled: 1-line block ×17, first 2 shown]
	s_mov_b32 s36, s6
	s_swappc_b64 s[30:31], s[10:11]
	v_mov_b32_e32 v1, v43
	v_mov_b32_e32 v2, v44
	;; [unrolled: 1-line block ×3, first 2 shown]
	s_mov_b32 s6, s36
	s_mov_b64 s[4:5], 0
.LBB1847_4:
	s_andn2_b64 vcc, exec, s[4:5]
	s_cbranch_vccnz .LBB1847_6
; %bb.5:
	s_add_u32 s8, s34, 0x60
	s_mov_b64 s[4:5], src_shared_base
	s_addc_u32 s9, s35, 0
	s_getpc_b64 s[10:11]
	s_add_u32 s10, s10, _ZN7rocprim17ROCPRIM_400000_NS6detail40segmented_radix_sort_single_block_helperI6__halflLj256ELj8ELb0EE4sortIPKS3_PS3_PKlPlEEbT_T0_T1_T2_jjjjRNS4_12storage_typeE@rel32@lo+4
	s_addc_u32 s11, s11, _ZN7rocprim17ROCPRIM_400000_NS6detail40segmented_radix_sort_single_block_helperI6__halflLj256ELj8ELb0EE4sortIPKS3_PS3_PKlPlEEbT_T0_T1_T2_jjjjRNS4_12storage_typeE@rel32@hi+12
	v_or3_b32 v31, v0, v42, v41
	s_mov_b32 s12, s6
	s_mov_b32 s13, s33
	v_mov_b32_e32 v40, v0
	v_mov_b32_e32 v0, s64
	;; [unrolled: 1-line block ×17, first 2 shown]
	s_mov_b32 s36, s6
	s_swappc_b64 s[30:31], s[10:11]
	v_mov_b32_e32 v1, v41
	v_mov_b32_e32 v2, v42
	v_mov_b32_e32 v0, v40
	s_mov_b32 s6, s36
.LBB1847_6:
	s_mov_b64 s[4:5], 0
.LBB1847_7:
	s_andn2_b64 vcc, exec, s[4:5]
	s_cbranch_vccnz .LBB1847_670
; %bb.8:
	s_cmp_ge_u32 s77, s78
	s_cbranch_scc1 .LBB1847_670
; %bb.9:
	v_and_b32_e32 v4, 3, v0
	v_lshlrev_b32_e32 v35, 2, v4
	v_or_b32_e32 v4, 63, v0
	v_lshlrev_b32_e32 v25, 2, v0
	v_lshlrev_b32_e32 v5, 1, v0
	v_cmp_eq_u32_e64 s[8:9], v0, v4
	v_lshrrev_b32_e32 v4, 4, v0
	v_mov_b32_e32 v6, s69
	v_add_co_u32_e32 v29, vcc, s68, v5
	v_mad_u32_u24 v36, v0, 12, v25
	v_and_b32_e32 v37, 12, v4
	v_lshlrev_b32_e32 v4, 3, v0
	v_addc_co_u32_e32 v30, vcc, 0, v6, vcc
	v_and_b32_e32 v4, 0x600, v4
	v_add_u32_e32 v41, v36, v25
	v_lshlrev_b32_e32 v6, 4, v0
	v_sub_u32_e32 v42, v41, v6
	v_lshlrev_b32_e32 v6, 3, v4
	v_mov_b32_e32 v7, s75
	v_add_co_u32_e32 v43, vcc, s74, v6
	v_addc_co_u32_e32 v44, vcc, 0, v7, vcc
	v_lshlrev_b32_e32 v7, 1, v4
	v_mov_b32_e32 v8, s69
	v_add_co_u32_e32 v45, vcc, s68, v7
	v_addc_co_u32_e32 v46, vcc, 0, v8, vcc
	v_mov_b32_e32 v8, s67
	v_add_co_u32_e32 v49, vcc, s66, v5
	v_addc_co_u32_e32 v50, vcc, 0, v8, vcc
	;; [unrolled: 3-line block ×5, first 2 shown]
	v_sub_u32_e32 v47, v42, v5
	v_mov_b32_e32 v5, s71
	v_add_co_u32_e32 v57, vcc, s70, v6
	v_addc_co_u32_e32 v58, vcc, 0, v5, vcc
	v_mov_b32_e32 v5, s65
	v_add_co_u32_e32 v59, vcc, s64, v7
	v_addc_co_u32_e32 v60, vcc, 0, v5, vcc
	v_mbcnt_lo_u32_b32 v5, -1, 0
	v_mbcnt_hi_u32_b32 v66, -1, v5
	v_and_b32_e32 v5, 63, v66
	s_movk_i32 s4, 0x100
	s_add_u32 s56, s34, 0x60
	s_movk_i32 s7, 0xff
	v_or_b32_e32 v73, v5, v4
	v_mov_b32_e32 v3, 0
	v_or_b32_e32 v26, 0x100, v0
	v_or_b32_e32 v27, 0x200, v0
	;; [unrolled: 1-line block ×7, first 2 shown]
	v_cmp_gt_u32_e64 s[4:5], s4, v0
	v_or_b32_e32 v38, 0x4400, v37
	v_cmp_gt_u32_e64 s[10:11], 4, v0
	v_or_b32_e32 v39, 0x4400, v25
	v_cmp_lt_u32_e64 s[12:13], 63, v0
	v_add_u32_e32 v40, 0x43fc, v37
	s_addc_u32 s57, s35, 0
	s_mov_b32 s59, 0
	v_cmp_eq_u32_e64 s[14:15], 0, v0
	v_cmp_ne_u32_e64 s[16:17], s7, v0
	v_mul_u32_u24_e32 v48, 6, v0
	s_movk_i32 s7, 0x7fff
	v_mov_b32_e32 v61, 1
	v_add_u32_e32 v62, 0x410, v41
	v_add_u32_e32 v63, 0x418, v41
	v_lshlrev_b32_e32 v64, 1, v0
	v_mov_b32_e32 v65, 0xffff8000
	v_and_b32_e32 v67, 15, v66
	v_bfe_i32 v68, v66, 4, 1
	v_and_b32_e32 v69, 16, v66
	v_and_b32_e32 v70, 3, v66
	;; [unrolled: 1-line block ×3, first 2 shown]
	v_lshlrev_b32_e32 v72, 3, v5
	v_or_b32_e32 v74, 64, v73
	v_or_b32_e32 v75, 0x80, v73
	;; [unrolled: 1-line block ×7, first 2 shown]
	v_lshlrev_b32_e32 v81, 1, v5
	s_mov_b32 s62, s77
	s_branch .LBB1847_12
.LBB1847_10:                            ;   in Loop: Header=BB1847_12 Depth=1
	s_waitcnt lgkmcnt(0)
	s_barrier
.LBB1847_11:                            ;   in Loop: Header=BB1847_12 Depth=1
	s_add_i32 s62, s62, 8
	s_cmp_ge_u32 s62, s78
	s_cbranch_scc1 .LBB1847_670
.LBB1847_12:                            ; =>This Loop Header: Depth=1
                                        ;     Child Loop BB1847_16 Depth 2
                                        ;     Child Loop BB1847_64 Depth 2
	;; [unrolled: 1-line block ×8, first 2 shown]
	s_sub_i32 s18, s78, s62
	s_min_u32 s18, s18, 8
	s_lshl_b32 s18, -1, s18
	s_xor_b64 s[54:55], s[54:55], -1
	s_not_b32 s63, s18
	s_cmp_lg_u32 s62, s77
	s_mov_b64 s[18:19], -1
	ds_write2st64_b32 v25, v3, v3 offset1:4
	ds_write2st64_b32 v25, v3, v3 offset0:8 offset1:12
	s_waitcnt lgkmcnt(0)
	s_cbranch_scc0 .LBB1847_342
; %bb.13:                               ;   in Loop: Header=BB1847_12 Depth=1
	s_and_b64 vcc, exec, s[54:55]
	s_cbranch_vccz .LBB1847_177
; %bb.14:                               ;   in Loop: Header=BB1847_12 Depth=1
	s_mov_b32 s22, s79
	s_mov_b32 s58, s80
	s_barrier
                                        ; implicit-def: $vgpr4
                                        ; implicit-def: $vgpr5
                                        ; implicit-def: $vgpr6
                                        ; implicit-def: $vgpr7
                                        ; implicit-def: $vgpr8
                                        ; implicit-def: $vgpr9
                                        ; implicit-def: $vgpr10
                                        ; implicit-def: $vgpr11
	s_branch .LBB1847_16
.LBB1847_15:                            ;   in Loop: Header=BB1847_16 Depth=2
	s_or_b64 exec, exec, s[18:19]
	s_addk_i32 s22, 0xf800
	s_cmp_ge_u32 s23, s81
	s_mov_b32 s58, s23
	s_cbranch_scc1 .LBB1847_52
.LBB1847_16:                            ;   Parent Loop BB1847_12 Depth=1
                                        ; =>  This Inner Loop Header: Depth=2
	s_add_i32 s23, s58, 0x800
	s_cmp_gt_u32 s23, s81
	s_mov_b64 s[18:19], -1
                                        ; implicit-def: $vgpr12
                                        ; implicit-def: $vgpr13
                                        ; implicit-def: $vgpr14
                                        ; implicit-def: $vgpr15
                                        ; implicit-def: $vgpr16
                                        ; implicit-def: $vgpr17
                                        ; implicit-def: $vgpr18
                                        ; implicit-def: $vgpr19
	s_cbranch_scc1 .LBB1847_18
; %bb.17:                               ;   in Loop: Header=BB1847_16 Depth=2
	s_lshl_b64 s[18:19], s[58:59], 1
	v_mov_b32_e32 v12, s19
	v_add_co_u32_e32 v20, vcc, s18, v29
	v_addc_co_u32_e32 v21, vcc, v30, v12, vcc
	global_load_ushort v12, v[20:21], off
	global_load_ushort v13, v[20:21], off offset:512
	global_load_ushort v14, v[20:21], off offset:1024
	;; [unrolled: 1-line block ×7, first 2 shown]
	s_mov_b64 s[18:19], 0
.LBB1847_18:                            ;   in Loop: Header=BB1847_16 Depth=2
	s_andn2_b64 vcc, exec, s[18:19]
	s_movk_i32 s20, 0x800
	s_cbranch_vccnz .LBB1847_29
; %bb.19:                               ;   in Loop: Header=BB1847_16 Depth=2
	s_lshl_b64 s[18:19], s[58:59], 1
	s_add_u32 s18, s68, s18
	s_addc_u32 s19, s69, s19
	v_cmp_gt_u32_e32 vcc, s22, v0
	s_and_saveexec_b64 s[20:21], vcc
	s_cbranch_execnz .LBB1847_45
; %bb.20:                               ;   in Loop: Header=BB1847_16 Depth=2
	s_or_b64 exec, exec, s[20:21]
	v_cmp_gt_u32_e32 vcc, s22, v26
	s_and_saveexec_b64 s[20:21], vcc
	s_cbranch_execnz .LBB1847_46
.LBB1847_21:                            ;   in Loop: Header=BB1847_16 Depth=2
	s_or_b64 exec, exec, s[20:21]
	v_cmp_gt_u32_e32 vcc, s22, v27
	s_and_saveexec_b64 s[20:21], vcc
	s_cbranch_execnz .LBB1847_47
.LBB1847_22:                            ;   in Loop: Header=BB1847_16 Depth=2
	s_or_b64 exec, exec, s[20:21]
	v_cmp_gt_u32_e32 vcc, s22, v28
	s_and_saveexec_b64 s[20:21], vcc
	s_cbranch_execnz .LBB1847_48
.LBB1847_23:                            ;   in Loop: Header=BB1847_16 Depth=2
	s_or_b64 exec, exec, s[20:21]
	v_cmp_gt_u32_e32 vcc, s22, v31
	s_and_saveexec_b64 s[20:21], vcc
	s_cbranch_execnz .LBB1847_49
.LBB1847_24:                            ;   in Loop: Header=BB1847_16 Depth=2
	s_or_b64 exec, exec, s[20:21]
	v_cmp_gt_u32_e32 vcc, s22, v32
	s_and_saveexec_b64 s[20:21], vcc
	s_cbranch_execnz .LBB1847_50
.LBB1847_25:                            ;   in Loop: Header=BB1847_16 Depth=2
	s_or_b64 exec, exec, s[20:21]
	v_cmp_gt_u32_e32 vcc, s22, v33
	s_and_saveexec_b64 s[20:21], vcc
	s_cbranch_execnz .LBB1847_51
.LBB1847_26:                            ;   in Loop: Header=BB1847_16 Depth=2
	s_or_b64 exec, exec, s[20:21]
	v_cmp_gt_u32_e32 vcc, s22, v34
	s_and_saveexec_b64 s[20:21], vcc
	s_cbranch_execz .LBB1847_28
.LBB1847_27:                            ;   in Loop: Header=BB1847_16 Depth=2
	global_load_ushort v4, v64, s[18:19] offset:3584
.LBB1847_28:                            ;   in Loop: Header=BB1847_16 Depth=2
	s_or_b64 exec, exec, s[20:21]
	s_mov_b32 s20, s22
	s_waitcnt vmcnt(0)
	v_mov_b32_e32 v12, v11
	v_mov_b32_e32 v13, v10
	;; [unrolled: 1-line block ×8, first 2 shown]
.LBB1847_29:                            ;   in Loop: Header=BB1847_16 Depth=2
	s_waitcnt vmcnt(0)
	v_mov_b32_e32 v4, v19
	v_mov_b32_e32 v5, v18
	;; [unrolled: 1-line block ×8, first 2 shown]
	v_cmp_gt_u32_e32 vcc, s20, v0
	s_and_saveexec_b64 s[18:19], vcc
	s_cbranch_execnz .LBB1847_37
; %bb.30:                               ;   in Loop: Header=BB1847_16 Depth=2
	s_or_b64 exec, exec, s[18:19]
	v_cmp_gt_u32_e32 vcc, s20, v26
	s_and_saveexec_b64 s[18:19], vcc
	s_cbranch_execnz .LBB1847_38
.LBB1847_31:                            ;   in Loop: Header=BB1847_16 Depth=2
	s_or_b64 exec, exec, s[18:19]
	v_cmp_gt_u32_e32 vcc, s20, v27
	s_and_saveexec_b64 s[18:19], vcc
	s_cbranch_execnz .LBB1847_39
.LBB1847_32:                            ;   in Loop: Header=BB1847_16 Depth=2
	s_or_b64 exec, exec, s[18:19]
	v_cmp_gt_u32_e32 vcc, s20, v28
	s_and_saveexec_b64 s[18:19], vcc
	s_cbranch_execnz .LBB1847_40
.LBB1847_33:                            ;   in Loop: Header=BB1847_16 Depth=2
	s_or_b64 exec, exec, s[18:19]
	v_cmp_gt_u32_e32 vcc, s20, v31
	s_and_saveexec_b64 s[18:19], vcc
	s_cbranch_execnz .LBB1847_41
.LBB1847_34:                            ;   in Loop: Header=BB1847_16 Depth=2
	s_or_b64 exec, exec, s[18:19]
	v_cmp_gt_u32_e32 vcc, s20, v32
	s_and_saveexec_b64 s[18:19], vcc
	s_cbranch_execnz .LBB1847_42
.LBB1847_35:                            ;   in Loop: Header=BB1847_16 Depth=2
	s_or_b64 exec, exec, s[18:19]
	v_cmp_gt_u32_e32 vcc, s20, v33
	s_and_saveexec_b64 s[18:19], vcc
	s_cbranch_execnz .LBB1847_43
.LBB1847_36:                            ;   in Loop: Header=BB1847_16 Depth=2
	s_or_b64 exec, exec, s[18:19]
	v_cmp_gt_u32_e32 vcc, s20, v34
	s_and_saveexec_b64 s[18:19], vcc
	s_cbranch_execz .LBB1847_15
	s_branch .LBB1847_44
.LBB1847_37:                            ;   in Loop: Header=BB1847_16 Depth=2
	v_cmp_lt_i16_e32 vcc, -1, v11
	v_cndmask_b32_e32 v12, -1, v65, vcc
	v_xor_b32_e32 v12, v12, v11
	v_cmp_ne_u16_e32 vcc, s7, v12
	v_cndmask_b32_e32 v12, v65, v12, vcc
	v_lshrrev_b32_sdwa v12, s62, v12 dst_sel:DWORD dst_unused:UNUSED_PAD src0_sel:DWORD src1_sel:WORD_0
	v_and_b32_e32 v12, s63, v12
	v_lshl_or_b32 v12, v12, 4, v35
	ds_add_u32 v12, v61
	s_or_b64 exec, exec, s[18:19]
	v_cmp_gt_u32_e32 vcc, s20, v26
	s_and_saveexec_b64 s[18:19], vcc
	s_cbranch_execz .LBB1847_31
.LBB1847_38:                            ;   in Loop: Header=BB1847_16 Depth=2
	v_cmp_lt_i16_e32 vcc, -1, v10
	v_cndmask_b32_e32 v12, -1, v65, vcc
	v_xor_b32_e32 v12, v12, v10
	v_cmp_ne_u16_e32 vcc, s7, v12
	v_cndmask_b32_e32 v12, v65, v12, vcc
	v_lshrrev_b32_sdwa v12, s62, v12 dst_sel:DWORD dst_unused:UNUSED_PAD src0_sel:DWORD src1_sel:WORD_0
	v_and_b32_e32 v12, s63, v12
	v_lshl_or_b32 v12, v12, 4, v35
	ds_add_u32 v12, v61
	s_or_b64 exec, exec, s[18:19]
	v_cmp_gt_u32_e32 vcc, s20, v27
	s_and_saveexec_b64 s[18:19], vcc
	s_cbranch_execz .LBB1847_32
.LBB1847_39:                            ;   in Loop: Header=BB1847_16 Depth=2
	v_cmp_lt_i16_e32 vcc, -1, v9
	v_cndmask_b32_e32 v12, -1, v65, vcc
	v_xor_b32_e32 v12, v12, v9
	v_cmp_ne_u16_e32 vcc, s7, v12
	v_cndmask_b32_e32 v12, v65, v12, vcc
	v_lshrrev_b32_sdwa v12, s62, v12 dst_sel:DWORD dst_unused:UNUSED_PAD src0_sel:DWORD src1_sel:WORD_0
	v_and_b32_e32 v12, s63, v12
	v_lshl_or_b32 v12, v12, 4, v35
	ds_add_u32 v12, v61
	s_or_b64 exec, exec, s[18:19]
	v_cmp_gt_u32_e32 vcc, s20, v28
	s_and_saveexec_b64 s[18:19], vcc
	s_cbranch_execz .LBB1847_33
.LBB1847_40:                            ;   in Loop: Header=BB1847_16 Depth=2
	v_cmp_lt_i16_e32 vcc, -1, v8
	v_cndmask_b32_e32 v12, -1, v65, vcc
	v_xor_b32_e32 v12, v12, v8
	v_cmp_ne_u16_e32 vcc, s7, v12
	v_cndmask_b32_e32 v12, v65, v12, vcc
	v_lshrrev_b32_sdwa v12, s62, v12 dst_sel:DWORD dst_unused:UNUSED_PAD src0_sel:DWORD src1_sel:WORD_0
	v_and_b32_e32 v12, s63, v12
	v_lshl_or_b32 v12, v12, 4, v35
	ds_add_u32 v12, v61
	s_or_b64 exec, exec, s[18:19]
	v_cmp_gt_u32_e32 vcc, s20, v31
	s_and_saveexec_b64 s[18:19], vcc
	s_cbranch_execz .LBB1847_34
.LBB1847_41:                            ;   in Loop: Header=BB1847_16 Depth=2
	v_cmp_lt_i16_e32 vcc, -1, v7
	v_cndmask_b32_e32 v12, -1, v65, vcc
	v_xor_b32_e32 v12, v12, v7
	v_cmp_ne_u16_e32 vcc, s7, v12
	v_cndmask_b32_e32 v12, v65, v12, vcc
	v_lshrrev_b32_sdwa v12, s62, v12 dst_sel:DWORD dst_unused:UNUSED_PAD src0_sel:DWORD src1_sel:WORD_0
	v_and_b32_e32 v12, s63, v12
	v_lshl_or_b32 v12, v12, 4, v35
	ds_add_u32 v12, v61
	s_or_b64 exec, exec, s[18:19]
	v_cmp_gt_u32_e32 vcc, s20, v32
	s_and_saveexec_b64 s[18:19], vcc
	s_cbranch_execz .LBB1847_35
.LBB1847_42:                            ;   in Loop: Header=BB1847_16 Depth=2
	v_cmp_lt_i16_e32 vcc, -1, v6
	v_cndmask_b32_e32 v12, -1, v65, vcc
	v_xor_b32_e32 v12, v12, v6
	v_cmp_ne_u16_e32 vcc, s7, v12
	v_cndmask_b32_e32 v12, v65, v12, vcc
	v_lshrrev_b32_sdwa v12, s62, v12 dst_sel:DWORD dst_unused:UNUSED_PAD src0_sel:DWORD src1_sel:WORD_0
	v_and_b32_e32 v12, s63, v12
	v_lshl_or_b32 v12, v12, 4, v35
	ds_add_u32 v12, v61
	s_or_b64 exec, exec, s[18:19]
	v_cmp_gt_u32_e32 vcc, s20, v33
	s_and_saveexec_b64 s[18:19], vcc
	s_cbranch_execz .LBB1847_36
.LBB1847_43:                            ;   in Loop: Header=BB1847_16 Depth=2
	v_cmp_lt_i16_e32 vcc, -1, v5
	v_cndmask_b32_e32 v12, -1, v65, vcc
	v_xor_b32_e32 v12, v12, v5
	v_cmp_ne_u16_e32 vcc, s7, v12
	v_cndmask_b32_e32 v12, v65, v12, vcc
	v_lshrrev_b32_sdwa v12, s62, v12 dst_sel:DWORD dst_unused:UNUSED_PAD src0_sel:DWORD src1_sel:WORD_0
	v_and_b32_e32 v12, s63, v12
	v_lshl_or_b32 v12, v12, 4, v35
	ds_add_u32 v12, v61
	s_or_b64 exec, exec, s[18:19]
	v_cmp_gt_u32_e32 vcc, s20, v34
	s_and_saveexec_b64 s[18:19], vcc
	s_cbranch_execz .LBB1847_15
.LBB1847_44:                            ;   in Loop: Header=BB1847_16 Depth=2
	v_cmp_lt_i16_e32 vcc, -1, v4
	v_cndmask_b32_e32 v12, -1, v65, vcc
	v_xor_b32_e32 v12, v12, v4
	v_cmp_ne_u16_e32 vcc, s7, v12
	v_cndmask_b32_e32 v12, v65, v12, vcc
	v_lshrrev_b32_sdwa v12, s62, v12 dst_sel:DWORD dst_unused:UNUSED_PAD src0_sel:DWORD src1_sel:WORD_0
	v_and_b32_e32 v12, s63, v12
	v_lshl_or_b32 v12, v12, 4, v35
	ds_add_u32 v12, v61
	s_branch .LBB1847_15
.LBB1847_45:                            ;   in Loop: Header=BB1847_16 Depth=2
	global_load_ushort v11, v64, s[18:19]
	s_or_b64 exec, exec, s[20:21]
	v_cmp_gt_u32_e32 vcc, s22, v26
	s_and_saveexec_b64 s[20:21], vcc
	s_cbranch_execz .LBB1847_21
.LBB1847_46:                            ;   in Loop: Header=BB1847_16 Depth=2
	global_load_ushort v10, v64, s[18:19] offset:512
	s_or_b64 exec, exec, s[20:21]
	v_cmp_gt_u32_e32 vcc, s22, v27
	s_and_saveexec_b64 s[20:21], vcc
	s_cbranch_execz .LBB1847_22
.LBB1847_47:                            ;   in Loop: Header=BB1847_16 Depth=2
	global_load_ushort v9, v64, s[18:19] offset:1024
	s_or_b64 exec, exec, s[20:21]
	v_cmp_gt_u32_e32 vcc, s22, v28
	s_and_saveexec_b64 s[20:21], vcc
	s_cbranch_execz .LBB1847_23
.LBB1847_48:                            ;   in Loop: Header=BB1847_16 Depth=2
	global_load_ushort v8, v64, s[18:19] offset:1536
	s_or_b64 exec, exec, s[20:21]
	v_cmp_gt_u32_e32 vcc, s22, v31
	s_and_saveexec_b64 s[20:21], vcc
	s_cbranch_execz .LBB1847_24
.LBB1847_49:                            ;   in Loop: Header=BB1847_16 Depth=2
	global_load_ushort v7, v64, s[18:19] offset:2048
	s_or_b64 exec, exec, s[20:21]
	v_cmp_gt_u32_e32 vcc, s22, v32
	s_and_saveexec_b64 s[20:21], vcc
	s_cbranch_execz .LBB1847_25
.LBB1847_50:                            ;   in Loop: Header=BB1847_16 Depth=2
	global_load_ushort v6, v64, s[18:19] offset:2560
	s_or_b64 exec, exec, s[20:21]
	v_cmp_gt_u32_e32 vcc, s22, v33
	s_and_saveexec_b64 s[20:21], vcc
	s_cbranch_execz .LBB1847_26
.LBB1847_51:                            ;   in Loop: Header=BB1847_16 Depth=2
	global_load_ushort v5, v64, s[18:19] offset:3072
	s_or_b64 exec, exec, s[20:21]
	v_cmp_gt_u32_e32 vcc, s22, v34
	s_and_saveexec_b64 s[20:21], vcc
	s_cbranch_execnz .LBB1847_27
	s_branch .LBB1847_28
.LBB1847_52:                            ;   in Loop: Header=BB1847_12 Depth=1
	v_mov_b32_e32 v4, 0
	s_waitcnt lgkmcnt(0)
	s_barrier
	s_and_saveexec_b64 s[18:19], s[4:5]
	s_cbranch_execz .LBB1847_54
; %bb.53:                               ;   in Loop: Header=BB1847_12 Depth=1
	ds_read2_b64 v[4:7], v36 offset1:1
	s_waitcnt lgkmcnt(0)
	v_add_u32_e32 v4, v5, v4
	v_add3_u32 v4, v4, v6, v7
.LBB1847_54:                            ;   in Loop: Header=BB1847_12 Depth=1
	s_or_b64 exec, exec, s[18:19]
	s_nop 0
	v_mov_b32_dpp v5, v4 row_shr:1 row_mask:0xf bank_mask:0xf
	v_cmp_eq_u32_e64 s[18:19], 0, v67
	v_cndmask_b32_e64 v5, v5, 0, s[18:19]
	v_add_u32_e32 v4, v5, v4
	v_cmp_lt_u32_e64 s[20:21], 1, v67
	v_cmp_lt_u32_e64 s[22:23], 3, v67
	v_mov_b32_dpp v5, v4 row_shr:2 row_mask:0xf bank_mask:0xf
	v_cndmask_b32_e64 v5, 0, v5, s[20:21]
	v_add_u32_e32 v4, v4, v5
	v_cmp_lt_u32_e64 s[24:25], 7, v67
	v_cmp_lt_u32_e64 s[28:29], 31, v66
	v_mov_b32_dpp v5, v4 row_shr:4 row_mask:0xf bank_mask:0xf
	v_cndmask_b32_e64 v5, 0, v5, s[22:23]
	v_add_u32_e32 v4, v4, v5
	v_cmp_eq_u32_e64 s[26:27], 0, v69
	s_nop 0
	v_mov_b32_dpp v5, v4 row_shr:8 row_mask:0xf bank_mask:0xf
	v_cndmask_b32_e64 v5, 0, v5, s[24:25]
	v_add_u32_e32 v4, v4, v5
	s_nop 1
	v_mov_b32_dpp v5, v4 row_bcast:15 row_mask:0xf bank_mask:0xf
	v_and_b32_e32 v5, v68, v5
	v_add_u32_e32 v4, v4, v5
	s_nop 1
	v_mov_b32_dpp v5, v4 row_bcast:31 row_mask:0xf bank_mask:0xf
	v_cndmask_b32_e64 v5, 0, v5, s[28:29]
	v_add_u32_e32 v4, v4, v5
	s_and_saveexec_b64 s[30:31], s[8:9]
; %bb.55:                               ;   in Loop: Header=BB1847_12 Depth=1
	ds_write_b32 v38, v4
; %bb.56:                               ;   in Loop: Header=BB1847_12 Depth=1
	s_or_b64 exec, exec, s[30:31]
	s_waitcnt lgkmcnt(0)
	s_barrier
	s_and_saveexec_b64 s[30:31], s[10:11]
	s_cbranch_execz .LBB1847_58
; %bb.57:                               ;   in Loop: Header=BB1847_12 Depth=1
	ds_read_b32 v5, v39
	v_cmp_ne_u32_e32 vcc, 0, v70
	s_waitcnt lgkmcnt(0)
	v_mov_b32_dpp v6, v5 row_shr:1 row_mask:0xf bank_mask:0xf
	v_cndmask_b32_e32 v6, 0, v6, vcc
	v_add_u32_e32 v5, v6, v5
	v_cmp_lt_u32_e32 vcc, 1, v70
	s_nop 0
	v_mov_b32_dpp v6, v5 row_shr:2 row_mask:0xf bank_mask:0xf
	v_cndmask_b32_e32 v6, 0, v6, vcc
	v_add_u32_e32 v5, v5, v6
	ds_write_b32 v39, v5
.LBB1847_58:                            ;   in Loop: Header=BB1847_12 Depth=1
	s_or_b64 exec, exec, s[30:31]
	v_mov_b32_e32 v5, 0
	s_waitcnt lgkmcnt(0)
	s_barrier
	s_and_saveexec_b64 s[30:31], s[12:13]
; %bb.59:                               ;   in Loop: Header=BB1847_12 Depth=1
	ds_read_b32 v5, v40
; %bb.60:                               ;   in Loop: Header=BB1847_12 Depth=1
	s_or_b64 exec, exec, s[30:31]
	v_subrev_co_u32_e64 v6, s[30:31], 1, v66
	v_cmp_lt_i32_e32 vcc, v6, v71
	v_cndmask_b32_e32 v6, v6, v66, vcc
	s_waitcnt lgkmcnt(0)
	v_add_u32_e32 v4, v5, v4
	v_lshlrev_b32_e32 v82, 2, v6
	ds_bpermute_b32 v4, v82, v4
	s_waitcnt lgkmcnt(0)
	s_barrier
	s_and_saveexec_b64 s[34:35], s[4:5]
; %bb.61:                               ;   in Loop: Header=BB1847_12 Depth=1
	v_cndmask_b32_e64 v4, v4, v5, s[30:31]
	v_add_u32_e32 v4, s80, v4
	ds_write_b32 v25, v4
; %bb.62:                               ;   in Loop: Header=BB1847_12 Depth=1
	s_or_b64 exec, exec, s[34:35]
	s_load_dword s34, s[56:57], 0x4
	s_load_dword s38, s[56:57], 0xc
	v_add_co_u32_e32 v83, vcc, v43, v72
	v_addc_co_u32_e32 v84, vcc, 0, v44, vcc
	s_waitcnt lgkmcnt(0)
	s_cmp_lt_u32 s33, s34
	s_cselect_b32 s34, 14, 20
	s_add_u32 s34, s56, s34
	s_addc_u32 s35, s57, 0
	global_load_ushort v4, v3, s[34:35]
	s_and_b32 s38, s38, 0xffff
	v_add_co_u32_e32 v85, vcc, v45, v81
	v_cmp_eq_u32_e64 s[34:35], 0, v70
	v_cmp_lt_u32_e64 s[36:37], 1, v70
	v_addc_co_u32_e32 v86, vcc, 0, v46, vcc
	s_mov_b32 s70, s79
	s_mov_b32 s58, s80
                                        ; implicit-def: $vgpr7_vgpr8
                                        ; implicit-def: $vgpr9_vgpr10
                                        ; implicit-def: $vgpr11_vgpr12
                                        ; implicit-def: $vgpr13_vgpr14
                                        ; implicit-def: $vgpr15_vgpr16
                                        ; implicit-def: $vgpr17_vgpr18
                                        ; implicit-def: $vgpr19_vgpr20
                                        ; implicit-def: $vgpr87
                                        ; implicit-def: $vgpr88
                                        ; implicit-def: $vgpr89
                                        ; implicit-def: $vgpr90
                                        ; implicit-def: $vgpr92
                                        ; implicit-def: $vgpr93
                                        ; implicit-def: $vgpr94
                                        ; implicit-def: $vgpr95
	s_waitcnt vmcnt(0)
	v_mad_u32_u24 v4, v2, v4, v1
	v_mad_u64_u32 v[4:5], s[38:39], v4, s38, v[0:1]
                                        ; implicit-def: $vgpr5_vgpr6
	v_lshrrev_b32_e32 v4, 4, v4
	v_and_b32_e32 v91, 0xffffffc, v4
	s_branch .LBB1847_64
.LBB1847_63:                            ;   in Loop: Header=BB1847_64 Depth=2
	s_or_b64 exec, exec, s[38:39]
	s_addk_i32 s70, 0xf800
	s_cmp_lt_u32 s71, s81
	s_mov_b32 s58, s71
	s_cbranch_scc0 .LBB1847_176
.LBB1847_64:                            ;   Parent Loop BB1847_12 Depth=1
                                        ; =>  This Inner Loop Header: Depth=2
	s_add_i32 s71, s58, 0x800
	s_cmp_gt_u32 s71, s81
	s_cbranch_scc1 .LBB1847_66
; %bb.65:                               ;   in Loop: Header=BB1847_64 Depth=2
	s_lshl_b64 s[38:39], s[58:59], 1
	v_mov_b32_e32 v4, s39
	v_add_co_u32_e32 v21, vcc, s38, v85
	v_addc_co_u32_e32 v22, vcc, v86, v4, vcc
	global_load_ushort v4, v[21:22], off
	global_load_ushort v99, v[21:22], off offset:128
	global_load_ushort v103, v[21:22], off offset:256
	;; [unrolled: 1-line block ×6, first 2 shown]
	s_mov_b64 s[38:39], -1
	s_movk_i32 s42, 0x800
	s_cbranch_execz .LBB1847_67
	s_branch .LBB1847_82
.LBB1847_66:                            ;   in Loop: Header=BB1847_64 Depth=2
	s_mov_b64 s[38:39], 0
                                        ; implicit-def: $vgpr4
                                        ; implicit-def: $vgpr99
                                        ; implicit-def: $vgpr103
                                        ; implicit-def: $vgpr107
                                        ; implicit-def: $vgpr112
                                        ; implicit-def: $vgpr108
                                        ; implicit-def: $vgpr24
	s_movk_i32 s42, 0x800
.LBB1847_67:                            ;   in Loop: Header=BB1847_64 Depth=2
	s_lshl_b64 s[38:39], s[58:59], 1
	s_waitcnt vmcnt(6)
	v_mov_b32_e32 v4, s39
	v_add_co_u32_e32 v21, vcc, s38, v85
	v_addc_co_u32_e32 v22, vcc, v86, v4, vcc
	v_cmp_gt_u32_e32 vcc, s70, v73
	s_waitcnt vmcnt(5)
	v_mov_b32_e32 v99, 0x7fff
	v_mov_b32_e32 v4, 0x7fff
	s_and_saveexec_b64 s[38:39], vcc
	s_cbranch_execz .LBB1847_69
; %bb.68:                               ;   in Loop: Header=BB1847_64 Depth=2
	global_load_ushort v4, v[21:22], off
.LBB1847_69:                            ;   in Loop: Header=BB1847_64 Depth=2
	s_or_b64 exec, exec, s[38:39]
	v_cmp_gt_u32_e32 vcc, s70, v74
	s_and_saveexec_b64 s[38:39], vcc
	s_cbranch_execz .LBB1847_71
; %bb.70:                               ;   in Loop: Header=BB1847_64 Depth=2
	global_load_ushort v99, v[21:22], off offset:128
.LBB1847_71:                            ;   in Loop: Header=BB1847_64 Depth=2
	s_or_b64 exec, exec, s[38:39]
	v_cmp_gt_u32_e32 vcc, s70, v75
	s_waitcnt vmcnt(3)
	v_mov_b32_e32 v107, 0x7fff
	v_mov_b32_e32 v103, 0x7fff
	s_and_saveexec_b64 s[38:39], vcc
	s_cbranch_execz .LBB1847_73
; %bb.72:                               ;   in Loop: Header=BB1847_64 Depth=2
	global_load_ushort v103, v[21:22], off offset:256
.LBB1847_73:                            ;   in Loop: Header=BB1847_64 Depth=2
	s_or_b64 exec, exec, s[38:39]
	v_cmp_gt_u32_e32 vcc, s70, v76
	s_and_saveexec_b64 s[38:39], vcc
	s_cbranch_execz .LBB1847_75
; %bb.74:                               ;   in Loop: Header=BB1847_64 Depth=2
	global_load_ushort v107, v[21:22], off offset:384
.LBB1847_75:                            ;   in Loop: Header=BB1847_64 Depth=2
	s_or_b64 exec, exec, s[38:39]
	v_cmp_gt_u32_e32 vcc, s70, v77
	s_waitcnt vmcnt(1)
	v_mov_b32_e32 v108, 0x7fff
	v_mov_b32_e32 v112, 0x7fff
	s_and_saveexec_b64 s[38:39], vcc
	s_cbranch_execz .LBB1847_77
; %bb.76:                               ;   in Loop: Header=BB1847_64 Depth=2
	global_load_ushort v112, v[21:22], off offset:512
.LBB1847_77:                            ;   in Loop: Header=BB1847_64 Depth=2
	s_or_b64 exec, exec, s[38:39]
	v_cmp_gt_u32_e32 vcc, s70, v78
	s_and_saveexec_b64 s[38:39], vcc
	s_cbranch_execz .LBB1847_79
; %bb.78:                               ;   in Loop: Header=BB1847_64 Depth=2
	global_load_ushort v108, v[21:22], off offset:640
.LBB1847_79:                            ;   in Loop: Header=BB1847_64 Depth=2
	s_or_b64 exec, exec, s[38:39]
	v_cmp_gt_u32_e32 vcc, s70, v79
	s_waitcnt vmcnt(0)
	v_mov_b32_e32 v24, 0x7fff
	s_and_saveexec_b64 s[38:39], vcc
	s_cbranch_execz .LBB1847_81
; %bb.80:                               ;   in Loop: Header=BB1847_64 Depth=2
	global_load_ushort v24, v[21:22], off offset:768
.LBB1847_81:                            ;   in Loop: Header=BB1847_64 Depth=2
	s_or_b64 exec, exec, s[38:39]
	s_sub_i32 s42, s81, s58
	v_cmp_gt_u32_e64 s[38:39], s70, v80
.LBB1847_82:                            ;   in Loop: Header=BB1847_64 Depth=2
	v_mov_b32_e32 v23, 0x7fff
	v_mov_b32_e32 v96, s70
	s_and_saveexec_b64 s[40:41], s[38:39]
	s_cbranch_execz .LBB1847_84
; %bb.83:                               ;   in Loop: Header=BB1847_64 Depth=2
	s_lshl_b64 s[38:39], s[58:59], 1
	v_mov_b32_e32 v22, s39
	v_add_co_u32_e32 v21, vcc, s38, v85
	v_addc_co_u32_e32 v22, vcc, v86, v22, vcc
	global_load_ushort v23, v[21:22], off offset:896
	v_mov_b32_e32 v96, s42
.LBB1847_84:                            ;   in Loop: Header=BB1847_64 Depth=2
	s_or_b64 exec, exec, s[40:41]
	s_waitcnt vmcnt(6)
	v_cmp_lt_i16_e32 vcc, -1, v4
	v_cndmask_b32_e32 v21, -1, v65, vcc
	v_xor_b32_e32 v97, v21, v4
	v_cmp_ne_u16_e32 vcc, s7, v97
	v_cndmask_b32_e32 v4, v65, v97, vcc
	v_lshrrev_b32_sdwa v4, s62, v4 dst_sel:DWORD dst_unused:UNUSED_PAD src0_sel:DWORD src1_sel:WORD_0
	v_and_b32_e32 v21, s63, v4
	v_and_b32_e32 v4, 1, v21
	v_add_co_u32_e32 v22, vcc, -1, v4
	v_addc_co_u32_e64 v98, s[38:39], 0, -1, vcc
	v_cmp_ne_u32_e32 vcc, 0, v4
	v_xor_b32_e32 v4, vcc_hi, v98
	v_and_b32_e32 v98, exec_hi, v4
	v_lshlrev_b32_e32 v4, 30, v21
	v_xor_b32_e32 v22, vcc_lo, v22
	v_cmp_gt_i64_e32 vcc, 0, v[3:4]
	v_not_b32_e32 v4, v4
	v_ashrrev_i32_e32 v4, 31, v4
	v_and_b32_e32 v22, exec_lo, v22
	v_xor_b32_e32 v101, vcc_hi, v4
	v_xor_b32_e32 v4, vcc_lo, v4
	v_and_b32_e32 v22, v22, v4
	v_lshlrev_b32_e32 v4, 29, v21
	v_cmp_gt_i64_e32 vcc, 0, v[3:4]
	v_not_b32_e32 v4, v4
	v_ashrrev_i32_e32 v4, 31, v4
	v_and_b32_e32 v98, v98, v101
	v_xor_b32_e32 v101, vcc_hi, v4
	v_xor_b32_e32 v4, vcc_lo, v4
	v_and_b32_e32 v22, v22, v4
	v_lshlrev_b32_e32 v4, 28, v21
	v_cmp_gt_i64_e32 vcc, 0, v[3:4]
	v_not_b32_e32 v4, v4
	v_ashrrev_i32_e32 v4, 31, v4
	v_and_b32_e32 v98, v98, v101
	;; [unrolled: 8-line block ×5, first 2 shown]
	v_xor_b32_e32 v101, vcc_hi, v4
	v_xor_b32_e32 v4, vcc_lo, v4
	v_and_b32_e32 v98, v98, v101
	v_and_b32_e32 v101, v22, v4
	v_lshlrev_b32_e32 v4, 24, v21
	v_cmp_gt_i64_e32 vcc, 0, v[3:4]
	v_not_b32_e32 v4, v4
	v_ashrrev_i32_e32 v4, 31, v4
	v_mul_u32_u24_e32 v100, 20, v21
	v_xor_b32_e32 v21, vcc_hi, v4
	v_xor_b32_e32 v4, vcc_lo, v4
	v_and_b32_e32 v22, v98, v21
	v_and_b32_e32 v21, v101, v4
	v_mbcnt_lo_u32_b32 v4, v21, 0
	v_mbcnt_hi_u32_b32 v98, v22, v4
	v_cmp_ne_u64_e32 vcc, 0, v[21:22]
	v_cmp_eq_u32_e64 s[38:39], 0, v98
	s_and_b64 s[40:41], vcc, s[38:39]
	v_add_u32_e32 v101, v91, v100
	ds_write2_b32 v62, v3, v3 offset1:1
	ds_write2_b32 v63, v3, v3 offset1:1
	ds_write_b32 v41, v3 offset:1056
	s_waitcnt vmcnt(0) lgkmcnt(0)
	s_barrier
	; wave barrier
	s_and_saveexec_b64 s[38:39], s[40:41]
; %bb.85:                               ;   in Loop: Header=BB1847_64 Depth=2
	v_bcnt_u32_b32 v4, v21, 0
	v_bcnt_u32_b32 v4, v22, v4
	ds_write_b32 v101, v4 offset:1040
; %bb.86:                               ;   in Loop: Header=BB1847_64 Depth=2
	s_or_b64 exec, exec, s[38:39]
	v_cmp_lt_i16_e32 vcc, -1, v99
	v_cndmask_b32_e32 v4, -1, v65, vcc
	v_xor_b32_e32 v99, v4, v99
	v_cmp_ne_u16_e32 vcc, s7, v99
	v_cndmask_b32_e32 v4, v65, v99, vcc
	v_lshrrev_b32_sdwa v4, s62, v4 dst_sel:DWORD dst_unused:UNUSED_PAD src0_sel:DWORD src1_sel:WORD_0
	v_and_b32_e32 v21, s63, v4
	v_mad_u32_u24 v4, v21, 20, v91
	; wave barrier
	ds_read_b32 v100, v4 offset:1040
	v_and_b32_e32 v4, 1, v21
	v_add_co_u32_e32 v22, vcc, -1, v4
	v_addc_co_u32_e64 v102, s[38:39], 0, -1, vcc
	v_cmp_ne_u32_e32 vcc, 0, v4
	v_xor_b32_e32 v4, vcc_hi, v102
	v_and_b32_e32 v102, exec_hi, v4
	v_lshlrev_b32_e32 v4, 30, v21
	v_xor_b32_e32 v22, vcc_lo, v22
	v_cmp_gt_i64_e32 vcc, 0, v[3:4]
	v_not_b32_e32 v4, v4
	v_ashrrev_i32_e32 v4, 31, v4
	v_and_b32_e32 v22, exec_lo, v22
	v_xor_b32_e32 v105, vcc_hi, v4
	v_xor_b32_e32 v4, vcc_lo, v4
	v_and_b32_e32 v22, v22, v4
	v_lshlrev_b32_e32 v4, 29, v21
	v_cmp_gt_i64_e32 vcc, 0, v[3:4]
	v_not_b32_e32 v4, v4
	v_ashrrev_i32_e32 v4, 31, v4
	v_and_b32_e32 v102, v102, v105
	v_xor_b32_e32 v105, vcc_hi, v4
	v_xor_b32_e32 v4, vcc_lo, v4
	v_and_b32_e32 v22, v22, v4
	v_lshlrev_b32_e32 v4, 28, v21
	v_cmp_gt_i64_e32 vcc, 0, v[3:4]
	v_not_b32_e32 v4, v4
	v_ashrrev_i32_e32 v4, 31, v4
	v_and_b32_e32 v102, v102, v105
	;; [unrolled: 8-line block ×5, first 2 shown]
	v_xor_b32_e32 v105, vcc_hi, v4
	v_xor_b32_e32 v4, vcc_lo, v4
	v_and_b32_e32 v102, v102, v105
	v_and_b32_e32 v105, v22, v4
	v_lshlrev_b32_e32 v4, 24, v21
	v_cmp_gt_i64_e32 vcc, 0, v[3:4]
	v_not_b32_e32 v4, v4
	v_ashrrev_i32_e32 v4, 31, v4
	v_mul_u32_u24_e32 v104, 20, v21
	v_xor_b32_e32 v21, vcc_hi, v4
	v_xor_b32_e32 v4, vcc_lo, v4
	v_and_b32_e32 v22, v102, v21
	v_and_b32_e32 v21, v105, v4
	v_mbcnt_lo_u32_b32 v4, v21, 0
	v_mbcnt_hi_u32_b32 v102, v22, v4
	v_cmp_ne_u64_e32 vcc, 0, v[21:22]
	v_cmp_eq_u32_e64 s[38:39], 0, v102
	s_and_b64 s[40:41], vcc, s[38:39]
	v_add_u32_e32 v105, v91, v104
	; wave barrier
	s_and_saveexec_b64 s[38:39], s[40:41]
	s_cbranch_execz .LBB1847_88
; %bb.87:                               ;   in Loop: Header=BB1847_64 Depth=2
	v_bcnt_u32_b32 v4, v21, 0
	v_bcnt_u32_b32 v4, v22, v4
	s_waitcnt lgkmcnt(0)
	v_add_u32_e32 v4, v100, v4
	ds_write_b32 v105, v4 offset:1040
.LBB1847_88:                            ;   in Loop: Header=BB1847_64 Depth=2
	s_or_b64 exec, exec, s[38:39]
	v_cmp_lt_i16_e32 vcc, -1, v103
	v_cndmask_b32_e32 v4, -1, v65, vcc
	v_xor_b32_e32 v103, v4, v103
	v_cmp_ne_u16_e32 vcc, s7, v103
	v_cndmask_b32_e32 v4, v65, v103, vcc
	v_lshrrev_b32_sdwa v4, s62, v4 dst_sel:DWORD dst_unused:UNUSED_PAD src0_sel:DWORD src1_sel:WORD_0
	v_and_b32_e32 v21, s63, v4
	v_mad_u32_u24 v4, v21, 20, v91
	; wave barrier
	ds_read_b32 v104, v4 offset:1040
	v_and_b32_e32 v4, 1, v21
	v_add_co_u32_e32 v22, vcc, -1, v4
	v_addc_co_u32_e64 v106, s[38:39], 0, -1, vcc
	v_cmp_ne_u32_e32 vcc, 0, v4
	v_xor_b32_e32 v4, vcc_hi, v106
	v_and_b32_e32 v106, exec_hi, v4
	v_lshlrev_b32_e32 v4, 30, v21
	v_xor_b32_e32 v22, vcc_lo, v22
	v_cmp_gt_i64_e32 vcc, 0, v[3:4]
	v_not_b32_e32 v4, v4
	v_ashrrev_i32_e32 v4, 31, v4
	v_and_b32_e32 v22, exec_lo, v22
	v_xor_b32_e32 v110, vcc_hi, v4
	v_xor_b32_e32 v4, vcc_lo, v4
	v_and_b32_e32 v22, v22, v4
	v_lshlrev_b32_e32 v4, 29, v21
	v_cmp_gt_i64_e32 vcc, 0, v[3:4]
	v_not_b32_e32 v4, v4
	v_ashrrev_i32_e32 v4, 31, v4
	v_and_b32_e32 v106, v106, v110
	v_xor_b32_e32 v110, vcc_hi, v4
	v_xor_b32_e32 v4, vcc_lo, v4
	v_and_b32_e32 v22, v22, v4
	v_lshlrev_b32_e32 v4, 28, v21
	v_cmp_gt_i64_e32 vcc, 0, v[3:4]
	v_not_b32_e32 v4, v4
	v_ashrrev_i32_e32 v4, 31, v4
	v_and_b32_e32 v106, v106, v110
	v_xor_b32_e32 v110, vcc_hi, v4
	v_xor_b32_e32 v4, vcc_lo, v4
	v_and_b32_e32 v22, v22, v4
	v_lshlrev_b32_e32 v4, 27, v21
	v_cmp_gt_i64_e32 vcc, 0, v[3:4]
	v_not_b32_e32 v4, v4
	v_ashrrev_i32_e32 v4, 31, v4
	v_and_b32_e32 v106, v106, v110
	v_xor_b32_e32 v110, vcc_hi, v4
	v_xor_b32_e32 v4, vcc_lo, v4
	v_and_b32_e32 v22, v22, v4
	v_lshlrev_b32_e32 v4, 26, v21
	v_cmp_gt_i64_e32 vcc, 0, v[3:4]
	v_not_b32_e32 v4, v4
	v_ashrrev_i32_e32 v4, 31, v4
	v_and_b32_e32 v106, v106, v110
	v_xor_b32_e32 v110, vcc_hi, v4
	v_xor_b32_e32 v4, vcc_lo, v4
	v_and_b32_e32 v22, v22, v4
	v_lshlrev_b32_e32 v4, 25, v21
	v_cmp_gt_i64_e32 vcc, 0, v[3:4]
	v_not_b32_e32 v4, v4
	v_ashrrev_i32_e32 v4, 31, v4
	v_and_b32_e32 v106, v106, v110
	v_xor_b32_e32 v110, vcc_hi, v4
	v_xor_b32_e32 v4, vcc_lo, v4
	v_and_b32_e32 v106, v106, v110
	v_and_b32_e32 v110, v22, v4
	v_lshlrev_b32_e32 v4, 24, v21
	v_cmp_gt_i64_e32 vcc, 0, v[3:4]
	v_not_b32_e32 v4, v4
	v_ashrrev_i32_e32 v4, 31, v4
	v_mul_u32_u24_e32 v109, 20, v21
	v_xor_b32_e32 v21, vcc_hi, v4
	v_xor_b32_e32 v4, vcc_lo, v4
	v_and_b32_e32 v22, v106, v21
	v_and_b32_e32 v21, v110, v4
	v_mbcnt_lo_u32_b32 v4, v21, 0
	v_mbcnt_hi_u32_b32 v106, v22, v4
	v_cmp_ne_u64_e32 vcc, 0, v[21:22]
	v_cmp_eq_u32_e64 s[38:39], 0, v106
	s_and_b64 s[40:41], vcc, s[38:39]
	v_add_u32_e32 v110, v91, v109
	; wave barrier
	s_and_saveexec_b64 s[38:39], s[40:41]
	s_cbranch_execz .LBB1847_90
; %bb.89:                               ;   in Loop: Header=BB1847_64 Depth=2
	v_bcnt_u32_b32 v4, v21, 0
	v_bcnt_u32_b32 v4, v22, v4
	s_waitcnt lgkmcnt(0)
	v_add_u32_e32 v4, v104, v4
	ds_write_b32 v110, v4 offset:1040
.LBB1847_90:                            ;   in Loop: Header=BB1847_64 Depth=2
	s_or_b64 exec, exec, s[38:39]
	v_cmp_lt_i16_e32 vcc, -1, v107
	v_cndmask_b32_e32 v4, -1, v65, vcc
	v_xor_b32_e32 v107, v4, v107
	v_cmp_ne_u16_e32 vcc, s7, v107
	v_cndmask_b32_e32 v4, v65, v107, vcc
	v_lshrrev_b32_sdwa v4, s62, v4 dst_sel:DWORD dst_unused:UNUSED_PAD src0_sel:DWORD src1_sel:WORD_0
	v_and_b32_e32 v21, s63, v4
	v_mad_u32_u24 v4, v21, 20, v91
	; wave barrier
	ds_read_b32 v109, v4 offset:1040
	v_and_b32_e32 v4, 1, v21
	v_add_co_u32_e32 v22, vcc, -1, v4
	v_addc_co_u32_e64 v111, s[38:39], 0, -1, vcc
	v_cmp_ne_u32_e32 vcc, 0, v4
	v_xor_b32_e32 v4, vcc_hi, v111
	v_and_b32_e32 v111, exec_hi, v4
	v_lshlrev_b32_e32 v4, 30, v21
	v_xor_b32_e32 v22, vcc_lo, v22
	v_cmp_gt_i64_e32 vcc, 0, v[3:4]
	v_not_b32_e32 v4, v4
	v_ashrrev_i32_e32 v4, 31, v4
	v_and_b32_e32 v22, exec_lo, v22
	v_xor_b32_e32 v114, vcc_hi, v4
	v_xor_b32_e32 v4, vcc_lo, v4
	v_and_b32_e32 v22, v22, v4
	v_lshlrev_b32_e32 v4, 29, v21
	v_cmp_gt_i64_e32 vcc, 0, v[3:4]
	v_not_b32_e32 v4, v4
	v_ashrrev_i32_e32 v4, 31, v4
	v_and_b32_e32 v111, v111, v114
	v_xor_b32_e32 v114, vcc_hi, v4
	v_xor_b32_e32 v4, vcc_lo, v4
	v_and_b32_e32 v22, v22, v4
	v_lshlrev_b32_e32 v4, 28, v21
	v_cmp_gt_i64_e32 vcc, 0, v[3:4]
	v_not_b32_e32 v4, v4
	v_ashrrev_i32_e32 v4, 31, v4
	v_and_b32_e32 v111, v111, v114
	;; [unrolled: 8-line block ×5, first 2 shown]
	v_xor_b32_e32 v114, vcc_hi, v4
	v_xor_b32_e32 v4, vcc_lo, v4
	v_and_b32_e32 v111, v111, v114
	v_and_b32_e32 v114, v22, v4
	v_lshlrev_b32_e32 v4, 24, v21
	v_cmp_gt_i64_e32 vcc, 0, v[3:4]
	v_not_b32_e32 v4, v4
	v_ashrrev_i32_e32 v4, 31, v4
	v_mul_u32_u24_e32 v113, 20, v21
	v_xor_b32_e32 v21, vcc_hi, v4
	v_xor_b32_e32 v4, vcc_lo, v4
	v_and_b32_e32 v22, v111, v21
	v_and_b32_e32 v21, v114, v4
	v_mbcnt_lo_u32_b32 v4, v21, 0
	v_mbcnt_hi_u32_b32 v111, v22, v4
	v_cmp_ne_u64_e32 vcc, 0, v[21:22]
	v_cmp_eq_u32_e64 s[38:39], 0, v111
	s_and_b64 s[40:41], vcc, s[38:39]
	v_add_u32_e32 v114, v91, v113
	; wave barrier
	s_and_saveexec_b64 s[38:39], s[40:41]
	s_cbranch_execz .LBB1847_92
; %bb.91:                               ;   in Loop: Header=BB1847_64 Depth=2
	v_bcnt_u32_b32 v4, v21, 0
	v_bcnt_u32_b32 v4, v22, v4
	s_waitcnt lgkmcnt(0)
	v_add_u32_e32 v4, v109, v4
	ds_write_b32 v114, v4 offset:1040
.LBB1847_92:                            ;   in Loop: Header=BB1847_64 Depth=2
	s_or_b64 exec, exec, s[38:39]
	v_cmp_lt_i16_e32 vcc, -1, v112
	v_cndmask_b32_e32 v4, -1, v65, vcc
	v_xor_b32_e32 v112, v4, v112
	v_cmp_ne_u16_e32 vcc, s7, v112
	v_cndmask_b32_e32 v4, v65, v112, vcc
	v_lshrrev_b32_sdwa v4, s62, v4 dst_sel:DWORD dst_unused:UNUSED_PAD src0_sel:DWORD src1_sel:WORD_0
	v_and_b32_e32 v21, s63, v4
	v_mad_u32_u24 v4, v21, 20, v91
	; wave barrier
	ds_read_b32 v113, v4 offset:1040
	v_and_b32_e32 v4, 1, v21
	v_add_co_u32_e32 v22, vcc, -1, v4
	v_addc_co_u32_e64 v115, s[38:39], 0, -1, vcc
	v_cmp_ne_u32_e32 vcc, 0, v4
	v_xor_b32_e32 v4, vcc_hi, v115
	v_and_b32_e32 v115, exec_hi, v4
	v_lshlrev_b32_e32 v4, 30, v21
	v_xor_b32_e32 v22, vcc_lo, v22
	v_cmp_gt_i64_e32 vcc, 0, v[3:4]
	v_not_b32_e32 v4, v4
	v_ashrrev_i32_e32 v4, 31, v4
	v_and_b32_e32 v22, exec_lo, v22
	v_xor_b32_e32 v117, vcc_hi, v4
	v_xor_b32_e32 v4, vcc_lo, v4
	v_and_b32_e32 v22, v22, v4
	v_lshlrev_b32_e32 v4, 29, v21
	v_cmp_gt_i64_e32 vcc, 0, v[3:4]
	v_not_b32_e32 v4, v4
	v_ashrrev_i32_e32 v4, 31, v4
	v_and_b32_e32 v115, v115, v117
	v_xor_b32_e32 v117, vcc_hi, v4
	v_xor_b32_e32 v4, vcc_lo, v4
	v_and_b32_e32 v22, v22, v4
	v_lshlrev_b32_e32 v4, 28, v21
	v_cmp_gt_i64_e32 vcc, 0, v[3:4]
	v_not_b32_e32 v4, v4
	v_ashrrev_i32_e32 v4, 31, v4
	v_and_b32_e32 v115, v115, v117
	;; [unrolled: 8-line block ×5, first 2 shown]
	v_xor_b32_e32 v117, vcc_hi, v4
	v_xor_b32_e32 v4, vcc_lo, v4
	v_and_b32_e32 v115, v115, v117
	v_and_b32_e32 v117, v22, v4
	v_lshlrev_b32_e32 v4, 24, v21
	v_cmp_gt_i64_e32 vcc, 0, v[3:4]
	v_not_b32_e32 v4, v4
	v_ashrrev_i32_e32 v4, 31, v4
	v_mul_u32_u24_e32 v116, 20, v21
	v_xor_b32_e32 v21, vcc_hi, v4
	v_xor_b32_e32 v4, vcc_lo, v4
	v_and_b32_e32 v22, v115, v21
	v_and_b32_e32 v21, v117, v4
	v_mbcnt_lo_u32_b32 v4, v21, 0
	v_mbcnt_hi_u32_b32 v115, v22, v4
	v_cmp_ne_u64_e32 vcc, 0, v[21:22]
	v_cmp_eq_u32_e64 s[38:39], 0, v115
	s_and_b64 s[40:41], vcc, s[38:39]
	v_add_u32_e32 v118, v91, v116
	; wave barrier
	s_and_saveexec_b64 s[38:39], s[40:41]
	s_cbranch_execz .LBB1847_94
; %bb.93:                               ;   in Loop: Header=BB1847_64 Depth=2
	v_bcnt_u32_b32 v4, v21, 0
	v_bcnt_u32_b32 v4, v22, v4
	s_waitcnt lgkmcnt(0)
	v_add_u32_e32 v4, v113, v4
	ds_write_b32 v118, v4 offset:1040
.LBB1847_94:                            ;   in Loop: Header=BB1847_64 Depth=2
	s_or_b64 exec, exec, s[38:39]
	v_cmp_lt_i16_e32 vcc, -1, v108
	v_cndmask_b32_e32 v4, -1, v65, vcc
	v_xor_b32_e32 v116, v4, v108
	v_cmp_ne_u16_e32 vcc, s7, v116
	v_cndmask_b32_e32 v4, v65, v116, vcc
	v_lshrrev_b32_sdwa v4, s62, v4 dst_sel:DWORD dst_unused:UNUSED_PAD src0_sel:DWORD src1_sel:WORD_0
	v_and_b32_e32 v21, s63, v4
	v_mad_u32_u24 v4, v21, 20, v91
	; wave barrier
	ds_read_b32 v117, v4 offset:1040
	v_and_b32_e32 v4, 1, v21
	v_add_co_u32_e32 v22, vcc, -1, v4
	v_addc_co_u32_e64 v119, s[38:39], 0, -1, vcc
	v_cmp_ne_u32_e32 vcc, 0, v4
	v_xor_b32_e32 v4, vcc_hi, v119
	v_and_b32_e32 v119, exec_hi, v4
	v_lshlrev_b32_e32 v4, 30, v21
	v_xor_b32_e32 v22, vcc_lo, v22
	v_cmp_gt_i64_e32 vcc, 0, v[3:4]
	v_not_b32_e32 v4, v4
	v_ashrrev_i32_e32 v4, 31, v4
	v_and_b32_e32 v22, exec_lo, v22
	v_xor_b32_e32 v120, vcc_hi, v4
	v_xor_b32_e32 v4, vcc_lo, v4
	v_and_b32_e32 v22, v22, v4
	v_lshlrev_b32_e32 v4, 29, v21
	v_cmp_gt_i64_e32 vcc, 0, v[3:4]
	v_not_b32_e32 v4, v4
	v_ashrrev_i32_e32 v4, 31, v4
	v_and_b32_e32 v119, v119, v120
	v_xor_b32_e32 v120, vcc_hi, v4
	v_xor_b32_e32 v4, vcc_lo, v4
	v_and_b32_e32 v22, v22, v4
	v_lshlrev_b32_e32 v4, 28, v21
	v_cmp_gt_i64_e32 vcc, 0, v[3:4]
	v_not_b32_e32 v4, v4
	v_ashrrev_i32_e32 v4, 31, v4
	v_and_b32_e32 v119, v119, v120
	;; [unrolled: 8-line block ×5, first 2 shown]
	v_xor_b32_e32 v120, vcc_hi, v4
	v_xor_b32_e32 v4, vcc_lo, v4
	v_and_b32_e32 v119, v119, v120
	v_and_b32_e32 v120, v22, v4
	v_lshlrev_b32_e32 v4, 24, v21
	v_cmp_gt_i64_e32 vcc, 0, v[3:4]
	v_not_b32_e32 v4, v4
	v_ashrrev_i32_e32 v4, 31, v4
	v_mul_u32_u24_e32 v108, 20, v21
	v_xor_b32_e32 v21, vcc_hi, v4
	v_xor_b32_e32 v4, vcc_lo, v4
	v_and_b32_e32 v22, v119, v21
	v_and_b32_e32 v21, v120, v4
	v_mbcnt_lo_u32_b32 v4, v21, 0
	v_mbcnt_hi_u32_b32 v119, v22, v4
	v_cmp_ne_u64_e32 vcc, 0, v[21:22]
	v_cmp_eq_u32_e64 s[38:39], 0, v119
	s_and_b64 s[40:41], vcc, s[38:39]
	v_add_u32_e32 v108, v91, v108
	; wave barrier
	s_and_saveexec_b64 s[38:39], s[40:41]
	s_cbranch_execz .LBB1847_96
; %bb.95:                               ;   in Loop: Header=BB1847_64 Depth=2
	v_bcnt_u32_b32 v4, v21, 0
	v_bcnt_u32_b32 v4, v22, v4
	s_waitcnt lgkmcnt(0)
	v_add_u32_e32 v4, v117, v4
	ds_write_b32 v108, v4 offset:1040
.LBB1847_96:                            ;   in Loop: Header=BB1847_64 Depth=2
	s_or_b64 exec, exec, s[38:39]
	v_cmp_lt_i16_e32 vcc, -1, v24
	v_cndmask_b32_e32 v4, -1, v65, vcc
	v_xor_b32_e32 v120, v4, v24
	v_cmp_ne_u16_e32 vcc, s7, v120
	v_cndmask_b32_e32 v4, v65, v120, vcc
	v_lshrrev_b32_sdwa v4, s62, v4 dst_sel:DWORD dst_unused:UNUSED_PAD src0_sel:DWORD src1_sel:WORD_0
	v_and_b32_e32 v21, s63, v4
	v_mad_u32_u24 v4, v21, 20, v91
	; wave barrier
	ds_read_b32 v121, v4 offset:1040
	v_and_b32_e32 v4, 1, v21
	v_add_co_u32_e32 v22, vcc, -1, v4
	v_addc_co_u32_e64 v122, s[38:39], 0, -1, vcc
	v_cmp_ne_u32_e32 vcc, 0, v4
	v_xor_b32_e32 v4, vcc_hi, v122
	v_and_b32_e32 v122, exec_hi, v4
	v_lshlrev_b32_e32 v4, 30, v21
	v_xor_b32_e32 v22, vcc_lo, v22
	v_cmp_gt_i64_e32 vcc, 0, v[3:4]
	v_not_b32_e32 v4, v4
	v_ashrrev_i32_e32 v4, 31, v4
	v_and_b32_e32 v22, exec_lo, v22
	v_xor_b32_e32 v123, vcc_hi, v4
	v_xor_b32_e32 v4, vcc_lo, v4
	v_and_b32_e32 v22, v22, v4
	v_lshlrev_b32_e32 v4, 29, v21
	v_cmp_gt_i64_e32 vcc, 0, v[3:4]
	v_not_b32_e32 v4, v4
	v_ashrrev_i32_e32 v4, 31, v4
	v_and_b32_e32 v122, v122, v123
	v_xor_b32_e32 v123, vcc_hi, v4
	v_xor_b32_e32 v4, vcc_lo, v4
	v_and_b32_e32 v22, v22, v4
	v_lshlrev_b32_e32 v4, 28, v21
	v_cmp_gt_i64_e32 vcc, 0, v[3:4]
	v_not_b32_e32 v4, v4
	v_ashrrev_i32_e32 v4, 31, v4
	v_and_b32_e32 v122, v122, v123
	v_xor_b32_e32 v123, vcc_hi, v4
	v_xor_b32_e32 v4, vcc_lo, v4
	v_and_b32_e32 v22, v22, v4
	v_lshlrev_b32_e32 v4, 27, v21
	v_cmp_gt_i64_e32 vcc, 0, v[3:4]
	v_not_b32_e32 v4, v4
	v_ashrrev_i32_e32 v4, 31, v4
	v_and_b32_e32 v122, v122, v123
	v_xor_b32_e32 v123, vcc_hi, v4
	v_xor_b32_e32 v4, vcc_lo, v4
	v_and_b32_e32 v22, v22, v4
	v_lshlrev_b32_e32 v4, 26, v21
	v_cmp_gt_i64_e32 vcc, 0, v[3:4]
	v_not_b32_e32 v4, v4
	v_ashrrev_i32_e32 v4, 31, v4
	v_and_b32_e32 v122, v122, v123
	v_xor_b32_e32 v123, vcc_hi, v4
	v_xor_b32_e32 v4, vcc_lo, v4
	v_and_b32_e32 v22, v22, v4
	v_lshlrev_b32_e32 v4, 25, v21
	v_cmp_gt_i64_e32 vcc, 0, v[3:4]
	v_not_b32_e32 v4, v4
	v_ashrrev_i32_e32 v4, 31, v4
	v_and_b32_e32 v122, v122, v123
	v_xor_b32_e32 v123, vcc_hi, v4
	v_xor_b32_e32 v4, vcc_lo, v4
	v_and_b32_e32 v122, v122, v123
	v_and_b32_e32 v123, v22, v4
	v_lshlrev_b32_e32 v4, 24, v21
	v_cmp_gt_i64_e32 vcc, 0, v[3:4]
	v_not_b32_e32 v4, v4
	v_ashrrev_i32_e32 v4, 31, v4
	v_mul_u32_u24_e32 v24, 20, v21
	v_xor_b32_e32 v21, vcc_hi, v4
	v_xor_b32_e32 v4, vcc_lo, v4
	v_and_b32_e32 v22, v122, v21
	v_and_b32_e32 v21, v123, v4
	v_mbcnt_lo_u32_b32 v4, v21, 0
	v_mbcnt_hi_u32_b32 v122, v22, v4
	v_cmp_ne_u64_e32 vcc, 0, v[21:22]
	v_cmp_eq_u32_e64 s[38:39], 0, v122
	s_and_b64 s[40:41], vcc, s[38:39]
	v_add_u32_e32 v125, v91, v24
	; wave barrier
	s_and_saveexec_b64 s[38:39], s[40:41]
	s_cbranch_execz .LBB1847_98
; %bb.97:                               ;   in Loop: Header=BB1847_64 Depth=2
	v_bcnt_u32_b32 v4, v21, 0
	v_bcnt_u32_b32 v4, v22, v4
	s_waitcnt lgkmcnt(0)
	v_add_u32_e32 v4, v121, v4
	ds_write_b32 v125, v4 offset:1040
.LBB1847_98:                            ;   in Loop: Header=BB1847_64 Depth=2
	s_or_b64 exec, exec, s[38:39]
	v_cmp_lt_i16_e32 vcc, -1, v23
	v_cndmask_b32_e32 v4, -1, v65, vcc
	v_xor_b32_e32 v123, v4, v23
	v_cmp_ne_u16_e32 vcc, s7, v123
	v_cndmask_b32_e32 v4, v65, v123, vcc
	v_lshrrev_b32_sdwa v4, s62, v4 dst_sel:DWORD dst_unused:UNUSED_PAD src0_sel:DWORD src1_sel:WORD_0
	v_and_b32_e32 v21, s63, v4
	v_mad_u32_u24 v4, v21, 20, v91
	; wave barrier
	ds_read_b32 v124, v4 offset:1040
	v_and_b32_e32 v4, 1, v21
	v_add_co_u32_e32 v22, vcc, -1, v4
	v_addc_co_u32_e64 v24, s[38:39], 0, -1, vcc
	v_cmp_ne_u32_e32 vcc, 0, v4
	v_xor_b32_e32 v4, vcc_hi, v24
	v_and_b32_e32 v24, exec_hi, v4
	v_lshlrev_b32_e32 v4, 30, v21
	v_xor_b32_e32 v22, vcc_lo, v22
	v_cmp_gt_i64_e32 vcc, 0, v[3:4]
	v_not_b32_e32 v4, v4
	v_ashrrev_i32_e32 v4, 31, v4
	v_and_b32_e32 v22, exec_lo, v22
	v_xor_b32_e32 v126, vcc_hi, v4
	v_xor_b32_e32 v4, vcc_lo, v4
	v_and_b32_e32 v22, v22, v4
	v_lshlrev_b32_e32 v4, 29, v21
	v_cmp_gt_i64_e32 vcc, 0, v[3:4]
	v_not_b32_e32 v4, v4
	v_ashrrev_i32_e32 v4, 31, v4
	v_and_b32_e32 v24, v24, v126
	v_xor_b32_e32 v126, vcc_hi, v4
	v_xor_b32_e32 v4, vcc_lo, v4
	v_and_b32_e32 v22, v22, v4
	v_lshlrev_b32_e32 v4, 28, v21
	v_cmp_gt_i64_e32 vcc, 0, v[3:4]
	v_not_b32_e32 v4, v4
	v_ashrrev_i32_e32 v4, 31, v4
	v_and_b32_e32 v24, v24, v126
	;; [unrolled: 8-line block ×5, first 2 shown]
	v_xor_b32_e32 v126, vcc_hi, v4
	v_xor_b32_e32 v4, vcc_lo, v4
	v_and_b32_e32 v24, v24, v126
	v_and_b32_e32 v126, v22, v4
	v_lshlrev_b32_e32 v4, 24, v21
	v_cmp_gt_i64_e32 vcc, 0, v[3:4]
	v_not_b32_e32 v4, v4
	v_ashrrev_i32_e32 v4, 31, v4
	v_mul_u32_u24_e32 v23, 20, v21
	v_xor_b32_e32 v21, vcc_hi, v4
	v_xor_b32_e32 v4, vcc_lo, v4
	v_and_b32_e32 v22, v24, v21
	v_and_b32_e32 v21, v126, v4
	v_mbcnt_lo_u32_b32 v4, v21, 0
	v_mbcnt_hi_u32_b32 v126, v22, v4
	v_cmp_ne_u64_e32 vcc, 0, v[21:22]
	v_cmp_eq_u32_e64 s[38:39], 0, v126
	s_and_b64 s[40:41], vcc, s[38:39]
	v_add_u32_e32 v4, v91, v23
	; wave barrier
	s_and_saveexec_b64 s[38:39], s[40:41]
	s_cbranch_execz .LBB1847_100
; %bb.99:                               ;   in Loop: Header=BB1847_64 Depth=2
	v_bcnt_u32_b32 v21, v21, 0
	v_bcnt_u32_b32 v21, v22, v21
	s_waitcnt lgkmcnt(0)
	v_add_u32_e32 v21, v124, v21
	ds_write_b32 v4, v21 offset:1040
.LBB1847_100:                           ;   in Loop: Header=BB1847_64 Depth=2
	s_or_b64 exec, exec, s[38:39]
	; wave barrier
	s_waitcnt lgkmcnt(0)
	s_barrier
	ds_read2_b32 v[23:24], v62 offset1:1
	ds_read2_b32 v[21:22], v63 offset1:1
	ds_read_b32 v127, v41 offset:1056
	s_waitcnt lgkmcnt(1)
	v_add3_u32 v128, v24, v23, v21
	s_waitcnt lgkmcnt(0)
	v_add3_u32 v127, v128, v22, v127
	s_nop 1
	v_mov_b32_dpp v128, v127 row_shr:1 row_mask:0xf bank_mask:0xf
	v_cndmask_b32_e64 v128, v128, 0, s[18:19]
	v_add_u32_e32 v127, v128, v127
	s_nop 1
	v_mov_b32_dpp v128, v127 row_shr:2 row_mask:0xf bank_mask:0xf
	v_cndmask_b32_e64 v128, 0, v128, s[20:21]
	v_add_u32_e32 v127, v127, v128
	;; [unrolled: 4-line block ×4, first 2 shown]
	s_nop 1
	v_mov_b32_dpp v128, v127 row_bcast:15 row_mask:0xf bank_mask:0xf
	v_cndmask_b32_e64 v128, v128, 0, s[26:27]
	v_add_u32_e32 v127, v127, v128
	s_nop 1
	v_mov_b32_dpp v128, v127 row_bcast:31 row_mask:0xf bank_mask:0xf
	v_cndmask_b32_e64 v128, 0, v128, s[28:29]
	v_add_u32_e32 v127, v127, v128
	s_and_saveexec_b64 s[38:39], s[8:9]
; %bb.101:                              ;   in Loop: Header=BB1847_64 Depth=2
	ds_write_b32 v37, v127 offset:1024
; %bb.102:                              ;   in Loop: Header=BB1847_64 Depth=2
	s_or_b64 exec, exec, s[38:39]
	s_waitcnt lgkmcnt(0)
	s_barrier
	s_and_saveexec_b64 s[38:39], s[10:11]
	s_cbranch_execz .LBB1847_104
; %bb.103:                              ;   in Loop: Header=BB1847_64 Depth=2
	ds_read_b32 v128, v42 offset:1024
	s_waitcnt lgkmcnt(0)
	s_nop 0
	v_mov_b32_dpp v129, v128 row_shr:1 row_mask:0xf bank_mask:0xf
	v_cndmask_b32_e64 v129, v129, 0, s[34:35]
	v_add_u32_e32 v128, v129, v128
	s_nop 1
	v_mov_b32_dpp v129, v128 row_shr:2 row_mask:0xf bank_mask:0xf
	v_cndmask_b32_e64 v129, 0, v129, s[36:37]
	v_add_u32_e32 v128, v128, v129
	ds_write_b32 v42, v128 offset:1024
.LBB1847_104:                           ;   in Loop: Header=BB1847_64 Depth=2
	s_or_b64 exec, exec, s[38:39]
	v_mov_b32_e32 v128, 0
	s_waitcnt lgkmcnt(0)
	s_barrier
	s_and_saveexec_b64 s[38:39], s[12:13]
; %bb.105:                              ;   in Loop: Header=BB1847_64 Depth=2
	ds_read_b32 v128, v37 offset:1020
; %bb.106:                              ;   in Loop: Header=BB1847_64 Depth=2
	s_or_b64 exec, exec, s[38:39]
	s_waitcnt lgkmcnt(0)
	v_add_u32_e32 v127, v128, v127
	ds_bpermute_b32 v127, v82, v127
	s_waitcnt lgkmcnt(0)
	v_cndmask_b32_e64 v127, v127, v128, s[30:31]
	v_cndmask_b32_e64 v127, v127, 0, s[14:15]
	v_add_u32_e32 v23, v127, v23
	v_add_u32_e32 v24, v23, v24
	;; [unrolled: 1-line block ×4, first 2 shown]
	ds_write2_b32 v62, v127, v23 offset1:1
	ds_write2_b32 v63, v24, v21 offset1:1
	ds_write_b32 v41, v22 offset:1056
	s_waitcnt lgkmcnt(0)
	s_barrier
	ds_read_b32 v21, v101 offset:1040
	ds_read_b32 v22, v105 offset:1040
	;; [unrolled: 1-line block ×9, first 2 shown]
	v_mov_b32_e32 v4, 0x800
	s_and_saveexec_b64 s[38:39], s[16:17]
; %bb.107:                              ;   in Loop: Header=BB1847_64 Depth=2
	ds_read_b32 v4, v41 offset:1060
; %bb.108:                              ;   in Loop: Header=BB1847_64 Depth=2
	s_or_b64 exec, exec, s[38:39]
	s_waitcnt lgkmcnt(0)
	s_barrier
	s_and_saveexec_b64 s[38:39], s[4:5]
	s_cbranch_execz .LBB1847_110
; %bb.109:                              ;   in Loop: Header=BB1847_64 Depth=2
	ds_read_b32 v105, v25
	s_waitcnt lgkmcnt(0)
	v_sub_u32_e32 v101, v105, v101
	ds_write_b32 v25, v101
.LBB1847_110:                           ;   in Loop: Header=BB1847_64 Depth=2
	s_or_b64 exec, exec, s[38:39]
	v_add_u32_e32 v108, v21, v98
	v_add3_u32 v105, v102, v100, v22
	v_lshlrev_b32_e32 v21, 1, v108
	v_add3_u32 v102, v106, v104, v23
	ds_write_b16 v21, v97 offset:1024
	v_lshlrev_b32_e32 v21, 1, v105
	v_add3_u32 v101, v111, v109, v24
	ds_write_b16 v21, v99 offset:1024
	;; [unrolled: 3-line block ×6, first 2 shown]
	v_lshlrev_b32_e32 v21, 1, v24
	ds_write_b16 v21, v120 offset:1024
	v_lshlrev_b32_e32 v21, 1, v23
	v_cmp_lt_u32_e32 vcc, v0, v96
	ds_write_b16 v21, v123 offset:1024
	s_waitcnt lgkmcnt(0)
	s_barrier
	s_and_saveexec_b64 s[40:41], vcc
	s_cbranch_execnz .LBB1847_147
; %bb.111:                              ;   in Loop: Header=BB1847_64 Depth=2
	s_or_b64 exec, exec, s[40:41]
	v_cmp_lt_u32_e64 s[38:39], v26, v96
	s_and_saveexec_b64 s[42:43], s[38:39]
	s_cbranch_execnz .LBB1847_148
.LBB1847_112:                           ;   in Loop: Header=BB1847_64 Depth=2
	s_or_b64 exec, exec, s[42:43]
	v_cmp_lt_u32_e64 s[40:41], v27, v96
	s_and_saveexec_b64 s[44:45], s[40:41]
	s_cbranch_execnz .LBB1847_149
.LBB1847_113:                           ;   in Loop: Header=BB1847_64 Depth=2
	s_or_b64 exec, exec, s[44:45]
	v_cmp_lt_u32_e64 s[42:43], v28, v96
	s_and_saveexec_b64 s[46:47], s[42:43]
	s_cbranch_execnz .LBB1847_150
.LBB1847_114:                           ;   in Loop: Header=BB1847_64 Depth=2
	s_or_b64 exec, exec, s[46:47]
	v_cmp_lt_u32_e64 s[44:45], v31, v96
	s_and_saveexec_b64 s[48:49], s[44:45]
	s_cbranch_execnz .LBB1847_151
.LBB1847_115:                           ;   in Loop: Header=BB1847_64 Depth=2
	s_or_b64 exec, exec, s[48:49]
	v_cmp_lt_u32_e64 s[46:47], v32, v96
	s_and_saveexec_b64 s[50:51], s[46:47]
	s_cbranch_execnz .LBB1847_152
.LBB1847_116:                           ;   in Loop: Header=BB1847_64 Depth=2
	s_or_b64 exec, exec, s[50:51]
	v_cmp_lt_u32_e64 s[48:49], v33, v96
	s_and_saveexec_b64 s[52:53], s[48:49]
	s_cbranch_execnz .LBB1847_153
.LBB1847_117:                           ;   in Loop: Header=BB1847_64 Depth=2
	s_or_b64 exec, exec, s[52:53]
	v_cmp_lt_u32_e64 s[50:51], v34, v96
	s_and_saveexec_b64 s[60:61], s[50:51]
	s_cbranch_execz .LBB1847_119
.LBB1847_118:                           ;   in Loop: Header=BB1847_64 Depth=2
	ds_read_u16 v21, v47 offset:4608
	v_mov_b32_e32 v22, v3
	v_mov_b32_e32 v99, s67
	s_waitcnt lgkmcnt(0)
	v_cmp_ne_u16_e64 s[52:53], s7, v21
	v_cndmask_b32_e64 v97, v65, v21, s[52:53]
	v_lshrrev_b32_sdwa v97, s62, v97 dst_sel:DWORD dst_unused:UNUSED_PAD src0_sel:DWORD src1_sel:WORD_0
	v_and_b32_e32 v97, s63, v97
	v_lshlrev_b32_e32 v97, 2, v97
	ds_read_b32 v97, v97
	v_cmp_lt_i16_e64 s[52:53], -1, v21
	v_cndmask_b32_e64 v103, v65, -1, s[52:53]
	v_xor_b32_e32 v103, v103, v21
	s_waitcnt lgkmcnt(0)
	v_add_u32_e32 v21, v97, v34
	v_lshlrev_b64 v[21:22], 1, v[21:22]
	v_add_co_u32_e64 v21, s[52:53], s66, v21
	v_addc_co_u32_e64 v22, s[52:53], v99, v22, s[52:53]
	global_store_short v[21:22], v103, off
.LBB1847_119:                           ;   in Loop: Header=BB1847_64 Depth=2
	s_or_b64 exec, exec, s[60:61]
	s_lshl_b64 s[52:53], s[58:59], 3
	v_mov_b32_e32 v22, s53
	v_add_co_u32_e64 v21, s[52:53], s52, v83
	v_addc_co_u32_e64 v22, s[52:53], v84, v22, s[52:53]
	v_cmp_lt_u32_e64 s[52:53], v73, v96
	s_and_saveexec_b64 s[60:61], s[52:53]
	s_xor_b64 s[52:53], exec, s[60:61]
	s_cbranch_execnz .LBB1847_154
; %bb.120:                              ;   in Loop: Header=BB1847_64 Depth=2
	s_or_b64 exec, exec, s[52:53]
	v_cmp_lt_u32_e64 s[52:53], v74, v96
	s_and_saveexec_b64 s[60:61], s[52:53]
	s_cbranch_execnz .LBB1847_155
.LBB1847_121:                           ;   in Loop: Header=BB1847_64 Depth=2
	s_or_b64 exec, exec, s[60:61]
	v_cmp_lt_u32_e64 s[52:53], v75, v96
	s_and_saveexec_b64 s[60:61], s[52:53]
	s_cbranch_execnz .LBB1847_156
.LBB1847_122:                           ;   in Loop: Header=BB1847_64 Depth=2
	s_or_b64 exec, exec, s[60:61]
	v_cmp_lt_u32_e64 s[52:53], v76, v96
	s_and_saveexec_b64 s[60:61], s[52:53]
	s_cbranch_execnz .LBB1847_157
.LBB1847_123:                           ;   in Loop: Header=BB1847_64 Depth=2
	s_or_b64 exec, exec, s[60:61]
	v_cmp_lt_u32_e64 s[52:53], v77, v96
	s_and_saveexec_b64 s[60:61], s[52:53]
	s_cbranch_execnz .LBB1847_158
.LBB1847_124:                           ;   in Loop: Header=BB1847_64 Depth=2
	s_or_b64 exec, exec, s[60:61]
	v_cmp_lt_u32_e64 s[52:53], v78, v96
	s_and_saveexec_b64 s[60:61], s[52:53]
	s_cbranch_execnz .LBB1847_159
.LBB1847_125:                           ;   in Loop: Header=BB1847_64 Depth=2
	s_or_b64 exec, exec, s[60:61]
	v_cmp_lt_u32_e64 s[52:53], v79, v96
	s_and_saveexec_b64 s[60:61], s[52:53]
	s_cbranch_execnz .LBB1847_160
.LBB1847_126:                           ;   in Loop: Header=BB1847_64 Depth=2
	s_or_b64 exec, exec, s[60:61]
	v_cmp_lt_u32_e64 s[52:53], v80, v96
	s_and_saveexec_b64 s[60:61], s[52:53]
	s_cbranch_execnz .LBB1847_161
.LBB1847_127:                           ;   in Loop: Header=BB1847_64 Depth=2
	s_or_b64 exec, exec, s[60:61]
	s_and_saveexec_b64 s[60:61], vcc
	s_cbranch_execnz .LBB1847_162
.LBB1847_128:                           ;   in Loop: Header=BB1847_64 Depth=2
	s_or_b64 exec, exec, s[60:61]
	s_and_saveexec_b64 s[60:61], s[38:39]
	s_cbranch_execnz .LBB1847_163
.LBB1847_129:                           ;   in Loop: Header=BB1847_64 Depth=2
	s_or_b64 exec, exec, s[60:61]
	s_and_saveexec_b64 s[60:61], s[40:41]
	s_cbranch_execnz .LBB1847_164
.LBB1847_130:                           ;   in Loop: Header=BB1847_64 Depth=2
	s_or_b64 exec, exec, s[60:61]
	s_and_saveexec_b64 s[60:61], s[42:43]
	s_cbranch_execnz .LBB1847_165
.LBB1847_131:                           ;   in Loop: Header=BB1847_64 Depth=2
	s_or_b64 exec, exec, s[60:61]
	s_and_saveexec_b64 s[60:61], s[44:45]
	s_cbranch_execnz .LBB1847_166
.LBB1847_132:                           ;   in Loop: Header=BB1847_64 Depth=2
	s_or_b64 exec, exec, s[60:61]
	s_and_saveexec_b64 s[60:61], s[46:47]
	s_cbranch_execnz .LBB1847_167
.LBB1847_133:                           ;   in Loop: Header=BB1847_64 Depth=2
	s_or_b64 exec, exec, s[60:61]
	s_and_saveexec_b64 s[60:61], s[48:49]
	s_cbranch_execnz .LBB1847_168
.LBB1847_134:                           ;   in Loop: Header=BB1847_64 Depth=2
	s_or_b64 exec, exec, s[60:61]
	s_and_saveexec_b64 s[60:61], s[50:51]
	s_cbranch_execz .LBB1847_136
.LBB1847_135:                           ;   in Loop: Header=BB1847_64 Depth=2
	ds_read_u16 v21, v47 offset:4608
	s_waitcnt lgkmcnt(0)
	v_cmp_ne_u16_e64 s[52:53], s7, v21
	v_cndmask_b32_e64 v21, v65, v21, s[52:53]
	v_lshrrev_b32_sdwa v21, s62, v21 dst_sel:DWORD dst_unused:UNUSED_PAD src0_sel:DWORD src1_sel:WORD_0
	v_and_b32_e32 v87, s63, v21
.LBB1847_136:                           ;   in Loop: Header=BB1847_64 Depth=2
	s_or_b64 exec, exec, s[60:61]
	v_lshlrev_b32_e32 v21, 3, v108
	s_waitcnt vmcnt(0)
	s_barrier
	ds_write_b64 v21, v[19:20] offset:1024
	v_lshlrev_b32_e32 v21, 3, v105
	ds_write_b64 v21, v[17:18] offset:1024
	v_lshlrev_b32_e32 v21, 3, v102
	;; [unrolled: 2-line block ×7, first 2 shown]
	ds_write_b64 v21, v[5:6] offset:1024
	s_waitcnt lgkmcnt(0)
	s_barrier
	s_and_saveexec_b64 s[52:53], vcc
	s_cbranch_execnz .LBB1847_169
; %bb.137:                              ;   in Loop: Header=BB1847_64 Depth=2
	s_or_b64 exec, exec, s[52:53]
	s_and_saveexec_b64 s[52:53], s[38:39]
	s_cbranch_execnz .LBB1847_170
.LBB1847_138:                           ;   in Loop: Header=BB1847_64 Depth=2
	s_or_b64 exec, exec, s[52:53]
	s_and_saveexec_b64 s[38:39], s[40:41]
	s_cbranch_execnz .LBB1847_171
.LBB1847_139:                           ;   in Loop: Header=BB1847_64 Depth=2
	s_or_b64 exec, exec, s[38:39]
	s_and_saveexec_b64 s[38:39], s[42:43]
	s_cbranch_execnz .LBB1847_172
.LBB1847_140:                           ;   in Loop: Header=BB1847_64 Depth=2
	s_or_b64 exec, exec, s[38:39]
	s_and_saveexec_b64 s[38:39], s[44:45]
	s_cbranch_execnz .LBB1847_173
.LBB1847_141:                           ;   in Loop: Header=BB1847_64 Depth=2
	s_or_b64 exec, exec, s[38:39]
	s_and_saveexec_b64 s[38:39], s[46:47]
	s_cbranch_execnz .LBB1847_174
.LBB1847_142:                           ;   in Loop: Header=BB1847_64 Depth=2
	s_or_b64 exec, exec, s[38:39]
	s_and_saveexec_b64 s[38:39], s[48:49]
	s_cbranch_execnz .LBB1847_175
.LBB1847_143:                           ;   in Loop: Header=BB1847_64 Depth=2
	s_or_b64 exec, exec, s[38:39]
	s_and_saveexec_b64 s[38:39], s[50:51]
	s_cbranch_execz .LBB1847_145
.LBB1847_144:                           ;   in Loop: Header=BB1847_64 Depth=2
	v_lshlrev_b32_e32 v21, 2, v87
	ds_read_b32 v23, v21
	v_add_u32_e32 v21, v47, v48
	ds_read_b64 v[21:22], v21 offset:15360
	v_mov_b32_e32 v24, v3
	v_mov_b32_e32 v96, s73
	s_waitcnt lgkmcnt(1)
	v_add_u32_e32 v23, v23, v34
	v_lshlrev_b64 v[23:24], 3, v[23:24]
	v_add_co_u32_e32 v23, vcc, s72, v23
	v_addc_co_u32_e32 v24, vcc, v96, v24, vcc
	s_waitcnt lgkmcnt(0)
	global_store_dwordx2 v[23:24], v[21:22], off
.LBB1847_145:                           ;   in Loop: Header=BB1847_64 Depth=2
	s_or_b64 exec, exec, s[38:39]
	s_waitcnt vmcnt(0)
	s_barrier
	s_and_saveexec_b64 s[38:39], s[4:5]
	s_cbranch_execz .LBB1847_63
; %bb.146:                              ;   in Loop: Header=BB1847_64 Depth=2
	ds_read_b32 v21, v25
	s_waitcnt lgkmcnt(0)
	v_add_u32_e32 v4, v21, v4
	ds_write_b32 v25, v4
	s_branch .LBB1847_63
.LBB1847_147:                           ;   in Loop: Header=BB1847_64 Depth=2
	ds_read_u16 v21, v47 offset:1024
	v_mov_b32_e32 v22, v3
	v_mov_b32_e32 v99, s67
	s_waitcnt lgkmcnt(0)
	v_cmp_ne_u16_e64 s[38:39], s7, v21
	v_cndmask_b32_e64 v97, v65, v21, s[38:39]
	v_lshrrev_b32_sdwa v97, s62, v97 dst_sel:DWORD dst_unused:UNUSED_PAD src0_sel:DWORD src1_sel:WORD_0
	v_and_b32_e32 v97, s63, v97
	v_lshlrev_b32_e32 v97, 2, v97
	ds_read_b32 v97, v97
	v_cmp_lt_i16_e64 s[38:39], -1, v21
	v_cndmask_b32_e64 v103, v65, -1, s[38:39]
	v_xor_b32_e32 v103, v103, v21
	s_waitcnt lgkmcnt(0)
	v_add_u32_e32 v21, v97, v0
	v_lshlrev_b64 v[21:22], 1, v[21:22]
	v_add_co_u32_e64 v21, s[38:39], s66, v21
	v_addc_co_u32_e64 v22, s[38:39], v99, v22, s[38:39]
	global_store_short v[21:22], v103, off
	s_or_b64 exec, exec, s[40:41]
	v_cmp_lt_u32_e64 s[38:39], v26, v96
	s_and_saveexec_b64 s[42:43], s[38:39]
	s_cbranch_execz .LBB1847_112
.LBB1847_148:                           ;   in Loop: Header=BB1847_64 Depth=2
	ds_read_u16 v21, v47 offset:1536
	v_mov_b32_e32 v22, v3
	v_mov_b32_e32 v99, s67
	s_waitcnt lgkmcnt(0)
	v_cmp_ne_u16_e64 s[40:41], s7, v21
	v_cndmask_b32_e64 v97, v65, v21, s[40:41]
	v_lshrrev_b32_sdwa v97, s62, v97 dst_sel:DWORD dst_unused:UNUSED_PAD src0_sel:DWORD src1_sel:WORD_0
	v_and_b32_e32 v97, s63, v97
	v_lshlrev_b32_e32 v97, 2, v97
	ds_read_b32 v97, v97
	v_cmp_lt_i16_e64 s[40:41], -1, v21
	v_cndmask_b32_e64 v103, v65, -1, s[40:41]
	v_xor_b32_e32 v103, v103, v21
	s_waitcnt lgkmcnt(0)
	v_add_u32_e32 v21, v97, v26
	v_lshlrev_b64 v[21:22], 1, v[21:22]
	v_add_co_u32_e64 v21, s[40:41], s66, v21
	v_addc_co_u32_e64 v22, s[40:41], v99, v22, s[40:41]
	global_store_short v[21:22], v103, off
	s_or_b64 exec, exec, s[42:43]
	v_cmp_lt_u32_e64 s[40:41], v27, v96
	s_and_saveexec_b64 s[44:45], s[40:41]
	s_cbranch_execz .LBB1847_113
.LBB1847_149:                           ;   in Loop: Header=BB1847_64 Depth=2
	ds_read_u16 v21, v47 offset:2048
	v_mov_b32_e32 v22, v3
	v_mov_b32_e32 v99, s67
	s_waitcnt lgkmcnt(0)
	v_cmp_ne_u16_e64 s[42:43], s7, v21
	v_cndmask_b32_e64 v97, v65, v21, s[42:43]
	v_lshrrev_b32_sdwa v97, s62, v97 dst_sel:DWORD dst_unused:UNUSED_PAD src0_sel:DWORD src1_sel:WORD_0
	v_and_b32_e32 v97, s63, v97
	v_lshlrev_b32_e32 v97, 2, v97
	ds_read_b32 v97, v97
	v_cmp_lt_i16_e64 s[42:43], -1, v21
	v_cndmask_b32_e64 v103, v65, -1, s[42:43]
	v_xor_b32_e32 v103, v103, v21
	s_waitcnt lgkmcnt(0)
	v_add_u32_e32 v21, v97, v27
	v_lshlrev_b64 v[21:22], 1, v[21:22]
	v_add_co_u32_e64 v21, s[42:43], s66, v21
	v_addc_co_u32_e64 v22, s[42:43], v99, v22, s[42:43]
	global_store_short v[21:22], v103, off
	s_or_b64 exec, exec, s[44:45]
	v_cmp_lt_u32_e64 s[42:43], v28, v96
	s_and_saveexec_b64 s[46:47], s[42:43]
	s_cbranch_execz .LBB1847_114
.LBB1847_150:                           ;   in Loop: Header=BB1847_64 Depth=2
	ds_read_u16 v21, v47 offset:2560
	v_mov_b32_e32 v22, v3
	v_mov_b32_e32 v99, s67
	s_waitcnt lgkmcnt(0)
	v_cmp_ne_u16_e64 s[44:45], s7, v21
	v_cndmask_b32_e64 v97, v65, v21, s[44:45]
	v_lshrrev_b32_sdwa v97, s62, v97 dst_sel:DWORD dst_unused:UNUSED_PAD src0_sel:DWORD src1_sel:WORD_0
	v_and_b32_e32 v97, s63, v97
	v_lshlrev_b32_e32 v97, 2, v97
	ds_read_b32 v97, v97
	v_cmp_lt_i16_e64 s[44:45], -1, v21
	v_cndmask_b32_e64 v103, v65, -1, s[44:45]
	v_xor_b32_e32 v103, v103, v21
	s_waitcnt lgkmcnt(0)
	v_add_u32_e32 v21, v97, v28
	v_lshlrev_b64 v[21:22], 1, v[21:22]
	v_add_co_u32_e64 v21, s[44:45], s66, v21
	v_addc_co_u32_e64 v22, s[44:45], v99, v22, s[44:45]
	global_store_short v[21:22], v103, off
	s_or_b64 exec, exec, s[46:47]
	v_cmp_lt_u32_e64 s[44:45], v31, v96
	s_and_saveexec_b64 s[48:49], s[44:45]
	s_cbranch_execz .LBB1847_115
.LBB1847_151:                           ;   in Loop: Header=BB1847_64 Depth=2
	ds_read_u16 v21, v47 offset:3072
	v_mov_b32_e32 v22, v3
	v_mov_b32_e32 v99, s67
	s_waitcnt lgkmcnt(0)
	v_cmp_ne_u16_e64 s[46:47], s7, v21
	v_cndmask_b32_e64 v97, v65, v21, s[46:47]
	v_lshrrev_b32_sdwa v97, s62, v97 dst_sel:DWORD dst_unused:UNUSED_PAD src0_sel:DWORD src1_sel:WORD_0
	v_and_b32_e32 v97, s63, v97
	v_lshlrev_b32_e32 v97, 2, v97
	ds_read_b32 v97, v97
	v_cmp_lt_i16_e64 s[46:47], -1, v21
	v_cndmask_b32_e64 v103, v65, -1, s[46:47]
	v_xor_b32_e32 v103, v103, v21
	s_waitcnt lgkmcnt(0)
	v_add_u32_e32 v21, v97, v31
	v_lshlrev_b64 v[21:22], 1, v[21:22]
	v_add_co_u32_e64 v21, s[46:47], s66, v21
	v_addc_co_u32_e64 v22, s[46:47], v99, v22, s[46:47]
	global_store_short v[21:22], v103, off
	s_or_b64 exec, exec, s[48:49]
	v_cmp_lt_u32_e64 s[46:47], v32, v96
	s_and_saveexec_b64 s[50:51], s[46:47]
	s_cbranch_execz .LBB1847_116
.LBB1847_152:                           ;   in Loop: Header=BB1847_64 Depth=2
	ds_read_u16 v21, v47 offset:3584
	v_mov_b32_e32 v22, v3
	v_mov_b32_e32 v99, s67
	s_waitcnt lgkmcnt(0)
	v_cmp_ne_u16_e64 s[48:49], s7, v21
	v_cndmask_b32_e64 v97, v65, v21, s[48:49]
	v_lshrrev_b32_sdwa v97, s62, v97 dst_sel:DWORD dst_unused:UNUSED_PAD src0_sel:DWORD src1_sel:WORD_0
	v_and_b32_e32 v97, s63, v97
	v_lshlrev_b32_e32 v97, 2, v97
	ds_read_b32 v97, v97
	v_cmp_lt_i16_e64 s[48:49], -1, v21
	v_cndmask_b32_e64 v103, v65, -1, s[48:49]
	v_xor_b32_e32 v103, v103, v21
	s_waitcnt lgkmcnt(0)
	v_add_u32_e32 v21, v97, v32
	v_lshlrev_b64 v[21:22], 1, v[21:22]
	v_add_co_u32_e64 v21, s[48:49], s66, v21
	v_addc_co_u32_e64 v22, s[48:49], v99, v22, s[48:49]
	global_store_short v[21:22], v103, off
	s_or_b64 exec, exec, s[50:51]
	v_cmp_lt_u32_e64 s[48:49], v33, v96
	s_and_saveexec_b64 s[52:53], s[48:49]
	s_cbranch_execz .LBB1847_117
.LBB1847_153:                           ;   in Loop: Header=BB1847_64 Depth=2
	ds_read_u16 v21, v47 offset:4096
	v_mov_b32_e32 v22, v3
	v_mov_b32_e32 v99, s67
	s_waitcnt lgkmcnt(0)
	v_cmp_ne_u16_e64 s[50:51], s7, v21
	v_cndmask_b32_e64 v97, v65, v21, s[50:51]
	v_lshrrev_b32_sdwa v97, s62, v97 dst_sel:DWORD dst_unused:UNUSED_PAD src0_sel:DWORD src1_sel:WORD_0
	v_and_b32_e32 v97, s63, v97
	v_lshlrev_b32_e32 v97, 2, v97
	ds_read_b32 v97, v97
	v_cmp_lt_i16_e64 s[50:51], -1, v21
	v_cndmask_b32_e64 v103, v65, -1, s[50:51]
	v_xor_b32_e32 v103, v103, v21
	s_waitcnt lgkmcnt(0)
	v_add_u32_e32 v21, v97, v33
	v_lshlrev_b64 v[21:22], 1, v[21:22]
	v_add_co_u32_e64 v21, s[50:51], s66, v21
	v_addc_co_u32_e64 v22, s[50:51], v99, v22, s[50:51]
	global_store_short v[21:22], v103, off
	s_or_b64 exec, exec, s[52:53]
	v_cmp_lt_u32_e64 s[50:51], v34, v96
	s_and_saveexec_b64 s[60:61], s[50:51]
	s_cbranch_execnz .LBB1847_118
	s_branch .LBB1847_119
.LBB1847_154:                           ;   in Loop: Header=BB1847_64 Depth=2
	global_load_dwordx2 v[19:20], v[21:22], off
	s_or_b64 exec, exec, s[52:53]
	v_cmp_lt_u32_e64 s[52:53], v74, v96
	s_and_saveexec_b64 s[60:61], s[52:53]
	s_cbranch_execz .LBB1847_121
.LBB1847_155:                           ;   in Loop: Header=BB1847_64 Depth=2
	global_load_dwordx2 v[17:18], v[21:22], off offset:512
	s_or_b64 exec, exec, s[60:61]
	v_cmp_lt_u32_e64 s[52:53], v75, v96
	s_and_saveexec_b64 s[60:61], s[52:53]
	s_cbranch_execz .LBB1847_122
.LBB1847_156:                           ;   in Loop: Header=BB1847_64 Depth=2
	global_load_dwordx2 v[15:16], v[21:22], off offset:1024
	s_or_b64 exec, exec, s[60:61]
	v_cmp_lt_u32_e64 s[52:53], v76, v96
	s_and_saveexec_b64 s[60:61], s[52:53]
	s_cbranch_execz .LBB1847_123
.LBB1847_157:                           ;   in Loop: Header=BB1847_64 Depth=2
	global_load_dwordx2 v[13:14], v[21:22], off offset:1536
	s_or_b64 exec, exec, s[60:61]
	v_cmp_lt_u32_e64 s[52:53], v77, v96
	s_and_saveexec_b64 s[60:61], s[52:53]
	s_cbranch_execz .LBB1847_124
.LBB1847_158:                           ;   in Loop: Header=BB1847_64 Depth=2
	global_load_dwordx2 v[11:12], v[21:22], off offset:2048
	s_or_b64 exec, exec, s[60:61]
	v_cmp_lt_u32_e64 s[52:53], v78, v96
	s_and_saveexec_b64 s[60:61], s[52:53]
	s_cbranch_execz .LBB1847_125
.LBB1847_159:                           ;   in Loop: Header=BB1847_64 Depth=2
	global_load_dwordx2 v[9:10], v[21:22], off offset:2560
	s_or_b64 exec, exec, s[60:61]
	v_cmp_lt_u32_e64 s[52:53], v79, v96
	s_and_saveexec_b64 s[60:61], s[52:53]
	s_cbranch_execz .LBB1847_126
.LBB1847_160:                           ;   in Loop: Header=BB1847_64 Depth=2
	global_load_dwordx2 v[7:8], v[21:22], off offset:3072
	s_or_b64 exec, exec, s[60:61]
	v_cmp_lt_u32_e64 s[52:53], v80, v96
	s_and_saveexec_b64 s[60:61], s[52:53]
	s_cbranch_execz .LBB1847_127
.LBB1847_161:                           ;   in Loop: Header=BB1847_64 Depth=2
	global_load_dwordx2 v[5:6], v[21:22], off offset:3584
	s_or_b64 exec, exec, s[60:61]
	s_and_saveexec_b64 s[60:61], vcc
	s_cbranch_execz .LBB1847_128
.LBB1847_162:                           ;   in Loop: Header=BB1847_64 Depth=2
	ds_read_u16 v21, v47 offset:1024
	s_waitcnt lgkmcnt(0)
	v_cmp_ne_u16_e64 s[52:53], s7, v21
	v_cndmask_b32_e64 v21, v65, v21, s[52:53]
	v_lshrrev_b32_sdwa v21, s62, v21 dst_sel:DWORD dst_unused:UNUSED_PAD src0_sel:DWORD src1_sel:WORD_0
	v_and_b32_e32 v95, s63, v21
	s_or_b64 exec, exec, s[60:61]
	s_and_saveexec_b64 s[60:61], s[38:39]
	s_cbranch_execz .LBB1847_129
.LBB1847_163:                           ;   in Loop: Header=BB1847_64 Depth=2
	ds_read_u16 v21, v47 offset:1536
	s_waitcnt lgkmcnt(0)
	v_cmp_ne_u16_e64 s[52:53], s7, v21
	v_cndmask_b32_e64 v21, v65, v21, s[52:53]
	v_lshrrev_b32_sdwa v21, s62, v21 dst_sel:DWORD dst_unused:UNUSED_PAD src0_sel:DWORD src1_sel:WORD_0
	v_and_b32_e32 v94, s63, v21
	s_or_b64 exec, exec, s[60:61]
	s_and_saveexec_b64 s[60:61], s[40:41]
	s_cbranch_execz .LBB1847_130
.LBB1847_164:                           ;   in Loop: Header=BB1847_64 Depth=2
	ds_read_u16 v21, v47 offset:2048
	s_waitcnt lgkmcnt(0)
	v_cmp_ne_u16_e64 s[52:53], s7, v21
	v_cndmask_b32_e64 v21, v65, v21, s[52:53]
	v_lshrrev_b32_sdwa v21, s62, v21 dst_sel:DWORD dst_unused:UNUSED_PAD src0_sel:DWORD src1_sel:WORD_0
	v_and_b32_e32 v93, s63, v21
	s_or_b64 exec, exec, s[60:61]
	s_and_saveexec_b64 s[60:61], s[42:43]
	s_cbranch_execz .LBB1847_131
.LBB1847_165:                           ;   in Loop: Header=BB1847_64 Depth=2
	ds_read_u16 v21, v47 offset:2560
	s_waitcnt lgkmcnt(0)
	v_cmp_ne_u16_e64 s[52:53], s7, v21
	v_cndmask_b32_e64 v21, v65, v21, s[52:53]
	v_lshrrev_b32_sdwa v21, s62, v21 dst_sel:DWORD dst_unused:UNUSED_PAD src0_sel:DWORD src1_sel:WORD_0
	v_and_b32_e32 v92, s63, v21
	s_or_b64 exec, exec, s[60:61]
	s_and_saveexec_b64 s[60:61], s[44:45]
	s_cbranch_execz .LBB1847_132
.LBB1847_166:                           ;   in Loop: Header=BB1847_64 Depth=2
	ds_read_u16 v21, v47 offset:3072
	s_waitcnt lgkmcnt(0)
	v_cmp_ne_u16_e64 s[52:53], s7, v21
	v_cndmask_b32_e64 v21, v65, v21, s[52:53]
	v_lshrrev_b32_sdwa v21, s62, v21 dst_sel:DWORD dst_unused:UNUSED_PAD src0_sel:DWORD src1_sel:WORD_0
	v_and_b32_e32 v90, s63, v21
	s_or_b64 exec, exec, s[60:61]
	s_and_saveexec_b64 s[60:61], s[46:47]
	s_cbranch_execz .LBB1847_133
.LBB1847_167:                           ;   in Loop: Header=BB1847_64 Depth=2
	ds_read_u16 v21, v47 offset:3584
	s_waitcnt lgkmcnt(0)
	v_cmp_ne_u16_e64 s[52:53], s7, v21
	v_cndmask_b32_e64 v21, v65, v21, s[52:53]
	v_lshrrev_b32_sdwa v21, s62, v21 dst_sel:DWORD dst_unused:UNUSED_PAD src0_sel:DWORD src1_sel:WORD_0
	v_and_b32_e32 v89, s63, v21
	s_or_b64 exec, exec, s[60:61]
	s_and_saveexec_b64 s[60:61], s[48:49]
	s_cbranch_execz .LBB1847_134
.LBB1847_168:                           ;   in Loop: Header=BB1847_64 Depth=2
	ds_read_u16 v21, v47 offset:4096
	s_waitcnt lgkmcnt(0)
	v_cmp_ne_u16_e64 s[52:53], s7, v21
	v_cndmask_b32_e64 v21, v65, v21, s[52:53]
	v_lshrrev_b32_sdwa v21, s62, v21 dst_sel:DWORD dst_unused:UNUSED_PAD src0_sel:DWORD src1_sel:WORD_0
	v_and_b32_e32 v88, s63, v21
	s_or_b64 exec, exec, s[60:61]
	s_and_saveexec_b64 s[60:61], s[50:51]
	s_cbranch_execnz .LBB1847_135
	s_branch .LBB1847_136
.LBB1847_169:                           ;   in Loop: Header=BB1847_64 Depth=2
	v_lshlrev_b32_e32 v21, 2, v95
	ds_read_b32 v23, v21
	v_add_u32_e32 v21, v47, v48
	ds_read_b64 v[21:22], v21 offset:1024
	v_mov_b32_e32 v24, v3
	v_mov_b32_e32 v96, s73
	s_waitcnt lgkmcnt(1)
	v_add_u32_e32 v23, v23, v0
	v_lshlrev_b64 v[23:24], 3, v[23:24]
	v_add_co_u32_e32 v23, vcc, s72, v23
	v_addc_co_u32_e32 v24, vcc, v96, v24, vcc
	s_waitcnt lgkmcnt(0)
	global_store_dwordx2 v[23:24], v[21:22], off
	s_or_b64 exec, exec, s[52:53]
	s_and_saveexec_b64 s[52:53], s[38:39]
	s_cbranch_execz .LBB1847_138
.LBB1847_170:                           ;   in Loop: Header=BB1847_64 Depth=2
	v_lshlrev_b32_e32 v21, 2, v94
	ds_read_b32 v23, v21
	v_add_u32_e32 v21, v47, v48
	ds_read_b64 v[21:22], v21 offset:3072
	v_mov_b32_e32 v24, v3
	v_mov_b32_e32 v96, s73
	s_waitcnt lgkmcnt(1)
	v_add_u32_e32 v23, v23, v26
	v_lshlrev_b64 v[23:24], 3, v[23:24]
	v_add_co_u32_e32 v23, vcc, s72, v23
	v_addc_co_u32_e32 v24, vcc, v96, v24, vcc
	s_waitcnt lgkmcnt(0)
	global_store_dwordx2 v[23:24], v[21:22], off
	s_or_b64 exec, exec, s[52:53]
	s_and_saveexec_b64 s[38:39], s[40:41]
	s_cbranch_execz .LBB1847_139
.LBB1847_171:                           ;   in Loop: Header=BB1847_64 Depth=2
	v_lshlrev_b32_e32 v21, 2, v93
	ds_read_b32 v23, v21
	v_add_u32_e32 v21, v47, v48
	ds_read_b64 v[21:22], v21 offset:5120
	v_mov_b32_e32 v24, v3
	v_mov_b32_e32 v96, s73
	s_waitcnt lgkmcnt(1)
	v_add_u32_e32 v23, v23, v27
	v_lshlrev_b64 v[23:24], 3, v[23:24]
	v_add_co_u32_e32 v23, vcc, s72, v23
	v_addc_co_u32_e32 v24, vcc, v96, v24, vcc
	s_waitcnt lgkmcnt(0)
	global_store_dwordx2 v[23:24], v[21:22], off
	s_or_b64 exec, exec, s[38:39]
	s_and_saveexec_b64 s[38:39], s[42:43]
	s_cbranch_execz .LBB1847_140
.LBB1847_172:                           ;   in Loop: Header=BB1847_64 Depth=2
	v_lshlrev_b32_e32 v21, 2, v92
	ds_read_b32 v23, v21
	v_add_u32_e32 v21, v47, v48
	ds_read_b64 v[21:22], v21 offset:7168
	v_mov_b32_e32 v24, v3
	v_mov_b32_e32 v96, s73
	s_waitcnt lgkmcnt(1)
	v_add_u32_e32 v23, v23, v28
	v_lshlrev_b64 v[23:24], 3, v[23:24]
	v_add_co_u32_e32 v23, vcc, s72, v23
	v_addc_co_u32_e32 v24, vcc, v96, v24, vcc
	s_waitcnt lgkmcnt(0)
	global_store_dwordx2 v[23:24], v[21:22], off
	s_or_b64 exec, exec, s[38:39]
	s_and_saveexec_b64 s[38:39], s[44:45]
	s_cbranch_execz .LBB1847_141
.LBB1847_173:                           ;   in Loop: Header=BB1847_64 Depth=2
	v_lshlrev_b32_e32 v21, 2, v90
	ds_read_b32 v23, v21
	v_add_u32_e32 v21, v47, v48
	ds_read_b64 v[21:22], v21 offset:9216
	v_mov_b32_e32 v24, v3
	v_mov_b32_e32 v96, s73
	s_waitcnt lgkmcnt(1)
	v_add_u32_e32 v23, v23, v31
	v_lshlrev_b64 v[23:24], 3, v[23:24]
	v_add_co_u32_e32 v23, vcc, s72, v23
	v_addc_co_u32_e32 v24, vcc, v96, v24, vcc
	s_waitcnt lgkmcnt(0)
	global_store_dwordx2 v[23:24], v[21:22], off
	s_or_b64 exec, exec, s[38:39]
	s_and_saveexec_b64 s[38:39], s[46:47]
	s_cbranch_execz .LBB1847_142
.LBB1847_174:                           ;   in Loop: Header=BB1847_64 Depth=2
	v_lshlrev_b32_e32 v21, 2, v89
	ds_read_b32 v23, v21
	v_add_u32_e32 v21, v47, v48
	ds_read_b64 v[21:22], v21 offset:11264
	v_mov_b32_e32 v24, v3
	v_mov_b32_e32 v96, s73
	s_waitcnt lgkmcnt(1)
	v_add_u32_e32 v23, v23, v32
	v_lshlrev_b64 v[23:24], 3, v[23:24]
	v_add_co_u32_e32 v23, vcc, s72, v23
	v_addc_co_u32_e32 v24, vcc, v96, v24, vcc
	s_waitcnt lgkmcnt(0)
	global_store_dwordx2 v[23:24], v[21:22], off
	s_or_b64 exec, exec, s[38:39]
	s_and_saveexec_b64 s[38:39], s[48:49]
	s_cbranch_execz .LBB1847_143
.LBB1847_175:                           ;   in Loop: Header=BB1847_64 Depth=2
	v_lshlrev_b32_e32 v21, 2, v88
	ds_read_b32 v23, v21
	v_add_u32_e32 v21, v47, v48
	ds_read_b64 v[21:22], v21 offset:13312
	v_mov_b32_e32 v24, v3
	v_mov_b32_e32 v96, s73
	s_waitcnt lgkmcnt(1)
	v_add_u32_e32 v23, v23, v33
	v_lshlrev_b64 v[23:24], 3, v[23:24]
	v_add_co_u32_e32 v23, vcc, s72, v23
	v_addc_co_u32_e32 v24, vcc, v96, v24, vcc
	s_waitcnt lgkmcnt(0)
	global_store_dwordx2 v[23:24], v[21:22], off
	s_or_b64 exec, exec, s[38:39]
	s_and_saveexec_b64 s[38:39], s[50:51]
	s_cbranch_execnz .LBB1847_144
	s_branch .LBB1847_145
.LBB1847_176:                           ;   in Loop: Header=BB1847_12 Depth=1
	s_waitcnt lgkmcnt(0)
	s_barrier
	s_mov_b64 s[18:19], 0
.LBB1847_177:                           ;   in Loop: Header=BB1847_12 Depth=1
	s_and_b64 vcc, exec, s[18:19]
	s_cbranch_vccz .LBB1847_341
; %bb.178:                              ;   in Loop: Header=BB1847_12 Depth=1
	s_mov_b32 s22, s79
	s_mov_b32 s58, s80
	s_barrier
                                        ; implicit-def: $vgpr4
                                        ; implicit-def: $vgpr5
                                        ; implicit-def: $vgpr6
                                        ; implicit-def: $vgpr7
                                        ; implicit-def: $vgpr8
                                        ; implicit-def: $vgpr9
                                        ; implicit-def: $vgpr10
                                        ; implicit-def: $vgpr11
	s_branch .LBB1847_180
.LBB1847_179:                           ;   in Loop: Header=BB1847_180 Depth=2
	s_or_b64 exec, exec, s[18:19]
	s_addk_i32 s22, 0xf800
	s_cmp_ge_u32 s23, s81
	s_mov_b32 s58, s23
	s_cbranch_scc1 .LBB1847_216
.LBB1847_180:                           ;   Parent Loop BB1847_12 Depth=1
                                        ; =>  This Inner Loop Header: Depth=2
	s_add_i32 s23, s58, 0x800
	s_cmp_gt_u32 s23, s81
	s_mov_b64 s[18:19], -1
                                        ; implicit-def: $vgpr12
                                        ; implicit-def: $vgpr13
                                        ; implicit-def: $vgpr14
                                        ; implicit-def: $vgpr15
                                        ; implicit-def: $vgpr16
                                        ; implicit-def: $vgpr17
                                        ; implicit-def: $vgpr18
                                        ; implicit-def: $vgpr19
	s_cbranch_scc1 .LBB1847_182
; %bb.181:                              ;   in Loop: Header=BB1847_180 Depth=2
	s_lshl_b64 s[18:19], s[58:59], 1
	v_mov_b32_e32 v12, s19
	v_add_co_u32_e32 v20, vcc, s18, v49
	v_addc_co_u32_e32 v21, vcc, v50, v12, vcc
	global_load_ushort v12, v[20:21], off
	global_load_ushort v13, v[20:21], off offset:512
	global_load_ushort v14, v[20:21], off offset:1024
	;; [unrolled: 1-line block ×7, first 2 shown]
	s_mov_b64 s[18:19], 0
.LBB1847_182:                           ;   in Loop: Header=BB1847_180 Depth=2
	s_andn2_b64 vcc, exec, s[18:19]
	s_movk_i32 s20, 0x800
	s_cbranch_vccnz .LBB1847_193
; %bb.183:                              ;   in Loop: Header=BB1847_180 Depth=2
	s_lshl_b64 s[18:19], s[58:59], 1
	s_add_u32 s18, s66, s18
	s_addc_u32 s19, s67, s19
	v_cmp_gt_u32_e32 vcc, s22, v0
	s_and_saveexec_b64 s[20:21], vcc
	s_cbranch_execnz .LBB1847_209
; %bb.184:                              ;   in Loop: Header=BB1847_180 Depth=2
	s_or_b64 exec, exec, s[20:21]
	v_cmp_gt_u32_e32 vcc, s22, v26
	s_and_saveexec_b64 s[20:21], vcc
	s_cbranch_execnz .LBB1847_210
.LBB1847_185:                           ;   in Loop: Header=BB1847_180 Depth=2
	s_or_b64 exec, exec, s[20:21]
	v_cmp_gt_u32_e32 vcc, s22, v27
	s_and_saveexec_b64 s[20:21], vcc
	s_cbranch_execnz .LBB1847_211
.LBB1847_186:                           ;   in Loop: Header=BB1847_180 Depth=2
	s_or_b64 exec, exec, s[20:21]
	v_cmp_gt_u32_e32 vcc, s22, v28
	s_and_saveexec_b64 s[20:21], vcc
	s_cbranch_execnz .LBB1847_212
.LBB1847_187:                           ;   in Loop: Header=BB1847_180 Depth=2
	s_or_b64 exec, exec, s[20:21]
	v_cmp_gt_u32_e32 vcc, s22, v31
	s_and_saveexec_b64 s[20:21], vcc
	s_cbranch_execnz .LBB1847_213
.LBB1847_188:                           ;   in Loop: Header=BB1847_180 Depth=2
	s_or_b64 exec, exec, s[20:21]
	v_cmp_gt_u32_e32 vcc, s22, v32
	s_and_saveexec_b64 s[20:21], vcc
	s_cbranch_execnz .LBB1847_214
.LBB1847_189:                           ;   in Loop: Header=BB1847_180 Depth=2
	s_or_b64 exec, exec, s[20:21]
	v_cmp_gt_u32_e32 vcc, s22, v33
	s_and_saveexec_b64 s[20:21], vcc
	s_cbranch_execnz .LBB1847_215
.LBB1847_190:                           ;   in Loop: Header=BB1847_180 Depth=2
	s_or_b64 exec, exec, s[20:21]
	v_cmp_gt_u32_e32 vcc, s22, v34
	s_and_saveexec_b64 s[20:21], vcc
	s_cbranch_execz .LBB1847_192
.LBB1847_191:                           ;   in Loop: Header=BB1847_180 Depth=2
	global_load_ushort v4, v64, s[18:19] offset:3584
.LBB1847_192:                           ;   in Loop: Header=BB1847_180 Depth=2
	s_or_b64 exec, exec, s[20:21]
	s_mov_b32 s20, s22
	s_waitcnt vmcnt(0)
	v_mov_b32_e32 v12, v11
	v_mov_b32_e32 v13, v10
	;; [unrolled: 1-line block ×8, first 2 shown]
.LBB1847_193:                           ;   in Loop: Header=BB1847_180 Depth=2
	s_waitcnt vmcnt(0)
	v_mov_b32_e32 v4, v19
	v_mov_b32_e32 v5, v18
	;; [unrolled: 1-line block ×8, first 2 shown]
	v_cmp_gt_u32_e32 vcc, s20, v0
	s_and_saveexec_b64 s[18:19], vcc
	s_cbranch_execnz .LBB1847_201
; %bb.194:                              ;   in Loop: Header=BB1847_180 Depth=2
	s_or_b64 exec, exec, s[18:19]
	v_cmp_gt_u32_e32 vcc, s20, v26
	s_and_saveexec_b64 s[18:19], vcc
	s_cbranch_execnz .LBB1847_202
.LBB1847_195:                           ;   in Loop: Header=BB1847_180 Depth=2
	s_or_b64 exec, exec, s[18:19]
	v_cmp_gt_u32_e32 vcc, s20, v27
	s_and_saveexec_b64 s[18:19], vcc
	s_cbranch_execnz .LBB1847_203
.LBB1847_196:                           ;   in Loop: Header=BB1847_180 Depth=2
	s_or_b64 exec, exec, s[18:19]
	v_cmp_gt_u32_e32 vcc, s20, v28
	s_and_saveexec_b64 s[18:19], vcc
	s_cbranch_execnz .LBB1847_204
.LBB1847_197:                           ;   in Loop: Header=BB1847_180 Depth=2
	s_or_b64 exec, exec, s[18:19]
	v_cmp_gt_u32_e32 vcc, s20, v31
	s_and_saveexec_b64 s[18:19], vcc
	s_cbranch_execnz .LBB1847_205
.LBB1847_198:                           ;   in Loop: Header=BB1847_180 Depth=2
	s_or_b64 exec, exec, s[18:19]
	v_cmp_gt_u32_e32 vcc, s20, v32
	s_and_saveexec_b64 s[18:19], vcc
	s_cbranch_execnz .LBB1847_206
.LBB1847_199:                           ;   in Loop: Header=BB1847_180 Depth=2
	s_or_b64 exec, exec, s[18:19]
	v_cmp_gt_u32_e32 vcc, s20, v33
	s_and_saveexec_b64 s[18:19], vcc
	s_cbranch_execnz .LBB1847_207
.LBB1847_200:                           ;   in Loop: Header=BB1847_180 Depth=2
	s_or_b64 exec, exec, s[18:19]
	v_cmp_gt_u32_e32 vcc, s20, v34
	s_and_saveexec_b64 s[18:19], vcc
	s_cbranch_execz .LBB1847_179
	s_branch .LBB1847_208
.LBB1847_201:                           ;   in Loop: Header=BB1847_180 Depth=2
	v_cmp_lt_i16_e32 vcc, -1, v11
	v_cndmask_b32_e32 v12, -1, v65, vcc
	v_xor_b32_e32 v12, v12, v11
	v_cmp_ne_u16_e32 vcc, s7, v12
	v_cndmask_b32_e32 v12, v65, v12, vcc
	v_lshrrev_b32_sdwa v12, s62, v12 dst_sel:DWORD dst_unused:UNUSED_PAD src0_sel:DWORD src1_sel:WORD_0
	v_and_b32_e32 v12, s63, v12
	v_lshl_or_b32 v12, v12, 4, v35
	ds_add_u32 v12, v61
	s_or_b64 exec, exec, s[18:19]
	v_cmp_gt_u32_e32 vcc, s20, v26
	s_and_saveexec_b64 s[18:19], vcc
	s_cbranch_execz .LBB1847_195
.LBB1847_202:                           ;   in Loop: Header=BB1847_180 Depth=2
	v_cmp_lt_i16_e32 vcc, -1, v10
	v_cndmask_b32_e32 v12, -1, v65, vcc
	v_xor_b32_e32 v12, v12, v10
	v_cmp_ne_u16_e32 vcc, s7, v12
	v_cndmask_b32_e32 v12, v65, v12, vcc
	v_lshrrev_b32_sdwa v12, s62, v12 dst_sel:DWORD dst_unused:UNUSED_PAD src0_sel:DWORD src1_sel:WORD_0
	v_and_b32_e32 v12, s63, v12
	v_lshl_or_b32 v12, v12, 4, v35
	ds_add_u32 v12, v61
	s_or_b64 exec, exec, s[18:19]
	v_cmp_gt_u32_e32 vcc, s20, v27
	s_and_saveexec_b64 s[18:19], vcc
	s_cbranch_execz .LBB1847_196
.LBB1847_203:                           ;   in Loop: Header=BB1847_180 Depth=2
	v_cmp_lt_i16_e32 vcc, -1, v9
	v_cndmask_b32_e32 v12, -1, v65, vcc
	v_xor_b32_e32 v12, v12, v9
	v_cmp_ne_u16_e32 vcc, s7, v12
	v_cndmask_b32_e32 v12, v65, v12, vcc
	v_lshrrev_b32_sdwa v12, s62, v12 dst_sel:DWORD dst_unused:UNUSED_PAD src0_sel:DWORD src1_sel:WORD_0
	v_and_b32_e32 v12, s63, v12
	v_lshl_or_b32 v12, v12, 4, v35
	ds_add_u32 v12, v61
	s_or_b64 exec, exec, s[18:19]
	v_cmp_gt_u32_e32 vcc, s20, v28
	s_and_saveexec_b64 s[18:19], vcc
	s_cbranch_execz .LBB1847_197
.LBB1847_204:                           ;   in Loop: Header=BB1847_180 Depth=2
	v_cmp_lt_i16_e32 vcc, -1, v8
	v_cndmask_b32_e32 v12, -1, v65, vcc
	v_xor_b32_e32 v12, v12, v8
	v_cmp_ne_u16_e32 vcc, s7, v12
	v_cndmask_b32_e32 v12, v65, v12, vcc
	v_lshrrev_b32_sdwa v12, s62, v12 dst_sel:DWORD dst_unused:UNUSED_PAD src0_sel:DWORD src1_sel:WORD_0
	v_and_b32_e32 v12, s63, v12
	v_lshl_or_b32 v12, v12, 4, v35
	ds_add_u32 v12, v61
	s_or_b64 exec, exec, s[18:19]
	v_cmp_gt_u32_e32 vcc, s20, v31
	s_and_saveexec_b64 s[18:19], vcc
	s_cbranch_execz .LBB1847_198
.LBB1847_205:                           ;   in Loop: Header=BB1847_180 Depth=2
	v_cmp_lt_i16_e32 vcc, -1, v7
	v_cndmask_b32_e32 v12, -1, v65, vcc
	v_xor_b32_e32 v12, v12, v7
	v_cmp_ne_u16_e32 vcc, s7, v12
	v_cndmask_b32_e32 v12, v65, v12, vcc
	v_lshrrev_b32_sdwa v12, s62, v12 dst_sel:DWORD dst_unused:UNUSED_PAD src0_sel:DWORD src1_sel:WORD_0
	v_and_b32_e32 v12, s63, v12
	v_lshl_or_b32 v12, v12, 4, v35
	ds_add_u32 v12, v61
	s_or_b64 exec, exec, s[18:19]
	v_cmp_gt_u32_e32 vcc, s20, v32
	s_and_saveexec_b64 s[18:19], vcc
	s_cbranch_execz .LBB1847_199
.LBB1847_206:                           ;   in Loop: Header=BB1847_180 Depth=2
	v_cmp_lt_i16_e32 vcc, -1, v6
	v_cndmask_b32_e32 v12, -1, v65, vcc
	v_xor_b32_e32 v12, v12, v6
	v_cmp_ne_u16_e32 vcc, s7, v12
	v_cndmask_b32_e32 v12, v65, v12, vcc
	v_lshrrev_b32_sdwa v12, s62, v12 dst_sel:DWORD dst_unused:UNUSED_PAD src0_sel:DWORD src1_sel:WORD_0
	v_and_b32_e32 v12, s63, v12
	v_lshl_or_b32 v12, v12, 4, v35
	ds_add_u32 v12, v61
	s_or_b64 exec, exec, s[18:19]
	v_cmp_gt_u32_e32 vcc, s20, v33
	s_and_saveexec_b64 s[18:19], vcc
	s_cbranch_execz .LBB1847_200
.LBB1847_207:                           ;   in Loop: Header=BB1847_180 Depth=2
	v_cmp_lt_i16_e32 vcc, -1, v5
	v_cndmask_b32_e32 v12, -1, v65, vcc
	v_xor_b32_e32 v12, v12, v5
	v_cmp_ne_u16_e32 vcc, s7, v12
	v_cndmask_b32_e32 v12, v65, v12, vcc
	v_lshrrev_b32_sdwa v12, s62, v12 dst_sel:DWORD dst_unused:UNUSED_PAD src0_sel:DWORD src1_sel:WORD_0
	v_and_b32_e32 v12, s63, v12
	v_lshl_or_b32 v12, v12, 4, v35
	ds_add_u32 v12, v61
	s_or_b64 exec, exec, s[18:19]
	v_cmp_gt_u32_e32 vcc, s20, v34
	s_and_saveexec_b64 s[18:19], vcc
	s_cbranch_execz .LBB1847_179
.LBB1847_208:                           ;   in Loop: Header=BB1847_180 Depth=2
	v_cmp_lt_i16_e32 vcc, -1, v4
	v_cndmask_b32_e32 v12, -1, v65, vcc
	v_xor_b32_e32 v12, v12, v4
	v_cmp_ne_u16_e32 vcc, s7, v12
	v_cndmask_b32_e32 v12, v65, v12, vcc
	v_lshrrev_b32_sdwa v12, s62, v12 dst_sel:DWORD dst_unused:UNUSED_PAD src0_sel:DWORD src1_sel:WORD_0
	v_and_b32_e32 v12, s63, v12
	v_lshl_or_b32 v12, v12, 4, v35
	ds_add_u32 v12, v61
	s_branch .LBB1847_179
.LBB1847_209:                           ;   in Loop: Header=BB1847_180 Depth=2
	global_load_ushort v11, v64, s[18:19]
	s_or_b64 exec, exec, s[20:21]
	v_cmp_gt_u32_e32 vcc, s22, v26
	s_and_saveexec_b64 s[20:21], vcc
	s_cbranch_execz .LBB1847_185
.LBB1847_210:                           ;   in Loop: Header=BB1847_180 Depth=2
	global_load_ushort v10, v64, s[18:19] offset:512
	s_or_b64 exec, exec, s[20:21]
	v_cmp_gt_u32_e32 vcc, s22, v27
	s_and_saveexec_b64 s[20:21], vcc
	s_cbranch_execz .LBB1847_186
.LBB1847_211:                           ;   in Loop: Header=BB1847_180 Depth=2
	global_load_ushort v9, v64, s[18:19] offset:1024
	s_or_b64 exec, exec, s[20:21]
	v_cmp_gt_u32_e32 vcc, s22, v28
	s_and_saveexec_b64 s[20:21], vcc
	s_cbranch_execz .LBB1847_187
.LBB1847_212:                           ;   in Loop: Header=BB1847_180 Depth=2
	global_load_ushort v8, v64, s[18:19] offset:1536
	s_or_b64 exec, exec, s[20:21]
	v_cmp_gt_u32_e32 vcc, s22, v31
	s_and_saveexec_b64 s[20:21], vcc
	s_cbranch_execz .LBB1847_188
.LBB1847_213:                           ;   in Loop: Header=BB1847_180 Depth=2
	global_load_ushort v7, v64, s[18:19] offset:2048
	s_or_b64 exec, exec, s[20:21]
	v_cmp_gt_u32_e32 vcc, s22, v32
	s_and_saveexec_b64 s[20:21], vcc
	s_cbranch_execz .LBB1847_189
.LBB1847_214:                           ;   in Loop: Header=BB1847_180 Depth=2
	global_load_ushort v6, v64, s[18:19] offset:2560
	s_or_b64 exec, exec, s[20:21]
	v_cmp_gt_u32_e32 vcc, s22, v33
	s_and_saveexec_b64 s[20:21], vcc
	s_cbranch_execz .LBB1847_190
.LBB1847_215:                           ;   in Loop: Header=BB1847_180 Depth=2
	global_load_ushort v5, v64, s[18:19] offset:3072
	s_or_b64 exec, exec, s[20:21]
	v_cmp_gt_u32_e32 vcc, s22, v34
	s_and_saveexec_b64 s[20:21], vcc
	s_cbranch_execnz .LBB1847_191
	s_branch .LBB1847_192
.LBB1847_216:                           ;   in Loop: Header=BB1847_12 Depth=1
	v_mov_b32_e32 v4, 0
	s_waitcnt lgkmcnt(0)
	s_barrier
	s_and_saveexec_b64 s[18:19], s[4:5]
	s_cbranch_execz .LBB1847_218
; %bb.217:                              ;   in Loop: Header=BB1847_12 Depth=1
	ds_read2_b64 v[4:7], v36 offset1:1
	s_waitcnt lgkmcnt(0)
	v_add_u32_e32 v4, v5, v4
	v_add3_u32 v4, v4, v6, v7
.LBB1847_218:                           ;   in Loop: Header=BB1847_12 Depth=1
	s_or_b64 exec, exec, s[18:19]
	s_nop 0
	v_mov_b32_dpp v5, v4 row_shr:1 row_mask:0xf bank_mask:0xf
	v_cmp_eq_u32_e64 s[18:19], 0, v67
	v_cndmask_b32_e64 v5, v5, 0, s[18:19]
	v_add_u32_e32 v4, v5, v4
	v_cmp_lt_u32_e64 s[20:21], 1, v67
	v_cmp_lt_u32_e64 s[22:23], 3, v67
	v_mov_b32_dpp v5, v4 row_shr:2 row_mask:0xf bank_mask:0xf
	v_cndmask_b32_e64 v5, 0, v5, s[20:21]
	v_add_u32_e32 v4, v4, v5
	v_cmp_lt_u32_e64 s[24:25], 7, v67
	v_cmp_lt_u32_e64 s[28:29], 31, v66
	v_mov_b32_dpp v5, v4 row_shr:4 row_mask:0xf bank_mask:0xf
	v_cndmask_b32_e64 v5, 0, v5, s[22:23]
	v_add_u32_e32 v4, v4, v5
	v_cmp_eq_u32_e64 s[26:27], 0, v69
	s_nop 0
	v_mov_b32_dpp v5, v4 row_shr:8 row_mask:0xf bank_mask:0xf
	v_cndmask_b32_e64 v5, 0, v5, s[24:25]
	v_add_u32_e32 v4, v4, v5
	s_nop 1
	v_mov_b32_dpp v5, v4 row_bcast:15 row_mask:0xf bank_mask:0xf
	v_and_b32_e32 v5, v68, v5
	v_add_u32_e32 v4, v4, v5
	s_nop 1
	v_mov_b32_dpp v5, v4 row_bcast:31 row_mask:0xf bank_mask:0xf
	v_cndmask_b32_e64 v5, 0, v5, s[28:29]
	v_add_u32_e32 v4, v4, v5
	s_and_saveexec_b64 s[30:31], s[8:9]
; %bb.219:                              ;   in Loop: Header=BB1847_12 Depth=1
	ds_write_b32 v38, v4
; %bb.220:                              ;   in Loop: Header=BB1847_12 Depth=1
	s_or_b64 exec, exec, s[30:31]
	s_waitcnt lgkmcnt(0)
	s_barrier
	s_and_saveexec_b64 s[30:31], s[10:11]
	s_cbranch_execz .LBB1847_222
; %bb.221:                              ;   in Loop: Header=BB1847_12 Depth=1
	ds_read_b32 v5, v39
	v_cmp_ne_u32_e32 vcc, 0, v70
	s_waitcnt lgkmcnt(0)
	v_mov_b32_dpp v6, v5 row_shr:1 row_mask:0xf bank_mask:0xf
	v_cndmask_b32_e32 v6, 0, v6, vcc
	v_add_u32_e32 v5, v6, v5
	v_cmp_lt_u32_e32 vcc, 1, v70
	s_nop 0
	v_mov_b32_dpp v6, v5 row_shr:2 row_mask:0xf bank_mask:0xf
	v_cndmask_b32_e32 v6, 0, v6, vcc
	v_add_u32_e32 v5, v5, v6
	ds_write_b32 v39, v5
.LBB1847_222:                           ;   in Loop: Header=BB1847_12 Depth=1
	s_or_b64 exec, exec, s[30:31]
	v_mov_b32_e32 v5, 0
	s_waitcnt lgkmcnt(0)
	s_barrier
	s_and_saveexec_b64 s[30:31], s[12:13]
; %bb.223:                              ;   in Loop: Header=BB1847_12 Depth=1
	ds_read_b32 v5, v40
; %bb.224:                              ;   in Loop: Header=BB1847_12 Depth=1
	s_or_b64 exec, exec, s[30:31]
	v_subrev_co_u32_e64 v6, s[30:31], 1, v66
	v_cmp_lt_i32_e32 vcc, v6, v71
	v_cndmask_b32_e32 v6, v6, v66, vcc
	s_waitcnt lgkmcnt(0)
	v_add_u32_e32 v4, v5, v4
	v_lshlrev_b32_e32 v82, 2, v6
	ds_bpermute_b32 v4, v82, v4
	s_waitcnt lgkmcnt(0)
	s_barrier
	s_and_saveexec_b64 s[34:35], s[4:5]
; %bb.225:                              ;   in Loop: Header=BB1847_12 Depth=1
	v_cndmask_b32_e64 v4, v4, v5, s[30:31]
	v_add_u32_e32 v4, s80, v4
	ds_write_b32 v25, v4
; %bb.226:                              ;   in Loop: Header=BB1847_12 Depth=1
	s_or_b64 exec, exec, s[34:35]
	s_load_dwordx2 s[34:35], s[56:57], 0x0
	v_add_co_u32_e32 v83, vcc, v51, v72
	v_addc_co_u32_e32 v84, vcc, 0, v52, vcc
	s_waitcnt lgkmcnt(0)
	s_cmp_lt_u32 s33, s35
	s_cselect_b32 s35, 14, 20
	s_add_u32 s36, s56, s35
	s_addc_u32 s37, s57, 0
	s_cmp_lt_u32 s6, s34
	s_cselect_b32 s34, 12, 18
	s_add_u32 s34, s56, s34
	global_load_ushort v4, v3, s[36:37]
	s_addc_u32 s35, s57, 0
	global_load_ushort v5, v3, s[34:35]
	v_add_co_u32_e32 v85, vcc, v53, v81
	v_cmp_eq_u32_e64 s[34:35], 0, v70
	v_cmp_lt_u32_e64 s[36:37], 1, v70
	v_addc_co_u32_e32 v86, vcc, 0, v54, vcc
	s_mov_b32 s70, s79
	s_mov_b32 s58, s80
                                        ; implicit-def: $vgpr7_vgpr8
                                        ; implicit-def: $vgpr9_vgpr10
                                        ; implicit-def: $vgpr11_vgpr12
                                        ; implicit-def: $vgpr13_vgpr14
                                        ; implicit-def: $vgpr15_vgpr16
                                        ; implicit-def: $vgpr17_vgpr18
                                        ; implicit-def: $vgpr19_vgpr20
                                        ; implicit-def: $vgpr87
                                        ; implicit-def: $vgpr88
                                        ; implicit-def: $vgpr89
                                        ; implicit-def: $vgpr90
                                        ; implicit-def: $vgpr92
                                        ; implicit-def: $vgpr93
                                        ; implicit-def: $vgpr94
                                        ; implicit-def: $vgpr95
	s_waitcnt vmcnt(1)
	v_mad_u32_u24 v4, v2, v4, v1
	s_waitcnt vmcnt(0)
	v_mad_u64_u32 v[4:5], s[38:39], v4, v5, v[0:1]
                                        ; implicit-def: $vgpr5_vgpr6
	v_lshrrev_b32_e32 v4, 4, v4
	v_and_b32_e32 v91, 0xffffffc, v4
	s_branch .LBB1847_228
.LBB1847_227:                           ;   in Loop: Header=BB1847_228 Depth=2
	s_or_b64 exec, exec, s[38:39]
	s_addk_i32 s70, 0xf800
	s_cmp_lt_u32 s71, s81
	s_mov_b32 s58, s71
	s_cbranch_scc0 .LBB1847_340
.LBB1847_228:                           ;   Parent Loop BB1847_12 Depth=1
                                        ; =>  This Inner Loop Header: Depth=2
	s_add_i32 s71, s58, 0x800
	s_cmp_gt_u32 s71, s81
	s_cbranch_scc1 .LBB1847_230
; %bb.229:                              ;   in Loop: Header=BB1847_228 Depth=2
	s_lshl_b64 s[38:39], s[58:59], 1
	v_mov_b32_e32 v4, s39
	v_add_co_u32_e32 v21, vcc, s38, v85
	v_addc_co_u32_e32 v22, vcc, v86, v4, vcc
	global_load_ushort v4, v[21:22], off
	global_load_ushort v99, v[21:22], off offset:128
	global_load_ushort v103, v[21:22], off offset:256
	;; [unrolled: 1-line block ×6, first 2 shown]
	s_mov_b64 s[38:39], -1
	s_movk_i32 s42, 0x800
	s_cbranch_execz .LBB1847_231
	s_branch .LBB1847_246
.LBB1847_230:                           ;   in Loop: Header=BB1847_228 Depth=2
	s_mov_b64 s[38:39], 0
                                        ; implicit-def: $vgpr4
                                        ; implicit-def: $vgpr99
                                        ; implicit-def: $vgpr103
                                        ; implicit-def: $vgpr107
                                        ; implicit-def: $vgpr112
                                        ; implicit-def: $vgpr108
                                        ; implicit-def: $vgpr24
	s_movk_i32 s42, 0x800
.LBB1847_231:                           ;   in Loop: Header=BB1847_228 Depth=2
	s_lshl_b64 s[38:39], s[58:59], 1
	s_waitcnt vmcnt(6)
	v_mov_b32_e32 v4, s39
	v_add_co_u32_e32 v21, vcc, s38, v85
	v_addc_co_u32_e32 v22, vcc, v86, v4, vcc
	v_cmp_gt_u32_e32 vcc, s70, v73
	s_waitcnt vmcnt(5)
	v_mov_b32_e32 v99, 0x7fff
	v_mov_b32_e32 v4, 0x7fff
	s_and_saveexec_b64 s[38:39], vcc
	s_cbranch_execz .LBB1847_233
; %bb.232:                              ;   in Loop: Header=BB1847_228 Depth=2
	global_load_ushort v4, v[21:22], off
.LBB1847_233:                           ;   in Loop: Header=BB1847_228 Depth=2
	s_or_b64 exec, exec, s[38:39]
	v_cmp_gt_u32_e32 vcc, s70, v74
	s_and_saveexec_b64 s[38:39], vcc
	s_cbranch_execz .LBB1847_235
; %bb.234:                              ;   in Loop: Header=BB1847_228 Depth=2
	global_load_ushort v99, v[21:22], off offset:128
.LBB1847_235:                           ;   in Loop: Header=BB1847_228 Depth=2
	s_or_b64 exec, exec, s[38:39]
	v_cmp_gt_u32_e32 vcc, s70, v75
	s_waitcnt vmcnt(3)
	v_mov_b32_e32 v107, 0x7fff
	v_mov_b32_e32 v103, 0x7fff
	s_and_saveexec_b64 s[38:39], vcc
	s_cbranch_execz .LBB1847_237
; %bb.236:                              ;   in Loop: Header=BB1847_228 Depth=2
	global_load_ushort v103, v[21:22], off offset:256
.LBB1847_237:                           ;   in Loop: Header=BB1847_228 Depth=2
	s_or_b64 exec, exec, s[38:39]
	v_cmp_gt_u32_e32 vcc, s70, v76
	s_and_saveexec_b64 s[38:39], vcc
	s_cbranch_execz .LBB1847_239
; %bb.238:                              ;   in Loop: Header=BB1847_228 Depth=2
	global_load_ushort v107, v[21:22], off offset:384
.LBB1847_239:                           ;   in Loop: Header=BB1847_228 Depth=2
	s_or_b64 exec, exec, s[38:39]
	v_cmp_gt_u32_e32 vcc, s70, v77
	s_waitcnt vmcnt(1)
	v_mov_b32_e32 v108, 0x7fff
	v_mov_b32_e32 v112, 0x7fff
	s_and_saveexec_b64 s[38:39], vcc
	s_cbranch_execz .LBB1847_241
; %bb.240:                              ;   in Loop: Header=BB1847_228 Depth=2
	global_load_ushort v112, v[21:22], off offset:512
.LBB1847_241:                           ;   in Loop: Header=BB1847_228 Depth=2
	s_or_b64 exec, exec, s[38:39]
	v_cmp_gt_u32_e32 vcc, s70, v78
	s_and_saveexec_b64 s[38:39], vcc
	s_cbranch_execz .LBB1847_243
; %bb.242:                              ;   in Loop: Header=BB1847_228 Depth=2
	global_load_ushort v108, v[21:22], off offset:640
.LBB1847_243:                           ;   in Loop: Header=BB1847_228 Depth=2
	s_or_b64 exec, exec, s[38:39]
	v_cmp_gt_u32_e32 vcc, s70, v79
	s_waitcnt vmcnt(0)
	v_mov_b32_e32 v24, 0x7fff
	s_and_saveexec_b64 s[38:39], vcc
	s_cbranch_execz .LBB1847_245
; %bb.244:                              ;   in Loop: Header=BB1847_228 Depth=2
	global_load_ushort v24, v[21:22], off offset:768
.LBB1847_245:                           ;   in Loop: Header=BB1847_228 Depth=2
	s_or_b64 exec, exec, s[38:39]
	s_sub_i32 s42, s81, s58
	v_cmp_gt_u32_e64 s[38:39], s70, v80
.LBB1847_246:                           ;   in Loop: Header=BB1847_228 Depth=2
	v_mov_b32_e32 v23, 0x7fff
	v_mov_b32_e32 v96, s70
	s_and_saveexec_b64 s[40:41], s[38:39]
	s_cbranch_execz .LBB1847_248
; %bb.247:                              ;   in Loop: Header=BB1847_228 Depth=2
	s_lshl_b64 s[38:39], s[58:59], 1
	v_mov_b32_e32 v22, s39
	v_add_co_u32_e32 v21, vcc, s38, v85
	v_addc_co_u32_e32 v22, vcc, v86, v22, vcc
	global_load_ushort v23, v[21:22], off offset:896
	v_mov_b32_e32 v96, s42
.LBB1847_248:                           ;   in Loop: Header=BB1847_228 Depth=2
	s_or_b64 exec, exec, s[40:41]
	s_waitcnt vmcnt(6)
	v_cmp_lt_i16_e32 vcc, -1, v4
	v_cndmask_b32_e32 v21, -1, v65, vcc
	v_xor_b32_e32 v97, v21, v4
	v_cmp_ne_u16_e32 vcc, s7, v97
	v_cndmask_b32_e32 v4, v65, v97, vcc
	v_lshrrev_b32_sdwa v4, s62, v4 dst_sel:DWORD dst_unused:UNUSED_PAD src0_sel:DWORD src1_sel:WORD_0
	v_and_b32_e32 v21, s63, v4
	v_and_b32_e32 v4, 1, v21
	v_add_co_u32_e32 v22, vcc, -1, v4
	v_addc_co_u32_e64 v98, s[38:39], 0, -1, vcc
	v_cmp_ne_u32_e32 vcc, 0, v4
	v_xor_b32_e32 v4, vcc_hi, v98
	v_and_b32_e32 v98, exec_hi, v4
	v_lshlrev_b32_e32 v4, 30, v21
	v_xor_b32_e32 v22, vcc_lo, v22
	v_cmp_gt_i64_e32 vcc, 0, v[3:4]
	v_not_b32_e32 v4, v4
	v_ashrrev_i32_e32 v4, 31, v4
	v_and_b32_e32 v22, exec_lo, v22
	v_xor_b32_e32 v101, vcc_hi, v4
	v_xor_b32_e32 v4, vcc_lo, v4
	v_and_b32_e32 v22, v22, v4
	v_lshlrev_b32_e32 v4, 29, v21
	v_cmp_gt_i64_e32 vcc, 0, v[3:4]
	v_not_b32_e32 v4, v4
	v_ashrrev_i32_e32 v4, 31, v4
	v_and_b32_e32 v98, v98, v101
	v_xor_b32_e32 v101, vcc_hi, v4
	v_xor_b32_e32 v4, vcc_lo, v4
	v_and_b32_e32 v22, v22, v4
	v_lshlrev_b32_e32 v4, 28, v21
	v_cmp_gt_i64_e32 vcc, 0, v[3:4]
	v_not_b32_e32 v4, v4
	v_ashrrev_i32_e32 v4, 31, v4
	v_and_b32_e32 v98, v98, v101
	;; [unrolled: 8-line block ×5, first 2 shown]
	v_xor_b32_e32 v101, vcc_hi, v4
	v_xor_b32_e32 v4, vcc_lo, v4
	v_and_b32_e32 v98, v98, v101
	v_and_b32_e32 v101, v22, v4
	v_lshlrev_b32_e32 v4, 24, v21
	v_cmp_gt_i64_e32 vcc, 0, v[3:4]
	v_not_b32_e32 v4, v4
	v_ashrrev_i32_e32 v4, 31, v4
	v_mul_u32_u24_e32 v100, 20, v21
	v_xor_b32_e32 v21, vcc_hi, v4
	v_xor_b32_e32 v4, vcc_lo, v4
	v_and_b32_e32 v22, v98, v21
	v_and_b32_e32 v21, v101, v4
	v_mbcnt_lo_u32_b32 v4, v21, 0
	v_mbcnt_hi_u32_b32 v98, v22, v4
	v_cmp_ne_u64_e32 vcc, 0, v[21:22]
	v_cmp_eq_u32_e64 s[38:39], 0, v98
	s_and_b64 s[40:41], vcc, s[38:39]
	v_add_u32_e32 v101, v91, v100
	ds_write2_b32 v62, v3, v3 offset1:1
	ds_write2_b32 v63, v3, v3 offset1:1
	ds_write_b32 v41, v3 offset:1056
	s_waitcnt vmcnt(0) lgkmcnt(0)
	s_barrier
	; wave barrier
	s_and_saveexec_b64 s[38:39], s[40:41]
; %bb.249:                              ;   in Loop: Header=BB1847_228 Depth=2
	v_bcnt_u32_b32 v4, v21, 0
	v_bcnt_u32_b32 v4, v22, v4
	ds_write_b32 v101, v4 offset:1040
; %bb.250:                              ;   in Loop: Header=BB1847_228 Depth=2
	s_or_b64 exec, exec, s[38:39]
	v_cmp_lt_i16_e32 vcc, -1, v99
	v_cndmask_b32_e32 v4, -1, v65, vcc
	v_xor_b32_e32 v99, v4, v99
	v_cmp_ne_u16_e32 vcc, s7, v99
	v_cndmask_b32_e32 v4, v65, v99, vcc
	v_lshrrev_b32_sdwa v4, s62, v4 dst_sel:DWORD dst_unused:UNUSED_PAD src0_sel:DWORD src1_sel:WORD_0
	v_and_b32_e32 v21, s63, v4
	v_mad_u32_u24 v4, v21, 20, v91
	; wave barrier
	ds_read_b32 v100, v4 offset:1040
	v_and_b32_e32 v4, 1, v21
	v_add_co_u32_e32 v22, vcc, -1, v4
	v_addc_co_u32_e64 v102, s[38:39], 0, -1, vcc
	v_cmp_ne_u32_e32 vcc, 0, v4
	v_xor_b32_e32 v4, vcc_hi, v102
	v_and_b32_e32 v102, exec_hi, v4
	v_lshlrev_b32_e32 v4, 30, v21
	v_xor_b32_e32 v22, vcc_lo, v22
	v_cmp_gt_i64_e32 vcc, 0, v[3:4]
	v_not_b32_e32 v4, v4
	v_ashrrev_i32_e32 v4, 31, v4
	v_and_b32_e32 v22, exec_lo, v22
	v_xor_b32_e32 v105, vcc_hi, v4
	v_xor_b32_e32 v4, vcc_lo, v4
	v_and_b32_e32 v22, v22, v4
	v_lshlrev_b32_e32 v4, 29, v21
	v_cmp_gt_i64_e32 vcc, 0, v[3:4]
	v_not_b32_e32 v4, v4
	v_ashrrev_i32_e32 v4, 31, v4
	v_and_b32_e32 v102, v102, v105
	v_xor_b32_e32 v105, vcc_hi, v4
	v_xor_b32_e32 v4, vcc_lo, v4
	v_and_b32_e32 v22, v22, v4
	v_lshlrev_b32_e32 v4, 28, v21
	v_cmp_gt_i64_e32 vcc, 0, v[3:4]
	v_not_b32_e32 v4, v4
	v_ashrrev_i32_e32 v4, 31, v4
	v_and_b32_e32 v102, v102, v105
	;; [unrolled: 8-line block ×5, first 2 shown]
	v_xor_b32_e32 v105, vcc_hi, v4
	v_xor_b32_e32 v4, vcc_lo, v4
	v_and_b32_e32 v102, v102, v105
	v_and_b32_e32 v105, v22, v4
	v_lshlrev_b32_e32 v4, 24, v21
	v_cmp_gt_i64_e32 vcc, 0, v[3:4]
	v_not_b32_e32 v4, v4
	v_ashrrev_i32_e32 v4, 31, v4
	v_mul_u32_u24_e32 v104, 20, v21
	v_xor_b32_e32 v21, vcc_hi, v4
	v_xor_b32_e32 v4, vcc_lo, v4
	v_and_b32_e32 v22, v102, v21
	v_and_b32_e32 v21, v105, v4
	v_mbcnt_lo_u32_b32 v4, v21, 0
	v_mbcnt_hi_u32_b32 v102, v22, v4
	v_cmp_ne_u64_e32 vcc, 0, v[21:22]
	v_cmp_eq_u32_e64 s[38:39], 0, v102
	s_and_b64 s[40:41], vcc, s[38:39]
	v_add_u32_e32 v105, v91, v104
	; wave barrier
	s_and_saveexec_b64 s[38:39], s[40:41]
	s_cbranch_execz .LBB1847_252
; %bb.251:                              ;   in Loop: Header=BB1847_228 Depth=2
	v_bcnt_u32_b32 v4, v21, 0
	v_bcnt_u32_b32 v4, v22, v4
	s_waitcnt lgkmcnt(0)
	v_add_u32_e32 v4, v100, v4
	ds_write_b32 v105, v4 offset:1040
.LBB1847_252:                           ;   in Loop: Header=BB1847_228 Depth=2
	s_or_b64 exec, exec, s[38:39]
	v_cmp_lt_i16_e32 vcc, -1, v103
	v_cndmask_b32_e32 v4, -1, v65, vcc
	v_xor_b32_e32 v103, v4, v103
	v_cmp_ne_u16_e32 vcc, s7, v103
	v_cndmask_b32_e32 v4, v65, v103, vcc
	v_lshrrev_b32_sdwa v4, s62, v4 dst_sel:DWORD dst_unused:UNUSED_PAD src0_sel:DWORD src1_sel:WORD_0
	v_and_b32_e32 v21, s63, v4
	v_mad_u32_u24 v4, v21, 20, v91
	; wave barrier
	ds_read_b32 v104, v4 offset:1040
	v_and_b32_e32 v4, 1, v21
	v_add_co_u32_e32 v22, vcc, -1, v4
	v_addc_co_u32_e64 v106, s[38:39], 0, -1, vcc
	v_cmp_ne_u32_e32 vcc, 0, v4
	v_xor_b32_e32 v4, vcc_hi, v106
	v_and_b32_e32 v106, exec_hi, v4
	v_lshlrev_b32_e32 v4, 30, v21
	v_xor_b32_e32 v22, vcc_lo, v22
	v_cmp_gt_i64_e32 vcc, 0, v[3:4]
	v_not_b32_e32 v4, v4
	v_ashrrev_i32_e32 v4, 31, v4
	v_and_b32_e32 v22, exec_lo, v22
	v_xor_b32_e32 v110, vcc_hi, v4
	v_xor_b32_e32 v4, vcc_lo, v4
	v_and_b32_e32 v22, v22, v4
	v_lshlrev_b32_e32 v4, 29, v21
	v_cmp_gt_i64_e32 vcc, 0, v[3:4]
	v_not_b32_e32 v4, v4
	v_ashrrev_i32_e32 v4, 31, v4
	v_and_b32_e32 v106, v106, v110
	v_xor_b32_e32 v110, vcc_hi, v4
	v_xor_b32_e32 v4, vcc_lo, v4
	v_and_b32_e32 v22, v22, v4
	v_lshlrev_b32_e32 v4, 28, v21
	v_cmp_gt_i64_e32 vcc, 0, v[3:4]
	v_not_b32_e32 v4, v4
	v_ashrrev_i32_e32 v4, 31, v4
	v_and_b32_e32 v106, v106, v110
	;; [unrolled: 8-line block ×5, first 2 shown]
	v_xor_b32_e32 v110, vcc_hi, v4
	v_xor_b32_e32 v4, vcc_lo, v4
	v_and_b32_e32 v106, v106, v110
	v_and_b32_e32 v110, v22, v4
	v_lshlrev_b32_e32 v4, 24, v21
	v_cmp_gt_i64_e32 vcc, 0, v[3:4]
	v_not_b32_e32 v4, v4
	v_ashrrev_i32_e32 v4, 31, v4
	v_mul_u32_u24_e32 v109, 20, v21
	v_xor_b32_e32 v21, vcc_hi, v4
	v_xor_b32_e32 v4, vcc_lo, v4
	v_and_b32_e32 v22, v106, v21
	v_and_b32_e32 v21, v110, v4
	v_mbcnt_lo_u32_b32 v4, v21, 0
	v_mbcnt_hi_u32_b32 v106, v22, v4
	v_cmp_ne_u64_e32 vcc, 0, v[21:22]
	v_cmp_eq_u32_e64 s[38:39], 0, v106
	s_and_b64 s[40:41], vcc, s[38:39]
	v_add_u32_e32 v110, v91, v109
	; wave barrier
	s_and_saveexec_b64 s[38:39], s[40:41]
	s_cbranch_execz .LBB1847_254
; %bb.253:                              ;   in Loop: Header=BB1847_228 Depth=2
	v_bcnt_u32_b32 v4, v21, 0
	v_bcnt_u32_b32 v4, v22, v4
	s_waitcnt lgkmcnt(0)
	v_add_u32_e32 v4, v104, v4
	ds_write_b32 v110, v4 offset:1040
.LBB1847_254:                           ;   in Loop: Header=BB1847_228 Depth=2
	s_or_b64 exec, exec, s[38:39]
	v_cmp_lt_i16_e32 vcc, -1, v107
	v_cndmask_b32_e32 v4, -1, v65, vcc
	v_xor_b32_e32 v107, v4, v107
	v_cmp_ne_u16_e32 vcc, s7, v107
	v_cndmask_b32_e32 v4, v65, v107, vcc
	v_lshrrev_b32_sdwa v4, s62, v4 dst_sel:DWORD dst_unused:UNUSED_PAD src0_sel:DWORD src1_sel:WORD_0
	v_and_b32_e32 v21, s63, v4
	v_mad_u32_u24 v4, v21, 20, v91
	; wave barrier
	ds_read_b32 v109, v4 offset:1040
	v_and_b32_e32 v4, 1, v21
	v_add_co_u32_e32 v22, vcc, -1, v4
	v_addc_co_u32_e64 v111, s[38:39], 0, -1, vcc
	v_cmp_ne_u32_e32 vcc, 0, v4
	v_xor_b32_e32 v4, vcc_hi, v111
	v_and_b32_e32 v111, exec_hi, v4
	v_lshlrev_b32_e32 v4, 30, v21
	v_xor_b32_e32 v22, vcc_lo, v22
	v_cmp_gt_i64_e32 vcc, 0, v[3:4]
	v_not_b32_e32 v4, v4
	v_ashrrev_i32_e32 v4, 31, v4
	v_and_b32_e32 v22, exec_lo, v22
	v_xor_b32_e32 v114, vcc_hi, v4
	v_xor_b32_e32 v4, vcc_lo, v4
	v_and_b32_e32 v22, v22, v4
	v_lshlrev_b32_e32 v4, 29, v21
	v_cmp_gt_i64_e32 vcc, 0, v[3:4]
	v_not_b32_e32 v4, v4
	v_ashrrev_i32_e32 v4, 31, v4
	v_and_b32_e32 v111, v111, v114
	v_xor_b32_e32 v114, vcc_hi, v4
	v_xor_b32_e32 v4, vcc_lo, v4
	v_and_b32_e32 v22, v22, v4
	v_lshlrev_b32_e32 v4, 28, v21
	v_cmp_gt_i64_e32 vcc, 0, v[3:4]
	v_not_b32_e32 v4, v4
	v_ashrrev_i32_e32 v4, 31, v4
	v_and_b32_e32 v111, v111, v114
	;; [unrolled: 8-line block ×5, first 2 shown]
	v_xor_b32_e32 v114, vcc_hi, v4
	v_xor_b32_e32 v4, vcc_lo, v4
	v_and_b32_e32 v111, v111, v114
	v_and_b32_e32 v114, v22, v4
	v_lshlrev_b32_e32 v4, 24, v21
	v_cmp_gt_i64_e32 vcc, 0, v[3:4]
	v_not_b32_e32 v4, v4
	v_ashrrev_i32_e32 v4, 31, v4
	v_mul_u32_u24_e32 v113, 20, v21
	v_xor_b32_e32 v21, vcc_hi, v4
	v_xor_b32_e32 v4, vcc_lo, v4
	v_and_b32_e32 v22, v111, v21
	v_and_b32_e32 v21, v114, v4
	v_mbcnt_lo_u32_b32 v4, v21, 0
	v_mbcnt_hi_u32_b32 v111, v22, v4
	v_cmp_ne_u64_e32 vcc, 0, v[21:22]
	v_cmp_eq_u32_e64 s[38:39], 0, v111
	s_and_b64 s[40:41], vcc, s[38:39]
	v_add_u32_e32 v114, v91, v113
	; wave barrier
	s_and_saveexec_b64 s[38:39], s[40:41]
	s_cbranch_execz .LBB1847_256
; %bb.255:                              ;   in Loop: Header=BB1847_228 Depth=2
	v_bcnt_u32_b32 v4, v21, 0
	v_bcnt_u32_b32 v4, v22, v4
	s_waitcnt lgkmcnt(0)
	v_add_u32_e32 v4, v109, v4
	ds_write_b32 v114, v4 offset:1040
.LBB1847_256:                           ;   in Loop: Header=BB1847_228 Depth=2
	s_or_b64 exec, exec, s[38:39]
	v_cmp_lt_i16_e32 vcc, -1, v112
	v_cndmask_b32_e32 v4, -1, v65, vcc
	v_xor_b32_e32 v112, v4, v112
	v_cmp_ne_u16_e32 vcc, s7, v112
	v_cndmask_b32_e32 v4, v65, v112, vcc
	v_lshrrev_b32_sdwa v4, s62, v4 dst_sel:DWORD dst_unused:UNUSED_PAD src0_sel:DWORD src1_sel:WORD_0
	v_and_b32_e32 v21, s63, v4
	v_mad_u32_u24 v4, v21, 20, v91
	; wave barrier
	ds_read_b32 v113, v4 offset:1040
	v_and_b32_e32 v4, 1, v21
	v_add_co_u32_e32 v22, vcc, -1, v4
	v_addc_co_u32_e64 v115, s[38:39], 0, -1, vcc
	v_cmp_ne_u32_e32 vcc, 0, v4
	v_xor_b32_e32 v4, vcc_hi, v115
	v_and_b32_e32 v115, exec_hi, v4
	v_lshlrev_b32_e32 v4, 30, v21
	v_xor_b32_e32 v22, vcc_lo, v22
	v_cmp_gt_i64_e32 vcc, 0, v[3:4]
	v_not_b32_e32 v4, v4
	v_ashrrev_i32_e32 v4, 31, v4
	v_and_b32_e32 v22, exec_lo, v22
	v_xor_b32_e32 v117, vcc_hi, v4
	v_xor_b32_e32 v4, vcc_lo, v4
	v_and_b32_e32 v22, v22, v4
	v_lshlrev_b32_e32 v4, 29, v21
	v_cmp_gt_i64_e32 vcc, 0, v[3:4]
	v_not_b32_e32 v4, v4
	v_ashrrev_i32_e32 v4, 31, v4
	v_and_b32_e32 v115, v115, v117
	v_xor_b32_e32 v117, vcc_hi, v4
	v_xor_b32_e32 v4, vcc_lo, v4
	v_and_b32_e32 v22, v22, v4
	v_lshlrev_b32_e32 v4, 28, v21
	v_cmp_gt_i64_e32 vcc, 0, v[3:4]
	v_not_b32_e32 v4, v4
	v_ashrrev_i32_e32 v4, 31, v4
	v_and_b32_e32 v115, v115, v117
	;; [unrolled: 8-line block ×5, first 2 shown]
	v_xor_b32_e32 v117, vcc_hi, v4
	v_xor_b32_e32 v4, vcc_lo, v4
	v_and_b32_e32 v115, v115, v117
	v_and_b32_e32 v117, v22, v4
	v_lshlrev_b32_e32 v4, 24, v21
	v_cmp_gt_i64_e32 vcc, 0, v[3:4]
	v_not_b32_e32 v4, v4
	v_ashrrev_i32_e32 v4, 31, v4
	v_mul_u32_u24_e32 v116, 20, v21
	v_xor_b32_e32 v21, vcc_hi, v4
	v_xor_b32_e32 v4, vcc_lo, v4
	v_and_b32_e32 v22, v115, v21
	v_and_b32_e32 v21, v117, v4
	v_mbcnt_lo_u32_b32 v4, v21, 0
	v_mbcnt_hi_u32_b32 v115, v22, v4
	v_cmp_ne_u64_e32 vcc, 0, v[21:22]
	v_cmp_eq_u32_e64 s[38:39], 0, v115
	s_and_b64 s[40:41], vcc, s[38:39]
	v_add_u32_e32 v118, v91, v116
	; wave barrier
	s_and_saveexec_b64 s[38:39], s[40:41]
	s_cbranch_execz .LBB1847_258
; %bb.257:                              ;   in Loop: Header=BB1847_228 Depth=2
	v_bcnt_u32_b32 v4, v21, 0
	v_bcnt_u32_b32 v4, v22, v4
	s_waitcnt lgkmcnt(0)
	v_add_u32_e32 v4, v113, v4
	ds_write_b32 v118, v4 offset:1040
.LBB1847_258:                           ;   in Loop: Header=BB1847_228 Depth=2
	s_or_b64 exec, exec, s[38:39]
	v_cmp_lt_i16_e32 vcc, -1, v108
	v_cndmask_b32_e32 v4, -1, v65, vcc
	v_xor_b32_e32 v116, v4, v108
	v_cmp_ne_u16_e32 vcc, s7, v116
	v_cndmask_b32_e32 v4, v65, v116, vcc
	v_lshrrev_b32_sdwa v4, s62, v4 dst_sel:DWORD dst_unused:UNUSED_PAD src0_sel:DWORD src1_sel:WORD_0
	v_and_b32_e32 v21, s63, v4
	v_mad_u32_u24 v4, v21, 20, v91
	; wave barrier
	ds_read_b32 v117, v4 offset:1040
	v_and_b32_e32 v4, 1, v21
	v_add_co_u32_e32 v22, vcc, -1, v4
	v_addc_co_u32_e64 v119, s[38:39], 0, -1, vcc
	v_cmp_ne_u32_e32 vcc, 0, v4
	v_xor_b32_e32 v4, vcc_hi, v119
	v_and_b32_e32 v119, exec_hi, v4
	v_lshlrev_b32_e32 v4, 30, v21
	v_xor_b32_e32 v22, vcc_lo, v22
	v_cmp_gt_i64_e32 vcc, 0, v[3:4]
	v_not_b32_e32 v4, v4
	v_ashrrev_i32_e32 v4, 31, v4
	v_and_b32_e32 v22, exec_lo, v22
	v_xor_b32_e32 v120, vcc_hi, v4
	v_xor_b32_e32 v4, vcc_lo, v4
	v_and_b32_e32 v22, v22, v4
	v_lshlrev_b32_e32 v4, 29, v21
	v_cmp_gt_i64_e32 vcc, 0, v[3:4]
	v_not_b32_e32 v4, v4
	v_ashrrev_i32_e32 v4, 31, v4
	v_and_b32_e32 v119, v119, v120
	v_xor_b32_e32 v120, vcc_hi, v4
	v_xor_b32_e32 v4, vcc_lo, v4
	v_and_b32_e32 v22, v22, v4
	v_lshlrev_b32_e32 v4, 28, v21
	v_cmp_gt_i64_e32 vcc, 0, v[3:4]
	v_not_b32_e32 v4, v4
	v_ashrrev_i32_e32 v4, 31, v4
	v_and_b32_e32 v119, v119, v120
	;; [unrolled: 8-line block ×5, first 2 shown]
	v_xor_b32_e32 v120, vcc_hi, v4
	v_xor_b32_e32 v4, vcc_lo, v4
	v_and_b32_e32 v119, v119, v120
	v_and_b32_e32 v120, v22, v4
	v_lshlrev_b32_e32 v4, 24, v21
	v_cmp_gt_i64_e32 vcc, 0, v[3:4]
	v_not_b32_e32 v4, v4
	v_ashrrev_i32_e32 v4, 31, v4
	v_mul_u32_u24_e32 v108, 20, v21
	v_xor_b32_e32 v21, vcc_hi, v4
	v_xor_b32_e32 v4, vcc_lo, v4
	v_and_b32_e32 v22, v119, v21
	v_and_b32_e32 v21, v120, v4
	v_mbcnt_lo_u32_b32 v4, v21, 0
	v_mbcnt_hi_u32_b32 v119, v22, v4
	v_cmp_ne_u64_e32 vcc, 0, v[21:22]
	v_cmp_eq_u32_e64 s[38:39], 0, v119
	s_and_b64 s[40:41], vcc, s[38:39]
	v_add_u32_e32 v108, v91, v108
	; wave barrier
	s_and_saveexec_b64 s[38:39], s[40:41]
	s_cbranch_execz .LBB1847_260
; %bb.259:                              ;   in Loop: Header=BB1847_228 Depth=2
	v_bcnt_u32_b32 v4, v21, 0
	v_bcnt_u32_b32 v4, v22, v4
	s_waitcnt lgkmcnt(0)
	v_add_u32_e32 v4, v117, v4
	ds_write_b32 v108, v4 offset:1040
.LBB1847_260:                           ;   in Loop: Header=BB1847_228 Depth=2
	s_or_b64 exec, exec, s[38:39]
	v_cmp_lt_i16_e32 vcc, -1, v24
	v_cndmask_b32_e32 v4, -1, v65, vcc
	v_xor_b32_e32 v120, v4, v24
	v_cmp_ne_u16_e32 vcc, s7, v120
	v_cndmask_b32_e32 v4, v65, v120, vcc
	v_lshrrev_b32_sdwa v4, s62, v4 dst_sel:DWORD dst_unused:UNUSED_PAD src0_sel:DWORD src1_sel:WORD_0
	v_and_b32_e32 v21, s63, v4
	v_mad_u32_u24 v4, v21, 20, v91
	; wave barrier
	ds_read_b32 v121, v4 offset:1040
	v_and_b32_e32 v4, 1, v21
	v_add_co_u32_e32 v22, vcc, -1, v4
	v_addc_co_u32_e64 v122, s[38:39], 0, -1, vcc
	v_cmp_ne_u32_e32 vcc, 0, v4
	v_xor_b32_e32 v4, vcc_hi, v122
	v_and_b32_e32 v122, exec_hi, v4
	v_lshlrev_b32_e32 v4, 30, v21
	v_xor_b32_e32 v22, vcc_lo, v22
	v_cmp_gt_i64_e32 vcc, 0, v[3:4]
	v_not_b32_e32 v4, v4
	v_ashrrev_i32_e32 v4, 31, v4
	v_and_b32_e32 v22, exec_lo, v22
	v_xor_b32_e32 v123, vcc_hi, v4
	v_xor_b32_e32 v4, vcc_lo, v4
	v_and_b32_e32 v22, v22, v4
	v_lshlrev_b32_e32 v4, 29, v21
	v_cmp_gt_i64_e32 vcc, 0, v[3:4]
	v_not_b32_e32 v4, v4
	v_ashrrev_i32_e32 v4, 31, v4
	v_and_b32_e32 v122, v122, v123
	v_xor_b32_e32 v123, vcc_hi, v4
	v_xor_b32_e32 v4, vcc_lo, v4
	v_and_b32_e32 v22, v22, v4
	v_lshlrev_b32_e32 v4, 28, v21
	v_cmp_gt_i64_e32 vcc, 0, v[3:4]
	v_not_b32_e32 v4, v4
	v_ashrrev_i32_e32 v4, 31, v4
	v_and_b32_e32 v122, v122, v123
	;; [unrolled: 8-line block ×5, first 2 shown]
	v_xor_b32_e32 v123, vcc_hi, v4
	v_xor_b32_e32 v4, vcc_lo, v4
	v_and_b32_e32 v122, v122, v123
	v_and_b32_e32 v123, v22, v4
	v_lshlrev_b32_e32 v4, 24, v21
	v_cmp_gt_i64_e32 vcc, 0, v[3:4]
	v_not_b32_e32 v4, v4
	v_ashrrev_i32_e32 v4, 31, v4
	v_mul_u32_u24_e32 v24, 20, v21
	v_xor_b32_e32 v21, vcc_hi, v4
	v_xor_b32_e32 v4, vcc_lo, v4
	v_and_b32_e32 v22, v122, v21
	v_and_b32_e32 v21, v123, v4
	v_mbcnt_lo_u32_b32 v4, v21, 0
	v_mbcnt_hi_u32_b32 v122, v22, v4
	v_cmp_ne_u64_e32 vcc, 0, v[21:22]
	v_cmp_eq_u32_e64 s[38:39], 0, v122
	s_and_b64 s[40:41], vcc, s[38:39]
	v_add_u32_e32 v125, v91, v24
	; wave barrier
	s_and_saveexec_b64 s[38:39], s[40:41]
	s_cbranch_execz .LBB1847_262
; %bb.261:                              ;   in Loop: Header=BB1847_228 Depth=2
	v_bcnt_u32_b32 v4, v21, 0
	v_bcnt_u32_b32 v4, v22, v4
	s_waitcnt lgkmcnt(0)
	v_add_u32_e32 v4, v121, v4
	ds_write_b32 v125, v4 offset:1040
.LBB1847_262:                           ;   in Loop: Header=BB1847_228 Depth=2
	s_or_b64 exec, exec, s[38:39]
	v_cmp_lt_i16_e32 vcc, -1, v23
	v_cndmask_b32_e32 v4, -1, v65, vcc
	v_xor_b32_e32 v123, v4, v23
	v_cmp_ne_u16_e32 vcc, s7, v123
	v_cndmask_b32_e32 v4, v65, v123, vcc
	v_lshrrev_b32_sdwa v4, s62, v4 dst_sel:DWORD dst_unused:UNUSED_PAD src0_sel:DWORD src1_sel:WORD_0
	v_and_b32_e32 v21, s63, v4
	v_mad_u32_u24 v4, v21, 20, v91
	; wave barrier
	ds_read_b32 v124, v4 offset:1040
	v_and_b32_e32 v4, 1, v21
	v_add_co_u32_e32 v22, vcc, -1, v4
	v_addc_co_u32_e64 v24, s[38:39], 0, -1, vcc
	v_cmp_ne_u32_e32 vcc, 0, v4
	v_xor_b32_e32 v4, vcc_hi, v24
	v_and_b32_e32 v24, exec_hi, v4
	v_lshlrev_b32_e32 v4, 30, v21
	v_xor_b32_e32 v22, vcc_lo, v22
	v_cmp_gt_i64_e32 vcc, 0, v[3:4]
	v_not_b32_e32 v4, v4
	v_ashrrev_i32_e32 v4, 31, v4
	v_and_b32_e32 v22, exec_lo, v22
	v_xor_b32_e32 v126, vcc_hi, v4
	v_xor_b32_e32 v4, vcc_lo, v4
	v_and_b32_e32 v22, v22, v4
	v_lshlrev_b32_e32 v4, 29, v21
	v_cmp_gt_i64_e32 vcc, 0, v[3:4]
	v_not_b32_e32 v4, v4
	v_ashrrev_i32_e32 v4, 31, v4
	v_and_b32_e32 v24, v24, v126
	v_xor_b32_e32 v126, vcc_hi, v4
	v_xor_b32_e32 v4, vcc_lo, v4
	v_and_b32_e32 v22, v22, v4
	v_lshlrev_b32_e32 v4, 28, v21
	v_cmp_gt_i64_e32 vcc, 0, v[3:4]
	v_not_b32_e32 v4, v4
	v_ashrrev_i32_e32 v4, 31, v4
	v_and_b32_e32 v24, v24, v126
	v_xor_b32_e32 v126, vcc_hi, v4
	v_xor_b32_e32 v4, vcc_lo, v4
	v_and_b32_e32 v22, v22, v4
	v_lshlrev_b32_e32 v4, 27, v21
	v_cmp_gt_i64_e32 vcc, 0, v[3:4]
	v_not_b32_e32 v4, v4
	v_ashrrev_i32_e32 v4, 31, v4
	v_and_b32_e32 v24, v24, v126
	v_xor_b32_e32 v126, vcc_hi, v4
	v_xor_b32_e32 v4, vcc_lo, v4
	v_and_b32_e32 v22, v22, v4
	v_lshlrev_b32_e32 v4, 26, v21
	v_cmp_gt_i64_e32 vcc, 0, v[3:4]
	v_not_b32_e32 v4, v4
	v_ashrrev_i32_e32 v4, 31, v4
	v_and_b32_e32 v24, v24, v126
	v_xor_b32_e32 v126, vcc_hi, v4
	v_xor_b32_e32 v4, vcc_lo, v4
	v_and_b32_e32 v22, v22, v4
	v_lshlrev_b32_e32 v4, 25, v21
	v_cmp_gt_i64_e32 vcc, 0, v[3:4]
	v_not_b32_e32 v4, v4
	v_ashrrev_i32_e32 v4, 31, v4
	v_and_b32_e32 v24, v24, v126
	v_xor_b32_e32 v126, vcc_hi, v4
	v_xor_b32_e32 v4, vcc_lo, v4
	v_and_b32_e32 v24, v24, v126
	v_and_b32_e32 v126, v22, v4
	v_lshlrev_b32_e32 v4, 24, v21
	v_cmp_gt_i64_e32 vcc, 0, v[3:4]
	v_not_b32_e32 v4, v4
	v_ashrrev_i32_e32 v4, 31, v4
	v_mul_u32_u24_e32 v23, 20, v21
	v_xor_b32_e32 v21, vcc_hi, v4
	v_xor_b32_e32 v4, vcc_lo, v4
	v_and_b32_e32 v22, v24, v21
	v_and_b32_e32 v21, v126, v4
	v_mbcnt_lo_u32_b32 v4, v21, 0
	v_mbcnt_hi_u32_b32 v126, v22, v4
	v_cmp_ne_u64_e32 vcc, 0, v[21:22]
	v_cmp_eq_u32_e64 s[38:39], 0, v126
	s_and_b64 s[40:41], vcc, s[38:39]
	v_add_u32_e32 v4, v91, v23
	; wave barrier
	s_and_saveexec_b64 s[38:39], s[40:41]
	s_cbranch_execz .LBB1847_264
; %bb.263:                              ;   in Loop: Header=BB1847_228 Depth=2
	v_bcnt_u32_b32 v21, v21, 0
	v_bcnt_u32_b32 v21, v22, v21
	s_waitcnt lgkmcnt(0)
	v_add_u32_e32 v21, v124, v21
	ds_write_b32 v4, v21 offset:1040
.LBB1847_264:                           ;   in Loop: Header=BB1847_228 Depth=2
	s_or_b64 exec, exec, s[38:39]
	; wave barrier
	s_waitcnt lgkmcnt(0)
	s_barrier
	ds_read2_b32 v[23:24], v62 offset1:1
	ds_read2_b32 v[21:22], v63 offset1:1
	ds_read_b32 v127, v41 offset:1056
	s_waitcnt lgkmcnt(1)
	v_add3_u32 v128, v24, v23, v21
	s_waitcnt lgkmcnt(0)
	v_add3_u32 v127, v128, v22, v127
	s_nop 1
	v_mov_b32_dpp v128, v127 row_shr:1 row_mask:0xf bank_mask:0xf
	v_cndmask_b32_e64 v128, v128, 0, s[18:19]
	v_add_u32_e32 v127, v128, v127
	s_nop 1
	v_mov_b32_dpp v128, v127 row_shr:2 row_mask:0xf bank_mask:0xf
	v_cndmask_b32_e64 v128, 0, v128, s[20:21]
	v_add_u32_e32 v127, v127, v128
	;; [unrolled: 4-line block ×4, first 2 shown]
	s_nop 1
	v_mov_b32_dpp v128, v127 row_bcast:15 row_mask:0xf bank_mask:0xf
	v_cndmask_b32_e64 v128, v128, 0, s[26:27]
	v_add_u32_e32 v127, v127, v128
	s_nop 1
	v_mov_b32_dpp v128, v127 row_bcast:31 row_mask:0xf bank_mask:0xf
	v_cndmask_b32_e64 v128, 0, v128, s[28:29]
	v_add_u32_e32 v127, v127, v128
	s_and_saveexec_b64 s[38:39], s[8:9]
; %bb.265:                              ;   in Loop: Header=BB1847_228 Depth=2
	ds_write_b32 v37, v127 offset:1024
; %bb.266:                              ;   in Loop: Header=BB1847_228 Depth=2
	s_or_b64 exec, exec, s[38:39]
	s_waitcnt lgkmcnt(0)
	s_barrier
	s_and_saveexec_b64 s[38:39], s[10:11]
	s_cbranch_execz .LBB1847_268
; %bb.267:                              ;   in Loop: Header=BB1847_228 Depth=2
	ds_read_b32 v128, v42 offset:1024
	s_waitcnt lgkmcnt(0)
	s_nop 0
	v_mov_b32_dpp v129, v128 row_shr:1 row_mask:0xf bank_mask:0xf
	v_cndmask_b32_e64 v129, v129, 0, s[34:35]
	v_add_u32_e32 v128, v129, v128
	s_nop 1
	v_mov_b32_dpp v129, v128 row_shr:2 row_mask:0xf bank_mask:0xf
	v_cndmask_b32_e64 v129, 0, v129, s[36:37]
	v_add_u32_e32 v128, v128, v129
	ds_write_b32 v42, v128 offset:1024
.LBB1847_268:                           ;   in Loop: Header=BB1847_228 Depth=2
	s_or_b64 exec, exec, s[38:39]
	v_mov_b32_e32 v128, 0
	s_waitcnt lgkmcnt(0)
	s_barrier
	s_and_saveexec_b64 s[38:39], s[12:13]
; %bb.269:                              ;   in Loop: Header=BB1847_228 Depth=2
	ds_read_b32 v128, v37 offset:1020
; %bb.270:                              ;   in Loop: Header=BB1847_228 Depth=2
	s_or_b64 exec, exec, s[38:39]
	s_waitcnt lgkmcnt(0)
	v_add_u32_e32 v127, v128, v127
	ds_bpermute_b32 v127, v82, v127
	s_waitcnt lgkmcnt(0)
	v_cndmask_b32_e64 v127, v127, v128, s[30:31]
	v_cndmask_b32_e64 v127, v127, 0, s[14:15]
	v_add_u32_e32 v23, v127, v23
	v_add_u32_e32 v24, v23, v24
	;; [unrolled: 1-line block ×4, first 2 shown]
	ds_write2_b32 v62, v127, v23 offset1:1
	ds_write2_b32 v63, v24, v21 offset1:1
	ds_write_b32 v41, v22 offset:1056
	s_waitcnt lgkmcnt(0)
	s_barrier
	ds_read_b32 v21, v101 offset:1040
	ds_read_b32 v22, v105 offset:1040
	;; [unrolled: 1-line block ×9, first 2 shown]
	v_mov_b32_e32 v4, 0x800
	s_and_saveexec_b64 s[38:39], s[16:17]
; %bb.271:                              ;   in Loop: Header=BB1847_228 Depth=2
	ds_read_b32 v4, v41 offset:1060
; %bb.272:                              ;   in Loop: Header=BB1847_228 Depth=2
	s_or_b64 exec, exec, s[38:39]
	s_waitcnt lgkmcnt(0)
	s_barrier
	s_and_saveexec_b64 s[38:39], s[4:5]
	s_cbranch_execz .LBB1847_274
; %bb.273:                              ;   in Loop: Header=BB1847_228 Depth=2
	ds_read_b32 v105, v25
	s_waitcnt lgkmcnt(0)
	v_sub_u32_e32 v101, v105, v101
	ds_write_b32 v25, v101
.LBB1847_274:                           ;   in Loop: Header=BB1847_228 Depth=2
	s_or_b64 exec, exec, s[38:39]
	v_add_u32_e32 v108, v21, v98
	v_add3_u32 v105, v102, v100, v22
	v_lshlrev_b32_e32 v21, 1, v108
	v_add3_u32 v102, v106, v104, v23
	ds_write_b16 v21, v97 offset:1024
	v_lshlrev_b32_e32 v21, 1, v105
	v_add3_u32 v101, v111, v109, v24
	ds_write_b16 v21, v99 offset:1024
	;; [unrolled: 3-line block ×6, first 2 shown]
	v_lshlrev_b32_e32 v21, 1, v24
	ds_write_b16 v21, v120 offset:1024
	v_lshlrev_b32_e32 v21, 1, v23
	v_cmp_lt_u32_e32 vcc, v0, v96
	ds_write_b16 v21, v123 offset:1024
	s_waitcnt lgkmcnt(0)
	s_barrier
	s_and_saveexec_b64 s[40:41], vcc
	s_cbranch_execnz .LBB1847_311
; %bb.275:                              ;   in Loop: Header=BB1847_228 Depth=2
	s_or_b64 exec, exec, s[40:41]
	v_cmp_lt_u32_e64 s[38:39], v26, v96
	s_and_saveexec_b64 s[42:43], s[38:39]
	s_cbranch_execnz .LBB1847_312
.LBB1847_276:                           ;   in Loop: Header=BB1847_228 Depth=2
	s_or_b64 exec, exec, s[42:43]
	v_cmp_lt_u32_e64 s[40:41], v27, v96
	s_and_saveexec_b64 s[44:45], s[40:41]
	s_cbranch_execnz .LBB1847_313
.LBB1847_277:                           ;   in Loop: Header=BB1847_228 Depth=2
	s_or_b64 exec, exec, s[44:45]
	v_cmp_lt_u32_e64 s[42:43], v28, v96
	s_and_saveexec_b64 s[46:47], s[42:43]
	s_cbranch_execnz .LBB1847_314
.LBB1847_278:                           ;   in Loop: Header=BB1847_228 Depth=2
	s_or_b64 exec, exec, s[46:47]
	v_cmp_lt_u32_e64 s[44:45], v31, v96
	s_and_saveexec_b64 s[48:49], s[44:45]
	s_cbranch_execnz .LBB1847_315
.LBB1847_279:                           ;   in Loop: Header=BB1847_228 Depth=2
	s_or_b64 exec, exec, s[48:49]
	v_cmp_lt_u32_e64 s[46:47], v32, v96
	s_and_saveexec_b64 s[50:51], s[46:47]
	s_cbranch_execnz .LBB1847_316
.LBB1847_280:                           ;   in Loop: Header=BB1847_228 Depth=2
	s_or_b64 exec, exec, s[50:51]
	v_cmp_lt_u32_e64 s[48:49], v33, v96
	s_and_saveexec_b64 s[52:53], s[48:49]
	s_cbranch_execnz .LBB1847_317
.LBB1847_281:                           ;   in Loop: Header=BB1847_228 Depth=2
	s_or_b64 exec, exec, s[52:53]
	v_cmp_lt_u32_e64 s[50:51], v34, v96
	s_and_saveexec_b64 s[60:61], s[50:51]
	s_cbranch_execz .LBB1847_283
.LBB1847_282:                           ;   in Loop: Header=BB1847_228 Depth=2
	ds_read_u16 v21, v47 offset:4608
	v_mov_b32_e32 v22, v3
	v_mov_b32_e32 v99, s69
	s_waitcnt lgkmcnt(0)
	v_cmp_ne_u16_e64 s[52:53], s7, v21
	v_cndmask_b32_e64 v97, v65, v21, s[52:53]
	v_lshrrev_b32_sdwa v97, s62, v97 dst_sel:DWORD dst_unused:UNUSED_PAD src0_sel:DWORD src1_sel:WORD_0
	v_and_b32_e32 v97, s63, v97
	v_lshlrev_b32_e32 v97, 2, v97
	ds_read_b32 v97, v97
	v_cmp_lt_i16_e64 s[52:53], -1, v21
	v_cndmask_b32_e64 v103, v65, -1, s[52:53]
	v_xor_b32_e32 v103, v103, v21
	s_waitcnt lgkmcnt(0)
	v_add_u32_e32 v21, v97, v34
	v_lshlrev_b64 v[21:22], 1, v[21:22]
	v_add_co_u32_e64 v21, s[52:53], s68, v21
	v_addc_co_u32_e64 v22, s[52:53], v99, v22, s[52:53]
	global_store_short v[21:22], v103, off
.LBB1847_283:                           ;   in Loop: Header=BB1847_228 Depth=2
	s_or_b64 exec, exec, s[60:61]
	s_lshl_b64 s[52:53], s[58:59], 3
	v_mov_b32_e32 v22, s53
	v_add_co_u32_e64 v21, s[52:53], s52, v83
	v_addc_co_u32_e64 v22, s[52:53], v84, v22, s[52:53]
	v_cmp_lt_u32_e64 s[52:53], v73, v96
	s_and_saveexec_b64 s[60:61], s[52:53]
	s_xor_b64 s[52:53], exec, s[60:61]
	s_cbranch_execnz .LBB1847_318
; %bb.284:                              ;   in Loop: Header=BB1847_228 Depth=2
	s_or_b64 exec, exec, s[52:53]
	v_cmp_lt_u32_e64 s[52:53], v74, v96
	s_and_saveexec_b64 s[60:61], s[52:53]
	s_cbranch_execnz .LBB1847_319
.LBB1847_285:                           ;   in Loop: Header=BB1847_228 Depth=2
	s_or_b64 exec, exec, s[60:61]
	v_cmp_lt_u32_e64 s[52:53], v75, v96
	s_and_saveexec_b64 s[60:61], s[52:53]
	s_cbranch_execnz .LBB1847_320
.LBB1847_286:                           ;   in Loop: Header=BB1847_228 Depth=2
	s_or_b64 exec, exec, s[60:61]
	v_cmp_lt_u32_e64 s[52:53], v76, v96
	s_and_saveexec_b64 s[60:61], s[52:53]
	s_cbranch_execnz .LBB1847_321
.LBB1847_287:                           ;   in Loop: Header=BB1847_228 Depth=2
	s_or_b64 exec, exec, s[60:61]
	v_cmp_lt_u32_e64 s[52:53], v77, v96
	s_and_saveexec_b64 s[60:61], s[52:53]
	s_cbranch_execnz .LBB1847_322
.LBB1847_288:                           ;   in Loop: Header=BB1847_228 Depth=2
	s_or_b64 exec, exec, s[60:61]
	v_cmp_lt_u32_e64 s[52:53], v78, v96
	s_and_saveexec_b64 s[60:61], s[52:53]
	s_cbranch_execnz .LBB1847_323
.LBB1847_289:                           ;   in Loop: Header=BB1847_228 Depth=2
	s_or_b64 exec, exec, s[60:61]
	v_cmp_lt_u32_e64 s[52:53], v79, v96
	s_and_saveexec_b64 s[60:61], s[52:53]
	s_cbranch_execnz .LBB1847_324
.LBB1847_290:                           ;   in Loop: Header=BB1847_228 Depth=2
	s_or_b64 exec, exec, s[60:61]
	v_cmp_lt_u32_e64 s[52:53], v80, v96
	s_and_saveexec_b64 s[60:61], s[52:53]
	s_cbranch_execnz .LBB1847_325
.LBB1847_291:                           ;   in Loop: Header=BB1847_228 Depth=2
	s_or_b64 exec, exec, s[60:61]
	s_and_saveexec_b64 s[60:61], vcc
	s_cbranch_execnz .LBB1847_326
.LBB1847_292:                           ;   in Loop: Header=BB1847_228 Depth=2
	s_or_b64 exec, exec, s[60:61]
	s_and_saveexec_b64 s[60:61], s[38:39]
	s_cbranch_execnz .LBB1847_327
.LBB1847_293:                           ;   in Loop: Header=BB1847_228 Depth=2
	s_or_b64 exec, exec, s[60:61]
	s_and_saveexec_b64 s[60:61], s[40:41]
	s_cbranch_execnz .LBB1847_328
.LBB1847_294:                           ;   in Loop: Header=BB1847_228 Depth=2
	s_or_b64 exec, exec, s[60:61]
	s_and_saveexec_b64 s[60:61], s[42:43]
	s_cbranch_execnz .LBB1847_329
.LBB1847_295:                           ;   in Loop: Header=BB1847_228 Depth=2
	s_or_b64 exec, exec, s[60:61]
	s_and_saveexec_b64 s[60:61], s[44:45]
	s_cbranch_execnz .LBB1847_330
.LBB1847_296:                           ;   in Loop: Header=BB1847_228 Depth=2
	s_or_b64 exec, exec, s[60:61]
	s_and_saveexec_b64 s[60:61], s[46:47]
	s_cbranch_execnz .LBB1847_331
.LBB1847_297:                           ;   in Loop: Header=BB1847_228 Depth=2
	s_or_b64 exec, exec, s[60:61]
	s_and_saveexec_b64 s[60:61], s[48:49]
	s_cbranch_execnz .LBB1847_332
.LBB1847_298:                           ;   in Loop: Header=BB1847_228 Depth=2
	s_or_b64 exec, exec, s[60:61]
	s_and_saveexec_b64 s[60:61], s[50:51]
	s_cbranch_execz .LBB1847_300
.LBB1847_299:                           ;   in Loop: Header=BB1847_228 Depth=2
	ds_read_u16 v21, v47 offset:4608
	s_waitcnt lgkmcnt(0)
	v_cmp_ne_u16_e64 s[52:53], s7, v21
	v_cndmask_b32_e64 v21, v65, v21, s[52:53]
	v_lshrrev_b32_sdwa v21, s62, v21 dst_sel:DWORD dst_unused:UNUSED_PAD src0_sel:DWORD src1_sel:WORD_0
	v_and_b32_e32 v87, s63, v21
.LBB1847_300:                           ;   in Loop: Header=BB1847_228 Depth=2
	s_or_b64 exec, exec, s[60:61]
	v_lshlrev_b32_e32 v21, 3, v108
	s_waitcnt vmcnt(0)
	s_barrier
	ds_write_b64 v21, v[19:20] offset:1024
	v_lshlrev_b32_e32 v21, 3, v105
	ds_write_b64 v21, v[17:18] offset:1024
	v_lshlrev_b32_e32 v21, 3, v102
	ds_write_b64 v21, v[15:16] offset:1024
	v_lshlrev_b32_e32 v21, 3, v101
	ds_write_b64 v21, v[13:14] offset:1024
	v_lshlrev_b32_e32 v21, 3, v100
	ds_write_b64 v21, v[11:12] offset:1024
	v_lshlrev_b32_e32 v21, 3, v98
	ds_write_b64 v21, v[9:10] offset:1024
	v_lshlrev_b32_e32 v21, 3, v24
	ds_write_b64 v21, v[7:8] offset:1024
	v_lshlrev_b32_e32 v21, 3, v23
	ds_write_b64 v21, v[5:6] offset:1024
	s_waitcnt lgkmcnt(0)
	s_barrier
	s_and_saveexec_b64 s[52:53], vcc
	s_cbranch_execnz .LBB1847_333
; %bb.301:                              ;   in Loop: Header=BB1847_228 Depth=2
	s_or_b64 exec, exec, s[52:53]
	s_and_saveexec_b64 s[52:53], s[38:39]
	s_cbranch_execnz .LBB1847_334
.LBB1847_302:                           ;   in Loop: Header=BB1847_228 Depth=2
	s_or_b64 exec, exec, s[52:53]
	s_and_saveexec_b64 s[38:39], s[40:41]
	s_cbranch_execnz .LBB1847_335
.LBB1847_303:                           ;   in Loop: Header=BB1847_228 Depth=2
	s_or_b64 exec, exec, s[38:39]
	s_and_saveexec_b64 s[38:39], s[42:43]
	s_cbranch_execnz .LBB1847_336
.LBB1847_304:                           ;   in Loop: Header=BB1847_228 Depth=2
	s_or_b64 exec, exec, s[38:39]
	s_and_saveexec_b64 s[38:39], s[44:45]
	s_cbranch_execnz .LBB1847_337
.LBB1847_305:                           ;   in Loop: Header=BB1847_228 Depth=2
	s_or_b64 exec, exec, s[38:39]
	s_and_saveexec_b64 s[38:39], s[46:47]
	s_cbranch_execnz .LBB1847_338
.LBB1847_306:                           ;   in Loop: Header=BB1847_228 Depth=2
	s_or_b64 exec, exec, s[38:39]
	s_and_saveexec_b64 s[38:39], s[48:49]
	s_cbranch_execnz .LBB1847_339
.LBB1847_307:                           ;   in Loop: Header=BB1847_228 Depth=2
	s_or_b64 exec, exec, s[38:39]
	s_and_saveexec_b64 s[38:39], s[50:51]
	s_cbranch_execz .LBB1847_309
.LBB1847_308:                           ;   in Loop: Header=BB1847_228 Depth=2
	v_lshlrev_b32_e32 v21, 2, v87
	ds_read_b32 v23, v21
	v_add_u32_e32 v21, v47, v48
	ds_read_b64 v[21:22], v21 offset:15360
	v_mov_b32_e32 v24, v3
	v_mov_b32_e32 v96, s75
	s_waitcnt lgkmcnt(1)
	v_add_u32_e32 v23, v23, v34
	v_lshlrev_b64 v[23:24], 3, v[23:24]
	v_add_co_u32_e32 v23, vcc, s74, v23
	v_addc_co_u32_e32 v24, vcc, v96, v24, vcc
	s_waitcnt lgkmcnt(0)
	global_store_dwordx2 v[23:24], v[21:22], off
.LBB1847_309:                           ;   in Loop: Header=BB1847_228 Depth=2
	s_or_b64 exec, exec, s[38:39]
	s_waitcnt vmcnt(0)
	s_barrier
	s_and_saveexec_b64 s[38:39], s[4:5]
	s_cbranch_execz .LBB1847_227
; %bb.310:                              ;   in Loop: Header=BB1847_228 Depth=2
	ds_read_b32 v21, v25
	s_waitcnt lgkmcnt(0)
	v_add_u32_e32 v4, v21, v4
	ds_write_b32 v25, v4
	s_branch .LBB1847_227
.LBB1847_311:                           ;   in Loop: Header=BB1847_228 Depth=2
	ds_read_u16 v21, v47 offset:1024
	v_mov_b32_e32 v22, v3
	v_mov_b32_e32 v99, s69
	s_waitcnt lgkmcnt(0)
	v_cmp_ne_u16_e64 s[38:39], s7, v21
	v_cndmask_b32_e64 v97, v65, v21, s[38:39]
	v_lshrrev_b32_sdwa v97, s62, v97 dst_sel:DWORD dst_unused:UNUSED_PAD src0_sel:DWORD src1_sel:WORD_0
	v_and_b32_e32 v97, s63, v97
	v_lshlrev_b32_e32 v97, 2, v97
	ds_read_b32 v97, v97
	v_cmp_lt_i16_e64 s[38:39], -1, v21
	v_cndmask_b32_e64 v103, v65, -1, s[38:39]
	v_xor_b32_e32 v103, v103, v21
	s_waitcnt lgkmcnt(0)
	v_add_u32_e32 v21, v97, v0
	v_lshlrev_b64 v[21:22], 1, v[21:22]
	v_add_co_u32_e64 v21, s[38:39], s68, v21
	v_addc_co_u32_e64 v22, s[38:39], v99, v22, s[38:39]
	global_store_short v[21:22], v103, off
	s_or_b64 exec, exec, s[40:41]
	v_cmp_lt_u32_e64 s[38:39], v26, v96
	s_and_saveexec_b64 s[42:43], s[38:39]
	s_cbranch_execz .LBB1847_276
.LBB1847_312:                           ;   in Loop: Header=BB1847_228 Depth=2
	ds_read_u16 v21, v47 offset:1536
	v_mov_b32_e32 v22, v3
	v_mov_b32_e32 v99, s69
	s_waitcnt lgkmcnt(0)
	v_cmp_ne_u16_e64 s[40:41], s7, v21
	v_cndmask_b32_e64 v97, v65, v21, s[40:41]
	v_lshrrev_b32_sdwa v97, s62, v97 dst_sel:DWORD dst_unused:UNUSED_PAD src0_sel:DWORD src1_sel:WORD_0
	v_and_b32_e32 v97, s63, v97
	v_lshlrev_b32_e32 v97, 2, v97
	ds_read_b32 v97, v97
	v_cmp_lt_i16_e64 s[40:41], -1, v21
	v_cndmask_b32_e64 v103, v65, -1, s[40:41]
	v_xor_b32_e32 v103, v103, v21
	s_waitcnt lgkmcnt(0)
	v_add_u32_e32 v21, v97, v26
	v_lshlrev_b64 v[21:22], 1, v[21:22]
	v_add_co_u32_e64 v21, s[40:41], s68, v21
	v_addc_co_u32_e64 v22, s[40:41], v99, v22, s[40:41]
	global_store_short v[21:22], v103, off
	s_or_b64 exec, exec, s[42:43]
	v_cmp_lt_u32_e64 s[40:41], v27, v96
	s_and_saveexec_b64 s[44:45], s[40:41]
	s_cbranch_execz .LBB1847_277
.LBB1847_313:                           ;   in Loop: Header=BB1847_228 Depth=2
	ds_read_u16 v21, v47 offset:2048
	v_mov_b32_e32 v22, v3
	v_mov_b32_e32 v99, s69
	s_waitcnt lgkmcnt(0)
	v_cmp_ne_u16_e64 s[42:43], s7, v21
	v_cndmask_b32_e64 v97, v65, v21, s[42:43]
	v_lshrrev_b32_sdwa v97, s62, v97 dst_sel:DWORD dst_unused:UNUSED_PAD src0_sel:DWORD src1_sel:WORD_0
	v_and_b32_e32 v97, s63, v97
	v_lshlrev_b32_e32 v97, 2, v97
	ds_read_b32 v97, v97
	v_cmp_lt_i16_e64 s[42:43], -1, v21
	v_cndmask_b32_e64 v103, v65, -1, s[42:43]
	v_xor_b32_e32 v103, v103, v21
	s_waitcnt lgkmcnt(0)
	v_add_u32_e32 v21, v97, v27
	v_lshlrev_b64 v[21:22], 1, v[21:22]
	v_add_co_u32_e64 v21, s[42:43], s68, v21
	v_addc_co_u32_e64 v22, s[42:43], v99, v22, s[42:43]
	global_store_short v[21:22], v103, off
	s_or_b64 exec, exec, s[44:45]
	v_cmp_lt_u32_e64 s[42:43], v28, v96
	s_and_saveexec_b64 s[46:47], s[42:43]
	s_cbranch_execz .LBB1847_278
.LBB1847_314:                           ;   in Loop: Header=BB1847_228 Depth=2
	ds_read_u16 v21, v47 offset:2560
	v_mov_b32_e32 v22, v3
	v_mov_b32_e32 v99, s69
	s_waitcnt lgkmcnt(0)
	v_cmp_ne_u16_e64 s[44:45], s7, v21
	v_cndmask_b32_e64 v97, v65, v21, s[44:45]
	v_lshrrev_b32_sdwa v97, s62, v97 dst_sel:DWORD dst_unused:UNUSED_PAD src0_sel:DWORD src1_sel:WORD_0
	v_and_b32_e32 v97, s63, v97
	v_lshlrev_b32_e32 v97, 2, v97
	ds_read_b32 v97, v97
	v_cmp_lt_i16_e64 s[44:45], -1, v21
	v_cndmask_b32_e64 v103, v65, -1, s[44:45]
	v_xor_b32_e32 v103, v103, v21
	s_waitcnt lgkmcnt(0)
	v_add_u32_e32 v21, v97, v28
	v_lshlrev_b64 v[21:22], 1, v[21:22]
	v_add_co_u32_e64 v21, s[44:45], s68, v21
	v_addc_co_u32_e64 v22, s[44:45], v99, v22, s[44:45]
	global_store_short v[21:22], v103, off
	s_or_b64 exec, exec, s[46:47]
	v_cmp_lt_u32_e64 s[44:45], v31, v96
	s_and_saveexec_b64 s[48:49], s[44:45]
	s_cbranch_execz .LBB1847_279
.LBB1847_315:                           ;   in Loop: Header=BB1847_228 Depth=2
	ds_read_u16 v21, v47 offset:3072
	v_mov_b32_e32 v22, v3
	v_mov_b32_e32 v99, s69
	s_waitcnt lgkmcnt(0)
	v_cmp_ne_u16_e64 s[46:47], s7, v21
	v_cndmask_b32_e64 v97, v65, v21, s[46:47]
	v_lshrrev_b32_sdwa v97, s62, v97 dst_sel:DWORD dst_unused:UNUSED_PAD src0_sel:DWORD src1_sel:WORD_0
	v_and_b32_e32 v97, s63, v97
	v_lshlrev_b32_e32 v97, 2, v97
	ds_read_b32 v97, v97
	v_cmp_lt_i16_e64 s[46:47], -1, v21
	v_cndmask_b32_e64 v103, v65, -1, s[46:47]
	v_xor_b32_e32 v103, v103, v21
	s_waitcnt lgkmcnt(0)
	v_add_u32_e32 v21, v97, v31
	v_lshlrev_b64 v[21:22], 1, v[21:22]
	v_add_co_u32_e64 v21, s[46:47], s68, v21
	v_addc_co_u32_e64 v22, s[46:47], v99, v22, s[46:47]
	global_store_short v[21:22], v103, off
	s_or_b64 exec, exec, s[48:49]
	v_cmp_lt_u32_e64 s[46:47], v32, v96
	s_and_saveexec_b64 s[50:51], s[46:47]
	s_cbranch_execz .LBB1847_280
.LBB1847_316:                           ;   in Loop: Header=BB1847_228 Depth=2
	ds_read_u16 v21, v47 offset:3584
	v_mov_b32_e32 v22, v3
	v_mov_b32_e32 v99, s69
	s_waitcnt lgkmcnt(0)
	v_cmp_ne_u16_e64 s[48:49], s7, v21
	v_cndmask_b32_e64 v97, v65, v21, s[48:49]
	v_lshrrev_b32_sdwa v97, s62, v97 dst_sel:DWORD dst_unused:UNUSED_PAD src0_sel:DWORD src1_sel:WORD_0
	v_and_b32_e32 v97, s63, v97
	v_lshlrev_b32_e32 v97, 2, v97
	ds_read_b32 v97, v97
	v_cmp_lt_i16_e64 s[48:49], -1, v21
	v_cndmask_b32_e64 v103, v65, -1, s[48:49]
	v_xor_b32_e32 v103, v103, v21
	s_waitcnt lgkmcnt(0)
	v_add_u32_e32 v21, v97, v32
	v_lshlrev_b64 v[21:22], 1, v[21:22]
	v_add_co_u32_e64 v21, s[48:49], s68, v21
	v_addc_co_u32_e64 v22, s[48:49], v99, v22, s[48:49]
	global_store_short v[21:22], v103, off
	s_or_b64 exec, exec, s[50:51]
	v_cmp_lt_u32_e64 s[48:49], v33, v96
	s_and_saveexec_b64 s[52:53], s[48:49]
	s_cbranch_execz .LBB1847_281
.LBB1847_317:                           ;   in Loop: Header=BB1847_228 Depth=2
	ds_read_u16 v21, v47 offset:4096
	v_mov_b32_e32 v22, v3
	v_mov_b32_e32 v99, s69
	s_waitcnt lgkmcnt(0)
	v_cmp_ne_u16_e64 s[50:51], s7, v21
	v_cndmask_b32_e64 v97, v65, v21, s[50:51]
	v_lshrrev_b32_sdwa v97, s62, v97 dst_sel:DWORD dst_unused:UNUSED_PAD src0_sel:DWORD src1_sel:WORD_0
	v_and_b32_e32 v97, s63, v97
	v_lshlrev_b32_e32 v97, 2, v97
	ds_read_b32 v97, v97
	v_cmp_lt_i16_e64 s[50:51], -1, v21
	v_cndmask_b32_e64 v103, v65, -1, s[50:51]
	v_xor_b32_e32 v103, v103, v21
	s_waitcnt lgkmcnt(0)
	v_add_u32_e32 v21, v97, v33
	v_lshlrev_b64 v[21:22], 1, v[21:22]
	v_add_co_u32_e64 v21, s[50:51], s68, v21
	v_addc_co_u32_e64 v22, s[50:51], v99, v22, s[50:51]
	global_store_short v[21:22], v103, off
	s_or_b64 exec, exec, s[52:53]
	v_cmp_lt_u32_e64 s[50:51], v34, v96
	s_and_saveexec_b64 s[60:61], s[50:51]
	s_cbranch_execnz .LBB1847_282
	s_branch .LBB1847_283
.LBB1847_318:                           ;   in Loop: Header=BB1847_228 Depth=2
	global_load_dwordx2 v[19:20], v[21:22], off
	s_or_b64 exec, exec, s[52:53]
	v_cmp_lt_u32_e64 s[52:53], v74, v96
	s_and_saveexec_b64 s[60:61], s[52:53]
	s_cbranch_execz .LBB1847_285
.LBB1847_319:                           ;   in Loop: Header=BB1847_228 Depth=2
	global_load_dwordx2 v[17:18], v[21:22], off offset:512
	s_or_b64 exec, exec, s[60:61]
	v_cmp_lt_u32_e64 s[52:53], v75, v96
	s_and_saveexec_b64 s[60:61], s[52:53]
	s_cbranch_execz .LBB1847_286
.LBB1847_320:                           ;   in Loop: Header=BB1847_228 Depth=2
	global_load_dwordx2 v[15:16], v[21:22], off offset:1024
	s_or_b64 exec, exec, s[60:61]
	v_cmp_lt_u32_e64 s[52:53], v76, v96
	s_and_saveexec_b64 s[60:61], s[52:53]
	s_cbranch_execz .LBB1847_287
.LBB1847_321:                           ;   in Loop: Header=BB1847_228 Depth=2
	global_load_dwordx2 v[13:14], v[21:22], off offset:1536
	s_or_b64 exec, exec, s[60:61]
	v_cmp_lt_u32_e64 s[52:53], v77, v96
	s_and_saveexec_b64 s[60:61], s[52:53]
	s_cbranch_execz .LBB1847_288
.LBB1847_322:                           ;   in Loop: Header=BB1847_228 Depth=2
	global_load_dwordx2 v[11:12], v[21:22], off offset:2048
	s_or_b64 exec, exec, s[60:61]
	v_cmp_lt_u32_e64 s[52:53], v78, v96
	s_and_saveexec_b64 s[60:61], s[52:53]
	s_cbranch_execz .LBB1847_289
.LBB1847_323:                           ;   in Loop: Header=BB1847_228 Depth=2
	global_load_dwordx2 v[9:10], v[21:22], off offset:2560
	s_or_b64 exec, exec, s[60:61]
	v_cmp_lt_u32_e64 s[52:53], v79, v96
	s_and_saveexec_b64 s[60:61], s[52:53]
	s_cbranch_execz .LBB1847_290
.LBB1847_324:                           ;   in Loop: Header=BB1847_228 Depth=2
	global_load_dwordx2 v[7:8], v[21:22], off offset:3072
	s_or_b64 exec, exec, s[60:61]
	v_cmp_lt_u32_e64 s[52:53], v80, v96
	s_and_saveexec_b64 s[60:61], s[52:53]
	s_cbranch_execz .LBB1847_291
.LBB1847_325:                           ;   in Loop: Header=BB1847_228 Depth=2
	global_load_dwordx2 v[5:6], v[21:22], off offset:3584
	s_or_b64 exec, exec, s[60:61]
	s_and_saveexec_b64 s[60:61], vcc
	s_cbranch_execz .LBB1847_292
.LBB1847_326:                           ;   in Loop: Header=BB1847_228 Depth=2
	ds_read_u16 v21, v47 offset:1024
	s_waitcnt lgkmcnt(0)
	v_cmp_ne_u16_e64 s[52:53], s7, v21
	v_cndmask_b32_e64 v21, v65, v21, s[52:53]
	v_lshrrev_b32_sdwa v21, s62, v21 dst_sel:DWORD dst_unused:UNUSED_PAD src0_sel:DWORD src1_sel:WORD_0
	v_and_b32_e32 v95, s63, v21
	s_or_b64 exec, exec, s[60:61]
	s_and_saveexec_b64 s[60:61], s[38:39]
	s_cbranch_execz .LBB1847_293
.LBB1847_327:                           ;   in Loop: Header=BB1847_228 Depth=2
	ds_read_u16 v21, v47 offset:1536
	s_waitcnt lgkmcnt(0)
	v_cmp_ne_u16_e64 s[52:53], s7, v21
	v_cndmask_b32_e64 v21, v65, v21, s[52:53]
	v_lshrrev_b32_sdwa v21, s62, v21 dst_sel:DWORD dst_unused:UNUSED_PAD src0_sel:DWORD src1_sel:WORD_0
	v_and_b32_e32 v94, s63, v21
	s_or_b64 exec, exec, s[60:61]
	s_and_saveexec_b64 s[60:61], s[40:41]
	s_cbranch_execz .LBB1847_294
.LBB1847_328:                           ;   in Loop: Header=BB1847_228 Depth=2
	ds_read_u16 v21, v47 offset:2048
	s_waitcnt lgkmcnt(0)
	v_cmp_ne_u16_e64 s[52:53], s7, v21
	v_cndmask_b32_e64 v21, v65, v21, s[52:53]
	v_lshrrev_b32_sdwa v21, s62, v21 dst_sel:DWORD dst_unused:UNUSED_PAD src0_sel:DWORD src1_sel:WORD_0
	v_and_b32_e32 v93, s63, v21
	s_or_b64 exec, exec, s[60:61]
	s_and_saveexec_b64 s[60:61], s[42:43]
	s_cbranch_execz .LBB1847_295
.LBB1847_329:                           ;   in Loop: Header=BB1847_228 Depth=2
	ds_read_u16 v21, v47 offset:2560
	s_waitcnt lgkmcnt(0)
	v_cmp_ne_u16_e64 s[52:53], s7, v21
	v_cndmask_b32_e64 v21, v65, v21, s[52:53]
	v_lshrrev_b32_sdwa v21, s62, v21 dst_sel:DWORD dst_unused:UNUSED_PAD src0_sel:DWORD src1_sel:WORD_0
	v_and_b32_e32 v92, s63, v21
	s_or_b64 exec, exec, s[60:61]
	s_and_saveexec_b64 s[60:61], s[44:45]
	s_cbranch_execz .LBB1847_296
.LBB1847_330:                           ;   in Loop: Header=BB1847_228 Depth=2
	ds_read_u16 v21, v47 offset:3072
	s_waitcnt lgkmcnt(0)
	v_cmp_ne_u16_e64 s[52:53], s7, v21
	v_cndmask_b32_e64 v21, v65, v21, s[52:53]
	v_lshrrev_b32_sdwa v21, s62, v21 dst_sel:DWORD dst_unused:UNUSED_PAD src0_sel:DWORD src1_sel:WORD_0
	v_and_b32_e32 v90, s63, v21
	s_or_b64 exec, exec, s[60:61]
	s_and_saveexec_b64 s[60:61], s[46:47]
	s_cbranch_execz .LBB1847_297
.LBB1847_331:                           ;   in Loop: Header=BB1847_228 Depth=2
	ds_read_u16 v21, v47 offset:3584
	s_waitcnt lgkmcnt(0)
	v_cmp_ne_u16_e64 s[52:53], s7, v21
	v_cndmask_b32_e64 v21, v65, v21, s[52:53]
	v_lshrrev_b32_sdwa v21, s62, v21 dst_sel:DWORD dst_unused:UNUSED_PAD src0_sel:DWORD src1_sel:WORD_0
	v_and_b32_e32 v89, s63, v21
	s_or_b64 exec, exec, s[60:61]
	s_and_saveexec_b64 s[60:61], s[48:49]
	s_cbranch_execz .LBB1847_298
.LBB1847_332:                           ;   in Loop: Header=BB1847_228 Depth=2
	ds_read_u16 v21, v47 offset:4096
	s_waitcnt lgkmcnt(0)
	v_cmp_ne_u16_e64 s[52:53], s7, v21
	v_cndmask_b32_e64 v21, v65, v21, s[52:53]
	v_lshrrev_b32_sdwa v21, s62, v21 dst_sel:DWORD dst_unused:UNUSED_PAD src0_sel:DWORD src1_sel:WORD_0
	v_and_b32_e32 v88, s63, v21
	s_or_b64 exec, exec, s[60:61]
	s_and_saveexec_b64 s[60:61], s[50:51]
	s_cbranch_execnz .LBB1847_299
	s_branch .LBB1847_300
.LBB1847_333:                           ;   in Loop: Header=BB1847_228 Depth=2
	v_lshlrev_b32_e32 v21, 2, v95
	ds_read_b32 v23, v21
	v_add_u32_e32 v21, v47, v48
	ds_read_b64 v[21:22], v21 offset:1024
	v_mov_b32_e32 v24, v3
	v_mov_b32_e32 v96, s75
	s_waitcnt lgkmcnt(1)
	v_add_u32_e32 v23, v23, v0
	v_lshlrev_b64 v[23:24], 3, v[23:24]
	v_add_co_u32_e32 v23, vcc, s74, v23
	v_addc_co_u32_e32 v24, vcc, v96, v24, vcc
	s_waitcnt lgkmcnt(0)
	global_store_dwordx2 v[23:24], v[21:22], off
	s_or_b64 exec, exec, s[52:53]
	s_and_saveexec_b64 s[52:53], s[38:39]
	s_cbranch_execz .LBB1847_302
.LBB1847_334:                           ;   in Loop: Header=BB1847_228 Depth=2
	v_lshlrev_b32_e32 v21, 2, v94
	ds_read_b32 v23, v21
	v_add_u32_e32 v21, v47, v48
	ds_read_b64 v[21:22], v21 offset:3072
	v_mov_b32_e32 v24, v3
	v_mov_b32_e32 v96, s75
	s_waitcnt lgkmcnt(1)
	v_add_u32_e32 v23, v23, v26
	v_lshlrev_b64 v[23:24], 3, v[23:24]
	v_add_co_u32_e32 v23, vcc, s74, v23
	v_addc_co_u32_e32 v24, vcc, v96, v24, vcc
	s_waitcnt lgkmcnt(0)
	global_store_dwordx2 v[23:24], v[21:22], off
	s_or_b64 exec, exec, s[52:53]
	s_and_saveexec_b64 s[38:39], s[40:41]
	s_cbranch_execz .LBB1847_303
.LBB1847_335:                           ;   in Loop: Header=BB1847_228 Depth=2
	v_lshlrev_b32_e32 v21, 2, v93
	ds_read_b32 v23, v21
	v_add_u32_e32 v21, v47, v48
	ds_read_b64 v[21:22], v21 offset:5120
	v_mov_b32_e32 v24, v3
	v_mov_b32_e32 v96, s75
	s_waitcnt lgkmcnt(1)
	v_add_u32_e32 v23, v23, v27
	v_lshlrev_b64 v[23:24], 3, v[23:24]
	v_add_co_u32_e32 v23, vcc, s74, v23
	v_addc_co_u32_e32 v24, vcc, v96, v24, vcc
	s_waitcnt lgkmcnt(0)
	global_store_dwordx2 v[23:24], v[21:22], off
	s_or_b64 exec, exec, s[38:39]
	s_and_saveexec_b64 s[38:39], s[42:43]
	s_cbranch_execz .LBB1847_304
.LBB1847_336:                           ;   in Loop: Header=BB1847_228 Depth=2
	v_lshlrev_b32_e32 v21, 2, v92
	ds_read_b32 v23, v21
	v_add_u32_e32 v21, v47, v48
	ds_read_b64 v[21:22], v21 offset:7168
	v_mov_b32_e32 v24, v3
	v_mov_b32_e32 v96, s75
	s_waitcnt lgkmcnt(1)
	v_add_u32_e32 v23, v23, v28
	v_lshlrev_b64 v[23:24], 3, v[23:24]
	v_add_co_u32_e32 v23, vcc, s74, v23
	v_addc_co_u32_e32 v24, vcc, v96, v24, vcc
	s_waitcnt lgkmcnt(0)
	global_store_dwordx2 v[23:24], v[21:22], off
	s_or_b64 exec, exec, s[38:39]
	s_and_saveexec_b64 s[38:39], s[44:45]
	s_cbranch_execz .LBB1847_305
.LBB1847_337:                           ;   in Loop: Header=BB1847_228 Depth=2
	v_lshlrev_b32_e32 v21, 2, v90
	ds_read_b32 v23, v21
	v_add_u32_e32 v21, v47, v48
	ds_read_b64 v[21:22], v21 offset:9216
	v_mov_b32_e32 v24, v3
	v_mov_b32_e32 v96, s75
	s_waitcnt lgkmcnt(1)
	v_add_u32_e32 v23, v23, v31
	v_lshlrev_b64 v[23:24], 3, v[23:24]
	v_add_co_u32_e32 v23, vcc, s74, v23
	v_addc_co_u32_e32 v24, vcc, v96, v24, vcc
	s_waitcnt lgkmcnt(0)
	global_store_dwordx2 v[23:24], v[21:22], off
	s_or_b64 exec, exec, s[38:39]
	s_and_saveexec_b64 s[38:39], s[46:47]
	s_cbranch_execz .LBB1847_306
.LBB1847_338:                           ;   in Loop: Header=BB1847_228 Depth=2
	v_lshlrev_b32_e32 v21, 2, v89
	ds_read_b32 v23, v21
	v_add_u32_e32 v21, v47, v48
	ds_read_b64 v[21:22], v21 offset:11264
	v_mov_b32_e32 v24, v3
	v_mov_b32_e32 v96, s75
	s_waitcnt lgkmcnt(1)
	v_add_u32_e32 v23, v23, v32
	v_lshlrev_b64 v[23:24], 3, v[23:24]
	v_add_co_u32_e32 v23, vcc, s74, v23
	v_addc_co_u32_e32 v24, vcc, v96, v24, vcc
	s_waitcnt lgkmcnt(0)
	global_store_dwordx2 v[23:24], v[21:22], off
	s_or_b64 exec, exec, s[38:39]
	s_and_saveexec_b64 s[38:39], s[48:49]
	s_cbranch_execz .LBB1847_307
.LBB1847_339:                           ;   in Loop: Header=BB1847_228 Depth=2
	v_lshlrev_b32_e32 v21, 2, v88
	ds_read_b32 v23, v21
	v_add_u32_e32 v21, v47, v48
	ds_read_b64 v[21:22], v21 offset:13312
	v_mov_b32_e32 v24, v3
	v_mov_b32_e32 v96, s75
	s_waitcnt lgkmcnt(1)
	v_add_u32_e32 v23, v23, v33
	v_lshlrev_b64 v[23:24], 3, v[23:24]
	v_add_co_u32_e32 v23, vcc, s74, v23
	v_addc_co_u32_e32 v24, vcc, v96, v24, vcc
	s_waitcnt lgkmcnt(0)
	global_store_dwordx2 v[23:24], v[21:22], off
	s_or_b64 exec, exec, s[38:39]
	s_and_saveexec_b64 s[38:39], s[50:51]
	s_cbranch_execnz .LBB1847_308
	s_branch .LBB1847_309
.LBB1847_340:                           ;   in Loop: Header=BB1847_12 Depth=1
	s_waitcnt lgkmcnt(0)
	s_barrier
.LBB1847_341:                           ;   in Loop: Header=BB1847_12 Depth=1
	s_mov_b64 s[18:19], 0
.LBB1847_342:                           ;   in Loop: Header=BB1847_12 Depth=1
	s_andn2_b64 vcc, exec, s[18:19]
	s_cbranch_vccnz .LBB1847_11
; %bb.343:                              ;   in Loop: Header=BB1847_12 Depth=1
	s_mov_b64 s[18:19], -1
	s_and_b64 vcc, exec, s[54:55]
	s_cbranch_vccz .LBB1847_507
; %bb.344:                              ;   in Loop: Header=BB1847_12 Depth=1
	s_mov_b32 s22, s79
	s_mov_b32 s58, s80
	s_barrier
                                        ; implicit-def: $vgpr4
                                        ; implicit-def: $vgpr5
                                        ; implicit-def: $vgpr6
                                        ; implicit-def: $vgpr7
                                        ; implicit-def: $vgpr8
                                        ; implicit-def: $vgpr9
                                        ; implicit-def: $vgpr10
                                        ; implicit-def: $vgpr11
	s_branch .LBB1847_346
.LBB1847_345:                           ;   in Loop: Header=BB1847_346 Depth=2
	s_or_b64 exec, exec, s[18:19]
	s_addk_i32 s22, 0xf800
	s_cmp_ge_u32 s23, s81
	s_mov_b32 s58, s23
	s_cbranch_scc1 .LBB1847_382
.LBB1847_346:                           ;   Parent Loop BB1847_12 Depth=1
                                        ; =>  This Inner Loop Header: Depth=2
	s_add_i32 s23, s58, 0x800
	s_cmp_gt_u32 s23, s81
	s_mov_b64 s[18:19], -1
                                        ; implicit-def: $vgpr12
                                        ; implicit-def: $vgpr13
                                        ; implicit-def: $vgpr14
                                        ; implicit-def: $vgpr15
                                        ; implicit-def: $vgpr16
                                        ; implicit-def: $vgpr17
                                        ; implicit-def: $vgpr18
                                        ; implicit-def: $vgpr19
	s_cbranch_scc1 .LBB1847_348
; %bb.347:                              ;   in Loop: Header=BB1847_346 Depth=2
	s_lshl_b64 s[18:19], s[58:59], 1
	v_mov_b32_e32 v12, s19
	v_add_co_u32_e32 v20, vcc, s18, v55
	v_addc_co_u32_e32 v21, vcc, v56, v12, vcc
	global_load_ushort v12, v[20:21], off
	global_load_ushort v13, v[20:21], off offset:512
	global_load_ushort v14, v[20:21], off offset:1024
	global_load_ushort v15, v[20:21], off offset:1536
	global_load_ushort v16, v[20:21], off offset:2048
	global_load_ushort v17, v[20:21], off offset:2560
	global_load_ushort v18, v[20:21], off offset:3072
	global_load_ushort v19, v[20:21], off offset:3584
	s_mov_b64 s[18:19], 0
.LBB1847_348:                           ;   in Loop: Header=BB1847_346 Depth=2
	s_andn2_b64 vcc, exec, s[18:19]
	s_movk_i32 s20, 0x800
	s_cbranch_vccnz .LBB1847_359
; %bb.349:                              ;   in Loop: Header=BB1847_346 Depth=2
	s_lshl_b64 s[18:19], s[58:59], 1
	s_add_u32 s18, s64, s18
	s_addc_u32 s19, s65, s19
	v_cmp_gt_u32_e32 vcc, s22, v0
	s_and_saveexec_b64 s[20:21], vcc
	s_cbranch_execnz .LBB1847_375
; %bb.350:                              ;   in Loop: Header=BB1847_346 Depth=2
	s_or_b64 exec, exec, s[20:21]
	v_cmp_gt_u32_e32 vcc, s22, v26
	s_and_saveexec_b64 s[20:21], vcc
	s_cbranch_execnz .LBB1847_376
.LBB1847_351:                           ;   in Loop: Header=BB1847_346 Depth=2
	s_or_b64 exec, exec, s[20:21]
	v_cmp_gt_u32_e32 vcc, s22, v27
	s_and_saveexec_b64 s[20:21], vcc
	s_cbranch_execnz .LBB1847_377
.LBB1847_352:                           ;   in Loop: Header=BB1847_346 Depth=2
	s_or_b64 exec, exec, s[20:21]
	v_cmp_gt_u32_e32 vcc, s22, v28
	s_and_saveexec_b64 s[20:21], vcc
	s_cbranch_execnz .LBB1847_378
.LBB1847_353:                           ;   in Loop: Header=BB1847_346 Depth=2
	s_or_b64 exec, exec, s[20:21]
	v_cmp_gt_u32_e32 vcc, s22, v31
	s_and_saveexec_b64 s[20:21], vcc
	s_cbranch_execnz .LBB1847_379
.LBB1847_354:                           ;   in Loop: Header=BB1847_346 Depth=2
	s_or_b64 exec, exec, s[20:21]
	v_cmp_gt_u32_e32 vcc, s22, v32
	s_and_saveexec_b64 s[20:21], vcc
	s_cbranch_execnz .LBB1847_380
.LBB1847_355:                           ;   in Loop: Header=BB1847_346 Depth=2
	s_or_b64 exec, exec, s[20:21]
	v_cmp_gt_u32_e32 vcc, s22, v33
	s_and_saveexec_b64 s[20:21], vcc
	s_cbranch_execnz .LBB1847_381
.LBB1847_356:                           ;   in Loop: Header=BB1847_346 Depth=2
	s_or_b64 exec, exec, s[20:21]
	v_cmp_gt_u32_e32 vcc, s22, v34
	s_and_saveexec_b64 s[20:21], vcc
	s_cbranch_execz .LBB1847_358
.LBB1847_357:                           ;   in Loop: Header=BB1847_346 Depth=2
	global_load_ushort v4, v64, s[18:19] offset:3584
.LBB1847_358:                           ;   in Loop: Header=BB1847_346 Depth=2
	s_or_b64 exec, exec, s[20:21]
	s_mov_b32 s20, s22
	s_waitcnt vmcnt(0)
	v_mov_b32_e32 v12, v11
	v_mov_b32_e32 v13, v10
	;; [unrolled: 1-line block ×8, first 2 shown]
.LBB1847_359:                           ;   in Loop: Header=BB1847_346 Depth=2
	s_waitcnt vmcnt(0)
	v_mov_b32_e32 v4, v19
	v_mov_b32_e32 v5, v18
	;; [unrolled: 1-line block ×8, first 2 shown]
	v_cmp_gt_u32_e32 vcc, s20, v0
	s_and_saveexec_b64 s[18:19], vcc
	s_cbranch_execnz .LBB1847_367
; %bb.360:                              ;   in Loop: Header=BB1847_346 Depth=2
	s_or_b64 exec, exec, s[18:19]
	v_cmp_gt_u32_e32 vcc, s20, v26
	s_and_saveexec_b64 s[18:19], vcc
	s_cbranch_execnz .LBB1847_368
.LBB1847_361:                           ;   in Loop: Header=BB1847_346 Depth=2
	s_or_b64 exec, exec, s[18:19]
	v_cmp_gt_u32_e32 vcc, s20, v27
	s_and_saveexec_b64 s[18:19], vcc
	s_cbranch_execnz .LBB1847_369
.LBB1847_362:                           ;   in Loop: Header=BB1847_346 Depth=2
	s_or_b64 exec, exec, s[18:19]
	v_cmp_gt_u32_e32 vcc, s20, v28
	s_and_saveexec_b64 s[18:19], vcc
	s_cbranch_execnz .LBB1847_370
.LBB1847_363:                           ;   in Loop: Header=BB1847_346 Depth=2
	s_or_b64 exec, exec, s[18:19]
	v_cmp_gt_u32_e32 vcc, s20, v31
	s_and_saveexec_b64 s[18:19], vcc
	s_cbranch_execnz .LBB1847_371
.LBB1847_364:                           ;   in Loop: Header=BB1847_346 Depth=2
	s_or_b64 exec, exec, s[18:19]
	v_cmp_gt_u32_e32 vcc, s20, v32
	s_and_saveexec_b64 s[18:19], vcc
	s_cbranch_execnz .LBB1847_372
.LBB1847_365:                           ;   in Loop: Header=BB1847_346 Depth=2
	s_or_b64 exec, exec, s[18:19]
	v_cmp_gt_u32_e32 vcc, s20, v33
	s_and_saveexec_b64 s[18:19], vcc
	s_cbranch_execnz .LBB1847_373
.LBB1847_366:                           ;   in Loop: Header=BB1847_346 Depth=2
	s_or_b64 exec, exec, s[18:19]
	v_cmp_gt_u32_e32 vcc, s20, v34
	s_and_saveexec_b64 s[18:19], vcc
	s_cbranch_execz .LBB1847_345
	s_branch .LBB1847_374
.LBB1847_367:                           ;   in Loop: Header=BB1847_346 Depth=2
	v_cmp_lt_i16_e32 vcc, -1, v11
	v_cndmask_b32_e32 v12, -1, v65, vcc
	v_xor_b32_e32 v12, v12, v11
	v_cmp_ne_u16_e32 vcc, s7, v12
	v_cndmask_b32_e32 v12, v65, v12, vcc
	v_lshrrev_b32_sdwa v12, s77, v12 dst_sel:DWORD dst_unused:UNUSED_PAD src0_sel:DWORD src1_sel:WORD_0
	v_and_b32_e32 v12, s63, v12
	v_lshl_or_b32 v12, v12, 4, v35
	ds_add_u32 v12, v61
	s_or_b64 exec, exec, s[18:19]
	v_cmp_gt_u32_e32 vcc, s20, v26
	s_and_saveexec_b64 s[18:19], vcc
	s_cbranch_execz .LBB1847_361
.LBB1847_368:                           ;   in Loop: Header=BB1847_346 Depth=2
	v_cmp_lt_i16_e32 vcc, -1, v10
	v_cndmask_b32_e32 v12, -1, v65, vcc
	v_xor_b32_e32 v12, v12, v10
	v_cmp_ne_u16_e32 vcc, s7, v12
	v_cndmask_b32_e32 v12, v65, v12, vcc
	v_lshrrev_b32_sdwa v12, s77, v12 dst_sel:DWORD dst_unused:UNUSED_PAD src0_sel:DWORD src1_sel:WORD_0
	v_and_b32_e32 v12, s63, v12
	v_lshl_or_b32 v12, v12, 4, v35
	ds_add_u32 v12, v61
	s_or_b64 exec, exec, s[18:19]
	v_cmp_gt_u32_e32 vcc, s20, v27
	s_and_saveexec_b64 s[18:19], vcc
	s_cbranch_execz .LBB1847_362
.LBB1847_369:                           ;   in Loop: Header=BB1847_346 Depth=2
	v_cmp_lt_i16_e32 vcc, -1, v9
	v_cndmask_b32_e32 v12, -1, v65, vcc
	v_xor_b32_e32 v12, v12, v9
	v_cmp_ne_u16_e32 vcc, s7, v12
	v_cndmask_b32_e32 v12, v65, v12, vcc
	v_lshrrev_b32_sdwa v12, s77, v12 dst_sel:DWORD dst_unused:UNUSED_PAD src0_sel:DWORD src1_sel:WORD_0
	v_and_b32_e32 v12, s63, v12
	v_lshl_or_b32 v12, v12, 4, v35
	ds_add_u32 v12, v61
	s_or_b64 exec, exec, s[18:19]
	v_cmp_gt_u32_e32 vcc, s20, v28
	s_and_saveexec_b64 s[18:19], vcc
	s_cbranch_execz .LBB1847_363
.LBB1847_370:                           ;   in Loop: Header=BB1847_346 Depth=2
	v_cmp_lt_i16_e32 vcc, -1, v8
	v_cndmask_b32_e32 v12, -1, v65, vcc
	v_xor_b32_e32 v12, v12, v8
	v_cmp_ne_u16_e32 vcc, s7, v12
	v_cndmask_b32_e32 v12, v65, v12, vcc
	v_lshrrev_b32_sdwa v12, s77, v12 dst_sel:DWORD dst_unused:UNUSED_PAD src0_sel:DWORD src1_sel:WORD_0
	v_and_b32_e32 v12, s63, v12
	v_lshl_or_b32 v12, v12, 4, v35
	ds_add_u32 v12, v61
	s_or_b64 exec, exec, s[18:19]
	v_cmp_gt_u32_e32 vcc, s20, v31
	s_and_saveexec_b64 s[18:19], vcc
	s_cbranch_execz .LBB1847_364
.LBB1847_371:                           ;   in Loop: Header=BB1847_346 Depth=2
	v_cmp_lt_i16_e32 vcc, -1, v7
	v_cndmask_b32_e32 v12, -1, v65, vcc
	v_xor_b32_e32 v12, v12, v7
	v_cmp_ne_u16_e32 vcc, s7, v12
	v_cndmask_b32_e32 v12, v65, v12, vcc
	v_lshrrev_b32_sdwa v12, s77, v12 dst_sel:DWORD dst_unused:UNUSED_PAD src0_sel:DWORD src1_sel:WORD_0
	v_and_b32_e32 v12, s63, v12
	v_lshl_or_b32 v12, v12, 4, v35
	ds_add_u32 v12, v61
	s_or_b64 exec, exec, s[18:19]
	v_cmp_gt_u32_e32 vcc, s20, v32
	s_and_saveexec_b64 s[18:19], vcc
	s_cbranch_execz .LBB1847_365
.LBB1847_372:                           ;   in Loop: Header=BB1847_346 Depth=2
	v_cmp_lt_i16_e32 vcc, -1, v6
	v_cndmask_b32_e32 v12, -1, v65, vcc
	v_xor_b32_e32 v12, v12, v6
	v_cmp_ne_u16_e32 vcc, s7, v12
	v_cndmask_b32_e32 v12, v65, v12, vcc
	v_lshrrev_b32_sdwa v12, s77, v12 dst_sel:DWORD dst_unused:UNUSED_PAD src0_sel:DWORD src1_sel:WORD_0
	v_and_b32_e32 v12, s63, v12
	v_lshl_or_b32 v12, v12, 4, v35
	ds_add_u32 v12, v61
	s_or_b64 exec, exec, s[18:19]
	v_cmp_gt_u32_e32 vcc, s20, v33
	s_and_saveexec_b64 s[18:19], vcc
	s_cbranch_execz .LBB1847_366
.LBB1847_373:                           ;   in Loop: Header=BB1847_346 Depth=2
	v_cmp_lt_i16_e32 vcc, -1, v5
	v_cndmask_b32_e32 v12, -1, v65, vcc
	v_xor_b32_e32 v12, v12, v5
	v_cmp_ne_u16_e32 vcc, s7, v12
	v_cndmask_b32_e32 v12, v65, v12, vcc
	v_lshrrev_b32_sdwa v12, s77, v12 dst_sel:DWORD dst_unused:UNUSED_PAD src0_sel:DWORD src1_sel:WORD_0
	v_and_b32_e32 v12, s63, v12
	v_lshl_or_b32 v12, v12, 4, v35
	ds_add_u32 v12, v61
	s_or_b64 exec, exec, s[18:19]
	v_cmp_gt_u32_e32 vcc, s20, v34
	s_and_saveexec_b64 s[18:19], vcc
	s_cbranch_execz .LBB1847_345
.LBB1847_374:                           ;   in Loop: Header=BB1847_346 Depth=2
	v_cmp_lt_i16_e32 vcc, -1, v4
	v_cndmask_b32_e32 v12, -1, v65, vcc
	v_xor_b32_e32 v12, v12, v4
	v_cmp_ne_u16_e32 vcc, s7, v12
	v_cndmask_b32_e32 v12, v65, v12, vcc
	v_lshrrev_b32_sdwa v12, s77, v12 dst_sel:DWORD dst_unused:UNUSED_PAD src0_sel:DWORD src1_sel:WORD_0
	v_and_b32_e32 v12, s63, v12
	v_lshl_or_b32 v12, v12, 4, v35
	ds_add_u32 v12, v61
	s_branch .LBB1847_345
.LBB1847_375:                           ;   in Loop: Header=BB1847_346 Depth=2
	global_load_ushort v11, v64, s[18:19]
	s_or_b64 exec, exec, s[20:21]
	v_cmp_gt_u32_e32 vcc, s22, v26
	s_and_saveexec_b64 s[20:21], vcc
	s_cbranch_execz .LBB1847_351
.LBB1847_376:                           ;   in Loop: Header=BB1847_346 Depth=2
	global_load_ushort v10, v64, s[18:19] offset:512
	s_or_b64 exec, exec, s[20:21]
	v_cmp_gt_u32_e32 vcc, s22, v27
	s_and_saveexec_b64 s[20:21], vcc
	s_cbranch_execz .LBB1847_352
.LBB1847_377:                           ;   in Loop: Header=BB1847_346 Depth=2
	global_load_ushort v9, v64, s[18:19] offset:1024
	s_or_b64 exec, exec, s[20:21]
	v_cmp_gt_u32_e32 vcc, s22, v28
	s_and_saveexec_b64 s[20:21], vcc
	s_cbranch_execz .LBB1847_353
.LBB1847_378:                           ;   in Loop: Header=BB1847_346 Depth=2
	global_load_ushort v8, v64, s[18:19] offset:1536
	s_or_b64 exec, exec, s[20:21]
	v_cmp_gt_u32_e32 vcc, s22, v31
	s_and_saveexec_b64 s[20:21], vcc
	s_cbranch_execz .LBB1847_354
.LBB1847_379:                           ;   in Loop: Header=BB1847_346 Depth=2
	global_load_ushort v7, v64, s[18:19] offset:2048
	s_or_b64 exec, exec, s[20:21]
	v_cmp_gt_u32_e32 vcc, s22, v32
	s_and_saveexec_b64 s[20:21], vcc
	s_cbranch_execz .LBB1847_355
.LBB1847_380:                           ;   in Loop: Header=BB1847_346 Depth=2
	global_load_ushort v6, v64, s[18:19] offset:2560
	s_or_b64 exec, exec, s[20:21]
	v_cmp_gt_u32_e32 vcc, s22, v33
	s_and_saveexec_b64 s[20:21], vcc
	s_cbranch_execz .LBB1847_356
.LBB1847_381:                           ;   in Loop: Header=BB1847_346 Depth=2
	global_load_ushort v5, v64, s[18:19] offset:3072
	s_or_b64 exec, exec, s[20:21]
	v_cmp_gt_u32_e32 vcc, s22, v34
	s_and_saveexec_b64 s[20:21], vcc
	s_cbranch_execnz .LBB1847_357
	s_branch .LBB1847_358
.LBB1847_382:                           ;   in Loop: Header=BB1847_12 Depth=1
	v_mov_b32_e32 v4, 0
	s_waitcnt lgkmcnt(0)
	s_barrier
	s_and_saveexec_b64 s[18:19], s[4:5]
	s_cbranch_execz .LBB1847_384
; %bb.383:                              ;   in Loop: Header=BB1847_12 Depth=1
	ds_read2_b64 v[4:7], v36 offset1:1
	s_waitcnt lgkmcnt(0)
	v_add_u32_e32 v4, v5, v4
	v_add3_u32 v4, v4, v6, v7
.LBB1847_384:                           ;   in Loop: Header=BB1847_12 Depth=1
	s_or_b64 exec, exec, s[18:19]
	s_nop 0
	v_mov_b32_dpp v5, v4 row_shr:1 row_mask:0xf bank_mask:0xf
	v_cmp_eq_u32_e64 s[18:19], 0, v67
	v_cndmask_b32_e64 v5, v5, 0, s[18:19]
	v_add_u32_e32 v4, v5, v4
	v_cmp_lt_u32_e64 s[20:21], 1, v67
	v_cmp_lt_u32_e64 s[22:23], 3, v67
	v_mov_b32_dpp v5, v4 row_shr:2 row_mask:0xf bank_mask:0xf
	v_cndmask_b32_e64 v5, 0, v5, s[20:21]
	v_add_u32_e32 v4, v4, v5
	v_cmp_lt_u32_e64 s[24:25], 7, v67
	v_cmp_lt_u32_e64 s[28:29], 31, v66
	v_mov_b32_dpp v5, v4 row_shr:4 row_mask:0xf bank_mask:0xf
	v_cndmask_b32_e64 v5, 0, v5, s[22:23]
	v_add_u32_e32 v4, v4, v5
	v_cmp_eq_u32_e64 s[26:27], 0, v69
	s_nop 0
	v_mov_b32_dpp v5, v4 row_shr:8 row_mask:0xf bank_mask:0xf
	v_cndmask_b32_e64 v5, 0, v5, s[24:25]
	v_add_u32_e32 v4, v4, v5
	s_nop 1
	v_mov_b32_dpp v5, v4 row_bcast:15 row_mask:0xf bank_mask:0xf
	v_and_b32_e32 v5, v68, v5
	v_add_u32_e32 v4, v4, v5
	s_nop 1
	v_mov_b32_dpp v5, v4 row_bcast:31 row_mask:0xf bank_mask:0xf
	v_cndmask_b32_e64 v5, 0, v5, s[28:29]
	v_add_u32_e32 v4, v4, v5
	s_and_saveexec_b64 s[30:31], s[8:9]
; %bb.385:                              ;   in Loop: Header=BB1847_12 Depth=1
	ds_write_b32 v38, v4
; %bb.386:                              ;   in Loop: Header=BB1847_12 Depth=1
	s_or_b64 exec, exec, s[30:31]
	s_waitcnt lgkmcnt(0)
	s_barrier
	s_and_saveexec_b64 s[30:31], s[10:11]
	s_cbranch_execz .LBB1847_388
; %bb.387:                              ;   in Loop: Header=BB1847_12 Depth=1
	ds_read_b32 v5, v39
	v_cmp_ne_u32_e32 vcc, 0, v70
	s_waitcnt lgkmcnt(0)
	v_mov_b32_dpp v6, v5 row_shr:1 row_mask:0xf bank_mask:0xf
	v_cndmask_b32_e32 v6, 0, v6, vcc
	v_add_u32_e32 v5, v6, v5
	v_cmp_lt_u32_e32 vcc, 1, v70
	s_nop 0
	v_mov_b32_dpp v6, v5 row_shr:2 row_mask:0xf bank_mask:0xf
	v_cndmask_b32_e32 v6, 0, v6, vcc
	v_add_u32_e32 v5, v5, v6
	ds_write_b32 v39, v5
.LBB1847_388:                           ;   in Loop: Header=BB1847_12 Depth=1
	s_or_b64 exec, exec, s[30:31]
	v_mov_b32_e32 v5, 0
	s_waitcnt lgkmcnt(0)
	s_barrier
	s_and_saveexec_b64 s[30:31], s[12:13]
; %bb.389:                              ;   in Loop: Header=BB1847_12 Depth=1
	ds_read_b32 v5, v40
; %bb.390:                              ;   in Loop: Header=BB1847_12 Depth=1
	s_or_b64 exec, exec, s[30:31]
	v_subrev_co_u32_e64 v6, s[30:31], 1, v66
	v_cmp_lt_i32_e32 vcc, v6, v71
	v_cndmask_b32_e32 v6, v6, v66, vcc
	s_waitcnt lgkmcnt(0)
	v_add_u32_e32 v4, v5, v4
	v_lshlrev_b32_e32 v82, 2, v6
	ds_bpermute_b32 v4, v82, v4
	s_waitcnt lgkmcnt(0)
	s_barrier
	s_and_saveexec_b64 s[34:35], s[4:5]
; %bb.391:                              ;   in Loop: Header=BB1847_12 Depth=1
	v_cndmask_b32_e64 v4, v4, v5, s[30:31]
	v_add_u32_e32 v4, s80, v4
	ds_write_b32 v25, v4
; %bb.392:                              ;   in Loop: Header=BB1847_12 Depth=1
	s_or_b64 exec, exec, s[34:35]
	s_load_dwordx2 s[34:35], s[56:57], 0x0
	v_add_co_u32_e32 v83, vcc, v57, v72
	v_addc_co_u32_e32 v84, vcc, 0, v58, vcc
	s_waitcnt lgkmcnt(0)
	s_cmp_lt_u32 s33, s35
	s_cselect_b32 s35, 14, 20
	s_add_u32 s36, s56, s35
	s_addc_u32 s37, s57, 0
	s_cmp_lt_u32 s6, s34
	s_cselect_b32 s34, 12, 18
	s_add_u32 s34, s56, s34
	global_load_ushort v4, v3, s[36:37]
	s_addc_u32 s35, s57, 0
	global_load_ushort v5, v3, s[34:35]
	v_add_co_u32_e32 v85, vcc, v59, v81
	v_cmp_eq_u32_e64 s[34:35], 0, v70
	v_cmp_lt_u32_e64 s[36:37], 1, v70
	v_addc_co_u32_e32 v86, vcc, 0, v60, vcc
	s_mov_b32 s70, s79
	s_mov_b32 s58, s80
                                        ; implicit-def: $vgpr7_vgpr8
                                        ; implicit-def: $vgpr9_vgpr10
                                        ; implicit-def: $vgpr11_vgpr12
                                        ; implicit-def: $vgpr13_vgpr14
                                        ; implicit-def: $vgpr15_vgpr16
                                        ; implicit-def: $vgpr17_vgpr18
                                        ; implicit-def: $vgpr19_vgpr20
                                        ; implicit-def: $vgpr87
                                        ; implicit-def: $vgpr88
                                        ; implicit-def: $vgpr89
                                        ; implicit-def: $vgpr90
                                        ; implicit-def: $vgpr92
                                        ; implicit-def: $vgpr93
                                        ; implicit-def: $vgpr94
                                        ; implicit-def: $vgpr95
	s_waitcnt vmcnt(1)
	v_mad_u32_u24 v4, v2, v4, v1
	s_waitcnt vmcnt(0)
	v_mad_u64_u32 v[4:5], s[38:39], v4, v5, v[0:1]
                                        ; implicit-def: $vgpr5_vgpr6
	v_lshrrev_b32_e32 v4, 4, v4
	v_and_b32_e32 v91, 0xffffffc, v4
	s_branch .LBB1847_394
.LBB1847_393:                           ;   in Loop: Header=BB1847_394 Depth=2
	s_or_b64 exec, exec, s[38:39]
	s_addk_i32 s70, 0xf800
	s_cmp_lt_u32 s71, s81
	s_mov_b32 s58, s71
	s_cbranch_scc0 .LBB1847_506
.LBB1847_394:                           ;   Parent Loop BB1847_12 Depth=1
                                        ; =>  This Inner Loop Header: Depth=2
	s_add_i32 s71, s58, 0x800
	s_cmp_gt_u32 s71, s81
	s_cbranch_scc1 .LBB1847_396
; %bb.395:                              ;   in Loop: Header=BB1847_394 Depth=2
	s_lshl_b64 s[38:39], s[58:59], 1
	v_mov_b32_e32 v4, s39
	v_add_co_u32_e32 v21, vcc, s38, v85
	v_addc_co_u32_e32 v22, vcc, v86, v4, vcc
	global_load_ushort v4, v[21:22], off
	global_load_ushort v99, v[21:22], off offset:128
	global_load_ushort v103, v[21:22], off offset:256
	;; [unrolled: 1-line block ×6, first 2 shown]
	s_mov_b64 s[38:39], -1
	s_movk_i32 s42, 0x800
	s_cbranch_execz .LBB1847_397
	s_branch .LBB1847_412
.LBB1847_396:                           ;   in Loop: Header=BB1847_394 Depth=2
	s_mov_b64 s[38:39], 0
                                        ; implicit-def: $vgpr4
                                        ; implicit-def: $vgpr99
                                        ; implicit-def: $vgpr103
                                        ; implicit-def: $vgpr107
                                        ; implicit-def: $vgpr112
                                        ; implicit-def: $vgpr108
                                        ; implicit-def: $vgpr24
	s_movk_i32 s42, 0x800
.LBB1847_397:                           ;   in Loop: Header=BB1847_394 Depth=2
	s_lshl_b64 s[38:39], s[58:59], 1
	s_waitcnt vmcnt(6)
	v_mov_b32_e32 v4, s39
	v_add_co_u32_e32 v21, vcc, s38, v85
	v_addc_co_u32_e32 v22, vcc, v86, v4, vcc
	v_cmp_gt_u32_e32 vcc, s70, v73
	s_waitcnt vmcnt(5)
	v_mov_b32_e32 v99, 0x7fff
	v_mov_b32_e32 v4, 0x7fff
	s_and_saveexec_b64 s[38:39], vcc
	s_cbranch_execz .LBB1847_399
; %bb.398:                              ;   in Loop: Header=BB1847_394 Depth=2
	global_load_ushort v4, v[21:22], off
.LBB1847_399:                           ;   in Loop: Header=BB1847_394 Depth=2
	s_or_b64 exec, exec, s[38:39]
	v_cmp_gt_u32_e32 vcc, s70, v74
	s_and_saveexec_b64 s[38:39], vcc
	s_cbranch_execz .LBB1847_401
; %bb.400:                              ;   in Loop: Header=BB1847_394 Depth=2
	global_load_ushort v99, v[21:22], off offset:128
.LBB1847_401:                           ;   in Loop: Header=BB1847_394 Depth=2
	s_or_b64 exec, exec, s[38:39]
	v_cmp_gt_u32_e32 vcc, s70, v75
	s_waitcnt vmcnt(3)
	v_mov_b32_e32 v107, 0x7fff
	v_mov_b32_e32 v103, 0x7fff
	s_and_saveexec_b64 s[38:39], vcc
	s_cbranch_execz .LBB1847_403
; %bb.402:                              ;   in Loop: Header=BB1847_394 Depth=2
	global_load_ushort v103, v[21:22], off offset:256
.LBB1847_403:                           ;   in Loop: Header=BB1847_394 Depth=2
	s_or_b64 exec, exec, s[38:39]
	v_cmp_gt_u32_e32 vcc, s70, v76
	s_and_saveexec_b64 s[38:39], vcc
	s_cbranch_execz .LBB1847_405
; %bb.404:                              ;   in Loop: Header=BB1847_394 Depth=2
	global_load_ushort v107, v[21:22], off offset:384
.LBB1847_405:                           ;   in Loop: Header=BB1847_394 Depth=2
	s_or_b64 exec, exec, s[38:39]
	v_cmp_gt_u32_e32 vcc, s70, v77
	s_waitcnt vmcnt(1)
	v_mov_b32_e32 v108, 0x7fff
	v_mov_b32_e32 v112, 0x7fff
	s_and_saveexec_b64 s[38:39], vcc
	s_cbranch_execz .LBB1847_407
; %bb.406:                              ;   in Loop: Header=BB1847_394 Depth=2
	global_load_ushort v112, v[21:22], off offset:512
.LBB1847_407:                           ;   in Loop: Header=BB1847_394 Depth=2
	s_or_b64 exec, exec, s[38:39]
	v_cmp_gt_u32_e32 vcc, s70, v78
	s_and_saveexec_b64 s[38:39], vcc
	s_cbranch_execz .LBB1847_409
; %bb.408:                              ;   in Loop: Header=BB1847_394 Depth=2
	global_load_ushort v108, v[21:22], off offset:640
.LBB1847_409:                           ;   in Loop: Header=BB1847_394 Depth=2
	s_or_b64 exec, exec, s[38:39]
	v_cmp_gt_u32_e32 vcc, s70, v79
	s_waitcnt vmcnt(0)
	v_mov_b32_e32 v24, 0x7fff
	s_and_saveexec_b64 s[38:39], vcc
	s_cbranch_execz .LBB1847_411
; %bb.410:                              ;   in Loop: Header=BB1847_394 Depth=2
	global_load_ushort v24, v[21:22], off offset:768
.LBB1847_411:                           ;   in Loop: Header=BB1847_394 Depth=2
	s_or_b64 exec, exec, s[38:39]
	s_sub_i32 s42, s81, s58
	v_cmp_gt_u32_e64 s[38:39], s70, v80
.LBB1847_412:                           ;   in Loop: Header=BB1847_394 Depth=2
	v_mov_b32_e32 v23, 0x7fff
	v_mov_b32_e32 v96, s70
	s_and_saveexec_b64 s[40:41], s[38:39]
	s_cbranch_execz .LBB1847_414
; %bb.413:                              ;   in Loop: Header=BB1847_394 Depth=2
	s_lshl_b64 s[38:39], s[58:59], 1
	v_mov_b32_e32 v22, s39
	v_add_co_u32_e32 v21, vcc, s38, v85
	v_addc_co_u32_e32 v22, vcc, v86, v22, vcc
	global_load_ushort v23, v[21:22], off offset:896
	v_mov_b32_e32 v96, s42
.LBB1847_414:                           ;   in Loop: Header=BB1847_394 Depth=2
	s_or_b64 exec, exec, s[40:41]
	s_waitcnt vmcnt(6)
	v_cmp_lt_i16_e32 vcc, -1, v4
	v_cndmask_b32_e32 v21, -1, v65, vcc
	v_xor_b32_e32 v97, v21, v4
	v_cmp_ne_u16_e32 vcc, s7, v97
	v_cndmask_b32_e32 v4, v65, v97, vcc
	v_lshrrev_b32_sdwa v4, s77, v4 dst_sel:DWORD dst_unused:UNUSED_PAD src0_sel:DWORD src1_sel:WORD_0
	v_and_b32_e32 v21, s63, v4
	v_and_b32_e32 v4, 1, v21
	v_add_co_u32_e32 v22, vcc, -1, v4
	v_addc_co_u32_e64 v98, s[38:39], 0, -1, vcc
	v_cmp_ne_u32_e32 vcc, 0, v4
	v_xor_b32_e32 v4, vcc_hi, v98
	v_and_b32_e32 v98, exec_hi, v4
	v_lshlrev_b32_e32 v4, 30, v21
	v_xor_b32_e32 v22, vcc_lo, v22
	v_cmp_gt_i64_e32 vcc, 0, v[3:4]
	v_not_b32_e32 v4, v4
	v_ashrrev_i32_e32 v4, 31, v4
	v_and_b32_e32 v22, exec_lo, v22
	v_xor_b32_e32 v101, vcc_hi, v4
	v_xor_b32_e32 v4, vcc_lo, v4
	v_and_b32_e32 v22, v22, v4
	v_lshlrev_b32_e32 v4, 29, v21
	v_cmp_gt_i64_e32 vcc, 0, v[3:4]
	v_not_b32_e32 v4, v4
	v_ashrrev_i32_e32 v4, 31, v4
	v_and_b32_e32 v98, v98, v101
	v_xor_b32_e32 v101, vcc_hi, v4
	v_xor_b32_e32 v4, vcc_lo, v4
	v_and_b32_e32 v22, v22, v4
	v_lshlrev_b32_e32 v4, 28, v21
	v_cmp_gt_i64_e32 vcc, 0, v[3:4]
	v_not_b32_e32 v4, v4
	v_ashrrev_i32_e32 v4, 31, v4
	v_and_b32_e32 v98, v98, v101
	;; [unrolled: 8-line block ×5, first 2 shown]
	v_xor_b32_e32 v101, vcc_hi, v4
	v_xor_b32_e32 v4, vcc_lo, v4
	v_and_b32_e32 v98, v98, v101
	v_and_b32_e32 v101, v22, v4
	v_lshlrev_b32_e32 v4, 24, v21
	v_cmp_gt_i64_e32 vcc, 0, v[3:4]
	v_not_b32_e32 v4, v4
	v_ashrrev_i32_e32 v4, 31, v4
	v_mul_u32_u24_e32 v100, 20, v21
	v_xor_b32_e32 v21, vcc_hi, v4
	v_xor_b32_e32 v4, vcc_lo, v4
	v_and_b32_e32 v22, v98, v21
	v_and_b32_e32 v21, v101, v4
	v_mbcnt_lo_u32_b32 v4, v21, 0
	v_mbcnt_hi_u32_b32 v98, v22, v4
	v_cmp_ne_u64_e32 vcc, 0, v[21:22]
	v_cmp_eq_u32_e64 s[38:39], 0, v98
	s_and_b64 s[40:41], vcc, s[38:39]
	v_add_u32_e32 v101, v91, v100
	ds_write2_b32 v62, v3, v3 offset1:1
	ds_write2_b32 v63, v3, v3 offset1:1
	ds_write_b32 v41, v3 offset:1056
	s_waitcnt vmcnt(0) lgkmcnt(0)
	s_barrier
	; wave barrier
	s_and_saveexec_b64 s[38:39], s[40:41]
; %bb.415:                              ;   in Loop: Header=BB1847_394 Depth=2
	v_bcnt_u32_b32 v4, v21, 0
	v_bcnt_u32_b32 v4, v22, v4
	ds_write_b32 v101, v4 offset:1040
; %bb.416:                              ;   in Loop: Header=BB1847_394 Depth=2
	s_or_b64 exec, exec, s[38:39]
	v_cmp_lt_i16_e32 vcc, -1, v99
	v_cndmask_b32_e32 v4, -1, v65, vcc
	v_xor_b32_e32 v99, v4, v99
	v_cmp_ne_u16_e32 vcc, s7, v99
	v_cndmask_b32_e32 v4, v65, v99, vcc
	v_lshrrev_b32_sdwa v4, s77, v4 dst_sel:DWORD dst_unused:UNUSED_PAD src0_sel:DWORD src1_sel:WORD_0
	v_and_b32_e32 v21, s63, v4
	v_mad_u32_u24 v4, v21, 20, v91
	; wave barrier
	ds_read_b32 v100, v4 offset:1040
	v_and_b32_e32 v4, 1, v21
	v_add_co_u32_e32 v22, vcc, -1, v4
	v_addc_co_u32_e64 v102, s[38:39], 0, -1, vcc
	v_cmp_ne_u32_e32 vcc, 0, v4
	v_xor_b32_e32 v4, vcc_hi, v102
	v_and_b32_e32 v102, exec_hi, v4
	v_lshlrev_b32_e32 v4, 30, v21
	v_xor_b32_e32 v22, vcc_lo, v22
	v_cmp_gt_i64_e32 vcc, 0, v[3:4]
	v_not_b32_e32 v4, v4
	v_ashrrev_i32_e32 v4, 31, v4
	v_and_b32_e32 v22, exec_lo, v22
	v_xor_b32_e32 v105, vcc_hi, v4
	v_xor_b32_e32 v4, vcc_lo, v4
	v_and_b32_e32 v22, v22, v4
	v_lshlrev_b32_e32 v4, 29, v21
	v_cmp_gt_i64_e32 vcc, 0, v[3:4]
	v_not_b32_e32 v4, v4
	v_ashrrev_i32_e32 v4, 31, v4
	v_and_b32_e32 v102, v102, v105
	v_xor_b32_e32 v105, vcc_hi, v4
	v_xor_b32_e32 v4, vcc_lo, v4
	v_and_b32_e32 v22, v22, v4
	v_lshlrev_b32_e32 v4, 28, v21
	v_cmp_gt_i64_e32 vcc, 0, v[3:4]
	v_not_b32_e32 v4, v4
	v_ashrrev_i32_e32 v4, 31, v4
	v_and_b32_e32 v102, v102, v105
	;; [unrolled: 8-line block ×5, first 2 shown]
	v_xor_b32_e32 v105, vcc_hi, v4
	v_xor_b32_e32 v4, vcc_lo, v4
	v_and_b32_e32 v102, v102, v105
	v_and_b32_e32 v105, v22, v4
	v_lshlrev_b32_e32 v4, 24, v21
	v_cmp_gt_i64_e32 vcc, 0, v[3:4]
	v_not_b32_e32 v4, v4
	v_ashrrev_i32_e32 v4, 31, v4
	v_mul_u32_u24_e32 v104, 20, v21
	v_xor_b32_e32 v21, vcc_hi, v4
	v_xor_b32_e32 v4, vcc_lo, v4
	v_and_b32_e32 v22, v102, v21
	v_and_b32_e32 v21, v105, v4
	v_mbcnt_lo_u32_b32 v4, v21, 0
	v_mbcnt_hi_u32_b32 v102, v22, v4
	v_cmp_ne_u64_e32 vcc, 0, v[21:22]
	v_cmp_eq_u32_e64 s[38:39], 0, v102
	s_and_b64 s[40:41], vcc, s[38:39]
	v_add_u32_e32 v105, v91, v104
	; wave barrier
	s_and_saveexec_b64 s[38:39], s[40:41]
	s_cbranch_execz .LBB1847_418
; %bb.417:                              ;   in Loop: Header=BB1847_394 Depth=2
	v_bcnt_u32_b32 v4, v21, 0
	v_bcnt_u32_b32 v4, v22, v4
	s_waitcnt lgkmcnt(0)
	v_add_u32_e32 v4, v100, v4
	ds_write_b32 v105, v4 offset:1040
.LBB1847_418:                           ;   in Loop: Header=BB1847_394 Depth=2
	s_or_b64 exec, exec, s[38:39]
	v_cmp_lt_i16_e32 vcc, -1, v103
	v_cndmask_b32_e32 v4, -1, v65, vcc
	v_xor_b32_e32 v103, v4, v103
	v_cmp_ne_u16_e32 vcc, s7, v103
	v_cndmask_b32_e32 v4, v65, v103, vcc
	v_lshrrev_b32_sdwa v4, s77, v4 dst_sel:DWORD dst_unused:UNUSED_PAD src0_sel:DWORD src1_sel:WORD_0
	v_and_b32_e32 v21, s63, v4
	v_mad_u32_u24 v4, v21, 20, v91
	; wave barrier
	ds_read_b32 v104, v4 offset:1040
	v_and_b32_e32 v4, 1, v21
	v_add_co_u32_e32 v22, vcc, -1, v4
	v_addc_co_u32_e64 v106, s[38:39], 0, -1, vcc
	v_cmp_ne_u32_e32 vcc, 0, v4
	v_xor_b32_e32 v4, vcc_hi, v106
	v_and_b32_e32 v106, exec_hi, v4
	v_lshlrev_b32_e32 v4, 30, v21
	v_xor_b32_e32 v22, vcc_lo, v22
	v_cmp_gt_i64_e32 vcc, 0, v[3:4]
	v_not_b32_e32 v4, v4
	v_ashrrev_i32_e32 v4, 31, v4
	v_and_b32_e32 v22, exec_lo, v22
	v_xor_b32_e32 v110, vcc_hi, v4
	v_xor_b32_e32 v4, vcc_lo, v4
	v_and_b32_e32 v22, v22, v4
	v_lshlrev_b32_e32 v4, 29, v21
	v_cmp_gt_i64_e32 vcc, 0, v[3:4]
	v_not_b32_e32 v4, v4
	v_ashrrev_i32_e32 v4, 31, v4
	v_and_b32_e32 v106, v106, v110
	v_xor_b32_e32 v110, vcc_hi, v4
	v_xor_b32_e32 v4, vcc_lo, v4
	v_and_b32_e32 v22, v22, v4
	v_lshlrev_b32_e32 v4, 28, v21
	v_cmp_gt_i64_e32 vcc, 0, v[3:4]
	v_not_b32_e32 v4, v4
	v_ashrrev_i32_e32 v4, 31, v4
	v_and_b32_e32 v106, v106, v110
	;; [unrolled: 8-line block ×5, first 2 shown]
	v_xor_b32_e32 v110, vcc_hi, v4
	v_xor_b32_e32 v4, vcc_lo, v4
	v_and_b32_e32 v106, v106, v110
	v_and_b32_e32 v110, v22, v4
	v_lshlrev_b32_e32 v4, 24, v21
	v_cmp_gt_i64_e32 vcc, 0, v[3:4]
	v_not_b32_e32 v4, v4
	v_ashrrev_i32_e32 v4, 31, v4
	v_mul_u32_u24_e32 v109, 20, v21
	v_xor_b32_e32 v21, vcc_hi, v4
	v_xor_b32_e32 v4, vcc_lo, v4
	v_and_b32_e32 v22, v106, v21
	v_and_b32_e32 v21, v110, v4
	v_mbcnt_lo_u32_b32 v4, v21, 0
	v_mbcnt_hi_u32_b32 v106, v22, v4
	v_cmp_ne_u64_e32 vcc, 0, v[21:22]
	v_cmp_eq_u32_e64 s[38:39], 0, v106
	s_and_b64 s[40:41], vcc, s[38:39]
	v_add_u32_e32 v110, v91, v109
	; wave barrier
	s_and_saveexec_b64 s[38:39], s[40:41]
	s_cbranch_execz .LBB1847_420
; %bb.419:                              ;   in Loop: Header=BB1847_394 Depth=2
	v_bcnt_u32_b32 v4, v21, 0
	v_bcnt_u32_b32 v4, v22, v4
	s_waitcnt lgkmcnt(0)
	v_add_u32_e32 v4, v104, v4
	ds_write_b32 v110, v4 offset:1040
.LBB1847_420:                           ;   in Loop: Header=BB1847_394 Depth=2
	s_or_b64 exec, exec, s[38:39]
	v_cmp_lt_i16_e32 vcc, -1, v107
	v_cndmask_b32_e32 v4, -1, v65, vcc
	v_xor_b32_e32 v107, v4, v107
	v_cmp_ne_u16_e32 vcc, s7, v107
	v_cndmask_b32_e32 v4, v65, v107, vcc
	v_lshrrev_b32_sdwa v4, s77, v4 dst_sel:DWORD dst_unused:UNUSED_PAD src0_sel:DWORD src1_sel:WORD_0
	v_and_b32_e32 v21, s63, v4
	v_mad_u32_u24 v4, v21, 20, v91
	; wave barrier
	ds_read_b32 v109, v4 offset:1040
	v_and_b32_e32 v4, 1, v21
	v_add_co_u32_e32 v22, vcc, -1, v4
	v_addc_co_u32_e64 v111, s[38:39], 0, -1, vcc
	v_cmp_ne_u32_e32 vcc, 0, v4
	v_xor_b32_e32 v4, vcc_hi, v111
	v_and_b32_e32 v111, exec_hi, v4
	v_lshlrev_b32_e32 v4, 30, v21
	v_xor_b32_e32 v22, vcc_lo, v22
	v_cmp_gt_i64_e32 vcc, 0, v[3:4]
	v_not_b32_e32 v4, v4
	v_ashrrev_i32_e32 v4, 31, v4
	v_and_b32_e32 v22, exec_lo, v22
	v_xor_b32_e32 v114, vcc_hi, v4
	v_xor_b32_e32 v4, vcc_lo, v4
	v_and_b32_e32 v22, v22, v4
	v_lshlrev_b32_e32 v4, 29, v21
	v_cmp_gt_i64_e32 vcc, 0, v[3:4]
	v_not_b32_e32 v4, v4
	v_ashrrev_i32_e32 v4, 31, v4
	v_and_b32_e32 v111, v111, v114
	v_xor_b32_e32 v114, vcc_hi, v4
	v_xor_b32_e32 v4, vcc_lo, v4
	v_and_b32_e32 v22, v22, v4
	v_lshlrev_b32_e32 v4, 28, v21
	v_cmp_gt_i64_e32 vcc, 0, v[3:4]
	v_not_b32_e32 v4, v4
	v_ashrrev_i32_e32 v4, 31, v4
	v_and_b32_e32 v111, v111, v114
	;; [unrolled: 8-line block ×5, first 2 shown]
	v_xor_b32_e32 v114, vcc_hi, v4
	v_xor_b32_e32 v4, vcc_lo, v4
	v_and_b32_e32 v111, v111, v114
	v_and_b32_e32 v114, v22, v4
	v_lshlrev_b32_e32 v4, 24, v21
	v_cmp_gt_i64_e32 vcc, 0, v[3:4]
	v_not_b32_e32 v4, v4
	v_ashrrev_i32_e32 v4, 31, v4
	v_mul_u32_u24_e32 v113, 20, v21
	v_xor_b32_e32 v21, vcc_hi, v4
	v_xor_b32_e32 v4, vcc_lo, v4
	v_and_b32_e32 v22, v111, v21
	v_and_b32_e32 v21, v114, v4
	v_mbcnt_lo_u32_b32 v4, v21, 0
	v_mbcnt_hi_u32_b32 v111, v22, v4
	v_cmp_ne_u64_e32 vcc, 0, v[21:22]
	v_cmp_eq_u32_e64 s[38:39], 0, v111
	s_and_b64 s[40:41], vcc, s[38:39]
	v_add_u32_e32 v114, v91, v113
	; wave barrier
	s_and_saveexec_b64 s[38:39], s[40:41]
	s_cbranch_execz .LBB1847_422
; %bb.421:                              ;   in Loop: Header=BB1847_394 Depth=2
	v_bcnt_u32_b32 v4, v21, 0
	v_bcnt_u32_b32 v4, v22, v4
	s_waitcnt lgkmcnt(0)
	v_add_u32_e32 v4, v109, v4
	ds_write_b32 v114, v4 offset:1040
.LBB1847_422:                           ;   in Loop: Header=BB1847_394 Depth=2
	s_or_b64 exec, exec, s[38:39]
	v_cmp_lt_i16_e32 vcc, -1, v112
	v_cndmask_b32_e32 v4, -1, v65, vcc
	v_xor_b32_e32 v112, v4, v112
	v_cmp_ne_u16_e32 vcc, s7, v112
	v_cndmask_b32_e32 v4, v65, v112, vcc
	v_lshrrev_b32_sdwa v4, s77, v4 dst_sel:DWORD dst_unused:UNUSED_PAD src0_sel:DWORD src1_sel:WORD_0
	v_and_b32_e32 v21, s63, v4
	v_mad_u32_u24 v4, v21, 20, v91
	; wave barrier
	ds_read_b32 v113, v4 offset:1040
	v_and_b32_e32 v4, 1, v21
	v_add_co_u32_e32 v22, vcc, -1, v4
	v_addc_co_u32_e64 v115, s[38:39], 0, -1, vcc
	v_cmp_ne_u32_e32 vcc, 0, v4
	v_xor_b32_e32 v4, vcc_hi, v115
	v_and_b32_e32 v115, exec_hi, v4
	v_lshlrev_b32_e32 v4, 30, v21
	v_xor_b32_e32 v22, vcc_lo, v22
	v_cmp_gt_i64_e32 vcc, 0, v[3:4]
	v_not_b32_e32 v4, v4
	v_ashrrev_i32_e32 v4, 31, v4
	v_and_b32_e32 v22, exec_lo, v22
	v_xor_b32_e32 v117, vcc_hi, v4
	v_xor_b32_e32 v4, vcc_lo, v4
	v_and_b32_e32 v22, v22, v4
	v_lshlrev_b32_e32 v4, 29, v21
	v_cmp_gt_i64_e32 vcc, 0, v[3:4]
	v_not_b32_e32 v4, v4
	v_ashrrev_i32_e32 v4, 31, v4
	v_and_b32_e32 v115, v115, v117
	v_xor_b32_e32 v117, vcc_hi, v4
	v_xor_b32_e32 v4, vcc_lo, v4
	v_and_b32_e32 v22, v22, v4
	v_lshlrev_b32_e32 v4, 28, v21
	v_cmp_gt_i64_e32 vcc, 0, v[3:4]
	v_not_b32_e32 v4, v4
	v_ashrrev_i32_e32 v4, 31, v4
	v_and_b32_e32 v115, v115, v117
	;; [unrolled: 8-line block ×5, first 2 shown]
	v_xor_b32_e32 v117, vcc_hi, v4
	v_xor_b32_e32 v4, vcc_lo, v4
	v_and_b32_e32 v115, v115, v117
	v_and_b32_e32 v117, v22, v4
	v_lshlrev_b32_e32 v4, 24, v21
	v_cmp_gt_i64_e32 vcc, 0, v[3:4]
	v_not_b32_e32 v4, v4
	v_ashrrev_i32_e32 v4, 31, v4
	v_mul_u32_u24_e32 v116, 20, v21
	v_xor_b32_e32 v21, vcc_hi, v4
	v_xor_b32_e32 v4, vcc_lo, v4
	v_and_b32_e32 v22, v115, v21
	v_and_b32_e32 v21, v117, v4
	v_mbcnt_lo_u32_b32 v4, v21, 0
	v_mbcnt_hi_u32_b32 v115, v22, v4
	v_cmp_ne_u64_e32 vcc, 0, v[21:22]
	v_cmp_eq_u32_e64 s[38:39], 0, v115
	s_and_b64 s[40:41], vcc, s[38:39]
	v_add_u32_e32 v118, v91, v116
	; wave barrier
	s_and_saveexec_b64 s[38:39], s[40:41]
	s_cbranch_execz .LBB1847_424
; %bb.423:                              ;   in Loop: Header=BB1847_394 Depth=2
	v_bcnt_u32_b32 v4, v21, 0
	v_bcnt_u32_b32 v4, v22, v4
	s_waitcnt lgkmcnt(0)
	v_add_u32_e32 v4, v113, v4
	ds_write_b32 v118, v4 offset:1040
.LBB1847_424:                           ;   in Loop: Header=BB1847_394 Depth=2
	s_or_b64 exec, exec, s[38:39]
	v_cmp_lt_i16_e32 vcc, -1, v108
	v_cndmask_b32_e32 v4, -1, v65, vcc
	v_xor_b32_e32 v116, v4, v108
	v_cmp_ne_u16_e32 vcc, s7, v116
	v_cndmask_b32_e32 v4, v65, v116, vcc
	v_lshrrev_b32_sdwa v4, s77, v4 dst_sel:DWORD dst_unused:UNUSED_PAD src0_sel:DWORD src1_sel:WORD_0
	v_and_b32_e32 v21, s63, v4
	v_mad_u32_u24 v4, v21, 20, v91
	; wave barrier
	ds_read_b32 v117, v4 offset:1040
	v_and_b32_e32 v4, 1, v21
	v_add_co_u32_e32 v22, vcc, -1, v4
	v_addc_co_u32_e64 v119, s[38:39], 0, -1, vcc
	v_cmp_ne_u32_e32 vcc, 0, v4
	v_xor_b32_e32 v4, vcc_hi, v119
	v_and_b32_e32 v119, exec_hi, v4
	v_lshlrev_b32_e32 v4, 30, v21
	v_xor_b32_e32 v22, vcc_lo, v22
	v_cmp_gt_i64_e32 vcc, 0, v[3:4]
	v_not_b32_e32 v4, v4
	v_ashrrev_i32_e32 v4, 31, v4
	v_and_b32_e32 v22, exec_lo, v22
	v_xor_b32_e32 v120, vcc_hi, v4
	v_xor_b32_e32 v4, vcc_lo, v4
	v_and_b32_e32 v22, v22, v4
	v_lshlrev_b32_e32 v4, 29, v21
	v_cmp_gt_i64_e32 vcc, 0, v[3:4]
	v_not_b32_e32 v4, v4
	v_ashrrev_i32_e32 v4, 31, v4
	v_and_b32_e32 v119, v119, v120
	v_xor_b32_e32 v120, vcc_hi, v4
	v_xor_b32_e32 v4, vcc_lo, v4
	v_and_b32_e32 v22, v22, v4
	v_lshlrev_b32_e32 v4, 28, v21
	v_cmp_gt_i64_e32 vcc, 0, v[3:4]
	v_not_b32_e32 v4, v4
	v_ashrrev_i32_e32 v4, 31, v4
	v_and_b32_e32 v119, v119, v120
	;; [unrolled: 8-line block ×5, first 2 shown]
	v_xor_b32_e32 v120, vcc_hi, v4
	v_xor_b32_e32 v4, vcc_lo, v4
	v_and_b32_e32 v119, v119, v120
	v_and_b32_e32 v120, v22, v4
	v_lshlrev_b32_e32 v4, 24, v21
	v_cmp_gt_i64_e32 vcc, 0, v[3:4]
	v_not_b32_e32 v4, v4
	v_ashrrev_i32_e32 v4, 31, v4
	v_mul_u32_u24_e32 v108, 20, v21
	v_xor_b32_e32 v21, vcc_hi, v4
	v_xor_b32_e32 v4, vcc_lo, v4
	v_and_b32_e32 v22, v119, v21
	v_and_b32_e32 v21, v120, v4
	v_mbcnt_lo_u32_b32 v4, v21, 0
	v_mbcnt_hi_u32_b32 v119, v22, v4
	v_cmp_ne_u64_e32 vcc, 0, v[21:22]
	v_cmp_eq_u32_e64 s[38:39], 0, v119
	s_and_b64 s[40:41], vcc, s[38:39]
	v_add_u32_e32 v108, v91, v108
	; wave barrier
	s_and_saveexec_b64 s[38:39], s[40:41]
	s_cbranch_execz .LBB1847_426
; %bb.425:                              ;   in Loop: Header=BB1847_394 Depth=2
	v_bcnt_u32_b32 v4, v21, 0
	v_bcnt_u32_b32 v4, v22, v4
	s_waitcnt lgkmcnt(0)
	v_add_u32_e32 v4, v117, v4
	ds_write_b32 v108, v4 offset:1040
.LBB1847_426:                           ;   in Loop: Header=BB1847_394 Depth=2
	s_or_b64 exec, exec, s[38:39]
	v_cmp_lt_i16_e32 vcc, -1, v24
	v_cndmask_b32_e32 v4, -1, v65, vcc
	v_xor_b32_e32 v120, v4, v24
	v_cmp_ne_u16_e32 vcc, s7, v120
	v_cndmask_b32_e32 v4, v65, v120, vcc
	v_lshrrev_b32_sdwa v4, s77, v4 dst_sel:DWORD dst_unused:UNUSED_PAD src0_sel:DWORD src1_sel:WORD_0
	v_and_b32_e32 v21, s63, v4
	v_mad_u32_u24 v4, v21, 20, v91
	; wave barrier
	ds_read_b32 v121, v4 offset:1040
	v_and_b32_e32 v4, 1, v21
	v_add_co_u32_e32 v22, vcc, -1, v4
	v_addc_co_u32_e64 v122, s[38:39], 0, -1, vcc
	v_cmp_ne_u32_e32 vcc, 0, v4
	v_xor_b32_e32 v4, vcc_hi, v122
	v_and_b32_e32 v122, exec_hi, v4
	v_lshlrev_b32_e32 v4, 30, v21
	v_xor_b32_e32 v22, vcc_lo, v22
	v_cmp_gt_i64_e32 vcc, 0, v[3:4]
	v_not_b32_e32 v4, v4
	v_ashrrev_i32_e32 v4, 31, v4
	v_and_b32_e32 v22, exec_lo, v22
	v_xor_b32_e32 v123, vcc_hi, v4
	v_xor_b32_e32 v4, vcc_lo, v4
	v_and_b32_e32 v22, v22, v4
	v_lshlrev_b32_e32 v4, 29, v21
	v_cmp_gt_i64_e32 vcc, 0, v[3:4]
	v_not_b32_e32 v4, v4
	v_ashrrev_i32_e32 v4, 31, v4
	v_and_b32_e32 v122, v122, v123
	v_xor_b32_e32 v123, vcc_hi, v4
	v_xor_b32_e32 v4, vcc_lo, v4
	v_and_b32_e32 v22, v22, v4
	v_lshlrev_b32_e32 v4, 28, v21
	v_cmp_gt_i64_e32 vcc, 0, v[3:4]
	v_not_b32_e32 v4, v4
	v_ashrrev_i32_e32 v4, 31, v4
	v_and_b32_e32 v122, v122, v123
	;; [unrolled: 8-line block ×5, first 2 shown]
	v_xor_b32_e32 v123, vcc_hi, v4
	v_xor_b32_e32 v4, vcc_lo, v4
	v_and_b32_e32 v122, v122, v123
	v_and_b32_e32 v123, v22, v4
	v_lshlrev_b32_e32 v4, 24, v21
	v_cmp_gt_i64_e32 vcc, 0, v[3:4]
	v_not_b32_e32 v4, v4
	v_ashrrev_i32_e32 v4, 31, v4
	v_mul_u32_u24_e32 v24, 20, v21
	v_xor_b32_e32 v21, vcc_hi, v4
	v_xor_b32_e32 v4, vcc_lo, v4
	v_and_b32_e32 v22, v122, v21
	v_and_b32_e32 v21, v123, v4
	v_mbcnt_lo_u32_b32 v4, v21, 0
	v_mbcnt_hi_u32_b32 v122, v22, v4
	v_cmp_ne_u64_e32 vcc, 0, v[21:22]
	v_cmp_eq_u32_e64 s[38:39], 0, v122
	s_and_b64 s[40:41], vcc, s[38:39]
	v_add_u32_e32 v125, v91, v24
	; wave barrier
	s_and_saveexec_b64 s[38:39], s[40:41]
	s_cbranch_execz .LBB1847_428
; %bb.427:                              ;   in Loop: Header=BB1847_394 Depth=2
	v_bcnt_u32_b32 v4, v21, 0
	v_bcnt_u32_b32 v4, v22, v4
	s_waitcnt lgkmcnt(0)
	v_add_u32_e32 v4, v121, v4
	ds_write_b32 v125, v4 offset:1040
.LBB1847_428:                           ;   in Loop: Header=BB1847_394 Depth=2
	s_or_b64 exec, exec, s[38:39]
	v_cmp_lt_i16_e32 vcc, -1, v23
	v_cndmask_b32_e32 v4, -1, v65, vcc
	v_xor_b32_e32 v123, v4, v23
	v_cmp_ne_u16_e32 vcc, s7, v123
	v_cndmask_b32_e32 v4, v65, v123, vcc
	v_lshrrev_b32_sdwa v4, s77, v4 dst_sel:DWORD dst_unused:UNUSED_PAD src0_sel:DWORD src1_sel:WORD_0
	v_and_b32_e32 v21, s63, v4
	v_mad_u32_u24 v4, v21, 20, v91
	; wave barrier
	ds_read_b32 v124, v4 offset:1040
	v_and_b32_e32 v4, 1, v21
	v_add_co_u32_e32 v22, vcc, -1, v4
	v_addc_co_u32_e64 v24, s[38:39], 0, -1, vcc
	v_cmp_ne_u32_e32 vcc, 0, v4
	v_xor_b32_e32 v4, vcc_hi, v24
	v_and_b32_e32 v24, exec_hi, v4
	v_lshlrev_b32_e32 v4, 30, v21
	v_xor_b32_e32 v22, vcc_lo, v22
	v_cmp_gt_i64_e32 vcc, 0, v[3:4]
	v_not_b32_e32 v4, v4
	v_ashrrev_i32_e32 v4, 31, v4
	v_and_b32_e32 v22, exec_lo, v22
	v_xor_b32_e32 v126, vcc_hi, v4
	v_xor_b32_e32 v4, vcc_lo, v4
	v_and_b32_e32 v22, v22, v4
	v_lshlrev_b32_e32 v4, 29, v21
	v_cmp_gt_i64_e32 vcc, 0, v[3:4]
	v_not_b32_e32 v4, v4
	v_ashrrev_i32_e32 v4, 31, v4
	v_and_b32_e32 v24, v24, v126
	v_xor_b32_e32 v126, vcc_hi, v4
	v_xor_b32_e32 v4, vcc_lo, v4
	v_and_b32_e32 v22, v22, v4
	v_lshlrev_b32_e32 v4, 28, v21
	v_cmp_gt_i64_e32 vcc, 0, v[3:4]
	v_not_b32_e32 v4, v4
	v_ashrrev_i32_e32 v4, 31, v4
	v_and_b32_e32 v24, v24, v126
	;; [unrolled: 8-line block ×5, first 2 shown]
	v_xor_b32_e32 v126, vcc_hi, v4
	v_xor_b32_e32 v4, vcc_lo, v4
	v_and_b32_e32 v24, v24, v126
	v_and_b32_e32 v126, v22, v4
	v_lshlrev_b32_e32 v4, 24, v21
	v_cmp_gt_i64_e32 vcc, 0, v[3:4]
	v_not_b32_e32 v4, v4
	v_ashrrev_i32_e32 v4, 31, v4
	v_mul_u32_u24_e32 v23, 20, v21
	v_xor_b32_e32 v21, vcc_hi, v4
	v_xor_b32_e32 v4, vcc_lo, v4
	v_and_b32_e32 v22, v24, v21
	v_and_b32_e32 v21, v126, v4
	v_mbcnt_lo_u32_b32 v4, v21, 0
	v_mbcnt_hi_u32_b32 v126, v22, v4
	v_cmp_ne_u64_e32 vcc, 0, v[21:22]
	v_cmp_eq_u32_e64 s[38:39], 0, v126
	s_and_b64 s[40:41], vcc, s[38:39]
	v_add_u32_e32 v4, v91, v23
	; wave barrier
	s_and_saveexec_b64 s[38:39], s[40:41]
	s_cbranch_execz .LBB1847_430
; %bb.429:                              ;   in Loop: Header=BB1847_394 Depth=2
	v_bcnt_u32_b32 v21, v21, 0
	v_bcnt_u32_b32 v21, v22, v21
	s_waitcnt lgkmcnt(0)
	v_add_u32_e32 v21, v124, v21
	ds_write_b32 v4, v21 offset:1040
.LBB1847_430:                           ;   in Loop: Header=BB1847_394 Depth=2
	s_or_b64 exec, exec, s[38:39]
	; wave barrier
	s_waitcnt lgkmcnt(0)
	s_barrier
	ds_read2_b32 v[23:24], v62 offset1:1
	ds_read2_b32 v[21:22], v63 offset1:1
	ds_read_b32 v127, v41 offset:1056
	s_waitcnt lgkmcnt(1)
	v_add3_u32 v128, v24, v23, v21
	s_waitcnt lgkmcnt(0)
	v_add3_u32 v127, v128, v22, v127
	s_nop 1
	v_mov_b32_dpp v128, v127 row_shr:1 row_mask:0xf bank_mask:0xf
	v_cndmask_b32_e64 v128, v128, 0, s[18:19]
	v_add_u32_e32 v127, v128, v127
	s_nop 1
	v_mov_b32_dpp v128, v127 row_shr:2 row_mask:0xf bank_mask:0xf
	v_cndmask_b32_e64 v128, 0, v128, s[20:21]
	v_add_u32_e32 v127, v127, v128
	;; [unrolled: 4-line block ×4, first 2 shown]
	s_nop 1
	v_mov_b32_dpp v128, v127 row_bcast:15 row_mask:0xf bank_mask:0xf
	v_cndmask_b32_e64 v128, v128, 0, s[26:27]
	v_add_u32_e32 v127, v127, v128
	s_nop 1
	v_mov_b32_dpp v128, v127 row_bcast:31 row_mask:0xf bank_mask:0xf
	v_cndmask_b32_e64 v128, 0, v128, s[28:29]
	v_add_u32_e32 v127, v127, v128
	s_and_saveexec_b64 s[38:39], s[8:9]
; %bb.431:                              ;   in Loop: Header=BB1847_394 Depth=2
	ds_write_b32 v37, v127 offset:1024
; %bb.432:                              ;   in Loop: Header=BB1847_394 Depth=2
	s_or_b64 exec, exec, s[38:39]
	s_waitcnt lgkmcnt(0)
	s_barrier
	s_and_saveexec_b64 s[38:39], s[10:11]
	s_cbranch_execz .LBB1847_434
; %bb.433:                              ;   in Loop: Header=BB1847_394 Depth=2
	ds_read_b32 v128, v42 offset:1024
	s_waitcnt lgkmcnt(0)
	s_nop 0
	v_mov_b32_dpp v129, v128 row_shr:1 row_mask:0xf bank_mask:0xf
	v_cndmask_b32_e64 v129, v129, 0, s[34:35]
	v_add_u32_e32 v128, v129, v128
	s_nop 1
	v_mov_b32_dpp v129, v128 row_shr:2 row_mask:0xf bank_mask:0xf
	v_cndmask_b32_e64 v129, 0, v129, s[36:37]
	v_add_u32_e32 v128, v128, v129
	ds_write_b32 v42, v128 offset:1024
.LBB1847_434:                           ;   in Loop: Header=BB1847_394 Depth=2
	s_or_b64 exec, exec, s[38:39]
	v_mov_b32_e32 v128, 0
	s_waitcnt lgkmcnt(0)
	s_barrier
	s_and_saveexec_b64 s[38:39], s[12:13]
; %bb.435:                              ;   in Loop: Header=BB1847_394 Depth=2
	ds_read_b32 v128, v37 offset:1020
; %bb.436:                              ;   in Loop: Header=BB1847_394 Depth=2
	s_or_b64 exec, exec, s[38:39]
	s_waitcnt lgkmcnt(0)
	v_add_u32_e32 v127, v128, v127
	ds_bpermute_b32 v127, v82, v127
	s_waitcnt lgkmcnt(0)
	v_cndmask_b32_e64 v127, v127, v128, s[30:31]
	v_cndmask_b32_e64 v127, v127, 0, s[14:15]
	v_add_u32_e32 v23, v127, v23
	v_add_u32_e32 v24, v23, v24
	;; [unrolled: 1-line block ×4, first 2 shown]
	ds_write2_b32 v62, v127, v23 offset1:1
	ds_write2_b32 v63, v24, v21 offset1:1
	ds_write_b32 v41, v22 offset:1056
	s_waitcnt lgkmcnt(0)
	s_barrier
	ds_read_b32 v21, v101 offset:1040
	ds_read_b32 v22, v105 offset:1040
	;; [unrolled: 1-line block ×9, first 2 shown]
	v_mov_b32_e32 v4, 0x800
	s_and_saveexec_b64 s[38:39], s[16:17]
; %bb.437:                              ;   in Loop: Header=BB1847_394 Depth=2
	ds_read_b32 v4, v41 offset:1060
; %bb.438:                              ;   in Loop: Header=BB1847_394 Depth=2
	s_or_b64 exec, exec, s[38:39]
	s_waitcnt lgkmcnt(0)
	s_barrier
	s_and_saveexec_b64 s[38:39], s[4:5]
	s_cbranch_execz .LBB1847_440
; %bb.439:                              ;   in Loop: Header=BB1847_394 Depth=2
	ds_read_b32 v105, v25
	s_waitcnt lgkmcnt(0)
	v_sub_u32_e32 v101, v105, v101
	ds_write_b32 v25, v101
.LBB1847_440:                           ;   in Loop: Header=BB1847_394 Depth=2
	s_or_b64 exec, exec, s[38:39]
	v_add_u32_e32 v108, v21, v98
	v_add3_u32 v105, v102, v100, v22
	v_lshlrev_b32_e32 v21, 1, v108
	v_add3_u32 v102, v106, v104, v23
	ds_write_b16 v21, v97 offset:1024
	v_lshlrev_b32_e32 v21, 1, v105
	v_add3_u32 v101, v111, v109, v24
	ds_write_b16 v21, v99 offset:1024
	v_lshlrev_b32_e32 v21, 1, v102
	v_add3_u32 v100, v115, v113, v110
	ds_write_b16 v21, v103 offset:1024
	v_lshlrev_b32_e32 v21, 1, v101
	v_add3_u32 v98, v119, v117, v114
	ds_write_b16 v21, v107 offset:1024
	v_lshlrev_b32_e32 v21, 1, v100
	v_add3_u32 v24, v122, v121, v118
	ds_write_b16 v21, v112 offset:1024
	v_lshlrev_b32_e32 v21, 1, v98
	v_add3_u32 v23, v126, v124, v125
	ds_write_b16 v21, v116 offset:1024
	v_lshlrev_b32_e32 v21, 1, v24
	ds_write_b16 v21, v120 offset:1024
	v_lshlrev_b32_e32 v21, 1, v23
	v_cmp_lt_u32_e32 vcc, v0, v96
	ds_write_b16 v21, v123 offset:1024
	s_waitcnt lgkmcnt(0)
	s_barrier
	s_and_saveexec_b64 s[40:41], vcc
	s_cbranch_execnz .LBB1847_477
; %bb.441:                              ;   in Loop: Header=BB1847_394 Depth=2
	s_or_b64 exec, exec, s[40:41]
	v_cmp_lt_u32_e64 s[38:39], v26, v96
	s_and_saveexec_b64 s[42:43], s[38:39]
	s_cbranch_execnz .LBB1847_478
.LBB1847_442:                           ;   in Loop: Header=BB1847_394 Depth=2
	s_or_b64 exec, exec, s[42:43]
	v_cmp_lt_u32_e64 s[40:41], v27, v96
	s_and_saveexec_b64 s[44:45], s[40:41]
	s_cbranch_execnz .LBB1847_479
.LBB1847_443:                           ;   in Loop: Header=BB1847_394 Depth=2
	s_or_b64 exec, exec, s[44:45]
	v_cmp_lt_u32_e64 s[42:43], v28, v96
	s_and_saveexec_b64 s[46:47], s[42:43]
	s_cbranch_execnz .LBB1847_480
.LBB1847_444:                           ;   in Loop: Header=BB1847_394 Depth=2
	s_or_b64 exec, exec, s[46:47]
	v_cmp_lt_u32_e64 s[44:45], v31, v96
	s_and_saveexec_b64 s[48:49], s[44:45]
	s_cbranch_execnz .LBB1847_481
.LBB1847_445:                           ;   in Loop: Header=BB1847_394 Depth=2
	s_or_b64 exec, exec, s[48:49]
	v_cmp_lt_u32_e64 s[46:47], v32, v96
	s_and_saveexec_b64 s[50:51], s[46:47]
	s_cbranch_execnz .LBB1847_482
.LBB1847_446:                           ;   in Loop: Header=BB1847_394 Depth=2
	s_or_b64 exec, exec, s[50:51]
	v_cmp_lt_u32_e64 s[48:49], v33, v96
	s_and_saveexec_b64 s[52:53], s[48:49]
	s_cbranch_execnz .LBB1847_483
.LBB1847_447:                           ;   in Loop: Header=BB1847_394 Depth=2
	s_or_b64 exec, exec, s[52:53]
	v_cmp_lt_u32_e64 s[50:51], v34, v96
	s_and_saveexec_b64 s[60:61], s[50:51]
	s_cbranch_execz .LBB1847_449
.LBB1847_448:                           ;   in Loop: Header=BB1847_394 Depth=2
	ds_read_u16 v21, v47 offset:4608
	v_mov_b32_e32 v22, v3
	v_mov_b32_e32 v99, s67
	s_waitcnt lgkmcnt(0)
	v_cmp_ne_u16_e64 s[52:53], s7, v21
	v_cndmask_b32_e64 v97, v65, v21, s[52:53]
	v_lshrrev_b32_sdwa v97, s77, v97 dst_sel:DWORD dst_unused:UNUSED_PAD src0_sel:DWORD src1_sel:WORD_0
	v_and_b32_e32 v97, s63, v97
	v_lshlrev_b32_e32 v97, 2, v97
	ds_read_b32 v97, v97
	v_cmp_lt_i16_e64 s[52:53], -1, v21
	v_cndmask_b32_e64 v103, v65, -1, s[52:53]
	v_xor_b32_e32 v103, v103, v21
	s_waitcnt lgkmcnt(0)
	v_add_u32_e32 v21, v97, v34
	v_lshlrev_b64 v[21:22], 1, v[21:22]
	v_add_co_u32_e64 v21, s[52:53], s66, v21
	v_addc_co_u32_e64 v22, s[52:53], v99, v22, s[52:53]
	global_store_short v[21:22], v103, off
.LBB1847_449:                           ;   in Loop: Header=BB1847_394 Depth=2
	s_or_b64 exec, exec, s[60:61]
	s_lshl_b64 s[52:53], s[58:59], 3
	v_mov_b32_e32 v22, s53
	v_add_co_u32_e64 v21, s[52:53], s52, v83
	v_addc_co_u32_e64 v22, s[52:53], v84, v22, s[52:53]
	v_cmp_lt_u32_e64 s[52:53], v73, v96
	s_and_saveexec_b64 s[60:61], s[52:53]
	s_xor_b64 s[52:53], exec, s[60:61]
	s_cbranch_execnz .LBB1847_484
; %bb.450:                              ;   in Loop: Header=BB1847_394 Depth=2
	s_or_b64 exec, exec, s[52:53]
	v_cmp_lt_u32_e64 s[52:53], v74, v96
	s_and_saveexec_b64 s[60:61], s[52:53]
	s_cbranch_execnz .LBB1847_485
.LBB1847_451:                           ;   in Loop: Header=BB1847_394 Depth=2
	s_or_b64 exec, exec, s[60:61]
	v_cmp_lt_u32_e64 s[52:53], v75, v96
	s_and_saveexec_b64 s[60:61], s[52:53]
	s_cbranch_execnz .LBB1847_486
.LBB1847_452:                           ;   in Loop: Header=BB1847_394 Depth=2
	s_or_b64 exec, exec, s[60:61]
	v_cmp_lt_u32_e64 s[52:53], v76, v96
	s_and_saveexec_b64 s[60:61], s[52:53]
	s_cbranch_execnz .LBB1847_487
.LBB1847_453:                           ;   in Loop: Header=BB1847_394 Depth=2
	s_or_b64 exec, exec, s[60:61]
	v_cmp_lt_u32_e64 s[52:53], v77, v96
	s_and_saveexec_b64 s[60:61], s[52:53]
	s_cbranch_execnz .LBB1847_488
.LBB1847_454:                           ;   in Loop: Header=BB1847_394 Depth=2
	s_or_b64 exec, exec, s[60:61]
	v_cmp_lt_u32_e64 s[52:53], v78, v96
	s_and_saveexec_b64 s[60:61], s[52:53]
	s_cbranch_execnz .LBB1847_489
.LBB1847_455:                           ;   in Loop: Header=BB1847_394 Depth=2
	s_or_b64 exec, exec, s[60:61]
	v_cmp_lt_u32_e64 s[52:53], v79, v96
	s_and_saveexec_b64 s[60:61], s[52:53]
	s_cbranch_execnz .LBB1847_490
.LBB1847_456:                           ;   in Loop: Header=BB1847_394 Depth=2
	s_or_b64 exec, exec, s[60:61]
	v_cmp_lt_u32_e64 s[52:53], v80, v96
	s_and_saveexec_b64 s[60:61], s[52:53]
	s_cbranch_execnz .LBB1847_491
.LBB1847_457:                           ;   in Loop: Header=BB1847_394 Depth=2
	s_or_b64 exec, exec, s[60:61]
	s_and_saveexec_b64 s[60:61], vcc
	s_cbranch_execnz .LBB1847_492
.LBB1847_458:                           ;   in Loop: Header=BB1847_394 Depth=2
	s_or_b64 exec, exec, s[60:61]
	s_and_saveexec_b64 s[60:61], s[38:39]
	s_cbranch_execnz .LBB1847_493
.LBB1847_459:                           ;   in Loop: Header=BB1847_394 Depth=2
	s_or_b64 exec, exec, s[60:61]
	s_and_saveexec_b64 s[60:61], s[40:41]
	s_cbranch_execnz .LBB1847_494
.LBB1847_460:                           ;   in Loop: Header=BB1847_394 Depth=2
	s_or_b64 exec, exec, s[60:61]
	s_and_saveexec_b64 s[60:61], s[42:43]
	s_cbranch_execnz .LBB1847_495
.LBB1847_461:                           ;   in Loop: Header=BB1847_394 Depth=2
	s_or_b64 exec, exec, s[60:61]
	s_and_saveexec_b64 s[60:61], s[44:45]
	s_cbranch_execnz .LBB1847_496
.LBB1847_462:                           ;   in Loop: Header=BB1847_394 Depth=2
	s_or_b64 exec, exec, s[60:61]
	s_and_saveexec_b64 s[60:61], s[46:47]
	s_cbranch_execnz .LBB1847_497
.LBB1847_463:                           ;   in Loop: Header=BB1847_394 Depth=2
	s_or_b64 exec, exec, s[60:61]
	s_and_saveexec_b64 s[60:61], s[48:49]
	s_cbranch_execnz .LBB1847_498
.LBB1847_464:                           ;   in Loop: Header=BB1847_394 Depth=2
	s_or_b64 exec, exec, s[60:61]
	s_and_saveexec_b64 s[60:61], s[50:51]
	s_cbranch_execz .LBB1847_466
.LBB1847_465:                           ;   in Loop: Header=BB1847_394 Depth=2
	ds_read_u16 v21, v47 offset:4608
	s_waitcnt lgkmcnt(0)
	v_cmp_ne_u16_e64 s[52:53], s7, v21
	v_cndmask_b32_e64 v21, v65, v21, s[52:53]
	v_lshrrev_b32_sdwa v21, s77, v21 dst_sel:DWORD dst_unused:UNUSED_PAD src0_sel:DWORD src1_sel:WORD_0
	v_and_b32_e32 v87, s63, v21
.LBB1847_466:                           ;   in Loop: Header=BB1847_394 Depth=2
	s_or_b64 exec, exec, s[60:61]
	v_lshlrev_b32_e32 v21, 3, v108
	s_waitcnt vmcnt(0)
	s_barrier
	ds_write_b64 v21, v[19:20] offset:1024
	v_lshlrev_b32_e32 v21, 3, v105
	ds_write_b64 v21, v[17:18] offset:1024
	v_lshlrev_b32_e32 v21, 3, v102
	;; [unrolled: 2-line block ×7, first 2 shown]
	ds_write_b64 v21, v[5:6] offset:1024
	s_waitcnt lgkmcnt(0)
	s_barrier
	s_and_saveexec_b64 s[52:53], vcc
	s_cbranch_execnz .LBB1847_499
; %bb.467:                              ;   in Loop: Header=BB1847_394 Depth=2
	s_or_b64 exec, exec, s[52:53]
	s_and_saveexec_b64 s[52:53], s[38:39]
	s_cbranch_execnz .LBB1847_500
.LBB1847_468:                           ;   in Loop: Header=BB1847_394 Depth=2
	s_or_b64 exec, exec, s[52:53]
	s_and_saveexec_b64 s[38:39], s[40:41]
	s_cbranch_execnz .LBB1847_501
.LBB1847_469:                           ;   in Loop: Header=BB1847_394 Depth=2
	s_or_b64 exec, exec, s[38:39]
	s_and_saveexec_b64 s[38:39], s[42:43]
	s_cbranch_execnz .LBB1847_502
.LBB1847_470:                           ;   in Loop: Header=BB1847_394 Depth=2
	s_or_b64 exec, exec, s[38:39]
	s_and_saveexec_b64 s[38:39], s[44:45]
	s_cbranch_execnz .LBB1847_503
.LBB1847_471:                           ;   in Loop: Header=BB1847_394 Depth=2
	s_or_b64 exec, exec, s[38:39]
	s_and_saveexec_b64 s[38:39], s[46:47]
	s_cbranch_execnz .LBB1847_504
.LBB1847_472:                           ;   in Loop: Header=BB1847_394 Depth=2
	s_or_b64 exec, exec, s[38:39]
	s_and_saveexec_b64 s[38:39], s[48:49]
	s_cbranch_execnz .LBB1847_505
.LBB1847_473:                           ;   in Loop: Header=BB1847_394 Depth=2
	s_or_b64 exec, exec, s[38:39]
	s_and_saveexec_b64 s[38:39], s[50:51]
	s_cbranch_execz .LBB1847_475
.LBB1847_474:                           ;   in Loop: Header=BB1847_394 Depth=2
	v_lshlrev_b32_e32 v21, 2, v87
	ds_read_b32 v23, v21
	v_add_u32_e32 v21, v47, v48
	ds_read_b64 v[21:22], v21 offset:15360
	v_mov_b32_e32 v24, v3
	v_mov_b32_e32 v96, s73
	s_waitcnt lgkmcnt(1)
	v_add_u32_e32 v23, v23, v34
	v_lshlrev_b64 v[23:24], 3, v[23:24]
	v_add_co_u32_e32 v23, vcc, s72, v23
	v_addc_co_u32_e32 v24, vcc, v96, v24, vcc
	s_waitcnt lgkmcnt(0)
	global_store_dwordx2 v[23:24], v[21:22], off
.LBB1847_475:                           ;   in Loop: Header=BB1847_394 Depth=2
	s_or_b64 exec, exec, s[38:39]
	s_waitcnt vmcnt(0)
	s_barrier
	s_and_saveexec_b64 s[38:39], s[4:5]
	s_cbranch_execz .LBB1847_393
; %bb.476:                              ;   in Loop: Header=BB1847_394 Depth=2
	ds_read_b32 v21, v25
	s_waitcnt lgkmcnt(0)
	v_add_u32_e32 v4, v21, v4
	ds_write_b32 v25, v4
	s_branch .LBB1847_393
.LBB1847_477:                           ;   in Loop: Header=BB1847_394 Depth=2
	ds_read_u16 v21, v47 offset:1024
	v_mov_b32_e32 v22, v3
	v_mov_b32_e32 v99, s67
	s_waitcnt lgkmcnt(0)
	v_cmp_ne_u16_e64 s[38:39], s7, v21
	v_cndmask_b32_e64 v97, v65, v21, s[38:39]
	v_lshrrev_b32_sdwa v97, s77, v97 dst_sel:DWORD dst_unused:UNUSED_PAD src0_sel:DWORD src1_sel:WORD_0
	v_and_b32_e32 v97, s63, v97
	v_lshlrev_b32_e32 v97, 2, v97
	ds_read_b32 v97, v97
	v_cmp_lt_i16_e64 s[38:39], -1, v21
	v_cndmask_b32_e64 v103, v65, -1, s[38:39]
	v_xor_b32_e32 v103, v103, v21
	s_waitcnt lgkmcnt(0)
	v_add_u32_e32 v21, v97, v0
	v_lshlrev_b64 v[21:22], 1, v[21:22]
	v_add_co_u32_e64 v21, s[38:39], s66, v21
	v_addc_co_u32_e64 v22, s[38:39], v99, v22, s[38:39]
	global_store_short v[21:22], v103, off
	s_or_b64 exec, exec, s[40:41]
	v_cmp_lt_u32_e64 s[38:39], v26, v96
	s_and_saveexec_b64 s[42:43], s[38:39]
	s_cbranch_execz .LBB1847_442
.LBB1847_478:                           ;   in Loop: Header=BB1847_394 Depth=2
	ds_read_u16 v21, v47 offset:1536
	v_mov_b32_e32 v22, v3
	v_mov_b32_e32 v99, s67
	s_waitcnt lgkmcnt(0)
	v_cmp_ne_u16_e64 s[40:41], s7, v21
	v_cndmask_b32_e64 v97, v65, v21, s[40:41]
	v_lshrrev_b32_sdwa v97, s77, v97 dst_sel:DWORD dst_unused:UNUSED_PAD src0_sel:DWORD src1_sel:WORD_0
	v_and_b32_e32 v97, s63, v97
	v_lshlrev_b32_e32 v97, 2, v97
	ds_read_b32 v97, v97
	v_cmp_lt_i16_e64 s[40:41], -1, v21
	v_cndmask_b32_e64 v103, v65, -1, s[40:41]
	v_xor_b32_e32 v103, v103, v21
	s_waitcnt lgkmcnt(0)
	v_add_u32_e32 v21, v97, v26
	v_lshlrev_b64 v[21:22], 1, v[21:22]
	v_add_co_u32_e64 v21, s[40:41], s66, v21
	v_addc_co_u32_e64 v22, s[40:41], v99, v22, s[40:41]
	global_store_short v[21:22], v103, off
	s_or_b64 exec, exec, s[42:43]
	v_cmp_lt_u32_e64 s[40:41], v27, v96
	s_and_saveexec_b64 s[44:45], s[40:41]
	s_cbranch_execz .LBB1847_443
.LBB1847_479:                           ;   in Loop: Header=BB1847_394 Depth=2
	ds_read_u16 v21, v47 offset:2048
	v_mov_b32_e32 v22, v3
	v_mov_b32_e32 v99, s67
	s_waitcnt lgkmcnt(0)
	v_cmp_ne_u16_e64 s[42:43], s7, v21
	v_cndmask_b32_e64 v97, v65, v21, s[42:43]
	v_lshrrev_b32_sdwa v97, s77, v97 dst_sel:DWORD dst_unused:UNUSED_PAD src0_sel:DWORD src1_sel:WORD_0
	v_and_b32_e32 v97, s63, v97
	v_lshlrev_b32_e32 v97, 2, v97
	ds_read_b32 v97, v97
	v_cmp_lt_i16_e64 s[42:43], -1, v21
	v_cndmask_b32_e64 v103, v65, -1, s[42:43]
	v_xor_b32_e32 v103, v103, v21
	s_waitcnt lgkmcnt(0)
	v_add_u32_e32 v21, v97, v27
	v_lshlrev_b64 v[21:22], 1, v[21:22]
	v_add_co_u32_e64 v21, s[42:43], s66, v21
	v_addc_co_u32_e64 v22, s[42:43], v99, v22, s[42:43]
	global_store_short v[21:22], v103, off
	s_or_b64 exec, exec, s[44:45]
	v_cmp_lt_u32_e64 s[42:43], v28, v96
	s_and_saveexec_b64 s[46:47], s[42:43]
	s_cbranch_execz .LBB1847_444
.LBB1847_480:                           ;   in Loop: Header=BB1847_394 Depth=2
	ds_read_u16 v21, v47 offset:2560
	v_mov_b32_e32 v22, v3
	v_mov_b32_e32 v99, s67
	s_waitcnt lgkmcnt(0)
	v_cmp_ne_u16_e64 s[44:45], s7, v21
	v_cndmask_b32_e64 v97, v65, v21, s[44:45]
	v_lshrrev_b32_sdwa v97, s77, v97 dst_sel:DWORD dst_unused:UNUSED_PAD src0_sel:DWORD src1_sel:WORD_0
	v_and_b32_e32 v97, s63, v97
	v_lshlrev_b32_e32 v97, 2, v97
	ds_read_b32 v97, v97
	v_cmp_lt_i16_e64 s[44:45], -1, v21
	v_cndmask_b32_e64 v103, v65, -1, s[44:45]
	v_xor_b32_e32 v103, v103, v21
	s_waitcnt lgkmcnt(0)
	v_add_u32_e32 v21, v97, v28
	v_lshlrev_b64 v[21:22], 1, v[21:22]
	v_add_co_u32_e64 v21, s[44:45], s66, v21
	v_addc_co_u32_e64 v22, s[44:45], v99, v22, s[44:45]
	global_store_short v[21:22], v103, off
	s_or_b64 exec, exec, s[46:47]
	v_cmp_lt_u32_e64 s[44:45], v31, v96
	s_and_saveexec_b64 s[48:49], s[44:45]
	s_cbranch_execz .LBB1847_445
.LBB1847_481:                           ;   in Loop: Header=BB1847_394 Depth=2
	ds_read_u16 v21, v47 offset:3072
	v_mov_b32_e32 v22, v3
	v_mov_b32_e32 v99, s67
	s_waitcnt lgkmcnt(0)
	v_cmp_ne_u16_e64 s[46:47], s7, v21
	v_cndmask_b32_e64 v97, v65, v21, s[46:47]
	v_lshrrev_b32_sdwa v97, s77, v97 dst_sel:DWORD dst_unused:UNUSED_PAD src0_sel:DWORD src1_sel:WORD_0
	v_and_b32_e32 v97, s63, v97
	v_lshlrev_b32_e32 v97, 2, v97
	ds_read_b32 v97, v97
	v_cmp_lt_i16_e64 s[46:47], -1, v21
	v_cndmask_b32_e64 v103, v65, -1, s[46:47]
	v_xor_b32_e32 v103, v103, v21
	s_waitcnt lgkmcnt(0)
	v_add_u32_e32 v21, v97, v31
	v_lshlrev_b64 v[21:22], 1, v[21:22]
	v_add_co_u32_e64 v21, s[46:47], s66, v21
	v_addc_co_u32_e64 v22, s[46:47], v99, v22, s[46:47]
	global_store_short v[21:22], v103, off
	s_or_b64 exec, exec, s[48:49]
	v_cmp_lt_u32_e64 s[46:47], v32, v96
	s_and_saveexec_b64 s[50:51], s[46:47]
	s_cbranch_execz .LBB1847_446
.LBB1847_482:                           ;   in Loop: Header=BB1847_394 Depth=2
	ds_read_u16 v21, v47 offset:3584
	v_mov_b32_e32 v22, v3
	v_mov_b32_e32 v99, s67
	s_waitcnt lgkmcnt(0)
	v_cmp_ne_u16_e64 s[48:49], s7, v21
	v_cndmask_b32_e64 v97, v65, v21, s[48:49]
	v_lshrrev_b32_sdwa v97, s77, v97 dst_sel:DWORD dst_unused:UNUSED_PAD src0_sel:DWORD src1_sel:WORD_0
	v_and_b32_e32 v97, s63, v97
	v_lshlrev_b32_e32 v97, 2, v97
	ds_read_b32 v97, v97
	v_cmp_lt_i16_e64 s[48:49], -1, v21
	v_cndmask_b32_e64 v103, v65, -1, s[48:49]
	v_xor_b32_e32 v103, v103, v21
	s_waitcnt lgkmcnt(0)
	v_add_u32_e32 v21, v97, v32
	v_lshlrev_b64 v[21:22], 1, v[21:22]
	v_add_co_u32_e64 v21, s[48:49], s66, v21
	v_addc_co_u32_e64 v22, s[48:49], v99, v22, s[48:49]
	global_store_short v[21:22], v103, off
	s_or_b64 exec, exec, s[50:51]
	v_cmp_lt_u32_e64 s[48:49], v33, v96
	s_and_saveexec_b64 s[52:53], s[48:49]
	s_cbranch_execz .LBB1847_447
.LBB1847_483:                           ;   in Loop: Header=BB1847_394 Depth=2
	ds_read_u16 v21, v47 offset:4096
	v_mov_b32_e32 v22, v3
	v_mov_b32_e32 v99, s67
	s_waitcnt lgkmcnt(0)
	v_cmp_ne_u16_e64 s[50:51], s7, v21
	v_cndmask_b32_e64 v97, v65, v21, s[50:51]
	v_lshrrev_b32_sdwa v97, s77, v97 dst_sel:DWORD dst_unused:UNUSED_PAD src0_sel:DWORD src1_sel:WORD_0
	v_and_b32_e32 v97, s63, v97
	v_lshlrev_b32_e32 v97, 2, v97
	ds_read_b32 v97, v97
	v_cmp_lt_i16_e64 s[50:51], -1, v21
	v_cndmask_b32_e64 v103, v65, -1, s[50:51]
	v_xor_b32_e32 v103, v103, v21
	s_waitcnt lgkmcnt(0)
	v_add_u32_e32 v21, v97, v33
	v_lshlrev_b64 v[21:22], 1, v[21:22]
	v_add_co_u32_e64 v21, s[50:51], s66, v21
	v_addc_co_u32_e64 v22, s[50:51], v99, v22, s[50:51]
	global_store_short v[21:22], v103, off
	s_or_b64 exec, exec, s[52:53]
	v_cmp_lt_u32_e64 s[50:51], v34, v96
	s_and_saveexec_b64 s[60:61], s[50:51]
	s_cbranch_execnz .LBB1847_448
	s_branch .LBB1847_449
.LBB1847_484:                           ;   in Loop: Header=BB1847_394 Depth=2
	global_load_dwordx2 v[19:20], v[21:22], off
	s_or_b64 exec, exec, s[52:53]
	v_cmp_lt_u32_e64 s[52:53], v74, v96
	s_and_saveexec_b64 s[60:61], s[52:53]
	s_cbranch_execz .LBB1847_451
.LBB1847_485:                           ;   in Loop: Header=BB1847_394 Depth=2
	global_load_dwordx2 v[17:18], v[21:22], off offset:512
	s_or_b64 exec, exec, s[60:61]
	v_cmp_lt_u32_e64 s[52:53], v75, v96
	s_and_saveexec_b64 s[60:61], s[52:53]
	s_cbranch_execz .LBB1847_452
.LBB1847_486:                           ;   in Loop: Header=BB1847_394 Depth=2
	global_load_dwordx2 v[15:16], v[21:22], off offset:1024
	s_or_b64 exec, exec, s[60:61]
	v_cmp_lt_u32_e64 s[52:53], v76, v96
	s_and_saveexec_b64 s[60:61], s[52:53]
	s_cbranch_execz .LBB1847_453
.LBB1847_487:                           ;   in Loop: Header=BB1847_394 Depth=2
	global_load_dwordx2 v[13:14], v[21:22], off offset:1536
	s_or_b64 exec, exec, s[60:61]
	v_cmp_lt_u32_e64 s[52:53], v77, v96
	s_and_saveexec_b64 s[60:61], s[52:53]
	s_cbranch_execz .LBB1847_454
.LBB1847_488:                           ;   in Loop: Header=BB1847_394 Depth=2
	global_load_dwordx2 v[11:12], v[21:22], off offset:2048
	s_or_b64 exec, exec, s[60:61]
	v_cmp_lt_u32_e64 s[52:53], v78, v96
	s_and_saveexec_b64 s[60:61], s[52:53]
	s_cbranch_execz .LBB1847_455
.LBB1847_489:                           ;   in Loop: Header=BB1847_394 Depth=2
	global_load_dwordx2 v[9:10], v[21:22], off offset:2560
	s_or_b64 exec, exec, s[60:61]
	v_cmp_lt_u32_e64 s[52:53], v79, v96
	s_and_saveexec_b64 s[60:61], s[52:53]
	s_cbranch_execz .LBB1847_456
.LBB1847_490:                           ;   in Loop: Header=BB1847_394 Depth=2
	global_load_dwordx2 v[7:8], v[21:22], off offset:3072
	s_or_b64 exec, exec, s[60:61]
	v_cmp_lt_u32_e64 s[52:53], v80, v96
	s_and_saveexec_b64 s[60:61], s[52:53]
	s_cbranch_execz .LBB1847_457
.LBB1847_491:                           ;   in Loop: Header=BB1847_394 Depth=2
	global_load_dwordx2 v[5:6], v[21:22], off offset:3584
	s_or_b64 exec, exec, s[60:61]
	s_and_saveexec_b64 s[60:61], vcc
	s_cbranch_execz .LBB1847_458
.LBB1847_492:                           ;   in Loop: Header=BB1847_394 Depth=2
	ds_read_u16 v21, v47 offset:1024
	s_waitcnt lgkmcnt(0)
	v_cmp_ne_u16_e64 s[52:53], s7, v21
	v_cndmask_b32_e64 v21, v65, v21, s[52:53]
	v_lshrrev_b32_sdwa v21, s77, v21 dst_sel:DWORD dst_unused:UNUSED_PAD src0_sel:DWORD src1_sel:WORD_0
	v_and_b32_e32 v95, s63, v21
	s_or_b64 exec, exec, s[60:61]
	s_and_saveexec_b64 s[60:61], s[38:39]
	s_cbranch_execz .LBB1847_459
.LBB1847_493:                           ;   in Loop: Header=BB1847_394 Depth=2
	ds_read_u16 v21, v47 offset:1536
	s_waitcnt lgkmcnt(0)
	v_cmp_ne_u16_e64 s[52:53], s7, v21
	v_cndmask_b32_e64 v21, v65, v21, s[52:53]
	v_lshrrev_b32_sdwa v21, s77, v21 dst_sel:DWORD dst_unused:UNUSED_PAD src0_sel:DWORD src1_sel:WORD_0
	v_and_b32_e32 v94, s63, v21
	s_or_b64 exec, exec, s[60:61]
	s_and_saveexec_b64 s[60:61], s[40:41]
	s_cbranch_execz .LBB1847_460
.LBB1847_494:                           ;   in Loop: Header=BB1847_394 Depth=2
	ds_read_u16 v21, v47 offset:2048
	s_waitcnt lgkmcnt(0)
	v_cmp_ne_u16_e64 s[52:53], s7, v21
	v_cndmask_b32_e64 v21, v65, v21, s[52:53]
	v_lshrrev_b32_sdwa v21, s77, v21 dst_sel:DWORD dst_unused:UNUSED_PAD src0_sel:DWORD src1_sel:WORD_0
	v_and_b32_e32 v93, s63, v21
	s_or_b64 exec, exec, s[60:61]
	s_and_saveexec_b64 s[60:61], s[42:43]
	s_cbranch_execz .LBB1847_461
.LBB1847_495:                           ;   in Loop: Header=BB1847_394 Depth=2
	ds_read_u16 v21, v47 offset:2560
	s_waitcnt lgkmcnt(0)
	v_cmp_ne_u16_e64 s[52:53], s7, v21
	v_cndmask_b32_e64 v21, v65, v21, s[52:53]
	v_lshrrev_b32_sdwa v21, s77, v21 dst_sel:DWORD dst_unused:UNUSED_PAD src0_sel:DWORD src1_sel:WORD_0
	v_and_b32_e32 v92, s63, v21
	s_or_b64 exec, exec, s[60:61]
	s_and_saveexec_b64 s[60:61], s[44:45]
	s_cbranch_execz .LBB1847_462
.LBB1847_496:                           ;   in Loop: Header=BB1847_394 Depth=2
	ds_read_u16 v21, v47 offset:3072
	s_waitcnt lgkmcnt(0)
	v_cmp_ne_u16_e64 s[52:53], s7, v21
	v_cndmask_b32_e64 v21, v65, v21, s[52:53]
	v_lshrrev_b32_sdwa v21, s77, v21 dst_sel:DWORD dst_unused:UNUSED_PAD src0_sel:DWORD src1_sel:WORD_0
	v_and_b32_e32 v90, s63, v21
	s_or_b64 exec, exec, s[60:61]
	s_and_saveexec_b64 s[60:61], s[46:47]
	s_cbranch_execz .LBB1847_463
.LBB1847_497:                           ;   in Loop: Header=BB1847_394 Depth=2
	ds_read_u16 v21, v47 offset:3584
	s_waitcnt lgkmcnt(0)
	v_cmp_ne_u16_e64 s[52:53], s7, v21
	v_cndmask_b32_e64 v21, v65, v21, s[52:53]
	v_lshrrev_b32_sdwa v21, s77, v21 dst_sel:DWORD dst_unused:UNUSED_PAD src0_sel:DWORD src1_sel:WORD_0
	v_and_b32_e32 v89, s63, v21
	s_or_b64 exec, exec, s[60:61]
	s_and_saveexec_b64 s[60:61], s[48:49]
	s_cbranch_execz .LBB1847_464
.LBB1847_498:                           ;   in Loop: Header=BB1847_394 Depth=2
	ds_read_u16 v21, v47 offset:4096
	s_waitcnt lgkmcnt(0)
	v_cmp_ne_u16_e64 s[52:53], s7, v21
	v_cndmask_b32_e64 v21, v65, v21, s[52:53]
	v_lshrrev_b32_sdwa v21, s77, v21 dst_sel:DWORD dst_unused:UNUSED_PAD src0_sel:DWORD src1_sel:WORD_0
	v_and_b32_e32 v88, s63, v21
	s_or_b64 exec, exec, s[60:61]
	s_and_saveexec_b64 s[60:61], s[50:51]
	s_cbranch_execnz .LBB1847_465
	s_branch .LBB1847_466
.LBB1847_499:                           ;   in Loop: Header=BB1847_394 Depth=2
	v_lshlrev_b32_e32 v21, 2, v95
	ds_read_b32 v23, v21
	v_add_u32_e32 v21, v47, v48
	ds_read_b64 v[21:22], v21 offset:1024
	v_mov_b32_e32 v24, v3
	v_mov_b32_e32 v96, s73
	s_waitcnt lgkmcnt(1)
	v_add_u32_e32 v23, v23, v0
	v_lshlrev_b64 v[23:24], 3, v[23:24]
	v_add_co_u32_e32 v23, vcc, s72, v23
	v_addc_co_u32_e32 v24, vcc, v96, v24, vcc
	s_waitcnt lgkmcnt(0)
	global_store_dwordx2 v[23:24], v[21:22], off
	s_or_b64 exec, exec, s[52:53]
	s_and_saveexec_b64 s[52:53], s[38:39]
	s_cbranch_execz .LBB1847_468
.LBB1847_500:                           ;   in Loop: Header=BB1847_394 Depth=2
	v_lshlrev_b32_e32 v21, 2, v94
	ds_read_b32 v23, v21
	v_add_u32_e32 v21, v47, v48
	ds_read_b64 v[21:22], v21 offset:3072
	v_mov_b32_e32 v24, v3
	v_mov_b32_e32 v96, s73
	s_waitcnt lgkmcnt(1)
	v_add_u32_e32 v23, v23, v26
	v_lshlrev_b64 v[23:24], 3, v[23:24]
	v_add_co_u32_e32 v23, vcc, s72, v23
	v_addc_co_u32_e32 v24, vcc, v96, v24, vcc
	s_waitcnt lgkmcnt(0)
	global_store_dwordx2 v[23:24], v[21:22], off
	s_or_b64 exec, exec, s[52:53]
	s_and_saveexec_b64 s[38:39], s[40:41]
	s_cbranch_execz .LBB1847_469
.LBB1847_501:                           ;   in Loop: Header=BB1847_394 Depth=2
	v_lshlrev_b32_e32 v21, 2, v93
	ds_read_b32 v23, v21
	v_add_u32_e32 v21, v47, v48
	ds_read_b64 v[21:22], v21 offset:5120
	v_mov_b32_e32 v24, v3
	v_mov_b32_e32 v96, s73
	s_waitcnt lgkmcnt(1)
	v_add_u32_e32 v23, v23, v27
	v_lshlrev_b64 v[23:24], 3, v[23:24]
	v_add_co_u32_e32 v23, vcc, s72, v23
	v_addc_co_u32_e32 v24, vcc, v96, v24, vcc
	s_waitcnt lgkmcnt(0)
	global_store_dwordx2 v[23:24], v[21:22], off
	s_or_b64 exec, exec, s[38:39]
	s_and_saveexec_b64 s[38:39], s[42:43]
	s_cbranch_execz .LBB1847_470
.LBB1847_502:                           ;   in Loop: Header=BB1847_394 Depth=2
	v_lshlrev_b32_e32 v21, 2, v92
	ds_read_b32 v23, v21
	v_add_u32_e32 v21, v47, v48
	ds_read_b64 v[21:22], v21 offset:7168
	v_mov_b32_e32 v24, v3
	v_mov_b32_e32 v96, s73
	s_waitcnt lgkmcnt(1)
	v_add_u32_e32 v23, v23, v28
	v_lshlrev_b64 v[23:24], 3, v[23:24]
	v_add_co_u32_e32 v23, vcc, s72, v23
	v_addc_co_u32_e32 v24, vcc, v96, v24, vcc
	s_waitcnt lgkmcnt(0)
	global_store_dwordx2 v[23:24], v[21:22], off
	s_or_b64 exec, exec, s[38:39]
	s_and_saveexec_b64 s[38:39], s[44:45]
	s_cbranch_execz .LBB1847_471
.LBB1847_503:                           ;   in Loop: Header=BB1847_394 Depth=2
	v_lshlrev_b32_e32 v21, 2, v90
	ds_read_b32 v23, v21
	v_add_u32_e32 v21, v47, v48
	ds_read_b64 v[21:22], v21 offset:9216
	v_mov_b32_e32 v24, v3
	v_mov_b32_e32 v96, s73
	s_waitcnt lgkmcnt(1)
	v_add_u32_e32 v23, v23, v31
	v_lshlrev_b64 v[23:24], 3, v[23:24]
	v_add_co_u32_e32 v23, vcc, s72, v23
	v_addc_co_u32_e32 v24, vcc, v96, v24, vcc
	s_waitcnt lgkmcnt(0)
	global_store_dwordx2 v[23:24], v[21:22], off
	s_or_b64 exec, exec, s[38:39]
	s_and_saveexec_b64 s[38:39], s[46:47]
	s_cbranch_execz .LBB1847_472
.LBB1847_504:                           ;   in Loop: Header=BB1847_394 Depth=2
	v_lshlrev_b32_e32 v21, 2, v89
	ds_read_b32 v23, v21
	v_add_u32_e32 v21, v47, v48
	ds_read_b64 v[21:22], v21 offset:11264
	v_mov_b32_e32 v24, v3
	v_mov_b32_e32 v96, s73
	s_waitcnt lgkmcnt(1)
	v_add_u32_e32 v23, v23, v32
	v_lshlrev_b64 v[23:24], 3, v[23:24]
	v_add_co_u32_e32 v23, vcc, s72, v23
	v_addc_co_u32_e32 v24, vcc, v96, v24, vcc
	s_waitcnt lgkmcnt(0)
	global_store_dwordx2 v[23:24], v[21:22], off
	s_or_b64 exec, exec, s[38:39]
	s_and_saveexec_b64 s[38:39], s[48:49]
	s_cbranch_execz .LBB1847_473
.LBB1847_505:                           ;   in Loop: Header=BB1847_394 Depth=2
	v_lshlrev_b32_e32 v21, 2, v88
	ds_read_b32 v23, v21
	v_add_u32_e32 v21, v47, v48
	ds_read_b64 v[21:22], v21 offset:13312
	v_mov_b32_e32 v24, v3
	v_mov_b32_e32 v96, s73
	s_waitcnt lgkmcnt(1)
	v_add_u32_e32 v23, v23, v33
	v_lshlrev_b64 v[23:24], 3, v[23:24]
	v_add_co_u32_e32 v23, vcc, s72, v23
	v_addc_co_u32_e32 v24, vcc, v96, v24, vcc
	s_waitcnt lgkmcnt(0)
	global_store_dwordx2 v[23:24], v[21:22], off
	s_or_b64 exec, exec, s[38:39]
	s_and_saveexec_b64 s[38:39], s[50:51]
	s_cbranch_execnz .LBB1847_474
	s_branch .LBB1847_475
.LBB1847_506:                           ;   in Loop: Header=BB1847_12 Depth=1
	s_waitcnt lgkmcnt(0)
	s_barrier
	s_mov_b64 s[18:19], 0
.LBB1847_507:                           ;   in Loop: Header=BB1847_12 Depth=1
	s_and_b64 vcc, exec, s[18:19]
	s_cbranch_vccz .LBB1847_11
; %bb.508:                              ;   in Loop: Header=BB1847_12 Depth=1
	s_mov_b32 s22, s79
	s_mov_b32 s58, s80
	s_barrier
                                        ; implicit-def: $vgpr4
                                        ; implicit-def: $vgpr5
                                        ; implicit-def: $vgpr6
                                        ; implicit-def: $vgpr7
                                        ; implicit-def: $vgpr8
                                        ; implicit-def: $vgpr9
                                        ; implicit-def: $vgpr10
                                        ; implicit-def: $vgpr11
	s_branch .LBB1847_510
.LBB1847_509:                           ;   in Loop: Header=BB1847_510 Depth=2
	s_or_b64 exec, exec, s[18:19]
	s_addk_i32 s22, 0xf800
	s_cmp_ge_u32 s23, s81
	s_mov_b32 s58, s23
	s_cbranch_scc1 .LBB1847_546
.LBB1847_510:                           ;   Parent Loop BB1847_12 Depth=1
                                        ; =>  This Inner Loop Header: Depth=2
	s_add_i32 s23, s58, 0x800
	s_cmp_gt_u32 s23, s81
	s_mov_b64 s[18:19], -1
                                        ; implicit-def: $vgpr12
                                        ; implicit-def: $vgpr13
                                        ; implicit-def: $vgpr14
                                        ; implicit-def: $vgpr15
                                        ; implicit-def: $vgpr16
                                        ; implicit-def: $vgpr17
                                        ; implicit-def: $vgpr18
                                        ; implicit-def: $vgpr19
	s_cbranch_scc1 .LBB1847_512
; %bb.511:                              ;   in Loop: Header=BB1847_510 Depth=2
	s_lshl_b64 s[18:19], s[58:59], 1
	v_mov_b32_e32 v12, s19
	v_add_co_u32_e32 v20, vcc, s18, v55
	v_addc_co_u32_e32 v21, vcc, v56, v12, vcc
	global_load_ushort v12, v[20:21], off
	global_load_ushort v13, v[20:21], off offset:512
	global_load_ushort v14, v[20:21], off offset:1024
	;; [unrolled: 1-line block ×7, first 2 shown]
	s_mov_b64 s[18:19], 0
.LBB1847_512:                           ;   in Loop: Header=BB1847_510 Depth=2
	s_andn2_b64 vcc, exec, s[18:19]
	s_movk_i32 s20, 0x800
	s_cbranch_vccnz .LBB1847_523
; %bb.513:                              ;   in Loop: Header=BB1847_510 Depth=2
	s_lshl_b64 s[18:19], s[58:59], 1
	s_add_u32 s18, s64, s18
	s_addc_u32 s19, s65, s19
	v_cmp_gt_u32_e32 vcc, s22, v0
	s_and_saveexec_b64 s[20:21], vcc
	s_cbranch_execnz .LBB1847_539
; %bb.514:                              ;   in Loop: Header=BB1847_510 Depth=2
	s_or_b64 exec, exec, s[20:21]
	v_cmp_gt_u32_e32 vcc, s22, v26
	s_and_saveexec_b64 s[20:21], vcc
	s_cbranch_execnz .LBB1847_540
.LBB1847_515:                           ;   in Loop: Header=BB1847_510 Depth=2
	s_or_b64 exec, exec, s[20:21]
	v_cmp_gt_u32_e32 vcc, s22, v27
	s_and_saveexec_b64 s[20:21], vcc
	s_cbranch_execnz .LBB1847_541
.LBB1847_516:                           ;   in Loop: Header=BB1847_510 Depth=2
	s_or_b64 exec, exec, s[20:21]
	v_cmp_gt_u32_e32 vcc, s22, v28
	s_and_saveexec_b64 s[20:21], vcc
	s_cbranch_execnz .LBB1847_542
.LBB1847_517:                           ;   in Loop: Header=BB1847_510 Depth=2
	s_or_b64 exec, exec, s[20:21]
	v_cmp_gt_u32_e32 vcc, s22, v31
	s_and_saveexec_b64 s[20:21], vcc
	s_cbranch_execnz .LBB1847_543
.LBB1847_518:                           ;   in Loop: Header=BB1847_510 Depth=2
	s_or_b64 exec, exec, s[20:21]
	v_cmp_gt_u32_e32 vcc, s22, v32
	s_and_saveexec_b64 s[20:21], vcc
	s_cbranch_execnz .LBB1847_544
.LBB1847_519:                           ;   in Loop: Header=BB1847_510 Depth=2
	s_or_b64 exec, exec, s[20:21]
	v_cmp_gt_u32_e32 vcc, s22, v33
	s_and_saveexec_b64 s[20:21], vcc
	s_cbranch_execnz .LBB1847_545
.LBB1847_520:                           ;   in Loop: Header=BB1847_510 Depth=2
	s_or_b64 exec, exec, s[20:21]
	v_cmp_gt_u32_e32 vcc, s22, v34
	s_and_saveexec_b64 s[20:21], vcc
	s_cbranch_execz .LBB1847_522
.LBB1847_521:                           ;   in Loop: Header=BB1847_510 Depth=2
	global_load_ushort v4, v64, s[18:19] offset:3584
.LBB1847_522:                           ;   in Loop: Header=BB1847_510 Depth=2
	s_or_b64 exec, exec, s[20:21]
	s_mov_b32 s20, s22
	s_waitcnt vmcnt(0)
	v_mov_b32_e32 v12, v11
	v_mov_b32_e32 v13, v10
	;; [unrolled: 1-line block ×8, first 2 shown]
.LBB1847_523:                           ;   in Loop: Header=BB1847_510 Depth=2
	s_waitcnt vmcnt(0)
	v_mov_b32_e32 v4, v19
	v_mov_b32_e32 v5, v18
	;; [unrolled: 1-line block ×8, first 2 shown]
	v_cmp_gt_u32_e32 vcc, s20, v0
	s_and_saveexec_b64 s[18:19], vcc
	s_cbranch_execnz .LBB1847_531
; %bb.524:                              ;   in Loop: Header=BB1847_510 Depth=2
	s_or_b64 exec, exec, s[18:19]
	v_cmp_gt_u32_e32 vcc, s20, v26
	s_and_saveexec_b64 s[18:19], vcc
	s_cbranch_execnz .LBB1847_532
.LBB1847_525:                           ;   in Loop: Header=BB1847_510 Depth=2
	s_or_b64 exec, exec, s[18:19]
	v_cmp_gt_u32_e32 vcc, s20, v27
	s_and_saveexec_b64 s[18:19], vcc
	s_cbranch_execnz .LBB1847_533
.LBB1847_526:                           ;   in Loop: Header=BB1847_510 Depth=2
	s_or_b64 exec, exec, s[18:19]
	v_cmp_gt_u32_e32 vcc, s20, v28
	s_and_saveexec_b64 s[18:19], vcc
	s_cbranch_execnz .LBB1847_534
.LBB1847_527:                           ;   in Loop: Header=BB1847_510 Depth=2
	s_or_b64 exec, exec, s[18:19]
	v_cmp_gt_u32_e32 vcc, s20, v31
	s_and_saveexec_b64 s[18:19], vcc
	s_cbranch_execnz .LBB1847_535
.LBB1847_528:                           ;   in Loop: Header=BB1847_510 Depth=2
	s_or_b64 exec, exec, s[18:19]
	v_cmp_gt_u32_e32 vcc, s20, v32
	s_and_saveexec_b64 s[18:19], vcc
	s_cbranch_execnz .LBB1847_536
.LBB1847_529:                           ;   in Loop: Header=BB1847_510 Depth=2
	s_or_b64 exec, exec, s[18:19]
	v_cmp_gt_u32_e32 vcc, s20, v33
	s_and_saveexec_b64 s[18:19], vcc
	s_cbranch_execnz .LBB1847_537
.LBB1847_530:                           ;   in Loop: Header=BB1847_510 Depth=2
	s_or_b64 exec, exec, s[18:19]
	v_cmp_gt_u32_e32 vcc, s20, v34
	s_and_saveexec_b64 s[18:19], vcc
	s_cbranch_execz .LBB1847_509
	s_branch .LBB1847_538
.LBB1847_531:                           ;   in Loop: Header=BB1847_510 Depth=2
	v_cmp_lt_i16_e32 vcc, -1, v11
	v_cndmask_b32_e32 v12, -1, v65, vcc
	v_xor_b32_e32 v12, v12, v11
	v_cmp_ne_u16_e32 vcc, s7, v12
	v_cndmask_b32_e32 v12, v65, v12, vcc
	v_lshrrev_b32_sdwa v12, s77, v12 dst_sel:DWORD dst_unused:UNUSED_PAD src0_sel:DWORD src1_sel:WORD_0
	v_and_b32_e32 v12, s63, v12
	v_lshl_or_b32 v12, v12, 4, v35
	ds_add_u32 v12, v61
	s_or_b64 exec, exec, s[18:19]
	v_cmp_gt_u32_e32 vcc, s20, v26
	s_and_saveexec_b64 s[18:19], vcc
	s_cbranch_execz .LBB1847_525
.LBB1847_532:                           ;   in Loop: Header=BB1847_510 Depth=2
	v_cmp_lt_i16_e32 vcc, -1, v10
	v_cndmask_b32_e32 v12, -1, v65, vcc
	v_xor_b32_e32 v12, v12, v10
	v_cmp_ne_u16_e32 vcc, s7, v12
	v_cndmask_b32_e32 v12, v65, v12, vcc
	v_lshrrev_b32_sdwa v12, s77, v12 dst_sel:DWORD dst_unused:UNUSED_PAD src0_sel:DWORD src1_sel:WORD_0
	v_and_b32_e32 v12, s63, v12
	v_lshl_or_b32 v12, v12, 4, v35
	ds_add_u32 v12, v61
	s_or_b64 exec, exec, s[18:19]
	v_cmp_gt_u32_e32 vcc, s20, v27
	s_and_saveexec_b64 s[18:19], vcc
	s_cbranch_execz .LBB1847_526
.LBB1847_533:                           ;   in Loop: Header=BB1847_510 Depth=2
	v_cmp_lt_i16_e32 vcc, -1, v9
	v_cndmask_b32_e32 v12, -1, v65, vcc
	v_xor_b32_e32 v12, v12, v9
	v_cmp_ne_u16_e32 vcc, s7, v12
	v_cndmask_b32_e32 v12, v65, v12, vcc
	v_lshrrev_b32_sdwa v12, s77, v12 dst_sel:DWORD dst_unused:UNUSED_PAD src0_sel:DWORD src1_sel:WORD_0
	v_and_b32_e32 v12, s63, v12
	v_lshl_or_b32 v12, v12, 4, v35
	ds_add_u32 v12, v61
	s_or_b64 exec, exec, s[18:19]
	v_cmp_gt_u32_e32 vcc, s20, v28
	s_and_saveexec_b64 s[18:19], vcc
	s_cbranch_execz .LBB1847_527
.LBB1847_534:                           ;   in Loop: Header=BB1847_510 Depth=2
	v_cmp_lt_i16_e32 vcc, -1, v8
	v_cndmask_b32_e32 v12, -1, v65, vcc
	v_xor_b32_e32 v12, v12, v8
	v_cmp_ne_u16_e32 vcc, s7, v12
	v_cndmask_b32_e32 v12, v65, v12, vcc
	v_lshrrev_b32_sdwa v12, s77, v12 dst_sel:DWORD dst_unused:UNUSED_PAD src0_sel:DWORD src1_sel:WORD_0
	v_and_b32_e32 v12, s63, v12
	v_lshl_or_b32 v12, v12, 4, v35
	ds_add_u32 v12, v61
	s_or_b64 exec, exec, s[18:19]
	v_cmp_gt_u32_e32 vcc, s20, v31
	s_and_saveexec_b64 s[18:19], vcc
	s_cbranch_execz .LBB1847_528
.LBB1847_535:                           ;   in Loop: Header=BB1847_510 Depth=2
	v_cmp_lt_i16_e32 vcc, -1, v7
	v_cndmask_b32_e32 v12, -1, v65, vcc
	v_xor_b32_e32 v12, v12, v7
	v_cmp_ne_u16_e32 vcc, s7, v12
	v_cndmask_b32_e32 v12, v65, v12, vcc
	v_lshrrev_b32_sdwa v12, s77, v12 dst_sel:DWORD dst_unused:UNUSED_PAD src0_sel:DWORD src1_sel:WORD_0
	v_and_b32_e32 v12, s63, v12
	v_lshl_or_b32 v12, v12, 4, v35
	ds_add_u32 v12, v61
	s_or_b64 exec, exec, s[18:19]
	v_cmp_gt_u32_e32 vcc, s20, v32
	s_and_saveexec_b64 s[18:19], vcc
	s_cbranch_execz .LBB1847_529
.LBB1847_536:                           ;   in Loop: Header=BB1847_510 Depth=2
	v_cmp_lt_i16_e32 vcc, -1, v6
	v_cndmask_b32_e32 v12, -1, v65, vcc
	v_xor_b32_e32 v12, v12, v6
	v_cmp_ne_u16_e32 vcc, s7, v12
	v_cndmask_b32_e32 v12, v65, v12, vcc
	v_lshrrev_b32_sdwa v12, s77, v12 dst_sel:DWORD dst_unused:UNUSED_PAD src0_sel:DWORD src1_sel:WORD_0
	v_and_b32_e32 v12, s63, v12
	v_lshl_or_b32 v12, v12, 4, v35
	ds_add_u32 v12, v61
	s_or_b64 exec, exec, s[18:19]
	v_cmp_gt_u32_e32 vcc, s20, v33
	s_and_saveexec_b64 s[18:19], vcc
	s_cbranch_execz .LBB1847_530
.LBB1847_537:                           ;   in Loop: Header=BB1847_510 Depth=2
	v_cmp_lt_i16_e32 vcc, -1, v5
	v_cndmask_b32_e32 v12, -1, v65, vcc
	v_xor_b32_e32 v12, v12, v5
	v_cmp_ne_u16_e32 vcc, s7, v12
	v_cndmask_b32_e32 v12, v65, v12, vcc
	v_lshrrev_b32_sdwa v12, s77, v12 dst_sel:DWORD dst_unused:UNUSED_PAD src0_sel:DWORD src1_sel:WORD_0
	v_and_b32_e32 v12, s63, v12
	v_lshl_or_b32 v12, v12, 4, v35
	ds_add_u32 v12, v61
	s_or_b64 exec, exec, s[18:19]
	v_cmp_gt_u32_e32 vcc, s20, v34
	s_and_saveexec_b64 s[18:19], vcc
	s_cbranch_execz .LBB1847_509
.LBB1847_538:                           ;   in Loop: Header=BB1847_510 Depth=2
	v_cmp_lt_i16_e32 vcc, -1, v4
	v_cndmask_b32_e32 v12, -1, v65, vcc
	v_xor_b32_e32 v12, v12, v4
	v_cmp_ne_u16_e32 vcc, s7, v12
	v_cndmask_b32_e32 v12, v65, v12, vcc
	v_lshrrev_b32_sdwa v12, s77, v12 dst_sel:DWORD dst_unused:UNUSED_PAD src0_sel:DWORD src1_sel:WORD_0
	v_and_b32_e32 v12, s63, v12
	v_lshl_or_b32 v12, v12, 4, v35
	ds_add_u32 v12, v61
	s_branch .LBB1847_509
.LBB1847_539:                           ;   in Loop: Header=BB1847_510 Depth=2
	global_load_ushort v11, v64, s[18:19]
	s_or_b64 exec, exec, s[20:21]
	v_cmp_gt_u32_e32 vcc, s22, v26
	s_and_saveexec_b64 s[20:21], vcc
	s_cbranch_execz .LBB1847_515
.LBB1847_540:                           ;   in Loop: Header=BB1847_510 Depth=2
	global_load_ushort v10, v64, s[18:19] offset:512
	s_or_b64 exec, exec, s[20:21]
	v_cmp_gt_u32_e32 vcc, s22, v27
	s_and_saveexec_b64 s[20:21], vcc
	s_cbranch_execz .LBB1847_516
.LBB1847_541:                           ;   in Loop: Header=BB1847_510 Depth=2
	global_load_ushort v9, v64, s[18:19] offset:1024
	s_or_b64 exec, exec, s[20:21]
	v_cmp_gt_u32_e32 vcc, s22, v28
	s_and_saveexec_b64 s[20:21], vcc
	s_cbranch_execz .LBB1847_517
.LBB1847_542:                           ;   in Loop: Header=BB1847_510 Depth=2
	global_load_ushort v8, v64, s[18:19] offset:1536
	s_or_b64 exec, exec, s[20:21]
	v_cmp_gt_u32_e32 vcc, s22, v31
	s_and_saveexec_b64 s[20:21], vcc
	s_cbranch_execz .LBB1847_518
.LBB1847_543:                           ;   in Loop: Header=BB1847_510 Depth=2
	global_load_ushort v7, v64, s[18:19] offset:2048
	s_or_b64 exec, exec, s[20:21]
	v_cmp_gt_u32_e32 vcc, s22, v32
	s_and_saveexec_b64 s[20:21], vcc
	s_cbranch_execz .LBB1847_519
.LBB1847_544:                           ;   in Loop: Header=BB1847_510 Depth=2
	global_load_ushort v6, v64, s[18:19] offset:2560
	s_or_b64 exec, exec, s[20:21]
	v_cmp_gt_u32_e32 vcc, s22, v33
	s_and_saveexec_b64 s[20:21], vcc
	s_cbranch_execz .LBB1847_520
.LBB1847_545:                           ;   in Loop: Header=BB1847_510 Depth=2
	global_load_ushort v5, v64, s[18:19] offset:3072
	s_or_b64 exec, exec, s[20:21]
	v_cmp_gt_u32_e32 vcc, s22, v34
	s_and_saveexec_b64 s[20:21], vcc
	s_cbranch_execnz .LBB1847_521
	s_branch .LBB1847_522
.LBB1847_546:                           ;   in Loop: Header=BB1847_12 Depth=1
	v_mov_b32_e32 v4, 0
	s_waitcnt lgkmcnt(0)
	s_barrier
	s_and_saveexec_b64 s[18:19], s[4:5]
	s_cbranch_execz .LBB1847_548
; %bb.547:                              ;   in Loop: Header=BB1847_12 Depth=1
	ds_read2_b64 v[4:7], v36 offset1:1
	s_waitcnt lgkmcnt(0)
	v_add_u32_e32 v4, v5, v4
	v_add3_u32 v4, v4, v6, v7
.LBB1847_548:                           ;   in Loop: Header=BB1847_12 Depth=1
	s_or_b64 exec, exec, s[18:19]
	s_nop 0
	v_mov_b32_dpp v5, v4 row_shr:1 row_mask:0xf bank_mask:0xf
	v_cmp_eq_u32_e64 s[18:19], 0, v67
	v_cndmask_b32_e64 v5, v5, 0, s[18:19]
	v_add_u32_e32 v4, v5, v4
	v_cmp_lt_u32_e64 s[20:21], 1, v67
	v_cmp_lt_u32_e64 s[22:23], 3, v67
	v_mov_b32_dpp v5, v4 row_shr:2 row_mask:0xf bank_mask:0xf
	v_cndmask_b32_e64 v5, 0, v5, s[20:21]
	v_add_u32_e32 v4, v4, v5
	v_cmp_lt_u32_e64 s[24:25], 7, v67
	v_cmp_lt_u32_e64 s[28:29], 31, v66
	v_mov_b32_dpp v5, v4 row_shr:4 row_mask:0xf bank_mask:0xf
	v_cndmask_b32_e64 v5, 0, v5, s[22:23]
	v_add_u32_e32 v4, v4, v5
	v_cmp_eq_u32_e64 s[26:27], 0, v69
	s_nop 0
	v_mov_b32_dpp v5, v4 row_shr:8 row_mask:0xf bank_mask:0xf
	v_cndmask_b32_e64 v5, 0, v5, s[24:25]
	v_add_u32_e32 v4, v4, v5
	s_nop 1
	v_mov_b32_dpp v5, v4 row_bcast:15 row_mask:0xf bank_mask:0xf
	v_and_b32_e32 v5, v68, v5
	v_add_u32_e32 v4, v4, v5
	s_nop 1
	v_mov_b32_dpp v5, v4 row_bcast:31 row_mask:0xf bank_mask:0xf
	v_cndmask_b32_e64 v5, 0, v5, s[28:29]
	v_add_u32_e32 v4, v4, v5
	s_and_saveexec_b64 s[30:31], s[8:9]
; %bb.549:                              ;   in Loop: Header=BB1847_12 Depth=1
	ds_write_b32 v38, v4
; %bb.550:                              ;   in Loop: Header=BB1847_12 Depth=1
	s_or_b64 exec, exec, s[30:31]
	s_waitcnt lgkmcnt(0)
	s_barrier
	s_and_saveexec_b64 s[30:31], s[10:11]
	s_cbranch_execz .LBB1847_552
; %bb.551:                              ;   in Loop: Header=BB1847_12 Depth=1
	ds_read_b32 v5, v39
	v_cmp_ne_u32_e32 vcc, 0, v70
	s_waitcnt lgkmcnt(0)
	v_mov_b32_dpp v6, v5 row_shr:1 row_mask:0xf bank_mask:0xf
	v_cndmask_b32_e32 v6, 0, v6, vcc
	v_add_u32_e32 v5, v6, v5
	v_cmp_lt_u32_e32 vcc, 1, v70
	s_nop 0
	v_mov_b32_dpp v6, v5 row_shr:2 row_mask:0xf bank_mask:0xf
	v_cndmask_b32_e32 v6, 0, v6, vcc
	v_add_u32_e32 v5, v5, v6
	ds_write_b32 v39, v5
.LBB1847_552:                           ;   in Loop: Header=BB1847_12 Depth=1
	s_or_b64 exec, exec, s[30:31]
	v_mov_b32_e32 v5, 0
	s_waitcnt lgkmcnt(0)
	s_barrier
	s_and_saveexec_b64 s[30:31], s[12:13]
; %bb.553:                              ;   in Loop: Header=BB1847_12 Depth=1
	ds_read_b32 v5, v40
; %bb.554:                              ;   in Loop: Header=BB1847_12 Depth=1
	s_or_b64 exec, exec, s[30:31]
	v_subrev_co_u32_e64 v6, s[30:31], 1, v66
	v_cmp_lt_i32_e32 vcc, v6, v71
	v_cndmask_b32_e32 v6, v6, v66, vcc
	s_waitcnt lgkmcnt(0)
	v_add_u32_e32 v4, v5, v4
	v_lshlrev_b32_e32 v82, 2, v6
	ds_bpermute_b32 v4, v82, v4
	s_waitcnt lgkmcnt(0)
	s_barrier
	s_and_saveexec_b64 s[34:35], s[4:5]
; %bb.555:                              ;   in Loop: Header=BB1847_12 Depth=1
	v_cndmask_b32_e64 v4, v4, v5, s[30:31]
	v_add_u32_e32 v4, s80, v4
	ds_write_b32 v25, v4
; %bb.556:                              ;   in Loop: Header=BB1847_12 Depth=1
	s_or_b64 exec, exec, s[34:35]
	s_load_dwordx2 s[34:35], s[56:57], 0x0
	v_add_co_u32_e32 v83, vcc, v57, v72
	v_addc_co_u32_e32 v84, vcc, 0, v58, vcc
	s_waitcnt lgkmcnt(0)
	s_cmp_lt_u32 s33, s35
	s_cselect_b32 s35, 14, 20
	s_add_u32 s36, s56, s35
	s_addc_u32 s37, s57, 0
	s_cmp_lt_u32 s6, s34
	s_cselect_b32 s34, 12, 18
	s_add_u32 s34, s56, s34
	global_load_ushort v4, v3, s[36:37]
	s_addc_u32 s35, s57, 0
	global_load_ushort v5, v3, s[34:35]
	v_add_co_u32_e32 v85, vcc, v59, v81
	v_cmp_eq_u32_e64 s[34:35], 0, v70
	v_cmp_lt_u32_e64 s[36:37], 1, v70
	v_addc_co_u32_e32 v86, vcc, 0, v60, vcc
	s_mov_b32 s70, s79
	s_mov_b32 s58, s80
                                        ; implicit-def: $vgpr7_vgpr8
                                        ; implicit-def: $vgpr9_vgpr10
                                        ; implicit-def: $vgpr11_vgpr12
                                        ; implicit-def: $vgpr13_vgpr14
                                        ; implicit-def: $vgpr15_vgpr16
                                        ; implicit-def: $vgpr17_vgpr18
                                        ; implicit-def: $vgpr19_vgpr20
                                        ; implicit-def: $vgpr87
                                        ; implicit-def: $vgpr88
                                        ; implicit-def: $vgpr89
                                        ; implicit-def: $vgpr90
                                        ; implicit-def: $vgpr92
                                        ; implicit-def: $vgpr93
                                        ; implicit-def: $vgpr94
                                        ; implicit-def: $vgpr95
	s_waitcnt vmcnt(1)
	v_mad_u32_u24 v4, v2, v4, v1
	s_waitcnt vmcnt(0)
	v_mad_u64_u32 v[4:5], s[38:39], v4, v5, v[0:1]
                                        ; implicit-def: $vgpr5_vgpr6
	v_lshrrev_b32_e32 v4, 4, v4
	v_and_b32_e32 v91, 0xffffffc, v4
	s_branch .LBB1847_558
.LBB1847_557:                           ;   in Loop: Header=BB1847_558 Depth=2
	s_or_b64 exec, exec, s[38:39]
	s_addk_i32 s70, 0xf800
	s_cmp_lt_u32 s71, s81
	s_mov_b32 s58, s71
	s_cbranch_scc0 .LBB1847_10
.LBB1847_558:                           ;   Parent Loop BB1847_12 Depth=1
                                        ; =>  This Inner Loop Header: Depth=2
	s_add_i32 s71, s58, 0x800
	s_cmp_gt_u32 s71, s81
	s_cbranch_scc1 .LBB1847_560
; %bb.559:                              ;   in Loop: Header=BB1847_558 Depth=2
	s_lshl_b64 s[38:39], s[58:59], 1
	v_mov_b32_e32 v4, s39
	v_add_co_u32_e32 v21, vcc, s38, v85
	v_addc_co_u32_e32 v22, vcc, v86, v4, vcc
	global_load_ushort v4, v[21:22], off
	global_load_ushort v99, v[21:22], off offset:128
	global_load_ushort v103, v[21:22], off offset:256
	;; [unrolled: 1-line block ×6, first 2 shown]
	s_mov_b64 s[38:39], -1
	s_movk_i32 s42, 0x800
	s_cbranch_execz .LBB1847_561
	s_branch .LBB1847_576
.LBB1847_560:                           ;   in Loop: Header=BB1847_558 Depth=2
	s_mov_b64 s[38:39], 0
                                        ; implicit-def: $vgpr4
                                        ; implicit-def: $vgpr99
                                        ; implicit-def: $vgpr103
                                        ; implicit-def: $vgpr107
                                        ; implicit-def: $vgpr112
                                        ; implicit-def: $vgpr108
                                        ; implicit-def: $vgpr24
	s_movk_i32 s42, 0x800
.LBB1847_561:                           ;   in Loop: Header=BB1847_558 Depth=2
	s_lshl_b64 s[38:39], s[58:59], 1
	s_waitcnt vmcnt(6)
	v_mov_b32_e32 v4, s39
	v_add_co_u32_e32 v21, vcc, s38, v85
	v_addc_co_u32_e32 v22, vcc, v86, v4, vcc
	v_cmp_gt_u32_e32 vcc, s70, v73
	s_waitcnt vmcnt(5)
	v_mov_b32_e32 v99, 0x7fff
	v_mov_b32_e32 v4, 0x7fff
	s_and_saveexec_b64 s[38:39], vcc
	s_cbranch_execz .LBB1847_563
; %bb.562:                              ;   in Loop: Header=BB1847_558 Depth=2
	global_load_ushort v4, v[21:22], off
.LBB1847_563:                           ;   in Loop: Header=BB1847_558 Depth=2
	s_or_b64 exec, exec, s[38:39]
	v_cmp_gt_u32_e32 vcc, s70, v74
	s_and_saveexec_b64 s[38:39], vcc
	s_cbranch_execz .LBB1847_565
; %bb.564:                              ;   in Loop: Header=BB1847_558 Depth=2
	global_load_ushort v99, v[21:22], off offset:128
.LBB1847_565:                           ;   in Loop: Header=BB1847_558 Depth=2
	s_or_b64 exec, exec, s[38:39]
	v_cmp_gt_u32_e32 vcc, s70, v75
	s_waitcnt vmcnt(3)
	v_mov_b32_e32 v107, 0x7fff
	v_mov_b32_e32 v103, 0x7fff
	s_and_saveexec_b64 s[38:39], vcc
	s_cbranch_execz .LBB1847_567
; %bb.566:                              ;   in Loop: Header=BB1847_558 Depth=2
	global_load_ushort v103, v[21:22], off offset:256
.LBB1847_567:                           ;   in Loop: Header=BB1847_558 Depth=2
	s_or_b64 exec, exec, s[38:39]
	v_cmp_gt_u32_e32 vcc, s70, v76
	s_and_saveexec_b64 s[38:39], vcc
	s_cbranch_execz .LBB1847_569
; %bb.568:                              ;   in Loop: Header=BB1847_558 Depth=2
	global_load_ushort v107, v[21:22], off offset:384
.LBB1847_569:                           ;   in Loop: Header=BB1847_558 Depth=2
	s_or_b64 exec, exec, s[38:39]
	v_cmp_gt_u32_e32 vcc, s70, v77
	s_waitcnt vmcnt(1)
	v_mov_b32_e32 v108, 0x7fff
	v_mov_b32_e32 v112, 0x7fff
	s_and_saveexec_b64 s[38:39], vcc
	s_cbranch_execz .LBB1847_571
; %bb.570:                              ;   in Loop: Header=BB1847_558 Depth=2
	global_load_ushort v112, v[21:22], off offset:512
.LBB1847_571:                           ;   in Loop: Header=BB1847_558 Depth=2
	s_or_b64 exec, exec, s[38:39]
	v_cmp_gt_u32_e32 vcc, s70, v78
	s_and_saveexec_b64 s[38:39], vcc
	s_cbranch_execz .LBB1847_573
; %bb.572:                              ;   in Loop: Header=BB1847_558 Depth=2
	global_load_ushort v108, v[21:22], off offset:640
.LBB1847_573:                           ;   in Loop: Header=BB1847_558 Depth=2
	s_or_b64 exec, exec, s[38:39]
	v_cmp_gt_u32_e32 vcc, s70, v79
	s_waitcnt vmcnt(0)
	v_mov_b32_e32 v24, 0x7fff
	s_and_saveexec_b64 s[38:39], vcc
	s_cbranch_execz .LBB1847_575
; %bb.574:                              ;   in Loop: Header=BB1847_558 Depth=2
	global_load_ushort v24, v[21:22], off offset:768
.LBB1847_575:                           ;   in Loop: Header=BB1847_558 Depth=2
	s_or_b64 exec, exec, s[38:39]
	s_sub_i32 s42, s81, s58
	v_cmp_gt_u32_e64 s[38:39], s70, v80
.LBB1847_576:                           ;   in Loop: Header=BB1847_558 Depth=2
	v_mov_b32_e32 v23, 0x7fff
	v_mov_b32_e32 v96, s70
	s_and_saveexec_b64 s[40:41], s[38:39]
	s_cbranch_execz .LBB1847_578
; %bb.577:                              ;   in Loop: Header=BB1847_558 Depth=2
	s_lshl_b64 s[38:39], s[58:59], 1
	v_mov_b32_e32 v22, s39
	v_add_co_u32_e32 v21, vcc, s38, v85
	v_addc_co_u32_e32 v22, vcc, v86, v22, vcc
	global_load_ushort v23, v[21:22], off offset:896
	v_mov_b32_e32 v96, s42
.LBB1847_578:                           ;   in Loop: Header=BB1847_558 Depth=2
	s_or_b64 exec, exec, s[40:41]
	s_waitcnt vmcnt(6)
	v_cmp_lt_i16_e32 vcc, -1, v4
	v_cndmask_b32_e32 v21, -1, v65, vcc
	v_xor_b32_e32 v97, v21, v4
	v_cmp_ne_u16_e32 vcc, s7, v97
	v_cndmask_b32_e32 v4, v65, v97, vcc
	v_lshrrev_b32_sdwa v4, s77, v4 dst_sel:DWORD dst_unused:UNUSED_PAD src0_sel:DWORD src1_sel:WORD_0
	v_and_b32_e32 v21, s63, v4
	v_and_b32_e32 v4, 1, v21
	v_add_co_u32_e32 v22, vcc, -1, v4
	v_addc_co_u32_e64 v98, s[38:39], 0, -1, vcc
	v_cmp_ne_u32_e32 vcc, 0, v4
	v_xor_b32_e32 v4, vcc_hi, v98
	v_and_b32_e32 v98, exec_hi, v4
	v_lshlrev_b32_e32 v4, 30, v21
	v_xor_b32_e32 v22, vcc_lo, v22
	v_cmp_gt_i64_e32 vcc, 0, v[3:4]
	v_not_b32_e32 v4, v4
	v_ashrrev_i32_e32 v4, 31, v4
	v_and_b32_e32 v22, exec_lo, v22
	v_xor_b32_e32 v101, vcc_hi, v4
	v_xor_b32_e32 v4, vcc_lo, v4
	v_and_b32_e32 v22, v22, v4
	v_lshlrev_b32_e32 v4, 29, v21
	v_cmp_gt_i64_e32 vcc, 0, v[3:4]
	v_not_b32_e32 v4, v4
	v_ashrrev_i32_e32 v4, 31, v4
	v_and_b32_e32 v98, v98, v101
	v_xor_b32_e32 v101, vcc_hi, v4
	v_xor_b32_e32 v4, vcc_lo, v4
	v_and_b32_e32 v22, v22, v4
	v_lshlrev_b32_e32 v4, 28, v21
	v_cmp_gt_i64_e32 vcc, 0, v[3:4]
	v_not_b32_e32 v4, v4
	v_ashrrev_i32_e32 v4, 31, v4
	v_and_b32_e32 v98, v98, v101
	;; [unrolled: 8-line block ×5, first 2 shown]
	v_xor_b32_e32 v101, vcc_hi, v4
	v_xor_b32_e32 v4, vcc_lo, v4
	v_and_b32_e32 v98, v98, v101
	v_and_b32_e32 v101, v22, v4
	v_lshlrev_b32_e32 v4, 24, v21
	v_cmp_gt_i64_e32 vcc, 0, v[3:4]
	v_not_b32_e32 v4, v4
	v_ashrrev_i32_e32 v4, 31, v4
	v_mul_u32_u24_e32 v100, 20, v21
	v_xor_b32_e32 v21, vcc_hi, v4
	v_xor_b32_e32 v4, vcc_lo, v4
	v_and_b32_e32 v22, v98, v21
	v_and_b32_e32 v21, v101, v4
	v_mbcnt_lo_u32_b32 v4, v21, 0
	v_mbcnt_hi_u32_b32 v98, v22, v4
	v_cmp_ne_u64_e32 vcc, 0, v[21:22]
	v_cmp_eq_u32_e64 s[38:39], 0, v98
	s_and_b64 s[40:41], vcc, s[38:39]
	v_add_u32_e32 v101, v91, v100
	ds_write2_b32 v62, v3, v3 offset1:1
	ds_write2_b32 v63, v3, v3 offset1:1
	ds_write_b32 v41, v3 offset:1056
	s_waitcnt vmcnt(0) lgkmcnt(0)
	s_barrier
	; wave barrier
	s_and_saveexec_b64 s[38:39], s[40:41]
; %bb.579:                              ;   in Loop: Header=BB1847_558 Depth=2
	v_bcnt_u32_b32 v4, v21, 0
	v_bcnt_u32_b32 v4, v22, v4
	ds_write_b32 v101, v4 offset:1040
; %bb.580:                              ;   in Loop: Header=BB1847_558 Depth=2
	s_or_b64 exec, exec, s[38:39]
	v_cmp_lt_i16_e32 vcc, -1, v99
	v_cndmask_b32_e32 v4, -1, v65, vcc
	v_xor_b32_e32 v99, v4, v99
	v_cmp_ne_u16_e32 vcc, s7, v99
	v_cndmask_b32_e32 v4, v65, v99, vcc
	v_lshrrev_b32_sdwa v4, s77, v4 dst_sel:DWORD dst_unused:UNUSED_PAD src0_sel:DWORD src1_sel:WORD_0
	v_and_b32_e32 v21, s63, v4
	v_mad_u32_u24 v4, v21, 20, v91
	; wave barrier
	ds_read_b32 v100, v4 offset:1040
	v_and_b32_e32 v4, 1, v21
	v_add_co_u32_e32 v22, vcc, -1, v4
	v_addc_co_u32_e64 v102, s[38:39], 0, -1, vcc
	v_cmp_ne_u32_e32 vcc, 0, v4
	v_xor_b32_e32 v4, vcc_hi, v102
	v_and_b32_e32 v102, exec_hi, v4
	v_lshlrev_b32_e32 v4, 30, v21
	v_xor_b32_e32 v22, vcc_lo, v22
	v_cmp_gt_i64_e32 vcc, 0, v[3:4]
	v_not_b32_e32 v4, v4
	v_ashrrev_i32_e32 v4, 31, v4
	v_and_b32_e32 v22, exec_lo, v22
	v_xor_b32_e32 v105, vcc_hi, v4
	v_xor_b32_e32 v4, vcc_lo, v4
	v_and_b32_e32 v22, v22, v4
	v_lshlrev_b32_e32 v4, 29, v21
	v_cmp_gt_i64_e32 vcc, 0, v[3:4]
	v_not_b32_e32 v4, v4
	v_ashrrev_i32_e32 v4, 31, v4
	v_and_b32_e32 v102, v102, v105
	v_xor_b32_e32 v105, vcc_hi, v4
	v_xor_b32_e32 v4, vcc_lo, v4
	v_and_b32_e32 v22, v22, v4
	v_lshlrev_b32_e32 v4, 28, v21
	v_cmp_gt_i64_e32 vcc, 0, v[3:4]
	v_not_b32_e32 v4, v4
	v_ashrrev_i32_e32 v4, 31, v4
	v_and_b32_e32 v102, v102, v105
	;; [unrolled: 8-line block ×5, first 2 shown]
	v_xor_b32_e32 v105, vcc_hi, v4
	v_xor_b32_e32 v4, vcc_lo, v4
	v_and_b32_e32 v102, v102, v105
	v_and_b32_e32 v105, v22, v4
	v_lshlrev_b32_e32 v4, 24, v21
	v_cmp_gt_i64_e32 vcc, 0, v[3:4]
	v_not_b32_e32 v4, v4
	v_ashrrev_i32_e32 v4, 31, v4
	v_mul_u32_u24_e32 v104, 20, v21
	v_xor_b32_e32 v21, vcc_hi, v4
	v_xor_b32_e32 v4, vcc_lo, v4
	v_and_b32_e32 v22, v102, v21
	v_and_b32_e32 v21, v105, v4
	v_mbcnt_lo_u32_b32 v4, v21, 0
	v_mbcnt_hi_u32_b32 v102, v22, v4
	v_cmp_ne_u64_e32 vcc, 0, v[21:22]
	v_cmp_eq_u32_e64 s[38:39], 0, v102
	s_and_b64 s[40:41], vcc, s[38:39]
	v_add_u32_e32 v105, v91, v104
	; wave barrier
	s_and_saveexec_b64 s[38:39], s[40:41]
	s_cbranch_execz .LBB1847_582
; %bb.581:                              ;   in Loop: Header=BB1847_558 Depth=2
	v_bcnt_u32_b32 v4, v21, 0
	v_bcnt_u32_b32 v4, v22, v4
	s_waitcnt lgkmcnt(0)
	v_add_u32_e32 v4, v100, v4
	ds_write_b32 v105, v4 offset:1040
.LBB1847_582:                           ;   in Loop: Header=BB1847_558 Depth=2
	s_or_b64 exec, exec, s[38:39]
	v_cmp_lt_i16_e32 vcc, -1, v103
	v_cndmask_b32_e32 v4, -1, v65, vcc
	v_xor_b32_e32 v103, v4, v103
	v_cmp_ne_u16_e32 vcc, s7, v103
	v_cndmask_b32_e32 v4, v65, v103, vcc
	v_lshrrev_b32_sdwa v4, s77, v4 dst_sel:DWORD dst_unused:UNUSED_PAD src0_sel:DWORD src1_sel:WORD_0
	v_and_b32_e32 v21, s63, v4
	v_mad_u32_u24 v4, v21, 20, v91
	; wave barrier
	ds_read_b32 v104, v4 offset:1040
	v_and_b32_e32 v4, 1, v21
	v_add_co_u32_e32 v22, vcc, -1, v4
	v_addc_co_u32_e64 v106, s[38:39], 0, -1, vcc
	v_cmp_ne_u32_e32 vcc, 0, v4
	v_xor_b32_e32 v4, vcc_hi, v106
	v_and_b32_e32 v106, exec_hi, v4
	v_lshlrev_b32_e32 v4, 30, v21
	v_xor_b32_e32 v22, vcc_lo, v22
	v_cmp_gt_i64_e32 vcc, 0, v[3:4]
	v_not_b32_e32 v4, v4
	v_ashrrev_i32_e32 v4, 31, v4
	v_and_b32_e32 v22, exec_lo, v22
	v_xor_b32_e32 v110, vcc_hi, v4
	v_xor_b32_e32 v4, vcc_lo, v4
	v_and_b32_e32 v22, v22, v4
	v_lshlrev_b32_e32 v4, 29, v21
	v_cmp_gt_i64_e32 vcc, 0, v[3:4]
	v_not_b32_e32 v4, v4
	v_ashrrev_i32_e32 v4, 31, v4
	v_and_b32_e32 v106, v106, v110
	v_xor_b32_e32 v110, vcc_hi, v4
	v_xor_b32_e32 v4, vcc_lo, v4
	v_and_b32_e32 v22, v22, v4
	v_lshlrev_b32_e32 v4, 28, v21
	v_cmp_gt_i64_e32 vcc, 0, v[3:4]
	v_not_b32_e32 v4, v4
	v_ashrrev_i32_e32 v4, 31, v4
	v_and_b32_e32 v106, v106, v110
	;; [unrolled: 8-line block ×5, first 2 shown]
	v_xor_b32_e32 v110, vcc_hi, v4
	v_xor_b32_e32 v4, vcc_lo, v4
	v_and_b32_e32 v106, v106, v110
	v_and_b32_e32 v110, v22, v4
	v_lshlrev_b32_e32 v4, 24, v21
	v_cmp_gt_i64_e32 vcc, 0, v[3:4]
	v_not_b32_e32 v4, v4
	v_ashrrev_i32_e32 v4, 31, v4
	v_mul_u32_u24_e32 v109, 20, v21
	v_xor_b32_e32 v21, vcc_hi, v4
	v_xor_b32_e32 v4, vcc_lo, v4
	v_and_b32_e32 v22, v106, v21
	v_and_b32_e32 v21, v110, v4
	v_mbcnt_lo_u32_b32 v4, v21, 0
	v_mbcnt_hi_u32_b32 v106, v22, v4
	v_cmp_ne_u64_e32 vcc, 0, v[21:22]
	v_cmp_eq_u32_e64 s[38:39], 0, v106
	s_and_b64 s[40:41], vcc, s[38:39]
	v_add_u32_e32 v110, v91, v109
	; wave barrier
	s_and_saveexec_b64 s[38:39], s[40:41]
	s_cbranch_execz .LBB1847_584
; %bb.583:                              ;   in Loop: Header=BB1847_558 Depth=2
	v_bcnt_u32_b32 v4, v21, 0
	v_bcnt_u32_b32 v4, v22, v4
	s_waitcnt lgkmcnt(0)
	v_add_u32_e32 v4, v104, v4
	ds_write_b32 v110, v4 offset:1040
.LBB1847_584:                           ;   in Loop: Header=BB1847_558 Depth=2
	s_or_b64 exec, exec, s[38:39]
	v_cmp_lt_i16_e32 vcc, -1, v107
	v_cndmask_b32_e32 v4, -1, v65, vcc
	v_xor_b32_e32 v107, v4, v107
	v_cmp_ne_u16_e32 vcc, s7, v107
	v_cndmask_b32_e32 v4, v65, v107, vcc
	v_lshrrev_b32_sdwa v4, s77, v4 dst_sel:DWORD dst_unused:UNUSED_PAD src0_sel:DWORD src1_sel:WORD_0
	v_and_b32_e32 v21, s63, v4
	v_mad_u32_u24 v4, v21, 20, v91
	; wave barrier
	ds_read_b32 v109, v4 offset:1040
	v_and_b32_e32 v4, 1, v21
	v_add_co_u32_e32 v22, vcc, -1, v4
	v_addc_co_u32_e64 v111, s[38:39], 0, -1, vcc
	v_cmp_ne_u32_e32 vcc, 0, v4
	v_xor_b32_e32 v4, vcc_hi, v111
	v_and_b32_e32 v111, exec_hi, v4
	v_lshlrev_b32_e32 v4, 30, v21
	v_xor_b32_e32 v22, vcc_lo, v22
	v_cmp_gt_i64_e32 vcc, 0, v[3:4]
	v_not_b32_e32 v4, v4
	v_ashrrev_i32_e32 v4, 31, v4
	v_and_b32_e32 v22, exec_lo, v22
	v_xor_b32_e32 v114, vcc_hi, v4
	v_xor_b32_e32 v4, vcc_lo, v4
	v_and_b32_e32 v22, v22, v4
	v_lshlrev_b32_e32 v4, 29, v21
	v_cmp_gt_i64_e32 vcc, 0, v[3:4]
	v_not_b32_e32 v4, v4
	v_ashrrev_i32_e32 v4, 31, v4
	v_and_b32_e32 v111, v111, v114
	v_xor_b32_e32 v114, vcc_hi, v4
	v_xor_b32_e32 v4, vcc_lo, v4
	v_and_b32_e32 v22, v22, v4
	v_lshlrev_b32_e32 v4, 28, v21
	v_cmp_gt_i64_e32 vcc, 0, v[3:4]
	v_not_b32_e32 v4, v4
	v_ashrrev_i32_e32 v4, 31, v4
	v_and_b32_e32 v111, v111, v114
	;; [unrolled: 8-line block ×5, first 2 shown]
	v_xor_b32_e32 v114, vcc_hi, v4
	v_xor_b32_e32 v4, vcc_lo, v4
	v_and_b32_e32 v111, v111, v114
	v_and_b32_e32 v114, v22, v4
	v_lshlrev_b32_e32 v4, 24, v21
	v_cmp_gt_i64_e32 vcc, 0, v[3:4]
	v_not_b32_e32 v4, v4
	v_ashrrev_i32_e32 v4, 31, v4
	v_mul_u32_u24_e32 v113, 20, v21
	v_xor_b32_e32 v21, vcc_hi, v4
	v_xor_b32_e32 v4, vcc_lo, v4
	v_and_b32_e32 v22, v111, v21
	v_and_b32_e32 v21, v114, v4
	v_mbcnt_lo_u32_b32 v4, v21, 0
	v_mbcnt_hi_u32_b32 v111, v22, v4
	v_cmp_ne_u64_e32 vcc, 0, v[21:22]
	v_cmp_eq_u32_e64 s[38:39], 0, v111
	s_and_b64 s[40:41], vcc, s[38:39]
	v_add_u32_e32 v114, v91, v113
	; wave barrier
	s_and_saveexec_b64 s[38:39], s[40:41]
	s_cbranch_execz .LBB1847_586
; %bb.585:                              ;   in Loop: Header=BB1847_558 Depth=2
	v_bcnt_u32_b32 v4, v21, 0
	v_bcnt_u32_b32 v4, v22, v4
	s_waitcnt lgkmcnt(0)
	v_add_u32_e32 v4, v109, v4
	ds_write_b32 v114, v4 offset:1040
.LBB1847_586:                           ;   in Loop: Header=BB1847_558 Depth=2
	s_or_b64 exec, exec, s[38:39]
	v_cmp_lt_i16_e32 vcc, -1, v112
	v_cndmask_b32_e32 v4, -1, v65, vcc
	v_xor_b32_e32 v112, v4, v112
	v_cmp_ne_u16_e32 vcc, s7, v112
	v_cndmask_b32_e32 v4, v65, v112, vcc
	v_lshrrev_b32_sdwa v4, s77, v4 dst_sel:DWORD dst_unused:UNUSED_PAD src0_sel:DWORD src1_sel:WORD_0
	v_and_b32_e32 v21, s63, v4
	v_mad_u32_u24 v4, v21, 20, v91
	; wave barrier
	ds_read_b32 v113, v4 offset:1040
	v_and_b32_e32 v4, 1, v21
	v_add_co_u32_e32 v22, vcc, -1, v4
	v_addc_co_u32_e64 v115, s[38:39], 0, -1, vcc
	v_cmp_ne_u32_e32 vcc, 0, v4
	v_xor_b32_e32 v4, vcc_hi, v115
	v_and_b32_e32 v115, exec_hi, v4
	v_lshlrev_b32_e32 v4, 30, v21
	v_xor_b32_e32 v22, vcc_lo, v22
	v_cmp_gt_i64_e32 vcc, 0, v[3:4]
	v_not_b32_e32 v4, v4
	v_ashrrev_i32_e32 v4, 31, v4
	v_and_b32_e32 v22, exec_lo, v22
	v_xor_b32_e32 v117, vcc_hi, v4
	v_xor_b32_e32 v4, vcc_lo, v4
	v_and_b32_e32 v22, v22, v4
	v_lshlrev_b32_e32 v4, 29, v21
	v_cmp_gt_i64_e32 vcc, 0, v[3:4]
	v_not_b32_e32 v4, v4
	v_ashrrev_i32_e32 v4, 31, v4
	v_and_b32_e32 v115, v115, v117
	v_xor_b32_e32 v117, vcc_hi, v4
	v_xor_b32_e32 v4, vcc_lo, v4
	v_and_b32_e32 v22, v22, v4
	v_lshlrev_b32_e32 v4, 28, v21
	v_cmp_gt_i64_e32 vcc, 0, v[3:4]
	v_not_b32_e32 v4, v4
	v_ashrrev_i32_e32 v4, 31, v4
	v_and_b32_e32 v115, v115, v117
	;; [unrolled: 8-line block ×5, first 2 shown]
	v_xor_b32_e32 v117, vcc_hi, v4
	v_xor_b32_e32 v4, vcc_lo, v4
	v_and_b32_e32 v115, v115, v117
	v_and_b32_e32 v117, v22, v4
	v_lshlrev_b32_e32 v4, 24, v21
	v_cmp_gt_i64_e32 vcc, 0, v[3:4]
	v_not_b32_e32 v4, v4
	v_ashrrev_i32_e32 v4, 31, v4
	v_mul_u32_u24_e32 v116, 20, v21
	v_xor_b32_e32 v21, vcc_hi, v4
	v_xor_b32_e32 v4, vcc_lo, v4
	v_and_b32_e32 v22, v115, v21
	v_and_b32_e32 v21, v117, v4
	v_mbcnt_lo_u32_b32 v4, v21, 0
	v_mbcnt_hi_u32_b32 v115, v22, v4
	v_cmp_ne_u64_e32 vcc, 0, v[21:22]
	v_cmp_eq_u32_e64 s[38:39], 0, v115
	s_and_b64 s[40:41], vcc, s[38:39]
	v_add_u32_e32 v118, v91, v116
	; wave barrier
	s_and_saveexec_b64 s[38:39], s[40:41]
	s_cbranch_execz .LBB1847_588
; %bb.587:                              ;   in Loop: Header=BB1847_558 Depth=2
	v_bcnt_u32_b32 v4, v21, 0
	v_bcnt_u32_b32 v4, v22, v4
	s_waitcnt lgkmcnt(0)
	v_add_u32_e32 v4, v113, v4
	ds_write_b32 v118, v4 offset:1040
.LBB1847_588:                           ;   in Loop: Header=BB1847_558 Depth=2
	s_or_b64 exec, exec, s[38:39]
	v_cmp_lt_i16_e32 vcc, -1, v108
	v_cndmask_b32_e32 v4, -1, v65, vcc
	v_xor_b32_e32 v116, v4, v108
	v_cmp_ne_u16_e32 vcc, s7, v116
	v_cndmask_b32_e32 v4, v65, v116, vcc
	v_lshrrev_b32_sdwa v4, s77, v4 dst_sel:DWORD dst_unused:UNUSED_PAD src0_sel:DWORD src1_sel:WORD_0
	v_and_b32_e32 v21, s63, v4
	v_mad_u32_u24 v4, v21, 20, v91
	; wave barrier
	ds_read_b32 v117, v4 offset:1040
	v_and_b32_e32 v4, 1, v21
	v_add_co_u32_e32 v22, vcc, -1, v4
	v_addc_co_u32_e64 v119, s[38:39], 0, -1, vcc
	v_cmp_ne_u32_e32 vcc, 0, v4
	v_xor_b32_e32 v4, vcc_hi, v119
	v_and_b32_e32 v119, exec_hi, v4
	v_lshlrev_b32_e32 v4, 30, v21
	v_xor_b32_e32 v22, vcc_lo, v22
	v_cmp_gt_i64_e32 vcc, 0, v[3:4]
	v_not_b32_e32 v4, v4
	v_ashrrev_i32_e32 v4, 31, v4
	v_and_b32_e32 v22, exec_lo, v22
	v_xor_b32_e32 v120, vcc_hi, v4
	v_xor_b32_e32 v4, vcc_lo, v4
	v_and_b32_e32 v22, v22, v4
	v_lshlrev_b32_e32 v4, 29, v21
	v_cmp_gt_i64_e32 vcc, 0, v[3:4]
	v_not_b32_e32 v4, v4
	v_ashrrev_i32_e32 v4, 31, v4
	v_and_b32_e32 v119, v119, v120
	v_xor_b32_e32 v120, vcc_hi, v4
	v_xor_b32_e32 v4, vcc_lo, v4
	v_and_b32_e32 v22, v22, v4
	v_lshlrev_b32_e32 v4, 28, v21
	v_cmp_gt_i64_e32 vcc, 0, v[3:4]
	v_not_b32_e32 v4, v4
	v_ashrrev_i32_e32 v4, 31, v4
	v_and_b32_e32 v119, v119, v120
	;; [unrolled: 8-line block ×5, first 2 shown]
	v_xor_b32_e32 v120, vcc_hi, v4
	v_xor_b32_e32 v4, vcc_lo, v4
	v_and_b32_e32 v119, v119, v120
	v_and_b32_e32 v120, v22, v4
	v_lshlrev_b32_e32 v4, 24, v21
	v_cmp_gt_i64_e32 vcc, 0, v[3:4]
	v_not_b32_e32 v4, v4
	v_ashrrev_i32_e32 v4, 31, v4
	v_mul_u32_u24_e32 v108, 20, v21
	v_xor_b32_e32 v21, vcc_hi, v4
	v_xor_b32_e32 v4, vcc_lo, v4
	v_and_b32_e32 v22, v119, v21
	v_and_b32_e32 v21, v120, v4
	v_mbcnt_lo_u32_b32 v4, v21, 0
	v_mbcnt_hi_u32_b32 v119, v22, v4
	v_cmp_ne_u64_e32 vcc, 0, v[21:22]
	v_cmp_eq_u32_e64 s[38:39], 0, v119
	s_and_b64 s[40:41], vcc, s[38:39]
	v_add_u32_e32 v108, v91, v108
	; wave barrier
	s_and_saveexec_b64 s[38:39], s[40:41]
	s_cbranch_execz .LBB1847_590
; %bb.589:                              ;   in Loop: Header=BB1847_558 Depth=2
	v_bcnt_u32_b32 v4, v21, 0
	v_bcnt_u32_b32 v4, v22, v4
	s_waitcnt lgkmcnt(0)
	v_add_u32_e32 v4, v117, v4
	ds_write_b32 v108, v4 offset:1040
.LBB1847_590:                           ;   in Loop: Header=BB1847_558 Depth=2
	s_or_b64 exec, exec, s[38:39]
	v_cmp_lt_i16_e32 vcc, -1, v24
	v_cndmask_b32_e32 v4, -1, v65, vcc
	v_xor_b32_e32 v120, v4, v24
	v_cmp_ne_u16_e32 vcc, s7, v120
	v_cndmask_b32_e32 v4, v65, v120, vcc
	v_lshrrev_b32_sdwa v4, s77, v4 dst_sel:DWORD dst_unused:UNUSED_PAD src0_sel:DWORD src1_sel:WORD_0
	v_and_b32_e32 v21, s63, v4
	v_mad_u32_u24 v4, v21, 20, v91
	; wave barrier
	ds_read_b32 v121, v4 offset:1040
	v_and_b32_e32 v4, 1, v21
	v_add_co_u32_e32 v22, vcc, -1, v4
	v_addc_co_u32_e64 v122, s[38:39], 0, -1, vcc
	v_cmp_ne_u32_e32 vcc, 0, v4
	v_xor_b32_e32 v4, vcc_hi, v122
	v_and_b32_e32 v122, exec_hi, v4
	v_lshlrev_b32_e32 v4, 30, v21
	v_xor_b32_e32 v22, vcc_lo, v22
	v_cmp_gt_i64_e32 vcc, 0, v[3:4]
	v_not_b32_e32 v4, v4
	v_ashrrev_i32_e32 v4, 31, v4
	v_and_b32_e32 v22, exec_lo, v22
	v_xor_b32_e32 v123, vcc_hi, v4
	v_xor_b32_e32 v4, vcc_lo, v4
	v_and_b32_e32 v22, v22, v4
	v_lshlrev_b32_e32 v4, 29, v21
	v_cmp_gt_i64_e32 vcc, 0, v[3:4]
	v_not_b32_e32 v4, v4
	v_ashrrev_i32_e32 v4, 31, v4
	v_and_b32_e32 v122, v122, v123
	v_xor_b32_e32 v123, vcc_hi, v4
	v_xor_b32_e32 v4, vcc_lo, v4
	v_and_b32_e32 v22, v22, v4
	v_lshlrev_b32_e32 v4, 28, v21
	v_cmp_gt_i64_e32 vcc, 0, v[3:4]
	v_not_b32_e32 v4, v4
	v_ashrrev_i32_e32 v4, 31, v4
	v_and_b32_e32 v122, v122, v123
	v_xor_b32_e32 v123, vcc_hi, v4
	v_xor_b32_e32 v4, vcc_lo, v4
	v_and_b32_e32 v22, v22, v4
	v_lshlrev_b32_e32 v4, 27, v21
	v_cmp_gt_i64_e32 vcc, 0, v[3:4]
	v_not_b32_e32 v4, v4
	v_ashrrev_i32_e32 v4, 31, v4
	v_and_b32_e32 v122, v122, v123
	v_xor_b32_e32 v123, vcc_hi, v4
	v_xor_b32_e32 v4, vcc_lo, v4
	v_and_b32_e32 v22, v22, v4
	v_lshlrev_b32_e32 v4, 26, v21
	v_cmp_gt_i64_e32 vcc, 0, v[3:4]
	v_not_b32_e32 v4, v4
	v_ashrrev_i32_e32 v4, 31, v4
	v_and_b32_e32 v122, v122, v123
	v_xor_b32_e32 v123, vcc_hi, v4
	v_xor_b32_e32 v4, vcc_lo, v4
	v_and_b32_e32 v22, v22, v4
	v_lshlrev_b32_e32 v4, 25, v21
	v_cmp_gt_i64_e32 vcc, 0, v[3:4]
	v_not_b32_e32 v4, v4
	v_ashrrev_i32_e32 v4, 31, v4
	v_and_b32_e32 v122, v122, v123
	v_xor_b32_e32 v123, vcc_hi, v4
	v_xor_b32_e32 v4, vcc_lo, v4
	v_and_b32_e32 v122, v122, v123
	v_and_b32_e32 v123, v22, v4
	v_lshlrev_b32_e32 v4, 24, v21
	v_cmp_gt_i64_e32 vcc, 0, v[3:4]
	v_not_b32_e32 v4, v4
	v_ashrrev_i32_e32 v4, 31, v4
	v_mul_u32_u24_e32 v24, 20, v21
	v_xor_b32_e32 v21, vcc_hi, v4
	v_xor_b32_e32 v4, vcc_lo, v4
	v_and_b32_e32 v22, v122, v21
	v_and_b32_e32 v21, v123, v4
	v_mbcnt_lo_u32_b32 v4, v21, 0
	v_mbcnt_hi_u32_b32 v122, v22, v4
	v_cmp_ne_u64_e32 vcc, 0, v[21:22]
	v_cmp_eq_u32_e64 s[38:39], 0, v122
	s_and_b64 s[40:41], vcc, s[38:39]
	v_add_u32_e32 v125, v91, v24
	; wave barrier
	s_and_saveexec_b64 s[38:39], s[40:41]
	s_cbranch_execz .LBB1847_592
; %bb.591:                              ;   in Loop: Header=BB1847_558 Depth=2
	v_bcnt_u32_b32 v4, v21, 0
	v_bcnt_u32_b32 v4, v22, v4
	s_waitcnt lgkmcnt(0)
	v_add_u32_e32 v4, v121, v4
	ds_write_b32 v125, v4 offset:1040
.LBB1847_592:                           ;   in Loop: Header=BB1847_558 Depth=2
	s_or_b64 exec, exec, s[38:39]
	v_cmp_lt_i16_e32 vcc, -1, v23
	v_cndmask_b32_e32 v4, -1, v65, vcc
	v_xor_b32_e32 v123, v4, v23
	v_cmp_ne_u16_e32 vcc, s7, v123
	v_cndmask_b32_e32 v4, v65, v123, vcc
	v_lshrrev_b32_sdwa v4, s77, v4 dst_sel:DWORD dst_unused:UNUSED_PAD src0_sel:DWORD src1_sel:WORD_0
	v_and_b32_e32 v21, s63, v4
	v_mad_u32_u24 v4, v21, 20, v91
	; wave barrier
	ds_read_b32 v124, v4 offset:1040
	v_and_b32_e32 v4, 1, v21
	v_add_co_u32_e32 v22, vcc, -1, v4
	v_addc_co_u32_e64 v24, s[38:39], 0, -1, vcc
	v_cmp_ne_u32_e32 vcc, 0, v4
	v_xor_b32_e32 v4, vcc_hi, v24
	v_and_b32_e32 v24, exec_hi, v4
	v_lshlrev_b32_e32 v4, 30, v21
	v_xor_b32_e32 v22, vcc_lo, v22
	v_cmp_gt_i64_e32 vcc, 0, v[3:4]
	v_not_b32_e32 v4, v4
	v_ashrrev_i32_e32 v4, 31, v4
	v_and_b32_e32 v22, exec_lo, v22
	v_xor_b32_e32 v126, vcc_hi, v4
	v_xor_b32_e32 v4, vcc_lo, v4
	v_and_b32_e32 v22, v22, v4
	v_lshlrev_b32_e32 v4, 29, v21
	v_cmp_gt_i64_e32 vcc, 0, v[3:4]
	v_not_b32_e32 v4, v4
	v_ashrrev_i32_e32 v4, 31, v4
	v_and_b32_e32 v24, v24, v126
	v_xor_b32_e32 v126, vcc_hi, v4
	v_xor_b32_e32 v4, vcc_lo, v4
	v_and_b32_e32 v22, v22, v4
	v_lshlrev_b32_e32 v4, 28, v21
	v_cmp_gt_i64_e32 vcc, 0, v[3:4]
	v_not_b32_e32 v4, v4
	v_ashrrev_i32_e32 v4, 31, v4
	v_and_b32_e32 v24, v24, v126
	;; [unrolled: 8-line block ×5, first 2 shown]
	v_xor_b32_e32 v126, vcc_hi, v4
	v_xor_b32_e32 v4, vcc_lo, v4
	v_and_b32_e32 v24, v24, v126
	v_and_b32_e32 v126, v22, v4
	v_lshlrev_b32_e32 v4, 24, v21
	v_cmp_gt_i64_e32 vcc, 0, v[3:4]
	v_not_b32_e32 v4, v4
	v_ashrrev_i32_e32 v4, 31, v4
	v_mul_u32_u24_e32 v23, 20, v21
	v_xor_b32_e32 v21, vcc_hi, v4
	v_xor_b32_e32 v4, vcc_lo, v4
	v_and_b32_e32 v22, v24, v21
	v_and_b32_e32 v21, v126, v4
	v_mbcnt_lo_u32_b32 v4, v21, 0
	v_mbcnt_hi_u32_b32 v126, v22, v4
	v_cmp_ne_u64_e32 vcc, 0, v[21:22]
	v_cmp_eq_u32_e64 s[38:39], 0, v126
	s_and_b64 s[40:41], vcc, s[38:39]
	v_add_u32_e32 v4, v91, v23
	; wave barrier
	s_and_saveexec_b64 s[38:39], s[40:41]
	s_cbranch_execz .LBB1847_594
; %bb.593:                              ;   in Loop: Header=BB1847_558 Depth=2
	v_bcnt_u32_b32 v21, v21, 0
	v_bcnt_u32_b32 v21, v22, v21
	s_waitcnt lgkmcnt(0)
	v_add_u32_e32 v21, v124, v21
	ds_write_b32 v4, v21 offset:1040
.LBB1847_594:                           ;   in Loop: Header=BB1847_558 Depth=2
	s_or_b64 exec, exec, s[38:39]
	; wave barrier
	s_waitcnt lgkmcnt(0)
	s_barrier
	ds_read2_b32 v[23:24], v62 offset1:1
	ds_read2_b32 v[21:22], v63 offset1:1
	ds_read_b32 v127, v41 offset:1056
	s_waitcnt lgkmcnt(1)
	v_add3_u32 v128, v24, v23, v21
	s_waitcnt lgkmcnt(0)
	v_add3_u32 v127, v128, v22, v127
	s_nop 1
	v_mov_b32_dpp v128, v127 row_shr:1 row_mask:0xf bank_mask:0xf
	v_cndmask_b32_e64 v128, v128, 0, s[18:19]
	v_add_u32_e32 v127, v128, v127
	s_nop 1
	v_mov_b32_dpp v128, v127 row_shr:2 row_mask:0xf bank_mask:0xf
	v_cndmask_b32_e64 v128, 0, v128, s[20:21]
	v_add_u32_e32 v127, v127, v128
	;; [unrolled: 4-line block ×4, first 2 shown]
	s_nop 1
	v_mov_b32_dpp v128, v127 row_bcast:15 row_mask:0xf bank_mask:0xf
	v_cndmask_b32_e64 v128, v128, 0, s[26:27]
	v_add_u32_e32 v127, v127, v128
	s_nop 1
	v_mov_b32_dpp v128, v127 row_bcast:31 row_mask:0xf bank_mask:0xf
	v_cndmask_b32_e64 v128, 0, v128, s[28:29]
	v_add_u32_e32 v127, v127, v128
	s_and_saveexec_b64 s[38:39], s[8:9]
; %bb.595:                              ;   in Loop: Header=BB1847_558 Depth=2
	ds_write_b32 v37, v127 offset:1024
; %bb.596:                              ;   in Loop: Header=BB1847_558 Depth=2
	s_or_b64 exec, exec, s[38:39]
	s_waitcnt lgkmcnt(0)
	s_barrier
	s_and_saveexec_b64 s[38:39], s[10:11]
	s_cbranch_execz .LBB1847_598
; %bb.597:                              ;   in Loop: Header=BB1847_558 Depth=2
	ds_read_b32 v128, v42 offset:1024
	s_waitcnt lgkmcnt(0)
	s_nop 0
	v_mov_b32_dpp v129, v128 row_shr:1 row_mask:0xf bank_mask:0xf
	v_cndmask_b32_e64 v129, v129, 0, s[34:35]
	v_add_u32_e32 v128, v129, v128
	s_nop 1
	v_mov_b32_dpp v129, v128 row_shr:2 row_mask:0xf bank_mask:0xf
	v_cndmask_b32_e64 v129, 0, v129, s[36:37]
	v_add_u32_e32 v128, v128, v129
	ds_write_b32 v42, v128 offset:1024
.LBB1847_598:                           ;   in Loop: Header=BB1847_558 Depth=2
	s_or_b64 exec, exec, s[38:39]
	v_mov_b32_e32 v128, 0
	s_waitcnt lgkmcnt(0)
	s_barrier
	s_and_saveexec_b64 s[38:39], s[12:13]
; %bb.599:                              ;   in Loop: Header=BB1847_558 Depth=2
	ds_read_b32 v128, v37 offset:1020
; %bb.600:                              ;   in Loop: Header=BB1847_558 Depth=2
	s_or_b64 exec, exec, s[38:39]
	s_waitcnt lgkmcnt(0)
	v_add_u32_e32 v127, v128, v127
	ds_bpermute_b32 v127, v82, v127
	s_waitcnt lgkmcnt(0)
	v_cndmask_b32_e64 v127, v127, v128, s[30:31]
	v_cndmask_b32_e64 v127, v127, 0, s[14:15]
	v_add_u32_e32 v23, v127, v23
	v_add_u32_e32 v24, v23, v24
	;; [unrolled: 1-line block ×4, first 2 shown]
	ds_write2_b32 v62, v127, v23 offset1:1
	ds_write2_b32 v63, v24, v21 offset1:1
	ds_write_b32 v41, v22 offset:1056
	s_waitcnt lgkmcnt(0)
	s_barrier
	ds_read_b32 v21, v101 offset:1040
	ds_read_b32 v22, v105 offset:1040
	;; [unrolled: 1-line block ×9, first 2 shown]
	v_mov_b32_e32 v4, 0x800
	s_and_saveexec_b64 s[38:39], s[16:17]
; %bb.601:                              ;   in Loop: Header=BB1847_558 Depth=2
	ds_read_b32 v4, v41 offset:1060
; %bb.602:                              ;   in Loop: Header=BB1847_558 Depth=2
	s_or_b64 exec, exec, s[38:39]
	s_waitcnt lgkmcnt(0)
	s_barrier
	s_and_saveexec_b64 s[38:39], s[4:5]
	s_cbranch_execz .LBB1847_604
; %bb.603:                              ;   in Loop: Header=BB1847_558 Depth=2
	ds_read_b32 v105, v25
	s_waitcnt lgkmcnt(0)
	v_sub_u32_e32 v101, v105, v101
	ds_write_b32 v25, v101
.LBB1847_604:                           ;   in Loop: Header=BB1847_558 Depth=2
	s_or_b64 exec, exec, s[38:39]
	v_add_u32_e32 v108, v21, v98
	v_add3_u32 v105, v102, v100, v22
	v_lshlrev_b32_e32 v21, 1, v108
	v_add3_u32 v102, v106, v104, v23
	ds_write_b16 v21, v97 offset:1024
	v_lshlrev_b32_e32 v21, 1, v105
	v_add3_u32 v101, v111, v109, v24
	ds_write_b16 v21, v99 offset:1024
	;; [unrolled: 3-line block ×6, first 2 shown]
	v_lshlrev_b32_e32 v21, 1, v24
	ds_write_b16 v21, v120 offset:1024
	v_lshlrev_b32_e32 v21, 1, v23
	v_cmp_lt_u32_e32 vcc, v0, v96
	ds_write_b16 v21, v123 offset:1024
	s_waitcnt lgkmcnt(0)
	s_barrier
	s_and_saveexec_b64 s[40:41], vcc
	s_cbranch_execnz .LBB1847_641
; %bb.605:                              ;   in Loop: Header=BB1847_558 Depth=2
	s_or_b64 exec, exec, s[40:41]
	v_cmp_lt_u32_e64 s[38:39], v26, v96
	s_and_saveexec_b64 s[42:43], s[38:39]
	s_cbranch_execnz .LBB1847_642
.LBB1847_606:                           ;   in Loop: Header=BB1847_558 Depth=2
	s_or_b64 exec, exec, s[42:43]
	v_cmp_lt_u32_e64 s[40:41], v27, v96
	s_and_saveexec_b64 s[44:45], s[40:41]
	s_cbranch_execnz .LBB1847_643
.LBB1847_607:                           ;   in Loop: Header=BB1847_558 Depth=2
	s_or_b64 exec, exec, s[44:45]
	v_cmp_lt_u32_e64 s[42:43], v28, v96
	s_and_saveexec_b64 s[46:47], s[42:43]
	s_cbranch_execnz .LBB1847_644
.LBB1847_608:                           ;   in Loop: Header=BB1847_558 Depth=2
	s_or_b64 exec, exec, s[46:47]
	v_cmp_lt_u32_e64 s[44:45], v31, v96
	s_and_saveexec_b64 s[48:49], s[44:45]
	s_cbranch_execnz .LBB1847_645
.LBB1847_609:                           ;   in Loop: Header=BB1847_558 Depth=2
	s_or_b64 exec, exec, s[48:49]
	v_cmp_lt_u32_e64 s[46:47], v32, v96
	s_and_saveexec_b64 s[50:51], s[46:47]
	s_cbranch_execnz .LBB1847_646
.LBB1847_610:                           ;   in Loop: Header=BB1847_558 Depth=2
	s_or_b64 exec, exec, s[50:51]
	v_cmp_lt_u32_e64 s[48:49], v33, v96
	s_and_saveexec_b64 s[52:53], s[48:49]
	s_cbranch_execnz .LBB1847_647
.LBB1847_611:                           ;   in Loop: Header=BB1847_558 Depth=2
	s_or_b64 exec, exec, s[52:53]
	v_cmp_lt_u32_e64 s[50:51], v34, v96
	s_and_saveexec_b64 s[60:61], s[50:51]
	s_cbranch_execz .LBB1847_613
.LBB1847_612:                           ;   in Loop: Header=BB1847_558 Depth=2
	ds_read_u16 v21, v47 offset:4608
	v_mov_b32_e32 v22, v3
	v_mov_b32_e32 v99, s69
	s_waitcnt lgkmcnt(0)
	v_cmp_ne_u16_e64 s[52:53], s7, v21
	v_cndmask_b32_e64 v97, v65, v21, s[52:53]
	v_lshrrev_b32_sdwa v97, s77, v97 dst_sel:DWORD dst_unused:UNUSED_PAD src0_sel:DWORD src1_sel:WORD_0
	v_and_b32_e32 v97, s63, v97
	v_lshlrev_b32_e32 v97, 2, v97
	ds_read_b32 v97, v97
	v_cmp_lt_i16_e64 s[52:53], -1, v21
	v_cndmask_b32_e64 v103, v65, -1, s[52:53]
	v_xor_b32_e32 v103, v103, v21
	s_waitcnt lgkmcnt(0)
	v_add_u32_e32 v21, v97, v34
	v_lshlrev_b64 v[21:22], 1, v[21:22]
	v_add_co_u32_e64 v21, s[52:53], s68, v21
	v_addc_co_u32_e64 v22, s[52:53], v99, v22, s[52:53]
	global_store_short v[21:22], v103, off
.LBB1847_613:                           ;   in Loop: Header=BB1847_558 Depth=2
	s_or_b64 exec, exec, s[60:61]
	s_lshl_b64 s[52:53], s[58:59], 3
	v_mov_b32_e32 v22, s53
	v_add_co_u32_e64 v21, s[52:53], s52, v83
	v_addc_co_u32_e64 v22, s[52:53], v84, v22, s[52:53]
	v_cmp_lt_u32_e64 s[52:53], v73, v96
	s_and_saveexec_b64 s[60:61], s[52:53]
	s_xor_b64 s[52:53], exec, s[60:61]
	s_cbranch_execnz .LBB1847_648
; %bb.614:                              ;   in Loop: Header=BB1847_558 Depth=2
	s_or_b64 exec, exec, s[52:53]
	v_cmp_lt_u32_e64 s[52:53], v74, v96
	s_and_saveexec_b64 s[60:61], s[52:53]
	s_cbranch_execnz .LBB1847_649
.LBB1847_615:                           ;   in Loop: Header=BB1847_558 Depth=2
	s_or_b64 exec, exec, s[60:61]
	v_cmp_lt_u32_e64 s[52:53], v75, v96
	s_and_saveexec_b64 s[60:61], s[52:53]
	s_cbranch_execnz .LBB1847_650
.LBB1847_616:                           ;   in Loop: Header=BB1847_558 Depth=2
	s_or_b64 exec, exec, s[60:61]
	v_cmp_lt_u32_e64 s[52:53], v76, v96
	s_and_saveexec_b64 s[60:61], s[52:53]
	s_cbranch_execnz .LBB1847_651
.LBB1847_617:                           ;   in Loop: Header=BB1847_558 Depth=2
	s_or_b64 exec, exec, s[60:61]
	v_cmp_lt_u32_e64 s[52:53], v77, v96
	s_and_saveexec_b64 s[60:61], s[52:53]
	s_cbranch_execnz .LBB1847_652
.LBB1847_618:                           ;   in Loop: Header=BB1847_558 Depth=2
	s_or_b64 exec, exec, s[60:61]
	v_cmp_lt_u32_e64 s[52:53], v78, v96
	s_and_saveexec_b64 s[60:61], s[52:53]
	s_cbranch_execnz .LBB1847_653
.LBB1847_619:                           ;   in Loop: Header=BB1847_558 Depth=2
	s_or_b64 exec, exec, s[60:61]
	v_cmp_lt_u32_e64 s[52:53], v79, v96
	s_and_saveexec_b64 s[60:61], s[52:53]
	s_cbranch_execnz .LBB1847_654
.LBB1847_620:                           ;   in Loop: Header=BB1847_558 Depth=2
	s_or_b64 exec, exec, s[60:61]
	v_cmp_lt_u32_e64 s[52:53], v80, v96
	s_and_saveexec_b64 s[60:61], s[52:53]
	s_cbranch_execnz .LBB1847_655
.LBB1847_621:                           ;   in Loop: Header=BB1847_558 Depth=2
	s_or_b64 exec, exec, s[60:61]
	s_and_saveexec_b64 s[60:61], vcc
	s_cbranch_execnz .LBB1847_656
.LBB1847_622:                           ;   in Loop: Header=BB1847_558 Depth=2
	s_or_b64 exec, exec, s[60:61]
	s_and_saveexec_b64 s[60:61], s[38:39]
	s_cbranch_execnz .LBB1847_657
.LBB1847_623:                           ;   in Loop: Header=BB1847_558 Depth=2
	s_or_b64 exec, exec, s[60:61]
	s_and_saveexec_b64 s[60:61], s[40:41]
	s_cbranch_execnz .LBB1847_658
.LBB1847_624:                           ;   in Loop: Header=BB1847_558 Depth=2
	s_or_b64 exec, exec, s[60:61]
	s_and_saveexec_b64 s[60:61], s[42:43]
	s_cbranch_execnz .LBB1847_659
.LBB1847_625:                           ;   in Loop: Header=BB1847_558 Depth=2
	s_or_b64 exec, exec, s[60:61]
	s_and_saveexec_b64 s[60:61], s[44:45]
	s_cbranch_execnz .LBB1847_660
.LBB1847_626:                           ;   in Loop: Header=BB1847_558 Depth=2
	s_or_b64 exec, exec, s[60:61]
	s_and_saveexec_b64 s[60:61], s[46:47]
	s_cbranch_execnz .LBB1847_661
.LBB1847_627:                           ;   in Loop: Header=BB1847_558 Depth=2
	s_or_b64 exec, exec, s[60:61]
	s_and_saveexec_b64 s[60:61], s[48:49]
	s_cbranch_execnz .LBB1847_662
.LBB1847_628:                           ;   in Loop: Header=BB1847_558 Depth=2
	s_or_b64 exec, exec, s[60:61]
	s_and_saveexec_b64 s[60:61], s[50:51]
	s_cbranch_execz .LBB1847_630
.LBB1847_629:                           ;   in Loop: Header=BB1847_558 Depth=2
	ds_read_u16 v21, v47 offset:4608
	s_waitcnt lgkmcnt(0)
	v_cmp_ne_u16_e64 s[52:53], s7, v21
	v_cndmask_b32_e64 v21, v65, v21, s[52:53]
	v_lshrrev_b32_sdwa v21, s77, v21 dst_sel:DWORD dst_unused:UNUSED_PAD src0_sel:DWORD src1_sel:WORD_0
	v_and_b32_e32 v87, s63, v21
.LBB1847_630:                           ;   in Loop: Header=BB1847_558 Depth=2
	s_or_b64 exec, exec, s[60:61]
	v_lshlrev_b32_e32 v21, 3, v108
	s_waitcnt vmcnt(0)
	s_barrier
	ds_write_b64 v21, v[19:20] offset:1024
	v_lshlrev_b32_e32 v21, 3, v105
	ds_write_b64 v21, v[17:18] offset:1024
	v_lshlrev_b32_e32 v21, 3, v102
	;; [unrolled: 2-line block ×7, first 2 shown]
	ds_write_b64 v21, v[5:6] offset:1024
	v_add_u32_e32 v21, v47, v48
	s_waitcnt lgkmcnt(0)
	s_barrier
	s_and_saveexec_b64 s[52:53], vcc
	s_cbranch_execnz .LBB1847_663
; %bb.631:                              ;   in Loop: Header=BB1847_558 Depth=2
	s_or_b64 exec, exec, s[52:53]
	s_and_saveexec_b64 s[52:53], s[38:39]
	s_cbranch_execnz .LBB1847_664
.LBB1847_632:                           ;   in Loop: Header=BB1847_558 Depth=2
	s_or_b64 exec, exec, s[52:53]
	s_and_saveexec_b64 s[38:39], s[40:41]
	s_cbranch_execnz .LBB1847_665
.LBB1847_633:                           ;   in Loop: Header=BB1847_558 Depth=2
	s_or_b64 exec, exec, s[38:39]
	s_and_saveexec_b64 s[38:39], s[42:43]
	s_cbranch_execnz .LBB1847_666
.LBB1847_634:                           ;   in Loop: Header=BB1847_558 Depth=2
	s_or_b64 exec, exec, s[38:39]
	s_and_saveexec_b64 s[38:39], s[44:45]
	s_cbranch_execnz .LBB1847_667
.LBB1847_635:                           ;   in Loop: Header=BB1847_558 Depth=2
	s_or_b64 exec, exec, s[38:39]
	s_and_saveexec_b64 s[38:39], s[46:47]
	s_cbranch_execnz .LBB1847_668
.LBB1847_636:                           ;   in Loop: Header=BB1847_558 Depth=2
	s_or_b64 exec, exec, s[38:39]
	s_and_saveexec_b64 s[38:39], s[48:49]
	s_cbranch_execnz .LBB1847_669
.LBB1847_637:                           ;   in Loop: Header=BB1847_558 Depth=2
	s_or_b64 exec, exec, s[38:39]
	s_and_saveexec_b64 s[38:39], s[50:51]
	s_cbranch_execz .LBB1847_639
.LBB1847_638:                           ;   in Loop: Header=BB1847_558 Depth=2
	v_lshlrev_b32_e32 v22, 2, v87
	ds_read_b32 v23, v22
	ds_read_b64 v[21:22], v21 offset:15360
	v_mov_b32_e32 v24, v3
	v_mov_b32_e32 v96, s75
	s_waitcnt lgkmcnt(1)
	v_add_u32_e32 v23, v23, v34
	v_lshlrev_b64 v[23:24], 3, v[23:24]
	v_add_co_u32_e32 v23, vcc, s74, v23
	v_addc_co_u32_e32 v24, vcc, v96, v24, vcc
	s_waitcnt lgkmcnt(0)
	global_store_dwordx2 v[23:24], v[21:22], off
.LBB1847_639:                           ;   in Loop: Header=BB1847_558 Depth=2
	s_or_b64 exec, exec, s[38:39]
	s_waitcnt vmcnt(0)
	s_barrier
	s_and_saveexec_b64 s[38:39], s[4:5]
	s_cbranch_execz .LBB1847_557
; %bb.640:                              ;   in Loop: Header=BB1847_558 Depth=2
	ds_read_b32 v21, v25
	s_waitcnt lgkmcnt(0)
	v_add_u32_e32 v4, v21, v4
	ds_write_b32 v25, v4
	s_branch .LBB1847_557
.LBB1847_641:                           ;   in Loop: Header=BB1847_558 Depth=2
	ds_read_u16 v21, v47 offset:1024
	v_mov_b32_e32 v22, v3
	v_mov_b32_e32 v99, s69
	s_waitcnt lgkmcnt(0)
	v_cmp_ne_u16_e64 s[38:39], s7, v21
	v_cndmask_b32_e64 v97, v65, v21, s[38:39]
	v_lshrrev_b32_sdwa v97, s77, v97 dst_sel:DWORD dst_unused:UNUSED_PAD src0_sel:DWORD src1_sel:WORD_0
	v_and_b32_e32 v97, s63, v97
	v_lshlrev_b32_e32 v97, 2, v97
	ds_read_b32 v97, v97
	v_cmp_lt_i16_e64 s[38:39], -1, v21
	v_cndmask_b32_e64 v103, v65, -1, s[38:39]
	v_xor_b32_e32 v103, v103, v21
	s_waitcnt lgkmcnt(0)
	v_add_u32_e32 v21, v97, v0
	v_lshlrev_b64 v[21:22], 1, v[21:22]
	v_add_co_u32_e64 v21, s[38:39], s68, v21
	v_addc_co_u32_e64 v22, s[38:39], v99, v22, s[38:39]
	global_store_short v[21:22], v103, off
	s_or_b64 exec, exec, s[40:41]
	v_cmp_lt_u32_e64 s[38:39], v26, v96
	s_and_saveexec_b64 s[42:43], s[38:39]
	s_cbranch_execz .LBB1847_606
.LBB1847_642:                           ;   in Loop: Header=BB1847_558 Depth=2
	ds_read_u16 v21, v47 offset:1536
	v_mov_b32_e32 v22, v3
	v_mov_b32_e32 v99, s69
	s_waitcnt lgkmcnt(0)
	v_cmp_ne_u16_e64 s[40:41], s7, v21
	v_cndmask_b32_e64 v97, v65, v21, s[40:41]
	v_lshrrev_b32_sdwa v97, s77, v97 dst_sel:DWORD dst_unused:UNUSED_PAD src0_sel:DWORD src1_sel:WORD_0
	v_and_b32_e32 v97, s63, v97
	v_lshlrev_b32_e32 v97, 2, v97
	ds_read_b32 v97, v97
	v_cmp_lt_i16_e64 s[40:41], -1, v21
	v_cndmask_b32_e64 v103, v65, -1, s[40:41]
	v_xor_b32_e32 v103, v103, v21
	s_waitcnt lgkmcnt(0)
	v_add_u32_e32 v21, v97, v26
	v_lshlrev_b64 v[21:22], 1, v[21:22]
	v_add_co_u32_e64 v21, s[40:41], s68, v21
	v_addc_co_u32_e64 v22, s[40:41], v99, v22, s[40:41]
	global_store_short v[21:22], v103, off
	s_or_b64 exec, exec, s[42:43]
	v_cmp_lt_u32_e64 s[40:41], v27, v96
	s_and_saveexec_b64 s[44:45], s[40:41]
	s_cbranch_execz .LBB1847_607
.LBB1847_643:                           ;   in Loop: Header=BB1847_558 Depth=2
	ds_read_u16 v21, v47 offset:2048
	v_mov_b32_e32 v22, v3
	v_mov_b32_e32 v99, s69
	s_waitcnt lgkmcnt(0)
	v_cmp_ne_u16_e64 s[42:43], s7, v21
	v_cndmask_b32_e64 v97, v65, v21, s[42:43]
	v_lshrrev_b32_sdwa v97, s77, v97 dst_sel:DWORD dst_unused:UNUSED_PAD src0_sel:DWORD src1_sel:WORD_0
	v_and_b32_e32 v97, s63, v97
	v_lshlrev_b32_e32 v97, 2, v97
	ds_read_b32 v97, v97
	v_cmp_lt_i16_e64 s[42:43], -1, v21
	v_cndmask_b32_e64 v103, v65, -1, s[42:43]
	v_xor_b32_e32 v103, v103, v21
	s_waitcnt lgkmcnt(0)
	v_add_u32_e32 v21, v97, v27
	v_lshlrev_b64 v[21:22], 1, v[21:22]
	v_add_co_u32_e64 v21, s[42:43], s68, v21
	v_addc_co_u32_e64 v22, s[42:43], v99, v22, s[42:43]
	global_store_short v[21:22], v103, off
	s_or_b64 exec, exec, s[44:45]
	v_cmp_lt_u32_e64 s[42:43], v28, v96
	s_and_saveexec_b64 s[46:47], s[42:43]
	s_cbranch_execz .LBB1847_608
.LBB1847_644:                           ;   in Loop: Header=BB1847_558 Depth=2
	ds_read_u16 v21, v47 offset:2560
	v_mov_b32_e32 v22, v3
	v_mov_b32_e32 v99, s69
	s_waitcnt lgkmcnt(0)
	v_cmp_ne_u16_e64 s[44:45], s7, v21
	v_cndmask_b32_e64 v97, v65, v21, s[44:45]
	v_lshrrev_b32_sdwa v97, s77, v97 dst_sel:DWORD dst_unused:UNUSED_PAD src0_sel:DWORD src1_sel:WORD_0
	v_and_b32_e32 v97, s63, v97
	v_lshlrev_b32_e32 v97, 2, v97
	ds_read_b32 v97, v97
	v_cmp_lt_i16_e64 s[44:45], -1, v21
	v_cndmask_b32_e64 v103, v65, -1, s[44:45]
	v_xor_b32_e32 v103, v103, v21
	s_waitcnt lgkmcnt(0)
	v_add_u32_e32 v21, v97, v28
	v_lshlrev_b64 v[21:22], 1, v[21:22]
	v_add_co_u32_e64 v21, s[44:45], s68, v21
	v_addc_co_u32_e64 v22, s[44:45], v99, v22, s[44:45]
	global_store_short v[21:22], v103, off
	s_or_b64 exec, exec, s[46:47]
	v_cmp_lt_u32_e64 s[44:45], v31, v96
	s_and_saveexec_b64 s[48:49], s[44:45]
	s_cbranch_execz .LBB1847_609
.LBB1847_645:                           ;   in Loop: Header=BB1847_558 Depth=2
	ds_read_u16 v21, v47 offset:3072
	v_mov_b32_e32 v22, v3
	v_mov_b32_e32 v99, s69
	s_waitcnt lgkmcnt(0)
	v_cmp_ne_u16_e64 s[46:47], s7, v21
	v_cndmask_b32_e64 v97, v65, v21, s[46:47]
	v_lshrrev_b32_sdwa v97, s77, v97 dst_sel:DWORD dst_unused:UNUSED_PAD src0_sel:DWORD src1_sel:WORD_0
	v_and_b32_e32 v97, s63, v97
	v_lshlrev_b32_e32 v97, 2, v97
	ds_read_b32 v97, v97
	v_cmp_lt_i16_e64 s[46:47], -1, v21
	v_cndmask_b32_e64 v103, v65, -1, s[46:47]
	v_xor_b32_e32 v103, v103, v21
	s_waitcnt lgkmcnt(0)
	v_add_u32_e32 v21, v97, v31
	v_lshlrev_b64 v[21:22], 1, v[21:22]
	v_add_co_u32_e64 v21, s[46:47], s68, v21
	v_addc_co_u32_e64 v22, s[46:47], v99, v22, s[46:47]
	global_store_short v[21:22], v103, off
	s_or_b64 exec, exec, s[48:49]
	v_cmp_lt_u32_e64 s[46:47], v32, v96
	s_and_saveexec_b64 s[50:51], s[46:47]
	s_cbranch_execz .LBB1847_610
.LBB1847_646:                           ;   in Loop: Header=BB1847_558 Depth=2
	ds_read_u16 v21, v47 offset:3584
	v_mov_b32_e32 v22, v3
	v_mov_b32_e32 v99, s69
	s_waitcnt lgkmcnt(0)
	v_cmp_ne_u16_e64 s[48:49], s7, v21
	v_cndmask_b32_e64 v97, v65, v21, s[48:49]
	v_lshrrev_b32_sdwa v97, s77, v97 dst_sel:DWORD dst_unused:UNUSED_PAD src0_sel:DWORD src1_sel:WORD_0
	v_and_b32_e32 v97, s63, v97
	v_lshlrev_b32_e32 v97, 2, v97
	ds_read_b32 v97, v97
	v_cmp_lt_i16_e64 s[48:49], -1, v21
	v_cndmask_b32_e64 v103, v65, -1, s[48:49]
	v_xor_b32_e32 v103, v103, v21
	s_waitcnt lgkmcnt(0)
	v_add_u32_e32 v21, v97, v32
	v_lshlrev_b64 v[21:22], 1, v[21:22]
	v_add_co_u32_e64 v21, s[48:49], s68, v21
	v_addc_co_u32_e64 v22, s[48:49], v99, v22, s[48:49]
	global_store_short v[21:22], v103, off
	s_or_b64 exec, exec, s[50:51]
	v_cmp_lt_u32_e64 s[48:49], v33, v96
	s_and_saveexec_b64 s[52:53], s[48:49]
	s_cbranch_execz .LBB1847_611
.LBB1847_647:                           ;   in Loop: Header=BB1847_558 Depth=2
	ds_read_u16 v21, v47 offset:4096
	v_mov_b32_e32 v22, v3
	v_mov_b32_e32 v99, s69
	s_waitcnt lgkmcnt(0)
	v_cmp_ne_u16_e64 s[50:51], s7, v21
	v_cndmask_b32_e64 v97, v65, v21, s[50:51]
	v_lshrrev_b32_sdwa v97, s77, v97 dst_sel:DWORD dst_unused:UNUSED_PAD src0_sel:DWORD src1_sel:WORD_0
	v_and_b32_e32 v97, s63, v97
	v_lshlrev_b32_e32 v97, 2, v97
	ds_read_b32 v97, v97
	v_cmp_lt_i16_e64 s[50:51], -1, v21
	v_cndmask_b32_e64 v103, v65, -1, s[50:51]
	v_xor_b32_e32 v103, v103, v21
	s_waitcnt lgkmcnt(0)
	v_add_u32_e32 v21, v97, v33
	v_lshlrev_b64 v[21:22], 1, v[21:22]
	v_add_co_u32_e64 v21, s[50:51], s68, v21
	v_addc_co_u32_e64 v22, s[50:51], v99, v22, s[50:51]
	global_store_short v[21:22], v103, off
	s_or_b64 exec, exec, s[52:53]
	v_cmp_lt_u32_e64 s[50:51], v34, v96
	s_and_saveexec_b64 s[60:61], s[50:51]
	s_cbranch_execnz .LBB1847_612
	s_branch .LBB1847_613
.LBB1847_648:                           ;   in Loop: Header=BB1847_558 Depth=2
	global_load_dwordx2 v[19:20], v[21:22], off
	s_or_b64 exec, exec, s[52:53]
	v_cmp_lt_u32_e64 s[52:53], v74, v96
	s_and_saveexec_b64 s[60:61], s[52:53]
	s_cbranch_execz .LBB1847_615
.LBB1847_649:                           ;   in Loop: Header=BB1847_558 Depth=2
	global_load_dwordx2 v[17:18], v[21:22], off offset:512
	s_or_b64 exec, exec, s[60:61]
	v_cmp_lt_u32_e64 s[52:53], v75, v96
	s_and_saveexec_b64 s[60:61], s[52:53]
	s_cbranch_execz .LBB1847_616
.LBB1847_650:                           ;   in Loop: Header=BB1847_558 Depth=2
	global_load_dwordx2 v[15:16], v[21:22], off offset:1024
	s_or_b64 exec, exec, s[60:61]
	v_cmp_lt_u32_e64 s[52:53], v76, v96
	s_and_saveexec_b64 s[60:61], s[52:53]
	s_cbranch_execz .LBB1847_617
.LBB1847_651:                           ;   in Loop: Header=BB1847_558 Depth=2
	global_load_dwordx2 v[13:14], v[21:22], off offset:1536
	s_or_b64 exec, exec, s[60:61]
	v_cmp_lt_u32_e64 s[52:53], v77, v96
	s_and_saveexec_b64 s[60:61], s[52:53]
	s_cbranch_execz .LBB1847_618
.LBB1847_652:                           ;   in Loop: Header=BB1847_558 Depth=2
	global_load_dwordx2 v[11:12], v[21:22], off offset:2048
	s_or_b64 exec, exec, s[60:61]
	v_cmp_lt_u32_e64 s[52:53], v78, v96
	s_and_saveexec_b64 s[60:61], s[52:53]
	s_cbranch_execz .LBB1847_619
.LBB1847_653:                           ;   in Loop: Header=BB1847_558 Depth=2
	global_load_dwordx2 v[9:10], v[21:22], off offset:2560
	s_or_b64 exec, exec, s[60:61]
	v_cmp_lt_u32_e64 s[52:53], v79, v96
	s_and_saveexec_b64 s[60:61], s[52:53]
	s_cbranch_execz .LBB1847_620
.LBB1847_654:                           ;   in Loop: Header=BB1847_558 Depth=2
	global_load_dwordx2 v[7:8], v[21:22], off offset:3072
	s_or_b64 exec, exec, s[60:61]
	v_cmp_lt_u32_e64 s[52:53], v80, v96
	s_and_saveexec_b64 s[60:61], s[52:53]
	s_cbranch_execz .LBB1847_621
.LBB1847_655:                           ;   in Loop: Header=BB1847_558 Depth=2
	global_load_dwordx2 v[5:6], v[21:22], off offset:3584
	s_or_b64 exec, exec, s[60:61]
	s_and_saveexec_b64 s[60:61], vcc
	s_cbranch_execz .LBB1847_622
.LBB1847_656:                           ;   in Loop: Header=BB1847_558 Depth=2
	ds_read_u16 v21, v47 offset:1024
	s_waitcnt lgkmcnt(0)
	v_cmp_ne_u16_e64 s[52:53], s7, v21
	v_cndmask_b32_e64 v21, v65, v21, s[52:53]
	v_lshrrev_b32_sdwa v21, s77, v21 dst_sel:DWORD dst_unused:UNUSED_PAD src0_sel:DWORD src1_sel:WORD_0
	v_and_b32_e32 v95, s63, v21
	s_or_b64 exec, exec, s[60:61]
	s_and_saveexec_b64 s[60:61], s[38:39]
	s_cbranch_execz .LBB1847_623
.LBB1847_657:                           ;   in Loop: Header=BB1847_558 Depth=2
	ds_read_u16 v21, v47 offset:1536
	s_waitcnt lgkmcnt(0)
	v_cmp_ne_u16_e64 s[52:53], s7, v21
	v_cndmask_b32_e64 v21, v65, v21, s[52:53]
	v_lshrrev_b32_sdwa v21, s77, v21 dst_sel:DWORD dst_unused:UNUSED_PAD src0_sel:DWORD src1_sel:WORD_0
	v_and_b32_e32 v94, s63, v21
	s_or_b64 exec, exec, s[60:61]
	s_and_saveexec_b64 s[60:61], s[40:41]
	s_cbranch_execz .LBB1847_624
.LBB1847_658:                           ;   in Loop: Header=BB1847_558 Depth=2
	ds_read_u16 v21, v47 offset:2048
	s_waitcnt lgkmcnt(0)
	v_cmp_ne_u16_e64 s[52:53], s7, v21
	v_cndmask_b32_e64 v21, v65, v21, s[52:53]
	v_lshrrev_b32_sdwa v21, s77, v21 dst_sel:DWORD dst_unused:UNUSED_PAD src0_sel:DWORD src1_sel:WORD_0
	v_and_b32_e32 v93, s63, v21
	s_or_b64 exec, exec, s[60:61]
	s_and_saveexec_b64 s[60:61], s[42:43]
	s_cbranch_execz .LBB1847_625
.LBB1847_659:                           ;   in Loop: Header=BB1847_558 Depth=2
	ds_read_u16 v21, v47 offset:2560
	s_waitcnt lgkmcnt(0)
	v_cmp_ne_u16_e64 s[52:53], s7, v21
	v_cndmask_b32_e64 v21, v65, v21, s[52:53]
	v_lshrrev_b32_sdwa v21, s77, v21 dst_sel:DWORD dst_unused:UNUSED_PAD src0_sel:DWORD src1_sel:WORD_0
	v_and_b32_e32 v92, s63, v21
	s_or_b64 exec, exec, s[60:61]
	s_and_saveexec_b64 s[60:61], s[44:45]
	s_cbranch_execz .LBB1847_626
.LBB1847_660:                           ;   in Loop: Header=BB1847_558 Depth=2
	ds_read_u16 v21, v47 offset:3072
	s_waitcnt lgkmcnt(0)
	v_cmp_ne_u16_e64 s[52:53], s7, v21
	v_cndmask_b32_e64 v21, v65, v21, s[52:53]
	v_lshrrev_b32_sdwa v21, s77, v21 dst_sel:DWORD dst_unused:UNUSED_PAD src0_sel:DWORD src1_sel:WORD_0
	v_and_b32_e32 v90, s63, v21
	s_or_b64 exec, exec, s[60:61]
	s_and_saveexec_b64 s[60:61], s[46:47]
	s_cbranch_execz .LBB1847_627
.LBB1847_661:                           ;   in Loop: Header=BB1847_558 Depth=2
	ds_read_u16 v21, v47 offset:3584
	s_waitcnt lgkmcnt(0)
	v_cmp_ne_u16_e64 s[52:53], s7, v21
	v_cndmask_b32_e64 v21, v65, v21, s[52:53]
	v_lshrrev_b32_sdwa v21, s77, v21 dst_sel:DWORD dst_unused:UNUSED_PAD src0_sel:DWORD src1_sel:WORD_0
	v_and_b32_e32 v89, s63, v21
	s_or_b64 exec, exec, s[60:61]
	s_and_saveexec_b64 s[60:61], s[48:49]
	s_cbranch_execz .LBB1847_628
.LBB1847_662:                           ;   in Loop: Header=BB1847_558 Depth=2
	ds_read_u16 v21, v47 offset:4096
	s_waitcnt lgkmcnt(0)
	v_cmp_ne_u16_e64 s[52:53], s7, v21
	v_cndmask_b32_e64 v21, v65, v21, s[52:53]
	v_lshrrev_b32_sdwa v21, s77, v21 dst_sel:DWORD dst_unused:UNUSED_PAD src0_sel:DWORD src1_sel:WORD_0
	v_and_b32_e32 v88, s63, v21
	s_or_b64 exec, exec, s[60:61]
	s_and_saveexec_b64 s[60:61], s[50:51]
	s_cbranch_execnz .LBB1847_629
	s_branch .LBB1847_630
.LBB1847_663:                           ;   in Loop: Header=BB1847_558 Depth=2
	v_lshlrev_b32_e32 v22, 2, v95
	ds_read_b32 v24, v22
	ds_read_b64 v[22:23], v21 offset:1024
	v_mov_b32_e32 v97, v3
	v_mov_b32_e32 v98, s75
	s_waitcnt lgkmcnt(1)
	v_add_u32_e32 v96, v24, v0
	v_lshlrev_b64 v[96:97], 3, v[96:97]
	v_add_co_u32_e32 v96, vcc, s74, v96
	v_addc_co_u32_e32 v97, vcc, v98, v97, vcc
	s_waitcnt lgkmcnt(0)
	global_store_dwordx2 v[96:97], v[22:23], off
	s_or_b64 exec, exec, s[52:53]
	s_and_saveexec_b64 s[52:53], s[38:39]
	s_cbranch_execz .LBB1847_632
.LBB1847_664:                           ;   in Loop: Header=BB1847_558 Depth=2
	v_lshlrev_b32_e32 v22, 2, v94
	ds_read_b32 v24, v22
	ds_read_b64 v[22:23], v21 offset:3072
	v_mov_b32_e32 v97, v3
	v_mov_b32_e32 v98, s75
	s_waitcnt lgkmcnt(1)
	v_add_u32_e32 v96, v24, v26
	v_lshlrev_b64 v[96:97], 3, v[96:97]
	v_add_co_u32_e32 v96, vcc, s74, v96
	v_addc_co_u32_e32 v97, vcc, v98, v97, vcc
	s_waitcnt lgkmcnt(0)
	global_store_dwordx2 v[96:97], v[22:23], off
	s_or_b64 exec, exec, s[52:53]
	s_and_saveexec_b64 s[38:39], s[40:41]
	s_cbranch_execz .LBB1847_633
.LBB1847_665:                           ;   in Loop: Header=BB1847_558 Depth=2
	v_lshlrev_b32_e32 v22, 2, v93
	ds_read_b32 v24, v22
	ds_read_b64 v[22:23], v21 offset:5120
	v_mov_b32_e32 v97, v3
	v_mov_b32_e32 v98, s75
	s_waitcnt lgkmcnt(1)
	v_add_u32_e32 v96, v24, v27
	v_lshlrev_b64 v[96:97], 3, v[96:97]
	v_add_co_u32_e32 v96, vcc, s74, v96
	v_addc_co_u32_e32 v97, vcc, v98, v97, vcc
	s_waitcnt lgkmcnt(0)
	global_store_dwordx2 v[96:97], v[22:23], off
	s_or_b64 exec, exec, s[38:39]
	s_and_saveexec_b64 s[38:39], s[42:43]
	s_cbranch_execz .LBB1847_634
.LBB1847_666:                           ;   in Loop: Header=BB1847_558 Depth=2
	v_lshlrev_b32_e32 v22, 2, v92
	ds_read_b32 v24, v22
	ds_read_b64 v[22:23], v21 offset:7168
	v_mov_b32_e32 v97, v3
	v_mov_b32_e32 v98, s75
	s_waitcnt lgkmcnt(1)
	v_add_u32_e32 v96, v24, v28
	v_lshlrev_b64 v[96:97], 3, v[96:97]
	v_add_co_u32_e32 v96, vcc, s74, v96
	v_addc_co_u32_e32 v97, vcc, v98, v97, vcc
	s_waitcnt lgkmcnt(0)
	global_store_dwordx2 v[96:97], v[22:23], off
	s_or_b64 exec, exec, s[38:39]
	s_and_saveexec_b64 s[38:39], s[44:45]
	s_cbranch_execz .LBB1847_635
.LBB1847_667:                           ;   in Loop: Header=BB1847_558 Depth=2
	v_lshlrev_b32_e32 v22, 2, v90
	ds_read_b32 v24, v22
	ds_read_b64 v[22:23], v21 offset:9216
	v_mov_b32_e32 v97, v3
	v_mov_b32_e32 v98, s75
	s_waitcnt lgkmcnt(1)
	v_add_u32_e32 v96, v24, v31
	v_lshlrev_b64 v[96:97], 3, v[96:97]
	v_add_co_u32_e32 v96, vcc, s74, v96
	v_addc_co_u32_e32 v97, vcc, v98, v97, vcc
	s_waitcnt lgkmcnt(0)
	global_store_dwordx2 v[96:97], v[22:23], off
	s_or_b64 exec, exec, s[38:39]
	s_and_saveexec_b64 s[38:39], s[46:47]
	s_cbranch_execz .LBB1847_636
.LBB1847_668:                           ;   in Loop: Header=BB1847_558 Depth=2
	v_lshlrev_b32_e32 v22, 2, v89
	ds_read_b32 v24, v22
	ds_read_b64 v[22:23], v21 offset:11264
	v_mov_b32_e32 v97, v3
	v_mov_b32_e32 v98, s75
	s_waitcnt lgkmcnt(1)
	v_add_u32_e32 v96, v24, v32
	v_lshlrev_b64 v[96:97], 3, v[96:97]
	v_add_co_u32_e32 v96, vcc, s74, v96
	v_addc_co_u32_e32 v97, vcc, v98, v97, vcc
	s_waitcnt lgkmcnt(0)
	global_store_dwordx2 v[96:97], v[22:23], off
	s_or_b64 exec, exec, s[38:39]
	s_and_saveexec_b64 s[38:39], s[48:49]
	s_cbranch_execz .LBB1847_637
.LBB1847_669:                           ;   in Loop: Header=BB1847_558 Depth=2
	v_lshlrev_b32_e32 v22, 2, v88
	ds_read_b32 v24, v22
	ds_read_b64 v[22:23], v21 offset:13312
	v_mov_b32_e32 v97, v3
	v_mov_b32_e32 v98, s75
	s_waitcnt lgkmcnt(1)
	v_add_u32_e32 v96, v24, v33
	v_lshlrev_b64 v[96:97], 3, v[96:97]
	v_add_co_u32_e32 v96, vcc, s74, v96
	v_addc_co_u32_e32 v97, vcc, v98, v97, vcc
	s_waitcnt lgkmcnt(0)
	global_store_dwordx2 v[96:97], v[22:23], off
	s_or_b64 exec, exec, s[38:39]
	s_and_saveexec_b64 s[38:39], s[50:51]
	s_cbranch_execnz .LBB1847_638
	s_branch .LBB1847_639
.LBB1847_670:
	s_endpgm
	.section	.rodata,"a",@progbits
	.p2align	6, 0x0
	.amdhsa_kernel _ZN7rocprim17ROCPRIM_400000_NS6detail17trampoline_kernelINS0_14default_configENS1_36segmented_radix_sort_config_selectorI6__halflEEZNS1_25segmented_radix_sort_implIS3_Lb0EPKS5_PS5_PKlPlN2at6native12_GLOBAL__N_18offset_tEEE10hipError_tPvRmT1_PNSt15iterator_traitsISL_E10value_typeET2_T3_PNSM_ISR_E10value_typeET4_jRbjT5_SX_jjP12ihipStream_tbEUlT_E_NS1_11comp_targetILNS1_3genE2ELNS1_11target_archE906ELNS1_3gpuE6ELNS1_3repE0EEENS1_30default_config_static_selectorELNS0_4arch9wavefront6targetE1EEEvSL_
		.amdhsa_group_segment_fixed_size 17424
		.amdhsa_private_segment_fixed_size 0
		.amdhsa_kernarg_size 352
		.amdhsa_user_sgpr_count 6
		.amdhsa_user_sgpr_private_segment_buffer 1
		.amdhsa_user_sgpr_dispatch_ptr 0
		.amdhsa_user_sgpr_queue_ptr 0
		.amdhsa_user_sgpr_kernarg_segment_ptr 1
		.amdhsa_user_sgpr_dispatch_id 0
		.amdhsa_user_sgpr_flat_scratch_init 0
		.amdhsa_user_sgpr_private_segment_size 0
		.amdhsa_uses_dynamic_stack 0
		.amdhsa_system_sgpr_private_segment_wavefront_offset 0
		.amdhsa_system_sgpr_workgroup_id_x 1
		.amdhsa_system_sgpr_workgroup_id_y 1
		.amdhsa_system_sgpr_workgroup_id_z 0
		.amdhsa_system_sgpr_workgroup_info 0
		.amdhsa_system_vgpr_workitem_id 2
		.amdhsa_next_free_vgpr 195
		.amdhsa_next_free_sgpr 98
		.amdhsa_reserve_vcc 1
		.amdhsa_reserve_flat_scratch 0
		.amdhsa_float_round_mode_32 0
		.amdhsa_float_round_mode_16_64 0
		.amdhsa_float_denorm_mode_32 3
		.amdhsa_float_denorm_mode_16_64 3
		.amdhsa_dx10_clamp 1
		.amdhsa_ieee_mode 1
		.amdhsa_fp16_overflow 0
		.amdhsa_exception_fp_ieee_invalid_op 0
		.amdhsa_exception_fp_denorm_src 0
		.amdhsa_exception_fp_ieee_div_zero 0
		.amdhsa_exception_fp_ieee_overflow 0
		.amdhsa_exception_fp_ieee_underflow 0
		.amdhsa_exception_fp_ieee_inexact 0
		.amdhsa_exception_int_div_zero 0
	.end_amdhsa_kernel
	.section	.text._ZN7rocprim17ROCPRIM_400000_NS6detail17trampoline_kernelINS0_14default_configENS1_36segmented_radix_sort_config_selectorI6__halflEEZNS1_25segmented_radix_sort_implIS3_Lb0EPKS5_PS5_PKlPlN2at6native12_GLOBAL__N_18offset_tEEE10hipError_tPvRmT1_PNSt15iterator_traitsISL_E10value_typeET2_T3_PNSM_ISR_E10value_typeET4_jRbjT5_SX_jjP12ihipStream_tbEUlT_E_NS1_11comp_targetILNS1_3genE2ELNS1_11target_archE906ELNS1_3gpuE6ELNS1_3repE0EEENS1_30default_config_static_selectorELNS0_4arch9wavefront6targetE1EEEvSL_,"axG",@progbits,_ZN7rocprim17ROCPRIM_400000_NS6detail17trampoline_kernelINS0_14default_configENS1_36segmented_radix_sort_config_selectorI6__halflEEZNS1_25segmented_radix_sort_implIS3_Lb0EPKS5_PS5_PKlPlN2at6native12_GLOBAL__N_18offset_tEEE10hipError_tPvRmT1_PNSt15iterator_traitsISL_E10value_typeET2_T3_PNSM_ISR_E10value_typeET4_jRbjT5_SX_jjP12ihipStream_tbEUlT_E_NS1_11comp_targetILNS1_3genE2ELNS1_11target_archE906ELNS1_3gpuE6ELNS1_3repE0EEENS1_30default_config_static_selectorELNS0_4arch9wavefront6targetE1EEEvSL_,comdat
.Lfunc_end1847:
	.size	_ZN7rocprim17ROCPRIM_400000_NS6detail17trampoline_kernelINS0_14default_configENS1_36segmented_radix_sort_config_selectorI6__halflEEZNS1_25segmented_radix_sort_implIS3_Lb0EPKS5_PS5_PKlPlN2at6native12_GLOBAL__N_18offset_tEEE10hipError_tPvRmT1_PNSt15iterator_traitsISL_E10value_typeET2_T3_PNSM_ISR_E10value_typeET4_jRbjT5_SX_jjP12ihipStream_tbEUlT_E_NS1_11comp_targetILNS1_3genE2ELNS1_11target_archE906ELNS1_3gpuE6ELNS1_3repE0EEENS1_30default_config_static_selectorELNS0_4arch9wavefront6targetE1EEEvSL_, .Lfunc_end1847-_ZN7rocprim17ROCPRIM_400000_NS6detail17trampoline_kernelINS0_14default_configENS1_36segmented_radix_sort_config_selectorI6__halflEEZNS1_25segmented_radix_sort_implIS3_Lb0EPKS5_PS5_PKlPlN2at6native12_GLOBAL__N_18offset_tEEE10hipError_tPvRmT1_PNSt15iterator_traitsISL_E10value_typeET2_T3_PNSM_ISR_E10value_typeET4_jRbjT5_SX_jjP12ihipStream_tbEUlT_E_NS1_11comp_targetILNS1_3genE2ELNS1_11target_archE906ELNS1_3gpuE6ELNS1_3repE0EEENS1_30default_config_static_selectorELNS0_4arch9wavefront6targetE1EEEvSL_
                                        ; -- End function
	.set _ZN7rocprim17ROCPRIM_400000_NS6detail17trampoline_kernelINS0_14default_configENS1_36segmented_radix_sort_config_selectorI6__halflEEZNS1_25segmented_radix_sort_implIS3_Lb0EPKS5_PS5_PKlPlN2at6native12_GLOBAL__N_18offset_tEEE10hipError_tPvRmT1_PNSt15iterator_traitsISL_E10value_typeET2_T3_PNSM_ISR_E10value_typeET4_jRbjT5_SX_jjP12ihipStream_tbEUlT_E_NS1_11comp_targetILNS1_3genE2ELNS1_11target_archE906ELNS1_3gpuE6ELNS1_3repE0EEENS1_30default_config_static_selectorELNS0_4arch9wavefront6targetE1EEEvSL_.num_vgpr, max(130, .L_ZN7rocprim17ROCPRIM_400000_NS6detail40segmented_radix_sort_single_block_helperI6__halflLj256ELj8ELb0EE4sortIPKS3_PS3_PKlPlEEbT_T0_T1_T2_jjjjRNS4_12storage_typeE.num_vgpr)
	.set _ZN7rocprim17ROCPRIM_400000_NS6detail17trampoline_kernelINS0_14default_configENS1_36segmented_radix_sort_config_selectorI6__halflEEZNS1_25segmented_radix_sort_implIS3_Lb0EPKS5_PS5_PKlPlN2at6native12_GLOBAL__N_18offset_tEEE10hipError_tPvRmT1_PNSt15iterator_traitsISL_E10value_typeET2_T3_PNSM_ISR_E10value_typeET4_jRbjT5_SX_jjP12ihipStream_tbEUlT_E_NS1_11comp_targetILNS1_3genE2ELNS1_11target_archE906ELNS1_3gpuE6ELNS1_3repE0EEENS1_30default_config_static_selectorELNS0_4arch9wavefront6targetE1EEEvSL_.num_agpr, max(0, .L_ZN7rocprim17ROCPRIM_400000_NS6detail40segmented_radix_sort_single_block_helperI6__halflLj256ELj8ELb0EE4sortIPKS3_PS3_PKlPlEEbT_T0_T1_T2_jjjjRNS4_12storage_typeE.num_agpr)
	.set _ZN7rocprim17ROCPRIM_400000_NS6detail17trampoline_kernelINS0_14default_configENS1_36segmented_radix_sort_config_selectorI6__halflEEZNS1_25segmented_radix_sort_implIS3_Lb0EPKS5_PS5_PKlPlN2at6native12_GLOBAL__N_18offset_tEEE10hipError_tPvRmT1_PNSt15iterator_traitsISL_E10value_typeET2_T3_PNSM_ISR_E10value_typeET4_jRbjT5_SX_jjP12ihipStream_tbEUlT_E_NS1_11comp_targetILNS1_3genE2ELNS1_11target_archE906ELNS1_3gpuE6ELNS1_3repE0EEENS1_30default_config_static_selectorELNS0_4arch9wavefront6targetE1EEEvSL_.numbered_sgpr, max(82, .L_ZN7rocprim17ROCPRIM_400000_NS6detail40segmented_radix_sort_single_block_helperI6__halflLj256ELj8ELb0EE4sortIPKS3_PS3_PKlPlEEbT_T0_T1_T2_jjjjRNS4_12storage_typeE.numbered_sgpr)
	.set _ZN7rocprim17ROCPRIM_400000_NS6detail17trampoline_kernelINS0_14default_configENS1_36segmented_radix_sort_config_selectorI6__halflEEZNS1_25segmented_radix_sort_implIS3_Lb0EPKS5_PS5_PKlPlN2at6native12_GLOBAL__N_18offset_tEEE10hipError_tPvRmT1_PNSt15iterator_traitsISL_E10value_typeET2_T3_PNSM_ISR_E10value_typeET4_jRbjT5_SX_jjP12ihipStream_tbEUlT_E_NS1_11comp_targetILNS1_3genE2ELNS1_11target_archE906ELNS1_3gpuE6ELNS1_3repE0EEENS1_30default_config_static_selectorELNS0_4arch9wavefront6targetE1EEEvSL_.num_named_barrier, max(0, .L_ZN7rocprim17ROCPRIM_400000_NS6detail40segmented_radix_sort_single_block_helperI6__halflLj256ELj8ELb0EE4sortIPKS3_PS3_PKlPlEEbT_T0_T1_T2_jjjjRNS4_12storage_typeE.num_named_barrier)
	.set _ZN7rocprim17ROCPRIM_400000_NS6detail17trampoline_kernelINS0_14default_configENS1_36segmented_radix_sort_config_selectorI6__halflEEZNS1_25segmented_radix_sort_implIS3_Lb0EPKS5_PS5_PKlPlN2at6native12_GLOBAL__N_18offset_tEEE10hipError_tPvRmT1_PNSt15iterator_traitsISL_E10value_typeET2_T3_PNSM_ISR_E10value_typeET4_jRbjT5_SX_jjP12ihipStream_tbEUlT_E_NS1_11comp_targetILNS1_3genE2ELNS1_11target_archE906ELNS1_3gpuE6ELNS1_3repE0EEENS1_30default_config_static_selectorELNS0_4arch9wavefront6targetE1EEEvSL_.private_seg_size, 0+max(.L_ZN7rocprim17ROCPRIM_400000_NS6detail40segmented_radix_sort_single_block_helperI6__halflLj256ELj8ELb0EE4sortIPKS3_PS3_PKlPlEEbT_T0_T1_T2_jjjjRNS4_12storage_typeE.private_seg_size)
	.set _ZN7rocprim17ROCPRIM_400000_NS6detail17trampoline_kernelINS0_14default_configENS1_36segmented_radix_sort_config_selectorI6__halflEEZNS1_25segmented_radix_sort_implIS3_Lb0EPKS5_PS5_PKlPlN2at6native12_GLOBAL__N_18offset_tEEE10hipError_tPvRmT1_PNSt15iterator_traitsISL_E10value_typeET2_T3_PNSM_ISR_E10value_typeET4_jRbjT5_SX_jjP12ihipStream_tbEUlT_E_NS1_11comp_targetILNS1_3genE2ELNS1_11target_archE906ELNS1_3gpuE6ELNS1_3repE0EEENS1_30default_config_static_selectorELNS0_4arch9wavefront6targetE1EEEvSL_.uses_vcc, or(1, .L_ZN7rocprim17ROCPRIM_400000_NS6detail40segmented_radix_sort_single_block_helperI6__halflLj256ELj8ELb0EE4sortIPKS3_PS3_PKlPlEEbT_T0_T1_T2_jjjjRNS4_12storage_typeE.uses_vcc)
	.set _ZN7rocprim17ROCPRIM_400000_NS6detail17trampoline_kernelINS0_14default_configENS1_36segmented_radix_sort_config_selectorI6__halflEEZNS1_25segmented_radix_sort_implIS3_Lb0EPKS5_PS5_PKlPlN2at6native12_GLOBAL__N_18offset_tEEE10hipError_tPvRmT1_PNSt15iterator_traitsISL_E10value_typeET2_T3_PNSM_ISR_E10value_typeET4_jRbjT5_SX_jjP12ihipStream_tbEUlT_E_NS1_11comp_targetILNS1_3genE2ELNS1_11target_archE906ELNS1_3gpuE6ELNS1_3repE0EEENS1_30default_config_static_selectorELNS0_4arch9wavefront6targetE1EEEvSL_.uses_flat_scratch, or(0, .L_ZN7rocprim17ROCPRIM_400000_NS6detail40segmented_radix_sort_single_block_helperI6__halflLj256ELj8ELb0EE4sortIPKS3_PS3_PKlPlEEbT_T0_T1_T2_jjjjRNS4_12storage_typeE.uses_flat_scratch)
	.set _ZN7rocprim17ROCPRIM_400000_NS6detail17trampoline_kernelINS0_14default_configENS1_36segmented_radix_sort_config_selectorI6__halflEEZNS1_25segmented_radix_sort_implIS3_Lb0EPKS5_PS5_PKlPlN2at6native12_GLOBAL__N_18offset_tEEE10hipError_tPvRmT1_PNSt15iterator_traitsISL_E10value_typeET2_T3_PNSM_ISR_E10value_typeET4_jRbjT5_SX_jjP12ihipStream_tbEUlT_E_NS1_11comp_targetILNS1_3genE2ELNS1_11target_archE906ELNS1_3gpuE6ELNS1_3repE0EEENS1_30default_config_static_selectorELNS0_4arch9wavefront6targetE1EEEvSL_.has_dyn_sized_stack, or(0, .L_ZN7rocprim17ROCPRIM_400000_NS6detail40segmented_radix_sort_single_block_helperI6__halflLj256ELj8ELb0EE4sortIPKS3_PS3_PKlPlEEbT_T0_T1_T2_jjjjRNS4_12storage_typeE.has_dyn_sized_stack)
	.set _ZN7rocprim17ROCPRIM_400000_NS6detail17trampoline_kernelINS0_14default_configENS1_36segmented_radix_sort_config_selectorI6__halflEEZNS1_25segmented_radix_sort_implIS3_Lb0EPKS5_PS5_PKlPlN2at6native12_GLOBAL__N_18offset_tEEE10hipError_tPvRmT1_PNSt15iterator_traitsISL_E10value_typeET2_T3_PNSM_ISR_E10value_typeET4_jRbjT5_SX_jjP12ihipStream_tbEUlT_E_NS1_11comp_targetILNS1_3genE2ELNS1_11target_archE906ELNS1_3gpuE6ELNS1_3repE0EEENS1_30default_config_static_selectorELNS0_4arch9wavefront6targetE1EEEvSL_.has_recursion, or(0, .L_ZN7rocprim17ROCPRIM_400000_NS6detail40segmented_radix_sort_single_block_helperI6__halflLj256ELj8ELb0EE4sortIPKS3_PS3_PKlPlEEbT_T0_T1_T2_jjjjRNS4_12storage_typeE.has_recursion)
	.set _ZN7rocprim17ROCPRIM_400000_NS6detail17trampoline_kernelINS0_14default_configENS1_36segmented_radix_sort_config_selectorI6__halflEEZNS1_25segmented_radix_sort_implIS3_Lb0EPKS5_PS5_PKlPlN2at6native12_GLOBAL__N_18offset_tEEE10hipError_tPvRmT1_PNSt15iterator_traitsISL_E10value_typeET2_T3_PNSM_ISR_E10value_typeET4_jRbjT5_SX_jjP12ihipStream_tbEUlT_E_NS1_11comp_targetILNS1_3genE2ELNS1_11target_archE906ELNS1_3gpuE6ELNS1_3repE0EEENS1_30default_config_static_selectorELNS0_4arch9wavefront6targetE1EEEvSL_.has_indirect_call, or(0, .L_ZN7rocprim17ROCPRIM_400000_NS6detail40segmented_radix_sort_single_block_helperI6__halflLj256ELj8ELb0EE4sortIPKS3_PS3_PKlPlEEbT_T0_T1_T2_jjjjRNS4_12storage_typeE.has_indirect_call)
	.section	.AMDGPU.csdata,"",@progbits
; Kernel info:
; codeLenInByte = 37580
; TotalNumSgprs: 86
; NumVgprs: 195
; ScratchSize: 0
; MemoryBound: 0
; FloatMode: 240
; IeeeMode: 1
; LDSByteSize: 17424 bytes/workgroup (compile time only)
; SGPRBlocks: 12
; VGPRBlocks: 48
; NumSGPRsForWavesPerEU: 102
; NumVGPRsForWavesPerEU: 195
; Occupancy: 1
; WaveLimiterHint : 1
; COMPUTE_PGM_RSRC2:SCRATCH_EN: 0
; COMPUTE_PGM_RSRC2:USER_SGPR: 6
; COMPUTE_PGM_RSRC2:TRAP_HANDLER: 0
; COMPUTE_PGM_RSRC2:TGID_X_EN: 1
; COMPUTE_PGM_RSRC2:TGID_Y_EN: 1
; COMPUTE_PGM_RSRC2:TGID_Z_EN: 0
; COMPUTE_PGM_RSRC2:TIDIG_COMP_CNT: 2
	.section	.text._ZN7rocprim17ROCPRIM_400000_NS6detail17trampoline_kernelINS0_14default_configENS1_36segmented_radix_sort_config_selectorI6__halflEEZNS1_25segmented_radix_sort_implIS3_Lb0EPKS5_PS5_PKlPlN2at6native12_GLOBAL__N_18offset_tEEE10hipError_tPvRmT1_PNSt15iterator_traitsISL_E10value_typeET2_T3_PNSM_ISR_E10value_typeET4_jRbjT5_SX_jjP12ihipStream_tbEUlT_E_NS1_11comp_targetILNS1_3genE10ELNS1_11target_archE1201ELNS1_3gpuE5ELNS1_3repE0EEENS1_30default_config_static_selectorELNS0_4arch9wavefront6targetE1EEEvSL_,"axG",@progbits,_ZN7rocprim17ROCPRIM_400000_NS6detail17trampoline_kernelINS0_14default_configENS1_36segmented_radix_sort_config_selectorI6__halflEEZNS1_25segmented_radix_sort_implIS3_Lb0EPKS5_PS5_PKlPlN2at6native12_GLOBAL__N_18offset_tEEE10hipError_tPvRmT1_PNSt15iterator_traitsISL_E10value_typeET2_T3_PNSM_ISR_E10value_typeET4_jRbjT5_SX_jjP12ihipStream_tbEUlT_E_NS1_11comp_targetILNS1_3genE10ELNS1_11target_archE1201ELNS1_3gpuE5ELNS1_3repE0EEENS1_30default_config_static_selectorELNS0_4arch9wavefront6targetE1EEEvSL_,comdat
	.globl	_ZN7rocprim17ROCPRIM_400000_NS6detail17trampoline_kernelINS0_14default_configENS1_36segmented_radix_sort_config_selectorI6__halflEEZNS1_25segmented_radix_sort_implIS3_Lb0EPKS5_PS5_PKlPlN2at6native12_GLOBAL__N_18offset_tEEE10hipError_tPvRmT1_PNSt15iterator_traitsISL_E10value_typeET2_T3_PNSM_ISR_E10value_typeET4_jRbjT5_SX_jjP12ihipStream_tbEUlT_E_NS1_11comp_targetILNS1_3genE10ELNS1_11target_archE1201ELNS1_3gpuE5ELNS1_3repE0EEENS1_30default_config_static_selectorELNS0_4arch9wavefront6targetE1EEEvSL_ ; -- Begin function _ZN7rocprim17ROCPRIM_400000_NS6detail17trampoline_kernelINS0_14default_configENS1_36segmented_radix_sort_config_selectorI6__halflEEZNS1_25segmented_radix_sort_implIS3_Lb0EPKS5_PS5_PKlPlN2at6native12_GLOBAL__N_18offset_tEEE10hipError_tPvRmT1_PNSt15iterator_traitsISL_E10value_typeET2_T3_PNSM_ISR_E10value_typeET4_jRbjT5_SX_jjP12ihipStream_tbEUlT_E_NS1_11comp_targetILNS1_3genE10ELNS1_11target_archE1201ELNS1_3gpuE5ELNS1_3repE0EEENS1_30default_config_static_selectorELNS0_4arch9wavefront6targetE1EEEvSL_
	.p2align	8
	.type	_ZN7rocprim17ROCPRIM_400000_NS6detail17trampoline_kernelINS0_14default_configENS1_36segmented_radix_sort_config_selectorI6__halflEEZNS1_25segmented_radix_sort_implIS3_Lb0EPKS5_PS5_PKlPlN2at6native12_GLOBAL__N_18offset_tEEE10hipError_tPvRmT1_PNSt15iterator_traitsISL_E10value_typeET2_T3_PNSM_ISR_E10value_typeET4_jRbjT5_SX_jjP12ihipStream_tbEUlT_E_NS1_11comp_targetILNS1_3genE10ELNS1_11target_archE1201ELNS1_3gpuE5ELNS1_3repE0EEENS1_30default_config_static_selectorELNS0_4arch9wavefront6targetE1EEEvSL_,@function
_ZN7rocprim17ROCPRIM_400000_NS6detail17trampoline_kernelINS0_14default_configENS1_36segmented_radix_sort_config_selectorI6__halflEEZNS1_25segmented_radix_sort_implIS3_Lb0EPKS5_PS5_PKlPlN2at6native12_GLOBAL__N_18offset_tEEE10hipError_tPvRmT1_PNSt15iterator_traitsISL_E10value_typeET2_T3_PNSM_ISR_E10value_typeET4_jRbjT5_SX_jjP12ihipStream_tbEUlT_E_NS1_11comp_targetILNS1_3genE10ELNS1_11target_archE1201ELNS1_3gpuE5ELNS1_3repE0EEENS1_30default_config_static_selectorELNS0_4arch9wavefront6targetE1EEEvSL_: ; @_ZN7rocprim17ROCPRIM_400000_NS6detail17trampoline_kernelINS0_14default_configENS1_36segmented_radix_sort_config_selectorI6__halflEEZNS1_25segmented_radix_sort_implIS3_Lb0EPKS5_PS5_PKlPlN2at6native12_GLOBAL__N_18offset_tEEE10hipError_tPvRmT1_PNSt15iterator_traitsISL_E10value_typeET2_T3_PNSM_ISR_E10value_typeET4_jRbjT5_SX_jjP12ihipStream_tbEUlT_E_NS1_11comp_targetILNS1_3genE10ELNS1_11target_archE1201ELNS1_3gpuE5ELNS1_3repE0EEENS1_30default_config_static_selectorELNS0_4arch9wavefront6targetE1EEEvSL_
; %bb.0:
	.section	.rodata,"a",@progbits
	.p2align	6, 0x0
	.amdhsa_kernel _ZN7rocprim17ROCPRIM_400000_NS6detail17trampoline_kernelINS0_14default_configENS1_36segmented_radix_sort_config_selectorI6__halflEEZNS1_25segmented_radix_sort_implIS3_Lb0EPKS5_PS5_PKlPlN2at6native12_GLOBAL__N_18offset_tEEE10hipError_tPvRmT1_PNSt15iterator_traitsISL_E10value_typeET2_T3_PNSM_ISR_E10value_typeET4_jRbjT5_SX_jjP12ihipStream_tbEUlT_E_NS1_11comp_targetILNS1_3genE10ELNS1_11target_archE1201ELNS1_3gpuE5ELNS1_3repE0EEENS1_30default_config_static_selectorELNS0_4arch9wavefront6targetE1EEEvSL_
		.amdhsa_group_segment_fixed_size 0
		.amdhsa_private_segment_fixed_size 0
		.amdhsa_kernarg_size 96
		.amdhsa_user_sgpr_count 6
		.amdhsa_user_sgpr_private_segment_buffer 1
		.amdhsa_user_sgpr_dispatch_ptr 0
		.amdhsa_user_sgpr_queue_ptr 0
		.amdhsa_user_sgpr_kernarg_segment_ptr 1
		.amdhsa_user_sgpr_dispatch_id 0
		.amdhsa_user_sgpr_flat_scratch_init 0
		.amdhsa_user_sgpr_private_segment_size 0
		.amdhsa_uses_dynamic_stack 0
		.amdhsa_system_sgpr_private_segment_wavefront_offset 0
		.amdhsa_system_sgpr_workgroup_id_x 1
		.amdhsa_system_sgpr_workgroup_id_y 0
		.amdhsa_system_sgpr_workgroup_id_z 0
		.amdhsa_system_sgpr_workgroup_info 0
		.amdhsa_system_vgpr_workitem_id 0
		.amdhsa_next_free_vgpr 1
		.amdhsa_next_free_sgpr 0
		.amdhsa_reserve_vcc 0
		.amdhsa_reserve_flat_scratch 0
		.amdhsa_float_round_mode_32 0
		.amdhsa_float_round_mode_16_64 0
		.amdhsa_float_denorm_mode_32 3
		.amdhsa_float_denorm_mode_16_64 3
		.amdhsa_dx10_clamp 1
		.amdhsa_ieee_mode 1
		.amdhsa_fp16_overflow 0
		.amdhsa_exception_fp_ieee_invalid_op 0
		.amdhsa_exception_fp_denorm_src 0
		.amdhsa_exception_fp_ieee_div_zero 0
		.amdhsa_exception_fp_ieee_overflow 0
		.amdhsa_exception_fp_ieee_underflow 0
		.amdhsa_exception_fp_ieee_inexact 0
		.amdhsa_exception_int_div_zero 0
	.end_amdhsa_kernel
	.section	.text._ZN7rocprim17ROCPRIM_400000_NS6detail17trampoline_kernelINS0_14default_configENS1_36segmented_radix_sort_config_selectorI6__halflEEZNS1_25segmented_radix_sort_implIS3_Lb0EPKS5_PS5_PKlPlN2at6native12_GLOBAL__N_18offset_tEEE10hipError_tPvRmT1_PNSt15iterator_traitsISL_E10value_typeET2_T3_PNSM_ISR_E10value_typeET4_jRbjT5_SX_jjP12ihipStream_tbEUlT_E_NS1_11comp_targetILNS1_3genE10ELNS1_11target_archE1201ELNS1_3gpuE5ELNS1_3repE0EEENS1_30default_config_static_selectorELNS0_4arch9wavefront6targetE1EEEvSL_,"axG",@progbits,_ZN7rocprim17ROCPRIM_400000_NS6detail17trampoline_kernelINS0_14default_configENS1_36segmented_radix_sort_config_selectorI6__halflEEZNS1_25segmented_radix_sort_implIS3_Lb0EPKS5_PS5_PKlPlN2at6native12_GLOBAL__N_18offset_tEEE10hipError_tPvRmT1_PNSt15iterator_traitsISL_E10value_typeET2_T3_PNSM_ISR_E10value_typeET4_jRbjT5_SX_jjP12ihipStream_tbEUlT_E_NS1_11comp_targetILNS1_3genE10ELNS1_11target_archE1201ELNS1_3gpuE5ELNS1_3repE0EEENS1_30default_config_static_selectorELNS0_4arch9wavefront6targetE1EEEvSL_,comdat
.Lfunc_end1848:
	.size	_ZN7rocprim17ROCPRIM_400000_NS6detail17trampoline_kernelINS0_14default_configENS1_36segmented_radix_sort_config_selectorI6__halflEEZNS1_25segmented_radix_sort_implIS3_Lb0EPKS5_PS5_PKlPlN2at6native12_GLOBAL__N_18offset_tEEE10hipError_tPvRmT1_PNSt15iterator_traitsISL_E10value_typeET2_T3_PNSM_ISR_E10value_typeET4_jRbjT5_SX_jjP12ihipStream_tbEUlT_E_NS1_11comp_targetILNS1_3genE10ELNS1_11target_archE1201ELNS1_3gpuE5ELNS1_3repE0EEENS1_30default_config_static_selectorELNS0_4arch9wavefront6targetE1EEEvSL_, .Lfunc_end1848-_ZN7rocprim17ROCPRIM_400000_NS6detail17trampoline_kernelINS0_14default_configENS1_36segmented_radix_sort_config_selectorI6__halflEEZNS1_25segmented_radix_sort_implIS3_Lb0EPKS5_PS5_PKlPlN2at6native12_GLOBAL__N_18offset_tEEE10hipError_tPvRmT1_PNSt15iterator_traitsISL_E10value_typeET2_T3_PNSM_ISR_E10value_typeET4_jRbjT5_SX_jjP12ihipStream_tbEUlT_E_NS1_11comp_targetILNS1_3genE10ELNS1_11target_archE1201ELNS1_3gpuE5ELNS1_3repE0EEENS1_30default_config_static_selectorELNS0_4arch9wavefront6targetE1EEEvSL_
                                        ; -- End function
	.set _ZN7rocprim17ROCPRIM_400000_NS6detail17trampoline_kernelINS0_14default_configENS1_36segmented_radix_sort_config_selectorI6__halflEEZNS1_25segmented_radix_sort_implIS3_Lb0EPKS5_PS5_PKlPlN2at6native12_GLOBAL__N_18offset_tEEE10hipError_tPvRmT1_PNSt15iterator_traitsISL_E10value_typeET2_T3_PNSM_ISR_E10value_typeET4_jRbjT5_SX_jjP12ihipStream_tbEUlT_E_NS1_11comp_targetILNS1_3genE10ELNS1_11target_archE1201ELNS1_3gpuE5ELNS1_3repE0EEENS1_30default_config_static_selectorELNS0_4arch9wavefront6targetE1EEEvSL_.num_vgpr, 0
	.set _ZN7rocprim17ROCPRIM_400000_NS6detail17trampoline_kernelINS0_14default_configENS1_36segmented_radix_sort_config_selectorI6__halflEEZNS1_25segmented_radix_sort_implIS3_Lb0EPKS5_PS5_PKlPlN2at6native12_GLOBAL__N_18offset_tEEE10hipError_tPvRmT1_PNSt15iterator_traitsISL_E10value_typeET2_T3_PNSM_ISR_E10value_typeET4_jRbjT5_SX_jjP12ihipStream_tbEUlT_E_NS1_11comp_targetILNS1_3genE10ELNS1_11target_archE1201ELNS1_3gpuE5ELNS1_3repE0EEENS1_30default_config_static_selectorELNS0_4arch9wavefront6targetE1EEEvSL_.num_agpr, 0
	.set _ZN7rocprim17ROCPRIM_400000_NS6detail17trampoline_kernelINS0_14default_configENS1_36segmented_radix_sort_config_selectorI6__halflEEZNS1_25segmented_radix_sort_implIS3_Lb0EPKS5_PS5_PKlPlN2at6native12_GLOBAL__N_18offset_tEEE10hipError_tPvRmT1_PNSt15iterator_traitsISL_E10value_typeET2_T3_PNSM_ISR_E10value_typeET4_jRbjT5_SX_jjP12ihipStream_tbEUlT_E_NS1_11comp_targetILNS1_3genE10ELNS1_11target_archE1201ELNS1_3gpuE5ELNS1_3repE0EEENS1_30default_config_static_selectorELNS0_4arch9wavefront6targetE1EEEvSL_.numbered_sgpr, 0
	.set _ZN7rocprim17ROCPRIM_400000_NS6detail17trampoline_kernelINS0_14default_configENS1_36segmented_radix_sort_config_selectorI6__halflEEZNS1_25segmented_radix_sort_implIS3_Lb0EPKS5_PS5_PKlPlN2at6native12_GLOBAL__N_18offset_tEEE10hipError_tPvRmT1_PNSt15iterator_traitsISL_E10value_typeET2_T3_PNSM_ISR_E10value_typeET4_jRbjT5_SX_jjP12ihipStream_tbEUlT_E_NS1_11comp_targetILNS1_3genE10ELNS1_11target_archE1201ELNS1_3gpuE5ELNS1_3repE0EEENS1_30default_config_static_selectorELNS0_4arch9wavefront6targetE1EEEvSL_.num_named_barrier, 0
	.set _ZN7rocprim17ROCPRIM_400000_NS6detail17trampoline_kernelINS0_14default_configENS1_36segmented_radix_sort_config_selectorI6__halflEEZNS1_25segmented_radix_sort_implIS3_Lb0EPKS5_PS5_PKlPlN2at6native12_GLOBAL__N_18offset_tEEE10hipError_tPvRmT1_PNSt15iterator_traitsISL_E10value_typeET2_T3_PNSM_ISR_E10value_typeET4_jRbjT5_SX_jjP12ihipStream_tbEUlT_E_NS1_11comp_targetILNS1_3genE10ELNS1_11target_archE1201ELNS1_3gpuE5ELNS1_3repE0EEENS1_30default_config_static_selectorELNS0_4arch9wavefront6targetE1EEEvSL_.private_seg_size, 0
	.set _ZN7rocprim17ROCPRIM_400000_NS6detail17trampoline_kernelINS0_14default_configENS1_36segmented_radix_sort_config_selectorI6__halflEEZNS1_25segmented_radix_sort_implIS3_Lb0EPKS5_PS5_PKlPlN2at6native12_GLOBAL__N_18offset_tEEE10hipError_tPvRmT1_PNSt15iterator_traitsISL_E10value_typeET2_T3_PNSM_ISR_E10value_typeET4_jRbjT5_SX_jjP12ihipStream_tbEUlT_E_NS1_11comp_targetILNS1_3genE10ELNS1_11target_archE1201ELNS1_3gpuE5ELNS1_3repE0EEENS1_30default_config_static_selectorELNS0_4arch9wavefront6targetE1EEEvSL_.uses_vcc, 0
	.set _ZN7rocprim17ROCPRIM_400000_NS6detail17trampoline_kernelINS0_14default_configENS1_36segmented_radix_sort_config_selectorI6__halflEEZNS1_25segmented_radix_sort_implIS3_Lb0EPKS5_PS5_PKlPlN2at6native12_GLOBAL__N_18offset_tEEE10hipError_tPvRmT1_PNSt15iterator_traitsISL_E10value_typeET2_T3_PNSM_ISR_E10value_typeET4_jRbjT5_SX_jjP12ihipStream_tbEUlT_E_NS1_11comp_targetILNS1_3genE10ELNS1_11target_archE1201ELNS1_3gpuE5ELNS1_3repE0EEENS1_30default_config_static_selectorELNS0_4arch9wavefront6targetE1EEEvSL_.uses_flat_scratch, 0
	.set _ZN7rocprim17ROCPRIM_400000_NS6detail17trampoline_kernelINS0_14default_configENS1_36segmented_radix_sort_config_selectorI6__halflEEZNS1_25segmented_radix_sort_implIS3_Lb0EPKS5_PS5_PKlPlN2at6native12_GLOBAL__N_18offset_tEEE10hipError_tPvRmT1_PNSt15iterator_traitsISL_E10value_typeET2_T3_PNSM_ISR_E10value_typeET4_jRbjT5_SX_jjP12ihipStream_tbEUlT_E_NS1_11comp_targetILNS1_3genE10ELNS1_11target_archE1201ELNS1_3gpuE5ELNS1_3repE0EEENS1_30default_config_static_selectorELNS0_4arch9wavefront6targetE1EEEvSL_.has_dyn_sized_stack, 0
	.set _ZN7rocprim17ROCPRIM_400000_NS6detail17trampoline_kernelINS0_14default_configENS1_36segmented_radix_sort_config_selectorI6__halflEEZNS1_25segmented_radix_sort_implIS3_Lb0EPKS5_PS5_PKlPlN2at6native12_GLOBAL__N_18offset_tEEE10hipError_tPvRmT1_PNSt15iterator_traitsISL_E10value_typeET2_T3_PNSM_ISR_E10value_typeET4_jRbjT5_SX_jjP12ihipStream_tbEUlT_E_NS1_11comp_targetILNS1_3genE10ELNS1_11target_archE1201ELNS1_3gpuE5ELNS1_3repE0EEENS1_30default_config_static_selectorELNS0_4arch9wavefront6targetE1EEEvSL_.has_recursion, 0
	.set _ZN7rocprim17ROCPRIM_400000_NS6detail17trampoline_kernelINS0_14default_configENS1_36segmented_radix_sort_config_selectorI6__halflEEZNS1_25segmented_radix_sort_implIS3_Lb0EPKS5_PS5_PKlPlN2at6native12_GLOBAL__N_18offset_tEEE10hipError_tPvRmT1_PNSt15iterator_traitsISL_E10value_typeET2_T3_PNSM_ISR_E10value_typeET4_jRbjT5_SX_jjP12ihipStream_tbEUlT_E_NS1_11comp_targetILNS1_3genE10ELNS1_11target_archE1201ELNS1_3gpuE5ELNS1_3repE0EEENS1_30default_config_static_selectorELNS0_4arch9wavefront6targetE1EEEvSL_.has_indirect_call, 0
	.section	.AMDGPU.csdata,"",@progbits
; Kernel info:
; codeLenInByte = 0
; TotalNumSgprs: 4
; NumVgprs: 0
; ScratchSize: 0
; MemoryBound: 0
; FloatMode: 240
; IeeeMode: 1
; LDSByteSize: 0 bytes/workgroup (compile time only)
; SGPRBlocks: 0
; VGPRBlocks: 0
; NumSGPRsForWavesPerEU: 4
; NumVGPRsForWavesPerEU: 1
; Occupancy: 10
; WaveLimiterHint : 0
; COMPUTE_PGM_RSRC2:SCRATCH_EN: 0
; COMPUTE_PGM_RSRC2:USER_SGPR: 6
; COMPUTE_PGM_RSRC2:TRAP_HANDLER: 0
; COMPUTE_PGM_RSRC2:TGID_X_EN: 1
; COMPUTE_PGM_RSRC2:TGID_Y_EN: 0
; COMPUTE_PGM_RSRC2:TGID_Z_EN: 0
; COMPUTE_PGM_RSRC2:TIDIG_COMP_CNT: 0
	.section	.text._ZN7rocprim17ROCPRIM_400000_NS6detail17trampoline_kernelINS0_14default_configENS1_36segmented_radix_sort_config_selectorI6__halflEEZNS1_25segmented_radix_sort_implIS3_Lb0EPKS5_PS5_PKlPlN2at6native12_GLOBAL__N_18offset_tEEE10hipError_tPvRmT1_PNSt15iterator_traitsISL_E10value_typeET2_T3_PNSM_ISR_E10value_typeET4_jRbjT5_SX_jjP12ihipStream_tbEUlT_E_NS1_11comp_targetILNS1_3genE10ELNS1_11target_archE1200ELNS1_3gpuE4ELNS1_3repE0EEENS1_30default_config_static_selectorELNS0_4arch9wavefront6targetE1EEEvSL_,"axG",@progbits,_ZN7rocprim17ROCPRIM_400000_NS6detail17trampoline_kernelINS0_14default_configENS1_36segmented_radix_sort_config_selectorI6__halflEEZNS1_25segmented_radix_sort_implIS3_Lb0EPKS5_PS5_PKlPlN2at6native12_GLOBAL__N_18offset_tEEE10hipError_tPvRmT1_PNSt15iterator_traitsISL_E10value_typeET2_T3_PNSM_ISR_E10value_typeET4_jRbjT5_SX_jjP12ihipStream_tbEUlT_E_NS1_11comp_targetILNS1_3genE10ELNS1_11target_archE1200ELNS1_3gpuE4ELNS1_3repE0EEENS1_30default_config_static_selectorELNS0_4arch9wavefront6targetE1EEEvSL_,comdat
	.globl	_ZN7rocprim17ROCPRIM_400000_NS6detail17trampoline_kernelINS0_14default_configENS1_36segmented_radix_sort_config_selectorI6__halflEEZNS1_25segmented_radix_sort_implIS3_Lb0EPKS5_PS5_PKlPlN2at6native12_GLOBAL__N_18offset_tEEE10hipError_tPvRmT1_PNSt15iterator_traitsISL_E10value_typeET2_T3_PNSM_ISR_E10value_typeET4_jRbjT5_SX_jjP12ihipStream_tbEUlT_E_NS1_11comp_targetILNS1_3genE10ELNS1_11target_archE1200ELNS1_3gpuE4ELNS1_3repE0EEENS1_30default_config_static_selectorELNS0_4arch9wavefront6targetE1EEEvSL_ ; -- Begin function _ZN7rocprim17ROCPRIM_400000_NS6detail17trampoline_kernelINS0_14default_configENS1_36segmented_radix_sort_config_selectorI6__halflEEZNS1_25segmented_radix_sort_implIS3_Lb0EPKS5_PS5_PKlPlN2at6native12_GLOBAL__N_18offset_tEEE10hipError_tPvRmT1_PNSt15iterator_traitsISL_E10value_typeET2_T3_PNSM_ISR_E10value_typeET4_jRbjT5_SX_jjP12ihipStream_tbEUlT_E_NS1_11comp_targetILNS1_3genE10ELNS1_11target_archE1200ELNS1_3gpuE4ELNS1_3repE0EEENS1_30default_config_static_selectorELNS0_4arch9wavefront6targetE1EEEvSL_
	.p2align	8
	.type	_ZN7rocprim17ROCPRIM_400000_NS6detail17trampoline_kernelINS0_14default_configENS1_36segmented_radix_sort_config_selectorI6__halflEEZNS1_25segmented_radix_sort_implIS3_Lb0EPKS5_PS5_PKlPlN2at6native12_GLOBAL__N_18offset_tEEE10hipError_tPvRmT1_PNSt15iterator_traitsISL_E10value_typeET2_T3_PNSM_ISR_E10value_typeET4_jRbjT5_SX_jjP12ihipStream_tbEUlT_E_NS1_11comp_targetILNS1_3genE10ELNS1_11target_archE1200ELNS1_3gpuE4ELNS1_3repE0EEENS1_30default_config_static_selectorELNS0_4arch9wavefront6targetE1EEEvSL_,@function
_ZN7rocprim17ROCPRIM_400000_NS6detail17trampoline_kernelINS0_14default_configENS1_36segmented_radix_sort_config_selectorI6__halflEEZNS1_25segmented_radix_sort_implIS3_Lb0EPKS5_PS5_PKlPlN2at6native12_GLOBAL__N_18offset_tEEE10hipError_tPvRmT1_PNSt15iterator_traitsISL_E10value_typeET2_T3_PNSM_ISR_E10value_typeET4_jRbjT5_SX_jjP12ihipStream_tbEUlT_E_NS1_11comp_targetILNS1_3genE10ELNS1_11target_archE1200ELNS1_3gpuE4ELNS1_3repE0EEENS1_30default_config_static_selectorELNS0_4arch9wavefront6targetE1EEEvSL_: ; @_ZN7rocprim17ROCPRIM_400000_NS6detail17trampoline_kernelINS0_14default_configENS1_36segmented_radix_sort_config_selectorI6__halflEEZNS1_25segmented_radix_sort_implIS3_Lb0EPKS5_PS5_PKlPlN2at6native12_GLOBAL__N_18offset_tEEE10hipError_tPvRmT1_PNSt15iterator_traitsISL_E10value_typeET2_T3_PNSM_ISR_E10value_typeET4_jRbjT5_SX_jjP12ihipStream_tbEUlT_E_NS1_11comp_targetILNS1_3genE10ELNS1_11target_archE1200ELNS1_3gpuE4ELNS1_3repE0EEENS1_30default_config_static_selectorELNS0_4arch9wavefront6targetE1EEEvSL_
; %bb.0:
	.section	.rodata,"a",@progbits
	.p2align	6, 0x0
	.amdhsa_kernel _ZN7rocprim17ROCPRIM_400000_NS6detail17trampoline_kernelINS0_14default_configENS1_36segmented_radix_sort_config_selectorI6__halflEEZNS1_25segmented_radix_sort_implIS3_Lb0EPKS5_PS5_PKlPlN2at6native12_GLOBAL__N_18offset_tEEE10hipError_tPvRmT1_PNSt15iterator_traitsISL_E10value_typeET2_T3_PNSM_ISR_E10value_typeET4_jRbjT5_SX_jjP12ihipStream_tbEUlT_E_NS1_11comp_targetILNS1_3genE10ELNS1_11target_archE1200ELNS1_3gpuE4ELNS1_3repE0EEENS1_30default_config_static_selectorELNS0_4arch9wavefront6targetE1EEEvSL_
		.amdhsa_group_segment_fixed_size 0
		.amdhsa_private_segment_fixed_size 0
		.amdhsa_kernarg_size 96
		.amdhsa_user_sgpr_count 6
		.amdhsa_user_sgpr_private_segment_buffer 1
		.amdhsa_user_sgpr_dispatch_ptr 0
		.amdhsa_user_sgpr_queue_ptr 0
		.amdhsa_user_sgpr_kernarg_segment_ptr 1
		.amdhsa_user_sgpr_dispatch_id 0
		.amdhsa_user_sgpr_flat_scratch_init 0
		.amdhsa_user_sgpr_private_segment_size 0
		.amdhsa_uses_dynamic_stack 0
		.amdhsa_system_sgpr_private_segment_wavefront_offset 0
		.amdhsa_system_sgpr_workgroup_id_x 1
		.amdhsa_system_sgpr_workgroup_id_y 0
		.amdhsa_system_sgpr_workgroup_id_z 0
		.amdhsa_system_sgpr_workgroup_info 0
		.amdhsa_system_vgpr_workitem_id 0
		.amdhsa_next_free_vgpr 1
		.amdhsa_next_free_sgpr 0
		.amdhsa_reserve_vcc 0
		.amdhsa_reserve_flat_scratch 0
		.amdhsa_float_round_mode_32 0
		.amdhsa_float_round_mode_16_64 0
		.amdhsa_float_denorm_mode_32 3
		.amdhsa_float_denorm_mode_16_64 3
		.amdhsa_dx10_clamp 1
		.amdhsa_ieee_mode 1
		.amdhsa_fp16_overflow 0
		.amdhsa_exception_fp_ieee_invalid_op 0
		.amdhsa_exception_fp_denorm_src 0
		.amdhsa_exception_fp_ieee_div_zero 0
		.amdhsa_exception_fp_ieee_overflow 0
		.amdhsa_exception_fp_ieee_underflow 0
		.amdhsa_exception_fp_ieee_inexact 0
		.amdhsa_exception_int_div_zero 0
	.end_amdhsa_kernel
	.section	.text._ZN7rocprim17ROCPRIM_400000_NS6detail17trampoline_kernelINS0_14default_configENS1_36segmented_radix_sort_config_selectorI6__halflEEZNS1_25segmented_radix_sort_implIS3_Lb0EPKS5_PS5_PKlPlN2at6native12_GLOBAL__N_18offset_tEEE10hipError_tPvRmT1_PNSt15iterator_traitsISL_E10value_typeET2_T3_PNSM_ISR_E10value_typeET4_jRbjT5_SX_jjP12ihipStream_tbEUlT_E_NS1_11comp_targetILNS1_3genE10ELNS1_11target_archE1200ELNS1_3gpuE4ELNS1_3repE0EEENS1_30default_config_static_selectorELNS0_4arch9wavefront6targetE1EEEvSL_,"axG",@progbits,_ZN7rocprim17ROCPRIM_400000_NS6detail17trampoline_kernelINS0_14default_configENS1_36segmented_radix_sort_config_selectorI6__halflEEZNS1_25segmented_radix_sort_implIS3_Lb0EPKS5_PS5_PKlPlN2at6native12_GLOBAL__N_18offset_tEEE10hipError_tPvRmT1_PNSt15iterator_traitsISL_E10value_typeET2_T3_PNSM_ISR_E10value_typeET4_jRbjT5_SX_jjP12ihipStream_tbEUlT_E_NS1_11comp_targetILNS1_3genE10ELNS1_11target_archE1200ELNS1_3gpuE4ELNS1_3repE0EEENS1_30default_config_static_selectorELNS0_4arch9wavefront6targetE1EEEvSL_,comdat
.Lfunc_end1849:
	.size	_ZN7rocprim17ROCPRIM_400000_NS6detail17trampoline_kernelINS0_14default_configENS1_36segmented_radix_sort_config_selectorI6__halflEEZNS1_25segmented_radix_sort_implIS3_Lb0EPKS5_PS5_PKlPlN2at6native12_GLOBAL__N_18offset_tEEE10hipError_tPvRmT1_PNSt15iterator_traitsISL_E10value_typeET2_T3_PNSM_ISR_E10value_typeET4_jRbjT5_SX_jjP12ihipStream_tbEUlT_E_NS1_11comp_targetILNS1_3genE10ELNS1_11target_archE1200ELNS1_3gpuE4ELNS1_3repE0EEENS1_30default_config_static_selectorELNS0_4arch9wavefront6targetE1EEEvSL_, .Lfunc_end1849-_ZN7rocprim17ROCPRIM_400000_NS6detail17trampoline_kernelINS0_14default_configENS1_36segmented_radix_sort_config_selectorI6__halflEEZNS1_25segmented_radix_sort_implIS3_Lb0EPKS5_PS5_PKlPlN2at6native12_GLOBAL__N_18offset_tEEE10hipError_tPvRmT1_PNSt15iterator_traitsISL_E10value_typeET2_T3_PNSM_ISR_E10value_typeET4_jRbjT5_SX_jjP12ihipStream_tbEUlT_E_NS1_11comp_targetILNS1_3genE10ELNS1_11target_archE1200ELNS1_3gpuE4ELNS1_3repE0EEENS1_30default_config_static_selectorELNS0_4arch9wavefront6targetE1EEEvSL_
                                        ; -- End function
	.set _ZN7rocprim17ROCPRIM_400000_NS6detail17trampoline_kernelINS0_14default_configENS1_36segmented_radix_sort_config_selectorI6__halflEEZNS1_25segmented_radix_sort_implIS3_Lb0EPKS5_PS5_PKlPlN2at6native12_GLOBAL__N_18offset_tEEE10hipError_tPvRmT1_PNSt15iterator_traitsISL_E10value_typeET2_T3_PNSM_ISR_E10value_typeET4_jRbjT5_SX_jjP12ihipStream_tbEUlT_E_NS1_11comp_targetILNS1_3genE10ELNS1_11target_archE1200ELNS1_3gpuE4ELNS1_3repE0EEENS1_30default_config_static_selectorELNS0_4arch9wavefront6targetE1EEEvSL_.num_vgpr, 0
	.set _ZN7rocprim17ROCPRIM_400000_NS6detail17trampoline_kernelINS0_14default_configENS1_36segmented_radix_sort_config_selectorI6__halflEEZNS1_25segmented_radix_sort_implIS3_Lb0EPKS5_PS5_PKlPlN2at6native12_GLOBAL__N_18offset_tEEE10hipError_tPvRmT1_PNSt15iterator_traitsISL_E10value_typeET2_T3_PNSM_ISR_E10value_typeET4_jRbjT5_SX_jjP12ihipStream_tbEUlT_E_NS1_11comp_targetILNS1_3genE10ELNS1_11target_archE1200ELNS1_3gpuE4ELNS1_3repE0EEENS1_30default_config_static_selectorELNS0_4arch9wavefront6targetE1EEEvSL_.num_agpr, 0
	.set _ZN7rocprim17ROCPRIM_400000_NS6detail17trampoline_kernelINS0_14default_configENS1_36segmented_radix_sort_config_selectorI6__halflEEZNS1_25segmented_radix_sort_implIS3_Lb0EPKS5_PS5_PKlPlN2at6native12_GLOBAL__N_18offset_tEEE10hipError_tPvRmT1_PNSt15iterator_traitsISL_E10value_typeET2_T3_PNSM_ISR_E10value_typeET4_jRbjT5_SX_jjP12ihipStream_tbEUlT_E_NS1_11comp_targetILNS1_3genE10ELNS1_11target_archE1200ELNS1_3gpuE4ELNS1_3repE0EEENS1_30default_config_static_selectorELNS0_4arch9wavefront6targetE1EEEvSL_.numbered_sgpr, 0
	.set _ZN7rocprim17ROCPRIM_400000_NS6detail17trampoline_kernelINS0_14default_configENS1_36segmented_radix_sort_config_selectorI6__halflEEZNS1_25segmented_radix_sort_implIS3_Lb0EPKS5_PS5_PKlPlN2at6native12_GLOBAL__N_18offset_tEEE10hipError_tPvRmT1_PNSt15iterator_traitsISL_E10value_typeET2_T3_PNSM_ISR_E10value_typeET4_jRbjT5_SX_jjP12ihipStream_tbEUlT_E_NS1_11comp_targetILNS1_3genE10ELNS1_11target_archE1200ELNS1_3gpuE4ELNS1_3repE0EEENS1_30default_config_static_selectorELNS0_4arch9wavefront6targetE1EEEvSL_.num_named_barrier, 0
	.set _ZN7rocprim17ROCPRIM_400000_NS6detail17trampoline_kernelINS0_14default_configENS1_36segmented_radix_sort_config_selectorI6__halflEEZNS1_25segmented_radix_sort_implIS3_Lb0EPKS5_PS5_PKlPlN2at6native12_GLOBAL__N_18offset_tEEE10hipError_tPvRmT1_PNSt15iterator_traitsISL_E10value_typeET2_T3_PNSM_ISR_E10value_typeET4_jRbjT5_SX_jjP12ihipStream_tbEUlT_E_NS1_11comp_targetILNS1_3genE10ELNS1_11target_archE1200ELNS1_3gpuE4ELNS1_3repE0EEENS1_30default_config_static_selectorELNS0_4arch9wavefront6targetE1EEEvSL_.private_seg_size, 0
	.set _ZN7rocprim17ROCPRIM_400000_NS6detail17trampoline_kernelINS0_14default_configENS1_36segmented_radix_sort_config_selectorI6__halflEEZNS1_25segmented_radix_sort_implIS3_Lb0EPKS5_PS5_PKlPlN2at6native12_GLOBAL__N_18offset_tEEE10hipError_tPvRmT1_PNSt15iterator_traitsISL_E10value_typeET2_T3_PNSM_ISR_E10value_typeET4_jRbjT5_SX_jjP12ihipStream_tbEUlT_E_NS1_11comp_targetILNS1_3genE10ELNS1_11target_archE1200ELNS1_3gpuE4ELNS1_3repE0EEENS1_30default_config_static_selectorELNS0_4arch9wavefront6targetE1EEEvSL_.uses_vcc, 0
	.set _ZN7rocprim17ROCPRIM_400000_NS6detail17trampoline_kernelINS0_14default_configENS1_36segmented_radix_sort_config_selectorI6__halflEEZNS1_25segmented_radix_sort_implIS3_Lb0EPKS5_PS5_PKlPlN2at6native12_GLOBAL__N_18offset_tEEE10hipError_tPvRmT1_PNSt15iterator_traitsISL_E10value_typeET2_T3_PNSM_ISR_E10value_typeET4_jRbjT5_SX_jjP12ihipStream_tbEUlT_E_NS1_11comp_targetILNS1_3genE10ELNS1_11target_archE1200ELNS1_3gpuE4ELNS1_3repE0EEENS1_30default_config_static_selectorELNS0_4arch9wavefront6targetE1EEEvSL_.uses_flat_scratch, 0
	.set _ZN7rocprim17ROCPRIM_400000_NS6detail17trampoline_kernelINS0_14default_configENS1_36segmented_radix_sort_config_selectorI6__halflEEZNS1_25segmented_radix_sort_implIS3_Lb0EPKS5_PS5_PKlPlN2at6native12_GLOBAL__N_18offset_tEEE10hipError_tPvRmT1_PNSt15iterator_traitsISL_E10value_typeET2_T3_PNSM_ISR_E10value_typeET4_jRbjT5_SX_jjP12ihipStream_tbEUlT_E_NS1_11comp_targetILNS1_3genE10ELNS1_11target_archE1200ELNS1_3gpuE4ELNS1_3repE0EEENS1_30default_config_static_selectorELNS0_4arch9wavefront6targetE1EEEvSL_.has_dyn_sized_stack, 0
	.set _ZN7rocprim17ROCPRIM_400000_NS6detail17trampoline_kernelINS0_14default_configENS1_36segmented_radix_sort_config_selectorI6__halflEEZNS1_25segmented_radix_sort_implIS3_Lb0EPKS5_PS5_PKlPlN2at6native12_GLOBAL__N_18offset_tEEE10hipError_tPvRmT1_PNSt15iterator_traitsISL_E10value_typeET2_T3_PNSM_ISR_E10value_typeET4_jRbjT5_SX_jjP12ihipStream_tbEUlT_E_NS1_11comp_targetILNS1_3genE10ELNS1_11target_archE1200ELNS1_3gpuE4ELNS1_3repE0EEENS1_30default_config_static_selectorELNS0_4arch9wavefront6targetE1EEEvSL_.has_recursion, 0
	.set _ZN7rocprim17ROCPRIM_400000_NS6detail17trampoline_kernelINS0_14default_configENS1_36segmented_radix_sort_config_selectorI6__halflEEZNS1_25segmented_radix_sort_implIS3_Lb0EPKS5_PS5_PKlPlN2at6native12_GLOBAL__N_18offset_tEEE10hipError_tPvRmT1_PNSt15iterator_traitsISL_E10value_typeET2_T3_PNSM_ISR_E10value_typeET4_jRbjT5_SX_jjP12ihipStream_tbEUlT_E_NS1_11comp_targetILNS1_3genE10ELNS1_11target_archE1200ELNS1_3gpuE4ELNS1_3repE0EEENS1_30default_config_static_selectorELNS0_4arch9wavefront6targetE1EEEvSL_.has_indirect_call, 0
	.section	.AMDGPU.csdata,"",@progbits
; Kernel info:
; codeLenInByte = 0
; TotalNumSgprs: 4
; NumVgprs: 0
; ScratchSize: 0
; MemoryBound: 0
; FloatMode: 240
; IeeeMode: 1
; LDSByteSize: 0 bytes/workgroup (compile time only)
; SGPRBlocks: 0
; VGPRBlocks: 0
; NumSGPRsForWavesPerEU: 4
; NumVGPRsForWavesPerEU: 1
; Occupancy: 10
; WaveLimiterHint : 0
; COMPUTE_PGM_RSRC2:SCRATCH_EN: 0
; COMPUTE_PGM_RSRC2:USER_SGPR: 6
; COMPUTE_PGM_RSRC2:TRAP_HANDLER: 0
; COMPUTE_PGM_RSRC2:TGID_X_EN: 1
; COMPUTE_PGM_RSRC2:TGID_Y_EN: 0
; COMPUTE_PGM_RSRC2:TGID_Z_EN: 0
; COMPUTE_PGM_RSRC2:TIDIG_COMP_CNT: 0
	.section	.text._ZN7rocprim17ROCPRIM_400000_NS6detail17trampoline_kernelINS0_14default_configENS1_36segmented_radix_sort_config_selectorI6__halflEEZNS1_25segmented_radix_sort_implIS3_Lb0EPKS5_PS5_PKlPlN2at6native12_GLOBAL__N_18offset_tEEE10hipError_tPvRmT1_PNSt15iterator_traitsISL_E10value_typeET2_T3_PNSM_ISR_E10value_typeET4_jRbjT5_SX_jjP12ihipStream_tbEUlT_E_NS1_11comp_targetILNS1_3genE9ELNS1_11target_archE1100ELNS1_3gpuE3ELNS1_3repE0EEENS1_30default_config_static_selectorELNS0_4arch9wavefront6targetE1EEEvSL_,"axG",@progbits,_ZN7rocprim17ROCPRIM_400000_NS6detail17trampoline_kernelINS0_14default_configENS1_36segmented_radix_sort_config_selectorI6__halflEEZNS1_25segmented_radix_sort_implIS3_Lb0EPKS5_PS5_PKlPlN2at6native12_GLOBAL__N_18offset_tEEE10hipError_tPvRmT1_PNSt15iterator_traitsISL_E10value_typeET2_T3_PNSM_ISR_E10value_typeET4_jRbjT5_SX_jjP12ihipStream_tbEUlT_E_NS1_11comp_targetILNS1_3genE9ELNS1_11target_archE1100ELNS1_3gpuE3ELNS1_3repE0EEENS1_30default_config_static_selectorELNS0_4arch9wavefront6targetE1EEEvSL_,comdat
	.globl	_ZN7rocprim17ROCPRIM_400000_NS6detail17trampoline_kernelINS0_14default_configENS1_36segmented_radix_sort_config_selectorI6__halflEEZNS1_25segmented_radix_sort_implIS3_Lb0EPKS5_PS5_PKlPlN2at6native12_GLOBAL__N_18offset_tEEE10hipError_tPvRmT1_PNSt15iterator_traitsISL_E10value_typeET2_T3_PNSM_ISR_E10value_typeET4_jRbjT5_SX_jjP12ihipStream_tbEUlT_E_NS1_11comp_targetILNS1_3genE9ELNS1_11target_archE1100ELNS1_3gpuE3ELNS1_3repE0EEENS1_30default_config_static_selectorELNS0_4arch9wavefront6targetE1EEEvSL_ ; -- Begin function _ZN7rocprim17ROCPRIM_400000_NS6detail17trampoline_kernelINS0_14default_configENS1_36segmented_radix_sort_config_selectorI6__halflEEZNS1_25segmented_radix_sort_implIS3_Lb0EPKS5_PS5_PKlPlN2at6native12_GLOBAL__N_18offset_tEEE10hipError_tPvRmT1_PNSt15iterator_traitsISL_E10value_typeET2_T3_PNSM_ISR_E10value_typeET4_jRbjT5_SX_jjP12ihipStream_tbEUlT_E_NS1_11comp_targetILNS1_3genE9ELNS1_11target_archE1100ELNS1_3gpuE3ELNS1_3repE0EEENS1_30default_config_static_selectorELNS0_4arch9wavefront6targetE1EEEvSL_
	.p2align	8
	.type	_ZN7rocprim17ROCPRIM_400000_NS6detail17trampoline_kernelINS0_14default_configENS1_36segmented_radix_sort_config_selectorI6__halflEEZNS1_25segmented_radix_sort_implIS3_Lb0EPKS5_PS5_PKlPlN2at6native12_GLOBAL__N_18offset_tEEE10hipError_tPvRmT1_PNSt15iterator_traitsISL_E10value_typeET2_T3_PNSM_ISR_E10value_typeET4_jRbjT5_SX_jjP12ihipStream_tbEUlT_E_NS1_11comp_targetILNS1_3genE9ELNS1_11target_archE1100ELNS1_3gpuE3ELNS1_3repE0EEENS1_30default_config_static_selectorELNS0_4arch9wavefront6targetE1EEEvSL_,@function
_ZN7rocprim17ROCPRIM_400000_NS6detail17trampoline_kernelINS0_14default_configENS1_36segmented_radix_sort_config_selectorI6__halflEEZNS1_25segmented_radix_sort_implIS3_Lb0EPKS5_PS5_PKlPlN2at6native12_GLOBAL__N_18offset_tEEE10hipError_tPvRmT1_PNSt15iterator_traitsISL_E10value_typeET2_T3_PNSM_ISR_E10value_typeET4_jRbjT5_SX_jjP12ihipStream_tbEUlT_E_NS1_11comp_targetILNS1_3genE9ELNS1_11target_archE1100ELNS1_3gpuE3ELNS1_3repE0EEENS1_30default_config_static_selectorELNS0_4arch9wavefront6targetE1EEEvSL_: ; @_ZN7rocprim17ROCPRIM_400000_NS6detail17trampoline_kernelINS0_14default_configENS1_36segmented_radix_sort_config_selectorI6__halflEEZNS1_25segmented_radix_sort_implIS3_Lb0EPKS5_PS5_PKlPlN2at6native12_GLOBAL__N_18offset_tEEE10hipError_tPvRmT1_PNSt15iterator_traitsISL_E10value_typeET2_T3_PNSM_ISR_E10value_typeET4_jRbjT5_SX_jjP12ihipStream_tbEUlT_E_NS1_11comp_targetILNS1_3genE9ELNS1_11target_archE1100ELNS1_3gpuE3ELNS1_3repE0EEENS1_30default_config_static_selectorELNS0_4arch9wavefront6targetE1EEEvSL_
; %bb.0:
	.section	.rodata,"a",@progbits
	.p2align	6, 0x0
	.amdhsa_kernel _ZN7rocprim17ROCPRIM_400000_NS6detail17trampoline_kernelINS0_14default_configENS1_36segmented_radix_sort_config_selectorI6__halflEEZNS1_25segmented_radix_sort_implIS3_Lb0EPKS5_PS5_PKlPlN2at6native12_GLOBAL__N_18offset_tEEE10hipError_tPvRmT1_PNSt15iterator_traitsISL_E10value_typeET2_T3_PNSM_ISR_E10value_typeET4_jRbjT5_SX_jjP12ihipStream_tbEUlT_E_NS1_11comp_targetILNS1_3genE9ELNS1_11target_archE1100ELNS1_3gpuE3ELNS1_3repE0EEENS1_30default_config_static_selectorELNS0_4arch9wavefront6targetE1EEEvSL_
		.amdhsa_group_segment_fixed_size 0
		.amdhsa_private_segment_fixed_size 0
		.amdhsa_kernarg_size 96
		.amdhsa_user_sgpr_count 6
		.amdhsa_user_sgpr_private_segment_buffer 1
		.amdhsa_user_sgpr_dispatch_ptr 0
		.amdhsa_user_sgpr_queue_ptr 0
		.amdhsa_user_sgpr_kernarg_segment_ptr 1
		.amdhsa_user_sgpr_dispatch_id 0
		.amdhsa_user_sgpr_flat_scratch_init 0
		.amdhsa_user_sgpr_private_segment_size 0
		.amdhsa_uses_dynamic_stack 0
		.amdhsa_system_sgpr_private_segment_wavefront_offset 0
		.amdhsa_system_sgpr_workgroup_id_x 1
		.amdhsa_system_sgpr_workgroup_id_y 0
		.amdhsa_system_sgpr_workgroup_id_z 0
		.amdhsa_system_sgpr_workgroup_info 0
		.amdhsa_system_vgpr_workitem_id 0
		.amdhsa_next_free_vgpr 1
		.amdhsa_next_free_sgpr 0
		.amdhsa_reserve_vcc 0
		.amdhsa_reserve_flat_scratch 0
		.amdhsa_float_round_mode_32 0
		.amdhsa_float_round_mode_16_64 0
		.amdhsa_float_denorm_mode_32 3
		.amdhsa_float_denorm_mode_16_64 3
		.amdhsa_dx10_clamp 1
		.amdhsa_ieee_mode 1
		.amdhsa_fp16_overflow 0
		.amdhsa_exception_fp_ieee_invalid_op 0
		.amdhsa_exception_fp_denorm_src 0
		.amdhsa_exception_fp_ieee_div_zero 0
		.amdhsa_exception_fp_ieee_overflow 0
		.amdhsa_exception_fp_ieee_underflow 0
		.amdhsa_exception_fp_ieee_inexact 0
		.amdhsa_exception_int_div_zero 0
	.end_amdhsa_kernel
	.section	.text._ZN7rocprim17ROCPRIM_400000_NS6detail17trampoline_kernelINS0_14default_configENS1_36segmented_radix_sort_config_selectorI6__halflEEZNS1_25segmented_radix_sort_implIS3_Lb0EPKS5_PS5_PKlPlN2at6native12_GLOBAL__N_18offset_tEEE10hipError_tPvRmT1_PNSt15iterator_traitsISL_E10value_typeET2_T3_PNSM_ISR_E10value_typeET4_jRbjT5_SX_jjP12ihipStream_tbEUlT_E_NS1_11comp_targetILNS1_3genE9ELNS1_11target_archE1100ELNS1_3gpuE3ELNS1_3repE0EEENS1_30default_config_static_selectorELNS0_4arch9wavefront6targetE1EEEvSL_,"axG",@progbits,_ZN7rocprim17ROCPRIM_400000_NS6detail17trampoline_kernelINS0_14default_configENS1_36segmented_radix_sort_config_selectorI6__halflEEZNS1_25segmented_radix_sort_implIS3_Lb0EPKS5_PS5_PKlPlN2at6native12_GLOBAL__N_18offset_tEEE10hipError_tPvRmT1_PNSt15iterator_traitsISL_E10value_typeET2_T3_PNSM_ISR_E10value_typeET4_jRbjT5_SX_jjP12ihipStream_tbEUlT_E_NS1_11comp_targetILNS1_3genE9ELNS1_11target_archE1100ELNS1_3gpuE3ELNS1_3repE0EEENS1_30default_config_static_selectorELNS0_4arch9wavefront6targetE1EEEvSL_,comdat
.Lfunc_end1850:
	.size	_ZN7rocprim17ROCPRIM_400000_NS6detail17trampoline_kernelINS0_14default_configENS1_36segmented_radix_sort_config_selectorI6__halflEEZNS1_25segmented_radix_sort_implIS3_Lb0EPKS5_PS5_PKlPlN2at6native12_GLOBAL__N_18offset_tEEE10hipError_tPvRmT1_PNSt15iterator_traitsISL_E10value_typeET2_T3_PNSM_ISR_E10value_typeET4_jRbjT5_SX_jjP12ihipStream_tbEUlT_E_NS1_11comp_targetILNS1_3genE9ELNS1_11target_archE1100ELNS1_3gpuE3ELNS1_3repE0EEENS1_30default_config_static_selectorELNS0_4arch9wavefront6targetE1EEEvSL_, .Lfunc_end1850-_ZN7rocprim17ROCPRIM_400000_NS6detail17trampoline_kernelINS0_14default_configENS1_36segmented_radix_sort_config_selectorI6__halflEEZNS1_25segmented_radix_sort_implIS3_Lb0EPKS5_PS5_PKlPlN2at6native12_GLOBAL__N_18offset_tEEE10hipError_tPvRmT1_PNSt15iterator_traitsISL_E10value_typeET2_T3_PNSM_ISR_E10value_typeET4_jRbjT5_SX_jjP12ihipStream_tbEUlT_E_NS1_11comp_targetILNS1_3genE9ELNS1_11target_archE1100ELNS1_3gpuE3ELNS1_3repE0EEENS1_30default_config_static_selectorELNS0_4arch9wavefront6targetE1EEEvSL_
                                        ; -- End function
	.set _ZN7rocprim17ROCPRIM_400000_NS6detail17trampoline_kernelINS0_14default_configENS1_36segmented_radix_sort_config_selectorI6__halflEEZNS1_25segmented_radix_sort_implIS3_Lb0EPKS5_PS5_PKlPlN2at6native12_GLOBAL__N_18offset_tEEE10hipError_tPvRmT1_PNSt15iterator_traitsISL_E10value_typeET2_T3_PNSM_ISR_E10value_typeET4_jRbjT5_SX_jjP12ihipStream_tbEUlT_E_NS1_11comp_targetILNS1_3genE9ELNS1_11target_archE1100ELNS1_3gpuE3ELNS1_3repE0EEENS1_30default_config_static_selectorELNS0_4arch9wavefront6targetE1EEEvSL_.num_vgpr, 0
	.set _ZN7rocprim17ROCPRIM_400000_NS6detail17trampoline_kernelINS0_14default_configENS1_36segmented_radix_sort_config_selectorI6__halflEEZNS1_25segmented_radix_sort_implIS3_Lb0EPKS5_PS5_PKlPlN2at6native12_GLOBAL__N_18offset_tEEE10hipError_tPvRmT1_PNSt15iterator_traitsISL_E10value_typeET2_T3_PNSM_ISR_E10value_typeET4_jRbjT5_SX_jjP12ihipStream_tbEUlT_E_NS1_11comp_targetILNS1_3genE9ELNS1_11target_archE1100ELNS1_3gpuE3ELNS1_3repE0EEENS1_30default_config_static_selectorELNS0_4arch9wavefront6targetE1EEEvSL_.num_agpr, 0
	.set _ZN7rocprim17ROCPRIM_400000_NS6detail17trampoline_kernelINS0_14default_configENS1_36segmented_radix_sort_config_selectorI6__halflEEZNS1_25segmented_radix_sort_implIS3_Lb0EPKS5_PS5_PKlPlN2at6native12_GLOBAL__N_18offset_tEEE10hipError_tPvRmT1_PNSt15iterator_traitsISL_E10value_typeET2_T3_PNSM_ISR_E10value_typeET4_jRbjT5_SX_jjP12ihipStream_tbEUlT_E_NS1_11comp_targetILNS1_3genE9ELNS1_11target_archE1100ELNS1_3gpuE3ELNS1_3repE0EEENS1_30default_config_static_selectorELNS0_4arch9wavefront6targetE1EEEvSL_.numbered_sgpr, 0
	.set _ZN7rocprim17ROCPRIM_400000_NS6detail17trampoline_kernelINS0_14default_configENS1_36segmented_radix_sort_config_selectorI6__halflEEZNS1_25segmented_radix_sort_implIS3_Lb0EPKS5_PS5_PKlPlN2at6native12_GLOBAL__N_18offset_tEEE10hipError_tPvRmT1_PNSt15iterator_traitsISL_E10value_typeET2_T3_PNSM_ISR_E10value_typeET4_jRbjT5_SX_jjP12ihipStream_tbEUlT_E_NS1_11comp_targetILNS1_3genE9ELNS1_11target_archE1100ELNS1_3gpuE3ELNS1_3repE0EEENS1_30default_config_static_selectorELNS0_4arch9wavefront6targetE1EEEvSL_.num_named_barrier, 0
	.set _ZN7rocprim17ROCPRIM_400000_NS6detail17trampoline_kernelINS0_14default_configENS1_36segmented_radix_sort_config_selectorI6__halflEEZNS1_25segmented_radix_sort_implIS3_Lb0EPKS5_PS5_PKlPlN2at6native12_GLOBAL__N_18offset_tEEE10hipError_tPvRmT1_PNSt15iterator_traitsISL_E10value_typeET2_T3_PNSM_ISR_E10value_typeET4_jRbjT5_SX_jjP12ihipStream_tbEUlT_E_NS1_11comp_targetILNS1_3genE9ELNS1_11target_archE1100ELNS1_3gpuE3ELNS1_3repE0EEENS1_30default_config_static_selectorELNS0_4arch9wavefront6targetE1EEEvSL_.private_seg_size, 0
	.set _ZN7rocprim17ROCPRIM_400000_NS6detail17trampoline_kernelINS0_14default_configENS1_36segmented_radix_sort_config_selectorI6__halflEEZNS1_25segmented_radix_sort_implIS3_Lb0EPKS5_PS5_PKlPlN2at6native12_GLOBAL__N_18offset_tEEE10hipError_tPvRmT1_PNSt15iterator_traitsISL_E10value_typeET2_T3_PNSM_ISR_E10value_typeET4_jRbjT5_SX_jjP12ihipStream_tbEUlT_E_NS1_11comp_targetILNS1_3genE9ELNS1_11target_archE1100ELNS1_3gpuE3ELNS1_3repE0EEENS1_30default_config_static_selectorELNS0_4arch9wavefront6targetE1EEEvSL_.uses_vcc, 0
	.set _ZN7rocprim17ROCPRIM_400000_NS6detail17trampoline_kernelINS0_14default_configENS1_36segmented_radix_sort_config_selectorI6__halflEEZNS1_25segmented_radix_sort_implIS3_Lb0EPKS5_PS5_PKlPlN2at6native12_GLOBAL__N_18offset_tEEE10hipError_tPvRmT1_PNSt15iterator_traitsISL_E10value_typeET2_T3_PNSM_ISR_E10value_typeET4_jRbjT5_SX_jjP12ihipStream_tbEUlT_E_NS1_11comp_targetILNS1_3genE9ELNS1_11target_archE1100ELNS1_3gpuE3ELNS1_3repE0EEENS1_30default_config_static_selectorELNS0_4arch9wavefront6targetE1EEEvSL_.uses_flat_scratch, 0
	.set _ZN7rocprim17ROCPRIM_400000_NS6detail17trampoline_kernelINS0_14default_configENS1_36segmented_radix_sort_config_selectorI6__halflEEZNS1_25segmented_radix_sort_implIS3_Lb0EPKS5_PS5_PKlPlN2at6native12_GLOBAL__N_18offset_tEEE10hipError_tPvRmT1_PNSt15iterator_traitsISL_E10value_typeET2_T3_PNSM_ISR_E10value_typeET4_jRbjT5_SX_jjP12ihipStream_tbEUlT_E_NS1_11comp_targetILNS1_3genE9ELNS1_11target_archE1100ELNS1_3gpuE3ELNS1_3repE0EEENS1_30default_config_static_selectorELNS0_4arch9wavefront6targetE1EEEvSL_.has_dyn_sized_stack, 0
	.set _ZN7rocprim17ROCPRIM_400000_NS6detail17trampoline_kernelINS0_14default_configENS1_36segmented_radix_sort_config_selectorI6__halflEEZNS1_25segmented_radix_sort_implIS3_Lb0EPKS5_PS5_PKlPlN2at6native12_GLOBAL__N_18offset_tEEE10hipError_tPvRmT1_PNSt15iterator_traitsISL_E10value_typeET2_T3_PNSM_ISR_E10value_typeET4_jRbjT5_SX_jjP12ihipStream_tbEUlT_E_NS1_11comp_targetILNS1_3genE9ELNS1_11target_archE1100ELNS1_3gpuE3ELNS1_3repE0EEENS1_30default_config_static_selectorELNS0_4arch9wavefront6targetE1EEEvSL_.has_recursion, 0
	.set _ZN7rocprim17ROCPRIM_400000_NS6detail17trampoline_kernelINS0_14default_configENS1_36segmented_radix_sort_config_selectorI6__halflEEZNS1_25segmented_radix_sort_implIS3_Lb0EPKS5_PS5_PKlPlN2at6native12_GLOBAL__N_18offset_tEEE10hipError_tPvRmT1_PNSt15iterator_traitsISL_E10value_typeET2_T3_PNSM_ISR_E10value_typeET4_jRbjT5_SX_jjP12ihipStream_tbEUlT_E_NS1_11comp_targetILNS1_3genE9ELNS1_11target_archE1100ELNS1_3gpuE3ELNS1_3repE0EEENS1_30default_config_static_selectorELNS0_4arch9wavefront6targetE1EEEvSL_.has_indirect_call, 0
	.section	.AMDGPU.csdata,"",@progbits
; Kernel info:
; codeLenInByte = 0
; TotalNumSgprs: 4
; NumVgprs: 0
; ScratchSize: 0
; MemoryBound: 0
; FloatMode: 240
; IeeeMode: 1
; LDSByteSize: 0 bytes/workgroup (compile time only)
; SGPRBlocks: 0
; VGPRBlocks: 0
; NumSGPRsForWavesPerEU: 4
; NumVGPRsForWavesPerEU: 1
; Occupancy: 10
; WaveLimiterHint : 0
; COMPUTE_PGM_RSRC2:SCRATCH_EN: 0
; COMPUTE_PGM_RSRC2:USER_SGPR: 6
; COMPUTE_PGM_RSRC2:TRAP_HANDLER: 0
; COMPUTE_PGM_RSRC2:TGID_X_EN: 1
; COMPUTE_PGM_RSRC2:TGID_Y_EN: 0
; COMPUTE_PGM_RSRC2:TGID_Z_EN: 0
; COMPUTE_PGM_RSRC2:TIDIG_COMP_CNT: 0
	.section	.text._ZN7rocprim17ROCPRIM_400000_NS6detail17trampoline_kernelINS0_14default_configENS1_36segmented_radix_sort_config_selectorI6__halflEEZNS1_25segmented_radix_sort_implIS3_Lb0EPKS5_PS5_PKlPlN2at6native12_GLOBAL__N_18offset_tEEE10hipError_tPvRmT1_PNSt15iterator_traitsISL_E10value_typeET2_T3_PNSM_ISR_E10value_typeET4_jRbjT5_SX_jjP12ihipStream_tbEUlT_E_NS1_11comp_targetILNS1_3genE8ELNS1_11target_archE1030ELNS1_3gpuE2ELNS1_3repE0EEENS1_30default_config_static_selectorELNS0_4arch9wavefront6targetE1EEEvSL_,"axG",@progbits,_ZN7rocprim17ROCPRIM_400000_NS6detail17trampoline_kernelINS0_14default_configENS1_36segmented_radix_sort_config_selectorI6__halflEEZNS1_25segmented_radix_sort_implIS3_Lb0EPKS5_PS5_PKlPlN2at6native12_GLOBAL__N_18offset_tEEE10hipError_tPvRmT1_PNSt15iterator_traitsISL_E10value_typeET2_T3_PNSM_ISR_E10value_typeET4_jRbjT5_SX_jjP12ihipStream_tbEUlT_E_NS1_11comp_targetILNS1_3genE8ELNS1_11target_archE1030ELNS1_3gpuE2ELNS1_3repE0EEENS1_30default_config_static_selectorELNS0_4arch9wavefront6targetE1EEEvSL_,comdat
	.globl	_ZN7rocprim17ROCPRIM_400000_NS6detail17trampoline_kernelINS0_14default_configENS1_36segmented_radix_sort_config_selectorI6__halflEEZNS1_25segmented_radix_sort_implIS3_Lb0EPKS5_PS5_PKlPlN2at6native12_GLOBAL__N_18offset_tEEE10hipError_tPvRmT1_PNSt15iterator_traitsISL_E10value_typeET2_T3_PNSM_ISR_E10value_typeET4_jRbjT5_SX_jjP12ihipStream_tbEUlT_E_NS1_11comp_targetILNS1_3genE8ELNS1_11target_archE1030ELNS1_3gpuE2ELNS1_3repE0EEENS1_30default_config_static_selectorELNS0_4arch9wavefront6targetE1EEEvSL_ ; -- Begin function _ZN7rocprim17ROCPRIM_400000_NS6detail17trampoline_kernelINS0_14default_configENS1_36segmented_radix_sort_config_selectorI6__halflEEZNS1_25segmented_radix_sort_implIS3_Lb0EPKS5_PS5_PKlPlN2at6native12_GLOBAL__N_18offset_tEEE10hipError_tPvRmT1_PNSt15iterator_traitsISL_E10value_typeET2_T3_PNSM_ISR_E10value_typeET4_jRbjT5_SX_jjP12ihipStream_tbEUlT_E_NS1_11comp_targetILNS1_3genE8ELNS1_11target_archE1030ELNS1_3gpuE2ELNS1_3repE0EEENS1_30default_config_static_selectorELNS0_4arch9wavefront6targetE1EEEvSL_
	.p2align	8
	.type	_ZN7rocprim17ROCPRIM_400000_NS6detail17trampoline_kernelINS0_14default_configENS1_36segmented_radix_sort_config_selectorI6__halflEEZNS1_25segmented_radix_sort_implIS3_Lb0EPKS5_PS5_PKlPlN2at6native12_GLOBAL__N_18offset_tEEE10hipError_tPvRmT1_PNSt15iterator_traitsISL_E10value_typeET2_T3_PNSM_ISR_E10value_typeET4_jRbjT5_SX_jjP12ihipStream_tbEUlT_E_NS1_11comp_targetILNS1_3genE8ELNS1_11target_archE1030ELNS1_3gpuE2ELNS1_3repE0EEENS1_30default_config_static_selectorELNS0_4arch9wavefront6targetE1EEEvSL_,@function
_ZN7rocprim17ROCPRIM_400000_NS6detail17trampoline_kernelINS0_14default_configENS1_36segmented_radix_sort_config_selectorI6__halflEEZNS1_25segmented_radix_sort_implIS3_Lb0EPKS5_PS5_PKlPlN2at6native12_GLOBAL__N_18offset_tEEE10hipError_tPvRmT1_PNSt15iterator_traitsISL_E10value_typeET2_T3_PNSM_ISR_E10value_typeET4_jRbjT5_SX_jjP12ihipStream_tbEUlT_E_NS1_11comp_targetILNS1_3genE8ELNS1_11target_archE1030ELNS1_3gpuE2ELNS1_3repE0EEENS1_30default_config_static_selectorELNS0_4arch9wavefront6targetE1EEEvSL_: ; @_ZN7rocprim17ROCPRIM_400000_NS6detail17trampoline_kernelINS0_14default_configENS1_36segmented_radix_sort_config_selectorI6__halflEEZNS1_25segmented_radix_sort_implIS3_Lb0EPKS5_PS5_PKlPlN2at6native12_GLOBAL__N_18offset_tEEE10hipError_tPvRmT1_PNSt15iterator_traitsISL_E10value_typeET2_T3_PNSM_ISR_E10value_typeET4_jRbjT5_SX_jjP12ihipStream_tbEUlT_E_NS1_11comp_targetILNS1_3genE8ELNS1_11target_archE1030ELNS1_3gpuE2ELNS1_3repE0EEENS1_30default_config_static_selectorELNS0_4arch9wavefront6targetE1EEEvSL_
; %bb.0:
	.section	.rodata,"a",@progbits
	.p2align	6, 0x0
	.amdhsa_kernel _ZN7rocprim17ROCPRIM_400000_NS6detail17trampoline_kernelINS0_14default_configENS1_36segmented_radix_sort_config_selectorI6__halflEEZNS1_25segmented_radix_sort_implIS3_Lb0EPKS5_PS5_PKlPlN2at6native12_GLOBAL__N_18offset_tEEE10hipError_tPvRmT1_PNSt15iterator_traitsISL_E10value_typeET2_T3_PNSM_ISR_E10value_typeET4_jRbjT5_SX_jjP12ihipStream_tbEUlT_E_NS1_11comp_targetILNS1_3genE8ELNS1_11target_archE1030ELNS1_3gpuE2ELNS1_3repE0EEENS1_30default_config_static_selectorELNS0_4arch9wavefront6targetE1EEEvSL_
		.amdhsa_group_segment_fixed_size 0
		.amdhsa_private_segment_fixed_size 0
		.amdhsa_kernarg_size 96
		.amdhsa_user_sgpr_count 6
		.amdhsa_user_sgpr_private_segment_buffer 1
		.amdhsa_user_sgpr_dispatch_ptr 0
		.amdhsa_user_sgpr_queue_ptr 0
		.amdhsa_user_sgpr_kernarg_segment_ptr 1
		.amdhsa_user_sgpr_dispatch_id 0
		.amdhsa_user_sgpr_flat_scratch_init 0
		.amdhsa_user_sgpr_private_segment_size 0
		.amdhsa_uses_dynamic_stack 0
		.amdhsa_system_sgpr_private_segment_wavefront_offset 0
		.amdhsa_system_sgpr_workgroup_id_x 1
		.amdhsa_system_sgpr_workgroup_id_y 0
		.amdhsa_system_sgpr_workgroup_id_z 0
		.amdhsa_system_sgpr_workgroup_info 0
		.amdhsa_system_vgpr_workitem_id 0
		.amdhsa_next_free_vgpr 1
		.amdhsa_next_free_sgpr 0
		.amdhsa_reserve_vcc 0
		.amdhsa_reserve_flat_scratch 0
		.amdhsa_float_round_mode_32 0
		.amdhsa_float_round_mode_16_64 0
		.amdhsa_float_denorm_mode_32 3
		.amdhsa_float_denorm_mode_16_64 3
		.amdhsa_dx10_clamp 1
		.amdhsa_ieee_mode 1
		.amdhsa_fp16_overflow 0
		.amdhsa_exception_fp_ieee_invalid_op 0
		.amdhsa_exception_fp_denorm_src 0
		.amdhsa_exception_fp_ieee_div_zero 0
		.amdhsa_exception_fp_ieee_overflow 0
		.amdhsa_exception_fp_ieee_underflow 0
		.amdhsa_exception_fp_ieee_inexact 0
		.amdhsa_exception_int_div_zero 0
	.end_amdhsa_kernel
	.section	.text._ZN7rocprim17ROCPRIM_400000_NS6detail17trampoline_kernelINS0_14default_configENS1_36segmented_radix_sort_config_selectorI6__halflEEZNS1_25segmented_radix_sort_implIS3_Lb0EPKS5_PS5_PKlPlN2at6native12_GLOBAL__N_18offset_tEEE10hipError_tPvRmT1_PNSt15iterator_traitsISL_E10value_typeET2_T3_PNSM_ISR_E10value_typeET4_jRbjT5_SX_jjP12ihipStream_tbEUlT_E_NS1_11comp_targetILNS1_3genE8ELNS1_11target_archE1030ELNS1_3gpuE2ELNS1_3repE0EEENS1_30default_config_static_selectorELNS0_4arch9wavefront6targetE1EEEvSL_,"axG",@progbits,_ZN7rocprim17ROCPRIM_400000_NS6detail17trampoline_kernelINS0_14default_configENS1_36segmented_radix_sort_config_selectorI6__halflEEZNS1_25segmented_radix_sort_implIS3_Lb0EPKS5_PS5_PKlPlN2at6native12_GLOBAL__N_18offset_tEEE10hipError_tPvRmT1_PNSt15iterator_traitsISL_E10value_typeET2_T3_PNSM_ISR_E10value_typeET4_jRbjT5_SX_jjP12ihipStream_tbEUlT_E_NS1_11comp_targetILNS1_3genE8ELNS1_11target_archE1030ELNS1_3gpuE2ELNS1_3repE0EEENS1_30default_config_static_selectorELNS0_4arch9wavefront6targetE1EEEvSL_,comdat
.Lfunc_end1851:
	.size	_ZN7rocprim17ROCPRIM_400000_NS6detail17trampoline_kernelINS0_14default_configENS1_36segmented_radix_sort_config_selectorI6__halflEEZNS1_25segmented_radix_sort_implIS3_Lb0EPKS5_PS5_PKlPlN2at6native12_GLOBAL__N_18offset_tEEE10hipError_tPvRmT1_PNSt15iterator_traitsISL_E10value_typeET2_T3_PNSM_ISR_E10value_typeET4_jRbjT5_SX_jjP12ihipStream_tbEUlT_E_NS1_11comp_targetILNS1_3genE8ELNS1_11target_archE1030ELNS1_3gpuE2ELNS1_3repE0EEENS1_30default_config_static_selectorELNS0_4arch9wavefront6targetE1EEEvSL_, .Lfunc_end1851-_ZN7rocprim17ROCPRIM_400000_NS6detail17trampoline_kernelINS0_14default_configENS1_36segmented_radix_sort_config_selectorI6__halflEEZNS1_25segmented_radix_sort_implIS3_Lb0EPKS5_PS5_PKlPlN2at6native12_GLOBAL__N_18offset_tEEE10hipError_tPvRmT1_PNSt15iterator_traitsISL_E10value_typeET2_T3_PNSM_ISR_E10value_typeET4_jRbjT5_SX_jjP12ihipStream_tbEUlT_E_NS1_11comp_targetILNS1_3genE8ELNS1_11target_archE1030ELNS1_3gpuE2ELNS1_3repE0EEENS1_30default_config_static_selectorELNS0_4arch9wavefront6targetE1EEEvSL_
                                        ; -- End function
	.set _ZN7rocprim17ROCPRIM_400000_NS6detail17trampoline_kernelINS0_14default_configENS1_36segmented_radix_sort_config_selectorI6__halflEEZNS1_25segmented_radix_sort_implIS3_Lb0EPKS5_PS5_PKlPlN2at6native12_GLOBAL__N_18offset_tEEE10hipError_tPvRmT1_PNSt15iterator_traitsISL_E10value_typeET2_T3_PNSM_ISR_E10value_typeET4_jRbjT5_SX_jjP12ihipStream_tbEUlT_E_NS1_11comp_targetILNS1_3genE8ELNS1_11target_archE1030ELNS1_3gpuE2ELNS1_3repE0EEENS1_30default_config_static_selectorELNS0_4arch9wavefront6targetE1EEEvSL_.num_vgpr, 0
	.set _ZN7rocprim17ROCPRIM_400000_NS6detail17trampoline_kernelINS0_14default_configENS1_36segmented_radix_sort_config_selectorI6__halflEEZNS1_25segmented_radix_sort_implIS3_Lb0EPKS5_PS5_PKlPlN2at6native12_GLOBAL__N_18offset_tEEE10hipError_tPvRmT1_PNSt15iterator_traitsISL_E10value_typeET2_T3_PNSM_ISR_E10value_typeET4_jRbjT5_SX_jjP12ihipStream_tbEUlT_E_NS1_11comp_targetILNS1_3genE8ELNS1_11target_archE1030ELNS1_3gpuE2ELNS1_3repE0EEENS1_30default_config_static_selectorELNS0_4arch9wavefront6targetE1EEEvSL_.num_agpr, 0
	.set _ZN7rocprim17ROCPRIM_400000_NS6detail17trampoline_kernelINS0_14default_configENS1_36segmented_radix_sort_config_selectorI6__halflEEZNS1_25segmented_radix_sort_implIS3_Lb0EPKS5_PS5_PKlPlN2at6native12_GLOBAL__N_18offset_tEEE10hipError_tPvRmT1_PNSt15iterator_traitsISL_E10value_typeET2_T3_PNSM_ISR_E10value_typeET4_jRbjT5_SX_jjP12ihipStream_tbEUlT_E_NS1_11comp_targetILNS1_3genE8ELNS1_11target_archE1030ELNS1_3gpuE2ELNS1_3repE0EEENS1_30default_config_static_selectorELNS0_4arch9wavefront6targetE1EEEvSL_.numbered_sgpr, 0
	.set _ZN7rocprim17ROCPRIM_400000_NS6detail17trampoline_kernelINS0_14default_configENS1_36segmented_radix_sort_config_selectorI6__halflEEZNS1_25segmented_radix_sort_implIS3_Lb0EPKS5_PS5_PKlPlN2at6native12_GLOBAL__N_18offset_tEEE10hipError_tPvRmT1_PNSt15iterator_traitsISL_E10value_typeET2_T3_PNSM_ISR_E10value_typeET4_jRbjT5_SX_jjP12ihipStream_tbEUlT_E_NS1_11comp_targetILNS1_3genE8ELNS1_11target_archE1030ELNS1_3gpuE2ELNS1_3repE0EEENS1_30default_config_static_selectorELNS0_4arch9wavefront6targetE1EEEvSL_.num_named_barrier, 0
	.set _ZN7rocprim17ROCPRIM_400000_NS6detail17trampoline_kernelINS0_14default_configENS1_36segmented_radix_sort_config_selectorI6__halflEEZNS1_25segmented_radix_sort_implIS3_Lb0EPKS5_PS5_PKlPlN2at6native12_GLOBAL__N_18offset_tEEE10hipError_tPvRmT1_PNSt15iterator_traitsISL_E10value_typeET2_T3_PNSM_ISR_E10value_typeET4_jRbjT5_SX_jjP12ihipStream_tbEUlT_E_NS1_11comp_targetILNS1_3genE8ELNS1_11target_archE1030ELNS1_3gpuE2ELNS1_3repE0EEENS1_30default_config_static_selectorELNS0_4arch9wavefront6targetE1EEEvSL_.private_seg_size, 0
	.set _ZN7rocprim17ROCPRIM_400000_NS6detail17trampoline_kernelINS0_14default_configENS1_36segmented_radix_sort_config_selectorI6__halflEEZNS1_25segmented_radix_sort_implIS3_Lb0EPKS5_PS5_PKlPlN2at6native12_GLOBAL__N_18offset_tEEE10hipError_tPvRmT1_PNSt15iterator_traitsISL_E10value_typeET2_T3_PNSM_ISR_E10value_typeET4_jRbjT5_SX_jjP12ihipStream_tbEUlT_E_NS1_11comp_targetILNS1_3genE8ELNS1_11target_archE1030ELNS1_3gpuE2ELNS1_3repE0EEENS1_30default_config_static_selectorELNS0_4arch9wavefront6targetE1EEEvSL_.uses_vcc, 0
	.set _ZN7rocprim17ROCPRIM_400000_NS6detail17trampoline_kernelINS0_14default_configENS1_36segmented_radix_sort_config_selectorI6__halflEEZNS1_25segmented_radix_sort_implIS3_Lb0EPKS5_PS5_PKlPlN2at6native12_GLOBAL__N_18offset_tEEE10hipError_tPvRmT1_PNSt15iterator_traitsISL_E10value_typeET2_T3_PNSM_ISR_E10value_typeET4_jRbjT5_SX_jjP12ihipStream_tbEUlT_E_NS1_11comp_targetILNS1_3genE8ELNS1_11target_archE1030ELNS1_3gpuE2ELNS1_3repE0EEENS1_30default_config_static_selectorELNS0_4arch9wavefront6targetE1EEEvSL_.uses_flat_scratch, 0
	.set _ZN7rocprim17ROCPRIM_400000_NS6detail17trampoline_kernelINS0_14default_configENS1_36segmented_radix_sort_config_selectorI6__halflEEZNS1_25segmented_radix_sort_implIS3_Lb0EPKS5_PS5_PKlPlN2at6native12_GLOBAL__N_18offset_tEEE10hipError_tPvRmT1_PNSt15iterator_traitsISL_E10value_typeET2_T3_PNSM_ISR_E10value_typeET4_jRbjT5_SX_jjP12ihipStream_tbEUlT_E_NS1_11comp_targetILNS1_3genE8ELNS1_11target_archE1030ELNS1_3gpuE2ELNS1_3repE0EEENS1_30default_config_static_selectorELNS0_4arch9wavefront6targetE1EEEvSL_.has_dyn_sized_stack, 0
	.set _ZN7rocprim17ROCPRIM_400000_NS6detail17trampoline_kernelINS0_14default_configENS1_36segmented_radix_sort_config_selectorI6__halflEEZNS1_25segmented_radix_sort_implIS3_Lb0EPKS5_PS5_PKlPlN2at6native12_GLOBAL__N_18offset_tEEE10hipError_tPvRmT1_PNSt15iterator_traitsISL_E10value_typeET2_T3_PNSM_ISR_E10value_typeET4_jRbjT5_SX_jjP12ihipStream_tbEUlT_E_NS1_11comp_targetILNS1_3genE8ELNS1_11target_archE1030ELNS1_3gpuE2ELNS1_3repE0EEENS1_30default_config_static_selectorELNS0_4arch9wavefront6targetE1EEEvSL_.has_recursion, 0
	.set _ZN7rocprim17ROCPRIM_400000_NS6detail17trampoline_kernelINS0_14default_configENS1_36segmented_radix_sort_config_selectorI6__halflEEZNS1_25segmented_radix_sort_implIS3_Lb0EPKS5_PS5_PKlPlN2at6native12_GLOBAL__N_18offset_tEEE10hipError_tPvRmT1_PNSt15iterator_traitsISL_E10value_typeET2_T3_PNSM_ISR_E10value_typeET4_jRbjT5_SX_jjP12ihipStream_tbEUlT_E_NS1_11comp_targetILNS1_3genE8ELNS1_11target_archE1030ELNS1_3gpuE2ELNS1_3repE0EEENS1_30default_config_static_selectorELNS0_4arch9wavefront6targetE1EEEvSL_.has_indirect_call, 0
	.section	.AMDGPU.csdata,"",@progbits
; Kernel info:
; codeLenInByte = 0
; TotalNumSgprs: 4
; NumVgprs: 0
; ScratchSize: 0
; MemoryBound: 0
; FloatMode: 240
; IeeeMode: 1
; LDSByteSize: 0 bytes/workgroup (compile time only)
; SGPRBlocks: 0
; VGPRBlocks: 0
; NumSGPRsForWavesPerEU: 4
; NumVGPRsForWavesPerEU: 1
; Occupancy: 10
; WaveLimiterHint : 0
; COMPUTE_PGM_RSRC2:SCRATCH_EN: 0
; COMPUTE_PGM_RSRC2:USER_SGPR: 6
; COMPUTE_PGM_RSRC2:TRAP_HANDLER: 0
; COMPUTE_PGM_RSRC2:TGID_X_EN: 1
; COMPUTE_PGM_RSRC2:TGID_Y_EN: 0
; COMPUTE_PGM_RSRC2:TGID_Z_EN: 0
; COMPUTE_PGM_RSRC2:TIDIG_COMP_CNT: 0
	.section	.text._ZN7rocprim17ROCPRIM_400000_NS6detail17trampoline_kernelINS0_14default_configENS1_36segmented_radix_sort_config_selectorI6__halflEEZNS1_25segmented_radix_sort_implIS3_Lb0EPKS5_PS5_PKlPlN2at6native12_GLOBAL__N_18offset_tEEE10hipError_tPvRmT1_PNSt15iterator_traitsISL_E10value_typeET2_T3_PNSM_ISR_E10value_typeET4_jRbjT5_SX_jjP12ihipStream_tbEUlT_E0_NS1_11comp_targetILNS1_3genE0ELNS1_11target_archE4294967295ELNS1_3gpuE0ELNS1_3repE0EEENS1_60segmented_radix_sort_warp_sort_medium_config_static_selectorELNS0_4arch9wavefront6targetE1EEEvSL_,"axG",@progbits,_ZN7rocprim17ROCPRIM_400000_NS6detail17trampoline_kernelINS0_14default_configENS1_36segmented_radix_sort_config_selectorI6__halflEEZNS1_25segmented_radix_sort_implIS3_Lb0EPKS5_PS5_PKlPlN2at6native12_GLOBAL__N_18offset_tEEE10hipError_tPvRmT1_PNSt15iterator_traitsISL_E10value_typeET2_T3_PNSM_ISR_E10value_typeET4_jRbjT5_SX_jjP12ihipStream_tbEUlT_E0_NS1_11comp_targetILNS1_3genE0ELNS1_11target_archE4294967295ELNS1_3gpuE0ELNS1_3repE0EEENS1_60segmented_radix_sort_warp_sort_medium_config_static_selectorELNS0_4arch9wavefront6targetE1EEEvSL_,comdat
	.globl	_ZN7rocprim17ROCPRIM_400000_NS6detail17trampoline_kernelINS0_14default_configENS1_36segmented_radix_sort_config_selectorI6__halflEEZNS1_25segmented_radix_sort_implIS3_Lb0EPKS5_PS5_PKlPlN2at6native12_GLOBAL__N_18offset_tEEE10hipError_tPvRmT1_PNSt15iterator_traitsISL_E10value_typeET2_T3_PNSM_ISR_E10value_typeET4_jRbjT5_SX_jjP12ihipStream_tbEUlT_E0_NS1_11comp_targetILNS1_3genE0ELNS1_11target_archE4294967295ELNS1_3gpuE0ELNS1_3repE0EEENS1_60segmented_radix_sort_warp_sort_medium_config_static_selectorELNS0_4arch9wavefront6targetE1EEEvSL_ ; -- Begin function _ZN7rocprim17ROCPRIM_400000_NS6detail17trampoline_kernelINS0_14default_configENS1_36segmented_radix_sort_config_selectorI6__halflEEZNS1_25segmented_radix_sort_implIS3_Lb0EPKS5_PS5_PKlPlN2at6native12_GLOBAL__N_18offset_tEEE10hipError_tPvRmT1_PNSt15iterator_traitsISL_E10value_typeET2_T3_PNSM_ISR_E10value_typeET4_jRbjT5_SX_jjP12ihipStream_tbEUlT_E0_NS1_11comp_targetILNS1_3genE0ELNS1_11target_archE4294967295ELNS1_3gpuE0ELNS1_3repE0EEENS1_60segmented_radix_sort_warp_sort_medium_config_static_selectorELNS0_4arch9wavefront6targetE1EEEvSL_
	.p2align	8
	.type	_ZN7rocprim17ROCPRIM_400000_NS6detail17trampoline_kernelINS0_14default_configENS1_36segmented_radix_sort_config_selectorI6__halflEEZNS1_25segmented_radix_sort_implIS3_Lb0EPKS5_PS5_PKlPlN2at6native12_GLOBAL__N_18offset_tEEE10hipError_tPvRmT1_PNSt15iterator_traitsISL_E10value_typeET2_T3_PNSM_ISR_E10value_typeET4_jRbjT5_SX_jjP12ihipStream_tbEUlT_E0_NS1_11comp_targetILNS1_3genE0ELNS1_11target_archE4294967295ELNS1_3gpuE0ELNS1_3repE0EEENS1_60segmented_radix_sort_warp_sort_medium_config_static_selectorELNS0_4arch9wavefront6targetE1EEEvSL_,@function
_ZN7rocprim17ROCPRIM_400000_NS6detail17trampoline_kernelINS0_14default_configENS1_36segmented_radix_sort_config_selectorI6__halflEEZNS1_25segmented_radix_sort_implIS3_Lb0EPKS5_PS5_PKlPlN2at6native12_GLOBAL__N_18offset_tEEE10hipError_tPvRmT1_PNSt15iterator_traitsISL_E10value_typeET2_T3_PNSM_ISR_E10value_typeET4_jRbjT5_SX_jjP12ihipStream_tbEUlT_E0_NS1_11comp_targetILNS1_3genE0ELNS1_11target_archE4294967295ELNS1_3gpuE0ELNS1_3repE0EEENS1_60segmented_radix_sort_warp_sort_medium_config_static_selectorELNS0_4arch9wavefront6targetE1EEEvSL_: ; @_ZN7rocprim17ROCPRIM_400000_NS6detail17trampoline_kernelINS0_14default_configENS1_36segmented_radix_sort_config_selectorI6__halflEEZNS1_25segmented_radix_sort_implIS3_Lb0EPKS5_PS5_PKlPlN2at6native12_GLOBAL__N_18offset_tEEE10hipError_tPvRmT1_PNSt15iterator_traitsISL_E10value_typeET2_T3_PNSM_ISR_E10value_typeET4_jRbjT5_SX_jjP12ihipStream_tbEUlT_E0_NS1_11comp_targetILNS1_3genE0ELNS1_11target_archE4294967295ELNS1_3gpuE0ELNS1_3repE0EEENS1_60segmented_radix_sort_warp_sort_medium_config_static_selectorELNS0_4arch9wavefront6targetE1EEEvSL_
; %bb.0:
	.section	.rodata,"a",@progbits
	.p2align	6, 0x0
	.amdhsa_kernel _ZN7rocprim17ROCPRIM_400000_NS6detail17trampoline_kernelINS0_14default_configENS1_36segmented_radix_sort_config_selectorI6__halflEEZNS1_25segmented_radix_sort_implIS3_Lb0EPKS5_PS5_PKlPlN2at6native12_GLOBAL__N_18offset_tEEE10hipError_tPvRmT1_PNSt15iterator_traitsISL_E10value_typeET2_T3_PNSM_ISR_E10value_typeET4_jRbjT5_SX_jjP12ihipStream_tbEUlT_E0_NS1_11comp_targetILNS1_3genE0ELNS1_11target_archE4294967295ELNS1_3gpuE0ELNS1_3repE0EEENS1_60segmented_radix_sort_warp_sort_medium_config_static_selectorELNS0_4arch9wavefront6targetE1EEEvSL_
		.amdhsa_group_segment_fixed_size 0
		.amdhsa_private_segment_fixed_size 0
		.amdhsa_kernarg_size 88
		.amdhsa_user_sgpr_count 6
		.amdhsa_user_sgpr_private_segment_buffer 1
		.amdhsa_user_sgpr_dispatch_ptr 0
		.amdhsa_user_sgpr_queue_ptr 0
		.amdhsa_user_sgpr_kernarg_segment_ptr 1
		.amdhsa_user_sgpr_dispatch_id 0
		.amdhsa_user_sgpr_flat_scratch_init 0
		.amdhsa_user_sgpr_private_segment_size 0
		.amdhsa_uses_dynamic_stack 0
		.amdhsa_system_sgpr_private_segment_wavefront_offset 0
		.amdhsa_system_sgpr_workgroup_id_x 1
		.amdhsa_system_sgpr_workgroup_id_y 0
		.amdhsa_system_sgpr_workgroup_id_z 0
		.amdhsa_system_sgpr_workgroup_info 0
		.amdhsa_system_vgpr_workitem_id 0
		.amdhsa_next_free_vgpr 1
		.amdhsa_next_free_sgpr 0
		.amdhsa_reserve_vcc 0
		.amdhsa_reserve_flat_scratch 0
		.amdhsa_float_round_mode_32 0
		.amdhsa_float_round_mode_16_64 0
		.amdhsa_float_denorm_mode_32 3
		.amdhsa_float_denorm_mode_16_64 3
		.amdhsa_dx10_clamp 1
		.amdhsa_ieee_mode 1
		.amdhsa_fp16_overflow 0
		.amdhsa_exception_fp_ieee_invalid_op 0
		.amdhsa_exception_fp_denorm_src 0
		.amdhsa_exception_fp_ieee_div_zero 0
		.amdhsa_exception_fp_ieee_overflow 0
		.amdhsa_exception_fp_ieee_underflow 0
		.amdhsa_exception_fp_ieee_inexact 0
		.amdhsa_exception_int_div_zero 0
	.end_amdhsa_kernel
	.section	.text._ZN7rocprim17ROCPRIM_400000_NS6detail17trampoline_kernelINS0_14default_configENS1_36segmented_radix_sort_config_selectorI6__halflEEZNS1_25segmented_radix_sort_implIS3_Lb0EPKS5_PS5_PKlPlN2at6native12_GLOBAL__N_18offset_tEEE10hipError_tPvRmT1_PNSt15iterator_traitsISL_E10value_typeET2_T3_PNSM_ISR_E10value_typeET4_jRbjT5_SX_jjP12ihipStream_tbEUlT_E0_NS1_11comp_targetILNS1_3genE0ELNS1_11target_archE4294967295ELNS1_3gpuE0ELNS1_3repE0EEENS1_60segmented_radix_sort_warp_sort_medium_config_static_selectorELNS0_4arch9wavefront6targetE1EEEvSL_,"axG",@progbits,_ZN7rocprim17ROCPRIM_400000_NS6detail17trampoline_kernelINS0_14default_configENS1_36segmented_radix_sort_config_selectorI6__halflEEZNS1_25segmented_radix_sort_implIS3_Lb0EPKS5_PS5_PKlPlN2at6native12_GLOBAL__N_18offset_tEEE10hipError_tPvRmT1_PNSt15iterator_traitsISL_E10value_typeET2_T3_PNSM_ISR_E10value_typeET4_jRbjT5_SX_jjP12ihipStream_tbEUlT_E0_NS1_11comp_targetILNS1_3genE0ELNS1_11target_archE4294967295ELNS1_3gpuE0ELNS1_3repE0EEENS1_60segmented_radix_sort_warp_sort_medium_config_static_selectorELNS0_4arch9wavefront6targetE1EEEvSL_,comdat
.Lfunc_end1852:
	.size	_ZN7rocprim17ROCPRIM_400000_NS6detail17trampoline_kernelINS0_14default_configENS1_36segmented_radix_sort_config_selectorI6__halflEEZNS1_25segmented_radix_sort_implIS3_Lb0EPKS5_PS5_PKlPlN2at6native12_GLOBAL__N_18offset_tEEE10hipError_tPvRmT1_PNSt15iterator_traitsISL_E10value_typeET2_T3_PNSM_ISR_E10value_typeET4_jRbjT5_SX_jjP12ihipStream_tbEUlT_E0_NS1_11comp_targetILNS1_3genE0ELNS1_11target_archE4294967295ELNS1_3gpuE0ELNS1_3repE0EEENS1_60segmented_radix_sort_warp_sort_medium_config_static_selectorELNS0_4arch9wavefront6targetE1EEEvSL_, .Lfunc_end1852-_ZN7rocprim17ROCPRIM_400000_NS6detail17trampoline_kernelINS0_14default_configENS1_36segmented_radix_sort_config_selectorI6__halflEEZNS1_25segmented_radix_sort_implIS3_Lb0EPKS5_PS5_PKlPlN2at6native12_GLOBAL__N_18offset_tEEE10hipError_tPvRmT1_PNSt15iterator_traitsISL_E10value_typeET2_T3_PNSM_ISR_E10value_typeET4_jRbjT5_SX_jjP12ihipStream_tbEUlT_E0_NS1_11comp_targetILNS1_3genE0ELNS1_11target_archE4294967295ELNS1_3gpuE0ELNS1_3repE0EEENS1_60segmented_radix_sort_warp_sort_medium_config_static_selectorELNS0_4arch9wavefront6targetE1EEEvSL_
                                        ; -- End function
	.set _ZN7rocprim17ROCPRIM_400000_NS6detail17trampoline_kernelINS0_14default_configENS1_36segmented_radix_sort_config_selectorI6__halflEEZNS1_25segmented_radix_sort_implIS3_Lb0EPKS5_PS5_PKlPlN2at6native12_GLOBAL__N_18offset_tEEE10hipError_tPvRmT1_PNSt15iterator_traitsISL_E10value_typeET2_T3_PNSM_ISR_E10value_typeET4_jRbjT5_SX_jjP12ihipStream_tbEUlT_E0_NS1_11comp_targetILNS1_3genE0ELNS1_11target_archE4294967295ELNS1_3gpuE0ELNS1_3repE0EEENS1_60segmented_radix_sort_warp_sort_medium_config_static_selectorELNS0_4arch9wavefront6targetE1EEEvSL_.num_vgpr, 0
	.set _ZN7rocprim17ROCPRIM_400000_NS6detail17trampoline_kernelINS0_14default_configENS1_36segmented_radix_sort_config_selectorI6__halflEEZNS1_25segmented_radix_sort_implIS3_Lb0EPKS5_PS5_PKlPlN2at6native12_GLOBAL__N_18offset_tEEE10hipError_tPvRmT1_PNSt15iterator_traitsISL_E10value_typeET2_T3_PNSM_ISR_E10value_typeET4_jRbjT5_SX_jjP12ihipStream_tbEUlT_E0_NS1_11comp_targetILNS1_3genE0ELNS1_11target_archE4294967295ELNS1_3gpuE0ELNS1_3repE0EEENS1_60segmented_radix_sort_warp_sort_medium_config_static_selectorELNS0_4arch9wavefront6targetE1EEEvSL_.num_agpr, 0
	.set _ZN7rocprim17ROCPRIM_400000_NS6detail17trampoline_kernelINS0_14default_configENS1_36segmented_radix_sort_config_selectorI6__halflEEZNS1_25segmented_radix_sort_implIS3_Lb0EPKS5_PS5_PKlPlN2at6native12_GLOBAL__N_18offset_tEEE10hipError_tPvRmT1_PNSt15iterator_traitsISL_E10value_typeET2_T3_PNSM_ISR_E10value_typeET4_jRbjT5_SX_jjP12ihipStream_tbEUlT_E0_NS1_11comp_targetILNS1_3genE0ELNS1_11target_archE4294967295ELNS1_3gpuE0ELNS1_3repE0EEENS1_60segmented_radix_sort_warp_sort_medium_config_static_selectorELNS0_4arch9wavefront6targetE1EEEvSL_.numbered_sgpr, 0
	.set _ZN7rocprim17ROCPRIM_400000_NS6detail17trampoline_kernelINS0_14default_configENS1_36segmented_radix_sort_config_selectorI6__halflEEZNS1_25segmented_radix_sort_implIS3_Lb0EPKS5_PS5_PKlPlN2at6native12_GLOBAL__N_18offset_tEEE10hipError_tPvRmT1_PNSt15iterator_traitsISL_E10value_typeET2_T3_PNSM_ISR_E10value_typeET4_jRbjT5_SX_jjP12ihipStream_tbEUlT_E0_NS1_11comp_targetILNS1_3genE0ELNS1_11target_archE4294967295ELNS1_3gpuE0ELNS1_3repE0EEENS1_60segmented_radix_sort_warp_sort_medium_config_static_selectorELNS0_4arch9wavefront6targetE1EEEvSL_.num_named_barrier, 0
	.set _ZN7rocprim17ROCPRIM_400000_NS6detail17trampoline_kernelINS0_14default_configENS1_36segmented_radix_sort_config_selectorI6__halflEEZNS1_25segmented_radix_sort_implIS3_Lb0EPKS5_PS5_PKlPlN2at6native12_GLOBAL__N_18offset_tEEE10hipError_tPvRmT1_PNSt15iterator_traitsISL_E10value_typeET2_T3_PNSM_ISR_E10value_typeET4_jRbjT5_SX_jjP12ihipStream_tbEUlT_E0_NS1_11comp_targetILNS1_3genE0ELNS1_11target_archE4294967295ELNS1_3gpuE0ELNS1_3repE0EEENS1_60segmented_radix_sort_warp_sort_medium_config_static_selectorELNS0_4arch9wavefront6targetE1EEEvSL_.private_seg_size, 0
	.set _ZN7rocprim17ROCPRIM_400000_NS6detail17trampoline_kernelINS0_14default_configENS1_36segmented_radix_sort_config_selectorI6__halflEEZNS1_25segmented_radix_sort_implIS3_Lb0EPKS5_PS5_PKlPlN2at6native12_GLOBAL__N_18offset_tEEE10hipError_tPvRmT1_PNSt15iterator_traitsISL_E10value_typeET2_T3_PNSM_ISR_E10value_typeET4_jRbjT5_SX_jjP12ihipStream_tbEUlT_E0_NS1_11comp_targetILNS1_3genE0ELNS1_11target_archE4294967295ELNS1_3gpuE0ELNS1_3repE0EEENS1_60segmented_radix_sort_warp_sort_medium_config_static_selectorELNS0_4arch9wavefront6targetE1EEEvSL_.uses_vcc, 0
	.set _ZN7rocprim17ROCPRIM_400000_NS6detail17trampoline_kernelINS0_14default_configENS1_36segmented_radix_sort_config_selectorI6__halflEEZNS1_25segmented_radix_sort_implIS3_Lb0EPKS5_PS5_PKlPlN2at6native12_GLOBAL__N_18offset_tEEE10hipError_tPvRmT1_PNSt15iterator_traitsISL_E10value_typeET2_T3_PNSM_ISR_E10value_typeET4_jRbjT5_SX_jjP12ihipStream_tbEUlT_E0_NS1_11comp_targetILNS1_3genE0ELNS1_11target_archE4294967295ELNS1_3gpuE0ELNS1_3repE0EEENS1_60segmented_radix_sort_warp_sort_medium_config_static_selectorELNS0_4arch9wavefront6targetE1EEEvSL_.uses_flat_scratch, 0
	.set _ZN7rocprim17ROCPRIM_400000_NS6detail17trampoline_kernelINS0_14default_configENS1_36segmented_radix_sort_config_selectorI6__halflEEZNS1_25segmented_radix_sort_implIS3_Lb0EPKS5_PS5_PKlPlN2at6native12_GLOBAL__N_18offset_tEEE10hipError_tPvRmT1_PNSt15iterator_traitsISL_E10value_typeET2_T3_PNSM_ISR_E10value_typeET4_jRbjT5_SX_jjP12ihipStream_tbEUlT_E0_NS1_11comp_targetILNS1_3genE0ELNS1_11target_archE4294967295ELNS1_3gpuE0ELNS1_3repE0EEENS1_60segmented_radix_sort_warp_sort_medium_config_static_selectorELNS0_4arch9wavefront6targetE1EEEvSL_.has_dyn_sized_stack, 0
	.set _ZN7rocprim17ROCPRIM_400000_NS6detail17trampoline_kernelINS0_14default_configENS1_36segmented_radix_sort_config_selectorI6__halflEEZNS1_25segmented_radix_sort_implIS3_Lb0EPKS5_PS5_PKlPlN2at6native12_GLOBAL__N_18offset_tEEE10hipError_tPvRmT1_PNSt15iterator_traitsISL_E10value_typeET2_T3_PNSM_ISR_E10value_typeET4_jRbjT5_SX_jjP12ihipStream_tbEUlT_E0_NS1_11comp_targetILNS1_3genE0ELNS1_11target_archE4294967295ELNS1_3gpuE0ELNS1_3repE0EEENS1_60segmented_radix_sort_warp_sort_medium_config_static_selectorELNS0_4arch9wavefront6targetE1EEEvSL_.has_recursion, 0
	.set _ZN7rocprim17ROCPRIM_400000_NS6detail17trampoline_kernelINS0_14default_configENS1_36segmented_radix_sort_config_selectorI6__halflEEZNS1_25segmented_radix_sort_implIS3_Lb0EPKS5_PS5_PKlPlN2at6native12_GLOBAL__N_18offset_tEEE10hipError_tPvRmT1_PNSt15iterator_traitsISL_E10value_typeET2_T3_PNSM_ISR_E10value_typeET4_jRbjT5_SX_jjP12ihipStream_tbEUlT_E0_NS1_11comp_targetILNS1_3genE0ELNS1_11target_archE4294967295ELNS1_3gpuE0ELNS1_3repE0EEENS1_60segmented_radix_sort_warp_sort_medium_config_static_selectorELNS0_4arch9wavefront6targetE1EEEvSL_.has_indirect_call, 0
	.section	.AMDGPU.csdata,"",@progbits
; Kernel info:
; codeLenInByte = 0
; TotalNumSgprs: 4
; NumVgprs: 0
; ScratchSize: 0
; MemoryBound: 0
; FloatMode: 240
; IeeeMode: 1
; LDSByteSize: 0 bytes/workgroup (compile time only)
; SGPRBlocks: 0
; VGPRBlocks: 0
; NumSGPRsForWavesPerEU: 4
; NumVGPRsForWavesPerEU: 1
; Occupancy: 10
; WaveLimiterHint : 0
; COMPUTE_PGM_RSRC2:SCRATCH_EN: 0
; COMPUTE_PGM_RSRC2:USER_SGPR: 6
; COMPUTE_PGM_RSRC2:TRAP_HANDLER: 0
; COMPUTE_PGM_RSRC2:TGID_X_EN: 1
; COMPUTE_PGM_RSRC2:TGID_Y_EN: 0
; COMPUTE_PGM_RSRC2:TGID_Z_EN: 0
; COMPUTE_PGM_RSRC2:TIDIG_COMP_CNT: 0
	.section	.text._ZN7rocprim17ROCPRIM_400000_NS6detail17trampoline_kernelINS0_14default_configENS1_36segmented_radix_sort_config_selectorI6__halflEEZNS1_25segmented_radix_sort_implIS3_Lb0EPKS5_PS5_PKlPlN2at6native12_GLOBAL__N_18offset_tEEE10hipError_tPvRmT1_PNSt15iterator_traitsISL_E10value_typeET2_T3_PNSM_ISR_E10value_typeET4_jRbjT5_SX_jjP12ihipStream_tbEUlT_E0_NS1_11comp_targetILNS1_3genE5ELNS1_11target_archE942ELNS1_3gpuE9ELNS1_3repE0EEENS1_60segmented_radix_sort_warp_sort_medium_config_static_selectorELNS0_4arch9wavefront6targetE1EEEvSL_,"axG",@progbits,_ZN7rocprim17ROCPRIM_400000_NS6detail17trampoline_kernelINS0_14default_configENS1_36segmented_radix_sort_config_selectorI6__halflEEZNS1_25segmented_radix_sort_implIS3_Lb0EPKS5_PS5_PKlPlN2at6native12_GLOBAL__N_18offset_tEEE10hipError_tPvRmT1_PNSt15iterator_traitsISL_E10value_typeET2_T3_PNSM_ISR_E10value_typeET4_jRbjT5_SX_jjP12ihipStream_tbEUlT_E0_NS1_11comp_targetILNS1_3genE5ELNS1_11target_archE942ELNS1_3gpuE9ELNS1_3repE0EEENS1_60segmented_radix_sort_warp_sort_medium_config_static_selectorELNS0_4arch9wavefront6targetE1EEEvSL_,comdat
	.globl	_ZN7rocprim17ROCPRIM_400000_NS6detail17trampoline_kernelINS0_14default_configENS1_36segmented_radix_sort_config_selectorI6__halflEEZNS1_25segmented_radix_sort_implIS3_Lb0EPKS5_PS5_PKlPlN2at6native12_GLOBAL__N_18offset_tEEE10hipError_tPvRmT1_PNSt15iterator_traitsISL_E10value_typeET2_T3_PNSM_ISR_E10value_typeET4_jRbjT5_SX_jjP12ihipStream_tbEUlT_E0_NS1_11comp_targetILNS1_3genE5ELNS1_11target_archE942ELNS1_3gpuE9ELNS1_3repE0EEENS1_60segmented_radix_sort_warp_sort_medium_config_static_selectorELNS0_4arch9wavefront6targetE1EEEvSL_ ; -- Begin function _ZN7rocprim17ROCPRIM_400000_NS6detail17trampoline_kernelINS0_14default_configENS1_36segmented_radix_sort_config_selectorI6__halflEEZNS1_25segmented_radix_sort_implIS3_Lb0EPKS5_PS5_PKlPlN2at6native12_GLOBAL__N_18offset_tEEE10hipError_tPvRmT1_PNSt15iterator_traitsISL_E10value_typeET2_T3_PNSM_ISR_E10value_typeET4_jRbjT5_SX_jjP12ihipStream_tbEUlT_E0_NS1_11comp_targetILNS1_3genE5ELNS1_11target_archE942ELNS1_3gpuE9ELNS1_3repE0EEENS1_60segmented_radix_sort_warp_sort_medium_config_static_selectorELNS0_4arch9wavefront6targetE1EEEvSL_
	.p2align	8
	.type	_ZN7rocprim17ROCPRIM_400000_NS6detail17trampoline_kernelINS0_14default_configENS1_36segmented_radix_sort_config_selectorI6__halflEEZNS1_25segmented_radix_sort_implIS3_Lb0EPKS5_PS5_PKlPlN2at6native12_GLOBAL__N_18offset_tEEE10hipError_tPvRmT1_PNSt15iterator_traitsISL_E10value_typeET2_T3_PNSM_ISR_E10value_typeET4_jRbjT5_SX_jjP12ihipStream_tbEUlT_E0_NS1_11comp_targetILNS1_3genE5ELNS1_11target_archE942ELNS1_3gpuE9ELNS1_3repE0EEENS1_60segmented_radix_sort_warp_sort_medium_config_static_selectorELNS0_4arch9wavefront6targetE1EEEvSL_,@function
_ZN7rocprim17ROCPRIM_400000_NS6detail17trampoline_kernelINS0_14default_configENS1_36segmented_radix_sort_config_selectorI6__halflEEZNS1_25segmented_radix_sort_implIS3_Lb0EPKS5_PS5_PKlPlN2at6native12_GLOBAL__N_18offset_tEEE10hipError_tPvRmT1_PNSt15iterator_traitsISL_E10value_typeET2_T3_PNSM_ISR_E10value_typeET4_jRbjT5_SX_jjP12ihipStream_tbEUlT_E0_NS1_11comp_targetILNS1_3genE5ELNS1_11target_archE942ELNS1_3gpuE9ELNS1_3repE0EEENS1_60segmented_radix_sort_warp_sort_medium_config_static_selectorELNS0_4arch9wavefront6targetE1EEEvSL_: ; @_ZN7rocprim17ROCPRIM_400000_NS6detail17trampoline_kernelINS0_14default_configENS1_36segmented_radix_sort_config_selectorI6__halflEEZNS1_25segmented_radix_sort_implIS3_Lb0EPKS5_PS5_PKlPlN2at6native12_GLOBAL__N_18offset_tEEE10hipError_tPvRmT1_PNSt15iterator_traitsISL_E10value_typeET2_T3_PNSM_ISR_E10value_typeET4_jRbjT5_SX_jjP12ihipStream_tbEUlT_E0_NS1_11comp_targetILNS1_3genE5ELNS1_11target_archE942ELNS1_3gpuE9ELNS1_3repE0EEENS1_60segmented_radix_sort_warp_sort_medium_config_static_selectorELNS0_4arch9wavefront6targetE1EEEvSL_
; %bb.0:
	.section	.rodata,"a",@progbits
	.p2align	6, 0x0
	.amdhsa_kernel _ZN7rocprim17ROCPRIM_400000_NS6detail17trampoline_kernelINS0_14default_configENS1_36segmented_radix_sort_config_selectorI6__halflEEZNS1_25segmented_radix_sort_implIS3_Lb0EPKS5_PS5_PKlPlN2at6native12_GLOBAL__N_18offset_tEEE10hipError_tPvRmT1_PNSt15iterator_traitsISL_E10value_typeET2_T3_PNSM_ISR_E10value_typeET4_jRbjT5_SX_jjP12ihipStream_tbEUlT_E0_NS1_11comp_targetILNS1_3genE5ELNS1_11target_archE942ELNS1_3gpuE9ELNS1_3repE0EEENS1_60segmented_radix_sort_warp_sort_medium_config_static_selectorELNS0_4arch9wavefront6targetE1EEEvSL_
		.amdhsa_group_segment_fixed_size 0
		.amdhsa_private_segment_fixed_size 0
		.amdhsa_kernarg_size 88
		.amdhsa_user_sgpr_count 6
		.amdhsa_user_sgpr_private_segment_buffer 1
		.amdhsa_user_sgpr_dispatch_ptr 0
		.amdhsa_user_sgpr_queue_ptr 0
		.amdhsa_user_sgpr_kernarg_segment_ptr 1
		.amdhsa_user_sgpr_dispatch_id 0
		.amdhsa_user_sgpr_flat_scratch_init 0
		.amdhsa_user_sgpr_private_segment_size 0
		.amdhsa_uses_dynamic_stack 0
		.amdhsa_system_sgpr_private_segment_wavefront_offset 0
		.amdhsa_system_sgpr_workgroup_id_x 1
		.amdhsa_system_sgpr_workgroup_id_y 0
		.amdhsa_system_sgpr_workgroup_id_z 0
		.amdhsa_system_sgpr_workgroup_info 0
		.amdhsa_system_vgpr_workitem_id 0
		.amdhsa_next_free_vgpr 1
		.amdhsa_next_free_sgpr 0
		.amdhsa_reserve_vcc 0
		.amdhsa_reserve_flat_scratch 0
		.amdhsa_float_round_mode_32 0
		.amdhsa_float_round_mode_16_64 0
		.amdhsa_float_denorm_mode_32 3
		.amdhsa_float_denorm_mode_16_64 3
		.amdhsa_dx10_clamp 1
		.amdhsa_ieee_mode 1
		.amdhsa_fp16_overflow 0
		.amdhsa_exception_fp_ieee_invalid_op 0
		.amdhsa_exception_fp_denorm_src 0
		.amdhsa_exception_fp_ieee_div_zero 0
		.amdhsa_exception_fp_ieee_overflow 0
		.amdhsa_exception_fp_ieee_underflow 0
		.amdhsa_exception_fp_ieee_inexact 0
		.amdhsa_exception_int_div_zero 0
	.end_amdhsa_kernel
	.section	.text._ZN7rocprim17ROCPRIM_400000_NS6detail17trampoline_kernelINS0_14default_configENS1_36segmented_radix_sort_config_selectorI6__halflEEZNS1_25segmented_radix_sort_implIS3_Lb0EPKS5_PS5_PKlPlN2at6native12_GLOBAL__N_18offset_tEEE10hipError_tPvRmT1_PNSt15iterator_traitsISL_E10value_typeET2_T3_PNSM_ISR_E10value_typeET4_jRbjT5_SX_jjP12ihipStream_tbEUlT_E0_NS1_11comp_targetILNS1_3genE5ELNS1_11target_archE942ELNS1_3gpuE9ELNS1_3repE0EEENS1_60segmented_radix_sort_warp_sort_medium_config_static_selectorELNS0_4arch9wavefront6targetE1EEEvSL_,"axG",@progbits,_ZN7rocprim17ROCPRIM_400000_NS6detail17trampoline_kernelINS0_14default_configENS1_36segmented_radix_sort_config_selectorI6__halflEEZNS1_25segmented_radix_sort_implIS3_Lb0EPKS5_PS5_PKlPlN2at6native12_GLOBAL__N_18offset_tEEE10hipError_tPvRmT1_PNSt15iterator_traitsISL_E10value_typeET2_T3_PNSM_ISR_E10value_typeET4_jRbjT5_SX_jjP12ihipStream_tbEUlT_E0_NS1_11comp_targetILNS1_3genE5ELNS1_11target_archE942ELNS1_3gpuE9ELNS1_3repE0EEENS1_60segmented_radix_sort_warp_sort_medium_config_static_selectorELNS0_4arch9wavefront6targetE1EEEvSL_,comdat
.Lfunc_end1853:
	.size	_ZN7rocprim17ROCPRIM_400000_NS6detail17trampoline_kernelINS0_14default_configENS1_36segmented_radix_sort_config_selectorI6__halflEEZNS1_25segmented_radix_sort_implIS3_Lb0EPKS5_PS5_PKlPlN2at6native12_GLOBAL__N_18offset_tEEE10hipError_tPvRmT1_PNSt15iterator_traitsISL_E10value_typeET2_T3_PNSM_ISR_E10value_typeET4_jRbjT5_SX_jjP12ihipStream_tbEUlT_E0_NS1_11comp_targetILNS1_3genE5ELNS1_11target_archE942ELNS1_3gpuE9ELNS1_3repE0EEENS1_60segmented_radix_sort_warp_sort_medium_config_static_selectorELNS0_4arch9wavefront6targetE1EEEvSL_, .Lfunc_end1853-_ZN7rocprim17ROCPRIM_400000_NS6detail17trampoline_kernelINS0_14default_configENS1_36segmented_radix_sort_config_selectorI6__halflEEZNS1_25segmented_radix_sort_implIS3_Lb0EPKS5_PS5_PKlPlN2at6native12_GLOBAL__N_18offset_tEEE10hipError_tPvRmT1_PNSt15iterator_traitsISL_E10value_typeET2_T3_PNSM_ISR_E10value_typeET4_jRbjT5_SX_jjP12ihipStream_tbEUlT_E0_NS1_11comp_targetILNS1_3genE5ELNS1_11target_archE942ELNS1_3gpuE9ELNS1_3repE0EEENS1_60segmented_radix_sort_warp_sort_medium_config_static_selectorELNS0_4arch9wavefront6targetE1EEEvSL_
                                        ; -- End function
	.set _ZN7rocprim17ROCPRIM_400000_NS6detail17trampoline_kernelINS0_14default_configENS1_36segmented_radix_sort_config_selectorI6__halflEEZNS1_25segmented_radix_sort_implIS3_Lb0EPKS5_PS5_PKlPlN2at6native12_GLOBAL__N_18offset_tEEE10hipError_tPvRmT1_PNSt15iterator_traitsISL_E10value_typeET2_T3_PNSM_ISR_E10value_typeET4_jRbjT5_SX_jjP12ihipStream_tbEUlT_E0_NS1_11comp_targetILNS1_3genE5ELNS1_11target_archE942ELNS1_3gpuE9ELNS1_3repE0EEENS1_60segmented_radix_sort_warp_sort_medium_config_static_selectorELNS0_4arch9wavefront6targetE1EEEvSL_.num_vgpr, 0
	.set _ZN7rocprim17ROCPRIM_400000_NS6detail17trampoline_kernelINS0_14default_configENS1_36segmented_radix_sort_config_selectorI6__halflEEZNS1_25segmented_radix_sort_implIS3_Lb0EPKS5_PS5_PKlPlN2at6native12_GLOBAL__N_18offset_tEEE10hipError_tPvRmT1_PNSt15iterator_traitsISL_E10value_typeET2_T3_PNSM_ISR_E10value_typeET4_jRbjT5_SX_jjP12ihipStream_tbEUlT_E0_NS1_11comp_targetILNS1_3genE5ELNS1_11target_archE942ELNS1_3gpuE9ELNS1_3repE0EEENS1_60segmented_radix_sort_warp_sort_medium_config_static_selectorELNS0_4arch9wavefront6targetE1EEEvSL_.num_agpr, 0
	.set _ZN7rocprim17ROCPRIM_400000_NS6detail17trampoline_kernelINS0_14default_configENS1_36segmented_radix_sort_config_selectorI6__halflEEZNS1_25segmented_radix_sort_implIS3_Lb0EPKS5_PS5_PKlPlN2at6native12_GLOBAL__N_18offset_tEEE10hipError_tPvRmT1_PNSt15iterator_traitsISL_E10value_typeET2_T3_PNSM_ISR_E10value_typeET4_jRbjT5_SX_jjP12ihipStream_tbEUlT_E0_NS1_11comp_targetILNS1_3genE5ELNS1_11target_archE942ELNS1_3gpuE9ELNS1_3repE0EEENS1_60segmented_radix_sort_warp_sort_medium_config_static_selectorELNS0_4arch9wavefront6targetE1EEEvSL_.numbered_sgpr, 0
	.set _ZN7rocprim17ROCPRIM_400000_NS6detail17trampoline_kernelINS0_14default_configENS1_36segmented_radix_sort_config_selectorI6__halflEEZNS1_25segmented_radix_sort_implIS3_Lb0EPKS5_PS5_PKlPlN2at6native12_GLOBAL__N_18offset_tEEE10hipError_tPvRmT1_PNSt15iterator_traitsISL_E10value_typeET2_T3_PNSM_ISR_E10value_typeET4_jRbjT5_SX_jjP12ihipStream_tbEUlT_E0_NS1_11comp_targetILNS1_3genE5ELNS1_11target_archE942ELNS1_3gpuE9ELNS1_3repE0EEENS1_60segmented_radix_sort_warp_sort_medium_config_static_selectorELNS0_4arch9wavefront6targetE1EEEvSL_.num_named_barrier, 0
	.set _ZN7rocprim17ROCPRIM_400000_NS6detail17trampoline_kernelINS0_14default_configENS1_36segmented_radix_sort_config_selectorI6__halflEEZNS1_25segmented_radix_sort_implIS3_Lb0EPKS5_PS5_PKlPlN2at6native12_GLOBAL__N_18offset_tEEE10hipError_tPvRmT1_PNSt15iterator_traitsISL_E10value_typeET2_T3_PNSM_ISR_E10value_typeET4_jRbjT5_SX_jjP12ihipStream_tbEUlT_E0_NS1_11comp_targetILNS1_3genE5ELNS1_11target_archE942ELNS1_3gpuE9ELNS1_3repE0EEENS1_60segmented_radix_sort_warp_sort_medium_config_static_selectorELNS0_4arch9wavefront6targetE1EEEvSL_.private_seg_size, 0
	.set _ZN7rocprim17ROCPRIM_400000_NS6detail17trampoline_kernelINS0_14default_configENS1_36segmented_radix_sort_config_selectorI6__halflEEZNS1_25segmented_radix_sort_implIS3_Lb0EPKS5_PS5_PKlPlN2at6native12_GLOBAL__N_18offset_tEEE10hipError_tPvRmT1_PNSt15iterator_traitsISL_E10value_typeET2_T3_PNSM_ISR_E10value_typeET4_jRbjT5_SX_jjP12ihipStream_tbEUlT_E0_NS1_11comp_targetILNS1_3genE5ELNS1_11target_archE942ELNS1_3gpuE9ELNS1_3repE0EEENS1_60segmented_radix_sort_warp_sort_medium_config_static_selectorELNS0_4arch9wavefront6targetE1EEEvSL_.uses_vcc, 0
	.set _ZN7rocprim17ROCPRIM_400000_NS6detail17trampoline_kernelINS0_14default_configENS1_36segmented_radix_sort_config_selectorI6__halflEEZNS1_25segmented_radix_sort_implIS3_Lb0EPKS5_PS5_PKlPlN2at6native12_GLOBAL__N_18offset_tEEE10hipError_tPvRmT1_PNSt15iterator_traitsISL_E10value_typeET2_T3_PNSM_ISR_E10value_typeET4_jRbjT5_SX_jjP12ihipStream_tbEUlT_E0_NS1_11comp_targetILNS1_3genE5ELNS1_11target_archE942ELNS1_3gpuE9ELNS1_3repE0EEENS1_60segmented_radix_sort_warp_sort_medium_config_static_selectorELNS0_4arch9wavefront6targetE1EEEvSL_.uses_flat_scratch, 0
	.set _ZN7rocprim17ROCPRIM_400000_NS6detail17trampoline_kernelINS0_14default_configENS1_36segmented_radix_sort_config_selectorI6__halflEEZNS1_25segmented_radix_sort_implIS3_Lb0EPKS5_PS5_PKlPlN2at6native12_GLOBAL__N_18offset_tEEE10hipError_tPvRmT1_PNSt15iterator_traitsISL_E10value_typeET2_T3_PNSM_ISR_E10value_typeET4_jRbjT5_SX_jjP12ihipStream_tbEUlT_E0_NS1_11comp_targetILNS1_3genE5ELNS1_11target_archE942ELNS1_3gpuE9ELNS1_3repE0EEENS1_60segmented_radix_sort_warp_sort_medium_config_static_selectorELNS0_4arch9wavefront6targetE1EEEvSL_.has_dyn_sized_stack, 0
	.set _ZN7rocprim17ROCPRIM_400000_NS6detail17trampoline_kernelINS0_14default_configENS1_36segmented_radix_sort_config_selectorI6__halflEEZNS1_25segmented_radix_sort_implIS3_Lb0EPKS5_PS5_PKlPlN2at6native12_GLOBAL__N_18offset_tEEE10hipError_tPvRmT1_PNSt15iterator_traitsISL_E10value_typeET2_T3_PNSM_ISR_E10value_typeET4_jRbjT5_SX_jjP12ihipStream_tbEUlT_E0_NS1_11comp_targetILNS1_3genE5ELNS1_11target_archE942ELNS1_3gpuE9ELNS1_3repE0EEENS1_60segmented_radix_sort_warp_sort_medium_config_static_selectorELNS0_4arch9wavefront6targetE1EEEvSL_.has_recursion, 0
	.set _ZN7rocprim17ROCPRIM_400000_NS6detail17trampoline_kernelINS0_14default_configENS1_36segmented_radix_sort_config_selectorI6__halflEEZNS1_25segmented_radix_sort_implIS3_Lb0EPKS5_PS5_PKlPlN2at6native12_GLOBAL__N_18offset_tEEE10hipError_tPvRmT1_PNSt15iterator_traitsISL_E10value_typeET2_T3_PNSM_ISR_E10value_typeET4_jRbjT5_SX_jjP12ihipStream_tbEUlT_E0_NS1_11comp_targetILNS1_3genE5ELNS1_11target_archE942ELNS1_3gpuE9ELNS1_3repE0EEENS1_60segmented_radix_sort_warp_sort_medium_config_static_selectorELNS0_4arch9wavefront6targetE1EEEvSL_.has_indirect_call, 0
	.section	.AMDGPU.csdata,"",@progbits
; Kernel info:
; codeLenInByte = 0
; TotalNumSgprs: 4
; NumVgprs: 0
; ScratchSize: 0
; MemoryBound: 0
; FloatMode: 240
; IeeeMode: 1
; LDSByteSize: 0 bytes/workgroup (compile time only)
; SGPRBlocks: 0
; VGPRBlocks: 0
; NumSGPRsForWavesPerEU: 4
; NumVGPRsForWavesPerEU: 1
; Occupancy: 10
; WaveLimiterHint : 0
; COMPUTE_PGM_RSRC2:SCRATCH_EN: 0
; COMPUTE_PGM_RSRC2:USER_SGPR: 6
; COMPUTE_PGM_RSRC2:TRAP_HANDLER: 0
; COMPUTE_PGM_RSRC2:TGID_X_EN: 1
; COMPUTE_PGM_RSRC2:TGID_Y_EN: 0
; COMPUTE_PGM_RSRC2:TGID_Z_EN: 0
; COMPUTE_PGM_RSRC2:TIDIG_COMP_CNT: 0
	.section	.text._ZN7rocprim17ROCPRIM_400000_NS6detail17trampoline_kernelINS0_14default_configENS1_36segmented_radix_sort_config_selectorI6__halflEEZNS1_25segmented_radix_sort_implIS3_Lb0EPKS5_PS5_PKlPlN2at6native12_GLOBAL__N_18offset_tEEE10hipError_tPvRmT1_PNSt15iterator_traitsISL_E10value_typeET2_T3_PNSM_ISR_E10value_typeET4_jRbjT5_SX_jjP12ihipStream_tbEUlT_E0_NS1_11comp_targetILNS1_3genE4ELNS1_11target_archE910ELNS1_3gpuE8ELNS1_3repE0EEENS1_60segmented_radix_sort_warp_sort_medium_config_static_selectorELNS0_4arch9wavefront6targetE1EEEvSL_,"axG",@progbits,_ZN7rocprim17ROCPRIM_400000_NS6detail17trampoline_kernelINS0_14default_configENS1_36segmented_radix_sort_config_selectorI6__halflEEZNS1_25segmented_radix_sort_implIS3_Lb0EPKS5_PS5_PKlPlN2at6native12_GLOBAL__N_18offset_tEEE10hipError_tPvRmT1_PNSt15iterator_traitsISL_E10value_typeET2_T3_PNSM_ISR_E10value_typeET4_jRbjT5_SX_jjP12ihipStream_tbEUlT_E0_NS1_11comp_targetILNS1_3genE4ELNS1_11target_archE910ELNS1_3gpuE8ELNS1_3repE0EEENS1_60segmented_radix_sort_warp_sort_medium_config_static_selectorELNS0_4arch9wavefront6targetE1EEEvSL_,comdat
	.globl	_ZN7rocprim17ROCPRIM_400000_NS6detail17trampoline_kernelINS0_14default_configENS1_36segmented_radix_sort_config_selectorI6__halflEEZNS1_25segmented_radix_sort_implIS3_Lb0EPKS5_PS5_PKlPlN2at6native12_GLOBAL__N_18offset_tEEE10hipError_tPvRmT1_PNSt15iterator_traitsISL_E10value_typeET2_T3_PNSM_ISR_E10value_typeET4_jRbjT5_SX_jjP12ihipStream_tbEUlT_E0_NS1_11comp_targetILNS1_3genE4ELNS1_11target_archE910ELNS1_3gpuE8ELNS1_3repE0EEENS1_60segmented_radix_sort_warp_sort_medium_config_static_selectorELNS0_4arch9wavefront6targetE1EEEvSL_ ; -- Begin function _ZN7rocprim17ROCPRIM_400000_NS6detail17trampoline_kernelINS0_14default_configENS1_36segmented_radix_sort_config_selectorI6__halflEEZNS1_25segmented_radix_sort_implIS3_Lb0EPKS5_PS5_PKlPlN2at6native12_GLOBAL__N_18offset_tEEE10hipError_tPvRmT1_PNSt15iterator_traitsISL_E10value_typeET2_T3_PNSM_ISR_E10value_typeET4_jRbjT5_SX_jjP12ihipStream_tbEUlT_E0_NS1_11comp_targetILNS1_3genE4ELNS1_11target_archE910ELNS1_3gpuE8ELNS1_3repE0EEENS1_60segmented_radix_sort_warp_sort_medium_config_static_selectorELNS0_4arch9wavefront6targetE1EEEvSL_
	.p2align	8
	.type	_ZN7rocprim17ROCPRIM_400000_NS6detail17trampoline_kernelINS0_14default_configENS1_36segmented_radix_sort_config_selectorI6__halflEEZNS1_25segmented_radix_sort_implIS3_Lb0EPKS5_PS5_PKlPlN2at6native12_GLOBAL__N_18offset_tEEE10hipError_tPvRmT1_PNSt15iterator_traitsISL_E10value_typeET2_T3_PNSM_ISR_E10value_typeET4_jRbjT5_SX_jjP12ihipStream_tbEUlT_E0_NS1_11comp_targetILNS1_3genE4ELNS1_11target_archE910ELNS1_3gpuE8ELNS1_3repE0EEENS1_60segmented_radix_sort_warp_sort_medium_config_static_selectorELNS0_4arch9wavefront6targetE1EEEvSL_,@function
_ZN7rocprim17ROCPRIM_400000_NS6detail17trampoline_kernelINS0_14default_configENS1_36segmented_radix_sort_config_selectorI6__halflEEZNS1_25segmented_radix_sort_implIS3_Lb0EPKS5_PS5_PKlPlN2at6native12_GLOBAL__N_18offset_tEEE10hipError_tPvRmT1_PNSt15iterator_traitsISL_E10value_typeET2_T3_PNSM_ISR_E10value_typeET4_jRbjT5_SX_jjP12ihipStream_tbEUlT_E0_NS1_11comp_targetILNS1_3genE4ELNS1_11target_archE910ELNS1_3gpuE8ELNS1_3repE0EEENS1_60segmented_radix_sort_warp_sort_medium_config_static_selectorELNS0_4arch9wavefront6targetE1EEEvSL_: ; @_ZN7rocprim17ROCPRIM_400000_NS6detail17trampoline_kernelINS0_14default_configENS1_36segmented_radix_sort_config_selectorI6__halflEEZNS1_25segmented_radix_sort_implIS3_Lb0EPKS5_PS5_PKlPlN2at6native12_GLOBAL__N_18offset_tEEE10hipError_tPvRmT1_PNSt15iterator_traitsISL_E10value_typeET2_T3_PNSM_ISR_E10value_typeET4_jRbjT5_SX_jjP12ihipStream_tbEUlT_E0_NS1_11comp_targetILNS1_3genE4ELNS1_11target_archE910ELNS1_3gpuE8ELNS1_3repE0EEENS1_60segmented_radix_sort_warp_sort_medium_config_static_selectorELNS0_4arch9wavefront6targetE1EEEvSL_
; %bb.0:
	.section	.rodata,"a",@progbits
	.p2align	6, 0x0
	.amdhsa_kernel _ZN7rocprim17ROCPRIM_400000_NS6detail17trampoline_kernelINS0_14default_configENS1_36segmented_radix_sort_config_selectorI6__halflEEZNS1_25segmented_radix_sort_implIS3_Lb0EPKS5_PS5_PKlPlN2at6native12_GLOBAL__N_18offset_tEEE10hipError_tPvRmT1_PNSt15iterator_traitsISL_E10value_typeET2_T3_PNSM_ISR_E10value_typeET4_jRbjT5_SX_jjP12ihipStream_tbEUlT_E0_NS1_11comp_targetILNS1_3genE4ELNS1_11target_archE910ELNS1_3gpuE8ELNS1_3repE0EEENS1_60segmented_radix_sort_warp_sort_medium_config_static_selectorELNS0_4arch9wavefront6targetE1EEEvSL_
		.amdhsa_group_segment_fixed_size 0
		.amdhsa_private_segment_fixed_size 0
		.amdhsa_kernarg_size 88
		.amdhsa_user_sgpr_count 6
		.amdhsa_user_sgpr_private_segment_buffer 1
		.amdhsa_user_sgpr_dispatch_ptr 0
		.amdhsa_user_sgpr_queue_ptr 0
		.amdhsa_user_sgpr_kernarg_segment_ptr 1
		.amdhsa_user_sgpr_dispatch_id 0
		.amdhsa_user_sgpr_flat_scratch_init 0
		.amdhsa_user_sgpr_private_segment_size 0
		.amdhsa_uses_dynamic_stack 0
		.amdhsa_system_sgpr_private_segment_wavefront_offset 0
		.amdhsa_system_sgpr_workgroup_id_x 1
		.amdhsa_system_sgpr_workgroup_id_y 0
		.amdhsa_system_sgpr_workgroup_id_z 0
		.amdhsa_system_sgpr_workgroup_info 0
		.amdhsa_system_vgpr_workitem_id 0
		.amdhsa_next_free_vgpr 1
		.amdhsa_next_free_sgpr 0
		.amdhsa_reserve_vcc 0
		.amdhsa_reserve_flat_scratch 0
		.amdhsa_float_round_mode_32 0
		.amdhsa_float_round_mode_16_64 0
		.amdhsa_float_denorm_mode_32 3
		.amdhsa_float_denorm_mode_16_64 3
		.amdhsa_dx10_clamp 1
		.amdhsa_ieee_mode 1
		.amdhsa_fp16_overflow 0
		.amdhsa_exception_fp_ieee_invalid_op 0
		.amdhsa_exception_fp_denorm_src 0
		.amdhsa_exception_fp_ieee_div_zero 0
		.amdhsa_exception_fp_ieee_overflow 0
		.amdhsa_exception_fp_ieee_underflow 0
		.amdhsa_exception_fp_ieee_inexact 0
		.amdhsa_exception_int_div_zero 0
	.end_amdhsa_kernel
	.section	.text._ZN7rocprim17ROCPRIM_400000_NS6detail17trampoline_kernelINS0_14default_configENS1_36segmented_radix_sort_config_selectorI6__halflEEZNS1_25segmented_radix_sort_implIS3_Lb0EPKS5_PS5_PKlPlN2at6native12_GLOBAL__N_18offset_tEEE10hipError_tPvRmT1_PNSt15iterator_traitsISL_E10value_typeET2_T3_PNSM_ISR_E10value_typeET4_jRbjT5_SX_jjP12ihipStream_tbEUlT_E0_NS1_11comp_targetILNS1_3genE4ELNS1_11target_archE910ELNS1_3gpuE8ELNS1_3repE0EEENS1_60segmented_radix_sort_warp_sort_medium_config_static_selectorELNS0_4arch9wavefront6targetE1EEEvSL_,"axG",@progbits,_ZN7rocprim17ROCPRIM_400000_NS6detail17trampoline_kernelINS0_14default_configENS1_36segmented_radix_sort_config_selectorI6__halflEEZNS1_25segmented_radix_sort_implIS3_Lb0EPKS5_PS5_PKlPlN2at6native12_GLOBAL__N_18offset_tEEE10hipError_tPvRmT1_PNSt15iterator_traitsISL_E10value_typeET2_T3_PNSM_ISR_E10value_typeET4_jRbjT5_SX_jjP12ihipStream_tbEUlT_E0_NS1_11comp_targetILNS1_3genE4ELNS1_11target_archE910ELNS1_3gpuE8ELNS1_3repE0EEENS1_60segmented_radix_sort_warp_sort_medium_config_static_selectorELNS0_4arch9wavefront6targetE1EEEvSL_,comdat
.Lfunc_end1854:
	.size	_ZN7rocprim17ROCPRIM_400000_NS6detail17trampoline_kernelINS0_14default_configENS1_36segmented_radix_sort_config_selectorI6__halflEEZNS1_25segmented_radix_sort_implIS3_Lb0EPKS5_PS5_PKlPlN2at6native12_GLOBAL__N_18offset_tEEE10hipError_tPvRmT1_PNSt15iterator_traitsISL_E10value_typeET2_T3_PNSM_ISR_E10value_typeET4_jRbjT5_SX_jjP12ihipStream_tbEUlT_E0_NS1_11comp_targetILNS1_3genE4ELNS1_11target_archE910ELNS1_3gpuE8ELNS1_3repE0EEENS1_60segmented_radix_sort_warp_sort_medium_config_static_selectorELNS0_4arch9wavefront6targetE1EEEvSL_, .Lfunc_end1854-_ZN7rocprim17ROCPRIM_400000_NS6detail17trampoline_kernelINS0_14default_configENS1_36segmented_radix_sort_config_selectorI6__halflEEZNS1_25segmented_radix_sort_implIS3_Lb0EPKS5_PS5_PKlPlN2at6native12_GLOBAL__N_18offset_tEEE10hipError_tPvRmT1_PNSt15iterator_traitsISL_E10value_typeET2_T3_PNSM_ISR_E10value_typeET4_jRbjT5_SX_jjP12ihipStream_tbEUlT_E0_NS1_11comp_targetILNS1_3genE4ELNS1_11target_archE910ELNS1_3gpuE8ELNS1_3repE0EEENS1_60segmented_radix_sort_warp_sort_medium_config_static_selectorELNS0_4arch9wavefront6targetE1EEEvSL_
                                        ; -- End function
	.set _ZN7rocprim17ROCPRIM_400000_NS6detail17trampoline_kernelINS0_14default_configENS1_36segmented_radix_sort_config_selectorI6__halflEEZNS1_25segmented_radix_sort_implIS3_Lb0EPKS5_PS5_PKlPlN2at6native12_GLOBAL__N_18offset_tEEE10hipError_tPvRmT1_PNSt15iterator_traitsISL_E10value_typeET2_T3_PNSM_ISR_E10value_typeET4_jRbjT5_SX_jjP12ihipStream_tbEUlT_E0_NS1_11comp_targetILNS1_3genE4ELNS1_11target_archE910ELNS1_3gpuE8ELNS1_3repE0EEENS1_60segmented_radix_sort_warp_sort_medium_config_static_selectorELNS0_4arch9wavefront6targetE1EEEvSL_.num_vgpr, 0
	.set _ZN7rocprim17ROCPRIM_400000_NS6detail17trampoline_kernelINS0_14default_configENS1_36segmented_radix_sort_config_selectorI6__halflEEZNS1_25segmented_radix_sort_implIS3_Lb0EPKS5_PS5_PKlPlN2at6native12_GLOBAL__N_18offset_tEEE10hipError_tPvRmT1_PNSt15iterator_traitsISL_E10value_typeET2_T3_PNSM_ISR_E10value_typeET4_jRbjT5_SX_jjP12ihipStream_tbEUlT_E0_NS1_11comp_targetILNS1_3genE4ELNS1_11target_archE910ELNS1_3gpuE8ELNS1_3repE0EEENS1_60segmented_radix_sort_warp_sort_medium_config_static_selectorELNS0_4arch9wavefront6targetE1EEEvSL_.num_agpr, 0
	.set _ZN7rocprim17ROCPRIM_400000_NS6detail17trampoline_kernelINS0_14default_configENS1_36segmented_radix_sort_config_selectorI6__halflEEZNS1_25segmented_radix_sort_implIS3_Lb0EPKS5_PS5_PKlPlN2at6native12_GLOBAL__N_18offset_tEEE10hipError_tPvRmT1_PNSt15iterator_traitsISL_E10value_typeET2_T3_PNSM_ISR_E10value_typeET4_jRbjT5_SX_jjP12ihipStream_tbEUlT_E0_NS1_11comp_targetILNS1_3genE4ELNS1_11target_archE910ELNS1_3gpuE8ELNS1_3repE0EEENS1_60segmented_radix_sort_warp_sort_medium_config_static_selectorELNS0_4arch9wavefront6targetE1EEEvSL_.numbered_sgpr, 0
	.set _ZN7rocprim17ROCPRIM_400000_NS6detail17trampoline_kernelINS0_14default_configENS1_36segmented_radix_sort_config_selectorI6__halflEEZNS1_25segmented_radix_sort_implIS3_Lb0EPKS5_PS5_PKlPlN2at6native12_GLOBAL__N_18offset_tEEE10hipError_tPvRmT1_PNSt15iterator_traitsISL_E10value_typeET2_T3_PNSM_ISR_E10value_typeET4_jRbjT5_SX_jjP12ihipStream_tbEUlT_E0_NS1_11comp_targetILNS1_3genE4ELNS1_11target_archE910ELNS1_3gpuE8ELNS1_3repE0EEENS1_60segmented_radix_sort_warp_sort_medium_config_static_selectorELNS0_4arch9wavefront6targetE1EEEvSL_.num_named_barrier, 0
	.set _ZN7rocprim17ROCPRIM_400000_NS6detail17trampoline_kernelINS0_14default_configENS1_36segmented_radix_sort_config_selectorI6__halflEEZNS1_25segmented_radix_sort_implIS3_Lb0EPKS5_PS5_PKlPlN2at6native12_GLOBAL__N_18offset_tEEE10hipError_tPvRmT1_PNSt15iterator_traitsISL_E10value_typeET2_T3_PNSM_ISR_E10value_typeET4_jRbjT5_SX_jjP12ihipStream_tbEUlT_E0_NS1_11comp_targetILNS1_3genE4ELNS1_11target_archE910ELNS1_3gpuE8ELNS1_3repE0EEENS1_60segmented_radix_sort_warp_sort_medium_config_static_selectorELNS0_4arch9wavefront6targetE1EEEvSL_.private_seg_size, 0
	.set _ZN7rocprim17ROCPRIM_400000_NS6detail17trampoline_kernelINS0_14default_configENS1_36segmented_radix_sort_config_selectorI6__halflEEZNS1_25segmented_radix_sort_implIS3_Lb0EPKS5_PS5_PKlPlN2at6native12_GLOBAL__N_18offset_tEEE10hipError_tPvRmT1_PNSt15iterator_traitsISL_E10value_typeET2_T3_PNSM_ISR_E10value_typeET4_jRbjT5_SX_jjP12ihipStream_tbEUlT_E0_NS1_11comp_targetILNS1_3genE4ELNS1_11target_archE910ELNS1_3gpuE8ELNS1_3repE0EEENS1_60segmented_radix_sort_warp_sort_medium_config_static_selectorELNS0_4arch9wavefront6targetE1EEEvSL_.uses_vcc, 0
	.set _ZN7rocprim17ROCPRIM_400000_NS6detail17trampoline_kernelINS0_14default_configENS1_36segmented_radix_sort_config_selectorI6__halflEEZNS1_25segmented_radix_sort_implIS3_Lb0EPKS5_PS5_PKlPlN2at6native12_GLOBAL__N_18offset_tEEE10hipError_tPvRmT1_PNSt15iterator_traitsISL_E10value_typeET2_T3_PNSM_ISR_E10value_typeET4_jRbjT5_SX_jjP12ihipStream_tbEUlT_E0_NS1_11comp_targetILNS1_3genE4ELNS1_11target_archE910ELNS1_3gpuE8ELNS1_3repE0EEENS1_60segmented_radix_sort_warp_sort_medium_config_static_selectorELNS0_4arch9wavefront6targetE1EEEvSL_.uses_flat_scratch, 0
	.set _ZN7rocprim17ROCPRIM_400000_NS6detail17trampoline_kernelINS0_14default_configENS1_36segmented_radix_sort_config_selectorI6__halflEEZNS1_25segmented_radix_sort_implIS3_Lb0EPKS5_PS5_PKlPlN2at6native12_GLOBAL__N_18offset_tEEE10hipError_tPvRmT1_PNSt15iterator_traitsISL_E10value_typeET2_T3_PNSM_ISR_E10value_typeET4_jRbjT5_SX_jjP12ihipStream_tbEUlT_E0_NS1_11comp_targetILNS1_3genE4ELNS1_11target_archE910ELNS1_3gpuE8ELNS1_3repE0EEENS1_60segmented_radix_sort_warp_sort_medium_config_static_selectorELNS0_4arch9wavefront6targetE1EEEvSL_.has_dyn_sized_stack, 0
	.set _ZN7rocprim17ROCPRIM_400000_NS6detail17trampoline_kernelINS0_14default_configENS1_36segmented_radix_sort_config_selectorI6__halflEEZNS1_25segmented_radix_sort_implIS3_Lb0EPKS5_PS5_PKlPlN2at6native12_GLOBAL__N_18offset_tEEE10hipError_tPvRmT1_PNSt15iterator_traitsISL_E10value_typeET2_T3_PNSM_ISR_E10value_typeET4_jRbjT5_SX_jjP12ihipStream_tbEUlT_E0_NS1_11comp_targetILNS1_3genE4ELNS1_11target_archE910ELNS1_3gpuE8ELNS1_3repE0EEENS1_60segmented_radix_sort_warp_sort_medium_config_static_selectorELNS0_4arch9wavefront6targetE1EEEvSL_.has_recursion, 0
	.set _ZN7rocprim17ROCPRIM_400000_NS6detail17trampoline_kernelINS0_14default_configENS1_36segmented_radix_sort_config_selectorI6__halflEEZNS1_25segmented_radix_sort_implIS3_Lb0EPKS5_PS5_PKlPlN2at6native12_GLOBAL__N_18offset_tEEE10hipError_tPvRmT1_PNSt15iterator_traitsISL_E10value_typeET2_T3_PNSM_ISR_E10value_typeET4_jRbjT5_SX_jjP12ihipStream_tbEUlT_E0_NS1_11comp_targetILNS1_3genE4ELNS1_11target_archE910ELNS1_3gpuE8ELNS1_3repE0EEENS1_60segmented_radix_sort_warp_sort_medium_config_static_selectorELNS0_4arch9wavefront6targetE1EEEvSL_.has_indirect_call, 0
	.section	.AMDGPU.csdata,"",@progbits
; Kernel info:
; codeLenInByte = 0
; TotalNumSgprs: 4
; NumVgprs: 0
; ScratchSize: 0
; MemoryBound: 0
; FloatMode: 240
; IeeeMode: 1
; LDSByteSize: 0 bytes/workgroup (compile time only)
; SGPRBlocks: 0
; VGPRBlocks: 0
; NumSGPRsForWavesPerEU: 4
; NumVGPRsForWavesPerEU: 1
; Occupancy: 10
; WaveLimiterHint : 0
; COMPUTE_PGM_RSRC2:SCRATCH_EN: 0
; COMPUTE_PGM_RSRC2:USER_SGPR: 6
; COMPUTE_PGM_RSRC2:TRAP_HANDLER: 0
; COMPUTE_PGM_RSRC2:TGID_X_EN: 1
; COMPUTE_PGM_RSRC2:TGID_Y_EN: 0
; COMPUTE_PGM_RSRC2:TGID_Z_EN: 0
; COMPUTE_PGM_RSRC2:TIDIG_COMP_CNT: 0
	.section	.text._ZN7rocprim17ROCPRIM_400000_NS6detail17trampoline_kernelINS0_14default_configENS1_36segmented_radix_sort_config_selectorI6__halflEEZNS1_25segmented_radix_sort_implIS3_Lb0EPKS5_PS5_PKlPlN2at6native12_GLOBAL__N_18offset_tEEE10hipError_tPvRmT1_PNSt15iterator_traitsISL_E10value_typeET2_T3_PNSM_ISR_E10value_typeET4_jRbjT5_SX_jjP12ihipStream_tbEUlT_E0_NS1_11comp_targetILNS1_3genE3ELNS1_11target_archE908ELNS1_3gpuE7ELNS1_3repE0EEENS1_60segmented_radix_sort_warp_sort_medium_config_static_selectorELNS0_4arch9wavefront6targetE1EEEvSL_,"axG",@progbits,_ZN7rocprim17ROCPRIM_400000_NS6detail17trampoline_kernelINS0_14default_configENS1_36segmented_radix_sort_config_selectorI6__halflEEZNS1_25segmented_radix_sort_implIS3_Lb0EPKS5_PS5_PKlPlN2at6native12_GLOBAL__N_18offset_tEEE10hipError_tPvRmT1_PNSt15iterator_traitsISL_E10value_typeET2_T3_PNSM_ISR_E10value_typeET4_jRbjT5_SX_jjP12ihipStream_tbEUlT_E0_NS1_11comp_targetILNS1_3genE3ELNS1_11target_archE908ELNS1_3gpuE7ELNS1_3repE0EEENS1_60segmented_radix_sort_warp_sort_medium_config_static_selectorELNS0_4arch9wavefront6targetE1EEEvSL_,comdat
	.globl	_ZN7rocprim17ROCPRIM_400000_NS6detail17trampoline_kernelINS0_14default_configENS1_36segmented_radix_sort_config_selectorI6__halflEEZNS1_25segmented_radix_sort_implIS3_Lb0EPKS5_PS5_PKlPlN2at6native12_GLOBAL__N_18offset_tEEE10hipError_tPvRmT1_PNSt15iterator_traitsISL_E10value_typeET2_T3_PNSM_ISR_E10value_typeET4_jRbjT5_SX_jjP12ihipStream_tbEUlT_E0_NS1_11comp_targetILNS1_3genE3ELNS1_11target_archE908ELNS1_3gpuE7ELNS1_3repE0EEENS1_60segmented_radix_sort_warp_sort_medium_config_static_selectorELNS0_4arch9wavefront6targetE1EEEvSL_ ; -- Begin function _ZN7rocprim17ROCPRIM_400000_NS6detail17trampoline_kernelINS0_14default_configENS1_36segmented_radix_sort_config_selectorI6__halflEEZNS1_25segmented_radix_sort_implIS3_Lb0EPKS5_PS5_PKlPlN2at6native12_GLOBAL__N_18offset_tEEE10hipError_tPvRmT1_PNSt15iterator_traitsISL_E10value_typeET2_T3_PNSM_ISR_E10value_typeET4_jRbjT5_SX_jjP12ihipStream_tbEUlT_E0_NS1_11comp_targetILNS1_3genE3ELNS1_11target_archE908ELNS1_3gpuE7ELNS1_3repE0EEENS1_60segmented_radix_sort_warp_sort_medium_config_static_selectorELNS0_4arch9wavefront6targetE1EEEvSL_
	.p2align	8
	.type	_ZN7rocprim17ROCPRIM_400000_NS6detail17trampoline_kernelINS0_14default_configENS1_36segmented_radix_sort_config_selectorI6__halflEEZNS1_25segmented_radix_sort_implIS3_Lb0EPKS5_PS5_PKlPlN2at6native12_GLOBAL__N_18offset_tEEE10hipError_tPvRmT1_PNSt15iterator_traitsISL_E10value_typeET2_T3_PNSM_ISR_E10value_typeET4_jRbjT5_SX_jjP12ihipStream_tbEUlT_E0_NS1_11comp_targetILNS1_3genE3ELNS1_11target_archE908ELNS1_3gpuE7ELNS1_3repE0EEENS1_60segmented_radix_sort_warp_sort_medium_config_static_selectorELNS0_4arch9wavefront6targetE1EEEvSL_,@function
_ZN7rocprim17ROCPRIM_400000_NS6detail17trampoline_kernelINS0_14default_configENS1_36segmented_radix_sort_config_selectorI6__halflEEZNS1_25segmented_radix_sort_implIS3_Lb0EPKS5_PS5_PKlPlN2at6native12_GLOBAL__N_18offset_tEEE10hipError_tPvRmT1_PNSt15iterator_traitsISL_E10value_typeET2_T3_PNSM_ISR_E10value_typeET4_jRbjT5_SX_jjP12ihipStream_tbEUlT_E0_NS1_11comp_targetILNS1_3genE3ELNS1_11target_archE908ELNS1_3gpuE7ELNS1_3repE0EEENS1_60segmented_radix_sort_warp_sort_medium_config_static_selectorELNS0_4arch9wavefront6targetE1EEEvSL_: ; @_ZN7rocprim17ROCPRIM_400000_NS6detail17trampoline_kernelINS0_14default_configENS1_36segmented_radix_sort_config_selectorI6__halflEEZNS1_25segmented_radix_sort_implIS3_Lb0EPKS5_PS5_PKlPlN2at6native12_GLOBAL__N_18offset_tEEE10hipError_tPvRmT1_PNSt15iterator_traitsISL_E10value_typeET2_T3_PNSM_ISR_E10value_typeET4_jRbjT5_SX_jjP12ihipStream_tbEUlT_E0_NS1_11comp_targetILNS1_3genE3ELNS1_11target_archE908ELNS1_3gpuE7ELNS1_3repE0EEENS1_60segmented_radix_sort_warp_sort_medium_config_static_selectorELNS0_4arch9wavefront6targetE1EEEvSL_
; %bb.0:
	.section	.rodata,"a",@progbits
	.p2align	6, 0x0
	.amdhsa_kernel _ZN7rocprim17ROCPRIM_400000_NS6detail17trampoline_kernelINS0_14default_configENS1_36segmented_radix_sort_config_selectorI6__halflEEZNS1_25segmented_radix_sort_implIS3_Lb0EPKS5_PS5_PKlPlN2at6native12_GLOBAL__N_18offset_tEEE10hipError_tPvRmT1_PNSt15iterator_traitsISL_E10value_typeET2_T3_PNSM_ISR_E10value_typeET4_jRbjT5_SX_jjP12ihipStream_tbEUlT_E0_NS1_11comp_targetILNS1_3genE3ELNS1_11target_archE908ELNS1_3gpuE7ELNS1_3repE0EEENS1_60segmented_radix_sort_warp_sort_medium_config_static_selectorELNS0_4arch9wavefront6targetE1EEEvSL_
		.amdhsa_group_segment_fixed_size 0
		.amdhsa_private_segment_fixed_size 0
		.amdhsa_kernarg_size 88
		.amdhsa_user_sgpr_count 6
		.amdhsa_user_sgpr_private_segment_buffer 1
		.amdhsa_user_sgpr_dispatch_ptr 0
		.amdhsa_user_sgpr_queue_ptr 0
		.amdhsa_user_sgpr_kernarg_segment_ptr 1
		.amdhsa_user_sgpr_dispatch_id 0
		.amdhsa_user_sgpr_flat_scratch_init 0
		.amdhsa_user_sgpr_private_segment_size 0
		.amdhsa_uses_dynamic_stack 0
		.amdhsa_system_sgpr_private_segment_wavefront_offset 0
		.amdhsa_system_sgpr_workgroup_id_x 1
		.amdhsa_system_sgpr_workgroup_id_y 0
		.amdhsa_system_sgpr_workgroup_id_z 0
		.amdhsa_system_sgpr_workgroup_info 0
		.amdhsa_system_vgpr_workitem_id 0
		.amdhsa_next_free_vgpr 1
		.amdhsa_next_free_sgpr 0
		.amdhsa_reserve_vcc 0
		.amdhsa_reserve_flat_scratch 0
		.amdhsa_float_round_mode_32 0
		.amdhsa_float_round_mode_16_64 0
		.amdhsa_float_denorm_mode_32 3
		.amdhsa_float_denorm_mode_16_64 3
		.amdhsa_dx10_clamp 1
		.amdhsa_ieee_mode 1
		.amdhsa_fp16_overflow 0
		.amdhsa_exception_fp_ieee_invalid_op 0
		.amdhsa_exception_fp_denorm_src 0
		.amdhsa_exception_fp_ieee_div_zero 0
		.amdhsa_exception_fp_ieee_overflow 0
		.amdhsa_exception_fp_ieee_underflow 0
		.amdhsa_exception_fp_ieee_inexact 0
		.amdhsa_exception_int_div_zero 0
	.end_amdhsa_kernel
	.section	.text._ZN7rocprim17ROCPRIM_400000_NS6detail17trampoline_kernelINS0_14default_configENS1_36segmented_radix_sort_config_selectorI6__halflEEZNS1_25segmented_radix_sort_implIS3_Lb0EPKS5_PS5_PKlPlN2at6native12_GLOBAL__N_18offset_tEEE10hipError_tPvRmT1_PNSt15iterator_traitsISL_E10value_typeET2_T3_PNSM_ISR_E10value_typeET4_jRbjT5_SX_jjP12ihipStream_tbEUlT_E0_NS1_11comp_targetILNS1_3genE3ELNS1_11target_archE908ELNS1_3gpuE7ELNS1_3repE0EEENS1_60segmented_radix_sort_warp_sort_medium_config_static_selectorELNS0_4arch9wavefront6targetE1EEEvSL_,"axG",@progbits,_ZN7rocprim17ROCPRIM_400000_NS6detail17trampoline_kernelINS0_14default_configENS1_36segmented_radix_sort_config_selectorI6__halflEEZNS1_25segmented_radix_sort_implIS3_Lb0EPKS5_PS5_PKlPlN2at6native12_GLOBAL__N_18offset_tEEE10hipError_tPvRmT1_PNSt15iterator_traitsISL_E10value_typeET2_T3_PNSM_ISR_E10value_typeET4_jRbjT5_SX_jjP12ihipStream_tbEUlT_E0_NS1_11comp_targetILNS1_3genE3ELNS1_11target_archE908ELNS1_3gpuE7ELNS1_3repE0EEENS1_60segmented_radix_sort_warp_sort_medium_config_static_selectorELNS0_4arch9wavefront6targetE1EEEvSL_,comdat
.Lfunc_end1855:
	.size	_ZN7rocprim17ROCPRIM_400000_NS6detail17trampoline_kernelINS0_14default_configENS1_36segmented_radix_sort_config_selectorI6__halflEEZNS1_25segmented_radix_sort_implIS3_Lb0EPKS5_PS5_PKlPlN2at6native12_GLOBAL__N_18offset_tEEE10hipError_tPvRmT1_PNSt15iterator_traitsISL_E10value_typeET2_T3_PNSM_ISR_E10value_typeET4_jRbjT5_SX_jjP12ihipStream_tbEUlT_E0_NS1_11comp_targetILNS1_3genE3ELNS1_11target_archE908ELNS1_3gpuE7ELNS1_3repE0EEENS1_60segmented_radix_sort_warp_sort_medium_config_static_selectorELNS0_4arch9wavefront6targetE1EEEvSL_, .Lfunc_end1855-_ZN7rocprim17ROCPRIM_400000_NS6detail17trampoline_kernelINS0_14default_configENS1_36segmented_radix_sort_config_selectorI6__halflEEZNS1_25segmented_radix_sort_implIS3_Lb0EPKS5_PS5_PKlPlN2at6native12_GLOBAL__N_18offset_tEEE10hipError_tPvRmT1_PNSt15iterator_traitsISL_E10value_typeET2_T3_PNSM_ISR_E10value_typeET4_jRbjT5_SX_jjP12ihipStream_tbEUlT_E0_NS1_11comp_targetILNS1_3genE3ELNS1_11target_archE908ELNS1_3gpuE7ELNS1_3repE0EEENS1_60segmented_radix_sort_warp_sort_medium_config_static_selectorELNS0_4arch9wavefront6targetE1EEEvSL_
                                        ; -- End function
	.set _ZN7rocprim17ROCPRIM_400000_NS6detail17trampoline_kernelINS0_14default_configENS1_36segmented_radix_sort_config_selectorI6__halflEEZNS1_25segmented_radix_sort_implIS3_Lb0EPKS5_PS5_PKlPlN2at6native12_GLOBAL__N_18offset_tEEE10hipError_tPvRmT1_PNSt15iterator_traitsISL_E10value_typeET2_T3_PNSM_ISR_E10value_typeET4_jRbjT5_SX_jjP12ihipStream_tbEUlT_E0_NS1_11comp_targetILNS1_3genE3ELNS1_11target_archE908ELNS1_3gpuE7ELNS1_3repE0EEENS1_60segmented_radix_sort_warp_sort_medium_config_static_selectorELNS0_4arch9wavefront6targetE1EEEvSL_.num_vgpr, 0
	.set _ZN7rocprim17ROCPRIM_400000_NS6detail17trampoline_kernelINS0_14default_configENS1_36segmented_radix_sort_config_selectorI6__halflEEZNS1_25segmented_radix_sort_implIS3_Lb0EPKS5_PS5_PKlPlN2at6native12_GLOBAL__N_18offset_tEEE10hipError_tPvRmT1_PNSt15iterator_traitsISL_E10value_typeET2_T3_PNSM_ISR_E10value_typeET4_jRbjT5_SX_jjP12ihipStream_tbEUlT_E0_NS1_11comp_targetILNS1_3genE3ELNS1_11target_archE908ELNS1_3gpuE7ELNS1_3repE0EEENS1_60segmented_radix_sort_warp_sort_medium_config_static_selectorELNS0_4arch9wavefront6targetE1EEEvSL_.num_agpr, 0
	.set _ZN7rocprim17ROCPRIM_400000_NS6detail17trampoline_kernelINS0_14default_configENS1_36segmented_radix_sort_config_selectorI6__halflEEZNS1_25segmented_radix_sort_implIS3_Lb0EPKS5_PS5_PKlPlN2at6native12_GLOBAL__N_18offset_tEEE10hipError_tPvRmT1_PNSt15iterator_traitsISL_E10value_typeET2_T3_PNSM_ISR_E10value_typeET4_jRbjT5_SX_jjP12ihipStream_tbEUlT_E0_NS1_11comp_targetILNS1_3genE3ELNS1_11target_archE908ELNS1_3gpuE7ELNS1_3repE0EEENS1_60segmented_radix_sort_warp_sort_medium_config_static_selectorELNS0_4arch9wavefront6targetE1EEEvSL_.numbered_sgpr, 0
	.set _ZN7rocprim17ROCPRIM_400000_NS6detail17trampoline_kernelINS0_14default_configENS1_36segmented_radix_sort_config_selectorI6__halflEEZNS1_25segmented_radix_sort_implIS3_Lb0EPKS5_PS5_PKlPlN2at6native12_GLOBAL__N_18offset_tEEE10hipError_tPvRmT1_PNSt15iterator_traitsISL_E10value_typeET2_T3_PNSM_ISR_E10value_typeET4_jRbjT5_SX_jjP12ihipStream_tbEUlT_E0_NS1_11comp_targetILNS1_3genE3ELNS1_11target_archE908ELNS1_3gpuE7ELNS1_3repE0EEENS1_60segmented_radix_sort_warp_sort_medium_config_static_selectorELNS0_4arch9wavefront6targetE1EEEvSL_.num_named_barrier, 0
	.set _ZN7rocprim17ROCPRIM_400000_NS6detail17trampoline_kernelINS0_14default_configENS1_36segmented_radix_sort_config_selectorI6__halflEEZNS1_25segmented_radix_sort_implIS3_Lb0EPKS5_PS5_PKlPlN2at6native12_GLOBAL__N_18offset_tEEE10hipError_tPvRmT1_PNSt15iterator_traitsISL_E10value_typeET2_T3_PNSM_ISR_E10value_typeET4_jRbjT5_SX_jjP12ihipStream_tbEUlT_E0_NS1_11comp_targetILNS1_3genE3ELNS1_11target_archE908ELNS1_3gpuE7ELNS1_3repE0EEENS1_60segmented_radix_sort_warp_sort_medium_config_static_selectorELNS0_4arch9wavefront6targetE1EEEvSL_.private_seg_size, 0
	.set _ZN7rocprim17ROCPRIM_400000_NS6detail17trampoline_kernelINS0_14default_configENS1_36segmented_radix_sort_config_selectorI6__halflEEZNS1_25segmented_radix_sort_implIS3_Lb0EPKS5_PS5_PKlPlN2at6native12_GLOBAL__N_18offset_tEEE10hipError_tPvRmT1_PNSt15iterator_traitsISL_E10value_typeET2_T3_PNSM_ISR_E10value_typeET4_jRbjT5_SX_jjP12ihipStream_tbEUlT_E0_NS1_11comp_targetILNS1_3genE3ELNS1_11target_archE908ELNS1_3gpuE7ELNS1_3repE0EEENS1_60segmented_radix_sort_warp_sort_medium_config_static_selectorELNS0_4arch9wavefront6targetE1EEEvSL_.uses_vcc, 0
	.set _ZN7rocprim17ROCPRIM_400000_NS6detail17trampoline_kernelINS0_14default_configENS1_36segmented_radix_sort_config_selectorI6__halflEEZNS1_25segmented_radix_sort_implIS3_Lb0EPKS5_PS5_PKlPlN2at6native12_GLOBAL__N_18offset_tEEE10hipError_tPvRmT1_PNSt15iterator_traitsISL_E10value_typeET2_T3_PNSM_ISR_E10value_typeET4_jRbjT5_SX_jjP12ihipStream_tbEUlT_E0_NS1_11comp_targetILNS1_3genE3ELNS1_11target_archE908ELNS1_3gpuE7ELNS1_3repE0EEENS1_60segmented_radix_sort_warp_sort_medium_config_static_selectorELNS0_4arch9wavefront6targetE1EEEvSL_.uses_flat_scratch, 0
	.set _ZN7rocprim17ROCPRIM_400000_NS6detail17trampoline_kernelINS0_14default_configENS1_36segmented_radix_sort_config_selectorI6__halflEEZNS1_25segmented_radix_sort_implIS3_Lb0EPKS5_PS5_PKlPlN2at6native12_GLOBAL__N_18offset_tEEE10hipError_tPvRmT1_PNSt15iterator_traitsISL_E10value_typeET2_T3_PNSM_ISR_E10value_typeET4_jRbjT5_SX_jjP12ihipStream_tbEUlT_E0_NS1_11comp_targetILNS1_3genE3ELNS1_11target_archE908ELNS1_3gpuE7ELNS1_3repE0EEENS1_60segmented_radix_sort_warp_sort_medium_config_static_selectorELNS0_4arch9wavefront6targetE1EEEvSL_.has_dyn_sized_stack, 0
	.set _ZN7rocprim17ROCPRIM_400000_NS6detail17trampoline_kernelINS0_14default_configENS1_36segmented_radix_sort_config_selectorI6__halflEEZNS1_25segmented_radix_sort_implIS3_Lb0EPKS5_PS5_PKlPlN2at6native12_GLOBAL__N_18offset_tEEE10hipError_tPvRmT1_PNSt15iterator_traitsISL_E10value_typeET2_T3_PNSM_ISR_E10value_typeET4_jRbjT5_SX_jjP12ihipStream_tbEUlT_E0_NS1_11comp_targetILNS1_3genE3ELNS1_11target_archE908ELNS1_3gpuE7ELNS1_3repE0EEENS1_60segmented_radix_sort_warp_sort_medium_config_static_selectorELNS0_4arch9wavefront6targetE1EEEvSL_.has_recursion, 0
	.set _ZN7rocprim17ROCPRIM_400000_NS6detail17trampoline_kernelINS0_14default_configENS1_36segmented_radix_sort_config_selectorI6__halflEEZNS1_25segmented_radix_sort_implIS3_Lb0EPKS5_PS5_PKlPlN2at6native12_GLOBAL__N_18offset_tEEE10hipError_tPvRmT1_PNSt15iterator_traitsISL_E10value_typeET2_T3_PNSM_ISR_E10value_typeET4_jRbjT5_SX_jjP12ihipStream_tbEUlT_E0_NS1_11comp_targetILNS1_3genE3ELNS1_11target_archE908ELNS1_3gpuE7ELNS1_3repE0EEENS1_60segmented_radix_sort_warp_sort_medium_config_static_selectorELNS0_4arch9wavefront6targetE1EEEvSL_.has_indirect_call, 0
	.section	.AMDGPU.csdata,"",@progbits
; Kernel info:
; codeLenInByte = 0
; TotalNumSgprs: 4
; NumVgprs: 0
; ScratchSize: 0
; MemoryBound: 0
; FloatMode: 240
; IeeeMode: 1
; LDSByteSize: 0 bytes/workgroup (compile time only)
; SGPRBlocks: 0
; VGPRBlocks: 0
; NumSGPRsForWavesPerEU: 4
; NumVGPRsForWavesPerEU: 1
; Occupancy: 10
; WaveLimiterHint : 0
; COMPUTE_PGM_RSRC2:SCRATCH_EN: 0
; COMPUTE_PGM_RSRC2:USER_SGPR: 6
; COMPUTE_PGM_RSRC2:TRAP_HANDLER: 0
; COMPUTE_PGM_RSRC2:TGID_X_EN: 1
; COMPUTE_PGM_RSRC2:TGID_Y_EN: 0
; COMPUTE_PGM_RSRC2:TGID_Z_EN: 0
; COMPUTE_PGM_RSRC2:TIDIG_COMP_CNT: 0
	.text
	.p2align	2                               ; -- Begin function _ZN7rocprim17ROCPRIM_400000_NS6detail26segmented_warp_sort_helperINS1_20WarpSortHelperConfigILj16ELj8ELj256EEE6__halflLi256ELb0EvE4sortIPKS5_PS5_PKlPlEEvT_T0_T1_T2_jjjjRNS6_12storage_typeE
	.type	_ZN7rocprim17ROCPRIM_400000_NS6detail26segmented_warp_sort_helperINS1_20WarpSortHelperConfigILj16ELj8ELj256EEE6__halflLi256ELb0EvE4sortIPKS5_PS5_PKlPlEEvT_T0_T1_T2_jjjjRNS6_12storage_typeE,@function
_ZN7rocprim17ROCPRIM_400000_NS6detail26segmented_warp_sort_helperINS1_20WarpSortHelperConfigILj16ELj8ELj256EEE6__halflLi256ELb0EvE4sortIPKS5_PS5_PKlPlEEvT_T0_T1_T2_jjjjRNS6_12storage_typeE: ; @_ZN7rocprim17ROCPRIM_400000_NS6detail26segmented_warp_sort_helperINS1_20WarpSortHelperConfigILj16ELj8ELj256EEE6__halflLi256ELb0EvE4sortIPKS5_PS5_PKlPlEEvT_T0_T1_T2_jjjjRNS6_12storage_typeE
; %bb.0:
	s_waitcnt vmcnt(0) expcnt(0) lgkmcnt(0)
	v_sub_u32_e32 v12, v9, v8
	v_mov_b32_e32 v9, 0
	v_mbcnt_lo_u32_b32 v13, -1, 0
	v_lshlrev_b64 v[10:11], 1, v[8:9]
	v_mbcnt_hi_u32_b32 v13, -1, v13
	v_lshlrev_b32_e32 v35, 3, v13
	v_add_co_u32_e32 v0, vcc, v0, v10
	v_and_b32_e32 v34, 0x78, v35
	v_addc_co_u32_e32 v1, vcc, v1, v11, vcc
	v_lshlrev_b32_e32 v32, 1, v34
	v_add_co_u32_e32 v0, vcc, v0, v32
	v_addc_co_u32_e32 v1, vcc, 0, v1, vcc
	v_cmp_lt_u32_e32 vcc, v34, v12
	v_mov_b32_e32 v48, 0x7fff
	v_mov_b32_e32 v36, 0x7fff
	s_and_saveexec_b64 s[4:5], vcc
	s_cbranch_execz .LBB1856_2
; %bb.1:
	flat_load_ushort v36, v[0:1]
.LBB1856_2:
	s_or_b64 exec, exec, s[4:5]
	v_or_b32_e32 v13, 1, v34
	v_cmp_lt_u32_e64 s[4:5], v13, v12
	s_and_saveexec_b64 s[6:7], s[4:5]
	s_cbranch_execz .LBB1856_4
; %bb.3:
	flat_load_ushort v48, v[0:1] offset:2
.LBB1856_4:
	s_or_b64 exec, exec, s[6:7]
	v_or_b32_e32 v13, 2, v34
	v_cmp_lt_u32_e64 s[6:7], v13, v12
	v_mov_b32_e32 v51, 0x7fff
	v_mov_b32_e32 v49, 0x7fff
	s_and_saveexec_b64 s[10:11], s[6:7]
	s_cbranch_execz .LBB1856_6
; %bb.5:
	flat_load_ushort v49, v[0:1] offset:4
.LBB1856_6:
	s_or_b64 exec, exec, s[10:11]
	v_or_b32_e32 v13, 3, v34
	v_cmp_lt_u32_e64 s[18:19], v13, v12
	s_and_saveexec_b64 s[10:11], s[18:19]
	s_cbranch_execz .LBB1856_8
; %bb.7:
	flat_load_ushort v51, v[0:1] offset:6
.LBB1856_8:
	s_or_b64 exec, exec, s[10:11]
	v_or_b32_e32 v13, 4, v34
	v_cmp_lt_u32_e64 s[10:11], v13, v12
	v_mov_b32_e32 v38, 0x7fff
	v_mov_b32_e32 v39, 0x7fff
	s_and_saveexec_b64 s[14:15], s[10:11]
	s_cbranch_execz .LBB1856_10
; %bb.9:
	flat_load_ushort v39, v[0:1] offset:8
.LBB1856_10:
	;; [unrolled: 18-line block ×3, first 2 shown]
	s_or_b64 exec, exec, s[16:17]
	v_or_b32_e32 v13, 7, v34
	v_cmp_lt_u32_e64 s[16:17], v13, v12
	s_and_saveexec_b64 s[22:23], s[16:17]
	s_cbranch_execz .LBB1856_16
; %bb.15:
	flat_load_ushort v37, v[0:1] offset:14
.LBB1856_16:
	s_or_b64 exec, exec, s[22:23]
	v_lshlrev_b64 v[0:1], 3, v[8:9]
	v_lshlrev_b32_e32 v33, 3, v34
	v_add_co_u32_e64 v4, s[22:23], v4, v0
	v_addc_co_u32_e64 v5, s[22:23], v5, v1, s[22:23]
	v_add_co_u32_e64 v12, s[22:23], v4, v33
	v_addc_co_u32_e64 v13, s[22:23], 0, v5, s[22:23]
	; wave barrier
                                        ; implicit-def: $vgpr4_vgpr5
	s_and_saveexec_b64 s[22:23], vcc
	s_cbranch_execnz .LBB1856_261
; %bb.17:
	s_or_b64 exec, exec, s[22:23]
                                        ; implicit-def: $vgpr8_vgpr9
	s_and_saveexec_b64 s[22:23], s[4:5]
	s_cbranch_execnz .LBB1856_262
.LBB1856_18:
	s_or_b64 exec, exec, s[22:23]
                                        ; implicit-def: $vgpr15_vgpr16
	s_and_saveexec_b64 s[22:23], s[6:7]
	s_cbranch_execnz .LBB1856_263
.LBB1856_19:
	s_or_b64 exec, exec, s[22:23]
                                        ; implicit-def: $vgpr17_vgpr18
	s_and_saveexec_b64 s[22:23], s[18:19]
	s_cbranch_execnz .LBB1856_264
.LBB1856_20:
	s_or_b64 exec, exec, s[22:23]
                                        ; implicit-def: $vgpr19_vgpr20
	s_and_saveexec_b64 s[22:23], s[10:11]
	s_cbranch_execnz .LBB1856_265
.LBB1856_21:
	s_or_b64 exec, exec, s[22:23]
                                        ; implicit-def: $vgpr23_vgpr24
	s_and_saveexec_b64 s[22:23], s[20:21]
	s_cbranch_execnz .LBB1856_266
.LBB1856_22:
	s_or_b64 exec, exec, s[22:23]
                                        ; implicit-def: $vgpr21_vgpr22
	s_and_saveexec_b64 s[22:23], s[14:15]
	s_cbranch_execnz .LBB1856_267
.LBB1856_23:
	s_or_b64 exec, exec, s[22:23]
                                        ; implicit-def: $vgpr25_vgpr26
	s_and_saveexec_b64 s[22:23], s[16:17]
	s_cbranch_execz .LBB1856_25
.LBB1856_24:
	flat_load_dwordx2 v[25:26], v[12:13] offset:56
.LBB1856_25:
	s_or_b64 exec, exec, s[22:23]
	; wave barrier
	s_load_dwordx2 s[22:23], s[8:9], 0x0
	v_mov_b32_e32 v12, 0
	v_bfe_u32 v27, v31, 20, 10
	s_waitcnt lgkmcnt(0)
	s_cmp_lt_u32 s13, s23
	s_cselect_b32 s13, 14, 20
	s_add_u32 s24, s8, s13
	s_addc_u32 s25, s9, 0
	s_cmp_lt_u32 s12, s22
	s_cselect_b32 s12, 12, 18
	s_add_u32 s8, s8, s12
	s_addc_u32 s9, s9, 0
	global_load_ushort v13, v12, s[24:25]
	global_load_ushort v14, v12, s[8:9]
	v_bfe_u32 v12, v31, 10, 10
	s_movk_i32 s8, 0x800
	s_waitcnt vmcnt(0)
	v_mad_u32_u24 v12, v27, v13, v12
	v_mul_lo_u32 v12, v12, v14
	v_and_b32_e32 v13, 0x3ff, v31
	v_add_lshl_u32 v31, v12, v13, 3
	v_cmp_gt_u32_e64 s[8:9], s8, v31
	s_and_saveexec_b64 s[12:13], s[8:9]
	s_cbranch_execz .LBB1856_83
; %bb.26:
	v_add_f16_e32 v13, 0, v36
	v_add_f16_e32 v14, 0, v48
	v_mov_b32_e32 v12, 0xffff8000
	v_cmp_lt_i16_e64 s[8:9], -1, v13
	v_cndmask_b32_e64 v27, -1, v12, s[8:9]
	v_cmp_lt_i16_e64 s[8:9], -1, v14
	v_xor_b32_e32 v13, v27, v13
	v_cndmask_b32_e64 v27, -1, v12, s[8:9]
	v_xor_b32_e32 v14, v27, v14
	v_mov_b32_e32 v28, v9
	v_cmp_gt_u16_e64 s[8:9], v13, v14
	v_mov_b32_e32 v29, v48
	v_mov_b32_e32 v27, v8
	s_and_saveexec_b64 s[22:23], s[8:9]
; %bb.27:
	v_mov_b32_e32 v28, v5
	v_mov_b32_e32 v27, v4
	;; [unrolled: 1-line block ×6, first 2 shown]
; %bb.28:
	s_or_b64 exec, exec, s[22:23]
	v_add_f16_e32 v8, 0, v49
	v_add_f16_e32 v9, 0, v51
	v_cmp_lt_i16_e64 s[8:9], -1, v8
	v_cndmask_b32_e64 v13, -1, v12, s[8:9]
	v_cmp_lt_i16_e64 s[8:9], -1, v9
	v_cndmask_b32_e64 v12, -1, v12, s[8:9]
	v_xor_b32_e32 v8, v13, v8
	v_xor_b32_e32 v9, v12, v9
	v_mov_b32_e32 v12, v17
	v_cmp_gt_u16_e64 s[8:9], v8, v9
	v_mov_b32_e32 v48, v51
	v_mov_b32_e32 v13, v18
	s_and_saveexec_b64 s[22:23], s[8:9]
; %bb.29:
	v_mov_b32_e32 v12, v15
	v_mov_b32_e32 v13, v16
	;; [unrolled: 1-line block ×6, first 2 shown]
; %bb.30:
	s_or_b64 exec, exec, s[22:23]
	v_add_f16_e32 v9, 0, v39
	v_add_f16_e32 v14, 0, v38
	v_mov_b32_e32 v8, 0xffff8000
	v_cmp_lt_i16_e64 s[8:9], -1, v9
	v_cndmask_b32_e64 v17, -1, v8, s[8:9]
	v_cmp_lt_i16_e64 s[8:9], -1, v14
	v_xor_b32_e32 v9, v17, v9
	v_cndmask_b32_e64 v17, -1, v8, s[8:9]
	v_xor_b32_e32 v14, v17, v14
	v_mov_b32_e32 v17, v23
	v_cmp_gt_u16_e64 s[8:9], v9, v14
	v_mov_b32_e32 v18, v24
	v_mov_b32_e32 v51, v39
	s_and_saveexec_b64 s[22:23], s[8:9]
; %bb.31:
	v_mov_b32_e32 v17, v19
	v_mov_b32_e32 v18, v20
	;; [unrolled: 1-line block ×6, first 2 shown]
; %bb.32:
	s_or_b64 exec, exec, s[22:23]
	v_add_f16_e32 v9, 0, v50
	v_add_f16_e32 v14, 0, v37
	v_cmp_lt_i16_e64 s[8:9], -1, v9
	v_cndmask_b32_e64 v23, -1, v8, s[8:9]
	v_cmp_lt_i16_e64 s[8:9], -1, v14
	v_cndmask_b32_e64 v8, -1, v8, s[8:9]
	v_xor_b32_e32 v9, v23, v9
	v_xor_b32_e32 v8, v8, v14
	v_cmp_gt_u16_e64 s[8:9], v9, v8
	v_mov_b32_e32 v8, v25
	v_mov_b32_e32 v9, v26
	;; [unrolled: 1-line block ×3, first 2 shown]
	s_and_saveexec_b64 s[22:23], s[8:9]
; %bb.33:
	v_mov_b32_e32 v8, v21
	v_mov_b32_e32 v9, v22
	;; [unrolled: 1-line block ×6, first 2 shown]
; %bb.34:
	s_or_b64 exec, exec, s[22:23]
	v_add_f16_e32 v24, 0, v29
	v_add_f16_e32 v25, 0, v49
	v_mov_b32_e32 v14, 0xffff8000
	v_cmp_lt_i16_e64 s[8:9], -1, v24
	v_cndmask_b32_e64 v26, -1, v14, s[8:9]
	v_cmp_lt_i16_e64 s[8:9], -1, v25
	v_xor_b32_e32 v24, v26, v24
	v_cndmask_b32_e64 v26, -1, v14, s[8:9]
	v_xor_b32_e32 v25, v26, v25
	v_cmp_gt_u16_e64 s[8:9], v24, v25
	v_mov_b32_e32 v26, v16
	v_mov_b32_e32 v30, v49
	;; [unrolled: 1-line block ×3, first 2 shown]
	s_and_saveexec_b64 s[22:23], s[8:9]
	s_xor_b64 s[8:9], exec, s[22:23]
; %bb.35:
	v_mov_b32_e32 v25, v27
	v_mov_b32_e32 v26, v28
	;; [unrolled: 1-line block ×6, first 2 shown]
; %bb.36:
	s_or_b64 exec, exec, s[8:9]
	v_add_f16_e32 v15, 0, v48
	v_add_f16_e32 v16, 0, v51
	v_cmp_lt_i16_e64 s[8:9], -1, v15
	v_cndmask_b32_e64 v24, -1, v14, s[8:9]
	v_cmp_lt_i16_e64 s[8:9], -1, v16
	v_cndmask_b32_e64 v14, -1, v14, s[8:9]
	v_xor_b32_e32 v15, v24, v15
	v_xor_b32_e32 v14, v14, v16
	v_cmp_gt_u16_e64 s[8:9], v15, v14
	v_mov_b32_e32 v14, v19
	v_mov_b32_e32 v16, v48
	;; [unrolled: 1-line block ×3, first 2 shown]
	s_and_saveexec_b64 s[22:23], s[8:9]
; %bb.37:
	v_mov_b32_e32 v15, v13
	v_mov_b32_e32 v14, v12
	;; [unrolled: 1-line block ×6, first 2 shown]
; %bb.38:
	s_or_b64 exec, exec, s[22:23]
	v_add_f16_e32 v19, 0, v38
	v_add_f16_e32 v20, 0, v23
	v_mov_b32_e32 v24, 0xffff8000
	v_cmp_lt_i16_e64 s[8:9], -1, v19
	v_cndmask_b32_e64 v39, -1, v24, s[8:9]
	v_cmp_lt_i16_e64 s[8:9], -1, v20
	v_xor_b32_e32 v19, v39, v19
	v_cndmask_b32_e64 v39, -1, v24, s[8:9]
	v_xor_b32_e32 v20, v39, v20
	v_cmp_gt_u16_e64 s[8:9], v19, v20
	v_mov_b32_e32 v19, v21
	v_mov_b32_e32 v20, v22
	;; [unrolled: 1-line block ×3, first 2 shown]
	s_and_saveexec_b64 s[22:23], s[8:9]
; %bb.39:
	v_mov_b32_e32 v20, v18
	v_mov_b32_e32 v19, v17
	;; [unrolled: 1-line block ×6, first 2 shown]
; %bb.40:
	s_or_b64 exec, exec, s[22:23]
	v_add_f16_e32 v21, 0, v36
	v_add_f16_e32 v22, 0, v29
	v_cmp_lt_i16_e64 s[8:9], -1, v21
	v_cndmask_b32_e64 v38, -1, v24, s[8:9]
	v_cmp_lt_i16_e64 s[8:9], -1, v22
	v_cndmask_b32_e64 v24, -1, v24, s[8:9]
	v_xor_b32_e32 v21, v38, v21
	v_xor_b32_e32 v22, v24, v22
	v_cmp_gt_u16_e64 s[8:9], v21, v22
	v_mov_b32_e32 v21, v27
	v_mov_b32_e32 v38, v29
	;; [unrolled: 1-line block ×3, first 2 shown]
	s_and_saveexec_b64 s[22:23], s[8:9]
; %bb.41:
	v_mov_b32_e32 v22, v5
	v_mov_b32_e32 v21, v4
	;; [unrolled: 1-line block ×6, first 2 shown]
; %bb.42:
	s_or_b64 exec, exec, s[22:23]
	v_add_f16_e32 v27, 0, v30
	v_add_f16_e32 v28, 0, v16
	v_mov_b32_e32 v24, 0xffff8000
	v_cmp_lt_i16_e64 s[8:9], -1, v27
	v_cndmask_b32_e64 v29, -1, v24, s[8:9]
	v_cmp_lt_i16_e64 s[8:9], -1, v28
	v_xor_b32_e32 v27, v29, v27
	v_cndmask_b32_e64 v29, -1, v24, s[8:9]
	v_xor_b32_e32 v28, v29, v28
	v_cmp_gt_u16_e64 s[8:9], v27, v28
	v_mov_b32_e32 v28, v13
	v_mov_b32_e32 v29, v16
	;; [unrolled: 1-line block ×3, first 2 shown]
	s_and_saveexec_b64 s[22:23], s[8:9]
; %bb.43:
	v_mov_b32_e32 v28, v26
	v_mov_b32_e32 v27, v25
	;; [unrolled: 1-line block ×6, first 2 shown]
; %bb.44:
	s_or_b64 exec, exec, s[22:23]
	v_add_f16_e32 v12, 0, v51
	v_add_f16_e32 v13, 0, v48
	v_cmp_lt_i16_e64 s[8:9], -1, v12
	v_cndmask_b32_e64 v16, -1, v24, s[8:9]
	v_cmp_lt_i16_e64 s[8:9], -1, v13
	v_xor_b32_e32 v12, v16, v12
	v_cndmask_b32_e64 v16, -1, v24, s[8:9]
	v_xor_b32_e32 v13, v16, v13
	v_cmp_gt_u16_e64 s[8:9], v12, v13
	v_mov_b32_e32 v12, v17
	v_mov_b32_e32 v13, v18
	;; [unrolled: 1-line block ×3, first 2 shown]
	s_and_saveexec_b64 s[22:23], s[8:9]
; %bb.45:
	v_mov_b32_e32 v12, v14
	v_mov_b32_e32 v13, v15
	;; [unrolled: 1-line block ×6, first 2 shown]
; %bb.46:
	s_or_b64 exec, exec, s[22:23]
	v_add_f16_e32 v16, 0, v23
	v_add_f16_e32 v17, 0, v37
	v_mov_b32_e32 v18, 0xffff8000
	v_cmp_lt_i16_e64 s[8:9], -1, v16
	v_cndmask_b32_e64 v24, -1, v18, s[8:9]
	v_cmp_lt_i16_e64 s[8:9], -1, v17
	v_xor_b32_e32 v16, v24, v16
	v_cndmask_b32_e64 v24, -1, v18, s[8:9]
	v_xor_b32_e32 v17, v24, v17
	v_cmp_gt_u16_e64 s[8:9], v16, v17
	v_mov_b32_e32 v17, v9
	v_mov_b32_e32 v16, v8
	;; [unrolled: 1-line block ×3, first 2 shown]
	s_and_saveexec_b64 s[22:23], s[8:9]
; %bb.47:
	v_mov_b32_e32 v16, v19
	v_mov_b32_e32 v17, v20
	v_mov_b32_e32 v20, v9
	v_mov_b32_e32 v19, v8
	v_mov_b32_e32 v51, v37
	v_mov_b32_e32 v37, v23
; %bb.48:
	s_or_b64 exec, exec, s[22:23]
	v_add_f16_e32 v8, 0, v38
	v_add_f16_e32 v9, 0, v30
	v_cmp_lt_i16_e64 s[8:9], -1, v8
	v_cndmask_b32_e64 v23, -1, v18, s[8:9]
	v_cmp_lt_i16_e64 s[8:9], -1, v9
	v_cndmask_b32_e64 v18, -1, v18, s[8:9]
	v_xor_b32_e32 v8, v23, v8
	v_xor_b32_e32 v9, v18, v9
	v_mov_b32_e32 v23, v25
	v_cmp_gt_u16_e64 s[8:9], v8, v9
	v_mov_b32_e32 v18, v30
	v_mov_b32_e32 v24, v26
	s_and_saveexec_b64 s[22:23], s[8:9]
; %bb.49:
	v_mov_b32_e32 v24, v22
	v_mov_b32_e32 v23, v21
	;; [unrolled: 1-line block ×6, first 2 shown]
; %bb.50:
	s_or_b64 exec, exec, s[22:23]
	v_add_f16_e32 v9, 0, v29
	v_add_f16_e32 v25, 0, v50
	v_mov_b32_e32 v8, 0xffff8000
	v_cmp_lt_i16_e64 s[8:9], -1, v9
	v_cndmask_b32_e64 v26, -1, v8, s[8:9]
	v_cmp_lt_i16_e64 s[8:9], -1, v25
	v_xor_b32_e32 v9, v26, v9
	v_cndmask_b32_e64 v26, -1, v8, s[8:9]
	v_xor_b32_e32 v25, v26, v25
	v_cmp_gt_u16_e64 s[8:9], v9, v25
	v_mov_b32_e32 v26, v15
	v_mov_b32_e32 v52, v29
	;; [unrolled: 1-line block ×3, first 2 shown]
	s_and_saveexec_b64 s[22:23], s[8:9]
; %bb.51:
	v_mov_b32_e32 v25, v27
	v_mov_b32_e32 v26, v28
	;; [unrolled: 1-line block ×6, first 2 shown]
; %bb.52:
	s_or_b64 exec, exec, s[22:23]
	v_add_f16_e32 v9, 0, v48
	v_add_f16_e32 v14, 0, v51
	v_cmp_lt_i16_e64 s[8:9], -1, v9
	v_cndmask_b32_e64 v15, -1, v8, s[8:9]
	v_cmp_lt_i16_e64 s[8:9], -1, v14
	v_cndmask_b32_e64 v8, -1, v8, s[8:9]
	v_xor_b32_e32 v9, v15, v9
	v_xor_b32_e32 v8, v8, v14
	v_cmp_gt_u16_e64 s[8:9], v9, v8
	v_mov_b32_e32 v8, v19
	v_mov_b32_e32 v9, v20
	;; [unrolled: 1-line block ×3, first 2 shown]
	s_and_saveexec_b64 s[22:23], s[8:9]
; %bb.53:
	v_mov_b32_e32 v8, v12
	v_mov_b32_e32 v9, v13
	;; [unrolled: 1-line block ×6, first 2 shown]
; %bb.54:
	s_or_b64 exec, exec, s[22:23]
	v_add_f16_e32 v15, 0, v36
	v_add_f16_e32 v19, 0, v38
	v_mov_b32_e32 v14, 0xffff8000
	v_cmp_lt_i16_e64 s[8:9], -1, v15
	v_cndmask_b32_e64 v20, -1, v14, s[8:9]
	v_cmp_lt_i16_e64 s[8:9], -1, v19
	v_xor_b32_e32 v15, v20, v15
	v_cndmask_b32_e64 v20, -1, v14, s[8:9]
	v_xor_b32_e32 v19, v20, v19
	v_mov_b32_e32 v30, v22
	v_cmp_gt_u16_e64 s[8:9], v15, v19
	v_mov_b32_e32 v49, v38
	v_mov_b32_e32 v29, v21
	s_and_saveexec_b64 s[22:23], s[8:9]
; %bb.55:
	v_mov_b32_e32 v30, v5
	v_mov_b32_e32 v29, v4
	;; [unrolled: 1-line block ×6, first 2 shown]
; %bb.56:
	s_or_b64 exec, exec, s[22:23]
	v_add_f16_e32 v15, 0, v18
	v_add_f16_e32 v19, 0, v52
	v_cmp_lt_i16_e64 s[8:9], -1, v15
	v_cndmask_b32_e64 v20, -1, v14, s[8:9]
	v_cmp_lt_i16_e64 s[8:9], -1, v19
	v_cndmask_b32_e64 v14, -1, v14, s[8:9]
	v_xor_b32_e32 v15, v20, v15
	v_xor_b32_e32 v14, v14, v19
	v_cmp_gt_u16_e64 s[8:9], v15, v14
	v_mov_b32_e32 v14, v27
	v_mov_b32_e32 v21, v52
	;; [unrolled: 1-line block ×3, first 2 shown]
	s_and_saveexec_b64 s[22:23], s[8:9]
; %bb.57:
	v_mov_b32_e32 v14, v23
	v_mov_b32_e32 v15, v24
	;; [unrolled: 1-line block ×6, first 2 shown]
; %bb.58:
	s_or_b64 exec, exec, s[22:23]
	v_add_f16_e32 v19, 0, v50
	v_add_f16_e32 v20, 0, v39
	v_mov_b32_e32 v22, 0xffff8000
	v_cmp_lt_i16_e64 s[8:9], -1, v19
	v_cndmask_b32_e64 v27, -1, v22, s[8:9]
	v_cmp_lt_i16_e64 s[8:9], -1, v20
	v_xor_b32_e32 v19, v27, v19
	v_cndmask_b32_e64 v27, -1, v22, s[8:9]
	v_xor_b32_e32 v20, v27, v20
	v_cmp_gt_u16_e64 s[8:9], v19, v20
	v_mov_b32_e32 v20, v13
	v_mov_b32_e32 v19, v12
	;; [unrolled: 1-line block ×3, first 2 shown]
	s_and_saveexec_b64 s[22:23], s[8:9]
; %bb.59:
	v_mov_b32_e32 v19, v25
	v_mov_b32_e32 v20, v26
	;; [unrolled: 1-line block ×6, first 2 shown]
; %bb.60:
	s_or_b64 exec, exec, s[22:23]
	v_add_f16_e32 v12, 0, v51
	v_add_f16_e32 v13, 0, v37
	v_cmp_lt_i16_e64 s[8:9], -1, v12
	v_cndmask_b32_e64 v27, -1, v22, s[8:9]
	v_cmp_lt_i16_e64 s[8:9], -1, v13
	v_cndmask_b32_e64 v22, -1, v22, s[8:9]
	v_xor_b32_e32 v12, v27, v12
	v_xor_b32_e32 v13, v22, v13
	v_cmp_gt_u16_e64 s[8:9], v12, v13
	v_mov_b32_e32 v12, v16
	v_mov_b32_e32 v13, v17
	;; [unrolled: 1-line block ×3, first 2 shown]
	s_and_saveexec_b64 s[22:23], s[8:9]
; %bb.61:
	v_mov_b32_e32 v13, v9
	v_mov_b32_e32 v12, v8
	;; [unrolled: 1-line block ×6, first 2 shown]
; %bb.62:
	s_or_b64 exec, exec, s[22:23]
	v_add_f16_e32 v17, 0, v49
	v_add_f16_e32 v22, 0, v18
	v_mov_b32_e32 v16, 0xffff8000
	v_cmp_lt_i16_e64 s[8:9], -1, v17
	v_cndmask_b32_e64 v27, -1, v16, s[8:9]
	v_cmp_lt_i16_e64 s[8:9], -1, v22
	v_xor_b32_e32 v17, v27, v17
	v_cndmask_b32_e64 v27, -1, v16, s[8:9]
	v_xor_b32_e32 v22, v27, v22
	v_mov_b32_e32 v28, v24
	v_cmp_gt_u16_e64 s[8:9], v17, v22
	v_mov_b32_e32 v51, v18
	v_mov_b32_e32 v27, v23
	s_and_saveexec_b64 s[22:23], s[8:9]
; %bb.63:
	v_mov_b32_e32 v27, v29
	v_mov_b32_e32 v28, v30
	;; [unrolled: 1-line block ×6, first 2 shown]
; %bb.64:
	s_or_b64 exec, exec, s[22:23]
	v_add_f16_e32 v17, 0, v21
	v_add_f16_e32 v18, 0, v52
	v_cmp_lt_i16_e64 s[8:9], -1, v17
	v_cndmask_b32_e64 v22, -1, v16, s[8:9]
	v_cmp_lt_i16_e64 s[8:9], -1, v18
	v_cndmask_b32_e64 v16, -1, v16, s[8:9]
	v_xor_b32_e32 v17, v22, v17
	v_xor_b32_e32 v16, v16, v18
	v_mov_b32_e32 v23, v25
	v_cmp_gt_u16_e64 s[8:9], v17, v16
	v_mov_b32_e32 v16, v21
	v_mov_b32_e32 v24, v26
	s_and_saveexec_b64 s[22:23], s[8:9]
; %bb.65:
	v_mov_b32_e32 v24, v15
	v_mov_b32_e32 v23, v14
	;; [unrolled: 1-line block ×6, first 2 shown]
; %bb.66:
	s_or_b64 exec, exec, s[22:23]
	v_add_f16_e32 v18, 0, v39
	v_add_f16_e32 v21, 0, v50
	v_mov_b32_e32 v17, 0xffff8000
	v_cmp_lt_i16_e64 s[8:9], -1, v18
	v_cndmask_b32_e64 v22, -1, v17, s[8:9]
	v_cmp_lt_i16_e64 s[8:9], -1, v21
	v_xor_b32_e32 v18, v22, v18
	v_cndmask_b32_e64 v22, -1, v17, s[8:9]
	v_xor_b32_e32 v21, v22, v21
	v_cmp_gt_u16_e64 s[8:9], v18, v21
	v_mov_b32_e32 v22, v9
	v_mov_b32_e32 v21, v8
	;; [unrolled: 1-line block ×3, first 2 shown]
	s_and_saveexec_b64 s[22:23], s[8:9]
; %bb.67:
	v_mov_b32_e32 v22, v20
	v_mov_b32_e32 v21, v19
	;; [unrolled: 1-line block ×6, first 2 shown]
; %bb.68:
	s_or_b64 exec, exec, s[22:23]
	v_add_f16_e32 v8, 0, v36
	v_add_f16_e32 v9, 0, v49
	v_cmp_lt_i16_e64 s[8:9], -1, v8
	v_cndmask_b32_e64 v18, -1, v17, s[8:9]
	v_cmp_lt_i16_e64 s[8:9], -1, v9
	v_cndmask_b32_e64 v17, -1, v17, s[8:9]
	v_xor_b32_e32 v8, v18, v8
	v_xor_b32_e32 v9, v17, v9
	v_cmp_gt_u16_e64 s[8:9], v8, v9
	v_mov_b32_e32 v8, v29
	v_mov_b32_e32 v48, v49
	;; [unrolled: 1-line block ×3, first 2 shown]
	s_and_saveexec_b64 s[22:23], s[8:9]
; %bb.69:
	v_mov_b32_e32 v9, v5
	v_mov_b32_e32 v8, v4
	;; [unrolled: 1-line block ×6, first 2 shown]
; %bb.70:
	s_or_b64 exec, exec, s[22:23]
	v_add_f16_e32 v17, 0, v51
	v_add_f16_e32 v18, 0, v16
	v_mov_b32_e32 v25, 0xffff8000
	v_cmp_lt_i16_e64 s[8:9], -1, v17
	v_cndmask_b32_e64 v26, -1, v25, s[8:9]
	v_cmp_lt_i16_e64 s[8:9], -1, v18
	v_xor_b32_e32 v17, v26, v17
	v_cndmask_b32_e64 v26, -1, v25, s[8:9]
	v_xor_b32_e32 v18, v26, v18
	v_cmp_gt_u16_e64 s[8:9], v17, v18
	v_mov_b32_e32 v18, v15
	v_mov_b32_e32 v53, v16
	;; [unrolled: 1-line block ×3, first 2 shown]
	s_and_saveexec_b64 s[22:23], s[8:9]
; %bb.71:
	v_mov_b32_e32 v17, v27
	v_mov_b32_e32 v18, v28
	v_mov_b32_e32 v28, v15
	v_mov_b32_e32 v53, v51
	v_mov_b32_e32 v51, v16
	v_mov_b32_e32 v27, v14
; %bb.72:
	s_or_b64 exec, exec, s[22:23]
	v_add_f16_e32 v14, 0, v52
	v_add_f16_e32 v15, 0, v38
	v_cmp_lt_i16_e64 s[8:9], -1, v14
	v_cndmask_b32_e64 v16, -1, v25, s[8:9]
	v_cmp_lt_i16_e64 s[8:9], -1, v15
	v_xor_b32_e32 v14, v16, v14
	v_cndmask_b32_e64 v16, -1, v25, s[8:9]
	v_xor_b32_e32 v15, v16, v15
	v_mov_b32_e32 v30, v20
	v_cmp_gt_u16_e64 s[8:9], v14, v15
	v_mov_b32_e32 v29, v19
	v_mov_b32_e32 v39, v52
	s_and_saveexec_b64 s[22:23], s[8:9]
; %bb.73:
	v_mov_b32_e32 v30, v24
	v_mov_b32_e32 v29, v23
	v_mov_b32_e32 v24, v20
	v_mov_b32_e32 v23, v19
	v_mov_b32_e32 v39, v38
	v_mov_b32_e32 v38, v52
; %bb.74:
	s_or_b64 exec, exec, s[22:23]
	v_add_f16_e32 v14, 0, v50
	v_add_f16_e32 v16, 0, v37
	v_mov_b32_e32 v15, 0xffff8000
	v_cmp_lt_i16_e64 s[8:9], -1, v14
	v_cndmask_b32_e64 v19, -1, v15, s[8:9]
	v_cmp_lt_i16_e64 s[8:9], -1, v16
	v_xor_b32_e32 v14, v19, v14
	v_cndmask_b32_e64 v19, -1, v15, s[8:9]
	v_xor_b32_e32 v16, v19, v16
	v_mov_b32_e32 v26, v13
	v_cmp_gt_u16_e64 s[8:9], v14, v16
	v_mov_b32_e32 v25, v12
	v_mov_b32_e32 v14, v50
	s_and_saveexec_b64 s[22:23], s[8:9]
; %bb.75:
	v_mov_b32_e32 v26, v22
	v_mov_b32_e32 v25, v21
	;; [unrolled: 1-line block ×6, first 2 shown]
; %bb.76:
	s_or_b64 exec, exec, s[22:23]
	v_add_f16_e32 v12, 0, v48
	v_add_f16_e32 v13, 0, v51
	v_cmp_lt_i16_e64 s[8:9], -1, v12
	v_cndmask_b32_e64 v16, -1, v15, s[8:9]
	v_cmp_lt_i16_e64 s[8:9], -1, v13
	v_cndmask_b32_e64 v15, -1, v15, s[8:9]
	v_xor_b32_e32 v12, v16, v12
	v_xor_b32_e32 v13, v15, v13
	v_mov_b32_e32 v15, v27
	v_cmp_gt_u16_e64 s[8:9], v12, v13
	v_mov_b32_e32 v49, v51
	v_mov_b32_e32 v16, v28
	s_and_saveexec_b64 s[22:23], s[8:9]
; %bb.77:
	v_mov_b32_e32 v16, v9
	v_mov_b32_e32 v15, v8
	;; [unrolled: 1-line block ×6, first 2 shown]
; %bb.78:
	s_or_b64 exec, exec, s[22:23]
	v_add_f16_e32 v13, 0, v53
	v_add_f16_e32 v19, 0, v39
	v_mov_b32_e32 v12, 0xffff8000
	v_cmp_lt_i16_e64 s[8:9], -1, v13
	v_cndmask_b32_e64 v20, -1, v12, s[8:9]
	v_cmp_lt_i16_e64 s[8:9], -1, v19
	v_xor_b32_e32 v13, v20, v13
	v_cndmask_b32_e64 v20, -1, v12, s[8:9]
	v_xor_b32_e32 v19, v20, v19
	v_cmp_gt_u16_e64 s[8:9], v13, v19
	v_mov_b32_e32 v19, v23
	v_mov_b32_e32 v51, v53
	;; [unrolled: 1-line block ×3, first 2 shown]
	s_and_saveexec_b64 s[22:23], s[8:9]
; %bb.79:
	v_mov_b32_e32 v20, v18
	v_mov_b32_e32 v19, v17
	;; [unrolled: 1-line block ×6, first 2 shown]
; %bb.80:
	s_or_b64 exec, exec, s[22:23]
	v_add_f16_e32 v13, 0, v38
	v_add_f16_e32 v23, 0, v14
	v_cmp_lt_i16_e64 s[8:9], -1, v13
	v_cndmask_b32_e64 v24, -1, v12, s[8:9]
	v_cmp_lt_i16_e64 s[8:9], -1, v23
	v_cndmask_b32_e64 v12, -1, v12, s[8:9]
	v_xor_b32_e32 v13, v24, v13
	v_xor_b32_e32 v12, v12, v23
	v_mov_b32_e32 v23, v29
	v_cmp_gt_u16_e64 s[8:9], v13, v12
	v_mov_b32_e32 v50, v14
	v_mov_b32_e32 v24, v30
	s_and_saveexec_b64 s[22:23], s[8:9]
; %bb.81:
	v_mov_b32_e32 v24, v22
	v_mov_b32_e32 v23, v21
	;; [unrolled: 1-line block ×6, first 2 shown]
; %bb.82:
	s_or_b64 exec, exec, s[22:23]
.LBB1856_83:
	s_or_b64 exec, exec, s[12:13]
	v_and_b32_e32 v27, 0xfffffe00, v31
	v_lshlrev_b32_e32 v14, 1, v27
	s_movk_i32 s12, 0x800
	v_mad_u64_u32 v[12:13], s[8:9], v27, 6, v[14:15]
	v_sub_u32_e64 v13, s12, v27 clamp
	v_or_b32_e32 v29, 8, v35
	v_min_u32_e32 v29, v13, v29
	v_add_u32_e32 v30, 8, v29
	v_and_b32_e32 v31, 0x3f0, v35
	v_min_u32_e32 v30, v13, v30
	v_and_b32_e32 v52, 8, v35
	v_min_u32_e32 v55, v13, v52
	v_sub_u32_e32 v54, v29, v31
	v_sub_u32_e32 v53, v30, v29
	v_sub_u32_e64 v53, v55, v53 clamp
	v_min_u32_e32 v54, v55, v54
	v_lshl_add_u32 v27, v35, 1, v14
	v_lshl_add_u32 v28, v35, 3, v12
	;; [unrolled: 1-line block ×3, first 2 shown]
	v_cmp_lt_u32_e64 s[8:9], v53, v54
	ds_write_b16 v27, v36
	ds_write_b64 v28, v[4:5] offset:4096
	ds_write_b16 v27, v48 offset:2
	ds_write_b64 v28, v[8:9] offset:4104
	ds_write_b16 v27, v49 offset:4
	;; [unrolled: 2-line block ×7, first 2 shown]
	ds_write_b64 v28, v[25:26] offset:4152
	; wave barrier
	s_and_saveexec_b64 s[12:13], s[8:9]
	s_cbranch_execz .LBB1856_87
; %bb.84:
	v_lshlrev_b32_e32 v64, 1, v29
	v_lshlrev_b32_e32 v65, 1, v55
	v_add3_u32 v64, v14, v64, v65
	s_mov_b64 s[22:23], 0
	v_mov_b32_e32 v65, 0xffff8000
.LBB1856_85:                            ; =>This Inner Loop Header: Depth=1
	v_add_u32_e32 v66, v54, v53
	v_lshrrev_b32_e32 v67, 1, v66
	v_and_b32_e32 v66, -2, v66
	v_not_b32_e32 v68, v67
	v_add_u32_e32 v66, v52, v66
	v_lshl_add_u32 v68, v68, 1, v64
	ds_read_u16 v66, v66
	ds_read_u16 v68, v68
	v_add_u32_e32 v69, 1, v67
	s_waitcnt lgkmcnt(1)
	v_add_f16_e32 v66, 0, v66
	s_waitcnt lgkmcnt(0)
	v_add_f16_e32 v68, 0, v68
	v_cmp_lt_i16_e64 s[8:9], -1, v66
	v_cndmask_b32_e64 v70, -1, v65, s[8:9]
	v_cmp_lt_i16_e64 s[8:9], -1, v68
	v_xor_b32_e32 v66, v70, v66
	v_cndmask_b32_e64 v70, -1, v65, s[8:9]
	v_xor_b32_e32 v68, v70, v68
	v_cmp_gt_u16_e64 s[8:9], v66, v68
	v_cndmask_b32_e64 v54, v54, v67, s[8:9]
	v_cndmask_b32_e64 v53, v69, v53, s[8:9]
	v_cmp_ge_u32_e64 s[8:9], v53, v54
	s_or_b64 s[22:23], s[8:9], s[22:23]
	s_andn2_b64 exec, exec, s[22:23]
	s_cbranch_execnz .LBB1856_85
; %bb.86:
	s_or_b64 exec, exec, s[22:23]
.LBB1856_87:
	s_or_b64 exec, exec, s[12:13]
	v_add_u32_e32 v54, v53, v31
	v_add_u32_e32 v31, v29, v55
	v_sub_u32_e32 v55, v31, v53
	v_cmp_le_u32_e64 s[8:9], v54, v29
	v_cmp_le_u32_e64 s[12:13], v55, v30
	s_or_b64 s[8:9], s[8:9], s[12:13]
	s_and_saveexec_b64 s[22:23], s[8:9]
	s_cbranch_execz .LBB1856_123
; %bb.88:
	v_cmp_ge_u32_e64 s[8:9], v54, v29
	v_cmp_lt_u32_e64 s[12:13], v54, v29
                                        ; implicit-def: $vgpr31
	s_and_saveexec_b64 s[24:25], s[12:13]
; %bb.89:
	v_lshl_add_u32 v4, v53, 1, v52
	ds_read_u16 v31, v4
; %bb.90:
	s_or_b64 exec, exec, s[24:25]
	v_cmp_ge_u32_e64 s[24:25], v55, v30
	v_cmp_lt_u32_e64 s[12:13], v55, v30
                                        ; implicit-def: $vgpr36
	s_and_saveexec_b64 s[26:27], s[12:13]
; %bb.91:
	v_lshl_add_u32 v4, v55, 1, v14
	ds_read_u16 v36, v4
; %bb.92:
	s_or_b64 exec, exec, s[26:27]
	s_nor_b64 s[8:9], s[8:9], s[24:25]
	s_and_saveexec_b64 s[12:13], s[8:9]
	s_cbranch_execz .LBB1856_94
; %bb.93:
	s_waitcnt lgkmcnt(0)
	v_add_f16_e32 v4, 0, v31
	v_add_f16_e32 v5, 0, v36
	v_mov_b32_e32 v8, 0xffff8000
	v_cmp_lt_i16_e64 s[8:9], -1, v4
	v_cndmask_b32_e64 v9, -1, v8, s[8:9]
	v_cmp_lt_i16_e64 s[8:9], -1, v5
	v_cndmask_b32_e64 v8, -1, v8, s[8:9]
	v_xor_b32_e32 v4, v9, v4
	v_xor_b32_e32 v5, v8, v5
	v_cmp_le_u16_e64 s[8:9], v4, v5
	s_andn2_b64 s[24:25], s[24:25], exec
	s_and_b64 s[8:9], s[8:9], exec
	s_or_b64 s[24:25], s[24:25], s[8:9]
.LBB1856_94:
	s_or_b64 exec, exec, s[12:13]
	v_cndmask_b32_e64 v4, v55, v54, s[24:25]
	v_cndmask_b32_e64 v5, v30, v29, s[24:25]
	v_add_u32_e32 v8, 1, v4
	v_add_u32_e32 v5, -1, v5
	v_min_u32_e32 v5, v8, v5
	v_lshl_add_u32 v5, v5, 1, v14
	ds_read_u16 v9, v5
	v_lshl_add_u32 v4, v4, 3, v12
	ds_read_b64 v[4:5], v4 offset:4096
	v_cndmask_b32_e64 v15, v8, v55, s[24:25]
	v_cndmask_b32_e64 v16, v54, v8, s[24:25]
	s_waitcnt lgkmcnt(1)
	v_cndmask_b32_e64 v37, v9, v36, s[24:25]
	v_cndmask_b32_e64 v48, v31, v9, s[24:25]
	v_cmp_lt_u32_e64 s[8:9], v15, v30
	s_mov_b64 s[26:27], -1
	s_mov_b64 s[12:13], -1
	s_and_saveexec_b64 s[28:29], s[8:9]
	s_cbranch_execz .LBB1856_98
; %bb.95:
	v_cmp_lt_u32_e64 s[8:9], v16, v29
	s_mov_b64 s[40:41], 0
	s_and_saveexec_b64 s[12:13], s[8:9]
	s_cbranch_execz .LBB1856_97
; %bb.96:
	v_add_f16_e32 v8, 0, v48
	v_add_f16_e32 v9, 0, v37
	v_mov_b32_e32 v17, 0xffff8000
	v_cmp_lt_i16_e64 s[8:9], -1, v8
	v_cndmask_b32_e64 v18, -1, v17, s[8:9]
	v_cmp_lt_i16_e64 s[8:9], -1, v9
	v_cndmask_b32_e64 v17, -1, v17, s[8:9]
	v_xor_b32_e32 v8, v18, v8
	v_xor_b32_e32 v9, v17, v9
	v_cmp_le_u16_e64 s[8:9], v8, v9
	s_and_b64 s[40:41], s[8:9], exec
.LBB1856_97:
	s_or_b64 exec, exec, s[12:13]
	s_orn2_b64 s[12:13], s[40:41], exec
.LBB1856_98:
	s_or_b64 exec, exec, s[28:29]
	v_cndmask_b32_e64 v8, v15, v16, s[12:13]
	v_cndmask_b32_e64 v9, v30, v29, s[12:13]
	v_add_u32_e32 v18, 1, v8
	v_add_u32_e32 v9, -1, v9
	v_min_u32_e32 v9, v18, v9
	v_lshl_add_u32 v9, v9, 1, v14
	ds_read_u16 v17, v9
	v_lshl_add_u32 v8, v8, 3, v12
	ds_read_b64 v[8:9], v8 offset:4096
	s_waitcnt lgkmcnt(1)
	v_cndmask_b32_e64 v49, v17, v37, s[12:13]
	v_cndmask_b32_e64 v52, v48, v17, s[12:13]
	;; [unrolled: 1-line block ×4, first 2 shown]
	v_cmp_lt_u32_e64 s[8:9], v17, v30
	s_and_saveexec_b64 s[28:29], s[8:9]
	s_cbranch_execz .LBB1856_102
; %bb.99:
	v_cmp_lt_u32_e64 s[8:9], v18, v29
	s_mov_b64 s[40:41], 0
	s_and_saveexec_b64 s[26:27], s[8:9]
	s_cbranch_execz .LBB1856_101
; %bb.100:
	v_add_f16_e32 v15, 0, v52
	v_add_f16_e32 v16, 0, v49
	v_mov_b32_e32 v19, 0xffff8000
	v_cmp_lt_i16_e64 s[8:9], -1, v15
	v_cndmask_b32_e64 v20, -1, v19, s[8:9]
	v_cmp_lt_i16_e64 s[8:9], -1, v16
	v_cndmask_b32_e64 v19, -1, v19, s[8:9]
	v_xor_b32_e32 v15, v20, v15
	v_xor_b32_e32 v16, v19, v16
	v_cmp_le_u16_e64 s[8:9], v15, v16
	s_and_b64 s[40:41], s[8:9], exec
.LBB1856_101:
	s_or_b64 exec, exec, s[26:27]
	s_orn2_b64 s[26:27], s[40:41], exec
.LBB1856_102:
	s_or_b64 exec, exec, s[28:29]
	v_cndmask_b32_e64 v15, v17, v18, s[26:27]
	v_cndmask_b32_e64 v16, v30, v29, s[26:27]
	v_add_u32_e32 v20, 1, v15
	v_add_u32_e32 v16, -1, v16
	v_min_u32_e32 v16, v20, v16
	v_lshl_add_u32 v16, v16, 1, v14
	ds_read_u16 v19, v16
	v_lshl_add_u32 v15, v15, 3, v12
	ds_read_b64 v[15:16], v15 offset:4096
	s_mov_b64 s[40:41], -1
	s_mov_b64 s[28:29], -1
	s_waitcnt lgkmcnt(1)
	v_cndmask_b32_e64 v25, v19, v49, s[26:27]
	v_cndmask_b32_e64 v26, v52, v19, s[26:27]
	;; [unrolled: 1-line block ×4, first 2 shown]
	v_cmp_lt_u32_e64 s[8:9], v19, v30
	s_and_saveexec_b64 s[42:43], s[8:9]
	s_cbranch_execz .LBB1856_106
; %bb.103:
	v_cmp_lt_u32_e64 s[8:9], v20, v29
	s_mov_b64 s[44:45], 0
	s_and_saveexec_b64 s[28:29], s[8:9]
	s_cbranch_execz .LBB1856_105
; %bb.104:
	v_add_f16_e32 v17, 0, v26
	v_add_f16_e32 v18, 0, v25
	v_mov_b32_e32 v21, 0xffff8000
	v_cmp_lt_i16_e64 s[8:9], -1, v17
	v_cndmask_b32_e64 v22, -1, v21, s[8:9]
	v_cmp_lt_i16_e64 s[8:9], -1, v18
	v_cndmask_b32_e64 v21, -1, v21, s[8:9]
	v_xor_b32_e32 v17, v22, v17
	v_xor_b32_e32 v18, v21, v18
	v_cmp_le_u16_e64 s[8:9], v17, v18
	s_and_b64 s[44:45], s[8:9], exec
.LBB1856_105:
	s_or_b64 exec, exec, s[28:29]
	s_orn2_b64 s[28:29], s[44:45], exec
.LBB1856_106:
	s_or_b64 exec, exec, s[42:43]
	v_cndmask_b32_e64 v17, v19, v20, s[28:29]
	v_cndmask_b32_e64 v18, v30, v29, s[28:29]
	v_add_u32_e32 v22, 1, v17
	v_add_u32_e32 v18, -1, v18
	v_min_u32_e32 v18, v22, v18
	v_lshl_add_u32 v18, v18, 1, v14
	ds_read_u16 v21, v18
	v_lshl_add_u32 v17, v17, 3, v12
	ds_read_b64 v[17:18], v17 offset:4096
	s_waitcnt lgkmcnt(1)
	v_cndmask_b32_e64 v39, v21, v25, s[28:29]
	v_cndmask_b32_e64 v51, v26, v21, s[28:29]
	;; [unrolled: 1-line block ×4, first 2 shown]
	v_cmp_lt_u32_e64 s[8:9], v21, v30
	s_and_saveexec_b64 s[42:43], s[8:9]
	s_cbranch_execz .LBB1856_110
; %bb.107:
	v_cmp_lt_u32_e64 s[8:9], v22, v29
	s_mov_b64 s[44:45], 0
	s_and_saveexec_b64 s[40:41], s[8:9]
	s_cbranch_execz .LBB1856_109
; %bb.108:
	v_add_f16_e32 v19, 0, v51
	v_add_f16_e32 v20, 0, v39
	v_mov_b32_e32 v23, 0xffff8000
	v_cmp_lt_i16_e64 s[8:9], -1, v19
	v_cndmask_b32_e64 v24, -1, v23, s[8:9]
	v_cmp_lt_i16_e64 s[8:9], -1, v20
	v_cndmask_b32_e64 v23, -1, v23, s[8:9]
	v_xor_b32_e32 v19, v24, v19
	v_xor_b32_e32 v20, v23, v20
	v_cmp_le_u16_e64 s[8:9], v19, v20
	s_and_b64 s[44:45], s[8:9], exec
.LBB1856_109:
	s_or_b64 exec, exec, s[40:41]
	s_orn2_b64 s[40:41], s[44:45], exec
.LBB1856_110:
	s_or_b64 exec, exec, s[42:43]
	v_cndmask_b32_e64 v19, v21, v22, s[40:41]
	v_cndmask_b32_e64 v20, v30, v29, s[40:41]
	v_add_u32_e32 v23, 1, v19
	v_add_u32_e32 v20, -1, v20
	v_min_u32_e32 v20, v23, v20
	v_lshl_add_u32 v20, v20, 1, v14
	ds_read_u16 v24, v20
	v_lshl_add_u32 v19, v19, 3, v12
	ds_read_b64 v[19:20], v19 offset:4096
	v_cndmask_b32_e64 v21, v23, v21, s[40:41]
	v_cndmask_b32_e64 v22, v22, v23, s[40:41]
	s_waitcnt lgkmcnt(1)
	v_cndmask_b32_e64 v38, v24, v39, s[40:41]
	v_cndmask_b32_e64 v53, v51, v24, s[40:41]
	v_cmp_lt_u32_e64 s[8:9], v21, v30
	s_mov_b64 s[44:45], -1
	s_mov_b64 s[42:43], -1
	s_and_saveexec_b64 s[46:47], s[8:9]
	s_cbranch_execz .LBB1856_114
; %bb.111:
	v_cmp_lt_u32_e64 s[8:9], v22, v29
	s_mov_b64 s[56:57], 0
	s_and_saveexec_b64 s[42:43], s[8:9]
	s_cbranch_execz .LBB1856_113
; %bb.112:
	v_add_f16_e32 v23, 0, v53
	v_add_f16_e32 v24, 0, v38
	v_mov_b32_e32 v50, 0xffff8000
	v_cmp_lt_i16_e64 s[8:9], -1, v23
	v_cndmask_b32_e64 v54, -1, v50, s[8:9]
	v_cmp_lt_i16_e64 s[8:9], -1, v24
	v_cndmask_b32_e64 v50, -1, v50, s[8:9]
	v_xor_b32_e32 v23, v54, v23
	v_xor_b32_e32 v24, v50, v24
	v_cmp_le_u16_e64 s[8:9], v23, v24
	s_and_b64 s[56:57], s[8:9], exec
.LBB1856_113:
	s_or_b64 exec, exec, s[42:43]
	s_orn2_b64 s[42:43], s[56:57], exec
.LBB1856_114:
	s_or_b64 exec, exec, s[46:47]
	v_cndmask_b32_e64 v23, v21, v22, s[42:43]
	v_cndmask_b32_e64 v24, v30, v29, s[42:43]
	v_add_u32_e32 v55, 1, v23
	v_add_u32_e32 v24, -1, v24
	v_min_u32_e32 v24, v55, v24
	v_lshl_add_u32 v24, v24, 1, v14
	ds_read_u16 v54, v24
	v_lshl_add_u32 v23, v23, 3, v12
	ds_read_b64 v[23:24], v23 offset:4096
	v_cndmask_b32_e64 v65, v55, v21, s[42:43]
	v_cndmask_b32_e64 v66, v22, v55, s[42:43]
	s_waitcnt lgkmcnt(1)
	v_cndmask_b32_e64 v50, v54, v38, s[42:43]
	v_cndmask_b32_e64 v54, v53, v54, s[42:43]
	v_cmp_lt_u32_e64 s[8:9], v65, v30
	s_and_saveexec_b64 s[46:47], s[8:9]
	s_cbranch_execz .LBB1856_118
; %bb.115:
	v_cmp_lt_u32_e64 s[8:9], v66, v29
	s_mov_b64 s[56:57], 0
	s_and_saveexec_b64 s[44:45], s[8:9]
	s_cbranch_execz .LBB1856_117
; %bb.116:
	v_add_f16_e32 v21, 0, v54
	v_add_f16_e32 v22, 0, v50
	v_mov_b32_e32 v55, 0xffff8000
	v_cmp_lt_i16_e64 s[8:9], -1, v21
	v_cndmask_b32_e64 v64, -1, v55, s[8:9]
	v_cmp_lt_i16_e64 s[8:9], -1, v22
	v_cndmask_b32_e64 v55, -1, v55, s[8:9]
	v_xor_b32_e32 v21, v64, v21
	v_xor_b32_e32 v22, v55, v22
	v_cmp_le_u16_e64 s[8:9], v21, v22
	s_and_b64 s[56:57], s[8:9], exec
.LBB1856_117:
	s_or_b64 exec, exec, s[44:45]
	s_orn2_b64 s[44:45], s[56:57], exec
.LBB1856_118:
	s_or_b64 exec, exec, s[46:47]
	v_cndmask_b32_e64 v21, v65, v66, s[44:45]
	v_cndmask_b32_e64 v22, v30, v29, s[44:45]
	v_add_u32_e32 v67, 1, v21
	v_add_u32_e32 v22, -1, v22
	v_min_u32_e32 v22, v67, v22
	v_lshl_add_u32 v22, v22, 1, v14
	ds_read_u16 v64, v22
	v_lshl_add_u32 v21, v21, 3, v12
	ds_read_b64 v[21:22], v21 offset:4096
	v_cndmask_b32_e64 v65, v67, v65, s[44:45]
	v_cndmask_b32_e64 v66, v66, v67, s[44:45]
	s_waitcnt lgkmcnt(1)
	v_cndmask_b32_e64 v55, v64, v50, s[44:45]
	v_cndmask_b32_e64 v64, v54, v64, s[44:45]
	v_cmp_lt_u32_e64 s[8:9], v65, v30
	s_mov_b64 s[56:57], -1
	s_and_saveexec_b64 s[46:47], s[8:9]
	s_cbranch_execz .LBB1856_122
; %bb.119:
	v_cmp_lt_u32_e64 s[8:9], v66, v29
	s_mov_b64 s[58:59], 0
	s_and_saveexec_b64 s[56:57], s[8:9]
	s_cbranch_execz .LBB1856_121
; %bb.120:
	v_add_f16_e32 v29, 0, v64
	v_add_f16_e32 v30, 0, v55
	v_mov_b32_e32 v67, 0xffff8000
	v_cmp_lt_i16_e64 s[8:9], -1, v29
	v_cndmask_b32_e64 v68, -1, v67, s[8:9]
	v_cmp_lt_i16_e64 s[8:9], -1, v30
	v_cndmask_b32_e64 v67, -1, v67, s[8:9]
	v_xor_b32_e32 v29, v68, v29
	v_xor_b32_e32 v30, v67, v30
	v_cmp_le_u16_e64 s[8:9], v29, v30
	s_and_b64 s[58:59], s[8:9], exec
.LBB1856_121:
	s_or_b64 exec, exec, s[56:57]
	s_orn2_b64 s[56:57], s[58:59], exec
.LBB1856_122:
	s_or_b64 exec, exec, s[46:47]
	v_cndmask_b32_e64 v39, v39, v51, s[40:41]
	v_cndmask_b32_e64 v51, v25, v26, s[28:29]
	;; [unrolled: 1-line block ×3, first 2 shown]
	v_lshl_add_u32 v25, v25, 3, v12
	ds_read_b64 v[25:26], v25 offset:4096
	v_cndmask_b32_e64 v50, v50, v54, s[44:45]
	v_cndmask_b32_e64 v38, v38, v53, s[42:43]
	;; [unrolled: 1-line block ×6, first 2 shown]
.LBB1856_123:
	s_or_b64 exec, exec, s[22:23]
	v_and_b32_e32 v31, 0x3e0, v35
	v_or_b32_e32 v29, 16, v31
	v_min_u32_e32 v29, v13, v29
	v_add_u32_e32 v30, 16, v29
	v_min_u32_e32 v30, v13, v30
	v_and_b32_e32 v52, 24, v35
	v_min_u32_e32 v55, v13, v52
	v_sub_u32_e32 v54, v29, v31
	v_sub_u32_e32 v53, v30, v29
	v_sub_u32_e64 v53, v55, v53 clamp
	v_min_u32_e32 v54, v55, v54
	v_lshl_add_u32 v52, v31, 1, v14
	v_cmp_lt_u32_e64 s[8:9], v53, v54
	; wave barrier
	ds_write_b16 v27, v36
	ds_write_b64 v28, v[4:5] offset:4096
	ds_write_b16 v27, v48 offset:2
	ds_write_b64 v28, v[8:9] offset:4104
	ds_write_b16 v27, v49 offset:4
	;; [unrolled: 2-line block ×6, first 2 shown]
	s_waitcnt lgkmcnt(14)
	ds_write_b64 v28, v[21:22] offset:4144
	ds_write_b16 v27, v37 offset:14
	s_waitcnt lgkmcnt(14)
	ds_write_b64 v28, v[25:26] offset:4152
	; wave barrier
	s_and_saveexec_b64 s[12:13], s[8:9]
	s_cbranch_execz .LBB1856_127
; %bb.124:
	v_lshlrev_b32_e32 v64, 1, v29
	v_lshlrev_b32_e32 v65, 1, v55
	v_add3_u32 v64, v14, v64, v65
	s_mov_b64 s[22:23], 0
	v_mov_b32_e32 v65, 0xffff8000
.LBB1856_125:                           ; =>This Inner Loop Header: Depth=1
	v_add_u32_e32 v66, v54, v53
	v_lshrrev_b32_e32 v67, 1, v66
	v_and_b32_e32 v66, -2, v66
	v_not_b32_e32 v68, v67
	v_add_u32_e32 v66, v52, v66
	v_lshl_add_u32 v68, v68, 1, v64
	ds_read_u16 v66, v66
	ds_read_u16 v68, v68
	v_add_u32_e32 v69, 1, v67
	s_waitcnt lgkmcnt(1)
	v_add_f16_e32 v66, 0, v66
	s_waitcnt lgkmcnt(0)
	v_add_f16_e32 v68, 0, v68
	v_cmp_lt_i16_e64 s[8:9], -1, v66
	v_cndmask_b32_e64 v70, -1, v65, s[8:9]
	v_cmp_lt_i16_e64 s[8:9], -1, v68
	v_xor_b32_e32 v66, v70, v66
	v_cndmask_b32_e64 v70, -1, v65, s[8:9]
	v_xor_b32_e32 v68, v70, v68
	v_cmp_gt_u16_e64 s[8:9], v66, v68
	v_cndmask_b32_e64 v54, v54, v67, s[8:9]
	v_cndmask_b32_e64 v53, v69, v53, s[8:9]
	v_cmp_ge_u32_e64 s[8:9], v53, v54
	s_or_b64 s[22:23], s[8:9], s[22:23]
	s_andn2_b64 exec, exec, s[22:23]
	s_cbranch_execnz .LBB1856_125
; %bb.126:
	s_or_b64 exec, exec, s[22:23]
.LBB1856_127:
	s_or_b64 exec, exec, s[12:13]
	v_add_u32_e32 v54, v53, v31
	v_add_u32_e32 v31, v29, v55
	v_sub_u32_e32 v55, v31, v53
	v_cmp_le_u32_e64 s[8:9], v54, v29
	v_cmp_le_u32_e64 s[12:13], v55, v30
	s_or_b64 s[8:9], s[8:9], s[12:13]
	s_and_saveexec_b64 s[22:23], s[8:9]
	s_cbranch_execz .LBB1856_163
; %bb.128:
	v_cmp_ge_u32_e64 s[8:9], v54, v29
	v_cmp_lt_u32_e64 s[12:13], v54, v29
                                        ; implicit-def: $vgpr31
	s_and_saveexec_b64 s[24:25], s[12:13]
; %bb.129:
	v_lshl_add_u32 v4, v53, 1, v52
	ds_read_u16 v31, v4
; %bb.130:
	s_or_b64 exec, exec, s[24:25]
	v_cmp_ge_u32_e64 s[24:25], v55, v30
	v_cmp_lt_u32_e64 s[12:13], v55, v30
                                        ; implicit-def: $vgpr36
	s_and_saveexec_b64 s[26:27], s[12:13]
; %bb.131:
	v_lshl_add_u32 v4, v55, 1, v14
	ds_read_u16 v36, v4
; %bb.132:
	s_or_b64 exec, exec, s[26:27]
	s_nor_b64 s[8:9], s[8:9], s[24:25]
	s_and_saveexec_b64 s[12:13], s[8:9]
	s_cbranch_execz .LBB1856_134
; %bb.133:
	s_waitcnt lgkmcnt(0)
	v_add_f16_e32 v4, 0, v31
	v_add_f16_e32 v5, 0, v36
	v_mov_b32_e32 v8, 0xffff8000
	v_cmp_lt_i16_e64 s[8:9], -1, v4
	v_cndmask_b32_e64 v9, -1, v8, s[8:9]
	v_cmp_lt_i16_e64 s[8:9], -1, v5
	v_cndmask_b32_e64 v8, -1, v8, s[8:9]
	v_xor_b32_e32 v4, v9, v4
	v_xor_b32_e32 v5, v8, v5
	v_cmp_le_u16_e64 s[8:9], v4, v5
	s_andn2_b64 s[24:25], s[24:25], exec
	s_and_b64 s[8:9], s[8:9], exec
	s_or_b64 s[24:25], s[24:25], s[8:9]
.LBB1856_134:
	s_or_b64 exec, exec, s[12:13]
	v_cndmask_b32_e64 v4, v55, v54, s[24:25]
	v_cndmask_b32_e64 v5, v30, v29, s[24:25]
	v_add_u32_e32 v8, 1, v4
	v_add_u32_e32 v5, -1, v5
	v_min_u32_e32 v5, v8, v5
	v_lshl_add_u32 v5, v5, 1, v14
	ds_read_u16 v9, v5
	v_lshl_add_u32 v4, v4, 3, v12
	ds_read_b64 v[4:5], v4 offset:4096
	v_cndmask_b32_e64 v15, v8, v55, s[24:25]
	v_cndmask_b32_e64 v16, v54, v8, s[24:25]
	s_waitcnt lgkmcnt(1)
	v_cndmask_b32_e64 v37, v9, v36, s[24:25]
	v_cndmask_b32_e64 v48, v31, v9, s[24:25]
	v_cmp_lt_u32_e64 s[8:9], v15, v30
	s_mov_b64 s[26:27], -1
	s_mov_b64 s[12:13], -1
	s_and_saveexec_b64 s[28:29], s[8:9]
	s_cbranch_execz .LBB1856_138
; %bb.135:
	v_cmp_lt_u32_e64 s[8:9], v16, v29
	s_mov_b64 s[40:41], 0
	s_and_saveexec_b64 s[12:13], s[8:9]
	s_cbranch_execz .LBB1856_137
; %bb.136:
	v_add_f16_e32 v8, 0, v48
	v_add_f16_e32 v9, 0, v37
	v_mov_b32_e32 v17, 0xffff8000
	v_cmp_lt_i16_e64 s[8:9], -1, v8
	v_cndmask_b32_e64 v18, -1, v17, s[8:9]
	v_cmp_lt_i16_e64 s[8:9], -1, v9
	v_cndmask_b32_e64 v17, -1, v17, s[8:9]
	v_xor_b32_e32 v8, v18, v8
	v_xor_b32_e32 v9, v17, v9
	v_cmp_le_u16_e64 s[8:9], v8, v9
	s_and_b64 s[40:41], s[8:9], exec
.LBB1856_137:
	s_or_b64 exec, exec, s[12:13]
	s_orn2_b64 s[12:13], s[40:41], exec
.LBB1856_138:
	s_or_b64 exec, exec, s[28:29]
	v_cndmask_b32_e64 v8, v15, v16, s[12:13]
	v_cndmask_b32_e64 v9, v30, v29, s[12:13]
	v_add_u32_e32 v18, 1, v8
	v_add_u32_e32 v9, -1, v9
	v_min_u32_e32 v9, v18, v9
	v_lshl_add_u32 v9, v9, 1, v14
	ds_read_u16 v17, v9
	v_lshl_add_u32 v8, v8, 3, v12
	ds_read_b64 v[8:9], v8 offset:4096
	s_waitcnt lgkmcnt(1)
	v_cndmask_b32_e64 v49, v17, v37, s[12:13]
	v_cndmask_b32_e64 v52, v48, v17, s[12:13]
	;; [unrolled: 1-line block ×4, first 2 shown]
	v_cmp_lt_u32_e64 s[8:9], v17, v30
	s_and_saveexec_b64 s[28:29], s[8:9]
	s_cbranch_execz .LBB1856_142
; %bb.139:
	v_cmp_lt_u32_e64 s[8:9], v18, v29
	s_mov_b64 s[40:41], 0
	s_and_saveexec_b64 s[26:27], s[8:9]
	s_cbranch_execz .LBB1856_141
; %bb.140:
	v_add_f16_e32 v15, 0, v52
	v_add_f16_e32 v16, 0, v49
	v_mov_b32_e32 v19, 0xffff8000
	v_cmp_lt_i16_e64 s[8:9], -1, v15
	v_cndmask_b32_e64 v20, -1, v19, s[8:9]
	v_cmp_lt_i16_e64 s[8:9], -1, v16
	v_cndmask_b32_e64 v19, -1, v19, s[8:9]
	v_xor_b32_e32 v15, v20, v15
	v_xor_b32_e32 v16, v19, v16
	v_cmp_le_u16_e64 s[8:9], v15, v16
	s_and_b64 s[40:41], s[8:9], exec
.LBB1856_141:
	s_or_b64 exec, exec, s[26:27]
	s_orn2_b64 s[26:27], s[40:41], exec
.LBB1856_142:
	s_or_b64 exec, exec, s[28:29]
	v_cndmask_b32_e64 v15, v17, v18, s[26:27]
	v_cndmask_b32_e64 v16, v30, v29, s[26:27]
	v_add_u32_e32 v20, 1, v15
	v_add_u32_e32 v16, -1, v16
	v_min_u32_e32 v16, v20, v16
	v_lshl_add_u32 v16, v16, 1, v14
	ds_read_u16 v19, v16
	v_lshl_add_u32 v15, v15, 3, v12
	ds_read_b64 v[15:16], v15 offset:4096
	s_mov_b64 s[40:41], -1
	s_mov_b64 s[28:29], -1
	s_waitcnt lgkmcnt(1)
	v_cndmask_b32_e64 v25, v19, v49, s[26:27]
	v_cndmask_b32_e64 v26, v52, v19, s[26:27]
	;; [unrolled: 1-line block ×4, first 2 shown]
	v_cmp_lt_u32_e64 s[8:9], v19, v30
	s_and_saveexec_b64 s[42:43], s[8:9]
	s_cbranch_execz .LBB1856_146
; %bb.143:
	v_cmp_lt_u32_e64 s[8:9], v20, v29
	s_mov_b64 s[44:45], 0
	s_and_saveexec_b64 s[28:29], s[8:9]
	s_cbranch_execz .LBB1856_145
; %bb.144:
	v_add_f16_e32 v17, 0, v26
	v_add_f16_e32 v18, 0, v25
	v_mov_b32_e32 v21, 0xffff8000
	v_cmp_lt_i16_e64 s[8:9], -1, v17
	v_cndmask_b32_e64 v22, -1, v21, s[8:9]
	v_cmp_lt_i16_e64 s[8:9], -1, v18
	v_cndmask_b32_e64 v21, -1, v21, s[8:9]
	v_xor_b32_e32 v17, v22, v17
	v_xor_b32_e32 v18, v21, v18
	v_cmp_le_u16_e64 s[8:9], v17, v18
	s_and_b64 s[44:45], s[8:9], exec
.LBB1856_145:
	s_or_b64 exec, exec, s[28:29]
	s_orn2_b64 s[28:29], s[44:45], exec
.LBB1856_146:
	s_or_b64 exec, exec, s[42:43]
	v_cndmask_b32_e64 v17, v19, v20, s[28:29]
	v_cndmask_b32_e64 v18, v30, v29, s[28:29]
	v_add_u32_e32 v22, 1, v17
	v_add_u32_e32 v18, -1, v18
	v_min_u32_e32 v18, v22, v18
	v_lshl_add_u32 v18, v18, 1, v14
	ds_read_u16 v21, v18
	v_lshl_add_u32 v17, v17, 3, v12
	ds_read_b64 v[17:18], v17 offset:4096
	s_waitcnt lgkmcnt(1)
	v_cndmask_b32_e64 v39, v21, v25, s[28:29]
	v_cndmask_b32_e64 v51, v26, v21, s[28:29]
	;; [unrolled: 1-line block ×4, first 2 shown]
	v_cmp_lt_u32_e64 s[8:9], v21, v30
	s_and_saveexec_b64 s[42:43], s[8:9]
	s_cbranch_execz .LBB1856_150
; %bb.147:
	v_cmp_lt_u32_e64 s[8:9], v22, v29
	s_mov_b64 s[44:45], 0
	s_and_saveexec_b64 s[40:41], s[8:9]
	s_cbranch_execz .LBB1856_149
; %bb.148:
	v_add_f16_e32 v19, 0, v51
	v_add_f16_e32 v20, 0, v39
	v_mov_b32_e32 v23, 0xffff8000
	v_cmp_lt_i16_e64 s[8:9], -1, v19
	v_cndmask_b32_e64 v24, -1, v23, s[8:9]
	v_cmp_lt_i16_e64 s[8:9], -1, v20
	v_cndmask_b32_e64 v23, -1, v23, s[8:9]
	v_xor_b32_e32 v19, v24, v19
	v_xor_b32_e32 v20, v23, v20
	v_cmp_le_u16_e64 s[8:9], v19, v20
	s_and_b64 s[44:45], s[8:9], exec
.LBB1856_149:
	s_or_b64 exec, exec, s[40:41]
	s_orn2_b64 s[40:41], s[44:45], exec
.LBB1856_150:
	s_or_b64 exec, exec, s[42:43]
	v_cndmask_b32_e64 v19, v21, v22, s[40:41]
	v_cndmask_b32_e64 v20, v30, v29, s[40:41]
	v_add_u32_e32 v23, 1, v19
	v_add_u32_e32 v20, -1, v20
	v_min_u32_e32 v20, v23, v20
	v_lshl_add_u32 v20, v20, 1, v14
	ds_read_u16 v24, v20
	v_lshl_add_u32 v19, v19, 3, v12
	ds_read_b64 v[19:20], v19 offset:4096
	v_cndmask_b32_e64 v21, v23, v21, s[40:41]
	v_cndmask_b32_e64 v22, v22, v23, s[40:41]
	s_waitcnt lgkmcnt(1)
	v_cndmask_b32_e64 v38, v24, v39, s[40:41]
	v_cndmask_b32_e64 v53, v51, v24, s[40:41]
	v_cmp_lt_u32_e64 s[8:9], v21, v30
	s_mov_b64 s[44:45], -1
	s_mov_b64 s[42:43], -1
	s_and_saveexec_b64 s[46:47], s[8:9]
	s_cbranch_execz .LBB1856_154
; %bb.151:
	v_cmp_lt_u32_e64 s[8:9], v22, v29
	s_mov_b64 s[56:57], 0
	s_and_saveexec_b64 s[42:43], s[8:9]
	s_cbranch_execz .LBB1856_153
; %bb.152:
	v_add_f16_e32 v23, 0, v53
	v_add_f16_e32 v24, 0, v38
	v_mov_b32_e32 v50, 0xffff8000
	v_cmp_lt_i16_e64 s[8:9], -1, v23
	v_cndmask_b32_e64 v54, -1, v50, s[8:9]
	v_cmp_lt_i16_e64 s[8:9], -1, v24
	v_cndmask_b32_e64 v50, -1, v50, s[8:9]
	v_xor_b32_e32 v23, v54, v23
	v_xor_b32_e32 v24, v50, v24
	v_cmp_le_u16_e64 s[8:9], v23, v24
	s_and_b64 s[56:57], s[8:9], exec
.LBB1856_153:
	s_or_b64 exec, exec, s[42:43]
	s_orn2_b64 s[42:43], s[56:57], exec
.LBB1856_154:
	s_or_b64 exec, exec, s[46:47]
	v_cndmask_b32_e64 v23, v21, v22, s[42:43]
	v_cndmask_b32_e64 v24, v30, v29, s[42:43]
	v_add_u32_e32 v55, 1, v23
	v_add_u32_e32 v24, -1, v24
	v_min_u32_e32 v24, v55, v24
	v_lshl_add_u32 v24, v24, 1, v14
	ds_read_u16 v54, v24
	v_lshl_add_u32 v23, v23, 3, v12
	ds_read_b64 v[23:24], v23 offset:4096
	v_cndmask_b32_e64 v65, v55, v21, s[42:43]
	v_cndmask_b32_e64 v66, v22, v55, s[42:43]
	s_waitcnt lgkmcnt(1)
	v_cndmask_b32_e64 v50, v54, v38, s[42:43]
	v_cndmask_b32_e64 v54, v53, v54, s[42:43]
	v_cmp_lt_u32_e64 s[8:9], v65, v30
	s_and_saveexec_b64 s[46:47], s[8:9]
	s_cbranch_execz .LBB1856_158
; %bb.155:
	v_cmp_lt_u32_e64 s[8:9], v66, v29
	s_mov_b64 s[56:57], 0
	s_and_saveexec_b64 s[44:45], s[8:9]
	s_cbranch_execz .LBB1856_157
; %bb.156:
	v_add_f16_e32 v21, 0, v54
	v_add_f16_e32 v22, 0, v50
	v_mov_b32_e32 v55, 0xffff8000
	v_cmp_lt_i16_e64 s[8:9], -1, v21
	v_cndmask_b32_e64 v64, -1, v55, s[8:9]
	v_cmp_lt_i16_e64 s[8:9], -1, v22
	v_cndmask_b32_e64 v55, -1, v55, s[8:9]
	v_xor_b32_e32 v21, v64, v21
	v_xor_b32_e32 v22, v55, v22
	v_cmp_le_u16_e64 s[8:9], v21, v22
	s_and_b64 s[56:57], s[8:9], exec
.LBB1856_157:
	s_or_b64 exec, exec, s[44:45]
	s_orn2_b64 s[44:45], s[56:57], exec
.LBB1856_158:
	s_or_b64 exec, exec, s[46:47]
	v_cndmask_b32_e64 v21, v65, v66, s[44:45]
	v_cndmask_b32_e64 v22, v30, v29, s[44:45]
	v_add_u32_e32 v67, 1, v21
	v_add_u32_e32 v22, -1, v22
	v_min_u32_e32 v22, v67, v22
	v_lshl_add_u32 v22, v22, 1, v14
	ds_read_u16 v64, v22
	v_lshl_add_u32 v21, v21, 3, v12
	ds_read_b64 v[21:22], v21 offset:4096
	v_cndmask_b32_e64 v65, v67, v65, s[44:45]
	v_cndmask_b32_e64 v66, v66, v67, s[44:45]
	s_waitcnt lgkmcnt(1)
	v_cndmask_b32_e64 v55, v64, v50, s[44:45]
	v_cndmask_b32_e64 v64, v54, v64, s[44:45]
	v_cmp_lt_u32_e64 s[8:9], v65, v30
	s_mov_b64 s[56:57], -1
	s_and_saveexec_b64 s[46:47], s[8:9]
	s_cbranch_execz .LBB1856_162
; %bb.159:
	v_cmp_lt_u32_e64 s[8:9], v66, v29
	s_mov_b64 s[58:59], 0
	s_and_saveexec_b64 s[56:57], s[8:9]
	s_cbranch_execz .LBB1856_161
; %bb.160:
	v_add_f16_e32 v29, 0, v64
	v_add_f16_e32 v30, 0, v55
	v_mov_b32_e32 v67, 0xffff8000
	v_cmp_lt_i16_e64 s[8:9], -1, v29
	v_cndmask_b32_e64 v68, -1, v67, s[8:9]
	v_cmp_lt_i16_e64 s[8:9], -1, v30
	v_cndmask_b32_e64 v67, -1, v67, s[8:9]
	v_xor_b32_e32 v29, v68, v29
	v_xor_b32_e32 v30, v67, v30
	v_cmp_le_u16_e64 s[8:9], v29, v30
	s_and_b64 s[58:59], s[8:9], exec
.LBB1856_161:
	s_or_b64 exec, exec, s[56:57]
	s_orn2_b64 s[56:57], s[58:59], exec
.LBB1856_162:
	s_or_b64 exec, exec, s[46:47]
	v_cndmask_b32_e64 v39, v39, v51, s[40:41]
	v_cndmask_b32_e64 v51, v25, v26, s[28:29]
	;; [unrolled: 1-line block ×3, first 2 shown]
	v_lshl_add_u32 v25, v25, 3, v12
	ds_read_b64 v[25:26], v25 offset:4096
	v_cndmask_b32_e64 v50, v50, v54, s[44:45]
	v_cndmask_b32_e64 v38, v38, v53, s[42:43]
	;; [unrolled: 1-line block ×6, first 2 shown]
.LBB1856_163:
	s_or_b64 exec, exec, s[22:23]
	v_and_b32_e32 v31, 0x3c0, v35
	v_or_b32_e32 v29, 32, v31
	v_min_u32_e32 v29, v13, v29
	v_add_u32_e32 v30, 32, v29
	v_min_u32_e32 v30, v13, v30
	v_and_b32_e32 v52, 56, v35
	v_min_u32_e32 v55, v13, v52
	v_sub_u32_e32 v54, v29, v31
	v_sub_u32_e32 v53, v30, v29
	v_sub_u32_e64 v53, v55, v53 clamp
	v_min_u32_e32 v54, v55, v54
	v_lshl_add_u32 v52, v31, 1, v14
	v_cmp_lt_u32_e64 s[8:9], v53, v54
	; wave barrier
	ds_write_b16 v27, v36
	ds_write_b64 v28, v[4:5] offset:4096
	ds_write_b16 v27, v48 offset:2
	ds_write_b64 v28, v[8:9] offset:4104
	ds_write_b16 v27, v49 offset:4
	;; [unrolled: 2-line block ×6, first 2 shown]
	s_waitcnt lgkmcnt(14)
	ds_write_b64 v28, v[21:22] offset:4144
	ds_write_b16 v27, v37 offset:14
	s_waitcnt lgkmcnt(14)
	ds_write_b64 v28, v[25:26] offset:4152
	; wave barrier
	s_and_saveexec_b64 s[12:13], s[8:9]
	s_cbranch_execz .LBB1856_167
; %bb.164:
	v_lshlrev_b32_e32 v64, 1, v29
	v_lshlrev_b32_e32 v65, 1, v55
	v_add3_u32 v64, v14, v64, v65
	s_mov_b64 s[22:23], 0
	v_mov_b32_e32 v65, 0xffff8000
.LBB1856_165:                           ; =>This Inner Loop Header: Depth=1
	v_add_u32_e32 v66, v54, v53
	v_lshrrev_b32_e32 v67, 1, v66
	v_and_b32_e32 v66, -2, v66
	v_not_b32_e32 v68, v67
	v_add_u32_e32 v66, v52, v66
	v_lshl_add_u32 v68, v68, 1, v64
	ds_read_u16 v66, v66
	ds_read_u16 v68, v68
	v_add_u32_e32 v69, 1, v67
	s_waitcnt lgkmcnt(1)
	v_add_f16_e32 v66, 0, v66
	s_waitcnt lgkmcnt(0)
	v_add_f16_e32 v68, 0, v68
	v_cmp_lt_i16_e64 s[8:9], -1, v66
	v_cndmask_b32_e64 v70, -1, v65, s[8:9]
	v_cmp_lt_i16_e64 s[8:9], -1, v68
	v_xor_b32_e32 v66, v70, v66
	v_cndmask_b32_e64 v70, -1, v65, s[8:9]
	v_xor_b32_e32 v68, v70, v68
	v_cmp_gt_u16_e64 s[8:9], v66, v68
	v_cndmask_b32_e64 v54, v54, v67, s[8:9]
	v_cndmask_b32_e64 v53, v69, v53, s[8:9]
	v_cmp_ge_u32_e64 s[8:9], v53, v54
	s_or_b64 s[22:23], s[8:9], s[22:23]
	s_andn2_b64 exec, exec, s[22:23]
	s_cbranch_execnz .LBB1856_165
; %bb.166:
	s_or_b64 exec, exec, s[22:23]
.LBB1856_167:
	s_or_b64 exec, exec, s[12:13]
	v_add_u32_e32 v54, v53, v31
	v_add_u32_e32 v31, v29, v55
	v_sub_u32_e32 v55, v31, v53
	v_cmp_le_u32_e64 s[8:9], v54, v29
	v_cmp_le_u32_e64 s[12:13], v55, v30
	s_or_b64 s[8:9], s[8:9], s[12:13]
	s_and_saveexec_b64 s[22:23], s[8:9]
	s_cbranch_execz .LBB1856_203
; %bb.168:
	v_cmp_ge_u32_e64 s[8:9], v54, v29
	v_cmp_lt_u32_e64 s[12:13], v54, v29
                                        ; implicit-def: $vgpr31
	s_and_saveexec_b64 s[24:25], s[12:13]
; %bb.169:
	v_lshl_add_u32 v4, v53, 1, v52
	ds_read_u16 v31, v4
; %bb.170:
	s_or_b64 exec, exec, s[24:25]
	v_cmp_ge_u32_e64 s[24:25], v55, v30
	v_cmp_lt_u32_e64 s[12:13], v55, v30
                                        ; implicit-def: $vgpr36
	s_and_saveexec_b64 s[26:27], s[12:13]
; %bb.171:
	v_lshl_add_u32 v4, v55, 1, v14
	ds_read_u16 v36, v4
; %bb.172:
	s_or_b64 exec, exec, s[26:27]
	s_nor_b64 s[8:9], s[8:9], s[24:25]
	s_and_saveexec_b64 s[12:13], s[8:9]
	s_cbranch_execz .LBB1856_174
; %bb.173:
	s_waitcnt lgkmcnt(0)
	v_add_f16_e32 v4, 0, v31
	v_add_f16_e32 v5, 0, v36
	v_mov_b32_e32 v8, 0xffff8000
	v_cmp_lt_i16_e64 s[8:9], -1, v4
	v_cndmask_b32_e64 v9, -1, v8, s[8:9]
	v_cmp_lt_i16_e64 s[8:9], -1, v5
	v_cndmask_b32_e64 v8, -1, v8, s[8:9]
	v_xor_b32_e32 v4, v9, v4
	v_xor_b32_e32 v5, v8, v5
	v_cmp_le_u16_e64 s[8:9], v4, v5
	s_andn2_b64 s[24:25], s[24:25], exec
	s_and_b64 s[8:9], s[8:9], exec
	s_or_b64 s[24:25], s[24:25], s[8:9]
.LBB1856_174:
	s_or_b64 exec, exec, s[12:13]
	v_cndmask_b32_e64 v4, v55, v54, s[24:25]
	v_cndmask_b32_e64 v5, v30, v29, s[24:25]
	v_add_u32_e32 v8, 1, v4
	v_add_u32_e32 v5, -1, v5
	v_min_u32_e32 v5, v8, v5
	v_lshl_add_u32 v5, v5, 1, v14
	ds_read_u16 v9, v5
	v_lshl_add_u32 v4, v4, 3, v12
	ds_read_b64 v[4:5], v4 offset:4096
	v_cndmask_b32_e64 v15, v8, v55, s[24:25]
	v_cndmask_b32_e64 v16, v54, v8, s[24:25]
	s_waitcnt lgkmcnt(1)
	v_cndmask_b32_e64 v37, v9, v36, s[24:25]
	v_cndmask_b32_e64 v48, v31, v9, s[24:25]
	v_cmp_lt_u32_e64 s[8:9], v15, v30
	s_mov_b64 s[26:27], -1
	s_mov_b64 s[12:13], -1
	s_and_saveexec_b64 s[28:29], s[8:9]
	s_cbranch_execz .LBB1856_178
; %bb.175:
	v_cmp_lt_u32_e64 s[8:9], v16, v29
	s_mov_b64 s[40:41], 0
	s_and_saveexec_b64 s[12:13], s[8:9]
	s_cbranch_execz .LBB1856_177
; %bb.176:
	v_add_f16_e32 v8, 0, v48
	v_add_f16_e32 v9, 0, v37
	v_mov_b32_e32 v17, 0xffff8000
	v_cmp_lt_i16_e64 s[8:9], -1, v8
	v_cndmask_b32_e64 v18, -1, v17, s[8:9]
	v_cmp_lt_i16_e64 s[8:9], -1, v9
	v_cndmask_b32_e64 v17, -1, v17, s[8:9]
	v_xor_b32_e32 v8, v18, v8
	v_xor_b32_e32 v9, v17, v9
	v_cmp_le_u16_e64 s[8:9], v8, v9
	s_and_b64 s[40:41], s[8:9], exec
.LBB1856_177:
	s_or_b64 exec, exec, s[12:13]
	s_orn2_b64 s[12:13], s[40:41], exec
.LBB1856_178:
	s_or_b64 exec, exec, s[28:29]
	v_cndmask_b32_e64 v8, v15, v16, s[12:13]
	v_cndmask_b32_e64 v9, v30, v29, s[12:13]
	v_add_u32_e32 v18, 1, v8
	v_add_u32_e32 v9, -1, v9
	v_min_u32_e32 v9, v18, v9
	v_lshl_add_u32 v9, v9, 1, v14
	ds_read_u16 v17, v9
	v_lshl_add_u32 v8, v8, 3, v12
	ds_read_b64 v[8:9], v8 offset:4096
	s_waitcnt lgkmcnt(1)
	v_cndmask_b32_e64 v49, v17, v37, s[12:13]
	v_cndmask_b32_e64 v52, v48, v17, s[12:13]
	;; [unrolled: 1-line block ×4, first 2 shown]
	v_cmp_lt_u32_e64 s[8:9], v17, v30
	s_and_saveexec_b64 s[28:29], s[8:9]
	s_cbranch_execz .LBB1856_182
; %bb.179:
	v_cmp_lt_u32_e64 s[8:9], v18, v29
	s_mov_b64 s[40:41], 0
	s_and_saveexec_b64 s[26:27], s[8:9]
	s_cbranch_execz .LBB1856_181
; %bb.180:
	v_add_f16_e32 v15, 0, v52
	v_add_f16_e32 v16, 0, v49
	v_mov_b32_e32 v19, 0xffff8000
	v_cmp_lt_i16_e64 s[8:9], -1, v15
	v_cndmask_b32_e64 v20, -1, v19, s[8:9]
	v_cmp_lt_i16_e64 s[8:9], -1, v16
	v_cndmask_b32_e64 v19, -1, v19, s[8:9]
	v_xor_b32_e32 v15, v20, v15
	v_xor_b32_e32 v16, v19, v16
	v_cmp_le_u16_e64 s[8:9], v15, v16
	s_and_b64 s[40:41], s[8:9], exec
.LBB1856_181:
	s_or_b64 exec, exec, s[26:27]
	s_orn2_b64 s[26:27], s[40:41], exec
.LBB1856_182:
	s_or_b64 exec, exec, s[28:29]
	v_cndmask_b32_e64 v15, v17, v18, s[26:27]
	v_cndmask_b32_e64 v16, v30, v29, s[26:27]
	v_add_u32_e32 v20, 1, v15
	v_add_u32_e32 v16, -1, v16
	v_min_u32_e32 v16, v20, v16
	v_lshl_add_u32 v16, v16, 1, v14
	ds_read_u16 v19, v16
	v_lshl_add_u32 v15, v15, 3, v12
	ds_read_b64 v[15:16], v15 offset:4096
	s_mov_b64 s[40:41], -1
	s_mov_b64 s[28:29], -1
	s_waitcnt lgkmcnt(1)
	v_cndmask_b32_e64 v25, v19, v49, s[26:27]
	v_cndmask_b32_e64 v26, v52, v19, s[26:27]
	v_cndmask_b32_e64 v19, v20, v17, s[26:27]
	v_cndmask_b32_e64 v20, v18, v20, s[26:27]
	v_cmp_lt_u32_e64 s[8:9], v19, v30
	s_and_saveexec_b64 s[42:43], s[8:9]
	s_cbranch_execz .LBB1856_186
; %bb.183:
	v_cmp_lt_u32_e64 s[8:9], v20, v29
	s_mov_b64 s[44:45], 0
	s_and_saveexec_b64 s[28:29], s[8:9]
	s_cbranch_execz .LBB1856_185
; %bb.184:
	v_add_f16_e32 v17, 0, v26
	v_add_f16_e32 v18, 0, v25
	v_mov_b32_e32 v21, 0xffff8000
	v_cmp_lt_i16_e64 s[8:9], -1, v17
	v_cndmask_b32_e64 v22, -1, v21, s[8:9]
	v_cmp_lt_i16_e64 s[8:9], -1, v18
	v_cndmask_b32_e64 v21, -1, v21, s[8:9]
	v_xor_b32_e32 v17, v22, v17
	v_xor_b32_e32 v18, v21, v18
	v_cmp_le_u16_e64 s[8:9], v17, v18
	s_and_b64 s[44:45], s[8:9], exec
.LBB1856_185:
	s_or_b64 exec, exec, s[28:29]
	s_orn2_b64 s[28:29], s[44:45], exec
.LBB1856_186:
	s_or_b64 exec, exec, s[42:43]
	v_cndmask_b32_e64 v17, v19, v20, s[28:29]
	v_cndmask_b32_e64 v18, v30, v29, s[28:29]
	v_add_u32_e32 v22, 1, v17
	v_add_u32_e32 v18, -1, v18
	v_min_u32_e32 v18, v22, v18
	v_lshl_add_u32 v18, v18, 1, v14
	ds_read_u16 v21, v18
	v_lshl_add_u32 v17, v17, 3, v12
	ds_read_b64 v[17:18], v17 offset:4096
	s_waitcnt lgkmcnt(1)
	v_cndmask_b32_e64 v39, v21, v25, s[28:29]
	v_cndmask_b32_e64 v51, v26, v21, s[28:29]
	v_cndmask_b32_e64 v21, v22, v19, s[28:29]
	v_cndmask_b32_e64 v22, v20, v22, s[28:29]
	v_cmp_lt_u32_e64 s[8:9], v21, v30
	s_and_saveexec_b64 s[42:43], s[8:9]
	s_cbranch_execz .LBB1856_190
; %bb.187:
	v_cmp_lt_u32_e64 s[8:9], v22, v29
	s_mov_b64 s[44:45], 0
	s_and_saveexec_b64 s[40:41], s[8:9]
	s_cbranch_execz .LBB1856_189
; %bb.188:
	v_add_f16_e32 v19, 0, v51
	v_add_f16_e32 v20, 0, v39
	v_mov_b32_e32 v23, 0xffff8000
	v_cmp_lt_i16_e64 s[8:9], -1, v19
	v_cndmask_b32_e64 v24, -1, v23, s[8:9]
	v_cmp_lt_i16_e64 s[8:9], -1, v20
	v_cndmask_b32_e64 v23, -1, v23, s[8:9]
	v_xor_b32_e32 v19, v24, v19
	v_xor_b32_e32 v20, v23, v20
	v_cmp_le_u16_e64 s[8:9], v19, v20
	s_and_b64 s[44:45], s[8:9], exec
.LBB1856_189:
	s_or_b64 exec, exec, s[40:41]
	s_orn2_b64 s[40:41], s[44:45], exec
.LBB1856_190:
	s_or_b64 exec, exec, s[42:43]
	v_cndmask_b32_e64 v19, v21, v22, s[40:41]
	v_cndmask_b32_e64 v20, v30, v29, s[40:41]
	v_add_u32_e32 v23, 1, v19
	v_add_u32_e32 v20, -1, v20
	v_min_u32_e32 v20, v23, v20
	v_lshl_add_u32 v20, v20, 1, v14
	ds_read_u16 v24, v20
	v_lshl_add_u32 v19, v19, 3, v12
	ds_read_b64 v[19:20], v19 offset:4096
	v_cndmask_b32_e64 v21, v23, v21, s[40:41]
	v_cndmask_b32_e64 v22, v22, v23, s[40:41]
	s_waitcnt lgkmcnt(1)
	v_cndmask_b32_e64 v38, v24, v39, s[40:41]
	v_cndmask_b32_e64 v53, v51, v24, s[40:41]
	v_cmp_lt_u32_e64 s[8:9], v21, v30
	s_mov_b64 s[44:45], -1
	s_mov_b64 s[42:43], -1
	s_and_saveexec_b64 s[46:47], s[8:9]
	s_cbranch_execz .LBB1856_194
; %bb.191:
	v_cmp_lt_u32_e64 s[8:9], v22, v29
	s_mov_b64 s[56:57], 0
	s_and_saveexec_b64 s[42:43], s[8:9]
	s_cbranch_execz .LBB1856_193
; %bb.192:
	v_add_f16_e32 v23, 0, v53
	v_add_f16_e32 v24, 0, v38
	v_mov_b32_e32 v50, 0xffff8000
	v_cmp_lt_i16_e64 s[8:9], -1, v23
	v_cndmask_b32_e64 v54, -1, v50, s[8:9]
	v_cmp_lt_i16_e64 s[8:9], -1, v24
	v_cndmask_b32_e64 v50, -1, v50, s[8:9]
	v_xor_b32_e32 v23, v54, v23
	v_xor_b32_e32 v24, v50, v24
	v_cmp_le_u16_e64 s[8:9], v23, v24
	s_and_b64 s[56:57], s[8:9], exec
.LBB1856_193:
	s_or_b64 exec, exec, s[42:43]
	s_orn2_b64 s[42:43], s[56:57], exec
.LBB1856_194:
	s_or_b64 exec, exec, s[46:47]
	v_cndmask_b32_e64 v23, v21, v22, s[42:43]
	v_cndmask_b32_e64 v24, v30, v29, s[42:43]
	v_add_u32_e32 v55, 1, v23
	v_add_u32_e32 v24, -1, v24
	v_min_u32_e32 v24, v55, v24
	v_lshl_add_u32 v24, v24, 1, v14
	ds_read_u16 v54, v24
	v_lshl_add_u32 v23, v23, 3, v12
	ds_read_b64 v[23:24], v23 offset:4096
	v_cndmask_b32_e64 v65, v55, v21, s[42:43]
	v_cndmask_b32_e64 v66, v22, v55, s[42:43]
	s_waitcnt lgkmcnt(1)
	v_cndmask_b32_e64 v50, v54, v38, s[42:43]
	v_cndmask_b32_e64 v54, v53, v54, s[42:43]
	v_cmp_lt_u32_e64 s[8:9], v65, v30
	s_and_saveexec_b64 s[46:47], s[8:9]
	s_cbranch_execz .LBB1856_198
; %bb.195:
	v_cmp_lt_u32_e64 s[8:9], v66, v29
	s_mov_b64 s[56:57], 0
	s_and_saveexec_b64 s[44:45], s[8:9]
	s_cbranch_execz .LBB1856_197
; %bb.196:
	v_add_f16_e32 v21, 0, v54
	v_add_f16_e32 v22, 0, v50
	v_mov_b32_e32 v55, 0xffff8000
	v_cmp_lt_i16_e64 s[8:9], -1, v21
	v_cndmask_b32_e64 v64, -1, v55, s[8:9]
	v_cmp_lt_i16_e64 s[8:9], -1, v22
	v_cndmask_b32_e64 v55, -1, v55, s[8:9]
	v_xor_b32_e32 v21, v64, v21
	v_xor_b32_e32 v22, v55, v22
	v_cmp_le_u16_e64 s[8:9], v21, v22
	s_and_b64 s[56:57], s[8:9], exec
.LBB1856_197:
	s_or_b64 exec, exec, s[44:45]
	s_orn2_b64 s[44:45], s[56:57], exec
.LBB1856_198:
	s_or_b64 exec, exec, s[46:47]
	v_cndmask_b32_e64 v21, v65, v66, s[44:45]
	v_cndmask_b32_e64 v22, v30, v29, s[44:45]
	v_add_u32_e32 v67, 1, v21
	v_add_u32_e32 v22, -1, v22
	v_min_u32_e32 v22, v67, v22
	v_lshl_add_u32 v22, v22, 1, v14
	ds_read_u16 v64, v22
	v_lshl_add_u32 v21, v21, 3, v12
	ds_read_b64 v[21:22], v21 offset:4096
	v_cndmask_b32_e64 v65, v67, v65, s[44:45]
	v_cndmask_b32_e64 v66, v66, v67, s[44:45]
	s_waitcnt lgkmcnt(1)
	v_cndmask_b32_e64 v55, v64, v50, s[44:45]
	v_cndmask_b32_e64 v64, v54, v64, s[44:45]
	v_cmp_lt_u32_e64 s[8:9], v65, v30
	s_mov_b64 s[56:57], -1
	s_and_saveexec_b64 s[46:47], s[8:9]
	s_cbranch_execz .LBB1856_202
; %bb.199:
	v_cmp_lt_u32_e64 s[8:9], v66, v29
	s_mov_b64 s[58:59], 0
	s_and_saveexec_b64 s[56:57], s[8:9]
	s_cbranch_execz .LBB1856_201
; %bb.200:
	v_add_f16_e32 v29, 0, v64
	v_add_f16_e32 v30, 0, v55
	v_mov_b32_e32 v67, 0xffff8000
	v_cmp_lt_i16_e64 s[8:9], -1, v29
	v_cndmask_b32_e64 v68, -1, v67, s[8:9]
	v_cmp_lt_i16_e64 s[8:9], -1, v30
	v_cndmask_b32_e64 v67, -1, v67, s[8:9]
	v_xor_b32_e32 v29, v68, v29
	v_xor_b32_e32 v30, v67, v30
	v_cmp_le_u16_e64 s[8:9], v29, v30
	s_and_b64 s[58:59], s[8:9], exec
.LBB1856_201:
	s_or_b64 exec, exec, s[56:57]
	s_orn2_b64 s[56:57], s[58:59], exec
.LBB1856_202:
	s_or_b64 exec, exec, s[46:47]
	v_cndmask_b32_e64 v39, v39, v51, s[40:41]
	v_cndmask_b32_e64 v51, v25, v26, s[28:29]
	v_cndmask_b32_e64 v25, v65, v66, s[56:57]
	v_lshl_add_u32 v25, v25, 3, v12
	ds_read_b64 v[25:26], v25 offset:4096
	v_cndmask_b32_e64 v50, v50, v54, s[44:45]
	v_cndmask_b32_e64 v38, v38, v53, s[42:43]
	;; [unrolled: 1-line block ×6, first 2 shown]
.LBB1856_203:
	s_or_b64 exec, exec, s[22:23]
	v_and_b32_e32 v31, 0x380, v35
	; wave barrier
	ds_write_b16 v27, v36
	ds_write_b64 v28, v[4:5] offset:4096
	ds_write_b16 v27, v48 offset:2
	ds_write_b64 v28, v[8:9] offset:4104
	ds_write_b16 v27, v49 offset:4
	;; [unrolled: 2-line block ×6, first 2 shown]
	s_waitcnt lgkmcnt(14)
	ds_write_b64 v28, v[21:22] offset:4144
	ds_write_b16 v27, v37 offset:14
	s_waitcnt lgkmcnt(14)
	ds_write_b64 v28, v[25:26] offset:4152
	v_or_b32_e32 v27, 64, v31
	v_min_u32_e32 v27, v13, v27
	v_add_u32_e32 v28, 64, v27
	v_min_u32_e32 v28, v13, v28
	v_min_u32_e32 v13, v13, v34
	v_sub_u32_e32 v34, v27, v31
	v_sub_u32_e32 v30, v28, v27
	v_sub_u32_e64 v30, v13, v30 clamp
	v_min_u32_e32 v34, v13, v34
	v_lshl_add_u32 v29, v31, 1, v14
	v_cmp_lt_u32_e64 s[8:9], v30, v34
	; wave barrier
	s_and_saveexec_b64 s[12:13], s[8:9]
	s_cbranch_execz .LBB1856_207
; %bb.204:
	v_lshlrev_b32_e32 v35, 1, v27
	v_lshlrev_b32_e32 v52, 1, v13
	v_add3_u32 v35, v14, v35, v52
	s_mov_b64 s[22:23], 0
	v_mov_b32_e32 v52, 0xffff8000
.LBB1856_205:                           ; =>This Inner Loop Header: Depth=1
	v_add_u32_e32 v53, v34, v30
	v_lshrrev_b32_e32 v54, 1, v53
	v_and_b32_e32 v53, -2, v53
	v_not_b32_e32 v55, v54
	v_add_u32_e32 v53, v29, v53
	v_lshl_add_u32 v55, v55, 1, v35
	ds_read_u16 v53, v53
	ds_read_u16 v55, v55
	v_add_u32_e32 v64, 1, v54
	s_waitcnt lgkmcnt(1)
	v_add_f16_e32 v53, 0, v53
	s_waitcnt lgkmcnt(0)
	v_add_f16_e32 v55, 0, v55
	v_cmp_lt_i16_e64 s[8:9], -1, v53
	v_cndmask_b32_e64 v65, -1, v52, s[8:9]
	v_cmp_lt_i16_e64 s[8:9], -1, v55
	v_xor_b32_e32 v53, v65, v53
	v_cndmask_b32_e64 v65, -1, v52, s[8:9]
	v_xor_b32_e32 v55, v65, v55
	v_cmp_gt_u16_e64 s[8:9], v53, v55
	v_cndmask_b32_e64 v34, v34, v54, s[8:9]
	v_cndmask_b32_e64 v30, v64, v30, s[8:9]
	v_cmp_ge_u32_e64 s[8:9], v30, v34
	s_or_b64 s[22:23], s[8:9], s[22:23]
	s_andn2_b64 exec, exec, s[22:23]
	s_cbranch_execnz .LBB1856_205
; %bb.206:
	s_or_b64 exec, exec, s[22:23]
.LBB1856_207:
	s_or_b64 exec, exec, s[12:13]
	v_add_u32_e32 v13, v27, v13
	v_add_u32_e32 v34, v30, v31
	v_sub_u32_e32 v35, v13, v30
	v_cmp_le_u32_e64 s[8:9], v34, v27
	v_cmp_le_u32_e64 s[12:13], v35, v28
	s_or_b64 s[8:9], s[8:9], s[12:13]
	s_and_saveexec_b64 s[22:23], s[8:9]
	s_cbranch_execz .LBB1856_243
; %bb.208:
	v_cmp_ge_u32_e64 s[8:9], v34, v27
	v_cmp_lt_u32_e64 s[12:13], v34, v27
                                        ; implicit-def: $vgpr13
	s_and_saveexec_b64 s[24:25], s[12:13]
; %bb.209:
	v_lshl_add_u32 v4, v30, 1, v29
	ds_read_u16 v13, v4
; %bb.210:
	s_or_b64 exec, exec, s[24:25]
	v_cmp_ge_u32_e64 s[24:25], v35, v28
	v_cmp_lt_u32_e64 s[12:13], v35, v28
                                        ; implicit-def: $vgpr29
	s_and_saveexec_b64 s[26:27], s[12:13]
; %bb.211:
	v_lshl_add_u32 v4, v35, 1, v14
	ds_read_u16 v29, v4
; %bb.212:
	s_or_b64 exec, exec, s[26:27]
	s_nor_b64 s[8:9], s[8:9], s[24:25]
	s_and_saveexec_b64 s[12:13], s[8:9]
	s_cbranch_execz .LBB1856_214
; %bb.213:
	s_waitcnt lgkmcnt(0)
	v_add_f16_e32 v4, 0, v13
	v_add_f16_e32 v5, 0, v29
	v_mov_b32_e32 v8, 0xffff8000
	v_cmp_lt_i16_e64 s[8:9], -1, v4
	v_cndmask_b32_e64 v9, -1, v8, s[8:9]
	v_cmp_lt_i16_e64 s[8:9], -1, v5
	v_cndmask_b32_e64 v8, -1, v8, s[8:9]
	v_xor_b32_e32 v4, v9, v4
	v_xor_b32_e32 v5, v8, v5
	v_cmp_le_u16_e64 s[8:9], v4, v5
	s_andn2_b64 s[24:25], s[24:25], exec
	s_and_b64 s[8:9], s[8:9], exec
	s_or_b64 s[24:25], s[24:25], s[8:9]
.LBB1856_214:
	s_or_b64 exec, exec, s[12:13]
	v_cndmask_b32_e64 v4, v35, v34, s[24:25]
	v_cndmask_b32_e64 v5, v28, v27, s[24:25]
	v_add_u32_e32 v8, 1, v4
	v_add_u32_e32 v5, -1, v5
	v_min_u32_e32 v5, v8, v5
	v_lshl_add_u32 v5, v5, 1, v14
	ds_read_u16 v9, v5
	v_lshl_add_u32 v4, v4, 3, v12
	ds_read_b64 v[4:5], v4 offset:4096
	v_cndmask_b32_e64 v15, v8, v35, s[24:25]
	v_cndmask_b32_e64 v16, v34, v8, s[24:25]
	s_waitcnt lgkmcnt(1)
	v_cndmask_b32_e64 v30, v9, v29, s[24:25]
	v_cndmask_b32_e64 v31, v13, v9, s[24:25]
	v_cmp_lt_u32_e64 s[8:9], v15, v28
	s_mov_b64 s[26:27], -1
	s_mov_b64 s[12:13], -1
	s_and_saveexec_b64 s[28:29], s[8:9]
	s_cbranch_execz .LBB1856_218
; %bb.215:
	v_cmp_lt_u32_e64 s[8:9], v16, v27
	s_mov_b64 s[40:41], 0
	s_and_saveexec_b64 s[12:13], s[8:9]
	s_cbranch_execz .LBB1856_217
; %bb.216:
	v_add_f16_e32 v8, 0, v31
	v_add_f16_e32 v9, 0, v30
	v_mov_b32_e32 v17, 0xffff8000
	v_cmp_lt_i16_e64 s[8:9], -1, v8
	v_cndmask_b32_e64 v18, -1, v17, s[8:9]
	v_cmp_lt_i16_e64 s[8:9], -1, v9
	v_cndmask_b32_e64 v17, -1, v17, s[8:9]
	v_xor_b32_e32 v8, v18, v8
	v_xor_b32_e32 v9, v17, v9
	v_cmp_le_u16_e64 s[8:9], v8, v9
	s_and_b64 s[40:41], s[8:9], exec
.LBB1856_217:
	s_or_b64 exec, exec, s[12:13]
	s_orn2_b64 s[12:13], s[40:41], exec
.LBB1856_218:
	s_or_b64 exec, exec, s[28:29]
	v_cndmask_b32_e64 v8, v15, v16, s[12:13]
	v_cndmask_b32_e64 v9, v28, v27, s[12:13]
	v_add_u32_e32 v18, 1, v8
	v_add_u32_e32 v9, -1, v9
	v_min_u32_e32 v9, v18, v9
	v_lshl_add_u32 v9, v9, 1, v14
	ds_read_u16 v17, v9
	v_lshl_add_u32 v8, v8, 3, v12
	ds_read_b64 v[8:9], v8 offset:4096
	s_waitcnt lgkmcnt(1)
	v_cndmask_b32_e64 v34, v17, v30, s[12:13]
	v_cndmask_b32_e64 v35, v31, v17, s[12:13]
	;; [unrolled: 1-line block ×4, first 2 shown]
	v_cmp_lt_u32_e64 s[8:9], v17, v28
	s_and_saveexec_b64 s[28:29], s[8:9]
	s_cbranch_execz .LBB1856_222
; %bb.219:
	v_cmp_lt_u32_e64 s[8:9], v18, v27
	s_mov_b64 s[40:41], 0
	s_and_saveexec_b64 s[26:27], s[8:9]
	s_cbranch_execz .LBB1856_221
; %bb.220:
	v_add_f16_e32 v15, 0, v35
	v_add_f16_e32 v16, 0, v34
	v_mov_b32_e32 v19, 0xffff8000
	v_cmp_lt_i16_e64 s[8:9], -1, v15
	v_cndmask_b32_e64 v20, -1, v19, s[8:9]
	v_cmp_lt_i16_e64 s[8:9], -1, v16
	v_cndmask_b32_e64 v19, -1, v19, s[8:9]
	v_xor_b32_e32 v15, v20, v15
	v_xor_b32_e32 v16, v19, v16
	v_cmp_le_u16_e64 s[8:9], v15, v16
	s_and_b64 s[40:41], s[8:9], exec
.LBB1856_221:
	s_or_b64 exec, exec, s[26:27]
	s_orn2_b64 s[26:27], s[40:41], exec
.LBB1856_222:
	s_or_b64 exec, exec, s[28:29]
	v_cndmask_b32_e64 v15, v17, v18, s[26:27]
	v_cndmask_b32_e64 v16, v28, v27, s[26:27]
	v_add_u32_e32 v20, 1, v15
	v_add_u32_e32 v16, -1, v16
	v_min_u32_e32 v16, v20, v16
	v_lshl_add_u32 v16, v16, 1, v14
	ds_read_u16 v19, v16
	v_lshl_add_u32 v15, v15, 3, v12
	ds_read_b64 v[15:16], v15 offset:4096
	s_mov_b64 s[40:41], -1
	s_mov_b64 s[28:29], -1
	s_waitcnt lgkmcnt(1)
	v_cndmask_b32_e64 v25, v19, v34, s[26:27]
	v_cndmask_b32_e64 v26, v35, v19, s[26:27]
	;; [unrolled: 1-line block ×4, first 2 shown]
	v_cmp_lt_u32_e64 s[8:9], v19, v28
	s_and_saveexec_b64 s[42:43], s[8:9]
	s_cbranch_execz .LBB1856_226
; %bb.223:
	v_cmp_lt_u32_e64 s[8:9], v20, v27
	s_mov_b64 s[44:45], 0
	s_and_saveexec_b64 s[28:29], s[8:9]
	s_cbranch_execz .LBB1856_225
; %bb.224:
	v_add_f16_e32 v17, 0, v26
	v_add_f16_e32 v18, 0, v25
	v_mov_b32_e32 v21, 0xffff8000
	v_cmp_lt_i16_e64 s[8:9], -1, v17
	v_cndmask_b32_e64 v22, -1, v21, s[8:9]
	v_cmp_lt_i16_e64 s[8:9], -1, v18
	v_cndmask_b32_e64 v21, -1, v21, s[8:9]
	v_xor_b32_e32 v17, v22, v17
	v_xor_b32_e32 v18, v21, v18
	v_cmp_le_u16_e64 s[8:9], v17, v18
	s_and_b64 s[44:45], s[8:9], exec
.LBB1856_225:
	s_or_b64 exec, exec, s[28:29]
	s_orn2_b64 s[28:29], s[44:45], exec
.LBB1856_226:
	s_or_b64 exec, exec, s[42:43]
	v_cndmask_b32_e64 v17, v19, v20, s[28:29]
	v_cndmask_b32_e64 v18, v28, v27, s[28:29]
	v_add_u32_e32 v22, 1, v17
	v_add_u32_e32 v18, -1, v18
	v_min_u32_e32 v18, v22, v18
	v_lshl_add_u32 v18, v18, 1, v14
	ds_read_u16 v21, v18
	v_lshl_add_u32 v17, v17, 3, v12
	ds_read_b64 v[17:18], v17 offset:4096
	s_waitcnt lgkmcnt(1)
	v_cndmask_b32_e64 v36, v21, v25, s[28:29]
	v_cndmask_b32_e64 v37, v26, v21, s[28:29]
	;; [unrolled: 1-line block ×4, first 2 shown]
	v_cmp_lt_u32_e64 s[8:9], v21, v28
	s_and_saveexec_b64 s[42:43], s[8:9]
	s_cbranch_execz .LBB1856_230
; %bb.227:
	v_cmp_lt_u32_e64 s[8:9], v22, v27
	s_mov_b64 s[44:45], 0
	s_and_saveexec_b64 s[40:41], s[8:9]
	s_cbranch_execz .LBB1856_229
; %bb.228:
	v_add_f16_e32 v19, 0, v37
	v_add_f16_e32 v20, 0, v36
	v_mov_b32_e32 v23, 0xffff8000
	v_cmp_lt_i16_e64 s[8:9], -1, v19
	v_cndmask_b32_e64 v24, -1, v23, s[8:9]
	v_cmp_lt_i16_e64 s[8:9], -1, v20
	v_cndmask_b32_e64 v23, -1, v23, s[8:9]
	v_xor_b32_e32 v19, v24, v19
	v_xor_b32_e32 v20, v23, v20
	v_cmp_le_u16_e64 s[8:9], v19, v20
	s_and_b64 s[44:45], s[8:9], exec
.LBB1856_229:
	s_or_b64 exec, exec, s[40:41]
	s_orn2_b64 s[40:41], s[44:45], exec
.LBB1856_230:
	s_or_b64 exec, exec, s[42:43]
	v_cndmask_b32_e64 v19, v21, v22, s[40:41]
	v_cndmask_b32_e64 v20, v28, v27, s[40:41]
	v_add_u32_e32 v23, 1, v19
	v_add_u32_e32 v20, -1, v20
	v_min_u32_e32 v20, v23, v20
	v_lshl_add_u32 v20, v20, 1, v14
	ds_read_u16 v24, v20
	v_lshl_add_u32 v19, v19, 3, v12
	ds_read_b64 v[19:20], v19 offset:4096
	v_cndmask_b32_e64 v21, v23, v21, s[40:41]
	v_cndmask_b32_e64 v22, v22, v23, s[40:41]
	s_waitcnt lgkmcnt(1)
	v_cndmask_b32_e64 v38, v24, v36, s[40:41]
	v_cndmask_b32_e64 v39, v37, v24, s[40:41]
	v_cmp_lt_u32_e64 s[8:9], v21, v28
	s_mov_b64 s[44:45], -1
	s_mov_b64 s[42:43], -1
	s_and_saveexec_b64 s[46:47], s[8:9]
	s_cbranch_execz .LBB1856_234
; %bb.231:
	v_cmp_lt_u32_e64 s[8:9], v22, v27
	s_mov_b64 s[56:57], 0
	s_and_saveexec_b64 s[42:43], s[8:9]
	s_cbranch_execz .LBB1856_233
; %bb.232:
	v_add_f16_e32 v23, 0, v39
	v_add_f16_e32 v24, 0, v38
	v_mov_b32_e32 v48, 0xffff8000
	v_cmp_lt_i16_e64 s[8:9], -1, v23
	v_cndmask_b32_e64 v49, -1, v48, s[8:9]
	v_cmp_lt_i16_e64 s[8:9], -1, v24
	v_cndmask_b32_e64 v48, -1, v48, s[8:9]
	v_xor_b32_e32 v23, v49, v23
	v_xor_b32_e32 v24, v48, v24
	v_cmp_le_u16_e64 s[8:9], v23, v24
	s_and_b64 s[56:57], s[8:9], exec
.LBB1856_233:
	s_or_b64 exec, exec, s[42:43]
	s_orn2_b64 s[42:43], s[56:57], exec
.LBB1856_234:
	s_or_b64 exec, exec, s[46:47]
	v_cndmask_b32_e64 v23, v21, v22, s[42:43]
	v_cndmask_b32_e64 v24, v28, v27, s[42:43]
	v_add_u32_e32 v51, 1, v23
	v_add_u32_e32 v24, -1, v24
	v_min_u32_e32 v24, v51, v24
	v_lshl_add_u32 v24, v24, 1, v14
	ds_read_u16 v49, v24
	v_lshl_add_u32 v23, v23, 3, v12
	ds_read_b64 v[23:24], v23 offset:4096
	v_cndmask_b32_e64 v50, v51, v21, s[42:43]
	v_cndmask_b32_e64 v51, v22, v51, s[42:43]
	s_waitcnt lgkmcnt(1)
	v_cndmask_b32_e64 v48, v49, v38, s[42:43]
	v_cndmask_b32_e64 v49, v39, v49, s[42:43]
	v_cmp_lt_u32_e64 s[8:9], v50, v28
	s_and_saveexec_b64 s[46:47], s[8:9]
	s_cbranch_execz .LBB1856_238
; %bb.235:
	v_cmp_lt_u32_e64 s[8:9], v51, v27
	s_mov_b64 s[56:57], 0
	s_and_saveexec_b64 s[44:45], s[8:9]
	s_cbranch_execz .LBB1856_237
; %bb.236:
	v_add_f16_e32 v21, 0, v49
	v_add_f16_e32 v22, 0, v48
	v_mov_b32_e32 v52, 0xffff8000
	v_cmp_lt_i16_e64 s[8:9], -1, v21
	v_cndmask_b32_e64 v53, -1, v52, s[8:9]
	v_cmp_lt_i16_e64 s[8:9], -1, v22
	v_cndmask_b32_e64 v52, -1, v52, s[8:9]
	v_xor_b32_e32 v21, v53, v21
	v_xor_b32_e32 v22, v52, v22
	v_cmp_le_u16_e64 s[8:9], v21, v22
	s_and_b64 s[56:57], s[8:9], exec
.LBB1856_237:
	s_or_b64 exec, exec, s[44:45]
	s_orn2_b64 s[44:45], s[56:57], exec
.LBB1856_238:
	s_or_b64 exec, exec, s[46:47]
	v_cndmask_b32_e64 v21, v50, v51, s[44:45]
	v_cndmask_b32_e64 v22, v28, v27, s[44:45]
	v_add_u32_e32 v54, 1, v21
	v_add_u32_e32 v22, -1, v22
	v_min_u32_e32 v22, v54, v22
	v_lshl_add_u32 v14, v22, 1, v14
	ds_read_u16 v52, v14
	v_lshl_add_u32 v14, v21, 3, v12
	ds_read_b64 v[21:22], v14 offset:4096
	v_cndmask_b32_e64 v53, v54, v50, s[44:45]
	v_cndmask_b32_e64 v54, v51, v54, s[44:45]
	s_waitcnt lgkmcnt(1)
	v_cndmask_b32_e64 v14, v52, v48, s[44:45]
	v_cndmask_b32_e64 v52, v49, v52, s[44:45]
	v_cmp_lt_u32_e64 s[8:9], v53, v28
	s_mov_b64 s[56:57], -1
	s_and_saveexec_b64 s[46:47], s[8:9]
	s_cbranch_execz .LBB1856_242
; %bb.239:
	v_cmp_lt_u32_e64 s[8:9], v54, v27
	s_mov_b64 s[58:59], 0
	s_and_saveexec_b64 s[56:57], s[8:9]
	s_cbranch_execz .LBB1856_241
; %bb.240:
	v_add_f16_e32 v27, 0, v52
	v_add_f16_e32 v28, 0, v14
	v_mov_b32_e32 v50, 0xffff8000
	v_cmp_lt_i16_e64 s[8:9], -1, v27
	v_cndmask_b32_e64 v51, -1, v50, s[8:9]
	v_cmp_lt_i16_e64 s[8:9], -1, v28
	v_cndmask_b32_e64 v50, -1, v50, s[8:9]
	v_xor_b32_e32 v27, v51, v27
	v_xor_b32_e32 v28, v50, v28
	v_cmp_le_u16_e64 s[8:9], v27, v28
	s_and_b64 s[58:59], s[8:9], exec
.LBB1856_241:
	s_or_b64 exec, exec, s[56:57]
	s_orn2_b64 s[56:57], s[58:59], exec
.LBB1856_242:
	s_or_b64 exec, exec, s[46:47]
	v_cndmask_b32_e64 v51, v25, v26, s[28:29]
	v_cndmask_b32_e64 v25, v53, v54, s[56:57]
	v_lshl_add_u32 v12, v25, 3, v12
	ds_read_b64 v[25:26], v12 offset:4096
	v_cndmask_b32_e64 v50, v48, v49, s[44:45]
	v_cndmask_b32_e64 v38, v38, v39, s[42:43]
	;; [unrolled: 1-line block ×7, first 2 shown]
.LBB1856_243:
	s_or_b64 exec, exec, s[22:23]
	v_add_co_u32_e64 v2, s[8:9], v2, v10
	v_addc_co_u32_e64 v3, s[8:9], v3, v11, s[8:9]
	v_add_co_u32_e64 v2, s[8:9], v2, v32
	v_addc_co_u32_e64 v3, s[8:9], 0, v3, s[8:9]
	; wave barrier
	s_waitcnt lgkmcnt(0)
	s_barrier
	; wave barrier
	s_and_saveexec_b64 s[8:9], vcc
	s_cbranch_execnz .LBB1856_268
; %bb.244:
	s_or_b64 exec, exec, s[8:9]
	s_and_saveexec_b64 s[8:9], s[4:5]
	s_cbranch_execnz .LBB1856_269
.LBB1856_245:
	s_or_b64 exec, exec, s[8:9]
	s_and_saveexec_b64 s[8:9], s[6:7]
	s_cbranch_execnz .LBB1856_270
.LBB1856_246:
	s_or_b64 exec, exec, s[8:9]
	s_and_saveexec_b64 s[8:9], s[18:19]
	s_cbranch_execnz .LBB1856_271
.LBB1856_247:
	s_or_b64 exec, exec, s[8:9]
	s_and_saveexec_b64 s[8:9], s[10:11]
	s_cbranch_execnz .LBB1856_272
.LBB1856_248:
	s_or_b64 exec, exec, s[8:9]
	s_and_saveexec_b64 s[8:9], s[20:21]
	s_cbranch_execnz .LBB1856_273
.LBB1856_249:
	s_or_b64 exec, exec, s[8:9]
	s_and_saveexec_b64 s[8:9], s[14:15]
	s_cbranch_execnz .LBB1856_274
.LBB1856_250:
	s_or_b64 exec, exec, s[8:9]
	s_and_saveexec_b64 s[8:9], s[16:17]
	s_cbranch_execz .LBB1856_252
.LBB1856_251:
	flat_store_short v[2:3], v37 offset:14
.LBB1856_252:
	s_or_b64 exec, exec, s[8:9]
	v_add_co_u32_e64 v0, s[8:9], v6, v0
	v_addc_co_u32_e64 v1, s[8:9], v7, v1, s[8:9]
	v_add_co_u32_e64 v0, s[8:9], v0, v33
	v_addc_co_u32_e64 v1, s[8:9], 0, v1, s[8:9]
	; wave barrier
	s_and_saveexec_b64 s[8:9], vcc
	s_cbranch_execnz .LBB1856_275
; %bb.253:
	s_or_b64 exec, exec, s[8:9]
	s_and_saveexec_b64 s[8:9], s[4:5]
	s_cbranch_execnz .LBB1856_276
.LBB1856_254:
	s_or_b64 exec, exec, s[8:9]
	s_and_saveexec_b64 s[4:5], s[6:7]
	s_cbranch_execnz .LBB1856_277
.LBB1856_255:
	s_or_b64 exec, exec, s[4:5]
	s_and_saveexec_b64 s[4:5], s[18:19]
	s_cbranch_execnz .LBB1856_278
.LBB1856_256:
	s_or_b64 exec, exec, s[4:5]
	s_and_saveexec_b64 s[4:5], s[10:11]
	s_cbranch_execnz .LBB1856_279
.LBB1856_257:
	s_or_b64 exec, exec, s[4:5]
	s_and_saveexec_b64 s[4:5], s[20:21]
	s_cbranch_execnz .LBB1856_280
.LBB1856_258:
	s_or_b64 exec, exec, s[4:5]
	s_and_saveexec_b64 s[4:5], s[14:15]
	s_cbranch_execnz .LBB1856_281
.LBB1856_259:
	s_or_b64 exec, exec, s[4:5]
	s_and_saveexec_b64 s[4:5], s[16:17]
	s_cbranch_execnz .LBB1856_282
.LBB1856_260:
	s_or_b64 exec, exec, s[4:5]
	s_waitcnt vmcnt(0) lgkmcnt(0)
	s_setpc_b64 s[30:31]
.LBB1856_261:
	flat_load_dwordx2 v[4:5], v[12:13]
	s_or_b64 exec, exec, s[22:23]
                                        ; implicit-def: $vgpr8_vgpr9
	s_and_saveexec_b64 s[22:23], s[4:5]
	s_cbranch_execz .LBB1856_18
.LBB1856_262:
	flat_load_dwordx2 v[8:9], v[12:13] offset:8
	s_or_b64 exec, exec, s[22:23]
                                        ; implicit-def: $vgpr15_vgpr16
	s_and_saveexec_b64 s[22:23], s[6:7]
	s_cbranch_execz .LBB1856_19
.LBB1856_263:
	flat_load_dwordx2 v[15:16], v[12:13] offset:16
	s_or_b64 exec, exec, s[22:23]
                                        ; implicit-def: $vgpr17_vgpr18
	s_and_saveexec_b64 s[22:23], s[18:19]
	s_cbranch_execz .LBB1856_20
.LBB1856_264:
	flat_load_dwordx2 v[17:18], v[12:13] offset:24
	s_or_b64 exec, exec, s[22:23]
                                        ; implicit-def: $vgpr19_vgpr20
	s_and_saveexec_b64 s[22:23], s[10:11]
	s_cbranch_execz .LBB1856_21
.LBB1856_265:
	flat_load_dwordx2 v[19:20], v[12:13] offset:32
	s_or_b64 exec, exec, s[22:23]
                                        ; implicit-def: $vgpr23_vgpr24
	s_and_saveexec_b64 s[22:23], s[20:21]
	s_cbranch_execz .LBB1856_22
.LBB1856_266:
	flat_load_dwordx2 v[23:24], v[12:13] offset:40
	s_or_b64 exec, exec, s[22:23]
                                        ; implicit-def: $vgpr21_vgpr22
	s_and_saveexec_b64 s[22:23], s[14:15]
	s_cbranch_execz .LBB1856_23
.LBB1856_267:
	flat_load_dwordx2 v[21:22], v[12:13] offset:48
	s_or_b64 exec, exec, s[22:23]
                                        ; implicit-def: $vgpr25_vgpr26
	s_and_saveexec_b64 s[22:23], s[16:17]
	s_cbranch_execnz .LBB1856_24
	s_branch .LBB1856_25
.LBB1856_268:
	flat_store_short v[2:3], v36
	s_or_b64 exec, exec, s[8:9]
	s_and_saveexec_b64 s[8:9], s[4:5]
	s_cbranch_execz .LBB1856_245
.LBB1856_269:
	flat_store_short v[2:3], v48 offset:2
	s_or_b64 exec, exec, s[8:9]
	s_and_saveexec_b64 s[8:9], s[6:7]
	s_cbranch_execz .LBB1856_246
.LBB1856_270:
	flat_store_short v[2:3], v49 offset:4
	s_or_b64 exec, exec, s[8:9]
	s_and_saveexec_b64 s[8:9], s[18:19]
	s_cbranch_execz .LBB1856_247
.LBB1856_271:
	flat_store_short v[2:3], v51 offset:6
	s_or_b64 exec, exec, s[8:9]
	s_and_saveexec_b64 s[8:9], s[10:11]
	s_cbranch_execz .LBB1856_248
.LBB1856_272:
	flat_store_short v[2:3], v39 offset:8
	s_or_b64 exec, exec, s[8:9]
	s_and_saveexec_b64 s[8:9], s[20:21]
	s_cbranch_execz .LBB1856_249
.LBB1856_273:
	flat_store_short v[2:3], v38 offset:10
	s_or_b64 exec, exec, s[8:9]
	s_and_saveexec_b64 s[8:9], s[14:15]
	s_cbranch_execz .LBB1856_250
.LBB1856_274:
	flat_store_short v[2:3], v50 offset:12
	s_or_b64 exec, exec, s[8:9]
	s_and_saveexec_b64 s[8:9], s[16:17]
	s_cbranch_execnz .LBB1856_251
	s_branch .LBB1856_252
.LBB1856_275:
	flat_store_dwordx2 v[0:1], v[4:5]
	s_or_b64 exec, exec, s[8:9]
	s_and_saveexec_b64 s[8:9], s[4:5]
	s_cbranch_execz .LBB1856_254
.LBB1856_276:
	flat_store_dwordx2 v[0:1], v[8:9] offset:8
	s_or_b64 exec, exec, s[8:9]
	s_and_saveexec_b64 s[4:5], s[6:7]
	s_cbranch_execz .LBB1856_255
.LBB1856_277:
	flat_store_dwordx2 v[0:1], v[15:16] offset:16
	s_or_b64 exec, exec, s[4:5]
	s_and_saveexec_b64 s[4:5], s[18:19]
	s_cbranch_execz .LBB1856_256
.LBB1856_278:
	flat_store_dwordx2 v[0:1], v[17:18] offset:24
	s_or_b64 exec, exec, s[4:5]
	s_and_saveexec_b64 s[4:5], s[10:11]
	s_cbranch_execz .LBB1856_257
.LBB1856_279:
	flat_store_dwordx2 v[0:1], v[19:20] offset:32
	s_or_b64 exec, exec, s[4:5]
	s_and_saveexec_b64 s[4:5], s[20:21]
	s_cbranch_execz .LBB1856_258
.LBB1856_280:
	flat_store_dwordx2 v[0:1], v[23:24] offset:40
	s_or_b64 exec, exec, s[4:5]
	s_and_saveexec_b64 s[4:5], s[14:15]
	s_cbranch_execz .LBB1856_259
.LBB1856_281:
	flat_store_dwordx2 v[0:1], v[21:22] offset:48
	s_or_b64 exec, exec, s[4:5]
	s_and_saveexec_b64 s[4:5], s[16:17]
	s_cbranch_execz .LBB1856_260
.LBB1856_282:
	flat_store_dwordx2 v[0:1], v[25:26] offset:56
	s_or_b64 exec, exec, s[4:5]
	s_waitcnt vmcnt(0) lgkmcnt(0)
	s_setpc_b64 s[30:31]
.Lfunc_end1856:
	.size	_ZN7rocprim17ROCPRIM_400000_NS6detail26segmented_warp_sort_helperINS1_20WarpSortHelperConfigILj16ELj8ELj256EEE6__halflLi256ELb0EvE4sortIPKS5_PS5_PKlPlEEvT_T0_T1_T2_jjjjRNS6_12storage_typeE, .Lfunc_end1856-_ZN7rocprim17ROCPRIM_400000_NS6detail26segmented_warp_sort_helperINS1_20WarpSortHelperConfigILj16ELj8ELj256EEE6__halflLi256ELb0EvE4sortIPKS5_PS5_PKlPlEEvT_T0_T1_T2_jjjjRNS6_12storage_typeE
                                        ; -- End function
	.set .L_ZN7rocprim17ROCPRIM_400000_NS6detail26segmented_warp_sort_helperINS1_20WarpSortHelperConfigILj16ELj8ELj256EEE6__halflLi256ELb0EvE4sortIPKS5_PS5_PKlPlEEvT_T0_T1_T2_jjjjRNS6_12storage_typeE.num_vgpr, 71
	.set .L_ZN7rocprim17ROCPRIM_400000_NS6detail26segmented_warp_sort_helperINS1_20WarpSortHelperConfigILj16ELj8ELj256EEE6__halflLi256ELb0EvE4sortIPKS5_PS5_PKlPlEEvT_T0_T1_T2_jjjjRNS6_12storage_typeE.num_agpr, 0
	.set .L_ZN7rocprim17ROCPRIM_400000_NS6detail26segmented_warp_sort_helperINS1_20WarpSortHelperConfigILj16ELj8ELj256EEE6__halflLi256ELb0EvE4sortIPKS5_PS5_PKlPlEEvT_T0_T1_T2_jjjjRNS6_12storage_typeE.numbered_sgpr, 60
	.set .L_ZN7rocprim17ROCPRIM_400000_NS6detail26segmented_warp_sort_helperINS1_20WarpSortHelperConfigILj16ELj8ELj256EEE6__halflLi256ELb0EvE4sortIPKS5_PS5_PKlPlEEvT_T0_T1_T2_jjjjRNS6_12storage_typeE.num_named_barrier, 0
	.set .L_ZN7rocprim17ROCPRIM_400000_NS6detail26segmented_warp_sort_helperINS1_20WarpSortHelperConfigILj16ELj8ELj256EEE6__halflLi256ELb0EvE4sortIPKS5_PS5_PKlPlEEvT_T0_T1_T2_jjjjRNS6_12storage_typeE.private_seg_size, 0
	.set .L_ZN7rocprim17ROCPRIM_400000_NS6detail26segmented_warp_sort_helperINS1_20WarpSortHelperConfigILj16ELj8ELj256EEE6__halflLi256ELb0EvE4sortIPKS5_PS5_PKlPlEEvT_T0_T1_T2_jjjjRNS6_12storage_typeE.uses_vcc, 1
	.set .L_ZN7rocprim17ROCPRIM_400000_NS6detail26segmented_warp_sort_helperINS1_20WarpSortHelperConfigILj16ELj8ELj256EEE6__halflLi256ELb0EvE4sortIPKS5_PS5_PKlPlEEvT_T0_T1_T2_jjjjRNS6_12storage_typeE.uses_flat_scratch, 0
	.set .L_ZN7rocprim17ROCPRIM_400000_NS6detail26segmented_warp_sort_helperINS1_20WarpSortHelperConfigILj16ELj8ELj256EEE6__halflLi256ELb0EvE4sortIPKS5_PS5_PKlPlEEvT_T0_T1_T2_jjjjRNS6_12storage_typeE.has_dyn_sized_stack, 0
	.set .L_ZN7rocprim17ROCPRIM_400000_NS6detail26segmented_warp_sort_helperINS1_20WarpSortHelperConfigILj16ELj8ELj256EEE6__halflLi256ELb0EvE4sortIPKS5_PS5_PKlPlEEvT_T0_T1_T2_jjjjRNS6_12storage_typeE.has_recursion, 0
	.set .L_ZN7rocprim17ROCPRIM_400000_NS6detail26segmented_warp_sort_helperINS1_20WarpSortHelperConfigILj16ELj8ELj256EEE6__halflLi256ELb0EvE4sortIPKS5_PS5_PKlPlEEvT_T0_T1_T2_jjjjRNS6_12storage_typeE.has_indirect_call, 0
	.section	.AMDGPU.csdata,"",@progbits
; Function info:
; codeLenInByte = 13212
; TotalNumSgprs: 64
; NumVgprs: 71
; ScratchSize: 0
; MemoryBound: 0
	.section	.text._ZN7rocprim17ROCPRIM_400000_NS6detail17trampoline_kernelINS0_14default_configENS1_36segmented_radix_sort_config_selectorI6__halflEEZNS1_25segmented_radix_sort_implIS3_Lb0EPKS5_PS5_PKlPlN2at6native12_GLOBAL__N_18offset_tEEE10hipError_tPvRmT1_PNSt15iterator_traitsISL_E10value_typeET2_T3_PNSM_ISR_E10value_typeET4_jRbjT5_SX_jjP12ihipStream_tbEUlT_E0_NS1_11comp_targetILNS1_3genE2ELNS1_11target_archE906ELNS1_3gpuE6ELNS1_3repE0EEENS1_60segmented_radix_sort_warp_sort_medium_config_static_selectorELNS0_4arch9wavefront6targetE1EEEvSL_,"axG",@progbits,_ZN7rocprim17ROCPRIM_400000_NS6detail17trampoline_kernelINS0_14default_configENS1_36segmented_radix_sort_config_selectorI6__halflEEZNS1_25segmented_radix_sort_implIS3_Lb0EPKS5_PS5_PKlPlN2at6native12_GLOBAL__N_18offset_tEEE10hipError_tPvRmT1_PNSt15iterator_traitsISL_E10value_typeET2_T3_PNSM_ISR_E10value_typeET4_jRbjT5_SX_jjP12ihipStream_tbEUlT_E0_NS1_11comp_targetILNS1_3genE2ELNS1_11target_archE906ELNS1_3gpuE6ELNS1_3repE0EEENS1_60segmented_radix_sort_warp_sort_medium_config_static_selectorELNS0_4arch9wavefront6targetE1EEEvSL_,comdat
	.globl	_ZN7rocprim17ROCPRIM_400000_NS6detail17trampoline_kernelINS0_14default_configENS1_36segmented_radix_sort_config_selectorI6__halflEEZNS1_25segmented_radix_sort_implIS3_Lb0EPKS5_PS5_PKlPlN2at6native12_GLOBAL__N_18offset_tEEE10hipError_tPvRmT1_PNSt15iterator_traitsISL_E10value_typeET2_T3_PNSM_ISR_E10value_typeET4_jRbjT5_SX_jjP12ihipStream_tbEUlT_E0_NS1_11comp_targetILNS1_3genE2ELNS1_11target_archE906ELNS1_3gpuE6ELNS1_3repE0EEENS1_60segmented_radix_sort_warp_sort_medium_config_static_selectorELNS0_4arch9wavefront6targetE1EEEvSL_ ; -- Begin function _ZN7rocprim17ROCPRIM_400000_NS6detail17trampoline_kernelINS0_14default_configENS1_36segmented_radix_sort_config_selectorI6__halflEEZNS1_25segmented_radix_sort_implIS3_Lb0EPKS5_PS5_PKlPlN2at6native12_GLOBAL__N_18offset_tEEE10hipError_tPvRmT1_PNSt15iterator_traitsISL_E10value_typeET2_T3_PNSM_ISR_E10value_typeET4_jRbjT5_SX_jjP12ihipStream_tbEUlT_E0_NS1_11comp_targetILNS1_3genE2ELNS1_11target_archE906ELNS1_3gpuE6ELNS1_3repE0EEENS1_60segmented_radix_sort_warp_sort_medium_config_static_selectorELNS0_4arch9wavefront6targetE1EEEvSL_
	.p2align	8
	.type	_ZN7rocprim17ROCPRIM_400000_NS6detail17trampoline_kernelINS0_14default_configENS1_36segmented_radix_sort_config_selectorI6__halflEEZNS1_25segmented_radix_sort_implIS3_Lb0EPKS5_PS5_PKlPlN2at6native12_GLOBAL__N_18offset_tEEE10hipError_tPvRmT1_PNSt15iterator_traitsISL_E10value_typeET2_T3_PNSM_ISR_E10value_typeET4_jRbjT5_SX_jjP12ihipStream_tbEUlT_E0_NS1_11comp_targetILNS1_3genE2ELNS1_11target_archE906ELNS1_3gpuE6ELNS1_3repE0EEENS1_60segmented_radix_sort_warp_sort_medium_config_static_selectorELNS0_4arch9wavefront6targetE1EEEvSL_,@function
_ZN7rocprim17ROCPRIM_400000_NS6detail17trampoline_kernelINS0_14default_configENS1_36segmented_radix_sort_config_selectorI6__halflEEZNS1_25segmented_radix_sort_implIS3_Lb0EPKS5_PS5_PKlPlN2at6native12_GLOBAL__N_18offset_tEEE10hipError_tPvRmT1_PNSt15iterator_traitsISL_E10value_typeET2_T3_PNSM_ISR_E10value_typeET4_jRbjT5_SX_jjP12ihipStream_tbEUlT_E0_NS1_11comp_targetILNS1_3genE2ELNS1_11target_archE906ELNS1_3gpuE6ELNS1_3repE0EEENS1_60segmented_radix_sort_warp_sort_medium_config_static_selectorELNS0_4arch9wavefront6targetE1EEEvSL_: ; @_ZN7rocprim17ROCPRIM_400000_NS6detail17trampoline_kernelINS0_14default_configENS1_36segmented_radix_sort_config_selectorI6__halflEEZNS1_25segmented_radix_sort_implIS3_Lb0EPKS5_PS5_PKlPlN2at6native12_GLOBAL__N_18offset_tEEE10hipError_tPvRmT1_PNSt15iterator_traitsISL_E10value_typeET2_T3_PNSM_ISR_E10value_typeET4_jRbjT5_SX_jjP12ihipStream_tbEUlT_E0_NS1_11comp_targetILNS1_3genE2ELNS1_11target_archE906ELNS1_3gpuE6ELNS1_3repE0EEENS1_60segmented_radix_sort_warp_sort_medium_config_static_selectorELNS0_4arch9wavefront6targetE1EEEvSL_
; %bb.0:
	s_add_u32 s0, s0, s8
	s_load_dword s8, s[4:5], 0x64
	s_addc_u32 s1, s1, 0
	s_mov_b32 s32, 0
	s_waitcnt lgkmcnt(0)
	s_lshr_b32 s9, s8, 16
	s_and_b32 s8, s8, 0xffff
	v_mad_u32_u24 v3, v2, s9, v1
	v_mad_u64_u32 v[3:4], s[8:9], v3, s8, v[0:1]
	s_load_dword s8, s[4:5], 0x34
	v_lshrrev_b32_e32 v3, 4, v3
	v_lshl_add_u32 v3, s6, 4, v3
	s_waitcnt lgkmcnt(0)
	v_cmp_gt_u32_e32 vcc, s8, v3
	s_and_saveexec_b64 s[8:9], vcc
	s_cbranch_execz .LBB1857_6
; %bb.1:
	s_load_dwordx2 s[12:13], s[4:5], 0x38
	s_load_dwordx4 s[8:11], s[4:5], 0x40
	v_mov_b32_e32 v4, 0
	v_lshlrev_b64 v[3:4], 2, v[3:4]
	s_waitcnt lgkmcnt(0)
	v_mov_b32_e32 v5, s13
	v_add_co_u32_e32 v3, vcc, s12, v3
	v_addc_co_u32_e32 v4, vcc, v5, v4, vcc
	global_load_dword v3, v[3:4], off
	s_waitcnt vmcnt(0)
	v_add_u32_e32 v4, s9, v3
	v_add_u32_e32 v3, s11, v3
	v_mul_lo_u32 v40, v4, s8
	v_mul_lo_u32 v41, v3, s10
	v_cmp_gt_u32_e32 vcc, v41, v40
	s_and_b64 exec, exec, vcc
	s_cbranch_execz .LBB1857_6
; %bb.2:
	s_load_dword s10, s[4:5], 0x30
	s_load_dwordx4 s[36:39], s[4:5], 0x20
	s_load_dwordx8 s[48:55], s[4:5], 0x0
	s_mov_b64 s[8:9], -1
	v_lshlrev_b32_e32 v43, 20, v2
	s_waitcnt lgkmcnt(0)
	s_bitcmp0_b32 s10, 0
	v_lshlrev_b32_e32 v44, 10, v1
	s_cbranch_scc0 .LBB1857_4
; %bb.3:
	s_add_u32 s8, s4, 0x58
	s_addc_u32 s9, s5, 0
	s_getpc_b64 s[10:11]
	s_add_u32 s10, s10, _ZN7rocprim17ROCPRIM_400000_NS6detail26segmented_warp_sort_helperINS1_20WarpSortHelperConfigILj16ELj8ELj256EEE6__halflLi256ELb0EvE4sortIPKS5_PS5_PKlPlEEvT_T0_T1_T2_jjjjRNS6_12storage_typeE@rel32@lo+4
	s_addc_u32 s11, s11, _ZN7rocprim17ROCPRIM_400000_NS6detail26segmented_warp_sort_helperINS1_20WarpSortHelperConfigILj16ELj8ELj256EEE6__halflLi256ELb0EvE4sortIPKS5_PS5_PKlPlEEvT_T0_T1_T2_jjjjRNS6_12storage_typeE@rel32@hi+12
	v_or3_b32 v31, v0, v44, v43
	s_mov_b32 s12, s6
	s_mov_b32 s13, s7
	v_mov_b32_e32 v42, v0
	v_mov_b32_e32 v0, s48
	;; [unrolled: 1-line block ×11, first 2 shown]
	s_mov_b64 s[34:35], s[4:5]
	s_mov_b32 s36, s7
	s_mov_b32 s33, s6
	s_swappc_b64 s[30:31], s[10:11]
	v_mov_b32_e32 v0, v42
	s_mov_b32 s6, s33
	s_mov_b32 s7, s36
	s_mov_b64 s[4:5], s[34:35]
	s_mov_b64 s[8:9], 0
.LBB1857_4:
	s_andn2_b64 vcc, exec, s[8:9]
	s_cbranch_vccnz .LBB1857_6
; %bb.5:
	s_add_u32 s8, s4, 0x58
	s_addc_u32 s9, s5, 0
	s_getpc_b64 s[4:5]
	s_add_u32 s4, s4, _ZN7rocprim17ROCPRIM_400000_NS6detail26segmented_warp_sort_helperINS1_20WarpSortHelperConfigILj16ELj8ELj256EEE6__halflLi256ELb0EvE4sortIPKS5_PS5_PKlPlEEvT_T0_T1_T2_jjjjRNS6_12storage_typeE@rel32@lo+4
	s_addc_u32 s5, s5, _ZN7rocprim17ROCPRIM_400000_NS6detail26segmented_warp_sort_helperINS1_20WarpSortHelperConfigILj16ELj8ELj256EEE6__halflLi256ELb0EvE4sortIPKS5_PS5_PKlPlEEvT_T0_T1_T2_jjjjRNS6_12storage_typeE@rel32@hi+12
	v_or3_b32 v31, v0, v44, v43
	s_mov_b32 s12, s6
	s_mov_b32 s13, s7
	v_mov_b32_e32 v0, s48
	v_mov_b32_e32 v1, s49
	v_mov_b32_e32 v2, s52
	v_mov_b32_e32 v3, s53
	v_mov_b32_e32 v4, s54
	v_mov_b32_e32 v5, s55
	v_mov_b32_e32 v6, s38
	v_mov_b32_e32 v7, s39
	v_mov_b32_e32 v8, v40
	v_mov_b32_e32 v9, v41
	s_swappc_b64 s[30:31], s[4:5]
.LBB1857_6:
	s_endpgm
	.section	.rodata,"a",@progbits
	.p2align	6, 0x0
	.amdhsa_kernel _ZN7rocprim17ROCPRIM_400000_NS6detail17trampoline_kernelINS0_14default_configENS1_36segmented_radix_sort_config_selectorI6__halflEEZNS1_25segmented_radix_sort_implIS3_Lb0EPKS5_PS5_PKlPlN2at6native12_GLOBAL__N_18offset_tEEE10hipError_tPvRmT1_PNSt15iterator_traitsISL_E10value_typeET2_T3_PNSM_ISR_E10value_typeET4_jRbjT5_SX_jjP12ihipStream_tbEUlT_E0_NS1_11comp_targetILNS1_3genE2ELNS1_11target_archE906ELNS1_3gpuE6ELNS1_3repE0EEENS1_60segmented_radix_sort_warp_sort_medium_config_static_selectorELNS0_4arch9wavefront6targetE1EEEvSL_
		.amdhsa_group_segment_fixed_size 20480
		.amdhsa_private_segment_fixed_size 0
		.amdhsa_kernarg_size 344
		.amdhsa_user_sgpr_count 6
		.amdhsa_user_sgpr_private_segment_buffer 1
		.amdhsa_user_sgpr_dispatch_ptr 0
		.amdhsa_user_sgpr_queue_ptr 0
		.amdhsa_user_sgpr_kernarg_segment_ptr 1
		.amdhsa_user_sgpr_dispatch_id 0
		.amdhsa_user_sgpr_flat_scratch_init 0
		.amdhsa_user_sgpr_private_segment_size 0
		.amdhsa_uses_dynamic_stack 0
		.amdhsa_system_sgpr_private_segment_wavefront_offset 0
		.amdhsa_system_sgpr_workgroup_id_x 1
		.amdhsa_system_sgpr_workgroup_id_y 1
		.amdhsa_system_sgpr_workgroup_id_z 0
		.amdhsa_system_sgpr_workgroup_info 0
		.amdhsa_system_vgpr_workitem_id 2
		.amdhsa_next_free_vgpr 71
		.amdhsa_next_free_sgpr 98
		.amdhsa_reserve_vcc 1
		.amdhsa_reserve_flat_scratch 0
		.amdhsa_float_round_mode_32 0
		.amdhsa_float_round_mode_16_64 0
		.amdhsa_float_denorm_mode_32 3
		.amdhsa_float_denorm_mode_16_64 3
		.amdhsa_dx10_clamp 1
		.amdhsa_ieee_mode 1
		.amdhsa_fp16_overflow 0
		.amdhsa_exception_fp_ieee_invalid_op 0
		.amdhsa_exception_fp_denorm_src 0
		.amdhsa_exception_fp_ieee_div_zero 0
		.amdhsa_exception_fp_ieee_overflow 0
		.amdhsa_exception_fp_ieee_underflow 0
		.amdhsa_exception_fp_ieee_inexact 0
		.amdhsa_exception_int_div_zero 0
	.end_amdhsa_kernel
	.section	.text._ZN7rocprim17ROCPRIM_400000_NS6detail17trampoline_kernelINS0_14default_configENS1_36segmented_radix_sort_config_selectorI6__halflEEZNS1_25segmented_radix_sort_implIS3_Lb0EPKS5_PS5_PKlPlN2at6native12_GLOBAL__N_18offset_tEEE10hipError_tPvRmT1_PNSt15iterator_traitsISL_E10value_typeET2_T3_PNSM_ISR_E10value_typeET4_jRbjT5_SX_jjP12ihipStream_tbEUlT_E0_NS1_11comp_targetILNS1_3genE2ELNS1_11target_archE906ELNS1_3gpuE6ELNS1_3repE0EEENS1_60segmented_radix_sort_warp_sort_medium_config_static_selectorELNS0_4arch9wavefront6targetE1EEEvSL_,"axG",@progbits,_ZN7rocprim17ROCPRIM_400000_NS6detail17trampoline_kernelINS0_14default_configENS1_36segmented_radix_sort_config_selectorI6__halflEEZNS1_25segmented_radix_sort_implIS3_Lb0EPKS5_PS5_PKlPlN2at6native12_GLOBAL__N_18offset_tEEE10hipError_tPvRmT1_PNSt15iterator_traitsISL_E10value_typeET2_T3_PNSM_ISR_E10value_typeET4_jRbjT5_SX_jjP12ihipStream_tbEUlT_E0_NS1_11comp_targetILNS1_3genE2ELNS1_11target_archE906ELNS1_3gpuE6ELNS1_3repE0EEENS1_60segmented_radix_sort_warp_sort_medium_config_static_selectorELNS0_4arch9wavefront6targetE1EEEvSL_,comdat
.Lfunc_end1857:
	.size	_ZN7rocprim17ROCPRIM_400000_NS6detail17trampoline_kernelINS0_14default_configENS1_36segmented_radix_sort_config_selectorI6__halflEEZNS1_25segmented_radix_sort_implIS3_Lb0EPKS5_PS5_PKlPlN2at6native12_GLOBAL__N_18offset_tEEE10hipError_tPvRmT1_PNSt15iterator_traitsISL_E10value_typeET2_T3_PNSM_ISR_E10value_typeET4_jRbjT5_SX_jjP12ihipStream_tbEUlT_E0_NS1_11comp_targetILNS1_3genE2ELNS1_11target_archE906ELNS1_3gpuE6ELNS1_3repE0EEENS1_60segmented_radix_sort_warp_sort_medium_config_static_selectorELNS0_4arch9wavefront6targetE1EEEvSL_, .Lfunc_end1857-_ZN7rocprim17ROCPRIM_400000_NS6detail17trampoline_kernelINS0_14default_configENS1_36segmented_radix_sort_config_selectorI6__halflEEZNS1_25segmented_radix_sort_implIS3_Lb0EPKS5_PS5_PKlPlN2at6native12_GLOBAL__N_18offset_tEEE10hipError_tPvRmT1_PNSt15iterator_traitsISL_E10value_typeET2_T3_PNSM_ISR_E10value_typeET4_jRbjT5_SX_jjP12ihipStream_tbEUlT_E0_NS1_11comp_targetILNS1_3genE2ELNS1_11target_archE906ELNS1_3gpuE6ELNS1_3repE0EEENS1_60segmented_radix_sort_warp_sort_medium_config_static_selectorELNS0_4arch9wavefront6targetE1EEEvSL_
                                        ; -- End function
	.set _ZN7rocprim17ROCPRIM_400000_NS6detail17trampoline_kernelINS0_14default_configENS1_36segmented_radix_sort_config_selectorI6__halflEEZNS1_25segmented_radix_sort_implIS3_Lb0EPKS5_PS5_PKlPlN2at6native12_GLOBAL__N_18offset_tEEE10hipError_tPvRmT1_PNSt15iterator_traitsISL_E10value_typeET2_T3_PNSM_ISR_E10value_typeET4_jRbjT5_SX_jjP12ihipStream_tbEUlT_E0_NS1_11comp_targetILNS1_3genE2ELNS1_11target_archE906ELNS1_3gpuE6ELNS1_3repE0EEENS1_60segmented_radix_sort_warp_sort_medium_config_static_selectorELNS0_4arch9wavefront6targetE1EEEvSL_.num_vgpr, max(45, .L_ZN7rocprim17ROCPRIM_400000_NS6detail26segmented_warp_sort_helperINS1_20WarpSortHelperConfigILj16ELj8ELj256EEE6__halflLi256ELb0EvE4sortIPKS5_PS5_PKlPlEEvT_T0_T1_T2_jjjjRNS6_12storage_typeE.num_vgpr)
	.set _ZN7rocprim17ROCPRIM_400000_NS6detail17trampoline_kernelINS0_14default_configENS1_36segmented_radix_sort_config_selectorI6__halflEEZNS1_25segmented_radix_sort_implIS3_Lb0EPKS5_PS5_PKlPlN2at6native12_GLOBAL__N_18offset_tEEE10hipError_tPvRmT1_PNSt15iterator_traitsISL_E10value_typeET2_T3_PNSM_ISR_E10value_typeET4_jRbjT5_SX_jjP12ihipStream_tbEUlT_E0_NS1_11comp_targetILNS1_3genE2ELNS1_11target_archE906ELNS1_3gpuE6ELNS1_3repE0EEENS1_60segmented_radix_sort_warp_sort_medium_config_static_selectorELNS0_4arch9wavefront6targetE1EEEvSL_.num_agpr, max(0, .L_ZN7rocprim17ROCPRIM_400000_NS6detail26segmented_warp_sort_helperINS1_20WarpSortHelperConfigILj16ELj8ELj256EEE6__halflLi256ELb0EvE4sortIPKS5_PS5_PKlPlEEvT_T0_T1_T2_jjjjRNS6_12storage_typeE.num_agpr)
	.set _ZN7rocprim17ROCPRIM_400000_NS6detail17trampoline_kernelINS0_14default_configENS1_36segmented_radix_sort_config_selectorI6__halflEEZNS1_25segmented_radix_sort_implIS3_Lb0EPKS5_PS5_PKlPlN2at6native12_GLOBAL__N_18offset_tEEE10hipError_tPvRmT1_PNSt15iterator_traitsISL_E10value_typeET2_T3_PNSM_ISR_E10value_typeET4_jRbjT5_SX_jjP12ihipStream_tbEUlT_E0_NS1_11comp_targetILNS1_3genE2ELNS1_11target_archE906ELNS1_3gpuE6ELNS1_3repE0EEENS1_60segmented_radix_sort_warp_sort_medium_config_static_selectorELNS0_4arch9wavefront6targetE1EEEvSL_.numbered_sgpr, max(56, .L_ZN7rocprim17ROCPRIM_400000_NS6detail26segmented_warp_sort_helperINS1_20WarpSortHelperConfigILj16ELj8ELj256EEE6__halflLi256ELb0EvE4sortIPKS5_PS5_PKlPlEEvT_T0_T1_T2_jjjjRNS6_12storage_typeE.numbered_sgpr)
	.set _ZN7rocprim17ROCPRIM_400000_NS6detail17trampoline_kernelINS0_14default_configENS1_36segmented_radix_sort_config_selectorI6__halflEEZNS1_25segmented_radix_sort_implIS3_Lb0EPKS5_PS5_PKlPlN2at6native12_GLOBAL__N_18offset_tEEE10hipError_tPvRmT1_PNSt15iterator_traitsISL_E10value_typeET2_T3_PNSM_ISR_E10value_typeET4_jRbjT5_SX_jjP12ihipStream_tbEUlT_E0_NS1_11comp_targetILNS1_3genE2ELNS1_11target_archE906ELNS1_3gpuE6ELNS1_3repE0EEENS1_60segmented_radix_sort_warp_sort_medium_config_static_selectorELNS0_4arch9wavefront6targetE1EEEvSL_.num_named_barrier, max(0, .L_ZN7rocprim17ROCPRIM_400000_NS6detail26segmented_warp_sort_helperINS1_20WarpSortHelperConfigILj16ELj8ELj256EEE6__halflLi256ELb0EvE4sortIPKS5_PS5_PKlPlEEvT_T0_T1_T2_jjjjRNS6_12storage_typeE.num_named_barrier)
	.set _ZN7rocprim17ROCPRIM_400000_NS6detail17trampoline_kernelINS0_14default_configENS1_36segmented_radix_sort_config_selectorI6__halflEEZNS1_25segmented_radix_sort_implIS3_Lb0EPKS5_PS5_PKlPlN2at6native12_GLOBAL__N_18offset_tEEE10hipError_tPvRmT1_PNSt15iterator_traitsISL_E10value_typeET2_T3_PNSM_ISR_E10value_typeET4_jRbjT5_SX_jjP12ihipStream_tbEUlT_E0_NS1_11comp_targetILNS1_3genE2ELNS1_11target_archE906ELNS1_3gpuE6ELNS1_3repE0EEENS1_60segmented_radix_sort_warp_sort_medium_config_static_selectorELNS0_4arch9wavefront6targetE1EEEvSL_.private_seg_size, 0+max(.L_ZN7rocprim17ROCPRIM_400000_NS6detail26segmented_warp_sort_helperINS1_20WarpSortHelperConfigILj16ELj8ELj256EEE6__halflLi256ELb0EvE4sortIPKS5_PS5_PKlPlEEvT_T0_T1_T2_jjjjRNS6_12storage_typeE.private_seg_size)
	.set _ZN7rocprim17ROCPRIM_400000_NS6detail17trampoline_kernelINS0_14default_configENS1_36segmented_radix_sort_config_selectorI6__halflEEZNS1_25segmented_radix_sort_implIS3_Lb0EPKS5_PS5_PKlPlN2at6native12_GLOBAL__N_18offset_tEEE10hipError_tPvRmT1_PNSt15iterator_traitsISL_E10value_typeET2_T3_PNSM_ISR_E10value_typeET4_jRbjT5_SX_jjP12ihipStream_tbEUlT_E0_NS1_11comp_targetILNS1_3genE2ELNS1_11target_archE906ELNS1_3gpuE6ELNS1_3repE0EEENS1_60segmented_radix_sort_warp_sort_medium_config_static_selectorELNS0_4arch9wavefront6targetE1EEEvSL_.uses_vcc, or(1, .L_ZN7rocprim17ROCPRIM_400000_NS6detail26segmented_warp_sort_helperINS1_20WarpSortHelperConfigILj16ELj8ELj256EEE6__halflLi256ELb0EvE4sortIPKS5_PS5_PKlPlEEvT_T0_T1_T2_jjjjRNS6_12storage_typeE.uses_vcc)
	.set _ZN7rocprim17ROCPRIM_400000_NS6detail17trampoline_kernelINS0_14default_configENS1_36segmented_radix_sort_config_selectorI6__halflEEZNS1_25segmented_radix_sort_implIS3_Lb0EPKS5_PS5_PKlPlN2at6native12_GLOBAL__N_18offset_tEEE10hipError_tPvRmT1_PNSt15iterator_traitsISL_E10value_typeET2_T3_PNSM_ISR_E10value_typeET4_jRbjT5_SX_jjP12ihipStream_tbEUlT_E0_NS1_11comp_targetILNS1_3genE2ELNS1_11target_archE906ELNS1_3gpuE6ELNS1_3repE0EEENS1_60segmented_radix_sort_warp_sort_medium_config_static_selectorELNS0_4arch9wavefront6targetE1EEEvSL_.uses_flat_scratch, or(0, .L_ZN7rocprim17ROCPRIM_400000_NS6detail26segmented_warp_sort_helperINS1_20WarpSortHelperConfigILj16ELj8ELj256EEE6__halflLi256ELb0EvE4sortIPKS5_PS5_PKlPlEEvT_T0_T1_T2_jjjjRNS6_12storage_typeE.uses_flat_scratch)
	.set _ZN7rocprim17ROCPRIM_400000_NS6detail17trampoline_kernelINS0_14default_configENS1_36segmented_radix_sort_config_selectorI6__halflEEZNS1_25segmented_radix_sort_implIS3_Lb0EPKS5_PS5_PKlPlN2at6native12_GLOBAL__N_18offset_tEEE10hipError_tPvRmT1_PNSt15iterator_traitsISL_E10value_typeET2_T3_PNSM_ISR_E10value_typeET4_jRbjT5_SX_jjP12ihipStream_tbEUlT_E0_NS1_11comp_targetILNS1_3genE2ELNS1_11target_archE906ELNS1_3gpuE6ELNS1_3repE0EEENS1_60segmented_radix_sort_warp_sort_medium_config_static_selectorELNS0_4arch9wavefront6targetE1EEEvSL_.has_dyn_sized_stack, or(0, .L_ZN7rocprim17ROCPRIM_400000_NS6detail26segmented_warp_sort_helperINS1_20WarpSortHelperConfigILj16ELj8ELj256EEE6__halflLi256ELb0EvE4sortIPKS5_PS5_PKlPlEEvT_T0_T1_T2_jjjjRNS6_12storage_typeE.has_dyn_sized_stack)
	.set _ZN7rocprim17ROCPRIM_400000_NS6detail17trampoline_kernelINS0_14default_configENS1_36segmented_radix_sort_config_selectorI6__halflEEZNS1_25segmented_radix_sort_implIS3_Lb0EPKS5_PS5_PKlPlN2at6native12_GLOBAL__N_18offset_tEEE10hipError_tPvRmT1_PNSt15iterator_traitsISL_E10value_typeET2_T3_PNSM_ISR_E10value_typeET4_jRbjT5_SX_jjP12ihipStream_tbEUlT_E0_NS1_11comp_targetILNS1_3genE2ELNS1_11target_archE906ELNS1_3gpuE6ELNS1_3repE0EEENS1_60segmented_radix_sort_warp_sort_medium_config_static_selectorELNS0_4arch9wavefront6targetE1EEEvSL_.has_recursion, or(0, .L_ZN7rocprim17ROCPRIM_400000_NS6detail26segmented_warp_sort_helperINS1_20WarpSortHelperConfigILj16ELj8ELj256EEE6__halflLi256ELb0EvE4sortIPKS5_PS5_PKlPlEEvT_T0_T1_T2_jjjjRNS6_12storage_typeE.has_recursion)
	.set _ZN7rocprim17ROCPRIM_400000_NS6detail17trampoline_kernelINS0_14default_configENS1_36segmented_radix_sort_config_selectorI6__halflEEZNS1_25segmented_radix_sort_implIS3_Lb0EPKS5_PS5_PKlPlN2at6native12_GLOBAL__N_18offset_tEEE10hipError_tPvRmT1_PNSt15iterator_traitsISL_E10value_typeET2_T3_PNSM_ISR_E10value_typeET4_jRbjT5_SX_jjP12ihipStream_tbEUlT_E0_NS1_11comp_targetILNS1_3genE2ELNS1_11target_archE906ELNS1_3gpuE6ELNS1_3repE0EEENS1_60segmented_radix_sort_warp_sort_medium_config_static_selectorELNS0_4arch9wavefront6targetE1EEEvSL_.has_indirect_call, or(0, .L_ZN7rocprim17ROCPRIM_400000_NS6detail26segmented_warp_sort_helperINS1_20WarpSortHelperConfigILj16ELj8ELj256EEE6__halflLi256ELb0EvE4sortIPKS5_PS5_PKlPlEEvT_T0_T1_T2_jjjjRNS6_12storage_typeE.has_indirect_call)
	.section	.AMDGPU.csdata,"",@progbits
; Kernel info:
; codeLenInByte = 460
; TotalNumSgprs: 64
; NumVgprs: 71
; ScratchSize: 0
; MemoryBound: 0
; FloatMode: 240
; IeeeMode: 1
; LDSByteSize: 20480 bytes/workgroup (compile time only)
; SGPRBlocks: 12
; VGPRBlocks: 17
; NumSGPRsForWavesPerEU: 102
; NumVGPRsForWavesPerEU: 71
; Occupancy: 3
; WaveLimiterHint : 0
; COMPUTE_PGM_RSRC2:SCRATCH_EN: 0
; COMPUTE_PGM_RSRC2:USER_SGPR: 6
; COMPUTE_PGM_RSRC2:TRAP_HANDLER: 0
; COMPUTE_PGM_RSRC2:TGID_X_EN: 1
; COMPUTE_PGM_RSRC2:TGID_Y_EN: 1
; COMPUTE_PGM_RSRC2:TGID_Z_EN: 0
; COMPUTE_PGM_RSRC2:TIDIG_COMP_CNT: 2
	.section	.text._ZN7rocprim17ROCPRIM_400000_NS6detail17trampoline_kernelINS0_14default_configENS1_36segmented_radix_sort_config_selectorI6__halflEEZNS1_25segmented_radix_sort_implIS3_Lb0EPKS5_PS5_PKlPlN2at6native12_GLOBAL__N_18offset_tEEE10hipError_tPvRmT1_PNSt15iterator_traitsISL_E10value_typeET2_T3_PNSM_ISR_E10value_typeET4_jRbjT5_SX_jjP12ihipStream_tbEUlT_E0_NS1_11comp_targetILNS1_3genE10ELNS1_11target_archE1201ELNS1_3gpuE5ELNS1_3repE0EEENS1_60segmented_radix_sort_warp_sort_medium_config_static_selectorELNS0_4arch9wavefront6targetE1EEEvSL_,"axG",@progbits,_ZN7rocprim17ROCPRIM_400000_NS6detail17trampoline_kernelINS0_14default_configENS1_36segmented_radix_sort_config_selectorI6__halflEEZNS1_25segmented_radix_sort_implIS3_Lb0EPKS5_PS5_PKlPlN2at6native12_GLOBAL__N_18offset_tEEE10hipError_tPvRmT1_PNSt15iterator_traitsISL_E10value_typeET2_T3_PNSM_ISR_E10value_typeET4_jRbjT5_SX_jjP12ihipStream_tbEUlT_E0_NS1_11comp_targetILNS1_3genE10ELNS1_11target_archE1201ELNS1_3gpuE5ELNS1_3repE0EEENS1_60segmented_radix_sort_warp_sort_medium_config_static_selectorELNS0_4arch9wavefront6targetE1EEEvSL_,comdat
	.globl	_ZN7rocprim17ROCPRIM_400000_NS6detail17trampoline_kernelINS0_14default_configENS1_36segmented_radix_sort_config_selectorI6__halflEEZNS1_25segmented_radix_sort_implIS3_Lb0EPKS5_PS5_PKlPlN2at6native12_GLOBAL__N_18offset_tEEE10hipError_tPvRmT1_PNSt15iterator_traitsISL_E10value_typeET2_T3_PNSM_ISR_E10value_typeET4_jRbjT5_SX_jjP12ihipStream_tbEUlT_E0_NS1_11comp_targetILNS1_3genE10ELNS1_11target_archE1201ELNS1_3gpuE5ELNS1_3repE0EEENS1_60segmented_radix_sort_warp_sort_medium_config_static_selectorELNS0_4arch9wavefront6targetE1EEEvSL_ ; -- Begin function _ZN7rocprim17ROCPRIM_400000_NS6detail17trampoline_kernelINS0_14default_configENS1_36segmented_radix_sort_config_selectorI6__halflEEZNS1_25segmented_radix_sort_implIS3_Lb0EPKS5_PS5_PKlPlN2at6native12_GLOBAL__N_18offset_tEEE10hipError_tPvRmT1_PNSt15iterator_traitsISL_E10value_typeET2_T3_PNSM_ISR_E10value_typeET4_jRbjT5_SX_jjP12ihipStream_tbEUlT_E0_NS1_11comp_targetILNS1_3genE10ELNS1_11target_archE1201ELNS1_3gpuE5ELNS1_3repE0EEENS1_60segmented_radix_sort_warp_sort_medium_config_static_selectorELNS0_4arch9wavefront6targetE1EEEvSL_
	.p2align	8
	.type	_ZN7rocprim17ROCPRIM_400000_NS6detail17trampoline_kernelINS0_14default_configENS1_36segmented_radix_sort_config_selectorI6__halflEEZNS1_25segmented_radix_sort_implIS3_Lb0EPKS5_PS5_PKlPlN2at6native12_GLOBAL__N_18offset_tEEE10hipError_tPvRmT1_PNSt15iterator_traitsISL_E10value_typeET2_T3_PNSM_ISR_E10value_typeET4_jRbjT5_SX_jjP12ihipStream_tbEUlT_E0_NS1_11comp_targetILNS1_3genE10ELNS1_11target_archE1201ELNS1_3gpuE5ELNS1_3repE0EEENS1_60segmented_radix_sort_warp_sort_medium_config_static_selectorELNS0_4arch9wavefront6targetE1EEEvSL_,@function
_ZN7rocprim17ROCPRIM_400000_NS6detail17trampoline_kernelINS0_14default_configENS1_36segmented_radix_sort_config_selectorI6__halflEEZNS1_25segmented_radix_sort_implIS3_Lb0EPKS5_PS5_PKlPlN2at6native12_GLOBAL__N_18offset_tEEE10hipError_tPvRmT1_PNSt15iterator_traitsISL_E10value_typeET2_T3_PNSM_ISR_E10value_typeET4_jRbjT5_SX_jjP12ihipStream_tbEUlT_E0_NS1_11comp_targetILNS1_3genE10ELNS1_11target_archE1201ELNS1_3gpuE5ELNS1_3repE0EEENS1_60segmented_radix_sort_warp_sort_medium_config_static_selectorELNS0_4arch9wavefront6targetE1EEEvSL_: ; @_ZN7rocprim17ROCPRIM_400000_NS6detail17trampoline_kernelINS0_14default_configENS1_36segmented_radix_sort_config_selectorI6__halflEEZNS1_25segmented_radix_sort_implIS3_Lb0EPKS5_PS5_PKlPlN2at6native12_GLOBAL__N_18offset_tEEE10hipError_tPvRmT1_PNSt15iterator_traitsISL_E10value_typeET2_T3_PNSM_ISR_E10value_typeET4_jRbjT5_SX_jjP12ihipStream_tbEUlT_E0_NS1_11comp_targetILNS1_3genE10ELNS1_11target_archE1201ELNS1_3gpuE5ELNS1_3repE0EEENS1_60segmented_radix_sort_warp_sort_medium_config_static_selectorELNS0_4arch9wavefront6targetE1EEEvSL_
; %bb.0:
	.section	.rodata,"a",@progbits
	.p2align	6, 0x0
	.amdhsa_kernel _ZN7rocprim17ROCPRIM_400000_NS6detail17trampoline_kernelINS0_14default_configENS1_36segmented_radix_sort_config_selectorI6__halflEEZNS1_25segmented_radix_sort_implIS3_Lb0EPKS5_PS5_PKlPlN2at6native12_GLOBAL__N_18offset_tEEE10hipError_tPvRmT1_PNSt15iterator_traitsISL_E10value_typeET2_T3_PNSM_ISR_E10value_typeET4_jRbjT5_SX_jjP12ihipStream_tbEUlT_E0_NS1_11comp_targetILNS1_3genE10ELNS1_11target_archE1201ELNS1_3gpuE5ELNS1_3repE0EEENS1_60segmented_radix_sort_warp_sort_medium_config_static_selectorELNS0_4arch9wavefront6targetE1EEEvSL_
		.amdhsa_group_segment_fixed_size 0
		.amdhsa_private_segment_fixed_size 0
		.amdhsa_kernarg_size 88
		.amdhsa_user_sgpr_count 6
		.amdhsa_user_sgpr_private_segment_buffer 1
		.amdhsa_user_sgpr_dispatch_ptr 0
		.amdhsa_user_sgpr_queue_ptr 0
		.amdhsa_user_sgpr_kernarg_segment_ptr 1
		.amdhsa_user_sgpr_dispatch_id 0
		.amdhsa_user_sgpr_flat_scratch_init 0
		.amdhsa_user_sgpr_private_segment_size 0
		.amdhsa_uses_dynamic_stack 0
		.amdhsa_system_sgpr_private_segment_wavefront_offset 0
		.amdhsa_system_sgpr_workgroup_id_x 1
		.amdhsa_system_sgpr_workgroup_id_y 0
		.amdhsa_system_sgpr_workgroup_id_z 0
		.amdhsa_system_sgpr_workgroup_info 0
		.amdhsa_system_vgpr_workitem_id 0
		.amdhsa_next_free_vgpr 1
		.amdhsa_next_free_sgpr 0
		.amdhsa_reserve_vcc 0
		.amdhsa_reserve_flat_scratch 0
		.amdhsa_float_round_mode_32 0
		.amdhsa_float_round_mode_16_64 0
		.amdhsa_float_denorm_mode_32 3
		.amdhsa_float_denorm_mode_16_64 3
		.amdhsa_dx10_clamp 1
		.amdhsa_ieee_mode 1
		.amdhsa_fp16_overflow 0
		.amdhsa_exception_fp_ieee_invalid_op 0
		.amdhsa_exception_fp_denorm_src 0
		.amdhsa_exception_fp_ieee_div_zero 0
		.amdhsa_exception_fp_ieee_overflow 0
		.amdhsa_exception_fp_ieee_underflow 0
		.amdhsa_exception_fp_ieee_inexact 0
		.amdhsa_exception_int_div_zero 0
	.end_amdhsa_kernel
	.section	.text._ZN7rocprim17ROCPRIM_400000_NS6detail17trampoline_kernelINS0_14default_configENS1_36segmented_radix_sort_config_selectorI6__halflEEZNS1_25segmented_radix_sort_implIS3_Lb0EPKS5_PS5_PKlPlN2at6native12_GLOBAL__N_18offset_tEEE10hipError_tPvRmT1_PNSt15iterator_traitsISL_E10value_typeET2_T3_PNSM_ISR_E10value_typeET4_jRbjT5_SX_jjP12ihipStream_tbEUlT_E0_NS1_11comp_targetILNS1_3genE10ELNS1_11target_archE1201ELNS1_3gpuE5ELNS1_3repE0EEENS1_60segmented_radix_sort_warp_sort_medium_config_static_selectorELNS0_4arch9wavefront6targetE1EEEvSL_,"axG",@progbits,_ZN7rocprim17ROCPRIM_400000_NS6detail17trampoline_kernelINS0_14default_configENS1_36segmented_radix_sort_config_selectorI6__halflEEZNS1_25segmented_radix_sort_implIS3_Lb0EPKS5_PS5_PKlPlN2at6native12_GLOBAL__N_18offset_tEEE10hipError_tPvRmT1_PNSt15iterator_traitsISL_E10value_typeET2_T3_PNSM_ISR_E10value_typeET4_jRbjT5_SX_jjP12ihipStream_tbEUlT_E0_NS1_11comp_targetILNS1_3genE10ELNS1_11target_archE1201ELNS1_3gpuE5ELNS1_3repE0EEENS1_60segmented_radix_sort_warp_sort_medium_config_static_selectorELNS0_4arch9wavefront6targetE1EEEvSL_,comdat
.Lfunc_end1858:
	.size	_ZN7rocprim17ROCPRIM_400000_NS6detail17trampoline_kernelINS0_14default_configENS1_36segmented_radix_sort_config_selectorI6__halflEEZNS1_25segmented_radix_sort_implIS3_Lb0EPKS5_PS5_PKlPlN2at6native12_GLOBAL__N_18offset_tEEE10hipError_tPvRmT1_PNSt15iterator_traitsISL_E10value_typeET2_T3_PNSM_ISR_E10value_typeET4_jRbjT5_SX_jjP12ihipStream_tbEUlT_E0_NS1_11comp_targetILNS1_3genE10ELNS1_11target_archE1201ELNS1_3gpuE5ELNS1_3repE0EEENS1_60segmented_radix_sort_warp_sort_medium_config_static_selectorELNS0_4arch9wavefront6targetE1EEEvSL_, .Lfunc_end1858-_ZN7rocprim17ROCPRIM_400000_NS6detail17trampoline_kernelINS0_14default_configENS1_36segmented_radix_sort_config_selectorI6__halflEEZNS1_25segmented_radix_sort_implIS3_Lb0EPKS5_PS5_PKlPlN2at6native12_GLOBAL__N_18offset_tEEE10hipError_tPvRmT1_PNSt15iterator_traitsISL_E10value_typeET2_T3_PNSM_ISR_E10value_typeET4_jRbjT5_SX_jjP12ihipStream_tbEUlT_E0_NS1_11comp_targetILNS1_3genE10ELNS1_11target_archE1201ELNS1_3gpuE5ELNS1_3repE0EEENS1_60segmented_radix_sort_warp_sort_medium_config_static_selectorELNS0_4arch9wavefront6targetE1EEEvSL_
                                        ; -- End function
	.set _ZN7rocprim17ROCPRIM_400000_NS6detail17trampoline_kernelINS0_14default_configENS1_36segmented_radix_sort_config_selectorI6__halflEEZNS1_25segmented_radix_sort_implIS3_Lb0EPKS5_PS5_PKlPlN2at6native12_GLOBAL__N_18offset_tEEE10hipError_tPvRmT1_PNSt15iterator_traitsISL_E10value_typeET2_T3_PNSM_ISR_E10value_typeET4_jRbjT5_SX_jjP12ihipStream_tbEUlT_E0_NS1_11comp_targetILNS1_3genE10ELNS1_11target_archE1201ELNS1_3gpuE5ELNS1_3repE0EEENS1_60segmented_radix_sort_warp_sort_medium_config_static_selectorELNS0_4arch9wavefront6targetE1EEEvSL_.num_vgpr, 0
	.set _ZN7rocprim17ROCPRIM_400000_NS6detail17trampoline_kernelINS0_14default_configENS1_36segmented_radix_sort_config_selectorI6__halflEEZNS1_25segmented_radix_sort_implIS3_Lb0EPKS5_PS5_PKlPlN2at6native12_GLOBAL__N_18offset_tEEE10hipError_tPvRmT1_PNSt15iterator_traitsISL_E10value_typeET2_T3_PNSM_ISR_E10value_typeET4_jRbjT5_SX_jjP12ihipStream_tbEUlT_E0_NS1_11comp_targetILNS1_3genE10ELNS1_11target_archE1201ELNS1_3gpuE5ELNS1_3repE0EEENS1_60segmented_radix_sort_warp_sort_medium_config_static_selectorELNS0_4arch9wavefront6targetE1EEEvSL_.num_agpr, 0
	.set _ZN7rocprim17ROCPRIM_400000_NS6detail17trampoline_kernelINS0_14default_configENS1_36segmented_radix_sort_config_selectorI6__halflEEZNS1_25segmented_radix_sort_implIS3_Lb0EPKS5_PS5_PKlPlN2at6native12_GLOBAL__N_18offset_tEEE10hipError_tPvRmT1_PNSt15iterator_traitsISL_E10value_typeET2_T3_PNSM_ISR_E10value_typeET4_jRbjT5_SX_jjP12ihipStream_tbEUlT_E0_NS1_11comp_targetILNS1_3genE10ELNS1_11target_archE1201ELNS1_3gpuE5ELNS1_3repE0EEENS1_60segmented_radix_sort_warp_sort_medium_config_static_selectorELNS0_4arch9wavefront6targetE1EEEvSL_.numbered_sgpr, 0
	.set _ZN7rocprim17ROCPRIM_400000_NS6detail17trampoline_kernelINS0_14default_configENS1_36segmented_radix_sort_config_selectorI6__halflEEZNS1_25segmented_radix_sort_implIS3_Lb0EPKS5_PS5_PKlPlN2at6native12_GLOBAL__N_18offset_tEEE10hipError_tPvRmT1_PNSt15iterator_traitsISL_E10value_typeET2_T3_PNSM_ISR_E10value_typeET4_jRbjT5_SX_jjP12ihipStream_tbEUlT_E0_NS1_11comp_targetILNS1_3genE10ELNS1_11target_archE1201ELNS1_3gpuE5ELNS1_3repE0EEENS1_60segmented_radix_sort_warp_sort_medium_config_static_selectorELNS0_4arch9wavefront6targetE1EEEvSL_.num_named_barrier, 0
	.set _ZN7rocprim17ROCPRIM_400000_NS6detail17trampoline_kernelINS0_14default_configENS1_36segmented_radix_sort_config_selectorI6__halflEEZNS1_25segmented_radix_sort_implIS3_Lb0EPKS5_PS5_PKlPlN2at6native12_GLOBAL__N_18offset_tEEE10hipError_tPvRmT1_PNSt15iterator_traitsISL_E10value_typeET2_T3_PNSM_ISR_E10value_typeET4_jRbjT5_SX_jjP12ihipStream_tbEUlT_E0_NS1_11comp_targetILNS1_3genE10ELNS1_11target_archE1201ELNS1_3gpuE5ELNS1_3repE0EEENS1_60segmented_radix_sort_warp_sort_medium_config_static_selectorELNS0_4arch9wavefront6targetE1EEEvSL_.private_seg_size, 0
	.set _ZN7rocprim17ROCPRIM_400000_NS6detail17trampoline_kernelINS0_14default_configENS1_36segmented_radix_sort_config_selectorI6__halflEEZNS1_25segmented_radix_sort_implIS3_Lb0EPKS5_PS5_PKlPlN2at6native12_GLOBAL__N_18offset_tEEE10hipError_tPvRmT1_PNSt15iterator_traitsISL_E10value_typeET2_T3_PNSM_ISR_E10value_typeET4_jRbjT5_SX_jjP12ihipStream_tbEUlT_E0_NS1_11comp_targetILNS1_3genE10ELNS1_11target_archE1201ELNS1_3gpuE5ELNS1_3repE0EEENS1_60segmented_radix_sort_warp_sort_medium_config_static_selectorELNS0_4arch9wavefront6targetE1EEEvSL_.uses_vcc, 0
	.set _ZN7rocprim17ROCPRIM_400000_NS6detail17trampoline_kernelINS0_14default_configENS1_36segmented_radix_sort_config_selectorI6__halflEEZNS1_25segmented_radix_sort_implIS3_Lb0EPKS5_PS5_PKlPlN2at6native12_GLOBAL__N_18offset_tEEE10hipError_tPvRmT1_PNSt15iterator_traitsISL_E10value_typeET2_T3_PNSM_ISR_E10value_typeET4_jRbjT5_SX_jjP12ihipStream_tbEUlT_E0_NS1_11comp_targetILNS1_3genE10ELNS1_11target_archE1201ELNS1_3gpuE5ELNS1_3repE0EEENS1_60segmented_radix_sort_warp_sort_medium_config_static_selectorELNS0_4arch9wavefront6targetE1EEEvSL_.uses_flat_scratch, 0
	.set _ZN7rocprim17ROCPRIM_400000_NS6detail17trampoline_kernelINS0_14default_configENS1_36segmented_radix_sort_config_selectorI6__halflEEZNS1_25segmented_radix_sort_implIS3_Lb0EPKS5_PS5_PKlPlN2at6native12_GLOBAL__N_18offset_tEEE10hipError_tPvRmT1_PNSt15iterator_traitsISL_E10value_typeET2_T3_PNSM_ISR_E10value_typeET4_jRbjT5_SX_jjP12ihipStream_tbEUlT_E0_NS1_11comp_targetILNS1_3genE10ELNS1_11target_archE1201ELNS1_3gpuE5ELNS1_3repE0EEENS1_60segmented_radix_sort_warp_sort_medium_config_static_selectorELNS0_4arch9wavefront6targetE1EEEvSL_.has_dyn_sized_stack, 0
	.set _ZN7rocprim17ROCPRIM_400000_NS6detail17trampoline_kernelINS0_14default_configENS1_36segmented_radix_sort_config_selectorI6__halflEEZNS1_25segmented_radix_sort_implIS3_Lb0EPKS5_PS5_PKlPlN2at6native12_GLOBAL__N_18offset_tEEE10hipError_tPvRmT1_PNSt15iterator_traitsISL_E10value_typeET2_T3_PNSM_ISR_E10value_typeET4_jRbjT5_SX_jjP12ihipStream_tbEUlT_E0_NS1_11comp_targetILNS1_3genE10ELNS1_11target_archE1201ELNS1_3gpuE5ELNS1_3repE0EEENS1_60segmented_radix_sort_warp_sort_medium_config_static_selectorELNS0_4arch9wavefront6targetE1EEEvSL_.has_recursion, 0
	.set _ZN7rocprim17ROCPRIM_400000_NS6detail17trampoline_kernelINS0_14default_configENS1_36segmented_radix_sort_config_selectorI6__halflEEZNS1_25segmented_radix_sort_implIS3_Lb0EPKS5_PS5_PKlPlN2at6native12_GLOBAL__N_18offset_tEEE10hipError_tPvRmT1_PNSt15iterator_traitsISL_E10value_typeET2_T3_PNSM_ISR_E10value_typeET4_jRbjT5_SX_jjP12ihipStream_tbEUlT_E0_NS1_11comp_targetILNS1_3genE10ELNS1_11target_archE1201ELNS1_3gpuE5ELNS1_3repE0EEENS1_60segmented_radix_sort_warp_sort_medium_config_static_selectorELNS0_4arch9wavefront6targetE1EEEvSL_.has_indirect_call, 0
	.section	.AMDGPU.csdata,"",@progbits
; Kernel info:
; codeLenInByte = 0
; TotalNumSgprs: 4
; NumVgprs: 0
; ScratchSize: 0
; MemoryBound: 0
; FloatMode: 240
; IeeeMode: 1
; LDSByteSize: 0 bytes/workgroup (compile time only)
; SGPRBlocks: 0
; VGPRBlocks: 0
; NumSGPRsForWavesPerEU: 4
; NumVGPRsForWavesPerEU: 1
; Occupancy: 10
; WaveLimiterHint : 0
; COMPUTE_PGM_RSRC2:SCRATCH_EN: 0
; COMPUTE_PGM_RSRC2:USER_SGPR: 6
; COMPUTE_PGM_RSRC2:TRAP_HANDLER: 0
; COMPUTE_PGM_RSRC2:TGID_X_EN: 1
; COMPUTE_PGM_RSRC2:TGID_Y_EN: 0
; COMPUTE_PGM_RSRC2:TGID_Z_EN: 0
; COMPUTE_PGM_RSRC2:TIDIG_COMP_CNT: 0
	.section	.text._ZN7rocprim17ROCPRIM_400000_NS6detail17trampoline_kernelINS0_14default_configENS1_36segmented_radix_sort_config_selectorI6__halflEEZNS1_25segmented_radix_sort_implIS3_Lb0EPKS5_PS5_PKlPlN2at6native12_GLOBAL__N_18offset_tEEE10hipError_tPvRmT1_PNSt15iterator_traitsISL_E10value_typeET2_T3_PNSM_ISR_E10value_typeET4_jRbjT5_SX_jjP12ihipStream_tbEUlT_E0_NS1_11comp_targetILNS1_3genE10ELNS1_11target_archE1200ELNS1_3gpuE4ELNS1_3repE0EEENS1_60segmented_radix_sort_warp_sort_medium_config_static_selectorELNS0_4arch9wavefront6targetE1EEEvSL_,"axG",@progbits,_ZN7rocprim17ROCPRIM_400000_NS6detail17trampoline_kernelINS0_14default_configENS1_36segmented_radix_sort_config_selectorI6__halflEEZNS1_25segmented_radix_sort_implIS3_Lb0EPKS5_PS5_PKlPlN2at6native12_GLOBAL__N_18offset_tEEE10hipError_tPvRmT1_PNSt15iterator_traitsISL_E10value_typeET2_T3_PNSM_ISR_E10value_typeET4_jRbjT5_SX_jjP12ihipStream_tbEUlT_E0_NS1_11comp_targetILNS1_3genE10ELNS1_11target_archE1200ELNS1_3gpuE4ELNS1_3repE0EEENS1_60segmented_radix_sort_warp_sort_medium_config_static_selectorELNS0_4arch9wavefront6targetE1EEEvSL_,comdat
	.globl	_ZN7rocprim17ROCPRIM_400000_NS6detail17trampoline_kernelINS0_14default_configENS1_36segmented_radix_sort_config_selectorI6__halflEEZNS1_25segmented_radix_sort_implIS3_Lb0EPKS5_PS5_PKlPlN2at6native12_GLOBAL__N_18offset_tEEE10hipError_tPvRmT1_PNSt15iterator_traitsISL_E10value_typeET2_T3_PNSM_ISR_E10value_typeET4_jRbjT5_SX_jjP12ihipStream_tbEUlT_E0_NS1_11comp_targetILNS1_3genE10ELNS1_11target_archE1200ELNS1_3gpuE4ELNS1_3repE0EEENS1_60segmented_radix_sort_warp_sort_medium_config_static_selectorELNS0_4arch9wavefront6targetE1EEEvSL_ ; -- Begin function _ZN7rocprim17ROCPRIM_400000_NS6detail17trampoline_kernelINS0_14default_configENS1_36segmented_radix_sort_config_selectorI6__halflEEZNS1_25segmented_radix_sort_implIS3_Lb0EPKS5_PS5_PKlPlN2at6native12_GLOBAL__N_18offset_tEEE10hipError_tPvRmT1_PNSt15iterator_traitsISL_E10value_typeET2_T3_PNSM_ISR_E10value_typeET4_jRbjT5_SX_jjP12ihipStream_tbEUlT_E0_NS1_11comp_targetILNS1_3genE10ELNS1_11target_archE1200ELNS1_3gpuE4ELNS1_3repE0EEENS1_60segmented_radix_sort_warp_sort_medium_config_static_selectorELNS0_4arch9wavefront6targetE1EEEvSL_
	.p2align	8
	.type	_ZN7rocprim17ROCPRIM_400000_NS6detail17trampoline_kernelINS0_14default_configENS1_36segmented_radix_sort_config_selectorI6__halflEEZNS1_25segmented_radix_sort_implIS3_Lb0EPKS5_PS5_PKlPlN2at6native12_GLOBAL__N_18offset_tEEE10hipError_tPvRmT1_PNSt15iterator_traitsISL_E10value_typeET2_T3_PNSM_ISR_E10value_typeET4_jRbjT5_SX_jjP12ihipStream_tbEUlT_E0_NS1_11comp_targetILNS1_3genE10ELNS1_11target_archE1200ELNS1_3gpuE4ELNS1_3repE0EEENS1_60segmented_radix_sort_warp_sort_medium_config_static_selectorELNS0_4arch9wavefront6targetE1EEEvSL_,@function
_ZN7rocprim17ROCPRIM_400000_NS6detail17trampoline_kernelINS0_14default_configENS1_36segmented_radix_sort_config_selectorI6__halflEEZNS1_25segmented_radix_sort_implIS3_Lb0EPKS5_PS5_PKlPlN2at6native12_GLOBAL__N_18offset_tEEE10hipError_tPvRmT1_PNSt15iterator_traitsISL_E10value_typeET2_T3_PNSM_ISR_E10value_typeET4_jRbjT5_SX_jjP12ihipStream_tbEUlT_E0_NS1_11comp_targetILNS1_3genE10ELNS1_11target_archE1200ELNS1_3gpuE4ELNS1_3repE0EEENS1_60segmented_radix_sort_warp_sort_medium_config_static_selectorELNS0_4arch9wavefront6targetE1EEEvSL_: ; @_ZN7rocprim17ROCPRIM_400000_NS6detail17trampoline_kernelINS0_14default_configENS1_36segmented_radix_sort_config_selectorI6__halflEEZNS1_25segmented_radix_sort_implIS3_Lb0EPKS5_PS5_PKlPlN2at6native12_GLOBAL__N_18offset_tEEE10hipError_tPvRmT1_PNSt15iterator_traitsISL_E10value_typeET2_T3_PNSM_ISR_E10value_typeET4_jRbjT5_SX_jjP12ihipStream_tbEUlT_E0_NS1_11comp_targetILNS1_3genE10ELNS1_11target_archE1200ELNS1_3gpuE4ELNS1_3repE0EEENS1_60segmented_radix_sort_warp_sort_medium_config_static_selectorELNS0_4arch9wavefront6targetE1EEEvSL_
; %bb.0:
	.section	.rodata,"a",@progbits
	.p2align	6, 0x0
	.amdhsa_kernel _ZN7rocprim17ROCPRIM_400000_NS6detail17trampoline_kernelINS0_14default_configENS1_36segmented_radix_sort_config_selectorI6__halflEEZNS1_25segmented_radix_sort_implIS3_Lb0EPKS5_PS5_PKlPlN2at6native12_GLOBAL__N_18offset_tEEE10hipError_tPvRmT1_PNSt15iterator_traitsISL_E10value_typeET2_T3_PNSM_ISR_E10value_typeET4_jRbjT5_SX_jjP12ihipStream_tbEUlT_E0_NS1_11comp_targetILNS1_3genE10ELNS1_11target_archE1200ELNS1_3gpuE4ELNS1_3repE0EEENS1_60segmented_radix_sort_warp_sort_medium_config_static_selectorELNS0_4arch9wavefront6targetE1EEEvSL_
		.amdhsa_group_segment_fixed_size 0
		.amdhsa_private_segment_fixed_size 0
		.amdhsa_kernarg_size 88
		.amdhsa_user_sgpr_count 6
		.amdhsa_user_sgpr_private_segment_buffer 1
		.amdhsa_user_sgpr_dispatch_ptr 0
		.amdhsa_user_sgpr_queue_ptr 0
		.amdhsa_user_sgpr_kernarg_segment_ptr 1
		.amdhsa_user_sgpr_dispatch_id 0
		.amdhsa_user_sgpr_flat_scratch_init 0
		.amdhsa_user_sgpr_private_segment_size 0
		.amdhsa_uses_dynamic_stack 0
		.amdhsa_system_sgpr_private_segment_wavefront_offset 0
		.amdhsa_system_sgpr_workgroup_id_x 1
		.amdhsa_system_sgpr_workgroup_id_y 0
		.amdhsa_system_sgpr_workgroup_id_z 0
		.amdhsa_system_sgpr_workgroup_info 0
		.amdhsa_system_vgpr_workitem_id 0
		.amdhsa_next_free_vgpr 1
		.amdhsa_next_free_sgpr 0
		.amdhsa_reserve_vcc 0
		.amdhsa_reserve_flat_scratch 0
		.amdhsa_float_round_mode_32 0
		.amdhsa_float_round_mode_16_64 0
		.amdhsa_float_denorm_mode_32 3
		.amdhsa_float_denorm_mode_16_64 3
		.amdhsa_dx10_clamp 1
		.amdhsa_ieee_mode 1
		.amdhsa_fp16_overflow 0
		.amdhsa_exception_fp_ieee_invalid_op 0
		.amdhsa_exception_fp_denorm_src 0
		.amdhsa_exception_fp_ieee_div_zero 0
		.amdhsa_exception_fp_ieee_overflow 0
		.amdhsa_exception_fp_ieee_underflow 0
		.amdhsa_exception_fp_ieee_inexact 0
		.amdhsa_exception_int_div_zero 0
	.end_amdhsa_kernel
	.section	.text._ZN7rocprim17ROCPRIM_400000_NS6detail17trampoline_kernelINS0_14default_configENS1_36segmented_radix_sort_config_selectorI6__halflEEZNS1_25segmented_radix_sort_implIS3_Lb0EPKS5_PS5_PKlPlN2at6native12_GLOBAL__N_18offset_tEEE10hipError_tPvRmT1_PNSt15iterator_traitsISL_E10value_typeET2_T3_PNSM_ISR_E10value_typeET4_jRbjT5_SX_jjP12ihipStream_tbEUlT_E0_NS1_11comp_targetILNS1_3genE10ELNS1_11target_archE1200ELNS1_3gpuE4ELNS1_3repE0EEENS1_60segmented_radix_sort_warp_sort_medium_config_static_selectorELNS0_4arch9wavefront6targetE1EEEvSL_,"axG",@progbits,_ZN7rocprim17ROCPRIM_400000_NS6detail17trampoline_kernelINS0_14default_configENS1_36segmented_radix_sort_config_selectorI6__halflEEZNS1_25segmented_radix_sort_implIS3_Lb0EPKS5_PS5_PKlPlN2at6native12_GLOBAL__N_18offset_tEEE10hipError_tPvRmT1_PNSt15iterator_traitsISL_E10value_typeET2_T3_PNSM_ISR_E10value_typeET4_jRbjT5_SX_jjP12ihipStream_tbEUlT_E0_NS1_11comp_targetILNS1_3genE10ELNS1_11target_archE1200ELNS1_3gpuE4ELNS1_3repE0EEENS1_60segmented_radix_sort_warp_sort_medium_config_static_selectorELNS0_4arch9wavefront6targetE1EEEvSL_,comdat
.Lfunc_end1859:
	.size	_ZN7rocprim17ROCPRIM_400000_NS6detail17trampoline_kernelINS0_14default_configENS1_36segmented_radix_sort_config_selectorI6__halflEEZNS1_25segmented_radix_sort_implIS3_Lb0EPKS5_PS5_PKlPlN2at6native12_GLOBAL__N_18offset_tEEE10hipError_tPvRmT1_PNSt15iterator_traitsISL_E10value_typeET2_T3_PNSM_ISR_E10value_typeET4_jRbjT5_SX_jjP12ihipStream_tbEUlT_E0_NS1_11comp_targetILNS1_3genE10ELNS1_11target_archE1200ELNS1_3gpuE4ELNS1_3repE0EEENS1_60segmented_radix_sort_warp_sort_medium_config_static_selectorELNS0_4arch9wavefront6targetE1EEEvSL_, .Lfunc_end1859-_ZN7rocprim17ROCPRIM_400000_NS6detail17trampoline_kernelINS0_14default_configENS1_36segmented_radix_sort_config_selectorI6__halflEEZNS1_25segmented_radix_sort_implIS3_Lb0EPKS5_PS5_PKlPlN2at6native12_GLOBAL__N_18offset_tEEE10hipError_tPvRmT1_PNSt15iterator_traitsISL_E10value_typeET2_T3_PNSM_ISR_E10value_typeET4_jRbjT5_SX_jjP12ihipStream_tbEUlT_E0_NS1_11comp_targetILNS1_3genE10ELNS1_11target_archE1200ELNS1_3gpuE4ELNS1_3repE0EEENS1_60segmented_radix_sort_warp_sort_medium_config_static_selectorELNS0_4arch9wavefront6targetE1EEEvSL_
                                        ; -- End function
	.set _ZN7rocprim17ROCPRIM_400000_NS6detail17trampoline_kernelINS0_14default_configENS1_36segmented_radix_sort_config_selectorI6__halflEEZNS1_25segmented_radix_sort_implIS3_Lb0EPKS5_PS5_PKlPlN2at6native12_GLOBAL__N_18offset_tEEE10hipError_tPvRmT1_PNSt15iterator_traitsISL_E10value_typeET2_T3_PNSM_ISR_E10value_typeET4_jRbjT5_SX_jjP12ihipStream_tbEUlT_E0_NS1_11comp_targetILNS1_3genE10ELNS1_11target_archE1200ELNS1_3gpuE4ELNS1_3repE0EEENS1_60segmented_radix_sort_warp_sort_medium_config_static_selectorELNS0_4arch9wavefront6targetE1EEEvSL_.num_vgpr, 0
	.set _ZN7rocprim17ROCPRIM_400000_NS6detail17trampoline_kernelINS0_14default_configENS1_36segmented_radix_sort_config_selectorI6__halflEEZNS1_25segmented_radix_sort_implIS3_Lb0EPKS5_PS5_PKlPlN2at6native12_GLOBAL__N_18offset_tEEE10hipError_tPvRmT1_PNSt15iterator_traitsISL_E10value_typeET2_T3_PNSM_ISR_E10value_typeET4_jRbjT5_SX_jjP12ihipStream_tbEUlT_E0_NS1_11comp_targetILNS1_3genE10ELNS1_11target_archE1200ELNS1_3gpuE4ELNS1_3repE0EEENS1_60segmented_radix_sort_warp_sort_medium_config_static_selectorELNS0_4arch9wavefront6targetE1EEEvSL_.num_agpr, 0
	.set _ZN7rocprim17ROCPRIM_400000_NS6detail17trampoline_kernelINS0_14default_configENS1_36segmented_radix_sort_config_selectorI6__halflEEZNS1_25segmented_radix_sort_implIS3_Lb0EPKS5_PS5_PKlPlN2at6native12_GLOBAL__N_18offset_tEEE10hipError_tPvRmT1_PNSt15iterator_traitsISL_E10value_typeET2_T3_PNSM_ISR_E10value_typeET4_jRbjT5_SX_jjP12ihipStream_tbEUlT_E0_NS1_11comp_targetILNS1_3genE10ELNS1_11target_archE1200ELNS1_3gpuE4ELNS1_3repE0EEENS1_60segmented_radix_sort_warp_sort_medium_config_static_selectorELNS0_4arch9wavefront6targetE1EEEvSL_.numbered_sgpr, 0
	.set _ZN7rocprim17ROCPRIM_400000_NS6detail17trampoline_kernelINS0_14default_configENS1_36segmented_radix_sort_config_selectorI6__halflEEZNS1_25segmented_radix_sort_implIS3_Lb0EPKS5_PS5_PKlPlN2at6native12_GLOBAL__N_18offset_tEEE10hipError_tPvRmT1_PNSt15iterator_traitsISL_E10value_typeET2_T3_PNSM_ISR_E10value_typeET4_jRbjT5_SX_jjP12ihipStream_tbEUlT_E0_NS1_11comp_targetILNS1_3genE10ELNS1_11target_archE1200ELNS1_3gpuE4ELNS1_3repE0EEENS1_60segmented_radix_sort_warp_sort_medium_config_static_selectorELNS0_4arch9wavefront6targetE1EEEvSL_.num_named_barrier, 0
	.set _ZN7rocprim17ROCPRIM_400000_NS6detail17trampoline_kernelINS0_14default_configENS1_36segmented_radix_sort_config_selectorI6__halflEEZNS1_25segmented_radix_sort_implIS3_Lb0EPKS5_PS5_PKlPlN2at6native12_GLOBAL__N_18offset_tEEE10hipError_tPvRmT1_PNSt15iterator_traitsISL_E10value_typeET2_T3_PNSM_ISR_E10value_typeET4_jRbjT5_SX_jjP12ihipStream_tbEUlT_E0_NS1_11comp_targetILNS1_3genE10ELNS1_11target_archE1200ELNS1_3gpuE4ELNS1_3repE0EEENS1_60segmented_radix_sort_warp_sort_medium_config_static_selectorELNS0_4arch9wavefront6targetE1EEEvSL_.private_seg_size, 0
	.set _ZN7rocprim17ROCPRIM_400000_NS6detail17trampoline_kernelINS0_14default_configENS1_36segmented_radix_sort_config_selectorI6__halflEEZNS1_25segmented_radix_sort_implIS3_Lb0EPKS5_PS5_PKlPlN2at6native12_GLOBAL__N_18offset_tEEE10hipError_tPvRmT1_PNSt15iterator_traitsISL_E10value_typeET2_T3_PNSM_ISR_E10value_typeET4_jRbjT5_SX_jjP12ihipStream_tbEUlT_E0_NS1_11comp_targetILNS1_3genE10ELNS1_11target_archE1200ELNS1_3gpuE4ELNS1_3repE0EEENS1_60segmented_radix_sort_warp_sort_medium_config_static_selectorELNS0_4arch9wavefront6targetE1EEEvSL_.uses_vcc, 0
	.set _ZN7rocprim17ROCPRIM_400000_NS6detail17trampoline_kernelINS0_14default_configENS1_36segmented_radix_sort_config_selectorI6__halflEEZNS1_25segmented_radix_sort_implIS3_Lb0EPKS5_PS5_PKlPlN2at6native12_GLOBAL__N_18offset_tEEE10hipError_tPvRmT1_PNSt15iterator_traitsISL_E10value_typeET2_T3_PNSM_ISR_E10value_typeET4_jRbjT5_SX_jjP12ihipStream_tbEUlT_E0_NS1_11comp_targetILNS1_3genE10ELNS1_11target_archE1200ELNS1_3gpuE4ELNS1_3repE0EEENS1_60segmented_radix_sort_warp_sort_medium_config_static_selectorELNS0_4arch9wavefront6targetE1EEEvSL_.uses_flat_scratch, 0
	.set _ZN7rocprim17ROCPRIM_400000_NS6detail17trampoline_kernelINS0_14default_configENS1_36segmented_radix_sort_config_selectorI6__halflEEZNS1_25segmented_radix_sort_implIS3_Lb0EPKS5_PS5_PKlPlN2at6native12_GLOBAL__N_18offset_tEEE10hipError_tPvRmT1_PNSt15iterator_traitsISL_E10value_typeET2_T3_PNSM_ISR_E10value_typeET4_jRbjT5_SX_jjP12ihipStream_tbEUlT_E0_NS1_11comp_targetILNS1_3genE10ELNS1_11target_archE1200ELNS1_3gpuE4ELNS1_3repE0EEENS1_60segmented_radix_sort_warp_sort_medium_config_static_selectorELNS0_4arch9wavefront6targetE1EEEvSL_.has_dyn_sized_stack, 0
	.set _ZN7rocprim17ROCPRIM_400000_NS6detail17trampoline_kernelINS0_14default_configENS1_36segmented_radix_sort_config_selectorI6__halflEEZNS1_25segmented_radix_sort_implIS3_Lb0EPKS5_PS5_PKlPlN2at6native12_GLOBAL__N_18offset_tEEE10hipError_tPvRmT1_PNSt15iterator_traitsISL_E10value_typeET2_T3_PNSM_ISR_E10value_typeET4_jRbjT5_SX_jjP12ihipStream_tbEUlT_E0_NS1_11comp_targetILNS1_3genE10ELNS1_11target_archE1200ELNS1_3gpuE4ELNS1_3repE0EEENS1_60segmented_radix_sort_warp_sort_medium_config_static_selectorELNS0_4arch9wavefront6targetE1EEEvSL_.has_recursion, 0
	.set _ZN7rocprim17ROCPRIM_400000_NS6detail17trampoline_kernelINS0_14default_configENS1_36segmented_radix_sort_config_selectorI6__halflEEZNS1_25segmented_radix_sort_implIS3_Lb0EPKS5_PS5_PKlPlN2at6native12_GLOBAL__N_18offset_tEEE10hipError_tPvRmT1_PNSt15iterator_traitsISL_E10value_typeET2_T3_PNSM_ISR_E10value_typeET4_jRbjT5_SX_jjP12ihipStream_tbEUlT_E0_NS1_11comp_targetILNS1_3genE10ELNS1_11target_archE1200ELNS1_3gpuE4ELNS1_3repE0EEENS1_60segmented_radix_sort_warp_sort_medium_config_static_selectorELNS0_4arch9wavefront6targetE1EEEvSL_.has_indirect_call, 0
	.section	.AMDGPU.csdata,"",@progbits
; Kernel info:
; codeLenInByte = 0
; TotalNumSgprs: 4
; NumVgprs: 0
; ScratchSize: 0
; MemoryBound: 0
; FloatMode: 240
; IeeeMode: 1
; LDSByteSize: 0 bytes/workgroup (compile time only)
; SGPRBlocks: 0
; VGPRBlocks: 0
; NumSGPRsForWavesPerEU: 4
; NumVGPRsForWavesPerEU: 1
; Occupancy: 10
; WaveLimiterHint : 0
; COMPUTE_PGM_RSRC2:SCRATCH_EN: 0
; COMPUTE_PGM_RSRC2:USER_SGPR: 6
; COMPUTE_PGM_RSRC2:TRAP_HANDLER: 0
; COMPUTE_PGM_RSRC2:TGID_X_EN: 1
; COMPUTE_PGM_RSRC2:TGID_Y_EN: 0
; COMPUTE_PGM_RSRC2:TGID_Z_EN: 0
; COMPUTE_PGM_RSRC2:TIDIG_COMP_CNT: 0
	.section	.text._ZN7rocprim17ROCPRIM_400000_NS6detail17trampoline_kernelINS0_14default_configENS1_36segmented_radix_sort_config_selectorI6__halflEEZNS1_25segmented_radix_sort_implIS3_Lb0EPKS5_PS5_PKlPlN2at6native12_GLOBAL__N_18offset_tEEE10hipError_tPvRmT1_PNSt15iterator_traitsISL_E10value_typeET2_T3_PNSM_ISR_E10value_typeET4_jRbjT5_SX_jjP12ihipStream_tbEUlT_E0_NS1_11comp_targetILNS1_3genE9ELNS1_11target_archE1100ELNS1_3gpuE3ELNS1_3repE0EEENS1_60segmented_radix_sort_warp_sort_medium_config_static_selectorELNS0_4arch9wavefront6targetE1EEEvSL_,"axG",@progbits,_ZN7rocprim17ROCPRIM_400000_NS6detail17trampoline_kernelINS0_14default_configENS1_36segmented_radix_sort_config_selectorI6__halflEEZNS1_25segmented_radix_sort_implIS3_Lb0EPKS5_PS5_PKlPlN2at6native12_GLOBAL__N_18offset_tEEE10hipError_tPvRmT1_PNSt15iterator_traitsISL_E10value_typeET2_T3_PNSM_ISR_E10value_typeET4_jRbjT5_SX_jjP12ihipStream_tbEUlT_E0_NS1_11comp_targetILNS1_3genE9ELNS1_11target_archE1100ELNS1_3gpuE3ELNS1_3repE0EEENS1_60segmented_radix_sort_warp_sort_medium_config_static_selectorELNS0_4arch9wavefront6targetE1EEEvSL_,comdat
	.globl	_ZN7rocprim17ROCPRIM_400000_NS6detail17trampoline_kernelINS0_14default_configENS1_36segmented_radix_sort_config_selectorI6__halflEEZNS1_25segmented_radix_sort_implIS3_Lb0EPKS5_PS5_PKlPlN2at6native12_GLOBAL__N_18offset_tEEE10hipError_tPvRmT1_PNSt15iterator_traitsISL_E10value_typeET2_T3_PNSM_ISR_E10value_typeET4_jRbjT5_SX_jjP12ihipStream_tbEUlT_E0_NS1_11comp_targetILNS1_3genE9ELNS1_11target_archE1100ELNS1_3gpuE3ELNS1_3repE0EEENS1_60segmented_radix_sort_warp_sort_medium_config_static_selectorELNS0_4arch9wavefront6targetE1EEEvSL_ ; -- Begin function _ZN7rocprim17ROCPRIM_400000_NS6detail17trampoline_kernelINS0_14default_configENS1_36segmented_radix_sort_config_selectorI6__halflEEZNS1_25segmented_radix_sort_implIS3_Lb0EPKS5_PS5_PKlPlN2at6native12_GLOBAL__N_18offset_tEEE10hipError_tPvRmT1_PNSt15iterator_traitsISL_E10value_typeET2_T3_PNSM_ISR_E10value_typeET4_jRbjT5_SX_jjP12ihipStream_tbEUlT_E0_NS1_11comp_targetILNS1_3genE9ELNS1_11target_archE1100ELNS1_3gpuE3ELNS1_3repE0EEENS1_60segmented_radix_sort_warp_sort_medium_config_static_selectorELNS0_4arch9wavefront6targetE1EEEvSL_
	.p2align	8
	.type	_ZN7rocprim17ROCPRIM_400000_NS6detail17trampoline_kernelINS0_14default_configENS1_36segmented_radix_sort_config_selectorI6__halflEEZNS1_25segmented_radix_sort_implIS3_Lb0EPKS5_PS5_PKlPlN2at6native12_GLOBAL__N_18offset_tEEE10hipError_tPvRmT1_PNSt15iterator_traitsISL_E10value_typeET2_T3_PNSM_ISR_E10value_typeET4_jRbjT5_SX_jjP12ihipStream_tbEUlT_E0_NS1_11comp_targetILNS1_3genE9ELNS1_11target_archE1100ELNS1_3gpuE3ELNS1_3repE0EEENS1_60segmented_radix_sort_warp_sort_medium_config_static_selectorELNS0_4arch9wavefront6targetE1EEEvSL_,@function
_ZN7rocprim17ROCPRIM_400000_NS6detail17trampoline_kernelINS0_14default_configENS1_36segmented_radix_sort_config_selectorI6__halflEEZNS1_25segmented_radix_sort_implIS3_Lb0EPKS5_PS5_PKlPlN2at6native12_GLOBAL__N_18offset_tEEE10hipError_tPvRmT1_PNSt15iterator_traitsISL_E10value_typeET2_T3_PNSM_ISR_E10value_typeET4_jRbjT5_SX_jjP12ihipStream_tbEUlT_E0_NS1_11comp_targetILNS1_3genE9ELNS1_11target_archE1100ELNS1_3gpuE3ELNS1_3repE0EEENS1_60segmented_radix_sort_warp_sort_medium_config_static_selectorELNS0_4arch9wavefront6targetE1EEEvSL_: ; @_ZN7rocprim17ROCPRIM_400000_NS6detail17trampoline_kernelINS0_14default_configENS1_36segmented_radix_sort_config_selectorI6__halflEEZNS1_25segmented_radix_sort_implIS3_Lb0EPKS5_PS5_PKlPlN2at6native12_GLOBAL__N_18offset_tEEE10hipError_tPvRmT1_PNSt15iterator_traitsISL_E10value_typeET2_T3_PNSM_ISR_E10value_typeET4_jRbjT5_SX_jjP12ihipStream_tbEUlT_E0_NS1_11comp_targetILNS1_3genE9ELNS1_11target_archE1100ELNS1_3gpuE3ELNS1_3repE0EEENS1_60segmented_radix_sort_warp_sort_medium_config_static_selectorELNS0_4arch9wavefront6targetE1EEEvSL_
; %bb.0:
	.section	.rodata,"a",@progbits
	.p2align	6, 0x0
	.amdhsa_kernel _ZN7rocprim17ROCPRIM_400000_NS6detail17trampoline_kernelINS0_14default_configENS1_36segmented_radix_sort_config_selectorI6__halflEEZNS1_25segmented_radix_sort_implIS3_Lb0EPKS5_PS5_PKlPlN2at6native12_GLOBAL__N_18offset_tEEE10hipError_tPvRmT1_PNSt15iterator_traitsISL_E10value_typeET2_T3_PNSM_ISR_E10value_typeET4_jRbjT5_SX_jjP12ihipStream_tbEUlT_E0_NS1_11comp_targetILNS1_3genE9ELNS1_11target_archE1100ELNS1_3gpuE3ELNS1_3repE0EEENS1_60segmented_radix_sort_warp_sort_medium_config_static_selectorELNS0_4arch9wavefront6targetE1EEEvSL_
		.amdhsa_group_segment_fixed_size 0
		.amdhsa_private_segment_fixed_size 0
		.amdhsa_kernarg_size 88
		.amdhsa_user_sgpr_count 6
		.amdhsa_user_sgpr_private_segment_buffer 1
		.amdhsa_user_sgpr_dispatch_ptr 0
		.amdhsa_user_sgpr_queue_ptr 0
		.amdhsa_user_sgpr_kernarg_segment_ptr 1
		.amdhsa_user_sgpr_dispatch_id 0
		.amdhsa_user_sgpr_flat_scratch_init 0
		.amdhsa_user_sgpr_private_segment_size 0
		.amdhsa_uses_dynamic_stack 0
		.amdhsa_system_sgpr_private_segment_wavefront_offset 0
		.amdhsa_system_sgpr_workgroup_id_x 1
		.amdhsa_system_sgpr_workgroup_id_y 0
		.amdhsa_system_sgpr_workgroup_id_z 0
		.amdhsa_system_sgpr_workgroup_info 0
		.amdhsa_system_vgpr_workitem_id 0
		.amdhsa_next_free_vgpr 1
		.amdhsa_next_free_sgpr 0
		.amdhsa_reserve_vcc 0
		.amdhsa_reserve_flat_scratch 0
		.amdhsa_float_round_mode_32 0
		.amdhsa_float_round_mode_16_64 0
		.amdhsa_float_denorm_mode_32 3
		.amdhsa_float_denorm_mode_16_64 3
		.amdhsa_dx10_clamp 1
		.amdhsa_ieee_mode 1
		.amdhsa_fp16_overflow 0
		.amdhsa_exception_fp_ieee_invalid_op 0
		.amdhsa_exception_fp_denorm_src 0
		.amdhsa_exception_fp_ieee_div_zero 0
		.amdhsa_exception_fp_ieee_overflow 0
		.amdhsa_exception_fp_ieee_underflow 0
		.amdhsa_exception_fp_ieee_inexact 0
		.amdhsa_exception_int_div_zero 0
	.end_amdhsa_kernel
	.section	.text._ZN7rocprim17ROCPRIM_400000_NS6detail17trampoline_kernelINS0_14default_configENS1_36segmented_radix_sort_config_selectorI6__halflEEZNS1_25segmented_radix_sort_implIS3_Lb0EPKS5_PS5_PKlPlN2at6native12_GLOBAL__N_18offset_tEEE10hipError_tPvRmT1_PNSt15iterator_traitsISL_E10value_typeET2_T3_PNSM_ISR_E10value_typeET4_jRbjT5_SX_jjP12ihipStream_tbEUlT_E0_NS1_11comp_targetILNS1_3genE9ELNS1_11target_archE1100ELNS1_3gpuE3ELNS1_3repE0EEENS1_60segmented_radix_sort_warp_sort_medium_config_static_selectorELNS0_4arch9wavefront6targetE1EEEvSL_,"axG",@progbits,_ZN7rocprim17ROCPRIM_400000_NS6detail17trampoline_kernelINS0_14default_configENS1_36segmented_radix_sort_config_selectorI6__halflEEZNS1_25segmented_radix_sort_implIS3_Lb0EPKS5_PS5_PKlPlN2at6native12_GLOBAL__N_18offset_tEEE10hipError_tPvRmT1_PNSt15iterator_traitsISL_E10value_typeET2_T3_PNSM_ISR_E10value_typeET4_jRbjT5_SX_jjP12ihipStream_tbEUlT_E0_NS1_11comp_targetILNS1_3genE9ELNS1_11target_archE1100ELNS1_3gpuE3ELNS1_3repE0EEENS1_60segmented_radix_sort_warp_sort_medium_config_static_selectorELNS0_4arch9wavefront6targetE1EEEvSL_,comdat
.Lfunc_end1860:
	.size	_ZN7rocprim17ROCPRIM_400000_NS6detail17trampoline_kernelINS0_14default_configENS1_36segmented_radix_sort_config_selectorI6__halflEEZNS1_25segmented_radix_sort_implIS3_Lb0EPKS5_PS5_PKlPlN2at6native12_GLOBAL__N_18offset_tEEE10hipError_tPvRmT1_PNSt15iterator_traitsISL_E10value_typeET2_T3_PNSM_ISR_E10value_typeET4_jRbjT5_SX_jjP12ihipStream_tbEUlT_E0_NS1_11comp_targetILNS1_3genE9ELNS1_11target_archE1100ELNS1_3gpuE3ELNS1_3repE0EEENS1_60segmented_radix_sort_warp_sort_medium_config_static_selectorELNS0_4arch9wavefront6targetE1EEEvSL_, .Lfunc_end1860-_ZN7rocprim17ROCPRIM_400000_NS6detail17trampoline_kernelINS0_14default_configENS1_36segmented_radix_sort_config_selectorI6__halflEEZNS1_25segmented_radix_sort_implIS3_Lb0EPKS5_PS5_PKlPlN2at6native12_GLOBAL__N_18offset_tEEE10hipError_tPvRmT1_PNSt15iterator_traitsISL_E10value_typeET2_T3_PNSM_ISR_E10value_typeET4_jRbjT5_SX_jjP12ihipStream_tbEUlT_E0_NS1_11comp_targetILNS1_3genE9ELNS1_11target_archE1100ELNS1_3gpuE3ELNS1_3repE0EEENS1_60segmented_radix_sort_warp_sort_medium_config_static_selectorELNS0_4arch9wavefront6targetE1EEEvSL_
                                        ; -- End function
	.set _ZN7rocprim17ROCPRIM_400000_NS6detail17trampoline_kernelINS0_14default_configENS1_36segmented_radix_sort_config_selectorI6__halflEEZNS1_25segmented_radix_sort_implIS3_Lb0EPKS5_PS5_PKlPlN2at6native12_GLOBAL__N_18offset_tEEE10hipError_tPvRmT1_PNSt15iterator_traitsISL_E10value_typeET2_T3_PNSM_ISR_E10value_typeET4_jRbjT5_SX_jjP12ihipStream_tbEUlT_E0_NS1_11comp_targetILNS1_3genE9ELNS1_11target_archE1100ELNS1_3gpuE3ELNS1_3repE0EEENS1_60segmented_radix_sort_warp_sort_medium_config_static_selectorELNS0_4arch9wavefront6targetE1EEEvSL_.num_vgpr, 0
	.set _ZN7rocprim17ROCPRIM_400000_NS6detail17trampoline_kernelINS0_14default_configENS1_36segmented_radix_sort_config_selectorI6__halflEEZNS1_25segmented_radix_sort_implIS3_Lb0EPKS5_PS5_PKlPlN2at6native12_GLOBAL__N_18offset_tEEE10hipError_tPvRmT1_PNSt15iterator_traitsISL_E10value_typeET2_T3_PNSM_ISR_E10value_typeET4_jRbjT5_SX_jjP12ihipStream_tbEUlT_E0_NS1_11comp_targetILNS1_3genE9ELNS1_11target_archE1100ELNS1_3gpuE3ELNS1_3repE0EEENS1_60segmented_radix_sort_warp_sort_medium_config_static_selectorELNS0_4arch9wavefront6targetE1EEEvSL_.num_agpr, 0
	.set _ZN7rocprim17ROCPRIM_400000_NS6detail17trampoline_kernelINS0_14default_configENS1_36segmented_radix_sort_config_selectorI6__halflEEZNS1_25segmented_radix_sort_implIS3_Lb0EPKS5_PS5_PKlPlN2at6native12_GLOBAL__N_18offset_tEEE10hipError_tPvRmT1_PNSt15iterator_traitsISL_E10value_typeET2_T3_PNSM_ISR_E10value_typeET4_jRbjT5_SX_jjP12ihipStream_tbEUlT_E0_NS1_11comp_targetILNS1_3genE9ELNS1_11target_archE1100ELNS1_3gpuE3ELNS1_3repE0EEENS1_60segmented_radix_sort_warp_sort_medium_config_static_selectorELNS0_4arch9wavefront6targetE1EEEvSL_.numbered_sgpr, 0
	.set _ZN7rocprim17ROCPRIM_400000_NS6detail17trampoline_kernelINS0_14default_configENS1_36segmented_radix_sort_config_selectorI6__halflEEZNS1_25segmented_radix_sort_implIS3_Lb0EPKS5_PS5_PKlPlN2at6native12_GLOBAL__N_18offset_tEEE10hipError_tPvRmT1_PNSt15iterator_traitsISL_E10value_typeET2_T3_PNSM_ISR_E10value_typeET4_jRbjT5_SX_jjP12ihipStream_tbEUlT_E0_NS1_11comp_targetILNS1_3genE9ELNS1_11target_archE1100ELNS1_3gpuE3ELNS1_3repE0EEENS1_60segmented_radix_sort_warp_sort_medium_config_static_selectorELNS0_4arch9wavefront6targetE1EEEvSL_.num_named_barrier, 0
	.set _ZN7rocprim17ROCPRIM_400000_NS6detail17trampoline_kernelINS0_14default_configENS1_36segmented_radix_sort_config_selectorI6__halflEEZNS1_25segmented_radix_sort_implIS3_Lb0EPKS5_PS5_PKlPlN2at6native12_GLOBAL__N_18offset_tEEE10hipError_tPvRmT1_PNSt15iterator_traitsISL_E10value_typeET2_T3_PNSM_ISR_E10value_typeET4_jRbjT5_SX_jjP12ihipStream_tbEUlT_E0_NS1_11comp_targetILNS1_3genE9ELNS1_11target_archE1100ELNS1_3gpuE3ELNS1_3repE0EEENS1_60segmented_radix_sort_warp_sort_medium_config_static_selectorELNS0_4arch9wavefront6targetE1EEEvSL_.private_seg_size, 0
	.set _ZN7rocprim17ROCPRIM_400000_NS6detail17trampoline_kernelINS0_14default_configENS1_36segmented_radix_sort_config_selectorI6__halflEEZNS1_25segmented_radix_sort_implIS3_Lb0EPKS5_PS5_PKlPlN2at6native12_GLOBAL__N_18offset_tEEE10hipError_tPvRmT1_PNSt15iterator_traitsISL_E10value_typeET2_T3_PNSM_ISR_E10value_typeET4_jRbjT5_SX_jjP12ihipStream_tbEUlT_E0_NS1_11comp_targetILNS1_3genE9ELNS1_11target_archE1100ELNS1_3gpuE3ELNS1_3repE0EEENS1_60segmented_radix_sort_warp_sort_medium_config_static_selectorELNS0_4arch9wavefront6targetE1EEEvSL_.uses_vcc, 0
	.set _ZN7rocprim17ROCPRIM_400000_NS6detail17trampoline_kernelINS0_14default_configENS1_36segmented_radix_sort_config_selectorI6__halflEEZNS1_25segmented_radix_sort_implIS3_Lb0EPKS5_PS5_PKlPlN2at6native12_GLOBAL__N_18offset_tEEE10hipError_tPvRmT1_PNSt15iterator_traitsISL_E10value_typeET2_T3_PNSM_ISR_E10value_typeET4_jRbjT5_SX_jjP12ihipStream_tbEUlT_E0_NS1_11comp_targetILNS1_3genE9ELNS1_11target_archE1100ELNS1_3gpuE3ELNS1_3repE0EEENS1_60segmented_radix_sort_warp_sort_medium_config_static_selectorELNS0_4arch9wavefront6targetE1EEEvSL_.uses_flat_scratch, 0
	.set _ZN7rocprim17ROCPRIM_400000_NS6detail17trampoline_kernelINS0_14default_configENS1_36segmented_radix_sort_config_selectorI6__halflEEZNS1_25segmented_radix_sort_implIS3_Lb0EPKS5_PS5_PKlPlN2at6native12_GLOBAL__N_18offset_tEEE10hipError_tPvRmT1_PNSt15iterator_traitsISL_E10value_typeET2_T3_PNSM_ISR_E10value_typeET4_jRbjT5_SX_jjP12ihipStream_tbEUlT_E0_NS1_11comp_targetILNS1_3genE9ELNS1_11target_archE1100ELNS1_3gpuE3ELNS1_3repE0EEENS1_60segmented_radix_sort_warp_sort_medium_config_static_selectorELNS0_4arch9wavefront6targetE1EEEvSL_.has_dyn_sized_stack, 0
	.set _ZN7rocprim17ROCPRIM_400000_NS6detail17trampoline_kernelINS0_14default_configENS1_36segmented_radix_sort_config_selectorI6__halflEEZNS1_25segmented_radix_sort_implIS3_Lb0EPKS5_PS5_PKlPlN2at6native12_GLOBAL__N_18offset_tEEE10hipError_tPvRmT1_PNSt15iterator_traitsISL_E10value_typeET2_T3_PNSM_ISR_E10value_typeET4_jRbjT5_SX_jjP12ihipStream_tbEUlT_E0_NS1_11comp_targetILNS1_3genE9ELNS1_11target_archE1100ELNS1_3gpuE3ELNS1_3repE0EEENS1_60segmented_radix_sort_warp_sort_medium_config_static_selectorELNS0_4arch9wavefront6targetE1EEEvSL_.has_recursion, 0
	.set _ZN7rocprim17ROCPRIM_400000_NS6detail17trampoline_kernelINS0_14default_configENS1_36segmented_radix_sort_config_selectorI6__halflEEZNS1_25segmented_radix_sort_implIS3_Lb0EPKS5_PS5_PKlPlN2at6native12_GLOBAL__N_18offset_tEEE10hipError_tPvRmT1_PNSt15iterator_traitsISL_E10value_typeET2_T3_PNSM_ISR_E10value_typeET4_jRbjT5_SX_jjP12ihipStream_tbEUlT_E0_NS1_11comp_targetILNS1_3genE9ELNS1_11target_archE1100ELNS1_3gpuE3ELNS1_3repE0EEENS1_60segmented_radix_sort_warp_sort_medium_config_static_selectorELNS0_4arch9wavefront6targetE1EEEvSL_.has_indirect_call, 0
	.section	.AMDGPU.csdata,"",@progbits
; Kernel info:
; codeLenInByte = 0
; TotalNumSgprs: 4
; NumVgprs: 0
; ScratchSize: 0
; MemoryBound: 0
; FloatMode: 240
; IeeeMode: 1
; LDSByteSize: 0 bytes/workgroup (compile time only)
; SGPRBlocks: 0
; VGPRBlocks: 0
; NumSGPRsForWavesPerEU: 4
; NumVGPRsForWavesPerEU: 1
; Occupancy: 10
; WaveLimiterHint : 0
; COMPUTE_PGM_RSRC2:SCRATCH_EN: 0
; COMPUTE_PGM_RSRC2:USER_SGPR: 6
; COMPUTE_PGM_RSRC2:TRAP_HANDLER: 0
; COMPUTE_PGM_RSRC2:TGID_X_EN: 1
; COMPUTE_PGM_RSRC2:TGID_Y_EN: 0
; COMPUTE_PGM_RSRC2:TGID_Z_EN: 0
; COMPUTE_PGM_RSRC2:TIDIG_COMP_CNT: 0
	.section	.text._ZN7rocprim17ROCPRIM_400000_NS6detail17trampoline_kernelINS0_14default_configENS1_36segmented_radix_sort_config_selectorI6__halflEEZNS1_25segmented_radix_sort_implIS3_Lb0EPKS5_PS5_PKlPlN2at6native12_GLOBAL__N_18offset_tEEE10hipError_tPvRmT1_PNSt15iterator_traitsISL_E10value_typeET2_T3_PNSM_ISR_E10value_typeET4_jRbjT5_SX_jjP12ihipStream_tbEUlT_E0_NS1_11comp_targetILNS1_3genE8ELNS1_11target_archE1030ELNS1_3gpuE2ELNS1_3repE0EEENS1_60segmented_radix_sort_warp_sort_medium_config_static_selectorELNS0_4arch9wavefront6targetE1EEEvSL_,"axG",@progbits,_ZN7rocprim17ROCPRIM_400000_NS6detail17trampoline_kernelINS0_14default_configENS1_36segmented_radix_sort_config_selectorI6__halflEEZNS1_25segmented_radix_sort_implIS3_Lb0EPKS5_PS5_PKlPlN2at6native12_GLOBAL__N_18offset_tEEE10hipError_tPvRmT1_PNSt15iterator_traitsISL_E10value_typeET2_T3_PNSM_ISR_E10value_typeET4_jRbjT5_SX_jjP12ihipStream_tbEUlT_E0_NS1_11comp_targetILNS1_3genE8ELNS1_11target_archE1030ELNS1_3gpuE2ELNS1_3repE0EEENS1_60segmented_radix_sort_warp_sort_medium_config_static_selectorELNS0_4arch9wavefront6targetE1EEEvSL_,comdat
	.globl	_ZN7rocprim17ROCPRIM_400000_NS6detail17trampoline_kernelINS0_14default_configENS1_36segmented_radix_sort_config_selectorI6__halflEEZNS1_25segmented_radix_sort_implIS3_Lb0EPKS5_PS5_PKlPlN2at6native12_GLOBAL__N_18offset_tEEE10hipError_tPvRmT1_PNSt15iterator_traitsISL_E10value_typeET2_T3_PNSM_ISR_E10value_typeET4_jRbjT5_SX_jjP12ihipStream_tbEUlT_E0_NS1_11comp_targetILNS1_3genE8ELNS1_11target_archE1030ELNS1_3gpuE2ELNS1_3repE0EEENS1_60segmented_radix_sort_warp_sort_medium_config_static_selectorELNS0_4arch9wavefront6targetE1EEEvSL_ ; -- Begin function _ZN7rocprim17ROCPRIM_400000_NS6detail17trampoline_kernelINS0_14default_configENS1_36segmented_radix_sort_config_selectorI6__halflEEZNS1_25segmented_radix_sort_implIS3_Lb0EPKS5_PS5_PKlPlN2at6native12_GLOBAL__N_18offset_tEEE10hipError_tPvRmT1_PNSt15iterator_traitsISL_E10value_typeET2_T3_PNSM_ISR_E10value_typeET4_jRbjT5_SX_jjP12ihipStream_tbEUlT_E0_NS1_11comp_targetILNS1_3genE8ELNS1_11target_archE1030ELNS1_3gpuE2ELNS1_3repE0EEENS1_60segmented_radix_sort_warp_sort_medium_config_static_selectorELNS0_4arch9wavefront6targetE1EEEvSL_
	.p2align	8
	.type	_ZN7rocprim17ROCPRIM_400000_NS6detail17trampoline_kernelINS0_14default_configENS1_36segmented_radix_sort_config_selectorI6__halflEEZNS1_25segmented_radix_sort_implIS3_Lb0EPKS5_PS5_PKlPlN2at6native12_GLOBAL__N_18offset_tEEE10hipError_tPvRmT1_PNSt15iterator_traitsISL_E10value_typeET2_T3_PNSM_ISR_E10value_typeET4_jRbjT5_SX_jjP12ihipStream_tbEUlT_E0_NS1_11comp_targetILNS1_3genE8ELNS1_11target_archE1030ELNS1_3gpuE2ELNS1_3repE0EEENS1_60segmented_radix_sort_warp_sort_medium_config_static_selectorELNS0_4arch9wavefront6targetE1EEEvSL_,@function
_ZN7rocprim17ROCPRIM_400000_NS6detail17trampoline_kernelINS0_14default_configENS1_36segmented_radix_sort_config_selectorI6__halflEEZNS1_25segmented_radix_sort_implIS3_Lb0EPKS5_PS5_PKlPlN2at6native12_GLOBAL__N_18offset_tEEE10hipError_tPvRmT1_PNSt15iterator_traitsISL_E10value_typeET2_T3_PNSM_ISR_E10value_typeET4_jRbjT5_SX_jjP12ihipStream_tbEUlT_E0_NS1_11comp_targetILNS1_3genE8ELNS1_11target_archE1030ELNS1_3gpuE2ELNS1_3repE0EEENS1_60segmented_radix_sort_warp_sort_medium_config_static_selectorELNS0_4arch9wavefront6targetE1EEEvSL_: ; @_ZN7rocprim17ROCPRIM_400000_NS6detail17trampoline_kernelINS0_14default_configENS1_36segmented_radix_sort_config_selectorI6__halflEEZNS1_25segmented_radix_sort_implIS3_Lb0EPKS5_PS5_PKlPlN2at6native12_GLOBAL__N_18offset_tEEE10hipError_tPvRmT1_PNSt15iterator_traitsISL_E10value_typeET2_T3_PNSM_ISR_E10value_typeET4_jRbjT5_SX_jjP12ihipStream_tbEUlT_E0_NS1_11comp_targetILNS1_3genE8ELNS1_11target_archE1030ELNS1_3gpuE2ELNS1_3repE0EEENS1_60segmented_radix_sort_warp_sort_medium_config_static_selectorELNS0_4arch9wavefront6targetE1EEEvSL_
; %bb.0:
	.section	.rodata,"a",@progbits
	.p2align	6, 0x0
	.amdhsa_kernel _ZN7rocprim17ROCPRIM_400000_NS6detail17trampoline_kernelINS0_14default_configENS1_36segmented_radix_sort_config_selectorI6__halflEEZNS1_25segmented_radix_sort_implIS3_Lb0EPKS5_PS5_PKlPlN2at6native12_GLOBAL__N_18offset_tEEE10hipError_tPvRmT1_PNSt15iterator_traitsISL_E10value_typeET2_T3_PNSM_ISR_E10value_typeET4_jRbjT5_SX_jjP12ihipStream_tbEUlT_E0_NS1_11comp_targetILNS1_3genE8ELNS1_11target_archE1030ELNS1_3gpuE2ELNS1_3repE0EEENS1_60segmented_radix_sort_warp_sort_medium_config_static_selectorELNS0_4arch9wavefront6targetE1EEEvSL_
		.amdhsa_group_segment_fixed_size 0
		.amdhsa_private_segment_fixed_size 0
		.amdhsa_kernarg_size 88
		.amdhsa_user_sgpr_count 6
		.amdhsa_user_sgpr_private_segment_buffer 1
		.amdhsa_user_sgpr_dispatch_ptr 0
		.amdhsa_user_sgpr_queue_ptr 0
		.amdhsa_user_sgpr_kernarg_segment_ptr 1
		.amdhsa_user_sgpr_dispatch_id 0
		.amdhsa_user_sgpr_flat_scratch_init 0
		.amdhsa_user_sgpr_private_segment_size 0
		.amdhsa_uses_dynamic_stack 0
		.amdhsa_system_sgpr_private_segment_wavefront_offset 0
		.amdhsa_system_sgpr_workgroup_id_x 1
		.amdhsa_system_sgpr_workgroup_id_y 0
		.amdhsa_system_sgpr_workgroup_id_z 0
		.amdhsa_system_sgpr_workgroup_info 0
		.amdhsa_system_vgpr_workitem_id 0
		.amdhsa_next_free_vgpr 1
		.amdhsa_next_free_sgpr 0
		.amdhsa_reserve_vcc 0
		.amdhsa_reserve_flat_scratch 0
		.amdhsa_float_round_mode_32 0
		.amdhsa_float_round_mode_16_64 0
		.amdhsa_float_denorm_mode_32 3
		.amdhsa_float_denorm_mode_16_64 3
		.amdhsa_dx10_clamp 1
		.amdhsa_ieee_mode 1
		.amdhsa_fp16_overflow 0
		.amdhsa_exception_fp_ieee_invalid_op 0
		.amdhsa_exception_fp_denorm_src 0
		.amdhsa_exception_fp_ieee_div_zero 0
		.amdhsa_exception_fp_ieee_overflow 0
		.amdhsa_exception_fp_ieee_underflow 0
		.amdhsa_exception_fp_ieee_inexact 0
		.amdhsa_exception_int_div_zero 0
	.end_amdhsa_kernel
	.section	.text._ZN7rocprim17ROCPRIM_400000_NS6detail17trampoline_kernelINS0_14default_configENS1_36segmented_radix_sort_config_selectorI6__halflEEZNS1_25segmented_radix_sort_implIS3_Lb0EPKS5_PS5_PKlPlN2at6native12_GLOBAL__N_18offset_tEEE10hipError_tPvRmT1_PNSt15iterator_traitsISL_E10value_typeET2_T3_PNSM_ISR_E10value_typeET4_jRbjT5_SX_jjP12ihipStream_tbEUlT_E0_NS1_11comp_targetILNS1_3genE8ELNS1_11target_archE1030ELNS1_3gpuE2ELNS1_3repE0EEENS1_60segmented_radix_sort_warp_sort_medium_config_static_selectorELNS0_4arch9wavefront6targetE1EEEvSL_,"axG",@progbits,_ZN7rocprim17ROCPRIM_400000_NS6detail17trampoline_kernelINS0_14default_configENS1_36segmented_radix_sort_config_selectorI6__halflEEZNS1_25segmented_radix_sort_implIS3_Lb0EPKS5_PS5_PKlPlN2at6native12_GLOBAL__N_18offset_tEEE10hipError_tPvRmT1_PNSt15iterator_traitsISL_E10value_typeET2_T3_PNSM_ISR_E10value_typeET4_jRbjT5_SX_jjP12ihipStream_tbEUlT_E0_NS1_11comp_targetILNS1_3genE8ELNS1_11target_archE1030ELNS1_3gpuE2ELNS1_3repE0EEENS1_60segmented_radix_sort_warp_sort_medium_config_static_selectorELNS0_4arch9wavefront6targetE1EEEvSL_,comdat
.Lfunc_end1861:
	.size	_ZN7rocprim17ROCPRIM_400000_NS6detail17trampoline_kernelINS0_14default_configENS1_36segmented_radix_sort_config_selectorI6__halflEEZNS1_25segmented_radix_sort_implIS3_Lb0EPKS5_PS5_PKlPlN2at6native12_GLOBAL__N_18offset_tEEE10hipError_tPvRmT1_PNSt15iterator_traitsISL_E10value_typeET2_T3_PNSM_ISR_E10value_typeET4_jRbjT5_SX_jjP12ihipStream_tbEUlT_E0_NS1_11comp_targetILNS1_3genE8ELNS1_11target_archE1030ELNS1_3gpuE2ELNS1_3repE0EEENS1_60segmented_radix_sort_warp_sort_medium_config_static_selectorELNS0_4arch9wavefront6targetE1EEEvSL_, .Lfunc_end1861-_ZN7rocprim17ROCPRIM_400000_NS6detail17trampoline_kernelINS0_14default_configENS1_36segmented_radix_sort_config_selectorI6__halflEEZNS1_25segmented_radix_sort_implIS3_Lb0EPKS5_PS5_PKlPlN2at6native12_GLOBAL__N_18offset_tEEE10hipError_tPvRmT1_PNSt15iterator_traitsISL_E10value_typeET2_T3_PNSM_ISR_E10value_typeET4_jRbjT5_SX_jjP12ihipStream_tbEUlT_E0_NS1_11comp_targetILNS1_3genE8ELNS1_11target_archE1030ELNS1_3gpuE2ELNS1_3repE0EEENS1_60segmented_radix_sort_warp_sort_medium_config_static_selectorELNS0_4arch9wavefront6targetE1EEEvSL_
                                        ; -- End function
	.set _ZN7rocprim17ROCPRIM_400000_NS6detail17trampoline_kernelINS0_14default_configENS1_36segmented_radix_sort_config_selectorI6__halflEEZNS1_25segmented_radix_sort_implIS3_Lb0EPKS5_PS5_PKlPlN2at6native12_GLOBAL__N_18offset_tEEE10hipError_tPvRmT1_PNSt15iterator_traitsISL_E10value_typeET2_T3_PNSM_ISR_E10value_typeET4_jRbjT5_SX_jjP12ihipStream_tbEUlT_E0_NS1_11comp_targetILNS1_3genE8ELNS1_11target_archE1030ELNS1_3gpuE2ELNS1_3repE0EEENS1_60segmented_radix_sort_warp_sort_medium_config_static_selectorELNS0_4arch9wavefront6targetE1EEEvSL_.num_vgpr, 0
	.set _ZN7rocprim17ROCPRIM_400000_NS6detail17trampoline_kernelINS0_14default_configENS1_36segmented_radix_sort_config_selectorI6__halflEEZNS1_25segmented_radix_sort_implIS3_Lb0EPKS5_PS5_PKlPlN2at6native12_GLOBAL__N_18offset_tEEE10hipError_tPvRmT1_PNSt15iterator_traitsISL_E10value_typeET2_T3_PNSM_ISR_E10value_typeET4_jRbjT5_SX_jjP12ihipStream_tbEUlT_E0_NS1_11comp_targetILNS1_3genE8ELNS1_11target_archE1030ELNS1_3gpuE2ELNS1_3repE0EEENS1_60segmented_radix_sort_warp_sort_medium_config_static_selectorELNS0_4arch9wavefront6targetE1EEEvSL_.num_agpr, 0
	.set _ZN7rocprim17ROCPRIM_400000_NS6detail17trampoline_kernelINS0_14default_configENS1_36segmented_radix_sort_config_selectorI6__halflEEZNS1_25segmented_radix_sort_implIS3_Lb0EPKS5_PS5_PKlPlN2at6native12_GLOBAL__N_18offset_tEEE10hipError_tPvRmT1_PNSt15iterator_traitsISL_E10value_typeET2_T3_PNSM_ISR_E10value_typeET4_jRbjT5_SX_jjP12ihipStream_tbEUlT_E0_NS1_11comp_targetILNS1_3genE8ELNS1_11target_archE1030ELNS1_3gpuE2ELNS1_3repE0EEENS1_60segmented_radix_sort_warp_sort_medium_config_static_selectorELNS0_4arch9wavefront6targetE1EEEvSL_.numbered_sgpr, 0
	.set _ZN7rocprim17ROCPRIM_400000_NS6detail17trampoline_kernelINS0_14default_configENS1_36segmented_radix_sort_config_selectorI6__halflEEZNS1_25segmented_radix_sort_implIS3_Lb0EPKS5_PS5_PKlPlN2at6native12_GLOBAL__N_18offset_tEEE10hipError_tPvRmT1_PNSt15iterator_traitsISL_E10value_typeET2_T3_PNSM_ISR_E10value_typeET4_jRbjT5_SX_jjP12ihipStream_tbEUlT_E0_NS1_11comp_targetILNS1_3genE8ELNS1_11target_archE1030ELNS1_3gpuE2ELNS1_3repE0EEENS1_60segmented_radix_sort_warp_sort_medium_config_static_selectorELNS0_4arch9wavefront6targetE1EEEvSL_.num_named_barrier, 0
	.set _ZN7rocprim17ROCPRIM_400000_NS6detail17trampoline_kernelINS0_14default_configENS1_36segmented_radix_sort_config_selectorI6__halflEEZNS1_25segmented_radix_sort_implIS3_Lb0EPKS5_PS5_PKlPlN2at6native12_GLOBAL__N_18offset_tEEE10hipError_tPvRmT1_PNSt15iterator_traitsISL_E10value_typeET2_T3_PNSM_ISR_E10value_typeET4_jRbjT5_SX_jjP12ihipStream_tbEUlT_E0_NS1_11comp_targetILNS1_3genE8ELNS1_11target_archE1030ELNS1_3gpuE2ELNS1_3repE0EEENS1_60segmented_radix_sort_warp_sort_medium_config_static_selectorELNS0_4arch9wavefront6targetE1EEEvSL_.private_seg_size, 0
	.set _ZN7rocprim17ROCPRIM_400000_NS6detail17trampoline_kernelINS0_14default_configENS1_36segmented_radix_sort_config_selectorI6__halflEEZNS1_25segmented_radix_sort_implIS3_Lb0EPKS5_PS5_PKlPlN2at6native12_GLOBAL__N_18offset_tEEE10hipError_tPvRmT1_PNSt15iterator_traitsISL_E10value_typeET2_T3_PNSM_ISR_E10value_typeET4_jRbjT5_SX_jjP12ihipStream_tbEUlT_E0_NS1_11comp_targetILNS1_3genE8ELNS1_11target_archE1030ELNS1_3gpuE2ELNS1_3repE0EEENS1_60segmented_radix_sort_warp_sort_medium_config_static_selectorELNS0_4arch9wavefront6targetE1EEEvSL_.uses_vcc, 0
	.set _ZN7rocprim17ROCPRIM_400000_NS6detail17trampoline_kernelINS0_14default_configENS1_36segmented_radix_sort_config_selectorI6__halflEEZNS1_25segmented_radix_sort_implIS3_Lb0EPKS5_PS5_PKlPlN2at6native12_GLOBAL__N_18offset_tEEE10hipError_tPvRmT1_PNSt15iterator_traitsISL_E10value_typeET2_T3_PNSM_ISR_E10value_typeET4_jRbjT5_SX_jjP12ihipStream_tbEUlT_E0_NS1_11comp_targetILNS1_3genE8ELNS1_11target_archE1030ELNS1_3gpuE2ELNS1_3repE0EEENS1_60segmented_radix_sort_warp_sort_medium_config_static_selectorELNS0_4arch9wavefront6targetE1EEEvSL_.uses_flat_scratch, 0
	.set _ZN7rocprim17ROCPRIM_400000_NS6detail17trampoline_kernelINS0_14default_configENS1_36segmented_radix_sort_config_selectorI6__halflEEZNS1_25segmented_radix_sort_implIS3_Lb0EPKS5_PS5_PKlPlN2at6native12_GLOBAL__N_18offset_tEEE10hipError_tPvRmT1_PNSt15iterator_traitsISL_E10value_typeET2_T3_PNSM_ISR_E10value_typeET4_jRbjT5_SX_jjP12ihipStream_tbEUlT_E0_NS1_11comp_targetILNS1_3genE8ELNS1_11target_archE1030ELNS1_3gpuE2ELNS1_3repE0EEENS1_60segmented_radix_sort_warp_sort_medium_config_static_selectorELNS0_4arch9wavefront6targetE1EEEvSL_.has_dyn_sized_stack, 0
	.set _ZN7rocprim17ROCPRIM_400000_NS6detail17trampoline_kernelINS0_14default_configENS1_36segmented_radix_sort_config_selectorI6__halflEEZNS1_25segmented_radix_sort_implIS3_Lb0EPKS5_PS5_PKlPlN2at6native12_GLOBAL__N_18offset_tEEE10hipError_tPvRmT1_PNSt15iterator_traitsISL_E10value_typeET2_T3_PNSM_ISR_E10value_typeET4_jRbjT5_SX_jjP12ihipStream_tbEUlT_E0_NS1_11comp_targetILNS1_3genE8ELNS1_11target_archE1030ELNS1_3gpuE2ELNS1_3repE0EEENS1_60segmented_radix_sort_warp_sort_medium_config_static_selectorELNS0_4arch9wavefront6targetE1EEEvSL_.has_recursion, 0
	.set _ZN7rocprim17ROCPRIM_400000_NS6detail17trampoline_kernelINS0_14default_configENS1_36segmented_radix_sort_config_selectorI6__halflEEZNS1_25segmented_radix_sort_implIS3_Lb0EPKS5_PS5_PKlPlN2at6native12_GLOBAL__N_18offset_tEEE10hipError_tPvRmT1_PNSt15iterator_traitsISL_E10value_typeET2_T3_PNSM_ISR_E10value_typeET4_jRbjT5_SX_jjP12ihipStream_tbEUlT_E0_NS1_11comp_targetILNS1_3genE8ELNS1_11target_archE1030ELNS1_3gpuE2ELNS1_3repE0EEENS1_60segmented_radix_sort_warp_sort_medium_config_static_selectorELNS0_4arch9wavefront6targetE1EEEvSL_.has_indirect_call, 0
	.section	.AMDGPU.csdata,"",@progbits
; Kernel info:
; codeLenInByte = 0
; TotalNumSgprs: 4
; NumVgprs: 0
; ScratchSize: 0
; MemoryBound: 0
; FloatMode: 240
; IeeeMode: 1
; LDSByteSize: 0 bytes/workgroup (compile time only)
; SGPRBlocks: 0
; VGPRBlocks: 0
; NumSGPRsForWavesPerEU: 4
; NumVGPRsForWavesPerEU: 1
; Occupancy: 10
; WaveLimiterHint : 0
; COMPUTE_PGM_RSRC2:SCRATCH_EN: 0
; COMPUTE_PGM_RSRC2:USER_SGPR: 6
; COMPUTE_PGM_RSRC2:TRAP_HANDLER: 0
; COMPUTE_PGM_RSRC2:TGID_X_EN: 1
; COMPUTE_PGM_RSRC2:TGID_Y_EN: 0
; COMPUTE_PGM_RSRC2:TGID_Z_EN: 0
; COMPUTE_PGM_RSRC2:TIDIG_COMP_CNT: 0
	.section	.text._ZN7rocprim17ROCPRIM_400000_NS6detail17trampoline_kernelINS0_14default_configENS1_36segmented_radix_sort_config_selectorI6__halflEEZNS1_25segmented_radix_sort_implIS3_Lb0EPKS5_PS5_PKlPlN2at6native12_GLOBAL__N_18offset_tEEE10hipError_tPvRmT1_PNSt15iterator_traitsISL_E10value_typeET2_T3_PNSM_ISR_E10value_typeET4_jRbjT5_SX_jjP12ihipStream_tbEUlT_E1_NS1_11comp_targetILNS1_3genE0ELNS1_11target_archE4294967295ELNS1_3gpuE0ELNS1_3repE0EEENS1_59segmented_radix_sort_warp_sort_small_config_static_selectorELNS0_4arch9wavefront6targetE1EEEvSL_,"axG",@progbits,_ZN7rocprim17ROCPRIM_400000_NS6detail17trampoline_kernelINS0_14default_configENS1_36segmented_radix_sort_config_selectorI6__halflEEZNS1_25segmented_radix_sort_implIS3_Lb0EPKS5_PS5_PKlPlN2at6native12_GLOBAL__N_18offset_tEEE10hipError_tPvRmT1_PNSt15iterator_traitsISL_E10value_typeET2_T3_PNSM_ISR_E10value_typeET4_jRbjT5_SX_jjP12ihipStream_tbEUlT_E1_NS1_11comp_targetILNS1_3genE0ELNS1_11target_archE4294967295ELNS1_3gpuE0ELNS1_3repE0EEENS1_59segmented_radix_sort_warp_sort_small_config_static_selectorELNS0_4arch9wavefront6targetE1EEEvSL_,comdat
	.globl	_ZN7rocprim17ROCPRIM_400000_NS6detail17trampoline_kernelINS0_14default_configENS1_36segmented_radix_sort_config_selectorI6__halflEEZNS1_25segmented_radix_sort_implIS3_Lb0EPKS5_PS5_PKlPlN2at6native12_GLOBAL__N_18offset_tEEE10hipError_tPvRmT1_PNSt15iterator_traitsISL_E10value_typeET2_T3_PNSM_ISR_E10value_typeET4_jRbjT5_SX_jjP12ihipStream_tbEUlT_E1_NS1_11comp_targetILNS1_3genE0ELNS1_11target_archE4294967295ELNS1_3gpuE0ELNS1_3repE0EEENS1_59segmented_radix_sort_warp_sort_small_config_static_selectorELNS0_4arch9wavefront6targetE1EEEvSL_ ; -- Begin function _ZN7rocprim17ROCPRIM_400000_NS6detail17trampoline_kernelINS0_14default_configENS1_36segmented_radix_sort_config_selectorI6__halflEEZNS1_25segmented_radix_sort_implIS3_Lb0EPKS5_PS5_PKlPlN2at6native12_GLOBAL__N_18offset_tEEE10hipError_tPvRmT1_PNSt15iterator_traitsISL_E10value_typeET2_T3_PNSM_ISR_E10value_typeET4_jRbjT5_SX_jjP12ihipStream_tbEUlT_E1_NS1_11comp_targetILNS1_3genE0ELNS1_11target_archE4294967295ELNS1_3gpuE0ELNS1_3repE0EEENS1_59segmented_radix_sort_warp_sort_small_config_static_selectorELNS0_4arch9wavefront6targetE1EEEvSL_
	.p2align	8
	.type	_ZN7rocprim17ROCPRIM_400000_NS6detail17trampoline_kernelINS0_14default_configENS1_36segmented_radix_sort_config_selectorI6__halflEEZNS1_25segmented_radix_sort_implIS3_Lb0EPKS5_PS5_PKlPlN2at6native12_GLOBAL__N_18offset_tEEE10hipError_tPvRmT1_PNSt15iterator_traitsISL_E10value_typeET2_T3_PNSM_ISR_E10value_typeET4_jRbjT5_SX_jjP12ihipStream_tbEUlT_E1_NS1_11comp_targetILNS1_3genE0ELNS1_11target_archE4294967295ELNS1_3gpuE0ELNS1_3repE0EEENS1_59segmented_radix_sort_warp_sort_small_config_static_selectorELNS0_4arch9wavefront6targetE1EEEvSL_,@function
_ZN7rocprim17ROCPRIM_400000_NS6detail17trampoline_kernelINS0_14default_configENS1_36segmented_radix_sort_config_selectorI6__halflEEZNS1_25segmented_radix_sort_implIS3_Lb0EPKS5_PS5_PKlPlN2at6native12_GLOBAL__N_18offset_tEEE10hipError_tPvRmT1_PNSt15iterator_traitsISL_E10value_typeET2_T3_PNSM_ISR_E10value_typeET4_jRbjT5_SX_jjP12ihipStream_tbEUlT_E1_NS1_11comp_targetILNS1_3genE0ELNS1_11target_archE4294967295ELNS1_3gpuE0ELNS1_3repE0EEENS1_59segmented_radix_sort_warp_sort_small_config_static_selectorELNS0_4arch9wavefront6targetE1EEEvSL_: ; @_ZN7rocprim17ROCPRIM_400000_NS6detail17trampoline_kernelINS0_14default_configENS1_36segmented_radix_sort_config_selectorI6__halflEEZNS1_25segmented_radix_sort_implIS3_Lb0EPKS5_PS5_PKlPlN2at6native12_GLOBAL__N_18offset_tEEE10hipError_tPvRmT1_PNSt15iterator_traitsISL_E10value_typeET2_T3_PNSM_ISR_E10value_typeET4_jRbjT5_SX_jjP12ihipStream_tbEUlT_E1_NS1_11comp_targetILNS1_3genE0ELNS1_11target_archE4294967295ELNS1_3gpuE0ELNS1_3repE0EEENS1_59segmented_radix_sort_warp_sort_small_config_static_selectorELNS0_4arch9wavefront6targetE1EEEvSL_
; %bb.0:
	.section	.rodata,"a",@progbits
	.p2align	6, 0x0
	.amdhsa_kernel _ZN7rocprim17ROCPRIM_400000_NS6detail17trampoline_kernelINS0_14default_configENS1_36segmented_radix_sort_config_selectorI6__halflEEZNS1_25segmented_radix_sort_implIS3_Lb0EPKS5_PS5_PKlPlN2at6native12_GLOBAL__N_18offset_tEEE10hipError_tPvRmT1_PNSt15iterator_traitsISL_E10value_typeET2_T3_PNSM_ISR_E10value_typeET4_jRbjT5_SX_jjP12ihipStream_tbEUlT_E1_NS1_11comp_targetILNS1_3genE0ELNS1_11target_archE4294967295ELNS1_3gpuE0ELNS1_3repE0EEENS1_59segmented_radix_sort_warp_sort_small_config_static_selectorELNS0_4arch9wavefront6targetE1EEEvSL_
		.amdhsa_group_segment_fixed_size 0
		.amdhsa_private_segment_fixed_size 0
		.amdhsa_kernarg_size 88
		.amdhsa_user_sgpr_count 6
		.amdhsa_user_sgpr_private_segment_buffer 1
		.amdhsa_user_sgpr_dispatch_ptr 0
		.amdhsa_user_sgpr_queue_ptr 0
		.amdhsa_user_sgpr_kernarg_segment_ptr 1
		.amdhsa_user_sgpr_dispatch_id 0
		.amdhsa_user_sgpr_flat_scratch_init 0
		.amdhsa_user_sgpr_private_segment_size 0
		.amdhsa_uses_dynamic_stack 0
		.amdhsa_system_sgpr_private_segment_wavefront_offset 0
		.amdhsa_system_sgpr_workgroup_id_x 1
		.amdhsa_system_sgpr_workgroup_id_y 0
		.amdhsa_system_sgpr_workgroup_id_z 0
		.amdhsa_system_sgpr_workgroup_info 0
		.amdhsa_system_vgpr_workitem_id 0
		.amdhsa_next_free_vgpr 1
		.amdhsa_next_free_sgpr 0
		.amdhsa_reserve_vcc 0
		.amdhsa_reserve_flat_scratch 0
		.amdhsa_float_round_mode_32 0
		.amdhsa_float_round_mode_16_64 0
		.amdhsa_float_denorm_mode_32 3
		.amdhsa_float_denorm_mode_16_64 3
		.amdhsa_dx10_clamp 1
		.amdhsa_ieee_mode 1
		.amdhsa_fp16_overflow 0
		.amdhsa_exception_fp_ieee_invalid_op 0
		.amdhsa_exception_fp_denorm_src 0
		.amdhsa_exception_fp_ieee_div_zero 0
		.amdhsa_exception_fp_ieee_overflow 0
		.amdhsa_exception_fp_ieee_underflow 0
		.amdhsa_exception_fp_ieee_inexact 0
		.amdhsa_exception_int_div_zero 0
	.end_amdhsa_kernel
	.section	.text._ZN7rocprim17ROCPRIM_400000_NS6detail17trampoline_kernelINS0_14default_configENS1_36segmented_radix_sort_config_selectorI6__halflEEZNS1_25segmented_radix_sort_implIS3_Lb0EPKS5_PS5_PKlPlN2at6native12_GLOBAL__N_18offset_tEEE10hipError_tPvRmT1_PNSt15iterator_traitsISL_E10value_typeET2_T3_PNSM_ISR_E10value_typeET4_jRbjT5_SX_jjP12ihipStream_tbEUlT_E1_NS1_11comp_targetILNS1_3genE0ELNS1_11target_archE4294967295ELNS1_3gpuE0ELNS1_3repE0EEENS1_59segmented_radix_sort_warp_sort_small_config_static_selectorELNS0_4arch9wavefront6targetE1EEEvSL_,"axG",@progbits,_ZN7rocprim17ROCPRIM_400000_NS6detail17trampoline_kernelINS0_14default_configENS1_36segmented_radix_sort_config_selectorI6__halflEEZNS1_25segmented_radix_sort_implIS3_Lb0EPKS5_PS5_PKlPlN2at6native12_GLOBAL__N_18offset_tEEE10hipError_tPvRmT1_PNSt15iterator_traitsISL_E10value_typeET2_T3_PNSM_ISR_E10value_typeET4_jRbjT5_SX_jjP12ihipStream_tbEUlT_E1_NS1_11comp_targetILNS1_3genE0ELNS1_11target_archE4294967295ELNS1_3gpuE0ELNS1_3repE0EEENS1_59segmented_radix_sort_warp_sort_small_config_static_selectorELNS0_4arch9wavefront6targetE1EEEvSL_,comdat
.Lfunc_end1862:
	.size	_ZN7rocprim17ROCPRIM_400000_NS6detail17trampoline_kernelINS0_14default_configENS1_36segmented_radix_sort_config_selectorI6__halflEEZNS1_25segmented_radix_sort_implIS3_Lb0EPKS5_PS5_PKlPlN2at6native12_GLOBAL__N_18offset_tEEE10hipError_tPvRmT1_PNSt15iterator_traitsISL_E10value_typeET2_T3_PNSM_ISR_E10value_typeET4_jRbjT5_SX_jjP12ihipStream_tbEUlT_E1_NS1_11comp_targetILNS1_3genE0ELNS1_11target_archE4294967295ELNS1_3gpuE0ELNS1_3repE0EEENS1_59segmented_radix_sort_warp_sort_small_config_static_selectorELNS0_4arch9wavefront6targetE1EEEvSL_, .Lfunc_end1862-_ZN7rocprim17ROCPRIM_400000_NS6detail17trampoline_kernelINS0_14default_configENS1_36segmented_radix_sort_config_selectorI6__halflEEZNS1_25segmented_radix_sort_implIS3_Lb0EPKS5_PS5_PKlPlN2at6native12_GLOBAL__N_18offset_tEEE10hipError_tPvRmT1_PNSt15iterator_traitsISL_E10value_typeET2_T3_PNSM_ISR_E10value_typeET4_jRbjT5_SX_jjP12ihipStream_tbEUlT_E1_NS1_11comp_targetILNS1_3genE0ELNS1_11target_archE4294967295ELNS1_3gpuE0ELNS1_3repE0EEENS1_59segmented_radix_sort_warp_sort_small_config_static_selectorELNS0_4arch9wavefront6targetE1EEEvSL_
                                        ; -- End function
	.set _ZN7rocprim17ROCPRIM_400000_NS6detail17trampoline_kernelINS0_14default_configENS1_36segmented_radix_sort_config_selectorI6__halflEEZNS1_25segmented_radix_sort_implIS3_Lb0EPKS5_PS5_PKlPlN2at6native12_GLOBAL__N_18offset_tEEE10hipError_tPvRmT1_PNSt15iterator_traitsISL_E10value_typeET2_T3_PNSM_ISR_E10value_typeET4_jRbjT5_SX_jjP12ihipStream_tbEUlT_E1_NS1_11comp_targetILNS1_3genE0ELNS1_11target_archE4294967295ELNS1_3gpuE0ELNS1_3repE0EEENS1_59segmented_radix_sort_warp_sort_small_config_static_selectorELNS0_4arch9wavefront6targetE1EEEvSL_.num_vgpr, 0
	.set _ZN7rocprim17ROCPRIM_400000_NS6detail17trampoline_kernelINS0_14default_configENS1_36segmented_radix_sort_config_selectorI6__halflEEZNS1_25segmented_radix_sort_implIS3_Lb0EPKS5_PS5_PKlPlN2at6native12_GLOBAL__N_18offset_tEEE10hipError_tPvRmT1_PNSt15iterator_traitsISL_E10value_typeET2_T3_PNSM_ISR_E10value_typeET4_jRbjT5_SX_jjP12ihipStream_tbEUlT_E1_NS1_11comp_targetILNS1_3genE0ELNS1_11target_archE4294967295ELNS1_3gpuE0ELNS1_3repE0EEENS1_59segmented_radix_sort_warp_sort_small_config_static_selectorELNS0_4arch9wavefront6targetE1EEEvSL_.num_agpr, 0
	.set _ZN7rocprim17ROCPRIM_400000_NS6detail17trampoline_kernelINS0_14default_configENS1_36segmented_radix_sort_config_selectorI6__halflEEZNS1_25segmented_radix_sort_implIS3_Lb0EPKS5_PS5_PKlPlN2at6native12_GLOBAL__N_18offset_tEEE10hipError_tPvRmT1_PNSt15iterator_traitsISL_E10value_typeET2_T3_PNSM_ISR_E10value_typeET4_jRbjT5_SX_jjP12ihipStream_tbEUlT_E1_NS1_11comp_targetILNS1_3genE0ELNS1_11target_archE4294967295ELNS1_3gpuE0ELNS1_3repE0EEENS1_59segmented_radix_sort_warp_sort_small_config_static_selectorELNS0_4arch9wavefront6targetE1EEEvSL_.numbered_sgpr, 0
	.set _ZN7rocprim17ROCPRIM_400000_NS6detail17trampoline_kernelINS0_14default_configENS1_36segmented_radix_sort_config_selectorI6__halflEEZNS1_25segmented_radix_sort_implIS3_Lb0EPKS5_PS5_PKlPlN2at6native12_GLOBAL__N_18offset_tEEE10hipError_tPvRmT1_PNSt15iterator_traitsISL_E10value_typeET2_T3_PNSM_ISR_E10value_typeET4_jRbjT5_SX_jjP12ihipStream_tbEUlT_E1_NS1_11comp_targetILNS1_3genE0ELNS1_11target_archE4294967295ELNS1_3gpuE0ELNS1_3repE0EEENS1_59segmented_radix_sort_warp_sort_small_config_static_selectorELNS0_4arch9wavefront6targetE1EEEvSL_.num_named_barrier, 0
	.set _ZN7rocprim17ROCPRIM_400000_NS6detail17trampoline_kernelINS0_14default_configENS1_36segmented_radix_sort_config_selectorI6__halflEEZNS1_25segmented_radix_sort_implIS3_Lb0EPKS5_PS5_PKlPlN2at6native12_GLOBAL__N_18offset_tEEE10hipError_tPvRmT1_PNSt15iterator_traitsISL_E10value_typeET2_T3_PNSM_ISR_E10value_typeET4_jRbjT5_SX_jjP12ihipStream_tbEUlT_E1_NS1_11comp_targetILNS1_3genE0ELNS1_11target_archE4294967295ELNS1_3gpuE0ELNS1_3repE0EEENS1_59segmented_radix_sort_warp_sort_small_config_static_selectorELNS0_4arch9wavefront6targetE1EEEvSL_.private_seg_size, 0
	.set _ZN7rocprim17ROCPRIM_400000_NS6detail17trampoline_kernelINS0_14default_configENS1_36segmented_radix_sort_config_selectorI6__halflEEZNS1_25segmented_radix_sort_implIS3_Lb0EPKS5_PS5_PKlPlN2at6native12_GLOBAL__N_18offset_tEEE10hipError_tPvRmT1_PNSt15iterator_traitsISL_E10value_typeET2_T3_PNSM_ISR_E10value_typeET4_jRbjT5_SX_jjP12ihipStream_tbEUlT_E1_NS1_11comp_targetILNS1_3genE0ELNS1_11target_archE4294967295ELNS1_3gpuE0ELNS1_3repE0EEENS1_59segmented_radix_sort_warp_sort_small_config_static_selectorELNS0_4arch9wavefront6targetE1EEEvSL_.uses_vcc, 0
	.set _ZN7rocprim17ROCPRIM_400000_NS6detail17trampoline_kernelINS0_14default_configENS1_36segmented_radix_sort_config_selectorI6__halflEEZNS1_25segmented_radix_sort_implIS3_Lb0EPKS5_PS5_PKlPlN2at6native12_GLOBAL__N_18offset_tEEE10hipError_tPvRmT1_PNSt15iterator_traitsISL_E10value_typeET2_T3_PNSM_ISR_E10value_typeET4_jRbjT5_SX_jjP12ihipStream_tbEUlT_E1_NS1_11comp_targetILNS1_3genE0ELNS1_11target_archE4294967295ELNS1_3gpuE0ELNS1_3repE0EEENS1_59segmented_radix_sort_warp_sort_small_config_static_selectorELNS0_4arch9wavefront6targetE1EEEvSL_.uses_flat_scratch, 0
	.set _ZN7rocprim17ROCPRIM_400000_NS6detail17trampoline_kernelINS0_14default_configENS1_36segmented_radix_sort_config_selectorI6__halflEEZNS1_25segmented_radix_sort_implIS3_Lb0EPKS5_PS5_PKlPlN2at6native12_GLOBAL__N_18offset_tEEE10hipError_tPvRmT1_PNSt15iterator_traitsISL_E10value_typeET2_T3_PNSM_ISR_E10value_typeET4_jRbjT5_SX_jjP12ihipStream_tbEUlT_E1_NS1_11comp_targetILNS1_3genE0ELNS1_11target_archE4294967295ELNS1_3gpuE0ELNS1_3repE0EEENS1_59segmented_radix_sort_warp_sort_small_config_static_selectorELNS0_4arch9wavefront6targetE1EEEvSL_.has_dyn_sized_stack, 0
	.set _ZN7rocprim17ROCPRIM_400000_NS6detail17trampoline_kernelINS0_14default_configENS1_36segmented_radix_sort_config_selectorI6__halflEEZNS1_25segmented_radix_sort_implIS3_Lb0EPKS5_PS5_PKlPlN2at6native12_GLOBAL__N_18offset_tEEE10hipError_tPvRmT1_PNSt15iterator_traitsISL_E10value_typeET2_T3_PNSM_ISR_E10value_typeET4_jRbjT5_SX_jjP12ihipStream_tbEUlT_E1_NS1_11comp_targetILNS1_3genE0ELNS1_11target_archE4294967295ELNS1_3gpuE0ELNS1_3repE0EEENS1_59segmented_radix_sort_warp_sort_small_config_static_selectorELNS0_4arch9wavefront6targetE1EEEvSL_.has_recursion, 0
	.set _ZN7rocprim17ROCPRIM_400000_NS6detail17trampoline_kernelINS0_14default_configENS1_36segmented_radix_sort_config_selectorI6__halflEEZNS1_25segmented_radix_sort_implIS3_Lb0EPKS5_PS5_PKlPlN2at6native12_GLOBAL__N_18offset_tEEE10hipError_tPvRmT1_PNSt15iterator_traitsISL_E10value_typeET2_T3_PNSM_ISR_E10value_typeET4_jRbjT5_SX_jjP12ihipStream_tbEUlT_E1_NS1_11comp_targetILNS1_3genE0ELNS1_11target_archE4294967295ELNS1_3gpuE0ELNS1_3repE0EEENS1_59segmented_radix_sort_warp_sort_small_config_static_selectorELNS0_4arch9wavefront6targetE1EEEvSL_.has_indirect_call, 0
	.section	.AMDGPU.csdata,"",@progbits
; Kernel info:
; codeLenInByte = 0
; TotalNumSgprs: 4
; NumVgprs: 0
; ScratchSize: 0
; MemoryBound: 0
; FloatMode: 240
; IeeeMode: 1
; LDSByteSize: 0 bytes/workgroup (compile time only)
; SGPRBlocks: 0
; VGPRBlocks: 0
; NumSGPRsForWavesPerEU: 4
; NumVGPRsForWavesPerEU: 1
; Occupancy: 10
; WaveLimiterHint : 0
; COMPUTE_PGM_RSRC2:SCRATCH_EN: 0
; COMPUTE_PGM_RSRC2:USER_SGPR: 6
; COMPUTE_PGM_RSRC2:TRAP_HANDLER: 0
; COMPUTE_PGM_RSRC2:TGID_X_EN: 1
; COMPUTE_PGM_RSRC2:TGID_Y_EN: 0
; COMPUTE_PGM_RSRC2:TGID_Z_EN: 0
; COMPUTE_PGM_RSRC2:TIDIG_COMP_CNT: 0
	.section	.text._ZN7rocprim17ROCPRIM_400000_NS6detail17trampoline_kernelINS0_14default_configENS1_36segmented_radix_sort_config_selectorI6__halflEEZNS1_25segmented_radix_sort_implIS3_Lb0EPKS5_PS5_PKlPlN2at6native12_GLOBAL__N_18offset_tEEE10hipError_tPvRmT1_PNSt15iterator_traitsISL_E10value_typeET2_T3_PNSM_ISR_E10value_typeET4_jRbjT5_SX_jjP12ihipStream_tbEUlT_E1_NS1_11comp_targetILNS1_3genE5ELNS1_11target_archE942ELNS1_3gpuE9ELNS1_3repE0EEENS1_59segmented_radix_sort_warp_sort_small_config_static_selectorELNS0_4arch9wavefront6targetE1EEEvSL_,"axG",@progbits,_ZN7rocprim17ROCPRIM_400000_NS6detail17trampoline_kernelINS0_14default_configENS1_36segmented_radix_sort_config_selectorI6__halflEEZNS1_25segmented_radix_sort_implIS3_Lb0EPKS5_PS5_PKlPlN2at6native12_GLOBAL__N_18offset_tEEE10hipError_tPvRmT1_PNSt15iterator_traitsISL_E10value_typeET2_T3_PNSM_ISR_E10value_typeET4_jRbjT5_SX_jjP12ihipStream_tbEUlT_E1_NS1_11comp_targetILNS1_3genE5ELNS1_11target_archE942ELNS1_3gpuE9ELNS1_3repE0EEENS1_59segmented_radix_sort_warp_sort_small_config_static_selectorELNS0_4arch9wavefront6targetE1EEEvSL_,comdat
	.globl	_ZN7rocprim17ROCPRIM_400000_NS6detail17trampoline_kernelINS0_14default_configENS1_36segmented_radix_sort_config_selectorI6__halflEEZNS1_25segmented_radix_sort_implIS3_Lb0EPKS5_PS5_PKlPlN2at6native12_GLOBAL__N_18offset_tEEE10hipError_tPvRmT1_PNSt15iterator_traitsISL_E10value_typeET2_T3_PNSM_ISR_E10value_typeET4_jRbjT5_SX_jjP12ihipStream_tbEUlT_E1_NS1_11comp_targetILNS1_3genE5ELNS1_11target_archE942ELNS1_3gpuE9ELNS1_3repE0EEENS1_59segmented_radix_sort_warp_sort_small_config_static_selectorELNS0_4arch9wavefront6targetE1EEEvSL_ ; -- Begin function _ZN7rocprim17ROCPRIM_400000_NS6detail17trampoline_kernelINS0_14default_configENS1_36segmented_radix_sort_config_selectorI6__halflEEZNS1_25segmented_radix_sort_implIS3_Lb0EPKS5_PS5_PKlPlN2at6native12_GLOBAL__N_18offset_tEEE10hipError_tPvRmT1_PNSt15iterator_traitsISL_E10value_typeET2_T3_PNSM_ISR_E10value_typeET4_jRbjT5_SX_jjP12ihipStream_tbEUlT_E1_NS1_11comp_targetILNS1_3genE5ELNS1_11target_archE942ELNS1_3gpuE9ELNS1_3repE0EEENS1_59segmented_radix_sort_warp_sort_small_config_static_selectorELNS0_4arch9wavefront6targetE1EEEvSL_
	.p2align	8
	.type	_ZN7rocprim17ROCPRIM_400000_NS6detail17trampoline_kernelINS0_14default_configENS1_36segmented_radix_sort_config_selectorI6__halflEEZNS1_25segmented_radix_sort_implIS3_Lb0EPKS5_PS5_PKlPlN2at6native12_GLOBAL__N_18offset_tEEE10hipError_tPvRmT1_PNSt15iterator_traitsISL_E10value_typeET2_T3_PNSM_ISR_E10value_typeET4_jRbjT5_SX_jjP12ihipStream_tbEUlT_E1_NS1_11comp_targetILNS1_3genE5ELNS1_11target_archE942ELNS1_3gpuE9ELNS1_3repE0EEENS1_59segmented_radix_sort_warp_sort_small_config_static_selectorELNS0_4arch9wavefront6targetE1EEEvSL_,@function
_ZN7rocprim17ROCPRIM_400000_NS6detail17trampoline_kernelINS0_14default_configENS1_36segmented_radix_sort_config_selectorI6__halflEEZNS1_25segmented_radix_sort_implIS3_Lb0EPKS5_PS5_PKlPlN2at6native12_GLOBAL__N_18offset_tEEE10hipError_tPvRmT1_PNSt15iterator_traitsISL_E10value_typeET2_T3_PNSM_ISR_E10value_typeET4_jRbjT5_SX_jjP12ihipStream_tbEUlT_E1_NS1_11comp_targetILNS1_3genE5ELNS1_11target_archE942ELNS1_3gpuE9ELNS1_3repE0EEENS1_59segmented_radix_sort_warp_sort_small_config_static_selectorELNS0_4arch9wavefront6targetE1EEEvSL_: ; @_ZN7rocprim17ROCPRIM_400000_NS6detail17trampoline_kernelINS0_14default_configENS1_36segmented_radix_sort_config_selectorI6__halflEEZNS1_25segmented_radix_sort_implIS3_Lb0EPKS5_PS5_PKlPlN2at6native12_GLOBAL__N_18offset_tEEE10hipError_tPvRmT1_PNSt15iterator_traitsISL_E10value_typeET2_T3_PNSM_ISR_E10value_typeET4_jRbjT5_SX_jjP12ihipStream_tbEUlT_E1_NS1_11comp_targetILNS1_3genE5ELNS1_11target_archE942ELNS1_3gpuE9ELNS1_3repE0EEENS1_59segmented_radix_sort_warp_sort_small_config_static_selectorELNS0_4arch9wavefront6targetE1EEEvSL_
; %bb.0:
	.section	.rodata,"a",@progbits
	.p2align	6, 0x0
	.amdhsa_kernel _ZN7rocprim17ROCPRIM_400000_NS6detail17trampoline_kernelINS0_14default_configENS1_36segmented_radix_sort_config_selectorI6__halflEEZNS1_25segmented_radix_sort_implIS3_Lb0EPKS5_PS5_PKlPlN2at6native12_GLOBAL__N_18offset_tEEE10hipError_tPvRmT1_PNSt15iterator_traitsISL_E10value_typeET2_T3_PNSM_ISR_E10value_typeET4_jRbjT5_SX_jjP12ihipStream_tbEUlT_E1_NS1_11comp_targetILNS1_3genE5ELNS1_11target_archE942ELNS1_3gpuE9ELNS1_3repE0EEENS1_59segmented_radix_sort_warp_sort_small_config_static_selectorELNS0_4arch9wavefront6targetE1EEEvSL_
		.amdhsa_group_segment_fixed_size 0
		.amdhsa_private_segment_fixed_size 0
		.amdhsa_kernarg_size 88
		.amdhsa_user_sgpr_count 6
		.amdhsa_user_sgpr_private_segment_buffer 1
		.amdhsa_user_sgpr_dispatch_ptr 0
		.amdhsa_user_sgpr_queue_ptr 0
		.amdhsa_user_sgpr_kernarg_segment_ptr 1
		.amdhsa_user_sgpr_dispatch_id 0
		.amdhsa_user_sgpr_flat_scratch_init 0
		.amdhsa_user_sgpr_private_segment_size 0
		.amdhsa_uses_dynamic_stack 0
		.amdhsa_system_sgpr_private_segment_wavefront_offset 0
		.amdhsa_system_sgpr_workgroup_id_x 1
		.amdhsa_system_sgpr_workgroup_id_y 0
		.amdhsa_system_sgpr_workgroup_id_z 0
		.amdhsa_system_sgpr_workgroup_info 0
		.amdhsa_system_vgpr_workitem_id 0
		.amdhsa_next_free_vgpr 1
		.amdhsa_next_free_sgpr 0
		.amdhsa_reserve_vcc 0
		.amdhsa_reserve_flat_scratch 0
		.amdhsa_float_round_mode_32 0
		.amdhsa_float_round_mode_16_64 0
		.amdhsa_float_denorm_mode_32 3
		.amdhsa_float_denorm_mode_16_64 3
		.amdhsa_dx10_clamp 1
		.amdhsa_ieee_mode 1
		.amdhsa_fp16_overflow 0
		.amdhsa_exception_fp_ieee_invalid_op 0
		.amdhsa_exception_fp_denorm_src 0
		.amdhsa_exception_fp_ieee_div_zero 0
		.amdhsa_exception_fp_ieee_overflow 0
		.amdhsa_exception_fp_ieee_underflow 0
		.amdhsa_exception_fp_ieee_inexact 0
		.amdhsa_exception_int_div_zero 0
	.end_amdhsa_kernel
	.section	.text._ZN7rocprim17ROCPRIM_400000_NS6detail17trampoline_kernelINS0_14default_configENS1_36segmented_radix_sort_config_selectorI6__halflEEZNS1_25segmented_radix_sort_implIS3_Lb0EPKS5_PS5_PKlPlN2at6native12_GLOBAL__N_18offset_tEEE10hipError_tPvRmT1_PNSt15iterator_traitsISL_E10value_typeET2_T3_PNSM_ISR_E10value_typeET4_jRbjT5_SX_jjP12ihipStream_tbEUlT_E1_NS1_11comp_targetILNS1_3genE5ELNS1_11target_archE942ELNS1_3gpuE9ELNS1_3repE0EEENS1_59segmented_radix_sort_warp_sort_small_config_static_selectorELNS0_4arch9wavefront6targetE1EEEvSL_,"axG",@progbits,_ZN7rocprim17ROCPRIM_400000_NS6detail17trampoline_kernelINS0_14default_configENS1_36segmented_radix_sort_config_selectorI6__halflEEZNS1_25segmented_radix_sort_implIS3_Lb0EPKS5_PS5_PKlPlN2at6native12_GLOBAL__N_18offset_tEEE10hipError_tPvRmT1_PNSt15iterator_traitsISL_E10value_typeET2_T3_PNSM_ISR_E10value_typeET4_jRbjT5_SX_jjP12ihipStream_tbEUlT_E1_NS1_11comp_targetILNS1_3genE5ELNS1_11target_archE942ELNS1_3gpuE9ELNS1_3repE0EEENS1_59segmented_radix_sort_warp_sort_small_config_static_selectorELNS0_4arch9wavefront6targetE1EEEvSL_,comdat
.Lfunc_end1863:
	.size	_ZN7rocprim17ROCPRIM_400000_NS6detail17trampoline_kernelINS0_14default_configENS1_36segmented_radix_sort_config_selectorI6__halflEEZNS1_25segmented_radix_sort_implIS3_Lb0EPKS5_PS5_PKlPlN2at6native12_GLOBAL__N_18offset_tEEE10hipError_tPvRmT1_PNSt15iterator_traitsISL_E10value_typeET2_T3_PNSM_ISR_E10value_typeET4_jRbjT5_SX_jjP12ihipStream_tbEUlT_E1_NS1_11comp_targetILNS1_3genE5ELNS1_11target_archE942ELNS1_3gpuE9ELNS1_3repE0EEENS1_59segmented_radix_sort_warp_sort_small_config_static_selectorELNS0_4arch9wavefront6targetE1EEEvSL_, .Lfunc_end1863-_ZN7rocprim17ROCPRIM_400000_NS6detail17trampoline_kernelINS0_14default_configENS1_36segmented_radix_sort_config_selectorI6__halflEEZNS1_25segmented_radix_sort_implIS3_Lb0EPKS5_PS5_PKlPlN2at6native12_GLOBAL__N_18offset_tEEE10hipError_tPvRmT1_PNSt15iterator_traitsISL_E10value_typeET2_T3_PNSM_ISR_E10value_typeET4_jRbjT5_SX_jjP12ihipStream_tbEUlT_E1_NS1_11comp_targetILNS1_3genE5ELNS1_11target_archE942ELNS1_3gpuE9ELNS1_3repE0EEENS1_59segmented_radix_sort_warp_sort_small_config_static_selectorELNS0_4arch9wavefront6targetE1EEEvSL_
                                        ; -- End function
	.set _ZN7rocprim17ROCPRIM_400000_NS6detail17trampoline_kernelINS0_14default_configENS1_36segmented_radix_sort_config_selectorI6__halflEEZNS1_25segmented_radix_sort_implIS3_Lb0EPKS5_PS5_PKlPlN2at6native12_GLOBAL__N_18offset_tEEE10hipError_tPvRmT1_PNSt15iterator_traitsISL_E10value_typeET2_T3_PNSM_ISR_E10value_typeET4_jRbjT5_SX_jjP12ihipStream_tbEUlT_E1_NS1_11comp_targetILNS1_3genE5ELNS1_11target_archE942ELNS1_3gpuE9ELNS1_3repE0EEENS1_59segmented_radix_sort_warp_sort_small_config_static_selectorELNS0_4arch9wavefront6targetE1EEEvSL_.num_vgpr, 0
	.set _ZN7rocprim17ROCPRIM_400000_NS6detail17trampoline_kernelINS0_14default_configENS1_36segmented_radix_sort_config_selectorI6__halflEEZNS1_25segmented_radix_sort_implIS3_Lb0EPKS5_PS5_PKlPlN2at6native12_GLOBAL__N_18offset_tEEE10hipError_tPvRmT1_PNSt15iterator_traitsISL_E10value_typeET2_T3_PNSM_ISR_E10value_typeET4_jRbjT5_SX_jjP12ihipStream_tbEUlT_E1_NS1_11comp_targetILNS1_3genE5ELNS1_11target_archE942ELNS1_3gpuE9ELNS1_3repE0EEENS1_59segmented_radix_sort_warp_sort_small_config_static_selectorELNS0_4arch9wavefront6targetE1EEEvSL_.num_agpr, 0
	.set _ZN7rocprim17ROCPRIM_400000_NS6detail17trampoline_kernelINS0_14default_configENS1_36segmented_radix_sort_config_selectorI6__halflEEZNS1_25segmented_radix_sort_implIS3_Lb0EPKS5_PS5_PKlPlN2at6native12_GLOBAL__N_18offset_tEEE10hipError_tPvRmT1_PNSt15iterator_traitsISL_E10value_typeET2_T3_PNSM_ISR_E10value_typeET4_jRbjT5_SX_jjP12ihipStream_tbEUlT_E1_NS1_11comp_targetILNS1_3genE5ELNS1_11target_archE942ELNS1_3gpuE9ELNS1_3repE0EEENS1_59segmented_radix_sort_warp_sort_small_config_static_selectorELNS0_4arch9wavefront6targetE1EEEvSL_.numbered_sgpr, 0
	.set _ZN7rocprim17ROCPRIM_400000_NS6detail17trampoline_kernelINS0_14default_configENS1_36segmented_radix_sort_config_selectorI6__halflEEZNS1_25segmented_radix_sort_implIS3_Lb0EPKS5_PS5_PKlPlN2at6native12_GLOBAL__N_18offset_tEEE10hipError_tPvRmT1_PNSt15iterator_traitsISL_E10value_typeET2_T3_PNSM_ISR_E10value_typeET4_jRbjT5_SX_jjP12ihipStream_tbEUlT_E1_NS1_11comp_targetILNS1_3genE5ELNS1_11target_archE942ELNS1_3gpuE9ELNS1_3repE0EEENS1_59segmented_radix_sort_warp_sort_small_config_static_selectorELNS0_4arch9wavefront6targetE1EEEvSL_.num_named_barrier, 0
	.set _ZN7rocprim17ROCPRIM_400000_NS6detail17trampoline_kernelINS0_14default_configENS1_36segmented_radix_sort_config_selectorI6__halflEEZNS1_25segmented_radix_sort_implIS3_Lb0EPKS5_PS5_PKlPlN2at6native12_GLOBAL__N_18offset_tEEE10hipError_tPvRmT1_PNSt15iterator_traitsISL_E10value_typeET2_T3_PNSM_ISR_E10value_typeET4_jRbjT5_SX_jjP12ihipStream_tbEUlT_E1_NS1_11comp_targetILNS1_3genE5ELNS1_11target_archE942ELNS1_3gpuE9ELNS1_3repE0EEENS1_59segmented_radix_sort_warp_sort_small_config_static_selectorELNS0_4arch9wavefront6targetE1EEEvSL_.private_seg_size, 0
	.set _ZN7rocprim17ROCPRIM_400000_NS6detail17trampoline_kernelINS0_14default_configENS1_36segmented_radix_sort_config_selectorI6__halflEEZNS1_25segmented_radix_sort_implIS3_Lb0EPKS5_PS5_PKlPlN2at6native12_GLOBAL__N_18offset_tEEE10hipError_tPvRmT1_PNSt15iterator_traitsISL_E10value_typeET2_T3_PNSM_ISR_E10value_typeET4_jRbjT5_SX_jjP12ihipStream_tbEUlT_E1_NS1_11comp_targetILNS1_3genE5ELNS1_11target_archE942ELNS1_3gpuE9ELNS1_3repE0EEENS1_59segmented_radix_sort_warp_sort_small_config_static_selectorELNS0_4arch9wavefront6targetE1EEEvSL_.uses_vcc, 0
	.set _ZN7rocprim17ROCPRIM_400000_NS6detail17trampoline_kernelINS0_14default_configENS1_36segmented_radix_sort_config_selectorI6__halflEEZNS1_25segmented_radix_sort_implIS3_Lb0EPKS5_PS5_PKlPlN2at6native12_GLOBAL__N_18offset_tEEE10hipError_tPvRmT1_PNSt15iterator_traitsISL_E10value_typeET2_T3_PNSM_ISR_E10value_typeET4_jRbjT5_SX_jjP12ihipStream_tbEUlT_E1_NS1_11comp_targetILNS1_3genE5ELNS1_11target_archE942ELNS1_3gpuE9ELNS1_3repE0EEENS1_59segmented_radix_sort_warp_sort_small_config_static_selectorELNS0_4arch9wavefront6targetE1EEEvSL_.uses_flat_scratch, 0
	.set _ZN7rocprim17ROCPRIM_400000_NS6detail17trampoline_kernelINS0_14default_configENS1_36segmented_radix_sort_config_selectorI6__halflEEZNS1_25segmented_radix_sort_implIS3_Lb0EPKS5_PS5_PKlPlN2at6native12_GLOBAL__N_18offset_tEEE10hipError_tPvRmT1_PNSt15iterator_traitsISL_E10value_typeET2_T3_PNSM_ISR_E10value_typeET4_jRbjT5_SX_jjP12ihipStream_tbEUlT_E1_NS1_11comp_targetILNS1_3genE5ELNS1_11target_archE942ELNS1_3gpuE9ELNS1_3repE0EEENS1_59segmented_radix_sort_warp_sort_small_config_static_selectorELNS0_4arch9wavefront6targetE1EEEvSL_.has_dyn_sized_stack, 0
	.set _ZN7rocprim17ROCPRIM_400000_NS6detail17trampoline_kernelINS0_14default_configENS1_36segmented_radix_sort_config_selectorI6__halflEEZNS1_25segmented_radix_sort_implIS3_Lb0EPKS5_PS5_PKlPlN2at6native12_GLOBAL__N_18offset_tEEE10hipError_tPvRmT1_PNSt15iterator_traitsISL_E10value_typeET2_T3_PNSM_ISR_E10value_typeET4_jRbjT5_SX_jjP12ihipStream_tbEUlT_E1_NS1_11comp_targetILNS1_3genE5ELNS1_11target_archE942ELNS1_3gpuE9ELNS1_3repE0EEENS1_59segmented_radix_sort_warp_sort_small_config_static_selectorELNS0_4arch9wavefront6targetE1EEEvSL_.has_recursion, 0
	.set _ZN7rocprim17ROCPRIM_400000_NS6detail17trampoline_kernelINS0_14default_configENS1_36segmented_radix_sort_config_selectorI6__halflEEZNS1_25segmented_radix_sort_implIS3_Lb0EPKS5_PS5_PKlPlN2at6native12_GLOBAL__N_18offset_tEEE10hipError_tPvRmT1_PNSt15iterator_traitsISL_E10value_typeET2_T3_PNSM_ISR_E10value_typeET4_jRbjT5_SX_jjP12ihipStream_tbEUlT_E1_NS1_11comp_targetILNS1_3genE5ELNS1_11target_archE942ELNS1_3gpuE9ELNS1_3repE0EEENS1_59segmented_radix_sort_warp_sort_small_config_static_selectorELNS0_4arch9wavefront6targetE1EEEvSL_.has_indirect_call, 0
	.section	.AMDGPU.csdata,"",@progbits
; Kernel info:
; codeLenInByte = 0
; TotalNumSgprs: 4
; NumVgprs: 0
; ScratchSize: 0
; MemoryBound: 0
; FloatMode: 240
; IeeeMode: 1
; LDSByteSize: 0 bytes/workgroup (compile time only)
; SGPRBlocks: 0
; VGPRBlocks: 0
; NumSGPRsForWavesPerEU: 4
; NumVGPRsForWavesPerEU: 1
; Occupancy: 10
; WaveLimiterHint : 0
; COMPUTE_PGM_RSRC2:SCRATCH_EN: 0
; COMPUTE_PGM_RSRC2:USER_SGPR: 6
; COMPUTE_PGM_RSRC2:TRAP_HANDLER: 0
; COMPUTE_PGM_RSRC2:TGID_X_EN: 1
; COMPUTE_PGM_RSRC2:TGID_Y_EN: 0
; COMPUTE_PGM_RSRC2:TGID_Z_EN: 0
; COMPUTE_PGM_RSRC2:TIDIG_COMP_CNT: 0
	.section	.text._ZN7rocprim17ROCPRIM_400000_NS6detail17trampoline_kernelINS0_14default_configENS1_36segmented_radix_sort_config_selectorI6__halflEEZNS1_25segmented_radix_sort_implIS3_Lb0EPKS5_PS5_PKlPlN2at6native12_GLOBAL__N_18offset_tEEE10hipError_tPvRmT1_PNSt15iterator_traitsISL_E10value_typeET2_T3_PNSM_ISR_E10value_typeET4_jRbjT5_SX_jjP12ihipStream_tbEUlT_E1_NS1_11comp_targetILNS1_3genE4ELNS1_11target_archE910ELNS1_3gpuE8ELNS1_3repE0EEENS1_59segmented_radix_sort_warp_sort_small_config_static_selectorELNS0_4arch9wavefront6targetE1EEEvSL_,"axG",@progbits,_ZN7rocprim17ROCPRIM_400000_NS6detail17trampoline_kernelINS0_14default_configENS1_36segmented_radix_sort_config_selectorI6__halflEEZNS1_25segmented_radix_sort_implIS3_Lb0EPKS5_PS5_PKlPlN2at6native12_GLOBAL__N_18offset_tEEE10hipError_tPvRmT1_PNSt15iterator_traitsISL_E10value_typeET2_T3_PNSM_ISR_E10value_typeET4_jRbjT5_SX_jjP12ihipStream_tbEUlT_E1_NS1_11comp_targetILNS1_3genE4ELNS1_11target_archE910ELNS1_3gpuE8ELNS1_3repE0EEENS1_59segmented_radix_sort_warp_sort_small_config_static_selectorELNS0_4arch9wavefront6targetE1EEEvSL_,comdat
	.globl	_ZN7rocprim17ROCPRIM_400000_NS6detail17trampoline_kernelINS0_14default_configENS1_36segmented_radix_sort_config_selectorI6__halflEEZNS1_25segmented_radix_sort_implIS3_Lb0EPKS5_PS5_PKlPlN2at6native12_GLOBAL__N_18offset_tEEE10hipError_tPvRmT1_PNSt15iterator_traitsISL_E10value_typeET2_T3_PNSM_ISR_E10value_typeET4_jRbjT5_SX_jjP12ihipStream_tbEUlT_E1_NS1_11comp_targetILNS1_3genE4ELNS1_11target_archE910ELNS1_3gpuE8ELNS1_3repE0EEENS1_59segmented_radix_sort_warp_sort_small_config_static_selectorELNS0_4arch9wavefront6targetE1EEEvSL_ ; -- Begin function _ZN7rocprim17ROCPRIM_400000_NS6detail17trampoline_kernelINS0_14default_configENS1_36segmented_radix_sort_config_selectorI6__halflEEZNS1_25segmented_radix_sort_implIS3_Lb0EPKS5_PS5_PKlPlN2at6native12_GLOBAL__N_18offset_tEEE10hipError_tPvRmT1_PNSt15iterator_traitsISL_E10value_typeET2_T3_PNSM_ISR_E10value_typeET4_jRbjT5_SX_jjP12ihipStream_tbEUlT_E1_NS1_11comp_targetILNS1_3genE4ELNS1_11target_archE910ELNS1_3gpuE8ELNS1_3repE0EEENS1_59segmented_radix_sort_warp_sort_small_config_static_selectorELNS0_4arch9wavefront6targetE1EEEvSL_
	.p2align	8
	.type	_ZN7rocprim17ROCPRIM_400000_NS6detail17trampoline_kernelINS0_14default_configENS1_36segmented_radix_sort_config_selectorI6__halflEEZNS1_25segmented_radix_sort_implIS3_Lb0EPKS5_PS5_PKlPlN2at6native12_GLOBAL__N_18offset_tEEE10hipError_tPvRmT1_PNSt15iterator_traitsISL_E10value_typeET2_T3_PNSM_ISR_E10value_typeET4_jRbjT5_SX_jjP12ihipStream_tbEUlT_E1_NS1_11comp_targetILNS1_3genE4ELNS1_11target_archE910ELNS1_3gpuE8ELNS1_3repE0EEENS1_59segmented_radix_sort_warp_sort_small_config_static_selectorELNS0_4arch9wavefront6targetE1EEEvSL_,@function
_ZN7rocprim17ROCPRIM_400000_NS6detail17trampoline_kernelINS0_14default_configENS1_36segmented_radix_sort_config_selectorI6__halflEEZNS1_25segmented_radix_sort_implIS3_Lb0EPKS5_PS5_PKlPlN2at6native12_GLOBAL__N_18offset_tEEE10hipError_tPvRmT1_PNSt15iterator_traitsISL_E10value_typeET2_T3_PNSM_ISR_E10value_typeET4_jRbjT5_SX_jjP12ihipStream_tbEUlT_E1_NS1_11comp_targetILNS1_3genE4ELNS1_11target_archE910ELNS1_3gpuE8ELNS1_3repE0EEENS1_59segmented_radix_sort_warp_sort_small_config_static_selectorELNS0_4arch9wavefront6targetE1EEEvSL_: ; @_ZN7rocprim17ROCPRIM_400000_NS6detail17trampoline_kernelINS0_14default_configENS1_36segmented_radix_sort_config_selectorI6__halflEEZNS1_25segmented_radix_sort_implIS3_Lb0EPKS5_PS5_PKlPlN2at6native12_GLOBAL__N_18offset_tEEE10hipError_tPvRmT1_PNSt15iterator_traitsISL_E10value_typeET2_T3_PNSM_ISR_E10value_typeET4_jRbjT5_SX_jjP12ihipStream_tbEUlT_E1_NS1_11comp_targetILNS1_3genE4ELNS1_11target_archE910ELNS1_3gpuE8ELNS1_3repE0EEENS1_59segmented_radix_sort_warp_sort_small_config_static_selectorELNS0_4arch9wavefront6targetE1EEEvSL_
; %bb.0:
	.section	.rodata,"a",@progbits
	.p2align	6, 0x0
	.amdhsa_kernel _ZN7rocprim17ROCPRIM_400000_NS6detail17trampoline_kernelINS0_14default_configENS1_36segmented_radix_sort_config_selectorI6__halflEEZNS1_25segmented_radix_sort_implIS3_Lb0EPKS5_PS5_PKlPlN2at6native12_GLOBAL__N_18offset_tEEE10hipError_tPvRmT1_PNSt15iterator_traitsISL_E10value_typeET2_T3_PNSM_ISR_E10value_typeET4_jRbjT5_SX_jjP12ihipStream_tbEUlT_E1_NS1_11comp_targetILNS1_3genE4ELNS1_11target_archE910ELNS1_3gpuE8ELNS1_3repE0EEENS1_59segmented_radix_sort_warp_sort_small_config_static_selectorELNS0_4arch9wavefront6targetE1EEEvSL_
		.amdhsa_group_segment_fixed_size 0
		.amdhsa_private_segment_fixed_size 0
		.amdhsa_kernarg_size 88
		.amdhsa_user_sgpr_count 6
		.amdhsa_user_sgpr_private_segment_buffer 1
		.amdhsa_user_sgpr_dispatch_ptr 0
		.amdhsa_user_sgpr_queue_ptr 0
		.amdhsa_user_sgpr_kernarg_segment_ptr 1
		.amdhsa_user_sgpr_dispatch_id 0
		.amdhsa_user_sgpr_flat_scratch_init 0
		.amdhsa_user_sgpr_private_segment_size 0
		.amdhsa_uses_dynamic_stack 0
		.amdhsa_system_sgpr_private_segment_wavefront_offset 0
		.amdhsa_system_sgpr_workgroup_id_x 1
		.amdhsa_system_sgpr_workgroup_id_y 0
		.amdhsa_system_sgpr_workgroup_id_z 0
		.amdhsa_system_sgpr_workgroup_info 0
		.amdhsa_system_vgpr_workitem_id 0
		.amdhsa_next_free_vgpr 1
		.amdhsa_next_free_sgpr 0
		.amdhsa_reserve_vcc 0
		.amdhsa_reserve_flat_scratch 0
		.amdhsa_float_round_mode_32 0
		.amdhsa_float_round_mode_16_64 0
		.amdhsa_float_denorm_mode_32 3
		.amdhsa_float_denorm_mode_16_64 3
		.amdhsa_dx10_clamp 1
		.amdhsa_ieee_mode 1
		.amdhsa_fp16_overflow 0
		.amdhsa_exception_fp_ieee_invalid_op 0
		.amdhsa_exception_fp_denorm_src 0
		.amdhsa_exception_fp_ieee_div_zero 0
		.amdhsa_exception_fp_ieee_overflow 0
		.amdhsa_exception_fp_ieee_underflow 0
		.amdhsa_exception_fp_ieee_inexact 0
		.amdhsa_exception_int_div_zero 0
	.end_amdhsa_kernel
	.section	.text._ZN7rocprim17ROCPRIM_400000_NS6detail17trampoline_kernelINS0_14default_configENS1_36segmented_radix_sort_config_selectorI6__halflEEZNS1_25segmented_radix_sort_implIS3_Lb0EPKS5_PS5_PKlPlN2at6native12_GLOBAL__N_18offset_tEEE10hipError_tPvRmT1_PNSt15iterator_traitsISL_E10value_typeET2_T3_PNSM_ISR_E10value_typeET4_jRbjT5_SX_jjP12ihipStream_tbEUlT_E1_NS1_11comp_targetILNS1_3genE4ELNS1_11target_archE910ELNS1_3gpuE8ELNS1_3repE0EEENS1_59segmented_radix_sort_warp_sort_small_config_static_selectorELNS0_4arch9wavefront6targetE1EEEvSL_,"axG",@progbits,_ZN7rocprim17ROCPRIM_400000_NS6detail17trampoline_kernelINS0_14default_configENS1_36segmented_radix_sort_config_selectorI6__halflEEZNS1_25segmented_radix_sort_implIS3_Lb0EPKS5_PS5_PKlPlN2at6native12_GLOBAL__N_18offset_tEEE10hipError_tPvRmT1_PNSt15iterator_traitsISL_E10value_typeET2_T3_PNSM_ISR_E10value_typeET4_jRbjT5_SX_jjP12ihipStream_tbEUlT_E1_NS1_11comp_targetILNS1_3genE4ELNS1_11target_archE910ELNS1_3gpuE8ELNS1_3repE0EEENS1_59segmented_radix_sort_warp_sort_small_config_static_selectorELNS0_4arch9wavefront6targetE1EEEvSL_,comdat
.Lfunc_end1864:
	.size	_ZN7rocprim17ROCPRIM_400000_NS6detail17trampoline_kernelINS0_14default_configENS1_36segmented_radix_sort_config_selectorI6__halflEEZNS1_25segmented_radix_sort_implIS3_Lb0EPKS5_PS5_PKlPlN2at6native12_GLOBAL__N_18offset_tEEE10hipError_tPvRmT1_PNSt15iterator_traitsISL_E10value_typeET2_T3_PNSM_ISR_E10value_typeET4_jRbjT5_SX_jjP12ihipStream_tbEUlT_E1_NS1_11comp_targetILNS1_3genE4ELNS1_11target_archE910ELNS1_3gpuE8ELNS1_3repE0EEENS1_59segmented_radix_sort_warp_sort_small_config_static_selectorELNS0_4arch9wavefront6targetE1EEEvSL_, .Lfunc_end1864-_ZN7rocprim17ROCPRIM_400000_NS6detail17trampoline_kernelINS0_14default_configENS1_36segmented_radix_sort_config_selectorI6__halflEEZNS1_25segmented_radix_sort_implIS3_Lb0EPKS5_PS5_PKlPlN2at6native12_GLOBAL__N_18offset_tEEE10hipError_tPvRmT1_PNSt15iterator_traitsISL_E10value_typeET2_T3_PNSM_ISR_E10value_typeET4_jRbjT5_SX_jjP12ihipStream_tbEUlT_E1_NS1_11comp_targetILNS1_3genE4ELNS1_11target_archE910ELNS1_3gpuE8ELNS1_3repE0EEENS1_59segmented_radix_sort_warp_sort_small_config_static_selectorELNS0_4arch9wavefront6targetE1EEEvSL_
                                        ; -- End function
	.set _ZN7rocprim17ROCPRIM_400000_NS6detail17trampoline_kernelINS0_14default_configENS1_36segmented_radix_sort_config_selectorI6__halflEEZNS1_25segmented_radix_sort_implIS3_Lb0EPKS5_PS5_PKlPlN2at6native12_GLOBAL__N_18offset_tEEE10hipError_tPvRmT1_PNSt15iterator_traitsISL_E10value_typeET2_T3_PNSM_ISR_E10value_typeET4_jRbjT5_SX_jjP12ihipStream_tbEUlT_E1_NS1_11comp_targetILNS1_3genE4ELNS1_11target_archE910ELNS1_3gpuE8ELNS1_3repE0EEENS1_59segmented_radix_sort_warp_sort_small_config_static_selectorELNS0_4arch9wavefront6targetE1EEEvSL_.num_vgpr, 0
	.set _ZN7rocprim17ROCPRIM_400000_NS6detail17trampoline_kernelINS0_14default_configENS1_36segmented_radix_sort_config_selectorI6__halflEEZNS1_25segmented_radix_sort_implIS3_Lb0EPKS5_PS5_PKlPlN2at6native12_GLOBAL__N_18offset_tEEE10hipError_tPvRmT1_PNSt15iterator_traitsISL_E10value_typeET2_T3_PNSM_ISR_E10value_typeET4_jRbjT5_SX_jjP12ihipStream_tbEUlT_E1_NS1_11comp_targetILNS1_3genE4ELNS1_11target_archE910ELNS1_3gpuE8ELNS1_3repE0EEENS1_59segmented_radix_sort_warp_sort_small_config_static_selectorELNS0_4arch9wavefront6targetE1EEEvSL_.num_agpr, 0
	.set _ZN7rocprim17ROCPRIM_400000_NS6detail17trampoline_kernelINS0_14default_configENS1_36segmented_radix_sort_config_selectorI6__halflEEZNS1_25segmented_radix_sort_implIS3_Lb0EPKS5_PS5_PKlPlN2at6native12_GLOBAL__N_18offset_tEEE10hipError_tPvRmT1_PNSt15iterator_traitsISL_E10value_typeET2_T3_PNSM_ISR_E10value_typeET4_jRbjT5_SX_jjP12ihipStream_tbEUlT_E1_NS1_11comp_targetILNS1_3genE4ELNS1_11target_archE910ELNS1_3gpuE8ELNS1_3repE0EEENS1_59segmented_radix_sort_warp_sort_small_config_static_selectorELNS0_4arch9wavefront6targetE1EEEvSL_.numbered_sgpr, 0
	.set _ZN7rocprim17ROCPRIM_400000_NS6detail17trampoline_kernelINS0_14default_configENS1_36segmented_radix_sort_config_selectorI6__halflEEZNS1_25segmented_radix_sort_implIS3_Lb0EPKS5_PS5_PKlPlN2at6native12_GLOBAL__N_18offset_tEEE10hipError_tPvRmT1_PNSt15iterator_traitsISL_E10value_typeET2_T3_PNSM_ISR_E10value_typeET4_jRbjT5_SX_jjP12ihipStream_tbEUlT_E1_NS1_11comp_targetILNS1_3genE4ELNS1_11target_archE910ELNS1_3gpuE8ELNS1_3repE0EEENS1_59segmented_radix_sort_warp_sort_small_config_static_selectorELNS0_4arch9wavefront6targetE1EEEvSL_.num_named_barrier, 0
	.set _ZN7rocprim17ROCPRIM_400000_NS6detail17trampoline_kernelINS0_14default_configENS1_36segmented_radix_sort_config_selectorI6__halflEEZNS1_25segmented_radix_sort_implIS3_Lb0EPKS5_PS5_PKlPlN2at6native12_GLOBAL__N_18offset_tEEE10hipError_tPvRmT1_PNSt15iterator_traitsISL_E10value_typeET2_T3_PNSM_ISR_E10value_typeET4_jRbjT5_SX_jjP12ihipStream_tbEUlT_E1_NS1_11comp_targetILNS1_3genE4ELNS1_11target_archE910ELNS1_3gpuE8ELNS1_3repE0EEENS1_59segmented_radix_sort_warp_sort_small_config_static_selectorELNS0_4arch9wavefront6targetE1EEEvSL_.private_seg_size, 0
	.set _ZN7rocprim17ROCPRIM_400000_NS6detail17trampoline_kernelINS0_14default_configENS1_36segmented_radix_sort_config_selectorI6__halflEEZNS1_25segmented_radix_sort_implIS3_Lb0EPKS5_PS5_PKlPlN2at6native12_GLOBAL__N_18offset_tEEE10hipError_tPvRmT1_PNSt15iterator_traitsISL_E10value_typeET2_T3_PNSM_ISR_E10value_typeET4_jRbjT5_SX_jjP12ihipStream_tbEUlT_E1_NS1_11comp_targetILNS1_3genE4ELNS1_11target_archE910ELNS1_3gpuE8ELNS1_3repE0EEENS1_59segmented_radix_sort_warp_sort_small_config_static_selectorELNS0_4arch9wavefront6targetE1EEEvSL_.uses_vcc, 0
	.set _ZN7rocprim17ROCPRIM_400000_NS6detail17trampoline_kernelINS0_14default_configENS1_36segmented_radix_sort_config_selectorI6__halflEEZNS1_25segmented_radix_sort_implIS3_Lb0EPKS5_PS5_PKlPlN2at6native12_GLOBAL__N_18offset_tEEE10hipError_tPvRmT1_PNSt15iterator_traitsISL_E10value_typeET2_T3_PNSM_ISR_E10value_typeET4_jRbjT5_SX_jjP12ihipStream_tbEUlT_E1_NS1_11comp_targetILNS1_3genE4ELNS1_11target_archE910ELNS1_3gpuE8ELNS1_3repE0EEENS1_59segmented_radix_sort_warp_sort_small_config_static_selectorELNS0_4arch9wavefront6targetE1EEEvSL_.uses_flat_scratch, 0
	.set _ZN7rocprim17ROCPRIM_400000_NS6detail17trampoline_kernelINS0_14default_configENS1_36segmented_radix_sort_config_selectorI6__halflEEZNS1_25segmented_radix_sort_implIS3_Lb0EPKS5_PS5_PKlPlN2at6native12_GLOBAL__N_18offset_tEEE10hipError_tPvRmT1_PNSt15iterator_traitsISL_E10value_typeET2_T3_PNSM_ISR_E10value_typeET4_jRbjT5_SX_jjP12ihipStream_tbEUlT_E1_NS1_11comp_targetILNS1_3genE4ELNS1_11target_archE910ELNS1_3gpuE8ELNS1_3repE0EEENS1_59segmented_radix_sort_warp_sort_small_config_static_selectorELNS0_4arch9wavefront6targetE1EEEvSL_.has_dyn_sized_stack, 0
	.set _ZN7rocprim17ROCPRIM_400000_NS6detail17trampoline_kernelINS0_14default_configENS1_36segmented_radix_sort_config_selectorI6__halflEEZNS1_25segmented_radix_sort_implIS3_Lb0EPKS5_PS5_PKlPlN2at6native12_GLOBAL__N_18offset_tEEE10hipError_tPvRmT1_PNSt15iterator_traitsISL_E10value_typeET2_T3_PNSM_ISR_E10value_typeET4_jRbjT5_SX_jjP12ihipStream_tbEUlT_E1_NS1_11comp_targetILNS1_3genE4ELNS1_11target_archE910ELNS1_3gpuE8ELNS1_3repE0EEENS1_59segmented_radix_sort_warp_sort_small_config_static_selectorELNS0_4arch9wavefront6targetE1EEEvSL_.has_recursion, 0
	.set _ZN7rocprim17ROCPRIM_400000_NS6detail17trampoline_kernelINS0_14default_configENS1_36segmented_radix_sort_config_selectorI6__halflEEZNS1_25segmented_radix_sort_implIS3_Lb0EPKS5_PS5_PKlPlN2at6native12_GLOBAL__N_18offset_tEEE10hipError_tPvRmT1_PNSt15iterator_traitsISL_E10value_typeET2_T3_PNSM_ISR_E10value_typeET4_jRbjT5_SX_jjP12ihipStream_tbEUlT_E1_NS1_11comp_targetILNS1_3genE4ELNS1_11target_archE910ELNS1_3gpuE8ELNS1_3repE0EEENS1_59segmented_radix_sort_warp_sort_small_config_static_selectorELNS0_4arch9wavefront6targetE1EEEvSL_.has_indirect_call, 0
	.section	.AMDGPU.csdata,"",@progbits
; Kernel info:
; codeLenInByte = 0
; TotalNumSgprs: 4
; NumVgprs: 0
; ScratchSize: 0
; MemoryBound: 0
; FloatMode: 240
; IeeeMode: 1
; LDSByteSize: 0 bytes/workgroup (compile time only)
; SGPRBlocks: 0
; VGPRBlocks: 0
; NumSGPRsForWavesPerEU: 4
; NumVGPRsForWavesPerEU: 1
; Occupancy: 10
; WaveLimiterHint : 0
; COMPUTE_PGM_RSRC2:SCRATCH_EN: 0
; COMPUTE_PGM_RSRC2:USER_SGPR: 6
; COMPUTE_PGM_RSRC2:TRAP_HANDLER: 0
; COMPUTE_PGM_RSRC2:TGID_X_EN: 1
; COMPUTE_PGM_RSRC2:TGID_Y_EN: 0
; COMPUTE_PGM_RSRC2:TGID_Z_EN: 0
; COMPUTE_PGM_RSRC2:TIDIG_COMP_CNT: 0
	.section	.text._ZN7rocprim17ROCPRIM_400000_NS6detail17trampoline_kernelINS0_14default_configENS1_36segmented_radix_sort_config_selectorI6__halflEEZNS1_25segmented_radix_sort_implIS3_Lb0EPKS5_PS5_PKlPlN2at6native12_GLOBAL__N_18offset_tEEE10hipError_tPvRmT1_PNSt15iterator_traitsISL_E10value_typeET2_T3_PNSM_ISR_E10value_typeET4_jRbjT5_SX_jjP12ihipStream_tbEUlT_E1_NS1_11comp_targetILNS1_3genE3ELNS1_11target_archE908ELNS1_3gpuE7ELNS1_3repE0EEENS1_59segmented_radix_sort_warp_sort_small_config_static_selectorELNS0_4arch9wavefront6targetE1EEEvSL_,"axG",@progbits,_ZN7rocprim17ROCPRIM_400000_NS6detail17trampoline_kernelINS0_14default_configENS1_36segmented_radix_sort_config_selectorI6__halflEEZNS1_25segmented_radix_sort_implIS3_Lb0EPKS5_PS5_PKlPlN2at6native12_GLOBAL__N_18offset_tEEE10hipError_tPvRmT1_PNSt15iterator_traitsISL_E10value_typeET2_T3_PNSM_ISR_E10value_typeET4_jRbjT5_SX_jjP12ihipStream_tbEUlT_E1_NS1_11comp_targetILNS1_3genE3ELNS1_11target_archE908ELNS1_3gpuE7ELNS1_3repE0EEENS1_59segmented_radix_sort_warp_sort_small_config_static_selectorELNS0_4arch9wavefront6targetE1EEEvSL_,comdat
	.globl	_ZN7rocprim17ROCPRIM_400000_NS6detail17trampoline_kernelINS0_14default_configENS1_36segmented_radix_sort_config_selectorI6__halflEEZNS1_25segmented_radix_sort_implIS3_Lb0EPKS5_PS5_PKlPlN2at6native12_GLOBAL__N_18offset_tEEE10hipError_tPvRmT1_PNSt15iterator_traitsISL_E10value_typeET2_T3_PNSM_ISR_E10value_typeET4_jRbjT5_SX_jjP12ihipStream_tbEUlT_E1_NS1_11comp_targetILNS1_3genE3ELNS1_11target_archE908ELNS1_3gpuE7ELNS1_3repE0EEENS1_59segmented_radix_sort_warp_sort_small_config_static_selectorELNS0_4arch9wavefront6targetE1EEEvSL_ ; -- Begin function _ZN7rocprim17ROCPRIM_400000_NS6detail17trampoline_kernelINS0_14default_configENS1_36segmented_radix_sort_config_selectorI6__halflEEZNS1_25segmented_radix_sort_implIS3_Lb0EPKS5_PS5_PKlPlN2at6native12_GLOBAL__N_18offset_tEEE10hipError_tPvRmT1_PNSt15iterator_traitsISL_E10value_typeET2_T3_PNSM_ISR_E10value_typeET4_jRbjT5_SX_jjP12ihipStream_tbEUlT_E1_NS1_11comp_targetILNS1_3genE3ELNS1_11target_archE908ELNS1_3gpuE7ELNS1_3repE0EEENS1_59segmented_radix_sort_warp_sort_small_config_static_selectorELNS0_4arch9wavefront6targetE1EEEvSL_
	.p2align	8
	.type	_ZN7rocprim17ROCPRIM_400000_NS6detail17trampoline_kernelINS0_14default_configENS1_36segmented_radix_sort_config_selectorI6__halflEEZNS1_25segmented_radix_sort_implIS3_Lb0EPKS5_PS5_PKlPlN2at6native12_GLOBAL__N_18offset_tEEE10hipError_tPvRmT1_PNSt15iterator_traitsISL_E10value_typeET2_T3_PNSM_ISR_E10value_typeET4_jRbjT5_SX_jjP12ihipStream_tbEUlT_E1_NS1_11comp_targetILNS1_3genE3ELNS1_11target_archE908ELNS1_3gpuE7ELNS1_3repE0EEENS1_59segmented_radix_sort_warp_sort_small_config_static_selectorELNS0_4arch9wavefront6targetE1EEEvSL_,@function
_ZN7rocprim17ROCPRIM_400000_NS6detail17trampoline_kernelINS0_14default_configENS1_36segmented_radix_sort_config_selectorI6__halflEEZNS1_25segmented_radix_sort_implIS3_Lb0EPKS5_PS5_PKlPlN2at6native12_GLOBAL__N_18offset_tEEE10hipError_tPvRmT1_PNSt15iterator_traitsISL_E10value_typeET2_T3_PNSM_ISR_E10value_typeET4_jRbjT5_SX_jjP12ihipStream_tbEUlT_E1_NS1_11comp_targetILNS1_3genE3ELNS1_11target_archE908ELNS1_3gpuE7ELNS1_3repE0EEENS1_59segmented_radix_sort_warp_sort_small_config_static_selectorELNS0_4arch9wavefront6targetE1EEEvSL_: ; @_ZN7rocprim17ROCPRIM_400000_NS6detail17trampoline_kernelINS0_14default_configENS1_36segmented_radix_sort_config_selectorI6__halflEEZNS1_25segmented_radix_sort_implIS3_Lb0EPKS5_PS5_PKlPlN2at6native12_GLOBAL__N_18offset_tEEE10hipError_tPvRmT1_PNSt15iterator_traitsISL_E10value_typeET2_T3_PNSM_ISR_E10value_typeET4_jRbjT5_SX_jjP12ihipStream_tbEUlT_E1_NS1_11comp_targetILNS1_3genE3ELNS1_11target_archE908ELNS1_3gpuE7ELNS1_3repE0EEENS1_59segmented_radix_sort_warp_sort_small_config_static_selectorELNS0_4arch9wavefront6targetE1EEEvSL_
; %bb.0:
	.section	.rodata,"a",@progbits
	.p2align	6, 0x0
	.amdhsa_kernel _ZN7rocprim17ROCPRIM_400000_NS6detail17trampoline_kernelINS0_14default_configENS1_36segmented_radix_sort_config_selectorI6__halflEEZNS1_25segmented_radix_sort_implIS3_Lb0EPKS5_PS5_PKlPlN2at6native12_GLOBAL__N_18offset_tEEE10hipError_tPvRmT1_PNSt15iterator_traitsISL_E10value_typeET2_T3_PNSM_ISR_E10value_typeET4_jRbjT5_SX_jjP12ihipStream_tbEUlT_E1_NS1_11comp_targetILNS1_3genE3ELNS1_11target_archE908ELNS1_3gpuE7ELNS1_3repE0EEENS1_59segmented_radix_sort_warp_sort_small_config_static_selectorELNS0_4arch9wavefront6targetE1EEEvSL_
		.amdhsa_group_segment_fixed_size 0
		.amdhsa_private_segment_fixed_size 0
		.amdhsa_kernarg_size 88
		.amdhsa_user_sgpr_count 6
		.amdhsa_user_sgpr_private_segment_buffer 1
		.amdhsa_user_sgpr_dispatch_ptr 0
		.amdhsa_user_sgpr_queue_ptr 0
		.amdhsa_user_sgpr_kernarg_segment_ptr 1
		.amdhsa_user_sgpr_dispatch_id 0
		.amdhsa_user_sgpr_flat_scratch_init 0
		.amdhsa_user_sgpr_private_segment_size 0
		.amdhsa_uses_dynamic_stack 0
		.amdhsa_system_sgpr_private_segment_wavefront_offset 0
		.amdhsa_system_sgpr_workgroup_id_x 1
		.amdhsa_system_sgpr_workgroup_id_y 0
		.amdhsa_system_sgpr_workgroup_id_z 0
		.amdhsa_system_sgpr_workgroup_info 0
		.amdhsa_system_vgpr_workitem_id 0
		.amdhsa_next_free_vgpr 1
		.amdhsa_next_free_sgpr 0
		.amdhsa_reserve_vcc 0
		.amdhsa_reserve_flat_scratch 0
		.amdhsa_float_round_mode_32 0
		.amdhsa_float_round_mode_16_64 0
		.amdhsa_float_denorm_mode_32 3
		.amdhsa_float_denorm_mode_16_64 3
		.amdhsa_dx10_clamp 1
		.amdhsa_ieee_mode 1
		.amdhsa_fp16_overflow 0
		.amdhsa_exception_fp_ieee_invalid_op 0
		.amdhsa_exception_fp_denorm_src 0
		.amdhsa_exception_fp_ieee_div_zero 0
		.amdhsa_exception_fp_ieee_overflow 0
		.amdhsa_exception_fp_ieee_underflow 0
		.amdhsa_exception_fp_ieee_inexact 0
		.amdhsa_exception_int_div_zero 0
	.end_amdhsa_kernel
	.section	.text._ZN7rocprim17ROCPRIM_400000_NS6detail17trampoline_kernelINS0_14default_configENS1_36segmented_radix_sort_config_selectorI6__halflEEZNS1_25segmented_radix_sort_implIS3_Lb0EPKS5_PS5_PKlPlN2at6native12_GLOBAL__N_18offset_tEEE10hipError_tPvRmT1_PNSt15iterator_traitsISL_E10value_typeET2_T3_PNSM_ISR_E10value_typeET4_jRbjT5_SX_jjP12ihipStream_tbEUlT_E1_NS1_11comp_targetILNS1_3genE3ELNS1_11target_archE908ELNS1_3gpuE7ELNS1_3repE0EEENS1_59segmented_radix_sort_warp_sort_small_config_static_selectorELNS0_4arch9wavefront6targetE1EEEvSL_,"axG",@progbits,_ZN7rocprim17ROCPRIM_400000_NS6detail17trampoline_kernelINS0_14default_configENS1_36segmented_radix_sort_config_selectorI6__halflEEZNS1_25segmented_radix_sort_implIS3_Lb0EPKS5_PS5_PKlPlN2at6native12_GLOBAL__N_18offset_tEEE10hipError_tPvRmT1_PNSt15iterator_traitsISL_E10value_typeET2_T3_PNSM_ISR_E10value_typeET4_jRbjT5_SX_jjP12ihipStream_tbEUlT_E1_NS1_11comp_targetILNS1_3genE3ELNS1_11target_archE908ELNS1_3gpuE7ELNS1_3repE0EEENS1_59segmented_radix_sort_warp_sort_small_config_static_selectorELNS0_4arch9wavefront6targetE1EEEvSL_,comdat
.Lfunc_end1865:
	.size	_ZN7rocprim17ROCPRIM_400000_NS6detail17trampoline_kernelINS0_14default_configENS1_36segmented_radix_sort_config_selectorI6__halflEEZNS1_25segmented_radix_sort_implIS3_Lb0EPKS5_PS5_PKlPlN2at6native12_GLOBAL__N_18offset_tEEE10hipError_tPvRmT1_PNSt15iterator_traitsISL_E10value_typeET2_T3_PNSM_ISR_E10value_typeET4_jRbjT5_SX_jjP12ihipStream_tbEUlT_E1_NS1_11comp_targetILNS1_3genE3ELNS1_11target_archE908ELNS1_3gpuE7ELNS1_3repE0EEENS1_59segmented_radix_sort_warp_sort_small_config_static_selectorELNS0_4arch9wavefront6targetE1EEEvSL_, .Lfunc_end1865-_ZN7rocprim17ROCPRIM_400000_NS6detail17trampoline_kernelINS0_14default_configENS1_36segmented_radix_sort_config_selectorI6__halflEEZNS1_25segmented_radix_sort_implIS3_Lb0EPKS5_PS5_PKlPlN2at6native12_GLOBAL__N_18offset_tEEE10hipError_tPvRmT1_PNSt15iterator_traitsISL_E10value_typeET2_T3_PNSM_ISR_E10value_typeET4_jRbjT5_SX_jjP12ihipStream_tbEUlT_E1_NS1_11comp_targetILNS1_3genE3ELNS1_11target_archE908ELNS1_3gpuE7ELNS1_3repE0EEENS1_59segmented_radix_sort_warp_sort_small_config_static_selectorELNS0_4arch9wavefront6targetE1EEEvSL_
                                        ; -- End function
	.set _ZN7rocprim17ROCPRIM_400000_NS6detail17trampoline_kernelINS0_14default_configENS1_36segmented_radix_sort_config_selectorI6__halflEEZNS1_25segmented_radix_sort_implIS3_Lb0EPKS5_PS5_PKlPlN2at6native12_GLOBAL__N_18offset_tEEE10hipError_tPvRmT1_PNSt15iterator_traitsISL_E10value_typeET2_T3_PNSM_ISR_E10value_typeET4_jRbjT5_SX_jjP12ihipStream_tbEUlT_E1_NS1_11comp_targetILNS1_3genE3ELNS1_11target_archE908ELNS1_3gpuE7ELNS1_3repE0EEENS1_59segmented_radix_sort_warp_sort_small_config_static_selectorELNS0_4arch9wavefront6targetE1EEEvSL_.num_vgpr, 0
	.set _ZN7rocprim17ROCPRIM_400000_NS6detail17trampoline_kernelINS0_14default_configENS1_36segmented_radix_sort_config_selectorI6__halflEEZNS1_25segmented_radix_sort_implIS3_Lb0EPKS5_PS5_PKlPlN2at6native12_GLOBAL__N_18offset_tEEE10hipError_tPvRmT1_PNSt15iterator_traitsISL_E10value_typeET2_T3_PNSM_ISR_E10value_typeET4_jRbjT5_SX_jjP12ihipStream_tbEUlT_E1_NS1_11comp_targetILNS1_3genE3ELNS1_11target_archE908ELNS1_3gpuE7ELNS1_3repE0EEENS1_59segmented_radix_sort_warp_sort_small_config_static_selectorELNS0_4arch9wavefront6targetE1EEEvSL_.num_agpr, 0
	.set _ZN7rocprim17ROCPRIM_400000_NS6detail17trampoline_kernelINS0_14default_configENS1_36segmented_radix_sort_config_selectorI6__halflEEZNS1_25segmented_radix_sort_implIS3_Lb0EPKS5_PS5_PKlPlN2at6native12_GLOBAL__N_18offset_tEEE10hipError_tPvRmT1_PNSt15iterator_traitsISL_E10value_typeET2_T3_PNSM_ISR_E10value_typeET4_jRbjT5_SX_jjP12ihipStream_tbEUlT_E1_NS1_11comp_targetILNS1_3genE3ELNS1_11target_archE908ELNS1_3gpuE7ELNS1_3repE0EEENS1_59segmented_radix_sort_warp_sort_small_config_static_selectorELNS0_4arch9wavefront6targetE1EEEvSL_.numbered_sgpr, 0
	.set _ZN7rocprim17ROCPRIM_400000_NS6detail17trampoline_kernelINS0_14default_configENS1_36segmented_radix_sort_config_selectorI6__halflEEZNS1_25segmented_radix_sort_implIS3_Lb0EPKS5_PS5_PKlPlN2at6native12_GLOBAL__N_18offset_tEEE10hipError_tPvRmT1_PNSt15iterator_traitsISL_E10value_typeET2_T3_PNSM_ISR_E10value_typeET4_jRbjT5_SX_jjP12ihipStream_tbEUlT_E1_NS1_11comp_targetILNS1_3genE3ELNS1_11target_archE908ELNS1_3gpuE7ELNS1_3repE0EEENS1_59segmented_radix_sort_warp_sort_small_config_static_selectorELNS0_4arch9wavefront6targetE1EEEvSL_.num_named_barrier, 0
	.set _ZN7rocprim17ROCPRIM_400000_NS6detail17trampoline_kernelINS0_14default_configENS1_36segmented_radix_sort_config_selectorI6__halflEEZNS1_25segmented_radix_sort_implIS3_Lb0EPKS5_PS5_PKlPlN2at6native12_GLOBAL__N_18offset_tEEE10hipError_tPvRmT1_PNSt15iterator_traitsISL_E10value_typeET2_T3_PNSM_ISR_E10value_typeET4_jRbjT5_SX_jjP12ihipStream_tbEUlT_E1_NS1_11comp_targetILNS1_3genE3ELNS1_11target_archE908ELNS1_3gpuE7ELNS1_3repE0EEENS1_59segmented_radix_sort_warp_sort_small_config_static_selectorELNS0_4arch9wavefront6targetE1EEEvSL_.private_seg_size, 0
	.set _ZN7rocprim17ROCPRIM_400000_NS6detail17trampoline_kernelINS0_14default_configENS1_36segmented_radix_sort_config_selectorI6__halflEEZNS1_25segmented_radix_sort_implIS3_Lb0EPKS5_PS5_PKlPlN2at6native12_GLOBAL__N_18offset_tEEE10hipError_tPvRmT1_PNSt15iterator_traitsISL_E10value_typeET2_T3_PNSM_ISR_E10value_typeET4_jRbjT5_SX_jjP12ihipStream_tbEUlT_E1_NS1_11comp_targetILNS1_3genE3ELNS1_11target_archE908ELNS1_3gpuE7ELNS1_3repE0EEENS1_59segmented_radix_sort_warp_sort_small_config_static_selectorELNS0_4arch9wavefront6targetE1EEEvSL_.uses_vcc, 0
	.set _ZN7rocprim17ROCPRIM_400000_NS6detail17trampoline_kernelINS0_14default_configENS1_36segmented_radix_sort_config_selectorI6__halflEEZNS1_25segmented_radix_sort_implIS3_Lb0EPKS5_PS5_PKlPlN2at6native12_GLOBAL__N_18offset_tEEE10hipError_tPvRmT1_PNSt15iterator_traitsISL_E10value_typeET2_T3_PNSM_ISR_E10value_typeET4_jRbjT5_SX_jjP12ihipStream_tbEUlT_E1_NS1_11comp_targetILNS1_3genE3ELNS1_11target_archE908ELNS1_3gpuE7ELNS1_3repE0EEENS1_59segmented_radix_sort_warp_sort_small_config_static_selectorELNS0_4arch9wavefront6targetE1EEEvSL_.uses_flat_scratch, 0
	.set _ZN7rocprim17ROCPRIM_400000_NS6detail17trampoline_kernelINS0_14default_configENS1_36segmented_radix_sort_config_selectorI6__halflEEZNS1_25segmented_radix_sort_implIS3_Lb0EPKS5_PS5_PKlPlN2at6native12_GLOBAL__N_18offset_tEEE10hipError_tPvRmT1_PNSt15iterator_traitsISL_E10value_typeET2_T3_PNSM_ISR_E10value_typeET4_jRbjT5_SX_jjP12ihipStream_tbEUlT_E1_NS1_11comp_targetILNS1_3genE3ELNS1_11target_archE908ELNS1_3gpuE7ELNS1_3repE0EEENS1_59segmented_radix_sort_warp_sort_small_config_static_selectorELNS0_4arch9wavefront6targetE1EEEvSL_.has_dyn_sized_stack, 0
	.set _ZN7rocprim17ROCPRIM_400000_NS6detail17trampoline_kernelINS0_14default_configENS1_36segmented_radix_sort_config_selectorI6__halflEEZNS1_25segmented_radix_sort_implIS3_Lb0EPKS5_PS5_PKlPlN2at6native12_GLOBAL__N_18offset_tEEE10hipError_tPvRmT1_PNSt15iterator_traitsISL_E10value_typeET2_T3_PNSM_ISR_E10value_typeET4_jRbjT5_SX_jjP12ihipStream_tbEUlT_E1_NS1_11comp_targetILNS1_3genE3ELNS1_11target_archE908ELNS1_3gpuE7ELNS1_3repE0EEENS1_59segmented_radix_sort_warp_sort_small_config_static_selectorELNS0_4arch9wavefront6targetE1EEEvSL_.has_recursion, 0
	.set _ZN7rocprim17ROCPRIM_400000_NS6detail17trampoline_kernelINS0_14default_configENS1_36segmented_radix_sort_config_selectorI6__halflEEZNS1_25segmented_radix_sort_implIS3_Lb0EPKS5_PS5_PKlPlN2at6native12_GLOBAL__N_18offset_tEEE10hipError_tPvRmT1_PNSt15iterator_traitsISL_E10value_typeET2_T3_PNSM_ISR_E10value_typeET4_jRbjT5_SX_jjP12ihipStream_tbEUlT_E1_NS1_11comp_targetILNS1_3genE3ELNS1_11target_archE908ELNS1_3gpuE7ELNS1_3repE0EEENS1_59segmented_radix_sort_warp_sort_small_config_static_selectorELNS0_4arch9wavefront6targetE1EEEvSL_.has_indirect_call, 0
	.section	.AMDGPU.csdata,"",@progbits
; Kernel info:
; codeLenInByte = 0
; TotalNumSgprs: 4
; NumVgprs: 0
; ScratchSize: 0
; MemoryBound: 0
; FloatMode: 240
; IeeeMode: 1
; LDSByteSize: 0 bytes/workgroup (compile time only)
; SGPRBlocks: 0
; VGPRBlocks: 0
; NumSGPRsForWavesPerEU: 4
; NumVGPRsForWavesPerEU: 1
; Occupancy: 10
; WaveLimiterHint : 0
; COMPUTE_PGM_RSRC2:SCRATCH_EN: 0
; COMPUTE_PGM_RSRC2:USER_SGPR: 6
; COMPUTE_PGM_RSRC2:TRAP_HANDLER: 0
; COMPUTE_PGM_RSRC2:TGID_X_EN: 1
; COMPUTE_PGM_RSRC2:TGID_Y_EN: 0
; COMPUTE_PGM_RSRC2:TGID_Z_EN: 0
; COMPUTE_PGM_RSRC2:TIDIG_COMP_CNT: 0
	.text
	.p2align	2                               ; -- Begin function _ZN7rocprim17ROCPRIM_400000_NS6detail26segmented_warp_sort_helperINS1_20WarpSortHelperConfigILj8ELj4ELj256EEE6__halflLi256ELb0EvE4sortIPKS5_PS5_PKlPlEEvT_SA_T0_T1_SD_T2_bjjjjRNS6_12storage_typeE
	.type	_ZN7rocprim17ROCPRIM_400000_NS6detail26segmented_warp_sort_helperINS1_20WarpSortHelperConfigILj8ELj4ELj256EEE6__halflLi256ELb0EvE4sortIPKS5_PS5_PKlPlEEvT_SA_T0_T1_SD_T2_bjjjjRNS6_12storage_typeE,@function
_ZN7rocprim17ROCPRIM_400000_NS6detail26segmented_warp_sort_helperINS1_20WarpSortHelperConfigILj8ELj4ELj256EEE6__halflLi256ELb0EvE4sortIPKS5_PS5_PKlPlEEvT_SA_T0_T1_SD_T2_bjjjjRNS6_12storage_typeE: ; @_ZN7rocprim17ROCPRIM_400000_NS6detail26segmented_warp_sort_helperINS1_20WarpSortHelperConfigILj8ELj4ELj256EEE6__halflLi256ELb0EvE4sortIPKS5_PS5_PKlPlEEvT_SA_T0_T1_SD_T2_bjjjjRNS6_12storage_typeE
; %bb.0:
	s_waitcnt vmcnt(0) expcnt(0) lgkmcnt(0)
	v_and_b32_e32 v12, 1, v12
	v_cmp_ne_u32_e64 s[4:5], 1, v12
	v_sub_u32_e32 v25, v14, v13
	v_mov_b32_e32 v14, 0
	v_mbcnt_lo_u32_b32 v12, -1, 0
	v_lshlrev_b64 v[33:34], 1, v[13:14]
	v_mbcnt_hi_u32_b32 v12, -1, v12
	v_lshlrev_b32_e32 v36, 2, v12
	v_add_co_u32_e32 v0, vcc, v0, v33
	v_and_b32_e32 v12, 28, v36
	v_addc_co_u32_e32 v1, vcc, v1, v34, vcc
	v_lshlrev_b32_e32 v35, 1, v12
	v_add_co_u32_e32 v0, vcc, v0, v35
	v_addc_co_u32_e32 v1, vcc, 0, v1, vcc
	v_cmp_lt_u32_e32 vcc, v12, v25
	s_mov_b64 s[16:17], 0
                                        ; implicit-def: $vgpr17_vgpr18_vgpr19_vgpr20_vgpr21_vgpr22_vgpr23_vgpr24
	s_and_saveexec_b64 s[6:7], s[4:5]
	s_xor_b64 s[18:19], exec, s[6:7]
	s_cbranch_execnz .LBB1866_4
; %bb.1:
	s_andn2_saveexec_b64 s[18:19], s[18:19]
	s_cbranch_execnz .LBB1866_109
.LBB1866_2:
	s_or_b64 exec, exec, s[18:19]
	s_and_saveexec_b64 s[4:5], s[16:17]
	s_cbranch_execnz .LBB1866_214
.LBB1866_3:
	s_or_b64 exec, exec, s[4:5]
	s_waitcnt vmcnt(0) lgkmcnt(0)
	s_setpc_b64 s[30:31]
.LBB1866_4:
	v_mov_b32_e32 v37, 0x7fff
	v_mov_b32_e32 v38, 0x7fff
	s_and_saveexec_b64 s[4:5], vcc
	s_cbranch_execz .LBB1866_6
; %bb.5:
	flat_load_ushort v38, v[0:1]
.LBB1866_6:
	s_or_b64 exec, exec, s[4:5]
	v_or_b32_e32 v4, 1, v12
	v_cmp_lt_u32_e64 s[4:5], v4, v25
	s_and_saveexec_b64 s[6:7], s[4:5]
	s_cbranch_execz .LBB1866_8
; %bb.7:
	flat_load_ushort v37, v[0:1] offset:2
.LBB1866_8:
	s_or_b64 exec, exec, s[6:7]
	v_or_b32_e32 v4, 2, v12
	v_cmp_lt_u32_e64 s[6:7], v4, v25
	v_mov_b32_e32 v11, 0x7fff
	v_mov_b32_e32 v39, 0x7fff
	s_and_saveexec_b64 s[10:11], s[6:7]
	s_cbranch_execz .LBB1866_10
; %bb.9:
	flat_load_ushort v39, v[0:1] offset:4
.LBB1866_10:
	s_or_b64 exec, exec, s[10:11]
	v_or_b32_e32 v4, 3, v12
	v_cmp_lt_u32_e64 s[10:11], v4, v25
	s_and_saveexec_b64 s[14:15], s[10:11]
	s_cbranch_execz .LBB1866_12
; %bb.11:
	flat_load_ushort v11, v[0:1] offset:6
.LBB1866_12:
	s_or_b64 exec, exec, s[14:15]
	v_lshlrev_b64 v[0:1], 3, v[13:14]
	v_lshlrev_b32_e32 v10, 3, v12
	v_add_co_u32_e64 v4, s[14:15], v6, v0
	v_addc_co_u32_e64 v5, s[14:15], v7, v1, s[14:15]
	v_mov_b32_e32 v17, 0
	v_add_co_u32_e64 v4, s[14:15], v4, v10
	v_addc_co_u32_e64 v5, s[14:15], 0, v5, s[14:15]
	v_mov_b32_e32 v18, v17
	v_mov_b32_e32 v19, v17
	;; [unrolled: 1-line block ×7, first 2 shown]
	; wave barrier
	s_and_saveexec_b64 s[14:15], vcc
	s_cbranch_execnz .LBB1866_215
; %bb.13:
	s_or_b64 exec, exec, s[14:15]
	s_and_saveexec_b64 s[14:15], s[4:5]
	s_cbranch_execnz .LBB1866_216
.LBB1866_14:
	s_or_b64 exec, exec, s[14:15]
	s_and_saveexec_b64 s[14:15], s[6:7]
	s_cbranch_execnz .LBB1866_217
.LBB1866_15:
	s_or_b64 exec, exec, s[14:15]
	s_and_saveexec_b64 s[14:15], s[10:11]
	s_cbranch_execz .LBB1866_17
.LBB1866_16:
	flat_load_dwordx2 v[23:24], v[4:5] offset:24
.LBB1866_17:
	s_or_b64 exec, exec, s[14:15]
	; wave barrier
	s_load_dwordx2 s[14:15], s[8:9], 0x0
	v_mov_b32_e32 v4, 0
	v_bfe_u32 v7, v31, 20, 10
	s_waitcnt lgkmcnt(0)
	s_cmp_lt_u32 s13, s15
	s_cselect_b32 s15, 14, 20
	s_add_u32 s16, s8, s15
	s_addc_u32 s17, s9, 0
	s_cmp_lt_u32 s12, s14
	s_cselect_b32 s14, 12, 18
	s_add_u32 s14, s8, s14
	s_addc_u32 s15, s9, 0
	global_load_ushort v5, v4, s[16:17]
	global_load_ushort v6, v4, s[14:15]
	v_bfe_u32 v4, v31, 10, 10
	s_movk_i32 s14, 0x400
	s_waitcnt vmcnt(0)
	v_mad_u32_u24 v4, v7, v5, v4
	v_mul_lo_u32 v4, v4, v6
	v_and_b32_e32 v5, 0x3ff, v31
	v_add_lshl_u32 v4, v4, v5, 2
	v_cmp_gt_u32_e64 s[14:15], s14, v4
	s_and_saveexec_b64 s[20:21], s[14:15]
	s_cbranch_execz .LBB1866_27
; %bb.18:
	v_add_f16_e32 v5, 0, v38
	v_add_f16_e32 v7, 0, v37
	v_mov_b32_e32 v6, 0xffff8000
	v_cmp_lt_i16_e64 s[14:15], -1, v5
	v_cndmask_b32_e64 v25, -1, v6, s[14:15]
	v_cmp_lt_i16_e64 s[14:15], -1, v7
	v_xor_b32_e32 v5, v25, v5
	v_cndmask_b32_e64 v25, -1, v6, s[14:15]
	v_xor_b32_e32 v7, v25, v7
	v_cmp_gt_u16_e64 s[14:15], v5, v7
	v_add_f16_e32 v7, 0, v39
	v_cndmask_b32_e64 v28, v20, v18, s[14:15]
	v_cndmask_b32_e64 v26, v18, v20, s[14:15]
	v_add_f16_e32 v18, 0, v11
	v_cmp_lt_i16_e64 s[16:17], -1, v7
	v_cndmask_b32_e64 v5, -1, v6, s[16:17]
	v_cmp_lt_i16_e64 s[16:17], -1, v18
	v_cndmask_b32_e64 v27, v19, v17, s[14:15]
	v_cndmask_b32_e64 v25, v17, v19, s[14:15]
	v_xor_b32_e32 v17, v5, v7
	v_cndmask_b32_e64 v5, -1, v6, s[16:17]
	v_xor_b32_e32 v19, v5, v18
	v_mov_b32_e32 v30, v22
	v_mov_b32_e32 v32, v24
	v_cmp_gt_u16_e64 s[16:17], v17, v19
	v_mov_b32_e32 v5, v39
	v_mov_b32_e32 v29, v21
	;; [unrolled: 1-line block ×3, first 2 shown]
	s_and_saveexec_b64 s[22:23], s[16:17]
; %bb.19:
	v_mov_b32_e32 v30, v24
	v_mov_b32_e32 v32, v22
	;; [unrolled: 1-line block ×8, first 2 shown]
; %bb.20:
	s_or_b64 exec, exec, s[22:23]
	v_cndmask_b32_e64 v18, v37, v38, s[14:15]
	v_add_f16_e32 v19, 0, v18
	v_cmp_lt_i16_e64 s[16:17], -1, v19
	v_cndmask_b32_e64 v6, -1, v6, s[16:17]
	v_xor_b32_e32 v6, v6, v19
	v_cmp_gt_u16_e64 s[16:17], v6, v17
	v_mov_b32_e32 v39, v7
	v_mov_b32_e32 v6, v18
	s_and_saveexec_b64 s[22:23], s[16:17]
	s_xor_b64 s[16:17], exec, s[22:23]
	s_cbranch_execz .LBB1866_22
; %bb.21:
	v_mov_b32_e32 v55, v32
	v_mov_b32_e32 v54, v31
	;; [unrolled: 1-line block ×26, first 2 shown]
.LBB1866_22:
	s_or_b64 exec, exec, s[16:17]
	v_cndmask_b32_e64 v7, v38, v37, s[14:15]
	v_add_f16_e32 v17, 0, v7
	v_mov_b32_e32 v38, 0xffff8000
	v_cmp_lt_i16_e64 s[14:15], -1, v17
	v_cndmask_b32_e64 v18, -1, v38, s[14:15]
	v_cmp_lt_i16_e64 s[14:15], -1, v19
	v_xor_b32_e32 v17, v18, v17
	v_cndmask_b32_e64 v18, -1, v38, s[14:15]
	v_xor_b32_e32 v18, v18, v19
	v_cmp_gt_u16_e64 s[14:15], v17, v18
	v_cndmask_b32_e64 v19, v27, v25, s[14:15]
	v_cndmask_b32_e64 v17, v25, v27, s[14:15]
	v_add_f16_e32 v25, 0, v11
	v_cmp_lt_i16_e64 s[16:17], -1, v39
	v_cndmask_b32_e64 v20, v28, v26, s[14:15]
	v_cndmask_b32_e64 v18, v26, v28, s[14:15]
	v_cndmask_b32_e64 v26, -1, v38, s[16:17]
	v_cmp_lt_i16_e64 s[16:17], -1, v25
	v_cndmask_b32_e64 v27, -1, v38, s[16:17]
	v_xor_b32_e32 v26, v26, v39
	v_xor_b32_e32 v27, v27, v25
	v_mov_b32_e32 v21, v29
	v_mov_b32_e32 v22, v30
	;; [unrolled: 1-line block ×4, first 2 shown]
	v_cmp_gt_u16_e64 s[16:17], v26, v27
	v_mov_b32_e32 v25, v5
	s_and_saveexec_b64 s[22:23], s[16:17]
; %bb.23:
	v_mov_b32_e32 v21, v31
	v_mov_b32_e32 v22, v32
	;; [unrolled: 1-line block ×7, first 2 shown]
; %bb.24:
	s_or_b64 exec, exec, s[22:23]
	v_cndmask_b32_e64 v37, v6, v7, s[14:15]
	v_add_f16_e32 v5, 0, v37
	v_cmp_lt_i16_e64 s[16:17], -1, v5
	v_cndmask_b32_e64 v27, -1, v38, s[16:17]
	v_xor_b32_e32 v5, v27, v5
	v_cmp_gt_u16_e64 s[16:17], v5, v26
	v_mov_b32_e32 v39, v25
	s_and_saveexec_b64 s[22:23], s[16:17]
	s_cbranch_execz .LBB1866_26
; %bb.25:
	v_mov_b32_e32 v48, v17
	v_mov_b32_e32 v49, v18
	;; [unrolled: 1-line block ×18, first 2 shown]
.LBB1866_26:
	s_or_b64 exec, exec, s[22:23]
	v_cndmask_b32_e64 v38, v7, v6, s[14:15]
.LBB1866_27:
	s_or_b64 exec, exec, s[20:21]
	v_and_b32_e32 v25, 0xffffff00, v4
	v_mov_b32_e32 v26, 0
	v_lshlrev_b64 v[4:5], 1, v[25:26]
	s_movk_i32 s16, 0x400
	v_add_co_u32_e64 v6, s[14:15], v15, v4
	v_addc_co_u32_e64 v7, s[14:15], v16, v5, s[14:15]
	v_mad_u64_u32 v[4:5], s[14:15], v25, 6, v[6:7]
	v_sub_u32_e64 v5, s16, v25 clamp
	v_or_b32_e32 v15, 4, v36
	v_min_u32_e32 v30, v5, v15
	v_add_u32_e32 v15, 4, v30
	v_and_b32_e32 v32, 0x1f8, v36
	v_min_u32_e32 v31, v5, v15
	v_and_b32_e32 v15, 4, v36
	v_min_u32_e32 v49, v5, v15
	v_sub_u32_e32 v15, v30, v32
	v_sub_u32_e32 v16, v31, v30
	v_sub_u32_e64 v50, v49, v16 clamp
	v_min_u32_e32 v15, v49, v15
	v_lshl_add_u32 v7, v36, 1, v6
	v_lshl_add_u32 v29, v36, 3, v4
	v_cmp_lt_u32_e64 s[14:15], v50, v15
	ds_write_b16 v7, v38
	ds_write_b64 v29, v[17:18] offset:2048
	ds_write_b16 v7, v37 offset:2
	ds_write_b64 v29, v[19:20] offset:2056
	ds_write_b16 v7, v39 offset:4
	;; [unrolled: 2-line block ×3, first 2 shown]
	ds_write_b64 v29, v[23:24] offset:2072
	; wave barrier
	s_and_saveexec_b64 s[16:17], s[14:15]
	s_cbranch_execz .LBB1866_31
; %bb.28:
	v_lshlrev_b32_e32 v16, 1, v32
	v_lshlrev_b32_e32 v25, 1, v30
	v_add_co_u32_e64 v16, s[14:15], v6, v16
	v_add_co_u32_e64 v25, s[14:15], v6, v25
	s_mov_b64 s[20:21], 0
	v_mov_b32_e32 v26, 0xffff8000
.LBB1866_29:                            ; =>This Inner Loop Header: Depth=1
	v_add_u32_e32 v27, v15, v50
	v_lshrrev_b32_e32 v28, 1, v27
	v_and_b32_e32 v27, -2, v27
	v_xad_u32 v48, v28, -1, v49
	v_add_u32_e32 v27, v16, v27
	ds_read_u16 v27, v27
	v_lshl_add_u32 v48, v48, 1, v25
	ds_read_u16 v48, v48
	v_add_u32_e32 v51, 1, v28
	s_waitcnt lgkmcnt(1)
	v_add_f16_e32 v27, 0, v27
	v_cmp_lt_i16_e64 s[14:15], -1, v27
	s_waitcnt lgkmcnt(0)
	v_add_f16_e32 v48, 0, v48
	v_cndmask_b32_e64 v52, -1, v26, s[14:15]
	v_cmp_lt_i16_e64 s[14:15], -1, v48
	v_xor_b32_e32 v27, v52, v27
	v_cndmask_b32_e64 v52, -1, v26, s[14:15]
	v_xor_b32_e32 v48, v52, v48
	v_cmp_gt_u16_e64 s[14:15], v27, v48
	v_cndmask_b32_e64 v15, v15, v28, s[14:15]
	v_cndmask_b32_e64 v50, v51, v50, s[14:15]
	v_cmp_ge_u32_e64 s[14:15], v50, v15
	s_or_b64 s[20:21], s[14:15], s[20:21]
	s_andn2_b64 exec, exec, s[20:21]
	s_cbranch_execnz .LBB1866_29
; %bb.30:
	s_or_b64 exec, exec, s[20:21]
.LBB1866_31:
	s_or_b64 exec, exec, s[16:17]
	v_add_u32_e32 v48, v50, v32
	v_add_u32_e32 v32, v30, v49
	v_sub_u32_e32 v49, v32, v50
	v_cmp_le_u32_e64 s[14:15], v48, v30
	v_cmp_le_u32_e64 s[16:17], v49, v31
	v_add_u32_e32 v15, 0x800, v29
	v_add_u32_e32 v16, 2, v7
	;; [unrolled: 1-line block ×7, first 2 shown]
	s_or_b64 s[14:15], s[14:15], s[16:17]
	s_and_saveexec_b64 s[20:21], s[14:15]
	s_cbranch_execz .LBB1866_51
; %bb.32:
	v_cmp_ge_u32_e64 s[14:15], v48, v30
	v_cmp_lt_u32_e64 s[16:17], v48, v30
                                        ; implicit-def: $vgpr11
	s_and_saveexec_b64 s[22:23], s[16:17]
; %bb.33:
	v_lshl_add_u32 v11, v48, 1, v6
	ds_read_u16 v11, v11
; %bb.34:
	s_or_b64 exec, exec, s[22:23]
	v_cmp_ge_u32_e64 s[22:23], v49, v31
	v_cmp_lt_u32_e64 s[16:17], v49, v31
                                        ; implicit-def: $vgpr32
	s_and_saveexec_b64 s[24:25], s[16:17]
; %bb.35:
	v_lshl_add_u32 v17, v49, 1, v6
	ds_read_u16 v32, v17
; %bb.36:
	s_or_b64 exec, exec, s[24:25]
	s_nor_b64 s[14:15], s[14:15], s[22:23]
	s_and_saveexec_b64 s[16:17], s[14:15]
	s_cbranch_execz .LBB1866_38
; %bb.37:
	s_waitcnt lgkmcnt(0)
	v_add_f16_e32 v17, 0, v11
	v_add_f16_e32 v18, 0, v32
	v_mov_b32_e32 v19, 0xffff8000
	v_cmp_lt_i16_e64 s[14:15], -1, v17
	v_cndmask_b32_e64 v20, -1, v19, s[14:15]
	v_cmp_lt_i16_e64 s[14:15], -1, v18
	v_cndmask_b32_e64 v19, -1, v19, s[14:15]
	v_xor_b32_e32 v17, v20, v17
	v_xor_b32_e32 v18, v19, v18
	v_cmp_le_u16_e64 s[14:15], v17, v18
	s_andn2_b64 s[22:23], s[22:23], exec
	s_and_b64 s[14:15], s[14:15], exec
	s_or_b64 s[22:23], s[22:23], s[14:15]
.LBB1866_38:
	s_or_b64 exec, exec, s[16:17]
	v_cndmask_b32_e64 v17, v49, v48, s[22:23]
	v_cndmask_b32_e64 v18, v31, v30, s[22:23]
	v_add_u32_e32 v19, 1, v17
	v_add_u32_e32 v18, -1, v18
	v_min_u32_e32 v18, v19, v18
	v_lshl_add_u32 v18, v18, 1, v6
	ds_read_u16 v20, v18
	v_lshl_add_u32 v17, v17, 3, v4
	ds_read_b64 v[17:18], v17 offset:2048
	v_cndmask_b32_e64 v21, v19, v49, s[22:23]
	v_cndmask_b32_e64 v22, v48, v19, s[22:23]
	s_waitcnt lgkmcnt(1)
	v_cndmask_b32_e64 v37, v20, v32, s[22:23]
	v_cndmask_b32_e64 v38, v11, v20, s[22:23]
	v_cmp_lt_u32_e64 s[14:15], v21, v31
	s_mov_b64 s[24:25], -1
	s_mov_b64 s[16:17], -1
	s_and_saveexec_b64 s[26:27], s[14:15]
	s_cbranch_execz .LBB1866_42
; %bb.39:
	v_cmp_lt_u32_e64 s[14:15], v22, v30
	s_mov_b64 s[28:29], 0
	s_and_saveexec_b64 s[16:17], s[14:15]
	s_cbranch_execz .LBB1866_41
; %bb.40:
	v_add_f16_e32 v19, 0, v38
	v_add_f16_e32 v20, 0, v37
	v_mov_b32_e32 v23, 0xffff8000
	v_cmp_lt_i16_e64 s[14:15], -1, v19
	v_cndmask_b32_e64 v24, -1, v23, s[14:15]
	v_cmp_lt_i16_e64 s[14:15], -1, v20
	v_cndmask_b32_e64 v23, -1, v23, s[14:15]
	v_xor_b32_e32 v19, v24, v19
	v_xor_b32_e32 v20, v23, v20
	v_cmp_le_u16_e64 s[14:15], v19, v20
	s_and_b64 s[28:29], s[14:15], exec
.LBB1866_41:
	s_or_b64 exec, exec, s[16:17]
	s_orn2_b64 s[16:17], s[28:29], exec
.LBB1866_42:
	s_or_b64 exec, exec, s[26:27]
	v_cndmask_b32_e64 v19, v21, v22, s[16:17]
	v_cndmask_b32_e64 v20, v31, v30, s[16:17]
	v_add_u32_e32 v24, 1, v19
	v_add_u32_e32 v20, -1, v20
	v_min_u32_e32 v20, v24, v20
	v_lshl_add_u32 v20, v20, 1, v6
	ds_read_u16 v23, v20
	v_lshl_add_u32 v19, v19, 3, v4
	ds_read_b64 v[19:20], v19 offset:2048
	s_waitcnt lgkmcnt(1)
	v_cndmask_b32_e64 v39, v23, v37, s[16:17]
	v_cndmask_b32_e64 v48, v38, v23, s[16:17]
	;; [unrolled: 1-line block ×4, first 2 shown]
	v_cmp_lt_u32_e64 s[14:15], v23, v31
	s_and_saveexec_b64 s[26:27], s[14:15]
	s_cbranch_execz .LBB1866_46
; %bb.43:
	v_cmp_lt_u32_e64 s[14:15], v24, v30
	s_mov_b64 s[28:29], 0
	s_and_saveexec_b64 s[24:25], s[14:15]
	s_cbranch_execz .LBB1866_45
; %bb.44:
	v_add_f16_e32 v21, 0, v48
	v_add_f16_e32 v22, 0, v39
	v_mov_b32_e32 v49, 0xffff8000
	v_cmp_lt_i16_e64 s[14:15], -1, v21
	v_cndmask_b32_e64 v50, -1, v49, s[14:15]
	v_cmp_lt_i16_e64 s[14:15], -1, v22
	v_cndmask_b32_e64 v49, -1, v49, s[14:15]
	v_xor_b32_e32 v21, v50, v21
	v_xor_b32_e32 v22, v49, v22
	v_cmp_le_u16_e64 s[14:15], v21, v22
	s_and_b64 s[28:29], s[14:15], exec
.LBB1866_45:
	s_or_b64 exec, exec, s[24:25]
	s_orn2_b64 s[24:25], s[28:29], exec
.LBB1866_46:
	s_or_b64 exec, exec, s[26:27]
	v_cndmask_b32_e64 v21, v23, v24, s[24:25]
	v_cndmask_b32_e64 v22, v31, v30, s[24:25]
	v_add_u32_e32 v51, 1, v21
	v_add_u32_e32 v22, -1, v22
	v_min_u32_e32 v22, v51, v22
	v_lshl_add_u32 v22, v22, 1, v6
	ds_read_u16 v50, v22
	v_lshl_add_u32 v21, v21, 3, v4
	ds_read_b64 v[21:22], v21 offset:2048
	v_cndmask_b32_e64 v23, v51, v23, s[24:25]
	v_cndmask_b32_e64 v24, v24, v51, s[24:25]
	s_waitcnt lgkmcnt(1)
	v_cndmask_b32_e64 v49, v50, v39, s[24:25]
	v_cndmask_b32_e64 v50, v48, v50, s[24:25]
	v_cmp_lt_u32_e64 s[14:15], v23, v31
	s_mov_b64 s[28:29], -1
	s_and_saveexec_b64 s[26:27], s[14:15]
	s_cbranch_execz .LBB1866_50
; %bb.47:
	v_cmp_lt_u32_e64 s[14:15], v24, v30
	s_mov_b64 s[40:41], 0
	s_and_saveexec_b64 s[28:29], s[14:15]
	s_cbranch_execz .LBB1866_49
; %bb.48:
	v_add_f16_e32 v30, 0, v50
	v_add_f16_e32 v31, 0, v49
	v_mov_b32_e32 v51, 0xffff8000
	v_cmp_lt_i16_e64 s[14:15], -1, v30
	v_cndmask_b32_e64 v52, -1, v51, s[14:15]
	v_cmp_lt_i16_e64 s[14:15], -1, v31
	v_cndmask_b32_e64 v51, -1, v51, s[14:15]
	v_xor_b32_e32 v30, v52, v30
	v_xor_b32_e32 v31, v51, v31
	v_cmp_le_u16_e64 s[14:15], v30, v31
	s_and_b64 s[40:41], s[14:15], exec
.LBB1866_49:
	s_or_b64 exec, exec, s[28:29]
	s_orn2_b64 s[28:29], s[40:41], exec
.LBB1866_50:
	s_or_b64 exec, exec, s[26:27]
	v_cndmask_b32_e64 v23, v23, v24, s[28:29]
	v_lshl_add_u32 v23, v23, 3, v4
	ds_read_b64 v[23:24], v23 offset:2048
	v_cndmask_b32_e64 v39, v39, v48, s[24:25]
	v_cndmask_b32_e64 v37, v37, v38, s[16:17]
	;; [unrolled: 1-line block ×4, first 2 shown]
.LBB1866_51:
	s_or_b64 exec, exec, s[20:21]
	v_and_b32_e32 v32, 0x1f0, v36
	v_or_b32_e32 v30, 8, v32
	v_min_u32_e32 v30, v5, v30
	v_add_u32_e32 v31, 8, v30
	v_min_u32_e32 v31, v5, v31
	v_and_b32_e32 v48, 12, v36
	v_min_u32_e32 v49, v5, v48
	v_sub_u32_e32 v48, v30, v32
	v_sub_u32_e32 v50, v31, v30
	v_sub_u32_e64 v50, v49, v50 clamp
	v_min_u32_e32 v48, v49, v48
	v_cmp_lt_u32_e64 s[14:15], v50, v48
	; wave barrier
	ds_write_b16 v7, v38
	ds_write_b64 v15, v[17:18]
	ds_write_b16 v16, v37
	ds_write_b64 v25, v[19:20]
	ds_write_b16 v26, v39
	s_waitcnt lgkmcnt(6)
	ds_write_b64 v27, v[21:22]
	ds_write_b16 v28, v11
	s_waitcnt lgkmcnt(7)
	ds_write_b64 v29, v[23:24]
	; wave barrier
	s_and_saveexec_b64 s[16:17], s[14:15]
	s_cbranch_execz .LBB1866_55
; %bb.52:
	v_lshlrev_b32_e32 v51, 1, v32
	v_lshlrev_b32_e32 v52, 1, v30
	v_add_co_u32_e64 v51, s[14:15], v6, v51
	v_add_co_u32_e64 v52, s[14:15], v6, v52
	s_mov_b64 s[20:21], 0
	v_mov_b32_e32 v53, 0xffff8000
.LBB1866_53:                            ; =>This Inner Loop Header: Depth=1
	v_add_u32_e32 v54, v48, v50
	v_lshrrev_b32_e32 v55, 1, v54
	v_and_b32_e32 v54, -2, v54
	v_xad_u32 v64, v55, -1, v49
	v_add_u32_e32 v54, v51, v54
	ds_read_u16 v54, v54
	v_lshl_add_u32 v64, v64, 1, v52
	ds_read_u16 v64, v64
	v_add_u32_e32 v65, 1, v55
	s_waitcnt lgkmcnt(1)
	v_add_f16_e32 v54, 0, v54
	v_cmp_lt_i16_e64 s[14:15], -1, v54
	s_waitcnt lgkmcnt(0)
	v_add_f16_e32 v64, 0, v64
	v_cndmask_b32_e64 v66, -1, v53, s[14:15]
	v_cmp_lt_i16_e64 s[14:15], -1, v64
	v_xor_b32_e32 v54, v66, v54
	v_cndmask_b32_e64 v66, -1, v53, s[14:15]
	v_xor_b32_e32 v64, v66, v64
	v_cmp_gt_u16_e64 s[14:15], v54, v64
	v_cndmask_b32_e64 v48, v48, v55, s[14:15]
	v_cndmask_b32_e64 v50, v65, v50, s[14:15]
	v_cmp_ge_u32_e64 s[14:15], v50, v48
	s_or_b64 s[20:21], s[14:15], s[20:21]
	s_andn2_b64 exec, exec, s[20:21]
	s_cbranch_execnz .LBB1866_53
; %bb.54:
	s_or_b64 exec, exec, s[20:21]
.LBB1866_55:
	s_or_b64 exec, exec, s[16:17]
	v_add_u32_e32 v48, v50, v32
	v_add_u32_e32 v32, v30, v49
	v_sub_u32_e32 v49, v32, v50
	v_cmp_le_u32_e64 s[14:15], v48, v30
	v_cmp_le_u32_e64 s[16:17], v49, v31
	s_or_b64 s[14:15], s[14:15], s[16:17]
	s_and_saveexec_b64 s[20:21], s[14:15]
	s_cbranch_execz .LBB1866_75
; %bb.56:
	v_cmp_ge_u32_e64 s[14:15], v48, v30
	v_cmp_lt_u32_e64 s[16:17], v48, v30
                                        ; implicit-def: $vgpr11
	s_and_saveexec_b64 s[22:23], s[16:17]
; %bb.57:
	v_lshl_add_u32 v11, v48, 1, v6
	ds_read_u16 v11, v11
; %bb.58:
	s_or_b64 exec, exec, s[22:23]
	v_cmp_ge_u32_e64 s[22:23], v49, v31
	v_cmp_lt_u32_e64 s[16:17], v49, v31
                                        ; implicit-def: $vgpr32
	s_and_saveexec_b64 s[24:25], s[16:17]
; %bb.59:
	v_lshl_add_u32 v17, v49, 1, v6
	ds_read_u16 v32, v17
; %bb.60:
	s_or_b64 exec, exec, s[24:25]
	s_nor_b64 s[14:15], s[14:15], s[22:23]
	s_and_saveexec_b64 s[16:17], s[14:15]
	s_cbranch_execz .LBB1866_62
; %bb.61:
	s_waitcnt lgkmcnt(0)
	v_add_f16_e32 v17, 0, v11
	v_add_f16_e32 v18, 0, v32
	v_mov_b32_e32 v19, 0xffff8000
	v_cmp_lt_i16_e64 s[14:15], -1, v17
	v_cndmask_b32_e64 v20, -1, v19, s[14:15]
	v_cmp_lt_i16_e64 s[14:15], -1, v18
	v_cndmask_b32_e64 v19, -1, v19, s[14:15]
	v_xor_b32_e32 v17, v20, v17
	v_xor_b32_e32 v18, v19, v18
	v_cmp_le_u16_e64 s[14:15], v17, v18
	s_andn2_b64 s[22:23], s[22:23], exec
	s_and_b64 s[14:15], s[14:15], exec
	s_or_b64 s[22:23], s[22:23], s[14:15]
.LBB1866_62:
	s_or_b64 exec, exec, s[16:17]
	v_cndmask_b32_e64 v17, v49, v48, s[22:23]
	v_cndmask_b32_e64 v18, v31, v30, s[22:23]
	v_add_u32_e32 v19, 1, v17
	v_add_u32_e32 v18, -1, v18
	v_min_u32_e32 v18, v19, v18
	v_lshl_add_u32 v18, v18, 1, v6
	ds_read_u16 v20, v18
	v_lshl_add_u32 v17, v17, 3, v4
	ds_read_b64 v[17:18], v17 offset:2048
	v_cndmask_b32_e64 v21, v19, v49, s[22:23]
	v_cndmask_b32_e64 v22, v48, v19, s[22:23]
	s_waitcnt lgkmcnt(1)
	v_cndmask_b32_e64 v37, v20, v32, s[22:23]
	v_cndmask_b32_e64 v38, v11, v20, s[22:23]
	v_cmp_lt_u32_e64 s[14:15], v21, v31
	s_mov_b64 s[24:25], -1
	s_mov_b64 s[16:17], -1
	s_and_saveexec_b64 s[26:27], s[14:15]
	s_cbranch_execz .LBB1866_66
; %bb.63:
	v_cmp_lt_u32_e64 s[14:15], v22, v30
	s_mov_b64 s[28:29], 0
	s_and_saveexec_b64 s[16:17], s[14:15]
	s_cbranch_execz .LBB1866_65
; %bb.64:
	v_add_f16_e32 v19, 0, v38
	v_add_f16_e32 v20, 0, v37
	v_mov_b32_e32 v23, 0xffff8000
	v_cmp_lt_i16_e64 s[14:15], -1, v19
	v_cndmask_b32_e64 v24, -1, v23, s[14:15]
	v_cmp_lt_i16_e64 s[14:15], -1, v20
	v_cndmask_b32_e64 v23, -1, v23, s[14:15]
	v_xor_b32_e32 v19, v24, v19
	v_xor_b32_e32 v20, v23, v20
	v_cmp_le_u16_e64 s[14:15], v19, v20
	s_and_b64 s[28:29], s[14:15], exec
.LBB1866_65:
	s_or_b64 exec, exec, s[16:17]
	s_orn2_b64 s[16:17], s[28:29], exec
.LBB1866_66:
	s_or_b64 exec, exec, s[26:27]
	v_cndmask_b32_e64 v19, v21, v22, s[16:17]
	v_cndmask_b32_e64 v20, v31, v30, s[16:17]
	v_add_u32_e32 v24, 1, v19
	v_add_u32_e32 v20, -1, v20
	v_min_u32_e32 v20, v24, v20
	v_lshl_add_u32 v20, v20, 1, v6
	ds_read_u16 v23, v20
	v_lshl_add_u32 v19, v19, 3, v4
	ds_read_b64 v[19:20], v19 offset:2048
	s_waitcnt lgkmcnt(1)
	v_cndmask_b32_e64 v39, v23, v37, s[16:17]
	v_cndmask_b32_e64 v48, v38, v23, s[16:17]
	;; [unrolled: 1-line block ×4, first 2 shown]
	v_cmp_lt_u32_e64 s[14:15], v23, v31
	s_and_saveexec_b64 s[26:27], s[14:15]
	s_cbranch_execz .LBB1866_70
; %bb.67:
	v_cmp_lt_u32_e64 s[14:15], v24, v30
	s_mov_b64 s[28:29], 0
	s_and_saveexec_b64 s[24:25], s[14:15]
	s_cbranch_execz .LBB1866_69
; %bb.68:
	v_add_f16_e32 v21, 0, v48
	v_add_f16_e32 v22, 0, v39
	v_mov_b32_e32 v49, 0xffff8000
	v_cmp_lt_i16_e64 s[14:15], -1, v21
	v_cndmask_b32_e64 v50, -1, v49, s[14:15]
	v_cmp_lt_i16_e64 s[14:15], -1, v22
	v_cndmask_b32_e64 v49, -1, v49, s[14:15]
	v_xor_b32_e32 v21, v50, v21
	v_xor_b32_e32 v22, v49, v22
	v_cmp_le_u16_e64 s[14:15], v21, v22
	s_and_b64 s[28:29], s[14:15], exec
.LBB1866_69:
	s_or_b64 exec, exec, s[24:25]
	s_orn2_b64 s[24:25], s[28:29], exec
.LBB1866_70:
	s_or_b64 exec, exec, s[26:27]
	v_cndmask_b32_e64 v21, v23, v24, s[24:25]
	v_cndmask_b32_e64 v22, v31, v30, s[24:25]
	v_add_u32_e32 v51, 1, v21
	v_add_u32_e32 v22, -1, v22
	v_min_u32_e32 v22, v51, v22
	v_lshl_add_u32 v22, v22, 1, v6
	ds_read_u16 v50, v22
	v_lshl_add_u32 v21, v21, 3, v4
	ds_read_b64 v[21:22], v21 offset:2048
	v_cndmask_b32_e64 v23, v51, v23, s[24:25]
	v_cndmask_b32_e64 v24, v24, v51, s[24:25]
	s_waitcnt lgkmcnt(1)
	v_cndmask_b32_e64 v49, v50, v39, s[24:25]
	v_cndmask_b32_e64 v50, v48, v50, s[24:25]
	v_cmp_lt_u32_e64 s[14:15], v23, v31
	s_mov_b64 s[28:29], -1
	s_and_saveexec_b64 s[26:27], s[14:15]
	s_cbranch_execz .LBB1866_74
; %bb.71:
	v_cmp_lt_u32_e64 s[14:15], v24, v30
	s_mov_b64 s[40:41], 0
	s_and_saveexec_b64 s[28:29], s[14:15]
	s_cbranch_execz .LBB1866_73
; %bb.72:
	v_add_f16_e32 v30, 0, v50
	v_add_f16_e32 v31, 0, v49
	v_mov_b32_e32 v51, 0xffff8000
	v_cmp_lt_i16_e64 s[14:15], -1, v30
	v_cndmask_b32_e64 v52, -1, v51, s[14:15]
	v_cmp_lt_i16_e64 s[14:15], -1, v31
	v_cndmask_b32_e64 v51, -1, v51, s[14:15]
	v_xor_b32_e32 v30, v52, v30
	v_xor_b32_e32 v31, v51, v31
	v_cmp_le_u16_e64 s[14:15], v30, v31
	s_and_b64 s[40:41], s[14:15], exec
.LBB1866_73:
	s_or_b64 exec, exec, s[28:29]
	s_orn2_b64 s[28:29], s[40:41], exec
.LBB1866_74:
	s_or_b64 exec, exec, s[26:27]
	v_cndmask_b32_e64 v23, v23, v24, s[28:29]
	v_lshl_add_u32 v23, v23, 3, v4
	ds_read_b64 v[23:24], v23 offset:2048
	v_cndmask_b32_e64 v39, v39, v48, s[24:25]
	v_cndmask_b32_e64 v37, v37, v38, s[16:17]
	;; [unrolled: 1-line block ×4, first 2 shown]
.LBB1866_75:
	s_or_b64 exec, exec, s[20:21]
	; wave barrier
	ds_write_b16 v7, v38
	ds_write_b64 v15, v[17:18]
	ds_write_b16 v16, v37
	ds_write_b64 v25, v[19:20]
	ds_write_b16 v26, v39
	s_waitcnt lgkmcnt(6)
	ds_write_b64 v27, v[21:22]
	ds_write_b16 v28, v11
	s_waitcnt lgkmcnt(7)
	ds_write_b64 v29, v[23:24]
	v_and_b32_e32 v16, 0x1e0, v36
	v_or_b32_e32 v7, 16, v16
	v_min_u32_e32 v7, v5, v7
	v_add_u32_e32 v15, 16, v7
	v_min_u32_e32 v15, v5, v15
	v_min_u32_e32 v5, v5, v12
	v_sub_u32_e32 v26, v7, v16
	v_sub_u32_e32 v25, v15, v7
	v_sub_u32_e64 v25, v5, v25 clamp
	v_min_u32_e32 v26, v5, v26
	v_cmp_lt_u32_e64 s[14:15], v25, v26
	; wave barrier
	s_and_saveexec_b64 s[16:17], s[14:15]
	s_cbranch_execz .LBB1866_79
; %bb.76:
	v_lshlrev_b32_e32 v27, 1, v16
	v_lshlrev_b32_e32 v28, 1, v7
	v_add_co_u32_e64 v27, s[14:15], v6, v27
	v_add_co_u32_e64 v28, s[14:15], v6, v28
	s_mov_b64 s[20:21], 0
	v_mov_b32_e32 v29, 0xffff8000
.LBB1866_77:                            ; =>This Inner Loop Header: Depth=1
	v_add_u32_e32 v30, v26, v25
	v_lshrrev_b32_e32 v31, 1, v30
	v_and_b32_e32 v30, -2, v30
	v_xad_u32 v32, v31, -1, v5
	v_add_u32_e32 v30, v27, v30
	ds_read_u16 v30, v30
	v_lshl_add_u32 v32, v32, 1, v28
	ds_read_u16 v32, v32
	v_add_u32_e32 v36, 1, v31
	s_waitcnt lgkmcnt(1)
	v_add_f16_e32 v30, 0, v30
	v_cmp_lt_i16_e64 s[14:15], -1, v30
	s_waitcnt lgkmcnt(0)
	v_add_f16_e32 v32, 0, v32
	v_cndmask_b32_e64 v48, -1, v29, s[14:15]
	v_cmp_lt_i16_e64 s[14:15], -1, v32
	v_xor_b32_e32 v30, v48, v30
	v_cndmask_b32_e64 v48, -1, v29, s[14:15]
	v_xor_b32_e32 v32, v48, v32
	v_cmp_gt_u16_e64 s[14:15], v30, v32
	v_cndmask_b32_e64 v26, v26, v31, s[14:15]
	v_cndmask_b32_e64 v25, v36, v25, s[14:15]
	v_cmp_ge_u32_e64 s[14:15], v25, v26
	s_or_b64 s[20:21], s[14:15], s[20:21]
	s_andn2_b64 exec, exec, s[20:21]
	s_cbranch_execnz .LBB1866_77
; %bb.78:
	s_or_b64 exec, exec, s[20:21]
.LBB1866_79:
	s_or_b64 exec, exec, s[16:17]
	v_add_u32_e32 v5, v7, v5
	v_add_u32_e32 v26, v25, v16
	v_sub_u32_e32 v27, v5, v25
	v_cmp_le_u32_e64 s[14:15], v26, v7
	v_cmp_le_u32_e64 s[16:17], v27, v15
	s_or_b64 s[14:15], s[14:15], s[16:17]
	s_and_saveexec_b64 s[20:21], s[14:15]
	s_cbranch_execz .LBB1866_99
; %bb.80:
	v_cmp_ge_u32_e64 s[14:15], v26, v7
	v_cmp_lt_u32_e64 s[16:17], v26, v7
                                        ; implicit-def: $vgpr5
	s_and_saveexec_b64 s[22:23], s[16:17]
; %bb.81:
	v_lshl_add_u32 v5, v26, 1, v6
	ds_read_u16 v5, v5
; %bb.82:
	s_or_b64 exec, exec, s[22:23]
	v_cmp_ge_u32_e64 s[22:23], v27, v15
	v_cmp_lt_u32_e64 s[16:17], v27, v15
                                        ; implicit-def: $vgpr11
	s_and_saveexec_b64 s[24:25], s[16:17]
; %bb.83:
	v_lshl_add_u32 v11, v27, 1, v6
	ds_read_u16 v11, v11
; %bb.84:
	s_or_b64 exec, exec, s[24:25]
	s_nor_b64 s[14:15], s[14:15], s[22:23]
	s_and_saveexec_b64 s[16:17], s[14:15]
	s_cbranch_execz .LBB1866_86
; %bb.85:
	s_waitcnt lgkmcnt(0)
	v_add_f16_e32 v16, 0, v5
	v_add_f16_e32 v17, 0, v11
	v_mov_b32_e32 v18, 0xffff8000
	v_cmp_lt_i16_e64 s[14:15], -1, v16
	v_cndmask_b32_e64 v19, -1, v18, s[14:15]
	v_cmp_lt_i16_e64 s[14:15], -1, v17
	v_cndmask_b32_e64 v18, -1, v18, s[14:15]
	v_xor_b32_e32 v16, v19, v16
	v_xor_b32_e32 v17, v18, v17
	v_cmp_le_u16_e64 s[14:15], v16, v17
	s_andn2_b64 s[22:23], s[22:23], exec
	s_and_b64 s[14:15], s[14:15], exec
	s_or_b64 s[22:23], s[22:23], s[14:15]
.LBB1866_86:
	s_or_b64 exec, exec, s[16:17]
	v_cndmask_b32_e64 v16, v27, v26, s[22:23]
	v_cndmask_b32_e64 v17, v15, v7, s[22:23]
	v_add_u32_e32 v19, 1, v16
	v_add_u32_e32 v17, -1, v17
	v_min_u32_e32 v17, v19, v17
	v_lshl_add_u32 v17, v17, 1, v6
	ds_read_u16 v20, v17
	v_lshl_add_u32 v16, v16, 3, v4
	ds_read_b64 v[17:18], v16 offset:2048
	v_cndmask_b32_e64 v21, v19, v27, s[22:23]
	v_cndmask_b32_e64 v22, v26, v19, s[22:23]
	s_waitcnt lgkmcnt(1)
	v_cndmask_b32_e64 v16, v20, v11, s[22:23]
	v_cndmask_b32_e64 v25, v5, v20, s[22:23]
	v_cmp_lt_u32_e64 s[14:15], v21, v15
	s_mov_b64 s[24:25], -1
	s_mov_b64 s[16:17], -1
	s_and_saveexec_b64 s[26:27], s[14:15]
	s_cbranch_execz .LBB1866_90
; %bb.87:
	v_cmp_lt_u32_e64 s[14:15], v22, v7
	s_mov_b64 s[28:29], 0
	s_and_saveexec_b64 s[16:17], s[14:15]
	s_cbranch_execz .LBB1866_89
; %bb.88:
	v_add_f16_e32 v19, 0, v25
	v_add_f16_e32 v20, 0, v16
	v_mov_b32_e32 v23, 0xffff8000
	v_cmp_lt_i16_e64 s[14:15], -1, v19
	v_cndmask_b32_e64 v24, -1, v23, s[14:15]
	v_cmp_lt_i16_e64 s[14:15], -1, v20
	v_cndmask_b32_e64 v23, -1, v23, s[14:15]
	v_xor_b32_e32 v19, v24, v19
	v_xor_b32_e32 v20, v23, v20
	v_cmp_le_u16_e64 s[14:15], v19, v20
	s_and_b64 s[28:29], s[14:15], exec
.LBB1866_89:
	s_or_b64 exec, exec, s[16:17]
	s_orn2_b64 s[16:17], s[28:29], exec
.LBB1866_90:
	s_or_b64 exec, exec, s[26:27]
	v_cndmask_b32_e64 v19, v21, v22, s[16:17]
	v_cndmask_b32_e64 v20, v15, v7, s[16:17]
	v_add_u32_e32 v24, 1, v19
	v_add_u32_e32 v20, -1, v20
	v_min_u32_e32 v20, v24, v20
	v_lshl_add_u32 v20, v20, 1, v6
	ds_read_u16 v23, v20
	v_lshl_add_u32 v19, v19, 3, v4
	ds_read_b64 v[19:20], v19 offset:2048
	s_waitcnt lgkmcnt(1)
	v_cndmask_b32_e64 v26, v23, v16, s[16:17]
	v_cndmask_b32_e64 v27, v25, v23, s[16:17]
	;; [unrolled: 1-line block ×4, first 2 shown]
	v_cmp_lt_u32_e64 s[14:15], v23, v15
	s_and_saveexec_b64 s[26:27], s[14:15]
	s_cbranch_execz .LBB1866_94
; %bb.91:
	v_cmp_lt_u32_e64 s[14:15], v24, v7
	s_mov_b64 s[28:29], 0
	s_and_saveexec_b64 s[24:25], s[14:15]
	s_cbranch_execz .LBB1866_93
; %bb.92:
	v_add_f16_e32 v21, 0, v27
	v_add_f16_e32 v22, 0, v26
	v_mov_b32_e32 v28, 0xffff8000
	v_cmp_lt_i16_e64 s[14:15], -1, v21
	v_cndmask_b32_e64 v29, -1, v28, s[14:15]
	v_cmp_lt_i16_e64 s[14:15], -1, v22
	v_cndmask_b32_e64 v28, -1, v28, s[14:15]
	v_xor_b32_e32 v21, v29, v21
	v_xor_b32_e32 v22, v28, v22
	v_cmp_le_u16_e64 s[14:15], v21, v22
	s_and_b64 s[28:29], s[14:15], exec
.LBB1866_93:
	s_or_b64 exec, exec, s[24:25]
	s_orn2_b64 s[24:25], s[28:29], exec
.LBB1866_94:
	s_or_b64 exec, exec, s[26:27]
	v_cndmask_b32_e64 v21, v23, v24, s[24:25]
	v_cndmask_b32_e64 v22, v15, v7, s[24:25]
	v_add_u32_e32 v29, 1, v21
	v_add_u32_e32 v22, -1, v22
	v_min_u32_e32 v22, v29, v22
	v_lshl_add_u32 v6, v22, 1, v6
	ds_read_u16 v28, v6
	v_lshl_add_u32 v6, v21, 3, v4
	ds_read_b64 v[21:22], v6 offset:2048
	v_cndmask_b32_e64 v23, v29, v23, s[24:25]
	v_cndmask_b32_e64 v24, v24, v29, s[24:25]
	s_waitcnt lgkmcnt(1)
	v_cndmask_b32_e64 v6, v28, v26, s[24:25]
	v_cndmask_b32_e64 v28, v27, v28, s[24:25]
	v_cmp_lt_u32_e64 s[14:15], v23, v15
	s_mov_b64 s[28:29], -1
	s_and_saveexec_b64 s[26:27], s[14:15]
	s_cbranch_execz .LBB1866_98
; %bb.95:
	v_cmp_lt_u32_e64 s[14:15], v24, v7
	s_mov_b64 s[40:41], 0
	s_and_saveexec_b64 s[28:29], s[14:15]
	s_cbranch_execz .LBB1866_97
; %bb.96:
	v_add_f16_e32 v7, 0, v28
	v_add_f16_e32 v15, 0, v6
	v_mov_b32_e32 v29, 0xffff8000
	v_cmp_lt_i16_e64 s[14:15], -1, v7
	v_cndmask_b32_e64 v30, -1, v29, s[14:15]
	v_cmp_lt_i16_e64 s[14:15], -1, v15
	v_cndmask_b32_e64 v29, -1, v29, s[14:15]
	v_xor_b32_e32 v7, v30, v7
	v_xor_b32_e32 v15, v29, v15
	v_cmp_le_u16_e64 s[14:15], v7, v15
	s_and_b64 s[40:41], s[14:15], exec
.LBB1866_97:
	s_or_b64 exec, exec, s[28:29]
	s_orn2_b64 s[28:29], s[40:41], exec
.LBB1866_98:
	s_or_b64 exec, exec, s[26:27]
	v_cndmask_b32_e64 v7, v23, v24, s[28:29]
	v_lshl_add_u32 v4, v7, 3, v4
	ds_read_b64 v[23:24], v4 offset:2048
	v_cndmask_b32_e64 v39, v26, v27, s[24:25]
	v_cndmask_b32_e64 v37, v16, v25, s[16:17]
	;; [unrolled: 1-line block ×4, first 2 shown]
.LBB1866_99:
	s_or_b64 exec, exec, s[20:21]
	v_add_co_u32_e64 v2, s[14:15], v2, v33
	v_addc_co_u32_e64 v3, s[14:15], v3, v34, s[14:15]
	v_add_co_u32_e64 v2, s[14:15], v2, v35
	v_addc_co_u32_e64 v3, s[14:15], 0, v3, s[14:15]
	; wave barrier
	s_waitcnt lgkmcnt(0)
	s_barrier
	; wave barrier
	s_and_saveexec_b64 s[14:15], vcc
	s_cbranch_execnz .LBB1866_218
; %bb.100:
	s_or_b64 exec, exec, s[14:15]
	s_and_saveexec_b64 s[14:15], s[4:5]
	s_cbranch_execnz .LBB1866_219
.LBB1866_101:
	s_or_b64 exec, exec, s[14:15]
	s_and_saveexec_b64 s[14:15], s[6:7]
	s_cbranch_execnz .LBB1866_220
.LBB1866_102:
	s_or_b64 exec, exec, s[14:15]
	s_and_saveexec_b64 s[14:15], s[10:11]
	s_cbranch_execz .LBB1866_104
.LBB1866_103:
	flat_store_short v[2:3], v11 offset:6
.LBB1866_104:
	s_or_b64 exec, exec, s[14:15]
	v_add_co_u32_e64 v0, s[14:15], v8, v0
	v_addc_co_u32_e64 v1, s[14:15], v9, v1, s[14:15]
	v_add_co_u32_e64 v0, s[14:15], v0, v10
	v_addc_co_u32_e64 v1, s[14:15], 0, v1, s[14:15]
	; wave barrier
	s_and_saveexec_b64 s[14:15], vcc
	s_cbranch_execnz .LBB1866_221
; %bb.105:
	s_or_b64 exec, exec, s[14:15]
	s_and_saveexec_b64 s[14:15], s[4:5]
	s_cbranch_execnz .LBB1866_222
.LBB1866_106:
	s_or_b64 exec, exec, s[14:15]
	s_and_saveexec_b64 s[4:5], s[6:7]
	s_cbranch_execz .LBB1866_108
.LBB1866_107:
	flat_store_dwordx2 v[0:1], v[21:22] offset:16
.LBB1866_108:
	s_or_b64 exec, exec, s[4:5]
	s_and_b64 s[16:17], s[10:11], exec
                                        ; implicit-def: $vgpr25
                                        ; implicit-def: $vgpr36
                                        ; implicit-def: $vgpr0_vgpr1
                                        ; implicit-def: $vgpr4
                                        ; implicit-def: $vgpr5
                                        ; implicit-def: $vgpr6
                                        ; implicit-def: $vgpr7
                                        ; implicit-def: $vgpr10
                                        ; implicit-def: $vgpr15
                                        ; implicit-def: $vgpr16
                                        ; implicit-def: $vgpr33_vgpr34
                                        ; implicit-def: $vgpr35
                                        ; implicit-def: $vgpr31
	s_andn2_saveexec_b64 s[18:19], s[18:19]
	s_cbranch_execz .LBB1866_2
.LBB1866_109:
	v_mov_b32_e32 v37, 0x7fff
	v_mov_b32_e32 v38, 0x7fff
	s_and_saveexec_b64 s[4:5], vcc
	s_cbranch_execz .LBB1866_111
; %bb.110:
	flat_load_ushort v38, v[0:1]
.LBB1866_111:
	s_or_b64 exec, exec, s[4:5]
	v_or_b32_e32 v2, 1, v12
	v_cmp_lt_u32_e64 s[4:5], v2, v25
	s_and_saveexec_b64 s[6:7], s[4:5]
	s_cbranch_execz .LBB1866_113
; %bb.112:
	flat_load_ushort v37, v[0:1] offset:2
.LBB1866_113:
	s_or_b64 exec, exec, s[6:7]
	v_or_b32_e32 v2, 2, v12
	v_cmp_lt_u32_e64 s[6:7], v2, v25
	v_mov_b32_e32 v9, 0x7fff
	v_mov_b32_e32 v39, 0x7fff
	s_and_saveexec_b64 s[10:11], s[6:7]
	s_cbranch_execz .LBB1866_115
; %bb.114:
	flat_load_ushort v39, v[0:1] offset:4
.LBB1866_115:
	s_or_b64 exec, exec, s[10:11]
	v_or_b32_e32 v2, 3, v12
	v_cmp_lt_u32_e64 s[10:11], v2, v25
	s_and_saveexec_b64 s[14:15], s[10:11]
	s_cbranch_execz .LBB1866_117
; %bb.116:
	flat_load_ushort v9, v[0:1] offset:6
.LBB1866_117:
	s_or_b64 exec, exec, s[14:15]
	v_lshlrev_b64 v[0:1], 3, v[13:14]
	v_lshlrev_b32_e32 v8, 3, v12
	v_add_co_u32_e64 v2, s[14:15], v6, v0
	v_addc_co_u32_e64 v3, s[14:15], v7, v1, s[14:15]
	v_mov_b32_e32 v17, 0
	v_add_co_u32_e64 v2, s[14:15], v2, v8
	v_addc_co_u32_e64 v3, s[14:15], 0, v3, s[14:15]
	v_mov_b32_e32 v18, v17
	v_mov_b32_e32 v19, v17
	;; [unrolled: 1-line block ×7, first 2 shown]
	; wave barrier
	s_and_saveexec_b64 s[14:15], vcc
	s_cbranch_execnz .LBB1866_223
; %bb.118:
	s_or_b64 exec, exec, s[14:15]
	s_and_saveexec_b64 s[14:15], s[4:5]
	s_cbranch_execnz .LBB1866_224
.LBB1866_119:
	s_or_b64 exec, exec, s[14:15]
	s_and_saveexec_b64 s[14:15], s[6:7]
	s_cbranch_execnz .LBB1866_225
.LBB1866_120:
	s_or_b64 exec, exec, s[14:15]
	s_and_saveexec_b64 s[14:15], s[10:11]
	s_cbranch_execz .LBB1866_122
.LBB1866_121:
	flat_load_dwordx2 v[23:24], v[2:3] offset:24
.LBB1866_122:
	s_or_b64 exec, exec, s[14:15]
	; wave barrier
	s_load_dwordx2 s[14:15], s[8:9], 0x0
	v_mov_b32_e32 v2, 0
	v_bfe_u32 v7, v31, 20, 10
	s_waitcnt lgkmcnt(0)
	s_cmp_lt_u32 s13, s15
	s_cselect_b32 s13, 14, 20
	s_add_u32 s20, s8, s13
	s_addc_u32 s21, s9, 0
	s_cmp_lt_u32 s12, s14
	s_cselect_b32 s12, 12, 18
	s_add_u32 s8, s8, s12
	s_addc_u32 s9, s9, 0
	global_load_ushort v3, v2, s[20:21]
	global_load_ushort v6, v2, s[8:9]
	v_bfe_u32 v2, v31, 10, 10
	s_movk_i32 s8, 0x400
	s_waitcnt vmcnt(0)
	v_mad_u32_u24 v2, v7, v3, v2
	v_mul_lo_u32 v2, v2, v6
	v_and_b32_e32 v3, 0x3ff, v31
	v_add_lshl_u32 v2, v2, v3, 2
	v_cmp_gt_u32_e64 s[8:9], s8, v2
	s_and_saveexec_b64 s[14:15], s[8:9]
	s_cbranch_execz .LBB1866_132
; %bb.123:
	v_add_f16_e32 v3, 0, v38
	v_add_f16_e32 v7, 0, v37
	v_mov_b32_e32 v6, 0xffff8000
	v_cmp_lt_i16_e64 s[8:9], -1, v3
	v_cndmask_b32_e64 v25, -1, v6, s[8:9]
	v_cmp_lt_i16_e64 s[8:9], -1, v7
	v_xor_b32_e32 v3, v25, v3
	v_cndmask_b32_e64 v25, -1, v6, s[8:9]
	v_xor_b32_e32 v7, v25, v7
	v_cmp_gt_u16_e64 s[8:9], v3, v7
	v_add_f16_e32 v7, 0, v39
	v_cndmask_b32_e64 v28, v20, v18, s[8:9]
	v_cndmask_b32_e64 v26, v18, v20, s[8:9]
	v_add_f16_e32 v18, 0, v9
	v_cmp_lt_i16_e64 s[12:13], -1, v7
	v_cndmask_b32_e64 v3, -1, v6, s[12:13]
	v_cmp_lt_i16_e64 s[12:13], -1, v18
	v_cndmask_b32_e64 v27, v19, v17, s[8:9]
	v_cndmask_b32_e64 v25, v17, v19, s[8:9]
	v_xor_b32_e32 v17, v3, v7
	v_cndmask_b32_e64 v3, -1, v6, s[12:13]
	v_xor_b32_e32 v19, v3, v18
	v_mov_b32_e32 v30, v22
	v_mov_b32_e32 v32, v24
	v_cmp_gt_u16_e64 s[12:13], v17, v19
	v_mov_b32_e32 v3, v39
	v_mov_b32_e32 v29, v21
	;; [unrolled: 1-line block ×3, first 2 shown]
	s_and_saveexec_b64 s[20:21], s[12:13]
; %bb.124:
	v_mov_b32_e32 v30, v24
	v_mov_b32_e32 v32, v22
	;; [unrolled: 1-line block ×8, first 2 shown]
; %bb.125:
	s_or_b64 exec, exec, s[20:21]
	v_cndmask_b32_e64 v18, v37, v38, s[8:9]
	v_add_f16_e32 v19, 0, v18
	v_cmp_lt_i16_e64 s[12:13], -1, v19
	v_cndmask_b32_e64 v6, -1, v6, s[12:13]
	v_xor_b32_e32 v6, v6, v19
	v_cmp_gt_u16_e64 s[12:13], v6, v17
	v_mov_b32_e32 v39, v7
	v_mov_b32_e32 v6, v18
	s_and_saveexec_b64 s[20:21], s[12:13]
	s_xor_b64 s[12:13], exec, s[20:21]
	s_cbranch_execz .LBB1866_127
; %bb.126:
	v_mov_b32_e32 v55, v32
	v_mov_b32_e32 v54, v31
	v_mov_b32_e32 v53, v30
	v_mov_b32_e32 v52, v29
	v_mov_b32_e32 v51, v28
	v_mov_b32_e32 v50, v27
	v_mov_b32_e32 v48, v25
	v_mov_b32_e32 v49, v26
	v_mov_b32_e32 v50, v29
	v_mov_b32_e32 v51, v30
	v_mov_b32_e32 v52, v27
	v_mov_b32_e32 v53, v28
	v_mov_b32_e32 v54, v31
	v_mov_b32_e32 v55, v32
	v_mov_b32_e32 v25, v48
	v_mov_b32_e32 v26, v49
	v_mov_b32_e32 v27, v50
	v_mov_b32_e32 v28, v51
	v_mov_b32_e32 v29, v52
	v_mov_b32_e32 v30, v53
	v_mov_b32_e32 v31, v54
	v_mov_b32_e32 v32, v55
	v_mov_b32_e32 v39, v19
	v_mov_b32_e32 v6, v3
	v_mov_b32_e32 v3, v18
	v_mov_b32_e32 v19, v7
.LBB1866_127:
	s_or_b64 exec, exec, s[12:13]
	v_cndmask_b32_e64 v7, v38, v37, s[8:9]
	v_add_f16_e32 v17, 0, v7
	v_mov_b32_e32 v38, 0xffff8000
	v_cmp_lt_i16_e64 s[8:9], -1, v17
	v_cndmask_b32_e64 v18, -1, v38, s[8:9]
	v_cmp_lt_i16_e64 s[8:9], -1, v19
	v_xor_b32_e32 v17, v18, v17
	v_cndmask_b32_e64 v18, -1, v38, s[8:9]
	v_xor_b32_e32 v18, v18, v19
	v_cmp_gt_u16_e64 s[8:9], v17, v18
	v_cndmask_b32_e64 v19, v27, v25, s[8:9]
	v_cndmask_b32_e64 v17, v25, v27, s[8:9]
	v_add_f16_e32 v25, 0, v9
	v_cmp_lt_i16_e64 s[12:13], -1, v39
	v_cndmask_b32_e64 v20, v28, v26, s[8:9]
	v_cndmask_b32_e64 v18, v26, v28, s[8:9]
	v_cndmask_b32_e64 v26, -1, v38, s[12:13]
	v_cmp_lt_i16_e64 s[12:13], -1, v25
	v_cndmask_b32_e64 v27, -1, v38, s[12:13]
	v_xor_b32_e32 v26, v26, v39
	v_xor_b32_e32 v27, v27, v25
	v_mov_b32_e32 v21, v29
	v_mov_b32_e32 v22, v30
	;; [unrolled: 1-line block ×4, first 2 shown]
	v_cmp_gt_u16_e64 s[12:13], v26, v27
	v_mov_b32_e32 v25, v3
	s_and_saveexec_b64 s[20:21], s[12:13]
; %bb.128:
	v_mov_b32_e32 v21, v31
	v_mov_b32_e32 v22, v32
	;; [unrolled: 1-line block ×7, first 2 shown]
; %bb.129:
	s_or_b64 exec, exec, s[20:21]
	v_cndmask_b32_e64 v37, v6, v7, s[8:9]
	v_add_f16_e32 v3, 0, v37
	v_cmp_lt_i16_e64 s[12:13], -1, v3
	v_cndmask_b32_e64 v27, -1, v38, s[12:13]
	v_xor_b32_e32 v3, v27, v3
	v_cmp_gt_u16_e64 s[12:13], v3, v26
	v_mov_b32_e32 v39, v25
	s_and_saveexec_b64 s[20:21], s[12:13]
	s_cbranch_execz .LBB1866_131
; %bb.130:
	v_mov_b32_e32 v48, v17
	v_mov_b32_e32 v49, v18
	;; [unrolled: 1-line block ×18, first 2 shown]
.LBB1866_131:
	s_or_b64 exec, exec, s[20:21]
	v_cndmask_b32_e64 v38, v7, v6, s[8:9]
.LBB1866_132:
	s_or_b64 exec, exec, s[14:15]
	v_and_b32_e32 v25, 0xffffff00, v2
	v_mov_b32_e32 v26, 0
	v_lshlrev_b64 v[2:3], 1, v[25:26]
	s_movk_i32 s12, 0x400
	v_add_co_u32_e64 v6, s[8:9], v15, v2
	v_addc_co_u32_e64 v7, s[8:9], v16, v3, s[8:9]
	v_mad_u64_u32 v[2:3], s[8:9], v25, 6, v[6:7]
	v_sub_u32_e64 v3, s12, v25 clamp
	v_or_b32_e32 v15, 4, v36
	v_min_u32_e32 v30, v3, v15
	v_add_u32_e32 v15, 4, v30
	v_and_b32_e32 v32, 0x1f8, v36
	v_min_u32_e32 v31, v3, v15
	v_and_b32_e32 v15, 4, v36
	v_min_u32_e32 v49, v3, v15
	v_sub_u32_e32 v15, v30, v32
	v_sub_u32_e32 v16, v31, v30
	v_sub_u32_e64 v50, v49, v16 clamp
	v_min_u32_e32 v15, v49, v15
	v_lshl_add_u32 v7, v36, 1, v6
	v_lshl_add_u32 v29, v36, 3, v2
	v_cmp_lt_u32_e64 s[8:9], v50, v15
	ds_write_b16 v7, v38
	ds_write_b64 v29, v[17:18] offset:2048
	ds_write_b16 v7, v37 offset:2
	ds_write_b64 v29, v[19:20] offset:2056
	ds_write_b16 v7, v39 offset:4
	;; [unrolled: 2-line block ×3, first 2 shown]
	ds_write_b64 v29, v[23:24] offset:2072
	; wave barrier
	s_and_saveexec_b64 s[12:13], s[8:9]
	s_cbranch_execz .LBB1866_136
; %bb.133:
	v_lshlrev_b32_e32 v16, 1, v32
	v_lshlrev_b32_e32 v25, 1, v30
	v_add_co_u32_e64 v16, s[8:9], v6, v16
	v_add_co_u32_e64 v25, s[8:9], v6, v25
	s_mov_b64 s[14:15], 0
	v_mov_b32_e32 v26, 0xffff8000
.LBB1866_134:                           ; =>This Inner Loop Header: Depth=1
	v_add_u32_e32 v27, v15, v50
	v_lshrrev_b32_e32 v28, 1, v27
	v_and_b32_e32 v27, -2, v27
	v_xad_u32 v48, v28, -1, v49
	v_add_u32_e32 v27, v16, v27
	ds_read_u16 v27, v27
	v_lshl_add_u32 v48, v48, 1, v25
	ds_read_u16 v48, v48
	v_add_u32_e32 v51, 1, v28
	s_waitcnt lgkmcnt(1)
	v_add_f16_e32 v27, 0, v27
	v_cmp_lt_i16_e64 s[8:9], -1, v27
	s_waitcnt lgkmcnt(0)
	v_add_f16_e32 v48, 0, v48
	v_cndmask_b32_e64 v52, -1, v26, s[8:9]
	v_cmp_lt_i16_e64 s[8:9], -1, v48
	v_xor_b32_e32 v27, v52, v27
	v_cndmask_b32_e64 v52, -1, v26, s[8:9]
	v_xor_b32_e32 v48, v52, v48
	v_cmp_gt_u16_e64 s[8:9], v27, v48
	v_cndmask_b32_e64 v15, v15, v28, s[8:9]
	v_cndmask_b32_e64 v50, v51, v50, s[8:9]
	v_cmp_ge_u32_e64 s[8:9], v50, v15
	s_or_b64 s[14:15], s[8:9], s[14:15]
	s_andn2_b64 exec, exec, s[14:15]
	s_cbranch_execnz .LBB1866_134
; %bb.135:
	s_or_b64 exec, exec, s[14:15]
.LBB1866_136:
	s_or_b64 exec, exec, s[12:13]
	v_add_u32_e32 v48, v50, v32
	v_add_u32_e32 v32, v30, v49
	v_sub_u32_e32 v49, v32, v50
	v_cmp_le_u32_e64 s[8:9], v48, v30
	v_cmp_le_u32_e64 s[12:13], v49, v31
	v_add_u32_e32 v15, 0x800, v29
	v_add_u32_e32 v16, 2, v7
	;; [unrolled: 1-line block ×7, first 2 shown]
	s_or_b64 s[8:9], s[8:9], s[12:13]
	s_and_saveexec_b64 s[14:15], s[8:9]
	s_cbranch_execz .LBB1866_156
; %bb.137:
	v_cmp_ge_u32_e64 s[8:9], v48, v30
	v_cmp_lt_u32_e64 s[12:13], v48, v30
                                        ; implicit-def: $vgpr9
	s_and_saveexec_b64 s[20:21], s[12:13]
; %bb.138:
	v_lshl_add_u32 v9, v48, 1, v6
	ds_read_u16 v9, v9
; %bb.139:
	s_or_b64 exec, exec, s[20:21]
	v_cmp_ge_u32_e64 s[20:21], v49, v31
	v_cmp_lt_u32_e64 s[12:13], v49, v31
                                        ; implicit-def: $vgpr32
	s_and_saveexec_b64 s[22:23], s[12:13]
; %bb.140:
	v_lshl_add_u32 v17, v49, 1, v6
	ds_read_u16 v32, v17
; %bb.141:
	s_or_b64 exec, exec, s[22:23]
	s_nor_b64 s[8:9], s[8:9], s[20:21]
	s_and_saveexec_b64 s[12:13], s[8:9]
	s_cbranch_execz .LBB1866_143
; %bb.142:
	s_waitcnt lgkmcnt(0)
	v_add_f16_e32 v17, 0, v9
	v_add_f16_e32 v18, 0, v32
	v_mov_b32_e32 v19, 0xffff8000
	v_cmp_lt_i16_e64 s[8:9], -1, v17
	v_cndmask_b32_e64 v20, -1, v19, s[8:9]
	v_cmp_lt_i16_e64 s[8:9], -1, v18
	v_cndmask_b32_e64 v19, -1, v19, s[8:9]
	v_xor_b32_e32 v17, v20, v17
	v_xor_b32_e32 v18, v19, v18
	v_cmp_le_u16_e64 s[8:9], v17, v18
	s_andn2_b64 s[20:21], s[20:21], exec
	s_and_b64 s[8:9], s[8:9], exec
	s_or_b64 s[20:21], s[20:21], s[8:9]
.LBB1866_143:
	s_or_b64 exec, exec, s[12:13]
	v_cndmask_b32_e64 v17, v49, v48, s[20:21]
	v_cndmask_b32_e64 v18, v31, v30, s[20:21]
	v_add_u32_e32 v19, 1, v17
	v_add_u32_e32 v18, -1, v18
	v_min_u32_e32 v18, v19, v18
	v_lshl_add_u32 v18, v18, 1, v6
	ds_read_u16 v20, v18
	v_lshl_add_u32 v17, v17, 3, v2
	ds_read_b64 v[17:18], v17 offset:2048
	v_cndmask_b32_e64 v21, v19, v49, s[20:21]
	v_cndmask_b32_e64 v22, v48, v19, s[20:21]
	s_waitcnt lgkmcnt(1)
	v_cndmask_b32_e64 v37, v20, v32, s[20:21]
	v_cndmask_b32_e64 v38, v9, v20, s[20:21]
	v_cmp_lt_u32_e64 s[8:9], v21, v31
	s_mov_b64 s[22:23], -1
	s_mov_b64 s[12:13], -1
	s_and_saveexec_b64 s[24:25], s[8:9]
	s_cbranch_execz .LBB1866_147
; %bb.144:
	v_cmp_lt_u32_e64 s[8:9], v22, v30
	s_mov_b64 s[26:27], 0
	s_and_saveexec_b64 s[12:13], s[8:9]
	s_cbranch_execz .LBB1866_146
; %bb.145:
	v_add_f16_e32 v19, 0, v38
	v_add_f16_e32 v20, 0, v37
	v_mov_b32_e32 v23, 0xffff8000
	v_cmp_lt_i16_e64 s[8:9], -1, v19
	v_cndmask_b32_e64 v24, -1, v23, s[8:9]
	v_cmp_lt_i16_e64 s[8:9], -1, v20
	v_cndmask_b32_e64 v23, -1, v23, s[8:9]
	v_xor_b32_e32 v19, v24, v19
	v_xor_b32_e32 v20, v23, v20
	v_cmp_le_u16_e64 s[8:9], v19, v20
	s_and_b64 s[26:27], s[8:9], exec
.LBB1866_146:
	s_or_b64 exec, exec, s[12:13]
	s_orn2_b64 s[12:13], s[26:27], exec
.LBB1866_147:
	s_or_b64 exec, exec, s[24:25]
	v_cndmask_b32_e64 v19, v21, v22, s[12:13]
	v_cndmask_b32_e64 v20, v31, v30, s[12:13]
	v_add_u32_e32 v24, 1, v19
	v_add_u32_e32 v20, -1, v20
	v_min_u32_e32 v20, v24, v20
	v_lshl_add_u32 v20, v20, 1, v6
	ds_read_u16 v23, v20
	v_lshl_add_u32 v19, v19, 3, v2
	ds_read_b64 v[19:20], v19 offset:2048
	s_waitcnt lgkmcnt(1)
	v_cndmask_b32_e64 v39, v23, v37, s[12:13]
	v_cndmask_b32_e64 v48, v38, v23, s[12:13]
	;; [unrolled: 1-line block ×4, first 2 shown]
	v_cmp_lt_u32_e64 s[8:9], v23, v31
	s_and_saveexec_b64 s[24:25], s[8:9]
	s_cbranch_execz .LBB1866_151
; %bb.148:
	v_cmp_lt_u32_e64 s[8:9], v24, v30
	s_mov_b64 s[26:27], 0
	s_and_saveexec_b64 s[22:23], s[8:9]
	s_cbranch_execz .LBB1866_150
; %bb.149:
	v_add_f16_e32 v21, 0, v48
	v_add_f16_e32 v22, 0, v39
	v_mov_b32_e32 v49, 0xffff8000
	v_cmp_lt_i16_e64 s[8:9], -1, v21
	v_cndmask_b32_e64 v50, -1, v49, s[8:9]
	v_cmp_lt_i16_e64 s[8:9], -1, v22
	v_cndmask_b32_e64 v49, -1, v49, s[8:9]
	v_xor_b32_e32 v21, v50, v21
	v_xor_b32_e32 v22, v49, v22
	v_cmp_le_u16_e64 s[8:9], v21, v22
	s_and_b64 s[26:27], s[8:9], exec
.LBB1866_150:
	s_or_b64 exec, exec, s[22:23]
	s_orn2_b64 s[22:23], s[26:27], exec
.LBB1866_151:
	s_or_b64 exec, exec, s[24:25]
	v_cndmask_b32_e64 v21, v23, v24, s[22:23]
	v_cndmask_b32_e64 v22, v31, v30, s[22:23]
	v_add_u32_e32 v51, 1, v21
	v_add_u32_e32 v22, -1, v22
	v_min_u32_e32 v22, v51, v22
	v_lshl_add_u32 v22, v22, 1, v6
	ds_read_u16 v50, v22
	v_lshl_add_u32 v21, v21, 3, v2
	ds_read_b64 v[21:22], v21 offset:2048
	v_cndmask_b32_e64 v23, v51, v23, s[22:23]
	v_cndmask_b32_e64 v24, v24, v51, s[22:23]
	s_waitcnt lgkmcnt(1)
	v_cndmask_b32_e64 v49, v50, v39, s[22:23]
	v_cndmask_b32_e64 v50, v48, v50, s[22:23]
	v_cmp_lt_u32_e64 s[8:9], v23, v31
	s_mov_b64 s[26:27], -1
	s_and_saveexec_b64 s[24:25], s[8:9]
	s_cbranch_execz .LBB1866_155
; %bb.152:
	v_cmp_lt_u32_e64 s[8:9], v24, v30
	s_mov_b64 s[28:29], 0
	s_and_saveexec_b64 s[26:27], s[8:9]
	s_cbranch_execz .LBB1866_154
; %bb.153:
	v_add_f16_e32 v30, 0, v50
	v_add_f16_e32 v31, 0, v49
	v_mov_b32_e32 v51, 0xffff8000
	v_cmp_lt_i16_e64 s[8:9], -1, v30
	v_cndmask_b32_e64 v52, -1, v51, s[8:9]
	v_cmp_lt_i16_e64 s[8:9], -1, v31
	v_cndmask_b32_e64 v51, -1, v51, s[8:9]
	v_xor_b32_e32 v30, v52, v30
	v_xor_b32_e32 v31, v51, v31
	v_cmp_le_u16_e64 s[8:9], v30, v31
	s_and_b64 s[28:29], s[8:9], exec
.LBB1866_154:
	s_or_b64 exec, exec, s[26:27]
	s_orn2_b64 s[26:27], s[28:29], exec
.LBB1866_155:
	s_or_b64 exec, exec, s[24:25]
	v_cndmask_b32_e64 v23, v23, v24, s[26:27]
	v_lshl_add_u32 v23, v23, 3, v2
	ds_read_b64 v[23:24], v23 offset:2048
	v_cndmask_b32_e64 v39, v39, v48, s[22:23]
	v_cndmask_b32_e64 v37, v37, v38, s[12:13]
	;; [unrolled: 1-line block ×4, first 2 shown]
.LBB1866_156:
	s_or_b64 exec, exec, s[14:15]
	v_and_b32_e32 v32, 0x1f0, v36
	v_or_b32_e32 v30, 8, v32
	v_min_u32_e32 v30, v3, v30
	v_add_u32_e32 v31, 8, v30
	v_min_u32_e32 v31, v3, v31
	v_and_b32_e32 v48, 12, v36
	v_min_u32_e32 v49, v3, v48
	v_sub_u32_e32 v48, v30, v32
	v_sub_u32_e32 v50, v31, v30
	v_sub_u32_e64 v50, v49, v50 clamp
	v_min_u32_e32 v48, v49, v48
	v_cmp_lt_u32_e64 s[8:9], v50, v48
	; wave barrier
	ds_write_b16 v7, v38
	ds_write_b64 v15, v[17:18]
	ds_write_b16 v16, v37
	ds_write_b64 v25, v[19:20]
	ds_write_b16 v26, v39
	s_waitcnt lgkmcnt(6)
	ds_write_b64 v27, v[21:22]
	ds_write_b16 v28, v9
	s_waitcnt lgkmcnt(7)
	ds_write_b64 v29, v[23:24]
	; wave barrier
	s_and_saveexec_b64 s[12:13], s[8:9]
	s_cbranch_execz .LBB1866_160
; %bb.157:
	v_lshlrev_b32_e32 v51, 1, v32
	v_lshlrev_b32_e32 v52, 1, v30
	v_add_co_u32_e64 v51, s[8:9], v6, v51
	v_add_co_u32_e64 v52, s[8:9], v6, v52
	s_mov_b64 s[14:15], 0
	v_mov_b32_e32 v53, 0xffff8000
.LBB1866_158:                           ; =>This Inner Loop Header: Depth=1
	v_add_u32_e32 v54, v48, v50
	v_lshrrev_b32_e32 v55, 1, v54
	v_and_b32_e32 v54, -2, v54
	v_xad_u32 v64, v55, -1, v49
	v_add_u32_e32 v54, v51, v54
	ds_read_u16 v54, v54
	v_lshl_add_u32 v64, v64, 1, v52
	ds_read_u16 v64, v64
	v_add_u32_e32 v65, 1, v55
	s_waitcnt lgkmcnt(1)
	v_add_f16_e32 v54, 0, v54
	v_cmp_lt_i16_e64 s[8:9], -1, v54
	s_waitcnt lgkmcnt(0)
	v_add_f16_e32 v64, 0, v64
	v_cndmask_b32_e64 v66, -1, v53, s[8:9]
	v_cmp_lt_i16_e64 s[8:9], -1, v64
	v_xor_b32_e32 v54, v66, v54
	v_cndmask_b32_e64 v66, -1, v53, s[8:9]
	v_xor_b32_e32 v64, v66, v64
	v_cmp_gt_u16_e64 s[8:9], v54, v64
	v_cndmask_b32_e64 v48, v48, v55, s[8:9]
	v_cndmask_b32_e64 v50, v65, v50, s[8:9]
	v_cmp_ge_u32_e64 s[8:9], v50, v48
	s_or_b64 s[14:15], s[8:9], s[14:15]
	s_andn2_b64 exec, exec, s[14:15]
	s_cbranch_execnz .LBB1866_158
; %bb.159:
	s_or_b64 exec, exec, s[14:15]
.LBB1866_160:
	s_or_b64 exec, exec, s[12:13]
	v_add_u32_e32 v48, v50, v32
	v_add_u32_e32 v32, v30, v49
	v_sub_u32_e32 v49, v32, v50
	v_cmp_le_u32_e64 s[8:9], v48, v30
	v_cmp_le_u32_e64 s[12:13], v49, v31
	s_or_b64 s[8:9], s[8:9], s[12:13]
	s_and_saveexec_b64 s[14:15], s[8:9]
	s_cbranch_execz .LBB1866_180
; %bb.161:
	v_cmp_ge_u32_e64 s[8:9], v48, v30
	v_cmp_lt_u32_e64 s[12:13], v48, v30
                                        ; implicit-def: $vgpr9
	s_and_saveexec_b64 s[20:21], s[12:13]
; %bb.162:
	v_lshl_add_u32 v9, v48, 1, v6
	ds_read_u16 v9, v9
; %bb.163:
	s_or_b64 exec, exec, s[20:21]
	v_cmp_ge_u32_e64 s[20:21], v49, v31
	v_cmp_lt_u32_e64 s[12:13], v49, v31
                                        ; implicit-def: $vgpr32
	s_and_saveexec_b64 s[22:23], s[12:13]
; %bb.164:
	v_lshl_add_u32 v17, v49, 1, v6
	ds_read_u16 v32, v17
; %bb.165:
	s_or_b64 exec, exec, s[22:23]
	s_nor_b64 s[8:9], s[8:9], s[20:21]
	s_and_saveexec_b64 s[12:13], s[8:9]
	s_cbranch_execz .LBB1866_167
; %bb.166:
	s_waitcnt lgkmcnt(0)
	v_add_f16_e32 v17, 0, v9
	v_add_f16_e32 v18, 0, v32
	v_mov_b32_e32 v19, 0xffff8000
	v_cmp_lt_i16_e64 s[8:9], -1, v17
	v_cndmask_b32_e64 v20, -1, v19, s[8:9]
	v_cmp_lt_i16_e64 s[8:9], -1, v18
	v_cndmask_b32_e64 v19, -1, v19, s[8:9]
	v_xor_b32_e32 v17, v20, v17
	v_xor_b32_e32 v18, v19, v18
	v_cmp_le_u16_e64 s[8:9], v17, v18
	s_andn2_b64 s[20:21], s[20:21], exec
	s_and_b64 s[8:9], s[8:9], exec
	s_or_b64 s[20:21], s[20:21], s[8:9]
.LBB1866_167:
	s_or_b64 exec, exec, s[12:13]
	v_cndmask_b32_e64 v17, v49, v48, s[20:21]
	v_cndmask_b32_e64 v18, v31, v30, s[20:21]
	v_add_u32_e32 v19, 1, v17
	v_add_u32_e32 v18, -1, v18
	v_min_u32_e32 v18, v19, v18
	v_lshl_add_u32 v18, v18, 1, v6
	ds_read_u16 v20, v18
	v_lshl_add_u32 v17, v17, 3, v2
	ds_read_b64 v[17:18], v17 offset:2048
	v_cndmask_b32_e64 v21, v19, v49, s[20:21]
	v_cndmask_b32_e64 v22, v48, v19, s[20:21]
	s_waitcnt lgkmcnt(1)
	v_cndmask_b32_e64 v37, v20, v32, s[20:21]
	v_cndmask_b32_e64 v38, v9, v20, s[20:21]
	v_cmp_lt_u32_e64 s[8:9], v21, v31
	s_mov_b64 s[22:23], -1
	s_mov_b64 s[12:13], -1
	s_and_saveexec_b64 s[24:25], s[8:9]
	s_cbranch_execz .LBB1866_171
; %bb.168:
	v_cmp_lt_u32_e64 s[8:9], v22, v30
	s_mov_b64 s[26:27], 0
	s_and_saveexec_b64 s[12:13], s[8:9]
	s_cbranch_execz .LBB1866_170
; %bb.169:
	v_add_f16_e32 v19, 0, v38
	v_add_f16_e32 v20, 0, v37
	v_mov_b32_e32 v23, 0xffff8000
	v_cmp_lt_i16_e64 s[8:9], -1, v19
	v_cndmask_b32_e64 v24, -1, v23, s[8:9]
	v_cmp_lt_i16_e64 s[8:9], -1, v20
	v_cndmask_b32_e64 v23, -1, v23, s[8:9]
	v_xor_b32_e32 v19, v24, v19
	v_xor_b32_e32 v20, v23, v20
	v_cmp_le_u16_e64 s[8:9], v19, v20
	s_and_b64 s[26:27], s[8:9], exec
.LBB1866_170:
	s_or_b64 exec, exec, s[12:13]
	s_orn2_b64 s[12:13], s[26:27], exec
.LBB1866_171:
	s_or_b64 exec, exec, s[24:25]
	v_cndmask_b32_e64 v19, v21, v22, s[12:13]
	v_cndmask_b32_e64 v20, v31, v30, s[12:13]
	v_add_u32_e32 v24, 1, v19
	v_add_u32_e32 v20, -1, v20
	v_min_u32_e32 v20, v24, v20
	v_lshl_add_u32 v20, v20, 1, v6
	ds_read_u16 v23, v20
	v_lshl_add_u32 v19, v19, 3, v2
	ds_read_b64 v[19:20], v19 offset:2048
	s_waitcnt lgkmcnt(1)
	v_cndmask_b32_e64 v39, v23, v37, s[12:13]
	v_cndmask_b32_e64 v48, v38, v23, s[12:13]
	;; [unrolled: 1-line block ×4, first 2 shown]
	v_cmp_lt_u32_e64 s[8:9], v23, v31
	s_and_saveexec_b64 s[24:25], s[8:9]
	s_cbranch_execz .LBB1866_175
; %bb.172:
	v_cmp_lt_u32_e64 s[8:9], v24, v30
	s_mov_b64 s[26:27], 0
	s_and_saveexec_b64 s[22:23], s[8:9]
	s_cbranch_execz .LBB1866_174
; %bb.173:
	v_add_f16_e32 v21, 0, v48
	v_add_f16_e32 v22, 0, v39
	v_mov_b32_e32 v49, 0xffff8000
	v_cmp_lt_i16_e64 s[8:9], -1, v21
	v_cndmask_b32_e64 v50, -1, v49, s[8:9]
	v_cmp_lt_i16_e64 s[8:9], -1, v22
	v_cndmask_b32_e64 v49, -1, v49, s[8:9]
	v_xor_b32_e32 v21, v50, v21
	v_xor_b32_e32 v22, v49, v22
	v_cmp_le_u16_e64 s[8:9], v21, v22
	s_and_b64 s[26:27], s[8:9], exec
.LBB1866_174:
	s_or_b64 exec, exec, s[22:23]
	s_orn2_b64 s[22:23], s[26:27], exec
.LBB1866_175:
	s_or_b64 exec, exec, s[24:25]
	v_cndmask_b32_e64 v21, v23, v24, s[22:23]
	v_cndmask_b32_e64 v22, v31, v30, s[22:23]
	v_add_u32_e32 v51, 1, v21
	v_add_u32_e32 v22, -1, v22
	v_min_u32_e32 v22, v51, v22
	v_lshl_add_u32 v22, v22, 1, v6
	ds_read_u16 v50, v22
	v_lshl_add_u32 v21, v21, 3, v2
	ds_read_b64 v[21:22], v21 offset:2048
	v_cndmask_b32_e64 v23, v51, v23, s[22:23]
	v_cndmask_b32_e64 v24, v24, v51, s[22:23]
	s_waitcnt lgkmcnt(1)
	v_cndmask_b32_e64 v49, v50, v39, s[22:23]
	v_cndmask_b32_e64 v50, v48, v50, s[22:23]
	v_cmp_lt_u32_e64 s[8:9], v23, v31
	s_mov_b64 s[26:27], -1
	s_and_saveexec_b64 s[24:25], s[8:9]
	s_cbranch_execz .LBB1866_179
; %bb.176:
	v_cmp_lt_u32_e64 s[8:9], v24, v30
	s_mov_b64 s[28:29], 0
	s_and_saveexec_b64 s[26:27], s[8:9]
	s_cbranch_execz .LBB1866_178
; %bb.177:
	v_add_f16_e32 v30, 0, v50
	v_add_f16_e32 v31, 0, v49
	v_mov_b32_e32 v51, 0xffff8000
	v_cmp_lt_i16_e64 s[8:9], -1, v30
	v_cndmask_b32_e64 v52, -1, v51, s[8:9]
	v_cmp_lt_i16_e64 s[8:9], -1, v31
	v_cndmask_b32_e64 v51, -1, v51, s[8:9]
	v_xor_b32_e32 v30, v52, v30
	v_xor_b32_e32 v31, v51, v31
	v_cmp_le_u16_e64 s[8:9], v30, v31
	s_and_b64 s[28:29], s[8:9], exec
.LBB1866_178:
	s_or_b64 exec, exec, s[26:27]
	s_orn2_b64 s[26:27], s[28:29], exec
.LBB1866_179:
	s_or_b64 exec, exec, s[24:25]
	v_cndmask_b32_e64 v23, v23, v24, s[26:27]
	v_lshl_add_u32 v23, v23, 3, v2
	ds_read_b64 v[23:24], v23 offset:2048
	v_cndmask_b32_e64 v39, v39, v48, s[22:23]
	v_cndmask_b32_e64 v37, v37, v38, s[12:13]
	;; [unrolled: 1-line block ×4, first 2 shown]
.LBB1866_180:
	s_or_b64 exec, exec, s[14:15]
	; wave barrier
	ds_write_b16 v7, v38
	ds_write_b64 v15, v[17:18]
	ds_write_b16 v16, v37
	ds_write_b64 v25, v[19:20]
	ds_write_b16 v26, v39
	s_waitcnt lgkmcnt(6)
	ds_write_b64 v27, v[21:22]
	ds_write_b16 v28, v9
	s_waitcnt lgkmcnt(7)
	ds_write_b64 v29, v[23:24]
	v_and_b32_e32 v16, 0x1e0, v36
	v_or_b32_e32 v7, 16, v16
	v_min_u32_e32 v7, v3, v7
	v_add_u32_e32 v15, 16, v7
	v_min_u32_e32 v15, v3, v15
	v_min_u32_e32 v3, v3, v12
	v_sub_u32_e32 v26, v7, v16
	v_sub_u32_e32 v25, v15, v7
	v_sub_u32_e64 v25, v3, v25 clamp
	v_min_u32_e32 v26, v3, v26
	v_cmp_lt_u32_e64 s[8:9], v25, v26
	; wave barrier
	s_and_saveexec_b64 s[12:13], s[8:9]
	s_cbranch_execz .LBB1866_184
; %bb.181:
	v_lshlrev_b32_e32 v27, 1, v16
	v_lshlrev_b32_e32 v28, 1, v7
	v_add_co_u32_e64 v27, s[8:9], v6, v27
	v_add_co_u32_e64 v28, s[8:9], v6, v28
	s_mov_b64 s[14:15], 0
	v_mov_b32_e32 v29, 0xffff8000
.LBB1866_182:                           ; =>This Inner Loop Header: Depth=1
	v_add_u32_e32 v30, v26, v25
	v_lshrrev_b32_e32 v31, 1, v30
	v_and_b32_e32 v30, -2, v30
	v_xad_u32 v32, v31, -1, v3
	v_add_u32_e32 v30, v27, v30
	ds_read_u16 v30, v30
	v_lshl_add_u32 v32, v32, 1, v28
	ds_read_u16 v32, v32
	v_add_u32_e32 v36, 1, v31
	s_waitcnt lgkmcnt(1)
	v_add_f16_e32 v30, 0, v30
	v_cmp_lt_i16_e64 s[8:9], -1, v30
	s_waitcnt lgkmcnt(0)
	v_add_f16_e32 v32, 0, v32
	v_cndmask_b32_e64 v48, -1, v29, s[8:9]
	v_cmp_lt_i16_e64 s[8:9], -1, v32
	v_xor_b32_e32 v30, v48, v30
	v_cndmask_b32_e64 v48, -1, v29, s[8:9]
	v_xor_b32_e32 v32, v48, v32
	v_cmp_gt_u16_e64 s[8:9], v30, v32
	v_cndmask_b32_e64 v26, v26, v31, s[8:9]
	v_cndmask_b32_e64 v25, v36, v25, s[8:9]
	v_cmp_ge_u32_e64 s[8:9], v25, v26
	s_or_b64 s[14:15], s[8:9], s[14:15]
	s_andn2_b64 exec, exec, s[14:15]
	s_cbranch_execnz .LBB1866_182
; %bb.183:
	s_or_b64 exec, exec, s[14:15]
.LBB1866_184:
	s_or_b64 exec, exec, s[12:13]
	v_add_u32_e32 v3, v7, v3
	v_add_u32_e32 v26, v25, v16
	v_sub_u32_e32 v27, v3, v25
	v_cmp_le_u32_e64 s[8:9], v26, v7
	v_cmp_le_u32_e64 s[12:13], v27, v15
	s_or_b64 s[8:9], s[8:9], s[12:13]
	s_and_saveexec_b64 s[14:15], s[8:9]
	s_cbranch_execz .LBB1866_204
; %bb.185:
	v_cmp_ge_u32_e64 s[8:9], v26, v7
	v_cmp_lt_u32_e64 s[12:13], v26, v7
                                        ; implicit-def: $vgpr3
	s_and_saveexec_b64 s[20:21], s[12:13]
; %bb.186:
	v_lshl_add_u32 v3, v26, 1, v6
	ds_read_u16 v3, v3
; %bb.187:
	s_or_b64 exec, exec, s[20:21]
	v_cmp_ge_u32_e64 s[20:21], v27, v15
	v_cmp_lt_u32_e64 s[12:13], v27, v15
                                        ; implicit-def: $vgpr9
	s_and_saveexec_b64 s[22:23], s[12:13]
; %bb.188:
	v_lshl_add_u32 v9, v27, 1, v6
	ds_read_u16 v9, v9
; %bb.189:
	s_or_b64 exec, exec, s[22:23]
	s_nor_b64 s[8:9], s[8:9], s[20:21]
	s_and_saveexec_b64 s[12:13], s[8:9]
	s_cbranch_execz .LBB1866_191
; %bb.190:
	s_waitcnt lgkmcnt(0)
	v_add_f16_e32 v16, 0, v3
	v_add_f16_e32 v17, 0, v9
	v_mov_b32_e32 v18, 0xffff8000
	v_cmp_lt_i16_e64 s[8:9], -1, v16
	v_cndmask_b32_e64 v19, -1, v18, s[8:9]
	v_cmp_lt_i16_e64 s[8:9], -1, v17
	v_cndmask_b32_e64 v18, -1, v18, s[8:9]
	v_xor_b32_e32 v16, v19, v16
	v_xor_b32_e32 v17, v18, v17
	v_cmp_le_u16_e64 s[8:9], v16, v17
	s_andn2_b64 s[20:21], s[20:21], exec
	s_and_b64 s[8:9], s[8:9], exec
	s_or_b64 s[20:21], s[20:21], s[8:9]
.LBB1866_191:
	s_or_b64 exec, exec, s[12:13]
	v_cndmask_b32_e64 v16, v27, v26, s[20:21]
	v_cndmask_b32_e64 v17, v15, v7, s[20:21]
	v_add_u32_e32 v19, 1, v16
	v_add_u32_e32 v17, -1, v17
	v_min_u32_e32 v17, v19, v17
	v_lshl_add_u32 v17, v17, 1, v6
	ds_read_u16 v20, v17
	v_lshl_add_u32 v16, v16, 3, v2
	ds_read_b64 v[17:18], v16 offset:2048
	v_cndmask_b32_e64 v21, v19, v27, s[20:21]
	v_cndmask_b32_e64 v22, v26, v19, s[20:21]
	s_waitcnt lgkmcnt(1)
	v_cndmask_b32_e64 v16, v20, v9, s[20:21]
	v_cndmask_b32_e64 v25, v3, v20, s[20:21]
	v_cmp_lt_u32_e64 s[8:9], v21, v15
	s_mov_b64 s[22:23], -1
	s_mov_b64 s[12:13], -1
	s_and_saveexec_b64 s[24:25], s[8:9]
	s_cbranch_execz .LBB1866_195
; %bb.192:
	v_cmp_lt_u32_e64 s[8:9], v22, v7
	s_mov_b64 s[26:27], 0
	s_and_saveexec_b64 s[12:13], s[8:9]
	s_cbranch_execz .LBB1866_194
; %bb.193:
	v_add_f16_e32 v19, 0, v25
	v_add_f16_e32 v20, 0, v16
	v_mov_b32_e32 v23, 0xffff8000
	v_cmp_lt_i16_e64 s[8:9], -1, v19
	v_cndmask_b32_e64 v24, -1, v23, s[8:9]
	v_cmp_lt_i16_e64 s[8:9], -1, v20
	v_cndmask_b32_e64 v23, -1, v23, s[8:9]
	v_xor_b32_e32 v19, v24, v19
	v_xor_b32_e32 v20, v23, v20
	v_cmp_le_u16_e64 s[8:9], v19, v20
	s_and_b64 s[26:27], s[8:9], exec
.LBB1866_194:
	s_or_b64 exec, exec, s[12:13]
	s_orn2_b64 s[12:13], s[26:27], exec
.LBB1866_195:
	s_or_b64 exec, exec, s[24:25]
	v_cndmask_b32_e64 v19, v21, v22, s[12:13]
	v_cndmask_b32_e64 v20, v15, v7, s[12:13]
	v_add_u32_e32 v24, 1, v19
	v_add_u32_e32 v20, -1, v20
	v_min_u32_e32 v20, v24, v20
	v_lshl_add_u32 v20, v20, 1, v6
	ds_read_u16 v23, v20
	v_lshl_add_u32 v19, v19, 3, v2
	ds_read_b64 v[19:20], v19 offset:2048
	s_waitcnt lgkmcnt(1)
	v_cndmask_b32_e64 v26, v23, v16, s[12:13]
	v_cndmask_b32_e64 v27, v25, v23, s[12:13]
	;; [unrolled: 1-line block ×4, first 2 shown]
	v_cmp_lt_u32_e64 s[8:9], v23, v15
	s_and_saveexec_b64 s[24:25], s[8:9]
	s_cbranch_execz .LBB1866_199
; %bb.196:
	v_cmp_lt_u32_e64 s[8:9], v24, v7
	s_mov_b64 s[26:27], 0
	s_and_saveexec_b64 s[22:23], s[8:9]
	s_cbranch_execz .LBB1866_198
; %bb.197:
	v_add_f16_e32 v21, 0, v27
	v_add_f16_e32 v22, 0, v26
	v_mov_b32_e32 v28, 0xffff8000
	v_cmp_lt_i16_e64 s[8:9], -1, v21
	v_cndmask_b32_e64 v29, -1, v28, s[8:9]
	v_cmp_lt_i16_e64 s[8:9], -1, v22
	v_cndmask_b32_e64 v28, -1, v28, s[8:9]
	v_xor_b32_e32 v21, v29, v21
	v_xor_b32_e32 v22, v28, v22
	v_cmp_le_u16_e64 s[8:9], v21, v22
	s_and_b64 s[26:27], s[8:9], exec
.LBB1866_198:
	s_or_b64 exec, exec, s[22:23]
	s_orn2_b64 s[22:23], s[26:27], exec
.LBB1866_199:
	s_or_b64 exec, exec, s[24:25]
	v_cndmask_b32_e64 v21, v23, v24, s[22:23]
	v_cndmask_b32_e64 v22, v15, v7, s[22:23]
	v_add_u32_e32 v29, 1, v21
	v_add_u32_e32 v22, -1, v22
	v_min_u32_e32 v22, v29, v22
	v_lshl_add_u32 v6, v22, 1, v6
	ds_read_u16 v28, v6
	v_lshl_add_u32 v6, v21, 3, v2
	ds_read_b64 v[21:22], v6 offset:2048
	v_cndmask_b32_e64 v23, v29, v23, s[22:23]
	v_cndmask_b32_e64 v24, v24, v29, s[22:23]
	s_waitcnt lgkmcnt(1)
	v_cndmask_b32_e64 v6, v28, v26, s[22:23]
	v_cndmask_b32_e64 v28, v27, v28, s[22:23]
	v_cmp_lt_u32_e64 s[8:9], v23, v15
	s_mov_b64 s[26:27], -1
	s_and_saveexec_b64 s[24:25], s[8:9]
	s_cbranch_execz .LBB1866_203
; %bb.200:
	v_cmp_lt_u32_e64 s[8:9], v24, v7
	s_mov_b64 s[28:29], 0
	s_and_saveexec_b64 s[26:27], s[8:9]
	s_cbranch_execz .LBB1866_202
; %bb.201:
	v_add_f16_e32 v7, 0, v28
	v_add_f16_e32 v15, 0, v6
	v_mov_b32_e32 v29, 0xffff8000
	v_cmp_lt_i16_e64 s[8:9], -1, v7
	v_cndmask_b32_e64 v30, -1, v29, s[8:9]
	v_cmp_lt_i16_e64 s[8:9], -1, v15
	v_cndmask_b32_e64 v29, -1, v29, s[8:9]
	v_xor_b32_e32 v7, v30, v7
	v_xor_b32_e32 v15, v29, v15
	v_cmp_le_u16_e64 s[8:9], v7, v15
	s_and_b64 s[28:29], s[8:9], exec
.LBB1866_202:
	s_or_b64 exec, exec, s[26:27]
	s_orn2_b64 s[26:27], s[28:29], exec
.LBB1866_203:
	s_or_b64 exec, exec, s[24:25]
	v_cndmask_b32_e64 v7, v23, v24, s[26:27]
	v_lshl_add_u32 v2, v7, 3, v2
	ds_read_b64 v[23:24], v2 offset:2048
	v_cndmask_b32_e64 v39, v26, v27, s[22:23]
	v_cndmask_b32_e64 v37, v16, v25, s[12:13]
	;; [unrolled: 1-line block ×4, first 2 shown]
.LBB1866_204:
	s_or_b64 exec, exec, s[14:15]
	v_add_co_u32_e64 v2, s[8:9], v4, v33
	v_addc_co_u32_e64 v3, s[8:9], v5, v34, s[8:9]
	v_add_co_u32_e64 v2, s[8:9], v2, v35
	v_addc_co_u32_e64 v3, s[8:9], 0, v3, s[8:9]
	; wave barrier
	s_waitcnt lgkmcnt(0)
	s_barrier
	; wave barrier
	s_and_saveexec_b64 s[8:9], vcc
	s_cbranch_execnz .LBB1866_226
; %bb.205:
	s_or_b64 exec, exec, s[8:9]
	s_and_saveexec_b64 s[8:9], s[4:5]
	s_cbranch_execnz .LBB1866_227
.LBB1866_206:
	s_or_b64 exec, exec, s[8:9]
	s_and_saveexec_b64 s[8:9], s[6:7]
	s_cbranch_execnz .LBB1866_228
.LBB1866_207:
	s_or_b64 exec, exec, s[8:9]
	s_and_saveexec_b64 s[8:9], s[10:11]
	s_cbranch_execz .LBB1866_209
.LBB1866_208:
	flat_store_short v[2:3], v9 offset:6
.LBB1866_209:
	s_or_b64 exec, exec, s[8:9]
	v_add_co_u32_e64 v0, s[8:9], v10, v0
	v_addc_co_u32_e64 v1, s[8:9], v11, v1, s[8:9]
	v_add_co_u32_e64 v0, s[8:9], v0, v8
	v_addc_co_u32_e64 v1, s[8:9], 0, v1, s[8:9]
	; wave barrier
	s_and_saveexec_b64 s[8:9], vcc
	s_cbranch_execnz .LBB1866_229
; %bb.210:
	s_or_b64 exec, exec, s[8:9]
	s_and_saveexec_b64 s[8:9], s[4:5]
	s_cbranch_execnz .LBB1866_230
.LBB1866_211:
	s_or_b64 exec, exec, s[8:9]
	s_and_saveexec_b64 s[4:5], s[6:7]
	s_cbranch_execz .LBB1866_213
.LBB1866_212:
	flat_store_dwordx2 v[0:1], v[21:22] offset:16
.LBB1866_213:
	s_or_b64 exec, exec, s[4:5]
	s_andn2_b64 s[4:5], s[16:17], exec
	s_and_b64 s[6:7], s[10:11], exec
	v_mov_b32_e32 v8, v10
	s_or_b64 s[16:17], s[4:5], s[6:7]
	v_mov_b32_e32 v9, v11
	s_or_b64 exec, exec, s[18:19]
	s_and_saveexec_b64 s[4:5], s[16:17]
	s_cbranch_execz .LBB1866_3
.LBB1866_214:
	v_lshlrev_b64 v[0:1], 3, v[13:14]
	v_lshlrev_b32_e32 v2, 3, v12
	v_add_co_u32_e32 v0, vcc, v8, v0
	v_addc_co_u32_e32 v1, vcc, v9, v1, vcc
	v_add_co_u32_e32 v0, vcc, v0, v2
	v_addc_co_u32_e32 v1, vcc, 0, v1, vcc
	flat_store_dwordx2 v[0:1], v[23:24] offset:24
	s_or_b64 exec, exec, s[4:5]
	s_waitcnt vmcnt(0) lgkmcnt(0)
	s_setpc_b64 s[30:31]
.LBB1866_215:
	flat_load_dwordx2 v[18:19], v[4:5]
	v_mov_b32_e32 v20, v17
	v_mov_b32_e32 v21, v17
	v_mov_b32_e32 v22, v17
	v_mov_b32_e32 v23, v17
	v_mov_b32_e32 v24, v17
	v_mov_b32_e32 v25, v17
	s_waitcnt vmcnt(0) lgkmcnt(0)
	v_mov_b32_e32 v17, v18
	v_mov_b32_e32 v18, v19
	;; [unrolled: 1-line block ×8, first 2 shown]
	s_or_b64 exec, exec, s[14:15]
	s_and_saveexec_b64 s[14:15], s[4:5]
	s_cbranch_execz .LBB1866_14
.LBB1866_216:
	flat_load_dwordx2 v[19:20], v[4:5] offset:8
	s_or_b64 exec, exec, s[14:15]
	s_and_saveexec_b64 s[14:15], s[6:7]
	s_cbranch_execz .LBB1866_15
.LBB1866_217:
	flat_load_dwordx2 v[21:22], v[4:5] offset:16
	s_or_b64 exec, exec, s[14:15]
	s_and_saveexec_b64 s[14:15], s[10:11]
	s_cbranch_execnz .LBB1866_16
	s_branch .LBB1866_17
.LBB1866_218:
	flat_store_short v[2:3], v38
	s_or_b64 exec, exec, s[14:15]
	s_and_saveexec_b64 s[14:15], s[4:5]
	s_cbranch_execz .LBB1866_101
.LBB1866_219:
	flat_store_short v[2:3], v37 offset:2
	s_or_b64 exec, exec, s[14:15]
	s_and_saveexec_b64 s[14:15], s[6:7]
	s_cbranch_execz .LBB1866_102
.LBB1866_220:
	flat_store_short v[2:3], v39 offset:4
	s_or_b64 exec, exec, s[14:15]
	s_and_saveexec_b64 s[14:15], s[10:11]
	s_cbranch_execnz .LBB1866_103
	s_branch .LBB1866_104
.LBB1866_221:
	flat_store_dwordx2 v[0:1], v[17:18]
	s_or_b64 exec, exec, s[14:15]
	s_and_saveexec_b64 s[14:15], s[4:5]
	s_cbranch_execz .LBB1866_106
.LBB1866_222:
	flat_store_dwordx2 v[0:1], v[19:20] offset:8
	s_or_b64 exec, exec, s[14:15]
	s_and_saveexec_b64 s[4:5], s[6:7]
	s_cbranch_execnz .LBB1866_107
	s_branch .LBB1866_108
.LBB1866_223:
	flat_load_dwordx2 v[18:19], v[2:3]
	v_mov_b32_e32 v20, v17
	v_mov_b32_e32 v21, v17
	;; [unrolled: 1-line block ×6, first 2 shown]
	s_waitcnt vmcnt(0) lgkmcnt(0)
	v_mov_b32_e32 v17, v18
	v_mov_b32_e32 v18, v19
	;; [unrolled: 1-line block ×8, first 2 shown]
	s_or_b64 exec, exec, s[14:15]
	s_and_saveexec_b64 s[14:15], s[4:5]
	s_cbranch_execz .LBB1866_119
.LBB1866_224:
	flat_load_dwordx2 v[19:20], v[2:3] offset:8
	s_or_b64 exec, exec, s[14:15]
	s_and_saveexec_b64 s[14:15], s[6:7]
	s_cbranch_execz .LBB1866_120
.LBB1866_225:
	flat_load_dwordx2 v[21:22], v[2:3] offset:16
	s_or_b64 exec, exec, s[14:15]
	s_and_saveexec_b64 s[14:15], s[10:11]
	s_cbranch_execnz .LBB1866_121
	s_branch .LBB1866_122
.LBB1866_226:
	flat_store_short v[2:3], v38
	s_or_b64 exec, exec, s[8:9]
	s_and_saveexec_b64 s[8:9], s[4:5]
	s_cbranch_execz .LBB1866_206
.LBB1866_227:
	flat_store_short v[2:3], v37 offset:2
	s_or_b64 exec, exec, s[8:9]
	s_and_saveexec_b64 s[8:9], s[6:7]
	s_cbranch_execz .LBB1866_207
.LBB1866_228:
	flat_store_short v[2:3], v39 offset:4
	s_or_b64 exec, exec, s[8:9]
	s_and_saveexec_b64 s[8:9], s[10:11]
	s_cbranch_execnz .LBB1866_208
	s_branch .LBB1866_209
.LBB1866_229:
	flat_store_dwordx2 v[0:1], v[17:18]
	s_or_b64 exec, exec, s[8:9]
	s_and_saveexec_b64 s[8:9], s[4:5]
	s_cbranch_execz .LBB1866_211
.LBB1866_230:
	flat_store_dwordx2 v[0:1], v[19:20] offset:8
	s_or_b64 exec, exec, s[8:9]
	s_and_saveexec_b64 s[4:5], s[6:7]
	s_cbranch_execnz .LBB1866_212
	s_branch .LBB1866_213
.Lfunc_end1866:
	.size	_ZN7rocprim17ROCPRIM_400000_NS6detail26segmented_warp_sort_helperINS1_20WarpSortHelperConfigILj8ELj4ELj256EEE6__halflLi256ELb0EvE4sortIPKS5_PS5_PKlPlEEvT_SA_T0_T1_SD_T2_bjjjjRNS6_12storage_typeE, .Lfunc_end1866-_ZN7rocprim17ROCPRIM_400000_NS6detail26segmented_warp_sort_helperINS1_20WarpSortHelperConfigILj8ELj4ELj256EEE6__halflLi256ELb0EvE4sortIPKS5_PS5_PKlPlEEvT_SA_T0_T1_SD_T2_bjjjjRNS6_12storage_typeE
                                        ; -- End function
	.set .L_ZN7rocprim17ROCPRIM_400000_NS6detail26segmented_warp_sort_helperINS1_20WarpSortHelperConfigILj8ELj4ELj256EEE6__halflLi256ELb0EvE4sortIPKS5_PS5_PKlPlEEvT_SA_T0_T1_SD_T2_bjjjjRNS6_12storage_typeE.num_vgpr, 67
	.set .L_ZN7rocprim17ROCPRIM_400000_NS6detail26segmented_warp_sort_helperINS1_20WarpSortHelperConfigILj8ELj4ELj256EEE6__halflLi256ELb0EvE4sortIPKS5_PS5_PKlPlEEvT_SA_T0_T1_SD_T2_bjjjjRNS6_12storage_typeE.num_agpr, 0
	.set .L_ZN7rocprim17ROCPRIM_400000_NS6detail26segmented_warp_sort_helperINS1_20WarpSortHelperConfigILj8ELj4ELj256EEE6__halflLi256ELb0EvE4sortIPKS5_PS5_PKlPlEEvT_SA_T0_T1_SD_T2_bjjjjRNS6_12storage_typeE.numbered_sgpr, 42
	.set .L_ZN7rocprim17ROCPRIM_400000_NS6detail26segmented_warp_sort_helperINS1_20WarpSortHelperConfigILj8ELj4ELj256EEE6__halflLi256ELb0EvE4sortIPKS5_PS5_PKlPlEEvT_SA_T0_T1_SD_T2_bjjjjRNS6_12storage_typeE.num_named_barrier, 0
	.set .L_ZN7rocprim17ROCPRIM_400000_NS6detail26segmented_warp_sort_helperINS1_20WarpSortHelperConfigILj8ELj4ELj256EEE6__halflLi256ELb0EvE4sortIPKS5_PS5_PKlPlEEvT_SA_T0_T1_SD_T2_bjjjjRNS6_12storage_typeE.private_seg_size, 0
	.set .L_ZN7rocprim17ROCPRIM_400000_NS6detail26segmented_warp_sort_helperINS1_20WarpSortHelperConfigILj8ELj4ELj256EEE6__halflLi256ELb0EvE4sortIPKS5_PS5_PKlPlEEvT_SA_T0_T1_SD_T2_bjjjjRNS6_12storage_typeE.uses_vcc, 1
	.set .L_ZN7rocprim17ROCPRIM_400000_NS6detail26segmented_warp_sort_helperINS1_20WarpSortHelperConfigILj8ELj4ELj256EEE6__halflLi256ELb0EvE4sortIPKS5_PS5_PKlPlEEvT_SA_T0_T1_SD_T2_bjjjjRNS6_12storage_typeE.uses_flat_scratch, 0
	.set .L_ZN7rocprim17ROCPRIM_400000_NS6detail26segmented_warp_sort_helperINS1_20WarpSortHelperConfigILj8ELj4ELj256EEE6__halflLi256ELb0EvE4sortIPKS5_PS5_PKlPlEEvT_SA_T0_T1_SD_T2_bjjjjRNS6_12storage_typeE.has_dyn_sized_stack, 0
	.set .L_ZN7rocprim17ROCPRIM_400000_NS6detail26segmented_warp_sort_helperINS1_20WarpSortHelperConfigILj8ELj4ELj256EEE6__halflLi256ELb0EvE4sortIPKS5_PS5_PKlPlEEvT_SA_T0_T1_SD_T2_bjjjjRNS6_12storage_typeE.has_recursion, 0
	.set .L_ZN7rocprim17ROCPRIM_400000_NS6detail26segmented_warp_sort_helperINS1_20WarpSortHelperConfigILj8ELj4ELj256EEE6__halflLi256ELb0EvE4sortIPKS5_PS5_PKlPlEEvT_SA_T0_T1_SD_T2_bjjjjRNS6_12storage_typeE.has_indirect_call, 0
	.section	.AMDGPU.csdata,"",@progbits
; Function info:
; codeLenInByte = 11084
; TotalNumSgprs: 46
; NumVgprs: 67
; ScratchSize: 0
; MemoryBound: 1
	.section	.text._ZN7rocprim17ROCPRIM_400000_NS6detail17trampoline_kernelINS0_14default_configENS1_36segmented_radix_sort_config_selectorI6__halflEEZNS1_25segmented_radix_sort_implIS3_Lb0EPKS5_PS5_PKlPlN2at6native12_GLOBAL__N_18offset_tEEE10hipError_tPvRmT1_PNSt15iterator_traitsISL_E10value_typeET2_T3_PNSM_ISR_E10value_typeET4_jRbjT5_SX_jjP12ihipStream_tbEUlT_E1_NS1_11comp_targetILNS1_3genE2ELNS1_11target_archE906ELNS1_3gpuE6ELNS1_3repE0EEENS1_59segmented_radix_sort_warp_sort_small_config_static_selectorELNS0_4arch9wavefront6targetE1EEEvSL_,"axG",@progbits,_ZN7rocprim17ROCPRIM_400000_NS6detail17trampoline_kernelINS0_14default_configENS1_36segmented_radix_sort_config_selectorI6__halflEEZNS1_25segmented_radix_sort_implIS3_Lb0EPKS5_PS5_PKlPlN2at6native12_GLOBAL__N_18offset_tEEE10hipError_tPvRmT1_PNSt15iterator_traitsISL_E10value_typeET2_T3_PNSM_ISR_E10value_typeET4_jRbjT5_SX_jjP12ihipStream_tbEUlT_E1_NS1_11comp_targetILNS1_3genE2ELNS1_11target_archE906ELNS1_3gpuE6ELNS1_3repE0EEENS1_59segmented_radix_sort_warp_sort_small_config_static_selectorELNS0_4arch9wavefront6targetE1EEEvSL_,comdat
	.globl	_ZN7rocprim17ROCPRIM_400000_NS6detail17trampoline_kernelINS0_14default_configENS1_36segmented_radix_sort_config_selectorI6__halflEEZNS1_25segmented_radix_sort_implIS3_Lb0EPKS5_PS5_PKlPlN2at6native12_GLOBAL__N_18offset_tEEE10hipError_tPvRmT1_PNSt15iterator_traitsISL_E10value_typeET2_T3_PNSM_ISR_E10value_typeET4_jRbjT5_SX_jjP12ihipStream_tbEUlT_E1_NS1_11comp_targetILNS1_3genE2ELNS1_11target_archE906ELNS1_3gpuE6ELNS1_3repE0EEENS1_59segmented_radix_sort_warp_sort_small_config_static_selectorELNS0_4arch9wavefront6targetE1EEEvSL_ ; -- Begin function _ZN7rocprim17ROCPRIM_400000_NS6detail17trampoline_kernelINS0_14default_configENS1_36segmented_radix_sort_config_selectorI6__halflEEZNS1_25segmented_radix_sort_implIS3_Lb0EPKS5_PS5_PKlPlN2at6native12_GLOBAL__N_18offset_tEEE10hipError_tPvRmT1_PNSt15iterator_traitsISL_E10value_typeET2_T3_PNSM_ISR_E10value_typeET4_jRbjT5_SX_jjP12ihipStream_tbEUlT_E1_NS1_11comp_targetILNS1_3genE2ELNS1_11target_archE906ELNS1_3gpuE6ELNS1_3repE0EEENS1_59segmented_radix_sort_warp_sort_small_config_static_selectorELNS0_4arch9wavefront6targetE1EEEvSL_
	.p2align	8
	.type	_ZN7rocprim17ROCPRIM_400000_NS6detail17trampoline_kernelINS0_14default_configENS1_36segmented_radix_sort_config_selectorI6__halflEEZNS1_25segmented_radix_sort_implIS3_Lb0EPKS5_PS5_PKlPlN2at6native12_GLOBAL__N_18offset_tEEE10hipError_tPvRmT1_PNSt15iterator_traitsISL_E10value_typeET2_T3_PNSM_ISR_E10value_typeET4_jRbjT5_SX_jjP12ihipStream_tbEUlT_E1_NS1_11comp_targetILNS1_3genE2ELNS1_11target_archE906ELNS1_3gpuE6ELNS1_3repE0EEENS1_59segmented_radix_sort_warp_sort_small_config_static_selectorELNS0_4arch9wavefront6targetE1EEEvSL_,@function
_ZN7rocprim17ROCPRIM_400000_NS6detail17trampoline_kernelINS0_14default_configENS1_36segmented_radix_sort_config_selectorI6__halflEEZNS1_25segmented_radix_sort_implIS3_Lb0EPKS5_PS5_PKlPlN2at6native12_GLOBAL__N_18offset_tEEE10hipError_tPvRmT1_PNSt15iterator_traitsISL_E10value_typeET2_T3_PNSM_ISR_E10value_typeET4_jRbjT5_SX_jjP12ihipStream_tbEUlT_E1_NS1_11comp_targetILNS1_3genE2ELNS1_11target_archE906ELNS1_3gpuE6ELNS1_3repE0EEENS1_59segmented_radix_sort_warp_sort_small_config_static_selectorELNS0_4arch9wavefront6targetE1EEEvSL_: ; @_ZN7rocprim17ROCPRIM_400000_NS6detail17trampoline_kernelINS0_14default_configENS1_36segmented_radix_sort_config_selectorI6__halflEEZNS1_25segmented_radix_sort_implIS3_Lb0EPKS5_PS5_PKlPlN2at6native12_GLOBAL__N_18offset_tEEE10hipError_tPvRmT1_PNSt15iterator_traitsISL_E10value_typeET2_T3_PNSM_ISR_E10value_typeET4_jRbjT5_SX_jjP12ihipStream_tbEUlT_E1_NS1_11comp_targetILNS1_3genE2ELNS1_11target_archE906ELNS1_3gpuE6ELNS1_3repE0EEENS1_59segmented_radix_sort_warp_sort_small_config_static_selectorELNS0_4arch9wavefront6targetE1EEEvSL_
; %bb.0:
	s_add_u32 s0, s0, s8
	s_load_dword s8, s[4:5], 0x64
	s_addc_u32 s1, s1, 0
	s_mov_b32 s32, 0
	s_waitcnt lgkmcnt(0)
	s_lshr_b32 s9, s8, 16
	s_and_b32 s8, s8, 0xffff
	v_mad_u32_u24 v3, v2, s9, v1
	v_mad_u64_u32 v[3:4], s[8:9], v3, s8, v[0:1]
	s_load_dword s8, s[4:5], 0x34
	v_lshrrev_b32_e32 v3, 3, v3
	v_lshl_add_u32 v3, s6, 5, v3
	s_waitcnt lgkmcnt(0)
	v_cmp_gt_u32_e32 vcc, s8, v3
	s_and_saveexec_b64 s[8:9], vcc
	s_cbranch_execz .LBB1867_3
; %bb.1:
	s_load_dwordx2 s[12:13], s[4:5], 0x38
	s_load_dwordx4 s[8:11], s[4:5], 0x40
	v_mov_b32_e32 v4, 0
	v_lshlrev_b64 v[3:4], 2, v[3:4]
	s_waitcnt lgkmcnt(0)
	v_mov_b32_e32 v5, s13
	v_sub_co_u32_e32 v3, vcc, s12, v3
	v_subb_co_u32_e32 v4, vcc, v5, v4, vcc
	global_load_dword v3, v[3:4], off offset:-4
	s_waitcnt vmcnt(0)
	v_add_u32_e32 v4, s9, v3
	v_add_u32_e32 v3, s11, v3
	v_mul_lo_u32 v13, v4, s8
	v_mul_lo_u32 v14, v3, s10
	v_cmp_gt_u32_e32 vcc, v14, v13
	s_and_b64 exec, exec, vcc
	s_cbranch_execz .LBB1867_3
; %bb.2:
	s_load_dword s8, s[4:5], 0x30
	s_load_dwordx4 s[24:27], s[4:5], 0x20
	s_load_dwordx8 s[16:23], s[4:5], 0x0
	s_mov_b64 s[10:11], src_shared_base
	v_lshlrev_b32_e32 v2, 20, v2
	s_waitcnt lgkmcnt(0)
	s_and_b32 s10, s8, 0xff
	s_add_u32 s8, s4, 0x58
	s_addc_u32 s9, s5, 0
	v_lshlrev_b32_e32 v1, 10, v1
	s_getpc_b64 s[4:5]
	s_add_u32 s4, s4, _ZN7rocprim17ROCPRIM_400000_NS6detail26segmented_warp_sort_helperINS1_20WarpSortHelperConfigILj8ELj4ELj256EEE6__halflLi256ELb0EvE4sortIPKS5_PS5_PKlPlEEvT_SA_T0_T1_SD_T2_bjjjjRNS6_12storage_typeE@rel32@lo+4
	s_addc_u32 s5, s5, _ZN7rocprim17ROCPRIM_400000_NS6detail26segmented_warp_sort_helperINS1_20WarpSortHelperConfigILj8ELj4ELj256EEE6__halflLi256ELb0EvE4sortIPKS5_PS5_PKlPlEEvT_SA_T0_T1_SD_T2_bjjjjRNS6_12storage_typeE@rel32@hi+12
	v_or3_b32 v31, v0, v1, v2
	s_mov_b32 s12, s6
	s_mov_b32 s13, s7
	v_mov_b32_e32 v0, s16
	v_mov_b32_e32 v1, s17
	;; [unrolled: 1-line block ×15, first 2 shown]
	s_swappc_b64 s[30:31], s[4:5]
.LBB1867_3:
	s_endpgm
	.section	.rodata,"a",@progbits
	.p2align	6, 0x0
	.amdhsa_kernel _ZN7rocprim17ROCPRIM_400000_NS6detail17trampoline_kernelINS0_14default_configENS1_36segmented_radix_sort_config_selectorI6__halflEEZNS1_25segmented_radix_sort_implIS3_Lb0EPKS5_PS5_PKlPlN2at6native12_GLOBAL__N_18offset_tEEE10hipError_tPvRmT1_PNSt15iterator_traitsISL_E10value_typeET2_T3_PNSM_ISR_E10value_typeET4_jRbjT5_SX_jjP12ihipStream_tbEUlT_E1_NS1_11comp_targetILNS1_3genE2ELNS1_11target_archE906ELNS1_3gpuE6ELNS1_3repE0EEENS1_59segmented_radix_sort_warp_sort_small_config_static_selectorELNS0_4arch9wavefront6targetE1EEEvSL_
		.amdhsa_group_segment_fixed_size 10240
		.amdhsa_private_segment_fixed_size 0
		.amdhsa_kernarg_size 344
		.amdhsa_user_sgpr_count 6
		.amdhsa_user_sgpr_private_segment_buffer 1
		.amdhsa_user_sgpr_dispatch_ptr 0
		.amdhsa_user_sgpr_queue_ptr 0
		.amdhsa_user_sgpr_kernarg_segment_ptr 1
		.amdhsa_user_sgpr_dispatch_id 0
		.amdhsa_user_sgpr_flat_scratch_init 0
		.amdhsa_user_sgpr_private_segment_size 0
		.amdhsa_uses_dynamic_stack 0
		.amdhsa_system_sgpr_private_segment_wavefront_offset 0
		.amdhsa_system_sgpr_workgroup_id_x 1
		.amdhsa_system_sgpr_workgroup_id_y 1
		.amdhsa_system_sgpr_workgroup_id_z 0
		.amdhsa_system_sgpr_workgroup_info 0
		.amdhsa_system_vgpr_workitem_id 2
		.amdhsa_next_free_vgpr 67
		.amdhsa_next_free_sgpr 93
		.amdhsa_reserve_vcc 1
		.amdhsa_reserve_flat_scratch 0
		.amdhsa_float_round_mode_32 0
		.amdhsa_float_round_mode_16_64 0
		.amdhsa_float_denorm_mode_32 3
		.amdhsa_float_denorm_mode_16_64 3
		.amdhsa_dx10_clamp 1
		.amdhsa_ieee_mode 1
		.amdhsa_fp16_overflow 0
		.amdhsa_exception_fp_ieee_invalid_op 0
		.amdhsa_exception_fp_denorm_src 0
		.amdhsa_exception_fp_ieee_div_zero 0
		.amdhsa_exception_fp_ieee_overflow 0
		.amdhsa_exception_fp_ieee_underflow 0
		.amdhsa_exception_fp_ieee_inexact 0
		.amdhsa_exception_int_div_zero 0
	.end_amdhsa_kernel
	.section	.text._ZN7rocprim17ROCPRIM_400000_NS6detail17trampoline_kernelINS0_14default_configENS1_36segmented_radix_sort_config_selectorI6__halflEEZNS1_25segmented_radix_sort_implIS3_Lb0EPKS5_PS5_PKlPlN2at6native12_GLOBAL__N_18offset_tEEE10hipError_tPvRmT1_PNSt15iterator_traitsISL_E10value_typeET2_T3_PNSM_ISR_E10value_typeET4_jRbjT5_SX_jjP12ihipStream_tbEUlT_E1_NS1_11comp_targetILNS1_3genE2ELNS1_11target_archE906ELNS1_3gpuE6ELNS1_3repE0EEENS1_59segmented_radix_sort_warp_sort_small_config_static_selectorELNS0_4arch9wavefront6targetE1EEEvSL_,"axG",@progbits,_ZN7rocprim17ROCPRIM_400000_NS6detail17trampoline_kernelINS0_14default_configENS1_36segmented_radix_sort_config_selectorI6__halflEEZNS1_25segmented_radix_sort_implIS3_Lb0EPKS5_PS5_PKlPlN2at6native12_GLOBAL__N_18offset_tEEE10hipError_tPvRmT1_PNSt15iterator_traitsISL_E10value_typeET2_T3_PNSM_ISR_E10value_typeET4_jRbjT5_SX_jjP12ihipStream_tbEUlT_E1_NS1_11comp_targetILNS1_3genE2ELNS1_11target_archE906ELNS1_3gpuE6ELNS1_3repE0EEENS1_59segmented_radix_sort_warp_sort_small_config_static_selectorELNS0_4arch9wavefront6targetE1EEEvSL_,comdat
.Lfunc_end1867:
	.size	_ZN7rocprim17ROCPRIM_400000_NS6detail17trampoline_kernelINS0_14default_configENS1_36segmented_radix_sort_config_selectorI6__halflEEZNS1_25segmented_radix_sort_implIS3_Lb0EPKS5_PS5_PKlPlN2at6native12_GLOBAL__N_18offset_tEEE10hipError_tPvRmT1_PNSt15iterator_traitsISL_E10value_typeET2_T3_PNSM_ISR_E10value_typeET4_jRbjT5_SX_jjP12ihipStream_tbEUlT_E1_NS1_11comp_targetILNS1_3genE2ELNS1_11target_archE906ELNS1_3gpuE6ELNS1_3repE0EEENS1_59segmented_radix_sort_warp_sort_small_config_static_selectorELNS0_4arch9wavefront6targetE1EEEvSL_, .Lfunc_end1867-_ZN7rocprim17ROCPRIM_400000_NS6detail17trampoline_kernelINS0_14default_configENS1_36segmented_radix_sort_config_selectorI6__halflEEZNS1_25segmented_radix_sort_implIS3_Lb0EPKS5_PS5_PKlPlN2at6native12_GLOBAL__N_18offset_tEEE10hipError_tPvRmT1_PNSt15iterator_traitsISL_E10value_typeET2_T3_PNSM_ISR_E10value_typeET4_jRbjT5_SX_jjP12ihipStream_tbEUlT_E1_NS1_11comp_targetILNS1_3genE2ELNS1_11target_archE906ELNS1_3gpuE6ELNS1_3repE0EEENS1_59segmented_radix_sort_warp_sort_small_config_static_selectorELNS0_4arch9wavefront6targetE1EEEvSL_
                                        ; -- End function
	.set _ZN7rocprim17ROCPRIM_400000_NS6detail17trampoline_kernelINS0_14default_configENS1_36segmented_radix_sort_config_selectorI6__halflEEZNS1_25segmented_radix_sort_implIS3_Lb0EPKS5_PS5_PKlPlN2at6native12_GLOBAL__N_18offset_tEEE10hipError_tPvRmT1_PNSt15iterator_traitsISL_E10value_typeET2_T3_PNSM_ISR_E10value_typeET4_jRbjT5_SX_jjP12ihipStream_tbEUlT_E1_NS1_11comp_targetILNS1_3genE2ELNS1_11target_archE906ELNS1_3gpuE6ELNS1_3repE0EEENS1_59segmented_radix_sort_warp_sort_small_config_static_selectorELNS0_4arch9wavefront6targetE1EEEvSL_.num_vgpr, max(32, .L_ZN7rocprim17ROCPRIM_400000_NS6detail26segmented_warp_sort_helperINS1_20WarpSortHelperConfigILj8ELj4ELj256EEE6__halflLi256ELb0EvE4sortIPKS5_PS5_PKlPlEEvT_SA_T0_T1_SD_T2_bjjjjRNS6_12storage_typeE.num_vgpr)
	.set _ZN7rocprim17ROCPRIM_400000_NS6detail17trampoline_kernelINS0_14default_configENS1_36segmented_radix_sort_config_selectorI6__halflEEZNS1_25segmented_radix_sort_implIS3_Lb0EPKS5_PS5_PKlPlN2at6native12_GLOBAL__N_18offset_tEEE10hipError_tPvRmT1_PNSt15iterator_traitsISL_E10value_typeET2_T3_PNSM_ISR_E10value_typeET4_jRbjT5_SX_jjP12ihipStream_tbEUlT_E1_NS1_11comp_targetILNS1_3genE2ELNS1_11target_archE906ELNS1_3gpuE6ELNS1_3repE0EEENS1_59segmented_radix_sort_warp_sort_small_config_static_selectorELNS0_4arch9wavefront6targetE1EEEvSL_.num_agpr, max(0, .L_ZN7rocprim17ROCPRIM_400000_NS6detail26segmented_warp_sort_helperINS1_20WarpSortHelperConfigILj8ELj4ELj256EEE6__halflLi256ELb0EvE4sortIPKS5_PS5_PKlPlEEvT_SA_T0_T1_SD_T2_bjjjjRNS6_12storage_typeE.num_agpr)
	.set _ZN7rocprim17ROCPRIM_400000_NS6detail17trampoline_kernelINS0_14default_configENS1_36segmented_radix_sort_config_selectorI6__halflEEZNS1_25segmented_radix_sort_implIS3_Lb0EPKS5_PS5_PKlPlN2at6native12_GLOBAL__N_18offset_tEEE10hipError_tPvRmT1_PNSt15iterator_traitsISL_E10value_typeET2_T3_PNSM_ISR_E10value_typeET4_jRbjT5_SX_jjP12ihipStream_tbEUlT_E1_NS1_11comp_targetILNS1_3genE2ELNS1_11target_archE906ELNS1_3gpuE6ELNS1_3repE0EEENS1_59segmented_radix_sort_warp_sort_small_config_static_selectorELNS0_4arch9wavefront6targetE1EEEvSL_.numbered_sgpr, max(33, .L_ZN7rocprim17ROCPRIM_400000_NS6detail26segmented_warp_sort_helperINS1_20WarpSortHelperConfigILj8ELj4ELj256EEE6__halflLi256ELb0EvE4sortIPKS5_PS5_PKlPlEEvT_SA_T0_T1_SD_T2_bjjjjRNS6_12storage_typeE.numbered_sgpr)
	.set _ZN7rocprim17ROCPRIM_400000_NS6detail17trampoline_kernelINS0_14default_configENS1_36segmented_radix_sort_config_selectorI6__halflEEZNS1_25segmented_radix_sort_implIS3_Lb0EPKS5_PS5_PKlPlN2at6native12_GLOBAL__N_18offset_tEEE10hipError_tPvRmT1_PNSt15iterator_traitsISL_E10value_typeET2_T3_PNSM_ISR_E10value_typeET4_jRbjT5_SX_jjP12ihipStream_tbEUlT_E1_NS1_11comp_targetILNS1_3genE2ELNS1_11target_archE906ELNS1_3gpuE6ELNS1_3repE0EEENS1_59segmented_radix_sort_warp_sort_small_config_static_selectorELNS0_4arch9wavefront6targetE1EEEvSL_.num_named_barrier, max(0, .L_ZN7rocprim17ROCPRIM_400000_NS6detail26segmented_warp_sort_helperINS1_20WarpSortHelperConfigILj8ELj4ELj256EEE6__halflLi256ELb0EvE4sortIPKS5_PS5_PKlPlEEvT_SA_T0_T1_SD_T2_bjjjjRNS6_12storage_typeE.num_named_barrier)
	.set _ZN7rocprim17ROCPRIM_400000_NS6detail17trampoline_kernelINS0_14default_configENS1_36segmented_radix_sort_config_selectorI6__halflEEZNS1_25segmented_radix_sort_implIS3_Lb0EPKS5_PS5_PKlPlN2at6native12_GLOBAL__N_18offset_tEEE10hipError_tPvRmT1_PNSt15iterator_traitsISL_E10value_typeET2_T3_PNSM_ISR_E10value_typeET4_jRbjT5_SX_jjP12ihipStream_tbEUlT_E1_NS1_11comp_targetILNS1_3genE2ELNS1_11target_archE906ELNS1_3gpuE6ELNS1_3repE0EEENS1_59segmented_radix_sort_warp_sort_small_config_static_selectorELNS0_4arch9wavefront6targetE1EEEvSL_.private_seg_size, 0+max(.L_ZN7rocprim17ROCPRIM_400000_NS6detail26segmented_warp_sort_helperINS1_20WarpSortHelperConfigILj8ELj4ELj256EEE6__halflLi256ELb0EvE4sortIPKS5_PS5_PKlPlEEvT_SA_T0_T1_SD_T2_bjjjjRNS6_12storage_typeE.private_seg_size)
	.set _ZN7rocprim17ROCPRIM_400000_NS6detail17trampoline_kernelINS0_14default_configENS1_36segmented_radix_sort_config_selectorI6__halflEEZNS1_25segmented_radix_sort_implIS3_Lb0EPKS5_PS5_PKlPlN2at6native12_GLOBAL__N_18offset_tEEE10hipError_tPvRmT1_PNSt15iterator_traitsISL_E10value_typeET2_T3_PNSM_ISR_E10value_typeET4_jRbjT5_SX_jjP12ihipStream_tbEUlT_E1_NS1_11comp_targetILNS1_3genE2ELNS1_11target_archE906ELNS1_3gpuE6ELNS1_3repE0EEENS1_59segmented_radix_sort_warp_sort_small_config_static_selectorELNS0_4arch9wavefront6targetE1EEEvSL_.uses_vcc, or(1, .L_ZN7rocprim17ROCPRIM_400000_NS6detail26segmented_warp_sort_helperINS1_20WarpSortHelperConfigILj8ELj4ELj256EEE6__halflLi256ELb0EvE4sortIPKS5_PS5_PKlPlEEvT_SA_T0_T1_SD_T2_bjjjjRNS6_12storage_typeE.uses_vcc)
	.set _ZN7rocprim17ROCPRIM_400000_NS6detail17trampoline_kernelINS0_14default_configENS1_36segmented_radix_sort_config_selectorI6__halflEEZNS1_25segmented_radix_sort_implIS3_Lb0EPKS5_PS5_PKlPlN2at6native12_GLOBAL__N_18offset_tEEE10hipError_tPvRmT1_PNSt15iterator_traitsISL_E10value_typeET2_T3_PNSM_ISR_E10value_typeET4_jRbjT5_SX_jjP12ihipStream_tbEUlT_E1_NS1_11comp_targetILNS1_3genE2ELNS1_11target_archE906ELNS1_3gpuE6ELNS1_3repE0EEENS1_59segmented_radix_sort_warp_sort_small_config_static_selectorELNS0_4arch9wavefront6targetE1EEEvSL_.uses_flat_scratch, or(0, .L_ZN7rocprim17ROCPRIM_400000_NS6detail26segmented_warp_sort_helperINS1_20WarpSortHelperConfigILj8ELj4ELj256EEE6__halflLi256ELb0EvE4sortIPKS5_PS5_PKlPlEEvT_SA_T0_T1_SD_T2_bjjjjRNS6_12storage_typeE.uses_flat_scratch)
	.set _ZN7rocprim17ROCPRIM_400000_NS6detail17trampoline_kernelINS0_14default_configENS1_36segmented_radix_sort_config_selectorI6__halflEEZNS1_25segmented_radix_sort_implIS3_Lb0EPKS5_PS5_PKlPlN2at6native12_GLOBAL__N_18offset_tEEE10hipError_tPvRmT1_PNSt15iterator_traitsISL_E10value_typeET2_T3_PNSM_ISR_E10value_typeET4_jRbjT5_SX_jjP12ihipStream_tbEUlT_E1_NS1_11comp_targetILNS1_3genE2ELNS1_11target_archE906ELNS1_3gpuE6ELNS1_3repE0EEENS1_59segmented_radix_sort_warp_sort_small_config_static_selectorELNS0_4arch9wavefront6targetE1EEEvSL_.has_dyn_sized_stack, or(0, .L_ZN7rocprim17ROCPRIM_400000_NS6detail26segmented_warp_sort_helperINS1_20WarpSortHelperConfigILj8ELj4ELj256EEE6__halflLi256ELb0EvE4sortIPKS5_PS5_PKlPlEEvT_SA_T0_T1_SD_T2_bjjjjRNS6_12storage_typeE.has_dyn_sized_stack)
	.set _ZN7rocprim17ROCPRIM_400000_NS6detail17trampoline_kernelINS0_14default_configENS1_36segmented_radix_sort_config_selectorI6__halflEEZNS1_25segmented_radix_sort_implIS3_Lb0EPKS5_PS5_PKlPlN2at6native12_GLOBAL__N_18offset_tEEE10hipError_tPvRmT1_PNSt15iterator_traitsISL_E10value_typeET2_T3_PNSM_ISR_E10value_typeET4_jRbjT5_SX_jjP12ihipStream_tbEUlT_E1_NS1_11comp_targetILNS1_3genE2ELNS1_11target_archE906ELNS1_3gpuE6ELNS1_3repE0EEENS1_59segmented_radix_sort_warp_sort_small_config_static_selectorELNS0_4arch9wavefront6targetE1EEEvSL_.has_recursion, or(0, .L_ZN7rocprim17ROCPRIM_400000_NS6detail26segmented_warp_sort_helperINS1_20WarpSortHelperConfigILj8ELj4ELj256EEE6__halflLi256ELb0EvE4sortIPKS5_PS5_PKlPlEEvT_SA_T0_T1_SD_T2_bjjjjRNS6_12storage_typeE.has_recursion)
	.set _ZN7rocprim17ROCPRIM_400000_NS6detail17trampoline_kernelINS0_14default_configENS1_36segmented_radix_sort_config_selectorI6__halflEEZNS1_25segmented_radix_sort_implIS3_Lb0EPKS5_PS5_PKlPlN2at6native12_GLOBAL__N_18offset_tEEE10hipError_tPvRmT1_PNSt15iterator_traitsISL_E10value_typeET2_T3_PNSM_ISR_E10value_typeET4_jRbjT5_SX_jjP12ihipStream_tbEUlT_E1_NS1_11comp_targetILNS1_3genE2ELNS1_11target_archE906ELNS1_3gpuE6ELNS1_3repE0EEENS1_59segmented_radix_sort_warp_sort_small_config_static_selectorELNS0_4arch9wavefront6targetE1EEEvSL_.has_indirect_call, or(0, .L_ZN7rocprim17ROCPRIM_400000_NS6detail26segmented_warp_sort_helperINS1_20WarpSortHelperConfigILj8ELj4ELj256EEE6__halflLi256ELb0EvE4sortIPKS5_PS5_PKlPlEEvT_SA_T0_T1_SD_T2_bjjjjRNS6_12storage_typeE.has_indirect_call)
	.section	.AMDGPU.csdata,"",@progbits
; Kernel info:
; codeLenInByte = 344
; TotalNumSgprs: 46
; NumVgprs: 67
; ScratchSize: 0
; MemoryBound: 0
; FloatMode: 240
; IeeeMode: 1
; LDSByteSize: 10240 bytes/workgroup (compile time only)
; SGPRBlocks: 12
; VGPRBlocks: 16
; NumSGPRsForWavesPerEU: 97
; NumVGPRsForWavesPerEU: 67
; Occupancy: 3
; WaveLimiterHint : 0
; COMPUTE_PGM_RSRC2:SCRATCH_EN: 0
; COMPUTE_PGM_RSRC2:USER_SGPR: 6
; COMPUTE_PGM_RSRC2:TRAP_HANDLER: 0
; COMPUTE_PGM_RSRC2:TGID_X_EN: 1
; COMPUTE_PGM_RSRC2:TGID_Y_EN: 1
; COMPUTE_PGM_RSRC2:TGID_Z_EN: 0
; COMPUTE_PGM_RSRC2:TIDIG_COMP_CNT: 2
	.section	.text._ZN7rocprim17ROCPRIM_400000_NS6detail17trampoline_kernelINS0_14default_configENS1_36segmented_radix_sort_config_selectorI6__halflEEZNS1_25segmented_radix_sort_implIS3_Lb0EPKS5_PS5_PKlPlN2at6native12_GLOBAL__N_18offset_tEEE10hipError_tPvRmT1_PNSt15iterator_traitsISL_E10value_typeET2_T3_PNSM_ISR_E10value_typeET4_jRbjT5_SX_jjP12ihipStream_tbEUlT_E1_NS1_11comp_targetILNS1_3genE10ELNS1_11target_archE1201ELNS1_3gpuE5ELNS1_3repE0EEENS1_59segmented_radix_sort_warp_sort_small_config_static_selectorELNS0_4arch9wavefront6targetE1EEEvSL_,"axG",@progbits,_ZN7rocprim17ROCPRIM_400000_NS6detail17trampoline_kernelINS0_14default_configENS1_36segmented_radix_sort_config_selectorI6__halflEEZNS1_25segmented_radix_sort_implIS3_Lb0EPKS5_PS5_PKlPlN2at6native12_GLOBAL__N_18offset_tEEE10hipError_tPvRmT1_PNSt15iterator_traitsISL_E10value_typeET2_T3_PNSM_ISR_E10value_typeET4_jRbjT5_SX_jjP12ihipStream_tbEUlT_E1_NS1_11comp_targetILNS1_3genE10ELNS1_11target_archE1201ELNS1_3gpuE5ELNS1_3repE0EEENS1_59segmented_radix_sort_warp_sort_small_config_static_selectorELNS0_4arch9wavefront6targetE1EEEvSL_,comdat
	.globl	_ZN7rocprim17ROCPRIM_400000_NS6detail17trampoline_kernelINS0_14default_configENS1_36segmented_radix_sort_config_selectorI6__halflEEZNS1_25segmented_radix_sort_implIS3_Lb0EPKS5_PS5_PKlPlN2at6native12_GLOBAL__N_18offset_tEEE10hipError_tPvRmT1_PNSt15iterator_traitsISL_E10value_typeET2_T3_PNSM_ISR_E10value_typeET4_jRbjT5_SX_jjP12ihipStream_tbEUlT_E1_NS1_11comp_targetILNS1_3genE10ELNS1_11target_archE1201ELNS1_3gpuE5ELNS1_3repE0EEENS1_59segmented_radix_sort_warp_sort_small_config_static_selectorELNS0_4arch9wavefront6targetE1EEEvSL_ ; -- Begin function _ZN7rocprim17ROCPRIM_400000_NS6detail17trampoline_kernelINS0_14default_configENS1_36segmented_radix_sort_config_selectorI6__halflEEZNS1_25segmented_radix_sort_implIS3_Lb0EPKS5_PS5_PKlPlN2at6native12_GLOBAL__N_18offset_tEEE10hipError_tPvRmT1_PNSt15iterator_traitsISL_E10value_typeET2_T3_PNSM_ISR_E10value_typeET4_jRbjT5_SX_jjP12ihipStream_tbEUlT_E1_NS1_11comp_targetILNS1_3genE10ELNS1_11target_archE1201ELNS1_3gpuE5ELNS1_3repE0EEENS1_59segmented_radix_sort_warp_sort_small_config_static_selectorELNS0_4arch9wavefront6targetE1EEEvSL_
	.p2align	8
	.type	_ZN7rocprim17ROCPRIM_400000_NS6detail17trampoline_kernelINS0_14default_configENS1_36segmented_radix_sort_config_selectorI6__halflEEZNS1_25segmented_radix_sort_implIS3_Lb0EPKS5_PS5_PKlPlN2at6native12_GLOBAL__N_18offset_tEEE10hipError_tPvRmT1_PNSt15iterator_traitsISL_E10value_typeET2_T3_PNSM_ISR_E10value_typeET4_jRbjT5_SX_jjP12ihipStream_tbEUlT_E1_NS1_11comp_targetILNS1_3genE10ELNS1_11target_archE1201ELNS1_3gpuE5ELNS1_3repE0EEENS1_59segmented_radix_sort_warp_sort_small_config_static_selectorELNS0_4arch9wavefront6targetE1EEEvSL_,@function
_ZN7rocprim17ROCPRIM_400000_NS6detail17trampoline_kernelINS0_14default_configENS1_36segmented_radix_sort_config_selectorI6__halflEEZNS1_25segmented_radix_sort_implIS3_Lb0EPKS5_PS5_PKlPlN2at6native12_GLOBAL__N_18offset_tEEE10hipError_tPvRmT1_PNSt15iterator_traitsISL_E10value_typeET2_T3_PNSM_ISR_E10value_typeET4_jRbjT5_SX_jjP12ihipStream_tbEUlT_E1_NS1_11comp_targetILNS1_3genE10ELNS1_11target_archE1201ELNS1_3gpuE5ELNS1_3repE0EEENS1_59segmented_radix_sort_warp_sort_small_config_static_selectorELNS0_4arch9wavefront6targetE1EEEvSL_: ; @_ZN7rocprim17ROCPRIM_400000_NS6detail17trampoline_kernelINS0_14default_configENS1_36segmented_radix_sort_config_selectorI6__halflEEZNS1_25segmented_radix_sort_implIS3_Lb0EPKS5_PS5_PKlPlN2at6native12_GLOBAL__N_18offset_tEEE10hipError_tPvRmT1_PNSt15iterator_traitsISL_E10value_typeET2_T3_PNSM_ISR_E10value_typeET4_jRbjT5_SX_jjP12ihipStream_tbEUlT_E1_NS1_11comp_targetILNS1_3genE10ELNS1_11target_archE1201ELNS1_3gpuE5ELNS1_3repE0EEENS1_59segmented_radix_sort_warp_sort_small_config_static_selectorELNS0_4arch9wavefront6targetE1EEEvSL_
; %bb.0:
	.section	.rodata,"a",@progbits
	.p2align	6, 0x0
	.amdhsa_kernel _ZN7rocprim17ROCPRIM_400000_NS6detail17trampoline_kernelINS0_14default_configENS1_36segmented_radix_sort_config_selectorI6__halflEEZNS1_25segmented_radix_sort_implIS3_Lb0EPKS5_PS5_PKlPlN2at6native12_GLOBAL__N_18offset_tEEE10hipError_tPvRmT1_PNSt15iterator_traitsISL_E10value_typeET2_T3_PNSM_ISR_E10value_typeET4_jRbjT5_SX_jjP12ihipStream_tbEUlT_E1_NS1_11comp_targetILNS1_3genE10ELNS1_11target_archE1201ELNS1_3gpuE5ELNS1_3repE0EEENS1_59segmented_radix_sort_warp_sort_small_config_static_selectorELNS0_4arch9wavefront6targetE1EEEvSL_
		.amdhsa_group_segment_fixed_size 0
		.amdhsa_private_segment_fixed_size 0
		.amdhsa_kernarg_size 88
		.amdhsa_user_sgpr_count 6
		.amdhsa_user_sgpr_private_segment_buffer 1
		.amdhsa_user_sgpr_dispatch_ptr 0
		.amdhsa_user_sgpr_queue_ptr 0
		.amdhsa_user_sgpr_kernarg_segment_ptr 1
		.amdhsa_user_sgpr_dispatch_id 0
		.amdhsa_user_sgpr_flat_scratch_init 0
		.amdhsa_user_sgpr_private_segment_size 0
		.amdhsa_uses_dynamic_stack 0
		.amdhsa_system_sgpr_private_segment_wavefront_offset 0
		.amdhsa_system_sgpr_workgroup_id_x 1
		.amdhsa_system_sgpr_workgroup_id_y 0
		.amdhsa_system_sgpr_workgroup_id_z 0
		.amdhsa_system_sgpr_workgroup_info 0
		.amdhsa_system_vgpr_workitem_id 0
		.amdhsa_next_free_vgpr 1
		.amdhsa_next_free_sgpr 0
		.amdhsa_reserve_vcc 0
		.amdhsa_reserve_flat_scratch 0
		.amdhsa_float_round_mode_32 0
		.amdhsa_float_round_mode_16_64 0
		.amdhsa_float_denorm_mode_32 3
		.amdhsa_float_denorm_mode_16_64 3
		.amdhsa_dx10_clamp 1
		.amdhsa_ieee_mode 1
		.amdhsa_fp16_overflow 0
		.amdhsa_exception_fp_ieee_invalid_op 0
		.amdhsa_exception_fp_denorm_src 0
		.amdhsa_exception_fp_ieee_div_zero 0
		.amdhsa_exception_fp_ieee_overflow 0
		.amdhsa_exception_fp_ieee_underflow 0
		.amdhsa_exception_fp_ieee_inexact 0
		.amdhsa_exception_int_div_zero 0
	.end_amdhsa_kernel
	.section	.text._ZN7rocprim17ROCPRIM_400000_NS6detail17trampoline_kernelINS0_14default_configENS1_36segmented_radix_sort_config_selectorI6__halflEEZNS1_25segmented_radix_sort_implIS3_Lb0EPKS5_PS5_PKlPlN2at6native12_GLOBAL__N_18offset_tEEE10hipError_tPvRmT1_PNSt15iterator_traitsISL_E10value_typeET2_T3_PNSM_ISR_E10value_typeET4_jRbjT5_SX_jjP12ihipStream_tbEUlT_E1_NS1_11comp_targetILNS1_3genE10ELNS1_11target_archE1201ELNS1_3gpuE5ELNS1_3repE0EEENS1_59segmented_radix_sort_warp_sort_small_config_static_selectorELNS0_4arch9wavefront6targetE1EEEvSL_,"axG",@progbits,_ZN7rocprim17ROCPRIM_400000_NS6detail17trampoline_kernelINS0_14default_configENS1_36segmented_radix_sort_config_selectorI6__halflEEZNS1_25segmented_radix_sort_implIS3_Lb0EPKS5_PS5_PKlPlN2at6native12_GLOBAL__N_18offset_tEEE10hipError_tPvRmT1_PNSt15iterator_traitsISL_E10value_typeET2_T3_PNSM_ISR_E10value_typeET4_jRbjT5_SX_jjP12ihipStream_tbEUlT_E1_NS1_11comp_targetILNS1_3genE10ELNS1_11target_archE1201ELNS1_3gpuE5ELNS1_3repE0EEENS1_59segmented_radix_sort_warp_sort_small_config_static_selectorELNS0_4arch9wavefront6targetE1EEEvSL_,comdat
.Lfunc_end1868:
	.size	_ZN7rocprim17ROCPRIM_400000_NS6detail17trampoline_kernelINS0_14default_configENS1_36segmented_radix_sort_config_selectorI6__halflEEZNS1_25segmented_radix_sort_implIS3_Lb0EPKS5_PS5_PKlPlN2at6native12_GLOBAL__N_18offset_tEEE10hipError_tPvRmT1_PNSt15iterator_traitsISL_E10value_typeET2_T3_PNSM_ISR_E10value_typeET4_jRbjT5_SX_jjP12ihipStream_tbEUlT_E1_NS1_11comp_targetILNS1_3genE10ELNS1_11target_archE1201ELNS1_3gpuE5ELNS1_3repE0EEENS1_59segmented_radix_sort_warp_sort_small_config_static_selectorELNS0_4arch9wavefront6targetE1EEEvSL_, .Lfunc_end1868-_ZN7rocprim17ROCPRIM_400000_NS6detail17trampoline_kernelINS0_14default_configENS1_36segmented_radix_sort_config_selectorI6__halflEEZNS1_25segmented_radix_sort_implIS3_Lb0EPKS5_PS5_PKlPlN2at6native12_GLOBAL__N_18offset_tEEE10hipError_tPvRmT1_PNSt15iterator_traitsISL_E10value_typeET2_T3_PNSM_ISR_E10value_typeET4_jRbjT5_SX_jjP12ihipStream_tbEUlT_E1_NS1_11comp_targetILNS1_3genE10ELNS1_11target_archE1201ELNS1_3gpuE5ELNS1_3repE0EEENS1_59segmented_radix_sort_warp_sort_small_config_static_selectorELNS0_4arch9wavefront6targetE1EEEvSL_
                                        ; -- End function
	.set _ZN7rocprim17ROCPRIM_400000_NS6detail17trampoline_kernelINS0_14default_configENS1_36segmented_radix_sort_config_selectorI6__halflEEZNS1_25segmented_radix_sort_implIS3_Lb0EPKS5_PS5_PKlPlN2at6native12_GLOBAL__N_18offset_tEEE10hipError_tPvRmT1_PNSt15iterator_traitsISL_E10value_typeET2_T3_PNSM_ISR_E10value_typeET4_jRbjT5_SX_jjP12ihipStream_tbEUlT_E1_NS1_11comp_targetILNS1_3genE10ELNS1_11target_archE1201ELNS1_3gpuE5ELNS1_3repE0EEENS1_59segmented_radix_sort_warp_sort_small_config_static_selectorELNS0_4arch9wavefront6targetE1EEEvSL_.num_vgpr, 0
	.set _ZN7rocprim17ROCPRIM_400000_NS6detail17trampoline_kernelINS0_14default_configENS1_36segmented_radix_sort_config_selectorI6__halflEEZNS1_25segmented_radix_sort_implIS3_Lb0EPKS5_PS5_PKlPlN2at6native12_GLOBAL__N_18offset_tEEE10hipError_tPvRmT1_PNSt15iterator_traitsISL_E10value_typeET2_T3_PNSM_ISR_E10value_typeET4_jRbjT5_SX_jjP12ihipStream_tbEUlT_E1_NS1_11comp_targetILNS1_3genE10ELNS1_11target_archE1201ELNS1_3gpuE5ELNS1_3repE0EEENS1_59segmented_radix_sort_warp_sort_small_config_static_selectorELNS0_4arch9wavefront6targetE1EEEvSL_.num_agpr, 0
	.set _ZN7rocprim17ROCPRIM_400000_NS6detail17trampoline_kernelINS0_14default_configENS1_36segmented_radix_sort_config_selectorI6__halflEEZNS1_25segmented_radix_sort_implIS3_Lb0EPKS5_PS5_PKlPlN2at6native12_GLOBAL__N_18offset_tEEE10hipError_tPvRmT1_PNSt15iterator_traitsISL_E10value_typeET2_T3_PNSM_ISR_E10value_typeET4_jRbjT5_SX_jjP12ihipStream_tbEUlT_E1_NS1_11comp_targetILNS1_3genE10ELNS1_11target_archE1201ELNS1_3gpuE5ELNS1_3repE0EEENS1_59segmented_radix_sort_warp_sort_small_config_static_selectorELNS0_4arch9wavefront6targetE1EEEvSL_.numbered_sgpr, 0
	.set _ZN7rocprim17ROCPRIM_400000_NS6detail17trampoline_kernelINS0_14default_configENS1_36segmented_radix_sort_config_selectorI6__halflEEZNS1_25segmented_radix_sort_implIS3_Lb0EPKS5_PS5_PKlPlN2at6native12_GLOBAL__N_18offset_tEEE10hipError_tPvRmT1_PNSt15iterator_traitsISL_E10value_typeET2_T3_PNSM_ISR_E10value_typeET4_jRbjT5_SX_jjP12ihipStream_tbEUlT_E1_NS1_11comp_targetILNS1_3genE10ELNS1_11target_archE1201ELNS1_3gpuE5ELNS1_3repE0EEENS1_59segmented_radix_sort_warp_sort_small_config_static_selectorELNS0_4arch9wavefront6targetE1EEEvSL_.num_named_barrier, 0
	.set _ZN7rocprim17ROCPRIM_400000_NS6detail17trampoline_kernelINS0_14default_configENS1_36segmented_radix_sort_config_selectorI6__halflEEZNS1_25segmented_radix_sort_implIS3_Lb0EPKS5_PS5_PKlPlN2at6native12_GLOBAL__N_18offset_tEEE10hipError_tPvRmT1_PNSt15iterator_traitsISL_E10value_typeET2_T3_PNSM_ISR_E10value_typeET4_jRbjT5_SX_jjP12ihipStream_tbEUlT_E1_NS1_11comp_targetILNS1_3genE10ELNS1_11target_archE1201ELNS1_3gpuE5ELNS1_3repE0EEENS1_59segmented_radix_sort_warp_sort_small_config_static_selectorELNS0_4arch9wavefront6targetE1EEEvSL_.private_seg_size, 0
	.set _ZN7rocprim17ROCPRIM_400000_NS6detail17trampoline_kernelINS0_14default_configENS1_36segmented_radix_sort_config_selectorI6__halflEEZNS1_25segmented_radix_sort_implIS3_Lb0EPKS5_PS5_PKlPlN2at6native12_GLOBAL__N_18offset_tEEE10hipError_tPvRmT1_PNSt15iterator_traitsISL_E10value_typeET2_T3_PNSM_ISR_E10value_typeET4_jRbjT5_SX_jjP12ihipStream_tbEUlT_E1_NS1_11comp_targetILNS1_3genE10ELNS1_11target_archE1201ELNS1_3gpuE5ELNS1_3repE0EEENS1_59segmented_radix_sort_warp_sort_small_config_static_selectorELNS0_4arch9wavefront6targetE1EEEvSL_.uses_vcc, 0
	.set _ZN7rocprim17ROCPRIM_400000_NS6detail17trampoline_kernelINS0_14default_configENS1_36segmented_radix_sort_config_selectorI6__halflEEZNS1_25segmented_radix_sort_implIS3_Lb0EPKS5_PS5_PKlPlN2at6native12_GLOBAL__N_18offset_tEEE10hipError_tPvRmT1_PNSt15iterator_traitsISL_E10value_typeET2_T3_PNSM_ISR_E10value_typeET4_jRbjT5_SX_jjP12ihipStream_tbEUlT_E1_NS1_11comp_targetILNS1_3genE10ELNS1_11target_archE1201ELNS1_3gpuE5ELNS1_3repE0EEENS1_59segmented_radix_sort_warp_sort_small_config_static_selectorELNS0_4arch9wavefront6targetE1EEEvSL_.uses_flat_scratch, 0
	.set _ZN7rocprim17ROCPRIM_400000_NS6detail17trampoline_kernelINS0_14default_configENS1_36segmented_radix_sort_config_selectorI6__halflEEZNS1_25segmented_radix_sort_implIS3_Lb0EPKS5_PS5_PKlPlN2at6native12_GLOBAL__N_18offset_tEEE10hipError_tPvRmT1_PNSt15iterator_traitsISL_E10value_typeET2_T3_PNSM_ISR_E10value_typeET4_jRbjT5_SX_jjP12ihipStream_tbEUlT_E1_NS1_11comp_targetILNS1_3genE10ELNS1_11target_archE1201ELNS1_3gpuE5ELNS1_3repE0EEENS1_59segmented_radix_sort_warp_sort_small_config_static_selectorELNS0_4arch9wavefront6targetE1EEEvSL_.has_dyn_sized_stack, 0
	.set _ZN7rocprim17ROCPRIM_400000_NS6detail17trampoline_kernelINS0_14default_configENS1_36segmented_radix_sort_config_selectorI6__halflEEZNS1_25segmented_radix_sort_implIS3_Lb0EPKS5_PS5_PKlPlN2at6native12_GLOBAL__N_18offset_tEEE10hipError_tPvRmT1_PNSt15iterator_traitsISL_E10value_typeET2_T3_PNSM_ISR_E10value_typeET4_jRbjT5_SX_jjP12ihipStream_tbEUlT_E1_NS1_11comp_targetILNS1_3genE10ELNS1_11target_archE1201ELNS1_3gpuE5ELNS1_3repE0EEENS1_59segmented_radix_sort_warp_sort_small_config_static_selectorELNS0_4arch9wavefront6targetE1EEEvSL_.has_recursion, 0
	.set _ZN7rocprim17ROCPRIM_400000_NS6detail17trampoline_kernelINS0_14default_configENS1_36segmented_radix_sort_config_selectorI6__halflEEZNS1_25segmented_radix_sort_implIS3_Lb0EPKS5_PS5_PKlPlN2at6native12_GLOBAL__N_18offset_tEEE10hipError_tPvRmT1_PNSt15iterator_traitsISL_E10value_typeET2_T3_PNSM_ISR_E10value_typeET4_jRbjT5_SX_jjP12ihipStream_tbEUlT_E1_NS1_11comp_targetILNS1_3genE10ELNS1_11target_archE1201ELNS1_3gpuE5ELNS1_3repE0EEENS1_59segmented_radix_sort_warp_sort_small_config_static_selectorELNS0_4arch9wavefront6targetE1EEEvSL_.has_indirect_call, 0
	.section	.AMDGPU.csdata,"",@progbits
; Kernel info:
; codeLenInByte = 0
; TotalNumSgprs: 4
; NumVgprs: 0
; ScratchSize: 0
; MemoryBound: 0
; FloatMode: 240
; IeeeMode: 1
; LDSByteSize: 0 bytes/workgroup (compile time only)
; SGPRBlocks: 0
; VGPRBlocks: 0
; NumSGPRsForWavesPerEU: 4
; NumVGPRsForWavesPerEU: 1
; Occupancy: 10
; WaveLimiterHint : 0
; COMPUTE_PGM_RSRC2:SCRATCH_EN: 0
; COMPUTE_PGM_RSRC2:USER_SGPR: 6
; COMPUTE_PGM_RSRC2:TRAP_HANDLER: 0
; COMPUTE_PGM_RSRC2:TGID_X_EN: 1
; COMPUTE_PGM_RSRC2:TGID_Y_EN: 0
; COMPUTE_PGM_RSRC2:TGID_Z_EN: 0
; COMPUTE_PGM_RSRC2:TIDIG_COMP_CNT: 0
	.section	.text._ZN7rocprim17ROCPRIM_400000_NS6detail17trampoline_kernelINS0_14default_configENS1_36segmented_radix_sort_config_selectorI6__halflEEZNS1_25segmented_radix_sort_implIS3_Lb0EPKS5_PS5_PKlPlN2at6native12_GLOBAL__N_18offset_tEEE10hipError_tPvRmT1_PNSt15iterator_traitsISL_E10value_typeET2_T3_PNSM_ISR_E10value_typeET4_jRbjT5_SX_jjP12ihipStream_tbEUlT_E1_NS1_11comp_targetILNS1_3genE10ELNS1_11target_archE1200ELNS1_3gpuE4ELNS1_3repE0EEENS1_59segmented_radix_sort_warp_sort_small_config_static_selectorELNS0_4arch9wavefront6targetE1EEEvSL_,"axG",@progbits,_ZN7rocprim17ROCPRIM_400000_NS6detail17trampoline_kernelINS0_14default_configENS1_36segmented_radix_sort_config_selectorI6__halflEEZNS1_25segmented_radix_sort_implIS3_Lb0EPKS5_PS5_PKlPlN2at6native12_GLOBAL__N_18offset_tEEE10hipError_tPvRmT1_PNSt15iterator_traitsISL_E10value_typeET2_T3_PNSM_ISR_E10value_typeET4_jRbjT5_SX_jjP12ihipStream_tbEUlT_E1_NS1_11comp_targetILNS1_3genE10ELNS1_11target_archE1200ELNS1_3gpuE4ELNS1_3repE0EEENS1_59segmented_radix_sort_warp_sort_small_config_static_selectorELNS0_4arch9wavefront6targetE1EEEvSL_,comdat
	.globl	_ZN7rocprim17ROCPRIM_400000_NS6detail17trampoline_kernelINS0_14default_configENS1_36segmented_radix_sort_config_selectorI6__halflEEZNS1_25segmented_radix_sort_implIS3_Lb0EPKS5_PS5_PKlPlN2at6native12_GLOBAL__N_18offset_tEEE10hipError_tPvRmT1_PNSt15iterator_traitsISL_E10value_typeET2_T3_PNSM_ISR_E10value_typeET4_jRbjT5_SX_jjP12ihipStream_tbEUlT_E1_NS1_11comp_targetILNS1_3genE10ELNS1_11target_archE1200ELNS1_3gpuE4ELNS1_3repE0EEENS1_59segmented_radix_sort_warp_sort_small_config_static_selectorELNS0_4arch9wavefront6targetE1EEEvSL_ ; -- Begin function _ZN7rocprim17ROCPRIM_400000_NS6detail17trampoline_kernelINS0_14default_configENS1_36segmented_radix_sort_config_selectorI6__halflEEZNS1_25segmented_radix_sort_implIS3_Lb0EPKS5_PS5_PKlPlN2at6native12_GLOBAL__N_18offset_tEEE10hipError_tPvRmT1_PNSt15iterator_traitsISL_E10value_typeET2_T3_PNSM_ISR_E10value_typeET4_jRbjT5_SX_jjP12ihipStream_tbEUlT_E1_NS1_11comp_targetILNS1_3genE10ELNS1_11target_archE1200ELNS1_3gpuE4ELNS1_3repE0EEENS1_59segmented_radix_sort_warp_sort_small_config_static_selectorELNS0_4arch9wavefront6targetE1EEEvSL_
	.p2align	8
	.type	_ZN7rocprim17ROCPRIM_400000_NS6detail17trampoline_kernelINS0_14default_configENS1_36segmented_radix_sort_config_selectorI6__halflEEZNS1_25segmented_radix_sort_implIS3_Lb0EPKS5_PS5_PKlPlN2at6native12_GLOBAL__N_18offset_tEEE10hipError_tPvRmT1_PNSt15iterator_traitsISL_E10value_typeET2_T3_PNSM_ISR_E10value_typeET4_jRbjT5_SX_jjP12ihipStream_tbEUlT_E1_NS1_11comp_targetILNS1_3genE10ELNS1_11target_archE1200ELNS1_3gpuE4ELNS1_3repE0EEENS1_59segmented_radix_sort_warp_sort_small_config_static_selectorELNS0_4arch9wavefront6targetE1EEEvSL_,@function
_ZN7rocprim17ROCPRIM_400000_NS6detail17trampoline_kernelINS0_14default_configENS1_36segmented_radix_sort_config_selectorI6__halflEEZNS1_25segmented_radix_sort_implIS3_Lb0EPKS5_PS5_PKlPlN2at6native12_GLOBAL__N_18offset_tEEE10hipError_tPvRmT1_PNSt15iterator_traitsISL_E10value_typeET2_T3_PNSM_ISR_E10value_typeET4_jRbjT5_SX_jjP12ihipStream_tbEUlT_E1_NS1_11comp_targetILNS1_3genE10ELNS1_11target_archE1200ELNS1_3gpuE4ELNS1_3repE0EEENS1_59segmented_radix_sort_warp_sort_small_config_static_selectorELNS0_4arch9wavefront6targetE1EEEvSL_: ; @_ZN7rocprim17ROCPRIM_400000_NS6detail17trampoline_kernelINS0_14default_configENS1_36segmented_radix_sort_config_selectorI6__halflEEZNS1_25segmented_radix_sort_implIS3_Lb0EPKS5_PS5_PKlPlN2at6native12_GLOBAL__N_18offset_tEEE10hipError_tPvRmT1_PNSt15iterator_traitsISL_E10value_typeET2_T3_PNSM_ISR_E10value_typeET4_jRbjT5_SX_jjP12ihipStream_tbEUlT_E1_NS1_11comp_targetILNS1_3genE10ELNS1_11target_archE1200ELNS1_3gpuE4ELNS1_3repE0EEENS1_59segmented_radix_sort_warp_sort_small_config_static_selectorELNS0_4arch9wavefront6targetE1EEEvSL_
; %bb.0:
	.section	.rodata,"a",@progbits
	.p2align	6, 0x0
	.amdhsa_kernel _ZN7rocprim17ROCPRIM_400000_NS6detail17trampoline_kernelINS0_14default_configENS1_36segmented_radix_sort_config_selectorI6__halflEEZNS1_25segmented_radix_sort_implIS3_Lb0EPKS5_PS5_PKlPlN2at6native12_GLOBAL__N_18offset_tEEE10hipError_tPvRmT1_PNSt15iterator_traitsISL_E10value_typeET2_T3_PNSM_ISR_E10value_typeET4_jRbjT5_SX_jjP12ihipStream_tbEUlT_E1_NS1_11comp_targetILNS1_3genE10ELNS1_11target_archE1200ELNS1_3gpuE4ELNS1_3repE0EEENS1_59segmented_radix_sort_warp_sort_small_config_static_selectorELNS0_4arch9wavefront6targetE1EEEvSL_
		.amdhsa_group_segment_fixed_size 0
		.amdhsa_private_segment_fixed_size 0
		.amdhsa_kernarg_size 88
		.amdhsa_user_sgpr_count 6
		.amdhsa_user_sgpr_private_segment_buffer 1
		.amdhsa_user_sgpr_dispatch_ptr 0
		.amdhsa_user_sgpr_queue_ptr 0
		.amdhsa_user_sgpr_kernarg_segment_ptr 1
		.amdhsa_user_sgpr_dispatch_id 0
		.amdhsa_user_sgpr_flat_scratch_init 0
		.amdhsa_user_sgpr_private_segment_size 0
		.amdhsa_uses_dynamic_stack 0
		.amdhsa_system_sgpr_private_segment_wavefront_offset 0
		.amdhsa_system_sgpr_workgroup_id_x 1
		.amdhsa_system_sgpr_workgroup_id_y 0
		.amdhsa_system_sgpr_workgroup_id_z 0
		.amdhsa_system_sgpr_workgroup_info 0
		.amdhsa_system_vgpr_workitem_id 0
		.amdhsa_next_free_vgpr 1
		.amdhsa_next_free_sgpr 0
		.amdhsa_reserve_vcc 0
		.amdhsa_reserve_flat_scratch 0
		.amdhsa_float_round_mode_32 0
		.amdhsa_float_round_mode_16_64 0
		.amdhsa_float_denorm_mode_32 3
		.amdhsa_float_denorm_mode_16_64 3
		.amdhsa_dx10_clamp 1
		.amdhsa_ieee_mode 1
		.amdhsa_fp16_overflow 0
		.amdhsa_exception_fp_ieee_invalid_op 0
		.amdhsa_exception_fp_denorm_src 0
		.amdhsa_exception_fp_ieee_div_zero 0
		.amdhsa_exception_fp_ieee_overflow 0
		.amdhsa_exception_fp_ieee_underflow 0
		.amdhsa_exception_fp_ieee_inexact 0
		.amdhsa_exception_int_div_zero 0
	.end_amdhsa_kernel
	.section	.text._ZN7rocprim17ROCPRIM_400000_NS6detail17trampoline_kernelINS0_14default_configENS1_36segmented_radix_sort_config_selectorI6__halflEEZNS1_25segmented_radix_sort_implIS3_Lb0EPKS5_PS5_PKlPlN2at6native12_GLOBAL__N_18offset_tEEE10hipError_tPvRmT1_PNSt15iterator_traitsISL_E10value_typeET2_T3_PNSM_ISR_E10value_typeET4_jRbjT5_SX_jjP12ihipStream_tbEUlT_E1_NS1_11comp_targetILNS1_3genE10ELNS1_11target_archE1200ELNS1_3gpuE4ELNS1_3repE0EEENS1_59segmented_radix_sort_warp_sort_small_config_static_selectorELNS0_4arch9wavefront6targetE1EEEvSL_,"axG",@progbits,_ZN7rocprim17ROCPRIM_400000_NS6detail17trampoline_kernelINS0_14default_configENS1_36segmented_radix_sort_config_selectorI6__halflEEZNS1_25segmented_radix_sort_implIS3_Lb0EPKS5_PS5_PKlPlN2at6native12_GLOBAL__N_18offset_tEEE10hipError_tPvRmT1_PNSt15iterator_traitsISL_E10value_typeET2_T3_PNSM_ISR_E10value_typeET4_jRbjT5_SX_jjP12ihipStream_tbEUlT_E1_NS1_11comp_targetILNS1_3genE10ELNS1_11target_archE1200ELNS1_3gpuE4ELNS1_3repE0EEENS1_59segmented_radix_sort_warp_sort_small_config_static_selectorELNS0_4arch9wavefront6targetE1EEEvSL_,comdat
.Lfunc_end1869:
	.size	_ZN7rocprim17ROCPRIM_400000_NS6detail17trampoline_kernelINS0_14default_configENS1_36segmented_radix_sort_config_selectorI6__halflEEZNS1_25segmented_radix_sort_implIS3_Lb0EPKS5_PS5_PKlPlN2at6native12_GLOBAL__N_18offset_tEEE10hipError_tPvRmT1_PNSt15iterator_traitsISL_E10value_typeET2_T3_PNSM_ISR_E10value_typeET4_jRbjT5_SX_jjP12ihipStream_tbEUlT_E1_NS1_11comp_targetILNS1_3genE10ELNS1_11target_archE1200ELNS1_3gpuE4ELNS1_3repE0EEENS1_59segmented_radix_sort_warp_sort_small_config_static_selectorELNS0_4arch9wavefront6targetE1EEEvSL_, .Lfunc_end1869-_ZN7rocprim17ROCPRIM_400000_NS6detail17trampoline_kernelINS0_14default_configENS1_36segmented_radix_sort_config_selectorI6__halflEEZNS1_25segmented_radix_sort_implIS3_Lb0EPKS5_PS5_PKlPlN2at6native12_GLOBAL__N_18offset_tEEE10hipError_tPvRmT1_PNSt15iterator_traitsISL_E10value_typeET2_T3_PNSM_ISR_E10value_typeET4_jRbjT5_SX_jjP12ihipStream_tbEUlT_E1_NS1_11comp_targetILNS1_3genE10ELNS1_11target_archE1200ELNS1_3gpuE4ELNS1_3repE0EEENS1_59segmented_radix_sort_warp_sort_small_config_static_selectorELNS0_4arch9wavefront6targetE1EEEvSL_
                                        ; -- End function
	.set _ZN7rocprim17ROCPRIM_400000_NS6detail17trampoline_kernelINS0_14default_configENS1_36segmented_radix_sort_config_selectorI6__halflEEZNS1_25segmented_radix_sort_implIS3_Lb0EPKS5_PS5_PKlPlN2at6native12_GLOBAL__N_18offset_tEEE10hipError_tPvRmT1_PNSt15iterator_traitsISL_E10value_typeET2_T3_PNSM_ISR_E10value_typeET4_jRbjT5_SX_jjP12ihipStream_tbEUlT_E1_NS1_11comp_targetILNS1_3genE10ELNS1_11target_archE1200ELNS1_3gpuE4ELNS1_3repE0EEENS1_59segmented_radix_sort_warp_sort_small_config_static_selectorELNS0_4arch9wavefront6targetE1EEEvSL_.num_vgpr, 0
	.set _ZN7rocprim17ROCPRIM_400000_NS6detail17trampoline_kernelINS0_14default_configENS1_36segmented_radix_sort_config_selectorI6__halflEEZNS1_25segmented_radix_sort_implIS3_Lb0EPKS5_PS5_PKlPlN2at6native12_GLOBAL__N_18offset_tEEE10hipError_tPvRmT1_PNSt15iterator_traitsISL_E10value_typeET2_T3_PNSM_ISR_E10value_typeET4_jRbjT5_SX_jjP12ihipStream_tbEUlT_E1_NS1_11comp_targetILNS1_3genE10ELNS1_11target_archE1200ELNS1_3gpuE4ELNS1_3repE0EEENS1_59segmented_radix_sort_warp_sort_small_config_static_selectorELNS0_4arch9wavefront6targetE1EEEvSL_.num_agpr, 0
	.set _ZN7rocprim17ROCPRIM_400000_NS6detail17trampoline_kernelINS0_14default_configENS1_36segmented_radix_sort_config_selectorI6__halflEEZNS1_25segmented_radix_sort_implIS3_Lb0EPKS5_PS5_PKlPlN2at6native12_GLOBAL__N_18offset_tEEE10hipError_tPvRmT1_PNSt15iterator_traitsISL_E10value_typeET2_T3_PNSM_ISR_E10value_typeET4_jRbjT5_SX_jjP12ihipStream_tbEUlT_E1_NS1_11comp_targetILNS1_3genE10ELNS1_11target_archE1200ELNS1_3gpuE4ELNS1_3repE0EEENS1_59segmented_radix_sort_warp_sort_small_config_static_selectorELNS0_4arch9wavefront6targetE1EEEvSL_.numbered_sgpr, 0
	.set _ZN7rocprim17ROCPRIM_400000_NS6detail17trampoline_kernelINS0_14default_configENS1_36segmented_radix_sort_config_selectorI6__halflEEZNS1_25segmented_radix_sort_implIS3_Lb0EPKS5_PS5_PKlPlN2at6native12_GLOBAL__N_18offset_tEEE10hipError_tPvRmT1_PNSt15iterator_traitsISL_E10value_typeET2_T3_PNSM_ISR_E10value_typeET4_jRbjT5_SX_jjP12ihipStream_tbEUlT_E1_NS1_11comp_targetILNS1_3genE10ELNS1_11target_archE1200ELNS1_3gpuE4ELNS1_3repE0EEENS1_59segmented_radix_sort_warp_sort_small_config_static_selectorELNS0_4arch9wavefront6targetE1EEEvSL_.num_named_barrier, 0
	.set _ZN7rocprim17ROCPRIM_400000_NS6detail17trampoline_kernelINS0_14default_configENS1_36segmented_radix_sort_config_selectorI6__halflEEZNS1_25segmented_radix_sort_implIS3_Lb0EPKS5_PS5_PKlPlN2at6native12_GLOBAL__N_18offset_tEEE10hipError_tPvRmT1_PNSt15iterator_traitsISL_E10value_typeET2_T3_PNSM_ISR_E10value_typeET4_jRbjT5_SX_jjP12ihipStream_tbEUlT_E1_NS1_11comp_targetILNS1_3genE10ELNS1_11target_archE1200ELNS1_3gpuE4ELNS1_3repE0EEENS1_59segmented_radix_sort_warp_sort_small_config_static_selectorELNS0_4arch9wavefront6targetE1EEEvSL_.private_seg_size, 0
	.set _ZN7rocprim17ROCPRIM_400000_NS6detail17trampoline_kernelINS0_14default_configENS1_36segmented_radix_sort_config_selectorI6__halflEEZNS1_25segmented_radix_sort_implIS3_Lb0EPKS5_PS5_PKlPlN2at6native12_GLOBAL__N_18offset_tEEE10hipError_tPvRmT1_PNSt15iterator_traitsISL_E10value_typeET2_T3_PNSM_ISR_E10value_typeET4_jRbjT5_SX_jjP12ihipStream_tbEUlT_E1_NS1_11comp_targetILNS1_3genE10ELNS1_11target_archE1200ELNS1_3gpuE4ELNS1_3repE0EEENS1_59segmented_radix_sort_warp_sort_small_config_static_selectorELNS0_4arch9wavefront6targetE1EEEvSL_.uses_vcc, 0
	.set _ZN7rocprim17ROCPRIM_400000_NS6detail17trampoline_kernelINS0_14default_configENS1_36segmented_radix_sort_config_selectorI6__halflEEZNS1_25segmented_radix_sort_implIS3_Lb0EPKS5_PS5_PKlPlN2at6native12_GLOBAL__N_18offset_tEEE10hipError_tPvRmT1_PNSt15iterator_traitsISL_E10value_typeET2_T3_PNSM_ISR_E10value_typeET4_jRbjT5_SX_jjP12ihipStream_tbEUlT_E1_NS1_11comp_targetILNS1_3genE10ELNS1_11target_archE1200ELNS1_3gpuE4ELNS1_3repE0EEENS1_59segmented_radix_sort_warp_sort_small_config_static_selectorELNS0_4arch9wavefront6targetE1EEEvSL_.uses_flat_scratch, 0
	.set _ZN7rocprim17ROCPRIM_400000_NS6detail17trampoline_kernelINS0_14default_configENS1_36segmented_radix_sort_config_selectorI6__halflEEZNS1_25segmented_radix_sort_implIS3_Lb0EPKS5_PS5_PKlPlN2at6native12_GLOBAL__N_18offset_tEEE10hipError_tPvRmT1_PNSt15iterator_traitsISL_E10value_typeET2_T3_PNSM_ISR_E10value_typeET4_jRbjT5_SX_jjP12ihipStream_tbEUlT_E1_NS1_11comp_targetILNS1_3genE10ELNS1_11target_archE1200ELNS1_3gpuE4ELNS1_3repE0EEENS1_59segmented_radix_sort_warp_sort_small_config_static_selectorELNS0_4arch9wavefront6targetE1EEEvSL_.has_dyn_sized_stack, 0
	.set _ZN7rocprim17ROCPRIM_400000_NS6detail17trampoline_kernelINS0_14default_configENS1_36segmented_radix_sort_config_selectorI6__halflEEZNS1_25segmented_radix_sort_implIS3_Lb0EPKS5_PS5_PKlPlN2at6native12_GLOBAL__N_18offset_tEEE10hipError_tPvRmT1_PNSt15iterator_traitsISL_E10value_typeET2_T3_PNSM_ISR_E10value_typeET4_jRbjT5_SX_jjP12ihipStream_tbEUlT_E1_NS1_11comp_targetILNS1_3genE10ELNS1_11target_archE1200ELNS1_3gpuE4ELNS1_3repE0EEENS1_59segmented_radix_sort_warp_sort_small_config_static_selectorELNS0_4arch9wavefront6targetE1EEEvSL_.has_recursion, 0
	.set _ZN7rocprim17ROCPRIM_400000_NS6detail17trampoline_kernelINS0_14default_configENS1_36segmented_radix_sort_config_selectorI6__halflEEZNS1_25segmented_radix_sort_implIS3_Lb0EPKS5_PS5_PKlPlN2at6native12_GLOBAL__N_18offset_tEEE10hipError_tPvRmT1_PNSt15iterator_traitsISL_E10value_typeET2_T3_PNSM_ISR_E10value_typeET4_jRbjT5_SX_jjP12ihipStream_tbEUlT_E1_NS1_11comp_targetILNS1_3genE10ELNS1_11target_archE1200ELNS1_3gpuE4ELNS1_3repE0EEENS1_59segmented_radix_sort_warp_sort_small_config_static_selectorELNS0_4arch9wavefront6targetE1EEEvSL_.has_indirect_call, 0
	.section	.AMDGPU.csdata,"",@progbits
; Kernel info:
; codeLenInByte = 0
; TotalNumSgprs: 4
; NumVgprs: 0
; ScratchSize: 0
; MemoryBound: 0
; FloatMode: 240
; IeeeMode: 1
; LDSByteSize: 0 bytes/workgroup (compile time only)
; SGPRBlocks: 0
; VGPRBlocks: 0
; NumSGPRsForWavesPerEU: 4
; NumVGPRsForWavesPerEU: 1
; Occupancy: 10
; WaveLimiterHint : 0
; COMPUTE_PGM_RSRC2:SCRATCH_EN: 0
; COMPUTE_PGM_RSRC2:USER_SGPR: 6
; COMPUTE_PGM_RSRC2:TRAP_HANDLER: 0
; COMPUTE_PGM_RSRC2:TGID_X_EN: 1
; COMPUTE_PGM_RSRC2:TGID_Y_EN: 0
; COMPUTE_PGM_RSRC2:TGID_Z_EN: 0
; COMPUTE_PGM_RSRC2:TIDIG_COMP_CNT: 0
	.section	.text._ZN7rocprim17ROCPRIM_400000_NS6detail17trampoline_kernelINS0_14default_configENS1_36segmented_radix_sort_config_selectorI6__halflEEZNS1_25segmented_radix_sort_implIS3_Lb0EPKS5_PS5_PKlPlN2at6native12_GLOBAL__N_18offset_tEEE10hipError_tPvRmT1_PNSt15iterator_traitsISL_E10value_typeET2_T3_PNSM_ISR_E10value_typeET4_jRbjT5_SX_jjP12ihipStream_tbEUlT_E1_NS1_11comp_targetILNS1_3genE9ELNS1_11target_archE1100ELNS1_3gpuE3ELNS1_3repE0EEENS1_59segmented_radix_sort_warp_sort_small_config_static_selectorELNS0_4arch9wavefront6targetE1EEEvSL_,"axG",@progbits,_ZN7rocprim17ROCPRIM_400000_NS6detail17trampoline_kernelINS0_14default_configENS1_36segmented_radix_sort_config_selectorI6__halflEEZNS1_25segmented_radix_sort_implIS3_Lb0EPKS5_PS5_PKlPlN2at6native12_GLOBAL__N_18offset_tEEE10hipError_tPvRmT1_PNSt15iterator_traitsISL_E10value_typeET2_T3_PNSM_ISR_E10value_typeET4_jRbjT5_SX_jjP12ihipStream_tbEUlT_E1_NS1_11comp_targetILNS1_3genE9ELNS1_11target_archE1100ELNS1_3gpuE3ELNS1_3repE0EEENS1_59segmented_radix_sort_warp_sort_small_config_static_selectorELNS0_4arch9wavefront6targetE1EEEvSL_,comdat
	.globl	_ZN7rocprim17ROCPRIM_400000_NS6detail17trampoline_kernelINS0_14default_configENS1_36segmented_radix_sort_config_selectorI6__halflEEZNS1_25segmented_radix_sort_implIS3_Lb0EPKS5_PS5_PKlPlN2at6native12_GLOBAL__N_18offset_tEEE10hipError_tPvRmT1_PNSt15iterator_traitsISL_E10value_typeET2_T3_PNSM_ISR_E10value_typeET4_jRbjT5_SX_jjP12ihipStream_tbEUlT_E1_NS1_11comp_targetILNS1_3genE9ELNS1_11target_archE1100ELNS1_3gpuE3ELNS1_3repE0EEENS1_59segmented_radix_sort_warp_sort_small_config_static_selectorELNS0_4arch9wavefront6targetE1EEEvSL_ ; -- Begin function _ZN7rocprim17ROCPRIM_400000_NS6detail17trampoline_kernelINS0_14default_configENS1_36segmented_radix_sort_config_selectorI6__halflEEZNS1_25segmented_radix_sort_implIS3_Lb0EPKS5_PS5_PKlPlN2at6native12_GLOBAL__N_18offset_tEEE10hipError_tPvRmT1_PNSt15iterator_traitsISL_E10value_typeET2_T3_PNSM_ISR_E10value_typeET4_jRbjT5_SX_jjP12ihipStream_tbEUlT_E1_NS1_11comp_targetILNS1_3genE9ELNS1_11target_archE1100ELNS1_3gpuE3ELNS1_3repE0EEENS1_59segmented_radix_sort_warp_sort_small_config_static_selectorELNS0_4arch9wavefront6targetE1EEEvSL_
	.p2align	8
	.type	_ZN7rocprim17ROCPRIM_400000_NS6detail17trampoline_kernelINS0_14default_configENS1_36segmented_radix_sort_config_selectorI6__halflEEZNS1_25segmented_radix_sort_implIS3_Lb0EPKS5_PS5_PKlPlN2at6native12_GLOBAL__N_18offset_tEEE10hipError_tPvRmT1_PNSt15iterator_traitsISL_E10value_typeET2_T3_PNSM_ISR_E10value_typeET4_jRbjT5_SX_jjP12ihipStream_tbEUlT_E1_NS1_11comp_targetILNS1_3genE9ELNS1_11target_archE1100ELNS1_3gpuE3ELNS1_3repE0EEENS1_59segmented_radix_sort_warp_sort_small_config_static_selectorELNS0_4arch9wavefront6targetE1EEEvSL_,@function
_ZN7rocprim17ROCPRIM_400000_NS6detail17trampoline_kernelINS0_14default_configENS1_36segmented_radix_sort_config_selectorI6__halflEEZNS1_25segmented_radix_sort_implIS3_Lb0EPKS5_PS5_PKlPlN2at6native12_GLOBAL__N_18offset_tEEE10hipError_tPvRmT1_PNSt15iterator_traitsISL_E10value_typeET2_T3_PNSM_ISR_E10value_typeET4_jRbjT5_SX_jjP12ihipStream_tbEUlT_E1_NS1_11comp_targetILNS1_3genE9ELNS1_11target_archE1100ELNS1_3gpuE3ELNS1_3repE0EEENS1_59segmented_radix_sort_warp_sort_small_config_static_selectorELNS0_4arch9wavefront6targetE1EEEvSL_: ; @_ZN7rocprim17ROCPRIM_400000_NS6detail17trampoline_kernelINS0_14default_configENS1_36segmented_radix_sort_config_selectorI6__halflEEZNS1_25segmented_radix_sort_implIS3_Lb0EPKS5_PS5_PKlPlN2at6native12_GLOBAL__N_18offset_tEEE10hipError_tPvRmT1_PNSt15iterator_traitsISL_E10value_typeET2_T3_PNSM_ISR_E10value_typeET4_jRbjT5_SX_jjP12ihipStream_tbEUlT_E1_NS1_11comp_targetILNS1_3genE9ELNS1_11target_archE1100ELNS1_3gpuE3ELNS1_3repE0EEENS1_59segmented_radix_sort_warp_sort_small_config_static_selectorELNS0_4arch9wavefront6targetE1EEEvSL_
; %bb.0:
	.section	.rodata,"a",@progbits
	.p2align	6, 0x0
	.amdhsa_kernel _ZN7rocprim17ROCPRIM_400000_NS6detail17trampoline_kernelINS0_14default_configENS1_36segmented_radix_sort_config_selectorI6__halflEEZNS1_25segmented_radix_sort_implIS3_Lb0EPKS5_PS5_PKlPlN2at6native12_GLOBAL__N_18offset_tEEE10hipError_tPvRmT1_PNSt15iterator_traitsISL_E10value_typeET2_T3_PNSM_ISR_E10value_typeET4_jRbjT5_SX_jjP12ihipStream_tbEUlT_E1_NS1_11comp_targetILNS1_3genE9ELNS1_11target_archE1100ELNS1_3gpuE3ELNS1_3repE0EEENS1_59segmented_radix_sort_warp_sort_small_config_static_selectorELNS0_4arch9wavefront6targetE1EEEvSL_
		.amdhsa_group_segment_fixed_size 0
		.amdhsa_private_segment_fixed_size 0
		.amdhsa_kernarg_size 88
		.amdhsa_user_sgpr_count 6
		.amdhsa_user_sgpr_private_segment_buffer 1
		.amdhsa_user_sgpr_dispatch_ptr 0
		.amdhsa_user_sgpr_queue_ptr 0
		.amdhsa_user_sgpr_kernarg_segment_ptr 1
		.amdhsa_user_sgpr_dispatch_id 0
		.amdhsa_user_sgpr_flat_scratch_init 0
		.amdhsa_user_sgpr_private_segment_size 0
		.amdhsa_uses_dynamic_stack 0
		.amdhsa_system_sgpr_private_segment_wavefront_offset 0
		.amdhsa_system_sgpr_workgroup_id_x 1
		.amdhsa_system_sgpr_workgroup_id_y 0
		.amdhsa_system_sgpr_workgroup_id_z 0
		.amdhsa_system_sgpr_workgroup_info 0
		.amdhsa_system_vgpr_workitem_id 0
		.amdhsa_next_free_vgpr 1
		.amdhsa_next_free_sgpr 0
		.amdhsa_reserve_vcc 0
		.amdhsa_reserve_flat_scratch 0
		.amdhsa_float_round_mode_32 0
		.amdhsa_float_round_mode_16_64 0
		.amdhsa_float_denorm_mode_32 3
		.amdhsa_float_denorm_mode_16_64 3
		.amdhsa_dx10_clamp 1
		.amdhsa_ieee_mode 1
		.amdhsa_fp16_overflow 0
		.amdhsa_exception_fp_ieee_invalid_op 0
		.amdhsa_exception_fp_denorm_src 0
		.amdhsa_exception_fp_ieee_div_zero 0
		.amdhsa_exception_fp_ieee_overflow 0
		.amdhsa_exception_fp_ieee_underflow 0
		.amdhsa_exception_fp_ieee_inexact 0
		.amdhsa_exception_int_div_zero 0
	.end_amdhsa_kernel
	.section	.text._ZN7rocprim17ROCPRIM_400000_NS6detail17trampoline_kernelINS0_14default_configENS1_36segmented_radix_sort_config_selectorI6__halflEEZNS1_25segmented_radix_sort_implIS3_Lb0EPKS5_PS5_PKlPlN2at6native12_GLOBAL__N_18offset_tEEE10hipError_tPvRmT1_PNSt15iterator_traitsISL_E10value_typeET2_T3_PNSM_ISR_E10value_typeET4_jRbjT5_SX_jjP12ihipStream_tbEUlT_E1_NS1_11comp_targetILNS1_3genE9ELNS1_11target_archE1100ELNS1_3gpuE3ELNS1_3repE0EEENS1_59segmented_radix_sort_warp_sort_small_config_static_selectorELNS0_4arch9wavefront6targetE1EEEvSL_,"axG",@progbits,_ZN7rocprim17ROCPRIM_400000_NS6detail17trampoline_kernelINS0_14default_configENS1_36segmented_radix_sort_config_selectorI6__halflEEZNS1_25segmented_radix_sort_implIS3_Lb0EPKS5_PS5_PKlPlN2at6native12_GLOBAL__N_18offset_tEEE10hipError_tPvRmT1_PNSt15iterator_traitsISL_E10value_typeET2_T3_PNSM_ISR_E10value_typeET4_jRbjT5_SX_jjP12ihipStream_tbEUlT_E1_NS1_11comp_targetILNS1_3genE9ELNS1_11target_archE1100ELNS1_3gpuE3ELNS1_3repE0EEENS1_59segmented_radix_sort_warp_sort_small_config_static_selectorELNS0_4arch9wavefront6targetE1EEEvSL_,comdat
.Lfunc_end1870:
	.size	_ZN7rocprim17ROCPRIM_400000_NS6detail17trampoline_kernelINS0_14default_configENS1_36segmented_radix_sort_config_selectorI6__halflEEZNS1_25segmented_radix_sort_implIS3_Lb0EPKS5_PS5_PKlPlN2at6native12_GLOBAL__N_18offset_tEEE10hipError_tPvRmT1_PNSt15iterator_traitsISL_E10value_typeET2_T3_PNSM_ISR_E10value_typeET4_jRbjT5_SX_jjP12ihipStream_tbEUlT_E1_NS1_11comp_targetILNS1_3genE9ELNS1_11target_archE1100ELNS1_3gpuE3ELNS1_3repE0EEENS1_59segmented_radix_sort_warp_sort_small_config_static_selectorELNS0_4arch9wavefront6targetE1EEEvSL_, .Lfunc_end1870-_ZN7rocprim17ROCPRIM_400000_NS6detail17trampoline_kernelINS0_14default_configENS1_36segmented_radix_sort_config_selectorI6__halflEEZNS1_25segmented_radix_sort_implIS3_Lb0EPKS5_PS5_PKlPlN2at6native12_GLOBAL__N_18offset_tEEE10hipError_tPvRmT1_PNSt15iterator_traitsISL_E10value_typeET2_T3_PNSM_ISR_E10value_typeET4_jRbjT5_SX_jjP12ihipStream_tbEUlT_E1_NS1_11comp_targetILNS1_3genE9ELNS1_11target_archE1100ELNS1_3gpuE3ELNS1_3repE0EEENS1_59segmented_radix_sort_warp_sort_small_config_static_selectorELNS0_4arch9wavefront6targetE1EEEvSL_
                                        ; -- End function
	.set _ZN7rocprim17ROCPRIM_400000_NS6detail17trampoline_kernelINS0_14default_configENS1_36segmented_radix_sort_config_selectorI6__halflEEZNS1_25segmented_radix_sort_implIS3_Lb0EPKS5_PS5_PKlPlN2at6native12_GLOBAL__N_18offset_tEEE10hipError_tPvRmT1_PNSt15iterator_traitsISL_E10value_typeET2_T3_PNSM_ISR_E10value_typeET4_jRbjT5_SX_jjP12ihipStream_tbEUlT_E1_NS1_11comp_targetILNS1_3genE9ELNS1_11target_archE1100ELNS1_3gpuE3ELNS1_3repE0EEENS1_59segmented_radix_sort_warp_sort_small_config_static_selectorELNS0_4arch9wavefront6targetE1EEEvSL_.num_vgpr, 0
	.set _ZN7rocprim17ROCPRIM_400000_NS6detail17trampoline_kernelINS0_14default_configENS1_36segmented_radix_sort_config_selectorI6__halflEEZNS1_25segmented_radix_sort_implIS3_Lb0EPKS5_PS5_PKlPlN2at6native12_GLOBAL__N_18offset_tEEE10hipError_tPvRmT1_PNSt15iterator_traitsISL_E10value_typeET2_T3_PNSM_ISR_E10value_typeET4_jRbjT5_SX_jjP12ihipStream_tbEUlT_E1_NS1_11comp_targetILNS1_3genE9ELNS1_11target_archE1100ELNS1_3gpuE3ELNS1_3repE0EEENS1_59segmented_radix_sort_warp_sort_small_config_static_selectorELNS0_4arch9wavefront6targetE1EEEvSL_.num_agpr, 0
	.set _ZN7rocprim17ROCPRIM_400000_NS6detail17trampoline_kernelINS0_14default_configENS1_36segmented_radix_sort_config_selectorI6__halflEEZNS1_25segmented_radix_sort_implIS3_Lb0EPKS5_PS5_PKlPlN2at6native12_GLOBAL__N_18offset_tEEE10hipError_tPvRmT1_PNSt15iterator_traitsISL_E10value_typeET2_T3_PNSM_ISR_E10value_typeET4_jRbjT5_SX_jjP12ihipStream_tbEUlT_E1_NS1_11comp_targetILNS1_3genE9ELNS1_11target_archE1100ELNS1_3gpuE3ELNS1_3repE0EEENS1_59segmented_radix_sort_warp_sort_small_config_static_selectorELNS0_4arch9wavefront6targetE1EEEvSL_.numbered_sgpr, 0
	.set _ZN7rocprim17ROCPRIM_400000_NS6detail17trampoline_kernelINS0_14default_configENS1_36segmented_radix_sort_config_selectorI6__halflEEZNS1_25segmented_radix_sort_implIS3_Lb0EPKS5_PS5_PKlPlN2at6native12_GLOBAL__N_18offset_tEEE10hipError_tPvRmT1_PNSt15iterator_traitsISL_E10value_typeET2_T3_PNSM_ISR_E10value_typeET4_jRbjT5_SX_jjP12ihipStream_tbEUlT_E1_NS1_11comp_targetILNS1_3genE9ELNS1_11target_archE1100ELNS1_3gpuE3ELNS1_3repE0EEENS1_59segmented_radix_sort_warp_sort_small_config_static_selectorELNS0_4arch9wavefront6targetE1EEEvSL_.num_named_barrier, 0
	.set _ZN7rocprim17ROCPRIM_400000_NS6detail17trampoline_kernelINS0_14default_configENS1_36segmented_radix_sort_config_selectorI6__halflEEZNS1_25segmented_radix_sort_implIS3_Lb0EPKS5_PS5_PKlPlN2at6native12_GLOBAL__N_18offset_tEEE10hipError_tPvRmT1_PNSt15iterator_traitsISL_E10value_typeET2_T3_PNSM_ISR_E10value_typeET4_jRbjT5_SX_jjP12ihipStream_tbEUlT_E1_NS1_11comp_targetILNS1_3genE9ELNS1_11target_archE1100ELNS1_3gpuE3ELNS1_3repE0EEENS1_59segmented_radix_sort_warp_sort_small_config_static_selectorELNS0_4arch9wavefront6targetE1EEEvSL_.private_seg_size, 0
	.set _ZN7rocprim17ROCPRIM_400000_NS6detail17trampoline_kernelINS0_14default_configENS1_36segmented_radix_sort_config_selectorI6__halflEEZNS1_25segmented_radix_sort_implIS3_Lb0EPKS5_PS5_PKlPlN2at6native12_GLOBAL__N_18offset_tEEE10hipError_tPvRmT1_PNSt15iterator_traitsISL_E10value_typeET2_T3_PNSM_ISR_E10value_typeET4_jRbjT5_SX_jjP12ihipStream_tbEUlT_E1_NS1_11comp_targetILNS1_3genE9ELNS1_11target_archE1100ELNS1_3gpuE3ELNS1_3repE0EEENS1_59segmented_radix_sort_warp_sort_small_config_static_selectorELNS0_4arch9wavefront6targetE1EEEvSL_.uses_vcc, 0
	.set _ZN7rocprim17ROCPRIM_400000_NS6detail17trampoline_kernelINS0_14default_configENS1_36segmented_radix_sort_config_selectorI6__halflEEZNS1_25segmented_radix_sort_implIS3_Lb0EPKS5_PS5_PKlPlN2at6native12_GLOBAL__N_18offset_tEEE10hipError_tPvRmT1_PNSt15iterator_traitsISL_E10value_typeET2_T3_PNSM_ISR_E10value_typeET4_jRbjT5_SX_jjP12ihipStream_tbEUlT_E1_NS1_11comp_targetILNS1_3genE9ELNS1_11target_archE1100ELNS1_3gpuE3ELNS1_3repE0EEENS1_59segmented_radix_sort_warp_sort_small_config_static_selectorELNS0_4arch9wavefront6targetE1EEEvSL_.uses_flat_scratch, 0
	.set _ZN7rocprim17ROCPRIM_400000_NS6detail17trampoline_kernelINS0_14default_configENS1_36segmented_radix_sort_config_selectorI6__halflEEZNS1_25segmented_radix_sort_implIS3_Lb0EPKS5_PS5_PKlPlN2at6native12_GLOBAL__N_18offset_tEEE10hipError_tPvRmT1_PNSt15iterator_traitsISL_E10value_typeET2_T3_PNSM_ISR_E10value_typeET4_jRbjT5_SX_jjP12ihipStream_tbEUlT_E1_NS1_11comp_targetILNS1_3genE9ELNS1_11target_archE1100ELNS1_3gpuE3ELNS1_3repE0EEENS1_59segmented_radix_sort_warp_sort_small_config_static_selectorELNS0_4arch9wavefront6targetE1EEEvSL_.has_dyn_sized_stack, 0
	.set _ZN7rocprim17ROCPRIM_400000_NS6detail17trampoline_kernelINS0_14default_configENS1_36segmented_radix_sort_config_selectorI6__halflEEZNS1_25segmented_radix_sort_implIS3_Lb0EPKS5_PS5_PKlPlN2at6native12_GLOBAL__N_18offset_tEEE10hipError_tPvRmT1_PNSt15iterator_traitsISL_E10value_typeET2_T3_PNSM_ISR_E10value_typeET4_jRbjT5_SX_jjP12ihipStream_tbEUlT_E1_NS1_11comp_targetILNS1_3genE9ELNS1_11target_archE1100ELNS1_3gpuE3ELNS1_3repE0EEENS1_59segmented_radix_sort_warp_sort_small_config_static_selectorELNS0_4arch9wavefront6targetE1EEEvSL_.has_recursion, 0
	.set _ZN7rocprim17ROCPRIM_400000_NS6detail17trampoline_kernelINS0_14default_configENS1_36segmented_radix_sort_config_selectorI6__halflEEZNS1_25segmented_radix_sort_implIS3_Lb0EPKS5_PS5_PKlPlN2at6native12_GLOBAL__N_18offset_tEEE10hipError_tPvRmT1_PNSt15iterator_traitsISL_E10value_typeET2_T3_PNSM_ISR_E10value_typeET4_jRbjT5_SX_jjP12ihipStream_tbEUlT_E1_NS1_11comp_targetILNS1_3genE9ELNS1_11target_archE1100ELNS1_3gpuE3ELNS1_3repE0EEENS1_59segmented_radix_sort_warp_sort_small_config_static_selectorELNS0_4arch9wavefront6targetE1EEEvSL_.has_indirect_call, 0
	.section	.AMDGPU.csdata,"",@progbits
; Kernel info:
; codeLenInByte = 0
; TotalNumSgprs: 4
; NumVgprs: 0
; ScratchSize: 0
; MemoryBound: 0
; FloatMode: 240
; IeeeMode: 1
; LDSByteSize: 0 bytes/workgroup (compile time only)
; SGPRBlocks: 0
; VGPRBlocks: 0
; NumSGPRsForWavesPerEU: 4
; NumVGPRsForWavesPerEU: 1
; Occupancy: 10
; WaveLimiterHint : 0
; COMPUTE_PGM_RSRC2:SCRATCH_EN: 0
; COMPUTE_PGM_RSRC2:USER_SGPR: 6
; COMPUTE_PGM_RSRC2:TRAP_HANDLER: 0
; COMPUTE_PGM_RSRC2:TGID_X_EN: 1
; COMPUTE_PGM_RSRC2:TGID_Y_EN: 0
; COMPUTE_PGM_RSRC2:TGID_Z_EN: 0
; COMPUTE_PGM_RSRC2:TIDIG_COMP_CNT: 0
	.section	.text._ZN7rocprim17ROCPRIM_400000_NS6detail17trampoline_kernelINS0_14default_configENS1_36segmented_radix_sort_config_selectorI6__halflEEZNS1_25segmented_radix_sort_implIS3_Lb0EPKS5_PS5_PKlPlN2at6native12_GLOBAL__N_18offset_tEEE10hipError_tPvRmT1_PNSt15iterator_traitsISL_E10value_typeET2_T3_PNSM_ISR_E10value_typeET4_jRbjT5_SX_jjP12ihipStream_tbEUlT_E1_NS1_11comp_targetILNS1_3genE8ELNS1_11target_archE1030ELNS1_3gpuE2ELNS1_3repE0EEENS1_59segmented_radix_sort_warp_sort_small_config_static_selectorELNS0_4arch9wavefront6targetE1EEEvSL_,"axG",@progbits,_ZN7rocprim17ROCPRIM_400000_NS6detail17trampoline_kernelINS0_14default_configENS1_36segmented_radix_sort_config_selectorI6__halflEEZNS1_25segmented_radix_sort_implIS3_Lb0EPKS5_PS5_PKlPlN2at6native12_GLOBAL__N_18offset_tEEE10hipError_tPvRmT1_PNSt15iterator_traitsISL_E10value_typeET2_T3_PNSM_ISR_E10value_typeET4_jRbjT5_SX_jjP12ihipStream_tbEUlT_E1_NS1_11comp_targetILNS1_3genE8ELNS1_11target_archE1030ELNS1_3gpuE2ELNS1_3repE0EEENS1_59segmented_radix_sort_warp_sort_small_config_static_selectorELNS0_4arch9wavefront6targetE1EEEvSL_,comdat
	.globl	_ZN7rocprim17ROCPRIM_400000_NS6detail17trampoline_kernelINS0_14default_configENS1_36segmented_radix_sort_config_selectorI6__halflEEZNS1_25segmented_radix_sort_implIS3_Lb0EPKS5_PS5_PKlPlN2at6native12_GLOBAL__N_18offset_tEEE10hipError_tPvRmT1_PNSt15iterator_traitsISL_E10value_typeET2_T3_PNSM_ISR_E10value_typeET4_jRbjT5_SX_jjP12ihipStream_tbEUlT_E1_NS1_11comp_targetILNS1_3genE8ELNS1_11target_archE1030ELNS1_3gpuE2ELNS1_3repE0EEENS1_59segmented_radix_sort_warp_sort_small_config_static_selectorELNS0_4arch9wavefront6targetE1EEEvSL_ ; -- Begin function _ZN7rocprim17ROCPRIM_400000_NS6detail17trampoline_kernelINS0_14default_configENS1_36segmented_radix_sort_config_selectorI6__halflEEZNS1_25segmented_radix_sort_implIS3_Lb0EPKS5_PS5_PKlPlN2at6native12_GLOBAL__N_18offset_tEEE10hipError_tPvRmT1_PNSt15iterator_traitsISL_E10value_typeET2_T3_PNSM_ISR_E10value_typeET4_jRbjT5_SX_jjP12ihipStream_tbEUlT_E1_NS1_11comp_targetILNS1_3genE8ELNS1_11target_archE1030ELNS1_3gpuE2ELNS1_3repE0EEENS1_59segmented_radix_sort_warp_sort_small_config_static_selectorELNS0_4arch9wavefront6targetE1EEEvSL_
	.p2align	8
	.type	_ZN7rocprim17ROCPRIM_400000_NS6detail17trampoline_kernelINS0_14default_configENS1_36segmented_radix_sort_config_selectorI6__halflEEZNS1_25segmented_radix_sort_implIS3_Lb0EPKS5_PS5_PKlPlN2at6native12_GLOBAL__N_18offset_tEEE10hipError_tPvRmT1_PNSt15iterator_traitsISL_E10value_typeET2_T3_PNSM_ISR_E10value_typeET4_jRbjT5_SX_jjP12ihipStream_tbEUlT_E1_NS1_11comp_targetILNS1_3genE8ELNS1_11target_archE1030ELNS1_3gpuE2ELNS1_3repE0EEENS1_59segmented_radix_sort_warp_sort_small_config_static_selectorELNS0_4arch9wavefront6targetE1EEEvSL_,@function
_ZN7rocprim17ROCPRIM_400000_NS6detail17trampoline_kernelINS0_14default_configENS1_36segmented_radix_sort_config_selectorI6__halflEEZNS1_25segmented_radix_sort_implIS3_Lb0EPKS5_PS5_PKlPlN2at6native12_GLOBAL__N_18offset_tEEE10hipError_tPvRmT1_PNSt15iterator_traitsISL_E10value_typeET2_T3_PNSM_ISR_E10value_typeET4_jRbjT5_SX_jjP12ihipStream_tbEUlT_E1_NS1_11comp_targetILNS1_3genE8ELNS1_11target_archE1030ELNS1_3gpuE2ELNS1_3repE0EEENS1_59segmented_radix_sort_warp_sort_small_config_static_selectorELNS0_4arch9wavefront6targetE1EEEvSL_: ; @_ZN7rocprim17ROCPRIM_400000_NS6detail17trampoline_kernelINS0_14default_configENS1_36segmented_radix_sort_config_selectorI6__halflEEZNS1_25segmented_radix_sort_implIS3_Lb0EPKS5_PS5_PKlPlN2at6native12_GLOBAL__N_18offset_tEEE10hipError_tPvRmT1_PNSt15iterator_traitsISL_E10value_typeET2_T3_PNSM_ISR_E10value_typeET4_jRbjT5_SX_jjP12ihipStream_tbEUlT_E1_NS1_11comp_targetILNS1_3genE8ELNS1_11target_archE1030ELNS1_3gpuE2ELNS1_3repE0EEENS1_59segmented_radix_sort_warp_sort_small_config_static_selectorELNS0_4arch9wavefront6targetE1EEEvSL_
; %bb.0:
	.section	.rodata,"a",@progbits
	.p2align	6, 0x0
	.amdhsa_kernel _ZN7rocprim17ROCPRIM_400000_NS6detail17trampoline_kernelINS0_14default_configENS1_36segmented_radix_sort_config_selectorI6__halflEEZNS1_25segmented_radix_sort_implIS3_Lb0EPKS5_PS5_PKlPlN2at6native12_GLOBAL__N_18offset_tEEE10hipError_tPvRmT1_PNSt15iterator_traitsISL_E10value_typeET2_T3_PNSM_ISR_E10value_typeET4_jRbjT5_SX_jjP12ihipStream_tbEUlT_E1_NS1_11comp_targetILNS1_3genE8ELNS1_11target_archE1030ELNS1_3gpuE2ELNS1_3repE0EEENS1_59segmented_radix_sort_warp_sort_small_config_static_selectorELNS0_4arch9wavefront6targetE1EEEvSL_
		.amdhsa_group_segment_fixed_size 0
		.amdhsa_private_segment_fixed_size 0
		.amdhsa_kernarg_size 88
		.amdhsa_user_sgpr_count 6
		.amdhsa_user_sgpr_private_segment_buffer 1
		.amdhsa_user_sgpr_dispatch_ptr 0
		.amdhsa_user_sgpr_queue_ptr 0
		.amdhsa_user_sgpr_kernarg_segment_ptr 1
		.amdhsa_user_sgpr_dispatch_id 0
		.amdhsa_user_sgpr_flat_scratch_init 0
		.amdhsa_user_sgpr_private_segment_size 0
		.amdhsa_uses_dynamic_stack 0
		.amdhsa_system_sgpr_private_segment_wavefront_offset 0
		.amdhsa_system_sgpr_workgroup_id_x 1
		.amdhsa_system_sgpr_workgroup_id_y 0
		.amdhsa_system_sgpr_workgroup_id_z 0
		.amdhsa_system_sgpr_workgroup_info 0
		.amdhsa_system_vgpr_workitem_id 0
		.amdhsa_next_free_vgpr 1
		.amdhsa_next_free_sgpr 0
		.amdhsa_reserve_vcc 0
		.amdhsa_reserve_flat_scratch 0
		.amdhsa_float_round_mode_32 0
		.amdhsa_float_round_mode_16_64 0
		.amdhsa_float_denorm_mode_32 3
		.amdhsa_float_denorm_mode_16_64 3
		.amdhsa_dx10_clamp 1
		.amdhsa_ieee_mode 1
		.amdhsa_fp16_overflow 0
		.amdhsa_exception_fp_ieee_invalid_op 0
		.amdhsa_exception_fp_denorm_src 0
		.amdhsa_exception_fp_ieee_div_zero 0
		.amdhsa_exception_fp_ieee_overflow 0
		.amdhsa_exception_fp_ieee_underflow 0
		.amdhsa_exception_fp_ieee_inexact 0
		.amdhsa_exception_int_div_zero 0
	.end_amdhsa_kernel
	.section	.text._ZN7rocprim17ROCPRIM_400000_NS6detail17trampoline_kernelINS0_14default_configENS1_36segmented_radix_sort_config_selectorI6__halflEEZNS1_25segmented_radix_sort_implIS3_Lb0EPKS5_PS5_PKlPlN2at6native12_GLOBAL__N_18offset_tEEE10hipError_tPvRmT1_PNSt15iterator_traitsISL_E10value_typeET2_T3_PNSM_ISR_E10value_typeET4_jRbjT5_SX_jjP12ihipStream_tbEUlT_E1_NS1_11comp_targetILNS1_3genE8ELNS1_11target_archE1030ELNS1_3gpuE2ELNS1_3repE0EEENS1_59segmented_radix_sort_warp_sort_small_config_static_selectorELNS0_4arch9wavefront6targetE1EEEvSL_,"axG",@progbits,_ZN7rocprim17ROCPRIM_400000_NS6detail17trampoline_kernelINS0_14default_configENS1_36segmented_radix_sort_config_selectorI6__halflEEZNS1_25segmented_radix_sort_implIS3_Lb0EPKS5_PS5_PKlPlN2at6native12_GLOBAL__N_18offset_tEEE10hipError_tPvRmT1_PNSt15iterator_traitsISL_E10value_typeET2_T3_PNSM_ISR_E10value_typeET4_jRbjT5_SX_jjP12ihipStream_tbEUlT_E1_NS1_11comp_targetILNS1_3genE8ELNS1_11target_archE1030ELNS1_3gpuE2ELNS1_3repE0EEENS1_59segmented_radix_sort_warp_sort_small_config_static_selectorELNS0_4arch9wavefront6targetE1EEEvSL_,comdat
.Lfunc_end1871:
	.size	_ZN7rocprim17ROCPRIM_400000_NS6detail17trampoline_kernelINS0_14default_configENS1_36segmented_radix_sort_config_selectorI6__halflEEZNS1_25segmented_radix_sort_implIS3_Lb0EPKS5_PS5_PKlPlN2at6native12_GLOBAL__N_18offset_tEEE10hipError_tPvRmT1_PNSt15iterator_traitsISL_E10value_typeET2_T3_PNSM_ISR_E10value_typeET4_jRbjT5_SX_jjP12ihipStream_tbEUlT_E1_NS1_11comp_targetILNS1_3genE8ELNS1_11target_archE1030ELNS1_3gpuE2ELNS1_3repE0EEENS1_59segmented_radix_sort_warp_sort_small_config_static_selectorELNS0_4arch9wavefront6targetE1EEEvSL_, .Lfunc_end1871-_ZN7rocprim17ROCPRIM_400000_NS6detail17trampoline_kernelINS0_14default_configENS1_36segmented_radix_sort_config_selectorI6__halflEEZNS1_25segmented_radix_sort_implIS3_Lb0EPKS5_PS5_PKlPlN2at6native12_GLOBAL__N_18offset_tEEE10hipError_tPvRmT1_PNSt15iterator_traitsISL_E10value_typeET2_T3_PNSM_ISR_E10value_typeET4_jRbjT5_SX_jjP12ihipStream_tbEUlT_E1_NS1_11comp_targetILNS1_3genE8ELNS1_11target_archE1030ELNS1_3gpuE2ELNS1_3repE0EEENS1_59segmented_radix_sort_warp_sort_small_config_static_selectorELNS0_4arch9wavefront6targetE1EEEvSL_
                                        ; -- End function
	.set _ZN7rocprim17ROCPRIM_400000_NS6detail17trampoline_kernelINS0_14default_configENS1_36segmented_radix_sort_config_selectorI6__halflEEZNS1_25segmented_radix_sort_implIS3_Lb0EPKS5_PS5_PKlPlN2at6native12_GLOBAL__N_18offset_tEEE10hipError_tPvRmT1_PNSt15iterator_traitsISL_E10value_typeET2_T3_PNSM_ISR_E10value_typeET4_jRbjT5_SX_jjP12ihipStream_tbEUlT_E1_NS1_11comp_targetILNS1_3genE8ELNS1_11target_archE1030ELNS1_3gpuE2ELNS1_3repE0EEENS1_59segmented_radix_sort_warp_sort_small_config_static_selectorELNS0_4arch9wavefront6targetE1EEEvSL_.num_vgpr, 0
	.set _ZN7rocprim17ROCPRIM_400000_NS6detail17trampoline_kernelINS0_14default_configENS1_36segmented_radix_sort_config_selectorI6__halflEEZNS1_25segmented_radix_sort_implIS3_Lb0EPKS5_PS5_PKlPlN2at6native12_GLOBAL__N_18offset_tEEE10hipError_tPvRmT1_PNSt15iterator_traitsISL_E10value_typeET2_T3_PNSM_ISR_E10value_typeET4_jRbjT5_SX_jjP12ihipStream_tbEUlT_E1_NS1_11comp_targetILNS1_3genE8ELNS1_11target_archE1030ELNS1_3gpuE2ELNS1_3repE0EEENS1_59segmented_radix_sort_warp_sort_small_config_static_selectorELNS0_4arch9wavefront6targetE1EEEvSL_.num_agpr, 0
	.set _ZN7rocprim17ROCPRIM_400000_NS6detail17trampoline_kernelINS0_14default_configENS1_36segmented_radix_sort_config_selectorI6__halflEEZNS1_25segmented_radix_sort_implIS3_Lb0EPKS5_PS5_PKlPlN2at6native12_GLOBAL__N_18offset_tEEE10hipError_tPvRmT1_PNSt15iterator_traitsISL_E10value_typeET2_T3_PNSM_ISR_E10value_typeET4_jRbjT5_SX_jjP12ihipStream_tbEUlT_E1_NS1_11comp_targetILNS1_3genE8ELNS1_11target_archE1030ELNS1_3gpuE2ELNS1_3repE0EEENS1_59segmented_radix_sort_warp_sort_small_config_static_selectorELNS0_4arch9wavefront6targetE1EEEvSL_.numbered_sgpr, 0
	.set _ZN7rocprim17ROCPRIM_400000_NS6detail17trampoline_kernelINS0_14default_configENS1_36segmented_radix_sort_config_selectorI6__halflEEZNS1_25segmented_radix_sort_implIS3_Lb0EPKS5_PS5_PKlPlN2at6native12_GLOBAL__N_18offset_tEEE10hipError_tPvRmT1_PNSt15iterator_traitsISL_E10value_typeET2_T3_PNSM_ISR_E10value_typeET4_jRbjT5_SX_jjP12ihipStream_tbEUlT_E1_NS1_11comp_targetILNS1_3genE8ELNS1_11target_archE1030ELNS1_3gpuE2ELNS1_3repE0EEENS1_59segmented_radix_sort_warp_sort_small_config_static_selectorELNS0_4arch9wavefront6targetE1EEEvSL_.num_named_barrier, 0
	.set _ZN7rocprim17ROCPRIM_400000_NS6detail17trampoline_kernelINS0_14default_configENS1_36segmented_radix_sort_config_selectorI6__halflEEZNS1_25segmented_radix_sort_implIS3_Lb0EPKS5_PS5_PKlPlN2at6native12_GLOBAL__N_18offset_tEEE10hipError_tPvRmT1_PNSt15iterator_traitsISL_E10value_typeET2_T3_PNSM_ISR_E10value_typeET4_jRbjT5_SX_jjP12ihipStream_tbEUlT_E1_NS1_11comp_targetILNS1_3genE8ELNS1_11target_archE1030ELNS1_3gpuE2ELNS1_3repE0EEENS1_59segmented_radix_sort_warp_sort_small_config_static_selectorELNS0_4arch9wavefront6targetE1EEEvSL_.private_seg_size, 0
	.set _ZN7rocprim17ROCPRIM_400000_NS6detail17trampoline_kernelINS0_14default_configENS1_36segmented_radix_sort_config_selectorI6__halflEEZNS1_25segmented_radix_sort_implIS3_Lb0EPKS5_PS5_PKlPlN2at6native12_GLOBAL__N_18offset_tEEE10hipError_tPvRmT1_PNSt15iterator_traitsISL_E10value_typeET2_T3_PNSM_ISR_E10value_typeET4_jRbjT5_SX_jjP12ihipStream_tbEUlT_E1_NS1_11comp_targetILNS1_3genE8ELNS1_11target_archE1030ELNS1_3gpuE2ELNS1_3repE0EEENS1_59segmented_radix_sort_warp_sort_small_config_static_selectorELNS0_4arch9wavefront6targetE1EEEvSL_.uses_vcc, 0
	.set _ZN7rocprim17ROCPRIM_400000_NS6detail17trampoline_kernelINS0_14default_configENS1_36segmented_radix_sort_config_selectorI6__halflEEZNS1_25segmented_radix_sort_implIS3_Lb0EPKS5_PS5_PKlPlN2at6native12_GLOBAL__N_18offset_tEEE10hipError_tPvRmT1_PNSt15iterator_traitsISL_E10value_typeET2_T3_PNSM_ISR_E10value_typeET4_jRbjT5_SX_jjP12ihipStream_tbEUlT_E1_NS1_11comp_targetILNS1_3genE8ELNS1_11target_archE1030ELNS1_3gpuE2ELNS1_3repE0EEENS1_59segmented_radix_sort_warp_sort_small_config_static_selectorELNS0_4arch9wavefront6targetE1EEEvSL_.uses_flat_scratch, 0
	.set _ZN7rocprim17ROCPRIM_400000_NS6detail17trampoline_kernelINS0_14default_configENS1_36segmented_radix_sort_config_selectorI6__halflEEZNS1_25segmented_radix_sort_implIS3_Lb0EPKS5_PS5_PKlPlN2at6native12_GLOBAL__N_18offset_tEEE10hipError_tPvRmT1_PNSt15iterator_traitsISL_E10value_typeET2_T3_PNSM_ISR_E10value_typeET4_jRbjT5_SX_jjP12ihipStream_tbEUlT_E1_NS1_11comp_targetILNS1_3genE8ELNS1_11target_archE1030ELNS1_3gpuE2ELNS1_3repE0EEENS1_59segmented_radix_sort_warp_sort_small_config_static_selectorELNS0_4arch9wavefront6targetE1EEEvSL_.has_dyn_sized_stack, 0
	.set _ZN7rocprim17ROCPRIM_400000_NS6detail17trampoline_kernelINS0_14default_configENS1_36segmented_radix_sort_config_selectorI6__halflEEZNS1_25segmented_radix_sort_implIS3_Lb0EPKS5_PS5_PKlPlN2at6native12_GLOBAL__N_18offset_tEEE10hipError_tPvRmT1_PNSt15iterator_traitsISL_E10value_typeET2_T3_PNSM_ISR_E10value_typeET4_jRbjT5_SX_jjP12ihipStream_tbEUlT_E1_NS1_11comp_targetILNS1_3genE8ELNS1_11target_archE1030ELNS1_3gpuE2ELNS1_3repE0EEENS1_59segmented_radix_sort_warp_sort_small_config_static_selectorELNS0_4arch9wavefront6targetE1EEEvSL_.has_recursion, 0
	.set _ZN7rocprim17ROCPRIM_400000_NS6detail17trampoline_kernelINS0_14default_configENS1_36segmented_radix_sort_config_selectorI6__halflEEZNS1_25segmented_radix_sort_implIS3_Lb0EPKS5_PS5_PKlPlN2at6native12_GLOBAL__N_18offset_tEEE10hipError_tPvRmT1_PNSt15iterator_traitsISL_E10value_typeET2_T3_PNSM_ISR_E10value_typeET4_jRbjT5_SX_jjP12ihipStream_tbEUlT_E1_NS1_11comp_targetILNS1_3genE8ELNS1_11target_archE1030ELNS1_3gpuE2ELNS1_3repE0EEENS1_59segmented_radix_sort_warp_sort_small_config_static_selectorELNS0_4arch9wavefront6targetE1EEEvSL_.has_indirect_call, 0
	.section	.AMDGPU.csdata,"",@progbits
; Kernel info:
; codeLenInByte = 0
; TotalNumSgprs: 4
; NumVgprs: 0
; ScratchSize: 0
; MemoryBound: 0
; FloatMode: 240
; IeeeMode: 1
; LDSByteSize: 0 bytes/workgroup (compile time only)
; SGPRBlocks: 0
; VGPRBlocks: 0
; NumSGPRsForWavesPerEU: 4
; NumVGPRsForWavesPerEU: 1
; Occupancy: 10
; WaveLimiterHint : 0
; COMPUTE_PGM_RSRC2:SCRATCH_EN: 0
; COMPUTE_PGM_RSRC2:USER_SGPR: 6
; COMPUTE_PGM_RSRC2:TRAP_HANDLER: 0
; COMPUTE_PGM_RSRC2:TGID_X_EN: 1
; COMPUTE_PGM_RSRC2:TGID_Y_EN: 0
; COMPUTE_PGM_RSRC2:TGID_Z_EN: 0
; COMPUTE_PGM_RSRC2:TIDIG_COMP_CNT: 0
	.section	.text._ZN7rocprim17ROCPRIM_400000_NS6detail17trampoline_kernelINS0_14default_configENS1_36segmented_radix_sort_config_selectorI6__halflEEZNS1_25segmented_radix_sort_implIS3_Lb0EPKS5_PS5_PKlPlN2at6native12_GLOBAL__N_18offset_tEEE10hipError_tPvRmT1_PNSt15iterator_traitsISL_E10value_typeET2_T3_PNSM_ISR_E10value_typeET4_jRbjT5_SX_jjP12ihipStream_tbEUlT_E2_NS1_11comp_targetILNS1_3genE0ELNS1_11target_archE4294967295ELNS1_3gpuE0ELNS1_3repE0EEENS1_30default_config_static_selectorELNS0_4arch9wavefront6targetE1EEEvSL_,"axG",@progbits,_ZN7rocprim17ROCPRIM_400000_NS6detail17trampoline_kernelINS0_14default_configENS1_36segmented_radix_sort_config_selectorI6__halflEEZNS1_25segmented_radix_sort_implIS3_Lb0EPKS5_PS5_PKlPlN2at6native12_GLOBAL__N_18offset_tEEE10hipError_tPvRmT1_PNSt15iterator_traitsISL_E10value_typeET2_T3_PNSM_ISR_E10value_typeET4_jRbjT5_SX_jjP12ihipStream_tbEUlT_E2_NS1_11comp_targetILNS1_3genE0ELNS1_11target_archE4294967295ELNS1_3gpuE0ELNS1_3repE0EEENS1_30default_config_static_selectorELNS0_4arch9wavefront6targetE1EEEvSL_,comdat
	.globl	_ZN7rocprim17ROCPRIM_400000_NS6detail17trampoline_kernelINS0_14default_configENS1_36segmented_radix_sort_config_selectorI6__halflEEZNS1_25segmented_radix_sort_implIS3_Lb0EPKS5_PS5_PKlPlN2at6native12_GLOBAL__N_18offset_tEEE10hipError_tPvRmT1_PNSt15iterator_traitsISL_E10value_typeET2_T3_PNSM_ISR_E10value_typeET4_jRbjT5_SX_jjP12ihipStream_tbEUlT_E2_NS1_11comp_targetILNS1_3genE0ELNS1_11target_archE4294967295ELNS1_3gpuE0ELNS1_3repE0EEENS1_30default_config_static_selectorELNS0_4arch9wavefront6targetE1EEEvSL_ ; -- Begin function _ZN7rocprim17ROCPRIM_400000_NS6detail17trampoline_kernelINS0_14default_configENS1_36segmented_radix_sort_config_selectorI6__halflEEZNS1_25segmented_radix_sort_implIS3_Lb0EPKS5_PS5_PKlPlN2at6native12_GLOBAL__N_18offset_tEEE10hipError_tPvRmT1_PNSt15iterator_traitsISL_E10value_typeET2_T3_PNSM_ISR_E10value_typeET4_jRbjT5_SX_jjP12ihipStream_tbEUlT_E2_NS1_11comp_targetILNS1_3genE0ELNS1_11target_archE4294967295ELNS1_3gpuE0ELNS1_3repE0EEENS1_30default_config_static_selectorELNS0_4arch9wavefront6targetE1EEEvSL_
	.p2align	8
	.type	_ZN7rocprim17ROCPRIM_400000_NS6detail17trampoline_kernelINS0_14default_configENS1_36segmented_radix_sort_config_selectorI6__halflEEZNS1_25segmented_radix_sort_implIS3_Lb0EPKS5_PS5_PKlPlN2at6native12_GLOBAL__N_18offset_tEEE10hipError_tPvRmT1_PNSt15iterator_traitsISL_E10value_typeET2_T3_PNSM_ISR_E10value_typeET4_jRbjT5_SX_jjP12ihipStream_tbEUlT_E2_NS1_11comp_targetILNS1_3genE0ELNS1_11target_archE4294967295ELNS1_3gpuE0ELNS1_3repE0EEENS1_30default_config_static_selectorELNS0_4arch9wavefront6targetE1EEEvSL_,@function
_ZN7rocprim17ROCPRIM_400000_NS6detail17trampoline_kernelINS0_14default_configENS1_36segmented_radix_sort_config_selectorI6__halflEEZNS1_25segmented_radix_sort_implIS3_Lb0EPKS5_PS5_PKlPlN2at6native12_GLOBAL__N_18offset_tEEE10hipError_tPvRmT1_PNSt15iterator_traitsISL_E10value_typeET2_T3_PNSM_ISR_E10value_typeET4_jRbjT5_SX_jjP12ihipStream_tbEUlT_E2_NS1_11comp_targetILNS1_3genE0ELNS1_11target_archE4294967295ELNS1_3gpuE0ELNS1_3repE0EEENS1_30default_config_static_selectorELNS0_4arch9wavefront6targetE1EEEvSL_: ; @_ZN7rocprim17ROCPRIM_400000_NS6detail17trampoline_kernelINS0_14default_configENS1_36segmented_radix_sort_config_selectorI6__halflEEZNS1_25segmented_radix_sort_implIS3_Lb0EPKS5_PS5_PKlPlN2at6native12_GLOBAL__N_18offset_tEEE10hipError_tPvRmT1_PNSt15iterator_traitsISL_E10value_typeET2_T3_PNSM_ISR_E10value_typeET4_jRbjT5_SX_jjP12ihipStream_tbEUlT_E2_NS1_11comp_targetILNS1_3genE0ELNS1_11target_archE4294967295ELNS1_3gpuE0ELNS1_3repE0EEENS1_30default_config_static_selectorELNS0_4arch9wavefront6targetE1EEEvSL_
; %bb.0:
	.section	.rodata,"a",@progbits
	.p2align	6, 0x0
	.amdhsa_kernel _ZN7rocprim17ROCPRIM_400000_NS6detail17trampoline_kernelINS0_14default_configENS1_36segmented_radix_sort_config_selectorI6__halflEEZNS1_25segmented_radix_sort_implIS3_Lb0EPKS5_PS5_PKlPlN2at6native12_GLOBAL__N_18offset_tEEE10hipError_tPvRmT1_PNSt15iterator_traitsISL_E10value_typeET2_T3_PNSM_ISR_E10value_typeET4_jRbjT5_SX_jjP12ihipStream_tbEUlT_E2_NS1_11comp_targetILNS1_3genE0ELNS1_11target_archE4294967295ELNS1_3gpuE0ELNS1_3repE0EEENS1_30default_config_static_selectorELNS0_4arch9wavefront6targetE1EEEvSL_
		.amdhsa_group_segment_fixed_size 0
		.amdhsa_private_segment_fixed_size 0
		.amdhsa_kernarg_size 80
		.amdhsa_user_sgpr_count 6
		.amdhsa_user_sgpr_private_segment_buffer 1
		.amdhsa_user_sgpr_dispatch_ptr 0
		.amdhsa_user_sgpr_queue_ptr 0
		.amdhsa_user_sgpr_kernarg_segment_ptr 1
		.amdhsa_user_sgpr_dispatch_id 0
		.amdhsa_user_sgpr_flat_scratch_init 0
		.amdhsa_user_sgpr_private_segment_size 0
		.amdhsa_uses_dynamic_stack 0
		.amdhsa_system_sgpr_private_segment_wavefront_offset 0
		.amdhsa_system_sgpr_workgroup_id_x 1
		.amdhsa_system_sgpr_workgroup_id_y 0
		.amdhsa_system_sgpr_workgroup_id_z 0
		.amdhsa_system_sgpr_workgroup_info 0
		.amdhsa_system_vgpr_workitem_id 0
		.amdhsa_next_free_vgpr 1
		.amdhsa_next_free_sgpr 0
		.amdhsa_reserve_vcc 0
		.amdhsa_reserve_flat_scratch 0
		.amdhsa_float_round_mode_32 0
		.amdhsa_float_round_mode_16_64 0
		.amdhsa_float_denorm_mode_32 3
		.amdhsa_float_denorm_mode_16_64 3
		.amdhsa_dx10_clamp 1
		.amdhsa_ieee_mode 1
		.amdhsa_fp16_overflow 0
		.amdhsa_exception_fp_ieee_invalid_op 0
		.amdhsa_exception_fp_denorm_src 0
		.amdhsa_exception_fp_ieee_div_zero 0
		.amdhsa_exception_fp_ieee_overflow 0
		.amdhsa_exception_fp_ieee_underflow 0
		.amdhsa_exception_fp_ieee_inexact 0
		.amdhsa_exception_int_div_zero 0
	.end_amdhsa_kernel
	.section	.text._ZN7rocprim17ROCPRIM_400000_NS6detail17trampoline_kernelINS0_14default_configENS1_36segmented_radix_sort_config_selectorI6__halflEEZNS1_25segmented_radix_sort_implIS3_Lb0EPKS5_PS5_PKlPlN2at6native12_GLOBAL__N_18offset_tEEE10hipError_tPvRmT1_PNSt15iterator_traitsISL_E10value_typeET2_T3_PNSM_ISR_E10value_typeET4_jRbjT5_SX_jjP12ihipStream_tbEUlT_E2_NS1_11comp_targetILNS1_3genE0ELNS1_11target_archE4294967295ELNS1_3gpuE0ELNS1_3repE0EEENS1_30default_config_static_selectorELNS0_4arch9wavefront6targetE1EEEvSL_,"axG",@progbits,_ZN7rocprim17ROCPRIM_400000_NS6detail17trampoline_kernelINS0_14default_configENS1_36segmented_radix_sort_config_selectorI6__halflEEZNS1_25segmented_radix_sort_implIS3_Lb0EPKS5_PS5_PKlPlN2at6native12_GLOBAL__N_18offset_tEEE10hipError_tPvRmT1_PNSt15iterator_traitsISL_E10value_typeET2_T3_PNSM_ISR_E10value_typeET4_jRbjT5_SX_jjP12ihipStream_tbEUlT_E2_NS1_11comp_targetILNS1_3genE0ELNS1_11target_archE4294967295ELNS1_3gpuE0ELNS1_3repE0EEENS1_30default_config_static_selectorELNS0_4arch9wavefront6targetE1EEEvSL_,comdat
.Lfunc_end1872:
	.size	_ZN7rocprim17ROCPRIM_400000_NS6detail17trampoline_kernelINS0_14default_configENS1_36segmented_radix_sort_config_selectorI6__halflEEZNS1_25segmented_radix_sort_implIS3_Lb0EPKS5_PS5_PKlPlN2at6native12_GLOBAL__N_18offset_tEEE10hipError_tPvRmT1_PNSt15iterator_traitsISL_E10value_typeET2_T3_PNSM_ISR_E10value_typeET4_jRbjT5_SX_jjP12ihipStream_tbEUlT_E2_NS1_11comp_targetILNS1_3genE0ELNS1_11target_archE4294967295ELNS1_3gpuE0ELNS1_3repE0EEENS1_30default_config_static_selectorELNS0_4arch9wavefront6targetE1EEEvSL_, .Lfunc_end1872-_ZN7rocprim17ROCPRIM_400000_NS6detail17trampoline_kernelINS0_14default_configENS1_36segmented_radix_sort_config_selectorI6__halflEEZNS1_25segmented_radix_sort_implIS3_Lb0EPKS5_PS5_PKlPlN2at6native12_GLOBAL__N_18offset_tEEE10hipError_tPvRmT1_PNSt15iterator_traitsISL_E10value_typeET2_T3_PNSM_ISR_E10value_typeET4_jRbjT5_SX_jjP12ihipStream_tbEUlT_E2_NS1_11comp_targetILNS1_3genE0ELNS1_11target_archE4294967295ELNS1_3gpuE0ELNS1_3repE0EEENS1_30default_config_static_selectorELNS0_4arch9wavefront6targetE1EEEvSL_
                                        ; -- End function
	.set _ZN7rocprim17ROCPRIM_400000_NS6detail17trampoline_kernelINS0_14default_configENS1_36segmented_radix_sort_config_selectorI6__halflEEZNS1_25segmented_radix_sort_implIS3_Lb0EPKS5_PS5_PKlPlN2at6native12_GLOBAL__N_18offset_tEEE10hipError_tPvRmT1_PNSt15iterator_traitsISL_E10value_typeET2_T3_PNSM_ISR_E10value_typeET4_jRbjT5_SX_jjP12ihipStream_tbEUlT_E2_NS1_11comp_targetILNS1_3genE0ELNS1_11target_archE4294967295ELNS1_3gpuE0ELNS1_3repE0EEENS1_30default_config_static_selectorELNS0_4arch9wavefront6targetE1EEEvSL_.num_vgpr, 0
	.set _ZN7rocprim17ROCPRIM_400000_NS6detail17trampoline_kernelINS0_14default_configENS1_36segmented_radix_sort_config_selectorI6__halflEEZNS1_25segmented_radix_sort_implIS3_Lb0EPKS5_PS5_PKlPlN2at6native12_GLOBAL__N_18offset_tEEE10hipError_tPvRmT1_PNSt15iterator_traitsISL_E10value_typeET2_T3_PNSM_ISR_E10value_typeET4_jRbjT5_SX_jjP12ihipStream_tbEUlT_E2_NS1_11comp_targetILNS1_3genE0ELNS1_11target_archE4294967295ELNS1_3gpuE0ELNS1_3repE0EEENS1_30default_config_static_selectorELNS0_4arch9wavefront6targetE1EEEvSL_.num_agpr, 0
	.set _ZN7rocprim17ROCPRIM_400000_NS6detail17trampoline_kernelINS0_14default_configENS1_36segmented_radix_sort_config_selectorI6__halflEEZNS1_25segmented_radix_sort_implIS3_Lb0EPKS5_PS5_PKlPlN2at6native12_GLOBAL__N_18offset_tEEE10hipError_tPvRmT1_PNSt15iterator_traitsISL_E10value_typeET2_T3_PNSM_ISR_E10value_typeET4_jRbjT5_SX_jjP12ihipStream_tbEUlT_E2_NS1_11comp_targetILNS1_3genE0ELNS1_11target_archE4294967295ELNS1_3gpuE0ELNS1_3repE0EEENS1_30default_config_static_selectorELNS0_4arch9wavefront6targetE1EEEvSL_.numbered_sgpr, 0
	.set _ZN7rocprim17ROCPRIM_400000_NS6detail17trampoline_kernelINS0_14default_configENS1_36segmented_radix_sort_config_selectorI6__halflEEZNS1_25segmented_radix_sort_implIS3_Lb0EPKS5_PS5_PKlPlN2at6native12_GLOBAL__N_18offset_tEEE10hipError_tPvRmT1_PNSt15iterator_traitsISL_E10value_typeET2_T3_PNSM_ISR_E10value_typeET4_jRbjT5_SX_jjP12ihipStream_tbEUlT_E2_NS1_11comp_targetILNS1_3genE0ELNS1_11target_archE4294967295ELNS1_3gpuE0ELNS1_3repE0EEENS1_30default_config_static_selectorELNS0_4arch9wavefront6targetE1EEEvSL_.num_named_barrier, 0
	.set _ZN7rocprim17ROCPRIM_400000_NS6detail17trampoline_kernelINS0_14default_configENS1_36segmented_radix_sort_config_selectorI6__halflEEZNS1_25segmented_radix_sort_implIS3_Lb0EPKS5_PS5_PKlPlN2at6native12_GLOBAL__N_18offset_tEEE10hipError_tPvRmT1_PNSt15iterator_traitsISL_E10value_typeET2_T3_PNSM_ISR_E10value_typeET4_jRbjT5_SX_jjP12ihipStream_tbEUlT_E2_NS1_11comp_targetILNS1_3genE0ELNS1_11target_archE4294967295ELNS1_3gpuE0ELNS1_3repE0EEENS1_30default_config_static_selectorELNS0_4arch9wavefront6targetE1EEEvSL_.private_seg_size, 0
	.set _ZN7rocprim17ROCPRIM_400000_NS6detail17trampoline_kernelINS0_14default_configENS1_36segmented_radix_sort_config_selectorI6__halflEEZNS1_25segmented_radix_sort_implIS3_Lb0EPKS5_PS5_PKlPlN2at6native12_GLOBAL__N_18offset_tEEE10hipError_tPvRmT1_PNSt15iterator_traitsISL_E10value_typeET2_T3_PNSM_ISR_E10value_typeET4_jRbjT5_SX_jjP12ihipStream_tbEUlT_E2_NS1_11comp_targetILNS1_3genE0ELNS1_11target_archE4294967295ELNS1_3gpuE0ELNS1_3repE0EEENS1_30default_config_static_selectorELNS0_4arch9wavefront6targetE1EEEvSL_.uses_vcc, 0
	.set _ZN7rocprim17ROCPRIM_400000_NS6detail17trampoline_kernelINS0_14default_configENS1_36segmented_radix_sort_config_selectorI6__halflEEZNS1_25segmented_radix_sort_implIS3_Lb0EPKS5_PS5_PKlPlN2at6native12_GLOBAL__N_18offset_tEEE10hipError_tPvRmT1_PNSt15iterator_traitsISL_E10value_typeET2_T3_PNSM_ISR_E10value_typeET4_jRbjT5_SX_jjP12ihipStream_tbEUlT_E2_NS1_11comp_targetILNS1_3genE0ELNS1_11target_archE4294967295ELNS1_3gpuE0ELNS1_3repE0EEENS1_30default_config_static_selectorELNS0_4arch9wavefront6targetE1EEEvSL_.uses_flat_scratch, 0
	.set _ZN7rocprim17ROCPRIM_400000_NS6detail17trampoline_kernelINS0_14default_configENS1_36segmented_radix_sort_config_selectorI6__halflEEZNS1_25segmented_radix_sort_implIS3_Lb0EPKS5_PS5_PKlPlN2at6native12_GLOBAL__N_18offset_tEEE10hipError_tPvRmT1_PNSt15iterator_traitsISL_E10value_typeET2_T3_PNSM_ISR_E10value_typeET4_jRbjT5_SX_jjP12ihipStream_tbEUlT_E2_NS1_11comp_targetILNS1_3genE0ELNS1_11target_archE4294967295ELNS1_3gpuE0ELNS1_3repE0EEENS1_30default_config_static_selectorELNS0_4arch9wavefront6targetE1EEEvSL_.has_dyn_sized_stack, 0
	.set _ZN7rocprim17ROCPRIM_400000_NS6detail17trampoline_kernelINS0_14default_configENS1_36segmented_radix_sort_config_selectorI6__halflEEZNS1_25segmented_radix_sort_implIS3_Lb0EPKS5_PS5_PKlPlN2at6native12_GLOBAL__N_18offset_tEEE10hipError_tPvRmT1_PNSt15iterator_traitsISL_E10value_typeET2_T3_PNSM_ISR_E10value_typeET4_jRbjT5_SX_jjP12ihipStream_tbEUlT_E2_NS1_11comp_targetILNS1_3genE0ELNS1_11target_archE4294967295ELNS1_3gpuE0ELNS1_3repE0EEENS1_30default_config_static_selectorELNS0_4arch9wavefront6targetE1EEEvSL_.has_recursion, 0
	.set _ZN7rocprim17ROCPRIM_400000_NS6detail17trampoline_kernelINS0_14default_configENS1_36segmented_radix_sort_config_selectorI6__halflEEZNS1_25segmented_radix_sort_implIS3_Lb0EPKS5_PS5_PKlPlN2at6native12_GLOBAL__N_18offset_tEEE10hipError_tPvRmT1_PNSt15iterator_traitsISL_E10value_typeET2_T3_PNSM_ISR_E10value_typeET4_jRbjT5_SX_jjP12ihipStream_tbEUlT_E2_NS1_11comp_targetILNS1_3genE0ELNS1_11target_archE4294967295ELNS1_3gpuE0ELNS1_3repE0EEENS1_30default_config_static_selectorELNS0_4arch9wavefront6targetE1EEEvSL_.has_indirect_call, 0
	.section	.AMDGPU.csdata,"",@progbits
; Kernel info:
; codeLenInByte = 0
; TotalNumSgprs: 4
; NumVgprs: 0
; ScratchSize: 0
; MemoryBound: 0
; FloatMode: 240
; IeeeMode: 1
; LDSByteSize: 0 bytes/workgroup (compile time only)
; SGPRBlocks: 0
; VGPRBlocks: 0
; NumSGPRsForWavesPerEU: 4
; NumVGPRsForWavesPerEU: 1
; Occupancy: 10
; WaveLimiterHint : 0
; COMPUTE_PGM_RSRC2:SCRATCH_EN: 0
; COMPUTE_PGM_RSRC2:USER_SGPR: 6
; COMPUTE_PGM_RSRC2:TRAP_HANDLER: 0
; COMPUTE_PGM_RSRC2:TGID_X_EN: 1
; COMPUTE_PGM_RSRC2:TGID_Y_EN: 0
; COMPUTE_PGM_RSRC2:TGID_Z_EN: 0
; COMPUTE_PGM_RSRC2:TIDIG_COMP_CNT: 0
	.section	.text._ZN7rocprim17ROCPRIM_400000_NS6detail17trampoline_kernelINS0_14default_configENS1_36segmented_radix_sort_config_selectorI6__halflEEZNS1_25segmented_radix_sort_implIS3_Lb0EPKS5_PS5_PKlPlN2at6native12_GLOBAL__N_18offset_tEEE10hipError_tPvRmT1_PNSt15iterator_traitsISL_E10value_typeET2_T3_PNSM_ISR_E10value_typeET4_jRbjT5_SX_jjP12ihipStream_tbEUlT_E2_NS1_11comp_targetILNS1_3genE5ELNS1_11target_archE942ELNS1_3gpuE9ELNS1_3repE0EEENS1_30default_config_static_selectorELNS0_4arch9wavefront6targetE1EEEvSL_,"axG",@progbits,_ZN7rocprim17ROCPRIM_400000_NS6detail17trampoline_kernelINS0_14default_configENS1_36segmented_radix_sort_config_selectorI6__halflEEZNS1_25segmented_radix_sort_implIS3_Lb0EPKS5_PS5_PKlPlN2at6native12_GLOBAL__N_18offset_tEEE10hipError_tPvRmT1_PNSt15iterator_traitsISL_E10value_typeET2_T3_PNSM_ISR_E10value_typeET4_jRbjT5_SX_jjP12ihipStream_tbEUlT_E2_NS1_11comp_targetILNS1_3genE5ELNS1_11target_archE942ELNS1_3gpuE9ELNS1_3repE0EEENS1_30default_config_static_selectorELNS0_4arch9wavefront6targetE1EEEvSL_,comdat
	.globl	_ZN7rocprim17ROCPRIM_400000_NS6detail17trampoline_kernelINS0_14default_configENS1_36segmented_radix_sort_config_selectorI6__halflEEZNS1_25segmented_radix_sort_implIS3_Lb0EPKS5_PS5_PKlPlN2at6native12_GLOBAL__N_18offset_tEEE10hipError_tPvRmT1_PNSt15iterator_traitsISL_E10value_typeET2_T3_PNSM_ISR_E10value_typeET4_jRbjT5_SX_jjP12ihipStream_tbEUlT_E2_NS1_11comp_targetILNS1_3genE5ELNS1_11target_archE942ELNS1_3gpuE9ELNS1_3repE0EEENS1_30default_config_static_selectorELNS0_4arch9wavefront6targetE1EEEvSL_ ; -- Begin function _ZN7rocprim17ROCPRIM_400000_NS6detail17trampoline_kernelINS0_14default_configENS1_36segmented_radix_sort_config_selectorI6__halflEEZNS1_25segmented_radix_sort_implIS3_Lb0EPKS5_PS5_PKlPlN2at6native12_GLOBAL__N_18offset_tEEE10hipError_tPvRmT1_PNSt15iterator_traitsISL_E10value_typeET2_T3_PNSM_ISR_E10value_typeET4_jRbjT5_SX_jjP12ihipStream_tbEUlT_E2_NS1_11comp_targetILNS1_3genE5ELNS1_11target_archE942ELNS1_3gpuE9ELNS1_3repE0EEENS1_30default_config_static_selectorELNS0_4arch9wavefront6targetE1EEEvSL_
	.p2align	8
	.type	_ZN7rocprim17ROCPRIM_400000_NS6detail17trampoline_kernelINS0_14default_configENS1_36segmented_radix_sort_config_selectorI6__halflEEZNS1_25segmented_radix_sort_implIS3_Lb0EPKS5_PS5_PKlPlN2at6native12_GLOBAL__N_18offset_tEEE10hipError_tPvRmT1_PNSt15iterator_traitsISL_E10value_typeET2_T3_PNSM_ISR_E10value_typeET4_jRbjT5_SX_jjP12ihipStream_tbEUlT_E2_NS1_11comp_targetILNS1_3genE5ELNS1_11target_archE942ELNS1_3gpuE9ELNS1_3repE0EEENS1_30default_config_static_selectorELNS0_4arch9wavefront6targetE1EEEvSL_,@function
_ZN7rocprim17ROCPRIM_400000_NS6detail17trampoline_kernelINS0_14default_configENS1_36segmented_radix_sort_config_selectorI6__halflEEZNS1_25segmented_radix_sort_implIS3_Lb0EPKS5_PS5_PKlPlN2at6native12_GLOBAL__N_18offset_tEEE10hipError_tPvRmT1_PNSt15iterator_traitsISL_E10value_typeET2_T3_PNSM_ISR_E10value_typeET4_jRbjT5_SX_jjP12ihipStream_tbEUlT_E2_NS1_11comp_targetILNS1_3genE5ELNS1_11target_archE942ELNS1_3gpuE9ELNS1_3repE0EEENS1_30default_config_static_selectorELNS0_4arch9wavefront6targetE1EEEvSL_: ; @_ZN7rocprim17ROCPRIM_400000_NS6detail17trampoline_kernelINS0_14default_configENS1_36segmented_radix_sort_config_selectorI6__halflEEZNS1_25segmented_radix_sort_implIS3_Lb0EPKS5_PS5_PKlPlN2at6native12_GLOBAL__N_18offset_tEEE10hipError_tPvRmT1_PNSt15iterator_traitsISL_E10value_typeET2_T3_PNSM_ISR_E10value_typeET4_jRbjT5_SX_jjP12ihipStream_tbEUlT_E2_NS1_11comp_targetILNS1_3genE5ELNS1_11target_archE942ELNS1_3gpuE9ELNS1_3repE0EEENS1_30default_config_static_selectorELNS0_4arch9wavefront6targetE1EEEvSL_
; %bb.0:
	.section	.rodata,"a",@progbits
	.p2align	6, 0x0
	.amdhsa_kernel _ZN7rocprim17ROCPRIM_400000_NS6detail17trampoline_kernelINS0_14default_configENS1_36segmented_radix_sort_config_selectorI6__halflEEZNS1_25segmented_radix_sort_implIS3_Lb0EPKS5_PS5_PKlPlN2at6native12_GLOBAL__N_18offset_tEEE10hipError_tPvRmT1_PNSt15iterator_traitsISL_E10value_typeET2_T3_PNSM_ISR_E10value_typeET4_jRbjT5_SX_jjP12ihipStream_tbEUlT_E2_NS1_11comp_targetILNS1_3genE5ELNS1_11target_archE942ELNS1_3gpuE9ELNS1_3repE0EEENS1_30default_config_static_selectorELNS0_4arch9wavefront6targetE1EEEvSL_
		.amdhsa_group_segment_fixed_size 0
		.amdhsa_private_segment_fixed_size 0
		.amdhsa_kernarg_size 80
		.amdhsa_user_sgpr_count 6
		.amdhsa_user_sgpr_private_segment_buffer 1
		.amdhsa_user_sgpr_dispatch_ptr 0
		.amdhsa_user_sgpr_queue_ptr 0
		.amdhsa_user_sgpr_kernarg_segment_ptr 1
		.amdhsa_user_sgpr_dispatch_id 0
		.amdhsa_user_sgpr_flat_scratch_init 0
		.amdhsa_user_sgpr_private_segment_size 0
		.amdhsa_uses_dynamic_stack 0
		.amdhsa_system_sgpr_private_segment_wavefront_offset 0
		.amdhsa_system_sgpr_workgroup_id_x 1
		.amdhsa_system_sgpr_workgroup_id_y 0
		.amdhsa_system_sgpr_workgroup_id_z 0
		.amdhsa_system_sgpr_workgroup_info 0
		.amdhsa_system_vgpr_workitem_id 0
		.amdhsa_next_free_vgpr 1
		.amdhsa_next_free_sgpr 0
		.amdhsa_reserve_vcc 0
		.amdhsa_reserve_flat_scratch 0
		.amdhsa_float_round_mode_32 0
		.amdhsa_float_round_mode_16_64 0
		.amdhsa_float_denorm_mode_32 3
		.amdhsa_float_denorm_mode_16_64 3
		.amdhsa_dx10_clamp 1
		.amdhsa_ieee_mode 1
		.amdhsa_fp16_overflow 0
		.amdhsa_exception_fp_ieee_invalid_op 0
		.amdhsa_exception_fp_denorm_src 0
		.amdhsa_exception_fp_ieee_div_zero 0
		.amdhsa_exception_fp_ieee_overflow 0
		.amdhsa_exception_fp_ieee_underflow 0
		.amdhsa_exception_fp_ieee_inexact 0
		.amdhsa_exception_int_div_zero 0
	.end_amdhsa_kernel
	.section	.text._ZN7rocprim17ROCPRIM_400000_NS6detail17trampoline_kernelINS0_14default_configENS1_36segmented_radix_sort_config_selectorI6__halflEEZNS1_25segmented_radix_sort_implIS3_Lb0EPKS5_PS5_PKlPlN2at6native12_GLOBAL__N_18offset_tEEE10hipError_tPvRmT1_PNSt15iterator_traitsISL_E10value_typeET2_T3_PNSM_ISR_E10value_typeET4_jRbjT5_SX_jjP12ihipStream_tbEUlT_E2_NS1_11comp_targetILNS1_3genE5ELNS1_11target_archE942ELNS1_3gpuE9ELNS1_3repE0EEENS1_30default_config_static_selectorELNS0_4arch9wavefront6targetE1EEEvSL_,"axG",@progbits,_ZN7rocprim17ROCPRIM_400000_NS6detail17trampoline_kernelINS0_14default_configENS1_36segmented_radix_sort_config_selectorI6__halflEEZNS1_25segmented_radix_sort_implIS3_Lb0EPKS5_PS5_PKlPlN2at6native12_GLOBAL__N_18offset_tEEE10hipError_tPvRmT1_PNSt15iterator_traitsISL_E10value_typeET2_T3_PNSM_ISR_E10value_typeET4_jRbjT5_SX_jjP12ihipStream_tbEUlT_E2_NS1_11comp_targetILNS1_3genE5ELNS1_11target_archE942ELNS1_3gpuE9ELNS1_3repE0EEENS1_30default_config_static_selectorELNS0_4arch9wavefront6targetE1EEEvSL_,comdat
.Lfunc_end1873:
	.size	_ZN7rocprim17ROCPRIM_400000_NS6detail17trampoline_kernelINS0_14default_configENS1_36segmented_radix_sort_config_selectorI6__halflEEZNS1_25segmented_radix_sort_implIS3_Lb0EPKS5_PS5_PKlPlN2at6native12_GLOBAL__N_18offset_tEEE10hipError_tPvRmT1_PNSt15iterator_traitsISL_E10value_typeET2_T3_PNSM_ISR_E10value_typeET4_jRbjT5_SX_jjP12ihipStream_tbEUlT_E2_NS1_11comp_targetILNS1_3genE5ELNS1_11target_archE942ELNS1_3gpuE9ELNS1_3repE0EEENS1_30default_config_static_selectorELNS0_4arch9wavefront6targetE1EEEvSL_, .Lfunc_end1873-_ZN7rocprim17ROCPRIM_400000_NS6detail17trampoline_kernelINS0_14default_configENS1_36segmented_radix_sort_config_selectorI6__halflEEZNS1_25segmented_radix_sort_implIS3_Lb0EPKS5_PS5_PKlPlN2at6native12_GLOBAL__N_18offset_tEEE10hipError_tPvRmT1_PNSt15iterator_traitsISL_E10value_typeET2_T3_PNSM_ISR_E10value_typeET4_jRbjT5_SX_jjP12ihipStream_tbEUlT_E2_NS1_11comp_targetILNS1_3genE5ELNS1_11target_archE942ELNS1_3gpuE9ELNS1_3repE0EEENS1_30default_config_static_selectorELNS0_4arch9wavefront6targetE1EEEvSL_
                                        ; -- End function
	.set _ZN7rocprim17ROCPRIM_400000_NS6detail17trampoline_kernelINS0_14default_configENS1_36segmented_radix_sort_config_selectorI6__halflEEZNS1_25segmented_radix_sort_implIS3_Lb0EPKS5_PS5_PKlPlN2at6native12_GLOBAL__N_18offset_tEEE10hipError_tPvRmT1_PNSt15iterator_traitsISL_E10value_typeET2_T3_PNSM_ISR_E10value_typeET4_jRbjT5_SX_jjP12ihipStream_tbEUlT_E2_NS1_11comp_targetILNS1_3genE5ELNS1_11target_archE942ELNS1_3gpuE9ELNS1_3repE0EEENS1_30default_config_static_selectorELNS0_4arch9wavefront6targetE1EEEvSL_.num_vgpr, 0
	.set _ZN7rocprim17ROCPRIM_400000_NS6detail17trampoline_kernelINS0_14default_configENS1_36segmented_radix_sort_config_selectorI6__halflEEZNS1_25segmented_radix_sort_implIS3_Lb0EPKS5_PS5_PKlPlN2at6native12_GLOBAL__N_18offset_tEEE10hipError_tPvRmT1_PNSt15iterator_traitsISL_E10value_typeET2_T3_PNSM_ISR_E10value_typeET4_jRbjT5_SX_jjP12ihipStream_tbEUlT_E2_NS1_11comp_targetILNS1_3genE5ELNS1_11target_archE942ELNS1_3gpuE9ELNS1_3repE0EEENS1_30default_config_static_selectorELNS0_4arch9wavefront6targetE1EEEvSL_.num_agpr, 0
	.set _ZN7rocprim17ROCPRIM_400000_NS6detail17trampoline_kernelINS0_14default_configENS1_36segmented_radix_sort_config_selectorI6__halflEEZNS1_25segmented_radix_sort_implIS3_Lb0EPKS5_PS5_PKlPlN2at6native12_GLOBAL__N_18offset_tEEE10hipError_tPvRmT1_PNSt15iterator_traitsISL_E10value_typeET2_T3_PNSM_ISR_E10value_typeET4_jRbjT5_SX_jjP12ihipStream_tbEUlT_E2_NS1_11comp_targetILNS1_3genE5ELNS1_11target_archE942ELNS1_3gpuE9ELNS1_3repE0EEENS1_30default_config_static_selectorELNS0_4arch9wavefront6targetE1EEEvSL_.numbered_sgpr, 0
	.set _ZN7rocprim17ROCPRIM_400000_NS6detail17trampoline_kernelINS0_14default_configENS1_36segmented_radix_sort_config_selectorI6__halflEEZNS1_25segmented_radix_sort_implIS3_Lb0EPKS5_PS5_PKlPlN2at6native12_GLOBAL__N_18offset_tEEE10hipError_tPvRmT1_PNSt15iterator_traitsISL_E10value_typeET2_T3_PNSM_ISR_E10value_typeET4_jRbjT5_SX_jjP12ihipStream_tbEUlT_E2_NS1_11comp_targetILNS1_3genE5ELNS1_11target_archE942ELNS1_3gpuE9ELNS1_3repE0EEENS1_30default_config_static_selectorELNS0_4arch9wavefront6targetE1EEEvSL_.num_named_barrier, 0
	.set _ZN7rocprim17ROCPRIM_400000_NS6detail17trampoline_kernelINS0_14default_configENS1_36segmented_radix_sort_config_selectorI6__halflEEZNS1_25segmented_radix_sort_implIS3_Lb0EPKS5_PS5_PKlPlN2at6native12_GLOBAL__N_18offset_tEEE10hipError_tPvRmT1_PNSt15iterator_traitsISL_E10value_typeET2_T3_PNSM_ISR_E10value_typeET4_jRbjT5_SX_jjP12ihipStream_tbEUlT_E2_NS1_11comp_targetILNS1_3genE5ELNS1_11target_archE942ELNS1_3gpuE9ELNS1_3repE0EEENS1_30default_config_static_selectorELNS0_4arch9wavefront6targetE1EEEvSL_.private_seg_size, 0
	.set _ZN7rocprim17ROCPRIM_400000_NS6detail17trampoline_kernelINS0_14default_configENS1_36segmented_radix_sort_config_selectorI6__halflEEZNS1_25segmented_radix_sort_implIS3_Lb0EPKS5_PS5_PKlPlN2at6native12_GLOBAL__N_18offset_tEEE10hipError_tPvRmT1_PNSt15iterator_traitsISL_E10value_typeET2_T3_PNSM_ISR_E10value_typeET4_jRbjT5_SX_jjP12ihipStream_tbEUlT_E2_NS1_11comp_targetILNS1_3genE5ELNS1_11target_archE942ELNS1_3gpuE9ELNS1_3repE0EEENS1_30default_config_static_selectorELNS0_4arch9wavefront6targetE1EEEvSL_.uses_vcc, 0
	.set _ZN7rocprim17ROCPRIM_400000_NS6detail17trampoline_kernelINS0_14default_configENS1_36segmented_radix_sort_config_selectorI6__halflEEZNS1_25segmented_radix_sort_implIS3_Lb0EPKS5_PS5_PKlPlN2at6native12_GLOBAL__N_18offset_tEEE10hipError_tPvRmT1_PNSt15iterator_traitsISL_E10value_typeET2_T3_PNSM_ISR_E10value_typeET4_jRbjT5_SX_jjP12ihipStream_tbEUlT_E2_NS1_11comp_targetILNS1_3genE5ELNS1_11target_archE942ELNS1_3gpuE9ELNS1_3repE0EEENS1_30default_config_static_selectorELNS0_4arch9wavefront6targetE1EEEvSL_.uses_flat_scratch, 0
	.set _ZN7rocprim17ROCPRIM_400000_NS6detail17trampoline_kernelINS0_14default_configENS1_36segmented_radix_sort_config_selectorI6__halflEEZNS1_25segmented_radix_sort_implIS3_Lb0EPKS5_PS5_PKlPlN2at6native12_GLOBAL__N_18offset_tEEE10hipError_tPvRmT1_PNSt15iterator_traitsISL_E10value_typeET2_T3_PNSM_ISR_E10value_typeET4_jRbjT5_SX_jjP12ihipStream_tbEUlT_E2_NS1_11comp_targetILNS1_3genE5ELNS1_11target_archE942ELNS1_3gpuE9ELNS1_3repE0EEENS1_30default_config_static_selectorELNS0_4arch9wavefront6targetE1EEEvSL_.has_dyn_sized_stack, 0
	.set _ZN7rocprim17ROCPRIM_400000_NS6detail17trampoline_kernelINS0_14default_configENS1_36segmented_radix_sort_config_selectorI6__halflEEZNS1_25segmented_radix_sort_implIS3_Lb0EPKS5_PS5_PKlPlN2at6native12_GLOBAL__N_18offset_tEEE10hipError_tPvRmT1_PNSt15iterator_traitsISL_E10value_typeET2_T3_PNSM_ISR_E10value_typeET4_jRbjT5_SX_jjP12ihipStream_tbEUlT_E2_NS1_11comp_targetILNS1_3genE5ELNS1_11target_archE942ELNS1_3gpuE9ELNS1_3repE0EEENS1_30default_config_static_selectorELNS0_4arch9wavefront6targetE1EEEvSL_.has_recursion, 0
	.set _ZN7rocprim17ROCPRIM_400000_NS6detail17trampoline_kernelINS0_14default_configENS1_36segmented_radix_sort_config_selectorI6__halflEEZNS1_25segmented_radix_sort_implIS3_Lb0EPKS5_PS5_PKlPlN2at6native12_GLOBAL__N_18offset_tEEE10hipError_tPvRmT1_PNSt15iterator_traitsISL_E10value_typeET2_T3_PNSM_ISR_E10value_typeET4_jRbjT5_SX_jjP12ihipStream_tbEUlT_E2_NS1_11comp_targetILNS1_3genE5ELNS1_11target_archE942ELNS1_3gpuE9ELNS1_3repE0EEENS1_30default_config_static_selectorELNS0_4arch9wavefront6targetE1EEEvSL_.has_indirect_call, 0
	.section	.AMDGPU.csdata,"",@progbits
; Kernel info:
; codeLenInByte = 0
; TotalNumSgprs: 4
; NumVgprs: 0
; ScratchSize: 0
; MemoryBound: 0
; FloatMode: 240
; IeeeMode: 1
; LDSByteSize: 0 bytes/workgroup (compile time only)
; SGPRBlocks: 0
; VGPRBlocks: 0
; NumSGPRsForWavesPerEU: 4
; NumVGPRsForWavesPerEU: 1
; Occupancy: 10
; WaveLimiterHint : 0
; COMPUTE_PGM_RSRC2:SCRATCH_EN: 0
; COMPUTE_PGM_RSRC2:USER_SGPR: 6
; COMPUTE_PGM_RSRC2:TRAP_HANDLER: 0
; COMPUTE_PGM_RSRC2:TGID_X_EN: 1
; COMPUTE_PGM_RSRC2:TGID_Y_EN: 0
; COMPUTE_PGM_RSRC2:TGID_Z_EN: 0
; COMPUTE_PGM_RSRC2:TIDIG_COMP_CNT: 0
	.section	.text._ZN7rocprim17ROCPRIM_400000_NS6detail17trampoline_kernelINS0_14default_configENS1_36segmented_radix_sort_config_selectorI6__halflEEZNS1_25segmented_radix_sort_implIS3_Lb0EPKS5_PS5_PKlPlN2at6native12_GLOBAL__N_18offset_tEEE10hipError_tPvRmT1_PNSt15iterator_traitsISL_E10value_typeET2_T3_PNSM_ISR_E10value_typeET4_jRbjT5_SX_jjP12ihipStream_tbEUlT_E2_NS1_11comp_targetILNS1_3genE4ELNS1_11target_archE910ELNS1_3gpuE8ELNS1_3repE0EEENS1_30default_config_static_selectorELNS0_4arch9wavefront6targetE1EEEvSL_,"axG",@progbits,_ZN7rocprim17ROCPRIM_400000_NS6detail17trampoline_kernelINS0_14default_configENS1_36segmented_radix_sort_config_selectorI6__halflEEZNS1_25segmented_radix_sort_implIS3_Lb0EPKS5_PS5_PKlPlN2at6native12_GLOBAL__N_18offset_tEEE10hipError_tPvRmT1_PNSt15iterator_traitsISL_E10value_typeET2_T3_PNSM_ISR_E10value_typeET4_jRbjT5_SX_jjP12ihipStream_tbEUlT_E2_NS1_11comp_targetILNS1_3genE4ELNS1_11target_archE910ELNS1_3gpuE8ELNS1_3repE0EEENS1_30default_config_static_selectorELNS0_4arch9wavefront6targetE1EEEvSL_,comdat
	.globl	_ZN7rocprim17ROCPRIM_400000_NS6detail17trampoline_kernelINS0_14default_configENS1_36segmented_radix_sort_config_selectorI6__halflEEZNS1_25segmented_radix_sort_implIS3_Lb0EPKS5_PS5_PKlPlN2at6native12_GLOBAL__N_18offset_tEEE10hipError_tPvRmT1_PNSt15iterator_traitsISL_E10value_typeET2_T3_PNSM_ISR_E10value_typeET4_jRbjT5_SX_jjP12ihipStream_tbEUlT_E2_NS1_11comp_targetILNS1_3genE4ELNS1_11target_archE910ELNS1_3gpuE8ELNS1_3repE0EEENS1_30default_config_static_selectorELNS0_4arch9wavefront6targetE1EEEvSL_ ; -- Begin function _ZN7rocprim17ROCPRIM_400000_NS6detail17trampoline_kernelINS0_14default_configENS1_36segmented_radix_sort_config_selectorI6__halflEEZNS1_25segmented_radix_sort_implIS3_Lb0EPKS5_PS5_PKlPlN2at6native12_GLOBAL__N_18offset_tEEE10hipError_tPvRmT1_PNSt15iterator_traitsISL_E10value_typeET2_T3_PNSM_ISR_E10value_typeET4_jRbjT5_SX_jjP12ihipStream_tbEUlT_E2_NS1_11comp_targetILNS1_3genE4ELNS1_11target_archE910ELNS1_3gpuE8ELNS1_3repE0EEENS1_30default_config_static_selectorELNS0_4arch9wavefront6targetE1EEEvSL_
	.p2align	8
	.type	_ZN7rocprim17ROCPRIM_400000_NS6detail17trampoline_kernelINS0_14default_configENS1_36segmented_radix_sort_config_selectorI6__halflEEZNS1_25segmented_radix_sort_implIS3_Lb0EPKS5_PS5_PKlPlN2at6native12_GLOBAL__N_18offset_tEEE10hipError_tPvRmT1_PNSt15iterator_traitsISL_E10value_typeET2_T3_PNSM_ISR_E10value_typeET4_jRbjT5_SX_jjP12ihipStream_tbEUlT_E2_NS1_11comp_targetILNS1_3genE4ELNS1_11target_archE910ELNS1_3gpuE8ELNS1_3repE0EEENS1_30default_config_static_selectorELNS0_4arch9wavefront6targetE1EEEvSL_,@function
_ZN7rocprim17ROCPRIM_400000_NS6detail17trampoline_kernelINS0_14default_configENS1_36segmented_radix_sort_config_selectorI6__halflEEZNS1_25segmented_radix_sort_implIS3_Lb0EPKS5_PS5_PKlPlN2at6native12_GLOBAL__N_18offset_tEEE10hipError_tPvRmT1_PNSt15iterator_traitsISL_E10value_typeET2_T3_PNSM_ISR_E10value_typeET4_jRbjT5_SX_jjP12ihipStream_tbEUlT_E2_NS1_11comp_targetILNS1_3genE4ELNS1_11target_archE910ELNS1_3gpuE8ELNS1_3repE0EEENS1_30default_config_static_selectorELNS0_4arch9wavefront6targetE1EEEvSL_: ; @_ZN7rocprim17ROCPRIM_400000_NS6detail17trampoline_kernelINS0_14default_configENS1_36segmented_radix_sort_config_selectorI6__halflEEZNS1_25segmented_radix_sort_implIS3_Lb0EPKS5_PS5_PKlPlN2at6native12_GLOBAL__N_18offset_tEEE10hipError_tPvRmT1_PNSt15iterator_traitsISL_E10value_typeET2_T3_PNSM_ISR_E10value_typeET4_jRbjT5_SX_jjP12ihipStream_tbEUlT_E2_NS1_11comp_targetILNS1_3genE4ELNS1_11target_archE910ELNS1_3gpuE8ELNS1_3repE0EEENS1_30default_config_static_selectorELNS0_4arch9wavefront6targetE1EEEvSL_
; %bb.0:
	.section	.rodata,"a",@progbits
	.p2align	6, 0x0
	.amdhsa_kernel _ZN7rocprim17ROCPRIM_400000_NS6detail17trampoline_kernelINS0_14default_configENS1_36segmented_radix_sort_config_selectorI6__halflEEZNS1_25segmented_radix_sort_implIS3_Lb0EPKS5_PS5_PKlPlN2at6native12_GLOBAL__N_18offset_tEEE10hipError_tPvRmT1_PNSt15iterator_traitsISL_E10value_typeET2_T3_PNSM_ISR_E10value_typeET4_jRbjT5_SX_jjP12ihipStream_tbEUlT_E2_NS1_11comp_targetILNS1_3genE4ELNS1_11target_archE910ELNS1_3gpuE8ELNS1_3repE0EEENS1_30default_config_static_selectorELNS0_4arch9wavefront6targetE1EEEvSL_
		.amdhsa_group_segment_fixed_size 0
		.amdhsa_private_segment_fixed_size 0
		.amdhsa_kernarg_size 80
		.amdhsa_user_sgpr_count 6
		.amdhsa_user_sgpr_private_segment_buffer 1
		.amdhsa_user_sgpr_dispatch_ptr 0
		.amdhsa_user_sgpr_queue_ptr 0
		.amdhsa_user_sgpr_kernarg_segment_ptr 1
		.amdhsa_user_sgpr_dispatch_id 0
		.amdhsa_user_sgpr_flat_scratch_init 0
		.amdhsa_user_sgpr_private_segment_size 0
		.amdhsa_uses_dynamic_stack 0
		.amdhsa_system_sgpr_private_segment_wavefront_offset 0
		.amdhsa_system_sgpr_workgroup_id_x 1
		.amdhsa_system_sgpr_workgroup_id_y 0
		.amdhsa_system_sgpr_workgroup_id_z 0
		.amdhsa_system_sgpr_workgroup_info 0
		.amdhsa_system_vgpr_workitem_id 0
		.amdhsa_next_free_vgpr 1
		.amdhsa_next_free_sgpr 0
		.amdhsa_reserve_vcc 0
		.amdhsa_reserve_flat_scratch 0
		.amdhsa_float_round_mode_32 0
		.amdhsa_float_round_mode_16_64 0
		.amdhsa_float_denorm_mode_32 3
		.amdhsa_float_denorm_mode_16_64 3
		.amdhsa_dx10_clamp 1
		.amdhsa_ieee_mode 1
		.amdhsa_fp16_overflow 0
		.amdhsa_exception_fp_ieee_invalid_op 0
		.amdhsa_exception_fp_denorm_src 0
		.amdhsa_exception_fp_ieee_div_zero 0
		.amdhsa_exception_fp_ieee_overflow 0
		.amdhsa_exception_fp_ieee_underflow 0
		.amdhsa_exception_fp_ieee_inexact 0
		.amdhsa_exception_int_div_zero 0
	.end_amdhsa_kernel
	.section	.text._ZN7rocprim17ROCPRIM_400000_NS6detail17trampoline_kernelINS0_14default_configENS1_36segmented_radix_sort_config_selectorI6__halflEEZNS1_25segmented_radix_sort_implIS3_Lb0EPKS5_PS5_PKlPlN2at6native12_GLOBAL__N_18offset_tEEE10hipError_tPvRmT1_PNSt15iterator_traitsISL_E10value_typeET2_T3_PNSM_ISR_E10value_typeET4_jRbjT5_SX_jjP12ihipStream_tbEUlT_E2_NS1_11comp_targetILNS1_3genE4ELNS1_11target_archE910ELNS1_3gpuE8ELNS1_3repE0EEENS1_30default_config_static_selectorELNS0_4arch9wavefront6targetE1EEEvSL_,"axG",@progbits,_ZN7rocprim17ROCPRIM_400000_NS6detail17trampoline_kernelINS0_14default_configENS1_36segmented_radix_sort_config_selectorI6__halflEEZNS1_25segmented_radix_sort_implIS3_Lb0EPKS5_PS5_PKlPlN2at6native12_GLOBAL__N_18offset_tEEE10hipError_tPvRmT1_PNSt15iterator_traitsISL_E10value_typeET2_T3_PNSM_ISR_E10value_typeET4_jRbjT5_SX_jjP12ihipStream_tbEUlT_E2_NS1_11comp_targetILNS1_3genE4ELNS1_11target_archE910ELNS1_3gpuE8ELNS1_3repE0EEENS1_30default_config_static_selectorELNS0_4arch9wavefront6targetE1EEEvSL_,comdat
.Lfunc_end1874:
	.size	_ZN7rocprim17ROCPRIM_400000_NS6detail17trampoline_kernelINS0_14default_configENS1_36segmented_radix_sort_config_selectorI6__halflEEZNS1_25segmented_radix_sort_implIS3_Lb0EPKS5_PS5_PKlPlN2at6native12_GLOBAL__N_18offset_tEEE10hipError_tPvRmT1_PNSt15iterator_traitsISL_E10value_typeET2_T3_PNSM_ISR_E10value_typeET4_jRbjT5_SX_jjP12ihipStream_tbEUlT_E2_NS1_11comp_targetILNS1_3genE4ELNS1_11target_archE910ELNS1_3gpuE8ELNS1_3repE0EEENS1_30default_config_static_selectorELNS0_4arch9wavefront6targetE1EEEvSL_, .Lfunc_end1874-_ZN7rocprim17ROCPRIM_400000_NS6detail17trampoline_kernelINS0_14default_configENS1_36segmented_radix_sort_config_selectorI6__halflEEZNS1_25segmented_radix_sort_implIS3_Lb0EPKS5_PS5_PKlPlN2at6native12_GLOBAL__N_18offset_tEEE10hipError_tPvRmT1_PNSt15iterator_traitsISL_E10value_typeET2_T3_PNSM_ISR_E10value_typeET4_jRbjT5_SX_jjP12ihipStream_tbEUlT_E2_NS1_11comp_targetILNS1_3genE4ELNS1_11target_archE910ELNS1_3gpuE8ELNS1_3repE0EEENS1_30default_config_static_selectorELNS0_4arch9wavefront6targetE1EEEvSL_
                                        ; -- End function
	.set _ZN7rocprim17ROCPRIM_400000_NS6detail17trampoline_kernelINS0_14default_configENS1_36segmented_radix_sort_config_selectorI6__halflEEZNS1_25segmented_radix_sort_implIS3_Lb0EPKS5_PS5_PKlPlN2at6native12_GLOBAL__N_18offset_tEEE10hipError_tPvRmT1_PNSt15iterator_traitsISL_E10value_typeET2_T3_PNSM_ISR_E10value_typeET4_jRbjT5_SX_jjP12ihipStream_tbEUlT_E2_NS1_11comp_targetILNS1_3genE4ELNS1_11target_archE910ELNS1_3gpuE8ELNS1_3repE0EEENS1_30default_config_static_selectorELNS0_4arch9wavefront6targetE1EEEvSL_.num_vgpr, 0
	.set _ZN7rocprim17ROCPRIM_400000_NS6detail17trampoline_kernelINS0_14default_configENS1_36segmented_radix_sort_config_selectorI6__halflEEZNS1_25segmented_radix_sort_implIS3_Lb0EPKS5_PS5_PKlPlN2at6native12_GLOBAL__N_18offset_tEEE10hipError_tPvRmT1_PNSt15iterator_traitsISL_E10value_typeET2_T3_PNSM_ISR_E10value_typeET4_jRbjT5_SX_jjP12ihipStream_tbEUlT_E2_NS1_11comp_targetILNS1_3genE4ELNS1_11target_archE910ELNS1_3gpuE8ELNS1_3repE0EEENS1_30default_config_static_selectorELNS0_4arch9wavefront6targetE1EEEvSL_.num_agpr, 0
	.set _ZN7rocprim17ROCPRIM_400000_NS6detail17trampoline_kernelINS0_14default_configENS1_36segmented_radix_sort_config_selectorI6__halflEEZNS1_25segmented_radix_sort_implIS3_Lb0EPKS5_PS5_PKlPlN2at6native12_GLOBAL__N_18offset_tEEE10hipError_tPvRmT1_PNSt15iterator_traitsISL_E10value_typeET2_T3_PNSM_ISR_E10value_typeET4_jRbjT5_SX_jjP12ihipStream_tbEUlT_E2_NS1_11comp_targetILNS1_3genE4ELNS1_11target_archE910ELNS1_3gpuE8ELNS1_3repE0EEENS1_30default_config_static_selectorELNS0_4arch9wavefront6targetE1EEEvSL_.numbered_sgpr, 0
	.set _ZN7rocprim17ROCPRIM_400000_NS6detail17trampoline_kernelINS0_14default_configENS1_36segmented_radix_sort_config_selectorI6__halflEEZNS1_25segmented_radix_sort_implIS3_Lb0EPKS5_PS5_PKlPlN2at6native12_GLOBAL__N_18offset_tEEE10hipError_tPvRmT1_PNSt15iterator_traitsISL_E10value_typeET2_T3_PNSM_ISR_E10value_typeET4_jRbjT5_SX_jjP12ihipStream_tbEUlT_E2_NS1_11comp_targetILNS1_3genE4ELNS1_11target_archE910ELNS1_3gpuE8ELNS1_3repE0EEENS1_30default_config_static_selectorELNS0_4arch9wavefront6targetE1EEEvSL_.num_named_barrier, 0
	.set _ZN7rocprim17ROCPRIM_400000_NS6detail17trampoline_kernelINS0_14default_configENS1_36segmented_radix_sort_config_selectorI6__halflEEZNS1_25segmented_radix_sort_implIS3_Lb0EPKS5_PS5_PKlPlN2at6native12_GLOBAL__N_18offset_tEEE10hipError_tPvRmT1_PNSt15iterator_traitsISL_E10value_typeET2_T3_PNSM_ISR_E10value_typeET4_jRbjT5_SX_jjP12ihipStream_tbEUlT_E2_NS1_11comp_targetILNS1_3genE4ELNS1_11target_archE910ELNS1_3gpuE8ELNS1_3repE0EEENS1_30default_config_static_selectorELNS0_4arch9wavefront6targetE1EEEvSL_.private_seg_size, 0
	.set _ZN7rocprim17ROCPRIM_400000_NS6detail17trampoline_kernelINS0_14default_configENS1_36segmented_radix_sort_config_selectorI6__halflEEZNS1_25segmented_radix_sort_implIS3_Lb0EPKS5_PS5_PKlPlN2at6native12_GLOBAL__N_18offset_tEEE10hipError_tPvRmT1_PNSt15iterator_traitsISL_E10value_typeET2_T3_PNSM_ISR_E10value_typeET4_jRbjT5_SX_jjP12ihipStream_tbEUlT_E2_NS1_11comp_targetILNS1_3genE4ELNS1_11target_archE910ELNS1_3gpuE8ELNS1_3repE0EEENS1_30default_config_static_selectorELNS0_4arch9wavefront6targetE1EEEvSL_.uses_vcc, 0
	.set _ZN7rocprim17ROCPRIM_400000_NS6detail17trampoline_kernelINS0_14default_configENS1_36segmented_radix_sort_config_selectorI6__halflEEZNS1_25segmented_radix_sort_implIS3_Lb0EPKS5_PS5_PKlPlN2at6native12_GLOBAL__N_18offset_tEEE10hipError_tPvRmT1_PNSt15iterator_traitsISL_E10value_typeET2_T3_PNSM_ISR_E10value_typeET4_jRbjT5_SX_jjP12ihipStream_tbEUlT_E2_NS1_11comp_targetILNS1_3genE4ELNS1_11target_archE910ELNS1_3gpuE8ELNS1_3repE0EEENS1_30default_config_static_selectorELNS0_4arch9wavefront6targetE1EEEvSL_.uses_flat_scratch, 0
	.set _ZN7rocprim17ROCPRIM_400000_NS6detail17trampoline_kernelINS0_14default_configENS1_36segmented_radix_sort_config_selectorI6__halflEEZNS1_25segmented_radix_sort_implIS3_Lb0EPKS5_PS5_PKlPlN2at6native12_GLOBAL__N_18offset_tEEE10hipError_tPvRmT1_PNSt15iterator_traitsISL_E10value_typeET2_T3_PNSM_ISR_E10value_typeET4_jRbjT5_SX_jjP12ihipStream_tbEUlT_E2_NS1_11comp_targetILNS1_3genE4ELNS1_11target_archE910ELNS1_3gpuE8ELNS1_3repE0EEENS1_30default_config_static_selectorELNS0_4arch9wavefront6targetE1EEEvSL_.has_dyn_sized_stack, 0
	.set _ZN7rocprim17ROCPRIM_400000_NS6detail17trampoline_kernelINS0_14default_configENS1_36segmented_radix_sort_config_selectorI6__halflEEZNS1_25segmented_radix_sort_implIS3_Lb0EPKS5_PS5_PKlPlN2at6native12_GLOBAL__N_18offset_tEEE10hipError_tPvRmT1_PNSt15iterator_traitsISL_E10value_typeET2_T3_PNSM_ISR_E10value_typeET4_jRbjT5_SX_jjP12ihipStream_tbEUlT_E2_NS1_11comp_targetILNS1_3genE4ELNS1_11target_archE910ELNS1_3gpuE8ELNS1_3repE0EEENS1_30default_config_static_selectorELNS0_4arch9wavefront6targetE1EEEvSL_.has_recursion, 0
	.set _ZN7rocprim17ROCPRIM_400000_NS6detail17trampoline_kernelINS0_14default_configENS1_36segmented_radix_sort_config_selectorI6__halflEEZNS1_25segmented_radix_sort_implIS3_Lb0EPKS5_PS5_PKlPlN2at6native12_GLOBAL__N_18offset_tEEE10hipError_tPvRmT1_PNSt15iterator_traitsISL_E10value_typeET2_T3_PNSM_ISR_E10value_typeET4_jRbjT5_SX_jjP12ihipStream_tbEUlT_E2_NS1_11comp_targetILNS1_3genE4ELNS1_11target_archE910ELNS1_3gpuE8ELNS1_3repE0EEENS1_30default_config_static_selectorELNS0_4arch9wavefront6targetE1EEEvSL_.has_indirect_call, 0
	.section	.AMDGPU.csdata,"",@progbits
; Kernel info:
; codeLenInByte = 0
; TotalNumSgprs: 4
; NumVgprs: 0
; ScratchSize: 0
; MemoryBound: 0
; FloatMode: 240
; IeeeMode: 1
; LDSByteSize: 0 bytes/workgroup (compile time only)
; SGPRBlocks: 0
; VGPRBlocks: 0
; NumSGPRsForWavesPerEU: 4
; NumVGPRsForWavesPerEU: 1
; Occupancy: 10
; WaveLimiterHint : 0
; COMPUTE_PGM_RSRC2:SCRATCH_EN: 0
; COMPUTE_PGM_RSRC2:USER_SGPR: 6
; COMPUTE_PGM_RSRC2:TRAP_HANDLER: 0
; COMPUTE_PGM_RSRC2:TGID_X_EN: 1
; COMPUTE_PGM_RSRC2:TGID_Y_EN: 0
; COMPUTE_PGM_RSRC2:TGID_Z_EN: 0
; COMPUTE_PGM_RSRC2:TIDIG_COMP_CNT: 0
	.section	.text._ZN7rocprim17ROCPRIM_400000_NS6detail17trampoline_kernelINS0_14default_configENS1_36segmented_radix_sort_config_selectorI6__halflEEZNS1_25segmented_radix_sort_implIS3_Lb0EPKS5_PS5_PKlPlN2at6native12_GLOBAL__N_18offset_tEEE10hipError_tPvRmT1_PNSt15iterator_traitsISL_E10value_typeET2_T3_PNSM_ISR_E10value_typeET4_jRbjT5_SX_jjP12ihipStream_tbEUlT_E2_NS1_11comp_targetILNS1_3genE3ELNS1_11target_archE908ELNS1_3gpuE7ELNS1_3repE0EEENS1_30default_config_static_selectorELNS0_4arch9wavefront6targetE1EEEvSL_,"axG",@progbits,_ZN7rocprim17ROCPRIM_400000_NS6detail17trampoline_kernelINS0_14default_configENS1_36segmented_radix_sort_config_selectorI6__halflEEZNS1_25segmented_radix_sort_implIS3_Lb0EPKS5_PS5_PKlPlN2at6native12_GLOBAL__N_18offset_tEEE10hipError_tPvRmT1_PNSt15iterator_traitsISL_E10value_typeET2_T3_PNSM_ISR_E10value_typeET4_jRbjT5_SX_jjP12ihipStream_tbEUlT_E2_NS1_11comp_targetILNS1_3genE3ELNS1_11target_archE908ELNS1_3gpuE7ELNS1_3repE0EEENS1_30default_config_static_selectorELNS0_4arch9wavefront6targetE1EEEvSL_,comdat
	.globl	_ZN7rocprim17ROCPRIM_400000_NS6detail17trampoline_kernelINS0_14default_configENS1_36segmented_radix_sort_config_selectorI6__halflEEZNS1_25segmented_radix_sort_implIS3_Lb0EPKS5_PS5_PKlPlN2at6native12_GLOBAL__N_18offset_tEEE10hipError_tPvRmT1_PNSt15iterator_traitsISL_E10value_typeET2_T3_PNSM_ISR_E10value_typeET4_jRbjT5_SX_jjP12ihipStream_tbEUlT_E2_NS1_11comp_targetILNS1_3genE3ELNS1_11target_archE908ELNS1_3gpuE7ELNS1_3repE0EEENS1_30default_config_static_selectorELNS0_4arch9wavefront6targetE1EEEvSL_ ; -- Begin function _ZN7rocprim17ROCPRIM_400000_NS6detail17trampoline_kernelINS0_14default_configENS1_36segmented_radix_sort_config_selectorI6__halflEEZNS1_25segmented_radix_sort_implIS3_Lb0EPKS5_PS5_PKlPlN2at6native12_GLOBAL__N_18offset_tEEE10hipError_tPvRmT1_PNSt15iterator_traitsISL_E10value_typeET2_T3_PNSM_ISR_E10value_typeET4_jRbjT5_SX_jjP12ihipStream_tbEUlT_E2_NS1_11comp_targetILNS1_3genE3ELNS1_11target_archE908ELNS1_3gpuE7ELNS1_3repE0EEENS1_30default_config_static_selectorELNS0_4arch9wavefront6targetE1EEEvSL_
	.p2align	8
	.type	_ZN7rocprim17ROCPRIM_400000_NS6detail17trampoline_kernelINS0_14default_configENS1_36segmented_radix_sort_config_selectorI6__halflEEZNS1_25segmented_radix_sort_implIS3_Lb0EPKS5_PS5_PKlPlN2at6native12_GLOBAL__N_18offset_tEEE10hipError_tPvRmT1_PNSt15iterator_traitsISL_E10value_typeET2_T3_PNSM_ISR_E10value_typeET4_jRbjT5_SX_jjP12ihipStream_tbEUlT_E2_NS1_11comp_targetILNS1_3genE3ELNS1_11target_archE908ELNS1_3gpuE7ELNS1_3repE0EEENS1_30default_config_static_selectorELNS0_4arch9wavefront6targetE1EEEvSL_,@function
_ZN7rocprim17ROCPRIM_400000_NS6detail17trampoline_kernelINS0_14default_configENS1_36segmented_radix_sort_config_selectorI6__halflEEZNS1_25segmented_radix_sort_implIS3_Lb0EPKS5_PS5_PKlPlN2at6native12_GLOBAL__N_18offset_tEEE10hipError_tPvRmT1_PNSt15iterator_traitsISL_E10value_typeET2_T3_PNSM_ISR_E10value_typeET4_jRbjT5_SX_jjP12ihipStream_tbEUlT_E2_NS1_11comp_targetILNS1_3genE3ELNS1_11target_archE908ELNS1_3gpuE7ELNS1_3repE0EEENS1_30default_config_static_selectorELNS0_4arch9wavefront6targetE1EEEvSL_: ; @_ZN7rocprim17ROCPRIM_400000_NS6detail17trampoline_kernelINS0_14default_configENS1_36segmented_radix_sort_config_selectorI6__halflEEZNS1_25segmented_radix_sort_implIS3_Lb0EPKS5_PS5_PKlPlN2at6native12_GLOBAL__N_18offset_tEEE10hipError_tPvRmT1_PNSt15iterator_traitsISL_E10value_typeET2_T3_PNSM_ISR_E10value_typeET4_jRbjT5_SX_jjP12ihipStream_tbEUlT_E2_NS1_11comp_targetILNS1_3genE3ELNS1_11target_archE908ELNS1_3gpuE7ELNS1_3repE0EEENS1_30default_config_static_selectorELNS0_4arch9wavefront6targetE1EEEvSL_
; %bb.0:
	.section	.rodata,"a",@progbits
	.p2align	6, 0x0
	.amdhsa_kernel _ZN7rocprim17ROCPRIM_400000_NS6detail17trampoline_kernelINS0_14default_configENS1_36segmented_radix_sort_config_selectorI6__halflEEZNS1_25segmented_radix_sort_implIS3_Lb0EPKS5_PS5_PKlPlN2at6native12_GLOBAL__N_18offset_tEEE10hipError_tPvRmT1_PNSt15iterator_traitsISL_E10value_typeET2_T3_PNSM_ISR_E10value_typeET4_jRbjT5_SX_jjP12ihipStream_tbEUlT_E2_NS1_11comp_targetILNS1_3genE3ELNS1_11target_archE908ELNS1_3gpuE7ELNS1_3repE0EEENS1_30default_config_static_selectorELNS0_4arch9wavefront6targetE1EEEvSL_
		.amdhsa_group_segment_fixed_size 0
		.amdhsa_private_segment_fixed_size 0
		.amdhsa_kernarg_size 80
		.amdhsa_user_sgpr_count 6
		.amdhsa_user_sgpr_private_segment_buffer 1
		.amdhsa_user_sgpr_dispatch_ptr 0
		.amdhsa_user_sgpr_queue_ptr 0
		.amdhsa_user_sgpr_kernarg_segment_ptr 1
		.amdhsa_user_sgpr_dispatch_id 0
		.amdhsa_user_sgpr_flat_scratch_init 0
		.amdhsa_user_sgpr_private_segment_size 0
		.amdhsa_uses_dynamic_stack 0
		.amdhsa_system_sgpr_private_segment_wavefront_offset 0
		.amdhsa_system_sgpr_workgroup_id_x 1
		.amdhsa_system_sgpr_workgroup_id_y 0
		.amdhsa_system_sgpr_workgroup_id_z 0
		.amdhsa_system_sgpr_workgroup_info 0
		.amdhsa_system_vgpr_workitem_id 0
		.amdhsa_next_free_vgpr 1
		.amdhsa_next_free_sgpr 0
		.amdhsa_reserve_vcc 0
		.amdhsa_reserve_flat_scratch 0
		.amdhsa_float_round_mode_32 0
		.amdhsa_float_round_mode_16_64 0
		.amdhsa_float_denorm_mode_32 3
		.amdhsa_float_denorm_mode_16_64 3
		.amdhsa_dx10_clamp 1
		.amdhsa_ieee_mode 1
		.amdhsa_fp16_overflow 0
		.amdhsa_exception_fp_ieee_invalid_op 0
		.amdhsa_exception_fp_denorm_src 0
		.amdhsa_exception_fp_ieee_div_zero 0
		.amdhsa_exception_fp_ieee_overflow 0
		.amdhsa_exception_fp_ieee_underflow 0
		.amdhsa_exception_fp_ieee_inexact 0
		.amdhsa_exception_int_div_zero 0
	.end_amdhsa_kernel
	.section	.text._ZN7rocprim17ROCPRIM_400000_NS6detail17trampoline_kernelINS0_14default_configENS1_36segmented_radix_sort_config_selectorI6__halflEEZNS1_25segmented_radix_sort_implIS3_Lb0EPKS5_PS5_PKlPlN2at6native12_GLOBAL__N_18offset_tEEE10hipError_tPvRmT1_PNSt15iterator_traitsISL_E10value_typeET2_T3_PNSM_ISR_E10value_typeET4_jRbjT5_SX_jjP12ihipStream_tbEUlT_E2_NS1_11comp_targetILNS1_3genE3ELNS1_11target_archE908ELNS1_3gpuE7ELNS1_3repE0EEENS1_30default_config_static_selectorELNS0_4arch9wavefront6targetE1EEEvSL_,"axG",@progbits,_ZN7rocprim17ROCPRIM_400000_NS6detail17trampoline_kernelINS0_14default_configENS1_36segmented_radix_sort_config_selectorI6__halflEEZNS1_25segmented_radix_sort_implIS3_Lb0EPKS5_PS5_PKlPlN2at6native12_GLOBAL__N_18offset_tEEE10hipError_tPvRmT1_PNSt15iterator_traitsISL_E10value_typeET2_T3_PNSM_ISR_E10value_typeET4_jRbjT5_SX_jjP12ihipStream_tbEUlT_E2_NS1_11comp_targetILNS1_3genE3ELNS1_11target_archE908ELNS1_3gpuE7ELNS1_3repE0EEENS1_30default_config_static_selectorELNS0_4arch9wavefront6targetE1EEEvSL_,comdat
.Lfunc_end1875:
	.size	_ZN7rocprim17ROCPRIM_400000_NS6detail17trampoline_kernelINS0_14default_configENS1_36segmented_radix_sort_config_selectorI6__halflEEZNS1_25segmented_radix_sort_implIS3_Lb0EPKS5_PS5_PKlPlN2at6native12_GLOBAL__N_18offset_tEEE10hipError_tPvRmT1_PNSt15iterator_traitsISL_E10value_typeET2_T3_PNSM_ISR_E10value_typeET4_jRbjT5_SX_jjP12ihipStream_tbEUlT_E2_NS1_11comp_targetILNS1_3genE3ELNS1_11target_archE908ELNS1_3gpuE7ELNS1_3repE0EEENS1_30default_config_static_selectorELNS0_4arch9wavefront6targetE1EEEvSL_, .Lfunc_end1875-_ZN7rocprim17ROCPRIM_400000_NS6detail17trampoline_kernelINS0_14default_configENS1_36segmented_radix_sort_config_selectorI6__halflEEZNS1_25segmented_radix_sort_implIS3_Lb0EPKS5_PS5_PKlPlN2at6native12_GLOBAL__N_18offset_tEEE10hipError_tPvRmT1_PNSt15iterator_traitsISL_E10value_typeET2_T3_PNSM_ISR_E10value_typeET4_jRbjT5_SX_jjP12ihipStream_tbEUlT_E2_NS1_11comp_targetILNS1_3genE3ELNS1_11target_archE908ELNS1_3gpuE7ELNS1_3repE0EEENS1_30default_config_static_selectorELNS0_4arch9wavefront6targetE1EEEvSL_
                                        ; -- End function
	.set _ZN7rocprim17ROCPRIM_400000_NS6detail17trampoline_kernelINS0_14default_configENS1_36segmented_radix_sort_config_selectorI6__halflEEZNS1_25segmented_radix_sort_implIS3_Lb0EPKS5_PS5_PKlPlN2at6native12_GLOBAL__N_18offset_tEEE10hipError_tPvRmT1_PNSt15iterator_traitsISL_E10value_typeET2_T3_PNSM_ISR_E10value_typeET4_jRbjT5_SX_jjP12ihipStream_tbEUlT_E2_NS1_11comp_targetILNS1_3genE3ELNS1_11target_archE908ELNS1_3gpuE7ELNS1_3repE0EEENS1_30default_config_static_selectorELNS0_4arch9wavefront6targetE1EEEvSL_.num_vgpr, 0
	.set _ZN7rocprim17ROCPRIM_400000_NS6detail17trampoline_kernelINS0_14default_configENS1_36segmented_radix_sort_config_selectorI6__halflEEZNS1_25segmented_radix_sort_implIS3_Lb0EPKS5_PS5_PKlPlN2at6native12_GLOBAL__N_18offset_tEEE10hipError_tPvRmT1_PNSt15iterator_traitsISL_E10value_typeET2_T3_PNSM_ISR_E10value_typeET4_jRbjT5_SX_jjP12ihipStream_tbEUlT_E2_NS1_11comp_targetILNS1_3genE3ELNS1_11target_archE908ELNS1_3gpuE7ELNS1_3repE0EEENS1_30default_config_static_selectorELNS0_4arch9wavefront6targetE1EEEvSL_.num_agpr, 0
	.set _ZN7rocprim17ROCPRIM_400000_NS6detail17trampoline_kernelINS0_14default_configENS1_36segmented_radix_sort_config_selectorI6__halflEEZNS1_25segmented_radix_sort_implIS3_Lb0EPKS5_PS5_PKlPlN2at6native12_GLOBAL__N_18offset_tEEE10hipError_tPvRmT1_PNSt15iterator_traitsISL_E10value_typeET2_T3_PNSM_ISR_E10value_typeET4_jRbjT5_SX_jjP12ihipStream_tbEUlT_E2_NS1_11comp_targetILNS1_3genE3ELNS1_11target_archE908ELNS1_3gpuE7ELNS1_3repE0EEENS1_30default_config_static_selectorELNS0_4arch9wavefront6targetE1EEEvSL_.numbered_sgpr, 0
	.set _ZN7rocprim17ROCPRIM_400000_NS6detail17trampoline_kernelINS0_14default_configENS1_36segmented_radix_sort_config_selectorI6__halflEEZNS1_25segmented_radix_sort_implIS3_Lb0EPKS5_PS5_PKlPlN2at6native12_GLOBAL__N_18offset_tEEE10hipError_tPvRmT1_PNSt15iterator_traitsISL_E10value_typeET2_T3_PNSM_ISR_E10value_typeET4_jRbjT5_SX_jjP12ihipStream_tbEUlT_E2_NS1_11comp_targetILNS1_3genE3ELNS1_11target_archE908ELNS1_3gpuE7ELNS1_3repE0EEENS1_30default_config_static_selectorELNS0_4arch9wavefront6targetE1EEEvSL_.num_named_barrier, 0
	.set _ZN7rocprim17ROCPRIM_400000_NS6detail17trampoline_kernelINS0_14default_configENS1_36segmented_radix_sort_config_selectorI6__halflEEZNS1_25segmented_radix_sort_implIS3_Lb0EPKS5_PS5_PKlPlN2at6native12_GLOBAL__N_18offset_tEEE10hipError_tPvRmT1_PNSt15iterator_traitsISL_E10value_typeET2_T3_PNSM_ISR_E10value_typeET4_jRbjT5_SX_jjP12ihipStream_tbEUlT_E2_NS1_11comp_targetILNS1_3genE3ELNS1_11target_archE908ELNS1_3gpuE7ELNS1_3repE0EEENS1_30default_config_static_selectorELNS0_4arch9wavefront6targetE1EEEvSL_.private_seg_size, 0
	.set _ZN7rocprim17ROCPRIM_400000_NS6detail17trampoline_kernelINS0_14default_configENS1_36segmented_radix_sort_config_selectorI6__halflEEZNS1_25segmented_radix_sort_implIS3_Lb0EPKS5_PS5_PKlPlN2at6native12_GLOBAL__N_18offset_tEEE10hipError_tPvRmT1_PNSt15iterator_traitsISL_E10value_typeET2_T3_PNSM_ISR_E10value_typeET4_jRbjT5_SX_jjP12ihipStream_tbEUlT_E2_NS1_11comp_targetILNS1_3genE3ELNS1_11target_archE908ELNS1_3gpuE7ELNS1_3repE0EEENS1_30default_config_static_selectorELNS0_4arch9wavefront6targetE1EEEvSL_.uses_vcc, 0
	.set _ZN7rocprim17ROCPRIM_400000_NS6detail17trampoline_kernelINS0_14default_configENS1_36segmented_radix_sort_config_selectorI6__halflEEZNS1_25segmented_radix_sort_implIS3_Lb0EPKS5_PS5_PKlPlN2at6native12_GLOBAL__N_18offset_tEEE10hipError_tPvRmT1_PNSt15iterator_traitsISL_E10value_typeET2_T3_PNSM_ISR_E10value_typeET4_jRbjT5_SX_jjP12ihipStream_tbEUlT_E2_NS1_11comp_targetILNS1_3genE3ELNS1_11target_archE908ELNS1_3gpuE7ELNS1_3repE0EEENS1_30default_config_static_selectorELNS0_4arch9wavefront6targetE1EEEvSL_.uses_flat_scratch, 0
	.set _ZN7rocprim17ROCPRIM_400000_NS6detail17trampoline_kernelINS0_14default_configENS1_36segmented_radix_sort_config_selectorI6__halflEEZNS1_25segmented_radix_sort_implIS3_Lb0EPKS5_PS5_PKlPlN2at6native12_GLOBAL__N_18offset_tEEE10hipError_tPvRmT1_PNSt15iterator_traitsISL_E10value_typeET2_T3_PNSM_ISR_E10value_typeET4_jRbjT5_SX_jjP12ihipStream_tbEUlT_E2_NS1_11comp_targetILNS1_3genE3ELNS1_11target_archE908ELNS1_3gpuE7ELNS1_3repE0EEENS1_30default_config_static_selectorELNS0_4arch9wavefront6targetE1EEEvSL_.has_dyn_sized_stack, 0
	.set _ZN7rocprim17ROCPRIM_400000_NS6detail17trampoline_kernelINS0_14default_configENS1_36segmented_radix_sort_config_selectorI6__halflEEZNS1_25segmented_radix_sort_implIS3_Lb0EPKS5_PS5_PKlPlN2at6native12_GLOBAL__N_18offset_tEEE10hipError_tPvRmT1_PNSt15iterator_traitsISL_E10value_typeET2_T3_PNSM_ISR_E10value_typeET4_jRbjT5_SX_jjP12ihipStream_tbEUlT_E2_NS1_11comp_targetILNS1_3genE3ELNS1_11target_archE908ELNS1_3gpuE7ELNS1_3repE0EEENS1_30default_config_static_selectorELNS0_4arch9wavefront6targetE1EEEvSL_.has_recursion, 0
	.set _ZN7rocprim17ROCPRIM_400000_NS6detail17trampoline_kernelINS0_14default_configENS1_36segmented_radix_sort_config_selectorI6__halflEEZNS1_25segmented_radix_sort_implIS3_Lb0EPKS5_PS5_PKlPlN2at6native12_GLOBAL__N_18offset_tEEE10hipError_tPvRmT1_PNSt15iterator_traitsISL_E10value_typeET2_T3_PNSM_ISR_E10value_typeET4_jRbjT5_SX_jjP12ihipStream_tbEUlT_E2_NS1_11comp_targetILNS1_3genE3ELNS1_11target_archE908ELNS1_3gpuE7ELNS1_3repE0EEENS1_30default_config_static_selectorELNS0_4arch9wavefront6targetE1EEEvSL_.has_indirect_call, 0
	.section	.AMDGPU.csdata,"",@progbits
; Kernel info:
; codeLenInByte = 0
; TotalNumSgprs: 4
; NumVgprs: 0
; ScratchSize: 0
; MemoryBound: 0
; FloatMode: 240
; IeeeMode: 1
; LDSByteSize: 0 bytes/workgroup (compile time only)
; SGPRBlocks: 0
; VGPRBlocks: 0
; NumSGPRsForWavesPerEU: 4
; NumVGPRsForWavesPerEU: 1
; Occupancy: 10
; WaveLimiterHint : 0
; COMPUTE_PGM_RSRC2:SCRATCH_EN: 0
; COMPUTE_PGM_RSRC2:USER_SGPR: 6
; COMPUTE_PGM_RSRC2:TRAP_HANDLER: 0
; COMPUTE_PGM_RSRC2:TGID_X_EN: 1
; COMPUTE_PGM_RSRC2:TGID_Y_EN: 0
; COMPUTE_PGM_RSRC2:TGID_Z_EN: 0
; COMPUTE_PGM_RSRC2:TIDIG_COMP_CNT: 0
	.section	.text._ZN7rocprim17ROCPRIM_400000_NS6detail17trampoline_kernelINS0_14default_configENS1_36segmented_radix_sort_config_selectorI6__halflEEZNS1_25segmented_radix_sort_implIS3_Lb0EPKS5_PS5_PKlPlN2at6native12_GLOBAL__N_18offset_tEEE10hipError_tPvRmT1_PNSt15iterator_traitsISL_E10value_typeET2_T3_PNSM_ISR_E10value_typeET4_jRbjT5_SX_jjP12ihipStream_tbEUlT_E2_NS1_11comp_targetILNS1_3genE2ELNS1_11target_archE906ELNS1_3gpuE6ELNS1_3repE0EEENS1_30default_config_static_selectorELNS0_4arch9wavefront6targetE1EEEvSL_,"axG",@progbits,_ZN7rocprim17ROCPRIM_400000_NS6detail17trampoline_kernelINS0_14default_configENS1_36segmented_radix_sort_config_selectorI6__halflEEZNS1_25segmented_radix_sort_implIS3_Lb0EPKS5_PS5_PKlPlN2at6native12_GLOBAL__N_18offset_tEEE10hipError_tPvRmT1_PNSt15iterator_traitsISL_E10value_typeET2_T3_PNSM_ISR_E10value_typeET4_jRbjT5_SX_jjP12ihipStream_tbEUlT_E2_NS1_11comp_targetILNS1_3genE2ELNS1_11target_archE906ELNS1_3gpuE6ELNS1_3repE0EEENS1_30default_config_static_selectorELNS0_4arch9wavefront6targetE1EEEvSL_,comdat
	.globl	_ZN7rocprim17ROCPRIM_400000_NS6detail17trampoline_kernelINS0_14default_configENS1_36segmented_radix_sort_config_selectorI6__halflEEZNS1_25segmented_radix_sort_implIS3_Lb0EPKS5_PS5_PKlPlN2at6native12_GLOBAL__N_18offset_tEEE10hipError_tPvRmT1_PNSt15iterator_traitsISL_E10value_typeET2_T3_PNSM_ISR_E10value_typeET4_jRbjT5_SX_jjP12ihipStream_tbEUlT_E2_NS1_11comp_targetILNS1_3genE2ELNS1_11target_archE906ELNS1_3gpuE6ELNS1_3repE0EEENS1_30default_config_static_selectorELNS0_4arch9wavefront6targetE1EEEvSL_ ; -- Begin function _ZN7rocprim17ROCPRIM_400000_NS6detail17trampoline_kernelINS0_14default_configENS1_36segmented_radix_sort_config_selectorI6__halflEEZNS1_25segmented_radix_sort_implIS3_Lb0EPKS5_PS5_PKlPlN2at6native12_GLOBAL__N_18offset_tEEE10hipError_tPvRmT1_PNSt15iterator_traitsISL_E10value_typeET2_T3_PNSM_ISR_E10value_typeET4_jRbjT5_SX_jjP12ihipStream_tbEUlT_E2_NS1_11comp_targetILNS1_3genE2ELNS1_11target_archE906ELNS1_3gpuE6ELNS1_3repE0EEENS1_30default_config_static_selectorELNS0_4arch9wavefront6targetE1EEEvSL_
	.p2align	8
	.type	_ZN7rocprim17ROCPRIM_400000_NS6detail17trampoline_kernelINS0_14default_configENS1_36segmented_radix_sort_config_selectorI6__halflEEZNS1_25segmented_radix_sort_implIS3_Lb0EPKS5_PS5_PKlPlN2at6native12_GLOBAL__N_18offset_tEEE10hipError_tPvRmT1_PNSt15iterator_traitsISL_E10value_typeET2_T3_PNSM_ISR_E10value_typeET4_jRbjT5_SX_jjP12ihipStream_tbEUlT_E2_NS1_11comp_targetILNS1_3genE2ELNS1_11target_archE906ELNS1_3gpuE6ELNS1_3repE0EEENS1_30default_config_static_selectorELNS0_4arch9wavefront6targetE1EEEvSL_,@function
_ZN7rocprim17ROCPRIM_400000_NS6detail17trampoline_kernelINS0_14default_configENS1_36segmented_radix_sort_config_selectorI6__halflEEZNS1_25segmented_radix_sort_implIS3_Lb0EPKS5_PS5_PKlPlN2at6native12_GLOBAL__N_18offset_tEEE10hipError_tPvRmT1_PNSt15iterator_traitsISL_E10value_typeET2_T3_PNSM_ISR_E10value_typeET4_jRbjT5_SX_jjP12ihipStream_tbEUlT_E2_NS1_11comp_targetILNS1_3genE2ELNS1_11target_archE906ELNS1_3gpuE6ELNS1_3repE0EEENS1_30default_config_static_selectorELNS0_4arch9wavefront6targetE1EEEvSL_: ; @_ZN7rocprim17ROCPRIM_400000_NS6detail17trampoline_kernelINS0_14default_configENS1_36segmented_radix_sort_config_selectorI6__halflEEZNS1_25segmented_radix_sort_implIS3_Lb0EPKS5_PS5_PKlPlN2at6native12_GLOBAL__N_18offset_tEEE10hipError_tPvRmT1_PNSt15iterator_traitsISL_E10value_typeET2_T3_PNSM_ISR_E10value_typeET4_jRbjT5_SX_jjP12ihipStream_tbEUlT_E2_NS1_11comp_targetILNS1_3genE2ELNS1_11target_archE906ELNS1_3gpuE6ELNS1_3repE0EEENS1_30default_config_static_selectorELNS0_4arch9wavefront6targetE1EEEvSL_
; %bb.0:
	s_add_u32 s0, s0, s8
	s_load_dwordx4 s[8:11], s[4:5], 0x34
	s_addc_u32 s1, s1, 0
	s_mov_b32 s32, 0
	s_waitcnt lgkmcnt(0)
	s_add_i32 s51, s9, s6
	s_add_i32 s80, s11, s6
	s_mul_i32 s51, s51, s8
	s_mul_i32 s80, s80, s10
	s_cmp_le_u32 s80, s51
	s_cbranch_scc1 .LBB1876_675
; %bb.1:
	s_mov_b32 s50, s6
	s_load_dword s6, s[4:5], 0x30
	s_load_dwordx4 s[72:75], s[4:5], 0x20
	s_load_dwordx4 s[76:79], s[4:5], 0x44
	s_load_dwordx8 s[64:71], s[4:5], 0x0
	s_mov_b32 s33, s7
	s_waitcnt lgkmcnt(0)
	s_bitcmp1_b32 s6, 0
	s_cselect_b64 s[54:55], -1, 0
	s_sub_i32 s79, s80, s51
	s_cmpk_lt_u32 s79, 0x801
	s_mov_b64 s[6:7], -1
	s_cbranch_scc0 .LBB1876_12
; %bb.2:
	s_cmp_lt_u32 s79, 33
	s_cbranch_scc0 .LBB1876_6
; %bb.3:
	s_load_dword s6, s[4:5], 0x5c
	s_waitcnt lgkmcnt(0)
	s_lshr_b32 s7, s6, 16
	s_and_b32 s6, s6, 0xffff
	v_mad_u32_u24 v3, v2, s7, v1
	v_mad_u64_u32 v[3:4], s[6:7], v3, s6, v[0:1]
	v_cmp_gt_u32_e32 vcc, 8, v3
	s_and_saveexec_b64 s[34:35], vcc
	s_cbranch_execz .LBB1876_5
; %bb.4:
	s_bitcmp1_b32 s76, 0
	s_cselect_b64 s[8:9], -1, 0
	s_xor_b64 s[8:9], s[54:55], s[8:9]
	s_xor_b64 s[8:9], s[8:9], -1
	v_cndmask_b32_e64 v12, 0, 1, s[8:9]
	s_add_u32 s8, s4, 0x50
	s_mov_b64 s[6:7], src_shared_base
	s_addc_u32 s9, s5, 0
	v_lshlrev_b32_e32 v3, 20, v2
	v_lshlrev_b32_e32 v4, 10, v1
	s_getpc_b64 s[10:11]
	s_add_u32 s10, s10, _ZN7rocprim17ROCPRIM_400000_NS6detail26segmented_warp_sort_helperINS1_20WarpSortHelperConfigILj8ELj4ELj256EEE6__halflLi256ELb0EvE4sortIPKS5_PS5_PKlPlEEvT_SA_T0_T1_SD_T2_bjjjjRNS6_12storage_typeE@rel32@lo+4
	s_addc_u32 s11, s11, _ZN7rocprim17ROCPRIM_400000_NS6detail26segmented_warp_sort_helperINS1_20WarpSortHelperConfigILj8ELj4ELj256EEE6__halflLi256ELb0EvE4sortIPKS5_PS5_PKlPlEEvT_SA_T0_T1_SD_T2_bjjjjRNS6_12storage_typeE@rel32@hi+12
	v_or3_b32 v31, v0, v4, v3
	s_mov_b32 s12, s50
	s_mov_b32 s13, s33
	v_mov_b32_e32 v40, v0
	v_mov_b32_e32 v0, s64
	;; [unrolled: 1-line block ×19, first 2 shown]
	s_mov_b64 s[36:37], s[4:5]
	s_swappc_b64 s[30:31], s[10:11]
	v_mov_b32_e32 v1, v41
	v_mov_b32_e32 v2, v42
	;; [unrolled: 1-line block ×3, first 2 shown]
	s_mov_b64 s[4:5], s[36:37]
.LBB1876_5:
	s_or_b64 exec, exec, s[34:35]
	s_mov_b64 s[6:7], 0
.LBB1876_6:
	s_andn2_b64 vcc, exec, s[6:7]
	s_cbranch_vccnz .LBB1876_11
; %bb.7:
	s_and_b32 s6, s76, 1
	v_cndmask_b32_e64 v3, 0, 1, s[54:55]
	v_cmp_ne_u32_e32 vcc, s6, v3
	s_mov_b64 s[6:7], -1
	v_lshlrev_b32_e32 v41, 20, v2
	v_lshlrev_b32_e32 v42, 10, v1
	s_cbranch_vccnz .LBB1876_9
; %bb.8:
	s_add_u32 s8, s4, 0x50
	s_mov_b64 s[6:7], src_shared_base
	s_addc_u32 s9, s5, 0
	s_getpc_b64 s[10:11]
	s_add_u32 s10, s10, _ZN7rocprim17ROCPRIM_400000_NS6detail40segmented_radix_sort_single_block_helperI6__halflLj256ELj8ELb0EE4sortIPKS3_PS3_PKlPlEEbT_T0_T1_T2_jjjjRNS4_12storage_typeE@rel32@lo+4
	s_addc_u32 s11, s11, _ZN7rocprim17ROCPRIM_400000_NS6detail40segmented_radix_sort_single_block_helperI6__halflLj256ELj8ELb0EE4sortIPKS3_PS3_PKlPlEEbT_T0_T1_T2_jjjjRNS4_12storage_typeE@rel32@hi+12
	v_or3_b32 v31, v0, v42, v41
	s_mov_b32 s12, s50
	s_mov_b32 s13, s33
	v_mov_b32_e32 v40, v0
	v_mov_b32_e32 v0, s64
	;; [unrolled: 1-line block ×17, first 2 shown]
	s_mov_b64 s[34:35], s[4:5]
	s_swappc_b64 s[30:31], s[10:11]
	v_mov_b32_e32 v1, v43
	v_mov_b32_e32 v2, v44
	;; [unrolled: 1-line block ×3, first 2 shown]
	s_mov_b64 s[4:5], s[34:35]
	s_mov_b64 s[6:7], 0
.LBB1876_9:
	s_andn2_b64 vcc, exec, s[6:7]
	s_cbranch_vccnz .LBB1876_11
; %bb.10:
	s_add_u32 s8, s4, 0x50
	s_mov_b64 s[6:7], src_shared_base
	s_addc_u32 s9, s5, 0
	s_getpc_b64 s[10:11]
	s_add_u32 s10, s10, _ZN7rocprim17ROCPRIM_400000_NS6detail40segmented_radix_sort_single_block_helperI6__halflLj256ELj8ELb0EE4sortIPKS3_PS3_PKlPlEEbT_T0_T1_T2_jjjjRNS4_12storage_typeE@rel32@lo+4
	s_addc_u32 s11, s11, _ZN7rocprim17ROCPRIM_400000_NS6detail40segmented_radix_sort_single_block_helperI6__halflLj256ELj8ELb0EE4sortIPKS3_PS3_PKlPlEEbT_T0_T1_T2_jjjjRNS4_12storage_typeE@rel32@hi+12
	v_or3_b32 v31, v0, v42, v41
	s_mov_b32 s12, s50
	s_mov_b32 s13, s33
	v_mov_b32_e32 v40, v0
	v_mov_b32_e32 v0, s64
	;; [unrolled: 1-line block ×17, first 2 shown]
	s_mov_b64 s[34:35], s[4:5]
	s_swappc_b64 s[30:31], s[10:11]
	v_mov_b32_e32 v1, v41
	v_mov_b32_e32 v2, v42
	;; [unrolled: 1-line block ×3, first 2 shown]
	s_mov_b64 s[4:5], s[34:35]
.LBB1876_11:
	s_mov_b64 s[6:7], 0
.LBB1876_12:
	s_andn2_b64 vcc, exec, s[6:7]
	s_cbranch_vccnz .LBB1876_675
; %bb.13:
	s_cmp_ge_u32 s77, s78
	s_cbranch_scc1 .LBB1876_675
; %bb.14:
	v_and_b32_e32 v4, 3, v0
	s_movk_i32 s6, 0x100
	v_lshlrev_b32_e32 v35, 2, v4
	v_or_b32_e32 v4, 63, v0
	v_lshlrev_b32_e32 v25, 2, v0
	v_lshlrev_b32_e32 v5, 1, v0
	s_mov_b64 s[12:13], s[4:5]
	v_cmp_gt_u32_e64 s[4:5], s6, v0
	v_cmp_eq_u32_e64 s[6:7], v0, v4
	v_lshrrev_b32_e32 v4, 4, v0
	v_mov_b32_e32 v6, s69
	v_add_co_u32_e32 v29, vcc, s68, v5
	v_mad_u32_u24 v36, v0, 12, v25
	v_and_b32_e32 v37, 12, v4
	v_lshlrev_b32_e32 v4, 3, v0
	v_addc_co_u32_e32 v30, vcc, 0, v6, vcc
	v_and_b32_e32 v4, 0x600, v4
	v_add_u32_e32 v41, v36, v25
	v_lshlrev_b32_e32 v6, 4, v0
	v_sub_u32_e32 v42, v41, v6
	v_lshlrev_b32_e32 v6, 3, v4
	v_mov_b32_e32 v7, s75
	v_add_co_u32_e32 v43, vcc, s74, v6
	v_addc_co_u32_e32 v44, vcc, 0, v7, vcc
	v_lshlrev_b32_e32 v7, 1, v4
	v_mov_b32_e32 v8, s69
	v_add_co_u32_e32 v45, vcc, s68, v7
	v_addc_co_u32_e32 v46, vcc, 0, v8, vcc
	v_mov_b32_e32 v8, s67
	v_add_co_u32_e32 v49, vcc, s66, v5
	v_addc_co_u32_e32 v50, vcc, 0, v8, vcc
	;; [unrolled: 3-line block ×5, first 2 shown]
	v_sub_u32_e32 v47, v42, v5
	v_mov_b32_e32 v5, s71
	v_add_co_u32_e32 v57, vcc, s70, v6
	v_addc_co_u32_e32 v58, vcc, 0, v5, vcc
	v_mov_b32_e32 v5, s65
	v_add_co_u32_e32 v59, vcc, s64, v7
	v_addc_co_u32_e32 v60, vcc, 0, v5, vcc
	v_mbcnt_lo_u32_b32 v5, -1, 0
	v_mbcnt_hi_u32_b32 v66, -1, v5
	v_and_b32_e32 v5, 63, v66
	s_add_u32 s56, s12, 0x50
	s_movk_i32 s14, 0xff
	v_or_b32_e32 v73, v5, v4
	v_mov_b32_e32 v3, 0
	v_or_b32_e32 v26, 0x100, v0
	v_or_b32_e32 v27, 0x200, v0
	;; [unrolled: 1-line block ×8, first 2 shown]
	v_cmp_gt_u32_e64 s[8:9], 4, v0
	v_or_b32_e32 v39, 0x4400, v25
	v_cmp_lt_u32_e64 s[10:11], 63, v0
	v_add_u32_e32 v40, 0x43fc, v37
	s_addc_u32 s57, s13, 0
	s_mov_b32 s59, 0
	v_cmp_eq_u32_e64 s[12:13], 0, v0
	v_cmp_ne_u32_e64 s[14:15], s14, v0
	v_mul_u32_u24_e32 v48, 6, v0
	s_movk_i32 s62, 0x7fff
	v_mov_b32_e32 v61, 1
	v_add_u32_e32 v62, 0x410, v41
	v_add_u32_e32 v63, 0x418, v41
	v_lshlrev_b32_e32 v64, 1, v0
	v_mov_b32_e32 v65, 0xffff8000
	v_and_b32_e32 v67, 15, v66
	v_bfe_i32 v68, v66, 4, 1
	v_and_b32_e32 v69, 16, v66
	v_and_b32_e32 v70, 3, v66
	;; [unrolled: 1-line block ×3, first 2 shown]
	v_lshlrev_b32_e32 v72, 3, v5
	v_or_b32_e32 v74, 64, v73
	v_or_b32_e32 v75, 0x80, v73
	;; [unrolled: 1-line block ×7, first 2 shown]
	v_lshlrev_b32_e32 v81, 1, v5
	s_mov_b32 s63, s77
	s_branch .LBB1876_17
.LBB1876_15:                            ;   in Loop: Header=BB1876_17 Depth=1
	s_waitcnt lgkmcnt(0)
	s_barrier
.LBB1876_16:                            ;   in Loop: Header=BB1876_17 Depth=1
	s_add_i32 s63, s63, 8
	s_cmp_ge_u32 s63, s78
	s_cbranch_scc1 .LBB1876_675
.LBB1876_17:                            ; =>This Loop Header: Depth=1
                                        ;     Child Loop BB1876_21 Depth 2
                                        ;     Child Loop BB1876_69 Depth 2
	;; [unrolled: 1-line block ×8, first 2 shown]
	s_sub_i32 s16, s78, s63
	s_min_u32 s16, s16, 8
	s_lshl_b32 s16, -1, s16
	s_xor_b64 s[54:55], s[54:55], -1
	s_not_b32 s70, s16
	s_cmp_lg_u32 s63, s77
	s_mov_b64 s[16:17], -1
	ds_write2st64_b32 v25, v3, v3 offset1:4
	ds_write2st64_b32 v25, v3, v3 offset0:8 offset1:12
	s_waitcnt lgkmcnt(0)
	s_cbranch_scc0 .LBB1876_347
; %bb.18:                               ;   in Loop: Header=BB1876_17 Depth=1
	s_and_b64 vcc, exec, s[54:55]
	s_cbranch_vccz .LBB1876_182
; %bb.19:                               ;   in Loop: Header=BB1876_17 Depth=1
	s_mov_b32 s20, s79
	s_mov_b32 s58, s51
	s_barrier
                                        ; implicit-def: $vgpr4
                                        ; implicit-def: $vgpr5
                                        ; implicit-def: $vgpr6
                                        ; implicit-def: $vgpr7
                                        ; implicit-def: $vgpr8
                                        ; implicit-def: $vgpr9
                                        ; implicit-def: $vgpr10
                                        ; implicit-def: $vgpr11
	s_branch .LBB1876_21
.LBB1876_20:                            ;   in Loop: Header=BB1876_21 Depth=2
	s_or_b64 exec, exec, s[16:17]
	s_addk_i32 s20, 0xf800
	s_cmp_ge_u32 s21, s80
	s_mov_b32 s58, s21
	s_cbranch_scc1 .LBB1876_57
.LBB1876_21:                            ;   Parent Loop BB1876_17 Depth=1
                                        ; =>  This Inner Loop Header: Depth=2
	s_add_i32 s21, s58, 0x800
	s_cmp_gt_u32 s21, s80
	s_mov_b64 s[16:17], -1
                                        ; implicit-def: $vgpr12
                                        ; implicit-def: $vgpr13
                                        ; implicit-def: $vgpr14
                                        ; implicit-def: $vgpr15
                                        ; implicit-def: $vgpr16
                                        ; implicit-def: $vgpr17
                                        ; implicit-def: $vgpr18
                                        ; implicit-def: $vgpr19
	s_cbranch_scc1 .LBB1876_23
; %bb.22:                               ;   in Loop: Header=BB1876_21 Depth=2
	s_lshl_b64 s[16:17], s[58:59], 1
	v_mov_b32_e32 v12, s17
	v_add_co_u32_e32 v20, vcc, s16, v29
	v_addc_co_u32_e32 v21, vcc, v30, v12, vcc
	global_load_ushort v12, v[20:21], off
	global_load_ushort v13, v[20:21], off offset:512
	global_load_ushort v14, v[20:21], off offset:1024
	;; [unrolled: 1-line block ×7, first 2 shown]
	s_mov_b64 s[16:17], 0
.LBB1876_23:                            ;   in Loop: Header=BB1876_21 Depth=2
	s_andn2_b64 vcc, exec, s[16:17]
	s_movk_i32 s18, 0x800
	s_cbranch_vccnz .LBB1876_34
; %bb.24:                               ;   in Loop: Header=BB1876_21 Depth=2
	s_lshl_b64 s[16:17], s[58:59], 1
	s_add_u32 s16, s68, s16
	s_addc_u32 s17, s69, s17
	v_cmp_gt_u32_e32 vcc, s20, v0
	s_and_saveexec_b64 s[18:19], vcc
	s_cbranch_execnz .LBB1876_50
; %bb.25:                               ;   in Loop: Header=BB1876_21 Depth=2
	s_or_b64 exec, exec, s[18:19]
	v_cmp_gt_u32_e32 vcc, s20, v26
	s_and_saveexec_b64 s[18:19], vcc
	s_cbranch_execnz .LBB1876_51
.LBB1876_26:                            ;   in Loop: Header=BB1876_21 Depth=2
	s_or_b64 exec, exec, s[18:19]
	v_cmp_gt_u32_e32 vcc, s20, v27
	s_and_saveexec_b64 s[18:19], vcc
	s_cbranch_execnz .LBB1876_52
.LBB1876_27:                            ;   in Loop: Header=BB1876_21 Depth=2
	s_or_b64 exec, exec, s[18:19]
	v_cmp_gt_u32_e32 vcc, s20, v28
	s_and_saveexec_b64 s[18:19], vcc
	s_cbranch_execnz .LBB1876_53
.LBB1876_28:                            ;   in Loop: Header=BB1876_21 Depth=2
	s_or_b64 exec, exec, s[18:19]
	v_cmp_gt_u32_e32 vcc, s20, v31
	s_and_saveexec_b64 s[18:19], vcc
	s_cbranch_execnz .LBB1876_54
.LBB1876_29:                            ;   in Loop: Header=BB1876_21 Depth=2
	s_or_b64 exec, exec, s[18:19]
	v_cmp_gt_u32_e32 vcc, s20, v32
	s_and_saveexec_b64 s[18:19], vcc
	s_cbranch_execnz .LBB1876_55
.LBB1876_30:                            ;   in Loop: Header=BB1876_21 Depth=2
	s_or_b64 exec, exec, s[18:19]
	v_cmp_gt_u32_e32 vcc, s20, v33
	s_and_saveexec_b64 s[18:19], vcc
	s_cbranch_execnz .LBB1876_56
.LBB1876_31:                            ;   in Loop: Header=BB1876_21 Depth=2
	s_or_b64 exec, exec, s[18:19]
	v_cmp_gt_u32_e32 vcc, s20, v34
	s_and_saveexec_b64 s[18:19], vcc
	s_cbranch_execz .LBB1876_33
.LBB1876_32:                            ;   in Loop: Header=BB1876_21 Depth=2
	global_load_ushort v4, v64, s[16:17] offset:3584
.LBB1876_33:                            ;   in Loop: Header=BB1876_21 Depth=2
	s_or_b64 exec, exec, s[18:19]
	s_mov_b32 s18, s20
	s_waitcnt vmcnt(0)
	v_mov_b32_e32 v12, v11
	v_mov_b32_e32 v13, v10
	v_mov_b32_e32 v14, v9
	v_mov_b32_e32 v15, v8
	v_mov_b32_e32 v16, v7
	v_mov_b32_e32 v17, v6
	v_mov_b32_e32 v18, v5
	v_mov_b32_e32 v19, v4
.LBB1876_34:                            ;   in Loop: Header=BB1876_21 Depth=2
	s_waitcnt vmcnt(0)
	v_mov_b32_e32 v4, v19
	v_mov_b32_e32 v5, v18
	;; [unrolled: 1-line block ×8, first 2 shown]
	v_cmp_gt_u32_e32 vcc, s18, v0
	s_and_saveexec_b64 s[16:17], vcc
	s_cbranch_execnz .LBB1876_42
; %bb.35:                               ;   in Loop: Header=BB1876_21 Depth=2
	s_or_b64 exec, exec, s[16:17]
	v_cmp_gt_u32_e32 vcc, s18, v26
	s_and_saveexec_b64 s[16:17], vcc
	s_cbranch_execnz .LBB1876_43
.LBB1876_36:                            ;   in Loop: Header=BB1876_21 Depth=2
	s_or_b64 exec, exec, s[16:17]
	v_cmp_gt_u32_e32 vcc, s18, v27
	s_and_saveexec_b64 s[16:17], vcc
	s_cbranch_execnz .LBB1876_44
.LBB1876_37:                            ;   in Loop: Header=BB1876_21 Depth=2
	s_or_b64 exec, exec, s[16:17]
	v_cmp_gt_u32_e32 vcc, s18, v28
	s_and_saveexec_b64 s[16:17], vcc
	s_cbranch_execnz .LBB1876_45
.LBB1876_38:                            ;   in Loop: Header=BB1876_21 Depth=2
	s_or_b64 exec, exec, s[16:17]
	v_cmp_gt_u32_e32 vcc, s18, v31
	s_and_saveexec_b64 s[16:17], vcc
	s_cbranch_execnz .LBB1876_46
.LBB1876_39:                            ;   in Loop: Header=BB1876_21 Depth=2
	s_or_b64 exec, exec, s[16:17]
	v_cmp_gt_u32_e32 vcc, s18, v32
	s_and_saveexec_b64 s[16:17], vcc
	s_cbranch_execnz .LBB1876_47
.LBB1876_40:                            ;   in Loop: Header=BB1876_21 Depth=2
	s_or_b64 exec, exec, s[16:17]
	v_cmp_gt_u32_e32 vcc, s18, v33
	s_and_saveexec_b64 s[16:17], vcc
	s_cbranch_execnz .LBB1876_48
.LBB1876_41:                            ;   in Loop: Header=BB1876_21 Depth=2
	s_or_b64 exec, exec, s[16:17]
	v_cmp_gt_u32_e32 vcc, s18, v34
	s_and_saveexec_b64 s[16:17], vcc
	s_cbranch_execz .LBB1876_20
	s_branch .LBB1876_49
.LBB1876_42:                            ;   in Loop: Header=BB1876_21 Depth=2
	v_cmp_lt_i16_e32 vcc, -1, v11
	v_cndmask_b32_e32 v12, -1, v65, vcc
	v_xor_b32_e32 v12, v12, v11
	v_cmp_ne_u16_e32 vcc, s62, v12
	v_cndmask_b32_e32 v12, v65, v12, vcc
	v_lshrrev_b32_sdwa v12, s63, v12 dst_sel:DWORD dst_unused:UNUSED_PAD src0_sel:DWORD src1_sel:WORD_0
	v_and_b32_e32 v12, s70, v12
	v_lshl_or_b32 v12, v12, 4, v35
	ds_add_u32 v12, v61
	s_or_b64 exec, exec, s[16:17]
	v_cmp_gt_u32_e32 vcc, s18, v26
	s_and_saveexec_b64 s[16:17], vcc
	s_cbranch_execz .LBB1876_36
.LBB1876_43:                            ;   in Loop: Header=BB1876_21 Depth=2
	v_cmp_lt_i16_e32 vcc, -1, v10
	v_cndmask_b32_e32 v12, -1, v65, vcc
	v_xor_b32_e32 v12, v12, v10
	v_cmp_ne_u16_e32 vcc, s62, v12
	v_cndmask_b32_e32 v12, v65, v12, vcc
	v_lshrrev_b32_sdwa v12, s63, v12 dst_sel:DWORD dst_unused:UNUSED_PAD src0_sel:DWORD src1_sel:WORD_0
	v_and_b32_e32 v12, s70, v12
	v_lshl_or_b32 v12, v12, 4, v35
	ds_add_u32 v12, v61
	s_or_b64 exec, exec, s[16:17]
	v_cmp_gt_u32_e32 vcc, s18, v27
	s_and_saveexec_b64 s[16:17], vcc
	s_cbranch_execz .LBB1876_37
.LBB1876_44:                            ;   in Loop: Header=BB1876_21 Depth=2
	v_cmp_lt_i16_e32 vcc, -1, v9
	v_cndmask_b32_e32 v12, -1, v65, vcc
	v_xor_b32_e32 v12, v12, v9
	v_cmp_ne_u16_e32 vcc, s62, v12
	v_cndmask_b32_e32 v12, v65, v12, vcc
	v_lshrrev_b32_sdwa v12, s63, v12 dst_sel:DWORD dst_unused:UNUSED_PAD src0_sel:DWORD src1_sel:WORD_0
	v_and_b32_e32 v12, s70, v12
	v_lshl_or_b32 v12, v12, 4, v35
	ds_add_u32 v12, v61
	s_or_b64 exec, exec, s[16:17]
	v_cmp_gt_u32_e32 vcc, s18, v28
	s_and_saveexec_b64 s[16:17], vcc
	s_cbranch_execz .LBB1876_38
.LBB1876_45:                            ;   in Loop: Header=BB1876_21 Depth=2
	v_cmp_lt_i16_e32 vcc, -1, v8
	v_cndmask_b32_e32 v12, -1, v65, vcc
	v_xor_b32_e32 v12, v12, v8
	v_cmp_ne_u16_e32 vcc, s62, v12
	v_cndmask_b32_e32 v12, v65, v12, vcc
	v_lshrrev_b32_sdwa v12, s63, v12 dst_sel:DWORD dst_unused:UNUSED_PAD src0_sel:DWORD src1_sel:WORD_0
	v_and_b32_e32 v12, s70, v12
	v_lshl_or_b32 v12, v12, 4, v35
	ds_add_u32 v12, v61
	s_or_b64 exec, exec, s[16:17]
	v_cmp_gt_u32_e32 vcc, s18, v31
	s_and_saveexec_b64 s[16:17], vcc
	s_cbranch_execz .LBB1876_39
.LBB1876_46:                            ;   in Loop: Header=BB1876_21 Depth=2
	v_cmp_lt_i16_e32 vcc, -1, v7
	v_cndmask_b32_e32 v12, -1, v65, vcc
	v_xor_b32_e32 v12, v12, v7
	v_cmp_ne_u16_e32 vcc, s62, v12
	v_cndmask_b32_e32 v12, v65, v12, vcc
	v_lshrrev_b32_sdwa v12, s63, v12 dst_sel:DWORD dst_unused:UNUSED_PAD src0_sel:DWORD src1_sel:WORD_0
	v_and_b32_e32 v12, s70, v12
	v_lshl_or_b32 v12, v12, 4, v35
	ds_add_u32 v12, v61
	s_or_b64 exec, exec, s[16:17]
	v_cmp_gt_u32_e32 vcc, s18, v32
	s_and_saveexec_b64 s[16:17], vcc
	s_cbranch_execz .LBB1876_40
.LBB1876_47:                            ;   in Loop: Header=BB1876_21 Depth=2
	v_cmp_lt_i16_e32 vcc, -1, v6
	v_cndmask_b32_e32 v12, -1, v65, vcc
	v_xor_b32_e32 v12, v12, v6
	v_cmp_ne_u16_e32 vcc, s62, v12
	v_cndmask_b32_e32 v12, v65, v12, vcc
	v_lshrrev_b32_sdwa v12, s63, v12 dst_sel:DWORD dst_unused:UNUSED_PAD src0_sel:DWORD src1_sel:WORD_0
	v_and_b32_e32 v12, s70, v12
	v_lshl_or_b32 v12, v12, 4, v35
	ds_add_u32 v12, v61
	s_or_b64 exec, exec, s[16:17]
	v_cmp_gt_u32_e32 vcc, s18, v33
	s_and_saveexec_b64 s[16:17], vcc
	s_cbranch_execz .LBB1876_41
.LBB1876_48:                            ;   in Loop: Header=BB1876_21 Depth=2
	v_cmp_lt_i16_e32 vcc, -1, v5
	v_cndmask_b32_e32 v12, -1, v65, vcc
	v_xor_b32_e32 v12, v12, v5
	v_cmp_ne_u16_e32 vcc, s62, v12
	v_cndmask_b32_e32 v12, v65, v12, vcc
	v_lshrrev_b32_sdwa v12, s63, v12 dst_sel:DWORD dst_unused:UNUSED_PAD src0_sel:DWORD src1_sel:WORD_0
	v_and_b32_e32 v12, s70, v12
	v_lshl_or_b32 v12, v12, 4, v35
	ds_add_u32 v12, v61
	s_or_b64 exec, exec, s[16:17]
	v_cmp_gt_u32_e32 vcc, s18, v34
	s_and_saveexec_b64 s[16:17], vcc
	s_cbranch_execz .LBB1876_20
.LBB1876_49:                            ;   in Loop: Header=BB1876_21 Depth=2
	v_cmp_lt_i16_e32 vcc, -1, v4
	v_cndmask_b32_e32 v12, -1, v65, vcc
	v_xor_b32_e32 v12, v12, v4
	v_cmp_ne_u16_e32 vcc, s62, v12
	v_cndmask_b32_e32 v12, v65, v12, vcc
	v_lshrrev_b32_sdwa v12, s63, v12 dst_sel:DWORD dst_unused:UNUSED_PAD src0_sel:DWORD src1_sel:WORD_0
	v_and_b32_e32 v12, s70, v12
	v_lshl_or_b32 v12, v12, 4, v35
	ds_add_u32 v12, v61
	s_branch .LBB1876_20
.LBB1876_50:                            ;   in Loop: Header=BB1876_21 Depth=2
	global_load_ushort v11, v64, s[16:17]
	s_or_b64 exec, exec, s[18:19]
	v_cmp_gt_u32_e32 vcc, s20, v26
	s_and_saveexec_b64 s[18:19], vcc
	s_cbranch_execz .LBB1876_26
.LBB1876_51:                            ;   in Loop: Header=BB1876_21 Depth=2
	global_load_ushort v10, v64, s[16:17] offset:512
	s_or_b64 exec, exec, s[18:19]
	v_cmp_gt_u32_e32 vcc, s20, v27
	s_and_saveexec_b64 s[18:19], vcc
	s_cbranch_execz .LBB1876_27
.LBB1876_52:                            ;   in Loop: Header=BB1876_21 Depth=2
	global_load_ushort v9, v64, s[16:17] offset:1024
	s_or_b64 exec, exec, s[18:19]
	v_cmp_gt_u32_e32 vcc, s20, v28
	s_and_saveexec_b64 s[18:19], vcc
	s_cbranch_execz .LBB1876_28
.LBB1876_53:                            ;   in Loop: Header=BB1876_21 Depth=2
	global_load_ushort v8, v64, s[16:17] offset:1536
	s_or_b64 exec, exec, s[18:19]
	v_cmp_gt_u32_e32 vcc, s20, v31
	s_and_saveexec_b64 s[18:19], vcc
	s_cbranch_execz .LBB1876_29
.LBB1876_54:                            ;   in Loop: Header=BB1876_21 Depth=2
	global_load_ushort v7, v64, s[16:17] offset:2048
	s_or_b64 exec, exec, s[18:19]
	v_cmp_gt_u32_e32 vcc, s20, v32
	s_and_saveexec_b64 s[18:19], vcc
	s_cbranch_execz .LBB1876_30
.LBB1876_55:                            ;   in Loop: Header=BB1876_21 Depth=2
	global_load_ushort v6, v64, s[16:17] offset:2560
	s_or_b64 exec, exec, s[18:19]
	v_cmp_gt_u32_e32 vcc, s20, v33
	s_and_saveexec_b64 s[18:19], vcc
	s_cbranch_execz .LBB1876_31
.LBB1876_56:                            ;   in Loop: Header=BB1876_21 Depth=2
	global_load_ushort v5, v64, s[16:17] offset:3072
	s_or_b64 exec, exec, s[18:19]
	v_cmp_gt_u32_e32 vcc, s20, v34
	s_and_saveexec_b64 s[18:19], vcc
	s_cbranch_execnz .LBB1876_32
	s_branch .LBB1876_33
.LBB1876_57:                            ;   in Loop: Header=BB1876_17 Depth=1
	v_mov_b32_e32 v4, 0
	s_waitcnt lgkmcnt(0)
	s_barrier
	s_and_saveexec_b64 s[16:17], s[4:5]
	s_cbranch_execz .LBB1876_59
; %bb.58:                               ;   in Loop: Header=BB1876_17 Depth=1
	ds_read2_b64 v[4:7], v36 offset1:1
	s_waitcnt lgkmcnt(0)
	v_add_u32_e32 v4, v5, v4
	v_add3_u32 v4, v4, v6, v7
.LBB1876_59:                            ;   in Loop: Header=BB1876_17 Depth=1
	s_or_b64 exec, exec, s[16:17]
	s_nop 0
	v_mov_b32_dpp v5, v4 row_shr:1 row_mask:0xf bank_mask:0xf
	v_cmp_eq_u32_e64 s[16:17], 0, v67
	v_cndmask_b32_e64 v5, v5, 0, s[16:17]
	v_add_u32_e32 v4, v5, v4
	v_cmp_lt_u32_e64 s[18:19], 1, v67
	v_cmp_lt_u32_e64 s[20:21], 3, v67
	v_mov_b32_dpp v5, v4 row_shr:2 row_mask:0xf bank_mask:0xf
	v_cndmask_b32_e64 v5, 0, v5, s[18:19]
	v_add_u32_e32 v4, v4, v5
	v_cmp_lt_u32_e64 s[22:23], 7, v67
	v_cmp_lt_u32_e64 s[26:27], 31, v66
	v_mov_b32_dpp v5, v4 row_shr:4 row_mask:0xf bank_mask:0xf
	v_cndmask_b32_e64 v5, 0, v5, s[20:21]
	v_add_u32_e32 v4, v4, v5
	v_cmp_eq_u32_e64 s[24:25], 0, v69
	s_nop 0
	v_mov_b32_dpp v5, v4 row_shr:8 row_mask:0xf bank_mask:0xf
	v_cndmask_b32_e64 v5, 0, v5, s[22:23]
	v_add_u32_e32 v4, v4, v5
	s_nop 1
	v_mov_b32_dpp v5, v4 row_bcast:15 row_mask:0xf bank_mask:0xf
	v_and_b32_e32 v5, v68, v5
	v_add_u32_e32 v4, v4, v5
	s_nop 1
	v_mov_b32_dpp v5, v4 row_bcast:31 row_mask:0xf bank_mask:0xf
	v_cndmask_b32_e64 v5, 0, v5, s[26:27]
	v_add_u32_e32 v4, v4, v5
	s_and_saveexec_b64 s[28:29], s[6:7]
; %bb.60:                               ;   in Loop: Header=BB1876_17 Depth=1
	ds_write_b32 v38, v4
; %bb.61:                               ;   in Loop: Header=BB1876_17 Depth=1
	s_or_b64 exec, exec, s[28:29]
	s_waitcnt lgkmcnt(0)
	s_barrier
	s_and_saveexec_b64 s[28:29], s[8:9]
	s_cbranch_execz .LBB1876_63
; %bb.62:                               ;   in Loop: Header=BB1876_17 Depth=1
	ds_read_b32 v5, v39
	v_cmp_ne_u32_e32 vcc, 0, v70
	s_waitcnt lgkmcnt(0)
	v_mov_b32_dpp v6, v5 row_shr:1 row_mask:0xf bank_mask:0xf
	v_cndmask_b32_e32 v6, 0, v6, vcc
	v_add_u32_e32 v5, v6, v5
	v_cmp_lt_u32_e32 vcc, 1, v70
	s_nop 0
	v_mov_b32_dpp v6, v5 row_shr:2 row_mask:0xf bank_mask:0xf
	v_cndmask_b32_e32 v6, 0, v6, vcc
	v_add_u32_e32 v5, v5, v6
	ds_write_b32 v39, v5
.LBB1876_63:                            ;   in Loop: Header=BB1876_17 Depth=1
	s_or_b64 exec, exec, s[28:29]
	v_mov_b32_e32 v5, 0
	s_waitcnt lgkmcnt(0)
	s_barrier
	s_and_saveexec_b64 s[28:29], s[10:11]
; %bb.64:                               ;   in Loop: Header=BB1876_17 Depth=1
	ds_read_b32 v5, v40
; %bb.65:                               ;   in Loop: Header=BB1876_17 Depth=1
	s_or_b64 exec, exec, s[28:29]
	v_subrev_co_u32_e64 v6, s[28:29], 1, v66
	v_cmp_lt_i32_e32 vcc, v6, v71
	v_cndmask_b32_e32 v6, v6, v66, vcc
	s_waitcnt lgkmcnt(0)
	v_add_u32_e32 v4, v5, v4
	v_lshlrev_b32_e32 v82, 2, v6
	ds_bpermute_b32 v4, v82, v4
	s_waitcnt lgkmcnt(0)
	s_barrier
	s_and_saveexec_b64 s[30:31], s[4:5]
; %bb.66:                               ;   in Loop: Header=BB1876_17 Depth=1
	v_cndmask_b32_e64 v4, v4, v5, s[28:29]
	v_add_u32_e32 v4, s51, v4
	ds_write_b32 v25, v4
; %bb.67:                               ;   in Loop: Header=BB1876_17 Depth=1
	s_or_b64 exec, exec, s[30:31]
	s_load_dword s30, s[56:57], 0x4
	s_load_dword s36, s[56:57], 0xc
	v_add_co_u32_e32 v83, vcc, v43, v72
	v_addc_co_u32_e32 v84, vcc, 0, v44, vcc
	s_waitcnt lgkmcnt(0)
	s_cmp_lt_u32 s33, s30
	s_cselect_b32 s30, 14, 20
	s_add_u32 s30, s56, s30
	s_addc_u32 s31, s57, 0
	global_load_ushort v4, v3, s[30:31]
	s_and_b32 s36, s36, 0xffff
	v_add_co_u32_e32 v85, vcc, v45, v81
	v_cmp_eq_u32_e64 s[30:31], 0, v70
	v_cmp_lt_u32_e64 s[34:35], 1, v70
	v_addc_co_u32_e32 v86, vcc, 0, v46, vcc
	s_mov_b32 s71, s79
	s_mov_b32 s58, s51
                                        ; implicit-def: $vgpr7_vgpr8
                                        ; implicit-def: $vgpr9_vgpr10
                                        ; implicit-def: $vgpr11_vgpr12
                                        ; implicit-def: $vgpr13_vgpr14
                                        ; implicit-def: $vgpr15_vgpr16
                                        ; implicit-def: $vgpr17_vgpr18
                                        ; implicit-def: $vgpr19_vgpr20
                                        ; implicit-def: $vgpr87
                                        ; implicit-def: $vgpr88
                                        ; implicit-def: $vgpr89
                                        ; implicit-def: $vgpr90
                                        ; implicit-def: $vgpr92
                                        ; implicit-def: $vgpr93
                                        ; implicit-def: $vgpr94
                                        ; implicit-def: $vgpr95
	s_waitcnt vmcnt(0)
	v_mad_u32_u24 v4, v2, v4, v1
	v_mad_u64_u32 v[4:5], s[36:37], v4, s36, v[0:1]
                                        ; implicit-def: $vgpr5_vgpr6
	v_lshrrev_b32_e32 v4, 4, v4
	v_and_b32_e32 v91, 0xffffffc, v4
	s_branch .LBB1876_69
.LBB1876_68:                            ;   in Loop: Header=BB1876_69 Depth=2
	s_or_b64 exec, exec, s[36:37]
	s_addk_i32 s71, 0xf800
	s_cmp_lt_u32 s76, s80
	s_mov_b32 s58, s76
	s_cbranch_scc0 .LBB1876_181
.LBB1876_69:                            ;   Parent Loop BB1876_17 Depth=1
                                        ; =>  This Inner Loop Header: Depth=2
	s_add_i32 s76, s58, 0x800
	s_cmp_gt_u32 s76, s80
	s_cbranch_scc1 .LBB1876_71
; %bb.70:                               ;   in Loop: Header=BB1876_69 Depth=2
	s_lshl_b64 s[36:37], s[58:59], 1
	v_mov_b32_e32 v4, s37
	v_add_co_u32_e32 v21, vcc, s36, v85
	v_addc_co_u32_e32 v22, vcc, v86, v4, vcc
	global_load_ushort v4, v[21:22], off
	global_load_ushort v99, v[21:22], off offset:128
	global_load_ushort v103, v[21:22], off offset:256
	global_load_ushort v107, v[21:22], off offset:384
	global_load_ushort v112, v[21:22], off offset:512
	global_load_ushort v108, v[21:22], off offset:640
	global_load_ushort v24, v[21:22], off offset:768
	s_mov_b64 s[36:37], -1
	s_movk_i32 s40, 0x800
	s_cbranch_execz .LBB1876_72
	s_branch .LBB1876_87
.LBB1876_71:                            ;   in Loop: Header=BB1876_69 Depth=2
	s_mov_b64 s[36:37], 0
                                        ; implicit-def: $vgpr4
                                        ; implicit-def: $vgpr99
                                        ; implicit-def: $vgpr103
                                        ; implicit-def: $vgpr107
                                        ; implicit-def: $vgpr112
                                        ; implicit-def: $vgpr108
                                        ; implicit-def: $vgpr24
	s_movk_i32 s40, 0x800
.LBB1876_72:                            ;   in Loop: Header=BB1876_69 Depth=2
	s_lshl_b64 s[36:37], s[58:59], 1
	s_waitcnt vmcnt(6)
	v_mov_b32_e32 v4, s37
	v_add_co_u32_e32 v21, vcc, s36, v85
	v_addc_co_u32_e32 v22, vcc, v86, v4, vcc
	v_cmp_gt_u32_e32 vcc, s71, v73
	s_waitcnt vmcnt(5)
	v_mov_b32_e32 v99, 0x7fff
	v_mov_b32_e32 v4, 0x7fff
	s_and_saveexec_b64 s[36:37], vcc
	s_cbranch_execz .LBB1876_74
; %bb.73:                               ;   in Loop: Header=BB1876_69 Depth=2
	global_load_ushort v4, v[21:22], off
.LBB1876_74:                            ;   in Loop: Header=BB1876_69 Depth=2
	s_or_b64 exec, exec, s[36:37]
	v_cmp_gt_u32_e32 vcc, s71, v74
	s_and_saveexec_b64 s[36:37], vcc
	s_cbranch_execz .LBB1876_76
; %bb.75:                               ;   in Loop: Header=BB1876_69 Depth=2
	global_load_ushort v99, v[21:22], off offset:128
.LBB1876_76:                            ;   in Loop: Header=BB1876_69 Depth=2
	s_or_b64 exec, exec, s[36:37]
	v_cmp_gt_u32_e32 vcc, s71, v75
	s_waitcnt vmcnt(3)
	v_mov_b32_e32 v107, 0x7fff
	v_mov_b32_e32 v103, 0x7fff
	s_and_saveexec_b64 s[36:37], vcc
	s_cbranch_execz .LBB1876_78
; %bb.77:                               ;   in Loop: Header=BB1876_69 Depth=2
	global_load_ushort v103, v[21:22], off offset:256
.LBB1876_78:                            ;   in Loop: Header=BB1876_69 Depth=2
	s_or_b64 exec, exec, s[36:37]
	v_cmp_gt_u32_e32 vcc, s71, v76
	s_and_saveexec_b64 s[36:37], vcc
	s_cbranch_execz .LBB1876_80
; %bb.79:                               ;   in Loop: Header=BB1876_69 Depth=2
	global_load_ushort v107, v[21:22], off offset:384
.LBB1876_80:                            ;   in Loop: Header=BB1876_69 Depth=2
	s_or_b64 exec, exec, s[36:37]
	v_cmp_gt_u32_e32 vcc, s71, v77
	s_waitcnt vmcnt(1)
	v_mov_b32_e32 v108, 0x7fff
	v_mov_b32_e32 v112, 0x7fff
	s_and_saveexec_b64 s[36:37], vcc
	s_cbranch_execz .LBB1876_82
; %bb.81:                               ;   in Loop: Header=BB1876_69 Depth=2
	global_load_ushort v112, v[21:22], off offset:512
.LBB1876_82:                            ;   in Loop: Header=BB1876_69 Depth=2
	s_or_b64 exec, exec, s[36:37]
	v_cmp_gt_u32_e32 vcc, s71, v78
	s_and_saveexec_b64 s[36:37], vcc
	s_cbranch_execz .LBB1876_84
; %bb.83:                               ;   in Loop: Header=BB1876_69 Depth=2
	global_load_ushort v108, v[21:22], off offset:640
.LBB1876_84:                            ;   in Loop: Header=BB1876_69 Depth=2
	s_or_b64 exec, exec, s[36:37]
	v_cmp_gt_u32_e32 vcc, s71, v79
	s_waitcnt vmcnt(0)
	v_mov_b32_e32 v24, 0x7fff
	s_and_saveexec_b64 s[36:37], vcc
	s_cbranch_execz .LBB1876_86
; %bb.85:                               ;   in Loop: Header=BB1876_69 Depth=2
	global_load_ushort v24, v[21:22], off offset:768
.LBB1876_86:                            ;   in Loop: Header=BB1876_69 Depth=2
	s_or_b64 exec, exec, s[36:37]
	s_sub_i32 s40, s80, s58
	v_cmp_gt_u32_e64 s[36:37], s71, v80
.LBB1876_87:                            ;   in Loop: Header=BB1876_69 Depth=2
	v_mov_b32_e32 v23, 0x7fff
	v_mov_b32_e32 v96, s71
	s_and_saveexec_b64 s[38:39], s[36:37]
	s_cbranch_execz .LBB1876_89
; %bb.88:                               ;   in Loop: Header=BB1876_69 Depth=2
	s_lshl_b64 s[36:37], s[58:59], 1
	v_mov_b32_e32 v22, s37
	v_add_co_u32_e32 v21, vcc, s36, v85
	v_addc_co_u32_e32 v22, vcc, v86, v22, vcc
	global_load_ushort v23, v[21:22], off offset:896
	v_mov_b32_e32 v96, s40
.LBB1876_89:                            ;   in Loop: Header=BB1876_69 Depth=2
	s_or_b64 exec, exec, s[38:39]
	s_waitcnt vmcnt(6)
	v_cmp_lt_i16_e32 vcc, -1, v4
	v_cndmask_b32_e32 v21, -1, v65, vcc
	v_xor_b32_e32 v97, v21, v4
	v_cmp_ne_u16_e32 vcc, s62, v97
	v_cndmask_b32_e32 v4, v65, v97, vcc
	v_lshrrev_b32_sdwa v4, s63, v4 dst_sel:DWORD dst_unused:UNUSED_PAD src0_sel:DWORD src1_sel:WORD_0
	v_and_b32_e32 v21, s70, v4
	v_and_b32_e32 v4, 1, v21
	v_add_co_u32_e32 v22, vcc, -1, v4
	v_addc_co_u32_e64 v98, s[36:37], 0, -1, vcc
	v_cmp_ne_u32_e32 vcc, 0, v4
	v_xor_b32_e32 v4, vcc_hi, v98
	v_and_b32_e32 v98, exec_hi, v4
	v_lshlrev_b32_e32 v4, 30, v21
	v_xor_b32_e32 v22, vcc_lo, v22
	v_cmp_gt_i64_e32 vcc, 0, v[3:4]
	v_not_b32_e32 v4, v4
	v_ashrrev_i32_e32 v4, 31, v4
	v_and_b32_e32 v22, exec_lo, v22
	v_xor_b32_e32 v101, vcc_hi, v4
	v_xor_b32_e32 v4, vcc_lo, v4
	v_and_b32_e32 v22, v22, v4
	v_lshlrev_b32_e32 v4, 29, v21
	v_cmp_gt_i64_e32 vcc, 0, v[3:4]
	v_not_b32_e32 v4, v4
	v_ashrrev_i32_e32 v4, 31, v4
	v_and_b32_e32 v98, v98, v101
	v_xor_b32_e32 v101, vcc_hi, v4
	v_xor_b32_e32 v4, vcc_lo, v4
	v_and_b32_e32 v22, v22, v4
	v_lshlrev_b32_e32 v4, 28, v21
	v_cmp_gt_i64_e32 vcc, 0, v[3:4]
	v_not_b32_e32 v4, v4
	v_ashrrev_i32_e32 v4, 31, v4
	v_and_b32_e32 v98, v98, v101
	;; [unrolled: 8-line block ×5, first 2 shown]
	v_xor_b32_e32 v101, vcc_hi, v4
	v_xor_b32_e32 v4, vcc_lo, v4
	v_and_b32_e32 v98, v98, v101
	v_and_b32_e32 v101, v22, v4
	v_lshlrev_b32_e32 v4, 24, v21
	v_cmp_gt_i64_e32 vcc, 0, v[3:4]
	v_not_b32_e32 v4, v4
	v_ashrrev_i32_e32 v4, 31, v4
	v_mul_u32_u24_e32 v100, 20, v21
	v_xor_b32_e32 v21, vcc_hi, v4
	v_xor_b32_e32 v4, vcc_lo, v4
	v_and_b32_e32 v22, v98, v21
	v_and_b32_e32 v21, v101, v4
	v_mbcnt_lo_u32_b32 v4, v21, 0
	v_mbcnt_hi_u32_b32 v98, v22, v4
	v_cmp_ne_u64_e32 vcc, 0, v[21:22]
	v_cmp_eq_u32_e64 s[36:37], 0, v98
	s_and_b64 s[38:39], vcc, s[36:37]
	v_add_u32_e32 v101, v91, v100
	ds_write2_b32 v62, v3, v3 offset1:1
	ds_write2_b32 v63, v3, v3 offset1:1
	ds_write_b32 v41, v3 offset:1056
	s_waitcnt vmcnt(0) lgkmcnt(0)
	s_barrier
	; wave barrier
	s_and_saveexec_b64 s[36:37], s[38:39]
; %bb.90:                               ;   in Loop: Header=BB1876_69 Depth=2
	v_bcnt_u32_b32 v4, v21, 0
	v_bcnt_u32_b32 v4, v22, v4
	ds_write_b32 v101, v4 offset:1040
; %bb.91:                               ;   in Loop: Header=BB1876_69 Depth=2
	s_or_b64 exec, exec, s[36:37]
	v_cmp_lt_i16_e32 vcc, -1, v99
	v_cndmask_b32_e32 v4, -1, v65, vcc
	v_xor_b32_e32 v99, v4, v99
	v_cmp_ne_u16_e32 vcc, s62, v99
	v_cndmask_b32_e32 v4, v65, v99, vcc
	v_lshrrev_b32_sdwa v4, s63, v4 dst_sel:DWORD dst_unused:UNUSED_PAD src0_sel:DWORD src1_sel:WORD_0
	v_and_b32_e32 v21, s70, v4
	v_mad_u32_u24 v4, v21, 20, v91
	; wave barrier
	ds_read_b32 v100, v4 offset:1040
	v_and_b32_e32 v4, 1, v21
	v_add_co_u32_e32 v22, vcc, -1, v4
	v_addc_co_u32_e64 v102, s[36:37], 0, -1, vcc
	v_cmp_ne_u32_e32 vcc, 0, v4
	v_xor_b32_e32 v4, vcc_hi, v102
	v_and_b32_e32 v102, exec_hi, v4
	v_lshlrev_b32_e32 v4, 30, v21
	v_xor_b32_e32 v22, vcc_lo, v22
	v_cmp_gt_i64_e32 vcc, 0, v[3:4]
	v_not_b32_e32 v4, v4
	v_ashrrev_i32_e32 v4, 31, v4
	v_and_b32_e32 v22, exec_lo, v22
	v_xor_b32_e32 v105, vcc_hi, v4
	v_xor_b32_e32 v4, vcc_lo, v4
	v_and_b32_e32 v22, v22, v4
	v_lshlrev_b32_e32 v4, 29, v21
	v_cmp_gt_i64_e32 vcc, 0, v[3:4]
	v_not_b32_e32 v4, v4
	v_ashrrev_i32_e32 v4, 31, v4
	v_and_b32_e32 v102, v102, v105
	v_xor_b32_e32 v105, vcc_hi, v4
	v_xor_b32_e32 v4, vcc_lo, v4
	v_and_b32_e32 v22, v22, v4
	v_lshlrev_b32_e32 v4, 28, v21
	v_cmp_gt_i64_e32 vcc, 0, v[3:4]
	v_not_b32_e32 v4, v4
	v_ashrrev_i32_e32 v4, 31, v4
	v_and_b32_e32 v102, v102, v105
	;; [unrolled: 8-line block ×5, first 2 shown]
	v_xor_b32_e32 v105, vcc_hi, v4
	v_xor_b32_e32 v4, vcc_lo, v4
	v_and_b32_e32 v102, v102, v105
	v_and_b32_e32 v105, v22, v4
	v_lshlrev_b32_e32 v4, 24, v21
	v_cmp_gt_i64_e32 vcc, 0, v[3:4]
	v_not_b32_e32 v4, v4
	v_ashrrev_i32_e32 v4, 31, v4
	v_mul_u32_u24_e32 v104, 20, v21
	v_xor_b32_e32 v21, vcc_hi, v4
	v_xor_b32_e32 v4, vcc_lo, v4
	v_and_b32_e32 v22, v102, v21
	v_and_b32_e32 v21, v105, v4
	v_mbcnt_lo_u32_b32 v4, v21, 0
	v_mbcnt_hi_u32_b32 v102, v22, v4
	v_cmp_ne_u64_e32 vcc, 0, v[21:22]
	v_cmp_eq_u32_e64 s[36:37], 0, v102
	s_and_b64 s[38:39], vcc, s[36:37]
	v_add_u32_e32 v105, v91, v104
	; wave barrier
	s_and_saveexec_b64 s[36:37], s[38:39]
	s_cbranch_execz .LBB1876_93
; %bb.92:                               ;   in Loop: Header=BB1876_69 Depth=2
	v_bcnt_u32_b32 v4, v21, 0
	v_bcnt_u32_b32 v4, v22, v4
	s_waitcnt lgkmcnt(0)
	v_add_u32_e32 v4, v100, v4
	ds_write_b32 v105, v4 offset:1040
.LBB1876_93:                            ;   in Loop: Header=BB1876_69 Depth=2
	s_or_b64 exec, exec, s[36:37]
	v_cmp_lt_i16_e32 vcc, -1, v103
	v_cndmask_b32_e32 v4, -1, v65, vcc
	v_xor_b32_e32 v103, v4, v103
	v_cmp_ne_u16_e32 vcc, s62, v103
	v_cndmask_b32_e32 v4, v65, v103, vcc
	v_lshrrev_b32_sdwa v4, s63, v4 dst_sel:DWORD dst_unused:UNUSED_PAD src0_sel:DWORD src1_sel:WORD_0
	v_and_b32_e32 v21, s70, v4
	v_mad_u32_u24 v4, v21, 20, v91
	; wave barrier
	ds_read_b32 v104, v4 offset:1040
	v_and_b32_e32 v4, 1, v21
	v_add_co_u32_e32 v22, vcc, -1, v4
	v_addc_co_u32_e64 v106, s[36:37], 0, -1, vcc
	v_cmp_ne_u32_e32 vcc, 0, v4
	v_xor_b32_e32 v4, vcc_hi, v106
	v_and_b32_e32 v106, exec_hi, v4
	v_lshlrev_b32_e32 v4, 30, v21
	v_xor_b32_e32 v22, vcc_lo, v22
	v_cmp_gt_i64_e32 vcc, 0, v[3:4]
	v_not_b32_e32 v4, v4
	v_ashrrev_i32_e32 v4, 31, v4
	v_and_b32_e32 v22, exec_lo, v22
	v_xor_b32_e32 v110, vcc_hi, v4
	v_xor_b32_e32 v4, vcc_lo, v4
	v_and_b32_e32 v22, v22, v4
	v_lshlrev_b32_e32 v4, 29, v21
	v_cmp_gt_i64_e32 vcc, 0, v[3:4]
	v_not_b32_e32 v4, v4
	v_ashrrev_i32_e32 v4, 31, v4
	v_and_b32_e32 v106, v106, v110
	v_xor_b32_e32 v110, vcc_hi, v4
	v_xor_b32_e32 v4, vcc_lo, v4
	v_and_b32_e32 v22, v22, v4
	v_lshlrev_b32_e32 v4, 28, v21
	v_cmp_gt_i64_e32 vcc, 0, v[3:4]
	v_not_b32_e32 v4, v4
	v_ashrrev_i32_e32 v4, 31, v4
	v_and_b32_e32 v106, v106, v110
	;; [unrolled: 8-line block ×5, first 2 shown]
	v_xor_b32_e32 v110, vcc_hi, v4
	v_xor_b32_e32 v4, vcc_lo, v4
	v_and_b32_e32 v106, v106, v110
	v_and_b32_e32 v110, v22, v4
	v_lshlrev_b32_e32 v4, 24, v21
	v_cmp_gt_i64_e32 vcc, 0, v[3:4]
	v_not_b32_e32 v4, v4
	v_ashrrev_i32_e32 v4, 31, v4
	v_mul_u32_u24_e32 v109, 20, v21
	v_xor_b32_e32 v21, vcc_hi, v4
	v_xor_b32_e32 v4, vcc_lo, v4
	v_and_b32_e32 v22, v106, v21
	v_and_b32_e32 v21, v110, v4
	v_mbcnt_lo_u32_b32 v4, v21, 0
	v_mbcnt_hi_u32_b32 v106, v22, v4
	v_cmp_ne_u64_e32 vcc, 0, v[21:22]
	v_cmp_eq_u32_e64 s[36:37], 0, v106
	s_and_b64 s[38:39], vcc, s[36:37]
	v_add_u32_e32 v110, v91, v109
	; wave barrier
	s_and_saveexec_b64 s[36:37], s[38:39]
	s_cbranch_execz .LBB1876_95
; %bb.94:                               ;   in Loop: Header=BB1876_69 Depth=2
	v_bcnt_u32_b32 v4, v21, 0
	v_bcnt_u32_b32 v4, v22, v4
	s_waitcnt lgkmcnt(0)
	v_add_u32_e32 v4, v104, v4
	ds_write_b32 v110, v4 offset:1040
.LBB1876_95:                            ;   in Loop: Header=BB1876_69 Depth=2
	s_or_b64 exec, exec, s[36:37]
	v_cmp_lt_i16_e32 vcc, -1, v107
	v_cndmask_b32_e32 v4, -1, v65, vcc
	v_xor_b32_e32 v107, v4, v107
	v_cmp_ne_u16_e32 vcc, s62, v107
	v_cndmask_b32_e32 v4, v65, v107, vcc
	v_lshrrev_b32_sdwa v4, s63, v4 dst_sel:DWORD dst_unused:UNUSED_PAD src0_sel:DWORD src1_sel:WORD_0
	v_and_b32_e32 v21, s70, v4
	v_mad_u32_u24 v4, v21, 20, v91
	; wave barrier
	ds_read_b32 v109, v4 offset:1040
	v_and_b32_e32 v4, 1, v21
	v_add_co_u32_e32 v22, vcc, -1, v4
	v_addc_co_u32_e64 v111, s[36:37], 0, -1, vcc
	v_cmp_ne_u32_e32 vcc, 0, v4
	v_xor_b32_e32 v4, vcc_hi, v111
	v_and_b32_e32 v111, exec_hi, v4
	v_lshlrev_b32_e32 v4, 30, v21
	v_xor_b32_e32 v22, vcc_lo, v22
	v_cmp_gt_i64_e32 vcc, 0, v[3:4]
	v_not_b32_e32 v4, v4
	v_ashrrev_i32_e32 v4, 31, v4
	v_and_b32_e32 v22, exec_lo, v22
	v_xor_b32_e32 v114, vcc_hi, v4
	v_xor_b32_e32 v4, vcc_lo, v4
	v_and_b32_e32 v22, v22, v4
	v_lshlrev_b32_e32 v4, 29, v21
	v_cmp_gt_i64_e32 vcc, 0, v[3:4]
	v_not_b32_e32 v4, v4
	v_ashrrev_i32_e32 v4, 31, v4
	v_and_b32_e32 v111, v111, v114
	v_xor_b32_e32 v114, vcc_hi, v4
	v_xor_b32_e32 v4, vcc_lo, v4
	v_and_b32_e32 v22, v22, v4
	v_lshlrev_b32_e32 v4, 28, v21
	v_cmp_gt_i64_e32 vcc, 0, v[3:4]
	v_not_b32_e32 v4, v4
	v_ashrrev_i32_e32 v4, 31, v4
	v_and_b32_e32 v111, v111, v114
	;; [unrolled: 8-line block ×5, first 2 shown]
	v_xor_b32_e32 v114, vcc_hi, v4
	v_xor_b32_e32 v4, vcc_lo, v4
	v_and_b32_e32 v111, v111, v114
	v_and_b32_e32 v114, v22, v4
	v_lshlrev_b32_e32 v4, 24, v21
	v_cmp_gt_i64_e32 vcc, 0, v[3:4]
	v_not_b32_e32 v4, v4
	v_ashrrev_i32_e32 v4, 31, v4
	v_mul_u32_u24_e32 v113, 20, v21
	v_xor_b32_e32 v21, vcc_hi, v4
	v_xor_b32_e32 v4, vcc_lo, v4
	v_and_b32_e32 v22, v111, v21
	v_and_b32_e32 v21, v114, v4
	v_mbcnt_lo_u32_b32 v4, v21, 0
	v_mbcnt_hi_u32_b32 v111, v22, v4
	v_cmp_ne_u64_e32 vcc, 0, v[21:22]
	v_cmp_eq_u32_e64 s[36:37], 0, v111
	s_and_b64 s[38:39], vcc, s[36:37]
	v_add_u32_e32 v114, v91, v113
	; wave barrier
	s_and_saveexec_b64 s[36:37], s[38:39]
	s_cbranch_execz .LBB1876_97
; %bb.96:                               ;   in Loop: Header=BB1876_69 Depth=2
	v_bcnt_u32_b32 v4, v21, 0
	v_bcnt_u32_b32 v4, v22, v4
	s_waitcnt lgkmcnt(0)
	v_add_u32_e32 v4, v109, v4
	ds_write_b32 v114, v4 offset:1040
.LBB1876_97:                            ;   in Loop: Header=BB1876_69 Depth=2
	s_or_b64 exec, exec, s[36:37]
	v_cmp_lt_i16_e32 vcc, -1, v112
	v_cndmask_b32_e32 v4, -1, v65, vcc
	v_xor_b32_e32 v112, v4, v112
	v_cmp_ne_u16_e32 vcc, s62, v112
	v_cndmask_b32_e32 v4, v65, v112, vcc
	v_lshrrev_b32_sdwa v4, s63, v4 dst_sel:DWORD dst_unused:UNUSED_PAD src0_sel:DWORD src1_sel:WORD_0
	v_and_b32_e32 v21, s70, v4
	v_mad_u32_u24 v4, v21, 20, v91
	; wave barrier
	ds_read_b32 v113, v4 offset:1040
	v_and_b32_e32 v4, 1, v21
	v_add_co_u32_e32 v22, vcc, -1, v4
	v_addc_co_u32_e64 v115, s[36:37], 0, -1, vcc
	v_cmp_ne_u32_e32 vcc, 0, v4
	v_xor_b32_e32 v4, vcc_hi, v115
	v_and_b32_e32 v115, exec_hi, v4
	v_lshlrev_b32_e32 v4, 30, v21
	v_xor_b32_e32 v22, vcc_lo, v22
	v_cmp_gt_i64_e32 vcc, 0, v[3:4]
	v_not_b32_e32 v4, v4
	v_ashrrev_i32_e32 v4, 31, v4
	v_and_b32_e32 v22, exec_lo, v22
	v_xor_b32_e32 v117, vcc_hi, v4
	v_xor_b32_e32 v4, vcc_lo, v4
	v_and_b32_e32 v22, v22, v4
	v_lshlrev_b32_e32 v4, 29, v21
	v_cmp_gt_i64_e32 vcc, 0, v[3:4]
	v_not_b32_e32 v4, v4
	v_ashrrev_i32_e32 v4, 31, v4
	v_and_b32_e32 v115, v115, v117
	v_xor_b32_e32 v117, vcc_hi, v4
	v_xor_b32_e32 v4, vcc_lo, v4
	v_and_b32_e32 v22, v22, v4
	v_lshlrev_b32_e32 v4, 28, v21
	v_cmp_gt_i64_e32 vcc, 0, v[3:4]
	v_not_b32_e32 v4, v4
	v_ashrrev_i32_e32 v4, 31, v4
	v_and_b32_e32 v115, v115, v117
	;; [unrolled: 8-line block ×5, first 2 shown]
	v_xor_b32_e32 v117, vcc_hi, v4
	v_xor_b32_e32 v4, vcc_lo, v4
	v_and_b32_e32 v115, v115, v117
	v_and_b32_e32 v117, v22, v4
	v_lshlrev_b32_e32 v4, 24, v21
	v_cmp_gt_i64_e32 vcc, 0, v[3:4]
	v_not_b32_e32 v4, v4
	v_ashrrev_i32_e32 v4, 31, v4
	v_mul_u32_u24_e32 v116, 20, v21
	v_xor_b32_e32 v21, vcc_hi, v4
	v_xor_b32_e32 v4, vcc_lo, v4
	v_and_b32_e32 v22, v115, v21
	v_and_b32_e32 v21, v117, v4
	v_mbcnt_lo_u32_b32 v4, v21, 0
	v_mbcnt_hi_u32_b32 v115, v22, v4
	v_cmp_ne_u64_e32 vcc, 0, v[21:22]
	v_cmp_eq_u32_e64 s[36:37], 0, v115
	s_and_b64 s[38:39], vcc, s[36:37]
	v_add_u32_e32 v118, v91, v116
	; wave barrier
	s_and_saveexec_b64 s[36:37], s[38:39]
	s_cbranch_execz .LBB1876_99
; %bb.98:                               ;   in Loop: Header=BB1876_69 Depth=2
	v_bcnt_u32_b32 v4, v21, 0
	v_bcnt_u32_b32 v4, v22, v4
	s_waitcnt lgkmcnt(0)
	v_add_u32_e32 v4, v113, v4
	ds_write_b32 v118, v4 offset:1040
.LBB1876_99:                            ;   in Loop: Header=BB1876_69 Depth=2
	s_or_b64 exec, exec, s[36:37]
	v_cmp_lt_i16_e32 vcc, -1, v108
	v_cndmask_b32_e32 v4, -1, v65, vcc
	v_xor_b32_e32 v116, v4, v108
	v_cmp_ne_u16_e32 vcc, s62, v116
	v_cndmask_b32_e32 v4, v65, v116, vcc
	v_lshrrev_b32_sdwa v4, s63, v4 dst_sel:DWORD dst_unused:UNUSED_PAD src0_sel:DWORD src1_sel:WORD_0
	v_and_b32_e32 v21, s70, v4
	v_mad_u32_u24 v4, v21, 20, v91
	; wave barrier
	ds_read_b32 v117, v4 offset:1040
	v_and_b32_e32 v4, 1, v21
	v_add_co_u32_e32 v22, vcc, -1, v4
	v_addc_co_u32_e64 v119, s[36:37], 0, -1, vcc
	v_cmp_ne_u32_e32 vcc, 0, v4
	v_xor_b32_e32 v4, vcc_hi, v119
	v_and_b32_e32 v119, exec_hi, v4
	v_lshlrev_b32_e32 v4, 30, v21
	v_xor_b32_e32 v22, vcc_lo, v22
	v_cmp_gt_i64_e32 vcc, 0, v[3:4]
	v_not_b32_e32 v4, v4
	v_ashrrev_i32_e32 v4, 31, v4
	v_and_b32_e32 v22, exec_lo, v22
	v_xor_b32_e32 v120, vcc_hi, v4
	v_xor_b32_e32 v4, vcc_lo, v4
	v_and_b32_e32 v22, v22, v4
	v_lshlrev_b32_e32 v4, 29, v21
	v_cmp_gt_i64_e32 vcc, 0, v[3:4]
	v_not_b32_e32 v4, v4
	v_ashrrev_i32_e32 v4, 31, v4
	v_and_b32_e32 v119, v119, v120
	v_xor_b32_e32 v120, vcc_hi, v4
	v_xor_b32_e32 v4, vcc_lo, v4
	v_and_b32_e32 v22, v22, v4
	v_lshlrev_b32_e32 v4, 28, v21
	v_cmp_gt_i64_e32 vcc, 0, v[3:4]
	v_not_b32_e32 v4, v4
	v_ashrrev_i32_e32 v4, 31, v4
	v_and_b32_e32 v119, v119, v120
	;; [unrolled: 8-line block ×5, first 2 shown]
	v_xor_b32_e32 v120, vcc_hi, v4
	v_xor_b32_e32 v4, vcc_lo, v4
	v_and_b32_e32 v119, v119, v120
	v_and_b32_e32 v120, v22, v4
	v_lshlrev_b32_e32 v4, 24, v21
	v_cmp_gt_i64_e32 vcc, 0, v[3:4]
	v_not_b32_e32 v4, v4
	v_ashrrev_i32_e32 v4, 31, v4
	v_mul_u32_u24_e32 v108, 20, v21
	v_xor_b32_e32 v21, vcc_hi, v4
	v_xor_b32_e32 v4, vcc_lo, v4
	v_and_b32_e32 v22, v119, v21
	v_and_b32_e32 v21, v120, v4
	v_mbcnt_lo_u32_b32 v4, v21, 0
	v_mbcnt_hi_u32_b32 v119, v22, v4
	v_cmp_ne_u64_e32 vcc, 0, v[21:22]
	v_cmp_eq_u32_e64 s[36:37], 0, v119
	s_and_b64 s[38:39], vcc, s[36:37]
	v_add_u32_e32 v108, v91, v108
	; wave barrier
	s_and_saveexec_b64 s[36:37], s[38:39]
	s_cbranch_execz .LBB1876_101
; %bb.100:                              ;   in Loop: Header=BB1876_69 Depth=2
	v_bcnt_u32_b32 v4, v21, 0
	v_bcnt_u32_b32 v4, v22, v4
	s_waitcnt lgkmcnt(0)
	v_add_u32_e32 v4, v117, v4
	ds_write_b32 v108, v4 offset:1040
.LBB1876_101:                           ;   in Loop: Header=BB1876_69 Depth=2
	s_or_b64 exec, exec, s[36:37]
	v_cmp_lt_i16_e32 vcc, -1, v24
	v_cndmask_b32_e32 v4, -1, v65, vcc
	v_xor_b32_e32 v120, v4, v24
	v_cmp_ne_u16_e32 vcc, s62, v120
	v_cndmask_b32_e32 v4, v65, v120, vcc
	v_lshrrev_b32_sdwa v4, s63, v4 dst_sel:DWORD dst_unused:UNUSED_PAD src0_sel:DWORD src1_sel:WORD_0
	v_and_b32_e32 v21, s70, v4
	v_mad_u32_u24 v4, v21, 20, v91
	; wave barrier
	ds_read_b32 v121, v4 offset:1040
	v_and_b32_e32 v4, 1, v21
	v_add_co_u32_e32 v22, vcc, -1, v4
	v_addc_co_u32_e64 v122, s[36:37], 0, -1, vcc
	v_cmp_ne_u32_e32 vcc, 0, v4
	v_xor_b32_e32 v4, vcc_hi, v122
	v_and_b32_e32 v122, exec_hi, v4
	v_lshlrev_b32_e32 v4, 30, v21
	v_xor_b32_e32 v22, vcc_lo, v22
	v_cmp_gt_i64_e32 vcc, 0, v[3:4]
	v_not_b32_e32 v4, v4
	v_ashrrev_i32_e32 v4, 31, v4
	v_and_b32_e32 v22, exec_lo, v22
	v_xor_b32_e32 v123, vcc_hi, v4
	v_xor_b32_e32 v4, vcc_lo, v4
	v_and_b32_e32 v22, v22, v4
	v_lshlrev_b32_e32 v4, 29, v21
	v_cmp_gt_i64_e32 vcc, 0, v[3:4]
	v_not_b32_e32 v4, v4
	v_ashrrev_i32_e32 v4, 31, v4
	v_and_b32_e32 v122, v122, v123
	v_xor_b32_e32 v123, vcc_hi, v4
	v_xor_b32_e32 v4, vcc_lo, v4
	v_and_b32_e32 v22, v22, v4
	v_lshlrev_b32_e32 v4, 28, v21
	v_cmp_gt_i64_e32 vcc, 0, v[3:4]
	v_not_b32_e32 v4, v4
	v_ashrrev_i32_e32 v4, 31, v4
	v_and_b32_e32 v122, v122, v123
	v_xor_b32_e32 v123, vcc_hi, v4
	v_xor_b32_e32 v4, vcc_lo, v4
	v_and_b32_e32 v22, v22, v4
	v_lshlrev_b32_e32 v4, 27, v21
	v_cmp_gt_i64_e32 vcc, 0, v[3:4]
	v_not_b32_e32 v4, v4
	v_ashrrev_i32_e32 v4, 31, v4
	v_and_b32_e32 v122, v122, v123
	v_xor_b32_e32 v123, vcc_hi, v4
	v_xor_b32_e32 v4, vcc_lo, v4
	v_and_b32_e32 v22, v22, v4
	v_lshlrev_b32_e32 v4, 26, v21
	v_cmp_gt_i64_e32 vcc, 0, v[3:4]
	v_not_b32_e32 v4, v4
	v_ashrrev_i32_e32 v4, 31, v4
	v_and_b32_e32 v122, v122, v123
	v_xor_b32_e32 v123, vcc_hi, v4
	v_xor_b32_e32 v4, vcc_lo, v4
	v_and_b32_e32 v22, v22, v4
	v_lshlrev_b32_e32 v4, 25, v21
	v_cmp_gt_i64_e32 vcc, 0, v[3:4]
	v_not_b32_e32 v4, v4
	v_ashrrev_i32_e32 v4, 31, v4
	v_and_b32_e32 v122, v122, v123
	v_xor_b32_e32 v123, vcc_hi, v4
	v_xor_b32_e32 v4, vcc_lo, v4
	v_and_b32_e32 v122, v122, v123
	v_and_b32_e32 v123, v22, v4
	v_lshlrev_b32_e32 v4, 24, v21
	v_cmp_gt_i64_e32 vcc, 0, v[3:4]
	v_not_b32_e32 v4, v4
	v_ashrrev_i32_e32 v4, 31, v4
	v_mul_u32_u24_e32 v24, 20, v21
	v_xor_b32_e32 v21, vcc_hi, v4
	v_xor_b32_e32 v4, vcc_lo, v4
	v_and_b32_e32 v22, v122, v21
	v_and_b32_e32 v21, v123, v4
	v_mbcnt_lo_u32_b32 v4, v21, 0
	v_mbcnt_hi_u32_b32 v122, v22, v4
	v_cmp_ne_u64_e32 vcc, 0, v[21:22]
	v_cmp_eq_u32_e64 s[36:37], 0, v122
	s_and_b64 s[38:39], vcc, s[36:37]
	v_add_u32_e32 v125, v91, v24
	; wave barrier
	s_and_saveexec_b64 s[36:37], s[38:39]
	s_cbranch_execz .LBB1876_103
; %bb.102:                              ;   in Loop: Header=BB1876_69 Depth=2
	v_bcnt_u32_b32 v4, v21, 0
	v_bcnt_u32_b32 v4, v22, v4
	s_waitcnt lgkmcnt(0)
	v_add_u32_e32 v4, v121, v4
	ds_write_b32 v125, v4 offset:1040
.LBB1876_103:                           ;   in Loop: Header=BB1876_69 Depth=2
	s_or_b64 exec, exec, s[36:37]
	v_cmp_lt_i16_e32 vcc, -1, v23
	v_cndmask_b32_e32 v4, -1, v65, vcc
	v_xor_b32_e32 v123, v4, v23
	v_cmp_ne_u16_e32 vcc, s62, v123
	v_cndmask_b32_e32 v4, v65, v123, vcc
	v_lshrrev_b32_sdwa v4, s63, v4 dst_sel:DWORD dst_unused:UNUSED_PAD src0_sel:DWORD src1_sel:WORD_0
	v_and_b32_e32 v21, s70, v4
	v_mad_u32_u24 v4, v21, 20, v91
	; wave barrier
	ds_read_b32 v124, v4 offset:1040
	v_and_b32_e32 v4, 1, v21
	v_add_co_u32_e32 v22, vcc, -1, v4
	v_addc_co_u32_e64 v24, s[36:37], 0, -1, vcc
	v_cmp_ne_u32_e32 vcc, 0, v4
	v_xor_b32_e32 v4, vcc_hi, v24
	v_and_b32_e32 v24, exec_hi, v4
	v_lshlrev_b32_e32 v4, 30, v21
	v_xor_b32_e32 v22, vcc_lo, v22
	v_cmp_gt_i64_e32 vcc, 0, v[3:4]
	v_not_b32_e32 v4, v4
	v_ashrrev_i32_e32 v4, 31, v4
	v_and_b32_e32 v22, exec_lo, v22
	v_xor_b32_e32 v126, vcc_hi, v4
	v_xor_b32_e32 v4, vcc_lo, v4
	v_and_b32_e32 v22, v22, v4
	v_lshlrev_b32_e32 v4, 29, v21
	v_cmp_gt_i64_e32 vcc, 0, v[3:4]
	v_not_b32_e32 v4, v4
	v_ashrrev_i32_e32 v4, 31, v4
	v_and_b32_e32 v24, v24, v126
	v_xor_b32_e32 v126, vcc_hi, v4
	v_xor_b32_e32 v4, vcc_lo, v4
	v_and_b32_e32 v22, v22, v4
	v_lshlrev_b32_e32 v4, 28, v21
	v_cmp_gt_i64_e32 vcc, 0, v[3:4]
	v_not_b32_e32 v4, v4
	v_ashrrev_i32_e32 v4, 31, v4
	v_and_b32_e32 v24, v24, v126
	;; [unrolled: 8-line block ×5, first 2 shown]
	v_xor_b32_e32 v126, vcc_hi, v4
	v_xor_b32_e32 v4, vcc_lo, v4
	v_and_b32_e32 v24, v24, v126
	v_and_b32_e32 v126, v22, v4
	v_lshlrev_b32_e32 v4, 24, v21
	v_cmp_gt_i64_e32 vcc, 0, v[3:4]
	v_not_b32_e32 v4, v4
	v_ashrrev_i32_e32 v4, 31, v4
	v_mul_u32_u24_e32 v23, 20, v21
	v_xor_b32_e32 v21, vcc_hi, v4
	v_xor_b32_e32 v4, vcc_lo, v4
	v_and_b32_e32 v22, v24, v21
	v_and_b32_e32 v21, v126, v4
	v_mbcnt_lo_u32_b32 v4, v21, 0
	v_mbcnt_hi_u32_b32 v126, v22, v4
	v_cmp_ne_u64_e32 vcc, 0, v[21:22]
	v_cmp_eq_u32_e64 s[36:37], 0, v126
	s_and_b64 s[38:39], vcc, s[36:37]
	v_add_u32_e32 v4, v91, v23
	; wave barrier
	s_and_saveexec_b64 s[36:37], s[38:39]
	s_cbranch_execz .LBB1876_105
; %bb.104:                              ;   in Loop: Header=BB1876_69 Depth=2
	v_bcnt_u32_b32 v21, v21, 0
	v_bcnt_u32_b32 v21, v22, v21
	s_waitcnt lgkmcnt(0)
	v_add_u32_e32 v21, v124, v21
	ds_write_b32 v4, v21 offset:1040
.LBB1876_105:                           ;   in Loop: Header=BB1876_69 Depth=2
	s_or_b64 exec, exec, s[36:37]
	; wave barrier
	s_waitcnt lgkmcnt(0)
	s_barrier
	ds_read2_b32 v[23:24], v62 offset1:1
	ds_read2_b32 v[21:22], v63 offset1:1
	ds_read_b32 v127, v41 offset:1056
	s_waitcnt lgkmcnt(1)
	v_add3_u32 v128, v24, v23, v21
	s_waitcnt lgkmcnt(0)
	v_add3_u32 v127, v128, v22, v127
	s_nop 1
	v_mov_b32_dpp v128, v127 row_shr:1 row_mask:0xf bank_mask:0xf
	v_cndmask_b32_e64 v128, v128, 0, s[16:17]
	v_add_u32_e32 v127, v128, v127
	s_nop 1
	v_mov_b32_dpp v128, v127 row_shr:2 row_mask:0xf bank_mask:0xf
	v_cndmask_b32_e64 v128, 0, v128, s[18:19]
	v_add_u32_e32 v127, v127, v128
	;; [unrolled: 4-line block ×4, first 2 shown]
	s_nop 1
	v_mov_b32_dpp v128, v127 row_bcast:15 row_mask:0xf bank_mask:0xf
	v_cndmask_b32_e64 v128, v128, 0, s[24:25]
	v_add_u32_e32 v127, v127, v128
	s_nop 1
	v_mov_b32_dpp v128, v127 row_bcast:31 row_mask:0xf bank_mask:0xf
	v_cndmask_b32_e64 v128, 0, v128, s[26:27]
	v_add_u32_e32 v127, v127, v128
	s_and_saveexec_b64 s[36:37], s[6:7]
; %bb.106:                              ;   in Loop: Header=BB1876_69 Depth=2
	ds_write_b32 v37, v127 offset:1024
; %bb.107:                              ;   in Loop: Header=BB1876_69 Depth=2
	s_or_b64 exec, exec, s[36:37]
	s_waitcnt lgkmcnt(0)
	s_barrier
	s_and_saveexec_b64 s[36:37], s[8:9]
	s_cbranch_execz .LBB1876_109
; %bb.108:                              ;   in Loop: Header=BB1876_69 Depth=2
	ds_read_b32 v128, v42 offset:1024
	s_waitcnt lgkmcnt(0)
	s_nop 0
	v_mov_b32_dpp v129, v128 row_shr:1 row_mask:0xf bank_mask:0xf
	v_cndmask_b32_e64 v129, v129, 0, s[30:31]
	v_add_u32_e32 v128, v129, v128
	s_nop 1
	v_mov_b32_dpp v129, v128 row_shr:2 row_mask:0xf bank_mask:0xf
	v_cndmask_b32_e64 v129, 0, v129, s[34:35]
	v_add_u32_e32 v128, v128, v129
	ds_write_b32 v42, v128 offset:1024
.LBB1876_109:                           ;   in Loop: Header=BB1876_69 Depth=2
	s_or_b64 exec, exec, s[36:37]
	v_mov_b32_e32 v128, 0
	s_waitcnt lgkmcnt(0)
	s_barrier
	s_and_saveexec_b64 s[36:37], s[10:11]
; %bb.110:                              ;   in Loop: Header=BB1876_69 Depth=2
	ds_read_b32 v128, v37 offset:1020
; %bb.111:                              ;   in Loop: Header=BB1876_69 Depth=2
	s_or_b64 exec, exec, s[36:37]
	s_waitcnt lgkmcnt(0)
	v_add_u32_e32 v127, v128, v127
	ds_bpermute_b32 v127, v82, v127
	s_waitcnt lgkmcnt(0)
	v_cndmask_b32_e64 v127, v127, v128, s[28:29]
	v_cndmask_b32_e64 v127, v127, 0, s[12:13]
	v_add_u32_e32 v23, v127, v23
	v_add_u32_e32 v24, v23, v24
	;; [unrolled: 1-line block ×4, first 2 shown]
	ds_write2_b32 v62, v127, v23 offset1:1
	ds_write2_b32 v63, v24, v21 offset1:1
	ds_write_b32 v41, v22 offset:1056
	s_waitcnt lgkmcnt(0)
	s_barrier
	ds_read_b32 v21, v101 offset:1040
	ds_read_b32 v22, v105 offset:1040
	;; [unrolled: 1-line block ×9, first 2 shown]
	v_mov_b32_e32 v4, 0x800
	s_and_saveexec_b64 s[36:37], s[14:15]
; %bb.112:                              ;   in Loop: Header=BB1876_69 Depth=2
	ds_read_b32 v4, v41 offset:1060
; %bb.113:                              ;   in Loop: Header=BB1876_69 Depth=2
	s_or_b64 exec, exec, s[36:37]
	s_waitcnt lgkmcnt(0)
	s_barrier
	s_and_saveexec_b64 s[36:37], s[4:5]
	s_cbranch_execz .LBB1876_115
; %bb.114:                              ;   in Loop: Header=BB1876_69 Depth=2
	ds_read_b32 v105, v25
	s_waitcnt lgkmcnt(0)
	v_sub_u32_e32 v101, v105, v101
	ds_write_b32 v25, v101
.LBB1876_115:                           ;   in Loop: Header=BB1876_69 Depth=2
	s_or_b64 exec, exec, s[36:37]
	v_add_u32_e32 v108, v21, v98
	v_add3_u32 v105, v102, v100, v22
	v_lshlrev_b32_e32 v21, 1, v108
	v_add3_u32 v102, v106, v104, v23
	ds_write_b16 v21, v97 offset:1024
	v_lshlrev_b32_e32 v21, 1, v105
	v_add3_u32 v101, v111, v109, v24
	ds_write_b16 v21, v99 offset:1024
	;; [unrolled: 3-line block ×6, first 2 shown]
	v_lshlrev_b32_e32 v21, 1, v24
	ds_write_b16 v21, v120 offset:1024
	v_lshlrev_b32_e32 v21, 1, v23
	v_cmp_lt_u32_e32 vcc, v0, v96
	ds_write_b16 v21, v123 offset:1024
	s_waitcnt lgkmcnt(0)
	s_barrier
	s_and_saveexec_b64 s[38:39], vcc
	s_cbranch_execnz .LBB1876_152
; %bb.116:                              ;   in Loop: Header=BB1876_69 Depth=2
	s_or_b64 exec, exec, s[38:39]
	v_cmp_lt_u32_e64 s[36:37], v26, v96
	s_and_saveexec_b64 s[40:41], s[36:37]
	s_cbranch_execnz .LBB1876_153
.LBB1876_117:                           ;   in Loop: Header=BB1876_69 Depth=2
	s_or_b64 exec, exec, s[40:41]
	v_cmp_lt_u32_e64 s[38:39], v27, v96
	s_and_saveexec_b64 s[42:43], s[38:39]
	s_cbranch_execnz .LBB1876_154
.LBB1876_118:                           ;   in Loop: Header=BB1876_69 Depth=2
	s_or_b64 exec, exec, s[42:43]
	v_cmp_lt_u32_e64 s[40:41], v28, v96
	s_and_saveexec_b64 s[44:45], s[40:41]
	s_cbranch_execnz .LBB1876_155
.LBB1876_119:                           ;   in Loop: Header=BB1876_69 Depth=2
	s_or_b64 exec, exec, s[44:45]
	v_cmp_lt_u32_e64 s[42:43], v31, v96
	s_and_saveexec_b64 s[46:47], s[42:43]
	s_cbranch_execnz .LBB1876_156
.LBB1876_120:                           ;   in Loop: Header=BB1876_69 Depth=2
	s_or_b64 exec, exec, s[46:47]
	v_cmp_lt_u32_e64 s[44:45], v32, v96
	s_and_saveexec_b64 s[48:49], s[44:45]
	s_cbranch_execnz .LBB1876_157
.LBB1876_121:                           ;   in Loop: Header=BB1876_69 Depth=2
	s_or_b64 exec, exec, s[48:49]
	v_cmp_lt_u32_e64 s[46:47], v33, v96
	s_and_saveexec_b64 s[52:53], s[46:47]
	s_cbranch_execnz .LBB1876_158
.LBB1876_122:                           ;   in Loop: Header=BB1876_69 Depth=2
	s_or_b64 exec, exec, s[52:53]
	v_cmp_lt_u32_e64 s[48:49], v34, v96
	s_and_saveexec_b64 s[60:61], s[48:49]
	s_cbranch_execz .LBB1876_124
.LBB1876_123:                           ;   in Loop: Header=BB1876_69 Depth=2
	ds_read_u16 v21, v47 offset:4608
	v_mov_b32_e32 v22, v3
	v_mov_b32_e32 v99, s67
	s_waitcnt lgkmcnt(0)
	v_cmp_ne_u16_e64 s[52:53], s62, v21
	v_cndmask_b32_e64 v97, v65, v21, s[52:53]
	v_lshrrev_b32_sdwa v97, s63, v97 dst_sel:DWORD dst_unused:UNUSED_PAD src0_sel:DWORD src1_sel:WORD_0
	v_and_b32_e32 v97, s70, v97
	v_lshlrev_b32_e32 v97, 2, v97
	ds_read_b32 v97, v97
	v_cmp_lt_i16_e64 s[52:53], -1, v21
	v_cndmask_b32_e64 v103, v65, -1, s[52:53]
	v_xor_b32_e32 v103, v103, v21
	s_waitcnt lgkmcnt(0)
	v_add_u32_e32 v21, v97, v34
	v_lshlrev_b64 v[21:22], 1, v[21:22]
	v_add_co_u32_e64 v21, s[52:53], s66, v21
	v_addc_co_u32_e64 v22, s[52:53], v99, v22, s[52:53]
	global_store_short v[21:22], v103, off
.LBB1876_124:                           ;   in Loop: Header=BB1876_69 Depth=2
	s_or_b64 exec, exec, s[60:61]
	s_lshl_b64 s[52:53], s[58:59], 3
	v_mov_b32_e32 v22, s53
	v_add_co_u32_e64 v21, s[52:53], s52, v83
	v_addc_co_u32_e64 v22, s[52:53], v84, v22, s[52:53]
	v_cmp_lt_u32_e64 s[52:53], v73, v96
	s_and_saveexec_b64 s[60:61], s[52:53]
	s_xor_b64 s[52:53], exec, s[60:61]
	s_cbranch_execnz .LBB1876_159
; %bb.125:                              ;   in Loop: Header=BB1876_69 Depth=2
	s_or_b64 exec, exec, s[52:53]
	v_cmp_lt_u32_e64 s[52:53], v74, v96
	s_and_saveexec_b64 s[60:61], s[52:53]
	s_cbranch_execnz .LBB1876_160
.LBB1876_126:                           ;   in Loop: Header=BB1876_69 Depth=2
	s_or_b64 exec, exec, s[60:61]
	v_cmp_lt_u32_e64 s[52:53], v75, v96
	s_and_saveexec_b64 s[60:61], s[52:53]
	s_cbranch_execnz .LBB1876_161
.LBB1876_127:                           ;   in Loop: Header=BB1876_69 Depth=2
	s_or_b64 exec, exec, s[60:61]
	v_cmp_lt_u32_e64 s[52:53], v76, v96
	s_and_saveexec_b64 s[60:61], s[52:53]
	s_cbranch_execnz .LBB1876_162
.LBB1876_128:                           ;   in Loop: Header=BB1876_69 Depth=2
	s_or_b64 exec, exec, s[60:61]
	v_cmp_lt_u32_e64 s[52:53], v77, v96
	s_and_saveexec_b64 s[60:61], s[52:53]
	s_cbranch_execnz .LBB1876_163
.LBB1876_129:                           ;   in Loop: Header=BB1876_69 Depth=2
	s_or_b64 exec, exec, s[60:61]
	v_cmp_lt_u32_e64 s[52:53], v78, v96
	s_and_saveexec_b64 s[60:61], s[52:53]
	s_cbranch_execnz .LBB1876_164
.LBB1876_130:                           ;   in Loop: Header=BB1876_69 Depth=2
	s_or_b64 exec, exec, s[60:61]
	v_cmp_lt_u32_e64 s[52:53], v79, v96
	s_and_saveexec_b64 s[60:61], s[52:53]
	s_cbranch_execnz .LBB1876_165
.LBB1876_131:                           ;   in Loop: Header=BB1876_69 Depth=2
	s_or_b64 exec, exec, s[60:61]
	v_cmp_lt_u32_e64 s[52:53], v80, v96
	s_and_saveexec_b64 s[60:61], s[52:53]
	s_cbranch_execnz .LBB1876_166
.LBB1876_132:                           ;   in Loop: Header=BB1876_69 Depth=2
	s_or_b64 exec, exec, s[60:61]
	s_and_saveexec_b64 s[60:61], vcc
	s_cbranch_execnz .LBB1876_167
.LBB1876_133:                           ;   in Loop: Header=BB1876_69 Depth=2
	s_or_b64 exec, exec, s[60:61]
	s_and_saveexec_b64 s[60:61], s[36:37]
	s_cbranch_execnz .LBB1876_168
.LBB1876_134:                           ;   in Loop: Header=BB1876_69 Depth=2
	s_or_b64 exec, exec, s[60:61]
	s_and_saveexec_b64 s[60:61], s[38:39]
	s_cbranch_execnz .LBB1876_169
.LBB1876_135:                           ;   in Loop: Header=BB1876_69 Depth=2
	s_or_b64 exec, exec, s[60:61]
	s_and_saveexec_b64 s[60:61], s[40:41]
	s_cbranch_execnz .LBB1876_170
.LBB1876_136:                           ;   in Loop: Header=BB1876_69 Depth=2
	s_or_b64 exec, exec, s[60:61]
	s_and_saveexec_b64 s[60:61], s[42:43]
	s_cbranch_execnz .LBB1876_171
.LBB1876_137:                           ;   in Loop: Header=BB1876_69 Depth=2
	s_or_b64 exec, exec, s[60:61]
	s_and_saveexec_b64 s[60:61], s[44:45]
	s_cbranch_execnz .LBB1876_172
.LBB1876_138:                           ;   in Loop: Header=BB1876_69 Depth=2
	s_or_b64 exec, exec, s[60:61]
	s_and_saveexec_b64 s[60:61], s[46:47]
	s_cbranch_execnz .LBB1876_173
.LBB1876_139:                           ;   in Loop: Header=BB1876_69 Depth=2
	s_or_b64 exec, exec, s[60:61]
	s_and_saveexec_b64 s[60:61], s[48:49]
	s_cbranch_execz .LBB1876_141
.LBB1876_140:                           ;   in Loop: Header=BB1876_69 Depth=2
	ds_read_u16 v21, v47 offset:4608
	s_waitcnt lgkmcnt(0)
	v_cmp_ne_u16_e64 s[52:53], s62, v21
	v_cndmask_b32_e64 v21, v65, v21, s[52:53]
	v_lshrrev_b32_sdwa v21, s63, v21 dst_sel:DWORD dst_unused:UNUSED_PAD src0_sel:DWORD src1_sel:WORD_0
	v_and_b32_e32 v87, s70, v21
.LBB1876_141:                           ;   in Loop: Header=BB1876_69 Depth=2
	s_or_b64 exec, exec, s[60:61]
	v_lshlrev_b32_e32 v21, 3, v108
	s_waitcnt vmcnt(0)
	s_barrier
	ds_write_b64 v21, v[19:20] offset:1024
	v_lshlrev_b32_e32 v21, 3, v105
	ds_write_b64 v21, v[17:18] offset:1024
	v_lshlrev_b32_e32 v21, 3, v102
	;; [unrolled: 2-line block ×7, first 2 shown]
	ds_write_b64 v21, v[5:6] offset:1024
	s_waitcnt lgkmcnt(0)
	s_barrier
	s_and_saveexec_b64 s[52:53], vcc
	s_cbranch_execnz .LBB1876_174
; %bb.142:                              ;   in Loop: Header=BB1876_69 Depth=2
	s_or_b64 exec, exec, s[52:53]
	s_and_saveexec_b64 s[52:53], s[36:37]
	s_cbranch_execnz .LBB1876_175
.LBB1876_143:                           ;   in Loop: Header=BB1876_69 Depth=2
	s_or_b64 exec, exec, s[52:53]
	s_and_saveexec_b64 s[36:37], s[38:39]
	s_cbranch_execnz .LBB1876_176
.LBB1876_144:                           ;   in Loop: Header=BB1876_69 Depth=2
	s_or_b64 exec, exec, s[36:37]
	s_and_saveexec_b64 s[36:37], s[40:41]
	s_cbranch_execnz .LBB1876_177
.LBB1876_145:                           ;   in Loop: Header=BB1876_69 Depth=2
	s_or_b64 exec, exec, s[36:37]
	s_and_saveexec_b64 s[36:37], s[42:43]
	s_cbranch_execnz .LBB1876_178
.LBB1876_146:                           ;   in Loop: Header=BB1876_69 Depth=2
	s_or_b64 exec, exec, s[36:37]
	s_and_saveexec_b64 s[36:37], s[44:45]
	s_cbranch_execnz .LBB1876_179
.LBB1876_147:                           ;   in Loop: Header=BB1876_69 Depth=2
	s_or_b64 exec, exec, s[36:37]
	s_and_saveexec_b64 s[36:37], s[46:47]
	s_cbranch_execnz .LBB1876_180
.LBB1876_148:                           ;   in Loop: Header=BB1876_69 Depth=2
	s_or_b64 exec, exec, s[36:37]
	s_and_saveexec_b64 s[36:37], s[48:49]
	s_cbranch_execz .LBB1876_150
.LBB1876_149:                           ;   in Loop: Header=BB1876_69 Depth=2
	v_lshlrev_b32_e32 v21, 2, v87
	ds_read_b32 v23, v21
	v_add_u32_e32 v21, v47, v48
	ds_read_b64 v[21:22], v21 offset:15360
	v_mov_b32_e32 v24, v3
	v_mov_b32_e32 v96, s73
	s_waitcnt lgkmcnt(1)
	v_add_u32_e32 v23, v23, v34
	v_lshlrev_b64 v[23:24], 3, v[23:24]
	v_add_co_u32_e32 v23, vcc, s72, v23
	v_addc_co_u32_e32 v24, vcc, v96, v24, vcc
	s_waitcnt lgkmcnt(0)
	global_store_dwordx2 v[23:24], v[21:22], off
.LBB1876_150:                           ;   in Loop: Header=BB1876_69 Depth=2
	s_or_b64 exec, exec, s[36:37]
	s_waitcnt vmcnt(0)
	s_barrier
	s_and_saveexec_b64 s[36:37], s[4:5]
	s_cbranch_execz .LBB1876_68
; %bb.151:                              ;   in Loop: Header=BB1876_69 Depth=2
	ds_read_b32 v21, v25
	s_waitcnt lgkmcnt(0)
	v_add_u32_e32 v4, v21, v4
	ds_write_b32 v25, v4
	s_branch .LBB1876_68
.LBB1876_152:                           ;   in Loop: Header=BB1876_69 Depth=2
	ds_read_u16 v21, v47 offset:1024
	v_mov_b32_e32 v22, v3
	v_mov_b32_e32 v99, s67
	s_waitcnt lgkmcnt(0)
	v_cmp_ne_u16_e64 s[36:37], s62, v21
	v_cndmask_b32_e64 v97, v65, v21, s[36:37]
	v_lshrrev_b32_sdwa v97, s63, v97 dst_sel:DWORD dst_unused:UNUSED_PAD src0_sel:DWORD src1_sel:WORD_0
	v_and_b32_e32 v97, s70, v97
	v_lshlrev_b32_e32 v97, 2, v97
	ds_read_b32 v97, v97
	v_cmp_lt_i16_e64 s[36:37], -1, v21
	v_cndmask_b32_e64 v103, v65, -1, s[36:37]
	v_xor_b32_e32 v103, v103, v21
	s_waitcnt lgkmcnt(0)
	v_add_u32_e32 v21, v97, v0
	v_lshlrev_b64 v[21:22], 1, v[21:22]
	v_add_co_u32_e64 v21, s[36:37], s66, v21
	v_addc_co_u32_e64 v22, s[36:37], v99, v22, s[36:37]
	global_store_short v[21:22], v103, off
	s_or_b64 exec, exec, s[38:39]
	v_cmp_lt_u32_e64 s[36:37], v26, v96
	s_and_saveexec_b64 s[40:41], s[36:37]
	s_cbranch_execz .LBB1876_117
.LBB1876_153:                           ;   in Loop: Header=BB1876_69 Depth=2
	ds_read_u16 v21, v47 offset:1536
	v_mov_b32_e32 v22, v3
	v_mov_b32_e32 v99, s67
	s_waitcnt lgkmcnt(0)
	v_cmp_ne_u16_e64 s[38:39], s62, v21
	v_cndmask_b32_e64 v97, v65, v21, s[38:39]
	v_lshrrev_b32_sdwa v97, s63, v97 dst_sel:DWORD dst_unused:UNUSED_PAD src0_sel:DWORD src1_sel:WORD_0
	v_and_b32_e32 v97, s70, v97
	v_lshlrev_b32_e32 v97, 2, v97
	ds_read_b32 v97, v97
	v_cmp_lt_i16_e64 s[38:39], -1, v21
	v_cndmask_b32_e64 v103, v65, -1, s[38:39]
	v_xor_b32_e32 v103, v103, v21
	s_waitcnt lgkmcnt(0)
	v_add_u32_e32 v21, v97, v26
	v_lshlrev_b64 v[21:22], 1, v[21:22]
	v_add_co_u32_e64 v21, s[38:39], s66, v21
	v_addc_co_u32_e64 v22, s[38:39], v99, v22, s[38:39]
	global_store_short v[21:22], v103, off
	s_or_b64 exec, exec, s[40:41]
	v_cmp_lt_u32_e64 s[38:39], v27, v96
	s_and_saveexec_b64 s[42:43], s[38:39]
	s_cbranch_execz .LBB1876_118
.LBB1876_154:                           ;   in Loop: Header=BB1876_69 Depth=2
	ds_read_u16 v21, v47 offset:2048
	v_mov_b32_e32 v22, v3
	v_mov_b32_e32 v99, s67
	s_waitcnt lgkmcnt(0)
	v_cmp_ne_u16_e64 s[40:41], s62, v21
	v_cndmask_b32_e64 v97, v65, v21, s[40:41]
	v_lshrrev_b32_sdwa v97, s63, v97 dst_sel:DWORD dst_unused:UNUSED_PAD src0_sel:DWORD src1_sel:WORD_0
	v_and_b32_e32 v97, s70, v97
	v_lshlrev_b32_e32 v97, 2, v97
	ds_read_b32 v97, v97
	v_cmp_lt_i16_e64 s[40:41], -1, v21
	v_cndmask_b32_e64 v103, v65, -1, s[40:41]
	v_xor_b32_e32 v103, v103, v21
	s_waitcnt lgkmcnt(0)
	v_add_u32_e32 v21, v97, v27
	v_lshlrev_b64 v[21:22], 1, v[21:22]
	v_add_co_u32_e64 v21, s[40:41], s66, v21
	v_addc_co_u32_e64 v22, s[40:41], v99, v22, s[40:41]
	global_store_short v[21:22], v103, off
	s_or_b64 exec, exec, s[42:43]
	v_cmp_lt_u32_e64 s[40:41], v28, v96
	s_and_saveexec_b64 s[44:45], s[40:41]
	s_cbranch_execz .LBB1876_119
.LBB1876_155:                           ;   in Loop: Header=BB1876_69 Depth=2
	ds_read_u16 v21, v47 offset:2560
	v_mov_b32_e32 v22, v3
	v_mov_b32_e32 v99, s67
	s_waitcnt lgkmcnt(0)
	v_cmp_ne_u16_e64 s[42:43], s62, v21
	v_cndmask_b32_e64 v97, v65, v21, s[42:43]
	v_lshrrev_b32_sdwa v97, s63, v97 dst_sel:DWORD dst_unused:UNUSED_PAD src0_sel:DWORD src1_sel:WORD_0
	v_and_b32_e32 v97, s70, v97
	v_lshlrev_b32_e32 v97, 2, v97
	ds_read_b32 v97, v97
	v_cmp_lt_i16_e64 s[42:43], -1, v21
	v_cndmask_b32_e64 v103, v65, -1, s[42:43]
	v_xor_b32_e32 v103, v103, v21
	s_waitcnt lgkmcnt(0)
	v_add_u32_e32 v21, v97, v28
	v_lshlrev_b64 v[21:22], 1, v[21:22]
	v_add_co_u32_e64 v21, s[42:43], s66, v21
	v_addc_co_u32_e64 v22, s[42:43], v99, v22, s[42:43]
	global_store_short v[21:22], v103, off
	s_or_b64 exec, exec, s[44:45]
	v_cmp_lt_u32_e64 s[42:43], v31, v96
	s_and_saveexec_b64 s[46:47], s[42:43]
	s_cbranch_execz .LBB1876_120
.LBB1876_156:                           ;   in Loop: Header=BB1876_69 Depth=2
	ds_read_u16 v21, v47 offset:3072
	v_mov_b32_e32 v22, v3
	v_mov_b32_e32 v99, s67
	s_waitcnt lgkmcnt(0)
	v_cmp_ne_u16_e64 s[44:45], s62, v21
	v_cndmask_b32_e64 v97, v65, v21, s[44:45]
	v_lshrrev_b32_sdwa v97, s63, v97 dst_sel:DWORD dst_unused:UNUSED_PAD src0_sel:DWORD src1_sel:WORD_0
	v_and_b32_e32 v97, s70, v97
	v_lshlrev_b32_e32 v97, 2, v97
	ds_read_b32 v97, v97
	v_cmp_lt_i16_e64 s[44:45], -1, v21
	v_cndmask_b32_e64 v103, v65, -1, s[44:45]
	v_xor_b32_e32 v103, v103, v21
	s_waitcnt lgkmcnt(0)
	v_add_u32_e32 v21, v97, v31
	v_lshlrev_b64 v[21:22], 1, v[21:22]
	v_add_co_u32_e64 v21, s[44:45], s66, v21
	v_addc_co_u32_e64 v22, s[44:45], v99, v22, s[44:45]
	global_store_short v[21:22], v103, off
	s_or_b64 exec, exec, s[46:47]
	v_cmp_lt_u32_e64 s[44:45], v32, v96
	s_and_saveexec_b64 s[48:49], s[44:45]
	s_cbranch_execz .LBB1876_121
.LBB1876_157:                           ;   in Loop: Header=BB1876_69 Depth=2
	ds_read_u16 v21, v47 offset:3584
	v_mov_b32_e32 v22, v3
	v_mov_b32_e32 v99, s67
	s_waitcnt lgkmcnt(0)
	v_cmp_ne_u16_e64 s[46:47], s62, v21
	v_cndmask_b32_e64 v97, v65, v21, s[46:47]
	v_lshrrev_b32_sdwa v97, s63, v97 dst_sel:DWORD dst_unused:UNUSED_PAD src0_sel:DWORD src1_sel:WORD_0
	v_and_b32_e32 v97, s70, v97
	v_lshlrev_b32_e32 v97, 2, v97
	ds_read_b32 v97, v97
	v_cmp_lt_i16_e64 s[46:47], -1, v21
	v_cndmask_b32_e64 v103, v65, -1, s[46:47]
	v_xor_b32_e32 v103, v103, v21
	s_waitcnt lgkmcnt(0)
	v_add_u32_e32 v21, v97, v32
	v_lshlrev_b64 v[21:22], 1, v[21:22]
	v_add_co_u32_e64 v21, s[46:47], s66, v21
	v_addc_co_u32_e64 v22, s[46:47], v99, v22, s[46:47]
	global_store_short v[21:22], v103, off
	s_or_b64 exec, exec, s[48:49]
	v_cmp_lt_u32_e64 s[46:47], v33, v96
	s_and_saveexec_b64 s[52:53], s[46:47]
	s_cbranch_execz .LBB1876_122
.LBB1876_158:                           ;   in Loop: Header=BB1876_69 Depth=2
	ds_read_u16 v21, v47 offset:4096
	v_mov_b32_e32 v22, v3
	v_mov_b32_e32 v99, s67
	s_waitcnt lgkmcnt(0)
	v_cmp_ne_u16_e64 s[48:49], s62, v21
	v_cndmask_b32_e64 v97, v65, v21, s[48:49]
	v_lshrrev_b32_sdwa v97, s63, v97 dst_sel:DWORD dst_unused:UNUSED_PAD src0_sel:DWORD src1_sel:WORD_0
	v_and_b32_e32 v97, s70, v97
	v_lshlrev_b32_e32 v97, 2, v97
	ds_read_b32 v97, v97
	v_cmp_lt_i16_e64 s[48:49], -1, v21
	v_cndmask_b32_e64 v103, v65, -1, s[48:49]
	v_xor_b32_e32 v103, v103, v21
	s_waitcnt lgkmcnt(0)
	v_add_u32_e32 v21, v97, v33
	v_lshlrev_b64 v[21:22], 1, v[21:22]
	v_add_co_u32_e64 v21, s[48:49], s66, v21
	v_addc_co_u32_e64 v22, s[48:49], v99, v22, s[48:49]
	global_store_short v[21:22], v103, off
	s_or_b64 exec, exec, s[52:53]
	v_cmp_lt_u32_e64 s[48:49], v34, v96
	s_and_saveexec_b64 s[60:61], s[48:49]
	s_cbranch_execnz .LBB1876_123
	s_branch .LBB1876_124
.LBB1876_159:                           ;   in Loop: Header=BB1876_69 Depth=2
	global_load_dwordx2 v[19:20], v[21:22], off
	s_or_b64 exec, exec, s[52:53]
	v_cmp_lt_u32_e64 s[52:53], v74, v96
	s_and_saveexec_b64 s[60:61], s[52:53]
	s_cbranch_execz .LBB1876_126
.LBB1876_160:                           ;   in Loop: Header=BB1876_69 Depth=2
	global_load_dwordx2 v[17:18], v[21:22], off offset:512
	s_or_b64 exec, exec, s[60:61]
	v_cmp_lt_u32_e64 s[52:53], v75, v96
	s_and_saveexec_b64 s[60:61], s[52:53]
	s_cbranch_execz .LBB1876_127
.LBB1876_161:                           ;   in Loop: Header=BB1876_69 Depth=2
	global_load_dwordx2 v[15:16], v[21:22], off offset:1024
	s_or_b64 exec, exec, s[60:61]
	v_cmp_lt_u32_e64 s[52:53], v76, v96
	s_and_saveexec_b64 s[60:61], s[52:53]
	s_cbranch_execz .LBB1876_128
.LBB1876_162:                           ;   in Loop: Header=BB1876_69 Depth=2
	global_load_dwordx2 v[13:14], v[21:22], off offset:1536
	s_or_b64 exec, exec, s[60:61]
	v_cmp_lt_u32_e64 s[52:53], v77, v96
	s_and_saveexec_b64 s[60:61], s[52:53]
	s_cbranch_execz .LBB1876_129
.LBB1876_163:                           ;   in Loop: Header=BB1876_69 Depth=2
	global_load_dwordx2 v[11:12], v[21:22], off offset:2048
	s_or_b64 exec, exec, s[60:61]
	v_cmp_lt_u32_e64 s[52:53], v78, v96
	s_and_saveexec_b64 s[60:61], s[52:53]
	s_cbranch_execz .LBB1876_130
.LBB1876_164:                           ;   in Loop: Header=BB1876_69 Depth=2
	global_load_dwordx2 v[9:10], v[21:22], off offset:2560
	s_or_b64 exec, exec, s[60:61]
	v_cmp_lt_u32_e64 s[52:53], v79, v96
	s_and_saveexec_b64 s[60:61], s[52:53]
	s_cbranch_execz .LBB1876_131
.LBB1876_165:                           ;   in Loop: Header=BB1876_69 Depth=2
	global_load_dwordx2 v[7:8], v[21:22], off offset:3072
	s_or_b64 exec, exec, s[60:61]
	v_cmp_lt_u32_e64 s[52:53], v80, v96
	s_and_saveexec_b64 s[60:61], s[52:53]
	s_cbranch_execz .LBB1876_132
.LBB1876_166:                           ;   in Loop: Header=BB1876_69 Depth=2
	global_load_dwordx2 v[5:6], v[21:22], off offset:3584
	s_or_b64 exec, exec, s[60:61]
	s_and_saveexec_b64 s[60:61], vcc
	s_cbranch_execz .LBB1876_133
.LBB1876_167:                           ;   in Loop: Header=BB1876_69 Depth=2
	ds_read_u16 v21, v47 offset:1024
	s_waitcnt lgkmcnt(0)
	v_cmp_ne_u16_e64 s[52:53], s62, v21
	v_cndmask_b32_e64 v21, v65, v21, s[52:53]
	v_lshrrev_b32_sdwa v21, s63, v21 dst_sel:DWORD dst_unused:UNUSED_PAD src0_sel:DWORD src1_sel:WORD_0
	v_and_b32_e32 v95, s70, v21
	s_or_b64 exec, exec, s[60:61]
	s_and_saveexec_b64 s[60:61], s[36:37]
	s_cbranch_execz .LBB1876_134
.LBB1876_168:                           ;   in Loop: Header=BB1876_69 Depth=2
	ds_read_u16 v21, v47 offset:1536
	s_waitcnt lgkmcnt(0)
	v_cmp_ne_u16_e64 s[52:53], s62, v21
	v_cndmask_b32_e64 v21, v65, v21, s[52:53]
	v_lshrrev_b32_sdwa v21, s63, v21 dst_sel:DWORD dst_unused:UNUSED_PAD src0_sel:DWORD src1_sel:WORD_0
	v_and_b32_e32 v94, s70, v21
	s_or_b64 exec, exec, s[60:61]
	s_and_saveexec_b64 s[60:61], s[38:39]
	s_cbranch_execz .LBB1876_135
.LBB1876_169:                           ;   in Loop: Header=BB1876_69 Depth=2
	ds_read_u16 v21, v47 offset:2048
	s_waitcnt lgkmcnt(0)
	v_cmp_ne_u16_e64 s[52:53], s62, v21
	v_cndmask_b32_e64 v21, v65, v21, s[52:53]
	v_lshrrev_b32_sdwa v21, s63, v21 dst_sel:DWORD dst_unused:UNUSED_PAD src0_sel:DWORD src1_sel:WORD_0
	v_and_b32_e32 v93, s70, v21
	s_or_b64 exec, exec, s[60:61]
	s_and_saveexec_b64 s[60:61], s[40:41]
	s_cbranch_execz .LBB1876_136
.LBB1876_170:                           ;   in Loop: Header=BB1876_69 Depth=2
	ds_read_u16 v21, v47 offset:2560
	s_waitcnt lgkmcnt(0)
	v_cmp_ne_u16_e64 s[52:53], s62, v21
	v_cndmask_b32_e64 v21, v65, v21, s[52:53]
	v_lshrrev_b32_sdwa v21, s63, v21 dst_sel:DWORD dst_unused:UNUSED_PAD src0_sel:DWORD src1_sel:WORD_0
	v_and_b32_e32 v92, s70, v21
	s_or_b64 exec, exec, s[60:61]
	s_and_saveexec_b64 s[60:61], s[42:43]
	s_cbranch_execz .LBB1876_137
.LBB1876_171:                           ;   in Loop: Header=BB1876_69 Depth=2
	ds_read_u16 v21, v47 offset:3072
	s_waitcnt lgkmcnt(0)
	v_cmp_ne_u16_e64 s[52:53], s62, v21
	v_cndmask_b32_e64 v21, v65, v21, s[52:53]
	v_lshrrev_b32_sdwa v21, s63, v21 dst_sel:DWORD dst_unused:UNUSED_PAD src0_sel:DWORD src1_sel:WORD_0
	v_and_b32_e32 v90, s70, v21
	s_or_b64 exec, exec, s[60:61]
	s_and_saveexec_b64 s[60:61], s[44:45]
	s_cbranch_execz .LBB1876_138
.LBB1876_172:                           ;   in Loop: Header=BB1876_69 Depth=2
	ds_read_u16 v21, v47 offset:3584
	s_waitcnt lgkmcnt(0)
	v_cmp_ne_u16_e64 s[52:53], s62, v21
	v_cndmask_b32_e64 v21, v65, v21, s[52:53]
	v_lshrrev_b32_sdwa v21, s63, v21 dst_sel:DWORD dst_unused:UNUSED_PAD src0_sel:DWORD src1_sel:WORD_0
	v_and_b32_e32 v89, s70, v21
	s_or_b64 exec, exec, s[60:61]
	s_and_saveexec_b64 s[60:61], s[46:47]
	s_cbranch_execz .LBB1876_139
.LBB1876_173:                           ;   in Loop: Header=BB1876_69 Depth=2
	ds_read_u16 v21, v47 offset:4096
	s_waitcnt lgkmcnt(0)
	v_cmp_ne_u16_e64 s[52:53], s62, v21
	v_cndmask_b32_e64 v21, v65, v21, s[52:53]
	v_lshrrev_b32_sdwa v21, s63, v21 dst_sel:DWORD dst_unused:UNUSED_PAD src0_sel:DWORD src1_sel:WORD_0
	v_and_b32_e32 v88, s70, v21
	s_or_b64 exec, exec, s[60:61]
	s_and_saveexec_b64 s[60:61], s[48:49]
	s_cbranch_execnz .LBB1876_140
	s_branch .LBB1876_141
.LBB1876_174:                           ;   in Loop: Header=BB1876_69 Depth=2
	v_lshlrev_b32_e32 v21, 2, v95
	ds_read_b32 v23, v21
	v_add_u32_e32 v21, v47, v48
	ds_read_b64 v[21:22], v21 offset:1024
	v_mov_b32_e32 v24, v3
	v_mov_b32_e32 v96, s73
	s_waitcnt lgkmcnt(1)
	v_add_u32_e32 v23, v23, v0
	v_lshlrev_b64 v[23:24], 3, v[23:24]
	v_add_co_u32_e32 v23, vcc, s72, v23
	v_addc_co_u32_e32 v24, vcc, v96, v24, vcc
	s_waitcnt lgkmcnt(0)
	global_store_dwordx2 v[23:24], v[21:22], off
	s_or_b64 exec, exec, s[52:53]
	s_and_saveexec_b64 s[52:53], s[36:37]
	s_cbranch_execz .LBB1876_143
.LBB1876_175:                           ;   in Loop: Header=BB1876_69 Depth=2
	v_lshlrev_b32_e32 v21, 2, v94
	ds_read_b32 v23, v21
	v_add_u32_e32 v21, v47, v48
	ds_read_b64 v[21:22], v21 offset:3072
	v_mov_b32_e32 v24, v3
	v_mov_b32_e32 v96, s73
	s_waitcnt lgkmcnt(1)
	v_add_u32_e32 v23, v23, v26
	v_lshlrev_b64 v[23:24], 3, v[23:24]
	v_add_co_u32_e32 v23, vcc, s72, v23
	v_addc_co_u32_e32 v24, vcc, v96, v24, vcc
	s_waitcnt lgkmcnt(0)
	global_store_dwordx2 v[23:24], v[21:22], off
	s_or_b64 exec, exec, s[52:53]
	s_and_saveexec_b64 s[36:37], s[38:39]
	s_cbranch_execz .LBB1876_144
.LBB1876_176:                           ;   in Loop: Header=BB1876_69 Depth=2
	v_lshlrev_b32_e32 v21, 2, v93
	ds_read_b32 v23, v21
	v_add_u32_e32 v21, v47, v48
	ds_read_b64 v[21:22], v21 offset:5120
	v_mov_b32_e32 v24, v3
	v_mov_b32_e32 v96, s73
	s_waitcnt lgkmcnt(1)
	v_add_u32_e32 v23, v23, v27
	v_lshlrev_b64 v[23:24], 3, v[23:24]
	v_add_co_u32_e32 v23, vcc, s72, v23
	v_addc_co_u32_e32 v24, vcc, v96, v24, vcc
	s_waitcnt lgkmcnt(0)
	global_store_dwordx2 v[23:24], v[21:22], off
	s_or_b64 exec, exec, s[36:37]
	s_and_saveexec_b64 s[36:37], s[40:41]
	s_cbranch_execz .LBB1876_145
.LBB1876_177:                           ;   in Loop: Header=BB1876_69 Depth=2
	v_lshlrev_b32_e32 v21, 2, v92
	ds_read_b32 v23, v21
	v_add_u32_e32 v21, v47, v48
	ds_read_b64 v[21:22], v21 offset:7168
	v_mov_b32_e32 v24, v3
	v_mov_b32_e32 v96, s73
	s_waitcnt lgkmcnt(1)
	v_add_u32_e32 v23, v23, v28
	v_lshlrev_b64 v[23:24], 3, v[23:24]
	v_add_co_u32_e32 v23, vcc, s72, v23
	v_addc_co_u32_e32 v24, vcc, v96, v24, vcc
	s_waitcnt lgkmcnt(0)
	global_store_dwordx2 v[23:24], v[21:22], off
	s_or_b64 exec, exec, s[36:37]
	s_and_saveexec_b64 s[36:37], s[42:43]
	s_cbranch_execz .LBB1876_146
.LBB1876_178:                           ;   in Loop: Header=BB1876_69 Depth=2
	v_lshlrev_b32_e32 v21, 2, v90
	ds_read_b32 v23, v21
	v_add_u32_e32 v21, v47, v48
	ds_read_b64 v[21:22], v21 offset:9216
	v_mov_b32_e32 v24, v3
	v_mov_b32_e32 v96, s73
	s_waitcnt lgkmcnt(1)
	v_add_u32_e32 v23, v23, v31
	v_lshlrev_b64 v[23:24], 3, v[23:24]
	v_add_co_u32_e32 v23, vcc, s72, v23
	v_addc_co_u32_e32 v24, vcc, v96, v24, vcc
	s_waitcnt lgkmcnt(0)
	global_store_dwordx2 v[23:24], v[21:22], off
	s_or_b64 exec, exec, s[36:37]
	s_and_saveexec_b64 s[36:37], s[44:45]
	s_cbranch_execz .LBB1876_147
.LBB1876_179:                           ;   in Loop: Header=BB1876_69 Depth=2
	v_lshlrev_b32_e32 v21, 2, v89
	ds_read_b32 v23, v21
	v_add_u32_e32 v21, v47, v48
	ds_read_b64 v[21:22], v21 offset:11264
	v_mov_b32_e32 v24, v3
	v_mov_b32_e32 v96, s73
	s_waitcnt lgkmcnt(1)
	v_add_u32_e32 v23, v23, v32
	v_lshlrev_b64 v[23:24], 3, v[23:24]
	v_add_co_u32_e32 v23, vcc, s72, v23
	v_addc_co_u32_e32 v24, vcc, v96, v24, vcc
	s_waitcnt lgkmcnt(0)
	global_store_dwordx2 v[23:24], v[21:22], off
	s_or_b64 exec, exec, s[36:37]
	s_and_saveexec_b64 s[36:37], s[46:47]
	s_cbranch_execz .LBB1876_148
.LBB1876_180:                           ;   in Loop: Header=BB1876_69 Depth=2
	v_lshlrev_b32_e32 v21, 2, v88
	ds_read_b32 v23, v21
	v_add_u32_e32 v21, v47, v48
	ds_read_b64 v[21:22], v21 offset:13312
	v_mov_b32_e32 v24, v3
	v_mov_b32_e32 v96, s73
	s_waitcnt lgkmcnt(1)
	v_add_u32_e32 v23, v23, v33
	v_lshlrev_b64 v[23:24], 3, v[23:24]
	v_add_co_u32_e32 v23, vcc, s72, v23
	v_addc_co_u32_e32 v24, vcc, v96, v24, vcc
	s_waitcnt lgkmcnt(0)
	global_store_dwordx2 v[23:24], v[21:22], off
	s_or_b64 exec, exec, s[36:37]
	s_and_saveexec_b64 s[36:37], s[48:49]
	s_cbranch_execnz .LBB1876_149
	s_branch .LBB1876_150
.LBB1876_181:                           ;   in Loop: Header=BB1876_17 Depth=1
	s_waitcnt lgkmcnt(0)
	s_barrier
	s_mov_b64 s[16:17], 0
.LBB1876_182:                           ;   in Loop: Header=BB1876_17 Depth=1
	s_and_b64 vcc, exec, s[16:17]
	s_cbranch_vccz .LBB1876_346
; %bb.183:                              ;   in Loop: Header=BB1876_17 Depth=1
	s_mov_b32 s20, s79
	s_mov_b32 s58, s51
	s_barrier
                                        ; implicit-def: $vgpr4
                                        ; implicit-def: $vgpr5
                                        ; implicit-def: $vgpr6
                                        ; implicit-def: $vgpr7
                                        ; implicit-def: $vgpr8
                                        ; implicit-def: $vgpr9
                                        ; implicit-def: $vgpr10
                                        ; implicit-def: $vgpr11
	s_branch .LBB1876_185
.LBB1876_184:                           ;   in Loop: Header=BB1876_185 Depth=2
	s_or_b64 exec, exec, s[16:17]
	s_addk_i32 s20, 0xf800
	s_cmp_ge_u32 s21, s80
	s_mov_b32 s58, s21
	s_cbranch_scc1 .LBB1876_221
.LBB1876_185:                           ;   Parent Loop BB1876_17 Depth=1
                                        ; =>  This Inner Loop Header: Depth=2
	s_add_i32 s21, s58, 0x800
	s_cmp_gt_u32 s21, s80
	s_mov_b64 s[16:17], -1
                                        ; implicit-def: $vgpr12
                                        ; implicit-def: $vgpr13
                                        ; implicit-def: $vgpr14
                                        ; implicit-def: $vgpr15
                                        ; implicit-def: $vgpr16
                                        ; implicit-def: $vgpr17
                                        ; implicit-def: $vgpr18
                                        ; implicit-def: $vgpr19
	s_cbranch_scc1 .LBB1876_187
; %bb.186:                              ;   in Loop: Header=BB1876_185 Depth=2
	s_lshl_b64 s[16:17], s[58:59], 1
	v_mov_b32_e32 v12, s17
	v_add_co_u32_e32 v20, vcc, s16, v49
	v_addc_co_u32_e32 v21, vcc, v50, v12, vcc
	global_load_ushort v12, v[20:21], off
	global_load_ushort v13, v[20:21], off offset:512
	global_load_ushort v14, v[20:21], off offset:1024
	global_load_ushort v15, v[20:21], off offset:1536
	global_load_ushort v16, v[20:21], off offset:2048
	global_load_ushort v17, v[20:21], off offset:2560
	global_load_ushort v18, v[20:21], off offset:3072
	global_load_ushort v19, v[20:21], off offset:3584
	s_mov_b64 s[16:17], 0
.LBB1876_187:                           ;   in Loop: Header=BB1876_185 Depth=2
	s_andn2_b64 vcc, exec, s[16:17]
	s_movk_i32 s18, 0x800
	s_cbranch_vccnz .LBB1876_198
; %bb.188:                              ;   in Loop: Header=BB1876_185 Depth=2
	s_lshl_b64 s[16:17], s[58:59], 1
	s_add_u32 s16, s66, s16
	s_addc_u32 s17, s67, s17
	v_cmp_gt_u32_e32 vcc, s20, v0
	s_and_saveexec_b64 s[18:19], vcc
	s_cbranch_execnz .LBB1876_214
; %bb.189:                              ;   in Loop: Header=BB1876_185 Depth=2
	s_or_b64 exec, exec, s[18:19]
	v_cmp_gt_u32_e32 vcc, s20, v26
	s_and_saveexec_b64 s[18:19], vcc
	s_cbranch_execnz .LBB1876_215
.LBB1876_190:                           ;   in Loop: Header=BB1876_185 Depth=2
	s_or_b64 exec, exec, s[18:19]
	v_cmp_gt_u32_e32 vcc, s20, v27
	s_and_saveexec_b64 s[18:19], vcc
	s_cbranch_execnz .LBB1876_216
.LBB1876_191:                           ;   in Loop: Header=BB1876_185 Depth=2
	s_or_b64 exec, exec, s[18:19]
	v_cmp_gt_u32_e32 vcc, s20, v28
	s_and_saveexec_b64 s[18:19], vcc
	s_cbranch_execnz .LBB1876_217
.LBB1876_192:                           ;   in Loop: Header=BB1876_185 Depth=2
	s_or_b64 exec, exec, s[18:19]
	v_cmp_gt_u32_e32 vcc, s20, v31
	s_and_saveexec_b64 s[18:19], vcc
	s_cbranch_execnz .LBB1876_218
.LBB1876_193:                           ;   in Loop: Header=BB1876_185 Depth=2
	s_or_b64 exec, exec, s[18:19]
	v_cmp_gt_u32_e32 vcc, s20, v32
	s_and_saveexec_b64 s[18:19], vcc
	s_cbranch_execnz .LBB1876_219
.LBB1876_194:                           ;   in Loop: Header=BB1876_185 Depth=2
	s_or_b64 exec, exec, s[18:19]
	v_cmp_gt_u32_e32 vcc, s20, v33
	s_and_saveexec_b64 s[18:19], vcc
	s_cbranch_execnz .LBB1876_220
.LBB1876_195:                           ;   in Loop: Header=BB1876_185 Depth=2
	s_or_b64 exec, exec, s[18:19]
	v_cmp_gt_u32_e32 vcc, s20, v34
	s_and_saveexec_b64 s[18:19], vcc
	s_cbranch_execz .LBB1876_197
.LBB1876_196:                           ;   in Loop: Header=BB1876_185 Depth=2
	global_load_ushort v4, v64, s[16:17] offset:3584
.LBB1876_197:                           ;   in Loop: Header=BB1876_185 Depth=2
	s_or_b64 exec, exec, s[18:19]
	s_mov_b32 s18, s20
	s_waitcnt vmcnt(0)
	v_mov_b32_e32 v12, v11
	v_mov_b32_e32 v13, v10
	;; [unrolled: 1-line block ×8, first 2 shown]
.LBB1876_198:                           ;   in Loop: Header=BB1876_185 Depth=2
	s_waitcnt vmcnt(0)
	v_mov_b32_e32 v4, v19
	v_mov_b32_e32 v5, v18
	;; [unrolled: 1-line block ×8, first 2 shown]
	v_cmp_gt_u32_e32 vcc, s18, v0
	s_and_saveexec_b64 s[16:17], vcc
	s_cbranch_execnz .LBB1876_206
; %bb.199:                              ;   in Loop: Header=BB1876_185 Depth=2
	s_or_b64 exec, exec, s[16:17]
	v_cmp_gt_u32_e32 vcc, s18, v26
	s_and_saveexec_b64 s[16:17], vcc
	s_cbranch_execnz .LBB1876_207
.LBB1876_200:                           ;   in Loop: Header=BB1876_185 Depth=2
	s_or_b64 exec, exec, s[16:17]
	v_cmp_gt_u32_e32 vcc, s18, v27
	s_and_saveexec_b64 s[16:17], vcc
	s_cbranch_execnz .LBB1876_208
.LBB1876_201:                           ;   in Loop: Header=BB1876_185 Depth=2
	s_or_b64 exec, exec, s[16:17]
	v_cmp_gt_u32_e32 vcc, s18, v28
	s_and_saveexec_b64 s[16:17], vcc
	s_cbranch_execnz .LBB1876_209
.LBB1876_202:                           ;   in Loop: Header=BB1876_185 Depth=2
	s_or_b64 exec, exec, s[16:17]
	v_cmp_gt_u32_e32 vcc, s18, v31
	s_and_saveexec_b64 s[16:17], vcc
	s_cbranch_execnz .LBB1876_210
.LBB1876_203:                           ;   in Loop: Header=BB1876_185 Depth=2
	s_or_b64 exec, exec, s[16:17]
	v_cmp_gt_u32_e32 vcc, s18, v32
	s_and_saveexec_b64 s[16:17], vcc
	s_cbranch_execnz .LBB1876_211
.LBB1876_204:                           ;   in Loop: Header=BB1876_185 Depth=2
	s_or_b64 exec, exec, s[16:17]
	v_cmp_gt_u32_e32 vcc, s18, v33
	s_and_saveexec_b64 s[16:17], vcc
	s_cbranch_execnz .LBB1876_212
.LBB1876_205:                           ;   in Loop: Header=BB1876_185 Depth=2
	s_or_b64 exec, exec, s[16:17]
	v_cmp_gt_u32_e32 vcc, s18, v34
	s_and_saveexec_b64 s[16:17], vcc
	s_cbranch_execz .LBB1876_184
	s_branch .LBB1876_213
.LBB1876_206:                           ;   in Loop: Header=BB1876_185 Depth=2
	v_cmp_lt_i16_e32 vcc, -1, v11
	v_cndmask_b32_e32 v12, -1, v65, vcc
	v_xor_b32_e32 v12, v12, v11
	v_cmp_ne_u16_e32 vcc, s62, v12
	v_cndmask_b32_e32 v12, v65, v12, vcc
	v_lshrrev_b32_sdwa v12, s63, v12 dst_sel:DWORD dst_unused:UNUSED_PAD src0_sel:DWORD src1_sel:WORD_0
	v_and_b32_e32 v12, s70, v12
	v_lshl_or_b32 v12, v12, 4, v35
	ds_add_u32 v12, v61
	s_or_b64 exec, exec, s[16:17]
	v_cmp_gt_u32_e32 vcc, s18, v26
	s_and_saveexec_b64 s[16:17], vcc
	s_cbranch_execz .LBB1876_200
.LBB1876_207:                           ;   in Loop: Header=BB1876_185 Depth=2
	v_cmp_lt_i16_e32 vcc, -1, v10
	v_cndmask_b32_e32 v12, -1, v65, vcc
	v_xor_b32_e32 v12, v12, v10
	v_cmp_ne_u16_e32 vcc, s62, v12
	v_cndmask_b32_e32 v12, v65, v12, vcc
	v_lshrrev_b32_sdwa v12, s63, v12 dst_sel:DWORD dst_unused:UNUSED_PAD src0_sel:DWORD src1_sel:WORD_0
	v_and_b32_e32 v12, s70, v12
	v_lshl_or_b32 v12, v12, 4, v35
	ds_add_u32 v12, v61
	s_or_b64 exec, exec, s[16:17]
	v_cmp_gt_u32_e32 vcc, s18, v27
	s_and_saveexec_b64 s[16:17], vcc
	s_cbranch_execz .LBB1876_201
.LBB1876_208:                           ;   in Loop: Header=BB1876_185 Depth=2
	v_cmp_lt_i16_e32 vcc, -1, v9
	v_cndmask_b32_e32 v12, -1, v65, vcc
	v_xor_b32_e32 v12, v12, v9
	v_cmp_ne_u16_e32 vcc, s62, v12
	v_cndmask_b32_e32 v12, v65, v12, vcc
	v_lshrrev_b32_sdwa v12, s63, v12 dst_sel:DWORD dst_unused:UNUSED_PAD src0_sel:DWORD src1_sel:WORD_0
	v_and_b32_e32 v12, s70, v12
	v_lshl_or_b32 v12, v12, 4, v35
	ds_add_u32 v12, v61
	s_or_b64 exec, exec, s[16:17]
	v_cmp_gt_u32_e32 vcc, s18, v28
	s_and_saveexec_b64 s[16:17], vcc
	s_cbranch_execz .LBB1876_202
.LBB1876_209:                           ;   in Loop: Header=BB1876_185 Depth=2
	v_cmp_lt_i16_e32 vcc, -1, v8
	v_cndmask_b32_e32 v12, -1, v65, vcc
	v_xor_b32_e32 v12, v12, v8
	v_cmp_ne_u16_e32 vcc, s62, v12
	v_cndmask_b32_e32 v12, v65, v12, vcc
	v_lshrrev_b32_sdwa v12, s63, v12 dst_sel:DWORD dst_unused:UNUSED_PAD src0_sel:DWORD src1_sel:WORD_0
	v_and_b32_e32 v12, s70, v12
	v_lshl_or_b32 v12, v12, 4, v35
	ds_add_u32 v12, v61
	s_or_b64 exec, exec, s[16:17]
	v_cmp_gt_u32_e32 vcc, s18, v31
	s_and_saveexec_b64 s[16:17], vcc
	s_cbranch_execz .LBB1876_203
.LBB1876_210:                           ;   in Loop: Header=BB1876_185 Depth=2
	v_cmp_lt_i16_e32 vcc, -1, v7
	v_cndmask_b32_e32 v12, -1, v65, vcc
	v_xor_b32_e32 v12, v12, v7
	v_cmp_ne_u16_e32 vcc, s62, v12
	v_cndmask_b32_e32 v12, v65, v12, vcc
	v_lshrrev_b32_sdwa v12, s63, v12 dst_sel:DWORD dst_unused:UNUSED_PAD src0_sel:DWORD src1_sel:WORD_0
	v_and_b32_e32 v12, s70, v12
	v_lshl_or_b32 v12, v12, 4, v35
	ds_add_u32 v12, v61
	s_or_b64 exec, exec, s[16:17]
	v_cmp_gt_u32_e32 vcc, s18, v32
	s_and_saveexec_b64 s[16:17], vcc
	s_cbranch_execz .LBB1876_204
.LBB1876_211:                           ;   in Loop: Header=BB1876_185 Depth=2
	v_cmp_lt_i16_e32 vcc, -1, v6
	v_cndmask_b32_e32 v12, -1, v65, vcc
	v_xor_b32_e32 v12, v12, v6
	v_cmp_ne_u16_e32 vcc, s62, v12
	v_cndmask_b32_e32 v12, v65, v12, vcc
	v_lshrrev_b32_sdwa v12, s63, v12 dst_sel:DWORD dst_unused:UNUSED_PAD src0_sel:DWORD src1_sel:WORD_0
	v_and_b32_e32 v12, s70, v12
	v_lshl_or_b32 v12, v12, 4, v35
	ds_add_u32 v12, v61
	s_or_b64 exec, exec, s[16:17]
	v_cmp_gt_u32_e32 vcc, s18, v33
	s_and_saveexec_b64 s[16:17], vcc
	s_cbranch_execz .LBB1876_205
.LBB1876_212:                           ;   in Loop: Header=BB1876_185 Depth=2
	v_cmp_lt_i16_e32 vcc, -1, v5
	v_cndmask_b32_e32 v12, -1, v65, vcc
	v_xor_b32_e32 v12, v12, v5
	v_cmp_ne_u16_e32 vcc, s62, v12
	v_cndmask_b32_e32 v12, v65, v12, vcc
	v_lshrrev_b32_sdwa v12, s63, v12 dst_sel:DWORD dst_unused:UNUSED_PAD src0_sel:DWORD src1_sel:WORD_0
	v_and_b32_e32 v12, s70, v12
	v_lshl_or_b32 v12, v12, 4, v35
	ds_add_u32 v12, v61
	s_or_b64 exec, exec, s[16:17]
	v_cmp_gt_u32_e32 vcc, s18, v34
	s_and_saveexec_b64 s[16:17], vcc
	s_cbranch_execz .LBB1876_184
.LBB1876_213:                           ;   in Loop: Header=BB1876_185 Depth=2
	v_cmp_lt_i16_e32 vcc, -1, v4
	v_cndmask_b32_e32 v12, -1, v65, vcc
	v_xor_b32_e32 v12, v12, v4
	v_cmp_ne_u16_e32 vcc, s62, v12
	v_cndmask_b32_e32 v12, v65, v12, vcc
	v_lshrrev_b32_sdwa v12, s63, v12 dst_sel:DWORD dst_unused:UNUSED_PAD src0_sel:DWORD src1_sel:WORD_0
	v_and_b32_e32 v12, s70, v12
	v_lshl_or_b32 v12, v12, 4, v35
	ds_add_u32 v12, v61
	s_branch .LBB1876_184
.LBB1876_214:                           ;   in Loop: Header=BB1876_185 Depth=2
	global_load_ushort v11, v64, s[16:17]
	s_or_b64 exec, exec, s[18:19]
	v_cmp_gt_u32_e32 vcc, s20, v26
	s_and_saveexec_b64 s[18:19], vcc
	s_cbranch_execz .LBB1876_190
.LBB1876_215:                           ;   in Loop: Header=BB1876_185 Depth=2
	global_load_ushort v10, v64, s[16:17] offset:512
	s_or_b64 exec, exec, s[18:19]
	v_cmp_gt_u32_e32 vcc, s20, v27
	s_and_saveexec_b64 s[18:19], vcc
	s_cbranch_execz .LBB1876_191
.LBB1876_216:                           ;   in Loop: Header=BB1876_185 Depth=2
	global_load_ushort v9, v64, s[16:17] offset:1024
	s_or_b64 exec, exec, s[18:19]
	v_cmp_gt_u32_e32 vcc, s20, v28
	s_and_saveexec_b64 s[18:19], vcc
	s_cbranch_execz .LBB1876_192
.LBB1876_217:                           ;   in Loop: Header=BB1876_185 Depth=2
	global_load_ushort v8, v64, s[16:17] offset:1536
	s_or_b64 exec, exec, s[18:19]
	v_cmp_gt_u32_e32 vcc, s20, v31
	s_and_saveexec_b64 s[18:19], vcc
	s_cbranch_execz .LBB1876_193
.LBB1876_218:                           ;   in Loop: Header=BB1876_185 Depth=2
	global_load_ushort v7, v64, s[16:17] offset:2048
	s_or_b64 exec, exec, s[18:19]
	v_cmp_gt_u32_e32 vcc, s20, v32
	s_and_saveexec_b64 s[18:19], vcc
	s_cbranch_execz .LBB1876_194
.LBB1876_219:                           ;   in Loop: Header=BB1876_185 Depth=2
	global_load_ushort v6, v64, s[16:17] offset:2560
	s_or_b64 exec, exec, s[18:19]
	v_cmp_gt_u32_e32 vcc, s20, v33
	s_and_saveexec_b64 s[18:19], vcc
	s_cbranch_execz .LBB1876_195
.LBB1876_220:                           ;   in Loop: Header=BB1876_185 Depth=2
	global_load_ushort v5, v64, s[16:17] offset:3072
	s_or_b64 exec, exec, s[18:19]
	v_cmp_gt_u32_e32 vcc, s20, v34
	s_and_saveexec_b64 s[18:19], vcc
	s_cbranch_execnz .LBB1876_196
	s_branch .LBB1876_197
.LBB1876_221:                           ;   in Loop: Header=BB1876_17 Depth=1
	v_mov_b32_e32 v4, 0
	s_waitcnt lgkmcnt(0)
	s_barrier
	s_and_saveexec_b64 s[16:17], s[4:5]
	s_cbranch_execz .LBB1876_223
; %bb.222:                              ;   in Loop: Header=BB1876_17 Depth=1
	ds_read2_b64 v[4:7], v36 offset1:1
	s_waitcnt lgkmcnt(0)
	v_add_u32_e32 v4, v5, v4
	v_add3_u32 v4, v4, v6, v7
.LBB1876_223:                           ;   in Loop: Header=BB1876_17 Depth=1
	s_or_b64 exec, exec, s[16:17]
	s_nop 0
	v_mov_b32_dpp v5, v4 row_shr:1 row_mask:0xf bank_mask:0xf
	v_cmp_eq_u32_e64 s[16:17], 0, v67
	v_cndmask_b32_e64 v5, v5, 0, s[16:17]
	v_add_u32_e32 v4, v5, v4
	v_cmp_lt_u32_e64 s[18:19], 1, v67
	v_cmp_lt_u32_e64 s[20:21], 3, v67
	v_mov_b32_dpp v5, v4 row_shr:2 row_mask:0xf bank_mask:0xf
	v_cndmask_b32_e64 v5, 0, v5, s[18:19]
	v_add_u32_e32 v4, v4, v5
	v_cmp_lt_u32_e64 s[22:23], 7, v67
	v_cmp_lt_u32_e64 s[26:27], 31, v66
	v_mov_b32_dpp v5, v4 row_shr:4 row_mask:0xf bank_mask:0xf
	v_cndmask_b32_e64 v5, 0, v5, s[20:21]
	v_add_u32_e32 v4, v4, v5
	v_cmp_eq_u32_e64 s[24:25], 0, v69
	s_nop 0
	v_mov_b32_dpp v5, v4 row_shr:8 row_mask:0xf bank_mask:0xf
	v_cndmask_b32_e64 v5, 0, v5, s[22:23]
	v_add_u32_e32 v4, v4, v5
	s_nop 1
	v_mov_b32_dpp v5, v4 row_bcast:15 row_mask:0xf bank_mask:0xf
	v_and_b32_e32 v5, v68, v5
	v_add_u32_e32 v4, v4, v5
	s_nop 1
	v_mov_b32_dpp v5, v4 row_bcast:31 row_mask:0xf bank_mask:0xf
	v_cndmask_b32_e64 v5, 0, v5, s[26:27]
	v_add_u32_e32 v4, v4, v5
	s_and_saveexec_b64 s[28:29], s[6:7]
; %bb.224:                              ;   in Loop: Header=BB1876_17 Depth=1
	ds_write_b32 v38, v4
; %bb.225:                              ;   in Loop: Header=BB1876_17 Depth=1
	s_or_b64 exec, exec, s[28:29]
	s_waitcnt lgkmcnt(0)
	s_barrier
	s_and_saveexec_b64 s[28:29], s[8:9]
	s_cbranch_execz .LBB1876_227
; %bb.226:                              ;   in Loop: Header=BB1876_17 Depth=1
	ds_read_b32 v5, v39
	v_cmp_ne_u32_e32 vcc, 0, v70
	s_waitcnt lgkmcnt(0)
	v_mov_b32_dpp v6, v5 row_shr:1 row_mask:0xf bank_mask:0xf
	v_cndmask_b32_e32 v6, 0, v6, vcc
	v_add_u32_e32 v5, v6, v5
	v_cmp_lt_u32_e32 vcc, 1, v70
	s_nop 0
	v_mov_b32_dpp v6, v5 row_shr:2 row_mask:0xf bank_mask:0xf
	v_cndmask_b32_e32 v6, 0, v6, vcc
	v_add_u32_e32 v5, v5, v6
	ds_write_b32 v39, v5
.LBB1876_227:                           ;   in Loop: Header=BB1876_17 Depth=1
	s_or_b64 exec, exec, s[28:29]
	v_mov_b32_e32 v5, 0
	s_waitcnt lgkmcnt(0)
	s_barrier
	s_and_saveexec_b64 s[28:29], s[10:11]
; %bb.228:                              ;   in Loop: Header=BB1876_17 Depth=1
	ds_read_b32 v5, v40
; %bb.229:                              ;   in Loop: Header=BB1876_17 Depth=1
	s_or_b64 exec, exec, s[28:29]
	v_subrev_co_u32_e64 v6, s[28:29], 1, v66
	v_cmp_lt_i32_e32 vcc, v6, v71
	v_cndmask_b32_e32 v6, v6, v66, vcc
	s_waitcnt lgkmcnt(0)
	v_add_u32_e32 v4, v5, v4
	v_lshlrev_b32_e32 v82, 2, v6
	ds_bpermute_b32 v4, v82, v4
	s_waitcnt lgkmcnt(0)
	s_barrier
	s_and_saveexec_b64 s[30:31], s[4:5]
; %bb.230:                              ;   in Loop: Header=BB1876_17 Depth=1
	v_cndmask_b32_e64 v4, v4, v5, s[28:29]
	v_add_u32_e32 v4, s51, v4
	ds_write_b32 v25, v4
; %bb.231:                              ;   in Loop: Header=BB1876_17 Depth=1
	s_or_b64 exec, exec, s[30:31]
	s_load_dwordx2 s[30:31], s[56:57], 0x0
	v_add_co_u32_e32 v83, vcc, v51, v72
	v_addc_co_u32_e32 v84, vcc, 0, v52, vcc
	s_waitcnt lgkmcnt(0)
	s_cmp_lt_u32 s33, s31
	s_cselect_b32 s31, 14, 20
	s_add_u32 s34, s56, s31
	s_addc_u32 s35, s57, 0
	s_cmp_lt_u32 s50, s30
	s_cselect_b32 s30, 12, 18
	s_add_u32 s30, s56, s30
	global_load_ushort v4, v3, s[34:35]
	s_addc_u32 s31, s57, 0
	global_load_ushort v5, v3, s[30:31]
	v_add_co_u32_e32 v85, vcc, v53, v81
	v_cmp_eq_u32_e64 s[30:31], 0, v70
	v_cmp_lt_u32_e64 s[34:35], 1, v70
	v_addc_co_u32_e32 v86, vcc, 0, v54, vcc
	s_mov_b32 s71, s79
	s_mov_b32 s58, s51
                                        ; implicit-def: $vgpr7_vgpr8
                                        ; implicit-def: $vgpr9_vgpr10
                                        ; implicit-def: $vgpr11_vgpr12
                                        ; implicit-def: $vgpr13_vgpr14
                                        ; implicit-def: $vgpr15_vgpr16
                                        ; implicit-def: $vgpr17_vgpr18
                                        ; implicit-def: $vgpr19_vgpr20
                                        ; implicit-def: $vgpr87
                                        ; implicit-def: $vgpr88
                                        ; implicit-def: $vgpr89
                                        ; implicit-def: $vgpr90
                                        ; implicit-def: $vgpr92
                                        ; implicit-def: $vgpr93
                                        ; implicit-def: $vgpr94
                                        ; implicit-def: $vgpr95
	s_waitcnt vmcnt(1)
	v_mad_u32_u24 v4, v2, v4, v1
	s_waitcnt vmcnt(0)
	v_mad_u64_u32 v[4:5], s[36:37], v4, v5, v[0:1]
                                        ; implicit-def: $vgpr5_vgpr6
	v_lshrrev_b32_e32 v4, 4, v4
	v_and_b32_e32 v91, 0xffffffc, v4
	s_branch .LBB1876_233
.LBB1876_232:                           ;   in Loop: Header=BB1876_233 Depth=2
	s_or_b64 exec, exec, s[36:37]
	s_addk_i32 s71, 0xf800
	s_cmp_lt_u32 s76, s80
	s_mov_b32 s58, s76
	s_cbranch_scc0 .LBB1876_345
.LBB1876_233:                           ;   Parent Loop BB1876_17 Depth=1
                                        ; =>  This Inner Loop Header: Depth=2
	s_add_i32 s76, s58, 0x800
	s_cmp_gt_u32 s76, s80
	s_cbranch_scc1 .LBB1876_235
; %bb.234:                              ;   in Loop: Header=BB1876_233 Depth=2
	s_lshl_b64 s[36:37], s[58:59], 1
	v_mov_b32_e32 v4, s37
	v_add_co_u32_e32 v21, vcc, s36, v85
	v_addc_co_u32_e32 v22, vcc, v86, v4, vcc
	global_load_ushort v4, v[21:22], off
	global_load_ushort v99, v[21:22], off offset:128
	global_load_ushort v103, v[21:22], off offset:256
	;; [unrolled: 1-line block ×6, first 2 shown]
	s_mov_b64 s[36:37], -1
	s_movk_i32 s40, 0x800
	s_cbranch_execz .LBB1876_236
	s_branch .LBB1876_251
.LBB1876_235:                           ;   in Loop: Header=BB1876_233 Depth=2
	s_mov_b64 s[36:37], 0
                                        ; implicit-def: $vgpr4
                                        ; implicit-def: $vgpr99
                                        ; implicit-def: $vgpr103
                                        ; implicit-def: $vgpr107
                                        ; implicit-def: $vgpr112
                                        ; implicit-def: $vgpr108
                                        ; implicit-def: $vgpr24
	s_movk_i32 s40, 0x800
.LBB1876_236:                           ;   in Loop: Header=BB1876_233 Depth=2
	s_lshl_b64 s[36:37], s[58:59], 1
	s_waitcnt vmcnt(6)
	v_mov_b32_e32 v4, s37
	v_add_co_u32_e32 v21, vcc, s36, v85
	v_addc_co_u32_e32 v22, vcc, v86, v4, vcc
	v_cmp_gt_u32_e32 vcc, s71, v73
	s_waitcnt vmcnt(5)
	v_mov_b32_e32 v99, 0x7fff
	v_mov_b32_e32 v4, 0x7fff
	s_and_saveexec_b64 s[36:37], vcc
	s_cbranch_execz .LBB1876_238
; %bb.237:                              ;   in Loop: Header=BB1876_233 Depth=2
	global_load_ushort v4, v[21:22], off
.LBB1876_238:                           ;   in Loop: Header=BB1876_233 Depth=2
	s_or_b64 exec, exec, s[36:37]
	v_cmp_gt_u32_e32 vcc, s71, v74
	s_and_saveexec_b64 s[36:37], vcc
	s_cbranch_execz .LBB1876_240
; %bb.239:                              ;   in Loop: Header=BB1876_233 Depth=2
	global_load_ushort v99, v[21:22], off offset:128
.LBB1876_240:                           ;   in Loop: Header=BB1876_233 Depth=2
	s_or_b64 exec, exec, s[36:37]
	v_cmp_gt_u32_e32 vcc, s71, v75
	s_waitcnt vmcnt(3)
	v_mov_b32_e32 v107, 0x7fff
	v_mov_b32_e32 v103, 0x7fff
	s_and_saveexec_b64 s[36:37], vcc
	s_cbranch_execz .LBB1876_242
; %bb.241:                              ;   in Loop: Header=BB1876_233 Depth=2
	global_load_ushort v103, v[21:22], off offset:256
.LBB1876_242:                           ;   in Loop: Header=BB1876_233 Depth=2
	s_or_b64 exec, exec, s[36:37]
	v_cmp_gt_u32_e32 vcc, s71, v76
	s_and_saveexec_b64 s[36:37], vcc
	s_cbranch_execz .LBB1876_244
; %bb.243:                              ;   in Loop: Header=BB1876_233 Depth=2
	global_load_ushort v107, v[21:22], off offset:384
.LBB1876_244:                           ;   in Loop: Header=BB1876_233 Depth=2
	s_or_b64 exec, exec, s[36:37]
	v_cmp_gt_u32_e32 vcc, s71, v77
	s_waitcnt vmcnt(1)
	v_mov_b32_e32 v108, 0x7fff
	v_mov_b32_e32 v112, 0x7fff
	s_and_saveexec_b64 s[36:37], vcc
	s_cbranch_execz .LBB1876_246
; %bb.245:                              ;   in Loop: Header=BB1876_233 Depth=2
	global_load_ushort v112, v[21:22], off offset:512
.LBB1876_246:                           ;   in Loop: Header=BB1876_233 Depth=2
	s_or_b64 exec, exec, s[36:37]
	v_cmp_gt_u32_e32 vcc, s71, v78
	s_and_saveexec_b64 s[36:37], vcc
	s_cbranch_execz .LBB1876_248
; %bb.247:                              ;   in Loop: Header=BB1876_233 Depth=2
	global_load_ushort v108, v[21:22], off offset:640
.LBB1876_248:                           ;   in Loop: Header=BB1876_233 Depth=2
	s_or_b64 exec, exec, s[36:37]
	v_cmp_gt_u32_e32 vcc, s71, v79
	s_waitcnt vmcnt(0)
	v_mov_b32_e32 v24, 0x7fff
	s_and_saveexec_b64 s[36:37], vcc
	s_cbranch_execz .LBB1876_250
; %bb.249:                              ;   in Loop: Header=BB1876_233 Depth=2
	global_load_ushort v24, v[21:22], off offset:768
.LBB1876_250:                           ;   in Loop: Header=BB1876_233 Depth=2
	s_or_b64 exec, exec, s[36:37]
	s_sub_i32 s40, s80, s58
	v_cmp_gt_u32_e64 s[36:37], s71, v80
.LBB1876_251:                           ;   in Loop: Header=BB1876_233 Depth=2
	v_mov_b32_e32 v23, 0x7fff
	v_mov_b32_e32 v96, s71
	s_and_saveexec_b64 s[38:39], s[36:37]
	s_cbranch_execz .LBB1876_253
; %bb.252:                              ;   in Loop: Header=BB1876_233 Depth=2
	s_lshl_b64 s[36:37], s[58:59], 1
	v_mov_b32_e32 v22, s37
	v_add_co_u32_e32 v21, vcc, s36, v85
	v_addc_co_u32_e32 v22, vcc, v86, v22, vcc
	global_load_ushort v23, v[21:22], off offset:896
	v_mov_b32_e32 v96, s40
.LBB1876_253:                           ;   in Loop: Header=BB1876_233 Depth=2
	s_or_b64 exec, exec, s[38:39]
	s_waitcnt vmcnt(6)
	v_cmp_lt_i16_e32 vcc, -1, v4
	v_cndmask_b32_e32 v21, -1, v65, vcc
	v_xor_b32_e32 v97, v21, v4
	v_cmp_ne_u16_e32 vcc, s62, v97
	v_cndmask_b32_e32 v4, v65, v97, vcc
	v_lshrrev_b32_sdwa v4, s63, v4 dst_sel:DWORD dst_unused:UNUSED_PAD src0_sel:DWORD src1_sel:WORD_0
	v_and_b32_e32 v21, s70, v4
	v_and_b32_e32 v4, 1, v21
	v_add_co_u32_e32 v22, vcc, -1, v4
	v_addc_co_u32_e64 v98, s[36:37], 0, -1, vcc
	v_cmp_ne_u32_e32 vcc, 0, v4
	v_xor_b32_e32 v4, vcc_hi, v98
	v_and_b32_e32 v98, exec_hi, v4
	v_lshlrev_b32_e32 v4, 30, v21
	v_xor_b32_e32 v22, vcc_lo, v22
	v_cmp_gt_i64_e32 vcc, 0, v[3:4]
	v_not_b32_e32 v4, v4
	v_ashrrev_i32_e32 v4, 31, v4
	v_and_b32_e32 v22, exec_lo, v22
	v_xor_b32_e32 v101, vcc_hi, v4
	v_xor_b32_e32 v4, vcc_lo, v4
	v_and_b32_e32 v22, v22, v4
	v_lshlrev_b32_e32 v4, 29, v21
	v_cmp_gt_i64_e32 vcc, 0, v[3:4]
	v_not_b32_e32 v4, v4
	v_ashrrev_i32_e32 v4, 31, v4
	v_and_b32_e32 v98, v98, v101
	v_xor_b32_e32 v101, vcc_hi, v4
	v_xor_b32_e32 v4, vcc_lo, v4
	v_and_b32_e32 v22, v22, v4
	v_lshlrev_b32_e32 v4, 28, v21
	v_cmp_gt_i64_e32 vcc, 0, v[3:4]
	v_not_b32_e32 v4, v4
	v_ashrrev_i32_e32 v4, 31, v4
	v_and_b32_e32 v98, v98, v101
	;; [unrolled: 8-line block ×5, first 2 shown]
	v_xor_b32_e32 v101, vcc_hi, v4
	v_xor_b32_e32 v4, vcc_lo, v4
	v_and_b32_e32 v98, v98, v101
	v_and_b32_e32 v101, v22, v4
	v_lshlrev_b32_e32 v4, 24, v21
	v_cmp_gt_i64_e32 vcc, 0, v[3:4]
	v_not_b32_e32 v4, v4
	v_ashrrev_i32_e32 v4, 31, v4
	v_mul_u32_u24_e32 v100, 20, v21
	v_xor_b32_e32 v21, vcc_hi, v4
	v_xor_b32_e32 v4, vcc_lo, v4
	v_and_b32_e32 v22, v98, v21
	v_and_b32_e32 v21, v101, v4
	v_mbcnt_lo_u32_b32 v4, v21, 0
	v_mbcnt_hi_u32_b32 v98, v22, v4
	v_cmp_ne_u64_e32 vcc, 0, v[21:22]
	v_cmp_eq_u32_e64 s[36:37], 0, v98
	s_and_b64 s[38:39], vcc, s[36:37]
	v_add_u32_e32 v101, v91, v100
	ds_write2_b32 v62, v3, v3 offset1:1
	ds_write2_b32 v63, v3, v3 offset1:1
	ds_write_b32 v41, v3 offset:1056
	s_waitcnt vmcnt(0) lgkmcnt(0)
	s_barrier
	; wave barrier
	s_and_saveexec_b64 s[36:37], s[38:39]
; %bb.254:                              ;   in Loop: Header=BB1876_233 Depth=2
	v_bcnt_u32_b32 v4, v21, 0
	v_bcnt_u32_b32 v4, v22, v4
	ds_write_b32 v101, v4 offset:1040
; %bb.255:                              ;   in Loop: Header=BB1876_233 Depth=2
	s_or_b64 exec, exec, s[36:37]
	v_cmp_lt_i16_e32 vcc, -1, v99
	v_cndmask_b32_e32 v4, -1, v65, vcc
	v_xor_b32_e32 v99, v4, v99
	v_cmp_ne_u16_e32 vcc, s62, v99
	v_cndmask_b32_e32 v4, v65, v99, vcc
	v_lshrrev_b32_sdwa v4, s63, v4 dst_sel:DWORD dst_unused:UNUSED_PAD src0_sel:DWORD src1_sel:WORD_0
	v_and_b32_e32 v21, s70, v4
	v_mad_u32_u24 v4, v21, 20, v91
	; wave barrier
	ds_read_b32 v100, v4 offset:1040
	v_and_b32_e32 v4, 1, v21
	v_add_co_u32_e32 v22, vcc, -1, v4
	v_addc_co_u32_e64 v102, s[36:37], 0, -1, vcc
	v_cmp_ne_u32_e32 vcc, 0, v4
	v_xor_b32_e32 v4, vcc_hi, v102
	v_and_b32_e32 v102, exec_hi, v4
	v_lshlrev_b32_e32 v4, 30, v21
	v_xor_b32_e32 v22, vcc_lo, v22
	v_cmp_gt_i64_e32 vcc, 0, v[3:4]
	v_not_b32_e32 v4, v4
	v_ashrrev_i32_e32 v4, 31, v4
	v_and_b32_e32 v22, exec_lo, v22
	v_xor_b32_e32 v105, vcc_hi, v4
	v_xor_b32_e32 v4, vcc_lo, v4
	v_and_b32_e32 v22, v22, v4
	v_lshlrev_b32_e32 v4, 29, v21
	v_cmp_gt_i64_e32 vcc, 0, v[3:4]
	v_not_b32_e32 v4, v4
	v_ashrrev_i32_e32 v4, 31, v4
	v_and_b32_e32 v102, v102, v105
	v_xor_b32_e32 v105, vcc_hi, v4
	v_xor_b32_e32 v4, vcc_lo, v4
	v_and_b32_e32 v22, v22, v4
	v_lshlrev_b32_e32 v4, 28, v21
	v_cmp_gt_i64_e32 vcc, 0, v[3:4]
	v_not_b32_e32 v4, v4
	v_ashrrev_i32_e32 v4, 31, v4
	v_and_b32_e32 v102, v102, v105
	;; [unrolled: 8-line block ×5, first 2 shown]
	v_xor_b32_e32 v105, vcc_hi, v4
	v_xor_b32_e32 v4, vcc_lo, v4
	v_and_b32_e32 v102, v102, v105
	v_and_b32_e32 v105, v22, v4
	v_lshlrev_b32_e32 v4, 24, v21
	v_cmp_gt_i64_e32 vcc, 0, v[3:4]
	v_not_b32_e32 v4, v4
	v_ashrrev_i32_e32 v4, 31, v4
	v_mul_u32_u24_e32 v104, 20, v21
	v_xor_b32_e32 v21, vcc_hi, v4
	v_xor_b32_e32 v4, vcc_lo, v4
	v_and_b32_e32 v22, v102, v21
	v_and_b32_e32 v21, v105, v4
	v_mbcnt_lo_u32_b32 v4, v21, 0
	v_mbcnt_hi_u32_b32 v102, v22, v4
	v_cmp_ne_u64_e32 vcc, 0, v[21:22]
	v_cmp_eq_u32_e64 s[36:37], 0, v102
	s_and_b64 s[38:39], vcc, s[36:37]
	v_add_u32_e32 v105, v91, v104
	; wave barrier
	s_and_saveexec_b64 s[36:37], s[38:39]
	s_cbranch_execz .LBB1876_257
; %bb.256:                              ;   in Loop: Header=BB1876_233 Depth=2
	v_bcnt_u32_b32 v4, v21, 0
	v_bcnt_u32_b32 v4, v22, v4
	s_waitcnt lgkmcnt(0)
	v_add_u32_e32 v4, v100, v4
	ds_write_b32 v105, v4 offset:1040
.LBB1876_257:                           ;   in Loop: Header=BB1876_233 Depth=2
	s_or_b64 exec, exec, s[36:37]
	v_cmp_lt_i16_e32 vcc, -1, v103
	v_cndmask_b32_e32 v4, -1, v65, vcc
	v_xor_b32_e32 v103, v4, v103
	v_cmp_ne_u16_e32 vcc, s62, v103
	v_cndmask_b32_e32 v4, v65, v103, vcc
	v_lshrrev_b32_sdwa v4, s63, v4 dst_sel:DWORD dst_unused:UNUSED_PAD src0_sel:DWORD src1_sel:WORD_0
	v_and_b32_e32 v21, s70, v4
	v_mad_u32_u24 v4, v21, 20, v91
	; wave barrier
	ds_read_b32 v104, v4 offset:1040
	v_and_b32_e32 v4, 1, v21
	v_add_co_u32_e32 v22, vcc, -1, v4
	v_addc_co_u32_e64 v106, s[36:37], 0, -1, vcc
	v_cmp_ne_u32_e32 vcc, 0, v4
	v_xor_b32_e32 v4, vcc_hi, v106
	v_and_b32_e32 v106, exec_hi, v4
	v_lshlrev_b32_e32 v4, 30, v21
	v_xor_b32_e32 v22, vcc_lo, v22
	v_cmp_gt_i64_e32 vcc, 0, v[3:4]
	v_not_b32_e32 v4, v4
	v_ashrrev_i32_e32 v4, 31, v4
	v_and_b32_e32 v22, exec_lo, v22
	v_xor_b32_e32 v110, vcc_hi, v4
	v_xor_b32_e32 v4, vcc_lo, v4
	v_and_b32_e32 v22, v22, v4
	v_lshlrev_b32_e32 v4, 29, v21
	v_cmp_gt_i64_e32 vcc, 0, v[3:4]
	v_not_b32_e32 v4, v4
	v_ashrrev_i32_e32 v4, 31, v4
	v_and_b32_e32 v106, v106, v110
	v_xor_b32_e32 v110, vcc_hi, v4
	v_xor_b32_e32 v4, vcc_lo, v4
	v_and_b32_e32 v22, v22, v4
	v_lshlrev_b32_e32 v4, 28, v21
	v_cmp_gt_i64_e32 vcc, 0, v[3:4]
	v_not_b32_e32 v4, v4
	v_ashrrev_i32_e32 v4, 31, v4
	v_and_b32_e32 v106, v106, v110
	;; [unrolled: 8-line block ×5, first 2 shown]
	v_xor_b32_e32 v110, vcc_hi, v4
	v_xor_b32_e32 v4, vcc_lo, v4
	v_and_b32_e32 v106, v106, v110
	v_and_b32_e32 v110, v22, v4
	v_lshlrev_b32_e32 v4, 24, v21
	v_cmp_gt_i64_e32 vcc, 0, v[3:4]
	v_not_b32_e32 v4, v4
	v_ashrrev_i32_e32 v4, 31, v4
	v_mul_u32_u24_e32 v109, 20, v21
	v_xor_b32_e32 v21, vcc_hi, v4
	v_xor_b32_e32 v4, vcc_lo, v4
	v_and_b32_e32 v22, v106, v21
	v_and_b32_e32 v21, v110, v4
	v_mbcnt_lo_u32_b32 v4, v21, 0
	v_mbcnt_hi_u32_b32 v106, v22, v4
	v_cmp_ne_u64_e32 vcc, 0, v[21:22]
	v_cmp_eq_u32_e64 s[36:37], 0, v106
	s_and_b64 s[38:39], vcc, s[36:37]
	v_add_u32_e32 v110, v91, v109
	; wave barrier
	s_and_saveexec_b64 s[36:37], s[38:39]
	s_cbranch_execz .LBB1876_259
; %bb.258:                              ;   in Loop: Header=BB1876_233 Depth=2
	v_bcnt_u32_b32 v4, v21, 0
	v_bcnt_u32_b32 v4, v22, v4
	s_waitcnt lgkmcnt(0)
	v_add_u32_e32 v4, v104, v4
	ds_write_b32 v110, v4 offset:1040
.LBB1876_259:                           ;   in Loop: Header=BB1876_233 Depth=2
	s_or_b64 exec, exec, s[36:37]
	v_cmp_lt_i16_e32 vcc, -1, v107
	v_cndmask_b32_e32 v4, -1, v65, vcc
	v_xor_b32_e32 v107, v4, v107
	v_cmp_ne_u16_e32 vcc, s62, v107
	v_cndmask_b32_e32 v4, v65, v107, vcc
	v_lshrrev_b32_sdwa v4, s63, v4 dst_sel:DWORD dst_unused:UNUSED_PAD src0_sel:DWORD src1_sel:WORD_0
	v_and_b32_e32 v21, s70, v4
	v_mad_u32_u24 v4, v21, 20, v91
	; wave barrier
	ds_read_b32 v109, v4 offset:1040
	v_and_b32_e32 v4, 1, v21
	v_add_co_u32_e32 v22, vcc, -1, v4
	v_addc_co_u32_e64 v111, s[36:37], 0, -1, vcc
	v_cmp_ne_u32_e32 vcc, 0, v4
	v_xor_b32_e32 v4, vcc_hi, v111
	v_and_b32_e32 v111, exec_hi, v4
	v_lshlrev_b32_e32 v4, 30, v21
	v_xor_b32_e32 v22, vcc_lo, v22
	v_cmp_gt_i64_e32 vcc, 0, v[3:4]
	v_not_b32_e32 v4, v4
	v_ashrrev_i32_e32 v4, 31, v4
	v_and_b32_e32 v22, exec_lo, v22
	v_xor_b32_e32 v114, vcc_hi, v4
	v_xor_b32_e32 v4, vcc_lo, v4
	v_and_b32_e32 v22, v22, v4
	v_lshlrev_b32_e32 v4, 29, v21
	v_cmp_gt_i64_e32 vcc, 0, v[3:4]
	v_not_b32_e32 v4, v4
	v_ashrrev_i32_e32 v4, 31, v4
	v_and_b32_e32 v111, v111, v114
	v_xor_b32_e32 v114, vcc_hi, v4
	v_xor_b32_e32 v4, vcc_lo, v4
	v_and_b32_e32 v22, v22, v4
	v_lshlrev_b32_e32 v4, 28, v21
	v_cmp_gt_i64_e32 vcc, 0, v[3:4]
	v_not_b32_e32 v4, v4
	v_ashrrev_i32_e32 v4, 31, v4
	v_and_b32_e32 v111, v111, v114
	;; [unrolled: 8-line block ×5, first 2 shown]
	v_xor_b32_e32 v114, vcc_hi, v4
	v_xor_b32_e32 v4, vcc_lo, v4
	v_and_b32_e32 v111, v111, v114
	v_and_b32_e32 v114, v22, v4
	v_lshlrev_b32_e32 v4, 24, v21
	v_cmp_gt_i64_e32 vcc, 0, v[3:4]
	v_not_b32_e32 v4, v4
	v_ashrrev_i32_e32 v4, 31, v4
	v_mul_u32_u24_e32 v113, 20, v21
	v_xor_b32_e32 v21, vcc_hi, v4
	v_xor_b32_e32 v4, vcc_lo, v4
	v_and_b32_e32 v22, v111, v21
	v_and_b32_e32 v21, v114, v4
	v_mbcnt_lo_u32_b32 v4, v21, 0
	v_mbcnt_hi_u32_b32 v111, v22, v4
	v_cmp_ne_u64_e32 vcc, 0, v[21:22]
	v_cmp_eq_u32_e64 s[36:37], 0, v111
	s_and_b64 s[38:39], vcc, s[36:37]
	v_add_u32_e32 v114, v91, v113
	; wave barrier
	s_and_saveexec_b64 s[36:37], s[38:39]
	s_cbranch_execz .LBB1876_261
; %bb.260:                              ;   in Loop: Header=BB1876_233 Depth=2
	v_bcnt_u32_b32 v4, v21, 0
	v_bcnt_u32_b32 v4, v22, v4
	s_waitcnt lgkmcnt(0)
	v_add_u32_e32 v4, v109, v4
	ds_write_b32 v114, v4 offset:1040
.LBB1876_261:                           ;   in Loop: Header=BB1876_233 Depth=2
	s_or_b64 exec, exec, s[36:37]
	v_cmp_lt_i16_e32 vcc, -1, v112
	v_cndmask_b32_e32 v4, -1, v65, vcc
	v_xor_b32_e32 v112, v4, v112
	v_cmp_ne_u16_e32 vcc, s62, v112
	v_cndmask_b32_e32 v4, v65, v112, vcc
	v_lshrrev_b32_sdwa v4, s63, v4 dst_sel:DWORD dst_unused:UNUSED_PAD src0_sel:DWORD src1_sel:WORD_0
	v_and_b32_e32 v21, s70, v4
	v_mad_u32_u24 v4, v21, 20, v91
	; wave barrier
	ds_read_b32 v113, v4 offset:1040
	v_and_b32_e32 v4, 1, v21
	v_add_co_u32_e32 v22, vcc, -1, v4
	v_addc_co_u32_e64 v115, s[36:37], 0, -1, vcc
	v_cmp_ne_u32_e32 vcc, 0, v4
	v_xor_b32_e32 v4, vcc_hi, v115
	v_and_b32_e32 v115, exec_hi, v4
	v_lshlrev_b32_e32 v4, 30, v21
	v_xor_b32_e32 v22, vcc_lo, v22
	v_cmp_gt_i64_e32 vcc, 0, v[3:4]
	v_not_b32_e32 v4, v4
	v_ashrrev_i32_e32 v4, 31, v4
	v_and_b32_e32 v22, exec_lo, v22
	v_xor_b32_e32 v117, vcc_hi, v4
	v_xor_b32_e32 v4, vcc_lo, v4
	v_and_b32_e32 v22, v22, v4
	v_lshlrev_b32_e32 v4, 29, v21
	v_cmp_gt_i64_e32 vcc, 0, v[3:4]
	v_not_b32_e32 v4, v4
	v_ashrrev_i32_e32 v4, 31, v4
	v_and_b32_e32 v115, v115, v117
	v_xor_b32_e32 v117, vcc_hi, v4
	v_xor_b32_e32 v4, vcc_lo, v4
	v_and_b32_e32 v22, v22, v4
	v_lshlrev_b32_e32 v4, 28, v21
	v_cmp_gt_i64_e32 vcc, 0, v[3:4]
	v_not_b32_e32 v4, v4
	v_ashrrev_i32_e32 v4, 31, v4
	v_and_b32_e32 v115, v115, v117
	;; [unrolled: 8-line block ×5, first 2 shown]
	v_xor_b32_e32 v117, vcc_hi, v4
	v_xor_b32_e32 v4, vcc_lo, v4
	v_and_b32_e32 v115, v115, v117
	v_and_b32_e32 v117, v22, v4
	v_lshlrev_b32_e32 v4, 24, v21
	v_cmp_gt_i64_e32 vcc, 0, v[3:4]
	v_not_b32_e32 v4, v4
	v_ashrrev_i32_e32 v4, 31, v4
	v_mul_u32_u24_e32 v116, 20, v21
	v_xor_b32_e32 v21, vcc_hi, v4
	v_xor_b32_e32 v4, vcc_lo, v4
	v_and_b32_e32 v22, v115, v21
	v_and_b32_e32 v21, v117, v4
	v_mbcnt_lo_u32_b32 v4, v21, 0
	v_mbcnt_hi_u32_b32 v115, v22, v4
	v_cmp_ne_u64_e32 vcc, 0, v[21:22]
	v_cmp_eq_u32_e64 s[36:37], 0, v115
	s_and_b64 s[38:39], vcc, s[36:37]
	v_add_u32_e32 v118, v91, v116
	; wave barrier
	s_and_saveexec_b64 s[36:37], s[38:39]
	s_cbranch_execz .LBB1876_263
; %bb.262:                              ;   in Loop: Header=BB1876_233 Depth=2
	v_bcnt_u32_b32 v4, v21, 0
	v_bcnt_u32_b32 v4, v22, v4
	s_waitcnt lgkmcnt(0)
	v_add_u32_e32 v4, v113, v4
	ds_write_b32 v118, v4 offset:1040
.LBB1876_263:                           ;   in Loop: Header=BB1876_233 Depth=2
	s_or_b64 exec, exec, s[36:37]
	v_cmp_lt_i16_e32 vcc, -1, v108
	v_cndmask_b32_e32 v4, -1, v65, vcc
	v_xor_b32_e32 v116, v4, v108
	v_cmp_ne_u16_e32 vcc, s62, v116
	v_cndmask_b32_e32 v4, v65, v116, vcc
	v_lshrrev_b32_sdwa v4, s63, v4 dst_sel:DWORD dst_unused:UNUSED_PAD src0_sel:DWORD src1_sel:WORD_0
	v_and_b32_e32 v21, s70, v4
	v_mad_u32_u24 v4, v21, 20, v91
	; wave barrier
	ds_read_b32 v117, v4 offset:1040
	v_and_b32_e32 v4, 1, v21
	v_add_co_u32_e32 v22, vcc, -1, v4
	v_addc_co_u32_e64 v119, s[36:37], 0, -1, vcc
	v_cmp_ne_u32_e32 vcc, 0, v4
	v_xor_b32_e32 v4, vcc_hi, v119
	v_and_b32_e32 v119, exec_hi, v4
	v_lshlrev_b32_e32 v4, 30, v21
	v_xor_b32_e32 v22, vcc_lo, v22
	v_cmp_gt_i64_e32 vcc, 0, v[3:4]
	v_not_b32_e32 v4, v4
	v_ashrrev_i32_e32 v4, 31, v4
	v_and_b32_e32 v22, exec_lo, v22
	v_xor_b32_e32 v120, vcc_hi, v4
	v_xor_b32_e32 v4, vcc_lo, v4
	v_and_b32_e32 v22, v22, v4
	v_lshlrev_b32_e32 v4, 29, v21
	v_cmp_gt_i64_e32 vcc, 0, v[3:4]
	v_not_b32_e32 v4, v4
	v_ashrrev_i32_e32 v4, 31, v4
	v_and_b32_e32 v119, v119, v120
	v_xor_b32_e32 v120, vcc_hi, v4
	v_xor_b32_e32 v4, vcc_lo, v4
	v_and_b32_e32 v22, v22, v4
	v_lshlrev_b32_e32 v4, 28, v21
	v_cmp_gt_i64_e32 vcc, 0, v[3:4]
	v_not_b32_e32 v4, v4
	v_ashrrev_i32_e32 v4, 31, v4
	v_and_b32_e32 v119, v119, v120
	;; [unrolled: 8-line block ×5, first 2 shown]
	v_xor_b32_e32 v120, vcc_hi, v4
	v_xor_b32_e32 v4, vcc_lo, v4
	v_and_b32_e32 v119, v119, v120
	v_and_b32_e32 v120, v22, v4
	v_lshlrev_b32_e32 v4, 24, v21
	v_cmp_gt_i64_e32 vcc, 0, v[3:4]
	v_not_b32_e32 v4, v4
	v_ashrrev_i32_e32 v4, 31, v4
	v_mul_u32_u24_e32 v108, 20, v21
	v_xor_b32_e32 v21, vcc_hi, v4
	v_xor_b32_e32 v4, vcc_lo, v4
	v_and_b32_e32 v22, v119, v21
	v_and_b32_e32 v21, v120, v4
	v_mbcnt_lo_u32_b32 v4, v21, 0
	v_mbcnt_hi_u32_b32 v119, v22, v4
	v_cmp_ne_u64_e32 vcc, 0, v[21:22]
	v_cmp_eq_u32_e64 s[36:37], 0, v119
	s_and_b64 s[38:39], vcc, s[36:37]
	v_add_u32_e32 v108, v91, v108
	; wave barrier
	s_and_saveexec_b64 s[36:37], s[38:39]
	s_cbranch_execz .LBB1876_265
; %bb.264:                              ;   in Loop: Header=BB1876_233 Depth=2
	v_bcnt_u32_b32 v4, v21, 0
	v_bcnt_u32_b32 v4, v22, v4
	s_waitcnt lgkmcnt(0)
	v_add_u32_e32 v4, v117, v4
	ds_write_b32 v108, v4 offset:1040
.LBB1876_265:                           ;   in Loop: Header=BB1876_233 Depth=2
	s_or_b64 exec, exec, s[36:37]
	v_cmp_lt_i16_e32 vcc, -1, v24
	v_cndmask_b32_e32 v4, -1, v65, vcc
	v_xor_b32_e32 v120, v4, v24
	v_cmp_ne_u16_e32 vcc, s62, v120
	v_cndmask_b32_e32 v4, v65, v120, vcc
	v_lshrrev_b32_sdwa v4, s63, v4 dst_sel:DWORD dst_unused:UNUSED_PAD src0_sel:DWORD src1_sel:WORD_0
	v_and_b32_e32 v21, s70, v4
	v_mad_u32_u24 v4, v21, 20, v91
	; wave barrier
	ds_read_b32 v121, v4 offset:1040
	v_and_b32_e32 v4, 1, v21
	v_add_co_u32_e32 v22, vcc, -1, v4
	v_addc_co_u32_e64 v122, s[36:37], 0, -1, vcc
	v_cmp_ne_u32_e32 vcc, 0, v4
	v_xor_b32_e32 v4, vcc_hi, v122
	v_and_b32_e32 v122, exec_hi, v4
	v_lshlrev_b32_e32 v4, 30, v21
	v_xor_b32_e32 v22, vcc_lo, v22
	v_cmp_gt_i64_e32 vcc, 0, v[3:4]
	v_not_b32_e32 v4, v4
	v_ashrrev_i32_e32 v4, 31, v4
	v_and_b32_e32 v22, exec_lo, v22
	v_xor_b32_e32 v123, vcc_hi, v4
	v_xor_b32_e32 v4, vcc_lo, v4
	v_and_b32_e32 v22, v22, v4
	v_lshlrev_b32_e32 v4, 29, v21
	v_cmp_gt_i64_e32 vcc, 0, v[3:4]
	v_not_b32_e32 v4, v4
	v_ashrrev_i32_e32 v4, 31, v4
	v_and_b32_e32 v122, v122, v123
	v_xor_b32_e32 v123, vcc_hi, v4
	v_xor_b32_e32 v4, vcc_lo, v4
	v_and_b32_e32 v22, v22, v4
	v_lshlrev_b32_e32 v4, 28, v21
	v_cmp_gt_i64_e32 vcc, 0, v[3:4]
	v_not_b32_e32 v4, v4
	v_ashrrev_i32_e32 v4, 31, v4
	v_and_b32_e32 v122, v122, v123
	;; [unrolled: 8-line block ×5, first 2 shown]
	v_xor_b32_e32 v123, vcc_hi, v4
	v_xor_b32_e32 v4, vcc_lo, v4
	v_and_b32_e32 v122, v122, v123
	v_and_b32_e32 v123, v22, v4
	v_lshlrev_b32_e32 v4, 24, v21
	v_cmp_gt_i64_e32 vcc, 0, v[3:4]
	v_not_b32_e32 v4, v4
	v_ashrrev_i32_e32 v4, 31, v4
	v_mul_u32_u24_e32 v24, 20, v21
	v_xor_b32_e32 v21, vcc_hi, v4
	v_xor_b32_e32 v4, vcc_lo, v4
	v_and_b32_e32 v22, v122, v21
	v_and_b32_e32 v21, v123, v4
	v_mbcnt_lo_u32_b32 v4, v21, 0
	v_mbcnt_hi_u32_b32 v122, v22, v4
	v_cmp_ne_u64_e32 vcc, 0, v[21:22]
	v_cmp_eq_u32_e64 s[36:37], 0, v122
	s_and_b64 s[38:39], vcc, s[36:37]
	v_add_u32_e32 v125, v91, v24
	; wave barrier
	s_and_saveexec_b64 s[36:37], s[38:39]
	s_cbranch_execz .LBB1876_267
; %bb.266:                              ;   in Loop: Header=BB1876_233 Depth=2
	v_bcnt_u32_b32 v4, v21, 0
	v_bcnt_u32_b32 v4, v22, v4
	s_waitcnt lgkmcnt(0)
	v_add_u32_e32 v4, v121, v4
	ds_write_b32 v125, v4 offset:1040
.LBB1876_267:                           ;   in Loop: Header=BB1876_233 Depth=2
	s_or_b64 exec, exec, s[36:37]
	v_cmp_lt_i16_e32 vcc, -1, v23
	v_cndmask_b32_e32 v4, -1, v65, vcc
	v_xor_b32_e32 v123, v4, v23
	v_cmp_ne_u16_e32 vcc, s62, v123
	v_cndmask_b32_e32 v4, v65, v123, vcc
	v_lshrrev_b32_sdwa v4, s63, v4 dst_sel:DWORD dst_unused:UNUSED_PAD src0_sel:DWORD src1_sel:WORD_0
	v_and_b32_e32 v21, s70, v4
	v_mad_u32_u24 v4, v21, 20, v91
	; wave barrier
	ds_read_b32 v124, v4 offset:1040
	v_and_b32_e32 v4, 1, v21
	v_add_co_u32_e32 v22, vcc, -1, v4
	v_addc_co_u32_e64 v24, s[36:37], 0, -1, vcc
	v_cmp_ne_u32_e32 vcc, 0, v4
	v_xor_b32_e32 v4, vcc_hi, v24
	v_and_b32_e32 v24, exec_hi, v4
	v_lshlrev_b32_e32 v4, 30, v21
	v_xor_b32_e32 v22, vcc_lo, v22
	v_cmp_gt_i64_e32 vcc, 0, v[3:4]
	v_not_b32_e32 v4, v4
	v_ashrrev_i32_e32 v4, 31, v4
	v_and_b32_e32 v22, exec_lo, v22
	v_xor_b32_e32 v126, vcc_hi, v4
	v_xor_b32_e32 v4, vcc_lo, v4
	v_and_b32_e32 v22, v22, v4
	v_lshlrev_b32_e32 v4, 29, v21
	v_cmp_gt_i64_e32 vcc, 0, v[3:4]
	v_not_b32_e32 v4, v4
	v_ashrrev_i32_e32 v4, 31, v4
	v_and_b32_e32 v24, v24, v126
	v_xor_b32_e32 v126, vcc_hi, v4
	v_xor_b32_e32 v4, vcc_lo, v4
	v_and_b32_e32 v22, v22, v4
	v_lshlrev_b32_e32 v4, 28, v21
	v_cmp_gt_i64_e32 vcc, 0, v[3:4]
	v_not_b32_e32 v4, v4
	v_ashrrev_i32_e32 v4, 31, v4
	v_and_b32_e32 v24, v24, v126
	;; [unrolled: 8-line block ×5, first 2 shown]
	v_xor_b32_e32 v126, vcc_hi, v4
	v_xor_b32_e32 v4, vcc_lo, v4
	v_and_b32_e32 v24, v24, v126
	v_and_b32_e32 v126, v22, v4
	v_lshlrev_b32_e32 v4, 24, v21
	v_cmp_gt_i64_e32 vcc, 0, v[3:4]
	v_not_b32_e32 v4, v4
	v_ashrrev_i32_e32 v4, 31, v4
	v_mul_u32_u24_e32 v23, 20, v21
	v_xor_b32_e32 v21, vcc_hi, v4
	v_xor_b32_e32 v4, vcc_lo, v4
	v_and_b32_e32 v22, v24, v21
	v_and_b32_e32 v21, v126, v4
	v_mbcnt_lo_u32_b32 v4, v21, 0
	v_mbcnt_hi_u32_b32 v126, v22, v4
	v_cmp_ne_u64_e32 vcc, 0, v[21:22]
	v_cmp_eq_u32_e64 s[36:37], 0, v126
	s_and_b64 s[38:39], vcc, s[36:37]
	v_add_u32_e32 v4, v91, v23
	; wave barrier
	s_and_saveexec_b64 s[36:37], s[38:39]
	s_cbranch_execz .LBB1876_269
; %bb.268:                              ;   in Loop: Header=BB1876_233 Depth=2
	v_bcnt_u32_b32 v21, v21, 0
	v_bcnt_u32_b32 v21, v22, v21
	s_waitcnt lgkmcnt(0)
	v_add_u32_e32 v21, v124, v21
	ds_write_b32 v4, v21 offset:1040
.LBB1876_269:                           ;   in Loop: Header=BB1876_233 Depth=2
	s_or_b64 exec, exec, s[36:37]
	; wave barrier
	s_waitcnt lgkmcnt(0)
	s_barrier
	ds_read2_b32 v[23:24], v62 offset1:1
	ds_read2_b32 v[21:22], v63 offset1:1
	ds_read_b32 v127, v41 offset:1056
	s_waitcnt lgkmcnt(1)
	v_add3_u32 v128, v24, v23, v21
	s_waitcnt lgkmcnt(0)
	v_add3_u32 v127, v128, v22, v127
	s_nop 1
	v_mov_b32_dpp v128, v127 row_shr:1 row_mask:0xf bank_mask:0xf
	v_cndmask_b32_e64 v128, v128, 0, s[16:17]
	v_add_u32_e32 v127, v128, v127
	s_nop 1
	v_mov_b32_dpp v128, v127 row_shr:2 row_mask:0xf bank_mask:0xf
	v_cndmask_b32_e64 v128, 0, v128, s[18:19]
	v_add_u32_e32 v127, v127, v128
	;; [unrolled: 4-line block ×4, first 2 shown]
	s_nop 1
	v_mov_b32_dpp v128, v127 row_bcast:15 row_mask:0xf bank_mask:0xf
	v_cndmask_b32_e64 v128, v128, 0, s[24:25]
	v_add_u32_e32 v127, v127, v128
	s_nop 1
	v_mov_b32_dpp v128, v127 row_bcast:31 row_mask:0xf bank_mask:0xf
	v_cndmask_b32_e64 v128, 0, v128, s[26:27]
	v_add_u32_e32 v127, v127, v128
	s_and_saveexec_b64 s[36:37], s[6:7]
; %bb.270:                              ;   in Loop: Header=BB1876_233 Depth=2
	ds_write_b32 v37, v127 offset:1024
; %bb.271:                              ;   in Loop: Header=BB1876_233 Depth=2
	s_or_b64 exec, exec, s[36:37]
	s_waitcnt lgkmcnt(0)
	s_barrier
	s_and_saveexec_b64 s[36:37], s[8:9]
	s_cbranch_execz .LBB1876_273
; %bb.272:                              ;   in Loop: Header=BB1876_233 Depth=2
	ds_read_b32 v128, v42 offset:1024
	s_waitcnt lgkmcnt(0)
	s_nop 0
	v_mov_b32_dpp v129, v128 row_shr:1 row_mask:0xf bank_mask:0xf
	v_cndmask_b32_e64 v129, v129, 0, s[30:31]
	v_add_u32_e32 v128, v129, v128
	s_nop 1
	v_mov_b32_dpp v129, v128 row_shr:2 row_mask:0xf bank_mask:0xf
	v_cndmask_b32_e64 v129, 0, v129, s[34:35]
	v_add_u32_e32 v128, v128, v129
	ds_write_b32 v42, v128 offset:1024
.LBB1876_273:                           ;   in Loop: Header=BB1876_233 Depth=2
	s_or_b64 exec, exec, s[36:37]
	v_mov_b32_e32 v128, 0
	s_waitcnt lgkmcnt(0)
	s_barrier
	s_and_saveexec_b64 s[36:37], s[10:11]
; %bb.274:                              ;   in Loop: Header=BB1876_233 Depth=2
	ds_read_b32 v128, v37 offset:1020
; %bb.275:                              ;   in Loop: Header=BB1876_233 Depth=2
	s_or_b64 exec, exec, s[36:37]
	s_waitcnt lgkmcnt(0)
	v_add_u32_e32 v127, v128, v127
	ds_bpermute_b32 v127, v82, v127
	s_waitcnt lgkmcnt(0)
	v_cndmask_b32_e64 v127, v127, v128, s[28:29]
	v_cndmask_b32_e64 v127, v127, 0, s[12:13]
	v_add_u32_e32 v23, v127, v23
	v_add_u32_e32 v24, v23, v24
	;; [unrolled: 1-line block ×4, first 2 shown]
	ds_write2_b32 v62, v127, v23 offset1:1
	ds_write2_b32 v63, v24, v21 offset1:1
	ds_write_b32 v41, v22 offset:1056
	s_waitcnt lgkmcnt(0)
	s_barrier
	ds_read_b32 v21, v101 offset:1040
	ds_read_b32 v22, v105 offset:1040
	;; [unrolled: 1-line block ×9, first 2 shown]
	v_mov_b32_e32 v4, 0x800
	s_and_saveexec_b64 s[36:37], s[14:15]
; %bb.276:                              ;   in Loop: Header=BB1876_233 Depth=2
	ds_read_b32 v4, v41 offset:1060
; %bb.277:                              ;   in Loop: Header=BB1876_233 Depth=2
	s_or_b64 exec, exec, s[36:37]
	s_waitcnt lgkmcnt(0)
	s_barrier
	s_and_saveexec_b64 s[36:37], s[4:5]
	s_cbranch_execz .LBB1876_279
; %bb.278:                              ;   in Loop: Header=BB1876_233 Depth=2
	ds_read_b32 v105, v25
	s_waitcnt lgkmcnt(0)
	v_sub_u32_e32 v101, v105, v101
	ds_write_b32 v25, v101
.LBB1876_279:                           ;   in Loop: Header=BB1876_233 Depth=2
	s_or_b64 exec, exec, s[36:37]
	v_add_u32_e32 v108, v21, v98
	v_add3_u32 v105, v102, v100, v22
	v_lshlrev_b32_e32 v21, 1, v108
	v_add3_u32 v102, v106, v104, v23
	ds_write_b16 v21, v97 offset:1024
	v_lshlrev_b32_e32 v21, 1, v105
	v_add3_u32 v101, v111, v109, v24
	ds_write_b16 v21, v99 offset:1024
	;; [unrolled: 3-line block ×6, first 2 shown]
	v_lshlrev_b32_e32 v21, 1, v24
	ds_write_b16 v21, v120 offset:1024
	v_lshlrev_b32_e32 v21, 1, v23
	v_cmp_lt_u32_e32 vcc, v0, v96
	ds_write_b16 v21, v123 offset:1024
	s_waitcnt lgkmcnt(0)
	s_barrier
	s_and_saveexec_b64 s[38:39], vcc
	s_cbranch_execnz .LBB1876_316
; %bb.280:                              ;   in Loop: Header=BB1876_233 Depth=2
	s_or_b64 exec, exec, s[38:39]
	v_cmp_lt_u32_e64 s[36:37], v26, v96
	s_and_saveexec_b64 s[40:41], s[36:37]
	s_cbranch_execnz .LBB1876_317
.LBB1876_281:                           ;   in Loop: Header=BB1876_233 Depth=2
	s_or_b64 exec, exec, s[40:41]
	v_cmp_lt_u32_e64 s[38:39], v27, v96
	s_and_saveexec_b64 s[42:43], s[38:39]
	s_cbranch_execnz .LBB1876_318
.LBB1876_282:                           ;   in Loop: Header=BB1876_233 Depth=2
	s_or_b64 exec, exec, s[42:43]
	v_cmp_lt_u32_e64 s[40:41], v28, v96
	s_and_saveexec_b64 s[44:45], s[40:41]
	s_cbranch_execnz .LBB1876_319
.LBB1876_283:                           ;   in Loop: Header=BB1876_233 Depth=2
	s_or_b64 exec, exec, s[44:45]
	v_cmp_lt_u32_e64 s[42:43], v31, v96
	s_and_saveexec_b64 s[46:47], s[42:43]
	s_cbranch_execnz .LBB1876_320
.LBB1876_284:                           ;   in Loop: Header=BB1876_233 Depth=2
	s_or_b64 exec, exec, s[46:47]
	v_cmp_lt_u32_e64 s[44:45], v32, v96
	s_and_saveexec_b64 s[48:49], s[44:45]
	s_cbranch_execnz .LBB1876_321
.LBB1876_285:                           ;   in Loop: Header=BB1876_233 Depth=2
	s_or_b64 exec, exec, s[48:49]
	v_cmp_lt_u32_e64 s[46:47], v33, v96
	s_and_saveexec_b64 s[52:53], s[46:47]
	s_cbranch_execnz .LBB1876_322
.LBB1876_286:                           ;   in Loop: Header=BB1876_233 Depth=2
	s_or_b64 exec, exec, s[52:53]
	v_cmp_lt_u32_e64 s[48:49], v34, v96
	s_and_saveexec_b64 s[60:61], s[48:49]
	s_cbranch_execz .LBB1876_288
.LBB1876_287:                           ;   in Loop: Header=BB1876_233 Depth=2
	ds_read_u16 v21, v47 offset:4608
	v_mov_b32_e32 v22, v3
	v_mov_b32_e32 v99, s69
	s_waitcnt lgkmcnt(0)
	v_cmp_ne_u16_e64 s[52:53], s62, v21
	v_cndmask_b32_e64 v97, v65, v21, s[52:53]
	v_lshrrev_b32_sdwa v97, s63, v97 dst_sel:DWORD dst_unused:UNUSED_PAD src0_sel:DWORD src1_sel:WORD_0
	v_and_b32_e32 v97, s70, v97
	v_lshlrev_b32_e32 v97, 2, v97
	ds_read_b32 v97, v97
	v_cmp_lt_i16_e64 s[52:53], -1, v21
	v_cndmask_b32_e64 v103, v65, -1, s[52:53]
	v_xor_b32_e32 v103, v103, v21
	s_waitcnt lgkmcnt(0)
	v_add_u32_e32 v21, v97, v34
	v_lshlrev_b64 v[21:22], 1, v[21:22]
	v_add_co_u32_e64 v21, s[52:53], s68, v21
	v_addc_co_u32_e64 v22, s[52:53], v99, v22, s[52:53]
	global_store_short v[21:22], v103, off
.LBB1876_288:                           ;   in Loop: Header=BB1876_233 Depth=2
	s_or_b64 exec, exec, s[60:61]
	s_lshl_b64 s[52:53], s[58:59], 3
	v_mov_b32_e32 v22, s53
	v_add_co_u32_e64 v21, s[52:53], s52, v83
	v_addc_co_u32_e64 v22, s[52:53], v84, v22, s[52:53]
	v_cmp_lt_u32_e64 s[52:53], v73, v96
	s_and_saveexec_b64 s[60:61], s[52:53]
	s_xor_b64 s[52:53], exec, s[60:61]
	s_cbranch_execnz .LBB1876_323
; %bb.289:                              ;   in Loop: Header=BB1876_233 Depth=2
	s_or_b64 exec, exec, s[52:53]
	v_cmp_lt_u32_e64 s[52:53], v74, v96
	s_and_saveexec_b64 s[60:61], s[52:53]
	s_cbranch_execnz .LBB1876_324
.LBB1876_290:                           ;   in Loop: Header=BB1876_233 Depth=2
	s_or_b64 exec, exec, s[60:61]
	v_cmp_lt_u32_e64 s[52:53], v75, v96
	s_and_saveexec_b64 s[60:61], s[52:53]
	s_cbranch_execnz .LBB1876_325
.LBB1876_291:                           ;   in Loop: Header=BB1876_233 Depth=2
	s_or_b64 exec, exec, s[60:61]
	v_cmp_lt_u32_e64 s[52:53], v76, v96
	s_and_saveexec_b64 s[60:61], s[52:53]
	s_cbranch_execnz .LBB1876_326
.LBB1876_292:                           ;   in Loop: Header=BB1876_233 Depth=2
	s_or_b64 exec, exec, s[60:61]
	v_cmp_lt_u32_e64 s[52:53], v77, v96
	s_and_saveexec_b64 s[60:61], s[52:53]
	s_cbranch_execnz .LBB1876_327
.LBB1876_293:                           ;   in Loop: Header=BB1876_233 Depth=2
	s_or_b64 exec, exec, s[60:61]
	v_cmp_lt_u32_e64 s[52:53], v78, v96
	s_and_saveexec_b64 s[60:61], s[52:53]
	s_cbranch_execnz .LBB1876_328
.LBB1876_294:                           ;   in Loop: Header=BB1876_233 Depth=2
	s_or_b64 exec, exec, s[60:61]
	v_cmp_lt_u32_e64 s[52:53], v79, v96
	s_and_saveexec_b64 s[60:61], s[52:53]
	s_cbranch_execnz .LBB1876_329
.LBB1876_295:                           ;   in Loop: Header=BB1876_233 Depth=2
	s_or_b64 exec, exec, s[60:61]
	v_cmp_lt_u32_e64 s[52:53], v80, v96
	s_and_saveexec_b64 s[60:61], s[52:53]
	s_cbranch_execnz .LBB1876_330
.LBB1876_296:                           ;   in Loop: Header=BB1876_233 Depth=2
	s_or_b64 exec, exec, s[60:61]
	s_and_saveexec_b64 s[60:61], vcc
	s_cbranch_execnz .LBB1876_331
.LBB1876_297:                           ;   in Loop: Header=BB1876_233 Depth=2
	s_or_b64 exec, exec, s[60:61]
	s_and_saveexec_b64 s[60:61], s[36:37]
	s_cbranch_execnz .LBB1876_332
.LBB1876_298:                           ;   in Loop: Header=BB1876_233 Depth=2
	s_or_b64 exec, exec, s[60:61]
	s_and_saveexec_b64 s[60:61], s[38:39]
	s_cbranch_execnz .LBB1876_333
.LBB1876_299:                           ;   in Loop: Header=BB1876_233 Depth=2
	s_or_b64 exec, exec, s[60:61]
	s_and_saveexec_b64 s[60:61], s[40:41]
	s_cbranch_execnz .LBB1876_334
.LBB1876_300:                           ;   in Loop: Header=BB1876_233 Depth=2
	s_or_b64 exec, exec, s[60:61]
	s_and_saveexec_b64 s[60:61], s[42:43]
	s_cbranch_execnz .LBB1876_335
.LBB1876_301:                           ;   in Loop: Header=BB1876_233 Depth=2
	s_or_b64 exec, exec, s[60:61]
	s_and_saveexec_b64 s[60:61], s[44:45]
	s_cbranch_execnz .LBB1876_336
.LBB1876_302:                           ;   in Loop: Header=BB1876_233 Depth=2
	s_or_b64 exec, exec, s[60:61]
	s_and_saveexec_b64 s[60:61], s[46:47]
	s_cbranch_execnz .LBB1876_337
.LBB1876_303:                           ;   in Loop: Header=BB1876_233 Depth=2
	s_or_b64 exec, exec, s[60:61]
	s_and_saveexec_b64 s[60:61], s[48:49]
	s_cbranch_execz .LBB1876_305
.LBB1876_304:                           ;   in Loop: Header=BB1876_233 Depth=2
	ds_read_u16 v21, v47 offset:4608
	s_waitcnt lgkmcnt(0)
	v_cmp_ne_u16_e64 s[52:53], s62, v21
	v_cndmask_b32_e64 v21, v65, v21, s[52:53]
	v_lshrrev_b32_sdwa v21, s63, v21 dst_sel:DWORD dst_unused:UNUSED_PAD src0_sel:DWORD src1_sel:WORD_0
	v_and_b32_e32 v87, s70, v21
.LBB1876_305:                           ;   in Loop: Header=BB1876_233 Depth=2
	s_or_b64 exec, exec, s[60:61]
	v_lshlrev_b32_e32 v21, 3, v108
	s_waitcnt vmcnt(0)
	s_barrier
	ds_write_b64 v21, v[19:20] offset:1024
	v_lshlrev_b32_e32 v21, 3, v105
	ds_write_b64 v21, v[17:18] offset:1024
	v_lshlrev_b32_e32 v21, 3, v102
	;; [unrolled: 2-line block ×7, first 2 shown]
	ds_write_b64 v21, v[5:6] offset:1024
	s_waitcnt lgkmcnt(0)
	s_barrier
	s_and_saveexec_b64 s[52:53], vcc
	s_cbranch_execnz .LBB1876_338
; %bb.306:                              ;   in Loop: Header=BB1876_233 Depth=2
	s_or_b64 exec, exec, s[52:53]
	s_and_saveexec_b64 s[52:53], s[36:37]
	s_cbranch_execnz .LBB1876_339
.LBB1876_307:                           ;   in Loop: Header=BB1876_233 Depth=2
	s_or_b64 exec, exec, s[52:53]
	s_and_saveexec_b64 s[36:37], s[38:39]
	s_cbranch_execnz .LBB1876_340
.LBB1876_308:                           ;   in Loop: Header=BB1876_233 Depth=2
	s_or_b64 exec, exec, s[36:37]
	s_and_saveexec_b64 s[36:37], s[40:41]
	s_cbranch_execnz .LBB1876_341
.LBB1876_309:                           ;   in Loop: Header=BB1876_233 Depth=2
	s_or_b64 exec, exec, s[36:37]
	s_and_saveexec_b64 s[36:37], s[42:43]
	s_cbranch_execnz .LBB1876_342
.LBB1876_310:                           ;   in Loop: Header=BB1876_233 Depth=2
	s_or_b64 exec, exec, s[36:37]
	s_and_saveexec_b64 s[36:37], s[44:45]
	s_cbranch_execnz .LBB1876_343
.LBB1876_311:                           ;   in Loop: Header=BB1876_233 Depth=2
	s_or_b64 exec, exec, s[36:37]
	s_and_saveexec_b64 s[36:37], s[46:47]
	s_cbranch_execnz .LBB1876_344
.LBB1876_312:                           ;   in Loop: Header=BB1876_233 Depth=2
	s_or_b64 exec, exec, s[36:37]
	s_and_saveexec_b64 s[36:37], s[48:49]
	s_cbranch_execz .LBB1876_314
.LBB1876_313:                           ;   in Loop: Header=BB1876_233 Depth=2
	v_lshlrev_b32_e32 v21, 2, v87
	ds_read_b32 v23, v21
	v_add_u32_e32 v21, v47, v48
	ds_read_b64 v[21:22], v21 offset:15360
	v_mov_b32_e32 v24, v3
	v_mov_b32_e32 v96, s75
	s_waitcnt lgkmcnt(1)
	v_add_u32_e32 v23, v23, v34
	v_lshlrev_b64 v[23:24], 3, v[23:24]
	v_add_co_u32_e32 v23, vcc, s74, v23
	v_addc_co_u32_e32 v24, vcc, v96, v24, vcc
	s_waitcnt lgkmcnt(0)
	global_store_dwordx2 v[23:24], v[21:22], off
.LBB1876_314:                           ;   in Loop: Header=BB1876_233 Depth=2
	s_or_b64 exec, exec, s[36:37]
	s_waitcnt vmcnt(0)
	s_barrier
	s_and_saveexec_b64 s[36:37], s[4:5]
	s_cbranch_execz .LBB1876_232
; %bb.315:                              ;   in Loop: Header=BB1876_233 Depth=2
	ds_read_b32 v21, v25
	s_waitcnt lgkmcnt(0)
	v_add_u32_e32 v4, v21, v4
	ds_write_b32 v25, v4
	s_branch .LBB1876_232
.LBB1876_316:                           ;   in Loop: Header=BB1876_233 Depth=2
	ds_read_u16 v21, v47 offset:1024
	v_mov_b32_e32 v22, v3
	v_mov_b32_e32 v99, s69
	s_waitcnt lgkmcnt(0)
	v_cmp_ne_u16_e64 s[36:37], s62, v21
	v_cndmask_b32_e64 v97, v65, v21, s[36:37]
	v_lshrrev_b32_sdwa v97, s63, v97 dst_sel:DWORD dst_unused:UNUSED_PAD src0_sel:DWORD src1_sel:WORD_0
	v_and_b32_e32 v97, s70, v97
	v_lshlrev_b32_e32 v97, 2, v97
	ds_read_b32 v97, v97
	v_cmp_lt_i16_e64 s[36:37], -1, v21
	v_cndmask_b32_e64 v103, v65, -1, s[36:37]
	v_xor_b32_e32 v103, v103, v21
	s_waitcnt lgkmcnt(0)
	v_add_u32_e32 v21, v97, v0
	v_lshlrev_b64 v[21:22], 1, v[21:22]
	v_add_co_u32_e64 v21, s[36:37], s68, v21
	v_addc_co_u32_e64 v22, s[36:37], v99, v22, s[36:37]
	global_store_short v[21:22], v103, off
	s_or_b64 exec, exec, s[38:39]
	v_cmp_lt_u32_e64 s[36:37], v26, v96
	s_and_saveexec_b64 s[40:41], s[36:37]
	s_cbranch_execz .LBB1876_281
.LBB1876_317:                           ;   in Loop: Header=BB1876_233 Depth=2
	ds_read_u16 v21, v47 offset:1536
	v_mov_b32_e32 v22, v3
	v_mov_b32_e32 v99, s69
	s_waitcnt lgkmcnt(0)
	v_cmp_ne_u16_e64 s[38:39], s62, v21
	v_cndmask_b32_e64 v97, v65, v21, s[38:39]
	v_lshrrev_b32_sdwa v97, s63, v97 dst_sel:DWORD dst_unused:UNUSED_PAD src0_sel:DWORD src1_sel:WORD_0
	v_and_b32_e32 v97, s70, v97
	v_lshlrev_b32_e32 v97, 2, v97
	ds_read_b32 v97, v97
	v_cmp_lt_i16_e64 s[38:39], -1, v21
	v_cndmask_b32_e64 v103, v65, -1, s[38:39]
	v_xor_b32_e32 v103, v103, v21
	s_waitcnt lgkmcnt(0)
	v_add_u32_e32 v21, v97, v26
	v_lshlrev_b64 v[21:22], 1, v[21:22]
	v_add_co_u32_e64 v21, s[38:39], s68, v21
	v_addc_co_u32_e64 v22, s[38:39], v99, v22, s[38:39]
	global_store_short v[21:22], v103, off
	s_or_b64 exec, exec, s[40:41]
	v_cmp_lt_u32_e64 s[38:39], v27, v96
	s_and_saveexec_b64 s[42:43], s[38:39]
	s_cbranch_execz .LBB1876_282
.LBB1876_318:                           ;   in Loop: Header=BB1876_233 Depth=2
	ds_read_u16 v21, v47 offset:2048
	v_mov_b32_e32 v22, v3
	v_mov_b32_e32 v99, s69
	s_waitcnt lgkmcnt(0)
	v_cmp_ne_u16_e64 s[40:41], s62, v21
	v_cndmask_b32_e64 v97, v65, v21, s[40:41]
	v_lshrrev_b32_sdwa v97, s63, v97 dst_sel:DWORD dst_unused:UNUSED_PAD src0_sel:DWORD src1_sel:WORD_0
	v_and_b32_e32 v97, s70, v97
	v_lshlrev_b32_e32 v97, 2, v97
	ds_read_b32 v97, v97
	v_cmp_lt_i16_e64 s[40:41], -1, v21
	v_cndmask_b32_e64 v103, v65, -1, s[40:41]
	v_xor_b32_e32 v103, v103, v21
	s_waitcnt lgkmcnt(0)
	v_add_u32_e32 v21, v97, v27
	v_lshlrev_b64 v[21:22], 1, v[21:22]
	v_add_co_u32_e64 v21, s[40:41], s68, v21
	v_addc_co_u32_e64 v22, s[40:41], v99, v22, s[40:41]
	global_store_short v[21:22], v103, off
	s_or_b64 exec, exec, s[42:43]
	v_cmp_lt_u32_e64 s[40:41], v28, v96
	s_and_saveexec_b64 s[44:45], s[40:41]
	s_cbranch_execz .LBB1876_283
.LBB1876_319:                           ;   in Loop: Header=BB1876_233 Depth=2
	ds_read_u16 v21, v47 offset:2560
	v_mov_b32_e32 v22, v3
	v_mov_b32_e32 v99, s69
	s_waitcnt lgkmcnt(0)
	v_cmp_ne_u16_e64 s[42:43], s62, v21
	v_cndmask_b32_e64 v97, v65, v21, s[42:43]
	v_lshrrev_b32_sdwa v97, s63, v97 dst_sel:DWORD dst_unused:UNUSED_PAD src0_sel:DWORD src1_sel:WORD_0
	v_and_b32_e32 v97, s70, v97
	v_lshlrev_b32_e32 v97, 2, v97
	ds_read_b32 v97, v97
	v_cmp_lt_i16_e64 s[42:43], -1, v21
	v_cndmask_b32_e64 v103, v65, -1, s[42:43]
	v_xor_b32_e32 v103, v103, v21
	s_waitcnt lgkmcnt(0)
	v_add_u32_e32 v21, v97, v28
	v_lshlrev_b64 v[21:22], 1, v[21:22]
	v_add_co_u32_e64 v21, s[42:43], s68, v21
	v_addc_co_u32_e64 v22, s[42:43], v99, v22, s[42:43]
	global_store_short v[21:22], v103, off
	s_or_b64 exec, exec, s[44:45]
	v_cmp_lt_u32_e64 s[42:43], v31, v96
	s_and_saveexec_b64 s[46:47], s[42:43]
	s_cbranch_execz .LBB1876_284
.LBB1876_320:                           ;   in Loop: Header=BB1876_233 Depth=2
	ds_read_u16 v21, v47 offset:3072
	v_mov_b32_e32 v22, v3
	v_mov_b32_e32 v99, s69
	s_waitcnt lgkmcnt(0)
	v_cmp_ne_u16_e64 s[44:45], s62, v21
	v_cndmask_b32_e64 v97, v65, v21, s[44:45]
	v_lshrrev_b32_sdwa v97, s63, v97 dst_sel:DWORD dst_unused:UNUSED_PAD src0_sel:DWORD src1_sel:WORD_0
	v_and_b32_e32 v97, s70, v97
	v_lshlrev_b32_e32 v97, 2, v97
	ds_read_b32 v97, v97
	v_cmp_lt_i16_e64 s[44:45], -1, v21
	v_cndmask_b32_e64 v103, v65, -1, s[44:45]
	v_xor_b32_e32 v103, v103, v21
	s_waitcnt lgkmcnt(0)
	v_add_u32_e32 v21, v97, v31
	v_lshlrev_b64 v[21:22], 1, v[21:22]
	v_add_co_u32_e64 v21, s[44:45], s68, v21
	v_addc_co_u32_e64 v22, s[44:45], v99, v22, s[44:45]
	global_store_short v[21:22], v103, off
	s_or_b64 exec, exec, s[46:47]
	v_cmp_lt_u32_e64 s[44:45], v32, v96
	s_and_saveexec_b64 s[48:49], s[44:45]
	s_cbranch_execz .LBB1876_285
.LBB1876_321:                           ;   in Loop: Header=BB1876_233 Depth=2
	ds_read_u16 v21, v47 offset:3584
	v_mov_b32_e32 v22, v3
	v_mov_b32_e32 v99, s69
	s_waitcnt lgkmcnt(0)
	v_cmp_ne_u16_e64 s[46:47], s62, v21
	v_cndmask_b32_e64 v97, v65, v21, s[46:47]
	v_lshrrev_b32_sdwa v97, s63, v97 dst_sel:DWORD dst_unused:UNUSED_PAD src0_sel:DWORD src1_sel:WORD_0
	v_and_b32_e32 v97, s70, v97
	v_lshlrev_b32_e32 v97, 2, v97
	ds_read_b32 v97, v97
	v_cmp_lt_i16_e64 s[46:47], -1, v21
	v_cndmask_b32_e64 v103, v65, -1, s[46:47]
	v_xor_b32_e32 v103, v103, v21
	s_waitcnt lgkmcnt(0)
	v_add_u32_e32 v21, v97, v32
	v_lshlrev_b64 v[21:22], 1, v[21:22]
	v_add_co_u32_e64 v21, s[46:47], s68, v21
	v_addc_co_u32_e64 v22, s[46:47], v99, v22, s[46:47]
	global_store_short v[21:22], v103, off
	s_or_b64 exec, exec, s[48:49]
	v_cmp_lt_u32_e64 s[46:47], v33, v96
	s_and_saveexec_b64 s[52:53], s[46:47]
	s_cbranch_execz .LBB1876_286
.LBB1876_322:                           ;   in Loop: Header=BB1876_233 Depth=2
	ds_read_u16 v21, v47 offset:4096
	v_mov_b32_e32 v22, v3
	v_mov_b32_e32 v99, s69
	s_waitcnt lgkmcnt(0)
	v_cmp_ne_u16_e64 s[48:49], s62, v21
	v_cndmask_b32_e64 v97, v65, v21, s[48:49]
	v_lshrrev_b32_sdwa v97, s63, v97 dst_sel:DWORD dst_unused:UNUSED_PAD src0_sel:DWORD src1_sel:WORD_0
	v_and_b32_e32 v97, s70, v97
	v_lshlrev_b32_e32 v97, 2, v97
	ds_read_b32 v97, v97
	v_cmp_lt_i16_e64 s[48:49], -1, v21
	v_cndmask_b32_e64 v103, v65, -1, s[48:49]
	v_xor_b32_e32 v103, v103, v21
	s_waitcnt lgkmcnt(0)
	v_add_u32_e32 v21, v97, v33
	v_lshlrev_b64 v[21:22], 1, v[21:22]
	v_add_co_u32_e64 v21, s[48:49], s68, v21
	v_addc_co_u32_e64 v22, s[48:49], v99, v22, s[48:49]
	global_store_short v[21:22], v103, off
	s_or_b64 exec, exec, s[52:53]
	v_cmp_lt_u32_e64 s[48:49], v34, v96
	s_and_saveexec_b64 s[60:61], s[48:49]
	s_cbranch_execnz .LBB1876_287
	s_branch .LBB1876_288
.LBB1876_323:                           ;   in Loop: Header=BB1876_233 Depth=2
	global_load_dwordx2 v[19:20], v[21:22], off
	s_or_b64 exec, exec, s[52:53]
	v_cmp_lt_u32_e64 s[52:53], v74, v96
	s_and_saveexec_b64 s[60:61], s[52:53]
	s_cbranch_execz .LBB1876_290
.LBB1876_324:                           ;   in Loop: Header=BB1876_233 Depth=2
	global_load_dwordx2 v[17:18], v[21:22], off offset:512
	s_or_b64 exec, exec, s[60:61]
	v_cmp_lt_u32_e64 s[52:53], v75, v96
	s_and_saveexec_b64 s[60:61], s[52:53]
	s_cbranch_execz .LBB1876_291
.LBB1876_325:                           ;   in Loop: Header=BB1876_233 Depth=2
	global_load_dwordx2 v[15:16], v[21:22], off offset:1024
	s_or_b64 exec, exec, s[60:61]
	v_cmp_lt_u32_e64 s[52:53], v76, v96
	s_and_saveexec_b64 s[60:61], s[52:53]
	s_cbranch_execz .LBB1876_292
.LBB1876_326:                           ;   in Loop: Header=BB1876_233 Depth=2
	global_load_dwordx2 v[13:14], v[21:22], off offset:1536
	s_or_b64 exec, exec, s[60:61]
	v_cmp_lt_u32_e64 s[52:53], v77, v96
	s_and_saveexec_b64 s[60:61], s[52:53]
	s_cbranch_execz .LBB1876_293
.LBB1876_327:                           ;   in Loop: Header=BB1876_233 Depth=2
	global_load_dwordx2 v[11:12], v[21:22], off offset:2048
	s_or_b64 exec, exec, s[60:61]
	v_cmp_lt_u32_e64 s[52:53], v78, v96
	s_and_saveexec_b64 s[60:61], s[52:53]
	s_cbranch_execz .LBB1876_294
.LBB1876_328:                           ;   in Loop: Header=BB1876_233 Depth=2
	global_load_dwordx2 v[9:10], v[21:22], off offset:2560
	s_or_b64 exec, exec, s[60:61]
	v_cmp_lt_u32_e64 s[52:53], v79, v96
	s_and_saveexec_b64 s[60:61], s[52:53]
	s_cbranch_execz .LBB1876_295
.LBB1876_329:                           ;   in Loop: Header=BB1876_233 Depth=2
	global_load_dwordx2 v[7:8], v[21:22], off offset:3072
	s_or_b64 exec, exec, s[60:61]
	v_cmp_lt_u32_e64 s[52:53], v80, v96
	s_and_saveexec_b64 s[60:61], s[52:53]
	s_cbranch_execz .LBB1876_296
.LBB1876_330:                           ;   in Loop: Header=BB1876_233 Depth=2
	global_load_dwordx2 v[5:6], v[21:22], off offset:3584
	s_or_b64 exec, exec, s[60:61]
	s_and_saveexec_b64 s[60:61], vcc
	s_cbranch_execz .LBB1876_297
.LBB1876_331:                           ;   in Loop: Header=BB1876_233 Depth=2
	ds_read_u16 v21, v47 offset:1024
	s_waitcnt lgkmcnt(0)
	v_cmp_ne_u16_e64 s[52:53], s62, v21
	v_cndmask_b32_e64 v21, v65, v21, s[52:53]
	v_lshrrev_b32_sdwa v21, s63, v21 dst_sel:DWORD dst_unused:UNUSED_PAD src0_sel:DWORD src1_sel:WORD_0
	v_and_b32_e32 v95, s70, v21
	s_or_b64 exec, exec, s[60:61]
	s_and_saveexec_b64 s[60:61], s[36:37]
	s_cbranch_execz .LBB1876_298
.LBB1876_332:                           ;   in Loop: Header=BB1876_233 Depth=2
	ds_read_u16 v21, v47 offset:1536
	s_waitcnt lgkmcnt(0)
	v_cmp_ne_u16_e64 s[52:53], s62, v21
	v_cndmask_b32_e64 v21, v65, v21, s[52:53]
	v_lshrrev_b32_sdwa v21, s63, v21 dst_sel:DWORD dst_unused:UNUSED_PAD src0_sel:DWORD src1_sel:WORD_0
	v_and_b32_e32 v94, s70, v21
	s_or_b64 exec, exec, s[60:61]
	s_and_saveexec_b64 s[60:61], s[38:39]
	s_cbranch_execz .LBB1876_299
.LBB1876_333:                           ;   in Loop: Header=BB1876_233 Depth=2
	ds_read_u16 v21, v47 offset:2048
	s_waitcnt lgkmcnt(0)
	v_cmp_ne_u16_e64 s[52:53], s62, v21
	v_cndmask_b32_e64 v21, v65, v21, s[52:53]
	v_lshrrev_b32_sdwa v21, s63, v21 dst_sel:DWORD dst_unused:UNUSED_PAD src0_sel:DWORD src1_sel:WORD_0
	v_and_b32_e32 v93, s70, v21
	s_or_b64 exec, exec, s[60:61]
	s_and_saveexec_b64 s[60:61], s[40:41]
	s_cbranch_execz .LBB1876_300
.LBB1876_334:                           ;   in Loop: Header=BB1876_233 Depth=2
	ds_read_u16 v21, v47 offset:2560
	s_waitcnt lgkmcnt(0)
	v_cmp_ne_u16_e64 s[52:53], s62, v21
	v_cndmask_b32_e64 v21, v65, v21, s[52:53]
	v_lshrrev_b32_sdwa v21, s63, v21 dst_sel:DWORD dst_unused:UNUSED_PAD src0_sel:DWORD src1_sel:WORD_0
	v_and_b32_e32 v92, s70, v21
	s_or_b64 exec, exec, s[60:61]
	s_and_saveexec_b64 s[60:61], s[42:43]
	s_cbranch_execz .LBB1876_301
.LBB1876_335:                           ;   in Loop: Header=BB1876_233 Depth=2
	ds_read_u16 v21, v47 offset:3072
	s_waitcnt lgkmcnt(0)
	v_cmp_ne_u16_e64 s[52:53], s62, v21
	v_cndmask_b32_e64 v21, v65, v21, s[52:53]
	v_lshrrev_b32_sdwa v21, s63, v21 dst_sel:DWORD dst_unused:UNUSED_PAD src0_sel:DWORD src1_sel:WORD_0
	v_and_b32_e32 v90, s70, v21
	s_or_b64 exec, exec, s[60:61]
	s_and_saveexec_b64 s[60:61], s[44:45]
	s_cbranch_execz .LBB1876_302
.LBB1876_336:                           ;   in Loop: Header=BB1876_233 Depth=2
	ds_read_u16 v21, v47 offset:3584
	s_waitcnt lgkmcnt(0)
	v_cmp_ne_u16_e64 s[52:53], s62, v21
	v_cndmask_b32_e64 v21, v65, v21, s[52:53]
	v_lshrrev_b32_sdwa v21, s63, v21 dst_sel:DWORD dst_unused:UNUSED_PAD src0_sel:DWORD src1_sel:WORD_0
	v_and_b32_e32 v89, s70, v21
	s_or_b64 exec, exec, s[60:61]
	s_and_saveexec_b64 s[60:61], s[46:47]
	s_cbranch_execz .LBB1876_303
.LBB1876_337:                           ;   in Loop: Header=BB1876_233 Depth=2
	ds_read_u16 v21, v47 offset:4096
	s_waitcnt lgkmcnt(0)
	v_cmp_ne_u16_e64 s[52:53], s62, v21
	v_cndmask_b32_e64 v21, v65, v21, s[52:53]
	v_lshrrev_b32_sdwa v21, s63, v21 dst_sel:DWORD dst_unused:UNUSED_PAD src0_sel:DWORD src1_sel:WORD_0
	v_and_b32_e32 v88, s70, v21
	s_or_b64 exec, exec, s[60:61]
	s_and_saveexec_b64 s[60:61], s[48:49]
	s_cbranch_execnz .LBB1876_304
	s_branch .LBB1876_305
.LBB1876_338:                           ;   in Loop: Header=BB1876_233 Depth=2
	v_lshlrev_b32_e32 v21, 2, v95
	ds_read_b32 v23, v21
	v_add_u32_e32 v21, v47, v48
	ds_read_b64 v[21:22], v21 offset:1024
	v_mov_b32_e32 v24, v3
	v_mov_b32_e32 v96, s75
	s_waitcnt lgkmcnt(1)
	v_add_u32_e32 v23, v23, v0
	v_lshlrev_b64 v[23:24], 3, v[23:24]
	v_add_co_u32_e32 v23, vcc, s74, v23
	v_addc_co_u32_e32 v24, vcc, v96, v24, vcc
	s_waitcnt lgkmcnt(0)
	global_store_dwordx2 v[23:24], v[21:22], off
	s_or_b64 exec, exec, s[52:53]
	s_and_saveexec_b64 s[52:53], s[36:37]
	s_cbranch_execz .LBB1876_307
.LBB1876_339:                           ;   in Loop: Header=BB1876_233 Depth=2
	v_lshlrev_b32_e32 v21, 2, v94
	ds_read_b32 v23, v21
	v_add_u32_e32 v21, v47, v48
	ds_read_b64 v[21:22], v21 offset:3072
	v_mov_b32_e32 v24, v3
	v_mov_b32_e32 v96, s75
	s_waitcnt lgkmcnt(1)
	v_add_u32_e32 v23, v23, v26
	v_lshlrev_b64 v[23:24], 3, v[23:24]
	v_add_co_u32_e32 v23, vcc, s74, v23
	v_addc_co_u32_e32 v24, vcc, v96, v24, vcc
	s_waitcnt lgkmcnt(0)
	global_store_dwordx2 v[23:24], v[21:22], off
	s_or_b64 exec, exec, s[52:53]
	s_and_saveexec_b64 s[36:37], s[38:39]
	s_cbranch_execz .LBB1876_308
.LBB1876_340:                           ;   in Loop: Header=BB1876_233 Depth=2
	v_lshlrev_b32_e32 v21, 2, v93
	ds_read_b32 v23, v21
	v_add_u32_e32 v21, v47, v48
	ds_read_b64 v[21:22], v21 offset:5120
	v_mov_b32_e32 v24, v3
	v_mov_b32_e32 v96, s75
	s_waitcnt lgkmcnt(1)
	v_add_u32_e32 v23, v23, v27
	v_lshlrev_b64 v[23:24], 3, v[23:24]
	v_add_co_u32_e32 v23, vcc, s74, v23
	v_addc_co_u32_e32 v24, vcc, v96, v24, vcc
	s_waitcnt lgkmcnt(0)
	global_store_dwordx2 v[23:24], v[21:22], off
	s_or_b64 exec, exec, s[36:37]
	s_and_saveexec_b64 s[36:37], s[40:41]
	s_cbranch_execz .LBB1876_309
.LBB1876_341:                           ;   in Loop: Header=BB1876_233 Depth=2
	v_lshlrev_b32_e32 v21, 2, v92
	ds_read_b32 v23, v21
	v_add_u32_e32 v21, v47, v48
	ds_read_b64 v[21:22], v21 offset:7168
	v_mov_b32_e32 v24, v3
	v_mov_b32_e32 v96, s75
	s_waitcnt lgkmcnt(1)
	v_add_u32_e32 v23, v23, v28
	v_lshlrev_b64 v[23:24], 3, v[23:24]
	v_add_co_u32_e32 v23, vcc, s74, v23
	v_addc_co_u32_e32 v24, vcc, v96, v24, vcc
	s_waitcnt lgkmcnt(0)
	global_store_dwordx2 v[23:24], v[21:22], off
	s_or_b64 exec, exec, s[36:37]
	s_and_saveexec_b64 s[36:37], s[42:43]
	s_cbranch_execz .LBB1876_310
.LBB1876_342:                           ;   in Loop: Header=BB1876_233 Depth=2
	v_lshlrev_b32_e32 v21, 2, v90
	ds_read_b32 v23, v21
	v_add_u32_e32 v21, v47, v48
	ds_read_b64 v[21:22], v21 offset:9216
	v_mov_b32_e32 v24, v3
	v_mov_b32_e32 v96, s75
	s_waitcnt lgkmcnt(1)
	v_add_u32_e32 v23, v23, v31
	v_lshlrev_b64 v[23:24], 3, v[23:24]
	v_add_co_u32_e32 v23, vcc, s74, v23
	v_addc_co_u32_e32 v24, vcc, v96, v24, vcc
	s_waitcnt lgkmcnt(0)
	global_store_dwordx2 v[23:24], v[21:22], off
	s_or_b64 exec, exec, s[36:37]
	s_and_saveexec_b64 s[36:37], s[44:45]
	s_cbranch_execz .LBB1876_311
.LBB1876_343:                           ;   in Loop: Header=BB1876_233 Depth=2
	v_lshlrev_b32_e32 v21, 2, v89
	ds_read_b32 v23, v21
	v_add_u32_e32 v21, v47, v48
	ds_read_b64 v[21:22], v21 offset:11264
	v_mov_b32_e32 v24, v3
	v_mov_b32_e32 v96, s75
	s_waitcnt lgkmcnt(1)
	v_add_u32_e32 v23, v23, v32
	v_lshlrev_b64 v[23:24], 3, v[23:24]
	v_add_co_u32_e32 v23, vcc, s74, v23
	v_addc_co_u32_e32 v24, vcc, v96, v24, vcc
	s_waitcnt lgkmcnt(0)
	global_store_dwordx2 v[23:24], v[21:22], off
	s_or_b64 exec, exec, s[36:37]
	s_and_saveexec_b64 s[36:37], s[46:47]
	s_cbranch_execz .LBB1876_312
.LBB1876_344:                           ;   in Loop: Header=BB1876_233 Depth=2
	v_lshlrev_b32_e32 v21, 2, v88
	ds_read_b32 v23, v21
	v_add_u32_e32 v21, v47, v48
	ds_read_b64 v[21:22], v21 offset:13312
	v_mov_b32_e32 v24, v3
	v_mov_b32_e32 v96, s75
	s_waitcnt lgkmcnt(1)
	v_add_u32_e32 v23, v23, v33
	v_lshlrev_b64 v[23:24], 3, v[23:24]
	v_add_co_u32_e32 v23, vcc, s74, v23
	v_addc_co_u32_e32 v24, vcc, v96, v24, vcc
	s_waitcnt lgkmcnt(0)
	global_store_dwordx2 v[23:24], v[21:22], off
	s_or_b64 exec, exec, s[36:37]
	s_and_saveexec_b64 s[36:37], s[48:49]
	s_cbranch_execnz .LBB1876_313
	s_branch .LBB1876_314
.LBB1876_345:                           ;   in Loop: Header=BB1876_17 Depth=1
	s_waitcnt lgkmcnt(0)
	s_barrier
.LBB1876_346:                           ;   in Loop: Header=BB1876_17 Depth=1
	s_mov_b64 s[16:17], 0
.LBB1876_347:                           ;   in Loop: Header=BB1876_17 Depth=1
	s_andn2_b64 vcc, exec, s[16:17]
	s_cbranch_vccnz .LBB1876_16
; %bb.348:                              ;   in Loop: Header=BB1876_17 Depth=1
	s_mov_b64 s[16:17], -1
	s_and_b64 vcc, exec, s[54:55]
	s_cbranch_vccz .LBB1876_512
; %bb.349:                              ;   in Loop: Header=BB1876_17 Depth=1
	s_mov_b32 s20, s79
	s_mov_b32 s58, s51
	s_barrier
                                        ; implicit-def: $vgpr4
                                        ; implicit-def: $vgpr5
                                        ; implicit-def: $vgpr6
                                        ; implicit-def: $vgpr7
                                        ; implicit-def: $vgpr8
                                        ; implicit-def: $vgpr9
                                        ; implicit-def: $vgpr10
                                        ; implicit-def: $vgpr11
	s_branch .LBB1876_351
.LBB1876_350:                           ;   in Loop: Header=BB1876_351 Depth=2
	s_or_b64 exec, exec, s[16:17]
	s_addk_i32 s20, 0xf800
	s_cmp_ge_u32 s21, s80
	s_mov_b32 s58, s21
	s_cbranch_scc1 .LBB1876_387
.LBB1876_351:                           ;   Parent Loop BB1876_17 Depth=1
                                        ; =>  This Inner Loop Header: Depth=2
	s_add_i32 s21, s58, 0x800
	s_cmp_gt_u32 s21, s80
	s_mov_b64 s[16:17], -1
                                        ; implicit-def: $vgpr12
                                        ; implicit-def: $vgpr13
                                        ; implicit-def: $vgpr14
                                        ; implicit-def: $vgpr15
                                        ; implicit-def: $vgpr16
                                        ; implicit-def: $vgpr17
                                        ; implicit-def: $vgpr18
                                        ; implicit-def: $vgpr19
	s_cbranch_scc1 .LBB1876_353
; %bb.352:                              ;   in Loop: Header=BB1876_351 Depth=2
	s_lshl_b64 s[16:17], s[58:59], 1
	v_mov_b32_e32 v12, s17
	v_add_co_u32_e32 v20, vcc, s16, v55
	v_addc_co_u32_e32 v21, vcc, v56, v12, vcc
	global_load_ushort v12, v[20:21], off
	global_load_ushort v13, v[20:21], off offset:512
	global_load_ushort v14, v[20:21], off offset:1024
	;; [unrolled: 1-line block ×7, first 2 shown]
	s_mov_b64 s[16:17], 0
.LBB1876_353:                           ;   in Loop: Header=BB1876_351 Depth=2
	s_andn2_b64 vcc, exec, s[16:17]
	s_movk_i32 s18, 0x800
	s_cbranch_vccnz .LBB1876_364
; %bb.354:                              ;   in Loop: Header=BB1876_351 Depth=2
	s_lshl_b64 s[16:17], s[58:59], 1
	s_add_u32 s16, s64, s16
	s_addc_u32 s17, s65, s17
	v_cmp_gt_u32_e32 vcc, s20, v0
	s_and_saveexec_b64 s[18:19], vcc
	s_cbranch_execnz .LBB1876_380
; %bb.355:                              ;   in Loop: Header=BB1876_351 Depth=2
	s_or_b64 exec, exec, s[18:19]
	v_cmp_gt_u32_e32 vcc, s20, v26
	s_and_saveexec_b64 s[18:19], vcc
	s_cbranch_execnz .LBB1876_381
.LBB1876_356:                           ;   in Loop: Header=BB1876_351 Depth=2
	s_or_b64 exec, exec, s[18:19]
	v_cmp_gt_u32_e32 vcc, s20, v27
	s_and_saveexec_b64 s[18:19], vcc
	s_cbranch_execnz .LBB1876_382
.LBB1876_357:                           ;   in Loop: Header=BB1876_351 Depth=2
	s_or_b64 exec, exec, s[18:19]
	v_cmp_gt_u32_e32 vcc, s20, v28
	s_and_saveexec_b64 s[18:19], vcc
	s_cbranch_execnz .LBB1876_383
.LBB1876_358:                           ;   in Loop: Header=BB1876_351 Depth=2
	s_or_b64 exec, exec, s[18:19]
	v_cmp_gt_u32_e32 vcc, s20, v31
	s_and_saveexec_b64 s[18:19], vcc
	s_cbranch_execnz .LBB1876_384
.LBB1876_359:                           ;   in Loop: Header=BB1876_351 Depth=2
	s_or_b64 exec, exec, s[18:19]
	v_cmp_gt_u32_e32 vcc, s20, v32
	s_and_saveexec_b64 s[18:19], vcc
	s_cbranch_execnz .LBB1876_385
.LBB1876_360:                           ;   in Loop: Header=BB1876_351 Depth=2
	s_or_b64 exec, exec, s[18:19]
	v_cmp_gt_u32_e32 vcc, s20, v33
	s_and_saveexec_b64 s[18:19], vcc
	s_cbranch_execnz .LBB1876_386
.LBB1876_361:                           ;   in Loop: Header=BB1876_351 Depth=2
	s_or_b64 exec, exec, s[18:19]
	v_cmp_gt_u32_e32 vcc, s20, v34
	s_and_saveexec_b64 s[18:19], vcc
	s_cbranch_execz .LBB1876_363
.LBB1876_362:                           ;   in Loop: Header=BB1876_351 Depth=2
	global_load_ushort v4, v64, s[16:17] offset:3584
.LBB1876_363:                           ;   in Loop: Header=BB1876_351 Depth=2
	s_or_b64 exec, exec, s[18:19]
	s_mov_b32 s18, s20
	s_waitcnt vmcnt(0)
	v_mov_b32_e32 v12, v11
	v_mov_b32_e32 v13, v10
	;; [unrolled: 1-line block ×8, first 2 shown]
.LBB1876_364:                           ;   in Loop: Header=BB1876_351 Depth=2
	s_waitcnt vmcnt(0)
	v_mov_b32_e32 v4, v19
	v_mov_b32_e32 v5, v18
	;; [unrolled: 1-line block ×8, first 2 shown]
	v_cmp_gt_u32_e32 vcc, s18, v0
	s_and_saveexec_b64 s[16:17], vcc
	s_cbranch_execnz .LBB1876_372
; %bb.365:                              ;   in Loop: Header=BB1876_351 Depth=2
	s_or_b64 exec, exec, s[16:17]
	v_cmp_gt_u32_e32 vcc, s18, v26
	s_and_saveexec_b64 s[16:17], vcc
	s_cbranch_execnz .LBB1876_373
.LBB1876_366:                           ;   in Loop: Header=BB1876_351 Depth=2
	s_or_b64 exec, exec, s[16:17]
	v_cmp_gt_u32_e32 vcc, s18, v27
	s_and_saveexec_b64 s[16:17], vcc
	s_cbranch_execnz .LBB1876_374
.LBB1876_367:                           ;   in Loop: Header=BB1876_351 Depth=2
	s_or_b64 exec, exec, s[16:17]
	v_cmp_gt_u32_e32 vcc, s18, v28
	s_and_saveexec_b64 s[16:17], vcc
	s_cbranch_execnz .LBB1876_375
.LBB1876_368:                           ;   in Loop: Header=BB1876_351 Depth=2
	s_or_b64 exec, exec, s[16:17]
	v_cmp_gt_u32_e32 vcc, s18, v31
	s_and_saveexec_b64 s[16:17], vcc
	s_cbranch_execnz .LBB1876_376
.LBB1876_369:                           ;   in Loop: Header=BB1876_351 Depth=2
	s_or_b64 exec, exec, s[16:17]
	v_cmp_gt_u32_e32 vcc, s18, v32
	s_and_saveexec_b64 s[16:17], vcc
	s_cbranch_execnz .LBB1876_377
.LBB1876_370:                           ;   in Loop: Header=BB1876_351 Depth=2
	s_or_b64 exec, exec, s[16:17]
	v_cmp_gt_u32_e32 vcc, s18, v33
	s_and_saveexec_b64 s[16:17], vcc
	s_cbranch_execnz .LBB1876_378
.LBB1876_371:                           ;   in Loop: Header=BB1876_351 Depth=2
	s_or_b64 exec, exec, s[16:17]
	v_cmp_gt_u32_e32 vcc, s18, v34
	s_and_saveexec_b64 s[16:17], vcc
	s_cbranch_execz .LBB1876_350
	s_branch .LBB1876_379
.LBB1876_372:                           ;   in Loop: Header=BB1876_351 Depth=2
	v_cmp_lt_i16_e32 vcc, -1, v11
	v_cndmask_b32_e32 v12, -1, v65, vcc
	v_xor_b32_e32 v12, v12, v11
	v_cmp_ne_u16_e32 vcc, s62, v12
	v_cndmask_b32_e32 v12, v65, v12, vcc
	v_lshrrev_b32_sdwa v12, s77, v12 dst_sel:DWORD dst_unused:UNUSED_PAD src0_sel:DWORD src1_sel:WORD_0
	v_and_b32_e32 v12, s70, v12
	v_lshl_or_b32 v12, v12, 4, v35
	ds_add_u32 v12, v61
	s_or_b64 exec, exec, s[16:17]
	v_cmp_gt_u32_e32 vcc, s18, v26
	s_and_saveexec_b64 s[16:17], vcc
	s_cbranch_execz .LBB1876_366
.LBB1876_373:                           ;   in Loop: Header=BB1876_351 Depth=2
	v_cmp_lt_i16_e32 vcc, -1, v10
	v_cndmask_b32_e32 v12, -1, v65, vcc
	v_xor_b32_e32 v12, v12, v10
	v_cmp_ne_u16_e32 vcc, s62, v12
	v_cndmask_b32_e32 v12, v65, v12, vcc
	v_lshrrev_b32_sdwa v12, s77, v12 dst_sel:DWORD dst_unused:UNUSED_PAD src0_sel:DWORD src1_sel:WORD_0
	v_and_b32_e32 v12, s70, v12
	v_lshl_or_b32 v12, v12, 4, v35
	ds_add_u32 v12, v61
	s_or_b64 exec, exec, s[16:17]
	v_cmp_gt_u32_e32 vcc, s18, v27
	s_and_saveexec_b64 s[16:17], vcc
	s_cbranch_execz .LBB1876_367
.LBB1876_374:                           ;   in Loop: Header=BB1876_351 Depth=2
	v_cmp_lt_i16_e32 vcc, -1, v9
	v_cndmask_b32_e32 v12, -1, v65, vcc
	v_xor_b32_e32 v12, v12, v9
	v_cmp_ne_u16_e32 vcc, s62, v12
	v_cndmask_b32_e32 v12, v65, v12, vcc
	v_lshrrev_b32_sdwa v12, s77, v12 dst_sel:DWORD dst_unused:UNUSED_PAD src0_sel:DWORD src1_sel:WORD_0
	v_and_b32_e32 v12, s70, v12
	v_lshl_or_b32 v12, v12, 4, v35
	ds_add_u32 v12, v61
	s_or_b64 exec, exec, s[16:17]
	v_cmp_gt_u32_e32 vcc, s18, v28
	s_and_saveexec_b64 s[16:17], vcc
	s_cbranch_execz .LBB1876_368
.LBB1876_375:                           ;   in Loop: Header=BB1876_351 Depth=2
	v_cmp_lt_i16_e32 vcc, -1, v8
	v_cndmask_b32_e32 v12, -1, v65, vcc
	v_xor_b32_e32 v12, v12, v8
	v_cmp_ne_u16_e32 vcc, s62, v12
	v_cndmask_b32_e32 v12, v65, v12, vcc
	v_lshrrev_b32_sdwa v12, s77, v12 dst_sel:DWORD dst_unused:UNUSED_PAD src0_sel:DWORD src1_sel:WORD_0
	v_and_b32_e32 v12, s70, v12
	v_lshl_or_b32 v12, v12, 4, v35
	ds_add_u32 v12, v61
	s_or_b64 exec, exec, s[16:17]
	v_cmp_gt_u32_e32 vcc, s18, v31
	s_and_saveexec_b64 s[16:17], vcc
	s_cbranch_execz .LBB1876_369
.LBB1876_376:                           ;   in Loop: Header=BB1876_351 Depth=2
	v_cmp_lt_i16_e32 vcc, -1, v7
	v_cndmask_b32_e32 v12, -1, v65, vcc
	v_xor_b32_e32 v12, v12, v7
	v_cmp_ne_u16_e32 vcc, s62, v12
	v_cndmask_b32_e32 v12, v65, v12, vcc
	v_lshrrev_b32_sdwa v12, s77, v12 dst_sel:DWORD dst_unused:UNUSED_PAD src0_sel:DWORD src1_sel:WORD_0
	v_and_b32_e32 v12, s70, v12
	v_lshl_or_b32 v12, v12, 4, v35
	ds_add_u32 v12, v61
	s_or_b64 exec, exec, s[16:17]
	v_cmp_gt_u32_e32 vcc, s18, v32
	s_and_saveexec_b64 s[16:17], vcc
	s_cbranch_execz .LBB1876_370
.LBB1876_377:                           ;   in Loop: Header=BB1876_351 Depth=2
	v_cmp_lt_i16_e32 vcc, -1, v6
	v_cndmask_b32_e32 v12, -1, v65, vcc
	v_xor_b32_e32 v12, v12, v6
	v_cmp_ne_u16_e32 vcc, s62, v12
	v_cndmask_b32_e32 v12, v65, v12, vcc
	v_lshrrev_b32_sdwa v12, s77, v12 dst_sel:DWORD dst_unused:UNUSED_PAD src0_sel:DWORD src1_sel:WORD_0
	v_and_b32_e32 v12, s70, v12
	v_lshl_or_b32 v12, v12, 4, v35
	ds_add_u32 v12, v61
	s_or_b64 exec, exec, s[16:17]
	v_cmp_gt_u32_e32 vcc, s18, v33
	s_and_saveexec_b64 s[16:17], vcc
	s_cbranch_execz .LBB1876_371
.LBB1876_378:                           ;   in Loop: Header=BB1876_351 Depth=2
	v_cmp_lt_i16_e32 vcc, -1, v5
	v_cndmask_b32_e32 v12, -1, v65, vcc
	v_xor_b32_e32 v12, v12, v5
	v_cmp_ne_u16_e32 vcc, s62, v12
	v_cndmask_b32_e32 v12, v65, v12, vcc
	v_lshrrev_b32_sdwa v12, s77, v12 dst_sel:DWORD dst_unused:UNUSED_PAD src0_sel:DWORD src1_sel:WORD_0
	v_and_b32_e32 v12, s70, v12
	v_lshl_or_b32 v12, v12, 4, v35
	ds_add_u32 v12, v61
	s_or_b64 exec, exec, s[16:17]
	v_cmp_gt_u32_e32 vcc, s18, v34
	s_and_saveexec_b64 s[16:17], vcc
	s_cbranch_execz .LBB1876_350
.LBB1876_379:                           ;   in Loop: Header=BB1876_351 Depth=2
	v_cmp_lt_i16_e32 vcc, -1, v4
	v_cndmask_b32_e32 v12, -1, v65, vcc
	v_xor_b32_e32 v12, v12, v4
	v_cmp_ne_u16_e32 vcc, s62, v12
	v_cndmask_b32_e32 v12, v65, v12, vcc
	v_lshrrev_b32_sdwa v12, s77, v12 dst_sel:DWORD dst_unused:UNUSED_PAD src0_sel:DWORD src1_sel:WORD_0
	v_and_b32_e32 v12, s70, v12
	v_lshl_or_b32 v12, v12, 4, v35
	ds_add_u32 v12, v61
	s_branch .LBB1876_350
.LBB1876_380:                           ;   in Loop: Header=BB1876_351 Depth=2
	global_load_ushort v11, v64, s[16:17]
	s_or_b64 exec, exec, s[18:19]
	v_cmp_gt_u32_e32 vcc, s20, v26
	s_and_saveexec_b64 s[18:19], vcc
	s_cbranch_execz .LBB1876_356
.LBB1876_381:                           ;   in Loop: Header=BB1876_351 Depth=2
	global_load_ushort v10, v64, s[16:17] offset:512
	s_or_b64 exec, exec, s[18:19]
	v_cmp_gt_u32_e32 vcc, s20, v27
	s_and_saveexec_b64 s[18:19], vcc
	s_cbranch_execz .LBB1876_357
.LBB1876_382:                           ;   in Loop: Header=BB1876_351 Depth=2
	global_load_ushort v9, v64, s[16:17] offset:1024
	s_or_b64 exec, exec, s[18:19]
	v_cmp_gt_u32_e32 vcc, s20, v28
	s_and_saveexec_b64 s[18:19], vcc
	s_cbranch_execz .LBB1876_358
.LBB1876_383:                           ;   in Loop: Header=BB1876_351 Depth=2
	global_load_ushort v8, v64, s[16:17] offset:1536
	s_or_b64 exec, exec, s[18:19]
	v_cmp_gt_u32_e32 vcc, s20, v31
	s_and_saveexec_b64 s[18:19], vcc
	s_cbranch_execz .LBB1876_359
.LBB1876_384:                           ;   in Loop: Header=BB1876_351 Depth=2
	global_load_ushort v7, v64, s[16:17] offset:2048
	s_or_b64 exec, exec, s[18:19]
	v_cmp_gt_u32_e32 vcc, s20, v32
	s_and_saveexec_b64 s[18:19], vcc
	s_cbranch_execz .LBB1876_360
.LBB1876_385:                           ;   in Loop: Header=BB1876_351 Depth=2
	global_load_ushort v6, v64, s[16:17] offset:2560
	s_or_b64 exec, exec, s[18:19]
	v_cmp_gt_u32_e32 vcc, s20, v33
	s_and_saveexec_b64 s[18:19], vcc
	s_cbranch_execz .LBB1876_361
.LBB1876_386:                           ;   in Loop: Header=BB1876_351 Depth=2
	global_load_ushort v5, v64, s[16:17] offset:3072
	s_or_b64 exec, exec, s[18:19]
	v_cmp_gt_u32_e32 vcc, s20, v34
	s_and_saveexec_b64 s[18:19], vcc
	s_cbranch_execnz .LBB1876_362
	s_branch .LBB1876_363
.LBB1876_387:                           ;   in Loop: Header=BB1876_17 Depth=1
	v_mov_b32_e32 v4, 0
	s_waitcnt lgkmcnt(0)
	s_barrier
	s_and_saveexec_b64 s[16:17], s[4:5]
	s_cbranch_execz .LBB1876_389
; %bb.388:                              ;   in Loop: Header=BB1876_17 Depth=1
	ds_read2_b64 v[4:7], v36 offset1:1
	s_waitcnt lgkmcnt(0)
	v_add_u32_e32 v4, v5, v4
	v_add3_u32 v4, v4, v6, v7
.LBB1876_389:                           ;   in Loop: Header=BB1876_17 Depth=1
	s_or_b64 exec, exec, s[16:17]
	s_nop 0
	v_mov_b32_dpp v5, v4 row_shr:1 row_mask:0xf bank_mask:0xf
	v_cmp_eq_u32_e64 s[16:17], 0, v67
	v_cndmask_b32_e64 v5, v5, 0, s[16:17]
	v_add_u32_e32 v4, v5, v4
	v_cmp_lt_u32_e64 s[18:19], 1, v67
	v_cmp_lt_u32_e64 s[20:21], 3, v67
	v_mov_b32_dpp v5, v4 row_shr:2 row_mask:0xf bank_mask:0xf
	v_cndmask_b32_e64 v5, 0, v5, s[18:19]
	v_add_u32_e32 v4, v4, v5
	v_cmp_lt_u32_e64 s[22:23], 7, v67
	v_cmp_lt_u32_e64 s[26:27], 31, v66
	v_mov_b32_dpp v5, v4 row_shr:4 row_mask:0xf bank_mask:0xf
	v_cndmask_b32_e64 v5, 0, v5, s[20:21]
	v_add_u32_e32 v4, v4, v5
	v_cmp_eq_u32_e64 s[24:25], 0, v69
	s_nop 0
	v_mov_b32_dpp v5, v4 row_shr:8 row_mask:0xf bank_mask:0xf
	v_cndmask_b32_e64 v5, 0, v5, s[22:23]
	v_add_u32_e32 v4, v4, v5
	s_nop 1
	v_mov_b32_dpp v5, v4 row_bcast:15 row_mask:0xf bank_mask:0xf
	v_and_b32_e32 v5, v68, v5
	v_add_u32_e32 v4, v4, v5
	s_nop 1
	v_mov_b32_dpp v5, v4 row_bcast:31 row_mask:0xf bank_mask:0xf
	v_cndmask_b32_e64 v5, 0, v5, s[26:27]
	v_add_u32_e32 v4, v4, v5
	s_and_saveexec_b64 s[28:29], s[6:7]
; %bb.390:                              ;   in Loop: Header=BB1876_17 Depth=1
	ds_write_b32 v38, v4
; %bb.391:                              ;   in Loop: Header=BB1876_17 Depth=1
	s_or_b64 exec, exec, s[28:29]
	s_waitcnt lgkmcnt(0)
	s_barrier
	s_and_saveexec_b64 s[28:29], s[8:9]
	s_cbranch_execz .LBB1876_393
; %bb.392:                              ;   in Loop: Header=BB1876_17 Depth=1
	ds_read_b32 v5, v39
	v_cmp_ne_u32_e32 vcc, 0, v70
	s_waitcnt lgkmcnt(0)
	v_mov_b32_dpp v6, v5 row_shr:1 row_mask:0xf bank_mask:0xf
	v_cndmask_b32_e32 v6, 0, v6, vcc
	v_add_u32_e32 v5, v6, v5
	v_cmp_lt_u32_e32 vcc, 1, v70
	s_nop 0
	v_mov_b32_dpp v6, v5 row_shr:2 row_mask:0xf bank_mask:0xf
	v_cndmask_b32_e32 v6, 0, v6, vcc
	v_add_u32_e32 v5, v5, v6
	ds_write_b32 v39, v5
.LBB1876_393:                           ;   in Loop: Header=BB1876_17 Depth=1
	s_or_b64 exec, exec, s[28:29]
	v_mov_b32_e32 v5, 0
	s_waitcnt lgkmcnt(0)
	s_barrier
	s_and_saveexec_b64 s[28:29], s[10:11]
; %bb.394:                              ;   in Loop: Header=BB1876_17 Depth=1
	ds_read_b32 v5, v40
; %bb.395:                              ;   in Loop: Header=BB1876_17 Depth=1
	s_or_b64 exec, exec, s[28:29]
	v_subrev_co_u32_e64 v6, s[28:29], 1, v66
	v_cmp_lt_i32_e32 vcc, v6, v71
	v_cndmask_b32_e32 v6, v6, v66, vcc
	s_waitcnt lgkmcnt(0)
	v_add_u32_e32 v4, v5, v4
	v_lshlrev_b32_e32 v82, 2, v6
	ds_bpermute_b32 v4, v82, v4
	s_waitcnt lgkmcnt(0)
	s_barrier
	s_and_saveexec_b64 s[30:31], s[4:5]
; %bb.396:                              ;   in Loop: Header=BB1876_17 Depth=1
	v_cndmask_b32_e64 v4, v4, v5, s[28:29]
	v_add_u32_e32 v4, s51, v4
	ds_write_b32 v25, v4
; %bb.397:                              ;   in Loop: Header=BB1876_17 Depth=1
	s_or_b64 exec, exec, s[30:31]
	s_load_dwordx2 s[30:31], s[56:57], 0x0
	v_add_co_u32_e32 v83, vcc, v57, v72
	v_addc_co_u32_e32 v84, vcc, 0, v58, vcc
	s_waitcnt lgkmcnt(0)
	s_cmp_lt_u32 s33, s31
	s_cselect_b32 s31, 14, 20
	s_add_u32 s34, s56, s31
	s_addc_u32 s35, s57, 0
	s_cmp_lt_u32 s50, s30
	s_cselect_b32 s30, 12, 18
	s_add_u32 s30, s56, s30
	global_load_ushort v4, v3, s[34:35]
	s_addc_u32 s31, s57, 0
	global_load_ushort v5, v3, s[30:31]
	v_add_co_u32_e32 v85, vcc, v59, v81
	v_cmp_eq_u32_e64 s[30:31], 0, v70
	v_cmp_lt_u32_e64 s[34:35], 1, v70
	v_addc_co_u32_e32 v86, vcc, 0, v60, vcc
	s_mov_b32 s71, s79
	s_mov_b32 s58, s51
                                        ; implicit-def: $vgpr7_vgpr8
                                        ; implicit-def: $vgpr9_vgpr10
                                        ; implicit-def: $vgpr11_vgpr12
                                        ; implicit-def: $vgpr13_vgpr14
                                        ; implicit-def: $vgpr15_vgpr16
                                        ; implicit-def: $vgpr17_vgpr18
                                        ; implicit-def: $vgpr19_vgpr20
                                        ; implicit-def: $vgpr87
                                        ; implicit-def: $vgpr88
                                        ; implicit-def: $vgpr89
                                        ; implicit-def: $vgpr90
                                        ; implicit-def: $vgpr92
                                        ; implicit-def: $vgpr93
                                        ; implicit-def: $vgpr94
                                        ; implicit-def: $vgpr95
	s_waitcnt vmcnt(1)
	v_mad_u32_u24 v4, v2, v4, v1
	s_waitcnt vmcnt(0)
	v_mad_u64_u32 v[4:5], s[36:37], v4, v5, v[0:1]
                                        ; implicit-def: $vgpr5_vgpr6
	v_lshrrev_b32_e32 v4, 4, v4
	v_and_b32_e32 v91, 0xffffffc, v4
	s_branch .LBB1876_399
.LBB1876_398:                           ;   in Loop: Header=BB1876_399 Depth=2
	s_or_b64 exec, exec, s[36:37]
	s_addk_i32 s71, 0xf800
	s_cmp_lt_u32 s76, s80
	s_mov_b32 s58, s76
	s_cbranch_scc0 .LBB1876_511
.LBB1876_399:                           ;   Parent Loop BB1876_17 Depth=1
                                        ; =>  This Inner Loop Header: Depth=2
	s_add_i32 s76, s58, 0x800
	s_cmp_gt_u32 s76, s80
	s_cbranch_scc1 .LBB1876_401
; %bb.400:                              ;   in Loop: Header=BB1876_399 Depth=2
	s_lshl_b64 s[36:37], s[58:59], 1
	v_mov_b32_e32 v4, s37
	v_add_co_u32_e32 v21, vcc, s36, v85
	v_addc_co_u32_e32 v22, vcc, v86, v4, vcc
	global_load_ushort v4, v[21:22], off
	global_load_ushort v99, v[21:22], off offset:128
	global_load_ushort v103, v[21:22], off offset:256
	;; [unrolled: 1-line block ×6, first 2 shown]
	s_mov_b64 s[36:37], -1
	s_movk_i32 s40, 0x800
	s_cbranch_execz .LBB1876_402
	s_branch .LBB1876_417
.LBB1876_401:                           ;   in Loop: Header=BB1876_399 Depth=2
	s_mov_b64 s[36:37], 0
                                        ; implicit-def: $vgpr4
                                        ; implicit-def: $vgpr99
                                        ; implicit-def: $vgpr103
                                        ; implicit-def: $vgpr107
                                        ; implicit-def: $vgpr112
                                        ; implicit-def: $vgpr108
                                        ; implicit-def: $vgpr24
	s_movk_i32 s40, 0x800
.LBB1876_402:                           ;   in Loop: Header=BB1876_399 Depth=2
	s_lshl_b64 s[36:37], s[58:59], 1
	s_waitcnt vmcnt(6)
	v_mov_b32_e32 v4, s37
	v_add_co_u32_e32 v21, vcc, s36, v85
	v_addc_co_u32_e32 v22, vcc, v86, v4, vcc
	v_cmp_gt_u32_e32 vcc, s71, v73
	s_waitcnt vmcnt(5)
	v_mov_b32_e32 v99, 0x7fff
	v_mov_b32_e32 v4, 0x7fff
	s_and_saveexec_b64 s[36:37], vcc
	s_cbranch_execz .LBB1876_404
; %bb.403:                              ;   in Loop: Header=BB1876_399 Depth=2
	global_load_ushort v4, v[21:22], off
.LBB1876_404:                           ;   in Loop: Header=BB1876_399 Depth=2
	s_or_b64 exec, exec, s[36:37]
	v_cmp_gt_u32_e32 vcc, s71, v74
	s_and_saveexec_b64 s[36:37], vcc
	s_cbranch_execz .LBB1876_406
; %bb.405:                              ;   in Loop: Header=BB1876_399 Depth=2
	global_load_ushort v99, v[21:22], off offset:128
.LBB1876_406:                           ;   in Loop: Header=BB1876_399 Depth=2
	s_or_b64 exec, exec, s[36:37]
	v_cmp_gt_u32_e32 vcc, s71, v75
	s_waitcnt vmcnt(3)
	v_mov_b32_e32 v107, 0x7fff
	v_mov_b32_e32 v103, 0x7fff
	s_and_saveexec_b64 s[36:37], vcc
	s_cbranch_execz .LBB1876_408
; %bb.407:                              ;   in Loop: Header=BB1876_399 Depth=2
	global_load_ushort v103, v[21:22], off offset:256
.LBB1876_408:                           ;   in Loop: Header=BB1876_399 Depth=2
	s_or_b64 exec, exec, s[36:37]
	v_cmp_gt_u32_e32 vcc, s71, v76
	s_and_saveexec_b64 s[36:37], vcc
	s_cbranch_execz .LBB1876_410
; %bb.409:                              ;   in Loop: Header=BB1876_399 Depth=2
	global_load_ushort v107, v[21:22], off offset:384
.LBB1876_410:                           ;   in Loop: Header=BB1876_399 Depth=2
	s_or_b64 exec, exec, s[36:37]
	v_cmp_gt_u32_e32 vcc, s71, v77
	s_waitcnt vmcnt(1)
	v_mov_b32_e32 v108, 0x7fff
	v_mov_b32_e32 v112, 0x7fff
	s_and_saveexec_b64 s[36:37], vcc
	s_cbranch_execz .LBB1876_412
; %bb.411:                              ;   in Loop: Header=BB1876_399 Depth=2
	global_load_ushort v112, v[21:22], off offset:512
.LBB1876_412:                           ;   in Loop: Header=BB1876_399 Depth=2
	s_or_b64 exec, exec, s[36:37]
	v_cmp_gt_u32_e32 vcc, s71, v78
	s_and_saveexec_b64 s[36:37], vcc
	s_cbranch_execz .LBB1876_414
; %bb.413:                              ;   in Loop: Header=BB1876_399 Depth=2
	global_load_ushort v108, v[21:22], off offset:640
.LBB1876_414:                           ;   in Loop: Header=BB1876_399 Depth=2
	s_or_b64 exec, exec, s[36:37]
	v_cmp_gt_u32_e32 vcc, s71, v79
	s_waitcnt vmcnt(0)
	v_mov_b32_e32 v24, 0x7fff
	s_and_saveexec_b64 s[36:37], vcc
	s_cbranch_execz .LBB1876_416
; %bb.415:                              ;   in Loop: Header=BB1876_399 Depth=2
	global_load_ushort v24, v[21:22], off offset:768
.LBB1876_416:                           ;   in Loop: Header=BB1876_399 Depth=2
	s_or_b64 exec, exec, s[36:37]
	s_sub_i32 s40, s80, s58
	v_cmp_gt_u32_e64 s[36:37], s71, v80
.LBB1876_417:                           ;   in Loop: Header=BB1876_399 Depth=2
	v_mov_b32_e32 v23, 0x7fff
	v_mov_b32_e32 v96, s71
	s_and_saveexec_b64 s[38:39], s[36:37]
	s_cbranch_execz .LBB1876_419
; %bb.418:                              ;   in Loop: Header=BB1876_399 Depth=2
	s_lshl_b64 s[36:37], s[58:59], 1
	v_mov_b32_e32 v22, s37
	v_add_co_u32_e32 v21, vcc, s36, v85
	v_addc_co_u32_e32 v22, vcc, v86, v22, vcc
	global_load_ushort v23, v[21:22], off offset:896
	v_mov_b32_e32 v96, s40
.LBB1876_419:                           ;   in Loop: Header=BB1876_399 Depth=2
	s_or_b64 exec, exec, s[38:39]
	s_waitcnt vmcnt(6)
	v_cmp_lt_i16_e32 vcc, -1, v4
	v_cndmask_b32_e32 v21, -1, v65, vcc
	v_xor_b32_e32 v97, v21, v4
	v_cmp_ne_u16_e32 vcc, s62, v97
	v_cndmask_b32_e32 v4, v65, v97, vcc
	v_lshrrev_b32_sdwa v4, s77, v4 dst_sel:DWORD dst_unused:UNUSED_PAD src0_sel:DWORD src1_sel:WORD_0
	v_and_b32_e32 v21, s70, v4
	v_and_b32_e32 v4, 1, v21
	v_add_co_u32_e32 v22, vcc, -1, v4
	v_addc_co_u32_e64 v98, s[36:37], 0, -1, vcc
	v_cmp_ne_u32_e32 vcc, 0, v4
	v_xor_b32_e32 v4, vcc_hi, v98
	v_and_b32_e32 v98, exec_hi, v4
	v_lshlrev_b32_e32 v4, 30, v21
	v_xor_b32_e32 v22, vcc_lo, v22
	v_cmp_gt_i64_e32 vcc, 0, v[3:4]
	v_not_b32_e32 v4, v4
	v_ashrrev_i32_e32 v4, 31, v4
	v_and_b32_e32 v22, exec_lo, v22
	v_xor_b32_e32 v101, vcc_hi, v4
	v_xor_b32_e32 v4, vcc_lo, v4
	v_and_b32_e32 v22, v22, v4
	v_lshlrev_b32_e32 v4, 29, v21
	v_cmp_gt_i64_e32 vcc, 0, v[3:4]
	v_not_b32_e32 v4, v4
	v_ashrrev_i32_e32 v4, 31, v4
	v_and_b32_e32 v98, v98, v101
	v_xor_b32_e32 v101, vcc_hi, v4
	v_xor_b32_e32 v4, vcc_lo, v4
	v_and_b32_e32 v22, v22, v4
	v_lshlrev_b32_e32 v4, 28, v21
	v_cmp_gt_i64_e32 vcc, 0, v[3:4]
	v_not_b32_e32 v4, v4
	v_ashrrev_i32_e32 v4, 31, v4
	v_and_b32_e32 v98, v98, v101
	;; [unrolled: 8-line block ×5, first 2 shown]
	v_xor_b32_e32 v101, vcc_hi, v4
	v_xor_b32_e32 v4, vcc_lo, v4
	v_and_b32_e32 v98, v98, v101
	v_and_b32_e32 v101, v22, v4
	v_lshlrev_b32_e32 v4, 24, v21
	v_cmp_gt_i64_e32 vcc, 0, v[3:4]
	v_not_b32_e32 v4, v4
	v_ashrrev_i32_e32 v4, 31, v4
	v_mul_u32_u24_e32 v100, 20, v21
	v_xor_b32_e32 v21, vcc_hi, v4
	v_xor_b32_e32 v4, vcc_lo, v4
	v_and_b32_e32 v22, v98, v21
	v_and_b32_e32 v21, v101, v4
	v_mbcnt_lo_u32_b32 v4, v21, 0
	v_mbcnt_hi_u32_b32 v98, v22, v4
	v_cmp_ne_u64_e32 vcc, 0, v[21:22]
	v_cmp_eq_u32_e64 s[36:37], 0, v98
	s_and_b64 s[38:39], vcc, s[36:37]
	v_add_u32_e32 v101, v91, v100
	ds_write2_b32 v62, v3, v3 offset1:1
	ds_write2_b32 v63, v3, v3 offset1:1
	ds_write_b32 v41, v3 offset:1056
	s_waitcnt vmcnt(0) lgkmcnt(0)
	s_barrier
	; wave barrier
	s_and_saveexec_b64 s[36:37], s[38:39]
; %bb.420:                              ;   in Loop: Header=BB1876_399 Depth=2
	v_bcnt_u32_b32 v4, v21, 0
	v_bcnt_u32_b32 v4, v22, v4
	ds_write_b32 v101, v4 offset:1040
; %bb.421:                              ;   in Loop: Header=BB1876_399 Depth=2
	s_or_b64 exec, exec, s[36:37]
	v_cmp_lt_i16_e32 vcc, -1, v99
	v_cndmask_b32_e32 v4, -1, v65, vcc
	v_xor_b32_e32 v99, v4, v99
	v_cmp_ne_u16_e32 vcc, s62, v99
	v_cndmask_b32_e32 v4, v65, v99, vcc
	v_lshrrev_b32_sdwa v4, s77, v4 dst_sel:DWORD dst_unused:UNUSED_PAD src0_sel:DWORD src1_sel:WORD_0
	v_and_b32_e32 v21, s70, v4
	v_mad_u32_u24 v4, v21, 20, v91
	; wave barrier
	ds_read_b32 v100, v4 offset:1040
	v_and_b32_e32 v4, 1, v21
	v_add_co_u32_e32 v22, vcc, -1, v4
	v_addc_co_u32_e64 v102, s[36:37], 0, -1, vcc
	v_cmp_ne_u32_e32 vcc, 0, v4
	v_xor_b32_e32 v4, vcc_hi, v102
	v_and_b32_e32 v102, exec_hi, v4
	v_lshlrev_b32_e32 v4, 30, v21
	v_xor_b32_e32 v22, vcc_lo, v22
	v_cmp_gt_i64_e32 vcc, 0, v[3:4]
	v_not_b32_e32 v4, v4
	v_ashrrev_i32_e32 v4, 31, v4
	v_and_b32_e32 v22, exec_lo, v22
	v_xor_b32_e32 v105, vcc_hi, v4
	v_xor_b32_e32 v4, vcc_lo, v4
	v_and_b32_e32 v22, v22, v4
	v_lshlrev_b32_e32 v4, 29, v21
	v_cmp_gt_i64_e32 vcc, 0, v[3:4]
	v_not_b32_e32 v4, v4
	v_ashrrev_i32_e32 v4, 31, v4
	v_and_b32_e32 v102, v102, v105
	v_xor_b32_e32 v105, vcc_hi, v4
	v_xor_b32_e32 v4, vcc_lo, v4
	v_and_b32_e32 v22, v22, v4
	v_lshlrev_b32_e32 v4, 28, v21
	v_cmp_gt_i64_e32 vcc, 0, v[3:4]
	v_not_b32_e32 v4, v4
	v_ashrrev_i32_e32 v4, 31, v4
	v_and_b32_e32 v102, v102, v105
	;; [unrolled: 8-line block ×5, first 2 shown]
	v_xor_b32_e32 v105, vcc_hi, v4
	v_xor_b32_e32 v4, vcc_lo, v4
	v_and_b32_e32 v102, v102, v105
	v_and_b32_e32 v105, v22, v4
	v_lshlrev_b32_e32 v4, 24, v21
	v_cmp_gt_i64_e32 vcc, 0, v[3:4]
	v_not_b32_e32 v4, v4
	v_ashrrev_i32_e32 v4, 31, v4
	v_mul_u32_u24_e32 v104, 20, v21
	v_xor_b32_e32 v21, vcc_hi, v4
	v_xor_b32_e32 v4, vcc_lo, v4
	v_and_b32_e32 v22, v102, v21
	v_and_b32_e32 v21, v105, v4
	v_mbcnt_lo_u32_b32 v4, v21, 0
	v_mbcnt_hi_u32_b32 v102, v22, v4
	v_cmp_ne_u64_e32 vcc, 0, v[21:22]
	v_cmp_eq_u32_e64 s[36:37], 0, v102
	s_and_b64 s[38:39], vcc, s[36:37]
	v_add_u32_e32 v105, v91, v104
	; wave barrier
	s_and_saveexec_b64 s[36:37], s[38:39]
	s_cbranch_execz .LBB1876_423
; %bb.422:                              ;   in Loop: Header=BB1876_399 Depth=2
	v_bcnt_u32_b32 v4, v21, 0
	v_bcnt_u32_b32 v4, v22, v4
	s_waitcnt lgkmcnt(0)
	v_add_u32_e32 v4, v100, v4
	ds_write_b32 v105, v4 offset:1040
.LBB1876_423:                           ;   in Loop: Header=BB1876_399 Depth=2
	s_or_b64 exec, exec, s[36:37]
	v_cmp_lt_i16_e32 vcc, -1, v103
	v_cndmask_b32_e32 v4, -1, v65, vcc
	v_xor_b32_e32 v103, v4, v103
	v_cmp_ne_u16_e32 vcc, s62, v103
	v_cndmask_b32_e32 v4, v65, v103, vcc
	v_lshrrev_b32_sdwa v4, s77, v4 dst_sel:DWORD dst_unused:UNUSED_PAD src0_sel:DWORD src1_sel:WORD_0
	v_and_b32_e32 v21, s70, v4
	v_mad_u32_u24 v4, v21, 20, v91
	; wave barrier
	ds_read_b32 v104, v4 offset:1040
	v_and_b32_e32 v4, 1, v21
	v_add_co_u32_e32 v22, vcc, -1, v4
	v_addc_co_u32_e64 v106, s[36:37], 0, -1, vcc
	v_cmp_ne_u32_e32 vcc, 0, v4
	v_xor_b32_e32 v4, vcc_hi, v106
	v_and_b32_e32 v106, exec_hi, v4
	v_lshlrev_b32_e32 v4, 30, v21
	v_xor_b32_e32 v22, vcc_lo, v22
	v_cmp_gt_i64_e32 vcc, 0, v[3:4]
	v_not_b32_e32 v4, v4
	v_ashrrev_i32_e32 v4, 31, v4
	v_and_b32_e32 v22, exec_lo, v22
	v_xor_b32_e32 v110, vcc_hi, v4
	v_xor_b32_e32 v4, vcc_lo, v4
	v_and_b32_e32 v22, v22, v4
	v_lshlrev_b32_e32 v4, 29, v21
	v_cmp_gt_i64_e32 vcc, 0, v[3:4]
	v_not_b32_e32 v4, v4
	v_ashrrev_i32_e32 v4, 31, v4
	v_and_b32_e32 v106, v106, v110
	v_xor_b32_e32 v110, vcc_hi, v4
	v_xor_b32_e32 v4, vcc_lo, v4
	v_and_b32_e32 v22, v22, v4
	v_lshlrev_b32_e32 v4, 28, v21
	v_cmp_gt_i64_e32 vcc, 0, v[3:4]
	v_not_b32_e32 v4, v4
	v_ashrrev_i32_e32 v4, 31, v4
	v_and_b32_e32 v106, v106, v110
	;; [unrolled: 8-line block ×5, first 2 shown]
	v_xor_b32_e32 v110, vcc_hi, v4
	v_xor_b32_e32 v4, vcc_lo, v4
	v_and_b32_e32 v106, v106, v110
	v_and_b32_e32 v110, v22, v4
	v_lshlrev_b32_e32 v4, 24, v21
	v_cmp_gt_i64_e32 vcc, 0, v[3:4]
	v_not_b32_e32 v4, v4
	v_ashrrev_i32_e32 v4, 31, v4
	v_mul_u32_u24_e32 v109, 20, v21
	v_xor_b32_e32 v21, vcc_hi, v4
	v_xor_b32_e32 v4, vcc_lo, v4
	v_and_b32_e32 v22, v106, v21
	v_and_b32_e32 v21, v110, v4
	v_mbcnt_lo_u32_b32 v4, v21, 0
	v_mbcnt_hi_u32_b32 v106, v22, v4
	v_cmp_ne_u64_e32 vcc, 0, v[21:22]
	v_cmp_eq_u32_e64 s[36:37], 0, v106
	s_and_b64 s[38:39], vcc, s[36:37]
	v_add_u32_e32 v110, v91, v109
	; wave barrier
	s_and_saveexec_b64 s[36:37], s[38:39]
	s_cbranch_execz .LBB1876_425
; %bb.424:                              ;   in Loop: Header=BB1876_399 Depth=2
	v_bcnt_u32_b32 v4, v21, 0
	v_bcnt_u32_b32 v4, v22, v4
	s_waitcnt lgkmcnt(0)
	v_add_u32_e32 v4, v104, v4
	ds_write_b32 v110, v4 offset:1040
.LBB1876_425:                           ;   in Loop: Header=BB1876_399 Depth=2
	s_or_b64 exec, exec, s[36:37]
	v_cmp_lt_i16_e32 vcc, -1, v107
	v_cndmask_b32_e32 v4, -1, v65, vcc
	v_xor_b32_e32 v107, v4, v107
	v_cmp_ne_u16_e32 vcc, s62, v107
	v_cndmask_b32_e32 v4, v65, v107, vcc
	v_lshrrev_b32_sdwa v4, s77, v4 dst_sel:DWORD dst_unused:UNUSED_PAD src0_sel:DWORD src1_sel:WORD_0
	v_and_b32_e32 v21, s70, v4
	v_mad_u32_u24 v4, v21, 20, v91
	; wave barrier
	ds_read_b32 v109, v4 offset:1040
	v_and_b32_e32 v4, 1, v21
	v_add_co_u32_e32 v22, vcc, -1, v4
	v_addc_co_u32_e64 v111, s[36:37], 0, -1, vcc
	v_cmp_ne_u32_e32 vcc, 0, v4
	v_xor_b32_e32 v4, vcc_hi, v111
	v_and_b32_e32 v111, exec_hi, v4
	v_lshlrev_b32_e32 v4, 30, v21
	v_xor_b32_e32 v22, vcc_lo, v22
	v_cmp_gt_i64_e32 vcc, 0, v[3:4]
	v_not_b32_e32 v4, v4
	v_ashrrev_i32_e32 v4, 31, v4
	v_and_b32_e32 v22, exec_lo, v22
	v_xor_b32_e32 v114, vcc_hi, v4
	v_xor_b32_e32 v4, vcc_lo, v4
	v_and_b32_e32 v22, v22, v4
	v_lshlrev_b32_e32 v4, 29, v21
	v_cmp_gt_i64_e32 vcc, 0, v[3:4]
	v_not_b32_e32 v4, v4
	v_ashrrev_i32_e32 v4, 31, v4
	v_and_b32_e32 v111, v111, v114
	v_xor_b32_e32 v114, vcc_hi, v4
	v_xor_b32_e32 v4, vcc_lo, v4
	v_and_b32_e32 v22, v22, v4
	v_lshlrev_b32_e32 v4, 28, v21
	v_cmp_gt_i64_e32 vcc, 0, v[3:4]
	v_not_b32_e32 v4, v4
	v_ashrrev_i32_e32 v4, 31, v4
	v_and_b32_e32 v111, v111, v114
	v_xor_b32_e32 v114, vcc_hi, v4
	v_xor_b32_e32 v4, vcc_lo, v4
	v_and_b32_e32 v22, v22, v4
	v_lshlrev_b32_e32 v4, 27, v21
	v_cmp_gt_i64_e32 vcc, 0, v[3:4]
	v_not_b32_e32 v4, v4
	v_ashrrev_i32_e32 v4, 31, v4
	v_and_b32_e32 v111, v111, v114
	v_xor_b32_e32 v114, vcc_hi, v4
	v_xor_b32_e32 v4, vcc_lo, v4
	v_and_b32_e32 v22, v22, v4
	v_lshlrev_b32_e32 v4, 26, v21
	v_cmp_gt_i64_e32 vcc, 0, v[3:4]
	v_not_b32_e32 v4, v4
	v_ashrrev_i32_e32 v4, 31, v4
	v_and_b32_e32 v111, v111, v114
	v_xor_b32_e32 v114, vcc_hi, v4
	v_xor_b32_e32 v4, vcc_lo, v4
	v_and_b32_e32 v22, v22, v4
	v_lshlrev_b32_e32 v4, 25, v21
	v_cmp_gt_i64_e32 vcc, 0, v[3:4]
	v_not_b32_e32 v4, v4
	v_ashrrev_i32_e32 v4, 31, v4
	v_and_b32_e32 v111, v111, v114
	v_xor_b32_e32 v114, vcc_hi, v4
	v_xor_b32_e32 v4, vcc_lo, v4
	v_and_b32_e32 v111, v111, v114
	v_and_b32_e32 v114, v22, v4
	v_lshlrev_b32_e32 v4, 24, v21
	v_cmp_gt_i64_e32 vcc, 0, v[3:4]
	v_not_b32_e32 v4, v4
	v_ashrrev_i32_e32 v4, 31, v4
	v_mul_u32_u24_e32 v113, 20, v21
	v_xor_b32_e32 v21, vcc_hi, v4
	v_xor_b32_e32 v4, vcc_lo, v4
	v_and_b32_e32 v22, v111, v21
	v_and_b32_e32 v21, v114, v4
	v_mbcnt_lo_u32_b32 v4, v21, 0
	v_mbcnt_hi_u32_b32 v111, v22, v4
	v_cmp_ne_u64_e32 vcc, 0, v[21:22]
	v_cmp_eq_u32_e64 s[36:37], 0, v111
	s_and_b64 s[38:39], vcc, s[36:37]
	v_add_u32_e32 v114, v91, v113
	; wave barrier
	s_and_saveexec_b64 s[36:37], s[38:39]
	s_cbranch_execz .LBB1876_427
; %bb.426:                              ;   in Loop: Header=BB1876_399 Depth=2
	v_bcnt_u32_b32 v4, v21, 0
	v_bcnt_u32_b32 v4, v22, v4
	s_waitcnt lgkmcnt(0)
	v_add_u32_e32 v4, v109, v4
	ds_write_b32 v114, v4 offset:1040
.LBB1876_427:                           ;   in Loop: Header=BB1876_399 Depth=2
	s_or_b64 exec, exec, s[36:37]
	v_cmp_lt_i16_e32 vcc, -1, v112
	v_cndmask_b32_e32 v4, -1, v65, vcc
	v_xor_b32_e32 v112, v4, v112
	v_cmp_ne_u16_e32 vcc, s62, v112
	v_cndmask_b32_e32 v4, v65, v112, vcc
	v_lshrrev_b32_sdwa v4, s77, v4 dst_sel:DWORD dst_unused:UNUSED_PAD src0_sel:DWORD src1_sel:WORD_0
	v_and_b32_e32 v21, s70, v4
	v_mad_u32_u24 v4, v21, 20, v91
	; wave barrier
	ds_read_b32 v113, v4 offset:1040
	v_and_b32_e32 v4, 1, v21
	v_add_co_u32_e32 v22, vcc, -1, v4
	v_addc_co_u32_e64 v115, s[36:37], 0, -1, vcc
	v_cmp_ne_u32_e32 vcc, 0, v4
	v_xor_b32_e32 v4, vcc_hi, v115
	v_and_b32_e32 v115, exec_hi, v4
	v_lshlrev_b32_e32 v4, 30, v21
	v_xor_b32_e32 v22, vcc_lo, v22
	v_cmp_gt_i64_e32 vcc, 0, v[3:4]
	v_not_b32_e32 v4, v4
	v_ashrrev_i32_e32 v4, 31, v4
	v_and_b32_e32 v22, exec_lo, v22
	v_xor_b32_e32 v117, vcc_hi, v4
	v_xor_b32_e32 v4, vcc_lo, v4
	v_and_b32_e32 v22, v22, v4
	v_lshlrev_b32_e32 v4, 29, v21
	v_cmp_gt_i64_e32 vcc, 0, v[3:4]
	v_not_b32_e32 v4, v4
	v_ashrrev_i32_e32 v4, 31, v4
	v_and_b32_e32 v115, v115, v117
	v_xor_b32_e32 v117, vcc_hi, v4
	v_xor_b32_e32 v4, vcc_lo, v4
	v_and_b32_e32 v22, v22, v4
	v_lshlrev_b32_e32 v4, 28, v21
	v_cmp_gt_i64_e32 vcc, 0, v[3:4]
	v_not_b32_e32 v4, v4
	v_ashrrev_i32_e32 v4, 31, v4
	v_and_b32_e32 v115, v115, v117
	;; [unrolled: 8-line block ×5, first 2 shown]
	v_xor_b32_e32 v117, vcc_hi, v4
	v_xor_b32_e32 v4, vcc_lo, v4
	v_and_b32_e32 v115, v115, v117
	v_and_b32_e32 v117, v22, v4
	v_lshlrev_b32_e32 v4, 24, v21
	v_cmp_gt_i64_e32 vcc, 0, v[3:4]
	v_not_b32_e32 v4, v4
	v_ashrrev_i32_e32 v4, 31, v4
	v_mul_u32_u24_e32 v116, 20, v21
	v_xor_b32_e32 v21, vcc_hi, v4
	v_xor_b32_e32 v4, vcc_lo, v4
	v_and_b32_e32 v22, v115, v21
	v_and_b32_e32 v21, v117, v4
	v_mbcnt_lo_u32_b32 v4, v21, 0
	v_mbcnt_hi_u32_b32 v115, v22, v4
	v_cmp_ne_u64_e32 vcc, 0, v[21:22]
	v_cmp_eq_u32_e64 s[36:37], 0, v115
	s_and_b64 s[38:39], vcc, s[36:37]
	v_add_u32_e32 v118, v91, v116
	; wave barrier
	s_and_saveexec_b64 s[36:37], s[38:39]
	s_cbranch_execz .LBB1876_429
; %bb.428:                              ;   in Loop: Header=BB1876_399 Depth=2
	v_bcnt_u32_b32 v4, v21, 0
	v_bcnt_u32_b32 v4, v22, v4
	s_waitcnt lgkmcnt(0)
	v_add_u32_e32 v4, v113, v4
	ds_write_b32 v118, v4 offset:1040
.LBB1876_429:                           ;   in Loop: Header=BB1876_399 Depth=2
	s_or_b64 exec, exec, s[36:37]
	v_cmp_lt_i16_e32 vcc, -1, v108
	v_cndmask_b32_e32 v4, -1, v65, vcc
	v_xor_b32_e32 v116, v4, v108
	v_cmp_ne_u16_e32 vcc, s62, v116
	v_cndmask_b32_e32 v4, v65, v116, vcc
	v_lshrrev_b32_sdwa v4, s77, v4 dst_sel:DWORD dst_unused:UNUSED_PAD src0_sel:DWORD src1_sel:WORD_0
	v_and_b32_e32 v21, s70, v4
	v_mad_u32_u24 v4, v21, 20, v91
	; wave barrier
	ds_read_b32 v117, v4 offset:1040
	v_and_b32_e32 v4, 1, v21
	v_add_co_u32_e32 v22, vcc, -1, v4
	v_addc_co_u32_e64 v119, s[36:37], 0, -1, vcc
	v_cmp_ne_u32_e32 vcc, 0, v4
	v_xor_b32_e32 v4, vcc_hi, v119
	v_and_b32_e32 v119, exec_hi, v4
	v_lshlrev_b32_e32 v4, 30, v21
	v_xor_b32_e32 v22, vcc_lo, v22
	v_cmp_gt_i64_e32 vcc, 0, v[3:4]
	v_not_b32_e32 v4, v4
	v_ashrrev_i32_e32 v4, 31, v4
	v_and_b32_e32 v22, exec_lo, v22
	v_xor_b32_e32 v120, vcc_hi, v4
	v_xor_b32_e32 v4, vcc_lo, v4
	v_and_b32_e32 v22, v22, v4
	v_lshlrev_b32_e32 v4, 29, v21
	v_cmp_gt_i64_e32 vcc, 0, v[3:4]
	v_not_b32_e32 v4, v4
	v_ashrrev_i32_e32 v4, 31, v4
	v_and_b32_e32 v119, v119, v120
	v_xor_b32_e32 v120, vcc_hi, v4
	v_xor_b32_e32 v4, vcc_lo, v4
	v_and_b32_e32 v22, v22, v4
	v_lshlrev_b32_e32 v4, 28, v21
	v_cmp_gt_i64_e32 vcc, 0, v[3:4]
	v_not_b32_e32 v4, v4
	v_ashrrev_i32_e32 v4, 31, v4
	v_and_b32_e32 v119, v119, v120
	;; [unrolled: 8-line block ×5, first 2 shown]
	v_xor_b32_e32 v120, vcc_hi, v4
	v_xor_b32_e32 v4, vcc_lo, v4
	v_and_b32_e32 v119, v119, v120
	v_and_b32_e32 v120, v22, v4
	v_lshlrev_b32_e32 v4, 24, v21
	v_cmp_gt_i64_e32 vcc, 0, v[3:4]
	v_not_b32_e32 v4, v4
	v_ashrrev_i32_e32 v4, 31, v4
	v_mul_u32_u24_e32 v108, 20, v21
	v_xor_b32_e32 v21, vcc_hi, v4
	v_xor_b32_e32 v4, vcc_lo, v4
	v_and_b32_e32 v22, v119, v21
	v_and_b32_e32 v21, v120, v4
	v_mbcnt_lo_u32_b32 v4, v21, 0
	v_mbcnt_hi_u32_b32 v119, v22, v4
	v_cmp_ne_u64_e32 vcc, 0, v[21:22]
	v_cmp_eq_u32_e64 s[36:37], 0, v119
	s_and_b64 s[38:39], vcc, s[36:37]
	v_add_u32_e32 v108, v91, v108
	; wave barrier
	s_and_saveexec_b64 s[36:37], s[38:39]
	s_cbranch_execz .LBB1876_431
; %bb.430:                              ;   in Loop: Header=BB1876_399 Depth=2
	v_bcnt_u32_b32 v4, v21, 0
	v_bcnt_u32_b32 v4, v22, v4
	s_waitcnt lgkmcnt(0)
	v_add_u32_e32 v4, v117, v4
	ds_write_b32 v108, v4 offset:1040
.LBB1876_431:                           ;   in Loop: Header=BB1876_399 Depth=2
	s_or_b64 exec, exec, s[36:37]
	v_cmp_lt_i16_e32 vcc, -1, v24
	v_cndmask_b32_e32 v4, -1, v65, vcc
	v_xor_b32_e32 v120, v4, v24
	v_cmp_ne_u16_e32 vcc, s62, v120
	v_cndmask_b32_e32 v4, v65, v120, vcc
	v_lshrrev_b32_sdwa v4, s77, v4 dst_sel:DWORD dst_unused:UNUSED_PAD src0_sel:DWORD src1_sel:WORD_0
	v_and_b32_e32 v21, s70, v4
	v_mad_u32_u24 v4, v21, 20, v91
	; wave barrier
	ds_read_b32 v121, v4 offset:1040
	v_and_b32_e32 v4, 1, v21
	v_add_co_u32_e32 v22, vcc, -1, v4
	v_addc_co_u32_e64 v122, s[36:37], 0, -1, vcc
	v_cmp_ne_u32_e32 vcc, 0, v4
	v_xor_b32_e32 v4, vcc_hi, v122
	v_and_b32_e32 v122, exec_hi, v4
	v_lshlrev_b32_e32 v4, 30, v21
	v_xor_b32_e32 v22, vcc_lo, v22
	v_cmp_gt_i64_e32 vcc, 0, v[3:4]
	v_not_b32_e32 v4, v4
	v_ashrrev_i32_e32 v4, 31, v4
	v_and_b32_e32 v22, exec_lo, v22
	v_xor_b32_e32 v123, vcc_hi, v4
	v_xor_b32_e32 v4, vcc_lo, v4
	v_and_b32_e32 v22, v22, v4
	v_lshlrev_b32_e32 v4, 29, v21
	v_cmp_gt_i64_e32 vcc, 0, v[3:4]
	v_not_b32_e32 v4, v4
	v_ashrrev_i32_e32 v4, 31, v4
	v_and_b32_e32 v122, v122, v123
	v_xor_b32_e32 v123, vcc_hi, v4
	v_xor_b32_e32 v4, vcc_lo, v4
	v_and_b32_e32 v22, v22, v4
	v_lshlrev_b32_e32 v4, 28, v21
	v_cmp_gt_i64_e32 vcc, 0, v[3:4]
	v_not_b32_e32 v4, v4
	v_ashrrev_i32_e32 v4, 31, v4
	v_and_b32_e32 v122, v122, v123
	;; [unrolled: 8-line block ×5, first 2 shown]
	v_xor_b32_e32 v123, vcc_hi, v4
	v_xor_b32_e32 v4, vcc_lo, v4
	v_and_b32_e32 v122, v122, v123
	v_and_b32_e32 v123, v22, v4
	v_lshlrev_b32_e32 v4, 24, v21
	v_cmp_gt_i64_e32 vcc, 0, v[3:4]
	v_not_b32_e32 v4, v4
	v_ashrrev_i32_e32 v4, 31, v4
	v_mul_u32_u24_e32 v24, 20, v21
	v_xor_b32_e32 v21, vcc_hi, v4
	v_xor_b32_e32 v4, vcc_lo, v4
	v_and_b32_e32 v22, v122, v21
	v_and_b32_e32 v21, v123, v4
	v_mbcnt_lo_u32_b32 v4, v21, 0
	v_mbcnt_hi_u32_b32 v122, v22, v4
	v_cmp_ne_u64_e32 vcc, 0, v[21:22]
	v_cmp_eq_u32_e64 s[36:37], 0, v122
	s_and_b64 s[38:39], vcc, s[36:37]
	v_add_u32_e32 v125, v91, v24
	; wave barrier
	s_and_saveexec_b64 s[36:37], s[38:39]
	s_cbranch_execz .LBB1876_433
; %bb.432:                              ;   in Loop: Header=BB1876_399 Depth=2
	v_bcnt_u32_b32 v4, v21, 0
	v_bcnt_u32_b32 v4, v22, v4
	s_waitcnt lgkmcnt(0)
	v_add_u32_e32 v4, v121, v4
	ds_write_b32 v125, v4 offset:1040
.LBB1876_433:                           ;   in Loop: Header=BB1876_399 Depth=2
	s_or_b64 exec, exec, s[36:37]
	v_cmp_lt_i16_e32 vcc, -1, v23
	v_cndmask_b32_e32 v4, -1, v65, vcc
	v_xor_b32_e32 v123, v4, v23
	v_cmp_ne_u16_e32 vcc, s62, v123
	v_cndmask_b32_e32 v4, v65, v123, vcc
	v_lshrrev_b32_sdwa v4, s77, v4 dst_sel:DWORD dst_unused:UNUSED_PAD src0_sel:DWORD src1_sel:WORD_0
	v_and_b32_e32 v21, s70, v4
	v_mad_u32_u24 v4, v21, 20, v91
	; wave barrier
	ds_read_b32 v124, v4 offset:1040
	v_and_b32_e32 v4, 1, v21
	v_add_co_u32_e32 v22, vcc, -1, v4
	v_addc_co_u32_e64 v24, s[36:37], 0, -1, vcc
	v_cmp_ne_u32_e32 vcc, 0, v4
	v_xor_b32_e32 v4, vcc_hi, v24
	v_and_b32_e32 v24, exec_hi, v4
	v_lshlrev_b32_e32 v4, 30, v21
	v_xor_b32_e32 v22, vcc_lo, v22
	v_cmp_gt_i64_e32 vcc, 0, v[3:4]
	v_not_b32_e32 v4, v4
	v_ashrrev_i32_e32 v4, 31, v4
	v_and_b32_e32 v22, exec_lo, v22
	v_xor_b32_e32 v126, vcc_hi, v4
	v_xor_b32_e32 v4, vcc_lo, v4
	v_and_b32_e32 v22, v22, v4
	v_lshlrev_b32_e32 v4, 29, v21
	v_cmp_gt_i64_e32 vcc, 0, v[3:4]
	v_not_b32_e32 v4, v4
	v_ashrrev_i32_e32 v4, 31, v4
	v_and_b32_e32 v24, v24, v126
	v_xor_b32_e32 v126, vcc_hi, v4
	v_xor_b32_e32 v4, vcc_lo, v4
	v_and_b32_e32 v22, v22, v4
	v_lshlrev_b32_e32 v4, 28, v21
	v_cmp_gt_i64_e32 vcc, 0, v[3:4]
	v_not_b32_e32 v4, v4
	v_ashrrev_i32_e32 v4, 31, v4
	v_and_b32_e32 v24, v24, v126
	;; [unrolled: 8-line block ×5, first 2 shown]
	v_xor_b32_e32 v126, vcc_hi, v4
	v_xor_b32_e32 v4, vcc_lo, v4
	v_and_b32_e32 v24, v24, v126
	v_and_b32_e32 v126, v22, v4
	v_lshlrev_b32_e32 v4, 24, v21
	v_cmp_gt_i64_e32 vcc, 0, v[3:4]
	v_not_b32_e32 v4, v4
	v_ashrrev_i32_e32 v4, 31, v4
	v_mul_u32_u24_e32 v23, 20, v21
	v_xor_b32_e32 v21, vcc_hi, v4
	v_xor_b32_e32 v4, vcc_lo, v4
	v_and_b32_e32 v22, v24, v21
	v_and_b32_e32 v21, v126, v4
	v_mbcnt_lo_u32_b32 v4, v21, 0
	v_mbcnt_hi_u32_b32 v126, v22, v4
	v_cmp_ne_u64_e32 vcc, 0, v[21:22]
	v_cmp_eq_u32_e64 s[36:37], 0, v126
	s_and_b64 s[38:39], vcc, s[36:37]
	v_add_u32_e32 v4, v91, v23
	; wave barrier
	s_and_saveexec_b64 s[36:37], s[38:39]
	s_cbranch_execz .LBB1876_435
; %bb.434:                              ;   in Loop: Header=BB1876_399 Depth=2
	v_bcnt_u32_b32 v21, v21, 0
	v_bcnt_u32_b32 v21, v22, v21
	s_waitcnt lgkmcnt(0)
	v_add_u32_e32 v21, v124, v21
	ds_write_b32 v4, v21 offset:1040
.LBB1876_435:                           ;   in Loop: Header=BB1876_399 Depth=2
	s_or_b64 exec, exec, s[36:37]
	; wave barrier
	s_waitcnt lgkmcnt(0)
	s_barrier
	ds_read2_b32 v[23:24], v62 offset1:1
	ds_read2_b32 v[21:22], v63 offset1:1
	ds_read_b32 v127, v41 offset:1056
	s_waitcnt lgkmcnt(1)
	v_add3_u32 v128, v24, v23, v21
	s_waitcnt lgkmcnt(0)
	v_add3_u32 v127, v128, v22, v127
	s_nop 1
	v_mov_b32_dpp v128, v127 row_shr:1 row_mask:0xf bank_mask:0xf
	v_cndmask_b32_e64 v128, v128, 0, s[16:17]
	v_add_u32_e32 v127, v128, v127
	s_nop 1
	v_mov_b32_dpp v128, v127 row_shr:2 row_mask:0xf bank_mask:0xf
	v_cndmask_b32_e64 v128, 0, v128, s[18:19]
	v_add_u32_e32 v127, v127, v128
	;; [unrolled: 4-line block ×4, first 2 shown]
	s_nop 1
	v_mov_b32_dpp v128, v127 row_bcast:15 row_mask:0xf bank_mask:0xf
	v_cndmask_b32_e64 v128, v128, 0, s[24:25]
	v_add_u32_e32 v127, v127, v128
	s_nop 1
	v_mov_b32_dpp v128, v127 row_bcast:31 row_mask:0xf bank_mask:0xf
	v_cndmask_b32_e64 v128, 0, v128, s[26:27]
	v_add_u32_e32 v127, v127, v128
	s_and_saveexec_b64 s[36:37], s[6:7]
; %bb.436:                              ;   in Loop: Header=BB1876_399 Depth=2
	ds_write_b32 v37, v127 offset:1024
; %bb.437:                              ;   in Loop: Header=BB1876_399 Depth=2
	s_or_b64 exec, exec, s[36:37]
	s_waitcnt lgkmcnt(0)
	s_barrier
	s_and_saveexec_b64 s[36:37], s[8:9]
	s_cbranch_execz .LBB1876_439
; %bb.438:                              ;   in Loop: Header=BB1876_399 Depth=2
	ds_read_b32 v128, v42 offset:1024
	s_waitcnt lgkmcnt(0)
	s_nop 0
	v_mov_b32_dpp v129, v128 row_shr:1 row_mask:0xf bank_mask:0xf
	v_cndmask_b32_e64 v129, v129, 0, s[30:31]
	v_add_u32_e32 v128, v129, v128
	s_nop 1
	v_mov_b32_dpp v129, v128 row_shr:2 row_mask:0xf bank_mask:0xf
	v_cndmask_b32_e64 v129, 0, v129, s[34:35]
	v_add_u32_e32 v128, v128, v129
	ds_write_b32 v42, v128 offset:1024
.LBB1876_439:                           ;   in Loop: Header=BB1876_399 Depth=2
	s_or_b64 exec, exec, s[36:37]
	v_mov_b32_e32 v128, 0
	s_waitcnt lgkmcnt(0)
	s_barrier
	s_and_saveexec_b64 s[36:37], s[10:11]
; %bb.440:                              ;   in Loop: Header=BB1876_399 Depth=2
	ds_read_b32 v128, v37 offset:1020
; %bb.441:                              ;   in Loop: Header=BB1876_399 Depth=2
	s_or_b64 exec, exec, s[36:37]
	s_waitcnt lgkmcnt(0)
	v_add_u32_e32 v127, v128, v127
	ds_bpermute_b32 v127, v82, v127
	s_waitcnt lgkmcnt(0)
	v_cndmask_b32_e64 v127, v127, v128, s[28:29]
	v_cndmask_b32_e64 v127, v127, 0, s[12:13]
	v_add_u32_e32 v23, v127, v23
	v_add_u32_e32 v24, v23, v24
	v_add_u32_e32 v21, v24, v21
	v_add_u32_e32 v22, v21, v22
	ds_write2_b32 v62, v127, v23 offset1:1
	ds_write2_b32 v63, v24, v21 offset1:1
	ds_write_b32 v41, v22 offset:1056
	s_waitcnt lgkmcnt(0)
	s_barrier
	ds_read_b32 v21, v101 offset:1040
	ds_read_b32 v22, v105 offset:1040
	;; [unrolled: 1-line block ×9, first 2 shown]
	v_mov_b32_e32 v4, 0x800
	s_and_saveexec_b64 s[36:37], s[14:15]
; %bb.442:                              ;   in Loop: Header=BB1876_399 Depth=2
	ds_read_b32 v4, v41 offset:1060
; %bb.443:                              ;   in Loop: Header=BB1876_399 Depth=2
	s_or_b64 exec, exec, s[36:37]
	s_waitcnt lgkmcnt(0)
	s_barrier
	s_and_saveexec_b64 s[36:37], s[4:5]
	s_cbranch_execz .LBB1876_445
; %bb.444:                              ;   in Loop: Header=BB1876_399 Depth=2
	ds_read_b32 v105, v25
	s_waitcnt lgkmcnt(0)
	v_sub_u32_e32 v101, v105, v101
	ds_write_b32 v25, v101
.LBB1876_445:                           ;   in Loop: Header=BB1876_399 Depth=2
	s_or_b64 exec, exec, s[36:37]
	v_add_u32_e32 v108, v21, v98
	v_add3_u32 v105, v102, v100, v22
	v_lshlrev_b32_e32 v21, 1, v108
	v_add3_u32 v102, v106, v104, v23
	ds_write_b16 v21, v97 offset:1024
	v_lshlrev_b32_e32 v21, 1, v105
	v_add3_u32 v101, v111, v109, v24
	ds_write_b16 v21, v99 offset:1024
	;; [unrolled: 3-line block ×6, first 2 shown]
	v_lshlrev_b32_e32 v21, 1, v24
	ds_write_b16 v21, v120 offset:1024
	v_lshlrev_b32_e32 v21, 1, v23
	v_cmp_lt_u32_e32 vcc, v0, v96
	ds_write_b16 v21, v123 offset:1024
	s_waitcnt lgkmcnt(0)
	s_barrier
	s_and_saveexec_b64 s[38:39], vcc
	s_cbranch_execnz .LBB1876_482
; %bb.446:                              ;   in Loop: Header=BB1876_399 Depth=2
	s_or_b64 exec, exec, s[38:39]
	v_cmp_lt_u32_e64 s[36:37], v26, v96
	s_and_saveexec_b64 s[40:41], s[36:37]
	s_cbranch_execnz .LBB1876_483
.LBB1876_447:                           ;   in Loop: Header=BB1876_399 Depth=2
	s_or_b64 exec, exec, s[40:41]
	v_cmp_lt_u32_e64 s[38:39], v27, v96
	s_and_saveexec_b64 s[42:43], s[38:39]
	s_cbranch_execnz .LBB1876_484
.LBB1876_448:                           ;   in Loop: Header=BB1876_399 Depth=2
	s_or_b64 exec, exec, s[42:43]
	v_cmp_lt_u32_e64 s[40:41], v28, v96
	s_and_saveexec_b64 s[44:45], s[40:41]
	s_cbranch_execnz .LBB1876_485
.LBB1876_449:                           ;   in Loop: Header=BB1876_399 Depth=2
	s_or_b64 exec, exec, s[44:45]
	v_cmp_lt_u32_e64 s[42:43], v31, v96
	s_and_saveexec_b64 s[46:47], s[42:43]
	s_cbranch_execnz .LBB1876_486
.LBB1876_450:                           ;   in Loop: Header=BB1876_399 Depth=2
	s_or_b64 exec, exec, s[46:47]
	v_cmp_lt_u32_e64 s[44:45], v32, v96
	s_and_saveexec_b64 s[48:49], s[44:45]
	s_cbranch_execnz .LBB1876_487
.LBB1876_451:                           ;   in Loop: Header=BB1876_399 Depth=2
	s_or_b64 exec, exec, s[48:49]
	v_cmp_lt_u32_e64 s[46:47], v33, v96
	s_and_saveexec_b64 s[52:53], s[46:47]
	s_cbranch_execnz .LBB1876_488
.LBB1876_452:                           ;   in Loop: Header=BB1876_399 Depth=2
	s_or_b64 exec, exec, s[52:53]
	v_cmp_lt_u32_e64 s[48:49], v34, v96
	s_and_saveexec_b64 s[60:61], s[48:49]
	s_cbranch_execz .LBB1876_454
.LBB1876_453:                           ;   in Loop: Header=BB1876_399 Depth=2
	ds_read_u16 v21, v47 offset:4608
	v_mov_b32_e32 v22, v3
	v_mov_b32_e32 v99, s67
	s_waitcnt lgkmcnt(0)
	v_cmp_ne_u16_e64 s[52:53], s62, v21
	v_cndmask_b32_e64 v97, v65, v21, s[52:53]
	v_lshrrev_b32_sdwa v97, s77, v97 dst_sel:DWORD dst_unused:UNUSED_PAD src0_sel:DWORD src1_sel:WORD_0
	v_and_b32_e32 v97, s70, v97
	v_lshlrev_b32_e32 v97, 2, v97
	ds_read_b32 v97, v97
	v_cmp_lt_i16_e64 s[52:53], -1, v21
	v_cndmask_b32_e64 v103, v65, -1, s[52:53]
	v_xor_b32_e32 v103, v103, v21
	s_waitcnt lgkmcnt(0)
	v_add_u32_e32 v21, v97, v34
	v_lshlrev_b64 v[21:22], 1, v[21:22]
	v_add_co_u32_e64 v21, s[52:53], s66, v21
	v_addc_co_u32_e64 v22, s[52:53], v99, v22, s[52:53]
	global_store_short v[21:22], v103, off
.LBB1876_454:                           ;   in Loop: Header=BB1876_399 Depth=2
	s_or_b64 exec, exec, s[60:61]
	s_lshl_b64 s[52:53], s[58:59], 3
	v_mov_b32_e32 v22, s53
	v_add_co_u32_e64 v21, s[52:53], s52, v83
	v_addc_co_u32_e64 v22, s[52:53], v84, v22, s[52:53]
	v_cmp_lt_u32_e64 s[52:53], v73, v96
	s_and_saveexec_b64 s[60:61], s[52:53]
	s_xor_b64 s[52:53], exec, s[60:61]
	s_cbranch_execnz .LBB1876_489
; %bb.455:                              ;   in Loop: Header=BB1876_399 Depth=2
	s_or_b64 exec, exec, s[52:53]
	v_cmp_lt_u32_e64 s[52:53], v74, v96
	s_and_saveexec_b64 s[60:61], s[52:53]
	s_cbranch_execnz .LBB1876_490
.LBB1876_456:                           ;   in Loop: Header=BB1876_399 Depth=2
	s_or_b64 exec, exec, s[60:61]
	v_cmp_lt_u32_e64 s[52:53], v75, v96
	s_and_saveexec_b64 s[60:61], s[52:53]
	s_cbranch_execnz .LBB1876_491
.LBB1876_457:                           ;   in Loop: Header=BB1876_399 Depth=2
	s_or_b64 exec, exec, s[60:61]
	v_cmp_lt_u32_e64 s[52:53], v76, v96
	s_and_saveexec_b64 s[60:61], s[52:53]
	s_cbranch_execnz .LBB1876_492
.LBB1876_458:                           ;   in Loop: Header=BB1876_399 Depth=2
	s_or_b64 exec, exec, s[60:61]
	v_cmp_lt_u32_e64 s[52:53], v77, v96
	s_and_saveexec_b64 s[60:61], s[52:53]
	s_cbranch_execnz .LBB1876_493
.LBB1876_459:                           ;   in Loop: Header=BB1876_399 Depth=2
	s_or_b64 exec, exec, s[60:61]
	v_cmp_lt_u32_e64 s[52:53], v78, v96
	s_and_saveexec_b64 s[60:61], s[52:53]
	s_cbranch_execnz .LBB1876_494
.LBB1876_460:                           ;   in Loop: Header=BB1876_399 Depth=2
	s_or_b64 exec, exec, s[60:61]
	v_cmp_lt_u32_e64 s[52:53], v79, v96
	s_and_saveexec_b64 s[60:61], s[52:53]
	s_cbranch_execnz .LBB1876_495
.LBB1876_461:                           ;   in Loop: Header=BB1876_399 Depth=2
	s_or_b64 exec, exec, s[60:61]
	v_cmp_lt_u32_e64 s[52:53], v80, v96
	s_and_saveexec_b64 s[60:61], s[52:53]
	s_cbranch_execnz .LBB1876_496
.LBB1876_462:                           ;   in Loop: Header=BB1876_399 Depth=2
	s_or_b64 exec, exec, s[60:61]
	s_and_saveexec_b64 s[60:61], vcc
	s_cbranch_execnz .LBB1876_497
.LBB1876_463:                           ;   in Loop: Header=BB1876_399 Depth=2
	s_or_b64 exec, exec, s[60:61]
	s_and_saveexec_b64 s[60:61], s[36:37]
	s_cbranch_execnz .LBB1876_498
.LBB1876_464:                           ;   in Loop: Header=BB1876_399 Depth=2
	s_or_b64 exec, exec, s[60:61]
	s_and_saveexec_b64 s[60:61], s[38:39]
	s_cbranch_execnz .LBB1876_499
.LBB1876_465:                           ;   in Loop: Header=BB1876_399 Depth=2
	s_or_b64 exec, exec, s[60:61]
	s_and_saveexec_b64 s[60:61], s[40:41]
	s_cbranch_execnz .LBB1876_500
.LBB1876_466:                           ;   in Loop: Header=BB1876_399 Depth=2
	s_or_b64 exec, exec, s[60:61]
	s_and_saveexec_b64 s[60:61], s[42:43]
	s_cbranch_execnz .LBB1876_501
.LBB1876_467:                           ;   in Loop: Header=BB1876_399 Depth=2
	s_or_b64 exec, exec, s[60:61]
	s_and_saveexec_b64 s[60:61], s[44:45]
	s_cbranch_execnz .LBB1876_502
.LBB1876_468:                           ;   in Loop: Header=BB1876_399 Depth=2
	s_or_b64 exec, exec, s[60:61]
	s_and_saveexec_b64 s[60:61], s[46:47]
	s_cbranch_execnz .LBB1876_503
.LBB1876_469:                           ;   in Loop: Header=BB1876_399 Depth=2
	s_or_b64 exec, exec, s[60:61]
	s_and_saveexec_b64 s[60:61], s[48:49]
	s_cbranch_execz .LBB1876_471
.LBB1876_470:                           ;   in Loop: Header=BB1876_399 Depth=2
	ds_read_u16 v21, v47 offset:4608
	s_waitcnt lgkmcnt(0)
	v_cmp_ne_u16_e64 s[52:53], s62, v21
	v_cndmask_b32_e64 v21, v65, v21, s[52:53]
	v_lshrrev_b32_sdwa v21, s77, v21 dst_sel:DWORD dst_unused:UNUSED_PAD src0_sel:DWORD src1_sel:WORD_0
	v_and_b32_e32 v87, s70, v21
.LBB1876_471:                           ;   in Loop: Header=BB1876_399 Depth=2
	s_or_b64 exec, exec, s[60:61]
	v_lshlrev_b32_e32 v21, 3, v108
	s_waitcnt vmcnt(0)
	s_barrier
	ds_write_b64 v21, v[19:20] offset:1024
	v_lshlrev_b32_e32 v21, 3, v105
	ds_write_b64 v21, v[17:18] offset:1024
	v_lshlrev_b32_e32 v21, 3, v102
	;; [unrolled: 2-line block ×7, first 2 shown]
	ds_write_b64 v21, v[5:6] offset:1024
	s_waitcnt lgkmcnt(0)
	s_barrier
	s_and_saveexec_b64 s[52:53], vcc
	s_cbranch_execnz .LBB1876_504
; %bb.472:                              ;   in Loop: Header=BB1876_399 Depth=2
	s_or_b64 exec, exec, s[52:53]
	s_and_saveexec_b64 s[52:53], s[36:37]
	s_cbranch_execnz .LBB1876_505
.LBB1876_473:                           ;   in Loop: Header=BB1876_399 Depth=2
	s_or_b64 exec, exec, s[52:53]
	s_and_saveexec_b64 s[36:37], s[38:39]
	s_cbranch_execnz .LBB1876_506
.LBB1876_474:                           ;   in Loop: Header=BB1876_399 Depth=2
	s_or_b64 exec, exec, s[36:37]
	s_and_saveexec_b64 s[36:37], s[40:41]
	s_cbranch_execnz .LBB1876_507
.LBB1876_475:                           ;   in Loop: Header=BB1876_399 Depth=2
	s_or_b64 exec, exec, s[36:37]
	s_and_saveexec_b64 s[36:37], s[42:43]
	s_cbranch_execnz .LBB1876_508
.LBB1876_476:                           ;   in Loop: Header=BB1876_399 Depth=2
	s_or_b64 exec, exec, s[36:37]
	s_and_saveexec_b64 s[36:37], s[44:45]
	s_cbranch_execnz .LBB1876_509
.LBB1876_477:                           ;   in Loop: Header=BB1876_399 Depth=2
	s_or_b64 exec, exec, s[36:37]
	s_and_saveexec_b64 s[36:37], s[46:47]
	s_cbranch_execnz .LBB1876_510
.LBB1876_478:                           ;   in Loop: Header=BB1876_399 Depth=2
	s_or_b64 exec, exec, s[36:37]
	s_and_saveexec_b64 s[36:37], s[48:49]
	s_cbranch_execz .LBB1876_480
.LBB1876_479:                           ;   in Loop: Header=BB1876_399 Depth=2
	v_lshlrev_b32_e32 v21, 2, v87
	ds_read_b32 v23, v21
	v_add_u32_e32 v21, v47, v48
	ds_read_b64 v[21:22], v21 offset:15360
	v_mov_b32_e32 v24, v3
	v_mov_b32_e32 v96, s73
	s_waitcnt lgkmcnt(1)
	v_add_u32_e32 v23, v23, v34
	v_lshlrev_b64 v[23:24], 3, v[23:24]
	v_add_co_u32_e32 v23, vcc, s72, v23
	v_addc_co_u32_e32 v24, vcc, v96, v24, vcc
	s_waitcnt lgkmcnt(0)
	global_store_dwordx2 v[23:24], v[21:22], off
.LBB1876_480:                           ;   in Loop: Header=BB1876_399 Depth=2
	s_or_b64 exec, exec, s[36:37]
	s_waitcnt vmcnt(0)
	s_barrier
	s_and_saveexec_b64 s[36:37], s[4:5]
	s_cbranch_execz .LBB1876_398
; %bb.481:                              ;   in Loop: Header=BB1876_399 Depth=2
	ds_read_b32 v21, v25
	s_waitcnt lgkmcnt(0)
	v_add_u32_e32 v4, v21, v4
	ds_write_b32 v25, v4
	s_branch .LBB1876_398
.LBB1876_482:                           ;   in Loop: Header=BB1876_399 Depth=2
	ds_read_u16 v21, v47 offset:1024
	v_mov_b32_e32 v22, v3
	v_mov_b32_e32 v99, s67
	s_waitcnt lgkmcnt(0)
	v_cmp_ne_u16_e64 s[36:37], s62, v21
	v_cndmask_b32_e64 v97, v65, v21, s[36:37]
	v_lshrrev_b32_sdwa v97, s77, v97 dst_sel:DWORD dst_unused:UNUSED_PAD src0_sel:DWORD src1_sel:WORD_0
	v_and_b32_e32 v97, s70, v97
	v_lshlrev_b32_e32 v97, 2, v97
	ds_read_b32 v97, v97
	v_cmp_lt_i16_e64 s[36:37], -1, v21
	v_cndmask_b32_e64 v103, v65, -1, s[36:37]
	v_xor_b32_e32 v103, v103, v21
	s_waitcnt lgkmcnt(0)
	v_add_u32_e32 v21, v97, v0
	v_lshlrev_b64 v[21:22], 1, v[21:22]
	v_add_co_u32_e64 v21, s[36:37], s66, v21
	v_addc_co_u32_e64 v22, s[36:37], v99, v22, s[36:37]
	global_store_short v[21:22], v103, off
	s_or_b64 exec, exec, s[38:39]
	v_cmp_lt_u32_e64 s[36:37], v26, v96
	s_and_saveexec_b64 s[40:41], s[36:37]
	s_cbranch_execz .LBB1876_447
.LBB1876_483:                           ;   in Loop: Header=BB1876_399 Depth=2
	ds_read_u16 v21, v47 offset:1536
	v_mov_b32_e32 v22, v3
	v_mov_b32_e32 v99, s67
	s_waitcnt lgkmcnt(0)
	v_cmp_ne_u16_e64 s[38:39], s62, v21
	v_cndmask_b32_e64 v97, v65, v21, s[38:39]
	v_lshrrev_b32_sdwa v97, s77, v97 dst_sel:DWORD dst_unused:UNUSED_PAD src0_sel:DWORD src1_sel:WORD_0
	v_and_b32_e32 v97, s70, v97
	v_lshlrev_b32_e32 v97, 2, v97
	ds_read_b32 v97, v97
	v_cmp_lt_i16_e64 s[38:39], -1, v21
	v_cndmask_b32_e64 v103, v65, -1, s[38:39]
	v_xor_b32_e32 v103, v103, v21
	s_waitcnt lgkmcnt(0)
	v_add_u32_e32 v21, v97, v26
	v_lshlrev_b64 v[21:22], 1, v[21:22]
	v_add_co_u32_e64 v21, s[38:39], s66, v21
	v_addc_co_u32_e64 v22, s[38:39], v99, v22, s[38:39]
	global_store_short v[21:22], v103, off
	s_or_b64 exec, exec, s[40:41]
	v_cmp_lt_u32_e64 s[38:39], v27, v96
	s_and_saveexec_b64 s[42:43], s[38:39]
	s_cbranch_execz .LBB1876_448
.LBB1876_484:                           ;   in Loop: Header=BB1876_399 Depth=2
	ds_read_u16 v21, v47 offset:2048
	v_mov_b32_e32 v22, v3
	v_mov_b32_e32 v99, s67
	s_waitcnt lgkmcnt(0)
	v_cmp_ne_u16_e64 s[40:41], s62, v21
	v_cndmask_b32_e64 v97, v65, v21, s[40:41]
	v_lshrrev_b32_sdwa v97, s77, v97 dst_sel:DWORD dst_unused:UNUSED_PAD src0_sel:DWORD src1_sel:WORD_0
	v_and_b32_e32 v97, s70, v97
	v_lshlrev_b32_e32 v97, 2, v97
	ds_read_b32 v97, v97
	v_cmp_lt_i16_e64 s[40:41], -1, v21
	v_cndmask_b32_e64 v103, v65, -1, s[40:41]
	v_xor_b32_e32 v103, v103, v21
	s_waitcnt lgkmcnt(0)
	v_add_u32_e32 v21, v97, v27
	v_lshlrev_b64 v[21:22], 1, v[21:22]
	v_add_co_u32_e64 v21, s[40:41], s66, v21
	v_addc_co_u32_e64 v22, s[40:41], v99, v22, s[40:41]
	global_store_short v[21:22], v103, off
	s_or_b64 exec, exec, s[42:43]
	v_cmp_lt_u32_e64 s[40:41], v28, v96
	s_and_saveexec_b64 s[44:45], s[40:41]
	s_cbranch_execz .LBB1876_449
.LBB1876_485:                           ;   in Loop: Header=BB1876_399 Depth=2
	ds_read_u16 v21, v47 offset:2560
	v_mov_b32_e32 v22, v3
	v_mov_b32_e32 v99, s67
	s_waitcnt lgkmcnt(0)
	v_cmp_ne_u16_e64 s[42:43], s62, v21
	v_cndmask_b32_e64 v97, v65, v21, s[42:43]
	v_lshrrev_b32_sdwa v97, s77, v97 dst_sel:DWORD dst_unused:UNUSED_PAD src0_sel:DWORD src1_sel:WORD_0
	v_and_b32_e32 v97, s70, v97
	v_lshlrev_b32_e32 v97, 2, v97
	ds_read_b32 v97, v97
	v_cmp_lt_i16_e64 s[42:43], -1, v21
	v_cndmask_b32_e64 v103, v65, -1, s[42:43]
	v_xor_b32_e32 v103, v103, v21
	s_waitcnt lgkmcnt(0)
	v_add_u32_e32 v21, v97, v28
	v_lshlrev_b64 v[21:22], 1, v[21:22]
	v_add_co_u32_e64 v21, s[42:43], s66, v21
	v_addc_co_u32_e64 v22, s[42:43], v99, v22, s[42:43]
	global_store_short v[21:22], v103, off
	s_or_b64 exec, exec, s[44:45]
	v_cmp_lt_u32_e64 s[42:43], v31, v96
	s_and_saveexec_b64 s[46:47], s[42:43]
	s_cbranch_execz .LBB1876_450
.LBB1876_486:                           ;   in Loop: Header=BB1876_399 Depth=2
	ds_read_u16 v21, v47 offset:3072
	v_mov_b32_e32 v22, v3
	v_mov_b32_e32 v99, s67
	s_waitcnt lgkmcnt(0)
	v_cmp_ne_u16_e64 s[44:45], s62, v21
	v_cndmask_b32_e64 v97, v65, v21, s[44:45]
	v_lshrrev_b32_sdwa v97, s77, v97 dst_sel:DWORD dst_unused:UNUSED_PAD src0_sel:DWORD src1_sel:WORD_0
	v_and_b32_e32 v97, s70, v97
	v_lshlrev_b32_e32 v97, 2, v97
	ds_read_b32 v97, v97
	v_cmp_lt_i16_e64 s[44:45], -1, v21
	v_cndmask_b32_e64 v103, v65, -1, s[44:45]
	v_xor_b32_e32 v103, v103, v21
	s_waitcnt lgkmcnt(0)
	v_add_u32_e32 v21, v97, v31
	v_lshlrev_b64 v[21:22], 1, v[21:22]
	v_add_co_u32_e64 v21, s[44:45], s66, v21
	v_addc_co_u32_e64 v22, s[44:45], v99, v22, s[44:45]
	global_store_short v[21:22], v103, off
	s_or_b64 exec, exec, s[46:47]
	v_cmp_lt_u32_e64 s[44:45], v32, v96
	s_and_saveexec_b64 s[48:49], s[44:45]
	s_cbranch_execz .LBB1876_451
.LBB1876_487:                           ;   in Loop: Header=BB1876_399 Depth=2
	ds_read_u16 v21, v47 offset:3584
	v_mov_b32_e32 v22, v3
	v_mov_b32_e32 v99, s67
	s_waitcnt lgkmcnt(0)
	v_cmp_ne_u16_e64 s[46:47], s62, v21
	v_cndmask_b32_e64 v97, v65, v21, s[46:47]
	v_lshrrev_b32_sdwa v97, s77, v97 dst_sel:DWORD dst_unused:UNUSED_PAD src0_sel:DWORD src1_sel:WORD_0
	v_and_b32_e32 v97, s70, v97
	v_lshlrev_b32_e32 v97, 2, v97
	ds_read_b32 v97, v97
	v_cmp_lt_i16_e64 s[46:47], -1, v21
	v_cndmask_b32_e64 v103, v65, -1, s[46:47]
	v_xor_b32_e32 v103, v103, v21
	s_waitcnt lgkmcnt(0)
	v_add_u32_e32 v21, v97, v32
	v_lshlrev_b64 v[21:22], 1, v[21:22]
	v_add_co_u32_e64 v21, s[46:47], s66, v21
	v_addc_co_u32_e64 v22, s[46:47], v99, v22, s[46:47]
	global_store_short v[21:22], v103, off
	s_or_b64 exec, exec, s[48:49]
	v_cmp_lt_u32_e64 s[46:47], v33, v96
	s_and_saveexec_b64 s[52:53], s[46:47]
	s_cbranch_execz .LBB1876_452
.LBB1876_488:                           ;   in Loop: Header=BB1876_399 Depth=2
	ds_read_u16 v21, v47 offset:4096
	v_mov_b32_e32 v22, v3
	v_mov_b32_e32 v99, s67
	s_waitcnt lgkmcnt(0)
	v_cmp_ne_u16_e64 s[48:49], s62, v21
	v_cndmask_b32_e64 v97, v65, v21, s[48:49]
	v_lshrrev_b32_sdwa v97, s77, v97 dst_sel:DWORD dst_unused:UNUSED_PAD src0_sel:DWORD src1_sel:WORD_0
	v_and_b32_e32 v97, s70, v97
	v_lshlrev_b32_e32 v97, 2, v97
	ds_read_b32 v97, v97
	v_cmp_lt_i16_e64 s[48:49], -1, v21
	v_cndmask_b32_e64 v103, v65, -1, s[48:49]
	v_xor_b32_e32 v103, v103, v21
	s_waitcnt lgkmcnt(0)
	v_add_u32_e32 v21, v97, v33
	v_lshlrev_b64 v[21:22], 1, v[21:22]
	v_add_co_u32_e64 v21, s[48:49], s66, v21
	v_addc_co_u32_e64 v22, s[48:49], v99, v22, s[48:49]
	global_store_short v[21:22], v103, off
	s_or_b64 exec, exec, s[52:53]
	v_cmp_lt_u32_e64 s[48:49], v34, v96
	s_and_saveexec_b64 s[60:61], s[48:49]
	s_cbranch_execnz .LBB1876_453
	s_branch .LBB1876_454
.LBB1876_489:                           ;   in Loop: Header=BB1876_399 Depth=2
	global_load_dwordx2 v[19:20], v[21:22], off
	s_or_b64 exec, exec, s[52:53]
	v_cmp_lt_u32_e64 s[52:53], v74, v96
	s_and_saveexec_b64 s[60:61], s[52:53]
	s_cbranch_execz .LBB1876_456
.LBB1876_490:                           ;   in Loop: Header=BB1876_399 Depth=2
	global_load_dwordx2 v[17:18], v[21:22], off offset:512
	s_or_b64 exec, exec, s[60:61]
	v_cmp_lt_u32_e64 s[52:53], v75, v96
	s_and_saveexec_b64 s[60:61], s[52:53]
	s_cbranch_execz .LBB1876_457
.LBB1876_491:                           ;   in Loop: Header=BB1876_399 Depth=2
	global_load_dwordx2 v[15:16], v[21:22], off offset:1024
	s_or_b64 exec, exec, s[60:61]
	v_cmp_lt_u32_e64 s[52:53], v76, v96
	s_and_saveexec_b64 s[60:61], s[52:53]
	s_cbranch_execz .LBB1876_458
.LBB1876_492:                           ;   in Loop: Header=BB1876_399 Depth=2
	global_load_dwordx2 v[13:14], v[21:22], off offset:1536
	s_or_b64 exec, exec, s[60:61]
	v_cmp_lt_u32_e64 s[52:53], v77, v96
	s_and_saveexec_b64 s[60:61], s[52:53]
	s_cbranch_execz .LBB1876_459
.LBB1876_493:                           ;   in Loop: Header=BB1876_399 Depth=2
	global_load_dwordx2 v[11:12], v[21:22], off offset:2048
	s_or_b64 exec, exec, s[60:61]
	v_cmp_lt_u32_e64 s[52:53], v78, v96
	s_and_saveexec_b64 s[60:61], s[52:53]
	s_cbranch_execz .LBB1876_460
.LBB1876_494:                           ;   in Loop: Header=BB1876_399 Depth=2
	global_load_dwordx2 v[9:10], v[21:22], off offset:2560
	s_or_b64 exec, exec, s[60:61]
	v_cmp_lt_u32_e64 s[52:53], v79, v96
	s_and_saveexec_b64 s[60:61], s[52:53]
	s_cbranch_execz .LBB1876_461
.LBB1876_495:                           ;   in Loop: Header=BB1876_399 Depth=2
	global_load_dwordx2 v[7:8], v[21:22], off offset:3072
	s_or_b64 exec, exec, s[60:61]
	v_cmp_lt_u32_e64 s[52:53], v80, v96
	s_and_saveexec_b64 s[60:61], s[52:53]
	s_cbranch_execz .LBB1876_462
.LBB1876_496:                           ;   in Loop: Header=BB1876_399 Depth=2
	global_load_dwordx2 v[5:6], v[21:22], off offset:3584
	s_or_b64 exec, exec, s[60:61]
	s_and_saveexec_b64 s[60:61], vcc
	s_cbranch_execz .LBB1876_463
.LBB1876_497:                           ;   in Loop: Header=BB1876_399 Depth=2
	ds_read_u16 v21, v47 offset:1024
	s_waitcnt lgkmcnt(0)
	v_cmp_ne_u16_e64 s[52:53], s62, v21
	v_cndmask_b32_e64 v21, v65, v21, s[52:53]
	v_lshrrev_b32_sdwa v21, s77, v21 dst_sel:DWORD dst_unused:UNUSED_PAD src0_sel:DWORD src1_sel:WORD_0
	v_and_b32_e32 v95, s70, v21
	s_or_b64 exec, exec, s[60:61]
	s_and_saveexec_b64 s[60:61], s[36:37]
	s_cbranch_execz .LBB1876_464
.LBB1876_498:                           ;   in Loop: Header=BB1876_399 Depth=2
	ds_read_u16 v21, v47 offset:1536
	s_waitcnt lgkmcnt(0)
	v_cmp_ne_u16_e64 s[52:53], s62, v21
	v_cndmask_b32_e64 v21, v65, v21, s[52:53]
	v_lshrrev_b32_sdwa v21, s77, v21 dst_sel:DWORD dst_unused:UNUSED_PAD src0_sel:DWORD src1_sel:WORD_0
	v_and_b32_e32 v94, s70, v21
	s_or_b64 exec, exec, s[60:61]
	s_and_saveexec_b64 s[60:61], s[38:39]
	s_cbranch_execz .LBB1876_465
.LBB1876_499:                           ;   in Loop: Header=BB1876_399 Depth=2
	ds_read_u16 v21, v47 offset:2048
	s_waitcnt lgkmcnt(0)
	v_cmp_ne_u16_e64 s[52:53], s62, v21
	v_cndmask_b32_e64 v21, v65, v21, s[52:53]
	v_lshrrev_b32_sdwa v21, s77, v21 dst_sel:DWORD dst_unused:UNUSED_PAD src0_sel:DWORD src1_sel:WORD_0
	v_and_b32_e32 v93, s70, v21
	s_or_b64 exec, exec, s[60:61]
	s_and_saveexec_b64 s[60:61], s[40:41]
	s_cbranch_execz .LBB1876_466
.LBB1876_500:                           ;   in Loop: Header=BB1876_399 Depth=2
	ds_read_u16 v21, v47 offset:2560
	s_waitcnt lgkmcnt(0)
	v_cmp_ne_u16_e64 s[52:53], s62, v21
	v_cndmask_b32_e64 v21, v65, v21, s[52:53]
	v_lshrrev_b32_sdwa v21, s77, v21 dst_sel:DWORD dst_unused:UNUSED_PAD src0_sel:DWORD src1_sel:WORD_0
	v_and_b32_e32 v92, s70, v21
	s_or_b64 exec, exec, s[60:61]
	s_and_saveexec_b64 s[60:61], s[42:43]
	s_cbranch_execz .LBB1876_467
.LBB1876_501:                           ;   in Loop: Header=BB1876_399 Depth=2
	ds_read_u16 v21, v47 offset:3072
	s_waitcnt lgkmcnt(0)
	v_cmp_ne_u16_e64 s[52:53], s62, v21
	v_cndmask_b32_e64 v21, v65, v21, s[52:53]
	v_lshrrev_b32_sdwa v21, s77, v21 dst_sel:DWORD dst_unused:UNUSED_PAD src0_sel:DWORD src1_sel:WORD_0
	v_and_b32_e32 v90, s70, v21
	s_or_b64 exec, exec, s[60:61]
	s_and_saveexec_b64 s[60:61], s[44:45]
	s_cbranch_execz .LBB1876_468
.LBB1876_502:                           ;   in Loop: Header=BB1876_399 Depth=2
	ds_read_u16 v21, v47 offset:3584
	s_waitcnt lgkmcnt(0)
	v_cmp_ne_u16_e64 s[52:53], s62, v21
	v_cndmask_b32_e64 v21, v65, v21, s[52:53]
	v_lshrrev_b32_sdwa v21, s77, v21 dst_sel:DWORD dst_unused:UNUSED_PAD src0_sel:DWORD src1_sel:WORD_0
	v_and_b32_e32 v89, s70, v21
	s_or_b64 exec, exec, s[60:61]
	s_and_saveexec_b64 s[60:61], s[46:47]
	s_cbranch_execz .LBB1876_469
.LBB1876_503:                           ;   in Loop: Header=BB1876_399 Depth=2
	ds_read_u16 v21, v47 offset:4096
	s_waitcnt lgkmcnt(0)
	v_cmp_ne_u16_e64 s[52:53], s62, v21
	v_cndmask_b32_e64 v21, v65, v21, s[52:53]
	v_lshrrev_b32_sdwa v21, s77, v21 dst_sel:DWORD dst_unused:UNUSED_PAD src0_sel:DWORD src1_sel:WORD_0
	v_and_b32_e32 v88, s70, v21
	s_or_b64 exec, exec, s[60:61]
	s_and_saveexec_b64 s[60:61], s[48:49]
	s_cbranch_execnz .LBB1876_470
	s_branch .LBB1876_471
.LBB1876_504:                           ;   in Loop: Header=BB1876_399 Depth=2
	v_lshlrev_b32_e32 v21, 2, v95
	ds_read_b32 v23, v21
	v_add_u32_e32 v21, v47, v48
	ds_read_b64 v[21:22], v21 offset:1024
	v_mov_b32_e32 v24, v3
	v_mov_b32_e32 v96, s73
	s_waitcnt lgkmcnt(1)
	v_add_u32_e32 v23, v23, v0
	v_lshlrev_b64 v[23:24], 3, v[23:24]
	v_add_co_u32_e32 v23, vcc, s72, v23
	v_addc_co_u32_e32 v24, vcc, v96, v24, vcc
	s_waitcnt lgkmcnt(0)
	global_store_dwordx2 v[23:24], v[21:22], off
	s_or_b64 exec, exec, s[52:53]
	s_and_saveexec_b64 s[52:53], s[36:37]
	s_cbranch_execz .LBB1876_473
.LBB1876_505:                           ;   in Loop: Header=BB1876_399 Depth=2
	v_lshlrev_b32_e32 v21, 2, v94
	ds_read_b32 v23, v21
	v_add_u32_e32 v21, v47, v48
	ds_read_b64 v[21:22], v21 offset:3072
	v_mov_b32_e32 v24, v3
	v_mov_b32_e32 v96, s73
	s_waitcnt lgkmcnt(1)
	v_add_u32_e32 v23, v23, v26
	v_lshlrev_b64 v[23:24], 3, v[23:24]
	v_add_co_u32_e32 v23, vcc, s72, v23
	v_addc_co_u32_e32 v24, vcc, v96, v24, vcc
	s_waitcnt lgkmcnt(0)
	global_store_dwordx2 v[23:24], v[21:22], off
	s_or_b64 exec, exec, s[52:53]
	s_and_saveexec_b64 s[36:37], s[38:39]
	s_cbranch_execz .LBB1876_474
.LBB1876_506:                           ;   in Loop: Header=BB1876_399 Depth=2
	v_lshlrev_b32_e32 v21, 2, v93
	ds_read_b32 v23, v21
	v_add_u32_e32 v21, v47, v48
	ds_read_b64 v[21:22], v21 offset:5120
	v_mov_b32_e32 v24, v3
	v_mov_b32_e32 v96, s73
	s_waitcnt lgkmcnt(1)
	v_add_u32_e32 v23, v23, v27
	v_lshlrev_b64 v[23:24], 3, v[23:24]
	v_add_co_u32_e32 v23, vcc, s72, v23
	v_addc_co_u32_e32 v24, vcc, v96, v24, vcc
	s_waitcnt lgkmcnt(0)
	global_store_dwordx2 v[23:24], v[21:22], off
	s_or_b64 exec, exec, s[36:37]
	s_and_saveexec_b64 s[36:37], s[40:41]
	s_cbranch_execz .LBB1876_475
.LBB1876_507:                           ;   in Loop: Header=BB1876_399 Depth=2
	v_lshlrev_b32_e32 v21, 2, v92
	ds_read_b32 v23, v21
	v_add_u32_e32 v21, v47, v48
	ds_read_b64 v[21:22], v21 offset:7168
	v_mov_b32_e32 v24, v3
	v_mov_b32_e32 v96, s73
	s_waitcnt lgkmcnt(1)
	v_add_u32_e32 v23, v23, v28
	v_lshlrev_b64 v[23:24], 3, v[23:24]
	v_add_co_u32_e32 v23, vcc, s72, v23
	v_addc_co_u32_e32 v24, vcc, v96, v24, vcc
	s_waitcnt lgkmcnt(0)
	global_store_dwordx2 v[23:24], v[21:22], off
	s_or_b64 exec, exec, s[36:37]
	s_and_saveexec_b64 s[36:37], s[42:43]
	s_cbranch_execz .LBB1876_476
.LBB1876_508:                           ;   in Loop: Header=BB1876_399 Depth=2
	v_lshlrev_b32_e32 v21, 2, v90
	ds_read_b32 v23, v21
	v_add_u32_e32 v21, v47, v48
	ds_read_b64 v[21:22], v21 offset:9216
	v_mov_b32_e32 v24, v3
	v_mov_b32_e32 v96, s73
	s_waitcnt lgkmcnt(1)
	v_add_u32_e32 v23, v23, v31
	v_lshlrev_b64 v[23:24], 3, v[23:24]
	v_add_co_u32_e32 v23, vcc, s72, v23
	v_addc_co_u32_e32 v24, vcc, v96, v24, vcc
	s_waitcnt lgkmcnt(0)
	global_store_dwordx2 v[23:24], v[21:22], off
	s_or_b64 exec, exec, s[36:37]
	s_and_saveexec_b64 s[36:37], s[44:45]
	s_cbranch_execz .LBB1876_477
.LBB1876_509:                           ;   in Loop: Header=BB1876_399 Depth=2
	v_lshlrev_b32_e32 v21, 2, v89
	ds_read_b32 v23, v21
	v_add_u32_e32 v21, v47, v48
	ds_read_b64 v[21:22], v21 offset:11264
	v_mov_b32_e32 v24, v3
	v_mov_b32_e32 v96, s73
	s_waitcnt lgkmcnt(1)
	v_add_u32_e32 v23, v23, v32
	v_lshlrev_b64 v[23:24], 3, v[23:24]
	v_add_co_u32_e32 v23, vcc, s72, v23
	v_addc_co_u32_e32 v24, vcc, v96, v24, vcc
	s_waitcnt lgkmcnt(0)
	global_store_dwordx2 v[23:24], v[21:22], off
	s_or_b64 exec, exec, s[36:37]
	s_and_saveexec_b64 s[36:37], s[46:47]
	s_cbranch_execz .LBB1876_478
.LBB1876_510:                           ;   in Loop: Header=BB1876_399 Depth=2
	v_lshlrev_b32_e32 v21, 2, v88
	ds_read_b32 v23, v21
	v_add_u32_e32 v21, v47, v48
	ds_read_b64 v[21:22], v21 offset:13312
	v_mov_b32_e32 v24, v3
	v_mov_b32_e32 v96, s73
	s_waitcnt lgkmcnt(1)
	v_add_u32_e32 v23, v23, v33
	v_lshlrev_b64 v[23:24], 3, v[23:24]
	v_add_co_u32_e32 v23, vcc, s72, v23
	v_addc_co_u32_e32 v24, vcc, v96, v24, vcc
	s_waitcnt lgkmcnt(0)
	global_store_dwordx2 v[23:24], v[21:22], off
	s_or_b64 exec, exec, s[36:37]
	s_and_saveexec_b64 s[36:37], s[48:49]
	s_cbranch_execnz .LBB1876_479
	s_branch .LBB1876_480
.LBB1876_511:                           ;   in Loop: Header=BB1876_17 Depth=1
	s_waitcnt lgkmcnt(0)
	s_barrier
	s_mov_b64 s[16:17], 0
.LBB1876_512:                           ;   in Loop: Header=BB1876_17 Depth=1
	s_and_b64 vcc, exec, s[16:17]
	s_cbranch_vccz .LBB1876_16
; %bb.513:                              ;   in Loop: Header=BB1876_17 Depth=1
	s_mov_b32 s20, s79
	s_mov_b32 s58, s51
	s_barrier
                                        ; implicit-def: $vgpr4
                                        ; implicit-def: $vgpr5
                                        ; implicit-def: $vgpr6
                                        ; implicit-def: $vgpr7
                                        ; implicit-def: $vgpr8
                                        ; implicit-def: $vgpr9
                                        ; implicit-def: $vgpr10
                                        ; implicit-def: $vgpr11
	s_branch .LBB1876_515
.LBB1876_514:                           ;   in Loop: Header=BB1876_515 Depth=2
	s_or_b64 exec, exec, s[16:17]
	s_addk_i32 s20, 0xf800
	s_cmp_ge_u32 s21, s80
	s_mov_b32 s58, s21
	s_cbranch_scc1 .LBB1876_551
.LBB1876_515:                           ;   Parent Loop BB1876_17 Depth=1
                                        ; =>  This Inner Loop Header: Depth=2
	s_add_i32 s21, s58, 0x800
	s_cmp_gt_u32 s21, s80
	s_mov_b64 s[16:17], -1
                                        ; implicit-def: $vgpr12
                                        ; implicit-def: $vgpr13
                                        ; implicit-def: $vgpr14
                                        ; implicit-def: $vgpr15
                                        ; implicit-def: $vgpr16
                                        ; implicit-def: $vgpr17
                                        ; implicit-def: $vgpr18
                                        ; implicit-def: $vgpr19
	s_cbranch_scc1 .LBB1876_517
; %bb.516:                              ;   in Loop: Header=BB1876_515 Depth=2
	s_lshl_b64 s[16:17], s[58:59], 1
	v_mov_b32_e32 v12, s17
	v_add_co_u32_e32 v20, vcc, s16, v55
	v_addc_co_u32_e32 v21, vcc, v56, v12, vcc
	global_load_ushort v12, v[20:21], off
	global_load_ushort v13, v[20:21], off offset:512
	global_load_ushort v14, v[20:21], off offset:1024
	;; [unrolled: 1-line block ×7, first 2 shown]
	s_mov_b64 s[16:17], 0
.LBB1876_517:                           ;   in Loop: Header=BB1876_515 Depth=2
	s_andn2_b64 vcc, exec, s[16:17]
	s_movk_i32 s18, 0x800
	s_cbranch_vccnz .LBB1876_528
; %bb.518:                              ;   in Loop: Header=BB1876_515 Depth=2
	s_lshl_b64 s[16:17], s[58:59], 1
	s_add_u32 s16, s64, s16
	s_addc_u32 s17, s65, s17
	v_cmp_gt_u32_e32 vcc, s20, v0
	s_and_saveexec_b64 s[18:19], vcc
	s_cbranch_execnz .LBB1876_544
; %bb.519:                              ;   in Loop: Header=BB1876_515 Depth=2
	s_or_b64 exec, exec, s[18:19]
	v_cmp_gt_u32_e32 vcc, s20, v26
	s_and_saveexec_b64 s[18:19], vcc
	s_cbranch_execnz .LBB1876_545
.LBB1876_520:                           ;   in Loop: Header=BB1876_515 Depth=2
	s_or_b64 exec, exec, s[18:19]
	v_cmp_gt_u32_e32 vcc, s20, v27
	s_and_saveexec_b64 s[18:19], vcc
	s_cbranch_execnz .LBB1876_546
.LBB1876_521:                           ;   in Loop: Header=BB1876_515 Depth=2
	s_or_b64 exec, exec, s[18:19]
	v_cmp_gt_u32_e32 vcc, s20, v28
	s_and_saveexec_b64 s[18:19], vcc
	s_cbranch_execnz .LBB1876_547
.LBB1876_522:                           ;   in Loop: Header=BB1876_515 Depth=2
	s_or_b64 exec, exec, s[18:19]
	v_cmp_gt_u32_e32 vcc, s20, v31
	s_and_saveexec_b64 s[18:19], vcc
	s_cbranch_execnz .LBB1876_548
.LBB1876_523:                           ;   in Loop: Header=BB1876_515 Depth=2
	s_or_b64 exec, exec, s[18:19]
	v_cmp_gt_u32_e32 vcc, s20, v32
	s_and_saveexec_b64 s[18:19], vcc
	s_cbranch_execnz .LBB1876_549
.LBB1876_524:                           ;   in Loop: Header=BB1876_515 Depth=2
	s_or_b64 exec, exec, s[18:19]
	v_cmp_gt_u32_e32 vcc, s20, v33
	s_and_saveexec_b64 s[18:19], vcc
	s_cbranch_execnz .LBB1876_550
.LBB1876_525:                           ;   in Loop: Header=BB1876_515 Depth=2
	s_or_b64 exec, exec, s[18:19]
	v_cmp_gt_u32_e32 vcc, s20, v34
	s_and_saveexec_b64 s[18:19], vcc
	s_cbranch_execz .LBB1876_527
.LBB1876_526:                           ;   in Loop: Header=BB1876_515 Depth=2
	global_load_ushort v4, v64, s[16:17] offset:3584
.LBB1876_527:                           ;   in Loop: Header=BB1876_515 Depth=2
	s_or_b64 exec, exec, s[18:19]
	s_mov_b32 s18, s20
	s_waitcnt vmcnt(0)
	v_mov_b32_e32 v12, v11
	v_mov_b32_e32 v13, v10
	;; [unrolled: 1-line block ×8, first 2 shown]
.LBB1876_528:                           ;   in Loop: Header=BB1876_515 Depth=2
	s_waitcnt vmcnt(0)
	v_mov_b32_e32 v4, v19
	v_mov_b32_e32 v5, v18
	;; [unrolled: 1-line block ×8, first 2 shown]
	v_cmp_gt_u32_e32 vcc, s18, v0
	s_and_saveexec_b64 s[16:17], vcc
	s_cbranch_execnz .LBB1876_536
; %bb.529:                              ;   in Loop: Header=BB1876_515 Depth=2
	s_or_b64 exec, exec, s[16:17]
	v_cmp_gt_u32_e32 vcc, s18, v26
	s_and_saveexec_b64 s[16:17], vcc
	s_cbranch_execnz .LBB1876_537
.LBB1876_530:                           ;   in Loop: Header=BB1876_515 Depth=2
	s_or_b64 exec, exec, s[16:17]
	v_cmp_gt_u32_e32 vcc, s18, v27
	s_and_saveexec_b64 s[16:17], vcc
	s_cbranch_execnz .LBB1876_538
.LBB1876_531:                           ;   in Loop: Header=BB1876_515 Depth=2
	s_or_b64 exec, exec, s[16:17]
	v_cmp_gt_u32_e32 vcc, s18, v28
	s_and_saveexec_b64 s[16:17], vcc
	s_cbranch_execnz .LBB1876_539
.LBB1876_532:                           ;   in Loop: Header=BB1876_515 Depth=2
	s_or_b64 exec, exec, s[16:17]
	v_cmp_gt_u32_e32 vcc, s18, v31
	s_and_saveexec_b64 s[16:17], vcc
	s_cbranch_execnz .LBB1876_540
.LBB1876_533:                           ;   in Loop: Header=BB1876_515 Depth=2
	s_or_b64 exec, exec, s[16:17]
	v_cmp_gt_u32_e32 vcc, s18, v32
	s_and_saveexec_b64 s[16:17], vcc
	s_cbranch_execnz .LBB1876_541
.LBB1876_534:                           ;   in Loop: Header=BB1876_515 Depth=2
	s_or_b64 exec, exec, s[16:17]
	v_cmp_gt_u32_e32 vcc, s18, v33
	s_and_saveexec_b64 s[16:17], vcc
	s_cbranch_execnz .LBB1876_542
.LBB1876_535:                           ;   in Loop: Header=BB1876_515 Depth=2
	s_or_b64 exec, exec, s[16:17]
	v_cmp_gt_u32_e32 vcc, s18, v34
	s_and_saveexec_b64 s[16:17], vcc
	s_cbranch_execz .LBB1876_514
	s_branch .LBB1876_543
.LBB1876_536:                           ;   in Loop: Header=BB1876_515 Depth=2
	v_cmp_lt_i16_e32 vcc, -1, v11
	v_cndmask_b32_e32 v12, -1, v65, vcc
	v_xor_b32_e32 v12, v12, v11
	v_cmp_ne_u16_e32 vcc, s62, v12
	v_cndmask_b32_e32 v12, v65, v12, vcc
	v_lshrrev_b32_sdwa v12, s77, v12 dst_sel:DWORD dst_unused:UNUSED_PAD src0_sel:DWORD src1_sel:WORD_0
	v_and_b32_e32 v12, s70, v12
	v_lshl_or_b32 v12, v12, 4, v35
	ds_add_u32 v12, v61
	s_or_b64 exec, exec, s[16:17]
	v_cmp_gt_u32_e32 vcc, s18, v26
	s_and_saveexec_b64 s[16:17], vcc
	s_cbranch_execz .LBB1876_530
.LBB1876_537:                           ;   in Loop: Header=BB1876_515 Depth=2
	v_cmp_lt_i16_e32 vcc, -1, v10
	v_cndmask_b32_e32 v12, -1, v65, vcc
	v_xor_b32_e32 v12, v12, v10
	v_cmp_ne_u16_e32 vcc, s62, v12
	v_cndmask_b32_e32 v12, v65, v12, vcc
	v_lshrrev_b32_sdwa v12, s77, v12 dst_sel:DWORD dst_unused:UNUSED_PAD src0_sel:DWORD src1_sel:WORD_0
	v_and_b32_e32 v12, s70, v12
	v_lshl_or_b32 v12, v12, 4, v35
	ds_add_u32 v12, v61
	s_or_b64 exec, exec, s[16:17]
	v_cmp_gt_u32_e32 vcc, s18, v27
	s_and_saveexec_b64 s[16:17], vcc
	s_cbranch_execz .LBB1876_531
.LBB1876_538:                           ;   in Loop: Header=BB1876_515 Depth=2
	v_cmp_lt_i16_e32 vcc, -1, v9
	v_cndmask_b32_e32 v12, -1, v65, vcc
	v_xor_b32_e32 v12, v12, v9
	v_cmp_ne_u16_e32 vcc, s62, v12
	v_cndmask_b32_e32 v12, v65, v12, vcc
	v_lshrrev_b32_sdwa v12, s77, v12 dst_sel:DWORD dst_unused:UNUSED_PAD src0_sel:DWORD src1_sel:WORD_0
	v_and_b32_e32 v12, s70, v12
	v_lshl_or_b32 v12, v12, 4, v35
	ds_add_u32 v12, v61
	s_or_b64 exec, exec, s[16:17]
	v_cmp_gt_u32_e32 vcc, s18, v28
	s_and_saveexec_b64 s[16:17], vcc
	s_cbranch_execz .LBB1876_532
.LBB1876_539:                           ;   in Loop: Header=BB1876_515 Depth=2
	v_cmp_lt_i16_e32 vcc, -1, v8
	v_cndmask_b32_e32 v12, -1, v65, vcc
	v_xor_b32_e32 v12, v12, v8
	v_cmp_ne_u16_e32 vcc, s62, v12
	v_cndmask_b32_e32 v12, v65, v12, vcc
	v_lshrrev_b32_sdwa v12, s77, v12 dst_sel:DWORD dst_unused:UNUSED_PAD src0_sel:DWORD src1_sel:WORD_0
	v_and_b32_e32 v12, s70, v12
	v_lshl_or_b32 v12, v12, 4, v35
	ds_add_u32 v12, v61
	s_or_b64 exec, exec, s[16:17]
	v_cmp_gt_u32_e32 vcc, s18, v31
	s_and_saveexec_b64 s[16:17], vcc
	s_cbranch_execz .LBB1876_533
.LBB1876_540:                           ;   in Loop: Header=BB1876_515 Depth=2
	v_cmp_lt_i16_e32 vcc, -1, v7
	v_cndmask_b32_e32 v12, -1, v65, vcc
	v_xor_b32_e32 v12, v12, v7
	v_cmp_ne_u16_e32 vcc, s62, v12
	v_cndmask_b32_e32 v12, v65, v12, vcc
	v_lshrrev_b32_sdwa v12, s77, v12 dst_sel:DWORD dst_unused:UNUSED_PAD src0_sel:DWORD src1_sel:WORD_0
	v_and_b32_e32 v12, s70, v12
	v_lshl_or_b32 v12, v12, 4, v35
	ds_add_u32 v12, v61
	s_or_b64 exec, exec, s[16:17]
	v_cmp_gt_u32_e32 vcc, s18, v32
	s_and_saveexec_b64 s[16:17], vcc
	s_cbranch_execz .LBB1876_534
.LBB1876_541:                           ;   in Loop: Header=BB1876_515 Depth=2
	v_cmp_lt_i16_e32 vcc, -1, v6
	v_cndmask_b32_e32 v12, -1, v65, vcc
	v_xor_b32_e32 v12, v12, v6
	v_cmp_ne_u16_e32 vcc, s62, v12
	v_cndmask_b32_e32 v12, v65, v12, vcc
	v_lshrrev_b32_sdwa v12, s77, v12 dst_sel:DWORD dst_unused:UNUSED_PAD src0_sel:DWORD src1_sel:WORD_0
	v_and_b32_e32 v12, s70, v12
	v_lshl_or_b32 v12, v12, 4, v35
	ds_add_u32 v12, v61
	s_or_b64 exec, exec, s[16:17]
	v_cmp_gt_u32_e32 vcc, s18, v33
	s_and_saveexec_b64 s[16:17], vcc
	s_cbranch_execz .LBB1876_535
.LBB1876_542:                           ;   in Loop: Header=BB1876_515 Depth=2
	v_cmp_lt_i16_e32 vcc, -1, v5
	v_cndmask_b32_e32 v12, -1, v65, vcc
	v_xor_b32_e32 v12, v12, v5
	v_cmp_ne_u16_e32 vcc, s62, v12
	v_cndmask_b32_e32 v12, v65, v12, vcc
	v_lshrrev_b32_sdwa v12, s77, v12 dst_sel:DWORD dst_unused:UNUSED_PAD src0_sel:DWORD src1_sel:WORD_0
	v_and_b32_e32 v12, s70, v12
	v_lshl_or_b32 v12, v12, 4, v35
	ds_add_u32 v12, v61
	s_or_b64 exec, exec, s[16:17]
	v_cmp_gt_u32_e32 vcc, s18, v34
	s_and_saveexec_b64 s[16:17], vcc
	s_cbranch_execz .LBB1876_514
.LBB1876_543:                           ;   in Loop: Header=BB1876_515 Depth=2
	v_cmp_lt_i16_e32 vcc, -1, v4
	v_cndmask_b32_e32 v12, -1, v65, vcc
	v_xor_b32_e32 v12, v12, v4
	v_cmp_ne_u16_e32 vcc, s62, v12
	v_cndmask_b32_e32 v12, v65, v12, vcc
	v_lshrrev_b32_sdwa v12, s77, v12 dst_sel:DWORD dst_unused:UNUSED_PAD src0_sel:DWORD src1_sel:WORD_0
	v_and_b32_e32 v12, s70, v12
	v_lshl_or_b32 v12, v12, 4, v35
	ds_add_u32 v12, v61
	s_branch .LBB1876_514
.LBB1876_544:                           ;   in Loop: Header=BB1876_515 Depth=2
	global_load_ushort v11, v64, s[16:17]
	s_or_b64 exec, exec, s[18:19]
	v_cmp_gt_u32_e32 vcc, s20, v26
	s_and_saveexec_b64 s[18:19], vcc
	s_cbranch_execz .LBB1876_520
.LBB1876_545:                           ;   in Loop: Header=BB1876_515 Depth=2
	global_load_ushort v10, v64, s[16:17] offset:512
	s_or_b64 exec, exec, s[18:19]
	v_cmp_gt_u32_e32 vcc, s20, v27
	s_and_saveexec_b64 s[18:19], vcc
	s_cbranch_execz .LBB1876_521
.LBB1876_546:                           ;   in Loop: Header=BB1876_515 Depth=2
	global_load_ushort v9, v64, s[16:17] offset:1024
	s_or_b64 exec, exec, s[18:19]
	v_cmp_gt_u32_e32 vcc, s20, v28
	s_and_saveexec_b64 s[18:19], vcc
	s_cbranch_execz .LBB1876_522
.LBB1876_547:                           ;   in Loop: Header=BB1876_515 Depth=2
	global_load_ushort v8, v64, s[16:17] offset:1536
	s_or_b64 exec, exec, s[18:19]
	v_cmp_gt_u32_e32 vcc, s20, v31
	s_and_saveexec_b64 s[18:19], vcc
	s_cbranch_execz .LBB1876_523
.LBB1876_548:                           ;   in Loop: Header=BB1876_515 Depth=2
	global_load_ushort v7, v64, s[16:17] offset:2048
	s_or_b64 exec, exec, s[18:19]
	v_cmp_gt_u32_e32 vcc, s20, v32
	s_and_saveexec_b64 s[18:19], vcc
	s_cbranch_execz .LBB1876_524
.LBB1876_549:                           ;   in Loop: Header=BB1876_515 Depth=2
	global_load_ushort v6, v64, s[16:17] offset:2560
	s_or_b64 exec, exec, s[18:19]
	v_cmp_gt_u32_e32 vcc, s20, v33
	s_and_saveexec_b64 s[18:19], vcc
	s_cbranch_execz .LBB1876_525
.LBB1876_550:                           ;   in Loop: Header=BB1876_515 Depth=2
	global_load_ushort v5, v64, s[16:17] offset:3072
	s_or_b64 exec, exec, s[18:19]
	v_cmp_gt_u32_e32 vcc, s20, v34
	s_and_saveexec_b64 s[18:19], vcc
	s_cbranch_execnz .LBB1876_526
	s_branch .LBB1876_527
.LBB1876_551:                           ;   in Loop: Header=BB1876_17 Depth=1
	v_mov_b32_e32 v4, 0
	s_waitcnt lgkmcnt(0)
	s_barrier
	s_and_saveexec_b64 s[16:17], s[4:5]
	s_cbranch_execz .LBB1876_553
; %bb.552:                              ;   in Loop: Header=BB1876_17 Depth=1
	ds_read2_b64 v[4:7], v36 offset1:1
	s_waitcnt lgkmcnt(0)
	v_add_u32_e32 v4, v5, v4
	v_add3_u32 v4, v4, v6, v7
.LBB1876_553:                           ;   in Loop: Header=BB1876_17 Depth=1
	s_or_b64 exec, exec, s[16:17]
	s_nop 0
	v_mov_b32_dpp v5, v4 row_shr:1 row_mask:0xf bank_mask:0xf
	v_cmp_eq_u32_e64 s[16:17], 0, v67
	v_cndmask_b32_e64 v5, v5, 0, s[16:17]
	v_add_u32_e32 v4, v5, v4
	v_cmp_lt_u32_e64 s[18:19], 1, v67
	v_cmp_lt_u32_e64 s[20:21], 3, v67
	v_mov_b32_dpp v5, v4 row_shr:2 row_mask:0xf bank_mask:0xf
	v_cndmask_b32_e64 v5, 0, v5, s[18:19]
	v_add_u32_e32 v4, v4, v5
	v_cmp_lt_u32_e64 s[22:23], 7, v67
	v_cmp_lt_u32_e64 s[26:27], 31, v66
	v_mov_b32_dpp v5, v4 row_shr:4 row_mask:0xf bank_mask:0xf
	v_cndmask_b32_e64 v5, 0, v5, s[20:21]
	v_add_u32_e32 v4, v4, v5
	v_cmp_eq_u32_e64 s[24:25], 0, v69
	s_nop 0
	v_mov_b32_dpp v5, v4 row_shr:8 row_mask:0xf bank_mask:0xf
	v_cndmask_b32_e64 v5, 0, v5, s[22:23]
	v_add_u32_e32 v4, v4, v5
	s_nop 1
	v_mov_b32_dpp v5, v4 row_bcast:15 row_mask:0xf bank_mask:0xf
	v_and_b32_e32 v5, v68, v5
	v_add_u32_e32 v4, v4, v5
	s_nop 1
	v_mov_b32_dpp v5, v4 row_bcast:31 row_mask:0xf bank_mask:0xf
	v_cndmask_b32_e64 v5, 0, v5, s[26:27]
	v_add_u32_e32 v4, v4, v5
	s_and_saveexec_b64 s[28:29], s[6:7]
; %bb.554:                              ;   in Loop: Header=BB1876_17 Depth=1
	ds_write_b32 v38, v4
; %bb.555:                              ;   in Loop: Header=BB1876_17 Depth=1
	s_or_b64 exec, exec, s[28:29]
	s_waitcnt lgkmcnt(0)
	s_barrier
	s_and_saveexec_b64 s[28:29], s[8:9]
	s_cbranch_execz .LBB1876_557
; %bb.556:                              ;   in Loop: Header=BB1876_17 Depth=1
	ds_read_b32 v5, v39
	v_cmp_ne_u32_e32 vcc, 0, v70
	s_waitcnt lgkmcnt(0)
	v_mov_b32_dpp v6, v5 row_shr:1 row_mask:0xf bank_mask:0xf
	v_cndmask_b32_e32 v6, 0, v6, vcc
	v_add_u32_e32 v5, v6, v5
	v_cmp_lt_u32_e32 vcc, 1, v70
	s_nop 0
	v_mov_b32_dpp v6, v5 row_shr:2 row_mask:0xf bank_mask:0xf
	v_cndmask_b32_e32 v6, 0, v6, vcc
	v_add_u32_e32 v5, v5, v6
	ds_write_b32 v39, v5
.LBB1876_557:                           ;   in Loop: Header=BB1876_17 Depth=1
	s_or_b64 exec, exec, s[28:29]
	v_mov_b32_e32 v5, 0
	s_waitcnt lgkmcnt(0)
	s_barrier
	s_and_saveexec_b64 s[28:29], s[10:11]
; %bb.558:                              ;   in Loop: Header=BB1876_17 Depth=1
	ds_read_b32 v5, v40
; %bb.559:                              ;   in Loop: Header=BB1876_17 Depth=1
	s_or_b64 exec, exec, s[28:29]
	v_subrev_co_u32_e64 v6, s[28:29], 1, v66
	v_cmp_lt_i32_e32 vcc, v6, v71
	v_cndmask_b32_e32 v6, v6, v66, vcc
	s_waitcnt lgkmcnt(0)
	v_add_u32_e32 v4, v5, v4
	v_lshlrev_b32_e32 v82, 2, v6
	ds_bpermute_b32 v4, v82, v4
	s_waitcnt lgkmcnt(0)
	s_barrier
	s_and_saveexec_b64 s[30:31], s[4:5]
; %bb.560:                              ;   in Loop: Header=BB1876_17 Depth=1
	v_cndmask_b32_e64 v4, v4, v5, s[28:29]
	v_add_u32_e32 v4, s51, v4
	ds_write_b32 v25, v4
; %bb.561:                              ;   in Loop: Header=BB1876_17 Depth=1
	s_or_b64 exec, exec, s[30:31]
	s_load_dwordx2 s[30:31], s[56:57], 0x0
	v_add_co_u32_e32 v83, vcc, v57, v72
	v_addc_co_u32_e32 v84, vcc, 0, v58, vcc
	s_waitcnt lgkmcnt(0)
	s_cmp_lt_u32 s33, s31
	s_cselect_b32 s31, 14, 20
	s_add_u32 s34, s56, s31
	s_addc_u32 s35, s57, 0
	s_cmp_lt_u32 s50, s30
	s_cselect_b32 s30, 12, 18
	s_add_u32 s30, s56, s30
	global_load_ushort v4, v3, s[34:35]
	s_addc_u32 s31, s57, 0
	global_load_ushort v5, v3, s[30:31]
	v_add_co_u32_e32 v85, vcc, v59, v81
	v_cmp_eq_u32_e64 s[30:31], 0, v70
	v_cmp_lt_u32_e64 s[34:35], 1, v70
	v_addc_co_u32_e32 v86, vcc, 0, v60, vcc
	s_mov_b32 s71, s79
	s_mov_b32 s58, s51
                                        ; implicit-def: $vgpr7_vgpr8
                                        ; implicit-def: $vgpr9_vgpr10
                                        ; implicit-def: $vgpr11_vgpr12
                                        ; implicit-def: $vgpr13_vgpr14
                                        ; implicit-def: $vgpr15_vgpr16
                                        ; implicit-def: $vgpr17_vgpr18
                                        ; implicit-def: $vgpr19_vgpr20
                                        ; implicit-def: $vgpr87
                                        ; implicit-def: $vgpr88
                                        ; implicit-def: $vgpr89
                                        ; implicit-def: $vgpr90
                                        ; implicit-def: $vgpr92
                                        ; implicit-def: $vgpr93
                                        ; implicit-def: $vgpr94
                                        ; implicit-def: $vgpr95
	s_waitcnt vmcnt(1)
	v_mad_u32_u24 v4, v2, v4, v1
	s_waitcnt vmcnt(0)
	v_mad_u64_u32 v[4:5], s[36:37], v4, v5, v[0:1]
                                        ; implicit-def: $vgpr5_vgpr6
	v_lshrrev_b32_e32 v4, 4, v4
	v_and_b32_e32 v91, 0xffffffc, v4
	s_branch .LBB1876_563
.LBB1876_562:                           ;   in Loop: Header=BB1876_563 Depth=2
	s_or_b64 exec, exec, s[36:37]
	s_addk_i32 s71, 0xf800
	s_cmp_lt_u32 s76, s80
	s_mov_b32 s58, s76
	s_cbranch_scc0 .LBB1876_15
.LBB1876_563:                           ;   Parent Loop BB1876_17 Depth=1
                                        ; =>  This Inner Loop Header: Depth=2
	s_add_i32 s76, s58, 0x800
	s_cmp_gt_u32 s76, s80
	s_cbranch_scc1 .LBB1876_565
; %bb.564:                              ;   in Loop: Header=BB1876_563 Depth=2
	s_lshl_b64 s[36:37], s[58:59], 1
	v_mov_b32_e32 v4, s37
	v_add_co_u32_e32 v21, vcc, s36, v85
	v_addc_co_u32_e32 v22, vcc, v86, v4, vcc
	global_load_ushort v4, v[21:22], off
	global_load_ushort v99, v[21:22], off offset:128
	global_load_ushort v103, v[21:22], off offset:256
	;; [unrolled: 1-line block ×6, first 2 shown]
	s_mov_b64 s[36:37], -1
	s_movk_i32 s40, 0x800
	s_cbranch_execz .LBB1876_566
	s_branch .LBB1876_581
.LBB1876_565:                           ;   in Loop: Header=BB1876_563 Depth=2
	s_mov_b64 s[36:37], 0
                                        ; implicit-def: $vgpr4
                                        ; implicit-def: $vgpr99
                                        ; implicit-def: $vgpr103
                                        ; implicit-def: $vgpr107
                                        ; implicit-def: $vgpr112
                                        ; implicit-def: $vgpr108
                                        ; implicit-def: $vgpr24
	s_movk_i32 s40, 0x800
.LBB1876_566:                           ;   in Loop: Header=BB1876_563 Depth=2
	s_lshl_b64 s[36:37], s[58:59], 1
	s_waitcnt vmcnt(6)
	v_mov_b32_e32 v4, s37
	v_add_co_u32_e32 v21, vcc, s36, v85
	v_addc_co_u32_e32 v22, vcc, v86, v4, vcc
	v_cmp_gt_u32_e32 vcc, s71, v73
	s_waitcnt vmcnt(5)
	v_mov_b32_e32 v99, 0x7fff
	v_mov_b32_e32 v4, 0x7fff
	s_and_saveexec_b64 s[36:37], vcc
	s_cbranch_execz .LBB1876_568
; %bb.567:                              ;   in Loop: Header=BB1876_563 Depth=2
	global_load_ushort v4, v[21:22], off
.LBB1876_568:                           ;   in Loop: Header=BB1876_563 Depth=2
	s_or_b64 exec, exec, s[36:37]
	v_cmp_gt_u32_e32 vcc, s71, v74
	s_and_saveexec_b64 s[36:37], vcc
	s_cbranch_execz .LBB1876_570
; %bb.569:                              ;   in Loop: Header=BB1876_563 Depth=2
	global_load_ushort v99, v[21:22], off offset:128
.LBB1876_570:                           ;   in Loop: Header=BB1876_563 Depth=2
	s_or_b64 exec, exec, s[36:37]
	v_cmp_gt_u32_e32 vcc, s71, v75
	s_waitcnt vmcnt(3)
	v_mov_b32_e32 v107, 0x7fff
	v_mov_b32_e32 v103, 0x7fff
	s_and_saveexec_b64 s[36:37], vcc
	s_cbranch_execz .LBB1876_572
; %bb.571:                              ;   in Loop: Header=BB1876_563 Depth=2
	global_load_ushort v103, v[21:22], off offset:256
.LBB1876_572:                           ;   in Loop: Header=BB1876_563 Depth=2
	s_or_b64 exec, exec, s[36:37]
	v_cmp_gt_u32_e32 vcc, s71, v76
	s_and_saveexec_b64 s[36:37], vcc
	s_cbranch_execz .LBB1876_574
; %bb.573:                              ;   in Loop: Header=BB1876_563 Depth=2
	global_load_ushort v107, v[21:22], off offset:384
.LBB1876_574:                           ;   in Loop: Header=BB1876_563 Depth=2
	s_or_b64 exec, exec, s[36:37]
	v_cmp_gt_u32_e32 vcc, s71, v77
	s_waitcnt vmcnt(1)
	v_mov_b32_e32 v108, 0x7fff
	v_mov_b32_e32 v112, 0x7fff
	s_and_saveexec_b64 s[36:37], vcc
	s_cbranch_execz .LBB1876_576
; %bb.575:                              ;   in Loop: Header=BB1876_563 Depth=2
	global_load_ushort v112, v[21:22], off offset:512
.LBB1876_576:                           ;   in Loop: Header=BB1876_563 Depth=2
	s_or_b64 exec, exec, s[36:37]
	v_cmp_gt_u32_e32 vcc, s71, v78
	s_and_saveexec_b64 s[36:37], vcc
	s_cbranch_execz .LBB1876_578
; %bb.577:                              ;   in Loop: Header=BB1876_563 Depth=2
	global_load_ushort v108, v[21:22], off offset:640
.LBB1876_578:                           ;   in Loop: Header=BB1876_563 Depth=2
	s_or_b64 exec, exec, s[36:37]
	v_cmp_gt_u32_e32 vcc, s71, v79
	s_waitcnt vmcnt(0)
	v_mov_b32_e32 v24, 0x7fff
	s_and_saveexec_b64 s[36:37], vcc
	s_cbranch_execz .LBB1876_580
; %bb.579:                              ;   in Loop: Header=BB1876_563 Depth=2
	global_load_ushort v24, v[21:22], off offset:768
.LBB1876_580:                           ;   in Loop: Header=BB1876_563 Depth=2
	s_or_b64 exec, exec, s[36:37]
	s_sub_i32 s40, s80, s58
	v_cmp_gt_u32_e64 s[36:37], s71, v80
.LBB1876_581:                           ;   in Loop: Header=BB1876_563 Depth=2
	v_mov_b32_e32 v23, 0x7fff
	v_mov_b32_e32 v96, s71
	s_and_saveexec_b64 s[38:39], s[36:37]
	s_cbranch_execz .LBB1876_583
; %bb.582:                              ;   in Loop: Header=BB1876_563 Depth=2
	s_lshl_b64 s[36:37], s[58:59], 1
	v_mov_b32_e32 v22, s37
	v_add_co_u32_e32 v21, vcc, s36, v85
	v_addc_co_u32_e32 v22, vcc, v86, v22, vcc
	global_load_ushort v23, v[21:22], off offset:896
	v_mov_b32_e32 v96, s40
.LBB1876_583:                           ;   in Loop: Header=BB1876_563 Depth=2
	s_or_b64 exec, exec, s[38:39]
	s_waitcnt vmcnt(6)
	v_cmp_lt_i16_e32 vcc, -1, v4
	v_cndmask_b32_e32 v21, -1, v65, vcc
	v_xor_b32_e32 v97, v21, v4
	v_cmp_ne_u16_e32 vcc, s62, v97
	v_cndmask_b32_e32 v4, v65, v97, vcc
	v_lshrrev_b32_sdwa v4, s77, v4 dst_sel:DWORD dst_unused:UNUSED_PAD src0_sel:DWORD src1_sel:WORD_0
	v_and_b32_e32 v21, s70, v4
	v_and_b32_e32 v4, 1, v21
	v_add_co_u32_e32 v22, vcc, -1, v4
	v_addc_co_u32_e64 v98, s[36:37], 0, -1, vcc
	v_cmp_ne_u32_e32 vcc, 0, v4
	v_xor_b32_e32 v4, vcc_hi, v98
	v_and_b32_e32 v98, exec_hi, v4
	v_lshlrev_b32_e32 v4, 30, v21
	v_xor_b32_e32 v22, vcc_lo, v22
	v_cmp_gt_i64_e32 vcc, 0, v[3:4]
	v_not_b32_e32 v4, v4
	v_ashrrev_i32_e32 v4, 31, v4
	v_and_b32_e32 v22, exec_lo, v22
	v_xor_b32_e32 v101, vcc_hi, v4
	v_xor_b32_e32 v4, vcc_lo, v4
	v_and_b32_e32 v22, v22, v4
	v_lshlrev_b32_e32 v4, 29, v21
	v_cmp_gt_i64_e32 vcc, 0, v[3:4]
	v_not_b32_e32 v4, v4
	v_ashrrev_i32_e32 v4, 31, v4
	v_and_b32_e32 v98, v98, v101
	v_xor_b32_e32 v101, vcc_hi, v4
	v_xor_b32_e32 v4, vcc_lo, v4
	v_and_b32_e32 v22, v22, v4
	v_lshlrev_b32_e32 v4, 28, v21
	v_cmp_gt_i64_e32 vcc, 0, v[3:4]
	v_not_b32_e32 v4, v4
	v_ashrrev_i32_e32 v4, 31, v4
	v_and_b32_e32 v98, v98, v101
	;; [unrolled: 8-line block ×5, first 2 shown]
	v_xor_b32_e32 v101, vcc_hi, v4
	v_xor_b32_e32 v4, vcc_lo, v4
	v_and_b32_e32 v98, v98, v101
	v_and_b32_e32 v101, v22, v4
	v_lshlrev_b32_e32 v4, 24, v21
	v_cmp_gt_i64_e32 vcc, 0, v[3:4]
	v_not_b32_e32 v4, v4
	v_ashrrev_i32_e32 v4, 31, v4
	v_mul_u32_u24_e32 v100, 20, v21
	v_xor_b32_e32 v21, vcc_hi, v4
	v_xor_b32_e32 v4, vcc_lo, v4
	v_and_b32_e32 v22, v98, v21
	v_and_b32_e32 v21, v101, v4
	v_mbcnt_lo_u32_b32 v4, v21, 0
	v_mbcnt_hi_u32_b32 v98, v22, v4
	v_cmp_ne_u64_e32 vcc, 0, v[21:22]
	v_cmp_eq_u32_e64 s[36:37], 0, v98
	s_and_b64 s[38:39], vcc, s[36:37]
	v_add_u32_e32 v101, v91, v100
	ds_write2_b32 v62, v3, v3 offset1:1
	ds_write2_b32 v63, v3, v3 offset1:1
	ds_write_b32 v41, v3 offset:1056
	s_waitcnt vmcnt(0) lgkmcnt(0)
	s_barrier
	; wave barrier
	s_and_saveexec_b64 s[36:37], s[38:39]
; %bb.584:                              ;   in Loop: Header=BB1876_563 Depth=2
	v_bcnt_u32_b32 v4, v21, 0
	v_bcnt_u32_b32 v4, v22, v4
	ds_write_b32 v101, v4 offset:1040
; %bb.585:                              ;   in Loop: Header=BB1876_563 Depth=2
	s_or_b64 exec, exec, s[36:37]
	v_cmp_lt_i16_e32 vcc, -1, v99
	v_cndmask_b32_e32 v4, -1, v65, vcc
	v_xor_b32_e32 v99, v4, v99
	v_cmp_ne_u16_e32 vcc, s62, v99
	v_cndmask_b32_e32 v4, v65, v99, vcc
	v_lshrrev_b32_sdwa v4, s77, v4 dst_sel:DWORD dst_unused:UNUSED_PAD src0_sel:DWORD src1_sel:WORD_0
	v_and_b32_e32 v21, s70, v4
	v_mad_u32_u24 v4, v21, 20, v91
	; wave barrier
	ds_read_b32 v100, v4 offset:1040
	v_and_b32_e32 v4, 1, v21
	v_add_co_u32_e32 v22, vcc, -1, v4
	v_addc_co_u32_e64 v102, s[36:37], 0, -1, vcc
	v_cmp_ne_u32_e32 vcc, 0, v4
	v_xor_b32_e32 v4, vcc_hi, v102
	v_and_b32_e32 v102, exec_hi, v4
	v_lshlrev_b32_e32 v4, 30, v21
	v_xor_b32_e32 v22, vcc_lo, v22
	v_cmp_gt_i64_e32 vcc, 0, v[3:4]
	v_not_b32_e32 v4, v4
	v_ashrrev_i32_e32 v4, 31, v4
	v_and_b32_e32 v22, exec_lo, v22
	v_xor_b32_e32 v105, vcc_hi, v4
	v_xor_b32_e32 v4, vcc_lo, v4
	v_and_b32_e32 v22, v22, v4
	v_lshlrev_b32_e32 v4, 29, v21
	v_cmp_gt_i64_e32 vcc, 0, v[3:4]
	v_not_b32_e32 v4, v4
	v_ashrrev_i32_e32 v4, 31, v4
	v_and_b32_e32 v102, v102, v105
	v_xor_b32_e32 v105, vcc_hi, v4
	v_xor_b32_e32 v4, vcc_lo, v4
	v_and_b32_e32 v22, v22, v4
	v_lshlrev_b32_e32 v4, 28, v21
	v_cmp_gt_i64_e32 vcc, 0, v[3:4]
	v_not_b32_e32 v4, v4
	v_ashrrev_i32_e32 v4, 31, v4
	v_and_b32_e32 v102, v102, v105
	;; [unrolled: 8-line block ×5, first 2 shown]
	v_xor_b32_e32 v105, vcc_hi, v4
	v_xor_b32_e32 v4, vcc_lo, v4
	v_and_b32_e32 v102, v102, v105
	v_and_b32_e32 v105, v22, v4
	v_lshlrev_b32_e32 v4, 24, v21
	v_cmp_gt_i64_e32 vcc, 0, v[3:4]
	v_not_b32_e32 v4, v4
	v_ashrrev_i32_e32 v4, 31, v4
	v_mul_u32_u24_e32 v104, 20, v21
	v_xor_b32_e32 v21, vcc_hi, v4
	v_xor_b32_e32 v4, vcc_lo, v4
	v_and_b32_e32 v22, v102, v21
	v_and_b32_e32 v21, v105, v4
	v_mbcnt_lo_u32_b32 v4, v21, 0
	v_mbcnt_hi_u32_b32 v102, v22, v4
	v_cmp_ne_u64_e32 vcc, 0, v[21:22]
	v_cmp_eq_u32_e64 s[36:37], 0, v102
	s_and_b64 s[38:39], vcc, s[36:37]
	v_add_u32_e32 v105, v91, v104
	; wave barrier
	s_and_saveexec_b64 s[36:37], s[38:39]
	s_cbranch_execz .LBB1876_587
; %bb.586:                              ;   in Loop: Header=BB1876_563 Depth=2
	v_bcnt_u32_b32 v4, v21, 0
	v_bcnt_u32_b32 v4, v22, v4
	s_waitcnt lgkmcnt(0)
	v_add_u32_e32 v4, v100, v4
	ds_write_b32 v105, v4 offset:1040
.LBB1876_587:                           ;   in Loop: Header=BB1876_563 Depth=2
	s_or_b64 exec, exec, s[36:37]
	v_cmp_lt_i16_e32 vcc, -1, v103
	v_cndmask_b32_e32 v4, -1, v65, vcc
	v_xor_b32_e32 v103, v4, v103
	v_cmp_ne_u16_e32 vcc, s62, v103
	v_cndmask_b32_e32 v4, v65, v103, vcc
	v_lshrrev_b32_sdwa v4, s77, v4 dst_sel:DWORD dst_unused:UNUSED_PAD src0_sel:DWORD src1_sel:WORD_0
	v_and_b32_e32 v21, s70, v4
	v_mad_u32_u24 v4, v21, 20, v91
	; wave barrier
	ds_read_b32 v104, v4 offset:1040
	v_and_b32_e32 v4, 1, v21
	v_add_co_u32_e32 v22, vcc, -1, v4
	v_addc_co_u32_e64 v106, s[36:37], 0, -1, vcc
	v_cmp_ne_u32_e32 vcc, 0, v4
	v_xor_b32_e32 v4, vcc_hi, v106
	v_and_b32_e32 v106, exec_hi, v4
	v_lshlrev_b32_e32 v4, 30, v21
	v_xor_b32_e32 v22, vcc_lo, v22
	v_cmp_gt_i64_e32 vcc, 0, v[3:4]
	v_not_b32_e32 v4, v4
	v_ashrrev_i32_e32 v4, 31, v4
	v_and_b32_e32 v22, exec_lo, v22
	v_xor_b32_e32 v110, vcc_hi, v4
	v_xor_b32_e32 v4, vcc_lo, v4
	v_and_b32_e32 v22, v22, v4
	v_lshlrev_b32_e32 v4, 29, v21
	v_cmp_gt_i64_e32 vcc, 0, v[3:4]
	v_not_b32_e32 v4, v4
	v_ashrrev_i32_e32 v4, 31, v4
	v_and_b32_e32 v106, v106, v110
	v_xor_b32_e32 v110, vcc_hi, v4
	v_xor_b32_e32 v4, vcc_lo, v4
	v_and_b32_e32 v22, v22, v4
	v_lshlrev_b32_e32 v4, 28, v21
	v_cmp_gt_i64_e32 vcc, 0, v[3:4]
	v_not_b32_e32 v4, v4
	v_ashrrev_i32_e32 v4, 31, v4
	v_and_b32_e32 v106, v106, v110
	v_xor_b32_e32 v110, vcc_hi, v4
	v_xor_b32_e32 v4, vcc_lo, v4
	v_and_b32_e32 v22, v22, v4
	v_lshlrev_b32_e32 v4, 27, v21
	v_cmp_gt_i64_e32 vcc, 0, v[3:4]
	v_not_b32_e32 v4, v4
	v_ashrrev_i32_e32 v4, 31, v4
	v_and_b32_e32 v106, v106, v110
	v_xor_b32_e32 v110, vcc_hi, v4
	v_xor_b32_e32 v4, vcc_lo, v4
	v_and_b32_e32 v22, v22, v4
	v_lshlrev_b32_e32 v4, 26, v21
	v_cmp_gt_i64_e32 vcc, 0, v[3:4]
	v_not_b32_e32 v4, v4
	v_ashrrev_i32_e32 v4, 31, v4
	v_and_b32_e32 v106, v106, v110
	v_xor_b32_e32 v110, vcc_hi, v4
	v_xor_b32_e32 v4, vcc_lo, v4
	v_and_b32_e32 v22, v22, v4
	v_lshlrev_b32_e32 v4, 25, v21
	v_cmp_gt_i64_e32 vcc, 0, v[3:4]
	v_not_b32_e32 v4, v4
	v_ashrrev_i32_e32 v4, 31, v4
	v_and_b32_e32 v106, v106, v110
	v_xor_b32_e32 v110, vcc_hi, v4
	v_xor_b32_e32 v4, vcc_lo, v4
	v_and_b32_e32 v106, v106, v110
	v_and_b32_e32 v110, v22, v4
	v_lshlrev_b32_e32 v4, 24, v21
	v_cmp_gt_i64_e32 vcc, 0, v[3:4]
	v_not_b32_e32 v4, v4
	v_ashrrev_i32_e32 v4, 31, v4
	v_mul_u32_u24_e32 v109, 20, v21
	v_xor_b32_e32 v21, vcc_hi, v4
	v_xor_b32_e32 v4, vcc_lo, v4
	v_and_b32_e32 v22, v106, v21
	v_and_b32_e32 v21, v110, v4
	v_mbcnt_lo_u32_b32 v4, v21, 0
	v_mbcnt_hi_u32_b32 v106, v22, v4
	v_cmp_ne_u64_e32 vcc, 0, v[21:22]
	v_cmp_eq_u32_e64 s[36:37], 0, v106
	s_and_b64 s[38:39], vcc, s[36:37]
	v_add_u32_e32 v110, v91, v109
	; wave barrier
	s_and_saveexec_b64 s[36:37], s[38:39]
	s_cbranch_execz .LBB1876_589
; %bb.588:                              ;   in Loop: Header=BB1876_563 Depth=2
	v_bcnt_u32_b32 v4, v21, 0
	v_bcnt_u32_b32 v4, v22, v4
	s_waitcnt lgkmcnt(0)
	v_add_u32_e32 v4, v104, v4
	ds_write_b32 v110, v4 offset:1040
.LBB1876_589:                           ;   in Loop: Header=BB1876_563 Depth=2
	s_or_b64 exec, exec, s[36:37]
	v_cmp_lt_i16_e32 vcc, -1, v107
	v_cndmask_b32_e32 v4, -1, v65, vcc
	v_xor_b32_e32 v107, v4, v107
	v_cmp_ne_u16_e32 vcc, s62, v107
	v_cndmask_b32_e32 v4, v65, v107, vcc
	v_lshrrev_b32_sdwa v4, s77, v4 dst_sel:DWORD dst_unused:UNUSED_PAD src0_sel:DWORD src1_sel:WORD_0
	v_and_b32_e32 v21, s70, v4
	v_mad_u32_u24 v4, v21, 20, v91
	; wave barrier
	ds_read_b32 v109, v4 offset:1040
	v_and_b32_e32 v4, 1, v21
	v_add_co_u32_e32 v22, vcc, -1, v4
	v_addc_co_u32_e64 v111, s[36:37], 0, -1, vcc
	v_cmp_ne_u32_e32 vcc, 0, v4
	v_xor_b32_e32 v4, vcc_hi, v111
	v_and_b32_e32 v111, exec_hi, v4
	v_lshlrev_b32_e32 v4, 30, v21
	v_xor_b32_e32 v22, vcc_lo, v22
	v_cmp_gt_i64_e32 vcc, 0, v[3:4]
	v_not_b32_e32 v4, v4
	v_ashrrev_i32_e32 v4, 31, v4
	v_and_b32_e32 v22, exec_lo, v22
	v_xor_b32_e32 v114, vcc_hi, v4
	v_xor_b32_e32 v4, vcc_lo, v4
	v_and_b32_e32 v22, v22, v4
	v_lshlrev_b32_e32 v4, 29, v21
	v_cmp_gt_i64_e32 vcc, 0, v[3:4]
	v_not_b32_e32 v4, v4
	v_ashrrev_i32_e32 v4, 31, v4
	v_and_b32_e32 v111, v111, v114
	v_xor_b32_e32 v114, vcc_hi, v4
	v_xor_b32_e32 v4, vcc_lo, v4
	v_and_b32_e32 v22, v22, v4
	v_lshlrev_b32_e32 v4, 28, v21
	v_cmp_gt_i64_e32 vcc, 0, v[3:4]
	v_not_b32_e32 v4, v4
	v_ashrrev_i32_e32 v4, 31, v4
	v_and_b32_e32 v111, v111, v114
	;; [unrolled: 8-line block ×5, first 2 shown]
	v_xor_b32_e32 v114, vcc_hi, v4
	v_xor_b32_e32 v4, vcc_lo, v4
	v_and_b32_e32 v111, v111, v114
	v_and_b32_e32 v114, v22, v4
	v_lshlrev_b32_e32 v4, 24, v21
	v_cmp_gt_i64_e32 vcc, 0, v[3:4]
	v_not_b32_e32 v4, v4
	v_ashrrev_i32_e32 v4, 31, v4
	v_mul_u32_u24_e32 v113, 20, v21
	v_xor_b32_e32 v21, vcc_hi, v4
	v_xor_b32_e32 v4, vcc_lo, v4
	v_and_b32_e32 v22, v111, v21
	v_and_b32_e32 v21, v114, v4
	v_mbcnt_lo_u32_b32 v4, v21, 0
	v_mbcnt_hi_u32_b32 v111, v22, v4
	v_cmp_ne_u64_e32 vcc, 0, v[21:22]
	v_cmp_eq_u32_e64 s[36:37], 0, v111
	s_and_b64 s[38:39], vcc, s[36:37]
	v_add_u32_e32 v114, v91, v113
	; wave barrier
	s_and_saveexec_b64 s[36:37], s[38:39]
	s_cbranch_execz .LBB1876_591
; %bb.590:                              ;   in Loop: Header=BB1876_563 Depth=2
	v_bcnt_u32_b32 v4, v21, 0
	v_bcnt_u32_b32 v4, v22, v4
	s_waitcnt lgkmcnt(0)
	v_add_u32_e32 v4, v109, v4
	ds_write_b32 v114, v4 offset:1040
.LBB1876_591:                           ;   in Loop: Header=BB1876_563 Depth=2
	s_or_b64 exec, exec, s[36:37]
	v_cmp_lt_i16_e32 vcc, -1, v112
	v_cndmask_b32_e32 v4, -1, v65, vcc
	v_xor_b32_e32 v112, v4, v112
	v_cmp_ne_u16_e32 vcc, s62, v112
	v_cndmask_b32_e32 v4, v65, v112, vcc
	v_lshrrev_b32_sdwa v4, s77, v4 dst_sel:DWORD dst_unused:UNUSED_PAD src0_sel:DWORD src1_sel:WORD_0
	v_and_b32_e32 v21, s70, v4
	v_mad_u32_u24 v4, v21, 20, v91
	; wave barrier
	ds_read_b32 v113, v4 offset:1040
	v_and_b32_e32 v4, 1, v21
	v_add_co_u32_e32 v22, vcc, -1, v4
	v_addc_co_u32_e64 v115, s[36:37], 0, -1, vcc
	v_cmp_ne_u32_e32 vcc, 0, v4
	v_xor_b32_e32 v4, vcc_hi, v115
	v_and_b32_e32 v115, exec_hi, v4
	v_lshlrev_b32_e32 v4, 30, v21
	v_xor_b32_e32 v22, vcc_lo, v22
	v_cmp_gt_i64_e32 vcc, 0, v[3:4]
	v_not_b32_e32 v4, v4
	v_ashrrev_i32_e32 v4, 31, v4
	v_and_b32_e32 v22, exec_lo, v22
	v_xor_b32_e32 v117, vcc_hi, v4
	v_xor_b32_e32 v4, vcc_lo, v4
	v_and_b32_e32 v22, v22, v4
	v_lshlrev_b32_e32 v4, 29, v21
	v_cmp_gt_i64_e32 vcc, 0, v[3:4]
	v_not_b32_e32 v4, v4
	v_ashrrev_i32_e32 v4, 31, v4
	v_and_b32_e32 v115, v115, v117
	v_xor_b32_e32 v117, vcc_hi, v4
	v_xor_b32_e32 v4, vcc_lo, v4
	v_and_b32_e32 v22, v22, v4
	v_lshlrev_b32_e32 v4, 28, v21
	v_cmp_gt_i64_e32 vcc, 0, v[3:4]
	v_not_b32_e32 v4, v4
	v_ashrrev_i32_e32 v4, 31, v4
	v_and_b32_e32 v115, v115, v117
	;; [unrolled: 8-line block ×5, first 2 shown]
	v_xor_b32_e32 v117, vcc_hi, v4
	v_xor_b32_e32 v4, vcc_lo, v4
	v_and_b32_e32 v115, v115, v117
	v_and_b32_e32 v117, v22, v4
	v_lshlrev_b32_e32 v4, 24, v21
	v_cmp_gt_i64_e32 vcc, 0, v[3:4]
	v_not_b32_e32 v4, v4
	v_ashrrev_i32_e32 v4, 31, v4
	v_mul_u32_u24_e32 v116, 20, v21
	v_xor_b32_e32 v21, vcc_hi, v4
	v_xor_b32_e32 v4, vcc_lo, v4
	v_and_b32_e32 v22, v115, v21
	v_and_b32_e32 v21, v117, v4
	v_mbcnt_lo_u32_b32 v4, v21, 0
	v_mbcnt_hi_u32_b32 v115, v22, v4
	v_cmp_ne_u64_e32 vcc, 0, v[21:22]
	v_cmp_eq_u32_e64 s[36:37], 0, v115
	s_and_b64 s[38:39], vcc, s[36:37]
	v_add_u32_e32 v118, v91, v116
	; wave barrier
	s_and_saveexec_b64 s[36:37], s[38:39]
	s_cbranch_execz .LBB1876_593
; %bb.592:                              ;   in Loop: Header=BB1876_563 Depth=2
	v_bcnt_u32_b32 v4, v21, 0
	v_bcnt_u32_b32 v4, v22, v4
	s_waitcnt lgkmcnt(0)
	v_add_u32_e32 v4, v113, v4
	ds_write_b32 v118, v4 offset:1040
.LBB1876_593:                           ;   in Loop: Header=BB1876_563 Depth=2
	s_or_b64 exec, exec, s[36:37]
	v_cmp_lt_i16_e32 vcc, -1, v108
	v_cndmask_b32_e32 v4, -1, v65, vcc
	v_xor_b32_e32 v116, v4, v108
	v_cmp_ne_u16_e32 vcc, s62, v116
	v_cndmask_b32_e32 v4, v65, v116, vcc
	v_lshrrev_b32_sdwa v4, s77, v4 dst_sel:DWORD dst_unused:UNUSED_PAD src0_sel:DWORD src1_sel:WORD_0
	v_and_b32_e32 v21, s70, v4
	v_mad_u32_u24 v4, v21, 20, v91
	; wave barrier
	ds_read_b32 v117, v4 offset:1040
	v_and_b32_e32 v4, 1, v21
	v_add_co_u32_e32 v22, vcc, -1, v4
	v_addc_co_u32_e64 v119, s[36:37], 0, -1, vcc
	v_cmp_ne_u32_e32 vcc, 0, v4
	v_xor_b32_e32 v4, vcc_hi, v119
	v_and_b32_e32 v119, exec_hi, v4
	v_lshlrev_b32_e32 v4, 30, v21
	v_xor_b32_e32 v22, vcc_lo, v22
	v_cmp_gt_i64_e32 vcc, 0, v[3:4]
	v_not_b32_e32 v4, v4
	v_ashrrev_i32_e32 v4, 31, v4
	v_and_b32_e32 v22, exec_lo, v22
	v_xor_b32_e32 v120, vcc_hi, v4
	v_xor_b32_e32 v4, vcc_lo, v4
	v_and_b32_e32 v22, v22, v4
	v_lshlrev_b32_e32 v4, 29, v21
	v_cmp_gt_i64_e32 vcc, 0, v[3:4]
	v_not_b32_e32 v4, v4
	v_ashrrev_i32_e32 v4, 31, v4
	v_and_b32_e32 v119, v119, v120
	v_xor_b32_e32 v120, vcc_hi, v4
	v_xor_b32_e32 v4, vcc_lo, v4
	v_and_b32_e32 v22, v22, v4
	v_lshlrev_b32_e32 v4, 28, v21
	v_cmp_gt_i64_e32 vcc, 0, v[3:4]
	v_not_b32_e32 v4, v4
	v_ashrrev_i32_e32 v4, 31, v4
	v_and_b32_e32 v119, v119, v120
	;; [unrolled: 8-line block ×5, first 2 shown]
	v_xor_b32_e32 v120, vcc_hi, v4
	v_xor_b32_e32 v4, vcc_lo, v4
	v_and_b32_e32 v119, v119, v120
	v_and_b32_e32 v120, v22, v4
	v_lshlrev_b32_e32 v4, 24, v21
	v_cmp_gt_i64_e32 vcc, 0, v[3:4]
	v_not_b32_e32 v4, v4
	v_ashrrev_i32_e32 v4, 31, v4
	v_mul_u32_u24_e32 v108, 20, v21
	v_xor_b32_e32 v21, vcc_hi, v4
	v_xor_b32_e32 v4, vcc_lo, v4
	v_and_b32_e32 v22, v119, v21
	v_and_b32_e32 v21, v120, v4
	v_mbcnt_lo_u32_b32 v4, v21, 0
	v_mbcnt_hi_u32_b32 v119, v22, v4
	v_cmp_ne_u64_e32 vcc, 0, v[21:22]
	v_cmp_eq_u32_e64 s[36:37], 0, v119
	s_and_b64 s[38:39], vcc, s[36:37]
	v_add_u32_e32 v108, v91, v108
	; wave barrier
	s_and_saveexec_b64 s[36:37], s[38:39]
	s_cbranch_execz .LBB1876_595
; %bb.594:                              ;   in Loop: Header=BB1876_563 Depth=2
	v_bcnt_u32_b32 v4, v21, 0
	v_bcnt_u32_b32 v4, v22, v4
	s_waitcnt lgkmcnt(0)
	v_add_u32_e32 v4, v117, v4
	ds_write_b32 v108, v4 offset:1040
.LBB1876_595:                           ;   in Loop: Header=BB1876_563 Depth=2
	s_or_b64 exec, exec, s[36:37]
	v_cmp_lt_i16_e32 vcc, -1, v24
	v_cndmask_b32_e32 v4, -1, v65, vcc
	v_xor_b32_e32 v120, v4, v24
	v_cmp_ne_u16_e32 vcc, s62, v120
	v_cndmask_b32_e32 v4, v65, v120, vcc
	v_lshrrev_b32_sdwa v4, s77, v4 dst_sel:DWORD dst_unused:UNUSED_PAD src0_sel:DWORD src1_sel:WORD_0
	v_and_b32_e32 v21, s70, v4
	v_mad_u32_u24 v4, v21, 20, v91
	; wave barrier
	ds_read_b32 v121, v4 offset:1040
	v_and_b32_e32 v4, 1, v21
	v_add_co_u32_e32 v22, vcc, -1, v4
	v_addc_co_u32_e64 v122, s[36:37], 0, -1, vcc
	v_cmp_ne_u32_e32 vcc, 0, v4
	v_xor_b32_e32 v4, vcc_hi, v122
	v_and_b32_e32 v122, exec_hi, v4
	v_lshlrev_b32_e32 v4, 30, v21
	v_xor_b32_e32 v22, vcc_lo, v22
	v_cmp_gt_i64_e32 vcc, 0, v[3:4]
	v_not_b32_e32 v4, v4
	v_ashrrev_i32_e32 v4, 31, v4
	v_and_b32_e32 v22, exec_lo, v22
	v_xor_b32_e32 v123, vcc_hi, v4
	v_xor_b32_e32 v4, vcc_lo, v4
	v_and_b32_e32 v22, v22, v4
	v_lshlrev_b32_e32 v4, 29, v21
	v_cmp_gt_i64_e32 vcc, 0, v[3:4]
	v_not_b32_e32 v4, v4
	v_ashrrev_i32_e32 v4, 31, v4
	v_and_b32_e32 v122, v122, v123
	v_xor_b32_e32 v123, vcc_hi, v4
	v_xor_b32_e32 v4, vcc_lo, v4
	v_and_b32_e32 v22, v22, v4
	v_lshlrev_b32_e32 v4, 28, v21
	v_cmp_gt_i64_e32 vcc, 0, v[3:4]
	v_not_b32_e32 v4, v4
	v_ashrrev_i32_e32 v4, 31, v4
	v_and_b32_e32 v122, v122, v123
	;; [unrolled: 8-line block ×5, first 2 shown]
	v_xor_b32_e32 v123, vcc_hi, v4
	v_xor_b32_e32 v4, vcc_lo, v4
	v_and_b32_e32 v122, v122, v123
	v_and_b32_e32 v123, v22, v4
	v_lshlrev_b32_e32 v4, 24, v21
	v_cmp_gt_i64_e32 vcc, 0, v[3:4]
	v_not_b32_e32 v4, v4
	v_ashrrev_i32_e32 v4, 31, v4
	v_mul_u32_u24_e32 v24, 20, v21
	v_xor_b32_e32 v21, vcc_hi, v4
	v_xor_b32_e32 v4, vcc_lo, v4
	v_and_b32_e32 v22, v122, v21
	v_and_b32_e32 v21, v123, v4
	v_mbcnt_lo_u32_b32 v4, v21, 0
	v_mbcnt_hi_u32_b32 v122, v22, v4
	v_cmp_ne_u64_e32 vcc, 0, v[21:22]
	v_cmp_eq_u32_e64 s[36:37], 0, v122
	s_and_b64 s[38:39], vcc, s[36:37]
	v_add_u32_e32 v125, v91, v24
	; wave barrier
	s_and_saveexec_b64 s[36:37], s[38:39]
	s_cbranch_execz .LBB1876_597
; %bb.596:                              ;   in Loop: Header=BB1876_563 Depth=2
	v_bcnt_u32_b32 v4, v21, 0
	v_bcnt_u32_b32 v4, v22, v4
	s_waitcnt lgkmcnt(0)
	v_add_u32_e32 v4, v121, v4
	ds_write_b32 v125, v4 offset:1040
.LBB1876_597:                           ;   in Loop: Header=BB1876_563 Depth=2
	s_or_b64 exec, exec, s[36:37]
	v_cmp_lt_i16_e32 vcc, -1, v23
	v_cndmask_b32_e32 v4, -1, v65, vcc
	v_xor_b32_e32 v123, v4, v23
	v_cmp_ne_u16_e32 vcc, s62, v123
	v_cndmask_b32_e32 v4, v65, v123, vcc
	v_lshrrev_b32_sdwa v4, s77, v4 dst_sel:DWORD dst_unused:UNUSED_PAD src0_sel:DWORD src1_sel:WORD_0
	v_and_b32_e32 v21, s70, v4
	v_mad_u32_u24 v4, v21, 20, v91
	; wave barrier
	ds_read_b32 v124, v4 offset:1040
	v_and_b32_e32 v4, 1, v21
	v_add_co_u32_e32 v22, vcc, -1, v4
	v_addc_co_u32_e64 v24, s[36:37], 0, -1, vcc
	v_cmp_ne_u32_e32 vcc, 0, v4
	v_xor_b32_e32 v4, vcc_hi, v24
	v_and_b32_e32 v24, exec_hi, v4
	v_lshlrev_b32_e32 v4, 30, v21
	v_xor_b32_e32 v22, vcc_lo, v22
	v_cmp_gt_i64_e32 vcc, 0, v[3:4]
	v_not_b32_e32 v4, v4
	v_ashrrev_i32_e32 v4, 31, v4
	v_and_b32_e32 v22, exec_lo, v22
	v_xor_b32_e32 v126, vcc_hi, v4
	v_xor_b32_e32 v4, vcc_lo, v4
	v_and_b32_e32 v22, v22, v4
	v_lshlrev_b32_e32 v4, 29, v21
	v_cmp_gt_i64_e32 vcc, 0, v[3:4]
	v_not_b32_e32 v4, v4
	v_ashrrev_i32_e32 v4, 31, v4
	v_and_b32_e32 v24, v24, v126
	v_xor_b32_e32 v126, vcc_hi, v4
	v_xor_b32_e32 v4, vcc_lo, v4
	v_and_b32_e32 v22, v22, v4
	v_lshlrev_b32_e32 v4, 28, v21
	v_cmp_gt_i64_e32 vcc, 0, v[3:4]
	v_not_b32_e32 v4, v4
	v_ashrrev_i32_e32 v4, 31, v4
	v_and_b32_e32 v24, v24, v126
	;; [unrolled: 8-line block ×5, first 2 shown]
	v_xor_b32_e32 v126, vcc_hi, v4
	v_xor_b32_e32 v4, vcc_lo, v4
	v_and_b32_e32 v24, v24, v126
	v_and_b32_e32 v126, v22, v4
	v_lshlrev_b32_e32 v4, 24, v21
	v_cmp_gt_i64_e32 vcc, 0, v[3:4]
	v_not_b32_e32 v4, v4
	v_ashrrev_i32_e32 v4, 31, v4
	v_mul_u32_u24_e32 v23, 20, v21
	v_xor_b32_e32 v21, vcc_hi, v4
	v_xor_b32_e32 v4, vcc_lo, v4
	v_and_b32_e32 v22, v24, v21
	v_and_b32_e32 v21, v126, v4
	v_mbcnt_lo_u32_b32 v4, v21, 0
	v_mbcnt_hi_u32_b32 v126, v22, v4
	v_cmp_ne_u64_e32 vcc, 0, v[21:22]
	v_cmp_eq_u32_e64 s[36:37], 0, v126
	s_and_b64 s[38:39], vcc, s[36:37]
	v_add_u32_e32 v4, v91, v23
	; wave barrier
	s_and_saveexec_b64 s[36:37], s[38:39]
	s_cbranch_execz .LBB1876_599
; %bb.598:                              ;   in Loop: Header=BB1876_563 Depth=2
	v_bcnt_u32_b32 v21, v21, 0
	v_bcnt_u32_b32 v21, v22, v21
	s_waitcnt lgkmcnt(0)
	v_add_u32_e32 v21, v124, v21
	ds_write_b32 v4, v21 offset:1040
.LBB1876_599:                           ;   in Loop: Header=BB1876_563 Depth=2
	s_or_b64 exec, exec, s[36:37]
	; wave barrier
	s_waitcnt lgkmcnt(0)
	s_barrier
	ds_read2_b32 v[23:24], v62 offset1:1
	ds_read2_b32 v[21:22], v63 offset1:1
	ds_read_b32 v127, v41 offset:1056
	s_waitcnt lgkmcnt(1)
	v_add3_u32 v128, v24, v23, v21
	s_waitcnt lgkmcnt(0)
	v_add3_u32 v127, v128, v22, v127
	s_nop 1
	v_mov_b32_dpp v128, v127 row_shr:1 row_mask:0xf bank_mask:0xf
	v_cndmask_b32_e64 v128, v128, 0, s[16:17]
	v_add_u32_e32 v127, v128, v127
	s_nop 1
	v_mov_b32_dpp v128, v127 row_shr:2 row_mask:0xf bank_mask:0xf
	v_cndmask_b32_e64 v128, 0, v128, s[18:19]
	v_add_u32_e32 v127, v127, v128
	;; [unrolled: 4-line block ×4, first 2 shown]
	s_nop 1
	v_mov_b32_dpp v128, v127 row_bcast:15 row_mask:0xf bank_mask:0xf
	v_cndmask_b32_e64 v128, v128, 0, s[24:25]
	v_add_u32_e32 v127, v127, v128
	s_nop 1
	v_mov_b32_dpp v128, v127 row_bcast:31 row_mask:0xf bank_mask:0xf
	v_cndmask_b32_e64 v128, 0, v128, s[26:27]
	v_add_u32_e32 v127, v127, v128
	s_and_saveexec_b64 s[36:37], s[6:7]
; %bb.600:                              ;   in Loop: Header=BB1876_563 Depth=2
	ds_write_b32 v37, v127 offset:1024
; %bb.601:                              ;   in Loop: Header=BB1876_563 Depth=2
	s_or_b64 exec, exec, s[36:37]
	s_waitcnt lgkmcnt(0)
	s_barrier
	s_and_saveexec_b64 s[36:37], s[8:9]
	s_cbranch_execz .LBB1876_603
; %bb.602:                              ;   in Loop: Header=BB1876_563 Depth=2
	ds_read_b32 v128, v42 offset:1024
	s_waitcnt lgkmcnt(0)
	s_nop 0
	v_mov_b32_dpp v129, v128 row_shr:1 row_mask:0xf bank_mask:0xf
	v_cndmask_b32_e64 v129, v129, 0, s[30:31]
	v_add_u32_e32 v128, v129, v128
	s_nop 1
	v_mov_b32_dpp v129, v128 row_shr:2 row_mask:0xf bank_mask:0xf
	v_cndmask_b32_e64 v129, 0, v129, s[34:35]
	v_add_u32_e32 v128, v128, v129
	ds_write_b32 v42, v128 offset:1024
.LBB1876_603:                           ;   in Loop: Header=BB1876_563 Depth=2
	s_or_b64 exec, exec, s[36:37]
	v_mov_b32_e32 v128, 0
	s_waitcnt lgkmcnt(0)
	s_barrier
	s_and_saveexec_b64 s[36:37], s[10:11]
; %bb.604:                              ;   in Loop: Header=BB1876_563 Depth=2
	ds_read_b32 v128, v37 offset:1020
; %bb.605:                              ;   in Loop: Header=BB1876_563 Depth=2
	s_or_b64 exec, exec, s[36:37]
	s_waitcnt lgkmcnt(0)
	v_add_u32_e32 v127, v128, v127
	ds_bpermute_b32 v127, v82, v127
	s_waitcnt lgkmcnt(0)
	v_cndmask_b32_e64 v127, v127, v128, s[28:29]
	v_cndmask_b32_e64 v127, v127, 0, s[12:13]
	v_add_u32_e32 v23, v127, v23
	v_add_u32_e32 v24, v23, v24
	;; [unrolled: 1-line block ×4, first 2 shown]
	ds_write2_b32 v62, v127, v23 offset1:1
	ds_write2_b32 v63, v24, v21 offset1:1
	ds_write_b32 v41, v22 offset:1056
	s_waitcnt lgkmcnt(0)
	s_barrier
	ds_read_b32 v21, v101 offset:1040
	ds_read_b32 v22, v105 offset:1040
	;; [unrolled: 1-line block ×9, first 2 shown]
	v_mov_b32_e32 v4, 0x800
	s_and_saveexec_b64 s[36:37], s[14:15]
; %bb.606:                              ;   in Loop: Header=BB1876_563 Depth=2
	ds_read_b32 v4, v41 offset:1060
; %bb.607:                              ;   in Loop: Header=BB1876_563 Depth=2
	s_or_b64 exec, exec, s[36:37]
	s_waitcnt lgkmcnt(0)
	s_barrier
	s_and_saveexec_b64 s[36:37], s[4:5]
	s_cbranch_execz .LBB1876_609
; %bb.608:                              ;   in Loop: Header=BB1876_563 Depth=2
	ds_read_b32 v105, v25
	s_waitcnt lgkmcnt(0)
	v_sub_u32_e32 v101, v105, v101
	ds_write_b32 v25, v101
.LBB1876_609:                           ;   in Loop: Header=BB1876_563 Depth=2
	s_or_b64 exec, exec, s[36:37]
	v_add_u32_e32 v108, v21, v98
	v_add3_u32 v105, v102, v100, v22
	v_lshlrev_b32_e32 v21, 1, v108
	v_add3_u32 v102, v106, v104, v23
	ds_write_b16 v21, v97 offset:1024
	v_lshlrev_b32_e32 v21, 1, v105
	v_add3_u32 v101, v111, v109, v24
	ds_write_b16 v21, v99 offset:1024
	;; [unrolled: 3-line block ×6, first 2 shown]
	v_lshlrev_b32_e32 v21, 1, v24
	ds_write_b16 v21, v120 offset:1024
	v_lshlrev_b32_e32 v21, 1, v23
	v_cmp_lt_u32_e32 vcc, v0, v96
	ds_write_b16 v21, v123 offset:1024
	s_waitcnt lgkmcnt(0)
	s_barrier
	s_and_saveexec_b64 s[38:39], vcc
	s_cbranch_execnz .LBB1876_646
; %bb.610:                              ;   in Loop: Header=BB1876_563 Depth=2
	s_or_b64 exec, exec, s[38:39]
	v_cmp_lt_u32_e64 s[36:37], v26, v96
	s_and_saveexec_b64 s[40:41], s[36:37]
	s_cbranch_execnz .LBB1876_647
.LBB1876_611:                           ;   in Loop: Header=BB1876_563 Depth=2
	s_or_b64 exec, exec, s[40:41]
	v_cmp_lt_u32_e64 s[38:39], v27, v96
	s_and_saveexec_b64 s[42:43], s[38:39]
	s_cbranch_execnz .LBB1876_648
.LBB1876_612:                           ;   in Loop: Header=BB1876_563 Depth=2
	s_or_b64 exec, exec, s[42:43]
	v_cmp_lt_u32_e64 s[40:41], v28, v96
	s_and_saveexec_b64 s[44:45], s[40:41]
	s_cbranch_execnz .LBB1876_649
.LBB1876_613:                           ;   in Loop: Header=BB1876_563 Depth=2
	s_or_b64 exec, exec, s[44:45]
	v_cmp_lt_u32_e64 s[42:43], v31, v96
	s_and_saveexec_b64 s[46:47], s[42:43]
	s_cbranch_execnz .LBB1876_650
.LBB1876_614:                           ;   in Loop: Header=BB1876_563 Depth=2
	s_or_b64 exec, exec, s[46:47]
	v_cmp_lt_u32_e64 s[44:45], v32, v96
	s_and_saveexec_b64 s[48:49], s[44:45]
	s_cbranch_execnz .LBB1876_651
.LBB1876_615:                           ;   in Loop: Header=BB1876_563 Depth=2
	s_or_b64 exec, exec, s[48:49]
	v_cmp_lt_u32_e64 s[46:47], v33, v96
	s_and_saveexec_b64 s[52:53], s[46:47]
	s_cbranch_execnz .LBB1876_652
.LBB1876_616:                           ;   in Loop: Header=BB1876_563 Depth=2
	s_or_b64 exec, exec, s[52:53]
	v_cmp_lt_u32_e64 s[48:49], v34, v96
	s_and_saveexec_b64 s[60:61], s[48:49]
	s_cbranch_execz .LBB1876_618
.LBB1876_617:                           ;   in Loop: Header=BB1876_563 Depth=2
	ds_read_u16 v21, v47 offset:4608
	v_mov_b32_e32 v22, v3
	v_mov_b32_e32 v99, s69
	s_waitcnt lgkmcnt(0)
	v_cmp_ne_u16_e64 s[52:53], s62, v21
	v_cndmask_b32_e64 v97, v65, v21, s[52:53]
	v_lshrrev_b32_sdwa v97, s77, v97 dst_sel:DWORD dst_unused:UNUSED_PAD src0_sel:DWORD src1_sel:WORD_0
	v_and_b32_e32 v97, s70, v97
	v_lshlrev_b32_e32 v97, 2, v97
	ds_read_b32 v97, v97
	v_cmp_lt_i16_e64 s[52:53], -1, v21
	v_cndmask_b32_e64 v103, v65, -1, s[52:53]
	v_xor_b32_e32 v103, v103, v21
	s_waitcnt lgkmcnt(0)
	v_add_u32_e32 v21, v97, v34
	v_lshlrev_b64 v[21:22], 1, v[21:22]
	v_add_co_u32_e64 v21, s[52:53], s68, v21
	v_addc_co_u32_e64 v22, s[52:53], v99, v22, s[52:53]
	global_store_short v[21:22], v103, off
.LBB1876_618:                           ;   in Loop: Header=BB1876_563 Depth=2
	s_or_b64 exec, exec, s[60:61]
	s_lshl_b64 s[52:53], s[58:59], 3
	v_mov_b32_e32 v22, s53
	v_add_co_u32_e64 v21, s[52:53], s52, v83
	v_addc_co_u32_e64 v22, s[52:53], v84, v22, s[52:53]
	v_cmp_lt_u32_e64 s[52:53], v73, v96
	s_and_saveexec_b64 s[60:61], s[52:53]
	s_xor_b64 s[52:53], exec, s[60:61]
	s_cbranch_execnz .LBB1876_653
; %bb.619:                              ;   in Loop: Header=BB1876_563 Depth=2
	s_or_b64 exec, exec, s[52:53]
	v_cmp_lt_u32_e64 s[52:53], v74, v96
	s_and_saveexec_b64 s[60:61], s[52:53]
	s_cbranch_execnz .LBB1876_654
.LBB1876_620:                           ;   in Loop: Header=BB1876_563 Depth=2
	s_or_b64 exec, exec, s[60:61]
	v_cmp_lt_u32_e64 s[52:53], v75, v96
	s_and_saveexec_b64 s[60:61], s[52:53]
	s_cbranch_execnz .LBB1876_655
.LBB1876_621:                           ;   in Loop: Header=BB1876_563 Depth=2
	s_or_b64 exec, exec, s[60:61]
	v_cmp_lt_u32_e64 s[52:53], v76, v96
	s_and_saveexec_b64 s[60:61], s[52:53]
	s_cbranch_execnz .LBB1876_656
.LBB1876_622:                           ;   in Loop: Header=BB1876_563 Depth=2
	s_or_b64 exec, exec, s[60:61]
	v_cmp_lt_u32_e64 s[52:53], v77, v96
	s_and_saveexec_b64 s[60:61], s[52:53]
	s_cbranch_execnz .LBB1876_657
.LBB1876_623:                           ;   in Loop: Header=BB1876_563 Depth=2
	s_or_b64 exec, exec, s[60:61]
	v_cmp_lt_u32_e64 s[52:53], v78, v96
	s_and_saveexec_b64 s[60:61], s[52:53]
	s_cbranch_execnz .LBB1876_658
.LBB1876_624:                           ;   in Loop: Header=BB1876_563 Depth=2
	s_or_b64 exec, exec, s[60:61]
	v_cmp_lt_u32_e64 s[52:53], v79, v96
	s_and_saveexec_b64 s[60:61], s[52:53]
	s_cbranch_execnz .LBB1876_659
.LBB1876_625:                           ;   in Loop: Header=BB1876_563 Depth=2
	s_or_b64 exec, exec, s[60:61]
	v_cmp_lt_u32_e64 s[52:53], v80, v96
	s_and_saveexec_b64 s[60:61], s[52:53]
	s_cbranch_execnz .LBB1876_660
.LBB1876_626:                           ;   in Loop: Header=BB1876_563 Depth=2
	s_or_b64 exec, exec, s[60:61]
	s_and_saveexec_b64 s[60:61], vcc
	s_cbranch_execnz .LBB1876_661
.LBB1876_627:                           ;   in Loop: Header=BB1876_563 Depth=2
	s_or_b64 exec, exec, s[60:61]
	s_and_saveexec_b64 s[60:61], s[36:37]
	s_cbranch_execnz .LBB1876_662
.LBB1876_628:                           ;   in Loop: Header=BB1876_563 Depth=2
	s_or_b64 exec, exec, s[60:61]
	s_and_saveexec_b64 s[60:61], s[38:39]
	s_cbranch_execnz .LBB1876_663
.LBB1876_629:                           ;   in Loop: Header=BB1876_563 Depth=2
	s_or_b64 exec, exec, s[60:61]
	s_and_saveexec_b64 s[60:61], s[40:41]
	s_cbranch_execnz .LBB1876_664
.LBB1876_630:                           ;   in Loop: Header=BB1876_563 Depth=2
	s_or_b64 exec, exec, s[60:61]
	s_and_saveexec_b64 s[60:61], s[42:43]
	s_cbranch_execnz .LBB1876_665
.LBB1876_631:                           ;   in Loop: Header=BB1876_563 Depth=2
	s_or_b64 exec, exec, s[60:61]
	s_and_saveexec_b64 s[60:61], s[44:45]
	s_cbranch_execnz .LBB1876_666
.LBB1876_632:                           ;   in Loop: Header=BB1876_563 Depth=2
	s_or_b64 exec, exec, s[60:61]
	s_and_saveexec_b64 s[60:61], s[46:47]
	s_cbranch_execnz .LBB1876_667
.LBB1876_633:                           ;   in Loop: Header=BB1876_563 Depth=2
	s_or_b64 exec, exec, s[60:61]
	s_and_saveexec_b64 s[60:61], s[48:49]
	s_cbranch_execz .LBB1876_635
.LBB1876_634:                           ;   in Loop: Header=BB1876_563 Depth=2
	ds_read_u16 v21, v47 offset:4608
	s_waitcnt lgkmcnt(0)
	v_cmp_ne_u16_e64 s[52:53], s62, v21
	v_cndmask_b32_e64 v21, v65, v21, s[52:53]
	v_lshrrev_b32_sdwa v21, s77, v21 dst_sel:DWORD dst_unused:UNUSED_PAD src0_sel:DWORD src1_sel:WORD_0
	v_and_b32_e32 v87, s70, v21
.LBB1876_635:                           ;   in Loop: Header=BB1876_563 Depth=2
	s_or_b64 exec, exec, s[60:61]
	v_lshlrev_b32_e32 v21, 3, v108
	s_waitcnt vmcnt(0)
	s_barrier
	ds_write_b64 v21, v[19:20] offset:1024
	v_lshlrev_b32_e32 v21, 3, v105
	ds_write_b64 v21, v[17:18] offset:1024
	v_lshlrev_b32_e32 v21, 3, v102
	;; [unrolled: 2-line block ×7, first 2 shown]
	ds_write_b64 v21, v[5:6] offset:1024
	v_add_u32_e32 v21, v47, v48
	s_waitcnt lgkmcnt(0)
	s_barrier
	s_and_saveexec_b64 s[52:53], vcc
	s_cbranch_execnz .LBB1876_668
; %bb.636:                              ;   in Loop: Header=BB1876_563 Depth=2
	s_or_b64 exec, exec, s[52:53]
	s_and_saveexec_b64 s[52:53], s[36:37]
	s_cbranch_execnz .LBB1876_669
.LBB1876_637:                           ;   in Loop: Header=BB1876_563 Depth=2
	s_or_b64 exec, exec, s[52:53]
	s_and_saveexec_b64 s[36:37], s[38:39]
	s_cbranch_execnz .LBB1876_670
.LBB1876_638:                           ;   in Loop: Header=BB1876_563 Depth=2
	s_or_b64 exec, exec, s[36:37]
	s_and_saveexec_b64 s[36:37], s[40:41]
	s_cbranch_execnz .LBB1876_671
.LBB1876_639:                           ;   in Loop: Header=BB1876_563 Depth=2
	s_or_b64 exec, exec, s[36:37]
	s_and_saveexec_b64 s[36:37], s[42:43]
	s_cbranch_execnz .LBB1876_672
.LBB1876_640:                           ;   in Loop: Header=BB1876_563 Depth=2
	s_or_b64 exec, exec, s[36:37]
	s_and_saveexec_b64 s[36:37], s[44:45]
	s_cbranch_execnz .LBB1876_673
.LBB1876_641:                           ;   in Loop: Header=BB1876_563 Depth=2
	s_or_b64 exec, exec, s[36:37]
	s_and_saveexec_b64 s[36:37], s[46:47]
	s_cbranch_execnz .LBB1876_674
.LBB1876_642:                           ;   in Loop: Header=BB1876_563 Depth=2
	s_or_b64 exec, exec, s[36:37]
	s_and_saveexec_b64 s[36:37], s[48:49]
	s_cbranch_execz .LBB1876_644
.LBB1876_643:                           ;   in Loop: Header=BB1876_563 Depth=2
	v_lshlrev_b32_e32 v22, 2, v87
	ds_read_b32 v23, v22
	ds_read_b64 v[21:22], v21 offset:15360
	v_mov_b32_e32 v24, v3
	v_mov_b32_e32 v96, s75
	s_waitcnt lgkmcnt(1)
	v_add_u32_e32 v23, v23, v34
	v_lshlrev_b64 v[23:24], 3, v[23:24]
	v_add_co_u32_e32 v23, vcc, s74, v23
	v_addc_co_u32_e32 v24, vcc, v96, v24, vcc
	s_waitcnt lgkmcnt(0)
	global_store_dwordx2 v[23:24], v[21:22], off
.LBB1876_644:                           ;   in Loop: Header=BB1876_563 Depth=2
	s_or_b64 exec, exec, s[36:37]
	s_waitcnt vmcnt(0)
	s_barrier
	s_and_saveexec_b64 s[36:37], s[4:5]
	s_cbranch_execz .LBB1876_562
; %bb.645:                              ;   in Loop: Header=BB1876_563 Depth=2
	ds_read_b32 v21, v25
	s_waitcnt lgkmcnt(0)
	v_add_u32_e32 v4, v21, v4
	ds_write_b32 v25, v4
	s_branch .LBB1876_562
.LBB1876_646:                           ;   in Loop: Header=BB1876_563 Depth=2
	ds_read_u16 v21, v47 offset:1024
	v_mov_b32_e32 v22, v3
	v_mov_b32_e32 v99, s69
	s_waitcnt lgkmcnt(0)
	v_cmp_ne_u16_e64 s[36:37], s62, v21
	v_cndmask_b32_e64 v97, v65, v21, s[36:37]
	v_lshrrev_b32_sdwa v97, s77, v97 dst_sel:DWORD dst_unused:UNUSED_PAD src0_sel:DWORD src1_sel:WORD_0
	v_and_b32_e32 v97, s70, v97
	v_lshlrev_b32_e32 v97, 2, v97
	ds_read_b32 v97, v97
	v_cmp_lt_i16_e64 s[36:37], -1, v21
	v_cndmask_b32_e64 v103, v65, -1, s[36:37]
	v_xor_b32_e32 v103, v103, v21
	s_waitcnt lgkmcnt(0)
	v_add_u32_e32 v21, v97, v0
	v_lshlrev_b64 v[21:22], 1, v[21:22]
	v_add_co_u32_e64 v21, s[36:37], s68, v21
	v_addc_co_u32_e64 v22, s[36:37], v99, v22, s[36:37]
	global_store_short v[21:22], v103, off
	s_or_b64 exec, exec, s[38:39]
	v_cmp_lt_u32_e64 s[36:37], v26, v96
	s_and_saveexec_b64 s[40:41], s[36:37]
	s_cbranch_execz .LBB1876_611
.LBB1876_647:                           ;   in Loop: Header=BB1876_563 Depth=2
	ds_read_u16 v21, v47 offset:1536
	v_mov_b32_e32 v22, v3
	v_mov_b32_e32 v99, s69
	s_waitcnt lgkmcnt(0)
	v_cmp_ne_u16_e64 s[38:39], s62, v21
	v_cndmask_b32_e64 v97, v65, v21, s[38:39]
	v_lshrrev_b32_sdwa v97, s77, v97 dst_sel:DWORD dst_unused:UNUSED_PAD src0_sel:DWORD src1_sel:WORD_0
	v_and_b32_e32 v97, s70, v97
	v_lshlrev_b32_e32 v97, 2, v97
	ds_read_b32 v97, v97
	v_cmp_lt_i16_e64 s[38:39], -1, v21
	v_cndmask_b32_e64 v103, v65, -1, s[38:39]
	v_xor_b32_e32 v103, v103, v21
	s_waitcnt lgkmcnt(0)
	v_add_u32_e32 v21, v97, v26
	v_lshlrev_b64 v[21:22], 1, v[21:22]
	v_add_co_u32_e64 v21, s[38:39], s68, v21
	v_addc_co_u32_e64 v22, s[38:39], v99, v22, s[38:39]
	global_store_short v[21:22], v103, off
	s_or_b64 exec, exec, s[40:41]
	v_cmp_lt_u32_e64 s[38:39], v27, v96
	s_and_saveexec_b64 s[42:43], s[38:39]
	s_cbranch_execz .LBB1876_612
.LBB1876_648:                           ;   in Loop: Header=BB1876_563 Depth=2
	ds_read_u16 v21, v47 offset:2048
	v_mov_b32_e32 v22, v3
	v_mov_b32_e32 v99, s69
	s_waitcnt lgkmcnt(0)
	v_cmp_ne_u16_e64 s[40:41], s62, v21
	v_cndmask_b32_e64 v97, v65, v21, s[40:41]
	v_lshrrev_b32_sdwa v97, s77, v97 dst_sel:DWORD dst_unused:UNUSED_PAD src0_sel:DWORD src1_sel:WORD_0
	v_and_b32_e32 v97, s70, v97
	v_lshlrev_b32_e32 v97, 2, v97
	ds_read_b32 v97, v97
	v_cmp_lt_i16_e64 s[40:41], -1, v21
	v_cndmask_b32_e64 v103, v65, -1, s[40:41]
	v_xor_b32_e32 v103, v103, v21
	s_waitcnt lgkmcnt(0)
	v_add_u32_e32 v21, v97, v27
	v_lshlrev_b64 v[21:22], 1, v[21:22]
	v_add_co_u32_e64 v21, s[40:41], s68, v21
	v_addc_co_u32_e64 v22, s[40:41], v99, v22, s[40:41]
	global_store_short v[21:22], v103, off
	s_or_b64 exec, exec, s[42:43]
	v_cmp_lt_u32_e64 s[40:41], v28, v96
	s_and_saveexec_b64 s[44:45], s[40:41]
	s_cbranch_execz .LBB1876_613
.LBB1876_649:                           ;   in Loop: Header=BB1876_563 Depth=2
	ds_read_u16 v21, v47 offset:2560
	v_mov_b32_e32 v22, v3
	v_mov_b32_e32 v99, s69
	s_waitcnt lgkmcnt(0)
	v_cmp_ne_u16_e64 s[42:43], s62, v21
	v_cndmask_b32_e64 v97, v65, v21, s[42:43]
	v_lshrrev_b32_sdwa v97, s77, v97 dst_sel:DWORD dst_unused:UNUSED_PAD src0_sel:DWORD src1_sel:WORD_0
	v_and_b32_e32 v97, s70, v97
	v_lshlrev_b32_e32 v97, 2, v97
	ds_read_b32 v97, v97
	v_cmp_lt_i16_e64 s[42:43], -1, v21
	v_cndmask_b32_e64 v103, v65, -1, s[42:43]
	v_xor_b32_e32 v103, v103, v21
	s_waitcnt lgkmcnt(0)
	v_add_u32_e32 v21, v97, v28
	v_lshlrev_b64 v[21:22], 1, v[21:22]
	v_add_co_u32_e64 v21, s[42:43], s68, v21
	v_addc_co_u32_e64 v22, s[42:43], v99, v22, s[42:43]
	global_store_short v[21:22], v103, off
	s_or_b64 exec, exec, s[44:45]
	v_cmp_lt_u32_e64 s[42:43], v31, v96
	s_and_saveexec_b64 s[46:47], s[42:43]
	s_cbranch_execz .LBB1876_614
.LBB1876_650:                           ;   in Loop: Header=BB1876_563 Depth=2
	ds_read_u16 v21, v47 offset:3072
	v_mov_b32_e32 v22, v3
	v_mov_b32_e32 v99, s69
	s_waitcnt lgkmcnt(0)
	v_cmp_ne_u16_e64 s[44:45], s62, v21
	v_cndmask_b32_e64 v97, v65, v21, s[44:45]
	v_lshrrev_b32_sdwa v97, s77, v97 dst_sel:DWORD dst_unused:UNUSED_PAD src0_sel:DWORD src1_sel:WORD_0
	v_and_b32_e32 v97, s70, v97
	v_lshlrev_b32_e32 v97, 2, v97
	ds_read_b32 v97, v97
	v_cmp_lt_i16_e64 s[44:45], -1, v21
	v_cndmask_b32_e64 v103, v65, -1, s[44:45]
	v_xor_b32_e32 v103, v103, v21
	s_waitcnt lgkmcnt(0)
	v_add_u32_e32 v21, v97, v31
	v_lshlrev_b64 v[21:22], 1, v[21:22]
	v_add_co_u32_e64 v21, s[44:45], s68, v21
	v_addc_co_u32_e64 v22, s[44:45], v99, v22, s[44:45]
	global_store_short v[21:22], v103, off
	s_or_b64 exec, exec, s[46:47]
	v_cmp_lt_u32_e64 s[44:45], v32, v96
	s_and_saveexec_b64 s[48:49], s[44:45]
	s_cbranch_execz .LBB1876_615
.LBB1876_651:                           ;   in Loop: Header=BB1876_563 Depth=2
	ds_read_u16 v21, v47 offset:3584
	v_mov_b32_e32 v22, v3
	v_mov_b32_e32 v99, s69
	s_waitcnt lgkmcnt(0)
	v_cmp_ne_u16_e64 s[46:47], s62, v21
	v_cndmask_b32_e64 v97, v65, v21, s[46:47]
	v_lshrrev_b32_sdwa v97, s77, v97 dst_sel:DWORD dst_unused:UNUSED_PAD src0_sel:DWORD src1_sel:WORD_0
	v_and_b32_e32 v97, s70, v97
	v_lshlrev_b32_e32 v97, 2, v97
	ds_read_b32 v97, v97
	v_cmp_lt_i16_e64 s[46:47], -1, v21
	v_cndmask_b32_e64 v103, v65, -1, s[46:47]
	v_xor_b32_e32 v103, v103, v21
	s_waitcnt lgkmcnt(0)
	v_add_u32_e32 v21, v97, v32
	v_lshlrev_b64 v[21:22], 1, v[21:22]
	v_add_co_u32_e64 v21, s[46:47], s68, v21
	v_addc_co_u32_e64 v22, s[46:47], v99, v22, s[46:47]
	global_store_short v[21:22], v103, off
	s_or_b64 exec, exec, s[48:49]
	v_cmp_lt_u32_e64 s[46:47], v33, v96
	s_and_saveexec_b64 s[52:53], s[46:47]
	s_cbranch_execz .LBB1876_616
.LBB1876_652:                           ;   in Loop: Header=BB1876_563 Depth=2
	ds_read_u16 v21, v47 offset:4096
	v_mov_b32_e32 v22, v3
	v_mov_b32_e32 v99, s69
	s_waitcnt lgkmcnt(0)
	v_cmp_ne_u16_e64 s[48:49], s62, v21
	v_cndmask_b32_e64 v97, v65, v21, s[48:49]
	v_lshrrev_b32_sdwa v97, s77, v97 dst_sel:DWORD dst_unused:UNUSED_PAD src0_sel:DWORD src1_sel:WORD_0
	v_and_b32_e32 v97, s70, v97
	v_lshlrev_b32_e32 v97, 2, v97
	ds_read_b32 v97, v97
	v_cmp_lt_i16_e64 s[48:49], -1, v21
	v_cndmask_b32_e64 v103, v65, -1, s[48:49]
	v_xor_b32_e32 v103, v103, v21
	s_waitcnt lgkmcnt(0)
	v_add_u32_e32 v21, v97, v33
	v_lshlrev_b64 v[21:22], 1, v[21:22]
	v_add_co_u32_e64 v21, s[48:49], s68, v21
	v_addc_co_u32_e64 v22, s[48:49], v99, v22, s[48:49]
	global_store_short v[21:22], v103, off
	s_or_b64 exec, exec, s[52:53]
	v_cmp_lt_u32_e64 s[48:49], v34, v96
	s_and_saveexec_b64 s[60:61], s[48:49]
	s_cbranch_execnz .LBB1876_617
	s_branch .LBB1876_618
.LBB1876_653:                           ;   in Loop: Header=BB1876_563 Depth=2
	global_load_dwordx2 v[19:20], v[21:22], off
	s_or_b64 exec, exec, s[52:53]
	v_cmp_lt_u32_e64 s[52:53], v74, v96
	s_and_saveexec_b64 s[60:61], s[52:53]
	s_cbranch_execz .LBB1876_620
.LBB1876_654:                           ;   in Loop: Header=BB1876_563 Depth=2
	global_load_dwordx2 v[17:18], v[21:22], off offset:512
	s_or_b64 exec, exec, s[60:61]
	v_cmp_lt_u32_e64 s[52:53], v75, v96
	s_and_saveexec_b64 s[60:61], s[52:53]
	s_cbranch_execz .LBB1876_621
.LBB1876_655:                           ;   in Loop: Header=BB1876_563 Depth=2
	global_load_dwordx2 v[15:16], v[21:22], off offset:1024
	s_or_b64 exec, exec, s[60:61]
	v_cmp_lt_u32_e64 s[52:53], v76, v96
	s_and_saveexec_b64 s[60:61], s[52:53]
	s_cbranch_execz .LBB1876_622
.LBB1876_656:                           ;   in Loop: Header=BB1876_563 Depth=2
	global_load_dwordx2 v[13:14], v[21:22], off offset:1536
	s_or_b64 exec, exec, s[60:61]
	v_cmp_lt_u32_e64 s[52:53], v77, v96
	s_and_saveexec_b64 s[60:61], s[52:53]
	s_cbranch_execz .LBB1876_623
.LBB1876_657:                           ;   in Loop: Header=BB1876_563 Depth=2
	global_load_dwordx2 v[11:12], v[21:22], off offset:2048
	s_or_b64 exec, exec, s[60:61]
	v_cmp_lt_u32_e64 s[52:53], v78, v96
	s_and_saveexec_b64 s[60:61], s[52:53]
	s_cbranch_execz .LBB1876_624
.LBB1876_658:                           ;   in Loop: Header=BB1876_563 Depth=2
	global_load_dwordx2 v[9:10], v[21:22], off offset:2560
	s_or_b64 exec, exec, s[60:61]
	v_cmp_lt_u32_e64 s[52:53], v79, v96
	s_and_saveexec_b64 s[60:61], s[52:53]
	s_cbranch_execz .LBB1876_625
.LBB1876_659:                           ;   in Loop: Header=BB1876_563 Depth=2
	global_load_dwordx2 v[7:8], v[21:22], off offset:3072
	s_or_b64 exec, exec, s[60:61]
	v_cmp_lt_u32_e64 s[52:53], v80, v96
	s_and_saveexec_b64 s[60:61], s[52:53]
	s_cbranch_execz .LBB1876_626
.LBB1876_660:                           ;   in Loop: Header=BB1876_563 Depth=2
	global_load_dwordx2 v[5:6], v[21:22], off offset:3584
	s_or_b64 exec, exec, s[60:61]
	s_and_saveexec_b64 s[60:61], vcc
	s_cbranch_execz .LBB1876_627
.LBB1876_661:                           ;   in Loop: Header=BB1876_563 Depth=2
	ds_read_u16 v21, v47 offset:1024
	s_waitcnt lgkmcnt(0)
	v_cmp_ne_u16_e64 s[52:53], s62, v21
	v_cndmask_b32_e64 v21, v65, v21, s[52:53]
	v_lshrrev_b32_sdwa v21, s77, v21 dst_sel:DWORD dst_unused:UNUSED_PAD src0_sel:DWORD src1_sel:WORD_0
	v_and_b32_e32 v95, s70, v21
	s_or_b64 exec, exec, s[60:61]
	s_and_saveexec_b64 s[60:61], s[36:37]
	s_cbranch_execz .LBB1876_628
.LBB1876_662:                           ;   in Loop: Header=BB1876_563 Depth=2
	ds_read_u16 v21, v47 offset:1536
	s_waitcnt lgkmcnt(0)
	v_cmp_ne_u16_e64 s[52:53], s62, v21
	v_cndmask_b32_e64 v21, v65, v21, s[52:53]
	v_lshrrev_b32_sdwa v21, s77, v21 dst_sel:DWORD dst_unused:UNUSED_PAD src0_sel:DWORD src1_sel:WORD_0
	v_and_b32_e32 v94, s70, v21
	s_or_b64 exec, exec, s[60:61]
	s_and_saveexec_b64 s[60:61], s[38:39]
	s_cbranch_execz .LBB1876_629
.LBB1876_663:                           ;   in Loop: Header=BB1876_563 Depth=2
	ds_read_u16 v21, v47 offset:2048
	s_waitcnt lgkmcnt(0)
	v_cmp_ne_u16_e64 s[52:53], s62, v21
	v_cndmask_b32_e64 v21, v65, v21, s[52:53]
	v_lshrrev_b32_sdwa v21, s77, v21 dst_sel:DWORD dst_unused:UNUSED_PAD src0_sel:DWORD src1_sel:WORD_0
	v_and_b32_e32 v93, s70, v21
	s_or_b64 exec, exec, s[60:61]
	s_and_saveexec_b64 s[60:61], s[40:41]
	s_cbranch_execz .LBB1876_630
.LBB1876_664:                           ;   in Loop: Header=BB1876_563 Depth=2
	ds_read_u16 v21, v47 offset:2560
	s_waitcnt lgkmcnt(0)
	v_cmp_ne_u16_e64 s[52:53], s62, v21
	v_cndmask_b32_e64 v21, v65, v21, s[52:53]
	v_lshrrev_b32_sdwa v21, s77, v21 dst_sel:DWORD dst_unused:UNUSED_PAD src0_sel:DWORD src1_sel:WORD_0
	v_and_b32_e32 v92, s70, v21
	s_or_b64 exec, exec, s[60:61]
	s_and_saveexec_b64 s[60:61], s[42:43]
	s_cbranch_execz .LBB1876_631
.LBB1876_665:                           ;   in Loop: Header=BB1876_563 Depth=2
	ds_read_u16 v21, v47 offset:3072
	s_waitcnt lgkmcnt(0)
	v_cmp_ne_u16_e64 s[52:53], s62, v21
	v_cndmask_b32_e64 v21, v65, v21, s[52:53]
	v_lshrrev_b32_sdwa v21, s77, v21 dst_sel:DWORD dst_unused:UNUSED_PAD src0_sel:DWORD src1_sel:WORD_0
	v_and_b32_e32 v90, s70, v21
	s_or_b64 exec, exec, s[60:61]
	s_and_saveexec_b64 s[60:61], s[44:45]
	s_cbranch_execz .LBB1876_632
.LBB1876_666:                           ;   in Loop: Header=BB1876_563 Depth=2
	ds_read_u16 v21, v47 offset:3584
	s_waitcnt lgkmcnt(0)
	v_cmp_ne_u16_e64 s[52:53], s62, v21
	v_cndmask_b32_e64 v21, v65, v21, s[52:53]
	v_lshrrev_b32_sdwa v21, s77, v21 dst_sel:DWORD dst_unused:UNUSED_PAD src0_sel:DWORD src1_sel:WORD_0
	v_and_b32_e32 v89, s70, v21
	s_or_b64 exec, exec, s[60:61]
	s_and_saveexec_b64 s[60:61], s[46:47]
	s_cbranch_execz .LBB1876_633
.LBB1876_667:                           ;   in Loop: Header=BB1876_563 Depth=2
	ds_read_u16 v21, v47 offset:4096
	s_waitcnt lgkmcnt(0)
	v_cmp_ne_u16_e64 s[52:53], s62, v21
	v_cndmask_b32_e64 v21, v65, v21, s[52:53]
	v_lshrrev_b32_sdwa v21, s77, v21 dst_sel:DWORD dst_unused:UNUSED_PAD src0_sel:DWORD src1_sel:WORD_0
	v_and_b32_e32 v88, s70, v21
	s_or_b64 exec, exec, s[60:61]
	s_and_saveexec_b64 s[60:61], s[48:49]
	s_cbranch_execnz .LBB1876_634
	s_branch .LBB1876_635
.LBB1876_668:                           ;   in Loop: Header=BB1876_563 Depth=2
	v_lshlrev_b32_e32 v22, 2, v95
	ds_read_b32 v24, v22
	ds_read_b64 v[22:23], v21 offset:1024
	v_mov_b32_e32 v97, v3
	v_mov_b32_e32 v98, s75
	s_waitcnt lgkmcnt(1)
	v_add_u32_e32 v96, v24, v0
	v_lshlrev_b64 v[96:97], 3, v[96:97]
	v_add_co_u32_e32 v96, vcc, s74, v96
	v_addc_co_u32_e32 v97, vcc, v98, v97, vcc
	s_waitcnt lgkmcnt(0)
	global_store_dwordx2 v[96:97], v[22:23], off
	s_or_b64 exec, exec, s[52:53]
	s_and_saveexec_b64 s[52:53], s[36:37]
	s_cbranch_execz .LBB1876_637
.LBB1876_669:                           ;   in Loop: Header=BB1876_563 Depth=2
	v_lshlrev_b32_e32 v22, 2, v94
	ds_read_b32 v24, v22
	ds_read_b64 v[22:23], v21 offset:3072
	v_mov_b32_e32 v97, v3
	v_mov_b32_e32 v98, s75
	s_waitcnt lgkmcnt(1)
	v_add_u32_e32 v96, v24, v26
	v_lshlrev_b64 v[96:97], 3, v[96:97]
	v_add_co_u32_e32 v96, vcc, s74, v96
	v_addc_co_u32_e32 v97, vcc, v98, v97, vcc
	s_waitcnt lgkmcnt(0)
	global_store_dwordx2 v[96:97], v[22:23], off
	s_or_b64 exec, exec, s[52:53]
	s_and_saveexec_b64 s[36:37], s[38:39]
	s_cbranch_execz .LBB1876_638
.LBB1876_670:                           ;   in Loop: Header=BB1876_563 Depth=2
	v_lshlrev_b32_e32 v22, 2, v93
	ds_read_b32 v24, v22
	ds_read_b64 v[22:23], v21 offset:5120
	v_mov_b32_e32 v97, v3
	v_mov_b32_e32 v98, s75
	s_waitcnt lgkmcnt(1)
	v_add_u32_e32 v96, v24, v27
	v_lshlrev_b64 v[96:97], 3, v[96:97]
	v_add_co_u32_e32 v96, vcc, s74, v96
	v_addc_co_u32_e32 v97, vcc, v98, v97, vcc
	s_waitcnt lgkmcnt(0)
	global_store_dwordx2 v[96:97], v[22:23], off
	s_or_b64 exec, exec, s[36:37]
	s_and_saveexec_b64 s[36:37], s[40:41]
	s_cbranch_execz .LBB1876_639
.LBB1876_671:                           ;   in Loop: Header=BB1876_563 Depth=2
	v_lshlrev_b32_e32 v22, 2, v92
	ds_read_b32 v24, v22
	ds_read_b64 v[22:23], v21 offset:7168
	v_mov_b32_e32 v97, v3
	v_mov_b32_e32 v98, s75
	s_waitcnt lgkmcnt(1)
	v_add_u32_e32 v96, v24, v28
	v_lshlrev_b64 v[96:97], 3, v[96:97]
	v_add_co_u32_e32 v96, vcc, s74, v96
	v_addc_co_u32_e32 v97, vcc, v98, v97, vcc
	s_waitcnt lgkmcnt(0)
	global_store_dwordx2 v[96:97], v[22:23], off
	s_or_b64 exec, exec, s[36:37]
	s_and_saveexec_b64 s[36:37], s[42:43]
	s_cbranch_execz .LBB1876_640
.LBB1876_672:                           ;   in Loop: Header=BB1876_563 Depth=2
	v_lshlrev_b32_e32 v22, 2, v90
	ds_read_b32 v24, v22
	ds_read_b64 v[22:23], v21 offset:9216
	v_mov_b32_e32 v97, v3
	v_mov_b32_e32 v98, s75
	s_waitcnt lgkmcnt(1)
	v_add_u32_e32 v96, v24, v31
	v_lshlrev_b64 v[96:97], 3, v[96:97]
	v_add_co_u32_e32 v96, vcc, s74, v96
	v_addc_co_u32_e32 v97, vcc, v98, v97, vcc
	s_waitcnt lgkmcnt(0)
	global_store_dwordx2 v[96:97], v[22:23], off
	s_or_b64 exec, exec, s[36:37]
	s_and_saveexec_b64 s[36:37], s[44:45]
	s_cbranch_execz .LBB1876_641
.LBB1876_673:                           ;   in Loop: Header=BB1876_563 Depth=2
	v_lshlrev_b32_e32 v22, 2, v89
	ds_read_b32 v24, v22
	ds_read_b64 v[22:23], v21 offset:11264
	v_mov_b32_e32 v97, v3
	v_mov_b32_e32 v98, s75
	s_waitcnt lgkmcnt(1)
	v_add_u32_e32 v96, v24, v32
	v_lshlrev_b64 v[96:97], 3, v[96:97]
	v_add_co_u32_e32 v96, vcc, s74, v96
	v_addc_co_u32_e32 v97, vcc, v98, v97, vcc
	s_waitcnt lgkmcnt(0)
	global_store_dwordx2 v[96:97], v[22:23], off
	s_or_b64 exec, exec, s[36:37]
	s_and_saveexec_b64 s[36:37], s[46:47]
	s_cbranch_execz .LBB1876_642
.LBB1876_674:                           ;   in Loop: Header=BB1876_563 Depth=2
	v_lshlrev_b32_e32 v22, 2, v88
	ds_read_b32 v24, v22
	ds_read_b64 v[22:23], v21 offset:13312
	v_mov_b32_e32 v97, v3
	v_mov_b32_e32 v98, s75
	s_waitcnt lgkmcnt(1)
	v_add_u32_e32 v96, v24, v33
	v_lshlrev_b64 v[96:97], 3, v[96:97]
	v_add_co_u32_e32 v96, vcc, s74, v96
	v_addc_co_u32_e32 v97, vcc, v98, v97, vcc
	s_waitcnt lgkmcnt(0)
	global_store_dwordx2 v[96:97], v[22:23], off
	s_or_b64 exec, exec, s[36:37]
	s_and_saveexec_b64 s[36:37], s[48:49]
	s_cbranch_execnz .LBB1876_643
	s_branch .LBB1876_644
.LBB1876_675:
	s_endpgm
	.section	.rodata,"a",@progbits
	.p2align	6, 0x0
	.amdhsa_kernel _ZN7rocprim17ROCPRIM_400000_NS6detail17trampoline_kernelINS0_14default_configENS1_36segmented_radix_sort_config_selectorI6__halflEEZNS1_25segmented_radix_sort_implIS3_Lb0EPKS5_PS5_PKlPlN2at6native12_GLOBAL__N_18offset_tEEE10hipError_tPvRmT1_PNSt15iterator_traitsISL_E10value_typeET2_T3_PNSM_ISR_E10value_typeET4_jRbjT5_SX_jjP12ihipStream_tbEUlT_E2_NS1_11comp_targetILNS1_3genE2ELNS1_11target_archE906ELNS1_3gpuE6ELNS1_3repE0EEENS1_30default_config_static_selectorELNS0_4arch9wavefront6targetE1EEEvSL_
		.amdhsa_group_segment_fixed_size 17424
		.amdhsa_private_segment_fixed_size 0
		.amdhsa_kernarg_size 336
		.amdhsa_user_sgpr_count 6
		.amdhsa_user_sgpr_private_segment_buffer 1
		.amdhsa_user_sgpr_dispatch_ptr 0
		.amdhsa_user_sgpr_queue_ptr 0
		.amdhsa_user_sgpr_kernarg_segment_ptr 1
		.amdhsa_user_sgpr_dispatch_id 0
		.amdhsa_user_sgpr_flat_scratch_init 0
		.amdhsa_user_sgpr_private_segment_size 0
		.amdhsa_uses_dynamic_stack 0
		.amdhsa_system_sgpr_private_segment_wavefront_offset 0
		.amdhsa_system_sgpr_workgroup_id_x 1
		.amdhsa_system_sgpr_workgroup_id_y 1
		.amdhsa_system_sgpr_workgroup_id_z 0
		.amdhsa_system_sgpr_workgroup_info 0
		.amdhsa_system_vgpr_workitem_id 2
		.amdhsa_next_free_vgpr 195
		.amdhsa_next_free_sgpr 98
		.amdhsa_reserve_vcc 1
		.amdhsa_reserve_flat_scratch 0
		.amdhsa_float_round_mode_32 0
		.amdhsa_float_round_mode_16_64 0
		.amdhsa_float_denorm_mode_32 3
		.amdhsa_float_denorm_mode_16_64 3
		.amdhsa_dx10_clamp 1
		.amdhsa_ieee_mode 1
		.amdhsa_fp16_overflow 0
		.amdhsa_exception_fp_ieee_invalid_op 0
		.amdhsa_exception_fp_denorm_src 0
		.amdhsa_exception_fp_ieee_div_zero 0
		.amdhsa_exception_fp_ieee_overflow 0
		.amdhsa_exception_fp_ieee_underflow 0
		.amdhsa_exception_fp_ieee_inexact 0
		.amdhsa_exception_int_div_zero 0
	.end_amdhsa_kernel
	.section	.text._ZN7rocprim17ROCPRIM_400000_NS6detail17trampoline_kernelINS0_14default_configENS1_36segmented_radix_sort_config_selectorI6__halflEEZNS1_25segmented_radix_sort_implIS3_Lb0EPKS5_PS5_PKlPlN2at6native12_GLOBAL__N_18offset_tEEE10hipError_tPvRmT1_PNSt15iterator_traitsISL_E10value_typeET2_T3_PNSM_ISR_E10value_typeET4_jRbjT5_SX_jjP12ihipStream_tbEUlT_E2_NS1_11comp_targetILNS1_3genE2ELNS1_11target_archE906ELNS1_3gpuE6ELNS1_3repE0EEENS1_30default_config_static_selectorELNS0_4arch9wavefront6targetE1EEEvSL_,"axG",@progbits,_ZN7rocprim17ROCPRIM_400000_NS6detail17trampoline_kernelINS0_14default_configENS1_36segmented_radix_sort_config_selectorI6__halflEEZNS1_25segmented_radix_sort_implIS3_Lb0EPKS5_PS5_PKlPlN2at6native12_GLOBAL__N_18offset_tEEE10hipError_tPvRmT1_PNSt15iterator_traitsISL_E10value_typeET2_T3_PNSM_ISR_E10value_typeET4_jRbjT5_SX_jjP12ihipStream_tbEUlT_E2_NS1_11comp_targetILNS1_3genE2ELNS1_11target_archE906ELNS1_3gpuE6ELNS1_3repE0EEENS1_30default_config_static_selectorELNS0_4arch9wavefront6targetE1EEEvSL_,comdat
.Lfunc_end1876:
	.size	_ZN7rocprim17ROCPRIM_400000_NS6detail17trampoline_kernelINS0_14default_configENS1_36segmented_radix_sort_config_selectorI6__halflEEZNS1_25segmented_radix_sort_implIS3_Lb0EPKS5_PS5_PKlPlN2at6native12_GLOBAL__N_18offset_tEEE10hipError_tPvRmT1_PNSt15iterator_traitsISL_E10value_typeET2_T3_PNSM_ISR_E10value_typeET4_jRbjT5_SX_jjP12ihipStream_tbEUlT_E2_NS1_11comp_targetILNS1_3genE2ELNS1_11target_archE906ELNS1_3gpuE6ELNS1_3repE0EEENS1_30default_config_static_selectorELNS0_4arch9wavefront6targetE1EEEvSL_, .Lfunc_end1876-_ZN7rocprim17ROCPRIM_400000_NS6detail17trampoline_kernelINS0_14default_configENS1_36segmented_radix_sort_config_selectorI6__halflEEZNS1_25segmented_radix_sort_implIS3_Lb0EPKS5_PS5_PKlPlN2at6native12_GLOBAL__N_18offset_tEEE10hipError_tPvRmT1_PNSt15iterator_traitsISL_E10value_typeET2_T3_PNSM_ISR_E10value_typeET4_jRbjT5_SX_jjP12ihipStream_tbEUlT_E2_NS1_11comp_targetILNS1_3genE2ELNS1_11target_archE906ELNS1_3gpuE6ELNS1_3repE0EEENS1_30default_config_static_selectorELNS0_4arch9wavefront6targetE1EEEvSL_
                                        ; -- End function
	.set _ZN7rocprim17ROCPRIM_400000_NS6detail17trampoline_kernelINS0_14default_configENS1_36segmented_radix_sort_config_selectorI6__halflEEZNS1_25segmented_radix_sort_implIS3_Lb0EPKS5_PS5_PKlPlN2at6native12_GLOBAL__N_18offset_tEEE10hipError_tPvRmT1_PNSt15iterator_traitsISL_E10value_typeET2_T3_PNSM_ISR_E10value_typeET4_jRbjT5_SX_jjP12ihipStream_tbEUlT_E2_NS1_11comp_targetILNS1_3genE2ELNS1_11target_archE906ELNS1_3gpuE6ELNS1_3repE0EEENS1_30default_config_static_selectorELNS0_4arch9wavefront6targetE1EEEvSL_.num_vgpr, max(130, .L_ZN7rocprim17ROCPRIM_400000_NS6detail26segmented_warp_sort_helperINS1_20WarpSortHelperConfigILj8ELj4ELj256EEE6__halflLi256ELb0EvE4sortIPKS5_PS5_PKlPlEEvT_SA_T0_T1_SD_T2_bjjjjRNS6_12storage_typeE.num_vgpr, .L_ZN7rocprim17ROCPRIM_400000_NS6detail40segmented_radix_sort_single_block_helperI6__halflLj256ELj8ELb0EE4sortIPKS3_PS3_PKlPlEEbT_T0_T1_T2_jjjjRNS4_12storage_typeE.num_vgpr)
	.set _ZN7rocprim17ROCPRIM_400000_NS6detail17trampoline_kernelINS0_14default_configENS1_36segmented_radix_sort_config_selectorI6__halflEEZNS1_25segmented_radix_sort_implIS3_Lb0EPKS5_PS5_PKlPlN2at6native12_GLOBAL__N_18offset_tEEE10hipError_tPvRmT1_PNSt15iterator_traitsISL_E10value_typeET2_T3_PNSM_ISR_E10value_typeET4_jRbjT5_SX_jjP12ihipStream_tbEUlT_E2_NS1_11comp_targetILNS1_3genE2ELNS1_11target_archE906ELNS1_3gpuE6ELNS1_3repE0EEENS1_30default_config_static_selectorELNS0_4arch9wavefront6targetE1EEEvSL_.num_agpr, max(0, .L_ZN7rocprim17ROCPRIM_400000_NS6detail26segmented_warp_sort_helperINS1_20WarpSortHelperConfigILj8ELj4ELj256EEE6__halflLi256ELb0EvE4sortIPKS5_PS5_PKlPlEEvT_SA_T0_T1_SD_T2_bjjjjRNS6_12storage_typeE.num_agpr, .L_ZN7rocprim17ROCPRIM_400000_NS6detail40segmented_radix_sort_single_block_helperI6__halflLj256ELj8ELb0EE4sortIPKS3_PS3_PKlPlEEbT_T0_T1_T2_jjjjRNS4_12storage_typeE.num_agpr)
	.set _ZN7rocprim17ROCPRIM_400000_NS6detail17trampoline_kernelINS0_14default_configENS1_36segmented_radix_sort_config_selectorI6__halflEEZNS1_25segmented_radix_sort_implIS3_Lb0EPKS5_PS5_PKlPlN2at6native12_GLOBAL__N_18offset_tEEE10hipError_tPvRmT1_PNSt15iterator_traitsISL_E10value_typeET2_T3_PNSM_ISR_E10value_typeET4_jRbjT5_SX_jjP12ihipStream_tbEUlT_E2_NS1_11comp_targetILNS1_3genE2ELNS1_11target_archE906ELNS1_3gpuE6ELNS1_3repE0EEENS1_30default_config_static_selectorELNS0_4arch9wavefront6targetE1EEEvSL_.numbered_sgpr, max(81, .L_ZN7rocprim17ROCPRIM_400000_NS6detail26segmented_warp_sort_helperINS1_20WarpSortHelperConfigILj8ELj4ELj256EEE6__halflLi256ELb0EvE4sortIPKS5_PS5_PKlPlEEvT_SA_T0_T1_SD_T2_bjjjjRNS6_12storage_typeE.numbered_sgpr, .L_ZN7rocprim17ROCPRIM_400000_NS6detail40segmented_radix_sort_single_block_helperI6__halflLj256ELj8ELb0EE4sortIPKS3_PS3_PKlPlEEbT_T0_T1_T2_jjjjRNS4_12storage_typeE.numbered_sgpr)
	.set _ZN7rocprim17ROCPRIM_400000_NS6detail17trampoline_kernelINS0_14default_configENS1_36segmented_radix_sort_config_selectorI6__halflEEZNS1_25segmented_radix_sort_implIS3_Lb0EPKS5_PS5_PKlPlN2at6native12_GLOBAL__N_18offset_tEEE10hipError_tPvRmT1_PNSt15iterator_traitsISL_E10value_typeET2_T3_PNSM_ISR_E10value_typeET4_jRbjT5_SX_jjP12ihipStream_tbEUlT_E2_NS1_11comp_targetILNS1_3genE2ELNS1_11target_archE906ELNS1_3gpuE6ELNS1_3repE0EEENS1_30default_config_static_selectorELNS0_4arch9wavefront6targetE1EEEvSL_.num_named_barrier, max(0, .L_ZN7rocprim17ROCPRIM_400000_NS6detail26segmented_warp_sort_helperINS1_20WarpSortHelperConfigILj8ELj4ELj256EEE6__halflLi256ELb0EvE4sortIPKS5_PS5_PKlPlEEvT_SA_T0_T1_SD_T2_bjjjjRNS6_12storage_typeE.num_named_barrier, .L_ZN7rocprim17ROCPRIM_400000_NS6detail40segmented_radix_sort_single_block_helperI6__halflLj256ELj8ELb0EE4sortIPKS3_PS3_PKlPlEEbT_T0_T1_T2_jjjjRNS4_12storage_typeE.num_named_barrier)
	.set _ZN7rocprim17ROCPRIM_400000_NS6detail17trampoline_kernelINS0_14default_configENS1_36segmented_radix_sort_config_selectorI6__halflEEZNS1_25segmented_radix_sort_implIS3_Lb0EPKS5_PS5_PKlPlN2at6native12_GLOBAL__N_18offset_tEEE10hipError_tPvRmT1_PNSt15iterator_traitsISL_E10value_typeET2_T3_PNSM_ISR_E10value_typeET4_jRbjT5_SX_jjP12ihipStream_tbEUlT_E2_NS1_11comp_targetILNS1_3genE2ELNS1_11target_archE906ELNS1_3gpuE6ELNS1_3repE0EEENS1_30default_config_static_selectorELNS0_4arch9wavefront6targetE1EEEvSL_.private_seg_size, 0+max(.L_ZN7rocprim17ROCPRIM_400000_NS6detail26segmented_warp_sort_helperINS1_20WarpSortHelperConfigILj8ELj4ELj256EEE6__halflLi256ELb0EvE4sortIPKS5_PS5_PKlPlEEvT_SA_T0_T1_SD_T2_bjjjjRNS6_12storage_typeE.private_seg_size, .L_ZN7rocprim17ROCPRIM_400000_NS6detail40segmented_radix_sort_single_block_helperI6__halflLj256ELj8ELb0EE4sortIPKS3_PS3_PKlPlEEbT_T0_T1_T2_jjjjRNS4_12storage_typeE.private_seg_size)
	.set _ZN7rocprim17ROCPRIM_400000_NS6detail17trampoline_kernelINS0_14default_configENS1_36segmented_radix_sort_config_selectorI6__halflEEZNS1_25segmented_radix_sort_implIS3_Lb0EPKS5_PS5_PKlPlN2at6native12_GLOBAL__N_18offset_tEEE10hipError_tPvRmT1_PNSt15iterator_traitsISL_E10value_typeET2_T3_PNSM_ISR_E10value_typeET4_jRbjT5_SX_jjP12ihipStream_tbEUlT_E2_NS1_11comp_targetILNS1_3genE2ELNS1_11target_archE906ELNS1_3gpuE6ELNS1_3repE0EEENS1_30default_config_static_selectorELNS0_4arch9wavefront6targetE1EEEvSL_.uses_vcc, or(1, .L_ZN7rocprim17ROCPRIM_400000_NS6detail26segmented_warp_sort_helperINS1_20WarpSortHelperConfigILj8ELj4ELj256EEE6__halflLi256ELb0EvE4sortIPKS5_PS5_PKlPlEEvT_SA_T0_T1_SD_T2_bjjjjRNS6_12storage_typeE.uses_vcc, .L_ZN7rocprim17ROCPRIM_400000_NS6detail40segmented_radix_sort_single_block_helperI6__halflLj256ELj8ELb0EE4sortIPKS3_PS3_PKlPlEEbT_T0_T1_T2_jjjjRNS4_12storage_typeE.uses_vcc)
	.set _ZN7rocprim17ROCPRIM_400000_NS6detail17trampoline_kernelINS0_14default_configENS1_36segmented_radix_sort_config_selectorI6__halflEEZNS1_25segmented_radix_sort_implIS3_Lb0EPKS5_PS5_PKlPlN2at6native12_GLOBAL__N_18offset_tEEE10hipError_tPvRmT1_PNSt15iterator_traitsISL_E10value_typeET2_T3_PNSM_ISR_E10value_typeET4_jRbjT5_SX_jjP12ihipStream_tbEUlT_E2_NS1_11comp_targetILNS1_3genE2ELNS1_11target_archE906ELNS1_3gpuE6ELNS1_3repE0EEENS1_30default_config_static_selectorELNS0_4arch9wavefront6targetE1EEEvSL_.uses_flat_scratch, or(0, .L_ZN7rocprim17ROCPRIM_400000_NS6detail26segmented_warp_sort_helperINS1_20WarpSortHelperConfigILj8ELj4ELj256EEE6__halflLi256ELb0EvE4sortIPKS5_PS5_PKlPlEEvT_SA_T0_T1_SD_T2_bjjjjRNS6_12storage_typeE.uses_flat_scratch, .L_ZN7rocprim17ROCPRIM_400000_NS6detail40segmented_radix_sort_single_block_helperI6__halflLj256ELj8ELb0EE4sortIPKS3_PS3_PKlPlEEbT_T0_T1_T2_jjjjRNS4_12storage_typeE.uses_flat_scratch)
	.set _ZN7rocprim17ROCPRIM_400000_NS6detail17trampoline_kernelINS0_14default_configENS1_36segmented_radix_sort_config_selectorI6__halflEEZNS1_25segmented_radix_sort_implIS3_Lb0EPKS5_PS5_PKlPlN2at6native12_GLOBAL__N_18offset_tEEE10hipError_tPvRmT1_PNSt15iterator_traitsISL_E10value_typeET2_T3_PNSM_ISR_E10value_typeET4_jRbjT5_SX_jjP12ihipStream_tbEUlT_E2_NS1_11comp_targetILNS1_3genE2ELNS1_11target_archE906ELNS1_3gpuE6ELNS1_3repE0EEENS1_30default_config_static_selectorELNS0_4arch9wavefront6targetE1EEEvSL_.has_dyn_sized_stack, or(0, .L_ZN7rocprim17ROCPRIM_400000_NS6detail26segmented_warp_sort_helperINS1_20WarpSortHelperConfigILj8ELj4ELj256EEE6__halflLi256ELb0EvE4sortIPKS5_PS5_PKlPlEEvT_SA_T0_T1_SD_T2_bjjjjRNS6_12storage_typeE.has_dyn_sized_stack, .L_ZN7rocprim17ROCPRIM_400000_NS6detail40segmented_radix_sort_single_block_helperI6__halflLj256ELj8ELb0EE4sortIPKS3_PS3_PKlPlEEbT_T0_T1_T2_jjjjRNS4_12storage_typeE.has_dyn_sized_stack)
	.set _ZN7rocprim17ROCPRIM_400000_NS6detail17trampoline_kernelINS0_14default_configENS1_36segmented_radix_sort_config_selectorI6__halflEEZNS1_25segmented_radix_sort_implIS3_Lb0EPKS5_PS5_PKlPlN2at6native12_GLOBAL__N_18offset_tEEE10hipError_tPvRmT1_PNSt15iterator_traitsISL_E10value_typeET2_T3_PNSM_ISR_E10value_typeET4_jRbjT5_SX_jjP12ihipStream_tbEUlT_E2_NS1_11comp_targetILNS1_3genE2ELNS1_11target_archE906ELNS1_3gpuE6ELNS1_3repE0EEENS1_30default_config_static_selectorELNS0_4arch9wavefront6targetE1EEEvSL_.has_recursion, or(0, .L_ZN7rocprim17ROCPRIM_400000_NS6detail26segmented_warp_sort_helperINS1_20WarpSortHelperConfigILj8ELj4ELj256EEE6__halflLi256ELb0EvE4sortIPKS5_PS5_PKlPlEEvT_SA_T0_T1_SD_T2_bjjjjRNS6_12storage_typeE.has_recursion, .L_ZN7rocprim17ROCPRIM_400000_NS6detail40segmented_radix_sort_single_block_helperI6__halflLj256ELj8ELb0EE4sortIPKS3_PS3_PKlPlEEbT_T0_T1_T2_jjjjRNS4_12storage_typeE.has_recursion)
	.set _ZN7rocprim17ROCPRIM_400000_NS6detail17trampoline_kernelINS0_14default_configENS1_36segmented_radix_sort_config_selectorI6__halflEEZNS1_25segmented_radix_sort_implIS3_Lb0EPKS5_PS5_PKlPlN2at6native12_GLOBAL__N_18offset_tEEE10hipError_tPvRmT1_PNSt15iterator_traitsISL_E10value_typeET2_T3_PNSM_ISR_E10value_typeET4_jRbjT5_SX_jjP12ihipStream_tbEUlT_E2_NS1_11comp_targetILNS1_3genE2ELNS1_11target_archE906ELNS1_3gpuE6ELNS1_3repE0EEENS1_30default_config_static_selectorELNS0_4arch9wavefront6targetE1EEEvSL_.has_indirect_call, or(0, .L_ZN7rocprim17ROCPRIM_400000_NS6detail26segmented_warp_sort_helperINS1_20WarpSortHelperConfigILj8ELj4ELj256EEE6__halflLi256ELb0EvE4sortIPKS5_PS5_PKlPlEEvT_SA_T0_T1_SD_T2_bjjjjRNS6_12storage_typeE.has_indirect_call, .L_ZN7rocprim17ROCPRIM_400000_NS6detail40segmented_radix_sort_single_block_helperI6__halflLj256ELj8ELb0EE4sortIPKS3_PS3_PKlPlEEbT_T0_T1_T2_jjjjRNS4_12storage_typeE.has_indirect_call)
	.section	.AMDGPU.csdata,"",@progbits
; Kernel info:
; codeLenInByte = 37804
; TotalNumSgprs: 85
; NumVgprs: 195
; ScratchSize: 0
; MemoryBound: 0
; FloatMode: 240
; IeeeMode: 1
; LDSByteSize: 17424 bytes/workgroup (compile time only)
; SGPRBlocks: 12
; VGPRBlocks: 48
; NumSGPRsForWavesPerEU: 102
; NumVGPRsForWavesPerEU: 195
; Occupancy: 1
; WaveLimiterHint : 1
; COMPUTE_PGM_RSRC2:SCRATCH_EN: 0
; COMPUTE_PGM_RSRC2:USER_SGPR: 6
; COMPUTE_PGM_RSRC2:TRAP_HANDLER: 0
; COMPUTE_PGM_RSRC2:TGID_X_EN: 1
; COMPUTE_PGM_RSRC2:TGID_Y_EN: 1
; COMPUTE_PGM_RSRC2:TGID_Z_EN: 0
; COMPUTE_PGM_RSRC2:TIDIG_COMP_CNT: 2
	.section	.text._ZN7rocprim17ROCPRIM_400000_NS6detail17trampoline_kernelINS0_14default_configENS1_36segmented_radix_sort_config_selectorI6__halflEEZNS1_25segmented_radix_sort_implIS3_Lb0EPKS5_PS5_PKlPlN2at6native12_GLOBAL__N_18offset_tEEE10hipError_tPvRmT1_PNSt15iterator_traitsISL_E10value_typeET2_T3_PNSM_ISR_E10value_typeET4_jRbjT5_SX_jjP12ihipStream_tbEUlT_E2_NS1_11comp_targetILNS1_3genE10ELNS1_11target_archE1201ELNS1_3gpuE5ELNS1_3repE0EEENS1_30default_config_static_selectorELNS0_4arch9wavefront6targetE1EEEvSL_,"axG",@progbits,_ZN7rocprim17ROCPRIM_400000_NS6detail17trampoline_kernelINS0_14default_configENS1_36segmented_radix_sort_config_selectorI6__halflEEZNS1_25segmented_radix_sort_implIS3_Lb0EPKS5_PS5_PKlPlN2at6native12_GLOBAL__N_18offset_tEEE10hipError_tPvRmT1_PNSt15iterator_traitsISL_E10value_typeET2_T3_PNSM_ISR_E10value_typeET4_jRbjT5_SX_jjP12ihipStream_tbEUlT_E2_NS1_11comp_targetILNS1_3genE10ELNS1_11target_archE1201ELNS1_3gpuE5ELNS1_3repE0EEENS1_30default_config_static_selectorELNS0_4arch9wavefront6targetE1EEEvSL_,comdat
	.globl	_ZN7rocprim17ROCPRIM_400000_NS6detail17trampoline_kernelINS0_14default_configENS1_36segmented_radix_sort_config_selectorI6__halflEEZNS1_25segmented_radix_sort_implIS3_Lb0EPKS5_PS5_PKlPlN2at6native12_GLOBAL__N_18offset_tEEE10hipError_tPvRmT1_PNSt15iterator_traitsISL_E10value_typeET2_T3_PNSM_ISR_E10value_typeET4_jRbjT5_SX_jjP12ihipStream_tbEUlT_E2_NS1_11comp_targetILNS1_3genE10ELNS1_11target_archE1201ELNS1_3gpuE5ELNS1_3repE0EEENS1_30default_config_static_selectorELNS0_4arch9wavefront6targetE1EEEvSL_ ; -- Begin function _ZN7rocprim17ROCPRIM_400000_NS6detail17trampoline_kernelINS0_14default_configENS1_36segmented_radix_sort_config_selectorI6__halflEEZNS1_25segmented_radix_sort_implIS3_Lb0EPKS5_PS5_PKlPlN2at6native12_GLOBAL__N_18offset_tEEE10hipError_tPvRmT1_PNSt15iterator_traitsISL_E10value_typeET2_T3_PNSM_ISR_E10value_typeET4_jRbjT5_SX_jjP12ihipStream_tbEUlT_E2_NS1_11comp_targetILNS1_3genE10ELNS1_11target_archE1201ELNS1_3gpuE5ELNS1_3repE0EEENS1_30default_config_static_selectorELNS0_4arch9wavefront6targetE1EEEvSL_
	.p2align	8
	.type	_ZN7rocprim17ROCPRIM_400000_NS6detail17trampoline_kernelINS0_14default_configENS1_36segmented_radix_sort_config_selectorI6__halflEEZNS1_25segmented_radix_sort_implIS3_Lb0EPKS5_PS5_PKlPlN2at6native12_GLOBAL__N_18offset_tEEE10hipError_tPvRmT1_PNSt15iterator_traitsISL_E10value_typeET2_T3_PNSM_ISR_E10value_typeET4_jRbjT5_SX_jjP12ihipStream_tbEUlT_E2_NS1_11comp_targetILNS1_3genE10ELNS1_11target_archE1201ELNS1_3gpuE5ELNS1_3repE0EEENS1_30default_config_static_selectorELNS0_4arch9wavefront6targetE1EEEvSL_,@function
_ZN7rocprim17ROCPRIM_400000_NS6detail17trampoline_kernelINS0_14default_configENS1_36segmented_radix_sort_config_selectorI6__halflEEZNS1_25segmented_radix_sort_implIS3_Lb0EPKS5_PS5_PKlPlN2at6native12_GLOBAL__N_18offset_tEEE10hipError_tPvRmT1_PNSt15iterator_traitsISL_E10value_typeET2_T3_PNSM_ISR_E10value_typeET4_jRbjT5_SX_jjP12ihipStream_tbEUlT_E2_NS1_11comp_targetILNS1_3genE10ELNS1_11target_archE1201ELNS1_3gpuE5ELNS1_3repE0EEENS1_30default_config_static_selectorELNS0_4arch9wavefront6targetE1EEEvSL_: ; @_ZN7rocprim17ROCPRIM_400000_NS6detail17trampoline_kernelINS0_14default_configENS1_36segmented_radix_sort_config_selectorI6__halflEEZNS1_25segmented_radix_sort_implIS3_Lb0EPKS5_PS5_PKlPlN2at6native12_GLOBAL__N_18offset_tEEE10hipError_tPvRmT1_PNSt15iterator_traitsISL_E10value_typeET2_T3_PNSM_ISR_E10value_typeET4_jRbjT5_SX_jjP12ihipStream_tbEUlT_E2_NS1_11comp_targetILNS1_3genE10ELNS1_11target_archE1201ELNS1_3gpuE5ELNS1_3repE0EEENS1_30default_config_static_selectorELNS0_4arch9wavefront6targetE1EEEvSL_
; %bb.0:
	.section	.rodata,"a",@progbits
	.p2align	6, 0x0
	.amdhsa_kernel _ZN7rocprim17ROCPRIM_400000_NS6detail17trampoline_kernelINS0_14default_configENS1_36segmented_radix_sort_config_selectorI6__halflEEZNS1_25segmented_radix_sort_implIS3_Lb0EPKS5_PS5_PKlPlN2at6native12_GLOBAL__N_18offset_tEEE10hipError_tPvRmT1_PNSt15iterator_traitsISL_E10value_typeET2_T3_PNSM_ISR_E10value_typeET4_jRbjT5_SX_jjP12ihipStream_tbEUlT_E2_NS1_11comp_targetILNS1_3genE10ELNS1_11target_archE1201ELNS1_3gpuE5ELNS1_3repE0EEENS1_30default_config_static_selectorELNS0_4arch9wavefront6targetE1EEEvSL_
		.amdhsa_group_segment_fixed_size 0
		.amdhsa_private_segment_fixed_size 0
		.amdhsa_kernarg_size 80
		.amdhsa_user_sgpr_count 6
		.amdhsa_user_sgpr_private_segment_buffer 1
		.amdhsa_user_sgpr_dispatch_ptr 0
		.amdhsa_user_sgpr_queue_ptr 0
		.amdhsa_user_sgpr_kernarg_segment_ptr 1
		.amdhsa_user_sgpr_dispatch_id 0
		.amdhsa_user_sgpr_flat_scratch_init 0
		.amdhsa_user_sgpr_private_segment_size 0
		.amdhsa_uses_dynamic_stack 0
		.amdhsa_system_sgpr_private_segment_wavefront_offset 0
		.amdhsa_system_sgpr_workgroup_id_x 1
		.amdhsa_system_sgpr_workgroup_id_y 0
		.amdhsa_system_sgpr_workgroup_id_z 0
		.amdhsa_system_sgpr_workgroup_info 0
		.amdhsa_system_vgpr_workitem_id 0
		.amdhsa_next_free_vgpr 1
		.amdhsa_next_free_sgpr 0
		.amdhsa_reserve_vcc 0
		.amdhsa_reserve_flat_scratch 0
		.amdhsa_float_round_mode_32 0
		.amdhsa_float_round_mode_16_64 0
		.amdhsa_float_denorm_mode_32 3
		.amdhsa_float_denorm_mode_16_64 3
		.amdhsa_dx10_clamp 1
		.amdhsa_ieee_mode 1
		.amdhsa_fp16_overflow 0
		.amdhsa_exception_fp_ieee_invalid_op 0
		.amdhsa_exception_fp_denorm_src 0
		.amdhsa_exception_fp_ieee_div_zero 0
		.amdhsa_exception_fp_ieee_overflow 0
		.amdhsa_exception_fp_ieee_underflow 0
		.amdhsa_exception_fp_ieee_inexact 0
		.amdhsa_exception_int_div_zero 0
	.end_amdhsa_kernel
	.section	.text._ZN7rocprim17ROCPRIM_400000_NS6detail17trampoline_kernelINS0_14default_configENS1_36segmented_radix_sort_config_selectorI6__halflEEZNS1_25segmented_radix_sort_implIS3_Lb0EPKS5_PS5_PKlPlN2at6native12_GLOBAL__N_18offset_tEEE10hipError_tPvRmT1_PNSt15iterator_traitsISL_E10value_typeET2_T3_PNSM_ISR_E10value_typeET4_jRbjT5_SX_jjP12ihipStream_tbEUlT_E2_NS1_11comp_targetILNS1_3genE10ELNS1_11target_archE1201ELNS1_3gpuE5ELNS1_3repE0EEENS1_30default_config_static_selectorELNS0_4arch9wavefront6targetE1EEEvSL_,"axG",@progbits,_ZN7rocprim17ROCPRIM_400000_NS6detail17trampoline_kernelINS0_14default_configENS1_36segmented_radix_sort_config_selectorI6__halflEEZNS1_25segmented_radix_sort_implIS3_Lb0EPKS5_PS5_PKlPlN2at6native12_GLOBAL__N_18offset_tEEE10hipError_tPvRmT1_PNSt15iterator_traitsISL_E10value_typeET2_T3_PNSM_ISR_E10value_typeET4_jRbjT5_SX_jjP12ihipStream_tbEUlT_E2_NS1_11comp_targetILNS1_3genE10ELNS1_11target_archE1201ELNS1_3gpuE5ELNS1_3repE0EEENS1_30default_config_static_selectorELNS0_4arch9wavefront6targetE1EEEvSL_,comdat
.Lfunc_end1877:
	.size	_ZN7rocprim17ROCPRIM_400000_NS6detail17trampoline_kernelINS0_14default_configENS1_36segmented_radix_sort_config_selectorI6__halflEEZNS1_25segmented_radix_sort_implIS3_Lb0EPKS5_PS5_PKlPlN2at6native12_GLOBAL__N_18offset_tEEE10hipError_tPvRmT1_PNSt15iterator_traitsISL_E10value_typeET2_T3_PNSM_ISR_E10value_typeET4_jRbjT5_SX_jjP12ihipStream_tbEUlT_E2_NS1_11comp_targetILNS1_3genE10ELNS1_11target_archE1201ELNS1_3gpuE5ELNS1_3repE0EEENS1_30default_config_static_selectorELNS0_4arch9wavefront6targetE1EEEvSL_, .Lfunc_end1877-_ZN7rocprim17ROCPRIM_400000_NS6detail17trampoline_kernelINS0_14default_configENS1_36segmented_radix_sort_config_selectorI6__halflEEZNS1_25segmented_radix_sort_implIS3_Lb0EPKS5_PS5_PKlPlN2at6native12_GLOBAL__N_18offset_tEEE10hipError_tPvRmT1_PNSt15iterator_traitsISL_E10value_typeET2_T3_PNSM_ISR_E10value_typeET4_jRbjT5_SX_jjP12ihipStream_tbEUlT_E2_NS1_11comp_targetILNS1_3genE10ELNS1_11target_archE1201ELNS1_3gpuE5ELNS1_3repE0EEENS1_30default_config_static_selectorELNS0_4arch9wavefront6targetE1EEEvSL_
                                        ; -- End function
	.set _ZN7rocprim17ROCPRIM_400000_NS6detail17trampoline_kernelINS0_14default_configENS1_36segmented_radix_sort_config_selectorI6__halflEEZNS1_25segmented_radix_sort_implIS3_Lb0EPKS5_PS5_PKlPlN2at6native12_GLOBAL__N_18offset_tEEE10hipError_tPvRmT1_PNSt15iterator_traitsISL_E10value_typeET2_T3_PNSM_ISR_E10value_typeET4_jRbjT5_SX_jjP12ihipStream_tbEUlT_E2_NS1_11comp_targetILNS1_3genE10ELNS1_11target_archE1201ELNS1_3gpuE5ELNS1_3repE0EEENS1_30default_config_static_selectorELNS0_4arch9wavefront6targetE1EEEvSL_.num_vgpr, 0
	.set _ZN7rocprim17ROCPRIM_400000_NS6detail17trampoline_kernelINS0_14default_configENS1_36segmented_radix_sort_config_selectorI6__halflEEZNS1_25segmented_radix_sort_implIS3_Lb0EPKS5_PS5_PKlPlN2at6native12_GLOBAL__N_18offset_tEEE10hipError_tPvRmT1_PNSt15iterator_traitsISL_E10value_typeET2_T3_PNSM_ISR_E10value_typeET4_jRbjT5_SX_jjP12ihipStream_tbEUlT_E2_NS1_11comp_targetILNS1_3genE10ELNS1_11target_archE1201ELNS1_3gpuE5ELNS1_3repE0EEENS1_30default_config_static_selectorELNS0_4arch9wavefront6targetE1EEEvSL_.num_agpr, 0
	.set _ZN7rocprim17ROCPRIM_400000_NS6detail17trampoline_kernelINS0_14default_configENS1_36segmented_radix_sort_config_selectorI6__halflEEZNS1_25segmented_radix_sort_implIS3_Lb0EPKS5_PS5_PKlPlN2at6native12_GLOBAL__N_18offset_tEEE10hipError_tPvRmT1_PNSt15iterator_traitsISL_E10value_typeET2_T3_PNSM_ISR_E10value_typeET4_jRbjT5_SX_jjP12ihipStream_tbEUlT_E2_NS1_11comp_targetILNS1_3genE10ELNS1_11target_archE1201ELNS1_3gpuE5ELNS1_3repE0EEENS1_30default_config_static_selectorELNS0_4arch9wavefront6targetE1EEEvSL_.numbered_sgpr, 0
	.set _ZN7rocprim17ROCPRIM_400000_NS6detail17trampoline_kernelINS0_14default_configENS1_36segmented_radix_sort_config_selectorI6__halflEEZNS1_25segmented_radix_sort_implIS3_Lb0EPKS5_PS5_PKlPlN2at6native12_GLOBAL__N_18offset_tEEE10hipError_tPvRmT1_PNSt15iterator_traitsISL_E10value_typeET2_T3_PNSM_ISR_E10value_typeET4_jRbjT5_SX_jjP12ihipStream_tbEUlT_E2_NS1_11comp_targetILNS1_3genE10ELNS1_11target_archE1201ELNS1_3gpuE5ELNS1_3repE0EEENS1_30default_config_static_selectorELNS0_4arch9wavefront6targetE1EEEvSL_.num_named_barrier, 0
	.set _ZN7rocprim17ROCPRIM_400000_NS6detail17trampoline_kernelINS0_14default_configENS1_36segmented_radix_sort_config_selectorI6__halflEEZNS1_25segmented_radix_sort_implIS3_Lb0EPKS5_PS5_PKlPlN2at6native12_GLOBAL__N_18offset_tEEE10hipError_tPvRmT1_PNSt15iterator_traitsISL_E10value_typeET2_T3_PNSM_ISR_E10value_typeET4_jRbjT5_SX_jjP12ihipStream_tbEUlT_E2_NS1_11comp_targetILNS1_3genE10ELNS1_11target_archE1201ELNS1_3gpuE5ELNS1_3repE0EEENS1_30default_config_static_selectorELNS0_4arch9wavefront6targetE1EEEvSL_.private_seg_size, 0
	.set _ZN7rocprim17ROCPRIM_400000_NS6detail17trampoline_kernelINS0_14default_configENS1_36segmented_radix_sort_config_selectorI6__halflEEZNS1_25segmented_radix_sort_implIS3_Lb0EPKS5_PS5_PKlPlN2at6native12_GLOBAL__N_18offset_tEEE10hipError_tPvRmT1_PNSt15iterator_traitsISL_E10value_typeET2_T3_PNSM_ISR_E10value_typeET4_jRbjT5_SX_jjP12ihipStream_tbEUlT_E2_NS1_11comp_targetILNS1_3genE10ELNS1_11target_archE1201ELNS1_3gpuE5ELNS1_3repE0EEENS1_30default_config_static_selectorELNS0_4arch9wavefront6targetE1EEEvSL_.uses_vcc, 0
	.set _ZN7rocprim17ROCPRIM_400000_NS6detail17trampoline_kernelINS0_14default_configENS1_36segmented_radix_sort_config_selectorI6__halflEEZNS1_25segmented_radix_sort_implIS3_Lb0EPKS5_PS5_PKlPlN2at6native12_GLOBAL__N_18offset_tEEE10hipError_tPvRmT1_PNSt15iterator_traitsISL_E10value_typeET2_T3_PNSM_ISR_E10value_typeET4_jRbjT5_SX_jjP12ihipStream_tbEUlT_E2_NS1_11comp_targetILNS1_3genE10ELNS1_11target_archE1201ELNS1_3gpuE5ELNS1_3repE0EEENS1_30default_config_static_selectorELNS0_4arch9wavefront6targetE1EEEvSL_.uses_flat_scratch, 0
	.set _ZN7rocprim17ROCPRIM_400000_NS6detail17trampoline_kernelINS0_14default_configENS1_36segmented_radix_sort_config_selectorI6__halflEEZNS1_25segmented_radix_sort_implIS3_Lb0EPKS5_PS5_PKlPlN2at6native12_GLOBAL__N_18offset_tEEE10hipError_tPvRmT1_PNSt15iterator_traitsISL_E10value_typeET2_T3_PNSM_ISR_E10value_typeET4_jRbjT5_SX_jjP12ihipStream_tbEUlT_E2_NS1_11comp_targetILNS1_3genE10ELNS1_11target_archE1201ELNS1_3gpuE5ELNS1_3repE0EEENS1_30default_config_static_selectorELNS0_4arch9wavefront6targetE1EEEvSL_.has_dyn_sized_stack, 0
	.set _ZN7rocprim17ROCPRIM_400000_NS6detail17trampoline_kernelINS0_14default_configENS1_36segmented_radix_sort_config_selectorI6__halflEEZNS1_25segmented_radix_sort_implIS3_Lb0EPKS5_PS5_PKlPlN2at6native12_GLOBAL__N_18offset_tEEE10hipError_tPvRmT1_PNSt15iterator_traitsISL_E10value_typeET2_T3_PNSM_ISR_E10value_typeET4_jRbjT5_SX_jjP12ihipStream_tbEUlT_E2_NS1_11comp_targetILNS1_3genE10ELNS1_11target_archE1201ELNS1_3gpuE5ELNS1_3repE0EEENS1_30default_config_static_selectorELNS0_4arch9wavefront6targetE1EEEvSL_.has_recursion, 0
	.set _ZN7rocprim17ROCPRIM_400000_NS6detail17trampoline_kernelINS0_14default_configENS1_36segmented_radix_sort_config_selectorI6__halflEEZNS1_25segmented_radix_sort_implIS3_Lb0EPKS5_PS5_PKlPlN2at6native12_GLOBAL__N_18offset_tEEE10hipError_tPvRmT1_PNSt15iterator_traitsISL_E10value_typeET2_T3_PNSM_ISR_E10value_typeET4_jRbjT5_SX_jjP12ihipStream_tbEUlT_E2_NS1_11comp_targetILNS1_3genE10ELNS1_11target_archE1201ELNS1_3gpuE5ELNS1_3repE0EEENS1_30default_config_static_selectorELNS0_4arch9wavefront6targetE1EEEvSL_.has_indirect_call, 0
	.section	.AMDGPU.csdata,"",@progbits
; Kernel info:
; codeLenInByte = 0
; TotalNumSgprs: 4
; NumVgprs: 0
; ScratchSize: 0
; MemoryBound: 0
; FloatMode: 240
; IeeeMode: 1
; LDSByteSize: 0 bytes/workgroup (compile time only)
; SGPRBlocks: 0
; VGPRBlocks: 0
; NumSGPRsForWavesPerEU: 4
; NumVGPRsForWavesPerEU: 1
; Occupancy: 10
; WaveLimiterHint : 0
; COMPUTE_PGM_RSRC2:SCRATCH_EN: 0
; COMPUTE_PGM_RSRC2:USER_SGPR: 6
; COMPUTE_PGM_RSRC2:TRAP_HANDLER: 0
; COMPUTE_PGM_RSRC2:TGID_X_EN: 1
; COMPUTE_PGM_RSRC2:TGID_Y_EN: 0
; COMPUTE_PGM_RSRC2:TGID_Z_EN: 0
; COMPUTE_PGM_RSRC2:TIDIG_COMP_CNT: 0
	.section	.text._ZN7rocprim17ROCPRIM_400000_NS6detail17trampoline_kernelINS0_14default_configENS1_36segmented_radix_sort_config_selectorI6__halflEEZNS1_25segmented_radix_sort_implIS3_Lb0EPKS5_PS5_PKlPlN2at6native12_GLOBAL__N_18offset_tEEE10hipError_tPvRmT1_PNSt15iterator_traitsISL_E10value_typeET2_T3_PNSM_ISR_E10value_typeET4_jRbjT5_SX_jjP12ihipStream_tbEUlT_E2_NS1_11comp_targetILNS1_3genE10ELNS1_11target_archE1200ELNS1_3gpuE4ELNS1_3repE0EEENS1_30default_config_static_selectorELNS0_4arch9wavefront6targetE1EEEvSL_,"axG",@progbits,_ZN7rocprim17ROCPRIM_400000_NS6detail17trampoline_kernelINS0_14default_configENS1_36segmented_radix_sort_config_selectorI6__halflEEZNS1_25segmented_radix_sort_implIS3_Lb0EPKS5_PS5_PKlPlN2at6native12_GLOBAL__N_18offset_tEEE10hipError_tPvRmT1_PNSt15iterator_traitsISL_E10value_typeET2_T3_PNSM_ISR_E10value_typeET4_jRbjT5_SX_jjP12ihipStream_tbEUlT_E2_NS1_11comp_targetILNS1_3genE10ELNS1_11target_archE1200ELNS1_3gpuE4ELNS1_3repE0EEENS1_30default_config_static_selectorELNS0_4arch9wavefront6targetE1EEEvSL_,comdat
	.globl	_ZN7rocprim17ROCPRIM_400000_NS6detail17trampoline_kernelINS0_14default_configENS1_36segmented_radix_sort_config_selectorI6__halflEEZNS1_25segmented_radix_sort_implIS3_Lb0EPKS5_PS5_PKlPlN2at6native12_GLOBAL__N_18offset_tEEE10hipError_tPvRmT1_PNSt15iterator_traitsISL_E10value_typeET2_T3_PNSM_ISR_E10value_typeET4_jRbjT5_SX_jjP12ihipStream_tbEUlT_E2_NS1_11comp_targetILNS1_3genE10ELNS1_11target_archE1200ELNS1_3gpuE4ELNS1_3repE0EEENS1_30default_config_static_selectorELNS0_4arch9wavefront6targetE1EEEvSL_ ; -- Begin function _ZN7rocprim17ROCPRIM_400000_NS6detail17trampoline_kernelINS0_14default_configENS1_36segmented_radix_sort_config_selectorI6__halflEEZNS1_25segmented_radix_sort_implIS3_Lb0EPKS5_PS5_PKlPlN2at6native12_GLOBAL__N_18offset_tEEE10hipError_tPvRmT1_PNSt15iterator_traitsISL_E10value_typeET2_T3_PNSM_ISR_E10value_typeET4_jRbjT5_SX_jjP12ihipStream_tbEUlT_E2_NS1_11comp_targetILNS1_3genE10ELNS1_11target_archE1200ELNS1_3gpuE4ELNS1_3repE0EEENS1_30default_config_static_selectorELNS0_4arch9wavefront6targetE1EEEvSL_
	.p2align	8
	.type	_ZN7rocprim17ROCPRIM_400000_NS6detail17trampoline_kernelINS0_14default_configENS1_36segmented_radix_sort_config_selectorI6__halflEEZNS1_25segmented_radix_sort_implIS3_Lb0EPKS5_PS5_PKlPlN2at6native12_GLOBAL__N_18offset_tEEE10hipError_tPvRmT1_PNSt15iterator_traitsISL_E10value_typeET2_T3_PNSM_ISR_E10value_typeET4_jRbjT5_SX_jjP12ihipStream_tbEUlT_E2_NS1_11comp_targetILNS1_3genE10ELNS1_11target_archE1200ELNS1_3gpuE4ELNS1_3repE0EEENS1_30default_config_static_selectorELNS0_4arch9wavefront6targetE1EEEvSL_,@function
_ZN7rocprim17ROCPRIM_400000_NS6detail17trampoline_kernelINS0_14default_configENS1_36segmented_radix_sort_config_selectorI6__halflEEZNS1_25segmented_radix_sort_implIS3_Lb0EPKS5_PS5_PKlPlN2at6native12_GLOBAL__N_18offset_tEEE10hipError_tPvRmT1_PNSt15iterator_traitsISL_E10value_typeET2_T3_PNSM_ISR_E10value_typeET4_jRbjT5_SX_jjP12ihipStream_tbEUlT_E2_NS1_11comp_targetILNS1_3genE10ELNS1_11target_archE1200ELNS1_3gpuE4ELNS1_3repE0EEENS1_30default_config_static_selectorELNS0_4arch9wavefront6targetE1EEEvSL_: ; @_ZN7rocprim17ROCPRIM_400000_NS6detail17trampoline_kernelINS0_14default_configENS1_36segmented_radix_sort_config_selectorI6__halflEEZNS1_25segmented_radix_sort_implIS3_Lb0EPKS5_PS5_PKlPlN2at6native12_GLOBAL__N_18offset_tEEE10hipError_tPvRmT1_PNSt15iterator_traitsISL_E10value_typeET2_T3_PNSM_ISR_E10value_typeET4_jRbjT5_SX_jjP12ihipStream_tbEUlT_E2_NS1_11comp_targetILNS1_3genE10ELNS1_11target_archE1200ELNS1_3gpuE4ELNS1_3repE0EEENS1_30default_config_static_selectorELNS0_4arch9wavefront6targetE1EEEvSL_
; %bb.0:
	.section	.rodata,"a",@progbits
	.p2align	6, 0x0
	.amdhsa_kernel _ZN7rocprim17ROCPRIM_400000_NS6detail17trampoline_kernelINS0_14default_configENS1_36segmented_radix_sort_config_selectorI6__halflEEZNS1_25segmented_radix_sort_implIS3_Lb0EPKS5_PS5_PKlPlN2at6native12_GLOBAL__N_18offset_tEEE10hipError_tPvRmT1_PNSt15iterator_traitsISL_E10value_typeET2_T3_PNSM_ISR_E10value_typeET4_jRbjT5_SX_jjP12ihipStream_tbEUlT_E2_NS1_11comp_targetILNS1_3genE10ELNS1_11target_archE1200ELNS1_3gpuE4ELNS1_3repE0EEENS1_30default_config_static_selectorELNS0_4arch9wavefront6targetE1EEEvSL_
		.amdhsa_group_segment_fixed_size 0
		.amdhsa_private_segment_fixed_size 0
		.amdhsa_kernarg_size 80
		.amdhsa_user_sgpr_count 6
		.amdhsa_user_sgpr_private_segment_buffer 1
		.amdhsa_user_sgpr_dispatch_ptr 0
		.amdhsa_user_sgpr_queue_ptr 0
		.amdhsa_user_sgpr_kernarg_segment_ptr 1
		.amdhsa_user_sgpr_dispatch_id 0
		.amdhsa_user_sgpr_flat_scratch_init 0
		.amdhsa_user_sgpr_private_segment_size 0
		.amdhsa_uses_dynamic_stack 0
		.amdhsa_system_sgpr_private_segment_wavefront_offset 0
		.amdhsa_system_sgpr_workgroup_id_x 1
		.amdhsa_system_sgpr_workgroup_id_y 0
		.amdhsa_system_sgpr_workgroup_id_z 0
		.amdhsa_system_sgpr_workgroup_info 0
		.amdhsa_system_vgpr_workitem_id 0
		.amdhsa_next_free_vgpr 1
		.amdhsa_next_free_sgpr 0
		.amdhsa_reserve_vcc 0
		.amdhsa_reserve_flat_scratch 0
		.amdhsa_float_round_mode_32 0
		.amdhsa_float_round_mode_16_64 0
		.amdhsa_float_denorm_mode_32 3
		.amdhsa_float_denorm_mode_16_64 3
		.amdhsa_dx10_clamp 1
		.amdhsa_ieee_mode 1
		.amdhsa_fp16_overflow 0
		.amdhsa_exception_fp_ieee_invalid_op 0
		.amdhsa_exception_fp_denorm_src 0
		.amdhsa_exception_fp_ieee_div_zero 0
		.amdhsa_exception_fp_ieee_overflow 0
		.amdhsa_exception_fp_ieee_underflow 0
		.amdhsa_exception_fp_ieee_inexact 0
		.amdhsa_exception_int_div_zero 0
	.end_amdhsa_kernel
	.section	.text._ZN7rocprim17ROCPRIM_400000_NS6detail17trampoline_kernelINS0_14default_configENS1_36segmented_radix_sort_config_selectorI6__halflEEZNS1_25segmented_radix_sort_implIS3_Lb0EPKS5_PS5_PKlPlN2at6native12_GLOBAL__N_18offset_tEEE10hipError_tPvRmT1_PNSt15iterator_traitsISL_E10value_typeET2_T3_PNSM_ISR_E10value_typeET4_jRbjT5_SX_jjP12ihipStream_tbEUlT_E2_NS1_11comp_targetILNS1_3genE10ELNS1_11target_archE1200ELNS1_3gpuE4ELNS1_3repE0EEENS1_30default_config_static_selectorELNS0_4arch9wavefront6targetE1EEEvSL_,"axG",@progbits,_ZN7rocprim17ROCPRIM_400000_NS6detail17trampoline_kernelINS0_14default_configENS1_36segmented_radix_sort_config_selectorI6__halflEEZNS1_25segmented_radix_sort_implIS3_Lb0EPKS5_PS5_PKlPlN2at6native12_GLOBAL__N_18offset_tEEE10hipError_tPvRmT1_PNSt15iterator_traitsISL_E10value_typeET2_T3_PNSM_ISR_E10value_typeET4_jRbjT5_SX_jjP12ihipStream_tbEUlT_E2_NS1_11comp_targetILNS1_3genE10ELNS1_11target_archE1200ELNS1_3gpuE4ELNS1_3repE0EEENS1_30default_config_static_selectorELNS0_4arch9wavefront6targetE1EEEvSL_,comdat
.Lfunc_end1878:
	.size	_ZN7rocprim17ROCPRIM_400000_NS6detail17trampoline_kernelINS0_14default_configENS1_36segmented_radix_sort_config_selectorI6__halflEEZNS1_25segmented_radix_sort_implIS3_Lb0EPKS5_PS5_PKlPlN2at6native12_GLOBAL__N_18offset_tEEE10hipError_tPvRmT1_PNSt15iterator_traitsISL_E10value_typeET2_T3_PNSM_ISR_E10value_typeET4_jRbjT5_SX_jjP12ihipStream_tbEUlT_E2_NS1_11comp_targetILNS1_3genE10ELNS1_11target_archE1200ELNS1_3gpuE4ELNS1_3repE0EEENS1_30default_config_static_selectorELNS0_4arch9wavefront6targetE1EEEvSL_, .Lfunc_end1878-_ZN7rocprim17ROCPRIM_400000_NS6detail17trampoline_kernelINS0_14default_configENS1_36segmented_radix_sort_config_selectorI6__halflEEZNS1_25segmented_radix_sort_implIS3_Lb0EPKS5_PS5_PKlPlN2at6native12_GLOBAL__N_18offset_tEEE10hipError_tPvRmT1_PNSt15iterator_traitsISL_E10value_typeET2_T3_PNSM_ISR_E10value_typeET4_jRbjT5_SX_jjP12ihipStream_tbEUlT_E2_NS1_11comp_targetILNS1_3genE10ELNS1_11target_archE1200ELNS1_3gpuE4ELNS1_3repE0EEENS1_30default_config_static_selectorELNS0_4arch9wavefront6targetE1EEEvSL_
                                        ; -- End function
	.set _ZN7rocprim17ROCPRIM_400000_NS6detail17trampoline_kernelINS0_14default_configENS1_36segmented_radix_sort_config_selectorI6__halflEEZNS1_25segmented_radix_sort_implIS3_Lb0EPKS5_PS5_PKlPlN2at6native12_GLOBAL__N_18offset_tEEE10hipError_tPvRmT1_PNSt15iterator_traitsISL_E10value_typeET2_T3_PNSM_ISR_E10value_typeET4_jRbjT5_SX_jjP12ihipStream_tbEUlT_E2_NS1_11comp_targetILNS1_3genE10ELNS1_11target_archE1200ELNS1_3gpuE4ELNS1_3repE0EEENS1_30default_config_static_selectorELNS0_4arch9wavefront6targetE1EEEvSL_.num_vgpr, 0
	.set _ZN7rocprim17ROCPRIM_400000_NS6detail17trampoline_kernelINS0_14default_configENS1_36segmented_radix_sort_config_selectorI6__halflEEZNS1_25segmented_radix_sort_implIS3_Lb0EPKS5_PS5_PKlPlN2at6native12_GLOBAL__N_18offset_tEEE10hipError_tPvRmT1_PNSt15iterator_traitsISL_E10value_typeET2_T3_PNSM_ISR_E10value_typeET4_jRbjT5_SX_jjP12ihipStream_tbEUlT_E2_NS1_11comp_targetILNS1_3genE10ELNS1_11target_archE1200ELNS1_3gpuE4ELNS1_3repE0EEENS1_30default_config_static_selectorELNS0_4arch9wavefront6targetE1EEEvSL_.num_agpr, 0
	.set _ZN7rocprim17ROCPRIM_400000_NS6detail17trampoline_kernelINS0_14default_configENS1_36segmented_radix_sort_config_selectorI6__halflEEZNS1_25segmented_radix_sort_implIS3_Lb0EPKS5_PS5_PKlPlN2at6native12_GLOBAL__N_18offset_tEEE10hipError_tPvRmT1_PNSt15iterator_traitsISL_E10value_typeET2_T3_PNSM_ISR_E10value_typeET4_jRbjT5_SX_jjP12ihipStream_tbEUlT_E2_NS1_11comp_targetILNS1_3genE10ELNS1_11target_archE1200ELNS1_3gpuE4ELNS1_3repE0EEENS1_30default_config_static_selectorELNS0_4arch9wavefront6targetE1EEEvSL_.numbered_sgpr, 0
	.set _ZN7rocprim17ROCPRIM_400000_NS6detail17trampoline_kernelINS0_14default_configENS1_36segmented_radix_sort_config_selectorI6__halflEEZNS1_25segmented_radix_sort_implIS3_Lb0EPKS5_PS5_PKlPlN2at6native12_GLOBAL__N_18offset_tEEE10hipError_tPvRmT1_PNSt15iterator_traitsISL_E10value_typeET2_T3_PNSM_ISR_E10value_typeET4_jRbjT5_SX_jjP12ihipStream_tbEUlT_E2_NS1_11comp_targetILNS1_3genE10ELNS1_11target_archE1200ELNS1_3gpuE4ELNS1_3repE0EEENS1_30default_config_static_selectorELNS0_4arch9wavefront6targetE1EEEvSL_.num_named_barrier, 0
	.set _ZN7rocprim17ROCPRIM_400000_NS6detail17trampoline_kernelINS0_14default_configENS1_36segmented_radix_sort_config_selectorI6__halflEEZNS1_25segmented_radix_sort_implIS3_Lb0EPKS5_PS5_PKlPlN2at6native12_GLOBAL__N_18offset_tEEE10hipError_tPvRmT1_PNSt15iterator_traitsISL_E10value_typeET2_T3_PNSM_ISR_E10value_typeET4_jRbjT5_SX_jjP12ihipStream_tbEUlT_E2_NS1_11comp_targetILNS1_3genE10ELNS1_11target_archE1200ELNS1_3gpuE4ELNS1_3repE0EEENS1_30default_config_static_selectorELNS0_4arch9wavefront6targetE1EEEvSL_.private_seg_size, 0
	.set _ZN7rocprim17ROCPRIM_400000_NS6detail17trampoline_kernelINS0_14default_configENS1_36segmented_radix_sort_config_selectorI6__halflEEZNS1_25segmented_radix_sort_implIS3_Lb0EPKS5_PS5_PKlPlN2at6native12_GLOBAL__N_18offset_tEEE10hipError_tPvRmT1_PNSt15iterator_traitsISL_E10value_typeET2_T3_PNSM_ISR_E10value_typeET4_jRbjT5_SX_jjP12ihipStream_tbEUlT_E2_NS1_11comp_targetILNS1_3genE10ELNS1_11target_archE1200ELNS1_3gpuE4ELNS1_3repE0EEENS1_30default_config_static_selectorELNS0_4arch9wavefront6targetE1EEEvSL_.uses_vcc, 0
	.set _ZN7rocprim17ROCPRIM_400000_NS6detail17trampoline_kernelINS0_14default_configENS1_36segmented_radix_sort_config_selectorI6__halflEEZNS1_25segmented_radix_sort_implIS3_Lb0EPKS5_PS5_PKlPlN2at6native12_GLOBAL__N_18offset_tEEE10hipError_tPvRmT1_PNSt15iterator_traitsISL_E10value_typeET2_T3_PNSM_ISR_E10value_typeET4_jRbjT5_SX_jjP12ihipStream_tbEUlT_E2_NS1_11comp_targetILNS1_3genE10ELNS1_11target_archE1200ELNS1_3gpuE4ELNS1_3repE0EEENS1_30default_config_static_selectorELNS0_4arch9wavefront6targetE1EEEvSL_.uses_flat_scratch, 0
	.set _ZN7rocprim17ROCPRIM_400000_NS6detail17trampoline_kernelINS0_14default_configENS1_36segmented_radix_sort_config_selectorI6__halflEEZNS1_25segmented_radix_sort_implIS3_Lb0EPKS5_PS5_PKlPlN2at6native12_GLOBAL__N_18offset_tEEE10hipError_tPvRmT1_PNSt15iterator_traitsISL_E10value_typeET2_T3_PNSM_ISR_E10value_typeET4_jRbjT5_SX_jjP12ihipStream_tbEUlT_E2_NS1_11comp_targetILNS1_3genE10ELNS1_11target_archE1200ELNS1_3gpuE4ELNS1_3repE0EEENS1_30default_config_static_selectorELNS0_4arch9wavefront6targetE1EEEvSL_.has_dyn_sized_stack, 0
	.set _ZN7rocprim17ROCPRIM_400000_NS6detail17trampoline_kernelINS0_14default_configENS1_36segmented_radix_sort_config_selectorI6__halflEEZNS1_25segmented_radix_sort_implIS3_Lb0EPKS5_PS5_PKlPlN2at6native12_GLOBAL__N_18offset_tEEE10hipError_tPvRmT1_PNSt15iterator_traitsISL_E10value_typeET2_T3_PNSM_ISR_E10value_typeET4_jRbjT5_SX_jjP12ihipStream_tbEUlT_E2_NS1_11comp_targetILNS1_3genE10ELNS1_11target_archE1200ELNS1_3gpuE4ELNS1_3repE0EEENS1_30default_config_static_selectorELNS0_4arch9wavefront6targetE1EEEvSL_.has_recursion, 0
	.set _ZN7rocprim17ROCPRIM_400000_NS6detail17trampoline_kernelINS0_14default_configENS1_36segmented_radix_sort_config_selectorI6__halflEEZNS1_25segmented_radix_sort_implIS3_Lb0EPKS5_PS5_PKlPlN2at6native12_GLOBAL__N_18offset_tEEE10hipError_tPvRmT1_PNSt15iterator_traitsISL_E10value_typeET2_T3_PNSM_ISR_E10value_typeET4_jRbjT5_SX_jjP12ihipStream_tbEUlT_E2_NS1_11comp_targetILNS1_3genE10ELNS1_11target_archE1200ELNS1_3gpuE4ELNS1_3repE0EEENS1_30default_config_static_selectorELNS0_4arch9wavefront6targetE1EEEvSL_.has_indirect_call, 0
	.section	.AMDGPU.csdata,"",@progbits
; Kernel info:
; codeLenInByte = 0
; TotalNumSgprs: 4
; NumVgprs: 0
; ScratchSize: 0
; MemoryBound: 0
; FloatMode: 240
; IeeeMode: 1
; LDSByteSize: 0 bytes/workgroup (compile time only)
; SGPRBlocks: 0
; VGPRBlocks: 0
; NumSGPRsForWavesPerEU: 4
; NumVGPRsForWavesPerEU: 1
; Occupancy: 10
; WaveLimiterHint : 0
; COMPUTE_PGM_RSRC2:SCRATCH_EN: 0
; COMPUTE_PGM_RSRC2:USER_SGPR: 6
; COMPUTE_PGM_RSRC2:TRAP_HANDLER: 0
; COMPUTE_PGM_RSRC2:TGID_X_EN: 1
; COMPUTE_PGM_RSRC2:TGID_Y_EN: 0
; COMPUTE_PGM_RSRC2:TGID_Z_EN: 0
; COMPUTE_PGM_RSRC2:TIDIG_COMP_CNT: 0
	.section	.text._ZN7rocprim17ROCPRIM_400000_NS6detail17trampoline_kernelINS0_14default_configENS1_36segmented_radix_sort_config_selectorI6__halflEEZNS1_25segmented_radix_sort_implIS3_Lb0EPKS5_PS5_PKlPlN2at6native12_GLOBAL__N_18offset_tEEE10hipError_tPvRmT1_PNSt15iterator_traitsISL_E10value_typeET2_T3_PNSM_ISR_E10value_typeET4_jRbjT5_SX_jjP12ihipStream_tbEUlT_E2_NS1_11comp_targetILNS1_3genE9ELNS1_11target_archE1100ELNS1_3gpuE3ELNS1_3repE0EEENS1_30default_config_static_selectorELNS0_4arch9wavefront6targetE1EEEvSL_,"axG",@progbits,_ZN7rocprim17ROCPRIM_400000_NS6detail17trampoline_kernelINS0_14default_configENS1_36segmented_radix_sort_config_selectorI6__halflEEZNS1_25segmented_radix_sort_implIS3_Lb0EPKS5_PS5_PKlPlN2at6native12_GLOBAL__N_18offset_tEEE10hipError_tPvRmT1_PNSt15iterator_traitsISL_E10value_typeET2_T3_PNSM_ISR_E10value_typeET4_jRbjT5_SX_jjP12ihipStream_tbEUlT_E2_NS1_11comp_targetILNS1_3genE9ELNS1_11target_archE1100ELNS1_3gpuE3ELNS1_3repE0EEENS1_30default_config_static_selectorELNS0_4arch9wavefront6targetE1EEEvSL_,comdat
	.globl	_ZN7rocprim17ROCPRIM_400000_NS6detail17trampoline_kernelINS0_14default_configENS1_36segmented_radix_sort_config_selectorI6__halflEEZNS1_25segmented_radix_sort_implIS3_Lb0EPKS5_PS5_PKlPlN2at6native12_GLOBAL__N_18offset_tEEE10hipError_tPvRmT1_PNSt15iterator_traitsISL_E10value_typeET2_T3_PNSM_ISR_E10value_typeET4_jRbjT5_SX_jjP12ihipStream_tbEUlT_E2_NS1_11comp_targetILNS1_3genE9ELNS1_11target_archE1100ELNS1_3gpuE3ELNS1_3repE0EEENS1_30default_config_static_selectorELNS0_4arch9wavefront6targetE1EEEvSL_ ; -- Begin function _ZN7rocprim17ROCPRIM_400000_NS6detail17trampoline_kernelINS0_14default_configENS1_36segmented_radix_sort_config_selectorI6__halflEEZNS1_25segmented_radix_sort_implIS3_Lb0EPKS5_PS5_PKlPlN2at6native12_GLOBAL__N_18offset_tEEE10hipError_tPvRmT1_PNSt15iterator_traitsISL_E10value_typeET2_T3_PNSM_ISR_E10value_typeET4_jRbjT5_SX_jjP12ihipStream_tbEUlT_E2_NS1_11comp_targetILNS1_3genE9ELNS1_11target_archE1100ELNS1_3gpuE3ELNS1_3repE0EEENS1_30default_config_static_selectorELNS0_4arch9wavefront6targetE1EEEvSL_
	.p2align	8
	.type	_ZN7rocprim17ROCPRIM_400000_NS6detail17trampoline_kernelINS0_14default_configENS1_36segmented_radix_sort_config_selectorI6__halflEEZNS1_25segmented_radix_sort_implIS3_Lb0EPKS5_PS5_PKlPlN2at6native12_GLOBAL__N_18offset_tEEE10hipError_tPvRmT1_PNSt15iterator_traitsISL_E10value_typeET2_T3_PNSM_ISR_E10value_typeET4_jRbjT5_SX_jjP12ihipStream_tbEUlT_E2_NS1_11comp_targetILNS1_3genE9ELNS1_11target_archE1100ELNS1_3gpuE3ELNS1_3repE0EEENS1_30default_config_static_selectorELNS0_4arch9wavefront6targetE1EEEvSL_,@function
_ZN7rocprim17ROCPRIM_400000_NS6detail17trampoline_kernelINS0_14default_configENS1_36segmented_radix_sort_config_selectorI6__halflEEZNS1_25segmented_radix_sort_implIS3_Lb0EPKS5_PS5_PKlPlN2at6native12_GLOBAL__N_18offset_tEEE10hipError_tPvRmT1_PNSt15iterator_traitsISL_E10value_typeET2_T3_PNSM_ISR_E10value_typeET4_jRbjT5_SX_jjP12ihipStream_tbEUlT_E2_NS1_11comp_targetILNS1_3genE9ELNS1_11target_archE1100ELNS1_3gpuE3ELNS1_3repE0EEENS1_30default_config_static_selectorELNS0_4arch9wavefront6targetE1EEEvSL_: ; @_ZN7rocprim17ROCPRIM_400000_NS6detail17trampoline_kernelINS0_14default_configENS1_36segmented_radix_sort_config_selectorI6__halflEEZNS1_25segmented_radix_sort_implIS3_Lb0EPKS5_PS5_PKlPlN2at6native12_GLOBAL__N_18offset_tEEE10hipError_tPvRmT1_PNSt15iterator_traitsISL_E10value_typeET2_T3_PNSM_ISR_E10value_typeET4_jRbjT5_SX_jjP12ihipStream_tbEUlT_E2_NS1_11comp_targetILNS1_3genE9ELNS1_11target_archE1100ELNS1_3gpuE3ELNS1_3repE0EEENS1_30default_config_static_selectorELNS0_4arch9wavefront6targetE1EEEvSL_
; %bb.0:
	.section	.rodata,"a",@progbits
	.p2align	6, 0x0
	.amdhsa_kernel _ZN7rocprim17ROCPRIM_400000_NS6detail17trampoline_kernelINS0_14default_configENS1_36segmented_radix_sort_config_selectorI6__halflEEZNS1_25segmented_radix_sort_implIS3_Lb0EPKS5_PS5_PKlPlN2at6native12_GLOBAL__N_18offset_tEEE10hipError_tPvRmT1_PNSt15iterator_traitsISL_E10value_typeET2_T3_PNSM_ISR_E10value_typeET4_jRbjT5_SX_jjP12ihipStream_tbEUlT_E2_NS1_11comp_targetILNS1_3genE9ELNS1_11target_archE1100ELNS1_3gpuE3ELNS1_3repE0EEENS1_30default_config_static_selectorELNS0_4arch9wavefront6targetE1EEEvSL_
		.amdhsa_group_segment_fixed_size 0
		.amdhsa_private_segment_fixed_size 0
		.amdhsa_kernarg_size 80
		.amdhsa_user_sgpr_count 6
		.amdhsa_user_sgpr_private_segment_buffer 1
		.amdhsa_user_sgpr_dispatch_ptr 0
		.amdhsa_user_sgpr_queue_ptr 0
		.amdhsa_user_sgpr_kernarg_segment_ptr 1
		.amdhsa_user_sgpr_dispatch_id 0
		.amdhsa_user_sgpr_flat_scratch_init 0
		.amdhsa_user_sgpr_private_segment_size 0
		.amdhsa_uses_dynamic_stack 0
		.amdhsa_system_sgpr_private_segment_wavefront_offset 0
		.amdhsa_system_sgpr_workgroup_id_x 1
		.amdhsa_system_sgpr_workgroup_id_y 0
		.amdhsa_system_sgpr_workgroup_id_z 0
		.amdhsa_system_sgpr_workgroup_info 0
		.amdhsa_system_vgpr_workitem_id 0
		.amdhsa_next_free_vgpr 1
		.amdhsa_next_free_sgpr 0
		.amdhsa_reserve_vcc 0
		.amdhsa_reserve_flat_scratch 0
		.amdhsa_float_round_mode_32 0
		.amdhsa_float_round_mode_16_64 0
		.amdhsa_float_denorm_mode_32 3
		.amdhsa_float_denorm_mode_16_64 3
		.amdhsa_dx10_clamp 1
		.amdhsa_ieee_mode 1
		.amdhsa_fp16_overflow 0
		.amdhsa_exception_fp_ieee_invalid_op 0
		.amdhsa_exception_fp_denorm_src 0
		.amdhsa_exception_fp_ieee_div_zero 0
		.amdhsa_exception_fp_ieee_overflow 0
		.amdhsa_exception_fp_ieee_underflow 0
		.amdhsa_exception_fp_ieee_inexact 0
		.amdhsa_exception_int_div_zero 0
	.end_amdhsa_kernel
	.section	.text._ZN7rocprim17ROCPRIM_400000_NS6detail17trampoline_kernelINS0_14default_configENS1_36segmented_radix_sort_config_selectorI6__halflEEZNS1_25segmented_radix_sort_implIS3_Lb0EPKS5_PS5_PKlPlN2at6native12_GLOBAL__N_18offset_tEEE10hipError_tPvRmT1_PNSt15iterator_traitsISL_E10value_typeET2_T3_PNSM_ISR_E10value_typeET4_jRbjT5_SX_jjP12ihipStream_tbEUlT_E2_NS1_11comp_targetILNS1_3genE9ELNS1_11target_archE1100ELNS1_3gpuE3ELNS1_3repE0EEENS1_30default_config_static_selectorELNS0_4arch9wavefront6targetE1EEEvSL_,"axG",@progbits,_ZN7rocprim17ROCPRIM_400000_NS6detail17trampoline_kernelINS0_14default_configENS1_36segmented_radix_sort_config_selectorI6__halflEEZNS1_25segmented_radix_sort_implIS3_Lb0EPKS5_PS5_PKlPlN2at6native12_GLOBAL__N_18offset_tEEE10hipError_tPvRmT1_PNSt15iterator_traitsISL_E10value_typeET2_T3_PNSM_ISR_E10value_typeET4_jRbjT5_SX_jjP12ihipStream_tbEUlT_E2_NS1_11comp_targetILNS1_3genE9ELNS1_11target_archE1100ELNS1_3gpuE3ELNS1_3repE0EEENS1_30default_config_static_selectorELNS0_4arch9wavefront6targetE1EEEvSL_,comdat
.Lfunc_end1879:
	.size	_ZN7rocprim17ROCPRIM_400000_NS6detail17trampoline_kernelINS0_14default_configENS1_36segmented_radix_sort_config_selectorI6__halflEEZNS1_25segmented_radix_sort_implIS3_Lb0EPKS5_PS5_PKlPlN2at6native12_GLOBAL__N_18offset_tEEE10hipError_tPvRmT1_PNSt15iterator_traitsISL_E10value_typeET2_T3_PNSM_ISR_E10value_typeET4_jRbjT5_SX_jjP12ihipStream_tbEUlT_E2_NS1_11comp_targetILNS1_3genE9ELNS1_11target_archE1100ELNS1_3gpuE3ELNS1_3repE0EEENS1_30default_config_static_selectorELNS0_4arch9wavefront6targetE1EEEvSL_, .Lfunc_end1879-_ZN7rocprim17ROCPRIM_400000_NS6detail17trampoline_kernelINS0_14default_configENS1_36segmented_radix_sort_config_selectorI6__halflEEZNS1_25segmented_radix_sort_implIS3_Lb0EPKS5_PS5_PKlPlN2at6native12_GLOBAL__N_18offset_tEEE10hipError_tPvRmT1_PNSt15iterator_traitsISL_E10value_typeET2_T3_PNSM_ISR_E10value_typeET4_jRbjT5_SX_jjP12ihipStream_tbEUlT_E2_NS1_11comp_targetILNS1_3genE9ELNS1_11target_archE1100ELNS1_3gpuE3ELNS1_3repE0EEENS1_30default_config_static_selectorELNS0_4arch9wavefront6targetE1EEEvSL_
                                        ; -- End function
	.set _ZN7rocprim17ROCPRIM_400000_NS6detail17trampoline_kernelINS0_14default_configENS1_36segmented_radix_sort_config_selectorI6__halflEEZNS1_25segmented_radix_sort_implIS3_Lb0EPKS5_PS5_PKlPlN2at6native12_GLOBAL__N_18offset_tEEE10hipError_tPvRmT1_PNSt15iterator_traitsISL_E10value_typeET2_T3_PNSM_ISR_E10value_typeET4_jRbjT5_SX_jjP12ihipStream_tbEUlT_E2_NS1_11comp_targetILNS1_3genE9ELNS1_11target_archE1100ELNS1_3gpuE3ELNS1_3repE0EEENS1_30default_config_static_selectorELNS0_4arch9wavefront6targetE1EEEvSL_.num_vgpr, 0
	.set _ZN7rocprim17ROCPRIM_400000_NS6detail17trampoline_kernelINS0_14default_configENS1_36segmented_radix_sort_config_selectorI6__halflEEZNS1_25segmented_radix_sort_implIS3_Lb0EPKS5_PS5_PKlPlN2at6native12_GLOBAL__N_18offset_tEEE10hipError_tPvRmT1_PNSt15iterator_traitsISL_E10value_typeET2_T3_PNSM_ISR_E10value_typeET4_jRbjT5_SX_jjP12ihipStream_tbEUlT_E2_NS1_11comp_targetILNS1_3genE9ELNS1_11target_archE1100ELNS1_3gpuE3ELNS1_3repE0EEENS1_30default_config_static_selectorELNS0_4arch9wavefront6targetE1EEEvSL_.num_agpr, 0
	.set _ZN7rocprim17ROCPRIM_400000_NS6detail17trampoline_kernelINS0_14default_configENS1_36segmented_radix_sort_config_selectorI6__halflEEZNS1_25segmented_radix_sort_implIS3_Lb0EPKS5_PS5_PKlPlN2at6native12_GLOBAL__N_18offset_tEEE10hipError_tPvRmT1_PNSt15iterator_traitsISL_E10value_typeET2_T3_PNSM_ISR_E10value_typeET4_jRbjT5_SX_jjP12ihipStream_tbEUlT_E2_NS1_11comp_targetILNS1_3genE9ELNS1_11target_archE1100ELNS1_3gpuE3ELNS1_3repE0EEENS1_30default_config_static_selectorELNS0_4arch9wavefront6targetE1EEEvSL_.numbered_sgpr, 0
	.set _ZN7rocprim17ROCPRIM_400000_NS6detail17trampoline_kernelINS0_14default_configENS1_36segmented_radix_sort_config_selectorI6__halflEEZNS1_25segmented_radix_sort_implIS3_Lb0EPKS5_PS5_PKlPlN2at6native12_GLOBAL__N_18offset_tEEE10hipError_tPvRmT1_PNSt15iterator_traitsISL_E10value_typeET2_T3_PNSM_ISR_E10value_typeET4_jRbjT5_SX_jjP12ihipStream_tbEUlT_E2_NS1_11comp_targetILNS1_3genE9ELNS1_11target_archE1100ELNS1_3gpuE3ELNS1_3repE0EEENS1_30default_config_static_selectorELNS0_4arch9wavefront6targetE1EEEvSL_.num_named_barrier, 0
	.set _ZN7rocprim17ROCPRIM_400000_NS6detail17trampoline_kernelINS0_14default_configENS1_36segmented_radix_sort_config_selectorI6__halflEEZNS1_25segmented_radix_sort_implIS3_Lb0EPKS5_PS5_PKlPlN2at6native12_GLOBAL__N_18offset_tEEE10hipError_tPvRmT1_PNSt15iterator_traitsISL_E10value_typeET2_T3_PNSM_ISR_E10value_typeET4_jRbjT5_SX_jjP12ihipStream_tbEUlT_E2_NS1_11comp_targetILNS1_3genE9ELNS1_11target_archE1100ELNS1_3gpuE3ELNS1_3repE0EEENS1_30default_config_static_selectorELNS0_4arch9wavefront6targetE1EEEvSL_.private_seg_size, 0
	.set _ZN7rocprim17ROCPRIM_400000_NS6detail17trampoline_kernelINS0_14default_configENS1_36segmented_radix_sort_config_selectorI6__halflEEZNS1_25segmented_radix_sort_implIS3_Lb0EPKS5_PS5_PKlPlN2at6native12_GLOBAL__N_18offset_tEEE10hipError_tPvRmT1_PNSt15iterator_traitsISL_E10value_typeET2_T3_PNSM_ISR_E10value_typeET4_jRbjT5_SX_jjP12ihipStream_tbEUlT_E2_NS1_11comp_targetILNS1_3genE9ELNS1_11target_archE1100ELNS1_3gpuE3ELNS1_3repE0EEENS1_30default_config_static_selectorELNS0_4arch9wavefront6targetE1EEEvSL_.uses_vcc, 0
	.set _ZN7rocprim17ROCPRIM_400000_NS6detail17trampoline_kernelINS0_14default_configENS1_36segmented_radix_sort_config_selectorI6__halflEEZNS1_25segmented_radix_sort_implIS3_Lb0EPKS5_PS5_PKlPlN2at6native12_GLOBAL__N_18offset_tEEE10hipError_tPvRmT1_PNSt15iterator_traitsISL_E10value_typeET2_T3_PNSM_ISR_E10value_typeET4_jRbjT5_SX_jjP12ihipStream_tbEUlT_E2_NS1_11comp_targetILNS1_3genE9ELNS1_11target_archE1100ELNS1_3gpuE3ELNS1_3repE0EEENS1_30default_config_static_selectorELNS0_4arch9wavefront6targetE1EEEvSL_.uses_flat_scratch, 0
	.set _ZN7rocprim17ROCPRIM_400000_NS6detail17trampoline_kernelINS0_14default_configENS1_36segmented_radix_sort_config_selectorI6__halflEEZNS1_25segmented_radix_sort_implIS3_Lb0EPKS5_PS5_PKlPlN2at6native12_GLOBAL__N_18offset_tEEE10hipError_tPvRmT1_PNSt15iterator_traitsISL_E10value_typeET2_T3_PNSM_ISR_E10value_typeET4_jRbjT5_SX_jjP12ihipStream_tbEUlT_E2_NS1_11comp_targetILNS1_3genE9ELNS1_11target_archE1100ELNS1_3gpuE3ELNS1_3repE0EEENS1_30default_config_static_selectorELNS0_4arch9wavefront6targetE1EEEvSL_.has_dyn_sized_stack, 0
	.set _ZN7rocprim17ROCPRIM_400000_NS6detail17trampoline_kernelINS0_14default_configENS1_36segmented_radix_sort_config_selectorI6__halflEEZNS1_25segmented_radix_sort_implIS3_Lb0EPKS5_PS5_PKlPlN2at6native12_GLOBAL__N_18offset_tEEE10hipError_tPvRmT1_PNSt15iterator_traitsISL_E10value_typeET2_T3_PNSM_ISR_E10value_typeET4_jRbjT5_SX_jjP12ihipStream_tbEUlT_E2_NS1_11comp_targetILNS1_3genE9ELNS1_11target_archE1100ELNS1_3gpuE3ELNS1_3repE0EEENS1_30default_config_static_selectorELNS0_4arch9wavefront6targetE1EEEvSL_.has_recursion, 0
	.set _ZN7rocprim17ROCPRIM_400000_NS6detail17trampoline_kernelINS0_14default_configENS1_36segmented_radix_sort_config_selectorI6__halflEEZNS1_25segmented_radix_sort_implIS3_Lb0EPKS5_PS5_PKlPlN2at6native12_GLOBAL__N_18offset_tEEE10hipError_tPvRmT1_PNSt15iterator_traitsISL_E10value_typeET2_T3_PNSM_ISR_E10value_typeET4_jRbjT5_SX_jjP12ihipStream_tbEUlT_E2_NS1_11comp_targetILNS1_3genE9ELNS1_11target_archE1100ELNS1_3gpuE3ELNS1_3repE0EEENS1_30default_config_static_selectorELNS0_4arch9wavefront6targetE1EEEvSL_.has_indirect_call, 0
	.section	.AMDGPU.csdata,"",@progbits
; Kernel info:
; codeLenInByte = 0
; TotalNumSgprs: 4
; NumVgprs: 0
; ScratchSize: 0
; MemoryBound: 0
; FloatMode: 240
; IeeeMode: 1
; LDSByteSize: 0 bytes/workgroup (compile time only)
; SGPRBlocks: 0
; VGPRBlocks: 0
; NumSGPRsForWavesPerEU: 4
; NumVGPRsForWavesPerEU: 1
; Occupancy: 10
; WaveLimiterHint : 0
; COMPUTE_PGM_RSRC2:SCRATCH_EN: 0
; COMPUTE_PGM_RSRC2:USER_SGPR: 6
; COMPUTE_PGM_RSRC2:TRAP_HANDLER: 0
; COMPUTE_PGM_RSRC2:TGID_X_EN: 1
; COMPUTE_PGM_RSRC2:TGID_Y_EN: 0
; COMPUTE_PGM_RSRC2:TGID_Z_EN: 0
; COMPUTE_PGM_RSRC2:TIDIG_COMP_CNT: 0
	.section	.text._ZN7rocprim17ROCPRIM_400000_NS6detail17trampoline_kernelINS0_14default_configENS1_36segmented_radix_sort_config_selectorI6__halflEEZNS1_25segmented_radix_sort_implIS3_Lb0EPKS5_PS5_PKlPlN2at6native12_GLOBAL__N_18offset_tEEE10hipError_tPvRmT1_PNSt15iterator_traitsISL_E10value_typeET2_T3_PNSM_ISR_E10value_typeET4_jRbjT5_SX_jjP12ihipStream_tbEUlT_E2_NS1_11comp_targetILNS1_3genE8ELNS1_11target_archE1030ELNS1_3gpuE2ELNS1_3repE0EEENS1_30default_config_static_selectorELNS0_4arch9wavefront6targetE1EEEvSL_,"axG",@progbits,_ZN7rocprim17ROCPRIM_400000_NS6detail17trampoline_kernelINS0_14default_configENS1_36segmented_radix_sort_config_selectorI6__halflEEZNS1_25segmented_radix_sort_implIS3_Lb0EPKS5_PS5_PKlPlN2at6native12_GLOBAL__N_18offset_tEEE10hipError_tPvRmT1_PNSt15iterator_traitsISL_E10value_typeET2_T3_PNSM_ISR_E10value_typeET4_jRbjT5_SX_jjP12ihipStream_tbEUlT_E2_NS1_11comp_targetILNS1_3genE8ELNS1_11target_archE1030ELNS1_3gpuE2ELNS1_3repE0EEENS1_30default_config_static_selectorELNS0_4arch9wavefront6targetE1EEEvSL_,comdat
	.globl	_ZN7rocprim17ROCPRIM_400000_NS6detail17trampoline_kernelINS0_14default_configENS1_36segmented_radix_sort_config_selectorI6__halflEEZNS1_25segmented_radix_sort_implIS3_Lb0EPKS5_PS5_PKlPlN2at6native12_GLOBAL__N_18offset_tEEE10hipError_tPvRmT1_PNSt15iterator_traitsISL_E10value_typeET2_T3_PNSM_ISR_E10value_typeET4_jRbjT5_SX_jjP12ihipStream_tbEUlT_E2_NS1_11comp_targetILNS1_3genE8ELNS1_11target_archE1030ELNS1_3gpuE2ELNS1_3repE0EEENS1_30default_config_static_selectorELNS0_4arch9wavefront6targetE1EEEvSL_ ; -- Begin function _ZN7rocprim17ROCPRIM_400000_NS6detail17trampoline_kernelINS0_14default_configENS1_36segmented_radix_sort_config_selectorI6__halflEEZNS1_25segmented_radix_sort_implIS3_Lb0EPKS5_PS5_PKlPlN2at6native12_GLOBAL__N_18offset_tEEE10hipError_tPvRmT1_PNSt15iterator_traitsISL_E10value_typeET2_T3_PNSM_ISR_E10value_typeET4_jRbjT5_SX_jjP12ihipStream_tbEUlT_E2_NS1_11comp_targetILNS1_3genE8ELNS1_11target_archE1030ELNS1_3gpuE2ELNS1_3repE0EEENS1_30default_config_static_selectorELNS0_4arch9wavefront6targetE1EEEvSL_
	.p2align	8
	.type	_ZN7rocprim17ROCPRIM_400000_NS6detail17trampoline_kernelINS0_14default_configENS1_36segmented_radix_sort_config_selectorI6__halflEEZNS1_25segmented_radix_sort_implIS3_Lb0EPKS5_PS5_PKlPlN2at6native12_GLOBAL__N_18offset_tEEE10hipError_tPvRmT1_PNSt15iterator_traitsISL_E10value_typeET2_T3_PNSM_ISR_E10value_typeET4_jRbjT5_SX_jjP12ihipStream_tbEUlT_E2_NS1_11comp_targetILNS1_3genE8ELNS1_11target_archE1030ELNS1_3gpuE2ELNS1_3repE0EEENS1_30default_config_static_selectorELNS0_4arch9wavefront6targetE1EEEvSL_,@function
_ZN7rocprim17ROCPRIM_400000_NS6detail17trampoline_kernelINS0_14default_configENS1_36segmented_radix_sort_config_selectorI6__halflEEZNS1_25segmented_radix_sort_implIS3_Lb0EPKS5_PS5_PKlPlN2at6native12_GLOBAL__N_18offset_tEEE10hipError_tPvRmT1_PNSt15iterator_traitsISL_E10value_typeET2_T3_PNSM_ISR_E10value_typeET4_jRbjT5_SX_jjP12ihipStream_tbEUlT_E2_NS1_11comp_targetILNS1_3genE8ELNS1_11target_archE1030ELNS1_3gpuE2ELNS1_3repE0EEENS1_30default_config_static_selectorELNS0_4arch9wavefront6targetE1EEEvSL_: ; @_ZN7rocprim17ROCPRIM_400000_NS6detail17trampoline_kernelINS0_14default_configENS1_36segmented_radix_sort_config_selectorI6__halflEEZNS1_25segmented_radix_sort_implIS3_Lb0EPKS5_PS5_PKlPlN2at6native12_GLOBAL__N_18offset_tEEE10hipError_tPvRmT1_PNSt15iterator_traitsISL_E10value_typeET2_T3_PNSM_ISR_E10value_typeET4_jRbjT5_SX_jjP12ihipStream_tbEUlT_E2_NS1_11comp_targetILNS1_3genE8ELNS1_11target_archE1030ELNS1_3gpuE2ELNS1_3repE0EEENS1_30default_config_static_selectorELNS0_4arch9wavefront6targetE1EEEvSL_
; %bb.0:
	.section	.rodata,"a",@progbits
	.p2align	6, 0x0
	.amdhsa_kernel _ZN7rocprim17ROCPRIM_400000_NS6detail17trampoline_kernelINS0_14default_configENS1_36segmented_radix_sort_config_selectorI6__halflEEZNS1_25segmented_radix_sort_implIS3_Lb0EPKS5_PS5_PKlPlN2at6native12_GLOBAL__N_18offset_tEEE10hipError_tPvRmT1_PNSt15iterator_traitsISL_E10value_typeET2_T3_PNSM_ISR_E10value_typeET4_jRbjT5_SX_jjP12ihipStream_tbEUlT_E2_NS1_11comp_targetILNS1_3genE8ELNS1_11target_archE1030ELNS1_3gpuE2ELNS1_3repE0EEENS1_30default_config_static_selectorELNS0_4arch9wavefront6targetE1EEEvSL_
		.amdhsa_group_segment_fixed_size 0
		.amdhsa_private_segment_fixed_size 0
		.amdhsa_kernarg_size 80
		.amdhsa_user_sgpr_count 6
		.amdhsa_user_sgpr_private_segment_buffer 1
		.amdhsa_user_sgpr_dispatch_ptr 0
		.amdhsa_user_sgpr_queue_ptr 0
		.amdhsa_user_sgpr_kernarg_segment_ptr 1
		.amdhsa_user_sgpr_dispatch_id 0
		.amdhsa_user_sgpr_flat_scratch_init 0
		.amdhsa_user_sgpr_private_segment_size 0
		.amdhsa_uses_dynamic_stack 0
		.amdhsa_system_sgpr_private_segment_wavefront_offset 0
		.amdhsa_system_sgpr_workgroup_id_x 1
		.amdhsa_system_sgpr_workgroup_id_y 0
		.amdhsa_system_sgpr_workgroup_id_z 0
		.amdhsa_system_sgpr_workgroup_info 0
		.amdhsa_system_vgpr_workitem_id 0
		.amdhsa_next_free_vgpr 1
		.amdhsa_next_free_sgpr 0
		.amdhsa_reserve_vcc 0
		.amdhsa_reserve_flat_scratch 0
		.amdhsa_float_round_mode_32 0
		.amdhsa_float_round_mode_16_64 0
		.amdhsa_float_denorm_mode_32 3
		.amdhsa_float_denorm_mode_16_64 3
		.amdhsa_dx10_clamp 1
		.amdhsa_ieee_mode 1
		.amdhsa_fp16_overflow 0
		.amdhsa_exception_fp_ieee_invalid_op 0
		.amdhsa_exception_fp_denorm_src 0
		.amdhsa_exception_fp_ieee_div_zero 0
		.amdhsa_exception_fp_ieee_overflow 0
		.amdhsa_exception_fp_ieee_underflow 0
		.amdhsa_exception_fp_ieee_inexact 0
		.amdhsa_exception_int_div_zero 0
	.end_amdhsa_kernel
	.section	.text._ZN7rocprim17ROCPRIM_400000_NS6detail17trampoline_kernelINS0_14default_configENS1_36segmented_radix_sort_config_selectorI6__halflEEZNS1_25segmented_radix_sort_implIS3_Lb0EPKS5_PS5_PKlPlN2at6native12_GLOBAL__N_18offset_tEEE10hipError_tPvRmT1_PNSt15iterator_traitsISL_E10value_typeET2_T3_PNSM_ISR_E10value_typeET4_jRbjT5_SX_jjP12ihipStream_tbEUlT_E2_NS1_11comp_targetILNS1_3genE8ELNS1_11target_archE1030ELNS1_3gpuE2ELNS1_3repE0EEENS1_30default_config_static_selectorELNS0_4arch9wavefront6targetE1EEEvSL_,"axG",@progbits,_ZN7rocprim17ROCPRIM_400000_NS6detail17trampoline_kernelINS0_14default_configENS1_36segmented_radix_sort_config_selectorI6__halflEEZNS1_25segmented_radix_sort_implIS3_Lb0EPKS5_PS5_PKlPlN2at6native12_GLOBAL__N_18offset_tEEE10hipError_tPvRmT1_PNSt15iterator_traitsISL_E10value_typeET2_T3_PNSM_ISR_E10value_typeET4_jRbjT5_SX_jjP12ihipStream_tbEUlT_E2_NS1_11comp_targetILNS1_3genE8ELNS1_11target_archE1030ELNS1_3gpuE2ELNS1_3repE0EEENS1_30default_config_static_selectorELNS0_4arch9wavefront6targetE1EEEvSL_,comdat
.Lfunc_end1880:
	.size	_ZN7rocprim17ROCPRIM_400000_NS6detail17trampoline_kernelINS0_14default_configENS1_36segmented_radix_sort_config_selectorI6__halflEEZNS1_25segmented_radix_sort_implIS3_Lb0EPKS5_PS5_PKlPlN2at6native12_GLOBAL__N_18offset_tEEE10hipError_tPvRmT1_PNSt15iterator_traitsISL_E10value_typeET2_T3_PNSM_ISR_E10value_typeET4_jRbjT5_SX_jjP12ihipStream_tbEUlT_E2_NS1_11comp_targetILNS1_3genE8ELNS1_11target_archE1030ELNS1_3gpuE2ELNS1_3repE0EEENS1_30default_config_static_selectorELNS0_4arch9wavefront6targetE1EEEvSL_, .Lfunc_end1880-_ZN7rocprim17ROCPRIM_400000_NS6detail17trampoline_kernelINS0_14default_configENS1_36segmented_radix_sort_config_selectorI6__halflEEZNS1_25segmented_radix_sort_implIS3_Lb0EPKS5_PS5_PKlPlN2at6native12_GLOBAL__N_18offset_tEEE10hipError_tPvRmT1_PNSt15iterator_traitsISL_E10value_typeET2_T3_PNSM_ISR_E10value_typeET4_jRbjT5_SX_jjP12ihipStream_tbEUlT_E2_NS1_11comp_targetILNS1_3genE8ELNS1_11target_archE1030ELNS1_3gpuE2ELNS1_3repE0EEENS1_30default_config_static_selectorELNS0_4arch9wavefront6targetE1EEEvSL_
                                        ; -- End function
	.set _ZN7rocprim17ROCPRIM_400000_NS6detail17trampoline_kernelINS0_14default_configENS1_36segmented_radix_sort_config_selectorI6__halflEEZNS1_25segmented_radix_sort_implIS3_Lb0EPKS5_PS5_PKlPlN2at6native12_GLOBAL__N_18offset_tEEE10hipError_tPvRmT1_PNSt15iterator_traitsISL_E10value_typeET2_T3_PNSM_ISR_E10value_typeET4_jRbjT5_SX_jjP12ihipStream_tbEUlT_E2_NS1_11comp_targetILNS1_3genE8ELNS1_11target_archE1030ELNS1_3gpuE2ELNS1_3repE0EEENS1_30default_config_static_selectorELNS0_4arch9wavefront6targetE1EEEvSL_.num_vgpr, 0
	.set _ZN7rocprim17ROCPRIM_400000_NS6detail17trampoline_kernelINS0_14default_configENS1_36segmented_radix_sort_config_selectorI6__halflEEZNS1_25segmented_radix_sort_implIS3_Lb0EPKS5_PS5_PKlPlN2at6native12_GLOBAL__N_18offset_tEEE10hipError_tPvRmT1_PNSt15iterator_traitsISL_E10value_typeET2_T3_PNSM_ISR_E10value_typeET4_jRbjT5_SX_jjP12ihipStream_tbEUlT_E2_NS1_11comp_targetILNS1_3genE8ELNS1_11target_archE1030ELNS1_3gpuE2ELNS1_3repE0EEENS1_30default_config_static_selectorELNS0_4arch9wavefront6targetE1EEEvSL_.num_agpr, 0
	.set _ZN7rocprim17ROCPRIM_400000_NS6detail17trampoline_kernelINS0_14default_configENS1_36segmented_radix_sort_config_selectorI6__halflEEZNS1_25segmented_radix_sort_implIS3_Lb0EPKS5_PS5_PKlPlN2at6native12_GLOBAL__N_18offset_tEEE10hipError_tPvRmT1_PNSt15iterator_traitsISL_E10value_typeET2_T3_PNSM_ISR_E10value_typeET4_jRbjT5_SX_jjP12ihipStream_tbEUlT_E2_NS1_11comp_targetILNS1_3genE8ELNS1_11target_archE1030ELNS1_3gpuE2ELNS1_3repE0EEENS1_30default_config_static_selectorELNS0_4arch9wavefront6targetE1EEEvSL_.numbered_sgpr, 0
	.set _ZN7rocprim17ROCPRIM_400000_NS6detail17trampoline_kernelINS0_14default_configENS1_36segmented_radix_sort_config_selectorI6__halflEEZNS1_25segmented_radix_sort_implIS3_Lb0EPKS5_PS5_PKlPlN2at6native12_GLOBAL__N_18offset_tEEE10hipError_tPvRmT1_PNSt15iterator_traitsISL_E10value_typeET2_T3_PNSM_ISR_E10value_typeET4_jRbjT5_SX_jjP12ihipStream_tbEUlT_E2_NS1_11comp_targetILNS1_3genE8ELNS1_11target_archE1030ELNS1_3gpuE2ELNS1_3repE0EEENS1_30default_config_static_selectorELNS0_4arch9wavefront6targetE1EEEvSL_.num_named_barrier, 0
	.set _ZN7rocprim17ROCPRIM_400000_NS6detail17trampoline_kernelINS0_14default_configENS1_36segmented_radix_sort_config_selectorI6__halflEEZNS1_25segmented_radix_sort_implIS3_Lb0EPKS5_PS5_PKlPlN2at6native12_GLOBAL__N_18offset_tEEE10hipError_tPvRmT1_PNSt15iterator_traitsISL_E10value_typeET2_T3_PNSM_ISR_E10value_typeET4_jRbjT5_SX_jjP12ihipStream_tbEUlT_E2_NS1_11comp_targetILNS1_3genE8ELNS1_11target_archE1030ELNS1_3gpuE2ELNS1_3repE0EEENS1_30default_config_static_selectorELNS0_4arch9wavefront6targetE1EEEvSL_.private_seg_size, 0
	.set _ZN7rocprim17ROCPRIM_400000_NS6detail17trampoline_kernelINS0_14default_configENS1_36segmented_radix_sort_config_selectorI6__halflEEZNS1_25segmented_radix_sort_implIS3_Lb0EPKS5_PS5_PKlPlN2at6native12_GLOBAL__N_18offset_tEEE10hipError_tPvRmT1_PNSt15iterator_traitsISL_E10value_typeET2_T3_PNSM_ISR_E10value_typeET4_jRbjT5_SX_jjP12ihipStream_tbEUlT_E2_NS1_11comp_targetILNS1_3genE8ELNS1_11target_archE1030ELNS1_3gpuE2ELNS1_3repE0EEENS1_30default_config_static_selectorELNS0_4arch9wavefront6targetE1EEEvSL_.uses_vcc, 0
	.set _ZN7rocprim17ROCPRIM_400000_NS6detail17trampoline_kernelINS0_14default_configENS1_36segmented_radix_sort_config_selectorI6__halflEEZNS1_25segmented_radix_sort_implIS3_Lb0EPKS5_PS5_PKlPlN2at6native12_GLOBAL__N_18offset_tEEE10hipError_tPvRmT1_PNSt15iterator_traitsISL_E10value_typeET2_T3_PNSM_ISR_E10value_typeET4_jRbjT5_SX_jjP12ihipStream_tbEUlT_E2_NS1_11comp_targetILNS1_3genE8ELNS1_11target_archE1030ELNS1_3gpuE2ELNS1_3repE0EEENS1_30default_config_static_selectorELNS0_4arch9wavefront6targetE1EEEvSL_.uses_flat_scratch, 0
	.set _ZN7rocprim17ROCPRIM_400000_NS6detail17trampoline_kernelINS0_14default_configENS1_36segmented_radix_sort_config_selectorI6__halflEEZNS1_25segmented_radix_sort_implIS3_Lb0EPKS5_PS5_PKlPlN2at6native12_GLOBAL__N_18offset_tEEE10hipError_tPvRmT1_PNSt15iterator_traitsISL_E10value_typeET2_T3_PNSM_ISR_E10value_typeET4_jRbjT5_SX_jjP12ihipStream_tbEUlT_E2_NS1_11comp_targetILNS1_3genE8ELNS1_11target_archE1030ELNS1_3gpuE2ELNS1_3repE0EEENS1_30default_config_static_selectorELNS0_4arch9wavefront6targetE1EEEvSL_.has_dyn_sized_stack, 0
	.set _ZN7rocprim17ROCPRIM_400000_NS6detail17trampoline_kernelINS0_14default_configENS1_36segmented_radix_sort_config_selectorI6__halflEEZNS1_25segmented_radix_sort_implIS3_Lb0EPKS5_PS5_PKlPlN2at6native12_GLOBAL__N_18offset_tEEE10hipError_tPvRmT1_PNSt15iterator_traitsISL_E10value_typeET2_T3_PNSM_ISR_E10value_typeET4_jRbjT5_SX_jjP12ihipStream_tbEUlT_E2_NS1_11comp_targetILNS1_3genE8ELNS1_11target_archE1030ELNS1_3gpuE2ELNS1_3repE0EEENS1_30default_config_static_selectorELNS0_4arch9wavefront6targetE1EEEvSL_.has_recursion, 0
	.set _ZN7rocprim17ROCPRIM_400000_NS6detail17trampoline_kernelINS0_14default_configENS1_36segmented_radix_sort_config_selectorI6__halflEEZNS1_25segmented_radix_sort_implIS3_Lb0EPKS5_PS5_PKlPlN2at6native12_GLOBAL__N_18offset_tEEE10hipError_tPvRmT1_PNSt15iterator_traitsISL_E10value_typeET2_T3_PNSM_ISR_E10value_typeET4_jRbjT5_SX_jjP12ihipStream_tbEUlT_E2_NS1_11comp_targetILNS1_3genE8ELNS1_11target_archE1030ELNS1_3gpuE2ELNS1_3repE0EEENS1_30default_config_static_selectorELNS0_4arch9wavefront6targetE1EEEvSL_.has_indirect_call, 0
	.section	.AMDGPU.csdata,"",@progbits
; Kernel info:
; codeLenInByte = 0
; TotalNumSgprs: 4
; NumVgprs: 0
; ScratchSize: 0
; MemoryBound: 0
; FloatMode: 240
; IeeeMode: 1
; LDSByteSize: 0 bytes/workgroup (compile time only)
; SGPRBlocks: 0
; VGPRBlocks: 0
; NumSGPRsForWavesPerEU: 4
; NumVGPRsForWavesPerEU: 1
; Occupancy: 10
; WaveLimiterHint : 0
; COMPUTE_PGM_RSRC2:SCRATCH_EN: 0
; COMPUTE_PGM_RSRC2:USER_SGPR: 6
; COMPUTE_PGM_RSRC2:TRAP_HANDLER: 0
; COMPUTE_PGM_RSRC2:TGID_X_EN: 1
; COMPUTE_PGM_RSRC2:TGID_Y_EN: 0
; COMPUTE_PGM_RSRC2:TGID_Z_EN: 0
; COMPUTE_PGM_RSRC2:TIDIG_COMP_CNT: 0
	.section	.text._ZN2at6native12_GLOBAL__N_123sort_postprocess_kernelIN3c108BFloat16EEEvPKT_PS5_PlPK15HIP_vector_typeIiLj2EEii,"axG",@progbits,_ZN2at6native12_GLOBAL__N_123sort_postprocess_kernelIN3c108BFloat16EEEvPKT_PS5_PlPK15HIP_vector_typeIiLj2EEii,comdat
	.globl	_ZN2at6native12_GLOBAL__N_123sort_postprocess_kernelIN3c108BFloat16EEEvPKT_PS5_PlPK15HIP_vector_typeIiLj2EEii ; -- Begin function _ZN2at6native12_GLOBAL__N_123sort_postprocess_kernelIN3c108BFloat16EEEvPKT_PS5_PlPK15HIP_vector_typeIiLj2EEii
	.p2align	8
	.type	_ZN2at6native12_GLOBAL__N_123sort_postprocess_kernelIN3c108BFloat16EEEvPKT_PS5_PlPK15HIP_vector_typeIiLj2EEii,@function
_ZN2at6native12_GLOBAL__N_123sort_postprocess_kernelIN3c108BFloat16EEEvPKT_PS5_PlPK15HIP_vector_typeIiLj2EEii: ; @_ZN2at6native12_GLOBAL__N_123sort_postprocess_kernelIN3c108BFloat16EEEvPKT_PS5_PlPK15HIP_vector_typeIiLj2EEii
; %bb.0:
	s_load_dword s0, s[4:5], 0x34
	s_load_dwordx2 s[8:9], s[4:5], 0x20
	s_add_u32 s2, s4, 40
	s_addc_u32 s3, s5, 0
	s_waitcnt lgkmcnt(0)
	s_and_b32 s17, s0, 0xffff
	s_mul_hi_u32 s16, s17, s6
	s_mul_i32 s6, s17, s6
	v_mov_b32_e32 v2, s16
	v_add_co_u32_e32 v1, vcc, s6, v0
	s_mul_i32 s0, s9, s8
	v_addc_co_u32_e32 v2, vcc, 0, v2, vcc
	s_ashr_i32 s1, s0, 31
	v_cmp_gt_i64_e32 vcc, s[0:1], v[1:2]
	v_mov_b32_e32 v1, 0
	s_and_saveexec_b64 s[10:11], vcc
	s_cbranch_execz .LBB1881_3
; %bb.1:
	s_abs_i32 s7, s9
	v_cvt_f32_u32_e32 v2, s7
	s_load_dword s18, s[2:3], 0x0
	s_load_dwordx8 s[8:15], s[4:5], 0x0
	s_sub_i32 s2, 0, s7
	v_rcp_iflag_f32_e32 v2, v2
	s_waitcnt lgkmcnt(0)
	s_mul_i32 s4, s18, s17
	v_mov_b32_e32 v4, s13
	v_mov_b32_e32 v5, s15
	v_mul_f32_e32 v2, 0x4f7ffffe, v2
	v_cvt_u32_f32_e32 v6, v2
	v_mov_b32_e32 v2, s9
	v_mul_lo_u32 v3, s2, v6
	s_mov_b64 s[2:3], 0
	v_mul_hi_u32 v7, v6, v3
	v_mov_b32_e32 v3, s11
	v_add_u32_e32 v6, v6, v7
	v_mov_b32_e32 v7, s16
.LBB1881_2:                             ; =>This Inner Loop Header: Depth=1
	v_add_u32_e32 v8, s6, v0
	v_ashrrev_i32_e32 v9, 31, v8
	v_sub_u32_e32 v10, 0, v8
	v_add_u32_e32 v11, v8, v9
	v_max_i32_e32 v8, v8, v10
	v_mul_hi_u32 v10, v8, v6
	v_mul_lo_u32 v10, v10, s7
	v_sub_u32_e32 v8, v8, v10
	v_subrev_u32_e32 v10, s7, v8
	v_cmp_le_u32_e32 vcc, s7, v8
	v_cndmask_b32_e32 v8, v8, v10, vcc
	v_subrev_u32_e32 v10, s7, v8
	v_cmp_le_u32_e32 vcc, s7, v8
	v_cndmask_b32_e32 v8, v8, v10, vcc
	v_xor_b32_e32 v10, v8, v9
	v_sub_u32_e32 v8, v10, v9
	v_sub_u32_e32 v10, v11, v10
	v_ashrrev_i32_e32 v11, 31, v10
	v_lshlrev_b64 v[12:13], 3, v[10:11]
	v_ashrrev_i32_e32 v9, 31, v8
	v_lshlrev_b64 v[14:15], 3, v[8:9]
	v_add_co_u32_e32 v16, vcc, s14, v12
	v_addc_co_u32_e32 v17, vcc, v5, v13, vcc
	v_add_co_u32_e32 v16, vcc, v16, v14
	v_addc_co_u32_e32 v17, vcc, v17, v15, vcc
	global_load_dword v16, v[16:17], off offset:4
	v_lshlrev_b64 v[10:11], 1, v[10:11]
	v_lshlrev_b64 v[8:9], 1, v[8:9]
	v_add_co_u32_e32 v20, vcc, s8, v10
	v_addc_co_u32_e32 v21, vcc, v2, v11, vcc
	s_waitcnt vmcnt(0)
	v_ashrrev_i32_e32 v17, 31, v16
	v_lshlrev_b64 v[18:19], 1, v[16:17]
	v_add_co_u32_e32 v18, vcc, v20, v18
	v_addc_co_u32_e32 v19, vcc, v21, v19, vcc
	global_load_ushort v18, v[18:19], off
	v_add_co_u32_e32 v0, vcc, s4, v0
	v_addc_co_u32_e32 v1, vcc, 0, v1, vcc
	v_add_co_u32_e32 v20, vcc, s6, v0
	v_addc_co_u32_e32 v21, vcc, v7, v1, vcc
	v_cmp_le_i64_e32 vcc, s[0:1], v[20:21]
	s_or_b64 s[2:3], vcc, s[2:3]
	v_add_co_u32_e32 v19, vcc, s10, v10
	v_addc_co_u32_e32 v20, vcc, v3, v11, vcc
	v_add_co_u32_e32 v10, vcc, s12, v12
	v_addc_co_u32_e32 v11, vcc, v4, v13, vcc
	;; [unrolled: 2-line block ×4, first 2 shown]
	global_store_dwordx2 v[10:11], v[16:17], off
	s_waitcnt vmcnt(1)
	global_store_short v[8:9], v18, off
	s_andn2_b64 exec, exec, s[2:3]
	s_cbranch_execnz .LBB1881_2
.LBB1881_3:
	s_endpgm
	.section	.rodata,"a",@progbits
	.p2align	6, 0x0
	.amdhsa_kernel _ZN2at6native12_GLOBAL__N_123sort_postprocess_kernelIN3c108BFloat16EEEvPKT_PS5_PlPK15HIP_vector_typeIiLj2EEii
		.amdhsa_group_segment_fixed_size 0
		.amdhsa_private_segment_fixed_size 0
		.amdhsa_kernarg_size 296
		.amdhsa_user_sgpr_count 6
		.amdhsa_user_sgpr_private_segment_buffer 1
		.amdhsa_user_sgpr_dispatch_ptr 0
		.amdhsa_user_sgpr_queue_ptr 0
		.amdhsa_user_sgpr_kernarg_segment_ptr 1
		.amdhsa_user_sgpr_dispatch_id 0
		.amdhsa_user_sgpr_flat_scratch_init 0
		.amdhsa_user_sgpr_private_segment_size 0
		.amdhsa_uses_dynamic_stack 0
		.amdhsa_system_sgpr_private_segment_wavefront_offset 0
		.amdhsa_system_sgpr_workgroup_id_x 1
		.amdhsa_system_sgpr_workgroup_id_y 0
		.amdhsa_system_sgpr_workgroup_id_z 0
		.amdhsa_system_sgpr_workgroup_info 0
		.amdhsa_system_vgpr_workitem_id 0
		.amdhsa_next_free_vgpr 22
		.amdhsa_next_free_sgpr 19
		.amdhsa_reserve_vcc 1
		.amdhsa_reserve_flat_scratch 0
		.amdhsa_float_round_mode_32 0
		.amdhsa_float_round_mode_16_64 0
		.amdhsa_float_denorm_mode_32 3
		.amdhsa_float_denorm_mode_16_64 3
		.amdhsa_dx10_clamp 1
		.amdhsa_ieee_mode 1
		.amdhsa_fp16_overflow 0
		.amdhsa_exception_fp_ieee_invalid_op 0
		.amdhsa_exception_fp_denorm_src 0
		.amdhsa_exception_fp_ieee_div_zero 0
		.amdhsa_exception_fp_ieee_overflow 0
		.amdhsa_exception_fp_ieee_underflow 0
		.amdhsa_exception_fp_ieee_inexact 0
		.amdhsa_exception_int_div_zero 0
	.end_amdhsa_kernel
	.section	.text._ZN2at6native12_GLOBAL__N_123sort_postprocess_kernelIN3c108BFloat16EEEvPKT_PS5_PlPK15HIP_vector_typeIiLj2EEii,"axG",@progbits,_ZN2at6native12_GLOBAL__N_123sort_postprocess_kernelIN3c108BFloat16EEEvPKT_PS5_PlPK15HIP_vector_typeIiLj2EEii,comdat
.Lfunc_end1881:
	.size	_ZN2at6native12_GLOBAL__N_123sort_postprocess_kernelIN3c108BFloat16EEEvPKT_PS5_PlPK15HIP_vector_typeIiLj2EEii, .Lfunc_end1881-_ZN2at6native12_GLOBAL__N_123sort_postprocess_kernelIN3c108BFloat16EEEvPKT_PS5_PlPK15HIP_vector_typeIiLj2EEii
                                        ; -- End function
	.set _ZN2at6native12_GLOBAL__N_123sort_postprocess_kernelIN3c108BFloat16EEEvPKT_PS5_PlPK15HIP_vector_typeIiLj2EEii.num_vgpr, 22
	.set _ZN2at6native12_GLOBAL__N_123sort_postprocess_kernelIN3c108BFloat16EEEvPKT_PS5_PlPK15HIP_vector_typeIiLj2EEii.num_agpr, 0
	.set _ZN2at6native12_GLOBAL__N_123sort_postprocess_kernelIN3c108BFloat16EEEvPKT_PS5_PlPK15HIP_vector_typeIiLj2EEii.numbered_sgpr, 19
	.set _ZN2at6native12_GLOBAL__N_123sort_postprocess_kernelIN3c108BFloat16EEEvPKT_PS5_PlPK15HIP_vector_typeIiLj2EEii.num_named_barrier, 0
	.set _ZN2at6native12_GLOBAL__N_123sort_postprocess_kernelIN3c108BFloat16EEEvPKT_PS5_PlPK15HIP_vector_typeIiLj2EEii.private_seg_size, 0
	.set _ZN2at6native12_GLOBAL__N_123sort_postprocess_kernelIN3c108BFloat16EEEvPKT_PS5_PlPK15HIP_vector_typeIiLj2EEii.uses_vcc, 1
	.set _ZN2at6native12_GLOBAL__N_123sort_postprocess_kernelIN3c108BFloat16EEEvPKT_PS5_PlPK15HIP_vector_typeIiLj2EEii.uses_flat_scratch, 0
	.set _ZN2at6native12_GLOBAL__N_123sort_postprocess_kernelIN3c108BFloat16EEEvPKT_PS5_PlPK15HIP_vector_typeIiLj2EEii.has_dyn_sized_stack, 0
	.set _ZN2at6native12_GLOBAL__N_123sort_postprocess_kernelIN3c108BFloat16EEEvPKT_PS5_PlPK15HIP_vector_typeIiLj2EEii.has_recursion, 0
	.set _ZN2at6native12_GLOBAL__N_123sort_postprocess_kernelIN3c108BFloat16EEEvPKT_PS5_PlPK15HIP_vector_typeIiLj2EEii.has_indirect_call, 0
	.section	.AMDGPU.csdata,"",@progbits
; Kernel info:
; codeLenInByte = 444
; TotalNumSgprs: 23
; NumVgprs: 22
; ScratchSize: 0
; MemoryBound: 0
; FloatMode: 240
; IeeeMode: 1
; LDSByteSize: 0 bytes/workgroup (compile time only)
; SGPRBlocks: 2
; VGPRBlocks: 5
; NumSGPRsForWavesPerEU: 23
; NumVGPRsForWavesPerEU: 22
; Occupancy: 10
; WaveLimiterHint : 1
; COMPUTE_PGM_RSRC2:SCRATCH_EN: 0
; COMPUTE_PGM_RSRC2:USER_SGPR: 6
; COMPUTE_PGM_RSRC2:TRAP_HANDLER: 0
; COMPUTE_PGM_RSRC2:TGID_X_EN: 1
; COMPUTE_PGM_RSRC2:TGID_Y_EN: 0
; COMPUTE_PGM_RSRC2:TGID_Z_EN: 0
; COMPUTE_PGM_RSRC2:TIDIG_COMP_CNT: 0
	.section	.text._ZN7rocprim17ROCPRIM_400000_NS6detail17trampoline_kernelINS0_13select_configILj256ELj13ELNS0_17block_load_methodE3ELS4_3ELS4_3ELNS0_20block_scan_algorithmE0ELj4294967295EEENS1_25partition_config_selectorILNS1_17partition_subalgoE4EjNS0_10empty_typeEbEEZZNS1_14partition_implILS8_4ELb0ES6_15HIP_vector_typeIjLj2EENS0_17counting_iteratorIjlEEPS9_SG_NS0_5tupleIJPjSI_NS0_16reverse_iteratorISI_EEEEENSH_IJSG_SG_SG_EEES9_SI_JZNS1_25segmented_radix_sort_implINS0_14default_configELb1EPK12hip_bfloat16PSP_PKlPlN2at6native12_GLOBAL__N_18offset_tEEE10hipError_tPvRmT1_PNSt15iterator_traitsIS13_E10value_typeET2_T3_PNS14_IS19_E10value_typeET4_jRbjT5_S1F_jjP12ihipStream_tbEUljE_ZNSN_ISO_Lb1ESR_SS_SU_SV_SZ_EES10_S11_S12_S13_S17_S18_S19_S1C_S1D_jS1E_jS1F_S1F_jjS1H_bEUljE0_EEES10_S11_S12_S19_S1D_S1F_T6_T7_T9_mT8_S1H_bDpT10_ENKUlT_T0_E_clISt17integral_constantIbLb0EES1V_EEDaS1Q_S1R_EUlS1Q_E_NS1_11comp_targetILNS1_3genE0ELNS1_11target_archE4294967295ELNS1_3gpuE0ELNS1_3repE0EEENS1_30default_config_static_selectorELNS0_4arch9wavefront6targetE1EEEvS13_,"axG",@progbits,_ZN7rocprim17ROCPRIM_400000_NS6detail17trampoline_kernelINS0_13select_configILj256ELj13ELNS0_17block_load_methodE3ELS4_3ELS4_3ELNS0_20block_scan_algorithmE0ELj4294967295EEENS1_25partition_config_selectorILNS1_17partition_subalgoE4EjNS0_10empty_typeEbEEZZNS1_14partition_implILS8_4ELb0ES6_15HIP_vector_typeIjLj2EENS0_17counting_iteratorIjlEEPS9_SG_NS0_5tupleIJPjSI_NS0_16reverse_iteratorISI_EEEEENSH_IJSG_SG_SG_EEES9_SI_JZNS1_25segmented_radix_sort_implINS0_14default_configELb1EPK12hip_bfloat16PSP_PKlPlN2at6native12_GLOBAL__N_18offset_tEEE10hipError_tPvRmT1_PNSt15iterator_traitsIS13_E10value_typeET2_T3_PNS14_IS19_E10value_typeET4_jRbjT5_S1F_jjP12ihipStream_tbEUljE_ZNSN_ISO_Lb1ESR_SS_SU_SV_SZ_EES10_S11_S12_S13_S17_S18_S19_S1C_S1D_jS1E_jS1F_S1F_jjS1H_bEUljE0_EEES10_S11_S12_S19_S1D_S1F_T6_T7_T9_mT8_S1H_bDpT10_ENKUlT_T0_E_clISt17integral_constantIbLb0EES1V_EEDaS1Q_S1R_EUlS1Q_E_NS1_11comp_targetILNS1_3genE0ELNS1_11target_archE4294967295ELNS1_3gpuE0ELNS1_3repE0EEENS1_30default_config_static_selectorELNS0_4arch9wavefront6targetE1EEEvS13_,comdat
	.globl	_ZN7rocprim17ROCPRIM_400000_NS6detail17trampoline_kernelINS0_13select_configILj256ELj13ELNS0_17block_load_methodE3ELS4_3ELS4_3ELNS0_20block_scan_algorithmE0ELj4294967295EEENS1_25partition_config_selectorILNS1_17partition_subalgoE4EjNS0_10empty_typeEbEEZZNS1_14partition_implILS8_4ELb0ES6_15HIP_vector_typeIjLj2EENS0_17counting_iteratorIjlEEPS9_SG_NS0_5tupleIJPjSI_NS0_16reverse_iteratorISI_EEEEENSH_IJSG_SG_SG_EEES9_SI_JZNS1_25segmented_radix_sort_implINS0_14default_configELb1EPK12hip_bfloat16PSP_PKlPlN2at6native12_GLOBAL__N_18offset_tEEE10hipError_tPvRmT1_PNSt15iterator_traitsIS13_E10value_typeET2_T3_PNS14_IS19_E10value_typeET4_jRbjT5_S1F_jjP12ihipStream_tbEUljE_ZNSN_ISO_Lb1ESR_SS_SU_SV_SZ_EES10_S11_S12_S13_S17_S18_S19_S1C_S1D_jS1E_jS1F_S1F_jjS1H_bEUljE0_EEES10_S11_S12_S19_S1D_S1F_T6_T7_T9_mT8_S1H_bDpT10_ENKUlT_T0_E_clISt17integral_constantIbLb0EES1V_EEDaS1Q_S1R_EUlS1Q_E_NS1_11comp_targetILNS1_3genE0ELNS1_11target_archE4294967295ELNS1_3gpuE0ELNS1_3repE0EEENS1_30default_config_static_selectorELNS0_4arch9wavefront6targetE1EEEvS13_ ; -- Begin function _ZN7rocprim17ROCPRIM_400000_NS6detail17trampoline_kernelINS0_13select_configILj256ELj13ELNS0_17block_load_methodE3ELS4_3ELS4_3ELNS0_20block_scan_algorithmE0ELj4294967295EEENS1_25partition_config_selectorILNS1_17partition_subalgoE4EjNS0_10empty_typeEbEEZZNS1_14partition_implILS8_4ELb0ES6_15HIP_vector_typeIjLj2EENS0_17counting_iteratorIjlEEPS9_SG_NS0_5tupleIJPjSI_NS0_16reverse_iteratorISI_EEEEENSH_IJSG_SG_SG_EEES9_SI_JZNS1_25segmented_radix_sort_implINS0_14default_configELb1EPK12hip_bfloat16PSP_PKlPlN2at6native12_GLOBAL__N_18offset_tEEE10hipError_tPvRmT1_PNSt15iterator_traitsIS13_E10value_typeET2_T3_PNS14_IS19_E10value_typeET4_jRbjT5_S1F_jjP12ihipStream_tbEUljE_ZNSN_ISO_Lb1ESR_SS_SU_SV_SZ_EES10_S11_S12_S13_S17_S18_S19_S1C_S1D_jS1E_jS1F_S1F_jjS1H_bEUljE0_EEES10_S11_S12_S19_S1D_S1F_T6_T7_T9_mT8_S1H_bDpT10_ENKUlT_T0_E_clISt17integral_constantIbLb0EES1V_EEDaS1Q_S1R_EUlS1Q_E_NS1_11comp_targetILNS1_3genE0ELNS1_11target_archE4294967295ELNS1_3gpuE0ELNS1_3repE0EEENS1_30default_config_static_selectorELNS0_4arch9wavefront6targetE1EEEvS13_
	.p2align	8
	.type	_ZN7rocprim17ROCPRIM_400000_NS6detail17trampoline_kernelINS0_13select_configILj256ELj13ELNS0_17block_load_methodE3ELS4_3ELS4_3ELNS0_20block_scan_algorithmE0ELj4294967295EEENS1_25partition_config_selectorILNS1_17partition_subalgoE4EjNS0_10empty_typeEbEEZZNS1_14partition_implILS8_4ELb0ES6_15HIP_vector_typeIjLj2EENS0_17counting_iteratorIjlEEPS9_SG_NS0_5tupleIJPjSI_NS0_16reverse_iteratorISI_EEEEENSH_IJSG_SG_SG_EEES9_SI_JZNS1_25segmented_radix_sort_implINS0_14default_configELb1EPK12hip_bfloat16PSP_PKlPlN2at6native12_GLOBAL__N_18offset_tEEE10hipError_tPvRmT1_PNSt15iterator_traitsIS13_E10value_typeET2_T3_PNS14_IS19_E10value_typeET4_jRbjT5_S1F_jjP12ihipStream_tbEUljE_ZNSN_ISO_Lb1ESR_SS_SU_SV_SZ_EES10_S11_S12_S13_S17_S18_S19_S1C_S1D_jS1E_jS1F_S1F_jjS1H_bEUljE0_EEES10_S11_S12_S19_S1D_S1F_T6_T7_T9_mT8_S1H_bDpT10_ENKUlT_T0_E_clISt17integral_constantIbLb0EES1V_EEDaS1Q_S1R_EUlS1Q_E_NS1_11comp_targetILNS1_3genE0ELNS1_11target_archE4294967295ELNS1_3gpuE0ELNS1_3repE0EEENS1_30default_config_static_selectorELNS0_4arch9wavefront6targetE1EEEvS13_,@function
_ZN7rocprim17ROCPRIM_400000_NS6detail17trampoline_kernelINS0_13select_configILj256ELj13ELNS0_17block_load_methodE3ELS4_3ELS4_3ELNS0_20block_scan_algorithmE0ELj4294967295EEENS1_25partition_config_selectorILNS1_17partition_subalgoE4EjNS0_10empty_typeEbEEZZNS1_14partition_implILS8_4ELb0ES6_15HIP_vector_typeIjLj2EENS0_17counting_iteratorIjlEEPS9_SG_NS0_5tupleIJPjSI_NS0_16reverse_iteratorISI_EEEEENSH_IJSG_SG_SG_EEES9_SI_JZNS1_25segmented_radix_sort_implINS0_14default_configELb1EPK12hip_bfloat16PSP_PKlPlN2at6native12_GLOBAL__N_18offset_tEEE10hipError_tPvRmT1_PNSt15iterator_traitsIS13_E10value_typeET2_T3_PNS14_IS19_E10value_typeET4_jRbjT5_S1F_jjP12ihipStream_tbEUljE_ZNSN_ISO_Lb1ESR_SS_SU_SV_SZ_EES10_S11_S12_S13_S17_S18_S19_S1C_S1D_jS1E_jS1F_S1F_jjS1H_bEUljE0_EEES10_S11_S12_S19_S1D_S1F_T6_T7_T9_mT8_S1H_bDpT10_ENKUlT_T0_E_clISt17integral_constantIbLb0EES1V_EEDaS1Q_S1R_EUlS1Q_E_NS1_11comp_targetILNS1_3genE0ELNS1_11target_archE4294967295ELNS1_3gpuE0ELNS1_3repE0EEENS1_30default_config_static_selectorELNS0_4arch9wavefront6targetE1EEEvS13_: ; @_ZN7rocprim17ROCPRIM_400000_NS6detail17trampoline_kernelINS0_13select_configILj256ELj13ELNS0_17block_load_methodE3ELS4_3ELS4_3ELNS0_20block_scan_algorithmE0ELj4294967295EEENS1_25partition_config_selectorILNS1_17partition_subalgoE4EjNS0_10empty_typeEbEEZZNS1_14partition_implILS8_4ELb0ES6_15HIP_vector_typeIjLj2EENS0_17counting_iteratorIjlEEPS9_SG_NS0_5tupleIJPjSI_NS0_16reverse_iteratorISI_EEEEENSH_IJSG_SG_SG_EEES9_SI_JZNS1_25segmented_radix_sort_implINS0_14default_configELb1EPK12hip_bfloat16PSP_PKlPlN2at6native12_GLOBAL__N_18offset_tEEE10hipError_tPvRmT1_PNSt15iterator_traitsIS13_E10value_typeET2_T3_PNS14_IS19_E10value_typeET4_jRbjT5_S1F_jjP12ihipStream_tbEUljE_ZNSN_ISO_Lb1ESR_SS_SU_SV_SZ_EES10_S11_S12_S13_S17_S18_S19_S1C_S1D_jS1E_jS1F_S1F_jjS1H_bEUljE0_EEES10_S11_S12_S19_S1D_S1F_T6_T7_T9_mT8_S1H_bDpT10_ENKUlT_T0_E_clISt17integral_constantIbLb0EES1V_EEDaS1Q_S1R_EUlS1Q_E_NS1_11comp_targetILNS1_3genE0ELNS1_11target_archE4294967295ELNS1_3gpuE0ELNS1_3repE0EEENS1_30default_config_static_selectorELNS0_4arch9wavefront6targetE1EEEvS13_
; %bb.0:
	.section	.rodata,"a",@progbits
	.p2align	6, 0x0
	.amdhsa_kernel _ZN7rocprim17ROCPRIM_400000_NS6detail17trampoline_kernelINS0_13select_configILj256ELj13ELNS0_17block_load_methodE3ELS4_3ELS4_3ELNS0_20block_scan_algorithmE0ELj4294967295EEENS1_25partition_config_selectorILNS1_17partition_subalgoE4EjNS0_10empty_typeEbEEZZNS1_14partition_implILS8_4ELb0ES6_15HIP_vector_typeIjLj2EENS0_17counting_iteratorIjlEEPS9_SG_NS0_5tupleIJPjSI_NS0_16reverse_iteratorISI_EEEEENSH_IJSG_SG_SG_EEES9_SI_JZNS1_25segmented_radix_sort_implINS0_14default_configELb1EPK12hip_bfloat16PSP_PKlPlN2at6native12_GLOBAL__N_18offset_tEEE10hipError_tPvRmT1_PNSt15iterator_traitsIS13_E10value_typeET2_T3_PNS14_IS19_E10value_typeET4_jRbjT5_S1F_jjP12ihipStream_tbEUljE_ZNSN_ISO_Lb1ESR_SS_SU_SV_SZ_EES10_S11_S12_S13_S17_S18_S19_S1C_S1D_jS1E_jS1F_S1F_jjS1H_bEUljE0_EEES10_S11_S12_S19_S1D_S1F_T6_T7_T9_mT8_S1H_bDpT10_ENKUlT_T0_E_clISt17integral_constantIbLb0EES1V_EEDaS1Q_S1R_EUlS1Q_E_NS1_11comp_targetILNS1_3genE0ELNS1_11target_archE4294967295ELNS1_3gpuE0ELNS1_3repE0EEENS1_30default_config_static_selectorELNS0_4arch9wavefront6targetE1EEEvS13_
		.amdhsa_group_segment_fixed_size 0
		.amdhsa_private_segment_fixed_size 0
		.amdhsa_kernarg_size 176
		.amdhsa_user_sgpr_count 6
		.amdhsa_user_sgpr_private_segment_buffer 1
		.amdhsa_user_sgpr_dispatch_ptr 0
		.amdhsa_user_sgpr_queue_ptr 0
		.amdhsa_user_sgpr_kernarg_segment_ptr 1
		.amdhsa_user_sgpr_dispatch_id 0
		.amdhsa_user_sgpr_flat_scratch_init 0
		.amdhsa_user_sgpr_private_segment_size 0
		.amdhsa_uses_dynamic_stack 0
		.amdhsa_system_sgpr_private_segment_wavefront_offset 0
		.amdhsa_system_sgpr_workgroup_id_x 1
		.amdhsa_system_sgpr_workgroup_id_y 0
		.amdhsa_system_sgpr_workgroup_id_z 0
		.amdhsa_system_sgpr_workgroup_info 0
		.amdhsa_system_vgpr_workitem_id 0
		.amdhsa_next_free_vgpr 1
		.amdhsa_next_free_sgpr 0
		.amdhsa_reserve_vcc 0
		.amdhsa_reserve_flat_scratch 0
		.amdhsa_float_round_mode_32 0
		.amdhsa_float_round_mode_16_64 0
		.amdhsa_float_denorm_mode_32 3
		.amdhsa_float_denorm_mode_16_64 3
		.amdhsa_dx10_clamp 1
		.amdhsa_ieee_mode 1
		.amdhsa_fp16_overflow 0
		.amdhsa_exception_fp_ieee_invalid_op 0
		.amdhsa_exception_fp_denorm_src 0
		.amdhsa_exception_fp_ieee_div_zero 0
		.amdhsa_exception_fp_ieee_overflow 0
		.amdhsa_exception_fp_ieee_underflow 0
		.amdhsa_exception_fp_ieee_inexact 0
		.amdhsa_exception_int_div_zero 0
	.end_amdhsa_kernel
	.section	.text._ZN7rocprim17ROCPRIM_400000_NS6detail17trampoline_kernelINS0_13select_configILj256ELj13ELNS0_17block_load_methodE3ELS4_3ELS4_3ELNS0_20block_scan_algorithmE0ELj4294967295EEENS1_25partition_config_selectorILNS1_17partition_subalgoE4EjNS0_10empty_typeEbEEZZNS1_14partition_implILS8_4ELb0ES6_15HIP_vector_typeIjLj2EENS0_17counting_iteratorIjlEEPS9_SG_NS0_5tupleIJPjSI_NS0_16reverse_iteratorISI_EEEEENSH_IJSG_SG_SG_EEES9_SI_JZNS1_25segmented_radix_sort_implINS0_14default_configELb1EPK12hip_bfloat16PSP_PKlPlN2at6native12_GLOBAL__N_18offset_tEEE10hipError_tPvRmT1_PNSt15iterator_traitsIS13_E10value_typeET2_T3_PNS14_IS19_E10value_typeET4_jRbjT5_S1F_jjP12ihipStream_tbEUljE_ZNSN_ISO_Lb1ESR_SS_SU_SV_SZ_EES10_S11_S12_S13_S17_S18_S19_S1C_S1D_jS1E_jS1F_S1F_jjS1H_bEUljE0_EEES10_S11_S12_S19_S1D_S1F_T6_T7_T9_mT8_S1H_bDpT10_ENKUlT_T0_E_clISt17integral_constantIbLb0EES1V_EEDaS1Q_S1R_EUlS1Q_E_NS1_11comp_targetILNS1_3genE0ELNS1_11target_archE4294967295ELNS1_3gpuE0ELNS1_3repE0EEENS1_30default_config_static_selectorELNS0_4arch9wavefront6targetE1EEEvS13_,"axG",@progbits,_ZN7rocprim17ROCPRIM_400000_NS6detail17trampoline_kernelINS0_13select_configILj256ELj13ELNS0_17block_load_methodE3ELS4_3ELS4_3ELNS0_20block_scan_algorithmE0ELj4294967295EEENS1_25partition_config_selectorILNS1_17partition_subalgoE4EjNS0_10empty_typeEbEEZZNS1_14partition_implILS8_4ELb0ES6_15HIP_vector_typeIjLj2EENS0_17counting_iteratorIjlEEPS9_SG_NS0_5tupleIJPjSI_NS0_16reverse_iteratorISI_EEEEENSH_IJSG_SG_SG_EEES9_SI_JZNS1_25segmented_radix_sort_implINS0_14default_configELb1EPK12hip_bfloat16PSP_PKlPlN2at6native12_GLOBAL__N_18offset_tEEE10hipError_tPvRmT1_PNSt15iterator_traitsIS13_E10value_typeET2_T3_PNS14_IS19_E10value_typeET4_jRbjT5_S1F_jjP12ihipStream_tbEUljE_ZNSN_ISO_Lb1ESR_SS_SU_SV_SZ_EES10_S11_S12_S13_S17_S18_S19_S1C_S1D_jS1E_jS1F_S1F_jjS1H_bEUljE0_EEES10_S11_S12_S19_S1D_S1F_T6_T7_T9_mT8_S1H_bDpT10_ENKUlT_T0_E_clISt17integral_constantIbLb0EES1V_EEDaS1Q_S1R_EUlS1Q_E_NS1_11comp_targetILNS1_3genE0ELNS1_11target_archE4294967295ELNS1_3gpuE0ELNS1_3repE0EEENS1_30default_config_static_selectorELNS0_4arch9wavefront6targetE1EEEvS13_,comdat
.Lfunc_end1882:
	.size	_ZN7rocprim17ROCPRIM_400000_NS6detail17trampoline_kernelINS0_13select_configILj256ELj13ELNS0_17block_load_methodE3ELS4_3ELS4_3ELNS0_20block_scan_algorithmE0ELj4294967295EEENS1_25partition_config_selectorILNS1_17partition_subalgoE4EjNS0_10empty_typeEbEEZZNS1_14partition_implILS8_4ELb0ES6_15HIP_vector_typeIjLj2EENS0_17counting_iteratorIjlEEPS9_SG_NS0_5tupleIJPjSI_NS0_16reverse_iteratorISI_EEEEENSH_IJSG_SG_SG_EEES9_SI_JZNS1_25segmented_radix_sort_implINS0_14default_configELb1EPK12hip_bfloat16PSP_PKlPlN2at6native12_GLOBAL__N_18offset_tEEE10hipError_tPvRmT1_PNSt15iterator_traitsIS13_E10value_typeET2_T3_PNS14_IS19_E10value_typeET4_jRbjT5_S1F_jjP12ihipStream_tbEUljE_ZNSN_ISO_Lb1ESR_SS_SU_SV_SZ_EES10_S11_S12_S13_S17_S18_S19_S1C_S1D_jS1E_jS1F_S1F_jjS1H_bEUljE0_EEES10_S11_S12_S19_S1D_S1F_T6_T7_T9_mT8_S1H_bDpT10_ENKUlT_T0_E_clISt17integral_constantIbLb0EES1V_EEDaS1Q_S1R_EUlS1Q_E_NS1_11comp_targetILNS1_3genE0ELNS1_11target_archE4294967295ELNS1_3gpuE0ELNS1_3repE0EEENS1_30default_config_static_selectorELNS0_4arch9wavefront6targetE1EEEvS13_, .Lfunc_end1882-_ZN7rocprim17ROCPRIM_400000_NS6detail17trampoline_kernelINS0_13select_configILj256ELj13ELNS0_17block_load_methodE3ELS4_3ELS4_3ELNS0_20block_scan_algorithmE0ELj4294967295EEENS1_25partition_config_selectorILNS1_17partition_subalgoE4EjNS0_10empty_typeEbEEZZNS1_14partition_implILS8_4ELb0ES6_15HIP_vector_typeIjLj2EENS0_17counting_iteratorIjlEEPS9_SG_NS0_5tupleIJPjSI_NS0_16reverse_iteratorISI_EEEEENSH_IJSG_SG_SG_EEES9_SI_JZNS1_25segmented_radix_sort_implINS0_14default_configELb1EPK12hip_bfloat16PSP_PKlPlN2at6native12_GLOBAL__N_18offset_tEEE10hipError_tPvRmT1_PNSt15iterator_traitsIS13_E10value_typeET2_T3_PNS14_IS19_E10value_typeET4_jRbjT5_S1F_jjP12ihipStream_tbEUljE_ZNSN_ISO_Lb1ESR_SS_SU_SV_SZ_EES10_S11_S12_S13_S17_S18_S19_S1C_S1D_jS1E_jS1F_S1F_jjS1H_bEUljE0_EEES10_S11_S12_S19_S1D_S1F_T6_T7_T9_mT8_S1H_bDpT10_ENKUlT_T0_E_clISt17integral_constantIbLb0EES1V_EEDaS1Q_S1R_EUlS1Q_E_NS1_11comp_targetILNS1_3genE0ELNS1_11target_archE4294967295ELNS1_3gpuE0ELNS1_3repE0EEENS1_30default_config_static_selectorELNS0_4arch9wavefront6targetE1EEEvS13_
                                        ; -- End function
	.set _ZN7rocprim17ROCPRIM_400000_NS6detail17trampoline_kernelINS0_13select_configILj256ELj13ELNS0_17block_load_methodE3ELS4_3ELS4_3ELNS0_20block_scan_algorithmE0ELj4294967295EEENS1_25partition_config_selectorILNS1_17partition_subalgoE4EjNS0_10empty_typeEbEEZZNS1_14partition_implILS8_4ELb0ES6_15HIP_vector_typeIjLj2EENS0_17counting_iteratorIjlEEPS9_SG_NS0_5tupleIJPjSI_NS0_16reverse_iteratorISI_EEEEENSH_IJSG_SG_SG_EEES9_SI_JZNS1_25segmented_radix_sort_implINS0_14default_configELb1EPK12hip_bfloat16PSP_PKlPlN2at6native12_GLOBAL__N_18offset_tEEE10hipError_tPvRmT1_PNSt15iterator_traitsIS13_E10value_typeET2_T3_PNS14_IS19_E10value_typeET4_jRbjT5_S1F_jjP12ihipStream_tbEUljE_ZNSN_ISO_Lb1ESR_SS_SU_SV_SZ_EES10_S11_S12_S13_S17_S18_S19_S1C_S1D_jS1E_jS1F_S1F_jjS1H_bEUljE0_EEES10_S11_S12_S19_S1D_S1F_T6_T7_T9_mT8_S1H_bDpT10_ENKUlT_T0_E_clISt17integral_constantIbLb0EES1V_EEDaS1Q_S1R_EUlS1Q_E_NS1_11comp_targetILNS1_3genE0ELNS1_11target_archE4294967295ELNS1_3gpuE0ELNS1_3repE0EEENS1_30default_config_static_selectorELNS0_4arch9wavefront6targetE1EEEvS13_.num_vgpr, 0
	.set _ZN7rocprim17ROCPRIM_400000_NS6detail17trampoline_kernelINS0_13select_configILj256ELj13ELNS0_17block_load_methodE3ELS4_3ELS4_3ELNS0_20block_scan_algorithmE0ELj4294967295EEENS1_25partition_config_selectorILNS1_17partition_subalgoE4EjNS0_10empty_typeEbEEZZNS1_14partition_implILS8_4ELb0ES6_15HIP_vector_typeIjLj2EENS0_17counting_iteratorIjlEEPS9_SG_NS0_5tupleIJPjSI_NS0_16reverse_iteratorISI_EEEEENSH_IJSG_SG_SG_EEES9_SI_JZNS1_25segmented_radix_sort_implINS0_14default_configELb1EPK12hip_bfloat16PSP_PKlPlN2at6native12_GLOBAL__N_18offset_tEEE10hipError_tPvRmT1_PNSt15iterator_traitsIS13_E10value_typeET2_T3_PNS14_IS19_E10value_typeET4_jRbjT5_S1F_jjP12ihipStream_tbEUljE_ZNSN_ISO_Lb1ESR_SS_SU_SV_SZ_EES10_S11_S12_S13_S17_S18_S19_S1C_S1D_jS1E_jS1F_S1F_jjS1H_bEUljE0_EEES10_S11_S12_S19_S1D_S1F_T6_T7_T9_mT8_S1H_bDpT10_ENKUlT_T0_E_clISt17integral_constantIbLb0EES1V_EEDaS1Q_S1R_EUlS1Q_E_NS1_11comp_targetILNS1_3genE0ELNS1_11target_archE4294967295ELNS1_3gpuE0ELNS1_3repE0EEENS1_30default_config_static_selectorELNS0_4arch9wavefront6targetE1EEEvS13_.num_agpr, 0
	.set _ZN7rocprim17ROCPRIM_400000_NS6detail17trampoline_kernelINS0_13select_configILj256ELj13ELNS0_17block_load_methodE3ELS4_3ELS4_3ELNS0_20block_scan_algorithmE0ELj4294967295EEENS1_25partition_config_selectorILNS1_17partition_subalgoE4EjNS0_10empty_typeEbEEZZNS1_14partition_implILS8_4ELb0ES6_15HIP_vector_typeIjLj2EENS0_17counting_iteratorIjlEEPS9_SG_NS0_5tupleIJPjSI_NS0_16reverse_iteratorISI_EEEEENSH_IJSG_SG_SG_EEES9_SI_JZNS1_25segmented_radix_sort_implINS0_14default_configELb1EPK12hip_bfloat16PSP_PKlPlN2at6native12_GLOBAL__N_18offset_tEEE10hipError_tPvRmT1_PNSt15iterator_traitsIS13_E10value_typeET2_T3_PNS14_IS19_E10value_typeET4_jRbjT5_S1F_jjP12ihipStream_tbEUljE_ZNSN_ISO_Lb1ESR_SS_SU_SV_SZ_EES10_S11_S12_S13_S17_S18_S19_S1C_S1D_jS1E_jS1F_S1F_jjS1H_bEUljE0_EEES10_S11_S12_S19_S1D_S1F_T6_T7_T9_mT8_S1H_bDpT10_ENKUlT_T0_E_clISt17integral_constantIbLb0EES1V_EEDaS1Q_S1R_EUlS1Q_E_NS1_11comp_targetILNS1_3genE0ELNS1_11target_archE4294967295ELNS1_3gpuE0ELNS1_3repE0EEENS1_30default_config_static_selectorELNS0_4arch9wavefront6targetE1EEEvS13_.numbered_sgpr, 0
	.set _ZN7rocprim17ROCPRIM_400000_NS6detail17trampoline_kernelINS0_13select_configILj256ELj13ELNS0_17block_load_methodE3ELS4_3ELS4_3ELNS0_20block_scan_algorithmE0ELj4294967295EEENS1_25partition_config_selectorILNS1_17partition_subalgoE4EjNS0_10empty_typeEbEEZZNS1_14partition_implILS8_4ELb0ES6_15HIP_vector_typeIjLj2EENS0_17counting_iteratorIjlEEPS9_SG_NS0_5tupleIJPjSI_NS0_16reverse_iteratorISI_EEEEENSH_IJSG_SG_SG_EEES9_SI_JZNS1_25segmented_radix_sort_implINS0_14default_configELb1EPK12hip_bfloat16PSP_PKlPlN2at6native12_GLOBAL__N_18offset_tEEE10hipError_tPvRmT1_PNSt15iterator_traitsIS13_E10value_typeET2_T3_PNS14_IS19_E10value_typeET4_jRbjT5_S1F_jjP12ihipStream_tbEUljE_ZNSN_ISO_Lb1ESR_SS_SU_SV_SZ_EES10_S11_S12_S13_S17_S18_S19_S1C_S1D_jS1E_jS1F_S1F_jjS1H_bEUljE0_EEES10_S11_S12_S19_S1D_S1F_T6_T7_T9_mT8_S1H_bDpT10_ENKUlT_T0_E_clISt17integral_constantIbLb0EES1V_EEDaS1Q_S1R_EUlS1Q_E_NS1_11comp_targetILNS1_3genE0ELNS1_11target_archE4294967295ELNS1_3gpuE0ELNS1_3repE0EEENS1_30default_config_static_selectorELNS0_4arch9wavefront6targetE1EEEvS13_.num_named_barrier, 0
	.set _ZN7rocprim17ROCPRIM_400000_NS6detail17trampoline_kernelINS0_13select_configILj256ELj13ELNS0_17block_load_methodE3ELS4_3ELS4_3ELNS0_20block_scan_algorithmE0ELj4294967295EEENS1_25partition_config_selectorILNS1_17partition_subalgoE4EjNS0_10empty_typeEbEEZZNS1_14partition_implILS8_4ELb0ES6_15HIP_vector_typeIjLj2EENS0_17counting_iteratorIjlEEPS9_SG_NS0_5tupleIJPjSI_NS0_16reverse_iteratorISI_EEEEENSH_IJSG_SG_SG_EEES9_SI_JZNS1_25segmented_radix_sort_implINS0_14default_configELb1EPK12hip_bfloat16PSP_PKlPlN2at6native12_GLOBAL__N_18offset_tEEE10hipError_tPvRmT1_PNSt15iterator_traitsIS13_E10value_typeET2_T3_PNS14_IS19_E10value_typeET4_jRbjT5_S1F_jjP12ihipStream_tbEUljE_ZNSN_ISO_Lb1ESR_SS_SU_SV_SZ_EES10_S11_S12_S13_S17_S18_S19_S1C_S1D_jS1E_jS1F_S1F_jjS1H_bEUljE0_EEES10_S11_S12_S19_S1D_S1F_T6_T7_T9_mT8_S1H_bDpT10_ENKUlT_T0_E_clISt17integral_constantIbLb0EES1V_EEDaS1Q_S1R_EUlS1Q_E_NS1_11comp_targetILNS1_3genE0ELNS1_11target_archE4294967295ELNS1_3gpuE0ELNS1_3repE0EEENS1_30default_config_static_selectorELNS0_4arch9wavefront6targetE1EEEvS13_.private_seg_size, 0
	.set _ZN7rocprim17ROCPRIM_400000_NS6detail17trampoline_kernelINS0_13select_configILj256ELj13ELNS0_17block_load_methodE3ELS4_3ELS4_3ELNS0_20block_scan_algorithmE0ELj4294967295EEENS1_25partition_config_selectorILNS1_17partition_subalgoE4EjNS0_10empty_typeEbEEZZNS1_14partition_implILS8_4ELb0ES6_15HIP_vector_typeIjLj2EENS0_17counting_iteratorIjlEEPS9_SG_NS0_5tupleIJPjSI_NS0_16reverse_iteratorISI_EEEEENSH_IJSG_SG_SG_EEES9_SI_JZNS1_25segmented_radix_sort_implINS0_14default_configELb1EPK12hip_bfloat16PSP_PKlPlN2at6native12_GLOBAL__N_18offset_tEEE10hipError_tPvRmT1_PNSt15iterator_traitsIS13_E10value_typeET2_T3_PNS14_IS19_E10value_typeET4_jRbjT5_S1F_jjP12ihipStream_tbEUljE_ZNSN_ISO_Lb1ESR_SS_SU_SV_SZ_EES10_S11_S12_S13_S17_S18_S19_S1C_S1D_jS1E_jS1F_S1F_jjS1H_bEUljE0_EEES10_S11_S12_S19_S1D_S1F_T6_T7_T9_mT8_S1H_bDpT10_ENKUlT_T0_E_clISt17integral_constantIbLb0EES1V_EEDaS1Q_S1R_EUlS1Q_E_NS1_11comp_targetILNS1_3genE0ELNS1_11target_archE4294967295ELNS1_3gpuE0ELNS1_3repE0EEENS1_30default_config_static_selectorELNS0_4arch9wavefront6targetE1EEEvS13_.uses_vcc, 0
	.set _ZN7rocprim17ROCPRIM_400000_NS6detail17trampoline_kernelINS0_13select_configILj256ELj13ELNS0_17block_load_methodE3ELS4_3ELS4_3ELNS0_20block_scan_algorithmE0ELj4294967295EEENS1_25partition_config_selectorILNS1_17partition_subalgoE4EjNS0_10empty_typeEbEEZZNS1_14partition_implILS8_4ELb0ES6_15HIP_vector_typeIjLj2EENS0_17counting_iteratorIjlEEPS9_SG_NS0_5tupleIJPjSI_NS0_16reverse_iteratorISI_EEEEENSH_IJSG_SG_SG_EEES9_SI_JZNS1_25segmented_radix_sort_implINS0_14default_configELb1EPK12hip_bfloat16PSP_PKlPlN2at6native12_GLOBAL__N_18offset_tEEE10hipError_tPvRmT1_PNSt15iterator_traitsIS13_E10value_typeET2_T3_PNS14_IS19_E10value_typeET4_jRbjT5_S1F_jjP12ihipStream_tbEUljE_ZNSN_ISO_Lb1ESR_SS_SU_SV_SZ_EES10_S11_S12_S13_S17_S18_S19_S1C_S1D_jS1E_jS1F_S1F_jjS1H_bEUljE0_EEES10_S11_S12_S19_S1D_S1F_T6_T7_T9_mT8_S1H_bDpT10_ENKUlT_T0_E_clISt17integral_constantIbLb0EES1V_EEDaS1Q_S1R_EUlS1Q_E_NS1_11comp_targetILNS1_3genE0ELNS1_11target_archE4294967295ELNS1_3gpuE0ELNS1_3repE0EEENS1_30default_config_static_selectorELNS0_4arch9wavefront6targetE1EEEvS13_.uses_flat_scratch, 0
	.set _ZN7rocprim17ROCPRIM_400000_NS6detail17trampoline_kernelINS0_13select_configILj256ELj13ELNS0_17block_load_methodE3ELS4_3ELS4_3ELNS0_20block_scan_algorithmE0ELj4294967295EEENS1_25partition_config_selectorILNS1_17partition_subalgoE4EjNS0_10empty_typeEbEEZZNS1_14partition_implILS8_4ELb0ES6_15HIP_vector_typeIjLj2EENS0_17counting_iteratorIjlEEPS9_SG_NS0_5tupleIJPjSI_NS0_16reverse_iteratorISI_EEEEENSH_IJSG_SG_SG_EEES9_SI_JZNS1_25segmented_radix_sort_implINS0_14default_configELb1EPK12hip_bfloat16PSP_PKlPlN2at6native12_GLOBAL__N_18offset_tEEE10hipError_tPvRmT1_PNSt15iterator_traitsIS13_E10value_typeET2_T3_PNS14_IS19_E10value_typeET4_jRbjT5_S1F_jjP12ihipStream_tbEUljE_ZNSN_ISO_Lb1ESR_SS_SU_SV_SZ_EES10_S11_S12_S13_S17_S18_S19_S1C_S1D_jS1E_jS1F_S1F_jjS1H_bEUljE0_EEES10_S11_S12_S19_S1D_S1F_T6_T7_T9_mT8_S1H_bDpT10_ENKUlT_T0_E_clISt17integral_constantIbLb0EES1V_EEDaS1Q_S1R_EUlS1Q_E_NS1_11comp_targetILNS1_3genE0ELNS1_11target_archE4294967295ELNS1_3gpuE0ELNS1_3repE0EEENS1_30default_config_static_selectorELNS0_4arch9wavefront6targetE1EEEvS13_.has_dyn_sized_stack, 0
	.set _ZN7rocprim17ROCPRIM_400000_NS6detail17trampoline_kernelINS0_13select_configILj256ELj13ELNS0_17block_load_methodE3ELS4_3ELS4_3ELNS0_20block_scan_algorithmE0ELj4294967295EEENS1_25partition_config_selectorILNS1_17partition_subalgoE4EjNS0_10empty_typeEbEEZZNS1_14partition_implILS8_4ELb0ES6_15HIP_vector_typeIjLj2EENS0_17counting_iteratorIjlEEPS9_SG_NS0_5tupleIJPjSI_NS0_16reverse_iteratorISI_EEEEENSH_IJSG_SG_SG_EEES9_SI_JZNS1_25segmented_radix_sort_implINS0_14default_configELb1EPK12hip_bfloat16PSP_PKlPlN2at6native12_GLOBAL__N_18offset_tEEE10hipError_tPvRmT1_PNSt15iterator_traitsIS13_E10value_typeET2_T3_PNS14_IS19_E10value_typeET4_jRbjT5_S1F_jjP12ihipStream_tbEUljE_ZNSN_ISO_Lb1ESR_SS_SU_SV_SZ_EES10_S11_S12_S13_S17_S18_S19_S1C_S1D_jS1E_jS1F_S1F_jjS1H_bEUljE0_EEES10_S11_S12_S19_S1D_S1F_T6_T7_T9_mT8_S1H_bDpT10_ENKUlT_T0_E_clISt17integral_constantIbLb0EES1V_EEDaS1Q_S1R_EUlS1Q_E_NS1_11comp_targetILNS1_3genE0ELNS1_11target_archE4294967295ELNS1_3gpuE0ELNS1_3repE0EEENS1_30default_config_static_selectorELNS0_4arch9wavefront6targetE1EEEvS13_.has_recursion, 0
	.set _ZN7rocprim17ROCPRIM_400000_NS6detail17trampoline_kernelINS0_13select_configILj256ELj13ELNS0_17block_load_methodE3ELS4_3ELS4_3ELNS0_20block_scan_algorithmE0ELj4294967295EEENS1_25partition_config_selectorILNS1_17partition_subalgoE4EjNS0_10empty_typeEbEEZZNS1_14partition_implILS8_4ELb0ES6_15HIP_vector_typeIjLj2EENS0_17counting_iteratorIjlEEPS9_SG_NS0_5tupleIJPjSI_NS0_16reverse_iteratorISI_EEEEENSH_IJSG_SG_SG_EEES9_SI_JZNS1_25segmented_radix_sort_implINS0_14default_configELb1EPK12hip_bfloat16PSP_PKlPlN2at6native12_GLOBAL__N_18offset_tEEE10hipError_tPvRmT1_PNSt15iterator_traitsIS13_E10value_typeET2_T3_PNS14_IS19_E10value_typeET4_jRbjT5_S1F_jjP12ihipStream_tbEUljE_ZNSN_ISO_Lb1ESR_SS_SU_SV_SZ_EES10_S11_S12_S13_S17_S18_S19_S1C_S1D_jS1E_jS1F_S1F_jjS1H_bEUljE0_EEES10_S11_S12_S19_S1D_S1F_T6_T7_T9_mT8_S1H_bDpT10_ENKUlT_T0_E_clISt17integral_constantIbLb0EES1V_EEDaS1Q_S1R_EUlS1Q_E_NS1_11comp_targetILNS1_3genE0ELNS1_11target_archE4294967295ELNS1_3gpuE0ELNS1_3repE0EEENS1_30default_config_static_selectorELNS0_4arch9wavefront6targetE1EEEvS13_.has_indirect_call, 0
	.section	.AMDGPU.csdata,"",@progbits
; Kernel info:
; codeLenInByte = 0
; TotalNumSgprs: 4
; NumVgprs: 0
; ScratchSize: 0
; MemoryBound: 0
; FloatMode: 240
; IeeeMode: 1
; LDSByteSize: 0 bytes/workgroup (compile time only)
; SGPRBlocks: 0
; VGPRBlocks: 0
; NumSGPRsForWavesPerEU: 4
; NumVGPRsForWavesPerEU: 1
; Occupancy: 10
; WaveLimiterHint : 0
; COMPUTE_PGM_RSRC2:SCRATCH_EN: 0
; COMPUTE_PGM_RSRC2:USER_SGPR: 6
; COMPUTE_PGM_RSRC2:TRAP_HANDLER: 0
; COMPUTE_PGM_RSRC2:TGID_X_EN: 1
; COMPUTE_PGM_RSRC2:TGID_Y_EN: 0
; COMPUTE_PGM_RSRC2:TGID_Z_EN: 0
; COMPUTE_PGM_RSRC2:TIDIG_COMP_CNT: 0
	.section	.text._ZN7rocprim17ROCPRIM_400000_NS6detail17trampoline_kernelINS0_13select_configILj256ELj13ELNS0_17block_load_methodE3ELS4_3ELS4_3ELNS0_20block_scan_algorithmE0ELj4294967295EEENS1_25partition_config_selectorILNS1_17partition_subalgoE4EjNS0_10empty_typeEbEEZZNS1_14partition_implILS8_4ELb0ES6_15HIP_vector_typeIjLj2EENS0_17counting_iteratorIjlEEPS9_SG_NS0_5tupleIJPjSI_NS0_16reverse_iteratorISI_EEEEENSH_IJSG_SG_SG_EEES9_SI_JZNS1_25segmented_radix_sort_implINS0_14default_configELb1EPK12hip_bfloat16PSP_PKlPlN2at6native12_GLOBAL__N_18offset_tEEE10hipError_tPvRmT1_PNSt15iterator_traitsIS13_E10value_typeET2_T3_PNS14_IS19_E10value_typeET4_jRbjT5_S1F_jjP12ihipStream_tbEUljE_ZNSN_ISO_Lb1ESR_SS_SU_SV_SZ_EES10_S11_S12_S13_S17_S18_S19_S1C_S1D_jS1E_jS1F_S1F_jjS1H_bEUljE0_EEES10_S11_S12_S19_S1D_S1F_T6_T7_T9_mT8_S1H_bDpT10_ENKUlT_T0_E_clISt17integral_constantIbLb0EES1V_EEDaS1Q_S1R_EUlS1Q_E_NS1_11comp_targetILNS1_3genE5ELNS1_11target_archE942ELNS1_3gpuE9ELNS1_3repE0EEENS1_30default_config_static_selectorELNS0_4arch9wavefront6targetE1EEEvS13_,"axG",@progbits,_ZN7rocprim17ROCPRIM_400000_NS6detail17trampoline_kernelINS0_13select_configILj256ELj13ELNS0_17block_load_methodE3ELS4_3ELS4_3ELNS0_20block_scan_algorithmE0ELj4294967295EEENS1_25partition_config_selectorILNS1_17partition_subalgoE4EjNS0_10empty_typeEbEEZZNS1_14partition_implILS8_4ELb0ES6_15HIP_vector_typeIjLj2EENS0_17counting_iteratorIjlEEPS9_SG_NS0_5tupleIJPjSI_NS0_16reverse_iteratorISI_EEEEENSH_IJSG_SG_SG_EEES9_SI_JZNS1_25segmented_radix_sort_implINS0_14default_configELb1EPK12hip_bfloat16PSP_PKlPlN2at6native12_GLOBAL__N_18offset_tEEE10hipError_tPvRmT1_PNSt15iterator_traitsIS13_E10value_typeET2_T3_PNS14_IS19_E10value_typeET4_jRbjT5_S1F_jjP12ihipStream_tbEUljE_ZNSN_ISO_Lb1ESR_SS_SU_SV_SZ_EES10_S11_S12_S13_S17_S18_S19_S1C_S1D_jS1E_jS1F_S1F_jjS1H_bEUljE0_EEES10_S11_S12_S19_S1D_S1F_T6_T7_T9_mT8_S1H_bDpT10_ENKUlT_T0_E_clISt17integral_constantIbLb0EES1V_EEDaS1Q_S1R_EUlS1Q_E_NS1_11comp_targetILNS1_3genE5ELNS1_11target_archE942ELNS1_3gpuE9ELNS1_3repE0EEENS1_30default_config_static_selectorELNS0_4arch9wavefront6targetE1EEEvS13_,comdat
	.globl	_ZN7rocprim17ROCPRIM_400000_NS6detail17trampoline_kernelINS0_13select_configILj256ELj13ELNS0_17block_load_methodE3ELS4_3ELS4_3ELNS0_20block_scan_algorithmE0ELj4294967295EEENS1_25partition_config_selectorILNS1_17partition_subalgoE4EjNS0_10empty_typeEbEEZZNS1_14partition_implILS8_4ELb0ES6_15HIP_vector_typeIjLj2EENS0_17counting_iteratorIjlEEPS9_SG_NS0_5tupleIJPjSI_NS0_16reverse_iteratorISI_EEEEENSH_IJSG_SG_SG_EEES9_SI_JZNS1_25segmented_radix_sort_implINS0_14default_configELb1EPK12hip_bfloat16PSP_PKlPlN2at6native12_GLOBAL__N_18offset_tEEE10hipError_tPvRmT1_PNSt15iterator_traitsIS13_E10value_typeET2_T3_PNS14_IS19_E10value_typeET4_jRbjT5_S1F_jjP12ihipStream_tbEUljE_ZNSN_ISO_Lb1ESR_SS_SU_SV_SZ_EES10_S11_S12_S13_S17_S18_S19_S1C_S1D_jS1E_jS1F_S1F_jjS1H_bEUljE0_EEES10_S11_S12_S19_S1D_S1F_T6_T7_T9_mT8_S1H_bDpT10_ENKUlT_T0_E_clISt17integral_constantIbLb0EES1V_EEDaS1Q_S1R_EUlS1Q_E_NS1_11comp_targetILNS1_3genE5ELNS1_11target_archE942ELNS1_3gpuE9ELNS1_3repE0EEENS1_30default_config_static_selectorELNS0_4arch9wavefront6targetE1EEEvS13_ ; -- Begin function _ZN7rocprim17ROCPRIM_400000_NS6detail17trampoline_kernelINS0_13select_configILj256ELj13ELNS0_17block_load_methodE3ELS4_3ELS4_3ELNS0_20block_scan_algorithmE0ELj4294967295EEENS1_25partition_config_selectorILNS1_17partition_subalgoE4EjNS0_10empty_typeEbEEZZNS1_14partition_implILS8_4ELb0ES6_15HIP_vector_typeIjLj2EENS0_17counting_iteratorIjlEEPS9_SG_NS0_5tupleIJPjSI_NS0_16reverse_iteratorISI_EEEEENSH_IJSG_SG_SG_EEES9_SI_JZNS1_25segmented_radix_sort_implINS0_14default_configELb1EPK12hip_bfloat16PSP_PKlPlN2at6native12_GLOBAL__N_18offset_tEEE10hipError_tPvRmT1_PNSt15iterator_traitsIS13_E10value_typeET2_T3_PNS14_IS19_E10value_typeET4_jRbjT5_S1F_jjP12ihipStream_tbEUljE_ZNSN_ISO_Lb1ESR_SS_SU_SV_SZ_EES10_S11_S12_S13_S17_S18_S19_S1C_S1D_jS1E_jS1F_S1F_jjS1H_bEUljE0_EEES10_S11_S12_S19_S1D_S1F_T6_T7_T9_mT8_S1H_bDpT10_ENKUlT_T0_E_clISt17integral_constantIbLb0EES1V_EEDaS1Q_S1R_EUlS1Q_E_NS1_11comp_targetILNS1_3genE5ELNS1_11target_archE942ELNS1_3gpuE9ELNS1_3repE0EEENS1_30default_config_static_selectorELNS0_4arch9wavefront6targetE1EEEvS13_
	.p2align	8
	.type	_ZN7rocprim17ROCPRIM_400000_NS6detail17trampoline_kernelINS0_13select_configILj256ELj13ELNS0_17block_load_methodE3ELS4_3ELS4_3ELNS0_20block_scan_algorithmE0ELj4294967295EEENS1_25partition_config_selectorILNS1_17partition_subalgoE4EjNS0_10empty_typeEbEEZZNS1_14partition_implILS8_4ELb0ES6_15HIP_vector_typeIjLj2EENS0_17counting_iteratorIjlEEPS9_SG_NS0_5tupleIJPjSI_NS0_16reverse_iteratorISI_EEEEENSH_IJSG_SG_SG_EEES9_SI_JZNS1_25segmented_radix_sort_implINS0_14default_configELb1EPK12hip_bfloat16PSP_PKlPlN2at6native12_GLOBAL__N_18offset_tEEE10hipError_tPvRmT1_PNSt15iterator_traitsIS13_E10value_typeET2_T3_PNS14_IS19_E10value_typeET4_jRbjT5_S1F_jjP12ihipStream_tbEUljE_ZNSN_ISO_Lb1ESR_SS_SU_SV_SZ_EES10_S11_S12_S13_S17_S18_S19_S1C_S1D_jS1E_jS1F_S1F_jjS1H_bEUljE0_EEES10_S11_S12_S19_S1D_S1F_T6_T7_T9_mT8_S1H_bDpT10_ENKUlT_T0_E_clISt17integral_constantIbLb0EES1V_EEDaS1Q_S1R_EUlS1Q_E_NS1_11comp_targetILNS1_3genE5ELNS1_11target_archE942ELNS1_3gpuE9ELNS1_3repE0EEENS1_30default_config_static_selectorELNS0_4arch9wavefront6targetE1EEEvS13_,@function
_ZN7rocprim17ROCPRIM_400000_NS6detail17trampoline_kernelINS0_13select_configILj256ELj13ELNS0_17block_load_methodE3ELS4_3ELS4_3ELNS0_20block_scan_algorithmE0ELj4294967295EEENS1_25partition_config_selectorILNS1_17partition_subalgoE4EjNS0_10empty_typeEbEEZZNS1_14partition_implILS8_4ELb0ES6_15HIP_vector_typeIjLj2EENS0_17counting_iteratorIjlEEPS9_SG_NS0_5tupleIJPjSI_NS0_16reverse_iteratorISI_EEEEENSH_IJSG_SG_SG_EEES9_SI_JZNS1_25segmented_radix_sort_implINS0_14default_configELb1EPK12hip_bfloat16PSP_PKlPlN2at6native12_GLOBAL__N_18offset_tEEE10hipError_tPvRmT1_PNSt15iterator_traitsIS13_E10value_typeET2_T3_PNS14_IS19_E10value_typeET4_jRbjT5_S1F_jjP12ihipStream_tbEUljE_ZNSN_ISO_Lb1ESR_SS_SU_SV_SZ_EES10_S11_S12_S13_S17_S18_S19_S1C_S1D_jS1E_jS1F_S1F_jjS1H_bEUljE0_EEES10_S11_S12_S19_S1D_S1F_T6_T7_T9_mT8_S1H_bDpT10_ENKUlT_T0_E_clISt17integral_constantIbLb0EES1V_EEDaS1Q_S1R_EUlS1Q_E_NS1_11comp_targetILNS1_3genE5ELNS1_11target_archE942ELNS1_3gpuE9ELNS1_3repE0EEENS1_30default_config_static_selectorELNS0_4arch9wavefront6targetE1EEEvS13_: ; @_ZN7rocprim17ROCPRIM_400000_NS6detail17trampoline_kernelINS0_13select_configILj256ELj13ELNS0_17block_load_methodE3ELS4_3ELS4_3ELNS0_20block_scan_algorithmE0ELj4294967295EEENS1_25partition_config_selectorILNS1_17partition_subalgoE4EjNS0_10empty_typeEbEEZZNS1_14partition_implILS8_4ELb0ES6_15HIP_vector_typeIjLj2EENS0_17counting_iteratorIjlEEPS9_SG_NS0_5tupleIJPjSI_NS0_16reverse_iteratorISI_EEEEENSH_IJSG_SG_SG_EEES9_SI_JZNS1_25segmented_radix_sort_implINS0_14default_configELb1EPK12hip_bfloat16PSP_PKlPlN2at6native12_GLOBAL__N_18offset_tEEE10hipError_tPvRmT1_PNSt15iterator_traitsIS13_E10value_typeET2_T3_PNS14_IS19_E10value_typeET4_jRbjT5_S1F_jjP12ihipStream_tbEUljE_ZNSN_ISO_Lb1ESR_SS_SU_SV_SZ_EES10_S11_S12_S13_S17_S18_S19_S1C_S1D_jS1E_jS1F_S1F_jjS1H_bEUljE0_EEES10_S11_S12_S19_S1D_S1F_T6_T7_T9_mT8_S1H_bDpT10_ENKUlT_T0_E_clISt17integral_constantIbLb0EES1V_EEDaS1Q_S1R_EUlS1Q_E_NS1_11comp_targetILNS1_3genE5ELNS1_11target_archE942ELNS1_3gpuE9ELNS1_3repE0EEENS1_30default_config_static_selectorELNS0_4arch9wavefront6targetE1EEEvS13_
; %bb.0:
	.section	.rodata,"a",@progbits
	.p2align	6, 0x0
	.amdhsa_kernel _ZN7rocprim17ROCPRIM_400000_NS6detail17trampoline_kernelINS0_13select_configILj256ELj13ELNS0_17block_load_methodE3ELS4_3ELS4_3ELNS0_20block_scan_algorithmE0ELj4294967295EEENS1_25partition_config_selectorILNS1_17partition_subalgoE4EjNS0_10empty_typeEbEEZZNS1_14partition_implILS8_4ELb0ES6_15HIP_vector_typeIjLj2EENS0_17counting_iteratorIjlEEPS9_SG_NS0_5tupleIJPjSI_NS0_16reverse_iteratorISI_EEEEENSH_IJSG_SG_SG_EEES9_SI_JZNS1_25segmented_radix_sort_implINS0_14default_configELb1EPK12hip_bfloat16PSP_PKlPlN2at6native12_GLOBAL__N_18offset_tEEE10hipError_tPvRmT1_PNSt15iterator_traitsIS13_E10value_typeET2_T3_PNS14_IS19_E10value_typeET4_jRbjT5_S1F_jjP12ihipStream_tbEUljE_ZNSN_ISO_Lb1ESR_SS_SU_SV_SZ_EES10_S11_S12_S13_S17_S18_S19_S1C_S1D_jS1E_jS1F_S1F_jjS1H_bEUljE0_EEES10_S11_S12_S19_S1D_S1F_T6_T7_T9_mT8_S1H_bDpT10_ENKUlT_T0_E_clISt17integral_constantIbLb0EES1V_EEDaS1Q_S1R_EUlS1Q_E_NS1_11comp_targetILNS1_3genE5ELNS1_11target_archE942ELNS1_3gpuE9ELNS1_3repE0EEENS1_30default_config_static_selectorELNS0_4arch9wavefront6targetE1EEEvS13_
		.amdhsa_group_segment_fixed_size 0
		.amdhsa_private_segment_fixed_size 0
		.amdhsa_kernarg_size 176
		.amdhsa_user_sgpr_count 6
		.amdhsa_user_sgpr_private_segment_buffer 1
		.amdhsa_user_sgpr_dispatch_ptr 0
		.amdhsa_user_sgpr_queue_ptr 0
		.amdhsa_user_sgpr_kernarg_segment_ptr 1
		.amdhsa_user_sgpr_dispatch_id 0
		.amdhsa_user_sgpr_flat_scratch_init 0
		.amdhsa_user_sgpr_private_segment_size 0
		.amdhsa_uses_dynamic_stack 0
		.amdhsa_system_sgpr_private_segment_wavefront_offset 0
		.amdhsa_system_sgpr_workgroup_id_x 1
		.amdhsa_system_sgpr_workgroup_id_y 0
		.amdhsa_system_sgpr_workgroup_id_z 0
		.amdhsa_system_sgpr_workgroup_info 0
		.amdhsa_system_vgpr_workitem_id 0
		.amdhsa_next_free_vgpr 1
		.amdhsa_next_free_sgpr 0
		.amdhsa_reserve_vcc 0
		.amdhsa_reserve_flat_scratch 0
		.amdhsa_float_round_mode_32 0
		.amdhsa_float_round_mode_16_64 0
		.amdhsa_float_denorm_mode_32 3
		.amdhsa_float_denorm_mode_16_64 3
		.amdhsa_dx10_clamp 1
		.amdhsa_ieee_mode 1
		.amdhsa_fp16_overflow 0
		.amdhsa_exception_fp_ieee_invalid_op 0
		.amdhsa_exception_fp_denorm_src 0
		.amdhsa_exception_fp_ieee_div_zero 0
		.amdhsa_exception_fp_ieee_overflow 0
		.amdhsa_exception_fp_ieee_underflow 0
		.amdhsa_exception_fp_ieee_inexact 0
		.amdhsa_exception_int_div_zero 0
	.end_amdhsa_kernel
	.section	.text._ZN7rocprim17ROCPRIM_400000_NS6detail17trampoline_kernelINS0_13select_configILj256ELj13ELNS0_17block_load_methodE3ELS4_3ELS4_3ELNS0_20block_scan_algorithmE0ELj4294967295EEENS1_25partition_config_selectorILNS1_17partition_subalgoE4EjNS0_10empty_typeEbEEZZNS1_14partition_implILS8_4ELb0ES6_15HIP_vector_typeIjLj2EENS0_17counting_iteratorIjlEEPS9_SG_NS0_5tupleIJPjSI_NS0_16reverse_iteratorISI_EEEEENSH_IJSG_SG_SG_EEES9_SI_JZNS1_25segmented_radix_sort_implINS0_14default_configELb1EPK12hip_bfloat16PSP_PKlPlN2at6native12_GLOBAL__N_18offset_tEEE10hipError_tPvRmT1_PNSt15iterator_traitsIS13_E10value_typeET2_T3_PNS14_IS19_E10value_typeET4_jRbjT5_S1F_jjP12ihipStream_tbEUljE_ZNSN_ISO_Lb1ESR_SS_SU_SV_SZ_EES10_S11_S12_S13_S17_S18_S19_S1C_S1D_jS1E_jS1F_S1F_jjS1H_bEUljE0_EEES10_S11_S12_S19_S1D_S1F_T6_T7_T9_mT8_S1H_bDpT10_ENKUlT_T0_E_clISt17integral_constantIbLb0EES1V_EEDaS1Q_S1R_EUlS1Q_E_NS1_11comp_targetILNS1_3genE5ELNS1_11target_archE942ELNS1_3gpuE9ELNS1_3repE0EEENS1_30default_config_static_selectorELNS0_4arch9wavefront6targetE1EEEvS13_,"axG",@progbits,_ZN7rocprim17ROCPRIM_400000_NS6detail17trampoline_kernelINS0_13select_configILj256ELj13ELNS0_17block_load_methodE3ELS4_3ELS4_3ELNS0_20block_scan_algorithmE0ELj4294967295EEENS1_25partition_config_selectorILNS1_17partition_subalgoE4EjNS0_10empty_typeEbEEZZNS1_14partition_implILS8_4ELb0ES6_15HIP_vector_typeIjLj2EENS0_17counting_iteratorIjlEEPS9_SG_NS0_5tupleIJPjSI_NS0_16reverse_iteratorISI_EEEEENSH_IJSG_SG_SG_EEES9_SI_JZNS1_25segmented_radix_sort_implINS0_14default_configELb1EPK12hip_bfloat16PSP_PKlPlN2at6native12_GLOBAL__N_18offset_tEEE10hipError_tPvRmT1_PNSt15iterator_traitsIS13_E10value_typeET2_T3_PNS14_IS19_E10value_typeET4_jRbjT5_S1F_jjP12ihipStream_tbEUljE_ZNSN_ISO_Lb1ESR_SS_SU_SV_SZ_EES10_S11_S12_S13_S17_S18_S19_S1C_S1D_jS1E_jS1F_S1F_jjS1H_bEUljE0_EEES10_S11_S12_S19_S1D_S1F_T6_T7_T9_mT8_S1H_bDpT10_ENKUlT_T0_E_clISt17integral_constantIbLb0EES1V_EEDaS1Q_S1R_EUlS1Q_E_NS1_11comp_targetILNS1_3genE5ELNS1_11target_archE942ELNS1_3gpuE9ELNS1_3repE0EEENS1_30default_config_static_selectorELNS0_4arch9wavefront6targetE1EEEvS13_,comdat
.Lfunc_end1883:
	.size	_ZN7rocprim17ROCPRIM_400000_NS6detail17trampoline_kernelINS0_13select_configILj256ELj13ELNS0_17block_load_methodE3ELS4_3ELS4_3ELNS0_20block_scan_algorithmE0ELj4294967295EEENS1_25partition_config_selectorILNS1_17partition_subalgoE4EjNS0_10empty_typeEbEEZZNS1_14partition_implILS8_4ELb0ES6_15HIP_vector_typeIjLj2EENS0_17counting_iteratorIjlEEPS9_SG_NS0_5tupleIJPjSI_NS0_16reverse_iteratorISI_EEEEENSH_IJSG_SG_SG_EEES9_SI_JZNS1_25segmented_radix_sort_implINS0_14default_configELb1EPK12hip_bfloat16PSP_PKlPlN2at6native12_GLOBAL__N_18offset_tEEE10hipError_tPvRmT1_PNSt15iterator_traitsIS13_E10value_typeET2_T3_PNS14_IS19_E10value_typeET4_jRbjT5_S1F_jjP12ihipStream_tbEUljE_ZNSN_ISO_Lb1ESR_SS_SU_SV_SZ_EES10_S11_S12_S13_S17_S18_S19_S1C_S1D_jS1E_jS1F_S1F_jjS1H_bEUljE0_EEES10_S11_S12_S19_S1D_S1F_T6_T7_T9_mT8_S1H_bDpT10_ENKUlT_T0_E_clISt17integral_constantIbLb0EES1V_EEDaS1Q_S1R_EUlS1Q_E_NS1_11comp_targetILNS1_3genE5ELNS1_11target_archE942ELNS1_3gpuE9ELNS1_3repE0EEENS1_30default_config_static_selectorELNS0_4arch9wavefront6targetE1EEEvS13_, .Lfunc_end1883-_ZN7rocprim17ROCPRIM_400000_NS6detail17trampoline_kernelINS0_13select_configILj256ELj13ELNS0_17block_load_methodE3ELS4_3ELS4_3ELNS0_20block_scan_algorithmE0ELj4294967295EEENS1_25partition_config_selectorILNS1_17partition_subalgoE4EjNS0_10empty_typeEbEEZZNS1_14partition_implILS8_4ELb0ES6_15HIP_vector_typeIjLj2EENS0_17counting_iteratorIjlEEPS9_SG_NS0_5tupleIJPjSI_NS0_16reverse_iteratorISI_EEEEENSH_IJSG_SG_SG_EEES9_SI_JZNS1_25segmented_radix_sort_implINS0_14default_configELb1EPK12hip_bfloat16PSP_PKlPlN2at6native12_GLOBAL__N_18offset_tEEE10hipError_tPvRmT1_PNSt15iterator_traitsIS13_E10value_typeET2_T3_PNS14_IS19_E10value_typeET4_jRbjT5_S1F_jjP12ihipStream_tbEUljE_ZNSN_ISO_Lb1ESR_SS_SU_SV_SZ_EES10_S11_S12_S13_S17_S18_S19_S1C_S1D_jS1E_jS1F_S1F_jjS1H_bEUljE0_EEES10_S11_S12_S19_S1D_S1F_T6_T7_T9_mT8_S1H_bDpT10_ENKUlT_T0_E_clISt17integral_constantIbLb0EES1V_EEDaS1Q_S1R_EUlS1Q_E_NS1_11comp_targetILNS1_3genE5ELNS1_11target_archE942ELNS1_3gpuE9ELNS1_3repE0EEENS1_30default_config_static_selectorELNS0_4arch9wavefront6targetE1EEEvS13_
                                        ; -- End function
	.set _ZN7rocprim17ROCPRIM_400000_NS6detail17trampoline_kernelINS0_13select_configILj256ELj13ELNS0_17block_load_methodE3ELS4_3ELS4_3ELNS0_20block_scan_algorithmE0ELj4294967295EEENS1_25partition_config_selectorILNS1_17partition_subalgoE4EjNS0_10empty_typeEbEEZZNS1_14partition_implILS8_4ELb0ES6_15HIP_vector_typeIjLj2EENS0_17counting_iteratorIjlEEPS9_SG_NS0_5tupleIJPjSI_NS0_16reverse_iteratorISI_EEEEENSH_IJSG_SG_SG_EEES9_SI_JZNS1_25segmented_radix_sort_implINS0_14default_configELb1EPK12hip_bfloat16PSP_PKlPlN2at6native12_GLOBAL__N_18offset_tEEE10hipError_tPvRmT1_PNSt15iterator_traitsIS13_E10value_typeET2_T3_PNS14_IS19_E10value_typeET4_jRbjT5_S1F_jjP12ihipStream_tbEUljE_ZNSN_ISO_Lb1ESR_SS_SU_SV_SZ_EES10_S11_S12_S13_S17_S18_S19_S1C_S1D_jS1E_jS1F_S1F_jjS1H_bEUljE0_EEES10_S11_S12_S19_S1D_S1F_T6_T7_T9_mT8_S1H_bDpT10_ENKUlT_T0_E_clISt17integral_constantIbLb0EES1V_EEDaS1Q_S1R_EUlS1Q_E_NS1_11comp_targetILNS1_3genE5ELNS1_11target_archE942ELNS1_3gpuE9ELNS1_3repE0EEENS1_30default_config_static_selectorELNS0_4arch9wavefront6targetE1EEEvS13_.num_vgpr, 0
	.set _ZN7rocprim17ROCPRIM_400000_NS6detail17trampoline_kernelINS0_13select_configILj256ELj13ELNS0_17block_load_methodE3ELS4_3ELS4_3ELNS0_20block_scan_algorithmE0ELj4294967295EEENS1_25partition_config_selectorILNS1_17partition_subalgoE4EjNS0_10empty_typeEbEEZZNS1_14partition_implILS8_4ELb0ES6_15HIP_vector_typeIjLj2EENS0_17counting_iteratorIjlEEPS9_SG_NS0_5tupleIJPjSI_NS0_16reverse_iteratorISI_EEEEENSH_IJSG_SG_SG_EEES9_SI_JZNS1_25segmented_radix_sort_implINS0_14default_configELb1EPK12hip_bfloat16PSP_PKlPlN2at6native12_GLOBAL__N_18offset_tEEE10hipError_tPvRmT1_PNSt15iterator_traitsIS13_E10value_typeET2_T3_PNS14_IS19_E10value_typeET4_jRbjT5_S1F_jjP12ihipStream_tbEUljE_ZNSN_ISO_Lb1ESR_SS_SU_SV_SZ_EES10_S11_S12_S13_S17_S18_S19_S1C_S1D_jS1E_jS1F_S1F_jjS1H_bEUljE0_EEES10_S11_S12_S19_S1D_S1F_T6_T7_T9_mT8_S1H_bDpT10_ENKUlT_T0_E_clISt17integral_constantIbLb0EES1V_EEDaS1Q_S1R_EUlS1Q_E_NS1_11comp_targetILNS1_3genE5ELNS1_11target_archE942ELNS1_3gpuE9ELNS1_3repE0EEENS1_30default_config_static_selectorELNS0_4arch9wavefront6targetE1EEEvS13_.num_agpr, 0
	.set _ZN7rocprim17ROCPRIM_400000_NS6detail17trampoline_kernelINS0_13select_configILj256ELj13ELNS0_17block_load_methodE3ELS4_3ELS4_3ELNS0_20block_scan_algorithmE0ELj4294967295EEENS1_25partition_config_selectorILNS1_17partition_subalgoE4EjNS0_10empty_typeEbEEZZNS1_14partition_implILS8_4ELb0ES6_15HIP_vector_typeIjLj2EENS0_17counting_iteratorIjlEEPS9_SG_NS0_5tupleIJPjSI_NS0_16reverse_iteratorISI_EEEEENSH_IJSG_SG_SG_EEES9_SI_JZNS1_25segmented_radix_sort_implINS0_14default_configELb1EPK12hip_bfloat16PSP_PKlPlN2at6native12_GLOBAL__N_18offset_tEEE10hipError_tPvRmT1_PNSt15iterator_traitsIS13_E10value_typeET2_T3_PNS14_IS19_E10value_typeET4_jRbjT5_S1F_jjP12ihipStream_tbEUljE_ZNSN_ISO_Lb1ESR_SS_SU_SV_SZ_EES10_S11_S12_S13_S17_S18_S19_S1C_S1D_jS1E_jS1F_S1F_jjS1H_bEUljE0_EEES10_S11_S12_S19_S1D_S1F_T6_T7_T9_mT8_S1H_bDpT10_ENKUlT_T0_E_clISt17integral_constantIbLb0EES1V_EEDaS1Q_S1R_EUlS1Q_E_NS1_11comp_targetILNS1_3genE5ELNS1_11target_archE942ELNS1_3gpuE9ELNS1_3repE0EEENS1_30default_config_static_selectorELNS0_4arch9wavefront6targetE1EEEvS13_.numbered_sgpr, 0
	.set _ZN7rocprim17ROCPRIM_400000_NS6detail17trampoline_kernelINS0_13select_configILj256ELj13ELNS0_17block_load_methodE3ELS4_3ELS4_3ELNS0_20block_scan_algorithmE0ELj4294967295EEENS1_25partition_config_selectorILNS1_17partition_subalgoE4EjNS0_10empty_typeEbEEZZNS1_14partition_implILS8_4ELb0ES6_15HIP_vector_typeIjLj2EENS0_17counting_iteratorIjlEEPS9_SG_NS0_5tupleIJPjSI_NS0_16reverse_iteratorISI_EEEEENSH_IJSG_SG_SG_EEES9_SI_JZNS1_25segmented_radix_sort_implINS0_14default_configELb1EPK12hip_bfloat16PSP_PKlPlN2at6native12_GLOBAL__N_18offset_tEEE10hipError_tPvRmT1_PNSt15iterator_traitsIS13_E10value_typeET2_T3_PNS14_IS19_E10value_typeET4_jRbjT5_S1F_jjP12ihipStream_tbEUljE_ZNSN_ISO_Lb1ESR_SS_SU_SV_SZ_EES10_S11_S12_S13_S17_S18_S19_S1C_S1D_jS1E_jS1F_S1F_jjS1H_bEUljE0_EEES10_S11_S12_S19_S1D_S1F_T6_T7_T9_mT8_S1H_bDpT10_ENKUlT_T0_E_clISt17integral_constantIbLb0EES1V_EEDaS1Q_S1R_EUlS1Q_E_NS1_11comp_targetILNS1_3genE5ELNS1_11target_archE942ELNS1_3gpuE9ELNS1_3repE0EEENS1_30default_config_static_selectorELNS0_4arch9wavefront6targetE1EEEvS13_.num_named_barrier, 0
	.set _ZN7rocprim17ROCPRIM_400000_NS6detail17trampoline_kernelINS0_13select_configILj256ELj13ELNS0_17block_load_methodE3ELS4_3ELS4_3ELNS0_20block_scan_algorithmE0ELj4294967295EEENS1_25partition_config_selectorILNS1_17partition_subalgoE4EjNS0_10empty_typeEbEEZZNS1_14partition_implILS8_4ELb0ES6_15HIP_vector_typeIjLj2EENS0_17counting_iteratorIjlEEPS9_SG_NS0_5tupleIJPjSI_NS0_16reverse_iteratorISI_EEEEENSH_IJSG_SG_SG_EEES9_SI_JZNS1_25segmented_radix_sort_implINS0_14default_configELb1EPK12hip_bfloat16PSP_PKlPlN2at6native12_GLOBAL__N_18offset_tEEE10hipError_tPvRmT1_PNSt15iterator_traitsIS13_E10value_typeET2_T3_PNS14_IS19_E10value_typeET4_jRbjT5_S1F_jjP12ihipStream_tbEUljE_ZNSN_ISO_Lb1ESR_SS_SU_SV_SZ_EES10_S11_S12_S13_S17_S18_S19_S1C_S1D_jS1E_jS1F_S1F_jjS1H_bEUljE0_EEES10_S11_S12_S19_S1D_S1F_T6_T7_T9_mT8_S1H_bDpT10_ENKUlT_T0_E_clISt17integral_constantIbLb0EES1V_EEDaS1Q_S1R_EUlS1Q_E_NS1_11comp_targetILNS1_3genE5ELNS1_11target_archE942ELNS1_3gpuE9ELNS1_3repE0EEENS1_30default_config_static_selectorELNS0_4arch9wavefront6targetE1EEEvS13_.private_seg_size, 0
	.set _ZN7rocprim17ROCPRIM_400000_NS6detail17trampoline_kernelINS0_13select_configILj256ELj13ELNS0_17block_load_methodE3ELS4_3ELS4_3ELNS0_20block_scan_algorithmE0ELj4294967295EEENS1_25partition_config_selectorILNS1_17partition_subalgoE4EjNS0_10empty_typeEbEEZZNS1_14partition_implILS8_4ELb0ES6_15HIP_vector_typeIjLj2EENS0_17counting_iteratorIjlEEPS9_SG_NS0_5tupleIJPjSI_NS0_16reverse_iteratorISI_EEEEENSH_IJSG_SG_SG_EEES9_SI_JZNS1_25segmented_radix_sort_implINS0_14default_configELb1EPK12hip_bfloat16PSP_PKlPlN2at6native12_GLOBAL__N_18offset_tEEE10hipError_tPvRmT1_PNSt15iterator_traitsIS13_E10value_typeET2_T3_PNS14_IS19_E10value_typeET4_jRbjT5_S1F_jjP12ihipStream_tbEUljE_ZNSN_ISO_Lb1ESR_SS_SU_SV_SZ_EES10_S11_S12_S13_S17_S18_S19_S1C_S1D_jS1E_jS1F_S1F_jjS1H_bEUljE0_EEES10_S11_S12_S19_S1D_S1F_T6_T7_T9_mT8_S1H_bDpT10_ENKUlT_T0_E_clISt17integral_constantIbLb0EES1V_EEDaS1Q_S1R_EUlS1Q_E_NS1_11comp_targetILNS1_3genE5ELNS1_11target_archE942ELNS1_3gpuE9ELNS1_3repE0EEENS1_30default_config_static_selectorELNS0_4arch9wavefront6targetE1EEEvS13_.uses_vcc, 0
	.set _ZN7rocprim17ROCPRIM_400000_NS6detail17trampoline_kernelINS0_13select_configILj256ELj13ELNS0_17block_load_methodE3ELS4_3ELS4_3ELNS0_20block_scan_algorithmE0ELj4294967295EEENS1_25partition_config_selectorILNS1_17partition_subalgoE4EjNS0_10empty_typeEbEEZZNS1_14partition_implILS8_4ELb0ES6_15HIP_vector_typeIjLj2EENS0_17counting_iteratorIjlEEPS9_SG_NS0_5tupleIJPjSI_NS0_16reverse_iteratorISI_EEEEENSH_IJSG_SG_SG_EEES9_SI_JZNS1_25segmented_radix_sort_implINS0_14default_configELb1EPK12hip_bfloat16PSP_PKlPlN2at6native12_GLOBAL__N_18offset_tEEE10hipError_tPvRmT1_PNSt15iterator_traitsIS13_E10value_typeET2_T3_PNS14_IS19_E10value_typeET4_jRbjT5_S1F_jjP12ihipStream_tbEUljE_ZNSN_ISO_Lb1ESR_SS_SU_SV_SZ_EES10_S11_S12_S13_S17_S18_S19_S1C_S1D_jS1E_jS1F_S1F_jjS1H_bEUljE0_EEES10_S11_S12_S19_S1D_S1F_T6_T7_T9_mT8_S1H_bDpT10_ENKUlT_T0_E_clISt17integral_constantIbLb0EES1V_EEDaS1Q_S1R_EUlS1Q_E_NS1_11comp_targetILNS1_3genE5ELNS1_11target_archE942ELNS1_3gpuE9ELNS1_3repE0EEENS1_30default_config_static_selectorELNS0_4arch9wavefront6targetE1EEEvS13_.uses_flat_scratch, 0
	.set _ZN7rocprim17ROCPRIM_400000_NS6detail17trampoline_kernelINS0_13select_configILj256ELj13ELNS0_17block_load_methodE3ELS4_3ELS4_3ELNS0_20block_scan_algorithmE0ELj4294967295EEENS1_25partition_config_selectorILNS1_17partition_subalgoE4EjNS0_10empty_typeEbEEZZNS1_14partition_implILS8_4ELb0ES6_15HIP_vector_typeIjLj2EENS0_17counting_iteratorIjlEEPS9_SG_NS0_5tupleIJPjSI_NS0_16reverse_iteratorISI_EEEEENSH_IJSG_SG_SG_EEES9_SI_JZNS1_25segmented_radix_sort_implINS0_14default_configELb1EPK12hip_bfloat16PSP_PKlPlN2at6native12_GLOBAL__N_18offset_tEEE10hipError_tPvRmT1_PNSt15iterator_traitsIS13_E10value_typeET2_T3_PNS14_IS19_E10value_typeET4_jRbjT5_S1F_jjP12ihipStream_tbEUljE_ZNSN_ISO_Lb1ESR_SS_SU_SV_SZ_EES10_S11_S12_S13_S17_S18_S19_S1C_S1D_jS1E_jS1F_S1F_jjS1H_bEUljE0_EEES10_S11_S12_S19_S1D_S1F_T6_T7_T9_mT8_S1H_bDpT10_ENKUlT_T0_E_clISt17integral_constantIbLb0EES1V_EEDaS1Q_S1R_EUlS1Q_E_NS1_11comp_targetILNS1_3genE5ELNS1_11target_archE942ELNS1_3gpuE9ELNS1_3repE0EEENS1_30default_config_static_selectorELNS0_4arch9wavefront6targetE1EEEvS13_.has_dyn_sized_stack, 0
	.set _ZN7rocprim17ROCPRIM_400000_NS6detail17trampoline_kernelINS0_13select_configILj256ELj13ELNS0_17block_load_methodE3ELS4_3ELS4_3ELNS0_20block_scan_algorithmE0ELj4294967295EEENS1_25partition_config_selectorILNS1_17partition_subalgoE4EjNS0_10empty_typeEbEEZZNS1_14partition_implILS8_4ELb0ES6_15HIP_vector_typeIjLj2EENS0_17counting_iteratorIjlEEPS9_SG_NS0_5tupleIJPjSI_NS0_16reverse_iteratorISI_EEEEENSH_IJSG_SG_SG_EEES9_SI_JZNS1_25segmented_radix_sort_implINS0_14default_configELb1EPK12hip_bfloat16PSP_PKlPlN2at6native12_GLOBAL__N_18offset_tEEE10hipError_tPvRmT1_PNSt15iterator_traitsIS13_E10value_typeET2_T3_PNS14_IS19_E10value_typeET4_jRbjT5_S1F_jjP12ihipStream_tbEUljE_ZNSN_ISO_Lb1ESR_SS_SU_SV_SZ_EES10_S11_S12_S13_S17_S18_S19_S1C_S1D_jS1E_jS1F_S1F_jjS1H_bEUljE0_EEES10_S11_S12_S19_S1D_S1F_T6_T7_T9_mT8_S1H_bDpT10_ENKUlT_T0_E_clISt17integral_constantIbLb0EES1V_EEDaS1Q_S1R_EUlS1Q_E_NS1_11comp_targetILNS1_3genE5ELNS1_11target_archE942ELNS1_3gpuE9ELNS1_3repE0EEENS1_30default_config_static_selectorELNS0_4arch9wavefront6targetE1EEEvS13_.has_recursion, 0
	.set _ZN7rocprim17ROCPRIM_400000_NS6detail17trampoline_kernelINS0_13select_configILj256ELj13ELNS0_17block_load_methodE3ELS4_3ELS4_3ELNS0_20block_scan_algorithmE0ELj4294967295EEENS1_25partition_config_selectorILNS1_17partition_subalgoE4EjNS0_10empty_typeEbEEZZNS1_14partition_implILS8_4ELb0ES6_15HIP_vector_typeIjLj2EENS0_17counting_iteratorIjlEEPS9_SG_NS0_5tupleIJPjSI_NS0_16reverse_iteratorISI_EEEEENSH_IJSG_SG_SG_EEES9_SI_JZNS1_25segmented_radix_sort_implINS0_14default_configELb1EPK12hip_bfloat16PSP_PKlPlN2at6native12_GLOBAL__N_18offset_tEEE10hipError_tPvRmT1_PNSt15iterator_traitsIS13_E10value_typeET2_T3_PNS14_IS19_E10value_typeET4_jRbjT5_S1F_jjP12ihipStream_tbEUljE_ZNSN_ISO_Lb1ESR_SS_SU_SV_SZ_EES10_S11_S12_S13_S17_S18_S19_S1C_S1D_jS1E_jS1F_S1F_jjS1H_bEUljE0_EEES10_S11_S12_S19_S1D_S1F_T6_T7_T9_mT8_S1H_bDpT10_ENKUlT_T0_E_clISt17integral_constantIbLb0EES1V_EEDaS1Q_S1R_EUlS1Q_E_NS1_11comp_targetILNS1_3genE5ELNS1_11target_archE942ELNS1_3gpuE9ELNS1_3repE0EEENS1_30default_config_static_selectorELNS0_4arch9wavefront6targetE1EEEvS13_.has_indirect_call, 0
	.section	.AMDGPU.csdata,"",@progbits
; Kernel info:
; codeLenInByte = 0
; TotalNumSgprs: 4
; NumVgprs: 0
; ScratchSize: 0
; MemoryBound: 0
; FloatMode: 240
; IeeeMode: 1
; LDSByteSize: 0 bytes/workgroup (compile time only)
; SGPRBlocks: 0
; VGPRBlocks: 0
; NumSGPRsForWavesPerEU: 4
; NumVGPRsForWavesPerEU: 1
; Occupancy: 10
; WaveLimiterHint : 0
; COMPUTE_PGM_RSRC2:SCRATCH_EN: 0
; COMPUTE_PGM_RSRC2:USER_SGPR: 6
; COMPUTE_PGM_RSRC2:TRAP_HANDLER: 0
; COMPUTE_PGM_RSRC2:TGID_X_EN: 1
; COMPUTE_PGM_RSRC2:TGID_Y_EN: 0
; COMPUTE_PGM_RSRC2:TGID_Z_EN: 0
; COMPUTE_PGM_RSRC2:TIDIG_COMP_CNT: 0
	.section	.text._ZN7rocprim17ROCPRIM_400000_NS6detail17trampoline_kernelINS0_13select_configILj256ELj13ELNS0_17block_load_methodE3ELS4_3ELS4_3ELNS0_20block_scan_algorithmE0ELj4294967295EEENS1_25partition_config_selectorILNS1_17partition_subalgoE4EjNS0_10empty_typeEbEEZZNS1_14partition_implILS8_4ELb0ES6_15HIP_vector_typeIjLj2EENS0_17counting_iteratorIjlEEPS9_SG_NS0_5tupleIJPjSI_NS0_16reverse_iteratorISI_EEEEENSH_IJSG_SG_SG_EEES9_SI_JZNS1_25segmented_radix_sort_implINS0_14default_configELb1EPK12hip_bfloat16PSP_PKlPlN2at6native12_GLOBAL__N_18offset_tEEE10hipError_tPvRmT1_PNSt15iterator_traitsIS13_E10value_typeET2_T3_PNS14_IS19_E10value_typeET4_jRbjT5_S1F_jjP12ihipStream_tbEUljE_ZNSN_ISO_Lb1ESR_SS_SU_SV_SZ_EES10_S11_S12_S13_S17_S18_S19_S1C_S1D_jS1E_jS1F_S1F_jjS1H_bEUljE0_EEES10_S11_S12_S19_S1D_S1F_T6_T7_T9_mT8_S1H_bDpT10_ENKUlT_T0_E_clISt17integral_constantIbLb0EES1V_EEDaS1Q_S1R_EUlS1Q_E_NS1_11comp_targetILNS1_3genE4ELNS1_11target_archE910ELNS1_3gpuE8ELNS1_3repE0EEENS1_30default_config_static_selectorELNS0_4arch9wavefront6targetE1EEEvS13_,"axG",@progbits,_ZN7rocprim17ROCPRIM_400000_NS6detail17trampoline_kernelINS0_13select_configILj256ELj13ELNS0_17block_load_methodE3ELS4_3ELS4_3ELNS0_20block_scan_algorithmE0ELj4294967295EEENS1_25partition_config_selectorILNS1_17partition_subalgoE4EjNS0_10empty_typeEbEEZZNS1_14partition_implILS8_4ELb0ES6_15HIP_vector_typeIjLj2EENS0_17counting_iteratorIjlEEPS9_SG_NS0_5tupleIJPjSI_NS0_16reverse_iteratorISI_EEEEENSH_IJSG_SG_SG_EEES9_SI_JZNS1_25segmented_radix_sort_implINS0_14default_configELb1EPK12hip_bfloat16PSP_PKlPlN2at6native12_GLOBAL__N_18offset_tEEE10hipError_tPvRmT1_PNSt15iterator_traitsIS13_E10value_typeET2_T3_PNS14_IS19_E10value_typeET4_jRbjT5_S1F_jjP12ihipStream_tbEUljE_ZNSN_ISO_Lb1ESR_SS_SU_SV_SZ_EES10_S11_S12_S13_S17_S18_S19_S1C_S1D_jS1E_jS1F_S1F_jjS1H_bEUljE0_EEES10_S11_S12_S19_S1D_S1F_T6_T7_T9_mT8_S1H_bDpT10_ENKUlT_T0_E_clISt17integral_constantIbLb0EES1V_EEDaS1Q_S1R_EUlS1Q_E_NS1_11comp_targetILNS1_3genE4ELNS1_11target_archE910ELNS1_3gpuE8ELNS1_3repE0EEENS1_30default_config_static_selectorELNS0_4arch9wavefront6targetE1EEEvS13_,comdat
	.globl	_ZN7rocprim17ROCPRIM_400000_NS6detail17trampoline_kernelINS0_13select_configILj256ELj13ELNS0_17block_load_methodE3ELS4_3ELS4_3ELNS0_20block_scan_algorithmE0ELj4294967295EEENS1_25partition_config_selectorILNS1_17partition_subalgoE4EjNS0_10empty_typeEbEEZZNS1_14partition_implILS8_4ELb0ES6_15HIP_vector_typeIjLj2EENS0_17counting_iteratorIjlEEPS9_SG_NS0_5tupleIJPjSI_NS0_16reverse_iteratorISI_EEEEENSH_IJSG_SG_SG_EEES9_SI_JZNS1_25segmented_radix_sort_implINS0_14default_configELb1EPK12hip_bfloat16PSP_PKlPlN2at6native12_GLOBAL__N_18offset_tEEE10hipError_tPvRmT1_PNSt15iterator_traitsIS13_E10value_typeET2_T3_PNS14_IS19_E10value_typeET4_jRbjT5_S1F_jjP12ihipStream_tbEUljE_ZNSN_ISO_Lb1ESR_SS_SU_SV_SZ_EES10_S11_S12_S13_S17_S18_S19_S1C_S1D_jS1E_jS1F_S1F_jjS1H_bEUljE0_EEES10_S11_S12_S19_S1D_S1F_T6_T7_T9_mT8_S1H_bDpT10_ENKUlT_T0_E_clISt17integral_constantIbLb0EES1V_EEDaS1Q_S1R_EUlS1Q_E_NS1_11comp_targetILNS1_3genE4ELNS1_11target_archE910ELNS1_3gpuE8ELNS1_3repE0EEENS1_30default_config_static_selectorELNS0_4arch9wavefront6targetE1EEEvS13_ ; -- Begin function _ZN7rocprim17ROCPRIM_400000_NS6detail17trampoline_kernelINS0_13select_configILj256ELj13ELNS0_17block_load_methodE3ELS4_3ELS4_3ELNS0_20block_scan_algorithmE0ELj4294967295EEENS1_25partition_config_selectorILNS1_17partition_subalgoE4EjNS0_10empty_typeEbEEZZNS1_14partition_implILS8_4ELb0ES6_15HIP_vector_typeIjLj2EENS0_17counting_iteratorIjlEEPS9_SG_NS0_5tupleIJPjSI_NS0_16reverse_iteratorISI_EEEEENSH_IJSG_SG_SG_EEES9_SI_JZNS1_25segmented_radix_sort_implINS0_14default_configELb1EPK12hip_bfloat16PSP_PKlPlN2at6native12_GLOBAL__N_18offset_tEEE10hipError_tPvRmT1_PNSt15iterator_traitsIS13_E10value_typeET2_T3_PNS14_IS19_E10value_typeET4_jRbjT5_S1F_jjP12ihipStream_tbEUljE_ZNSN_ISO_Lb1ESR_SS_SU_SV_SZ_EES10_S11_S12_S13_S17_S18_S19_S1C_S1D_jS1E_jS1F_S1F_jjS1H_bEUljE0_EEES10_S11_S12_S19_S1D_S1F_T6_T7_T9_mT8_S1H_bDpT10_ENKUlT_T0_E_clISt17integral_constantIbLb0EES1V_EEDaS1Q_S1R_EUlS1Q_E_NS1_11comp_targetILNS1_3genE4ELNS1_11target_archE910ELNS1_3gpuE8ELNS1_3repE0EEENS1_30default_config_static_selectorELNS0_4arch9wavefront6targetE1EEEvS13_
	.p2align	8
	.type	_ZN7rocprim17ROCPRIM_400000_NS6detail17trampoline_kernelINS0_13select_configILj256ELj13ELNS0_17block_load_methodE3ELS4_3ELS4_3ELNS0_20block_scan_algorithmE0ELj4294967295EEENS1_25partition_config_selectorILNS1_17partition_subalgoE4EjNS0_10empty_typeEbEEZZNS1_14partition_implILS8_4ELb0ES6_15HIP_vector_typeIjLj2EENS0_17counting_iteratorIjlEEPS9_SG_NS0_5tupleIJPjSI_NS0_16reverse_iteratorISI_EEEEENSH_IJSG_SG_SG_EEES9_SI_JZNS1_25segmented_radix_sort_implINS0_14default_configELb1EPK12hip_bfloat16PSP_PKlPlN2at6native12_GLOBAL__N_18offset_tEEE10hipError_tPvRmT1_PNSt15iterator_traitsIS13_E10value_typeET2_T3_PNS14_IS19_E10value_typeET4_jRbjT5_S1F_jjP12ihipStream_tbEUljE_ZNSN_ISO_Lb1ESR_SS_SU_SV_SZ_EES10_S11_S12_S13_S17_S18_S19_S1C_S1D_jS1E_jS1F_S1F_jjS1H_bEUljE0_EEES10_S11_S12_S19_S1D_S1F_T6_T7_T9_mT8_S1H_bDpT10_ENKUlT_T0_E_clISt17integral_constantIbLb0EES1V_EEDaS1Q_S1R_EUlS1Q_E_NS1_11comp_targetILNS1_3genE4ELNS1_11target_archE910ELNS1_3gpuE8ELNS1_3repE0EEENS1_30default_config_static_selectorELNS0_4arch9wavefront6targetE1EEEvS13_,@function
_ZN7rocprim17ROCPRIM_400000_NS6detail17trampoline_kernelINS0_13select_configILj256ELj13ELNS0_17block_load_methodE3ELS4_3ELS4_3ELNS0_20block_scan_algorithmE0ELj4294967295EEENS1_25partition_config_selectorILNS1_17partition_subalgoE4EjNS0_10empty_typeEbEEZZNS1_14partition_implILS8_4ELb0ES6_15HIP_vector_typeIjLj2EENS0_17counting_iteratorIjlEEPS9_SG_NS0_5tupleIJPjSI_NS0_16reverse_iteratorISI_EEEEENSH_IJSG_SG_SG_EEES9_SI_JZNS1_25segmented_radix_sort_implINS0_14default_configELb1EPK12hip_bfloat16PSP_PKlPlN2at6native12_GLOBAL__N_18offset_tEEE10hipError_tPvRmT1_PNSt15iterator_traitsIS13_E10value_typeET2_T3_PNS14_IS19_E10value_typeET4_jRbjT5_S1F_jjP12ihipStream_tbEUljE_ZNSN_ISO_Lb1ESR_SS_SU_SV_SZ_EES10_S11_S12_S13_S17_S18_S19_S1C_S1D_jS1E_jS1F_S1F_jjS1H_bEUljE0_EEES10_S11_S12_S19_S1D_S1F_T6_T7_T9_mT8_S1H_bDpT10_ENKUlT_T0_E_clISt17integral_constantIbLb0EES1V_EEDaS1Q_S1R_EUlS1Q_E_NS1_11comp_targetILNS1_3genE4ELNS1_11target_archE910ELNS1_3gpuE8ELNS1_3repE0EEENS1_30default_config_static_selectorELNS0_4arch9wavefront6targetE1EEEvS13_: ; @_ZN7rocprim17ROCPRIM_400000_NS6detail17trampoline_kernelINS0_13select_configILj256ELj13ELNS0_17block_load_methodE3ELS4_3ELS4_3ELNS0_20block_scan_algorithmE0ELj4294967295EEENS1_25partition_config_selectorILNS1_17partition_subalgoE4EjNS0_10empty_typeEbEEZZNS1_14partition_implILS8_4ELb0ES6_15HIP_vector_typeIjLj2EENS0_17counting_iteratorIjlEEPS9_SG_NS0_5tupleIJPjSI_NS0_16reverse_iteratorISI_EEEEENSH_IJSG_SG_SG_EEES9_SI_JZNS1_25segmented_radix_sort_implINS0_14default_configELb1EPK12hip_bfloat16PSP_PKlPlN2at6native12_GLOBAL__N_18offset_tEEE10hipError_tPvRmT1_PNSt15iterator_traitsIS13_E10value_typeET2_T3_PNS14_IS19_E10value_typeET4_jRbjT5_S1F_jjP12ihipStream_tbEUljE_ZNSN_ISO_Lb1ESR_SS_SU_SV_SZ_EES10_S11_S12_S13_S17_S18_S19_S1C_S1D_jS1E_jS1F_S1F_jjS1H_bEUljE0_EEES10_S11_S12_S19_S1D_S1F_T6_T7_T9_mT8_S1H_bDpT10_ENKUlT_T0_E_clISt17integral_constantIbLb0EES1V_EEDaS1Q_S1R_EUlS1Q_E_NS1_11comp_targetILNS1_3genE4ELNS1_11target_archE910ELNS1_3gpuE8ELNS1_3repE0EEENS1_30default_config_static_selectorELNS0_4arch9wavefront6targetE1EEEvS13_
; %bb.0:
	.section	.rodata,"a",@progbits
	.p2align	6, 0x0
	.amdhsa_kernel _ZN7rocprim17ROCPRIM_400000_NS6detail17trampoline_kernelINS0_13select_configILj256ELj13ELNS0_17block_load_methodE3ELS4_3ELS4_3ELNS0_20block_scan_algorithmE0ELj4294967295EEENS1_25partition_config_selectorILNS1_17partition_subalgoE4EjNS0_10empty_typeEbEEZZNS1_14partition_implILS8_4ELb0ES6_15HIP_vector_typeIjLj2EENS0_17counting_iteratorIjlEEPS9_SG_NS0_5tupleIJPjSI_NS0_16reverse_iteratorISI_EEEEENSH_IJSG_SG_SG_EEES9_SI_JZNS1_25segmented_radix_sort_implINS0_14default_configELb1EPK12hip_bfloat16PSP_PKlPlN2at6native12_GLOBAL__N_18offset_tEEE10hipError_tPvRmT1_PNSt15iterator_traitsIS13_E10value_typeET2_T3_PNS14_IS19_E10value_typeET4_jRbjT5_S1F_jjP12ihipStream_tbEUljE_ZNSN_ISO_Lb1ESR_SS_SU_SV_SZ_EES10_S11_S12_S13_S17_S18_S19_S1C_S1D_jS1E_jS1F_S1F_jjS1H_bEUljE0_EEES10_S11_S12_S19_S1D_S1F_T6_T7_T9_mT8_S1H_bDpT10_ENKUlT_T0_E_clISt17integral_constantIbLb0EES1V_EEDaS1Q_S1R_EUlS1Q_E_NS1_11comp_targetILNS1_3genE4ELNS1_11target_archE910ELNS1_3gpuE8ELNS1_3repE0EEENS1_30default_config_static_selectorELNS0_4arch9wavefront6targetE1EEEvS13_
		.amdhsa_group_segment_fixed_size 0
		.amdhsa_private_segment_fixed_size 0
		.amdhsa_kernarg_size 176
		.amdhsa_user_sgpr_count 6
		.amdhsa_user_sgpr_private_segment_buffer 1
		.amdhsa_user_sgpr_dispatch_ptr 0
		.amdhsa_user_sgpr_queue_ptr 0
		.amdhsa_user_sgpr_kernarg_segment_ptr 1
		.amdhsa_user_sgpr_dispatch_id 0
		.amdhsa_user_sgpr_flat_scratch_init 0
		.amdhsa_user_sgpr_private_segment_size 0
		.amdhsa_uses_dynamic_stack 0
		.amdhsa_system_sgpr_private_segment_wavefront_offset 0
		.amdhsa_system_sgpr_workgroup_id_x 1
		.amdhsa_system_sgpr_workgroup_id_y 0
		.amdhsa_system_sgpr_workgroup_id_z 0
		.amdhsa_system_sgpr_workgroup_info 0
		.amdhsa_system_vgpr_workitem_id 0
		.amdhsa_next_free_vgpr 1
		.amdhsa_next_free_sgpr 0
		.amdhsa_reserve_vcc 0
		.amdhsa_reserve_flat_scratch 0
		.amdhsa_float_round_mode_32 0
		.amdhsa_float_round_mode_16_64 0
		.amdhsa_float_denorm_mode_32 3
		.amdhsa_float_denorm_mode_16_64 3
		.amdhsa_dx10_clamp 1
		.amdhsa_ieee_mode 1
		.amdhsa_fp16_overflow 0
		.amdhsa_exception_fp_ieee_invalid_op 0
		.amdhsa_exception_fp_denorm_src 0
		.amdhsa_exception_fp_ieee_div_zero 0
		.amdhsa_exception_fp_ieee_overflow 0
		.amdhsa_exception_fp_ieee_underflow 0
		.amdhsa_exception_fp_ieee_inexact 0
		.amdhsa_exception_int_div_zero 0
	.end_amdhsa_kernel
	.section	.text._ZN7rocprim17ROCPRIM_400000_NS6detail17trampoline_kernelINS0_13select_configILj256ELj13ELNS0_17block_load_methodE3ELS4_3ELS4_3ELNS0_20block_scan_algorithmE0ELj4294967295EEENS1_25partition_config_selectorILNS1_17partition_subalgoE4EjNS0_10empty_typeEbEEZZNS1_14partition_implILS8_4ELb0ES6_15HIP_vector_typeIjLj2EENS0_17counting_iteratorIjlEEPS9_SG_NS0_5tupleIJPjSI_NS0_16reverse_iteratorISI_EEEEENSH_IJSG_SG_SG_EEES9_SI_JZNS1_25segmented_radix_sort_implINS0_14default_configELb1EPK12hip_bfloat16PSP_PKlPlN2at6native12_GLOBAL__N_18offset_tEEE10hipError_tPvRmT1_PNSt15iterator_traitsIS13_E10value_typeET2_T3_PNS14_IS19_E10value_typeET4_jRbjT5_S1F_jjP12ihipStream_tbEUljE_ZNSN_ISO_Lb1ESR_SS_SU_SV_SZ_EES10_S11_S12_S13_S17_S18_S19_S1C_S1D_jS1E_jS1F_S1F_jjS1H_bEUljE0_EEES10_S11_S12_S19_S1D_S1F_T6_T7_T9_mT8_S1H_bDpT10_ENKUlT_T0_E_clISt17integral_constantIbLb0EES1V_EEDaS1Q_S1R_EUlS1Q_E_NS1_11comp_targetILNS1_3genE4ELNS1_11target_archE910ELNS1_3gpuE8ELNS1_3repE0EEENS1_30default_config_static_selectorELNS0_4arch9wavefront6targetE1EEEvS13_,"axG",@progbits,_ZN7rocprim17ROCPRIM_400000_NS6detail17trampoline_kernelINS0_13select_configILj256ELj13ELNS0_17block_load_methodE3ELS4_3ELS4_3ELNS0_20block_scan_algorithmE0ELj4294967295EEENS1_25partition_config_selectorILNS1_17partition_subalgoE4EjNS0_10empty_typeEbEEZZNS1_14partition_implILS8_4ELb0ES6_15HIP_vector_typeIjLj2EENS0_17counting_iteratorIjlEEPS9_SG_NS0_5tupleIJPjSI_NS0_16reverse_iteratorISI_EEEEENSH_IJSG_SG_SG_EEES9_SI_JZNS1_25segmented_radix_sort_implINS0_14default_configELb1EPK12hip_bfloat16PSP_PKlPlN2at6native12_GLOBAL__N_18offset_tEEE10hipError_tPvRmT1_PNSt15iterator_traitsIS13_E10value_typeET2_T3_PNS14_IS19_E10value_typeET4_jRbjT5_S1F_jjP12ihipStream_tbEUljE_ZNSN_ISO_Lb1ESR_SS_SU_SV_SZ_EES10_S11_S12_S13_S17_S18_S19_S1C_S1D_jS1E_jS1F_S1F_jjS1H_bEUljE0_EEES10_S11_S12_S19_S1D_S1F_T6_T7_T9_mT8_S1H_bDpT10_ENKUlT_T0_E_clISt17integral_constantIbLb0EES1V_EEDaS1Q_S1R_EUlS1Q_E_NS1_11comp_targetILNS1_3genE4ELNS1_11target_archE910ELNS1_3gpuE8ELNS1_3repE0EEENS1_30default_config_static_selectorELNS0_4arch9wavefront6targetE1EEEvS13_,comdat
.Lfunc_end1884:
	.size	_ZN7rocprim17ROCPRIM_400000_NS6detail17trampoline_kernelINS0_13select_configILj256ELj13ELNS0_17block_load_methodE3ELS4_3ELS4_3ELNS0_20block_scan_algorithmE0ELj4294967295EEENS1_25partition_config_selectorILNS1_17partition_subalgoE4EjNS0_10empty_typeEbEEZZNS1_14partition_implILS8_4ELb0ES6_15HIP_vector_typeIjLj2EENS0_17counting_iteratorIjlEEPS9_SG_NS0_5tupleIJPjSI_NS0_16reverse_iteratorISI_EEEEENSH_IJSG_SG_SG_EEES9_SI_JZNS1_25segmented_radix_sort_implINS0_14default_configELb1EPK12hip_bfloat16PSP_PKlPlN2at6native12_GLOBAL__N_18offset_tEEE10hipError_tPvRmT1_PNSt15iterator_traitsIS13_E10value_typeET2_T3_PNS14_IS19_E10value_typeET4_jRbjT5_S1F_jjP12ihipStream_tbEUljE_ZNSN_ISO_Lb1ESR_SS_SU_SV_SZ_EES10_S11_S12_S13_S17_S18_S19_S1C_S1D_jS1E_jS1F_S1F_jjS1H_bEUljE0_EEES10_S11_S12_S19_S1D_S1F_T6_T7_T9_mT8_S1H_bDpT10_ENKUlT_T0_E_clISt17integral_constantIbLb0EES1V_EEDaS1Q_S1R_EUlS1Q_E_NS1_11comp_targetILNS1_3genE4ELNS1_11target_archE910ELNS1_3gpuE8ELNS1_3repE0EEENS1_30default_config_static_selectorELNS0_4arch9wavefront6targetE1EEEvS13_, .Lfunc_end1884-_ZN7rocprim17ROCPRIM_400000_NS6detail17trampoline_kernelINS0_13select_configILj256ELj13ELNS0_17block_load_methodE3ELS4_3ELS4_3ELNS0_20block_scan_algorithmE0ELj4294967295EEENS1_25partition_config_selectorILNS1_17partition_subalgoE4EjNS0_10empty_typeEbEEZZNS1_14partition_implILS8_4ELb0ES6_15HIP_vector_typeIjLj2EENS0_17counting_iteratorIjlEEPS9_SG_NS0_5tupleIJPjSI_NS0_16reverse_iteratorISI_EEEEENSH_IJSG_SG_SG_EEES9_SI_JZNS1_25segmented_radix_sort_implINS0_14default_configELb1EPK12hip_bfloat16PSP_PKlPlN2at6native12_GLOBAL__N_18offset_tEEE10hipError_tPvRmT1_PNSt15iterator_traitsIS13_E10value_typeET2_T3_PNS14_IS19_E10value_typeET4_jRbjT5_S1F_jjP12ihipStream_tbEUljE_ZNSN_ISO_Lb1ESR_SS_SU_SV_SZ_EES10_S11_S12_S13_S17_S18_S19_S1C_S1D_jS1E_jS1F_S1F_jjS1H_bEUljE0_EEES10_S11_S12_S19_S1D_S1F_T6_T7_T9_mT8_S1H_bDpT10_ENKUlT_T0_E_clISt17integral_constantIbLb0EES1V_EEDaS1Q_S1R_EUlS1Q_E_NS1_11comp_targetILNS1_3genE4ELNS1_11target_archE910ELNS1_3gpuE8ELNS1_3repE0EEENS1_30default_config_static_selectorELNS0_4arch9wavefront6targetE1EEEvS13_
                                        ; -- End function
	.set _ZN7rocprim17ROCPRIM_400000_NS6detail17trampoline_kernelINS0_13select_configILj256ELj13ELNS0_17block_load_methodE3ELS4_3ELS4_3ELNS0_20block_scan_algorithmE0ELj4294967295EEENS1_25partition_config_selectorILNS1_17partition_subalgoE4EjNS0_10empty_typeEbEEZZNS1_14partition_implILS8_4ELb0ES6_15HIP_vector_typeIjLj2EENS0_17counting_iteratorIjlEEPS9_SG_NS0_5tupleIJPjSI_NS0_16reverse_iteratorISI_EEEEENSH_IJSG_SG_SG_EEES9_SI_JZNS1_25segmented_radix_sort_implINS0_14default_configELb1EPK12hip_bfloat16PSP_PKlPlN2at6native12_GLOBAL__N_18offset_tEEE10hipError_tPvRmT1_PNSt15iterator_traitsIS13_E10value_typeET2_T3_PNS14_IS19_E10value_typeET4_jRbjT5_S1F_jjP12ihipStream_tbEUljE_ZNSN_ISO_Lb1ESR_SS_SU_SV_SZ_EES10_S11_S12_S13_S17_S18_S19_S1C_S1D_jS1E_jS1F_S1F_jjS1H_bEUljE0_EEES10_S11_S12_S19_S1D_S1F_T6_T7_T9_mT8_S1H_bDpT10_ENKUlT_T0_E_clISt17integral_constantIbLb0EES1V_EEDaS1Q_S1R_EUlS1Q_E_NS1_11comp_targetILNS1_3genE4ELNS1_11target_archE910ELNS1_3gpuE8ELNS1_3repE0EEENS1_30default_config_static_selectorELNS0_4arch9wavefront6targetE1EEEvS13_.num_vgpr, 0
	.set _ZN7rocprim17ROCPRIM_400000_NS6detail17trampoline_kernelINS0_13select_configILj256ELj13ELNS0_17block_load_methodE3ELS4_3ELS4_3ELNS0_20block_scan_algorithmE0ELj4294967295EEENS1_25partition_config_selectorILNS1_17partition_subalgoE4EjNS0_10empty_typeEbEEZZNS1_14partition_implILS8_4ELb0ES6_15HIP_vector_typeIjLj2EENS0_17counting_iteratorIjlEEPS9_SG_NS0_5tupleIJPjSI_NS0_16reverse_iteratorISI_EEEEENSH_IJSG_SG_SG_EEES9_SI_JZNS1_25segmented_radix_sort_implINS0_14default_configELb1EPK12hip_bfloat16PSP_PKlPlN2at6native12_GLOBAL__N_18offset_tEEE10hipError_tPvRmT1_PNSt15iterator_traitsIS13_E10value_typeET2_T3_PNS14_IS19_E10value_typeET4_jRbjT5_S1F_jjP12ihipStream_tbEUljE_ZNSN_ISO_Lb1ESR_SS_SU_SV_SZ_EES10_S11_S12_S13_S17_S18_S19_S1C_S1D_jS1E_jS1F_S1F_jjS1H_bEUljE0_EEES10_S11_S12_S19_S1D_S1F_T6_T7_T9_mT8_S1H_bDpT10_ENKUlT_T0_E_clISt17integral_constantIbLb0EES1V_EEDaS1Q_S1R_EUlS1Q_E_NS1_11comp_targetILNS1_3genE4ELNS1_11target_archE910ELNS1_3gpuE8ELNS1_3repE0EEENS1_30default_config_static_selectorELNS0_4arch9wavefront6targetE1EEEvS13_.num_agpr, 0
	.set _ZN7rocprim17ROCPRIM_400000_NS6detail17trampoline_kernelINS0_13select_configILj256ELj13ELNS0_17block_load_methodE3ELS4_3ELS4_3ELNS0_20block_scan_algorithmE0ELj4294967295EEENS1_25partition_config_selectorILNS1_17partition_subalgoE4EjNS0_10empty_typeEbEEZZNS1_14partition_implILS8_4ELb0ES6_15HIP_vector_typeIjLj2EENS0_17counting_iteratorIjlEEPS9_SG_NS0_5tupleIJPjSI_NS0_16reverse_iteratorISI_EEEEENSH_IJSG_SG_SG_EEES9_SI_JZNS1_25segmented_radix_sort_implINS0_14default_configELb1EPK12hip_bfloat16PSP_PKlPlN2at6native12_GLOBAL__N_18offset_tEEE10hipError_tPvRmT1_PNSt15iterator_traitsIS13_E10value_typeET2_T3_PNS14_IS19_E10value_typeET4_jRbjT5_S1F_jjP12ihipStream_tbEUljE_ZNSN_ISO_Lb1ESR_SS_SU_SV_SZ_EES10_S11_S12_S13_S17_S18_S19_S1C_S1D_jS1E_jS1F_S1F_jjS1H_bEUljE0_EEES10_S11_S12_S19_S1D_S1F_T6_T7_T9_mT8_S1H_bDpT10_ENKUlT_T0_E_clISt17integral_constantIbLb0EES1V_EEDaS1Q_S1R_EUlS1Q_E_NS1_11comp_targetILNS1_3genE4ELNS1_11target_archE910ELNS1_3gpuE8ELNS1_3repE0EEENS1_30default_config_static_selectorELNS0_4arch9wavefront6targetE1EEEvS13_.numbered_sgpr, 0
	.set _ZN7rocprim17ROCPRIM_400000_NS6detail17trampoline_kernelINS0_13select_configILj256ELj13ELNS0_17block_load_methodE3ELS4_3ELS4_3ELNS0_20block_scan_algorithmE0ELj4294967295EEENS1_25partition_config_selectorILNS1_17partition_subalgoE4EjNS0_10empty_typeEbEEZZNS1_14partition_implILS8_4ELb0ES6_15HIP_vector_typeIjLj2EENS0_17counting_iteratorIjlEEPS9_SG_NS0_5tupleIJPjSI_NS0_16reverse_iteratorISI_EEEEENSH_IJSG_SG_SG_EEES9_SI_JZNS1_25segmented_radix_sort_implINS0_14default_configELb1EPK12hip_bfloat16PSP_PKlPlN2at6native12_GLOBAL__N_18offset_tEEE10hipError_tPvRmT1_PNSt15iterator_traitsIS13_E10value_typeET2_T3_PNS14_IS19_E10value_typeET4_jRbjT5_S1F_jjP12ihipStream_tbEUljE_ZNSN_ISO_Lb1ESR_SS_SU_SV_SZ_EES10_S11_S12_S13_S17_S18_S19_S1C_S1D_jS1E_jS1F_S1F_jjS1H_bEUljE0_EEES10_S11_S12_S19_S1D_S1F_T6_T7_T9_mT8_S1H_bDpT10_ENKUlT_T0_E_clISt17integral_constantIbLb0EES1V_EEDaS1Q_S1R_EUlS1Q_E_NS1_11comp_targetILNS1_3genE4ELNS1_11target_archE910ELNS1_3gpuE8ELNS1_3repE0EEENS1_30default_config_static_selectorELNS0_4arch9wavefront6targetE1EEEvS13_.num_named_barrier, 0
	.set _ZN7rocprim17ROCPRIM_400000_NS6detail17trampoline_kernelINS0_13select_configILj256ELj13ELNS0_17block_load_methodE3ELS4_3ELS4_3ELNS0_20block_scan_algorithmE0ELj4294967295EEENS1_25partition_config_selectorILNS1_17partition_subalgoE4EjNS0_10empty_typeEbEEZZNS1_14partition_implILS8_4ELb0ES6_15HIP_vector_typeIjLj2EENS0_17counting_iteratorIjlEEPS9_SG_NS0_5tupleIJPjSI_NS0_16reverse_iteratorISI_EEEEENSH_IJSG_SG_SG_EEES9_SI_JZNS1_25segmented_radix_sort_implINS0_14default_configELb1EPK12hip_bfloat16PSP_PKlPlN2at6native12_GLOBAL__N_18offset_tEEE10hipError_tPvRmT1_PNSt15iterator_traitsIS13_E10value_typeET2_T3_PNS14_IS19_E10value_typeET4_jRbjT5_S1F_jjP12ihipStream_tbEUljE_ZNSN_ISO_Lb1ESR_SS_SU_SV_SZ_EES10_S11_S12_S13_S17_S18_S19_S1C_S1D_jS1E_jS1F_S1F_jjS1H_bEUljE0_EEES10_S11_S12_S19_S1D_S1F_T6_T7_T9_mT8_S1H_bDpT10_ENKUlT_T0_E_clISt17integral_constantIbLb0EES1V_EEDaS1Q_S1R_EUlS1Q_E_NS1_11comp_targetILNS1_3genE4ELNS1_11target_archE910ELNS1_3gpuE8ELNS1_3repE0EEENS1_30default_config_static_selectorELNS0_4arch9wavefront6targetE1EEEvS13_.private_seg_size, 0
	.set _ZN7rocprim17ROCPRIM_400000_NS6detail17trampoline_kernelINS0_13select_configILj256ELj13ELNS0_17block_load_methodE3ELS4_3ELS4_3ELNS0_20block_scan_algorithmE0ELj4294967295EEENS1_25partition_config_selectorILNS1_17partition_subalgoE4EjNS0_10empty_typeEbEEZZNS1_14partition_implILS8_4ELb0ES6_15HIP_vector_typeIjLj2EENS0_17counting_iteratorIjlEEPS9_SG_NS0_5tupleIJPjSI_NS0_16reverse_iteratorISI_EEEEENSH_IJSG_SG_SG_EEES9_SI_JZNS1_25segmented_radix_sort_implINS0_14default_configELb1EPK12hip_bfloat16PSP_PKlPlN2at6native12_GLOBAL__N_18offset_tEEE10hipError_tPvRmT1_PNSt15iterator_traitsIS13_E10value_typeET2_T3_PNS14_IS19_E10value_typeET4_jRbjT5_S1F_jjP12ihipStream_tbEUljE_ZNSN_ISO_Lb1ESR_SS_SU_SV_SZ_EES10_S11_S12_S13_S17_S18_S19_S1C_S1D_jS1E_jS1F_S1F_jjS1H_bEUljE0_EEES10_S11_S12_S19_S1D_S1F_T6_T7_T9_mT8_S1H_bDpT10_ENKUlT_T0_E_clISt17integral_constantIbLb0EES1V_EEDaS1Q_S1R_EUlS1Q_E_NS1_11comp_targetILNS1_3genE4ELNS1_11target_archE910ELNS1_3gpuE8ELNS1_3repE0EEENS1_30default_config_static_selectorELNS0_4arch9wavefront6targetE1EEEvS13_.uses_vcc, 0
	.set _ZN7rocprim17ROCPRIM_400000_NS6detail17trampoline_kernelINS0_13select_configILj256ELj13ELNS0_17block_load_methodE3ELS4_3ELS4_3ELNS0_20block_scan_algorithmE0ELj4294967295EEENS1_25partition_config_selectorILNS1_17partition_subalgoE4EjNS0_10empty_typeEbEEZZNS1_14partition_implILS8_4ELb0ES6_15HIP_vector_typeIjLj2EENS0_17counting_iteratorIjlEEPS9_SG_NS0_5tupleIJPjSI_NS0_16reverse_iteratorISI_EEEEENSH_IJSG_SG_SG_EEES9_SI_JZNS1_25segmented_radix_sort_implINS0_14default_configELb1EPK12hip_bfloat16PSP_PKlPlN2at6native12_GLOBAL__N_18offset_tEEE10hipError_tPvRmT1_PNSt15iterator_traitsIS13_E10value_typeET2_T3_PNS14_IS19_E10value_typeET4_jRbjT5_S1F_jjP12ihipStream_tbEUljE_ZNSN_ISO_Lb1ESR_SS_SU_SV_SZ_EES10_S11_S12_S13_S17_S18_S19_S1C_S1D_jS1E_jS1F_S1F_jjS1H_bEUljE0_EEES10_S11_S12_S19_S1D_S1F_T6_T7_T9_mT8_S1H_bDpT10_ENKUlT_T0_E_clISt17integral_constantIbLb0EES1V_EEDaS1Q_S1R_EUlS1Q_E_NS1_11comp_targetILNS1_3genE4ELNS1_11target_archE910ELNS1_3gpuE8ELNS1_3repE0EEENS1_30default_config_static_selectorELNS0_4arch9wavefront6targetE1EEEvS13_.uses_flat_scratch, 0
	.set _ZN7rocprim17ROCPRIM_400000_NS6detail17trampoline_kernelINS0_13select_configILj256ELj13ELNS0_17block_load_methodE3ELS4_3ELS4_3ELNS0_20block_scan_algorithmE0ELj4294967295EEENS1_25partition_config_selectorILNS1_17partition_subalgoE4EjNS0_10empty_typeEbEEZZNS1_14partition_implILS8_4ELb0ES6_15HIP_vector_typeIjLj2EENS0_17counting_iteratorIjlEEPS9_SG_NS0_5tupleIJPjSI_NS0_16reverse_iteratorISI_EEEEENSH_IJSG_SG_SG_EEES9_SI_JZNS1_25segmented_radix_sort_implINS0_14default_configELb1EPK12hip_bfloat16PSP_PKlPlN2at6native12_GLOBAL__N_18offset_tEEE10hipError_tPvRmT1_PNSt15iterator_traitsIS13_E10value_typeET2_T3_PNS14_IS19_E10value_typeET4_jRbjT5_S1F_jjP12ihipStream_tbEUljE_ZNSN_ISO_Lb1ESR_SS_SU_SV_SZ_EES10_S11_S12_S13_S17_S18_S19_S1C_S1D_jS1E_jS1F_S1F_jjS1H_bEUljE0_EEES10_S11_S12_S19_S1D_S1F_T6_T7_T9_mT8_S1H_bDpT10_ENKUlT_T0_E_clISt17integral_constantIbLb0EES1V_EEDaS1Q_S1R_EUlS1Q_E_NS1_11comp_targetILNS1_3genE4ELNS1_11target_archE910ELNS1_3gpuE8ELNS1_3repE0EEENS1_30default_config_static_selectorELNS0_4arch9wavefront6targetE1EEEvS13_.has_dyn_sized_stack, 0
	.set _ZN7rocprim17ROCPRIM_400000_NS6detail17trampoline_kernelINS0_13select_configILj256ELj13ELNS0_17block_load_methodE3ELS4_3ELS4_3ELNS0_20block_scan_algorithmE0ELj4294967295EEENS1_25partition_config_selectorILNS1_17partition_subalgoE4EjNS0_10empty_typeEbEEZZNS1_14partition_implILS8_4ELb0ES6_15HIP_vector_typeIjLj2EENS0_17counting_iteratorIjlEEPS9_SG_NS0_5tupleIJPjSI_NS0_16reverse_iteratorISI_EEEEENSH_IJSG_SG_SG_EEES9_SI_JZNS1_25segmented_radix_sort_implINS0_14default_configELb1EPK12hip_bfloat16PSP_PKlPlN2at6native12_GLOBAL__N_18offset_tEEE10hipError_tPvRmT1_PNSt15iterator_traitsIS13_E10value_typeET2_T3_PNS14_IS19_E10value_typeET4_jRbjT5_S1F_jjP12ihipStream_tbEUljE_ZNSN_ISO_Lb1ESR_SS_SU_SV_SZ_EES10_S11_S12_S13_S17_S18_S19_S1C_S1D_jS1E_jS1F_S1F_jjS1H_bEUljE0_EEES10_S11_S12_S19_S1D_S1F_T6_T7_T9_mT8_S1H_bDpT10_ENKUlT_T0_E_clISt17integral_constantIbLb0EES1V_EEDaS1Q_S1R_EUlS1Q_E_NS1_11comp_targetILNS1_3genE4ELNS1_11target_archE910ELNS1_3gpuE8ELNS1_3repE0EEENS1_30default_config_static_selectorELNS0_4arch9wavefront6targetE1EEEvS13_.has_recursion, 0
	.set _ZN7rocprim17ROCPRIM_400000_NS6detail17trampoline_kernelINS0_13select_configILj256ELj13ELNS0_17block_load_methodE3ELS4_3ELS4_3ELNS0_20block_scan_algorithmE0ELj4294967295EEENS1_25partition_config_selectorILNS1_17partition_subalgoE4EjNS0_10empty_typeEbEEZZNS1_14partition_implILS8_4ELb0ES6_15HIP_vector_typeIjLj2EENS0_17counting_iteratorIjlEEPS9_SG_NS0_5tupleIJPjSI_NS0_16reverse_iteratorISI_EEEEENSH_IJSG_SG_SG_EEES9_SI_JZNS1_25segmented_radix_sort_implINS0_14default_configELb1EPK12hip_bfloat16PSP_PKlPlN2at6native12_GLOBAL__N_18offset_tEEE10hipError_tPvRmT1_PNSt15iterator_traitsIS13_E10value_typeET2_T3_PNS14_IS19_E10value_typeET4_jRbjT5_S1F_jjP12ihipStream_tbEUljE_ZNSN_ISO_Lb1ESR_SS_SU_SV_SZ_EES10_S11_S12_S13_S17_S18_S19_S1C_S1D_jS1E_jS1F_S1F_jjS1H_bEUljE0_EEES10_S11_S12_S19_S1D_S1F_T6_T7_T9_mT8_S1H_bDpT10_ENKUlT_T0_E_clISt17integral_constantIbLb0EES1V_EEDaS1Q_S1R_EUlS1Q_E_NS1_11comp_targetILNS1_3genE4ELNS1_11target_archE910ELNS1_3gpuE8ELNS1_3repE0EEENS1_30default_config_static_selectorELNS0_4arch9wavefront6targetE1EEEvS13_.has_indirect_call, 0
	.section	.AMDGPU.csdata,"",@progbits
; Kernel info:
; codeLenInByte = 0
; TotalNumSgprs: 4
; NumVgprs: 0
; ScratchSize: 0
; MemoryBound: 0
; FloatMode: 240
; IeeeMode: 1
; LDSByteSize: 0 bytes/workgroup (compile time only)
; SGPRBlocks: 0
; VGPRBlocks: 0
; NumSGPRsForWavesPerEU: 4
; NumVGPRsForWavesPerEU: 1
; Occupancy: 10
; WaveLimiterHint : 0
; COMPUTE_PGM_RSRC2:SCRATCH_EN: 0
; COMPUTE_PGM_RSRC2:USER_SGPR: 6
; COMPUTE_PGM_RSRC2:TRAP_HANDLER: 0
; COMPUTE_PGM_RSRC2:TGID_X_EN: 1
; COMPUTE_PGM_RSRC2:TGID_Y_EN: 0
; COMPUTE_PGM_RSRC2:TGID_Z_EN: 0
; COMPUTE_PGM_RSRC2:TIDIG_COMP_CNT: 0
	.section	.text._ZN7rocprim17ROCPRIM_400000_NS6detail17trampoline_kernelINS0_13select_configILj256ELj13ELNS0_17block_load_methodE3ELS4_3ELS4_3ELNS0_20block_scan_algorithmE0ELj4294967295EEENS1_25partition_config_selectorILNS1_17partition_subalgoE4EjNS0_10empty_typeEbEEZZNS1_14partition_implILS8_4ELb0ES6_15HIP_vector_typeIjLj2EENS0_17counting_iteratorIjlEEPS9_SG_NS0_5tupleIJPjSI_NS0_16reverse_iteratorISI_EEEEENSH_IJSG_SG_SG_EEES9_SI_JZNS1_25segmented_radix_sort_implINS0_14default_configELb1EPK12hip_bfloat16PSP_PKlPlN2at6native12_GLOBAL__N_18offset_tEEE10hipError_tPvRmT1_PNSt15iterator_traitsIS13_E10value_typeET2_T3_PNS14_IS19_E10value_typeET4_jRbjT5_S1F_jjP12ihipStream_tbEUljE_ZNSN_ISO_Lb1ESR_SS_SU_SV_SZ_EES10_S11_S12_S13_S17_S18_S19_S1C_S1D_jS1E_jS1F_S1F_jjS1H_bEUljE0_EEES10_S11_S12_S19_S1D_S1F_T6_T7_T9_mT8_S1H_bDpT10_ENKUlT_T0_E_clISt17integral_constantIbLb0EES1V_EEDaS1Q_S1R_EUlS1Q_E_NS1_11comp_targetILNS1_3genE3ELNS1_11target_archE908ELNS1_3gpuE7ELNS1_3repE0EEENS1_30default_config_static_selectorELNS0_4arch9wavefront6targetE1EEEvS13_,"axG",@progbits,_ZN7rocprim17ROCPRIM_400000_NS6detail17trampoline_kernelINS0_13select_configILj256ELj13ELNS0_17block_load_methodE3ELS4_3ELS4_3ELNS0_20block_scan_algorithmE0ELj4294967295EEENS1_25partition_config_selectorILNS1_17partition_subalgoE4EjNS0_10empty_typeEbEEZZNS1_14partition_implILS8_4ELb0ES6_15HIP_vector_typeIjLj2EENS0_17counting_iteratorIjlEEPS9_SG_NS0_5tupleIJPjSI_NS0_16reverse_iteratorISI_EEEEENSH_IJSG_SG_SG_EEES9_SI_JZNS1_25segmented_radix_sort_implINS0_14default_configELb1EPK12hip_bfloat16PSP_PKlPlN2at6native12_GLOBAL__N_18offset_tEEE10hipError_tPvRmT1_PNSt15iterator_traitsIS13_E10value_typeET2_T3_PNS14_IS19_E10value_typeET4_jRbjT5_S1F_jjP12ihipStream_tbEUljE_ZNSN_ISO_Lb1ESR_SS_SU_SV_SZ_EES10_S11_S12_S13_S17_S18_S19_S1C_S1D_jS1E_jS1F_S1F_jjS1H_bEUljE0_EEES10_S11_S12_S19_S1D_S1F_T6_T7_T9_mT8_S1H_bDpT10_ENKUlT_T0_E_clISt17integral_constantIbLb0EES1V_EEDaS1Q_S1R_EUlS1Q_E_NS1_11comp_targetILNS1_3genE3ELNS1_11target_archE908ELNS1_3gpuE7ELNS1_3repE0EEENS1_30default_config_static_selectorELNS0_4arch9wavefront6targetE1EEEvS13_,comdat
	.globl	_ZN7rocprim17ROCPRIM_400000_NS6detail17trampoline_kernelINS0_13select_configILj256ELj13ELNS0_17block_load_methodE3ELS4_3ELS4_3ELNS0_20block_scan_algorithmE0ELj4294967295EEENS1_25partition_config_selectorILNS1_17partition_subalgoE4EjNS0_10empty_typeEbEEZZNS1_14partition_implILS8_4ELb0ES6_15HIP_vector_typeIjLj2EENS0_17counting_iteratorIjlEEPS9_SG_NS0_5tupleIJPjSI_NS0_16reverse_iteratorISI_EEEEENSH_IJSG_SG_SG_EEES9_SI_JZNS1_25segmented_radix_sort_implINS0_14default_configELb1EPK12hip_bfloat16PSP_PKlPlN2at6native12_GLOBAL__N_18offset_tEEE10hipError_tPvRmT1_PNSt15iterator_traitsIS13_E10value_typeET2_T3_PNS14_IS19_E10value_typeET4_jRbjT5_S1F_jjP12ihipStream_tbEUljE_ZNSN_ISO_Lb1ESR_SS_SU_SV_SZ_EES10_S11_S12_S13_S17_S18_S19_S1C_S1D_jS1E_jS1F_S1F_jjS1H_bEUljE0_EEES10_S11_S12_S19_S1D_S1F_T6_T7_T9_mT8_S1H_bDpT10_ENKUlT_T0_E_clISt17integral_constantIbLb0EES1V_EEDaS1Q_S1R_EUlS1Q_E_NS1_11comp_targetILNS1_3genE3ELNS1_11target_archE908ELNS1_3gpuE7ELNS1_3repE0EEENS1_30default_config_static_selectorELNS0_4arch9wavefront6targetE1EEEvS13_ ; -- Begin function _ZN7rocprim17ROCPRIM_400000_NS6detail17trampoline_kernelINS0_13select_configILj256ELj13ELNS0_17block_load_methodE3ELS4_3ELS4_3ELNS0_20block_scan_algorithmE0ELj4294967295EEENS1_25partition_config_selectorILNS1_17partition_subalgoE4EjNS0_10empty_typeEbEEZZNS1_14partition_implILS8_4ELb0ES6_15HIP_vector_typeIjLj2EENS0_17counting_iteratorIjlEEPS9_SG_NS0_5tupleIJPjSI_NS0_16reverse_iteratorISI_EEEEENSH_IJSG_SG_SG_EEES9_SI_JZNS1_25segmented_radix_sort_implINS0_14default_configELb1EPK12hip_bfloat16PSP_PKlPlN2at6native12_GLOBAL__N_18offset_tEEE10hipError_tPvRmT1_PNSt15iterator_traitsIS13_E10value_typeET2_T3_PNS14_IS19_E10value_typeET4_jRbjT5_S1F_jjP12ihipStream_tbEUljE_ZNSN_ISO_Lb1ESR_SS_SU_SV_SZ_EES10_S11_S12_S13_S17_S18_S19_S1C_S1D_jS1E_jS1F_S1F_jjS1H_bEUljE0_EEES10_S11_S12_S19_S1D_S1F_T6_T7_T9_mT8_S1H_bDpT10_ENKUlT_T0_E_clISt17integral_constantIbLb0EES1V_EEDaS1Q_S1R_EUlS1Q_E_NS1_11comp_targetILNS1_3genE3ELNS1_11target_archE908ELNS1_3gpuE7ELNS1_3repE0EEENS1_30default_config_static_selectorELNS0_4arch9wavefront6targetE1EEEvS13_
	.p2align	8
	.type	_ZN7rocprim17ROCPRIM_400000_NS6detail17trampoline_kernelINS0_13select_configILj256ELj13ELNS0_17block_load_methodE3ELS4_3ELS4_3ELNS0_20block_scan_algorithmE0ELj4294967295EEENS1_25partition_config_selectorILNS1_17partition_subalgoE4EjNS0_10empty_typeEbEEZZNS1_14partition_implILS8_4ELb0ES6_15HIP_vector_typeIjLj2EENS0_17counting_iteratorIjlEEPS9_SG_NS0_5tupleIJPjSI_NS0_16reverse_iteratorISI_EEEEENSH_IJSG_SG_SG_EEES9_SI_JZNS1_25segmented_radix_sort_implINS0_14default_configELb1EPK12hip_bfloat16PSP_PKlPlN2at6native12_GLOBAL__N_18offset_tEEE10hipError_tPvRmT1_PNSt15iterator_traitsIS13_E10value_typeET2_T3_PNS14_IS19_E10value_typeET4_jRbjT5_S1F_jjP12ihipStream_tbEUljE_ZNSN_ISO_Lb1ESR_SS_SU_SV_SZ_EES10_S11_S12_S13_S17_S18_S19_S1C_S1D_jS1E_jS1F_S1F_jjS1H_bEUljE0_EEES10_S11_S12_S19_S1D_S1F_T6_T7_T9_mT8_S1H_bDpT10_ENKUlT_T0_E_clISt17integral_constantIbLb0EES1V_EEDaS1Q_S1R_EUlS1Q_E_NS1_11comp_targetILNS1_3genE3ELNS1_11target_archE908ELNS1_3gpuE7ELNS1_3repE0EEENS1_30default_config_static_selectorELNS0_4arch9wavefront6targetE1EEEvS13_,@function
_ZN7rocprim17ROCPRIM_400000_NS6detail17trampoline_kernelINS0_13select_configILj256ELj13ELNS0_17block_load_methodE3ELS4_3ELS4_3ELNS0_20block_scan_algorithmE0ELj4294967295EEENS1_25partition_config_selectorILNS1_17partition_subalgoE4EjNS0_10empty_typeEbEEZZNS1_14partition_implILS8_4ELb0ES6_15HIP_vector_typeIjLj2EENS0_17counting_iteratorIjlEEPS9_SG_NS0_5tupleIJPjSI_NS0_16reverse_iteratorISI_EEEEENSH_IJSG_SG_SG_EEES9_SI_JZNS1_25segmented_radix_sort_implINS0_14default_configELb1EPK12hip_bfloat16PSP_PKlPlN2at6native12_GLOBAL__N_18offset_tEEE10hipError_tPvRmT1_PNSt15iterator_traitsIS13_E10value_typeET2_T3_PNS14_IS19_E10value_typeET4_jRbjT5_S1F_jjP12ihipStream_tbEUljE_ZNSN_ISO_Lb1ESR_SS_SU_SV_SZ_EES10_S11_S12_S13_S17_S18_S19_S1C_S1D_jS1E_jS1F_S1F_jjS1H_bEUljE0_EEES10_S11_S12_S19_S1D_S1F_T6_T7_T9_mT8_S1H_bDpT10_ENKUlT_T0_E_clISt17integral_constantIbLb0EES1V_EEDaS1Q_S1R_EUlS1Q_E_NS1_11comp_targetILNS1_3genE3ELNS1_11target_archE908ELNS1_3gpuE7ELNS1_3repE0EEENS1_30default_config_static_selectorELNS0_4arch9wavefront6targetE1EEEvS13_: ; @_ZN7rocprim17ROCPRIM_400000_NS6detail17trampoline_kernelINS0_13select_configILj256ELj13ELNS0_17block_load_methodE3ELS4_3ELS4_3ELNS0_20block_scan_algorithmE0ELj4294967295EEENS1_25partition_config_selectorILNS1_17partition_subalgoE4EjNS0_10empty_typeEbEEZZNS1_14partition_implILS8_4ELb0ES6_15HIP_vector_typeIjLj2EENS0_17counting_iteratorIjlEEPS9_SG_NS0_5tupleIJPjSI_NS0_16reverse_iteratorISI_EEEEENSH_IJSG_SG_SG_EEES9_SI_JZNS1_25segmented_radix_sort_implINS0_14default_configELb1EPK12hip_bfloat16PSP_PKlPlN2at6native12_GLOBAL__N_18offset_tEEE10hipError_tPvRmT1_PNSt15iterator_traitsIS13_E10value_typeET2_T3_PNS14_IS19_E10value_typeET4_jRbjT5_S1F_jjP12ihipStream_tbEUljE_ZNSN_ISO_Lb1ESR_SS_SU_SV_SZ_EES10_S11_S12_S13_S17_S18_S19_S1C_S1D_jS1E_jS1F_S1F_jjS1H_bEUljE0_EEES10_S11_S12_S19_S1D_S1F_T6_T7_T9_mT8_S1H_bDpT10_ENKUlT_T0_E_clISt17integral_constantIbLb0EES1V_EEDaS1Q_S1R_EUlS1Q_E_NS1_11comp_targetILNS1_3genE3ELNS1_11target_archE908ELNS1_3gpuE7ELNS1_3repE0EEENS1_30default_config_static_selectorELNS0_4arch9wavefront6targetE1EEEvS13_
; %bb.0:
	.section	.rodata,"a",@progbits
	.p2align	6, 0x0
	.amdhsa_kernel _ZN7rocprim17ROCPRIM_400000_NS6detail17trampoline_kernelINS0_13select_configILj256ELj13ELNS0_17block_load_methodE3ELS4_3ELS4_3ELNS0_20block_scan_algorithmE0ELj4294967295EEENS1_25partition_config_selectorILNS1_17partition_subalgoE4EjNS0_10empty_typeEbEEZZNS1_14partition_implILS8_4ELb0ES6_15HIP_vector_typeIjLj2EENS0_17counting_iteratorIjlEEPS9_SG_NS0_5tupleIJPjSI_NS0_16reverse_iteratorISI_EEEEENSH_IJSG_SG_SG_EEES9_SI_JZNS1_25segmented_radix_sort_implINS0_14default_configELb1EPK12hip_bfloat16PSP_PKlPlN2at6native12_GLOBAL__N_18offset_tEEE10hipError_tPvRmT1_PNSt15iterator_traitsIS13_E10value_typeET2_T3_PNS14_IS19_E10value_typeET4_jRbjT5_S1F_jjP12ihipStream_tbEUljE_ZNSN_ISO_Lb1ESR_SS_SU_SV_SZ_EES10_S11_S12_S13_S17_S18_S19_S1C_S1D_jS1E_jS1F_S1F_jjS1H_bEUljE0_EEES10_S11_S12_S19_S1D_S1F_T6_T7_T9_mT8_S1H_bDpT10_ENKUlT_T0_E_clISt17integral_constantIbLb0EES1V_EEDaS1Q_S1R_EUlS1Q_E_NS1_11comp_targetILNS1_3genE3ELNS1_11target_archE908ELNS1_3gpuE7ELNS1_3repE0EEENS1_30default_config_static_selectorELNS0_4arch9wavefront6targetE1EEEvS13_
		.amdhsa_group_segment_fixed_size 0
		.amdhsa_private_segment_fixed_size 0
		.amdhsa_kernarg_size 176
		.amdhsa_user_sgpr_count 6
		.amdhsa_user_sgpr_private_segment_buffer 1
		.amdhsa_user_sgpr_dispatch_ptr 0
		.amdhsa_user_sgpr_queue_ptr 0
		.amdhsa_user_sgpr_kernarg_segment_ptr 1
		.amdhsa_user_sgpr_dispatch_id 0
		.amdhsa_user_sgpr_flat_scratch_init 0
		.amdhsa_user_sgpr_private_segment_size 0
		.amdhsa_uses_dynamic_stack 0
		.amdhsa_system_sgpr_private_segment_wavefront_offset 0
		.amdhsa_system_sgpr_workgroup_id_x 1
		.amdhsa_system_sgpr_workgroup_id_y 0
		.amdhsa_system_sgpr_workgroup_id_z 0
		.amdhsa_system_sgpr_workgroup_info 0
		.amdhsa_system_vgpr_workitem_id 0
		.amdhsa_next_free_vgpr 1
		.amdhsa_next_free_sgpr 0
		.amdhsa_reserve_vcc 0
		.amdhsa_reserve_flat_scratch 0
		.amdhsa_float_round_mode_32 0
		.amdhsa_float_round_mode_16_64 0
		.amdhsa_float_denorm_mode_32 3
		.amdhsa_float_denorm_mode_16_64 3
		.amdhsa_dx10_clamp 1
		.amdhsa_ieee_mode 1
		.amdhsa_fp16_overflow 0
		.amdhsa_exception_fp_ieee_invalid_op 0
		.amdhsa_exception_fp_denorm_src 0
		.amdhsa_exception_fp_ieee_div_zero 0
		.amdhsa_exception_fp_ieee_overflow 0
		.amdhsa_exception_fp_ieee_underflow 0
		.amdhsa_exception_fp_ieee_inexact 0
		.amdhsa_exception_int_div_zero 0
	.end_amdhsa_kernel
	.section	.text._ZN7rocprim17ROCPRIM_400000_NS6detail17trampoline_kernelINS0_13select_configILj256ELj13ELNS0_17block_load_methodE3ELS4_3ELS4_3ELNS0_20block_scan_algorithmE0ELj4294967295EEENS1_25partition_config_selectorILNS1_17partition_subalgoE4EjNS0_10empty_typeEbEEZZNS1_14partition_implILS8_4ELb0ES6_15HIP_vector_typeIjLj2EENS0_17counting_iteratorIjlEEPS9_SG_NS0_5tupleIJPjSI_NS0_16reverse_iteratorISI_EEEEENSH_IJSG_SG_SG_EEES9_SI_JZNS1_25segmented_radix_sort_implINS0_14default_configELb1EPK12hip_bfloat16PSP_PKlPlN2at6native12_GLOBAL__N_18offset_tEEE10hipError_tPvRmT1_PNSt15iterator_traitsIS13_E10value_typeET2_T3_PNS14_IS19_E10value_typeET4_jRbjT5_S1F_jjP12ihipStream_tbEUljE_ZNSN_ISO_Lb1ESR_SS_SU_SV_SZ_EES10_S11_S12_S13_S17_S18_S19_S1C_S1D_jS1E_jS1F_S1F_jjS1H_bEUljE0_EEES10_S11_S12_S19_S1D_S1F_T6_T7_T9_mT8_S1H_bDpT10_ENKUlT_T0_E_clISt17integral_constantIbLb0EES1V_EEDaS1Q_S1R_EUlS1Q_E_NS1_11comp_targetILNS1_3genE3ELNS1_11target_archE908ELNS1_3gpuE7ELNS1_3repE0EEENS1_30default_config_static_selectorELNS0_4arch9wavefront6targetE1EEEvS13_,"axG",@progbits,_ZN7rocprim17ROCPRIM_400000_NS6detail17trampoline_kernelINS0_13select_configILj256ELj13ELNS0_17block_load_methodE3ELS4_3ELS4_3ELNS0_20block_scan_algorithmE0ELj4294967295EEENS1_25partition_config_selectorILNS1_17partition_subalgoE4EjNS0_10empty_typeEbEEZZNS1_14partition_implILS8_4ELb0ES6_15HIP_vector_typeIjLj2EENS0_17counting_iteratorIjlEEPS9_SG_NS0_5tupleIJPjSI_NS0_16reverse_iteratorISI_EEEEENSH_IJSG_SG_SG_EEES9_SI_JZNS1_25segmented_radix_sort_implINS0_14default_configELb1EPK12hip_bfloat16PSP_PKlPlN2at6native12_GLOBAL__N_18offset_tEEE10hipError_tPvRmT1_PNSt15iterator_traitsIS13_E10value_typeET2_T3_PNS14_IS19_E10value_typeET4_jRbjT5_S1F_jjP12ihipStream_tbEUljE_ZNSN_ISO_Lb1ESR_SS_SU_SV_SZ_EES10_S11_S12_S13_S17_S18_S19_S1C_S1D_jS1E_jS1F_S1F_jjS1H_bEUljE0_EEES10_S11_S12_S19_S1D_S1F_T6_T7_T9_mT8_S1H_bDpT10_ENKUlT_T0_E_clISt17integral_constantIbLb0EES1V_EEDaS1Q_S1R_EUlS1Q_E_NS1_11comp_targetILNS1_3genE3ELNS1_11target_archE908ELNS1_3gpuE7ELNS1_3repE0EEENS1_30default_config_static_selectorELNS0_4arch9wavefront6targetE1EEEvS13_,comdat
.Lfunc_end1885:
	.size	_ZN7rocprim17ROCPRIM_400000_NS6detail17trampoline_kernelINS0_13select_configILj256ELj13ELNS0_17block_load_methodE3ELS4_3ELS4_3ELNS0_20block_scan_algorithmE0ELj4294967295EEENS1_25partition_config_selectorILNS1_17partition_subalgoE4EjNS0_10empty_typeEbEEZZNS1_14partition_implILS8_4ELb0ES6_15HIP_vector_typeIjLj2EENS0_17counting_iteratorIjlEEPS9_SG_NS0_5tupleIJPjSI_NS0_16reverse_iteratorISI_EEEEENSH_IJSG_SG_SG_EEES9_SI_JZNS1_25segmented_radix_sort_implINS0_14default_configELb1EPK12hip_bfloat16PSP_PKlPlN2at6native12_GLOBAL__N_18offset_tEEE10hipError_tPvRmT1_PNSt15iterator_traitsIS13_E10value_typeET2_T3_PNS14_IS19_E10value_typeET4_jRbjT5_S1F_jjP12ihipStream_tbEUljE_ZNSN_ISO_Lb1ESR_SS_SU_SV_SZ_EES10_S11_S12_S13_S17_S18_S19_S1C_S1D_jS1E_jS1F_S1F_jjS1H_bEUljE0_EEES10_S11_S12_S19_S1D_S1F_T6_T7_T9_mT8_S1H_bDpT10_ENKUlT_T0_E_clISt17integral_constantIbLb0EES1V_EEDaS1Q_S1R_EUlS1Q_E_NS1_11comp_targetILNS1_3genE3ELNS1_11target_archE908ELNS1_3gpuE7ELNS1_3repE0EEENS1_30default_config_static_selectorELNS0_4arch9wavefront6targetE1EEEvS13_, .Lfunc_end1885-_ZN7rocprim17ROCPRIM_400000_NS6detail17trampoline_kernelINS0_13select_configILj256ELj13ELNS0_17block_load_methodE3ELS4_3ELS4_3ELNS0_20block_scan_algorithmE0ELj4294967295EEENS1_25partition_config_selectorILNS1_17partition_subalgoE4EjNS0_10empty_typeEbEEZZNS1_14partition_implILS8_4ELb0ES6_15HIP_vector_typeIjLj2EENS0_17counting_iteratorIjlEEPS9_SG_NS0_5tupleIJPjSI_NS0_16reverse_iteratorISI_EEEEENSH_IJSG_SG_SG_EEES9_SI_JZNS1_25segmented_radix_sort_implINS0_14default_configELb1EPK12hip_bfloat16PSP_PKlPlN2at6native12_GLOBAL__N_18offset_tEEE10hipError_tPvRmT1_PNSt15iterator_traitsIS13_E10value_typeET2_T3_PNS14_IS19_E10value_typeET4_jRbjT5_S1F_jjP12ihipStream_tbEUljE_ZNSN_ISO_Lb1ESR_SS_SU_SV_SZ_EES10_S11_S12_S13_S17_S18_S19_S1C_S1D_jS1E_jS1F_S1F_jjS1H_bEUljE0_EEES10_S11_S12_S19_S1D_S1F_T6_T7_T9_mT8_S1H_bDpT10_ENKUlT_T0_E_clISt17integral_constantIbLb0EES1V_EEDaS1Q_S1R_EUlS1Q_E_NS1_11comp_targetILNS1_3genE3ELNS1_11target_archE908ELNS1_3gpuE7ELNS1_3repE0EEENS1_30default_config_static_selectorELNS0_4arch9wavefront6targetE1EEEvS13_
                                        ; -- End function
	.set _ZN7rocprim17ROCPRIM_400000_NS6detail17trampoline_kernelINS0_13select_configILj256ELj13ELNS0_17block_load_methodE3ELS4_3ELS4_3ELNS0_20block_scan_algorithmE0ELj4294967295EEENS1_25partition_config_selectorILNS1_17partition_subalgoE4EjNS0_10empty_typeEbEEZZNS1_14partition_implILS8_4ELb0ES6_15HIP_vector_typeIjLj2EENS0_17counting_iteratorIjlEEPS9_SG_NS0_5tupleIJPjSI_NS0_16reverse_iteratorISI_EEEEENSH_IJSG_SG_SG_EEES9_SI_JZNS1_25segmented_radix_sort_implINS0_14default_configELb1EPK12hip_bfloat16PSP_PKlPlN2at6native12_GLOBAL__N_18offset_tEEE10hipError_tPvRmT1_PNSt15iterator_traitsIS13_E10value_typeET2_T3_PNS14_IS19_E10value_typeET4_jRbjT5_S1F_jjP12ihipStream_tbEUljE_ZNSN_ISO_Lb1ESR_SS_SU_SV_SZ_EES10_S11_S12_S13_S17_S18_S19_S1C_S1D_jS1E_jS1F_S1F_jjS1H_bEUljE0_EEES10_S11_S12_S19_S1D_S1F_T6_T7_T9_mT8_S1H_bDpT10_ENKUlT_T0_E_clISt17integral_constantIbLb0EES1V_EEDaS1Q_S1R_EUlS1Q_E_NS1_11comp_targetILNS1_3genE3ELNS1_11target_archE908ELNS1_3gpuE7ELNS1_3repE0EEENS1_30default_config_static_selectorELNS0_4arch9wavefront6targetE1EEEvS13_.num_vgpr, 0
	.set _ZN7rocprim17ROCPRIM_400000_NS6detail17trampoline_kernelINS0_13select_configILj256ELj13ELNS0_17block_load_methodE3ELS4_3ELS4_3ELNS0_20block_scan_algorithmE0ELj4294967295EEENS1_25partition_config_selectorILNS1_17partition_subalgoE4EjNS0_10empty_typeEbEEZZNS1_14partition_implILS8_4ELb0ES6_15HIP_vector_typeIjLj2EENS0_17counting_iteratorIjlEEPS9_SG_NS0_5tupleIJPjSI_NS0_16reverse_iteratorISI_EEEEENSH_IJSG_SG_SG_EEES9_SI_JZNS1_25segmented_radix_sort_implINS0_14default_configELb1EPK12hip_bfloat16PSP_PKlPlN2at6native12_GLOBAL__N_18offset_tEEE10hipError_tPvRmT1_PNSt15iterator_traitsIS13_E10value_typeET2_T3_PNS14_IS19_E10value_typeET4_jRbjT5_S1F_jjP12ihipStream_tbEUljE_ZNSN_ISO_Lb1ESR_SS_SU_SV_SZ_EES10_S11_S12_S13_S17_S18_S19_S1C_S1D_jS1E_jS1F_S1F_jjS1H_bEUljE0_EEES10_S11_S12_S19_S1D_S1F_T6_T7_T9_mT8_S1H_bDpT10_ENKUlT_T0_E_clISt17integral_constantIbLb0EES1V_EEDaS1Q_S1R_EUlS1Q_E_NS1_11comp_targetILNS1_3genE3ELNS1_11target_archE908ELNS1_3gpuE7ELNS1_3repE0EEENS1_30default_config_static_selectorELNS0_4arch9wavefront6targetE1EEEvS13_.num_agpr, 0
	.set _ZN7rocprim17ROCPRIM_400000_NS6detail17trampoline_kernelINS0_13select_configILj256ELj13ELNS0_17block_load_methodE3ELS4_3ELS4_3ELNS0_20block_scan_algorithmE0ELj4294967295EEENS1_25partition_config_selectorILNS1_17partition_subalgoE4EjNS0_10empty_typeEbEEZZNS1_14partition_implILS8_4ELb0ES6_15HIP_vector_typeIjLj2EENS0_17counting_iteratorIjlEEPS9_SG_NS0_5tupleIJPjSI_NS0_16reverse_iteratorISI_EEEEENSH_IJSG_SG_SG_EEES9_SI_JZNS1_25segmented_radix_sort_implINS0_14default_configELb1EPK12hip_bfloat16PSP_PKlPlN2at6native12_GLOBAL__N_18offset_tEEE10hipError_tPvRmT1_PNSt15iterator_traitsIS13_E10value_typeET2_T3_PNS14_IS19_E10value_typeET4_jRbjT5_S1F_jjP12ihipStream_tbEUljE_ZNSN_ISO_Lb1ESR_SS_SU_SV_SZ_EES10_S11_S12_S13_S17_S18_S19_S1C_S1D_jS1E_jS1F_S1F_jjS1H_bEUljE0_EEES10_S11_S12_S19_S1D_S1F_T6_T7_T9_mT8_S1H_bDpT10_ENKUlT_T0_E_clISt17integral_constantIbLb0EES1V_EEDaS1Q_S1R_EUlS1Q_E_NS1_11comp_targetILNS1_3genE3ELNS1_11target_archE908ELNS1_3gpuE7ELNS1_3repE0EEENS1_30default_config_static_selectorELNS0_4arch9wavefront6targetE1EEEvS13_.numbered_sgpr, 0
	.set _ZN7rocprim17ROCPRIM_400000_NS6detail17trampoline_kernelINS0_13select_configILj256ELj13ELNS0_17block_load_methodE3ELS4_3ELS4_3ELNS0_20block_scan_algorithmE0ELj4294967295EEENS1_25partition_config_selectorILNS1_17partition_subalgoE4EjNS0_10empty_typeEbEEZZNS1_14partition_implILS8_4ELb0ES6_15HIP_vector_typeIjLj2EENS0_17counting_iteratorIjlEEPS9_SG_NS0_5tupleIJPjSI_NS0_16reverse_iteratorISI_EEEEENSH_IJSG_SG_SG_EEES9_SI_JZNS1_25segmented_radix_sort_implINS0_14default_configELb1EPK12hip_bfloat16PSP_PKlPlN2at6native12_GLOBAL__N_18offset_tEEE10hipError_tPvRmT1_PNSt15iterator_traitsIS13_E10value_typeET2_T3_PNS14_IS19_E10value_typeET4_jRbjT5_S1F_jjP12ihipStream_tbEUljE_ZNSN_ISO_Lb1ESR_SS_SU_SV_SZ_EES10_S11_S12_S13_S17_S18_S19_S1C_S1D_jS1E_jS1F_S1F_jjS1H_bEUljE0_EEES10_S11_S12_S19_S1D_S1F_T6_T7_T9_mT8_S1H_bDpT10_ENKUlT_T0_E_clISt17integral_constantIbLb0EES1V_EEDaS1Q_S1R_EUlS1Q_E_NS1_11comp_targetILNS1_3genE3ELNS1_11target_archE908ELNS1_3gpuE7ELNS1_3repE0EEENS1_30default_config_static_selectorELNS0_4arch9wavefront6targetE1EEEvS13_.num_named_barrier, 0
	.set _ZN7rocprim17ROCPRIM_400000_NS6detail17trampoline_kernelINS0_13select_configILj256ELj13ELNS0_17block_load_methodE3ELS4_3ELS4_3ELNS0_20block_scan_algorithmE0ELj4294967295EEENS1_25partition_config_selectorILNS1_17partition_subalgoE4EjNS0_10empty_typeEbEEZZNS1_14partition_implILS8_4ELb0ES6_15HIP_vector_typeIjLj2EENS0_17counting_iteratorIjlEEPS9_SG_NS0_5tupleIJPjSI_NS0_16reverse_iteratorISI_EEEEENSH_IJSG_SG_SG_EEES9_SI_JZNS1_25segmented_radix_sort_implINS0_14default_configELb1EPK12hip_bfloat16PSP_PKlPlN2at6native12_GLOBAL__N_18offset_tEEE10hipError_tPvRmT1_PNSt15iterator_traitsIS13_E10value_typeET2_T3_PNS14_IS19_E10value_typeET4_jRbjT5_S1F_jjP12ihipStream_tbEUljE_ZNSN_ISO_Lb1ESR_SS_SU_SV_SZ_EES10_S11_S12_S13_S17_S18_S19_S1C_S1D_jS1E_jS1F_S1F_jjS1H_bEUljE0_EEES10_S11_S12_S19_S1D_S1F_T6_T7_T9_mT8_S1H_bDpT10_ENKUlT_T0_E_clISt17integral_constantIbLb0EES1V_EEDaS1Q_S1R_EUlS1Q_E_NS1_11comp_targetILNS1_3genE3ELNS1_11target_archE908ELNS1_3gpuE7ELNS1_3repE0EEENS1_30default_config_static_selectorELNS0_4arch9wavefront6targetE1EEEvS13_.private_seg_size, 0
	.set _ZN7rocprim17ROCPRIM_400000_NS6detail17trampoline_kernelINS0_13select_configILj256ELj13ELNS0_17block_load_methodE3ELS4_3ELS4_3ELNS0_20block_scan_algorithmE0ELj4294967295EEENS1_25partition_config_selectorILNS1_17partition_subalgoE4EjNS0_10empty_typeEbEEZZNS1_14partition_implILS8_4ELb0ES6_15HIP_vector_typeIjLj2EENS0_17counting_iteratorIjlEEPS9_SG_NS0_5tupleIJPjSI_NS0_16reverse_iteratorISI_EEEEENSH_IJSG_SG_SG_EEES9_SI_JZNS1_25segmented_radix_sort_implINS0_14default_configELb1EPK12hip_bfloat16PSP_PKlPlN2at6native12_GLOBAL__N_18offset_tEEE10hipError_tPvRmT1_PNSt15iterator_traitsIS13_E10value_typeET2_T3_PNS14_IS19_E10value_typeET4_jRbjT5_S1F_jjP12ihipStream_tbEUljE_ZNSN_ISO_Lb1ESR_SS_SU_SV_SZ_EES10_S11_S12_S13_S17_S18_S19_S1C_S1D_jS1E_jS1F_S1F_jjS1H_bEUljE0_EEES10_S11_S12_S19_S1D_S1F_T6_T7_T9_mT8_S1H_bDpT10_ENKUlT_T0_E_clISt17integral_constantIbLb0EES1V_EEDaS1Q_S1R_EUlS1Q_E_NS1_11comp_targetILNS1_3genE3ELNS1_11target_archE908ELNS1_3gpuE7ELNS1_3repE0EEENS1_30default_config_static_selectorELNS0_4arch9wavefront6targetE1EEEvS13_.uses_vcc, 0
	.set _ZN7rocprim17ROCPRIM_400000_NS6detail17trampoline_kernelINS0_13select_configILj256ELj13ELNS0_17block_load_methodE3ELS4_3ELS4_3ELNS0_20block_scan_algorithmE0ELj4294967295EEENS1_25partition_config_selectorILNS1_17partition_subalgoE4EjNS0_10empty_typeEbEEZZNS1_14partition_implILS8_4ELb0ES6_15HIP_vector_typeIjLj2EENS0_17counting_iteratorIjlEEPS9_SG_NS0_5tupleIJPjSI_NS0_16reverse_iteratorISI_EEEEENSH_IJSG_SG_SG_EEES9_SI_JZNS1_25segmented_radix_sort_implINS0_14default_configELb1EPK12hip_bfloat16PSP_PKlPlN2at6native12_GLOBAL__N_18offset_tEEE10hipError_tPvRmT1_PNSt15iterator_traitsIS13_E10value_typeET2_T3_PNS14_IS19_E10value_typeET4_jRbjT5_S1F_jjP12ihipStream_tbEUljE_ZNSN_ISO_Lb1ESR_SS_SU_SV_SZ_EES10_S11_S12_S13_S17_S18_S19_S1C_S1D_jS1E_jS1F_S1F_jjS1H_bEUljE0_EEES10_S11_S12_S19_S1D_S1F_T6_T7_T9_mT8_S1H_bDpT10_ENKUlT_T0_E_clISt17integral_constantIbLb0EES1V_EEDaS1Q_S1R_EUlS1Q_E_NS1_11comp_targetILNS1_3genE3ELNS1_11target_archE908ELNS1_3gpuE7ELNS1_3repE0EEENS1_30default_config_static_selectorELNS0_4arch9wavefront6targetE1EEEvS13_.uses_flat_scratch, 0
	.set _ZN7rocprim17ROCPRIM_400000_NS6detail17trampoline_kernelINS0_13select_configILj256ELj13ELNS0_17block_load_methodE3ELS4_3ELS4_3ELNS0_20block_scan_algorithmE0ELj4294967295EEENS1_25partition_config_selectorILNS1_17partition_subalgoE4EjNS0_10empty_typeEbEEZZNS1_14partition_implILS8_4ELb0ES6_15HIP_vector_typeIjLj2EENS0_17counting_iteratorIjlEEPS9_SG_NS0_5tupleIJPjSI_NS0_16reverse_iteratorISI_EEEEENSH_IJSG_SG_SG_EEES9_SI_JZNS1_25segmented_radix_sort_implINS0_14default_configELb1EPK12hip_bfloat16PSP_PKlPlN2at6native12_GLOBAL__N_18offset_tEEE10hipError_tPvRmT1_PNSt15iterator_traitsIS13_E10value_typeET2_T3_PNS14_IS19_E10value_typeET4_jRbjT5_S1F_jjP12ihipStream_tbEUljE_ZNSN_ISO_Lb1ESR_SS_SU_SV_SZ_EES10_S11_S12_S13_S17_S18_S19_S1C_S1D_jS1E_jS1F_S1F_jjS1H_bEUljE0_EEES10_S11_S12_S19_S1D_S1F_T6_T7_T9_mT8_S1H_bDpT10_ENKUlT_T0_E_clISt17integral_constantIbLb0EES1V_EEDaS1Q_S1R_EUlS1Q_E_NS1_11comp_targetILNS1_3genE3ELNS1_11target_archE908ELNS1_3gpuE7ELNS1_3repE0EEENS1_30default_config_static_selectorELNS0_4arch9wavefront6targetE1EEEvS13_.has_dyn_sized_stack, 0
	.set _ZN7rocprim17ROCPRIM_400000_NS6detail17trampoline_kernelINS0_13select_configILj256ELj13ELNS0_17block_load_methodE3ELS4_3ELS4_3ELNS0_20block_scan_algorithmE0ELj4294967295EEENS1_25partition_config_selectorILNS1_17partition_subalgoE4EjNS0_10empty_typeEbEEZZNS1_14partition_implILS8_4ELb0ES6_15HIP_vector_typeIjLj2EENS0_17counting_iteratorIjlEEPS9_SG_NS0_5tupleIJPjSI_NS0_16reverse_iteratorISI_EEEEENSH_IJSG_SG_SG_EEES9_SI_JZNS1_25segmented_radix_sort_implINS0_14default_configELb1EPK12hip_bfloat16PSP_PKlPlN2at6native12_GLOBAL__N_18offset_tEEE10hipError_tPvRmT1_PNSt15iterator_traitsIS13_E10value_typeET2_T3_PNS14_IS19_E10value_typeET4_jRbjT5_S1F_jjP12ihipStream_tbEUljE_ZNSN_ISO_Lb1ESR_SS_SU_SV_SZ_EES10_S11_S12_S13_S17_S18_S19_S1C_S1D_jS1E_jS1F_S1F_jjS1H_bEUljE0_EEES10_S11_S12_S19_S1D_S1F_T6_T7_T9_mT8_S1H_bDpT10_ENKUlT_T0_E_clISt17integral_constantIbLb0EES1V_EEDaS1Q_S1R_EUlS1Q_E_NS1_11comp_targetILNS1_3genE3ELNS1_11target_archE908ELNS1_3gpuE7ELNS1_3repE0EEENS1_30default_config_static_selectorELNS0_4arch9wavefront6targetE1EEEvS13_.has_recursion, 0
	.set _ZN7rocprim17ROCPRIM_400000_NS6detail17trampoline_kernelINS0_13select_configILj256ELj13ELNS0_17block_load_methodE3ELS4_3ELS4_3ELNS0_20block_scan_algorithmE0ELj4294967295EEENS1_25partition_config_selectorILNS1_17partition_subalgoE4EjNS0_10empty_typeEbEEZZNS1_14partition_implILS8_4ELb0ES6_15HIP_vector_typeIjLj2EENS0_17counting_iteratorIjlEEPS9_SG_NS0_5tupleIJPjSI_NS0_16reverse_iteratorISI_EEEEENSH_IJSG_SG_SG_EEES9_SI_JZNS1_25segmented_radix_sort_implINS0_14default_configELb1EPK12hip_bfloat16PSP_PKlPlN2at6native12_GLOBAL__N_18offset_tEEE10hipError_tPvRmT1_PNSt15iterator_traitsIS13_E10value_typeET2_T3_PNS14_IS19_E10value_typeET4_jRbjT5_S1F_jjP12ihipStream_tbEUljE_ZNSN_ISO_Lb1ESR_SS_SU_SV_SZ_EES10_S11_S12_S13_S17_S18_S19_S1C_S1D_jS1E_jS1F_S1F_jjS1H_bEUljE0_EEES10_S11_S12_S19_S1D_S1F_T6_T7_T9_mT8_S1H_bDpT10_ENKUlT_T0_E_clISt17integral_constantIbLb0EES1V_EEDaS1Q_S1R_EUlS1Q_E_NS1_11comp_targetILNS1_3genE3ELNS1_11target_archE908ELNS1_3gpuE7ELNS1_3repE0EEENS1_30default_config_static_selectorELNS0_4arch9wavefront6targetE1EEEvS13_.has_indirect_call, 0
	.section	.AMDGPU.csdata,"",@progbits
; Kernel info:
; codeLenInByte = 0
; TotalNumSgprs: 4
; NumVgprs: 0
; ScratchSize: 0
; MemoryBound: 0
; FloatMode: 240
; IeeeMode: 1
; LDSByteSize: 0 bytes/workgroup (compile time only)
; SGPRBlocks: 0
; VGPRBlocks: 0
; NumSGPRsForWavesPerEU: 4
; NumVGPRsForWavesPerEU: 1
; Occupancy: 10
; WaveLimiterHint : 0
; COMPUTE_PGM_RSRC2:SCRATCH_EN: 0
; COMPUTE_PGM_RSRC2:USER_SGPR: 6
; COMPUTE_PGM_RSRC2:TRAP_HANDLER: 0
; COMPUTE_PGM_RSRC2:TGID_X_EN: 1
; COMPUTE_PGM_RSRC2:TGID_Y_EN: 0
; COMPUTE_PGM_RSRC2:TGID_Z_EN: 0
; COMPUTE_PGM_RSRC2:TIDIG_COMP_CNT: 0
	.section	.text._ZN7rocprim17ROCPRIM_400000_NS6detail17trampoline_kernelINS0_13select_configILj256ELj13ELNS0_17block_load_methodE3ELS4_3ELS4_3ELNS0_20block_scan_algorithmE0ELj4294967295EEENS1_25partition_config_selectorILNS1_17partition_subalgoE4EjNS0_10empty_typeEbEEZZNS1_14partition_implILS8_4ELb0ES6_15HIP_vector_typeIjLj2EENS0_17counting_iteratorIjlEEPS9_SG_NS0_5tupleIJPjSI_NS0_16reverse_iteratorISI_EEEEENSH_IJSG_SG_SG_EEES9_SI_JZNS1_25segmented_radix_sort_implINS0_14default_configELb1EPK12hip_bfloat16PSP_PKlPlN2at6native12_GLOBAL__N_18offset_tEEE10hipError_tPvRmT1_PNSt15iterator_traitsIS13_E10value_typeET2_T3_PNS14_IS19_E10value_typeET4_jRbjT5_S1F_jjP12ihipStream_tbEUljE_ZNSN_ISO_Lb1ESR_SS_SU_SV_SZ_EES10_S11_S12_S13_S17_S18_S19_S1C_S1D_jS1E_jS1F_S1F_jjS1H_bEUljE0_EEES10_S11_S12_S19_S1D_S1F_T6_T7_T9_mT8_S1H_bDpT10_ENKUlT_T0_E_clISt17integral_constantIbLb0EES1V_EEDaS1Q_S1R_EUlS1Q_E_NS1_11comp_targetILNS1_3genE2ELNS1_11target_archE906ELNS1_3gpuE6ELNS1_3repE0EEENS1_30default_config_static_selectorELNS0_4arch9wavefront6targetE1EEEvS13_,"axG",@progbits,_ZN7rocprim17ROCPRIM_400000_NS6detail17trampoline_kernelINS0_13select_configILj256ELj13ELNS0_17block_load_methodE3ELS4_3ELS4_3ELNS0_20block_scan_algorithmE0ELj4294967295EEENS1_25partition_config_selectorILNS1_17partition_subalgoE4EjNS0_10empty_typeEbEEZZNS1_14partition_implILS8_4ELb0ES6_15HIP_vector_typeIjLj2EENS0_17counting_iteratorIjlEEPS9_SG_NS0_5tupleIJPjSI_NS0_16reverse_iteratorISI_EEEEENSH_IJSG_SG_SG_EEES9_SI_JZNS1_25segmented_radix_sort_implINS0_14default_configELb1EPK12hip_bfloat16PSP_PKlPlN2at6native12_GLOBAL__N_18offset_tEEE10hipError_tPvRmT1_PNSt15iterator_traitsIS13_E10value_typeET2_T3_PNS14_IS19_E10value_typeET4_jRbjT5_S1F_jjP12ihipStream_tbEUljE_ZNSN_ISO_Lb1ESR_SS_SU_SV_SZ_EES10_S11_S12_S13_S17_S18_S19_S1C_S1D_jS1E_jS1F_S1F_jjS1H_bEUljE0_EEES10_S11_S12_S19_S1D_S1F_T6_T7_T9_mT8_S1H_bDpT10_ENKUlT_T0_E_clISt17integral_constantIbLb0EES1V_EEDaS1Q_S1R_EUlS1Q_E_NS1_11comp_targetILNS1_3genE2ELNS1_11target_archE906ELNS1_3gpuE6ELNS1_3repE0EEENS1_30default_config_static_selectorELNS0_4arch9wavefront6targetE1EEEvS13_,comdat
	.globl	_ZN7rocprim17ROCPRIM_400000_NS6detail17trampoline_kernelINS0_13select_configILj256ELj13ELNS0_17block_load_methodE3ELS4_3ELS4_3ELNS0_20block_scan_algorithmE0ELj4294967295EEENS1_25partition_config_selectorILNS1_17partition_subalgoE4EjNS0_10empty_typeEbEEZZNS1_14partition_implILS8_4ELb0ES6_15HIP_vector_typeIjLj2EENS0_17counting_iteratorIjlEEPS9_SG_NS0_5tupleIJPjSI_NS0_16reverse_iteratorISI_EEEEENSH_IJSG_SG_SG_EEES9_SI_JZNS1_25segmented_radix_sort_implINS0_14default_configELb1EPK12hip_bfloat16PSP_PKlPlN2at6native12_GLOBAL__N_18offset_tEEE10hipError_tPvRmT1_PNSt15iterator_traitsIS13_E10value_typeET2_T3_PNS14_IS19_E10value_typeET4_jRbjT5_S1F_jjP12ihipStream_tbEUljE_ZNSN_ISO_Lb1ESR_SS_SU_SV_SZ_EES10_S11_S12_S13_S17_S18_S19_S1C_S1D_jS1E_jS1F_S1F_jjS1H_bEUljE0_EEES10_S11_S12_S19_S1D_S1F_T6_T7_T9_mT8_S1H_bDpT10_ENKUlT_T0_E_clISt17integral_constantIbLb0EES1V_EEDaS1Q_S1R_EUlS1Q_E_NS1_11comp_targetILNS1_3genE2ELNS1_11target_archE906ELNS1_3gpuE6ELNS1_3repE0EEENS1_30default_config_static_selectorELNS0_4arch9wavefront6targetE1EEEvS13_ ; -- Begin function _ZN7rocprim17ROCPRIM_400000_NS6detail17trampoline_kernelINS0_13select_configILj256ELj13ELNS0_17block_load_methodE3ELS4_3ELS4_3ELNS0_20block_scan_algorithmE0ELj4294967295EEENS1_25partition_config_selectorILNS1_17partition_subalgoE4EjNS0_10empty_typeEbEEZZNS1_14partition_implILS8_4ELb0ES6_15HIP_vector_typeIjLj2EENS0_17counting_iteratorIjlEEPS9_SG_NS0_5tupleIJPjSI_NS0_16reverse_iteratorISI_EEEEENSH_IJSG_SG_SG_EEES9_SI_JZNS1_25segmented_radix_sort_implINS0_14default_configELb1EPK12hip_bfloat16PSP_PKlPlN2at6native12_GLOBAL__N_18offset_tEEE10hipError_tPvRmT1_PNSt15iterator_traitsIS13_E10value_typeET2_T3_PNS14_IS19_E10value_typeET4_jRbjT5_S1F_jjP12ihipStream_tbEUljE_ZNSN_ISO_Lb1ESR_SS_SU_SV_SZ_EES10_S11_S12_S13_S17_S18_S19_S1C_S1D_jS1E_jS1F_S1F_jjS1H_bEUljE0_EEES10_S11_S12_S19_S1D_S1F_T6_T7_T9_mT8_S1H_bDpT10_ENKUlT_T0_E_clISt17integral_constantIbLb0EES1V_EEDaS1Q_S1R_EUlS1Q_E_NS1_11comp_targetILNS1_3genE2ELNS1_11target_archE906ELNS1_3gpuE6ELNS1_3repE0EEENS1_30default_config_static_selectorELNS0_4arch9wavefront6targetE1EEEvS13_
	.p2align	8
	.type	_ZN7rocprim17ROCPRIM_400000_NS6detail17trampoline_kernelINS0_13select_configILj256ELj13ELNS0_17block_load_methodE3ELS4_3ELS4_3ELNS0_20block_scan_algorithmE0ELj4294967295EEENS1_25partition_config_selectorILNS1_17partition_subalgoE4EjNS0_10empty_typeEbEEZZNS1_14partition_implILS8_4ELb0ES6_15HIP_vector_typeIjLj2EENS0_17counting_iteratorIjlEEPS9_SG_NS0_5tupleIJPjSI_NS0_16reverse_iteratorISI_EEEEENSH_IJSG_SG_SG_EEES9_SI_JZNS1_25segmented_radix_sort_implINS0_14default_configELb1EPK12hip_bfloat16PSP_PKlPlN2at6native12_GLOBAL__N_18offset_tEEE10hipError_tPvRmT1_PNSt15iterator_traitsIS13_E10value_typeET2_T3_PNS14_IS19_E10value_typeET4_jRbjT5_S1F_jjP12ihipStream_tbEUljE_ZNSN_ISO_Lb1ESR_SS_SU_SV_SZ_EES10_S11_S12_S13_S17_S18_S19_S1C_S1D_jS1E_jS1F_S1F_jjS1H_bEUljE0_EEES10_S11_S12_S19_S1D_S1F_T6_T7_T9_mT8_S1H_bDpT10_ENKUlT_T0_E_clISt17integral_constantIbLb0EES1V_EEDaS1Q_S1R_EUlS1Q_E_NS1_11comp_targetILNS1_3genE2ELNS1_11target_archE906ELNS1_3gpuE6ELNS1_3repE0EEENS1_30default_config_static_selectorELNS0_4arch9wavefront6targetE1EEEvS13_,@function
_ZN7rocprim17ROCPRIM_400000_NS6detail17trampoline_kernelINS0_13select_configILj256ELj13ELNS0_17block_load_methodE3ELS4_3ELS4_3ELNS0_20block_scan_algorithmE0ELj4294967295EEENS1_25partition_config_selectorILNS1_17partition_subalgoE4EjNS0_10empty_typeEbEEZZNS1_14partition_implILS8_4ELb0ES6_15HIP_vector_typeIjLj2EENS0_17counting_iteratorIjlEEPS9_SG_NS0_5tupleIJPjSI_NS0_16reverse_iteratorISI_EEEEENSH_IJSG_SG_SG_EEES9_SI_JZNS1_25segmented_radix_sort_implINS0_14default_configELb1EPK12hip_bfloat16PSP_PKlPlN2at6native12_GLOBAL__N_18offset_tEEE10hipError_tPvRmT1_PNSt15iterator_traitsIS13_E10value_typeET2_T3_PNS14_IS19_E10value_typeET4_jRbjT5_S1F_jjP12ihipStream_tbEUljE_ZNSN_ISO_Lb1ESR_SS_SU_SV_SZ_EES10_S11_S12_S13_S17_S18_S19_S1C_S1D_jS1E_jS1F_S1F_jjS1H_bEUljE0_EEES10_S11_S12_S19_S1D_S1F_T6_T7_T9_mT8_S1H_bDpT10_ENKUlT_T0_E_clISt17integral_constantIbLb0EES1V_EEDaS1Q_S1R_EUlS1Q_E_NS1_11comp_targetILNS1_3genE2ELNS1_11target_archE906ELNS1_3gpuE6ELNS1_3repE0EEENS1_30default_config_static_selectorELNS0_4arch9wavefront6targetE1EEEvS13_: ; @_ZN7rocprim17ROCPRIM_400000_NS6detail17trampoline_kernelINS0_13select_configILj256ELj13ELNS0_17block_load_methodE3ELS4_3ELS4_3ELNS0_20block_scan_algorithmE0ELj4294967295EEENS1_25partition_config_selectorILNS1_17partition_subalgoE4EjNS0_10empty_typeEbEEZZNS1_14partition_implILS8_4ELb0ES6_15HIP_vector_typeIjLj2EENS0_17counting_iteratorIjlEEPS9_SG_NS0_5tupleIJPjSI_NS0_16reverse_iteratorISI_EEEEENSH_IJSG_SG_SG_EEES9_SI_JZNS1_25segmented_radix_sort_implINS0_14default_configELb1EPK12hip_bfloat16PSP_PKlPlN2at6native12_GLOBAL__N_18offset_tEEE10hipError_tPvRmT1_PNSt15iterator_traitsIS13_E10value_typeET2_T3_PNS14_IS19_E10value_typeET4_jRbjT5_S1F_jjP12ihipStream_tbEUljE_ZNSN_ISO_Lb1ESR_SS_SU_SV_SZ_EES10_S11_S12_S13_S17_S18_S19_S1C_S1D_jS1E_jS1F_S1F_jjS1H_bEUljE0_EEES10_S11_S12_S19_S1D_S1F_T6_T7_T9_mT8_S1H_bDpT10_ENKUlT_T0_E_clISt17integral_constantIbLb0EES1V_EEDaS1Q_S1R_EUlS1Q_E_NS1_11comp_targetILNS1_3genE2ELNS1_11target_archE906ELNS1_3gpuE6ELNS1_3repE0EEENS1_30default_config_static_selectorELNS0_4arch9wavefront6targetE1EEEvS13_
; %bb.0:
	s_load_dwordx2 s[0:1], s[4:5], 0x68
	s_load_dwordx4 s[44:47], s[4:5], 0x58
	s_load_dword s8, s[4:5], 0x8
	s_load_dwordx2 s[56:57], s[4:5], 0x10
	s_load_dword s7, s[4:5], 0x80
	s_load_dwordx2 s[58:59], s[4:5], 0xa8
	s_load_dwordx8 s[36:43], s[4:5], 0x88
	s_waitcnt lgkmcnt(0)
	s_load_dwordx4 s[48:51], s[46:47], 0x0
	s_mul_i32 s33, s6, 0xd00
	s_add_i32 s9, s7, -1
	s_mulk_i32 s7, 0xd00
	s_add_u32 s2, s56, s7
	s_addc_u32 s3, s57, 0
	v_mov_b32_e32 v1, s2
	v_mov_b32_e32 v2, s3
	s_cmp_eq_u32 s6, s9
	v_cmp_gt_u64_e32 vcc, s[0:1], v[1:2]
	s_cselect_b64 s[34:35], -1, 0
	s_cmp_lg_u32 s6, s9
	s_cselect_b64 s[2:3], -1, 0
	s_add_i32 s1, s8, s33
	s_or_b64 s[2:3], s[2:3], vcc
	s_add_i32 s1, s1, s56
	s_mov_b64 s[8:9], -1
	s_and_b64 vcc, exec, s[2:3]
	v_add_u32_e32 v1, s1, v0
	s_cbranch_vccz .LBB1886_2
; %bb.1:
	v_add_u32_e32 v2, 0x100, v1
	v_lshlrev_b32_e32 v14, 2, v0
	v_add_u32_e32 v3, 0x200, v1
	v_add_u32_e32 v4, 0x300, v1
	;; [unrolled: 1-line block ×11, first 2 shown]
	ds_write2st64_b32 v14, v1, v2 offset1:4
	ds_write2st64_b32 v14, v3, v4 offset0:8 offset1:12
	ds_write2st64_b32 v14, v5, v6 offset0:16 offset1:20
	;; [unrolled: 1-line block ×5, first 2 shown]
	ds_write_b32 v14, v13 offset:12288
	s_waitcnt lgkmcnt(0)
	s_barrier
	s_mov_b64 s[8:9], 0
.LBB1886_2:
	s_andn2_b64 vcc, exec, s[8:9]
	s_add_i32 s7, s7, s56
	s_cbranch_vccnz .LBB1886_4
; %bb.3:
	v_add_u32_e32 v2, 0x100, v1
	v_lshlrev_b32_e32 v14, 2, v0
	v_add_u32_e32 v3, 0x200, v1
	v_add_u32_e32 v4, 0x300, v1
	;; [unrolled: 1-line block ×11, first 2 shown]
	ds_write2st64_b32 v14, v1, v2 offset1:4
	ds_write2st64_b32 v14, v3, v4 offset0:8 offset1:12
	ds_write2st64_b32 v14, v5, v6 offset0:16 offset1:20
	;; [unrolled: 1-line block ×5, first 2 shown]
	ds_write_b32 v14, v13 offset:12288
	s_waitcnt lgkmcnt(0)
	s_barrier
.LBB1886_4:
	v_mul_u32_u24_e32 v30, 13, v0
	v_lshlrev_b32_e32 v1, 2, v30
	s_load_dwordx4 s[52:55], s[4:5], 0x28
	s_load_dwordx2 s[46:47], s[4:5], 0x38
	s_waitcnt lgkmcnt(0)
	ds_read_b32 v29, v1 offset:48
	ds_read2_b32 v[9:10], v1 offset0:10 offset1:11
	ds_read2_b32 v[11:12], v1 offset0:8 offset1:9
	;; [unrolled: 1-line block ×4, first 2 shown]
	ds_read2_b32 v[19:20], v1 offset1:1
	ds_read2_b32 v[17:18], v1 offset0:2 offset1:3
	v_cndmask_b32_e64 v1, 0, 1, s[2:3]
	s_sub_i32 s7, s0, s7
	v_cmp_ne_u32_e64 s[0:1], 1, v1
	s_andn2_b64 vcc, exec, s[2:3]
	s_waitcnt lgkmcnt(0)
	s_barrier
	s_cbranch_vccnz .LBB1886_32
; %bb.5:
	v_add_u32_e32 v1, s37, v19
	v_add_u32_e32 v2, s39, v19
	v_mul_lo_u32 v1, v1, s36
	v_mul_lo_u32 v2, v2, s38
	s_mov_b64 s[62:63], 0
	s_mov_b64 s[60:61], 0
	v_sub_u32_e32 v1, v1, v2
	v_cmp_lt_u32_e32 vcc, s40, v1
	v_cmp_ge_u32_e64 s[2:3], s40, v1
	s_and_saveexec_b64 s[8:9], s[2:3]
	s_cbranch_execz .LBB1886_7
; %bb.6:
	v_add_u32_e32 v1, s42, v19
	v_add_u32_e32 v2, s58, v19
	v_mul_lo_u32 v1, v1, s41
	v_mul_lo_u32 v2, v2, s43
	v_sub_u32_e32 v1, v1, v2
	v_cmp_lt_u32_e64 s[2:3], s59, v1
	s_and_b64 s[60:61], s[2:3], exec
.LBB1886_7:
	s_or_b64 exec, exec, s[8:9]
	v_add_u32_e32 v1, s37, v20
	v_add_u32_e32 v2, s39, v20
	v_mul_lo_u32 v1, v1, s36
	v_mul_lo_u32 v2, v2, s38
	v_sub_u32_e32 v1, v1, v2
	v_cmp_lt_u32_e64 s[2:3], s40, v1
	v_cmp_ge_u32_e64 s[8:9], s40, v1
	s_and_saveexec_b64 s[10:11], s[8:9]
	s_cbranch_execz .LBB1886_9
; %bb.8:
	v_add_u32_e32 v1, s42, v20
	v_add_u32_e32 v2, s58, v20
	v_mul_lo_u32 v1, v1, s41
	v_mul_lo_u32 v2, v2, s43
	v_sub_u32_e32 v1, v1, v2
	v_cmp_lt_u32_e64 s[8:9], s59, v1
	s_and_b64 s[62:63], s[8:9], exec
.LBB1886_9:
	s_or_b64 exec, exec, s[10:11]
	v_add_u32_e32 v1, s37, v17
	v_add_u32_e32 v2, s39, v17
	v_mul_lo_u32 v1, v1, s36
	v_mul_lo_u32 v2, v2, s38
	s_mov_b64 s[66:67], 0
	s_mov_b64 s[64:65], 0
	v_sub_u32_e32 v1, v1, v2
	v_cmp_lt_u32_e64 s[28:29], s40, v1
	v_cmp_ge_u32_e64 s[8:9], s40, v1
	s_and_saveexec_b64 s[10:11], s[8:9]
	s_cbranch_execz .LBB1886_11
; %bb.10:
	v_add_u32_e32 v1, s42, v17
	v_add_u32_e32 v2, s58, v17
	v_mul_lo_u32 v1, v1, s41
	v_mul_lo_u32 v2, v2, s43
	v_sub_u32_e32 v1, v1, v2
	v_cmp_lt_u32_e64 s[8:9], s59, v1
	s_and_b64 s[64:65], s[8:9], exec
.LBB1886_11:
	s_or_b64 exec, exec, s[10:11]
	v_add_u32_e32 v1, s37, v18
	v_add_u32_e32 v2, s39, v18
	v_mul_lo_u32 v1, v1, s36
	v_mul_lo_u32 v2, v2, s38
	v_sub_u32_e32 v1, v1, v2
	v_cmp_lt_u32_e64 s[8:9], s40, v1
	v_cmp_ge_u32_e64 s[10:11], s40, v1
	s_and_saveexec_b64 s[12:13], s[10:11]
	s_cbranch_execz .LBB1886_13
; %bb.12:
	v_add_u32_e32 v1, s42, v18
	v_add_u32_e32 v2, s58, v18
	v_mul_lo_u32 v1, v1, s41
	v_mul_lo_u32 v2, v2, s43
	v_sub_u32_e32 v1, v1, v2
	v_cmp_lt_u32_e64 s[10:11], s59, v1
	s_and_b64 s[66:67], s[10:11], exec
.LBB1886_13:
	s_or_b64 exec, exec, s[12:13]
	v_add_u32_e32 v1, s37, v15
	v_add_u32_e32 v2, s39, v15
	v_mul_lo_u32 v1, v1, s36
	v_mul_lo_u32 v2, v2, s38
	s_mov_b64 s[70:71], 0
	s_mov_b64 s[68:69], 0
	v_sub_u32_e32 v1, v1, v2
	v_cmp_lt_u32_e64 s[10:11], s40, v1
	;; [unrolled: 40-line block ×6, first 2 shown]
	v_cmp_ge_u32_e64 s[30:31], s40, v1
	s_and_saveexec_b64 s[88:89], s[30:31]
	s_cbranch_execz .LBB1886_31
; %bb.30:
	v_add_u32_e32 v1, s42, v29
	v_add_u32_e32 v2, s58, v29
	v_mul_lo_u32 v1, v1, s41
	v_mul_lo_u32 v2, v2, s43
	v_sub_u32_e32 v1, v1, v2
	v_cmp_lt_u32_e64 s[30:31], s59, v1
	s_and_b64 s[86:87], s[30:31], exec
.LBB1886_31:
	s_or_b64 exec, exec, s[88:89]
	v_cndmask_b32_e64 v2, 0, 1, s[2:3]
	v_cndmask_b32_e64 v1, 0, 1, vcc
	v_cndmask_b32_e64 v4, 0, 1, s[8:9]
	v_lshlrev_b16_e32 v2, 8, v2
	v_cndmask_b32_e64 v3, 0, 1, s[28:29]
	v_or_b32_e32 v1, v1, v2
	v_lshlrev_b16_e32 v2, 8, v4
	v_cndmask_b32_e64 v6, 0, 1, s[12:13]
	v_cndmask_b32_e64 v8, 0, 1, s[16:17]
	v_or_b32_sdwa v2, v3, v2 dst_sel:WORD_1 dst_unused:UNUSED_PAD src0_sel:DWORD src1_sel:DWORD
	v_cndmask_b32_e64 v5, 0, 1, s[10:11]
	v_cndmask_b32_e64 v7, 0, 1, s[14:15]
	v_or_b32_sdwa v31, v1, v2 dst_sel:DWORD dst_unused:UNUSED_PAD src0_sel:WORD_0 src1_sel:DWORD
	v_lshlrev_b16_e32 v1, 8, v6
	v_lshlrev_b16_e32 v2, 8, v8
	v_cndmask_b32_e64 v22, 0, 1, s[20:21]
	v_cndmask_b32_e64 v25, 0, 1, s[24:25]
	v_or_b32_e32 v1, v5, v1
	v_or_b32_sdwa v2, v7, v2 dst_sel:WORD_1 dst_unused:UNUSED_PAD src0_sel:DWORD src1_sel:DWORD
	v_cndmask_b32_e64 v21, 0, 1, s[18:19]
	v_cndmask_b32_e64 v23, 0, 1, s[22:23]
	v_or_b32_sdwa v33, v1, v2 dst_sel:DWORD dst_unused:UNUSED_PAD src0_sel:WORD_0 src1_sel:DWORD
	v_lshlrev_b16_e32 v1, 8, v22
	v_lshlrev_b16_e32 v2, 8, v25
	v_cndmask_b32_e64 v37, 0, 1, s[64:65]
	v_cndmask_b32_e64 v42, 0, 1, s[60:61]
	v_or_b32_e32 v1, v21, v1
	v_or_b32_sdwa v2, v23, v2 dst_sel:WORD_1 dst_unused:UNUSED_PAD src0_sel:DWORD src1_sel:DWORD
	v_cndmask_b32_e64 v41, 0, 1, s[62:63]
	v_cndmask_b32_e64 v43, 0, 1, s[26:27]
	v_or_b32_sdwa v36, v1, v2 dst_sel:DWORD dst_unused:UNUSED_PAD src0_sel:WORD_0 src1_sel:DWORD
	v_lshlrev_b16_e32 v1, 8, v42
	v_lshlrev_b16_e32 v2, 8, v37
	v_cndmask_b32_e64 v32, 0, 1, s[72:73]
	v_cndmask_b32_e64 v39, 0, 1, s[68:69]
	v_or_b32_e32 v1, v43, v1
	v_or_b32_sdwa v2, v41, v2 dst_sel:WORD_1 dst_unused:UNUSED_PAD src0_sel:DWORD src1_sel:DWORD
	v_cndmask_b32_e64 v34, 0, 1, s[70:71]
	v_cndmask_b32_e64 v40, 0, 1, s[66:67]
	v_or_b32_sdwa v37, v1, v2 dst_sel:DWORD dst_unused:UNUSED_PAD src0_sel:WORD_0 src1_sel:DWORD
	v_lshlrev_b16_e32 v1, 8, v39
	v_lshlrev_b16_e32 v2, 8, v32
	v_cndmask_b32_e64 v24, 0, 1, s[84:85]
	v_cndmask_b32_e64 v27, 0, 1, s[76:77]
	v_or_b32_e32 v1, v40, v1
	v_or_b32_sdwa v2, v34, v2 dst_sel:WORD_1 dst_unused:UNUSED_PAD src0_sel:DWORD src1_sel:DWORD
	v_cndmask_b32_e64 v26, 0, 1, s[78:79]
	v_cndmask_b32_e64 v28, 0, 1, s[74:75]
	v_or_b32_sdwa v32, v1, v2 dst_sel:DWORD dst_unused:UNUSED_PAD src0_sel:WORD_0 src1_sel:DWORD
	v_lshlrev_b16_e32 v1, 8, v27
	v_lshlrev_b16_e32 v2, 8, v24
	v_or_b32_e32 v1, v28, v1
	v_or_b32_sdwa v2, v26, v2 dst_sel:WORD_1 dst_unused:UNUSED_PAD src0_sel:DWORD src1_sel:DWORD
	v_cndmask_b32_e64 v35, 0, 1, s[82:83]
	v_cndmask_b32_e64 v38, 0, 1, s[86:87]
	v_or_b32_sdwa v34, v1, v2 dst_sel:DWORD dst_unused:UNUSED_PAD src0_sel:WORD_0 src1_sel:DWORD
	s_load_dwordx2 s[12:13], s[4:5], 0x78
	s_add_i32 s18, s7, 0xd00
	s_and_b64 vcc, exec, s[80:81]
	s_cbranch_vccnz .LBB1886_33
	s_branch .LBB1886_110
.LBB1886_32:
                                        ; implicit-def: $vgpr38
                                        ; implicit-def: $vgpr35
                                        ; implicit-def: $vgpr34
                                        ; implicit-def: $vgpr32
                                        ; implicit-def: $vgpr37
                                        ; implicit-def: $vgpr36
                                        ; implicit-def: $vgpr33
                                        ; implicit-def: $vgpr31
	s_load_dwordx2 s[12:13], s[4:5], 0x78
	s_add_i32 s18, s7, 0xd00
	s_cbranch_execz .LBB1886_110
.LBB1886_33:
	v_cmp_gt_u32_e32 vcc, s18, v30
	v_mov_b32_e32 v2, 0
	v_mov_b32_e32 v1, 0
	s_and_saveexec_b64 s[4:5], vcc
	s_cbranch_execz .LBB1886_37
; %bb.34:
	v_add_u32_e32 v1, s37, v19
	v_add_u32_e32 v2, s39, v19
	v_mul_lo_u32 v1, v1, s36
	v_mul_lo_u32 v2, v2, s38
	s_mov_b64 s[10:11], 0
	v_sub_u32_e32 v1, v1, v2
	v_cmp_lt_u32_e32 vcc, s40, v1
	v_cmp_ge_u32_e64 s[2:3], s40, v1
	s_and_saveexec_b64 s[8:9], s[2:3]
	s_cbranch_execz .LBB1886_36
; %bb.35:
	v_add_u32_e32 v1, s42, v19
	v_add_u32_e32 v2, s58, v19
	v_mul_lo_u32 v1, v1, s41
	v_mul_lo_u32 v2, v2, s43
	v_sub_u32_e32 v1, v1, v2
	v_cmp_lt_u32_e64 s[2:3], s59, v1
	s_and_b64 s[10:11], s[2:3], exec
.LBB1886_36:
	s_or_b64 exec, exec, s[8:9]
	v_cndmask_b32_e64 v2, 0, 1, s[10:11]
	v_cndmask_b32_e64 v1, 0, 1, vcc
.LBB1886_37:
	s_or_b64 exec, exec, s[4:5]
	v_lshlrev_b16_e32 v7, 8, v2
	v_add_u32_e32 v2, 1, v30
	v_cmp_le_u32_e32 vcc, s18, v2
	v_lshlrev_b16_e64 v4, 8, 0
                                        ; implicit-def: $vgpr3
                                        ; implicit-def: $vgpr5
                                        ; implicit-def: $vgpr6
                                        ; implicit-def: $vgpr2
                                        ; implicit-def: $vgpr8
	s_and_saveexec_b64 s[2:3], vcc
	s_xor_b64 s[2:3], exec, s[2:3]
; %bb.38:
	v_mov_b32_e32 v2, 8
	v_lshrrev_b32_sdwa v3, v2, v7 dst_sel:BYTE_1 dst_unused:UNUSED_PAD src0_sel:DWORD src1_sel:DWORD
	v_and_b32_e32 v8, 0xff, v1
	v_or_b32_sdwa v1, v7, v3 dst_sel:DWORD dst_unused:UNUSED_PAD src0_sel:BYTE_0 src1_sel:DWORD
	v_mov_b32_e32 v5, 0
	v_lshlrev_b16_e64 v4, 8, 0
	v_lshlrev_b16_e64 v2, 8, 0
	v_and_b32_e32 v6, 0xffff, v1
	v_lshlrev_b16_e64 v3, 8, 0
                                        ; implicit-def: $vgpr1
                                        ; implicit-def: $vgpr7
; %bb.39:
	s_andn2_saveexec_b64 s[4:5], s[2:3]
	s_cbranch_execz .LBB1886_43
; %bb.40:
	v_add_u32_e32 v2, s37, v20
	v_add_u32_e32 v3, s39, v20
	v_mul_lo_u32 v2, v2, s36
	v_mul_lo_u32 v3, v3, s38
	s_mov_b64 s[8:9], 0
	v_sub_u32_e32 v2, v2, v3
	v_cmp_lt_u32_e32 vcc, s40, v2
	v_cmp_ge_u32_e64 s[2:3], s40, v2
	s_and_saveexec_b64 s[10:11], s[2:3]
	s_cbranch_execz .LBB1886_42
; %bb.41:
	v_add_u32_e32 v2, s42, v20
	v_add_u32_e32 v3, s58, v20
	v_mul_lo_u32 v2, v2, s41
	v_mul_lo_u32 v3, v3, s43
	v_sub_u32_e32 v2, v2, v3
	v_cmp_lt_u32_e64 s[2:3], s59, v2
	s_and_b64 s[8:9], s[2:3], exec
.LBB1886_42:
	s_or_b64 exec, exec, s[10:11]
	v_cndmask_b32_e64 v3, 0, 1, vcc
	v_lshlrev_b16_e32 v3, 8, v3
	v_or_b32_sdwa v1, v1, v3 dst_sel:DWORD dst_unused:UNUSED_PAD src0_sel:BYTE_0 src1_sel:DWORD
	v_and_b32_e32 v8, 0xffff, v1
	v_mov_b32_e32 v1, 8
	v_lshrrev_b32_sdwa v1, v1, v7 dst_sel:BYTE_1 dst_unused:UNUSED_PAD src0_sel:DWORD src1_sel:DWORD
	v_or_b32_sdwa v1, v7, v1 dst_sel:DWORD dst_unused:UNUSED_PAD src0_sel:BYTE_0 src1_sel:DWORD
	v_and_b32_e32 v1, 0xffff, v1
	v_cndmask_b32_e64 v3, 0, 1, s[8:9]
	v_mov_b32_e32 v2, 0
	v_mov_b32_e32 v5, 0
	v_lshl_or_b32 v6, v3, 16, v1
	v_lshlrev_b16_e64 v3, 8, 0
.LBB1886_43:
	s_or_b64 exec, exec, s[4:5]
	v_add_u32_e32 v1, 2, v30
	v_cmp_le_u32_e32 vcc, s18, v1
	v_lshrrev_b32_e32 v21, 24, v8
                                        ; implicit-def: $vgpr1
                                        ; implicit-def: $vgpr7
	s_and_saveexec_b64 s[2:3], vcc
	s_xor_b64 s[2:3], exec, s[2:3]
	s_cbranch_execz .LBB1886_45
; %bb.44:
	s_mov_b32 s4, 0x40c0100
	v_perm_b32 v7, v21, v8, s4
	v_mov_b32_e32 v8, 8
	v_lshrrev_b32_sdwa v8, v8, v7 dst_sel:BYTE_1 dst_unused:UNUSED_PAD src0_sel:DWORD src1_sel:DWORD
	v_or_b32_sdwa v8, v7, v8 dst_sel:DWORD dst_unused:UNUSED_PAD src0_sel:BYTE_0 src1_sel:DWORD
	v_and_b32_e32 v8, 0xffff, v8
	s_mov_b32 s4, 0xff000000
	v_and_or_b32 v7, v7, s4, v8
	s_mov_b32 s4, 0x3060504
	v_and_b32_e32 v1, 0xff0000, v6
	v_perm_b32 v4, v4, v4, s4
	s_mov_b32 s4, 0x3020504
	v_perm_b32 v1, v6, v1, s4
                                        ; implicit-def: $vgpr8
                                        ; implicit-def: $vgpr21
                                        ; implicit-def: $vgpr6
.LBB1886_45:
	s_andn2_saveexec_b64 s[4:5], s[2:3]
	s_cbranch_execz .LBB1886_49
; %bb.46:
	v_add_u32_e32 v1, s37, v17
	v_add_u32_e32 v7, s39, v17
	v_mul_lo_u32 v1, v1, s36
	v_mul_lo_u32 v7, v7, s38
	s_mov_b64 s[8:9], 0
	v_sub_u32_e32 v1, v1, v7
	v_cmp_lt_u32_e32 vcc, s40, v1
	v_cmp_ge_u32_e64 s[2:3], s40, v1
	s_and_saveexec_b64 s[10:11], s[2:3]
	s_cbranch_execz .LBB1886_48
; %bb.47:
	v_add_u32_e32 v1, s42, v17
	v_add_u32_e32 v7, s58, v17
	v_mul_lo_u32 v1, v1, s41
	v_mul_lo_u32 v7, v7, s43
	v_sub_u32_e32 v1, v1, v7
	v_cmp_lt_u32_e64 s[2:3], s59, v1
	s_and_b64 s[8:9], s[2:3], exec
.LBB1886_48:
	s_or_b64 exec, exec, s[10:11]
	v_mov_b32_e32 v23, 8
	v_lshrrev_b32_sdwa v7, v23, v8 dst_sel:BYTE_1 dst_unused:UNUSED_PAD src0_sel:DWORD src1_sel:DWORD
	v_cndmask_b32_e64 v1, 0, 1, vcc
	v_or_b32_sdwa v7, v8, v7 dst_sel:DWORD dst_unused:UNUSED_PAD src0_sel:BYTE_0 src1_sel:DWORD
	v_lshlrev_b16_e32 v8, 8, v21
	v_or_b32_sdwa v1, v1, v8 dst_sel:WORD_1 dst_unused:UNUSED_PAD src0_sel:DWORD src1_sel:DWORD
	v_cndmask_b32_e64 v22, 0, 1, s[8:9]
	s_movk_i32 s2, 0xff
	v_or_b32_sdwa v7, v7, v1 dst_sel:DWORD dst_unused:UNUSED_PAD src0_sel:WORD_0 src1_sel:DWORD
	v_lshrrev_b32_sdwa v1, v23, v6 dst_sel:BYTE_1 dst_unused:UNUSED_PAD src0_sel:DWORD src1_sel:DWORD
	v_or_b32_sdwa v1, v6, v1 dst_sel:DWORD dst_unused:UNUSED_PAD src0_sel:BYTE_0 src1_sel:DWORD
	v_lshlrev_b16_e32 v8, 8, v22
	v_and_b32_sdwa v6, v6, s2 dst_sel:DWORD dst_unused:UNUSED_PAD src0_sel:WORD_1 src1_sel:DWORD
	v_or_b32_sdwa v6, v6, v8 dst_sel:WORD_1 dst_unused:UNUSED_PAD src0_sel:DWORD src1_sel:DWORD
	v_or_b32_sdwa v1, v1, v6 dst_sel:DWORD dst_unused:UNUSED_PAD src0_sel:WORD_0 src1_sel:DWORD
.LBB1886_49:
	s_or_b64 exec, exec, s[4:5]
	v_add_u32_e32 v6, 3, v30
	v_cmp_le_u32_e32 vcc, s18, v6
	v_lshrrev_b32_e32 v8, 24, v5
                                        ; implicit-def: $vgpr6
                                        ; implicit-def: $vgpr31
	s_and_saveexec_b64 s[2:3], vcc
	s_xor_b64 s[2:3], exec, s[2:3]
	s_cbranch_execz .LBB1886_51
; %bb.50:
	v_and_b32_e32 v6, 0xff0000, v7
	s_mov_b32 s4, 0x3020504
	s_movk_i32 s5, 0xff
	v_perm_b32 v31, v7, v6, s4
	v_lshlrev_b16_e32 v6, 8, v8
	v_and_b32_sdwa v7, v5, s5 dst_sel:DWORD dst_unused:UNUSED_PAD src0_sel:WORD_1 src1_sel:DWORD
	s_mov_b32 s4, 0x3060504
	v_or_b32_sdwa v6, v7, v6 dst_sel:WORD_1 dst_unused:UNUSED_PAD src0_sel:DWORD src1_sel:DWORD
	v_mov_b32_e32 v7, 8
	v_perm_b32 v4, v4, v4, s4
	v_lshrrev_b32_sdwa v6, v7, v5 dst_sel:BYTE_1 dst_unused:UNUSED_PRESERVE src0_sel:DWORD src1_sel:DWORD
	v_perm_b32 v3, v3, v3, s4
                                        ; implicit-def: $vgpr7
                                        ; implicit-def: $vgpr8
                                        ; implicit-def: $vgpr5
.LBB1886_51:
	s_andn2_saveexec_b64 s[4:5], s[2:3]
	s_cbranch_execz .LBB1886_55
; %bb.52:
	v_add_u32_e32 v6, s37, v18
	v_add_u32_e32 v21, s39, v18
	v_mul_lo_u32 v6, v6, s36
	v_mul_lo_u32 v21, v21, s38
	s_mov_b64 s[8:9], 0
	v_sub_u32_e32 v6, v6, v21
	v_cmp_lt_u32_e32 vcc, s40, v6
	v_cmp_ge_u32_e64 s[2:3], s40, v6
	s_and_saveexec_b64 s[10:11], s[2:3]
	s_cbranch_execz .LBB1886_54
; %bb.53:
	v_add_u32_e32 v6, s42, v18
	v_add_u32_e32 v21, s58, v18
	v_mul_lo_u32 v6, v6, s41
	v_mul_lo_u32 v21, v21, s43
	v_sub_u32_e32 v6, v6, v21
	v_cmp_lt_u32_e64 s[2:3], s59, v6
	s_and_b64 s[8:9], s[2:3], exec
.LBB1886_54:
	s_or_b64 exec, exec, s[10:11]
	v_mov_b32_e32 v22, 8
	v_cndmask_b32_e64 v6, 0, 1, vcc
	s_movk_i32 s2, 0xff
	v_lshrrev_b32_sdwa v23, v22, v7 dst_sel:BYTE_1 dst_unused:UNUSED_PAD src0_sel:DWORD src1_sel:DWORD
	v_or_b32_sdwa v23, v7, v23 dst_sel:DWORD dst_unused:UNUSED_PAD src0_sel:BYTE_0 src1_sel:DWORD
	v_lshlrev_b16_e32 v6, 8, v6
	v_and_b32_sdwa v7, v7, s2 dst_sel:DWORD dst_unused:UNUSED_PAD src0_sel:WORD_1 src1_sel:DWORD
	v_or_b32_sdwa v6, v7, v6 dst_sel:WORD_1 dst_unused:UNUSED_PAD src0_sel:DWORD src1_sel:DWORD
	v_cndmask_b32_e64 v21, 0, 1, s[8:9]
	v_or_b32_sdwa v31, v23, v6 dst_sel:DWORD dst_unused:UNUSED_PAD src0_sel:WORD_0 src1_sel:DWORD
	v_lshlrev_b16_e32 v6, 8, v8
	v_and_b32_sdwa v7, v5, s2 dst_sel:DWORD dst_unused:UNUSED_PAD src0_sel:WORD_1 src1_sel:DWORD
	v_lshrrev_b32_sdwa v5, v22, v5 dst_sel:BYTE_1 dst_unused:UNUSED_PAD src0_sel:DWORD src1_sel:DWORD
	v_or_b32_sdwa v6, v7, v6 dst_sel:WORD_1 dst_unused:UNUSED_PAD src0_sel:DWORD src1_sel:DWORD
	v_or_b32_e32 v5, v21, v5
	v_or_b32_sdwa v6, v5, v6 dst_sel:DWORD dst_unused:UNUSED_PAD src0_sel:WORD_0 src1_sel:DWORD
.LBB1886_55:
	s_or_b64 exec, exec, s[4:5]
	v_add_u32_e32 v5, 4, v30
	v_cmp_le_u32_e32 vcc, s18, v5
	v_lshrrev_b32_e32 v21, 24, v4
	v_lshrrev_b32_e32 v8, 24, v6
                                        ; implicit-def: $vgpr7
                                        ; implicit-def: $vgpr5
	s_and_saveexec_b64 s[2:3], vcc
	s_xor_b64 s[2:3], exec, s[2:3]
	s_cbranch_execz .LBB1886_57
; %bb.56:
	s_movk_i32 s4, 0xff
	v_lshlrev_b16_e32 v5, 8, v21
	v_and_b32_sdwa v21, v4, s4 dst_sel:DWORD dst_unused:UNUSED_PAD src0_sel:WORD_1 src1_sel:DWORD
	v_mov_b32_e32 v7, 8
	v_or_b32_sdwa v5, v21, v5 dst_sel:WORD_1 dst_unused:UNUSED_PAD src0_sel:DWORD src1_sel:DWORD
	v_lshrrev_b32_sdwa v5, v7, v4 dst_sel:BYTE_1 dst_unused:UNUSED_PRESERVE src0_sel:DWORD src1_sel:DWORD
	v_lshlrev_b16_e32 v4, 8, v8
	v_and_b32_sdwa v7, v6, s4 dst_sel:DWORD dst_unused:UNUSED_PAD src0_sel:WORD_1 src1_sel:DWORD
	v_or_b32_e32 v4, v7, v4
	s_mov_b32 s4, 0x5040c00
	v_perm_b32 v7, v4, v6, s4
	s_mov_b32 s4, 0x3060504
	v_perm_b32 v3, v3, v3, s4
                                        ; implicit-def: $vgpr21
                                        ; implicit-def: $vgpr4
                                        ; implicit-def: $vgpr6
                                        ; implicit-def: $vgpr8
.LBB1886_57:
	s_andn2_saveexec_b64 s[4:5], s[2:3]
	s_cbranch_execz .LBB1886_61
; %bb.58:
	v_add_u32_e32 v5, s37, v15
	v_add_u32_e32 v7, s39, v15
	v_mul_lo_u32 v5, v5, s36
	v_mul_lo_u32 v7, v7, s38
	s_mov_b64 s[8:9], 0
	v_sub_u32_e32 v5, v5, v7
	v_cmp_lt_u32_e32 vcc, s40, v5
	v_cmp_ge_u32_e64 s[2:3], s40, v5
	s_and_saveexec_b64 s[10:11], s[2:3]
	s_cbranch_execz .LBB1886_60
; %bb.59:
	v_add_u32_e32 v5, s42, v15
	v_add_u32_e32 v7, s58, v15
	v_mul_lo_u32 v5, v5, s41
	v_mul_lo_u32 v7, v7, s43
	v_sub_u32_e32 v5, v5, v7
	v_cmp_lt_u32_e64 s[2:3], s59, v5
	s_and_b64 s[8:9], s[2:3], exec
.LBB1886_60:
	s_or_b64 exec, exec, s[10:11]
	s_movk_i32 s2, 0xff
	v_lshlrev_b16_e32 v21, 8, v21
	v_and_b32_sdwa v22, v4, s2 dst_sel:DWORD dst_unused:UNUSED_PAD src0_sel:WORD_1 src1_sel:DWORD
	v_or_b32_sdwa v21, v22, v21 dst_sel:WORD_1 dst_unused:UNUSED_PAD src0_sel:DWORD src1_sel:DWORD
	v_mov_b32_e32 v22, 8
	v_cndmask_b32_e64 v5, 0, 1, vcc
	v_lshrrev_b32_sdwa v4, v22, v4 dst_sel:BYTE_1 dst_unused:UNUSED_PAD src0_sel:DWORD src1_sel:DWORD
	v_cndmask_b32_e64 v7, 0, 1, s[8:9]
	v_or_b32_e32 v4, v5, v4
	v_or_b32_sdwa v5, v4, v21 dst_sel:DWORD dst_unused:UNUSED_PAD src0_sel:WORD_0 src1_sel:DWORD
	v_lshlrev_b16_e32 v4, 8, v7
	v_or_b32_sdwa v4, v6, v4 dst_sel:DWORD dst_unused:UNUSED_PAD src0_sel:BYTE_0 src1_sel:DWORD
	v_lshlrev_b16_e32 v7, 8, v8
	v_and_b32_sdwa v6, v6, s2 dst_sel:DWORD dst_unused:UNUSED_PAD src0_sel:WORD_1 src1_sel:DWORD
	v_or_b32_sdwa v6, v6, v7 dst_sel:WORD_1 dst_unused:UNUSED_PAD src0_sel:DWORD src1_sel:DWORD
	v_or_b32_sdwa v7, v4, v6 dst_sel:DWORD dst_unused:UNUSED_PAD src0_sel:WORD_0 src1_sel:DWORD
.LBB1886_61:
	s_or_b64 exec, exec, s[4:5]
	v_add_u32_e32 v4, 5, v30
	v_cmp_le_u32_e32 vcc, s18, v4
	v_lshrrev_b32_e32 v8, 24, v7
	v_lshrrev_b32_e32 v21, 24, v5
                                        ; implicit-def: $vgpr4
                                        ; implicit-def: $vgpr6
	s_and_saveexec_b64 s[2:3], vcc
	s_xor_b64 s[2:3], exec, s[2:3]
	s_cbranch_execz .LBB1886_63
; %bb.62:
	s_mov_b32 s4, 0x40c0100
	v_perm_b32 v4, v8, v7, s4
	s_movk_i32 s4, 0xff
	v_lshlrev_b16_e32 v6, 8, v21
	v_and_b32_sdwa v7, v5, s4 dst_sel:DWORD dst_unused:UNUSED_PAD src0_sel:WORD_1 src1_sel:DWORD
	v_or_b32_e32 v6, v7, v6
	s_mov_b32 s4, 0x5040c00
	v_perm_b32 v6, v6, v5, s4
	v_mov_b32_e32 v5, 8
	v_lshrrev_b32_sdwa v5, v5, v4 dst_sel:BYTE_1 dst_unused:UNUSED_PAD src0_sel:DWORD src1_sel:DWORD
	v_or_b32_sdwa v5, v4, v5 dst_sel:DWORD dst_unused:UNUSED_PAD src0_sel:BYTE_0 src1_sel:DWORD
	v_and_b32_e32 v5, 0xffff, v5
	s_mov_b32 s4, 0xff000000
	v_and_or_b32 v4, v4, s4, v5
	s_mov_b32 s4, 0x3060504
	v_perm_b32 v3, v3, v3, s4
                                        ; implicit-def: $vgpr5
                                        ; implicit-def: $vgpr21
                                        ; implicit-def: $vgpr7
                                        ; implicit-def: $vgpr8
.LBB1886_63:
	s_andn2_saveexec_b64 s[4:5], s[2:3]
	s_cbranch_execz .LBB1886_67
; %bb.64:
	v_add_u32_e32 v4, s37, v16
	v_add_u32_e32 v6, s39, v16
	v_mul_lo_u32 v4, v4, s36
	v_mul_lo_u32 v6, v6, s38
	s_mov_b64 s[8:9], 0
	v_sub_u32_e32 v4, v4, v6
	v_cmp_lt_u32_e32 vcc, s40, v4
	v_cmp_ge_u32_e64 s[2:3], s40, v4
	s_and_saveexec_b64 s[10:11], s[2:3]
	s_cbranch_execz .LBB1886_66
; %bb.65:
	v_add_u32_e32 v4, s42, v16
	v_add_u32_e32 v6, s58, v16
	v_mul_lo_u32 v4, v4, s41
	v_mul_lo_u32 v6, v6, s43
	v_sub_u32_e32 v4, v4, v6
	v_cmp_lt_u32_e64 s[2:3], s59, v4
	s_and_b64 s[8:9], s[2:3], exec
.LBB1886_66:
	s_or_b64 exec, exec, s[10:11]
	v_cndmask_b32_e64 v4, 0, 1, vcc
	v_lshlrev_b16_e32 v4, 8, v4
	s_movk_i32 s2, 0xff
	v_or_b32_sdwa v4, v5, v4 dst_sel:DWORD dst_unused:UNUSED_PAD src0_sel:BYTE_0 src1_sel:DWORD
	v_lshlrev_b16_e32 v6, 8, v21
	v_and_b32_sdwa v5, v5, s2 dst_sel:DWORD dst_unused:UNUSED_PAD src0_sel:WORD_1 src1_sel:DWORD
	v_or_b32_sdwa v5, v5, v6 dst_sel:WORD_1 dst_unused:UNUSED_PAD src0_sel:DWORD src1_sel:DWORD
	v_or_b32_sdwa v6, v4, v5 dst_sel:DWORD dst_unused:UNUSED_PAD src0_sel:WORD_0 src1_sel:DWORD
	v_mov_b32_e32 v4, 8
	v_cndmask_b32_e64 v22, 0, 1, s[8:9]
	v_lshrrev_b32_sdwa v4, v4, v7 dst_sel:BYTE_1 dst_unused:UNUSED_PAD src0_sel:DWORD src1_sel:DWORD
	v_lshlrev_b16_e32 v5, 8, v8
	v_or_b32_sdwa v4, v7, v4 dst_sel:DWORD dst_unused:UNUSED_PAD src0_sel:BYTE_0 src1_sel:DWORD
	v_or_b32_sdwa v5, v22, v5 dst_sel:WORD_1 dst_unused:UNUSED_PAD src0_sel:DWORD src1_sel:DWORD
	v_or_b32_sdwa v4, v4, v5 dst_sel:DWORD dst_unused:UNUSED_PAD src0_sel:WORD_0 src1_sel:DWORD
.LBB1886_67:
	s_or_b64 exec, exec, s[4:5]
	v_add_u32_e32 v5, 6, v30
	v_cmp_le_u32_e32 vcc, s18, v5
	v_lshrrev_b32_e32 v7, 24, v6
                                        ; implicit-def: $vgpr32
                                        ; implicit-def: $vgpr5
	s_and_saveexec_b64 s[2:3], vcc
	s_xor_b64 s[2:3], exec, s[2:3]
	s_cbranch_execz .LBB1886_69
; %bb.68:
	s_mov_b32 s4, 0x40c0100
	v_perm_b32 v5, v7, v6, s4
	v_mov_b32_e32 v6, 8
	v_lshrrev_b32_sdwa v6, v6, v5 dst_sel:BYTE_1 dst_unused:UNUSED_PAD src0_sel:DWORD src1_sel:DWORD
	v_or_b32_sdwa v6, v5, v6 dst_sel:DWORD dst_unused:UNUSED_PAD src0_sel:BYTE_0 src1_sel:DWORD
	v_and_b32_e32 v6, 0xffff, v6
	s_mov_b32 s4, 0xff000000
	v_and_b32_e32 v8, 0xff0000, v4
	v_and_or_b32 v5, v5, s4, v6
	s_mov_b32 s4, 0x3020504
	v_perm_b32 v32, v4, v8, s4
	s_mov_b32 s4, 0x3060504
	v_perm_b32 v3, v3, v3, s4
                                        ; implicit-def: $vgpr6
                                        ; implicit-def: $vgpr7
                                        ; implicit-def: $vgpr4
.LBB1886_69:
	s_andn2_saveexec_b64 s[4:5], s[2:3]
	s_cbranch_execz .LBB1886_73
; %bb.70:
	v_add_u32_e32 v5, s37, v13
	v_add_u32_e32 v8, s39, v13
	v_mul_lo_u32 v5, v5, s36
	v_mul_lo_u32 v8, v8, s38
	s_mov_b64 s[8:9], 0
	v_sub_u32_e32 v5, v5, v8
	v_cmp_lt_u32_e32 vcc, s40, v5
	v_cmp_ge_u32_e64 s[2:3], s40, v5
	s_and_saveexec_b64 s[10:11], s[2:3]
	s_cbranch_execz .LBB1886_72
; %bb.71:
	v_add_u32_e32 v5, s42, v13
	v_add_u32_e32 v8, s58, v13
	v_mul_lo_u32 v5, v5, s41
	v_mul_lo_u32 v8, v8, s43
	v_sub_u32_e32 v5, v5, v8
	v_cmp_lt_u32_e64 s[2:3], s59, v5
	s_and_b64 s[8:9], s[2:3], exec
.LBB1886_72:
	s_or_b64 exec, exec, s[10:11]
	v_mov_b32_e32 v21, 8
	v_cndmask_b32_e64 v5, 0, 1, vcc
	v_lshrrev_b32_sdwa v22, v21, v6 dst_sel:BYTE_1 dst_unused:UNUSED_PAD src0_sel:DWORD src1_sel:DWORD
	v_lshlrev_b16_e32 v7, 8, v7
	v_or_b32_sdwa v6, v6, v22 dst_sel:DWORD dst_unused:UNUSED_PAD src0_sel:BYTE_0 src1_sel:DWORD
	v_or_b32_sdwa v5, v5, v7 dst_sel:WORD_1 dst_unused:UNUSED_PAD src0_sel:DWORD src1_sel:DWORD
	v_cndmask_b32_e64 v8, 0, 1, s[8:9]
	s_movk_i32 s2, 0xff
	v_or_b32_sdwa v5, v6, v5 dst_sel:DWORD dst_unused:UNUSED_PAD src0_sel:WORD_0 src1_sel:DWORD
	v_lshrrev_b32_sdwa v6, v21, v4 dst_sel:BYTE_1 dst_unused:UNUSED_PAD src0_sel:DWORD src1_sel:DWORD
	v_or_b32_sdwa v6, v4, v6 dst_sel:DWORD dst_unused:UNUSED_PAD src0_sel:BYTE_0 src1_sel:DWORD
	v_lshlrev_b16_e32 v7, 8, v8
	v_and_b32_sdwa v4, v4, s2 dst_sel:DWORD dst_unused:UNUSED_PAD src0_sel:WORD_1 src1_sel:DWORD
	v_or_b32_sdwa v4, v4, v7 dst_sel:WORD_1 dst_unused:UNUSED_PAD src0_sel:DWORD src1_sel:DWORD
	v_or_b32_sdwa v32, v6, v4 dst_sel:DWORD dst_unused:UNUSED_PAD src0_sel:WORD_0 src1_sel:DWORD
.LBB1886_73:
	s_or_b64 exec, exec, s[4:5]
	v_add_u32_e32 v4, 7, v30
	v_cmp_le_u32_e32 vcc, s18, v4
	v_lshrrev_b32_e32 v6, 24, v3
                                        ; implicit-def: $vgpr4
                                        ; implicit-def: $vgpr33
	s_and_saveexec_b64 s[2:3], vcc
	s_xor_b64 s[2:3], exec, s[2:3]
; %bb.74:
	v_and_b32_e32 v4, 0xff0000, v5
	s_mov_b32 s4, 0x3020504
	v_perm_b32 v33, v5, v4, s4
	s_movk_i32 s4, 0xff
	v_lshlrev_b16_e32 v4, 8, v6
	v_and_b32_sdwa v5, v3, s4 dst_sel:DWORD dst_unused:UNUSED_PAD src0_sel:WORD_1 src1_sel:DWORD
	v_mov_b32_e32 v7, 8
	v_or_b32_sdwa v4, v5, v4 dst_sel:WORD_1 dst_unused:UNUSED_PAD src0_sel:DWORD src1_sel:DWORD
	v_lshrrev_b32_sdwa v4, v7, v3 dst_sel:BYTE_1 dst_unused:UNUSED_PRESERVE src0_sel:DWORD src1_sel:DWORD
                                        ; implicit-def: $vgpr5
                                        ; implicit-def: $vgpr6
                                        ; implicit-def: $vgpr3
; %bb.75:
	s_andn2_saveexec_b64 s[4:5], s[2:3]
	s_cbranch_execz .LBB1886_79
; %bb.76:
	v_add_u32_e32 v4, s37, v14
	v_add_u32_e32 v7, s39, v14
	v_mul_lo_u32 v4, v4, s36
	v_mul_lo_u32 v7, v7, s38
	s_mov_b64 s[8:9], 0
	v_sub_u32_e32 v4, v4, v7
	v_cmp_lt_u32_e32 vcc, s40, v4
	v_cmp_ge_u32_e64 s[2:3], s40, v4
	s_and_saveexec_b64 s[10:11], s[2:3]
	s_cbranch_execz .LBB1886_78
; %bb.77:
	v_add_u32_e32 v4, s42, v14
	v_add_u32_e32 v7, s58, v14
	v_mul_lo_u32 v4, v4, s41
	v_mul_lo_u32 v7, v7, s43
	v_sub_u32_e32 v4, v4, v7
	v_cmp_lt_u32_e64 s[2:3], s59, v4
	s_and_b64 s[8:9], s[2:3], exec
.LBB1886_78:
	s_or_b64 exec, exec, s[10:11]
	v_mov_b32_e32 v8, 8
	v_cndmask_b32_e64 v4, 0, 1, vcc
	s_movk_i32 s2, 0xff
	v_lshrrev_b32_sdwa v21, v8, v5 dst_sel:BYTE_1 dst_unused:UNUSED_PAD src0_sel:DWORD src1_sel:DWORD
	v_or_b32_sdwa v21, v5, v21 dst_sel:DWORD dst_unused:UNUSED_PAD src0_sel:BYTE_0 src1_sel:DWORD
	v_lshlrev_b16_e32 v4, 8, v4
	v_and_b32_sdwa v5, v5, s2 dst_sel:DWORD dst_unused:UNUSED_PAD src0_sel:WORD_1 src1_sel:DWORD
	v_or_b32_sdwa v4, v5, v4 dst_sel:WORD_1 dst_unused:UNUSED_PAD src0_sel:DWORD src1_sel:DWORD
	v_cndmask_b32_e64 v7, 0, 1, s[8:9]
	v_or_b32_sdwa v33, v21, v4 dst_sel:DWORD dst_unused:UNUSED_PAD src0_sel:WORD_0 src1_sel:DWORD
	v_lshlrev_b16_e32 v4, 8, v6
	v_and_b32_sdwa v5, v3, s2 dst_sel:DWORD dst_unused:UNUSED_PAD src0_sel:WORD_1 src1_sel:DWORD
	v_lshrrev_b32_sdwa v3, v8, v3 dst_sel:BYTE_1 dst_unused:UNUSED_PAD src0_sel:DWORD src1_sel:DWORD
	v_or_b32_sdwa v4, v5, v4 dst_sel:WORD_1 dst_unused:UNUSED_PAD src0_sel:DWORD src1_sel:DWORD
	v_or_b32_e32 v3, v7, v3
	v_or_b32_sdwa v4, v3, v4 dst_sel:DWORD dst_unused:UNUSED_PAD src0_sel:WORD_0 src1_sel:DWORD
.LBB1886_79:
	s_or_b64 exec, exec, s[4:5]
	v_add_u32_e32 v3, 8, v30
	v_cmp_le_u32_e32 vcc, s18, v3
	v_lshrrev_b32_e32 v6, 24, v4
	v_lshrrev_b32_e32 v7, 24, v2
                                        ; implicit-def: $vgpr5
                                        ; implicit-def: $vgpr3
	s_and_saveexec_b64 s[2:3], vcc
	s_xor_b64 s[2:3], exec, s[2:3]
	s_cbranch_execz .LBB1886_81
; %bb.80:
	s_movk_i32 s4, 0xff
	v_lshlrev_b16_e32 v3, 8, v7
	v_and_b32_sdwa v5, v2, s4 dst_sel:DWORD dst_unused:UNUSED_PAD src0_sel:WORD_1 src1_sel:DWORD
	v_or_b32_sdwa v3, v5, v3 dst_sel:WORD_1 dst_unused:UNUSED_PAD src0_sel:DWORD src1_sel:DWORD
	v_mov_b32_e32 v5, 8
	v_lshrrev_b32_sdwa v3, v5, v2 dst_sel:BYTE_1 dst_unused:UNUSED_PRESERVE src0_sel:DWORD src1_sel:DWORD
	v_lshlrev_b16_e32 v2, 8, v6
	v_and_b32_sdwa v5, v4, s4 dst_sel:DWORD dst_unused:UNUSED_PAD src0_sel:WORD_1 src1_sel:DWORD
	s_mov_b32 s5, 0x3060504
	v_or_b32_e32 v2, v5, v2
	s_mov_b32 s4, 0x5040c00
	v_perm_b32 v1, v1, v1, s5
	v_perm_b32 v5, v2, v4, s4
                                        ; implicit-def: $vgpr7
                                        ; implicit-def: $vgpr2
                                        ; implicit-def: $vgpr4
                                        ; implicit-def: $vgpr6
.LBB1886_81:
	s_andn2_saveexec_b64 s[4:5], s[2:3]
	s_cbranch_execz .LBB1886_85
; %bb.82:
	v_add_u32_e32 v3, s37, v11
	v_add_u32_e32 v5, s39, v11
	v_mul_lo_u32 v3, v3, s36
	v_mul_lo_u32 v5, v5, s38
	s_mov_b64 s[8:9], 0
	v_sub_u32_e32 v3, v3, v5
	v_cmp_lt_u32_e32 vcc, s40, v3
	v_cmp_ge_u32_e64 s[2:3], s40, v3
	s_and_saveexec_b64 s[10:11], s[2:3]
	s_cbranch_execz .LBB1886_84
; %bb.83:
	v_add_u32_e32 v3, s42, v11
	v_add_u32_e32 v5, s58, v11
	v_mul_lo_u32 v3, v3, s41
	v_mul_lo_u32 v5, v5, s43
	v_sub_u32_e32 v3, v3, v5
	v_cmp_lt_u32_e64 s[2:3], s59, v3
	s_and_b64 s[8:9], s[2:3], exec
.LBB1886_84:
	s_or_b64 exec, exec, s[10:11]
	s_movk_i32 s2, 0xff
	v_lshlrev_b16_e32 v7, 8, v7
	v_and_b32_sdwa v8, v2, s2 dst_sel:DWORD dst_unused:UNUSED_PAD src0_sel:WORD_1 src1_sel:DWORD
	v_or_b32_sdwa v7, v8, v7 dst_sel:WORD_1 dst_unused:UNUSED_PAD src0_sel:DWORD src1_sel:DWORD
	v_mov_b32_e32 v8, 8
	v_cndmask_b32_e64 v3, 0, 1, vcc
	v_lshrrev_b32_sdwa v2, v8, v2 dst_sel:BYTE_1 dst_unused:UNUSED_PAD src0_sel:DWORD src1_sel:DWORD
	v_cndmask_b32_e64 v5, 0, 1, s[8:9]
	v_or_b32_e32 v2, v3, v2
	v_or_b32_sdwa v3, v2, v7 dst_sel:DWORD dst_unused:UNUSED_PAD src0_sel:WORD_0 src1_sel:DWORD
	v_lshlrev_b16_e32 v2, 8, v5
	v_or_b32_sdwa v2, v4, v2 dst_sel:DWORD dst_unused:UNUSED_PAD src0_sel:BYTE_0 src1_sel:DWORD
	v_lshlrev_b16_e32 v5, 8, v6
	v_and_b32_sdwa v4, v4, s2 dst_sel:DWORD dst_unused:UNUSED_PAD src0_sel:WORD_1 src1_sel:DWORD
	v_or_b32_sdwa v4, v4, v5 dst_sel:WORD_1 dst_unused:UNUSED_PAD src0_sel:DWORD src1_sel:DWORD
	v_or_b32_sdwa v5, v2, v4 dst_sel:DWORD dst_unused:UNUSED_PAD src0_sel:WORD_0 src1_sel:DWORD
.LBB1886_85:
	s_or_b64 exec, exec, s[4:5]
	v_add_u32_e32 v2, 9, v30
	v_cmp_le_u32_e32 vcc, s18, v2
	v_lshrrev_b32_e32 v6, 24, v5
	v_lshrrev_b32_e32 v7, 24, v3
                                        ; implicit-def: $vgpr2
                                        ; implicit-def: $vgpr4
	s_and_saveexec_b64 s[2:3], vcc
	s_xor_b64 s[2:3], exec, s[2:3]
	s_cbranch_execz .LBB1886_87
; %bb.86:
	s_mov_b32 s4, 0x40c0100
	v_perm_b32 v2, v6, v5, s4
	v_mov_b32_e32 v4, 8
	s_movk_i32 s4, 0xff
	v_lshrrev_b32_sdwa v5, v4, v2 dst_sel:BYTE_1 dst_unused:UNUSED_PAD src0_sel:DWORD src1_sel:DWORD
	v_lshlrev_b16_e32 v4, 8, v7
	v_and_b32_sdwa v6, v3, s4 dst_sel:DWORD dst_unused:UNUSED_PAD src0_sel:WORD_1 src1_sel:DWORD
	v_or_b32_e32 v4, v6, v4
	s_mov_b32 s4, 0x5040c00
	v_perm_b32 v4, v4, v3, s4
	s_mov_b32 s4, 0x3060504
	v_or_b32_sdwa v3, v2, v5 dst_sel:DWORD dst_unused:UNUSED_PAD src0_sel:BYTE_0 src1_sel:DWORD
	v_perm_b32 v1, v1, v1, s4
	v_and_b32_e32 v3, 0xffff, v3
	s_mov_b32 s4, 0xff000000
	v_and_or_b32 v2, v2, s4, v3
                                        ; implicit-def: $vgpr3
                                        ; implicit-def: $vgpr7
                                        ; implicit-def: $vgpr5
                                        ; implicit-def: $vgpr6
.LBB1886_87:
	s_andn2_saveexec_b64 s[4:5], s[2:3]
	s_cbranch_execz .LBB1886_91
; %bb.88:
	v_add_u32_e32 v2, s37, v12
	v_add_u32_e32 v4, s39, v12
	v_mul_lo_u32 v2, v2, s36
	v_mul_lo_u32 v4, v4, s38
	s_mov_b64 s[8:9], 0
	v_sub_u32_e32 v2, v2, v4
	v_cmp_lt_u32_e32 vcc, s40, v2
	v_cmp_ge_u32_e64 s[2:3], s40, v2
	s_and_saveexec_b64 s[10:11], s[2:3]
	s_cbranch_execz .LBB1886_90
; %bb.89:
	v_add_u32_e32 v2, s42, v12
	v_add_u32_e32 v4, s58, v12
	v_mul_lo_u32 v2, v2, s41
	v_mul_lo_u32 v4, v4, s43
	v_sub_u32_e32 v2, v2, v4
	v_cmp_lt_u32_e64 s[2:3], s59, v2
	s_and_b64 s[8:9], s[2:3], exec
.LBB1886_90:
	s_or_b64 exec, exec, s[10:11]
	v_cndmask_b32_e64 v2, 0, 1, vcc
	v_lshlrev_b16_e32 v2, 8, v2
	s_movk_i32 s2, 0xff
	v_or_b32_sdwa v2, v3, v2 dst_sel:DWORD dst_unused:UNUSED_PAD src0_sel:BYTE_0 src1_sel:DWORD
	v_lshlrev_b16_e32 v4, 8, v7
	v_and_b32_sdwa v3, v3, s2 dst_sel:DWORD dst_unused:UNUSED_PAD src0_sel:WORD_1 src1_sel:DWORD
	v_or_b32_sdwa v3, v3, v4 dst_sel:WORD_1 dst_unused:UNUSED_PAD src0_sel:DWORD src1_sel:DWORD
	v_or_b32_sdwa v4, v2, v3 dst_sel:DWORD dst_unused:UNUSED_PAD src0_sel:WORD_0 src1_sel:DWORD
	v_mov_b32_e32 v2, 8
	v_cndmask_b32_e64 v8, 0, 1, s[8:9]
	v_lshrrev_b32_sdwa v2, v2, v5 dst_sel:BYTE_1 dst_unused:UNUSED_PAD src0_sel:DWORD src1_sel:DWORD
	v_lshlrev_b16_e32 v3, 8, v6
	v_or_b32_sdwa v2, v5, v2 dst_sel:DWORD dst_unused:UNUSED_PAD src0_sel:BYTE_0 src1_sel:DWORD
	v_or_b32_sdwa v3, v8, v3 dst_sel:WORD_1 dst_unused:UNUSED_PAD src0_sel:DWORD src1_sel:DWORD
	v_or_b32_sdwa v2, v2, v3 dst_sel:DWORD dst_unused:UNUSED_PAD src0_sel:WORD_0 src1_sel:DWORD
.LBB1886_91:
	s_or_b64 exec, exec, s[4:5]
	v_add_u32_e32 v3, 10, v30
	v_cmp_le_u32_e32 vcc, s18, v3
	v_lshrrev_b32_e32 v5, 24, v4
                                        ; implicit-def: $vgpr34
                                        ; implicit-def: $vgpr3
	s_and_saveexec_b64 s[2:3], vcc
	s_xor_b64 s[2:3], exec, s[2:3]
	s_cbranch_execz .LBB1886_93
; %bb.92:
	s_mov_b32 s4, 0x40c0100
	v_perm_b32 v3, v5, v4, s4
	v_mov_b32_e32 v4, 8
	v_lshrrev_b32_sdwa v4, v4, v3 dst_sel:BYTE_1 dst_unused:UNUSED_PAD src0_sel:DWORD src1_sel:DWORD
	v_or_b32_sdwa v4, v3, v4 dst_sel:DWORD dst_unused:UNUSED_PAD src0_sel:BYTE_0 src1_sel:DWORD
	v_and_b32_e32 v4, 0xffff, v4
	s_mov_b32 s4, 0xff000000
	v_and_or_b32 v3, v3, s4, v4
	s_mov_b32 s4, 0x3060504
	v_and_b32_e32 v6, 0xff0000, v2
	v_perm_b32 v1, v1, v1, s4
	s_mov_b32 s4, 0x3020504
	v_perm_b32 v34, v2, v6, s4
                                        ; implicit-def: $vgpr4
                                        ; implicit-def: $vgpr5
                                        ; implicit-def: $vgpr2
.LBB1886_93:
	s_andn2_saveexec_b64 s[4:5], s[2:3]
	s_cbranch_execz .LBB1886_97
; %bb.94:
	v_add_u32_e32 v3, s37, v9
	v_add_u32_e32 v6, s39, v9
	v_mul_lo_u32 v3, v3, s36
	v_mul_lo_u32 v6, v6, s38
	s_mov_b64 s[8:9], 0
	v_sub_u32_e32 v3, v3, v6
	v_cmp_lt_u32_e32 vcc, s40, v3
	v_cmp_ge_u32_e64 s[2:3], s40, v3
	s_and_saveexec_b64 s[10:11], s[2:3]
	s_cbranch_execz .LBB1886_96
; %bb.95:
	v_add_u32_e32 v3, s42, v9
	v_add_u32_e32 v6, s58, v9
	v_mul_lo_u32 v3, v3, s41
	v_mul_lo_u32 v6, v6, s43
	v_sub_u32_e32 v3, v3, v6
	v_cmp_lt_u32_e64 s[2:3], s59, v3
	s_and_b64 s[8:9], s[2:3], exec
.LBB1886_96:
	s_or_b64 exec, exec, s[10:11]
	v_mov_b32_e32 v7, 8
	v_cndmask_b32_e64 v3, 0, 1, vcc
	v_lshrrev_b32_sdwa v8, v7, v4 dst_sel:BYTE_1 dst_unused:UNUSED_PAD src0_sel:DWORD src1_sel:DWORD
	v_lshlrev_b16_e32 v5, 8, v5
	v_or_b32_sdwa v4, v4, v8 dst_sel:DWORD dst_unused:UNUSED_PAD src0_sel:BYTE_0 src1_sel:DWORD
	v_or_b32_sdwa v3, v3, v5 dst_sel:WORD_1 dst_unused:UNUSED_PAD src0_sel:DWORD src1_sel:DWORD
	v_cndmask_b32_e64 v6, 0, 1, s[8:9]
	s_movk_i32 s2, 0xff
	v_or_b32_sdwa v3, v4, v3 dst_sel:DWORD dst_unused:UNUSED_PAD src0_sel:WORD_0 src1_sel:DWORD
	v_lshrrev_b32_sdwa v4, v7, v2 dst_sel:BYTE_1 dst_unused:UNUSED_PAD src0_sel:DWORD src1_sel:DWORD
	v_or_b32_sdwa v4, v2, v4 dst_sel:DWORD dst_unused:UNUSED_PAD src0_sel:BYTE_0 src1_sel:DWORD
	v_lshlrev_b16_e32 v5, 8, v6
	v_and_b32_sdwa v2, v2, s2 dst_sel:DWORD dst_unused:UNUSED_PAD src0_sel:WORD_1 src1_sel:DWORD
	v_or_b32_sdwa v2, v2, v5 dst_sel:WORD_1 dst_unused:UNUSED_PAD src0_sel:DWORD src1_sel:DWORD
	v_or_b32_sdwa v34, v4, v2 dst_sel:DWORD dst_unused:UNUSED_PAD src0_sel:WORD_0 src1_sel:DWORD
.LBB1886_97:
	s_or_b64 exec, exec, s[4:5]
	v_add_u32_e32 v2, 11, v30
	v_mov_b32_e32 v35, 0
	v_cmp_le_u32_e32 vcc, s18, v2
                                        ; implicit-def: $vgpr36
	s_and_saveexec_b64 s[2:3], vcc
	s_xor_b64 s[2:3], exec, s[2:3]
; %bb.98:
	v_and_b32_e32 v2, 0xff0000, v3
	s_mov_b32 s4, 0x3020504
	v_perm_b32 v36, v3, v2, s4
	s_mov_b32 s4, 0x3060504
	v_perm_b32 v1, v1, v1, s4
                                        ; implicit-def: $vgpr3
; %bb.99:
	s_andn2_saveexec_b64 s[4:5], s[2:3]
	s_cbranch_execz .LBB1886_103
; %bb.100:
	v_add_u32_e32 v2, s37, v10
	v_add_u32_e32 v4, s39, v10
	v_mul_lo_u32 v2, v2, s36
	v_mul_lo_u32 v4, v4, s38
	s_mov_b64 s[8:9], 0
	v_sub_u32_e32 v2, v2, v4
	v_cmp_lt_u32_e32 vcc, s40, v2
	v_cmp_ge_u32_e64 s[2:3], s40, v2
	s_and_saveexec_b64 s[10:11], s[2:3]
	s_cbranch_execz .LBB1886_102
; %bb.101:
	v_add_u32_e32 v2, s42, v10
	v_add_u32_e32 v4, s58, v10
	v_mul_lo_u32 v2, v2, s41
	v_mul_lo_u32 v4, v4, s43
	v_sub_u32_e32 v2, v2, v4
	v_cmp_lt_u32_e64 s[2:3], s59, v2
	s_and_b64 s[8:9], s[2:3], exec
.LBB1886_102:
	s_or_b64 exec, exec, s[10:11]
	v_mov_b32_e32 v4, 8
	v_cndmask_b32_e64 v2, 0, 1, vcc
	s_movk_i32 s2, 0xff
	v_lshrrev_b32_sdwa v4, v4, v3 dst_sel:BYTE_1 dst_unused:UNUSED_PAD src0_sel:DWORD src1_sel:DWORD
	v_or_b32_sdwa v4, v3, v4 dst_sel:DWORD dst_unused:UNUSED_PAD src0_sel:BYTE_0 src1_sel:DWORD
	v_lshlrev_b16_e32 v2, 8, v2
	v_and_b32_sdwa v3, v3, s2 dst_sel:DWORD dst_unused:UNUSED_PAD src0_sel:WORD_1 src1_sel:DWORD
	v_or_b32_sdwa v2, v3, v2 dst_sel:WORD_1 dst_unused:UNUSED_PAD src0_sel:DWORD src1_sel:DWORD
	v_cndmask_b32_e64 v35, 0, 1, s[8:9]
	v_or_b32_sdwa v36, v4, v2 dst_sel:DWORD dst_unused:UNUSED_PAD src0_sel:WORD_0 src1_sel:DWORD
.LBB1886_103:
	s_or_b64 exec, exec, s[4:5]
	v_add_u32_e32 v2, 12, v30
	v_cmp_le_u32_e32 vcc, s18, v2
	v_lshrrev_b32_e32 v2, 24, v1
                                        ; implicit-def: $vgpr37
	s_and_saveexec_b64 s[2:3], vcc
	s_xor_b64 s[2:3], exec, s[2:3]
; %bb.104:
	s_movk_i32 s4, 0xff
	v_lshlrev_b16_e32 v2, 8, v2
	v_and_b32_sdwa v4, v1, s4 dst_sel:DWORD dst_unused:UNUSED_PAD src0_sel:WORD_1 src1_sel:DWORD
	v_mov_b32_e32 v3, 8
	v_or_b32_sdwa v37, v4, v2 dst_sel:WORD_1 dst_unused:UNUSED_PAD src0_sel:DWORD src1_sel:DWORD
	v_lshrrev_b32_sdwa v37, v3, v1 dst_sel:BYTE_1 dst_unused:UNUSED_PRESERVE src0_sel:DWORD src1_sel:DWORD
                                        ; implicit-def: $vgpr2
                                        ; implicit-def: $vgpr1
; %bb.105:
	s_or_saveexec_b64 s[4:5], s[2:3]
	v_mov_b32_e32 v38, 0
	s_xor_b64 exec, exec, s[4:5]
	s_cbranch_execz .LBB1886_109
; %bb.106:
	v_add_u32_e32 v3, s37, v29
	v_add_u32_e32 v4, s39, v29
	v_mul_lo_u32 v3, v3, s36
	v_mul_lo_u32 v4, v4, s38
	s_mov_b64 s[8:9], 0
	v_sub_u32_e32 v3, v3, v4
	v_cmp_lt_u32_e32 vcc, s40, v3
	v_cmp_ge_u32_e64 s[2:3], s40, v3
	s_and_saveexec_b64 s[10:11], s[2:3]
	s_cbranch_execz .LBB1886_108
; %bb.107:
	v_add_u32_e32 v3, s42, v29
	v_add_u32_e32 v4, s58, v29
	v_mul_lo_u32 v3, v3, s41
	v_mul_lo_u32 v4, v4, s43
	v_sub_u32_e32 v3, v3, v4
	v_cmp_lt_u32_e64 s[2:3], s59, v3
	s_and_b64 s[8:9], s[2:3], exec
.LBB1886_108:
	s_or_b64 exec, exec, s[10:11]
	s_movk_i32 s2, 0xff
	v_lshlrev_b16_e32 v2, 8, v2
	v_and_b32_sdwa v4, v1, s2 dst_sel:DWORD dst_unused:UNUSED_PAD src0_sel:WORD_1 src1_sel:DWORD
	v_or_b32_sdwa v2, v4, v2 dst_sel:WORD_1 dst_unused:UNUSED_PAD src0_sel:DWORD src1_sel:DWORD
	v_mov_b32_e32 v4, 8
	v_cndmask_b32_e64 v3, 0, 1, vcc
	v_lshrrev_b32_sdwa v1, v4, v1 dst_sel:BYTE_1 dst_unused:UNUSED_PAD src0_sel:DWORD src1_sel:DWORD
	v_or_b32_e32 v1, v3, v1
	v_cndmask_b32_e64 v38, 0, 1, s[8:9]
	v_or_b32_sdwa v37, v1, v2 dst_sel:DWORD dst_unused:UNUSED_PAD src0_sel:WORD_0 src1_sel:DWORD
.LBB1886_109:
	s_or_b64 exec, exec, s[4:5]
.LBB1886_110:
	v_and_b32_e32 v48, 0xff, v31
	v_bfe_u32 v45, v31, 8, 8
	v_bfe_u32 v50, v31, 16, 8
	v_lshrrev_b32_e32 v43, 24, v31
	v_and_b32_e32 v51, 0xff, v33
	v_add3_u32 v4, v45, v48, v50
	v_bfe_u32 v46, v33, 8, 8
	v_bfe_u32 v53, v33, 16, 8
	v_add3_u32 v4, v4, v43, v51
	v_bfe_u32 v49, v37, 8, 8
	v_bfe_u32 v57, v37, 16, 8
	v_lshrrev_b32_e32 v44, 24, v37
	v_lshrrev_b32_e32 v41, 24, v33
	v_and_b32_e32 v54, 0xff, v36
	v_add3_u32 v4, v4, v46, v53
	v_and_b32_e32 v58, 0xff, v32
	v_bfe_u32 v52, v32, 8, 8
	v_bfe_u32 v47, v36, 8, 8
	;; [unrolled: 1-line block ×3, first 2 shown]
	v_add3_u32 v3, v57, v49, v44
	v_add3_u32 v4, v4, v41, v54
	v_bfe_u32 v59, v32, 16, 8
	v_lshrrev_b32_e32 v42, 24, v32
	v_lshrrev_b32_e32 v39, 24, v36
	v_and_b32_e32 v1, 0xff, v37
	v_add3_u32 v3, v3, v58, v52
	v_add3_u32 v4, v4, v47, v56
	v_and_b32_e32 v60, 0xff, v34
	v_bfe_u32 v55, v34, 8, 8
	v_add3_u32 v3, v3, v59, v42
	v_add3_u32 v68, v4, v39, v1
	v_mbcnt_lo_u32_b32 v1, -1, 0
	v_bfe_u32 v61, v34, 16, 8
	v_lshrrev_b32_e32 v40, 24, v34
	v_add3_u32 v3, v3, v60, v55
	v_mbcnt_hi_u32_b32 v63, -1, v1
	v_and_b32_e32 v62, 0xff, v35
	v_and_b32_e32 v2, 0xff, v38
	v_add3_u32 v3, v3, v61, v40
	v_and_b32_e32 v67, 15, v63
	s_cmp_lg_u32 s6, 0
	v_add3_u32 v69, v3, v62, v2
	v_cmp_eq_u32_e64 s[4:5], 0, v67
	v_cmp_lt_u32_e64 s[2:3], 1, v67
	v_cmp_lt_u32_e64 s[8:9], 3, v67
	;; [unrolled: 1-line block ×3, first 2 shown]
	v_and_b32_e32 v66, 16, v63
	v_cmp_lt_u32_e32 vcc, 31, v63
	v_lshrrev_b32_e32 v64, 6, v0
	v_or_b32_e32 v65, 63, v0
	s_cbranch_scc0 .LBB1886_132
; %bb.111:
	v_mov_b32_dpp v1, v68 row_shr:1 row_mask:0xf bank_mask:0xf
	v_mov_b32_dpp v2, v69 row_shr:1 row_mask:0xf bank_mask:0xf
	v_add_u32_e32 v1, v1, v68
	v_add_u32_e32 v2, v2, v69
	v_cndmask_b32_e64 v2, v2, v69, s[4:5]
	v_cndmask_b32_e64 v1, v1, v68, s[4:5]
	s_nop 0
	v_mov_b32_dpp v4, v2 row_shr:2 row_mask:0xf bank_mask:0xf
	v_mov_b32_dpp v3, v1 row_shr:2 row_mask:0xf bank_mask:0xf
	v_add_u32_e32 v3, v1, v3
	v_add_u32_e32 v4, v2, v4
	v_cndmask_b32_e64 v2, v2, v4, s[2:3]
	v_cndmask_b32_e64 v1, v1, v3, s[2:3]
	s_nop 0
	v_mov_b32_dpp v4, v2 row_shr:4 row_mask:0xf bank_mask:0xf
	v_mov_b32_dpp v3, v1 row_shr:4 row_mask:0xf bank_mask:0xf
	v_add_u32_e32 v3, v1, v3
	v_add_u32_e32 v4, v2, v4
	v_cndmask_b32_e64 v2, v2, v4, s[8:9]
	v_cndmask_b32_e64 v1, v1, v3, s[8:9]
	v_cmp_eq_u32_e64 s[8:9], 0, v66
	v_mov_b32_dpp v4, v2 row_shr:8 row_mask:0xf bank_mask:0xf
	v_mov_b32_dpp v3, v1 row_shr:8 row_mask:0xf bank_mask:0xf
	v_add_u32_e32 v3, v1, v3
	v_add_u32_e32 v4, v2, v4
	v_cndmask_b32_e64 v2, v2, v4, s[10:11]
	v_cndmask_b32_e64 v3, v1, v3, s[10:11]
	s_nop 0
	v_mov_b32_dpp v4, v2 row_bcast:15 row_mask:0xf bank_mask:0xf
	v_mov_b32_dpp v1, v3 row_bcast:15 row_mask:0xf bank_mask:0xf
	v_add_u32_e32 v5, v3, v1
	v_add_u32_e32 v1, v2, v4
	v_cndmask_b32_e64 v1, v1, v2, s[8:9]
	v_cndmask_b32_e64 v2, v5, v3, s[8:9]
	v_cmp_eq_u32_e64 s[8:9], v0, v65
	v_mov_b32_dpp v3, v1 row_bcast:31 row_mask:0xf bank_mask:0xf
	v_mov_b32_dpp v4, v2 row_bcast:31 row_mask:0xf bank_mask:0xf
	v_add_u32_e32 v3, v1, v3
	v_add_u32_e32 v4, v2, v4
	s_and_saveexec_b64 s[10:11], s[8:9]
; %bb.112:
	v_lshlrev_b32_e32 v7, 3, v64
	v_cndmask_b32_e32 v6, v1, v3, vcc
	v_cndmask_b32_e32 v5, v2, v4, vcc
	ds_write_b64 v7, v[5:6]
; %bb.113:
	s_or_b64 exec, exec, s[10:11]
	v_cmp_gt_u32_e64 s[8:9], 4, v0
	s_waitcnt lgkmcnt(0)
	s_barrier
	s_and_saveexec_b64 s[10:11], s[8:9]
	s_cbranch_execz .LBB1886_115
; %bb.114:
	v_lshlrev_b32_e32 v7, 3, v0
	ds_read_b64 v[5:6], v7
	v_and_b32_e32 v8, 3, v63
	v_cmp_eq_u32_e64 s[8:9], 0, v8
	s_waitcnt lgkmcnt(0)
	v_mov_b32_dpp v21, v5 row_shr:1 row_mask:0xf bank_mask:0xf
	v_mov_b32_dpp v22, v6 row_shr:1 row_mask:0xf bank_mask:0xf
	v_add_u32_e32 v21, v21, v5
	v_add_u32_e32 v22, v22, v6
	v_cndmask_b32_e64 v6, v22, v6, s[8:9]
	v_cndmask_b32_e64 v5, v21, v5, s[8:9]
	v_cmp_lt_u32_e64 s[8:9], 1, v8
	v_mov_b32_dpp v22, v6 row_shr:2 row_mask:0xf bank_mask:0xf
	v_mov_b32_dpp v21, v5 row_shr:2 row_mask:0xf bank_mask:0xf
	v_cndmask_b32_e64 v8, 0, v21, s[8:9]
	v_cndmask_b32_e64 v21, 0, v22, s[8:9]
	v_add_u32_e32 v6, v21, v6
	v_add_u32_e32 v5, v8, v5
	ds_write_b64 v7, v[5:6]
.LBB1886_115:
	s_or_b64 exec, exec, s[10:11]
	v_cndmask_b32_e32 v1, v1, v3, vcc
	v_cndmask_b32_e32 v2, v2, v4, vcc
	v_cmp_gt_u32_e32 vcc, 64, v0
	v_cmp_lt_u32_e64 s[8:9], 63, v0
	s_waitcnt lgkmcnt(0)
	s_barrier
                                        ; implicit-def: $vgpr21
	s_and_saveexec_b64 s[10:11], s[8:9]
	s_cbranch_execz .LBB1886_117
; %bb.116:
	v_lshl_add_u32 v3, v64, 3, -8
	ds_read_b64 v[21:22], v3
	s_waitcnt lgkmcnt(0)
	v_add_u32_e32 v1, v22, v1
	v_add_u32_e32 v2, v21, v2
.LBB1886_117:
	s_or_b64 exec, exec, s[10:11]
	v_subrev_co_u32_e64 v3, s[8:9], 1, v63
	v_and_b32_e32 v4, 64, v63
	v_cmp_lt_i32_e64 s[10:11], v3, v4
	v_cndmask_b32_e64 v3, v3, v63, s[10:11]
	v_lshlrev_b32_e32 v3, 2, v3
	ds_bpermute_b32 v70, v3, v2
	ds_bpermute_b32 v71, v3, v1
	s_and_saveexec_b64 s[10:11], vcc
	s_cbranch_execz .LBB1886_137
; %bb.118:
	v_mov_b32_e32 v4, 0
	ds_read_b64 v[1:2], v4 offset:24
	s_and_saveexec_b64 s[14:15], s[8:9]
	s_cbranch_execz .LBB1886_120
; %bb.119:
	s_add_i32 s16, s6, 64
	s_mov_b32 s17, 0
	s_lshl_b64 s[16:17], s[16:17], 4
	s_add_u32 s16, s12, s16
	s_addc_u32 s17, s13, s17
	v_mov_b32_e32 v5, s16
	v_mov_b32_e32 v3, 1
	;; [unrolled: 1-line block ×3, first 2 shown]
	s_waitcnt lgkmcnt(0)
	;;#ASMSTART
	global_store_dwordx4 v[5:6], v[1:4] off	
s_waitcnt vmcnt(0)
	;;#ASMEND
.LBB1886_120:
	s_or_b64 exec, exec, s[14:15]
	v_xad_u32 v23, v63, -1, s6
	v_add_u32_e32 v3, 64, v23
	v_lshlrev_b64 v[5:6], 4, v[3:4]
	v_mov_b32_e32 v3, s13
	v_add_co_u32_e32 v24, vcc, s12, v5
	v_addc_co_u32_e32 v25, vcc, v3, v6, vcc
	;;#ASMSTART
	global_load_dwordx4 v[5:8], v[24:25] off glc	
s_waitcnt vmcnt(0)
	;;#ASMEND
	v_cmp_eq_u16_sdwa s[16:17], v7, v4 src0_sel:BYTE_0 src1_sel:DWORD
	s_and_saveexec_b64 s[14:15], s[16:17]
	s_cbranch_execz .LBB1886_124
; %bb.121:
	s_mov_b64 s[16:17], 0
	v_mov_b32_e32 v3, 0
.LBB1886_122:                           ; =>This Inner Loop Header: Depth=1
	;;#ASMSTART
	global_load_dwordx4 v[5:8], v[24:25] off glc	
s_waitcnt vmcnt(0)
	;;#ASMEND
	v_cmp_ne_u16_sdwa s[20:21], v7, v3 src0_sel:BYTE_0 src1_sel:DWORD
	s_or_b64 s[16:17], s[20:21], s[16:17]
	s_andn2_b64 exec, exec, s[16:17]
	s_cbranch_execnz .LBB1886_122
; %bb.123:
	s_or_b64 exec, exec, s[16:17]
.LBB1886_124:
	s_or_b64 exec, exec, s[14:15]
	v_and_b32_e32 v73, 63, v63
	v_cmp_ne_u32_e32 vcc, 63, v73
	v_mov_b32_e32 v72, 2
	v_lshlrev_b64 v[25:26], v63, -1
	v_addc_co_u32_e32 v8, vcc, 0, v63, vcc
	v_cmp_eq_u16_sdwa s[14:15], v7, v72 src0_sel:BYTE_0 src1_sel:DWORD
	v_lshlrev_b32_e32 v74, 2, v8
	v_and_b32_e32 v3, s15, v26
	ds_bpermute_b32 v8, v74, v5
	ds_bpermute_b32 v24, v74, v6
	v_or_b32_e32 v3, 0x80000000, v3
	v_and_b32_e32 v4, s14, v25
	v_ffbl_b32_e32 v3, v3
	v_add_u32_e32 v3, 32, v3
	v_ffbl_b32_e32 v4, v4
	v_min_u32_e32 v3, v4, v3
	s_waitcnt lgkmcnt(1)
	v_add_u32_e32 v4, v8, v5
	s_waitcnt lgkmcnt(0)
	v_add_u32_e32 v8, v24, v6
	v_cmp_lt_u32_e32 vcc, v73, v3
	v_cndmask_b32_e32 v6, v6, v8, vcc
	v_cndmask_b32_e32 v4, v5, v4, vcc
	v_cmp_gt_u32_e32 vcc, 62, v73
	v_cndmask_b32_e64 v5, 0, 2, vcc
	v_add_lshl_u32 v75, v5, v63, 2
	ds_bpermute_b32 v5, v75, v4
	ds_bpermute_b32 v8, v75, v6
	v_add_u32_e32 v76, 2, v73
	v_cmp_gt_u32_e32 vcc, v76, v3
	v_add_u32_e32 v78, 4, v73
	s_waitcnt lgkmcnt(1)
	v_add_u32_e32 v5, v4, v5
	s_waitcnt lgkmcnt(0)
	v_add_u32_e32 v8, v6, v8
	v_cndmask_b32_e32 v6, v8, v6, vcc
	v_cndmask_b32_e32 v4, v5, v4, vcc
	v_cmp_gt_u32_e32 vcc, 60, v73
	v_cndmask_b32_e64 v5, 0, 4, vcc
	v_add_lshl_u32 v77, v5, v63, 2
	ds_bpermute_b32 v5, v77, v4
	ds_bpermute_b32 v8, v77, v6
	v_cmp_gt_u32_e32 vcc, v78, v3
	v_add_u32_e32 v80, 8, v73
	v_add_u32_e32 v82, 16, v73
	s_waitcnt lgkmcnt(1)
	v_add_u32_e32 v5, v4, v5
	s_waitcnt lgkmcnt(0)
	v_add_u32_e32 v8, v6, v8
	v_cndmask_b32_e32 v6, v8, v6, vcc
	v_cndmask_b32_e32 v4, v5, v4, vcc
	v_cmp_gt_u32_e32 vcc, 56, v73
	v_cndmask_b32_e64 v5, 0, 8, vcc
	v_add_lshl_u32 v79, v5, v63, 2
	ds_bpermute_b32 v5, v79, v4
	ds_bpermute_b32 v8, v79, v6
	v_cmp_gt_u32_e32 vcc, v80, v3
	v_add_u32_e32 v84, 32, v73
	v_mov_b32_e32 v24, 0
	s_waitcnt lgkmcnt(1)
	v_add_u32_e32 v5, v4, v5
	s_waitcnt lgkmcnt(0)
	v_add_u32_e32 v8, v6, v8
	v_cndmask_b32_e32 v6, v8, v6, vcc
	v_cndmask_b32_e32 v4, v5, v4, vcc
	v_cmp_gt_u32_e32 vcc, 48, v73
	v_cndmask_b32_e64 v5, 0, 16, vcc
	v_add_lshl_u32 v81, v5, v63, 2
	ds_bpermute_b32 v5, v81, v4
	ds_bpermute_b32 v8, v81, v6
	v_cmp_gt_u32_e32 vcc, v82, v3
	s_waitcnt lgkmcnt(1)
	v_add_u32_e32 v5, v4, v5
	s_waitcnt lgkmcnt(0)
	v_add_u32_e32 v8, v6, v8
	v_cndmask_b32_e32 v4, v5, v4, vcc
	v_mov_b32_e32 v5, 0x80
	v_cndmask_b32_e32 v6, v8, v6, vcc
	v_lshl_or_b32 v83, v63, 2, v5
	ds_bpermute_b32 v5, v83, v4
	ds_bpermute_b32 v8, v83, v6
	v_cmp_le_u32_e32 vcc, v84, v3
	s_waitcnt lgkmcnt(1)
	v_cndmask_b32_e32 v3, 0, v5, vcc
	s_waitcnt lgkmcnt(0)
	v_cndmask_b32_e32 v5, 0, v8, vcc
	v_add_u32_e32 v6, v6, v5
	v_add_u32_e32 v5, v4, v3
	s_branch .LBB1886_128
.LBB1886_125:                           ;   in Loop: Header=BB1886_128 Depth=1
	s_or_b64 exec, exec, s[16:17]
.LBB1886_126:                           ;   in Loop: Header=BB1886_128 Depth=1
	s_or_b64 exec, exec, s[14:15]
	v_cmp_eq_u16_sdwa s[14:15], v7, v72 src0_sel:BYTE_0 src1_sel:DWORD
	v_and_b32_e32 v8, s15, v26
	ds_bpermute_b32 v28, v74, v5
	ds_bpermute_b32 v85, v74, v6
	v_or_b32_e32 v8, 0x80000000, v8
	v_and_b32_e32 v27, s14, v25
	v_ffbl_b32_e32 v8, v8
	v_add_u32_e32 v8, 32, v8
	v_ffbl_b32_e32 v27, v27
	v_min_u32_e32 v8, v27, v8
	s_waitcnt lgkmcnt(1)
	v_add_u32_e32 v27, v28, v5
	s_waitcnt lgkmcnt(0)
	v_add_u32_e32 v28, v85, v6
	v_cmp_lt_u32_e32 vcc, v73, v8
	v_cndmask_b32_e32 v6, v6, v28, vcc
	v_cndmask_b32_e32 v5, v5, v27, vcc
	ds_bpermute_b32 v27, v75, v5
	ds_bpermute_b32 v28, v75, v6
	v_cmp_gt_u32_e32 vcc, v76, v8
	v_subrev_u32_e32 v23, 64, v23
	s_mov_b64 s[14:15], 0
	s_waitcnt lgkmcnt(1)
	v_add_u32_e32 v27, v5, v27
	s_waitcnt lgkmcnt(0)
	v_add_u32_e32 v28, v6, v28
	v_cndmask_b32_e32 v6, v28, v6, vcc
	v_cndmask_b32_e32 v5, v27, v5, vcc
	ds_bpermute_b32 v27, v77, v5
	ds_bpermute_b32 v28, v77, v6
	v_cmp_gt_u32_e32 vcc, v78, v8
	s_waitcnt lgkmcnt(1)
	v_add_u32_e32 v27, v5, v27
	s_waitcnt lgkmcnt(0)
	v_add_u32_e32 v28, v6, v28
	v_cndmask_b32_e32 v6, v28, v6, vcc
	v_cndmask_b32_e32 v5, v27, v5, vcc
	ds_bpermute_b32 v27, v79, v5
	ds_bpermute_b32 v28, v79, v6
	v_cmp_gt_u32_e32 vcc, v80, v8
	;; [unrolled: 9-line block ×3, first 2 shown]
	s_waitcnt lgkmcnt(1)
	v_add_u32_e32 v27, v5, v27
	s_waitcnt lgkmcnt(0)
	v_add_u32_e32 v28, v6, v28
	v_cndmask_b32_e32 v6, v28, v6, vcc
	v_cndmask_b32_e32 v5, v27, v5, vcc
	ds_bpermute_b32 v27, v83, v5
	ds_bpermute_b32 v28, v83, v6
	v_cmp_le_u32_e32 vcc, v84, v8
	s_waitcnt lgkmcnt(1)
	v_cndmask_b32_e32 v8, 0, v27, vcc
	s_waitcnt lgkmcnt(0)
	v_cndmask_b32_e32 v27, 0, v28, vcc
	v_add3_u32 v6, v27, v4, v6
	v_add3_u32 v5, v8, v3, v5
.LBB1886_127:                           ;   in Loop: Header=BB1886_128 Depth=1
	s_and_b64 vcc, exec, s[14:15]
	s_cbranch_vccnz .LBB1886_133
.LBB1886_128:                           ; =>This Loop Header: Depth=1
                                        ;     Child Loop BB1886_131 Depth 2
	v_mov_b32_e32 v3, v5
	v_cmp_ne_u16_sdwa s[14:15], v7, v72 src0_sel:BYTE_0 src1_sel:DWORD
	v_mov_b32_e32 v4, v6
	s_cmp_lg_u64 s[14:15], exec
	s_mov_b64 s[14:15], -1
                                        ; implicit-def: $vgpr7
                                        ; implicit-def: $vgpr5_vgpr6
	s_cbranch_scc1 .LBB1886_127
; %bb.129:                              ;   in Loop: Header=BB1886_128 Depth=1
	v_lshlrev_b64 v[5:6], 4, v[23:24]
	v_mov_b32_e32 v7, s13
	v_add_co_u32_e32 v27, vcc, s12, v5
	v_addc_co_u32_e32 v28, vcc, v7, v6, vcc
	;;#ASMSTART
	global_load_dwordx4 v[5:8], v[27:28] off glc	
s_waitcnt vmcnt(0)
	;;#ASMEND
	v_cmp_eq_u16_sdwa s[16:17], v7, v24 src0_sel:BYTE_0 src1_sel:DWORD
	s_and_saveexec_b64 s[14:15], s[16:17]
	s_cbranch_execz .LBB1886_126
; %bb.130:                              ;   in Loop: Header=BB1886_128 Depth=1
	s_mov_b64 s[16:17], 0
.LBB1886_131:                           ;   Parent Loop BB1886_128 Depth=1
                                        ; =>  This Inner Loop Header: Depth=2
	;;#ASMSTART
	global_load_dwordx4 v[5:8], v[27:28] off glc	
s_waitcnt vmcnt(0)
	;;#ASMEND
	v_cmp_ne_u16_sdwa s[20:21], v7, v24 src0_sel:BYTE_0 src1_sel:DWORD
	s_or_b64 s[16:17], s[20:21], s[16:17]
	s_andn2_b64 exec, exec, s[16:17]
	s_cbranch_execnz .LBB1886_131
	s_branch .LBB1886_125
.LBB1886_132:
                                        ; implicit-def: $vgpr22
                                        ; implicit-def: $vgpr3
                                        ; implicit-def: $vgpr23
	s_cbranch_execnz .LBB1886_138
	s_branch .LBB1886_147
.LBB1886_133:
	s_and_saveexec_b64 s[14:15], s[8:9]
	s_cbranch_execnz .LBB1886_375
; %bb.134:
	s_or_b64 exec, exec, s[14:15]
	s_and_saveexec_b64 s[6:7], s[8:9]
	s_cbranch_execnz .LBB1886_376
.LBB1886_135:
	s_or_b64 exec, exec, s[6:7]
	v_cmp_eq_u32_e32 vcc, 0, v0
	s_and_b64 exec, exec, vcc
.LBB1886_136:
	v_mov_b32_e32 v1, 0
	ds_write_b64 v1, v[3:4] offset:24
.LBB1886_137:
	s_or_b64 exec, exec, s[10:11]
	v_mov_b32_e32 v1, 0
	s_waitcnt lgkmcnt(0)
	s_barrier
	ds_read_b64 v[5:6], v1 offset:24
	v_cndmask_b32_e64 v2, v71, v22, s[8:9]
	v_cndmask_b32_e64 v3, v70, v21, s[8:9]
	s_waitcnt lgkmcnt(0)
	s_barrier
	v_add_u32_e32 v7, v5, v3
	v_add_u32_e32 v8, v6, v2
	ds_read_b128 v[1:4], v1 offset:13312
	v_cmp_eq_u32_e32 vcc, 0, v0
	v_cndmask_b32_e32 v22, v8, v6, vcc
	v_cndmask_b32_e32 v23, v7, v5, vcc
	s_branch .LBB1886_147
.LBB1886_138:
	s_waitcnt lgkmcnt(0)
	v_mov_b32_dpp v1, v68 row_shr:1 row_mask:0xf bank_mask:0xf
	v_mov_b32_dpp v2, v69 row_shr:1 row_mask:0xf bank_mask:0xf
	v_add_u32_e32 v1, v1, v68
	v_add_u32_e32 v2, v2, v69
	v_cndmask_b32_e64 v2, v2, v69, s[4:5]
	v_cndmask_b32_e64 v1, v1, v68, s[4:5]
	v_cmp_lt_u32_e32 vcc, 3, v67
	v_mov_b32_dpp v4, v2 row_shr:2 row_mask:0xf bank_mask:0xf
	v_mov_b32_dpp v3, v1 row_shr:2 row_mask:0xf bank_mask:0xf
	v_add_u32_e32 v3, v1, v3
	v_add_u32_e32 v4, v2, v4
	v_cndmask_b32_e64 v2, v2, v4, s[2:3]
	v_cndmask_b32_e64 v1, v1, v3, s[2:3]
	v_cmp_eq_u32_e64 s[2:3], v0, v65
	v_mov_b32_dpp v4, v2 row_shr:4 row_mask:0xf bank_mask:0xf
	v_mov_b32_dpp v3, v1 row_shr:4 row_mask:0xf bank_mask:0xf
	v_add_u32_e32 v3, v1, v3
	v_add_u32_e32 v4, v2, v4
	v_cndmask_b32_e32 v2, v2, v4, vcc
	v_cndmask_b32_e32 v1, v1, v3, vcc
	v_cmp_lt_u32_e32 vcc, 7, v67
	v_mov_b32_dpp v4, v2 row_shr:8 row_mask:0xf bank_mask:0xf
	v_mov_b32_dpp v3, v1 row_shr:8 row_mask:0xf bank_mask:0xf
	v_add_u32_e32 v3, v1, v3
	v_add_u32_e32 v4, v2, v4
	v_cndmask_b32_e32 v2, v2, v4, vcc
	v_cndmask_b32_e32 v3, v1, v3, vcc
	v_cmp_eq_u32_e32 vcc, 0, v66
	v_mov_b32_dpp v4, v2 row_bcast:15 row_mask:0xf bank_mask:0xf
	v_mov_b32_dpp v1, v3 row_bcast:15 row_mask:0xf bank_mask:0xf
	v_add_u32_e32 v5, v3, v1
	v_add_u32_e32 v1, v2, v4
	v_cndmask_b32_e32 v1, v1, v2, vcc
	v_cndmask_b32_e32 v2, v5, v3, vcc
	v_cmp_lt_u32_e32 vcc, 31, v63
	v_mov_b32_dpp v3, v1 row_bcast:31 row_mask:0xf bank_mask:0xf
	v_mov_b32_dpp v4, v2 row_bcast:31 row_mask:0xf bank_mask:0xf
	v_add_u32_e32 v3, v1, v3
	v_add_u32_e32 v4, v2, v4
	s_and_saveexec_b64 s[4:5], s[2:3]
; %bb.139:
	v_cndmask_b32_e32 v5, v2, v4, vcc
	v_cndmask_b32_e32 v6, v1, v3, vcc
	v_lshlrev_b32_e32 v7, 3, v64
	ds_write_b64 v7, v[5:6]
; %bb.140:
	s_or_b64 exec, exec, s[4:5]
	v_cmp_gt_u32_e64 s[2:3], 4, v0
	s_waitcnt lgkmcnt(0)
	s_barrier
	s_and_saveexec_b64 s[4:5], s[2:3]
	s_cbranch_execz .LBB1886_142
; %bb.141:
	v_lshlrev_b32_e32 v7, 3, v0
	ds_read_b64 v[5:6], v7
	v_and_b32_e32 v8, 3, v63
	v_cmp_eq_u32_e64 s[2:3], 0, v8
	s_waitcnt lgkmcnt(0)
	v_mov_b32_dpp v21, v5 row_shr:1 row_mask:0xf bank_mask:0xf
	v_mov_b32_dpp v22, v6 row_shr:1 row_mask:0xf bank_mask:0xf
	v_add_u32_e32 v21, v21, v5
	v_add_u32_e32 v22, v22, v6
	v_cndmask_b32_e64 v6, v22, v6, s[2:3]
	v_cndmask_b32_e64 v5, v21, v5, s[2:3]
	v_cmp_lt_u32_e64 s[2:3], 1, v8
	v_mov_b32_dpp v22, v6 row_shr:2 row_mask:0xf bank_mask:0xf
	v_mov_b32_dpp v21, v5 row_shr:2 row_mask:0xf bank_mask:0xf
	v_cndmask_b32_e64 v8, 0, v21, s[2:3]
	v_cndmask_b32_e64 v21, 0, v22, s[2:3]
	v_add_u32_e32 v6, v21, v6
	v_add_u32_e32 v5, v8, v5
	ds_write_b64 v7, v[5:6]
.LBB1886_142:
	s_or_b64 exec, exec, s[4:5]
	v_cmp_lt_u32_e64 s[2:3], 63, v0
	v_mov_b32_e32 v7, 0
	v_mov_b32_e32 v5, 0
	;; [unrolled: 1-line block ×3, first 2 shown]
	s_waitcnt lgkmcnt(0)
	s_barrier
	s_and_saveexec_b64 s[4:5], s[2:3]
; %bb.143:
	v_lshl_add_u32 v5, v64, 3, -8
	ds_read_b64 v[5:6], v5
; %bb.144:
	s_or_b64 exec, exec, s[4:5]
	v_cndmask_b32_e32 v2, v2, v4, vcc
	v_cndmask_b32_e32 v1, v1, v3, vcc
	v_subrev_co_u32_e32 v3, vcc, 1, v63
	v_and_b32_e32 v4, 64, v63
	v_cmp_lt_i32_e64 s[2:3], v3, v4
	v_cndmask_b32_e64 v3, v3, v63, s[2:3]
	s_waitcnt lgkmcnt(0)
	v_add_u32_e32 v1, v6, v1
	v_add_u32_e32 v2, v5, v2
	v_lshlrev_b32_e32 v3, 2, v3
	ds_bpermute_b32 v8, v3, v2
	ds_bpermute_b32 v21, v3, v1
	ds_read_b64 v[1:2], v7 offset:24
	v_cmp_eq_u32_e64 s[2:3], 0, v0
	s_and_saveexec_b64 s[4:5], s[2:3]
	s_cbranch_execz .LBB1886_146
; %bb.145:
	s_add_u32 s6, s12, 0x400
	s_addc_u32 s7, s13, 0
	v_mov_b32_e32 v23, s7
	v_mov_b32_e32 v3, 2
	;; [unrolled: 1-line block ×4, first 2 shown]
	s_waitcnt lgkmcnt(0)
	;;#ASMSTART
	global_store_dwordx4 v[22:23], v[1:4] off	
s_waitcnt vmcnt(0)
	;;#ASMEND
.LBB1886_146:
	s_or_b64 exec, exec, s[4:5]
	s_waitcnt lgkmcnt(2)
	v_cndmask_b32_e32 v3, v8, v5, vcc
	s_waitcnt lgkmcnt(1)
	v_cndmask_b32_e32 v4, v21, v6, vcc
	v_cndmask_b32_e64 v22, v4, 0, s[2:3]
	v_cndmask_b32_e64 v23, v3, 0, s[2:3]
	v_mov_b32_e32 v4, 0
	v_mov_b32_e32 v3, 0
	s_waitcnt lgkmcnt(0)
	s_barrier
.LBB1886_147:
	v_mov_b32_e32 v6, s49
	s_waitcnt lgkmcnt(0)
	v_add_co_u32_e32 v5, vcc, s48, v3
	v_addc_co_u32_e32 v6, vcc, 0, v6, vcc
	v_mov_b32_e32 v27, s51
	v_sub_co_u32_e32 v28, vcc, s50, v1
	v_subbrev_co_u32_e32 v69, vcc, 0, v27, vcc
	v_add_co_u32_e32 v27, vcc, v28, v4
	v_add_u32_e32 v49, v22, v49
	v_addc_co_u32_e32 v28, vcc, 0, v69, vcc
	v_lshlrev_b32_e32 v69, 1, v1
	v_sub_u32_e32 v22, v22, v4
	v_lshrrev_b32_e32 v26, 8, v37
	v_add_u32_e32 v48, v23, v48
	v_add_u32_e32 v70, v69, v2
	v_sub_u32_e32 v23, v23, v3
	v_add_u32_e32 v22, v22, v1
	v_add_u32_e32 v30, v70, v30
	v_and_b32_e32 v26, 1, v26
	v_add_u32_e32 v71, v23, v22
	v_and_b32_e32 v70, 1, v31
	v_sub_u32_e32 v71, v30, v71
	v_cmp_eq_u32_e32 vcc, 1, v26
	v_cndmask_b32_e32 v22, v71, v22, vcc
	v_cmp_eq_u32_e32 vcc, 1, v70
	v_cndmask_b32_e32 v22, v22, v23, vcc
	v_lshlrev_b32_e32 v22, 2, v22
	v_sub_u32_e32 v23, v49, v4
	v_lshrrev_b32_e32 v25, 8, v31
	ds_write_b32 v22, v19
	v_sub_u32_e32 v19, v48, v3
	v_add_u32_e32 v23, v23, v1
	v_add_u32_e32 v45, v48, v45
	v_and_b32_e32 v22, 1, v25
	v_mov_b32_e32 v25, 1
	v_add_u32_e32 v48, v23, v19
	v_and_b32_sdwa v26, v25, v37 dst_sel:DWORD dst_unused:UNUSED_PAD src0_sel:DWORD src1_sel:WORD_1
	v_sub_u32_e32 v48, v30, v48
	v_add_u32_e32 v48, 1, v48
	v_cmp_eq_u32_e32 vcc, 1, v26
	v_cndmask_b32_e32 v23, v48, v23, vcc
	v_cmp_eq_u32_e32 vcc, 1, v22
	v_add_u32_e32 v57, v49, v57
	v_cndmask_b32_e32 v19, v23, v19, vcc
	v_lshlrev_b32_e32 v19, 2, v19
	v_sub_u32_e32 v22, v57, v4
	ds_write_b32 v19, v20
	v_sub_u32_e32 v19, v45, v3
	v_add_u32_e32 v22, v22, v1
	v_add_u32_e32 v26, v22, v19
	v_and_b32_e32 v23, 1, v44
	v_sub_u32_e32 v26, v30, v26
	v_and_b32_sdwa v20, v25, v31 dst_sel:DWORD dst_unused:UNUSED_PAD src0_sel:DWORD src1_sel:WORD_1
	v_add_u32_e32 v26, 2, v26
	v_cmp_eq_u32_e32 vcc, 1, v23
	v_cndmask_b32_e32 v22, v26, v22, vcc
	v_cmp_eq_u32_e32 vcc, 1, v20
	v_add_u32_e32 v63, v57, v44
	v_cndmask_b32_e32 v19, v22, v19, vcc
	v_add_u32_e32 v50, v45, v50
	v_lshlrev_b32_e32 v19, 2, v19
	v_sub_u32_e32 v20, v63, v4
	ds_write_b32 v19, v17
	v_sub_u32_e32 v17, v50, v3
	v_add_u32_e32 v20, v20, v1
	v_add_u32_e32 v23, v17, v20
	v_and_b32_e32 v22, 1, v32
	v_sub_u32_e32 v23, v30, v23
	v_and_b32_e32 v19, 1, v43
	v_add_u32_e32 v23, 3, v23
	v_cmp_eq_u32_e32 vcc, 1, v22
	v_cndmask_b32_e32 v20, v23, v20, vcc
	v_cmp_eq_u32_e32 vcc, 1, v19
	v_add_u32_e32 v58, v63, v58
	v_cndmask_b32_e32 v17, v20, v17, vcc
	v_add_u32_e32 v64, v50, v43
	v_lshlrev_b32_e32 v17, 2, v17
	v_sub_u32_e32 v19, v58, v4
	ds_write_b32 v17, v18
	v_sub_u32_e32 v17, v64, v3
	v_add_u32_e32 v19, v19, v1
	v_lshrrev_b32_e32 v24, 8, v32
	v_add_u32_e32 v22, v17, v19
	v_and_b32_e32 v20, 1, v24
	v_sub_u32_e32 v22, v30, v22
	v_and_b32_e32 v18, 1, v33
	v_add_u32_e32 v22, 4, v22
	v_cmp_eq_u32_e32 vcc, 1, v20
	v_cndmask_b32_e32 v19, v22, v19, vcc
	v_cmp_eq_u32_e32 vcc, 1, v18
	v_add_u32_e32 v52, v58, v52
	v_cndmask_b32_e32 v17, v19, v17, vcc
	v_add_u32_e32 v51, v64, v51
	v_lshlrev_b32_e32 v17, 2, v17
	v_sub_u32_e32 v18, v52, v4
	ds_write_b32 v17, v15
	v_sub_u32_e32 v15, v51, v3
	v_add_u32_e32 v18, v18, v1
	v_add_u32_e32 v20, v15, v18
	v_lshrrev_b32_e32 v21, 8, v33
	v_and_b32_sdwa v19, v25, v32 dst_sel:DWORD dst_unused:UNUSED_PAD src0_sel:DWORD src1_sel:WORD_1
	v_sub_u32_e32 v20, v30, v20
	v_and_b32_e32 v17, 1, v21
	v_add_u32_e32 v20, 5, v20
	v_cmp_eq_u32_e32 vcc, 1, v19
	v_cndmask_b32_e32 v18, v20, v18, vcc
	v_cmp_eq_u32_e32 vcc, 1, v17
	v_add_u32_e32 v59, v52, v59
	v_cndmask_b32_e32 v15, v18, v15, vcc
	v_add_u32_e32 v46, v51, v46
	v_lshlrev_b32_e32 v15, 2, v15
	v_sub_u32_e32 v17, v59, v4
	ds_write_b32 v15, v16
	v_sub_u32_e32 v15, v46, v3
	v_add_u32_e32 v17, v17, v1
	v_add_u32_e32 v19, v15, v17
	v_and_b32_e32 v18, 1, v42
	v_sub_u32_e32 v19, v30, v19
	v_and_b32_sdwa v16, v25, v33 dst_sel:DWORD dst_unused:UNUSED_PAD src0_sel:DWORD src1_sel:WORD_1
	v_add_u32_e32 v19, 6, v19
	v_cmp_eq_u32_e32 vcc, 1, v18
	v_cndmask_b32_e32 v17, v19, v17, vcc
	v_cmp_eq_u32_e32 vcc, 1, v16
	v_add_u32_e32 v65, v59, v42
	v_cndmask_b32_e32 v15, v17, v15, vcc
	v_add_u32_e32 v53, v46, v53
	v_lshlrev_b32_e32 v15, 2, v15
	v_sub_u32_e32 v16, v65, v4
	ds_write_b32 v15, v13
	v_sub_u32_e32 v13, v53, v3
	v_add_u32_e32 v16, v16, v1
	v_add_u32_e32 v18, v13, v16
	v_and_b32_e32 v17, 1, v34
	v_sub_u32_e32 v18, v30, v18
	v_and_b32_e32 v15, 1, v41
	v_add_u32_e32 v18, 7, v18
	v_cmp_eq_u32_e32 vcc, 1, v17
	v_cndmask_b32_e32 v16, v18, v16, vcc
	v_cmp_eq_u32_e32 vcc, 1, v15
	v_add_u32_e32 v60, v65, v60
	v_cndmask_b32_e32 v13, v16, v13, vcc
	v_add_u32_e32 v66, v53, v41
	v_lshlrev_b32_e32 v13, 2, v13
	v_sub_u32_e32 v15, v60, v4
	ds_write_b32 v13, v14
	v_sub_u32_e32 v13, v66, v3
	v_add_u32_e32 v15, v15, v1
	v_lshrrev_b32_e32 v8, 8, v34
	v_add_u32_e32 v16, v13, v15
	v_and_b32_e32 v8, 1, v8
	v_sub_u32_e32 v16, v30, v16
	v_and_b32_e32 v14, 1, v36
	v_add_u32_e32 v16, 8, v16
	v_cmp_eq_u32_e32 vcc, 1, v8
	v_cndmask_b32_e32 v8, v16, v15, vcc
	v_cmp_eq_u32_e32 vcc, 1, v14
	v_cndmask_b32_e32 v8, v8, v13, vcc
	v_add_u32_e32 v55, v60, v55
	v_lshlrev_b32_e32 v8, 2, v8
	v_add_u32_e32 v54, v66, v54
	ds_write_b32 v8, v11
	v_sub_u32_e32 v11, v55, v4
	v_sub_u32_e32 v8, v54, v3
	v_add_u32_e32 v11, v11, v1
	v_add_u32_e32 v14, v8, v11
	v_lshrrev_b32_e32 v7, 8, v36
	v_and_b32_sdwa v13, v25, v34 dst_sel:DWORD dst_unused:UNUSED_PAD src0_sel:DWORD src1_sel:WORD_1
	v_sub_u32_e32 v14, v30, v14
	v_and_b32_e32 v7, 1, v7
	v_add_u32_e32 v14, 9, v14
	v_cmp_eq_u32_e32 vcc, 1, v13
	v_cndmask_b32_e32 v11, v14, v11, vcc
	v_cmp_eq_u32_e32 vcc, 1, v7
	v_add_u32_e32 v61, v55, v61
	v_cndmask_b32_e32 v7, v11, v8, vcc
	v_add_u32_e32 v47, v54, v47
	v_lshlrev_b32_e32 v7, 2, v7
	v_sub_u32_e32 v11, v61, v4
	ds_write_b32 v7, v12
	v_sub_u32_e32 v7, v47, v3
	v_add_u32_e32 v11, v11, v1
	v_add_u32_e32 v13, v7, v11
	v_and_b32_e32 v12, 1, v40
	v_sub_u32_e32 v13, v30, v13
	v_and_b32_sdwa v8, v25, v36 dst_sel:DWORD dst_unused:UNUSED_PAD src0_sel:DWORD src1_sel:WORD_1
	v_add_u32_e32 v13, 10, v13
	v_cmp_eq_u32_e32 vcc, 1, v12
	v_cndmask_b32_e32 v11, v13, v11, vcc
	v_cmp_eq_u32_e32 vcc, 1, v8
	v_cndmask_b32_e32 v7, v11, v7, vcc
	v_add_u32_e32 v67, v61, v40
	v_lshlrev_b32_e32 v7, 2, v7
	v_add_u32_e32 v56, v47, v56
	ds_write_b32 v7, v9
	v_sub_u32_e32 v9, v67, v4
	v_sub_u32_e32 v7, v56, v3
	v_add_u32_e32 v9, v9, v1
	v_add_u32_e32 v12, v7, v9
	v_and_b32_e32 v11, 1, v35
	v_sub_u32_e32 v12, v30, v12
	v_and_b32_e32 v8, 1, v39
	v_add_u32_e32 v12, 11, v12
	v_cmp_eq_u32_e32 vcc, 1, v11
	v_add_u32_e32 v62, v67, v62
	v_cndmask_b32_e32 v9, v12, v9, vcc
	v_cmp_eq_u32_e32 vcc, 1, v8
	v_add_u32_e32 v68, v56, v39
	v_cndmask_b32_e32 v7, v9, v7, vcc
	v_sub_u32_e32 v8, v62, v4
	v_lshlrev_b32_e32 v7, 2, v7
	v_sub_u32_e32 v3, v68, v3
	v_add_u32_e32 v8, v8, v1
	ds_write_b32 v7, v10
	v_add_u32_e32 v10, v3, v8
	v_and_b32_e32 v9, 1, v38
	v_sub_u32_e32 v10, v30, v10
	v_and_b32_e32 v7, 1, v37
	v_add_u32_e32 v10, 12, v10
	v_cmp_eq_u32_e32 vcc, 1, v9
	v_cndmask_b32_e32 v8, v10, v8, vcc
	v_cmp_eq_u32_e32 vcc, 1, v7
	v_cndmask_b32_e32 v3, v8, v3, vcc
	v_lshlrev_b32_e32 v3, 2, v3
	ds_write_b32 v3, v29
	v_add_co_u32_e32 v3, vcc, v2, v69
	v_addc_co_u32_e64 v7, s[2:3], 0, 0, vcc
	v_add_co_u32_e32 v3, vcc, v3, v27
	v_addc_co_u32_e32 v7, vcc, v7, v28, vcc
	s_add_u32 s4, s56, s33
	v_add_co_u32_e32 v3, vcc, v3, v5
	s_addc_u32 s5, s57, 0
	v_addc_co_u32_e32 v7, vcc, v7, v6, vcc
	v_mov_b32_e32 v8, s5
	v_sub_co_u32_e32 v3, vcc, s4, v3
	v_subb_co_u32_e32 v11, vcc, v8, v7, vcc
	v_lshlrev_b64 v[7:8], 2, v[27:28]
	v_mov_b32_e32 v9, s55
	v_add_co_u32_e32 v7, vcc, s54, v7
	v_addc_co_u32_e32 v8, vcc, v9, v8, vcc
	v_lshlrev_b64 v[9:10], 2, v[5:6]
	v_mov_b32_e32 v13, s53
	v_add_co_u32_e32 v9, vcc, s52, v9
	v_addc_co_u32_e32 v10, vcc, v13, v10, vcc
	v_add_u32_e32 v12, v1, v2
	s_and_b64 vcc, exec, s[0:1]
	s_mov_b64 s[0:1], -1
	s_waitcnt lgkmcnt(0)
	s_barrier
	s_cbranch_vccz .LBB1886_151
; %bb.148:
	s_and_b64 vcc, exec, s[0:1]
	s_cbranch_vccnz .LBB1886_256
.LBB1886_149:
	v_cmp_eq_u32_e32 vcc, 0, v0
	s_and_b64 s[0:1], vcc, s[34:35]
	s_and_saveexec_b64 s[2:3], s[0:1]
	s_cbranch_execnz .LBB1886_374
.LBB1886_150:
	s_endpgm
.LBB1886_151:
	v_cmp_ge_u32_e32 vcc, v0, v1
	s_and_saveexec_b64 s[0:1], vcc
	s_xor_b64 s[0:1], exec, s[0:1]
	s_cbranch_execz .LBB1886_157
; %bb.152:
	v_cmp_ge_u32_e32 vcc, v0, v12
	s_and_saveexec_b64 s[2:3], vcc
	s_xor_b64 s[2:3], exec, s[2:3]
	s_cbranch_execz .LBB1886_154
; %bb.153:
	v_add_co_u32_e32 v13, vcc, v3, v0
	v_lshlrev_b32_e32 v15, 2, v0
	v_addc_co_u32_e32 v14, vcc, 0, v11, vcc
	ds_read_b32 v15, v15
	v_lshlrev_b64 v[13:14], 2, v[13:14]
	v_mov_b32_e32 v16, s47
	v_sub_co_u32_e32 v13, vcc, s46, v13
	v_subb_co_u32_e32 v14, vcc, v16, v14, vcc
	s_waitcnt lgkmcnt(0)
	global_store_dword v[13:14], v15, off offset:-4
.LBB1886_154:
	s_andn2_saveexec_b64 s[2:3], s[2:3]
	s_cbranch_execz .LBB1886_156
; %bb.155:
	v_lshlrev_b32_e32 v13, 2, v0
	ds_read_b32 v14, v13
	v_readfirstlane_b32 s4, v7
	v_readfirstlane_b32 s5, v8
	s_waitcnt lgkmcnt(0)
	s_nop 3
	global_store_dword v13, v14, s[4:5]
.LBB1886_156:
	s_or_b64 exec, exec, s[2:3]
.LBB1886_157:
	s_andn2_saveexec_b64 s[0:1], s[0:1]
	s_cbranch_execz .LBB1886_159
; %bb.158:
	v_lshlrev_b32_e32 v13, 2, v0
	ds_read_b32 v14, v13
	v_readfirstlane_b32 s2, v9
	v_readfirstlane_b32 s3, v10
	s_waitcnt lgkmcnt(0)
	s_nop 3
	global_store_dword v13, v14, s[2:3]
.LBB1886_159:
	s_or_b64 exec, exec, s[0:1]
	v_or_b32_e32 v13, 0x100, v0
	v_cmp_ge_u32_e32 vcc, v13, v1
	s_and_saveexec_b64 s[0:1], vcc
	s_xor_b64 s[0:1], exec, s[0:1]
	s_cbranch_execz .LBB1886_165
; %bb.160:
	v_cmp_ge_u32_e32 vcc, v13, v12
	s_and_saveexec_b64 s[2:3], vcc
	s_xor_b64 s[2:3], exec, s[2:3]
	s_cbranch_execz .LBB1886_162
; %bb.161:
	v_lshlrev_b32_e32 v13, 2, v0
	ds_read_b32 v15, v13 offset:1024
	v_add_co_u32_e32 v13, vcc, v3, v0
	v_addc_co_u32_e32 v14, vcc, 0, v11, vcc
	v_lshlrev_b64 v[13:14], 2, v[13:14]
	v_mov_b32_e32 v16, s47
	v_sub_co_u32_e32 v13, vcc, s46, v13
	v_subb_co_u32_e32 v14, vcc, v16, v14, vcc
	s_waitcnt lgkmcnt(0)
	global_store_dword v[13:14], v15, off offset:-1028
.LBB1886_162:
	s_andn2_saveexec_b64 s[2:3], s[2:3]
	s_cbranch_execz .LBB1886_164
; %bb.163:
	v_lshlrev_b32_e32 v13, 2, v0
	ds_read_b32 v14, v13 offset:1024
	v_readfirstlane_b32 s4, v7
	v_readfirstlane_b32 s5, v8
	s_waitcnt lgkmcnt(0)
	s_nop 3
	global_store_dword v13, v14, s[4:5] offset:1024
.LBB1886_164:
	s_or_b64 exec, exec, s[2:3]
.LBB1886_165:
	s_andn2_saveexec_b64 s[0:1], s[0:1]
	s_cbranch_execz .LBB1886_167
; %bb.166:
	v_lshlrev_b32_e32 v13, 2, v0
	ds_read_b32 v14, v13 offset:1024
	v_readfirstlane_b32 s2, v9
	v_readfirstlane_b32 s3, v10
	s_waitcnt lgkmcnt(0)
	s_nop 3
	global_store_dword v13, v14, s[2:3] offset:1024
.LBB1886_167:
	s_or_b64 exec, exec, s[0:1]
	v_or_b32_e32 v13, 0x200, v0
	v_cmp_ge_u32_e32 vcc, v13, v1
	s_and_saveexec_b64 s[0:1], vcc
	s_xor_b64 s[0:1], exec, s[0:1]
	s_cbranch_execz .LBB1886_173
; %bb.168:
	v_cmp_ge_u32_e32 vcc, v13, v12
	s_and_saveexec_b64 s[2:3], vcc
	s_xor_b64 s[2:3], exec, s[2:3]
	s_cbranch_execz .LBB1886_170
; %bb.169:
	v_lshlrev_b32_e32 v13, 2, v0
	ds_read_b32 v15, v13 offset:2048
	v_add_co_u32_e32 v13, vcc, v3, v0
	v_addc_co_u32_e32 v14, vcc, 0, v11, vcc
	v_lshlrev_b64 v[13:14], 2, v[13:14]
	v_mov_b32_e32 v16, s47
	v_sub_co_u32_e32 v13, vcc, s46, v13
	v_subb_co_u32_e32 v14, vcc, v16, v14, vcc
	s_waitcnt lgkmcnt(0)
	global_store_dword v[13:14], v15, off offset:-2052
.LBB1886_170:
	s_andn2_saveexec_b64 s[2:3], s[2:3]
	s_cbranch_execz .LBB1886_172
; %bb.171:
	v_lshlrev_b32_e32 v13, 2, v0
	ds_read_b32 v14, v13 offset:2048
	v_readfirstlane_b32 s4, v7
	v_readfirstlane_b32 s5, v8
	s_waitcnt lgkmcnt(0)
	s_nop 3
	global_store_dword v13, v14, s[4:5] offset:2048
.LBB1886_172:
	s_or_b64 exec, exec, s[2:3]
.LBB1886_173:
	s_andn2_saveexec_b64 s[0:1], s[0:1]
	s_cbranch_execz .LBB1886_175
; %bb.174:
	v_lshlrev_b32_e32 v13, 2, v0
	ds_read_b32 v14, v13 offset:2048
	v_readfirstlane_b32 s2, v9
	v_readfirstlane_b32 s3, v10
	s_waitcnt lgkmcnt(0)
	s_nop 3
	global_store_dword v13, v14, s[2:3] offset:2048
.LBB1886_175:
	;; [unrolled: 47-line block ×3, first 2 shown]
	s_or_b64 exec, exec, s[0:1]
	v_or_b32_e32 v13, 0x400, v0
	v_cmp_ge_u32_e32 vcc, v13, v1
	s_and_saveexec_b64 s[0:1], vcc
	s_xor_b64 s[0:1], exec, s[0:1]
	s_cbranch_execz .LBB1886_189
; %bb.184:
	v_cmp_ge_u32_e32 vcc, v13, v12
	s_and_saveexec_b64 s[2:3], vcc
	s_xor_b64 s[2:3], exec, s[2:3]
	s_cbranch_execz .LBB1886_186
; %bb.185:
	v_lshlrev_b32_e32 v13, 2, v0
	ds_read_b32 v15, v13 offset:4096
	v_add_co_u32_e32 v13, vcc, v3, v0
	v_addc_co_u32_e32 v14, vcc, 0, v11, vcc
	v_lshlrev_b64 v[13:14], 2, v[13:14]
	v_mov_b32_e32 v16, s47
	v_sub_co_u32_e32 v13, vcc, s46, v13
	v_subb_co_u32_e32 v14, vcc, v16, v14, vcc
	v_add_co_u32_e32 v13, vcc, 0xfffff000, v13
	v_addc_co_u32_e32 v14, vcc, -1, v14, vcc
	s_waitcnt lgkmcnt(0)
	global_store_dword v[13:14], v15, off offset:-4
                                        ; implicit-def: $vgpr13
.LBB1886_186:
	s_andn2_saveexec_b64 s[2:3], s[2:3]
	s_cbranch_execz .LBB1886_188
; %bb.187:
	v_lshlrev_b32_e32 v14, 2, v0
	ds_read_b32 v14, v14 offset:4096
	v_lshlrev_b32_e32 v13, 2, v13
	v_readfirstlane_b32 s4, v7
	v_readfirstlane_b32 s5, v8
	s_waitcnt lgkmcnt(0)
	s_nop 3
	global_store_dword v13, v14, s[4:5]
.LBB1886_188:
	s_or_b64 exec, exec, s[2:3]
                                        ; implicit-def: $vgpr13
.LBB1886_189:
	s_andn2_saveexec_b64 s[0:1], s[0:1]
	s_cbranch_execz .LBB1886_191
; %bb.190:
	v_lshlrev_b32_e32 v14, 2, v0
	ds_read_b32 v14, v14 offset:4096
	v_lshlrev_b32_e32 v13, 2, v13
	v_readfirstlane_b32 s2, v9
	v_readfirstlane_b32 s3, v10
	s_waitcnt lgkmcnt(0)
	s_nop 3
	global_store_dword v13, v14, s[2:3]
.LBB1886_191:
	s_or_b64 exec, exec, s[0:1]
	v_or_b32_e32 v13, 0x500, v0
	v_cmp_ge_u32_e32 vcc, v13, v1
	s_and_saveexec_b64 s[0:1], vcc
	s_xor_b64 s[0:1], exec, s[0:1]
	s_cbranch_execz .LBB1886_197
; %bb.192:
	v_cmp_ge_u32_e32 vcc, v13, v12
	s_and_saveexec_b64 s[2:3], vcc
	s_xor_b64 s[2:3], exec, s[2:3]
	s_cbranch_execz .LBB1886_194
; %bb.193:
	v_add_co_u32_e32 v13, vcc, v3, v13
	v_lshlrev_b32_e32 v15, 2, v0
	v_addc_co_u32_e32 v14, vcc, 0, v11, vcc
	ds_read_b32 v15, v15 offset:5120
	v_lshlrev_b64 v[13:14], 2, v[13:14]
	v_mov_b32_e32 v16, s47
	v_sub_co_u32_e32 v13, vcc, s46, v13
	v_subb_co_u32_e32 v14, vcc, v16, v14, vcc
	s_waitcnt lgkmcnt(0)
	global_store_dword v[13:14], v15, off offset:-4
                                        ; implicit-def: $vgpr13
.LBB1886_194:
	s_andn2_saveexec_b64 s[2:3], s[2:3]
	s_cbranch_execz .LBB1886_196
; %bb.195:
	v_lshlrev_b32_e32 v14, 2, v0
	ds_read_b32 v14, v14 offset:5120
	v_lshlrev_b32_e32 v13, 2, v13
	v_readfirstlane_b32 s4, v7
	v_readfirstlane_b32 s5, v8
	s_waitcnt lgkmcnt(0)
	s_nop 3
	global_store_dword v13, v14, s[4:5]
.LBB1886_196:
	s_or_b64 exec, exec, s[2:3]
                                        ; implicit-def: $vgpr13
.LBB1886_197:
	s_andn2_saveexec_b64 s[0:1], s[0:1]
	s_cbranch_execz .LBB1886_199
; %bb.198:
	v_lshlrev_b32_e32 v14, 2, v0
	ds_read_b32 v14, v14 offset:5120
	v_lshlrev_b32_e32 v13, 2, v13
	v_readfirstlane_b32 s2, v9
	v_readfirstlane_b32 s3, v10
	s_waitcnt lgkmcnt(0)
	s_nop 3
	global_store_dword v13, v14, s[2:3]
.LBB1886_199:
	s_or_b64 exec, exec, s[0:1]
	v_or_b32_e32 v13, 0x600, v0
	v_cmp_ge_u32_e32 vcc, v13, v1
	s_and_saveexec_b64 s[0:1], vcc
	s_xor_b64 s[0:1], exec, s[0:1]
	s_cbranch_execz .LBB1886_205
; %bb.200:
	v_cmp_ge_u32_e32 vcc, v13, v12
	s_and_saveexec_b64 s[2:3], vcc
	s_xor_b64 s[2:3], exec, s[2:3]
	s_cbranch_execz .LBB1886_202
; %bb.201:
	v_add_co_u32_e32 v13, vcc, v3, v13
	v_lshlrev_b32_e32 v15, 2, v0
	v_addc_co_u32_e32 v14, vcc, 0, v11, vcc
	ds_read_b32 v15, v15 offset:6144
	v_lshlrev_b64 v[13:14], 2, v[13:14]
	v_mov_b32_e32 v16, s47
	v_sub_co_u32_e32 v13, vcc, s46, v13
	v_subb_co_u32_e32 v14, vcc, v16, v14, vcc
	s_waitcnt lgkmcnt(0)
	global_store_dword v[13:14], v15, off offset:-4
                                        ; implicit-def: $vgpr13
.LBB1886_202:
	s_andn2_saveexec_b64 s[2:3], s[2:3]
	s_cbranch_execz .LBB1886_204
; %bb.203:
	v_lshlrev_b32_e32 v14, 2, v0
	ds_read_b32 v14, v14 offset:6144
	v_lshlrev_b32_e32 v13, 2, v13
	v_readfirstlane_b32 s4, v7
	v_readfirstlane_b32 s5, v8
	s_waitcnt lgkmcnt(0)
	s_nop 3
	global_store_dword v13, v14, s[4:5]
.LBB1886_204:
	s_or_b64 exec, exec, s[2:3]
                                        ; implicit-def: $vgpr13
.LBB1886_205:
	;; [unrolled: 51-line block ×8, first 2 shown]
	s_andn2_saveexec_b64 s[0:1], s[0:1]
	s_cbranch_execz .LBB1886_255
; %bb.254:
	v_lshlrev_b32_e32 v14, 2, v0
	ds_read_b32 v14, v14 offset:12288
	v_lshlrev_b32_e32 v13, 2, v13
	v_readfirstlane_b32 s2, v9
	v_readfirstlane_b32 s3, v10
	s_waitcnt lgkmcnt(0)
	s_nop 3
	global_store_dword v13, v14, s[2:3]
.LBB1886_255:
	s_or_b64 exec, exec, s[0:1]
	s_branch .LBB1886_149
.LBB1886_256:
	v_cmp_gt_u32_e32 vcc, s18, v0
	s_and_saveexec_b64 s[0:1], vcc
	s_cbranch_execz .LBB1886_265
; %bb.257:
	v_cmp_ge_u32_e32 vcc, v0, v1
	s_and_saveexec_b64 s[2:3], vcc
	s_xor_b64 s[2:3], exec, s[2:3]
	s_cbranch_execz .LBB1886_263
; %bb.258:
	v_cmp_ge_u32_e32 vcc, v0, v12
	s_and_saveexec_b64 s[4:5], vcc
	s_xor_b64 s[4:5], exec, s[4:5]
	s_cbranch_execz .LBB1886_260
; %bb.259:
	v_add_co_u32_e32 v13, vcc, v3, v0
	v_lshlrev_b32_e32 v15, 2, v0
	v_addc_co_u32_e32 v14, vcc, 0, v11, vcc
	ds_read_b32 v15, v15
	v_lshlrev_b64 v[13:14], 2, v[13:14]
	v_mov_b32_e32 v16, s47
	v_sub_co_u32_e32 v13, vcc, s46, v13
	v_subb_co_u32_e32 v14, vcc, v16, v14, vcc
	s_waitcnt lgkmcnt(0)
	global_store_dword v[13:14], v15, off offset:-4
.LBB1886_260:
	s_andn2_saveexec_b64 s[4:5], s[4:5]
	s_cbranch_execz .LBB1886_262
; %bb.261:
	v_lshlrev_b32_e32 v13, 2, v0
	ds_read_b32 v14, v13
	v_readfirstlane_b32 s6, v7
	v_readfirstlane_b32 s7, v8
	s_waitcnt lgkmcnt(0)
	s_nop 3
	global_store_dword v13, v14, s[6:7]
.LBB1886_262:
	s_or_b64 exec, exec, s[4:5]
.LBB1886_263:
	s_andn2_saveexec_b64 s[2:3], s[2:3]
	s_cbranch_execz .LBB1886_265
; %bb.264:
	v_lshlrev_b32_e32 v13, 2, v0
	ds_read_b32 v14, v13
	v_readfirstlane_b32 s2, v9
	v_readfirstlane_b32 s3, v10
	s_waitcnt lgkmcnt(0)
	s_nop 3
	global_store_dword v13, v14, s[2:3]
.LBB1886_265:
	s_or_b64 exec, exec, s[0:1]
	v_or_b32_e32 v13, 0x100, v0
	v_cmp_gt_u32_e32 vcc, s18, v13
	s_and_saveexec_b64 s[0:1], vcc
	s_cbranch_execz .LBB1886_274
; %bb.266:
	v_cmp_ge_u32_e32 vcc, v13, v1
	s_and_saveexec_b64 s[2:3], vcc
	s_xor_b64 s[2:3], exec, s[2:3]
	s_cbranch_execz .LBB1886_272
; %bb.267:
	v_cmp_ge_u32_e32 vcc, v13, v12
	s_and_saveexec_b64 s[4:5], vcc
	s_xor_b64 s[4:5], exec, s[4:5]
	s_cbranch_execz .LBB1886_269
; %bb.268:
	v_lshlrev_b32_e32 v13, 2, v0
	ds_read_b32 v15, v13 offset:1024
	v_add_co_u32_e32 v13, vcc, v3, v0
	v_addc_co_u32_e32 v14, vcc, 0, v11, vcc
	v_lshlrev_b64 v[13:14], 2, v[13:14]
	v_mov_b32_e32 v16, s47
	v_sub_co_u32_e32 v13, vcc, s46, v13
	v_subb_co_u32_e32 v14, vcc, v16, v14, vcc
	s_waitcnt lgkmcnt(0)
	global_store_dword v[13:14], v15, off offset:-1028
.LBB1886_269:
	s_andn2_saveexec_b64 s[4:5], s[4:5]
	s_cbranch_execz .LBB1886_271
; %bb.270:
	v_lshlrev_b32_e32 v13, 2, v0
	ds_read_b32 v14, v13 offset:1024
	v_readfirstlane_b32 s6, v7
	v_readfirstlane_b32 s7, v8
	s_waitcnt lgkmcnt(0)
	s_nop 3
	global_store_dword v13, v14, s[6:7] offset:1024
.LBB1886_271:
	s_or_b64 exec, exec, s[4:5]
.LBB1886_272:
	s_andn2_saveexec_b64 s[2:3], s[2:3]
	s_cbranch_execz .LBB1886_274
; %bb.273:
	v_lshlrev_b32_e32 v13, 2, v0
	ds_read_b32 v14, v13 offset:1024
	v_readfirstlane_b32 s2, v9
	v_readfirstlane_b32 s3, v10
	s_waitcnt lgkmcnt(0)
	s_nop 3
	global_store_dword v13, v14, s[2:3] offset:1024
.LBB1886_274:
	s_or_b64 exec, exec, s[0:1]
	v_or_b32_e32 v13, 0x200, v0
	v_cmp_gt_u32_e32 vcc, s18, v13
	s_and_saveexec_b64 s[0:1], vcc
	s_cbranch_execz .LBB1886_283
; %bb.275:
	v_cmp_ge_u32_e32 vcc, v13, v1
	s_and_saveexec_b64 s[2:3], vcc
	s_xor_b64 s[2:3], exec, s[2:3]
	s_cbranch_execz .LBB1886_281
; %bb.276:
	v_cmp_ge_u32_e32 vcc, v13, v12
	s_and_saveexec_b64 s[4:5], vcc
	s_xor_b64 s[4:5], exec, s[4:5]
	s_cbranch_execz .LBB1886_278
; %bb.277:
	v_lshlrev_b32_e32 v13, 2, v0
	ds_read_b32 v15, v13 offset:2048
	v_add_co_u32_e32 v13, vcc, v3, v0
	v_addc_co_u32_e32 v14, vcc, 0, v11, vcc
	v_lshlrev_b64 v[13:14], 2, v[13:14]
	v_mov_b32_e32 v16, s47
	v_sub_co_u32_e32 v13, vcc, s46, v13
	v_subb_co_u32_e32 v14, vcc, v16, v14, vcc
	s_waitcnt lgkmcnt(0)
	global_store_dword v[13:14], v15, off offset:-2052
.LBB1886_278:
	s_andn2_saveexec_b64 s[4:5], s[4:5]
	s_cbranch_execz .LBB1886_280
; %bb.279:
	v_lshlrev_b32_e32 v13, 2, v0
	ds_read_b32 v14, v13 offset:2048
	v_readfirstlane_b32 s6, v7
	v_readfirstlane_b32 s7, v8
	s_waitcnt lgkmcnt(0)
	s_nop 3
	global_store_dword v13, v14, s[6:7] offset:2048
.LBB1886_280:
	s_or_b64 exec, exec, s[4:5]
.LBB1886_281:
	s_andn2_saveexec_b64 s[2:3], s[2:3]
	s_cbranch_execz .LBB1886_283
; %bb.282:
	v_lshlrev_b32_e32 v13, 2, v0
	ds_read_b32 v14, v13 offset:2048
	v_readfirstlane_b32 s2, v9
	v_readfirstlane_b32 s3, v10
	s_waitcnt lgkmcnt(0)
	s_nop 3
	global_store_dword v13, v14, s[2:3] offset:2048
.LBB1886_283:
	;; [unrolled: 51-line block ×3, first 2 shown]
	s_or_b64 exec, exec, s[0:1]
	v_or_b32_e32 v13, 0x400, v0
	v_cmp_gt_u32_e32 vcc, s18, v13
	s_and_saveexec_b64 s[0:1], vcc
	s_cbranch_execz .LBB1886_301
; %bb.293:
	v_cmp_ge_u32_e32 vcc, v13, v1
	s_and_saveexec_b64 s[2:3], vcc
	s_xor_b64 s[2:3], exec, s[2:3]
	s_cbranch_execz .LBB1886_299
; %bb.294:
	v_cmp_ge_u32_e32 vcc, v13, v12
	s_and_saveexec_b64 s[4:5], vcc
	s_xor_b64 s[4:5], exec, s[4:5]
	s_cbranch_execz .LBB1886_296
; %bb.295:
	v_lshlrev_b32_e32 v13, 2, v0
	ds_read_b32 v15, v13 offset:4096
	v_add_co_u32_e32 v13, vcc, v3, v0
	v_addc_co_u32_e32 v14, vcc, 0, v11, vcc
	v_lshlrev_b64 v[13:14], 2, v[13:14]
	v_mov_b32_e32 v16, s47
	v_sub_co_u32_e32 v13, vcc, s46, v13
	v_subb_co_u32_e32 v14, vcc, v16, v14, vcc
	v_add_co_u32_e32 v13, vcc, 0xfffff000, v13
	v_addc_co_u32_e32 v14, vcc, -1, v14, vcc
	s_waitcnt lgkmcnt(0)
	global_store_dword v[13:14], v15, off offset:-4
                                        ; implicit-def: $vgpr13
.LBB1886_296:
	s_andn2_saveexec_b64 s[4:5], s[4:5]
	s_cbranch_execz .LBB1886_298
; %bb.297:
	v_lshlrev_b32_e32 v14, 2, v0
	ds_read_b32 v14, v14 offset:4096
	v_lshlrev_b32_e32 v13, 2, v13
	v_readfirstlane_b32 s6, v7
	v_readfirstlane_b32 s7, v8
	s_waitcnt lgkmcnt(0)
	s_nop 3
	global_store_dword v13, v14, s[6:7]
.LBB1886_298:
	s_or_b64 exec, exec, s[4:5]
                                        ; implicit-def: $vgpr13
.LBB1886_299:
	s_andn2_saveexec_b64 s[2:3], s[2:3]
	s_cbranch_execz .LBB1886_301
; %bb.300:
	v_lshlrev_b32_e32 v14, 2, v0
	ds_read_b32 v14, v14 offset:4096
	v_lshlrev_b32_e32 v13, 2, v13
	v_readfirstlane_b32 s2, v9
	v_readfirstlane_b32 s3, v10
	s_waitcnt lgkmcnt(0)
	s_nop 3
	global_store_dword v13, v14, s[2:3]
.LBB1886_301:
	s_or_b64 exec, exec, s[0:1]
	v_or_b32_e32 v13, 0x500, v0
	v_cmp_gt_u32_e32 vcc, s18, v13
	s_and_saveexec_b64 s[0:1], vcc
	s_cbranch_execz .LBB1886_310
; %bb.302:
	v_cmp_ge_u32_e32 vcc, v13, v1
	s_and_saveexec_b64 s[2:3], vcc
	s_xor_b64 s[2:3], exec, s[2:3]
	s_cbranch_execz .LBB1886_308
; %bb.303:
	v_cmp_ge_u32_e32 vcc, v13, v12
	s_and_saveexec_b64 s[4:5], vcc
	s_xor_b64 s[4:5], exec, s[4:5]
	s_cbranch_execz .LBB1886_305
; %bb.304:
	v_add_co_u32_e32 v13, vcc, v3, v13
	v_lshlrev_b32_e32 v15, 2, v0
	v_addc_co_u32_e32 v14, vcc, 0, v11, vcc
	ds_read_b32 v15, v15 offset:5120
	v_lshlrev_b64 v[13:14], 2, v[13:14]
	v_mov_b32_e32 v16, s47
	v_sub_co_u32_e32 v13, vcc, s46, v13
	v_subb_co_u32_e32 v14, vcc, v16, v14, vcc
	s_waitcnt lgkmcnt(0)
	global_store_dword v[13:14], v15, off offset:-4
                                        ; implicit-def: $vgpr13
.LBB1886_305:
	s_andn2_saveexec_b64 s[4:5], s[4:5]
	s_cbranch_execz .LBB1886_307
; %bb.306:
	v_lshlrev_b32_e32 v14, 2, v0
	ds_read_b32 v14, v14 offset:5120
	v_lshlrev_b32_e32 v13, 2, v13
	v_readfirstlane_b32 s6, v7
	v_readfirstlane_b32 s7, v8
	s_waitcnt lgkmcnt(0)
	s_nop 3
	global_store_dword v13, v14, s[6:7]
.LBB1886_307:
	s_or_b64 exec, exec, s[4:5]
                                        ; implicit-def: $vgpr13
.LBB1886_308:
	s_andn2_saveexec_b64 s[2:3], s[2:3]
	s_cbranch_execz .LBB1886_310
; %bb.309:
	v_lshlrev_b32_e32 v14, 2, v0
	ds_read_b32 v14, v14 offset:5120
	v_lshlrev_b32_e32 v13, 2, v13
	v_readfirstlane_b32 s2, v9
	v_readfirstlane_b32 s3, v10
	s_waitcnt lgkmcnt(0)
	s_nop 3
	global_store_dword v13, v14, s[2:3]
.LBB1886_310:
	s_or_b64 exec, exec, s[0:1]
	v_or_b32_e32 v13, 0x600, v0
	v_cmp_gt_u32_e32 vcc, s18, v13
	s_and_saveexec_b64 s[0:1], vcc
	s_cbranch_execz .LBB1886_319
; %bb.311:
	v_cmp_ge_u32_e32 vcc, v13, v1
	s_and_saveexec_b64 s[2:3], vcc
	s_xor_b64 s[2:3], exec, s[2:3]
	s_cbranch_execz .LBB1886_317
; %bb.312:
	v_cmp_ge_u32_e32 vcc, v13, v12
	s_and_saveexec_b64 s[4:5], vcc
	s_xor_b64 s[4:5], exec, s[4:5]
	s_cbranch_execz .LBB1886_314
; %bb.313:
	v_add_co_u32_e32 v13, vcc, v3, v13
	v_lshlrev_b32_e32 v15, 2, v0
	v_addc_co_u32_e32 v14, vcc, 0, v11, vcc
	ds_read_b32 v15, v15 offset:6144
	v_lshlrev_b64 v[13:14], 2, v[13:14]
	v_mov_b32_e32 v16, s47
	v_sub_co_u32_e32 v13, vcc, s46, v13
	v_subb_co_u32_e32 v14, vcc, v16, v14, vcc
	s_waitcnt lgkmcnt(0)
	global_store_dword v[13:14], v15, off offset:-4
                                        ; implicit-def: $vgpr13
.LBB1886_314:
	s_andn2_saveexec_b64 s[4:5], s[4:5]
	s_cbranch_execz .LBB1886_316
; %bb.315:
	v_lshlrev_b32_e32 v14, 2, v0
	ds_read_b32 v14, v14 offset:6144
	v_lshlrev_b32_e32 v13, 2, v13
	v_readfirstlane_b32 s6, v7
	v_readfirstlane_b32 s7, v8
	s_waitcnt lgkmcnt(0)
	s_nop 3
	global_store_dword v13, v14, s[6:7]
.LBB1886_316:
	s_or_b64 exec, exec, s[4:5]
                                        ; implicit-def: $vgpr13
.LBB1886_317:
	s_andn2_saveexec_b64 s[2:3], s[2:3]
	s_cbranch_execz .LBB1886_319
; %bb.318:
	v_lshlrev_b32_e32 v14, 2, v0
	ds_read_b32 v14, v14 offset:6144
	v_lshlrev_b32_e32 v13, 2, v13
	v_readfirstlane_b32 s2, v9
	v_readfirstlane_b32 s3, v10
	s_waitcnt lgkmcnt(0)
	s_nop 3
	global_store_dword v13, v14, s[2:3]
.LBB1886_319:
	;; [unrolled: 55-line block ×7, first 2 shown]
	s_or_b64 exec, exec, s[0:1]
	v_or_b32_e32 v13, 0xc00, v0
	v_cmp_gt_u32_e32 vcc, s18, v13
	s_and_saveexec_b64 s[0:1], vcc
	s_cbranch_execz .LBB1886_373
; %bb.365:
	v_cmp_ge_u32_e32 vcc, v13, v1
	s_and_saveexec_b64 s[2:3], vcc
	s_xor_b64 s[2:3], exec, s[2:3]
	s_cbranch_execz .LBB1886_371
; %bb.366:
	v_cmp_ge_u32_e32 vcc, v13, v12
	s_and_saveexec_b64 s[4:5], vcc
	s_xor_b64 s[4:5], exec, s[4:5]
	s_cbranch_execz .LBB1886_368
; %bb.367:
	v_add_co_u32_e32 v7, vcc, v3, v13
	v_lshlrev_b32_e32 v3, 2, v0
	v_addc_co_u32_e32 v8, vcc, 0, v11, vcc
	ds_read_b32 v3, v3 offset:12288
	v_lshlrev_b64 v[7:8], 2, v[7:8]
	v_mov_b32_e32 v9, s47
	v_sub_co_u32_e32 v7, vcc, s46, v7
	v_subb_co_u32_e32 v8, vcc, v9, v8, vcc
	s_waitcnt lgkmcnt(0)
	global_store_dword v[7:8], v3, off offset:-4
                                        ; implicit-def: $vgpr13
                                        ; implicit-def: $vgpr7_vgpr8
.LBB1886_368:
	s_andn2_saveexec_b64 s[4:5], s[4:5]
	s_cbranch_execz .LBB1886_370
; %bb.369:
	v_lshlrev_b32_e32 v3, 2, v0
	ds_read_b32 v3, v3 offset:12288
	v_lshlrev_b32_e32 v9, 2, v13
	v_readfirstlane_b32 s6, v7
	v_readfirstlane_b32 s7, v8
	s_waitcnt lgkmcnt(0)
	s_nop 3
	global_store_dword v9, v3, s[6:7]
.LBB1886_370:
	s_or_b64 exec, exec, s[4:5]
                                        ; implicit-def: $vgpr13
                                        ; implicit-def: $vgpr9_vgpr10
.LBB1886_371:
	s_andn2_saveexec_b64 s[2:3], s[2:3]
	s_cbranch_execz .LBB1886_373
; %bb.372:
	v_lshlrev_b32_e32 v3, 2, v0
	ds_read_b32 v3, v3 offset:12288
	v_lshlrev_b32_e32 v7, 2, v13
	v_readfirstlane_b32 s2, v9
	v_readfirstlane_b32 s3, v10
	s_waitcnt lgkmcnt(0)
	s_nop 3
	global_store_dword v7, v3, s[2:3]
.LBB1886_373:
	s_or_b64 exec, exec, s[0:1]
	v_cmp_eq_u32_e32 vcc, 0, v0
	s_and_b64 s[0:1], vcc, s[34:35]
	s_and_saveexec_b64 s[2:3], s[0:1]
	s_cbranch_execz .LBB1886_150
.LBB1886_374:
	v_mov_b32_e32 v0, s51
	v_add_co_u32_e32 v2, vcc, s50, v2
	v_addc_co_u32_e32 v0, vcc, 0, v0, vcc
	v_add_co_u32_e32 v2, vcc, v2, v4
	v_addc_co_u32_e32 v3, vcc, 0, v0, vcc
	v_add_co_u32_e32 v0, vcc, v5, v1
	v_mov_b32_e32 v7, 0
	v_addc_co_u32_e32 v1, vcc, 0, v6, vcc
	global_store_dwordx4 v7, v[0:3], s[44:45]
	s_endpgm
.LBB1886_375:
	s_add_i32 s6, s6, 64
	s_mov_b32 s7, 0
	s_lshl_b64 s[6:7], s[6:7], 4
	s_add_u32 s6, s12, s6
	s_addc_u32 s7, s13, s7
	v_mov_b32_e32 v24, s7
	v_add_u32_e32 v6, v4, v2
	v_add_u32_e32 v5, v3, v1
	v_mov_b32_e32 v7, 2
	v_mov_b32_e32 v8, 0
	;; [unrolled: 1-line block ×3, first 2 shown]
	;;#ASMSTART
	global_store_dwordx4 v[23:24], v[5:8] off	
s_waitcnt vmcnt(0)
	;;#ASMEND
	s_or_b64 exec, exec, s[14:15]
	s_and_saveexec_b64 s[6:7], s[8:9]
	s_cbranch_execz .LBB1886_135
.LBB1886_376:
	v_mov_b32_e32 v5, 0
	ds_write_b128 v5, v[1:4] offset:13312
	s_or_b64 exec, exec, s[6:7]
	v_cmp_eq_u32_e32 vcc, 0, v0
	s_and_b64 exec, exec, vcc
	s_cbranch_execnz .LBB1886_136
	s_branch .LBB1886_137
	.section	.rodata,"a",@progbits
	.p2align	6, 0x0
	.amdhsa_kernel _ZN7rocprim17ROCPRIM_400000_NS6detail17trampoline_kernelINS0_13select_configILj256ELj13ELNS0_17block_load_methodE3ELS4_3ELS4_3ELNS0_20block_scan_algorithmE0ELj4294967295EEENS1_25partition_config_selectorILNS1_17partition_subalgoE4EjNS0_10empty_typeEbEEZZNS1_14partition_implILS8_4ELb0ES6_15HIP_vector_typeIjLj2EENS0_17counting_iteratorIjlEEPS9_SG_NS0_5tupleIJPjSI_NS0_16reverse_iteratorISI_EEEEENSH_IJSG_SG_SG_EEES9_SI_JZNS1_25segmented_radix_sort_implINS0_14default_configELb1EPK12hip_bfloat16PSP_PKlPlN2at6native12_GLOBAL__N_18offset_tEEE10hipError_tPvRmT1_PNSt15iterator_traitsIS13_E10value_typeET2_T3_PNS14_IS19_E10value_typeET4_jRbjT5_S1F_jjP12ihipStream_tbEUljE_ZNSN_ISO_Lb1ESR_SS_SU_SV_SZ_EES10_S11_S12_S13_S17_S18_S19_S1C_S1D_jS1E_jS1F_S1F_jjS1H_bEUljE0_EEES10_S11_S12_S19_S1D_S1F_T6_T7_T9_mT8_S1H_bDpT10_ENKUlT_T0_E_clISt17integral_constantIbLb0EES1V_EEDaS1Q_S1R_EUlS1Q_E_NS1_11comp_targetILNS1_3genE2ELNS1_11target_archE906ELNS1_3gpuE6ELNS1_3repE0EEENS1_30default_config_static_selectorELNS0_4arch9wavefront6targetE1EEEvS13_
		.amdhsa_group_segment_fixed_size 13328
		.amdhsa_private_segment_fixed_size 0
		.amdhsa_kernarg_size 176
		.amdhsa_user_sgpr_count 6
		.amdhsa_user_sgpr_private_segment_buffer 1
		.amdhsa_user_sgpr_dispatch_ptr 0
		.amdhsa_user_sgpr_queue_ptr 0
		.amdhsa_user_sgpr_kernarg_segment_ptr 1
		.amdhsa_user_sgpr_dispatch_id 0
		.amdhsa_user_sgpr_flat_scratch_init 0
		.amdhsa_user_sgpr_private_segment_size 0
		.amdhsa_uses_dynamic_stack 0
		.amdhsa_system_sgpr_private_segment_wavefront_offset 0
		.amdhsa_system_sgpr_workgroup_id_x 1
		.amdhsa_system_sgpr_workgroup_id_y 0
		.amdhsa_system_sgpr_workgroup_id_z 0
		.amdhsa_system_sgpr_workgroup_info 0
		.amdhsa_system_vgpr_workitem_id 0
		.amdhsa_next_free_vgpr 86
		.amdhsa_next_free_sgpr 98
		.amdhsa_reserve_vcc 1
		.amdhsa_reserve_flat_scratch 0
		.amdhsa_float_round_mode_32 0
		.amdhsa_float_round_mode_16_64 0
		.amdhsa_float_denorm_mode_32 3
		.amdhsa_float_denorm_mode_16_64 3
		.amdhsa_dx10_clamp 1
		.amdhsa_ieee_mode 1
		.amdhsa_fp16_overflow 0
		.amdhsa_exception_fp_ieee_invalid_op 0
		.amdhsa_exception_fp_denorm_src 0
		.amdhsa_exception_fp_ieee_div_zero 0
		.amdhsa_exception_fp_ieee_overflow 0
		.amdhsa_exception_fp_ieee_underflow 0
		.amdhsa_exception_fp_ieee_inexact 0
		.amdhsa_exception_int_div_zero 0
	.end_amdhsa_kernel
	.section	.text._ZN7rocprim17ROCPRIM_400000_NS6detail17trampoline_kernelINS0_13select_configILj256ELj13ELNS0_17block_load_methodE3ELS4_3ELS4_3ELNS0_20block_scan_algorithmE0ELj4294967295EEENS1_25partition_config_selectorILNS1_17partition_subalgoE4EjNS0_10empty_typeEbEEZZNS1_14partition_implILS8_4ELb0ES6_15HIP_vector_typeIjLj2EENS0_17counting_iteratorIjlEEPS9_SG_NS0_5tupleIJPjSI_NS0_16reverse_iteratorISI_EEEEENSH_IJSG_SG_SG_EEES9_SI_JZNS1_25segmented_radix_sort_implINS0_14default_configELb1EPK12hip_bfloat16PSP_PKlPlN2at6native12_GLOBAL__N_18offset_tEEE10hipError_tPvRmT1_PNSt15iterator_traitsIS13_E10value_typeET2_T3_PNS14_IS19_E10value_typeET4_jRbjT5_S1F_jjP12ihipStream_tbEUljE_ZNSN_ISO_Lb1ESR_SS_SU_SV_SZ_EES10_S11_S12_S13_S17_S18_S19_S1C_S1D_jS1E_jS1F_S1F_jjS1H_bEUljE0_EEES10_S11_S12_S19_S1D_S1F_T6_T7_T9_mT8_S1H_bDpT10_ENKUlT_T0_E_clISt17integral_constantIbLb0EES1V_EEDaS1Q_S1R_EUlS1Q_E_NS1_11comp_targetILNS1_3genE2ELNS1_11target_archE906ELNS1_3gpuE6ELNS1_3repE0EEENS1_30default_config_static_selectorELNS0_4arch9wavefront6targetE1EEEvS13_,"axG",@progbits,_ZN7rocprim17ROCPRIM_400000_NS6detail17trampoline_kernelINS0_13select_configILj256ELj13ELNS0_17block_load_methodE3ELS4_3ELS4_3ELNS0_20block_scan_algorithmE0ELj4294967295EEENS1_25partition_config_selectorILNS1_17partition_subalgoE4EjNS0_10empty_typeEbEEZZNS1_14partition_implILS8_4ELb0ES6_15HIP_vector_typeIjLj2EENS0_17counting_iteratorIjlEEPS9_SG_NS0_5tupleIJPjSI_NS0_16reverse_iteratorISI_EEEEENSH_IJSG_SG_SG_EEES9_SI_JZNS1_25segmented_radix_sort_implINS0_14default_configELb1EPK12hip_bfloat16PSP_PKlPlN2at6native12_GLOBAL__N_18offset_tEEE10hipError_tPvRmT1_PNSt15iterator_traitsIS13_E10value_typeET2_T3_PNS14_IS19_E10value_typeET4_jRbjT5_S1F_jjP12ihipStream_tbEUljE_ZNSN_ISO_Lb1ESR_SS_SU_SV_SZ_EES10_S11_S12_S13_S17_S18_S19_S1C_S1D_jS1E_jS1F_S1F_jjS1H_bEUljE0_EEES10_S11_S12_S19_S1D_S1F_T6_T7_T9_mT8_S1H_bDpT10_ENKUlT_T0_E_clISt17integral_constantIbLb0EES1V_EEDaS1Q_S1R_EUlS1Q_E_NS1_11comp_targetILNS1_3genE2ELNS1_11target_archE906ELNS1_3gpuE6ELNS1_3repE0EEENS1_30default_config_static_selectorELNS0_4arch9wavefront6targetE1EEEvS13_,comdat
.Lfunc_end1886:
	.size	_ZN7rocprim17ROCPRIM_400000_NS6detail17trampoline_kernelINS0_13select_configILj256ELj13ELNS0_17block_load_methodE3ELS4_3ELS4_3ELNS0_20block_scan_algorithmE0ELj4294967295EEENS1_25partition_config_selectorILNS1_17partition_subalgoE4EjNS0_10empty_typeEbEEZZNS1_14partition_implILS8_4ELb0ES6_15HIP_vector_typeIjLj2EENS0_17counting_iteratorIjlEEPS9_SG_NS0_5tupleIJPjSI_NS0_16reverse_iteratorISI_EEEEENSH_IJSG_SG_SG_EEES9_SI_JZNS1_25segmented_radix_sort_implINS0_14default_configELb1EPK12hip_bfloat16PSP_PKlPlN2at6native12_GLOBAL__N_18offset_tEEE10hipError_tPvRmT1_PNSt15iterator_traitsIS13_E10value_typeET2_T3_PNS14_IS19_E10value_typeET4_jRbjT5_S1F_jjP12ihipStream_tbEUljE_ZNSN_ISO_Lb1ESR_SS_SU_SV_SZ_EES10_S11_S12_S13_S17_S18_S19_S1C_S1D_jS1E_jS1F_S1F_jjS1H_bEUljE0_EEES10_S11_S12_S19_S1D_S1F_T6_T7_T9_mT8_S1H_bDpT10_ENKUlT_T0_E_clISt17integral_constantIbLb0EES1V_EEDaS1Q_S1R_EUlS1Q_E_NS1_11comp_targetILNS1_3genE2ELNS1_11target_archE906ELNS1_3gpuE6ELNS1_3repE0EEENS1_30default_config_static_selectorELNS0_4arch9wavefront6targetE1EEEvS13_, .Lfunc_end1886-_ZN7rocprim17ROCPRIM_400000_NS6detail17trampoline_kernelINS0_13select_configILj256ELj13ELNS0_17block_load_methodE3ELS4_3ELS4_3ELNS0_20block_scan_algorithmE0ELj4294967295EEENS1_25partition_config_selectorILNS1_17partition_subalgoE4EjNS0_10empty_typeEbEEZZNS1_14partition_implILS8_4ELb0ES6_15HIP_vector_typeIjLj2EENS0_17counting_iteratorIjlEEPS9_SG_NS0_5tupleIJPjSI_NS0_16reverse_iteratorISI_EEEEENSH_IJSG_SG_SG_EEES9_SI_JZNS1_25segmented_radix_sort_implINS0_14default_configELb1EPK12hip_bfloat16PSP_PKlPlN2at6native12_GLOBAL__N_18offset_tEEE10hipError_tPvRmT1_PNSt15iterator_traitsIS13_E10value_typeET2_T3_PNS14_IS19_E10value_typeET4_jRbjT5_S1F_jjP12ihipStream_tbEUljE_ZNSN_ISO_Lb1ESR_SS_SU_SV_SZ_EES10_S11_S12_S13_S17_S18_S19_S1C_S1D_jS1E_jS1F_S1F_jjS1H_bEUljE0_EEES10_S11_S12_S19_S1D_S1F_T6_T7_T9_mT8_S1H_bDpT10_ENKUlT_T0_E_clISt17integral_constantIbLb0EES1V_EEDaS1Q_S1R_EUlS1Q_E_NS1_11comp_targetILNS1_3genE2ELNS1_11target_archE906ELNS1_3gpuE6ELNS1_3repE0EEENS1_30default_config_static_selectorELNS0_4arch9wavefront6targetE1EEEvS13_
                                        ; -- End function
	.set _ZN7rocprim17ROCPRIM_400000_NS6detail17trampoline_kernelINS0_13select_configILj256ELj13ELNS0_17block_load_methodE3ELS4_3ELS4_3ELNS0_20block_scan_algorithmE0ELj4294967295EEENS1_25partition_config_selectorILNS1_17partition_subalgoE4EjNS0_10empty_typeEbEEZZNS1_14partition_implILS8_4ELb0ES6_15HIP_vector_typeIjLj2EENS0_17counting_iteratorIjlEEPS9_SG_NS0_5tupleIJPjSI_NS0_16reverse_iteratorISI_EEEEENSH_IJSG_SG_SG_EEES9_SI_JZNS1_25segmented_radix_sort_implINS0_14default_configELb1EPK12hip_bfloat16PSP_PKlPlN2at6native12_GLOBAL__N_18offset_tEEE10hipError_tPvRmT1_PNSt15iterator_traitsIS13_E10value_typeET2_T3_PNS14_IS19_E10value_typeET4_jRbjT5_S1F_jjP12ihipStream_tbEUljE_ZNSN_ISO_Lb1ESR_SS_SU_SV_SZ_EES10_S11_S12_S13_S17_S18_S19_S1C_S1D_jS1E_jS1F_S1F_jjS1H_bEUljE0_EEES10_S11_S12_S19_S1D_S1F_T6_T7_T9_mT8_S1H_bDpT10_ENKUlT_T0_E_clISt17integral_constantIbLb0EES1V_EEDaS1Q_S1R_EUlS1Q_E_NS1_11comp_targetILNS1_3genE2ELNS1_11target_archE906ELNS1_3gpuE6ELNS1_3repE0EEENS1_30default_config_static_selectorELNS0_4arch9wavefront6targetE1EEEvS13_.num_vgpr, 86
	.set _ZN7rocprim17ROCPRIM_400000_NS6detail17trampoline_kernelINS0_13select_configILj256ELj13ELNS0_17block_load_methodE3ELS4_3ELS4_3ELNS0_20block_scan_algorithmE0ELj4294967295EEENS1_25partition_config_selectorILNS1_17partition_subalgoE4EjNS0_10empty_typeEbEEZZNS1_14partition_implILS8_4ELb0ES6_15HIP_vector_typeIjLj2EENS0_17counting_iteratorIjlEEPS9_SG_NS0_5tupleIJPjSI_NS0_16reverse_iteratorISI_EEEEENSH_IJSG_SG_SG_EEES9_SI_JZNS1_25segmented_radix_sort_implINS0_14default_configELb1EPK12hip_bfloat16PSP_PKlPlN2at6native12_GLOBAL__N_18offset_tEEE10hipError_tPvRmT1_PNSt15iterator_traitsIS13_E10value_typeET2_T3_PNS14_IS19_E10value_typeET4_jRbjT5_S1F_jjP12ihipStream_tbEUljE_ZNSN_ISO_Lb1ESR_SS_SU_SV_SZ_EES10_S11_S12_S13_S17_S18_S19_S1C_S1D_jS1E_jS1F_S1F_jjS1H_bEUljE0_EEES10_S11_S12_S19_S1D_S1F_T6_T7_T9_mT8_S1H_bDpT10_ENKUlT_T0_E_clISt17integral_constantIbLb0EES1V_EEDaS1Q_S1R_EUlS1Q_E_NS1_11comp_targetILNS1_3genE2ELNS1_11target_archE906ELNS1_3gpuE6ELNS1_3repE0EEENS1_30default_config_static_selectorELNS0_4arch9wavefront6targetE1EEEvS13_.num_agpr, 0
	.set _ZN7rocprim17ROCPRIM_400000_NS6detail17trampoline_kernelINS0_13select_configILj256ELj13ELNS0_17block_load_methodE3ELS4_3ELS4_3ELNS0_20block_scan_algorithmE0ELj4294967295EEENS1_25partition_config_selectorILNS1_17partition_subalgoE4EjNS0_10empty_typeEbEEZZNS1_14partition_implILS8_4ELb0ES6_15HIP_vector_typeIjLj2EENS0_17counting_iteratorIjlEEPS9_SG_NS0_5tupleIJPjSI_NS0_16reverse_iteratorISI_EEEEENSH_IJSG_SG_SG_EEES9_SI_JZNS1_25segmented_radix_sort_implINS0_14default_configELb1EPK12hip_bfloat16PSP_PKlPlN2at6native12_GLOBAL__N_18offset_tEEE10hipError_tPvRmT1_PNSt15iterator_traitsIS13_E10value_typeET2_T3_PNS14_IS19_E10value_typeET4_jRbjT5_S1F_jjP12ihipStream_tbEUljE_ZNSN_ISO_Lb1ESR_SS_SU_SV_SZ_EES10_S11_S12_S13_S17_S18_S19_S1C_S1D_jS1E_jS1F_S1F_jjS1H_bEUljE0_EEES10_S11_S12_S19_S1D_S1F_T6_T7_T9_mT8_S1H_bDpT10_ENKUlT_T0_E_clISt17integral_constantIbLb0EES1V_EEDaS1Q_S1R_EUlS1Q_E_NS1_11comp_targetILNS1_3genE2ELNS1_11target_archE906ELNS1_3gpuE6ELNS1_3repE0EEENS1_30default_config_static_selectorELNS0_4arch9wavefront6targetE1EEEvS13_.numbered_sgpr, 90
	.set _ZN7rocprim17ROCPRIM_400000_NS6detail17trampoline_kernelINS0_13select_configILj256ELj13ELNS0_17block_load_methodE3ELS4_3ELS4_3ELNS0_20block_scan_algorithmE0ELj4294967295EEENS1_25partition_config_selectorILNS1_17partition_subalgoE4EjNS0_10empty_typeEbEEZZNS1_14partition_implILS8_4ELb0ES6_15HIP_vector_typeIjLj2EENS0_17counting_iteratorIjlEEPS9_SG_NS0_5tupleIJPjSI_NS0_16reverse_iteratorISI_EEEEENSH_IJSG_SG_SG_EEES9_SI_JZNS1_25segmented_radix_sort_implINS0_14default_configELb1EPK12hip_bfloat16PSP_PKlPlN2at6native12_GLOBAL__N_18offset_tEEE10hipError_tPvRmT1_PNSt15iterator_traitsIS13_E10value_typeET2_T3_PNS14_IS19_E10value_typeET4_jRbjT5_S1F_jjP12ihipStream_tbEUljE_ZNSN_ISO_Lb1ESR_SS_SU_SV_SZ_EES10_S11_S12_S13_S17_S18_S19_S1C_S1D_jS1E_jS1F_S1F_jjS1H_bEUljE0_EEES10_S11_S12_S19_S1D_S1F_T6_T7_T9_mT8_S1H_bDpT10_ENKUlT_T0_E_clISt17integral_constantIbLb0EES1V_EEDaS1Q_S1R_EUlS1Q_E_NS1_11comp_targetILNS1_3genE2ELNS1_11target_archE906ELNS1_3gpuE6ELNS1_3repE0EEENS1_30default_config_static_selectorELNS0_4arch9wavefront6targetE1EEEvS13_.num_named_barrier, 0
	.set _ZN7rocprim17ROCPRIM_400000_NS6detail17trampoline_kernelINS0_13select_configILj256ELj13ELNS0_17block_load_methodE3ELS4_3ELS4_3ELNS0_20block_scan_algorithmE0ELj4294967295EEENS1_25partition_config_selectorILNS1_17partition_subalgoE4EjNS0_10empty_typeEbEEZZNS1_14partition_implILS8_4ELb0ES6_15HIP_vector_typeIjLj2EENS0_17counting_iteratorIjlEEPS9_SG_NS0_5tupleIJPjSI_NS0_16reverse_iteratorISI_EEEEENSH_IJSG_SG_SG_EEES9_SI_JZNS1_25segmented_radix_sort_implINS0_14default_configELb1EPK12hip_bfloat16PSP_PKlPlN2at6native12_GLOBAL__N_18offset_tEEE10hipError_tPvRmT1_PNSt15iterator_traitsIS13_E10value_typeET2_T3_PNS14_IS19_E10value_typeET4_jRbjT5_S1F_jjP12ihipStream_tbEUljE_ZNSN_ISO_Lb1ESR_SS_SU_SV_SZ_EES10_S11_S12_S13_S17_S18_S19_S1C_S1D_jS1E_jS1F_S1F_jjS1H_bEUljE0_EEES10_S11_S12_S19_S1D_S1F_T6_T7_T9_mT8_S1H_bDpT10_ENKUlT_T0_E_clISt17integral_constantIbLb0EES1V_EEDaS1Q_S1R_EUlS1Q_E_NS1_11comp_targetILNS1_3genE2ELNS1_11target_archE906ELNS1_3gpuE6ELNS1_3repE0EEENS1_30default_config_static_selectorELNS0_4arch9wavefront6targetE1EEEvS13_.private_seg_size, 0
	.set _ZN7rocprim17ROCPRIM_400000_NS6detail17trampoline_kernelINS0_13select_configILj256ELj13ELNS0_17block_load_methodE3ELS4_3ELS4_3ELNS0_20block_scan_algorithmE0ELj4294967295EEENS1_25partition_config_selectorILNS1_17partition_subalgoE4EjNS0_10empty_typeEbEEZZNS1_14partition_implILS8_4ELb0ES6_15HIP_vector_typeIjLj2EENS0_17counting_iteratorIjlEEPS9_SG_NS0_5tupleIJPjSI_NS0_16reverse_iteratorISI_EEEEENSH_IJSG_SG_SG_EEES9_SI_JZNS1_25segmented_radix_sort_implINS0_14default_configELb1EPK12hip_bfloat16PSP_PKlPlN2at6native12_GLOBAL__N_18offset_tEEE10hipError_tPvRmT1_PNSt15iterator_traitsIS13_E10value_typeET2_T3_PNS14_IS19_E10value_typeET4_jRbjT5_S1F_jjP12ihipStream_tbEUljE_ZNSN_ISO_Lb1ESR_SS_SU_SV_SZ_EES10_S11_S12_S13_S17_S18_S19_S1C_S1D_jS1E_jS1F_S1F_jjS1H_bEUljE0_EEES10_S11_S12_S19_S1D_S1F_T6_T7_T9_mT8_S1H_bDpT10_ENKUlT_T0_E_clISt17integral_constantIbLb0EES1V_EEDaS1Q_S1R_EUlS1Q_E_NS1_11comp_targetILNS1_3genE2ELNS1_11target_archE906ELNS1_3gpuE6ELNS1_3repE0EEENS1_30default_config_static_selectorELNS0_4arch9wavefront6targetE1EEEvS13_.uses_vcc, 1
	.set _ZN7rocprim17ROCPRIM_400000_NS6detail17trampoline_kernelINS0_13select_configILj256ELj13ELNS0_17block_load_methodE3ELS4_3ELS4_3ELNS0_20block_scan_algorithmE0ELj4294967295EEENS1_25partition_config_selectorILNS1_17partition_subalgoE4EjNS0_10empty_typeEbEEZZNS1_14partition_implILS8_4ELb0ES6_15HIP_vector_typeIjLj2EENS0_17counting_iteratorIjlEEPS9_SG_NS0_5tupleIJPjSI_NS0_16reverse_iteratorISI_EEEEENSH_IJSG_SG_SG_EEES9_SI_JZNS1_25segmented_radix_sort_implINS0_14default_configELb1EPK12hip_bfloat16PSP_PKlPlN2at6native12_GLOBAL__N_18offset_tEEE10hipError_tPvRmT1_PNSt15iterator_traitsIS13_E10value_typeET2_T3_PNS14_IS19_E10value_typeET4_jRbjT5_S1F_jjP12ihipStream_tbEUljE_ZNSN_ISO_Lb1ESR_SS_SU_SV_SZ_EES10_S11_S12_S13_S17_S18_S19_S1C_S1D_jS1E_jS1F_S1F_jjS1H_bEUljE0_EEES10_S11_S12_S19_S1D_S1F_T6_T7_T9_mT8_S1H_bDpT10_ENKUlT_T0_E_clISt17integral_constantIbLb0EES1V_EEDaS1Q_S1R_EUlS1Q_E_NS1_11comp_targetILNS1_3genE2ELNS1_11target_archE906ELNS1_3gpuE6ELNS1_3repE0EEENS1_30default_config_static_selectorELNS0_4arch9wavefront6targetE1EEEvS13_.uses_flat_scratch, 0
	.set _ZN7rocprim17ROCPRIM_400000_NS6detail17trampoline_kernelINS0_13select_configILj256ELj13ELNS0_17block_load_methodE3ELS4_3ELS4_3ELNS0_20block_scan_algorithmE0ELj4294967295EEENS1_25partition_config_selectorILNS1_17partition_subalgoE4EjNS0_10empty_typeEbEEZZNS1_14partition_implILS8_4ELb0ES6_15HIP_vector_typeIjLj2EENS0_17counting_iteratorIjlEEPS9_SG_NS0_5tupleIJPjSI_NS0_16reverse_iteratorISI_EEEEENSH_IJSG_SG_SG_EEES9_SI_JZNS1_25segmented_radix_sort_implINS0_14default_configELb1EPK12hip_bfloat16PSP_PKlPlN2at6native12_GLOBAL__N_18offset_tEEE10hipError_tPvRmT1_PNSt15iterator_traitsIS13_E10value_typeET2_T3_PNS14_IS19_E10value_typeET4_jRbjT5_S1F_jjP12ihipStream_tbEUljE_ZNSN_ISO_Lb1ESR_SS_SU_SV_SZ_EES10_S11_S12_S13_S17_S18_S19_S1C_S1D_jS1E_jS1F_S1F_jjS1H_bEUljE0_EEES10_S11_S12_S19_S1D_S1F_T6_T7_T9_mT8_S1H_bDpT10_ENKUlT_T0_E_clISt17integral_constantIbLb0EES1V_EEDaS1Q_S1R_EUlS1Q_E_NS1_11comp_targetILNS1_3genE2ELNS1_11target_archE906ELNS1_3gpuE6ELNS1_3repE0EEENS1_30default_config_static_selectorELNS0_4arch9wavefront6targetE1EEEvS13_.has_dyn_sized_stack, 0
	.set _ZN7rocprim17ROCPRIM_400000_NS6detail17trampoline_kernelINS0_13select_configILj256ELj13ELNS0_17block_load_methodE3ELS4_3ELS4_3ELNS0_20block_scan_algorithmE0ELj4294967295EEENS1_25partition_config_selectorILNS1_17partition_subalgoE4EjNS0_10empty_typeEbEEZZNS1_14partition_implILS8_4ELb0ES6_15HIP_vector_typeIjLj2EENS0_17counting_iteratorIjlEEPS9_SG_NS0_5tupleIJPjSI_NS0_16reverse_iteratorISI_EEEEENSH_IJSG_SG_SG_EEES9_SI_JZNS1_25segmented_radix_sort_implINS0_14default_configELb1EPK12hip_bfloat16PSP_PKlPlN2at6native12_GLOBAL__N_18offset_tEEE10hipError_tPvRmT1_PNSt15iterator_traitsIS13_E10value_typeET2_T3_PNS14_IS19_E10value_typeET4_jRbjT5_S1F_jjP12ihipStream_tbEUljE_ZNSN_ISO_Lb1ESR_SS_SU_SV_SZ_EES10_S11_S12_S13_S17_S18_S19_S1C_S1D_jS1E_jS1F_S1F_jjS1H_bEUljE0_EEES10_S11_S12_S19_S1D_S1F_T6_T7_T9_mT8_S1H_bDpT10_ENKUlT_T0_E_clISt17integral_constantIbLb0EES1V_EEDaS1Q_S1R_EUlS1Q_E_NS1_11comp_targetILNS1_3genE2ELNS1_11target_archE906ELNS1_3gpuE6ELNS1_3repE0EEENS1_30default_config_static_selectorELNS0_4arch9wavefront6targetE1EEEvS13_.has_recursion, 0
	.set _ZN7rocprim17ROCPRIM_400000_NS6detail17trampoline_kernelINS0_13select_configILj256ELj13ELNS0_17block_load_methodE3ELS4_3ELS4_3ELNS0_20block_scan_algorithmE0ELj4294967295EEENS1_25partition_config_selectorILNS1_17partition_subalgoE4EjNS0_10empty_typeEbEEZZNS1_14partition_implILS8_4ELb0ES6_15HIP_vector_typeIjLj2EENS0_17counting_iteratorIjlEEPS9_SG_NS0_5tupleIJPjSI_NS0_16reverse_iteratorISI_EEEEENSH_IJSG_SG_SG_EEES9_SI_JZNS1_25segmented_radix_sort_implINS0_14default_configELb1EPK12hip_bfloat16PSP_PKlPlN2at6native12_GLOBAL__N_18offset_tEEE10hipError_tPvRmT1_PNSt15iterator_traitsIS13_E10value_typeET2_T3_PNS14_IS19_E10value_typeET4_jRbjT5_S1F_jjP12ihipStream_tbEUljE_ZNSN_ISO_Lb1ESR_SS_SU_SV_SZ_EES10_S11_S12_S13_S17_S18_S19_S1C_S1D_jS1E_jS1F_S1F_jjS1H_bEUljE0_EEES10_S11_S12_S19_S1D_S1F_T6_T7_T9_mT8_S1H_bDpT10_ENKUlT_T0_E_clISt17integral_constantIbLb0EES1V_EEDaS1Q_S1R_EUlS1Q_E_NS1_11comp_targetILNS1_3genE2ELNS1_11target_archE906ELNS1_3gpuE6ELNS1_3repE0EEENS1_30default_config_static_selectorELNS0_4arch9wavefront6targetE1EEEvS13_.has_indirect_call, 0
	.section	.AMDGPU.csdata,"",@progbits
; Kernel info:
; codeLenInByte = 15480
; TotalNumSgprs: 94
; NumVgprs: 86
; ScratchSize: 0
; MemoryBound: 0
; FloatMode: 240
; IeeeMode: 1
; LDSByteSize: 13328 bytes/workgroup (compile time only)
; SGPRBlocks: 12
; VGPRBlocks: 21
; NumSGPRsForWavesPerEU: 102
; NumVGPRsForWavesPerEU: 86
; Occupancy: 2
; WaveLimiterHint : 1
; COMPUTE_PGM_RSRC2:SCRATCH_EN: 0
; COMPUTE_PGM_RSRC2:USER_SGPR: 6
; COMPUTE_PGM_RSRC2:TRAP_HANDLER: 0
; COMPUTE_PGM_RSRC2:TGID_X_EN: 1
; COMPUTE_PGM_RSRC2:TGID_Y_EN: 0
; COMPUTE_PGM_RSRC2:TGID_Z_EN: 0
; COMPUTE_PGM_RSRC2:TIDIG_COMP_CNT: 0
	.section	.text._ZN7rocprim17ROCPRIM_400000_NS6detail17trampoline_kernelINS0_13select_configILj256ELj13ELNS0_17block_load_methodE3ELS4_3ELS4_3ELNS0_20block_scan_algorithmE0ELj4294967295EEENS1_25partition_config_selectorILNS1_17partition_subalgoE4EjNS0_10empty_typeEbEEZZNS1_14partition_implILS8_4ELb0ES6_15HIP_vector_typeIjLj2EENS0_17counting_iteratorIjlEEPS9_SG_NS0_5tupleIJPjSI_NS0_16reverse_iteratorISI_EEEEENSH_IJSG_SG_SG_EEES9_SI_JZNS1_25segmented_radix_sort_implINS0_14default_configELb1EPK12hip_bfloat16PSP_PKlPlN2at6native12_GLOBAL__N_18offset_tEEE10hipError_tPvRmT1_PNSt15iterator_traitsIS13_E10value_typeET2_T3_PNS14_IS19_E10value_typeET4_jRbjT5_S1F_jjP12ihipStream_tbEUljE_ZNSN_ISO_Lb1ESR_SS_SU_SV_SZ_EES10_S11_S12_S13_S17_S18_S19_S1C_S1D_jS1E_jS1F_S1F_jjS1H_bEUljE0_EEES10_S11_S12_S19_S1D_S1F_T6_T7_T9_mT8_S1H_bDpT10_ENKUlT_T0_E_clISt17integral_constantIbLb0EES1V_EEDaS1Q_S1R_EUlS1Q_E_NS1_11comp_targetILNS1_3genE10ELNS1_11target_archE1200ELNS1_3gpuE4ELNS1_3repE0EEENS1_30default_config_static_selectorELNS0_4arch9wavefront6targetE1EEEvS13_,"axG",@progbits,_ZN7rocprim17ROCPRIM_400000_NS6detail17trampoline_kernelINS0_13select_configILj256ELj13ELNS0_17block_load_methodE3ELS4_3ELS4_3ELNS0_20block_scan_algorithmE0ELj4294967295EEENS1_25partition_config_selectorILNS1_17partition_subalgoE4EjNS0_10empty_typeEbEEZZNS1_14partition_implILS8_4ELb0ES6_15HIP_vector_typeIjLj2EENS0_17counting_iteratorIjlEEPS9_SG_NS0_5tupleIJPjSI_NS0_16reverse_iteratorISI_EEEEENSH_IJSG_SG_SG_EEES9_SI_JZNS1_25segmented_radix_sort_implINS0_14default_configELb1EPK12hip_bfloat16PSP_PKlPlN2at6native12_GLOBAL__N_18offset_tEEE10hipError_tPvRmT1_PNSt15iterator_traitsIS13_E10value_typeET2_T3_PNS14_IS19_E10value_typeET4_jRbjT5_S1F_jjP12ihipStream_tbEUljE_ZNSN_ISO_Lb1ESR_SS_SU_SV_SZ_EES10_S11_S12_S13_S17_S18_S19_S1C_S1D_jS1E_jS1F_S1F_jjS1H_bEUljE0_EEES10_S11_S12_S19_S1D_S1F_T6_T7_T9_mT8_S1H_bDpT10_ENKUlT_T0_E_clISt17integral_constantIbLb0EES1V_EEDaS1Q_S1R_EUlS1Q_E_NS1_11comp_targetILNS1_3genE10ELNS1_11target_archE1200ELNS1_3gpuE4ELNS1_3repE0EEENS1_30default_config_static_selectorELNS0_4arch9wavefront6targetE1EEEvS13_,comdat
	.globl	_ZN7rocprim17ROCPRIM_400000_NS6detail17trampoline_kernelINS0_13select_configILj256ELj13ELNS0_17block_load_methodE3ELS4_3ELS4_3ELNS0_20block_scan_algorithmE0ELj4294967295EEENS1_25partition_config_selectorILNS1_17partition_subalgoE4EjNS0_10empty_typeEbEEZZNS1_14partition_implILS8_4ELb0ES6_15HIP_vector_typeIjLj2EENS0_17counting_iteratorIjlEEPS9_SG_NS0_5tupleIJPjSI_NS0_16reverse_iteratorISI_EEEEENSH_IJSG_SG_SG_EEES9_SI_JZNS1_25segmented_radix_sort_implINS0_14default_configELb1EPK12hip_bfloat16PSP_PKlPlN2at6native12_GLOBAL__N_18offset_tEEE10hipError_tPvRmT1_PNSt15iterator_traitsIS13_E10value_typeET2_T3_PNS14_IS19_E10value_typeET4_jRbjT5_S1F_jjP12ihipStream_tbEUljE_ZNSN_ISO_Lb1ESR_SS_SU_SV_SZ_EES10_S11_S12_S13_S17_S18_S19_S1C_S1D_jS1E_jS1F_S1F_jjS1H_bEUljE0_EEES10_S11_S12_S19_S1D_S1F_T6_T7_T9_mT8_S1H_bDpT10_ENKUlT_T0_E_clISt17integral_constantIbLb0EES1V_EEDaS1Q_S1R_EUlS1Q_E_NS1_11comp_targetILNS1_3genE10ELNS1_11target_archE1200ELNS1_3gpuE4ELNS1_3repE0EEENS1_30default_config_static_selectorELNS0_4arch9wavefront6targetE1EEEvS13_ ; -- Begin function _ZN7rocprim17ROCPRIM_400000_NS6detail17trampoline_kernelINS0_13select_configILj256ELj13ELNS0_17block_load_methodE3ELS4_3ELS4_3ELNS0_20block_scan_algorithmE0ELj4294967295EEENS1_25partition_config_selectorILNS1_17partition_subalgoE4EjNS0_10empty_typeEbEEZZNS1_14partition_implILS8_4ELb0ES6_15HIP_vector_typeIjLj2EENS0_17counting_iteratorIjlEEPS9_SG_NS0_5tupleIJPjSI_NS0_16reverse_iteratorISI_EEEEENSH_IJSG_SG_SG_EEES9_SI_JZNS1_25segmented_radix_sort_implINS0_14default_configELb1EPK12hip_bfloat16PSP_PKlPlN2at6native12_GLOBAL__N_18offset_tEEE10hipError_tPvRmT1_PNSt15iterator_traitsIS13_E10value_typeET2_T3_PNS14_IS19_E10value_typeET4_jRbjT5_S1F_jjP12ihipStream_tbEUljE_ZNSN_ISO_Lb1ESR_SS_SU_SV_SZ_EES10_S11_S12_S13_S17_S18_S19_S1C_S1D_jS1E_jS1F_S1F_jjS1H_bEUljE0_EEES10_S11_S12_S19_S1D_S1F_T6_T7_T9_mT8_S1H_bDpT10_ENKUlT_T0_E_clISt17integral_constantIbLb0EES1V_EEDaS1Q_S1R_EUlS1Q_E_NS1_11comp_targetILNS1_3genE10ELNS1_11target_archE1200ELNS1_3gpuE4ELNS1_3repE0EEENS1_30default_config_static_selectorELNS0_4arch9wavefront6targetE1EEEvS13_
	.p2align	8
	.type	_ZN7rocprim17ROCPRIM_400000_NS6detail17trampoline_kernelINS0_13select_configILj256ELj13ELNS0_17block_load_methodE3ELS4_3ELS4_3ELNS0_20block_scan_algorithmE0ELj4294967295EEENS1_25partition_config_selectorILNS1_17partition_subalgoE4EjNS0_10empty_typeEbEEZZNS1_14partition_implILS8_4ELb0ES6_15HIP_vector_typeIjLj2EENS0_17counting_iteratorIjlEEPS9_SG_NS0_5tupleIJPjSI_NS0_16reverse_iteratorISI_EEEEENSH_IJSG_SG_SG_EEES9_SI_JZNS1_25segmented_radix_sort_implINS0_14default_configELb1EPK12hip_bfloat16PSP_PKlPlN2at6native12_GLOBAL__N_18offset_tEEE10hipError_tPvRmT1_PNSt15iterator_traitsIS13_E10value_typeET2_T3_PNS14_IS19_E10value_typeET4_jRbjT5_S1F_jjP12ihipStream_tbEUljE_ZNSN_ISO_Lb1ESR_SS_SU_SV_SZ_EES10_S11_S12_S13_S17_S18_S19_S1C_S1D_jS1E_jS1F_S1F_jjS1H_bEUljE0_EEES10_S11_S12_S19_S1D_S1F_T6_T7_T9_mT8_S1H_bDpT10_ENKUlT_T0_E_clISt17integral_constantIbLb0EES1V_EEDaS1Q_S1R_EUlS1Q_E_NS1_11comp_targetILNS1_3genE10ELNS1_11target_archE1200ELNS1_3gpuE4ELNS1_3repE0EEENS1_30default_config_static_selectorELNS0_4arch9wavefront6targetE1EEEvS13_,@function
_ZN7rocprim17ROCPRIM_400000_NS6detail17trampoline_kernelINS0_13select_configILj256ELj13ELNS0_17block_load_methodE3ELS4_3ELS4_3ELNS0_20block_scan_algorithmE0ELj4294967295EEENS1_25partition_config_selectorILNS1_17partition_subalgoE4EjNS0_10empty_typeEbEEZZNS1_14partition_implILS8_4ELb0ES6_15HIP_vector_typeIjLj2EENS0_17counting_iteratorIjlEEPS9_SG_NS0_5tupleIJPjSI_NS0_16reverse_iteratorISI_EEEEENSH_IJSG_SG_SG_EEES9_SI_JZNS1_25segmented_radix_sort_implINS0_14default_configELb1EPK12hip_bfloat16PSP_PKlPlN2at6native12_GLOBAL__N_18offset_tEEE10hipError_tPvRmT1_PNSt15iterator_traitsIS13_E10value_typeET2_T3_PNS14_IS19_E10value_typeET4_jRbjT5_S1F_jjP12ihipStream_tbEUljE_ZNSN_ISO_Lb1ESR_SS_SU_SV_SZ_EES10_S11_S12_S13_S17_S18_S19_S1C_S1D_jS1E_jS1F_S1F_jjS1H_bEUljE0_EEES10_S11_S12_S19_S1D_S1F_T6_T7_T9_mT8_S1H_bDpT10_ENKUlT_T0_E_clISt17integral_constantIbLb0EES1V_EEDaS1Q_S1R_EUlS1Q_E_NS1_11comp_targetILNS1_3genE10ELNS1_11target_archE1200ELNS1_3gpuE4ELNS1_3repE0EEENS1_30default_config_static_selectorELNS0_4arch9wavefront6targetE1EEEvS13_: ; @_ZN7rocprim17ROCPRIM_400000_NS6detail17trampoline_kernelINS0_13select_configILj256ELj13ELNS0_17block_load_methodE3ELS4_3ELS4_3ELNS0_20block_scan_algorithmE0ELj4294967295EEENS1_25partition_config_selectorILNS1_17partition_subalgoE4EjNS0_10empty_typeEbEEZZNS1_14partition_implILS8_4ELb0ES6_15HIP_vector_typeIjLj2EENS0_17counting_iteratorIjlEEPS9_SG_NS0_5tupleIJPjSI_NS0_16reverse_iteratorISI_EEEEENSH_IJSG_SG_SG_EEES9_SI_JZNS1_25segmented_radix_sort_implINS0_14default_configELb1EPK12hip_bfloat16PSP_PKlPlN2at6native12_GLOBAL__N_18offset_tEEE10hipError_tPvRmT1_PNSt15iterator_traitsIS13_E10value_typeET2_T3_PNS14_IS19_E10value_typeET4_jRbjT5_S1F_jjP12ihipStream_tbEUljE_ZNSN_ISO_Lb1ESR_SS_SU_SV_SZ_EES10_S11_S12_S13_S17_S18_S19_S1C_S1D_jS1E_jS1F_S1F_jjS1H_bEUljE0_EEES10_S11_S12_S19_S1D_S1F_T6_T7_T9_mT8_S1H_bDpT10_ENKUlT_T0_E_clISt17integral_constantIbLb0EES1V_EEDaS1Q_S1R_EUlS1Q_E_NS1_11comp_targetILNS1_3genE10ELNS1_11target_archE1200ELNS1_3gpuE4ELNS1_3repE0EEENS1_30default_config_static_selectorELNS0_4arch9wavefront6targetE1EEEvS13_
; %bb.0:
	.section	.rodata,"a",@progbits
	.p2align	6, 0x0
	.amdhsa_kernel _ZN7rocprim17ROCPRIM_400000_NS6detail17trampoline_kernelINS0_13select_configILj256ELj13ELNS0_17block_load_methodE3ELS4_3ELS4_3ELNS0_20block_scan_algorithmE0ELj4294967295EEENS1_25partition_config_selectorILNS1_17partition_subalgoE4EjNS0_10empty_typeEbEEZZNS1_14partition_implILS8_4ELb0ES6_15HIP_vector_typeIjLj2EENS0_17counting_iteratorIjlEEPS9_SG_NS0_5tupleIJPjSI_NS0_16reverse_iteratorISI_EEEEENSH_IJSG_SG_SG_EEES9_SI_JZNS1_25segmented_radix_sort_implINS0_14default_configELb1EPK12hip_bfloat16PSP_PKlPlN2at6native12_GLOBAL__N_18offset_tEEE10hipError_tPvRmT1_PNSt15iterator_traitsIS13_E10value_typeET2_T3_PNS14_IS19_E10value_typeET4_jRbjT5_S1F_jjP12ihipStream_tbEUljE_ZNSN_ISO_Lb1ESR_SS_SU_SV_SZ_EES10_S11_S12_S13_S17_S18_S19_S1C_S1D_jS1E_jS1F_S1F_jjS1H_bEUljE0_EEES10_S11_S12_S19_S1D_S1F_T6_T7_T9_mT8_S1H_bDpT10_ENKUlT_T0_E_clISt17integral_constantIbLb0EES1V_EEDaS1Q_S1R_EUlS1Q_E_NS1_11comp_targetILNS1_3genE10ELNS1_11target_archE1200ELNS1_3gpuE4ELNS1_3repE0EEENS1_30default_config_static_selectorELNS0_4arch9wavefront6targetE1EEEvS13_
		.amdhsa_group_segment_fixed_size 0
		.amdhsa_private_segment_fixed_size 0
		.amdhsa_kernarg_size 176
		.amdhsa_user_sgpr_count 6
		.amdhsa_user_sgpr_private_segment_buffer 1
		.amdhsa_user_sgpr_dispatch_ptr 0
		.amdhsa_user_sgpr_queue_ptr 0
		.amdhsa_user_sgpr_kernarg_segment_ptr 1
		.amdhsa_user_sgpr_dispatch_id 0
		.amdhsa_user_sgpr_flat_scratch_init 0
		.amdhsa_user_sgpr_private_segment_size 0
		.amdhsa_uses_dynamic_stack 0
		.amdhsa_system_sgpr_private_segment_wavefront_offset 0
		.amdhsa_system_sgpr_workgroup_id_x 1
		.amdhsa_system_sgpr_workgroup_id_y 0
		.amdhsa_system_sgpr_workgroup_id_z 0
		.amdhsa_system_sgpr_workgroup_info 0
		.amdhsa_system_vgpr_workitem_id 0
		.amdhsa_next_free_vgpr 1
		.amdhsa_next_free_sgpr 0
		.amdhsa_reserve_vcc 0
		.amdhsa_reserve_flat_scratch 0
		.amdhsa_float_round_mode_32 0
		.amdhsa_float_round_mode_16_64 0
		.amdhsa_float_denorm_mode_32 3
		.amdhsa_float_denorm_mode_16_64 3
		.amdhsa_dx10_clamp 1
		.amdhsa_ieee_mode 1
		.amdhsa_fp16_overflow 0
		.amdhsa_exception_fp_ieee_invalid_op 0
		.amdhsa_exception_fp_denorm_src 0
		.amdhsa_exception_fp_ieee_div_zero 0
		.amdhsa_exception_fp_ieee_overflow 0
		.amdhsa_exception_fp_ieee_underflow 0
		.amdhsa_exception_fp_ieee_inexact 0
		.amdhsa_exception_int_div_zero 0
	.end_amdhsa_kernel
	.section	.text._ZN7rocprim17ROCPRIM_400000_NS6detail17trampoline_kernelINS0_13select_configILj256ELj13ELNS0_17block_load_methodE3ELS4_3ELS4_3ELNS0_20block_scan_algorithmE0ELj4294967295EEENS1_25partition_config_selectorILNS1_17partition_subalgoE4EjNS0_10empty_typeEbEEZZNS1_14partition_implILS8_4ELb0ES6_15HIP_vector_typeIjLj2EENS0_17counting_iteratorIjlEEPS9_SG_NS0_5tupleIJPjSI_NS0_16reverse_iteratorISI_EEEEENSH_IJSG_SG_SG_EEES9_SI_JZNS1_25segmented_radix_sort_implINS0_14default_configELb1EPK12hip_bfloat16PSP_PKlPlN2at6native12_GLOBAL__N_18offset_tEEE10hipError_tPvRmT1_PNSt15iterator_traitsIS13_E10value_typeET2_T3_PNS14_IS19_E10value_typeET4_jRbjT5_S1F_jjP12ihipStream_tbEUljE_ZNSN_ISO_Lb1ESR_SS_SU_SV_SZ_EES10_S11_S12_S13_S17_S18_S19_S1C_S1D_jS1E_jS1F_S1F_jjS1H_bEUljE0_EEES10_S11_S12_S19_S1D_S1F_T6_T7_T9_mT8_S1H_bDpT10_ENKUlT_T0_E_clISt17integral_constantIbLb0EES1V_EEDaS1Q_S1R_EUlS1Q_E_NS1_11comp_targetILNS1_3genE10ELNS1_11target_archE1200ELNS1_3gpuE4ELNS1_3repE0EEENS1_30default_config_static_selectorELNS0_4arch9wavefront6targetE1EEEvS13_,"axG",@progbits,_ZN7rocprim17ROCPRIM_400000_NS6detail17trampoline_kernelINS0_13select_configILj256ELj13ELNS0_17block_load_methodE3ELS4_3ELS4_3ELNS0_20block_scan_algorithmE0ELj4294967295EEENS1_25partition_config_selectorILNS1_17partition_subalgoE4EjNS0_10empty_typeEbEEZZNS1_14partition_implILS8_4ELb0ES6_15HIP_vector_typeIjLj2EENS0_17counting_iteratorIjlEEPS9_SG_NS0_5tupleIJPjSI_NS0_16reverse_iteratorISI_EEEEENSH_IJSG_SG_SG_EEES9_SI_JZNS1_25segmented_radix_sort_implINS0_14default_configELb1EPK12hip_bfloat16PSP_PKlPlN2at6native12_GLOBAL__N_18offset_tEEE10hipError_tPvRmT1_PNSt15iterator_traitsIS13_E10value_typeET2_T3_PNS14_IS19_E10value_typeET4_jRbjT5_S1F_jjP12ihipStream_tbEUljE_ZNSN_ISO_Lb1ESR_SS_SU_SV_SZ_EES10_S11_S12_S13_S17_S18_S19_S1C_S1D_jS1E_jS1F_S1F_jjS1H_bEUljE0_EEES10_S11_S12_S19_S1D_S1F_T6_T7_T9_mT8_S1H_bDpT10_ENKUlT_T0_E_clISt17integral_constantIbLb0EES1V_EEDaS1Q_S1R_EUlS1Q_E_NS1_11comp_targetILNS1_3genE10ELNS1_11target_archE1200ELNS1_3gpuE4ELNS1_3repE0EEENS1_30default_config_static_selectorELNS0_4arch9wavefront6targetE1EEEvS13_,comdat
.Lfunc_end1887:
	.size	_ZN7rocprim17ROCPRIM_400000_NS6detail17trampoline_kernelINS0_13select_configILj256ELj13ELNS0_17block_load_methodE3ELS4_3ELS4_3ELNS0_20block_scan_algorithmE0ELj4294967295EEENS1_25partition_config_selectorILNS1_17partition_subalgoE4EjNS0_10empty_typeEbEEZZNS1_14partition_implILS8_4ELb0ES6_15HIP_vector_typeIjLj2EENS0_17counting_iteratorIjlEEPS9_SG_NS0_5tupleIJPjSI_NS0_16reverse_iteratorISI_EEEEENSH_IJSG_SG_SG_EEES9_SI_JZNS1_25segmented_radix_sort_implINS0_14default_configELb1EPK12hip_bfloat16PSP_PKlPlN2at6native12_GLOBAL__N_18offset_tEEE10hipError_tPvRmT1_PNSt15iterator_traitsIS13_E10value_typeET2_T3_PNS14_IS19_E10value_typeET4_jRbjT5_S1F_jjP12ihipStream_tbEUljE_ZNSN_ISO_Lb1ESR_SS_SU_SV_SZ_EES10_S11_S12_S13_S17_S18_S19_S1C_S1D_jS1E_jS1F_S1F_jjS1H_bEUljE0_EEES10_S11_S12_S19_S1D_S1F_T6_T7_T9_mT8_S1H_bDpT10_ENKUlT_T0_E_clISt17integral_constantIbLb0EES1V_EEDaS1Q_S1R_EUlS1Q_E_NS1_11comp_targetILNS1_3genE10ELNS1_11target_archE1200ELNS1_3gpuE4ELNS1_3repE0EEENS1_30default_config_static_selectorELNS0_4arch9wavefront6targetE1EEEvS13_, .Lfunc_end1887-_ZN7rocprim17ROCPRIM_400000_NS6detail17trampoline_kernelINS0_13select_configILj256ELj13ELNS0_17block_load_methodE3ELS4_3ELS4_3ELNS0_20block_scan_algorithmE0ELj4294967295EEENS1_25partition_config_selectorILNS1_17partition_subalgoE4EjNS0_10empty_typeEbEEZZNS1_14partition_implILS8_4ELb0ES6_15HIP_vector_typeIjLj2EENS0_17counting_iteratorIjlEEPS9_SG_NS0_5tupleIJPjSI_NS0_16reverse_iteratorISI_EEEEENSH_IJSG_SG_SG_EEES9_SI_JZNS1_25segmented_radix_sort_implINS0_14default_configELb1EPK12hip_bfloat16PSP_PKlPlN2at6native12_GLOBAL__N_18offset_tEEE10hipError_tPvRmT1_PNSt15iterator_traitsIS13_E10value_typeET2_T3_PNS14_IS19_E10value_typeET4_jRbjT5_S1F_jjP12ihipStream_tbEUljE_ZNSN_ISO_Lb1ESR_SS_SU_SV_SZ_EES10_S11_S12_S13_S17_S18_S19_S1C_S1D_jS1E_jS1F_S1F_jjS1H_bEUljE0_EEES10_S11_S12_S19_S1D_S1F_T6_T7_T9_mT8_S1H_bDpT10_ENKUlT_T0_E_clISt17integral_constantIbLb0EES1V_EEDaS1Q_S1R_EUlS1Q_E_NS1_11comp_targetILNS1_3genE10ELNS1_11target_archE1200ELNS1_3gpuE4ELNS1_3repE0EEENS1_30default_config_static_selectorELNS0_4arch9wavefront6targetE1EEEvS13_
                                        ; -- End function
	.set _ZN7rocprim17ROCPRIM_400000_NS6detail17trampoline_kernelINS0_13select_configILj256ELj13ELNS0_17block_load_methodE3ELS4_3ELS4_3ELNS0_20block_scan_algorithmE0ELj4294967295EEENS1_25partition_config_selectorILNS1_17partition_subalgoE4EjNS0_10empty_typeEbEEZZNS1_14partition_implILS8_4ELb0ES6_15HIP_vector_typeIjLj2EENS0_17counting_iteratorIjlEEPS9_SG_NS0_5tupleIJPjSI_NS0_16reverse_iteratorISI_EEEEENSH_IJSG_SG_SG_EEES9_SI_JZNS1_25segmented_radix_sort_implINS0_14default_configELb1EPK12hip_bfloat16PSP_PKlPlN2at6native12_GLOBAL__N_18offset_tEEE10hipError_tPvRmT1_PNSt15iterator_traitsIS13_E10value_typeET2_T3_PNS14_IS19_E10value_typeET4_jRbjT5_S1F_jjP12ihipStream_tbEUljE_ZNSN_ISO_Lb1ESR_SS_SU_SV_SZ_EES10_S11_S12_S13_S17_S18_S19_S1C_S1D_jS1E_jS1F_S1F_jjS1H_bEUljE0_EEES10_S11_S12_S19_S1D_S1F_T6_T7_T9_mT8_S1H_bDpT10_ENKUlT_T0_E_clISt17integral_constantIbLb0EES1V_EEDaS1Q_S1R_EUlS1Q_E_NS1_11comp_targetILNS1_3genE10ELNS1_11target_archE1200ELNS1_3gpuE4ELNS1_3repE0EEENS1_30default_config_static_selectorELNS0_4arch9wavefront6targetE1EEEvS13_.num_vgpr, 0
	.set _ZN7rocprim17ROCPRIM_400000_NS6detail17trampoline_kernelINS0_13select_configILj256ELj13ELNS0_17block_load_methodE3ELS4_3ELS4_3ELNS0_20block_scan_algorithmE0ELj4294967295EEENS1_25partition_config_selectorILNS1_17partition_subalgoE4EjNS0_10empty_typeEbEEZZNS1_14partition_implILS8_4ELb0ES6_15HIP_vector_typeIjLj2EENS0_17counting_iteratorIjlEEPS9_SG_NS0_5tupleIJPjSI_NS0_16reverse_iteratorISI_EEEEENSH_IJSG_SG_SG_EEES9_SI_JZNS1_25segmented_radix_sort_implINS0_14default_configELb1EPK12hip_bfloat16PSP_PKlPlN2at6native12_GLOBAL__N_18offset_tEEE10hipError_tPvRmT1_PNSt15iterator_traitsIS13_E10value_typeET2_T3_PNS14_IS19_E10value_typeET4_jRbjT5_S1F_jjP12ihipStream_tbEUljE_ZNSN_ISO_Lb1ESR_SS_SU_SV_SZ_EES10_S11_S12_S13_S17_S18_S19_S1C_S1D_jS1E_jS1F_S1F_jjS1H_bEUljE0_EEES10_S11_S12_S19_S1D_S1F_T6_T7_T9_mT8_S1H_bDpT10_ENKUlT_T0_E_clISt17integral_constantIbLb0EES1V_EEDaS1Q_S1R_EUlS1Q_E_NS1_11comp_targetILNS1_3genE10ELNS1_11target_archE1200ELNS1_3gpuE4ELNS1_3repE0EEENS1_30default_config_static_selectorELNS0_4arch9wavefront6targetE1EEEvS13_.num_agpr, 0
	.set _ZN7rocprim17ROCPRIM_400000_NS6detail17trampoline_kernelINS0_13select_configILj256ELj13ELNS0_17block_load_methodE3ELS4_3ELS4_3ELNS0_20block_scan_algorithmE0ELj4294967295EEENS1_25partition_config_selectorILNS1_17partition_subalgoE4EjNS0_10empty_typeEbEEZZNS1_14partition_implILS8_4ELb0ES6_15HIP_vector_typeIjLj2EENS0_17counting_iteratorIjlEEPS9_SG_NS0_5tupleIJPjSI_NS0_16reverse_iteratorISI_EEEEENSH_IJSG_SG_SG_EEES9_SI_JZNS1_25segmented_radix_sort_implINS0_14default_configELb1EPK12hip_bfloat16PSP_PKlPlN2at6native12_GLOBAL__N_18offset_tEEE10hipError_tPvRmT1_PNSt15iterator_traitsIS13_E10value_typeET2_T3_PNS14_IS19_E10value_typeET4_jRbjT5_S1F_jjP12ihipStream_tbEUljE_ZNSN_ISO_Lb1ESR_SS_SU_SV_SZ_EES10_S11_S12_S13_S17_S18_S19_S1C_S1D_jS1E_jS1F_S1F_jjS1H_bEUljE0_EEES10_S11_S12_S19_S1D_S1F_T6_T7_T9_mT8_S1H_bDpT10_ENKUlT_T0_E_clISt17integral_constantIbLb0EES1V_EEDaS1Q_S1R_EUlS1Q_E_NS1_11comp_targetILNS1_3genE10ELNS1_11target_archE1200ELNS1_3gpuE4ELNS1_3repE0EEENS1_30default_config_static_selectorELNS0_4arch9wavefront6targetE1EEEvS13_.numbered_sgpr, 0
	.set _ZN7rocprim17ROCPRIM_400000_NS6detail17trampoline_kernelINS0_13select_configILj256ELj13ELNS0_17block_load_methodE3ELS4_3ELS4_3ELNS0_20block_scan_algorithmE0ELj4294967295EEENS1_25partition_config_selectorILNS1_17partition_subalgoE4EjNS0_10empty_typeEbEEZZNS1_14partition_implILS8_4ELb0ES6_15HIP_vector_typeIjLj2EENS0_17counting_iteratorIjlEEPS9_SG_NS0_5tupleIJPjSI_NS0_16reverse_iteratorISI_EEEEENSH_IJSG_SG_SG_EEES9_SI_JZNS1_25segmented_radix_sort_implINS0_14default_configELb1EPK12hip_bfloat16PSP_PKlPlN2at6native12_GLOBAL__N_18offset_tEEE10hipError_tPvRmT1_PNSt15iterator_traitsIS13_E10value_typeET2_T3_PNS14_IS19_E10value_typeET4_jRbjT5_S1F_jjP12ihipStream_tbEUljE_ZNSN_ISO_Lb1ESR_SS_SU_SV_SZ_EES10_S11_S12_S13_S17_S18_S19_S1C_S1D_jS1E_jS1F_S1F_jjS1H_bEUljE0_EEES10_S11_S12_S19_S1D_S1F_T6_T7_T9_mT8_S1H_bDpT10_ENKUlT_T0_E_clISt17integral_constantIbLb0EES1V_EEDaS1Q_S1R_EUlS1Q_E_NS1_11comp_targetILNS1_3genE10ELNS1_11target_archE1200ELNS1_3gpuE4ELNS1_3repE0EEENS1_30default_config_static_selectorELNS0_4arch9wavefront6targetE1EEEvS13_.num_named_barrier, 0
	.set _ZN7rocprim17ROCPRIM_400000_NS6detail17trampoline_kernelINS0_13select_configILj256ELj13ELNS0_17block_load_methodE3ELS4_3ELS4_3ELNS0_20block_scan_algorithmE0ELj4294967295EEENS1_25partition_config_selectorILNS1_17partition_subalgoE4EjNS0_10empty_typeEbEEZZNS1_14partition_implILS8_4ELb0ES6_15HIP_vector_typeIjLj2EENS0_17counting_iteratorIjlEEPS9_SG_NS0_5tupleIJPjSI_NS0_16reverse_iteratorISI_EEEEENSH_IJSG_SG_SG_EEES9_SI_JZNS1_25segmented_radix_sort_implINS0_14default_configELb1EPK12hip_bfloat16PSP_PKlPlN2at6native12_GLOBAL__N_18offset_tEEE10hipError_tPvRmT1_PNSt15iterator_traitsIS13_E10value_typeET2_T3_PNS14_IS19_E10value_typeET4_jRbjT5_S1F_jjP12ihipStream_tbEUljE_ZNSN_ISO_Lb1ESR_SS_SU_SV_SZ_EES10_S11_S12_S13_S17_S18_S19_S1C_S1D_jS1E_jS1F_S1F_jjS1H_bEUljE0_EEES10_S11_S12_S19_S1D_S1F_T6_T7_T9_mT8_S1H_bDpT10_ENKUlT_T0_E_clISt17integral_constantIbLb0EES1V_EEDaS1Q_S1R_EUlS1Q_E_NS1_11comp_targetILNS1_3genE10ELNS1_11target_archE1200ELNS1_3gpuE4ELNS1_3repE0EEENS1_30default_config_static_selectorELNS0_4arch9wavefront6targetE1EEEvS13_.private_seg_size, 0
	.set _ZN7rocprim17ROCPRIM_400000_NS6detail17trampoline_kernelINS0_13select_configILj256ELj13ELNS0_17block_load_methodE3ELS4_3ELS4_3ELNS0_20block_scan_algorithmE0ELj4294967295EEENS1_25partition_config_selectorILNS1_17partition_subalgoE4EjNS0_10empty_typeEbEEZZNS1_14partition_implILS8_4ELb0ES6_15HIP_vector_typeIjLj2EENS0_17counting_iteratorIjlEEPS9_SG_NS0_5tupleIJPjSI_NS0_16reverse_iteratorISI_EEEEENSH_IJSG_SG_SG_EEES9_SI_JZNS1_25segmented_radix_sort_implINS0_14default_configELb1EPK12hip_bfloat16PSP_PKlPlN2at6native12_GLOBAL__N_18offset_tEEE10hipError_tPvRmT1_PNSt15iterator_traitsIS13_E10value_typeET2_T3_PNS14_IS19_E10value_typeET4_jRbjT5_S1F_jjP12ihipStream_tbEUljE_ZNSN_ISO_Lb1ESR_SS_SU_SV_SZ_EES10_S11_S12_S13_S17_S18_S19_S1C_S1D_jS1E_jS1F_S1F_jjS1H_bEUljE0_EEES10_S11_S12_S19_S1D_S1F_T6_T7_T9_mT8_S1H_bDpT10_ENKUlT_T0_E_clISt17integral_constantIbLb0EES1V_EEDaS1Q_S1R_EUlS1Q_E_NS1_11comp_targetILNS1_3genE10ELNS1_11target_archE1200ELNS1_3gpuE4ELNS1_3repE0EEENS1_30default_config_static_selectorELNS0_4arch9wavefront6targetE1EEEvS13_.uses_vcc, 0
	.set _ZN7rocprim17ROCPRIM_400000_NS6detail17trampoline_kernelINS0_13select_configILj256ELj13ELNS0_17block_load_methodE3ELS4_3ELS4_3ELNS0_20block_scan_algorithmE0ELj4294967295EEENS1_25partition_config_selectorILNS1_17partition_subalgoE4EjNS0_10empty_typeEbEEZZNS1_14partition_implILS8_4ELb0ES6_15HIP_vector_typeIjLj2EENS0_17counting_iteratorIjlEEPS9_SG_NS0_5tupleIJPjSI_NS0_16reverse_iteratorISI_EEEEENSH_IJSG_SG_SG_EEES9_SI_JZNS1_25segmented_radix_sort_implINS0_14default_configELb1EPK12hip_bfloat16PSP_PKlPlN2at6native12_GLOBAL__N_18offset_tEEE10hipError_tPvRmT1_PNSt15iterator_traitsIS13_E10value_typeET2_T3_PNS14_IS19_E10value_typeET4_jRbjT5_S1F_jjP12ihipStream_tbEUljE_ZNSN_ISO_Lb1ESR_SS_SU_SV_SZ_EES10_S11_S12_S13_S17_S18_S19_S1C_S1D_jS1E_jS1F_S1F_jjS1H_bEUljE0_EEES10_S11_S12_S19_S1D_S1F_T6_T7_T9_mT8_S1H_bDpT10_ENKUlT_T0_E_clISt17integral_constantIbLb0EES1V_EEDaS1Q_S1R_EUlS1Q_E_NS1_11comp_targetILNS1_3genE10ELNS1_11target_archE1200ELNS1_3gpuE4ELNS1_3repE0EEENS1_30default_config_static_selectorELNS0_4arch9wavefront6targetE1EEEvS13_.uses_flat_scratch, 0
	.set _ZN7rocprim17ROCPRIM_400000_NS6detail17trampoline_kernelINS0_13select_configILj256ELj13ELNS0_17block_load_methodE3ELS4_3ELS4_3ELNS0_20block_scan_algorithmE0ELj4294967295EEENS1_25partition_config_selectorILNS1_17partition_subalgoE4EjNS0_10empty_typeEbEEZZNS1_14partition_implILS8_4ELb0ES6_15HIP_vector_typeIjLj2EENS0_17counting_iteratorIjlEEPS9_SG_NS0_5tupleIJPjSI_NS0_16reverse_iteratorISI_EEEEENSH_IJSG_SG_SG_EEES9_SI_JZNS1_25segmented_radix_sort_implINS0_14default_configELb1EPK12hip_bfloat16PSP_PKlPlN2at6native12_GLOBAL__N_18offset_tEEE10hipError_tPvRmT1_PNSt15iterator_traitsIS13_E10value_typeET2_T3_PNS14_IS19_E10value_typeET4_jRbjT5_S1F_jjP12ihipStream_tbEUljE_ZNSN_ISO_Lb1ESR_SS_SU_SV_SZ_EES10_S11_S12_S13_S17_S18_S19_S1C_S1D_jS1E_jS1F_S1F_jjS1H_bEUljE0_EEES10_S11_S12_S19_S1D_S1F_T6_T7_T9_mT8_S1H_bDpT10_ENKUlT_T0_E_clISt17integral_constantIbLb0EES1V_EEDaS1Q_S1R_EUlS1Q_E_NS1_11comp_targetILNS1_3genE10ELNS1_11target_archE1200ELNS1_3gpuE4ELNS1_3repE0EEENS1_30default_config_static_selectorELNS0_4arch9wavefront6targetE1EEEvS13_.has_dyn_sized_stack, 0
	.set _ZN7rocprim17ROCPRIM_400000_NS6detail17trampoline_kernelINS0_13select_configILj256ELj13ELNS0_17block_load_methodE3ELS4_3ELS4_3ELNS0_20block_scan_algorithmE0ELj4294967295EEENS1_25partition_config_selectorILNS1_17partition_subalgoE4EjNS0_10empty_typeEbEEZZNS1_14partition_implILS8_4ELb0ES6_15HIP_vector_typeIjLj2EENS0_17counting_iteratorIjlEEPS9_SG_NS0_5tupleIJPjSI_NS0_16reverse_iteratorISI_EEEEENSH_IJSG_SG_SG_EEES9_SI_JZNS1_25segmented_radix_sort_implINS0_14default_configELb1EPK12hip_bfloat16PSP_PKlPlN2at6native12_GLOBAL__N_18offset_tEEE10hipError_tPvRmT1_PNSt15iterator_traitsIS13_E10value_typeET2_T3_PNS14_IS19_E10value_typeET4_jRbjT5_S1F_jjP12ihipStream_tbEUljE_ZNSN_ISO_Lb1ESR_SS_SU_SV_SZ_EES10_S11_S12_S13_S17_S18_S19_S1C_S1D_jS1E_jS1F_S1F_jjS1H_bEUljE0_EEES10_S11_S12_S19_S1D_S1F_T6_T7_T9_mT8_S1H_bDpT10_ENKUlT_T0_E_clISt17integral_constantIbLb0EES1V_EEDaS1Q_S1R_EUlS1Q_E_NS1_11comp_targetILNS1_3genE10ELNS1_11target_archE1200ELNS1_3gpuE4ELNS1_3repE0EEENS1_30default_config_static_selectorELNS0_4arch9wavefront6targetE1EEEvS13_.has_recursion, 0
	.set _ZN7rocprim17ROCPRIM_400000_NS6detail17trampoline_kernelINS0_13select_configILj256ELj13ELNS0_17block_load_methodE3ELS4_3ELS4_3ELNS0_20block_scan_algorithmE0ELj4294967295EEENS1_25partition_config_selectorILNS1_17partition_subalgoE4EjNS0_10empty_typeEbEEZZNS1_14partition_implILS8_4ELb0ES6_15HIP_vector_typeIjLj2EENS0_17counting_iteratorIjlEEPS9_SG_NS0_5tupleIJPjSI_NS0_16reverse_iteratorISI_EEEEENSH_IJSG_SG_SG_EEES9_SI_JZNS1_25segmented_radix_sort_implINS0_14default_configELb1EPK12hip_bfloat16PSP_PKlPlN2at6native12_GLOBAL__N_18offset_tEEE10hipError_tPvRmT1_PNSt15iterator_traitsIS13_E10value_typeET2_T3_PNS14_IS19_E10value_typeET4_jRbjT5_S1F_jjP12ihipStream_tbEUljE_ZNSN_ISO_Lb1ESR_SS_SU_SV_SZ_EES10_S11_S12_S13_S17_S18_S19_S1C_S1D_jS1E_jS1F_S1F_jjS1H_bEUljE0_EEES10_S11_S12_S19_S1D_S1F_T6_T7_T9_mT8_S1H_bDpT10_ENKUlT_T0_E_clISt17integral_constantIbLb0EES1V_EEDaS1Q_S1R_EUlS1Q_E_NS1_11comp_targetILNS1_3genE10ELNS1_11target_archE1200ELNS1_3gpuE4ELNS1_3repE0EEENS1_30default_config_static_selectorELNS0_4arch9wavefront6targetE1EEEvS13_.has_indirect_call, 0
	.section	.AMDGPU.csdata,"",@progbits
; Kernel info:
; codeLenInByte = 0
; TotalNumSgprs: 4
; NumVgprs: 0
; ScratchSize: 0
; MemoryBound: 0
; FloatMode: 240
; IeeeMode: 1
; LDSByteSize: 0 bytes/workgroup (compile time only)
; SGPRBlocks: 0
; VGPRBlocks: 0
; NumSGPRsForWavesPerEU: 4
; NumVGPRsForWavesPerEU: 1
; Occupancy: 10
; WaveLimiterHint : 0
; COMPUTE_PGM_RSRC2:SCRATCH_EN: 0
; COMPUTE_PGM_RSRC2:USER_SGPR: 6
; COMPUTE_PGM_RSRC2:TRAP_HANDLER: 0
; COMPUTE_PGM_RSRC2:TGID_X_EN: 1
; COMPUTE_PGM_RSRC2:TGID_Y_EN: 0
; COMPUTE_PGM_RSRC2:TGID_Z_EN: 0
; COMPUTE_PGM_RSRC2:TIDIG_COMP_CNT: 0
	.section	.text._ZN7rocprim17ROCPRIM_400000_NS6detail17trampoline_kernelINS0_13select_configILj256ELj13ELNS0_17block_load_methodE3ELS4_3ELS4_3ELNS0_20block_scan_algorithmE0ELj4294967295EEENS1_25partition_config_selectorILNS1_17partition_subalgoE4EjNS0_10empty_typeEbEEZZNS1_14partition_implILS8_4ELb0ES6_15HIP_vector_typeIjLj2EENS0_17counting_iteratorIjlEEPS9_SG_NS0_5tupleIJPjSI_NS0_16reverse_iteratorISI_EEEEENSH_IJSG_SG_SG_EEES9_SI_JZNS1_25segmented_radix_sort_implINS0_14default_configELb1EPK12hip_bfloat16PSP_PKlPlN2at6native12_GLOBAL__N_18offset_tEEE10hipError_tPvRmT1_PNSt15iterator_traitsIS13_E10value_typeET2_T3_PNS14_IS19_E10value_typeET4_jRbjT5_S1F_jjP12ihipStream_tbEUljE_ZNSN_ISO_Lb1ESR_SS_SU_SV_SZ_EES10_S11_S12_S13_S17_S18_S19_S1C_S1D_jS1E_jS1F_S1F_jjS1H_bEUljE0_EEES10_S11_S12_S19_S1D_S1F_T6_T7_T9_mT8_S1H_bDpT10_ENKUlT_T0_E_clISt17integral_constantIbLb0EES1V_EEDaS1Q_S1R_EUlS1Q_E_NS1_11comp_targetILNS1_3genE9ELNS1_11target_archE1100ELNS1_3gpuE3ELNS1_3repE0EEENS1_30default_config_static_selectorELNS0_4arch9wavefront6targetE1EEEvS13_,"axG",@progbits,_ZN7rocprim17ROCPRIM_400000_NS6detail17trampoline_kernelINS0_13select_configILj256ELj13ELNS0_17block_load_methodE3ELS4_3ELS4_3ELNS0_20block_scan_algorithmE0ELj4294967295EEENS1_25partition_config_selectorILNS1_17partition_subalgoE4EjNS0_10empty_typeEbEEZZNS1_14partition_implILS8_4ELb0ES6_15HIP_vector_typeIjLj2EENS0_17counting_iteratorIjlEEPS9_SG_NS0_5tupleIJPjSI_NS0_16reverse_iteratorISI_EEEEENSH_IJSG_SG_SG_EEES9_SI_JZNS1_25segmented_radix_sort_implINS0_14default_configELb1EPK12hip_bfloat16PSP_PKlPlN2at6native12_GLOBAL__N_18offset_tEEE10hipError_tPvRmT1_PNSt15iterator_traitsIS13_E10value_typeET2_T3_PNS14_IS19_E10value_typeET4_jRbjT5_S1F_jjP12ihipStream_tbEUljE_ZNSN_ISO_Lb1ESR_SS_SU_SV_SZ_EES10_S11_S12_S13_S17_S18_S19_S1C_S1D_jS1E_jS1F_S1F_jjS1H_bEUljE0_EEES10_S11_S12_S19_S1D_S1F_T6_T7_T9_mT8_S1H_bDpT10_ENKUlT_T0_E_clISt17integral_constantIbLb0EES1V_EEDaS1Q_S1R_EUlS1Q_E_NS1_11comp_targetILNS1_3genE9ELNS1_11target_archE1100ELNS1_3gpuE3ELNS1_3repE0EEENS1_30default_config_static_selectorELNS0_4arch9wavefront6targetE1EEEvS13_,comdat
	.globl	_ZN7rocprim17ROCPRIM_400000_NS6detail17trampoline_kernelINS0_13select_configILj256ELj13ELNS0_17block_load_methodE3ELS4_3ELS4_3ELNS0_20block_scan_algorithmE0ELj4294967295EEENS1_25partition_config_selectorILNS1_17partition_subalgoE4EjNS0_10empty_typeEbEEZZNS1_14partition_implILS8_4ELb0ES6_15HIP_vector_typeIjLj2EENS0_17counting_iteratorIjlEEPS9_SG_NS0_5tupleIJPjSI_NS0_16reverse_iteratorISI_EEEEENSH_IJSG_SG_SG_EEES9_SI_JZNS1_25segmented_radix_sort_implINS0_14default_configELb1EPK12hip_bfloat16PSP_PKlPlN2at6native12_GLOBAL__N_18offset_tEEE10hipError_tPvRmT1_PNSt15iterator_traitsIS13_E10value_typeET2_T3_PNS14_IS19_E10value_typeET4_jRbjT5_S1F_jjP12ihipStream_tbEUljE_ZNSN_ISO_Lb1ESR_SS_SU_SV_SZ_EES10_S11_S12_S13_S17_S18_S19_S1C_S1D_jS1E_jS1F_S1F_jjS1H_bEUljE0_EEES10_S11_S12_S19_S1D_S1F_T6_T7_T9_mT8_S1H_bDpT10_ENKUlT_T0_E_clISt17integral_constantIbLb0EES1V_EEDaS1Q_S1R_EUlS1Q_E_NS1_11comp_targetILNS1_3genE9ELNS1_11target_archE1100ELNS1_3gpuE3ELNS1_3repE0EEENS1_30default_config_static_selectorELNS0_4arch9wavefront6targetE1EEEvS13_ ; -- Begin function _ZN7rocprim17ROCPRIM_400000_NS6detail17trampoline_kernelINS0_13select_configILj256ELj13ELNS0_17block_load_methodE3ELS4_3ELS4_3ELNS0_20block_scan_algorithmE0ELj4294967295EEENS1_25partition_config_selectorILNS1_17partition_subalgoE4EjNS0_10empty_typeEbEEZZNS1_14partition_implILS8_4ELb0ES6_15HIP_vector_typeIjLj2EENS0_17counting_iteratorIjlEEPS9_SG_NS0_5tupleIJPjSI_NS0_16reverse_iteratorISI_EEEEENSH_IJSG_SG_SG_EEES9_SI_JZNS1_25segmented_radix_sort_implINS0_14default_configELb1EPK12hip_bfloat16PSP_PKlPlN2at6native12_GLOBAL__N_18offset_tEEE10hipError_tPvRmT1_PNSt15iterator_traitsIS13_E10value_typeET2_T3_PNS14_IS19_E10value_typeET4_jRbjT5_S1F_jjP12ihipStream_tbEUljE_ZNSN_ISO_Lb1ESR_SS_SU_SV_SZ_EES10_S11_S12_S13_S17_S18_S19_S1C_S1D_jS1E_jS1F_S1F_jjS1H_bEUljE0_EEES10_S11_S12_S19_S1D_S1F_T6_T7_T9_mT8_S1H_bDpT10_ENKUlT_T0_E_clISt17integral_constantIbLb0EES1V_EEDaS1Q_S1R_EUlS1Q_E_NS1_11comp_targetILNS1_3genE9ELNS1_11target_archE1100ELNS1_3gpuE3ELNS1_3repE0EEENS1_30default_config_static_selectorELNS0_4arch9wavefront6targetE1EEEvS13_
	.p2align	8
	.type	_ZN7rocprim17ROCPRIM_400000_NS6detail17trampoline_kernelINS0_13select_configILj256ELj13ELNS0_17block_load_methodE3ELS4_3ELS4_3ELNS0_20block_scan_algorithmE0ELj4294967295EEENS1_25partition_config_selectorILNS1_17partition_subalgoE4EjNS0_10empty_typeEbEEZZNS1_14partition_implILS8_4ELb0ES6_15HIP_vector_typeIjLj2EENS0_17counting_iteratorIjlEEPS9_SG_NS0_5tupleIJPjSI_NS0_16reverse_iteratorISI_EEEEENSH_IJSG_SG_SG_EEES9_SI_JZNS1_25segmented_radix_sort_implINS0_14default_configELb1EPK12hip_bfloat16PSP_PKlPlN2at6native12_GLOBAL__N_18offset_tEEE10hipError_tPvRmT1_PNSt15iterator_traitsIS13_E10value_typeET2_T3_PNS14_IS19_E10value_typeET4_jRbjT5_S1F_jjP12ihipStream_tbEUljE_ZNSN_ISO_Lb1ESR_SS_SU_SV_SZ_EES10_S11_S12_S13_S17_S18_S19_S1C_S1D_jS1E_jS1F_S1F_jjS1H_bEUljE0_EEES10_S11_S12_S19_S1D_S1F_T6_T7_T9_mT8_S1H_bDpT10_ENKUlT_T0_E_clISt17integral_constantIbLb0EES1V_EEDaS1Q_S1R_EUlS1Q_E_NS1_11comp_targetILNS1_3genE9ELNS1_11target_archE1100ELNS1_3gpuE3ELNS1_3repE0EEENS1_30default_config_static_selectorELNS0_4arch9wavefront6targetE1EEEvS13_,@function
_ZN7rocprim17ROCPRIM_400000_NS6detail17trampoline_kernelINS0_13select_configILj256ELj13ELNS0_17block_load_methodE3ELS4_3ELS4_3ELNS0_20block_scan_algorithmE0ELj4294967295EEENS1_25partition_config_selectorILNS1_17partition_subalgoE4EjNS0_10empty_typeEbEEZZNS1_14partition_implILS8_4ELb0ES6_15HIP_vector_typeIjLj2EENS0_17counting_iteratorIjlEEPS9_SG_NS0_5tupleIJPjSI_NS0_16reverse_iteratorISI_EEEEENSH_IJSG_SG_SG_EEES9_SI_JZNS1_25segmented_radix_sort_implINS0_14default_configELb1EPK12hip_bfloat16PSP_PKlPlN2at6native12_GLOBAL__N_18offset_tEEE10hipError_tPvRmT1_PNSt15iterator_traitsIS13_E10value_typeET2_T3_PNS14_IS19_E10value_typeET4_jRbjT5_S1F_jjP12ihipStream_tbEUljE_ZNSN_ISO_Lb1ESR_SS_SU_SV_SZ_EES10_S11_S12_S13_S17_S18_S19_S1C_S1D_jS1E_jS1F_S1F_jjS1H_bEUljE0_EEES10_S11_S12_S19_S1D_S1F_T6_T7_T9_mT8_S1H_bDpT10_ENKUlT_T0_E_clISt17integral_constantIbLb0EES1V_EEDaS1Q_S1R_EUlS1Q_E_NS1_11comp_targetILNS1_3genE9ELNS1_11target_archE1100ELNS1_3gpuE3ELNS1_3repE0EEENS1_30default_config_static_selectorELNS0_4arch9wavefront6targetE1EEEvS13_: ; @_ZN7rocprim17ROCPRIM_400000_NS6detail17trampoline_kernelINS0_13select_configILj256ELj13ELNS0_17block_load_methodE3ELS4_3ELS4_3ELNS0_20block_scan_algorithmE0ELj4294967295EEENS1_25partition_config_selectorILNS1_17partition_subalgoE4EjNS0_10empty_typeEbEEZZNS1_14partition_implILS8_4ELb0ES6_15HIP_vector_typeIjLj2EENS0_17counting_iteratorIjlEEPS9_SG_NS0_5tupleIJPjSI_NS0_16reverse_iteratorISI_EEEEENSH_IJSG_SG_SG_EEES9_SI_JZNS1_25segmented_radix_sort_implINS0_14default_configELb1EPK12hip_bfloat16PSP_PKlPlN2at6native12_GLOBAL__N_18offset_tEEE10hipError_tPvRmT1_PNSt15iterator_traitsIS13_E10value_typeET2_T3_PNS14_IS19_E10value_typeET4_jRbjT5_S1F_jjP12ihipStream_tbEUljE_ZNSN_ISO_Lb1ESR_SS_SU_SV_SZ_EES10_S11_S12_S13_S17_S18_S19_S1C_S1D_jS1E_jS1F_S1F_jjS1H_bEUljE0_EEES10_S11_S12_S19_S1D_S1F_T6_T7_T9_mT8_S1H_bDpT10_ENKUlT_T0_E_clISt17integral_constantIbLb0EES1V_EEDaS1Q_S1R_EUlS1Q_E_NS1_11comp_targetILNS1_3genE9ELNS1_11target_archE1100ELNS1_3gpuE3ELNS1_3repE0EEENS1_30default_config_static_selectorELNS0_4arch9wavefront6targetE1EEEvS13_
; %bb.0:
	.section	.rodata,"a",@progbits
	.p2align	6, 0x0
	.amdhsa_kernel _ZN7rocprim17ROCPRIM_400000_NS6detail17trampoline_kernelINS0_13select_configILj256ELj13ELNS0_17block_load_methodE3ELS4_3ELS4_3ELNS0_20block_scan_algorithmE0ELj4294967295EEENS1_25partition_config_selectorILNS1_17partition_subalgoE4EjNS0_10empty_typeEbEEZZNS1_14partition_implILS8_4ELb0ES6_15HIP_vector_typeIjLj2EENS0_17counting_iteratorIjlEEPS9_SG_NS0_5tupleIJPjSI_NS0_16reverse_iteratorISI_EEEEENSH_IJSG_SG_SG_EEES9_SI_JZNS1_25segmented_radix_sort_implINS0_14default_configELb1EPK12hip_bfloat16PSP_PKlPlN2at6native12_GLOBAL__N_18offset_tEEE10hipError_tPvRmT1_PNSt15iterator_traitsIS13_E10value_typeET2_T3_PNS14_IS19_E10value_typeET4_jRbjT5_S1F_jjP12ihipStream_tbEUljE_ZNSN_ISO_Lb1ESR_SS_SU_SV_SZ_EES10_S11_S12_S13_S17_S18_S19_S1C_S1D_jS1E_jS1F_S1F_jjS1H_bEUljE0_EEES10_S11_S12_S19_S1D_S1F_T6_T7_T9_mT8_S1H_bDpT10_ENKUlT_T0_E_clISt17integral_constantIbLb0EES1V_EEDaS1Q_S1R_EUlS1Q_E_NS1_11comp_targetILNS1_3genE9ELNS1_11target_archE1100ELNS1_3gpuE3ELNS1_3repE0EEENS1_30default_config_static_selectorELNS0_4arch9wavefront6targetE1EEEvS13_
		.amdhsa_group_segment_fixed_size 0
		.amdhsa_private_segment_fixed_size 0
		.amdhsa_kernarg_size 176
		.amdhsa_user_sgpr_count 6
		.amdhsa_user_sgpr_private_segment_buffer 1
		.amdhsa_user_sgpr_dispatch_ptr 0
		.amdhsa_user_sgpr_queue_ptr 0
		.amdhsa_user_sgpr_kernarg_segment_ptr 1
		.amdhsa_user_sgpr_dispatch_id 0
		.amdhsa_user_sgpr_flat_scratch_init 0
		.amdhsa_user_sgpr_private_segment_size 0
		.amdhsa_uses_dynamic_stack 0
		.amdhsa_system_sgpr_private_segment_wavefront_offset 0
		.amdhsa_system_sgpr_workgroup_id_x 1
		.amdhsa_system_sgpr_workgroup_id_y 0
		.amdhsa_system_sgpr_workgroup_id_z 0
		.amdhsa_system_sgpr_workgroup_info 0
		.amdhsa_system_vgpr_workitem_id 0
		.amdhsa_next_free_vgpr 1
		.amdhsa_next_free_sgpr 0
		.amdhsa_reserve_vcc 0
		.amdhsa_reserve_flat_scratch 0
		.amdhsa_float_round_mode_32 0
		.amdhsa_float_round_mode_16_64 0
		.amdhsa_float_denorm_mode_32 3
		.amdhsa_float_denorm_mode_16_64 3
		.amdhsa_dx10_clamp 1
		.amdhsa_ieee_mode 1
		.amdhsa_fp16_overflow 0
		.amdhsa_exception_fp_ieee_invalid_op 0
		.amdhsa_exception_fp_denorm_src 0
		.amdhsa_exception_fp_ieee_div_zero 0
		.amdhsa_exception_fp_ieee_overflow 0
		.amdhsa_exception_fp_ieee_underflow 0
		.amdhsa_exception_fp_ieee_inexact 0
		.amdhsa_exception_int_div_zero 0
	.end_amdhsa_kernel
	.section	.text._ZN7rocprim17ROCPRIM_400000_NS6detail17trampoline_kernelINS0_13select_configILj256ELj13ELNS0_17block_load_methodE3ELS4_3ELS4_3ELNS0_20block_scan_algorithmE0ELj4294967295EEENS1_25partition_config_selectorILNS1_17partition_subalgoE4EjNS0_10empty_typeEbEEZZNS1_14partition_implILS8_4ELb0ES6_15HIP_vector_typeIjLj2EENS0_17counting_iteratorIjlEEPS9_SG_NS0_5tupleIJPjSI_NS0_16reverse_iteratorISI_EEEEENSH_IJSG_SG_SG_EEES9_SI_JZNS1_25segmented_radix_sort_implINS0_14default_configELb1EPK12hip_bfloat16PSP_PKlPlN2at6native12_GLOBAL__N_18offset_tEEE10hipError_tPvRmT1_PNSt15iterator_traitsIS13_E10value_typeET2_T3_PNS14_IS19_E10value_typeET4_jRbjT5_S1F_jjP12ihipStream_tbEUljE_ZNSN_ISO_Lb1ESR_SS_SU_SV_SZ_EES10_S11_S12_S13_S17_S18_S19_S1C_S1D_jS1E_jS1F_S1F_jjS1H_bEUljE0_EEES10_S11_S12_S19_S1D_S1F_T6_T7_T9_mT8_S1H_bDpT10_ENKUlT_T0_E_clISt17integral_constantIbLb0EES1V_EEDaS1Q_S1R_EUlS1Q_E_NS1_11comp_targetILNS1_3genE9ELNS1_11target_archE1100ELNS1_3gpuE3ELNS1_3repE0EEENS1_30default_config_static_selectorELNS0_4arch9wavefront6targetE1EEEvS13_,"axG",@progbits,_ZN7rocprim17ROCPRIM_400000_NS6detail17trampoline_kernelINS0_13select_configILj256ELj13ELNS0_17block_load_methodE3ELS4_3ELS4_3ELNS0_20block_scan_algorithmE0ELj4294967295EEENS1_25partition_config_selectorILNS1_17partition_subalgoE4EjNS0_10empty_typeEbEEZZNS1_14partition_implILS8_4ELb0ES6_15HIP_vector_typeIjLj2EENS0_17counting_iteratorIjlEEPS9_SG_NS0_5tupleIJPjSI_NS0_16reverse_iteratorISI_EEEEENSH_IJSG_SG_SG_EEES9_SI_JZNS1_25segmented_radix_sort_implINS0_14default_configELb1EPK12hip_bfloat16PSP_PKlPlN2at6native12_GLOBAL__N_18offset_tEEE10hipError_tPvRmT1_PNSt15iterator_traitsIS13_E10value_typeET2_T3_PNS14_IS19_E10value_typeET4_jRbjT5_S1F_jjP12ihipStream_tbEUljE_ZNSN_ISO_Lb1ESR_SS_SU_SV_SZ_EES10_S11_S12_S13_S17_S18_S19_S1C_S1D_jS1E_jS1F_S1F_jjS1H_bEUljE0_EEES10_S11_S12_S19_S1D_S1F_T6_T7_T9_mT8_S1H_bDpT10_ENKUlT_T0_E_clISt17integral_constantIbLb0EES1V_EEDaS1Q_S1R_EUlS1Q_E_NS1_11comp_targetILNS1_3genE9ELNS1_11target_archE1100ELNS1_3gpuE3ELNS1_3repE0EEENS1_30default_config_static_selectorELNS0_4arch9wavefront6targetE1EEEvS13_,comdat
.Lfunc_end1888:
	.size	_ZN7rocprim17ROCPRIM_400000_NS6detail17trampoline_kernelINS0_13select_configILj256ELj13ELNS0_17block_load_methodE3ELS4_3ELS4_3ELNS0_20block_scan_algorithmE0ELj4294967295EEENS1_25partition_config_selectorILNS1_17partition_subalgoE4EjNS0_10empty_typeEbEEZZNS1_14partition_implILS8_4ELb0ES6_15HIP_vector_typeIjLj2EENS0_17counting_iteratorIjlEEPS9_SG_NS0_5tupleIJPjSI_NS0_16reverse_iteratorISI_EEEEENSH_IJSG_SG_SG_EEES9_SI_JZNS1_25segmented_radix_sort_implINS0_14default_configELb1EPK12hip_bfloat16PSP_PKlPlN2at6native12_GLOBAL__N_18offset_tEEE10hipError_tPvRmT1_PNSt15iterator_traitsIS13_E10value_typeET2_T3_PNS14_IS19_E10value_typeET4_jRbjT5_S1F_jjP12ihipStream_tbEUljE_ZNSN_ISO_Lb1ESR_SS_SU_SV_SZ_EES10_S11_S12_S13_S17_S18_S19_S1C_S1D_jS1E_jS1F_S1F_jjS1H_bEUljE0_EEES10_S11_S12_S19_S1D_S1F_T6_T7_T9_mT8_S1H_bDpT10_ENKUlT_T0_E_clISt17integral_constantIbLb0EES1V_EEDaS1Q_S1R_EUlS1Q_E_NS1_11comp_targetILNS1_3genE9ELNS1_11target_archE1100ELNS1_3gpuE3ELNS1_3repE0EEENS1_30default_config_static_selectorELNS0_4arch9wavefront6targetE1EEEvS13_, .Lfunc_end1888-_ZN7rocprim17ROCPRIM_400000_NS6detail17trampoline_kernelINS0_13select_configILj256ELj13ELNS0_17block_load_methodE3ELS4_3ELS4_3ELNS0_20block_scan_algorithmE0ELj4294967295EEENS1_25partition_config_selectorILNS1_17partition_subalgoE4EjNS0_10empty_typeEbEEZZNS1_14partition_implILS8_4ELb0ES6_15HIP_vector_typeIjLj2EENS0_17counting_iteratorIjlEEPS9_SG_NS0_5tupleIJPjSI_NS0_16reverse_iteratorISI_EEEEENSH_IJSG_SG_SG_EEES9_SI_JZNS1_25segmented_radix_sort_implINS0_14default_configELb1EPK12hip_bfloat16PSP_PKlPlN2at6native12_GLOBAL__N_18offset_tEEE10hipError_tPvRmT1_PNSt15iterator_traitsIS13_E10value_typeET2_T3_PNS14_IS19_E10value_typeET4_jRbjT5_S1F_jjP12ihipStream_tbEUljE_ZNSN_ISO_Lb1ESR_SS_SU_SV_SZ_EES10_S11_S12_S13_S17_S18_S19_S1C_S1D_jS1E_jS1F_S1F_jjS1H_bEUljE0_EEES10_S11_S12_S19_S1D_S1F_T6_T7_T9_mT8_S1H_bDpT10_ENKUlT_T0_E_clISt17integral_constantIbLb0EES1V_EEDaS1Q_S1R_EUlS1Q_E_NS1_11comp_targetILNS1_3genE9ELNS1_11target_archE1100ELNS1_3gpuE3ELNS1_3repE0EEENS1_30default_config_static_selectorELNS0_4arch9wavefront6targetE1EEEvS13_
                                        ; -- End function
	.set _ZN7rocprim17ROCPRIM_400000_NS6detail17trampoline_kernelINS0_13select_configILj256ELj13ELNS0_17block_load_methodE3ELS4_3ELS4_3ELNS0_20block_scan_algorithmE0ELj4294967295EEENS1_25partition_config_selectorILNS1_17partition_subalgoE4EjNS0_10empty_typeEbEEZZNS1_14partition_implILS8_4ELb0ES6_15HIP_vector_typeIjLj2EENS0_17counting_iteratorIjlEEPS9_SG_NS0_5tupleIJPjSI_NS0_16reverse_iteratorISI_EEEEENSH_IJSG_SG_SG_EEES9_SI_JZNS1_25segmented_radix_sort_implINS0_14default_configELb1EPK12hip_bfloat16PSP_PKlPlN2at6native12_GLOBAL__N_18offset_tEEE10hipError_tPvRmT1_PNSt15iterator_traitsIS13_E10value_typeET2_T3_PNS14_IS19_E10value_typeET4_jRbjT5_S1F_jjP12ihipStream_tbEUljE_ZNSN_ISO_Lb1ESR_SS_SU_SV_SZ_EES10_S11_S12_S13_S17_S18_S19_S1C_S1D_jS1E_jS1F_S1F_jjS1H_bEUljE0_EEES10_S11_S12_S19_S1D_S1F_T6_T7_T9_mT8_S1H_bDpT10_ENKUlT_T0_E_clISt17integral_constantIbLb0EES1V_EEDaS1Q_S1R_EUlS1Q_E_NS1_11comp_targetILNS1_3genE9ELNS1_11target_archE1100ELNS1_3gpuE3ELNS1_3repE0EEENS1_30default_config_static_selectorELNS0_4arch9wavefront6targetE1EEEvS13_.num_vgpr, 0
	.set _ZN7rocprim17ROCPRIM_400000_NS6detail17trampoline_kernelINS0_13select_configILj256ELj13ELNS0_17block_load_methodE3ELS4_3ELS4_3ELNS0_20block_scan_algorithmE0ELj4294967295EEENS1_25partition_config_selectorILNS1_17partition_subalgoE4EjNS0_10empty_typeEbEEZZNS1_14partition_implILS8_4ELb0ES6_15HIP_vector_typeIjLj2EENS0_17counting_iteratorIjlEEPS9_SG_NS0_5tupleIJPjSI_NS0_16reverse_iteratorISI_EEEEENSH_IJSG_SG_SG_EEES9_SI_JZNS1_25segmented_radix_sort_implINS0_14default_configELb1EPK12hip_bfloat16PSP_PKlPlN2at6native12_GLOBAL__N_18offset_tEEE10hipError_tPvRmT1_PNSt15iterator_traitsIS13_E10value_typeET2_T3_PNS14_IS19_E10value_typeET4_jRbjT5_S1F_jjP12ihipStream_tbEUljE_ZNSN_ISO_Lb1ESR_SS_SU_SV_SZ_EES10_S11_S12_S13_S17_S18_S19_S1C_S1D_jS1E_jS1F_S1F_jjS1H_bEUljE0_EEES10_S11_S12_S19_S1D_S1F_T6_T7_T9_mT8_S1H_bDpT10_ENKUlT_T0_E_clISt17integral_constantIbLb0EES1V_EEDaS1Q_S1R_EUlS1Q_E_NS1_11comp_targetILNS1_3genE9ELNS1_11target_archE1100ELNS1_3gpuE3ELNS1_3repE0EEENS1_30default_config_static_selectorELNS0_4arch9wavefront6targetE1EEEvS13_.num_agpr, 0
	.set _ZN7rocprim17ROCPRIM_400000_NS6detail17trampoline_kernelINS0_13select_configILj256ELj13ELNS0_17block_load_methodE3ELS4_3ELS4_3ELNS0_20block_scan_algorithmE0ELj4294967295EEENS1_25partition_config_selectorILNS1_17partition_subalgoE4EjNS0_10empty_typeEbEEZZNS1_14partition_implILS8_4ELb0ES6_15HIP_vector_typeIjLj2EENS0_17counting_iteratorIjlEEPS9_SG_NS0_5tupleIJPjSI_NS0_16reverse_iteratorISI_EEEEENSH_IJSG_SG_SG_EEES9_SI_JZNS1_25segmented_radix_sort_implINS0_14default_configELb1EPK12hip_bfloat16PSP_PKlPlN2at6native12_GLOBAL__N_18offset_tEEE10hipError_tPvRmT1_PNSt15iterator_traitsIS13_E10value_typeET2_T3_PNS14_IS19_E10value_typeET4_jRbjT5_S1F_jjP12ihipStream_tbEUljE_ZNSN_ISO_Lb1ESR_SS_SU_SV_SZ_EES10_S11_S12_S13_S17_S18_S19_S1C_S1D_jS1E_jS1F_S1F_jjS1H_bEUljE0_EEES10_S11_S12_S19_S1D_S1F_T6_T7_T9_mT8_S1H_bDpT10_ENKUlT_T0_E_clISt17integral_constantIbLb0EES1V_EEDaS1Q_S1R_EUlS1Q_E_NS1_11comp_targetILNS1_3genE9ELNS1_11target_archE1100ELNS1_3gpuE3ELNS1_3repE0EEENS1_30default_config_static_selectorELNS0_4arch9wavefront6targetE1EEEvS13_.numbered_sgpr, 0
	.set _ZN7rocprim17ROCPRIM_400000_NS6detail17trampoline_kernelINS0_13select_configILj256ELj13ELNS0_17block_load_methodE3ELS4_3ELS4_3ELNS0_20block_scan_algorithmE0ELj4294967295EEENS1_25partition_config_selectorILNS1_17partition_subalgoE4EjNS0_10empty_typeEbEEZZNS1_14partition_implILS8_4ELb0ES6_15HIP_vector_typeIjLj2EENS0_17counting_iteratorIjlEEPS9_SG_NS0_5tupleIJPjSI_NS0_16reverse_iteratorISI_EEEEENSH_IJSG_SG_SG_EEES9_SI_JZNS1_25segmented_radix_sort_implINS0_14default_configELb1EPK12hip_bfloat16PSP_PKlPlN2at6native12_GLOBAL__N_18offset_tEEE10hipError_tPvRmT1_PNSt15iterator_traitsIS13_E10value_typeET2_T3_PNS14_IS19_E10value_typeET4_jRbjT5_S1F_jjP12ihipStream_tbEUljE_ZNSN_ISO_Lb1ESR_SS_SU_SV_SZ_EES10_S11_S12_S13_S17_S18_S19_S1C_S1D_jS1E_jS1F_S1F_jjS1H_bEUljE0_EEES10_S11_S12_S19_S1D_S1F_T6_T7_T9_mT8_S1H_bDpT10_ENKUlT_T0_E_clISt17integral_constantIbLb0EES1V_EEDaS1Q_S1R_EUlS1Q_E_NS1_11comp_targetILNS1_3genE9ELNS1_11target_archE1100ELNS1_3gpuE3ELNS1_3repE0EEENS1_30default_config_static_selectorELNS0_4arch9wavefront6targetE1EEEvS13_.num_named_barrier, 0
	.set _ZN7rocprim17ROCPRIM_400000_NS6detail17trampoline_kernelINS0_13select_configILj256ELj13ELNS0_17block_load_methodE3ELS4_3ELS4_3ELNS0_20block_scan_algorithmE0ELj4294967295EEENS1_25partition_config_selectorILNS1_17partition_subalgoE4EjNS0_10empty_typeEbEEZZNS1_14partition_implILS8_4ELb0ES6_15HIP_vector_typeIjLj2EENS0_17counting_iteratorIjlEEPS9_SG_NS0_5tupleIJPjSI_NS0_16reverse_iteratorISI_EEEEENSH_IJSG_SG_SG_EEES9_SI_JZNS1_25segmented_radix_sort_implINS0_14default_configELb1EPK12hip_bfloat16PSP_PKlPlN2at6native12_GLOBAL__N_18offset_tEEE10hipError_tPvRmT1_PNSt15iterator_traitsIS13_E10value_typeET2_T3_PNS14_IS19_E10value_typeET4_jRbjT5_S1F_jjP12ihipStream_tbEUljE_ZNSN_ISO_Lb1ESR_SS_SU_SV_SZ_EES10_S11_S12_S13_S17_S18_S19_S1C_S1D_jS1E_jS1F_S1F_jjS1H_bEUljE0_EEES10_S11_S12_S19_S1D_S1F_T6_T7_T9_mT8_S1H_bDpT10_ENKUlT_T0_E_clISt17integral_constantIbLb0EES1V_EEDaS1Q_S1R_EUlS1Q_E_NS1_11comp_targetILNS1_3genE9ELNS1_11target_archE1100ELNS1_3gpuE3ELNS1_3repE0EEENS1_30default_config_static_selectorELNS0_4arch9wavefront6targetE1EEEvS13_.private_seg_size, 0
	.set _ZN7rocprim17ROCPRIM_400000_NS6detail17trampoline_kernelINS0_13select_configILj256ELj13ELNS0_17block_load_methodE3ELS4_3ELS4_3ELNS0_20block_scan_algorithmE0ELj4294967295EEENS1_25partition_config_selectorILNS1_17partition_subalgoE4EjNS0_10empty_typeEbEEZZNS1_14partition_implILS8_4ELb0ES6_15HIP_vector_typeIjLj2EENS0_17counting_iteratorIjlEEPS9_SG_NS0_5tupleIJPjSI_NS0_16reverse_iteratorISI_EEEEENSH_IJSG_SG_SG_EEES9_SI_JZNS1_25segmented_radix_sort_implINS0_14default_configELb1EPK12hip_bfloat16PSP_PKlPlN2at6native12_GLOBAL__N_18offset_tEEE10hipError_tPvRmT1_PNSt15iterator_traitsIS13_E10value_typeET2_T3_PNS14_IS19_E10value_typeET4_jRbjT5_S1F_jjP12ihipStream_tbEUljE_ZNSN_ISO_Lb1ESR_SS_SU_SV_SZ_EES10_S11_S12_S13_S17_S18_S19_S1C_S1D_jS1E_jS1F_S1F_jjS1H_bEUljE0_EEES10_S11_S12_S19_S1D_S1F_T6_T7_T9_mT8_S1H_bDpT10_ENKUlT_T0_E_clISt17integral_constantIbLb0EES1V_EEDaS1Q_S1R_EUlS1Q_E_NS1_11comp_targetILNS1_3genE9ELNS1_11target_archE1100ELNS1_3gpuE3ELNS1_3repE0EEENS1_30default_config_static_selectorELNS0_4arch9wavefront6targetE1EEEvS13_.uses_vcc, 0
	.set _ZN7rocprim17ROCPRIM_400000_NS6detail17trampoline_kernelINS0_13select_configILj256ELj13ELNS0_17block_load_methodE3ELS4_3ELS4_3ELNS0_20block_scan_algorithmE0ELj4294967295EEENS1_25partition_config_selectorILNS1_17partition_subalgoE4EjNS0_10empty_typeEbEEZZNS1_14partition_implILS8_4ELb0ES6_15HIP_vector_typeIjLj2EENS0_17counting_iteratorIjlEEPS9_SG_NS0_5tupleIJPjSI_NS0_16reverse_iteratorISI_EEEEENSH_IJSG_SG_SG_EEES9_SI_JZNS1_25segmented_radix_sort_implINS0_14default_configELb1EPK12hip_bfloat16PSP_PKlPlN2at6native12_GLOBAL__N_18offset_tEEE10hipError_tPvRmT1_PNSt15iterator_traitsIS13_E10value_typeET2_T3_PNS14_IS19_E10value_typeET4_jRbjT5_S1F_jjP12ihipStream_tbEUljE_ZNSN_ISO_Lb1ESR_SS_SU_SV_SZ_EES10_S11_S12_S13_S17_S18_S19_S1C_S1D_jS1E_jS1F_S1F_jjS1H_bEUljE0_EEES10_S11_S12_S19_S1D_S1F_T6_T7_T9_mT8_S1H_bDpT10_ENKUlT_T0_E_clISt17integral_constantIbLb0EES1V_EEDaS1Q_S1R_EUlS1Q_E_NS1_11comp_targetILNS1_3genE9ELNS1_11target_archE1100ELNS1_3gpuE3ELNS1_3repE0EEENS1_30default_config_static_selectorELNS0_4arch9wavefront6targetE1EEEvS13_.uses_flat_scratch, 0
	.set _ZN7rocprim17ROCPRIM_400000_NS6detail17trampoline_kernelINS0_13select_configILj256ELj13ELNS0_17block_load_methodE3ELS4_3ELS4_3ELNS0_20block_scan_algorithmE0ELj4294967295EEENS1_25partition_config_selectorILNS1_17partition_subalgoE4EjNS0_10empty_typeEbEEZZNS1_14partition_implILS8_4ELb0ES6_15HIP_vector_typeIjLj2EENS0_17counting_iteratorIjlEEPS9_SG_NS0_5tupleIJPjSI_NS0_16reverse_iteratorISI_EEEEENSH_IJSG_SG_SG_EEES9_SI_JZNS1_25segmented_radix_sort_implINS0_14default_configELb1EPK12hip_bfloat16PSP_PKlPlN2at6native12_GLOBAL__N_18offset_tEEE10hipError_tPvRmT1_PNSt15iterator_traitsIS13_E10value_typeET2_T3_PNS14_IS19_E10value_typeET4_jRbjT5_S1F_jjP12ihipStream_tbEUljE_ZNSN_ISO_Lb1ESR_SS_SU_SV_SZ_EES10_S11_S12_S13_S17_S18_S19_S1C_S1D_jS1E_jS1F_S1F_jjS1H_bEUljE0_EEES10_S11_S12_S19_S1D_S1F_T6_T7_T9_mT8_S1H_bDpT10_ENKUlT_T0_E_clISt17integral_constantIbLb0EES1V_EEDaS1Q_S1R_EUlS1Q_E_NS1_11comp_targetILNS1_3genE9ELNS1_11target_archE1100ELNS1_3gpuE3ELNS1_3repE0EEENS1_30default_config_static_selectorELNS0_4arch9wavefront6targetE1EEEvS13_.has_dyn_sized_stack, 0
	.set _ZN7rocprim17ROCPRIM_400000_NS6detail17trampoline_kernelINS0_13select_configILj256ELj13ELNS0_17block_load_methodE3ELS4_3ELS4_3ELNS0_20block_scan_algorithmE0ELj4294967295EEENS1_25partition_config_selectorILNS1_17partition_subalgoE4EjNS0_10empty_typeEbEEZZNS1_14partition_implILS8_4ELb0ES6_15HIP_vector_typeIjLj2EENS0_17counting_iteratorIjlEEPS9_SG_NS0_5tupleIJPjSI_NS0_16reverse_iteratorISI_EEEEENSH_IJSG_SG_SG_EEES9_SI_JZNS1_25segmented_radix_sort_implINS0_14default_configELb1EPK12hip_bfloat16PSP_PKlPlN2at6native12_GLOBAL__N_18offset_tEEE10hipError_tPvRmT1_PNSt15iterator_traitsIS13_E10value_typeET2_T3_PNS14_IS19_E10value_typeET4_jRbjT5_S1F_jjP12ihipStream_tbEUljE_ZNSN_ISO_Lb1ESR_SS_SU_SV_SZ_EES10_S11_S12_S13_S17_S18_S19_S1C_S1D_jS1E_jS1F_S1F_jjS1H_bEUljE0_EEES10_S11_S12_S19_S1D_S1F_T6_T7_T9_mT8_S1H_bDpT10_ENKUlT_T0_E_clISt17integral_constantIbLb0EES1V_EEDaS1Q_S1R_EUlS1Q_E_NS1_11comp_targetILNS1_3genE9ELNS1_11target_archE1100ELNS1_3gpuE3ELNS1_3repE0EEENS1_30default_config_static_selectorELNS0_4arch9wavefront6targetE1EEEvS13_.has_recursion, 0
	.set _ZN7rocprim17ROCPRIM_400000_NS6detail17trampoline_kernelINS0_13select_configILj256ELj13ELNS0_17block_load_methodE3ELS4_3ELS4_3ELNS0_20block_scan_algorithmE0ELj4294967295EEENS1_25partition_config_selectorILNS1_17partition_subalgoE4EjNS0_10empty_typeEbEEZZNS1_14partition_implILS8_4ELb0ES6_15HIP_vector_typeIjLj2EENS0_17counting_iteratorIjlEEPS9_SG_NS0_5tupleIJPjSI_NS0_16reverse_iteratorISI_EEEEENSH_IJSG_SG_SG_EEES9_SI_JZNS1_25segmented_radix_sort_implINS0_14default_configELb1EPK12hip_bfloat16PSP_PKlPlN2at6native12_GLOBAL__N_18offset_tEEE10hipError_tPvRmT1_PNSt15iterator_traitsIS13_E10value_typeET2_T3_PNS14_IS19_E10value_typeET4_jRbjT5_S1F_jjP12ihipStream_tbEUljE_ZNSN_ISO_Lb1ESR_SS_SU_SV_SZ_EES10_S11_S12_S13_S17_S18_S19_S1C_S1D_jS1E_jS1F_S1F_jjS1H_bEUljE0_EEES10_S11_S12_S19_S1D_S1F_T6_T7_T9_mT8_S1H_bDpT10_ENKUlT_T0_E_clISt17integral_constantIbLb0EES1V_EEDaS1Q_S1R_EUlS1Q_E_NS1_11comp_targetILNS1_3genE9ELNS1_11target_archE1100ELNS1_3gpuE3ELNS1_3repE0EEENS1_30default_config_static_selectorELNS0_4arch9wavefront6targetE1EEEvS13_.has_indirect_call, 0
	.section	.AMDGPU.csdata,"",@progbits
; Kernel info:
; codeLenInByte = 0
; TotalNumSgprs: 4
; NumVgprs: 0
; ScratchSize: 0
; MemoryBound: 0
; FloatMode: 240
; IeeeMode: 1
; LDSByteSize: 0 bytes/workgroup (compile time only)
; SGPRBlocks: 0
; VGPRBlocks: 0
; NumSGPRsForWavesPerEU: 4
; NumVGPRsForWavesPerEU: 1
; Occupancy: 10
; WaveLimiterHint : 0
; COMPUTE_PGM_RSRC2:SCRATCH_EN: 0
; COMPUTE_PGM_RSRC2:USER_SGPR: 6
; COMPUTE_PGM_RSRC2:TRAP_HANDLER: 0
; COMPUTE_PGM_RSRC2:TGID_X_EN: 1
; COMPUTE_PGM_RSRC2:TGID_Y_EN: 0
; COMPUTE_PGM_RSRC2:TGID_Z_EN: 0
; COMPUTE_PGM_RSRC2:TIDIG_COMP_CNT: 0
	.section	.text._ZN7rocprim17ROCPRIM_400000_NS6detail17trampoline_kernelINS0_13select_configILj256ELj13ELNS0_17block_load_methodE3ELS4_3ELS4_3ELNS0_20block_scan_algorithmE0ELj4294967295EEENS1_25partition_config_selectorILNS1_17partition_subalgoE4EjNS0_10empty_typeEbEEZZNS1_14partition_implILS8_4ELb0ES6_15HIP_vector_typeIjLj2EENS0_17counting_iteratorIjlEEPS9_SG_NS0_5tupleIJPjSI_NS0_16reverse_iteratorISI_EEEEENSH_IJSG_SG_SG_EEES9_SI_JZNS1_25segmented_radix_sort_implINS0_14default_configELb1EPK12hip_bfloat16PSP_PKlPlN2at6native12_GLOBAL__N_18offset_tEEE10hipError_tPvRmT1_PNSt15iterator_traitsIS13_E10value_typeET2_T3_PNS14_IS19_E10value_typeET4_jRbjT5_S1F_jjP12ihipStream_tbEUljE_ZNSN_ISO_Lb1ESR_SS_SU_SV_SZ_EES10_S11_S12_S13_S17_S18_S19_S1C_S1D_jS1E_jS1F_S1F_jjS1H_bEUljE0_EEES10_S11_S12_S19_S1D_S1F_T6_T7_T9_mT8_S1H_bDpT10_ENKUlT_T0_E_clISt17integral_constantIbLb0EES1V_EEDaS1Q_S1R_EUlS1Q_E_NS1_11comp_targetILNS1_3genE8ELNS1_11target_archE1030ELNS1_3gpuE2ELNS1_3repE0EEENS1_30default_config_static_selectorELNS0_4arch9wavefront6targetE1EEEvS13_,"axG",@progbits,_ZN7rocprim17ROCPRIM_400000_NS6detail17trampoline_kernelINS0_13select_configILj256ELj13ELNS0_17block_load_methodE3ELS4_3ELS4_3ELNS0_20block_scan_algorithmE0ELj4294967295EEENS1_25partition_config_selectorILNS1_17partition_subalgoE4EjNS0_10empty_typeEbEEZZNS1_14partition_implILS8_4ELb0ES6_15HIP_vector_typeIjLj2EENS0_17counting_iteratorIjlEEPS9_SG_NS0_5tupleIJPjSI_NS0_16reverse_iteratorISI_EEEEENSH_IJSG_SG_SG_EEES9_SI_JZNS1_25segmented_radix_sort_implINS0_14default_configELb1EPK12hip_bfloat16PSP_PKlPlN2at6native12_GLOBAL__N_18offset_tEEE10hipError_tPvRmT1_PNSt15iterator_traitsIS13_E10value_typeET2_T3_PNS14_IS19_E10value_typeET4_jRbjT5_S1F_jjP12ihipStream_tbEUljE_ZNSN_ISO_Lb1ESR_SS_SU_SV_SZ_EES10_S11_S12_S13_S17_S18_S19_S1C_S1D_jS1E_jS1F_S1F_jjS1H_bEUljE0_EEES10_S11_S12_S19_S1D_S1F_T6_T7_T9_mT8_S1H_bDpT10_ENKUlT_T0_E_clISt17integral_constantIbLb0EES1V_EEDaS1Q_S1R_EUlS1Q_E_NS1_11comp_targetILNS1_3genE8ELNS1_11target_archE1030ELNS1_3gpuE2ELNS1_3repE0EEENS1_30default_config_static_selectorELNS0_4arch9wavefront6targetE1EEEvS13_,comdat
	.globl	_ZN7rocprim17ROCPRIM_400000_NS6detail17trampoline_kernelINS0_13select_configILj256ELj13ELNS0_17block_load_methodE3ELS4_3ELS4_3ELNS0_20block_scan_algorithmE0ELj4294967295EEENS1_25partition_config_selectorILNS1_17partition_subalgoE4EjNS0_10empty_typeEbEEZZNS1_14partition_implILS8_4ELb0ES6_15HIP_vector_typeIjLj2EENS0_17counting_iteratorIjlEEPS9_SG_NS0_5tupleIJPjSI_NS0_16reverse_iteratorISI_EEEEENSH_IJSG_SG_SG_EEES9_SI_JZNS1_25segmented_radix_sort_implINS0_14default_configELb1EPK12hip_bfloat16PSP_PKlPlN2at6native12_GLOBAL__N_18offset_tEEE10hipError_tPvRmT1_PNSt15iterator_traitsIS13_E10value_typeET2_T3_PNS14_IS19_E10value_typeET4_jRbjT5_S1F_jjP12ihipStream_tbEUljE_ZNSN_ISO_Lb1ESR_SS_SU_SV_SZ_EES10_S11_S12_S13_S17_S18_S19_S1C_S1D_jS1E_jS1F_S1F_jjS1H_bEUljE0_EEES10_S11_S12_S19_S1D_S1F_T6_T7_T9_mT8_S1H_bDpT10_ENKUlT_T0_E_clISt17integral_constantIbLb0EES1V_EEDaS1Q_S1R_EUlS1Q_E_NS1_11comp_targetILNS1_3genE8ELNS1_11target_archE1030ELNS1_3gpuE2ELNS1_3repE0EEENS1_30default_config_static_selectorELNS0_4arch9wavefront6targetE1EEEvS13_ ; -- Begin function _ZN7rocprim17ROCPRIM_400000_NS6detail17trampoline_kernelINS0_13select_configILj256ELj13ELNS0_17block_load_methodE3ELS4_3ELS4_3ELNS0_20block_scan_algorithmE0ELj4294967295EEENS1_25partition_config_selectorILNS1_17partition_subalgoE4EjNS0_10empty_typeEbEEZZNS1_14partition_implILS8_4ELb0ES6_15HIP_vector_typeIjLj2EENS0_17counting_iteratorIjlEEPS9_SG_NS0_5tupleIJPjSI_NS0_16reverse_iteratorISI_EEEEENSH_IJSG_SG_SG_EEES9_SI_JZNS1_25segmented_radix_sort_implINS0_14default_configELb1EPK12hip_bfloat16PSP_PKlPlN2at6native12_GLOBAL__N_18offset_tEEE10hipError_tPvRmT1_PNSt15iterator_traitsIS13_E10value_typeET2_T3_PNS14_IS19_E10value_typeET4_jRbjT5_S1F_jjP12ihipStream_tbEUljE_ZNSN_ISO_Lb1ESR_SS_SU_SV_SZ_EES10_S11_S12_S13_S17_S18_S19_S1C_S1D_jS1E_jS1F_S1F_jjS1H_bEUljE0_EEES10_S11_S12_S19_S1D_S1F_T6_T7_T9_mT8_S1H_bDpT10_ENKUlT_T0_E_clISt17integral_constantIbLb0EES1V_EEDaS1Q_S1R_EUlS1Q_E_NS1_11comp_targetILNS1_3genE8ELNS1_11target_archE1030ELNS1_3gpuE2ELNS1_3repE0EEENS1_30default_config_static_selectorELNS0_4arch9wavefront6targetE1EEEvS13_
	.p2align	8
	.type	_ZN7rocprim17ROCPRIM_400000_NS6detail17trampoline_kernelINS0_13select_configILj256ELj13ELNS0_17block_load_methodE3ELS4_3ELS4_3ELNS0_20block_scan_algorithmE0ELj4294967295EEENS1_25partition_config_selectorILNS1_17partition_subalgoE4EjNS0_10empty_typeEbEEZZNS1_14partition_implILS8_4ELb0ES6_15HIP_vector_typeIjLj2EENS0_17counting_iteratorIjlEEPS9_SG_NS0_5tupleIJPjSI_NS0_16reverse_iteratorISI_EEEEENSH_IJSG_SG_SG_EEES9_SI_JZNS1_25segmented_radix_sort_implINS0_14default_configELb1EPK12hip_bfloat16PSP_PKlPlN2at6native12_GLOBAL__N_18offset_tEEE10hipError_tPvRmT1_PNSt15iterator_traitsIS13_E10value_typeET2_T3_PNS14_IS19_E10value_typeET4_jRbjT5_S1F_jjP12ihipStream_tbEUljE_ZNSN_ISO_Lb1ESR_SS_SU_SV_SZ_EES10_S11_S12_S13_S17_S18_S19_S1C_S1D_jS1E_jS1F_S1F_jjS1H_bEUljE0_EEES10_S11_S12_S19_S1D_S1F_T6_T7_T9_mT8_S1H_bDpT10_ENKUlT_T0_E_clISt17integral_constantIbLb0EES1V_EEDaS1Q_S1R_EUlS1Q_E_NS1_11comp_targetILNS1_3genE8ELNS1_11target_archE1030ELNS1_3gpuE2ELNS1_3repE0EEENS1_30default_config_static_selectorELNS0_4arch9wavefront6targetE1EEEvS13_,@function
_ZN7rocprim17ROCPRIM_400000_NS6detail17trampoline_kernelINS0_13select_configILj256ELj13ELNS0_17block_load_methodE3ELS4_3ELS4_3ELNS0_20block_scan_algorithmE0ELj4294967295EEENS1_25partition_config_selectorILNS1_17partition_subalgoE4EjNS0_10empty_typeEbEEZZNS1_14partition_implILS8_4ELb0ES6_15HIP_vector_typeIjLj2EENS0_17counting_iteratorIjlEEPS9_SG_NS0_5tupleIJPjSI_NS0_16reverse_iteratorISI_EEEEENSH_IJSG_SG_SG_EEES9_SI_JZNS1_25segmented_radix_sort_implINS0_14default_configELb1EPK12hip_bfloat16PSP_PKlPlN2at6native12_GLOBAL__N_18offset_tEEE10hipError_tPvRmT1_PNSt15iterator_traitsIS13_E10value_typeET2_T3_PNS14_IS19_E10value_typeET4_jRbjT5_S1F_jjP12ihipStream_tbEUljE_ZNSN_ISO_Lb1ESR_SS_SU_SV_SZ_EES10_S11_S12_S13_S17_S18_S19_S1C_S1D_jS1E_jS1F_S1F_jjS1H_bEUljE0_EEES10_S11_S12_S19_S1D_S1F_T6_T7_T9_mT8_S1H_bDpT10_ENKUlT_T0_E_clISt17integral_constantIbLb0EES1V_EEDaS1Q_S1R_EUlS1Q_E_NS1_11comp_targetILNS1_3genE8ELNS1_11target_archE1030ELNS1_3gpuE2ELNS1_3repE0EEENS1_30default_config_static_selectorELNS0_4arch9wavefront6targetE1EEEvS13_: ; @_ZN7rocprim17ROCPRIM_400000_NS6detail17trampoline_kernelINS0_13select_configILj256ELj13ELNS0_17block_load_methodE3ELS4_3ELS4_3ELNS0_20block_scan_algorithmE0ELj4294967295EEENS1_25partition_config_selectorILNS1_17partition_subalgoE4EjNS0_10empty_typeEbEEZZNS1_14partition_implILS8_4ELb0ES6_15HIP_vector_typeIjLj2EENS0_17counting_iteratorIjlEEPS9_SG_NS0_5tupleIJPjSI_NS0_16reverse_iteratorISI_EEEEENSH_IJSG_SG_SG_EEES9_SI_JZNS1_25segmented_radix_sort_implINS0_14default_configELb1EPK12hip_bfloat16PSP_PKlPlN2at6native12_GLOBAL__N_18offset_tEEE10hipError_tPvRmT1_PNSt15iterator_traitsIS13_E10value_typeET2_T3_PNS14_IS19_E10value_typeET4_jRbjT5_S1F_jjP12ihipStream_tbEUljE_ZNSN_ISO_Lb1ESR_SS_SU_SV_SZ_EES10_S11_S12_S13_S17_S18_S19_S1C_S1D_jS1E_jS1F_S1F_jjS1H_bEUljE0_EEES10_S11_S12_S19_S1D_S1F_T6_T7_T9_mT8_S1H_bDpT10_ENKUlT_T0_E_clISt17integral_constantIbLb0EES1V_EEDaS1Q_S1R_EUlS1Q_E_NS1_11comp_targetILNS1_3genE8ELNS1_11target_archE1030ELNS1_3gpuE2ELNS1_3repE0EEENS1_30default_config_static_selectorELNS0_4arch9wavefront6targetE1EEEvS13_
; %bb.0:
	.section	.rodata,"a",@progbits
	.p2align	6, 0x0
	.amdhsa_kernel _ZN7rocprim17ROCPRIM_400000_NS6detail17trampoline_kernelINS0_13select_configILj256ELj13ELNS0_17block_load_methodE3ELS4_3ELS4_3ELNS0_20block_scan_algorithmE0ELj4294967295EEENS1_25partition_config_selectorILNS1_17partition_subalgoE4EjNS0_10empty_typeEbEEZZNS1_14partition_implILS8_4ELb0ES6_15HIP_vector_typeIjLj2EENS0_17counting_iteratorIjlEEPS9_SG_NS0_5tupleIJPjSI_NS0_16reverse_iteratorISI_EEEEENSH_IJSG_SG_SG_EEES9_SI_JZNS1_25segmented_radix_sort_implINS0_14default_configELb1EPK12hip_bfloat16PSP_PKlPlN2at6native12_GLOBAL__N_18offset_tEEE10hipError_tPvRmT1_PNSt15iterator_traitsIS13_E10value_typeET2_T3_PNS14_IS19_E10value_typeET4_jRbjT5_S1F_jjP12ihipStream_tbEUljE_ZNSN_ISO_Lb1ESR_SS_SU_SV_SZ_EES10_S11_S12_S13_S17_S18_S19_S1C_S1D_jS1E_jS1F_S1F_jjS1H_bEUljE0_EEES10_S11_S12_S19_S1D_S1F_T6_T7_T9_mT8_S1H_bDpT10_ENKUlT_T0_E_clISt17integral_constantIbLb0EES1V_EEDaS1Q_S1R_EUlS1Q_E_NS1_11comp_targetILNS1_3genE8ELNS1_11target_archE1030ELNS1_3gpuE2ELNS1_3repE0EEENS1_30default_config_static_selectorELNS0_4arch9wavefront6targetE1EEEvS13_
		.amdhsa_group_segment_fixed_size 0
		.amdhsa_private_segment_fixed_size 0
		.amdhsa_kernarg_size 176
		.amdhsa_user_sgpr_count 6
		.amdhsa_user_sgpr_private_segment_buffer 1
		.amdhsa_user_sgpr_dispatch_ptr 0
		.amdhsa_user_sgpr_queue_ptr 0
		.amdhsa_user_sgpr_kernarg_segment_ptr 1
		.amdhsa_user_sgpr_dispatch_id 0
		.amdhsa_user_sgpr_flat_scratch_init 0
		.amdhsa_user_sgpr_private_segment_size 0
		.amdhsa_uses_dynamic_stack 0
		.amdhsa_system_sgpr_private_segment_wavefront_offset 0
		.amdhsa_system_sgpr_workgroup_id_x 1
		.amdhsa_system_sgpr_workgroup_id_y 0
		.amdhsa_system_sgpr_workgroup_id_z 0
		.amdhsa_system_sgpr_workgroup_info 0
		.amdhsa_system_vgpr_workitem_id 0
		.amdhsa_next_free_vgpr 1
		.amdhsa_next_free_sgpr 0
		.amdhsa_reserve_vcc 0
		.amdhsa_reserve_flat_scratch 0
		.amdhsa_float_round_mode_32 0
		.amdhsa_float_round_mode_16_64 0
		.amdhsa_float_denorm_mode_32 3
		.amdhsa_float_denorm_mode_16_64 3
		.amdhsa_dx10_clamp 1
		.amdhsa_ieee_mode 1
		.amdhsa_fp16_overflow 0
		.amdhsa_exception_fp_ieee_invalid_op 0
		.amdhsa_exception_fp_denorm_src 0
		.amdhsa_exception_fp_ieee_div_zero 0
		.amdhsa_exception_fp_ieee_overflow 0
		.amdhsa_exception_fp_ieee_underflow 0
		.amdhsa_exception_fp_ieee_inexact 0
		.amdhsa_exception_int_div_zero 0
	.end_amdhsa_kernel
	.section	.text._ZN7rocprim17ROCPRIM_400000_NS6detail17trampoline_kernelINS0_13select_configILj256ELj13ELNS0_17block_load_methodE3ELS4_3ELS4_3ELNS0_20block_scan_algorithmE0ELj4294967295EEENS1_25partition_config_selectorILNS1_17partition_subalgoE4EjNS0_10empty_typeEbEEZZNS1_14partition_implILS8_4ELb0ES6_15HIP_vector_typeIjLj2EENS0_17counting_iteratorIjlEEPS9_SG_NS0_5tupleIJPjSI_NS0_16reverse_iteratorISI_EEEEENSH_IJSG_SG_SG_EEES9_SI_JZNS1_25segmented_radix_sort_implINS0_14default_configELb1EPK12hip_bfloat16PSP_PKlPlN2at6native12_GLOBAL__N_18offset_tEEE10hipError_tPvRmT1_PNSt15iterator_traitsIS13_E10value_typeET2_T3_PNS14_IS19_E10value_typeET4_jRbjT5_S1F_jjP12ihipStream_tbEUljE_ZNSN_ISO_Lb1ESR_SS_SU_SV_SZ_EES10_S11_S12_S13_S17_S18_S19_S1C_S1D_jS1E_jS1F_S1F_jjS1H_bEUljE0_EEES10_S11_S12_S19_S1D_S1F_T6_T7_T9_mT8_S1H_bDpT10_ENKUlT_T0_E_clISt17integral_constantIbLb0EES1V_EEDaS1Q_S1R_EUlS1Q_E_NS1_11comp_targetILNS1_3genE8ELNS1_11target_archE1030ELNS1_3gpuE2ELNS1_3repE0EEENS1_30default_config_static_selectorELNS0_4arch9wavefront6targetE1EEEvS13_,"axG",@progbits,_ZN7rocprim17ROCPRIM_400000_NS6detail17trampoline_kernelINS0_13select_configILj256ELj13ELNS0_17block_load_methodE3ELS4_3ELS4_3ELNS0_20block_scan_algorithmE0ELj4294967295EEENS1_25partition_config_selectorILNS1_17partition_subalgoE4EjNS0_10empty_typeEbEEZZNS1_14partition_implILS8_4ELb0ES6_15HIP_vector_typeIjLj2EENS0_17counting_iteratorIjlEEPS9_SG_NS0_5tupleIJPjSI_NS0_16reverse_iteratorISI_EEEEENSH_IJSG_SG_SG_EEES9_SI_JZNS1_25segmented_radix_sort_implINS0_14default_configELb1EPK12hip_bfloat16PSP_PKlPlN2at6native12_GLOBAL__N_18offset_tEEE10hipError_tPvRmT1_PNSt15iterator_traitsIS13_E10value_typeET2_T3_PNS14_IS19_E10value_typeET4_jRbjT5_S1F_jjP12ihipStream_tbEUljE_ZNSN_ISO_Lb1ESR_SS_SU_SV_SZ_EES10_S11_S12_S13_S17_S18_S19_S1C_S1D_jS1E_jS1F_S1F_jjS1H_bEUljE0_EEES10_S11_S12_S19_S1D_S1F_T6_T7_T9_mT8_S1H_bDpT10_ENKUlT_T0_E_clISt17integral_constantIbLb0EES1V_EEDaS1Q_S1R_EUlS1Q_E_NS1_11comp_targetILNS1_3genE8ELNS1_11target_archE1030ELNS1_3gpuE2ELNS1_3repE0EEENS1_30default_config_static_selectorELNS0_4arch9wavefront6targetE1EEEvS13_,comdat
.Lfunc_end1889:
	.size	_ZN7rocprim17ROCPRIM_400000_NS6detail17trampoline_kernelINS0_13select_configILj256ELj13ELNS0_17block_load_methodE3ELS4_3ELS4_3ELNS0_20block_scan_algorithmE0ELj4294967295EEENS1_25partition_config_selectorILNS1_17partition_subalgoE4EjNS0_10empty_typeEbEEZZNS1_14partition_implILS8_4ELb0ES6_15HIP_vector_typeIjLj2EENS0_17counting_iteratorIjlEEPS9_SG_NS0_5tupleIJPjSI_NS0_16reverse_iteratorISI_EEEEENSH_IJSG_SG_SG_EEES9_SI_JZNS1_25segmented_radix_sort_implINS0_14default_configELb1EPK12hip_bfloat16PSP_PKlPlN2at6native12_GLOBAL__N_18offset_tEEE10hipError_tPvRmT1_PNSt15iterator_traitsIS13_E10value_typeET2_T3_PNS14_IS19_E10value_typeET4_jRbjT5_S1F_jjP12ihipStream_tbEUljE_ZNSN_ISO_Lb1ESR_SS_SU_SV_SZ_EES10_S11_S12_S13_S17_S18_S19_S1C_S1D_jS1E_jS1F_S1F_jjS1H_bEUljE0_EEES10_S11_S12_S19_S1D_S1F_T6_T7_T9_mT8_S1H_bDpT10_ENKUlT_T0_E_clISt17integral_constantIbLb0EES1V_EEDaS1Q_S1R_EUlS1Q_E_NS1_11comp_targetILNS1_3genE8ELNS1_11target_archE1030ELNS1_3gpuE2ELNS1_3repE0EEENS1_30default_config_static_selectorELNS0_4arch9wavefront6targetE1EEEvS13_, .Lfunc_end1889-_ZN7rocprim17ROCPRIM_400000_NS6detail17trampoline_kernelINS0_13select_configILj256ELj13ELNS0_17block_load_methodE3ELS4_3ELS4_3ELNS0_20block_scan_algorithmE0ELj4294967295EEENS1_25partition_config_selectorILNS1_17partition_subalgoE4EjNS0_10empty_typeEbEEZZNS1_14partition_implILS8_4ELb0ES6_15HIP_vector_typeIjLj2EENS0_17counting_iteratorIjlEEPS9_SG_NS0_5tupleIJPjSI_NS0_16reverse_iteratorISI_EEEEENSH_IJSG_SG_SG_EEES9_SI_JZNS1_25segmented_radix_sort_implINS0_14default_configELb1EPK12hip_bfloat16PSP_PKlPlN2at6native12_GLOBAL__N_18offset_tEEE10hipError_tPvRmT1_PNSt15iterator_traitsIS13_E10value_typeET2_T3_PNS14_IS19_E10value_typeET4_jRbjT5_S1F_jjP12ihipStream_tbEUljE_ZNSN_ISO_Lb1ESR_SS_SU_SV_SZ_EES10_S11_S12_S13_S17_S18_S19_S1C_S1D_jS1E_jS1F_S1F_jjS1H_bEUljE0_EEES10_S11_S12_S19_S1D_S1F_T6_T7_T9_mT8_S1H_bDpT10_ENKUlT_T0_E_clISt17integral_constantIbLb0EES1V_EEDaS1Q_S1R_EUlS1Q_E_NS1_11comp_targetILNS1_3genE8ELNS1_11target_archE1030ELNS1_3gpuE2ELNS1_3repE0EEENS1_30default_config_static_selectorELNS0_4arch9wavefront6targetE1EEEvS13_
                                        ; -- End function
	.set _ZN7rocprim17ROCPRIM_400000_NS6detail17trampoline_kernelINS0_13select_configILj256ELj13ELNS0_17block_load_methodE3ELS4_3ELS4_3ELNS0_20block_scan_algorithmE0ELj4294967295EEENS1_25partition_config_selectorILNS1_17partition_subalgoE4EjNS0_10empty_typeEbEEZZNS1_14partition_implILS8_4ELb0ES6_15HIP_vector_typeIjLj2EENS0_17counting_iteratorIjlEEPS9_SG_NS0_5tupleIJPjSI_NS0_16reverse_iteratorISI_EEEEENSH_IJSG_SG_SG_EEES9_SI_JZNS1_25segmented_radix_sort_implINS0_14default_configELb1EPK12hip_bfloat16PSP_PKlPlN2at6native12_GLOBAL__N_18offset_tEEE10hipError_tPvRmT1_PNSt15iterator_traitsIS13_E10value_typeET2_T3_PNS14_IS19_E10value_typeET4_jRbjT5_S1F_jjP12ihipStream_tbEUljE_ZNSN_ISO_Lb1ESR_SS_SU_SV_SZ_EES10_S11_S12_S13_S17_S18_S19_S1C_S1D_jS1E_jS1F_S1F_jjS1H_bEUljE0_EEES10_S11_S12_S19_S1D_S1F_T6_T7_T9_mT8_S1H_bDpT10_ENKUlT_T0_E_clISt17integral_constantIbLb0EES1V_EEDaS1Q_S1R_EUlS1Q_E_NS1_11comp_targetILNS1_3genE8ELNS1_11target_archE1030ELNS1_3gpuE2ELNS1_3repE0EEENS1_30default_config_static_selectorELNS0_4arch9wavefront6targetE1EEEvS13_.num_vgpr, 0
	.set _ZN7rocprim17ROCPRIM_400000_NS6detail17trampoline_kernelINS0_13select_configILj256ELj13ELNS0_17block_load_methodE3ELS4_3ELS4_3ELNS0_20block_scan_algorithmE0ELj4294967295EEENS1_25partition_config_selectorILNS1_17partition_subalgoE4EjNS0_10empty_typeEbEEZZNS1_14partition_implILS8_4ELb0ES6_15HIP_vector_typeIjLj2EENS0_17counting_iteratorIjlEEPS9_SG_NS0_5tupleIJPjSI_NS0_16reverse_iteratorISI_EEEEENSH_IJSG_SG_SG_EEES9_SI_JZNS1_25segmented_radix_sort_implINS0_14default_configELb1EPK12hip_bfloat16PSP_PKlPlN2at6native12_GLOBAL__N_18offset_tEEE10hipError_tPvRmT1_PNSt15iterator_traitsIS13_E10value_typeET2_T3_PNS14_IS19_E10value_typeET4_jRbjT5_S1F_jjP12ihipStream_tbEUljE_ZNSN_ISO_Lb1ESR_SS_SU_SV_SZ_EES10_S11_S12_S13_S17_S18_S19_S1C_S1D_jS1E_jS1F_S1F_jjS1H_bEUljE0_EEES10_S11_S12_S19_S1D_S1F_T6_T7_T9_mT8_S1H_bDpT10_ENKUlT_T0_E_clISt17integral_constantIbLb0EES1V_EEDaS1Q_S1R_EUlS1Q_E_NS1_11comp_targetILNS1_3genE8ELNS1_11target_archE1030ELNS1_3gpuE2ELNS1_3repE0EEENS1_30default_config_static_selectorELNS0_4arch9wavefront6targetE1EEEvS13_.num_agpr, 0
	.set _ZN7rocprim17ROCPRIM_400000_NS6detail17trampoline_kernelINS0_13select_configILj256ELj13ELNS0_17block_load_methodE3ELS4_3ELS4_3ELNS0_20block_scan_algorithmE0ELj4294967295EEENS1_25partition_config_selectorILNS1_17partition_subalgoE4EjNS0_10empty_typeEbEEZZNS1_14partition_implILS8_4ELb0ES6_15HIP_vector_typeIjLj2EENS0_17counting_iteratorIjlEEPS9_SG_NS0_5tupleIJPjSI_NS0_16reverse_iteratorISI_EEEEENSH_IJSG_SG_SG_EEES9_SI_JZNS1_25segmented_radix_sort_implINS0_14default_configELb1EPK12hip_bfloat16PSP_PKlPlN2at6native12_GLOBAL__N_18offset_tEEE10hipError_tPvRmT1_PNSt15iterator_traitsIS13_E10value_typeET2_T3_PNS14_IS19_E10value_typeET4_jRbjT5_S1F_jjP12ihipStream_tbEUljE_ZNSN_ISO_Lb1ESR_SS_SU_SV_SZ_EES10_S11_S12_S13_S17_S18_S19_S1C_S1D_jS1E_jS1F_S1F_jjS1H_bEUljE0_EEES10_S11_S12_S19_S1D_S1F_T6_T7_T9_mT8_S1H_bDpT10_ENKUlT_T0_E_clISt17integral_constantIbLb0EES1V_EEDaS1Q_S1R_EUlS1Q_E_NS1_11comp_targetILNS1_3genE8ELNS1_11target_archE1030ELNS1_3gpuE2ELNS1_3repE0EEENS1_30default_config_static_selectorELNS0_4arch9wavefront6targetE1EEEvS13_.numbered_sgpr, 0
	.set _ZN7rocprim17ROCPRIM_400000_NS6detail17trampoline_kernelINS0_13select_configILj256ELj13ELNS0_17block_load_methodE3ELS4_3ELS4_3ELNS0_20block_scan_algorithmE0ELj4294967295EEENS1_25partition_config_selectorILNS1_17partition_subalgoE4EjNS0_10empty_typeEbEEZZNS1_14partition_implILS8_4ELb0ES6_15HIP_vector_typeIjLj2EENS0_17counting_iteratorIjlEEPS9_SG_NS0_5tupleIJPjSI_NS0_16reverse_iteratorISI_EEEEENSH_IJSG_SG_SG_EEES9_SI_JZNS1_25segmented_radix_sort_implINS0_14default_configELb1EPK12hip_bfloat16PSP_PKlPlN2at6native12_GLOBAL__N_18offset_tEEE10hipError_tPvRmT1_PNSt15iterator_traitsIS13_E10value_typeET2_T3_PNS14_IS19_E10value_typeET4_jRbjT5_S1F_jjP12ihipStream_tbEUljE_ZNSN_ISO_Lb1ESR_SS_SU_SV_SZ_EES10_S11_S12_S13_S17_S18_S19_S1C_S1D_jS1E_jS1F_S1F_jjS1H_bEUljE0_EEES10_S11_S12_S19_S1D_S1F_T6_T7_T9_mT8_S1H_bDpT10_ENKUlT_T0_E_clISt17integral_constantIbLb0EES1V_EEDaS1Q_S1R_EUlS1Q_E_NS1_11comp_targetILNS1_3genE8ELNS1_11target_archE1030ELNS1_3gpuE2ELNS1_3repE0EEENS1_30default_config_static_selectorELNS0_4arch9wavefront6targetE1EEEvS13_.num_named_barrier, 0
	.set _ZN7rocprim17ROCPRIM_400000_NS6detail17trampoline_kernelINS0_13select_configILj256ELj13ELNS0_17block_load_methodE3ELS4_3ELS4_3ELNS0_20block_scan_algorithmE0ELj4294967295EEENS1_25partition_config_selectorILNS1_17partition_subalgoE4EjNS0_10empty_typeEbEEZZNS1_14partition_implILS8_4ELb0ES6_15HIP_vector_typeIjLj2EENS0_17counting_iteratorIjlEEPS9_SG_NS0_5tupleIJPjSI_NS0_16reverse_iteratorISI_EEEEENSH_IJSG_SG_SG_EEES9_SI_JZNS1_25segmented_radix_sort_implINS0_14default_configELb1EPK12hip_bfloat16PSP_PKlPlN2at6native12_GLOBAL__N_18offset_tEEE10hipError_tPvRmT1_PNSt15iterator_traitsIS13_E10value_typeET2_T3_PNS14_IS19_E10value_typeET4_jRbjT5_S1F_jjP12ihipStream_tbEUljE_ZNSN_ISO_Lb1ESR_SS_SU_SV_SZ_EES10_S11_S12_S13_S17_S18_S19_S1C_S1D_jS1E_jS1F_S1F_jjS1H_bEUljE0_EEES10_S11_S12_S19_S1D_S1F_T6_T7_T9_mT8_S1H_bDpT10_ENKUlT_T0_E_clISt17integral_constantIbLb0EES1V_EEDaS1Q_S1R_EUlS1Q_E_NS1_11comp_targetILNS1_3genE8ELNS1_11target_archE1030ELNS1_3gpuE2ELNS1_3repE0EEENS1_30default_config_static_selectorELNS0_4arch9wavefront6targetE1EEEvS13_.private_seg_size, 0
	.set _ZN7rocprim17ROCPRIM_400000_NS6detail17trampoline_kernelINS0_13select_configILj256ELj13ELNS0_17block_load_methodE3ELS4_3ELS4_3ELNS0_20block_scan_algorithmE0ELj4294967295EEENS1_25partition_config_selectorILNS1_17partition_subalgoE4EjNS0_10empty_typeEbEEZZNS1_14partition_implILS8_4ELb0ES6_15HIP_vector_typeIjLj2EENS0_17counting_iteratorIjlEEPS9_SG_NS0_5tupleIJPjSI_NS0_16reverse_iteratorISI_EEEEENSH_IJSG_SG_SG_EEES9_SI_JZNS1_25segmented_radix_sort_implINS0_14default_configELb1EPK12hip_bfloat16PSP_PKlPlN2at6native12_GLOBAL__N_18offset_tEEE10hipError_tPvRmT1_PNSt15iterator_traitsIS13_E10value_typeET2_T3_PNS14_IS19_E10value_typeET4_jRbjT5_S1F_jjP12ihipStream_tbEUljE_ZNSN_ISO_Lb1ESR_SS_SU_SV_SZ_EES10_S11_S12_S13_S17_S18_S19_S1C_S1D_jS1E_jS1F_S1F_jjS1H_bEUljE0_EEES10_S11_S12_S19_S1D_S1F_T6_T7_T9_mT8_S1H_bDpT10_ENKUlT_T0_E_clISt17integral_constantIbLb0EES1V_EEDaS1Q_S1R_EUlS1Q_E_NS1_11comp_targetILNS1_3genE8ELNS1_11target_archE1030ELNS1_3gpuE2ELNS1_3repE0EEENS1_30default_config_static_selectorELNS0_4arch9wavefront6targetE1EEEvS13_.uses_vcc, 0
	.set _ZN7rocprim17ROCPRIM_400000_NS6detail17trampoline_kernelINS0_13select_configILj256ELj13ELNS0_17block_load_methodE3ELS4_3ELS4_3ELNS0_20block_scan_algorithmE0ELj4294967295EEENS1_25partition_config_selectorILNS1_17partition_subalgoE4EjNS0_10empty_typeEbEEZZNS1_14partition_implILS8_4ELb0ES6_15HIP_vector_typeIjLj2EENS0_17counting_iteratorIjlEEPS9_SG_NS0_5tupleIJPjSI_NS0_16reverse_iteratorISI_EEEEENSH_IJSG_SG_SG_EEES9_SI_JZNS1_25segmented_radix_sort_implINS0_14default_configELb1EPK12hip_bfloat16PSP_PKlPlN2at6native12_GLOBAL__N_18offset_tEEE10hipError_tPvRmT1_PNSt15iterator_traitsIS13_E10value_typeET2_T3_PNS14_IS19_E10value_typeET4_jRbjT5_S1F_jjP12ihipStream_tbEUljE_ZNSN_ISO_Lb1ESR_SS_SU_SV_SZ_EES10_S11_S12_S13_S17_S18_S19_S1C_S1D_jS1E_jS1F_S1F_jjS1H_bEUljE0_EEES10_S11_S12_S19_S1D_S1F_T6_T7_T9_mT8_S1H_bDpT10_ENKUlT_T0_E_clISt17integral_constantIbLb0EES1V_EEDaS1Q_S1R_EUlS1Q_E_NS1_11comp_targetILNS1_3genE8ELNS1_11target_archE1030ELNS1_3gpuE2ELNS1_3repE0EEENS1_30default_config_static_selectorELNS0_4arch9wavefront6targetE1EEEvS13_.uses_flat_scratch, 0
	.set _ZN7rocprim17ROCPRIM_400000_NS6detail17trampoline_kernelINS0_13select_configILj256ELj13ELNS0_17block_load_methodE3ELS4_3ELS4_3ELNS0_20block_scan_algorithmE0ELj4294967295EEENS1_25partition_config_selectorILNS1_17partition_subalgoE4EjNS0_10empty_typeEbEEZZNS1_14partition_implILS8_4ELb0ES6_15HIP_vector_typeIjLj2EENS0_17counting_iteratorIjlEEPS9_SG_NS0_5tupleIJPjSI_NS0_16reverse_iteratorISI_EEEEENSH_IJSG_SG_SG_EEES9_SI_JZNS1_25segmented_radix_sort_implINS0_14default_configELb1EPK12hip_bfloat16PSP_PKlPlN2at6native12_GLOBAL__N_18offset_tEEE10hipError_tPvRmT1_PNSt15iterator_traitsIS13_E10value_typeET2_T3_PNS14_IS19_E10value_typeET4_jRbjT5_S1F_jjP12ihipStream_tbEUljE_ZNSN_ISO_Lb1ESR_SS_SU_SV_SZ_EES10_S11_S12_S13_S17_S18_S19_S1C_S1D_jS1E_jS1F_S1F_jjS1H_bEUljE0_EEES10_S11_S12_S19_S1D_S1F_T6_T7_T9_mT8_S1H_bDpT10_ENKUlT_T0_E_clISt17integral_constantIbLb0EES1V_EEDaS1Q_S1R_EUlS1Q_E_NS1_11comp_targetILNS1_3genE8ELNS1_11target_archE1030ELNS1_3gpuE2ELNS1_3repE0EEENS1_30default_config_static_selectorELNS0_4arch9wavefront6targetE1EEEvS13_.has_dyn_sized_stack, 0
	.set _ZN7rocprim17ROCPRIM_400000_NS6detail17trampoline_kernelINS0_13select_configILj256ELj13ELNS0_17block_load_methodE3ELS4_3ELS4_3ELNS0_20block_scan_algorithmE0ELj4294967295EEENS1_25partition_config_selectorILNS1_17partition_subalgoE4EjNS0_10empty_typeEbEEZZNS1_14partition_implILS8_4ELb0ES6_15HIP_vector_typeIjLj2EENS0_17counting_iteratorIjlEEPS9_SG_NS0_5tupleIJPjSI_NS0_16reverse_iteratorISI_EEEEENSH_IJSG_SG_SG_EEES9_SI_JZNS1_25segmented_radix_sort_implINS0_14default_configELb1EPK12hip_bfloat16PSP_PKlPlN2at6native12_GLOBAL__N_18offset_tEEE10hipError_tPvRmT1_PNSt15iterator_traitsIS13_E10value_typeET2_T3_PNS14_IS19_E10value_typeET4_jRbjT5_S1F_jjP12ihipStream_tbEUljE_ZNSN_ISO_Lb1ESR_SS_SU_SV_SZ_EES10_S11_S12_S13_S17_S18_S19_S1C_S1D_jS1E_jS1F_S1F_jjS1H_bEUljE0_EEES10_S11_S12_S19_S1D_S1F_T6_T7_T9_mT8_S1H_bDpT10_ENKUlT_T0_E_clISt17integral_constantIbLb0EES1V_EEDaS1Q_S1R_EUlS1Q_E_NS1_11comp_targetILNS1_3genE8ELNS1_11target_archE1030ELNS1_3gpuE2ELNS1_3repE0EEENS1_30default_config_static_selectorELNS0_4arch9wavefront6targetE1EEEvS13_.has_recursion, 0
	.set _ZN7rocprim17ROCPRIM_400000_NS6detail17trampoline_kernelINS0_13select_configILj256ELj13ELNS0_17block_load_methodE3ELS4_3ELS4_3ELNS0_20block_scan_algorithmE0ELj4294967295EEENS1_25partition_config_selectorILNS1_17partition_subalgoE4EjNS0_10empty_typeEbEEZZNS1_14partition_implILS8_4ELb0ES6_15HIP_vector_typeIjLj2EENS0_17counting_iteratorIjlEEPS9_SG_NS0_5tupleIJPjSI_NS0_16reverse_iteratorISI_EEEEENSH_IJSG_SG_SG_EEES9_SI_JZNS1_25segmented_radix_sort_implINS0_14default_configELb1EPK12hip_bfloat16PSP_PKlPlN2at6native12_GLOBAL__N_18offset_tEEE10hipError_tPvRmT1_PNSt15iterator_traitsIS13_E10value_typeET2_T3_PNS14_IS19_E10value_typeET4_jRbjT5_S1F_jjP12ihipStream_tbEUljE_ZNSN_ISO_Lb1ESR_SS_SU_SV_SZ_EES10_S11_S12_S13_S17_S18_S19_S1C_S1D_jS1E_jS1F_S1F_jjS1H_bEUljE0_EEES10_S11_S12_S19_S1D_S1F_T6_T7_T9_mT8_S1H_bDpT10_ENKUlT_T0_E_clISt17integral_constantIbLb0EES1V_EEDaS1Q_S1R_EUlS1Q_E_NS1_11comp_targetILNS1_3genE8ELNS1_11target_archE1030ELNS1_3gpuE2ELNS1_3repE0EEENS1_30default_config_static_selectorELNS0_4arch9wavefront6targetE1EEEvS13_.has_indirect_call, 0
	.section	.AMDGPU.csdata,"",@progbits
; Kernel info:
; codeLenInByte = 0
; TotalNumSgprs: 4
; NumVgprs: 0
; ScratchSize: 0
; MemoryBound: 0
; FloatMode: 240
; IeeeMode: 1
; LDSByteSize: 0 bytes/workgroup (compile time only)
; SGPRBlocks: 0
; VGPRBlocks: 0
; NumSGPRsForWavesPerEU: 4
; NumVGPRsForWavesPerEU: 1
; Occupancy: 10
; WaveLimiterHint : 0
; COMPUTE_PGM_RSRC2:SCRATCH_EN: 0
; COMPUTE_PGM_RSRC2:USER_SGPR: 6
; COMPUTE_PGM_RSRC2:TRAP_HANDLER: 0
; COMPUTE_PGM_RSRC2:TGID_X_EN: 1
; COMPUTE_PGM_RSRC2:TGID_Y_EN: 0
; COMPUTE_PGM_RSRC2:TGID_Z_EN: 0
; COMPUTE_PGM_RSRC2:TIDIG_COMP_CNT: 0
	.section	.text._ZN7rocprim17ROCPRIM_400000_NS6detail17trampoline_kernelINS0_13select_configILj256ELj13ELNS0_17block_load_methodE3ELS4_3ELS4_3ELNS0_20block_scan_algorithmE0ELj4294967295EEENS1_25partition_config_selectorILNS1_17partition_subalgoE4EjNS0_10empty_typeEbEEZZNS1_14partition_implILS8_4ELb0ES6_15HIP_vector_typeIjLj2EENS0_17counting_iteratorIjlEEPS9_SG_NS0_5tupleIJPjSI_NS0_16reverse_iteratorISI_EEEEENSH_IJSG_SG_SG_EEES9_SI_JZNS1_25segmented_radix_sort_implINS0_14default_configELb1EPK12hip_bfloat16PSP_PKlPlN2at6native12_GLOBAL__N_18offset_tEEE10hipError_tPvRmT1_PNSt15iterator_traitsIS13_E10value_typeET2_T3_PNS14_IS19_E10value_typeET4_jRbjT5_S1F_jjP12ihipStream_tbEUljE_ZNSN_ISO_Lb1ESR_SS_SU_SV_SZ_EES10_S11_S12_S13_S17_S18_S19_S1C_S1D_jS1E_jS1F_S1F_jjS1H_bEUljE0_EEES10_S11_S12_S19_S1D_S1F_T6_T7_T9_mT8_S1H_bDpT10_ENKUlT_T0_E_clISt17integral_constantIbLb1EES1V_EEDaS1Q_S1R_EUlS1Q_E_NS1_11comp_targetILNS1_3genE0ELNS1_11target_archE4294967295ELNS1_3gpuE0ELNS1_3repE0EEENS1_30default_config_static_selectorELNS0_4arch9wavefront6targetE1EEEvS13_,"axG",@progbits,_ZN7rocprim17ROCPRIM_400000_NS6detail17trampoline_kernelINS0_13select_configILj256ELj13ELNS0_17block_load_methodE3ELS4_3ELS4_3ELNS0_20block_scan_algorithmE0ELj4294967295EEENS1_25partition_config_selectorILNS1_17partition_subalgoE4EjNS0_10empty_typeEbEEZZNS1_14partition_implILS8_4ELb0ES6_15HIP_vector_typeIjLj2EENS0_17counting_iteratorIjlEEPS9_SG_NS0_5tupleIJPjSI_NS0_16reverse_iteratorISI_EEEEENSH_IJSG_SG_SG_EEES9_SI_JZNS1_25segmented_radix_sort_implINS0_14default_configELb1EPK12hip_bfloat16PSP_PKlPlN2at6native12_GLOBAL__N_18offset_tEEE10hipError_tPvRmT1_PNSt15iterator_traitsIS13_E10value_typeET2_T3_PNS14_IS19_E10value_typeET4_jRbjT5_S1F_jjP12ihipStream_tbEUljE_ZNSN_ISO_Lb1ESR_SS_SU_SV_SZ_EES10_S11_S12_S13_S17_S18_S19_S1C_S1D_jS1E_jS1F_S1F_jjS1H_bEUljE0_EEES10_S11_S12_S19_S1D_S1F_T6_T7_T9_mT8_S1H_bDpT10_ENKUlT_T0_E_clISt17integral_constantIbLb1EES1V_EEDaS1Q_S1R_EUlS1Q_E_NS1_11comp_targetILNS1_3genE0ELNS1_11target_archE4294967295ELNS1_3gpuE0ELNS1_3repE0EEENS1_30default_config_static_selectorELNS0_4arch9wavefront6targetE1EEEvS13_,comdat
	.globl	_ZN7rocprim17ROCPRIM_400000_NS6detail17trampoline_kernelINS0_13select_configILj256ELj13ELNS0_17block_load_methodE3ELS4_3ELS4_3ELNS0_20block_scan_algorithmE0ELj4294967295EEENS1_25partition_config_selectorILNS1_17partition_subalgoE4EjNS0_10empty_typeEbEEZZNS1_14partition_implILS8_4ELb0ES6_15HIP_vector_typeIjLj2EENS0_17counting_iteratorIjlEEPS9_SG_NS0_5tupleIJPjSI_NS0_16reverse_iteratorISI_EEEEENSH_IJSG_SG_SG_EEES9_SI_JZNS1_25segmented_radix_sort_implINS0_14default_configELb1EPK12hip_bfloat16PSP_PKlPlN2at6native12_GLOBAL__N_18offset_tEEE10hipError_tPvRmT1_PNSt15iterator_traitsIS13_E10value_typeET2_T3_PNS14_IS19_E10value_typeET4_jRbjT5_S1F_jjP12ihipStream_tbEUljE_ZNSN_ISO_Lb1ESR_SS_SU_SV_SZ_EES10_S11_S12_S13_S17_S18_S19_S1C_S1D_jS1E_jS1F_S1F_jjS1H_bEUljE0_EEES10_S11_S12_S19_S1D_S1F_T6_T7_T9_mT8_S1H_bDpT10_ENKUlT_T0_E_clISt17integral_constantIbLb1EES1V_EEDaS1Q_S1R_EUlS1Q_E_NS1_11comp_targetILNS1_3genE0ELNS1_11target_archE4294967295ELNS1_3gpuE0ELNS1_3repE0EEENS1_30default_config_static_selectorELNS0_4arch9wavefront6targetE1EEEvS13_ ; -- Begin function _ZN7rocprim17ROCPRIM_400000_NS6detail17trampoline_kernelINS0_13select_configILj256ELj13ELNS0_17block_load_methodE3ELS4_3ELS4_3ELNS0_20block_scan_algorithmE0ELj4294967295EEENS1_25partition_config_selectorILNS1_17partition_subalgoE4EjNS0_10empty_typeEbEEZZNS1_14partition_implILS8_4ELb0ES6_15HIP_vector_typeIjLj2EENS0_17counting_iteratorIjlEEPS9_SG_NS0_5tupleIJPjSI_NS0_16reverse_iteratorISI_EEEEENSH_IJSG_SG_SG_EEES9_SI_JZNS1_25segmented_radix_sort_implINS0_14default_configELb1EPK12hip_bfloat16PSP_PKlPlN2at6native12_GLOBAL__N_18offset_tEEE10hipError_tPvRmT1_PNSt15iterator_traitsIS13_E10value_typeET2_T3_PNS14_IS19_E10value_typeET4_jRbjT5_S1F_jjP12ihipStream_tbEUljE_ZNSN_ISO_Lb1ESR_SS_SU_SV_SZ_EES10_S11_S12_S13_S17_S18_S19_S1C_S1D_jS1E_jS1F_S1F_jjS1H_bEUljE0_EEES10_S11_S12_S19_S1D_S1F_T6_T7_T9_mT8_S1H_bDpT10_ENKUlT_T0_E_clISt17integral_constantIbLb1EES1V_EEDaS1Q_S1R_EUlS1Q_E_NS1_11comp_targetILNS1_3genE0ELNS1_11target_archE4294967295ELNS1_3gpuE0ELNS1_3repE0EEENS1_30default_config_static_selectorELNS0_4arch9wavefront6targetE1EEEvS13_
	.p2align	8
	.type	_ZN7rocprim17ROCPRIM_400000_NS6detail17trampoline_kernelINS0_13select_configILj256ELj13ELNS0_17block_load_methodE3ELS4_3ELS4_3ELNS0_20block_scan_algorithmE0ELj4294967295EEENS1_25partition_config_selectorILNS1_17partition_subalgoE4EjNS0_10empty_typeEbEEZZNS1_14partition_implILS8_4ELb0ES6_15HIP_vector_typeIjLj2EENS0_17counting_iteratorIjlEEPS9_SG_NS0_5tupleIJPjSI_NS0_16reverse_iteratorISI_EEEEENSH_IJSG_SG_SG_EEES9_SI_JZNS1_25segmented_radix_sort_implINS0_14default_configELb1EPK12hip_bfloat16PSP_PKlPlN2at6native12_GLOBAL__N_18offset_tEEE10hipError_tPvRmT1_PNSt15iterator_traitsIS13_E10value_typeET2_T3_PNS14_IS19_E10value_typeET4_jRbjT5_S1F_jjP12ihipStream_tbEUljE_ZNSN_ISO_Lb1ESR_SS_SU_SV_SZ_EES10_S11_S12_S13_S17_S18_S19_S1C_S1D_jS1E_jS1F_S1F_jjS1H_bEUljE0_EEES10_S11_S12_S19_S1D_S1F_T6_T7_T9_mT8_S1H_bDpT10_ENKUlT_T0_E_clISt17integral_constantIbLb1EES1V_EEDaS1Q_S1R_EUlS1Q_E_NS1_11comp_targetILNS1_3genE0ELNS1_11target_archE4294967295ELNS1_3gpuE0ELNS1_3repE0EEENS1_30default_config_static_selectorELNS0_4arch9wavefront6targetE1EEEvS13_,@function
_ZN7rocprim17ROCPRIM_400000_NS6detail17trampoline_kernelINS0_13select_configILj256ELj13ELNS0_17block_load_methodE3ELS4_3ELS4_3ELNS0_20block_scan_algorithmE0ELj4294967295EEENS1_25partition_config_selectorILNS1_17partition_subalgoE4EjNS0_10empty_typeEbEEZZNS1_14partition_implILS8_4ELb0ES6_15HIP_vector_typeIjLj2EENS0_17counting_iteratorIjlEEPS9_SG_NS0_5tupleIJPjSI_NS0_16reverse_iteratorISI_EEEEENSH_IJSG_SG_SG_EEES9_SI_JZNS1_25segmented_radix_sort_implINS0_14default_configELb1EPK12hip_bfloat16PSP_PKlPlN2at6native12_GLOBAL__N_18offset_tEEE10hipError_tPvRmT1_PNSt15iterator_traitsIS13_E10value_typeET2_T3_PNS14_IS19_E10value_typeET4_jRbjT5_S1F_jjP12ihipStream_tbEUljE_ZNSN_ISO_Lb1ESR_SS_SU_SV_SZ_EES10_S11_S12_S13_S17_S18_S19_S1C_S1D_jS1E_jS1F_S1F_jjS1H_bEUljE0_EEES10_S11_S12_S19_S1D_S1F_T6_T7_T9_mT8_S1H_bDpT10_ENKUlT_T0_E_clISt17integral_constantIbLb1EES1V_EEDaS1Q_S1R_EUlS1Q_E_NS1_11comp_targetILNS1_3genE0ELNS1_11target_archE4294967295ELNS1_3gpuE0ELNS1_3repE0EEENS1_30default_config_static_selectorELNS0_4arch9wavefront6targetE1EEEvS13_: ; @_ZN7rocprim17ROCPRIM_400000_NS6detail17trampoline_kernelINS0_13select_configILj256ELj13ELNS0_17block_load_methodE3ELS4_3ELS4_3ELNS0_20block_scan_algorithmE0ELj4294967295EEENS1_25partition_config_selectorILNS1_17partition_subalgoE4EjNS0_10empty_typeEbEEZZNS1_14partition_implILS8_4ELb0ES6_15HIP_vector_typeIjLj2EENS0_17counting_iteratorIjlEEPS9_SG_NS0_5tupleIJPjSI_NS0_16reverse_iteratorISI_EEEEENSH_IJSG_SG_SG_EEES9_SI_JZNS1_25segmented_radix_sort_implINS0_14default_configELb1EPK12hip_bfloat16PSP_PKlPlN2at6native12_GLOBAL__N_18offset_tEEE10hipError_tPvRmT1_PNSt15iterator_traitsIS13_E10value_typeET2_T3_PNS14_IS19_E10value_typeET4_jRbjT5_S1F_jjP12ihipStream_tbEUljE_ZNSN_ISO_Lb1ESR_SS_SU_SV_SZ_EES10_S11_S12_S13_S17_S18_S19_S1C_S1D_jS1E_jS1F_S1F_jjS1H_bEUljE0_EEES10_S11_S12_S19_S1D_S1F_T6_T7_T9_mT8_S1H_bDpT10_ENKUlT_T0_E_clISt17integral_constantIbLb1EES1V_EEDaS1Q_S1R_EUlS1Q_E_NS1_11comp_targetILNS1_3genE0ELNS1_11target_archE4294967295ELNS1_3gpuE0ELNS1_3repE0EEENS1_30default_config_static_selectorELNS0_4arch9wavefront6targetE1EEEvS13_
; %bb.0:
	.section	.rodata,"a",@progbits
	.p2align	6, 0x0
	.amdhsa_kernel _ZN7rocprim17ROCPRIM_400000_NS6detail17trampoline_kernelINS0_13select_configILj256ELj13ELNS0_17block_load_methodE3ELS4_3ELS4_3ELNS0_20block_scan_algorithmE0ELj4294967295EEENS1_25partition_config_selectorILNS1_17partition_subalgoE4EjNS0_10empty_typeEbEEZZNS1_14partition_implILS8_4ELb0ES6_15HIP_vector_typeIjLj2EENS0_17counting_iteratorIjlEEPS9_SG_NS0_5tupleIJPjSI_NS0_16reverse_iteratorISI_EEEEENSH_IJSG_SG_SG_EEES9_SI_JZNS1_25segmented_radix_sort_implINS0_14default_configELb1EPK12hip_bfloat16PSP_PKlPlN2at6native12_GLOBAL__N_18offset_tEEE10hipError_tPvRmT1_PNSt15iterator_traitsIS13_E10value_typeET2_T3_PNS14_IS19_E10value_typeET4_jRbjT5_S1F_jjP12ihipStream_tbEUljE_ZNSN_ISO_Lb1ESR_SS_SU_SV_SZ_EES10_S11_S12_S13_S17_S18_S19_S1C_S1D_jS1E_jS1F_S1F_jjS1H_bEUljE0_EEES10_S11_S12_S19_S1D_S1F_T6_T7_T9_mT8_S1H_bDpT10_ENKUlT_T0_E_clISt17integral_constantIbLb1EES1V_EEDaS1Q_S1R_EUlS1Q_E_NS1_11comp_targetILNS1_3genE0ELNS1_11target_archE4294967295ELNS1_3gpuE0ELNS1_3repE0EEENS1_30default_config_static_selectorELNS0_4arch9wavefront6targetE1EEEvS13_
		.amdhsa_group_segment_fixed_size 0
		.amdhsa_private_segment_fixed_size 0
		.amdhsa_kernarg_size 184
		.amdhsa_user_sgpr_count 6
		.amdhsa_user_sgpr_private_segment_buffer 1
		.amdhsa_user_sgpr_dispatch_ptr 0
		.amdhsa_user_sgpr_queue_ptr 0
		.amdhsa_user_sgpr_kernarg_segment_ptr 1
		.amdhsa_user_sgpr_dispatch_id 0
		.amdhsa_user_sgpr_flat_scratch_init 0
		.amdhsa_user_sgpr_private_segment_size 0
		.amdhsa_uses_dynamic_stack 0
		.amdhsa_system_sgpr_private_segment_wavefront_offset 0
		.amdhsa_system_sgpr_workgroup_id_x 1
		.amdhsa_system_sgpr_workgroup_id_y 0
		.amdhsa_system_sgpr_workgroup_id_z 0
		.amdhsa_system_sgpr_workgroup_info 0
		.amdhsa_system_vgpr_workitem_id 0
		.amdhsa_next_free_vgpr 1
		.amdhsa_next_free_sgpr 0
		.amdhsa_reserve_vcc 0
		.amdhsa_reserve_flat_scratch 0
		.amdhsa_float_round_mode_32 0
		.amdhsa_float_round_mode_16_64 0
		.amdhsa_float_denorm_mode_32 3
		.amdhsa_float_denorm_mode_16_64 3
		.amdhsa_dx10_clamp 1
		.amdhsa_ieee_mode 1
		.amdhsa_fp16_overflow 0
		.amdhsa_exception_fp_ieee_invalid_op 0
		.amdhsa_exception_fp_denorm_src 0
		.amdhsa_exception_fp_ieee_div_zero 0
		.amdhsa_exception_fp_ieee_overflow 0
		.amdhsa_exception_fp_ieee_underflow 0
		.amdhsa_exception_fp_ieee_inexact 0
		.amdhsa_exception_int_div_zero 0
	.end_amdhsa_kernel
	.section	.text._ZN7rocprim17ROCPRIM_400000_NS6detail17trampoline_kernelINS0_13select_configILj256ELj13ELNS0_17block_load_methodE3ELS4_3ELS4_3ELNS0_20block_scan_algorithmE0ELj4294967295EEENS1_25partition_config_selectorILNS1_17partition_subalgoE4EjNS0_10empty_typeEbEEZZNS1_14partition_implILS8_4ELb0ES6_15HIP_vector_typeIjLj2EENS0_17counting_iteratorIjlEEPS9_SG_NS0_5tupleIJPjSI_NS0_16reverse_iteratorISI_EEEEENSH_IJSG_SG_SG_EEES9_SI_JZNS1_25segmented_radix_sort_implINS0_14default_configELb1EPK12hip_bfloat16PSP_PKlPlN2at6native12_GLOBAL__N_18offset_tEEE10hipError_tPvRmT1_PNSt15iterator_traitsIS13_E10value_typeET2_T3_PNS14_IS19_E10value_typeET4_jRbjT5_S1F_jjP12ihipStream_tbEUljE_ZNSN_ISO_Lb1ESR_SS_SU_SV_SZ_EES10_S11_S12_S13_S17_S18_S19_S1C_S1D_jS1E_jS1F_S1F_jjS1H_bEUljE0_EEES10_S11_S12_S19_S1D_S1F_T6_T7_T9_mT8_S1H_bDpT10_ENKUlT_T0_E_clISt17integral_constantIbLb1EES1V_EEDaS1Q_S1R_EUlS1Q_E_NS1_11comp_targetILNS1_3genE0ELNS1_11target_archE4294967295ELNS1_3gpuE0ELNS1_3repE0EEENS1_30default_config_static_selectorELNS0_4arch9wavefront6targetE1EEEvS13_,"axG",@progbits,_ZN7rocprim17ROCPRIM_400000_NS6detail17trampoline_kernelINS0_13select_configILj256ELj13ELNS0_17block_load_methodE3ELS4_3ELS4_3ELNS0_20block_scan_algorithmE0ELj4294967295EEENS1_25partition_config_selectorILNS1_17partition_subalgoE4EjNS0_10empty_typeEbEEZZNS1_14partition_implILS8_4ELb0ES6_15HIP_vector_typeIjLj2EENS0_17counting_iteratorIjlEEPS9_SG_NS0_5tupleIJPjSI_NS0_16reverse_iteratorISI_EEEEENSH_IJSG_SG_SG_EEES9_SI_JZNS1_25segmented_radix_sort_implINS0_14default_configELb1EPK12hip_bfloat16PSP_PKlPlN2at6native12_GLOBAL__N_18offset_tEEE10hipError_tPvRmT1_PNSt15iterator_traitsIS13_E10value_typeET2_T3_PNS14_IS19_E10value_typeET4_jRbjT5_S1F_jjP12ihipStream_tbEUljE_ZNSN_ISO_Lb1ESR_SS_SU_SV_SZ_EES10_S11_S12_S13_S17_S18_S19_S1C_S1D_jS1E_jS1F_S1F_jjS1H_bEUljE0_EEES10_S11_S12_S19_S1D_S1F_T6_T7_T9_mT8_S1H_bDpT10_ENKUlT_T0_E_clISt17integral_constantIbLb1EES1V_EEDaS1Q_S1R_EUlS1Q_E_NS1_11comp_targetILNS1_3genE0ELNS1_11target_archE4294967295ELNS1_3gpuE0ELNS1_3repE0EEENS1_30default_config_static_selectorELNS0_4arch9wavefront6targetE1EEEvS13_,comdat
.Lfunc_end1890:
	.size	_ZN7rocprim17ROCPRIM_400000_NS6detail17trampoline_kernelINS0_13select_configILj256ELj13ELNS0_17block_load_methodE3ELS4_3ELS4_3ELNS0_20block_scan_algorithmE0ELj4294967295EEENS1_25partition_config_selectorILNS1_17partition_subalgoE4EjNS0_10empty_typeEbEEZZNS1_14partition_implILS8_4ELb0ES6_15HIP_vector_typeIjLj2EENS0_17counting_iteratorIjlEEPS9_SG_NS0_5tupleIJPjSI_NS0_16reverse_iteratorISI_EEEEENSH_IJSG_SG_SG_EEES9_SI_JZNS1_25segmented_radix_sort_implINS0_14default_configELb1EPK12hip_bfloat16PSP_PKlPlN2at6native12_GLOBAL__N_18offset_tEEE10hipError_tPvRmT1_PNSt15iterator_traitsIS13_E10value_typeET2_T3_PNS14_IS19_E10value_typeET4_jRbjT5_S1F_jjP12ihipStream_tbEUljE_ZNSN_ISO_Lb1ESR_SS_SU_SV_SZ_EES10_S11_S12_S13_S17_S18_S19_S1C_S1D_jS1E_jS1F_S1F_jjS1H_bEUljE0_EEES10_S11_S12_S19_S1D_S1F_T6_T7_T9_mT8_S1H_bDpT10_ENKUlT_T0_E_clISt17integral_constantIbLb1EES1V_EEDaS1Q_S1R_EUlS1Q_E_NS1_11comp_targetILNS1_3genE0ELNS1_11target_archE4294967295ELNS1_3gpuE0ELNS1_3repE0EEENS1_30default_config_static_selectorELNS0_4arch9wavefront6targetE1EEEvS13_, .Lfunc_end1890-_ZN7rocprim17ROCPRIM_400000_NS6detail17trampoline_kernelINS0_13select_configILj256ELj13ELNS0_17block_load_methodE3ELS4_3ELS4_3ELNS0_20block_scan_algorithmE0ELj4294967295EEENS1_25partition_config_selectorILNS1_17partition_subalgoE4EjNS0_10empty_typeEbEEZZNS1_14partition_implILS8_4ELb0ES6_15HIP_vector_typeIjLj2EENS0_17counting_iteratorIjlEEPS9_SG_NS0_5tupleIJPjSI_NS0_16reverse_iteratorISI_EEEEENSH_IJSG_SG_SG_EEES9_SI_JZNS1_25segmented_radix_sort_implINS0_14default_configELb1EPK12hip_bfloat16PSP_PKlPlN2at6native12_GLOBAL__N_18offset_tEEE10hipError_tPvRmT1_PNSt15iterator_traitsIS13_E10value_typeET2_T3_PNS14_IS19_E10value_typeET4_jRbjT5_S1F_jjP12ihipStream_tbEUljE_ZNSN_ISO_Lb1ESR_SS_SU_SV_SZ_EES10_S11_S12_S13_S17_S18_S19_S1C_S1D_jS1E_jS1F_S1F_jjS1H_bEUljE0_EEES10_S11_S12_S19_S1D_S1F_T6_T7_T9_mT8_S1H_bDpT10_ENKUlT_T0_E_clISt17integral_constantIbLb1EES1V_EEDaS1Q_S1R_EUlS1Q_E_NS1_11comp_targetILNS1_3genE0ELNS1_11target_archE4294967295ELNS1_3gpuE0ELNS1_3repE0EEENS1_30default_config_static_selectorELNS0_4arch9wavefront6targetE1EEEvS13_
                                        ; -- End function
	.set _ZN7rocprim17ROCPRIM_400000_NS6detail17trampoline_kernelINS0_13select_configILj256ELj13ELNS0_17block_load_methodE3ELS4_3ELS4_3ELNS0_20block_scan_algorithmE0ELj4294967295EEENS1_25partition_config_selectorILNS1_17partition_subalgoE4EjNS0_10empty_typeEbEEZZNS1_14partition_implILS8_4ELb0ES6_15HIP_vector_typeIjLj2EENS0_17counting_iteratorIjlEEPS9_SG_NS0_5tupleIJPjSI_NS0_16reverse_iteratorISI_EEEEENSH_IJSG_SG_SG_EEES9_SI_JZNS1_25segmented_radix_sort_implINS0_14default_configELb1EPK12hip_bfloat16PSP_PKlPlN2at6native12_GLOBAL__N_18offset_tEEE10hipError_tPvRmT1_PNSt15iterator_traitsIS13_E10value_typeET2_T3_PNS14_IS19_E10value_typeET4_jRbjT5_S1F_jjP12ihipStream_tbEUljE_ZNSN_ISO_Lb1ESR_SS_SU_SV_SZ_EES10_S11_S12_S13_S17_S18_S19_S1C_S1D_jS1E_jS1F_S1F_jjS1H_bEUljE0_EEES10_S11_S12_S19_S1D_S1F_T6_T7_T9_mT8_S1H_bDpT10_ENKUlT_T0_E_clISt17integral_constantIbLb1EES1V_EEDaS1Q_S1R_EUlS1Q_E_NS1_11comp_targetILNS1_3genE0ELNS1_11target_archE4294967295ELNS1_3gpuE0ELNS1_3repE0EEENS1_30default_config_static_selectorELNS0_4arch9wavefront6targetE1EEEvS13_.num_vgpr, 0
	.set _ZN7rocprim17ROCPRIM_400000_NS6detail17trampoline_kernelINS0_13select_configILj256ELj13ELNS0_17block_load_methodE3ELS4_3ELS4_3ELNS0_20block_scan_algorithmE0ELj4294967295EEENS1_25partition_config_selectorILNS1_17partition_subalgoE4EjNS0_10empty_typeEbEEZZNS1_14partition_implILS8_4ELb0ES6_15HIP_vector_typeIjLj2EENS0_17counting_iteratorIjlEEPS9_SG_NS0_5tupleIJPjSI_NS0_16reverse_iteratorISI_EEEEENSH_IJSG_SG_SG_EEES9_SI_JZNS1_25segmented_radix_sort_implINS0_14default_configELb1EPK12hip_bfloat16PSP_PKlPlN2at6native12_GLOBAL__N_18offset_tEEE10hipError_tPvRmT1_PNSt15iterator_traitsIS13_E10value_typeET2_T3_PNS14_IS19_E10value_typeET4_jRbjT5_S1F_jjP12ihipStream_tbEUljE_ZNSN_ISO_Lb1ESR_SS_SU_SV_SZ_EES10_S11_S12_S13_S17_S18_S19_S1C_S1D_jS1E_jS1F_S1F_jjS1H_bEUljE0_EEES10_S11_S12_S19_S1D_S1F_T6_T7_T9_mT8_S1H_bDpT10_ENKUlT_T0_E_clISt17integral_constantIbLb1EES1V_EEDaS1Q_S1R_EUlS1Q_E_NS1_11comp_targetILNS1_3genE0ELNS1_11target_archE4294967295ELNS1_3gpuE0ELNS1_3repE0EEENS1_30default_config_static_selectorELNS0_4arch9wavefront6targetE1EEEvS13_.num_agpr, 0
	.set _ZN7rocprim17ROCPRIM_400000_NS6detail17trampoline_kernelINS0_13select_configILj256ELj13ELNS0_17block_load_methodE3ELS4_3ELS4_3ELNS0_20block_scan_algorithmE0ELj4294967295EEENS1_25partition_config_selectorILNS1_17partition_subalgoE4EjNS0_10empty_typeEbEEZZNS1_14partition_implILS8_4ELb0ES6_15HIP_vector_typeIjLj2EENS0_17counting_iteratorIjlEEPS9_SG_NS0_5tupleIJPjSI_NS0_16reverse_iteratorISI_EEEEENSH_IJSG_SG_SG_EEES9_SI_JZNS1_25segmented_radix_sort_implINS0_14default_configELb1EPK12hip_bfloat16PSP_PKlPlN2at6native12_GLOBAL__N_18offset_tEEE10hipError_tPvRmT1_PNSt15iterator_traitsIS13_E10value_typeET2_T3_PNS14_IS19_E10value_typeET4_jRbjT5_S1F_jjP12ihipStream_tbEUljE_ZNSN_ISO_Lb1ESR_SS_SU_SV_SZ_EES10_S11_S12_S13_S17_S18_S19_S1C_S1D_jS1E_jS1F_S1F_jjS1H_bEUljE0_EEES10_S11_S12_S19_S1D_S1F_T6_T7_T9_mT8_S1H_bDpT10_ENKUlT_T0_E_clISt17integral_constantIbLb1EES1V_EEDaS1Q_S1R_EUlS1Q_E_NS1_11comp_targetILNS1_3genE0ELNS1_11target_archE4294967295ELNS1_3gpuE0ELNS1_3repE0EEENS1_30default_config_static_selectorELNS0_4arch9wavefront6targetE1EEEvS13_.numbered_sgpr, 0
	.set _ZN7rocprim17ROCPRIM_400000_NS6detail17trampoline_kernelINS0_13select_configILj256ELj13ELNS0_17block_load_methodE3ELS4_3ELS4_3ELNS0_20block_scan_algorithmE0ELj4294967295EEENS1_25partition_config_selectorILNS1_17partition_subalgoE4EjNS0_10empty_typeEbEEZZNS1_14partition_implILS8_4ELb0ES6_15HIP_vector_typeIjLj2EENS0_17counting_iteratorIjlEEPS9_SG_NS0_5tupleIJPjSI_NS0_16reverse_iteratorISI_EEEEENSH_IJSG_SG_SG_EEES9_SI_JZNS1_25segmented_radix_sort_implINS0_14default_configELb1EPK12hip_bfloat16PSP_PKlPlN2at6native12_GLOBAL__N_18offset_tEEE10hipError_tPvRmT1_PNSt15iterator_traitsIS13_E10value_typeET2_T3_PNS14_IS19_E10value_typeET4_jRbjT5_S1F_jjP12ihipStream_tbEUljE_ZNSN_ISO_Lb1ESR_SS_SU_SV_SZ_EES10_S11_S12_S13_S17_S18_S19_S1C_S1D_jS1E_jS1F_S1F_jjS1H_bEUljE0_EEES10_S11_S12_S19_S1D_S1F_T6_T7_T9_mT8_S1H_bDpT10_ENKUlT_T0_E_clISt17integral_constantIbLb1EES1V_EEDaS1Q_S1R_EUlS1Q_E_NS1_11comp_targetILNS1_3genE0ELNS1_11target_archE4294967295ELNS1_3gpuE0ELNS1_3repE0EEENS1_30default_config_static_selectorELNS0_4arch9wavefront6targetE1EEEvS13_.num_named_barrier, 0
	.set _ZN7rocprim17ROCPRIM_400000_NS6detail17trampoline_kernelINS0_13select_configILj256ELj13ELNS0_17block_load_methodE3ELS4_3ELS4_3ELNS0_20block_scan_algorithmE0ELj4294967295EEENS1_25partition_config_selectorILNS1_17partition_subalgoE4EjNS0_10empty_typeEbEEZZNS1_14partition_implILS8_4ELb0ES6_15HIP_vector_typeIjLj2EENS0_17counting_iteratorIjlEEPS9_SG_NS0_5tupleIJPjSI_NS0_16reverse_iteratorISI_EEEEENSH_IJSG_SG_SG_EEES9_SI_JZNS1_25segmented_radix_sort_implINS0_14default_configELb1EPK12hip_bfloat16PSP_PKlPlN2at6native12_GLOBAL__N_18offset_tEEE10hipError_tPvRmT1_PNSt15iterator_traitsIS13_E10value_typeET2_T3_PNS14_IS19_E10value_typeET4_jRbjT5_S1F_jjP12ihipStream_tbEUljE_ZNSN_ISO_Lb1ESR_SS_SU_SV_SZ_EES10_S11_S12_S13_S17_S18_S19_S1C_S1D_jS1E_jS1F_S1F_jjS1H_bEUljE0_EEES10_S11_S12_S19_S1D_S1F_T6_T7_T9_mT8_S1H_bDpT10_ENKUlT_T0_E_clISt17integral_constantIbLb1EES1V_EEDaS1Q_S1R_EUlS1Q_E_NS1_11comp_targetILNS1_3genE0ELNS1_11target_archE4294967295ELNS1_3gpuE0ELNS1_3repE0EEENS1_30default_config_static_selectorELNS0_4arch9wavefront6targetE1EEEvS13_.private_seg_size, 0
	.set _ZN7rocprim17ROCPRIM_400000_NS6detail17trampoline_kernelINS0_13select_configILj256ELj13ELNS0_17block_load_methodE3ELS4_3ELS4_3ELNS0_20block_scan_algorithmE0ELj4294967295EEENS1_25partition_config_selectorILNS1_17partition_subalgoE4EjNS0_10empty_typeEbEEZZNS1_14partition_implILS8_4ELb0ES6_15HIP_vector_typeIjLj2EENS0_17counting_iteratorIjlEEPS9_SG_NS0_5tupleIJPjSI_NS0_16reverse_iteratorISI_EEEEENSH_IJSG_SG_SG_EEES9_SI_JZNS1_25segmented_radix_sort_implINS0_14default_configELb1EPK12hip_bfloat16PSP_PKlPlN2at6native12_GLOBAL__N_18offset_tEEE10hipError_tPvRmT1_PNSt15iterator_traitsIS13_E10value_typeET2_T3_PNS14_IS19_E10value_typeET4_jRbjT5_S1F_jjP12ihipStream_tbEUljE_ZNSN_ISO_Lb1ESR_SS_SU_SV_SZ_EES10_S11_S12_S13_S17_S18_S19_S1C_S1D_jS1E_jS1F_S1F_jjS1H_bEUljE0_EEES10_S11_S12_S19_S1D_S1F_T6_T7_T9_mT8_S1H_bDpT10_ENKUlT_T0_E_clISt17integral_constantIbLb1EES1V_EEDaS1Q_S1R_EUlS1Q_E_NS1_11comp_targetILNS1_3genE0ELNS1_11target_archE4294967295ELNS1_3gpuE0ELNS1_3repE0EEENS1_30default_config_static_selectorELNS0_4arch9wavefront6targetE1EEEvS13_.uses_vcc, 0
	.set _ZN7rocprim17ROCPRIM_400000_NS6detail17trampoline_kernelINS0_13select_configILj256ELj13ELNS0_17block_load_methodE3ELS4_3ELS4_3ELNS0_20block_scan_algorithmE0ELj4294967295EEENS1_25partition_config_selectorILNS1_17partition_subalgoE4EjNS0_10empty_typeEbEEZZNS1_14partition_implILS8_4ELb0ES6_15HIP_vector_typeIjLj2EENS0_17counting_iteratorIjlEEPS9_SG_NS0_5tupleIJPjSI_NS0_16reverse_iteratorISI_EEEEENSH_IJSG_SG_SG_EEES9_SI_JZNS1_25segmented_radix_sort_implINS0_14default_configELb1EPK12hip_bfloat16PSP_PKlPlN2at6native12_GLOBAL__N_18offset_tEEE10hipError_tPvRmT1_PNSt15iterator_traitsIS13_E10value_typeET2_T3_PNS14_IS19_E10value_typeET4_jRbjT5_S1F_jjP12ihipStream_tbEUljE_ZNSN_ISO_Lb1ESR_SS_SU_SV_SZ_EES10_S11_S12_S13_S17_S18_S19_S1C_S1D_jS1E_jS1F_S1F_jjS1H_bEUljE0_EEES10_S11_S12_S19_S1D_S1F_T6_T7_T9_mT8_S1H_bDpT10_ENKUlT_T0_E_clISt17integral_constantIbLb1EES1V_EEDaS1Q_S1R_EUlS1Q_E_NS1_11comp_targetILNS1_3genE0ELNS1_11target_archE4294967295ELNS1_3gpuE0ELNS1_3repE0EEENS1_30default_config_static_selectorELNS0_4arch9wavefront6targetE1EEEvS13_.uses_flat_scratch, 0
	.set _ZN7rocprim17ROCPRIM_400000_NS6detail17trampoline_kernelINS0_13select_configILj256ELj13ELNS0_17block_load_methodE3ELS4_3ELS4_3ELNS0_20block_scan_algorithmE0ELj4294967295EEENS1_25partition_config_selectorILNS1_17partition_subalgoE4EjNS0_10empty_typeEbEEZZNS1_14partition_implILS8_4ELb0ES6_15HIP_vector_typeIjLj2EENS0_17counting_iteratorIjlEEPS9_SG_NS0_5tupleIJPjSI_NS0_16reverse_iteratorISI_EEEEENSH_IJSG_SG_SG_EEES9_SI_JZNS1_25segmented_radix_sort_implINS0_14default_configELb1EPK12hip_bfloat16PSP_PKlPlN2at6native12_GLOBAL__N_18offset_tEEE10hipError_tPvRmT1_PNSt15iterator_traitsIS13_E10value_typeET2_T3_PNS14_IS19_E10value_typeET4_jRbjT5_S1F_jjP12ihipStream_tbEUljE_ZNSN_ISO_Lb1ESR_SS_SU_SV_SZ_EES10_S11_S12_S13_S17_S18_S19_S1C_S1D_jS1E_jS1F_S1F_jjS1H_bEUljE0_EEES10_S11_S12_S19_S1D_S1F_T6_T7_T9_mT8_S1H_bDpT10_ENKUlT_T0_E_clISt17integral_constantIbLb1EES1V_EEDaS1Q_S1R_EUlS1Q_E_NS1_11comp_targetILNS1_3genE0ELNS1_11target_archE4294967295ELNS1_3gpuE0ELNS1_3repE0EEENS1_30default_config_static_selectorELNS0_4arch9wavefront6targetE1EEEvS13_.has_dyn_sized_stack, 0
	.set _ZN7rocprim17ROCPRIM_400000_NS6detail17trampoline_kernelINS0_13select_configILj256ELj13ELNS0_17block_load_methodE3ELS4_3ELS4_3ELNS0_20block_scan_algorithmE0ELj4294967295EEENS1_25partition_config_selectorILNS1_17partition_subalgoE4EjNS0_10empty_typeEbEEZZNS1_14partition_implILS8_4ELb0ES6_15HIP_vector_typeIjLj2EENS0_17counting_iteratorIjlEEPS9_SG_NS0_5tupleIJPjSI_NS0_16reverse_iteratorISI_EEEEENSH_IJSG_SG_SG_EEES9_SI_JZNS1_25segmented_radix_sort_implINS0_14default_configELb1EPK12hip_bfloat16PSP_PKlPlN2at6native12_GLOBAL__N_18offset_tEEE10hipError_tPvRmT1_PNSt15iterator_traitsIS13_E10value_typeET2_T3_PNS14_IS19_E10value_typeET4_jRbjT5_S1F_jjP12ihipStream_tbEUljE_ZNSN_ISO_Lb1ESR_SS_SU_SV_SZ_EES10_S11_S12_S13_S17_S18_S19_S1C_S1D_jS1E_jS1F_S1F_jjS1H_bEUljE0_EEES10_S11_S12_S19_S1D_S1F_T6_T7_T9_mT8_S1H_bDpT10_ENKUlT_T0_E_clISt17integral_constantIbLb1EES1V_EEDaS1Q_S1R_EUlS1Q_E_NS1_11comp_targetILNS1_3genE0ELNS1_11target_archE4294967295ELNS1_3gpuE0ELNS1_3repE0EEENS1_30default_config_static_selectorELNS0_4arch9wavefront6targetE1EEEvS13_.has_recursion, 0
	.set _ZN7rocprim17ROCPRIM_400000_NS6detail17trampoline_kernelINS0_13select_configILj256ELj13ELNS0_17block_load_methodE3ELS4_3ELS4_3ELNS0_20block_scan_algorithmE0ELj4294967295EEENS1_25partition_config_selectorILNS1_17partition_subalgoE4EjNS0_10empty_typeEbEEZZNS1_14partition_implILS8_4ELb0ES6_15HIP_vector_typeIjLj2EENS0_17counting_iteratorIjlEEPS9_SG_NS0_5tupleIJPjSI_NS0_16reverse_iteratorISI_EEEEENSH_IJSG_SG_SG_EEES9_SI_JZNS1_25segmented_radix_sort_implINS0_14default_configELb1EPK12hip_bfloat16PSP_PKlPlN2at6native12_GLOBAL__N_18offset_tEEE10hipError_tPvRmT1_PNSt15iterator_traitsIS13_E10value_typeET2_T3_PNS14_IS19_E10value_typeET4_jRbjT5_S1F_jjP12ihipStream_tbEUljE_ZNSN_ISO_Lb1ESR_SS_SU_SV_SZ_EES10_S11_S12_S13_S17_S18_S19_S1C_S1D_jS1E_jS1F_S1F_jjS1H_bEUljE0_EEES10_S11_S12_S19_S1D_S1F_T6_T7_T9_mT8_S1H_bDpT10_ENKUlT_T0_E_clISt17integral_constantIbLb1EES1V_EEDaS1Q_S1R_EUlS1Q_E_NS1_11comp_targetILNS1_3genE0ELNS1_11target_archE4294967295ELNS1_3gpuE0ELNS1_3repE0EEENS1_30default_config_static_selectorELNS0_4arch9wavefront6targetE1EEEvS13_.has_indirect_call, 0
	.section	.AMDGPU.csdata,"",@progbits
; Kernel info:
; codeLenInByte = 0
; TotalNumSgprs: 4
; NumVgprs: 0
; ScratchSize: 0
; MemoryBound: 0
; FloatMode: 240
; IeeeMode: 1
; LDSByteSize: 0 bytes/workgroup (compile time only)
; SGPRBlocks: 0
; VGPRBlocks: 0
; NumSGPRsForWavesPerEU: 4
; NumVGPRsForWavesPerEU: 1
; Occupancy: 10
; WaveLimiterHint : 0
; COMPUTE_PGM_RSRC2:SCRATCH_EN: 0
; COMPUTE_PGM_RSRC2:USER_SGPR: 6
; COMPUTE_PGM_RSRC2:TRAP_HANDLER: 0
; COMPUTE_PGM_RSRC2:TGID_X_EN: 1
; COMPUTE_PGM_RSRC2:TGID_Y_EN: 0
; COMPUTE_PGM_RSRC2:TGID_Z_EN: 0
; COMPUTE_PGM_RSRC2:TIDIG_COMP_CNT: 0
	.section	.text._ZN7rocprim17ROCPRIM_400000_NS6detail17trampoline_kernelINS0_13select_configILj256ELj13ELNS0_17block_load_methodE3ELS4_3ELS4_3ELNS0_20block_scan_algorithmE0ELj4294967295EEENS1_25partition_config_selectorILNS1_17partition_subalgoE4EjNS0_10empty_typeEbEEZZNS1_14partition_implILS8_4ELb0ES6_15HIP_vector_typeIjLj2EENS0_17counting_iteratorIjlEEPS9_SG_NS0_5tupleIJPjSI_NS0_16reverse_iteratorISI_EEEEENSH_IJSG_SG_SG_EEES9_SI_JZNS1_25segmented_radix_sort_implINS0_14default_configELb1EPK12hip_bfloat16PSP_PKlPlN2at6native12_GLOBAL__N_18offset_tEEE10hipError_tPvRmT1_PNSt15iterator_traitsIS13_E10value_typeET2_T3_PNS14_IS19_E10value_typeET4_jRbjT5_S1F_jjP12ihipStream_tbEUljE_ZNSN_ISO_Lb1ESR_SS_SU_SV_SZ_EES10_S11_S12_S13_S17_S18_S19_S1C_S1D_jS1E_jS1F_S1F_jjS1H_bEUljE0_EEES10_S11_S12_S19_S1D_S1F_T6_T7_T9_mT8_S1H_bDpT10_ENKUlT_T0_E_clISt17integral_constantIbLb1EES1V_EEDaS1Q_S1R_EUlS1Q_E_NS1_11comp_targetILNS1_3genE5ELNS1_11target_archE942ELNS1_3gpuE9ELNS1_3repE0EEENS1_30default_config_static_selectorELNS0_4arch9wavefront6targetE1EEEvS13_,"axG",@progbits,_ZN7rocprim17ROCPRIM_400000_NS6detail17trampoline_kernelINS0_13select_configILj256ELj13ELNS0_17block_load_methodE3ELS4_3ELS4_3ELNS0_20block_scan_algorithmE0ELj4294967295EEENS1_25partition_config_selectorILNS1_17partition_subalgoE4EjNS0_10empty_typeEbEEZZNS1_14partition_implILS8_4ELb0ES6_15HIP_vector_typeIjLj2EENS0_17counting_iteratorIjlEEPS9_SG_NS0_5tupleIJPjSI_NS0_16reverse_iteratorISI_EEEEENSH_IJSG_SG_SG_EEES9_SI_JZNS1_25segmented_radix_sort_implINS0_14default_configELb1EPK12hip_bfloat16PSP_PKlPlN2at6native12_GLOBAL__N_18offset_tEEE10hipError_tPvRmT1_PNSt15iterator_traitsIS13_E10value_typeET2_T3_PNS14_IS19_E10value_typeET4_jRbjT5_S1F_jjP12ihipStream_tbEUljE_ZNSN_ISO_Lb1ESR_SS_SU_SV_SZ_EES10_S11_S12_S13_S17_S18_S19_S1C_S1D_jS1E_jS1F_S1F_jjS1H_bEUljE0_EEES10_S11_S12_S19_S1D_S1F_T6_T7_T9_mT8_S1H_bDpT10_ENKUlT_T0_E_clISt17integral_constantIbLb1EES1V_EEDaS1Q_S1R_EUlS1Q_E_NS1_11comp_targetILNS1_3genE5ELNS1_11target_archE942ELNS1_3gpuE9ELNS1_3repE0EEENS1_30default_config_static_selectorELNS0_4arch9wavefront6targetE1EEEvS13_,comdat
	.globl	_ZN7rocprim17ROCPRIM_400000_NS6detail17trampoline_kernelINS0_13select_configILj256ELj13ELNS0_17block_load_methodE3ELS4_3ELS4_3ELNS0_20block_scan_algorithmE0ELj4294967295EEENS1_25partition_config_selectorILNS1_17partition_subalgoE4EjNS0_10empty_typeEbEEZZNS1_14partition_implILS8_4ELb0ES6_15HIP_vector_typeIjLj2EENS0_17counting_iteratorIjlEEPS9_SG_NS0_5tupleIJPjSI_NS0_16reverse_iteratorISI_EEEEENSH_IJSG_SG_SG_EEES9_SI_JZNS1_25segmented_radix_sort_implINS0_14default_configELb1EPK12hip_bfloat16PSP_PKlPlN2at6native12_GLOBAL__N_18offset_tEEE10hipError_tPvRmT1_PNSt15iterator_traitsIS13_E10value_typeET2_T3_PNS14_IS19_E10value_typeET4_jRbjT5_S1F_jjP12ihipStream_tbEUljE_ZNSN_ISO_Lb1ESR_SS_SU_SV_SZ_EES10_S11_S12_S13_S17_S18_S19_S1C_S1D_jS1E_jS1F_S1F_jjS1H_bEUljE0_EEES10_S11_S12_S19_S1D_S1F_T6_T7_T9_mT8_S1H_bDpT10_ENKUlT_T0_E_clISt17integral_constantIbLb1EES1V_EEDaS1Q_S1R_EUlS1Q_E_NS1_11comp_targetILNS1_3genE5ELNS1_11target_archE942ELNS1_3gpuE9ELNS1_3repE0EEENS1_30default_config_static_selectorELNS0_4arch9wavefront6targetE1EEEvS13_ ; -- Begin function _ZN7rocprim17ROCPRIM_400000_NS6detail17trampoline_kernelINS0_13select_configILj256ELj13ELNS0_17block_load_methodE3ELS4_3ELS4_3ELNS0_20block_scan_algorithmE0ELj4294967295EEENS1_25partition_config_selectorILNS1_17partition_subalgoE4EjNS0_10empty_typeEbEEZZNS1_14partition_implILS8_4ELb0ES6_15HIP_vector_typeIjLj2EENS0_17counting_iteratorIjlEEPS9_SG_NS0_5tupleIJPjSI_NS0_16reverse_iteratorISI_EEEEENSH_IJSG_SG_SG_EEES9_SI_JZNS1_25segmented_radix_sort_implINS0_14default_configELb1EPK12hip_bfloat16PSP_PKlPlN2at6native12_GLOBAL__N_18offset_tEEE10hipError_tPvRmT1_PNSt15iterator_traitsIS13_E10value_typeET2_T3_PNS14_IS19_E10value_typeET4_jRbjT5_S1F_jjP12ihipStream_tbEUljE_ZNSN_ISO_Lb1ESR_SS_SU_SV_SZ_EES10_S11_S12_S13_S17_S18_S19_S1C_S1D_jS1E_jS1F_S1F_jjS1H_bEUljE0_EEES10_S11_S12_S19_S1D_S1F_T6_T7_T9_mT8_S1H_bDpT10_ENKUlT_T0_E_clISt17integral_constantIbLb1EES1V_EEDaS1Q_S1R_EUlS1Q_E_NS1_11comp_targetILNS1_3genE5ELNS1_11target_archE942ELNS1_3gpuE9ELNS1_3repE0EEENS1_30default_config_static_selectorELNS0_4arch9wavefront6targetE1EEEvS13_
	.p2align	8
	.type	_ZN7rocprim17ROCPRIM_400000_NS6detail17trampoline_kernelINS0_13select_configILj256ELj13ELNS0_17block_load_methodE3ELS4_3ELS4_3ELNS0_20block_scan_algorithmE0ELj4294967295EEENS1_25partition_config_selectorILNS1_17partition_subalgoE4EjNS0_10empty_typeEbEEZZNS1_14partition_implILS8_4ELb0ES6_15HIP_vector_typeIjLj2EENS0_17counting_iteratorIjlEEPS9_SG_NS0_5tupleIJPjSI_NS0_16reverse_iteratorISI_EEEEENSH_IJSG_SG_SG_EEES9_SI_JZNS1_25segmented_radix_sort_implINS0_14default_configELb1EPK12hip_bfloat16PSP_PKlPlN2at6native12_GLOBAL__N_18offset_tEEE10hipError_tPvRmT1_PNSt15iterator_traitsIS13_E10value_typeET2_T3_PNS14_IS19_E10value_typeET4_jRbjT5_S1F_jjP12ihipStream_tbEUljE_ZNSN_ISO_Lb1ESR_SS_SU_SV_SZ_EES10_S11_S12_S13_S17_S18_S19_S1C_S1D_jS1E_jS1F_S1F_jjS1H_bEUljE0_EEES10_S11_S12_S19_S1D_S1F_T6_T7_T9_mT8_S1H_bDpT10_ENKUlT_T0_E_clISt17integral_constantIbLb1EES1V_EEDaS1Q_S1R_EUlS1Q_E_NS1_11comp_targetILNS1_3genE5ELNS1_11target_archE942ELNS1_3gpuE9ELNS1_3repE0EEENS1_30default_config_static_selectorELNS0_4arch9wavefront6targetE1EEEvS13_,@function
_ZN7rocprim17ROCPRIM_400000_NS6detail17trampoline_kernelINS0_13select_configILj256ELj13ELNS0_17block_load_methodE3ELS4_3ELS4_3ELNS0_20block_scan_algorithmE0ELj4294967295EEENS1_25partition_config_selectorILNS1_17partition_subalgoE4EjNS0_10empty_typeEbEEZZNS1_14partition_implILS8_4ELb0ES6_15HIP_vector_typeIjLj2EENS0_17counting_iteratorIjlEEPS9_SG_NS0_5tupleIJPjSI_NS0_16reverse_iteratorISI_EEEEENSH_IJSG_SG_SG_EEES9_SI_JZNS1_25segmented_radix_sort_implINS0_14default_configELb1EPK12hip_bfloat16PSP_PKlPlN2at6native12_GLOBAL__N_18offset_tEEE10hipError_tPvRmT1_PNSt15iterator_traitsIS13_E10value_typeET2_T3_PNS14_IS19_E10value_typeET4_jRbjT5_S1F_jjP12ihipStream_tbEUljE_ZNSN_ISO_Lb1ESR_SS_SU_SV_SZ_EES10_S11_S12_S13_S17_S18_S19_S1C_S1D_jS1E_jS1F_S1F_jjS1H_bEUljE0_EEES10_S11_S12_S19_S1D_S1F_T6_T7_T9_mT8_S1H_bDpT10_ENKUlT_T0_E_clISt17integral_constantIbLb1EES1V_EEDaS1Q_S1R_EUlS1Q_E_NS1_11comp_targetILNS1_3genE5ELNS1_11target_archE942ELNS1_3gpuE9ELNS1_3repE0EEENS1_30default_config_static_selectorELNS0_4arch9wavefront6targetE1EEEvS13_: ; @_ZN7rocprim17ROCPRIM_400000_NS6detail17trampoline_kernelINS0_13select_configILj256ELj13ELNS0_17block_load_methodE3ELS4_3ELS4_3ELNS0_20block_scan_algorithmE0ELj4294967295EEENS1_25partition_config_selectorILNS1_17partition_subalgoE4EjNS0_10empty_typeEbEEZZNS1_14partition_implILS8_4ELb0ES6_15HIP_vector_typeIjLj2EENS0_17counting_iteratorIjlEEPS9_SG_NS0_5tupleIJPjSI_NS0_16reverse_iteratorISI_EEEEENSH_IJSG_SG_SG_EEES9_SI_JZNS1_25segmented_radix_sort_implINS0_14default_configELb1EPK12hip_bfloat16PSP_PKlPlN2at6native12_GLOBAL__N_18offset_tEEE10hipError_tPvRmT1_PNSt15iterator_traitsIS13_E10value_typeET2_T3_PNS14_IS19_E10value_typeET4_jRbjT5_S1F_jjP12ihipStream_tbEUljE_ZNSN_ISO_Lb1ESR_SS_SU_SV_SZ_EES10_S11_S12_S13_S17_S18_S19_S1C_S1D_jS1E_jS1F_S1F_jjS1H_bEUljE0_EEES10_S11_S12_S19_S1D_S1F_T6_T7_T9_mT8_S1H_bDpT10_ENKUlT_T0_E_clISt17integral_constantIbLb1EES1V_EEDaS1Q_S1R_EUlS1Q_E_NS1_11comp_targetILNS1_3genE5ELNS1_11target_archE942ELNS1_3gpuE9ELNS1_3repE0EEENS1_30default_config_static_selectorELNS0_4arch9wavefront6targetE1EEEvS13_
; %bb.0:
	.section	.rodata,"a",@progbits
	.p2align	6, 0x0
	.amdhsa_kernel _ZN7rocprim17ROCPRIM_400000_NS6detail17trampoline_kernelINS0_13select_configILj256ELj13ELNS0_17block_load_methodE3ELS4_3ELS4_3ELNS0_20block_scan_algorithmE0ELj4294967295EEENS1_25partition_config_selectorILNS1_17partition_subalgoE4EjNS0_10empty_typeEbEEZZNS1_14partition_implILS8_4ELb0ES6_15HIP_vector_typeIjLj2EENS0_17counting_iteratorIjlEEPS9_SG_NS0_5tupleIJPjSI_NS0_16reverse_iteratorISI_EEEEENSH_IJSG_SG_SG_EEES9_SI_JZNS1_25segmented_radix_sort_implINS0_14default_configELb1EPK12hip_bfloat16PSP_PKlPlN2at6native12_GLOBAL__N_18offset_tEEE10hipError_tPvRmT1_PNSt15iterator_traitsIS13_E10value_typeET2_T3_PNS14_IS19_E10value_typeET4_jRbjT5_S1F_jjP12ihipStream_tbEUljE_ZNSN_ISO_Lb1ESR_SS_SU_SV_SZ_EES10_S11_S12_S13_S17_S18_S19_S1C_S1D_jS1E_jS1F_S1F_jjS1H_bEUljE0_EEES10_S11_S12_S19_S1D_S1F_T6_T7_T9_mT8_S1H_bDpT10_ENKUlT_T0_E_clISt17integral_constantIbLb1EES1V_EEDaS1Q_S1R_EUlS1Q_E_NS1_11comp_targetILNS1_3genE5ELNS1_11target_archE942ELNS1_3gpuE9ELNS1_3repE0EEENS1_30default_config_static_selectorELNS0_4arch9wavefront6targetE1EEEvS13_
		.amdhsa_group_segment_fixed_size 0
		.amdhsa_private_segment_fixed_size 0
		.amdhsa_kernarg_size 184
		.amdhsa_user_sgpr_count 6
		.amdhsa_user_sgpr_private_segment_buffer 1
		.amdhsa_user_sgpr_dispatch_ptr 0
		.amdhsa_user_sgpr_queue_ptr 0
		.amdhsa_user_sgpr_kernarg_segment_ptr 1
		.amdhsa_user_sgpr_dispatch_id 0
		.amdhsa_user_sgpr_flat_scratch_init 0
		.amdhsa_user_sgpr_private_segment_size 0
		.amdhsa_uses_dynamic_stack 0
		.amdhsa_system_sgpr_private_segment_wavefront_offset 0
		.amdhsa_system_sgpr_workgroup_id_x 1
		.amdhsa_system_sgpr_workgroup_id_y 0
		.amdhsa_system_sgpr_workgroup_id_z 0
		.amdhsa_system_sgpr_workgroup_info 0
		.amdhsa_system_vgpr_workitem_id 0
		.amdhsa_next_free_vgpr 1
		.amdhsa_next_free_sgpr 0
		.amdhsa_reserve_vcc 0
		.amdhsa_reserve_flat_scratch 0
		.amdhsa_float_round_mode_32 0
		.amdhsa_float_round_mode_16_64 0
		.amdhsa_float_denorm_mode_32 3
		.amdhsa_float_denorm_mode_16_64 3
		.amdhsa_dx10_clamp 1
		.amdhsa_ieee_mode 1
		.amdhsa_fp16_overflow 0
		.amdhsa_exception_fp_ieee_invalid_op 0
		.amdhsa_exception_fp_denorm_src 0
		.amdhsa_exception_fp_ieee_div_zero 0
		.amdhsa_exception_fp_ieee_overflow 0
		.amdhsa_exception_fp_ieee_underflow 0
		.amdhsa_exception_fp_ieee_inexact 0
		.amdhsa_exception_int_div_zero 0
	.end_amdhsa_kernel
	.section	.text._ZN7rocprim17ROCPRIM_400000_NS6detail17trampoline_kernelINS0_13select_configILj256ELj13ELNS0_17block_load_methodE3ELS4_3ELS4_3ELNS0_20block_scan_algorithmE0ELj4294967295EEENS1_25partition_config_selectorILNS1_17partition_subalgoE4EjNS0_10empty_typeEbEEZZNS1_14partition_implILS8_4ELb0ES6_15HIP_vector_typeIjLj2EENS0_17counting_iteratorIjlEEPS9_SG_NS0_5tupleIJPjSI_NS0_16reverse_iteratorISI_EEEEENSH_IJSG_SG_SG_EEES9_SI_JZNS1_25segmented_radix_sort_implINS0_14default_configELb1EPK12hip_bfloat16PSP_PKlPlN2at6native12_GLOBAL__N_18offset_tEEE10hipError_tPvRmT1_PNSt15iterator_traitsIS13_E10value_typeET2_T3_PNS14_IS19_E10value_typeET4_jRbjT5_S1F_jjP12ihipStream_tbEUljE_ZNSN_ISO_Lb1ESR_SS_SU_SV_SZ_EES10_S11_S12_S13_S17_S18_S19_S1C_S1D_jS1E_jS1F_S1F_jjS1H_bEUljE0_EEES10_S11_S12_S19_S1D_S1F_T6_T7_T9_mT8_S1H_bDpT10_ENKUlT_T0_E_clISt17integral_constantIbLb1EES1V_EEDaS1Q_S1R_EUlS1Q_E_NS1_11comp_targetILNS1_3genE5ELNS1_11target_archE942ELNS1_3gpuE9ELNS1_3repE0EEENS1_30default_config_static_selectorELNS0_4arch9wavefront6targetE1EEEvS13_,"axG",@progbits,_ZN7rocprim17ROCPRIM_400000_NS6detail17trampoline_kernelINS0_13select_configILj256ELj13ELNS0_17block_load_methodE3ELS4_3ELS4_3ELNS0_20block_scan_algorithmE0ELj4294967295EEENS1_25partition_config_selectorILNS1_17partition_subalgoE4EjNS0_10empty_typeEbEEZZNS1_14partition_implILS8_4ELb0ES6_15HIP_vector_typeIjLj2EENS0_17counting_iteratorIjlEEPS9_SG_NS0_5tupleIJPjSI_NS0_16reverse_iteratorISI_EEEEENSH_IJSG_SG_SG_EEES9_SI_JZNS1_25segmented_radix_sort_implINS0_14default_configELb1EPK12hip_bfloat16PSP_PKlPlN2at6native12_GLOBAL__N_18offset_tEEE10hipError_tPvRmT1_PNSt15iterator_traitsIS13_E10value_typeET2_T3_PNS14_IS19_E10value_typeET4_jRbjT5_S1F_jjP12ihipStream_tbEUljE_ZNSN_ISO_Lb1ESR_SS_SU_SV_SZ_EES10_S11_S12_S13_S17_S18_S19_S1C_S1D_jS1E_jS1F_S1F_jjS1H_bEUljE0_EEES10_S11_S12_S19_S1D_S1F_T6_T7_T9_mT8_S1H_bDpT10_ENKUlT_T0_E_clISt17integral_constantIbLb1EES1V_EEDaS1Q_S1R_EUlS1Q_E_NS1_11comp_targetILNS1_3genE5ELNS1_11target_archE942ELNS1_3gpuE9ELNS1_3repE0EEENS1_30default_config_static_selectorELNS0_4arch9wavefront6targetE1EEEvS13_,comdat
.Lfunc_end1891:
	.size	_ZN7rocprim17ROCPRIM_400000_NS6detail17trampoline_kernelINS0_13select_configILj256ELj13ELNS0_17block_load_methodE3ELS4_3ELS4_3ELNS0_20block_scan_algorithmE0ELj4294967295EEENS1_25partition_config_selectorILNS1_17partition_subalgoE4EjNS0_10empty_typeEbEEZZNS1_14partition_implILS8_4ELb0ES6_15HIP_vector_typeIjLj2EENS0_17counting_iteratorIjlEEPS9_SG_NS0_5tupleIJPjSI_NS0_16reverse_iteratorISI_EEEEENSH_IJSG_SG_SG_EEES9_SI_JZNS1_25segmented_radix_sort_implINS0_14default_configELb1EPK12hip_bfloat16PSP_PKlPlN2at6native12_GLOBAL__N_18offset_tEEE10hipError_tPvRmT1_PNSt15iterator_traitsIS13_E10value_typeET2_T3_PNS14_IS19_E10value_typeET4_jRbjT5_S1F_jjP12ihipStream_tbEUljE_ZNSN_ISO_Lb1ESR_SS_SU_SV_SZ_EES10_S11_S12_S13_S17_S18_S19_S1C_S1D_jS1E_jS1F_S1F_jjS1H_bEUljE0_EEES10_S11_S12_S19_S1D_S1F_T6_T7_T9_mT8_S1H_bDpT10_ENKUlT_T0_E_clISt17integral_constantIbLb1EES1V_EEDaS1Q_S1R_EUlS1Q_E_NS1_11comp_targetILNS1_3genE5ELNS1_11target_archE942ELNS1_3gpuE9ELNS1_3repE0EEENS1_30default_config_static_selectorELNS0_4arch9wavefront6targetE1EEEvS13_, .Lfunc_end1891-_ZN7rocprim17ROCPRIM_400000_NS6detail17trampoline_kernelINS0_13select_configILj256ELj13ELNS0_17block_load_methodE3ELS4_3ELS4_3ELNS0_20block_scan_algorithmE0ELj4294967295EEENS1_25partition_config_selectorILNS1_17partition_subalgoE4EjNS0_10empty_typeEbEEZZNS1_14partition_implILS8_4ELb0ES6_15HIP_vector_typeIjLj2EENS0_17counting_iteratorIjlEEPS9_SG_NS0_5tupleIJPjSI_NS0_16reverse_iteratorISI_EEEEENSH_IJSG_SG_SG_EEES9_SI_JZNS1_25segmented_radix_sort_implINS0_14default_configELb1EPK12hip_bfloat16PSP_PKlPlN2at6native12_GLOBAL__N_18offset_tEEE10hipError_tPvRmT1_PNSt15iterator_traitsIS13_E10value_typeET2_T3_PNS14_IS19_E10value_typeET4_jRbjT5_S1F_jjP12ihipStream_tbEUljE_ZNSN_ISO_Lb1ESR_SS_SU_SV_SZ_EES10_S11_S12_S13_S17_S18_S19_S1C_S1D_jS1E_jS1F_S1F_jjS1H_bEUljE0_EEES10_S11_S12_S19_S1D_S1F_T6_T7_T9_mT8_S1H_bDpT10_ENKUlT_T0_E_clISt17integral_constantIbLb1EES1V_EEDaS1Q_S1R_EUlS1Q_E_NS1_11comp_targetILNS1_3genE5ELNS1_11target_archE942ELNS1_3gpuE9ELNS1_3repE0EEENS1_30default_config_static_selectorELNS0_4arch9wavefront6targetE1EEEvS13_
                                        ; -- End function
	.set _ZN7rocprim17ROCPRIM_400000_NS6detail17trampoline_kernelINS0_13select_configILj256ELj13ELNS0_17block_load_methodE3ELS4_3ELS4_3ELNS0_20block_scan_algorithmE0ELj4294967295EEENS1_25partition_config_selectorILNS1_17partition_subalgoE4EjNS0_10empty_typeEbEEZZNS1_14partition_implILS8_4ELb0ES6_15HIP_vector_typeIjLj2EENS0_17counting_iteratorIjlEEPS9_SG_NS0_5tupleIJPjSI_NS0_16reverse_iteratorISI_EEEEENSH_IJSG_SG_SG_EEES9_SI_JZNS1_25segmented_radix_sort_implINS0_14default_configELb1EPK12hip_bfloat16PSP_PKlPlN2at6native12_GLOBAL__N_18offset_tEEE10hipError_tPvRmT1_PNSt15iterator_traitsIS13_E10value_typeET2_T3_PNS14_IS19_E10value_typeET4_jRbjT5_S1F_jjP12ihipStream_tbEUljE_ZNSN_ISO_Lb1ESR_SS_SU_SV_SZ_EES10_S11_S12_S13_S17_S18_S19_S1C_S1D_jS1E_jS1F_S1F_jjS1H_bEUljE0_EEES10_S11_S12_S19_S1D_S1F_T6_T7_T9_mT8_S1H_bDpT10_ENKUlT_T0_E_clISt17integral_constantIbLb1EES1V_EEDaS1Q_S1R_EUlS1Q_E_NS1_11comp_targetILNS1_3genE5ELNS1_11target_archE942ELNS1_3gpuE9ELNS1_3repE0EEENS1_30default_config_static_selectorELNS0_4arch9wavefront6targetE1EEEvS13_.num_vgpr, 0
	.set _ZN7rocprim17ROCPRIM_400000_NS6detail17trampoline_kernelINS0_13select_configILj256ELj13ELNS0_17block_load_methodE3ELS4_3ELS4_3ELNS0_20block_scan_algorithmE0ELj4294967295EEENS1_25partition_config_selectorILNS1_17partition_subalgoE4EjNS0_10empty_typeEbEEZZNS1_14partition_implILS8_4ELb0ES6_15HIP_vector_typeIjLj2EENS0_17counting_iteratorIjlEEPS9_SG_NS0_5tupleIJPjSI_NS0_16reverse_iteratorISI_EEEEENSH_IJSG_SG_SG_EEES9_SI_JZNS1_25segmented_radix_sort_implINS0_14default_configELb1EPK12hip_bfloat16PSP_PKlPlN2at6native12_GLOBAL__N_18offset_tEEE10hipError_tPvRmT1_PNSt15iterator_traitsIS13_E10value_typeET2_T3_PNS14_IS19_E10value_typeET4_jRbjT5_S1F_jjP12ihipStream_tbEUljE_ZNSN_ISO_Lb1ESR_SS_SU_SV_SZ_EES10_S11_S12_S13_S17_S18_S19_S1C_S1D_jS1E_jS1F_S1F_jjS1H_bEUljE0_EEES10_S11_S12_S19_S1D_S1F_T6_T7_T9_mT8_S1H_bDpT10_ENKUlT_T0_E_clISt17integral_constantIbLb1EES1V_EEDaS1Q_S1R_EUlS1Q_E_NS1_11comp_targetILNS1_3genE5ELNS1_11target_archE942ELNS1_3gpuE9ELNS1_3repE0EEENS1_30default_config_static_selectorELNS0_4arch9wavefront6targetE1EEEvS13_.num_agpr, 0
	.set _ZN7rocprim17ROCPRIM_400000_NS6detail17trampoline_kernelINS0_13select_configILj256ELj13ELNS0_17block_load_methodE3ELS4_3ELS4_3ELNS0_20block_scan_algorithmE0ELj4294967295EEENS1_25partition_config_selectorILNS1_17partition_subalgoE4EjNS0_10empty_typeEbEEZZNS1_14partition_implILS8_4ELb0ES6_15HIP_vector_typeIjLj2EENS0_17counting_iteratorIjlEEPS9_SG_NS0_5tupleIJPjSI_NS0_16reverse_iteratorISI_EEEEENSH_IJSG_SG_SG_EEES9_SI_JZNS1_25segmented_radix_sort_implINS0_14default_configELb1EPK12hip_bfloat16PSP_PKlPlN2at6native12_GLOBAL__N_18offset_tEEE10hipError_tPvRmT1_PNSt15iterator_traitsIS13_E10value_typeET2_T3_PNS14_IS19_E10value_typeET4_jRbjT5_S1F_jjP12ihipStream_tbEUljE_ZNSN_ISO_Lb1ESR_SS_SU_SV_SZ_EES10_S11_S12_S13_S17_S18_S19_S1C_S1D_jS1E_jS1F_S1F_jjS1H_bEUljE0_EEES10_S11_S12_S19_S1D_S1F_T6_T7_T9_mT8_S1H_bDpT10_ENKUlT_T0_E_clISt17integral_constantIbLb1EES1V_EEDaS1Q_S1R_EUlS1Q_E_NS1_11comp_targetILNS1_3genE5ELNS1_11target_archE942ELNS1_3gpuE9ELNS1_3repE0EEENS1_30default_config_static_selectorELNS0_4arch9wavefront6targetE1EEEvS13_.numbered_sgpr, 0
	.set _ZN7rocprim17ROCPRIM_400000_NS6detail17trampoline_kernelINS0_13select_configILj256ELj13ELNS0_17block_load_methodE3ELS4_3ELS4_3ELNS0_20block_scan_algorithmE0ELj4294967295EEENS1_25partition_config_selectorILNS1_17partition_subalgoE4EjNS0_10empty_typeEbEEZZNS1_14partition_implILS8_4ELb0ES6_15HIP_vector_typeIjLj2EENS0_17counting_iteratorIjlEEPS9_SG_NS0_5tupleIJPjSI_NS0_16reverse_iteratorISI_EEEEENSH_IJSG_SG_SG_EEES9_SI_JZNS1_25segmented_radix_sort_implINS0_14default_configELb1EPK12hip_bfloat16PSP_PKlPlN2at6native12_GLOBAL__N_18offset_tEEE10hipError_tPvRmT1_PNSt15iterator_traitsIS13_E10value_typeET2_T3_PNS14_IS19_E10value_typeET4_jRbjT5_S1F_jjP12ihipStream_tbEUljE_ZNSN_ISO_Lb1ESR_SS_SU_SV_SZ_EES10_S11_S12_S13_S17_S18_S19_S1C_S1D_jS1E_jS1F_S1F_jjS1H_bEUljE0_EEES10_S11_S12_S19_S1D_S1F_T6_T7_T9_mT8_S1H_bDpT10_ENKUlT_T0_E_clISt17integral_constantIbLb1EES1V_EEDaS1Q_S1R_EUlS1Q_E_NS1_11comp_targetILNS1_3genE5ELNS1_11target_archE942ELNS1_3gpuE9ELNS1_3repE0EEENS1_30default_config_static_selectorELNS0_4arch9wavefront6targetE1EEEvS13_.num_named_barrier, 0
	.set _ZN7rocprim17ROCPRIM_400000_NS6detail17trampoline_kernelINS0_13select_configILj256ELj13ELNS0_17block_load_methodE3ELS4_3ELS4_3ELNS0_20block_scan_algorithmE0ELj4294967295EEENS1_25partition_config_selectorILNS1_17partition_subalgoE4EjNS0_10empty_typeEbEEZZNS1_14partition_implILS8_4ELb0ES6_15HIP_vector_typeIjLj2EENS0_17counting_iteratorIjlEEPS9_SG_NS0_5tupleIJPjSI_NS0_16reverse_iteratorISI_EEEEENSH_IJSG_SG_SG_EEES9_SI_JZNS1_25segmented_radix_sort_implINS0_14default_configELb1EPK12hip_bfloat16PSP_PKlPlN2at6native12_GLOBAL__N_18offset_tEEE10hipError_tPvRmT1_PNSt15iterator_traitsIS13_E10value_typeET2_T3_PNS14_IS19_E10value_typeET4_jRbjT5_S1F_jjP12ihipStream_tbEUljE_ZNSN_ISO_Lb1ESR_SS_SU_SV_SZ_EES10_S11_S12_S13_S17_S18_S19_S1C_S1D_jS1E_jS1F_S1F_jjS1H_bEUljE0_EEES10_S11_S12_S19_S1D_S1F_T6_T7_T9_mT8_S1H_bDpT10_ENKUlT_T0_E_clISt17integral_constantIbLb1EES1V_EEDaS1Q_S1R_EUlS1Q_E_NS1_11comp_targetILNS1_3genE5ELNS1_11target_archE942ELNS1_3gpuE9ELNS1_3repE0EEENS1_30default_config_static_selectorELNS0_4arch9wavefront6targetE1EEEvS13_.private_seg_size, 0
	.set _ZN7rocprim17ROCPRIM_400000_NS6detail17trampoline_kernelINS0_13select_configILj256ELj13ELNS0_17block_load_methodE3ELS4_3ELS4_3ELNS0_20block_scan_algorithmE0ELj4294967295EEENS1_25partition_config_selectorILNS1_17partition_subalgoE4EjNS0_10empty_typeEbEEZZNS1_14partition_implILS8_4ELb0ES6_15HIP_vector_typeIjLj2EENS0_17counting_iteratorIjlEEPS9_SG_NS0_5tupleIJPjSI_NS0_16reverse_iteratorISI_EEEEENSH_IJSG_SG_SG_EEES9_SI_JZNS1_25segmented_radix_sort_implINS0_14default_configELb1EPK12hip_bfloat16PSP_PKlPlN2at6native12_GLOBAL__N_18offset_tEEE10hipError_tPvRmT1_PNSt15iterator_traitsIS13_E10value_typeET2_T3_PNS14_IS19_E10value_typeET4_jRbjT5_S1F_jjP12ihipStream_tbEUljE_ZNSN_ISO_Lb1ESR_SS_SU_SV_SZ_EES10_S11_S12_S13_S17_S18_S19_S1C_S1D_jS1E_jS1F_S1F_jjS1H_bEUljE0_EEES10_S11_S12_S19_S1D_S1F_T6_T7_T9_mT8_S1H_bDpT10_ENKUlT_T0_E_clISt17integral_constantIbLb1EES1V_EEDaS1Q_S1R_EUlS1Q_E_NS1_11comp_targetILNS1_3genE5ELNS1_11target_archE942ELNS1_3gpuE9ELNS1_3repE0EEENS1_30default_config_static_selectorELNS0_4arch9wavefront6targetE1EEEvS13_.uses_vcc, 0
	.set _ZN7rocprim17ROCPRIM_400000_NS6detail17trampoline_kernelINS0_13select_configILj256ELj13ELNS0_17block_load_methodE3ELS4_3ELS4_3ELNS0_20block_scan_algorithmE0ELj4294967295EEENS1_25partition_config_selectorILNS1_17partition_subalgoE4EjNS0_10empty_typeEbEEZZNS1_14partition_implILS8_4ELb0ES6_15HIP_vector_typeIjLj2EENS0_17counting_iteratorIjlEEPS9_SG_NS0_5tupleIJPjSI_NS0_16reverse_iteratorISI_EEEEENSH_IJSG_SG_SG_EEES9_SI_JZNS1_25segmented_radix_sort_implINS0_14default_configELb1EPK12hip_bfloat16PSP_PKlPlN2at6native12_GLOBAL__N_18offset_tEEE10hipError_tPvRmT1_PNSt15iterator_traitsIS13_E10value_typeET2_T3_PNS14_IS19_E10value_typeET4_jRbjT5_S1F_jjP12ihipStream_tbEUljE_ZNSN_ISO_Lb1ESR_SS_SU_SV_SZ_EES10_S11_S12_S13_S17_S18_S19_S1C_S1D_jS1E_jS1F_S1F_jjS1H_bEUljE0_EEES10_S11_S12_S19_S1D_S1F_T6_T7_T9_mT8_S1H_bDpT10_ENKUlT_T0_E_clISt17integral_constantIbLb1EES1V_EEDaS1Q_S1R_EUlS1Q_E_NS1_11comp_targetILNS1_3genE5ELNS1_11target_archE942ELNS1_3gpuE9ELNS1_3repE0EEENS1_30default_config_static_selectorELNS0_4arch9wavefront6targetE1EEEvS13_.uses_flat_scratch, 0
	.set _ZN7rocprim17ROCPRIM_400000_NS6detail17trampoline_kernelINS0_13select_configILj256ELj13ELNS0_17block_load_methodE3ELS4_3ELS4_3ELNS0_20block_scan_algorithmE0ELj4294967295EEENS1_25partition_config_selectorILNS1_17partition_subalgoE4EjNS0_10empty_typeEbEEZZNS1_14partition_implILS8_4ELb0ES6_15HIP_vector_typeIjLj2EENS0_17counting_iteratorIjlEEPS9_SG_NS0_5tupleIJPjSI_NS0_16reverse_iteratorISI_EEEEENSH_IJSG_SG_SG_EEES9_SI_JZNS1_25segmented_radix_sort_implINS0_14default_configELb1EPK12hip_bfloat16PSP_PKlPlN2at6native12_GLOBAL__N_18offset_tEEE10hipError_tPvRmT1_PNSt15iterator_traitsIS13_E10value_typeET2_T3_PNS14_IS19_E10value_typeET4_jRbjT5_S1F_jjP12ihipStream_tbEUljE_ZNSN_ISO_Lb1ESR_SS_SU_SV_SZ_EES10_S11_S12_S13_S17_S18_S19_S1C_S1D_jS1E_jS1F_S1F_jjS1H_bEUljE0_EEES10_S11_S12_S19_S1D_S1F_T6_T7_T9_mT8_S1H_bDpT10_ENKUlT_T0_E_clISt17integral_constantIbLb1EES1V_EEDaS1Q_S1R_EUlS1Q_E_NS1_11comp_targetILNS1_3genE5ELNS1_11target_archE942ELNS1_3gpuE9ELNS1_3repE0EEENS1_30default_config_static_selectorELNS0_4arch9wavefront6targetE1EEEvS13_.has_dyn_sized_stack, 0
	.set _ZN7rocprim17ROCPRIM_400000_NS6detail17trampoline_kernelINS0_13select_configILj256ELj13ELNS0_17block_load_methodE3ELS4_3ELS4_3ELNS0_20block_scan_algorithmE0ELj4294967295EEENS1_25partition_config_selectorILNS1_17partition_subalgoE4EjNS0_10empty_typeEbEEZZNS1_14partition_implILS8_4ELb0ES6_15HIP_vector_typeIjLj2EENS0_17counting_iteratorIjlEEPS9_SG_NS0_5tupleIJPjSI_NS0_16reverse_iteratorISI_EEEEENSH_IJSG_SG_SG_EEES9_SI_JZNS1_25segmented_radix_sort_implINS0_14default_configELb1EPK12hip_bfloat16PSP_PKlPlN2at6native12_GLOBAL__N_18offset_tEEE10hipError_tPvRmT1_PNSt15iterator_traitsIS13_E10value_typeET2_T3_PNS14_IS19_E10value_typeET4_jRbjT5_S1F_jjP12ihipStream_tbEUljE_ZNSN_ISO_Lb1ESR_SS_SU_SV_SZ_EES10_S11_S12_S13_S17_S18_S19_S1C_S1D_jS1E_jS1F_S1F_jjS1H_bEUljE0_EEES10_S11_S12_S19_S1D_S1F_T6_T7_T9_mT8_S1H_bDpT10_ENKUlT_T0_E_clISt17integral_constantIbLb1EES1V_EEDaS1Q_S1R_EUlS1Q_E_NS1_11comp_targetILNS1_3genE5ELNS1_11target_archE942ELNS1_3gpuE9ELNS1_3repE0EEENS1_30default_config_static_selectorELNS0_4arch9wavefront6targetE1EEEvS13_.has_recursion, 0
	.set _ZN7rocprim17ROCPRIM_400000_NS6detail17trampoline_kernelINS0_13select_configILj256ELj13ELNS0_17block_load_methodE3ELS4_3ELS4_3ELNS0_20block_scan_algorithmE0ELj4294967295EEENS1_25partition_config_selectorILNS1_17partition_subalgoE4EjNS0_10empty_typeEbEEZZNS1_14partition_implILS8_4ELb0ES6_15HIP_vector_typeIjLj2EENS0_17counting_iteratorIjlEEPS9_SG_NS0_5tupleIJPjSI_NS0_16reverse_iteratorISI_EEEEENSH_IJSG_SG_SG_EEES9_SI_JZNS1_25segmented_radix_sort_implINS0_14default_configELb1EPK12hip_bfloat16PSP_PKlPlN2at6native12_GLOBAL__N_18offset_tEEE10hipError_tPvRmT1_PNSt15iterator_traitsIS13_E10value_typeET2_T3_PNS14_IS19_E10value_typeET4_jRbjT5_S1F_jjP12ihipStream_tbEUljE_ZNSN_ISO_Lb1ESR_SS_SU_SV_SZ_EES10_S11_S12_S13_S17_S18_S19_S1C_S1D_jS1E_jS1F_S1F_jjS1H_bEUljE0_EEES10_S11_S12_S19_S1D_S1F_T6_T7_T9_mT8_S1H_bDpT10_ENKUlT_T0_E_clISt17integral_constantIbLb1EES1V_EEDaS1Q_S1R_EUlS1Q_E_NS1_11comp_targetILNS1_3genE5ELNS1_11target_archE942ELNS1_3gpuE9ELNS1_3repE0EEENS1_30default_config_static_selectorELNS0_4arch9wavefront6targetE1EEEvS13_.has_indirect_call, 0
	.section	.AMDGPU.csdata,"",@progbits
; Kernel info:
; codeLenInByte = 0
; TotalNumSgprs: 4
; NumVgprs: 0
; ScratchSize: 0
; MemoryBound: 0
; FloatMode: 240
; IeeeMode: 1
; LDSByteSize: 0 bytes/workgroup (compile time only)
; SGPRBlocks: 0
; VGPRBlocks: 0
; NumSGPRsForWavesPerEU: 4
; NumVGPRsForWavesPerEU: 1
; Occupancy: 10
; WaveLimiterHint : 0
; COMPUTE_PGM_RSRC2:SCRATCH_EN: 0
; COMPUTE_PGM_RSRC2:USER_SGPR: 6
; COMPUTE_PGM_RSRC2:TRAP_HANDLER: 0
; COMPUTE_PGM_RSRC2:TGID_X_EN: 1
; COMPUTE_PGM_RSRC2:TGID_Y_EN: 0
; COMPUTE_PGM_RSRC2:TGID_Z_EN: 0
; COMPUTE_PGM_RSRC2:TIDIG_COMP_CNT: 0
	.section	.text._ZN7rocprim17ROCPRIM_400000_NS6detail17trampoline_kernelINS0_13select_configILj256ELj13ELNS0_17block_load_methodE3ELS4_3ELS4_3ELNS0_20block_scan_algorithmE0ELj4294967295EEENS1_25partition_config_selectorILNS1_17partition_subalgoE4EjNS0_10empty_typeEbEEZZNS1_14partition_implILS8_4ELb0ES6_15HIP_vector_typeIjLj2EENS0_17counting_iteratorIjlEEPS9_SG_NS0_5tupleIJPjSI_NS0_16reverse_iteratorISI_EEEEENSH_IJSG_SG_SG_EEES9_SI_JZNS1_25segmented_radix_sort_implINS0_14default_configELb1EPK12hip_bfloat16PSP_PKlPlN2at6native12_GLOBAL__N_18offset_tEEE10hipError_tPvRmT1_PNSt15iterator_traitsIS13_E10value_typeET2_T3_PNS14_IS19_E10value_typeET4_jRbjT5_S1F_jjP12ihipStream_tbEUljE_ZNSN_ISO_Lb1ESR_SS_SU_SV_SZ_EES10_S11_S12_S13_S17_S18_S19_S1C_S1D_jS1E_jS1F_S1F_jjS1H_bEUljE0_EEES10_S11_S12_S19_S1D_S1F_T6_T7_T9_mT8_S1H_bDpT10_ENKUlT_T0_E_clISt17integral_constantIbLb1EES1V_EEDaS1Q_S1R_EUlS1Q_E_NS1_11comp_targetILNS1_3genE4ELNS1_11target_archE910ELNS1_3gpuE8ELNS1_3repE0EEENS1_30default_config_static_selectorELNS0_4arch9wavefront6targetE1EEEvS13_,"axG",@progbits,_ZN7rocprim17ROCPRIM_400000_NS6detail17trampoline_kernelINS0_13select_configILj256ELj13ELNS0_17block_load_methodE3ELS4_3ELS4_3ELNS0_20block_scan_algorithmE0ELj4294967295EEENS1_25partition_config_selectorILNS1_17partition_subalgoE4EjNS0_10empty_typeEbEEZZNS1_14partition_implILS8_4ELb0ES6_15HIP_vector_typeIjLj2EENS0_17counting_iteratorIjlEEPS9_SG_NS0_5tupleIJPjSI_NS0_16reverse_iteratorISI_EEEEENSH_IJSG_SG_SG_EEES9_SI_JZNS1_25segmented_radix_sort_implINS0_14default_configELb1EPK12hip_bfloat16PSP_PKlPlN2at6native12_GLOBAL__N_18offset_tEEE10hipError_tPvRmT1_PNSt15iterator_traitsIS13_E10value_typeET2_T3_PNS14_IS19_E10value_typeET4_jRbjT5_S1F_jjP12ihipStream_tbEUljE_ZNSN_ISO_Lb1ESR_SS_SU_SV_SZ_EES10_S11_S12_S13_S17_S18_S19_S1C_S1D_jS1E_jS1F_S1F_jjS1H_bEUljE0_EEES10_S11_S12_S19_S1D_S1F_T6_T7_T9_mT8_S1H_bDpT10_ENKUlT_T0_E_clISt17integral_constantIbLb1EES1V_EEDaS1Q_S1R_EUlS1Q_E_NS1_11comp_targetILNS1_3genE4ELNS1_11target_archE910ELNS1_3gpuE8ELNS1_3repE0EEENS1_30default_config_static_selectorELNS0_4arch9wavefront6targetE1EEEvS13_,comdat
	.globl	_ZN7rocprim17ROCPRIM_400000_NS6detail17trampoline_kernelINS0_13select_configILj256ELj13ELNS0_17block_load_methodE3ELS4_3ELS4_3ELNS0_20block_scan_algorithmE0ELj4294967295EEENS1_25partition_config_selectorILNS1_17partition_subalgoE4EjNS0_10empty_typeEbEEZZNS1_14partition_implILS8_4ELb0ES6_15HIP_vector_typeIjLj2EENS0_17counting_iteratorIjlEEPS9_SG_NS0_5tupleIJPjSI_NS0_16reverse_iteratorISI_EEEEENSH_IJSG_SG_SG_EEES9_SI_JZNS1_25segmented_radix_sort_implINS0_14default_configELb1EPK12hip_bfloat16PSP_PKlPlN2at6native12_GLOBAL__N_18offset_tEEE10hipError_tPvRmT1_PNSt15iterator_traitsIS13_E10value_typeET2_T3_PNS14_IS19_E10value_typeET4_jRbjT5_S1F_jjP12ihipStream_tbEUljE_ZNSN_ISO_Lb1ESR_SS_SU_SV_SZ_EES10_S11_S12_S13_S17_S18_S19_S1C_S1D_jS1E_jS1F_S1F_jjS1H_bEUljE0_EEES10_S11_S12_S19_S1D_S1F_T6_T7_T9_mT8_S1H_bDpT10_ENKUlT_T0_E_clISt17integral_constantIbLb1EES1V_EEDaS1Q_S1R_EUlS1Q_E_NS1_11comp_targetILNS1_3genE4ELNS1_11target_archE910ELNS1_3gpuE8ELNS1_3repE0EEENS1_30default_config_static_selectorELNS0_4arch9wavefront6targetE1EEEvS13_ ; -- Begin function _ZN7rocprim17ROCPRIM_400000_NS6detail17trampoline_kernelINS0_13select_configILj256ELj13ELNS0_17block_load_methodE3ELS4_3ELS4_3ELNS0_20block_scan_algorithmE0ELj4294967295EEENS1_25partition_config_selectorILNS1_17partition_subalgoE4EjNS0_10empty_typeEbEEZZNS1_14partition_implILS8_4ELb0ES6_15HIP_vector_typeIjLj2EENS0_17counting_iteratorIjlEEPS9_SG_NS0_5tupleIJPjSI_NS0_16reverse_iteratorISI_EEEEENSH_IJSG_SG_SG_EEES9_SI_JZNS1_25segmented_radix_sort_implINS0_14default_configELb1EPK12hip_bfloat16PSP_PKlPlN2at6native12_GLOBAL__N_18offset_tEEE10hipError_tPvRmT1_PNSt15iterator_traitsIS13_E10value_typeET2_T3_PNS14_IS19_E10value_typeET4_jRbjT5_S1F_jjP12ihipStream_tbEUljE_ZNSN_ISO_Lb1ESR_SS_SU_SV_SZ_EES10_S11_S12_S13_S17_S18_S19_S1C_S1D_jS1E_jS1F_S1F_jjS1H_bEUljE0_EEES10_S11_S12_S19_S1D_S1F_T6_T7_T9_mT8_S1H_bDpT10_ENKUlT_T0_E_clISt17integral_constantIbLb1EES1V_EEDaS1Q_S1R_EUlS1Q_E_NS1_11comp_targetILNS1_3genE4ELNS1_11target_archE910ELNS1_3gpuE8ELNS1_3repE0EEENS1_30default_config_static_selectorELNS0_4arch9wavefront6targetE1EEEvS13_
	.p2align	8
	.type	_ZN7rocprim17ROCPRIM_400000_NS6detail17trampoline_kernelINS0_13select_configILj256ELj13ELNS0_17block_load_methodE3ELS4_3ELS4_3ELNS0_20block_scan_algorithmE0ELj4294967295EEENS1_25partition_config_selectorILNS1_17partition_subalgoE4EjNS0_10empty_typeEbEEZZNS1_14partition_implILS8_4ELb0ES6_15HIP_vector_typeIjLj2EENS0_17counting_iteratorIjlEEPS9_SG_NS0_5tupleIJPjSI_NS0_16reverse_iteratorISI_EEEEENSH_IJSG_SG_SG_EEES9_SI_JZNS1_25segmented_radix_sort_implINS0_14default_configELb1EPK12hip_bfloat16PSP_PKlPlN2at6native12_GLOBAL__N_18offset_tEEE10hipError_tPvRmT1_PNSt15iterator_traitsIS13_E10value_typeET2_T3_PNS14_IS19_E10value_typeET4_jRbjT5_S1F_jjP12ihipStream_tbEUljE_ZNSN_ISO_Lb1ESR_SS_SU_SV_SZ_EES10_S11_S12_S13_S17_S18_S19_S1C_S1D_jS1E_jS1F_S1F_jjS1H_bEUljE0_EEES10_S11_S12_S19_S1D_S1F_T6_T7_T9_mT8_S1H_bDpT10_ENKUlT_T0_E_clISt17integral_constantIbLb1EES1V_EEDaS1Q_S1R_EUlS1Q_E_NS1_11comp_targetILNS1_3genE4ELNS1_11target_archE910ELNS1_3gpuE8ELNS1_3repE0EEENS1_30default_config_static_selectorELNS0_4arch9wavefront6targetE1EEEvS13_,@function
_ZN7rocprim17ROCPRIM_400000_NS6detail17trampoline_kernelINS0_13select_configILj256ELj13ELNS0_17block_load_methodE3ELS4_3ELS4_3ELNS0_20block_scan_algorithmE0ELj4294967295EEENS1_25partition_config_selectorILNS1_17partition_subalgoE4EjNS0_10empty_typeEbEEZZNS1_14partition_implILS8_4ELb0ES6_15HIP_vector_typeIjLj2EENS0_17counting_iteratorIjlEEPS9_SG_NS0_5tupleIJPjSI_NS0_16reverse_iteratorISI_EEEEENSH_IJSG_SG_SG_EEES9_SI_JZNS1_25segmented_radix_sort_implINS0_14default_configELb1EPK12hip_bfloat16PSP_PKlPlN2at6native12_GLOBAL__N_18offset_tEEE10hipError_tPvRmT1_PNSt15iterator_traitsIS13_E10value_typeET2_T3_PNS14_IS19_E10value_typeET4_jRbjT5_S1F_jjP12ihipStream_tbEUljE_ZNSN_ISO_Lb1ESR_SS_SU_SV_SZ_EES10_S11_S12_S13_S17_S18_S19_S1C_S1D_jS1E_jS1F_S1F_jjS1H_bEUljE0_EEES10_S11_S12_S19_S1D_S1F_T6_T7_T9_mT8_S1H_bDpT10_ENKUlT_T0_E_clISt17integral_constantIbLb1EES1V_EEDaS1Q_S1R_EUlS1Q_E_NS1_11comp_targetILNS1_3genE4ELNS1_11target_archE910ELNS1_3gpuE8ELNS1_3repE0EEENS1_30default_config_static_selectorELNS0_4arch9wavefront6targetE1EEEvS13_: ; @_ZN7rocprim17ROCPRIM_400000_NS6detail17trampoline_kernelINS0_13select_configILj256ELj13ELNS0_17block_load_methodE3ELS4_3ELS4_3ELNS0_20block_scan_algorithmE0ELj4294967295EEENS1_25partition_config_selectorILNS1_17partition_subalgoE4EjNS0_10empty_typeEbEEZZNS1_14partition_implILS8_4ELb0ES6_15HIP_vector_typeIjLj2EENS0_17counting_iteratorIjlEEPS9_SG_NS0_5tupleIJPjSI_NS0_16reverse_iteratorISI_EEEEENSH_IJSG_SG_SG_EEES9_SI_JZNS1_25segmented_radix_sort_implINS0_14default_configELb1EPK12hip_bfloat16PSP_PKlPlN2at6native12_GLOBAL__N_18offset_tEEE10hipError_tPvRmT1_PNSt15iterator_traitsIS13_E10value_typeET2_T3_PNS14_IS19_E10value_typeET4_jRbjT5_S1F_jjP12ihipStream_tbEUljE_ZNSN_ISO_Lb1ESR_SS_SU_SV_SZ_EES10_S11_S12_S13_S17_S18_S19_S1C_S1D_jS1E_jS1F_S1F_jjS1H_bEUljE0_EEES10_S11_S12_S19_S1D_S1F_T6_T7_T9_mT8_S1H_bDpT10_ENKUlT_T0_E_clISt17integral_constantIbLb1EES1V_EEDaS1Q_S1R_EUlS1Q_E_NS1_11comp_targetILNS1_3genE4ELNS1_11target_archE910ELNS1_3gpuE8ELNS1_3repE0EEENS1_30default_config_static_selectorELNS0_4arch9wavefront6targetE1EEEvS13_
; %bb.0:
	.section	.rodata,"a",@progbits
	.p2align	6, 0x0
	.amdhsa_kernel _ZN7rocprim17ROCPRIM_400000_NS6detail17trampoline_kernelINS0_13select_configILj256ELj13ELNS0_17block_load_methodE3ELS4_3ELS4_3ELNS0_20block_scan_algorithmE0ELj4294967295EEENS1_25partition_config_selectorILNS1_17partition_subalgoE4EjNS0_10empty_typeEbEEZZNS1_14partition_implILS8_4ELb0ES6_15HIP_vector_typeIjLj2EENS0_17counting_iteratorIjlEEPS9_SG_NS0_5tupleIJPjSI_NS0_16reverse_iteratorISI_EEEEENSH_IJSG_SG_SG_EEES9_SI_JZNS1_25segmented_radix_sort_implINS0_14default_configELb1EPK12hip_bfloat16PSP_PKlPlN2at6native12_GLOBAL__N_18offset_tEEE10hipError_tPvRmT1_PNSt15iterator_traitsIS13_E10value_typeET2_T3_PNS14_IS19_E10value_typeET4_jRbjT5_S1F_jjP12ihipStream_tbEUljE_ZNSN_ISO_Lb1ESR_SS_SU_SV_SZ_EES10_S11_S12_S13_S17_S18_S19_S1C_S1D_jS1E_jS1F_S1F_jjS1H_bEUljE0_EEES10_S11_S12_S19_S1D_S1F_T6_T7_T9_mT8_S1H_bDpT10_ENKUlT_T0_E_clISt17integral_constantIbLb1EES1V_EEDaS1Q_S1R_EUlS1Q_E_NS1_11comp_targetILNS1_3genE4ELNS1_11target_archE910ELNS1_3gpuE8ELNS1_3repE0EEENS1_30default_config_static_selectorELNS0_4arch9wavefront6targetE1EEEvS13_
		.amdhsa_group_segment_fixed_size 0
		.amdhsa_private_segment_fixed_size 0
		.amdhsa_kernarg_size 184
		.amdhsa_user_sgpr_count 6
		.amdhsa_user_sgpr_private_segment_buffer 1
		.amdhsa_user_sgpr_dispatch_ptr 0
		.amdhsa_user_sgpr_queue_ptr 0
		.amdhsa_user_sgpr_kernarg_segment_ptr 1
		.amdhsa_user_sgpr_dispatch_id 0
		.amdhsa_user_sgpr_flat_scratch_init 0
		.amdhsa_user_sgpr_private_segment_size 0
		.amdhsa_uses_dynamic_stack 0
		.amdhsa_system_sgpr_private_segment_wavefront_offset 0
		.amdhsa_system_sgpr_workgroup_id_x 1
		.amdhsa_system_sgpr_workgroup_id_y 0
		.amdhsa_system_sgpr_workgroup_id_z 0
		.amdhsa_system_sgpr_workgroup_info 0
		.amdhsa_system_vgpr_workitem_id 0
		.amdhsa_next_free_vgpr 1
		.amdhsa_next_free_sgpr 0
		.amdhsa_reserve_vcc 0
		.amdhsa_reserve_flat_scratch 0
		.amdhsa_float_round_mode_32 0
		.amdhsa_float_round_mode_16_64 0
		.amdhsa_float_denorm_mode_32 3
		.amdhsa_float_denorm_mode_16_64 3
		.amdhsa_dx10_clamp 1
		.amdhsa_ieee_mode 1
		.amdhsa_fp16_overflow 0
		.amdhsa_exception_fp_ieee_invalid_op 0
		.amdhsa_exception_fp_denorm_src 0
		.amdhsa_exception_fp_ieee_div_zero 0
		.amdhsa_exception_fp_ieee_overflow 0
		.amdhsa_exception_fp_ieee_underflow 0
		.amdhsa_exception_fp_ieee_inexact 0
		.amdhsa_exception_int_div_zero 0
	.end_amdhsa_kernel
	.section	.text._ZN7rocprim17ROCPRIM_400000_NS6detail17trampoline_kernelINS0_13select_configILj256ELj13ELNS0_17block_load_methodE3ELS4_3ELS4_3ELNS0_20block_scan_algorithmE0ELj4294967295EEENS1_25partition_config_selectorILNS1_17partition_subalgoE4EjNS0_10empty_typeEbEEZZNS1_14partition_implILS8_4ELb0ES6_15HIP_vector_typeIjLj2EENS0_17counting_iteratorIjlEEPS9_SG_NS0_5tupleIJPjSI_NS0_16reverse_iteratorISI_EEEEENSH_IJSG_SG_SG_EEES9_SI_JZNS1_25segmented_radix_sort_implINS0_14default_configELb1EPK12hip_bfloat16PSP_PKlPlN2at6native12_GLOBAL__N_18offset_tEEE10hipError_tPvRmT1_PNSt15iterator_traitsIS13_E10value_typeET2_T3_PNS14_IS19_E10value_typeET4_jRbjT5_S1F_jjP12ihipStream_tbEUljE_ZNSN_ISO_Lb1ESR_SS_SU_SV_SZ_EES10_S11_S12_S13_S17_S18_S19_S1C_S1D_jS1E_jS1F_S1F_jjS1H_bEUljE0_EEES10_S11_S12_S19_S1D_S1F_T6_T7_T9_mT8_S1H_bDpT10_ENKUlT_T0_E_clISt17integral_constantIbLb1EES1V_EEDaS1Q_S1R_EUlS1Q_E_NS1_11comp_targetILNS1_3genE4ELNS1_11target_archE910ELNS1_3gpuE8ELNS1_3repE0EEENS1_30default_config_static_selectorELNS0_4arch9wavefront6targetE1EEEvS13_,"axG",@progbits,_ZN7rocprim17ROCPRIM_400000_NS6detail17trampoline_kernelINS0_13select_configILj256ELj13ELNS0_17block_load_methodE3ELS4_3ELS4_3ELNS0_20block_scan_algorithmE0ELj4294967295EEENS1_25partition_config_selectorILNS1_17partition_subalgoE4EjNS0_10empty_typeEbEEZZNS1_14partition_implILS8_4ELb0ES6_15HIP_vector_typeIjLj2EENS0_17counting_iteratorIjlEEPS9_SG_NS0_5tupleIJPjSI_NS0_16reverse_iteratorISI_EEEEENSH_IJSG_SG_SG_EEES9_SI_JZNS1_25segmented_radix_sort_implINS0_14default_configELb1EPK12hip_bfloat16PSP_PKlPlN2at6native12_GLOBAL__N_18offset_tEEE10hipError_tPvRmT1_PNSt15iterator_traitsIS13_E10value_typeET2_T3_PNS14_IS19_E10value_typeET4_jRbjT5_S1F_jjP12ihipStream_tbEUljE_ZNSN_ISO_Lb1ESR_SS_SU_SV_SZ_EES10_S11_S12_S13_S17_S18_S19_S1C_S1D_jS1E_jS1F_S1F_jjS1H_bEUljE0_EEES10_S11_S12_S19_S1D_S1F_T6_T7_T9_mT8_S1H_bDpT10_ENKUlT_T0_E_clISt17integral_constantIbLb1EES1V_EEDaS1Q_S1R_EUlS1Q_E_NS1_11comp_targetILNS1_3genE4ELNS1_11target_archE910ELNS1_3gpuE8ELNS1_3repE0EEENS1_30default_config_static_selectorELNS0_4arch9wavefront6targetE1EEEvS13_,comdat
.Lfunc_end1892:
	.size	_ZN7rocprim17ROCPRIM_400000_NS6detail17trampoline_kernelINS0_13select_configILj256ELj13ELNS0_17block_load_methodE3ELS4_3ELS4_3ELNS0_20block_scan_algorithmE0ELj4294967295EEENS1_25partition_config_selectorILNS1_17partition_subalgoE4EjNS0_10empty_typeEbEEZZNS1_14partition_implILS8_4ELb0ES6_15HIP_vector_typeIjLj2EENS0_17counting_iteratorIjlEEPS9_SG_NS0_5tupleIJPjSI_NS0_16reverse_iteratorISI_EEEEENSH_IJSG_SG_SG_EEES9_SI_JZNS1_25segmented_radix_sort_implINS0_14default_configELb1EPK12hip_bfloat16PSP_PKlPlN2at6native12_GLOBAL__N_18offset_tEEE10hipError_tPvRmT1_PNSt15iterator_traitsIS13_E10value_typeET2_T3_PNS14_IS19_E10value_typeET4_jRbjT5_S1F_jjP12ihipStream_tbEUljE_ZNSN_ISO_Lb1ESR_SS_SU_SV_SZ_EES10_S11_S12_S13_S17_S18_S19_S1C_S1D_jS1E_jS1F_S1F_jjS1H_bEUljE0_EEES10_S11_S12_S19_S1D_S1F_T6_T7_T9_mT8_S1H_bDpT10_ENKUlT_T0_E_clISt17integral_constantIbLb1EES1V_EEDaS1Q_S1R_EUlS1Q_E_NS1_11comp_targetILNS1_3genE4ELNS1_11target_archE910ELNS1_3gpuE8ELNS1_3repE0EEENS1_30default_config_static_selectorELNS0_4arch9wavefront6targetE1EEEvS13_, .Lfunc_end1892-_ZN7rocprim17ROCPRIM_400000_NS6detail17trampoline_kernelINS0_13select_configILj256ELj13ELNS0_17block_load_methodE3ELS4_3ELS4_3ELNS0_20block_scan_algorithmE0ELj4294967295EEENS1_25partition_config_selectorILNS1_17partition_subalgoE4EjNS0_10empty_typeEbEEZZNS1_14partition_implILS8_4ELb0ES6_15HIP_vector_typeIjLj2EENS0_17counting_iteratorIjlEEPS9_SG_NS0_5tupleIJPjSI_NS0_16reverse_iteratorISI_EEEEENSH_IJSG_SG_SG_EEES9_SI_JZNS1_25segmented_radix_sort_implINS0_14default_configELb1EPK12hip_bfloat16PSP_PKlPlN2at6native12_GLOBAL__N_18offset_tEEE10hipError_tPvRmT1_PNSt15iterator_traitsIS13_E10value_typeET2_T3_PNS14_IS19_E10value_typeET4_jRbjT5_S1F_jjP12ihipStream_tbEUljE_ZNSN_ISO_Lb1ESR_SS_SU_SV_SZ_EES10_S11_S12_S13_S17_S18_S19_S1C_S1D_jS1E_jS1F_S1F_jjS1H_bEUljE0_EEES10_S11_S12_S19_S1D_S1F_T6_T7_T9_mT8_S1H_bDpT10_ENKUlT_T0_E_clISt17integral_constantIbLb1EES1V_EEDaS1Q_S1R_EUlS1Q_E_NS1_11comp_targetILNS1_3genE4ELNS1_11target_archE910ELNS1_3gpuE8ELNS1_3repE0EEENS1_30default_config_static_selectorELNS0_4arch9wavefront6targetE1EEEvS13_
                                        ; -- End function
	.set _ZN7rocprim17ROCPRIM_400000_NS6detail17trampoline_kernelINS0_13select_configILj256ELj13ELNS0_17block_load_methodE3ELS4_3ELS4_3ELNS0_20block_scan_algorithmE0ELj4294967295EEENS1_25partition_config_selectorILNS1_17partition_subalgoE4EjNS0_10empty_typeEbEEZZNS1_14partition_implILS8_4ELb0ES6_15HIP_vector_typeIjLj2EENS0_17counting_iteratorIjlEEPS9_SG_NS0_5tupleIJPjSI_NS0_16reverse_iteratorISI_EEEEENSH_IJSG_SG_SG_EEES9_SI_JZNS1_25segmented_radix_sort_implINS0_14default_configELb1EPK12hip_bfloat16PSP_PKlPlN2at6native12_GLOBAL__N_18offset_tEEE10hipError_tPvRmT1_PNSt15iterator_traitsIS13_E10value_typeET2_T3_PNS14_IS19_E10value_typeET4_jRbjT5_S1F_jjP12ihipStream_tbEUljE_ZNSN_ISO_Lb1ESR_SS_SU_SV_SZ_EES10_S11_S12_S13_S17_S18_S19_S1C_S1D_jS1E_jS1F_S1F_jjS1H_bEUljE0_EEES10_S11_S12_S19_S1D_S1F_T6_T7_T9_mT8_S1H_bDpT10_ENKUlT_T0_E_clISt17integral_constantIbLb1EES1V_EEDaS1Q_S1R_EUlS1Q_E_NS1_11comp_targetILNS1_3genE4ELNS1_11target_archE910ELNS1_3gpuE8ELNS1_3repE0EEENS1_30default_config_static_selectorELNS0_4arch9wavefront6targetE1EEEvS13_.num_vgpr, 0
	.set _ZN7rocprim17ROCPRIM_400000_NS6detail17trampoline_kernelINS0_13select_configILj256ELj13ELNS0_17block_load_methodE3ELS4_3ELS4_3ELNS0_20block_scan_algorithmE0ELj4294967295EEENS1_25partition_config_selectorILNS1_17partition_subalgoE4EjNS0_10empty_typeEbEEZZNS1_14partition_implILS8_4ELb0ES6_15HIP_vector_typeIjLj2EENS0_17counting_iteratorIjlEEPS9_SG_NS0_5tupleIJPjSI_NS0_16reverse_iteratorISI_EEEEENSH_IJSG_SG_SG_EEES9_SI_JZNS1_25segmented_radix_sort_implINS0_14default_configELb1EPK12hip_bfloat16PSP_PKlPlN2at6native12_GLOBAL__N_18offset_tEEE10hipError_tPvRmT1_PNSt15iterator_traitsIS13_E10value_typeET2_T3_PNS14_IS19_E10value_typeET4_jRbjT5_S1F_jjP12ihipStream_tbEUljE_ZNSN_ISO_Lb1ESR_SS_SU_SV_SZ_EES10_S11_S12_S13_S17_S18_S19_S1C_S1D_jS1E_jS1F_S1F_jjS1H_bEUljE0_EEES10_S11_S12_S19_S1D_S1F_T6_T7_T9_mT8_S1H_bDpT10_ENKUlT_T0_E_clISt17integral_constantIbLb1EES1V_EEDaS1Q_S1R_EUlS1Q_E_NS1_11comp_targetILNS1_3genE4ELNS1_11target_archE910ELNS1_3gpuE8ELNS1_3repE0EEENS1_30default_config_static_selectorELNS0_4arch9wavefront6targetE1EEEvS13_.num_agpr, 0
	.set _ZN7rocprim17ROCPRIM_400000_NS6detail17trampoline_kernelINS0_13select_configILj256ELj13ELNS0_17block_load_methodE3ELS4_3ELS4_3ELNS0_20block_scan_algorithmE0ELj4294967295EEENS1_25partition_config_selectorILNS1_17partition_subalgoE4EjNS0_10empty_typeEbEEZZNS1_14partition_implILS8_4ELb0ES6_15HIP_vector_typeIjLj2EENS0_17counting_iteratorIjlEEPS9_SG_NS0_5tupleIJPjSI_NS0_16reverse_iteratorISI_EEEEENSH_IJSG_SG_SG_EEES9_SI_JZNS1_25segmented_radix_sort_implINS0_14default_configELb1EPK12hip_bfloat16PSP_PKlPlN2at6native12_GLOBAL__N_18offset_tEEE10hipError_tPvRmT1_PNSt15iterator_traitsIS13_E10value_typeET2_T3_PNS14_IS19_E10value_typeET4_jRbjT5_S1F_jjP12ihipStream_tbEUljE_ZNSN_ISO_Lb1ESR_SS_SU_SV_SZ_EES10_S11_S12_S13_S17_S18_S19_S1C_S1D_jS1E_jS1F_S1F_jjS1H_bEUljE0_EEES10_S11_S12_S19_S1D_S1F_T6_T7_T9_mT8_S1H_bDpT10_ENKUlT_T0_E_clISt17integral_constantIbLb1EES1V_EEDaS1Q_S1R_EUlS1Q_E_NS1_11comp_targetILNS1_3genE4ELNS1_11target_archE910ELNS1_3gpuE8ELNS1_3repE0EEENS1_30default_config_static_selectorELNS0_4arch9wavefront6targetE1EEEvS13_.numbered_sgpr, 0
	.set _ZN7rocprim17ROCPRIM_400000_NS6detail17trampoline_kernelINS0_13select_configILj256ELj13ELNS0_17block_load_methodE3ELS4_3ELS4_3ELNS0_20block_scan_algorithmE0ELj4294967295EEENS1_25partition_config_selectorILNS1_17partition_subalgoE4EjNS0_10empty_typeEbEEZZNS1_14partition_implILS8_4ELb0ES6_15HIP_vector_typeIjLj2EENS0_17counting_iteratorIjlEEPS9_SG_NS0_5tupleIJPjSI_NS0_16reverse_iteratorISI_EEEEENSH_IJSG_SG_SG_EEES9_SI_JZNS1_25segmented_radix_sort_implINS0_14default_configELb1EPK12hip_bfloat16PSP_PKlPlN2at6native12_GLOBAL__N_18offset_tEEE10hipError_tPvRmT1_PNSt15iterator_traitsIS13_E10value_typeET2_T3_PNS14_IS19_E10value_typeET4_jRbjT5_S1F_jjP12ihipStream_tbEUljE_ZNSN_ISO_Lb1ESR_SS_SU_SV_SZ_EES10_S11_S12_S13_S17_S18_S19_S1C_S1D_jS1E_jS1F_S1F_jjS1H_bEUljE0_EEES10_S11_S12_S19_S1D_S1F_T6_T7_T9_mT8_S1H_bDpT10_ENKUlT_T0_E_clISt17integral_constantIbLb1EES1V_EEDaS1Q_S1R_EUlS1Q_E_NS1_11comp_targetILNS1_3genE4ELNS1_11target_archE910ELNS1_3gpuE8ELNS1_3repE0EEENS1_30default_config_static_selectorELNS0_4arch9wavefront6targetE1EEEvS13_.num_named_barrier, 0
	.set _ZN7rocprim17ROCPRIM_400000_NS6detail17trampoline_kernelINS0_13select_configILj256ELj13ELNS0_17block_load_methodE3ELS4_3ELS4_3ELNS0_20block_scan_algorithmE0ELj4294967295EEENS1_25partition_config_selectorILNS1_17partition_subalgoE4EjNS0_10empty_typeEbEEZZNS1_14partition_implILS8_4ELb0ES6_15HIP_vector_typeIjLj2EENS0_17counting_iteratorIjlEEPS9_SG_NS0_5tupleIJPjSI_NS0_16reverse_iteratorISI_EEEEENSH_IJSG_SG_SG_EEES9_SI_JZNS1_25segmented_radix_sort_implINS0_14default_configELb1EPK12hip_bfloat16PSP_PKlPlN2at6native12_GLOBAL__N_18offset_tEEE10hipError_tPvRmT1_PNSt15iterator_traitsIS13_E10value_typeET2_T3_PNS14_IS19_E10value_typeET4_jRbjT5_S1F_jjP12ihipStream_tbEUljE_ZNSN_ISO_Lb1ESR_SS_SU_SV_SZ_EES10_S11_S12_S13_S17_S18_S19_S1C_S1D_jS1E_jS1F_S1F_jjS1H_bEUljE0_EEES10_S11_S12_S19_S1D_S1F_T6_T7_T9_mT8_S1H_bDpT10_ENKUlT_T0_E_clISt17integral_constantIbLb1EES1V_EEDaS1Q_S1R_EUlS1Q_E_NS1_11comp_targetILNS1_3genE4ELNS1_11target_archE910ELNS1_3gpuE8ELNS1_3repE0EEENS1_30default_config_static_selectorELNS0_4arch9wavefront6targetE1EEEvS13_.private_seg_size, 0
	.set _ZN7rocprim17ROCPRIM_400000_NS6detail17trampoline_kernelINS0_13select_configILj256ELj13ELNS0_17block_load_methodE3ELS4_3ELS4_3ELNS0_20block_scan_algorithmE0ELj4294967295EEENS1_25partition_config_selectorILNS1_17partition_subalgoE4EjNS0_10empty_typeEbEEZZNS1_14partition_implILS8_4ELb0ES6_15HIP_vector_typeIjLj2EENS0_17counting_iteratorIjlEEPS9_SG_NS0_5tupleIJPjSI_NS0_16reverse_iteratorISI_EEEEENSH_IJSG_SG_SG_EEES9_SI_JZNS1_25segmented_radix_sort_implINS0_14default_configELb1EPK12hip_bfloat16PSP_PKlPlN2at6native12_GLOBAL__N_18offset_tEEE10hipError_tPvRmT1_PNSt15iterator_traitsIS13_E10value_typeET2_T3_PNS14_IS19_E10value_typeET4_jRbjT5_S1F_jjP12ihipStream_tbEUljE_ZNSN_ISO_Lb1ESR_SS_SU_SV_SZ_EES10_S11_S12_S13_S17_S18_S19_S1C_S1D_jS1E_jS1F_S1F_jjS1H_bEUljE0_EEES10_S11_S12_S19_S1D_S1F_T6_T7_T9_mT8_S1H_bDpT10_ENKUlT_T0_E_clISt17integral_constantIbLb1EES1V_EEDaS1Q_S1R_EUlS1Q_E_NS1_11comp_targetILNS1_3genE4ELNS1_11target_archE910ELNS1_3gpuE8ELNS1_3repE0EEENS1_30default_config_static_selectorELNS0_4arch9wavefront6targetE1EEEvS13_.uses_vcc, 0
	.set _ZN7rocprim17ROCPRIM_400000_NS6detail17trampoline_kernelINS0_13select_configILj256ELj13ELNS0_17block_load_methodE3ELS4_3ELS4_3ELNS0_20block_scan_algorithmE0ELj4294967295EEENS1_25partition_config_selectorILNS1_17partition_subalgoE4EjNS0_10empty_typeEbEEZZNS1_14partition_implILS8_4ELb0ES6_15HIP_vector_typeIjLj2EENS0_17counting_iteratorIjlEEPS9_SG_NS0_5tupleIJPjSI_NS0_16reverse_iteratorISI_EEEEENSH_IJSG_SG_SG_EEES9_SI_JZNS1_25segmented_radix_sort_implINS0_14default_configELb1EPK12hip_bfloat16PSP_PKlPlN2at6native12_GLOBAL__N_18offset_tEEE10hipError_tPvRmT1_PNSt15iterator_traitsIS13_E10value_typeET2_T3_PNS14_IS19_E10value_typeET4_jRbjT5_S1F_jjP12ihipStream_tbEUljE_ZNSN_ISO_Lb1ESR_SS_SU_SV_SZ_EES10_S11_S12_S13_S17_S18_S19_S1C_S1D_jS1E_jS1F_S1F_jjS1H_bEUljE0_EEES10_S11_S12_S19_S1D_S1F_T6_T7_T9_mT8_S1H_bDpT10_ENKUlT_T0_E_clISt17integral_constantIbLb1EES1V_EEDaS1Q_S1R_EUlS1Q_E_NS1_11comp_targetILNS1_3genE4ELNS1_11target_archE910ELNS1_3gpuE8ELNS1_3repE0EEENS1_30default_config_static_selectorELNS0_4arch9wavefront6targetE1EEEvS13_.uses_flat_scratch, 0
	.set _ZN7rocprim17ROCPRIM_400000_NS6detail17trampoline_kernelINS0_13select_configILj256ELj13ELNS0_17block_load_methodE3ELS4_3ELS4_3ELNS0_20block_scan_algorithmE0ELj4294967295EEENS1_25partition_config_selectorILNS1_17partition_subalgoE4EjNS0_10empty_typeEbEEZZNS1_14partition_implILS8_4ELb0ES6_15HIP_vector_typeIjLj2EENS0_17counting_iteratorIjlEEPS9_SG_NS0_5tupleIJPjSI_NS0_16reverse_iteratorISI_EEEEENSH_IJSG_SG_SG_EEES9_SI_JZNS1_25segmented_radix_sort_implINS0_14default_configELb1EPK12hip_bfloat16PSP_PKlPlN2at6native12_GLOBAL__N_18offset_tEEE10hipError_tPvRmT1_PNSt15iterator_traitsIS13_E10value_typeET2_T3_PNS14_IS19_E10value_typeET4_jRbjT5_S1F_jjP12ihipStream_tbEUljE_ZNSN_ISO_Lb1ESR_SS_SU_SV_SZ_EES10_S11_S12_S13_S17_S18_S19_S1C_S1D_jS1E_jS1F_S1F_jjS1H_bEUljE0_EEES10_S11_S12_S19_S1D_S1F_T6_T7_T9_mT8_S1H_bDpT10_ENKUlT_T0_E_clISt17integral_constantIbLb1EES1V_EEDaS1Q_S1R_EUlS1Q_E_NS1_11comp_targetILNS1_3genE4ELNS1_11target_archE910ELNS1_3gpuE8ELNS1_3repE0EEENS1_30default_config_static_selectorELNS0_4arch9wavefront6targetE1EEEvS13_.has_dyn_sized_stack, 0
	.set _ZN7rocprim17ROCPRIM_400000_NS6detail17trampoline_kernelINS0_13select_configILj256ELj13ELNS0_17block_load_methodE3ELS4_3ELS4_3ELNS0_20block_scan_algorithmE0ELj4294967295EEENS1_25partition_config_selectorILNS1_17partition_subalgoE4EjNS0_10empty_typeEbEEZZNS1_14partition_implILS8_4ELb0ES6_15HIP_vector_typeIjLj2EENS0_17counting_iteratorIjlEEPS9_SG_NS0_5tupleIJPjSI_NS0_16reverse_iteratorISI_EEEEENSH_IJSG_SG_SG_EEES9_SI_JZNS1_25segmented_radix_sort_implINS0_14default_configELb1EPK12hip_bfloat16PSP_PKlPlN2at6native12_GLOBAL__N_18offset_tEEE10hipError_tPvRmT1_PNSt15iterator_traitsIS13_E10value_typeET2_T3_PNS14_IS19_E10value_typeET4_jRbjT5_S1F_jjP12ihipStream_tbEUljE_ZNSN_ISO_Lb1ESR_SS_SU_SV_SZ_EES10_S11_S12_S13_S17_S18_S19_S1C_S1D_jS1E_jS1F_S1F_jjS1H_bEUljE0_EEES10_S11_S12_S19_S1D_S1F_T6_T7_T9_mT8_S1H_bDpT10_ENKUlT_T0_E_clISt17integral_constantIbLb1EES1V_EEDaS1Q_S1R_EUlS1Q_E_NS1_11comp_targetILNS1_3genE4ELNS1_11target_archE910ELNS1_3gpuE8ELNS1_3repE0EEENS1_30default_config_static_selectorELNS0_4arch9wavefront6targetE1EEEvS13_.has_recursion, 0
	.set _ZN7rocprim17ROCPRIM_400000_NS6detail17trampoline_kernelINS0_13select_configILj256ELj13ELNS0_17block_load_methodE3ELS4_3ELS4_3ELNS0_20block_scan_algorithmE0ELj4294967295EEENS1_25partition_config_selectorILNS1_17partition_subalgoE4EjNS0_10empty_typeEbEEZZNS1_14partition_implILS8_4ELb0ES6_15HIP_vector_typeIjLj2EENS0_17counting_iteratorIjlEEPS9_SG_NS0_5tupleIJPjSI_NS0_16reverse_iteratorISI_EEEEENSH_IJSG_SG_SG_EEES9_SI_JZNS1_25segmented_radix_sort_implINS0_14default_configELb1EPK12hip_bfloat16PSP_PKlPlN2at6native12_GLOBAL__N_18offset_tEEE10hipError_tPvRmT1_PNSt15iterator_traitsIS13_E10value_typeET2_T3_PNS14_IS19_E10value_typeET4_jRbjT5_S1F_jjP12ihipStream_tbEUljE_ZNSN_ISO_Lb1ESR_SS_SU_SV_SZ_EES10_S11_S12_S13_S17_S18_S19_S1C_S1D_jS1E_jS1F_S1F_jjS1H_bEUljE0_EEES10_S11_S12_S19_S1D_S1F_T6_T7_T9_mT8_S1H_bDpT10_ENKUlT_T0_E_clISt17integral_constantIbLb1EES1V_EEDaS1Q_S1R_EUlS1Q_E_NS1_11comp_targetILNS1_3genE4ELNS1_11target_archE910ELNS1_3gpuE8ELNS1_3repE0EEENS1_30default_config_static_selectorELNS0_4arch9wavefront6targetE1EEEvS13_.has_indirect_call, 0
	.section	.AMDGPU.csdata,"",@progbits
; Kernel info:
; codeLenInByte = 0
; TotalNumSgprs: 4
; NumVgprs: 0
; ScratchSize: 0
; MemoryBound: 0
; FloatMode: 240
; IeeeMode: 1
; LDSByteSize: 0 bytes/workgroup (compile time only)
; SGPRBlocks: 0
; VGPRBlocks: 0
; NumSGPRsForWavesPerEU: 4
; NumVGPRsForWavesPerEU: 1
; Occupancy: 10
; WaveLimiterHint : 0
; COMPUTE_PGM_RSRC2:SCRATCH_EN: 0
; COMPUTE_PGM_RSRC2:USER_SGPR: 6
; COMPUTE_PGM_RSRC2:TRAP_HANDLER: 0
; COMPUTE_PGM_RSRC2:TGID_X_EN: 1
; COMPUTE_PGM_RSRC2:TGID_Y_EN: 0
; COMPUTE_PGM_RSRC2:TGID_Z_EN: 0
; COMPUTE_PGM_RSRC2:TIDIG_COMP_CNT: 0
	.section	.text._ZN7rocprim17ROCPRIM_400000_NS6detail17trampoline_kernelINS0_13select_configILj256ELj13ELNS0_17block_load_methodE3ELS4_3ELS4_3ELNS0_20block_scan_algorithmE0ELj4294967295EEENS1_25partition_config_selectorILNS1_17partition_subalgoE4EjNS0_10empty_typeEbEEZZNS1_14partition_implILS8_4ELb0ES6_15HIP_vector_typeIjLj2EENS0_17counting_iteratorIjlEEPS9_SG_NS0_5tupleIJPjSI_NS0_16reverse_iteratorISI_EEEEENSH_IJSG_SG_SG_EEES9_SI_JZNS1_25segmented_radix_sort_implINS0_14default_configELb1EPK12hip_bfloat16PSP_PKlPlN2at6native12_GLOBAL__N_18offset_tEEE10hipError_tPvRmT1_PNSt15iterator_traitsIS13_E10value_typeET2_T3_PNS14_IS19_E10value_typeET4_jRbjT5_S1F_jjP12ihipStream_tbEUljE_ZNSN_ISO_Lb1ESR_SS_SU_SV_SZ_EES10_S11_S12_S13_S17_S18_S19_S1C_S1D_jS1E_jS1F_S1F_jjS1H_bEUljE0_EEES10_S11_S12_S19_S1D_S1F_T6_T7_T9_mT8_S1H_bDpT10_ENKUlT_T0_E_clISt17integral_constantIbLb1EES1V_EEDaS1Q_S1R_EUlS1Q_E_NS1_11comp_targetILNS1_3genE3ELNS1_11target_archE908ELNS1_3gpuE7ELNS1_3repE0EEENS1_30default_config_static_selectorELNS0_4arch9wavefront6targetE1EEEvS13_,"axG",@progbits,_ZN7rocprim17ROCPRIM_400000_NS6detail17trampoline_kernelINS0_13select_configILj256ELj13ELNS0_17block_load_methodE3ELS4_3ELS4_3ELNS0_20block_scan_algorithmE0ELj4294967295EEENS1_25partition_config_selectorILNS1_17partition_subalgoE4EjNS0_10empty_typeEbEEZZNS1_14partition_implILS8_4ELb0ES6_15HIP_vector_typeIjLj2EENS0_17counting_iteratorIjlEEPS9_SG_NS0_5tupleIJPjSI_NS0_16reverse_iteratorISI_EEEEENSH_IJSG_SG_SG_EEES9_SI_JZNS1_25segmented_radix_sort_implINS0_14default_configELb1EPK12hip_bfloat16PSP_PKlPlN2at6native12_GLOBAL__N_18offset_tEEE10hipError_tPvRmT1_PNSt15iterator_traitsIS13_E10value_typeET2_T3_PNS14_IS19_E10value_typeET4_jRbjT5_S1F_jjP12ihipStream_tbEUljE_ZNSN_ISO_Lb1ESR_SS_SU_SV_SZ_EES10_S11_S12_S13_S17_S18_S19_S1C_S1D_jS1E_jS1F_S1F_jjS1H_bEUljE0_EEES10_S11_S12_S19_S1D_S1F_T6_T7_T9_mT8_S1H_bDpT10_ENKUlT_T0_E_clISt17integral_constantIbLb1EES1V_EEDaS1Q_S1R_EUlS1Q_E_NS1_11comp_targetILNS1_3genE3ELNS1_11target_archE908ELNS1_3gpuE7ELNS1_3repE0EEENS1_30default_config_static_selectorELNS0_4arch9wavefront6targetE1EEEvS13_,comdat
	.globl	_ZN7rocprim17ROCPRIM_400000_NS6detail17trampoline_kernelINS0_13select_configILj256ELj13ELNS0_17block_load_methodE3ELS4_3ELS4_3ELNS0_20block_scan_algorithmE0ELj4294967295EEENS1_25partition_config_selectorILNS1_17partition_subalgoE4EjNS0_10empty_typeEbEEZZNS1_14partition_implILS8_4ELb0ES6_15HIP_vector_typeIjLj2EENS0_17counting_iteratorIjlEEPS9_SG_NS0_5tupleIJPjSI_NS0_16reverse_iteratorISI_EEEEENSH_IJSG_SG_SG_EEES9_SI_JZNS1_25segmented_radix_sort_implINS0_14default_configELb1EPK12hip_bfloat16PSP_PKlPlN2at6native12_GLOBAL__N_18offset_tEEE10hipError_tPvRmT1_PNSt15iterator_traitsIS13_E10value_typeET2_T3_PNS14_IS19_E10value_typeET4_jRbjT5_S1F_jjP12ihipStream_tbEUljE_ZNSN_ISO_Lb1ESR_SS_SU_SV_SZ_EES10_S11_S12_S13_S17_S18_S19_S1C_S1D_jS1E_jS1F_S1F_jjS1H_bEUljE0_EEES10_S11_S12_S19_S1D_S1F_T6_T7_T9_mT8_S1H_bDpT10_ENKUlT_T0_E_clISt17integral_constantIbLb1EES1V_EEDaS1Q_S1R_EUlS1Q_E_NS1_11comp_targetILNS1_3genE3ELNS1_11target_archE908ELNS1_3gpuE7ELNS1_3repE0EEENS1_30default_config_static_selectorELNS0_4arch9wavefront6targetE1EEEvS13_ ; -- Begin function _ZN7rocprim17ROCPRIM_400000_NS6detail17trampoline_kernelINS0_13select_configILj256ELj13ELNS0_17block_load_methodE3ELS4_3ELS4_3ELNS0_20block_scan_algorithmE0ELj4294967295EEENS1_25partition_config_selectorILNS1_17partition_subalgoE4EjNS0_10empty_typeEbEEZZNS1_14partition_implILS8_4ELb0ES6_15HIP_vector_typeIjLj2EENS0_17counting_iteratorIjlEEPS9_SG_NS0_5tupleIJPjSI_NS0_16reverse_iteratorISI_EEEEENSH_IJSG_SG_SG_EEES9_SI_JZNS1_25segmented_radix_sort_implINS0_14default_configELb1EPK12hip_bfloat16PSP_PKlPlN2at6native12_GLOBAL__N_18offset_tEEE10hipError_tPvRmT1_PNSt15iterator_traitsIS13_E10value_typeET2_T3_PNS14_IS19_E10value_typeET4_jRbjT5_S1F_jjP12ihipStream_tbEUljE_ZNSN_ISO_Lb1ESR_SS_SU_SV_SZ_EES10_S11_S12_S13_S17_S18_S19_S1C_S1D_jS1E_jS1F_S1F_jjS1H_bEUljE0_EEES10_S11_S12_S19_S1D_S1F_T6_T7_T9_mT8_S1H_bDpT10_ENKUlT_T0_E_clISt17integral_constantIbLb1EES1V_EEDaS1Q_S1R_EUlS1Q_E_NS1_11comp_targetILNS1_3genE3ELNS1_11target_archE908ELNS1_3gpuE7ELNS1_3repE0EEENS1_30default_config_static_selectorELNS0_4arch9wavefront6targetE1EEEvS13_
	.p2align	8
	.type	_ZN7rocprim17ROCPRIM_400000_NS6detail17trampoline_kernelINS0_13select_configILj256ELj13ELNS0_17block_load_methodE3ELS4_3ELS4_3ELNS0_20block_scan_algorithmE0ELj4294967295EEENS1_25partition_config_selectorILNS1_17partition_subalgoE4EjNS0_10empty_typeEbEEZZNS1_14partition_implILS8_4ELb0ES6_15HIP_vector_typeIjLj2EENS0_17counting_iteratorIjlEEPS9_SG_NS0_5tupleIJPjSI_NS0_16reverse_iteratorISI_EEEEENSH_IJSG_SG_SG_EEES9_SI_JZNS1_25segmented_radix_sort_implINS0_14default_configELb1EPK12hip_bfloat16PSP_PKlPlN2at6native12_GLOBAL__N_18offset_tEEE10hipError_tPvRmT1_PNSt15iterator_traitsIS13_E10value_typeET2_T3_PNS14_IS19_E10value_typeET4_jRbjT5_S1F_jjP12ihipStream_tbEUljE_ZNSN_ISO_Lb1ESR_SS_SU_SV_SZ_EES10_S11_S12_S13_S17_S18_S19_S1C_S1D_jS1E_jS1F_S1F_jjS1H_bEUljE0_EEES10_S11_S12_S19_S1D_S1F_T6_T7_T9_mT8_S1H_bDpT10_ENKUlT_T0_E_clISt17integral_constantIbLb1EES1V_EEDaS1Q_S1R_EUlS1Q_E_NS1_11comp_targetILNS1_3genE3ELNS1_11target_archE908ELNS1_3gpuE7ELNS1_3repE0EEENS1_30default_config_static_selectorELNS0_4arch9wavefront6targetE1EEEvS13_,@function
_ZN7rocprim17ROCPRIM_400000_NS6detail17trampoline_kernelINS0_13select_configILj256ELj13ELNS0_17block_load_methodE3ELS4_3ELS4_3ELNS0_20block_scan_algorithmE0ELj4294967295EEENS1_25partition_config_selectorILNS1_17partition_subalgoE4EjNS0_10empty_typeEbEEZZNS1_14partition_implILS8_4ELb0ES6_15HIP_vector_typeIjLj2EENS0_17counting_iteratorIjlEEPS9_SG_NS0_5tupleIJPjSI_NS0_16reverse_iteratorISI_EEEEENSH_IJSG_SG_SG_EEES9_SI_JZNS1_25segmented_radix_sort_implINS0_14default_configELb1EPK12hip_bfloat16PSP_PKlPlN2at6native12_GLOBAL__N_18offset_tEEE10hipError_tPvRmT1_PNSt15iterator_traitsIS13_E10value_typeET2_T3_PNS14_IS19_E10value_typeET4_jRbjT5_S1F_jjP12ihipStream_tbEUljE_ZNSN_ISO_Lb1ESR_SS_SU_SV_SZ_EES10_S11_S12_S13_S17_S18_S19_S1C_S1D_jS1E_jS1F_S1F_jjS1H_bEUljE0_EEES10_S11_S12_S19_S1D_S1F_T6_T7_T9_mT8_S1H_bDpT10_ENKUlT_T0_E_clISt17integral_constantIbLb1EES1V_EEDaS1Q_S1R_EUlS1Q_E_NS1_11comp_targetILNS1_3genE3ELNS1_11target_archE908ELNS1_3gpuE7ELNS1_3repE0EEENS1_30default_config_static_selectorELNS0_4arch9wavefront6targetE1EEEvS13_: ; @_ZN7rocprim17ROCPRIM_400000_NS6detail17trampoline_kernelINS0_13select_configILj256ELj13ELNS0_17block_load_methodE3ELS4_3ELS4_3ELNS0_20block_scan_algorithmE0ELj4294967295EEENS1_25partition_config_selectorILNS1_17partition_subalgoE4EjNS0_10empty_typeEbEEZZNS1_14partition_implILS8_4ELb0ES6_15HIP_vector_typeIjLj2EENS0_17counting_iteratorIjlEEPS9_SG_NS0_5tupleIJPjSI_NS0_16reverse_iteratorISI_EEEEENSH_IJSG_SG_SG_EEES9_SI_JZNS1_25segmented_radix_sort_implINS0_14default_configELb1EPK12hip_bfloat16PSP_PKlPlN2at6native12_GLOBAL__N_18offset_tEEE10hipError_tPvRmT1_PNSt15iterator_traitsIS13_E10value_typeET2_T3_PNS14_IS19_E10value_typeET4_jRbjT5_S1F_jjP12ihipStream_tbEUljE_ZNSN_ISO_Lb1ESR_SS_SU_SV_SZ_EES10_S11_S12_S13_S17_S18_S19_S1C_S1D_jS1E_jS1F_S1F_jjS1H_bEUljE0_EEES10_S11_S12_S19_S1D_S1F_T6_T7_T9_mT8_S1H_bDpT10_ENKUlT_T0_E_clISt17integral_constantIbLb1EES1V_EEDaS1Q_S1R_EUlS1Q_E_NS1_11comp_targetILNS1_3genE3ELNS1_11target_archE908ELNS1_3gpuE7ELNS1_3repE0EEENS1_30default_config_static_selectorELNS0_4arch9wavefront6targetE1EEEvS13_
; %bb.0:
	.section	.rodata,"a",@progbits
	.p2align	6, 0x0
	.amdhsa_kernel _ZN7rocprim17ROCPRIM_400000_NS6detail17trampoline_kernelINS0_13select_configILj256ELj13ELNS0_17block_load_methodE3ELS4_3ELS4_3ELNS0_20block_scan_algorithmE0ELj4294967295EEENS1_25partition_config_selectorILNS1_17partition_subalgoE4EjNS0_10empty_typeEbEEZZNS1_14partition_implILS8_4ELb0ES6_15HIP_vector_typeIjLj2EENS0_17counting_iteratorIjlEEPS9_SG_NS0_5tupleIJPjSI_NS0_16reverse_iteratorISI_EEEEENSH_IJSG_SG_SG_EEES9_SI_JZNS1_25segmented_radix_sort_implINS0_14default_configELb1EPK12hip_bfloat16PSP_PKlPlN2at6native12_GLOBAL__N_18offset_tEEE10hipError_tPvRmT1_PNSt15iterator_traitsIS13_E10value_typeET2_T3_PNS14_IS19_E10value_typeET4_jRbjT5_S1F_jjP12ihipStream_tbEUljE_ZNSN_ISO_Lb1ESR_SS_SU_SV_SZ_EES10_S11_S12_S13_S17_S18_S19_S1C_S1D_jS1E_jS1F_S1F_jjS1H_bEUljE0_EEES10_S11_S12_S19_S1D_S1F_T6_T7_T9_mT8_S1H_bDpT10_ENKUlT_T0_E_clISt17integral_constantIbLb1EES1V_EEDaS1Q_S1R_EUlS1Q_E_NS1_11comp_targetILNS1_3genE3ELNS1_11target_archE908ELNS1_3gpuE7ELNS1_3repE0EEENS1_30default_config_static_selectorELNS0_4arch9wavefront6targetE1EEEvS13_
		.amdhsa_group_segment_fixed_size 0
		.amdhsa_private_segment_fixed_size 0
		.amdhsa_kernarg_size 184
		.amdhsa_user_sgpr_count 6
		.amdhsa_user_sgpr_private_segment_buffer 1
		.amdhsa_user_sgpr_dispatch_ptr 0
		.amdhsa_user_sgpr_queue_ptr 0
		.amdhsa_user_sgpr_kernarg_segment_ptr 1
		.amdhsa_user_sgpr_dispatch_id 0
		.amdhsa_user_sgpr_flat_scratch_init 0
		.amdhsa_user_sgpr_private_segment_size 0
		.amdhsa_uses_dynamic_stack 0
		.amdhsa_system_sgpr_private_segment_wavefront_offset 0
		.amdhsa_system_sgpr_workgroup_id_x 1
		.amdhsa_system_sgpr_workgroup_id_y 0
		.amdhsa_system_sgpr_workgroup_id_z 0
		.amdhsa_system_sgpr_workgroup_info 0
		.amdhsa_system_vgpr_workitem_id 0
		.amdhsa_next_free_vgpr 1
		.amdhsa_next_free_sgpr 0
		.amdhsa_reserve_vcc 0
		.amdhsa_reserve_flat_scratch 0
		.amdhsa_float_round_mode_32 0
		.amdhsa_float_round_mode_16_64 0
		.amdhsa_float_denorm_mode_32 3
		.amdhsa_float_denorm_mode_16_64 3
		.amdhsa_dx10_clamp 1
		.amdhsa_ieee_mode 1
		.amdhsa_fp16_overflow 0
		.amdhsa_exception_fp_ieee_invalid_op 0
		.amdhsa_exception_fp_denorm_src 0
		.amdhsa_exception_fp_ieee_div_zero 0
		.amdhsa_exception_fp_ieee_overflow 0
		.amdhsa_exception_fp_ieee_underflow 0
		.amdhsa_exception_fp_ieee_inexact 0
		.amdhsa_exception_int_div_zero 0
	.end_amdhsa_kernel
	.section	.text._ZN7rocprim17ROCPRIM_400000_NS6detail17trampoline_kernelINS0_13select_configILj256ELj13ELNS0_17block_load_methodE3ELS4_3ELS4_3ELNS0_20block_scan_algorithmE0ELj4294967295EEENS1_25partition_config_selectorILNS1_17partition_subalgoE4EjNS0_10empty_typeEbEEZZNS1_14partition_implILS8_4ELb0ES6_15HIP_vector_typeIjLj2EENS0_17counting_iteratorIjlEEPS9_SG_NS0_5tupleIJPjSI_NS0_16reverse_iteratorISI_EEEEENSH_IJSG_SG_SG_EEES9_SI_JZNS1_25segmented_radix_sort_implINS0_14default_configELb1EPK12hip_bfloat16PSP_PKlPlN2at6native12_GLOBAL__N_18offset_tEEE10hipError_tPvRmT1_PNSt15iterator_traitsIS13_E10value_typeET2_T3_PNS14_IS19_E10value_typeET4_jRbjT5_S1F_jjP12ihipStream_tbEUljE_ZNSN_ISO_Lb1ESR_SS_SU_SV_SZ_EES10_S11_S12_S13_S17_S18_S19_S1C_S1D_jS1E_jS1F_S1F_jjS1H_bEUljE0_EEES10_S11_S12_S19_S1D_S1F_T6_T7_T9_mT8_S1H_bDpT10_ENKUlT_T0_E_clISt17integral_constantIbLb1EES1V_EEDaS1Q_S1R_EUlS1Q_E_NS1_11comp_targetILNS1_3genE3ELNS1_11target_archE908ELNS1_3gpuE7ELNS1_3repE0EEENS1_30default_config_static_selectorELNS0_4arch9wavefront6targetE1EEEvS13_,"axG",@progbits,_ZN7rocprim17ROCPRIM_400000_NS6detail17trampoline_kernelINS0_13select_configILj256ELj13ELNS0_17block_load_methodE3ELS4_3ELS4_3ELNS0_20block_scan_algorithmE0ELj4294967295EEENS1_25partition_config_selectorILNS1_17partition_subalgoE4EjNS0_10empty_typeEbEEZZNS1_14partition_implILS8_4ELb0ES6_15HIP_vector_typeIjLj2EENS0_17counting_iteratorIjlEEPS9_SG_NS0_5tupleIJPjSI_NS0_16reverse_iteratorISI_EEEEENSH_IJSG_SG_SG_EEES9_SI_JZNS1_25segmented_radix_sort_implINS0_14default_configELb1EPK12hip_bfloat16PSP_PKlPlN2at6native12_GLOBAL__N_18offset_tEEE10hipError_tPvRmT1_PNSt15iterator_traitsIS13_E10value_typeET2_T3_PNS14_IS19_E10value_typeET4_jRbjT5_S1F_jjP12ihipStream_tbEUljE_ZNSN_ISO_Lb1ESR_SS_SU_SV_SZ_EES10_S11_S12_S13_S17_S18_S19_S1C_S1D_jS1E_jS1F_S1F_jjS1H_bEUljE0_EEES10_S11_S12_S19_S1D_S1F_T6_T7_T9_mT8_S1H_bDpT10_ENKUlT_T0_E_clISt17integral_constantIbLb1EES1V_EEDaS1Q_S1R_EUlS1Q_E_NS1_11comp_targetILNS1_3genE3ELNS1_11target_archE908ELNS1_3gpuE7ELNS1_3repE0EEENS1_30default_config_static_selectorELNS0_4arch9wavefront6targetE1EEEvS13_,comdat
.Lfunc_end1893:
	.size	_ZN7rocprim17ROCPRIM_400000_NS6detail17trampoline_kernelINS0_13select_configILj256ELj13ELNS0_17block_load_methodE3ELS4_3ELS4_3ELNS0_20block_scan_algorithmE0ELj4294967295EEENS1_25partition_config_selectorILNS1_17partition_subalgoE4EjNS0_10empty_typeEbEEZZNS1_14partition_implILS8_4ELb0ES6_15HIP_vector_typeIjLj2EENS0_17counting_iteratorIjlEEPS9_SG_NS0_5tupleIJPjSI_NS0_16reverse_iteratorISI_EEEEENSH_IJSG_SG_SG_EEES9_SI_JZNS1_25segmented_radix_sort_implINS0_14default_configELb1EPK12hip_bfloat16PSP_PKlPlN2at6native12_GLOBAL__N_18offset_tEEE10hipError_tPvRmT1_PNSt15iterator_traitsIS13_E10value_typeET2_T3_PNS14_IS19_E10value_typeET4_jRbjT5_S1F_jjP12ihipStream_tbEUljE_ZNSN_ISO_Lb1ESR_SS_SU_SV_SZ_EES10_S11_S12_S13_S17_S18_S19_S1C_S1D_jS1E_jS1F_S1F_jjS1H_bEUljE0_EEES10_S11_S12_S19_S1D_S1F_T6_T7_T9_mT8_S1H_bDpT10_ENKUlT_T0_E_clISt17integral_constantIbLb1EES1V_EEDaS1Q_S1R_EUlS1Q_E_NS1_11comp_targetILNS1_3genE3ELNS1_11target_archE908ELNS1_3gpuE7ELNS1_3repE0EEENS1_30default_config_static_selectorELNS0_4arch9wavefront6targetE1EEEvS13_, .Lfunc_end1893-_ZN7rocprim17ROCPRIM_400000_NS6detail17trampoline_kernelINS0_13select_configILj256ELj13ELNS0_17block_load_methodE3ELS4_3ELS4_3ELNS0_20block_scan_algorithmE0ELj4294967295EEENS1_25partition_config_selectorILNS1_17partition_subalgoE4EjNS0_10empty_typeEbEEZZNS1_14partition_implILS8_4ELb0ES6_15HIP_vector_typeIjLj2EENS0_17counting_iteratorIjlEEPS9_SG_NS0_5tupleIJPjSI_NS0_16reverse_iteratorISI_EEEEENSH_IJSG_SG_SG_EEES9_SI_JZNS1_25segmented_radix_sort_implINS0_14default_configELb1EPK12hip_bfloat16PSP_PKlPlN2at6native12_GLOBAL__N_18offset_tEEE10hipError_tPvRmT1_PNSt15iterator_traitsIS13_E10value_typeET2_T3_PNS14_IS19_E10value_typeET4_jRbjT5_S1F_jjP12ihipStream_tbEUljE_ZNSN_ISO_Lb1ESR_SS_SU_SV_SZ_EES10_S11_S12_S13_S17_S18_S19_S1C_S1D_jS1E_jS1F_S1F_jjS1H_bEUljE0_EEES10_S11_S12_S19_S1D_S1F_T6_T7_T9_mT8_S1H_bDpT10_ENKUlT_T0_E_clISt17integral_constantIbLb1EES1V_EEDaS1Q_S1R_EUlS1Q_E_NS1_11comp_targetILNS1_3genE3ELNS1_11target_archE908ELNS1_3gpuE7ELNS1_3repE0EEENS1_30default_config_static_selectorELNS0_4arch9wavefront6targetE1EEEvS13_
                                        ; -- End function
	.set _ZN7rocprim17ROCPRIM_400000_NS6detail17trampoline_kernelINS0_13select_configILj256ELj13ELNS0_17block_load_methodE3ELS4_3ELS4_3ELNS0_20block_scan_algorithmE0ELj4294967295EEENS1_25partition_config_selectorILNS1_17partition_subalgoE4EjNS0_10empty_typeEbEEZZNS1_14partition_implILS8_4ELb0ES6_15HIP_vector_typeIjLj2EENS0_17counting_iteratorIjlEEPS9_SG_NS0_5tupleIJPjSI_NS0_16reverse_iteratorISI_EEEEENSH_IJSG_SG_SG_EEES9_SI_JZNS1_25segmented_radix_sort_implINS0_14default_configELb1EPK12hip_bfloat16PSP_PKlPlN2at6native12_GLOBAL__N_18offset_tEEE10hipError_tPvRmT1_PNSt15iterator_traitsIS13_E10value_typeET2_T3_PNS14_IS19_E10value_typeET4_jRbjT5_S1F_jjP12ihipStream_tbEUljE_ZNSN_ISO_Lb1ESR_SS_SU_SV_SZ_EES10_S11_S12_S13_S17_S18_S19_S1C_S1D_jS1E_jS1F_S1F_jjS1H_bEUljE0_EEES10_S11_S12_S19_S1D_S1F_T6_T7_T9_mT8_S1H_bDpT10_ENKUlT_T0_E_clISt17integral_constantIbLb1EES1V_EEDaS1Q_S1R_EUlS1Q_E_NS1_11comp_targetILNS1_3genE3ELNS1_11target_archE908ELNS1_3gpuE7ELNS1_3repE0EEENS1_30default_config_static_selectorELNS0_4arch9wavefront6targetE1EEEvS13_.num_vgpr, 0
	.set _ZN7rocprim17ROCPRIM_400000_NS6detail17trampoline_kernelINS0_13select_configILj256ELj13ELNS0_17block_load_methodE3ELS4_3ELS4_3ELNS0_20block_scan_algorithmE0ELj4294967295EEENS1_25partition_config_selectorILNS1_17partition_subalgoE4EjNS0_10empty_typeEbEEZZNS1_14partition_implILS8_4ELb0ES6_15HIP_vector_typeIjLj2EENS0_17counting_iteratorIjlEEPS9_SG_NS0_5tupleIJPjSI_NS0_16reverse_iteratorISI_EEEEENSH_IJSG_SG_SG_EEES9_SI_JZNS1_25segmented_radix_sort_implINS0_14default_configELb1EPK12hip_bfloat16PSP_PKlPlN2at6native12_GLOBAL__N_18offset_tEEE10hipError_tPvRmT1_PNSt15iterator_traitsIS13_E10value_typeET2_T3_PNS14_IS19_E10value_typeET4_jRbjT5_S1F_jjP12ihipStream_tbEUljE_ZNSN_ISO_Lb1ESR_SS_SU_SV_SZ_EES10_S11_S12_S13_S17_S18_S19_S1C_S1D_jS1E_jS1F_S1F_jjS1H_bEUljE0_EEES10_S11_S12_S19_S1D_S1F_T6_T7_T9_mT8_S1H_bDpT10_ENKUlT_T0_E_clISt17integral_constantIbLb1EES1V_EEDaS1Q_S1R_EUlS1Q_E_NS1_11comp_targetILNS1_3genE3ELNS1_11target_archE908ELNS1_3gpuE7ELNS1_3repE0EEENS1_30default_config_static_selectorELNS0_4arch9wavefront6targetE1EEEvS13_.num_agpr, 0
	.set _ZN7rocprim17ROCPRIM_400000_NS6detail17trampoline_kernelINS0_13select_configILj256ELj13ELNS0_17block_load_methodE3ELS4_3ELS4_3ELNS0_20block_scan_algorithmE0ELj4294967295EEENS1_25partition_config_selectorILNS1_17partition_subalgoE4EjNS0_10empty_typeEbEEZZNS1_14partition_implILS8_4ELb0ES6_15HIP_vector_typeIjLj2EENS0_17counting_iteratorIjlEEPS9_SG_NS0_5tupleIJPjSI_NS0_16reverse_iteratorISI_EEEEENSH_IJSG_SG_SG_EEES9_SI_JZNS1_25segmented_radix_sort_implINS0_14default_configELb1EPK12hip_bfloat16PSP_PKlPlN2at6native12_GLOBAL__N_18offset_tEEE10hipError_tPvRmT1_PNSt15iterator_traitsIS13_E10value_typeET2_T3_PNS14_IS19_E10value_typeET4_jRbjT5_S1F_jjP12ihipStream_tbEUljE_ZNSN_ISO_Lb1ESR_SS_SU_SV_SZ_EES10_S11_S12_S13_S17_S18_S19_S1C_S1D_jS1E_jS1F_S1F_jjS1H_bEUljE0_EEES10_S11_S12_S19_S1D_S1F_T6_T7_T9_mT8_S1H_bDpT10_ENKUlT_T0_E_clISt17integral_constantIbLb1EES1V_EEDaS1Q_S1R_EUlS1Q_E_NS1_11comp_targetILNS1_3genE3ELNS1_11target_archE908ELNS1_3gpuE7ELNS1_3repE0EEENS1_30default_config_static_selectorELNS0_4arch9wavefront6targetE1EEEvS13_.numbered_sgpr, 0
	.set _ZN7rocprim17ROCPRIM_400000_NS6detail17trampoline_kernelINS0_13select_configILj256ELj13ELNS0_17block_load_methodE3ELS4_3ELS4_3ELNS0_20block_scan_algorithmE0ELj4294967295EEENS1_25partition_config_selectorILNS1_17partition_subalgoE4EjNS0_10empty_typeEbEEZZNS1_14partition_implILS8_4ELb0ES6_15HIP_vector_typeIjLj2EENS0_17counting_iteratorIjlEEPS9_SG_NS0_5tupleIJPjSI_NS0_16reverse_iteratorISI_EEEEENSH_IJSG_SG_SG_EEES9_SI_JZNS1_25segmented_radix_sort_implINS0_14default_configELb1EPK12hip_bfloat16PSP_PKlPlN2at6native12_GLOBAL__N_18offset_tEEE10hipError_tPvRmT1_PNSt15iterator_traitsIS13_E10value_typeET2_T3_PNS14_IS19_E10value_typeET4_jRbjT5_S1F_jjP12ihipStream_tbEUljE_ZNSN_ISO_Lb1ESR_SS_SU_SV_SZ_EES10_S11_S12_S13_S17_S18_S19_S1C_S1D_jS1E_jS1F_S1F_jjS1H_bEUljE0_EEES10_S11_S12_S19_S1D_S1F_T6_T7_T9_mT8_S1H_bDpT10_ENKUlT_T0_E_clISt17integral_constantIbLb1EES1V_EEDaS1Q_S1R_EUlS1Q_E_NS1_11comp_targetILNS1_3genE3ELNS1_11target_archE908ELNS1_3gpuE7ELNS1_3repE0EEENS1_30default_config_static_selectorELNS0_4arch9wavefront6targetE1EEEvS13_.num_named_barrier, 0
	.set _ZN7rocprim17ROCPRIM_400000_NS6detail17trampoline_kernelINS0_13select_configILj256ELj13ELNS0_17block_load_methodE3ELS4_3ELS4_3ELNS0_20block_scan_algorithmE0ELj4294967295EEENS1_25partition_config_selectorILNS1_17partition_subalgoE4EjNS0_10empty_typeEbEEZZNS1_14partition_implILS8_4ELb0ES6_15HIP_vector_typeIjLj2EENS0_17counting_iteratorIjlEEPS9_SG_NS0_5tupleIJPjSI_NS0_16reverse_iteratorISI_EEEEENSH_IJSG_SG_SG_EEES9_SI_JZNS1_25segmented_radix_sort_implINS0_14default_configELb1EPK12hip_bfloat16PSP_PKlPlN2at6native12_GLOBAL__N_18offset_tEEE10hipError_tPvRmT1_PNSt15iterator_traitsIS13_E10value_typeET2_T3_PNS14_IS19_E10value_typeET4_jRbjT5_S1F_jjP12ihipStream_tbEUljE_ZNSN_ISO_Lb1ESR_SS_SU_SV_SZ_EES10_S11_S12_S13_S17_S18_S19_S1C_S1D_jS1E_jS1F_S1F_jjS1H_bEUljE0_EEES10_S11_S12_S19_S1D_S1F_T6_T7_T9_mT8_S1H_bDpT10_ENKUlT_T0_E_clISt17integral_constantIbLb1EES1V_EEDaS1Q_S1R_EUlS1Q_E_NS1_11comp_targetILNS1_3genE3ELNS1_11target_archE908ELNS1_3gpuE7ELNS1_3repE0EEENS1_30default_config_static_selectorELNS0_4arch9wavefront6targetE1EEEvS13_.private_seg_size, 0
	.set _ZN7rocprim17ROCPRIM_400000_NS6detail17trampoline_kernelINS0_13select_configILj256ELj13ELNS0_17block_load_methodE3ELS4_3ELS4_3ELNS0_20block_scan_algorithmE0ELj4294967295EEENS1_25partition_config_selectorILNS1_17partition_subalgoE4EjNS0_10empty_typeEbEEZZNS1_14partition_implILS8_4ELb0ES6_15HIP_vector_typeIjLj2EENS0_17counting_iteratorIjlEEPS9_SG_NS0_5tupleIJPjSI_NS0_16reverse_iteratorISI_EEEEENSH_IJSG_SG_SG_EEES9_SI_JZNS1_25segmented_radix_sort_implINS0_14default_configELb1EPK12hip_bfloat16PSP_PKlPlN2at6native12_GLOBAL__N_18offset_tEEE10hipError_tPvRmT1_PNSt15iterator_traitsIS13_E10value_typeET2_T3_PNS14_IS19_E10value_typeET4_jRbjT5_S1F_jjP12ihipStream_tbEUljE_ZNSN_ISO_Lb1ESR_SS_SU_SV_SZ_EES10_S11_S12_S13_S17_S18_S19_S1C_S1D_jS1E_jS1F_S1F_jjS1H_bEUljE0_EEES10_S11_S12_S19_S1D_S1F_T6_T7_T9_mT8_S1H_bDpT10_ENKUlT_T0_E_clISt17integral_constantIbLb1EES1V_EEDaS1Q_S1R_EUlS1Q_E_NS1_11comp_targetILNS1_3genE3ELNS1_11target_archE908ELNS1_3gpuE7ELNS1_3repE0EEENS1_30default_config_static_selectorELNS0_4arch9wavefront6targetE1EEEvS13_.uses_vcc, 0
	.set _ZN7rocprim17ROCPRIM_400000_NS6detail17trampoline_kernelINS0_13select_configILj256ELj13ELNS0_17block_load_methodE3ELS4_3ELS4_3ELNS0_20block_scan_algorithmE0ELj4294967295EEENS1_25partition_config_selectorILNS1_17partition_subalgoE4EjNS0_10empty_typeEbEEZZNS1_14partition_implILS8_4ELb0ES6_15HIP_vector_typeIjLj2EENS0_17counting_iteratorIjlEEPS9_SG_NS0_5tupleIJPjSI_NS0_16reverse_iteratorISI_EEEEENSH_IJSG_SG_SG_EEES9_SI_JZNS1_25segmented_radix_sort_implINS0_14default_configELb1EPK12hip_bfloat16PSP_PKlPlN2at6native12_GLOBAL__N_18offset_tEEE10hipError_tPvRmT1_PNSt15iterator_traitsIS13_E10value_typeET2_T3_PNS14_IS19_E10value_typeET4_jRbjT5_S1F_jjP12ihipStream_tbEUljE_ZNSN_ISO_Lb1ESR_SS_SU_SV_SZ_EES10_S11_S12_S13_S17_S18_S19_S1C_S1D_jS1E_jS1F_S1F_jjS1H_bEUljE0_EEES10_S11_S12_S19_S1D_S1F_T6_T7_T9_mT8_S1H_bDpT10_ENKUlT_T0_E_clISt17integral_constantIbLb1EES1V_EEDaS1Q_S1R_EUlS1Q_E_NS1_11comp_targetILNS1_3genE3ELNS1_11target_archE908ELNS1_3gpuE7ELNS1_3repE0EEENS1_30default_config_static_selectorELNS0_4arch9wavefront6targetE1EEEvS13_.uses_flat_scratch, 0
	.set _ZN7rocprim17ROCPRIM_400000_NS6detail17trampoline_kernelINS0_13select_configILj256ELj13ELNS0_17block_load_methodE3ELS4_3ELS4_3ELNS0_20block_scan_algorithmE0ELj4294967295EEENS1_25partition_config_selectorILNS1_17partition_subalgoE4EjNS0_10empty_typeEbEEZZNS1_14partition_implILS8_4ELb0ES6_15HIP_vector_typeIjLj2EENS0_17counting_iteratorIjlEEPS9_SG_NS0_5tupleIJPjSI_NS0_16reverse_iteratorISI_EEEEENSH_IJSG_SG_SG_EEES9_SI_JZNS1_25segmented_radix_sort_implINS0_14default_configELb1EPK12hip_bfloat16PSP_PKlPlN2at6native12_GLOBAL__N_18offset_tEEE10hipError_tPvRmT1_PNSt15iterator_traitsIS13_E10value_typeET2_T3_PNS14_IS19_E10value_typeET4_jRbjT5_S1F_jjP12ihipStream_tbEUljE_ZNSN_ISO_Lb1ESR_SS_SU_SV_SZ_EES10_S11_S12_S13_S17_S18_S19_S1C_S1D_jS1E_jS1F_S1F_jjS1H_bEUljE0_EEES10_S11_S12_S19_S1D_S1F_T6_T7_T9_mT8_S1H_bDpT10_ENKUlT_T0_E_clISt17integral_constantIbLb1EES1V_EEDaS1Q_S1R_EUlS1Q_E_NS1_11comp_targetILNS1_3genE3ELNS1_11target_archE908ELNS1_3gpuE7ELNS1_3repE0EEENS1_30default_config_static_selectorELNS0_4arch9wavefront6targetE1EEEvS13_.has_dyn_sized_stack, 0
	.set _ZN7rocprim17ROCPRIM_400000_NS6detail17trampoline_kernelINS0_13select_configILj256ELj13ELNS0_17block_load_methodE3ELS4_3ELS4_3ELNS0_20block_scan_algorithmE0ELj4294967295EEENS1_25partition_config_selectorILNS1_17partition_subalgoE4EjNS0_10empty_typeEbEEZZNS1_14partition_implILS8_4ELb0ES6_15HIP_vector_typeIjLj2EENS0_17counting_iteratorIjlEEPS9_SG_NS0_5tupleIJPjSI_NS0_16reverse_iteratorISI_EEEEENSH_IJSG_SG_SG_EEES9_SI_JZNS1_25segmented_radix_sort_implINS0_14default_configELb1EPK12hip_bfloat16PSP_PKlPlN2at6native12_GLOBAL__N_18offset_tEEE10hipError_tPvRmT1_PNSt15iterator_traitsIS13_E10value_typeET2_T3_PNS14_IS19_E10value_typeET4_jRbjT5_S1F_jjP12ihipStream_tbEUljE_ZNSN_ISO_Lb1ESR_SS_SU_SV_SZ_EES10_S11_S12_S13_S17_S18_S19_S1C_S1D_jS1E_jS1F_S1F_jjS1H_bEUljE0_EEES10_S11_S12_S19_S1D_S1F_T6_T7_T9_mT8_S1H_bDpT10_ENKUlT_T0_E_clISt17integral_constantIbLb1EES1V_EEDaS1Q_S1R_EUlS1Q_E_NS1_11comp_targetILNS1_3genE3ELNS1_11target_archE908ELNS1_3gpuE7ELNS1_3repE0EEENS1_30default_config_static_selectorELNS0_4arch9wavefront6targetE1EEEvS13_.has_recursion, 0
	.set _ZN7rocprim17ROCPRIM_400000_NS6detail17trampoline_kernelINS0_13select_configILj256ELj13ELNS0_17block_load_methodE3ELS4_3ELS4_3ELNS0_20block_scan_algorithmE0ELj4294967295EEENS1_25partition_config_selectorILNS1_17partition_subalgoE4EjNS0_10empty_typeEbEEZZNS1_14partition_implILS8_4ELb0ES6_15HIP_vector_typeIjLj2EENS0_17counting_iteratorIjlEEPS9_SG_NS0_5tupleIJPjSI_NS0_16reverse_iteratorISI_EEEEENSH_IJSG_SG_SG_EEES9_SI_JZNS1_25segmented_radix_sort_implINS0_14default_configELb1EPK12hip_bfloat16PSP_PKlPlN2at6native12_GLOBAL__N_18offset_tEEE10hipError_tPvRmT1_PNSt15iterator_traitsIS13_E10value_typeET2_T3_PNS14_IS19_E10value_typeET4_jRbjT5_S1F_jjP12ihipStream_tbEUljE_ZNSN_ISO_Lb1ESR_SS_SU_SV_SZ_EES10_S11_S12_S13_S17_S18_S19_S1C_S1D_jS1E_jS1F_S1F_jjS1H_bEUljE0_EEES10_S11_S12_S19_S1D_S1F_T6_T7_T9_mT8_S1H_bDpT10_ENKUlT_T0_E_clISt17integral_constantIbLb1EES1V_EEDaS1Q_S1R_EUlS1Q_E_NS1_11comp_targetILNS1_3genE3ELNS1_11target_archE908ELNS1_3gpuE7ELNS1_3repE0EEENS1_30default_config_static_selectorELNS0_4arch9wavefront6targetE1EEEvS13_.has_indirect_call, 0
	.section	.AMDGPU.csdata,"",@progbits
; Kernel info:
; codeLenInByte = 0
; TotalNumSgprs: 4
; NumVgprs: 0
; ScratchSize: 0
; MemoryBound: 0
; FloatMode: 240
; IeeeMode: 1
; LDSByteSize: 0 bytes/workgroup (compile time only)
; SGPRBlocks: 0
; VGPRBlocks: 0
; NumSGPRsForWavesPerEU: 4
; NumVGPRsForWavesPerEU: 1
; Occupancy: 10
; WaveLimiterHint : 0
; COMPUTE_PGM_RSRC2:SCRATCH_EN: 0
; COMPUTE_PGM_RSRC2:USER_SGPR: 6
; COMPUTE_PGM_RSRC2:TRAP_HANDLER: 0
; COMPUTE_PGM_RSRC2:TGID_X_EN: 1
; COMPUTE_PGM_RSRC2:TGID_Y_EN: 0
; COMPUTE_PGM_RSRC2:TGID_Z_EN: 0
; COMPUTE_PGM_RSRC2:TIDIG_COMP_CNT: 0
	.section	.text._ZN7rocprim17ROCPRIM_400000_NS6detail17trampoline_kernelINS0_13select_configILj256ELj13ELNS0_17block_load_methodE3ELS4_3ELS4_3ELNS0_20block_scan_algorithmE0ELj4294967295EEENS1_25partition_config_selectorILNS1_17partition_subalgoE4EjNS0_10empty_typeEbEEZZNS1_14partition_implILS8_4ELb0ES6_15HIP_vector_typeIjLj2EENS0_17counting_iteratorIjlEEPS9_SG_NS0_5tupleIJPjSI_NS0_16reverse_iteratorISI_EEEEENSH_IJSG_SG_SG_EEES9_SI_JZNS1_25segmented_radix_sort_implINS0_14default_configELb1EPK12hip_bfloat16PSP_PKlPlN2at6native12_GLOBAL__N_18offset_tEEE10hipError_tPvRmT1_PNSt15iterator_traitsIS13_E10value_typeET2_T3_PNS14_IS19_E10value_typeET4_jRbjT5_S1F_jjP12ihipStream_tbEUljE_ZNSN_ISO_Lb1ESR_SS_SU_SV_SZ_EES10_S11_S12_S13_S17_S18_S19_S1C_S1D_jS1E_jS1F_S1F_jjS1H_bEUljE0_EEES10_S11_S12_S19_S1D_S1F_T6_T7_T9_mT8_S1H_bDpT10_ENKUlT_T0_E_clISt17integral_constantIbLb1EES1V_EEDaS1Q_S1R_EUlS1Q_E_NS1_11comp_targetILNS1_3genE2ELNS1_11target_archE906ELNS1_3gpuE6ELNS1_3repE0EEENS1_30default_config_static_selectorELNS0_4arch9wavefront6targetE1EEEvS13_,"axG",@progbits,_ZN7rocprim17ROCPRIM_400000_NS6detail17trampoline_kernelINS0_13select_configILj256ELj13ELNS0_17block_load_methodE3ELS4_3ELS4_3ELNS0_20block_scan_algorithmE0ELj4294967295EEENS1_25partition_config_selectorILNS1_17partition_subalgoE4EjNS0_10empty_typeEbEEZZNS1_14partition_implILS8_4ELb0ES6_15HIP_vector_typeIjLj2EENS0_17counting_iteratorIjlEEPS9_SG_NS0_5tupleIJPjSI_NS0_16reverse_iteratorISI_EEEEENSH_IJSG_SG_SG_EEES9_SI_JZNS1_25segmented_radix_sort_implINS0_14default_configELb1EPK12hip_bfloat16PSP_PKlPlN2at6native12_GLOBAL__N_18offset_tEEE10hipError_tPvRmT1_PNSt15iterator_traitsIS13_E10value_typeET2_T3_PNS14_IS19_E10value_typeET4_jRbjT5_S1F_jjP12ihipStream_tbEUljE_ZNSN_ISO_Lb1ESR_SS_SU_SV_SZ_EES10_S11_S12_S13_S17_S18_S19_S1C_S1D_jS1E_jS1F_S1F_jjS1H_bEUljE0_EEES10_S11_S12_S19_S1D_S1F_T6_T7_T9_mT8_S1H_bDpT10_ENKUlT_T0_E_clISt17integral_constantIbLb1EES1V_EEDaS1Q_S1R_EUlS1Q_E_NS1_11comp_targetILNS1_3genE2ELNS1_11target_archE906ELNS1_3gpuE6ELNS1_3repE0EEENS1_30default_config_static_selectorELNS0_4arch9wavefront6targetE1EEEvS13_,comdat
	.globl	_ZN7rocprim17ROCPRIM_400000_NS6detail17trampoline_kernelINS0_13select_configILj256ELj13ELNS0_17block_load_methodE3ELS4_3ELS4_3ELNS0_20block_scan_algorithmE0ELj4294967295EEENS1_25partition_config_selectorILNS1_17partition_subalgoE4EjNS0_10empty_typeEbEEZZNS1_14partition_implILS8_4ELb0ES6_15HIP_vector_typeIjLj2EENS0_17counting_iteratorIjlEEPS9_SG_NS0_5tupleIJPjSI_NS0_16reverse_iteratorISI_EEEEENSH_IJSG_SG_SG_EEES9_SI_JZNS1_25segmented_radix_sort_implINS0_14default_configELb1EPK12hip_bfloat16PSP_PKlPlN2at6native12_GLOBAL__N_18offset_tEEE10hipError_tPvRmT1_PNSt15iterator_traitsIS13_E10value_typeET2_T3_PNS14_IS19_E10value_typeET4_jRbjT5_S1F_jjP12ihipStream_tbEUljE_ZNSN_ISO_Lb1ESR_SS_SU_SV_SZ_EES10_S11_S12_S13_S17_S18_S19_S1C_S1D_jS1E_jS1F_S1F_jjS1H_bEUljE0_EEES10_S11_S12_S19_S1D_S1F_T6_T7_T9_mT8_S1H_bDpT10_ENKUlT_T0_E_clISt17integral_constantIbLb1EES1V_EEDaS1Q_S1R_EUlS1Q_E_NS1_11comp_targetILNS1_3genE2ELNS1_11target_archE906ELNS1_3gpuE6ELNS1_3repE0EEENS1_30default_config_static_selectorELNS0_4arch9wavefront6targetE1EEEvS13_ ; -- Begin function _ZN7rocprim17ROCPRIM_400000_NS6detail17trampoline_kernelINS0_13select_configILj256ELj13ELNS0_17block_load_methodE3ELS4_3ELS4_3ELNS0_20block_scan_algorithmE0ELj4294967295EEENS1_25partition_config_selectorILNS1_17partition_subalgoE4EjNS0_10empty_typeEbEEZZNS1_14partition_implILS8_4ELb0ES6_15HIP_vector_typeIjLj2EENS0_17counting_iteratorIjlEEPS9_SG_NS0_5tupleIJPjSI_NS0_16reverse_iteratorISI_EEEEENSH_IJSG_SG_SG_EEES9_SI_JZNS1_25segmented_radix_sort_implINS0_14default_configELb1EPK12hip_bfloat16PSP_PKlPlN2at6native12_GLOBAL__N_18offset_tEEE10hipError_tPvRmT1_PNSt15iterator_traitsIS13_E10value_typeET2_T3_PNS14_IS19_E10value_typeET4_jRbjT5_S1F_jjP12ihipStream_tbEUljE_ZNSN_ISO_Lb1ESR_SS_SU_SV_SZ_EES10_S11_S12_S13_S17_S18_S19_S1C_S1D_jS1E_jS1F_S1F_jjS1H_bEUljE0_EEES10_S11_S12_S19_S1D_S1F_T6_T7_T9_mT8_S1H_bDpT10_ENKUlT_T0_E_clISt17integral_constantIbLb1EES1V_EEDaS1Q_S1R_EUlS1Q_E_NS1_11comp_targetILNS1_3genE2ELNS1_11target_archE906ELNS1_3gpuE6ELNS1_3repE0EEENS1_30default_config_static_selectorELNS0_4arch9wavefront6targetE1EEEvS13_
	.p2align	8
	.type	_ZN7rocprim17ROCPRIM_400000_NS6detail17trampoline_kernelINS0_13select_configILj256ELj13ELNS0_17block_load_methodE3ELS4_3ELS4_3ELNS0_20block_scan_algorithmE0ELj4294967295EEENS1_25partition_config_selectorILNS1_17partition_subalgoE4EjNS0_10empty_typeEbEEZZNS1_14partition_implILS8_4ELb0ES6_15HIP_vector_typeIjLj2EENS0_17counting_iteratorIjlEEPS9_SG_NS0_5tupleIJPjSI_NS0_16reverse_iteratorISI_EEEEENSH_IJSG_SG_SG_EEES9_SI_JZNS1_25segmented_radix_sort_implINS0_14default_configELb1EPK12hip_bfloat16PSP_PKlPlN2at6native12_GLOBAL__N_18offset_tEEE10hipError_tPvRmT1_PNSt15iterator_traitsIS13_E10value_typeET2_T3_PNS14_IS19_E10value_typeET4_jRbjT5_S1F_jjP12ihipStream_tbEUljE_ZNSN_ISO_Lb1ESR_SS_SU_SV_SZ_EES10_S11_S12_S13_S17_S18_S19_S1C_S1D_jS1E_jS1F_S1F_jjS1H_bEUljE0_EEES10_S11_S12_S19_S1D_S1F_T6_T7_T9_mT8_S1H_bDpT10_ENKUlT_T0_E_clISt17integral_constantIbLb1EES1V_EEDaS1Q_S1R_EUlS1Q_E_NS1_11comp_targetILNS1_3genE2ELNS1_11target_archE906ELNS1_3gpuE6ELNS1_3repE0EEENS1_30default_config_static_selectorELNS0_4arch9wavefront6targetE1EEEvS13_,@function
_ZN7rocprim17ROCPRIM_400000_NS6detail17trampoline_kernelINS0_13select_configILj256ELj13ELNS0_17block_load_methodE3ELS4_3ELS4_3ELNS0_20block_scan_algorithmE0ELj4294967295EEENS1_25partition_config_selectorILNS1_17partition_subalgoE4EjNS0_10empty_typeEbEEZZNS1_14partition_implILS8_4ELb0ES6_15HIP_vector_typeIjLj2EENS0_17counting_iteratorIjlEEPS9_SG_NS0_5tupleIJPjSI_NS0_16reverse_iteratorISI_EEEEENSH_IJSG_SG_SG_EEES9_SI_JZNS1_25segmented_radix_sort_implINS0_14default_configELb1EPK12hip_bfloat16PSP_PKlPlN2at6native12_GLOBAL__N_18offset_tEEE10hipError_tPvRmT1_PNSt15iterator_traitsIS13_E10value_typeET2_T3_PNS14_IS19_E10value_typeET4_jRbjT5_S1F_jjP12ihipStream_tbEUljE_ZNSN_ISO_Lb1ESR_SS_SU_SV_SZ_EES10_S11_S12_S13_S17_S18_S19_S1C_S1D_jS1E_jS1F_S1F_jjS1H_bEUljE0_EEES10_S11_S12_S19_S1D_S1F_T6_T7_T9_mT8_S1H_bDpT10_ENKUlT_T0_E_clISt17integral_constantIbLb1EES1V_EEDaS1Q_S1R_EUlS1Q_E_NS1_11comp_targetILNS1_3genE2ELNS1_11target_archE906ELNS1_3gpuE6ELNS1_3repE0EEENS1_30default_config_static_selectorELNS0_4arch9wavefront6targetE1EEEvS13_: ; @_ZN7rocprim17ROCPRIM_400000_NS6detail17trampoline_kernelINS0_13select_configILj256ELj13ELNS0_17block_load_methodE3ELS4_3ELS4_3ELNS0_20block_scan_algorithmE0ELj4294967295EEENS1_25partition_config_selectorILNS1_17partition_subalgoE4EjNS0_10empty_typeEbEEZZNS1_14partition_implILS8_4ELb0ES6_15HIP_vector_typeIjLj2EENS0_17counting_iteratorIjlEEPS9_SG_NS0_5tupleIJPjSI_NS0_16reverse_iteratorISI_EEEEENSH_IJSG_SG_SG_EEES9_SI_JZNS1_25segmented_radix_sort_implINS0_14default_configELb1EPK12hip_bfloat16PSP_PKlPlN2at6native12_GLOBAL__N_18offset_tEEE10hipError_tPvRmT1_PNSt15iterator_traitsIS13_E10value_typeET2_T3_PNS14_IS19_E10value_typeET4_jRbjT5_S1F_jjP12ihipStream_tbEUljE_ZNSN_ISO_Lb1ESR_SS_SU_SV_SZ_EES10_S11_S12_S13_S17_S18_S19_S1C_S1D_jS1E_jS1F_S1F_jjS1H_bEUljE0_EEES10_S11_S12_S19_S1D_S1F_T6_T7_T9_mT8_S1H_bDpT10_ENKUlT_T0_E_clISt17integral_constantIbLb1EES1V_EEDaS1Q_S1R_EUlS1Q_E_NS1_11comp_targetILNS1_3genE2ELNS1_11target_archE906ELNS1_3gpuE6ELNS1_3repE0EEENS1_30default_config_static_selectorELNS0_4arch9wavefront6targetE1EEEvS13_
; %bb.0:
	s_endpgm
	.section	.rodata,"a",@progbits
	.p2align	6, 0x0
	.amdhsa_kernel _ZN7rocprim17ROCPRIM_400000_NS6detail17trampoline_kernelINS0_13select_configILj256ELj13ELNS0_17block_load_methodE3ELS4_3ELS4_3ELNS0_20block_scan_algorithmE0ELj4294967295EEENS1_25partition_config_selectorILNS1_17partition_subalgoE4EjNS0_10empty_typeEbEEZZNS1_14partition_implILS8_4ELb0ES6_15HIP_vector_typeIjLj2EENS0_17counting_iteratorIjlEEPS9_SG_NS0_5tupleIJPjSI_NS0_16reverse_iteratorISI_EEEEENSH_IJSG_SG_SG_EEES9_SI_JZNS1_25segmented_radix_sort_implINS0_14default_configELb1EPK12hip_bfloat16PSP_PKlPlN2at6native12_GLOBAL__N_18offset_tEEE10hipError_tPvRmT1_PNSt15iterator_traitsIS13_E10value_typeET2_T3_PNS14_IS19_E10value_typeET4_jRbjT5_S1F_jjP12ihipStream_tbEUljE_ZNSN_ISO_Lb1ESR_SS_SU_SV_SZ_EES10_S11_S12_S13_S17_S18_S19_S1C_S1D_jS1E_jS1F_S1F_jjS1H_bEUljE0_EEES10_S11_S12_S19_S1D_S1F_T6_T7_T9_mT8_S1H_bDpT10_ENKUlT_T0_E_clISt17integral_constantIbLb1EES1V_EEDaS1Q_S1R_EUlS1Q_E_NS1_11comp_targetILNS1_3genE2ELNS1_11target_archE906ELNS1_3gpuE6ELNS1_3repE0EEENS1_30default_config_static_selectorELNS0_4arch9wavefront6targetE1EEEvS13_
		.amdhsa_group_segment_fixed_size 0
		.amdhsa_private_segment_fixed_size 0
		.amdhsa_kernarg_size 184
		.amdhsa_user_sgpr_count 6
		.amdhsa_user_sgpr_private_segment_buffer 1
		.amdhsa_user_sgpr_dispatch_ptr 0
		.amdhsa_user_sgpr_queue_ptr 0
		.amdhsa_user_sgpr_kernarg_segment_ptr 1
		.amdhsa_user_sgpr_dispatch_id 0
		.amdhsa_user_sgpr_flat_scratch_init 0
		.amdhsa_user_sgpr_private_segment_size 0
		.amdhsa_uses_dynamic_stack 0
		.amdhsa_system_sgpr_private_segment_wavefront_offset 0
		.amdhsa_system_sgpr_workgroup_id_x 1
		.amdhsa_system_sgpr_workgroup_id_y 0
		.amdhsa_system_sgpr_workgroup_id_z 0
		.amdhsa_system_sgpr_workgroup_info 0
		.amdhsa_system_vgpr_workitem_id 0
		.amdhsa_next_free_vgpr 1
		.amdhsa_next_free_sgpr 0
		.amdhsa_reserve_vcc 0
		.amdhsa_reserve_flat_scratch 0
		.amdhsa_float_round_mode_32 0
		.amdhsa_float_round_mode_16_64 0
		.amdhsa_float_denorm_mode_32 3
		.amdhsa_float_denorm_mode_16_64 3
		.amdhsa_dx10_clamp 1
		.amdhsa_ieee_mode 1
		.amdhsa_fp16_overflow 0
		.amdhsa_exception_fp_ieee_invalid_op 0
		.amdhsa_exception_fp_denorm_src 0
		.amdhsa_exception_fp_ieee_div_zero 0
		.amdhsa_exception_fp_ieee_overflow 0
		.amdhsa_exception_fp_ieee_underflow 0
		.amdhsa_exception_fp_ieee_inexact 0
		.amdhsa_exception_int_div_zero 0
	.end_amdhsa_kernel
	.section	.text._ZN7rocprim17ROCPRIM_400000_NS6detail17trampoline_kernelINS0_13select_configILj256ELj13ELNS0_17block_load_methodE3ELS4_3ELS4_3ELNS0_20block_scan_algorithmE0ELj4294967295EEENS1_25partition_config_selectorILNS1_17partition_subalgoE4EjNS0_10empty_typeEbEEZZNS1_14partition_implILS8_4ELb0ES6_15HIP_vector_typeIjLj2EENS0_17counting_iteratorIjlEEPS9_SG_NS0_5tupleIJPjSI_NS0_16reverse_iteratorISI_EEEEENSH_IJSG_SG_SG_EEES9_SI_JZNS1_25segmented_radix_sort_implINS0_14default_configELb1EPK12hip_bfloat16PSP_PKlPlN2at6native12_GLOBAL__N_18offset_tEEE10hipError_tPvRmT1_PNSt15iterator_traitsIS13_E10value_typeET2_T3_PNS14_IS19_E10value_typeET4_jRbjT5_S1F_jjP12ihipStream_tbEUljE_ZNSN_ISO_Lb1ESR_SS_SU_SV_SZ_EES10_S11_S12_S13_S17_S18_S19_S1C_S1D_jS1E_jS1F_S1F_jjS1H_bEUljE0_EEES10_S11_S12_S19_S1D_S1F_T6_T7_T9_mT8_S1H_bDpT10_ENKUlT_T0_E_clISt17integral_constantIbLb1EES1V_EEDaS1Q_S1R_EUlS1Q_E_NS1_11comp_targetILNS1_3genE2ELNS1_11target_archE906ELNS1_3gpuE6ELNS1_3repE0EEENS1_30default_config_static_selectorELNS0_4arch9wavefront6targetE1EEEvS13_,"axG",@progbits,_ZN7rocprim17ROCPRIM_400000_NS6detail17trampoline_kernelINS0_13select_configILj256ELj13ELNS0_17block_load_methodE3ELS4_3ELS4_3ELNS0_20block_scan_algorithmE0ELj4294967295EEENS1_25partition_config_selectorILNS1_17partition_subalgoE4EjNS0_10empty_typeEbEEZZNS1_14partition_implILS8_4ELb0ES6_15HIP_vector_typeIjLj2EENS0_17counting_iteratorIjlEEPS9_SG_NS0_5tupleIJPjSI_NS0_16reverse_iteratorISI_EEEEENSH_IJSG_SG_SG_EEES9_SI_JZNS1_25segmented_radix_sort_implINS0_14default_configELb1EPK12hip_bfloat16PSP_PKlPlN2at6native12_GLOBAL__N_18offset_tEEE10hipError_tPvRmT1_PNSt15iterator_traitsIS13_E10value_typeET2_T3_PNS14_IS19_E10value_typeET4_jRbjT5_S1F_jjP12ihipStream_tbEUljE_ZNSN_ISO_Lb1ESR_SS_SU_SV_SZ_EES10_S11_S12_S13_S17_S18_S19_S1C_S1D_jS1E_jS1F_S1F_jjS1H_bEUljE0_EEES10_S11_S12_S19_S1D_S1F_T6_T7_T9_mT8_S1H_bDpT10_ENKUlT_T0_E_clISt17integral_constantIbLb1EES1V_EEDaS1Q_S1R_EUlS1Q_E_NS1_11comp_targetILNS1_3genE2ELNS1_11target_archE906ELNS1_3gpuE6ELNS1_3repE0EEENS1_30default_config_static_selectorELNS0_4arch9wavefront6targetE1EEEvS13_,comdat
.Lfunc_end1894:
	.size	_ZN7rocprim17ROCPRIM_400000_NS6detail17trampoline_kernelINS0_13select_configILj256ELj13ELNS0_17block_load_methodE3ELS4_3ELS4_3ELNS0_20block_scan_algorithmE0ELj4294967295EEENS1_25partition_config_selectorILNS1_17partition_subalgoE4EjNS0_10empty_typeEbEEZZNS1_14partition_implILS8_4ELb0ES6_15HIP_vector_typeIjLj2EENS0_17counting_iteratorIjlEEPS9_SG_NS0_5tupleIJPjSI_NS0_16reverse_iteratorISI_EEEEENSH_IJSG_SG_SG_EEES9_SI_JZNS1_25segmented_radix_sort_implINS0_14default_configELb1EPK12hip_bfloat16PSP_PKlPlN2at6native12_GLOBAL__N_18offset_tEEE10hipError_tPvRmT1_PNSt15iterator_traitsIS13_E10value_typeET2_T3_PNS14_IS19_E10value_typeET4_jRbjT5_S1F_jjP12ihipStream_tbEUljE_ZNSN_ISO_Lb1ESR_SS_SU_SV_SZ_EES10_S11_S12_S13_S17_S18_S19_S1C_S1D_jS1E_jS1F_S1F_jjS1H_bEUljE0_EEES10_S11_S12_S19_S1D_S1F_T6_T7_T9_mT8_S1H_bDpT10_ENKUlT_T0_E_clISt17integral_constantIbLb1EES1V_EEDaS1Q_S1R_EUlS1Q_E_NS1_11comp_targetILNS1_3genE2ELNS1_11target_archE906ELNS1_3gpuE6ELNS1_3repE0EEENS1_30default_config_static_selectorELNS0_4arch9wavefront6targetE1EEEvS13_, .Lfunc_end1894-_ZN7rocprim17ROCPRIM_400000_NS6detail17trampoline_kernelINS0_13select_configILj256ELj13ELNS0_17block_load_methodE3ELS4_3ELS4_3ELNS0_20block_scan_algorithmE0ELj4294967295EEENS1_25partition_config_selectorILNS1_17partition_subalgoE4EjNS0_10empty_typeEbEEZZNS1_14partition_implILS8_4ELb0ES6_15HIP_vector_typeIjLj2EENS0_17counting_iteratorIjlEEPS9_SG_NS0_5tupleIJPjSI_NS0_16reverse_iteratorISI_EEEEENSH_IJSG_SG_SG_EEES9_SI_JZNS1_25segmented_radix_sort_implINS0_14default_configELb1EPK12hip_bfloat16PSP_PKlPlN2at6native12_GLOBAL__N_18offset_tEEE10hipError_tPvRmT1_PNSt15iterator_traitsIS13_E10value_typeET2_T3_PNS14_IS19_E10value_typeET4_jRbjT5_S1F_jjP12ihipStream_tbEUljE_ZNSN_ISO_Lb1ESR_SS_SU_SV_SZ_EES10_S11_S12_S13_S17_S18_S19_S1C_S1D_jS1E_jS1F_S1F_jjS1H_bEUljE0_EEES10_S11_S12_S19_S1D_S1F_T6_T7_T9_mT8_S1H_bDpT10_ENKUlT_T0_E_clISt17integral_constantIbLb1EES1V_EEDaS1Q_S1R_EUlS1Q_E_NS1_11comp_targetILNS1_3genE2ELNS1_11target_archE906ELNS1_3gpuE6ELNS1_3repE0EEENS1_30default_config_static_selectorELNS0_4arch9wavefront6targetE1EEEvS13_
                                        ; -- End function
	.set _ZN7rocprim17ROCPRIM_400000_NS6detail17trampoline_kernelINS0_13select_configILj256ELj13ELNS0_17block_load_methodE3ELS4_3ELS4_3ELNS0_20block_scan_algorithmE0ELj4294967295EEENS1_25partition_config_selectorILNS1_17partition_subalgoE4EjNS0_10empty_typeEbEEZZNS1_14partition_implILS8_4ELb0ES6_15HIP_vector_typeIjLj2EENS0_17counting_iteratorIjlEEPS9_SG_NS0_5tupleIJPjSI_NS0_16reverse_iteratorISI_EEEEENSH_IJSG_SG_SG_EEES9_SI_JZNS1_25segmented_radix_sort_implINS0_14default_configELb1EPK12hip_bfloat16PSP_PKlPlN2at6native12_GLOBAL__N_18offset_tEEE10hipError_tPvRmT1_PNSt15iterator_traitsIS13_E10value_typeET2_T3_PNS14_IS19_E10value_typeET4_jRbjT5_S1F_jjP12ihipStream_tbEUljE_ZNSN_ISO_Lb1ESR_SS_SU_SV_SZ_EES10_S11_S12_S13_S17_S18_S19_S1C_S1D_jS1E_jS1F_S1F_jjS1H_bEUljE0_EEES10_S11_S12_S19_S1D_S1F_T6_T7_T9_mT8_S1H_bDpT10_ENKUlT_T0_E_clISt17integral_constantIbLb1EES1V_EEDaS1Q_S1R_EUlS1Q_E_NS1_11comp_targetILNS1_3genE2ELNS1_11target_archE906ELNS1_3gpuE6ELNS1_3repE0EEENS1_30default_config_static_selectorELNS0_4arch9wavefront6targetE1EEEvS13_.num_vgpr, 0
	.set _ZN7rocprim17ROCPRIM_400000_NS6detail17trampoline_kernelINS0_13select_configILj256ELj13ELNS0_17block_load_methodE3ELS4_3ELS4_3ELNS0_20block_scan_algorithmE0ELj4294967295EEENS1_25partition_config_selectorILNS1_17partition_subalgoE4EjNS0_10empty_typeEbEEZZNS1_14partition_implILS8_4ELb0ES6_15HIP_vector_typeIjLj2EENS0_17counting_iteratorIjlEEPS9_SG_NS0_5tupleIJPjSI_NS0_16reverse_iteratorISI_EEEEENSH_IJSG_SG_SG_EEES9_SI_JZNS1_25segmented_radix_sort_implINS0_14default_configELb1EPK12hip_bfloat16PSP_PKlPlN2at6native12_GLOBAL__N_18offset_tEEE10hipError_tPvRmT1_PNSt15iterator_traitsIS13_E10value_typeET2_T3_PNS14_IS19_E10value_typeET4_jRbjT5_S1F_jjP12ihipStream_tbEUljE_ZNSN_ISO_Lb1ESR_SS_SU_SV_SZ_EES10_S11_S12_S13_S17_S18_S19_S1C_S1D_jS1E_jS1F_S1F_jjS1H_bEUljE0_EEES10_S11_S12_S19_S1D_S1F_T6_T7_T9_mT8_S1H_bDpT10_ENKUlT_T0_E_clISt17integral_constantIbLb1EES1V_EEDaS1Q_S1R_EUlS1Q_E_NS1_11comp_targetILNS1_3genE2ELNS1_11target_archE906ELNS1_3gpuE6ELNS1_3repE0EEENS1_30default_config_static_selectorELNS0_4arch9wavefront6targetE1EEEvS13_.num_agpr, 0
	.set _ZN7rocprim17ROCPRIM_400000_NS6detail17trampoline_kernelINS0_13select_configILj256ELj13ELNS0_17block_load_methodE3ELS4_3ELS4_3ELNS0_20block_scan_algorithmE0ELj4294967295EEENS1_25partition_config_selectorILNS1_17partition_subalgoE4EjNS0_10empty_typeEbEEZZNS1_14partition_implILS8_4ELb0ES6_15HIP_vector_typeIjLj2EENS0_17counting_iteratorIjlEEPS9_SG_NS0_5tupleIJPjSI_NS0_16reverse_iteratorISI_EEEEENSH_IJSG_SG_SG_EEES9_SI_JZNS1_25segmented_radix_sort_implINS0_14default_configELb1EPK12hip_bfloat16PSP_PKlPlN2at6native12_GLOBAL__N_18offset_tEEE10hipError_tPvRmT1_PNSt15iterator_traitsIS13_E10value_typeET2_T3_PNS14_IS19_E10value_typeET4_jRbjT5_S1F_jjP12ihipStream_tbEUljE_ZNSN_ISO_Lb1ESR_SS_SU_SV_SZ_EES10_S11_S12_S13_S17_S18_S19_S1C_S1D_jS1E_jS1F_S1F_jjS1H_bEUljE0_EEES10_S11_S12_S19_S1D_S1F_T6_T7_T9_mT8_S1H_bDpT10_ENKUlT_T0_E_clISt17integral_constantIbLb1EES1V_EEDaS1Q_S1R_EUlS1Q_E_NS1_11comp_targetILNS1_3genE2ELNS1_11target_archE906ELNS1_3gpuE6ELNS1_3repE0EEENS1_30default_config_static_selectorELNS0_4arch9wavefront6targetE1EEEvS13_.numbered_sgpr, 0
	.set _ZN7rocprim17ROCPRIM_400000_NS6detail17trampoline_kernelINS0_13select_configILj256ELj13ELNS0_17block_load_methodE3ELS4_3ELS4_3ELNS0_20block_scan_algorithmE0ELj4294967295EEENS1_25partition_config_selectorILNS1_17partition_subalgoE4EjNS0_10empty_typeEbEEZZNS1_14partition_implILS8_4ELb0ES6_15HIP_vector_typeIjLj2EENS0_17counting_iteratorIjlEEPS9_SG_NS0_5tupleIJPjSI_NS0_16reverse_iteratorISI_EEEEENSH_IJSG_SG_SG_EEES9_SI_JZNS1_25segmented_radix_sort_implINS0_14default_configELb1EPK12hip_bfloat16PSP_PKlPlN2at6native12_GLOBAL__N_18offset_tEEE10hipError_tPvRmT1_PNSt15iterator_traitsIS13_E10value_typeET2_T3_PNS14_IS19_E10value_typeET4_jRbjT5_S1F_jjP12ihipStream_tbEUljE_ZNSN_ISO_Lb1ESR_SS_SU_SV_SZ_EES10_S11_S12_S13_S17_S18_S19_S1C_S1D_jS1E_jS1F_S1F_jjS1H_bEUljE0_EEES10_S11_S12_S19_S1D_S1F_T6_T7_T9_mT8_S1H_bDpT10_ENKUlT_T0_E_clISt17integral_constantIbLb1EES1V_EEDaS1Q_S1R_EUlS1Q_E_NS1_11comp_targetILNS1_3genE2ELNS1_11target_archE906ELNS1_3gpuE6ELNS1_3repE0EEENS1_30default_config_static_selectorELNS0_4arch9wavefront6targetE1EEEvS13_.num_named_barrier, 0
	.set _ZN7rocprim17ROCPRIM_400000_NS6detail17trampoline_kernelINS0_13select_configILj256ELj13ELNS0_17block_load_methodE3ELS4_3ELS4_3ELNS0_20block_scan_algorithmE0ELj4294967295EEENS1_25partition_config_selectorILNS1_17partition_subalgoE4EjNS0_10empty_typeEbEEZZNS1_14partition_implILS8_4ELb0ES6_15HIP_vector_typeIjLj2EENS0_17counting_iteratorIjlEEPS9_SG_NS0_5tupleIJPjSI_NS0_16reverse_iteratorISI_EEEEENSH_IJSG_SG_SG_EEES9_SI_JZNS1_25segmented_radix_sort_implINS0_14default_configELb1EPK12hip_bfloat16PSP_PKlPlN2at6native12_GLOBAL__N_18offset_tEEE10hipError_tPvRmT1_PNSt15iterator_traitsIS13_E10value_typeET2_T3_PNS14_IS19_E10value_typeET4_jRbjT5_S1F_jjP12ihipStream_tbEUljE_ZNSN_ISO_Lb1ESR_SS_SU_SV_SZ_EES10_S11_S12_S13_S17_S18_S19_S1C_S1D_jS1E_jS1F_S1F_jjS1H_bEUljE0_EEES10_S11_S12_S19_S1D_S1F_T6_T7_T9_mT8_S1H_bDpT10_ENKUlT_T0_E_clISt17integral_constantIbLb1EES1V_EEDaS1Q_S1R_EUlS1Q_E_NS1_11comp_targetILNS1_3genE2ELNS1_11target_archE906ELNS1_3gpuE6ELNS1_3repE0EEENS1_30default_config_static_selectorELNS0_4arch9wavefront6targetE1EEEvS13_.private_seg_size, 0
	.set _ZN7rocprim17ROCPRIM_400000_NS6detail17trampoline_kernelINS0_13select_configILj256ELj13ELNS0_17block_load_methodE3ELS4_3ELS4_3ELNS0_20block_scan_algorithmE0ELj4294967295EEENS1_25partition_config_selectorILNS1_17partition_subalgoE4EjNS0_10empty_typeEbEEZZNS1_14partition_implILS8_4ELb0ES6_15HIP_vector_typeIjLj2EENS0_17counting_iteratorIjlEEPS9_SG_NS0_5tupleIJPjSI_NS0_16reverse_iteratorISI_EEEEENSH_IJSG_SG_SG_EEES9_SI_JZNS1_25segmented_radix_sort_implINS0_14default_configELb1EPK12hip_bfloat16PSP_PKlPlN2at6native12_GLOBAL__N_18offset_tEEE10hipError_tPvRmT1_PNSt15iterator_traitsIS13_E10value_typeET2_T3_PNS14_IS19_E10value_typeET4_jRbjT5_S1F_jjP12ihipStream_tbEUljE_ZNSN_ISO_Lb1ESR_SS_SU_SV_SZ_EES10_S11_S12_S13_S17_S18_S19_S1C_S1D_jS1E_jS1F_S1F_jjS1H_bEUljE0_EEES10_S11_S12_S19_S1D_S1F_T6_T7_T9_mT8_S1H_bDpT10_ENKUlT_T0_E_clISt17integral_constantIbLb1EES1V_EEDaS1Q_S1R_EUlS1Q_E_NS1_11comp_targetILNS1_3genE2ELNS1_11target_archE906ELNS1_3gpuE6ELNS1_3repE0EEENS1_30default_config_static_selectorELNS0_4arch9wavefront6targetE1EEEvS13_.uses_vcc, 0
	.set _ZN7rocprim17ROCPRIM_400000_NS6detail17trampoline_kernelINS0_13select_configILj256ELj13ELNS0_17block_load_methodE3ELS4_3ELS4_3ELNS0_20block_scan_algorithmE0ELj4294967295EEENS1_25partition_config_selectorILNS1_17partition_subalgoE4EjNS0_10empty_typeEbEEZZNS1_14partition_implILS8_4ELb0ES6_15HIP_vector_typeIjLj2EENS0_17counting_iteratorIjlEEPS9_SG_NS0_5tupleIJPjSI_NS0_16reverse_iteratorISI_EEEEENSH_IJSG_SG_SG_EEES9_SI_JZNS1_25segmented_radix_sort_implINS0_14default_configELb1EPK12hip_bfloat16PSP_PKlPlN2at6native12_GLOBAL__N_18offset_tEEE10hipError_tPvRmT1_PNSt15iterator_traitsIS13_E10value_typeET2_T3_PNS14_IS19_E10value_typeET4_jRbjT5_S1F_jjP12ihipStream_tbEUljE_ZNSN_ISO_Lb1ESR_SS_SU_SV_SZ_EES10_S11_S12_S13_S17_S18_S19_S1C_S1D_jS1E_jS1F_S1F_jjS1H_bEUljE0_EEES10_S11_S12_S19_S1D_S1F_T6_T7_T9_mT8_S1H_bDpT10_ENKUlT_T0_E_clISt17integral_constantIbLb1EES1V_EEDaS1Q_S1R_EUlS1Q_E_NS1_11comp_targetILNS1_3genE2ELNS1_11target_archE906ELNS1_3gpuE6ELNS1_3repE0EEENS1_30default_config_static_selectorELNS0_4arch9wavefront6targetE1EEEvS13_.uses_flat_scratch, 0
	.set _ZN7rocprim17ROCPRIM_400000_NS6detail17trampoline_kernelINS0_13select_configILj256ELj13ELNS0_17block_load_methodE3ELS4_3ELS4_3ELNS0_20block_scan_algorithmE0ELj4294967295EEENS1_25partition_config_selectorILNS1_17partition_subalgoE4EjNS0_10empty_typeEbEEZZNS1_14partition_implILS8_4ELb0ES6_15HIP_vector_typeIjLj2EENS0_17counting_iteratorIjlEEPS9_SG_NS0_5tupleIJPjSI_NS0_16reverse_iteratorISI_EEEEENSH_IJSG_SG_SG_EEES9_SI_JZNS1_25segmented_radix_sort_implINS0_14default_configELb1EPK12hip_bfloat16PSP_PKlPlN2at6native12_GLOBAL__N_18offset_tEEE10hipError_tPvRmT1_PNSt15iterator_traitsIS13_E10value_typeET2_T3_PNS14_IS19_E10value_typeET4_jRbjT5_S1F_jjP12ihipStream_tbEUljE_ZNSN_ISO_Lb1ESR_SS_SU_SV_SZ_EES10_S11_S12_S13_S17_S18_S19_S1C_S1D_jS1E_jS1F_S1F_jjS1H_bEUljE0_EEES10_S11_S12_S19_S1D_S1F_T6_T7_T9_mT8_S1H_bDpT10_ENKUlT_T0_E_clISt17integral_constantIbLb1EES1V_EEDaS1Q_S1R_EUlS1Q_E_NS1_11comp_targetILNS1_3genE2ELNS1_11target_archE906ELNS1_3gpuE6ELNS1_3repE0EEENS1_30default_config_static_selectorELNS0_4arch9wavefront6targetE1EEEvS13_.has_dyn_sized_stack, 0
	.set _ZN7rocprim17ROCPRIM_400000_NS6detail17trampoline_kernelINS0_13select_configILj256ELj13ELNS0_17block_load_methodE3ELS4_3ELS4_3ELNS0_20block_scan_algorithmE0ELj4294967295EEENS1_25partition_config_selectorILNS1_17partition_subalgoE4EjNS0_10empty_typeEbEEZZNS1_14partition_implILS8_4ELb0ES6_15HIP_vector_typeIjLj2EENS0_17counting_iteratorIjlEEPS9_SG_NS0_5tupleIJPjSI_NS0_16reverse_iteratorISI_EEEEENSH_IJSG_SG_SG_EEES9_SI_JZNS1_25segmented_radix_sort_implINS0_14default_configELb1EPK12hip_bfloat16PSP_PKlPlN2at6native12_GLOBAL__N_18offset_tEEE10hipError_tPvRmT1_PNSt15iterator_traitsIS13_E10value_typeET2_T3_PNS14_IS19_E10value_typeET4_jRbjT5_S1F_jjP12ihipStream_tbEUljE_ZNSN_ISO_Lb1ESR_SS_SU_SV_SZ_EES10_S11_S12_S13_S17_S18_S19_S1C_S1D_jS1E_jS1F_S1F_jjS1H_bEUljE0_EEES10_S11_S12_S19_S1D_S1F_T6_T7_T9_mT8_S1H_bDpT10_ENKUlT_T0_E_clISt17integral_constantIbLb1EES1V_EEDaS1Q_S1R_EUlS1Q_E_NS1_11comp_targetILNS1_3genE2ELNS1_11target_archE906ELNS1_3gpuE6ELNS1_3repE0EEENS1_30default_config_static_selectorELNS0_4arch9wavefront6targetE1EEEvS13_.has_recursion, 0
	.set _ZN7rocprim17ROCPRIM_400000_NS6detail17trampoline_kernelINS0_13select_configILj256ELj13ELNS0_17block_load_methodE3ELS4_3ELS4_3ELNS0_20block_scan_algorithmE0ELj4294967295EEENS1_25partition_config_selectorILNS1_17partition_subalgoE4EjNS0_10empty_typeEbEEZZNS1_14partition_implILS8_4ELb0ES6_15HIP_vector_typeIjLj2EENS0_17counting_iteratorIjlEEPS9_SG_NS0_5tupleIJPjSI_NS0_16reverse_iteratorISI_EEEEENSH_IJSG_SG_SG_EEES9_SI_JZNS1_25segmented_radix_sort_implINS0_14default_configELb1EPK12hip_bfloat16PSP_PKlPlN2at6native12_GLOBAL__N_18offset_tEEE10hipError_tPvRmT1_PNSt15iterator_traitsIS13_E10value_typeET2_T3_PNS14_IS19_E10value_typeET4_jRbjT5_S1F_jjP12ihipStream_tbEUljE_ZNSN_ISO_Lb1ESR_SS_SU_SV_SZ_EES10_S11_S12_S13_S17_S18_S19_S1C_S1D_jS1E_jS1F_S1F_jjS1H_bEUljE0_EEES10_S11_S12_S19_S1D_S1F_T6_T7_T9_mT8_S1H_bDpT10_ENKUlT_T0_E_clISt17integral_constantIbLb1EES1V_EEDaS1Q_S1R_EUlS1Q_E_NS1_11comp_targetILNS1_3genE2ELNS1_11target_archE906ELNS1_3gpuE6ELNS1_3repE0EEENS1_30default_config_static_selectorELNS0_4arch9wavefront6targetE1EEEvS13_.has_indirect_call, 0
	.section	.AMDGPU.csdata,"",@progbits
; Kernel info:
; codeLenInByte = 4
; TotalNumSgprs: 4
; NumVgprs: 0
; ScratchSize: 0
; MemoryBound: 0
; FloatMode: 240
; IeeeMode: 1
; LDSByteSize: 0 bytes/workgroup (compile time only)
; SGPRBlocks: 0
; VGPRBlocks: 0
; NumSGPRsForWavesPerEU: 4
; NumVGPRsForWavesPerEU: 1
; Occupancy: 10
; WaveLimiterHint : 0
; COMPUTE_PGM_RSRC2:SCRATCH_EN: 0
; COMPUTE_PGM_RSRC2:USER_SGPR: 6
; COMPUTE_PGM_RSRC2:TRAP_HANDLER: 0
; COMPUTE_PGM_RSRC2:TGID_X_EN: 1
; COMPUTE_PGM_RSRC2:TGID_Y_EN: 0
; COMPUTE_PGM_RSRC2:TGID_Z_EN: 0
; COMPUTE_PGM_RSRC2:TIDIG_COMP_CNT: 0
	.section	.text._ZN7rocprim17ROCPRIM_400000_NS6detail17trampoline_kernelINS0_13select_configILj256ELj13ELNS0_17block_load_methodE3ELS4_3ELS4_3ELNS0_20block_scan_algorithmE0ELj4294967295EEENS1_25partition_config_selectorILNS1_17partition_subalgoE4EjNS0_10empty_typeEbEEZZNS1_14partition_implILS8_4ELb0ES6_15HIP_vector_typeIjLj2EENS0_17counting_iteratorIjlEEPS9_SG_NS0_5tupleIJPjSI_NS0_16reverse_iteratorISI_EEEEENSH_IJSG_SG_SG_EEES9_SI_JZNS1_25segmented_radix_sort_implINS0_14default_configELb1EPK12hip_bfloat16PSP_PKlPlN2at6native12_GLOBAL__N_18offset_tEEE10hipError_tPvRmT1_PNSt15iterator_traitsIS13_E10value_typeET2_T3_PNS14_IS19_E10value_typeET4_jRbjT5_S1F_jjP12ihipStream_tbEUljE_ZNSN_ISO_Lb1ESR_SS_SU_SV_SZ_EES10_S11_S12_S13_S17_S18_S19_S1C_S1D_jS1E_jS1F_S1F_jjS1H_bEUljE0_EEES10_S11_S12_S19_S1D_S1F_T6_T7_T9_mT8_S1H_bDpT10_ENKUlT_T0_E_clISt17integral_constantIbLb1EES1V_EEDaS1Q_S1R_EUlS1Q_E_NS1_11comp_targetILNS1_3genE10ELNS1_11target_archE1200ELNS1_3gpuE4ELNS1_3repE0EEENS1_30default_config_static_selectorELNS0_4arch9wavefront6targetE1EEEvS13_,"axG",@progbits,_ZN7rocprim17ROCPRIM_400000_NS6detail17trampoline_kernelINS0_13select_configILj256ELj13ELNS0_17block_load_methodE3ELS4_3ELS4_3ELNS0_20block_scan_algorithmE0ELj4294967295EEENS1_25partition_config_selectorILNS1_17partition_subalgoE4EjNS0_10empty_typeEbEEZZNS1_14partition_implILS8_4ELb0ES6_15HIP_vector_typeIjLj2EENS0_17counting_iteratorIjlEEPS9_SG_NS0_5tupleIJPjSI_NS0_16reverse_iteratorISI_EEEEENSH_IJSG_SG_SG_EEES9_SI_JZNS1_25segmented_radix_sort_implINS0_14default_configELb1EPK12hip_bfloat16PSP_PKlPlN2at6native12_GLOBAL__N_18offset_tEEE10hipError_tPvRmT1_PNSt15iterator_traitsIS13_E10value_typeET2_T3_PNS14_IS19_E10value_typeET4_jRbjT5_S1F_jjP12ihipStream_tbEUljE_ZNSN_ISO_Lb1ESR_SS_SU_SV_SZ_EES10_S11_S12_S13_S17_S18_S19_S1C_S1D_jS1E_jS1F_S1F_jjS1H_bEUljE0_EEES10_S11_S12_S19_S1D_S1F_T6_T7_T9_mT8_S1H_bDpT10_ENKUlT_T0_E_clISt17integral_constantIbLb1EES1V_EEDaS1Q_S1R_EUlS1Q_E_NS1_11comp_targetILNS1_3genE10ELNS1_11target_archE1200ELNS1_3gpuE4ELNS1_3repE0EEENS1_30default_config_static_selectorELNS0_4arch9wavefront6targetE1EEEvS13_,comdat
	.globl	_ZN7rocprim17ROCPRIM_400000_NS6detail17trampoline_kernelINS0_13select_configILj256ELj13ELNS0_17block_load_methodE3ELS4_3ELS4_3ELNS0_20block_scan_algorithmE0ELj4294967295EEENS1_25partition_config_selectorILNS1_17partition_subalgoE4EjNS0_10empty_typeEbEEZZNS1_14partition_implILS8_4ELb0ES6_15HIP_vector_typeIjLj2EENS0_17counting_iteratorIjlEEPS9_SG_NS0_5tupleIJPjSI_NS0_16reverse_iteratorISI_EEEEENSH_IJSG_SG_SG_EEES9_SI_JZNS1_25segmented_radix_sort_implINS0_14default_configELb1EPK12hip_bfloat16PSP_PKlPlN2at6native12_GLOBAL__N_18offset_tEEE10hipError_tPvRmT1_PNSt15iterator_traitsIS13_E10value_typeET2_T3_PNS14_IS19_E10value_typeET4_jRbjT5_S1F_jjP12ihipStream_tbEUljE_ZNSN_ISO_Lb1ESR_SS_SU_SV_SZ_EES10_S11_S12_S13_S17_S18_S19_S1C_S1D_jS1E_jS1F_S1F_jjS1H_bEUljE0_EEES10_S11_S12_S19_S1D_S1F_T6_T7_T9_mT8_S1H_bDpT10_ENKUlT_T0_E_clISt17integral_constantIbLb1EES1V_EEDaS1Q_S1R_EUlS1Q_E_NS1_11comp_targetILNS1_3genE10ELNS1_11target_archE1200ELNS1_3gpuE4ELNS1_3repE0EEENS1_30default_config_static_selectorELNS0_4arch9wavefront6targetE1EEEvS13_ ; -- Begin function _ZN7rocprim17ROCPRIM_400000_NS6detail17trampoline_kernelINS0_13select_configILj256ELj13ELNS0_17block_load_methodE3ELS4_3ELS4_3ELNS0_20block_scan_algorithmE0ELj4294967295EEENS1_25partition_config_selectorILNS1_17partition_subalgoE4EjNS0_10empty_typeEbEEZZNS1_14partition_implILS8_4ELb0ES6_15HIP_vector_typeIjLj2EENS0_17counting_iteratorIjlEEPS9_SG_NS0_5tupleIJPjSI_NS0_16reverse_iteratorISI_EEEEENSH_IJSG_SG_SG_EEES9_SI_JZNS1_25segmented_radix_sort_implINS0_14default_configELb1EPK12hip_bfloat16PSP_PKlPlN2at6native12_GLOBAL__N_18offset_tEEE10hipError_tPvRmT1_PNSt15iterator_traitsIS13_E10value_typeET2_T3_PNS14_IS19_E10value_typeET4_jRbjT5_S1F_jjP12ihipStream_tbEUljE_ZNSN_ISO_Lb1ESR_SS_SU_SV_SZ_EES10_S11_S12_S13_S17_S18_S19_S1C_S1D_jS1E_jS1F_S1F_jjS1H_bEUljE0_EEES10_S11_S12_S19_S1D_S1F_T6_T7_T9_mT8_S1H_bDpT10_ENKUlT_T0_E_clISt17integral_constantIbLb1EES1V_EEDaS1Q_S1R_EUlS1Q_E_NS1_11comp_targetILNS1_3genE10ELNS1_11target_archE1200ELNS1_3gpuE4ELNS1_3repE0EEENS1_30default_config_static_selectorELNS0_4arch9wavefront6targetE1EEEvS13_
	.p2align	8
	.type	_ZN7rocprim17ROCPRIM_400000_NS6detail17trampoline_kernelINS0_13select_configILj256ELj13ELNS0_17block_load_methodE3ELS4_3ELS4_3ELNS0_20block_scan_algorithmE0ELj4294967295EEENS1_25partition_config_selectorILNS1_17partition_subalgoE4EjNS0_10empty_typeEbEEZZNS1_14partition_implILS8_4ELb0ES6_15HIP_vector_typeIjLj2EENS0_17counting_iteratorIjlEEPS9_SG_NS0_5tupleIJPjSI_NS0_16reverse_iteratorISI_EEEEENSH_IJSG_SG_SG_EEES9_SI_JZNS1_25segmented_radix_sort_implINS0_14default_configELb1EPK12hip_bfloat16PSP_PKlPlN2at6native12_GLOBAL__N_18offset_tEEE10hipError_tPvRmT1_PNSt15iterator_traitsIS13_E10value_typeET2_T3_PNS14_IS19_E10value_typeET4_jRbjT5_S1F_jjP12ihipStream_tbEUljE_ZNSN_ISO_Lb1ESR_SS_SU_SV_SZ_EES10_S11_S12_S13_S17_S18_S19_S1C_S1D_jS1E_jS1F_S1F_jjS1H_bEUljE0_EEES10_S11_S12_S19_S1D_S1F_T6_T7_T9_mT8_S1H_bDpT10_ENKUlT_T0_E_clISt17integral_constantIbLb1EES1V_EEDaS1Q_S1R_EUlS1Q_E_NS1_11comp_targetILNS1_3genE10ELNS1_11target_archE1200ELNS1_3gpuE4ELNS1_3repE0EEENS1_30default_config_static_selectorELNS0_4arch9wavefront6targetE1EEEvS13_,@function
_ZN7rocprim17ROCPRIM_400000_NS6detail17trampoline_kernelINS0_13select_configILj256ELj13ELNS0_17block_load_methodE3ELS4_3ELS4_3ELNS0_20block_scan_algorithmE0ELj4294967295EEENS1_25partition_config_selectorILNS1_17partition_subalgoE4EjNS0_10empty_typeEbEEZZNS1_14partition_implILS8_4ELb0ES6_15HIP_vector_typeIjLj2EENS0_17counting_iteratorIjlEEPS9_SG_NS0_5tupleIJPjSI_NS0_16reverse_iteratorISI_EEEEENSH_IJSG_SG_SG_EEES9_SI_JZNS1_25segmented_radix_sort_implINS0_14default_configELb1EPK12hip_bfloat16PSP_PKlPlN2at6native12_GLOBAL__N_18offset_tEEE10hipError_tPvRmT1_PNSt15iterator_traitsIS13_E10value_typeET2_T3_PNS14_IS19_E10value_typeET4_jRbjT5_S1F_jjP12ihipStream_tbEUljE_ZNSN_ISO_Lb1ESR_SS_SU_SV_SZ_EES10_S11_S12_S13_S17_S18_S19_S1C_S1D_jS1E_jS1F_S1F_jjS1H_bEUljE0_EEES10_S11_S12_S19_S1D_S1F_T6_T7_T9_mT8_S1H_bDpT10_ENKUlT_T0_E_clISt17integral_constantIbLb1EES1V_EEDaS1Q_S1R_EUlS1Q_E_NS1_11comp_targetILNS1_3genE10ELNS1_11target_archE1200ELNS1_3gpuE4ELNS1_3repE0EEENS1_30default_config_static_selectorELNS0_4arch9wavefront6targetE1EEEvS13_: ; @_ZN7rocprim17ROCPRIM_400000_NS6detail17trampoline_kernelINS0_13select_configILj256ELj13ELNS0_17block_load_methodE3ELS4_3ELS4_3ELNS0_20block_scan_algorithmE0ELj4294967295EEENS1_25partition_config_selectorILNS1_17partition_subalgoE4EjNS0_10empty_typeEbEEZZNS1_14partition_implILS8_4ELb0ES6_15HIP_vector_typeIjLj2EENS0_17counting_iteratorIjlEEPS9_SG_NS0_5tupleIJPjSI_NS0_16reverse_iteratorISI_EEEEENSH_IJSG_SG_SG_EEES9_SI_JZNS1_25segmented_radix_sort_implINS0_14default_configELb1EPK12hip_bfloat16PSP_PKlPlN2at6native12_GLOBAL__N_18offset_tEEE10hipError_tPvRmT1_PNSt15iterator_traitsIS13_E10value_typeET2_T3_PNS14_IS19_E10value_typeET4_jRbjT5_S1F_jjP12ihipStream_tbEUljE_ZNSN_ISO_Lb1ESR_SS_SU_SV_SZ_EES10_S11_S12_S13_S17_S18_S19_S1C_S1D_jS1E_jS1F_S1F_jjS1H_bEUljE0_EEES10_S11_S12_S19_S1D_S1F_T6_T7_T9_mT8_S1H_bDpT10_ENKUlT_T0_E_clISt17integral_constantIbLb1EES1V_EEDaS1Q_S1R_EUlS1Q_E_NS1_11comp_targetILNS1_3genE10ELNS1_11target_archE1200ELNS1_3gpuE4ELNS1_3repE0EEENS1_30default_config_static_selectorELNS0_4arch9wavefront6targetE1EEEvS13_
; %bb.0:
	.section	.rodata,"a",@progbits
	.p2align	6, 0x0
	.amdhsa_kernel _ZN7rocprim17ROCPRIM_400000_NS6detail17trampoline_kernelINS0_13select_configILj256ELj13ELNS0_17block_load_methodE3ELS4_3ELS4_3ELNS0_20block_scan_algorithmE0ELj4294967295EEENS1_25partition_config_selectorILNS1_17partition_subalgoE4EjNS0_10empty_typeEbEEZZNS1_14partition_implILS8_4ELb0ES6_15HIP_vector_typeIjLj2EENS0_17counting_iteratorIjlEEPS9_SG_NS0_5tupleIJPjSI_NS0_16reverse_iteratorISI_EEEEENSH_IJSG_SG_SG_EEES9_SI_JZNS1_25segmented_radix_sort_implINS0_14default_configELb1EPK12hip_bfloat16PSP_PKlPlN2at6native12_GLOBAL__N_18offset_tEEE10hipError_tPvRmT1_PNSt15iterator_traitsIS13_E10value_typeET2_T3_PNS14_IS19_E10value_typeET4_jRbjT5_S1F_jjP12ihipStream_tbEUljE_ZNSN_ISO_Lb1ESR_SS_SU_SV_SZ_EES10_S11_S12_S13_S17_S18_S19_S1C_S1D_jS1E_jS1F_S1F_jjS1H_bEUljE0_EEES10_S11_S12_S19_S1D_S1F_T6_T7_T9_mT8_S1H_bDpT10_ENKUlT_T0_E_clISt17integral_constantIbLb1EES1V_EEDaS1Q_S1R_EUlS1Q_E_NS1_11comp_targetILNS1_3genE10ELNS1_11target_archE1200ELNS1_3gpuE4ELNS1_3repE0EEENS1_30default_config_static_selectorELNS0_4arch9wavefront6targetE1EEEvS13_
		.amdhsa_group_segment_fixed_size 0
		.amdhsa_private_segment_fixed_size 0
		.amdhsa_kernarg_size 184
		.amdhsa_user_sgpr_count 6
		.amdhsa_user_sgpr_private_segment_buffer 1
		.amdhsa_user_sgpr_dispatch_ptr 0
		.amdhsa_user_sgpr_queue_ptr 0
		.amdhsa_user_sgpr_kernarg_segment_ptr 1
		.amdhsa_user_sgpr_dispatch_id 0
		.amdhsa_user_sgpr_flat_scratch_init 0
		.amdhsa_user_sgpr_private_segment_size 0
		.amdhsa_uses_dynamic_stack 0
		.amdhsa_system_sgpr_private_segment_wavefront_offset 0
		.amdhsa_system_sgpr_workgroup_id_x 1
		.amdhsa_system_sgpr_workgroup_id_y 0
		.amdhsa_system_sgpr_workgroup_id_z 0
		.amdhsa_system_sgpr_workgroup_info 0
		.amdhsa_system_vgpr_workitem_id 0
		.amdhsa_next_free_vgpr 1
		.amdhsa_next_free_sgpr 0
		.amdhsa_reserve_vcc 0
		.amdhsa_reserve_flat_scratch 0
		.amdhsa_float_round_mode_32 0
		.amdhsa_float_round_mode_16_64 0
		.amdhsa_float_denorm_mode_32 3
		.amdhsa_float_denorm_mode_16_64 3
		.amdhsa_dx10_clamp 1
		.amdhsa_ieee_mode 1
		.amdhsa_fp16_overflow 0
		.amdhsa_exception_fp_ieee_invalid_op 0
		.amdhsa_exception_fp_denorm_src 0
		.amdhsa_exception_fp_ieee_div_zero 0
		.amdhsa_exception_fp_ieee_overflow 0
		.amdhsa_exception_fp_ieee_underflow 0
		.amdhsa_exception_fp_ieee_inexact 0
		.amdhsa_exception_int_div_zero 0
	.end_amdhsa_kernel
	.section	.text._ZN7rocprim17ROCPRIM_400000_NS6detail17trampoline_kernelINS0_13select_configILj256ELj13ELNS0_17block_load_methodE3ELS4_3ELS4_3ELNS0_20block_scan_algorithmE0ELj4294967295EEENS1_25partition_config_selectorILNS1_17partition_subalgoE4EjNS0_10empty_typeEbEEZZNS1_14partition_implILS8_4ELb0ES6_15HIP_vector_typeIjLj2EENS0_17counting_iteratorIjlEEPS9_SG_NS0_5tupleIJPjSI_NS0_16reverse_iteratorISI_EEEEENSH_IJSG_SG_SG_EEES9_SI_JZNS1_25segmented_radix_sort_implINS0_14default_configELb1EPK12hip_bfloat16PSP_PKlPlN2at6native12_GLOBAL__N_18offset_tEEE10hipError_tPvRmT1_PNSt15iterator_traitsIS13_E10value_typeET2_T3_PNS14_IS19_E10value_typeET4_jRbjT5_S1F_jjP12ihipStream_tbEUljE_ZNSN_ISO_Lb1ESR_SS_SU_SV_SZ_EES10_S11_S12_S13_S17_S18_S19_S1C_S1D_jS1E_jS1F_S1F_jjS1H_bEUljE0_EEES10_S11_S12_S19_S1D_S1F_T6_T7_T9_mT8_S1H_bDpT10_ENKUlT_T0_E_clISt17integral_constantIbLb1EES1V_EEDaS1Q_S1R_EUlS1Q_E_NS1_11comp_targetILNS1_3genE10ELNS1_11target_archE1200ELNS1_3gpuE4ELNS1_3repE0EEENS1_30default_config_static_selectorELNS0_4arch9wavefront6targetE1EEEvS13_,"axG",@progbits,_ZN7rocprim17ROCPRIM_400000_NS6detail17trampoline_kernelINS0_13select_configILj256ELj13ELNS0_17block_load_methodE3ELS4_3ELS4_3ELNS0_20block_scan_algorithmE0ELj4294967295EEENS1_25partition_config_selectorILNS1_17partition_subalgoE4EjNS0_10empty_typeEbEEZZNS1_14partition_implILS8_4ELb0ES6_15HIP_vector_typeIjLj2EENS0_17counting_iteratorIjlEEPS9_SG_NS0_5tupleIJPjSI_NS0_16reverse_iteratorISI_EEEEENSH_IJSG_SG_SG_EEES9_SI_JZNS1_25segmented_radix_sort_implINS0_14default_configELb1EPK12hip_bfloat16PSP_PKlPlN2at6native12_GLOBAL__N_18offset_tEEE10hipError_tPvRmT1_PNSt15iterator_traitsIS13_E10value_typeET2_T3_PNS14_IS19_E10value_typeET4_jRbjT5_S1F_jjP12ihipStream_tbEUljE_ZNSN_ISO_Lb1ESR_SS_SU_SV_SZ_EES10_S11_S12_S13_S17_S18_S19_S1C_S1D_jS1E_jS1F_S1F_jjS1H_bEUljE0_EEES10_S11_S12_S19_S1D_S1F_T6_T7_T9_mT8_S1H_bDpT10_ENKUlT_T0_E_clISt17integral_constantIbLb1EES1V_EEDaS1Q_S1R_EUlS1Q_E_NS1_11comp_targetILNS1_3genE10ELNS1_11target_archE1200ELNS1_3gpuE4ELNS1_3repE0EEENS1_30default_config_static_selectorELNS0_4arch9wavefront6targetE1EEEvS13_,comdat
.Lfunc_end1895:
	.size	_ZN7rocprim17ROCPRIM_400000_NS6detail17trampoline_kernelINS0_13select_configILj256ELj13ELNS0_17block_load_methodE3ELS4_3ELS4_3ELNS0_20block_scan_algorithmE0ELj4294967295EEENS1_25partition_config_selectorILNS1_17partition_subalgoE4EjNS0_10empty_typeEbEEZZNS1_14partition_implILS8_4ELb0ES6_15HIP_vector_typeIjLj2EENS0_17counting_iteratorIjlEEPS9_SG_NS0_5tupleIJPjSI_NS0_16reverse_iteratorISI_EEEEENSH_IJSG_SG_SG_EEES9_SI_JZNS1_25segmented_radix_sort_implINS0_14default_configELb1EPK12hip_bfloat16PSP_PKlPlN2at6native12_GLOBAL__N_18offset_tEEE10hipError_tPvRmT1_PNSt15iterator_traitsIS13_E10value_typeET2_T3_PNS14_IS19_E10value_typeET4_jRbjT5_S1F_jjP12ihipStream_tbEUljE_ZNSN_ISO_Lb1ESR_SS_SU_SV_SZ_EES10_S11_S12_S13_S17_S18_S19_S1C_S1D_jS1E_jS1F_S1F_jjS1H_bEUljE0_EEES10_S11_S12_S19_S1D_S1F_T6_T7_T9_mT8_S1H_bDpT10_ENKUlT_T0_E_clISt17integral_constantIbLb1EES1V_EEDaS1Q_S1R_EUlS1Q_E_NS1_11comp_targetILNS1_3genE10ELNS1_11target_archE1200ELNS1_3gpuE4ELNS1_3repE0EEENS1_30default_config_static_selectorELNS0_4arch9wavefront6targetE1EEEvS13_, .Lfunc_end1895-_ZN7rocprim17ROCPRIM_400000_NS6detail17trampoline_kernelINS0_13select_configILj256ELj13ELNS0_17block_load_methodE3ELS4_3ELS4_3ELNS0_20block_scan_algorithmE0ELj4294967295EEENS1_25partition_config_selectorILNS1_17partition_subalgoE4EjNS0_10empty_typeEbEEZZNS1_14partition_implILS8_4ELb0ES6_15HIP_vector_typeIjLj2EENS0_17counting_iteratorIjlEEPS9_SG_NS0_5tupleIJPjSI_NS0_16reverse_iteratorISI_EEEEENSH_IJSG_SG_SG_EEES9_SI_JZNS1_25segmented_radix_sort_implINS0_14default_configELb1EPK12hip_bfloat16PSP_PKlPlN2at6native12_GLOBAL__N_18offset_tEEE10hipError_tPvRmT1_PNSt15iterator_traitsIS13_E10value_typeET2_T3_PNS14_IS19_E10value_typeET4_jRbjT5_S1F_jjP12ihipStream_tbEUljE_ZNSN_ISO_Lb1ESR_SS_SU_SV_SZ_EES10_S11_S12_S13_S17_S18_S19_S1C_S1D_jS1E_jS1F_S1F_jjS1H_bEUljE0_EEES10_S11_S12_S19_S1D_S1F_T6_T7_T9_mT8_S1H_bDpT10_ENKUlT_T0_E_clISt17integral_constantIbLb1EES1V_EEDaS1Q_S1R_EUlS1Q_E_NS1_11comp_targetILNS1_3genE10ELNS1_11target_archE1200ELNS1_3gpuE4ELNS1_3repE0EEENS1_30default_config_static_selectorELNS0_4arch9wavefront6targetE1EEEvS13_
                                        ; -- End function
	.set _ZN7rocprim17ROCPRIM_400000_NS6detail17trampoline_kernelINS0_13select_configILj256ELj13ELNS0_17block_load_methodE3ELS4_3ELS4_3ELNS0_20block_scan_algorithmE0ELj4294967295EEENS1_25partition_config_selectorILNS1_17partition_subalgoE4EjNS0_10empty_typeEbEEZZNS1_14partition_implILS8_4ELb0ES6_15HIP_vector_typeIjLj2EENS0_17counting_iteratorIjlEEPS9_SG_NS0_5tupleIJPjSI_NS0_16reverse_iteratorISI_EEEEENSH_IJSG_SG_SG_EEES9_SI_JZNS1_25segmented_radix_sort_implINS0_14default_configELb1EPK12hip_bfloat16PSP_PKlPlN2at6native12_GLOBAL__N_18offset_tEEE10hipError_tPvRmT1_PNSt15iterator_traitsIS13_E10value_typeET2_T3_PNS14_IS19_E10value_typeET4_jRbjT5_S1F_jjP12ihipStream_tbEUljE_ZNSN_ISO_Lb1ESR_SS_SU_SV_SZ_EES10_S11_S12_S13_S17_S18_S19_S1C_S1D_jS1E_jS1F_S1F_jjS1H_bEUljE0_EEES10_S11_S12_S19_S1D_S1F_T6_T7_T9_mT8_S1H_bDpT10_ENKUlT_T0_E_clISt17integral_constantIbLb1EES1V_EEDaS1Q_S1R_EUlS1Q_E_NS1_11comp_targetILNS1_3genE10ELNS1_11target_archE1200ELNS1_3gpuE4ELNS1_3repE0EEENS1_30default_config_static_selectorELNS0_4arch9wavefront6targetE1EEEvS13_.num_vgpr, 0
	.set _ZN7rocprim17ROCPRIM_400000_NS6detail17trampoline_kernelINS0_13select_configILj256ELj13ELNS0_17block_load_methodE3ELS4_3ELS4_3ELNS0_20block_scan_algorithmE0ELj4294967295EEENS1_25partition_config_selectorILNS1_17partition_subalgoE4EjNS0_10empty_typeEbEEZZNS1_14partition_implILS8_4ELb0ES6_15HIP_vector_typeIjLj2EENS0_17counting_iteratorIjlEEPS9_SG_NS0_5tupleIJPjSI_NS0_16reverse_iteratorISI_EEEEENSH_IJSG_SG_SG_EEES9_SI_JZNS1_25segmented_radix_sort_implINS0_14default_configELb1EPK12hip_bfloat16PSP_PKlPlN2at6native12_GLOBAL__N_18offset_tEEE10hipError_tPvRmT1_PNSt15iterator_traitsIS13_E10value_typeET2_T3_PNS14_IS19_E10value_typeET4_jRbjT5_S1F_jjP12ihipStream_tbEUljE_ZNSN_ISO_Lb1ESR_SS_SU_SV_SZ_EES10_S11_S12_S13_S17_S18_S19_S1C_S1D_jS1E_jS1F_S1F_jjS1H_bEUljE0_EEES10_S11_S12_S19_S1D_S1F_T6_T7_T9_mT8_S1H_bDpT10_ENKUlT_T0_E_clISt17integral_constantIbLb1EES1V_EEDaS1Q_S1R_EUlS1Q_E_NS1_11comp_targetILNS1_3genE10ELNS1_11target_archE1200ELNS1_3gpuE4ELNS1_3repE0EEENS1_30default_config_static_selectorELNS0_4arch9wavefront6targetE1EEEvS13_.num_agpr, 0
	.set _ZN7rocprim17ROCPRIM_400000_NS6detail17trampoline_kernelINS0_13select_configILj256ELj13ELNS0_17block_load_methodE3ELS4_3ELS4_3ELNS0_20block_scan_algorithmE0ELj4294967295EEENS1_25partition_config_selectorILNS1_17partition_subalgoE4EjNS0_10empty_typeEbEEZZNS1_14partition_implILS8_4ELb0ES6_15HIP_vector_typeIjLj2EENS0_17counting_iteratorIjlEEPS9_SG_NS0_5tupleIJPjSI_NS0_16reverse_iteratorISI_EEEEENSH_IJSG_SG_SG_EEES9_SI_JZNS1_25segmented_radix_sort_implINS0_14default_configELb1EPK12hip_bfloat16PSP_PKlPlN2at6native12_GLOBAL__N_18offset_tEEE10hipError_tPvRmT1_PNSt15iterator_traitsIS13_E10value_typeET2_T3_PNS14_IS19_E10value_typeET4_jRbjT5_S1F_jjP12ihipStream_tbEUljE_ZNSN_ISO_Lb1ESR_SS_SU_SV_SZ_EES10_S11_S12_S13_S17_S18_S19_S1C_S1D_jS1E_jS1F_S1F_jjS1H_bEUljE0_EEES10_S11_S12_S19_S1D_S1F_T6_T7_T9_mT8_S1H_bDpT10_ENKUlT_T0_E_clISt17integral_constantIbLb1EES1V_EEDaS1Q_S1R_EUlS1Q_E_NS1_11comp_targetILNS1_3genE10ELNS1_11target_archE1200ELNS1_3gpuE4ELNS1_3repE0EEENS1_30default_config_static_selectorELNS0_4arch9wavefront6targetE1EEEvS13_.numbered_sgpr, 0
	.set _ZN7rocprim17ROCPRIM_400000_NS6detail17trampoline_kernelINS0_13select_configILj256ELj13ELNS0_17block_load_methodE3ELS4_3ELS4_3ELNS0_20block_scan_algorithmE0ELj4294967295EEENS1_25partition_config_selectorILNS1_17partition_subalgoE4EjNS0_10empty_typeEbEEZZNS1_14partition_implILS8_4ELb0ES6_15HIP_vector_typeIjLj2EENS0_17counting_iteratorIjlEEPS9_SG_NS0_5tupleIJPjSI_NS0_16reverse_iteratorISI_EEEEENSH_IJSG_SG_SG_EEES9_SI_JZNS1_25segmented_radix_sort_implINS0_14default_configELb1EPK12hip_bfloat16PSP_PKlPlN2at6native12_GLOBAL__N_18offset_tEEE10hipError_tPvRmT1_PNSt15iterator_traitsIS13_E10value_typeET2_T3_PNS14_IS19_E10value_typeET4_jRbjT5_S1F_jjP12ihipStream_tbEUljE_ZNSN_ISO_Lb1ESR_SS_SU_SV_SZ_EES10_S11_S12_S13_S17_S18_S19_S1C_S1D_jS1E_jS1F_S1F_jjS1H_bEUljE0_EEES10_S11_S12_S19_S1D_S1F_T6_T7_T9_mT8_S1H_bDpT10_ENKUlT_T0_E_clISt17integral_constantIbLb1EES1V_EEDaS1Q_S1R_EUlS1Q_E_NS1_11comp_targetILNS1_3genE10ELNS1_11target_archE1200ELNS1_3gpuE4ELNS1_3repE0EEENS1_30default_config_static_selectorELNS0_4arch9wavefront6targetE1EEEvS13_.num_named_barrier, 0
	.set _ZN7rocprim17ROCPRIM_400000_NS6detail17trampoline_kernelINS0_13select_configILj256ELj13ELNS0_17block_load_methodE3ELS4_3ELS4_3ELNS0_20block_scan_algorithmE0ELj4294967295EEENS1_25partition_config_selectorILNS1_17partition_subalgoE4EjNS0_10empty_typeEbEEZZNS1_14partition_implILS8_4ELb0ES6_15HIP_vector_typeIjLj2EENS0_17counting_iteratorIjlEEPS9_SG_NS0_5tupleIJPjSI_NS0_16reverse_iteratorISI_EEEEENSH_IJSG_SG_SG_EEES9_SI_JZNS1_25segmented_radix_sort_implINS0_14default_configELb1EPK12hip_bfloat16PSP_PKlPlN2at6native12_GLOBAL__N_18offset_tEEE10hipError_tPvRmT1_PNSt15iterator_traitsIS13_E10value_typeET2_T3_PNS14_IS19_E10value_typeET4_jRbjT5_S1F_jjP12ihipStream_tbEUljE_ZNSN_ISO_Lb1ESR_SS_SU_SV_SZ_EES10_S11_S12_S13_S17_S18_S19_S1C_S1D_jS1E_jS1F_S1F_jjS1H_bEUljE0_EEES10_S11_S12_S19_S1D_S1F_T6_T7_T9_mT8_S1H_bDpT10_ENKUlT_T0_E_clISt17integral_constantIbLb1EES1V_EEDaS1Q_S1R_EUlS1Q_E_NS1_11comp_targetILNS1_3genE10ELNS1_11target_archE1200ELNS1_3gpuE4ELNS1_3repE0EEENS1_30default_config_static_selectorELNS0_4arch9wavefront6targetE1EEEvS13_.private_seg_size, 0
	.set _ZN7rocprim17ROCPRIM_400000_NS6detail17trampoline_kernelINS0_13select_configILj256ELj13ELNS0_17block_load_methodE3ELS4_3ELS4_3ELNS0_20block_scan_algorithmE0ELj4294967295EEENS1_25partition_config_selectorILNS1_17partition_subalgoE4EjNS0_10empty_typeEbEEZZNS1_14partition_implILS8_4ELb0ES6_15HIP_vector_typeIjLj2EENS0_17counting_iteratorIjlEEPS9_SG_NS0_5tupleIJPjSI_NS0_16reverse_iteratorISI_EEEEENSH_IJSG_SG_SG_EEES9_SI_JZNS1_25segmented_radix_sort_implINS0_14default_configELb1EPK12hip_bfloat16PSP_PKlPlN2at6native12_GLOBAL__N_18offset_tEEE10hipError_tPvRmT1_PNSt15iterator_traitsIS13_E10value_typeET2_T3_PNS14_IS19_E10value_typeET4_jRbjT5_S1F_jjP12ihipStream_tbEUljE_ZNSN_ISO_Lb1ESR_SS_SU_SV_SZ_EES10_S11_S12_S13_S17_S18_S19_S1C_S1D_jS1E_jS1F_S1F_jjS1H_bEUljE0_EEES10_S11_S12_S19_S1D_S1F_T6_T7_T9_mT8_S1H_bDpT10_ENKUlT_T0_E_clISt17integral_constantIbLb1EES1V_EEDaS1Q_S1R_EUlS1Q_E_NS1_11comp_targetILNS1_3genE10ELNS1_11target_archE1200ELNS1_3gpuE4ELNS1_3repE0EEENS1_30default_config_static_selectorELNS0_4arch9wavefront6targetE1EEEvS13_.uses_vcc, 0
	.set _ZN7rocprim17ROCPRIM_400000_NS6detail17trampoline_kernelINS0_13select_configILj256ELj13ELNS0_17block_load_methodE3ELS4_3ELS4_3ELNS0_20block_scan_algorithmE0ELj4294967295EEENS1_25partition_config_selectorILNS1_17partition_subalgoE4EjNS0_10empty_typeEbEEZZNS1_14partition_implILS8_4ELb0ES6_15HIP_vector_typeIjLj2EENS0_17counting_iteratorIjlEEPS9_SG_NS0_5tupleIJPjSI_NS0_16reverse_iteratorISI_EEEEENSH_IJSG_SG_SG_EEES9_SI_JZNS1_25segmented_radix_sort_implINS0_14default_configELb1EPK12hip_bfloat16PSP_PKlPlN2at6native12_GLOBAL__N_18offset_tEEE10hipError_tPvRmT1_PNSt15iterator_traitsIS13_E10value_typeET2_T3_PNS14_IS19_E10value_typeET4_jRbjT5_S1F_jjP12ihipStream_tbEUljE_ZNSN_ISO_Lb1ESR_SS_SU_SV_SZ_EES10_S11_S12_S13_S17_S18_S19_S1C_S1D_jS1E_jS1F_S1F_jjS1H_bEUljE0_EEES10_S11_S12_S19_S1D_S1F_T6_T7_T9_mT8_S1H_bDpT10_ENKUlT_T0_E_clISt17integral_constantIbLb1EES1V_EEDaS1Q_S1R_EUlS1Q_E_NS1_11comp_targetILNS1_3genE10ELNS1_11target_archE1200ELNS1_3gpuE4ELNS1_3repE0EEENS1_30default_config_static_selectorELNS0_4arch9wavefront6targetE1EEEvS13_.uses_flat_scratch, 0
	.set _ZN7rocprim17ROCPRIM_400000_NS6detail17trampoline_kernelINS0_13select_configILj256ELj13ELNS0_17block_load_methodE3ELS4_3ELS4_3ELNS0_20block_scan_algorithmE0ELj4294967295EEENS1_25partition_config_selectorILNS1_17partition_subalgoE4EjNS0_10empty_typeEbEEZZNS1_14partition_implILS8_4ELb0ES6_15HIP_vector_typeIjLj2EENS0_17counting_iteratorIjlEEPS9_SG_NS0_5tupleIJPjSI_NS0_16reverse_iteratorISI_EEEEENSH_IJSG_SG_SG_EEES9_SI_JZNS1_25segmented_radix_sort_implINS0_14default_configELb1EPK12hip_bfloat16PSP_PKlPlN2at6native12_GLOBAL__N_18offset_tEEE10hipError_tPvRmT1_PNSt15iterator_traitsIS13_E10value_typeET2_T3_PNS14_IS19_E10value_typeET4_jRbjT5_S1F_jjP12ihipStream_tbEUljE_ZNSN_ISO_Lb1ESR_SS_SU_SV_SZ_EES10_S11_S12_S13_S17_S18_S19_S1C_S1D_jS1E_jS1F_S1F_jjS1H_bEUljE0_EEES10_S11_S12_S19_S1D_S1F_T6_T7_T9_mT8_S1H_bDpT10_ENKUlT_T0_E_clISt17integral_constantIbLb1EES1V_EEDaS1Q_S1R_EUlS1Q_E_NS1_11comp_targetILNS1_3genE10ELNS1_11target_archE1200ELNS1_3gpuE4ELNS1_3repE0EEENS1_30default_config_static_selectorELNS0_4arch9wavefront6targetE1EEEvS13_.has_dyn_sized_stack, 0
	.set _ZN7rocprim17ROCPRIM_400000_NS6detail17trampoline_kernelINS0_13select_configILj256ELj13ELNS0_17block_load_methodE3ELS4_3ELS4_3ELNS0_20block_scan_algorithmE0ELj4294967295EEENS1_25partition_config_selectorILNS1_17partition_subalgoE4EjNS0_10empty_typeEbEEZZNS1_14partition_implILS8_4ELb0ES6_15HIP_vector_typeIjLj2EENS0_17counting_iteratorIjlEEPS9_SG_NS0_5tupleIJPjSI_NS0_16reverse_iteratorISI_EEEEENSH_IJSG_SG_SG_EEES9_SI_JZNS1_25segmented_radix_sort_implINS0_14default_configELb1EPK12hip_bfloat16PSP_PKlPlN2at6native12_GLOBAL__N_18offset_tEEE10hipError_tPvRmT1_PNSt15iterator_traitsIS13_E10value_typeET2_T3_PNS14_IS19_E10value_typeET4_jRbjT5_S1F_jjP12ihipStream_tbEUljE_ZNSN_ISO_Lb1ESR_SS_SU_SV_SZ_EES10_S11_S12_S13_S17_S18_S19_S1C_S1D_jS1E_jS1F_S1F_jjS1H_bEUljE0_EEES10_S11_S12_S19_S1D_S1F_T6_T7_T9_mT8_S1H_bDpT10_ENKUlT_T0_E_clISt17integral_constantIbLb1EES1V_EEDaS1Q_S1R_EUlS1Q_E_NS1_11comp_targetILNS1_3genE10ELNS1_11target_archE1200ELNS1_3gpuE4ELNS1_3repE0EEENS1_30default_config_static_selectorELNS0_4arch9wavefront6targetE1EEEvS13_.has_recursion, 0
	.set _ZN7rocprim17ROCPRIM_400000_NS6detail17trampoline_kernelINS0_13select_configILj256ELj13ELNS0_17block_load_methodE3ELS4_3ELS4_3ELNS0_20block_scan_algorithmE0ELj4294967295EEENS1_25partition_config_selectorILNS1_17partition_subalgoE4EjNS0_10empty_typeEbEEZZNS1_14partition_implILS8_4ELb0ES6_15HIP_vector_typeIjLj2EENS0_17counting_iteratorIjlEEPS9_SG_NS0_5tupleIJPjSI_NS0_16reverse_iteratorISI_EEEEENSH_IJSG_SG_SG_EEES9_SI_JZNS1_25segmented_radix_sort_implINS0_14default_configELb1EPK12hip_bfloat16PSP_PKlPlN2at6native12_GLOBAL__N_18offset_tEEE10hipError_tPvRmT1_PNSt15iterator_traitsIS13_E10value_typeET2_T3_PNS14_IS19_E10value_typeET4_jRbjT5_S1F_jjP12ihipStream_tbEUljE_ZNSN_ISO_Lb1ESR_SS_SU_SV_SZ_EES10_S11_S12_S13_S17_S18_S19_S1C_S1D_jS1E_jS1F_S1F_jjS1H_bEUljE0_EEES10_S11_S12_S19_S1D_S1F_T6_T7_T9_mT8_S1H_bDpT10_ENKUlT_T0_E_clISt17integral_constantIbLb1EES1V_EEDaS1Q_S1R_EUlS1Q_E_NS1_11comp_targetILNS1_3genE10ELNS1_11target_archE1200ELNS1_3gpuE4ELNS1_3repE0EEENS1_30default_config_static_selectorELNS0_4arch9wavefront6targetE1EEEvS13_.has_indirect_call, 0
	.section	.AMDGPU.csdata,"",@progbits
; Kernel info:
; codeLenInByte = 0
; TotalNumSgprs: 4
; NumVgprs: 0
; ScratchSize: 0
; MemoryBound: 0
; FloatMode: 240
; IeeeMode: 1
; LDSByteSize: 0 bytes/workgroup (compile time only)
; SGPRBlocks: 0
; VGPRBlocks: 0
; NumSGPRsForWavesPerEU: 4
; NumVGPRsForWavesPerEU: 1
; Occupancy: 10
; WaveLimiterHint : 0
; COMPUTE_PGM_RSRC2:SCRATCH_EN: 0
; COMPUTE_PGM_RSRC2:USER_SGPR: 6
; COMPUTE_PGM_RSRC2:TRAP_HANDLER: 0
; COMPUTE_PGM_RSRC2:TGID_X_EN: 1
; COMPUTE_PGM_RSRC2:TGID_Y_EN: 0
; COMPUTE_PGM_RSRC2:TGID_Z_EN: 0
; COMPUTE_PGM_RSRC2:TIDIG_COMP_CNT: 0
	.section	.text._ZN7rocprim17ROCPRIM_400000_NS6detail17trampoline_kernelINS0_13select_configILj256ELj13ELNS0_17block_load_methodE3ELS4_3ELS4_3ELNS0_20block_scan_algorithmE0ELj4294967295EEENS1_25partition_config_selectorILNS1_17partition_subalgoE4EjNS0_10empty_typeEbEEZZNS1_14partition_implILS8_4ELb0ES6_15HIP_vector_typeIjLj2EENS0_17counting_iteratorIjlEEPS9_SG_NS0_5tupleIJPjSI_NS0_16reverse_iteratorISI_EEEEENSH_IJSG_SG_SG_EEES9_SI_JZNS1_25segmented_radix_sort_implINS0_14default_configELb1EPK12hip_bfloat16PSP_PKlPlN2at6native12_GLOBAL__N_18offset_tEEE10hipError_tPvRmT1_PNSt15iterator_traitsIS13_E10value_typeET2_T3_PNS14_IS19_E10value_typeET4_jRbjT5_S1F_jjP12ihipStream_tbEUljE_ZNSN_ISO_Lb1ESR_SS_SU_SV_SZ_EES10_S11_S12_S13_S17_S18_S19_S1C_S1D_jS1E_jS1F_S1F_jjS1H_bEUljE0_EEES10_S11_S12_S19_S1D_S1F_T6_T7_T9_mT8_S1H_bDpT10_ENKUlT_T0_E_clISt17integral_constantIbLb1EES1V_EEDaS1Q_S1R_EUlS1Q_E_NS1_11comp_targetILNS1_3genE9ELNS1_11target_archE1100ELNS1_3gpuE3ELNS1_3repE0EEENS1_30default_config_static_selectorELNS0_4arch9wavefront6targetE1EEEvS13_,"axG",@progbits,_ZN7rocprim17ROCPRIM_400000_NS6detail17trampoline_kernelINS0_13select_configILj256ELj13ELNS0_17block_load_methodE3ELS4_3ELS4_3ELNS0_20block_scan_algorithmE0ELj4294967295EEENS1_25partition_config_selectorILNS1_17partition_subalgoE4EjNS0_10empty_typeEbEEZZNS1_14partition_implILS8_4ELb0ES6_15HIP_vector_typeIjLj2EENS0_17counting_iteratorIjlEEPS9_SG_NS0_5tupleIJPjSI_NS0_16reverse_iteratorISI_EEEEENSH_IJSG_SG_SG_EEES9_SI_JZNS1_25segmented_radix_sort_implINS0_14default_configELb1EPK12hip_bfloat16PSP_PKlPlN2at6native12_GLOBAL__N_18offset_tEEE10hipError_tPvRmT1_PNSt15iterator_traitsIS13_E10value_typeET2_T3_PNS14_IS19_E10value_typeET4_jRbjT5_S1F_jjP12ihipStream_tbEUljE_ZNSN_ISO_Lb1ESR_SS_SU_SV_SZ_EES10_S11_S12_S13_S17_S18_S19_S1C_S1D_jS1E_jS1F_S1F_jjS1H_bEUljE0_EEES10_S11_S12_S19_S1D_S1F_T6_T7_T9_mT8_S1H_bDpT10_ENKUlT_T0_E_clISt17integral_constantIbLb1EES1V_EEDaS1Q_S1R_EUlS1Q_E_NS1_11comp_targetILNS1_3genE9ELNS1_11target_archE1100ELNS1_3gpuE3ELNS1_3repE0EEENS1_30default_config_static_selectorELNS0_4arch9wavefront6targetE1EEEvS13_,comdat
	.globl	_ZN7rocprim17ROCPRIM_400000_NS6detail17trampoline_kernelINS0_13select_configILj256ELj13ELNS0_17block_load_methodE3ELS4_3ELS4_3ELNS0_20block_scan_algorithmE0ELj4294967295EEENS1_25partition_config_selectorILNS1_17partition_subalgoE4EjNS0_10empty_typeEbEEZZNS1_14partition_implILS8_4ELb0ES6_15HIP_vector_typeIjLj2EENS0_17counting_iteratorIjlEEPS9_SG_NS0_5tupleIJPjSI_NS0_16reverse_iteratorISI_EEEEENSH_IJSG_SG_SG_EEES9_SI_JZNS1_25segmented_radix_sort_implINS0_14default_configELb1EPK12hip_bfloat16PSP_PKlPlN2at6native12_GLOBAL__N_18offset_tEEE10hipError_tPvRmT1_PNSt15iterator_traitsIS13_E10value_typeET2_T3_PNS14_IS19_E10value_typeET4_jRbjT5_S1F_jjP12ihipStream_tbEUljE_ZNSN_ISO_Lb1ESR_SS_SU_SV_SZ_EES10_S11_S12_S13_S17_S18_S19_S1C_S1D_jS1E_jS1F_S1F_jjS1H_bEUljE0_EEES10_S11_S12_S19_S1D_S1F_T6_T7_T9_mT8_S1H_bDpT10_ENKUlT_T0_E_clISt17integral_constantIbLb1EES1V_EEDaS1Q_S1R_EUlS1Q_E_NS1_11comp_targetILNS1_3genE9ELNS1_11target_archE1100ELNS1_3gpuE3ELNS1_3repE0EEENS1_30default_config_static_selectorELNS0_4arch9wavefront6targetE1EEEvS13_ ; -- Begin function _ZN7rocprim17ROCPRIM_400000_NS6detail17trampoline_kernelINS0_13select_configILj256ELj13ELNS0_17block_load_methodE3ELS4_3ELS4_3ELNS0_20block_scan_algorithmE0ELj4294967295EEENS1_25partition_config_selectorILNS1_17partition_subalgoE4EjNS0_10empty_typeEbEEZZNS1_14partition_implILS8_4ELb0ES6_15HIP_vector_typeIjLj2EENS0_17counting_iteratorIjlEEPS9_SG_NS0_5tupleIJPjSI_NS0_16reverse_iteratorISI_EEEEENSH_IJSG_SG_SG_EEES9_SI_JZNS1_25segmented_radix_sort_implINS0_14default_configELb1EPK12hip_bfloat16PSP_PKlPlN2at6native12_GLOBAL__N_18offset_tEEE10hipError_tPvRmT1_PNSt15iterator_traitsIS13_E10value_typeET2_T3_PNS14_IS19_E10value_typeET4_jRbjT5_S1F_jjP12ihipStream_tbEUljE_ZNSN_ISO_Lb1ESR_SS_SU_SV_SZ_EES10_S11_S12_S13_S17_S18_S19_S1C_S1D_jS1E_jS1F_S1F_jjS1H_bEUljE0_EEES10_S11_S12_S19_S1D_S1F_T6_T7_T9_mT8_S1H_bDpT10_ENKUlT_T0_E_clISt17integral_constantIbLb1EES1V_EEDaS1Q_S1R_EUlS1Q_E_NS1_11comp_targetILNS1_3genE9ELNS1_11target_archE1100ELNS1_3gpuE3ELNS1_3repE0EEENS1_30default_config_static_selectorELNS0_4arch9wavefront6targetE1EEEvS13_
	.p2align	8
	.type	_ZN7rocprim17ROCPRIM_400000_NS6detail17trampoline_kernelINS0_13select_configILj256ELj13ELNS0_17block_load_methodE3ELS4_3ELS4_3ELNS0_20block_scan_algorithmE0ELj4294967295EEENS1_25partition_config_selectorILNS1_17partition_subalgoE4EjNS0_10empty_typeEbEEZZNS1_14partition_implILS8_4ELb0ES6_15HIP_vector_typeIjLj2EENS0_17counting_iteratorIjlEEPS9_SG_NS0_5tupleIJPjSI_NS0_16reverse_iteratorISI_EEEEENSH_IJSG_SG_SG_EEES9_SI_JZNS1_25segmented_radix_sort_implINS0_14default_configELb1EPK12hip_bfloat16PSP_PKlPlN2at6native12_GLOBAL__N_18offset_tEEE10hipError_tPvRmT1_PNSt15iterator_traitsIS13_E10value_typeET2_T3_PNS14_IS19_E10value_typeET4_jRbjT5_S1F_jjP12ihipStream_tbEUljE_ZNSN_ISO_Lb1ESR_SS_SU_SV_SZ_EES10_S11_S12_S13_S17_S18_S19_S1C_S1D_jS1E_jS1F_S1F_jjS1H_bEUljE0_EEES10_S11_S12_S19_S1D_S1F_T6_T7_T9_mT8_S1H_bDpT10_ENKUlT_T0_E_clISt17integral_constantIbLb1EES1V_EEDaS1Q_S1R_EUlS1Q_E_NS1_11comp_targetILNS1_3genE9ELNS1_11target_archE1100ELNS1_3gpuE3ELNS1_3repE0EEENS1_30default_config_static_selectorELNS0_4arch9wavefront6targetE1EEEvS13_,@function
_ZN7rocprim17ROCPRIM_400000_NS6detail17trampoline_kernelINS0_13select_configILj256ELj13ELNS0_17block_load_methodE3ELS4_3ELS4_3ELNS0_20block_scan_algorithmE0ELj4294967295EEENS1_25partition_config_selectorILNS1_17partition_subalgoE4EjNS0_10empty_typeEbEEZZNS1_14partition_implILS8_4ELb0ES6_15HIP_vector_typeIjLj2EENS0_17counting_iteratorIjlEEPS9_SG_NS0_5tupleIJPjSI_NS0_16reverse_iteratorISI_EEEEENSH_IJSG_SG_SG_EEES9_SI_JZNS1_25segmented_radix_sort_implINS0_14default_configELb1EPK12hip_bfloat16PSP_PKlPlN2at6native12_GLOBAL__N_18offset_tEEE10hipError_tPvRmT1_PNSt15iterator_traitsIS13_E10value_typeET2_T3_PNS14_IS19_E10value_typeET4_jRbjT5_S1F_jjP12ihipStream_tbEUljE_ZNSN_ISO_Lb1ESR_SS_SU_SV_SZ_EES10_S11_S12_S13_S17_S18_S19_S1C_S1D_jS1E_jS1F_S1F_jjS1H_bEUljE0_EEES10_S11_S12_S19_S1D_S1F_T6_T7_T9_mT8_S1H_bDpT10_ENKUlT_T0_E_clISt17integral_constantIbLb1EES1V_EEDaS1Q_S1R_EUlS1Q_E_NS1_11comp_targetILNS1_3genE9ELNS1_11target_archE1100ELNS1_3gpuE3ELNS1_3repE0EEENS1_30default_config_static_selectorELNS0_4arch9wavefront6targetE1EEEvS13_: ; @_ZN7rocprim17ROCPRIM_400000_NS6detail17trampoline_kernelINS0_13select_configILj256ELj13ELNS0_17block_load_methodE3ELS4_3ELS4_3ELNS0_20block_scan_algorithmE0ELj4294967295EEENS1_25partition_config_selectorILNS1_17partition_subalgoE4EjNS0_10empty_typeEbEEZZNS1_14partition_implILS8_4ELb0ES6_15HIP_vector_typeIjLj2EENS0_17counting_iteratorIjlEEPS9_SG_NS0_5tupleIJPjSI_NS0_16reverse_iteratorISI_EEEEENSH_IJSG_SG_SG_EEES9_SI_JZNS1_25segmented_radix_sort_implINS0_14default_configELb1EPK12hip_bfloat16PSP_PKlPlN2at6native12_GLOBAL__N_18offset_tEEE10hipError_tPvRmT1_PNSt15iterator_traitsIS13_E10value_typeET2_T3_PNS14_IS19_E10value_typeET4_jRbjT5_S1F_jjP12ihipStream_tbEUljE_ZNSN_ISO_Lb1ESR_SS_SU_SV_SZ_EES10_S11_S12_S13_S17_S18_S19_S1C_S1D_jS1E_jS1F_S1F_jjS1H_bEUljE0_EEES10_S11_S12_S19_S1D_S1F_T6_T7_T9_mT8_S1H_bDpT10_ENKUlT_T0_E_clISt17integral_constantIbLb1EES1V_EEDaS1Q_S1R_EUlS1Q_E_NS1_11comp_targetILNS1_3genE9ELNS1_11target_archE1100ELNS1_3gpuE3ELNS1_3repE0EEENS1_30default_config_static_selectorELNS0_4arch9wavefront6targetE1EEEvS13_
; %bb.0:
	.section	.rodata,"a",@progbits
	.p2align	6, 0x0
	.amdhsa_kernel _ZN7rocprim17ROCPRIM_400000_NS6detail17trampoline_kernelINS0_13select_configILj256ELj13ELNS0_17block_load_methodE3ELS4_3ELS4_3ELNS0_20block_scan_algorithmE0ELj4294967295EEENS1_25partition_config_selectorILNS1_17partition_subalgoE4EjNS0_10empty_typeEbEEZZNS1_14partition_implILS8_4ELb0ES6_15HIP_vector_typeIjLj2EENS0_17counting_iteratorIjlEEPS9_SG_NS0_5tupleIJPjSI_NS0_16reverse_iteratorISI_EEEEENSH_IJSG_SG_SG_EEES9_SI_JZNS1_25segmented_radix_sort_implINS0_14default_configELb1EPK12hip_bfloat16PSP_PKlPlN2at6native12_GLOBAL__N_18offset_tEEE10hipError_tPvRmT1_PNSt15iterator_traitsIS13_E10value_typeET2_T3_PNS14_IS19_E10value_typeET4_jRbjT5_S1F_jjP12ihipStream_tbEUljE_ZNSN_ISO_Lb1ESR_SS_SU_SV_SZ_EES10_S11_S12_S13_S17_S18_S19_S1C_S1D_jS1E_jS1F_S1F_jjS1H_bEUljE0_EEES10_S11_S12_S19_S1D_S1F_T6_T7_T9_mT8_S1H_bDpT10_ENKUlT_T0_E_clISt17integral_constantIbLb1EES1V_EEDaS1Q_S1R_EUlS1Q_E_NS1_11comp_targetILNS1_3genE9ELNS1_11target_archE1100ELNS1_3gpuE3ELNS1_3repE0EEENS1_30default_config_static_selectorELNS0_4arch9wavefront6targetE1EEEvS13_
		.amdhsa_group_segment_fixed_size 0
		.amdhsa_private_segment_fixed_size 0
		.amdhsa_kernarg_size 184
		.amdhsa_user_sgpr_count 6
		.amdhsa_user_sgpr_private_segment_buffer 1
		.amdhsa_user_sgpr_dispatch_ptr 0
		.amdhsa_user_sgpr_queue_ptr 0
		.amdhsa_user_sgpr_kernarg_segment_ptr 1
		.amdhsa_user_sgpr_dispatch_id 0
		.amdhsa_user_sgpr_flat_scratch_init 0
		.amdhsa_user_sgpr_private_segment_size 0
		.amdhsa_uses_dynamic_stack 0
		.amdhsa_system_sgpr_private_segment_wavefront_offset 0
		.amdhsa_system_sgpr_workgroup_id_x 1
		.amdhsa_system_sgpr_workgroup_id_y 0
		.amdhsa_system_sgpr_workgroup_id_z 0
		.amdhsa_system_sgpr_workgroup_info 0
		.amdhsa_system_vgpr_workitem_id 0
		.amdhsa_next_free_vgpr 1
		.amdhsa_next_free_sgpr 0
		.amdhsa_reserve_vcc 0
		.amdhsa_reserve_flat_scratch 0
		.amdhsa_float_round_mode_32 0
		.amdhsa_float_round_mode_16_64 0
		.amdhsa_float_denorm_mode_32 3
		.amdhsa_float_denorm_mode_16_64 3
		.amdhsa_dx10_clamp 1
		.amdhsa_ieee_mode 1
		.amdhsa_fp16_overflow 0
		.amdhsa_exception_fp_ieee_invalid_op 0
		.amdhsa_exception_fp_denorm_src 0
		.amdhsa_exception_fp_ieee_div_zero 0
		.amdhsa_exception_fp_ieee_overflow 0
		.amdhsa_exception_fp_ieee_underflow 0
		.amdhsa_exception_fp_ieee_inexact 0
		.amdhsa_exception_int_div_zero 0
	.end_amdhsa_kernel
	.section	.text._ZN7rocprim17ROCPRIM_400000_NS6detail17trampoline_kernelINS0_13select_configILj256ELj13ELNS0_17block_load_methodE3ELS4_3ELS4_3ELNS0_20block_scan_algorithmE0ELj4294967295EEENS1_25partition_config_selectorILNS1_17partition_subalgoE4EjNS0_10empty_typeEbEEZZNS1_14partition_implILS8_4ELb0ES6_15HIP_vector_typeIjLj2EENS0_17counting_iteratorIjlEEPS9_SG_NS0_5tupleIJPjSI_NS0_16reverse_iteratorISI_EEEEENSH_IJSG_SG_SG_EEES9_SI_JZNS1_25segmented_radix_sort_implINS0_14default_configELb1EPK12hip_bfloat16PSP_PKlPlN2at6native12_GLOBAL__N_18offset_tEEE10hipError_tPvRmT1_PNSt15iterator_traitsIS13_E10value_typeET2_T3_PNS14_IS19_E10value_typeET4_jRbjT5_S1F_jjP12ihipStream_tbEUljE_ZNSN_ISO_Lb1ESR_SS_SU_SV_SZ_EES10_S11_S12_S13_S17_S18_S19_S1C_S1D_jS1E_jS1F_S1F_jjS1H_bEUljE0_EEES10_S11_S12_S19_S1D_S1F_T6_T7_T9_mT8_S1H_bDpT10_ENKUlT_T0_E_clISt17integral_constantIbLb1EES1V_EEDaS1Q_S1R_EUlS1Q_E_NS1_11comp_targetILNS1_3genE9ELNS1_11target_archE1100ELNS1_3gpuE3ELNS1_3repE0EEENS1_30default_config_static_selectorELNS0_4arch9wavefront6targetE1EEEvS13_,"axG",@progbits,_ZN7rocprim17ROCPRIM_400000_NS6detail17trampoline_kernelINS0_13select_configILj256ELj13ELNS0_17block_load_methodE3ELS4_3ELS4_3ELNS0_20block_scan_algorithmE0ELj4294967295EEENS1_25partition_config_selectorILNS1_17partition_subalgoE4EjNS0_10empty_typeEbEEZZNS1_14partition_implILS8_4ELb0ES6_15HIP_vector_typeIjLj2EENS0_17counting_iteratorIjlEEPS9_SG_NS0_5tupleIJPjSI_NS0_16reverse_iteratorISI_EEEEENSH_IJSG_SG_SG_EEES9_SI_JZNS1_25segmented_radix_sort_implINS0_14default_configELb1EPK12hip_bfloat16PSP_PKlPlN2at6native12_GLOBAL__N_18offset_tEEE10hipError_tPvRmT1_PNSt15iterator_traitsIS13_E10value_typeET2_T3_PNS14_IS19_E10value_typeET4_jRbjT5_S1F_jjP12ihipStream_tbEUljE_ZNSN_ISO_Lb1ESR_SS_SU_SV_SZ_EES10_S11_S12_S13_S17_S18_S19_S1C_S1D_jS1E_jS1F_S1F_jjS1H_bEUljE0_EEES10_S11_S12_S19_S1D_S1F_T6_T7_T9_mT8_S1H_bDpT10_ENKUlT_T0_E_clISt17integral_constantIbLb1EES1V_EEDaS1Q_S1R_EUlS1Q_E_NS1_11comp_targetILNS1_3genE9ELNS1_11target_archE1100ELNS1_3gpuE3ELNS1_3repE0EEENS1_30default_config_static_selectorELNS0_4arch9wavefront6targetE1EEEvS13_,comdat
.Lfunc_end1896:
	.size	_ZN7rocprim17ROCPRIM_400000_NS6detail17trampoline_kernelINS0_13select_configILj256ELj13ELNS0_17block_load_methodE3ELS4_3ELS4_3ELNS0_20block_scan_algorithmE0ELj4294967295EEENS1_25partition_config_selectorILNS1_17partition_subalgoE4EjNS0_10empty_typeEbEEZZNS1_14partition_implILS8_4ELb0ES6_15HIP_vector_typeIjLj2EENS0_17counting_iteratorIjlEEPS9_SG_NS0_5tupleIJPjSI_NS0_16reverse_iteratorISI_EEEEENSH_IJSG_SG_SG_EEES9_SI_JZNS1_25segmented_radix_sort_implINS0_14default_configELb1EPK12hip_bfloat16PSP_PKlPlN2at6native12_GLOBAL__N_18offset_tEEE10hipError_tPvRmT1_PNSt15iterator_traitsIS13_E10value_typeET2_T3_PNS14_IS19_E10value_typeET4_jRbjT5_S1F_jjP12ihipStream_tbEUljE_ZNSN_ISO_Lb1ESR_SS_SU_SV_SZ_EES10_S11_S12_S13_S17_S18_S19_S1C_S1D_jS1E_jS1F_S1F_jjS1H_bEUljE0_EEES10_S11_S12_S19_S1D_S1F_T6_T7_T9_mT8_S1H_bDpT10_ENKUlT_T0_E_clISt17integral_constantIbLb1EES1V_EEDaS1Q_S1R_EUlS1Q_E_NS1_11comp_targetILNS1_3genE9ELNS1_11target_archE1100ELNS1_3gpuE3ELNS1_3repE0EEENS1_30default_config_static_selectorELNS0_4arch9wavefront6targetE1EEEvS13_, .Lfunc_end1896-_ZN7rocprim17ROCPRIM_400000_NS6detail17trampoline_kernelINS0_13select_configILj256ELj13ELNS0_17block_load_methodE3ELS4_3ELS4_3ELNS0_20block_scan_algorithmE0ELj4294967295EEENS1_25partition_config_selectorILNS1_17partition_subalgoE4EjNS0_10empty_typeEbEEZZNS1_14partition_implILS8_4ELb0ES6_15HIP_vector_typeIjLj2EENS0_17counting_iteratorIjlEEPS9_SG_NS0_5tupleIJPjSI_NS0_16reverse_iteratorISI_EEEEENSH_IJSG_SG_SG_EEES9_SI_JZNS1_25segmented_radix_sort_implINS0_14default_configELb1EPK12hip_bfloat16PSP_PKlPlN2at6native12_GLOBAL__N_18offset_tEEE10hipError_tPvRmT1_PNSt15iterator_traitsIS13_E10value_typeET2_T3_PNS14_IS19_E10value_typeET4_jRbjT5_S1F_jjP12ihipStream_tbEUljE_ZNSN_ISO_Lb1ESR_SS_SU_SV_SZ_EES10_S11_S12_S13_S17_S18_S19_S1C_S1D_jS1E_jS1F_S1F_jjS1H_bEUljE0_EEES10_S11_S12_S19_S1D_S1F_T6_T7_T9_mT8_S1H_bDpT10_ENKUlT_T0_E_clISt17integral_constantIbLb1EES1V_EEDaS1Q_S1R_EUlS1Q_E_NS1_11comp_targetILNS1_3genE9ELNS1_11target_archE1100ELNS1_3gpuE3ELNS1_3repE0EEENS1_30default_config_static_selectorELNS0_4arch9wavefront6targetE1EEEvS13_
                                        ; -- End function
	.set _ZN7rocprim17ROCPRIM_400000_NS6detail17trampoline_kernelINS0_13select_configILj256ELj13ELNS0_17block_load_methodE3ELS4_3ELS4_3ELNS0_20block_scan_algorithmE0ELj4294967295EEENS1_25partition_config_selectorILNS1_17partition_subalgoE4EjNS0_10empty_typeEbEEZZNS1_14partition_implILS8_4ELb0ES6_15HIP_vector_typeIjLj2EENS0_17counting_iteratorIjlEEPS9_SG_NS0_5tupleIJPjSI_NS0_16reverse_iteratorISI_EEEEENSH_IJSG_SG_SG_EEES9_SI_JZNS1_25segmented_radix_sort_implINS0_14default_configELb1EPK12hip_bfloat16PSP_PKlPlN2at6native12_GLOBAL__N_18offset_tEEE10hipError_tPvRmT1_PNSt15iterator_traitsIS13_E10value_typeET2_T3_PNS14_IS19_E10value_typeET4_jRbjT5_S1F_jjP12ihipStream_tbEUljE_ZNSN_ISO_Lb1ESR_SS_SU_SV_SZ_EES10_S11_S12_S13_S17_S18_S19_S1C_S1D_jS1E_jS1F_S1F_jjS1H_bEUljE0_EEES10_S11_S12_S19_S1D_S1F_T6_T7_T9_mT8_S1H_bDpT10_ENKUlT_T0_E_clISt17integral_constantIbLb1EES1V_EEDaS1Q_S1R_EUlS1Q_E_NS1_11comp_targetILNS1_3genE9ELNS1_11target_archE1100ELNS1_3gpuE3ELNS1_3repE0EEENS1_30default_config_static_selectorELNS0_4arch9wavefront6targetE1EEEvS13_.num_vgpr, 0
	.set _ZN7rocprim17ROCPRIM_400000_NS6detail17trampoline_kernelINS0_13select_configILj256ELj13ELNS0_17block_load_methodE3ELS4_3ELS4_3ELNS0_20block_scan_algorithmE0ELj4294967295EEENS1_25partition_config_selectorILNS1_17partition_subalgoE4EjNS0_10empty_typeEbEEZZNS1_14partition_implILS8_4ELb0ES6_15HIP_vector_typeIjLj2EENS0_17counting_iteratorIjlEEPS9_SG_NS0_5tupleIJPjSI_NS0_16reverse_iteratorISI_EEEEENSH_IJSG_SG_SG_EEES9_SI_JZNS1_25segmented_radix_sort_implINS0_14default_configELb1EPK12hip_bfloat16PSP_PKlPlN2at6native12_GLOBAL__N_18offset_tEEE10hipError_tPvRmT1_PNSt15iterator_traitsIS13_E10value_typeET2_T3_PNS14_IS19_E10value_typeET4_jRbjT5_S1F_jjP12ihipStream_tbEUljE_ZNSN_ISO_Lb1ESR_SS_SU_SV_SZ_EES10_S11_S12_S13_S17_S18_S19_S1C_S1D_jS1E_jS1F_S1F_jjS1H_bEUljE0_EEES10_S11_S12_S19_S1D_S1F_T6_T7_T9_mT8_S1H_bDpT10_ENKUlT_T0_E_clISt17integral_constantIbLb1EES1V_EEDaS1Q_S1R_EUlS1Q_E_NS1_11comp_targetILNS1_3genE9ELNS1_11target_archE1100ELNS1_3gpuE3ELNS1_3repE0EEENS1_30default_config_static_selectorELNS0_4arch9wavefront6targetE1EEEvS13_.num_agpr, 0
	.set _ZN7rocprim17ROCPRIM_400000_NS6detail17trampoline_kernelINS0_13select_configILj256ELj13ELNS0_17block_load_methodE3ELS4_3ELS4_3ELNS0_20block_scan_algorithmE0ELj4294967295EEENS1_25partition_config_selectorILNS1_17partition_subalgoE4EjNS0_10empty_typeEbEEZZNS1_14partition_implILS8_4ELb0ES6_15HIP_vector_typeIjLj2EENS0_17counting_iteratorIjlEEPS9_SG_NS0_5tupleIJPjSI_NS0_16reverse_iteratorISI_EEEEENSH_IJSG_SG_SG_EEES9_SI_JZNS1_25segmented_radix_sort_implINS0_14default_configELb1EPK12hip_bfloat16PSP_PKlPlN2at6native12_GLOBAL__N_18offset_tEEE10hipError_tPvRmT1_PNSt15iterator_traitsIS13_E10value_typeET2_T3_PNS14_IS19_E10value_typeET4_jRbjT5_S1F_jjP12ihipStream_tbEUljE_ZNSN_ISO_Lb1ESR_SS_SU_SV_SZ_EES10_S11_S12_S13_S17_S18_S19_S1C_S1D_jS1E_jS1F_S1F_jjS1H_bEUljE0_EEES10_S11_S12_S19_S1D_S1F_T6_T7_T9_mT8_S1H_bDpT10_ENKUlT_T0_E_clISt17integral_constantIbLb1EES1V_EEDaS1Q_S1R_EUlS1Q_E_NS1_11comp_targetILNS1_3genE9ELNS1_11target_archE1100ELNS1_3gpuE3ELNS1_3repE0EEENS1_30default_config_static_selectorELNS0_4arch9wavefront6targetE1EEEvS13_.numbered_sgpr, 0
	.set _ZN7rocprim17ROCPRIM_400000_NS6detail17trampoline_kernelINS0_13select_configILj256ELj13ELNS0_17block_load_methodE3ELS4_3ELS4_3ELNS0_20block_scan_algorithmE0ELj4294967295EEENS1_25partition_config_selectorILNS1_17partition_subalgoE4EjNS0_10empty_typeEbEEZZNS1_14partition_implILS8_4ELb0ES6_15HIP_vector_typeIjLj2EENS0_17counting_iteratorIjlEEPS9_SG_NS0_5tupleIJPjSI_NS0_16reverse_iteratorISI_EEEEENSH_IJSG_SG_SG_EEES9_SI_JZNS1_25segmented_radix_sort_implINS0_14default_configELb1EPK12hip_bfloat16PSP_PKlPlN2at6native12_GLOBAL__N_18offset_tEEE10hipError_tPvRmT1_PNSt15iterator_traitsIS13_E10value_typeET2_T3_PNS14_IS19_E10value_typeET4_jRbjT5_S1F_jjP12ihipStream_tbEUljE_ZNSN_ISO_Lb1ESR_SS_SU_SV_SZ_EES10_S11_S12_S13_S17_S18_S19_S1C_S1D_jS1E_jS1F_S1F_jjS1H_bEUljE0_EEES10_S11_S12_S19_S1D_S1F_T6_T7_T9_mT8_S1H_bDpT10_ENKUlT_T0_E_clISt17integral_constantIbLb1EES1V_EEDaS1Q_S1R_EUlS1Q_E_NS1_11comp_targetILNS1_3genE9ELNS1_11target_archE1100ELNS1_3gpuE3ELNS1_3repE0EEENS1_30default_config_static_selectorELNS0_4arch9wavefront6targetE1EEEvS13_.num_named_barrier, 0
	.set _ZN7rocprim17ROCPRIM_400000_NS6detail17trampoline_kernelINS0_13select_configILj256ELj13ELNS0_17block_load_methodE3ELS4_3ELS4_3ELNS0_20block_scan_algorithmE0ELj4294967295EEENS1_25partition_config_selectorILNS1_17partition_subalgoE4EjNS0_10empty_typeEbEEZZNS1_14partition_implILS8_4ELb0ES6_15HIP_vector_typeIjLj2EENS0_17counting_iteratorIjlEEPS9_SG_NS0_5tupleIJPjSI_NS0_16reverse_iteratorISI_EEEEENSH_IJSG_SG_SG_EEES9_SI_JZNS1_25segmented_radix_sort_implINS0_14default_configELb1EPK12hip_bfloat16PSP_PKlPlN2at6native12_GLOBAL__N_18offset_tEEE10hipError_tPvRmT1_PNSt15iterator_traitsIS13_E10value_typeET2_T3_PNS14_IS19_E10value_typeET4_jRbjT5_S1F_jjP12ihipStream_tbEUljE_ZNSN_ISO_Lb1ESR_SS_SU_SV_SZ_EES10_S11_S12_S13_S17_S18_S19_S1C_S1D_jS1E_jS1F_S1F_jjS1H_bEUljE0_EEES10_S11_S12_S19_S1D_S1F_T6_T7_T9_mT8_S1H_bDpT10_ENKUlT_T0_E_clISt17integral_constantIbLb1EES1V_EEDaS1Q_S1R_EUlS1Q_E_NS1_11comp_targetILNS1_3genE9ELNS1_11target_archE1100ELNS1_3gpuE3ELNS1_3repE0EEENS1_30default_config_static_selectorELNS0_4arch9wavefront6targetE1EEEvS13_.private_seg_size, 0
	.set _ZN7rocprim17ROCPRIM_400000_NS6detail17trampoline_kernelINS0_13select_configILj256ELj13ELNS0_17block_load_methodE3ELS4_3ELS4_3ELNS0_20block_scan_algorithmE0ELj4294967295EEENS1_25partition_config_selectorILNS1_17partition_subalgoE4EjNS0_10empty_typeEbEEZZNS1_14partition_implILS8_4ELb0ES6_15HIP_vector_typeIjLj2EENS0_17counting_iteratorIjlEEPS9_SG_NS0_5tupleIJPjSI_NS0_16reverse_iteratorISI_EEEEENSH_IJSG_SG_SG_EEES9_SI_JZNS1_25segmented_radix_sort_implINS0_14default_configELb1EPK12hip_bfloat16PSP_PKlPlN2at6native12_GLOBAL__N_18offset_tEEE10hipError_tPvRmT1_PNSt15iterator_traitsIS13_E10value_typeET2_T3_PNS14_IS19_E10value_typeET4_jRbjT5_S1F_jjP12ihipStream_tbEUljE_ZNSN_ISO_Lb1ESR_SS_SU_SV_SZ_EES10_S11_S12_S13_S17_S18_S19_S1C_S1D_jS1E_jS1F_S1F_jjS1H_bEUljE0_EEES10_S11_S12_S19_S1D_S1F_T6_T7_T9_mT8_S1H_bDpT10_ENKUlT_T0_E_clISt17integral_constantIbLb1EES1V_EEDaS1Q_S1R_EUlS1Q_E_NS1_11comp_targetILNS1_3genE9ELNS1_11target_archE1100ELNS1_3gpuE3ELNS1_3repE0EEENS1_30default_config_static_selectorELNS0_4arch9wavefront6targetE1EEEvS13_.uses_vcc, 0
	.set _ZN7rocprim17ROCPRIM_400000_NS6detail17trampoline_kernelINS0_13select_configILj256ELj13ELNS0_17block_load_methodE3ELS4_3ELS4_3ELNS0_20block_scan_algorithmE0ELj4294967295EEENS1_25partition_config_selectorILNS1_17partition_subalgoE4EjNS0_10empty_typeEbEEZZNS1_14partition_implILS8_4ELb0ES6_15HIP_vector_typeIjLj2EENS0_17counting_iteratorIjlEEPS9_SG_NS0_5tupleIJPjSI_NS0_16reverse_iteratorISI_EEEEENSH_IJSG_SG_SG_EEES9_SI_JZNS1_25segmented_radix_sort_implINS0_14default_configELb1EPK12hip_bfloat16PSP_PKlPlN2at6native12_GLOBAL__N_18offset_tEEE10hipError_tPvRmT1_PNSt15iterator_traitsIS13_E10value_typeET2_T3_PNS14_IS19_E10value_typeET4_jRbjT5_S1F_jjP12ihipStream_tbEUljE_ZNSN_ISO_Lb1ESR_SS_SU_SV_SZ_EES10_S11_S12_S13_S17_S18_S19_S1C_S1D_jS1E_jS1F_S1F_jjS1H_bEUljE0_EEES10_S11_S12_S19_S1D_S1F_T6_T7_T9_mT8_S1H_bDpT10_ENKUlT_T0_E_clISt17integral_constantIbLb1EES1V_EEDaS1Q_S1R_EUlS1Q_E_NS1_11comp_targetILNS1_3genE9ELNS1_11target_archE1100ELNS1_3gpuE3ELNS1_3repE0EEENS1_30default_config_static_selectorELNS0_4arch9wavefront6targetE1EEEvS13_.uses_flat_scratch, 0
	.set _ZN7rocprim17ROCPRIM_400000_NS6detail17trampoline_kernelINS0_13select_configILj256ELj13ELNS0_17block_load_methodE3ELS4_3ELS4_3ELNS0_20block_scan_algorithmE0ELj4294967295EEENS1_25partition_config_selectorILNS1_17partition_subalgoE4EjNS0_10empty_typeEbEEZZNS1_14partition_implILS8_4ELb0ES6_15HIP_vector_typeIjLj2EENS0_17counting_iteratorIjlEEPS9_SG_NS0_5tupleIJPjSI_NS0_16reverse_iteratorISI_EEEEENSH_IJSG_SG_SG_EEES9_SI_JZNS1_25segmented_radix_sort_implINS0_14default_configELb1EPK12hip_bfloat16PSP_PKlPlN2at6native12_GLOBAL__N_18offset_tEEE10hipError_tPvRmT1_PNSt15iterator_traitsIS13_E10value_typeET2_T3_PNS14_IS19_E10value_typeET4_jRbjT5_S1F_jjP12ihipStream_tbEUljE_ZNSN_ISO_Lb1ESR_SS_SU_SV_SZ_EES10_S11_S12_S13_S17_S18_S19_S1C_S1D_jS1E_jS1F_S1F_jjS1H_bEUljE0_EEES10_S11_S12_S19_S1D_S1F_T6_T7_T9_mT8_S1H_bDpT10_ENKUlT_T0_E_clISt17integral_constantIbLb1EES1V_EEDaS1Q_S1R_EUlS1Q_E_NS1_11comp_targetILNS1_3genE9ELNS1_11target_archE1100ELNS1_3gpuE3ELNS1_3repE0EEENS1_30default_config_static_selectorELNS0_4arch9wavefront6targetE1EEEvS13_.has_dyn_sized_stack, 0
	.set _ZN7rocprim17ROCPRIM_400000_NS6detail17trampoline_kernelINS0_13select_configILj256ELj13ELNS0_17block_load_methodE3ELS4_3ELS4_3ELNS0_20block_scan_algorithmE0ELj4294967295EEENS1_25partition_config_selectorILNS1_17partition_subalgoE4EjNS0_10empty_typeEbEEZZNS1_14partition_implILS8_4ELb0ES6_15HIP_vector_typeIjLj2EENS0_17counting_iteratorIjlEEPS9_SG_NS0_5tupleIJPjSI_NS0_16reverse_iteratorISI_EEEEENSH_IJSG_SG_SG_EEES9_SI_JZNS1_25segmented_radix_sort_implINS0_14default_configELb1EPK12hip_bfloat16PSP_PKlPlN2at6native12_GLOBAL__N_18offset_tEEE10hipError_tPvRmT1_PNSt15iterator_traitsIS13_E10value_typeET2_T3_PNS14_IS19_E10value_typeET4_jRbjT5_S1F_jjP12ihipStream_tbEUljE_ZNSN_ISO_Lb1ESR_SS_SU_SV_SZ_EES10_S11_S12_S13_S17_S18_S19_S1C_S1D_jS1E_jS1F_S1F_jjS1H_bEUljE0_EEES10_S11_S12_S19_S1D_S1F_T6_T7_T9_mT8_S1H_bDpT10_ENKUlT_T0_E_clISt17integral_constantIbLb1EES1V_EEDaS1Q_S1R_EUlS1Q_E_NS1_11comp_targetILNS1_3genE9ELNS1_11target_archE1100ELNS1_3gpuE3ELNS1_3repE0EEENS1_30default_config_static_selectorELNS0_4arch9wavefront6targetE1EEEvS13_.has_recursion, 0
	.set _ZN7rocprim17ROCPRIM_400000_NS6detail17trampoline_kernelINS0_13select_configILj256ELj13ELNS0_17block_load_methodE3ELS4_3ELS4_3ELNS0_20block_scan_algorithmE0ELj4294967295EEENS1_25partition_config_selectorILNS1_17partition_subalgoE4EjNS0_10empty_typeEbEEZZNS1_14partition_implILS8_4ELb0ES6_15HIP_vector_typeIjLj2EENS0_17counting_iteratorIjlEEPS9_SG_NS0_5tupleIJPjSI_NS0_16reverse_iteratorISI_EEEEENSH_IJSG_SG_SG_EEES9_SI_JZNS1_25segmented_radix_sort_implINS0_14default_configELb1EPK12hip_bfloat16PSP_PKlPlN2at6native12_GLOBAL__N_18offset_tEEE10hipError_tPvRmT1_PNSt15iterator_traitsIS13_E10value_typeET2_T3_PNS14_IS19_E10value_typeET4_jRbjT5_S1F_jjP12ihipStream_tbEUljE_ZNSN_ISO_Lb1ESR_SS_SU_SV_SZ_EES10_S11_S12_S13_S17_S18_S19_S1C_S1D_jS1E_jS1F_S1F_jjS1H_bEUljE0_EEES10_S11_S12_S19_S1D_S1F_T6_T7_T9_mT8_S1H_bDpT10_ENKUlT_T0_E_clISt17integral_constantIbLb1EES1V_EEDaS1Q_S1R_EUlS1Q_E_NS1_11comp_targetILNS1_3genE9ELNS1_11target_archE1100ELNS1_3gpuE3ELNS1_3repE0EEENS1_30default_config_static_selectorELNS0_4arch9wavefront6targetE1EEEvS13_.has_indirect_call, 0
	.section	.AMDGPU.csdata,"",@progbits
; Kernel info:
; codeLenInByte = 0
; TotalNumSgprs: 4
; NumVgprs: 0
; ScratchSize: 0
; MemoryBound: 0
; FloatMode: 240
; IeeeMode: 1
; LDSByteSize: 0 bytes/workgroup (compile time only)
; SGPRBlocks: 0
; VGPRBlocks: 0
; NumSGPRsForWavesPerEU: 4
; NumVGPRsForWavesPerEU: 1
; Occupancy: 10
; WaveLimiterHint : 0
; COMPUTE_PGM_RSRC2:SCRATCH_EN: 0
; COMPUTE_PGM_RSRC2:USER_SGPR: 6
; COMPUTE_PGM_RSRC2:TRAP_HANDLER: 0
; COMPUTE_PGM_RSRC2:TGID_X_EN: 1
; COMPUTE_PGM_RSRC2:TGID_Y_EN: 0
; COMPUTE_PGM_RSRC2:TGID_Z_EN: 0
; COMPUTE_PGM_RSRC2:TIDIG_COMP_CNT: 0
	.section	.text._ZN7rocprim17ROCPRIM_400000_NS6detail17trampoline_kernelINS0_13select_configILj256ELj13ELNS0_17block_load_methodE3ELS4_3ELS4_3ELNS0_20block_scan_algorithmE0ELj4294967295EEENS1_25partition_config_selectorILNS1_17partition_subalgoE4EjNS0_10empty_typeEbEEZZNS1_14partition_implILS8_4ELb0ES6_15HIP_vector_typeIjLj2EENS0_17counting_iteratorIjlEEPS9_SG_NS0_5tupleIJPjSI_NS0_16reverse_iteratorISI_EEEEENSH_IJSG_SG_SG_EEES9_SI_JZNS1_25segmented_radix_sort_implINS0_14default_configELb1EPK12hip_bfloat16PSP_PKlPlN2at6native12_GLOBAL__N_18offset_tEEE10hipError_tPvRmT1_PNSt15iterator_traitsIS13_E10value_typeET2_T3_PNS14_IS19_E10value_typeET4_jRbjT5_S1F_jjP12ihipStream_tbEUljE_ZNSN_ISO_Lb1ESR_SS_SU_SV_SZ_EES10_S11_S12_S13_S17_S18_S19_S1C_S1D_jS1E_jS1F_S1F_jjS1H_bEUljE0_EEES10_S11_S12_S19_S1D_S1F_T6_T7_T9_mT8_S1H_bDpT10_ENKUlT_T0_E_clISt17integral_constantIbLb1EES1V_EEDaS1Q_S1R_EUlS1Q_E_NS1_11comp_targetILNS1_3genE8ELNS1_11target_archE1030ELNS1_3gpuE2ELNS1_3repE0EEENS1_30default_config_static_selectorELNS0_4arch9wavefront6targetE1EEEvS13_,"axG",@progbits,_ZN7rocprim17ROCPRIM_400000_NS6detail17trampoline_kernelINS0_13select_configILj256ELj13ELNS0_17block_load_methodE3ELS4_3ELS4_3ELNS0_20block_scan_algorithmE0ELj4294967295EEENS1_25partition_config_selectorILNS1_17partition_subalgoE4EjNS0_10empty_typeEbEEZZNS1_14partition_implILS8_4ELb0ES6_15HIP_vector_typeIjLj2EENS0_17counting_iteratorIjlEEPS9_SG_NS0_5tupleIJPjSI_NS0_16reverse_iteratorISI_EEEEENSH_IJSG_SG_SG_EEES9_SI_JZNS1_25segmented_radix_sort_implINS0_14default_configELb1EPK12hip_bfloat16PSP_PKlPlN2at6native12_GLOBAL__N_18offset_tEEE10hipError_tPvRmT1_PNSt15iterator_traitsIS13_E10value_typeET2_T3_PNS14_IS19_E10value_typeET4_jRbjT5_S1F_jjP12ihipStream_tbEUljE_ZNSN_ISO_Lb1ESR_SS_SU_SV_SZ_EES10_S11_S12_S13_S17_S18_S19_S1C_S1D_jS1E_jS1F_S1F_jjS1H_bEUljE0_EEES10_S11_S12_S19_S1D_S1F_T6_T7_T9_mT8_S1H_bDpT10_ENKUlT_T0_E_clISt17integral_constantIbLb1EES1V_EEDaS1Q_S1R_EUlS1Q_E_NS1_11comp_targetILNS1_3genE8ELNS1_11target_archE1030ELNS1_3gpuE2ELNS1_3repE0EEENS1_30default_config_static_selectorELNS0_4arch9wavefront6targetE1EEEvS13_,comdat
	.globl	_ZN7rocprim17ROCPRIM_400000_NS6detail17trampoline_kernelINS0_13select_configILj256ELj13ELNS0_17block_load_methodE3ELS4_3ELS4_3ELNS0_20block_scan_algorithmE0ELj4294967295EEENS1_25partition_config_selectorILNS1_17partition_subalgoE4EjNS0_10empty_typeEbEEZZNS1_14partition_implILS8_4ELb0ES6_15HIP_vector_typeIjLj2EENS0_17counting_iteratorIjlEEPS9_SG_NS0_5tupleIJPjSI_NS0_16reverse_iteratorISI_EEEEENSH_IJSG_SG_SG_EEES9_SI_JZNS1_25segmented_radix_sort_implINS0_14default_configELb1EPK12hip_bfloat16PSP_PKlPlN2at6native12_GLOBAL__N_18offset_tEEE10hipError_tPvRmT1_PNSt15iterator_traitsIS13_E10value_typeET2_T3_PNS14_IS19_E10value_typeET4_jRbjT5_S1F_jjP12ihipStream_tbEUljE_ZNSN_ISO_Lb1ESR_SS_SU_SV_SZ_EES10_S11_S12_S13_S17_S18_S19_S1C_S1D_jS1E_jS1F_S1F_jjS1H_bEUljE0_EEES10_S11_S12_S19_S1D_S1F_T6_T7_T9_mT8_S1H_bDpT10_ENKUlT_T0_E_clISt17integral_constantIbLb1EES1V_EEDaS1Q_S1R_EUlS1Q_E_NS1_11comp_targetILNS1_3genE8ELNS1_11target_archE1030ELNS1_3gpuE2ELNS1_3repE0EEENS1_30default_config_static_selectorELNS0_4arch9wavefront6targetE1EEEvS13_ ; -- Begin function _ZN7rocprim17ROCPRIM_400000_NS6detail17trampoline_kernelINS0_13select_configILj256ELj13ELNS0_17block_load_methodE3ELS4_3ELS4_3ELNS0_20block_scan_algorithmE0ELj4294967295EEENS1_25partition_config_selectorILNS1_17partition_subalgoE4EjNS0_10empty_typeEbEEZZNS1_14partition_implILS8_4ELb0ES6_15HIP_vector_typeIjLj2EENS0_17counting_iteratorIjlEEPS9_SG_NS0_5tupleIJPjSI_NS0_16reverse_iteratorISI_EEEEENSH_IJSG_SG_SG_EEES9_SI_JZNS1_25segmented_radix_sort_implINS0_14default_configELb1EPK12hip_bfloat16PSP_PKlPlN2at6native12_GLOBAL__N_18offset_tEEE10hipError_tPvRmT1_PNSt15iterator_traitsIS13_E10value_typeET2_T3_PNS14_IS19_E10value_typeET4_jRbjT5_S1F_jjP12ihipStream_tbEUljE_ZNSN_ISO_Lb1ESR_SS_SU_SV_SZ_EES10_S11_S12_S13_S17_S18_S19_S1C_S1D_jS1E_jS1F_S1F_jjS1H_bEUljE0_EEES10_S11_S12_S19_S1D_S1F_T6_T7_T9_mT8_S1H_bDpT10_ENKUlT_T0_E_clISt17integral_constantIbLb1EES1V_EEDaS1Q_S1R_EUlS1Q_E_NS1_11comp_targetILNS1_3genE8ELNS1_11target_archE1030ELNS1_3gpuE2ELNS1_3repE0EEENS1_30default_config_static_selectorELNS0_4arch9wavefront6targetE1EEEvS13_
	.p2align	8
	.type	_ZN7rocprim17ROCPRIM_400000_NS6detail17trampoline_kernelINS0_13select_configILj256ELj13ELNS0_17block_load_methodE3ELS4_3ELS4_3ELNS0_20block_scan_algorithmE0ELj4294967295EEENS1_25partition_config_selectorILNS1_17partition_subalgoE4EjNS0_10empty_typeEbEEZZNS1_14partition_implILS8_4ELb0ES6_15HIP_vector_typeIjLj2EENS0_17counting_iteratorIjlEEPS9_SG_NS0_5tupleIJPjSI_NS0_16reverse_iteratorISI_EEEEENSH_IJSG_SG_SG_EEES9_SI_JZNS1_25segmented_radix_sort_implINS0_14default_configELb1EPK12hip_bfloat16PSP_PKlPlN2at6native12_GLOBAL__N_18offset_tEEE10hipError_tPvRmT1_PNSt15iterator_traitsIS13_E10value_typeET2_T3_PNS14_IS19_E10value_typeET4_jRbjT5_S1F_jjP12ihipStream_tbEUljE_ZNSN_ISO_Lb1ESR_SS_SU_SV_SZ_EES10_S11_S12_S13_S17_S18_S19_S1C_S1D_jS1E_jS1F_S1F_jjS1H_bEUljE0_EEES10_S11_S12_S19_S1D_S1F_T6_T7_T9_mT8_S1H_bDpT10_ENKUlT_T0_E_clISt17integral_constantIbLb1EES1V_EEDaS1Q_S1R_EUlS1Q_E_NS1_11comp_targetILNS1_3genE8ELNS1_11target_archE1030ELNS1_3gpuE2ELNS1_3repE0EEENS1_30default_config_static_selectorELNS0_4arch9wavefront6targetE1EEEvS13_,@function
_ZN7rocprim17ROCPRIM_400000_NS6detail17trampoline_kernelINS0_13select_configILj256ELj13ELNS0_17block_load_methodE3ELS4_3ELS4_3ELNS0_20block_scan_algorithmE0ELj4294967295EEENS1_25partition_config_selectorILNS1_17partition_subalgoE4EjNS0_10empty_typeEbEEZZNS1_14partition_implILS8_4ELb0ES6_15HIP_vector_typeIjLj2EENS0_17counting_iteratorIjlEEPS9_SG_NS0_5tupleIJPjSI_NS0_16reverse_iteratorISI_EEEEENSH_IJSG_SG_SG_EEES9_SI_JZNS1_25segmented_radix_sort_implINS0_14default_configELb1EPK12hip_bfloat16PSP_PKlPlN2at6native12_GLOBAL__N_18offset_tEEE10hipError_tPvRmT1_PNSt15iterator_traitsIS13_E10value_typeET2_T3_PNS14_IS19_E10value_typeET4_jRbjT5_S1F_jjP12ihipStream_tbEUljE_ZNSN_ISO_Lb1ESR_SS_SU_SV_SZ_EES10_S11_S12_S13_S17_S18_S19_S1C_S1D_jS1E_jS1F_S1F_jjS1H_bEUljE0_EEES10_S11_S12_S19_S1D_S1F_T6_T7_T9_mT8_S1H_bDpT10_ENKUlT_T0_E_clISt17integral_constantIbLb1EES1V_EEDaS1Q_S1R_EUlS1Q_E_NS1_11comp_targetILNS1_3genE8ELNS1_11target_archE1030ELNS1_3gpuE2ELNS1_3repE0EEENS1_30default_config_static_selectorELNS0_4arch9wavefront6targetE1EEEvS13_: ; @_ZN7rocprim17ROCPRIM_400000_NS6detail17trampoline_kernelINS0_13select_configILj256ELj13ELNS0_17block_load_methodE3ELS4_3ELS4_3ELNS0_20block_scan_algorithmE0ELj4294967295EEENS1_25partition_config_selectorILNS1_17partition_subalgoE4EjNS0_10empty_typeEbEEZZNS1_14partition_implILS8_4ELb0ES6_15HIP_vector_typeIjLj2EENS0_17counting_iteratorIjlEEPS9_SG_NS0_5tupleIJPjSI_NS0_16reverse_iteratorISI_EEEEENSH_IJSG_SG_SG_EEES9_SI_JZNS1_25segmented_radix_sort_implINS0_14default_configELb1EPK12hip_bfloat16PSP_PKlPlN2at6native12_GLOBAL__N_18offset_tEEE10hipError_tPvRmT1_PNSt15iterator_traitsIS13_E10value_typeET2_T3_PNS14_IS19_E10value_typeET4_jRbjT5_S1F_jjP12ihipStream_tbEUljE_ZNSN_ISO_Lb1ESR_SS_SU_SV_SZ_EES10_S11_S12_S13_S17_S18_S19_S1C_S1D_jS1E_jS1F_S1F_jjS1H_bEUljE0_EEES10_S11_S12_S19_S1D_S1F_T6_T7_T9_mT8_S1H_bDpT10_ENKUlT_T0_E_clISt17integral_constantIbLb1EES1V_EEDaS1Q_S1R_EUlS1Q_E_NS1_11comp_targetILNS1_3genE8ELNS1_11target_archE1030ELNS1_3gpuE2ELNS1_3repE0EEENS1_30default_config_static_selectorELNS0_4arch9wavefront6targetE1EEEvS13_
; %bb.0:
	.section	.rodata,"a",@progbits
	.p2align	6, 0x0
	.amdhsa_kernel _ZN7rocprim17ROCPRIM_400000_NS6detail17trampoline_kernelINS0_13select_configILj256ELj13ELNS0_17block_load_methodE3ELS4_3ELS4_3ELNS0_20block_scan_algorithmE0ELj4294967295EEENS1_25partition_config_selectorILNS1_17partition_subalgoE4EjNS0_10empty_typeEbEEZZNS1_14partition_implILS8_4ELb0ES6_15HIP_vector_typeIjLj2EENS0_17counting_iteratorIjlEEPS9_SG_NS0_5tupleIJPjSI_NS0_16reverse_iteratorISI_EEEEENSH_IJSG_SG_SG_EEES9_SI_JZNS1_25segmented_radix_sort_implINS0_14default_configELb1EPK12hip_bfloat16PSP_PKlPlN2at6native12_GLOBAL__N_18offset_tEEE10hipError_tPvRmT1_PNSt15iterator_traitsIS13_E10value_typeET2_T3_PNS14_IS19_E10value_typeET4_jRbjT5_S1F_jjP12ihipStream_tbEUljE_ZNSN_ISO_Lb1ESR_SS_SU_SV_SZ_EES10_S11_S12_S13_S17_S18_S19_S1C_S1D_jS1E_jS1F_S1F_jjS1H_bEUljE0_EEES10_S11_S12_S19_S1D_S1F_T6_T7_T9_mT8_S1H_bDpT10_ENKUlT_T0_E_clISt17integral_constantIbLb1EES1V_EEDaS1Q_S1R_EUlS1Q_E_NS1_11comp_targetILNS1_3genE8ELNS1_11target_archE1030ELNS1_3gpuE2ELNS1_3repE0EEENS1_30default_config_static_selectorELNS0_4arch9wavefront6targetE1EEEvS13_
		.amdhsa_group_segment_fixed_size 0
		.amdhsa_private_segment_fixed_size 0
		.amdhsa_kernarg_size 184
		.amdhsa_user_sgpr_count 6
		.amdhsa_user_sgpr_private_segment_buffer 1
		.amdhsa_user_sgpr_dispatch_ptr 0
		.amdhsa_user_sgpr_queue_ptr 0
		.amdhsa_user_sgpr_kernarg_segment_ptr 1
		.amdhsa_user_sgpr_dispatch_id 0
		.amdhsa_user_sgpr_flat_scratch_init 0
		.amdhsa_user_sgpr_private_segment_size 0
		.amdhsa_uses_dynamic_stack 0
		.amdhsa_system_sgpr_private_segment_wavefront_offset 0
		.amdhsa_system_sgpr_workgroup_id_x 1
		.amdhsa_system_sgpr_workgroup_id_y 0
		.amdhsa_system_sgpr_workgroup_id_z 0
		.amdhsa_system_sgpr_workgroup_info 0
		.amdhsa_system_vgpr_workitem_id 0
		.amdhsa_next_free_vgpr 1
		.amdhsa_next_free_sgpr 0
		.amdhsa_reserve_vcc 0
		.amdhsa_reserve_flat_scratch 0
		.amdhsa_float_round_mode_32 0
		.amdhsa_float_round_mode_16_64 0
		.amdhsa_float_denorm_mode_32 3
		.amdhsa_float_denorm_mode_16_64 3
		.amdhsa_dx10_clamp 1
		.amdhsa_ieee_mode 1
		.amdhsa_fp16_overflow 0
		.amdhsa_exception_fp_ieee_invalid_op 0
		.amdhsa_exception_fp_denorm_src 0
		.amdhsa_exception_fp_ieee_div_zero 0
		.amdhsa_exception_fp_ieee_overflow 0
		.amdhsa_exception_fp_ieee_underflow 0
		.amdhsa_exception_fp_ieee_inexact 0
		.amdhsa_exception_int_div_zero 0
	.end_amdhsa_kernel
	.section	.text._ZN7rocprim17ROCPRIM_400000_NS6detail17trampoline_kernelINS0_13select_configILj256ELj13ELNS0_17block_load_methodE3ELS4_3ELS4_3ELNS0_20block_scan_algorithmE0ELj4294967295EEENS1_25partition_config_selectorILNS1_17partition_subalgoE4EjNS0_10empty_typeEbEEZZNS1_14partition_implILS8_4ELb0ES6_15HIP_vector_typeIjLj2EENS0_17counting_iteratorIjlEEPS9_SG_NS0_5tupleIJPjSI_NS0_16reverse_iteratorISI_EEEEENSH_IJSG_SG_SG_EEES9_SI_JZNS1_25segmented_radix_sort_implINS0_14default_configELb1EPK12hip_bfloat16PSP_PKlPlN2at6native12_GLOBAL__N_18offset_tEEE10hipError_tPvRmT1_PNSt15iterator_traitsIS13_E10value_typeET2_T3_PNS14_IS19_E10value_typeET4_jRbjT5_S1F_jjP12ihipStream_tbEUljE_ZNSN_ISO_Lb1ESR_SS_SU_SV_SZ_EES10_S11_S12_S13_S17_S18_S19_S1C_S1D_jS1E_jS1F_S1F_jjS1H_bEUljE0_EEES10_S11_S12_S19_S1D_S1F_T6_T7_T9_mT8_S1H_bDpT10_ENKUlT_T0_E_clISt17integral_constantIbLb1EES1V_EEDaS1Q_S1R_EUlS1Q_E_NS1_11comp_targetILNS1_3genE8ELNS1_11target_archE1030ELNS1_3gpuE2ELNS1_3repE0EEENS1_30default_config_static_selectorELNS0_4arch9wavefront6targetE1EEEvS13_,"axG",@progbits,_ZN7rocprim17ROCPRIM_400000_NS6detail17trampoline_kernelINS0_13select_configILj256ELj13ELNS0_17block_load_methodE3ELS4_3ELS4_3ELNS0_20block_scan_algorithmE0ELj4294967295EEENS1_25partition_config_selectorILNS1_17partition_subalgoE4EjNS0_10empty_typeEbEEZZNS1_14partition_implILS8_4ELb0ES6_15HIP_vector_typeIjLj2EENS0_17counting_iteratorIjlEEPS9_SG_NS0_5tupleIJPjSI_NS0_16reverse_iteratorISI_EEEEENSH_IJSG_SG_SG_EEES9_SI_JZNS1_25segmented_radix_sort_implINS0_14default_configELb1EPK12hip_bfloat16PSP_PKlPlN2at6native12_GLOBAL__N_18offset_tEEE10hipError_tPvRmT1_PNSt15iterator_traitsIS13_E10value_typeET2_T3_PNS14_IS19_E10value_typeET4_jRbjT5_S1F_jjP12ihipStream_tbEUljE_ZNSN_ISO_Lb1ESR_SS_SU_SV_SZ_EES10_S11_S12_S13_S17_S18_S19_S1C_S1D_jS1E_jS1F_S1F_jjS1H_bEUljE0_EEES10_S11_S12_S19_S1D_S1F_T6_T7_T9_mT8_S1H_bDpT10_ENKUlT_T0_E_clISt17integral_constantIbLb1EES1V_EEDaS1Q_S1R_EUlS1Q_E_NS1_11comp_targetILNS1_3genE8ELNS1_11target_archE1030ELNS1_3gpuE2ELNS1_3repE0EEENS1_30default_config_static_selectorELNS0_4arch9wavefront6targetE1EEEvS13_,comdat
.Lfunc_end1897:
	.size	_ZN7rocprim17ROCPRIM_400000_NS6detail17trampoline_kernelINS0_13select_configILj256ELj13ELNS0_17block_load_methodE3ELS4_3ELS4_3ELNS0_20block_scan_algorithmE0ELj4294967295EEENS1_25partition_config_selectorILNS1_17partition_subalgoE4EjNS0_10empty_typeEbEEZZNS1_14partition_implILS8_4ELb0ES6_15HIP_vector_typeIjLj2EENS0_17counting_iteratorIjlEEPS9_SG_NS0_5tupleIJPjSI_NS0_16reverse_iteratorISI_EEEEENSH_IJSG_SG_SG_EEES9_SI_JZNS1_25segmented_radix_sort_implINS0_14default_configELb1EPK12hip_bfloat16PSP_PKlPlN2at6native12_GLOBAL__N_18offset_tEEE10hipError_tPvRmT1_PNSt15iterator_traitsIS13_E10value_typeET2_T3_PNS14_IS19_E10value_typeET4_jRbjT5_S1F_jjP12ihipStream_tbEUljE_ZNSN_ISO_Lb1ESR_SS_SU_SV_SZ_EES10_S11_S12_S13_S17_S18_S19_S1C_S1D_jS1E_jS1F_S1F_jjS1H_bEUljE0_EEES10_S11_S12_S19_S1D_S1F_T6_T7_T9_mT8_S1H_bDpT10_ENKUlT_T0_E_clISt17integral_constantIbLb1EES1V_EEDaS1Q_S1R_EUlS1Q_E_NS1_11comp_targetILNS1_3genE8ELNS1_11target_archE1030ELNS1_3gpuE2ELNS1_3repE0EEENS1_30default_config_static_selectorELNS0_4arch9wavefront6targetE1EEEvS13_, .Lfunc_end1897-_ZN7rocprim17ROCPRIM_400000_NS6detail17trampoline_kernelINS0_13select_configILj256ELj13ELNS0_17block_load_methodE3ELS4_3ELS4_3ELNS0_20block_scan_algorithmE0ELj4294967295EEENS1_25partition_config_selectorILNS1_17partition_subalgoE4EjNS0_10empty_typeEbEEZZNS1_14partition_implILS8_4ELb0ES6_15HIP_vector_typeIjLj2EENS0_17counting_iteratorIjlEEPS9_SG_NS0_5tupleIJPjSI_NS0_16reverse_iteratorISI_EEEEENSH_IJSG_SG_SG_EEES9_SI_JZNS1_25segmented_radix_sort_implINS0_14default_configELb1EPK12hip_bfloat16PSP_PKlPlN2at6native12_GLOBAL__N_18offset_tEEE10hipError_tPvRmT1_PNSt15iterator_traitsIS13_E10value_typeET2_T3_PNS14_IS19_E10value_typeET4_jRbjT5_S1F_jjP12ihipStream_tbEUljE_ZNSN_ISO_Lb1ESR_SS_SU_SV_SZ_EES10_S11_S12_S13_S17_S18_S19_S1C_S1D_jS1E_jS1F_S1F_jjS1H_bEUljE0_EEES10_S11_S12_S19_S1D_S1F_T6_T7_T9_mT8_S1H_bDpT10_ENKUlT_T0_E_clISt17integral_constantIbLb1EES1V_EEDaS1Q_S1R_EUlS1Q_E_NS1_11comp_targetILNS1_3genE8ELNS1_11target_archE1030ELNS1_3gpuE2ELNS1_3repE0EEENS1_30default_config_static_selectorELNS0_4arch9wavefront6targetE1EEEvS13_
                                        ; -- End function
	.set _ZN7rocprim17ROCPRIM_400000_NS6detail17trampoline_kernelINS0_13select_configILj256ELj13ELNS0_17block_load_methodE3ELS4_3ELS4_3ELNS0_20block_scan_algorithmE0ELj4294967295EEENS1_25partition_config_selectorILNS1_17partition_subalgoE4EjNS0_10empty_typeEbEEZZNS1_14partition_implILS8_4ELb0ES6_15HIP_vector_typeIjLj2EENS0_17counting_iteratorIjlEEPS9_SG_NS0_5tupleIJPjSI_NS0_16reverse_iteratorISI_EEEEENSH_IJSG_SG_SG_EEES9_SI_JZNS1_25segmented_radix_sort_implINS0_14default_configELb1EPK12hip_bfloat16PSP_PKlPlN2at6native12_GLOBAL__N_18offset_tEEE10hipError_tPvRmT1_PNSt15iterator_traitsIS13_E10value_typeET2_T3_PNS14_IS19_E10value_typeET4_jRbjT5_S1F_jjP12ihipStream_tbEUljE_ZNSN_ISO_Lb1ESR_SS_SU_SV_SZ_EES10_S11_S12_S13_S17_S18_S19_S1C_S1D_jS1E_jS1F_S1F_jjS1H_bEUljE0_EEES10_S11_S12_S19_S1D_S1F_T6_T7_T9_mT8_S1H_bDpT10_ENKUlT_T0_E_clISt17integral_constantIbLb1EES1V_EEDaS1Q_S1R_EUlS1Q_E_NS1_11comp_targetILNS1_3genE8ELNS1_11target_archE1030ELNS1_3gpuE2ELNS1_3repE0EEENS1_30default_config_static_selectorELNS0_4arch9wavefront6targetE1EEEvS13_.num_vgpr, 0
	.set _ZN7rocprim17ROCPRIM_400000_NS6detail17trampoline_kernelINS0_13select_configILj256ELj13ELNS0_17block_load_methodE3ELS4_3ELS4_3ELNS0_20block_scan_algorithmE0ELj4294967295EEENS1_25partition_config_selectorILNS1_17partition_subalgoE4EjNS0_10empty_typeEbEEZZNS1_14partition_implILS8_4ELb0ES6_15HIP_vector_typeIjLj2EENS0_17counting_iteratorIjlEEPS9_SG_NS0_5tupleIJPjSI_NS0_16reverse_iteratorISI_EEEEENSH_IJSG_SG_SG_EEES9_SI_JZNS1_25segmented_radix_sort_implINS0_14default_configELb1EPK12hip_bfloat16PSP_PKlPlN2at6native12_GLOBAL__N_18offset_tEEE10hipError_tPvRmT1_PNSt15iterator_traitsIS13_E10value_typeET2_T3_PNS14_IS19_E10value_typeET4_jRbjT5_S1F_jjP12ihipStream_tbEUljE_ZNSN_ISO_Lb1ESR_SS_SU_SV_SZ_EES10_S11_S12_S13_S17_S18_S19_S1C_S1D_jS1E_jS1F_S1F_jjS1H_bEUljE0_EEES10_S11_S12_S19_S1D_S1F_T6_T7_T9_mT8_S1H_bDpT10_ENKUlT_T0_E_clISt17integral_constantIbLb1EES1V_EEDaS1Q_S1R_EUlS1Q_E_NS1_11comp_targetILNS1_3genE8ELNS1_11target_archE1030ELNS1_3gpuE2ELNS1_3repE0EEENS1_30default_config_static_selectorELNS0_4arch9wavefront6targetE1EEEvS13_.num_agpr, 0
	.set _ZN7rocprim17ROCPRIM_400000_NS6detail17trampoline_kernelINS0_13select_configILj256ELj13ELNS0_17block_load_methodE3ELS4_3ELS4_3ELNS0_20block_scan_algorithmE0ELj4294967295EEENS1_25partition_config_selectorILNS1_17partition_subalgoE4EjNS0_10empty_typeEbEEZZNS1_14partition_implILS8_4ELb0ES6_15HIP_vector_typeIjLj2EENS0_17counting_iteratorIjlEEPS9_SG_NS0_5tupleIJPjSI_NS0_16reverse_iteratorISI_EEEEENSH_IJSG_SG_SG_EEES9_SI_JZNS1_25segmented_radix_sort_implINS0_14default_configELb1EPK12hip_bfloat16PSP_PKlPlN2at6native12_GLOBAL__N_18offset_tEEE10hipError_tPvRmT1_PNSt15iterator_traitsIS13_E10value_typeET2_T3_PNS14_IS19_E10value_typeET4_jRbjT5_S1F_jjP12ihipStream_tbEUljE_ZNSN_ISO_Lb1ESR_SS_SU_SV_SZ_EES10_S11_S12_S13_S17_S18_S19_S1C_S1D_jS1E_jS1F_S1F_jjS1H_bEUljE0_EEES10_S11_S12_S19_S1D_S1F_T6_T7_T9_mT8_S1H_bDpT10_ENKUlT_T0_E_clISt17integral_constantIbLb1EES1V_EEDaS1Q_S1R_EUlS1Q_E_NS1_11comp_targetILNS1_3genE8ELNS1_11target_archE1030ELNS1_3gpuE2ELNS1_3repE0EEENS1_30default_config_static_selectorELNS0_4arch9wavefront6targetE1EEEvS13_.numbered_sgpr, 0
	.set _ZN7rocprim17ROCPRIM_400000_NS6detail17trampoline_kernelINS0_13select_configILj256ELj13ELNS0_17block_load_methodE3ELS4_3ELS4_3ELNS0_20block_scan_algorithmE0ELj4294967295EEENS1_25partition_config_selectorILNS1_17partition_subalgoE4EjNS0_10empty_typeEbEEZZNS1_14partition_implILS8_4ELb0ES6_15HIP_vector_typeIjLj2EENS0_17counting_iteratorIjlEEPS9_SG_NS0_5tupleIJPjSI_NS0_16reverse_iteratorISI_EEEEENSH_IJSG_SG_SG_EEES9_SI_JZNS1_25segmented_radix_sort_implINS0_14default_configELb1EPK12hip_bfloat16PSP_PKlPlN2at6native12_GLOBAL__N_18offset_tEEE10hipError_tPvRmT1_PNSt15iterator_traitsIS13_E10value_typeET2_T3_PNS14_IS19_E10value_typeET4_jRbjT5_S1F_jjP12ihipStream_tbEUljE_ZNSN_ISO_Lb1ESR_SS_SU_SV_SZ_EES10_S11_S12_S13_S17_S18_S19_S1C_S1D_jS1E_jS1F_S1F_jjS1H_bEUljE0_EEES10_S11_S12_S19_S1D_S1F_T6_T7_T9_mT8_S1H_bDpT10_ENKUlT_T0_E_clISt17integral_constantIbLb1EES1V_EEDaS1Q_S1R_EUlS1Q_E_NS1_11comp_targetILNS1_3genE8ELNS1_11target_archE1030ELNS1_3gpuE2ELNS1_3repE0EEENS1_30default_config_static_selectorELNS0_4arch9wavefront6targetE1EEEvS13_.num_named_barrier, 0
	.set _ZN7rocprim17ROCPRIM_400000_NS6detail17trampoline_kernelINS0_13select_configILj256ELj13ELNS0_17block_load_methodE3ELS4_3ELS4_3ELNS0_20block_scan_algorithmE0ELj4294967295EEENS1_25partition_config_selectorILNS1_17partition_subalgoE4EjNS0_10empty_typeEbEEZZNS1_14partition_implILS8_4ELb0ES6_15HIP_vector_typeIjLj2EENS0_17counting_iteratorIjlEEPS9_SG_NS0_5tupleIJPjSI_NS0_16reverse_iteratorISI_EEEEENSH_IJSG_SG_SG_EEES9_SI_JZNS1_25segmented_radix_sort_implINS0_14default_configELb1EPK12hip_bfloat16PSP_PKlPlN2at6native12_GLOBAL__N_18offset_tEEE10hipError_tPvRmT1_PNSt15iterator_traitsIS13_E10value_typeET2_T3_PNS14_IS19_E10value_typeET4_jRbjT5_S1F_jjP12ihipStream_tbEUljE_ZNSN_ISO_Lb1ESR_SS_SU_SV_SZ_EES10_S11_S12_S13_S17_S18_S19_S1C_S1D_jS1E_jS1F_S1F_jjS1H_bEUljE0_EEES10_S11_S12_S19_S1D_S1F_T6_T7_T9_mT8_S1H_bDpT10_ENKUlT_T0_E_clISt17integral_constantIbLb1EES1V_EEDaS1Q_S1R_EUlS1Q_E_NS1_11comp_targetILNS1_3genE8ELNS1_11target_archE1030ELNS1_3gpuE2ELNS1_3repE0EEENS1_30default_config_static_selectorELNS0_4arch9wavefront6targetE1EEEvS13_.private_seg_size, 0
	.set _ZN7rocprim17ROCPRIM_400000_NS6detail17trampoline_kernelINS0_13select_configILj256ELj13ELNS0_17block_load_methodE3ELS4_3ELS4_3ELNS0_20block_scan_algorithmE0ELj4294967295EEENS1_25partition_config_selectorILNS1_17partition_subalgoE4EjNS0_10empty_typeEbEEZZNS1_14partition_implILS8_4ELb0ES6_15HIP_vector_typeIjLj2EENS0_17counting_iteratorIjlEEPS9_SG_NS0_5tupleIJPjSI_NS0_16reverse_iteratorISI_EEEEENSH_IJSG_SG_SG_EEES9_SI_JZNS1_25segmented_radix_sort_implINS0_14default_configELb1EPK12hip_bfloat16PSP_PKlPlN2at6native12_GLOBAL__N_18offset_tEEE10hipError_tPvRmT1_PNSt15iterator_traitsIS13_E10value_typeET2_T3_PNS14_IS19_E10value_typeET4_jRbjT5_S1F_jjP12ihipStream_tbEUljE_ZNSN_ISO_Lb1ESR_SS_SU_SV_SZ_EES10_S11_S12_S13_S17_S18_S19_S1C_S1D_jS1E_jS1F_S1F_jjS1H_bEUljE0_EEES10_S11_S12_S19_S1D_S1F_T6_T7_T9_mT8_S1H_bDpT10_ENKUlT_T0_E_clISt17integral_constantIbLb1EES1V_EEDaS1Q_S1R_EUlS1Q_E_NS1_11comp_targetILNS1_3genE8ELNS1_11target_archE1030ELNS1_3gpuE2ELNS1_3repE0EEENS1_30default_config_static_selectorELNS0_4arch9wavefront6targetE1EEEvS13_.uses_vcc, 0
	.set _ZN7rocprim17ROCPRIM_400000_NS6detail17trampoline_kernelINS0_13select_configILj256ELj13ELNS0_17block_load_methodE3ELS4_3ELS4_3ELNS0_20block_scan_algorithmE0ELj4294967295EEENS1_25partition_config_selectorILNS1_17partition_subalgoE4EjNS0_10empty_typeEbEEZZNS1_14partition_implILS8_4ELb0ES6_15HIP_vector_typeIjLj2EENS0_17counting_iteratorIjlEEPS9_SG_NS0_5tupleIJPjSI_NS0_16reverse_iteratorISI_EEEEENSH_IJSG_SG_SG_EEES9_SI_JZNS1_25segmented_radix_sort_implINS0_14default_configELb1EPK12hip_bfloat16PSP_PKlPlN2at6native12_GLOBAL__N_18offset_tEEE10hipError_tPvRmT1_PNSt15iterator_traitsIS13_E10value_typeET2_T3_PNS14_IS19_E10value_typeET4_jRbjT5_S1F_jjP12ihipStream_tbEUljE_ZNSN_ISO_Lb1ESR_SS_SU_SV_SZ_EES10_S11_S12_S13_S17_S18_S19_S1C_S1D_jS1E_jS1F_S1F_jjS1H_bEUljE0_EEES10_S11_S12_S19_S1D_S1F_T6_T7_T9_mT8_S1H_bDpT10_ENKUlT_T0_E_clISt17integral_constantIbLb1EES1V_EEDaS1Q_S1R_EUlS1Q_E_NS1_11comp_targetILNS1_3genE8ELNS1_11target_archE1030ELNS1_3gpuE2ELNS1_3repE0EEENS1_30default_config_static_selectorELNS0_4arch9wavefront6targetE1EEEvS13_.uses_flat_scratch, 0
	.set _ZN7rocprim17ROCPRIM_400000_NS6detail17trampoline_kernelINS0_13select_configILj256ELj13ELNS0_17block_load_methodE3ELS4_3ELS4_3ELNS0_20block_scan_algorithmE0ELj4294967295EEENS1_25partition_config_selectorILNS1_17partition_subalgoE4EjNS0_10empty_typeEbEEZZNS1_14partition_implILS8_4ELb0ES6_15HIP_vector_typeIjLj2EENS0_17counting_iteratorIjlEEPS9_SG_NS0_5tupleIJPjSI_NS0_16reverse_iteratorISI_EEEEENSH_IJSG_SG_SG_EEES9_SI_JZNS1_25segmented_radix_sort_implINS0_14default_configELb1EPK12hip_bfloat16PSP_PKlPlN2at6native12_GLOBAL__N_18offset_tEEE10hipError_tPvRmT1_PNSt15iterator_traitsIS13_E10value_typeET2_T3_PNS14_IS19_E10value_typeET4_jRbjT5_S1F_jjP12ihipStream_tbEUljE_ZNSN_ISO_Lb1ESR_SS_SU_SV_SZ_EES10_S11_S12_S13_S17_S18_S19_S1C_S1D_jS1E_jS1F_S1F_jjS1H_bEUljE0_EEES10_S11_S12_S19_S1D_S1F_T6_T7_T9_mT8_S1H_bDpT10_ENKUlT_T0_E_clISt17integral_constantIbLb1EES1V_EEDaS1Q_S1R_EUlS1Q_E_NS1_11comp_targetILNS1_3genE8ELNS1_11target_archE1030ELNS1_3gpuE2ELNS1_3repE0EEENS1_30default_config_static_selectorELNS0_4arch9wavefront6targetE1EEEvS13_.has_dyn_sized_stack, 0
	.set _ZN7rocprim17ROCPRIM_400000_NS6detail17trampoline_kernelINS0_13select_configILj256ELj13ELNS0_17block_load_methodE3ELS4_3ELS4_3ELNS0_20block_scan_algorithmE0ELj4294967295EEENS1_25partition_config_selectorILNS1_17partition_subalgoE4EjNS0_10empty_typeEbEEZZNS1_14partition_implILS8_4ELb0ES6_15HIP_vector_typeIjLj2EENS0_17counting_iteratorIjlEEPS9_SG_NS0_5tupleIJPjSI_NS0_16reverse_iteratorISI_EEEEENSH_IJSG_SG_SG_EEES9_SI_JZNS1_25segmented_radix_sort_implINS0_14default_configELb1EPK12hip_bfloat16PSP_PKlPlN2at6native12_GLOBAL__N_18offset_tEEE10hipError_tPvRmT1_PNSt15iterator_traitsIS13_E10value_typeET2_T3_PNS14_IS19_E10value_typeET4_jRbjT5_S1F_jjP12ihipStream_tbEUljE_ZNSN_ISO_Lb1ESR_SS_SU_SV_SZ_EES10_S11_S12_S13_S17_S18_S19_S1C_S1D_jS1E_jS1F_S1F_jjS1H_bEUljE0_EEES10_S11_S12_S19_S1D_S1F_T6_T7_T9_mT8_S1H_bDpT10_ENKUlT_T0_E_clISt17integral_constantIbLb1EES1V_EEDaS1Q_S1R_EUlS1Q_E_NS1_11comp_targetILNS1_3genE8ELNS1_11target_archE1030ELNS1_3gpuE2ELNS1_3repE0EEENS1_30default_config_static_selectorELNS0_4arch9wavefront6targetE1EEEvS13_.has_recursion, 0
	.set _ZN7rocprim17ROCPRIM_400000_NS6detail17trampoline_kernelINS0_13select_configILj256ELj13ELNS0_17block_load_methodE3ELS4_3ELS4_3ELNS0_20block_scan_algorithmE0ELj4294967295EEENS1_25partition_config_selectorILNS1_17partition_subalgoE4EjNS0_10empty_typeEbEEZZNS1_14partition_implILS8_4ELb0ES6_15HIP_vector_typeIjLj2EENS0_17counting_iteratorIjlEEPS9_SG_NS0_5tupleIJPjSI_NS0_16reverse_iteratorISI_EEEEENSH_IJSG_SG_SG_EEES9_SI_JZNS1_25segmented_radix_sort_implINS0_14default_configELb1EPK12hip_bfloat16PSP_PKlPlN2at6native12_GLOBAL__N_18offset_tEEE10hipError_tPvRmT1_PNSt15iterator_traitsIS13_E10value_typeET2_T3_PNS14_IS19_E10value_typeET4_jRbjT5_S1F_jjP12ihipStream_tbEUljE_ZNSN_ISO_Lb1ESR_SS_SU_SV_SZ_EES10_S11_S12_S13_S17_S18_S19_S1C_S1D_jS1E_jS1F_S1F_jjS1H_bEUljE0_EEES10_S11_S12_S19_S1D_S1F_T6_T7_T9_mT8_S1H_bDpT10_ENKUlT_T0_E_clISt17integral_constantIbLb1EES1V_EEDaS1Q_S1R_EUlS1Q_E_NS1_11comp_targetILNS1_3genE8ELNS1_11target_archE1030ELNS1_3gpuE2ELNS1_3repE0EEENS1_30default_config_static_selectorELNS0_4arch9wavefront6targetE1EEEvS13_.has_indirect_call, 0
	.section	.AMDGPU.csdata,"",@progbits
; Kernel info:
; codeLenInByte = 0
; TotalNumSgprs: 4
; NumVgprs: 0
; ScratchSize: 0
; MemoryBound: 0
; FloatMode: 240
; IeeeMode: 1
; LDSByteSize: 0 bytes/workgroup (compile time only)
; SGPRBlocks: 0
; VGPRBlocks: 0
; NumSGPRsForWavesPerEU: 4
; NumVGPRsForWavesPerEU: 1
; Occupancy: 10
; WaveLimiterHint : 0
; COMPUTE_PGM_RSRC2:SCRATCH_EN: 0
; COMPUTE_PGM_RSRC2:USER_SGPR: 6
; COMPUTE_PGM_RSRC2:TRAP_HANDLER: 0
; COMPUTE_PGM_RSRC2:TGID_X_EN: 1
; COMPUTE_PGM_RSRC2:TGID_Y_EN: 0
; COMPUTE_PGM_RSRC2:TGID_Z_EN: 0
; COMPUTE_PGM_RSRC2:TIDIG_COMP_CNT: 0
	.section	.text._ZN7rocprim17ROCPRIM_400000_NS6detail17trampoline_kernelINS0_13select_configILj256ELj13ELNS0_17block_load_methodE3ELS4_3ELS4_3ELNS0_20block_scan_algorithmE0ELj4294967295EEENS1_25partition_config_selectorILNS1_17partition_subalgoE4EjNS0_10empty_typeEbEEZZNS1_14partition_implILS8_4ELb0ES6_15HIP_vector_typeIjLj2EENS0_17counting_iteratorIjlEEPS9_SG_NS0_5tupleIJPjSI_NS0_16reverse_iteratorISI_EEEEENSH_IJSG_SG_SG_EEES9_SI_JZNS1_25segmented_radix_sort_implINS0_14default_configELb1EPK12hip_bfloat16PSP_PKlPlN2at6native12_GLOBAL__N_18offset_tEEE10hipError_tPvRmT1_PNSt15iterator_traitsIS13_E10value_typeET2_T3_PNS14_IS19_E10value_typeET4_jRbjT5_S1F_jjP12ihipStream_tbEUljE_ZNSN_ISO_Lb1ESR_SS_SU_SV_SZ_EES10_S11_S12_S13_S17_S18_S19_S1C_S1D_jS1E_jS1F_S1F_jjS1H_bEUljE0_EEES10_S11_S12_S19_S1D_S1F_T6_T7_T9_mT8_S1H_bDpT10_ENKUlT_T0_E_clISt17integral_constantIbLb1EES1U_IbLb0EEEEDaS1Q_S1R_EUlS1Q_E_NS1_11comp_targetILNS1_3genE0ELNS1_11target_archE4294967295ELNS1_3gpuE0ELNS1_3repE0EEENS1_30default_config_static_selectorELNS0_4arch9wavefront6targetE1EEEvS13_,"axG",@progbits,_ZN7rocprim17ROCPRIM_400000_NS6detail17trampoline_kernelINS0_13select_configILj256ELj13ELNS0_17block_load_methodE3ELS4_3ELS4_3ELNS0_20block_scan_algorithmE0ELj4294967295EEENS1_25partition_config_selectorILNS1_17partition_subalgoE4EjNS0_10empty_typeEbEEZZNS1_14partition_implILS8_4ELb0ES6_15HIP_vector_typeIjLj2EENS0_17counting_iteratorIjlEEPS9_SG_NS0_5tupleIJPjSI_NS0_16reverse_iteratorISI_EEEEENSH_IJSG_SG_SG_EEES9_SI_JZNS1_25segmented_radix_sort_implINS0_14default_configELb1EPK12hip_bfloat16PSP_PKlPlN2at6native12_GLOBAL__N_18offset_tEEE10hipError_tPvRmT1_PNSt15iterator_traitsIS13_E10value_typeET2_T3_PNS14_IS19_E10value_typeET4_jRbjT5_S1F_jjP12ihipStream_tbEUljE_ZNSN_ISO_Lb1ESR_SS_SU_SV_SZ_EES10_S11_S12_S13_S17_S18_S19_S1C_S1D_jS1E_jS1F_S1F_jjS1H_bEUljE0_EEES10_S11_S12_S19_S1D_S1F_T6_T7_T9_mT8_S1H_bDpT10_ENKUlT_T0_E_clISt17integral_constantIbLb1EES1U_IbLb0EEEEDaS1Q_S1R_EUlS1Q_E_NS1_11comp_targetILNS1_3genE0ELNS1_11target_archE4294967295ELNS1_3gpuE0ELNS1_3repE0EEENS1_30default_config_static_selectorELNS0_4arch9wavefront6targetE1EEEvS13_,comdat
	.globl	_ZN7rocprim17ROCPRIM_400000_NS6detail17trampoline_kernelINS0_13select_configILj256ELj13ELNS0_17block_load_methodE3ELS4_3ELS4_3ELNS0_20block_scan_algorithmE0ELj4294967295EEENS1_25partition_config_selectorILNS1_17partition_subalgoE4EjNS0_10empty_typeEbEEZZNS1_14partition_implILS8_4ELb0ES6_15HIP_vector_typeIjLj2EENS0_17counting_iteratorIjlEEPS9_SG_NS0_5tupleIJPjSI_NS0_16reverse_iteratorISI_EEEEENSH_IJSG_SG_SG_EEES9_SI_JZNS1_25segmented_radix_sort_implINS0_14default_configELb1EPK12hip_bfloat16PSP_PKlPlN2at6native12_GLOBAL__N_18offset_tEEE10hipError_tPvRmT1_PNSt15iterator_traitsIS13_E10value_typeET2_T3_PNS14_IS19_E10value_typeET4_jRbjT5_S1F_jjP12ihipStream_tbEUljE_ZNSN_ISO_Lb1ESR_SS_SU_SV_SZ_EES10_S11_S12_S13_S17_S18_S19_S1C_S1D_jS1E_jS1F_S1F_jjS1H_bEUljE0_EEES10_S11_S12_S19_S1D_S1F_T6_T7_T9_mT8_S1H_bDpT10_ENKUlT_T0_E_clISt17integral_constantIbLb1EES1U_IbLb0EEEEDaS1Q_S1R_EUlS1Q_E_NS1_11comp_targetILNS1_3genE0ELNS1_11target_archE4294967295ELNS1_3gpuE0ELNS1_3repE0EEENS1_30default_config_static_selectorELNS0_4arch9wavefront6targetE1EEEvS13_ ; -- Begin function _ZN7rocprim17ROCPRIM_400000_NS6detail17trampoline_kernelINS0_13select_configILj256ELj13ELNS0_17block_load_methodE3ELS4_3ELS4_3ELNS0_20block_scan_algorithmE0ELj4294967295EEENS1_25partition_config_selectorILNS1_17partition_subalgoE4EjNS0_10empty_typeEbEEZZNS1_14partition_implILS8_4ELb0ES6_15HIP_vector_typeIjLj2EENS0_17counting_iteratorIjlEEPS9_SG_NS0_5tupleIJPjSI_NS0_16reverse_iteratorISI_EEEEENSH_IJSG_SG_SG_EEES9_SI_JZNS1_25segmented_radix_sort_implINS0_14default_configELb1EPK12hip_bfloat16PSP_PKlPlN2at6native12_GLOBAL__N_18offset_tEEE10hipError_tPvRmT1_PNSt15iterator_traitsIS13_E10value_typeET2_T3_PNS14_IS19_E10value_typeET4_jRbjT5_S1F_jjP12ihipStream_tbEUljE_ZNSN_ISO_Lb1ESR_SS_SU_SV_SZ_EES10_S11_S12_S13_S17_S18_S19_S1C_S1D_jS1E_jS1F_S1F_jjS1H_bEUljE0_EEES10_S11_S12_S19_S1D_S1F_T6_T7_T9_mT8_S1H_bDpT10_ENKUlT_T0_E_clISt17integral_constantIbLb1EES1U_IbLb0EEEEDaS1Q_S1R_EUlS1Q_E_NS1_11comp_targetILNS1_3genE0ELNS1_11target_archE4294967295ELNS1_3gpuE0ELNS1_3repE0EEENS1_30default_config_static_selectorELNS0_4arch9wavefront6targetE1EEEvS13_
	.p2align	8
	.type	_ZN7rocprim17ROCPRIM_400000_NS6detail17trampoline_kernelINS0_13select_configILj256ELj13ELNS0_17block_load_methodE3ELS4_3ELS4_3ELNS0_20block_scan_algorithmE0ELj4294967295EEENS1_25partition_config_selectorILNS1_17partition_subalgoE4EjNS0_10empty_typeEbEEZZNS1_14partition_implILS8_4ELb0ES6_15HIP_vector_typeIjLj2EENS0_17counting_iteratorIjlEEPS9_SG_NS0_5tupleIJPjSI_NS0_16reverse_iteratorISI_EEEEENSH_IJSG_SG_SG_EEES9_SI_JZNS1_25segmented_radix_sort_implINS0_14default_configELb1EPK12hip_bfloat16PSP_PKlPlN2at6native12_GLOBAL__N_18offset_tEEE10hipError_tPvRmT1_PNSt15iterator_traitsIS13_E10value_typeET2_T3_PNS14_IS19_E10value_typeET4_jRbjT5_S1F_jjP12ihipStream_tbEUljE_ZNSN_ISO_Lb1ESR_SS_SU_SV_SZ_EES10_S11_S12_S13_S17_S18_S19_S1C_S1D_jS1E_jS1F_S1F_jjS1H_bEUljE0_EEES10_S11_S12_S19_S1D_S1F_T6_T7_T9_mT8_S1H_bDpT10_ENKUlT_T0_E_clISt17integral_constantIbLb1EES1U_IbLb0EEEEDaS1Q_S1R_EUlS1Q_E_NS1_11comp_targetILNS1_3genE0ELNS1_11target_archE4294967295ELNS1_3gpuE0ELNS1_3repE0EEENS1_30default_config_static_selectorELNS0_4arch9wavefront6targetE1EEEvS13_,@function
_ZN7rocprim17ROCPRIM_400000_NS6detail17trampoline_kernelINS0_13select_configILj256ELj13ELNS0_17block_load_methodE3ELS4_3ELS4_3ELNS0_20block_scan_algorithmE0ELj4294967295EEENS1_25partition_config_selectorILNS1_17partition_subalgoE4EjNS0_10empty_typeEbEEZZNS1_14partition_implILS8_4ELb0ES6_15HIP_vector_typeIjLj2EENS0_17counting_iteratorIjlEEPS9_SG_NS0_5tupleIJPjSI_NS0_16reverse_iteratorISI_EEEEENSH_IJSG_SG_SG_EEES9_SI_JZNS1_25segmented_radix_sort_implINS0_14default_configELb1EPK12hip_bfloat16PSP_PKlPlN2at6native12_GLOBAL__N_18offset_tEEE10hipError_tPvRmT1_PNSt15iterator_traitsIS13_E10value_typeET2_T3_PNS14_IS19_E10value_typeET4_jRbjT5_S1F_jjP12ihipStream_tbEUljE_ZNSN_ISO_Lb1ESR_SS_SU_SV_SZ_EES10_S11_S12_S13_S17_S18_S19_S1C_S1D_jS1E_jS1F_S1F_jjS1H_bEUljE0_EEES10_S11_S12_S19_S1D_S1F_T6_T7_T9_mT8_S1H_bDpT10_ENKUlT_T0_E_clISt17integral_constantIbLb1EES1U_IbLb0EEEEDaS1Q_S1R_EUlS1Q_E_NS1_11comp_targetILNS1_3genE0ELNS1_11target_archE4294967295ELNS1_3gpuE0ELNS1_3repE0EEENS1_30default_config_static_selectorELNS0_4arch9wavefront6targetE1EEEvS13_: ; @_ZN7rocprim17ROCPRIM_400000_NS6detail17trampoline_kernelINS0_13select_configILj256ELj13ELNS0_17block_load_methodE3ELS4_3ELS4_3ELNS0_20block_scan_algorithmE0ELj4294967295EEENS1_25partition_config_selectorILNS1_17partition_subalgoE4EjNS0_10empty_typeEbEEZZNS1_14partition_implILS8_4ELb0ES6_15HIP_vector_typeIjLj2EENS0_17counting_iteratorIjlEEPS9_SG_NS0_5tupleIJPjSI_NS0_16reverse_iteratorISI_EEEEENSH_IJSG_SG_SG_EEES9_SI_JZNS1_25segmented_radix_sort_implINS0_14default_configELb1EPK12hip_bfloat16PSP_PKlPlN2at6native12_GLOBAL__N_18offset_tEEE10hipError_tPvRmT1_PNSt15iterator_traitsIS13_E10value_typeET2_T3_PNS14_IS19_E10value_typeET4_jRbjT5_S1F_jjP12ihipStream_tbEUljE_ZNSN_ISO_Lb1ESR_SS_SU_SV_SZ_EES10_S11_S12_S13_S17_S18_S19_S1C_S1D_jS1E_jS1F_S1F_jjS1H_bEUljE0_EEES10_S11_S12_S19_S1D_S1F_T6_T7_T9_mT8_S1H_bDpT10_ENKUlT_T0_E_clISt17integral_constantIbLb1EES1U_IbLb0EEEEDaS1Q_S1R_EUlS1Q_E_NS1_11comp_targetILNS1_3genE0ELNS1_11target_archE4294967295ELNS1_3gpuE0ELNS1_3repE0EEENS1_30default_config_static_selectorELNS0_4arch9wavefront6targetE1EEEvS13_
; %bb.0:
	.section	.rodata,"a",@progbits
	.p2align	6, 0x0
	.amdhsa_kernel _ZN7rocprim17ROCPRIM_400000_NS6detail17trampoline_kernelINS0_13select_configILj256ELj13ELNS0_17block_load_methodE3ELS4_3ELS4_3ELNS0_20block_scan_algorithmE0ELj4294967295EEENS1_25partition_config_selectorILNS1_17partition_subalgoE4EjNS0_10empty_typeEbEEZZNS1_14partition_implILS8_4ELb0ES6_15HIP_vector_typeIjLj2EENS0_17counting_iteratorIjlEEPS9_SG_NS0_5tupleIJPjSI_NS0_16reverse_iteratorISI_EEEEENSH_IJSG_SG_SG_EEES9_SI_JZNS1_25segmented_radix_sort_implINS0_14default_configELb1EPK12hip_bfloat16PSP_PKlPlN2at6native12_GLOBAL__N_18offset_tEEE10hipError_tPvRmT1_PNSt15iterator_traitsIS13_E10value_typeET2_T3_PNS14_IS19_E10value_typeET4_jRbjT5_S1F_jjP12ihipStream_tbEUljE_ZNSN_ISO_Lb1ESR_SS_SU_SV_SZ_EES10_S11_S12_S13_S17_S18_S19_S1C_S1D_jS1E_jS1F_S1F_jjS1H_bEUljE0_EEES10_S11_S12_S19_S1D_S1F_T6_T7_T9_mT8_S1H_bDpT10_ENKUlT_T0_E_clISt17integral_constantIbLb1EES1U_IbLb0EEEEDaS1Q_S1R_EUlS1Q_E_NS1_11comp_targetILNS1_3genE0ELNS1_11target_archE4294967295ELNS1_3gpuE0ELNS1_3repE0EEENS1_30default_config_static_selectorELNS0_4arch9wavefront6targetE1EEEvS13_
		.amdhsa_group_segment_fixed_size 0
		.amdhsa_private_segment_fixed_size 0
		.amdhsa_kernarg_size 176
		.amdhsa_user_sgpr_count 6
		.amdhsa_user_sgpr_private_segment_buffer 1
		.amdhsa_user_sgpr_dispatch_ptr 0
		.amdhsa_user_sgpr_queue_ptr 0
		.amdhsa_user_sgpr_kernarg_segment_ptr 1
		.amdhsa_user_sgpr_dispatch_id 0
		.amdhsa_user_sgpr_flat_scratch_init 0
		.amdhsa_user_sgpr_private_segment_size 0
		.amdhsa_uses_dynamic_stack 0
		.amdhsa_system_sgpr_private_segment_wavefront_offset 0
		.amdhsa_system_sgpr_workgroup_id_x 1
		.amdhsa_system_sgpr_workgroup_id_y 0
		.amdhsa_system_sgpr_workgroup_id_z 0
		.amdhsa_system_sgpr_workgroup_info 0
		.amdhsa_system_vgpr_workitem_id 0
		.amdhsa_next_free_vgpr 1
		.amdhsa_next_free_sgpr 0
		.amdhsa_reserve_vcc 0
		.amdhsa_reserve_flat_scratch 0
		.amdhsa_float_round_mode_32 0
		.amdhsa_float_round_mode_16_64 0
		.amdhsa_float_denorm_mode_32 3
		.amdhsa_float_denorm_mode_16_64 3
		.amdhsa_dx10_clamp 1
		.amdhsa_ieee_mode 1
		.amdhsa_fp16_overflow 0
		.amdhsa_exception_fp_ieee_invalid_op 0
		.amdhsa_exception_fp_denorm_src 0
		.amdhsa_exception_fp_ieee_div_zero 0
		.amdhsa_exception_fp_ieee_overflow 0
		.amdhsa_exception_fp_ieee_underflow 0
		.amdhsa_exception_fp_ieee_inexact 0
		.amdhsa_exception_int_div_zero 0
	.end_amdhsa_kernel
	.section	.text._ZN7rocprim17ROCPRIM_400000_NS6detail17trampoline_kernelINS0_13select_configILj256ELj13ELNS0_17block_load_methodE3ELS4_3ELS4_3ELNS0_20block_scan_algorithmE0ELj4294967295EEENS1_25partition_config_selectorILNS1_17partition_subalgoE4EjNS0_10empty_typeEbEEZZNS1_14partition_implILS8_4ELb0ES6_15HIP_vector_typeIjLj2EENS0_17counting_iteratorIjlEEPS9_SG_NS0_5tupleIJPjSI_NS0_16reverse_iteratorISI_EEEEENSH_IJSG_SG_SG_EEES9_SI_JZNS1_25segmented_radix_sort_implINS0_14default_configELb1EPK12hip_bfloat16PSP_PKlPlN2at6native12_GLOBAL__N_18offset_tEEE10hipError_tPvRmT1_PNSt15iterator_traitsIS13_E10value_typeET2_T3_PNS14_IS19_E10value_typeET4_jRbjT5_S1F_jjP12ihipStream_tbEUljE_ZNSN_ISO_Lb1ESR_SS_SU_SV_SZ_EES10_S11_S12_S13_S17_S18_S19_S1C_S1D_jS1E_jS1F_S1F_jjS1H_bEUljE0_EEES10_S11_S12_S19_S1D_S1F_T6_T7_T9_mT8_S1H_bDpT10_ENKUlT_T0_E_clISt17integral_constantIbLb1EES1U_IbLb0EEEEDaS1Q_S1R_EUlS1Q_E_NS1_11comp_targetILNS1_3genE0ELNS1_11target_archE4294967295ELNS1_3gpuE0ELNS1_3repE0EEENS1_30default_config_static_selectorELNS0_4arch9wavefront6targetE1EEEvS13_,"axG",@progbits,_ZN7rocprim17ROCPRIM_400000_NS6detail17trampoline_kernelINS0_13select_configILj256ELj13ELNS0_17block_load_methodE3ELS4_3ELS4_3ELNS0_20block_scan_algorithmE0ELj4294967295EEENS1_25partition_config_selectorILNS1_17partition_subalgoE4EjNS0_10empty_typeEbEEZZNS1_14partition_implILS8_4ELb0ES6_15HIP_vector_typeIjLj2EENS0_17counting_iteratorIjlEEPS9_SG_NS0_5tupleIJPjSI_NS0_16reverse_iteratorISI_EEEEENSH_IJSG_SG_SG_EEES9_SI_JZNS1_25segmented_radix_sort_implINS0_14default_configELb1EPK12hip_bfloat16PSP_PKlPlN2at6native12_GLOBAL__N_18offset_tEEE10hipError_tPvRmT1_PNSt15iterator_traitsIS13_E10value_typeET2_T3_PNS14_IS19_E10value_typeET4_jRbjT5_S1F_jjP12ihipStream_tbEUljE_ZNSN_ISO_Lb1ESR_SS_SU_SV_SZ_EES10_S11_S12_S13_S17_S18_S19_S1C_S1D_jS1E_jS1F_S1F_jjS1H_bEUljE0_EEES10_S11_S12_S19_S1D_S1F_T6_T7_T9_mT8_S1H_bDpT10_ENKUlT_T0_E_clISt17integral_constantIbLb1EES1U_IbLb0EEEEDaS1Q_S1R_EUlS1Q_E_NS1_11comp_targetILNS1_3genE0ELNS1_11target_archE4294967295ELNS1_3gpuE0ELNS1_3repE0EEENS1_30default_config_static_selectorELNS0_4arch9wavefront6targetE1EEEvS13_,comdat
.Lfunc_end1898:
	.size	_ZN7rocprim17ROCPRIM_400000_NS6detail17trampoline_kernelINS0_13select_configILj256ELj13ELNS0_17block_load_methodE3ELS4_3ELS4_3ELNS0_20block_scan_algorithmE0ELj4294967295EEENS1_25partition_config_selectorILNS1_17partition_subalgoE4EjNS0_10empty_typeEbEEZZNS1_14partition_implILS8_4ELb0ES6_15HIP_vector_typeIjLj2EENS0_17counting_iteratorIjlEEPS9_SG_NS0_5tupleIJPjSI_NS0_16reverse_iteratorISI_EEEEENSH_IJSG_SG_SG_EEES9_SI_JZNS1_25segmented_radix_sort_implINS0_14default_configELb1EPK12hip_bfloat16PSP_PKlPlN2at6native12_GLOBAL__N_18offset_tEEE10hipError_tPvRmT1_PNSt15iterator_traitsIS13_E10value_typeET2_T3_PNS14_IS19_E10value_typeET4_jRbjT5_S1F_jjP12ihipStream_tbEUljE_ZNSN_ISO_Lb1ESR_SS_SU_SV_SZ_EES10_S11_S12_S13_S17_S18_S19_S1C_S1D_jS1E_jS1F_S1F_jjS1H_bEUljE0_EEES10_S11_S12_S19_S1D_S1F_T6_T7_T9_mT8_S1H_bDpT10_ENKUlT_T0_E_clISt17integral_constantIbLb1EES1U_IbLb0EEEEDaS1Q_S1R_EUlS1Q_E_NS1_11comp_targetILNS1_3genE0ELNS1_11target_archE4294967295ELNS1_3gpuE0ELNS1_3repE0EEENS1_30default_config_static_selectorELNS0_4arch9wavefront6targetE1EEEvS13_, .Lfunc_end1898-_ZN7rocprim17ROCPRIM_400000_NS6detail17trampoline_kernelINS0_13select_configILj256ELj13ELNS0_17block_load_methodE3ELS4_3ELS4_3ELNS0_20block_scan_algorithmE0ELj4294967295EEENS1_25partition_config_selectorILNS1_17partition_subalgoE4EjNS0_10empty_typeEbEEZZNS1_14partition_implILS8_4ELb0ES6_15HIP_vector_typeIjLj2EENS0_17counting_iteratorIjlEEPS9_SG_NS0_5tupleIJPjSI_NS0_16reverse_iteratorISI_EEEEENSH_IJSG_SG_SG_EEES9_SI_JZNS1_25segmented_radix_sort_implINS0_14default_configELb1EPK12hip_bfloat16PSP_PKlPlN2at6native12_GLOBAL__N_18offset_tEEE10hipError_tPvRmT1_PNSt15iterator_traitsIS13_E10value_typeET2_T3_PNS14_IS19_E10value_typeET4_jRbjT5_S1F_jjP12ihipStream_tbEUljE_ZNSN_ISO_Lb1ESR_SS_SU_SV_SZ_EES10_S11_S12_S13_S17_S18_S19_S1C_S1D_jS1E_jS1F_S1F_jjS1H_bEUljE0_EEES10_S11_S12_S19_S1D_S1F_T6_T7_T9_mT8_S1H_bDpT10_ENKUlT_T0_E_clISt17integral_constantIbLb1EES1U_IbLb0EEEEDaS1Q_S1R_EUlS1Q_E_NS1_11comp_targetILNS1_3genE0ELNS1_11target_archE4294967295ELNS1_3gpuE0ELNS1_3repE0EEENS1_30default_config_static_selectorELNS0_4arch9wavefront6targetE1EEEvS13_
                                        ; -- End function
	.set _ZN7rocprim17ROCPRIM_400000_NS6detail17trampoline_kernelINS0_13select_configILj256ELj13ELNS0_17block_load_methodE3ELS4_3ELS4_3ELNS0_20block_scan_algorithmE0ELj4294967295EEENS1_25partition_config_selectorILNS1_17partition_subalgoE4EjNS0_10empty_typeEbEEZZNS1_14partition_implILS8_4ELb0ES6_15HIP_vector_typeIjLj2EENS0_17counting_iteratorIjlEEPS9_SG_NS0_5tupleIJPjSI_NS0_16reverse_iteratorISI_EEEEENSH_IJSG_SG_SG_EEES9_SI_JZNS1_25segmented_radix_sort_implINS0_14default_configELb1EPK12hip_bfloat16PSP_PKlPlN2at6native12_GLOBAL__N_18offset_tEEE10hipError_tPvRmT1_PNSt15iterator_traitsIS13_E10value_typeET2_T3_PNS14_IS19_E10value_typeET4_jRbjT5_S1F_jjP12ihipStream_tbEUljE_ZNSN_ISO_Lb1ESR_SS_SU_SV_SZ_EES10_S11_S12_S13_S17_S18_S19_S1C_S1D_jS1E_jS1F_S1F_jjS1H_bEUljE0_EEES10_S11_S12_S19_S1D_S1F_T6_T7_T9_mT8_S1H_bDpT10_ENKUlT_T0_E_clISt17integral_constantIbLb1EES1U_IbLb0EEEEDaS1Q_S1R_EUlS1Q_E_NS1_11comp_targetILNS1_3genE0ELNS1_11target_archE4294967295ELNS1_3gpuE0ELNS1_3repE0EEENS1_30default_config_static_selectorELNS0_4arch9wavefront6targetE1EEEvS13_.num_vgpr, 0
	.set _ZN7rocprim17ROCPRIM_400000_NS6detail17trampoline_kernelINS0_13select_configILj256ELj13ELNS0_17block_load_methodE3ELS4_3ELS4_3ELNS0_20block_scan_algorithmE0ELj4294967295EEENS1_25partition_config_selectorILNS1_17partition_subalgoE4EjNS0_10empty_typeEbEEZZNS1_14partition_implILS8_4ELb0ES6_15HIP_vector_typeIjLj2EENS0_17counting_iteratorIjlEEPS9_SG_NS0_5tupleIJPjSI_NS0_16reverse_iteratorISI_EEEEENSH_IJSG_SG_SG_EEES9_SI_JZNS1_25segmented_radix_sort_implINS0_14default_configELb1EPK12hip_bfloat16PSP_PKlPlN2at6native12_GLOBAL__N_18offset_tEEE10hipError_tPvRmT1_PNSt15iterator_traitsIS13_E10value_typeET2_T3_PNS14_IS19_E10value_typeET4_jRbjT5_S1F_jjP12ihipStream_tbEUljE_ZNSN_ISO_Lb1ESR_SS_SU_SV_SZ_EES10_S11_S12_S13_S17_S18_S19_S1C_S1D_jS1E_jS1F_S1F_jjS1H_bEUljE0_EEES10_S11_S12_S19_S1D_S1F_T6_T7_T9_mT8_S1H_bDpT10_ENKUlT_T0_E_clISt17integral_constantIbLb1EES1U_IbLb0EEEEDaS1Q_S1R_EUlS1Q_E_NS1_11comp_targetILNS1_3genE0ELNS1_11target_archE4294967295ELNS1_3gpuE0ELNS1_3repE0EEENS1_30default_config_static_selectorELNS0_4arch9wavefront6targetE1EEEvS13_.num_agpr, 0
	.set _ZN7rocprim17ROCPRIM_400000_NS6detail17trampoline_kernelINS0_13select_configILj256ELj13ELNS0_17block_load_methodE3ELS4_3ELS4_3ELNS0_20block_scan_algorithmE0ELj4294967295EEENS1_25partition_config_selectorILNS1_17partition_subalgoE4EjNS0_10empty_typeEbEEZZNS1_14partition_implILS8_4ELb0ES6_15HIP_vector_typeIjLj2EENS0_17counting_iteratorIjlEEPS9_SG_NS0_5tupleIJPjSI_NS0_16reverse_iteratorISI_EEEEENSH_IJSG_SG_SG_EEES9_SI_JZNS1_25segmented_radix_sort_implINS0_14default_configELb1EPK12hip_bfloat16PSP_PKlPlN2at6native12_GLOBAL__N_18offset_tEEE10hipError_tPvRmT1_PNSt15iterator_traitsIS13_E10value_typeET2_T3_PNS14_IS19_E10value_typeET4_jRbjT5_S1F_jjP12ihipStream_tbEUljE_ZNSN_ISO_Lb1ESR_SS_SU_SV_SZ_EES10_S11_S12_S13_S17_S18_S19_S1C_S1D_jS1E_jS1F_S1F_jjS1H_bEUljE0_EEES10_S11_S12_S19_S1D_S1F_T6_T7_T9_mT8_S1H_bDpT10_ENKUlT_T0_E_clISt17integral_constantIbLb1EES1U_IbLb0EEEEDaS1Q_S1R_EUlS1Q_E_NS1_11comp_targetILNS1_3genE0ELNS1_11target_archE4294967295ELNS1_3gpuE0ELNS1_3repE0EEENS1_30default_config_static_selectorELNS0_4arch9wavefront6targetE1EEEvS13_.numbered_sgpr, 0
	.set _ZN7rocprim17ROCPRIM_400000_NS6detail17trampoline_kernelINS0_13select_configILj256ELj13ELNS0_17block_load_methodE3ELS4_3ELS4_3ELNS0_20block_scan_algorithmE0ELj4294967295EEENS1_25partition_config_selectorILNS1_17partition_subalgoE4EjNS0_10empty_typeEbEEZZNS1_14partition_implILS8_4ELb0ES6_15HIP_vector_typeIjLj2EENS0_17counting_iteratorIjlEEPS9_SG_NS0_5tupleIJPjSI_NS0_16reverse_iteratorISI_EEEEENSH_IJSG_SG_SG_EEES9_SI_JZNS1_25segmented_radix_sort_implINS0_14default_configELb1EPK12hip_bfloat16PSP_PKlPlN2at6native12_GLOBAL__N_18offset_tEEE10hipError_tPvRmT1_PNSt15iterator_traitsIS13_E10value_typeET2_T3_PNS14_IS19_E10value_typeET4_jRbjT5_S1F_jjP12ihipStream_tbEUljE_ZNSN_ISO_Lb1ESR_SS_SU_SV_SZ_EES10_S11_S12_S13_S17_S18_S19_S1C_S1D_jS1E_jS1F_S1F_jjS1H_bEUljE0_EEES10_S11_S12_S19_S1D_S1F_T6_T7_T9_mT8_S1H_bDpT10_ENKUlT_T0_E_clISt17integral_constantIbLb1EES1U_IbLb0EEEEDaS1Q_S1R_EUlS1Q_E_NS1_11comp_targetILNS1_3genE0ELNS1_11target_archE4294967295ELNS1_3gpuE0ELNS1_3repE0EEENS1_30default_config_static_selectorELNS0_4arch9wavefront6targetE1EEEvS13_.num_named_barrier, 0
	.set _ZN7rocprim17ROCPRIM_400000_NS6detail17trampoline_kernelINS0_13select_configILj256ELj13ELNS0_17block_load_methodE3ELS4_3ELS4_3ELNS0_20block_scan_algorithmE0ELj4294967295EEENS1_25partition_config_selectorILNS1_17partition_subalgoE4EjNS0_10empty_typeEbEEZZNS1_14partition_implILS8_4ELb0ES6_15HIP_vector_typeIjLj2EENS0_17counting_iteratorIjlEEPS9_SG_NS0_5tupleIJPjSI_NS0_16reverse_iteratorISI_EEEEENSH_IJSG_SG_SG_EEES9_SI_JZNS1_25segmented_radix_sort_implINS0_14default_configELb1EPK12hip_bfloat16PSP_PKlPlN2at6native12_GLOBAL__N_18offset_tEEE10hipError_tPvRmT1_PNSt15iterator_traitsIS13_E10value_typeET2_T3_PNS14_IS19_E10value_typeET4_jRbjT5_S1F_jjP12ihipStream_tbEUljE_ZNSN_ISO_Lb1ESR_SS_SU_SV_SZ_EES10_S11_S12_S13_S17_S18_S19_S1C_S1D_jS1E_jS1F_S1F_jjS1H_bEUljE0_EEES10_S11_S12_S19_S1D_S1F_T6_T7_T9_mT8_S1H_bDpT10_ENKUlT_T0_E_clISt17integral_constantIbLb1EES1U_IbLb0EEEEDaS1Q_S1R_EUlS1Q_E_NS1_11comp_targetILNS1_3genE0ELNS1_11target_archE4294967295ELNS1_3gpuE0ELNS1_3repE0EEENS1_30default_config_static_selectorELNS0_4arch9wavefront6targetE1EEEvS13_.private_seg_size, 0
	.set _ZN7rocprim17ROCPRIM_400000_NS6detail17trampoline_kernelINS0_13select_configILj256ELj13ELNS0_17block_load_methodE3ELS4_3ELS4_3ELNS0_20block_scan_algorithmE0ELj4294967295EEENS1_25partition_config_selectorILNS1_17partition_subalgoE4EjNS0_10empty_typeEbEEZZNS1_14partition_implILS8_4ELb0ES6_15HIP_vector_typeIjLj2EENS0_17counting_iteratorIjlEEPS9_SG_NS0_5tupleIJPjSI_NS0_16reverse_iteratorISI_EEEEENSH_IJSG_SG_SG_EEES9_SI_JZNS1_25segmented_radix_sort_implINS0_14default_configELb1EPK12hip_bfloat16PSP_PKlPlN2at6native12_GLOBAL__N_18offset_tEEE10hipError_tPvRmT1_PNSt15iterator_traitsIS13_E10value_typeET2_T3_PNS14_IS19_E10value_typeET4_jRbjT5_S1F_jjP12ihipStream_tbEUljE_ZNSN_ISO_Lb1ESR_SS_SU_SV_SZ_EES10_S11_S12_S13_S17_S18_S19_S1C_S1D_jS1E_jS1F_S1F_jjS1H_bEUljE0_EEES10_S11_S12_S19_S1D_S1F_T6_T7_T9_mT8_S1H_bDpT10_ENKUlT_T0_E_clISt17integral_constantIbLb1EES1U_IbLb0EEEEDaS1Q_S1R_EUlS1Q_E_NS1_11comp_targetILNS1_3genE0ELNS1_11target_archE4294967295ELNS1_3gpuE0ELNS1_3repE0EEENS1_30default_config_static_selectorELNS0_4arch9wavefront6targetE1EEEvS13_.uses_vcc, 0
	.set _ZN7rocprim17ROCPRIM_400000_NS6detail17trampoline_kernelINS0_13select_configILj256ELj13ELNS0_17block_load_methodE3ELS4_3ELS4_3ELNS0_20block_scan_algorithmE0ELj4294967295EEENS1_25partition_config_selectorILNS1_17partition_subalgoE4EjNS0_10empty_typeEbEEZZNS1_14partition_implILS8_4ELb0ES6_15HIP_vector_typeIjLj2EENS0_17counting_iteratorIjlEEPS9_SG_NS0_5tupleIJPjSI_NS0_16reverse_iteratorISI_EEEEENSH_IJSG_SG_SG_EEES9_SI_JZNS1_25segmented_radix_sort_implINS0_14default_configELb1EPK12hip_bfloat16PSP_PKlPlN2at6native12_GLOBAL__N_18offset_tEEE10hipError_tPvRmT1_PNSt15iterator_traitsIS13_E10value_typeET2_T3_PNS14_IS19_E10value_typeET4_jRbjT5_S1F_jjP12ihipStream_tbEUljE_ZNSN_ISO_Lb1ESR_SS_SU_SV_SZ_EES10_S11_S12_S13_S17_S18_S19_S1C_S1D_jS1E_jS1F_S1F_jjS1H_bEUljE0_EEES10_S11_S12_S19_S1D_S1F_T6_T7_T9_mT8_S1H_bDpT10_ENKUlT_T0_E_clISt17integral_constantIbLb1EES1U_IbLb0EEEEDaS1Q_S1R_EUlS1Q_E_NS1_11comp_targetILNS1_3genE0ELNS1_11target_archE4294967295ELNS1_3gpuE0ELNS1_3repE0EEENS1_30default_config_static_selectorELNS0_4arch9wavefront6targetE1EEEvS13_.uses_flat_scratch, 0
	.set _ZN7rocprim17ROCPRIM_400000_NS6detail17trampoline_kernelINS0_13select_configILj256ELj13ELNS0_17block_load_methodE3ELS4_3ELS4_3ELNS0_20block_scan_algorithmE0ELj4294967295EEENS1_25partition_config_selectorILNS1_17partition_subalgoE4EjNS0_10empty_typeEbEEZZNS1_14partition_implILS8_4ELb0ES6_15HIP_vector_typeIjLj2EENS0_17counting_iteratorIjlEEPS9_SG_NS0_5tupleIJPjSI_NS0_16reverse_iteratorISI_EEEEENSH_IJSG_SG_SG_EEES9_SI_JZNS1_25segmented_radix_sort_implINS0_14default_configELb1EPK12hip_bfloat16PSP_PKlPlN2at6native12_GLOBAL__N_18offset_tEEE10hipError_tPvRmT1_PNSt15iterator_traitsIS13_E10value_typeET2_T3_PNS14_IS19_E10value_typeET4_jRbjT5_S1F_jjP12ihipStream_tbEUljE_ZNSN_ISO_Lb1ESR_SS_SU_SV_SZ_EES10_S11_S12_S13_S17_S18_S19_S1C_S1D_jS1E_jS1F_S1F_jjS1H_bEUljE0_EEES10_S11_S12_S19_S1D_S1F_T6_T7_T9_mT8_S1H_bDpT10_ENKUlT_T0_E_clISt17integral_constantIbLb1EES1U_IbLb0EEEEDaS1Q_S1R_EUlS1Q_E_NS1_11comp_targetILNS1_3genE0ELNS1_11target_archE4294967295ELNS1_3gpuE0ELNS1_3repE0EEENS1_30default_config_static_selectorELNS0_4arch9wavefront6targetE1EEEvS13_.has_dyn_sized_stack, 0
	.set _ZN7rocprim17ROCPRIM_400000_NS6detail17trampoline_kernelINS0_13select_configILj256ELj13ELNS0_17block_load_methodE3ELS4_3ELS4_3ELNS0_20block_scan_algorithmE0ELj4294967295EEENS1_25partition_config_selectorILNS1_17partition_subalgoE4EjNS0_10empty_typeEbEEZZNS1_14partition_implILS8_4ELb0ES6_15HIP_vector_typeIjLj2EENS0_17counting_iteratorIjlEEPS9_SG_NS0_5tupleIJPjSI_NS0_16reverse_iteratorISI_EEEEENSH_IJSG_SG_SG_EEES9_SI_JZNS1_25segmented_radix_sort_implINS0_14default_configELb1EPK12hip_bfloat16PSP_PKlPlN2at6native12_GLOBAL__N_18offset_tEEE10hipError_tPvRmT1_PNSt15iterator_traitsIS13_E10value_typeET2_T3_PNS14_IS19_E10value_typeET4_jRbjT5_S1F_jjP12ihipStream_tbEUljE_ZNSN_ISO_Lb1ESR_SS_SU_SV_SZ_EES10_S11_S12_S13_S17_S18_S19_S1C_S1D_jS1E_jS1F_S1F_jjS1H_bEUljE0_EEES10_S11_S12_S19_S1D_S1F_T6_T7_T9_mT8_S1H_bDpT10_ENKUlT_T0_E_clISt17integral_constantIbLb1EES1U_IbLb0EEEEDaS1Q_S1R_EUlS1Q_E_NS1_11comp_targetILNS1_3genE0ELNS1_11target_archE4294967295ELNS1_3gpuE0ELNS1_3repE0EEENS1_30default_config_static_selectorELNS0_4arch9wavefront6targetE1EEEvS13_.has_recursion, 0
	.set _ZN7rocprim17ROCPRIM_400000_NS6detail17trampoline_kernelINS0_13select_configILj256ELj13ELNS0_17block_load_methodE3ELS4_3ELS4_3ELNS0_20block_scan_algorithmE0ELj4294967295EEENS1_25partition_config_selectorILNS1_17partition_subalgoE4EjNS0_10empty_typeEbEEZZNS1_14partition_implILS8_4ELb0ES6_15HIP_vector_typeIjLj2EENS0_17counting_iteratorIjlEEPS9_SG_NS0_5tupleIJPjSI_NS0_16reverse_iteratorISI_EEEEENSH_IJSG_SG_SG_EEES9_SI_JZNS1_25segmented_radix_sort_implINS0_14default_configELb1EPK12hip_bfloat16PSP_PKlPlN2at6native12_GLOBAL__N_18offset_tEEE10hipError_tPvRmT1_PNSt15iterator_traitsIS13_E10value_typeET2_T3_PNS14_IS19_E10value_typeET4_jRbjT5_S1F_jjP12ihipStream_tbEUljE_ZNSN_ISO_Lb1ESR_SS_SU_SV_SZ_EES10_S11_S12_S13_S17_S18_S19_S1C_S1D_jS1E_jS1F_S1F_jjS1H_bEUljE0_EEES10_S11_S12_S19_S1D_S1F_T6_T7_T9_mT8_S1H_bDpT10_ENKUlT_T0_E_clISt17integral_constantIbLb1EES1U_IbLb0EEEEDaS1Q_S1R_EUlS1Q_E_NS1_11comp_targetILNS1_3genE0ELNS1_11target_archE4294967295ELNS1_3gpuE0ELNS1_3repE0EEENS1_30default_config_static_selectorELNS0_4arch9wavefront6targetE1EEEvS13_.has_indirect_call, 0
	.section	.AMDGPU.csdata,"",@progbits
; Kernel info:
; codeLenInByte = 0
; TotalNumSgprs: 4
; NumVgprs: 0
; ScratchSize: 0
; MemoryBound: 0
; FloatMode: 240
; IeeeMode: 1
; LDSByteSize: 0 bytes/workgroup (compile time only)
; SGPRBlocks: 0
; VGPRBlocks: 0
; NumSGPRsForWavesPerEU: 4
; NumVGPRsForWavesPerEU: 1
; Occupancy: 10
; WaveLimiterHint : 0
; COMPUTE_PGM_RSRC2:SCRATCH_EN: 0
; COMPUTE_PGM_RSRC2:USER_SGPR: 6
; COMPUTE_PGM_RSRC2:TRAP_HANDLER: 0
; COMPUTE_PGM_RSRC2:TGID_X_EN: 1
; COMPUTE_PGM_RSRC2:TGID_Y_EN: 0
; COMPUTE_PGM_RSRC2:TGID_Z_EN: 0
; COMPUTE_PGM_RSRC2:TIDIG_COMP_CNT: 0
	.section	.text._ZN7rocprim17ROCPRIM_400000_NS6detail17trampoline_kernelINS0_13select_configILj256ELj13ELNS0_17block_load_methodE3ELS4_3ELS4_3ELNS0_20block_scan_algorithmE0ELj4294967295EEENS1_25partition_config_selectorILNS1_17partition_subalgoE4EjNS0_10empty_typeEbEEZZNS1_14partition_implILS8_4ELb0ES6_15HIP_vector_typeIjLj2EENS0_17counting_iteratorIjlEEPS9_SG_NS0_5tupleIJPjSI_NS0_16reverse_iteratorISI_EEEEENSH_IJSG_SG_SG_EEES9_SI_JZNS1_25segmented_radix_sort_implINS0_14default_configELb1EPK12hip_bfloat16PSP_PKlPlN2at6native12_GLOBAL__N_18offset_tEEE10hipError_tPvRmT1_PNSt15iterator_traitsIS13_E10value_typeET2_T3_PNS14_IS19_E10value_typeET4_jRbjT5_S1F_jjP12ihipStream_tbEUljE_ZNSN_ISO_Lb1ESR_SS_SU_SV_SZ_EES10_S11_S12_S13_S17_S18_S19_S1C_S1D_jS1E_jS1F_S1F_jjS1H_bEUljE0_EEES10_S11_S12_S19_S1D_S1F_T6_T7_T9_mT8_S1H_bDpT10_ENKUlT_T0_E_clISt17integral_constantIbLb1EES1U_IbLb0EEEEDaS1Q_S1R_EUlS1Q_E_NS1_11comp_targetILNS1_3genE5ELNS1_11target_archE942ELNS1_3gpuE9ELNS1_3repE0EEENS1_30default_config_static_selectorELNS0_4arch9wavefront6targetE1EEEvS13_,"axG",@progbits,_ZN7rocprim17ROCPRIM_400000_NS6detail17trampoline_kernelINS0_13select_configILj256ELj13ELNS0_17block_load_methodE3ELS4_3ELS4_3ELNS0_20block_scan_algorithmE0ELj4294967295EEENS1_25partition_config_selectorILNS1_17partition_subalgoE4EjNS0_10empty_typeEbEEZZNS1_14partition_implILS8_4ELb0ES6_15HIP_vector_typeIjLj2EENS0_17counting_iteratorIjlEEPS9_SG_NS0_5tupleIJPjSI_NS0_16reverse_iteratorISI_EEEEENSH_IJSG_SG_SG_EEES9_SI_JZNS1_25segmented_radix_sort_implINS0_14default_configELb1EPK12hip_bfloat16PSP_PKlPlN2at6native12_GLOBAL__N_18offset_tEEE10hipError_tPvRmT1_PNSt15iterator_traitsIS13_E10value_typeET2_T3_PNS14_IS19_E10value_typeET4_jRbjT5_S1F_jjP12ihipStream_tbEUljE_ZNSN_ISO_Lb1ESR_SS_SU_SV_SZ_EES10_S11_S12_S13_S17_S18_S19_S1C_S1D_jS1E_jS1F_S1F_jjS1H_bEUljE0_EEES10_S11_S12_S19_S1D_S1F_T6_T7_T9_mT8_S1H_bDpT10_ENKUlT_T0_E_clISt17integral_constantIbLb1EES1U_IbLb0EEEEDaS1Q_S1R_EUlS1Q_E_NS1_11comp_targetILNS1_3genE5ELNS1_11target_archE942ELNS1_3gpuE9ELNS1_3repE0EEENS1_30default_config_static_selectorELNS0_4arch9wavefront6targetE1EEEvS13_,comdat
	.globl	_ZN7rocprim17ROCPRIM_400000_NS6detail17trampoline_kernelINS0_13select_configILj256ELj13ELNS0_17block_load_methodE3ELS4_3ELS4_3ELNS0_20block_scan_algorithmE0ELj4294967295EEENS1_25partition_config_selectorILNS1_17partition_subalgoE4EjNS0_10empty_typeEbEEZZNS1_14partition_implILS8_4ELb0ES6_15HIP_vector_typeIjLj2EENS0_17counting_iteratorIjlEEPS9_SG_NS0_5tupleIJPjSI_NS0_16reverse_iteratorISI_EEEEENSH_IJSG_SG_SG_EEES9_SI_JZNS1_25segmented_radix_sort_implINS0_14default_configELb1EPK12hip_bfloat16PSP_PKlPlN2at6native12_GLOBAL__N_18offset_tEEE10hipError_tPvRmT1_PNSt15iterator_traitsIS13_E10value_typeET2_T3_PNS14_IS19_E10value_typeET4_jRbjT5_S1F_jjP12ihipStream_tbEUljE_ZNSN_ISO_Lb1ESR_SS_SU_SV_SZ_EES10_S11_S12_S13_S17_S18_S19_S1C_S1D_jS1E_jS1F_S1F_jjS1H_bEUljE0_EEES10_S11_S12_S19_S1D_S1F_T6_T7_T9_mT8_S1H_bDpT10_ENKUlT_T0_E_clISt17integral_constantIbLb1EES1U_IbLb0EEEEDaS1Q_S1R_EUlS1Q_E_NS1_11comp_targetILNS1_3genE5ELNS1_11target_archE942ELNS1_3gpuE9ELNS1_3repE0EEENS1_30default_config_static_selectorELNS0_4arch9wavefront6targetE1EEEvS13_ ; -- Begin function _ZN7rocprim17ROCPRIM_400000_NS6detail17trampoline_kernelINS0_13select_configILj256ELj13ELNS0_17block_load_methodE3ELS4_3ELS4_3ELNS0_20block_scan_algorithmE0ELj4294967295EEENS1_25partition_config_selectorILNS1_17partition_subalgoE4EjNS0_10empty_typeEbEEZZNS1_14partition_implILS8_4ELb0ES6_15HIP_vector_typeIjLj2EENS0_17counting_iteratorIjlEEPS9_SG_NS0_5tupleIJPjSI_NS0_16reverse_iteratorISI_EEEEENSH_IJSG_SG_SG_EEES9_SI_JZNS1_25segmented_radix_sort_implINS0_14default_configELb1EPK12hip_bfloat16PSP_PKlPlN2at6native12_GLOBAL__N_18offset_tEEE10hipError_tPvRmT1_PNSt15iterator_traitsIS13_E10value_typeET2_T3_PNS14_IS19_E10value_typeET4_jRbjT5_S1F_jjP12ihipStream_tbEUljE_ZNSN_ISO_Lb1ESR_SS_SU_SV_SZ_EES10_S11_S12_S13_S17_S18_S19_S1C_S1D_jS1E_jS1F_S1F_jjS1H_bEUljE0_EEES10_S11_S12_S19_S1D_S1F_T6_T7_T9_mT8_S1H_bDpT10_ENKUlT_T0_E_clISt17integral_constantIbLb1EES1U_IbLb0EEEEDaS1Q_S1R_EUlS1Q_E_NS1_11comp_targetILNS1_3genE5ELNS1_11target_archE942ELNS1_3gpuE9ELNS1_3repE0EEENS1_30default_config_static_selectorELNS0_4arch9wavefront6targetE1EEEvS13_
	.p2align	8
	.type	_ZN7rocprim17ROCPRIM_400000_NS6detail17trampoline_kernelINS0_13select_configILj256ELj13ELNS0_17block_load_methodE3ELS4_3ELS4_3ELNS0_20block_scan_algorithmE0ELj4294967295EEENS1_25partition_config_selectorILNS1_17partition_subalgoE4EjNS0_10empty_typeEbEEZZNS1_14partition_implILS8_4ELb0ES6_15HIP_vector_typeIjLj2EENS0_17counting_iteratorIjlEEPS9_SG_NS0_5tupleIJPjSI_NS0_16reverse_iteratorISI_EEEEENSH_IJSG_SG_SG_EEES9_SI_JZNS1_25segmented_radix_sort_implINS0_14default_configELb1EPK12hip_bfloat16PSP_PKlPlN2at6native12_GLOBAL__N_18offset_tEEE10hipError_tPvRmT1_PNSt15iterator_traitsIS13_E10value_typeET2_T3_PNS14_IS19_E10value_typeET4_jRbjT5_S1F_jjP12ihipStream_tbEUljE_ZNSN_ISO_Lb1ESR_SS_SU_SV_SZ_EES10_S11_S12_S13_S17_S18_S19_S1C_S1D_jS1E_jS1F_S1F_jjS1H_bEUljE0_EEES10_S11_S12_S19_S1D_S1F_T6_T7_T9_mT8_S1H_bDpT10_ENKUlT_T0_E_clISt17integral_constantIbLb1EES1U_IbLb0EEEEDaS1Q_S1R_EUlS1Q_E_NS1_11comp_targetILNS1_3genE5ELNS1_11target_archE942ELNS1_3gpuE9ELNS1_3repE0EEENS1_30default_config_static_selectorELNS0_4arch9wavefront6targetE1EEEvS13_,@function
_ZN7rocprim17ROCPRIM_400000_NS6detail17trampoline_kernelINS0_13select_configILj256ELj13ELNS0_17block_load_methodE3ELS4_3ELS4_3ELNS0_20block_scan_algorithmE0ELj4294967295EEENS1_25partition_config_selectorILNS1_17partition_subalgoE4EjNS0_10empty_typeEbEEZZNS1_14partition_implILS8_4ELb0ES6_15HIP_vector_typeIjLj2EENS0_17counting_iteratorIjlEEPS9_SG_NS0_5tupleIJPjSI_NS0_16reverse_iteratorISI_EEEEENSH_IJSG_SG_SG_EEES9_SI_JZNS1_25segmented_radix_sort_implINS0_14default_configELb1EPK12hip_bfloat16PSP_PKlPlN2at6native12_GLOBAL__N_18offset_tEEE10hipError_tPvRmT1_PNSt15iterator_traitsIS13_E10value_typeET2_T3_PNS14_IS19_E10value_typeET4_jRbjT5_S1F_jjP12ihipStream_tbEUljE_ZNSN_ISO_Lb1ESR_SS_SU_SV_SZ_EES10_S11_S12_S13_S17_S18_S19_S1C_S1D_jS1E_jS1F_S1F_jjS1H_bEUljE0_EEES10_S11_S12_S19_S1D_S1F_T6_T7_T9_mT8_S1H_bDpT10_ENKUlT_T0_E_clISt17integral_constantIbLb1EES1U_IbLb0EEEEDaS1Q_S1R_EUlS1Q_E_NS1_11comp_targetILNS1_3genE5ELNS1_11target_archE942ELNS1_3gpuE9ELNS1_3repE0EEENS1_30default_config_static_selectorELNS0_4arch9wavefront6targetE1EEEvS13_: ; @_ZN7rocprim17ROCPRIM_400000_NS6detail17trampoline_kernelINS0_13select_configILj256ELj13ELNS0_17block_load_methodE3ELS4_3ELS4_3ELNS0_20block_scan_algorithmE0ELj4294967295EEENS1_25partition_config_selectorILNS1_17partition_subalgoE4EjNS0_10empty_typeEbEEZZNS1_14partition_implILS8_4ELb0ES6_15HIP_vector_typeIjLj2EENS0_17counting_iteratorIjlEEPS9_SG_NS0_5tupleIJPjSI_NS0_16reverse_iteratorISI_EEEEENSH_IJSG_SG_SG_EEES9_SI_JZNS1_25segmented_radix_sort_implINS0_14default_configELb1EPK12hip_bfloat16PSP_PKlPlN2at6native12_GLOBAL__N_18offset_tEEE10hipError_tPvRmT1_PNSt15iterator_traitsIS13_E10value_typeET2_T3_PNS14_IS19_E10value_typeET4_jRbjT5_S1F_jjP12ihipStream_tbEUljE_ZNSN_ISO_Lb1ESR_SS_SU_SV_SZ_EES10_S11_S12_S13_S17_S18_S19_S1C_S1D_jS1E_jS1F_S1F_jjS1H_bEUljE0_EEES10_S11_S12_S19_S1D_S1F_T6_T7_T9_mT8_S1H_bDpT10_ENKUlT_T0_E_clISt17integral_constantIbLb1EES1U_IbLb0EEEEDaS1Q_S1R_EUlS1Q_E_NS1_11comp_targetILNS1_3genE5ELNS1_11target_archE942ELNS1_3gpuE9ELNS1_3repE0EEENS1_30default_config_static_selectorELNS0_4arch9wavefront6targetE1EEEvS13_
; %bb.0:
	.section	.rodata,"a",@progbits
	.p2align	6, 0x0
	.amdhsa_kernel _ZN7rocprim17ROCPRIM_400000_NS6detail17trampoline_kernelINS0_13select_configILj256ELj13ELNS0_17block_load_methodE3ELS4_3ELS4_3ELNS0_20block_scan_algorithmE0ELj4294967295EEENS1_25partition_config_selectorILNS1_17partition_subalgoE4EjNS0_10empty_typeEbEEZZNS1_14partition_implILS8_4ELb0ES6_15HIP_vector_typeIjLj2EENS0_17counting_iteratorIjlEEPS9_SG_NS0_5tupleIJPjSI_NS0_16reverse_iteratorISI_EEEEENSH_IJSG_SG_SG_EEES9_SI_JZNS1_25segmented_radix_sort_implINS0_14default_configELb1EPK12hip_bfloat16PSP_PKlPlN2at6native12_GLOBAL__N_18offset_tEEE10hipError_tPvRmT1_PNSt15iterator_traitsIS13_E10value_typeET2_T3_PNS14_IS19_E10value_typeET4_jRbjT5_S1F_jjP12ihipStream_tbEUljE_ZNSN_ISO_Lb1ESR_SS_SU_SV_SZ_EES10_S11_S12_S13_S17_S18_S19_S1C_S1D_jS1E_jS1F_S1F_jjS1H_bEUljE0_EEES10_S11_S12_S19_S1D_S1F_T6_T7_T9_mT8_S1H_bDpT10_ENKUlT_T0_E_clISt17integral_constantIbLb1EES1U_IbLb0EEEEDaS1Q_S1R_EUlS1Q_E_NS1_11comp_targetILNS1_3genE5ELNS1_11target_archE942ELNS1_3gpuE9ELNS1_3repE0EEENS1_30default_config_static_selectorELNS0_4arch9wavefront6targetE1EEEvS13_
		.amdhsa_group_segment_fixed_size 0
		.amdhsa_private_segment_fixed_size 0
		.amdhsa_kernarg_size 176
		.amdhsa_user_sgpr_count 6
		.amdhsa_user_sgpr_private_segment_buffer 1
		.amdhsa_user_sgpr_dispatch_ptr 0
		.amdhsa_user_sgpr_queue_ptr 0
		.amdhsa_user_sgpr_kernarg_segment_ptr 1
		.amdhsa_user_sgpr_dispatch_id 0
		.amdhsa_user_sgpr_flat_scratch_init 0
		.amdhsa_user_sgpr_private_segment_size 0
		.amdhsa_uses_dynamic_stack 0
		.amdhsa_system_sgpr_private_segment_wavefront_offset 0
		.amdhsa_system_sgpr_workgroup_id_x 1
		.amdhsa_system_sgpr_workgroup_id_y 0
		.amdhsa_system_sgpr_workgroup_id_z 0
		.amdhsa_system_sgpr_workgroup_info 0
		.amdhsa_system_vgpr_workitem_id 0
		.amdhsa_next_free_vgpr 1
		.amdhsa_next_free_sgpr 0
		.amdhsa_reserve_vcc 0
		.amdhsa_reserve_flat_scratch 0
		.amdhsa_float_round_mode_32 0
		.amdhsa_float_round_mode_16_64 0
		.amdhsa_float_denorm_mode_32 3
		.amdhsa_float_denorm_mode_16_64 3
		.amdhsa_dx10_clamp 1
		.amdhsa_ieee_mode 1
		.amdhsa_fp16_overflow 0
		.amdhsa_exception_fp_ieee_invalid_op 0
		.amdhsa_exception_fp_denorm_src 0
		.amdhsa_exception_fp_ieee_div_zero 0
		.amdhsa_exception_fp_ieee_overflow 0
		.amdhsa_exception_fp_ieee_underflow 0
		.amdhsa_exception_fp_ieee_inexact 0
		.amdhsa_exception_int_div_zero 0
	.end_amdhsa_kernel
	.section	.text._ZN7rocprim17ROCPRIM_400000_NS6detail17trampoline_kernelINS0_13select_configILj256ELj13ELNS0_17block_load_methodE3ELS4_3ELS4_3ELNS0_20block_scan_algorithmE0ELj4294967295EEENS1_25partition_config_selectorILNS1_17partition_subalgoE4EjNS0_10empty_typeEbEEZZNS1_14partition_implILS8_4ELb0ES6_15HIP_vector_typeIjLj2EENS0_17counting_iteratorIjlEEPS9_SG_NS0_5tupleIJPjSI_NS0_16reverse_iteratorISI_EEEEENSH_IJSG_SG_SG_EEES9_SI_JZNS1_25segmented_radix_sort_implINS0_14default_configELb1EPK12hip_bfloat16PSP_PKlPlN2at6native12_GLOBAL__N_18offset_tEEE10hipError_tPvRmT1_PNSt15iterator_traitsIS13_E10value_typeET2_T3_PNS14_IS19_E10value_typeET4_jRbjT5_S1F_jjP12ihipStream_tbEUljE_ZNSN_ISO_Lb1ESR_SS_SU_SV_SZ_EES10_S11_S12_S13_S17_S18_S19_S1C_S1D_jS1E_jS1F_S1F_jjS1H_bEUljE0_EEES10_S11_S12_S19_S1D_S1F_T6_T7_T9_mT8_S1H_bDpT10_ENKUlT_T0_E_clISt17integral_constantIbLb1EES1U_IbLb0EEEEDaS1Q_S1R_EUlS1Q_E_NS1_11comp_targetILNS1_3genE5ELNS1_11target_archE942ELNS1_3gpuE9ELNS1_3repE0EEENS1_30default_config_static_selectorELNS0_4arch9wavefront6targetE1EEEvS13_,"axG",@progbits,_ZN7rocprim17ROCPRIM_400000_NS6detail17trampoline_kernelINS0_13select_configILj256ELj13ELNS0_17block_load_methodE3ELS4_3ELS4_3ELNS0_20block_scan_algorithmE0ELj4294967295EEENS1_25partition_config_selectorILNS1_17partition_subalgoE4EjNS0_10empty_typeEbEEZZNS1_14partition_implILS8_4ELb0ES6_15HIP_vector_typeIjLj2EENS0_17counting_iteratorIjlEEPS9_SG_NS0_5tupleIJPjSI_NS0_16reverse_iteratorISI_EEEEENSH_IJSG_SG_SG_EEES9_SI_JZNS1_25segmented_radix_sort_implINS0_14default_configELb1EPK12hip_bfloat16PSP_PKlPlN2at6native12_GLOBAL__N_18offset_tEEE10hipError_tPvRmT1_PNSt15iterator_traitsIS13_E10value_typeET2_T3_PNS14_IS19_E10value_typeET4_jRbjT5_S1F_jjP12ihipStream_tbEUljE_ZNSN_ISO_Lb1ESR_SS_SU_SV_SZ_EES10_S11_S12_S13_S17_S18_S19_S1C_S1D_jS1E_jS1F_S1F_jjS1H_bEUljE0_EEES10_S11_S12_S19_S1D_S1F_T6_T7_T9_mT8_S1H_bDpT10_ENKUlT_T0_E_clISt17integral_constantIbLb1EES1U_IbLb0EEEEDaS1Q_S1R_EUlS1Q_E_NS1_11comp_targetILNS1_3genE5ELNS1_11target_archE942ELNS1_3gpuE9ELNS1_3repE0EEENS1_30default_config_static_selectorELNS0_4arch9wavefront6targetE1EEEvS13_,comdat
.Lfunc_end1899:
	.size	_ZN7rocprim17ROCPRIM_400000_NS6detail17trampoline_kernelINS0_13select_configILj256ELj13ELNS0_17block_load_methodE3ELS4_3ELS4_3ELNS0_20block_scan_algorithmE0ELj4294967295EEENS1_25partition_config_selectorILNS1_17partition_subalgoE4EjNS0_10empty_typeEbEEZZNS1_14partition_implILS8_4ELb0ES6_15HIP_vector_typeIjLj2EENS0_17counting_iteratorIjlEEPS9_SG_NS0_5tupleIJPjSI_NS0_16reverse_iteratorISI_EEEEENSH_IJSG_SG_SG_EEES9_SI_JZNS1_25segmented_radix_sort_implINS0_14default_configELb1EPK12hip_bfloat16PSP_PKlPlN2at6native12_GLOBAL__N_18offset_tEEE10hipError_tPvRmT1_PNSt15iterator_traitsIS13_E10value_typeET2_T3_PNS14_IS19_E10value_typeET4_jRbjT5_S1F_jjP12ihipStream_tbEUljE_ZNSN_ISO_Lb1ESR_SS_SU_SV_SZ_EES10_S11_S12_S13_S17_S18_S19_S1C_S1D_jS1E_jS1F_S1F_jjS1H_bEUljE0_EEES10_S11_S12_S19_S1D_S1F_T6_T7_T9_mT8_S1H_bDpT10_ENKUlT_T0_E_clISt17integral_constantIbLb1EES1U_IbLb0EEEEDaS1Q_S1R_EUlS1Q_E_NS1_11comp_targetILNS1_3genE5ELNS1_11target_archE942ELNS1_3gpuE9ELNS1_3repE0EEENS1_30default_config_static_selectorELNS0_4arch9wavefront6targetE1EEEvS13_, .Lfunc_end1899-_ZN7rocprim17ROCPRIM_400000_NS6detail17trampoline_kernelINS0_13select_configILj256ELj13ELNS0_17block_load_methodE3ELS4_3ELS4_3ELNS0_20block_scan_algorithmE0ELj4294967295EEENS1_25partition_config_selectorILNS1_17partition_subalgoE4EjNS0_10empty_typeEbEEZZNS1_14partition_implILS8_4ELb0ES6_15HIP_vector_typeIjLj2EENS0_17counting_iteratorIjlEEPS9_SG_NS0_5tupleIJPjSI_NS0_16reverse_iteratorISI_EEEEENSH_IJSG_SG_SG_EEES9_SI_JZNS1_25segmented_radix_sort_implINS0_14default_configELb1EPK12hip_bfloat16PSP_PKlPlN2at6native12_GLOBAL__N_18offset_tEEE10hipError_tPvRmT1_PNSt15iterator_traitsIS13_E10value_typeET2_T3_PNS14_IS19_E10value_typeET4_jRbjT5_S1F_jjP12ihipStream_tbEUljE_ZNSN_ISO_Lb1ESR_SS_SU_SV_SZ_EES10_S11_S12_S13_S17_S18_S19_S1C_S1D_jS1E_jS1F_S1F_jjS1H_bEUljE0_EEES10_S11_S12_S19_S1D_S1F_T6_T7_T9_mT8_S1H_bDpT10_ENKUlT_T0_E_clISt17integral_constantIbLb1EES1U_IbLb0EEEEDaS1Q_S1R_EUlS1Q_E_NS1_11comp_targetILNS1_3genE5ELNS1_11target_archE942ELNS1_3gpuE9ELNS1_3repE0EEENS1_30default_config_static_selectorELNS0_4arch9wavefront6targetE1EEEvS13_
                                        ; -- End function
	.set _ZN7rocprim17ROCPRIM_400000_NS6detail17trampoline_kernelINS0_13select_configILj256ELj13ELNS0_17block_load_methodE3ELS4_3ELS4_3ELNS0_20block_scan_algorithmE0ELj4294967295EEENS1_25partition_config_selectorILNS1_17partition_subalgoE4EjNS0_10empty_typeEbEEZZNS1_14partition_implILS8_4ELb0ES6_15HIP_vector_typeIjLj2EENS0_17counting_iteratorIjlEEPS9_SG_NS0_5tupleIJPjSI_NS0_16reverse_iteratorISI_EEEEENSH_IJSG_SG_SG_EEES9_SI_JZNS1_25segmented_radix_sort_implINS0_14default_configELb1EPK12hip_bfloat16PSP_PKlPlN2at6native12_GLOBAL__N_18offset_tEEE10hipError_tPvRmT1_PNSt15iterator_traitsIS13_E10value_typeET2_T3_PNS14_IS19_E10value_typeET4_jRbjT5_S1F_jjP12ihipStream_tbEUljE_ZNSN_ISO_Lb1ESR_SS_SU_SV_SZ_EES10_S11_S12_S13_S17_S18_S19_S1C_S1D_jS1E_jS1F_S1F_jjS1H_bEUljE0_EEES10_S11_S12_S19_S1D_S1F_T6_T7_T9_mT8_S1H_bDpT10_ENKUlT_T0_E_clISt17integral_constantIbLb1EES1U_IbLb0EEEEDaS1Q_S1R_EUlS1Q_E_NS1_11comp_targetILNS1_3genE5ELNS1_11target_archE942ELNS1_3gpuE9ELNS1_3repE0EEENS1_30default_config_static_selectorELNS0_4arch9wavefront6targetE1EEEvS13_.num_vgpr, 0
	.set _ZN7rocprim17ROCPRIM_400000_NS6detail17trampoline_kernelINS0_13select_configILj256ELj13ELNS0_17block_load_methodE3ELS4_3ELS4_3ELNS0_20block_scan_algorithmE0ELj4294967295EEENS1_25partition_config_selectorILNS1_17partition_subalgoE4EjNS0_10empty_typeEbEEZZNS1_14partition_implILS8_4ELb0ES6_15HIP_vector_typeIjLj2EENS0_17counting_iteratorIjlEEPS9_SG_NS0_5tupleIJPjSI_NS0_16reverse_iteratorISI_EEEEENSH_IJSG_SG_SG_EEES9_SI_JZNS1_25segmented_radix_sort_implINS0_14default_configELb1EPK12hip_bfloat16PSP_PKlPlN2at6native12_GLOBAL__N_18offset_tEEE10hipError_tPvRmT1_PNSt15iterator_traitsIS13_E10value_typeET2_T3_PNS14_IS19_E10value_typeET4_jRbjT5_S1F_jjP12ihipStream_tbEUljE_ZNSN_ISO_Lb1ESR_SS_SU_SV_SZ_EES10_S11_S12_S13_S17_S18_S19_S1C_S1D_jS1E_jS1F_S1F_jjS1H_bEUljE0_EEES10_S11_S12_S19_S1D_S1F_T6_T7_T9_mT8_S1H_bDpT10_ENKUlT_T0_E_clISt17integral_constantIbLb1EES1U_IbLb0EEEEDaS1Q_S1R_EUlS1Q_E_NS1_11comp_targetILNS1_3genE5ELNS1_11target_archE942ELNS1_3gpuE9ELNS1_3repE0EEENS1_30default_config_static_selectorELNS0_4arch9wavefront6targetE1EEEvS13_.num_agpr, 0
	.set _ZN7rocprim17ROCPRIM_400000_NS6detail17trampoline_kernelINS0_13select_configILj256ELj13ELNS0_17block_load_methodE3ELS4_3ELS4_3ELNS0_20block_scan_algorithmE0ELj4294967295EEENS1_25partition_config_selectorILNS1_17partition_subalgoE4EjNS0_10empty_typeEbEEZZNS1_14partition_implILS8_4ELb0ES6_15HIP_vector_typeIjLj2EENS0_17counting_iteratorIjlEEPS9_SG_NS0_5tupleIJPjSI_NS0_16reverse_iteratorISI_EEEEENSH_IJSG_SG_SG_EEES9_SI_JZNS1_25segmented_radix_sort_implINS0_14default_configELb1EPK12hip_bfloat16PSP_PKlPlN2at6native12_GLOBAL__N_18offset_tEEE10hipError_tPvRmT1_PNSt15iterator_traitsIS13_E10value_typeET2_T3_PNS14_IS19_E10value_typeET4_jRbjT5_S1F_jjP12ihipStream_tbEUljE_ZNSN_ISO_Lb1ESR_SS_SU_SV_SZ_EES10_S11_S12_S13_S17_S18_S19_S1C_S1D_jS1E_jS1F_S1F_jjS1H_bEUljE0_EEES10_S11_S12_S19_S1D_S1F_T6_T7_T9_mT8_S1H_bDpT10_ENKUlT_T0_E_clISt17integral_constantIbLb1EES1U_IbLb0EEEEDaS1Q_S1R_EUlS1Q_E_NS1_11comp_targetILNS1_3genE5ELNS1_11target_archE942ELNS1_3gpuE9ELNS1_3repE0EEENS1_30default_config_static_selectorELNS0_4arch9wavefront6targetE1EEEvS13_.numbered_sgpr, 0
	.set _ZN7rocprim17ROCPRIM_400000_NS6detail17trampoline_kernelINS0_13select_configILj256ELj13ELNS0_17block_load_methodE3ELS4_3ELS4_3ELNS0_20block_scan_algorithmE0ELj4294967295EEENS1_25partition_config_selectorILNS1_17partition_subalgoE4EjNS0_10empty_typeEbEEZZNS1_14partition_implILS8_4ELb0ES6_15HIP_vector_typeIjLj2EENS0_17counting_iteratorIjlEEPS9_SG_NS0_5tupleIJPjSI_NS0_16reverse_iteratorISI_EEEEENSH_IJSG_SG_SG_EEES9_SI_JZNS1_25segmented_radix_sort_implINS0_14default_configELb1EPK12hip_bfloat16PSP_PKlPlN2at6native12_GLOBAL__N_18offset_tEEE10hipError_tPvRmT1_PNSt15iterator_traitsIS13_E10value_typeET2_T3_PNS14_IS19_E10value_typeET4_jRbjT5_S1F_jjP12ihipStream_tbEUljE_ZNSN_ISO_Lb1ESR_SS_SU_SV_SZ_EES10_S11_S12_S13_S17_S18_S19_S1C_S1D_jS1E_jS1F_S1F_jjS1H_bEUljE0_EEES10_S11_S12_S19_S1D_S1F_T6_T7_T9_mT8_S1H_bDpT10_ENKUlT_T0_E_clISt17integral_constantIbLb1EES1U_IbLb0EEEEDaS1Q_S1R_EUlS1Q_E_NS1_11comp_targetILNS1_3genE5ELNS1_11target_archE942ELNS1_3gpuE9ELNS1_3repE0EEENS1_30default_config_static_selectorELNS0_4arch9wavefront6targetE1EEEvS13_.num_named_barrier, 0
	.set _ZN7rocprim17ROCPRIM_400000_NS6detail17trampoline_kernelINS0_13select_configILj256ELj13ELNS0_17block_load_methodE3ELS4_3ELS4_3ELNS0_20block_scan_algorithmE0ELj4294967295EEENS1_25partition_config_selectorILNS1_17partition_subalgoE4EjNS0_10empty_typeEbEEZZNS1_14partition_implILS8_4ELb0ES6_15HIP_vector_typeIjLj2EENS0_17counting_iteratorIjlEEPS9_SG_NS0_5tupleIJPjSI_NS0_16reverse_iteratorISI_EEEEENSH_IJSG_SG_SG_EEES9_SI_JZNS1_25segmented_radix_sort_implINS0_14default_configELb1EPK12hip_bfloat16PSP_PKlPlN2at6native12_GLOBAL__N_18offset_tEEE10hipError_tPvRmT1_PNSt15iterator_traitsIS13_E10value_typeET2_T3_PNS14_IS19_E10value_typeET4_jRbjT5_S1F_jjP12ihipStream_tbEUljE_ZNSN_ISO_Lb1ESR_SS_SU_SV_SZ_EES10_S11_S12_S13_S17_S18_S19_S1C_S1D_jS1E_jS1F_S1F_jjS1H_bEUljE0_EEES10_S11_S12_S19_S1D_S1F_T6_T7_T9_mT8_S1H_bDpT10_ENKUlT_T0_E_clISt17integral_constantIbLb1EES1U_IbLb0EEEEDaS1Q_S1R_EUlS1Q_E_NS1_11comp_targetILNS1_3genE5ELNS1_11target_archE942ELNS1_3gpuE9ELNS1_3repE0EEENS1_30default_config_static_selectorELNS0_4arch9wavefront6targetE1EEEvS13_.private_seg_size, 0
	.set _ZN7rocprim17ROCPRIM_400000_NS6detail17trampoline_kernelINS0_13select_configILj256ELj13ELNS0_17block_load_methodE3ELS4_3ELS4_3ELNS0_20block_scan_algorithmE0ELj4294967295EEENS1_25partition_config_selectorILNS1_17partition_subalgoE4EjNS0_10empty_typeEbEEZZNS1_14partition_implILS8_4ELb0ES6_15HIP_vector_typeIjLj2EENS0_17counting_iteratorIjlEEPS9_SG_NS0_5tupleIJPjSI_NS0_16reverse_iteratorISI_EEEEENSH_IJSG_SG_SG_EEES9_SI_JZNS1_25segmented_radix_sort_implINS0_14default_configELb1EPK12hip_bfloat16PSP_PKlPlN2at6native12_GLOBAL__N_18offset_tEEE10hipError_tPvRmT1_PNSt15iterator_traitsIS13_E10value_typeET2_T3_PNS14_IS19_E10value_typeET4_jRbjT5_S1F_jjP12ihipStream_tbEUljE_ZNSN_ISO_Lb1ESR_SS_SU_SV_SZ_EES10_S11_S12_S13_S17_S18_S19_S1C_S1D_jS1E_jS1F_S1F_jjS1H_bEUljE0_EEES10_S11_S12_S19_S1D_S1F_T6_T7_T9_mT8_S1H_bDpT10_ENKUlT_T0_E_clISt17integral_constantIbLb1EES1U_IbLb0EEEEDaS1Q_S1R_EUlS1Q_E_NS1_11comp_targetILNS1_3genE5ELNS1_11target_archE942ELNS1_3gpuE9ELNS1_3repE0EEENS1_30default_config_static_selectorELNS0_4arch9wavefront6targetE1EEEvS13_.uses_vcc, 0
	.set _ZN7rocprim17ROCPRIM_400000_NS6detail17trampoline_kernelINS0_13select_configILj256ELj13ELNS0_17block_load_methodE3ELS4_3ELS4_3ELNS0_20block_scan_algorithmE0ELj4294967295EEENS1_25partition_config_selectorILNS1_17partition_subalgoE4EjNS0_10empty_typeEbEEZZNS1_14partition_implILS8_4ELb0ES6_15HIP_vector_typeIjLj2EENS0_17counting_iteratorIjlEEPS9_SG_NS0_5tupleIJPjSI_NS0_16reverse_iteratorISI_EEEEENSH_IJSG_SG_SG_EEES9_SI_JZNS1_25segmented_radix_sort_implINS0_14default_configELb1EPK12hip_bfloat16PSP_PKlPlN2at6native12_GLOBAL__N_18offset_tEEE10hipError_tPvRmT1_PNSt15iterator_traitsIS13_E10value_typeET2_T3_PNS14_IS19_E10value_typeET4_jRbjT5_S1F_jjP12ihipStream_tbEUljE_ZNSN_ISO_Lb1ESR_SS_SU_SV_SZ_EES10_S11_S12_S13_S17_S18_S19_S1C_S1D_jS1E_jS1F_S1F_jjS1H_bEUljE0_EEES10_S11_S12_S19_S1D_S1F_T6_T7_T9_mT8_S1H_bDpT10_ENKUlT_T0_E_clISt17integral_constantIbLb1EES1U_IbLb0EEEEDaS1Q_S1R_EUlS1Q_E_NS1_11comp_targetILNS1_3genE5ELNS1_11target_archE942ELNS1_3gpuE9ELNS1_3repE0EEENS1_30default_config_static_selectorELNS0_4arch9wavefront6targetE1EEEvS13_.uses_flat_scratch, 0
	.set _ZN7rocprim17ROCPRIM_400000_NS6detail17trampoline_kernelINS0_13select_configILj256ELj13ELNS0_17block_load_methodE3ELS4_3ELS4_3ELNS0_20block_scan_algorithmE0ELj4294967295EEENS1_25partition_config_selectorILNS1_17partition_subalgoE4EjNS0_10empty_typeEbEEZZNS1_14partition_implILS8_4ELb0ES6_15HIP_vector_typeIjLj2EENS0_17counting_iteratorIjlEEPS9_SG_NS0_5tupleIJPjSI_NS0_16reverse_iteratorISI_EEEEENSH_IJSG_SG_SG_EEES9_SI_JZNS1_25segmented_radix_sort_implINS0_14default_configELb1EPK12hip_bfloat16PSP_PKlPlN2at6native12_GLOBAL__N_18offset_tEEE10hipError_tPvRmT1_PNSt15iterator_traitsIS13_E10value_typeET2_T3_PNS14_IS19_E10value_typeET4_jRbjT5_S1F_jjP12ihipStream_tbEUljE_ZNSN_ISO_Lb1ESR_SS_SU_SV_SZ_EES10_S11_S12_S13_S17_S18_S19_S1C_S1D_jS1E_jS1F_S1F_jjS1H_bEUljE0_EEES10_S11_S12_S19_S1D_S1F_T6_T7_T9_mT8_S1H_bDpT10_ENKUlT_T0_E_clISt17integral_constantIbLb1EES1U_IbLb0EEEEDaS1Q_S1R_EUlS1Q_E_NS1_11comp_targetILNS1_3genE5ELNS1_11target_archE942ELNS1_3gpuE9ELNS1_3repE0EEENS1_30default_config_static_selectorELNS0_4arch9wavefront6targetE1EEEvS13_.has_dyn_sized_stack, 0
	.set _ZN7rocprim17ROCPRIM_400000_NS6detail17trampoline_kernelINS0_13select_configILj256ELj13ELNS0_17block_load_methodE3ELS4_3ELS4_3ELNS0_20block_scan_algorithmE0ELj4294967295EEENS1_25partition_config_selectorILNS1_17partition_subalgoE4EjNS0_10empty_typeEbEEZZNS1_14partition_implILS8_4ELb0ES6_15HIP_vector_typeIjLj2EENS0_17counting_iteratorIjlEEPS9_SG_NS0_5tupleIJPjSI_NS0_16reverse_iteratorISI_EEEEENSH_IJSG_SG_SG_EEES9_SI_JZNS1_25segmented_radix_sort_implINS0_14default_configELb1EPK12hip_bfloat16PSP_PKlPlN2at6native12_GLOBAL__N_18offset_tEEE10hipError_tPvRmT1_PNSt15iterator_traitsIS13_E10value_typeET2_T3_PNS14_IS19_E10value_typeET4_jRbjT5_S1F_jjP12ihipStream_tbEUljE_ZNSN_ISO_Lb1ESR_SS_SU_SV_SZ_EES10_S11_S12_S13_S17_S18_S19_S1C_S1D_jS1E_jS1F_S1F_jjS1H_bEUljE0_EEES10_S11_S12_S19_S1D_S1F_T6_T7_T9_mT8_S1H_bDpT10_ENKUlT_T0_E_clISt17integral_constantIbLb1EES1U_IbLb0EEEEDaS1Q_S1R_EUlS1Q_E_NS1_11comp_targetILNS1_3genE5ELNS1_11target_archE942ELNS1_3gpuE9ELNS1_3repE0EEENS1_30default_config_static_selectorELNS0_4arch9wavefront6targetE1EEEvS13_.has_recursion, 0
	.set _ZN7rocprim17ROCPRIM_400000_NS6detail17trampoline_kernelINS0_13select_configILj256ELj13ELNS0_17block_load_methodE3ELS4_3ELS4_3ELNS0_20block_scan_algorithmE0ELj4294967295EEENS1_25partition_config_selectorILNS1_17partition_subalgoE4EjNS0_10empty_typeEbEEZZNS1_14partition_implILS8_4ELb0ES6_15HIP_vector_typeIjLj2EENS0_17counting_iteratorIjlEEPS9_SG_NS0_5tupleIJPjSI_NS0_16reverse_iteratorISI_EEEEENSH_IJSG_SG_SG_EEES9_SI_JZNS1_25segmented_radix_sort_implINS0_14default_configELb1EPK12hip_bfloat16PSP_PKlPlN2at6native12_GLOBAL__N_18offset_tEEE10hipError_tPvRmT1_PNSt15iterator_traitsIS13_E10value_typeET2_T3_PNS14_IS19_E10value_typeET4_jRbjT5_S1F_jjP12ihipStream_tbEUljE_ZNSN_ISO_Lb1ESR_SS_SU_SV_SZ_EES10_S11_S12_S13_S17_S18_S19_S1C_S1D_jS1E_jS1F_S1F_jjS1H_bEUljE0_EEES10_S11_S12_S19_S1D_S1F_T6_T7_T9_mT8_S1H_bDpT10_ENKUlT_T0_E_clISt17integral_constantIbLb1EES1U_IbLb0EEEEDaS1Q_S1R_EUlS1Q_E_NS1_11comp_targetILNS1_3genE5ELNS1_11target_archE942ELNS1_3gpuE9ELNS1_3repE0EEENS1_30default_config_static_selectorELNS0_4arch9wavefront6targetE1EEEvS13_.has_indirect_call, 0
	.section	.AMDGPU.csdata,"",@progbits
; Kernel info:
; codeLenInByte = 0
; TotalNumSgprs: 4
; NumVgprs: 0
; ScratchSize: 0
; MemoryBound: 0
; FloatMode: 240
; IeeeMode: 1
; LDSByteSize: 0 bytes/workgroup (compile time only)
; SGPRBlocks: 0
; VGPRBlocks: 0
; NumSGPRsForWavesPerEU: 4
; NumVGPRsForWavesPerEU: 1
; Occupancy: 10
; WaveLimiterHint : 0
; COMPUTE_PGM_RSRC2:SCRATCH_EN: 0
; COMPUTE_PGM_RSRC2:USER_SGPR: 6
; COMPUTE_PGM_RSRC2:TRAP_HANDLER: 0
; COMPUTE_PGM_RSRC2:TGID_X_EN: 1
; COMPUTE_PGM_RSRC2:TGID_Y_EN: 0
; COMPUTE_PGM_RSRC2:TGID_Z_EN: 0
; COMPUTE_PGM_RSRC2:TIDIG_COMP_CNT: 0
	.section	.text._ZN7rocprim17ROCPRIM_400000_NS6detail17trampoline_kernelINS0_13select_configILj256ELj13ELNS0_17block_load_methodE3ELS4_3ELS4_3ELNS0_20block_scan_algorithmE0ELj4294967295EEENS1_25partition_config_selectorILNS1_17partition_subalgoE4EjNS0_10empty_typeEbEEZZNS1_14partition_implILS8_4ELb0ES6_15HIP_vector_typeIjLj2EENS0_17counting_iteratorIjlEEPS9_SG_NS0_5tupleIJPjSI_NS0_16reverse_iteratorISI_EEEEENSH_IJSG_SG_SG_EEES9_SI_JZNS1_25segmented_radix_sort_implINS0_14default_configELb1EPK12hip_bfloat16PSP_PKlPlN2at6native12_GLOBAL__N_18offset_tEEE10hipError_tPvRmT1_PNSt15iterator_traitsIS13_E10value_typeET2_T3_PNS14_IS19_E10value_typeET4_jRbjT5_S1F_jjP12ihipStream_tbEUljE_ZNSN_ISO_Lb1ESR_SS_SU_SV_SZ_EES10_S11_S12_S13_S17_S18_S19_S1C_S1D_jS1E_jS1F_S1F_jjS1H_bEUljE0_EEES10_S11_S12_S19_S1D_S1F_T6_T7_T9_mT8_S1H_bDpT10_ENKUlT_T0_E_clISt17integral_constantIbLb1EES1U_IbLb0EEEEDaS1Q_S1R_EUlS1Q_E_NS1_11comp_targetILNS1_3genE4ELNS1_11target_archE910ELNS1_3gpuE8ELNS1_3repE0EEENS1_30default_config_static_selectorELNS0_4arch9wavefront6targetE1EEEvS13_,"axG",@progbits,_ZN7rocprim17ROCPRIM_400000_NS6detail17trampoline_kernelINS0_13select_configILj256ELj13ELNS0_17block_load_methodE3ELS4_3ELS4_3ELNS0_20block_scan_algorithmE0ELj4294967295EEENS1_25partition_config_selectorILNS1_17partition_subalgoE4EjNS0_10empty_typeEbEEZZNS1_14partition_implILS8_4ELb0ES6_15HIP_vector_typeIjLj2EENS0_17counting_iteratorIjlEEPS9_SG_NS0_5tupleIJPjSI_NS0_16reverse_iteratorISI_EEEEENSH_IJSG_SG_SG_EEES9_SI_JZNS1_25segmented_radix_sort_implINS0_14default_configELb1EPK12hip_bfloat16PSP_PKlPlN2at6native12_GLOBAL__N_18offset_tEEE10hipError_tPvRmT1_PNSt15iterator_traitsIS13_E10value_typeET2_T3_PNS14_IS19_E10value_typeET4_jRbjT5_S1F_jjP12ihipStream_tbEUljE_ZNSN_ISO_Lb1ESR_SS_SU_SV_SZ_EES10_S11_S12_S13_S17_S18_S19_S1C_S1D_jS1E_jS1F_S1F_jjS1H_bEUljE0_EEES10_S11_S12_S19_S1D_S1F_T6_T7_T9_mT8_S1H_bDpT10_ENKUlT_T0_E_clISt17integral_constantIbLb1EES1U_IbLb0EEEEDaS1Q_S1R_EUlS1Q_E_NS1_11comp_targetILNS1_3genE4ELNS1_11target_archE910ELNS1_3gpuE8ELNS1_3repE0EEENS1_30default_config_static_selectorELNS0_4arch9wavefront6targetE1EEEvS13_,comdat
	.globl	_ZN7rocprim17ROCPRIM_400000_NS6detail17trampoline_kernelINS0_13select_configILj256ELj13ELNS0_17block_load_methodE3ELS4_3ELS4_3ELNS0_20block_scan_algorithmE0ELj4294967295EEENS1_25partition_config_selectorILNS1_17partition_subalgoE4EjNS0_10empty_typeEbEEZZNS1_14partition_implILS8_4ELb0ES6_15HIP_vector_typeIjLj2EENS0_17counting_iteratorIjlEEPS9_SG_NS0_5tupleIJPjSI_NS0_16reverse_iteratorISI_EEEEENSH_IJSG_SG_SG_EEES9_SI_JZNS1_25segmented_radix_sort_implINS0_14default_configELb1EPK12hip_bfloat16PSP_PKlPlN2at6native12_GLOBAL__N_18offset_tEEE10hipError_tPvRmT1_PNSt15iterator_traitsIS13_E10value_typeET2_T3_PNS14_IS19_E10value_typeET4_jRbjT5_S1F_jjP12ihipStream_tbEUljE_ZNSN_ISO_Lb1ESR_SS_SU_SV_SZ_EES10_S11_S12_S13_S17_S18_S19_S1C_S1D_jS1E_jS1F_S1F_jjS1H_bEUljE0_EEES10_S11_S12_S19_S1D_S1F_T6_T7_T9_mT8_S1H_bDpT10_ENKUlT_T0_E_clISt17integral_constantIbLb1EES1U_IbLb0EEEEDaS1Q_S1R_EUlS1Q_E_NS1_11comp_targetILNS1_3genE4ELNS1_11target_archE910ELNS1_3gpuE8ELNS1_3repE0EEENS1_30default_config_static_selectorELNS0_4arch9wavefront6targetE1EEEvS13_ ; -- Begin function _ZN7rocprim17ROCPRIM_400000_NS6detail17trampoline_kernelINS0_13select_configILj256ELj13ELNS0_17block_load_methodE3ELS4_3ELS4_3ELNS0_20block_scan_algorithmE0ELj4294967295EEENS1_25partition_config_selectorILNS1_17partition_subalgoE4EjNS0_10empty_typeEbEEZZNS1_14partition_implILS8_4ELb0ES6_15HIP_vector_typeIjLj2EENS0_17counting_iteratorIjlEEPS9_SG_NS0_5tupleIJPjSI_NS0_16reverse_iteratorISI_EEEEENSH_IJSG_SG_SG_EEES9_SI_JZNS1_25segmented_radix_sort_implINS0_14default_configELb1EPK12hip_bfloat16PSP_PKlPlN2at6native12_GLOBAL__N_18offset_tEEE10hipError_tPvRmT1_PNSt15iterator_traitsIS13_E10value_typeET2_T3_PNS14_IS19_E10value_typeET4_jRbjT5_S1F_jjP12ihipStream_tbEUljE_ZNSN_ISO_Lb1ESR_SS_SU_SV_SZ_EES10_S11_S12_S13_S17_S18_S19_S1C_S1D_jS1E_jS1F_S1F_jjS1H_bEUljE0_EEES10_S11_S12_S19_S1D_S1F_T6_T7_T9_mT8_S1H_bDpT10_ENKUlT_T0_E_clISt17integral_constantIbLb1EES1U_IbLb0EEEEDaS1Q_S1R_EUlS1Q_E_NS1_11comp_targetILNS1_3genE4ELNS1_11target_archE910ELNS1_3gpuE8ELNS1_3repE0EEENS1_30default_config_static_selectorELNS0_4arch9wavefront6targetE1EEEvS13_
	.p2align	8
	.type	_ZN7rocprim17ROCPRIM_400000_NS6detail17trampoline_kernelINS0_13select_configILj256ELj13ELNS0_17block_load_methodE3ELS4_3ELS4_3ELNS0_20block_scan_algorithmE0ELj4294967295EEENS1_25partition_config_selectorILNS1_17partition_subalgoE4EjNS0_10empty_typeEbEEZZNS1_14partition_implILS8_4ELb0ES6_15HIP_vector_typeIjLj2EENS0_17counting_iteratorIjlEEPS9_SG_NS0_5tupleIJPjSI_NS0_16reverse_iteratorISI_EEEEENSH_IJSG_SG_SG_EEES9_SI_JZNS1_25segmented_radix_sort_implINS0_14default_configELb1EPK12hip_bfloat16PSP_PKlPlN2at6native12_GLOBAL__N_18offset_tEEE10hipError_tPvRmT1_PNSt15iterator_traitsIS13_E10value_typeET2_T3_PNS14_IS19_E10value_typeET4_jRbjT5_S1F_jjP12ihipStream_tbEUljE_ZNSN_ISO_Lb1ESR_SS_SU_SV_SZ_EES10_S11_S12_S13_S17_S18_S19_S1C_S1D_jS1E_jS1F_S1F_jjS1H_bEUljE0_EEES10_S11_S12_S19_S1D_S1F_T6_T7_T9_mT8_S1H_bDpT10_ENKUlT_T0_E_clISt17integral_constantIbLb1EES1U_IbLb0EEEEDaS1Q_S1R_EUlS1Q_E_NS1_11comp_targetILNS1_3genE4ELNS1_11target_archE910ELNS1_3gpuE8ELNS1_3repE0EEENS1_30default_config_static_selectorELNS0_4arch9wavefront6targetE1EEEvS13_,@function
_ZN7rocprim17ROCPRIM_400000_NS6detail17trampoline_kernelINS0_13select_configILj256ELj13ELNS0_17block_load_methodE3ELS4_3ELS4_3ELNS0_20block_scan_algorithmE0ELj4294967295EEENS1_25partition_config_selectorILNS1_17partition_subalgoE4EjNS0_10empty_typeEbEEZZNS1_14partition_implILS8_4ELb0ES6_15HIP_vector_typeIjLj2EENS0_17counting_iteratorIjlEEPS9_SG_NS0_5tupleIJPjSI_NS0_16reverse_iteratorISI_EEEEENSH_IJSG_SG_SG_EEES9_SI_JZNS1_25segmented_radix_sort_implINS0_14default_configELb1EPK12hip_bfloat16PSP_PKlPlN2at6native12_GLOBAL__N_18offset_tEEE10hipError_tPvRmT1_PNSt15iterator_traitsIS13_E10value_typeET2_T3_PNS14_IS19_E10value_typeET4_jRbjT5_S1F_jjP12ihipStream_tbEUljE_ZNSN_ISO_Lb1ESR_SS_SU_SV_SZ_EES10_S11_S12_S13_S17_S18_S19_S1C_S1D_jS1E_jS1F_S1F_jjS1H_bEUljE0_EEES10_S11_S12_S19_S1D_S1F_T6_T7_T9_mT8_S1H_bDpT10_ENKUlT_T0_E_clISt17integral_constantIbLb1EES1U_IbLb0EEEEDaS1Q_S1R_EUlS1Q_E_NS1_11comp_targetILNS1_3genE4ELNS1_11target_archE910ELNS1_3gpuE8ELNS1_3repE0EEENS1_30default_config_static_selectorELNS0_4arch9wavefront6targetE1EEEvS13_: ; @_ZN7rocprim17ROCPRIM_400000_NS6detail17trampoline_kernelINS0_13select_configILj256ELj13ELNS0_17block_load_methodE3ELS4_3ELS4_3ELNS0_20block_scan_algorithmE0ELj4294967295EEENS1_25partition_config_selectorILNS1_17partition_subalgoE4EjNS0_10empty_typeEbEEZZNS1_14partition_implILS8_4ELb0ES6_15HIP_vector_typeIjLj2EENS0_17counting_iteratorIjlEEPS9_SG_NS0_5tupleIJPjSI_NS0_16reverse_iteratorISI_EEEEENSH_IJSG_SG_SG_EEES9_SI_JZNS1_25segmented_radix_sort_implINS0_14default_configELb1EPK12hip_bfloat16PSP_PKlPlN2at6native12_GLOBAL__N_18offset_tEEE10hipError_tPvRmT1_PNSt15iterator_traitsIS13_E10value_typeET2_T3_PNS14_IS19_E10value_typeET4_jRbjT5_S1F_jjP12ihipStream_tbEUljE_ZNSN_ISO_Lb1ESR_SS_SU_SV_SZ_EES10_S11_S12_S13_S17_S18_S19_S1C_S1D_jS1E_jS1F_S1F_jjS1H_bEUljE0_EEES10_S11_S12_S19_S1D_S1F_T6_T7_T9_mT8_S1H_bDpT10_ENKUlT_T0_E_clISt17integral_constantIbLb1EES1U_IbLb0EEEEDaS1Q_S1R_EUlS1Q_E_NS1_11comp_targetILNS1_3genE4ELNS1_11target_archE910ELNS1_3gpuE8ELNS1_3repE0EEENS1_30default_config_static_selectorELNS0_4arch9wavefront6targetE1EEEvS13_
; %bb.0:
	.section	.rodata,"a",@progbits
	.p2align	6, 0x0
	.amdhsa_kernel _ZN7rocprim17ROCPRIM_400000_NS6detail17trampoline_kernelINS0_13select_configILj256ELj13ELNS0_17block_load_methodE3ELS4_3ELS4_3ELNS0_20block_scan_algorithmE0ELj4294967295EEENS1_25partition_config_selectorILNS1_17partition_subalgoE4EjNS0_10empty_typeEbEEZZNS1_14partition_implILS8_4ELb0ES6_15HIP_vector_typeIjLj2EENS0_17counting_iteratorIjlEEPS9_SG_NS0_5tupleIJPjSI_NS0_16reverse_iteratorISI_EEEEENSH_IJSG_SG_SG_EEES9_SI_JZNS1_25segmented_radix_sort_implINS0_14default_configELb1EPK12hip_bfloat16PSP_PKlPlN2at6native12_GLOBAL__N_18offset_tEEE10hipError_tPvRmT1_PNSt15iterator_traitsIS13_E10value_typeET2_T3_PNS14_IS19_E10value_typeET4_jRbjT5_S1F_jjP12ihipStream_tbEUljE_ZNSN_ISO_Lb1ESR_SS_SU_SV_SZ_EES10_S11_S12_S13_S17_S18_S19_S1C_S1D_jS1E_jS1F_S1F_jjS1H_bEUljE0_EEES10_S11_S12_S19_S1D_S1F_T6_T7_T9_mT8_S1H_bDpT10_ENKUlT_T0_E_clISt17integral_constantIbLb1EES1U_IbLb0EEEEDaS1Q_S1R_EUlS1Q_E_NS1_11comp_targetILNS1_3genE4ELNS1_11target_archE910ELNS1_3gpuE8ELNS1_3repE0EEENS1_30default_config_static_selectorELNS0_4arch9wavefront6targetE1EEEvS13_
		.amdhsa_group_segment_fixed_size 0
		.amdhsa_private_segment_fixed_size 0
		.amdhsa_kernarg_size 176
		.amdhsa_user_sgpr_count 6
		.amdhsa_user_sgpr_private_segment_buffer 1
		.amdhsa_user_sgpr_dispatch_ptr 0
		.amdhsa_user_sgpr_queue_ptr 0
		.amdhsa_user_sgpr_kernarg_segment_ptr 1
		.amdhsa_user_sgpr_dispatch_id 0
		.amdhsa_user_sgpr_flat_scratch_init 0
		.amdhsa_user_sgpr_private_segment_size 0
		.amdhsa_uses_dynamic_stack 0
		.amdhsa_system_sgpr_private_segment_wavefront_offset 0
		.amdhsa_system_sgpr_workgroup_id_x 1
		.amdhsa_system_sgpr_workgroup_id_y 0
		.amdhsa_system_sgpr_workgroup_id_z 0
		.amdhsa_system_sgpr_workgroup_info 0
		.amdhsa_system_vgpr_workitem_id 0
		.amdhsa_next_free_vgpr 1
		.amdhsa_next_free_sgpr 0
		.amdhsa_reserve_vcc 0
		.amdhsa_reserve_flat_scratch 0
		.amdhsa_float_round_mode_32 0
		.amdhsa_float_round_mode_16_64 0
		.amdhsa_float_denorm_mode_32 3
		.amdhsa_float_denorm_mode_16_64 3
		.amdhsa_dx10_clamp 1
		.amdhsa_ieee_mode 1
		.amdhsa_fp16_overflow 0
		.amdhsa_exception_fp_ieee_invalid_op 0
		.amdhsa_exception_fp_denorm_src 0
		.amdhsa_exception_fp_ieee_div_zero 0
		.amdhsa_exception_fp_ieee_overflow 0
		.amdhsa_exception_fp_ieee_underflow 0
		.amdhsa_exception_fp_ieee_inexact 0
		.amdhsa_exception_int_div_zero 0
	.end_amdhsa_kernel
	.section	.text._ZN7rocprim17ROCPRIM_400000_NS6detail17trampoline_kernelINS0_13select_configILj256ELj13ELNS0_17block_load_methodE3ELS4_3ELS4_3ELNS0_20block_scan_algorithmE0ELj4294967295EEENS1_25partition_config_selectorILNS1_17partition_subalgoE4EjNS0_10empty_typeEbEEZZNS1_14partition_implILS8_4ELb0ES6_15HIP_vector_typeIjLj2EENS0_17counting_iteratorIjlEEPS9_SG_NS0_5tupleIJPjSI_NS0_16reverse_iteratorISI_EEEEENSH_IJSG_SG_SG_EEES9_SI_JZNS1_25segmented_radix_sort_implINS0_14default_configELb1EPK12hip_bfloat16PSP_PKlPlN2at6native12_GLOBAL__N_18offset_tEEE10hipError_tPvRmT1_PNSt15iterator_traitsIS13_E10value_typeET2_T3_PNS14_IS19_E10value_typeET4_jRbjT5_S1F_jjP12ihipStream_tbEUljE_ZNSN_ISO_Lb1ESR_SS_SU_SV_SZ_EES10_S11_S12_S13_S17_S18_S19_S1C_S1D_jS1E_jS1F_S1F_jjS1H_bEUljE0_EEES10_S11_S12_S19_S1D_S1F_T6_T7_T9_mT8_S1H_bDpT10_ENKUlT_T0_E_clISt17integral_constantIbLb1EES1U_IbLb0EEEEDaS1Q_S1R_EUlS1Q_E_NS1_11comp_targetILNS1_3genE4ELNS1_11target_archE910ELNS1_3gpuE8ELNS1_3repE0EEENS1_30default_config_static_selectorELNS0_4arch9wavefront6targetE1EEEvS13_,"axG",@progbits,_ZN7rocprim17ROCPRIM_400000_NS6detail17trampoline_kernelINS0_13select_configILj256ELj13ELNS0_17block_load_methodE3ELS4_3ELS4_3ELNS0_20block_scan_algorithmE0ELj4294967295EEENS1_25partition_config_selectorILNS1_17partition_subalgoE4EjNS0_10empty_typeEbEEZZNS1_14partition_implILS8_4ELb0ES6_15HIP_vector_typeIjLj2EENS0_17counting_iteratorIjlEEPS9_SG_NS0_5tupleIJPjSI_NS0_16reverse_iteratorISI_EEEEENSH_IJSG_SG_SG_EEES9_SI_JZNS1_25segmented_radix_sort_implINS0_14default_configELb1EPK12hip_bfloat16PSP_PKlPlN2at6native12_GLOBAL__N_18offset_tEEE10hipError_tPvRmT1_PNSt15iterator_traitsIS13_E10value_typeET2_T3_PNS14_IS19_E10value_typeET4_jRbjT5_S1F_jjP12ihipStream_tbEUljE_ZNSN_ISO_Lb1ESR_SS_SU_SV_SZ_EES10_S11_S12_S13_S17_S18_S19_S1C_S1D_jS1E_jS1F_S1F_jjS1H_bEUljE0_EEES10_S11_S12_S19_S1D_S1F_T6_T7_T9_mT8_S1H_bDpT10_ENKUlT_T0_E_clISt17integral_constantIbLb1EES1U_IbLb0EEEEDaS1Q_S1R_EUlS1Q_E_NS1_11comp_targetILNS1_3genE4ELNS1_11target_archE910ELNS1_3gpuE8ELNS1_3repE0EEENS1_30default_config_static_selectorELNS0_4arch9wavefront6targetE1EEEvS13_,comdat
.Lfunc_end1900:
	.size	_ZN7rocprim17ROCPRIM_400000_NS6detail17trampoline_kernelINS0_13select_configILj256ELj13ELNS0_17block_load_methodE3ELS4_3ELS4_3ELNS0_20block_scan_algorithmE0ELj4294967295EEENS1_25partition_config_selectorILNS1_17partition_subalgoE4EjNS0_10empty_typeEbEEZZNS1_14partition_implILS8_4ELb0ES6_15HIP_vector_typeIjLj2EENS0_17counting_iteratorIjlEEPS9_SG_NS0_5tupleIJPjSI_NS0_16reverse_iteratorISI_EEEEENSH_IJSG_SG_SG_EEES9_SI_JZNS1_25segmented_radix_sort_implINS0_14default_configELb1EPK12hip_bfloat16PSP_PKlPlN2at6native12_GLOBAL__N_18offset_tEEE10hipError_tPvRmT1_PNSt15iterator_traitsIS13_E10value_typeET2_T3_PNS14_IS19_E10value_typeET4_jRbjT5_S1F_jjP12ihipStream_tbEUljE_ZNSN_ISO_Lb1ESR_SS_SU_SV_SZ_EES10_S11_S12_S13_S17_S18_S19_S1C_S1D_jS1E_jS1F_S1F_jjS1H_bEUljE0_EEES10_S11_S12_S19_S1D_S1F_T6_T7_T9_mT8_S1H_bDpT10_ENKUlT_T0_E_clISt17integral_constantIbLb1EES1U_IbLb0EEEEDaS1Q_S1R_EUlS1Q_E_NS1_11comp_targetILNS1_3genE4ELNS1_11target_archE910ELNS1_3gpuE8ELNS1_3repE0EEENS1_30default_config_static_selectorELNS0_4arch9wavefront6targetE1EEEvS13_, .Lfunc_end1900-_ZN7rocprim17ROCPRIM_400000_NS6detail17trampoline_kernelINS0_13select_configILj256ELj13ELNS0_17block_load_methodE3ELS4_3ELS4_3ELNS0_20block_scan_algorithmE0ELj4294967295EEENS1_25partition_config_selectorILNS1_17partition_subalgoE4EjNS0_10empty_typeEbEEZZNS1_14partition_implILS8_4ELb0ES6_15HIP_vector_typeIjLj2EENS0_17counting_iteratorIjlEEPS9_SG_NS0_5tupleIJPjSI_NS0_16reverse_iteratorISI_EEEEENSH_IJSG_SG_SG_EEES9_SI_JZNS1_25segmented_radix_sort_implINS0_14default_configELb1EPK12hip_bfloat16PSP_PKlPlN2at6native12_GLOBAL__N_18offset_tEEE10hipError_tPvRmT1_PNSt15iterator_traitsIS13_E10value_typeET2_T3_PNS14_IS19_E10value_typeET4_jRbjT5_S1F_jjP12ihipStream_tbEUljE_ZNSN_ISO_Lb1ESR_SS_SU_SV_SZ_EES10_S11_S12_S13_S17_S18_S19_S1C_S1D_jS1E_jS1F_S1F_jjS1H_bEUljE0_EEES10_S11_S12_S19_S1D_S1F_T6_T7_T9_mT8_S1H_bDpT10_ENKUlT_T0_E_clISt17integral_constantIbLb1EES1U_IbLb0EEEEDaS1Q_S1R_EUlS1Q_E_NS1_11comp_targetILNS1_3genE4ELNS1_11target_archE910ELNS1_3gpuE8ELNS1_3repE0EEENS1_30default_config_static_selectorELNS0_4arch9wavefront6targetE1EEEvS13_
                                        ; -- End function
	.set _ZN7rocprim17ROCPRIM_400000_NS6detail17trampoline_kernelINS0_13select_configILj256ELj13ELNS0_17block_load_methodE3ELS4_3ELS4_3ELNS0_20block_scan_algorithmE0ELj4294967295EEENS1_25partition_config_selectorILNS1_17partition_subalgoE4EjNS0_10empty_typeEbEEZZNS1_14partition_implILS8_4ELb0ES6_15HIP_vector_typeIjLj2EENS0_17counting_iteratorIjlEEPS9_SG_NS0_5tupleIJPjSI_NS0_16reverse_iteratorISI_EEEEENSH_IJSG_SG_SG_EEES9_SI_JZNS1_25segmented_radix_sort_implINS0_14default_configELb1EPK12hip_bfloat16PSP_PKlPlN2at6native12_GLOBAL__N_18offset_tEEE10hipError_tPvRmT1_PNSt15iterator_traitsIS13_E10value_typeET2_T3_PNS14_IS19_E10value_typeET4_jRbjT5_S1F_jjP12ihipStream_tbEUljE_ZNSN_ISO_Lb1ESR_SS_SU_SV_SZ_EES10_S11_S12_S13_S17_S18_S19_S1C_S1D_jS1E_jS1F_S1F_jjS1H_bEUljE0_EEES10_S11_S12_S19_S1D_S1F_T6_T7_T9_mT8_S1H_bDpT10_ENKUlT_T0_E_clISt17integral_constantIbLb1EES1U_IbLb0EEEEDaS1Q_S1R_EUlS1Q_E_NS1_11comp_targetILNS1_3genE4ELNS1_11target_archE910ELNS1_3gpuE8ELNS1_3repE0EEENS1_30default_config_static_selectorELNS0_4arch9wavefront6targetE1EEEvS13_.num_vgpr, 0
	.set _ZN7rocprim17ROCPRIM_400000_NS6detail17trampoline_kernelINS0_13select_configILj256ELj13ELNS0_17block_load_methodE3ELS4_3ELS4_3ELNS0_20block_scan_algorithmE0ELj4294967295EEENS1_25partition_config_selectorILNS1_17partition_subalgoE4EjNS0_10empty_typeEbEEZZNS1_14partition_implILS8_4ELb0ES6_15HIP_vector_typeIjLj2EENS0_17counting_iteratorIjlEEPS9_SG_NS0_5tupleIJPjSI_NS0_16reverse_iteratorISI_EEEEENSH_IJSG_SG_SG_EEES9_SI_JZNS1_25segmented_radix_sort_implINS0_14default_configELb1EPK12hip_bfloat16PSP_PKlPlN2at6native12_GLOBAL__N_18offset_tEEE10hipError_tPvRmT1_PNSt15iterator_traitsIS13_E10value_typeET2_T3_PNS14_IS19_E10value_typeET4_jRbjT5_S1F_jjP12ihipStream_tbEUljE_ZNSN_ISO_Lb1ESR_SS_SU_SV_SZ_EES10_S11_S12_S13_S17_S18_S19_S1C_S1D_jS1E_jS1F_S1F_jjS1H_bEUljE0_EEES10_S11_S12_S19_S1D_S1F_T6_T7_T9_mT8_S1H_bDpT10_ENKUlT_T0_E_clISt17integral_constantIbLb1EES1U_IbLb0EEEEDaS1Q_S1R_EUlS1Q_E_NS1_11comp_targetILNS1_3genE4ELNS1_11target_archE910ELNS1_3gpuE8ELNS1_3repE0EEENS1_30default_config_static_selectorELNS0_4arch9wavefront6targetE1EEEvS13_.num_agpr, 0
	.set _ZN7rocprim17ROCPRIM_400000_NS6detail17trampoline_kernelINS0_13select_configILj256ELj13ELNS0_17block_load_methodE3ELS4_3ELS4_3ELNS0_20block_scan_algorithmE0ELj4294967295EEENS1_25partition_config_selectorILNS1_17partition_subalgoE4EjNS0_10empty_typeEbEEZZNS1_14partition_implILS8_4ELb0ES6_15HIP_vector_typeIjLj2EENS0_17counting_iteratorIjlEEPS9_SG_NS0_5tupleIJPjSI_NS0_16reverse_iteratorISI_EEEEENSH_IJSG_SG_SG_EEES9_SI_JZNS1_25segmented_radix_sort_implINS0_14default_configELb1EPK12hip_bfloat16PSP_PKlPlN2at6native12_GLOBAL__N_18offset_tEEE10hipError_tPvRmT1_PNSt15iterator_traitsIS13_E10value_typeET2_T3_PNS14_IS19_E10value_typeET4_jRbjT5_S1F_jjP12ihipStream_tbEUljE_ZNSN_ISO_Lb1ESR_SS_SU_SV_SZ_EES10_S11_S12_S13_S17_S18_S19_S1C_S1D_jS1E_jS1F_S1F_jjS1H_bEUljE0_EEES10_S11_S12_S19_S1D_S1F_T6_T7_T9_mT8_S1H_bDpT10_ENKUlT_T0_E_clISt17integral_constantIbLb1EES1U_IbLb0EEEEDaS1Q_S1R_EUlS1Q_E_NS1_11comp_targetILNS1_3genE4ELNS1_11target_archE910ELNS1_3gpuE8ELNS1_3repE0EEENS1_30default_config_static_selectorELNS0_4arch9wavefront6targetE1EEEvS13_.numbered_sgpr, 0
	.set _ZN7rocprim17ROCPRIM_400000_NS6detail17trampoline_kernelINS0_13select_configILj256ELj13ELNS0_17block_load_methodE3ELS4_3ELS4_3ELNS0_20block_scan_algorithmE0ELj4294967295EEENS1_25partition_config_selectorILNS1_17partition_subalgoE4EjNS0_10empty_typeEbEEZZNS1_14partition_implILS8_4ELb0ES6_15HIP_vector_typeIjLj2EENS0_17counting_iteratorIjlEEPS9_SG_NS0_5tupleIJPjSI_NS0_16reverse_iteratorISI_EEEEENSH_IJSG_SG_SG_EEES9_SI_JZNS1_25segmented_radix_sort_implINS0_14default_configELb1EPK12hip_bfloat16PSP_PKlPlN2at6native12_GLOBAL__N_18offset_tEEE10hipError_tPvRmT1_PNSt15iterator_traitsIS13_E10value_typeET2_T3_PNS14_IS19_E10value_typeET4_jRbjT5_S1F_jjP12ihipStream_tbEUljE_ZNSN_ISO_Lb1ESR_SS_SU_SV_SZ_EES10_S11_S12_S13_S17_S18_S19_S1C_S1D_jS1E_jS1F_S1F_jjS1H_bEUljE0_EEES10_S11_S12_S19_S1D_S1F_T6_T7_T9_mT8_S1H_bDpT10_ENKUlT_T0_E_clISt17integral_constantIbLb1EES1U_IbLb0EEEEDaS1Q_S1R_EUlS1Q_E_NS1_11comp_targetILNS1_3genE4ELNS1_11target_archE910ELNS1_3gpuE8ELNS1_3repE0EEENS1_30default_config_static_selectorELNS0_4arch9wavefront6targetE1EEEvS13_.num_named_barrier, 0
	.set _ZN7rocprim17ROCPRIM_400000_NS6detail17trampoline_kernelINS0_13select_configILj256ELj13ELNS0_17block_load_methodE3ELS4_3ELS4_3ELNS0_20block_scan_algorithmE0ELj4294967295EEENS1_25partition_config_selectorILNS1_17partition_subalgoE4EjNS0_10empty_typeEbEEZZNS1_14partition_implILS8_4ELb0ES6_15HIP_vector_typeIjLj2EENS0_17counting_iteratorIjlEEPS9_SG_NS0_5tupleIJPjSI_NS0_16reverse_iteratorISI_EEEEENSH_IJSG_SG_SG_EEES9_SI_JZNS1_25segmented_radix_sort_implINS0_14default_configELb1EPK12hip_bfloat16PSP_PKlPlN2at6native12_GLOBAL__N_18offset_tEEE10hipError_tPvRmT1_PNSt15iterator_traitsIS13_E10value_typeET2_T3_PNS14_IS19_E10value_typeET4_jRbjT5_S1F_jjP12ihipStream_tbEUljE_ZNSN_ISO_Lb1ESR_SS_SU_SV_SZ_EES10_S11_S12_S13_S17_S18_S19_S1C_S1D_jS1E_jS1F_S1F_jjS1H_bEUljE0_EEES10_S11_S12_S19_S1D_S1F_T6_T7_T9_mT8_S1H_bDpT10_ENKUlT_T0_E_clISt17integral_constantIbLb1EES1U_IbLb0EEEEDaS1Q_S1R_EUlS1Q_E_NS1_11comp_targetILNS1_3genE4ELNS1_11target_archE910ELNS1_3gpuE8ELNS1_3repE0EEENS1_30default_config_static_selectorELNS0_4arch9wavefront6targetE1EEEvS13_.private_seg_size, 0
	.set _ZN7rocprim17ROCPRIM_400000_NS6detail17trampoline_kernelINS0_13select_configILj256ELj13ELNS0_17block_load_methodE3ELS4_3ELS4_3ELNS0_20block_scan_algorithmE0ELj4294967295EEENS1_25partition_config_selectorILNS1_17partition_subalgoE4EjNS0_10empty_typeEbEEZZNS1_14partition_implILS8_4ELb0ES6_15HIP_vector_typeIjLj2EENS0_17counting_iteratorIjlEEPS9_SG_NS0_5tupleIJPjSI_NS0_16reverse_iteratorISI_EEEEENSH_IJSG_SG_SG_EEES9_SI_JZNS1_25segmented_radix_sort_implINS0_14default_configELb1EPK12hip_bfloat16PSP_PKlPlN2at6native12_GLOBAL__N_18offset_tEEE10hipError_tPvRmT1_PNSt15iterator_traitsIS13_E10value_typeET2_T3_PNS14_IS19_E10value_typeET4_jRbjT5_S1F_jjP12ihipStream_tbEUljE_ZNSN_ISO_Lb1ESR_SS_SU_SV_SZ_EES10_S11_S12_S13_S17_S18_S19_S1C_S1D_jS1E_jS1F_S1F_jjS1H_bEUljE0_EEES10_S11_S12_S19_S1D_S1F_T6_T7_T9_mT8_S1H_bDpT10_ENKUlT_T0_E_clISt17integral_constantIbLb1EES1U_IbLb0EEEEDaS1Q_S1R_EUlS1Q_E_NS1_11comp_targetILNS1_3genE4ELNS1_11target_archE910ELNS1_3gpuE8ELNS1_3repE0EEENS1_30default_config_static_selectorELNS0_4arch9wavefront6targetE1EEEvS13_.uses_vcc, 0
	.set _ZN7rocprim17ROCPRIM_400000_NS6detail17trampoline_kernelINS0_13select_configILj256ELj13ELNS0_17block_load_methodE3ELS4_3ELS4_3ELNS0_20block_scan_algorithmE0ELj4294967295EEENS1_25partition_config_selectorILNS1_17partition_subalgoE4EjNS0_10empty_typeEbEEZZNS1_14partition_implILS8_4ELb0ES6_15HIP_vector_typeIjLj2EENS0_17counting_iteratorIjlEEPS9_SG_NS0_5tupleIJPjSI_NS0_16reverse_iteratorISI_EEEEENSH_IJSG_SG_SG_EEES9_SI_JZNS1_25segmented_radix_sort_implINS0_14default_configELb1EPK12hip_bfloat16PSP_PKlPlN2at6native12_GLOBAL__N_18offset_tEEE10hipError_tPvRmT1_PNSt15iterator_traitsIS13_E10value_typeET2_T3_PNS14_IS19_E10value_typeET4_jRbjT5_S1F_jjP12ihipStream_tbEUljE_ZNSN_ISO_Lb1ESR_SS_SU_SV_SZ_EES10_S11_S12_S13_S17_S18_S19_S1C_S1D_jS1E_jS1F_S1F_jjS1H_bEUljE0_EEES10_S11_S12_S19_S1D_S1F_T6_T7_T9_mT8_S1H_bDpT10_ENKUlT_T0_E_clISt17integral_constantIbLb1EES1U_IbLb0EEEEDaS1Q_S1R_EUlS1Q_E_NS1_11comp_targetILNS1_3genE4ELNS1_11target_archE910ELNS1_3gpuE8ELNS1_3repE0EEENS1_30default_config_static_selectorELNS0_4arch9wavefront6targetE1EEEvS13_.uses_flat_scratch, 0
	.set _ZN7rocprim17ROCPRIM_400000_NS6detail17trampoline_kernelINS0_13select_configILj256ELj13ELNS0_17block_load_methodE3ELS4_3ELS4_3ELNS0_20block_scan_algorithmE0ELj4294967295EEENS1_25partition_config_selectorILNS1_17partition_subalgoE4EjNS0_10empty_typeEbEEZZNS1_14partition_implILS8_4ELb0ES6_15HIP_vector_typeIjLj2EENS0_17counting_iteratorIjlEEPS9_SG_NS0_5tupleIJPjSI_NS0_16reverse_iteratorISI_EEEEENSH_IJSG_SG_SG_EEES9_SI_JZNS1_25segmented_radix_sort_implINS0_14default_configELb1EPK12hip_bfloat16PSP_PKlPlN2at6native12_GLOBAL__N_18offset_tEEE10hipError_tPvRmT1_PNSt15iterator_traitsIS13_E10value_typeET2_T3_PNS14_IS19_E10value_typeET4_jRbjT5_S1F_jjP12ihipStream_tbEUljE_ZNSN_ISO_Lb1ESR_SS_SU_SV_SZ_EES10_S11_S12_S13_S17_S18_S19_S1C_S1D_jS1E_jS1F_S1F_jjS1H_bEUljE0_EEES10_S11_S12_S19_S1D_S1F_T6_T7_T9_mT8_S1H_bDpT10_ENKUlT_T0_E_clISt17integral_constantIbLb1EES1U_IbLb0EEEEDaS1Q_S1R_EUlS1Q_E_NS1_11comp_targetILNS1_3genE4ELNS1_11target_archE910ELNS1_3gpuE8ELNS1_3repE0EEENS1_30default_config_static_selectorELNS0_4arch9wavefront6targetE1EEEvS13_.has_dyn_sized_stack, 0
	.set _ZN7rocprim17ROCPRIM_400000_NS6detail17trampoline_kernelINS0_13select_configILj256ELj13ELNS0_17block_load_methodE3ELS4_3ELS4_3ELNS0_20block_scan_algorithmE0ELj4294967295EEENS1_25partition_config_selectorILNS1_17partition_subalgoE4EjNS0_10empty_typeEbEEZZNS1_14partition_implILS8_4ELb0ES6_15HIP_vector_typeIjLj2EENS0_17counting_iteratorIjlEEPS9_SG_NS0_5tupleIJPjSI_NS0_16reverse_iteratorISI_EEEEENSH_IJSG_SG_SG_EEES9_SI_JZNS1_25segmented_radix_sort_implINS0_14default_configELb1EPK12hip_bfloat16PSP_PKlPlN2at6native12_GLOBAL__N_18offset_tEEE10hipError_tPvRmT1_PNSt15iterator_traitsIS13_E10value_typeET2_T3_PNS14_IS19_E10value_typeET4_jRbjT5_S1F_jjP12ihipStream_tbEUljE_ZNSN_ISO_Lb1ESR_SS_SU_SV_SZ_EES10_S11_S12_S13_S17_S18_S19_S1C_S1D_jS1E_jS1F_S1F_jjS1H_bEUljE0_EEES10_S11_S12_S19_S1D_S1F_T6_T7_T9_mT8_S1H_bDpT10_ENKUlT_T0_E_clISt17integral_constantIbLb1EES1U_IbLb0EEEEDaS1Q_S1R_EUlS1Q_E_NS1_11comp_targetILNS1_3genE4ELNS1_11target_archE910ELNS1_3gpuE8ELNS1_3repE0EEENS1_30default_config_static_selectorELNS0_4arch9wavefront6targetE1EEEvS13_.has_recursion, 0
	.set _ZN7rocprim17ROCPRIM_400000_NS6detail17trampoline_kernelINS0_13select_configILj256ELj13ELNS0_17block_load_methodE3ELS4_3ELS4_3ELNS0_20block_scan_algorithmE0ELj4294967295EEENS1_25partition_config_selectorILNS1_17partition_subalgoE4EjNS0_10empty_typeEbEEZZNS1_14partition_implILS8_4ELb0ES6_15HIP_vector_typeIjLj2EENS0_17counting_iteratorIjlEEPS9_SG_NS0_5tupleIJPjSI_NS0_16reverse_iteratorISI_EEEEENSH_IJSG_SG_SG_EEES9_SI_JZNS1_25segmented_radix_sort_implINS0_14default_configELb1EPK12hip_bfloat16PSP_PKlPlN2at6native12_GLOBAL__N_18offset_tEEE10hipError_tPvRmT1_PNSt15iterator_traitsIS13_E10value_typeET2_T3_PNS14_IS19_E10value_typeET4_jRbjT5_S1F_jjP12ihipStream_tbEUljE_ZNSN_ISO_Lb1ESR_SS_SU_SV_SZ_EES10_S11_S12_S13_S17_S18_S19_S1C_S1D_jS1E_jS1F_S1F_jjS1H_bEUljE0_EEES10_S11_S12_S19_S1D_S1F_T6_T7_T9_mT8_S1H_bDpT10_ENKUlT_T0_E_clISt17integral_constantIbLb1EES1U_IbLb0EEEEDaS1Q_S1R_EUlS1Q_E_NS1_11comp_targetILNS1_3genE4ELNS1_11target_archE910ELNS1_3gpuE8ELNS1_3repE0EEENS1_30default_config_static_selectorELNS0_4arch9wavefront6targetE1EEEvS13_.has_indirect_call, 0
	.section	.AMDGPU.csdata,"",@progbits
; Kernel info:
; codeLenInByte = 0
; TotalNumSgprs: 4
; NumVgprs: 0
; ScratchSize: 0
; MemoryBound: 0
; FloatMode: 240
; IeeeMode: 1
; LDSByteSize: 0 bytes/workgroup (compile time only)
; SGPRBlocks: 0
; VGPRBlocks: 0
; NumSGPRsForWavesPerEU: 4
; NumVGPRsForWavesPerEU: 1
; Occupancy: 10
; WaveLimiterHint : 0
; COMPUTE_PGM_RSRC2:SCRATCH_EN: 0
; COMPUTE_PGM_RSRC2:USER_SGPR: 6
; COMPUTE_PGM_RSRC2:TRAP_HANDLER: 0
; COMPUTE_PGM_RSRC2:TGID_X_EN: 1
; COMPUTE_PGM_RSRC2:TGID_Y_EN: 0
; COMPUTE_PGM_RSRC2:TGID_Z_EN: 0
; COMPUTE_PGM_RSRC2:TIDIG_COMP_CNT: 0
	.section	.text._ZN7rocprim17ROCPRIM_400000_NS6detail17trampoline_kernelINS0_13select_configILj256ELj13ELNS0_17block_load_methodE3ELS4_3ELS4_3ELNS0_20block_scan_algorithmE0ELj4294967295EEENS1_25partition_config_selectorILNS1_17partition_subalgoE4EjNS0_10empty_typeEbEEZZNS1_14partition_implILS8_4ELb0ES6_15HIP_vector_typeIjLj2EENS0_17counting_iteratorIjlEEPS9_SG_NS0_5tupleIJPjSI_NS0_16reverse_iteratorISI_EEEEENSH_IJSG_SG_SG_EEES9_SI_JZNS1_25segmented_radix_sort_implINS0_14default_configELb1EPK12hip_bfloat16PSP_PKlPlN2at6native12_GLOBAL__N_18offset_tEEE10hipError_tPvRmT1_PNSt15iterator_traitsIS13_E10value_typeET2_T3_PNS14_IS19_E10value_typeET4_jRbjT5_S1F_jjP12ihipStream_tbEUljE_ZNSN_ISO_Lb1ESR_SS_SU_SV_SZ_EES10_S11_S12_S13_S17_S18_S19_S1C_S1D_jS1E_jS1F_S1F_jjS1H_bEUljE0_EEES10_S11_S12_S19_S1D_S1F_T6_T7_T9_mT8_S1H_bDpT10_ENKUlT_T0_E_clISt17integral_constantIbLb1EES1U_IbLb0EEEEDaS1Q_S1R_EUlS1Q_E_NS1_11comp_targetILNS1_3genE3ELNS1_11target_archE908ELNS1_3gpuE7ELNS1_3repE0EEENS1_30default_config_static_selectorELNS0_4arch9wavefront6targetE1EEEvS13_,"axG",@progbits,_ZN7rocprim17ROCPRIM_400000_NS6detail17trampoline_kernelINS0_13select_configILj256ELj13ELNS0_17block_load_methodE3ELS4_3ELS4_3ELNS0_20block_scan_algorithmE0ELj4294967295EEENS1_25partition_config_selectorILNS1_17partition_subalgoE4EjNS0_10empty_typeEbEEZZNS1_14partition_implILS8_4ELb0ES6_15HIP_vector_typeIjLj2EENS0_17counting_iteratorIjlEEPS9_SG_NS0_5tupleIJPjSI_NS0_16reverse_iteratorISI_EEEEENSH_IJSG_SG_SG_EEES9_SI_JZNS1_25segmented_radix_sort_implINS0_14default_configELb1EPK12hip_bfloat16PSP_PKlPlN2at6native12_GLOBAL__N_18offset_tEEE10hipError_tPvRmT1_PNSt15iterator_traitsIS13_E10value_typeET2_T3_PNS14_IS19_E10value_typeET4_jRbjT5_S1F_jjP12ihipStream_tbEUljE_ZNSN_ISO_Lb1ESR_SS_SU_SV_SZ_EES10_S11_S12_S13_S17_S18_S19_S1C_S1D_jS1E_jS1F_S1F_jjS1H_bEUljE0_EEES10_S11_S12_S19_S1D_S1F_T6_T7_T9_mT8_S1H_bDpT10_ENKUlT_T0_E_clISt17integral_constantIbLb1EES1U_IbLb0EEEEDaS1Q_S1R_EUlS1Q_E_NS1_11comp_targetILNS1_3genE3ELNS1_11target_archE908ELNS1_3gpuE7ELNS1_3repE0EEENS1_30default_config_static_selectorELNS0_4arch9wavefront6targetE1EEEvS13_,comdat
	.globl	_ZN7rocprim17ROCPRIM_400000_NS6detail17trampoline_kernelINS0_13select_configILj256ELj13ELNS0_17block_load_methodE3ELS4_3ELS4_3ELNS0_20block_scan_algorithmE0ELj4294967295EEENS1_25partition_config_selectorILNS1_17partition_subalgoE4EjNS0_10empty_typeEbEEZZNS1_14partition_implILS8_4ELb0ES6_15HIP_vector_typeIjLj2EENS0_17counting_iteratorIjlEEPS9_SG_NS0_5tupleIJPjSI_NS0_16reverse_iteratorISI_EEEEENSH_IJSG_SG_SG_EEES9_SI_JZNS1_25segmented_radix_sort_implINS0_14default_configELb1EPK12hip_bfloat16PSP_PKlPlN2at6native12_GLOBAL__N_18offset_tEEE10hipError_tPvRmT1_PNSt15iterator_traitsIS13_E10value_typeET2_T3_PNS14_IS19_E10value_typeET4_jRbjT5_S1F_jjP12ihipStream_tbEUljE_ZNSN_ISO_Lb1ESR_SS_SU_SV_SZ_EES10_S11_S12_S13_S17_S18_S19_S1C_S1D_jS1E_jS1F_S1F_jjS1H_bEUljE0_EEES10_S11_S12_S19_S1D_S1F_T6_T7_T9_mT8_S1H_bDpT10_ENKUlT_T0_E_clISt17integral_constantIbLb1EES1U_IbLb0EEEEDaS1Q_S1R_EUlS1Q_E_NS1_11comp_targetILNS1_3genE3ELNS1_11target_archE908ELNS1_3gpuE7ELNS1_3repE0EEENS1_30default_config_static_selectorELNS0_4arch9wavefront6targetE1EEEvS13_ ; -- Begin function _ZN7rocprim17ROCPRIM_400000_NS6detail17trampoline_kernelINS0_13select_configILj256ELj13ELNS0_17block_load_methodE3ELS4_3ELS4_3ELNS0_20block_scan_algorithmE0ELj4294967295EEENS1_25partition_config_selectorILNS1_17partition_subalgoE4EjNS0_10empty_typeEbEEZZNS1_14partition_implILS8_4ELb0ES6_15HIP_vector_typeIjLj2EENS0_17counting_iteratorIjlEEPS9_SG_NS0_5tupleIJPjSI_NS0_16reverse_iteratorISI_EEEEENSH_IJSG_SG_SG_EEES9_SI_JZNS1_25segmented_radix_sort_implINS0_14default_configELb1EPK12hip_bfloat16PSP_PKlPlN2at6native12_GLOBAL__N_18offset_tEEE10hipError_tPvRmT1_PNSt15iterator_traitsIS13_E10value_typeET2_T3_PNS14_IS19_E10value_typeET4_jRbjT5_S1F_jjP12ihipStream_tbEUljE_ZNSN_ISO_Lb1ESR_SS_SU_SV_SZ_EES10_S11_S12_S13_S17_S18_S19_S1C_S1D_jS1E_jS1F_S1F_jjS1H_bEUljE0_EEES10_S11_S12_S19_S1D_S1F_T6_T7_T9_mT8_S1H_bDpT10_ENKUlT_T0_E_clISt17integral_constantIbLb1EES1U_IbLb0EEEEDaS1Q_S1R_EUlS1Q_E_NS1_11comp_targetILNS1_3genE3ELNS1_11target_archE908ELNS1_3gpuE7ELNS1_3repE0EEENS1_30default_config_static_selectorELNS0_4arch9wavefront6targetE1EEEvS13_
	.p2align	8
	.type	_ZN7rocprim17ROCPRIM_400000_NS6detail17trampoline_kernelINS0_13select_configILj256ELj13ELNS0_17block_load_methodE3ELS4_3ELS4_3ELNS0_20block_scan_algorithmE0ELj4294967295EEENS1_25partition_config_selectorILNS1_17partition_subalgoE4EjNS0_10empty_typeEbEEZZNS1_14partition_implILS8_4ELb0ES6_15HIP_vector_typeIjLj2EENS0_17counting_iteratorIjlEEPS9_SG_NS0_5tupleIJPjSI_NS0_16reverse_iteratorISI_EEEEENSH_IJSG_SG_SG_EEES9_SI_JZNS1_25segmented_radix_sort_implINS0_14default_configELb1EPK12hip_bfloat16PSP_PKlPlN2at6native12_GLOBAL__N_18offset_tEEE10hipError_tPvRmT1_PNSt15iterator_traitsIS13_E10value_typeET2_T3_PNS14_IS19_E10value_typeET4_jRbjT5_S1F_jjP12ihipStream_tbEUljE_ZNSN_ISO_Lb1ESR_SS_SU_SV_SZ_EES10_S11_S12_S13_S17_S18_S19_S1C_S1D_jS1E_jS1F_S1F_jjS1H_bEUljE0_EEES10_S11_S12_S19_S1D_S1F_T6_T7_T9_mT8_S1H_bDpT10_ENKUlT_T0_E_clISt17integral_constantIbLb1EES1U_IbLb0EEEEDaS1Q_S1R_EUlS1Q_E_NS1_11comp_targetILNS1_3genE3ELNS1_11target_archE908ELNS1_3gpuE7ELNS1_3repE0EEENS1_30default_config_static_selectorELNS0_4arch9wavefront6targetE1EEEvS13_,@function
_ZN7rocprim17ROCPRIM_400000_NS6detail17trampoline_kernelINS0_13select_configILj256ELj13ELNS0_17block_load_methodE3ELS4_3ELS4_3ELNS0_20block_scan_algorithmE0ELj4294967295EEENS1_25partition_config_selectorILNS1_17partition_subalgoE4EjNS0_10empty_typeEbEEZZNS1_14partition_implILS8_4ELb0ES6_15HIP_vector_typeIjLj2EENS0_17counting_iteratorIjlEEPS9_SG_NS0_5tupleIJPjSI_NS0_16reverse_iteratorISI_EEEEENSH_IJSG_SG_SG_EEES9_SI_JZNS1_25segmented_radix_sort_implINS0_14default_configELb1EPK12hip_bfloat16PSP_PKlPlN2at6native12_GLOBAL__N_18offset_tEEE10hipError_tPvRmT1_PNSt15iterator_traitsIS13_E10value_typeET2_T3_PNS14_IS19_E10value_typeET4_jRbjT5_S1F_jjP12ihipStream_tbEUljE_ZNSN_ISO_Lb1ESR_SS_SU_SV_SZ_EES10_S11_S12_S13_S17_S18_S19_S1C_S1D_jS1E_jS1F_S1F_jjS1H_bEUljE0_EEES10_S11_S12_S19_S1D_S1F_T6_T7_T9_mT8_S1H_bDpT10_ENKUlT_T0_E_clISt17integral_constantIbLb1EES1U_IbLb0EEEEDaS1Q_S1R_EUlS1Q_E_NS1_11comp_targetILNS1_3genE3ELNS1_11target_archE908ELNS1_3gpuE7ELNS1_3repE0EEENS1_30default_config_static_selectorELNS0_4arch9wavefront6targetE1EEEvS13_: ; @_ZN7rocprim17ROCPRIM_400000_NS6detail17trampoline_kernelINS0_13select_configILj256ELj13ELNS0_17block_load_methodE3ELS4_3ELS4_3ELNS0_20block_scan_algorithmE0ELj4294967295EEENS1_25partition_config_selectorILNS1_17partition_subalgoE4EjNS0_10empty_typeEbEEZZNS1_14partition_implILS8_4ELb0ES6_15HIP_vector_typeIjLj2EENS0_17counting_iteratorIjlEEPS9_SG_NS0_5tupleIJPjSI_NS0_16reverse_iteratorISI_EEEEENSH_IJSG_SG_SG_EEES9_SI_JZNS1_25segmented_radix_sort_implINS0_14default_configELb1EPK12hip_bfloat16PSP_PKlPlN2at6native12_GLOBAL__N_18offset_tEEE10hipError_tPvRmT1_PNSt15iterator_traitsIS13_E10value_typeET2_T3_PNS14_IS19_E10value_typeET4_jRbjT5_S1F_jjP12ihipStream_tbEUljE_ZNSN_ISO_Lb1ESR_SS_SU_SV_SZ_EES10_S11_S12_S13_S17_S18_S19_S1C_S1D_jS1E_jS1F_S1F_jjS1H_bEUljE0_EEES10_S11_S12_S19_S1D_S1F_T6_T7_T9_mT8_S1H_bDpT10_ENKUlT_T0_E_clISt17integral_constantIbLb1EES1U_IbLb0EEEEDaS1Q_S1R_EUlS1Q_E_NS1_11comp_targetILNS1_3genE3ELNS1_11target_archE908ELNS1_3gpuE7ELNS1_3repE0EEENS1_30default_config_static_selectorELNS0_4arch9wavefront6targetE1EEEvS13_
; %bb.0:
	.section	.rodata,"a",@progbits
	.p2align	6, 0x0
	.amdhsa_kernel _ZN7rocprim17ROCPRIM_400000_NS6detail17trampoline_kernelINS0_13select_configILj256ELj13ELNS0_17block_load_methodE3ELS4_3ELS4_3ELNS0_20block_scan_algorithmE0ELj4294967295EEENS1_25partition_config_selectorILNS1_17partition_subalgoE4EjNS0_10empty_typeEbEEZZNS1_14partition_implILS8_4ELb0ES6_15HIP_vector_typeIjLj2EENS0_17counting_iteratorIjlEEPS9_SG_NS0_5tupleIJPjSI_NS0_16reverse_iteratorISI_EEEEENSH_IJSG_SG_SG_EEES9_SI_JZNS1_25segmented_radix_sort_implINS0_14default_configELb1EPK12hip_bfloat16PSP_PKlPlN2at6native12_GLOBAL__N_18offset_tEEE10hipError_tPvRmT1_PNSt15iterator_traitsIS13_E10value_typeET2_T3_PNS14_IS19_E10value_typeET4_jRbjT5_S1F_jjP12ihipStream_tbEUljE_ZNSN_ISO_Lb1ESR_SS_SU_SV_SZ_EES10_S11_S12_S13_S17_S18_S19_S1C_S1D_jS1E_jS1F_S1F_jjS1H_bEUljE0_EEES10_S11_S12_S19_S1D_S1F_T6_T7_T9_mT8_S1H_bDpT10_ENKUlT_T0_E_clISt17integral_constantIbLb1EES1U_IbLb0EEEEDaS1Q_S1R_EUlS1Q_E_NS1_11comp_targetILNS1_3genE3ELNS1_11target_archE908ELNS1_3gpuE7ELNS1_3repE0EEENS1_30default_config_static_selectorELNS0_4arch9wavefront6targetE1EEEvS13_
		.amdhsa_group_segment_fixed_size 0
		.amdhsa_private_segment_fixed_size 0
		.amdhsa_kernarg_size 176
		.amdhsa_user_sgpr_count 6
		.amdhsa_user_sgpr_private_segment_buffer 1
		.amdhsa_user_sgpr_dispatch_ptr 0
		.amdhsa_user_sgpr_queue_ptr 0
		.amdhsa_user_sgpr_kernarg_segment_ptr 1
		.amdhsa_user_sgpr_dispatch_id 0
		.amdhsa_user_sgpr_flat_scratch_init 0
		.amdhsa_user_sgpr_private_segment_size 0
		.amdhsa_uses_dynamic_stack 0
		.amdhsa_system_sgpr_private_segment_wavefront_offset 0
		.amdhsa_system_sgpr_workgroup_id_x 1
		.amdhsa_system_sgpr_workgroup_id_y 0
		.amdhsa_system_sgpr_workgroup_id_z 0
		.amdhsa_system_sgpr_workgroup_info 0
		.amdhsa_system_vgpr_workitem_id 0
		.amdhsa_next_free_vgpr 1
		.amdhsa_next_free_sgpr 0
		.amdhsa_reserve_vcc 0
		.amdhsa_reserve_flat_scratch 0
		.amdhsa_float_round_mode_32 0
		.amdhsa_float_round_mode_16_64 0
		.amdhsa_float_denorm_mode_32 3
		.amdhsa_float_denorm_mode_16_64 3
		.amdhsa_dx10_clamp 1
		.amdhsa_ieee_mode 1
		.amdhsa_fp16_overflow 0
		.amdhsa_exception_fp_ieee_invalid_op 0
		.amdhsa_exception_fp_denorm_src 0
		.amdhsa_exception_fp_ieee_div_zero 0
		.amdhsa_exception_fp_ieee_overflow 0
		.amdhsa_exception_fp_ieee_underflow 0
		.amdhsa_exception_fp_ieee_inexact 0
		.amdhsa_exception_int_div_zero 0
	.end_amdhsa_kernel
	.section	.text._ZN7rocprim17ROCPRIM_400000_NS6detail17trampoline_kernelINS0_13select_configILj256ELj13ELNS0_17block_load_methodE3ELS4_3ELS4_3ELNS0_20block_scan_algorithmE0ELj4294967295EEENS1_25partition_config_selectorILNS1_17partition_subalgoE4EjNS0_10empty_typeEbEEZZNS1_14partition_implILS8_4ELb0ES6_15HIP_vector_typeIjLj2EENS0_17counting_iteratorIjlEEPS9_SG_NS0_5tupleIJPjSI_NS0_16reverse_iteratorISI_EEEEENSH_IJSG_SG_SG_EEES9_SI_JZNS1_25segmented_radix_sort_implINS0_14default_configELb1EPK12hip_bfloat16PSP_PKlPlN2at6native12_GLOBAL__N_18offset_tEEE10hipError_tPvRmT1_PNSt15iterator_traitsIS13_E10value_typeET2_T3_PNS14_IS19_E10value_typeET4_jRbjT5_S1F_jjP12ihipStream_tbEUljE_ZNSN_ISO_Lb1ESR_SS_SU_SV_SZ_EES10_S11_S12_S13_S17_S18_S19_S1C_S1D_jS1E_jS1F_S1F_jjS1H_bEUljE0_EEES10_S11_S12_S19_S1D_S1F_T6_T7_T9_mT8_S1H_bDpT10_ENKUlT_T0_E_clISt17integral_constantIbLb1EES1U_IbLb0EEEEDaS1Q_S1R_EUlS1Q_E_NS1_11comp_targetILNS1_3genE3ELNS1_11target_archE908ELNS1_3gpuE7ELNS1_3repE0EEENS1_30default_config_static_selectorELNS0_4arch9wavefront6targetE1EEEvS13_,"axG",@progbits,_ZN7rocprim17ROCPRIM_400000_NS6detail17trampoline_kernelINS0_13select_configILj256ELj13ELNS0_17block_load_methodE3ELS4_3ELS4_3ELNS0_20block_scan_algorithmE0ELj4294967295EEENS1_25partition_config_selectorILNS1_17partition_subalgoE4EjNS0_10empty_typeEbEEZZNS1_14partition_implILS8_4ELb0ES6_15HIP_vector_typeIjLj2EENS0_17counting_iteratorIjlEEPS9_SG_NS0_5tupleIJPjSI_NS0_16reverse_iteratorISI_EEEEENSH_IJSG_SG_SG_EEES9_SI_JZNS1_25segmented_radix_sort_implINS0_14default_configELb1EPK12hip_bfloat16PSP_PKlPlN2at6native12_GLOBAL__N_18offset_tEEE10hipError_tPvRmT1_PNSt15iterator_traitsIS13_E10value_typeET2_T3_PNS14_IS19_E10value_typeET4_jRbjT5_S1F_jjP12ihipStream_tbEUljE_ZNSN_ISO_Lb1ESR_SS_SU_SV_SZ_EES10_S11_S12_S13_S17_S18_S19_S1C_S1D_jS1E_jS1F_S1F_jjS1H_bEUljE0_EEES10_S11_S12_S19_S1D_S1F_T6_T7_T9_mT8_S1H_bDpT10_ENKUlT_T0_E_clISt17integral_constantIbLb1EES1U_IbLb0EEEEDaS1Q_S1R_EUlS1Q_E_NS1_11comp_targetILNS1_3genE3ELNS1_11target_archE908ELNS1_3gpuE7ELNS1_3repE0EEENS1_30default_config_static_selectorELNS0_4arch9wavefront6targetE1EEEvS13_,comdat
.Lfunc_end1901:
	.size	_ZN7rocprim17ROCPRIM_400000_NS6detail17trampoline_kernelINS0_13select_configILj256ELj13ELNS0_17block_load_methodE3ELS4_3ELS4_3ELNS0_20block_scan_algorithmE0ELj4294967295EEENS1_25partition_config_selectorILNS1_17partition_subalgoE4EjNS0_10empty_typeEbEEZZNS1_14partition_implILS8_4ELb0ES6_15HIP_vector_typeIjLj2EENS0_17counting_iteratorIjlEEPS9_SG_NS0_5tupleIJPjSI_NS0_16reverse_iteratorISI_EEEEENSH_IJSG_SG_SG_EEES9_SI_JZNS1_25segmented_radix_sort_implINS0_14default_configELb1EPK12hip_bfloat16PSP_PKlPlN2at6native12_GLOBAL__N_18offset_tEEE10hipError_tPvRmT1_PNSt15iterator_traitsIS13_E10value_typeET2_T3_PNS14_IS19_E10value_typeET4_jRbjT5_S1F_jjP12ihipStream_tbEUljE_ZNSN_ISO_Lb1ESR_SS_SU_SV_SZ_EES10_S11_S12_S13_S17_S18_S19_S1C_S1D_jS1E_jS1F_S1F_jjS1H_bEUljE0_EEES10_S11_S12_S19_S1D_S1F_T6_T7_T9_mT8_S1H_bDpT10_ENKUlT_T0_E_clISt17integral_constantIbLb1EES1U_IbLb0EEEEDaS1Q_S1R_EUlS1Q_E_NS1_11comp_targetILNS1_3genE3ELNS1_11target_archE908ELNS1_3gpuE7ELNS1_3repE0EEENS1_30default_config_static_selectorELNS0_4arch9wavefront6targetE1EEEvS13_, .Lfunc_end1901-_ZN7rocprim17ROCPRIM_400000_NS6detail17trampoline_kernelINS0_13select_configILj256ELj13ELNS0_17block_load_methodE3ELS4_3ELS4_3ELNS0_20block_scan_algorithmE0ELj4294967295EEENS1_25partition_config_selectorILNS1_17partition_subalgoE4EjNS0_10empty_typeEbEEZZNS1_14partition_implILS8_4ELb0ES6_15HIP_vector_typeIjLj2EENS0_17counting_iteratorIjlEEPS9_SG_NS0_5tupleIJPjSI_NS0_16reverse_iteratorISI_EEEEENSH_IJSG_SG_SG_EEES9_SI_JZNS1_25segmented_radix_sort_implINS0_14default_configELb1EPK12hip_bfloat16PSP_PKlPlN2at6native12_GLOBAL__N_18offset_tEEE10hipError_tPvRmT1_PNSt15iterator_traitsIS13_E10value_typeET2_T3_PNS14_IS19_E10value_typeET4_jRbjT5_S1F_jjP12ihipStream_tbEUljE_ZNSN_ISO_Lb1ESR_SS_SU_SV_SZ_EES10_S11_S12_S13_S17_S18_S19_S1C_S1D_jS1E_jS1F_S1F_jjS1H_bEUljE0_EEES10_S11_S12_S19_S1D_S1F_T6_T7_T9_mT8_S1H_bDpT10_ENKUlT_T0_E_clISt17integral_constantIbLb1EES1U_IbLb0EEEEDaS1Q_S1R_EUlS1Q_E_NS1_11comp_targetILNS1_3genE3ELNS1_11target_archE908ELNS1_3gpuE7ELNS1_3repE0EEENS1_30default_config_static_selectorELNS0_4arch9wavefront6targetE1EEEvS13_
                                        ; -- End function
	.set _ZN7rocprim17ROCPRIM_400000_NS6detail17trampoline_kernelINS0_13select_configILj256ELj13ELNS0_17block_load_methodE3ELS4_3ELS4_3ELNS0_20block_scan_algorithmE0ELj4294967295EEENS1_25partition_config_selectorILNS1_17partition_subalgoE4EjNS0_10empty_typeEbEEZZNS1_14partition_implILS8_4ELb0ES6_15HIP_vector_typeIjLj2EENS0_17counting_iteratorIjlEEPS9_SG_NS0_5tupleIJPjSI_NS0_16reverse_iteratorISI_EEEEENSH_IJSG_SG_SG_EEES9_SI_JZNS1_25segmented_radix_sort_implINS0_14default_configELb1EPK12hip_bfloat16PSP_PKlPlN2at6native12_GLOBAL__N_18offset_tEEE10hipError_tPvRmT1_PNSt15iterator_traitsIS13_E10value_typeET2_T3_PNS14_IS19_E10value_typeET4_jRbjT5_S1F_jjP12ihipStream_tbEUljE_ZNSN_ISO_Lb1ESR_SS_SU_SV_SZ_EES10_S11_S12_S13_S17_S18_S19_S1C_S1D_jS1E_jS1F_S1F_jjS1H_bEUljE0_EEES10_S11_S12_S19_S1D_S1F_T6_T7_T9_mT8_S1H_bDpT10_ENKUlT_T0_E_clISt17integral_constantIbLb1EES1U_IbLb0EEEEDaS1Q_S1R_EUlS1Q_E_NS1_11comp_targetILNS1_3genE3ELNS1_11target_archE908ELNS1_3gpuE7ELNS1_3repE0EEENS1_30default_config_static_selectorELNS0_4arch9wavefront6targetE1EEEvS13_.num_vgpr, 0
	.set _ZN7rocprim17ROCPRIM_400000_NS6detail17trampoline_kernelINS0_13select_configILj256ELj13ELNS0_17block_load_methodE3ELS4_3ELS4_3ELNS0_20block_scan_algorithmE0ELj4294967295EEENS1_25partition_config_selectorILNS1_17partition_subalgoE4EjNS0_10empty_typeEbEEZZNS1_14partition_implILS8_4ELb0ES6_15HIP_vector_typeIjLj2EENS0_17counting_iteratorIjlEEPS9_SG_NS0_5tupleIJPjSI_NS0_16reverse_iteratorISI_EEEEENSH_IJSG_SG_SG_EEES9_SI_JZNS1_25segmented_radix_sort_implINS0_14default_configELb1EPK12hip_bfloat16PSP_PKlPlN2at6native12_GLOBAL__N_18offset_tEEE10hipError_tPvRmT1_PNSt15iterator_traitsIS13_E10value_typeET2_T3_PNS14_IS19_E10value_typeET4_jRbjT5_S1F_jjP12ihipStream_tbEUljE_ZNSN_ISO_Lb1ESR_SS_SU_SV_SZ_EES10_S11_S12_S13_S17_S18_S19_S1C_S1D_jS1E_jS1F_S1F_jjS1H_bEUljE0_EEES10_S11_S12_S19_S1D_S1F_T6_T7_T9_mT8_S1H_bDpT10_ENKUlT_T0_E_clISt17integral_constantIbLb1EES1U_IbLb0EEEEDaS1Q_S1R_EUlS1Q_E_NS1_11comp_targetILNS1_3genE3ELNS1_11target_archE908ELNS1_3gpuE7ELNS1_3repE0EEENS1_30default_config_static_selectorELNS0_4arch9wavefront6targetE1EEEvS13_.num_agpr, 0
	.set _ZN7rocprim17ROCPRIM_400000_NS6detail17trampoline_kernelINS0_13select_configILj256ELj13ELNS0_17block_load_methodE3ELS4_3ELS4_3ELNS0_20block_scan_algorithmE0ELj4294967295EEENS1_25partition_config_selectorILNS1_17partition_subalgoE4EjNS0_10empty_typeEbEEZZNS1_14partition_implILS8_4ELb0ES6_15HIP_vector_typeIjLj2EENS0_17counting_iteratorIjlEEPS9_SG_NS0_5tupleIJPjSI_NS0_16reverse_iteratorISI_EEEEENSH_IJSG_SG_SG_EEES9_SI_JZNS1_25segmented_radix_sort_implINS0_14default_configELb1EPK12hip_bfloat16PSP_PKlPlN2at6native12_GLOBAL__N_18offset_tEEE10hipError_tPvRmT1_PNSt15iterator_traitsIS13_E10value_typeET2_T3_PNS14_IS19_E10value_typeET4_jRbjT5_S1F_jjP12ihipStream_tbEUljE_ZNSN_ISO_Lb1ESR_SS_SU_SV_SZ_EES10_S11_S12_S13_S17_S18_S19_S1C_S1D_jS1E_jS1F_S1F_jjS1H_bEUljE0_EEES10_S11_S12_S19_S1D_S1F_T6_T7_T9_mT8_S1H_bDpT10_ENKUlT_T0_E_clISt17integral_constantIbLb1EES1U_IbLb0EEEEDaS1Q_S1R_EUlS1Q_E_NS1_11comp_targetILNS1_3genE3ELNS1_11target_archE908ELNS1_3gpuE7ELNS1_3repE0EEENS1_30default_config_static_selectorELNS0_4arch9wavefront6targetE1EEEvS13_.numbered_sgpr, 0
	.set _ZN7rocprim17ROCPRIM_400000_NS6detail17trampoline_kernelINS0_13select_configILj256ELj13ELNS0_17block_load_methodE3ELS4_3ELS4_3ELNS0_20block_scan_algorithmE0ELj4294967295EEENS1_25partition_config_selectorILNS1_17partition_subalgoE4EjNS0_10empty_typeEbEEZZNS1_14partition_implILS8_4ELb0ES6_15HIP_vector_typeIjLj2EENS0_17counting_iteratorIjlEEPS9_SG_NS0_5tupleIJPjSI_NS0_16reverse_iteratorISI_EEEEENSH_IJSG_SG_SG_EEES9_SI_JZNS1_25segmented_radix_sort_implINS0_14default_configELb1EPK12hip_bfloat16PSP_PKlPlN2at6native12_GLOBAL__N_18offset_tEEE10hipError_tPvRmT1_PNSt15iterator_traitsIS13_E10value_typeET2_T3_PNS14_IS19_E10value_typeET4_jRbjT5_S1F_jjP12ihipStream_tbEUljE_ZNSN_ISO_Lb1ESR_SS_SU_SV_SZ_EES10_S11_S12_S13_S17_S18_S19_S1C_S1D_jS1E_jS1F_S1F_jjS1H_bEUljE0_EEES10_S11_S12_S19_S1D_S1F_T6_T7_T9_mT8_S1H_bDpT10_ENKUlT_T0_E_clISt17integral_constantIbLb1EES1U_IbLb0EEEEDaS1Q_S1R_EUlS1Q_E_NS1_11comp_targetILNS1_3genE3ELNS1_11target_archE908ELNS1_3gpuE7ELNS1_3repE0EEENS1_30default_config_static_selectorELNS0_4arch9wavefront6targetE1EEEvS13_.num_named_barrier, 0
	.set _ZN7rocprim17ROCPRIM_400000_NS6detail17trampoline_kernelINS0_13select_configILj256ELj13ELNS0_17block_load_methodE3ELS4_3ELS4_3ELNS0_20block_scan_algorithmE0ELj4294967295EEENS1_25partition_config_selectorILNS1_17partition_subalgoE4EjNS0_10empty_typeEbEEZZNS1_14partition_implILS8_4ELb0ES6_15HIP_vector_typeIjLj2EENS0_17counting_iteratorIjlEEPS9_SG_NS0_5tupleIJPjSI_NS0_16reverse_iteratorISI_EEEEENSH_IJSG_SG_SG_EEES9_SI_JZNS1_25segmented_radix_sort_implINS0_14default_configELb1EPK12hip_bfloat16PSP_PKlPlN2at6native12_GLOBAL__N_18offset_tEEE10hipError_tPvRmT1_PNSt15iterator_traitsIS13_E10value_typeET2_T3_PNS14_IS19_E10value_typeET4_jRbjT5_S1F_jjP12ihipStream_tbEUljE_ZNSN_ISO_Lb1ESR_SS_SU_SV_SZ_EES10_S11_S12_S13_S17_S18_S19_S1C_S1D_jS1E_jS1F_S1F_jjS1H_bEUljE0_EEES10_S11_S12_S19_S1D_S1F_T6_T7_T9_mT8_S1H_bDpT10_ENKUlT_T0_E_clISt17integral_constantIbLb1EES1U_IbLb0EEEEDaS1Q_S1R_EUlS1Q_E_NS1_11comp_targetILNS1_3genE3ELNS1_11target_archE908ELNS1_3gpuE7ELNS1_3repE0EEENS1_30default_config_static_selectorELNS0_4arch9wavefront6targetE1EEEvS13_.private_seg_size, 0
	.set _ZN7rocprim17ROCPRIM_400000_NS6detail17trampoline_kernelINS0_13select_configILj256ELj13ELNS0_17block_load_methodE3ELS4_3ELS4_3ELNS0_20block_scan_algorithmE0ELj4294967295EEENS1_25partition_config_selectorILNS1_17partition_subalgoE4EjNS0_10empty_typeEbEEZZNS1_14partition_implILS8_4ELb0ES6_15HIP_vector_typeIjLj2EENS0_17counting_iteratorIjlEEPS9_SG_NS0_5tupleIJPjSI_NS0_16reverse_iteratorISI_EEEEENSH_IJSG_SG_SG_EEES9_SI_JZNS1_25segmented_radix_sort_implINS0_14default_configELb1EPK12hip_bfloat16PSP_PKlPlN2at6native12_GLOBAL__N_18offset_tEEE10hipError_tPvRmT1_PNSt15iterator_traitsIS13_E10value_typeET2_T3_PNS14_IS19_E10value_typeET4_jRbjT5_S1F_jjP12ihipStream_tbEUljE_ZNSN_ISO_Lb1ESR_SS_SU_SV_SZ_EES10_S11_S12_S13_S17_S18_S19_S1C_S1D_jS1E_jS1F_S1F_jjS1H_bEUljE0_EEES10_S11_S12_S19_S1D_S1F_T6_T7_T9_mT8_S1H_bDpT10_ENKUlT_T0_E_clISt17integral_constantIbLb1EES1U_IbLb0EEEEDaS1Q_S1R_EUlS1Q_E_NS1_11comp_targetILNS1_3genE3ELNS1_11target_archE908ELNS1_3gpuE7ELNS1_3repE0EEENS1_30default_config_static_selectorELNS0_4arch9wavefront6targetE1EEEvS13_.uses_vcc, 0
	.set _ZN7rocprim17ROCPRIM_400000_NS6detail17trampoline_kernelINS0_13select_configILj256ELj13ELNS0_17block_load_methodE3ELS4_3ELS4_3ELNS0_20block_scan_algorithmE0ELj4294967295EEENS1_25partition_config_selectorILNS1_17partition_subalgoE4EjNS0_10empty_typeEbEEZZNS1_14partition_implILS8_4ELb0ES6_15HIP_vector_typeIjLj2EENS0_17counting_iteratorIjlEEPS9_SG_NS0_5tupleIJPjSI_NS0_16reverse_iteratorISI_EEEEENSH_IJSG_SG_SG_EEES9_SI_JZNS1_25segmented_radix_sort_implINS0_14default_configELb1EPK12hip_bfloat16PSP_PKlPlN2at6native12_GLOBAL__N_18offset_tEEE10hipError_tPvRmT1_PNSt15iterator_traitsIS13_E10value_typeET2_T3_PNS14_IS19_E10value_typeET4_jRbjT5_S1F_jjP12ihipStream_tbEUljE_ZNSN_ISO_Lb1ESR_SS_SU_SV_SZ_EES10_S11_S12_S13_S17_S18_S19_S1C_S1D_jS1E_jS1F_S1F_jjS1H_bEUljE0_EEES10_S11_S12_S19_S1D_S1F_T6_T7_T9_mT8_S1H_bDpT10_ENKUlT_T0_E_clISt17integral_constantIbLb1EES1U_IbLb0EEEEDaS1Q_S1R_EUlS1Q_E_NS1_11comp_targetILNS1_3genE3ELNS1_11target_archE908ELNS1_3gpuE7ELNS1_3repE0EEENS1_30default_config_static_selectorELNS0_4arch9wavefront6targetE1EEEvS13_.uses_flat_scratch, 0
	.set _ZN7rocprim17ROCPRIM_400000_NS6detail17trampoline_kernelINS0_13select_configILj256ELj13ELNS0_17block_load_methodE3ELS4_3ELS4_3ELNS0_20block_scan_algorithmE0ELj4294967295EEENS1_25partition_config_selectorILNS1_17partition_subalgoE4EjNS0_10empty_typeEbEEZZNS1_14partition_implILS8_4ELb0ES6_15HIP_vector_typeIjLj2EENS0_17counting_iteratorIjlEEPS9_SG_NS0_5tupleIJPjSI_NS0_16reverse_iteratorISI_EEEEENSH_IJSG_SG_SG_EEES9_SI_JZNS1_25segmented_radix_sort_implINS0_14default_configELb1EPK12hip_bfloat16PSP_PKlPlN2at6native12_GLOBAL__N_18offset_tEEE10hipError_tPvRmT1_PNSt15iterator_traitsIS13_E10value_typeET2_T3_PNS14_IS19_E10value_typeET4_jRbjT5_S1F_jjP12ihipStream_tbEUljE_ZNSN_ISO_Lb1ESR_SS_SU_SV_SZ_EES10_S11_S12_S13_S17_S18_S19_S1C_S1D_jS1E_jS1F_S1F_jjS1H_bEUljE0_EEES10_S11_S12_S19_S1D_S1F_T6_T7_T9_mT8_S1H_bDpT10_ENKUlT_T0_E_clISt17integral_constantIbLb1EES1U_IbLb0EEEEDaS1Q_S1R_EUlS1Q_E_NS1_11comp_targetILNS1_3genE3ELNS1_11target_archE908ELNS1_3gpuE7ELNS1_3repE0EEENS1_30default_config_static_selectorELNS0_4arch9wavefront6targetE1EEEvS13_.has_dyn_sized_stack, 0
	.set _ZN7rocprim17ROCPRIM_400000_NS6detail17trampoline_kernelINS0_13select_configILj256ELj13ELNS0_17block_load_methodE3ELS4_3ELS4_3ELNS0_20block_scan_algorithmE0ELj4294967295EEENS1_25partition_config_selectorILNS1_17partition_subalgoE4EjNS0_10empty_typeEbEEZZNS1_14partition_implILS8_4ELb0ES6_15HIP_vector_typeIjLj2EENS0_17counting_iteratorIjlEEPS9_SG_NS0_5tupleIJPjSI_NS0_16reverse_iteratorISI_EEEEENSH_IJSG_SG_SG_EEES9_SI_JZNS1_25segmented_radix_sort_implINS0_14default_configELb1EPK12hip_bfloat16PSP_PKlPlN2at6native12_GLOBAL__N_18offset_tEEE10hipError_tPvRmT1_PNSt15iterator_traitsIS13_E10value_typeET2_T3_PNS14_IS19_E10value_typeET4_jRbjT5_S1F_jjP12ihipStream_tbEUljE_ZNSN_ISO_Lb1ESR_SS_SU_SV_SZ_EES10_S11_S12_S13_S17_S18_S19_S1C_S1D_jS1E_jS1F_S1F_jjS1H_bEUljE0_EEES10_S11_S12_S19_S1D_S1F_T6_T7_T9_mT8_S1H_bDpT10_ENKUlT_T0_E_clISt17integral_constantIbLb1EES1U_IbLb0EEEEDaS1Q_S1R_EUlS1Q_E_NS1_11comp_targetILNS1_3genE3ELNS1_11target_archE908ELNS1_3gpuE7ELNS1_3repE0EEENS1_30default_config_static_selectorELNS0_4arch9wavefront6targetE1EEEvS13_.has_recursion, 0
	.set _ZN7rocprim17ROCPRIM_400000_NS6detail17trampoline_kernelINS0_13select_configILj256ELj13ELNS0_17block_load_methodE3ELS4_3ELS4_3ELNS0_20block_scan_algorithmE0ELj4294967295EEENS1_25partition_config_selectorILNS1_17partition_subalgoE4EjNS0_10empty_typeEbEEZZNS1_14partition_implILS8_4ELb0ES6_15HIP_vector_typeIjLj2EENS0_17counting_iteratorIjlEEPS9_SG_NS0_5tupleIJPjSI_NS0_16reverse_iteratorISI_EEEEENSH_IJSG_SG_SG_EEES9_SI_JZNS1_25segmented_radix_sort_implINS0_14default_configELb1EPK12hip_bfloat16PSP_PKlPlN2at6native12_GLOBAL__N_18offset_tEEE10hipError_tPvRmT1_PNSt15iterator_traitsIS13_E10value_typeET2_T3_PNS14_IS19_E10value_typeET4_jRbjT5_S1F_jjP12ihipStream_tbEUljE_ZNSN_ISO_Lb1ESR_SS_SU_SV_SZ_EES10_S11_S12_S13_S17_S18_S19_S1C_S1D_jS1E_jS1F_S1F_jjS1H_bEUljE0_EEES10_S11_S12_S19_S1D_S1F_T6_T7_T9_mT8_S1H_bDpT10_ENKUlT_T0_E_clISt17integral_constantIbLb1EES1U_IbLb0EEEEDaS1Q_S1R_EUlS1Q_E_NS1_11comp_targetILNS1_3genE3ELNS1_11target_archE908ELNS1_3gpuE7ELNS1_3repE0EEENS1_30default_config_static_selectorELNS0_4arch9wavefront6targetE1EEEvS13_.has_indirect_call, 0
	.section	.AMDGPU.csdata,"",@progbits
; Kernel info:
; codeLenInByte = 0
; TotalNumSgprs: 4
; NumVgprs: 0
; ScratchSize: 0
; MemoryBound: 0
; FloatMode: 240
; IeeeMode: 1
; LDSByteSize: 0 bytes/workgroup (compile time only)
; SGPRBlocks: 0
; VGPRBlocks: 0
; NumSGPRsForWavesPerEU: 4
; NumVGPRsForWavesPerEU: 1
; Occupancy: 10
; WaveLimiterHint : 0
; COMPUTE_PGM_RSRC2:SCRATCH_EN: 0
; COMPUTE_PGM_RSRC2:USER_SGPR: 6
; COMPUTE_PGM_RSRC2:TRAP_HANDLER: 0
; COMPUTE_PGM_RSRC2:TGID_X_EN: 1
; COMPUTE_PGM_RSRC2:TGID_Y_EN: 0
; COMPUTE_PGM_RSRC2:TGID_Z_EN: 0
; COMPUTE_PGM_RSRC2:TIDIG_COMP_CNT: 0
	.section	.text._ZN7rocprim17ROCPRIM_400000_NS6detail17trampoline_kernelINS0_13select_configILj256ELj13ELNS0_17block_load_methodE3ELS4_3ELS4_3ELNS0_20block_scan_algorithmE0ELj4294967295EEENS1_25partition_config_selectorILNS1_17partition_subalgoE4EjNS0_10empty_typeEbEEZZNS1_14partition_implILS8_4ELb0ES6_15HIP_vector_typeIjLj2EENS0_17counting_iteratorIjlEEPS9_SG_NS0_5tupleIJPjSI_NS0_16reverse_iteratorISI_EEEEENSH_IJSG_SG_SG_EEES9_SI_JZNS1_25segmented_radix_sort_implINS0_14default_configELb1EPK12hip_bfloat16PSP_PKlPlN2at6native12_GLOBAL__N_18offset_tEEE10hipError_tPvRmT1_PNSt15iterator_traitsIS13_E10value_typeET2_T3_PNS14_IS19_E10value_typeET4_jRbjT5_S1F_jjP12ihipStream_tbEUljE_ZNSN_ISO_Lb1ESR_SS_SU_SV_SZ_EES10_S11_S12_S13_S17_S18_S19_S1C_S1D_jS1E_jS1F_S1F_jjS1H_bEUljE0_EEES10_S11_S12_S19_S1D_S1F_T6_T7_T9_mT8_S1H_bDpT10_ENKUlT_T0_E_clISt17integral_constantIbLb1EES1U_IbLb0EEEEDaS1Q_S1R_EUlS1Q_E_NS1_11comp_targetILNS1_3genE2ELNS1_11target_archE906ELNS1_3gpuE6ELNS1_3repE0EEENS1_30default_config_static_selectorELNS0_4arch9wavefront6targetE1EEEvS13_,"axG",@progbits,_ZN7rocprim17ROCPRIM_400000_NS6detail17trampoline_kernelINS0_13select_configILj256ELj13ELNS0_17block_load_methodE3ELS4_3ELS4_3ELNS0_20block_scan_algorithmE0ELj4294967295EEENS1_25partition_config_selectorILNS1_17partition_subalgoE4EjNS0_10empty_typeEbEEZZNS1_14partition_implILS8_4ELb0ES6_15HIP_vector_typeIjLj2EENS0_17counting_iteratorIjlEEPS9_SG_NS0_5tupleIJPjSI_NS0_16reverse_iteratorISI_EEEEENSH_IJSG_SG_SG_EEES9_SI_JZNS1_25segmented_radix_sort_implINS0_14default_configELb1EPK12hip_bfloat16PSP_PKlPlN2at6native12_GLOBAL__N_18offset_tEEE10hipError_tPvRmT1_PNSt15iterator_traitsIS13_E10value_typeET2_T3_PNS14_IS19_E10value_typeET4_jRbjT5_S1F_jjP12ihipStream_tbEUljE_ZNSN_ISO_Lb1ESR_SS_SU_SV_SZ_EES10_S11_S12_S13_S17_S18_S19_S1C_S1D_jS1E_jS1F_S1F_jjS1H_bEUljE0_EEES10_S11_S12_S19_S1D_S1F_T6_T7_T9_mT8_S1H_bDpT10_ENKUlT_T0_E_clISt17integral_constantIbLb1EES1U_IbLb0EEEEDaS1Q_S1R_EUlS1Q_E_NS1_11comp_targetILNS1_3genE2ELNS1_11target_archE906ELNS1_3gpuE6ELNS1_3repE0EEENS1_30default_config_static_selectorELNS0_4arch9wavefront6targetE1EEEvS13_,comdat
	.globl	_ZN7rocprim17ROCPRIM_400000_NS6detail17trampoline_kernelINS0_13select_configILj256ELj13ELNS0_17block_load_methodE3ELS4_3ELS4_3ELNS0_20block_scan_algorithmE0ELj4294967295EEENS1_25partition_config_selectorILNS1_17partition_subalgoE4EjNS0_10empty_typeEbEEZZNS1_14partition_implILS8_4ELb0ES6_15HIP_vector_typeIjLj2EENS0_17counting_iteratorIjlEEPS9_SG_NS0_5tupleIJPjSI_NS0_16reverse_iteratorISI_EEEEENSH_IJSG_SG_SG_EEES9_SI_JZNS1_25segmented_radix_sort_implINS0_14default_configELb1EPK12hip_bfloat16PSP_PKlPlN2at6native12_GLOBAL__N_18offset_tEEE10hipError_tPvRmT1_PNSt15iterator_traitsIS13_E10value_typeET2_T3_PNS14_IS19_E10value_typeET4_jRbjT5_S1F_jjP12ihipStream_tbEUljE_ZNSN_ISO_Lb1ESR_SS_SU_SV_SZ_EES10_S11_S12_S13_S17_S18_S19_S1C_S1D_jS1E_jS1F_S1F_jjS1H_bEUljE0_EEES10_S11_S12_S19_S1D_S1F_T6_T7_T9_mT8_S1H_bDpT10_ENKUlT_T0_E_clISt17integral_constantIbLb1EES1U_IbLb0EEEEDaS1Q_S1R_EUlS1Q_E_NS1_11comp_targetILNS1_3genE2ELNS1_11target_archE906ELNS1_3gpuE6ELNS1_3repE0EEENS1_30default_config_static_selectorELNS0_4arch9wavefront6targetE1EEEvS13_ ; -- Begin function _ZN7rocprim17ROCPRIM_400000_NS6detail17trampoline_kernelINS0_13select_configILj256ELj13ELNS0_17block_load_methodE3ELS4_3ELS4_3ELNS0_20block_scan_algorithmE0ELj4294967295EEENS1_25partition_config_selectorILNS1_17partition_subalgoE4EjNS0_10empty_typeEbEEZZNS1_14partition_implILS8_4ELb0ES6_15HIP_vector_typeIjLj2EENS0_17counting_iteratorIjlEEPS9_SG_NS0_5tupleIJPjSI_NS0_16reverse_iteratorISI_EEEEENSH_IJSG_SG_SG_EEES9_SI_JZNS1_25segmented_radix_sort_implINS0_14default_configELb1EPK12hip_bfloat16PSP_PKlPlN2at6native12_GLOBAL__N_18offset_tEEE10hipError_tPvRmT1_PNSt15iterator_traitsIS13_E10value_typeET2_T3_PNS14_IS19_E10value_typeET4_jRbjT5_S1F_jjP12ihipStream_tbEUljE_ZNSN_ISO_Lb1ESR_SS_SU_SV_SZ_EES10_S11_S12_S13_S17_S18_S19_S1C_S1D_jS1E_jS1F_S1F_jjS1H_bEUljE0_EEES10_S11_S12_S19_S1D_S1F_T6_T7_T9_mT8_S1H_bDpT10_ENKUlT_T0_E_clISt17integral_constantIbLb1EES1U_IbLb0EEEEDaS1Q_S1R_EUlS1Q_E_NS1_11comp_targetILNS1_3genE2ELNS1_11target_archE906ELNS1_3gpuE6ELNS1_3repE0EEENS1_30default_config_static_selectorELNS0_4arch9wavefront6targetE1EEEvS13_
	.p2align	8
	.type	_ZN7rocprim17ROCPRIM_400000_NS6detail17trampoline_kernelINS0_13select_configILj256ELj13ELNS0_17block_load_methodE3ELS4_3ELS4_3ELNS0_20block_scan_algorithmE0ELj4294967295EEENS1_25partition_config_selectorILNS1_17partition_subalgoE4EjNS0_10empty_typeEbEEZZNS1_14partition_implILS8_4ELb0ES6_15HIP_vector_typeIjLj2EENS0_17counting_iteratorIjlEEPS9_SG_NS0_5tupleIJPjSI_NS0_16reverse_iteratorISI_EEEEENSH_IJSG_SG_SG_EEES9_SI_JZNS1_25segmented_radix_sort_implINS0_14default_configELb1EPK12hip_bfloat16PSP_PKlPlN2at6native12_GLOBAL__N_18offset_tEEE10hipError_tPvRmT1_PNSt15iterator_traitsIS13_E10value_typeET2_T3_PNS14_IS19_E10value_typeET4_jRbjT5_S1F_jjP12ihipStream_tbEUljE_ZNSN_ISO_Lb1ESR_SS_SU_SV_SZ_EES10_S11_S12_S13_S17_S18_S19_S1C_S1D_jS1E_jS1F_S1F_jjS1H_bEUljE0_EEES10_S11_S12_S19_S1D_S1F_T6_T7_T9_mT8_S1H_bDpT10_ENKUlT_T0_E_clISt17integral_constantIbLb1EES1U_IbLb0EEEEDaS1Q_S1R_EUlS1Q_E_NS1_11comp_targetILNS1_3genE2ELNS1_11target_archE906ELNS1_3gpuE6ELNS1_3repE0EEENS1_30default_config_static_selectorELNS0_4arch9wavefront6targetE1EEEvS13_,@function
_ZN7rocprim17ROCPRIM_400000_NS6detail17trampoline_kernelINS0_13select_configILj256ELj13ELNS0_17block_load_methodE3ELS4_3ELS4_3ELNS0_20block_scan_algorithmE0ELj4294967295EEENS1_25partition_config_selectorILNS1_17partition_subalgoE4EjNS0_10empty_typeEbEEZZNS1_14partition_implILS8_4ELb0ES6_15HIP_vector_typeIjLj2EENS0_17counting_iteratorIjlEEPS9_SG_NS0_5tupleIJPjSI_NS0_16reverse_iteratorISI_EEEEENSH_IJSG_SG_SG_EEES9_SI_JZNS1_25segmented_radix_sort_implINS0_14default_configELb1EPK12hip_bfloat16PSP_PKlPlN2at6native12_GLOBAL__N_18offset_tEEE10hipError_tPvRmT1_PNSt15iterator_traitsIS13_E10value_typeET2_T3_PNS14_IS19_E10value_typeET4_jRbjT5_S1F_jjP12ihipStream_tbEUljE_ZNSN_ISO_Lb1ESR_SS_SU_SV_SZ_EES10_S11_S12_S13_S17_S18_S19_S1C_S1D_jS1E_jS1F_S1F_jjS1H_bEUljE0_EEES10_S11_S12_S19_S1D_S1F_T6_T7_T9_mT8_S1H_bDpT10_ENKUlT_T0_E_clISt17integral_constantIbLb1EES1U_IbLb0EEEEDaS1Q_S1R_EUlS1Q_E_NS1_11comp_targetILNS1_3genE2ELNS1_11target_archE906ELNS1_3gpuE6ELNS1_3repE0EEENS1_30default_config_static_selectorELNS0_4arch9wavefront6targetE1EEEvS13_: ; @_ZN7rocprim17ROCPRIM_400000_NS6detail17trampoline_kernelINS0_13select_configILj256ELj13ELNS0_17block_load_methodE3ELS4_3ELS4_3ELNS0_20block_scan_algorithmE0ELj4294967295EEENS1_25partition_config_selectorILNS1_17partition_subalgoE4EjNS0_10empty_typeEbEEZZNS1_14partition_implILS8_4ELb0ES6_15HIP_vector_typeIjLj2EENS0_17counting_iteratorIjlEEPS9_SG_NS0_5tupleIJPjSI_NS0_16reverse_iteratorISI_EEEEENSH_IJSG_SG_SG_EEES9_SI_JZNS1_25segmented_radix_sort_implINS0_14default_configELb1EPK12hip_bfloat16PSP_PKlPlN2at6native12_GLOBAL__N_18offset_tEEE10hipError_tPvRmT1_PNSt15iterator_traitsIS13_E10value_typeET2_T3_PNS14_IS19_E10value_typeET4_jRbjT5_S1F_jjP12ihipStream_tbEUljE_ZNSN_ISO_Lb1ESR_SS_SU_SV_SZ_EES10_S11_S12_S13_S17_S18_S19_S1C_S1D_jS1E_jS1F_S1F_jjS1H_bEUljE0_EEES10_S11_S12_S19_S1D_S1F_T6_T7_T9_mT8_S1H_bDpT10_ENKUlT_T0_E_clISt17integral_constantIbLb1EES1U_IbLb0EEEEDaS1Q_S1R_EUlS1Q_E_NS1_11comp_targetILNS1_3genE2ELNS1_11target_archE906ELNS1_3gpuE6ELNS1_3repE0EEENS1_30default_config_static_selectorELNS0_4arch9wavefront6targetE1EEEvS13_
; %bb.0:
	s_endpgm
	.section	.rodata,"a",@progbits
	.p2align	6, 0x0
	.amdhsa_kernel _ZN7rocprim17ROCPRIM_400000_NS6detail17trampoline_kernelINS0_13select_configILj256ELj13ELNS0_17block_load_methodE3ELS4_3ELS4_3ELNS0_20block_scan_algorithmE0ELj4294967295EEENS1_25partition_config_selectorILNS1_17partition_subalgoE4EjNS0_10empty_typeEbEEZZNS1_14partition_implILS8_4ELb0ES6_15HIP_vector_typeIjLj2EENS0_17counting_iteratorIjlEEPS9_SG_NS0_5tupleIJPjSI_NS0_16reverse_iteratorISI_EEEEENSH_IJSG_SG_SG_EEES9_SI_JZNS1_25segmented_radix_sort_implINS0_14default_configELb1EPK12hip_bfloat16PSP_PKlPlN2at6native12_GLOBAL__N_18offset_tEEE10hipError_tPvRmT1_PNSt15iterator_traitsIS13_E10value_typeET2_T3_PNS14_IS19_E10value_typeET4_jRbjT5_S1F_jjP12ihipStream_tbEUljE_ZNSN_ISO_Lb1ESR_SS_SU_SV_SZ_EES10_S11_S12_S13_S17_S18_S19_S1C_S1D_jS1E_jS1F_S1F_jjS1H_bEUljE0_EEES10_S11_S12_S19_S1D_S1F_T6_T7_T9_mT8_S1H_bDpT10_ENKUlT_T0_E_clISt17integral_constantIbLb1EES1U_IbLb0EEEEDaS1Q_S1R_EUlS1Q_E_NS1_11comp_targetILNS1_3genE2ELNS1_11target_archE906ELNS1_3gpuE6ELNS1_3repE0EEENS1_30default_config_static_selectorELNS0_4arch9wavefront6targetE1EEEvS13_
		.amdhsa_group_segment_fixed_size 0
		.amdhsa_private_segment_fixed_size 0
		.amdhsa_kernarg_size 176
		.amdhsa_user_sgpr_count 6
		.amdhsa_user_sgpr_private_segment_buffer 1
		.amdhsa_user_sgpr_dispatch_ptr 0
		.amdhsa_user_sgpr_queue_ptr 0
		.amdhsa_user_sgpr_kernarg_segment_ptr 1
		.amdhsa_user_sgpr_dispatch_id 0
		.amdhsa_user_sgpr_flat_scratch_init 0
		.amdhsa_user_sgpr_private_segment_size 0
		.amdhsa_uses_dynamic_stack 0
		.amdhsa_system_sgpr_private_segment_wavefront_offset 0
		.amdhsa_system_sgpr_workgroup_id_x 1
		.amdhsa_system_sgpr_workgroup_id_y 0
		.amdhsa_system_sgpr_workgroup_id_z 0
		.amdhsa_system_sgpr_workgroup_info 0
		.amdhsa_system_vgpr_workitem_id 0
		.amdhsa_next_free_vgpr 1
		.amdhsa_next_free_sgpr 0
		.amdhsa_reserve_vcc 0
		.amdhsa_reserve_flat_scratch 0
		.amdhsa_float_round_mode_32 0
		.amdhsa_float_round_mode_16_64 0
		.amdhsa_float_denorm_mode_32 3
		.amdhsa_float_denorm_mode_16_64 3
		.amdhsa_dx10_clamp 1
		.amdhsa_ieee_mode 1
		.amdhsa_fp16_overflow 0
		.amdhsa_exception_fp_ieee_invalid_op 0
		.amdhsa_exception_fp_denorm_src 0
		.amdhsa_exception_fp_ieee_div_zero 0
		.amdhsa_exception_fp_ieee_overflow 0
		.amdhsa_exception_fp_ieee_underflow 0
		.amdhsa_exception_fp_ieee_inexact 0
		.amdhsa_exception_int_div_zero 0
	.end_amdhsa_kernel
	.section	.text._ZN7rocprim17ROCPRIM_400000_NS6detail17trampoline_kernelINS0_13select_configILj256ELj13ELNS0_17block_load_methodE3ELS4_3ELS4_3ELNS0_20block_scan_algorithmE0ELj4294967295EEENS1_25partition_config_selectorILNS1_17partition_subalgoE4EjNS0_10empty_typeEbEEZZNS1_14partition_implILS8_4ELb0ES6_15HIP_vector_typeIjLj2EENS0_17counting_iteratorIjlEEPS9_SG_NS0_5tupleIJPjSI_NS0_16reverse_iteratorISI_EEEEENSH_IJSG_SG_SG_EEES9_SI_JZNS1_25segmented_radix_sort_implINS0_14default_configELb1EPK12hip_bfloat16PSP_PKlPlN2at6native12_GLOBAL__N_18offset_tEEE10hipError_tPvRmT1_PNSt15iterator_traitsIS13_E10value_typeET2_T3_PNS14_IS19_E10value_typeET4_jRbjT5_S1F_jjP12ihipStream_tbEUljE_ZNSN_ISO_Lb1ESR_SS_SU_SV_SZ_EES10_S11_S12_S13_S17_S18_S19_S1C_S1D_jS1E_jS1F_S1F_jjS1H_bEUljE0_EEES10_S11_S12_S19_S1D_S1F_T6_T7_T9_mT8_S1H_bDpT10_ENKUlT_T0_E_clISt17integral_constantIbLb1EES1U_IbLb0EEEEDaS1Q_S1R_EUlS1Q_E_NS1_11comp_targetILNS1_3genE2ELNS1_11target_archE906ELNS1_3gpuE6ELNS1_3repE0EEENS1_30default_config_static_selectorELNS0_4arch9wavefront6targetE1EEEvS13_,"axG",@progbits,_ZN7rocprim17ROCPRIM_400000_NS6detail17trampoline_kernelINS0_13select_configILj256ELj13ELNS0_17block_load_methodE3ELS4_3ELS4_3ELNS0_20block_scan_algorithmE0ELj4294967295EEENS1_25partition_config_selectorILNS1_17partition_subalgoE4EjNS0_10empty_typeEbEEZZNS1_14partition_implILS8_4ELb0ES6_15HIP_vector_typeIjLj2EENS0_17counting_iteratorIjlEEPS9_SG_NS0_5tupleIJPjSI_NS0_16reverse_iteratorISI_EEEEENSH_IJSG_SG_SG_EEES9_SI_JZNS1_25segmented_radix_sort_implINS0_14default_configELb1EPK12hip_bfloat16PSP_PKlPlN2at6native12_GLOBAL__N_18offset_tEEE10hipError_tPvRmT1_PNSt15iterator_traitsIS13_E10value_typeET2_T3_PNS14_IS19_E10value_typeET4_jRbjT5_S1F_jjP12ihipStream_tbEUljE_ZNSN_ISO_Lb1ESR_SS_SU_SV_SZ_EES10_S11_S12_S13_S17_S18_S19_S1C_S1D_jS1E_jS1F_S1F_jjS1H_bEUljE0_EEES10_S11_S12_S19_S1D_S1F_T6_T7_T9_mT8_S1H_bDpT10_ENKUlT_T0_E_clISt17integral_constantIbLb1EES1U_IbLb0EEEEDaS1Q_S1R_EUlS1Q_E_NS1_11comp_targetILNS1_3genE2ELNS1_11target_archE906ELNS1_3gpuE6ELNS1_3repE0EEENS1_30default_config_static_selectorELNS0_4arch9wavefront6targetE1EEEvS13_,comdat
.Lfunc_end1902:
	.size	_ZN7rocprim17ROCPRIM_400000_NS6detail17trampoline_kernelINS0_13select_configILj256ELj13ELNS0_17block_load_methodE3ELS4_3ELS4_3ELNS0_20block_scan_algorithmE0ELj4294967295EEENS1_25partition_config_selectorILNS1_17partition_subalgoE4EjNS0_10empty_typeEbEEZZNS1_14partition_implILS8_4ELb0ES6_15HIP_vector_typeIjLj2EENS0_17counting_iteratorIjlEEPS9_SG_NS0_5tupleIJPjSI_NS0_16reverse_iteratorISI_EEEEENSH_IJSG_SG_SG_EEES9_SI_JZNS1_25segmented_radix_sort_implINS0_14default_configELb1EPK12hip_bfloat16PSP_PKlPlN2at6native12_GLOBAL__N_18offset_tEEE10hipError_tPvRmT1_PNSt15iterator_traitsIS13_E10value_typeET2_T3_PNS14_IS19_E10value_typeET4_jRbjT5_S1F_jjP12ihipStream_tbEUljE_ZNSN_ISO_Lb1ESR_SS_SU_SV_SZ_EES10_S11_S12_S13_S17_S18_S19_S1C_S1D_jS1E_jS1F_S1F_jjS1H_bEUljE0_EEES10_S11_S12_S19_S1D_S1F_T6_T7_T9_mT8_S1H_bDpT10_ENKUlT_T0_E_clISt17integral_constantIbLb1EES1U_IbLb0EEEEDaS1Q_S1R_EUlS1Q_E_NS1_11comp_targetILNS1_3genE2ELNS1_11target_archE906ELNS1_3gpuE6ELNS1_3repE0EEENS1_30default_config_static_selectorELNS0_4arch9wavefront6targetE1EEEvS13_, .Lfunc_end1902-_ZN7rocprim17ROCPRIM_400000_NS6detail17trampoline_kernelINS0_13select_configILj256ELj13ELNS0_17block_load_methodE3ELS4_3ELS4_3ELNS0_20block_scan_algorithmE0ELj4294967295EEENS1_25partition_config_selectorILNS1_17partition_subalgoE4EjNS0_10empty_typeEbEEZZNS1_14partition_implILS8_4ELb0ES6_15HIP_vector_typeIjLj2EENS0_17counting_iteratorIjlEEPS9_SG_NS0_5tupleIJPjSI_NS0_16reverse_iteratorISI_EEEEENSH_IJSG_SG_SG_EEES9_SI_JZNS1_25segmented_radix_sort_implINS0_14default_configELb1EPK12hip_bfloat16PSP_PKlPlN2at6native12_GLOBAL__N_18offset_tEEE10hipError_tPvRmT1_PNSt15iterator_traitsIS13_E10value_typeET2_T3_PNS14_IS19_E10value_typeET4_jRbjT5_S1F_jjP12ihipStream_tbEUljE_ZNSN_ISO_Lb1ESR_SS_SU_SV_SZ_EES10_S11_S12_S13_S17_S18_S19_S1C_S1D_jS1E_jS1F_S1F_jjS1H_bEUljE0_EEES10_S11_S12_S19_S1D_S1F_T6_T7_T9_mT8_S1H_bDpT10_ENKUlT_T0_E_clISt17integral_constantIbLb1EES1U_IbLb0EEEEDaS1Q_S1R_EUlS1Q_E_NS1_11comp_targetILNS1_3genE2ELNS1_11target_archE906ELNS1_3gpuE6ELNS1_3repE0EEENS1_30default_config_static_selectorELNS0_4arch9wavefront6targetE1EEEvS13_
                                        ; -- End function
	.set _ZN7rocprim17ROCPRIM_400000_NS6detail17trampoline_kernelINS0_13select_configILj256ELj13ELNS0_17block_load_methodE3ELS4_3ELS4_3ELNS0_20block_scan_algorithmE0ELj4294967295EEENS1_25partition_config_selectorILNS1_17partition_subalgoE4EjNS0_10empty_typeEbEEZZNS1_14partition_implILS8_4ELb0ES6_15HIP_vector_typeIjLj2EENS0_17counting_iteratorIjlEEPS9_SG_NS0_5tupleIJPjSI_NS0_16reverse_iteratorISI_EEEEENSH_IJSG_SG_SG_EEES9_SI_JZNS1_25segmented_radix_sort_implINS0_14default_configELb1EPK12hip_bfloat16PSP_PKlPlN2at6native12_GLOBAL__N_18offset_tEEE10hipError_tPvRmT1_PNSt15iterator_traitsIS13_E10value_typeET2_T3_PNS14_IS19_E10value_typeET4_jRbjT5_S1F_jjP12ihipStream_tbEUljE_ZNSN_ISO_Lb1ESR_SS_SU_SV_SZ_EES10_S11_S12_S13_S17_S18_S19_S1C_S1D_jS1E_jS1F_S1F_jjS1H_bEUljE0_EEES10_S11_S12_S19_S1D_S1F_T6_T7_T9_mT8_S1H_bDpT10_ENKUlT_T0_E_clISt17integral_constantIbLb1EES1U_IbLb0EEEEDaS1Q_S1R_EUlS1Q_E_NS1_11comp_targetILNS1_3genE2ELNS1_11target_archE906ELNS1_3gpuE6ELNS1_3repE0EEENS1_30default_config_static_selectorELNS0_4arch9wavefront6targetE1EEEvS13_.num_vgpr, 0
	.set _ZN7rocprim17ROCPRIM_400000_NS6detail17trampoline_kernelINS0_13select_configILj256ELj13ELNS0_17block_load_methodE3ELS4_3ELS4_3ELNS0_20block_scan_algorithmE0ELj4294967295EEENS1_25partition_config_selectorILNS1_17partition_subalgoE4EjNS0_10empty_typeEbEEZZNS1_14partition_implILS8_4ELb0ES6_15HIP_vector_typeIjLj2EENS0_17counting_iteratorIjlEEPS9_SG_NS0_5tupleIJPjSI_NS0_16reverse_iteratorISI_EEEEENSH_IJSG_SG_SG_EEES9_SI_JZNS1_25segmented_radix_sort_implINS0_14default_configELb1EPK12hip_bfloat16PSP_PKlPlN2at6native12_GLOBAL__N_18offset_tEEE10hipError_tPvRmT1_PNSt15iterator_traitsIS13_E10value_typeET2_T3_PNS14_IS19_E10value_typeET4_jRbjT5_S1F_jjP12ihipStream_tbEUljE_ZNSN_ISO_Lb1ESR_SS_SU_SV_SZ_EES10_S11_S12_S13_S17_S18_S19_S1C_S1D_jS1E_jS1F_S1F_jjS1H_bEUljE0_EEES10_S11_S12_S19_S1D_S1F_T6_T7_T9_mT8_S1H_bDpT10_ENKUlT_T0_E_clISt17integral_constantIbLb1EES1U_IbLb0EEEEDaS1Q_S1R_EUlS1Q_E_NS1_11comp_targetILNS1_3genE2ELNS1_11target_archE906ELNS1_3gpuE6ELNS1_3repE0EEENS1_30default_config_static_selectorELNS0_4arch9wavefront6targetE1EEEvS13_.num_agpr, 0
	.set _ZN7rocprim17ROCPRIM_400000_NS6detail17trampoline_kernelINS0_13select_configILj256ELj13ELNS0_17block_load_methodE3ELS4_3ELS4_3ELNS0_20block_scan_algorithmE0ELj4294967295EEENS1_25partition_config_selectorILNS1_17partition_subalgoE4EjNS0_10empty_typeEbEEZZNS1_14partition_implILS8_4ELb0ES6_15HIP_vector_typeIjLj2EENS0_17counting_iteratorIjlEEPS9_SG_NS0_5tupleIJPjSI_NS0_16reverse_iteratorISI_EEEEENSH_IJSG_SG_SG_EEES9_SI_JZNS1_25segmented_radix_sort_implINS0_14default_configELb1EPK12hip_bfloat16PSP_PKlPlN2at6native12_GLOBAL__N_18offset_tEEE10hipError_tPvRmT1_PNSt15iterator_traitsIS13_E10value_typeET2_T3_PNS14_IS19_E10value_typeET4_jRbjT5_S1F_jjP12ihipStream_tbEUljE_ZNSN_ISO_Lb1ESR_SS_SU_SV_SZ_EES10_S11_S12_S13_S17_S18_S19_S1C_S1D_jS1E_jS1F_S1F_jjS1H_bEUljE0_EEES10_S11_S12_S19_S1D_S1F_T6_T7_T9_mT8_S1H_bDpT10_ENKUlT_T0_E_clISt17integral_constantIbLb1EES1U_IbLb0EEEEDaS1Q_S1R_EUlS1Q_E_NS1_11comp_targetILNS1_3genE2ELNS1_11target_archE906ELNS1_3gpuE6ELNS1_3repE0EEENS1_30default_config_static_selectorELNS0_4arch9wavefront6targetE1EEEvS13_.numbered_sgpr, 0
	.set _ZN7rocprim17ROCPRIM_400000_NS6detail17trampoline_kernelINS0_13select_configILj256ELj13ELNS0_17block_load_methodE3ELS4_3ELS4_3ELNS0_20block_scan_algorithmE0ELj4294967295EEENS1_25partition_config_selectorILNS1_17partition_subalgoE4EjNS0_10empty_typeEbEEZZNS1_14partition_implILS8_4ELb0ES6_15HIP_vector_typeIjLj2EENS0_17counting_iteratorIjlEEPS9_SG_NS0_5tupleIJPjSI_NS0_16reverse_iteratorISI_EEEEENSH_IJSG_SG_SG_EEES9_SI_JZNS1_25segmented_radix_sort_implINS0_14default_configELb1EPK12hip_bfloat16PSP_PKlPlN2at6native12_GLOBAL__N_18offset_tEEE10hipError_tPvRmT1_PNSt15iterator_traitsIS13_E10value_typeET2_T3_PNS14_IS19_E10value_typeET4_jRbjT5_S1F_jjP12ihipStream_tbEUljE_ZNSN_ISO_Lb1ESR_SS_SU_SV_SZ_EES10_S11_S12_S13_S17_S18_S19_S1C_S1D_jS1E_jS1F_S1F_jjS1H_bEUljE0_EEES10_S11_S12_S19_S1D_S1F_T6_T7_T9_mT8_S1H_bDpT10_ENKUlT_T0_E_clISt17integral_constantIbLb1EES1U_IbLb0EEEEDaS1Q_S1R_EUlS1Q_E_NS1_11comp_targetILNS1_3genE2ELNS1_11target_archE906ELNS1_3gpuE6ELNS1_3repE0EEENS1_30default_config_static_selectorELNS0_4arch9wavefront6targetE1EEEvS13_.num_named_barrier, 0
	.set _ZN7rocprim17ROCPRIM_400000_NS6detail17trampoline_kernelINS0_13select_configILj256ELj13ELNS0_17block_load_methodE3ELS4_3ELS4_3ELNS0_20block_scan_algorithmE0ELj4294967295EEENS1_25partition_config_selectorILNS1_17partition_subalgoE4EjNS0_10empty_typeEbEEZZNS1_14partition_implILS8_4ELb0ES6_15HIP_vector_typeIjLj2EENS0_17counting_iteratorIjlEEPS9_SG_NS0_5tupleIJPjSI_NS0_16reverse_iteratorISI_EEEEENSH_IJSG_SG_SG_EEES9_SI_JZNS1_25segmented_radix_sort_implINS0_14default_configELb1EPK12hip_bfloat16PSP_PKlPlN2at6native12_GLOBAL__N_18offset_tEEE10hipError_tPvRmT1_PNSt15iterator_traitsIS13_E10value_typeET2_T3_PNS14_IS19_E10value_typeET4_jRbjT5_S1F_jjP12ihipStream_tbEUljE_ZNSN_ISO_Lb1ESR_SS_SU_SV_SZ_EES10_S11_S12_S13_S17_S18_S19_S1C_S1D_jS1E_jS1F_S1F_jjS1H_bEUljE0_EEES10_S11_S12_S19_S1D_S1F_T6_T7_T9_mT8_S1H_bDpT10_ENKUlT_T0_E_clISt17integral_constantIbLb1EES1U_IbLb0EEEEDaS1Q_S1R_EUlS1Q_E_NS1_11comp_targetILNS1_3genE2ELNS1_11target_archE906ELNS1_3gpuE6ELNS1_3repE0EEENS1_30default_config_static_selectorELNS0_4arch9wavefront6targetE1EEEvS13_.private_seg_size, 0
	.set _ZN7rocprim17ROCPRIM_400000_NS6detail17trampoline_kernelINS0_13select_configILj256ELj13ELNS0_17block_load_methodE3ELS4_3ELS4_3ELNS0_20block_scan_algorithmE0ELj4294967295EEENS1_25partition_config_selectorILNS1_17partition_subalgoE4EjNS0_10empty_typeEbEEZZNS1_14partition_implILS8_4ELb0ES6_15HIP_vector_typeIjLj2EENS0_17counting_iteratorIjlEEPS9_SG_NS0_5tupleIJPjSI_NS0_16reverse_iteratorISI_EEEEENSH_IJSG_SG_SG_EEES9_SI_JZNS1_25segmented_radix_sort_implINS0_14default_configELb1EPK12hip_bfloat16PSP_PKlPlN2at6native12_GLOBAL__N_18offset_tEEE10hipError_tPvRmT1_PNSt15iterator_traitsIS13_E10value_typeET2_T3_PNS14_IS19_E10value_typeET4_jRbjT5_S1F_jjP12ihipStream_tbEUljE_ZNSN_ISO_Lb1ESR_SS_SU_SV_SZ_EES10_S11_S12_S13_S17_S18_S19_S1C_S1D_jS1E_jS1F_S1F_jjS1H_bEUljE0_EEES10_S11_S12_S19_S1D_S1F_T6_T7_T9_mT8_S1H_bDpT10_ENKUlT_T0_E_clISt17integral_constantIbLb1EES1U_IbLb0EEEEDaS1Q_S1R_EUlS1Q_E_NS1_11comp_targetILNS1_3genE2ELNS1_11target_archE906ELNS1_3gpuE6ELNS1_3repE0EEENS1_30default_config_static_selectorELNS0_4arch9wavefront6targetE1EEEvS13_.uses_vcc, 0
	.set _ZN7rocprim17ROCPRIM_400000_NS6detail17trampoline_kernelINS0_13select_configILj256ELj13ELNS0_17block_load_methodE3ELS4_3ELS4_3ELNS0_20block_scan_algorithmE0ELj4294967295EEENS1_25partition_config_selectorILNS1_17partition_subalgoE4EjNS0_10empty_typeEbEEZZNS1_14partition_implILS8_4ELb0ES6_15HIP_vector_typeIjLj2EENS0_17counting_iteratorIjlEEPS9_SG_NS0_5tupleIJPjSI_NS0_16reverse_iteratorISI_EEEEENSH_IJSG_SG_SG_EEES9_SI_JZNS1_25segmented_radix_sort_implINS0_14default_configELb1EPK12hip_bfloat16PSP_PKlPlN2at6native12_GLOBAL__N_18offset_tEEE10hipError_tPvRmT1_PNSt15iterator_traitsIS13_E10value_typeET2_T3_PNS14_IS19_E10value_typeET4_jRbjT5_S1F_jjP12ihipStream_tbEUljE_ZNSN_ISO_Lb1ESR_SS_SU_SV_SZ_EES10_S11_S12_S13_S17_S18_S19_S1C_S1D_jS1E_jS1F_S1F_jjS1H_bEUljE0_EEES10_S11_S12_S19_S1D_S1F_T6_T7_T9_mT8_S1H_bDpT10_ENKUlT_T0_E_clISt17integral_constantIbLb1EES1U_IbLb0EEEEDaS1Q_S1R_EUlS1Q_E_NS1_11comp_targetILNS1_3genE2ELNS1_11target_archE906ELNS1_3gpuE6ELNS1_3repE0EEENS1_30default_config_static_selectorELNS0_4arch9wavefront6targetE1EEEvS13_.uses_flat_scratch, 0
	.set _ZN7rocprim17ROCPRIM_400000_NS6detail17trampoline_kernelINS0_13select_configILj256ELj13ELNS0_17block_load_methodE3ELS4_3ELS4_3ELNS0_20block_scan_algorithmE0ELj4294967295EEENS1_25partition_config_selectorILNS1_17partition_subalgoE4EjNS0_10empty_typeEbEEZZNS1_14partition_implILS8_4ELb0ES6_15HIP_vector_typeIjLj2EENS0_17counting_iteratorIjlEEPS9_SG_NS0_5tupleIJPjSI_NS0_16reverse_iteratorISI_EEEEENSH_IJSG_SG_SG_EEES9_SI_JZNS1_25segmented_radix_sort_implINS0_14default_configELb1EPK12hip_bfloat16PSP_PKlPlN2at6native12_GLOBAL__N_18offset_tEEE10hipError_tPvRmT1_PNSt15iterator_traitsIS13_E10value_typeET2_T3_PNS14_IS19_E10value_typeET4_jRbjT5_S1F_jjP12ihipStream_tbEUljE_ZNSN_ISO_Lb1ESR_SS_SU_SV_SZ_EES10_S11_S12_S13_S17_S18_S19_S1C_S1D_jS1E_jS1F_S1F_jjS1H_bEUljE0_EEES10_S11_S12_S19_S1D_S1F_T6_T7_T9_mT8_S1H_bDpT10_ENKUlT_T0_E_clISt17integral_constantIbLb1EES1U_IbLb0EEEEDaS1Q_S1R_EUlS1Q_E_NS1_11comp_targetILNS1_3genE2ELNS1_11target_archE906ELNS1_3gpuE6ELNS1_3repE0EEENS1_30default_config_static_selectorELNS0_4arch9wavefront6targetE1EEEvS13_.has_dyn_sized_stack, 0
	.set _ZN7rocprim17ROCPRIM_400000_NS6detail17trampoline_kernelINS0_13select_configILj256ELj13ELNS0_17block_load_methodE3ELS4_3ELS4_3ELNS0_20block_scan_algorithmE0ELj4294967295EEENS1_25partition_config_selectorILNS1_17partition_subalgoE4EjNS0_10empty_typeEbEEZZNS1_14partition_implILS8_4ELb0ES6_15HIP_vector_typeIjLj2EENS0_17counting_iteratorIjlEEPS9_SG_NS0_5tupleIJPjSI_NS0_16reverse_iteratorISI_EEEEENSH_IJSG_SG_SG_EEES9_SI_JZNS1_25segmented_radix_sort_implINS0_14default_configELb1EPK12hip_bfloat16PSP_PKlPlN2at6native12_GLOBAL__N_18offset_tEEE10hipError_tPvRmT1_PNSt15iterator_traitsIS13_E10value_typeET2_T3_PNS14_IS19_E10value_typeET4_jRbjT5_S1F_jjP12ihipStream_tbEUljE_ZNSN_ISO_Lb1ESR_SS_SU_SV_SZ_EES10_S11_S12_S13_S17_S18_S19_S1C_S1D_jS1E_jS1F_S1F_jjS1H_bEUljE0_EEES10_S11_S12_S19_S1D_S1F_T6_T7_T9_mT8_S1H_bDpT10_ENKUlT_T0_E_clISt17integral_constantIbLb1EES1U_IbLb0EEEEDaS1Q_S1R_EUlS1Q_E_NS1_11comp_targetILNS1_3genE2ELNS1_11target_archE906ELNS1_3gpuE6ELNS1_3repE0EEENS1_30default_config_static_selectorELNS0_4arch9wavefront6targetE1EEEvS13_.has_recursion, 0
	.set _ZN7rocprim17ROCPRIM_400000_NS6detail17trampoline_kernelINS0_13select_configILj256ELj13ELNS0_17block_load_methodE3ELS4_3ELS4_3ELNS0_20block_scan_algorithmE0ELj4294967295EEENS1_25partition_config_selectorILNS1_17partition_subalgoE4EjNS0_10empty_typeEbEEZZNS1_14partition_implILS8_4ELb0ES6_15HIP_vector_typeIjLj2EENS0_17counting_iteratorIjlEEPS9_SG_NS0_5tupleIJPjSI_NS0_16reverse_iteratorISI_EEEEENSH_IJSG_SG_SG_EEES9_SI_JZNS1_25segmented_radix_sort_implINS0_14default_configELb1EPK12hip_bfloat16PSP_PKlPlN2at6native12_GLOBAL__N_18offset_tEEE10hipError_tPvRmT1_PNSt15iterator_traitsIS13_E10value_typeET2_T3_PNS14_IS19_E10value_typeET4_jRbjT5_S1F_jjP12ihipStream_tbEUljE_ZNSN_ISO_Lb1ESR_SS_SU_SV_SZ_EES10_S11_S12_S13_S17_S18_S19_S1C_S1D_jS1E_jS1F_S1F_jjS1H_bEUljE0_EEES10_S11_S12_S19_S1D_S1F_T6_T7_T9_mT8_S1H_bDpT10_ENKUlT_T0_E_clISt17integral_constantIbLb1EES1U_IbLb0EEEEDaS1Q_S1R_EUlS1Q_E_NS1_11comp_targetILNS1_3genE2ELNS1_11target_archE906ELNS1_3gpuE6ELNS1_3repE0EEENS1_30default_config_static_selectorELNS0_4arch9wavefront6targetE1EEEvS13_.has_indirect_call, 0
	.section	.AMDGPU.csdata,"",@progbits
; Kernel info:
; codeLenInByte = 4
; TotalNumSgprs: 4
; NumVgprs: 0
; ScratchSize: 0
; MemoryBound: 0
; FloatMode: 240
; IeeeMode: 1
; LDSByteSize: 0 bytes/workgroup (compile time only)
; SGPRBlocks: 0
; VGPRBlocks: 0
; NumSGPRsForWavesPerEU: 4
; NumVGPRsForWavesPerEU: 1
; Occupancy: 10
; WaveLimiterHint : 0
; COMPUTE_PGM_RSRC2:SCRATCH_EN: 0
; COMPUTE_PGM_RSRC2:USER_SGPR: 6
; COMPUTE_PGM_RSRC2:TRAP_HANDLER: 0
; COMPUTE_PGM_RSRC2:TGID_X_EN: 1
; COMPUTE_PGM_RSRC2:TGID_Y_EN: 0
; COMPUTE_PGM_RSRC2:TGID_Z_EN: 0
; COMPUTE_PGM_RSRC2:TIDIG_COMP_CNT: 0
	.section	.text._ZN7rocprim17ROCPRIM_400000_NS6detail17trampoline_kernelINS0_13select_configILj256ELj13ELNS0_17block_load_methodE3ELS4_3ELS4_3ELNS0_20block_scan_algorithmE0ELj4294967295EEENS1_25partition_config_selectorILNS1_17partition_subalgoE4EjNS0_10empty_typeEbEEZZNS1_14partition_implILS8_4ELb0ES6_15HIP_vector_typeIjLj2EENS0_17counting_iteratorIjlEEPS9_SG_NS0_5tupleIJPjSI_NS0_16reverse_iteratorISI_EEEEENSH_IJSG_SG_SG_EEES9_SI_JZNS1_25segmented_radix_sort_implINS0_14default_configELb1EPK12hip_bfloat16PSP_PKlPlN2at6native12_GLOBAL__N_18offset_tEEE10hipError_tPvRmT1_PNSt15iterator_traitsIS13_E10value_typeET2_T3_PNS14_IS19_E10value_typeET4_jRbjT5_S1F_jjP12ihipStream_tbEUljE_ZNSN_ISO_Lb1ESR_SS_SU_SV_SZ_EES10_S11_S12_S13_S17_S18_S19_S1C_S1D_jS1E_jS1F_S1F_jjS1H_bEUljE0_EEES10_S11_S12_S19_S1D_S1F_T6_T7_T9_mT8_S1H_bDpT10_ENKUlT_T0_E_clISt17integral_constantIbLb1EES1U_IbLb0EEEEDaS1Q_S1R_EUlS1Q_E_NS1_11comp_targetILNS1_3genE10ELNS1_11target_archE1200ELNS1_3gpuE4ELNS1_3repE0EEENS1_30default_config_static_selectorELNS0_4arch9wavefront6targetE1EEEvS13_,"axG",@progbits,_ZN7rocprim17ROCPRIM_400000_NS6detail17trampoline_kernelINS0_13select_configILj256ELj13ELNS0_17block_load_methodE3ELS4_3ELS4_3ELNS0_20block_scan_algorithmE0ELj4294967295EEENS1_25partition_config_selectorILNS1_17partition_subalgoE4EjNS0_10empty_typeEbEEZZNS1_14partition_implILS8_4ELb0ES6_15HIP_vector_typeIjLj2EENS0_17counting_iteratorIjlEEPS9_SG_NS0_5tupleIJPjSI_NS0_16reverse_iteratorISI_EEEEENSH_IJSG_SG_SG_EEES9_SI_JZNS1_25segmented_radix_sort_implINS0_14default_configELb1EPK12hip_bfloat16PSP_PKlPlN2at6native12_GLOBAL__N_18offset_tEEE10hipError_tPvRmT1_PNSt15iterator_traitsIS13_E10value_typeET2_T3_PNS14_IS19_E10value_typeET4_jRbjT5_S1F_jjP12ihipStream_tbEUljE_ZNSN_ISO_Lb1ESR_SS_SU_SV_SZ_EES10_S11_S12_S13_S17_S18_S19_S1C_S1D_jS1E_jS1F_S1F_jjS1H_bEUljE0_EEES10_S11_S12_S19_S1D_S1F_T6_T7_T9_mT8_S1H_bDpT10_ENKUlT_T0_E_clISt17integral_constantIbLb1EES1U_IbLb0EEEEDaS1Q_S1R_EUlS1Q_E_NS1_11comp_targetILNS1_3genE10ELNS1_11target_archE1200ELNS1_3gpuE4ELNS1_3repE0EEENS1_30default_config_static_selectorELNS0_4arch9wavefront6targetE1EEEvS13_,comdat
	.globl	_ZN7rocprim17ROCPRIM_400000_NS6detail17trampoline_kernelINS0_13select_configILj256ELj13ELNS0_17block_load_methodE3ELS4_3ELS4_3ELNS0_20block_scan_algorithmE0ELj4294967295EEENS1_25partition_config_selectorILNS1_17partition_subalgoE4EjNS0_10empty_typeEbEEZZNS1_14partition_implILS8_4ELb0ES6_15HIP_vector_typeIjLj2EENS0_17counting_iteratorIjlEEPS9_SG_NS0_5tupleIJPjSI_NS0_16reverse_iteratorISI_EEEEENSH_IJSG_SG_SG_EEES9_SI_JZNS1_25segmented_radix_sort_implINS0_14default_configELb1EPK12hip_bfloat16PSP_PKlPlN2at6native12_GLOBAL__N_18offset_tEEE10hipError_tPvRmT1_PNSt15iterator_traitsIS13_E10value_typeET2_T3_PNS14_IS19_E10value_typeET4_jRbjT5_S1F_jjP12ihipStream_tbEUljE_ZNSN_ISO_Lb1ESR_SS_SU_SV_SZ_EES10_S11_S12_S13_S17_S18_S19_S1C_S1D_jS1E_jS1F_S1F_jjS1H_bEUljE0_EEES10_S11_S12_S19_S1D_S1F_T6_T7_T9_mT8_S1H_bDpT10_ENKUlT_T0_E_clISt17integral_constantIbLb1EES1U_IbLb0EEEEDaS1Q_S1R_EUlS1Q_E_NS1_11comp_targetILNS1_3genE10ELNS1_11target_archE1200ELNS1_3gpuE4ELNS1_3repE0EEENS1_30default_config_static_selectorELNS0_4arch9wavefront6targetE1EEEvS13_ ; -- Begin function _ZN7rocprim17ROCPRIM_400000_NS6detail17trampoline_kernelINS0_13select_configILj256ELj13ELNS0_17block_load_methodE3ELS4_3ELS4_3ELNS0_20block_scan_algorithmE0ELj4294967295EEENS1_25partition_config_selectorILNS1_17partition_subalgoE4EjNS0_10empty_typeEbEEZZNS1_14partition_implILS8_4ELb0ES6_15HIP_vector_typeIjLj2EENS0_17counting_iteratorIjlEEPS9_SG_NS0_5tupleIJPjSI_NS0_16reverse_iteratorISI_EEEEENSH_IJSG_SG_SG_EEES9_SI_JZNS1_25segmented_radix_sort_implINS0_14default_configELb1EPK12hip_bfloat16PSP_PKlPlN2at6native12_GLOBAL__N_18offset_tEEE10hipError_tPvRmT1_PNSt15iterator_traitsIS13_E10value_typeET2_T3_PNS14_IS19_E10value_typeET4_jRbjT5_S1F_jjP12ihipStream_tbEUljE_ZNSN_ISO_Lb1ESR_SS_SU_SV_SZ_EES10_S11_S12_S13_S17_S18_S19_S1C_S1D_jS1E_jS1F_S1F_jjS1H_bEUljE0_EEES10_S11_S12_S19_S1D_S1F_T6_T7_T9_mT8_S1H_bDpT10_ENKUlT_T0_E_clISt17integral_constantIbLb1EES1U_IbLb0EEEEDaS1Q_S1R_EUlS1Q_E_NS1_11comp_targetILNS1_3genE10ELNS1_11target_archE1200ELNS1_3gpuE4ELNS1_3repE0EEENS1_30default_config_static_selectorELNS0_4arch9wavefront6targetE1EEEvS13_
	.p2align	8
	.type	_ZN7rocprim17ROCPRIM_400000_NS6detail17trampoline_kernelINS0_13select_configILj256ELj13ELNS0_17block_load_methodE3ELS4_3ELS4_3ELNS0_20block_scan_algorithmE0ELj4294967295EEENS1_25partition_config_selectorILNS1_17partition_subalgoE4EjNS0_10empty_typeEbEEZZNS1_14partition_implILS8_4ELb0ES6_15HIP_vector_typeIjLj2EENS0_17counting_iteratorIjlEEPS9_SG_NS0_5tupleIJPjSI_NS0_16reverse_iteratorISI_EEEEENSH_IJSG_SG_SG_EEES9_SI_JZNS1_25segmented_radix_sort_implINS0_14default_configELb1EPK12hip_bfloat16PSP_PKlPlN2at6native12_GLOBAL__N_18offset_tEEE10hipError_tPvRmT1_PNSt15iterator_traitsIS13_E10value_typeET2_T3_PNS14_IS19_E10value_typeET4_jRbjT5_S1F_jjP12ihipStream_tbEUljE_ZNSN_ISO_Lb1ESR_SS_SU_SV_SZ_EES10_S11_S12_S13_S17_S18_S19_S1C_S1D_jS1E_jS1F_S1F_jjS1H_bEUljE0_EEES10_S11_S12_S19_S1D_S1F_T6_T7_T9_mT8_S1H_bDpT10_ENKUlT_T0_E_clISt17integral_constantIbLb1EES1U_IbLb0EEEEDaS1Q_S1R_EUlS1Q_E_NS1_11comp_targetILNS1_3genE10ELNS1_11target_archE1200ELNS1_3gpuE4ELNS1_3repE0EEENS1_30default_config_static_selectorELNS0_4arch9wavefront6targetE1EEEvS13_,@function
_ZN7rocprim17ROCPRIM_400000_NS6detail17trampoline_kernelINS0_13select_configILj256ELj13ELNS0_17block_load_methodE3ELS4_3ELS4_3ELNS0_20block_scan_algorithmE0ELj4294967295EEENS1_25partition_config_selectorILNS1_17partition_subalgoE4EjNS0_10empty_typeEbEEZZNS1_14partition_implILS8_4ELb0ES6_15HIP_vector_typeIjLj2EENS0_17counting_iteratorIjlEEPS9_SG_NS0_5tupleIJPjSI_NS0_16reverse_iteratorISI_EEEEENSH_IJSG_SG_SG_EEES9_SI_JZNS1_25segmented_radix_sort_implINS0_14default_configELb1EPK12hip_bfloat16PSP_PKlPlN2at6native12_GLOBAL__N_18offset_tEEE10hipError_tPvRmT1_PNSt15iterator_traitsIS13_E10value_typeET2_T3_PNS14_IS19_E10value_typeET4_jRbjT5_S1F_jjP12ihipStream_tbEUljE_ZNSN_ISO_Lb1ESR_SS_SU_SV_SZ_EES10_S11_S12_S13_S17_S18_S19_S1C_S1D_jS1E_jS1F_S1F_jjS1H_bEUljE0_EEES10_S11_S12_S19_S1D_S1F_T6_T7_T9_mT8_S1H_bDpT10_ENKUlT_T0_E_clISt17integral_constantIbLb1EES1U_IbLb0EEEEDaS1Q_S1R_EUlS1Q_E_NS1_11comp_targetILNS1_3genE10ELNS1_11target_archE1200ELNS1_3gpuE4ELNS1_3repE0EEENS1_30default_config_static_selectorELNS0_4arch9wavefront6targetE1EEEvS13_: ; @_ZN7rocprim17ROCPRIM_400000_NS6detail17trampoline_kernelINS0_13select_configILj256ELj13ELNS0_17block_load_methodE3ELS4_3ELS4_3ELNS0_20block_scan_algorithmE0ELj4294967295EEENS1_25partition_config_selectorILNS1_17partition_subalgoE4EjNS0_10empty_typeEbEEZZNS1_14partition_implILS8_4ELb0ES6_15HIP_vector_typeIjLj2EENS0_17counting_iteratorIjlEEPS9_SG_NS0_5tupleIJPjSI_NS0_16reverse_iteratorISI_EEEEENSH_IJSG_SG_SG_EEES9_SI_JZNS1_25segmented_radix_sort_implINS0_14default_configELb1EPK12hip_bfloat16PSP_PKlPlN2at6native12_GLOBAL__N_18offset_tEEE10hipError_tPvRmT1_PNSt15iterator_traitsIS13_E10value_typeET2_T3_PNS14_IS19_E10value_typeET4_jRbjT5_S1F_jjP12ihipStream_tbEUljE_ZNSN_ISO_Lb1ESR_SS_SU_SV_SZ_EES10_S11_S12_S13_S17_S18_S19_S1C_S1D_jS1E_jS1F_S1F_jjS1H_bEUljE0_EEES10_S11_S12_S19_S1D_S1F_T6_T7_T9_mT8_S1H_bDpT10_ENKUlT_T0_E_clISt17integral_constantIbLb1EES1U_IbLb0EEEEDaS1Q_S1R_EUlS1Q_E_NS1_11comp_targetILNS1_3genE10ELNS1_11target_archE1200ELNS1_3gpuE4ELNS1_3repE0EEENS1_30default_config_static_selectorELNS0_4arch9wavefront6targetE1EEEvS13_
; %bb.0:
	.section	.rodata,"a",@progbits
	.p2align	6, 0x0
	.amdhsa_kernel _ZN7rocprim17ROCPRIM_400000_NS6detail17trampoline_kernelINS0_13select_configILj256ELj13ELNS0_17block_load_methodE3ELS4_3ELS4_3ELNS0_20block_scan_algorithmE0ELj4294967295EEENS1_25partition_config_selectorILNS1_17partition_subalgoE4EjNS0_10empty_typeEbEEZZNS1_14partition_implILS8_4ELb0ES6_15HIP_vector_typeIjLj2EENS0_17counting_iteratorIjlEEPS9_SG_NS0_5tupleIJPjSI_NS0_16reverse_iteratorISI_EEEEENSH_IJSG_SG_SG_EEES9_SI_JZNS1_25segmented_radix_sort_implINS0_14default_configELb1EPK12hip_bfloat16PSP_PKlPlN2at6native12_GLOBAL__N_18offset_tEEE10hipError_tPvRmT1_PNSt15iterator_traitsIS13_E10value_typeET2_T3_PNS14_IS19_E10value_typeET4_jRbjT5_S1F_jjP12ihipStream_tbEUljE_ZNSN_ISO_Lb1ESR_SS_SU_SV_SZ_EES10_S11_S12_S13_S17_S18_S19_S1C_S1D_jS1E_jS1F_S1F_jjS1H_bEUljE0_EEES10_S11_S12_S19_S1D_S1F_T6_T7_T9_mT8_S1H_bDpT10_ENKUlT_T0_E_clISt17integral_constantIbLb1EES1U_IbLb0EEEEDaS1Q_S1R_EUlS1Q_E_NS1_11comp_targetILNS1_3genE10ELNS1_11target_archE1200ELNS1_3gpuE4ELNS1_3repE0EEENS1_30default_config_static_selectorELNS0_4arch9wavefront6targetE1EEEvS13_
		.amdhsa_group_segment_fixed_size 0
		.amdhsa_private_segment_fixed_size 0
		.amdhsa_kernarg_size 176
		.amdhsa_user_sgpr_count 6
		.amdhsa_user_sgpr_private_segment_buffer 1
		.amdhsa_user_sgpr_dispatch_ptr 0
		.amdhsa_user_sgpr_queue_ptr 0
		.amdhsa_user_sgpr_kernarg_segment_ptr 1
		.amdhsa_user_sgpr_dispatch_id 0
		.amdhsa_user_sgpr_flat_scratch_init 0
		.amdhsa_user_sgpr_private_segment_size 0
		.amdhsa_uses_dynamic_stack 0
		.amdhsa_system_sgpr_private_segment_wavefront_offset 0
		.amdhsa_system_sgpr_workgroup_id_x 1
		.amdhsa_system_sgpr_workgroup_id_y 0
		.amdhsa_system_sgpr_workgroup_id_z 0
		.amdhsa_system_sgpr_workgroup_info 0
		.amdhsa_system_vgpr_workitem_id 0
		.amdhsa_next_free_vgpr 1
		.amdhsa_next_free_sgpr 0
		.amdhsa_reserve_vcc 0
		.amdhsa_reserve_flat_scratch 0
		.amdhsa_float_round_mode_32 0
		.amdhsa_float_round_mode_16_64 0
		.amdhsa_float_denorm_mode_32 3
		.amdhsa_float_denorm_mode_16_64 3
		.amdhsa_dx10_clamp 1
		.amdhsa_ieee_mode 1
		.amdhsa_fp16_overflow 0
		.amdhsa_exception_fp_ieee_invalid_op 0
		.amdhsa_exception_fp_denorm_src 0
		.amdhsa_exception_fp_ieee_div_zero 0
		.amdhsa_exception_fp_ieee_overflow 0
		.amdhsa_exception_fp_ieee_underflow 0
		.amdhsa_exception_fp_ieee_inexact 0
		.amdhsa_exception_int_div_zero 0
	.end_amdhsa_kernel
	.section	.text._ZN7rocprim17ROCPRIM_400000_NS6detail17trampoline_kernelINS0_13select_configILj256ELj13ELNS0_17block_load_methodE3ELS4_3ELS4_3ELNS0_20block_scan_algorithmE0ELj4294967295EEENS1_25partition_config_selectorILNS1_17partition_subalgoE4EjNS0_10empty_typeEbEEZZNS1_14partition_implILS8_4ELb0ES6_15HIP_vector_typeIjLj2EENS0_17counting_iteratorIjlEEPS9_SG_NS0_5tupleIJPjSI_NS0_16reverse_iteratorISI_EEEEENSH_IJSG_SG_SG_EEES9_SI_JZNS1_25segmented_radix_sort_implINS0_14default_configELb1EPK12hip_bfloat16PSP_PKlPlN2at6native12_GLOBAL__N_18offset_tEEE10hipError_tPvRmT1_PNSt15iterator_traitsIS13_E10value_typeET2_T3_PNS14_IS19_E10value_typeET4_jRbjT5_S1F_jjP12ihipStream_tbEUljE_ZNSN_ISO_Lb1ESR_SS_SU_SV_SZ_EES10_S11_S12_S13_S17_S18_S19_S1C_S1D_jS1E_jS1F_S1F_jjS1H_bEUljE0_EEES10_S11_S12_S19_S1D_S1F_T6_T7_T9_mT8_S1H_bDpT10_ENKUlT_T0_E_clISt17integral_constantIbLb1EES1U_IbLb0EEEEDaS1Q_S1R_EUlS1Q_E_NS1_11comp_targetILNS1_3genE10ELNS1_11target_archE1200ELNS1_3gpuE4ELNS1_3repE0EEENS1_30default_config_static_selectorELNS0_4arch9wavefront6targetE1EEEvS13_,"axG",@progbits,_ZN7rocprim17ROCPRIM_400000_NS6detail17trampoline_kernelINS0_13select_configILj256ELj13ELNS0_17block_load_methodE3ELS4_3ELS4_3ELNS0_20block_scan_algorithmE0ELj4294967295EEENS1_25partition_config_selectorILNS1_17partition_subalgoE4EjNS0_10empty_typeEbEEZZNS1_14partition_implILS8_4ELb0ES6_15HIP_vector_typeIjLj2EENS0_17counting_iteratorIjlEEPS9_SG_NS0_5tupleIJPjSI_NS0_16reverse_iteratorISI_EEEEENSH_IJSG_SG_SG_EEES9_SI_JZNS1_25segmented_radix_sort_implINS0_14default_configELb1EPK12hip_bfloat16PSP_PKlPlN2at6native12_GLOBAL__N_18offset_tEEE10hipError_tPvRmT1_PNSt15iterator_traitsIS13_E10value_typeET2_T3_PNS14_IS19_E10value_typeET4_jRbjT5_S1F_jjP12ihipStream_tbEUljE_ZNSN_ISO_Lb1ESR_SS_SU_SV_SZ_EES10_S11_S12_S13_S17_S18_S19_S1C_S1D_jS1E_jS1F_S1F_jjS1H_bEUljE0_EEES10_S11_S12_S19_S1D_S1F_T6_T7_T9_mT8_S1H_bDpT10_ENKUlT_T0_E_clISt17integral_constantIbLb1EES1U_IbLb0EEEEDaS1Q_S1R_EUlS1Q_E_NS1_11comp_targetILNS1_3genE10ELNS1_11target_archE1200ELNS1_3gpuE4ELNS1_3repE0EEENS1_30default_config_static_selectorELNS0_4arch9wavefront6targetE1EEEvS13_,comdat
.Lfunc_end1903:
	.size	_ZN7rocprim17ROCPRIM_400000_NS6detail17trampoline_kernelINS0_13select_configILj256ELj13ELNS0_17block_load_methodE3ELS4_3ELS4_3ELNS0_20block_scan_algorithmE0ELj4294967295EEENS1_25partition_config_selectorILNS1_17partition_subalgoE4EjNS0_10empty_typeEbEEZZNS1_14partition_implILS8_4ELb0ES6_15HIP_vector_typeIjLj2EENS0_17counting_iteratorIjlEEPS9_SG_NS0_5tupleIJPjSI_NS0_16reverse_iteratorISI_EEEEENSH_IJSG_SG_SG_EEES9_SI_JZNS1_25segmented_radix_sort_implINS0_14default_configELb1EPK12hip_bfloat16PSP_PKlPlN2at6native12_GLOBAL__N_18offset_tEEE10hipError_tPvRmT1_PNSt15iterator_traitsIS13_E10value_typeET2_T3_PNS14_IS19_E10value_typeET4_jRbjT5_S1F_jjP12ihipStream_tbEUljE_ZNSN_ISO_Lb1ESR_SS_SU_SV_SZ_EES10_S11_S12_S13_S17_S18_S19_S1C_S1D_jS1E_jS1F_S1F_jjS1H_bEUljE0_EEES10_S11_S12_S19_S1D_S1F_T6_T7_T9_mT8_S1H_bDpT10_ENKUlT_T0_E_clISt17integral_constantIbLb1EES1U_IbLb0EEEEDaS1Q_S1R_EUlS1Q_E_NS1_11comp_targetILNS1_3genE10ELNS1_11target_archE1200ELNS1_3gpuE4ELNS1_3repE0EEENS1_30default_config_static_selectorELNS0_4arch9wavefront6targetE1EEEvS13_, .Lfunc_end1903-_ZN7rocprim17ROCPRIM_400000_NS6detail17trampoline_kernelINS0_13select_configILj256ELj13ELNS0_17block_load_methodE3ELS4_3ELS4_3ELNS0_20block_scan_algorithmE0ELj4294967295EEENS1_25partition_config_selectorILNS1_17partition_subalgoE4EjNS0_10empty_typeEbEEZZNS1_14partition_implILS8_4ELb0ES6_15HIP_vector_typeIjLj2EENS0_17counting_iteratorIjlEEPS9_SG_NS0_5tupleIJPjSI_NS0_16reverse_iteratorISI_EEEEENSH_IJSG_SG_SG_EEES9_SI_JZNS1_25segmented_radix_sort_implINS0_14default_configELb1EPK12hip_bfloat16PSP_PKlPlN2at6native12_GLOBAL__N_18offset_tEEE10hipError_tPvRmT1_PNSt15iterator_traitsIS13_E10value_typeET2_T3_PNS14_IS19_E10value_typeET4_jRbjT5_S1F_jjP12ihipStream_tbEUljE_ZNSN_ISO_Lb1ESR_SS_SU_SV_SZ_EES10_S11_S12_S13_S17_S18_S19_S1C_S1D_jS1E_jS1F_S1F_jjS1H_bEUljE0_EEES10_S11_S12_S19_S1D_S1F_T6_T7_T9_mT8_S1H_bDpT10_ENKUlT_T0_E_clISt17integral_constantIbLb1EES1U_IbLb0EEEEDaS1Q_S1R_EUlS1Q_E_NS1_11comp_targetILNS1_3genE10ELNS1_11target_archE1200ELNS1_3gpuE4ELNS1_3repE0EEENS1_30default_config_static_selectorELNS0_4arch9wavefront6targetE1EEEvS13_
                                        ; -- End function
	.set _ZN7rocprim17ROCPRIM_400000_NS6detail17trampoline_kernelINS0_13select_configILj256ELj13ELNS0_17block_load_methodE3ELS4_3ELS4_3ELNS0_20block_scan_algorithmE0ELj4294967295EEENS1_25partition_config_selectorILNS1_17partition_subalgoE4EjNS0_10empty_typeEbEEZZNS1_14partition_implILS8_4ELb0ES6_15HIP_vector_typeIjLj2EENS0_17counting_iteratorIjlEEPS9_SG_NS0_5tupleIJPjSI_NS0_16reverse_iteratorISI_EEEEENSH_IJSG_SG_SG_EEES9_SI_JZNS1_25segmented_radix_sort_implINS0_14default_configELb1EPK12hip_bfloat16PSP_PKlPlN2at6native12_GLOBAL__N_18offset_tEEE10hipError_tPvRmT1_PNSt15iterator_traitsIS13_E10value_typeET2_T3_PNS14_IS19_E10value_typeET4_jRbjT5_S1F_jjP12ihipStream_tbEUljE_ZNSN_ISO_Lb1ESR_SS_SU_SV_SZ_EES10_S11_S12_S13_S17_S18_S19_S1C_S1D_jS1E_jS1F_S1F_jjS1H_bEUljE0_EEES10_S11_S12_S19_S1D_S1F_T6_T7_T9_mT8_S1H_bDpT10_ENKUlT_T0_E_clISt17integral_constantIbLb1EES1U_IbLb0EEEEDaS1Q_S1R_EUlS1Q_E_NS1_11comp_targetILNS1_3genE10ELNS1_11target_archE1200ELNS1_3gpuE4ELNS1_3repE0EEENS1_30default_config_static_selectorELNS0_4arch9wavefront6targetE1EEEvS13_.num_vgpr, 0
	.set _ZN7rocprim17ROCPRIM_400000_NS6detail17trampoline_kernelINS0_13select_configILj256ELj13ELNS0_17block_load_methodE3ELS4_3ELS4_3ELNS0_20block_scan_algorithmE0ELj4294967295EEENS1_25partition_config_selectorILNS1_17partition_subalgoE4EjNS0_10empty_typeEbEEZZNS1_14partition_implILS8_4ELb0ES6_15HIP_vector_typeIjLj2EENS0_17counting_iteratorIjlEEPS9_SG_NS0_5tupleIJPjSI_NS0_16reverse_iteratorISI_EEEEENSH_IJSG_SG_SG_EEES9_SI_JZNS1_25segmented_radix_sort_implINS0_14default_configELb1EPK12hip_bfloat16PSP_PKlPlN2at6native12_GLOBAL__N_18offset_tEEE10hipError_tPvRmT1_PNSt15iterator_traitsIS13_E10value_typeET2_T3_PNS14_IS19_E10value_typeET4_jRbjT5_S1F_jjP12ihipStream_tbEUljE_ZNSN_ISO_Lb1ESR_SS_SU_SV_SZ_EES10_S11_S12_S13_S17_S18_S19_S1C_S1D_jS1E_jS1F_S1F_jjS1H_bEUljE0_EEES10_S11_S12_S19_S1D_S1F_T6_T7_T9_mT8_S1H_bDpT10_ENKUlT_T0_E_clISt17integral_constantIbLb1EES1U_IbLb0EEEEDaS1Q_S1R_EUlS1Q_E_NS1_11comp_targetILNS1_3genE10ELNS1_11target_archE1200ELNS1_3gpuE4ELNS1_3repE0EEENS1_30default_config_static_selectorELNS0_4arch9wavefront6targetE1EEEvS13_.num_agpr, 0
	.set _ZN7rocprim17ROCPRIM_400000_NS6detail17trampoline_kernelINS0_13select_configILj256ELj13ELNS0_17block_load_methodE3ELS4_3ELS4_3ELNS0_20block_scan_algorithmE0ELj4294967295EEENS1_25partition_config_selectorILNS1_17partition_subalgoE4EjNS0_10empty_typeEbEEZZNS1_14partition_implILS8_4ELb0ES6_15HIP_vector_typeIjLj2EENS0_17counting_iteratorIjlEEPS9_SG_NS0_5tupleIJPjSI_NS0_16reverse_iteratorISI_EEEEENSH_IJSG_SG_SG_EEES9_SI_JZNS1_25segmented_radix_sort_implINS0_14default_configELb1EPK12hip_bfloat16PSP_PKlPlN2at6native12_GLOBAL__N_18offset_tEEE10hipError_tPvRmT1_PNSt15iterator_traitsIS13_E10value_typeET2_T3_PNS14_IS19_E10value_typeET4_jRbjT5_S1F_jjP12ihipStream_tbEUljE_ZNSN_ISO_Lb1ESR_SS_SU_SV_SZ_EES10_S11_S12_S13_S17_S18_S19_S1C_S1D_jS1E_jS1F_S1F_jjS1H_bEUljE0_EEES10_S11_S12_S19_S1D_S1F_T6_T7_T9_mT8_S1H_bDpT10_ENKUlT_T0_E_clISt17integral_constantIbLb1EES1U_IbLb0EEEEDaS1Q_S1R_EUlS1Q_E_NS1_11comp_targetILNS1_3genE10ELNS1_11target_archE1200ELNS1_3gpuE4ELNS1_3repE0EEENS1_30default_config_static_selectorELNS0_4arch9wavefront6targetE1EEEvS13_.numbered_sgpr, 0
	.set _ZN7rocprim17ROCPRIM_400000_NS6detail17trampoline_kernelINS0_13select_configILj256ELj13ELNS0_17block_load_methodE3ELS4_3ELS4_3ELNS0_20block_scan_algorithmE0ELj4294967295EEENS1_25partition_config_selectorILNS1_17partition_subalgoE4EjNS0_10empty_typeEbEEZZNS1_14partition_implILS8_4ELb0ES6_15HIP_vector_typeIjLj2EENS0_17counting_iteratorIjlEEPS9_SG_NS0_5tupleIJPjSI_NS0_16reverse_iteratorISI_EEEEENSH_IJSG_SG_SG_EEES9_SI_JZNS1_25segmented_radix_sort_implINS0_14default_configELb1EPK12hip_bfloat16PSP_PKlPlN2at6native12_GLOBAL__N_18offset_tEEE10hipError_tPvRmT1_PNSt15iterator_traitsIS13_E10value_typeET2_T3_PNS14_IS19_E10value_typeET4_jRbjT5_S1F_jjP12ihipStream_tbEUljE_ZNSN_ISO_Lb1ESR_SS_SU_SV_SZ_EES10_S11_S12_S13_S17_S18_S19_S1C_S1D_jS1E_jS1F_S1F_jjS1H_bEUljE0_EEES10_S11_S12_S19_S1D_S1F_T6_T7_T9_mT8_S1H_bDpT10_ENKUlT_T0_E_clISt17integral_constantIbLb1EES1U_IbLb0EEEEDaS1Q_S1R_EUlS1Q_E_NS1_11comp_targetILNS1_3genE10ELNS1_11target_archE1200ELNS1_3gpuE4ELNS1_3repE0EEENS1_30default_config_static_selectorELNS0_4arch9wavefront6targetE1EEEvS13_.num_named_barrier, 0
	.set _ZN7rocprim17ROCPRIM_400000_NS6detail17trampoline_kernelINS0_13select_configILj256ELj13ELNS0_17block_load_methodE3ELS4_3ELS4_3ELNS0_20block_scan_algorithmE0ELj4294967295EEENS1_25partition_config_selectorILNS1_17partition_subalgoE4EjNS0_10empty_typeEbEEZZNS1_14partition_implILS8_4ELb0ES6_15HIP_vector_typeIjLj2EENS0_17counting_iteratorIjlEEPS9_SG_NS0_5tupleIJPjSI_NS0_16reverse_iteratorISI_EEEEENSH_IJSG_SG_SG_EEES9_SI_JZNS1_25segmented_radix_sort_implINS0_14default_configELb1EPK12hip_bfloat16PSP_PKlPlN2at6native12_GLOBAL__N_18offset_tEEE10hipError_tPvRmT1_PNSt15iterator_traitsIS13_E10value_typeET2_T3_PNS14_IS19_E10value_typeET4_jRbjT5_S1F_jjP12ihipStream_tbEUljE_ZNSN_ISO_Lb1ESR_SS_SU_SV_SZ_EES10_S11_S12_S13_S17_S18_S19_S1C_S1D_jS1E_jS1F_S1F_jjS1H_bEUljE0_EEES10_S11_S12_S19_S1D_S1F_T6_T7_T9_mT8_S1H_bDpT10_ENKUlT_T0_E_clISt17integral_constantIbLb1EES1U_IbLb0EEEEDaS1Q_S1R_EUlS1Q_E_NS1_11comp_targetILNS1_3genE10ELNS1_11target_archE1200ELNS1_3gpuE4ELNS1_3repE0EEENS1_30default_config_static_selectorELNS0_4arch9wavefront6targetE1EEEvS13_.private_seg_size, 0
	.set _ZN7rocprim17ROCPRIM_400000_NS6detail17trampoline_kernelINS0_13select_configILj256ELj13ELNS0_17block_load_methodE3ELS4_3ELS4_3ELNS0_20block_scan_algorithmE0ELj4294967295EEENS1_25partition_config_selectorILNS1_17partition_subalgoE4EjNS0_10empty_typeEbEEZZNS1_14partition_implILS8_4ELb0ES6_15HIP_vector_typeIjLj2EENS0_17counting_iteratorIjlEEPS9_SG_NS0_5tupleIJPjSI_NS0_16reverse_iteratorISI_EEEEENSH_IJSG_SG_SG_EEES9_SI_JZNS1_25segmented_radix_sort_implINS0_14default_configELb1EPK12hip_bfloat16PSP_PKlPlN2at6native12_GLOBAL__N_18offset_tEEE10hipError_tPvRmT1_PNSt15iterator_traitsIS13_E10value_typeET2_T3_PNS14_IS19_E10value_typeET4_jRbjT5_S1F_jjP12ihipStream_tbEUljE_ZNSN_ISO_Lb1ESR_SS_SU_SV_SZ_EES10_S11_S12_S13_S17_S18_S19_S1C_S1D_jS1E_jS1F_S1F_jjS1H_bEUljE0_EEES10_S11_S12_S19_S1D_S1F_T6_T7_T9_mT8_S1H_bDpT10_ENKUlT_T0_E_clISt17integral_constantIbLb1EES1U_IbLb0EEEEDaS1Q_S1R_EUlS1Q_E_NS1_11comp_targetILNS1_3genE10ELNS1_11target_archE1200ELNS1_3gpuE4ELNS1_3repE0EEENS1_30default_config_static_selectorELNS0_4arch9wavefront6targetE1EEEvS13_.uses_vcc, 0
	.set _ZN7rocprim17ROCPRIM_400000_NS6detail17trampoline_kernelINS0_13select_configILj256ELj13ELNS0_17block_load_methodE3ELS4_3ELS4_3ELNS0_20block_scan_algorithmE0ELj4294967295EEENS1_25partition_config_selectorILNS1_17partition_subalgoE4EjNS0_10empty_typeEbEEZZNS1_14partition_implILS8_4ELb0ES6_15HIP_vector_typeIjLj2EENS0_17counting_iteratorIjlEEPS9_SG_NS0_5tupleIJPjSI_NS0_16reverse_iteratorISI_EEEEENSH_IJSG_SG_SG_EEES9_SI_JZNS1_25segmented_radix_sort_implINS0_14default_configELb1EPK12hip_bfloat16PSP_PKlPlN2at6native12_GLOBAL__N_18offset_tEEE10hipError_tPvRmT1_PNSt15iterator_traitsIS13_E10value_typeET2_T3_PNS14_IS19_E10value_typeET4_jRbjT5_S1F_jjP12ihipStream_tbEUljE_ZNSN_ISO_Lb1ESR_SS_SU_SV_SZ_EES10_S11_S12_S13_S17_S18_S19_S1C_S1D_jS1E_jS1F_S1F_jjS1H_bEUljE0_EEES10_S11_S12_S19_S1D_S1F_T6_T7_T9_mT8_S1H_bDpT10_ENKUlT_T0_E_clISt17integral_constantIbLb1EES1U_IbLb0EEEEDaS1Q_S1R_EUlS1Q_E_NS1_11comp_targetILNS1_3genE10ELNS1_11target_archE1200ELNS1_3gpuE4ELNS1_3repE0EEENS1_30default_config_static_selectorELNS0_4arch9wavefront6targetE1EEEvS13_.uses_flat_scratch, 0
	.set _ZN7rocprim17ROCPRIM_400000_NS6detail17trampoline_kernelINS0_13select_configILj256ELj13ELNS0_17block_load_methodE3ELS4_3ELS4_3ELNS0_20block_scan_algorithmE0ELj4294967295EEENS1_25partition_config_selectorILNS1_17partition_subalgoE4EjNS0_10empty_typeEbEEZZNS1_14partition_implILS8_4ELb0ES6_15HIP_vector_typeIjLj2EENS0_17counting_iteratorIjlEEPS9_SG_NS0_5tupleIJPjSI_NS0_16reverse_iteratorISI_EEEEENSH_IJSG_SG_SG_EEES9_SI_JZNS1_25segmented_radix_sort_implINS0_14default_configELb1EPK12hip_bfloat16PSP_PKlPlN2at6native12_GLOBAL__N_18offset_tEEE10hipError_tPvRmT1_PNSt15iterator_traitsIS13_E10value_typeET2_T3_PNS14_IS19_E10value_typeET4_jRbjT5_S1F_jjP12ihipStream_tbEUljE_ZNSN_ISO_Lb1ESR_SS_SU_SV_SZ_EES10_S11_S12_S13_S17_S18_S19_S1C_S1D_jS1E_jS1F_S1F_jjS1H_bEUljE0_EEES10_S11_S12_S19_S1D_S1F_T6_T7_T9_mT8_S1H_bDpT10_ENKUlT_T0_E_clISt17integral_constantIbLb1EES1U_IbLb0EEEEDaS1Q_S1R_EUlS1Q_E_NS1_11comp_targetILNS1_3genE10ELNS1_11target_archE1200ELNS1_3gpuE4ELNS1_3repE0EEENS1_30default_config_static_selectorELNS0_4arch9wavefront6targetE1EEEvS13_.has_dyn_sized_stack, 0
	.set _ZN7rocprim17ROCPRIM_400000_NS6detail17trampoline_kernelINS0_13select_configILj256ELj13ELNS0_17block_load_methodE3ELS4_3ELS4_3ELNS0_20block_scan_algorithmE0ELj4294967295EEENS1_25partition_config_selectorILNS1_17partition_subalgoE4EjNS0_10empty_typeEbEEZZNS1_14partition_implILS8_4ELb0ES6_15HIP_vector_typeIjLj2EENS0_17counting_iteratorIjlEEPS9_SG_NS0_5tupleIJPjSI_NS0_16reverse_iteratorISI_EEEEENSH_IJSG_SG_SG_EEES9_SI_JZNS1_25segmented_radix_sort_implINS0_14default_configELb1EPK12hip_bfloat16PSP_PKlPlN2at6native12_GLOBAL__N_18offset_tEEE10hipError_tPvRmT1_PNSt15iterator_traitsIS13_E10value_typeET2_T3_PNS14_IS19_E10value_typeET4_jRbjT5_S1F_jjP12ihipStream_tbEUljE_ZNSN_ISO_Lb1ESR_SS_SU_SV_SZ_EES10_S11_S12_S13_S17_S18_S19_S1C_S1D_jS1E_jS1F_S1F_jjS1H_bEUljE0_EEES10_S11_S12_S19_S1D_S1F_T6_T7_T9_mT8_S1H_bDpT10_ENKUlT_T0_E_clISt17integral_constantIbLb1EES1U_IbLb0EEEEDaS1Q_S1R_EUlS1Q_E_NS1_11comp_targetILNS1_3genE10ELNS1_11target_archE1200ELNS1_3gpuE4ELNS1_3repE0EEENS1_30default_config_static_selectorELNS0_4arch9wavefront6targetE1EEEvS13_.has_recursion, 0
	.set _ZN7rocprim17ROCPRIM_400000_NS6detail17trampoline_kernelINS0_13select_configILj256ELj13ELNS0_17block_load_methodE3ELS4_3ELS4_3ELNS0_20block_scan_algorithmE0ELj4294967295EEENS1_25partition_config_selectorILNS1_17partition_subalgoE4EjNS0_10empty_typeEbEEZZNS1_14partition_implILS8_4ELb0ES6_15HIP_vector_typeIjLj2EENS0_17counting_iteratorIjlEEPS9_SG_NS0_5tupleIJPjSI_NS0_16reverse_iteratorISI_EEEEENSH_IJSG_SG_SG_EEES9_SI_JZNS1_25segmented_radix_sort_implINS0_14default_configELb1EPK12hip_bfloat16PSP_PKlPlN2at6native12_GLOBAL__N_18offset_tEEE10hipError_tPvRmT1_PNSt15iterator_traitsIS13_E10value_typeET2_T3_PNS14_IS19_E10value_typeET4_jRbjT5_S1F_jjP12ihipStream_tbEUljE_ZNSN_ISO_Lb1ESR_SS_SU_SV_SZ_EES10_S11_S12_S13_S17_S18_S19_S1C_S1D_jS1E_jS1F_S1F_jjS1H_bEUljE0_EEES10_S11_S12_S19_S1D_S1F_T6_T7_T9_mT8_S1H_bDpT10_ENKUlT_T0_E_clISt17integral_constantIbLb1EES1U_IbLb0EEEEDaS1Q_S1R_EUlS1Q_E_NS1_11comp_targetILNS1_3genE10ELNS1_11target_archE1200ELNS1_3gpuE4ELNS1_3repE0EEENS1_30default_config_static_selectorELNS0_4arch9wavefront6targetE1EEEvS13_.has_indirect_call, 0
	.section	.AMDGPU.csdata,"",@progbits
; Kernel info:
; codeLenInByte = 0
; TotalNumSgprs: 4
; NumVgprs: 0
; ScratchSize: 0
; MemoryBound: 0
; FloatMode: 240
; IeeeMode: 1
; LDSByteSize: 0 bytes/workgroup (compile time only)
; SGPRBlocks: 0
; VGPRBlocks: 0
; NumSGPRsForWavesPerEU: 4
; NumVGPRsForWavesPerEU: 1
; Occupancy: 10
; WaveLimiterHint : 0
; COMPUTE_PGM_RSRC2:SCRATCH_EN: 0
; COMPUTE_PGM_RSRC2:USER_SGPR: 6
; COMPUTE_PGM_RSRC2:TRAP_HANDLER: 0
; COMPUTE_PGM_RSRC2:TGID_X_EN: 1
; COMPUTE_PGM_RSRC2:TGID_Y_EN: 0
; COMPUTE_PGM_RSRC2:TGID_Z_EN: 0
; COMPUTE_PGM_RSRC2:TIDIG_COMP_CNT: 0
	.section	.text._ZN7rocprim17ROCPRIM_400000_NS6detail17trampoline_kernelINS0_13select_configILj256ELj13ELNS0_17block_load_methodE3ELS4_3ELS4_3ELNS0_20block_scan_algorithmE0ELj4294967295EEENS1_25partition_config_selectorILNS1_17partition_subalgoE4EjNS0_10empty_typeEbEEZZNS1_14partition_implILS8_4ELb0ES6_15HIP_vector_typeIjLj2EENS0_17counting_iteratorIjlEEPS9_SG_NS0_5tupleIJPjSI_NS0_16reverse_iteratorISI_EEEEENSH_IJSG_SG_SG_EEES9_SI_JZNS1_25segmented_radix_sort_implINS0_14default_configELb1EPK12hip_bfloat16PSP_PKlPlN2at6native12_GLOBAL__N_18offset_tEEE10hipError_tPvRmT1_PNSt15iterator_traitsIS13_E10value_typeET2_T3_PNS14_IS19_E10value_typeET4_jRbjT5_S1F_jjP12ihipStream_tbEUljE_ZNSN_ISO_Lb1ESR_SS_SU_SV_SZ_EES10_S11_S12_S13_S17_S18_S19_S1C_S1D_jS1E_jS1F_S1F_jjS1H_bEUljE0_EEES10_S11_S12_S19_S1D_S1F_T6_T7_T9_mT8_S1H_bDpT10_ENKUlT_T0_E_clISt17integral_constantIbLb1EES1U_IbLb0EEEEDaS1Q_S1R_EUlS1Q_E_NS1_11comp_targetILNS1_3genE9ELNS1_11target_archE1100ELNS1_3gpuE3ELNS1_3repE0EEENS1_30default_config_static_selectorELNS0_4arch9wavefront6targetE1EEEvS13_,"axG",@progbits,_ZN7rocprim17ROCPRIM_400000_NS6detail17trampoline_kernelINS0_13select_configILj256ELj13ELNS0_17block_load_methodE3ELS4_3ELS4_3ELNS0_20block_scan_algorithmE0ELj4294967295EEENS1_25partition_config_selectorILNS1_17partition_subalgoE4EjNS0_10empty_typeEbEEZZNS1_14partition_implILS8_4ELb0ES6_15HIP_vector_typeIjLj2EENS0_17counting_iteratorIjlEEPS9_SG_NS0_5tupleIJPjSI_NS0_16reverse_iteratorISI_EEEEENSH_IJSG_SG_SG_EEES9_SI_JZNS1_25segmented_radix_sort_implINS0_14default_configELb1EPK12hip_bfloat16PSP_PKlPlN2at6native12_GLOBAL__N_18offset_tEEE10hipError_tPvRmT1_PNSt15iterator_traitsIS13_E10value_typeET2_T3_PNS14_IS19_E10value_typeET4_jRbjT5_S1F_jjP12ihipStream_tbEUljE_ZNSN_ISO_Lb1ESR_SS_SU_SV_SZ_EES10_S11_S12_S13_S17_S18_S19_S1C_S1D_jS1E_jS1F_S1F_jjS1H_bEUljE0_EEES10_S11_S12_S19_S1D_S1F_T6_T7_T9_mT8_S1H_bDpT10_ENKUlT_T0_E_clISt17integral_constantIbLb1EES1U_IbLb0EEEEDaS1Q_S1R_EUlS1Q_E_NS1_11comp_targetILNS1_3genE9ELNS1_11target_archE1100ELNS1_3gpuE3ELNS1_3repE0EEENS1_30default_config_static_selectorELNS0_4arch9wavefront6targetE1EEEvS13_,comdat
	.globl	_ZN7rocprim17ROCPRIM_400000_NS6detail17trampoline_kernelINS0_13select_configILj256ELj13ELNS0_17block_load_methodE3ELS4_3ELS4_3ELNS0_20block_scan_algorithmE0ELj4294967295EEENS1_25partition_config_selectorILNS1_17partition_subalgoE4EjNS0_10empty_typeEbEEZZNS1_14partition_implILS8_4ELb0ES6_15HIP_vector_typeIjLj2EENS0_17counting_iteratorIjlEEPS9_SG_NS0_5tupleIJPjSI_NS0_16reverse_iteratorISI_EEEEENSH_IJSG_SG_SG_EEES9_SI_JZNS1_25segmented_radix_sort_implINS0_14default_configELb1EPK12hip_bfloat16PSP_PKlPlN2at6native12_GLOBAL__N_18offset_tEEE10hipError_tPvRmT1_PNSt15iterator_traitsIS13_E10value_typeET2_T3_PNS14_IS19_E10value_typeET4_jRbjT5_S1F_jjP12ihipStream_tbEUljE_ZNSN_ISO_Lb1ESR_SS_SU_SV_SZ_EES10_S11_S12_S13_S17_S18_S19_S1C_S1D_jS1E_jS1F_S1F_jjS1H_bEUljE0_EEES10_S11_S12_S19_S1D_S1F_T6_T7_T9_mT8_S1H_bDpT10_ENKUlT_T0_E_clISt17integral_constantIbLb1EES1U_IbLb0EEEEDaS1Q_S1R_EUlS1Q_E_NS1_11comp_targetILNS1_3genE9ELNS1_11target_archE1100ELNS1_3gpuE3ELNS1_3repE0EEENS1_30default_config_static_selectorELNS0_4arch9wavefront6targetE1EEEvS13_ ; -- Begin function _ZN7rocprim17ROCPRIM_400000_NS6detail17trampoline_kernelINS0_13select_configILj256ELj13ELNS0_17block_load_methodE3ELS4_3ELS4_3ELNS0_20block_scan_algorithmE0ELj4294967295EEENS1_25partition_config_selectorILNS1_17partition_subalgoE4EjNS0_10empty_typeEbEEZZNS1_14partition_implILS8_4ELb0ES6_15HIP_vector_typeIjLj2EENS0_17counting_iteratorIjlEEPS9_SG_NS0_5tupleIJPjSI_NS0_16reverse_iteratorISI_EEEEENSH_IJSG_SG_SG_EEES9_SI_JZNS1_25segmented_radix_sort_implINS0_14default_configELb1EPK12hip_bfloat16PSP_PKlPlN2at6native12_GLOBAL__N_18offset_tEEE10hipError_tPvRmT1_PNSt15iterator_traitsIS13_E10value_typeET2_T3_PNS14_IS19_E10value_typeET4_jRbjT5_S1F_jjP12ihipStream_tbEUljE_ZNSN_ISO_Lb1ESR_SS_SU_SV_SZ_EES10_S11_S12_S13_S17_S18_S19_S1C_S1D_jS1E_jS1F_S1F_jjS1H_bEUljE0_EEES10_S11_S12_S19_S1D_S1F_T6_T7_T9_mT8_S1H_bDpT10_ENKUlT_T0_E_clISt17integral_constantIbLb1EES1U_IbLb0EEEEDaS1Q_S1R_EUlS1Q_E_NS1_11comp_targetILNS1_3genE9ELNS1_11target_archE1100ELNS1_3gpuE3ELNS1_3repE0EEENS1_30default_config_static_selectorELNS0_4arch9wavefront6targetE1EEEvS13_
	.p2align	8
	.type	_ZN7rocprim17ROCPRIM_400000_NS6detail17trampoline_kernelINS0_13select_configILj256ELj13ELNS0_17block_load_methodE3ELS4_3ELS4_3ELNS0_20block_scan_algorithmE0ELj4294967295EEENS1_25partition_config_selectorILNS1_17partition_subalgoE4EjNS0_10empty_typeEbEEZZNS1_14partition_implILS8_4ELb0ES6_15HIP_vector_typeIjLj2EENS0_17counting_iteratorIjlEEPS9_SG_NS0_5tupleIJPjSI_NS0_16reverse_iteratorISI_EEEEENSH_IJSG_SG_SG_EEES9_SI_JZNS1_25segmented_radix_sort_implINS0_14default_configELb1EPK12hip_bfloat16PSP_PKlPlN2at6native12_GLOBAL__N_18offset_tEEE10hipError_tPvRmT1_PNSt15iterator_traitsIS13_E10value_typeET2_T3_PNS14_IS19_E10value_typeET4_jRbjT5_S1F_jjP12ihipStream_tbEUljE_ZNSN_ISO_Lb1ESR_SS_SU_SV_SZ_EES10_S11_S12_S13_S17_S18_S19_S1C_S1D_jS1E_jS1F_S1F_jjS1H_bEUljE0_EEES10_S11_S12_S19_S1D_S1F_T6_T7_T9_mT8_S1H_bDpT10_ENKUlT_T0_E_clISt17integral_constantIbLb1EES1U_IbLb0EEEEDaS1Q_S1R_EUlS1Q_E_NS1_11comp_targetILNS1_3genE9ELNS1_11target_archE1100ELNS1_3gpuE3ELNS1_3repE0EEENS1_30default_config_static_selectorELNS0_4arch9wavefront6targetE1EEEvS13_,@function
_ZN7rocprim17ROCPRIM_400000_NS6detail17trampoline_kernelINS0_13select_configILj256ELj13ELNS0_17block_load_methodE3ELS4_3ELS4_3ELNS0_20block_scan_algorithmE0ELj4294967295EEENS1_25partition_config_selectorILNS1_17partition_subalgoE4EjNS0_10empty_typeEbEEZZNS1_14partition_implILS8_4ELb0ES6_15HIP_vector_typeIjLj2EENS0_17counting_iteratorIjlEEPS9_SG_NS0_5tupleIJPjSI_NS0_16reverse_iteratorISI_EEEEENSH_IJSG_SG_SG_EEES9_SI_JZNS1_25segmented_radix_sort_implINS0_14default_configELb1EPK12hip_bfloat16PSP_PKlPlN2at6native12_GLOBAL__N_18offset_tEEE10hipError_tPvRmT1_PNSt15iterator_traitsIS13_E10value_typeET2_T3_PNS14_IS19_E10value_typeET4_jRbjT5_S1F_jjP12ihipStream_tbEUljE_ZNSN_ISO_Lb1ESR_SS_SU_SV_SZ_EES10_S11_S12_S13_S17_S18_S19_S1C_S1D_jS1E_jS1F_S1F_jjS1H_bEUljE0_EEES10_S11_S12_S19_S1D_S1F_T6_T7_T9_mT8_S1H_bDpT10_ENKUlT_T0_E_clISt17integral_constantIbLb1EES1U_IbLb0EEEEDaS1Q_S1R_EUlS1Q_E_NS1_11comp_targetILNS1_3genE9ELNS1_11target_archE1100ELNS1_3gpuE3ELNS1_3repE0EEENS1_30default_config_static_selectorELNS0_4arch9wavefront6targetE1EEEvS13_: ; @_ZN7rocprim17ROCPRIM_400000_NS6detail17trampoline_kernelINS0_13select_configILj256ELj13ELNS0_17block_load_methodE3ELS4_3ELS4_3ELNS0_20block_scan_algorithmE0ELj4294967295EEENS1_25partition_config_selectorILNS1_17partition_subalgoE4EjNS0_10empty_typeEbEEZZNS1_14partition_implILS8_4ELb0ES6_15HIP_vector_typeIjLj2EENS0_17counting_iteratorIjlEEPS9_SG_NS0_5tupleIJPjSI_NS0_16reverse_iteratorISI_EEEEENSH_IJSG_SG_SG_EEES9_SI_JZNS1_25segmented_radix_sort_implINS0_14default_configELb1EPK12hip_bfloat16PSP_PKlPlN2at6native12_GLOBAL__N_18offset_tEEE10hipError_tPvRmT1_PNSt15iterator_traitsIS13_E10value_typeET2_T3_PNS14_IS19_E10value_typeET4_jRbjT5_S1F_jjP12ihipStream_tbEUljE_ZNSN_ISO_Lb1ESR_SS_SU_SV_SZ_EES10_S11_S12_S13_S17_S18_S19_S1C_S1D_jS1E_jS1F_S1F_jjS1H_bEUljE0_EEES10_S11_S12_S19_S1D_S1F_T6_T7_T9_mT8_S1H_bDpT10_ENKUlT_T0_E_clISt17integral_constantIbLb1EES1U_IbLb0EEEEDaS1Q_S1R_EUlS1Q_E_NS1_11comp_targetILNS1_3genE9ELNS1_11target_archE1100ELNS1_3gpuE3ELNS1_3repE0EEENS1_30default_config_static_selectorELNS0_4arch9wavefront6targetE1EEEvS13_
; %bb.0:
	.section	.rodata,"a",@progbits
	.p2align	6, 0x0
	.amdhsa_kernel _ZN7rocprim17ROCPRIM_400000_NS6detail17trampoline_kernelINS0_13select_configILj256ELj13ELNS0_17block_load_methodE3ELS4_3ELS4_3ELNS0_20block_scan_algorithmE0ELj4294967295EEENS1_25partition_config_selectorILNS1_17partition_subalgoE4EjNS0_10empty_typeEbEEZZNS1_14partition_implILS8_4ELb0ES6_15HIP_vector_typeIjLj2EENS0_17counting_iteratorIjlEEPS9_SG_NS0_5tupleIJPjSI_NS0_16reverse_iteratorISI_EEEEENSH_IJSG_SG_SG_EEES9_SI_JZNS1_25segmented_radix_sort_implINS0_14default_configELb1EPK12hip_bfloat16PSP_PKlPlN2at6native12_GLOBAL__N_18offset_tEEE10hipError_tPvRmT1_PNSt15iterator_traitsIS13_E10value_typeET2_T3_PNS14_IS19_E10value_typeET4_jRbjT5_S1F_jjP12ihipStream_tbEUljE_ZNSN_ISO_Lb1ESR_SS_SU_SV_SZ_EES10_S11_S12_S13_S17_S18_S19_S1C_S1D_jS1E_jS1F_S1F_jjS1H_bEUljE0_EEES10_S11_S12_S19_S1D_S1F_T6_T7_T9_mT8_S1H_bDpT10_ENKUlT_T0_E_clISt17integral_constantIbLb1EES1U_IbLb0EEEEDaS1Q_S1R_EUlS1Q_E_NS1_11comp_targetILNS1_3genE9ELNS1_11target_archE1100ELNS1_3gpuE3ELNS1_3repE0EEENS1_30default_config_static_selectorELNS0_4arch9wavefront6targetE1EEEvS13_
		.amdhsa_group_segment_fixed_size 0
		.amdhsa_private_segment_fixed_size 0
		.amdhsa_kernarg_size 176
		.amdhsa_user_sgpr_count 6
		.amdhsa_user_sgpr_private_segment_buffer 1
		.amdhsa_user_sgpr_dispatch_ptr 0
		.amdhsa_user_sgpr_queue_ptr 0
		.amdhsa_user_sgpr_kernarg_segment_ptr 1
		.amdhsa_user_sgpr_dispatch_id 0
		.amdhsa_user_sgpr_flat_scratch_init 0
		.amdhsa_user_sgpr_private_segment_size 0
		.amdhsa_uses_dynamic_stack 0
		.amdhsa_system_sgpr_private_segment_wavefront_offset 0
		.amdhsa_system_sgpr_workgroup_id_x 1
		.amdhsa_system_sgpr_workgroup_id_y 0
		.amdhsa_system_sgpr_workgroup_id_z 0
		.amdhsa_system_sgpr_workgroup_info 0
		.amdhsa_system_vgpr_workitem_id 0
		.amdhsa_next_free_vgpr 1
		.amdhsa_next_free_sgpr 0
		.amdhsa_reserve_vcc 0
		.amdhsa_reserve_flat_scratch 0
		.amdhsa_float_round_mode_32 0
		.amdhsa_float_round_mode_16_64 0
		.amdhsa_float_denorm_mode_32 3
		.amdhsa_float_denorm_mode_16_64 3
		.amdhsa_dx10_clamp 1
		.amdhsa_ieee_mode 1
		.amdhsa_fp16_overflow 0
		.amdhsa_exception_fp_ieee_invalid_op 0
		.amdhsa_exception_fp_denorm_src 0
		.amdhsa_exception_fp_ieee_div_zero 0
		.amdhsa_exception_fp_ieee_overflow 0
		.amdhsa_exception_fp_ieee_underflow 0
		.amdhsa_exception_fp_ieee_inexact 0
		.amdhsa_exception_int_div_zero 0
	.end_amdhsa_kernel
	.section	.text._ZN7rocprim17ROCPRIM_400000_NS6detail17trampoline_kernelINS0_13select_configILj256ELj13ELNS0_17block_load_methodE3ELS4_3ELS4_3ELNS0_20block_scan_algorithmE0ELj4294967295EEENS1_25partition_config_selectorILNS1_17partition_subalgoE4EjNS0_10empty_typeEbEEZZNS1_14partition_implILS8_4ELb0ES6_15HIP_vector_typeIjLj2EENS0_17counting_iteratorIjlEEPS9_SG_NS0_5tupleIJPjSI_NS0_16reverse_iteratorISI_EEEEENSH_IJSG_SG_SG_EEES9_SI_JZNS1_25segmented_radix_sort_implINS0_14default_configELb1EPK12hip_bfloat16PSP_PKlPlN2at6native12_GLOBAL__N_18offset_tEEE10hipError_tPvRmT1_PNSt15iterator_traitsIS13_E10value_typeET2_T3_PNS14_IS19_E10value_typeET4_jRbjT5_S1F_jjP12ihipStream_tbEUljE_ZNSN_ISO_Lb1ESR_SS_SU_SV_SZ_EES10_S11_S12_S13_S17_S18_S19_S1C_S1D_jS1E_jS1F_S1F_jjS1H_bEUljE0_EEES10_S11_S12_S19_S1D_S1F_T6_T7_T9_mT8_S1H_bDpT10_ENKUlT_T0_E_clISt17integral_constantIbLb1EES1U_IbLb0EEEEDaS1Q_S1R_EUlS1Q_E_NS1_11comp_targetILNS1_3genE9ELNS1_11target_archE1100ELNS1_3gpuE3ELNS1_3repE0EEENS1_30default_config_static_selectorELNS0_4arch9wavefront6targetE1EEEvS13_,"axG",@progbits,_ZN7rocprim17ROCPRIM_400000_NS6detail17trampoline_kernelINS0_13select_configILj256ELj13ELNS0_17block_load_methodE3ELS4_3ELS4_3ELNS0_20block_scan_algorithmE0ELj4294967295EEENS1_25partition_config_selectorILNS1_17partition_subalgoE4EjNS0_10empty_typeEbEEZZNS1_14partition_implILS8_4ELb0ES6_15HIP_vector_typeIjLj2EENS0_17counting_iteratorIjlEEPS9_SG_NS0_5tupleIJPjSI_NS0_16reverse_iteratorISI_EEEEENSH_IJSG_SG_SG_EEES9_SI_JZNS1_25segmented_radix_sort_implINS0_14default_configELb1EPK12hip_bfloat16PSP_PKlPlN2at6native12_GLOBAL__N_18offset_tEEE10hipError_tPvRmT1_PNSt15iterator_traitsIS13_E10value_typeET2_T3_PNS14_IS19_E10value_typeET4_jRbjT5_S1F_jjP12ihipStream_tbEUljE_ZNSN_ISO_Lb1ESR_SS_SU_SV_SZ_EES10_S11_S12_S13_S17_S18_S19_S1C_S1D_jS1E_jS1F_S1F_jjS1H_bEUljE0_EEES10_S11_S12_S19_S1D_S1F_T6_T7_T9_mT8_S1H_bDpT10_ENKUlT_T0_E_clISt17integral_constantIbLb1EES1U_IbLb0EEEEDaS1Q_S1R_EUlS1Q_E_NS1_11comp_targetILNS1_3genE9ELNS1_11target_archE1100ELNS1_3gpuE3ELNS1_3repE0EEENS1_30default_config_static_selectorELNS0_4arch9wavefront6targetE1EEEvS13_,comdat
.Lfunc_end1904:
	.size	_ZN7rocprim17ROCPRIM_400000_NS6detail17trampoline_kernelINS0_13select_configILj256ELj13ELNS0_17block_load_methodE3ELS4_3ELS4_3ELNS0_20block_scan_algorithmE0ELj4294967295EEENS1_25partition_config_selectorILNS1_17partition_subalgoE4EjNS0_10empty_typeEbEEZZNS1_14partition_implILS8_4ELb0ES6_15HIP_vector_typeIjLj2EENS0_17counting_iteratorIjlEEPS9_SG_NS0_5tupleIJPjSI_NS0_16reverse_iteratorISI_EEEEENSH_IJSG_SG_SG_EEES9_SI_JZNS1_25segmented_radix_sort_implINS0_14default_configELb1EPK12hip_bfloat16PSP_PKlPlN2at6native12_GLOBAL__N_18offset_tEEE10hipError_tPvRmT1_PNSt15iterator_traitsIS13_E10value_typeET2_T3_PNS14_IS19_E10value_typeET4_jRbjT5_S1F_jjP12ihipStream_tbEUljE_ZNSN_ISO_Lb1ESR_SS_SU_SV_SZ_EES10_S11_S12_S13_S17_S18_S19_S1C_S1D_jS1E_jS1F_S1F_jjS1H_bEUljE0_EEES10_S11_S12_S19_S1D_S1F_T6_T7_T9_mT8_S1H_bDpT10_ENKUlT_T0_E_clISt17integral_constantIbLb1EES1U_IbLb0EEEEDaS1Q_S1R_EUlS1Q_E_NS1_11comp_targetILNS1_3genE9ELNS1_11target_archE1100ELNS1_3gpuE3ELNS1_3repE0EEENS1_30default_config_static_selectorELNS0_4arch9wavefront6targetE1EEEvS13_, .Lfunc_end1904-_ZN7rocprim17ROCPRIM_400000_NS6detail17trampoline_kernelINS0_13select_configILj256ELj13ELNS0_17block_load_methodE3ELS4_3ELS4_3ELNS0_20block_scan_algorithmE0ELj4294967295EEENS1_25partition_config_selectorILNS1_17partition_subalgoE4EjNS0_10empty_typeEbEEZZNS1_14partition_implILS8_4ELb0ES6_15HIP_vector_typeIjLj2EENS0_17counting_iteratorIjlEEPS9_SG_NS0_5tupleIJPjSI_NS0_16reverse_iteratorISI_EEEEENSH_IJSG_SG_SG_EEES9_SI_JZNS1_25segmented_radix_sort_implINS0_14default_configELb1EPK12hip_bfloat16PSP_PKlPlN2at6native12_GLOBAL__N_18offset_tEEE10hipError_tPvRmT1_PNSt15iterator_traitsIS13_E10value_typeET2_T3_PNS14_IS19_E10value_typeET4_jRbjT5_S1F_jjP12ihipStream_tbEUljE_ZNSN_ISO_Lb1ESR_SS_SU_SV_SZ_EES10_S11_S12_S13_S17_S18_S19_S1C_S1D_jS1E_jS1F_S1F_jjS1H_bEUljE0_EEES10_S11_S12_S19_S1D_S1F_T6_T7_T9_mT8_S1H_bDpT10_ENKUlT_T0_E_clISt17integral_constantIbLb1EES1U_IbLb0EEEEDaS1Q_S1R_EUlS1Q_E_NS1_11comp_targetILNS1_3genE9ELNS1_11target_archE1100ELNS1_3gpuE3ELNS1_3repE0EEENS1_30default_config_static_selectorELNS0_4arch9wavefront6targetE1EEEvS13_
                                        ; -- End function
	.set _ZN7rocprim17ROCPRIM_400000_NS6detail17trampoline_kernelINS0_13select_configILj256ELj13ELNS0_17block_load_methodE3ELS4_3ELS4_3ELNS0_20block_scan_algorithmE0ELj4294967295EEENS1_25partition_config_selectorILNS1_17partition_subalgoE4EjNS0_10empty_typeEbEEZZNS1_14partition_implILS8_4ELb0ES6_15HIP_vector_typeIjLj2EENS0_17counting_iteratorIjlEEPS9_SG_NS0_5tupleIJPjSI_NS0_16reverse_iteratorISI_EEEEENSH_IJSG_SG_SG_EEES9_SI_JZNS1_25segmented_radix_sort_implINS0_14default_configELb1EPK12hip_bfloat16PSP_PKlPlN2at6native12_GLOBAL__N_18offset_tEEE10hipError_tPvRmT1_PNSt15iterator_traitsIS13_E10value_typeET2_T3_PNS14_IS19_E10value_typeET4_jRbjT5_S1F_jjP12ihipStream_tbEUljE_ZNSN_ISO_Lb1ESR_SS_SU_SV_SZ_EES10_S11_S12_S13_S17_S18_S19_S1C_S1D_jS1E_jS1F_S1F_jjS1H_bEUljE0_EEES10_S11_S12_S19_S1D_S1F_T6_T7_T9_mT8_S1H_bDpT10_ENKUlT_T0_E_clISt17integral_constantIbLb1EES1U_IbLb0EEEEDaS1Q_S1R_EUlS1Q_E_NS1_11comp_targetILNS1_3genE9ELNS1_11target_archE1100ELNS1_3gpuE3ELNS1_3repE0EEENS1_30default_config_static_selectorELNS0_4arch9wavefront6targetE1EEEvS13_.num_vgpr, 0
	.set _ZN7rocprim17ROCPRIM_400000_NS6detail17trampoline_kernelINS0_13select_configILj256ELj13ELNS0_17block_load_methodE3ELS4_3ELS4_3ELNS0_20block_scan_algorithmE0ELj4294967295EEENS1_25partition_config_selectorILNS1_17partition_subalgoE4EjNS0_10empty_typeEbEEZZNS1_14partition_implILS8_4ELb0ES6_15HIP_vector_typeIjLj2EENS0_17counting_iteratorIjlEEPS9_SG_NS0_5tupleIJPjSI_NS0_16reverse_iteratorISI_EEEEENSH_IJSG_SG_SG_EEES9_SI_JZNS1_25segmented_radix_sort_implINS0_14default_configELb1EPK12hip_bfloat16PSP_PKlPlN2at6native12_GLOBAL__N_18offset_tEEE10hipError_tPvRmT1_PNSt15iterator_traitsIS13_E10value_typeET2_T3_PNS14_IS19_E10value_typeET4_jRbjT5_S1F_jjP12ihipStream_tbEUljE_ZNSN_ISO_Lb1ESR_SS_SU_SV_SZ_EES10_S11_S12_S13_S17_S18_S19_S1C_S1D_jS1E_jS1F_S1F_jjS1H_bEUljE0_EEES10_S11_S12_S19_S1D_S1F_T6_T7_T9_mT8_S1H_bDpT10_ENKUlT_T0_E_clISt17integral_constantIbLb1EES1U_IbLb0EEEEDaS1Q_S1R_EUlS1Q_E_NS1_11comp_targetILNS1_3genE9ELNS1_11target_archE1100ELNS1_3gpuE3ELNS1_3repE0EEENS1_30default_config_static_selectorELNS0_4arch9wavefront6targetE1EEEvS13_.num_agpr, 0
	.set _ZN7rocprim17ROCPRIM_400000_NS6detail17trampoline_kernelINS0_13select_configILj256ELj13ELNS0_17block_load_methodE3ELS4_3ELS4_3ELNS0_20block_scan_algorithmE0ELj4294967295EEENS1_25partition_config_selectorILNS1_17partition_subalgoE4EjNS0_10empty_typeEbEEZZNS1_14partition_implILS8_4ELb0ES6_15HIP_vector_typeIjLj2EENS0_17counting_iteratorIjlEEPS9_SG_NS0_5tupleIJPjSI_NS0_16reverse_iteratorISI_EEEEENSH_IJSG_SG_SG_EEES9_SI_JZNS1_25segmented_radix_sort_implINS0_14default_configELb1EPK12hip_bfloat16PSP_PKlPlN2at6native12_GLOBAL__N_18offset_tEEE10hipError_tPvRmT1_PNSt15iterator_traitsIS13_E10value_typeET2_T3_PNS14_IS19_E10value_typeET4_jRbjT5_S1F_jjP12ihipStream_tbEUljE_ZNSN_ISO_Lb1ESR_SS_SU_SV_SZ_EES10_S11_S12_S13_S17_S18_S19_S1C_S1D_jS1E_jS1F_S1F_jjS1H_bEUljE0_EEES10_S11_S12_S19_S1D_S1F_T6_T7_T9_mT8_S1H_bDpT10_ENKUlT_T0_E_clISt17integral_constantIbLb1EES1U_IbLb0EEEEDaS1Q_S1R_EUlS1Q_E_NS1_11comp_targetILNS1_3genE9ELNS1_11target_archE1100ELNS1_3gpuE3ELNS1_3repE0EEENS1_30default_config_static_selectorELNS0_4arch9wavefront6targetE1EEEvS13_.numbered_sgpr, 0
	.set _ZN7rocprim17ROCPRIM_400000_NS6detail17trampoline_kernelINS0_13select_configILj256ELj13ELNS0_17block_load_methodE3ELS4_3ELS4_3ELNS0_20block_scan_algorithmE0ELj4294967295EEENS1_25partition_config_selectorILNS1_17partition_subalgoE4EjNS0_10empty_typeEbEEZZNS1_14partition_implILS8_4ELb0ES6_15HIP_vector_typeIjLj2EENS0_17counting_iteratorIjlEEPS9_SG_NS0_5tupleIJPjSI_NS0_16reverse_iteratorISI_EEEEENSH_IJSG_SG_SG_EEES9_SI_JZNS1_25segmented_radix_sort_implINS0_14default_configELb1EPK12hip_bfloat16PSP_PKlPlN2at6native12_GLOBAL__N_18offset_tEEE10hipError_tPvRmT1_PNSt15iterator_traitsIS13_E10value_typeET2_T3_PNS14_IS19_E10value_typeET4_jRbjT5_S1F_jjP12ihipStream_tbEUljE_ZNSN_ISO_Lb1ESR_SS_SU_SV_SZ_EES10_S11_S12_S13_S17_S18_S19_S1C_S1D_jS1E_jS1F_S1F_jjS1H_bEUljE0_EEES10_S11_S12_S19_S1D_S1F_T6_T7_T9_mT8_S1H_bDpT10_ENKUlT_T0_E_clISt17integral_constantIbLb1EES1U_IbLb0EEEEDaS1Q_S1R_EUlS1Q_E_NS1_11comp_targetILNS1_3genE9ELNS1_11target_archE1100ELNS1_3gpuE3ELNS1_3repE0EEENS1_30default_config_static_selectorELNS0_4arch9wavefront6targetE1EEEvS13_.num_named_barrier, 0
	.set _ZN7rocprim17ROCPRIM_400000_NS6detail17trampoline_kernelINS0_13select_configILj256ELj13ELNS0_17block_load_methodE3ELS4_3ELS4_3ELNS0_20block_scan_algorithmE0ELj4294967295EEENS1_25partition_config_selectorILNS1_17partition_subalgoE4EjNS0_10empty_typeEbEEZZNS1_14partition_implILS8_4ELb0ES6_15HIP_vector_typeIjLj2EENS0_17counting_iteratorIjlEEPS9_SG_NS0_5tupleIJPjSI_NS0_16reverse_iteratorISI_EEEEENSH_IJSG_SG_SG_EEES9_SI_JZNS1_25segmented_radix_sort_implINS0_14default_configELb1EPK12hip_bfloat16PSP_PKlPlN2at6native12_GLOBAL__N_18offset_tEEE10hipError_tPvRmT1_PNSt15iterator_traitsIS13_E10value_typeET2_T3_PNS14_IS19_E10value_typeET4_jRbjT5_S1F_jjP12ihipStream_tbEUljE_ZNSN_ISO_Lb1ESR_SS_SU_SV_SZ_EES10_S11_S12_S13_S17_S18_S19_S1C_S1D_jS1E_jS1F_S1F_jjS1H_bEUljE0_EEES10_S11_S12_S19_S1D_S1F_T6_T7_T9_mT8_S1H_bDpT10_ENKUlT_T0_E_clISt17integral_constantIbLb1EES1U_IbLb0EEEEDaS1Q_S1R_EUlS1Q_E_NS1_11comp_targetILNS1_3genE9ELNS1_11target_archE1100ELNS1_3gpuE3ELNS1_3repE0EEENS1_30default_config_static_selectorELNS0_4arch9wavefront6targetE1EEEvS13_.private_seg_size, 0
	.set _ZN7rocprim17ROCPRIM_400000_NS6detail17trampoline_kernelINS0_13select_configILj256ELj13ELNS0_17block_load_methodE3ELS4_3ELS4_3ELNS0_20block_scan_algorithmE0ELj4294967295EEENS1_25partition_config_selectorILNS1_17partition_subalgoE4EjNS0_10empty_typeEbEEZZNS1_14partition_implILS8_4ELb0ES6_15HIP_vector_typeIjLj2EENS0_17counting_iteratorIjlEEPS9_SG_NS0_5tupleIJPjSI_NS0_16reverse_iteratorISI_EEEEENSH_IJSG_SG_SG_EEES9_SI_JZNS1_25segmented_radix_sort_implINS0_14default_configELb1EPK12hip_bfloat16PSP_PKlPlN2at6native12_GLOBAL__N_18offset_tEEE10hipError_tPvRmT1_PNSt15iterator_traitsIS13_E10value_typeET2_T3_PNS14_IS19_E10value_typeET4_jRbjT5_S1F_jjP12ihipStream_tbEUljE_ZNSN_ISO_Lb1ESR_SS_SU_SV_SZ_EES10_S11_S12_S13_S17_S18_S19_S1C_S1D_jS1E_jS1F_S1F_jjS1H_bEUljE0_EEES10_S11_S12_S19_S1D_S1F_T6_T7_T9_mT8_S1H_bDpT10_ENKUlT_T0_E_clISt17integral_constantIbLb1EES1U_IbLb0EEEEDaS1Q_S1R_EUlS1Q_E_NS1_11comp_targetILNS1_3genE9ELNS1_11target_archE1100ELNS1_3gpuE3ELNS1_3repE0EEENS1_30default_config_static_selectorELNS0_4arch9wavefront6targetE1EEEvS13_.uses_vcc, 0
	.set _ZN7rocprim17ROCPRIM_400000_NS6detail17trampoline_kernelINS0_13select_configILj256ELj13ELNS0_17block_load_methodE3ELS4_3ELS4_3ELNS0_20block_scan_algorithmE0ELj4294967295EEENS1_25partition_config_selectorILNS1_17partition_subalgoE4EjNS0_10empty_typeEbEEZZNS1_14partition_implILS8_4ELb0ES6_15HIP_vector_typeIjLj2EENS0_17counting_iteratorIjlEEPS9_SG_NS0_5tupleIJPjSI_NS0_16reverse_iteratorISI_EEEEENSH_IJSG_SG_SG_EEES9_SI_JZNS1_25segmented_radix_sort_implINS0_14default_configELb1EPK12hip_bfloat16PSP_PKlPlN2at6native12_GLOBAL__N_18offset_tEEE10hipError_tPvRmT1_PNSt15iterator_traitsIS13_E10value_typeET2_T3_PNS14_IS19_E10value_typeET4_jRbjT5_S1F_jjP12ihipStream_tbEUljE_ZNSN_ISO_Lb1ESR_SS_SU_SV_SZ_EES10_S11_S12_S13_S17_S18_S19_S1C_S1D_jS1E_jS1F_S1F_jjS1H_bEUljE0_EEES10_S11_S12_S19_S1D_S1F_T6_T7_T9_mT8_S1H_bDpT10_ENKUlT_T0_E_clISt17integral_constantIbLb1EES1U_IbLb0EEEEDaS1Q_S1R_EUlS1Q_E_NS1_11comp_targetILNS1_3genE9ELNS1_11target_archE1100ELNS1_3gpuE3ELNS1_3repE0EEENS1_30default_config_static_selectorELNS0_4arch9wavefront6targetE1EEEvS13_.uses_flat_scratch, 0
	.set _ZN7rocprim17ROCPRIM_400000_NS6detail17trampoline_kernelINS0_13select_configILj256ELj13ELNS0_17block_load_methodE3ELS4_3ELS4_3ELNS0_20block_scan_algorithmE0ELj4294967295EEENS1_25partition_config_selectorILNS1_17partition_subalgoE4EjNS0_10empty_typeEbEEZZNS1_14partition_implILS8_4ELb0ES6_15HIP_vector_typeIjLj2EENS0_17counting_iteratorIjlEEPS9_SG_NS0_5tupleIJPjSI_NS0_16reverse_iteratorISI_EEEEENSH_IJSG_SG_SG_EEES9_SI_JZNS1_25segmented_radix_sort_implINS0_14default_configELb1EPK12hip_bfloat16PSP_PKlPlN2at6native12_GLOBAL__N_18offset_tEEE10hipError_tPvRmT1_PNSt15iterator_traitsIS13_E10value_typeET2_T3_PNS14_IS19_E10value_typeET4_jRbjT5_S1F_jjP12ihipStream_tbEUljE_ZNSN_ISO_Lb1ESR_SS_SU_SV_SZ_EES10_S11_S12_S13_S17_S18_S19_S1C_S1D_jS1E_jS1F_S1F_jjS1H_bEUljE0_EEES10_S11_S12_S19_S1D_S1F_T6_T7_T9_mT8_S1H_bDpT10_ENKUlT_T0_E_clISt17integral_constantIbLb1EES1U_IbLb0EEEEDaS1Q_S1R_EUlS1Q_E_NS1_11comp_targetILNS1_3genE9ELNS1_11target_archE1100ELNS1_3gpuE3ELNS1_3repE0EEENS1_30default_config_static_selectorELNS0_4arch9wavefront6targetE1EEEvS13_.has_dyn_sized_stack, 0
	.set _ZN7rocprim17ROCPRIM_400000_NS6detail17trampoline_kernelINS0_13select_configILj256ELj13ELNS0_17block_load_methodE3ELS4_3ELS4_3ELNS0_20block_scan_algorithmE0ELj4294967295EEENS1_25partition_config_selectorILNS1_17partition_subalgoE4EjNS0_10empty_typeEbEEZZNS1_14partition_implILS8_4ELb0ES6_15HIP_vector_typeIjLj2EENS0_17counting_iteratorIjlEEPS9_SG_NS0_5tupleIJPjSI_NS0_16reverse_iteratorISI_EEEEENSH_IJSG_SG_SG_EEES9_SI_JZNS1_25segmented_radix_sort_implINS0_14default_configELb1EPK12hip_bfloat16PSP_PKlPlN2at6native12_GLOBAL__N_18offset_tEEE10hipError_tPvRmT1_PNSt15iterator_traitsIS13_E10value_typeET2_T3_PNS14_IS19_E10value_typeET4_jRbjT5_S1F_jjP12ihipStream_tbEUljE_ZNSN_ISO_Lb1ESR_SS_SU_SV_SZ_EES10_S11_S12_S13_S17_S18_S19_S1C_S1D_jS1E_jS1F_S1F_jjS1H_bEUljE0_EEES10_S11_S12_S19_S1D_S1F_T6_T7_T9_mT8_S1H_bDpT10_ENKUlT_T0_E_clISt17integral_constantIbLb1EES1U_IbLb0EEEEDaS1Q_S1R_EUlS1Q_E_NS1_11comp_targetILNS1_3genE9ELNS1_11target_archE1100ELNS1_3gpuE3ELNS1_3repE0EEENS1_30default_config_static_selectorELNS0_4arch9wavefront6targetE1EEEvS13_.has_recursion, 0
	.set _ZN7rocprim17ROCPRIM_400000_NS6detail17trampoline_kernelINS0_13select_configILj256ELj13ELNS0_17block_load_methodE3ELS4_3ELS4_3ELNS0_20block_scan_algorithmE0ELj4294967295EEENS1_25partition_config_selectorILNS1_17partition_subalgoE4EjNS0_10empty_typeEbEEZZNS1_14partition_implILS8_4ELb0ES6_15HIP_vector_typeIjLj2EENS0_17counting_iteratorIjlEEPS9_SG_NS0_5tupleIJPjSI_NS0_16reverse_iteratorISI_EEEEENSH_IJSG_SG_SG_EEES9_SI_JZNS1_25segmented_radix_sort_implINS0_14default_configELb1EPK12hip_bfloat16PSP_PKlPlN2at6native12_GLOBAL__N_18offset_tEEE10hipError_tPvRmT1_PNSt15iterator_traitsIS13_E10value_typeET2_T3_PNS14_IS19_E10value_typeET4_jRbjT5_S1F_jjP12ihipStream_tbEUljE_ZNSN_ISO_Lb1ESR_SS_SU_SV_SZ_EES10_S11_S12_S13_S17_S18_S19_S1C_S1D_jS1E_jS1F_S1F_jjS1H_bEUljE0_EEES10_S11_S12_S19_S1D_S1F_T6_T7_T9_mT8_S1H_bDpT10_ENKUlT_T0_E_clISt17integral_constantIbLb1EES1U_IbLb0EEEEDaS1Q_S1R_EUlS1Q_E_NS1_11comp_targetILNS1_3genE9ELNS1_11target_archE1100ELNS1_3gpuE3ELNS1_3repE0EEENS1_30default_config_static_selectorELNS0_4arch9wavefront6targetE1EEEvS13_.has_indirect_call, 0
	.section	.AMDGPU.csdata,"",@progbits
; Kernel info:
; codeLenInByte = 0
; TotalNumSgprs: 4
; NumVgprs: 0
; ScratchSize: 0
; MemoryBound: 0
; FloatMode: 240
; IeeeMode: 1
; LDSByteSize: 0 bytes/workgroup (compile time only)
; SGPRBlocks: 0
; VGPRBlocks: 0
; NumSGPRsForWavesPerEU: 4
; NumVGPRsForWavesPerEU: 1
; Occupancy: 10
; WaveLimiterHint : 0
; COMPUTE_PGM_RSRC2:SCRATCH_EN: 0
; COMPUTE_PGM_RSRC2:USER_SGPR: 6
; COMPUTE_PGM_RSRC2:TRAP_HANDLER: 0
; COMPUTE_PGM_RSRC2:TGID_X_EN: 1
; COMPUTE_PGM_RSRC2:TGID_Y_EN: 0
; COMPUTE_PGM_RSRC2:TGID_Z_EN: 0
; COMPUTE_PGM_RSRC2:TIDIG_COMP_CNT: 0
	.section	.text._ZN7rocprim17ROCPRIM_400000_NS6detail17trampoline_kernelINS0_13select_configILj256ELj13ELNS0_17block_load_methodE3ELS4_3ELS4_3ELNS0_20block_scan_algorithmE0ELj4294967295EEENS1_25partition_config_selectorILNS1_17partition_subalgoE4EjNS0_10empty_typeEbEEZZNS1_14partition_implILS8_4ELb0ES6_15HIP_vector_typeIjLj2EENS0_17counting_iteratorIjlEEPS9_SG_NS0_5tupleIJPjSI_NS0_16reverse_iteratorISI_EEEEENSH_IJSG_SG_SG_EEES9_SI_JZNS1_25segmented_radix_sort_implINS0_14default_configELb1EPK12hip_bfloat16PSP_PKlPlN2at6native12_GLOBAL__N_18offset_tEEE10hipError_tPvRmT1_PNSt15iterator_traitsIS13_E10value_typeET2_T3_PNS14_IS19_E10value_typeET4_jRbjT5_S1F_jjP12ihipStream_tbEUljE_ZNSN_ISO_Lb1ESR_SS_SU_SV_SZ_EES10_S11_S12_S13_S17_S18_S19_S1C_S1D_jS1E_jS1F_S1F_jjS1H_bEUljE0_EEES10_S11_S12_S19_S1D_S1F_T6_T7_T9_mT8_S1H_bDpT10_ENKUlT_T0_E_clISt17integral_constantIbLb1EES1U_IbLb0EEEEDaS1Q_S1R_EUlS1Q_E_NS1_11comp_targetILNS1_3genE8ELNS1_11target_archE1030ELNS1_3gpuE2ELNS1_3repE0EEENS1_30default_config_static_selectorELNS0_4arch9wavefront6targetE1EEEvS13_,"axG",@progbits,_ZN7rocprim17ROCPRIM_400000_NS6detail17trampoline_kernelINS0_13select_configILj256ELj13ELNS0_17block_load_methodE3ELS4_3ELS4_3ELNS0_20block_scan_algorithmE0ELj4294967295EEENS1_25partition_config_selectorILNS1_17partition_subalgoE4EjNS0_10empty_typeEbEEZZNS1_14partition_implILS8_4ELb0ES6_15HIP_vector_typeIjLj2EENS0_17counting_iteratorIjlEEPS9_SG_NS0_5tupleIJPjSI_NS0_16reverse_iteratorISI_EEEEENSH_IJSG_SG_SG_EEES9_SI_JZNS1_25segmented_radix_sort_implINS0_14default_configELb1EPK12hip_bfloat16PSP_PKlPlN2at6native12_GLOBAL__N_18offset_tEEE10hipError_tPvRmT1_PNSt15iterator_traitsIS13_E10value_typeET2_T3_PNS14_IS19_E10value_typeET4_jRbjT5_S1F_jjP12ihipStream_tbEUljE_ZNSN_ISO_Lb1ESR_SS_SU_SV_SZ_EES10_S11_S12_S13_S17_S18_S19_S1C_S1D_jS1E_jS1F_S1F_jjS1H_bEUljE0_EEES10_S11_S12_S19_S1D_S1F_T6_T7_T9_mT8_S1H_bDpT10_ENKUlT_T0_E_clISt17integral_constantIbLb1EES1U_IbLb0EEEEDaS1Q_S1R_EUlS1Q_E_NS1_11comp_targetILNS1_3genE8ELNS1_11target_archE1030ELNS1_3gpuE2ELNS1_3repE0EEENS1_30default_config_static_selectorELNS0_4arch9wavefront6targetE1EEEvS13_,comdat
	.globl	_ZN7rocprim17ROCPRIM_400000_NS6detail17trampoline_kernelINS0_13select_configILj256ELj13ELNS0_17block_load_methodE3ELS4_3ELS4_3ELNS0_20block_scan_algorithmE0ELj4294967295EEENS1_25partition_config_selectorILNS1_17partition_subalgoE4EjNS0_10empty_typeEbEEZZNS1_14partition_implILS8_4ELb0ES6_15HIP_vector_typeIjLj2EENS0_17counting_iteratorIjlEEPS9_SG_NS0_5tupleIJPjSI_NS0_16reverse_iteratorISI_EEEEENSH_IJSG_SG_SG_EEES9_SI_JZNS1_25segmented_radix_sort_implINS0_14default_configELb1EPK12hip_bfloat16PSP_PKlPlN2at6native12_GLOBAL__N_18offset_tEEE10hipError_tPvRmT1_PNSt15iterator_traitsIS13_E10value_typeET2_T3_PNS14_IS19_E10value_typeET4_jRbjT5_S1F_jjP12ihipStream_tbEUljE_ZNSN_ISO_Lb1ESR_SS_SU_SV_SZ_EES10_S11_S12_S13_S17_S18_S19_S1C_S1D_jS1E_jS1F_S1F_jjS1H_bEUljE0_EEES10_S11_S12_S19_S1D_S1F_T6_T7_T9_mT8_S1H_bDpT10_ENKUlT_T0_E_clISt17integral_constantIbLb1EES1U_IbLb0EEEEDaS1Q_S1R_EUlS1Q_E_NS1_11comp_targetILNS1_3genE8ELNS1_11target_archE1030ELNS1_3gpuE2ELNS1_3repE0EEENS1_30default_config_static_selectorELNS0_4arch9wavefront6targetE1EEEvS13_ ; -- Begin function _ZN7rocprim17ROCPRIM_400000_NS6detail17trampoline_kernelINS0_13select_configILj256ELj13ELNS0_17block_load_methodE3ELS4_3ELS4_3ELNS0_20block_scan_algorithmE0ELj4294967295EEENS1_25partition_config_selectorILNS1_17partition_subalgoE4EjNS0_10empty_typeEbEEZZNS1_14partition_implILS8_4ELb0ES6_15HIP_vector_typeIjLj2EENS0_17counting_iteratorIjlEEPS9_SG_NS0_5tupleIJPjSI_NS0_16reverse_iteratorISI_EEEEENSH_IJSG_SG_SG_EEES9_SI_JZNS1_25segmented_radix_sort_implINS0_14default_configELb1EPK12hip_bfloat16PSP_PKlPlN2at6native12_GLOBAL__N_18offset_tEEE10hipError_tPvRmT1_PNSt15iterator_traitsIS13_E10value_typeET2_T3_PNS14_IS19_E10value_typeET4_jRbjT5_S1F_jjP12ihipStream_tbEUljE_ZNSN_ISO_Lb1ESR_SS_SU_SV_SZ_EES10_S11_S12_S13_S17_S18_S19_S1C_S1D_jS1E_jS1F_S1F_jjS1H_bEUljE0_EEES10_S11_S12_S19_S1D_S1F_T6_T7_T9_mT8_S1H_bDpT10_ENKUlT_T0_E_clISt17integral_constantIbLb1EES1U_IbLb0EEEEDaS1Q_S1R_EUlS1Q_E_NS1_11comp_targetILNS1_3genE8ELNS1_11target_archE1030ELNS1_3gpuE2ELNS1_3repE0EEENS1_30default_config_static_selectorELNS0_4arch9wavefront6targetE1EEEvS13_
	.p2align	8
	.type	_ZN7rocprim17ROCPRIM_400000_NS6detail17trampoline_kernelINS0_13select_configILj256ELj13ELNS0_17block_load_methodE3ELS4_3ELS4_3ELNS0_20block_scan_algorithmE0ELj4294967295EEENS1_25partition_config_selectorILNS1_17partition_subalgoE4EjNS0_10empty_typeEbEEZZNS1_14partition_implILS8_4ELb0ES6_15HIP_vector_typeIjLj2EENS0_17counting_iteratorIjlEEPS9_SG_NS0_5tupleIJPjSI_NS0_16reverse_iteratorISI_EEEEENSH_IJSG_SG_SG_EEES9_SI_JZNS1_25segmented_radix_sort_implINS0_14default_configELb1EPK12hip_bfloat16PSP_PKlPlN2at6native12_GLOBAL__N_18offset_tEEE10hipError_tPvRmT1_PNSt15iterator_traitsIS13_E10value_typeET2_T3_PNS14_IS19_E10value_typeET4_jRbjT5_S1F_jjP12ihipStream_tbEUljE_ZNSN_ISO_Lb1ESR_SS_SU_SV_SZ_EES10_S11_S12_S13_S17_S18_S19_S1C_S1D_jS1E_jS1F_S1F_jjS1H_bEUljE0_EEES10_S11_S12_S19_S1D_S1F_T6_T7_T9_mT8_S1H_bDpT10_ENKUlT_T0_E_clISt17integral_constantIbLb1EES1U_IbLb0EEEEDaS1Q_S1R_EUlS1Q_E_NS1_11comp_targetILNS1_3genE8ELNS1_11target_archE1030ELNS1_3gpuE2ELNS1_3repE0EEENS1_30default_config_static_selectorELNS0_4arch9wavefront6targetE1EEEvS13_,@function
_ZN7rocprim17ROCPRIM_400000_NS6detail17trampoline_kernelINS0_13select_configILj256ELj13ELNS0_17block_load_methodE3ELS4_3ELS4_3ELNS0_20block_scan_algorithmE0ELj4294967295EEENS1_25partition_config_selectorILNS1_17partition_subalgoE4EjNS0_10empty_typeEbEEZZNS1_14partition_implILS8_4ELb0ES6_15HIP_vector_typeIjLj2EENS0_17counting_iteratorIjlEEPS9_SG_NS0_5tupleIJPjSI_NS0_16reverse_iteratorISI_EEEEENSH_IJSG_SG_SG_EEES9_SI_JZNS1_25segmented_radix_sort_implINS0_14default_configELb1EPK12hip_bfloat16PSP_PKlPlN2at6native12_GLOBAL__N_18offset_tEEE10hipError_tPvRmT1_PNSt15iterator_traitsIS13_E10value_typeET2_T3_PNS14_IS19_E10value_typeET4_jRbjT5_S1F_jjP12ihipStream_tbEUljE_ZNSN_ISO_Lb1ESR_SS_SU_SV_SZ_EES10_S11_S12_S13_S17_S18_S19_S1C_S1D_jS1E_jS1F_S1F_jjS1H_bEUljE0_EEES10_S11_S12_S19_S1D_S1F_T6_T7_T9_mT8_S1H_bDpT10_ENKUlT_T0_E_clISt17integral_constantIbLb1EES1U_IbLb0EEEEDaS1Q_S1R_EUlS1Q_E_NS1_11comp_targetILNS1_3genE8ELNS1_11target_archE1030ELNS1_3gpuE2ELNS1_3repE0EEENS1_30default_config_static_selectorELNS0_4arch9wavefront6targetE1EEEvS13_: ; @_ZN7rocprim17ROCPRIM_400000_NS6detail17trampoline_kernelINS0_13select_configILj256ELj13ELNS0_17block_load_methodE3ELS4_3ELS4_3ELNS0_20block_scan_algorithmE0ELj4294967295EEENS1_25partition_config_selectorILNS1_17partition_subalgoE4EjNS0_10empty_typeEbEEZZNS1_14partition_implILS8_4ELb0ES6_15HIP_vector_typeIjLj2EENS0_17counting_iteratorIjlEEPS9_SG_NS0_5tupleIJPjSI_NS0_16reverse_iteratorISI_EEEEENSH_IJSG_SG_SG_EEES9_SI_JZNS1_25segmented_radix_sort_implINS0_14default_configELb1EPK12hip_bfloat16PSP_PKlPlN2at6native12_GLOBAL__N_18offset_tEEE10hipError_tPvRmT1_PNSt15iterator_traitsIS13_E10value_typeET2_T3_PNS14_IS19_E10value_typeET4_jRbjT5_S1F_jjP12ihipStream_tbEUljE_ZNSN_ISO_Lb1ESR_SS_SU_SV_SZ_EES10_S11_S12_S13_S17_S18_S19_S1C_S1D_jS1E_jS1F_S1F_jjS1H_bEUljE0_EEES10_S11_S12_S19_S1D_S1F_T6_T7_T9_mT8_S1H_bDpT10_ENKUlT_T0_E_clISt17integral_constantIbLb1EES1U_IbLb0EEEEDaS1Q_S1R_EUlS1Q_E_NS1_11comp_targetILNS1_3genE8ELNS1_11target_archE1030ELNS1_3gpuE2ELNS1_3repE0EEENS1_30default_config_static_selectorELNS0_4arch9wavefront6targetE1EEEvS13_
; %bb.0:
	.section	.rodata,"a",@progbits
	.p2align	6, 0x0
	.amdhsa_kernel _ZN7rocprim17ROCPRIM_400000_NS6detail17trampoline_kernelINS0_13select_configILj256ELj13ELNS0_17block_load_methodE3ELS4_3ELS4_3ELNS0_20block_scan_algorithmE0ELj4294967295EEENS1_25partition_config_selectorILNS1_17partition_subalgoE4EjNS0_10empty_typeEbEEZZNS1_14partition_implILS8_4ELb0ES6_15HIP_vector_typeIjLj2EENS0_17counting_iteratorIjlEEPS9_SG_NS0_5tupleIJPjSI_NS0_16reverse_iteratorISI_EEEEENSH_IJSG_SG_SG_EEES9_SI_JZNS1_25segmented_radix_sort_implINS0_14default_configELb1EPK12hip_bfloat16PSP_PKlPlN2at6native12_GLOBAL__N_18offset_tEEE10hipError_tPvRmT1_PNSt15iterator_traitsIS13_E10value_typeET2_T3_PNS14_IS19_E10value_typeET4_jRbjT5_S1F_jjP12ihipStream_tbEUljE_ZNSN_ISO_Lb1ESR_SS_SU_SV_SZ_EES10_S11_S12_S13_S17_S18_S19_S1C_S1D_jS1E_jS1F_S1F_jjS1H_bEUljE0_EEES10_S11_S12_S19_S1D_S1F_T6_T7_T9_mT8_S1H_bDpT10_ENKUlT_T0_E_clISt17integral_constantIbLb1EES1U_IbLb0EEEEDaS1Q_S1R_EUlS1Q_E_NS1_11comp_targetILNS1_3genE8ELNS1_11target_archE1030ELNS1_3gpuE2ELNS1_3repE0EEENS1_30default_config_static_selectorELNS0_4arch9wavefront6targetE1EEEvS13_
		.amdhsa_group_segment_fixed_size 0
		.amdhsa_private_segment_fixed_size 0
		.amdhsa_kernarg_size 176
		.amdhsa_user_sgpr_count 6
		.amdhsa_user_sgpr_private_segment_buffer 1
		.amdhsa_user_sgpr_dispatch_ptr 0
		.amdhsa_user_sgpr_queue_ptr 0
		.amdhsa_user_sgpr_kernarg_segment_ptr 1
		.amdhsa_user_sgpr_dispatch_id 0
		.amdhsa_user_sgpr_flat_scratch_init 0
		.amdhsa_user_sgpr_private_segment_size 0
		.amdhsa_uses_dynamic_stack 0
		.amdhsa_system_sgpr_private_segment_wavefront_offset 0
		.amdhsa_system_sgpr_workgroup_id_x 1
		.amdhsa_system_sgpr_workgroup_id_y 0
		.amdhsa_system_sgpr_workgroup_id_z 0
		.amdhsa_system_sgpr_workgroup_info 0
		.amdhsa_system_vgpr_workitem_id 0
		.amdhsa_next_free_vgpr 1
		.amdhsa_next_free_sgpr 0
		.amdhsa_reserve_vcc 0
		.amdhsa_reserve_flat_scratch 0
		.amdhsa_float_round_mode_32 0
		.amdhsa_float_round_mode_16_64 0
		.amdhsa_float_denorm_mode_32 3
		.amdhsa_float_denorm_mode_16_64 3
		.amdhsa_dx10_clamp 1
		.amdhsa_ieee_mode 1
		.amdhsa_fp16_overflow 0
		.amdhsa_exception_fp_ieee_invalid_op 0
		.amdhsa_exception_fp_denorm_src 0
		.amdhsa_exception_fp_ieee_div_zero 0
		.amdhsa_exception_fp_ieee_overflow 0
		.amdhsa_exception_fp_ieee_underflow 0
		.amdhsa_exception_fp_ieee_inexact 0
		.amdhsa_exception_int_div_zero 0
	.end_amdhsa_kernel
	.section	.text._ZN7rocprim17ROCPRIM_400000_NS6detail17trampoline_kernelINS0_13select_configILj256ELj13ELNS0_17block_load_methodE3ELS4_3ELS4_3ELNS0_20block_scan_algorithmE0ELj4294967295EEENS1_25partition_config_selectorILNS1_17partition_subalgoE4EjNS0_10empty_typeEbEEZZNS1_14partition_implILS8_4ELb0ES6_15HIP_vector_typeIjLj2EENS0_17counting_iteratorIjlEEPS9_SG_NS0_5tupleIJPjSI_NS0_16reverse_iteratorISI_EEEEENSH_IJSG_SG_SG_EEES9_SI_JZNS1_25segmented_radix_sort_implINS0_14default_configELb1EPK12hip_bfloat16PSP_PKlPlN2at6native12_GLOBAL__N_18offset_tEEE10hipError_tPvRmT1_PNSt15iterator_traitsIS13_E10value_typeET2_T3_PNS14_IS19_E10value_typeET4_jRbjT5_S1F_jjP12ihipStream_tbEUljE_ZNSN_ISO_Lb1ESR_SS_SU_SV_SZ_EES10_S11_S12_S13_S17_S18_S19_S1C_S1D_jS1E_jS1F_S1F_jjS1H_bEUljE0_EEES10_S11_S12_S19_S1D_S1F_T6_T7_T9_mT8_S1H_bDpT10_ENKUlT_T0_E_clISt17integral_constantIbLb1EES1U_IbLb0EEEEDaS1Q_S1R_EUlS1Q_E_NS1_11comp_targetILNS1_3genE8ELNS1_11target_archE1030ELNS1_3gpuE2ELNS1_3repE0EEENS1_30default_config_static_selectorELNS0_4arch9wavefront6targetE1EEEvS13_,"axG",@progbits,_ZN7rocprim17ROCPRIM_400000_NS6detail17trampoline_kernelINS0_13select_configILj256ELj13ELNS0_17block_load_methodE3ELS4_3ELS4_3ELNS0_20block_scan_algorithmE0ELj4294967295EEENS1_25partition_config_selectorILNS1_17partition_subalgoE4EjNS0_10empty_typeEbEEZZNS1_14partition_implILS8_4ELb0ES6_15HIP_vector_typeIjLj2EENS0_17counting_iteratorIjlEEPS9_SG_NS0_5tupleIJPjSI_NS0_16reverse_iteratorISI_EEEEENSH_IJSG_SG_SG_EEES9_SI_JZNS1_25segmented_radix_sort_implINS0_14default_configELb1EPK12hip_bfloat16PSP_PKlPlN2at6native12_GLOBAL__N_18offset_tEEE10hipError_tPvRmT1_PNSt15iterator_traitsIS13_E10value_typeET2_T3_PNS14_IS19_E10value_typeET4_jRbjT5_S1F_jjP12ihipStream_tbEUljE_ZNSN_ISO_Lb1ESR_SS_SU_SV_SZ_EES10_S11_S12_S13_S17_S18_S19_S1C_S1D_jS1E_jS1F_S1F_jjS1H_bEUljE0_EEES10_S11_S12_S19_S1D_S1F_T6_T7_T9_mT8_S1H_bDpT10_ENKUlT_T0_E_clISt17integral_constantIbLb1EES1U_IbLb0EEEEDaS1Q_S1R_EUlS1Q_E_NS1_11comp_targetILNS1_3genE8ELNS1_11target_archE1030ELNS1_3gpuE2ELNS1_3repE0EEENS1_30default_config_static_selectorELNS0_4arch9wavefront6targetE1EEEvS13_,comdat
.Lfunc_end1905:
	.size	_ZN7rocprim17ROCPRIM_400000_NS6detail17trampoline_kernelINS0_13select_configILj256ELj13ELNS0_17block_load_methodE3ELS4_3ELS4_3ELNS0_20block_scan_algorithmE0ELj4294967295EEENS1_25partition_config_selectorILNS1_17partition_subalgoE4EjNS0_10empty_typeEbEEZZNS1_14partition_implILS8_4ELb0ES6_15HIP_vector_typeIjLj2EENS0_17counting_iteratorIjlEEPS9_SG_NS0_5tupleIJPjSI_NS0_16reverse_iteratorISI_EEEEENSH_IJSG_SG_SG_EEES9_SI_JZNS1_25segmented_radix_sort_implINS0_14default_configELb1EPK12hip_bfloat16PSP_PKlPlN2at6native12_GLOBAL__N_18offset_tEEE10hipError_tPvRmT1_PNSt15iterator_traitsIS13_E10value_typeET2_T3_PNS14_IS19_E10value_typeET4_jRbjT5_S1F_jjP12ihipStream_tbEUljE_ZNSN_ISO_Lb1ESR_SS_SU_SV_SZ_EES10_S11_S12_S13_S17_S18_S19_S1C_S1D_jS1E_jS1F_S1F_jjS1H_bEUljE0_EEES10_S11_S12_S19_S1D_S1F_T6_T7_T9_mT8_S1H_bDpT10_ENKUlT_T0_E_clISt17integral_constantIbLb1EES1U_IbLb0EEEEDaS1Q_S1R_EUlS1Q_E_NS1_11comp_targetILNS1_3genE8ELNS1_11target_archE1030ELNS1_3gpuE2ELNS1_3repE0EEENS1_30default_config_static_selectorELNS0_4arch9wavefront6targetE1EEEvS13_, .Lfunc_end1905-_ZN7rocprim17ROCPRIM_400000_NS6detail17trampoline_kernelINS0_13select_configILj256ELj13ELNS0_17block_load_methodE3ELS4_3ELS4_3ELNS0_20block_scan_algorithmE0ELj4294967295EEENS1_25partition_config_selectorILNS1_17partition_subalgoE4EjNS0_10empty_typeEbEEZZNS1_14partition_implILS8_4ELb0ES6_15HIP_vector_typeIjLj2EENS0_17counting_iteratorIjlEEPS9_SG_NS0_5tupleIJPjSI_NS0_16reverse_iteratorISI_EEEEENSH_IJSG_SG_SG_EEES9_SI_JZNS1_25segmented_radix_sort_implINS0_14default_configELb1EPK12hip_bfloat16PSP_PKlPlN2at6native12_GLOBAL__N_18offset_tEEE10hipError_tPvRmT1_PNSt15iterator_traitsIS13_E10value_typeET2_T3_PNS14_IS19_E10value_typeET4_jRbjT5_S1F_jjP12ihipStream_tbEUljE_ZNSN_ISO_Lb1ESR_SS_SU_SV_SZ_EES10_S11_S12_S13_S17_S18_S19_S1C_S1D_jS1E_jS1F_S1F_jjS1H_bEUljE0_EEES10_S11_S12_S19_S1D_S1F_T6_T7_T9_mT8_S1H_bDpT10_ENKUlT_T0_E_clISt17integral_constantIbLb1EES1U_IbLb0EEEEDaS1Q_S1R_EUlS1Q_E_NS1_11comp_targetILNS1_3genE8ELNS1_11target_archE1030ELNS1_3gpuE2ELNS1_3repE0EEENS1_30default_config_static_selectorELNS0_4arch9wavefront6targetE1EEEvS13_
                                        ; -- End function
	.set _ZN7rocprim17ROCPRIM_400000_NS6detail17trampoline_kernelINS0_13select_configILj256ELj13ELNS0_17block_load_methodE3ELS4_3ELS4_3ELNS0_20block_scan_algorithmE0ELj4294967295EEENS1_25partition_config_selectorILNS1_17partition_subalgoE4EjNS0_10empty_typeEbEEZZNS1_14partition_implILS8_4ELb0ES6_15HIP_vector_typeIjLj2EENS0_17counting_iteratorIjlEEPS9_SG_NS0_5tupleIJPjSI_NS0_16reverse_iteratorISI_EEEEENSH_IJSG_SG_SG_EEES9_SI_JZNS1_25segmented_radix_sort_implINS0_14default_configELb1EPK12hip_bfloat16PSP_PKlPlN2at6native12_GLOBAL__N_18offset_tEEE10hipError_tPvRmT1_PNSt15iterator_traitsIS13_E10value_typeET2_T3_PNS14_IS19_E10value_typeET4_jRbjT5_S1F_jjP12ihipStream_tbEUljE_ZNSN_ISO_Lb1ESR_SS_SU_SV_SZ_EES10_S11_S12_S13_S17_S18_S19_S1C_S1D_jS1E_jS1F_S1F_jjS1H_bEUljE0_EEES10_S11_S12_S19_S1D_S1F_T6_T7_T9_mT8_S1H_bDpT10_ENKUlT_T0_E_clISt17integral_constantIbLb1EES1U_IbLb0EEEEDaS1Q_S1R_EUlS1Q_E_NS1_11comp_targetILNS1_3genE8ELNS1_11target_archE1030ELNS1_3gpuE2ELNS1_3repE0EEENS1_30default_config_static_selectorELNS0_4arch9wavefront6targetE1EEEvS13_.num_vgpr, 0
	.set _ZN7rocprim17ROCPRIM_400000_NS6detail17trampoline_kernelINS0_13select_configILj256ELj13ELNS0_17block_load_methodE3ELS4_3ELS4_3ELNS0_20block_scan_algorithmE0ELj4294967295EEENS1_25partition_config_selectorILNS1_17partition_subalgoE4EjNS0_10empty_typeEbEEZZNS1_14partition_implILS8_4ELb0ES6_15HIP_vector_typeIjLj2EENS0_17counting_iteratorIjlEEPS9_SG_NS0_5tupleIJPjSI_NS0_16reverse_iteratorISI_EEEEENSH_IJSG_SG_SG_EEES9_SI_JZNS1_25segmented_radix_sort_implINS0_14default_configELb1EPK12hip_bfloat16PSP_PKlPlN2at6native12_GLOBAL__N_18offset_tEEE10hipError_tPvRmT1_PNSt15iterator_traitsIS13_E10value_typeET2_T3_PNS14_IS19_E10value_typeET4_jRbjT5_S1F_jjP12ihipStream_tbEUljE_ZNSN_ISO_Lb1ESR_SS_SU_SV_SZ_EES10_S11_S12_S13_S17_S18_S19_S1C_S1D_jS1E_jS1F_S1F_jjS1H_bEUljE0_EEES10_S11_S12_S19_S1D_S1F_T6_T7_T9_mT8_S1H_bDpT10_ENKUlT_T0_E_clISt17integral_constantIbLb1EES1U_IbLb0EEEEDaS1Q_S1R_EUlS1Q_E_NS1_11comp_targetILNS1_3genE8ELNS1_11target_archE1030ELNS1_3gpuE2ELNS1_3repE0EEENS1_30default_config_static_selectorELNS0_4arch9wavefront6targetE1EEEvS13_.num_agpr, 0
	.set _ZN7rocprim17ROCPRIM_400000_NS6detail17trampoline_kernelINS0_13select_configILj256ELj13ELNS0_17block_load_methodE3ELS4_3ELS4_3ELNS0_20block_scan_algorithmE0ELj4294967295EEENS1_25partition_config_selectorILNS1_17partition_subalgoE4EjNS0_10empty_typeEbEEZZNS1_14partition_implILS8_4ELb0ES6_15HIP_vector_typeIjLj2EENS0_17counting_iteratorIjlEEPS9_SG_NS0_5tupleIJPjSI_NS0_16reverse_iteratorISI_EEEEENSH_IJSG_SG_SG_EEES9_SI_JZNS1_25segmented_radix_sort_implINS0_14default_configELb1EPK12hip_bfloat16PSP_PKlPlN2at6native12_GLOBAL__N_18offset_tEEE10hipError_tPvRmT1_PNSt15iterator_traitsIS13_E10value_typeET2_T3_PNS14_IS19_E10value_typeET4_jRbjT5_S1F_jjP12ihipStream_tbEUljE_ZNSN_ISO_Lb1ESR_SS_SU_SV_SZ_EES10_S11_S12_S13_S17_S18_S19_S1C_S1D_jS1E_jS1F_S1F_jjS1H_bEUljE0_EEES10_S11_S12_S19_S1D_S1F_T6_T7_T9_mT8_S1H_bDpT10_ENKUlT_T0_E_clISt17integral_constantIbLb1EES1U_IbLb0EEEEDaS1Q_S1R_EUlS1Q_E_NS1_11comp_targetILNS1_3genE8ELNS1_11target_archE1030ELNS1_3gpuE2ELNS1_3repE0EEENS1_30default_config_static_selectorELNS0_4arch9wavefront6targetE1EEEvS13_.numbered_sgpr, 0
	.set _ZN7rocprim17ROCPRIM_400000_NS6detail17trampoline_kernelINS0_13select_configILj256ELj13ELNS0_17block_load_methodE3ELS4_3ELS4_3ELNS0_20block_scan_algorithmE0ELj4294967295EEENS1_25partition_config_selectorILNS1_17partition_subalgoE4EjNS0_10empty_typeEbEEZZNS1_14partition_implILS8_4ELb0ES6_15HIP_vector_typeIjLj2EENS0_17counting_iteratorIjlEEPS9_SG_NS0_5tupleIJPjSI_NS0_16reverse_iteratorISI_EEEEENSH_IJSG_SG_SG_EEES9_SI_JZNS1_25segmented_radix_sort_implINS0_14default_configELb1EPK12hip_bfloat16PSP_PKlPlN2at6native12_GLOBAL__N_18offset_tEEE10hipError_tPvRmT1_PNSt15iterator_traitsIS13_E10value_typeET2_T3_PNS14_IS19_E10value_typeET4_jRbjT5_S1F_jjP12ihipStream_tbEUljE_ZNSN_ISO_Lb1ESR_SS_SU_SV_SZ_EES10_S11_S12_S13_S17_S18_S19_S1C_S1D_jS1E_jS1F_S1F_jjS1H_bEUljE0_EEES10_S11_S12_S19_S1D_S1F_T6_T7_T9_mT8_S1H_bDpT10_ENKUlT_T0_E_clISt17integral_constantIbLb1EES1U_IbLb0EEEEDaS1Q_S1R_EUlS1Q_E_NS1_11comp_targetILNS1_3genE8ELNS1_11target_archE1030ELNS1_3gpuE2ELNS1_3repE0EEENS1_30default_config_static_selectorELNS0_4arch9wavefront6targetE1EEEvS13_.num_named_barrier, 0
	.set _ZN7rocprim17ROCPRIM_400000_NS6detail17trampoline_kernelINS0_13select_configILj256ELj13ELNS0_17block_load_methodE3ELS4_3ELS4_3ELNS0_20block_scan_algorithmE0ELj4294967295EEENS1_25partition_config_selectorILNS1_17partition_subalgoE4EjNS0_10empty_typeEbEEZZNS1_14partition_implILS8_4ELb0ES6_15HIP_vector_typeIjLj2EENS0_17counting_iteratorIjlEEPS9_SG_NS0_5tupleIJPjSI_NS0_16reverse_iteratorISI_EEEEENSH_IJSG_SG_SG_EEES9_SI_JZNS1_25segmented_radix_sort_implINS0_14default_configELb1EPK12hip_bfloat16PSP_PKlPlN2at6native12_GLOBAL__N_18offset_tEEE10hipError_tPvRmT1_PNSt15iterator_traitsIS13_E10value_typeET2_T3_PNS14_IS19_E10value_typeET4_jRbjT5_S1F_jjP12ihipStream_tbEUljE_ZNSN_ISO_Lb1ESR_SS_SU_SV_SZ_EES10_S11_S12_S13_S17_S18_S19_S1C_S1D_jS1E_jS1F_S1F_jjS1H_bEUljE0_EEES10_S11_S12_S19_S1D_S1F_T6_T7_T9_mT8_S1H_bDpT10_ENKUlT_T0_E_clISt17integral_constantIbLb1EES1U_IbLb0EEEEDaS1Q_S1R_EUlS1Q_E_NS1_11comp_targetILNS1_3genE8ELNS1_11target_archE1030ELNS1_3gpuE2ELNS1_3repE0EEENS1_30default_config_static_selectorELNS0_4arch9wavefront6targetE1EEEvS13_.private_seg_size, 0
	.set _ZN7rocprim17ROCPRIM_400000_NS6detail17trampoline_kernelINS0_13select_configILj256ELj13ELNS0_17block_load_methodE3ELS4_3ELS4_3ELNS0_20block_scan_algorithmE0ELj4294967295EEENS1_25partition_config_selectorILNS1_17partition_subalgoE4EjNS0_10empty_typeEbEEZZNS1_14partition_implILS8_4ELb0ES6_15HIP_vector_typeIjLj2EENS0_17counting_iteratorIjlEEPS9_SG_NS0_5tupleIJPjSI_NS0_16reverse_iteratorISI_EEEEENSH_IJSG_SG_SG_EEES9_SI_JZNS1_25segmented_radix_sort_implINS0_14default_configELb1EPK12hip_bfloat16PSP_PKlPlN2at6native12_GLOBAL__N_18offset_tEEE10hipError_tPvRmT1_PNSt15iterator_traitsIS13_E10value_typeET2_T3_PNS14_IS19_E10value_typeET4_jRbjT5_S1F_jjP12ihipStream_tbEUljE_ZNSN_ISO_Lb1ESR_SS_SU_SV_SZ_EES10_S11_S12_S13_S17_S18_S19_S1C_S1D_jS1E_jS1F_S1F_jjS1H_bEUljE0_EEES10_S11_S12_S19_S1D_S1F_T6_T7_T9_mT8_S1H_bDpT10_ENKUlT_T0_E_clISt17integral_constantIbLb1EES1U_IbLb0EEEEDaS1Q_S1R_EUlS1Q_E_NS1_11comp_targetILNS1_3genE8ELNS1_11target_archE1030ELNS1_3gpuE2ELNS1_3repE0EEENS1_30default_config_static_selectorELNS0_4arch9wavefront6targetE1EEEvS13_.uses_vcc, 0
	.set _ZN7rocprim17ROCPRIM_400000_NS6detail17trampoline_kernelINS0_13select_configILj256ELj13ELNS0_17block_load_methodE3ELS4_3ELS4_3ELNS0_20block_scan_algorithmE0ELj4294967295EEENS1_25partition_config_selectorILNS1_17partition_subalgoE4EjNS0_10empty_typeEbEEZZNS1_14partition_implILS8_4ELb0ES6_15HIP_vector_typeIjLj2EENS0_17counting_iteratorIjlEEPS9_SG_NS0_5tupleIJPjSI_NS0_16reverse_iteratorISI_EEEEENSH_IJSG_SG_SG_EEES9_SI_JZNS1_25segmented_radix_sort_implINS0_14default_configELb1EPK12hip_bfloat16PSP_PKlPlN2at6native12_GLOBAL__N_18offset_tEEE10hipError_tPvRmT1_PNSt15iterator_traitsIS13_E10value_typeET2_T3_PNS14_IS19_E10value_typeET4_jRbjT5_S1F_jjP12ihipStream_tbEUljE_ZNSN_ISO_Lb1ESR_SS_SU_SV_SZ_EES10_S11_S12_S13_S17_S18_S19_S1C_S1D_jS1E_jS1F_S1F_jjS1H_bEUljE0_EEES10_S11_S12_S19_S1D_S1F_T6_T7_T9_mT8_S1H_bDpT10_ENKUlT_T0_E_clISt17integral_constantIbLb1EES1U_IbLb0EEEEDaS1Q_S1R_EUlS1Q_E_NS1_11comp_targetILNS1_3genE8ELNS1_11target_archE1030ELNS1_3gpuE2ELNS1_3repE0EEENS1_30default_config_static_selectorELNS0_4arch9wavefront6targetE1EEEvS13_.uses_flat_scratch, 0
	.set _ZN7rocprim17ROCPRIM_400000_NS6detail17trampoline_kernelINS0_13select_configILj256ELj13ELNS0_17block_load_methodE3ELS4_3ELS4_3ELNS0_20block_scan_algorithmE0ELj4294967295EEENS1_25partition_config_selectorILNS1_17partition_subalgoE4EjNS0_10empty_typeEbEEZZNS1_14partition_implILS8_4ELb0ES6_15HIP_vector_typeIjLj2EENS0_17counting_iteratorIjlEEPS9_SG_NS0_5tupleIJPjSI_NS0_16reverse_iteratorISI_EEEEENSH_IJSG_SG_SG_EEES9_SI_JZNS1_25segmented_radix_sort_implINS0_14default_configELb1EPK12hip_bfloat16PSP_PKlPlN2at6native12_GLOBAL__N_18offset_tEEE10hipError_tPvRmT1_PNSt15iterator_traitsIS13_E10value_typeET2_T3_PNS14_IS19_E10value_typeET4_jRbjT5_S1F_jjP12ihipStream_tbEUljE_ZNSN_ISO_Lb1ESR_SS_SU_SV_SZ_EES10_S11_S12_S13_S17_S18_S19_S1C_S1D_jS1E_jS1F_S1F_jjS1H_bEUljE0_EEES10_S11_S12_S19_S1D_S1F_T6_T7_T9_mT8_S1H_bDpT10_ENKUlT_T0_E_clISt17integral_constantIbLb1EES1U_IbLb0EEEEDaS1Q_S1R_EUlS1Q_E_NS1_11comp_targetILNS1_3genE8ELNS1_11target_archE1030ELNS1_3gpuE2ELNS1_3repE0EEENS1_30default_config_static_selectorELNS0_4arch9wavefront6targetE1EEEvS13_.has_dyn_sized_stack, 0
	.set _ZN7rocprim17ROCPRIM_400000_NS6detail17trampoline_kernelINS0_13select_configILj256ELj13ELNS0_17block_load_methodE3ELS4_3ELS4_3ELNS0_20block_scan_algorithmE0ELj4294967295EEENS1_25partition_config_selectorILNS1_17partition_subalgoE4EjNS0_10empty_typeEbEEZZNS1_14partition_implILS8_4ELb0ES6_15HIP_vector_typeIjLj2EENS0_17counting_iteratorIjlEEPS9_SG_NS0_5tupleIJPjSI_NS0_16reverse_iteratorISI_EEEEENSH_IJSG_SG_SG_EEES9_SI_JZNS1_25segmented_radix_sort_implINS0_14default_configELb1EPK12hip_bfloat16PSP_PKlPlN2at6native12_GLOBAL__N_18offset_tEEE10hipError_tPvRmT1_PNSt15iterator_traitsIS13_E10value_typeET2_T3_PNS14_IS19_E10value_typeET4_jRbjT5_S1F_jjP12ihipStream_tbEUljE_ZNSN_ISO_Lb1ESR_SS_SU_SV_SZ_EES10_S11_S12_S13_S17_S18_S19_S1C_S1D_jS1E_jS1F_S1F_jjS1H_bEUljE0_EEES10_S11_S12_S19_S1D_S1F_T6_T7_T9_mT8_S1H_bDpT10_ENKUlT_T0_E_clISt17integral_constantIbLb1EES1U_IbLb0EEEEDaS1Q_S1R_EUlS1Q_E_NS1_11comp_targetILNS1_3genE8ELNS1_11target_archE1030ELNS1_3gpuE2ELNS1_3repE0EEENS1_30default_config_static_selectorELNS0_4arch9wavefront6targetE1EEEvS13_.has_recursion, 0
	.set _ZN7rocprim17ROCPRIM_400000_NS6detail17trampoline_kernelINS0_13select_configILj256ELj13ELNS0_17block_load_methodE3ELS4_3ELS4_3ELNS0_20block_scan_algorithmE0ELj4294967295EEENS1_25partition_config_selectorILNS1_17partition_subalgoE4EjNS0_10empty_typeEbEEZZNS1_14partition_implILS8_4ELb0ES6_15HIP_vector_typeIjLj2EENS0_17counting_iteratorIjlEEPS9_SG_NS0_5tupleIJPjSI_NS0_16reverse_iteratorISI_EEEEENSH_IJSG_SG_SG_EEES9_SI_JZNS1_25segmented_radix_sort_implINS0_14default_configELb1EPK12hip_bfloat16PSP_PKlPlN2at6native12_GLOBAL__N_18offset_tEEE10hipError_tPvRmT1_PNSt15iterator_traitsIS13_E10value_typeET2_T3_PNS14_IS19_E10value_typeET4_jRbjT5_S1F_jjP12ihipStream_tbEUljE_ZNSN_ISO_Lb1ESR_SS_SU_SV_SZ_EES10_S11_S12_S13_S17_S18_S19_S1C_S1D_jS1E_jS1F_S1F_jjS1H_bEUljE0_EEES10_S11_S12_S19_S1D_S1F_T6_T7_T9_mT8_S1H_bDpT10_ENKUlT_T0_E_clISt17integral_constantIbLb1EES1U_IbLb0EEEEDaS1Q_S1R_EUlS1Q_E_NS1_11comp_targetILNS1_3genE8ELNS1_11target_archE1030ELNS1_3gpuE2ELNS1_3repE0EEENS1_30default_config_static_selectorELNS0_4arch9wavefront6targetE1EEEvS13_.has_indirect_call, 0
	.section	.AMDGPU.csdata,"",@progbits
; Kernel info:
; codeLenInByte = 0
; TotalNumSgprs: 4
; NumVgprs: 0
; ScratchSize: 0
; MemoryBound: 0
; FloatMode: 240
; IeeeMode: 1
; LDSByteSize: 0 bytes/workgroup (compile time only)
; SGPRBlocks: 0
; VGPRBlocks: 0
; NumSGPRsForWavesPerEU: 4
; NumVGPRsForWavesPerEU: 1
; Occupancy: 10
; WaveLimiterHint : 0
; COMPUTE_PGM_RSRC2:SCRATCH_EN: 0
; COMPUTE_PGM_RSRC2:USER_SGPR: 6
; COMPUTE_PGM_RSRC2:TRAP_HANDLER: 0
; COMPUTE_PGM_RSRC2:TGID_X_EN: 1
; COMPUTE_PGM_RSRC2:TGID_Y_EN: 0
; COMPUTE_PGM_RSRC2:TGID_Z_EN: 0
; COMPUTE_PGM_RSRC2:TIDIG_COMP_CNT: 0
	.section	.text._ZN7rocprim17ROCPRIM_400000_NS6detail17trampoline_kernelINS0_13select_configILj256ELj13ELNS0_17block_load_methodE3ELS4_3ELS4_3ELNS0_20block_scan_algorithmE0ELj4294967295EEENS1_25partition_config_selectorILNS1_17partition_subalgoE4EjNS0_10empty_typeEbEEZZNS1_14partition_implILS8_4ELb0ES6_15HIP_vector_typeIjLj2EENS0_17counting_iteratorIjlEEPS9_SG_NS0_5tupleIJPjSI_NS0_16reverse_iteratorISI_EEEEENSH_IJSG_SG_SG_EEES9_SI_JZNS1_25segmented_radix_sort_implINS0_14default_configELb1EPK12hip_bfloat16PSP_PKlPlN2at6native12_GLOBAL__N_18offset_tEEE10hipError_tPvRmT1_PNSt15iterator_traitsIS13_E10value_typeET2_T3_PNS14_IS19_E10value_typeET4_jRbjT5_S1F_jjP12ihipStream_tbEUljE_ZNSN_ISO_Lb1ESR_SS_SU_SV_SZ_EES10_S11_S12_S13_S17_S18_S19_S1C_S1D_jS1E_jS1F_S1F_jjS1H_bEUljE0_EEES10_S11_S12_S19_S1D_S1F_T6_T7_T9_mT8_S1H_bDpT10_ENKUlT_T0_E_clISt17integral_constantIbLb0EES1U_IbLb1EEEEDaS1Q_S1R_EUlS1Q_E_NS1_11comp_targetILNS1_3genE0ELNS1_11target_archE4294967295ELNS1_3gpuE0ELNS1_3repE0EEENS1_30default_config_static_selectorELNS0_4arch9wavefront6targetE1EEEvS13_,"axG",@progbits,_ZN7rocprim17ROCPRIM_400000_NS6detail17trampoline_kernelINS0_13select_configILj256ELj13ELNS0_17block_load_methodE3ELS4_3ELS4_3ELNS0_20block_scan_algorithmE0ELj4294967295EEENS1_25partition_config_selectorILNS1_17partition_subalgoE4EjNS0_10empty_typeEbEEZZNS1_14partition_implILS8_4ELb0ES6_15HIP_vector_typeIjLj2EENS0_17counting_iteratorIjlEEPS9_SG_NS0_5tupleIJPjSI_NS0_16reverse_iteratorISI_EEEEENSH_IJSG_SG_SG_EEES9_SI_JZNS1_25segmented_radix_sort_implINS0_14default_configELb1EPK12hip_bfloat16PSP_PKlPlN2at6native12_GLOBAL__N_18offset_tEEE10hipError_tPvRmT1_PNSt15iterator_traitsIS13_E10value_typeET2_T3_PNS14_IS19_E10value_typeET4_jRbjT5_S1F_jjP12ihipStream_tbEUljE_ZNSN_ISO_Lb1ESR_SS_SU_SV_SZ_EES10_S11_S12_S13_S17_S18_S19_S1C_S1D_jS1E_jS1F_S1F_jjS1H_bEUljE0_EEES10_S11_S12_S19_S1D_S1F_T6_T7_T9_mT8_S1H_bDpT10_ENKUlT_T0_E_clISt17integral_constantIbLb0EES1U_IbLb1EEEEDaS1Q_S1R_EUlS1Q_E_NS1_11comp_targetILNS1_3genE0ELNS1_11target_archE4294967295ELNS1_3gpuE0ELNS1_3repE0EEENS1_30default_config_static_selectorELNS0_4arch9wavefront6targetE1EEEvS13_,comdat
	.globl	_ZN7rocprim17ROCPRIM_400000_NS6detail17trampoline_kernelINS0_13select_configILj256ELj13ELNS0_17block_load_methodE3ELS4_3ELS4_3ELNS0_20block_scan_algorithmE0ELj4294967295EEENS1_25partition_config_selectorILNS1_17partition_subalgoE4EjNS0_10empty_typeEbEEZZNS1_14partition_implILS8_4ELb0ES6_15HIP_vector_typeIjLj2EENS0_17counting_iteratorIjlEEPS9_SG_NS0_5tupleIJPjSI_NS0_16reverse_iteratorISI_EEEEENSH_IJSG_SG_SG_EEES9_SI_JZNS1_25segmented_radix_sort_implINS0_14default_configELb1EPK12hip_bfloat16PSP_PKlPlN2at6native12_GLOBAL__N_18offset_tEEE10hipError_tPvRmT1_PNSt15iterator_traitsIS13_E10value_typeET2_T3_PNS14_IS19_E10value_typeET4_jRbjT5_S1F_jjP12ihipStream_tbEUljE_ZNSN_ISO_Lb1ESR_SS_SU_SV_SZ_EES10_S11_S12_S13_S17_S18_S19_S1C_S1D_jS1E_jS1F_S1F_jjS1H_bEUljE0_EEES10_S11_S12_S19_S1D_S1F_T6_T7_T9_mT8_S1H_bDpT10_ENKUlT_T0_E_clISt17integral_constantIbLb0EES1U_IbLb1EEEEDaS1Q_S1R_EUlS1Q_E_NS1_11comp_targetILNS1_3genE0ELNS1_11target_archE4294967295ELNS1_3gpuE0ELNS1_3repE0EEENS1_30default_config_static_selectorELNS0_4arch9wavefront6targetE1EEEvS13_ ; -- Begin function _ZN7rocprim17ROCPRIM_400000_NS6detail17trampoline_kernelINS0_13select_configILj256ELj13ELNS0_17block_load_methodE3ELS4_3ELS4_3ELNS0_20block_scan_algorithmE0ELj4294967295EEENS1_25partition_config_selectorILNS1_17partition_subalgoE4EjNS0_10empty_typeEbEEZZNS1_14partition_implILS8_4ELb0ES6_15HIP_vector_typeIjLj2EENS0_17counting_iteratorIjlEEPS9_SG_NS0_5tupleIJPjSI_NS0_16reverse_iteratorISI_EEEEENSH_IJSG_SG_SG_EEES9_SI_JZNS1_25segmented_radix_sort_implINS0_14default_configELb1EPK12hip_bfloat16PSP_PKlPlN2at6native12_GLOBAL__N_18offset_tEEE10hipError_tPvRmT1_PNSt15iterator_traitsIS13_E10value_typeET2_T3_PNS14_IS19_E10value_typeET4_jRbjT5_S1F_jjP12ihipStream_tbEUljE_ZNSN_ISO_Lb1ESR_SS_SU_SV_SZ_EES10_S11_S12_S13_S17_S18_S19_S1C_S1D_jS1E_jS1F_S1F_jjS1H_bEUljE0_EEES10_S11_S12_S19_S1D_S1F_T6_T7_T9_mT8_S1H_bDpT10_ENKUlT_T0_E_clISt17integral_constantIbLb0EES1U_IbLb1EEEEDaS1Q_S1R_EUlS1Q_E_NS1_11comp_targetILNS1_3genE0ELNS1_11target_archE4294967295ELNS1_3gpuE0ELNS1_3repE0EEENS1_30default_config_static_selectorELNS0_4arch9wavefront6targetE1EEEvS13_
	.p2align	8
	.type	_ZN7rocprim17ROCPRIM_400000_NS6detail17trampoline_kernelINS0_13select_configILj256ELj13ELNS0_17block_load_methodE3ELS4_3ELS4_3ELNS0_20block_scan_algorithmE0ELj4294967295EEENS1_25partition_config_selectorILNS1_17partition_subalgoE4EjNS0_10empty_typeEbEEZZNS1_14partition_implILS8_4ELb0ES6_15HIP_vector_typeIjLj2EENS0_17counting_iteratorIjlEEPS9_SG_NS0_5tupleIJPjSI_NS0_16reverse_iteratorISI_EEEEENSH_IJSG_SG_SG_EEES9_SI_JZNS1_25segmented_radix_sort_implINS0_14default_configELb1EPK12hip_bfloat16PSP_PKlPlN2at6native12_GLOBAL__N_18offset_tEEE10hipError_tPvRmT1_PNSt15iterator_traitsIS13_E10value_typeET2_T3_PNS14_IS19_E10value_typeET4_jRbjT5_S1F_jjP12ihipStream_tbEUljE_ZNSN_ISO_Lb1ESR_SS_SU_SV_SZ_EES10_S11_S12_S13_S17_S18_S19_S1C_S1D_jS1E_jS1F_S1F_jjS1H_bEUljE0_EEES10_S11_S12_S19_S1D_S1F_T6_T7_T9_mT8_S1H_bDpT10_ENKUlT_T0_E_clISt17integral_constantIbLb0EES1U_IbLb1EEEEDaS1Q_S1R_EUlS1Q_E_NS1_11comp_targetILNS1_3genE0ELNS1_11target_archE4294967295ELNS1_3gpuE0ELNS1_3repE0EEENS1_30default_config_static_selectorELNS0_4arch9wavefront6targetE1EEEvS13_,@function
_ZN7rocprim17ROCPRIM_400000_NS6detail17trampoline_kernelINS0_13select_configILj256ELj13ELNS0_17block_load_methodE3ELS4_3ELS4_3ELNS0_20block_scan_algorithmE0ELj4294967295EEENS1_25partition_config_selectorILNS1_17partition_subalgoE4EjNS0_10empty_typeEbEEZZNS1_14partition_implILS8_4ELb0ES6_15HIP_vector_typeIjLj2EENS0_17counting_iteratorIjlEEPS9_SG_NS0_5tupleIJPjSI_NS0_16reverse_iteratorISI_EEEEENSH_IJSG_SG_SG_EEES9_SI_JZNS1_25segmented_radix_sort_implINS0_14default_configELb1EPK12hip_bfloat16PSP_PKlPlN2at6native12_GLOBAL__N_18offset_tEEE10hipError_tPvRmT1_PNSt15iterator_traitsIS13_E10value_typeET2_T3_PNS14_IS19_E10value_typeET4_jRbjT5_S1F_jjP12ihipStream_tbEUljE_ZNSN_ISO_Lb1ESR_SS_SU_SV_SZ_EES10_S11_S12_S13_S17_S18_S19_S1C_S1D_jS1E_jS1F_S1F_jjS1H_bEUljE0_EEES10_S11_S12_S19_S1D_S1F_T6_T7_T9_mT8_S1H_bDpT10_ENKUlT_T0_E_clISt17integral_constantIbLb0EES1U_IbLb1EEEEDaS1Q_S1R_EUlS1Q_E_NS1_11comp_targetILNS1_3genE0ELNS1_11target_archE4294967295ELNS1_3gpuE0ELNS1_3repE0EEENS1_30default_config_static_selectorELNS0_4arch9wavefront6targetE1EEEvS13_: ; @_ZN7rocprim17ROCPRIM_400000_NS6detail17trampoline_kernelINS0_13select_configILj256ELj13ELNS0_17block_load_methodE3ELS4_3ELS4_3ELNS0_20block_scan_algorithmE0ELj4294967295EEENS1_25partition_config_selectorILNS1_17partition_subalgoE4EjNS0_10empty_typeEbEEZZNS1_14partition_implILS8_4ELb0ES6_15HIP_vector_typeIjLj2EENS0_17counting_iteratorIjlEEPS9_SG_NS0_5tupleIJPjSI_NS0_16reverse_iteratorISI_EEEEENSH_IJSG_SG_SG_EEES9_SI_JZNS1_25segmented_radix_sort_implINS0_14default_configELb1EPK12hip_bfloat16PSP_PKlPlN2at6native12_GLOBAL__N_18offset_tEEE10hipError_tPvRmT1_PNSt15iterator_traitsIS13_E10value_typeET2_T3_PNS14_IS19_E10value_typeET4_jRbjT5_S1F_jjP12ihipStream_tbEUljE_ZNSN_ISO_Lb1ESR_SS_SU_SV_SZ_EES10_S11_S12_S13_S17_S18_S19_S1C_S1D_jS1E_jS1F_S1F_jjS1H_bEUljE0_EEES10_S11_S12_S19_S1D_S1F_T6_T7_T9_mT8_S1H_bDpT10_ENKUlT_T0_E_clISt17integral_constantIbLb0EES1U_IbLb1EEEEDaS1Q_S1R_EUlS1Q_E_NS1_11comp_targetILNS1_3genE0ELNS1_11target_archE4294967295ELNS1_3gpuE0ELNS1_3repE0EEENS1_30default_config_static_selectorELNS0_4arch9wavefront6targetE1EEEvS13_
; %bb.0:
	.section	.rodata,"a",@progbits
	.p2align	6, 0x0
	.amdhsa_kernel _ZN7rocprim17ROCPRIM_400000_NS6detail17trampoline_kernelINS0_13select_configILj256ELj13ELNS0_17block_load_methodE3ELS4_3ELS4_3ELNS0_20block_scan_algorithmE0ELj4294967295EEENS1_25partition_config_selectorILNS1_17partition_subalgoE4EjNS0_10empty_typeEbEEZZNS1_14partition_implILS8_4ELb0ES6_15HIP_vector_typeIjLj2EENS0_17counting_iteratorIjlEEPS9_SG_NS0_5tupleIJPjSI_NS0_16reverse_iteratorISI_EEEEENSH_IJSG_SG_SG_EEES9_SI_JZNS1_25segmented_radix_sort_implINS0_14default_configELb1EPK12hip_bfloat16PSP_PKlPlN2at6native12_GLOBAL__N_18offset_tEEE10hipError_tPvRmT1_PNSt15iterator_traitsIS13_E10value_typeET2_T3_PNS14_IS19_E10value_typeET4_jRbjT5_S1F_jjP12ihipStream_tbEUljE_ZNSN_ISO_Lb1ESR_SS_SU_SV_SZ_EES10_S11_S12_S13_S17_S18_S19_S1C_S1D_jS1E_jS1F_S1F_jjS1H_bEUljE0_EEES10_S11_S12_S19_S1D_S1F_T6_T7_T9_mT8_S1H_bDpT10_ENKUlT_T0_E_clISt17integral_constantIbLb0EES1U_IbLb1EEEEDaS1Q_S1R_EUlS1Q_E_NS1_11comp_targetILNS1_3genE0ELNS1_11target_archE4294967295ELNS1_3gpuE0ELNS1_3repE0EEENS1_30default_config_static_selectorELNS0_4arch9wavefront6targetE1EEEvS13_
		.amdhsa_group_segment_fixed_size 0
		.amdhsa_private_segment_fixed_size 0
		.amdhsa_kernarg_size 184
		.amdhsa_user_sgpr_count 6
		.amdhsa_user_sgpr_private_segment_buffer 1
		.amdhsa_user_sgpr_dispatch_ptr 0
		.amdhsa_user_sgpr_queue_ptr 0
		.amdhsa_user_sgpr_kernarg_segment_ptr 1
		.amdhsa_user_sgpr_dispatch_id 0
		.amdhsa_user_sgpr_flat_scratch_init 0
		.amdhsa_user_sgpr_private_segment_size 0
		.amdhsa_uses_dynamic_stack 0
		.amdhsa_system_sgpr_private_segment_wavefront_offset 0
		.amdhsa_system_sgpr_workgroup_id_x 1
		.amdhsa_system_sgpr_workgroup_id_y 0
		.amdhsa_system_sgpr_workgroup_id_z 0
		.amdhsa_system_sgpr_workgroup_info 0
		.amdhsa_system_vgpr_workitem_id 0
		.amdhsa_next_free_vgpr 1
		.amdhsa_next_free_sgpr 0
		.amdhsa_reserve_vcc 0
		.amdhsa_reserve_flat_scratch 0
		.amdhsa_float_round_mode_32 0
		.amdhsa_float_round_mode_16_64 0
		.amdhsa_float_denorm_mode_32 3
		.amdhsa_float_denorm_mode_16_64 3
		.amdhsa_dx10_clamp 1
		.amdhsa_ieee_mode 1
		.amdhsa_fp16_overflow 0
		.amdhsa_exception_fp_ieee_invalid_op 0
		.amdhsa_exception_fp_denorm_src 0
		.amdhsa_exception_fp_ieee_div_zero 0
		.amdhsa_exception_fp_ieee_overflow 0
		.amdhsa_exception_fp_ieee_underflow 0
		.amdhsa_exception_fp_ieee_inexact 0
		.amdhsa_exception_int_div_zero 0
	.end_amdhsa_kernel
	.section	.text._ZN7rocprim17ROCPRIM_400000_NS6detail17trampoline_kernelINS0_13select_configILj256ELj13ELNS0_17block_load_methodE3ELS4_3ELS4_3ELNS0_20block_scan_algorithmE0ELj4294967295EEENS1_25partition_config_selectorILNS1_17partition_subalgoE4EjNS0_10empty_typeEbEEZZNS1_14partition_implILS8_4ELb0ES6_15HIP_vector_typeIjLj2EENS0_17counting_iteratorIjlEEPS9_SG_NS0_5tupleIJPjSI_NS0_16reverse_iteratorISI_EEEEENSH_IJSG_SG_SG_EEES9_SI_JZNS1_25segmented_radix_sort_implINS0_14default_configELb1EPK12hip_bfloat16PSP_PKlPlN2at6native12_GLOBAL__N_18offset_tEEE10hipError_tPvRmT1_PNSt15iterator_traitsIS13_E10value_typeET2_T3_PNS14_IS19_E10value_typeET4_jRbjT5_S1F_jjP12ihipStream_tbEUljE_ZNSN_ISO_Lb1ESR_SS_SU_SV_SZ_EES10_S11_S12_S13_S17_S18_S19_S1C_S1D_jS1E_jS1F_S1F_jjS1H_bEUljE0_EEES10_S11_S12_S19_S1D_S1F_T6_T7_T9_mT8_S1H_bDpT10_ENKUlT_T0_E_clISt17integral_constantIbLb0EES1U_IbLb1EEEEDaS1Q_S1R_EUlS1Q_E_NS1_11comp_targetILNS1_3genE0ELNS1_11target_archE4294967295ELNS1_3gpuE0ELNS1_3repE0EEENS1_30default_config_static_selectorELNS0_4arch9wavefront6targetE1EEEvS13_,"axG",@progbits,_ZN7rocprim17ROCPRIM_400000_NS6detail17trampoline_kernelINS0_13select_configILj256ELj13ELNS0_17block_load_methodE3ELS4_3ELS4_3ELNS0_20block_scan_algorithmE0ELj4294967295EEENS1_25partition_config_selectorILNS1_17partition_subalgoE4EjNS0_10empty_typeEbEEZZNS1_14partition_implILS8_4ELb0ES6_15HIP_vector_typeIjLj2EENS0_17counting_iteratorIjlEEPS9_SG_NS0_5tupleIJPjSI_NS0_16reverse_iteratorISI_EEEEENSH_IJSG_SG_SG_EEES9_SI_JZNS1_25segmented_radix_sort_implINS0_14default_configELb1EPK12hip_bfloat16PSP_PKlPlN2at6native12_GLOBAL__N_18offset_tEEE10hipError_tPvRmT1_PNSt15iterator_traitsIS13_E10value_typeET2_T3_PNS14_IS19_E10value_typeET4_jRbjT5_S1F_jjP12ihipStream_tbEUljE_ZNSN_ISO_Lb1ESR_SS_SU_SV_SZ_EES10_S11_S12_S13_S17_S18_S19_S1C_S1D_jS1E_jS1F_S1F_jjS1H_bEUljE0_EEES10_S11_S12_S19_S1D_S1F_T6_T7_T9_mT8_S1H_bDpT10_ENKUlT_T0_E_clISt17integral_constantIbLb0EES1U_IbLb1EEEEDaS1Q_S1R_EUlS1Q_E_NS1_11comp_targetILNS1_3genE0ELNS1_11target_archE4294967295ELNS1_3gpuE0ELNS1_3repE0EEENS1_30default_config_static_selectorELNS0_4arch9wavefront6targetE1EEEvS13_,comdat
.Lfunc_end1906:
	.size	_ZN7rocprim17ROCPRIM_400000_NS6detail17trampoline_kernelINS0_13select_configILj256ELj13ELNS0_17block_load_methodE3ELS4_3ELS4_3ELNS0_20block_scan_algorithmE0ELj4294967295EEENS1_25partition_config_selectorILNS1_17partition_subalgoE4EjNS0_10empty_typeEbEEZZNS1_14partition_implILS8_4ELb0ES6_15HIP_vector_typeIjLj2EENS0_17counting_iteratorIjlEEPS9_SG_NS0_5tupleIJPjSI_NS0_16reverse_iteratorISI_EEEEENSH_IJSG_SG_SG_EEES9_SI_JZNS1_25segmented_radix_sort_implINS0_14default_configELb1EPK12hip_bfloat16PSP_PKlPlN2at6native12_GLOBAL__N_18offset_tEEE10hipError_tPvRmT1_PNSt15iterator_traitsIS13_E10value_typeET2_T3_PNS14_IS19_E10value_typeET4_jRbjT5_S1F_jjP12ihipStream_tbEUljE_ZNSN_ISO_Lb1ESR_SS_SU_SV_SZ_EES10_S11_S12_S13_S17_S18_S19_S1C_S1D_jS1E_jS1F_S1F_jjS1H_bEUljE0_EEES10_S11_S12_S19_S1D_S1F_T6_T7_T9_mT8_S1H_bDpT10_ENKUlT_T0_E_clISt17integral_constantIbLb0EES1U_IbLb1EEEEDaS1Q_S1R_EUlS1Q_E_NS1_11comp_targetILNS1_3genE0ELNS1_11target_archE4294967295ELNS1_3gpuE0ELNS1_3repE0EEENS1_30default_config_static_selectorELNS0_4arch9wavefront6targetE1EEEvS13_, .Lfunc_end1906-_ZN7rocprim17ROCPRIM_400000_NS6detail17trampoline_kernelINS0_13select_configILj256ELj13ELNS0_17block_load_methodE3ELS4_3ELS4_3ELNS0_20block_scan_algorithmE0ELj4294967295EEENS1_25partition_config_selectorILNS1_17partition_subalgoE4EjNS0_10empty_typeEbEEZZNS1_14partition_implILS8_4ELb0ES6_15HIP_vector_typeIjLj2EENS0_17counting_iteratorIjlEEPS9_SG_NS0_5tupleIJPjSI_NS0_16reverse_iteratorISI_EEEEENSH_IJSG_SG_SG_EEES9_SI_JZNS1_25segmented_radix_sort_implINS0_14default_configELb1EPK12hip_bfloat16PSP_PKlPlN2at6native12_GLOBAL__N_18offset_tEEE10hipError_tPvRmT1_PNSt15iterator_traitsIS13_E10value_typeET2_T3_PNS14_IS19_E10value_typeET4_jRbjT5_S1F_jjP12ihipStream_tbEUljE_ZNSN_ISO_Lb1ESR_SS_SU_SV_SZ_EES10_S11_S12_S13_S17_S18_S19_S1C_S1D_jS1E_jS1F_S1F_jjS1H_bEUljE0_EEES10_S11_S12_S19_S1D_S1F_T6_T7_T9_mT8_S1H_bDpT10_ENKUlT_T0_E_clISt17integral_constantIbLb0EES1U_IbLb1EEEEDaS1Q_S1R_EUlS1Q_E_NS1_11comp_targetILNS1_3genE0ELNS1_11target_archE4294967295ELNS1_3gpuE0ELNS1_3repE0EEENS1_30default_config_static_selectorELNS0_4arch9wavefront6targetE1EEEvS13_
                                        ; -- End function
	.set _ZN7rocprim17ROCPRIM_400000_NS6detail17trampoline_kernelINS0_13select_configILj256ELj13ELNS0_17block_load_methodE3ELS4_3ELS4_3ELNS0_20block_scan_algorithmE0ELj4294967295EEENS1_25partition_config_selectorILNS1_17partition_subalgoE4EjNS0_10empty_typeEbEEZZNS1_14partition_implILS8_4ELb0ES6_15HIP_vector_typeIjLj2EENS0_17counting_iteratorIjlEEPS9_SG_NS0_5tupleIJPjSI_NS0_16reverse_iteratorISI_EEEEENSH_IJSG_SG_SG_EEES9_SI_JZNS1_25segmented_radix_sort_implINS0_14default_configELb1EPK12hip_bfloat16PSP_PKlPlN2at6native12_GLOBAL__N_18offset_tEEE10hipError_tPvRmT1_PNSt15iterator_traitsIS13_E10value_typeET2_T3_PNS14_IS19_E10value_typeET4_jRbjT5_S1F_jjP12ihipStream_tbEUljE_ZNSN_ISO_Lb1ESR_SS_SU_SV_SZ_EES10_S11_S12_S13_S17_S18_S19_S1C_S1D_jS1E_jS1F_S1F_jjS1H_bEUljE0_EEES10_S11_S12_S19_S1D_S1F_T6_T7_T9_mT8_S1H_bDpT10_ENKUlT_T0_E_clISt17integral_constantIbLb0EES1U_IbLb1EEEEDaS1Q_S1R_EUlS1Q_E_NS1_11comp_targetILNS1_3genE0ELNS1_11target_archE4294967295ELNS1_3gpuE0ELNS1_3repE0EEENS1_30default_config_static_selectorELNS0_4arch9wavefront6targetE1EEEvS13_.num_vgpr, 0
	.set _ZN7rocprim17ROCPRIM_400000_NS6detail17trampoline_kernelINS0_13select_configILj256ELj13ELNS0_17block_load_methodE3ELS4_3ELS4_3ELNS0_20block_scan_algorithmE0ELj4294967295EEENS1_25partition_config_selectorILNS1_17partition_subalgoE4EjNS0_10empty_typeEbEEZZNS1_14partition_implILS8_4ELb0ES6_15HIP_vector_typeIjLj2EENS0_17counting_iteratorIjlEEPS9_SG_NS0_5tupleIJPjSI_NS0_16reverse_iteratorISI_EEEEENSH_IJSG_SG_SG_EEES9_SI_JZNS1_25segmented_radix_sort_implINS0_14default_configELb1EPK12hip_bfloat16PSP_PKlPlN2at6native12_GLOBAL__N_18offset_tEEE10hipError_tPvRmT1_PNSt15iterator_traitsIS13_E10value_typeET2_T3_PNS14_IS19_E10value_typeET4_jRbjT5_S1F_jjP12ihipStream_tbEUljE_ZNSN_ISO_Lb1ESR_SS_SU_SV_SZ_EES10_S11_S12_S13_S17_S18_S19_S1C_S1D_jS1E_jS1F_S1F_jjS1H_bEUljE0_EEES10_S11_S12_S19_S1D_S1F_T6_T7_T9_mT8_S1H_bDpT10_ENKUlT_T0_E_clISt17integral_constantIbLb0EES1U_IbLb1EEEEDaS1Q_S1R_EUlS1Q_E_NS1_11comp_targetILNS1_3genE0ELNS1_11target_archE4294967295ELNS1_3gpuE0ELNS1_3repE0EEENS1_30default_config_static_selectorELNS0_4arch9wavefront6targetE1EEEvS13_.num_agpr, 0
	.set _ZN7rocprim17ROCPRIM_400000_NS6detail17trampoline_kernelINS0_13select_configILj256ELj13ELNS0_17block_load_methodE3ELS4_3ELS4_3ELNS0_20block_scan_algorithmE0ELj4294967295EEENS1_25partition_config_selectorILNS1_17partition_subalgoE4EjNS0_10empty_typeEbEEZZNS1_14partition_implILS8_4ELb0ES6_15HIP_vector_typeIjLj2EENS0_17counting_iteratorIjlEEPS9_SG_NS0_5tupleIJPjSI_NS0_16reverse_iteratorISI_EEEEENSH_IJSG_SG_SG_EEES9_SI_JZNS1_25segmented_radix_sort_implINS0_14default_configELb1EPK12hip_bfloat16PSP_PKlPlN2at6native12_GLOBAL__N_18offset_tEEE10hipError_tPvRmT1_PNSt15iterator_traitsIS13_E10value_typeET2_T3_PNS14_IS19_E10value_typeET4_jRbjT5_S1F_jjP12ihipStream_tbEUljE_ZNSN_ISO_Lb1ESR_SS_SU_SV_SZ_EES10_S11_S12_S13_S17_S18_S19_S1C_S1D_jS1E_jS1F_S1F_jjS1H_bEUljE0_EEES10_S11_S12_S19_S1D_S1F_T6_T7_T9_mT8_S1H_bDpT10_ENKUlT_T0_E_clISt17integral_constantIbLb0EES1U_IbLb1EEEEDaS1Q_S1R_EUlS1Q_E_NS1_11comp_targetILNS1_3genE0ELNS1_11target_archE4294967295ELNS1_3gpuE0ELNS1_3repE0EEENS1_30default_config_static_selectorELNS0_4arch9wavefront6targetE1EEEvS13_.numbered_sgpr, 0
	.set _ZN7rocprim17ROCPRIM_400000_NS6detail17trampoline_kernelINS0_13select_configILj256ELj13ELNS0_17block_load_methodE3ELS4_3ELS4_3ELNS0_20block_scan_algorithmE0ELj4294967295EEENS1_25partition_config_selectorILNS1_17partition_subalgoE4EjNS0_10empty_typeEbEEZZNS1_14partition_implILS8_4ELb0ES6_15HIP_vector_typeIjLj2EENS0_17counting_iteratorIjlEEPS9_SG_NS0_5tupleIJPjSI_NS0_16reverse_iteratorISI_EEEEENSH_IJSG_SG_SG_EEES9_SI_JZNS1_25segmented_radix_sort_implINS0_14default_configELb1EPK12hip_bfloat16PSP_PKlPlN2at6native12_GLOBAL__N_18offset_tEEE10hipError_tPvRmT1_PNSt15iterator_traitsIS13_E10value_typeET2_T3_PNS14_IS19_E10value_typeET4_jRbjT5_S1F_jjP12ihipStream_tbEUljE_ZNSN_ISO_Lb1ESR_SS_SU_SV_SZ_EES10_S11_S12_S13_S17_S18_S19_S1C_S1D_jS1E_jS1F_S1F_jjS1H_bEUljE0_EEES10_S11_S12_S19_S1D_S1F_T6_T7_T9_mT8_S1H_bDpT10_ENKUlT_T0_E_clISt17integral_constantIbLb0EES1U_IbLb1EEEEDaS1Q_S1R_EUlS1Q_E_NS1_11comp_targetILNS1_3genE0ELNS1_11target_archE4294967295ELNS1_3gpuE0ELNS1_3repE0EEENS1_30default_config_static_selectorELNS0_4arch9wavefront6targetE1EEEvS13_.num_named_barrier, 0
	.set _ZN7rocprim17ROCPRIM_400000_NS6detail17trampoline_kernelINS0_13select_configILj256ELj13ELNS0_17block_load_methodE3ELS4_3ELS4_3ELNS0_20block_scan_algorithmE0ELj4294967295EEENS1_25partition_config_selectorILNS1_17partition_subalgoE4EjNS0_10empty_typeEbEEZZNS1_14partition_implILS8_4ELb0ES6_15HIP_vector_typeIjLj2EENS0_17counting_iteratorIjlEEPS9_SG_NS0_5tupleIJPjSI_NS0_16reverse_iteratorISI_EEEEENSH_IJSG_SG_SG_EEES9_SI_JZNS1_25segmented_radix_sort_implINS0_14default_configELb1EPK12hip_bfloat16PSP_PKlPlN2at6native12_GLOBAL__N_18offset_tEEE10hipError_tPvRmT1_PNSt15iterator_traitsIS13_E10value_typeET2_T3_PNS14_IS19_E10value_typeET4_jRbjT5_S1F_jjP12ihipStream_tbEUljE_ZNSN_ISO_Lb1ESR_SS_SU_SV_SZ_EES10_S11_S12_S13_S17_S18_S19_S1C_S1D_jS1E_jS1F_S1F_jjS1H_bEUljE0_EEES10_S11_S12_S19_S1D_S1F_T6_T7_T9_mT8_S1H_bDpT10_ENKUlT_T0_E_clISt17integral_constantIbLb0EES1U_IbLb1EEEEDaS1Q_S1R_EUlS1Q_E_NS1_11comp_targetILNS1_3genE0ELNS1_11target_archE4294967295ELNS1_3gpuE0ELNS1_3repE0EEENS1_30default_config_static_selectorELNS0_4arch9wavefront6targetE1EEEvS13_.private_seg_size, 0
	.set _ZN7rocprim17ROCPRIM_400000_NS6detail17trampoline_kernelINS0_13select_configILj256ELj13ELNS0_17block_load_methodE3ELS4_3ELS4_3ELNS0_20block_scan_algorithmE0ELj4294967295EEENS1_25partition_config_selectorILNS1_17partition_subalgoE4EjNS0_10empty_typeEbEEZZNS1_14partition_implILS8_4ELb0ES6_15HIP_vector_typeIjLj2EENS0_17counting_iteratorIjlEEPS9_SG_NS0_5tupleIJPjSI_NS0_16reverse_iteratorISI_EEEEENSH_IJSG_SG_SG_EEES9_SI_JZNS1_25segmented_radix_sort_implINS0_14default_configELb1EPK12hip_bfloat16PSP_PKlPlN2at6native12_GLOBAL__N_18offset_tEEE10hipError_tPvRmT1_PNSt15iterator_traitsIS13_E10value_typeET2_T3_PNS14_IS19_E10value_typeET4_jRbjT5_S1F_jjP12ihipStream_tbEUljE_ZNSN_ISO_Lb1ESR_SS_SU_SV_SZ_EES10_S11_S12_S13_S17_S18_S19_S1C_S1D_jS1E_jS1F_S1F_jjS1H_bEUljE0_EEES10_S11_S12_S19_S1D_S1F_T6_T7_T9_mT8_S1H_bDpT10_ENKUlT_T0_E_clISt17integral_constantIbLb0EES1U_IbLb1EEEEDaS1Q_S1R_EUlS1Q_E_NS1_11comp_targetILNS1_3genE0ELNS1_11target_archE4294967295ELNS1_3gpuE0ELNS1_3repE0EEENS1_30default_config_static_selectorELNS0_4arch9wavefront6targetE1EEEvS13_.uses_vcc, 0
	.set _ZN7rocprim17ROCPRIM_400000_NS6detail17trampoline_kernelINS0_13select_configILj256ELj13ELNS0_17block_load_methodE3ELS4_3ELS4_3ELNS0_20block_scan_algorithmE0ELj4294967295EEENS1_25partition_config_selectorILNS1_17partition_subalgoE4EjNS0_10empty_typeEbEEZZNS1_14partition_implILS8_4ELb0ES6_15HIP_vector_typeIjLj2EENS0_17counting_iteratorIjlEEPS9_SG_NS0_5tupleIJPjSI_NS0_16reverse_iteratorISI_EEEEENSH_IJSG_SG_SG_EEES9_SI_JZNS1_25segmented_radix_sort_implINS0_14default_configELb1EPK12hip_bfloat16PSP_PKlPlN2at6native12_GLOBAL__N_18offset_tEEE10hipError_tPvRmT1_PNSt15iterator_traitsIS13_E10value_typeET2_T3_PNS14_IS19_E10value_typeET4_jRbjT5_S1F_jjP12ihipStream_tbEUljE_ZNSN_ISO_Lb1ESR_SS_SU_SV_SZ_EES10_S11_S12_S13_S17_S18_S19_S1C_S1D_jS1E_jS1F_S1F_jjS1H_bEUljE0_EEES10_S11_S12_S19_S1D_S1F_T6_T7_T9_mT8_S1H_bDpT10_ENKUlT_T0_E_clISt17integral_constantIbLb0EES1U_IbLb1EEEEDaS1Q_S1R_EUlS1Q_E_NS1_11comp_targetILNS1_3genE0ELNS1_11target_archE4294967295ELNS1_3gpuE0ELNS1_3repE0EEENS1_30default_config_static_selectorELNS0_4arch9wavefront6targetE1EEEvS13_.uses_flat_scratch, 0
	.set _ZN7rocprim17ROCPRIM_400000_NS6detail17trampoline_kernelINS0_13select_configILj256ELj13ELNS0_17block_load_methodE3ELS4_3ELS4_3ELNS0_20block_scan_algorithmE0ELj4294967295EEENS1_25partition_config_selectorILNS1_17partition_subalgoE4EjNS0_10empty_typeEbEEZZNS1_14partition_implILS8_4ELb0ES6_15HIP_vector_typeIjLj2EENS0_17counting_iteratorIjlEEPS9_SG_NS0_5tupleIJPjSI_NS0_16reverse_iteratorISI_EEEEENSH_IJSG_SG_SG_EEES9_SI_JZNS1_25segmented_radix_sort_implINS0_14default_configELb1EPK12hip_bfloat16PSP_PKlPlN2at6native12_GLOBAL__N_18offset_tEEE10hipError_tPvRmT1_PNSt15iterator_traitsIS13_E10value_typeET2_T3_PNS14_IS19_E10value_typeET4_jRbjT5_S1F_jjP12ihipStream_tbEUljE_ZNSN_ISO_Lb1ESR_SS_SU_SV_SZ_EES10_S11_S12_S13_S17_S18_S19_S1C_S1D_jS1E_jS1F_S1F_jjS1H_bEUljE0_EEES10_S11_S12_S19_S1D_S1F_T6_T7_T9_mT8_S1H_bDpT10_ENKUlT_T0_E_clISt17integral_constantIbLb0EES1U_IbLb1EEEEDaS1Q_S1R_EUlS1Q_E_NS1_11comp_targetILNS1_3genE0ELNS1_11target_archE4294967295ELNS1_3gpuE0ELNS1_3repE0EEENS1_30default_config_static_selectorELNS0_4arch9wavefront6targetE1EEEvS13_.has_dyn_sized_stack, 0
	.set _ZN7rocprim17ROCPRIM_400000_NS6detail17trampoline_kernelINS0_13select_configILj256ELj13ELNS0_17block_load_methodE3ELS4_3ELS4_3ELNS0_20block_scan_algorithmE0ELj4294967295EEENS1_25partition_config_selectorILNS1_17partition_subalgoE4EjNS0_10empty_typeEbEEZZNS1_14partition_implILS8_4ELb0ES6_15HIP_vector_typeIjLj2EENS0_17counting_iteratorIjlEEPS9_SG_NS0_5tupleIJPjSI_NS0_16reverse_iteratorISI_EEEEENSH_IJSG_SG_SG_EEES9_SI_JZNS1_25segmented_radix_sort_implINS0_14default_configELb1EPK12hip_bfloat16PSP_PKlPlN2at6native12_GLOBAL__N_18offset_tEEE10hipError_tPvRmT1_PNSt15iterator_traitsIS13_E10value_typeET2_T3_PNS14_IS19_E10value_typeET4_jRbjT5_S1F_jjP12ihipStream_tbEUljE_ZNSN_ISO_Lb1ESR_SS_SU_SV_SZ_EES10_S11_S12_S13_S17_S18_S19_S1C_S1D_jS1E_jS1F_S1F_jjS1H_bEUljE0_EEES10_S11_S12_S19_S1D_S1F_T6_T7_T9_mT8_S1H_bDpT10_ENKUlT_T0_E_clISt17integral_constantIbLb0EES1U_IbLb1EEEEDaS1Q_S1R_EUlS1Q_E_NS1_11comp_targetILNS1_3genE0ELNS1_11target_archE4294967295ELNS1_3gpuE0ELNS1_3repE0EEENS1_30default_config_static_selectorELNS0_4arch9wavefront6targetE1EEEvS13_.has_recursion, 0
	.set _ZN7rocprim17ROCPRIM_400000_NS6detail17trampoline_kernelINS0_13select_configILj256ELj13ELNS0_17block_load_methodE3ELS4_3ELS4_3ELNS0_20block_scan_algorithmE0ELj4294967295EEENS1_25partition_config_selectorILNS1_17partition_subalgoE4EjNS0_10empty_typeEbEEZZNS1_14partition_implILS8_4ELb0ES6_15HIP_vector_typeIjLj2EENS0_17counting_iteratorIjlEEPS9_SG_NS0_5tupleIJPjSI_NS0_16reverse_iteratorISI_EEEEENSH_IJSG_SG_SG_EEES9_SI_JZNS1_25segmented_radix_sort_implINS0_14default_configELb1EPK12hip_bfloat16PSP_PKlPlN2at6native12_GLOBAL__N_18offset_tEEE10hipError_tPvRmT1_PNSt15iterator_traitsIS13_E10value_typeET2_T3_PNS14_IS19_E10value_typeET4_jRbjT5_S1F_jjP12ihipStream_tbEUljE_ZNSN_ISO_Lb1ESR_SS_SU_SV_SZ_EES10_S11_S12_S13_S17_S18_S19_S1C_S1D_jS1E_jS1F_S1F_jjS1H_bEUljE0_EEES10_S11_S12_S19_S1D_S1F_T6_T7_T9_mT8_S1H_bDpT10_ENKUlT_T0_E_clISt17integral_constantIbLb0EES1U_IbLb1EEEEDaS1Q_S1R_EUlS1Q_E_NS1_11comp_targetILNS1_3genE0ELNS1_11target_archE4294967295ELNS1_3gpuE0ELNS1_3repE0EEENS1_30default_config_static_selectorELNS0_4arch9wavefront6targetE1EEEvS13_.has_indirect_call, 0
	.section	.AMDGPU.csdata,"",@progbits
; Kernel info:
; codeLenInByte = 0
; TotalNumSgprs: 4
; NumVgprs: 0
; ScratchSize: 0
; MemoryBound: 0
; FloatMode: 240
; IeeeMode: 1
; LDSByteSize: 0 bytes/workgroup (compile time only)
; SGPRBlocks: 0
; VGPRBlocks: 0
; NumSGPRsForWavesPerEU: 4
; NumVGPRsForWavesPerEU: 1
; Occupancy: 10
; WaveLimiterHint : 0
; COMPUTE_PGM_RSRC2:SCRATCH_EN: 0
; COMPUTE_PGM_RSRC2:USER_SGPR: 6
; COMPUTE_PGM_RSRC2:TRAP_HANDLER: 0
; COMPUTE_PGM_RSRC2:TGID_X_EN: 1
; COMPUTE_PGM_RSRC2:TGID_Y_EN: 0
; COMPUTE_PGM_RSRC2:TGID_Z_EN: 0
; COMPUTE_PGM_RSRC2:TIDIG_COMP_CNT: 0
	.section	.text._ZN7rocprim17ROCPRIM_400000_NS6detail17trampoline_kernelINS0_13select_configILj256ELj13ELNS0_17block_load_methodE3ELS4_3ELS4_3ELNS0_20block_scan_algorithmE0ELj4294967295EEENS1_25partition_config_selectorILNS1_17partition_subalgoE4EjNS0_10empty_typeEbEEZZNS1_14partition_implILS8_4ELb0ES6_15HIP_vector_typeIjLj2EENS0_17counting_iteratorIjlEEPS9_SG_NS0_5tupleIJPjSI_NS0_16reverse_iteratorISI_EEEEENSH_IJSG_SG_SG_EEES9_SI_JZNS1_25segmented_radix_sort_implINS0_14default_configELb1EPK12hip_bfloat16PSP_PKlPlN2at6native12_GLOBAL__N_18offset_tEEE10hipError_tPvRmT1_PNSt15iterator_traitsIS13_E10value_typeET2_T3_PNS14_IS19_E10value_typeET4_jRbjT5_S1F_jjP12ihipStream_tbEUljE_ZNSN_ISO_Lb1ESR_SS_SU_SV_SZ_EES10_S11_S12_S13_S17_S18_S19_S1C_S1D_jS1E_jS1F_S1F_jjS1H_bEUljE0_EEES10_S11_S12_S19_S1D_S1F_T6_T7_T9_mT8_S1H_bDpT10_ENKUlT_T0_E_clISt17integral_constantIbLb0EES1U_IbLb1EEEEDaS1Q_S1R_EUlS1Q_E_NS1_11comp_targetILNS1_3genE5ELNS1_11target_archE942ELNS1_3gpuE9ELNS1_3repE0EEENS1_30default_config_static_selectorELNS0_4arch9wavefront6targetE1EEEvS13_,"axG",@progbits,_ZN7rocprim17ROCPRIM_400000_NS6detail17trampoline_kernelINS0_13select_configILj256ELj13ELNS0_17block_load_methodE3ELS4_3ELS4_3ELNS0_20block_scan_algorithmE0ELj4294967295EEENS1_25partition_config_selectorILNS1_17partition_subalgoE4EjNS0_10empty_typeEbEEZZNS1_14partition_implILS8_4ELb0ES6_15HIP_vector_typeIjLj2EENS0_17counting_iteratorIjlEEPS9_SG_NS0_5tupleIJPjSI_NS0_16reverse_iteratorISI_EEEEENSH_IJSG_SG_SG_EEES9_SI_JZNS1_25segmented_radix_sort_implINS0_14default_configELb1EPK12hip_bfloat16PSP_PKlPlN2at6native12_GLOBAL__N_18offset_tEEE10hipError_tPvRmT1_PNSt15iterator_traitsIS13_E10value_typeET2_T3_PNS14_IS19_E10value_typeET4_jRbjT5_S1F_jjP12ihipStream_tbEUljE_ZNSN_ISO_Lb1ESR_SS_SU_SV_SZ_EES10_S11_S12_S13_S17_S18_S19_S1C_S1D_jS1E_jS1F_S1F_jjS1H_bEUljE0_EEES10_S11_S12_S19_S1D_S1F_T6_T7_T9_mT8_S1H_bDpT10_ENKUlT_T0_E_clISt17integral_constantIbLb0EES1U_IbLb1EEEEDaS1Q_S1R_EUlS1Q_E_NS1_11comp_targetILNS1_3genE5ELNS1_11target_archE942ELNS1_3gpuE9ELNS1_3repE0EEENS1_30default_config_static_selectorELNS0_4arch9wavefront6targetE1EEEvS13_,comdat
	.globl	_ZN7rocprim17ROCPRIM_400000_NS6detail17trampoline_kernelINS0_13select_configILj256ELj13ELNS0_17block_load_methodE3ELS4_3ELS4_3ELNS0_20block_scan_algorithmE0ELj4294967295EEENS1_25partition_config_selectorILNS1_17partition_subalgoE4EjNS0_10empty_typeEbEEZZNS1_14partition_implILS8_4ELb0ES6_15HIP_vector_typeIjLj2EENS0_17counting_iteratorIjlEEPS9_SG_NS0_5tupleIJPjSI_NS0_16reverse_iteratorISI_EEEEENSH_IJSG_SG_SG_EEES9_SI_JZNS1_25segmented_radix_sort_implINS0_14default_configELb1EPK12hip_bfloat16PSP_PKlPlN2at6native12_GLOBAL__N_18offset_tEEE10hipError_tPvRmT1_PNSt15iterator_traitsIS13_E10value_typeET2_T3_PNS14_IS19_E10value_typeET4_jRbjT5_S1F_jjP12ihipStream_tbEUljE_ZNSN_ISO_Lb1ESR_SS_SU_SV_SZ_EES10_S11_S12_S13_S17_S18_S19_S1C_S1D_jS1E_jS1F_S1F_jjS1H_bEUljE0_EEES10_S11_S12_S19_S1D_S1F_T6_T7_T9_mT8_S1H_bDpT10_ENKUlT_T0_E_clISt17integral_constantIbLb0EES1U_IbLb1EEEEDaS1Q_S1R_EUlS1Q_E_NS1_11comp_targetILNS1_3genE5ELNS1_11target_archE942ELNS1_3gpuE9ELNS1_3repE0EEENS1_30default_config_static_selectorELNS0_4arch9wavefront6targetE1EEEvS13_ ; -- Begin function _ZN7rocprim17ROCPRIM_400000_NS6detail17trampoline_kernelINS0_13select_configILj256ELj13ELNS0_17block_load_methodE3ELS4_3ELS4_3ELNS0_20block_scan_algorithmE0ELj4294967295EEENS1_25partition_config_selectorILNS1_17partition_subalgoE4EjNS0_10empty_typeEbEEZZNS1_14partition_implILS8_4ELb0ES6_15HIP_vector_typeIjLj2EENS0_17counting_iteratorIjlEEPS9_SG_NS0_5tupleIJPjSI_NS0_16reverse_iteratorISI_EEEEENSH_IJSG_SG_SG_EEES9_SI_JZNS1_25segmented_radix_sort_implINS0_14default_configELb1EPK12hip_bfloat16PSP_PKlPlN2at6native12_GLOBAL__N_18offset_tEEE10hipError_tPvRmT1_PNSt15iterator_traitsIS13_E10value_typeET2_T3_PNS14_IS19_E10value_typeET4_jRbjT5_S1F_jjP12ihipStream_tbEUljE_ZNSN_ISO_Lb1ESR_SS_SU_SV_SZ_EES10_S11_S12_S13_S17_S18_S19_S1C_S1D_jS1E_jS1F_S1F_jjS1H_bEUljE0_EEES10_S11_S12_S19_S1D_S1F_T6_T7_T9_mT8_S1H_bDpT10_ENKUlT_T0_E_clISt17integral_constantIbLb0EES1U_IbLb1EEEEDaS1Q_S1R_EUlS1Q_E_NS1_11comp_targetILNS1_3genE5ELNS1_11target_archE942ELNS1_3gpuE9ELNS1_3repE0EEENS1_30default_config_static_selectorELNS0_4arch9wavefront6targetE1EEEvS13_
	.p2align	8
	.type	_ZN7rocprim17ROCPRIM_400000_NS6detail17trampoline_kernelINS0_13select_configILj256ELj13ELNS0_17block_load_methodE3ELS4_3ELS4_3ELNS0_20block_scan_algorithmE0ELj4294967295EEENS1_25partition_config_selectorILNS1_17partition_subalgoE4EjNS0_10empty_typeEbEEZZNS1_14partition_implILS8_4ELb0ES6_15HIP_vector_typeIjLj2EENS0_17counting_iteratorIjlEEPS9_SG_NS0_5tupleIJPjSI_NS0_16reverse_iteratorISI_EEEEENSH_IJSG_SG_SG_EEES9_SI_JZNS1_25segmented_radix_sort_implINS0_14default_configELb1EPK12hip_bfloat16PSP_PKlPlN2at6native12_GLOBAL__N_18offset_tEEE10hipError_tPvRmT1_PNSt15iterator_traitsIS13_E10value_typeET2_T3_PNS14_IS19_E10value_typeET4_jRbjT5_S1F_jjP12ihipStream_tbEUljE_ZNSN_ISO_Lb1ESR_SS_SU_SV_SZ_EES10_S11_S12_S13_S17_S18_S19_S1C_S1D_jS1E_jS1F_S1F_jjS1H_bEUljE0_EEES10_S11_S12_S19_S1D_S1F_T6_T7_T9_mT8_S1H_bDpT10_ENKUlT_T0_E_clISt17integral_constantIbLb0EES1U_IbLb1EEEEDaS1Q_S1R_EUlS1Q_E_NS1_11comp_targetILNS1_3genE5ELNS1_11target_archE942ELNS1_3gpuE9ELNS1_3repE0EEENS1_30default_config_static_selectorELNS0_4arch9wavefront6targetE1EEEvS13_,@function
_ZN7rocprim17ROCPRIM_400000_NS6detail17trampoline_kernelINS0_13select_configILj256ELj13ELNS0_17block_load_methodE3ELS4_3ELS4_3ELNS0_20block_scan_algorithmE0ELj4294967295EEENS1_25partition_config_selectorILNS1_17partition_subalgoE4EjNS0_10empty_typeEbEEZZNS1_14partition_implILS8_4ELb0ES6_15HIP_vector_typeIjLj2EENS0_17counting_iteratorIjlEEPS9_SG_NS0_5tupleIJPjSI_NS0_16reverse_iteratorISI_EEEEENSH_IJSG_SG_SG_EEES9_SI_JZNS1_25segmented_radix_sort_implINS0_14default_configELb1EPK12hip_bfloat16PSP_PKlPlN2at6native12_GLOBAL__N_18offset_tEEE10hipError_tPvRmT1_PNSt15iterator_traitsIS13_E10value_typeET2_T3_PNS14_IS19_E10value_typeET4_jRbjT5_S1F_jjP12ihipStream_tbEUljE_ZNSN_ISO_Lb1ESR_SS_SU_SV_SZ_EES10_S11_S12_S13_S17_S18_S19_S1C_S1D_jS1E_jS1F_S1F_jjS1H_bEUljE0_EEES10_S11_S12_S19_S1D_S1F_T6_T7_T9_mT8_S1H_bDpT10_ENKUlT_T0_E_clISt17integral_constantIbLb0EES1U_IbLb1EEEEDaS1Q_S1R_EUlS1Q_E_NS1_11comp_targetILNS1_3genE5ELNS1_11target_archE942ELNS1_3gpuE9ELNS1_3repE0EEENS1_30default_config_static_selectorELNS0_4arch9wavefront6targetE1EEEvS13_: ; @_ZN7rocprim17ROCPRIM_400000_NS6detail17trampoline_kernelINS0_13select_configILj256ELj13ELNS0_17block_load_methodE3ELS4_3ELS4_3ELNS0_20block_scan_algorithmE0ELj4294967295EEENS1_25partition_config_selectorILNS1_17partition_subalgoE4EjNS0_10empty_typeEbEEZZNS1_14partition_implILS8_4ELb0ES6_15HIP_vector_typeIjLj2EENS0_17counting_iteratorIjlEEPS9_SG_NS0_5tupleIJPjSI_NS0_16reverse_iteratorISI_EEEEENSH_IJSG_SG_SG_EEES9_SI_JZNS1_25segmented_radix_sort_implINS0_14default_configELb1EPK12hip_bfloat16PSP_PKlPlN2at6native12_GLOBAL__N_18offset_tEEE10hipError_tPvRmT1_PNSt15iterator_traitsIS13_E10value_typeET2_T3_PNS14_IS19_E10value_typeET4_jRbjT5_S1F_jjP12ihipStream_tbEUljE_ZNSN_ISO_Lb1ESR_SS_SU_SV_SZ_EES10_S11_S12_S13_S17_S18_S19_S1C_S1D_jS1E_jS1F_S1F_jjS1H_bEUljE0_EEES10_S11_S12_S19_S1D_S1F_T6_T7_T9_mT8_S1H_bDpT10_ENKUlT_T0_E_clISt17integral_constantIbLb0EES1U_IbLb1EEEEDaS1Q_S1R_EUlS1Q_E_NS1_11comp_targetILNS1_3genE5ELNS1_11target_archE942ELNS1_3gpuE9ELNS1_3repE0EEENS1_30default_config_static_selectorELNS0_4arch9wavefront6targetE1EEEvS13_
; %bb.0:
	.section	.rodata,"a",@progbits
	.p2align	6, 0x0
	.amdhsa_kernel _ZN7rocprim17ROCPRIM_400000_NS6detail17trampoline_kernelINS0_13select_configILj256ELj13ELNS0_17block_load_methodE3ELS4_3ELS4_3ELNS0_20block_scan_algorithmE0ELj4294967295EEENS1_25partition_config_selectorILNS1_17partition_subalgoE4EjNS0_10empty_typeEbEEZZNS1_14partition_implILS8_4ELb0ES6_15HIP_vector_typeIjLj2EENS0_17counting_iteratorIjlEEPS9_SG_NS0_5tupleIJPjSI_NS0_16reverse_iteratorISI_EEEEENSH_IJSG_SG_SG_EEES9_SI_JZNS1_25segmented_radix_sort_implINS0_14default_configELb1EPK12hip_bfloat16PSP_PKlPlN2at6native12_GLOBAL__N_18offset_tEEE10hipError_tPvRmT1_PNSt15iterator_traitsIS13_E10value_typeET2_T3_PNS14_IS19_E10value_typeET4_jRbjT5_S1F_jjP12ihipStream_tbEUljE_ZNSN_ISO_Lb1ESR_SS_SU_SV_SZ_EES10_S11_S12_S13_S17_S18_S19_S1C_S1D_jS1E_jS1F_S1F_jjS1H_bEUljE0_EEES10_S11_S12_S19_S1D_S1F_T6_T7_T9_mT8_S1H_bDpT10_ENKUlT_T0_E_clISt17integral_constantIbLb0EES1U_IbLb1EEEEDaS1Q_S1R_EUlS1Q_E_NS1_11comp_targetILNS1_3genE5ELNS1_11target_archE942ELNS1_3gpuE9ELNS1_3repE0EEENS1_30default_config_static_selectorELNS0_4arch9wavefront6targetE1EEEvS13_
		.amdhsa_group_segment_fixed_size 0
		.amdhsa_private_segment_fixed_size 0
		.amdhsa_kernarg_size 184
		.amdhsa_user_sgpr_count 6
		.amdhsa_user_sgpr_private_segment_buffer 1
		.amdhsa_user_sgpr_dispatch_ptr 0
		.amdhsa_user_sgpr_queue_ptr 0
		.amdhsa_user_sgpr_kernarg_segment_ptr 1
		.amdhsa_user_sgpr_dispatch_id 0
		.amdhsa_user_sgpr_flat_scratch_init 0
		.amdhsa_user_sgpr_private_segment_size 0
		.amdhsa_uses_dynamic_stack 0
		.amdhsa_system_sgpr_private_segment_wavefront_offset 0
		.amdhsa_system_sgpr_workgroup_id_x 1
		.amdhsa_system_sgpr_workgroup_id_y 0
		.amdhsa_system_sgpr_workgroup_id_z 0
		.amdhsa_system_sgpr_workgroup_info 0
		.amdhsa_system_vgpr_workitem_id 0
		.amdhsa_next_free_vgpr 1
		.amdhsa_next_free_sgpr 0
		.amdhsa_reserve_vcc 0
		.amdhsa_reserve_flat_scratch 0
		.amdhsa_float_round_mode_32 0
		.amdhsa_float_round_mode_16_64 0
		.amdhsa_float_denorm_mode_32 3
		.amdhsa_float_denorm_mode_16_64 3
		.amdhsa_dx10_clamp 1
		.amdhsa_ieee_mode 1
		.amdhsa_fp16_overflow 0
		.amdhsa_exception_fp_ieee_invalid_op 0
		.amdhsa_exception_fp_denorm_src 0
		.amdhsa_exception_fp_ieee_div_zero 0
		.amdhsa_exception_fp_ieee_overflow 0
		.amdhsa_exception_fp_ieee_underflow 0
		.amdhsa_exception_fp_ieee_inexact 0
		.amdhsa_exception_int_div_zero 0
	.end_amdhsa_kernel
	.section	.text._ZN7rocprim17ROCPRIM_400000_NS6detail17trampoline_kernelINS0_13select_configILj256ELj13ELNS0_17block_load_methodE3ELS4_3ELS4_3ELNS0_20block_scan_algorithmE0ELj4294967295EEENS1_25partition_config_selectorILNS1_17partition_subalgoE4EjNS0_10empty_typeEbEEZZNS1_14partition_implILS8_4ELb0ES6_15HIP_vector_typeIjLj2EENS0_17counting_iteratorIjlEEPS9_SG_NS0_5tupleIJPjSI_NS0_16reverse_iteratorISI_EEEEENSH_IJSG_SG_SG_EEES9_SI_JZNS1_25segmented_radix_sort_implINS0_14default_configELb1EPK12hip_bfloat16PSP_PKlPlN2at6native12_GLOBAL__N_18offset_tEEE10hipError_tPvRmT1_PNSt15iterator_traitsIS13_E10value_typeET2_T3_PNS14_IS19_E10value_typeET4_jRbjT5_S1F_jjP12ihipStream_tbEUljE_ZNSN_ISO_Lb1ESR_SS_SU_SV_SZ_EES10_S11_S12_S13_S17_S18_S19_S1C_S1D_jS1E_jS1F_S1F_jjS1H_bEUljE0_EEES10_S11_S12_S19_S1D_S1F_T6_T7_T9_mT8_S1H_bDpT10_ENKUlT_T0_E_clISt17integral_constantIbLb0EES1U_IbLb1EEEEDaS1Q_S1R_EUlS1Q_E_NS1_11comp_targetILNS1_3genE5ELNS1_11target_archE942ELNS1_3gpuE9ELNS1_3repE0EEENS1_30default_config_static_selectorELNS0_4arch9wavefront6targetE1EEEvS13_,"axG",@progbits,_ZN7rocprim17ROCPRIM_400000_NS6detail17trampoline_kernelINS0_13select_configILj256ELj13ELNS0_17block_load_methodE3ELS4_3ELS4_3ELNS0_20block_scan_algorithmE0ELj4294967295EEENS1_25partition_config_selectorILNS1_17partition_subalgoE4EjNS0_10empty_typeEbEEZZNS1_14partition_implILS8_4ELb0ES6_15HIP_vector_typeIjLj2EENS0_17counting_iteratorIjlEEPS9_SG_NS0_5tupleIJPjSI_NS0_16reverse_iteratorISI_EEEEENSH_IJSG_SG_SG_EEES9_SI_JZNS1_25segmented_radix_sort_implINS0_14default_configELb1EPK12hip_bfloat16PSP_PKlPlN2at6native12_GLOBAL__N_18offset_tEEE10hipError_tPvRmT1_PNSt15iterator_traitsIS13_E10value_typeET2_T3_PNS14_IS19_E10value_typeET4_jRbjT5_S1F_jjP12ihipStream_tbEUljE_ZNSN_ISO_Lb1ESR_SS_SU_SV_SZ_EES10_S11_S12_S13_S17_S18_S19_S1C_S1D_jS1E_jS1F_S1F_jjS1H_bEUljE0_EEES10_S11_S12_S19_S1D_S1F_T6_T7_T9_mT8_S1H_bDpT10_ENKUlT_T0_E_clISt17integral_constantIbLb0EES1U_IbLb1EEEEDaS1Q_S1R_EUlS1Q_E_NS1_11comp_targetILNS1_3genE5ELNS1_11target_archE942ELNS1_3gpuE9ELNS1_3repE0EEENS1_30default_config_static_selectorELNS0_4arch9wavefront6targetE1EEEvS13_,comdat
.Lfunc_end1907:
	.size	_ZN7rocprim17ROCPRIM_400000_NS6detail17trampoline_kernelINS0_13select_configILj256ELj13ELNS0_17block_load_methodE3ELS4_3ELS4_3ELNS0_20block_scan_algorithmE0ELj4294967295EEENS1_25partition_config_selectorILNS1_17partition_subalgoE4EjNS0_10empty_typeEbEEZZNS1_14partition_implILS8_4ELb0ES6_15HIP_vector_typeIjLj2EENS0_17counting_iteratorIjlEEPS9_SG_NS0_5tupleIJPjSI_NS0_16reverse_iteratorISI_EEEEENSH_IJSG_SG_SG_EEES9_SI_JZNS1_25segmented_radix_sort_implINS0_14default_configELb1EPK12hip_bfloat16PSP_PKlPlN2at6native12_GLOBAL__N_18offset_tEEE10hipError_tPvRmT1_PNSt15iterator_traitsIS13_E10value_typeET2_T3_PNS14_IS19_E10value_typeET4_jRbjT5_S1F_jjP12ihipStream_tbEUljE_ZNSN_ISO_Lb1ESR_SS_SU_SV_SZ_EES10_S11_S12_S13_S17_S18_S19_S1C_S1D_jS1E_jS1F_S1F_jjS1H_bEUljE0_EEES10_S11_S12_S19_S1D_S1F_T6_T7_T9_mT8_S1H_bDpT10_ENKUlT_T0_E_clISt17integral_constantIbLb0EES1U_IbLb1EEEEDaS1Q_S1R_EUlS1Q_E_NS1_11comp_targetILNS1_3genE5ELNS1_11target_archE942ELNS1_3gpuE9ELNS1_3repE0EEENS1_30default_config_static_selectorELNS0_4arch9wavefront6targetE1EEEvS13_, .Lfunc_end1907-_ZN7rocprim17ROCPRIM_400000_NS6detail17trampoline_kernelINS0_13select_configILj256ELj13ELNS0_17block_load_methodE3ELS4_3ELS4_3ELNS0_20block_scan_algorithmE0ELj4294967295EEENS1_25partition_config_selectorILNS1_17partition_subalgoE4EjNS0_10empty_typeEbEEZZNS1_14partition_implILS8_4ELb0ES6_15HIP_vector_typeIjLj2EENS0_17counting_iteratorIjlEEPS9_SG_NS0_5tupleIJPjSI_NS0_16reverse_iteratorISI_EEEEENSH_IJSG_SG_SG_EEES9_SI_JZNS1_25segmented_radix_sort_implINS0_14default_configELb1EPK12hip_bfloat16PSP_PKlPlN2at6native12_GLOBAL__N_18offset_tEEE10hipError_tPvRmT1_PNSt15iterator_traitsIS13_E10value_typeET2_T3_PNS14_IS19_E10value_typeET4_jRbjT5_S1F_jjP12ihipStream_tbEUljE_ZNSN_ISO_Lb1ESR_SS_SU_SV_SZ_EES10_S11_S12_S13_S17_S18_S19_S1C_S1D_jS1E_jS1F_S1F_jjS1H_bEUljE0_EEES10_S11_S12_S19_S1D_S1F_T6_T7_T9_mT8_S1H_bDpT10_ENKUlT_T0_E_clISt17integral_constantIbLb0EES1U_IbLb1EEEEDaS1Q_S1R_EUlS1Q_E_NS1_11comp_targetILNS1_3genE5ELNS1_11target_archE942ELNS1_3gpuE9ELNS1_3repE0EEENS1_30default_config_static_selectorELNS0_4arch9wavefront6targetE1EEEvS13_
                                        ; -- End function
	.set _ZN7rocprim17ROCPRIM_400000_NS6detail17trampoline_kernelINS0_13select_configILj256ELj13ELNS0_17block_load_methodE3ELS4_3ELS4_3ELNS0_20block_scan_algorithmE0ELj4294967295EEENS1_25partition_config_selectorILNS1_17partition_subalgoE4EjNS0_10empty_typeEbEEZZNS1_14partition_implILS8_4ELb0ES6_15HIP_vector_typeIjLj2EENS0_17counting_iteratorIjlEEPS9_SG_NS0_5tupleIJPjSI_NS0_16reverse_iteratorISI_EEEEENSH_IJSG_SG_SG_EEES9_SI_JZNS1_25segmented_radix_sort_implINS0_14default_configELb1EPK12hip_bfloat16PSP_PKlPlN2at6native12_GLOBAL__N_18offset_tEEE10hipError_tPvRmT1_PNSt15iterator_traitsIS13_E10value_typeET2_T3_PNS14_IS19_E10value_typeET4_jRbjT5_S1F_jjP12ihipStream_tbEUljE_ZNSN_ISO_Lb1ESR_SS_SU_SV_SZ_EES10_S11_S12_S13_S17_S18_S19_S1C_S1D_jS1E_jS1F_S1F_jjS1H_bEUljE0_EEES10_S11_S12_S19_S1D_S1F_T6_T7_T9_mT8_S1H_bDpT10_ENKUlT_T0_E_clISt17integral_constantIbLb0EES1U_IbLb1EEEEDaS1Q_S1R_EUlS1Q_E_NS1_11comp_targetILNS1_3genE5ELNS1_11target_archE942ELNS1_3gpuE9ELNS1_3repE0EEENS1_30default_config_static_selectorELNS0_4arch9wavefront6targetE1EEEvS13_.num_vgpr, 0
	.set _ZN7rocprim17ROCPRIM_400000_NS6detail17trampoline_kernelINS0_13select_configILj256ELj13ELNS0_17block_load_methodE3ELS4_3ELS4_3ELNS0_20block_scan_algorithmE0ELj4294967295EEENS1_25partition_config_selectorILNS1_17partition_subalgoE4EjNS0_10empty_typeEbEEZZNS1_14partition_implILS8_4ELb0ES6_15HIP_vector_typeIjLj2EENS0_17counting_iteratorIjlEEPS9_SG_NS0_5tupleIJPjSI_NS0_16reverse_iteratorISI_EEEEENSH_IJSG_SG_SG_EEES9_SI_JZNS1_25segmented_radix_sort_implINS0_14default_configELb1EPK12hip_bfloat16PSP_PKlPlN2at6native12_GLOBAL__N_18offset_tEEE10hipError_tPvRmT1_PNSt15iterator_traitsIS13_E10value_typeET2_T3_PNS14_IS19_E10value_typeET4_jRbjT5_S1F_jjP12ihipStream_tbEUljE_ZNSN_ISO_Lb1ESR_SS_SU_SV_SZ_EES10_S11_S12_S13_S17_S18_S19_S1C_S1D_jS1E_jS1F_S1F_jjS1H_bEUljE0_EEES10_S11_S12_S19_S1D_S1F_T6_T7_T9_mT8_S1H_bDpT10_ENKUlT_T0_E_clISt17integral_constantIbLb0EES1U_IbLb1EEEEDaS1Q_S1R_EUlS1Q_E_NS1_11comp_targetILNS1_3genE5ELNS1_11target_archE942ELNS1_3gpuE9ELNS1_3repE0EEENS1_30default_config_static_selectorELNS0_4arch9wavefront6targetE1EEEvS13_.num_agpr, 0
	.set _ZN7rocprim17ROCPRIM_400000_NS6detail17trampoline_kernelINS0_13select_configILj256ELj13ELNS0_17block_load_methodE3ELS4_3ELS4_3ELNS0_20block_scan_algorithmE0ELj4294967295EEENS1_25partition_config_selectorILNS1_17partition_subalgoE4EjNS0_10empty_typeEbEEZZNS1_14partition_implILS8_4ELb0ES6_15HIP_vector_typeIjLj2EENS0_17counting_iteratorIjlEEPS9_SG_NS0_5tupleIJPjSI_NS0_16reverse_iteratorISI_EEEEENSH_IJSG_SG_SG_EEES9_SI_JZNS1_25segmented_radix_sort_implINS0_14default_configELb1EPK12hip_bfloat16PSP_PKlPlN2at6native12_GLOBAL__N_18offset_tEEE10hipError_tPvRmT1_PNSt15iterator_traitsIS13_E10value_typeET2_T3_PNS14_IS19_E10value_typeET4_jRbjT5_S1F_jjP12ihipStream_tbEUljE_ZNSN_ISO_Lb1ESR_SS_SU_SV_SZ_EES10_S11_S12_S13_S17_S18_S19_S1C_S1D_jS1E_jS1F_S1F_jjS1H_bEUljE0_EEES10_S11_S12_S19_S1D_S1F_T6_T7_T9_mT8_S1H_bDpT10_ENKUlT_T0_E_clISt17integral_constantIbLb0EES1U_IbLb1EEEEDaS1Q_S1R_EUlS1Q_E_NS1_11comp_targetILNS1_3genE5ELNS1_11target_archE942ELNS1_3gpuE9ELNS1_3repE0EEENS1_30default_config_static_selectorELNS0_4arch9wavefront6targetE1EEEvS13_.numbered_sgpr, 0
	.set _ZN7rocprim17ROCPRIM_400000_NS6detail17trampoline_kernelINS0_13select_configILj256ELj13ELNS0_17block_load_methodE3ELS4_3ELS4_3ELNS0_20block_scan_algorithmE0ELj4294967295EEENS1_25partition_config_selectorILNS1_17partition_subalgoE4EjNS0_10empty_typeEbEEZZNS1_14partition_implILS8_4ELb0ES6_15HIP_vector_typeIjLj2EENS0_17counting_iteratorIjlEEPS9_SG_NS0_5tupleIJPjSI_NS0_16reverse_iteratorISI_EEEEENSH_IJSG_SG_SG_EEES9_SI_JZNS1_25segmented_radix_sort_implINS0_14default_configELb1EPK12hip_bfloat16PSP_PKlPlN2at6native12_GLOBAL__N_18offset_tEEE10hipError_tPvRmT1_PNSt15iterator_traitsIS13_E10value_typeET2_T3_PNS14_IS19_E10value_typeET4_jRbjT5_S1F_jjP12ihipStream_tbEUljE_ZNSN_ISO_Lb1ESR_SS_SU_SV_SZ_EES10_S11_S12_S13_S17_S18_S19_S1C_S1D_jS1E_jS1F_S1F_jjS1H_bEUljE0_EEES10_S11_S12_S19_S1D_S1F_T6_T7_T9_mT8_S1H_bDpT10_ENKUlT_T0_E_clISt17integral_constantIbLb0EES1U_IbLb1EEEEDaS1Q_S1R_EUlS1Q_E_NS1_11comp_targetILNS1_3genE5ELNS1_11target_archE942ELNS1_3gpuE9ELNS1_3repE0EEENS1_30default_config_static_selectorELNS0_4arch9wavefront6targetE1EEEvS13_.num_named_barrier, 0
	.set _ZN7rocprim17ROCPRIM_400000_NS6detail17trampoline_kernelINS0_13select_configILj256ELj13ELNS0_17block_load_methodE3ELS4_3ELS4_3ELNS0_20block_scan_algorithmE0ELj4294967295EEENS1_25partition_config_selectorILNS1_17partition_subalgoE4EjNS0_10empty_typeEbEEZZNS1_14partition_implILS8_4ELb0ES6_15HIP_vector_typeIjLj2EENS0_17counting_iteratorIjlEEPS9_SG_NS0_5tupleIJPjSI_NS0_16reverse_iteratorISI_EEEEENSH_IJSG_SG_SG_EEES9_SI_JZNS1_25segmented_radix_sort_implINS0_14default_configELb1EPK12hip_bfloat16PSP_PKlPlN2at6native12_GLOBAL__N_18offset_tEEE10hipError_tPvRmT1_PNSt15iterator_traitsIS13_E10value_typeET2_T3_PNS14_IS19_E10value_typeET4_jRbjT5_S1F_jjP12ihipStream_tbEUljE_ZNSN_ISO_Lb1ESR_SS_SU_SV_SZ_EES10_S11_S12_S13_S17_S18_S19_S1C_S1D_jS1E_jS1F_S1F_jjS1H_bEUljE0_EEES10_S11_S12_S19_S1D_S1F_T6_T7_T9_mT8_S1H_bDpT10_ENKUlT_T0_E_clISt17integral_constantIbLb0EES1U_IbLb1EEEEDaS1Q_S1R_EUlS1Q_E_NS1_11comp_targetILNS1_3genE5ELNS1_11target_archE942ELNS1_3gpuE9ELNS1_3repE0EEENS1_30default_config_static_selectorELNS0_4arch9wavefront6targetE1EEEvS13_.private_seg_size, 0
	.set _ZN7rocprim17ROCPRIM_400000_NS6detail17trampoline_kernelINS0_13select_configILj256ELj13ELNS0_17block_load_methodE3ELS4_3ELS4_3ELNS0_20block_scan_algorithmE0ELj4294967295EEENS1_25partition_config_selectorILNS1_17partition_subalgoE4EjNS0_10empty_typeEbEEZZNS1_14partition_implILS8_4ELb0ES6_15HIP_vector_typeIjLj2EENS0_17counting_iteratorIjlEEPS9_SG_NS0_5tupleIJPjSI_NS0_16reverse_iteratorISI_EEEEENSH_IJSG_SG_SG_EEES9_SI_JZNS1_25segmented_radix_sort_implINS0_14default_configELb1EPK12hip_bfloat16PSP_PKlPlN2at6native12_GLOBAL__N_18offset_tEEE10hipError_tPvRmT1_PNSt15iterator_traitsIS13_E10value_typeET2_T3_PNS14_IS19_E10value_typeET4_jRbjT5_S1F_jjP12ihipStream_tbEUljE_ZNSN_ISO_Lb1ESR_SS_SU_SV_SZ_EES10_S11_S12_S13_S17_S18_S19_S1C_S1D_jS1E_jS1F_S1F_jjS1H_bEUljE0_EEES10_S11_S12_S19_S1D_S1F_T6_T7_T9_mT8_S1H_bDpT10_ENKUlT_T0_E_clISt17integral_constantIbLb0EES1U_IbLb1EEEEDaS1Q_S1R_EUlS1Q_E_NS1_11comp_targetILNS1_3genE5ELNS1_11target_archE942ELNS1_3gpuE9ELNS1_3repE0EEENS1_30default_config_static_selectorELNS0_4arch9wavefront6targetE1EEEvS13_.uses_vcc, 0
	.set _ZN7rocprim17ROCPRIM_400000_NS6detail17trampoline_kernelINS0_13select_configILj256ELj13ELNS0_17block_load_methodE3ELS4_3ELS4_3ELNS0_20block_scan_algorithmE0ELj4294967295EEENS1_25partition_config_selectorILNS1_17partition_subalgoE4EjNS0_10empty_typeEbEEZZNS1_14partition_implILS8_4ELb0ES6_15HIP_vector_typeIjLj2EENS0_17counting_iteratorIjlEEPS9_SG_NS0_5tupleIJPjSI_NS0_16reverse_iteratorISI_EEEEENSH_IJSG_SG_SG_EEES9_SI_JZNS1_25segmented_radix_sort_implINS0_14default_configELb1EPK12hip_bfloat16PSP_PKlPlN2at6native12_GLOBAL__N_18offset_tEEE10hipError_tPvRmT1_PNSt15iterator_traitsIS13_E10value_typeET2_T3_PNS14_IS19_E10value_typeET4_jRbjT5_S1F_jjP12ihipStream_tbEUljE_ZNSN_ISO_Lb1ESR_SS_SU_SV_SZ_EES10_S11_S12_S13_S17_S18_S19_S1C_S1D_jS1E_jS1F_S1F_jjS1H_bEUljE0_EEES10_S11_S12_S19_S1D_S1F_T6_T7_T9_mT8_S1H_bDpT10_ENKUlT_T0_E_clISt17integral_constantIbLb0EES1U_IbLb1EEEEDaS1Q_S1R_EUlS1Q_E_NS1_11comp_targetILNS1_3genE5ELNS1_11target_archE942ELNS1_3gpuE9ELNS1_3repE0EEENS1_30default_config_static_selectorELNS0_4arch9wavefront6targetE1EEEvS13_.uses_flat_scratch, 0
	.set _ZN7rocprim17ROCPRIM_400000_NS6detail17trampoline_kernelINS0_13select_configILj256ELj13ELNS0_17block_load_methodE3ELS4_3ELS4_3ELNS0_20block_scan_algorithmE0ELj4294967295EEENS1_25partition_config_selectorILNS1_17partition_subalgoE4EjNS0_10empty_typeEbEEZZNS1_14partition_implILS8_4ELb0ES6_15HIP_vector_typeIjLj2EENS0_17counting_iteratorIjlEEPS9_SG_NS0_5tupleIJPjSI_NS0_16reverse_iteratorISI_EEEEENSH_IJSG_SG_SG_EEES9_SI_JZNS1_25segmented_radix_sort_implINS0_14default_configELb1EPK12hip_bfloat16PSP_PKlPlN2at6native12_GLOBAL__N_18offset_tEEE10hipError_tPvRmT1_PNSt15iterator_traitsIS13_E10value_typeET2_T3_PNS14_IS19_E10value_typeET4_jRbjT5_S1F_jjP12ihipStream_tbEUljE_ZNSN_ISO_Lb1ESR_SS_SU_SV_SZ_EES10_S11_S12_S13_S17_S18_S19_S1C_S1D_jS1E_jS1F_S1F_jjS1H_bEUljE0_EEES10_S11_S12_S19_S1D_S1F_T6_T7_T9_mT8_S1H_bDpT10_ENKUlT_T0_E_clISt17integral_constantIbLb0EES1U_IbLb1EEEEDaS1Q_S1R_EUlS1Q_E_NS1_11comp_targetILNS1_3genE5ELNS1_11target_archE942ELNS1_3gpuE9ELNS1_3repE0EEENS1_30default_config_static_selectorELNS0_4arch9wavefront6targetE1EEEvS13_.has_dyn_sized_stack, 0
	.set _ZN7rocprim17ROCPRIM_400000_NS6detail17trampoline_kernelINS0_13select_configILj256ELj13ELNS0_17block_load_methodE3ELS4_3ELS4_3ELNS0_20block_scan_algorithmE0ELj4294967295EEENS1_25partition_config_selectorILNS1_17partition_subalgoE4EjNS0_10empty_typeEbEEZZNS1_14partition_implILS8_4ELb0ES6_15HIP_vector_typeIjLj2EENS0_17counting_iteratorIjlEEPS9_SG_NS0_5tupleIJPjSI_NS0_16reverse_iteratorISI_EEEEENSH_IJSG_SG_SG_EEES9_SI_JZNS1_25segmented_radix_sort_implINS0_14default_configELb1EPK12hip_bfloat16PSP_PKlPlN2at6native12_GLOBAL__N_18offset_tEEE10hipError_tPvRmT1_PNSt15iterator_traitsIS13_E10value_typeET2_T3_PNS14_IS19_E10value_typeET4_jRbjT5_S1F_jjP12ihipStream_tbEUljE_ZNSN_ISO_Lb1ESR_SS_SU_SV_SZ_EES10_S11_S12_S13_S17_S18_S19_S1C_S1D_jS1E_jS1F_S1F_jjS1H_bEUljE0_EEES10_S11_S12_S19_S1D_S1F_T6_T7_T9_mT8_S1H_bDpT10_ENKUlT_T0_E_clISt17integral_constantIbLb0EES1U_IbLb1EEEEDaS1Q_S1R_EUlS1Q_E_NS1_11comp_targetILNS1_3genE5ELNS1_11target_archE942ELNS1_3gpuE9ELNS1_3repE0EEENS1_30default_config_static_selectorELNS0_4arch9wavefront6targetE1EEEvS13_.has_recursion, 0
	.set _ZN7rocprim17ROCPRIM_400000_NS6detail17trampoline_kernelINS0_13select_configILj256ELj13ELNS0_17block_load_methodE3ELS4_3ELS4_3ELNS0_20block_scan_algorithmE0ELj4294967295EEENS1_25partition_config_selectorILNS1_17partition_subalgoE4EjNS0_10empty_typeEbEEZZNS1_14partition_implILS8_4ELb0ES6_15HIP_vector_typeIjLj2EENS0_17counting_iteratorIjlEEPS9_SG_NS0_5tupleIJPjSI_NS0_16reverse_iteratorISI_EEEEENSH_IJSG_SG_SG_EEES9_SI_JZNS1_25segmented_radix_sort_implINS0_14default_configELb1EPK12hip_bfloat16PSP_PKlPlN2at6native12_GLOBAL__N_18offset_tEEE10hipError_tPvRmT1_PNSt15iterator_traitsIS13_E10value_typeET2_T3_PNS14_IS19_E10value_typeET4_jRbjT5_S1F_jjP12ihipStream_tbEUljE_ZNSN_ISO_Lb1ESR_SS_SU_SV_SZ_EES10_S11_S12_S13_S17_S18_S19_S1C_S1D_jS1E_jS1F_S1F_jjS1H_bEUljE0_EEES10_S11_S12_S19_S1D_S1F_T6_T7_T9_mT8_S1H_bDpT10_ENKUlT_T0_E_clISt17integral_constantIbLb0EES1U_IbLb1EEEEDaS1Q_S1R_EUlS1Q_E_NS1_11comp_targetILNS1_3genE5ELNS1_11target_archE942ELNS1_3gpuE9ELNS1_3repE0EEENS1_30default_config_static_selectorELNS0_4arch9wavefront6targetE1EEEvS13_.has_indirect_call, 0
	.section	.AMDGPU.csdata,"",@progbits
; Kernel info:
; codeLenInByte = 0
; TotalNumSgprs: 4
; NumVgprs: 0
; ScratchSize: 0
; MemoryBound: 0
; FloatMode: 240
; IeeeMode: 1
; LDSByteSize: 0 bytes/workgroup (compile time only)
; SGPRBlocks: 0
; VGPRBlocks: 0
; NumSGPRsForWavesPerEU: 4
; NumVGPRsForWavesPerEU: 1
; Occupancy: 10
; WaveLimiterHint : 0
; COMPUTE_PGM_RSRC2:SCRATCH_EN: 0
; COMPUTE_PGM_RSRC2:USER_SGPR: 6
; COMPUTE_PGM_RSRC2:TRAP_HANDLER: 0
; COMPUTE_PGM_RSRC2:TGID_X_EN: 1
; COMPUTE_PGM_RSRC2:TGID_Y_EN: 0
; COMPUTE_PGM_RSRC2:TGID_Z_EN: 0
; COMPUTE_PGM_RSRC2:TIDIG_COMP_CNT: 0
	.section	.text._ZN7rocprim17ROCPRIM_400000_NS6detail17trampoline_kernelINS0_13select_configILj256ELj13ELNS0_17block_load_methodE3ELS4_3ELS4_3ELNS0_20block_scan_algorithmE0ELj4294967295EEENS1_25partition_config_selectorILNS1_17partition_subalgoE4EjNS0_10empty_typeEbEEZZNS1_14partition_implILS8_4ELb0ES6_15HIP_vector_typeIjLj2EENS0_17counting_iteratorIjlEEPS9_SG_NS0_5tupleIJPjSI_NS0_16reverse_iteratorISI_EEEEENSH_IJSG_SG_SG_EEES9_SI_JZNS1_25segmented_radix_sort_implINS0_14default_configELb1EPK12hip_bfloat16PSP_PKlPlN2at6native12_GLOBAL__N_18offset_tEEE10hipError_tPvRmT1_PNSt15iterator_traitsIS13_E10value_typeET2_T3_PNS14_IS19_E10value_typeET4_jRbjT5_S1F_jjP12ihipStream_tbEUljE_ZNSN_ISO_Lb1ESR_SS_SU_SV_SZ_EES10_S11_S12_S13_S17_S18_S19_S1C_S1D_jS1E_jS1F_S1F_jjS1H_bEUljE0_EEES10_S11_S12_S19_S1D_S1F_T6_T7_T9_mT8_S1H_bDpT10_ENKUlT_T0_E_clISt17integral_constantIbLb0EES1U_IbLb1EEEEDaS1Q_S1R_EUlS1Q_E_NS1_11comp_targetILNS1_3genE4ELNS1_11target_archE910ELNS1_3gpuE8ELNS1_3repE0EEENS1_30default_config_static_selectorELNS0_4arch9wavefront6targetE1EEEvS13_,"axG",@progbits,_ZN7rocprim17ROCPRIM_400000_NS6detail17trampoline_kernelINS0_13select_configILj256ELj13ELNS0_17block_load_methodE3ELS4_3ELS4_3ELNS0_20block_scan_algorithmE0ELj4294967295EEENS1_25partition_config_selectorILNS1_17partition_subalgoE4EjNS0_10empty_typeEbEEZZNS1_14partition_implILS8_4ELb0ES6_15HIP_vector_typeIjLj2EENS0_17counting_iteratorIjlEEPS9_SG_NS0_5tupleIJPjSI_NS0_16reverse_iteratorISI_EEEEENSH_IJSG_SG_SG_EEES9_SI_JZNS1_25segmented_radix_sort_implINS0_14default_configELb1EPK12hip_bfloat16PSP_PKlPlN2at6native12_GLOBAL__N_18offset_tEEE10hipError_tPvRmT1_PNSt15iterator_traitsIS13_E10value_typeET2_T3_PNS14_IS19_E10value_typeET4_jRbjT5_S1F_jjP12ihipStream_tbEUljE_ZNSN_ISO_Lb1ESR_SS_SU_SV_SZ_EES10_S11_S12_S13_S17_S18_S19_S1C_S1D_jS1E_jS1F_S1F_jjS1H_bEUljE0_EEES10_S11_S12_S19_S1D_S1F_T6_T7_T9_mT8_S1H_bDpT10_ENKUlT_T0_E_clISt17integral_constantIbLb0EES1U_IbLb1EEEEDaS1Q_S1R_EUlS1Q_E_NS1_11comp_targetILNS1_3genE4ELNS1_11target_archE910ELNS1_3gpuE8ELNS1_3repE0EEENS1_30default_config_static_selectorELNS0_4arch9wavefront6targetE1EEEvS13_,comdat
	.globl	_ZN7rocprim17ROCPRIM_400000_NS6detail17trampoline_kernelINS0_13select_configILj256ELj13ELNS0_17block_load_methodE3ELS4_3ELS4_3ELNS0_20block_scan_algorithmE0ELj4294967295EEENS1_25partition_config_selectorILNS1_17partition_subalgoE4EjNS0_10empty_typeEbEEZZNS1_14partition_implILS8_4ELb0ES6_15HIP_vector_typeIjLj2EENS0_17counting_iteratorIjlEEPS9_SG_NS0_5tupleIJPjSI_NS0_16reverse_iteratorISI_EEEEENSH_IJSG_SG_SG_EEES9_SI_JZNS1_25segmented_radix_sort_implINS0_14default_configELb1EPK12hip_bfloat16PSP_PKlPlN2at6native12_GLOBAL__N_18offset_tEEE10hipError_tPvRmT1_PNSt15iterator_traitsIS13_E10value_typeET2_T3_PNS14_IS19_E10value_typeET4_jRbjT5_S1F_jjP12ihipStream_tbEUljE_ZNSN_ISO_Lb1ESR_SS_SU_SV_SZ_EES10_S11_S12_S13_S17_S18_S19_S1C_S1D_jS1E_jS1F_S1F_jjS1H_bEUljE0_EEES10_S11_S12_S19_S1D_S1F_T6_T7_T9_mT8_S1H_bDpT10_ENKUlT_T0_E_clISt17integral_constantIbLb0EES1U_IbLb1EEEEDaS1Q_S1R_EUlS1Q_E_NS1_11comp_targetILNS1_3genE4ELNS1_11target_archE910ELNS1_3gpuE8ELNS1_3repE0EEENS1_30default_config_static_selectorELNS0_4arch9wavefront6targetE1EEEvS13_ ; -- Begin function _ZN7rocprim17ROCPRIM_400000_NS6detail17trampoline_kernelINS0_13select_configILj256ELj13ELNS0_17block_load_methodE3ELS4_3ELS4_3ELNS0_20block_scan_algorithmE0ELj4294967295EEENS1_25partition_config_selectorILNS1_17partition_subalgoE4EjNS0_10empty_typeEbEEZZNS1_14partition_implILS8_4ELb0ES6_15HIP_vector_typeIjLj2EENS0_17counting_iteratorIjlEEPS9_SG_NS0_5tupleIJPjSI_NS0_16reverse_iteratorISI_EEEEENSH_IJSG_SG_SG_EEES9_SI_JZNS1_25segmented_radix_sort_implINS0_14default_configELb1EPK12hip_bfloat16PSP_PKlPlN2at6native12_GLOBAL__N_18offset_tEEE10hipError_tPvRmT1_PNSt15iterator_traitsIS13_E10value_typeET2_T3_PNS14_IS19_E10value_typeET4_jRbjT5_S1F_jjP12ihipStream_tbEUljE_ZNSN_ISO_Lb1ESR_SS_SU_SV_SZ_EES10_S11_S12_S13_S17_S18_S19_S1C_S1D_jS1E_jS1F_S1F_jjS1H_bEUljE0_EEES10_S11_S12_S19_S1D_S1F_T6_T7_T9_mT8_S1H_bDpT10_ENKUlT_T0_E_clISt17integral_constantIbLb0EES1U_IbLb1EEEEDaS1Q_S1R_EUlS1Q_E_NS1_11comp_targetILNS1_3genE4ELNS1_11target_archE910ELNS1_3gpuE8ELNS1_3repE0EEENS1_30default_config_static_selectorELNS0_4arch9wavefront6targetE1EEEvS13_
	.p2align	8
	.type	_ZN7rocprim17ROCPRIM_400000_NS6detail17trampoline_kernelINS0_13select_configILj256ELj13ELNS0_17block_load_methodE3ELS4_3ELS4_3ELNS0_20block_scan_algorithmE0ELj4294967295EEENS1_25partition_config_selectorILNS1_17partition_subalgoE4EjNS0_10empty_typeEbEEZZNS1_14partition_implILS8_4ELb0ES6_15HIP_vector_typeIjLj2EENS0_17counting_iteratorIjlEEPS9_SG_NS0_5tupleIJPjSI_NS0_16reverse_iteratorISI_EEEEENSH_IJSG_SG_SG_EEES9_SI_JZNS1_25segmented_radix_sort_implINS0_14default_configELb1EPK12hip_bfloat16PSP_PKlPlN2at6native12_GLOBAL__N_18offset_tEEE10hipError_tPvRmT1_PNSt15iterator_traitsIS13_E10value_typeET2_T3_PNS14_IS19_E10value_typeET4_jRbjT5_S1F_jjP12ihipStream_tbEUljE_ZNSN_ISO_Lb1ESR_SS_SU_SV_SZ_EES10_S11_S12_S13_S17_S18_S19_S1C_S1D_jS1E_jS1F_S1F_jjS1H_bEUljE0_EEES10_S11_S12_S19_S1D_S1F_T6_T7_T9_mT8_S1H_bDpT10_ENKUlT_T0_E_clISt17integral_constantIbLb0EES1U_IbLb1EEEEDaS1Q_S1R_EUlS1Q_E_NS1_11comp_targetILNS1_3genE4ELNS1_11target_archE910ELNS1_3gpuE8ELNS1_3repE0EEENS1_30default_config_static_selectorELNS0_4arch9wavefront6targetE1EEEvS13_,@function
_ZN7rocprim17ROCPRIM_400000_NS6detail17trampoline_kernelINS0_13select_configILj256ELj13ELNS0_17block_load_methodE3ELS4_3ELS4_3ELNS0_20block_scan_algorithmE0ELj4294967295EEENS1_25partition_config_selectorILNS1_17partition_subalgoE4EjNS0_10empty_typeEbEEZZNS1_14partition_implILS8_4ELb0ES6_15HIP_vector_typeIjLj2EENS0_17counting_iteratorIjlEEPS9_SG_NS0_5tupleIJPjSI_NS0_16reverse_iteratorISI_EEEEENSH_IJSG_SG_SG_EEES9_SI_JZNS1_25segmented_radix_sort_implINS0_14default_configELb1EPK12hip_bfloat16PSP_PKlPlN2at6native12_GLOBAL__N_18offset_tEEE10hipError_tPvRmT1_PNSt15iterator_traitsIS13_E10value_typeET2_T3_PNS14_IS19_E10value_typeET4_jRbjT5_S1F_jjP12ihipStream_tbEUljE_ZNSN_ISO_Lb1ESR_SS_SU_SV_SZ_EES10_S11_S12_S13_S17_S18_S19_S1C_S1D_jS1E_jS1F_S1F_jjS1H_bEUljE0_EEES10_S11_S12_S19_S1D_S1F_T6_T7_T9_mT8_S1H_bDpT10_ENKUlT_T0_E_clISt17integral_constantIbLb0EES1U_IbLb1EEEEDaS1Q_S1R_EUlS1Q_E_NS1_11comp_targetILNS1_3genE4ELNS1_11target_archE910ELNS1_3gpuE8ELNS1_3repE0EEENS1_30default_config_static_selectorELNS0_4arch9wavefront6targetE1EEEvS13_: ; @_ZN7rocprim17ROCPRIM_400000_NS6detail17trampoline_kernelINS0_13select_configILj256ELj13ELNS0_17block_load_methodE3ELS4_3ELS4_3ELNS0_20block_scan_algorithmE0ELj4294967295EEENS1_25partition_config_selectorILNS1_17partition_subalgoE4EjNS0_10empty_typeEbEEZZNS1_14partition_implILS8_4ELb0ES6_15HIP_vector_typeIjLj2EENS0_17counting_iteratorIjlEEPS9_SG_NS0_5tupleIJPjSI_NS0_16reverse_iteratorISI_EEEEENSH_IJSG_SG_SG_EEES9_SI_JZNS1_25segmented_radix_sort_implINS0_14default_configELb1EPK12hip_bfloat16PSP_PKlPlN2at6native12_GLOBAL__N_18offset_tEEE10hipError_tPvRmT1_PNSt15iterator_traitsIS13_E10value_typeET2_T3_PNS14_IS19_E10value_typeET4_jRbjT5_S1F_jjP12ihipStream_tbEUljE_ZNSN_ISO_Lb1ESR_SS_SU_SV_SZ_EES10_S11_S12_S13_S17_S18_S19_S1C_S1D_jS1E_jS1F_S1F_jjS1H_bEUljE0_EEES10_S11_S12_S19_S1D_S1F_T6_T7_T9_mT8_S1H_bDpT10_ENKUlT_T0_E_clISt17integral_constantIbLb0EES1U_IbLb1EEEEDaS1Q_S1R_EUlS1Q_E_NS1_11comp_targetILNS1_3genE4ELNS1_11target_archE910ELNS1_3gpuE8ELNS1_3repE0EEENS1_30default_config_static_selectorELNS0_4arch9wavefront6targetE1EEEvS13_
; %bb.0:
	.section	.rodata,"a",@progbits
	.p2align	6, 0x0
	.amdhsa_kernel _ZN7rocprim17ROCPRIM_400000_NS6detail17trampoline_kernelINS0_13select_configILj256ELj13ELNS0_17block_load_methodE3ELS4_3ELS4_3ELNS0_20block_scan_algorithmE0ELj4294967295EEENS1_25partition_config_selectorILNS1_17partition_subalgoE4EjNS0_10empty_typeEbEEZZNS1_14partition_implILS8_4ELb0ES6_15HIP_vector_typeIjLj2EENS0_17counting_iteratorIjlEEPS9_SG_NS0_5tupleIJPjSI_NS0_16reverse_iteratorISI_EEEEENSH_IJSG_SG_SG_EEES9_SI_JZNS1_25segmented_radix_sort_implINS0_14default_configELb1EPK12hip_bfloat16PSP_PKlPlN2at6native12_GLOBAL__N_18offset_tEEE10hipError_tPvRmT1_PNSt15iterator_traitsIS13_E10value_typeET2_T3_PNS14_IS19_E10value_typeET4_jRbjT5_S1F_jjP12ihipStream_tbEUljE_ZNSN_ISO_Lb1ESR_SS_SU_SV_SZ_EES10_S11_S12_S13_S17_S18_S19_S1C_S1D_jS1E_jS1F_S1F_jjS1H_bEUljE0_EEES10_S11_S12_S19_S1D_S1F_T6_T7_T9_mT8_S1H_bDpT10_ENKUlT_T0_E_clISt17integral_constantIbLb0EES1U_IbLb1EEEEDaS1Q_S1R_EUlS1Q_E_NS1_11comp_targetILNS1_3genE4ELNS1_11target_archE910ELNS1_3gpuE8ELNS1_3repE0EEENS1_30default_config_static_selectorELNS0_4arch9wavefront6targetE1EEEvS13_
		.amdhsa_group_segment_fixed_size 0
		.amdhsa_private_segment_fixed_size 0
		.amdhsa_kernarg_size 184
		.amdhsa_user_sgpr_count 6
		.amdhsa_user_sgpr_private_segment_buffer 1
		.amdhsa_user_sgpr_dispatch_ptr 0
		.amdhsa_user_sgpr_queue_ptr 0
		.amdhsa_user_sgpr_kernarg_segment_ptr 1
		.amdhsa_user_sgpr_dispatch_id 0
		.amdhsa_user_sgpr_flat_scratch_init 0
		.amdhsa_user_sgpr_private_segment_size 0
		.amdhsa_uses_dynamic_stack 0
		.amdhsa_system_sgpr_private_segment_wavefront_offset 0
		.amdhsa_system_sgpr_workgroup_id_x 1
		.amdhsa_system_sgpr_workgroup_id_y 0
		.amdhsa_system_sgpr_workgroup_id_z 0
		.amdhsa_system_sgpr_workgroup_info 0
		.amdhsa_system_vgpr_workitem_id 0
		.amdhsa_next_free_vgpr 1
		.amdhsa_next_free_sgpr 0
		.amdhsa_reserve_vcc 0
		.amdhsa_reserve_flat_scratch 0
		.amdhsa_float_round_mode_32 0
		.amdhsa_float_round_mode_16_64 0
		.amdhsa_float_denorm_mode_32 3
		.amdhsa_float_denorm_mode_16_64 3
		.amdhsa_dx10_clamp 1
		.amdhsa_ieee_mode 1
		.amdhsa_fp16_overflow 0
		.amdhsa_exception_fp_ieee_invalid_op 0
		.amdhsa_exception_fp_denorm_src 0
		.amdhsa_exception_fp_ieee_div_zero 0
		.amdhsa_exception_fp_ieee_overflow 0
		.amdhsa_exception_fp_ieee_underflow 0
		.amdhsa_exception_fp_ieee_inexact 0
		.amdhsa_exception_int_div_zero 0
	.end_amdhsa_kernel
	.section	.text._ZN7rocprim17ROCPRIM_400000_NS6detail17trampoline_kernelINS0_13select_configILj256ELj13ELNS0_17block_load_methodE3ELS4_3ELS4_3ELNS0_20block_scan_algorithmE0ELj4294967295EEENS1_25partition_config_selectorILNS1_17partition_subalgoE4EjNS0_10empty_typeEbEEZZNS1_14partition_implILS8_4ELb0ES6_15HIP_vector_typeIjLj2EENS0_17counting_iteratorIjlEEPS9_SG_NS0_5tupleIJPjSI_NS0_16reverse_iteratorISI_EEEEENSH_IJSG_SG_SG_EEES9_SI_JZNS1_25segmented_radix_sort_implINS0_14default_configELb1EPK12hip_bfloat16PSP_PKlPlN2at6native12_GLOBAL__N_18offset_tEEE10hipError_tPvRmT1_PNSt15iterator_traitsIS13_E10value_typeET2_T3_PNS14_IS19_E10value_typeET4_jRbjT5_S1F_jjP12ihipStream_tbEUljE_ZNSN_ISO_Lb1ESR_SS_SU_SV_SZ_EES10_S11_S12_S13_S17_S18_S19_S1C_S1D_jS1E_jS1F_S1F_jjS1H_bEUljE0_EEES10_S11_S12_S19_S1D_S1F_T6_T7_T9_mT8_S1H_bDpT10_ENKUlT_T0_E_clISt17integral_constantIbLb0EES1U_IbLb1EEEEDaS1Q_S1R_EUlS1Q_E_NS1_11comp_targetILNS1_3genE4ELNS1_11target_archE910ELNS1_3gpuE8ELNS1_3repE0EEENS1_30default_config_static_selectorELNS0_4arch9wavefront6targetE1EEEvS13_,"axG",@progbits,_ZN7rocprim17ROCPRIM_400000_NS6detail17trampoline_kernelINS0_13select_configILj256ELj13ELNS0_17block_load_methodE3ELS4_3ELS4_3ELNS0_20block_scan_algorithmE0ELj4294967295EEENS1_25partition_config_selectorILNS1_17partition_subalgoE4EjNS0_10empty_typeEbEEZZNS1_14partition_implILS8_4ELb0ES6_15HIP_vector_typeIjLj2EENS0_17counting_iteratorIjlEEPS9_SG_NS0_5tupleIJPjSI_NS0_16reverse_iteratorISI_EEEEENSH_IJSG_SG_SG_EEES9_SI_JZNS1_25segmented_radix_sort_implINS0_14default_configELb1EPK12hip_bfloat16PSP_PKlPlN2at6native12_GLOBAL__N_18offset_tEEE10hipError_tPvRmT1_PNSt15iterator_traitsIS13_E10value_typeET2_T3_PNS14_IS19_E10value_typeET4_jRbjT5_S1F_jjP12ihipStream_tbEUljE_ZNSN_ISO_Lb1ESR_SS_SU_SV_SZ_EES10_S11_S12_S13_S17_S18_S19_S1C_S1D_jS1E_jS1F_S1F_jjS1H_bEUljE0_EEES10_S11_S12_S19_S1D_S1F_T6_T7_T9_mT8_S1H_bDpT10_ENKUlT_T0_E_clISt17integral_constantIbLb0EES1U_IbLb1EEEEDaS1Q_S1R_EUlS1Q_E_NS1_11comp_targetILNS1_3genE4ELNS1_11target_archE910ELNS1_3gpuE8ELNS1_3repE0EEENS1_30default_config_static_selectorELNS0_4arch9wavefront6targetE1EEEvS13_,comdat
.Lfunc_end1908:
	.size	_ZN7rocprim17ROCPRIM_400000_NS6detail17trampoline_kernelINS0_13select_configILj256ELj13ELNS0_17block_load_methodE3ELS4_3ELS4_3ELNS0_20block_scan_algorithmE0ELj4294967295EEENS1_25partition_config_selectorILNS1_17partition_subalgoE4EjNS0_10empty_typeEbEEZZNS1_14partition_implILS8_4ELb0ES6_15HIP_vector_typeIjLj2EENS0_17counting_iteratorIjlEEPS9_SG_NS0_5tupleIJPjSI_NS0_16reverse_iteratorISI_EEEEENSH_IJSG_SG_SG_EEES9_SI_JZNS1_25segmented_radix_sort_implINS0_14default_configELb1EPK12hip_bfloat16PSP_PKlPlN2at6native12_GLOBAL__N_18offset_tEEE10hipError_tPvRmT1_PNSt15iterator_traitsIS13_E10value_typeET2_T3_PNS14_IS19_E10value_typeET4_jRbjT5_S1F_jjP12ihipStream_tbEUljE_ZNSN_ISO_Lb1ESR_SS_SU_SV_SZ_EES10_S11_S12_S13_S17_S18_S19_S1C_S1D_jS1E_jS1F_S1F_jjS1H_bEUljE0_EEES10_S11_S12_S19_S1D_S1F_T6_T7_T9_mT8_S1H_bDpT10_ENKUlT_T0_E_clISt17integral_constantIbLb0EES1U_IbLb1EEEEDaS1Q_S1R_EUlS1Q_E_NS1_11comp_targetILNS1_3genE4ELNS1_11target_archE910ELNS1_3gpuE8ELNS1_3repE0EEENS1_30default_config_static_selectorELNS0_4arch9wavefront6targetE1EEEvS13_, .Lfunc_end1908-_ZN7rocprim17ROCPRIM_400000_NS6detail17trampoline_kernelINS0_13select_configILj256ELj13ELNS0_17block_load_methodE3ELS4_3ELS4_3ELNS0_20block_scan_algorithmE0ELj4294967295EEENS1_25partition_config_selectorILNS1_17partition_subalgoE4EjNS0_10empty_typeEbEEZZNS1_14partition_implILS8_4ELb0ES6_15HIP_vector_typeIjLj2EENS0_17counting_iteratorIjlEEPS9_SG_NS0_5tupleIJPjSI_NS0_16reverse_iteratorISI_EEEEENSH_IJSG_SG_SG_EEES9_SI_JZNS1_25segmented_radix_sort_implINS0_14default_configELb1EPK12hip_bfloat16PSP_PKlPlN2at6native12_GLOBAL__N_18offset_tEEE10hipError_tPvRmT1_PNSt15iterator_traitsIS13_E10value_typeET2_T3_PNS14_IS19_E10value_typeET4_jRbjT5_S1F_jjP12ihipStream_tbEUljE_ZNSN_ISO_Lb1ESR_SS_SU_SV_SZ_EES10_S11_S12_S13_S17_S18_S19_S1C_S1D_jS1E_jS1F_S1F_jjS1H_bEUljE0_EEES10_S11_S12_S19_S1D_S1F_T6_T7_T9_mT8_S1H_bDpT10_ENKUlT_T0_E_clISt17integral_constantIbLb0EES1U_IbLb1EEEEDaS1Q_S1R_EUlS1Q_E_NS1_11comp_targetILNS1_3genE4ELNS1_11target_archE910ELNS1_3gpuE8ELNS1_3repE0EEENS1_30default_config_static_selectorELNS0_4arch9wavefront6targetE1EEEvS13_
                                        ; -- End function
	.set _ZN7rocprim17ROCPRIM_400000_NS6detail17trampoline_kernelINS0_13select_configILj256ELj13ELNS0_17block_load_methodE3ELS4_3ELS4_3ELNS0_20block_scan_algorithmE0ELj4294967295EEENS1_25partition_config_selectorILNS1_17partition_subalgoE4EjNS0_10empty_typeEbEEZZNS1_14partition_implILS8_4ELb0ES6_15HIP_vector_typeIjLj2EENS0_17counting_iteratorIjlEEPS9_SG_NS0_5tupleIJPjSI_NS0_16reverse_iteratorISI_EEEEENSH_IJSG_SG_SG_EEES9_SI_JZNS1_25segmented_radix_sort_implINS0_14default_configELb1EPK12hip_bfloat16PSP_PKlPlN2at6native12_GLOBAL__N_18offset_tEEE10hipError_tPvRmT1_PNSt15iterator_traitsIS13_E10value_typeET2_T3_PNS14_IS19_E10value_typeET4_jRbjT5_S1F_jjP12ihipStream_tbEUljE_ZNSN_ISO_Lb1ESR_SS_SU_SV_SZ_EES10_S11_S12_S13_S17_S18_S19_S1C_S1D_jS1E_jS1F_S1F_jjS1H_bEUljE0_EEES10_S11_S12_S19_S1D_S1F_T6_T7_T9_mT8_S1H_bDpT10_ENKUlT_T0_E_clISt17integral_constantIbLb0EES1U_IbLb1EEEEDaS1Q_S1R_EUlS1Q_E_NS1_11comp_targetILNS1_3genE4ELNS1_11target_archE910ELNS1_3gpuE8ELNS1_3repE0EEENS1_30default_config_static_selectorELNS0_4arch9wavefront6targetE1EEEvS13_.num_vgpr, 0
	.set _ZN7rocprim17ROCPRIM_400000_NS6detail17trampoline_kernelINS0_13select_configILj256ELj13ELNS0_17block_load_methodE3ELS4_3ELS4_3ELNS0_20block_scan_algorithmE0ELj4294967295EEENS1_25partition_config_selectorILNS1_17partition_subalgoE4EjNS0_10empty_typeEbEEZZNS1_14partition_implILS8_4ELb0ES6_15HIP_vector_typeIjLj2EENS0_17counting_iteratorIjlEEPS9_SG_NS0_5tupleIJPjSI_NS0_16reverse_iteratorISI_EEEEENSH_IJSG_SG_SG_EEES9_SI_JZNS1_25segmented_radix_sort_implINS0_14default_configELb1EPK12hip_bfloat16PSP_PKlPlN2at6native12_GLOBAL__N_18offset_tEEE10hipError_tPvRmT1_PNSt15iterator_traitsIS13_E10value_typeET2_T3_PNS14_IS19_E10value_typeET4_jRbjT5_S1F_jjP12ihipStream_tbEUljE_ZNSN_ISO_Lb1ESR_SS_SU_SV_SZ_EES10_S11_S12_S13_S17_S18_S19_S1C_S1D_jS1E_jS1F_S1F_jjS1H_bEUljE0_EEES10_S11_S12_S19_S1D_S1F_T6_T7_T9_mT8_S1H_bDpT10_ENKUlT_T0_E_clISt17integral_constantIbLb0EES1U_IbLb1EEEEDaS1Q_S1R_EUlS1Q_E_NS1_11comp_targetILNS1_3genE4ELNS1_11target_archE910ELNS1_3gpuE8ELNS1_3repE0EEENS1_30default_config_static_selectorELNS0_4arch9wavefront6targetE1EEEvS13_.num_agpr, 0
	.set _ZN7rocprim17ROCPRIM_400000_NS6detail17trampoline_kernelINS0_13select_configILj256ELj13ELNS0_17block_load_methodE3ELS4_3ELS4_3ELNS0_20block_scan_algorithmE0ELj4294967295EEENS1_25partition_config_selectorILNS1_17partition_subalgoE4EjNS0_10empty_typeEbEEZZNS1_14partition_implILS8_4ELb0ES6_15HIP_vector_typeIjLj2EENS0_17counting_iteratorIjlEEPS9_SG_NS0_5tupleIJPjSI_NS0_16reverse_iteratorISI_EEEEENSH_IJSG_SG_SG_EEES9_SI_JZNS1_25segmented_radix_sort_implINS0_14default_configELb1EPK12hip_bfloat16PSP_PKlPlN2at6native12_GLOBAL__N_18offset_tEEE10hipError_tPvRmT1_PNSt15iterator_traitsIS13_E10value_typeET2_T3_PNS14_IS19_E10value_typeET4_jRbjT5_S1F_jjP12ihipStream_tbEUljE_ZNSN_ISO_Lb1ESR_SS_SU_SV_SZ_EES10_S11_S12_S13_S17_S18_S19_S1C_S1D_jS1E_jS1F_S1F_jjS1H_bEUljE0_EEES10_S11_S12_S19_S1D_S1F_T6_T7_T9_mT8_S1H_bDpT10_ENKUlT_T0_E_clISt17integral_constantIbLb0EES1U_IbLb1EEEEDaS1Q_S1R_EUlS1Q_E_NS1_11comp_targetILNS1_3genE4ELNS1_11target_archE910ELNS1_3gpuE8ELNS1_3repE0EEENS1_30default_config_static_selectorELNS0_4arch9wavefront6targetE1EEEvS13_.numbered_sgpr, 0
	.set _ZN7rocprim17ROCPRIM_400000_NS6detail17trampoline_kernelINS0_13select_configILj256ELj13ELNS0_17block_load_methodE3ELS4_3ELS4_3ELNS0_20block_scan_algorithmE0ELj4294967295EEENS1_25partition_config_selectorILNS1_17partition_subalgoE4EjNS0_10empty_typeEbEEZZNS1_14partition_implILS8_4ELb0ES6_15HIP_vector_typeIjLj2EENS0_17counting_iteratorIjlEEPS9_SG_NS0_5tupleIJPjSI_NS0_16reverse_iteratorISI_EEEEENSH_IJSG_SG_SG_EEES9_SI_JZNS1_25segmented_radix_sort_implINS0_14default_configELb1EPK12hip_bfloat16PSP_PKlPlN2at6native12_GLOBAL__N_18offset_tEEE10hipError_tPvRmT1_PNSt15iterator_traitsIS13_E10value_typeET2_T3_PNS14_IS19_E10value_typeET4_jRbjT5_S1F_jjP12ihipStream_tbEUljE_ZNSN_ISO_Lb1ESR_SS_SU_SV_SZ_EES10_S11_S12_S13_S17_S18_S19_S1C_S1D_jS1E_jS1F_S1F_jjS1H_bEUljE0_EEES10_S11_S12_S19_S1D_S1F_T6_T7_T9_mT8_S1H_bDpT10_ENKUlT_T0_E_clISt17integral_constantIbLb0EES1U_IbLb1EEEEDaS1Q_S1R_EUlS1Q_E_NS1_11comp_targetILNS1_3genE4ELNS1_11target_archE910ELNS1_3gpuE8ELNS1_3repE0EEENS1_30default_config_static_selectorELNS0_4arch9wavefront6targetE1EEEvS13_.num_named_barrier, 0
	.set _ZN7rocprim17ROCPRIM_400000_NS6detail17trampoline_kernelINS0_13select_configILj256ELj13ELNS0_17block_load_methodE3ELS4_3ELS4_3ELNS0_20block_scan_algorithmE0ELj4294967295EEENS1_25partition_config_selectorILNS1_17partition_subalgoE4EjNS0_10empty_typeEbEEZZNS1_14partition_implILS8_4ELb0ES6_15HIP_vector_typeIjLj2EENS0_17counting_iteratorIjlEEPS9_SG_NS0_5tupleIJPjSI_NS0_16reverse_iteratorISI_EEEEENSH_IJSG_SG_SG_EEES9_SI_JZNS1_25segmented_radix_sort_implINS0_14default_configELb1EPK12hip_bfloat16PSP_PKlPlN2at6native12_GLOBAL__N_18offset_tEEE10hipError_tPvRmT1_PNSt15iterator_traitsIS13_E10value_typeET2_T3_PNS14_IS19_E10value_typeET4_jRbjT5_S1F_jjP12ihipStream_tbEUljE_ZNSN_ISO_Lb1ESR_SS_SU_SV_SZ_EES10_S11_S12_S13_S17_S18_S19_S1C_S1D_jS1E_jS1F_S1F_jjS1H_bEUljE0_EEES10_S11_S12_S19_S1D_S1F_T6_T7_T9_mT8_S1H_bDpT10_ENKUlT_T0_E_clISt17integral_constantIbLb0EES1U_IbLb1EEEEDaS1Q_S1R_EUlS1Q_E_NS1_11comp_targetILNS1_3genE4ELNS1_11target_archE910ELNS1_3gpuE8ELNS1_3repE0EEENS1_30default_config_static_selectorELNS0_4arch9wavefront6targetE1EEEvS13_.private_seg_size, 0
	.set _ZN7rocprim17ROCPRIM_400000_NS6detail17trampoline_kernelINS0_13select_configILj256ELj13ELNS0_17block_load_methodE3ELS4_3ELS4_3ELNS0_20block_scan_algorithmE0ELj4294967295EEENS1_25partition_config_selectorILNS1_17partition_subalgoE4EjNS0_10empty_typeEbEEZZNS1_14partition_implILS8_4ELb0ES6_15HIP_vector_typeIjLj2EENS0_17counting_iteratorIjlEEPS9_SG_NS0_5tupleIJPjSI_NS0_16reverse_iteratorISI_EEEEENSH_IJSG_SG_SG_EEES9_SI_JZNS1_25segmented_radix_sort_implINS0_14default_configELb1EPK12hip_bfloat16PSP_PKlPlN2at6native12_GLOBAL__N_18offset_tEEE10hipError_tPvRmT1_PNSt15iterator_traitsIS13_E10value_typeET2_T3_PNS14_IS19_E10value_typeET4_jRbjT5_S1F_jjP12ihipStream_tbEUljE_ZNSN_ISO_Lb1ESR_SS_SU_SV_SZ_EES10_S11_S12_S13_S17_S18_S19_S1C_S1D_jS1E_jS1F_S1F_jjS1H_bEUljE0_EEES10_S11_S12_S19_S1D_S1F_T6_T7_T9_mT8_S1H_bDpT10_ENKUlT_T0_E_clISt17integral_constantIbLb0EES1U_IbLb1EEEEDaS1Q_S1R_EUlS1Q_E_NS1_11comp_targetILNS1_3genE4ELNS1_11target_archE910ELNS1_3gpuE8ELNS1_3repE0EEENS1_30default_config_static_selectorELNS0_4arch9wavefront6targetE1EEEvS13_.uses_vcc, 0
	.set _ZN7rocprim17ROCPRIM_400000_NS6detail17trampoline_kernelINS0_13select_configILj256ELj13ELNS0_17block_load_methodE3ELS4_3ELS4_3ELNS0_20block_scan_algorithmE0ELj4294967295EEENS1_25partition_config_selectorILNS1_17partition_subalgoE4EjNS0_10empty_typeEbEEZZNS1_14partition_implILS8_4ELb0ES6_15HIP_vector_typeIjLj2EENS0_17counting_iteratorIjlEEPS9_SG_NS0_5tupleIJPjSI_NS0_16reverse_iteratorISI_EEEEENSH_IJSG_SG_SG_EEES9_SI_JZNS1_25segmented_radix_sort_implINS0_14default_configELb1EPK12hip_bfloat16PSP_PKlPlN2at6native12_GLOBAL__N_18offset_tEEE10hipError_tPvRmT1_PNSt15iterator_traitsIS13_E10value_typeET2_T3_PNS14_IS19_E10value_typeET4_jRbjT5_S1F_jjP12ihipStream_tbEUljE_ZNSN_ISO_Lb1ESR_SS_SU_SV_SZ_EES10_S11_S12_S13_S17_S18_S19_S1C_S1D_jS1E_jS1F_S1F_jjS1H_bEUljE0_EEES10_S11_S12_S19_S1D_S1F_T6_T7_T9_mT8_S1H_bDpT10_ENKUlT_T0_E_clISt17integral_constantIbLb0EES1U_IbLb1EEEEDaS1Q_S1R_EUlS1Q_E_NS1_11comp_targetILNS1_3genE4ELNS1_11target_archE910ELNS1_3gpuE8ELNS1_3repE0EEENS1_30default_config_static_selectorELNS0_4arch9wavefront6targetE1EEEvS13_.uses_flat_scratch, 0
	.set _ZN7rocprim17ROCPRIM_400000_NS6detail17trampoline_kernelINS0_13select_configILj256ELj13ELNS0_17block_load_methodE3ELS4_3ELS4_3ELNS0_20block_scan_algorithmE0ELj4294967295EEENS1_25partition_config_selectorILNS1_17partition_subalgoE4EjNS0_10empty_typeEbEEZZNS1_14partition_implILS8_4ELb0ES6_15HIP_vector_typeIjLj2EENS0_17counting_iteratorIjlEEPS9_SG_NS0_5tupleIJPjSI_NS0_16reverse_iteratorISI_EEEEENSH_IJSG_SG_SG_EEES9_SI_JZNS1_25segmented_radix_sort_implINS0_14default_configELb1EPK12hip_bfloat16PSP_PKlPlN2at6native12_GLOBAL__N_18offset_tEEE10hipError_tPvRmT1_PNSt15iterator_traitsIS13_E10value_typeET2_T3_PNS14_IS19_E10value_typeET4_jRbjT5_S1F_jjP12ihipStream_tbEUljE_ZNSN_ISO_Lb1ESR_SS_SU_SV_SZ_EES10_S11_S12_S13_S17_S18_S19_S1C_S1D_jS1E_jS1F_S1F_jjS1H_bEUljE0_EEES10_S11_S12_S19_S1D_S1F_T6_T7_T9_mT8_S1H_bDpT10_ENKUlT_T0_E_clISt17integral_constantIbLb0EES1U_IbLb1EEEEDaS1Q_S1R_EUlS1Q_E_NS1_11comp_targetILNS1_3genE4ELNS1_11target_archE910ELNS1_3gpuE8ELNS1_3repE0EEENS1_30default_config_static_selectorELNS0_4arch9wavefront6targetE1EEEvS13_.has_dyn_sized_stack, 0
	.set _ZN7rocprim17ROCPRIM_400000_NS6detail17trampoline_kernelINS0_13select_configILj256ELj13ELNS0_17block_load_methodE3ELS4_3ELS4_3ELNS0_20block_scan_algorithmE0ELj4294967295EEENS1_25partition_config_selectorILNS1_17partition_subalgoE4EjNS0_10empty_typeEbEEZZNS1_14partition_implILS8_4ELb0ES6_15HIP_vector_typeIjLj2EENS0_17counting_iteratorIjlEEPS9_SG_NS0_5tupleIJPjSI_NS0_16reverse_iteratorISI_EEEEENSH_IJSG_SG_SG_EEES9_SI_JZNS1_25segmented_radix_sort_implINS0_14default_configELb1EPK12hip_bfloat16PSP_PKlPlN2at6native12_GLOBAL__N_18offset_tEEE10hipError_tPvRmT1_PNSt15iterator_traitsIS13_E10value_typeET2_T3_PNS14_IS19_E10value_typeET4_jRbjT5_S1F_jjP12ihipStream_tbEUljE_ZNSN_ISO_Lb1ESR_SS_SU_SV_SZ_EES10_S11_S12_S13_S17_S18_S19_S1C_S1D_jS1E_jS1F_S1F_jjS1H_bEUljE0_EEES10_S11_S12_S19_S1D_S1F_T6_T7_T9_mT8_S1H_bDpT10_ENKUlT_T0_E_clISt17integral_constantIbLb0EES1U_IbLb1EEEEDaS1Q_S1R_EUlS1Q_E_NS1_11comp_targetILNS1_3genE4ELNS1_11target_archE910ELNS1_3gpuE8ELNS1_3repE0EEENS1_30default_config_static_selectorELNS0_4arch9wavefront6targetE1EEEvS13_.has_recursion, 0
	.set _ZN7rocprim17ROCPRIM_400000_NS6detail17trampoline_kernelINS0_13select_configILj256ELj13ELNS0_17block_load_methodE3ELS4_3ELS4_3ELNS0_20block_scan_algorithmE0ELj4294967295EEENS1_25partition_config_selectorILNS1_17partition_subalgoE4EjNS0_10empty_typeEbEEZZNS1_14partition_implILS8_4ELb0ES6_15HIP_vector_typeIjLj2EENS0_17counting_iteratorIjlEEPS9_SG_NS0_5tupleIJPjSI_NS0_16reverse_iteratorISI_EEEEENSH_IJSG_SG_SG_EEES9_SI_JZNS1_25segmented_radix_sort_implINS0_14default_configELb1EPK12hip_bfloat16PSP_PKlPlN2at6native12_GLOBAL__N_18offset_tEEE10hipError_tPvRmT1_PNSt15iterator_traitsIS13_E10value_typeET2_T3_PNS14_IS19_E10value_typeET4_jRbjT5_S1F_jjP12ihipStream_tbEUljE_ZNSN_ISO_Lb1ESR_SS_SU_SV_SZ_EES10_S11_S12_S13_S17_S18_S19_S1C_S1D_jS1E_jS1F_S1F_jjS1H_bEUljE0_EEES10_S11_S12_S19_S1D_S1F_T6_T7_T9_mT8_S1H_bDpT10_ENKUlT_T0_E_clISt17integral_constantIbLb0EES1U_IbLb1EEEEDaS1Q_S1R_EUlS1Q_E_NS1_11comp_targetILNS1_3genE4ELNS1_11target_archE910ELNS1_3gpuE8ELNS1_3repE0EEENS1_30default_config_static_selectorELNS0_4arch9wavefront6targetE1EEEvS13_.has_indirect_call, 0
	.section	.AMDGPU.csdata,"",@progbits
; Kernel info:
; codeLenInByte = 0
; TotalNumSgprs: 4
; NumVgprs: 0
; ScratchSize: 0
; MemoryBound: 0
; FloatMode: 240
; IeeeMode: 1
; LDSByteSize: 0 bytes/workgroup (compile time only)
; SGPRBlocks: 0
; VGPRBlocks: 0
; NumSGPRsForWavesPerEU: 4
; NumVGPRsForWavesPerEU: 1
; Occupancy: 10
; WaveLimiterHint : 0
; COMPUTE_PGM_RSRC2:SCRATCH_EN: 0
; COMPUTE_PGM_RSRC2:USER_SGPR: 6
; COMPUTE_PGM_RSRC2:TRAP_HANDLER: 0
; COMPUTE_PGM_RSRC2:TGID_X_EN: 1
; COMPUTE_PGM_RSRC2:TGID_Y_EN: 0
; COMPUTE_PGM_RSRC2:TGID_Z_EN: 0
; COMPUTE_PGM_RSRC2:TIDIG_COMP_CNT: 0
	.section	.text._ZN7rocprim17ROCPRIM_400000_NS6detail17trampoline_kernelINS0_13select_configILj256ELj13ELNS0_17block_load_methodE3ELS4_3ELS4_3ELNS0_20block_scan_algorithmE0ELj4294967295EEENS1_25partition_config_selectorILNS1_17partition_subalgoE4EjNS0_10empty_typeEbEEZZNS1_14partition_implILS8_4ELb0ES6_15HIP_vector_typeIjLj2EENS0_17counting_iteratorIjlEEPS9_SG_NS0_5tupleIJPjSI_NS0_16reverse_iteratorISI_EEEEENSH_IJSG_SG_SG_EEES9_SI_JZNS1_25segmented_radix_sort_implINS0_14default_configELb1EPK12hip_bfloat16PSP_PKlPlN2at6native12_GLOBAL__N_18offset_tEEE10hipError_tPvRmT1_PNSt15iterator_traitsIS13_E10value_typeET2_T3_PNS14_IS19_E10value_typeET4_jRbjT5_S1F_jjP12ihipStream_tbEUljE_ZNSN_ISO_Lb1ESR_SS_SU_SV_SZ_EES10_S11_S12_S13_S17_S18_S19_S1C_S1D_jS1E_jS1F_S1F_jjS1H_bEUljE0_EEES10_S11_S12_S19_S1D_S1F_T6_T7_T9_mT8_S1H_bDpT10_ENKUlT_T0_E_clISt17integral_constantIbLb0EES1U_IbLb1EEEEDaS1Q_S1R_EUlS1Q_E_NS1_11comp_targetILNS1_3genE3ELNS1_11target_archE908ELNS1_3gpuE7ELNS1_3repE0EEENS1_30default_config_static_selectorELNS0_4arch9wavefront6targetE1EEEvS13_,"axG",@progbits,_ZN7rocprim17ROCPRIM_400000_NS6detail17trampoline_kernelINS0_13select_configILj256ELj13ELNS0_17block_load_methodE3ELS4_3ELS4_3ELNS0_20block_scan_algorithmE0ELj4294967295EEENS1_25partition_config_selectorILNS1_17partition_subalgoE4EjNS0_10empty_typeEbEEZZNS1_14partition_implILS8_4ELb0ES6_15HIP_vector_typeIjLj2EENS0_17counting_iteratorIjlEEPS9_SG_NS0_5tupleIJPjSI_NS0_16reverse_iteratorISI_EEEEENSH_IJSG_SG_SG_EEES9_SI_JZNS1_25segmented_radix_sort_implINS0_14default_configELb1EPK12hip_bfloat16PSP_PKlPlN2at6native12_GLOBAL__N_18offset_tEEE10hipError_tPvRmT1_PNSt15iterator_traitsIS13_E10value_typeET2_T3_PNS14_IS19_E10value_typeET4_jRbjT5_S1F_jjP12ihipStream_tbEUljE_ZNSN_ISO_Lb1ESR_SS_SU_SV_SZ_EES10_S11_S12_S13_S17_S18_S19_S1C_S1D_jS1E_jS1F_S1F_jjS1H_bEUljE0_EEES10_S11_S12_S19_S1D_S1F_T6_T7_T9_mT8_S1H_bDpT10_ENKUlT_T0_E_clISt17integral_constantIbLb0EES1U_IbLb1EEEEDaS1Q_S1R_EUlS1Q_E_NS1_11comp_targetILNS1_3genE3ELNS1_11target_archE908ELNS1_3gpuE7ELNS1_3repE0EEENS1_30default_config_static_selectorELNS0_4arch9wavefront6targetE1EEEvS13_,comdat
	.globl	_ZN7rocprim17ROCPRIM_400000_NS6detail17trampoline_kernelINS0_13select_configILj256ELj13ELNS0_17block_load_methodE3ELS4_3ELS4_3ELNS0_20block_scan_algorithmE0ELj4294967295EEENS1_25partition_config_selectorILNS1_17partition_subalgoE4EjNS0_10empty_typeEbEEZZNS1_14partition_implILS8_4ELb0ES6_15HIP_vector_typeIjLj2EENS0_17counting_iteratorIjlEEPS9_SG_NS0_5tupleIJPjSI_NS0_16reverse_iteratorISI_EEEEENSH_IJSG_SG_SG_EEES9_SI_JZNS1_25segmented_radix_sort_implINS0_14default_configELb1EPK12hip_bfloat16PSP_PKlPlN2at6native12_GLOBAL__N_18offset_tEEE10hipError_tPvRmT1_PNSt15iterator_traitsIS13_E10value_typeET2_T3_PNS14_IS19_E10value_typeET4_jRbjT5_S1F_jjP12ihipStream_tbEUljE_ZNSN_ISO_Lb1ESR_SS_SU_SV_SZ_EES10_S11_S12_S13_S17_S18_S19_S1C_S1D_jS1E_jS1F_S1F_jjS1H_bEUljE0_EEES10_S11_S12_S19_S1D_S1F_T6_T7_T9_mT8_S1H_bDpT10_ENKUlT_T0_E_clISt17integral_constantIbLb0EES1U_IbLb1EEEEDaS1Q_S1R_EUlS1Q_E_NS1_11comp_targetILNS1_3genE3ELNS1_11target_archE908ELNS1_3gpuE7ELNS1_3repE0EEENS1_30default_config_static_selectorELNS0_4arch9wavefront6targetE1EEEvS13_ ; -- Begin function _ZN7rocprim17ROCPRIM_400000_NS6detail17trampoline_kernelINS0_13select_configILj256ELj13ELNS0_17block_load_methodE3ELS4_3ELS4_3ELNS0_20block_scan_algorithmE0ELj4294967295EEENS1_25partition_config_selectorILNS1_17partition_subalgoE4EjNS0_10empty_typeEbEEZZNS1_14partition_implILS8_4ELb0ES6_15HIP_vector_typeIjLj2EENS0_17counting_iteratorIjlEEPS9_SG_NS0_5tupleIJPjSI_NS0_16reverse_iteratorISI_EEEEENSH_IJSG_SG_SG_EEES9_SI_JZNS1_25segmented_radix_sort_implINS0_14default_configELb1EPK12hip_bfloat16PSP_PKlPlN2at6native12_GLOBAL__N_18offset_tEEE10hipError_tPvRmT1_PNSt15iterator_traitsIS13_E10value_typeET2_T3_PNS14_IS19_E10value_typeET4_jRbjT5_S1F_jjP12ihipStream_tbEUljE_ZNSN_ISO_Lb1ESR_SS_SU_SV_SZ_EES10_S11_S12_S13_S17_S18_S19_S1C_S1D_jS1E_jS1F_S1F_jjS1H_bEUljE0_EEES10_S11_S12_S19_S1D_S1F_T6_T7_T9_mT8_S1H_bDpT10_ENKUlT_T0_E_clISt17integral_constantIbLb0EES1U_IbLb1EEEEDaS1Q_S1R_EUlS1Q_E_NS1_11comp_targetILNS1_3genE3ELNS1_11target_archE908ELNS1_3gpuE7ELNS1_3repE0EEENS1_30default_config_static_selectorELNS0_4arch9wavefront6targetE1EEEvS13_
	.p2align	8
	.type	_ZN7rocprim17ROCPRIM_400000_NS6detail17trampoline_kernelINS0_13select_configILj256ELj13ELNS0_17block_load_methodE3ELS4_3ELS4_3ELNS0_20block_scan_algorithmE0ELj4294967295EEENS1_25partition_config_selectorILNS1_17partition_subalgoE4EjNS0_10empty_typeEbEEZZNS1_14partition_implILS8_4ELb0ES6_15HIP_vector_typeIjLj2EENS0_17counting_iteratorIjlEEPS9_SG_NS0_5tupleIJPjSI_NS0_16reverse_iteratorISI_EEEEENSH_IJSG_SG_SG_EEES9_SI_JZNS1_25segmented_radix_sort_implINS0_14default_configELb1EPK12hip_bfloat16PSP_PKlPlN2at6native12_GLOBAL__N_18offset_tEEE10hipError_tPvRmT1_PNSt15iterator_traitsIS13_E10value_typeET2_T3_PNS14_IS19_E10value_typeET4_jRbjT5_S1F_jjP12ihipStream_tbEUljE_ZNSN_ISO_Lb1ESR_SS_SU_SV_SZ_EES10_S11_S12_S13_S17_S18_S19_S1C_S1D_jS1E_jS1F_S1F_jjS1H_bEUljE0_EEES10_S11_S12_S19_S1D_S1F_T6_T7_T9_mT8_S1H_bDpT10_ENKUlT_T0_E_clISt17integral_constantIbLb0EES1U_IbLb1EEEEDaS1Q_S1R_EUlS1Q_E_NS1_11comp_targetILNS1_3genE3ELNS1_11target_archE908ELNS1_3gpuE7ELNS1_3repE0EEENS1_30default_config_static_selectorELNS0_4arch9wavefront6targetE1EEEvS13_,@function
_ZN7rocprim17ROCPRIM_400000_NS6detail17trampoline_kernelINS0_13select_configILj256ELj13ELNS0_17block_load_methodE3ELS4_3ELS4_3ELNS0_20block_scan_algorithmE0ELj4294967295EEENS1_25partition_config_selectorILNS1_17partition_subalgoE4EjNS0_10empty_typeEbEEZZNS1_14partition_implILS8_4ELb0ES6_15HIP_vector_typeIjLj2EENS0_17counting_iteratorIjlEEPS9_SG_NS0_5tupleIJPjSI_NS0_16reverse_iteratorISI_EEEEENSH_IJSG_SG_SG_EEES9_SI_JZNS1_25segmented_radix_sort_implINS0_14default_configELb1EPK12hip_bfloat16PSP_PKlPlN2at6native12_GLOBAL__N_18offset_tEEE10hipError_tPvRmT1_PNSt15iterator_traitsIS13_E10value_typeET2_T3_PNS14_IS19_E10value_typeET4_jRbjT5_S1F_jjP12ihipStream_tbEUljE_ZNSN_ISO_Lb1ESR_SS_SU_SV_SZ_EES10_S11_S12_S13_S17_S18_S19_S1C_S1D_jS1E_jS1F_S1F_jjS1H_bEUljE0_EEES10_S11_S12_S19_S1D_S1F_T6_T7_T9_mT8_S1H_bDpT10_ENKUlT_T0_E_clISt17integral_constantIbLb0EES1U_IbLb1EEEEDaS1Q_S1R_EUlS1Q_E_NS1_11comp_targetILNS1_3genE3ELNS1_11target_archE908ELNS1_3gpuE7ELNS1_3repE0EEENS1_30default_config_static_selectorELNS0_4arch9wavefront6targetE1EEEvS13_: ; @_ZN7rocprim17ROCPRIM_400000_NS6detail17trampoline_kernelINS0_13select_configILj256ELj13ELNS0_17block_load_methodE3ELS4_3ELS4_3ELNS0_20block_scan_algorithmE0ELj4294967295EEENS1_25partition_config_selectorILNS1_17partition_subalgoE4EjNS0_10empty_typeEbEEZZNS1_14partition_implILS8_4ELb0ES6_15HIP_vector_typeIjLj2EENS0_17counting_iteratorIjlEEPS9_SG_NS0_5tupleIJPjSI_NS0_16reverse_iteratorISI_EEEEENSH_IJSG_SG_SG_EEES9_SI_JZNS1_25segmented_radix_sort_implINS0_14default_configELb1EPK12hip_bfloat16PSP_PKlPlN2at6native12_GLOBAL__N_18offset_tEEE10hipError_tPvRmT1_PNSt15iterator_traitsIS13_E10value_typeET2_T3_PNS14_IS19_E10value_typeET4_jRbjT5_S1F_jjP12ihipStream_tbEUljE_ZNSN_ISO_Lb1ESR_SS_SU_SV_SZ_EES10_S11_S12_S13_S17_S18_S19_S1C_S1D_jS1E_jS1F_S1F_jjS1H_bEUljE0_EEES10_S11_S12_S19_S1D_S1F_T6_T7_T9_mT8_S1H_bDpT10_ENKUlT_T0_E_clISt17integral_constantIbLb0EES1U_IbLb1EEEEDaS1Q_S1R_EUlS1Q_E_NS1_11comp_targetILNS1_3genE3ELNS1_11target_archE908ELNS1_3gpuE7ELNS1_3repE0EEENS1_30default_config_static_selectorELNS0_4arch9wavefront6targetE1EEEvS13_
; %bb.0:
	.section	.rodata,"a",@progbits
	.p2align	6, 0x0
	.amdhsa_kernel _ZN7rocprim17ROCPRIM_400000_NS6detail17trampoline_kernelINS0_13select_configILj256ELj13ELNS0_17block_load_methodE3ELS4_3ELS4_3ELNS0_20block_scan_algorithmE0ELj4294967295EEENS1_25partition_config_selectorILNS1_17partition_subalgoE4EjNS0_10empty_typeEbEEZZNS1_14partition_implILS8_4ELb0ES6_15HIP_vector_typeIjLj2EENS0_17counting_iteratorIjlEEPS9_SG_NS0_5tupleIJPjSI_NS0_16reverse_iteratorISI_EEEEENSH_IJSG_SG_SG_EEES9_SI_JZNS1_25segmented_radix_sort_implINS0_14default_configELb1EPK12hip_bfloat16PSP_PKlPlN2at6native12_GLOBAL__N_18offset_tEEE10hipError_tPvRmT1_PNSt15iterator_traitsIS13_E10value_typeET2_T3_PNS14_IS19_E10value_typeET4_jRbjT5_S1F_jjP12ihipStream_tbEUljE_ZNSN_ISO_Lb1ESR_SS_SU_SV_SZ_EES10_S11_S12_S13_S17_S18_S19_S1C_S1D_jS1E_jS1F_S1F_jjS1H_bEUljE0_EEES10_S11_S12_S19_S1D_S1F_T6_T7_T9_mT8_S1H_bDpT10_ENKUlT_T0_E_clISt17integral_constantIbLb0EES1U_IbLb1EEEEDaS1Q_S1R_EUlS1Q_E_NS1_11comp_targetILNS1_3genE3ELNS1_11target_archE908ELNS1_3gpuE7ELNS1_3repE0EEENS1_30default_config_static_selectorELNS0_4arch9wavefront6targetE1EEEvS13_
		.amdhsa_group_segment_fixed_size 0
		.amdhsa_private_segment_fixed_size 0
		.amdhsa_kernarg_size 184
		.amdhsa_user_sgpr_count 6
		.amdhsa_user_sgpr_private_segment_buffer 1
		.amdhsa_user_sgpr_dispatch_ptr 0
		.amdhsa_user_sgpr_queue_ptr 0
		.amdhsa_user_sgpr_kernarg_segment_ptr 1
		.amdhsa_user_sgpr_dispatch_id 0
		.amdhsa_user_sgpr_flat_scratch_init 0
		.amdhsa_user_sgpr_private_segment_size 0
		.amdhsa_uses_dynamic_stack 0
		.amdhsa_system_sgpr_private_segment_wavefront_offset 0
		.amdhsa_system_sgpr_workgroup_id_x 1
		.amdhsa_system_sgpr_workgroup_id_y 0
		.amdhsa_system_sgpr_workgroup_id_z 0
		.amdhsa_system_sgpr_workgroup_info 0
		.amdhsa_system_vgpr_workitem_id 0
		.amdhsa_next_free_vgpr 1
		.amdhsa_next_free_sgpr 0
		.amdhsa_reserve_vcc 0
		.amdhsa_reserve_flat_scratch 0
		.amdhsa_float_round_mode_32 0
		.amdhsa_float_round_mode_16_64 0
		.amdhsa_float_denorm_mode_32 3
		.amdhsa_float_denorm_mode_16_64 3
		.amdhsa_dx10_clamp 1
		.amdhsa_ieee_mode 1
		.amdhsa_fp16_overflow 0
		.amdhsa_exception_fp_ieee_invalid_op 0
		.amdhsa_exception_fp_denorm_src 0
		.amdhsa_exception_fp_ieee_div_zero 0
		.amdhsa_exception_fp_ieee_overflow 0
		.amdhsa_exception_fp_ieee_underflow 0
		.amdhsa_exception_fp_ieee_inexact 0
		.amdhsa_exception_int_div_zero 0
	.end_amdhsa_kernel
	.section	.text._ZN7rocprim17ROCPRIM_400000_NS6detail17trampoline_kernelINS0_13select_configILj256ELj13ELNS0_17block_load_methodE3ELS4_3ELS4_3ELNS0_20block_scan_algorithmE0ELj4294967295EEENS1_25partition_config_selectorILNS1_17partition_subalgoE4EjNS0_10empty_typeEbEEZZNS1_14partition_implILS8_4ELb0ES6_15HIP_vector_typeIjLj2EENS0_17counting_iteratorIjlEEPS9_SG_NS0_5tupleIJPjSI_NS0_16reverse_iteratorISI_EEEEENSH_IJSG_SG_SG_EEES9_SI_JZNS1_25segmented_radix_sort_implINS0_14default_configELb1EPK12hip_bfloat16PSP_PKlPlN2at6native12_GLOBAL__N_18offset_tEEE10hipError_tPvRmT1_PNSt15iterator_traitsIS13_E10value_typeET2_T3_PNS14_IS19_E10value_typeET4_jRbjT5_S1F_jjP12ihipStream_tbEUljE_ZNSN_ISO_Lb1ESR_SS_SU_SV_SZ_EES10_S11_S12_S13_S17_S18_S19_S1C_S1D_jS1E_jS1F_S1F_jjS1H_bEUljE0_EEES10_S11_S12_S19_S1D_S1F_T6_T7_T9_mT8_S1H_bDpT10_ENKUlT_T0_E_clISt17integral_constantIbLb0EES1U_IbLb1EEEEDaS1Q_S1R_EUlS1Q_E_NS1_11comp_targetILNS1_3genE3ELNS1_11target_archE908ELNS1_3gpuE7ELNS1_3repE0EEENS1_30default_config_static_selectorELNS0_4arch9wavefront6targetE1EEEvS13_,"axG",@progbits,_ZN7rocprim17ROCPRIM_400000_NS6detail17trampoline_kernelINS0_13select_configILj256ELj13ELNS0_17block_load_methodE3ELS4_3ELS4_3ELNS0_20block_scan_algorithmE0ELj4294967295EEENS1_25partition_config_selectorILNS1_17partition_subalgoE4EjNS0_10empty_typeEbEEZZNS1_14partition_implILS8_4ELb0ES6_15HIP_vector_typeIjLj2EENS0_17counting_iteratorIjlEEPS9_SG_NS0_5tupleIJPjSI_NS0_16reverse_iteratorISI_EEEEENSH_IJSG_SG_SG_EEES9_SI_JZNS1_25segmented_radix_sort_implINS0_14default_configELb1EPK12hip_bfloat16PSP_PKlPlN2at6native12_GLOBAL__N_18offset_tEEE10hipError_tPvRmT1_PNSt15iterator_traitsIS13_E10value_typeET2_T3_PNS14_IS19_E10value_typeET4_jRbjT5_S1F_jjP12ihipStream_tbEUljE_ZNSN_ISO_Lb1ESR_SS_SU_SV_SZ_EES10_S11_S12_S13_S17_S18_S19_S1C_S1D_jS1E_jS1F_S1F_jjS1H_bEUljE0_EEES10_S11_S12_S19_S1D_S1F_T6_T7_T9_mT8_S1H_bDpT10_ENKUlT_T0_E_clISt17integral_constantIbLb0EES1U_IbLb1EEEEDaS1Q_S1R_EUlS1Q_E_NS1_11comp_targetILNS1_3genE3ELNS1_11target_archE908ELNS1_3gpuE7ELNS1_3repE0EEENS1_30default_config_static_selectorELNS0_4arch9wavefront6targetE1EEEvS13_,comdat
.Lfunc_end1909:
	.size	_ZN7rocprim17ROCPRIM_400000_NS6detail17trampoline_kernelINS0_13select_configILj256ELj13ELNS0_17block_load_methodE3ELS4_3ELS4_3ELNS0_20block_scan_algorithmE0ELj4294967295EEENS1_25partition_config_selectorILNS1_17partition_subalgoE4EjNS0_10empty_typeEbEEZZNS1_14partition_implILS8_4ELb0ES6_15HIP_vector_typeIjLj2EENS0_17counting_iteratorIjlEEPS9_SG_NS0_5tupleIJPjSI_NS0_16reverse_iteratorISI_EEEEENSH_IJSG_SG_SG_EEES9_SI_JZNS1_25segmented_radix_sort_implINS0_14default_configELb1EPK12hip_bfloat16PSP_PKlPlN2at6native12_GLOBAL__N_18offset_tEEE10hipError_tPvRmT1_PNSt15iterator_traitsIS13_E10value_typeET2_T3_PNS14_IS19_E10value_typeET4_jRbjT5_S1F_jjP12ihipStream_tbEUljE_ZNSN_ISO_Lb1ESR_SS_SU_SV_SZ_EES10_S11_S12_S13_S17_S18_S19_S1C_S1D_jS1E_jS1F_S1F_jjS1H_bEUljE0_EEES10_S11_S12_S19_S1D_S1F_T6_T7_T9_mT8_S1H_bDpT10_ENKUlT_T0_E_clISt17integral_constantIbLb0EES1U_IbLb1EEEEDaS1Q_S1R_EUlS1Q_E_NS1_11comp_targetILNS1_3genE3ELNS1_11target_archE908ELNS1_3gpuE7ELNS1_3repE0EEENS1_30default_config_static_selectorELNS0_4arch9wavefront6targetE1EEEvS13_, .Lfunc_end1909-_ZN7rocprim17ROCPRIM_400000_NS6detail17trampoline_kernelINS0_13select_configILj256ELj13ELNS0_17block_load_methodE3ELS4_3ELS4_3ELNS0_20block_scan_algorithmE0ELj4294967295EEENS1_25partition_config_selectorILNS1_17partition_subalgoE4EjNS0_10empty_typeEbEEZZNS1_14partition_implILS8_4ELb0ES6_15HIP_vector_typeIjLj2EENS0_17counting_iteratorIjlEEPS9_SG_NS0_5tupleIJPjSI_NS0_16reverse_iteratorISI_EEEEENSH_IJSG_SG_SG_EEES9_SI_JZNS1_25segmented_radix_sort_implINS0_14default_configELb1EPK12hip_bfloat16PSP_PKlPlN2at6native12_GLOBAL__N_18offset_tEEE10hipError_tPvRmT1_PNSt15iterator_traitsIS13_E10value_typeET2_T3_PNS14_IS19_E10value_typeET4_jRbjT5_S1F_jjP12ihipStream_tbEUljE_ZNSN_ISO_Lb1ESR_SS_SU_SV_SZ_EES10_S11_S12_S13_S17_S18_S19_S1C_S1D_jS1E_jS1F_S1F_jjS1H_bEUljE0_EEES10_S11_S12_S19_S1D_S1F_T6_T7_T9_mT8_S1H_bDpT10_ENKUlT_T0_E_clISt17integral_constantIbLb0EES1U_IbLb1EEEEDaS1Q_S1R_EUlS1Q_E_NS1_11comp_targetILNS1_3genE3ELNS1_11target_archE908ELNS1_3gpuE7ELNS1_3repE0EEENS1_30default_config_static_selectorELNS0_4arch9wavefront6targetE1EEEvS13_
                                        ; -- End function
	.set _ZN7rocprim17ROCPRIM_400000_NS6detail17trampoline_kernelINS0_13select_configILj256ELj13ELNS0_17block_load_methodE3ELS4_3ELS4_3ELNS0_20block_scan_algorithmE0ELj4294967295EEENS1_25partition_config_selectorILNS1_17partition_subalgoE4EjNS0_10empty_typeEbEEZZNS1_14partition_implILS8_4ELb0ES6_15HIP_vector_typeIjLj2EENS0_17counting_iteratorIjlEEPS9_SG_NS0_5tupleIJPjSI_NS0_16reverse_iteratorISI_EEEEENSH_IJSG_SG_SG_EEES9_SI_JZNS1_25segmented_radix_sort_implINS0_14default_configELb1EPK12hip_bfloat16PSP_PKlPlN2at6native12_GLOBAL__N_18offset_tEEE10hipError_tPvRmT1_PNSt15iterator_traitsIS13_E10value_typeET2_T3_PNS14_IS19_E10value_typeET4_jRbjT5_S1F_jjP12ihipStream_tbEUljE_ZNSN_ISO_Lb1ESR_SS_SU_SV_SZ_EES10_S11_S12_S13_S17_S18_S19_S1C_S1D_jS1E_jS1F_S1F_jjS1H_bEUljE0_EEES10_S11_S12_S19_S1D_S1F_T6_T7_T9_mT8_S1H_bDpT10_ENKUlT_T0_E_clISt17integral_constantIbLb0EES1U_IbLb1EEEEDaS1Q_S1R_EUlS1Q_E_NS1_11comp_targetILNS1_3genE3ELNS1_11target_archE908ELNS1_3gpuE7ELNS1_3repE0EEENS1_30default_config_static_selectorELNS0_4arch9wavefront6targetE1EEEvS13_.num_vgpr, 0
	.set _ZN7rocprim17ROCPRIM_400000_NS6detail17trampoline_kernelINS0_13select_configILj256ELj13ELNS0_17block_load_methodE3ELS4_3ELS4_3ELNS0_20block_scan_algorithmE0ELj4294967295EEENS1_25partition_config_selectorILNS1_17partition_subalgoE4EjNS0_10empty_typeEbEEZZNS1_14partition_implILS8_4ELb0ES6_15HIP_vector_typeIjLj2EENS0_17counting_iteratorIjlEEPS9_SG_NS0_5tupleIJPjSI_NS0_16reverse_iteratorISI_EEEEENSH_IJSG_SG_SG_EEES9_SI_JZNS1_25segmented_radix_sort_implINS0_14default_configELb1EPK12hip_bfloat16PSP_PKlPlN2at6native12_GLOBAL__N_18offset_tEEE10hipError_tPvRmT1_PNSt15iterator_traitsIS13_E10value_typeET2_T3_PNS14_IS19_E10value_typeET4_jRbjT5_S1F_jjP12ihipStream_tbEUljE_ZNSN_ISO_Lb1ESR_SS_SU_SV_SZ_EES10_S11_S12_S13_S17_S18_S19_S1C_S1D_jS1E_jS1F_S1F_jjS1H_bEUljE0_EEES10_S11_S12_S19_S1D_S1F_T6_T7_T9_mT8_S1H_bDpT10_ENKUlT_T0_E_clISt17integral_constantIbLb0EES1U_IbLb1EEEEDaS1Q_S1R_EUlS1Q_E_NS1_11comp_targetILNS1_3genE3ELNS1_11target_archE908ELNS1_3gpuE7ELNS1_3repE0EEENS1_30default_config_static_selectorELNS0_4arch9wavefront6targetE1EEEvS13_.num_agpr, 0
	.set _ZN7rocprim17ROCPRIM_400000_NS6detail17trampoline_kernelINS0_13select_configILj256ELj13ELNS0_17block_load_methodE3ELS4_3ELS4_3ELNS0_20block_scan_algorithmE0ELj4294967295EEENS1_25partition_config_selectorILNS1_17partition_subalgoE4EjNS0_10empty_typeEbEEZZNS1_14partition_implILS8_4ELb0ES6_15HIP_vector_typeIjLj2EENS0_17counting_iteratorIjlEEPS9_SG_NS0_5tupleIJPjSI_NS0_16reverse_iteratorISI_EEEEENSH_IJSG_SG_SG_EEES9_SI_JZNS1_25segmented_radix_sort_implINS0_14default_configELb1EPK12hip_bfloat16PSP_PKlPlN2at6native12_GLOBAL__N_18offset_tEEE10hipError_tPvRmT1_PNSt15iterator_traitsIS13_E10value_typeET2_T3_PNS14_IS19_E10value_typeET4_jRbjT5_S1F_jjP12ihipStream_tbEUljE_ZNSN_ISO_Lb1ESR_SS_SU_SV_SZ_EES10_S11_S12_S13_S17_S18_S19_S1C_S1D_jS1E_jS1F_S1F_jjS1H_bEUljE0_EEES10_S11_S12_S19_S1D_S1F_T6_T7_T9_mT8_S1H_bDpT10_ENKUlT_T0_E_clISt17integral_constantIbLb0EES1U_IbLb1EEEEDaS1Q_S1R_EUlS1Q_E_NS1_11comp_targetILNS1_3genE3ELNS1_11target_archE908ELNS1_3gpuE7ELNS1_3repE0EEENS1_30default_config_static_selectorELNS0_4arch9wavefront6targetE1EEEvS13_.numbered_sgpr, 0
	.set _ZN7rocprim17ROCPRIM_400000_NS6detail17trampoline_kernelINS0_13select_configILj256ELj13ELNS0_17block_load_methodE3ELS4_3ELS4_3ELNS0_20block_scan_algorithmE0ELj4294967295EEENS1_25partition_config_selectorILNS1_17partition_subalgoE4EjNS0_10empty_typeEbEEZZNS1_14partition_implILS8_4ELb0ES6_15HIP_vector_typeIjLj2EENS0_17counting_iteratorIjlEEPS9_SG_NS0_5tupleIJPjSI_NS0_16reverse_iteratorISI_EEEEENSH_IJSG_SG_SG_EEES9_SI_JZNS1_25segmented_radix_sort_implINS0_14default_configELb1EPK12hip_bfloat16PSP_PKlPlN2at6native12_GLOBAL__N_18offset_tEEE10hipError_tPvRmT1_PNSt15iterator_traitsIS13_E10value_typeET2_T3_PNS14_IS19_E10value_typeET4_jRbjT5_S1F_jjP12ihipStream_tbEUljE_ZNSN_ISO_Lb1ESR_SS_SU_SV_SZ_EES10_S11_S12_S13_S17_S18_S19_S1C_S1D_jS1E_jS1F_S1F_jjS1H_bEUljE0_EEES10_S11_S12_S19_S1D_S1F_T6_T7_T9_mT8_S1H_bDpT10_ENKUlT_T0_E_clISt17integral_constantIbLb0EES1U_IbLb1EEEEDaS1Q_S1R_EUlS1Q_E_NS1_11comp_targetILNS1_3genE3ELNS1_11target_archE908ELNS1_3gpuE7ELNS1_3repE0EEENS1_30default_config_static_selectorELNS0_4arch9wavefront6targetE1EEEvS13_.num_named_barrier, 0
	.set _ZN7rocprim17ROCPRIM_400000_NS6detail17trampoline_kernelINS0_13select_configILj256ELj13ELNS0_17block_load_methodE3ELS4_3ELS4_3ELNS0_20block_scan_algorithmE0ELj4294967295EEENS1_25partition_config_selectorILNS1_17partition_subalgoE4EjNS0_10empty_typeEbEEZZNS1_14partition_implILS8_4ELb0ES6_15HIP_vector_typeIjLj2EENS0_17counting_iteratorIjlEEPS9_SG_NS0_5tupleIJPjSI_NS0_16reverse_iteratorISI_EEEEENSH_IJSG_SG_SG_EEES9_SI_JZNS1_25segmented_radix_sort_implINS0_14default_configELb1EPK12hip_bfloat16PSP_PKlPlN2at6native12_GLOBAL__N_18offset_tEEE10hipError_tPvRmT1_PNSt15iterator_traitsIS13_E10value_typeET2_T3_PNS14_IS19_E10value_typeET4_jRbjT5_S1F_jjP12ihipStream_tbEUljE_ZNSN_ISO_Lb1ESR_SS_SU_SV_SZ_EES10_S11_S12_S13_S17_S18_S19_S1C_S1D_jS1E_jS1F_S1F_jjS1H_bEUljE0_EEES10_S11_S12_S19_S1D_S1F_T6_T7_T9_mT8_S1H_bDpT10_ENKUlT_T0_E_clISt17integral_constantIbLb0EES1U_IbLb1EEEEDaS1Q_S1R_EUlS1Q_E_NS1_11comp_targetILNS1_3genE3ELNS1_11target_archE908ELNS1_3gpuE7ELNS1_3repE0EEENS1_30default_config_static_selectorELNS0_4arch9wavefront6targetE1EEEvS13_.private_seg_size, 0
	.set _ZN7rocprim17ROCPRIM_400000_NS6detail17trampoline_kernelINS0_13select_configILj256ELj13ELNS0_17block_load_methodE3ELS4_3ELS4_3ELNS0_20block_scan_algorithmE0ELj4294967295EEENS1_25partition_config_selectorILNS1_17partition_subalgoE4EjNS0_10empty_typeEbEEZZNS1_14partition_implILS8_4ELb0ES6_15HIP_vector_typeIjLj2EENS0_17counting_iteratorIjlEEPS9_SG_NS0_5tupleIJPjSI_NS0_16reverse_iteratorISI_EEEEENSH_IJSG_SG_SG_EEES9_SI_JZNS1_25segmented_radix_sort_implINS0_14default_configELb1EPK12hip_bfloat16PSP_PKlPlN2at6native12_GLOBAL__N_18offset_tEEE10hipError_tPvRmT1_PNSt15iterator_traitsIS13_E10value_typeET2_T3_PNS14_IS19_E10value_typeET4_jRbjT5_S1F_jjP12ihipStream_tbEUljE_ZNSN_ISO_Lb1ESR_SS_SU_SV_SZ_EES10_S11_S12_S13_S17_S18_S19_S1C_S1D_jS1E_jS1F_S1F_jjS1H_bEUljE0_EEES10_S11_S12_S19_S1D_S1F_T6_T7_T9_mT8_S1H_bDpT10_ENKUlT_T0_E_clISt17integral_constantIbLb0EES1U_IbLb1EEEEDaS1Q_S1R_EUlS1Q_E_NS1_11comp_targetILNS1_3genE3ELNS1_11target_archE908ELNS1_3gpuE7ELNS1_3repE0EEENS1_30default_config_static_selectorELNS0_4arch9wavefront6targetE1EEEvS13_.uses_vcc, 0
	.set _ZN7rocprim17ROCPRIM_400000_NS6detail17trampoline_kernelINS0_13select_configILj256ELj13ELNS0_17block_load_methodE3ELS4_3ELS4_3ELNS0_20block_scan_algorithmE0ELj4294967295EEENS1_25partition_config_selectorILNS1_17partition_subalgoE4EjNS0_10empty_typeEbEEZZNS1_14partition_implILS8_4ELb0ES6_15HIP_vector_typeIjLj2EENS0_17counting_iteratorIjlEEPS9_SG_NS0_5tupleIJPjSI_NS0_16reverse_iteratorISI_EEEEENSH_IJSG_SG_SG_EEES9_SI_JZNS1_25segmented_radix_sort_implINS0_14default_configELb1EPK12hip_bfloat16PSP_PKlPlN2at6native12_GLOBAL__N_18offset_tEEE10hipError_tPvRmT1_PNSt15iterator_traitsIS13_E10value_typeET2_T3_PNS14_IS19_E10value_typeET4_jRbjT5_S1F_jjP12ihipStream_tbEUljE_ZNSN_ISO_Lb1ESR_SS_SU_SV_SZ_EES10_S11_S12_S13_S17_S18_S19_S1C_S1D_jS1E_jS1F_S1F_jjS1H_bEUljE0_EEES10_S11_S12_S19_S1D_S1F_T6_T7_T9_mT8_S1H_bDpT10_ENKUlT_T0_E_clISt17integral_constantIbLb0EES1U_IbLb1EEEEDaS1Q_S1R_EUlS1Q_E_NS1_11comp_targetILNS1_3genE3ELNS1_11target_archE908ELNS1_3gpuE7ELNS1_3repE0EEENS1_30default_config_static_selectorELNS0_4arch9wavefront6targetE1EEEvS13_.uses_flat_scratch, 0
	.set _ZN7rocprim17ROCPRIM_400000_NS6detail17trampoline_kernelINS0_13select_configILj256ELj13ELNS0_17block_load_methodE3ELS4_3ELS4_3ELNS0_20block_scan_algorithmE0ELj4294967295EEENS1_25partition_config_selectorILNS1_17partition_subalgoE4EjNS0_10empty_typeEbEEZZNS1_14partition_implILS8_4ELb0ES6_15HIP_vector_typeIjLj2EENS0_17counting_iteratorIjlEEPS9_SG_NS0_5tupleIJPjSI_NS0_16reverse_iteratorISI_EEEEENSH_IJSG_SG_SG_EEES9_SI_JZNS1_25segmented_radix_sort_implINS0_14default_configELb1EPK12hip_bfloat16PSP_PKlPlN2at6native12_GLOBAL__N_18offset_tEEE10hipError_tPvRmT1_PNSt15iterator_traitsIS13_E10value_typeET2_T3_PNS14_IS19_E10value_typeET4_jRbjT5_S1F_jjP12ihipStream_tbEUljE_ZNSN_ISO_Lb1ESR_SS_SU_SV_SZ_EES10_S11_S12_S13_S17_S18_S19_S1C_S1D_jS1E_jS1F_S1F_jjS1H_bEUljE0_EEES10_S11_S12_S19_S1D_S1F_T6_T7_T9_mT8_S1H_bDpT10_ENKUlT_T0_E_clISt17integral_constantIbLb0EES1U_IbLb1EEEEDaS1Q_S1R_EUlS1Q_E_NS1_11comp_targetILNS1_3genE3ELNS1_11target_archE908ELNS1_3gpuE7ELNS1_3repE0EEENS1_30default_config_static_selectorELNS0_4arch9wavefront6targetE1EEEvS13_.has_dyn_sized_stack, 0
	.set _ZN7rocprim17ROCPRIM_400000_NS6detail17trampoline_kernelINS0_13select_configILj256ELj13ELNS0_17block_load_methodE3ELS4_3ELS4_3ELNS0_20block_scan_algorithmE0ELj4294967295EEENS1_25partition_config_selectorILNS1_17partition_subalgoE4EjNS0_10empty_typeEbEEZZNS1_14partition_implILS8_4ELb0ES6_15HIP_vector_typeIjLj2EENS0_17counting_iteratorIjlEEPS9_SG_NS0_5tupleIJPjSI_NS0_16reverse_iteratorISI_EEEEENSH_IJSG_SG_SG_EEES9_SI_JZNS1_25segmented_radix_sort_implINS0_14default_configELb1EPK12hip_bfloat16PSP_PKlPlN2at6native12_GLOBAL__N_18offset_tEEE10hipError_tPvRmT1_PNSt15iterator_traitsIS13_E10value_typeET2_T3_PNS14_IS19_E10value_typeET4_jRbjT5_S1F_jjP12ihipStream_tbEUljE_ZNSN_ISO_Lb1ESR_SS_SU_SV_SZ_EES10_S11_S12_S13_S17_S18_S19_S1C_S1D_jS1E_jS1F_S1F_jjS1H_bEUljE0_EEES10_S11_S12_S19_S1D_S1F_T6_T7_T9_mT8_S1H_bDpT10_ENKUlT_T0_E_clISt17integral_constantIbLb0EES1U_IbLb1EEEEDaS1Q_S1R_EUlS1Q_E_NS1_11comp_targetILNS1_3genE3ELNS1_11target_archE908ELNS1_3gpuE7ELNS1_3repE0EEENS1_30default_config_static_selectorELNS0_4arch9wavefront6targetE1EEEvS13_.has_recursion, 0
	.set _ZN7rocprim17ROCPRIM_400000_NS6detail17trampoline_kernelINS0_13select_configILj256ELj13ELNS0_17block_load_methodE3ELS4_3ELS4_3ELNS0_20block_scan_algorithmE0ELj4294967295EEENS1_25partition_config_selectorILNS1_17partition_subalgoE4EjNS0_10empty_typeEbEEZZNS1_14partition_implILS8_4ELb0ES6_15HIP_vector_typeIjLj2EENS0_17counting_iteratorIjlEEPS9_SG_NS0_5tupleIJPjSI_NS0_16reverse_iteratorISI_EEEEENSH_IJSG_SG_SG_EEES9_SI_JZNS1_25segmented_radix_sort_implINS0_14default_configELb1EPK12hip_bfloat16PSP_PKlPlN2at6native12_GLOBAL__N_18offset_tEEE10hipError_tPvRmT1_PNSt15iterator_traitsIS13_E10value_typeET2_T3_PNS14_IS19_E10value_typeET4_jRbjT5_S1F_jjP12ihipStream_tbEUljE_ZNSN_ISO_Lb1ESR_SS_SU_SV_SZ_EES10_S11_S12_S13_S17_S18_S19_S1C_S1D_jS1E_jS1F_S1F_jjS1H_bEUljE0_EEES10_S11_S12_S19_S1D_S1F_T6_T7_T9_mT8_S1H_bDpT10_ENKUlT_T0_E_clISt17integral_constantIbLb0EES1U_IbLb1EEEEDaS1Q_S1R_EUlS1Q_E_NS1_11comp_targetILNS1_3genE3ELNS1_11target_archE908ELNS1_3gpuE7ELNS1_3repE0EEENS1_30default_config_static_selectorELNS0_4arch9wavefront6targetE1EEEvS13_.has_indirect_call, 0
	.section	.AMDGPU.csdata,"",@progbits
; Kernel info:
; codeLenInByte = 0
; TotalNumSgprs: 4
; NumVgprs: 0
; ScratchSize: 0
; MemoryBound: 0
; FloatMode: 240
; IeeeMode: 1
; LDSByteSize: 0 bytes/workgroup (compile time only)
; SGPRBlocks: 0
; VGPRBlocks: 0
; NumSGPRsForWavesPerEU: 4
; NumVGPRsForWavesPerEU: 1
; Occupancy: 10
; WaveLimiterHint : 0
; COMPUTE_PGM_RSRC2:SCRATCH_EN: 0
; COMPUTE_PGM_RSRC2:USER_SGPR: 6
; COMPUTE_PGM_RSRC2:TRAP_HANDLER: 0
; COMPUTE_PGM_RSRC2:TGID_X_EN: 1
; COMPUTE_PGM_RSRC2:TGID_Y_EN: 0
; COMPUTE_PGM_RSRC2:TGID_Z_EN: 0
; COMPUTE_PGM_RSRC2:TIDIG_COMP_CNT: 0
	.section	.text._ZN7rocprim17ROCPRIM_400000_NS6detail17trampoline_kernelINS0_13select_configILj256ELj13ELNS0_17block_load_methodE3ELS4_3ELS4_3ELNS0_20block_scan_algorithmE0ELj4294967295EEENS1_25partition_config_selectorILNS1_17partition_subalgoE4EjNS0_10empty_typeEbEEZZNS1_14partition_implILS8_4ELb0ES6_15HIP_vector_typeIjLj2EENS0_17counting_iteratorIjlEEPS9_SG_NS0_5tupleIJPjSI_NS0_16reverse_iteratorISI_EEEEENSH_IJSG_SG_SG_EEES9_SI_JZNS1_25segmented_radix_sort_implINS0_14default_configELb1EPK12hip_bfloat16PSP_PKlPlN2at6native12_GLOBAL__N_18offset_tEEE10hipError_tPvRmT1_PNSt15iterator_traitsIS13_E10value_typeET2_T3_PNS14_IS19_E10value_typeET4_jRbjT5_S1F_jjP12ihipStream_tbEUljE_ZNSN_ISO_Lb1ESR_SS_SU_SV_SZ_EES10_S11_S12_S13_S17_S18_S19_S1C_S1D_jS1E_jS1F_S1F_jjS1H_bEUljE0_EEES10_S11_S12_S19_S1D_S1F_T6_T7_T9_mT8_S1H_bDpT10_ENKUlT_T0_E_clISt17integral_constantIbLb0EES1U_IbLb1EEEEDaS1Q_S1R_EUlS1Q_E_NS1_11comp_targetILNS1_3genE2ELNS1_11target_archE906ELNS1_3gpuE6ELNS1_3repE0EEENS1_30default_config_static_selectorELNS0_4arch9wavefront6targetE1EEEvS13_,"axG",@progbits,_ZN7rocprim17ROCPRIM_400000_NS6detail17trampoline_kernelINS0_13select_configILj256ELj13ELNS0_17block_load_methodE3ELS4_3ELS4_3ELNS0_20block_scan_algorithmE0ELj4294967295EEENS1_25partition_config_selectorILNS1_17partition_subalgoE4EjNS0_10empty_typeEbEEZZNS1_14partition_implILS8_4ELb0ES6_15HIP_vector_typeIjLj2EENS0_17counting_iteratorIjlEEPS9_SG_NS0_5tupleIJPjSI_NS0_16reverse_iteratorISI_EEEEENSH_IJSG_SG_SG_EEES9_SI_JZNS1_25segmented_radix_sort_implINS0_14default_configELb1EPK12hip_bfloat16PSP_PKlPlN2at6native12_GLOBAL__N_18offset_tEEE10hipError_tPvRmT1_PNSt15iterator_traitsIS13_E10value_typeET2_T3_PNS14_IS19_E10value_typeET4_jRbjT5_S1F_jjP12ihipStream_tbEUljE_ZNSN_ISO_Lb1ESR_SS_SU_SV_SZ_EES10_S11_S12_S13_S17_S18_S19_S1C_S1D_jS1E_jS1F_S1F_jjS1H_bEUljE0_EEES10_S11_S12_S19_S1D_S1F_T6_T7_T9_mT8_S1H_bDpT10_ENKUlT_T0_E_clISt17integral_constantIbLb0EES1U_IbLb1EEEEDaS1Q_S1R_EUlS1Q_E_NS1_11comp_targetILNS1_3genE2ELNS1_11target_archE906ELNS1_3gpuE6ELNS1_3repE0EEENS1_30default_config_static_selectorELNS0_4arch9wavefront6targetE1EEEvS13_,comdat
	.globl	_ZN7rocprim17ROCPRIM_400000_NS6detail17trampoline_kernelINS0_13select_configILj256ELj13ELNS0_17block_load_methodE3ELS4_3ELS4_3ELNS0_20block_scan_algorithmE0ELj4294967295EEENS1_25partition_config_selectorILNS1_17partition_subalgoE4EjNS0_10empty_typeEbEEZZNS1_14partition_implILS8_4ELb0ES6_15HIP_vector_typeIjLj2EENS0_17counting_iteratorIjlEEPS9_SG_NS0_5tupleIJPjSI_NS0_16reverse_iteratorISI_EEEEENSH_IJSG_SG_SG_EEES9_SI_JZNS1_25segmented_radix_sort_implINS0_14default_configELb1EPK12hip_bfloat16PSP_PKlPlN2at6native12_GLOBAL__N_18offset_tEEE10hipError_tPvRmT1_PNSt15iterator_traitsIS13_E10value_typeET2_T3_PNS14_IS19_E10value_typeET4_jRbjT5_S1F_jjP12ihipStream_tbEUljE_ZNSN_ISO_Lb1ESR_SS_SU_SV_SZ_EES10_S11_S12_S13_S17_S18_S19_S1C_S1D_jS1E_jS1F_S1F_jjS1H_bEUljE0_EEES10_S11_S12_S19_S1D_S1F_T6_T7_T9_mT8_S1H_bDpT10_ENKUlT_T0_E_clISt17integral_constantIbLb0EES1U_IbLb1EEEEDaS1Q_S1R_EUlS1Q_E_NS1_11comp_targetILNS1_3genE2ELNS1_11target_archE906ELNS1_3gpuE6ELNS1_3repE0EEENS1_30default_config_static_selectorELNS0_4arch9wavefront6targetE1EEEvS13_ ; -- Begin function _ZN7rocprim17ROCPRIM_400000_NS6detail17trampoline_kernelINS0_13select_configILj256ELj13ELNS0_17block_load_methodE3ELS4_3ELS4_3ELNS0_20block_scan_algorithmE0ELj4294967295EEENS1_25partition_config_selectorILNS1_17partition_subalgoE4EjNS0_10empty_typeEbEEZZNS1_14partition_implILS8_4ELb0ES6_15HIP_vector_typeIjLj2EENS0_17counting_iteratorIjlEEPS9_SG_NS0_5tupleIJPjSI_NS0_16reverse_iteratorISI_EEEEENSH_IJSG_SG_SG_EEES9_SI_JZNS1_25segmented_radix_sort_implINS0_14default_configELb1EPK12hip_bfloat16PSP_PKlPlN2at6native12_GLOBAL__N_18offset_tEEE10hipError_tPvRmT1_PNSt15iterator_traitsIS13_E10value_typeET2_T3_PNS14_IS19_E10value_typeET4_jRbjT5_S1F_jjP12ihipStream_tbEUljE_ZNSN_ISO_Lb1ESR_SS_SU_SV_SZ_EES10_S11_S12_S13_S17_S18_S19_S1C_S1D_jS1E_jS1F_S1F_jjS1H_bEUljE0_EEES10_S11_S12_S19_S1D_S1F_T6_T7_T9_mT8_S1H_bDpT10_ENKUlT_T0_E_clISt17integral_constantIbLb0EES1U_IbLb1EEEEDaS1Q_S1R_EUlS1Q_E_NS1_11comp_targetILNS1_3genE2ELNS1_11target_archE906ELNS1_3gpuE6ELNS1_3repE0EEENS1_30default_config_static_selectorELNS0_4arch9wavefront6targetE1EEEvS13_
	.p2align	8
	.type	_ZN7rocprim17ROCPRIM_400000_NS6detail17trampoline_kernelINS0_13select_configILj256ELj13ELNS0_17block_load_methodE3ELS4_3ELS4_3ELNS0_20block_scan_algorithmE0ELj4294967295EEENS1_25partition_config_selectorILNS1_17partition_subalgoE4EjNS0_10empty_typeEbEEZZNS1_14partition_implILS8_4ELb0ES6_15HIP_vector_typeIjLj2EENS0_17counting_iteratorIjlEEPS9_SG_NS0_5tupleIJPjSI_NS0_16reverse_iteratorISI_EEEEENSH_IJSG_SG_SG_EEES9_SI_JZNS1_25segmented_radix_sort_implINS0_14default_configELb1EPK12hip_bfloat16PSP_PKlPlN2at6native12_GLOBAL__N_18offset_tEEE10hipError_tPvRmT1_PNSt15iterator_traitsIS13_E10value_typeET2_T3_PNS14_IS19_E10value_typeET4_jRbjT5_S1F_jjP12ihipStream_tbEUljE_ZNSN_ISO_Lb1ESR_SS_SU_SV_SZ_EES10_S11_S12_S13_S17_S18_S19_S1C_S1D_jS1E_jS1F_S1F_jjS1H_bEUljE0_EEES10_S11_S12_S19_S1D_S1F_T6_T7_T9_mT8_S1H_bDpT10_ENKUlT_T0_E_clISt17integral_constantIbLb0EES1U_IbLb1EEEEDaS1Q_S1R_EUlS1Q_E_NS1_11comp_targetILNS1_3genE2ELNS1_11target_archE906ELNS1_3gpuE6ELNS1_3repE0EEENS1_30default_config_static_selectorELNS0_4arch9wavefront6targetE1EEEvS13_,@function
_ZN7rocprim17ROCPRIM_400000_NS6detail17trampoline_kernelINS0_13select_configILj256ELj13ELNS0_17block_load_methodE3ELS4_3ELS4_3ELNS0_20block_scan_algorithmE0ELj4294967295EEENS1_25partition_config_selectorILNS1_17partition_subalgoE4EjNS0_10empty_typeEbEEZZNS1_14partition_implILS8_4ELb0ES6_15HIP_vector_typeIjLj2EENS0_17counting_iteratorIjlEEPS9_SG_NS0_5tupleIJPjSI_NS0_16reverse_iteratorISI_EEEEENSH_IJSG_SG_SG_EEES9_SI_JZNS1_25segmented_radix_sort_implINS0_14default_configELb1EPK12hip_bfloat16PSP_PKlPlN2at6native12_GLOBAL__N_18offset_tEEE10hipError_tPvRmT1_PNSt15iterator_traitsIS13_E10value_typeET2_T3_PNS14_IS19_E10value_typeET4_jRbjT5_S1F_jjP12ihipStream_tbEUljE_ZNSN_ISO_Lb1ESR_SS_SU_SV_SZ_EES10_S11_S12_S13_S17_S18_S19_S1C_S1D_jS1E_jS1F_S1F_jjS1H_bEUljE0_EEES10_S11_S12_S19_S1D_S1F_T6_T7_T9_mT8_S1H_bDpT10_ENKUlT_T0_E_clISt17integral_constantIbLb0EES1U_IbLb1EEEEDaS1Q_S1R_EUlS1Q_E_NS1_11comp_targetILNS1_3genE2ELNS1_11target_archE906ELNS1_3gpuE6ELNS1_3repE0EEENS1_30default_config_static_selectorELNS0_4arch9wavefront6targetE1EEEvS13_: ; @_ZN7rocprim17ROCPRIM_400000_NS6detail17trampoline_kernelINS0_13select_configILj256ELj13ELNS0_17block_load_methodE3ELS4_3ELS4_3ELNS0_20block_scan_algorithmE0ELj4294967295EEENS1_25partition_config_selectorILNS1_17partition_subalgoE4EjNS0_10empty_typeEbEEZZNS1_14partition_implILS8_4ELb0ES6_15HIP_vector_typeIjLj2EENS0_17counting_iteratorIjlEEPS9_SG_NS0_5tupleIJPjSI_NS0_16reverse_iteratorISI_EEEEENSH_IJSG_SG_SG_EEES9_SI_JZNS1_25segmented_radix_sort_implINS0_14default_configELb1EPK12hip_bfloat16PSP_PKlPlN2at6native12_GLOBAL__N_18offset_tEEE10hipError_tPvRmT1_PNSt15iterator_traitsIS13_E10value_typeET2_T3_PNS14_IS19_E10value_typeET4_jRbjT5_S1F_jjP12ihipStream_tbEUljE_ZNSN_ISO_Lb1ESR_SS_SU_SV_SZ_EES10_S11_S12_S13_S17_S18_S19_S1C_S1D_jS1E_jS1F_S1F_jjS1H_bEUljE0_EEES10_S11_S12_S19_S1D_S1F_T6_T7_T9_mT8_S1H_bDpT10_ENKUlT_T0_E_clISt17integral_constantIbLb0EES1U_IbLb1EEEEDaS1Q_S1R_EUlS1Q_E_NS1_11comp_targetILNS1_3genE2ELNS1_11target_archE906ELNS1_3gpuE6ELNS1_3repE0EEENS1_30default_config_static_selectorELNS0_4arch9wavefront6targetE1EEEvS13_
; %bb.0:
	s_load_dwordx2 s[52:53], s[4:5], 0x10
	s_load_dwordx4 s[48:51], s[4:5], 0x28
	s_load_dwordx2 s[30:31], s[4:5], 0x38
	s_load_dwordx4 s[44:47], s[4:5], 0x58
	s_load_dwordx2 s[6:7], s[4:5], 0x68
	s_load_dwordx2 s[54:55], s[4:5], 0x78
	;; [unrolled: 1-line block ×3, first 2 shown]
	s_load_dwordx8 s[36:43], s[4:5], 0x90
	v_cmp_eq_u32_e64 s[0:1], 0, v0
	s_and_saveexec_b64 s[2:3], s[0:1]
	s_cbranch_execz .LBB1910_4
; %bb.1:
	s_mov_b64 s[10:11], exec
	v_mbcnt_lo_u32_b32 v1, s10, 0
	v_mbcnt_hi_u32_b32 v1, s11, v1
	v_cmp_eq_u32_e32 vcc, 0, v1
                                        ; implicit-def: $vgpr2
	s_and_saveexec_b64 s[8:9], vcc
	s_cbranch_execz .LBB1910_3
; %bb.2:
	s_load_dwordx2 s[12:13], s[4:5], 0x88
	s_bcnt1_i32_b64 s10, s[10:11]
	v_mov_b32_e32 v2, 0
	v_mov_b32_e32 v3, s10
	s_waitcnt lgkmcnt(0)
	global_atomic_add v2, v2, v3, s[12:13] glc
.LBB1910_3:
	s_or_b64 exec, exec, s[8:9]
	s_waitcnt vmcnt(0)
	v_readfirstlane_b32 s8, v2
	v_add_u32_e32 v1, s8, v1
	v_mov_b32_e32 v2, 0
	ds_write_b32 v2, v1
.LBB1910_4:
	s_or_b64 exec, exec, s[2:3]
	v_mov_b32_e32 v1, 0
	s_load_dword s2, s[4:5], 0x8
	s_load_dword s8, s[4:5], 0x80
	s_waitcnt lgkmcnt(0)
	s_barrier
	ds_read_b32 v7, v1
	s_waitcnt lgkmcnt(0)
	s_barrier
	global_load_dwordx4 v[1:4], v1, s[46:47]
	s_add_i32 s9, s2, s52
	s_movk_i32 s2, 0xd00
	s_add_i32 s4, s8, -1
	s_mulk_i32 s8, 0xd00
	v_mul_lo_u32 v33, v7, s2
	s_add_u32 s2, s52, s8
	s_addc_u32 s3, s53, 0
	v_mov_b32_e32 v6, s3
	v_mov_b32_e32 v5, s2
	v_readfirstlane_b32 s33, v7
	v_cmp_gt_u64_e32 vcc, s[6:7], v[5:6]
	s_cmp_eq_u32 s33, s4
	v_cmp_ne_u32_e64 s[2:3], s4, v7
	s_cselect_b64 s[34:35], -1, 0
	s_or_b64 s[4:5], vcc, s[2:3]
	v_add_u32_e32 v5, s9, v33
	s_mov_b64 s[2:3], -1
	s_and_b64 vcc, exec, s[4:5]
	v_add_u32_e32 v5, v5, v0
	s_cbranch_vccz .LBB1910_6
; %bb.5:
	v_add_u32_e32 v6, 0x100, v5
	v_lshlrev_b32_e32 v18, 2, v0
	v_add_u32_e32 v7, 0x200, v5
	v_add_u32_e32 v8, 0x300, v5
	;; [unrolled: 1-line block ×11, first 2 shown]
	ds_write2st64_b32 v18, v5, v6 offset1:4
	ds_write2st64_b32 v18, v7, v8 offset0:8 offset1:12
	ds_write2st64_b32 v18, v9, v10 offset0:16 offset1:20
	;; [unrolled: 1-line block ×5, first 2 shown]
	ds_write_b32 v18, v17 offset:12288
	s_waitcnt vmcnt(0) lgkmcnt(0)
	s_barrier
	s_mov_b64 s[2:3], 0
.LBB1910_6:
	s_andn2_b64 vcc, exec, s[2:3]
	s_add_i32 s8, s8, s52
	s_cbranch_vccnz .LBB1910_8
; %bb.7:
	v_add_u32_e32 v6, 0x100, v5
	v_lshlrev_b32_e32 v18, 2, v0
	v_add_u32_e32 v7, 0x200, v5
	v_add_u32_e32 v8, 0x300, v5
	;; [unrolled: 1-line block ×11, first 2 shown]
	ds_write2st64_b32 v18, v5, v6 offset1:4
	ds_write2st64_b32 v18, v7, v8 offset0:8 offset1:12
	ds_write2st64_b32 v18, v9, v10 offset0:16 offset1:20
	;; [unrolled: 1-line block ×5, first 2 shown]
	ds_write_b32 v18, v17 offset:12288
	s_waitcnt vmcnt(0) lgkmcnt(0)
	s_barrier
.LBB1910_8:
	v_mul_u32_u24_e32 v35, 13, v0
	v_lshlrev_b32_e32 v5, 2, v35
	ds_read_b32 v34, v5 offset:48
	ds_read2_b32 v[13:14], v5 offset0:10 offset1:11
	ds_read2_b32 v[15:16], v5 offset0:8 offset1:9
	;; [unrolled: 1-line block ×4, first 2 shown]
	ds_read2_b32 v[23:24], v5 offset1:1
	ds_read2_b32 v[21:22], v5 offset0:2 offset1:3
	v_cndmask_b32_e64 v5, 0, 1, s[4:5]
	s_sub_i32 s86, s6, s8
	v_cmp_ne_u32_e64 s[2:3], 1, v5
	s_andn2_b64 vcc, exec, s[4:5]
	s_waitcnt vmcnt(0) lgkmcnt(0)
	s_barrier
	s_cbranch_vccnz .LBB1910_36
; %bb.9:
	v_add_u32_e32 v5, s37, v23
	v_add_u32_e32 v6, s39, v23
	v_mul_lo_u32 v5, v5, s36
	v_mul_lo_u32 v6, v6, s38
	s_mov_b64 s[58:59], 0
	s_mov_b64 s[46:47], 0
	v_sub_u32_e32 v5, v5, v6
	v_cmp_lt_u32_e32 vcc, s40, v5
	v_cmp_ge_u32_e64 s[4:5], s40, v5
	s_and_saveexec_b64 s[6:7], s[4:5]
	s_cbranch_execz .LBB1910_11
; %bb.10:
	v_add_u32_e32 v5, s42, v23
	v_add_u32_e32 v6, s56, v23
	v_mul_lo_u32 v5, v5, s41
	v_mul_lo_u32 v6, v6, s43
	v_sub_u32_e32 v5, v5, v6
	v_cmp_lt_u32_e64 s[4:5], s57, v5
	s_and_b64 s[46:47], s[4:5], exec
.LBB1910_11:
	s_or_b64 exec, exec, s[6:7]
	v_add_u32_e32 v5, s37, v24
	v_add_u32_e32 v6, s39, v24
	v_mul_lo_u32 v5, v5, s36
	v_mul_lo_u32 v6, v6, s38
	v_sub_u32_e32 v5, v5, v6
	v_cmp_lt_u32_e64 s[4:5], s40, v5
	v_cmp_ge_u32_e64 s[6:7], s40, v5
	s_and_saveexec_b64 s[8:9], s[6:7]
	s_cbranch_execz .LBB1910_13
; %bb.12:
	v_add_u32_e32 v5, s42, v24
	v_add_u32_e32 v6, s56, v24
	v_mul_lo_u32 v5, v5, s41
	v_mul_lo_u32 v6, v6, s43
	v_sub_u32_e32 v5, v5, v6
	v_cmp_lt_u32_e64 s[6:7], s57, v5
	s_and_b64 s[58:59], s[6:7], exec
.LBB1910_13:
	s_or_b64 exec, exec, s[8:9]
	v_add_u32_e32 v5, s37, v21
	v_add_u32_e32 v6, s39, v21
	v_mul_lo_u32 v5, v5, s36
	v_mul_lo_u32 v6, v6, s38
	s_mov_b64 s[62:63], 0
	s_mov_b64 s[60:61], 0
	v_sub_u32_e32 v5, v5, v6
	v_cmp_lt_u32_e64 s[6:7], s40, v5
	v_cmp_ge_u32_e64 s[8:9], s40, v5
	s_and_saveexec_b64 s[10:11], s[8:9]
	s_cbranch_execz .LBB1910_15
; %bb.14:
	v_add_u32_e32 v5, s42, v21
	v_add_u32_e32 v6, s56, v21
	v_mul_lo_u32 v5, v5, s41
	v_mul_lo_u32 v6, v6, s43
	v_sub_u32_e32 v5, v5, v6
	v_cmp_lt_u32_e64 s[8:9], s57, v5
	s_and_b64 s[60:61], s[8:9], exec
.LBB1910_15:
	s_or_b64 exec, exec, s[10:11]
	v_add_u32_e32 v5, s37, v22
	v_add_u32_e32 v6, s39, v22
	v_mul_lo_u32 v5, v5, s36
	v_mul_lo_u32 v6, v6, s38
	v_sub_u32_e32 v5, v5, v6
	v_cmp_lt_u32_e64 s[8:9], s40, v5
	v_cmp_ge_u32_e64 s[10:11], s40, v5
	s_and_saveexec_b64 s[12:13], s[10:11]
	s_cbranch_execz .LBB1910_17
; %bb.16:
	v_add_u32_e32 v5, s42, v22
	v_add_u32_e32 v6, s56, v22
	v_mul_lo_u32 v5, v5, s41
	v_mul_lo_u32 v6, v6, s43
	v_sub_u32_e32 v5, v5, v6
	v_cmp_lt_u32_e64 s[10:11], s57, v5
	s_and_b64 s[62:63], s[10:11], exec
.LBB1910_17:
	s_or_b64 exec, exec, s[12:13]
	v_add_u32_e32 v5, s37, v19
	v_add_u32_e32 v6, s39, v19
	v_mul_lo_u32 v5, v5, s36
	v_mul_lo_u32 v6, v6, s38
	s_mov_b64 s[66:67], 0
	s_mov_b64 s[64:65], 0
	v_sub_u32_e32 v5, v5, v6
	v_cmp_lt_u32_e64 s[10:11], s40, v5
	;; [unrolled: 40-line block ×6, first 2 shown]
	v_cmp_ge_u32_e64 s[28:29], s40, v5
	s_and_saveexec_b64 s[84:85], s[28:29]
	s_cbranch_execz .LBB1910_35
; %bb.34:
	v_add_u32_e32 v5, s42, v34
	v_add_u32_e32 v6, s56, v34
	v_mul_lo_u32 v5, v5, s41
	v_mul_lo_u32 v6, v6, s43
	v_sub_u32_e32 v5, v5, v6
	v_cmp_lt_u32_e64 s[28:29], s57, v5
	s_and_b64 s[82:83], s[28:29], exec
.LBB1910_35:
	s_or_b64 exec, exec, s[84:85]
	v_cndmask_b32_e64 v6, 0, 1, s[4:5]
	v_cndmask_b32_e64 v5, 0, 1, vcc
	v_cndmask_b32_e64 v8, 0, 1, s[8:9]
	v_lshlrev_b16_e32 v6, 8, v6
	v_cndmask_b32_e64 v7, 0, 1, s[6:7]
	v_or_b32_e32 v5, v5, v6
	v_lshlrev_b16_e32 v6, 8, v8
	v_cndmask_b32_e64 v10, 0, 1, s[12:13]
	v_cndmask_b32_e64 v12, 0, 1, s[16:17]
	v_or_b32_sdwa v6, v7, v6 dst_sel:WORD_1 dst_unused:UNUSED_PAD src0_sel:DWORD src1_sel:DWORD
	v_cndmask_b32_e64 v9, 0, 1, s[10:11]
	v_cndmask_b32_e64 v11, 0, 1, s[14:15]
	v_or_b32_sdwa v36, v5, v6 dst_sel:DWORD dst_unused:UNUSED_PAD src0_sel:WORD_0 src1_sel:DWORD
	v_lshlrev_b16_e32 v5, 8, v10
	v_lshlrev_b16_e32 v6, 8, v12
	v_cndmask_b32_e64 v26, 0, 1, s[20:21]
	v_cndmask_b32_e64 v29, 0, 1, s[24:25]
	v_or_b32_e32 v5, v9, v5
	v_or_b32_sdwa v6, v11, v6 dst_sel:WORD_1 dst_unused:UNUSED_PAD src0_sel:DWORD src1_sel:DWORD
	v_cndmask_b32_e64 v25, 0, 1, s[18:19]
	v_cndmask_b32_e64 v27, 0, 1, s[22:23]
	v_or_b32_sdwa v38, v5, v6 dst_sel:DWORD dst_unused:UNUSED_PAD src0_sel:WORD_0 src1_sel:DWORD
	v_lshlrev_b16_e32 v5, 8, v26
	v_lshlrev_b16_e32 v6, 8, v29
	v_cndmask_b32_e64 v42, 0, 1, s[60:61]
	v_cndmask_b32_e64 v47, 0, 1, s[46:47]
	v_or_b32_e32 v5, v25, v5
	;; [unrolled: 9-line block ×4, first 2 shown]
	v_or_b32_sdwa v6, v39, v6 dst_sel:WORD_1 dst_unused:UNUSED_PAD src0_sel:DWORD src1_sel:DWORD
	v_cndmask_b32_e64 v30, 0, 1, s[74:75]
	v_cndmask_b32_e64 v32, 0, 1, s[70:71]
	v_or_b32_sdwa v37, v5, v6 dst_sel:DWORD dst_unused:UNUSED_PAD src0_sel:WORD_0 src1_sel:DWORD
	v_lshlrev_b16_e32 v5, 8, v31
	v_lshlrev_b16_e32 v6, 8, v28
	v_or_b32_e32 v5, v32, v5
	v_or_b32_sdwa v6, v30, v6 dst_sel:WORD_1 dst_unused:UNUSED_PAD src0_sel:DWORD src1_sel:DWORD
	v_cndmask_b32_e64 v40, 0, 1, s[78:79]
	v_cndmask_b32_e64 v43, 0, 1, s[82:83]
	v_or_b32_sdwa v39, v5, v6 dst_sel:DWORD dst_unused:UNUSED_PAD src0_sel:WORD_0 src1_sel:DWORD
	s_add_i32 s16, s86, 0xd00
	s_and_b64 vcc, exec, s[76:77]
	s_cbranch_vccnz .LBB1910_37
	s_branch .LBB1910_114
.LBB1910_36:
                                        ; implicit-def: $vgpr43
                                        ; implicit-def: $vgpr40
                                        ; implicit-def: $vgpr39
                                        ; implicit-def: $vgpr37
                                        ; implicit-def: $vgpr42
                                        ; implicit-def: $vgpr41
                                        ; implicit-def: $vgpr38
                                        ; implicit-def: $vgpr36
	s_add_i32 s16, s86, 0xd00
	s_cbranch_execz .LBB1910_114
.LBB1910_37:
	v_cmp_gt_u32_e32 vcc, s16, v35
	v_mov_b32_e32 v6, 0
	v_mov_b32_e32 v5, 0
	s_and_saveexec_b64 s[6:7], vcc
	s_cbranch_execz .LBB1910_41
; %bb.38:
	v_add_u32_e32 v5, s37, v23
	v_add_u32_e32 v6, s39, v23
	v_mul_lo_u32 v5, v5, s36
	v_mul_lo_u32 v6, v6, s38
	s_mov_b64 s[10:11], 0
	v_sub_u32_e32 v5, v5, v6
	v_cmp_lt_u32_e32 vcc, s40, v5
	v_cmp_ge_u32_e64 s[4:5], s40, v5
	s_and_saveexec_b64 s[8:9], s[4:5]
	s_cbranch_execz .LBB1910_40
; %bb.39:
	v_add_u32_e32 v5, s42, v23
	v_add_u32_e32 v6, s56, v23
	v_mul_lo_u32 v5, v5, s41
	v_mul_lo_u32 v6, v6, s43
	v_sub_u32_e32 v5, v5, v6
	v_cmp_lt_u32_e64 s[4:5], s57, v5
	s_and_b64 s[10:11], s[4:5], exec
.LBB1910_40:
	s_or_b64 exec, exec, s[8:9]
	v_cndmask_b32_e64 v6, 0, 1, s[10:11]
	v_cndmask_b32_e64 v5, 0, 1, vcc
.LBB1910_41:
	s_or_b64 exec, exec, s[6:7]
	v_lshlrev_b16_e32 v11, 8, v6
	v_add_u32_e32 v6, 1, v35
	v_cmp_le_u32_e32 vcc, s16, v6
	v_lshlrev_b16_e64 v8, 8, 0
                                        ; implicit-def: $vgpr7
                                        ; implicit-def: $vgpr9
                                        ; implicit-def: $vgpr10
                                        ; implicit-def: $vgpr6
                                        ; implicit-def: $vgpr12
	s_and_saveexec_b64 s[4:5], vcc
	s_xor_b64 s[4:5], exec, s[4:5]
; %bb.42:
	v_mov_b32_e32 v6, 8
	v_lshrrev_b32_sdwa v7, v6, v11 dst_sel:BYTE_1 dst_unused:UNUSED_PAD src0_sel:DWORD src1_sel:DWORD
	v_and_b32_e32 v12, 0xff, v5
	v_or_b32_sdwa v5, v11, v7 dst_sel:DWORD dst_unused:UNUSED_PAD src0_sel:BYTE_0 src1_sel:DWORD
	v_mov_b32_e32 v9, 0
	v_lshlrev_b16_e64 v8, 8, 0
	v_lshlrev_b16_e64 v6, 8, 0
	v_and_b32_e32 v10, 0xffff, v5
	v_lshlrev_b16_e64 v7, 8, 0
                                        ; implicit-def: $vgpr5
                                        ; implicit-def: $vgpr11
; %bb.43:
	s_andn2_saveexec_b64 s[6:7], s[4:5]
	s_cbranch_execz .LBB1910_47
; %bb.44:
	v_add_u32_e32 v6, s37, v24
	v_add_u32_e32 v7, s39, v24
	v_mul_lo_u32 v6, v6, s36
	v_mul_lo_u32 v7, v7, s38
	s_mov_b64 s[8:9], 0
	v_sub_u32_e32 v6, v6, v7
	v_cmp_lt_u32_e32 vcc, s40, v6
	v_cmp_ge_u32_e64 s[4:5], s40, v6
	s_and_saveexec_b64 s[10:11], s[4:5]
	s_cbranch_execz .LBB1910_46
; %bb.45:
	v_add_u32_e32 v6, s42, v24
	v_add_u32_e32 v7, s56, v24
	v_mul_lo_u32 v6, v6, s41
	v_mul_lo_u32 v7, v7, s43
	v_sub_u32_e32 v6, v6, v7
	v_cmp_lt_u32_e64 s[4:5], s57, v6
	s_and_b64 s[8:9], s[4:5], exec
.LBB1910_46:
	s_or_b64 exec, exec, s[10:11]
	v_cndmask_b32_e64 v7, 0, 1, vcc
	v_lshlrev_b16_e32 v7, 8, v7
	v_or_b32_sdwa v5, v5, v7 dst_sel:DWORD dst_unused:UNUSED_PAD src0_sel:BYTE_0 src1_sel:DWORD
	v_and_b32_e32 v12, 0xffff, v5
	v_mov_b32_e32 v5, 8
	v_lshrrev_b32_sdwa v5, v5, v11 dst_sel:BYTE_1 dst_unused:UNUSED_PAD src0_sel:DWORD src1_sel:DWORD
	v_or_b32_sdwa v5, v11, v5 dst_sel:DWORD dst_unused:UNUSED_PAD src0_sel:BYTE_0 src1_sel:DWORD
	v_and_b32_e32 v5, 0xffff, v5
	v_cndmask_b32_e64 v7, 0, 1, s[8:9]
	v_mov_b32_e32 v6, 0
	v_mov_b32_e32 v9, 0
	v_lshl_or_b32 v10, v7, 16, v5
	v_lshlrev_b16_e64 v7, 8, 0
.LBB1910_47:
	s_or_b64 exec, exec, s[6:7]
	v_add_u32_e32 v5, 2, v35
	v_cmp_le_u32_e32 vcc, s16, v5
	v_lshrrev_b32_e32 v25, 24, v12
                                        ; implicit-def: $vgpr5
                                        ; implicit-def: $vgpr11
	s_and_saveexec_b64 s[4:5], vcc
	s_xor_b64 s[4:5], exec, s[4:5]
	s_cbranch_execz .LBB1910_49
; %bb.48:
	s_mov_b32 s6, 0x40c0100
	v_perm_b32 v11, v25, v12, s6
	v_mov_b32_e32 v12, 8
	v_lshrrev_b32_sdwa v12, v12, v11 dst_sel:BYTE_1 dst_unused:UNUSED_PAD src0_sel:DWORD src1_sel:DWORD
	v_or_b32_sdwa v12, v11, v12 dst_sel:DWORD dst_unused:UNUSED_PAD src0_sel:BYTE_0 src1_sel:DWORD
	v_and_b32_e32 v12, 0xffff, v12
	s_mov_b32 s6, 0xff000000
	v_and_or_b32 v11, v11, s6, v12
	s_mov_b32 s6, 0x3060504
	v_and_b32_e32 v5, 0xff0000, v10
	v_perm_b32 v8, v8, v8, s6
	s_mov_b32 s6, 0x3020504
	v_perm_b32 v5, v10, v5, s6
                                        ; implicit-def: $vgpr12
                                        ; implicit-def: $vgpr25
                                        ; implicit-def: $vgpr10
.LBB1910_49:
	s_andn2_saveexec_b64 s[6:7], s[4:5]
	s_cbranch_execz .LBB1910_53
; %bb.50:
	v_add_u32_e32 v5, s37, v21
	v_add_u32_e32 v11, s39, v21
	v_mul_lo_u32 v5, v5, s36
	v_mul_lo_u32 v11, v11, s38
	s_mov_b64 s[8:9], 0
	v_sub_u32_e32 v5, v5, v11
	v_cmp_lt_u32_e32 vcc, s40, v5
	v_cmp_ge_u32_e64 s[4:5], s40, v5
	s_and_saveexec_b64 s[10:11], s[4:5]
	s_cbranch_execz .LBB1910_52
; %bb.51:
	v_add_u32_e32 v5, s42, v21
	v_add_u32_e32 v11, s56, v21
	v_mul_lo_u32 v5, v5, s41
	v_mul_lo_u32 v11, v11, s43
	v_sub_u32_e32 v5, v5, v11
	v_cmp_lt_u32_e64 s[4:5], s57, v5
	s_and_b64 s[8:9], s[4:5], exec
.LBB1910_52:
	s_or_b64 exec, exec, s[10:11]
	v_mov_b32_e32 v27, 8
	v_lshrrev_b32_sdwa v11, v27, v12 dst_sel:BYTE_1 dst_unused:UNUSED_PAD src0_sel:DWORD src1_sel:DWORD
	v_cndmask_b32_e64 v5, 0, 1, vcc
	v_or_b32_sdwa v11, v12, v11 dst_sel:DWORD dst_unused:UNUSED_PAD src0_sel:BYTE_0 src1_sel:DWORD
	v_lshlrev_b16_e32 v12, 8, v25
	v_or_b32_sdwa v5, v5, v12 dst_sel:WORD_1 dst_unused:UNUSED_PAD src0_sel:DWORD src1_sel:DWORD
	v_cndmask_b32_e64 v26, 0, 1, s[8:9]
	s_movk_i32 s4, 0xff
	v_or_b32_sdwa v11, v11, v5 dst_sel:DWORD dst_unused:UNUSED_PAD src0_sel:WORD_0 src1_sel:DWORD
	v_lshrrev_b32_sdwa v5, v27, v10 dst_sel:BYTE_1 dst_unused:UNUSED_PAD src0_sel:DWORD src1_sel:DWORD
	v_or_b32_sdwa v5, v10, v5 dst_sel:DWORD dst_unused:UNUSED_PAD src0_sel:BYTE_0 src1_sel:DWORD
	v_lshlrev_b16_e32 v12, 8, v26
	v_and_b32_sdwa v10, v10, s4 dst_sel:DWORD dst_unused:UNUSED_PAD src0_sel:WORD_1 src1_sel:DWORD
	v_or_b32_sdwa v10, v10, v12 dst_sel:WORD_1 dst_unused:UNUSED_PAD src0_sel:DWORD src1_sel:DWORD
	v_or_b32_sdwa v5, v5, v10 dst_sel:DWORD dst_unused:UNUSED_PAD src0_sel:WORD_0 src1_sel:DWORD
.LBB1910_53:
	s_or_b64 exec, exec, s[6:7]
	v_add_u32_e32 v10, 3, v35
	v_cmp_le_u32_e32 vcc, s16, v10
	v_lshrrev_b32_e32 v12, 24, v9
                                        ; implicit-def: $vgpr10
                                        ; implicit-def: $vgpr36
	s_and_saveexec_b64 s[4:5], vcc
	s_xor_b64 s[4:5], exec, s[4:5]
	s_cbranch_execz .LBB1910_55
; %bb.54:
	v_and_b32_e32 v10, 0xff0000, v11
	s_mov_b32 s6, 0x3020504
	s_movk_i32 s7, 0xff
	v_perm_b32 v36, v11, v10, s6
	v_lshlrev_b16_e32 v10, 8, v12
	v_and_b32_sdwa v11, v9, s7 dst_sel:DWORD dst_unused:UNUSED_PAD src0_sel:WORD_1 src1_sel:DWORD
	s_mov_b32 s6, 0x3060504
	v_or_b32_sdwa v10, v11, v10 dst_sel:WORD_1 dst_unused:UNUSED_PAD src0_sel:DWORD src1_sel:DWORD
	v_mov_b32_e32 v11, 8
	v_perm_b32 v8, v8, v8, s6
	v_lshrrev_b32_sdwa v10, v11, v9 dst_sel:BYTE_1 dst_unused:UNUSED_PRESERVE src0_sel:DWORD src1_sel:DWORD
	v_perm_b32 v7, v7, v7, s6
                                        ; implicit-def: $vgpr11
                                        ; implicit-def: $vgpr12
                                        ; implicit-def: $vgpr9
.LBB1910_55:
	s_andn2_saveexec_b64 s[6:7], s[4:5]
	s_cbranch_execz .LBB1910_59
; %bb.56:
	v_add_u32_e32 v10, s37, v22
	v_add_u32_e32 v25, s39, v22
	v_mul_lo_u32 v10, v10, s36
	v_mul_lo_u32 v25, v25, s38
	s_mov_b64 s[8:9], 0
	v_sub_u32_e32 v10, v10, v25
	v_cmp_lt_u32_e32 vcc, s40, v10
	v_cmp_ge_u32_e64 s[4:5], s40, v10
	s_and_saveexec_b64 s[10:11], s[4:5]
	s_cbranch_execz .LBB1910_58
; %bb.57:
	v_add_u32_e32 v10, s42, v22
	v_add_u32_e32 v25, s56, v22
	v_mul_lo_u32 v10, v10, s41
	v_mul_lo_u32 v25, v25, s43
	v_sub_u32_e32 v10, v10, v25
	v_cmp_lt_u32_e64 s[4:5], s57, v10
	s_and_b64 s[8:9], s[4:5], exec
.LBB1910_58:
	s_or_b64 exec, exec, s[10:11]
	v_mov_b32_e32 v26, 8
	v_cndmask_b32_e64 v10, 0, 1, vcc
	s_movk_i32 s4, 0xff
	v_lshrrev_b32_sdwa v27, v26, v11 dst_sel:BYTE_1 dst_unused:UNUSED_PAD src0_sel:DWORD src1_sel:DWORD
	v_or_b32_sdwa v27, v11, v27 dst_sel:DWORD dst_unused:UNUSED_PAD src0_sel:BYTE_0 src1_sel:DWORD
	v_lshlrev_b16_e32 v10, 8, v10
	v_and_b32_sdwa v11, v11, s4 dst_sel:DWORD dst_unused:UNUSED_PAD src0_sel:WORD_1 src1_sel:DWORD
	v_or_b32_sdwa v10, v11, v10 dst_sel:WORD_1 dst_unused:UNUSED_PAD src0_sel:DWORD src1_sel:DWORD
	v_cndmask_b32_e64 v25, 0, 1, s[8:9]
	v_or_b32_sdwa v36, v27, v10 dst_sel:DWORD dst_unused:UNUSED_PAD src0_sel:WORD_0 src1_sel:DWORD
	v_lshlrev_b16_e32 v10, 8, v12
	v_and_b32_sdwa v11, v9, s4 dst_sel:DWORD dst_unused:UNUSED_PAD src0_sel:WORD_1 src1_sel:DWORD
	v_lshrrev_b32_sdwa v9, v26, v9 dst_sel:BYTE_1 dst_unused:UNUSED_PAD src0_sel:DWORD src1_sel:DWORD
	v_or_b32_sdwa v10, v11, v10 dst_sel:WORD_1 dst_unused:UNUSED_PAD src0_sel:DWORD src1_sel:DWORD
	v_or_b32_e32 v9, v25, v9
	v_or_b32_sdwa v10, v9, v10 dst_sel:DWORD dst_unused:UNUSED_PAD src0_sel:WORD_0 src1_sel:DWORD
.LBB1910_59:
	s_or_b64 exec, exec, s[6:7]
	v_add_u32_e32 v9, 4, v35
	v_cmp_le_u32_e32 vcc, s16, v9
	v_lshrrev_b32_e32 v25, 24, v8
	v_lshrrev_b32_e32 v12, 24, v10
                                        ; implicit-def: $vgpr11
                                        ; implicit-def: $vgpr9
	s_and_saveexec_b64 s[4:5], vcc
	s_xor_b64 s[4:5], exec, s[4:5]
	s_cbranch_execz .LBB1910_61
; %bb.60:
	s_movk_i32 s6, 0xff
	v_lshlrev_b16_e32 v9, 8, v25
	v_and_b32_sdwa v25, v8, s6 dst_sel:DWORD dst_unused:UNUSED_PAD src0_sel:WORD_1 src1_sel:DWORD
	v_mov_b32_e32 v11, 8
	v_or_b32_sdwa v9, v25, v9 dst_sel:WORD_1 dst_unused:UNUSED_PAD src0_sel:DWORD src1_sel:DWORD
	v_lshrrev_b32_sdwa v9, v11, v8 dst_sel:BYTE_1 dst_unused:UNUSED_PRESERVE src0_sel:DWORD src1_sel:DWORD
	v_lshlrev_b16_e32 v8, 8, v12
	v_and_b32_sdwa v11, v10, s6 dst_sel:DWORD dst_unused:UNUSED_PAD src0_sel:WORD_1 src1_sel:DWORD
	v_or_b32_e32 v8, v11, v8
	s_mov_b32 s6, 0x5040c00
	v_perm_b32 v11, v8, v10, s6
	s_mov_b32 s6, 0x3060504
	v_perm_b32 v7, v7, v7, s6
                                        ; implicit-def: $vgpr25
                                        ; implicit-def: $vgpr8
                                        ; implicit-def: $vgpr10
                                        ; implicit-def: $vgpr12
.LBB1910_61:
	s_andn2_saveexec_b64 s[6:7], s[4:5]
	s_cbranch_execz .LBB1910_65
; %bb.62:
	v_add_u32_e32 v9, s37, v19
	v_add_u32_e32 v11, s39, v19
	v_mul_lo_u32 v9, v9, s36
	v_mul_lo_u32 v11, v11, s38
	s_mov_b64 s[8:9], 0
	v_sub_u32_e32 v9, v9, v11
	v_cmp_lt_u32_e32 vcc, s40, v9
	v_cmp_ge_u32_e64 s[4:5], s40, v9
	s_and_saveexec_b64 s[10:11], s[4:5]
	s_cbranch_execz .LBB1910_64
; %bb.63:
	v_add_u32_e32 v9, s42, v19
	v_add_u32_e32 v11, s56, v19
	v_mul_lo_u32 v9, v9, s41
	v_mul_lo_u32 v11, v11, s43
	v_sub_u32_e32 v9, v9, v11
	v_cmp_lt_u32_e64 s[4:5], s57, v9
	s_and_b64 s[8:9], s[4:5], exec
.LBB1910_64:
	s_or_b64 exec, exec, s[10:11]
	s_movk_i32 s4, 0xff
	v_lshlrev_b16_e32 v25, 8, v25
	v_and_b32_sdwa v26, v8, s4 dst_sel:DWORD dst_unused:UNUSED_PAD src0_sel:WORD_1 src1_sel:DWORD
	v_or_b32_sdwa v25, v26, v25 dst_sel:WORD_1 dst_unused:UNUSED_PAD src0_sel:DWORD src1_sel:DWORD
	v_mov_b32_e32 v26, 8
	v_cndmask_b32_e64 v9, 0, 1, vcc
	v_lshrrev_b32_sdwa v8, v26, v8 dst_sel:BYTE_1 dst_unused:UNUSED_PAD src0_sel:DWORD src1_sel:DWORD
	v_cndmask_b32_e64 v11, 0, 1, s[8:9]
	v_or_b32_e32 v8, v9, v8
	v_or_b32_sdwa v9, v8, v25 dst_sel:DWORD dst_unused:UNUSED_PAD src0_sel:WORD_0 src1_sel:DWORD
	v_lshlrev_b16_e32 v8, 8, v11
	v_or_b32_sdwa v8, v10, v8 dst_sel:DWORD dst_unused:UNUSED_PAD src0_sel:BYTE_0 src1_sel:DWORD
	v_lshlrev_b16_e32 v11, 8, v12
	v_and_b32_sdwa v10, v10, s4 dst_sel:DWORD dst_unused:UNUSED_PAD src0_sel:WORD_1 src1_sel:DWORD
	v_or_b32_sdwa v10, v10, v11 dst_sel:WORD_1 dst_unused:UNUSED_PAD src0_sel:DWORD src1_sel:DWORD
	v_or_b32_sdwa v11, v8, v10 dst_sel:DWORD dst_unused:UNUSED_PAD src0_sel:WORD_0 src1_sel:DWORD
.LBB1910_65:
	s_or_b64 exec, exec, s[6:7]
	v_add_u32_e32 v8, 5, v35
	v_cmp_le_u32_e32 vcc, s16, v8
	v_lshrrev_b32_e32 v12, 24, v11
	v_lshrrev_b32_e32 v25, 24, v9
                                        ; implicit-def: $vgpr8
                                        ; implicit-def: $vgpr10
	s_and_saveexec_b64 s[4:5], vcc
	s_xor_b64 s[4:5], exec, s[4:5]
	s_cbranch_execz .LBB1910_67
; %bb.66:
	s_mov_b32 s6, 0x40c0100
	v_perm_b32 v8, v12, v11, s6
	s_movk_i32 s6, 0xff
	v_lshlrev_b16_e32 v10, 8, v25
	v_and_b32_sdwa v11, v9, s6 dst_sel:DWORD dst_unused:UNUSED_PAD src0_sel:WORD_1 src1_sel:DWORD
	v_or_b32_e32 v10, v11, v10
	s_mov_b32 s6, 0x5040c00
	v_perm_b32 v10, v10, v9, s6
	v_mov_b32_e32 v9, 8
	v_lshrrev_b32_sdwa v9, v9, v8 dst_sel:BYTE_1 dst_unused:UNUSED_PAD src0_sel:DWORD src1_sel:DWORD
	v_or_b32_sdwa v9, v8, v9 dst_sel:DWORD dst_unused:UNUSED_PAD src0_sel:BYTE_0 src1_sel:DWORD
	v_and_b32_e32 v9, 0xffff, v9
	s_mov_b32 s6, 0xff000000
	v_and_or_b32 v8, v8, s6, v9
	s_mov_b32 s6, 0x3060504
	v_perm_b32 v7, v7, v7, s6
                                        ; implicit-def: $vgpr9
                                        ; implicit-def: $vgpr25
                                        ; implicit-def: $vgpr11
                                        ; implicit-def: $vgpr12
.LBB1910_67:
	s_andn2_saveexec_b64 s[6:7], s[4:5]
	s_cbranch_execz .LBB1910_71
; %bb.68:
	v_add_u32_e32 v8, s37, v20
	v_add_u32_e32 v10, s39, v20
	v_mul_lo_u32 v8, v8, s36
	v_mul_lo_u32 v10, v10, s38
	s_mov_b64 s[8:9], 0
	v_sub_u32_e32 v8, v8, v10
	v_cmp_lt_u32_e32 vcc, s40, v8
	v_cmp_ge_u32_e64 s[4:5], s40, v8
	s_and_saveexec_b64 s[10:11], s[4:5]
	s_cbranch_execz .LBB1910_70
; %bb.69:
	v_add_u32_e32 v8, s42, v20
	v_add_u32_e32 v10, s56, v20
	v_mul_lo_u32 v8, v8, s41
	v_mul_lo_u32 v10, v10, s43
	v_sub_u32_e32 v8, v8, v10
	v_cmp_lt_u32_e64 s[4:5], s57, v8
	s_and_b64 s[8:9], s[4:5], exec
.LBB1910_70:
	s_or_b64 exec, exec, s[10:11]
	v_cndmask_b32_e64 v8, 0, 1, vcc
	v_lshlrev_b16_e32 v8, 8, v8
	s_movk_i32 s4, 0xff
	v_or_b32_sdwa v8, v9, v8 dst_sel:DWORD dst_unused:UNUSED_PAD src0_sel:BYTE_0 src1_sel:DWORD
	v_lshlrev_b16_e32 v10, 8, v25
	v_and_b32_sdwa v9, v9, s4 dst_sel:DWORD dst_unused:UNUSED_PAD src0_sel:WORD_1 src1_sel:DWORD
	v_or_b32_sdwa v9, v9, v10 dst_sel:WORD_1 dst_unused:UNUSED_PAD src0_sel:DWORD src1_sel:DWORD
	v_or_b32_sdwa v10, v8, v9 dst_sel:DWORD dst_unused:UNUSED_PAD src0_sel:WORD_0 src1_sel:DWORD
	v_mov_b32_e32 v8, 8
	v_cndmask_b32_e64 v26, 0, 1, s[8:9]
	v_lshrrev_b32_sdwa v8, v8, v11 dst_sel:BYTE_1 dst_unused:UNUSED_PAD src0_sel:DWORD src1_sel:DWORD
	v_lshlrev_b16_e32 v9, 8, v12
	v_or_b32_sdwa v8, v11, v8 dst_sel:DWORD dst_unused:UNUSED_PAD src0_sel:BYTE_0 src1_sel:DWORD
	v_or_b32_sdwa v9, v26, v9 dst_sel:WORD_1 dst_unused:UNUSED_PAD src0_sel:DWORD src1_sel:DWORD
	v_or_b32_sdwa v8, v8, v9 dst_sel:DWORD dst_unused:UNUSED_PAD src0_sel:WORD_0 src1_sel:DWORD
.LBB1910_71:
	s_or_b64 exec, exec, s[6:7]
	v_add_u32_e32 v9, 6, v35
	v_cmp_le_u32_e32 vcc, s16, v9
	v_lshrrev_b32_e32 v11, 24, v10
                                        ; implicit-def: $vgpr37
                                        ; implicit-def: $vgpr9
	s_and_saveexec_b64 s[4:5], vcc
	s_xor_b64 s[4:5], exec, s[4:5]
	s_cbranch_execz .LBB1910_73
; %bb.72:
	s_mov_b32 s6, 0x40c0100
	v_perm_b32 v9, v11, v10, s6
	v_mov_b32_e32 v10, 8
	v_lshrrev_b32_sdwa v10, v10, v9 dst_sel:BYTE_1 dst_unused:UNUSED_PAD src0_sel:DWORD src1_sel:DWORD
	v_or_b32_sdwa v10, v9, v10 dst_sel:DWORD dst_unused:UNUSED_PAD src0_sel:BYTE_0 src1_sel:DWORD
	v_and_b32_e32 v10, 0xffff, v10
	s_mov_b32 s6, 0xff000000
	v_and_b32_e32 v12, 0xff0000, v8
	v_and_or_b32 v9, v9, s6, v10
	s_mov_b32 s6, 0x3020504
	v_perm_b32 v37, v8, v12, s6
	s_mov_b32 s6, 0x3060504
	v_perm_b32 v7, v7, v7, s6
                                        ; implicit-def: $vgpr10
                                        ; implicit-def: $vgpr11
                                        ; implicit-def: $vgpr8
.LBB1910_73:
	s_andn2_saveexec_b64 s[6:7], s[4:5]
	s_cbranch_execz .LBB1910_77
; %bb.74:
	v_add_u32_e32 v9, s37, v17
	v_add_u32_e32 v12, s39, v17
	v_mul_lo_u32 v9, v9, s36
	v_mul_lo_u32 v12, v12, s38
	s_mov_b64 s[8:9], 0
	v_sub_u32_e32 v9, v9, v12
	v_cmp_lt_u32_e32 vcc, s40, v9
	v_cmp_ge_u32_e64 s[4:5], s40, v9
	s_and_saveexec_b64 s[10:11], s[4:5]
	s_cbranch_execz .LBB1910_76
; %bb.75:
	v_add_u32_e32 v9, s42, v17
	v_add_u32_e32 v12, s56, v17
	v_mul_lo_u32 v9, v9, s41
	v_mul_lo_u32 v12, v12, s43
	v_sub_u32_e32 v9, v9, v12
	v_cmp_lt_u32_e64 s[4:5], s57, v9
	s_and_b64 s[8:9], s[4:5], exec
.LBB1910_76:
	s_or_b64 exec, exec, s[10:11]
	v_mov_b32_e32 v25, 8
	v_cndmask_b32_e64 v9, 0, 1, vcc
	v_lshrrev_b32_sdwa v26, v25, v10 dst_sel:BYTE_1 dst_unused:UNUSED_PAD src0_sel:DWORD src1_sel:DWORD
	v_lshlrev_b16_e32 v11, 8, v11
	v_or_b32_sdwa v10, v10, v26 dst_sel:DWORD dst_unused:UNUSED_PAD src0_sel:BYTE_0 src1_sel:DWORD
	v_or_b32_sdwa v9, v9, v11 dst_sel:WORD_1 dst_unused:UNUSED_PAD src0_sel:DWORD src1_sel:DWORD
	v_cndmask_b32_e64 v12, 0, 1, s[8:9]
	s_movk_i32 s4, 0xff
	v_or_b32_sdwa v9, v10, v9 dst_sel:DWORD dst_unused:UNUSED_PAD src0_sel:WORD_0 src1_sel:DWORD
	v_lshrrev_b32_sdwa v10, v25, v8 dst_sel:BYTE_1 dst_unused:UNUSED_PAD src0_sel:DWORD src1_sel:DWORD
	v_or_b32_sdwa v10, v8, v10 dst_sel:DWORD dst_unused:UNUSED_PAD src0_sel:BYTE_0 src1_sel:DWORD
	v_lshlrev_b16_e32 v11, 8, v12
	v_and_b32_sdwa v8, v8, s4 dst_sel:DWORD dst_unused:UNUSED_PAD src0_sel:WORD_1 src1_sel:DWORD
	v_or_b32_sdwa v8, v8, v11 dst_sel:WORD_1 dst_unused:UNUSED_PAD src0_sel:DWORD src1_sel:DWORD
	v_or_b32_sdwa v37, v10, v8 dst_sel:DWORD dst_unused:UNUSED_PAD src0_sel:WORD_0 src1_sel:DWORD
.LBB1910_77:
	s_or_b64 exec, exec, s[6:7]
	v_add_u32_e32 v8, 7, v35
	v_cmp_le_u32_e32 vcc, s16, v8
	v_lshrrev_b32_e32 v10, 24, v7
                                        ; implicit-def: $vgpr8
                                        ; implicit-def: $vgpr38
	s_and_saveexec_b64 s[4:5], vcc
	s_xor_b64 s[4:5], exec, s[4:5]
; %bb.78:
	v_and_b32_e32 v8, 0xff0000, v9
	s_mov_b32 s6, 0x3020504
	v_perm_b32 v38, v9, v8, s6
	s_movk_i32 s6, 0xff
	v_lshlrev_b16_e32 v8, 8, v10
	v_and_b32_sdwa v9, v7, s6 dst_sel:DWORD dst_unused:UNUSED_PAD src0_sel:WORD_1 src1_sel:DWORD
	v_mov_b32_e32 v11, 8
	v_or_b32_sdwa v8, v9, v8 dst_sel:WORD_1 dst_unused:UNUSED_PAD src0_sel:DWORD src1_sel:DWORD
	v_lshrrev_b32_sdwa v8, v11, v7 dst_sel:BYTE_1 dst_unused:UNUSED_PRESERVE src0_sel:DWORD src1_sel:DWORD
                                        ; implicit-def: $vgpr9
                                        ; implicit-def: $vgpr10
                                        ; implicit-def: $vgpr7
; %bb.79:
	s_andn2_saveexec_b64 s[6:7], s[4:5]
	s_cbranch_execz .LBB1910_83
; %bb.80:
	v_add_u32_e32 v8, s37, v18
	v_add_u32_e32 v11, s39, v18
	v_mul_lo_u32 v8, v8, s36
	v_mul_lo_u32 v11, v11, s38
	s_mov_b64 s[8:9], 0
	v_sub_u32_e32 v8, v8, v11
	v_cmp_lt_u32_e32 vcc, s40, v8
	v_cmp_ge_u32_e64 s[4:5], s40, v8
	s_and_saveexec_b64 s[10:11], s[4:5]
	s_cbranch_execz .LBB1910_82
; %bb.81:
	v_add_u32_e32 v8, s42, v18
	v_add_u32_e32 v11, s56, v18
	v_mul_lo_u32 v8, v8, s41
	v_mul_lo_u32 v11, v11, s43
	v_sub_u32_e32 v8, v8, v11
	v_cmp_lt_u32_e64 s[4:5], s57, v8
	s_and_b64 s[8:9], s[4:5], exec
.LBB1910_82:
	s_or_b64 exec, exec, s[10:11]
	v_mov_b32_e32 v12, 8
	v_cndmask_b32_e64 v8, 0, 1, vcc
	s_movk_i32 s4, 0xff
	v_lshrrev_b32_sdwa v25, v12, v9 dst_sel:BYTE_1 dst_unused:UNUSED_PAD src0_sel:DWORD src1_sel:DWORD
	v_or_b32_sdwa v25, v9, v25 dst_sel:DWORD dst_unused:UNUSED_PAD src0_sel:BYTE_0 src1_sel:DWORD
	v_lshlrev_b16_e32 v8, 8, v8
	v_and_b32_sdwa v9, v9, s4 dst_sel:DWORD dst_unused:UNUSED_PAD src0_sel:WORD_1 src1_sel:DWORD
	v_or_b32_sdwa v8, v9, v8 dst_sel:WORD_1 dst_unused:UNUSED_PAD src0_sel:DWORD src1_sel:DWORD
	v_cndmask_b32_e64 v11, 0, 1, s[8:9]
	v_or_b32_sdwa v38, v25, v8 dst_sel:DWORD dst_unused:UNUSED_PAD src0_sel:WORD_0 src1_sel:DWORD
	v_lshlrev_b16_e32 v8, 8, v10
	v_and_b32_sdwa v9, v7, s4 dst_sel:DWORD dst_unused:UNUSED_PAD src0_sel:WORD_1 src1_sel:DWORD
	v_lshrrev_b32_sdwa v7, v12, v7 dst_sel:BYTE_1 dst_unused:UNUSED_PAD src0_sel:DWORD src1_sel:DWORD
	v_or_b32_sdwa v8, v9, v8 dst_sel:WORD_1 dst_unused:UNUSED_PAD src0_sel:DWORD src1_sel:DWORD
	v_or_b32_e32 v7, v11, v7
	v_or_b32_sdwa v8, v7, v8 dst_sel:DWORD dst_unused:UNUSED_PAD src0_sel:WORD_0 src1_sel:DWORD
.LBB1910_83:
	s_or_b64 exec, exec, s[6:7]
	v_add_u32_e32 v7, 8, v35
	v_cmp_le_u32_e32 vcc, s16, v7
	v_lshrrev_b32_e32 v10, 24, v8
	v_lshrrev_b32_e32 v11, 24, v6
                                        ; implicit-def: $vgpr9
                                        ; implicit-def: $vgpr7
	s_and_saveexec_b64 s[4:5], vcc
	s_xor_b64 s[4:5], exec, s[4:5]
	s_cbranch_execz .LBB1910_85
; %bb.84:
	s_movk_i32 s6, 0xff
	v_lshlrev_b16_e32 v7, 8, v11
	v_and_b32_sdwa v9, v6, s6 dst_sel:DWORD dst_unused:UNUSED_PAD src0_sel:WORD_1 src1_sel:DWORD
	v_or_b32_sdwa v7, v9, v7 dst_sel:WORD_1 dst_unused:UNUSED_PAD src0_sel:DWORD src1_sel:DWORD
	v_mov_b32_e32 v9, 8
	v_lshrrev_b32_sdwa v7, v9, v6 dst_sel:BYTE_1 dst_unused:UNUSED_PRESERVE src0_sel:DWORD src1_sel:DWORD
	v_lshlrev_b16_e32 v6, 8, v10
	v_and_b32_sdwa v9, v8, s6 dst_sel:DWORD dst_unused:UNUSED_PAD src0_sel:WORD_1 src1_sel:DWORD
	s_mov_b32 s7, 0x3060504
	v_or_b32_e32 v6, v9, v6
	s_mov_b32 s6, 0x5040c00
	v_perm_b32 v5, v5, v5, s7
	v_perm_b32 v9, v6, v8, s6
                                        ; implicit-def: $vgpr11
                                        ; implicit-def: $vgpr6
                                        ; implicit-def: $vgpr8
                                        ; implicit-def: $vgpr10
.LBB1910_85:
	s_andn2_saveexec_b64 s[6:7], s[4:5]
	s_cbranch_execz .LBB1910_89
; %bb.86:
	v_add_u32_e32 v7, s37, v15
	v_add_u32_e32 v9, s39, v15
	v_mul_lo_u32 v7, v7, s36
	v_mul_lo_u32 v9, v9, s38
	s_mov_b64 s[8:9], 0
	v_sub_u32_e32 v7, v7, v9
	v_cmp_lt_u32_e32 vcc, s40, v7
	v_cmp_ge_u32_e64 s[4:5], s40, v7
	s_and_saveexec_b64 s[10:11], s[4:5]
	s_cbranch_execz .LBB1910_88
; %bb.87:
	v_add_u32_e32 v7, s42, v15
	v_add_u32_e32 v9, s56, v15
	v_mul_lo_u32 v7, v7, s41
	v_mul_lo_u32 v9, v9, s43
	v_sub_u32_e32 v7, v7, v9
	v_cmp_lt_u32_e64 s[4:5], s57, v7
	s_and_b64 s[8:9], s[4:5], exec
.LBB1910_88:
	s_or_b64 exec, exec, s[10:11]
	s_movk_i32 s4, 0xff
	v_lshlrev_b16_e32 v11, 8, v11
	v_and_b32_sdwa v12, v6, s4 dst_sel:DWORD dst_unused:UNUSED_PAD src0_sel:WORD_1 src1_sel:DWORD
	v_or_b32_sdwa v11, v12, v11 dst_sel:WORD_1 dst_unused:UNUSED_PAD src0_sel:DWORD src1_sel:DWORD
	v_mov_b32_e32 v12, 8
	v_cndmask_b32_e64 v7, 0, 1, vcc
	v_lshrrev_b32_sdwa v6, v12, v6 dst_sel:BYTE_1 dst_unused:UNUSED_PAD src0_sel:DWORD src1_sel:DWORD
	v_cndmask_b32_e64 v9, 0, 1, s[8:9]
	v_or_b32_e32 v6, v7, v6
	v_or_b32_sdwa v7, v6, v11 dst_sel:DWORD dst_unused:UNUSED_PAD src0_sel:WORD_0 src1_sel:DWORD
	v_lshlrev_b16_e32 v6, 8, v9
	v_or_b32_sdwa v6, v8, v6 dst_sel:DWORD dst_unused:UNUSED_PAD src0_sel:BYTE_0 src1_sel:DWORD
	v_lshlrev_b16_e32 v9, 8, v10
	v_and_b32_sdwa v8, v8, s4 dst_sel:DWORD dst_unused:UNUSED_PAD src0_sel:WORD_1 src1_sel:DWORD
	v_or_b32_sdwa v8, v8, v9 dst_sel:WORD_1 dst_unused:UNUSED_PAD src0_sel:DWORD src1_sel:DWORD
	v_or_b32_sdwa v9, v6, v8 dst_sel:DWORD dst_unused:UNUSED_PAD src0_sel:WORD_0 src1_sel:DWORD
.LBB1910_89:
	s_or_b64 exec, exec, s[6:7]
	v_add_u32_e32 v6, 9, v35
	v_cmp_le_u32_e32 vcc, s16, v6
	v_lshrrev_b32_e32 v10, 24, v9
	v_lshrrev_b32_e32 v11, 24, v7
                                        ; implicit-def: $vgpr6
                                        ; implicit-def: $vgpr8
	s_and_saveexec_b64 s[4:5], vcc
	s_xor_b64 s[4:5], exec, s[4:5]
	s_cbranch_execz .LBB1910_91
; %bb.90:
	s_mov_b32 s6, 0x40c0100
	v_perm_b32 v6, v10, v9, s6
	v_mov_b32_e32 v8, 8
	s_movk_i32 s6, 0xff
	v_lshrrev_b32_sdwa v9, v8, v6 dst_sel:BYTE_1 dst_unused:UNUSED_PAD src0_sel:DWORD src1_sel:DWORD
	v_lshlrev_b16_e32 v8, 8, v11
	v_and_b32_sdwa v10, v7, s6 dst_sel:DWORD dst_unused:UNUSED_PAD src0_sel:WORD_1 src1_sel:DWORD
	v_or_b32_e32 v8, v10, v8
	s_mov_b32 s6, 0x5040c00
	v_perm_b32 v8, v8, v7, s6
	s_mov_b32 s6, 0x3060504
	v_or_b32_sdwa v7, v6, v9 dst_sel:DWORD dst_unused:UNUSED_PAD src0_sel:BYTE_0 src1_sel:DWORD
	v_perm_b32 v5, v5, v5, s6
	v_and_b32_e32 v7, 0xffff, v7
	s_mov_b32 s6, 0xff000000
	v_and_or_b32 v6, v6, s6, v7
                                        ; implicit-def: $vgpr7
                                        ; implicit-def: $vgpr11
                                        ; implicit-def: $vgpr9
                                        ; implicit-def: $vgpr10
.LBB1910_91:
	s_andn2_saveexec_b64 s[6:7], s[4:5]
	s_cbranch_execz .LBB1910_95
; %bb.92:
	v_add_u32_e32 v6, s37, v16
	v_add_u32_e32 v8, s39, v16
	v_mul_lo_u32 v6, v6, s36
	v_mul_lo_u32 v8, v8, s38
	s_mov_b64 s[8:9], 0
	v_sub_u32_e32 v6, v6, v8
	v_cmp_lt_u32_e32 vcc, s40, v6
	v_cmp_ge_u32_e64 s[4:5], s40, v6
	s_and_saveexec_b64 s[10:11], s[4:5]
	s_cbranch_execz .LBB1910_94
; %bb.93:
	v_add_u32_e32 v6, s42, v16
	v_add_u32_e32 v8, s56, v16
	v_mul_lo_u32 v6, v6, s41
	v_mul_lo_u32 v8, v8, s43
	v_sub_u32_e32 v6, v6, v8
	v_cmp_lt_u32_e64 s[4:5], s57, v6
	s_and_b64 s[8:9], s[4:5], exec
.LBB1910_94:
	s_or_b64 exec, exec, s[10:11]
	v_cndmask_b32_e64 v6, 0, 1, vcc
	v_lshlrev_b16_e32 v6, 8, v6
	s_movk_i32 s4, 0xff
	v_or_b32_sdwa v6, v7, v6 dst_sel:DWORD dst_unused:UNUSED_PAD src0_sel:BYTE_0 src1_sel:DWORD
	v_lshlrev_b16_e32 v8, 8, v11
	v_and_b32_sdwa v7, v7, s4 dst_sel:DWORD dst_unused:UNUSED_PAD src0_sel:WORD_1 src1_sel:DWORD
	v_or_b32_sdwa v7, v7, v8 dst_sel:WORD_1 dst_unused:UNUSED_PAD src0_sel:DWORD src1_sel:DWORD
	v_or_b32_sdwa v8, v6, v7 dst_sel:DWORD dst_unused:UNUSED_PAD src0_sel:WORD_0 src1_sel:DWORD
	v_mov_b32_e32 v6, 8
	v_cndmask_b32_e64 v12, 0, 1, s[8:9]
	v_lshrrev_b32_sdwa v6, v6, v9 dst_sel:BYTE_1 dst_unused:UNUSED_PAD src0_sel:DWORD src1_sel:DWORD
	v_lshlrev_b16_e32 v7, 8, v10
	v_or_b32_sdwa v6, v9, v6 dst_sel:DWORD dst_unused:UNUSED_PAD src0_sel:BYTE_0 src1_sel:DWORD
	v_or_b32_sdwa v7, v12, v7 dst_sel:WORD_1 dst_unused:UNUSED_PAD src0_sel:DWORD src1_sel:DWORD
	v_or_b32_sdwa v6, v6, v7 dst_sel:DWORD dst_unused:UNUSED_PAD src0_sel:WORD_0 src1_sel:DWORD
.LBB1910_95:
	s_or_b64 exec, exec, s[6:7]
	v_add_u32_e32 v7, 10, v35
	v_cmp_le_u32_e32 vcc, s16, v7
	v_lshrrev_b32_e32 v9, 24, v8
                                        ; implicit-def: $vgpr39
                                        ; implicit-def: $vgpr7
	s_and_saveexec_b64 s[4:5], vcc
	s_xor_b64 s[4:5], exec, s[4:5]
	s_cbranch_execz .LBB1910_97
; %bb.96:
	s_mov_b32 s6, 0x40c0100
	v_perm_b32 v7, v9, v8, s6
	v_mov_b32_e32 v8, 8
	v_lshrrev_b32_sdwa v8, v8, v7 dst_sel:BYTE_1 dst_unused:UNUSED_PAD src0_sel:DWORD src1_sel:DWORD
	v_or_b32_sdwa v8, v7, v8 dst_sel:DWORD dst_unused:UNUSED_PAD src0_sel:BYTE_0 src1_sel:DWORD
	v_and_b32_e32 v8, 0xffff, v8
	s_mov_b32 s6, 0xff000000
	v_and_or_b32 v7, v7, s6, v8
	s_mov_b32 s6, 0x3060504
	v_and_b32_e32 v10, 0xff0000, v6
	v_perm_b32 v5, v5, v5, s6
	s_mov_b32 s6, 0x3020504
	v_perm_b32 v39, v6, v10, s6
                                        ; implicit-def: $vgpr8
                                        ; implicit-def: $vgpr9
                                        ; implicit-def: $vgpr6
.LBB1910_97:
	s_andn2_saveexec_b64 s[6:7], s[4:5]
	s_cbranch_execz .LBB1910_101
; %bb.98:
	v_add_u32_e32 v7, s37, v13
	v_add_u32_e32 v10, s39, v13
	v_mul_lo_u32 v7, v7, s36
	v_mul_lo_u32 v10, v10, s38
	s_mov_b64 s[8:9], 0
	v_sub_u32_e32 v7, v7, v10
	v_cmp_lt_u32_e32 vcc, s40, v7
	v_cmp_ge_u32_e64 s[4:5], s40, v7
	s_and_saveexec_b64 s[10:11], s[4:5]
	s_cbranch_execz .LBB1910_100
; %bb.99:
	v_add_u32_e32 v7, s42, v13
	v_add_u32_e32 v10, s56, v13
	v_mul_lo_u32 v7, v7, s41
	v_mul_lo_u32 v10, v10, s43
	v_sub_u32_e32 v7, v7, v10
	v_cmp_lt_u32_e64 s[4:5], s57, v7
	s_and_b64 s[8:9], s[4:5], exec
.LBB1910_100:
	s_or_b64 exec, exec, s[10:11]
	v_mov_b32_e32 v11, 8
	v_cndmask_b32_e64 v7, 0, 1, vcc
	v_lshrrev_b32_sdwa v12, v11, v8 dst_sel:BYTE_1 dst_unused:UNUSED_PAD src0_sel:DWORD src1_sel:DWORD
	v_lshlrev_b16_e32 v9, 8, v9
	v_or_b32_sdwa v8, v8, v12 dst_sel:DWORD dst_unused:UNUSED_PAD src0_sel:BYTE_0 src1_sel:DWORD
	v_or_b32_sdwa v7, v7, v9 dst_sel:WORD_1 dst_unused:UNUSED_PAD src0_sel:DWORD src1_sel:DWORD
	v_cndmask_b32_e64 v10, 0, 1, s[8:9]
	s_movk_i32 s4, 0xff
	v_or_b32_sdwa v7, v8, v7 dst_sel:DWORD dst_unused:UNUSED_PAD src0_sel:WORD_0 src1_sel:DWORD
	v_lshrrev_b32_sdwa v8, v11, v6 dst_sel:BYTE_1 dst_unused:UNUSED_PAD src0_sel:DWORD src1_sel:DWORD
	v_or_b32_sdwa v8, v6, v8 dst_sel:DWORD dst_unused:UNUSED_PAD src0_sel:BYTE_0 src1_sel:DWORD
	v_lshlrev_b16_e32 v9, 8, v10
	v_and_b32_sdwa v6, v6, s4 dst_sel:DWORD dst_unused:UNUSED_PAD src0_sel:WORD_1 src1_sel:DWORD
	v_or_b32_sdwa v6, v6, v9 dst_sel:WORD_1 dst_unused:UNUSED_PAD src0_sel:DWORD src1_sel:DWORD
	v_or_b32_sdwa v39, v8, v6 dst_sel:DWORD dst_unused:UNUSED_PAD src0_sel:WORD_0 src1_sel:DWORD
.LBB1910_101:
	s_or_b64 exec, exec, s[6:7]
	v_add_u32_e32 v6, 11, v35
	v_mov_b32_e32 v40, 0
	v_cmp_le_u32_e32 vcc, s16, v6
                                        ; implicit-def: $vgpr41
	s_and_saveexec_b64 s[4:5], vcc
	s_xor_b64 s[4:5], exec, s[4:5]
; %bb.102:
	v_and_b32_e32 v6, 0xff0000, v7
	s_mov_b32 s6, 0x3020504
	v_perm_b32 v41, v7, v6, s6
	s_mov_b32 s6, 0x3060504
	v_perm_b32 v5, v5, v5, s6
                                        ; implicit-def: $vgpr7
; %bb.103:
	s_andn2_saveexec_b64 s[6:7], s[4:5]
	s_cbranch_execz .LBB1910_107
; %bb.104:
	v_add_u32_e32 v6, s37, v14
	v_add_u32_e32 v8, s39, v14
	v_mul_lo_u32 v6, v6, s36
	v_mul_lo_u32 v8, v8, s38
	s_mov_b64 s[8:9], 0
	v_sub_u32_e32 v6, v6, v8
	v_cmp_lt_u32_e32 vcc, s40, v6
	v_cmp_ge_u32_e64 s[4:5], s40, v6
	s_and_saveexec_b64 s[10:11], s[4:5]
	s_cbranch_execz .LBB1910_106
; %bb.105:
	v_add_u32_e32 v6, s42, v14
	v_add_u32_e32 v8, s56, v14
	v_mul_lo_u32 v6, v6, s41
	v_mul_lo_u32 v8, v8, s43
	v_sub_u32_e32 v6, v6, v8
	v_cmp_lt_u32_e64 s[4:5], s57, v6
	s_and_b64 s[8:9], s[4:5], exec
.LBB1910_106:
	s_or_b64 exec, exec, s[10:11]
	v_mov_b32_e32 v8, 8
	v_cndmask_b32_e64 v6, 0, 1, vcc
	s_movk_i32 s4, 0xff
	v_lshrrev_b32_sdwa v8, v8, v7 dst_sel:BYTE_1 dst_unused:UNUSED_PAD src0_sel:DWORD src1_sel:DWORD
	v_or_b32_sdwa v8, v7, v8 dst_sel:DWORD dst_unused:UNUSED_PAD src0_sel:BYTE_0 src1_sel:DWORD
	v_lshlrev_b16_e32 v6, 8, v6
	v_and_b32_sdwa v7, v7, s4 dst_sel:DWORD dst_unused:UNUSED_PAD src0_sel:WORD_1 src1_sel:DWORD
	v_or_b32_sdwa v6, v7, v6 dst_sel:WORD_1 dst_unused:UNUSED_PAD src0_sel:DWORD src1_sel:DWORD
	v_cndmask_b32_e64 v40, 0, 1, s[8:9]
	v_or_b32_sdwa v41, v8, v6 dst_sel:DWORD dst_unused:UNUSED_PAD src0_sel:WORD_0 src1_sel:DWORD
.LBB1910_107:
	s_or_b64 exec, exec, s[6:7]
	v_add_u32_e32 v6, 12, v35
	v_cmp_le_u32_e32 vcc, s16, v6
	v_lshrrev_b32_e32 v6, 24, v5
                                        ; implicit-def: $vgpr42
	s_and_saveexec_b64 s[4:5], vcc
	s_xor_b64 s[4:5], exec, s[4:5]
; %bb.108:
	s_movk_i32 s6, 0xff
	v_lshlrev_b16_e32 v6, 8, v6
	v_and_b32_sdwa v8, v5, s6 dst_sel:DWORD dst_unused:UNUSED_PAD src0_sel:WORD_1 src1_sel:DWORD
	v_mov_b32_e32 v7, 8
	v_or_b32_sdwa v42, v8, v6 dst_sel:WORD_1 dst_unused:UNUSED_PAD src0_sel:DWORD src1_sel:DWORD
	v_lshrrev_b32_sdwa v42, v7, v5 dst_sel:BYTE_1 dst_unused:UNUSED_PRESERVE src0_sel:DWORD src1_sel:DWORD
                                        ; implicit-def: $vgpr6
                                        ; implicit-def: $vgpr5
; %bb.109:
	s_or_saveexec_b64 s[6:7], s[4:5]
	v_mov_b32_e32 v43, 0
	s_xor_b64 exec, exec, s[6:7]
	s_cbranch_execz .LBB1910_113
; %bb.110:
	v_add_u32_e32 v7, s37, v34
	v_add_u32_e32 v8, s39, v34
	v_mul_lo_u32 v7, v7, s36
	v_mul_lo_u32 v8, v8, s38
	s_mov_b64 s[8:9], 0
	v_sub_u32_e32 v7, v7, v8
	v_cmp_lt_u32_e32 vcc, s40, v7
	v_cmp_ge_u32_e64 s[4:5], s40, v7
	s_and_saveexec_b64 s[10:11], s[4:5]
	s_cbranch_execz .LBB1910_112
; %bb.111:
	v_add_u32_e32 v7, s42, v34
	v_add_u32_e32 v8, s56, v34
	v_mul_lo_u32 v7, v7, s41
	v_mul_lo_u32 v8, v8, s43
	v_sub_u32_e32 v7, v7, v8
	v_cmp_lt_u32_e64 s[4:5], s57, v7
	s_and_b64 s[8:9], s[4:5], exec
.LBB1910_112:
	s_or_b64 exec, exec, s[10:11]
	s_movk_i32 s4, 0xff
	v_lshlrev_b16_e32 v6, 8, v6
	v_and_b32_sdwa v8, v5, s4 dst_sel:DWORD dst_unused:UNUSED_PAD src0_sel:WORD_1 src1_sel:DWORD
	v_or_b32_sdwa v6, v8, v6 dst_sel:WORD_1 dst_unused:UNUSED_PAD src0_sel:DWORD src1_sel:DWORD
	v_mov_b32_e32 v8, 8
	v_cndmask_b32_e64 v7, 0, 1, vcc
	v_lshrrev_b32_sdwa v5, v8, v5 dst_sel:BYTE_1 dst_unused:UNUSED_PAD src0_sel:DWORD src1_sel:DWORD
	v_or_b32_e32 v5, v7, v5
	v_cndmask_b32_e64 v43, 0, 1, s[8:9]
	v_or_b32_sdwa v42, v5, v6 dst_sel:DWORD dst_unused:UNUSED_PAD src0_sel:WORD_0 src1_sel:DWORD
.LBB1910_113:
	s_or_b64 exec, exec, s[6:7]
.LBB1910_114:
	v_and_b32_e32 v53, 0xff, v36
	v_bfe_u32 v50, v36, 8, 8
	v_bfe_u32 v55, v36, 16, 8
	v_lshrrev_b32_e32 v48, 24, v36
	v_and_b32_e32 v56, 0xff, v38
	v_add3_u32 v8, v50, v53, v55
	v_bfe_u32 v51, v38, 8, 8
	v_bfe_u32 v58, v38, 16, 8
	v_add3_u32 v8, v8, v48, v56
	v_bfe_u32 v54, v42, 8, 8
	v_bfe_u32 v62, v42, 16, 8
	v_lshrrev_b32_e32 v49, 24, v42
	v_lshrrev_b32_e32 v46, 24, v38
	v_and_b32_e32 v59, 0xff, v41
	v_add3_u32 v8, v8, v51, v58
	v_and_b32_e32 v63, 0xff, v37
	v_bfe_u32 v57, v37, 8, 8
	v_bfe_u32 v52, v41, 8, 8
	;; [unrolled: 1-line block ×3, first 2 shown]
	v_add3_u32 v7, v62, v54, v49
	v_add3_u32 v8, v8, v46, v59
	v_bfe_u32 v64, v37, 16, 8
	v_lshrrev_b32_e32 v47, 24, v37
	v_lshrrev_b32_e32 v44, 24, v41
	v_and_b32_e32 v5, 0xff, v42
	v_add3_u32 v7, v7, v63, v57
	v_add3_u32 v8, v8, v52, v61
	v_and_b32_e32 v65, 0xff, v39
	v_bfe_u32 v60, v39, 8, 8
	v_add3_u32 v7, v7, v64, v47
	v_add3_u32 v73, v8, v44, v5
	v_mbcnt_lo_u32_b32 v5, -1, 0
	v_bfe_u32 v66, v39, 16, 8
	v_lshrrev_b32_e32 v45, 24, v39
	v_add3_u32 v7, v7, v65, v60
	v_mbcnt_hi_u32_b32 v68, -1, v5
	v_and_b32_e32 v67, 0xff, v40
	v_and_b32_e32 v6, 0xff, v43
	v_add3_u32 v7, v7, v66, v45
	v_and_b32_e32 v72, 15, v68
	s_cmp_lg_u32 s33, 0
	v_add3_u32 v74, v7, v67, v6
	v_cmp_eq_u32_e64 s[6:7], 0, v72
	v_cmp_lt_u32_e64 s[4:5], 1, v72
	v_cmp_lt_u32_e64 s[10:11], 3, v72
	;; [unrolled: 1-line block ×3, first 2 shown]
	v_and_b32_e32 v71, 16, v68
	v_cmp_lt_u32_e32 vcc, 31, v68
	v_lshrrev_b32_e32 v69, 6, v0
	v_or_b32_e32 v70, 63, v0
	s_cbranch_scc0 .LBB1910_136
; %bb.115:
	v_mov_b32_dpp v5, v73 row_shr:1 row_mask:0xf bank_mask:0xf
	v_mov_b32_dpp v6, v74 row_shr:1 row_mask:0xf bank_mask:0xf
	v_add_u32_e32 v5, v5, v73
	v_add_u32_e32 v6, v6, v74
	v_cndmask_b32_e64 v6, v6, v74, s[6:7]
	v_cndmask_b32_e64 v5, v5, v73, s[6:7]
	s_nop 0
	v_mov_b32_dpp v8, v6 row_shr:2 row_mask:0xf bank_mask:0xf
	v_mov_b32_dpp v7, v5 row_shr:2 row_mask:0xf bank_mask:0xf
	v_add_u32_e32 v7, v5, v7
	v_add_u32_e32 v8, v6, v8
	v_cndmask_b32_e64 v6, v6, v8, s[4:5]
	v_cndmask_b32_e64 v5, v5, v7, s[4:5]
	s_nop 0
	;; [unrolled: 7-line block ×3, first 2 shown]
	v_mov_b32_dpp v8, v6 row_shr:8 row_mask:0xf bank_mask:0xf
	v_mov_b32_dpp v7, v5 row_shr:8 row_mask:0xf bank_mask:0xf
	v_add_u32_e32 v7, v5, v7
	v_add_u32_e32 v8, v6, v8
	v_cndmask_b32_e64 v6, v6, v8, s[8:9]
	v_cndmask_b32_e64 v7, v5, v7, s[8:9]
	v_cmp_eq_u32_e64 s[8:9], 0, v71
	v_mov_b32_dpp v8, v6 row_bcast:15 row_mask:0xf bank_mask:0xf
	v_mov_b32_dpp v5, v7 row_bcast:15 row_mask:0xf bank_mask:0xf
	v_add_u32_e32 v9, v7, v5
	v_add_u32_e32 v5, v6, v8
	v_cndmask_b32_e64 v5, v5, v6, s[8:9]
	v_cndmask_b32_e64 v6, v9, v7, s[8:9]
	v_cmp_eq_u32_e64 s[8:9], v0, v70
	v_mov_b32_dpp v7, v5 row_bcast:31 row_mask:0xf bank_mask:0xf
	v_mov_b32_dpp v8, v6 row_bcast:31 row_mask:0xf bank_mask:0xf
	v_add_u32_e32 v7, v5, v7
	v_add_u32_e32 v8, v6, v8
	s_and_saveexec_b64 s[10:11], s[8:9]
; %bb.116:
	v_lshlrev_b32_e32 v11, 3, v69
	v_cndmask_b32_e32 v10, v5, v7, vcc
	v_cndmask_b32_e32 v9, v6, v8, vcc
	ds_write_b64 v11, v[9:10]
; %bb.117:
	s_or_b64 exec, exec, s[10:11]
	v_cmp_gt_u32_e64 s[8:9], 4, v0
	s_waitcnt lgkmcnt(0)
	s_barrier
	s_and_saveexec_b64 s[10:11], s[8:9]
	s_cbranch_execz .LBB1910_119
; %bb.118:
	v_lshlrev_b32_e32 v11, 3, v0
	ds_read_b64 v[9:10], v11
	v_and_b32_e32 v12, 3, v68
	v_cmp_eq_u32_e64 s[8:9], 0, v12
	s_waitcnt lgkmcnt(0)
	v_mov_b32_dpp v25, v9 row_shr:1 row_mask:0xf bank_mask:0xf
	v_mov_b32_dpp v26, v10 row_shr:1 row_mask:0xf bank_mask:0xf
	v_add_u32_e32 v25, v25, v9
	v_add_u32_e32 v26, v26, v10
	v_cndmask_b32_e64 v10, v26, v10, s[8:9]
	v_cndmask_b32_e64 v9, v25, v9, s[8:9]
	v_cmp_lt_u32_e64 s[8:9], 1, v12
	v_mov_b32_dpp v26, v10 row_shr:2 row_mask:0xf bank_mask:0xf
	v_mov_b32_dpp v25, v9 row_shr:2 row_mask:0xf bank_mask:0xf
	v_cndmask_b32_e64 v12, 0, v25, s[8:9]
	v_cndmask_b32_e64 v25, 0, v26, s[8:9]
	v_add_u32_e32 v10, v25, v10
	v_add_u32_e32 v9, v12, v9
	ds_write_b64 v11, v[9:10]
.LBB1910_119:
	s_or_b64 exec, exec, s[10:11]
	v_cndmask_b32_e32 v5, v5, v7, vcc
	v_cndmask_b32_e32 v6, v6, v8, vcc
	v_cmp_gt_u32_e32 vcc, 64, v0
	v_cmp_lt_u32_e64 s[8:9], 63, v0
	s_waitcnt lgkmcnt(0)
	s_barrier
                                        ; implicit-def: $vgpr25
	s_and_saveexec_b64 s[10:11], s[8:9]
	s_cbranch_execz .LBB1910_121
; %bb.120:
	v_lshl_add_u32 v7, v69, 3, -8
	ds_read_b64 v[25:26], v7
	s_waitcnt lgkmcnt(0)
	v_add_u32_e32 v5, v26, v5
	v_add_u32_e32 v6, v25, v6
.LBB1910_121:
	s_or_b64 exec, exec, s[10:11]
	v_subrev_co_u32_e64 v7, s[8:9], 1, v68
	v_and_b32_e32 v8, 64, v68
	v_cmp_lt_i32_e64 s[10:11], v7, v8
	v_cndmask_b32_e64 v7, v7, v68, s[10:11]
	v_lshlrev_b32_e32 v7, 2, v7
	ds_bpermute_b32 v75, v7, v6
	ds_bpermute_b32 v76, v7, v5
	s_and_saveexec_b64 s[10:11], vcc
	s_cbranch_execz .LBB1910_141
; %bb.122:
	v_mov_b32_e32 v8, 0
	ds_read_b64 v[5:6], v8 offset:24
	s_and_saveexec_b64 s[12:13], s[8:9]
	s_cbranch_execz .LBB1910_124
; %bb.123:
	s_add_i32 s14, s33, 64
	s_mov_b32 s15, 0
	s_lshl_b64 s[14:15], s[14:15], 4
	s_add_u32 s14, s54, s14
	s_addc_u32 s15, s55, s15
	v_mov_b32_e32 v9, s14
	v_mov_b32_e32 v7, 1
	;; [unrolled: 1-line block ×3, first 2 shown]
	s_waitcnt lgkmcnt(0)
	;;#ASMSTART
	global_store_dwordx4 v[9:10], v[5:8] off	
s_waitcnt vmcnt(0)
	;;#ASMEND
.LBB1910_124:
	s_or_b64 exec, exec, s[12:13]
	v_xad_u32 v27, v68, -1, s33
	v_add_u32_e32 v7, 64, v27
	v_lshlrev_b64 v[9:10], 4, v[7:8]
	v_mov_b32_e32 v7, s55
	v_add_co_u32_e32 v28, vcc, s54, v9
	v_addc_co_u32_e32 v29, vcc, v7, v10, vcc
	;;#ASMSTART
	global_load_dwordx4 v[9:12], v[28:29] off glc	
s_waitcnt vmcnt(0)
	;;#ASMEND
	v_cmp_eq_u16_sdwa s[14:15], v11, v8 src0_sel:BYTE_0 src1_sel:DWORD
	s_and_saveexec_b64 s[12:13], s[14:15]
	s_cbranch_execz .LBB1910_128
; %bb.125:
	s_mov_b64 s[14:15], 0
	v_mov_b32_e32 v7, 0
.LBB1910_126:                           ; =>This Inner Loop Header: Depth=1
	;;#ASMSTART
	global_load_dwordx4 v[9:12], v[28:29] off glc	
s_waitcnt vmcnt(0)
	;;#ASMEND
	v_cmp_ne_u16_sdwa s[18:19], v11, v7 src0_sel:BYTE_0 src1_sel:DWORD
	s_or_b64 s[14:15], s[18:19], s[14:15]
	s_andn2_b64 exec, exec, s[14:15]
	s_cbranch_execnz .LBB1910_126
; %bb.127:
	s_or_b64 exec, exec, s[14:15]
.LBB1910_128:
	s_or_b64 exec, exec, s[12:13]
	v_and_b32_e32 v78, 63, v68
	v_cmp_ne_u32_e32 vcc, 63, v78
	v_mov_b32_e32 v77, 2
	v_lshlrev_b64 v[29:30], v68, -1
	v_addc_co_u32_e32 v12, vcc, 0, v68, vcc
	v_cmp_eq_u16_sdwa s[12:13], v11, v77 src0_sel:BYTE_0 src1_sel:DWORD
	v_lshlrev_b32_e32 v79, 2, v12
	v_and_b32_e32 v7, s13, v30
	ds_bpermute_b32 v12, v79, v9
	ds_bpermute_b32 v28, v79, v10
	v_or_b32_e32 v7, 0x80000000, v7
	v_and_b32_e32 v8, s12, v29
	v_ffbl_b32_e32 v7, v7
	v_add_u32_e32 v7, 32, v7
	v_ffbl_b32_e32 v8, v8
	v_min_u32_e32 v7, v8, v7
	s_waitcnt lgkmcnt(1)
	v_add_u32_e32 v8, v12, v9
	s_waitcnt lgkmcnt(0)
	v_add_u32_e32 v12, v28, v10
	v_cmp_lt_u32_e32 vcc, v78, v7
	v_cndmask_b32_e32 v10, v10, v12, vcc
	v_cndmask_b32_e32 v8, v9, v8, vcc
	v_cmp_gt_u32_e32 vcc, 62, v78
	v_cndmask_b32_e64 v9, 0, 2, vcc
	v_add_lshl_u32 v80, v9, v68, 2
	ds_bpermute_b32 v9, v80, v8
	ds_bpermute_b32 v12, v80, v10
	v_add_u32_e32 v81, 2, v78
	v_cmp_gt_u32_e32 vcc, v81, v7
	v_add_u32_e32 v83, 4, v78
	s_waitcnt lgkmcnt(1)
	v_add_u32_e32 v9, v8, v9
	s_waitcnt lgkmcnt(0)
	v_add_u32_e32 v12, v10, v12
	v_cndmask_b32_e32 v10, v12, v10, vcc
	v_cndmask_b32_e32 v8, v9, v8, vcc
	v_cmp_gt_u32_e32 vcc, 60, v78
	v_cndmask_b32_e64 v9, 0, 4, vcc
	v_add_lshl_u32 v82, v9, v68, 2
	ds_bpermute_b32 v9, v82, v8
	ds_bpermute_b32 v12, v82, v10
	v_cmp_gt_u32_e32 vcc, v83, v7
	v_add_u32_e32 v85, 8, v78
	v_add_u32_e32 v87, 16, v78
	s_waitcnt lgkmcnt(1)
	v_add_u32_e32 v9, v8, v9
	s_waitcnt lgkmcnt(0)
	v_add_u32_e32 v12, v10, v12
	v_cndmask_b32_e32 v10, v12, v10, vcc
	v_cndmask_b32_e32 v8, v9, v8, vcc
	v_cmp_gt_u32_e32 vcc, 56, v78
	v_cndmask_b32_e64 v9, 0, 8, vcc
	v_add_lshl_u32 v84, v9, v68, 2
	ds_bpermute_b32 v9, v84, v8
	ds_bpermute_b32 v12, v84, v10
	v_cmp_gt_u32_e32 vcc, v85, v7
	v_add_u32_e32 v89, 32, v78
	v_mov_b32_e32 v28, 0
	s_waitcnt lgkmcnt(1)
	v_add_u32_e32 v9, v8, v9
	s_waitcnt lgkmcnt(0)
	v_add_u32_e32 v12, v10, v12
	v_cndmask_b32_e32 v10, v12, v10, vcc
	v_cndmask_b32_e32 v8, v9, v8, vcc
	v_cmp_gt_u32_e32 vcc, 48, v78
	v_cndmask_b32_e64 v9, 0, 16, vcc
	v_add_lshl_u32 v86, v9, v68, 2
	ds_bpermute_b32 v9, v86, v8
	ds_bpermute_b32 v12, v86, v10
	v_cmp_gt_u32_e32 vcc, v87, v7
	s_waitcnt lgkmcnt(1)
	v_add_u32_e32 v9, v8, v9
	s_waitcnt lgkmcnt(0)
	v_add_u32_e32 v12, v10, v12
	v_cndmask_b32_e32 v8, v9, v8, vcc
	v_mov_b32_e32 v9, 0x80
	v_cndmask_b32_e32 v10, v12, v10, vcc
	v_lshl_or_b32 v88, v68, 2, v9
	ds_bpermute_b32 v9, v88, v8
	ds_bpermute_b32 v12, v88, v10
	v_cmp_le_u32_e32 vcc, v89, v7
	s_waitcnt lgkmcnt(1)
	v_cndmask_b32_e32 v7, 0, v9, vcc
	s_waitcnt lgkmcnt(0)
	v_cndmask_b32_e32 v9, 0, v12, vcc
	v_add_u32_e32 v10, v10, v9
	v_add_u32_e32 v9, v8, v7
	s_branch .LBB1910_132
.LBB1910_129:                           ;   in Loop: Header=BB1910_132 Depth=1
	s_or_b64 exec, exec, s[14:15]
.LBB1910_130:                           ;   in Loop: Header=BB1910_132 Depth=1
	s_or_b64 exec, exec, s[12:13]
	v_cmp_eq_u16_sdwa s[12:13], v11, v77 src0_sel:BYTE_0 src1_sel:DWORD
	v_and_b32_e32 v12, s13, v30
	ds_bpermute_b32 v32, v79, v9
	ds_bpermute_b32 v90, v79, v10
	v_or_b32_e32 v12, 0x80000000, v12
	v_and_b32_e32 v31, s12, v29
	v_ffbl_b32_e32 v12, v12
	v_add_u32_e32 v12, 32, v12
	v_ffbl_b32_e32 v31, v31
	v_min_u32_e32 v12, v31, v12
	s_waitcnt lgkmcnt(1)
	v_add_u32_e32 v31, v32, v9
	s_waitcnt lgkmcnt(0)
	v_add_u32_e32 v32, v90, v10
	v_cmp_lt_u32_e32 vcc, v78, v12
	v_cndmask_b32_e32 v10, v10, v32, vcc
	v_cndmask_b32_e32 v9, v9, v31, vcc
	ds_bpermute_b32 v31, v80, v9
	ds_bpermute_b32 v32, v80, v10
	v_cmp_gt_u32_e32 vcc, v81, v12
	v_subrev_u32_e32 v27, 64, v27
	s_mov_b64 s[12:13], 0
	s_waitcnt lgkmcnt(1)
	v_add_u32_e32 v31, v9, v31
	s_waitcnt lgkmcnt(0)
	v_add_u32_e32 v32, v10, v32
	v_cndmask_b32_e32 v10, v32, v10, vcc
	v_cndmask_b32_e32 v9, v31, v9, vcc
	ds_bpermute_b32 v31, v82, v9
	ds_bpermute_b32 v32, v82, v10
	v_cmp_gt_u32_e32 vcc, v83, v12
	s_waitcnt lgkmcnt(1)
	v_add_u32_e32 v31, v9, v31
	s_waitcnt lgkmcnt(0)
	v_add_u32_e32 v32, v10, v32
	v_cndmask_b32_e32 v10, v32, v10, vcc
	v_cndmask_b32_e32 v9, v31, v9, vcc
	ds_bpermute_b32 v31, v84, v9
	ds_bpermute_b32 v32, v84, v10
	v_cmp_gt_u32_e32 vcc, v85, v12
	;; [unrolled: 9-line block ×3, first 2 shown]
	s_waitcnt lgkmcnt(1)
	v_add_u32_e32 v31, v9, v31
	s_waitcnt lgkmcnt(0)
	v_add_u32_e32 v32, v10, v32
	v_cndmask_b32_e32 v10, v32, v10, vcc
	v_cndmask_b32_e32 v9, v31, v9, vcc
	ds_bpermute_b32 v31, v88, v9
	ds_bpermute_b32 v32, v88, v10
	v_cmp_le_u32_e32 vcc, v89, v12
	s_waitcnt lgkmcnt(1)
	v_cndmask_b32_e32 v12, 0, v31, vcc
	s_waitcnt lgkmcnt(0)
	v_cndmask_b32_e32 v31, 0, v32, vcc
	v_add3_u32 v10, v31, v8, v10
	v_add3_u32 v9, v12, v7, v9
.LBB1910_131:                           ;   in Loop: Header=BB1910_132 Depth=1
	s_and_b64 vcc, exec, s[12:13]
	s_cbranch_vccnz .LBB1910_137
.LBB1910_132:                           ; =>This Loop Header: Depth=1
                                        ;     Child Loop BB1910_135 Depth 2
	v_mov_b32_e32 v7, v9
	v_cmp_ne_u16_sdwa s[12:13], v11, v77 src0_sel:BYTE_0 src1_sel:DWORD
	v_mov_b32_e32 v8, v10
	s_cmp_lg_u64 s[12:13], exec
	s_mov_b64 s[12:13], -1
                                        ; implicit-def: $vgpr11
                                        ; implicit-def: $vgpr9_vgpr10
	s_cbranch_scc1 .LBB1910_131
; %bb.133:                              ;   in Loop: Header=BB1910_132 Depth=1
	v_lshlrev_b64 v[9:10], 4, v[27:28]
	v_mov_b32_e32 v11, s55
	v_add_co_u32_e32 v31, vcc, s54, v9
	v_addc_co_u32_e32 v32, vcc, v11, v10, vcc
	;;#ASMSTART
	global_load_dwordx4 v[9:12], v[31:32] off glc	
s_waitcnt vmcnt(0)
	;;#ASMEND
	v_cmp_eq_u16_sdwa s[14:15], v11, v28 src0_sel:BYTE_0 src1_sel:DWORD
	s_and_saveexec_b64 s[12:13], s[14:15]
	s_cbranch_execz .LBB1910_130
; %bb.134:                              ;   in Loop: Header=BB1910_132 Depth=1
	s_mov_b64 s[14:15], 0
.LBB1910_135:                           ;   Parent Loop BB1910_132 Depth=1
                                        ; =>  This Inner Loop Header: Depth=2
	;;#ASMSTART
	global_load_dwordx4 v[9:12], v[31:32] off glc	
s_waitcnt vmcnt(0)
	;;#ASMEND
	v_cmp_ne_u16_sdwa s[18:19], v11, v28 src0_sel:BYTE_0 src1_sel:DWORD
	s_or_b64 s[14:15], s[18:19], s[14:15]
	s_andn2_b64 exec, exec, s[14:15]
	s_cbranch_execnz .LBB1910_135
	s_branch .LBB1910_129
.LBB1910_136:
                                        ; implicit-def: $vgpr12
                                        ; implicit-def: $vgpr7
                                        ; implicit-def: $vgpr25
	s_cbranch_execnz .LBB1910_142
	s_branch .LBB1910_151
.LBB1910_137:
	s_and_saveexec_b64 s[12:13], s[8:9]
	s_cbranch_execnz .LBB1910_379
; %bb.138:
	s_or_b64 exec, exec, s[12:13]
	s_and_saveexec_b64 s[12:13], s[8:9]
	s_cbranch_execnz .LBB1910_380
.LBB1910_139:
	s_or_b64 exec, exec, s[12:13]
	s_and_b64 exec, exec, s[0:1]
.LBB1910_140:
	v_mov_b32_e32 v5, 0
	ds_write_b64 v5, v[7:8] offset:24
.LBB1910_141:
	s_or_b64 exec, exec, s[10:11]
	v_mov_b32_e32 v5, 0
	s_waitcnt lgkmcnt(0)
	s_barrier
	ds_read_b64 v[9:10], v5 offset:24
	v_cndmask_b32_e64 v6, v75, v25, s[8:9]
	s_waitcnt lgkmcnt(0)
	s_barrier
	v_add_u32_e32 v25, v9, v6
	ds_read_b128 v[5:8], v5 offset:13312
	v_cndmask_b32_e64 v11, v76, v26, s[8:9]
	v_add_u32_e32 v11, v10, v11
	v_cndmask_b32_e64 v12, v11, v10, s[0:1]
	v_cndmask_b32_e64 v25, v25, v9, s[0:1]
	s_branch .LBB1910_151
.LBB1910_142:
	s_waitcnt lgkmcnt(0)
	v_mov_b32_dpp v5, v73 row_shr:1 row_mask:0xf bank_mask:0xf
	v_mov_b32_dpp v6, v74 row_shr:1 row_mask:0xf bank_mask:0xf
	v_add_u32_e32 v5, v5, v73
	v_add_u32_e32 v6, v6, v74
	v_cndmask_b32_e64 v6, v6, v74, s[6:7]
	v_cndmask_b32_e64 v5, v5, v73, s[6:7]
	v_cmp_lt_u32_e32 vcc, 3, v72
	v_mov_b32_dpp v8, v6 row_shr:2 row_mask:0xf bank_mask:0xf
	v_mov_b32_dpp v7, v5 row_shr:2 row_mask:0xf bank_mask:0xf
	v_add_u32_e32 v7, v5, v7
	v_add_u32_e32 v8, v6, v8
	v_cndmask_b32_e64 v6, v6, v8, s[4:5]
	v_cndmask_b32_e64 v5, v5, v7, s[4:5]
	v_cmp_eq_u32_e64 s[4:5], v0, v70
	v_mov_b32_dpp v8, v6 row_shr:4 row_mask:0xf bank_mask:0xf
	v_mov_b32_dpp v7, v5 row_shr:4 row_mask:0xf bank_mask:0xf
	v_add_u32_e32 v7, v5, v7
	v_add_u32_e32 v8, v6, v8
	v_cndmask_b32_e32 v6, v6, v8, vcc
	v_cndmask_b32_e32 v5, v5, v7, vcc
	v_cmp_lt_u32_e32 vcc, 7, v72
	v_mov_b32_dpp v8, v6 row_shr:8 row_mask:0xf bank_mask:0xf
	v_mov_b32_dpp v7, v5 row_shr:8 row_mask:0xf bank_mask:0xf
	v_add_u32_e32 v7, v5, v7
	v_add_u32_e32 v8, v6, v8
	v_cndmask_b32_e32 v6, v6, v8, vcc
	v_cndmask_b32_e32 v7, v5, v7, vcc
	v_cmp_eq_u32_e32 vcc, 0, v71
	v_mov_b32_dpp v8, v6 row_bcast:15 row_mask:0xf bank_mask:0xf
	v_mov_b32_dpp v5, v7 row_bcast:15 row_mask:0xf bank_mask:0xf
	v_add_u32_e32 v9, v7, v5
	v_add_u32_e32 v5, v6, v8
	v_cndmask_b32_e32 v5, v5, v6, vcc
	v_cndmask_b32_e32 v6, v9, v7, vcc
	v_cmp_lt_u32_e32 vcc, 31, v68
	v_mov_b32_dpp v7, v5 row_bcast:31 row_mask:0xf bank_mask:0xf
	v_mov_b32_dpp v8, v6 row_bcast:31 row_mask:0xf bank_mask:0xf
	v_add_u32_e32 v7, v5, v7
	v_add_u32_e32 v8, v6, v8
	s_and_saveexec_b64 s[6:7], s[4:5]
; %bb.143:
	v_cndmask_b32_e32 v9, v6, v8, vcc
	v_cndmask_b32_e32 v10, v5, v7, vcc
	v_lshlrev_b32_e32 v11, 3, v69
	ds_write_b64 v11, v[9:10]
; %bb.144:
	s_or_b64 exec, exec, s[6:7]
	v_cmp_gt_u32_e64 s[4:5], 4, v0
	s_waitcnt lgkmcnt(0)
	s_barrier
	s_and_saveexec_b64 s[6:7], s[4:5]
	s_cbranch_execz .LBB1910_146
; %bb.145:
	v_lshlrev_b32_e32 v11, 3, v0
	ds_read_b64 v[9:10], v11
	v_and_b32_e32 v12, 3, v68
	v_cmp_eq_u32_e64 s[4:5], 0, v12
	s_waitcnt lgkmcnt(0)
	v_mov_b32_dpp v25, v9 row_shr:1 row_mask:0xf bank_mask:0xf
	v_mov_b32_dpp v26, v10 row_shr:1 row_mask:0xf bank_mask:0xf
	v_add_u32_e32 v25, v25, v9
	v_add_u32_e32 v26, v26, v10
	v_cndmask_b32_e64 v10, v26, v10, s[4:5]
	v_cndmask_b32_e64 v9, v25, v9, s[4:5]
	v_cmp_lt_u32_e64 s[4:5], 1, v12
	v_mov_b32_dpp v26, v10 row_shr:2 row_mask:0xf bank_mask:0xf
	v_mov_b32_dpp v25, v9 row_shr:2 row_mask:0xf bank_mask:0xf
	v_cndmask_b32_e64 v12, 0, v25, s[4:5]
	v_cndmask_b32_e64 v25, 0, v26, s[4:5]
	v_add_u32_e32 v10, v25, v10
	v_add_u32_e32 v9, v12, v9
	ds_write_b64 v11, v[9:10]
.LBB1910_146:
	s_or_b64 exec, exec, s[6:7]
	v_cmp_lt_u32_e64 s[4:5], 63, v0
	v_mov_b32_e32 v11, 0
	v_mov_b32_e32 v9, 0
	;; [unrolled: 1-line block ×3, first 2 shown]
	s_waitcnt lgkmcnt(0)
	s_barrier
	s_and_saveexec_b64 s[6:7], s[4:5]
; %bb.147:
	v_lshl_add_u32 v9, v69, 3, -8
	ds_read_b64 v[9:10], v9
; %bb.148:
	s_or_b64 exec, exec, s[6:7]
	v_cndmask_b32_e32 v6, v6, v8, vcc
	v_cndmask_b32_e32 v5, v5, v7, vcc
	v_subrev_co_u32_e32 v7, vcc, 1, v68
	v_and_b32_e32 v8, 64, v68
	v_cmp_lt_i32_e64 s[4:5], v7, v8
	v_cndmask_b32_e64 v7, v7, v68, s[4:5]
	s_waitcnt lgkmcnt(0)
	v_add_u32_e32 v5, v10, v5
	v_add_u32_e32 v6, v9, v6
	v_lshlrev_b32_e32 v7, 2, v7
	ds_bpermute_b32 v12, v7, v6
	ds_bpermute_b32 v25, v7, v5
	ds_read_b64 v[5:6], v11 offset:24
	s_and_saveexec_b64 s[4:5], s[0:1]
	s_cbranch_execz .LBB1910_150
; %bb.149:
	s_add_u32 s6, s54, 0x400
	s_addc_u32 s7, s55, 0
	v_mov_b32_e32 v27, s7
	v_mov_b32_e32 v7, 2
	;; [unrolled: 1-line block ×4, first 2 shown]
	s_waitcnt lgkmcnt(0)
	;;#ASMSTART
	global_store_dwordx4 v[26:27], v[5:8] off	
s_waitcnt vmcnt(0)
	;;#ASMEND
.LBB1910_150:
	s_or_b64 exec, exec, s[4:5]
	s_waitcnt lgkmcnt(2)
	v_cndmask_b32_e32 v7, v12, v9, vcc
	s_waitcnt lgkmcnt(1)
	v_cndmask_b32_e32 v8, v25, v10, vcc
	v_cndmask_b32_e64 v12, v8, 0, s[0:1]
	v_cndmask_b32_e64 v25, v7, 0, s[0:1]
	v_mov_b32_e32 v8, 0
	v_mov_b32_e32 v7, 0
	s_waitcnt lgkmcnt(0)
	s_barrier
.LBB1910_151:
	s_waitcnt lgkmcnt(0)
	v_add_co_u32_e32 v1, vcc, v1, v7
	v_addc_co_u32_e32 v2, vcc, 0, v2, vcc
	v_sub_co_u32_e32 v29, vcc, v3, v5
	v_add_u32_e32 v32, v12, v54
	v_subbrev_co_u32_e32 v30, vcc, 0, v4, vcc
	v_lshlrev_b32_e32 v72, 1, v5
	v_sub_u32_e32 v12, v12, v8
	v_lshrrev_b32_e32 v28, 8, v42
	v_add_u32_e32 v31, v25, v53
	v_add_co_u32_e32 v29, vcc, v29, v8
	v_add_u32_e32 v73, v72, v6
	v_sub_u32_e32 v25, v25, v7
	v_add_u32_e32 v12, v12, v5
	v_addc_co_u32_e32 v30, vcc, 0, v30, vcc
	v_add_u32_e32 v35, v73, v35
	v_and_b32_e32 v28, 1, v28
	v_add_u32_e32 v74, v25, v12
	v_and_b32_e32 v73, 1, v36
	v_sub_u32_e32 v74, v35, v74
	v_cmp_eq_u32_e32 vcc, 1, v28
	v_cndmask_b32_e32 v12, v74, v12, vcc
	v_cmp_eq_u32_e32 vcc, 1, v73
	v_cndmask_b32_e32 v12, v12, v25, vcc
	v_lshlrev_b32_e32 v12, 2, v12
	v_sub_u32_e32 v25, v32, v8
	v_lshrrev_b32_e32 v27, 8, v36
	ds_write_b32 v12, v23
	v_sub_u32_e32 v12, v31, v7
	v_add_u32_e32 v25, v25, v5
	v_add_u32_e32 v50, v31, v50
	v_and_b32_e32 v23, 1, v27
	v_mov_b32_e32 v27, 1
	v_add_u32_e32 v31, v25, v12
	v_and_b32_sdwa v28, v27, v42 dst_sel:DWORD dst_unused:UNUSED_PAD src0_sel:DWORD src1_sel:WORD_1
	v_sub_u32_e32 v31, v35, v31
	v_add_u32_e32 v31, 1, v31
	v_cmp_eq_u32_e32 vcc, 1, v28
	v_cndmask_b32_e32 v25, v31, v25, vcc
	v_cmp_eq_u32_e32 vcc, 1, v23
	v_cndmask_b32_e32 v12, v25, v12, vcc
	v_add_u32_e32 v53, v32, v62
	v_lshlrev_b32_e32 v12, 2, v12
	ds_write_b32 v12, v24
	v_sub_u32_e32 v24, v53, v8
	v_sub_u32_e32 v12, v50, v7
	v_add_u32_e32 v24, v24, v5
	v_add_u32_e32 v28, v24, v12
	v_and_b32_e32 v25, 1, v49
	v_sub_u32_e32 v28, v35, v28
	v_and_b32_sdwa v23, v27, v36 dst_sel:DWORD dst_unused:UNUSED_PAD src0_sel:DWORD src1_sel:WORD_1
	v_add_u32_e32 v28, 2, v28
	v_cmp_eq_u32_e32 vcc, 1, v25
	v_cndmask_b32_e32 v24, v28, v24, vcc
	v_cmp_eq_u32_e32 vcc, 1, v23
	v_add_u32_e32 v54, v50, v55
	v_add_u32_e32 v55, v53, v49
	v_cndmask_b32_e32 v12, v24, v12, vcc
	v_lshlrev_b32_e32 v12, 2, v12
	v_sub_u32_e32 v23, v55, v8
	ds_write_b32 v12, v21
	v_sub_u32_e32 v12, v54, v7
	v_add_u32_e32 v23, v23, v5
	v_add_u32_e32 v25, v12, v23
	v_and_b32_e32 v24, 1, v37
	v_sub_u32_e32 v25, v35, v25
	v_and_b32_e32 v21, 1, v48
	v_add_u32_e32 v25, 3, v25
	v_cmp_eq_u32_e32 vcc, 1, v24
	v_cndmask_b32_e32 v23, v25, v23, vcc
	v_cmp_eq_u32_e32 vcc, 1, v21
	v_cndmask_b32_e32 v12, v23, v12, vcc
	v_add_u32_e32 v62, v55, v63
	v_lshlrev_b32_e32 v12, 2, v12
	v_add_u32_e32 v63, v54, v48
	ds_write_b32 v12, v22
	v_sub_u32_e32 v22, v62, v8
	v_sub_u32_e32 v12, v63, v7
	v_add_u32_e32 v22, v22, v5
	v_lshrrev_b32_e32 v26, 8, v37
	v_add_u32_e32 v24, v12, v22
	v_and_b32_e32 v23, 1, v26
	v_sub_u32_e32 v24, v35, v24
	v_and_b32_e32 v21, 1, v38
	v_add_u32_e32 v24, 4, v24
	v_cmp_eq_u32_e32 vcc, 1, v23
	v_cndmask_b32_e32 v22, v24, v22, vcc
	v_cmp_eq_u32_e32 vcc, 1, v21
	v_cndmask_b32_e32 v12, v22, v12, vcc
	v_add_u32_e32 v57, v62, v57
	v_lshlrev_b32_e32 v12, 2, v12
	v_add_u32_e32 v56, v63, v56
	ds_write_b32 v12, v19
	v_sub_u32_e32 v19, v57, v8
	v_sub_u32_e32 v12, v56, v7
	v_add_u32_e32 v19, v19, v5
	v_add_u32_e32 v22, v12, v19
	v_lshrrev_b32_e32 v11, 8, v38
	v_and_b32_sdwa v21, v27, v37 dst_sel:DWORD dst_unused:UNUSED_PAD src0_sel:DWORD src1_sel:WORD_1
	v_sub_u32_e32 v22, v35, v22
	v_and_b32_e32 v11, 1, v11
	v_add_u32_e32 v22, 5, v22
	v_cmp_eq_u32_e32 vcc, 1, v21
	v_cndmask_b32_e32 v19, v22, v19, vcc
	v_cmp_eq_u32_e32 vcc, 1, v11
	v_add_u32_e32 v64, v57, v64
	v_cndmask_b32_e32 v11, v19, v12, vcc
	v_add_u32_e32 v51, v56, v51
	v_lshlrev_b32_e32 v11, 2, v11
	v_sub_u32_e32 v19, v64, v8
	ds_write_b32 v11, v20
	v_sub_u32_e32 v11, v51, v7
	v_add_u32_e32 v19, v19, v5
	v_add_u32_e32 v21, v11, v19
	v_and_b32_e32 v20, 1, v47
	v_sub_u32_e32 v21, v35, v21
	v_and_b32_sdwa v12, v27, v38 dst_sel:DWORD dst_unused:UNUSED_PAD src0_sel:DWORD src1_sel:WORD_1
	v_add_u32_e32 v21, 6, v21
	v_cmp_eq_u32_e32 vcc, 1, v20
	v_cndmask_b32_e32 v19, v21, v19, vcc
	v_cmp_eq_u32_e32 vcc, 1, v12
	v_cndmask_b32_e32 v11, v19, v11, vcc
	v_add_u32_e32 v68, v64, v47
	v_lshlrev_b32_e32 v11, 2, v11
	v_add_u32_e32 v58, v51, v58
	ds_write_b32 v11, v17
	v_sub_u32_e32 v17, v68, v8
	v_sub_u32_e32 v11, v58, v7
	v_add_u32_e32 v17, v17, v5
	v_add_u32_e32 v20, v11, v17
	v_and_b32_e32 v19, 1, v39
	v_sub_u32_e32 v20, v35, v20
	v_and_b32_e32 v12, 1, v46
	v_add_u32_e32 v20, 7, v20
	v_cmp_eq_u32_e32 vcc, 1, v19
	v_cndmask_b32_e32 v17, v20, v17, vcc
	v_cmp_eq_u32_e32 vcc, 1, v12
	v_add_u32_e32 v65, v68, v65
	v_cndmask_b32_e32 v11, v17, v11, vcc
	v_add_u32_e32 v69, v58, v46
	v_lshlrev_b32_e32 v11, 2, v11
	v_sub_u32_e32 v17, v65, v8
	ds_write_b32 v11, v18
	v_sub_u32_e32 v11, v69, v7
	v_add_u32_e32 v17, v17, v5
	v_lshrrev_b32_e32 v10, 8, v39
	v_add_u32_e32 v18, v11, v17
	v_and_b32_e32 v10, 1, v10
	v_sub_u32_e32 v18, v35, v18
	v_and_b32_e32 v12, 1, v41
	v_add_u32_e32 v18, 8, v18
	v_cmp_eq_u32_e32 vcc, 1, v10
	v_cndmask_b32_e32 v10, v18, v17, vcc
	v_cmp_eq_u32_e32 vcc, 1, v12
	v_add_u32_e32 v60, v65, v60
	v_cndmask_b32_e32 v10, v10, v11, vcc
	v_add_u32_e32 v59, v69, v59
	v_lshlrev_b32_e32 v10, 2, v10
	v_sub_u32_e32 v11, v60, v8
	ds_write_b32 v10, v15
	v_sub_u32_e32 v10, v59, v7
	v_add_u32_e32 v11, v11, v5
	v_add_u32_e32 v15, v10, v11
	v_lshrrev_b32_e32 v9, 8, v41
	v_and_b32_sdwa v12, v27, v39 dst_sel:DWORD dst_unused:UNUSED_PAD src0_sel:DWORD src1_sel:WORD_1
	v_sub_u32_e32 v15, v35, v15
	v_and_b32_e32 v9, 1, v9
	v_add_u32_e32 v15, 9, v15
	v_cmp_eq_u32_e32 vcc, 1, v12
	v_cndmask_b32_e32 v11, v15, v11, vcc
	v_cmp_eq_u32_e32 vcc, 1, v9
	v_add_u32_e32 v66, v60, v66
	v_cndmask_b32_e32 v9, v11, v10, vcc
	v_add_u32_e32 v52, v59, v52
	v_lshlrev_b32_e32 v9, 2, v9
	v_sub_u32_e32 v11, v66, v8
	ds_write_b32 v9, v16
	v_sub_u32_e32 v9, v52, v7
	v_add_u32_e32 v11, v11, v5
	v_add_u32_e32 v15, v9, v11
	v_and_b32_e32 v12, 1, v45
	v_sub_u32_e32 v15, v35, v15
	v_and_b32_sdwa v10, v27, v41 dst_sel:DWORD dst_unused:UNUSED_PAD src0_sel:DWORD src1_sel:WORD_1
	v_add_u32_e32 v15, 10, v15
	v_cmp_eq_u32_e32 vcc, 1, v12
	v_cndmask_b32_e32 v11, v15, v11, vcc
	v_cmp_eq_u32_e32 vcc, 1, v10
	v_add_u32_e32 v70, v66, v45
	v_cndmask_b32_e32 v9, v11, v9, vcc
	v_add_u32_e32 v61, v52, v61
	v_lshlrev_b32_e32 v9, 2, v9
	v_sub_u32_e32 v11, v70, v8
	ds_write_b32 v9, v13
	v_sub_u32_e32 v9, v61, v7
	v_add_u32_e32 v11, v11, v5
	v_add_u32_e32 v13, v9, v11
	v_and_b32_e32 v12, 1, v40
	v_sub_u32_e32 v13, v35, v13
	v_add_u32_e32 v67, v70, v67
	v_and_b32_e32 v10, 1, v44
	v_add_u32_e32 v13, 11, v13
	v_cmp_eq_u32_e32 vcc, 1, v12
	v_add_u32_e32 v71, v61, v44
	v_cndmask_b32_e32 v11, v13, v11, vcc
	v_cmp_eq_u32_e32 vcc, 1, v10
	v_sub_u32_e32 v10, v67, v8
	v_sub_u32_e32 v7, v71, v7
	v_add_u32_e32 v10, v10, v5
	v_cndmask_b32_e32 v9, v11, v9, vcc
	v_add_u32_e32 v12, v7, v10
	v_lshlrev_b32_e32 v9, 2, v9
	v_and_b32_e32 v11, 1, v43
	v_sub_u32_e32 v12, v35, v12
	ds_write_b32 v9, v14
	v_and_b32_e32 v9, 1, v42
	v_add_u32_e32 v12, 12, v12
	v_cmp_eq_u32_e32 vcc, 1, v11
	v_cndmask_b32_e32 v10, v12, v10, vcc
	v_cmp_eq_u32_e32 vcc, 1, v9
	v_cndmask_b32_e32 v7, v10, v7, vcc
	v_lshlrev_b32_e32 v7, 2, v7
	ds_write_b32 v7, v34
	v_mov_b32_e32 v7, s53
	v_add_co_u32_e32 v9, vcc, s52, v33
	v_addc_co_u32_e32 v10, vcc, 0, v7, vcc
	v_add_co_u32_e32 v7, vcc, v6, v72
	v_addc_co_u32_e64 v11, s[4:5], 0, 0, vcc
	v_add_co_u32_e32 v7, vcc, v7, v29
	v_addc_co_u32_e32 v11, vcc, v11, v30, vcc
	v_add_co_u32_e32 v7, vcc, v7, v1
	v_addc_co_u32_e32 v11, vcc, v11, v2, vcc
	v_sub_co_u32_e32 v7, vcc, v9, v7
	v_subb_co_u32_e32 v13, vcc, v10, v11, vcc
	v_lshlrev_b64 v[9:10], 2, v[29:30]
	v_mov_b32_e32 v11, s51
	v_add_co_u32_e32 v9, vcc, s50, v9
	v_addc_co_u32_e32 v10, vcc, v11, v10, vcc
	v_lshlrev_b64 v[11:12], 2, v[1:2]
	v_mov_b32_e32 v15, s49
	v_add_co_u32_e32 v11, vcc, s48, v11
	v_addc_co_u32_e32 v12, vcc, v15, v12, vcc
	v_add_u32_e32 v14, v5, v6
	s_and_b64 vcc, exec, s[2:3]
	s_mov_b64 s[2:3], -1
	s_waitcnt lgkmcnt(0)
	s_barrier
	s_cbranch_vccz .LBB1910_155
; %bb.152:
	s_and_b64 vcc, exec, s[2:3]
	s_cbranch_vccnz .LBB1910_260
.LBB1910_153:
	s_and_b64 s[0:1], s[0:1], s[34:35]
	s_and_saveexec_b64 s[2:3], s[0:1]
	s_cbranch_execnz .LBB1910_378
.LBB1910_154:
	s_endpgm
.LBB1910_155:
	v_cmp_ge_u32_e32 vcc, v0, v5
	s_and_saveexec_b64 s[2:3], vcc
	s_xor_b64 s[2:3], exec, s[2:3]
	s_cbranch_execz .LBB1910_161
; %bb.156:
	v_cmp_ge_u32_e32 vcc, v0, v14
	s_and_saveexec_b64 s[4:5], vcc
	s_xor_b64 s[4:5], exec, s[4:5]
	s_cbranch_execz .LBB1910_158
; %bb.157:
	v_add_co_u32_e32 v15, vcc, v7, v0
	v_lshlrev_b32_e32 v17, 2, v0
	v_addc_co_u32_e32 v16, vcc, 0, v13, vcc
	ds_read_b32 v17, v17
	v_lshlrev_b64 v[15:16], 2, v[15:16]
	v_mov_b32_e32 v18, s31
	v_sub_co_u32_e32 v15, vcc, s30, v15
	v_subb_co_u32_e32 v16, vcc, v18, v16, vcc
	s_waitcnt lgkmcnt(0)
	global_store_dword v[15:16], v17, off offset:-4
.LBB1910_158:
	s_andn2_saveexec_b64 s[4:5], s[4:5]
	s_cbranch_execz .LBB1910_160
; %bb.159:
	v_lshlrev_b32_e32 v15, 2, v0
	ds_read_b32 v16, v15
	v_readfirstlane_b32 s6, v9
	v_readfirstlane_b32 s7, v10
	s_waitcnt lgkmcnt(0)
	s_nop 3
	global_store_dword v15, v16, s[6:7]
.LBB1910_160:
	s_or_b64 exec, exec, s[4:5]
.LBB1910_161:
	s_andn2_saveexec_b64 s[2:3], s[2:3]
	s_cbranch_execz .LBB1910_163
; %bb.162:
	v_lshlrev_b32_e32 v15, 2, v0
	ds_read_b32 v16, v15
	v_readfirstlane_b32 s4, v11
	v_readfirstlane_b32 s5, v12
	s_waitcnt lgkmcnt(0)
	s_nop 3
	global_store_dword v15, v16, s[4:5]
.LBB1910_163:
	s_or_b64 exec, exec, s[2:3]
	v_or_b32_e32 v15, 0x100, v0
	v_cmp_ge_u32_e32 vcc, v15, v5
	s_and_saveexec_b64 s[2:3], vcc
	s_xor_b64 s[2:3], exec, s[2:3]
	s_cbranch_execz .LBB1910_169
; %bb.164:
	v_cmp_ge_u32_e32 vcc, v15, v14
	s_and_saveexec_b64 s[4:5], vcc
	s_xor_b64 s[4:5], exec, s[4:5]
	s_cbranch_execz .LBB1910_166
; %bb.165:
	v_lshlrev_b32_e32 v15, 2, v0
	ds_read_b32 v17, v15 offset:1024
	v_add_co_u32_e32 v15, vcc, v7, v0
	v_addc_co_u32_e32 v16, vcc, 0, v13, vcc
	v_lshlrev_b64 v[15:16], 2, v[15:16]
	v_mov_b32_e32 v18, s31
	v_sub_co_u32_e32 v15, vcc, s30, v15
	v_subb_co_u32_e32 v16, vcc, v18, v16, vcc
	s_waitcnt lgkmcnt(0)
	global_store_dword v[15:16], v17, off offset:-1028
.LBB1910_166:
	s_andn2_saveexec_b64 s[4:5], s[4:5]
	s_cbranch_execz .LBB1910_168
; %bb.167:
	v_lshlrev_b32_e32 v15, 2, v0
	ds_read_b32 v16, v15 offset:1024
	v_readfirstlane_b32 s6, v9
	v_readfirstlane_b32 s7, v10
	s_waitcnt lgkmcnt(0)
	s_nop 3
	global_store_dword v15, v16, s[6:7] offset:1024
.LBB1910_168:
	s_or_b64 exec, exec, s[4:5]
.LBB1910_169:
	s_andn2_saveexec_b64 s[2:3], s[2:3]
	s_cbranch_execz .LBB1910_171
; %bb.170:
	v_lshlrev_b32_e32 v15, 2, v0
	ds_read_b32 v16, v15 offset:1024
	v_readfirstlane_b32 s4, v11
	v_readfirstlane_b32 s5, v12
	s_waitcnt lgkmcnt(0)
	s_nop 3
	global_store_dword v15, v16, s[4:5] offset:1024
.LBB1910_171:
	s_or_b64 exec, exec, s[2:3]
	v_or_b32_e32 v15, 0x200, v0
	v_cmp_ge_u32_e32 vcc, v15, v5
	s_and_saveexec_b64 s[2:3], vcc
	s_xor_b64 s[2:3], exec, s[2:3]
	s_cbranch_execz .LBB1910_177
; %bb.172:
	v_cmp_ge_u32_e32 vcc, v15, v14
	s_and_saveexec_b64 s[4:5], vcc
	s_xor_b64 s[4:5], exec, s[4:5]
	s_cbranch_execz .LBB1910_174
; %bb.173:
	v_lshlrev_b32_e32 v15, 2, v0
	ds_read_b32 v17, v15 offset:2048
	v_add_co_u32_e32 v15, vcc, v7, v0
	v_addc_co_u32_e32 v16, vcc, 0, v13, vcc
	v_lshlrev_b64 v[15:16], 2, v[15:16]
	v_mov_b32_e32 v18, s31
	v_sub_co_u32_e32 v15, vcc, s30, v15
	v_subb_co_u32_e32 v16, vcc, v18, v16, vcc
	s_waitcnt lgkmcnt(0)
	global_store_dword v[15:16], v17, off offset:-2052
.LBB1910_174:
	s_andn2_saveexec_b64 s[4:5], s[4:5]
	s_cbranch_execz .LBB1910_176
; %bb.175:
	v_lshlrev_b32_e32 v15, 2, v0
	ds_read_b32 v16, v15 offset:2048
	v_readfirstlane_b32 s6, v9
	v_readfirstlane_b32 s7, v10
	s_waitcnt lgkmcnt(0)
	s_nop 3
	global_store_dword v15, v16, s[6:7] offset:2048
.LBB1910_176:
	s_or_b64 exec, exec, s[4:5]
.LBB1910_177:
	s_andn2_saveexec_b64 s[2:3], s[2:3]
	s_cbranch_execz .LBB1910_179
; %bb.178:
	v_lshlrev_b32_e32 v15, 2, v0
	ds_read_b32 v16, v15 offset:2048
	v_readfirstlane_b32 s4, v11
	v_readfirstlane_b32 s5, v12
	s_waitcnt lgkmcnt(0)
	s_nop 3
	global_store_dword v15, v16, s[4:5] offset:2048
.LBB1910_179:
	;; [unrolled: 47-line block ×3, first 2 shown]
	s_or_b64 exec, exec, s[2:3]
	v_or_b32_e32 v15, 0x400, v0
	v_cmp_ge_u32_e32 vcc, v15, v5
	s_and_saveexec_b64 s[2:3], vcc
	s_xor_b64 s[2:3], exec, s[2:3]
	s_cbranch_execz .LBB1910_193
; %bb.188:
	v_cmp_ge_u32_e32 vcc, v15, v14
	s_and_saveexec_b64 s[4:5], vcc
	s_xor_b64 s[4:5], exec, s[4:5]
	s_cbranch_execz .LBB1910_190
; %bb.189:
	v_lshlrev_b32_e32 v15, 2, v0
	ds_read_b32 v17, v15 offset:4096
	v_add_co_u32_e32 v15, vcc, v7, v0
	v_addc_co_u32_e32 v16, vcc, 0, v13, vcc
	v_lshlrev_b64 v[15:16], 2, v[15:16]
	v_mov_b32_e32 v18, s31
	v_sub_co_u32_e32 v15, vcc, s30, v15
	v_subb_co_u32_e32 v16, vcc, v18, v16, vcc
	v_add_co_u32_e32 v15, vcc, 0xfffff000, v15
	v_addc_co_u32_e32 v16, vcc, -1, v16, vcc
	s_waitcnt lgkmcnt(0)
	global_store_dword v[15:16], v17, off offset:-4
                                        ; implicit-def: $vgpr15
.LBB1910_190:
	s_andn2_saveexec_b64 s[4:5], s[4:5]
	s_cbranch_execz .LBB1910_192
; %bb.191:
	v_lshlrev_b32_e32 v16, 2, v0
	ds_read_b32 v16, v16 offset:4096
	v_lshlrev_b32_e32 v15, 2, v15
	v_readfirstlane_b32 s6, v9
	v_readfirstlane_b32 s7, v10
	s_waitcnt lgkmcnt(0)
	s_nop 3
	global_store_dword v15, v16, s[6:7]
.LBB1910_192:
	s_or_b64 exec, exec, s[4:5]
                                        ; implicit-def: $vgpr15
.LBB1910_193:
	s_andn2_saveexec_b64 s[2:3], s[2:3]
	s_cbranch_execz .LBB1910_195
; %bb.194:
	v_lshlrev_b32_e32 v16, 2, v0
	ds_read_b32 v16, v16 offset:4096
	v_lshlrev_b32_e32 v15, 2, v15
	v_readfirstlane_b32 s4, v11
	v_readfirstlane_b32 s5, v12
	s_waitcnt lgkmcnt(0)
	s_nop 3
	global_store_dword v15, v16, s[4:5]
.LBB1910_195:
	s_or_b64 exec, exec, s[2:3]
	v_or_b32_e32 v15, 0x500, v0
	v_cmp_ge_u32_e32 vcc, v15, v5
	s_and_saveexec_b64 s[2:3], vcc
	s_xor_b64 s[2:3], exec, s[2:3]
	s_cbranch_execz .LBB1910_201
; %bb.196:
	v_cmp_ge_u32_e32 vcc, v15, v14
	s_and_saveexec_b64 s[4:5], vcc
	s_xor_b64 s[4:5], exec, s[4:5]
	s_cbranch_execz .LBB1910_198
; %bb.197:
	v_add_co_u32_e32 v15, vcc, v7, v15
	v_lshlrev_b32_e32 v17, 2, v0
	v_addc_co_u32_e32 v16, vcc, 0, v13, vcc
	ds_read_b32 v17, v17 offset:5120
	v_lshlrev_b64 v[15:16], 2, v[15:16]
	v_mov_b32_e32 v18, s31
	v_sub_co_u32_e32 v15, vcc, s30, v15
	v_subb_co_u32_e32 v16, vcc, v18, v16, vcc
	s_waitcnt lgkmcnt(0)
	global_store_dword v[15:16], v17, off offset:-4
                                        ; implicit-def: $vgpr15
.LBB1910_198:
	s_andn2_saveexec_b64 s[4:5], s[4:5]
	s_cbranch_execz .LBB1910_200
; %bb.199:
	v_lshlrev_b32_e32 v16, 2, v0
	ds_read_b32 v16, v16 offset:5120
	v_lshlrev_b32_e32 v15, 2, v15
	v_readfirstlane_b32 s6, v9
	v_readfirstlane_b32 s7, v10
	s_waitcnt lgkmcnt(0)
	s_nop 3
	global_store_dword v15, v16, s[6:7]
.LBB1910_200:
	s_or_b64 exec, exec, s[4:5]
                                        ; implicit-def: $vgpr15
.LBB1910_201:
	s_andn2_saveexec_b64 s[2:3], s[2:3]
	s_cbranch_execz .LBB1910_203
; %bb.202:
	v_lshlrev_b32_e32 v16, 2, v0
	ds_read_b32 v16, v16 offset:5120
	v_lshlrev_b32_e32 v15, 2, v15
	v_readfirstlane_b32 s4, v11
	v_readfirstlane_b32 s5, v12
	s_waitcnt lgkmcnt(0)
	s_nop 3
	global_store_dword v15, v16, s[4:5]
.LBB1910_203:
	s_or_b64 exec, exec, s[2:3]
	v_or_b32_e32 v15, 0x600, v0
	v_cmp_ge_u32_e32 vcc, v15, v5
	s_and_saveexec_b64 s[2:3], vcc
	s_xor_b64 s[2:3], exec, s[2:3]
	s_cbranch_execz .LBB1910_209
; %bb.204:
	v_cmp_ge_u32_e32 vcc, v15, v14
	s_and_saveexec_b64 s[4:5], vcc
	s_xor_b64 s[4:5], exec, s[4:5]
	s_cbranch_execz .LBB1910_206
; %bb.205:
	v_add_co_u32_e32 v15, vcc, v7, v15
	v_lshlrev_b32_e32 v17, 2, v0
	v_addc_co_u32_e32 v16, vcc, 0, v13, vcc
	ds_read_b32 v17, v17 offset:6144
	v_lshlrev_b64 v[15:16], 2, v[15:16]
	v_mov_b32_e32 v18, s31
	v_sub_co_u32_e32 v15, vcc, s30, v15
	v_subb_co_u32_e32 v16, vcc, v18, v16, vcc
	s_waitcnt lgkmcnt(0)
	global_store_dword v[15:16], v17, off offset:-4
                                        ; implicit-def: $vgpr15
.LBB1910_206:
	s_andn2_saveexec_b64 s[4:5], s[4:5]
	s_cbranch_execz .LBB1910_208
; %bb.207:
	v_lshlrev_b32_e32 v16, 2, v0
	ds_read_b32 v16, v16 offset:6144
	v_lshlrev_b32_e32 v15, 2, v15
	v_readfirstlane_b32 s6, v9
	v_readfirstlane_b32 s7, v10
	s_waitcnt lgkmcnt(0)
	s_nop 3
	global_store_dword v15, v16, s[6:7]
.LBB1910_208:
	s_or_b64 exec, exec, s[4:5]
                                        ; implicit-def: $vgpr15
.LBB1910_209:
	s_andn2_saveexec_b64 s[2:3], s[2:3]
	s_cbranch_execz .LBB1910_211
; %bb.210:
	v_lshlrev_b32_e32 v16, 2, v0
	ds_read_b32 v16, v16 offset:6144
	v_lshlrev_b32_e32 v15, 2, v15
	v_readfirstlane_b32 s4, v11
	v_readfirstlane_b32 s5, v12
	s_waitcnt lgkmcnt(0)
	s_nop 3
	global_store_dword v15, v16, s[4:5]
.LBB1910_211:
	s_or_b64 exec, exec, s[2:3]
	v_or_b32_e32 v15, 0x700, v0
	v_cmp_ge_u32_e32 vcc, v15, v5
	s_and_saveexec_b64 s[2:3], vcc
	s_xor_b64 s[2:3], exec, s[2:3]
	s_cbranch_execz .LBB1910_217
; %bb.212:
	v_cmp_ge_u32_e32 vcc, v15, v14
	s_and_saveexec_b64 s[4:5], vcc
	s_xor_b64 s[4:5], exec, s[4:5]
	s_cbranch_execz .LBB1910_214
; %bb.213:
	v_add_co_u32_e32 v15, vcc, v7, v15
	v_lshlrev_b32_e32 v17, 2, v0
	v_addc_co_u32_e32 v16, vcc, 0, v13, vcc
	ds_read_b32 v17, v17 offset:7168
	v_lshlrev_b64 v[15:16], 2, v[15:16]
	v_mov_b32_e32 v18, s31
	v_sub_co_u32_e32 v15, vcc, s30, v15
	v_subb_co_u32_e32 v16, vcc, v18, v16, vcc
	s_waitcnt lgkmcnt(0)
	global_store_dword v[15:16], v17, off offset:-4
                                        ; implicit-def: $vgpr15
.LBB1910_214:
	s_andn2_saveexec_b64 s[4:5], s[4:5]
	s_cbranch_execz .LBB1910_216
; %bb.215:
	v_lshlrev_b32_e32 v16, 2, v0
	ds_read_b32 v16, v16 offset:7168
	v_lshlrev_b32_e32 v15, 2, v15
	v_readfirstlane_b32 s6, v9
	v_readfirstlane_b32 s7, v10
	s_waitcnt lgkmcnt(0)
	s_nop 3
	global_store_dword v15, v16, s[6:7]
.LBB1910_216:
	s_or_b64 exec, exec, s[4:5]
                                        ; implicit-def: $vgpr15
.LBB1910_217:
	s_andn2_saveexec_b64 s[2:3], s[2:3]
	s_cbranch_execz .LBB1910_219
; %bb.218:
	v_lshlrev_b32_e32 v16, 2, v0
	ds_read_b32 v16, v16 offset:7168
	v_lshlrev_b32_e32 v15, 2, v15
	v_readfirstlane_b32 s4, v11
	v_readfirstlane_b32 s5, v12
	s_waitcnt lgkmcnt(0)
	s_nop 3
	global_store_dword v15, v16, s[4:5]
.LBB1910_219:
	s_or_b64 exec, exec, s[2:3]
	v_or_b32_e32 v15, 0x800, v0
	v_cmp_ge_u32_e32 vcc, v15, v5
	s_and_saveexec_b64 s[2:3], vcc
	s_xor_b64 s[2:3], exec, s[2:3]
	s_cbranch_execz .LBB1910_225
; %bb.220:
	v_cmp_ge_u32_e32 vcc, v15, v14
	s_and_saveexec_b64 s[4:5], vcc
	s_xor_b64 s[4:5], exec, s[4:5]
	s_cbranch_execz .LBB1910_222
; %bb.221:
	v_add_co_u32_e32 v15, vcc, v7, v15
	v_lshlrev_b32_e32 v17, 2, v0
	v_addc_co_u32_e32 v16, vcc, 0, v13, vcc
	ds_read_b32 v17, v17 offset:8192
	v_lshlrev_b64 v[15:16], 2, v[15:16]
	v_mov_b32_e32 v18, s31
	v_sub_co_u32_e32 v15, vcc, s30, v15
	v_subb_co_u32_e32 v16, vcc, v18, v16, vcc
	s_waitcnt lgkmcnt(0)
	global_store_dword v[15:16], v17, off offset:-4
                                        ; implicit-def: $vgpr15
.LBB1910_222:
	s_andn2_saveexec_b64 s[4:5], s[4:5]
	s_cbranch_execz .LBB1910_224
; %bb.223:
	v_lshlrev_b32_e32 v16, 2, v0
	ds_read_b32 v16, v16 offset:8192
	v_lshlrev_b32_e32 v15, 2, v15
	v_readfirstlane_b32 s6, v9
	v_readfirstlane_b32 s7, v10
	s_waitcnt lgkmcnt(0)
	s_nop 3
	global_store_dword v15, v16, s[6:7]
.LBB1910_224:
	s_or_b64 exec, exec, s[4:5]
                                        ; implicit-def: $vgpr15
.LBB1910_225:
	s_andn2_saveexec_b64 s[2:3], s[2:3]
	s_cbranch_execz .LBB1910_227
; %bb.226:
	v_lshlrev_b32_e32 v16, 2, v0
	ds_read_b32 v16, v16 offset:8192
	v_lshlrev_b32_e32 v15, 2, v15
	v_readfirstlane_b32 s4, v11
	v_readfirstlane_b32 s5, v12
	s_waitcnt lgkmcnt(0)
	s_nop 3
	global_store_dword v15, v16, s[4:5]
.LBB1910_227:
	s_or_b64 exec, exec, s[2:3]
	v_or_b32_e32 v15, 0x900, v0
	v_cmp_ge_u32_e32 vcc, v15, v5
	s_and_saveexec_b64 s[2:3], vcc
	s_xor_b64 s[2:3], exec, s[2:3]
	s_cbranch_execz .LBB1910_233
; %bb.228:
	v_cmp_ge_u32_e32 vcc, v15, v14
	s_and_saveexec_b64 s[4:5], vcc
	s_xor_b64 s[4:5], exec, s[4:5]
	s_cbranch_execz .LBB1910_230
; %bb.229:
	v_add_co_u32_e32 v15, vcc, v7, v15
	v_lshlrev_b32_e32 v17, 2, v0
	v_addc_co_u32_e32 v16, vcc, 0, v13, vcc
	ds_read_b32 v17, v17 offset:9216
	v_lshlrev_b64 v[15:16], 2, v[15:16]
	v_mov_b32_e32 v18, s31
	v_sub_co_u32_e32 v15, vcc, s30, v15
	v_subb_co_u32_e32 v16, vcc, v18, v16, vcc
	s_waitcnt lgkmcnt(0)
	global_store_dword v[15:16], v17, off offset:-4
                                        ; implicit-def: $vgpr15
.LBB1910_230:
	s_andn2_saveexec_b64 s[4:5], s[4:5]
	s_cbranch_execz .LBB1910_232
; %bb.231:
	v_lshlrev_b32_e32 v16, 2, v0
	ds_read_b32 v16, v16 offset:9216
	v_lshlrev_b32_e32 v15, 2, v15
	v_readfirstlane_b32 s6, v9
	v_readfirstlane_b32 s7, v10
	s_waitcnt lgkmcnt(0)
	s_nop 3
	global_store_dword v15, v16, s[6:7]
.LBB1910_232:
	s_or_b64 exec, exec, s[4:5]
                                        ; implicit-def: $vgpr15
.LBB1910_233:
	s_andn2_saveexec_b64 s[2:3], s[2:3]
	s_cbranch_execz .LBB1910_235
; %bb.234:
	v_lshlrev_b32_e32 v16, 2, v0
	ds_read_b32 v16, v16 offset:9216
	v_lshlrev_b32_e32 v15, 2, v15
	v_readfirstlane_b32 s4, v11
	v_readfirstlane_b32 s5, v12
	s_waitcnt lgkmcnt(0)
	s_nop 3
	global_store_dword v15, v16, s[4:5]
.LBB1910_235:
	s_or_b64 exec, exec, s[2:3]
	v_or_b32_e32 v15, 0xa00, v0
	v_cmp_ge_u32_e32 vcc, v15, v5
	s_and_saveexec_b64 s[2:3], vcc
	s_xor_b64 s[2:3], exec, s[2:3]
	s_cbranch_execz .LBB1910_241
; %bb.236:
	v_cmp_ge_u32_e32 vcc, v15, v14
	s_and_saveexec_b64 s[4:5], vcc
	s_xor_b64 s[4:5], exec, s[4:5]
	s_cbranch_execz .LBB1910_238
; %bb.237:
	v_add_co_u32_e32 v15, vcc, v7, v15
	v_lshlrev_b32_e32 v17, 2, v0
	v_addc_co_u32_e32 v16, vcc, 0, v13, vcc
	ds_read_b32 v17, v17 offset:10240
	v_lshlrev_b64 v[15:16], 2, v[15:16]
	v_mov_b32_e32 v18, s31
	v_sub_co_u32_e32 v15, vcc, s30, v15
	v_subb_co_u32_e32 v16, vcc, v18, v16, vcc
	s_waitcnt lgkmcnt(0)
	global_store_dword v[15:16], v17, off offset:-4
                                        ; implicit-def: $vgpr15
.LBB1910_238:
	s_andn2_saveexec_b64 s[4:5], s[4:5]
	s_cbranch_execz .LBB1910_240
; %bb.239:
	v_lshlrev_b32_e32 v16, 2, v0
	ds_read_b32 v16, v16 offset:10240
	v_lshlrev_b32_e32 v15, 2, v15
	v_readfirstlane_b32 s6, v9
	v_readfirstlane_b32 s7, v10
	s_waitcnt lgkmcnt(0)
	s_nop 3
	global_store_dword v15, v16, s[6:7]
.LBB1910_240:
	s_or_b64 exec, exec, s[4:5]
                                        ; implicit-def: $vgpr15
.LBB1910_241:
	s_andn2_saveexec_b64 s[2:3], s[2:3]
	s_cbranch_execz .LBB1910_243
; %bb.242:
	v_lshlrev_b32_e32 v16, 2, v0
	ds_read_b32 v16, v16 offset:10240
	v_lshlrev_b32_e32 v15, 2, v15
	v_readfirstlane_b32 s4, v11
	v_readfirstlane_b32 s5, v12
	s_waitcnt lgkmcnt(0)
	s_nop 3
	global_store_dword v15, v16, s[4:5]
.LBB1910_243:
	s_or_b64 exec, exec, s[2:3]
	v_or_b32_e32 v15, 0xb00, v0
	v_cmp_ge_u32_e32 vcc, v15, v5
	s_and_saveexec_b64 s[2:3], vcc
	s_xor_b64 s[2:3], exec, s[2:3]
	s_cbranch_execz .LBB1910_249
; %bb.244:
	v_cmp_ge_u32_e32 vcc, v15, v14
	s_and_saveexec_b64 s[4:5], vcc
	s_xor_b64 s[4:5], exec, s[4:5]
	s_cbranch_execz .LBB1910_246
; %bb.245:
	v_add_co_u32_e32 v15, vcc, v7, v15
	v_lshlrev_b32_e32 v17, 2, v0
	v_addc_co_u32_e32 v16, vcc, 0, v13, vcc
	ds_read_b32 v17, v17 offset:11264
	v_lshlrev_b64 v[15:16], 2, v[15:16]
	v_mov_b32_e32 v18, s31
	v_sub_co_u32_e32 v15, vcc, s30, v15
	v_subb_co_u32_e32 v16, vcc, v18, v16, vcc
	s_waitcnt lgkmcnt(0)
	global_store_dword v[15:16], v17, off offset:-4
                                        ; implicit-def: $vgpr15
.LBB1910_246:
	s_andn2_saveexec_b64 s[4:5], s[4:5]
	s_cbranch_execz .LBB1910_248
; %bb.247:
	v_lshlrev_b32_e32 v16, 2, v0
	ds_read_b32 v16, v16 offset:11264
	v_lshlrev_b32_e32 v15, 2, v15
	v_readfirstlane_b32 s6, v9
	v_readfirstlane_b32 s7, v10
	s_waitcnt lgkmcnt(0)
	s_nop 3
	global_store_dword v15, v16, s[6:7]
.LBB1910_248:
	s_or_b64 exec, exec, s[4:5]
                                        ; implicit-def: $vgpr15
.LBB1910_249:
	s_andn2_saveexec_b64 s[2:3], s[2:3]
	s_cbranch_execz .LBB1910_251
; %bb.250:
	v_lshlrev_b32_e32 v16, 2, v0
	ds_read_b32 v16, v16 offset:11264
	v_lshlrev_b32_e32 v15, 2, v15
	v_readfirstlane_b32 s4, v11
	v_readfirstlane_b32 s5, v12
	s_waitcnt lgkmcnt(0)
	s_nop 3
	global_store_dword v15, v16, s[4:5]
.LBB1910_251:
	s_or_b64 exec, exec, s[2:3]
	v_or_b32_e32 v15, 0xc00, v0
	v_cmp_ge_u32_e32 vcc, v15, v5
	s_and_saveexec_b64 s[2:3], vcc
	s_xor_b64 s[2:3], exec, s[2:3]
	s_cbranch_execz .LBB1910_257
; %bb.252:
	v_cmp_ge_u32_e32 vcc, v15, v14
	s_and_saveexec_b64 s[4:5], vcc
	s_xor_b64 s[4:5], exec, s[4:5]
	s_cbranch_execz .LBB1910_254
; %bb.253:
	v_add_co_u32_e32 v15, vcc, v7, v15
	v_lshlrev_b32_e32 v17, 2, v0
	v_addc_co_u32_e32 v16, vcc, 0, v13, vcc
	ds_read_b32 v17, v17 offset:12288
	v_lshlrev_b64 v[15:16], 2, v[15:16]
	v_mov_b32_e32 v18, s31
	v_sub_co_u32_e32 v15, vcc, s30, v15
	v_subb_co_u32_e32 v16, vcc, v18, v16, vcc
	s_waitcnt lgkmcnt(0)
	global_store_dword v[15:16], v17, off offset:-4
                                        ; implicit-def: $vgpr15
.LBB1910_254:
	s_andn2_saveexec_b64 s[4:5], s[4:5]
	s_cbranch_execz .LBB1910_256
; %bb.255:
	v_lshlrev_b32_e32 v16, 2, v0
	ds_read_b32 v16, v16 offset:12288
	v_lshlrev_b32_e32 v15, 2, v15
	v_readfirstlane_b32 s6, v9
	v_readfirstlane_b32 s7, v10
	s_waitcnt lgkmcnt(0)
	s_nop 3
	global_store_dword v15, v16, s[6:7]
.LBB1910_256:
	s_or_b64 exec, exec, s[4:5]
                                        ; implicit-def: $vgpr15
.LBB1910_257:
	s_andn2_saveexec_b64 s[2:3], s[2:3]
	s_cbranch_execz .LBB1910_259
; %bb.258:
	v_lshlrev_b32_e32 v16, 2, v0
	ds_read_b32 v16, v16 offset:12288
	v_lshlrev_b32_e32 v15, 2, v15
	v_readfirstlane_b32 s4, v11
	v_readfirstlane_b32 s5, v12
	s_waitcnt lgkmcnt(0)
	s_nop 3
	global_store_dword v15, v16, s[4:5]
.LBB1910_259:
	s_or_b64 exec, exec, s[2:3]
	s_branch .LBB1910_153
.LBB1910_260:
	v_cmp_gt_u32_e32 vcc, s16, v0
	s_and_saveexec_b64 s[2:3], vcc
	s_cbranch_execz .LBB1910_269
; %bb.261:
	v_cmp_ge_u32_e32 vcc, v0, v5
	s_and_saveexec_b64 s[4:5], vcc
	s_xor_b64 s[4:5], exec, s[4:5]
	s_cbranch_execz .LBB1910_267
; %bb.262:
	v_cmp_ge_u32_e32 vcc, v0, v14
	s_and_saveexec_b64 s[6:7], vcc
	s_xor_b64 s[6:7], exec, s[6:7]
	s_cbranch_execz .LBB1910_264
; %bb.263:
	v_add_co_u32_e32 v15, vcc, v7, v0
	v_lshlrev_b32_e32 v17, 2, v0
	v_addc_co_u32_e32 v16, vcc, 0, v13, vcc
	ds_read_b32 v17, v17
	v_lshlrev_b64 v[15:16], 2, v[15:16]
	v_mov_b32_e32 v18, s31
	v_sub_co_u32_e32 v15, vcc, s30, v15
	v_subb_co_u32_e32 v16, vcc, v18, v16, vcc
	s_waitcnt lgkmcnt(0)
	global_store_dword v[15:16], v17, off offset:-4
.LBB1910_264:
	s_andn2_saveexec_b64 s[6:7], s[6:7]
	s_cbranch_execz .LBB1910_266
; %bb.265:
	v_lshlrev_b32_e32 v15, 2, v0
	ds_read_b32 v16, v15
	v_readfirstlane_b32 s8, v9
	v_readfirstlane_b32 s9, v10
	s_waitcnt lgkmcnt(0)
	s_nop 3
	global_store_dword v15, v16, s[8:9]
.LBB1910_266:
	s_or_b64 exec, exec, s[6:7]
.LBB1910_267:
	s_andn2_saveexec_b64 s[4:5], s[4:5]
	s_cbranch_execz .LBB1910_269
; %bb.268:
	v_lshlrev_b32_e32 v15, 2, v0
	ds_read_b32 v16, v15
	v_readfirstlane_b32 s4, v11
	v_readfirstlane_b32 s5, v12
	s_waitcnt lgkmcnt(0)
	s_nop 3
	global_store_dword v15, v16, s[4:5]
.LBB1910_269:
	s_or_b64 exec, exec, s[2:3]
	v_or_b32_e32 v15, 0x100, v0
	v_cmp_gt_u32_e32 vcc, s16, v15
	s_and_saveexec_b64 s[2:3], vcc
	s_cbranch_execz .LBB1910_278
; %bb.270:
	v_cmp_ge_u32_e32 vcc, v15, v5
	s_and_saveexec_b64 s[4:5], vcc
	s_xor_b64 s[4:5], exec, s[4:5]
	s_cbranch_execz .LBB1910_276
; %bb.271:
	v_cmp_ge_u32_e32 vcc, v15, v14
	s_and_saveexec_b64 s[6:7], vcc
	s_xor_b64 s[6:7], exec, s[6:7]
	s_cbranch_execz .LBB1910_273
; %bb.272:
	v_lshlrev_b32_e32 v15, 2, v0
	ds_read_b32 v17, v15 offset:1024
	v_add_co_u32_e32 v15, vcc, v7, v0
	v_addc_co_u32_e32 v16, vcc, 0, v13, vcc
	v_lshlrev_b64 v[15:16], 2, v[15:16]
	v_mov_b32_e32 v18, s31
	v_sub_co_u32_e32 v15, vcc, s30, v15
	v_subb_co_u32_e32 v16, vcc, v18, v16, vcc
	s_waitcnt lgkmcnt(0)
	global_store_dword v[15:16], v17, off offset:-1028
.LBB1910_273:
	s_andn2_saveexec_b64 s[6:7], s[6:7]
	s_cbranch_execz .LBB1910_275
; %bb.274:
	v_lshlrev_b32_e32 v15, 2, v0
	ds_read_b32 v16, v15 offset:1024
	v_readfirstlane_b32 s8, v9
	v_readfirstlane_b32 s9, v10
	s_waitcnt lgkmcnt(0)
	s_nop 3
	global_store_dword v15, v16, s[8:9] offset:1024
.LBB1910_275:
	s_or_b64 exec, exec, s[6:7]
.LBB1910_276:
	s_andn2_saveexec_b64 s[4:5], s[4:5]
	s_cbranch_execz .LBB1910_278
; %bb.277:
	v_lshlrev_b32_e32 v15, 2, v0
	ds_read_b32 v16, v15 offset:1024
	v_readfirstlane_b32 s4, v11
	v_readfirstlane_b32 s5, v12
	s_waitcnt lgkmcnt(0)
	s_nop 3
	global_store_dword v15, v16, s[4:5] offset:1024
.LBB1910_278:
	s_or_b64 exec, exec, s[2:3]
	v_or_b32_e32 v15, 0x200, v0
	v_cmp_gt_u32_e32 vcc, s16, v15
	s_and_saveexec_b64 s[2:3], vcc
	s_cbranch_execz .LBB1910_287
; %bb.279:
	v_cmp_ge_u32_e32 vcc, v15, v5
	s_and_saveexec_b64 s[4:5], vcc
	s_xor_b64 s[4:5], exec, s[4:5]
	s_cbranch_execz .LBB1910_285
; %bb.280:
	v_cmp_ge_u32_e32 vcc, v15, v14
	s_and_saveexec_b64 s[6:7], vcc
	s_xor_b64 s[6:7], exec, s[6:7]
	s_cbranch_execz .LBB1910_282
; %bb.281:
	v_lshlrev_b32_e32 v15, 2, v0
	ds_read_b32 v17, v15 offset:2048
	v_add_co_u32_e32 v15, vcc, v7, v0
	v_addc_co_u32_e32 v16, vcc, 0, v13, vcc
	v_lshlrev_b64 v[15:16], 2, v[15:16]
	v_mov_b32_e32 v18, s31
	v_sub_co_u32_e32 v15, vcc, s30, v15
	v_subb_co_u32_e32 v16, vcc, v18, v16, vcc
	s_waitcnt lgkmcnt(0)
	global_store_dword v[15:16], v17, off offset:-2052
.LBB1910_282:
	s_andn2_saveexec_b64 s[6:7], s[6:7]
	s_cbranch_execz .LBB1910_284
; %bb.283:
	v_lshlrev_b32_e32 v15, 2, v0
	ds_read_b32 v16, v15 offset:2048
	v_readfirstlane_b32 s8, v9
	v_readfirstlane_b32 s9, v10
	s_waitcnt lgkmcnt(0)
	s_nop 3
	global_store_dword v15, v16, s[8:9] offset:2048
.LBB1910_284:
	s_or_b64 exec, exec, s[6:7]
.LBB1910_285:
	s_andn2_saveexec_b64 s[4:5], s[4:5]
	s_cbranch_execz .LBB1910_287
; %bb.286:
	v_lshlrev_b32_e32 v15, 2, v0
	ds_read_b32 v16, v15 offset:2048
	v_readfirstlane_b32 s4, v11
	v_readfirstlane_b32 s5, v12
	s_waitcnt lgkmcnt(0)
	s_nop 3
	global_store_dword v15, v16, s[4:5] offset:2048
.LBB1910_287:
	;; [unrolled: 51-line block ×3, first 2 shown]
	s_or_b64 exec, exec, s[2:3]
	v_or_b32_e32 v15, 0x400, v0
	v_cmp_gt_u32_e32 vcc, s16, v15
	s_and_saveexec_b64 s[2:3], vcc
	s_cbranch_execz .LBB1910_305
; %bb.297:
	v_cmp_ge_u32_e32 vcc, v15, v5
	s_and_saveexec_b64 s[4:5], vcc
	s_xor_b64 s[4:5], exec, s[4:5]
	s_cbranch_execz .LBB1910_303
; %bb.298:
	v_cmp_ge_u32_e32 vcc, v15, v14
	s_and_saveexec_b64 s[6:7], vcc
	s_xor_b64 s[6:7], exec, s[6:7]
	s_cbranch_execz .LBB1910_300
; %bb.299:
	v_lshlrev_b32_e32 v15, 2, v0
	ds_read_b32 v17, v15 offset:4096
	v_add_co_u32_e32 v15, vcc, v7, v0
	v_addc_co_u32_e32 v16, vcc, 0, v13, vcc
	v_lshlrev_b64 v[15:16], 2, v[15:16]
	v_mov_b32_e32 v18, s31
	v_sub_co_u32_e32 v15, vcc, s30, v15
	v_subb_co_u32_e32 v16, vcc, v18, v16, vcc
	v_add_co_u32_e32 v15, vcc, 0xfffff000, v15
	v_addc_co_u32_e32 v16, vcc, -1, v16, vcc
	s_waitcnt lgkmcnt(0)
	global_store_dword v[15:16], v17, off offset:-4
                                        ; implicit-def: $vgpr15
.LBB1910_300:
	s_andn2_saveexec_b64 s[6:7], s[6:7]
	s_cbranch_execz .LBB1910_302
; %bb.301:
	v_lshlrev_b32_e32 v16, 2, v0
	ds_read_b32 v16, v16 offset:4096
	v_lshlrev_b32_e32 v15, 2, v15
	v_readfirstlane_b32 s8, v9
	v_readfirstlane_b32 s9, v10
	s_waitcnt lgkmcnt(0)
	s_nop 3
	global_store_dword v15, v16, s[8:9]
.LBB1910_302:
	s_or_b64 exec, exec, s[6:7]
                                        ; implicit-def: $vgpr15
.LBB1910_303:
	s_andn2_saveexec_b64 s[4:5], s[4:5]
	s_cbranch_execz .LBB1910_305
; %bb.304:
	v_lshlrev_b32_e32 v16, 2, v0
	ds_read_b32 v16, v16 offset:4096
	v_lshlrev_b32_e32 v15, 2, v15
	v_readfirstlane_b32 s4, v11
	v_readfirstlane_b32 s5, v12
	s_waitcnt lgkmcnt(0)
	s_nop 3
	global_store_dword v15, v16, s[4:5]
.LBB1910_305:
	s_or_b64 exec, exec, s[2:3]
	v_or_b32_e32 v15, 0x500, v0
	v_cmp_gt_u32_e32 vcc, s16, v15
	s_and_saveexec_b64 s[2:3], vcc
	s_cbranch_execz .LBB1910_314
; %bb.306:
	v_cmp_ge_u32_e32 vcc, v15, v5
	s_and_saveexec_b64 s[4:5], vcc
	s_xor_b64 s[4:5], exec, s[4:5]
	s_cbranch_execz .LBB1910_312
; %bb.307:
	v_cmp_ge_u32_e32 vcc, v15, v14
	s_and_saveexec_b64 s[6:7], vcc
	s_xor_b64 s[6:7], exec, s[6:7]
	s_cbranch_execz .LBB1910_309
; %bb.308:
	v_add_co_u32_e32 v15, vcc, v7, v15
	v_lshlrev_b32_e32 v17, 2, v0
	v_addc_co_u32_e32 v16, vcc, 0, v13, vcc
	ds_read_b32 v17, v17 offset:5120
	v_lshlrev_b64 v[15:16], 2, v[15:16]
	v_mov_b32_e32 v18, s31
	v_sub_co_u32_e32 v15, vcc, s30, v15
	v_subb_co_u32_e32 v16, vcc, v18, v16, vcc
	s_waitcnt lgkmcnt(0)
	global_store_dword v[15:16], v17, off offset:-4
                                        ; implicit-def: $vgpr15
.LBB1910_309:
	s_andn2_saveexec_b64 s[6:7], s[6:7]
	s_cbranch_execz .LBB1910_311
; %bb.310:
	v_lshlrev_b32_e32 v16, 2, v0
	ds_read_b32 v16, v16 offset:5120
	v_lshlrev_b32_e32 v15, 2, v15
	v_readfirstlane_b32 s8, v9
	v_readfirstlane_b32 s9, v10
	s_waitcnt lgkmcnt(0)
	s_nop 3
	global_store_dword v15, v16, s[8:9]
.LBB1910_311:
	s_or_b64 exec, exec, s[6:7]
                                        ; implicit-def: $vgpr15
.LBB1910_312:
	s_andn2_saveexec_b64 s[4:5], s[4:5]
	s_cbranch_execz .LBB1910_314
; %bb.313:
	v_lshlrev_b32_e32 v16, 2, v0
	ds_read_b32 v16, v16 offset:5120
	v_lshlrev_b32_e32 v15, 2, v15
	v_readfirstlane_b32 s4, v11
	v_readfirstlane_b32 s5, v12
	s_waitcnt lgkmcnt(0)
	s_nop 3
	global_store_dword v15, v16, s[4:5]
.LBB1910_314:
	s_or_b64 exec, exec, s[2:3]
	v_or_b32_e32 v15, 0x600, v0
	v_cmp_gt_u32_e32 vcc, s16, v15
	s_and_saveexec_b64 s[2:3], vcc
	s_cbranch_execz .LBB1910_323
; %bb.315:
	v_cmp_ge_u32_e32 vcc, v15, v5
	s_and_saveexec_b64 s[4:5], vcc
	s_xor_b64 s[4:5], exec, s[4:5]
	s_cbranch_execz .LBB1910_321
; %bb.316:
	v_cmp_ge_u32_e32 vcc, v15, v14
	s_and_saveexec_b64 s[6:7], vcc
	s_xor_b64 s[6:7], exec, s[6:7]
	s_cbranch_execz .LBB1910_318
; %bb.317:
	v_add_co_u32_e32 v15, vcc, v7, v15
	v_lshlrev_b32_e32 v17, 2, v0
	v_addc_co_u32_e32 v16, vcc, 0, v13, vcc
	ds_read_b32 v17, v17 offset:6144
	v_lshlrev_b64 v[15:16], 2, v[15:16]
	v_mov_b32_e32 v18, s31
	v_sub_co_u32_e32 v15, vcc, s30, v15
	v_subb_co_u32_e32 v16, vcc, v18, v16, vcc
	s_waitcnt lgkmcnt(0)
	global_store_dword v[15:16], v17, off offset:-4
                                        ; implicit-def: $vgpr15
.LBB1910_318:
	s_andn2_saveexec_b64 s[6:7], s[6:7]
	s_cbranch_execz .LBB1910_320
; %bb.319:
	v_lshlrev_b32_e32 v16, 2, v0
	ds_read_b32 v16, v16 offset:6144
	v_lshlrev_b32_e32 v15, 2, v15
	v_readfirstlane_b32 s8, v9
	v_readfirstlane_b32 s9, v10
	s_waitcnt lgkmcnt(0)
	s_nop 3
	global_store_dword v15, v16, s[8:9]
.LBB1910_320:
	s_or_b64 exec, exec, s[6:7]
                                        ; implicit-def: $vgpr15
.LBB1910_321:
	s_andn2_saveexec_b64 s[4:5], s[4:5]
	s_cbranch_execz .LBB1910_323
; %bb.322:
	v_lshlrev_b32_e32 v16, 2, v0
	ds_read_b32 v16, v16 offset:6144
	v_lshlrev_b32_e32 v15, 2, v15
	v_readfirstlane_b32 s4, v11
	v_readfirstlane_b32 s5, v12
	s_waitcnt lgkmcnt(0)
	s_nop 3
	global_store_dword v15, v16, s[4:5]
.LBB1910_323:
	;; [unrolled: 55-line block ×7, first 2 shown]
	s_or_b64 exec, exec, s[2:3]
	v_or_b32_e32 v15, 0xc00, v0
	v_cmp_gt_u32_e32 vcc, s16, v15
	s_and_saveexec_b64 s[2:3], vcc
	s_cbranch_execz .LBB1910_377
; %bb.369:
	v_cmp_ge_u32_e32 vcc, v15, v5
	s_and_saveexec_b64 s[4:5], vcc
	s_xor_b64 s[4:5], exec, s[4:5]
	s_cbranch_execz .LBB1910_375
; %bb.370:
	v_cmp_ge_u32_e32 vcc, v15, v14
	s_and_saveexec_b64 s[6:7], vcc
	s_xor_b64 s[6:7], exec, s[6:7]
	s_cbranch_execz .LBB1910_372
; %bb.371:
	v_add_co_u32_e32 v9, vcc, v7, v15
	v_lshlrev_b32_e32 v0, 2, v0
	v_addc_co_u32_e32 v10, vcc, 0, v13, vcc
	ds_read_b32 v0, v0 offset:12288
	v_lshlrev_b64 v[9:10], 2, v[9:10]
	v_mov_b32_e32 v7, s31
	v_sub_co_u32_e32 v9, vcc, s30, v9
	v_subb_co_u32_e32 v10, vcc, v7, v10, vcc
	s_waitcnt lgkmcnt(0)
	global_store_dword v[9:10], v0, off offset:-4
                                        ; implicit-def: $vgpr0
                                        ; implicit-def: $vgpr15
                                        ; implicit-def: $vgpr9_vgpr10
.LBB1910_372:
	s_andn2_saveexec_b64 s[6:7], s[6:7]
	s_cbranch_execz .LBB1910_374
; %bb.373:
	v_lshlrev_b32_e32 v0, 2, v0
	ds_read_b32 v0, v0 offset:12288
	v_lshlrev_b32_e32 v7, 2, v15
	v_readfirstlane_b32 s8, v9
	v_readfirstlane_b32 s9, v10
	s_waitcnt lgkmcnt(0)
	s_nop 3
	global_store_dword v7, v0, s[8:9]
.LBB1910_374:
	s_or_b64 exec, exec, s[6:7]
                                        ; implicit-def: $vgpr0
                                        ; implicit-def: $vgpr15
                                        ; implicit-def: $vgpr11_vgpr12
.LBB1910_375:
	s_andn2_saveexec_b64 s[4:5], s[4:5]
	s_cbranch_execz .LBB1910_377
; %bb.376:
	v_lshlrev_b32_e32 v0, 2, v0
	ds_read_b32 v0, v0 offset:12288
	v_lshlrev_b32_e32 v7, 2, v15
	v_readfirstlane_b32 s4, v11
	v_readfirstlane_b32 s5, v12
	s_waitcnt lgkmcnt(0)
	s_nop 3
	global_store_dword v7, v0, s[4:5]
.LBB1910_377:
	s_or_b64 exec, exec, s[2:3]
	s_and_b64 s[0:1], s[0:1], s[34:35]
	s_and_saveexec_b64 s[2:3], s[0:1]
	s_cbranch_execz .LBB1910_154
.LBB1910_378:
	v_add_co_u32_e32 v3, vcc, v3, v6
	v_addc_co_u32_e32 v4, vcc, 0, v4, vcc
	v_add_co_u32_e32 v3, vcc, v3, v8
	v_addc_co_u32_e32 v4, vcc, 0, v4, vcc
	v_add_co_u32_e32 v1, vcc, v1, v5
	v_mov_b32_e32 v0, 0
	v_addc_co_u32_e32 v2, vcc, 0, v2, vcc
	global_store_dwordx4 v0, v[1:4], s[44:45]
	s_endpgm
.LBB1910_379:
	s_add_i32 s14, s33, 64
	s_mov_b32 s15, 0
	s_lshl_b64 s[14:15], s[14:15], 4
	s_add_u32 s14, s54, s14
	s_addc_u32 s15, s55, s15
	v_mov_b32_e32 v28, s15
	v_add_u32_e32 v10, v8, v6
	v_add_u32_e32 v9, v7, v5
	v_mov_b32_e32 v11, 2
	v_mov_b32_e32 v12, 0
	;; [unrolled: 1-line block ×3, first 2 shown]
	;;#ASMSTART
	global_store_dwordx4 v[27:28], v[9:12] off	
s_waitcnt vmcnt(0)
	;;#ASMEND
	s_or_b64 exec, exec, s[12:13]
	s_and_saveexec_b64 s[12:13], s[8:9]
	s_cbranch_execz .LBB1910_139
.LBB1910_380:
	v_mov_b32_e32 v9, 0
	ds_write_b128 v9, v[5:8] offset:13312
	s_or_b64 exec, exec, s[12:13]
	s_and_b64 exec, exec, s[0:1]
	s_cbranch_execnz .LBB1910_140
	s_branch .LBB1910_141
	.section	.rodata,"a",@progbits
	.p2align	6, 0x0
	.amdhsa_kernel _ZN7rocprim17ROCPRIM_400000_NS6detail17trampoline_kernelINS0_13select_configILj256ELj13ELNS0_17block_load_methodE3ELS4_3ELS4_3ELNS0_20block_scan_algorithmE0ELj4294967295EEENS1_25partition_config_selectorILNS1_17partition_subalgoE4EjNS0_10empty_typeEbEEZZNS1_14partition_implILS8_4ELb0ES6_15HIP_vector_typeIjLj2EENS0_17counting_iteratorIjlEEPS9_SG_NS0_5tupleIJPjSI_NS0_16reverse_iteratorISI_EEEEENSH_IJSG_SG_SG_EEES9_SI_JZNS1_25segmented_radix_sort_implINS0_14default_configELb1EPK12hip_bfloat16PSP_PKlPlN2at6native12_GLOBAL__N_18offset_tEEE10hipError_tPvRmT1_PNSt15iterator_traitsIS13_E10value_typeET2_T3_PNS14_IS19_E10value_typeET4_jRbjT5_S1F_jjP12ihipStream_tbEUljE_ZNSN_ISO_Lb1ESR_SS_SU_SV_SZ_EES10_S11_S12_S13_S17_S18_S19_S1C_S1D_jS1E_jS1F_S1F_jjS1H_bEUljE0_EEES10_S11_S12_S19_S1D_S1F_T6_T7_T9_mT8_S1H_bDpT10_ENKUlT_T0_E_clISt17integral_constantIbLb0EES1U_IbLb1EEEEDaS1Q_S1R_EUlS1Q_E_NS1_11comp_targetILNS1_3genE2ELNS1_11target_archE906ELNS1_3gpuE6ELNS1_3repE0EEENS1_30default_config_static_selectorELNS0_4arch9wavefront6targetE1EEEvS13_
		.amdhsa_group_segment_fixed_size 13328
		.amdhsa_private_segment_fixed_size 0
		.amdhsa_kernarg_size 184
		.amdhsa_user_sgpr_count 6
		.amdhsa_user_sgpr_private_segment_buffer 1
		.amdhsa_user_sgpr_dispatch_ptr 0
		.amdhsa_user_sgpr_queue_ptr 0
		.amdhsa_user_sgpr_kernarg_segment_ptr 1
		.amdhsa_user_sgpr_dispatch_id 0
		.amdhsa_user_sgpr_flat_scratch_init 0
		.amdhsa_user_sgpr_private_segment_size 0
		.amdhsa_uses_dynamic_stack 0
		.amdhsa_system_sgpr_private_segment_wavefront_offset 0
		.amdhsa_system_sgpr_workgroup_id_x 1
		.amdhsa_system_sgpr_workgroup_id_y 0
		.amdhsa_system_sgpr_workgroup_id_z 0
		.amdhsa_system_sgpr_workgroup_info 0
		.amdhsa_system_vgpr_workitem_id 0
		.amdhsa_next_free_vgpr 91
		.amdhsa_next_free_sgpr 98
		.amdhsa_reserve_vcc 1
		.amdhsa_reserve_flat_scratch 0
		.amdhsa_float_round_mode_32 0
		.amdhsa_float_round_mode_16_64 0
		.amdhsa_float_denorm_mode_32 3
		.amdhsa_float_denorm_mode_16_64 3
		.amdhsa_dx10_clamp 1
		.amdhsa_ieee_mode 1
		.amdhsa_fp16_overflow 0
		.amdhsa_exception_fp_ieee_invalid_op 0
		.amdhsa_exception_fp_denorm_src 0
		.amdhsa_exception_fp_ieee_div_zero 0
		.amdhsa_exception_fp_ieee_overflow 0
		.amdhsa_exception_fp_ieee_underflow 0
		.amdhsa_exception_fp_ieee_inexact 0
		.amdhsa_exception_int_div_zero 0
	.end_amdhsa_kernel
	.section	.text._ZN7rocprim17ROCPRIM_400000_NS6detail17trampoline_kernelINS0_13select_configILj256ELj13ELNS0_17block_load_methodE3ELS4_3ELS4_3ELNS0_20block_scan_algorithmE0ELj4294967295EEENS1_25partition_config_selectorILNS1_17partition_subalgoE4EjNS0_10empty_typeEbEEZZNS1_14partition_implILS8_4ELb0ES6_15HIP_vector_typeIjLj2EENS0_17counting_iteratorIjlEEPS9_SG_NS0_5tupleIJPjSI_NS0_16reverse_iteratorISI_EEEEENSH_IJSG_SG_SG_EEES9_SI_JZNS1_25segmented_radix_sort_implINS0_14default_configELb1EPK12hip_bfloat16PSP_PKlPlN2at6native12_GLOBAL__N_18offset_tEEE10hipError_tPvRmT1_PNSt15iterator_traitsIS13_E10value_typeET2_T3_PNS14_IS19_E10value_typeET4_jRbjT5_S1F_jjP12ihipStream_tbEUljE_ZNSN_ISO_Lb1ESR_SS_SU_SV_SZ_EES10_S11_S12_S13_S17_S18_S19_S1C_S1D_jS1E_jS1F_S1F_jjS1H_bEUljE0_EEES10_S11_S12_S19_S1D_S1F_T6_T7_T9_mT8_S1H_bDpT10_ENKUlT_T0_E_clISt17integral_constantIbLb0EES1U_IbLb1EEEEDaS1Q_S1R_EUlS1Q_E_NS1_11comp_targetILNS1_3genE2ELNS1_11target_archE906ELNS1_3gpuE6ELNS1_3repE0EEENS1_30default_config_static_selectorELNS0_4arch9wavefront6targetE1EEEvS13_,"axG",@progbits,_ZN7rocprim17ROCPRIM_400000_NS6detail17trampoline_kernelINS0_13select_configILj256ELj13ELNS0_17block_load_methodE3ELS4_3ELS4_3ELNS0_20block_scan_algorithmE0ELj4294967295EEENS1_25partition_config_selectorILNS1_17partition_subalgoE4EjNS0_10empty_typeEbEEZZNS1_14partition_implILS8_4ELb0ES6_15HIP_vector_typeIjLj2EENS0_17counting_iteratorIjlEEPS9_SG_NS0_5tupleIJPjSI_NS0_16reverse_iteratorISI_EEEEENSH_IJSG_SG_SG_EEES9_SI_JZNS1_25segmented_radix_sort_implINS0_14default_configELb1EPK12hip_bfloat16PSP_PKlPlN2at6native12_GLOBAL__N_18offset_tEEE10hipError_tPvRmT1_PNSt15iterator_traitsIS13_E10value_typeET2_T3_PNS14_IS19_E10value_typeET4_jRbjT5_S1F_jjP12ihipStream_tbEUljE_ZNSN_ISO_Lb1ESR_SS_SU_SV_SZ_EES10_S11_S12_S13_S17_S18_S19_S1C_S1D_jS1E_jS1F_S1F_jjS1H_bEUljE0_EEES10_S11_S12_S19_S1D_S1F_T6_T7_T9_mT8_S1H_bDpT10_ENKUlT_T0_E_clISt17integral_constantIbLb0EES1U_IbLb1EEEEDaS1Q_S1R_EUlS1Q_E_NS1_11comp_targetILNS1_3genE2ELNS1_11target_archE906ELNS1_3gpuE6ELNS1_3repE0EEENS1_30default_config_static_selectorELNS0_4arch9wavefront6targetE1EEEvS13_,comdat
.Lfunc_end1910:
	.size	_ZN7rocprim17ROCPRIM_400000_NS6detail17trampoline_kernelINS0_13select_configILj256ELj13ELNS0_17block_load_methodE3ELS4_3ELS4_3ELNS0_20block_scan_algorithmE0ELj4294967295EEENS1_25partition_config_selectorILNS1_17partition_subalgoE4EjNS0_10empty_typeEbEEZZNS1_14partition_implILS8_4ELb0ES6_15HIP_vector_typeIjLj2EENS0_17counting_iteratorIjlEEPS9_SG_NS0_5tupleIJPjSI_NS0_16reverse_iteratorISI_EEEEENSH_IJSG_SG_SG_EEES9_SI_JZNS1_25segmented_radix_sort_implINS0_14default_configELb1EPK12hip_bfloat16PSP_PKlPlN2at6native12_GLOBAL__N_18offset_tEEE10hipError_tPvRmT1_PNSt15iterator_traitsIS13_E10value_typeET2_T3_PNS14_IS19_E10value_typeET4_jRbjT5_S1F_jjP12ihipStream_tbEUljE_ZNSN_ISO_Lb1ESR_SS_SU_SV_SZ_EES10_S11_S12_S13_S17_S18_S19_S1C_S1D_jS1E_jS1F_S1F_jjS1H_bEUljE0_EEES10_S11_S12_S19_S1D_S1F_T6_T7_T9_mT8_S1H_bDpT10_ENKUlT_T0_E_clISt17integral_constantIbLb0EES1U_IbLb1EEEEDaS1Q_S1R_EUlS1Q_E_NS1_11comp_targetILNS1_3genE2ELNS1_11target_archE906ELNS1_3gpuE6ELNS1_3repE0EEENS1_30default_config_static_selectorELNS0_4arch9wavefront6targetE1EEEvS13_, .Lfunc_end1910-_ZN7rocprim17ROCPRIM_400000_NS6detail17trampoline_kernelINS0_13select_configILj256ELj13ELNS0_17block_load_methodE3ELS4_3ELS4_3ELNS0_20block_scan_algorithmE0ELj4294967295EEENS1_25partition_config_selectorILNS1_17partition_subalgoE4EjNS0_10empty_typeEbEEZZNS1_14partition_implILS8_4ELb0ES6_15HIP_vector_typeIjLj2EENS0_17counting_iteratorIjlEEPS9_SG_NS0_5tupleIJPjSI_NS0_16reverse_iteratorISI_EEEEENSH_IJSG_SG_SG_EEES9_SI_JZNS1_25segmented_radix_sort_implINS0_14default_configELb1EPK12hip_bfloat16PSP_PKlPlN2at6native12_GLOBAL__N_18offset_tEEE10hipError_tPvRmT1_PNSt15iterator_traitsIS13_E10value_typeET2_T3_PNS14_IS19_E10value_typeET4_jRbjT5_S1F_jjP12ihipStream_tbEUljE_ZNSN_ISO_Lb1ESR_SS_SU_SV_SZ_EES10_S11_S12_S13_S17_S18_S19_S1C_S1D_jS1E_jS1F_S1F_jjS1H_bEUljE0_EEES10_S11_S12_S19_S1D_S1F_T6_T7_T9_mT8_S1H_bDpT10_ENKUlT_T0_E_clISt17integral_constantIbLb0EES1U_IbLb1EEEEDaS1Q_S1R_EUlS1Q_E_NS1_11comp_targetILNS1_3genE2ELNS1_11target_archE906ELNS1_3gpuE6ELNS1_3repE0EEENS1_30default_config_static_selectorELNS0_4arch9wavefront6targetE1EEEvS13_
                                        ; -- End function
	.set _ZN7rocprim17ROCPRIM_400000_NS6detail17trampoline_kernelINS0_13select_configILj256ELj13ELNS0_17block_load_methodE3ELS4_3ELS4_3ELNS0_20block_scan_algorithmE0ELj4294967295EEENS1_25partition_config_selectorILNS1_17partition_subalgoE4EjNS0_10empty_typeEbEEZZNS1_14partition_implILS8_4ELb0ES6_15HIP_vector_typeIjLj2EENS0_17counting_iteratorIjlEEPS9_SG_NS0_5tupleIJPjSI_NS0_16reverse_iteratorISI_EEEEENSH_IJSG_SG_SG_EEES9_SI_JZNS1_25segmented_radix_sort_implINS0_14default_configELb1EPK12hip_bfloat16PSP_PKlPlN2at6native12_GLOBAL__N_18offset_tEEE10hipError_tPvRmT1_PNSt15iterator_traitsIS13_E10value_typeET2_T3_PNS14_IS19_E10value_typeET4_jRbjT5_S1F_jjP12ihipStream_tbEUljE_ZNSN_ISO_Lb1ESR_SS_SU_SV_SZ_EES10_S11_S12_S13_S17_S18_S19_S1C_S1D_jS1E_jS1F_S1F_jjS1H_bEUljE0_EEES10_S11_S12_S19_S1D_S1F_T6_T7_T9_mT8_S1H_bDpT10_ENKUlT_T0_E_clISt17integral_constantIbLb0EES1U_IbLb1EEEEDaS1Q_S1R_EUlS1Q_E_NS1_11comp_targetILNS1_3genE2ELNS1_11target_archE906ELNS1_3gpuE6ELNS1_3repE0EEENS1_30default_config_static_selectorELNS0_4arch9wavefront6targetE1EEEvS13_.num_vgpr, 91
	.set _ZN7rocprim17ROCPRIM_400000_NS6detail17trampoline_kernelINS0_13select_configILj256ELj13ELNS0_17block_load_methodE3ELS4_3ELS4_3ELNS0_20block_scan_algorithmE0ELj4294967295EEENS1_25partition_config_selectorILNS1_17partition_subalgoE4EjNS0_10empty_typeEbEEZZNS1_14partition_implILS8_4ELb0ES6_15HIP_vector_typeIjLj2EENS0_17counting_iteratorIjlEEPS9_SG_NS0_5tupleIJPjSI_NS0_16reverse_iteratorISI_EEEEENSH_IJSG_SG_SG_EEES9_SI_JZNS1_25segmented_radix_sort_implINS0_14default_configELb1EPK12hip_bfloat16PSP_PKlPlN2at6native12_GLOBAL__N_18offset_tEEE10hipError_tPvRmT1_PNSt15iterator_traitsIS13_E10value_typeET2_T3_PNS14_IS19_E10value_typeET4_jRbjT5_S1F_jjP12ihipStream_tbEUljE_ZNSN_ISO_Lb1ESR_SS_SU_SV_SZ_EES10_S11_S12_S13_S17_S18_S19_S1C_S1D_jS1E_jS1F_S1F_jjS1H_bEUljE0_EEES10_S11_S12_S19_S1D_S1F_T6_T7_T9_mT8_S1H_bDpT10_ENKUlT_T0_E_clISt17integral_constantIbLb0EES1U_IbLb1EEEEDaS1Q_S1R_EUlS1Q_E_NS1_11comp_targetILNS1_3genE2ELNS1_11target_archE906ELNS1_3gpuE6ELNS1_3repE0EEENS1_30default_config_static_selectorELNS0_4arch9wavefront6targetE1EEEvS13_.num_agpr, 0
	.set _ZN7rocprim17ROCPRIM_400000_NS6detail17trampoline_kernelINS0_13select_configILj256ELj13ELNS0_17block_load_methodE3ELS4_3ELS4_3ELNS0_20block_scan_algorithmE0ELj4294967295EEENS1_25partition_config_selectorILNS1_17partition_subalgoE4EjNS0_10empty_typeEbEEZZNS1_14partition_implILS8_4ELb0ES6_15HIP_vector_typeIjLj2EENS0_17counting_iteratorIjlEEPS9_SG_NS0_5tupleIJPjSI_NS0_16reverse_iteratorISI_EEEEENSH_IJSG_SG_SG_EEES9_SI_JZNS1_25segmented_radix_sort_implINS0_14default_configELb1EPK12hip_bfloat16PSP_PKlPlN2at6native12_GLOBAL__N_18offset_tEEE10hipError_tPvRmT1_PNSt15iterator_traitsIS13_E10value_typeET2_T3_PNS14_IS19_E10value_typeET4_jRbjT5_S1F_jjP12ihipStream_tbEUljE_ZNSN_ISO_Lb1ESR_SS_SU_SV_SZ_EES10_S11_S12_S13_S17_S18_S19_S1C_S1D_jS1E_jS1F_S1F_jjS1H_bEUljE0_EEES10_S11_S12_S19_S1D_S1F_T6_T7_T9_mT8_S1H_bDpT10_ENKUlT_T0_E_clISt17integral_constantIbLb0EES1U_IbLb1EEEEDaS1Q_S1R_EUlS1Q_E_NS1_11comp_targetILNS1_3genE2ELNS1_11target_archE906ELNS1_3gpuE6ELNS1_3repE0EEENS1_30default_config_static_selectorELNS0_4arch9wavefront6targetE1EEEvS13_.numbered_sgpr, 87
	.set _ZN7rocprim17ROCPRIM_400000_NS6detail17trampoline_kernelINS0_13select_configILj256ELj13ELNS0_17block_load_methodE3ELS4_3ELS4_3ELNS0_20block_scan_algorithmE0ELj4294967295EEENS1_25partition_config_selectorILNS1_17partition_subalgoE4EjNS0_10empty_typeEbEEZZNS1_14partition_implILS8_4ELb0ES6_15HIP_vector_typeIjLj2EENS0_17counting_iteratorIjlEEPS9_SG_NS0_5tupleIJPjSI_NS0_16reverse_iteratorISI_EEEEENSH_IJSG_SG_SG_EEES9_SI_JZNS1_25segmented_radix_sort_implINS0_14default_configELb1EPK12hip_bfloat16PSP_PKlPlN2at6native12_GLOBAL__N_18offset_tEEE10hipError_tPvRmT1_PNSt15iterator_traitsIS13_E10value_typeET2_T3_PNS14_IS19_E10value_typeET4_jRbjT5_S1F_jjP12ihipStream_tbEUljE_ZNSN_ISO_Lb1ESR_SS_SU_SV_SZ_EES10_S11_S12_S13_S17_S18_S19_S1C_S1D_jS1E_jS1F_S1F_jjS1H_bEUljE0_EEES10_S11_S12_S19_S1D_S1F_T6_T7_T9_mT8_S1H_bDpT10_ENKUlT_T0_E_clISt17integral_constantIbLb0EES1U_IbLb1EEEEDaS1Q_S1R_EUlS1Q_E_NS1_11comp_targetILNS1_3genE2ELNS1_11target_archE906ELNS1_3gpuE6ELNS1_3repE0EEENS1_30default_config_static_selectorELNS0_4arch9wavefront6targetE1EEEvS13_.num_named_barrier, 0
	.set _ZN7rocprim17ROCPRIM_400000_NS6detail17trampoline_kernelINS0_13select_configILj256ELj13ELNS0_17block_load_methodE3ELS4_3ELS4_3ELNS0_20block_scan_algorithmE0ELj4294967295EEENS1_25partition_config_selectorILNS1_17partition_subalgoE4EjNS0_10empty_typeEbEEZZNS1_14partition_implILS8_4ELb0ES6_15HIP_vector_typeIjLj2EENS0_17counting_iteratorIjlEEPS9_SG_NS0_5tupleIJPjSI_NS0_16reverse_iteratorISI_EEEEENSH_IJSG_SG_SG_EEES9_SI_JZNS1_25segmented_radix_sort_implINS0_14default_configELb1EPK12hip_bfloat16PSP_PKlPlN2at6native12_GLOBAL__N_18offset_tEEE10hipError_tPvRmT1_PNSt15iterator_traitsIS13_E10value_typeET2_T3_PNS14_IS19_E10value_typeET4_jRbjT5_S1F_jjP12ihipStream_tbEUljE_ZNSN_ISO_Lb1ESR_SS_SU_SV_SZ_EES10_S11_S12_S13_S17_S18_S19_S1C_S1D_jS1E_jS1F_S1F_jjS1H_bEUljE0_EEES10_S11_S12_S19_S1D_S1F_T6_T7_T9_mT8_S1H_bDpT10_ENKUlT_T0_E_clISt17integral_constantIbLb0EES1U_IbLb1EEEEDaS1Q_S1R_EUlS1Q_E_NS1_11comp_targetILNS1_3genE2ELNS1_11target_archE906ELNS1_3gpuE6ELNS1_3repE0EEENS1_30default_config_static_selectorELNS0_4arch9wavefront6targetE1EEEvS13_.private_seg_size, 0
	.set _ZN7rocprim17ROCPRIM_400000_NS6detail17trampoline_kernelINS0_13select_configILj256ELj13ELNS0_17block_load_methodE3ELS4_3ELS4_3ELNS0_20block_scan_algorithmE0ELj4294967295EEENS1_25partition_config_selectorILNS1_17partition_subalgoE4EjNS0_10empty_typeEbEEZZNS1_14partition_implILS8_4ELb0ES6_15HIP_vector_typeIjLj2EENS0_17counting_iteratorIjlEEPS9_SG_NS0_5tupleIJPjSI_NS0_16reverse_iteratorISI_EEEEENSH_IJSG_SG_SG_EEES9_SI_JZNS1_25segmented_radix_sort_implINS0_14default_configELb1EPK12hip_bfloat16PSP_PKlPlN2at6native12_GLOBAL__N_18offset_tEEE10hipError_tPvRmT1_PNSt15iterator_traitsIS13_E10value_typeET2_T3_PNS14_IS19_E10value_typeET4_jRbjT5_S1F_jjP12ihipStream_tbEUljE_ZNSN_ISO_Lb1ESR_SS_SU_SV_SZ_EES10_S11_S12_S13_S17_S18_S19_S1C_S1D_jS1E_jS1F_S1F_jjS1H_bEUljE0_EEES10_S11_S12_S19_S1D_S1F_T6_T7_T9_mT8_S1H_bDpT10_ENKUlT_T0_E_clISt17integral_constantIbLb0EES1U_IbLb1EEEEDaS1Q_S1R_EUlS1Q_E_NS1_11comp_targetILNS1_3genE2ELNS1_11target_archE906ELNS1_3gpuE6ELNS1_3repE0EEENS1_30default_config_static_selectorELNS0_4arch9wavefront6targetE1EEEvS13_.uses_vcc, 1
	.set _ZN7rocprim17ROCPRIM_400000_NS6detail17trampoline_kernelINS0_13select_configILj256ELj13ELNS0_17block_load_methodE3ELS4_3ELS4_3ELNS0_20block_scan_algorithmE0ELj4294967295EEENS1_25partition_config_selectorILNS1_17partition_subalgoE4EjNS0_10empty_typeEbEEZZNS1_14partition_implILS8_4ELb0ES6_15HIP_vector_typeIjLj2EENS0_17counting_iteratorIjlEEPS9_SG_NS0_5tupleIJPjSI_NS0_16reverse_iteratorISI_EEEEENSH_IJSG_SG_SG_EEES9_SI_JZNS1_25segmented_radix_sort_implINS0_14default_configELb1EPK12hip_bfloat16PSP_PKlPlN2at6native12_GLOBAL__N_18offset_tEEE10hipError_tPvRmT1_PNSt15iterator_traitsIS13_E10value_typeET2_T3_PNS14_IS19_E10value_typeET4_jRbjT5_S1F_jjP12ihipStream_tbEUljE_ZNSN_ISO_Lb1ESR_SS_SU_SV_SZ_EES10_S11_S12_S13_S17_S18_S19_S1C_S1D_jS1E_jS1F_S1F_jjS1H_bEUljE0_EEES10_S11_S12_S19_S1D_S1F_T6_T7_T9_mT8_S1H_bDpT10_ENKUlT_T0_E_clISt17integral_constantIbLb0EES1U_IbLb1EEEEDaS1Q_S1R_EUlS1Q_E_NS1_11comp_targetILNS1_3genE2ELNS1_11target_archE906ELNS1_3gpuE6ELNS1_3repE0EEENS1_30default_config_static_selectorELNS0_4arch9wavefront6targetE1EEEvS13_.uses_flat_scratch, 0
	.set _ZN7rocprim17ROCPRIM_400000_NS6detail17trampoline_kernelINS0_13select_configILj256ELj13ELNS0_17block_load_methodE3ELS4_3ELS4_3ELNS0_20block_scan_algorithmE0ELj4294967295EEENS1_25partition_config_selectorILNS1_17partition_subalgoE4EjNS0_10empty_typeEbEEZZNS1_14partition_implILS8_4ELb0ES6_15HIP_vector_typeIjLj2EENS0_17counting_iteratorIjlEEPS9_SG_NS0_5tupleIJPjSI_NS0_16reverse_iteratorISI_EEEEENSH_IJSG_SG_SG_EEES9_SI_JZNS1_25segmented_radix_sort_implINS0_14default_configELb1EPK12hip_bfloat16PSP_PKlPlN2at6native12_GLOBAL__N_18offset_tEEE10hipError_tPvRmT1_PNSt15iterator_traitsIS13_E10value_typeET2_T3_PNS14_IS19_E10value_typeET4_jRbjT5_S1F_jjP12ihipStream_tbEUljE_ZNSN_ISO_Lb1ESR_SS_SU_SV_SZ_EES10_S11_S12_S13_S17_S18_S19_S1C_S1D_jS1E_jS1F_S1F_jjS1H_bEUljE0_EEES10_S11_S12_S19_S1D_S1F_T6_T7_T9_mT8_S1H_bDpT10_ENKUlT_T0_E_clISt17integral_constantIbLb0EES1U_IbLb1EEEEDaS1Q_S1R_EUlS1Q_E_NS1_11comp_targetILNS1_3genE2ELNS1_11target_archE906ELNS1_3gpuE6ELNS1_3repE0EEENS1_30default_config_static_selectorELNS0_4arch9wavefront6targetE1EEEvS13_.has_dyn_sized_stack, 0
	.set _ZN7rocprim17ROCPRIM_400000_NS6detail17trampoline_kernelINS0_13select_configILj256ELj13ELNS0_17block_load_methodE3ELS4_3ELS4_3ELNS0_20block_scan_algorithmE0ELj4294967295EEENS1_25partition_config_selectorILNS1_17partition_subalgoE4EjNS0_10empty_typeEbEEZZNS1_14partition_implILS8_4ELb0ES6_15HIP_vector_typeIjLj2EENS0_17counting_iteratorIjlEEPS9_SG_NS0_5tupleIJPjSI_NS0_16reverse_iteratorISI_EEEEENSH_IJSG_SG_SG_EEES9_SI_JZNS1_25segmented_radix_sort_implINS0_14default_configELb1EPK12hip_bfloat16PSP_PKlPlN2at6native12_GLOBAL__N_18offset_tEEE10hipError_tPvRmT1_PNSt15iterator_traitsIS13_E10value_typeET2_T3_PNS14_IS19_E10value_typeET4_jRbjT5_S1F_jjP12ihipStream_tbEUljE_ZNSN_ISO_Lb1ESR_SS_SU_SV_SZ_EES10_S11_S12_S13_S17_S18_S19_S1C_S1D_jS1E_jS1F_S1F_jjS1H_bEUljE0_EEES10_S11_S12_S19_S1D_S1F_T6_T7_T9_mT8_S1H_bDpT10_ENKUlT_T0_E_clISt17integral_constantIbLb0EES1U_IbLb1EEEEDaS1Q_S1R_EUlS1Q_E_NS1_11comp_targetILNS1_3genE2ELNS1_11target_archE906ELNS1_3gpuE6ELNS1_3repE0EEENS1_30default_config_static_selectorELNS0_4arch9wavefront6targetE1EEEvS13_.has_recursion, 0
	.set _ZN7rocprim17ROCPRIM_400000_NS6detail17trampoline_kernelINS0_13select_configILj256ELj13ELNS0_17block_load_methodE3ELS4_3ELS4_3ELNS0_20block_scan_algorithmE0ELj4294967295EEENS1_25partition_config_selectorILNS1_17partition_subalgoE4EjNS0_10empty_typeEbEEZZNS1_14partition_implILS8_4ELb0ES6_15HIP_vector_typeIjLj2EENS0_17counting_iteratorIjlEEPS9_SG_NS0_5tupleIJPjSI_NS0_16reverse_iteratorISI_EEEEENSH_IJSG_SG_SG_EEES9_SI_JZNS1_25segmented_radix_sort_implINS0_14default_configELb1EPK12hip_bfloat16PSP_PKlPlN2at6native12_GLOBAL__N_18offset_tEEE10hipError_tPvRmT1_PNSt15iterator_traitsIS13_E10value_typeET2_T3_PNS14_IS19_E10value_typeET4_jRbjT5_S1F_jjP12ihipStream_tbEUljE_ZNSN_ISO_Lb1ESR_SS_SU_SV_SZ_EES10_S11_S12_S13_S17_S18_S19_S1C_S1D_jS1E_jS1F_S1F_jjS1H_bEUljE0_EEES10_S11_S12_S19_S1D_S1F_T6_T7_T9_mT8_S1H_bDpT10_ENKUlT_T0_E_clISt17integral_constantIbLb0EES1U_IbLb1EEEEDaS1Q_S1R_EUlS1Q_E_NS1_11comp_targetILNS1_3genE2ELNS1_11target_archE906ELNS1_3gpuE6ELNS1_3repE0EEENS1_30default_config_static_selectorELNS0_4arch9wavefront6targetE1EEEvS13_.has_indirect_call, 0
	.section	.AMDGPU.csdata,"",@progbits
; Kernel info:
; codeLenInByte = 15580
; TotalNumSgprs: 91
; NumVgprs: 91
; ScratchSize: 0
; MemoryBound: 0
; FloatMode: 240
; IeeeMode: 1
; LDSByteSize: 13328 bytes/workgroup (compile time only)
; SGPRBlocks: 12
; VGPRBlocks: 22
; NumSGPRsForWavesPerEU: 102
; NumVGPRsForWavesPerEU: 91
; Occupancy: 2
; WaveLimiterHint : 1
; COMPUTE_PGM_RSRC2:SCRATCH_EN: 0
; COMPUTE_PGM_RSRC2:USER_SGPR: 6
; COMPUTE_PGM_RSRC2:TRAP_HANDLER: 0
; COMPUTE_PGM_RSRC2:TGID_X_EN: 1
; COMPUTE_PGM_RSRC2:TGID_Y_EN: 0
; COMPUTE_PGM_RSRC2:TGID_Z_EN: 0
; COMPUTE_PGM_RSRC2:TIDIG_COMP_CNT: 0
	.section	.text._ZN7rocprim17ROCPRIM_400000_NS6detail17trampoline_kernelINS0_13select_configILj256ELj13ELNS0_17block_load_methodE3ELS4_3ELS4_3ELNS0_20block_scan_algorithmE0ELj4294967295EEENS1_25partition_config_selectorILNS1_17partition_subalgoE4EjNS0_10empty_typeEbEEZZNS1_14partition_implILS8_4ELb0ES6_15HIP_vector_typeIjLj2EENS0_17counting_iteratorIjlEEPS9_SG_NS0_5tupleIJPjSI_NS0_16reverse_iteratorISI_EEEEENSH_IJSG_SG_SG_EEES9_SI_JZNS1_25segmented_radix_sort_implINS0_14default_configELb1EPK12hip_bfloat16PSP_PKlPlN2at6native12_GLOBAL__N_18offset_tEEE10hipError_tPvRmT1_PNSt15iterator_traitsIS13_E10value_typeET2_T3_PNS14_IS19_E10value_typeET4_jRbjT5_S1F_jjP12ihipStream_tbEUljE_ZNSN_ISO_Lb1ESR_SS_SU_SV_SZ_EES10_S11_S12_S13_S17_S18_S19_S1C_S1D_jS1E_jS1F_S1F_jjS1H_bEUljE0_EEES10_S11_S12_S19_S1D_S1F_T6_T7_T9_mT8_S1H_bDpT10_ENKUlT_T0_E_clISt17integral_constantIbLb0EES1U_IbLb1EEEEDaS1Q_S1R_EUlS1Q_E_NS1_11comp_targetILNS1_3genE10ELNS1_11target_archE1200ELNS1_3gpuE4ELNS1_3repE0EEENS1_30default_config_static_selectorELNS0_4arch9wavefront6targetE1EEEvS13_,"axG",@progbits,_ZN7rocprim17ROCPRIM_400000_NS6detail17trampoline_kernelINS0_13select_configILj256ELj13ELNS0_17block_load_methodE3ELS4_3ELS4_3ELNS0_20block_scan_algorithmE0ELj4294967295EEENS1_25partition_config_selectorILNS1_17partition_subalgoE4EjNS0_10empty_typeEbEEZZNS1_14partition_implILS8_4ELb0ES6_15HIP_vector_typeIjLj2EENS0_17counting_iteratorIjlEEPS9_SG_NS0_5tupleIJPjSI_NS0_16reverse_iteratorISI_EEEEENSH_IJSG_SG_SG_EEES9_SI_JZNS1_25segmented_radix_sort_implINS0_14default_configELb1EPK12hip_bfloat16PSP_PKlPlN2at6native12_GLOBAL__N_18offset_tEEE10hipError_tPvRmT1_PNSt15iterator_traitsIS13_E10value_typeET2_T3_PNS14_IS19_E10value_typeET4_jRbjT5_S1F_jjP12ihipStream_tbEUljE_ZNSN_ISO_Lb1ESR_SS_SU_SV_SZ_EES10_S11_S12_S13_S17_S18_S19_S1C_S1D_jS1E_jS1F_S1F_jjS1H_bEUljE0_EEES10_S11_S12_S19_S1D_S1F_T6_T7_T9_mT8_S1H_bDpT10_ENKUlT_T0_E_clISt17integral_constantIbLb0EES1U_IbLb1EEEEDaS1Q_S1R_EUlS1Q_E_NS1_11comp_targetILNS1_3genE10ELNS1_11target_archE1200ELNS1_3gpuE4ELNS1_3repE0EEENS1_30default_config_static_selectorELNS0_4arch9wavefront6targetE1EEEvS13_,comdat
	.globl	_ZN7rocprim17ROCPRIM_400000_NS6detail17trampoline_kernelINS0_13select_configILj256ELj13ELNS0_17block_load_methodE3ELS4_3ELS4_3ELNS0_20block_scan_algorithmE0ELj4294967295EEENS1_25partition_config_selectorILNS1_17partition_subalgoE4EjNS0_10empty_typeEbEEZZNS1_14partition_implILS8_4ELb0ES6_15HIP_vector_typeIjLj2EENS0_17counting_iteratorIjlEEPS9_SG_NS0_5tupleIJPjSI_NS0_16reverse_iteratorISI_EEEEENSH_IJSG_SG_SG_EEES9_SI_JZNS1_25segmented_radix_sort_implINS0_14default_configELb1EPK12hip_bfloat16PSP_PKlPlN2at6native12_GLOBAL__N_18offset_tEEE10hipError_tPvRmT1_PNSt15iterator_traitsIS13_E10value_typeET2_T3_PNS14_IS19_E10value_typeET4_jRbjT5_S1F_jjP12ihipStream_tbEUljE_ZNSN_ISO_Lb1ESR_SS_SU_SV_SZ_EES10_S11_S12_S13_S17_S18_S19_S1C_S1D_jS1E_jS1F_S1F_jjS1H_bEUljE0_EEES10_S11_S12_S19_S1D_S1F_T6_T7_T9_mT8_S1H_bDpT10_ENKUlT_T0_E_clISt17integral_constantIbLb0EES1U_IbLb1EEEEDaS1Q_S1R_EUlS1Q_E_NS1_11comp_targetILNS1_3genE10ELNS1_11target_archE1200ELNS1_3gpuE4ELNS1_3repE0EEENS1_30default_config_static_selectorELNS0_4arch9wavefront6targetE1EEEvS13_ ; -- Begin function _ZN7rocprim17ROCPRIM_400000_NS6detail17trampoline_kernelINS0_13select_configILj256ELj13ELNS0_17block_load_methodE3ELS4_3ELS4_3ELNS0_20block_scan_algorithmE0ELj4294967295EEENS1_25partition_config_selectorILNS1_17partition_subalgoE4EjNS0_10empty_typeEbEEZZNS1_14partition_implILS8_4ELb0ES6_15HIP_vector_typeIjLj2EENS0_17counting_iteratorIjlEEPS9_SG_NS0_5tupleIJPjSI_NS0_16reverse_iteratorISI_EEEEENSH_IJSG_SG_SG_EEES9_SI_JZNS1_25segmented_radix_sort_implINS0_14default_configELb1EPK12hip_bfloat16PSP_PKlPlN2at6native12_GLOBAL__N_18offset_tEEE10hipError_tPvRmT1_PNSt15iterator_traitsIS13_E10value_typeET2_T3_PNS14_IS19_E10value_typeET4_jRbjT5_S1F_jjP12ihipStream_tbEUljE_ZNSN_ISO_Lb1ESR_SS_SU_SV_SZ_EES10_S11_S12_S13_S17_S18_S19_S1C_S1D_jS1E_jS1F_S1F_jjS1H_bEUljE0_EEES10_S11_S12_S19_S1D_S1F_T6_T7_T9_mT8_S1H_bDpT10_ENKUlT_T0_E_clISt17integral_constantIbLb0EES1U_IbLb1EEEEDaS1Q_S1R_EUlS1Q_E_NS1_11comp_targetILNS1_3genE10ELNS1_11target_archE1200ELNS1_3gpuE4ELNS1_3repE0EEENS1_30default_config_static_selectorELNS0_4arch9wavefront6targetE1EEEvS13_
	.p2align	8
	.type	_ZN7rocprim17ROCPRIM_400000_NS6detail17trampoline_kernelINS0_13select_configILj256ELj13ELNS0_17block_load_methodE3ELS4_3ELS4_3ELNS0_20block_scan_algorithmE0ELj4294967295EEENS1_25partition_config_selectorILNS1_17partition_subalgoE4EjNS0_10empty_typeEbEEZZNS1_14partition_implILS8_4ELb0ES6_15HIP_vector_typeIjLj2EENS0_17counting_iteratorIjlEEPS9_SG_NS0_5tupleIJPjSI_NS0_16reverse_iteratorISI_EEEEENSH_IJSG_SG_SG_EEES9_SI_JZNS1_25segmented_radix_sort_implINS0_14default_configELb1EPK12hip_bfloat16PSP_PKlPlN2at6native12_GLOBAL__N_18offset_tEEE10hipError_tPvRmT1_PNSt15iterator_traitsIS13_E10value_typeET2_T3_PNS14_IS19_E10value_typeET4_jRbjT5_S1F_jjP12ihipStream_tbEUljE_ZNSN_ISO_Lb1ESR_SS_SU_SV_SZ_EES10_S11_S12_S13_S17_S18_S19_S1C_S1D_jS1E_jS1F_S1F_jjS1H_bEUljE0_EEES10_S11_S12_S19_S1D_S1F_T6_T7_T9_mT8_S1H_bDpT10_ENKUlT_T0_E_clISt17integral_constantIbLb0EES1U_IbLb1EEEEDaS1Q_S1R_EUlS1Q_E_NS1_11comp_targetILNS1_3genE10ELNS1_11target_archE1200ELNS1_3gpuE4ELNS1_3repE0EEENS1_30default_config_static_selectorELNS0_4arch9wavefront6targetE1EEEvS13_,@function
_ZN7rocprim17ROCPRIM_400000_NS6detail17trampoline_kernelINS0_13select_configILj256ELj13ELNS0_17block_load_methodE3ELS4_3ELS4_3ELNS0_20block_scan_algorithmE0ELj4294967295EEENS1_25partition_config_selectorILNS1_17partition_subalgoE4EjNS0_10empty_typeEbEEZZNS1_14partition_implILS8_4ELb0ES6_15HIP_vector_typeIjLj2EENS0_17counting_iteratorIjlEEPS9_SG_NS0_5tupleIJPjSI_NS0_16reverse_iteratorISI_EEEEENSH_IJSG_SG_SG_EEES9_SI_JZNS1_25segmented_radix_sort_implINS0_14default_configELb1EPK12hip_bfloat16PSP_PKlPlN2at6native12_GLOBAL__N_18offset_tEEE10hipError_tPvRmT1_PNSt15iterator_traitsIS13_E10value_typeET2_T3_PNS14_IS19_E10value_typeET4_jRbjT5_S1F_jjP12ihipStream_tbEUljE_ZNSN_ISO_Lb1ESR_SS_SU_SV_SZ_EES10_S11_S12_S13_S17_S18_S19_S1C_S1D_jS1E_jS1F_S1F_jjS1H_bEUljE0_EEES10_S11_S12_S19_S1D_S1F_T6_T7_T9_mT8_S1H_bDpT10_ENKUlT_T0_E_clISt17integral_constantIbLb0EES1U_IbLb1EEEEDaS1Q_S1R_EUlS1Q_E_NS1_11comp_targetILNS1_3genE10ELNS1_11target_archE1200ELNS1_3gpuE4ELNS1_3repE0EEENS1_30default_config_static_selectorELNS0_4arch9wavefront6targetE1EEEvS13_: ; @_ZN7rocprim17ROCPRIM_400000_NS6detail17trampoline_kernelINS0_13select_configILj256ELj13ELNS0_17block_load_methodE3ELS4_3ELS4_3ELNS0_20block_scan_algorithmE0ELj4294967295EEENS1_25partition_config_selectorILNS1_17partition_subalgoE4EjNS0_10empty_typeEbEEZZNS1_14partition_implILS8_4ELb0ES6_15HIP_vector_typeIjLj2EENS0_17counting_iteratorIjlEEPS9_SG_NS0_5tupleIJPjSI_NS0_16reverse_iteratorISI_EEEEENSH_IJSG_SG_SG_EEES9_SI_JZNS1_25segmented_radix_sort_implINS0_14default_configELb1EPK12hip_bfloat16PSP_PKlPlN2at6native12_GLOBAL__N_18offset_tEEE10hipError_tPvRmT1_PNSt15iterator_traitsIS13_E10value_typeET2_T3_PNS14_IS19_E10value_typeET4_jRbjT5_S1F_jjP12ihipStream_tbEUljE_ZNSN_ISO_Lb1ESR_SS_SU_SV_SZ_EES10_S11_S12_S13_S17_S18_S19_S1C_S1D_jS1E_jS1F_S1F_jjS1H_bEUljE0_EEES10_S11_S12_S19_S1D_S1F_T6_T7_T9_mT8_S1H_bDpT10_ENKUlT_T0_E_clISt17integral_constantIbLb0EES1U_IbLb1EEEEDaS1Q_S1R_EUlS1Q_E_NS1_11comp_targetILNS1_3genE10ELNS1_11target_archE1200ELNS1_3gpuE4ELNS1_3repE0EEENS1_30default_config_static_selectorELNS0_4arch9wavefront6targetE1EEEvS13_
; %bb.0:
	.section	.rodata,"a",@progbits
	.p2align	6, 0x0
	.amdhsa_kernel _ZN7rocprim17ROCPRIM_400000_NS6detail17trampoline_kernelINS0_13select_configILj256ELj13ELNS0_17block_load_methodE3ELS4_3ELS4_3ELNS0_20block_scan_algorithmE0ELj4294967295EEENS1_25partition_config_selectorILNS1_17partition_subalgoE4EjNS0_10empty_typeEbEEZZNS1_14partition_implILS8_4ELb0ES6_15HIP_vector_typeIjLj2EENS0_17counting_iteratorIjlEEPS9_SG_NS0_5tupleIJPjSI_NS0_16reverse_iteratorISI_EEEEENSH_IJSG_SG_SG_EEES9_SI_JZNS1_25segmented_radix_sort_implINS0_14default_configELb1EPK12hip_bfloat16PSP_PKlPlN2at6native12_GLOBAL__N_18offset_tEEE10hipError_tPvRmT1_PNSt15iterator_traitsIS13_E10value_typeET2_T3_PNS14_IS19_E10value_typeET4_jRbjT5_S1F_jjP12ihipStream_tbEUljE_ZNSN_ISO_Lb1ESR_SS_SU_SV_SZ_EES10_S11_S12_S13_S17_S18_S19_S1C_S1D_jS1E_jS1F_S1F_jjS1H_bEUljE0_EEES10_S11_S12_S19_S1D_S1F_T6_T7_T9_mT8_S1H_bDpT10_ENKUlT_T0_E_clISt17integral_constantIbLb0EES1U_IbLb1EEEEDaS1Q_S1R_EUlS1Q_E_NS1_11comp_targetILNS1_3genE10ELNS1_11target_archE1200ELNS1_3gpuE4ELNS1_3repE0EEENS1_30default_config_static_selectorELNS0_4arch9wavefront6targetE1EEEvS13_
		.amdhsa_group_segment_fixed_size 0
		.amdhsa_private_segment_fixed_size 0
		.amdhsa_kernarg_size 184
		.amdhsa_user_sgpr_count 6
		.amdhsa_user_sgpr_private_segment_buffer 1
		.amdhsa_user_sgpr_dispatch_ptr 0
		.amdhsa_user_sgpr_queue_ptr 0
		.amdhsa_user_sgpr_kernarg_segment_ptr 1
		.amdhsa_user_sgpr_dispatch_id 0
		.amdhsa_user_sgpr_flat_scratch_init 0
		.amdhsa_user_sgpr_private_segment_size 0
		.amdhsa_uses_dynamic_stack 0
		.amdhsa_system_sgpr_private_segment_wavefront_offset 0
		.amdhsa_system_sgpr_workgroup_id_x 1
		.amdhsa_system_sgpr_workgroup_id_y 0
		.amdhsa_system_sgpr_workgroup_id_z 0
		.amdhsa_system_sgpr_workgroup_info 0
		.amdhsa_system_vgpr_workitem_id 0
		.amdhsa_next_free_vgpr 1
		.amdhsa_next_free_sgpr 0
		.amdhsa_reserve_vcc 0
		.amdhsa_reserve_flat_scratch 0
		.amdhsa_float_round_mode_32 0
		.amdhsa_float_round_mode_16_64 0
		.amdhsa_float_denorm_mode_32 3
		.amdhsa_float_denorm_mode_16_64 3
		.amdhsa_dx10_clamp 1
		.amdhsa_ieee_mode 1
		.amdhsa_fp16_overflow 0
		.amdhsa_exception_fp_ieee_invalid_op 0
		.amdhsa_exception_fp_denorm_src 0
		.amdhsa_exception_fp_ieee_div_zero 0
		.amdhsa_exception_fp_ieee_overflow 0
		.amdhsa_exception_fp_ieee_underflow 0
		.amdhsa_exception_fp_ieee_inexact 0
		.amdhsa_exception_int_div_zero 0
	.end_amdhsa_kernel
	.section	.text._ZN7rocprim17ROCPRIM_400000_NS6detail17trampoline_kernelINS0_13select_configILj256ELj13ELNS0_17block_load_methodE3ELS4_3ELS4_3ELNS0_20block_scan_algorithmE0ELj4294967295EEENS1_25partition_config_selectorILNS1_17partition_subalgoE4EjNS0_10empty_typeEbEEZZNS1_14partition_implILS8_4ELb0ES6_15HIP_vector_typeIjLj2EENS0_17counting_iteratorIjlEEPS9_SG_NS0_5tupleIJPjSI_NS0_16reverse_iteratorISI_EEEEENSH_IJSG_SG_SG_EEES9_SI_JZNS1_25segmented_radix_sort_implINS0_14default_configELb1EPK12hip_bfloat16PSP_PKlPlN2at6native12_GLOBAL__N_18offset_tEEE10hipError_tPvRmT1_PNSt15iterator_traitsIS13_E10value_typeET2_T3_PNS14_IS19_E10value_typeET4_jRbjT5_S1F_jjP12ihipStream_tbEUljE_ZNSN_ISO_Lb1ESR_SS_SU_SV_SZ_EES10_S11_S12_S13_S17_S18_S19_S1C_S1D_jS1E_jS1F_S1F_jjS1H_bEUljE0_EEES10_S11_S12_S19_S1D_S1F_T6_T7_T9_mT8_S1H_bDpT10_ENKUlT_T0_E_clISt17integral_constantIbLb0EES1U_IbLb1EEEEDaS1Q_S1R_EUlS1Q_E_NS1_11comp_targetILNS1_3genE10ELNS1_11target_archE1200ELNS1_3gpuE4ELNS1_3repE0EEENS1_30default_config_static_selectorELNS0_4arch9wavefront6targetE1EEEvS13_,"axG",@progbits,_ZN7rocprim17ROCPRIM_400000_NS6detail17trampoline_kernelINS0_13select_configILj256ELj13ELNS0_17block_load_methodE3ELS4_3ELS4_3ELNS0_20block_scan_algorithmE0ELj4294967295EEENS1_25partition_config_selectorILNS1_17partition_subalgoE4EjNS0_10empty_typeEbEEZZNS1_14partition_implILS8_4ELb0ES6_15HIP_vector_typeIjLj2EENS0_17counting_iteratorIjlEEPS9_SG_NS0_5tupleIJPjSI_NS0_16reverse_iteratorISI_EEEEENSH_IJSG_SG_SG_EEES9_SI_JZNS1_25segmented_radix_sort_implINS0_14default_configELb1EPK12hip_bfloat16PSP_PKlPlN2at6native12_GLOBAL__N_18offset_tEEE10hipError_tPvRmT1_PNSt15iterator_traitsIS13_E10value_typeET2_T3_PNS14_IS19_E10value_typeET4_jRbjT5_S1F_jjP12ihipStream_tbEUljE_ZNSN_ISO_Lb1ESR_SS_SU_SV_SZ_EES10_S11_S12_S13_S17_S18_S19_S1C_S1D_jS1E_jS1F_S1F_jjS1H_bEUljE0_EEES10_S11_S12_S19_S1D_S1F_T6_T7_T9_mT8_S1H_bDpT10_ENKUlT_T0_E_clISt17integral_constantIbLb0EES1U_IbLb1EEEEDaS1Q_S1R_EUlS1Q_E_NS1_11comp_targetILNS1_3genE10ELNS1_11target_archE1200ELNS1_3gpuE4ELNS1_3repE0EEENS1_30default_config_static_selectorELNS0_4arch9wavefront6targetE1EEEvS13_,comdat
.Lfunc_end1911:
	.size	_ZN7rocprim17ROCPRIM_400000_NS6detail17trampoline_kernelINS0_13select_configILj256ELj13ELNS0_17block_load_methodE3ELS4_3ELS4_3ELNS0_20block_scan_algorithmE0ELj4294967295EEENS1_25partition_config_selectorILNS1_17partition_subalgoE4EjNS0_10empty_typeEbEEZZNS1_14partition_implILS8_4ELb0ES6_15HIP_vector_typeIjLj2EENS0_17counting_iteratorIjlEEPS9_SG_NS0_5tupleIJPjSI_NS0_16reverse_iteratorISI_EEEEENSH_IJSG_SG_SG_EEES9_SI_JZNS1_25segmented_radix_sort_implINS0_14default_configELb1EPK12hip_bfloat16PSP_PKlPlN2at6native12_GLOBAL__N_18offset_tEEE10hipError_tPvRmT1_PNSt15iterator_traitsIS13_E10value_typeET2_T3_PNS14_IS19_E10value_typeET4_jRbjT5_S1F_jjP12ihipStream_tbEUljE_ZNSN_ISO_Lb1ESR_SS_SU_SV_SZ_EES10_S11_S12_S13_S17_S18_S19_S1C_S1D_jS1E_jS1F_S1F_jjS1H_bEUljE0_EEES10_S11_S12_S19_S1D_S1F_T6_T7_T9_mT8_S1H_bDpT10_ENKUlT_T0_E_clISt17integral_constantIbLb0EES1U_IbLb1EEEEDaS1Q_S1R_EUlS1Q_E_NS1_11comp_targetILNS1_3genE10ELNS1_11target_archE1200ELNS1_3gpuE4ELNS1_3repE0EEENS1_30default_config_static_selectorELNS0_4arch9wavefront6targetE1EEEvS13_, .Lfunc_end1911-_ZN7rocprim17ROCPRIM_400000_NS6detail17trampoline_kernelINS0_13select_configILj256ELj13ELNS0_17block_load_methodE3ELS4_3ELS4_3ELNS0_20block_scan_algorithmE0ELj4294967295EEENS1_25partition_config_selectorILNS1_17partition_subalgoE4EjNS0_10empty_typeEbEEZZNS1_14partition_implILS8_4ELb0ES6_15HIP_vector_typeIjLj2EENS0_17counting_iteratorIjlEEPS9_SG_NS0_5tupleIJPjSI_NS0_16reverse_iteratorISI_EEEEENSH_IJSG_SG_SG_EEES9_SI_JZNS1_25segmented_radix_sort_implINS0_14default_configELb1EPK12hip_bfloat16PSP_PKlPlN2at6native12_GLOBAL__N_18offset_tEEE10hipError_tPvRmT1_PNSt15iterator_traitsIS13_E10value_typeET2_T3_PNS14_IS19_E10value_typeET4_jRbjT5_S1F_jjP12ihipStream_tbEUljE_ZNSN_ISO_Lb1ESR_SS_SU_SV_SZ_EES10_S11_S12_S13_S17_S18_S19_S1C_S1D_jS1E_jS1F_S1F_jjS1H_bEUljE0_EEES10_S11_S12_S19_S1D_S1F_T6_T7_T9_mT8_S1H_bDpT10_ENKUlT_T0_E_clISt17integral_constantIbLb0EES1U_IbLb1EEEEDaS1Q_S1R_EUlS1Q_E_NS1_11comp_targetILNS1_3genE10ELNS1_11target_archE1200ELNS1_3gpuE4ELNS1_3repE0EEENS1_30default_config_static_selectorELNS0_4arch9wavefront6targetE1EEEvS13_
                                        ; -- End function
	.set _ZN7rocprim17ROCPRIM_400000_NS6detail17trampoline_kernelINS0_13select_configILj256ELj13ELNS0_17block_load_methodE3ELS4_3ELS4_3ELNS0_20block_scan_algorithmE0ELj4294967295EEENS1_25partition_config_selectorILNS1_17partition_subalgoE4EjNS0_10empty_typeEbEEZZNS1_14partition_implILS8_4ELb0ES6_15HIP_vector_typeIjLj2EENS0_17counting_iteratorIjlEEPS9_SG_NS0_5tupleIJPjSI_NS0_16reverse_iteratorISI_EEEEENSH_IJSG_SG_SG_EEES9_SI_JZNS1_25segmented_radix_sort_implINS0_14default_configELb1EPK12hip_bfloat16PSP_PKlPlN2at6native12_GLOBAL__N_18offset_tEEE10hipError_tPvRmT1_PNSt15iterator_traitsIS13_E10value_typeET2_T3_PNS14_IS19_E10value_typeET4_jRbjT5_S1F_jjP12ihipStream_tbEUljE_ZNSN_ISO_Lb1ESR_SS_SU_SV_SZ_EES10_S11_S12_S13_S17_S18_S19_S1C_S1D_jS1E_jS1F_S1F_jjS1H_bEUljE0_EEES10_S11_S12_S19_S1D_S1F_T6_T7_T9_mT8_S1H_bDpT10_ENKUlT_T0_E_clISt17integral_constantIbLb0EES1U_IbLb1EEEEDaS1Q_S1R_EUlS1Q_E_NS1_11comp_targetILNS1_3genE10ELNS1_11target_archE1200ELNS1_3gpuE4ELNS1_3repE0EEENS1_30default_config_static_selectorELNS0_4arch9wavefront6targetE1EEEvS13_.num_vgpr, 0
	.set _ZN7rocprim17ROCPRIM_400000_NS6detail17trampoline_kernelINS0_13select_configILj256ELj13ELNS0_17block_load_methodE3ELS4_3ELS4_3ELNS0_20block_scan_algorithmE0ELj4294967295EEENS1_25partition_config_selectorILNS1_17partition_subalgoE4EjNS0_10empty_typeEbEEZZNS1_14partition_implILS8_4ELb0ES6_15HIP_vector_typeIjLj2EENS0_17counting_iteratorIjlEEPS9_SG_NS0_5tupleIJPjSI_NS0_16reverse_iteratorISI_EEEEENSH_IJSG_SG_SG_EEES9_SI_JZNS1_25segmented_radix_sort_implINS0_14default_configELb1EPK12hip_bfloat16PSP_PKlPlN2at6native12_GLOBAL__N_18offset_tEEE10hipError_tPvRmT1_PNSt15iterator_traitsIS13_E10value_typeET2_T3_PNS14_IS19_E10value_typeET4_jRbjT5_S1F_jjP12ihipStream_tbEUljE_ZNSN_ISO_Lb1ESR_SS_SU_SV_SZ_EES10_S11_S12_S13_S17_S18_S19_S1C_S1D_jS1E_jS1F_S1F_jjS1H_bEUljE0_EEES10_S11_S12_S19_S1D_S1F_T6_T7_T9_mT8_S1H_bDpT10_ENKUlT_T0_E_clISt17integral_constantIbLb0EES1U_IbLb1EEEEDaS1Q_S1R_EUlS1Q_E_NS1_11comp_targetILNS1_3genE10ELNS1_11target_archE1200ELNS1_3gpuE4ELNS1_3repE0EEENS1_30default_config_static_selectorELNS0_4arch9wavefront6targetE1EEEvS13_.num_agpr, 0
	.set _ZN7rocprim17ROCPRIM_400000_NS6detail17trampoline_kernelINS0_13select_configILj256ELj13ELNS0_17block_load_methodE3ELS4_3ELS4_3ELNS0_20block_scan_algorithmE0ELj4294967295EEENS1_25partition_config_selectorILNS1_17partition_subalgoE4EjNS0_10empty_typeEbEEZZNS1_14partition_implILS8_4ELb0ES6_15HIP_vector_typeIjLj2EENS0_17counting_iteratorIjlEEPS9_SG_NS0_5tupleIJPjSI_NS0_16reverse_iteratorISI_EEEEENSH_IJSG_SG_SG_EEES9_SI_JZNS1_25segmented_radix_sort_implINS0_14default_configELb1EPK12hip_bfloat16PSP_PKlPlN2at6native12_GLOBAL__N_18offset_tEEE10hipError_tPvRmT1_PNSt15iterator_traitsIS13_E10value_typeET2_T3_PNS14_IS19_E10value_typeET4_jRbjT5_S1F_jjP12ihipStream_tbEUljE_ZNSN_ISO_Lb1ESR_SS_SU_SV_SZ_EES10_S11_S12_S13_S17_S18_S19_S1C_S1D_jS1E_jS1F_S1F_jjS1H_bEUljE0_EEES10_S11_S12_S19_S1D_S1F_T6_T7_T9_mT8_S1H_bDpT10_ENKUlT_T0_E_clISt17integral_constantIbLb0EES1U_IbLb1EEEEDaS1Q_S1R_EUlS1Q_E_NS1_11comp_targetILNS1_3genE10ELNS1_11target_archE1200ELNS1_3gpuE4ELNS1_3repE0EEENS1_30default_config_static_selectorELNS0_4arch9wavefront6targetE1EEEvS13_.numbered_sgpr, 0
	.set _ZN7rocprim17ROCPRIM_400000_NS6detail17trampoline_kernelINS0_13select_configILj256ELj13ELNS0_17block_load_methodE3ELS4_3ELS4_3ELNS0_20block_scan_algorithmE0ELj4294967295EEENS1_25partition_config_selectorILNS1_17partition_subalgoE4EjNS0_10empty_typeEbEEZZNS1_14partition_implILS8_4ELb0ES6_15HIP_vector_typeIjLj2EENS0_17counting_iteratorIjlEEPS9_SG_NS0_5tupleIJPjSI_NS0_16reverse_iteratorISI_EEEEENSH_IJSG_SG_SG_EEES9_SI_JZNS1_25segmented_radix_sort_implINS0_14default_configELb1EPK12hip_bfloat16PSP_PKlPlN2at6native12_GLOBAL__N_18offset_tEEE10hipError_tPvRmT1_PNSt15iterator_traitsIS13_E10value_typeET2_T3_PNS14_IS19_E10value_typeET4_jRbjT5_S1F_jjP12ihipStream_tbEUljE_ZNSN_ISO_Lb1ESR_SS_SU_SV_SZ_EES10_S11_S12_S13_S17_S18_S19_S1C_S1D_jS1E_jS1F_S1F_jjS1H_bEUljE0_EEES10_S11_S12_S19_S1D_S1F_T6_T7_T9_mT8_S1H_bDpT10_ENKUlT_T0_E_clISt17integral_constantIbLb0EES1U_IbLb1EEEEDaS1Q_S1R_EUlS1Q_E_NS1_11comp_targetILNS1_3genE10ELNS1_11target_archE1200ELNS1_3gpuE4ELNS1_3repE0EEENS1_30default_config_static_selectorELNS0_4arch9wavefront6targetE1EEEvS13_.num_named_barrier, 0
	.set _ZN7rocprim17ROCPRIM_400000_NS6detail17trampoline_kernelINS0_13select_configILj256ELj13ELNS0_17block_load_methodE3ELS4_3ELS4_3ELNS0_20block_scan_algorithmE0ELj4294967295EEENS1_25partition_config_selectorILNS1_17partition_subalgoE4EjNS0_10empty_typeEbEEZZNS1_14partition_implILS8_4ELb0ES6_15HIP_vector_typeIjLj2EENS0_17counting_iteratorIjlEEPS9_SG_NS0_5tupleIJPjSI_NS0_16reverse_iteratorISI_EEEEENSH_IJSG_SG_SG_EEES9_SI_JZNS1_25segmented_radix_sort_implINS0_14default_configELb1EPK12hip_bfloat16PSP_PKlPlN2at6native12_GLOBAL__N_18offset_tEEE10hipError_tPvRmT1_PNSt15iterator_traitsIS13_E10value_typeET2_T3_PNS14_IS19_E10value_typeET4_jRbjT5_S1F_jjP12ihipStream_tbEUljE_ZNSN_ISO_Lb1ESR_SS_SU_SV_SZ_EES10_S11_S12_S13_S17_S18_S19_S1C_S1D_jS1E_jS1F_S1F_jjS1H_bEUljE0_EEES10_S11_S12_S19_S1D_S1F_T6_T7_T9_mT8_S1H_bDpT10_ENKUlT_T0_E_clISt17integral_constantIbLb0EES1U_IbLb1EEEEDaS1Q_S1R_EUlS1Q_E_NS1_11comp_targetILNS1_3genE10ELNS1_11target_archE1200ELNS1_3gpuE4ELNS1_3repE0EEENS1_30default_config_static_selectorELNS0_4arch9wavefront6targetE1EEEvS13_.private_seg_size, 0
	.set _ZN7rocprim17ROCPRIM_400000_NS6detail17trampoline_kernelINS0_13select_configILj256ELj13ELNS0_17block_load_methodE3ELS4_3ELS4_3ELNS0_20block_scan_algorithmE0ELj4294967295EEENS1_25partition_config_selectorILNS1_17partition_subalgoE4EjNS0_10empty_typeEbEEZZNS1_14partition_implILS8_4ELb0ES6_15HIP_vector_typeIjLj2EENS0_17counting_iteratorIjlEEPS9_SG_NS0_5tupleIJPjSI_NS0_16reverse_iteratorISI_EEEEENSH_IJSG_SG_SG_EEES9_SI_JZNS1_25segmented_radix_sort_implINS0_14default_configELb1EPK12hip_bfloat16PSP_PKlPlN2at6native12_GLOBAL__N_18offset_tEEE10hipError_tPvRmT1_PNSt15iterator_traitsIS13_E10value_typeET2_T3_PNS14_IS19_E10value_typeET4_jRbjT5_S1F_jjP12ihipStream_tbEUljE_ZNSN_ISO_Lb1ESR_SS_SU_SV_SZ_EES10_S11_S12_S13_S17_S18_S19_S1C_S1D_jS1E_jS1F_S1F_jjS1H_bEUljE0_EEES10_S11_S12_S19_S1D_S1F_T6_T7_T9_mT8_S1H_bDpT10_ENKUlT_T0_E_clISt17integral_constantIbLb0EES1U_IbLb1EEEEDaS1Q_S1R_EUlS1Q_E_NS1_11comp_targetILNS1_3genE10ELNS1_11target_archE1200ELNS1_3gpuE4ELNS1_3repE0EEENS1_30default_config_static_selectorELNS0_4arch9wavefront6targetE1EEEvS13_.uses_vcc, 0
	.set _ZN7rocprim17ROCPRIM_400000_NS6detail17trampoline_kernelINS0_13select_configILj256ELj13ELNS0_17block_load_methodE3ELS4_3ELS4_3ELNS0_20block_scan_algorithmE0ELj4294967295EEENS1_25partition_config_selectorILNS1_17partition_subalgoE4EjNS0_10empty_typeEbEEZZNS1_14partition_implILS8_4ELb0ES6_15HIP_vector_typeIjLj2EENS0_17counting_iteratorIjlEEPS9_SG_NS0_5tupleIJPjSI_NS0_16reverse_iteratorISI_EEEEENSH_IJSG_SG_SG_EEES9_SI_JZNS1_25segmented_radix_sort_implINS0_14default_configELb1EPK12hip_bfloat16PSP_PKlPlN2at6native12_GLOBAL__N_18offset_tEEE10hipError_tPvRmT1_PNSt15iterator_traitsIS13_E10value_typeET2_T3_PNS14_IS19_E10value_typeET4_jRbjT5_S1F_jjP12ihipStream_tbEUljE_ZNSN_ISO_Lb1ESR_SS_SU_SV_SZ_EES10_S11_S12_S13_S17_S18_S19_S1C_S1D_jS1E_jS1F_S1F_jjS1H_bEUljE0_EEES10_S11_S12_S19_S1D_S1F_T6_T7_T9_mT8_S1H_bDpT10_ENKUlT_T0_E_clISt17integral_constantIbLb0EES1U_IbLb1EEEEDaS1Q_S1R_EUlS1Q_E_NS1_11comp_targetILNS1_3genE10ELNS1_11target_archE1200ELNS1_3gpuE4ELNS1_3repE0EEENS1_30default_config_static_selectorELNS0_4arch9wavefront6targetE1EEEvS13_.uses_flat_scratch, 0
	.set _ZN7rocprim17ROCPRIM_400000_NS6detail17trampoline_kernelINS0_13select_configILj256ELj13ELNS0_17block_load_methodE3ELS4_3ELS4_3ELNS0_20block_scan_algorithmE0ELj4294967295EEENS1_25partition_config_selectorILNS1_17partition_subalgoE4EjNS0_10empty_typeEbEEZZNS1_14partition_implILS8_4ELb0ES6_15HIP_vector_typeIjLj2EENS0_17counting_iteratorIjlEEPS9_SG_NS0_5tupleIJPjSI_NS0_16reverse_iteratorISI_EEEEENSH_IJSG_SG_SG_EEES9_SI_JZNS1_25segmented_radix_sort_implINS0_14default_configELb1EPK12hip_bfloat16PSP_PKlPlN2at6native12_GLOBAL__N_18offset_tEEE10hipError_tPvRmT1_PNSt15iterator_traitsIS13_E10value_typeET2_T3_PNS14_IS19_E10value_typeET4_jRbjT5_S1F_jjP12ihipStream_tbEUljE_ZNSN_ISO_Lb1ESR_SS_SU_SV_SZ_EES10_S11_S12_S13_S17_S18_S19_S1C_S1D_jS1E_jS1F_S1F_jjS1H_bEUljE0_EEES10_S11_S12_S19_S1D_S1F_T6_T7_T9_mT8_S1H_bDpT10_ENKUlT_T0_E_clISt17integral_constantIbLb0EES1U_IbLb1EEEEDaS1Q_S1R_EUlS1Q_E_NS1_11comp_targetILNS1_3genE10ELNS1_11target_archE1200ELNS1_3gpuE4ELNS1_3repE0EEENS1_30default_config_static_selectorELNS0_4arch9wavefront6targetE1EEEvS13_.has_dyn_sized_stack, 0
	.set _ZN7rocprim17ROCPRIM_400000_NS6detail17trampoline_kernelINS0_13select_configILj256ELj13ELNS0_17block_load_methodE3ELS4_3ELS4_3ELNS0_20block_scan_algorithmE0ELj4294967295EEENS1_25partition_config_selectorILNS1_17partition_subalgoE4EjNS0_10empty_typeEbEEZZNS1_14partition_implILS8_4ELb0ES6_15HIP_vector_typeIjLj2EENS0_17counting_iteratorIjlEEPS9_SG_NS0_5tupleIJPjSI_NS0_16reverse_iteratorISI_EEEEENSH_IJSG_SG_SG_EEES9_SI_JZNS1_25segmented_radix_sort_implINS0_14default_configELb1EPK12hip_bfloat16PSP_PKlPlN2at6native12_GLOBAL__N_18offset_tEEE10hipError_tPvRmT1_PNSt15iterator_traitsIS13_E10value_typeET2_T3_PNS14_IS19_E10value_typeET4_jRbjT5_S1F_jjP12ihipStream_tbEUljE_ZNSN_ISO_Lb1ESR_SS_SU_SV_SZ_EES10_S11_S12_S13_S17_S18_S19_S1C_S1D_jS1E_jS1F_S1F_jjS1H_bEUljE0_EEES10_S11_S12_S19_S1D_S1F_T6_T7_T9_mT8_S1H_bDpT10_ENKUlT_T0_E_clISt17integral_constantIbLb0EES1U_IbLb1EEEEDaS1Q_S1R_EUlS1Q_E_NS1_11comp_targetILNS1_3genE10ELNS1_11target_archE1200ELNS1_3gpuE4ELNS1_3repE0EEENS1_30default_config_static_selectorELNS0_4arch9wavefront6targetE1EEEvS13_.has_recursion, 0
	.set _ZN7rocprim17ROCPRIM_400000_NS6detail17trampoline_kernelINS0_13select_configILj256ELj13ELNS0_17block_load_methodE3ELS4_3ELS4_3ELNS0_20block_scan_algorithmE0ELj4294967295EEENS1_25partition_config_selectorILNS1_17partition_subalgoE4EjNS0_10empty_typeEbEEZZNS1_14partition_implILS8_4ELb0ES6_15HIP_vector_typeIjLj2EENS0_17counting_iteratorIjlEEPS9_SG_NS0_5tupleIJPjSI_NS0_16reverse_iteratorISI_EEEEENSH_IJSG_SG_SG_EEES9_SI_JZNS1_25segmented_radix_sort_implINS0_14default_configELb1EPK12hip_bfloat16PSP_PKlPlN2at6native12_GLOBAL__N_18offset_tEEE10hipError_tPvRmT1_PNSt15iterator_traitsIS13_E10value_typeET2_T3_PNS14_IS19_E10value_typeET4_jRbjT5_S1F_jjP12ihipStream_tbEUljE_ZNSN_ISO_Lb1ESR_SS_SU_SV_SZ_EES10_S11_S12_S13_S17_S18_S19_S1C_S1D_jS1E_jS1F_S1F_jjS1H_bEUljE0_EEES10_S11_S12_S19_S1D_S1F_T6_T7_T9_mT8_S1H_bDpT10_ENKUlT_T0_E_clISt17integral_constantIbLb0EES1U_IbLb1EEEEDaS1Q_S1R_EUlS1Q_E_NS1_11comp_targetILNS1_3genE10ELNS1_11target_archE1200ELNS1_3gpuE4ELNS1_3repE0EEENS1_30default_config_static_selectorELNS0_4arch9wavefront6targetE1EEEvS13_.has_indirect_call, 0
	.section	.AMDGPU.csdata,"",@progbits
; Kernel info:
; codeLenInByte = 0
; TotalNumSgprs: 4
; NumVgprs: 0
; ScratchSize: 0
; MemoryBound: 0
; FloatMode: 240
; IeeeMode: 1
; LDSByteSize: 0 bytes/workgroup (compile time only)
; SGPRBlocks: 0
; VGPRBlocks: 0
; NumSGPRsForWavesPerEU: 4
; NumVGPRsForWavesPerEU: 1
; Occupancy: 10
; WaveLimiterHint : 0
; COMPUTE_PGM_RSRC2:SCRATCH_EN: 0
; COMPUTE_PGM_RSRC2:USER_SGPR: 6
; COMPUTE_PGM_RSRC2:TRAP_HANDLER: 0
; COMPUTE_PGM_RSRC2:TGID_X_EN: 1
; COMPUTE_PGM_RSRC2:TGID_Y_EN: 0
; COMPUTE_PGM_RSRC2:TGID_Z_EN: 0
; COMPUTE_PGM_RSRC2:TIDIG_COMP_CNT: 0
	.section	.text._ZN7rocprim17ROCPRIM_400000_NS6detail17trampoline_kernelINS0_13select_configILj256ELj13ELNS0_17block_load_methodE3ELS4_3ELS4_3ELNS0_20block_scan_algorithmE0ELj4294967295EEENS1_25partition_config_selectorILNS1_17partition_subalgoE4EjNS0_10empty_typeEbEEZZNS1_14partition_implILS8_4ELb0ES6_15HIP_vector_typeIjLj2EENS0_17counting_iteratorIjlEEPS9_SG_NS0_5tupleIJPjSI_NS0_16reverse_iteratorISI_EEEEENSH_IJSG_SG_SG_EEES9_SI_JZNS1_25segmented_radix_sort_implINS0_14default_configELb1EPK12hip_bfloat16PSP_PKlPlN2at6native12_GLOBAL__N_18offset_tEEE10hipError_tPvRmT1_PNSt15iterator_traitsIS13_E10value_typeET2_T3_PNS14_IS19_E10value_typeET4_jRbjT5_S1F_jjP12ihipStream_tbEUljE_ZNSN_ISO_Lb1ESR_SS_SU_SV_SZ_EES10_S11_S12_S13_S17_S18_S19_S1C_S1D_jS1E_jS1F_S1F_jjS1H_bEUljE0_EEES10_S11_S12_S19_S1D_S1F_T6_T7_T9_mT8_S1H_bDpT10_ENKUlT_T0_E_clISt17integral_constantIbLb0EES1U_IbLb1EEEEDaS1Q_S1R_EUlS1Q_E_NS1_11comp_targetILNS1_3genE9ELNS1_11target_archE1100ELNS1_3gpuE3ELNS1_3repE0EEENS1_30default_config_static_selectorELNS0_4arch9wavefront6targetE1EEEvS13_,"axG",@progbits,_ZN7rocprim17ROCPRIM_400000_NS6detail17trampoline_kernelINS0_13select_configILj256ELj13ELNS0_17block_load_methodE3ELS4_3ELS4_3ELNS0_20block_scan_algorithmE0ELj4294967295EEENS1_25partition_config_selectorILNS1_17partition_subalgoE4EjNS0_10empty_typeEbEEZZNS1_14partition_implILS8_4ELb0ES6_15HIP_vector_typeIjLj2EENS0_17counting_iteratorIjlEEPS9_SG_NS0_5tupleIJPjSI_NS0_16reverse_iteratorISI_EEEEENSH_IJSG_SG_SG_EEES9_SI_JZNS1_25segmented_radix_sort_implINS0_14default_configELb1EPK12hip_bfloat16PSP_PKlPlN2at6native12_GLOBAL__N_18offset_tEEE10hipError_tPvRmT1_PNSt15iterator_traitsIS13_E10value_typeET2_T3_PNS14_IS19_E10value_typeET4_jRbjT5_S1F_jjP12ihipStream_tbEUljE_ZNSN_ISO_Lb1ESR_SS_SU_SV_SZ_EES10_S11_S12_S13_S17_S18_S19_S1C_S1D_jS1E_jS1F_S1F_jjS1H_bEUljE0_EEES10_S11_S12_S19_S1D_S1F_T6_T7_T9_mT8_S1H_bDpT10_ENKUlT_T0_E_clISt17integral_constantIbLb0EES1U_IbLb1EEEEDaS1Q_S1R_EUlS1Q_E_NS1_11comp_targetILNS1_3genE9ELNS1_11target_archE1100ELNS1_3gpuE3ELNS1_3repE0EEENS1_30default_config_static_selectorELNS0_4arch9wavefront6targetE1EEEvS13_,comdat
	.globl	_ZN7rocprim17ROCPRIM_400000_NS6detail17trampoline_kernelINS0_13select_configILj256ELj13ELNS0_17block_load_methodE3ELS4_3ELS4_3ELNS0_20block_scan_algorithmE0ELj4294967295EEENS1_25partition_config_selectorILNS1_17partition_subalgoE4EjNS0_10empty_typeEbEEZZNS1_14partition_implILS8_4ELb0ES6_15HIP_vector_typeIjLj2EENS0_17counting_iteratorIjlEEPS9_SG_NS0_5tupleIJPjSI_NS0_16reverse_iteratorISI_EEEEENSH_IJSG_SG_SG_EEES9_SI_JZNS1_25segmented_radix_sort_implINS0_14default_configELb1EPK12hip_bfloat16PSP_PKlPlN2at6native12_GLOBAL__N_18offset_tEEE10hipError_tPvRmT1_PNSt15iterator_traitsIS13_E10value_typeET2_T3_PNS14_IS19_E10value_typeET4_jRbjT5_S1F_jjP12ihipStream_tbEUljE_ZNSN_ISO_Lb1ESR_SS_SU_SV_SZ_EES10_S11_S12_S13_S17_S18_S19_S1C_S1D_jS1E_jS1F_S1F_jjS1H_bEUljE0_EEES10_S11_S12_S19_S1D_S1F_T6_T7_T9_mT8_S1H_bDpT10_ENKUlT_T0_E_clISt17integral_constantIbLb0EES1U_IbLb1EEEEDaS1Q_S1R_EUlS1Q_E_NS1_11comp_targetILNS1_3genE9ELNS1_11target_archE1100ELNS1_3gpuE3ELNS1_3repE0EEENS1_30default_config_static_selectorELNS0_4arch9wavefront6targetE1EEEvS13_ ; -- Begin function _ZN7rocprim17ROCPRIM_400000_NS6detail17trampoline_kernelINS0_13select_configILj256ELj13ELNS0_17block_load_methodE3ELS4_3ELS4_3ELNS0_20block_scan_algorithmE0ELj4294967295EEENS1_25partition_config_selectorILNS1_17partition_subalgoE4EjNS0_10empty_typeEbEEZZNS1_14partition_implILS8_4ELb0ES6_15HIP_vector_typeIjLj2EENS0_17counting_iteratorIjlEEPS9_SG_NS0_5tupleIJPjSI_NS0_16reverse_iteratorISI_EEEEENSH_IJSG_SG_SG_EEES9_SI_JZNS1_25segmented_radix_sort_implINS0_14default_configELb1EPK12hip_bfloat16PSP_PKlPlN2at6native12_GLOBAL__N_18offset_tEEE10hipError_tPvRmT1_PNSt15iterator_traitsIS13_E10value_typeET2_T3_PNS14_IS19_E10value_typeET4_jRbjT5_S1F_jjP12ihipStream_tbEUljE_ZNSN_ISO_Lb1ESR_SS_SU_SV_SZ_EES10_S11_S12_S13_S17_S18_S19_S1C_S1D_jS1E_jS1F_S1F_jjS1H_bEUljE0_EEES10_S11_S12_S19_S1D_S1F_T6_T7_T9_mT8_S1H_bDpT10_ENKUlT_T0_E_clISt17integral_constantIbLb0EES1U_IbLb1EEEEDaS1Q_S1R_EUlS1Q_E_NS1_11comp_targetILNS1_3genE9ELNS1_11target_archE1100ELNS1_3gpuE3ELNS1_3repE0EEENS1_30default_config_static_selectorELNS0_4arch9wavefront6targetE1EEEvS13_
	.p2align	8
	.type	_ZN7rocprim17ROCPRIM_400000_NS6detail17trampoline_kernelINS0_13select_configILj256ELj13ELNS0_17block_load_methodE3ELS4_3ELS4_3ELNS0_20block_scan_algorithmE0ELj4294967295EEENS1_25partition_config_selectorILNS1_17partition_subalgoE4EjNS0_10empty_typeEbEEZZNS1_14partition_implILS8_4ELb0ES6_15HIP_vector_typeIjLj2EENS0_17counting_iteratorIjlEEPS9_SG_NS0_5tupleIJPjSI_NS0_16reverse_iteratorISI_EEEEENSH_IJSG_SG_SG_EEES9_SI_JZNS1_25segmented_radix_sort_implINS0_14default_configELb1EPK12hip_bfloat16PSP_PKlPlN2at6native12_GLOBAL__N_18offset_tEEE10hipError_tPvRmT1_PNSt15iterator_traitsIS13_E10value_typeET2_T3_PNS14_IS19_E10value_typeET4_jRbjT5_S1F_jjP12ihipStream_tbEUljE_ZNSN_ISO_Lb1ESR_SS_SU_SV_SZ_EES10_S11_S12_S13_S17_S18_S19_S1C_S1D_jS1E_jS1F_S1F_jjS1H_bEUljE0_EEES10_S11_S12_S19_S1D_S1F_T6_T7_T9_mT8_S1H_bDpT10_ENKUlT_T0_E_clISt17integral_constantIbLb0EES1U_IbLb1EEEEDaS1Q_S1R_EUlS1Q_E_NS1_11comp_targetILNS1_3genE9ELNS1_11target_archE1100ELNS1_3gpuE3ELNS1_3repE0EEENS1_30default_config_static_selectorELNS0_4arch9wavefront6targetE1EEEvS13_,@function
_ZN7rocprim17ROCPRIM_400000_NS6detail17trampoline_kernelINS0_13select_configILj256ELj13ELNS0_17block_load_methodE3ELS4_3ELS4_3ELNS0_20block_scan_algorithmE0ELj4294967295EEENS1_25partition_config_selectorILNS1_17partition_subalgoE4EjNS0_10empty_typeEbEEZZNS1_14partition_implILS8_4ELb0ES6_15HIP_vector_typeIjLj2EENS0_17counting_iteratorIjlEEPS9_SG_NS0_5tupleIJPjSI_NS0_16reverse_iteratorISI_EEEEENSH_IJSG_SG_SG_EEES9_SI_JZNS1_25segmented_radix_sort_implINS0_14default_configELb1EPK12hip_bfloat16PSP_PKlPlN2at6native12_GLOBAL__N_18offset_tEEE10hipError_tPvRmT1_PNSt15iterator_traitsIS13_E10value_typeET2_T3_PNS14_IS19_E10value_typeET4_jRbjT5_S1F_jjP12ihipStream_tbEUljE_ZNSN_ISO_Lb1ESR_SS_SU_SV_SZ_EES10_S11_S12_S13_S17_S18_S19_S1C_S1D_jS1E_jS1F_S1F_jjS1H_bEUljE0_EEES10_S11_S12_S19_S1D_S1F_T6_T7_T9_mT8_S1H_bDpT10_ENKUlT_T0_E_clISt17integral_constantIbLb0EES1U_IbLb1EEEEDaS1Q_S1R_EUlS1Q_E_NS1_11comp_targetILNS1_3genE9ELNS1_11target_archE1100ELNS1_3gpuE3ELNS1_3repE0EEENS1_30default_config_static_selectorELNS0_4arch9wavefront6targetE1EEEvS13_: ; @_ZN7rocprim17ROCPRIM_400000_NS6detail17trampoline_kernelINS0_13select_configILj256ELj13ELNS0_17block_load_methodE3ELS4_3ELS4_3ELNS0_20block_scan_algorithmE0ELj4294967295EEENS1_25partition_config_selectorILNS1_17partition_subalgoE4EjNS0_10empty_typeEbEEZZNS1_14partition_implILS8_4ELb0ES6_15HIP_vector_typeIjLj2EENS0_17counting_iteratorIjlEEPS9_SG_NS0_5tupleIJPjSI_NS0_16reverse_iteratorISI_EEEEENSH_IJSG_SG_SG_EEES9_SI_JZNS1_25segmented_radix_sort_implINS0_14default_configELb1EPK12hip_bfloat16PSP_PKlPlN2at6native12_GLOBAL__N_18offset_tEEE10hipError_tPvRmT1_PNSt15iterator_traitsIS13_E10value_typeET2_T3_PNS14_IS19_E10value_typeET4_jRbjT5_S1F_jjP12ihipStream_tbEUljE_ZNSN_ISO_Lb1ESR_SS_SU_SV_SZ_EES10_S11_S12_S13_S17_S18_S19_S1C_S1D_jS1E_jS1F_S1F_jjS1H_bEUljE0_EEES10_S11_S12_S19_S1D_S1F_T6_T7_T9_mT8_S1H_bDpT10_ENKUlT_T0_E_clISt17integral_constantIbLb0EES1U_IbLb1EEEEDaS1Q_S1R_EUlS1Q_E_NS1_11comp_targetILNS1_3genE9ELNS1_11target_archE1100ELNS1_3gpuE3ELNS1_3repE0EEENS1_30default_config_static_selectorELNS0_4arch9wavefront6targetE1EEEvS13_
; %bb.0:
	.section	.rodata,"a",@progbits
	.p2align	6, 0x0
	.amdhsa_kernel _ZN7rocprim17ROCPRIM_400000_NS6detail17trampoline_kernelINS0_13select_configILj256ELj13ELNS0_17block_load_methodE3ELS4_3ELS4_3ELNS0_20block_scan_algorithmE0ELj4294967295EEENS1_25partition_config_selectorILNS1_17partition_subalgoE4EjNS0_10empty_typeEbEEZZNS1_14partition_implILS8_4ELb0ES6_15HIP_vector_typeIjLj2EENS0_17counting_iteratorIjlEEPS9_SG_NS0_5tupleIJPjSI_NS0_16reverse_iteratorISI_EEEEENSH_IJSG_SG_SG_EEES9_SI_JZNS1_25segmented_radix_sort_implINS0_14default_configELb1EPK12hip_bfloat16PSP_PKlPlN2at6native12_GLOBAL__N_18offset_tEEE10hipError_tPvRmT1_PNSt15iterator_traitsIS13_E10value_typeET2_T3_PNS14_IS19_E10value_typeET4_jRbjT5_S1F_jjP12ihipStream_tbEUljE_ZNSN_ISO_Lb1ESR_SS_SU_SV_SZ_EES10_S11_S12_S13_S17_S18_S19_S1C_S1D_jS1E_jS1F_S1F_jjS1H_bEUljE0_EEES10_S11_S12_S19_S1D_S1F_T6_T7_T9_mT8_S1H_bDpT10_ENKUlT_T0_E_clISt17integral_constantIbLb0EES1U_IbLb1EEEEDaS1Q_S1R_EUlS1Q_E_NS1_11comp_targetILNS1_3genE9ELNS1_11target_archE1100ELNS1_3gpuE3ELNS1_3repE0EEENS1_30default_config_static_selectorELNS0_4arch9wavefront6targetE1EEEvS13_
		.amdhsa_group_segment_fixed_size 0
		.amdhsa_private_segment_fixed_size 0
		.amdhsa_kernarg_size 184
		.amdhsa_user_sgpr_count 6
		.amdhsa_user_sgpr_private_segment_buffer 1
		.amdhsa_user_sgpr_dispatch_ptr 0
		.amdhsa_user_sgpr_queue_ptr 0
		.amdhsa_user_sgpr_kernarg_segment_ptr 1
		.amdhsa_user_sgpr_dispatch_id 0
		.amdhsa_user_sgpr_flat_scratch_init 0
		.amdhsa_user_sgpr_private_segment_size 0
		.amdhsa_uses_dynamic_stack 0
		.amdhsa_system_sgpr_private_segment_wavefront_offset 0
		.amdhsa_system_sgpr_workgroup_id_x 1
		.amdhsa_system_sgpr_workgroup_id_y 0
		.amdhsa_system_sgpr_workgroup_id_z 0
		.amdhsa_system_sgpr_workgroup_info 0
		.amdhsa_system_vgpr_workitem_id 0
		.amdhsa_next_free_vgpr 1
		.amdhsa_next_free_sgpr 0
		.amdhsa_reserve_vcc 0
		.amdhsa_reserve_flat_scratch 0
		.amdhsa_float_round_mode_32 0
		.amdhsa_float_round_mode_16_64 0
		.amdhsa_float_denorm_mode_32 3
		.amdhsa_float_denorm_mode_16_64 3
		.amdhsa_dx10_clamp 1
		.amdhsa_ieee_mode 1
		.amdhsa_fp16_overflow 0
		.amdhsa_exception_fp_ieee_invalid_op 0
		.amdhsa_exception_fp_denorm_src 0
		.amdhsa_exception_fp_ieee_div_zero 0
		.amdhsa_exception_fp_ieee_overflow 0
		.amdhsa_exception_fp_ieee_underflow 0
		.amdhsa_exception_fp_ieee_inexact 0
		.amdhsa_exception_int_div_zero 0
	.end_amdhsa_kernel
	.section	.text._ZN7rocprim17ROCPRIM_400000_NS6detail17trampoline_kernelINS0_13select_configILj256ELj13ELNS0_17block_load_methodE3ELS4_3ELS4_3ELNS0_20block_scan_algorithmE0ELj4294967295EEENS1_25partition_config_selectorILNS1_17partition_subalgoE4EjNS0_10empty_typeEbEEZZNS1_14partition_implILS8_4ELb0ES6_15HIP_vector_typeIjLj2EENS0_17counting_iteratorIjlEEPS9_SG_NS0_5tupleIJPjSI_NS0_16reverse_iteratorISI_EEEEENSH_IJSG_SG_SG_EEES9_SI_JZNS1_25segmented_radix_sort_implINS0_14default_configELb1EPK12hip_bfloat16PSP_PKlPlN2at6native12_GLOBAL__N_18offset_tEEE10hipError_tPvRmT1_PNSt15iterator_traitsIS13_E10value_typeET2_T3_PNS14_IS19_E10value_typeET4_jRbjT5_S1F_jjP12ihipStream_tbEUljE_ZNSN_ISO_Lb1ESR_SS_SU_SV_SZ_EES10_S11_S12_S13_S17_S18_S19_S1C_S1D_jS1E_jS1F_S1F_jjS1H_bEUljE0_EEES10_S11_S12_S19_S1D_S1F_T6_T7_T9_mT8_S1H_bDpT10_ENKUlT_T0_E_clISt17integral_constantIbLb0EES1U_IbLb1EEEEDaS1Q_S1R_EUlS1Q_E_NS1_11comp_targetILNS1_3genE9ELNS1_11target_archE1100ELNS1_3gpuE3ELNS1_3repE0EEENS1_30default_config_static_selectorELNS0_4arch9wavefront6targetE1EEEvS13_,"axG",@progbits,_ZN7rocprim17ROCPRIM_400000_NS6detail17trampoline_kernelINS0_13select_configILj256ELj13ELNS0_17block_load_methodE3ELS4_3ELS4_3ELNS0_20block_scan_algorithmE0ELj4294967295EEENS1_25partition_config_selectorILNS1_17partition_subalgoE4EjNS0_10empty_typeEbEEZZNS1_14partition_implILS8_4ELb0ES6_15HIP_vector_typeIjLj2EENS0_17counting_iteratorIjlEEPS9_SG_NS0_5tupleIJPjSI_NS0_16reverse_iteratorISI_EEEEENSH_IJSG_SG_SG_EEES9_SI_JZNS1_25segmented_radix_sort_implINS0_14default_configELb1EPK12hip_bfloat16PSP_PKlPlN2at6native12_GLOBAL__N_18offset_tEEE10hipError_tPvRmT1_PNSt15iterator_traitsIS13_E10value_typeET2_T3_PNS14_IS19_E10value_typeET4_jRbjT5_S1F_jjP12ihipStream_tbEUljE_ZNSN_ISO_Lb1ESR_SS_SU_SV_SZ_EES10_S11_S12_S13_S17_S18_S19_S1C_S1D_jS1E_jS1F_S1F_jjS1H_bEUljE0_EEES10_S11_S12_S19_S1D_S1F_T6_T7_T9_mT8_S1H_bDpT10_ENKUlT_T0_E_clISt17integral_constantIbLb0EES1U_IbLb1EEEEDaS1Q_S1R_EUlS1Q_E_NS1_11comp_targetILNS1_3genE9ELNS1_11target_archE1100ELNS1_3gpuE3ELNS1_3repE0EEENS1_30default_config_static_selectorELNS0_4arch9wavefront6targetE1EEEvS13_,comdat
.Lfunc_end1912:
	.size	_ZN7rocprim17ROCPRIM_400000_NS6detail17trampoline_kernelINS0_13select_configILj256ELj13ELNS0_17block_load_methodE3ELS4_3ELS4_3ELNS0_20block_scan_algorithmE0ELj4294967295EEENS1_25partition_config_selectorILNS1_17partition_subalgoE4EjNS0_10empty_typeEbEEZZNS1_14partition_implILS8_4ELb0ES6_15HIP_vector_typeIjLj2EENS0_17counting_iteratorIjlEEPS9_SG_NS0_5tupleIJPjSI_NS0_16reverse_iteratorISI_EEEEENSH_IJSG_SG_SG_EEES9_SI_JZNS1_25segmented_radix_sort_implINS0_14default_configELb1EPK12hip_bfloat16PSP_PKlPlN2at6native12_GLOBAL__N_18offset_tEEE10hipError_tPvRmT1_PNSt15iterator_traitsIS13_E10value_typeET2_T3_PNS14_IS19_E10value_typeET4_jRbjT5_S1F_jjP12ihipStream_tbEUljE_ZNSN_ISO_Lb1ESR_SS_SU_SV_SZ_EES10_S11_S12_S13_S17_S18_S19_S1C_S1D_jS1E_jS1F_S1F_jjS1H_bEUljE0_EEES10_S11_S12_S19_S1D_S1F_T6_T7_T9_mT8_S1H_bDpT10_ENKUlT_T0_E_clISt17integral_constantIbLb0EES1U_IbLb1EEEEDaS1Q_S1R_EUlS1Q_E_NS1_11comp_targetILNS1_3genE9ELNS1_11target_archE1100ELNS1_3gpuE3ELNS1_3repE0EEENS1_30default_config_static_selectorELNS0_4arch9wavefront6targetE1EEEvS13_, .Lfunc_end1912-_ZN7rocprim17ROCPRIM_400000_NS6detail17trampoline_kernelINS0_13select_configILj256ELj13ELNS0_17block_load_methodE3ELS4_3ELS4_3ELNS0_20block_scan_algorithmE0ELj4294967295EEENS1_25partition_config_selectorILNS1_17partition_subalgoE4EjNS0_10empty_typeEbEEZZNS1_14partition_implILS8_4ELb0ES6_15HIP_vector_typeIjLj2EENS0_17counting_iteratorIjlEEPS9_SG_NS0_5tupleIJPjSI_NS0_16reverse_iteratorISI_EEEEENSH_IJSG_SG_SG_EEES9_SI_JZNS1_25segmented_radix_sort_implINS0_14default_configELb1EPK12hip_bfloat16PSP_PKlPlN2at6native12_GLOBAL__N_18offset_tEEE10hipError_tPvRmT1_PNSt15iterator_traitsIS13_E10value_typeET2_T3_PNS14_IS19_E10value_typeET4_jRbjT5_S1F_jjP12ihipStream_tbEUljE_ZNSN_ISO_Lb1ESR_SS_SU_SV_SZ_EES10_S11_S12_S13_S17_S18_S19_S1C_S1D_jS1E_jS1F_S1F_jjS1H_bEUljE0_EEES10_S11_S12_S19_S1D_S1F_T6_T7_T9_mT8_S1H_bDpT10_ENKUlT_T0_E_clISt17integral_constantIbLb0EES1U_IbLb1EEEEDaS1Q_S1R_EUlS1Q_E_NS1_11comp_targetILNS1_3genE9ELNS1_11target_archE1100ELNS1_3gpuE3ELNS1_3repE0EEENS1_30default_config_static_selectorELNS0_4arch9wavefront6targetE1EEEvS13_
                                        ; -- End function
	.set _ZN7rocprim17ROCPRIM_400000_NS6detail17trampoline_kernelINS0_13select_configILj256ELj13ELNS0_17block_load_methodE3ELS4_3ELS4_3ELNS0_20block_scan_algorithmE0ELj4294967295EEENS1_25partition_config_selectorILNS1_17partition_subalgoE4EjNS0_10empty_typeEbEEZZNS1_14partition_implILS8_4ELb0ES6_15HIP_vector_typeIjLj2EENS0_17counting_iteratorIjlEEPS9_SG_NS0_5tupleIJPjSI_NS0_16reverse_iteratorISI_EEEEENSH_IJSG_SG_SG_EEES9_SI_JZNS1_25segmented_radix_sort_implINS0_14default_configELb1EPK12hip_bfloat16PSP_PKlPlN2at6native12_GLOBAL__N_18offset_tEEE10hipError_tPvRmT1_PNSt15iterator_traitsIS13_E10value_typeET2_T3_PNS14_IS19_E10value_typeET4_jRbjT5_S1F_jjP12ihipStream_tbEUljE_ZNSN_ISO_Lb1ESR_SS_SU_SV_SZ_EES10_S11_S12_S13_S17_S18_S19_S1C_S1D_jS1E_jS1F_S1F_jjS1H_bEUljE0_EEES10_S11_S12_S19_S1D_S1F_T6_T7_T9_mT8_S1H_bDpT10_ENKUlT_T0_E_clISt17integral_constantIbLb0EES1U_IbLb1EEEEDaS1Q_S1R_EUlS1Q_E_NS1_11comp_targetILNS1_3genE9ELNS1_11target_archE1100ELNS1_3gpuE3ELNS1_3repE0EEENS1_30default_config_static_selectorELNS0_4arch9wavefront6targetE1EEEvS13_.num_vgpr, 0
	.set _ZN7rocprim17ROCPRIM_400000_NS6detail17trampoline_kernelINS0_13select_configILj256ELj13ELNS0_17block_load_methodE3ELS4_3ELS4_3ELNS0_20block_scan_algorithmE0ELj4294967295EEENS1_25partition_config_selectorILNS1_17partition_subalgoE4EjNS0_10empty_typeEbEEZZNS1_14partition_implILS8_4ELb0ES6_15HIP_vector_typeIjLj2EENS0_17counting_iteratorIjlEEPS9_SG_NS0_5tupleIJPjSI_NS0_16reverse_iteratorISI_EEEEENSH_IJSG_SG_SG_EEES9_SI_JZNS1_25segmented_radix_sort_implINS0_14default_configELb1EPK12hip_bfloat16PSP_PKlPlN2at6native12_GLOBAL__N_18offset_tEEE10hipError_tPvRmT1_PNSt15iterator_traitsIS13_E10value_typeET2_T3_PNS14_IS19_E10value_typeET4_jRbjT5_S1F_jjP12ihipStream_tbEUljE_ZNSN_ISO_Lb1ESR_SS_SU_SV_SZ_EES10_S11_S12_S13_S17_S18_S19_S1C_S1D_jS1E_jS1F_S1F_jjS1H_bEUljE0_EEES10_S11_S12_S19_S1D_S1F_T6_T7_T9_mT8_S1H_bDpT10_ENKUlT_T0_E_clISt17integral_constantIbLb0EES1U_IbLb1EEEEDaS1Q_S1R_EUlS1Q_E_NS1_11comp_targetILNS1_3genE9ELNS1_11target_archE1100ELNS1_3gpuE3ELNS1_3repE0EEENS1_30default_config_static_selectorELNS0_4arch9wavefront6targetE1EEEvS13_.num_agpr, 0
	.set _ZN7rocprim17ROCPRIM_400000_NS6detail17trampoline_kernelINS0_13select_configILj256ELj13ELNS0_17block_load_methodE3ELS4_3ELS4_3ELNS0_20block_scan_algorithmE0ELj4294967295EEENS1_25partition_config_selectorILNS1_17partition_subalgoE4EjNS0_10empty_typeEbEEZZNS1_14partition_implILS8_4ELb0ES6_15HIP_vector_typeIjLj2EENS0_17counting_iteratorIjlEEPS9_SG_NS0_5tupleIJPjSI_NS0_16reverse_iteratorISI_EEEEENSH_IJSG_SG_SG_EEES9_SI_JZNS1_25segmented_radix_sort_implINS0_14default_configELb1EPK12hip_bfloat16PSP_PKlPlN2at6native12_GLOBAL__N_18offset_tEEE10hipError_tPvRmT1_PNSt15iterator_traitsIS13_E10value_typeET2_T3_PNS14_IS19_E10value_typeET4_jRbjT5_S1F_jjP12ihipStream_tbEUljE_ZNSN_ISO_Lb1ESR_SS_SU_SV_SZ_EES10_S11_S12_S13_S17_S18_S19_S1C_S1D_jS1E_jS1F_S1F_jjS1H_bEUljE0_EEES10_S11_S12_S19_S1D_S1F_T6_T7_T9_mT8_S1H_bDpT10_ENKUlT_T0_E_clISt17integral_constantIbLb0EES1U_IbLb1EEEEDaS1Q_S1R_EUlS1Q_E_NS1_11comp_targetILNS1_3genE9ELNS1_11target_archE1100ELNS1_3gpuE3ELNS1_3repE0EEENS1_30default_config_static_selectorELNS0_4arch9wavefront6targetE1EEEvS13_.numbered_sgpr, 0
	.set _ZN7rocprim17ROCPRIM_400000_NS6detail17trampoline_kernelINS0_13select_configILj256ELj13ELNS0_17block_load_methodE3ELS4_3ELS4_3ELNS0_20block_scan_algorithmE0ELj4294967295EEENS1_25partition_config_selectorILNS1_17partition_subalgoE4EjNS0_10empty_typeEbEEZZNS1_14partition_implILS8_4ELb0ES6_15HIP_vector_typeIjLj2EENS0_17counting_iteratorIjlEEPS9_SG_NS0_5tupleIJPjSI_NS0_16reverse_iteratorISI_EEEEENSH_IJSG_SG_SG_EEES9_SI_JZNS1_25segmented_radix_sort_implINS0_14default_configELb1EPK12hip_bfloat16PSP_PKlPlN2at6native12_GLOBAL__N_18offset_tEEE10hipError_tPvRmT1_PNSt15iterator_traitsIS13_E10value_typeET2_T3_PNS14_IS19_E10value_typeET4_jRbjT5_S1F_jjP12ihipStream_tbEUljE_ZNSN_ISO_Lb1ESR_SS_SU_SV_SZ_EES10_S11_S12_S13_S17_S18_S19_S1C_S1D_jS1E_jS1F_S1F_jjS1H_bEUljE0_EEES10_S11_S12_S19_S1D_S1F_T6_T7_T9_mT8_S1H_bDpT10_ENKUlT_T0_E_clISt17integral_constantIbLb0EES1U_IbLb1EEEEDaS1Q_S1R_EUlS1Q_E_NS1_11comp_targetILNS1_3genE9ELNS1_11target_archE1100ELNS1_3gpuE3ELNS1_3repE0EEENS1_30default_config_static_selectorELNS0_4arch9wavefront6targetE1EEEvS13_.num_named_barrier, 0
	.set _ZN7rocprim17ROCPRIM_400000_NS6detail17trampoline_kernelINS0_13select_configILj256ELj13ELNS0_17block_load_methodE3ELS4_3ELS4_3ELNS0_20block_scan_algorithmE0ELj4294967295EEENS1_25partition_config_selectorILNS1_17partition_subalgoE4EjNS0_10empty_typeEbEEZZNS1_14partition_implILS8_4ELb0ES6_15HIP_vector_typeIjLj2EENS0_17counting_iteratorIjlEEPS9_SG_NS0_5tupleIJPjSI_NS0_16reverse_iteratorISI_EEEEENSH_IJSG_SG_SG_EEES9_SI_JZNS1_25segmented_radix_sort_implINS0_14default_configELb1EPK12hip_bfloat16PSP_PKlPlN2at6native12_GLOBAL__N_18offset_tEEE10hipError_tPvRmT1_PNSt15iterator_traitsIS13_E10value_typeET2_T3_PNS14_IS19_E10value_typeET4_jRbjT5_S1F_jjP12ihipStream_tbEUljE_ZNSN_ISO_Lb1ESR_SS_SU_SV_SZ_EES10_S11_S12_S13_S17_S18_S19_S1C_S1D_jS1E_jS1F_S1F_jjS1H_bEUljE0_EEES10_S11_S12_S19_S1D_S1F_T6_T7_T9_mT8_S1H_bDpT10_ENKUlT_T0_E_clISt17integral_constantIbLb0EES1U_IbLb1EEEEDaS1Q_S1R_EUlS1Q_E_NS1_11comp_targetILNS1_3genE9ELNS1_11target_archE1100ELNS1_3gpuE3ELNS1_3repE0EEENS1_30default_config_static_selectorELNS0_4arch9wavefront6targetE1EEEvS13_.private_seg_size, 0
	.set _ZN7rocprim17ROCPRIM_400000_NS6detail17trampoline_kernelINS0_13select_configILj256ELj13ELNS0_17block_load_methodE3ELS4_3ELS4_3ELNS0_20block_scan_algorithmE0ELj4294967295EEENS1_25partition_config_selectorILNS1_17partition_subalgoE4EjNS0_10empty_typeEbEEZZNS1_14partition_implILS8_4ELb0ES6_15HIP_vector_typeIjLj2EENS0_17counting_iteratorIjlEEPS9_SG_NS0_5tupleIJPjSI_NS0_16reverse_iteratorISI_EEEEENSH_IJSG_SG_SG_EEES9_SI_JZNS1_25segmented_radix_sort_implINS0_14default_configELb1EPK12hip_bfloat16PSP_PKlPlN2at6native12_GLOBAL__N_18offset_tEEE10hipError_tPvRmT1_PNSt15iterator_traitsIS13_E10value_typeET2_T3_PNS14_IS19_E10value_typeET4_jRbjT5_S1F_jjP12ihipStream_tbEUljE_ZNSN_ISO_Lb1ESR_SS_SU_SV_SZ_EES10_S11_S12_S13_S17_S18_S19_S1C_S1D_jS1E_jS1F_S1F_jjS1H_bEUljE0_EEES10_S11_S12_S19_S1D_S1F_T6_T7_T9_mT8_S1H_bDpT10_ENKUlT_T0_E_clISt17integral_constantIbLb0EES1U_IbLb1EEEEDaS1Q_S1R_EUlS1Q_E_NS1_11comp_targetILNS1_3genE9ELNS1_11target_archE1100ELNS1_3gpuE3ELNS1_3repE0EEENS1_30default_config_static_selectorELNS0_4arch9wavefront6targetE1EEEvS13_.uses_vcc, 0
	.set _ZN7rocprim17ROCPRIM_400000_NS6detail17trampoline_kernelINS0_13select_configILj256ELj13ELNS0_17block_load_methodE3ELS4_3ELS4_3ELNS0_20block_scan_algorithmE0ELj4294967295EEENS1_25partition_config_selectorILNS1_17partition_subalgoE4EjNS0_10empty_typeEbEEZZNS1_14partition_implILS8_4ELb0ES6_15HIP_vector_typeIjLj2EENS0_17counting_iteratorIjlEEPS9_SG_NS0_5tupleIJPjSI_NS0_16reverse_iteratorISI_EEEEENSH_IJSG_SG_SG_EEES9_SI_JZNS1_25segmented_radix_sort_implINS0_14default_configELb1EPK12hip_bfloat16PSP_PKlPlN2at6native12_GLOBAL__N_18offset_tEEE10hipError_tPvRmT1_PNSt15iterator_traitsIS13_E10value_typeET2_T3_PNS14_IS19_E10value_typeET4_jRbjT5_S1F_jjP12ihipStream_tbEUljE_ZNSN_ISO_Lb1ESR_SS_SU_SV_SZ_EES10_S11_S12_S13_S17_S18_S19_S1C_S1D_jS1E_jS1F_S1F_jjS1H_bEUljE0_EEES10_S11_S12_S19_S1D_S1F_T6_T7_T9_mT8_S1H_bDpT10_ENKUlT_T0_E_clISt17integral_constantIbLb0EES1U_IbLb1EEEEDaS1Q_S1R_EUlS1Q_E_NS1_11comp_targetILNS1_3genE9ELNS1_11target_archE1100ELNS1_3gpuE3ELNS1_3repE0EEENS1_30default_config_static_selectorELNS0_4arch9wavefront6targetE1EEEvS13_.uses_flat_scratch, 0
	.set _ZN7rocprim17ROCPRIM_400000_NS6detail17trampoline_kernelINS0_13select_configILj256ELj13ELNS0_17block_load_methodE3ELS4_3ELS4_3ELNS0_20block_scan_algorithmE0ELj4294967295EEENS1_25partition_config_selectorILNS1_17partition_subalgoE4EjNS0_10empty_typeEbEEZZNS1_14partition_implILS8_4ELb0ES6_15HIP_vector_typeIjLj2EENS0_17counting_iteratorIjlEEPS9_SG_NS0_5tupleIJPjSI_NS0_16reverse_iteratorISI_EEEEENSH_IJSG_SG_SG_EEES9_SI_JZNS1_25segmented_radix_sort_implINS0_14default_configELb1EPK12hip_bfloat16PSP_PKlPlN2at6native12_GLOBAL__N_18offset_tEEE10hipError_tPvRmT1_PNSt15iterator_traitsIS13_E10value_typeET2_T3_PNS14_IS19_E10value_typeET4_jRbjT5_S1F_jjP12ihipStream_tbEUljE_ZNSN_ISO_Lb1ESR_SS_SU_SV_SZ_EES10_S11_S12_S13_S17_S18_S19_S1C_S1D_jS1E_jS1F_S1F_jjS1H_bEUljE0_EEES10_S11_S12_S19_S1D_S1F_T6_T7_T9_mT8_S1H_bDpT10_ENKUlT_T0_E_clISt17integral_constantIbLb0EES1U_IbLb1EEEEDaS1Q_S1R_EUlS1Q_E_NS1_11comp_targetILNS1_3genE9ELNS1_11target_archE1100ELNS1_3gpuE3ELNS1_3repE0EEENS1_30default_config_static_selectorELNS0_4arch9wavefront6targetE1EEEvS13_.has_dyn_sized_stack, 0
	.set _ZN7rocprim17ROCPRIM_400000_NS6detail17trampoline_kernelINS0_13select_configILj256ELj13ELNS0_17block_load_methodE3ELS4_3ELS4_3ELNS0_20block_scan_algorithmE0ELj4294967295EEENS1_25partition_config_selectorILNS1_17partition_subalgoE4EjNS0_10empty_typeEbEEZZNS1_14partition_implILS8_4ELb0ES6_15HIP_vector_typeIjLj2EENS0_17counting_iteratorIjlEEPS9_SG_NS0_5tupleIJPjSI_NS0_16reverse_iteratorISI_EEEEENSH_IJSG_SG_SG_EEES9_SI_JZNS1_25segmented_radix_sort_implINS0_14default_configELb1EPK12hip_bfloat16PSP_PKlPlN2at6native12_GLOBAL__N_18offset_tEEE10hipError_tPvRmT1_PNSt15iterator_traitsIS13_E10value_typeET2_T3_PNS14_IS19_E10value_typeET4_jRbjT5_S1F_jjP12ihipStream_tbEUljE_ZNSN_ISO_Lb1ESR_SS_SU_SV_SZ_EES10_S11_S12_S13_S17_S18_S19_S1C_S1D_jS1E_jS1F_S1F_jjS1H_bEUljE0_EEES10_S11_S12_S19_S1D_S1F_T6_T7_T9_mT8_S1H_bDpT10_ENKUlT_T0_E_clISt17integral_constantIbLb0EES1U_IbLb1EEEEDaS1Q_S1R_EUlS1Q_E_NS1_11comp_targetILNS1_3genE9ELNS1_11target_archE1100ELNS1_3gpuE3ELNS1_3repE0EEENS1_30default_config_static_selectorELNS0_4arch9wavefront6targetE1EEEvS13_.has_recursion, 0
	.set _ZN7rocprim17ROCPRIM_400000_NS6detail17trampoline_kernelINS0_13select_configILj256ELj13ELNS0_17block_load_methodE3ELS4_3ELS4_3ELNS0_20block_scan_algorithmE0ELj4294967295EEENS1_25partition_config_selectorILNS1_17partition_subalgoE4EjNS0_10empty_typeEbEEZZNS1_14partition_implILS8_4ELb0ES6_15HIP_vector_typeIjLj2EENS0_17counting_iteratorIjlEEPS9_SG_NS0_5tupleIJPjSI_NS0_16reverse_iteratorISI_EEEEENSH_IJSG_SG_SG_EEES9_SI_JZNS1_25segmented_radix_sort_implINS0_14default_configELb1EPK12hip_bfloat16PSP_PKlPlN2at6native12_GLOBAL__N_18offset_tEEE10hipError_tPvRmT1_PNSt15iterator_traitsIS13_E10value_typeET2_T3_PNS14_IS19_E10value_typeET4_jRbjT5_S1F_jjP12ihipStream_tbEUljE_ZNSN_ISO_Lb1ESR_SS_SU_SV_SZ_EES10_S11_S12_S13_S17_S18_S19_S1C_S1D_jS1E_jS1F_S1F_jjS1H_bEUljE0_EEES10_S11_S12_S19_S1D_S1F_T6_T7_T9_mT8_S1H_bDpT10_ENKUlT_T0_E_clISt17integral_constantIbLb0EES1U_IbLb1EEEEDaS1Q_S1R_EUlS1Q_E_NS1_11comp_targetILNS1_3genE9ELNS1_11target_archE1100ELNS1_3gpuE3ELNS1_3repE0EEENS1_30default_config_static_selectorELNS0_4arch9wavefront6targetE1EEEvS13_.has_indirect_call, 0
	.section	.AMDGPU.csdata,"",@progbits
; Kernel info:
; codeLenInByte = 0
; TotalNumSgprs: 4
; NumVgprs: 0
; ScratchSize: 0
; MemoryBound: 0
; FloatMode: 240
; IeeeMode: 1
; LDSByteSize: 0 bytes/workgroup (compile time only)
; SGPRBlocks: 0
; VGPRBlocks: 0
; NumSGPRsForWavesPerEU: 4
; NumVGPRsForWavesPerEU: 1
; Occupancy: 10
; WaveLimiterHint : 0
; COMPUTE_PGM_RSRC2:SCRATCH_EN: 0
; COMPUTE_PGM_RSRC2:USER_SGPR: 6
; COMPUTE_PGM_RSRC2:TRAP_HANDLER: 0
; COMPUTE_PGM_RSRC2:TGID_X_EN: 1
; COMPUTE_PGM_RSRC2:TGID_Y_EN: 0
; COMPUTE_PGM_RSRC2:TGID_Z_EN: 0
; COMPUTE_PGM_RSRC2:TIDIG_COMP_CNT: 0
	.section	.text._ZN7rocprim17ROCPRIM_400000_NS6detail17trampoline_kernelINS0_13select_configILj256ELj13ELNS0_17block_load_methodE3ELS4_3ELS4_3ELNS0_20block_scan_algorithmE0ELj4294967295EEENS1_25partition_config_selectorILNS1_17partition_subalgoE4EjNS0_10empty_typeEbEEZZNS1_14partition_implILS8_4ELb0ES6_15HIP_vector_typeIjLj2EENS0_17counting_iteratorIjlEEPS9_SG_NS0_5tupleIJPjSI_NS0_16reverse_iteratorISI_EEEEENSH_IJSG_SG_SG_EEES9_SI_JZNS1_25segmented_radix_sort_implINS0_14default_configELb1EPK12hip_bfloat16PSP_PKlPlN2at6native12_GLOBAL__N_18offset_tEEE10hipError_tPvRmT1_PNSt15iterator_traitsIS13_E10value_typeET2_T3_PNS14_IS19_E10value_typeET4_jRbjT5_S1F_jjP12ihipStream_tbEUljE_ZNSN_ISO_Lb1ESR_SS_SU_SV_SZ_EES10_S11_S12_S13_S17_S18_S19_S1C_S1D_jS1E_jS1F_S1F_jjS1H_bEUljE0_EEES10_S11_S12_S19_S1D_S1F_T6_T7_T9_mT8_S1H_bDpT10_ENKUlT_T0_E_clISt17integral_constantIbLb0EES1U_IbLb1EEEEDaS1Q_S1R_EUlS1Q_E_NS1_11comp_targetILNS1_3genE8ELNS1_11target_archE1030ELNS1_3gpuE2ELNS1_3repE0EEENS1_30default_config_static_selectorELNS0_4arch9wavefront6targetE1EEEvS13_,"axG",@progbits,_ZN7rocprim17ROCPRIM_400000_NS6detail17trampoline_kernelINS0_13select_configILj256ELj13ELNS0_17block_load_methodE3ELS4_3ELS4_3ELNS0_20block_scan_algorithmE0ELj4294967295EEENS1_25partition_config_selectorILNS1_17partition_subalgoE4EjNS0_10empty_typeEbEEZZNS1_14partition_implILS8_4ELb0ES6_15HIP_vector_typeIjLj2EENS0_17counting_iteratorIjlEEPS9_SG_NS0_5tupleIJPjSI_NS0_16reverse_iteratorISI_EEEEENSH_IJSG_SG_SG_EEES9_SI_JZNS1_25segmented_radix_sort_implINS0_14default_configELb1EPK12hip_bfloat16PSP_PKlPlN2at6native12_GLOBAL__N_18offset_tEEE10hipError_tPvRmT1_PNSt15iterator_traitsIS13_E10value_typeET2_T3_PNS14_IS19_E10value_typeET4_jRbjT5_S1F_jjP12ihipStream_tbEUljE_ZNSN_ISO_Lb1ESR_SS_SU_SV_SZ_EES10_S11_S12_S13_S17_S18_S19_S1C_S1D_jS1E_jS1F_S1F_jjS1H_bEUljE0_EEES10_S11_S12_S19_S1D_S1F_T6_T7_T9_mT8_S1H_bDpT10_ENKUlT_T0_E_clISt17integral_constantIbLb0EES1U_IbLb1EEEEDaS1Q_S1R_EUlS1Q_E_NS1_11comp_targetILNS1_3genE8ELNS1_11target_archE1030ELNS1_3gpuE2ELNS1_3repE0EEENS1_30default_config_static_selectorELNS0_4arch9wavefront6targetE1EEEvS13_,comdat
	.globl	_ZN7rocprim17ROCPRIM_400000_NS6detail17trampoline_kernelINS0_13select_configILj256ELj13ELNS0_17block_load_methodE3ELS4_3ELS4_3ELNS0_20block_scan_algorithmE0ELj4294967295EEENS1_25partition_config_selectorILNS1_17partition_subalgoE4EjNS0_10empty_typeEbEEZZNS1_14partition_implILS8_4ELb0ES6_15HIP_vector_typeIjLj2EENS0_17counting_iteratorIjlEEPS9_SG_NS0_5tupleIJPjSI_NS0_16reverse_iteratorISI_EEEEENSH_IJSG_SG_SG_EEES9_SI_JZNS1_25segmented_radix_sort_implINS0_14default_configELb1EPK12hip_bfloat16PSP_PKlPlN2at6native12_GLOBAL__N_18offset_tEEE10hipError_tPvRmT1_PNSt15iterator_traitsIS13_E10value_typeET2_T3_PNS14_IS19_E10value_typeET4_jRbjT5_S1F_jjP12ihipStream_tbEUljE_ZNSN_ISO_Lb1ESR_SS_SU_SV_SZ_EES10_S11_S12_S13_S17_S18_S19_S1C_S1D_jS1E_jS1F_S1F_jjS1H_bEUljE0_EEES10_S11_S12_S19_S1D_S1F_T6_T7_T9_mT8_S1H_bDpT10_ENKUlT_T0_E_clISt17integral_constantIbLb0EES1U_IbLb1EEEEDaS1Q_S1R_EUlS1Q_E_NS1_11comp_targetILNS1_3genE8ELNS1_11target_archE1030ELNS1_3gpuE2ELNS1_3repE0EEENS1_30default_config_static_selectorELNS0_4arch9wavefront6targetE1EEEvS13_ ; -- Begin function _ZN7rocprim17ROCPRIM_400000_NS6detail17trampoline_kernelINS0_13select_configILj256ELj13ELNS0_17block_load_methodE3ELS4_3ELS4_3ELNS0_20block_scan_algorithmE0ELj4294967295EEENS1_25partition_config_selectorILNS1_17partition_subalgoE4EjNS0_10empty_typeEbEEZZNS1_14partition_implILS8_4ELb0ES6_15HIP_vector_typeIjLj2EENS0_17counting_iteratorIjlEEPS9_SG_NS0_5tupleIJPjSI_NS0_16reverse_iteratorISI_EEEEENSH_IJSG_SG_SG_EEES9_SI_JZNS1_25segmented_radix_sort_implINS0_14default_configELb1EPK12hip_bfloat16PSP_PKlPlN2at6native12_GLOBAL__N_18offset_tEEE10hipError_tPvRmT1_PNSt15iterator_traitsIS13_E10value_typeET2_T3_PNS14_IS19_E10value_typeET4_jRbjT5_S1F_jjP12ihipStream_tbEUljE_ZNSN_ISO_Lb1ESR_SS_SU_SV_SZ_EES10_S11_S12_S13_S17_S18_S19_S1C_S1D_jS1E_jS1F_S1F_jjS1H_bEUljE0_EEES10_S11_S12_S19_S1D_S1F_T6_T7_T9_mT8_S1H_bDpT10_ENKUlT_T0_E_clISt17integral_constantIbLb0EES1U_IbLb1EEEEDaS1Q_S1R_EUlS1Q_E_NS1_11comp_targetILNS1_3genE8ELNS1_11target_archE1030ELNS1_3gpuE2ELNS1_3repE0EEENS1_30default_config_static_selectorELNS0_4arch9wavefront6targetE1EEEvS13_
	.p2align	8
	.type	_ZN7rocprim17ROCPRIM_400000_NS6detail17trampoline_kernelINS0_13select_configILj256ELj13ELNS0_17block_load_methodE3ELS4_3ELS4_3ELNS0_20block_scan_algorithmE0ELj4294967295EEENS1_25partition_config_selectorILNS1_17partition_subalgoE4EjNS0_10empty_typeEbEEZZNS1_14partition_implILS8_4ELb0ES6_15HIP_vector_typeIjLj2EENS0_17counting_iteratorIjlEEPS9_SG_NS0_5tupleIJPjSI_NS0_16reverse_iteratorISI_EEEEENSH_IJSG_SG_SG_EEES9_SI_JZNS1_25segmented_radix_sort_implINS0_14default_configELb1EPK12hip_bfloat16PSP_PKlPlN2at6native12_GLOBAL__N_18offset_tEEE10hipError_tPvRmT1_PNSt15iterator_traitsIS13_E10value_typeET2_T3_PNS14_IS19_E10value_typeET4_jRbjT5_S1F_jjP12ihipStream_tbEUljE_ZNSN_ISO_Lb1ESR_SS_SU_SV_SZ_EES10_S11_S12_S13_S17_S18_S19_S1C_S1D_jS1E_jS1F_S1F_jjS1H_bEUljE0_EEES10_S11_S12_S19_S1D_S1F_T6_T7_T9_mT8_S1H_bDpT10_ENKUlT_T0_E_clISt17integral_constantIbLb0EES1U_IbLb1EEEEDaS1Q_S1R_EUlS1Q_E_NS1_11comp_targetILNS1_3genE8ELNS1_11target_archE1030ELNS1_3gpuE2ELNS1_3repE0EEENS1_30default_config_static_selectorELNS0_4arch9wavefront6targetE1EEEvS13_,@function
_ZN7rocprim17ROCPRIM_400000_NS6detail17trampoline_kernelINS0_13select_configILj256ELj13ELNS0_17block_load_methodE3ELS4_3ELS4_3ELNS0_20block_scan_algorithmE0ELj4294967295EEENS1_25partition_config_selectorILNS1_17partition_subalgoE4EjNS0_10empty_typeEbEEZZNS1_14partition_implILS8_4ELb0ES6_15HIP_vector_typeIjLj2EENS0_17counting_iteratorIjlEEPS9_SG_NS0_5tupleIJPjSI_NS0_16reverse_iteratorISI_EEEEENSH_IJSG_SG_SG_EEES9_SI_JZNS1_25segmented_radix_sort_implINS0_14default_configELb1EPK12hip_bfloat16PSP_PKlPlN2at6native12_GLOBAL__N_18offset_tEEE10hipError_tPvRmT1_PNSt15iterator_traitsIS13_E10value_typeET2_T3_PNS14_IS19_E10value_typeET4_jRbjT5_S1F_jjP12ihipStream_tbEUljE_ZNSN_ISO_Lb1ESR_SS_SU_SV_SZ_EES10_S11_S12_S13_S17_S18_S19_S1C_S1D_jS1E_jS1F_S1F_jjS1H_bEUljE0_EEES10_S11_S12_S19_S1D_S1F_T6_T7_T9_mT8_S1H_bDpT10_ENKUlT_T0_E_clISt17integral_constantIbLb0EES1U_IbLb1EEEEDaS1Q_S1R_EUlS1Q_E_NS1_11comp_targetILNS1_3genE8ELNS1_11target_archE1030ELNS1_3gpuE2ELNS1_3repE0EEENS1_30default_config_static_selectorELNS0_4arch9wavefront6targetE1EEEvS13_: ; @_ZN7rocprim17ROCPRIM_400000_NS6detail17trampoline_kernelINS0_13select_configILj256ELj13ELNS0_17block_load_methodE3ELS4_3ELS4_3ELNS0_20block_scan_algorithmE0ELj4294967295EEENS1_25partition_config_selectorILNS1_17partition_subalgoE4EjNS0_10empty_typeEbEEZZNS1_14partition_implILS8_4ELb0ES6_15HIP_vector_typeIjLj2EENS0_17counting_iteratorIjlEEPS9_SG_NS0_5tupleIJPjSI_NS0_16reverse_iteratorISI_EEEEENSH_IJSG_SG_SG_EEES9_SI_JZNS1_25segmented_radix_sort_implINS0_14default_configELb1EPK12hip_bfloat16PSP_PKlPlN2at6native12_GLOBAL__N_18offset_tEEE10hipError_tPvRmT1_PNSt15iterator_traitsIS13_E10value_typeET2_T3_PNS14_IS19_E10value_typeET4_jRbjT5_S1F_jjP12ihipStream_tbEUljE_ZNSN_ISO_Lb1ESR_SS_SU_SV_SZ_EES10_S11_S12_S13_S17_S18_S19_S1C_S1D_jS1E_jS1F_S1F_jjS1H_bEUljE0_EEES10_S11_S12_S19_S1D_S1F_T6_T7_T9_mT8_S1H_bDpT10_ENKUlT_T0_E_clISt17integral_constantIbLb0EES1U_IbLb1EEEEDaS1Q_S1R_EUlS1Q_E_NS1_11comp_targetILNS1_3genE8ELNS1_11target_archE1030ELNS1_3gpuE2ELNS1_3repE0EEENS1_30default_config_static_selectorELNS0_4arch9wavefront6targetE1EEEvS13_
; %bb.0:
	.section	.rodata,"a",@progbits
	.p2align	6, 0x0
	.amdhsa_kernel _ZN7rocprim17ROCPRIM_400000_NS6detail17trampoline_kernelINS0_13select_configILj256ELj13ELNS0_17block_load_methodE3ELS4_3ELS4_3ELNS0_20block_scan_algorithmE0ELj4294967295EEENS1_25partition_config_selectorILNS1_17partition_subalgoE4EjNS0_10empty_typeEbEEZZNS1_14partition_implILS8_4ELb0ES6_15HIP_vector_typeIjLj2EENS0_17counting_iteratorIjlEEPS9_SG_NS0_5tupleIJPjSI_NS0_16reverse_iteratorISI_EEEEENSH_IJSG_SG_SG_EEES9_SI_JZNS1_25segmented_radix_sort_implINS0_14default_configELb1EPK12hip_bfloat16PSP_PKlPlN2at6native12_GLOBAL__N_18offset_tEEE10hipError_tPvRmT1_PNSt15iterator_traitsIS13_E10value_typeET2_T3_PNS14_IS19_E10value_typeET4_jRbjT5_S1F_jjP12ihipStream_tbEUljE_ZNSN_ISO_Lb1ESR_SS_SU_SV_SZ_EES10_S11_S12_S13_S17_S18_S19_S1C_S1D_jS1E_jS1F_S1F_jjS1H_bEUljE0_EEES10_S11_S12_S19_S1D_S1F_T6_T7_T9_mT8_S1H_bDpT10_ENKUlT_T0_E_clISt17integral_constantIbLb0EES1U_IbLb1EEEEDaS1Q_S1R_EUlS1Q_E_NS1_11comp_targetILNS1_3genE8ELNS1_11target_archE1030ELNS1_3gpuE2ELNS1_3repE0EEENS1_30default_config_static_selectorELNS0_4arch9wavefront6targetE1EEEvS13_
		.amdhsa_group_segment_fixed_size 0
		.amdhsa_private_segment_fixed_size 0
		.amdhsa_kernarg_size 184
		.amdhsa_user_sgpr_count 6
		.amdhsa_user_sgpr_private_segment_buffer 1
		.amdhsa_user_sgpr_dispatch_ptr 0
		.amdhsa_user_sgpr_queue_ptr 0
		.amdhsa_user_sgpr_kernarg_segment_ptr 1
		.amdhsa_user_sgpr_dispatch_id 0
		.amdhsa_user_sgpr_flat_scratch_init 0
		.amdhsa_user_sgpr_private_segment_size 0
		.amdhsa_uses_dynamic_stack 0
		.amdhsa_system_sgpr_private_segment_wavefront_offset 0
		.amdhsa_system_sgpr_workgroup_id_x 1
		.amdhsa_system_sgpr_workgroup_id_y 0
		.amdhsa_system_sgpr_workgroup_id_z 0
		.amdhsa_system_sgpr_workgroup_info 0
		.amdhsa_system_vgpr_workitem_id 0
		.amdhsa_next_free_vgpr 1
		.amdhsa_next_free_sgpr 0
		.amdhsa_reserve_vcc 0
		.amdhsa_reserve_flat_scratch 0
		.amdhsa_float_round_mode_32 0
		.amdhsa_float_round_mode_16_64 0
		.amdhsa_float_denorm_mode_32 3
		.amdhsa_float_denorm_mode_16_64 3
		.amdhsa_dx10_clamp 1
		.amdhsa_ieee_mode 1
		.amdhsa_fp16_overflow 0
		.amdhsa_exception_fp_ieee_invalid_op 0
		.amdhsa_exception_fp_denorm_src 0
		.amdhsa_exception_fp_ieee_div_zero 0
		.amdhsa_exception_fp_ieee_overflow 0
		.amdhsa_exception_fp_ieee_underflow 0
		.amdhsa_exception_fp_ieee_inexact 0
		.amdhsa_exception_int_div_zero 0
	.end_amdhsa_kernel
	.section	.text._ZN7rocprim17ROCPRIM_400000_NS6detail17trampoline_kernelINS0_13select_configILj256ELj13ELNS0_17block_load_methodE3ELS4_3ELS4_3ELNS0_20block_scan_algorithmE0ELj4294967295EEENS1_25partition_config_selectorILNS1_17partition_subalgoE4EjNS0_10empty_typeEbEEZZNS1_14partition_implILS8_4ELb0ES6_15HIP_vector_typeIjLj2EENS0_17counting_iteratorIjlEEPS9_SG_NS0_5tupleIJPjSI_NS0_16reverse_iteratorISI_EEEEENSH_IJSG_SG_SG_EEES9_SI_JZNS1_25segmented_radix_sort_implINS0_14default_configELb1EPK12hip_bfloat16PSP_PKlPlN2at6native12_GLOBAL__N_18offset_tEEE10hipError_tPvRmT1_PNSt15iterator_traitsIS13_E10value_typeET2_T3_PNS14_IS19_E10value_typeET4_jRbjT5_S1F_jjP12ihipStream_tbEUljE_ZNSN_ISO_Lb1ESR_SS_SU_SV_SZ_EES10_S11_S12_S13_S17_S18_S19_S1C_S1D_jS1E_jS1F_S1F_jjS1H_bEUljE0_EEES10_S11_S12_S19_S1D_S1F_T6_T7_T9_mT8_S1H_bDpT10_ENKUlT_T0_E_clISt17integral_constantIbLb0EES1U_IbLb1EEEEDaS1Q_S1R_EUlS1Q_E_NS1_11comp_targetILNS1_3genE8ELNS1_11target_archE1030ELNS1_3gpuE2ELNS1_3repE0EEENS1_30default_config_static_selectorELNS0_4arch9wavefront6targetE1EEEvS13_,"axG",@progbits,_ZN7rocprim17ROCPRIM_400000_NS6detail17trampoline_kernelINS0_13select_configILj256ELj13ELNS0_17block_load_methodE3ELS4_3ELS4_3ELNS0_20block_scan_algorithmE0ELj4294967295EEENS1_25partition_config_selectorILNS1_17partition_subalgoE4EjNS0_10empty_typeEbEEZZNS1_14partition_implILS8_4ELb0ES6_15HIP_vector_typeIjLj2EENS0_17counting_iteratorIjlEEPS9_SG_NS0_5tupleIJPjSI_NS0_16reverse_iteratorISI_EEEEENSH_IJSG_SG_SG_EEES9_SI_JZNS1_25segmented_radix_sort_implINS0_14default_configELb1EPK12hip_bfloat16PSP_PKlPlN2at6native12_GLOBAL__N_18offset_tEEE10hipError_tPvRmT1_PNSt15iterator_traitsIS13_E10value_typeET2_T3_PNS14_IS19_E10value_typeET4_jRbjT5_S1F_jjP12ihipStream_tbEUljE_ZNSN_ISO_Lb1ESR_SS_SU_SV_SZ_EES10_S11_S12_S13_S17_S18_S19_S1C_S1D_jS1E_jS1F_S1F_jjS1H_bEUljE0_EEES10_S11_S12_S19_S1D_S1F_T6_T7_T9_mT8_S1H_bDpT10_ENKUlT_T0_E_clISt17integral_constantIbLb0EES1U_IbLb1EEEEDaS1Q_S1R_EUlS1Q_E_NS1_11comp_targetILNS1_3genE8ELNS1_11target_archE1030ELNS1_3gpuE2ELNS1_3repE0EEENS1_30default_config_static_selectorELNS0_4arch9wavefront6targetE1EEEvS13_,comdat
.Lfunc_end1913:
	.size	_ZN7rocprim17ROCPRIM_400000_NS6detail17trampoline_kernelINS0_13select_configILj256ELj13ELNS0_17block_load_methodE3ELS4_3ELS4_3ELNS0_20block_scan_algorithmE0ELj4294967295EEENS1_25partition_config_selectorILNS1_17partition_subalgoE4EjNS0_10empty_typeEbEEZZNS1_14partition_implILS8_4ELb0ES6_15HIP_vector_typeIjLj2EENS0_17counting_iteratorIjlEEPS9_SG_NS0_5tupleIJPjSI_NS0_16reverse_iteratorISI_EEEEENSH_IJSG_SG_SG_EEES9_SI_JZNS1_25segmented_radix_sort_implINS0_14default_configELb1EPK12hip_bfloat16PSP_PKlPlN2at6native12_GLOBAL__N_18offset_tEEE10hipError_tPvRmT1_PNSt15iterator_traitsIS13_E10value_typeET2_T3_PNS14_IS19_E10value_typeET4_jRbjT5_S1F_jjP12ihipStream_tbEUljE_ZNSN_ISO_Lb1ESR_SS_SU_SV_SZ_EES10_S11_S12_S13_S17_S18_S19_S1C_S1D_jS1E_jS1F_S1F_jjS1H_bEUljE0_EEES10_S11_S12_S19_S1D_S1F_T6_T7_T9_mT8_S1H_bDpT10_ENKUlT_T0_E_clISt17integral_constantIbLb0EES1U_IbLb1EEEEDaS1Q_S1R_EUlS1Q_E_NS1_11comp_targetILNS1_3genE8ELNS1_11target_archE1030ELNS1_3gpuE2ELNS1_3repE0EEENS1_30default_config_static_selectorELNS0_4arch9wavefront6targetE1EEEvS13_, .Lfunc_end1913-_ZN7rocprim17ROCPRIM_400000_NS6detail17trampoline_kernelINS0_13select_configILj256ELj13ELNS0_17block_load_methodE3ELS4_3ELS4_3ELNS0_20block_scan_algorithmE0ELj4294967295EEENS1_25partition_config_selectorILNS1_17partition_subalgoE4EjNS0_10empty_typeEbEEZZNS1_14partition_implILS8_4ELb0ES6_15HIP_vector_typeIjLj2EENS0_17counting_iteratorIjlEEPS9_SG_NS0_5tupleIJPjSI_NS0_16reverse_iteratorISI_EEEEENSH_IJSG_SG_SG_EEES9_SI_JZNS1_25segmented_radix_sort_implINS0_14default_configELb1EPK12hip_bfloat16PSP_PKlPlN2at6native12_GLOBAL__N_18offset_tEEE10hipError_tPvRmT1_PNSt15iterator_traitsIS13_E10value_typeET2_T3_PNS14_IS19_E10value_typeET4_jRbjT5_S1F_jjP12ihipStream_tbEUljE_ZNSN_ISO_Lb1ESR_SS_SU_SV_SZ_EES10_S11_S12_S13_S17_S18_S19_S1C_S1D_jS1E_jS1F_S1F_jjS1H_bEUljE0_EEES10_S11_S12_S19_S1D_S1F_T6_T7_T9_mT8_S1H_bDpT10_ENKUlT_T0_E_clISt17integral_constantIbLb0EES1U_IbLb1EEEEDaS1Q_S1R_EUlS1Q_E_NS1_11comp_targetILNS1_3genE8ELNS1_11target_archE1030ELNS1_3gpuE2ELNS1_3repE0EEENS1_30default_config_static_selectorELNS0_4arch9wavefront6targetE1EEEvS13_
                                        ; -- End function
	.set _ZN7rocprim17ROCPRIM_400000_NS6detail17trampoline_kernelINS0_13select_configILj256ELj13ELNS0_17block_load_methodE3ELS4_3ELS4_3ELNS0_20block_scan_algorithmE0ELj4294967295EEENS1_25partition_config_selectorILNS1_17partition_subalgoE4EjNS0_10empty_typeEbEEZZNS1_14partition_implILS8_4ELb0ES6_15HIP_vector_typeIjLj2EENS0_17counting_iteratorIjlEEPS9_SG_NS0_5tupleIJPjSI_NS0_16reverse_iteratorISI_EEEEENSH_IJSG_SG_SG_EEES9_SI_JZNS1_25segmented_radix_sort_implINS0_14default_configELb1EPK12hip_bfloat16PSP_PKlPlN2at6native12_GLOBAL__N_18offset_tEEE10hipError_tPvRmT1_PNSt15iterator_traitsIS13_E10value_typeET2_T3_PNS14_IS19_E10value_typeET4_jRbjT5_S1F_jjP12ihipStream_tbEUljE_ZNSN_ISO_Lb1ESR_SS_SU_SV_SZ_EES10_S11_S12_S13_S17_S18_S19_S1C_S1D_jS1E_jS1F_S1F_jjS1H_bEUljE0_EEES10_S11_S12_S19_S1D_S1F_T6_T7_T9_mT8_S1H_bDpT10_ENKUlT_T0_E_clISt17integral_constantIbLb0EES1U_IbLb1EEEEDaS1Q_S1R_EUlS1Q_E_NS1_11comp_targetILNS1_3genE8ELNS1_11target_archE1030ELNS1_3gpuE2ELNS1_3repE0EEENS1_30default_config_static_selectorELNS0_4arch9wavefront6targetE1EEEvS13_.num_vgpr, 0
	.set _ZN7rocprim17ROCPRIM_400000_NS6detail17trampoline_kernelINS0_13select_configILj256ELj13ELNS0_17block_load_methodE3ELS4_3ELS4_3ELNS0_20block_scan_algorithmE0ELj4294967295EEENS1_25partition_config_selectorILNS1_17partition_subalgoE4EjNS0_10empty_typeEbEEZZNS1_14partition_implILS8_4ELb0ES6_15HIP_vector_typeIjLj2EENS0_17counting_iteratorIjlEEPS9_SG_NS0_5tupleIJPjSI_NS0_16reverse_iteratorISI_EEEEENSH_IJSG_SG_SG_EEES9_SI_JZNS1_25segmented_radix_sort_implINS0_14default_configELb1EPK12hip_bfloat16PSP_PKlPlN2at6native12_GLOBAL__N_18offset_tEEE10hipError_tPvRmT1_PNSt15iterator_traitsIS13_E10value_typeET2_T3_PNS14_IS19_E10value_typeET4_jRbjT5_S1F_jjP12ihipStream_tbEUljE_ZNSN_ISO_Lb1ESR_SS_SU_SV_SZ_EES10_S11_S12_S13_S17_S18_S19_S1C_S1D_jS1E_jS1F_S1F_jjS1H_bEUljE0_EEES10_S11_S12_S19_S1D_S1F_T6_T7_T9_mT8_S1H_bDpT10_ENKUlT_T0_E_clISt17integral_constantIbLb0EES1U_IbLb1EEEEDaS1Q_S1R_EUlS1Q_E_NS1_11comp_targetILNS1_3genE8ELNS1_11target_archE1030ELNS1_3gpuE2ELNS1_3repE0EEENS1_30default_config_static_selectorELNS0_4arch9wavefront6targetE1EEEvS13_.num_agpr, 0
	.set _ZN7rocprim17ROCPRIM_400000_NS6detail17trampoline_kernelINS0_13select_configILj256ELj13ELNS0_17block_load_methodE3ELS4_3ELS4_3ELNS0_20block_scan_algorithmE0ELj4294967295EEENS1_25partition_config_selectorILNS1_17partition_subalgoE4EjNS0_10empty_typeEbEEZZNS1_14partition_implILS8_4ELb0ES6_15HIP_vector_typeIjLj2EENS0_17counting_iteratorIjlEEPS9_SG_NS0_5tupleIJPjSI_NS0_16reverse_iteratorISI_EEEEENSH_IJSG_SG_SG_EEES9_SI_JZNS1_25segmented_radix_sort_implINS0_14default_configELb1EPK12hip_bfloat16PSP_PKlPlN2at6native12_GLOBAL__N_18offset_tEEE10hipError_tPvRmT1_PNSt15iterator_traitsIS13_E10value_typeET2_T3_PNS14_IS19_E10value_typeET4_jRbjT5_S1F_jjP12ihipStream_tbEUljE_ZNSN_ISO_Lb1ESR_SS_SU_SV_SZ_EES10_S11_S12_S13_S17_S18_S19_S1C_S1D_jS1E_jS1F_S1F_jjS1H_bEUljE0_EEES10_S11_S12_S19_S1D_S1F_T6_T7_T9_mT8_S1H_bDpT10_ENKUlT_T0_E_clISt17integral_constantIbLb0EES1U_IbLb1EEEEDaS1Q_S1R_EUlS1Q_E_NS1_11comp_targetILNS1_3genE8ELNS1_11target_archE1030ELNS1_3gpuE2ELNS1_3repE0EEENS1_30default_config_static_selectorELNS0_4arch9wavefront6targetE1EEEvS13_.numbered_sgpr, 0
	.set _ZN7rocprim17ROCPRIM_400000_NS6detail17trampoline_kernelINS0_13select_configILj256ELj13ELNS0_17block_load_methodE3ELS4_3ELS4_3ELNS0_20block_scan_algorithmE0ELj4294967295EEENS1_25partition_config_selectorILNS1_17partition_subalgoE4EjNS0_10empty_typeEbEEZZNS1_14partition_implILS8_4ELb0ES6_15HIP_vector_typeIjLj2EENS0_17counting_iteratorIjlEEPS9_SG_NS0_5tupleIJPjSI_NS0_16reverse_iteratorISI_EEEEENSH_IJSG_SG_SG_EEES9_SI_JZNS1_25segmented_radix_sort_implINS0_14default_configELb1EPK12hip_bfloat16PSP_PKlPlN2at6native12_GLOBAL__N_18offset_tEEE10hipError_tPvRmT1_PNSt15iterator_traitsIS13_E10value_typeET2_T3_PNS14_IS19_E10value_typeET4_jRbjT5_S1F_jjP12ihipStream_tbEUljE_ZNSN_ISO_Lb1ESR_SS_SU_SV_SZ_EES10_S11_S12_S13_S17_S18_S19_S1C_S1D_jS1E_jS1F_S1F_jjS1H_bEUljE0_EEES10_S11_S12_S19_S1D_S1F_T6_T7_T9_mT8_S1H_bDpT10_ENKUlT_T0_E_clISt17integral_constantIbLb0EES1U_IbLb1EEEEDaS1Q_S1R_EUlS1Q_E_NS1_11comp_targetILNS1_3genE8ELNS1_11target_archE1030ELNS1_3gpuE2ELNS1_3repE0EEENS1_30default_config_static_selectorELNS0_4arch9wavefront6targetE1EEEvS13_.num_named_barrier, 0
	.set _ZN7rocprim17ROCPRIM_400000_NS6detail17trampoline_kernelINS0_13select_configILj256ELj13ELNS0_17block_load_methodE3ELS4_3ELS4_3ELNS0_20block_scan_algorithmE0ELj4294967295EEENS1_25partition_config_selectorILNS1_17partition_subalgoE4EjNS0_10empty_typeEbEEZZNS1_14partition_implILS8_4ELb0ES6_15HIP_vector_typeIjLj2EENS0_17counting_iteratorIjlEEPS9_SG_NS0_5tupleIJPjSI_NS0_16reverse_iteratorISI_EEEEENSH_IJSG_SG_SG_EEES9_SI_JZNS1_25segmented_radix_sort_implINS0_14default_configELb1EPK12hip_bfloat16PSP_PKlPlN2at6native12_GLOBAL__N_18offset_tEEE10hipError_tPvRmT1_PNSt15iterator_traitsIS13_E10value_typeET2_T3_PNS14_IS19_E10value_typeET4_jRbjT5_S1F_jjP12ihipStream_tbEUljE_ZNSN_ISO_Lb1ESR_SS_SU_SV_SZ_EES10_S11_S12_S13_S17_S18_S19_S1C_S1D_jS1E_jS1F_S1F_jjS1H_bEUljE0_EEES10_S11_S12_S19_S1D_S1F_T6_T7_T9_mT8_S1H_bDpT10_ENKUlT_T0_E_clISt17integral_constantIbLb0EES1U_IbLb1EEEEDaS1Q_S1R_EUlS1Q_E_NS1_11comp_targetILNS1_3genE8ELNS1_11target_archE1030ELNS1_3gpuE2ELNS1_3repE0EEENS1_30default_config_static_selectorELNS0_4arch9wavefront6targetE1EEEvS13_.private_seg_size, 0
	.set _ZN7rocprim17ROCPRIM_400000_NS6detail17trampoline_kernelINS0_13select_configILj256ELj13ELNS0_17block_load_methodE3ELS4_3ELS4_3ELNS0_20block_scan_algorithmE0ELj4294967295EEENS1_25partition_config_selectorILNS1_17partition_subalgoE4EjNS0_10empty_typeEbEEZZNS1_14partition_implILS8_4ELb0ES6_15HIP_vector_typeIjLj2EENS0_17counting_iteratorIjlEEPS9_SG_NS0_5tupleIJPjSI_NS0_16reverse_iteratorISI_EEEEENSH_IJSG_SG_SG_EEES9_SI_JZNS1_25segmented_radix_sort_implINS0_14default_configELb1EPK12hip_bfloat16PSP_PKlPlN2at6native12_GLOBAL__N_18offset_tEEE10hipError_tPvRmT1_PNSt15iterator_traitsIS13_E10value_typeET2_T3_PNS14_IS19_E10value_typeET4_jRbjT5_S1F_jjP12ihipStream_tbEUljE_ZNSN_ISO_Lb1ESR_SS_SU_SV_SZ_EES10_S11_S12_S13_S17_S18_S19_S1C_S1D_jS1E_jS1F_S1F_jjS1H_bEUljE0_EEES10_S11_S12_S19_S1D_S1F_T6_T7_T9_mT8_S1H_bDpT10_ENKUlT_T0_E_clISt17integral_constantIbLb0EES1U_IbLb1EEEEDaS1Q_S1R_EUlS1Q_E_NS1_11comp_targetILNS1_3genE8ELNS1_11target_archE1030ELNS1_3gpuE2ELNS1_3repE0EEENS1_30default_config_static_selectorELNS0_4arch9wavefront6targetE1EEEvS13_.uses_vcc, 0
	.set _ZN7rocprim17ROCPRIM_400000_NS6detail17trampoline_kernelINS0_13select_configILj256ELj13ELNS0_17block_load_methodE3ELS4_3ELS4_3ELNS0_20block_scan_algorithmE0ELj4294967295EEENS1_25partition_config_selectorILNS1_17partition_subalgoE4EjNS0_10empty_typeEbEEZZNS1_14partition_implILS8_4ELb0ES6_15HIP_vector_typeIjLj2EENS0_17counting_iteratorIjlEEPS9_SG_NS0_5tupleIJPjSI_NS0_16reverse_iteratorISI_EEEEENSH_IJSG_SG_SG_EEES9_SI_JZNS1_25segmented_radix_sort_implINS0_14default_configELb1EPK12hip_bfloat16PSP_PKlPlN2at6native12_GLOBAL__N_18offset_tEEE10hipError_tPvRmT1_PNSt15iterator_traitsIS13_E10value_typeET2_T3_PNS14_IS19_E10value_typeET4_jRbjT5_S1F_jjP12ihipStream_tbEUljE_ZNSN_ISO_Lb1ESR_SS_SU_SV_SZ_EES10_S11_S12_S13_S17_S18_S19_S1C_S1D_jS1E_jS1F_S1F_jjS1H_bEUljE0_EEES10_S11_S12_S19_S1D_S1F_T6_T7_T9_mT8_S1H_bDpT10_ENKUlT_T0_E_clISt17integral_constantIbLb0EES1U_IbLb1EEEEDaS1Q_S1R_EUlS1Q_E_NS1_11comp_targetILNS1_3genE8ELNS1_11target_archE1030ELNS1_3gpuE2ELNS1_3repE0EEENS1_30default_config_static_selectorELNS0_4arch9wavefront6targetE1EEEvS13_.uses_flat_scratch, 0
	.set _ZN7rocprim17ROCPRIM_400000_NS6detail17trampoline_kernelINS0_13select_configILj256ELj13ELNS0_17block_load_methodE3ELS4_3ELS4_3ELNS0_20block_scan_algorithmE0ELj4294967295EEENS1_25partition_config_selectorILNS1_17partition_subalgoE4EjNS0_10empty_typeEbEEZZNS1_14partition_implILS8_4ELb0ES6_15HIP_vector_typeIjLj2EENS0_17counting_iteratorIjlEEPS9_SG_NS0_5tupleIJPjSI_NS0_16reverse_iteratorISI_EEEEENSH_IJSG_SG_SG_EEES9_SI_JZNS1_25segmented_radix_sort_implINS0_14default_configELb1EPK12hip_bfloat16PSP_PKlPlN2at6native12_GLOBAL__N_18offset_tEEE10hipError_tPvRmT1_PNSt15iterator_traitsIS13_E10value_typeET2_T3_PNS14_IS19_E10value_typeET4_jRbjT5_S1F_jjP12ihipStream_tbEUljE_ZNSN_ISO_Lb1ESR_SS_SU_SV_SZ_EES10_S11_S12_S13_S17_S18_S19_S1C_S1D_jS1E_jS1F_S1F_jjS1H_bEUljE0_EEES10_S11_S12_S19_S1D_S1F_T6_T7_T9_mT8_S1H_bDpT10_ENKUlT_T0_E_clISt17integral_constantIbLb0EES1U_IbLb1EEEEDaS1Q_S1R_EUlS1Q_E_NS1_11comp_targetILNS1_3genE8ELNS1_11target_archE1030ELNS1_3gpuE2ELNS1_3repE0EEENS1_30default_config_static_selectorELNS0_4arch9wavefront6targetE1EEEvS13_.has_dyn_sized_stack, 0
	.set _ZN7rocprim17ROCPRIM_400000_NS6detail17trampoline_kernelINS0_13select_configILj256ELj13ELNS0_17block_load_methodE3ELS4_3ELS4_3ELNS0_20block_scan_algorithmE0ELj4294967295EEENS1_25partition_config_selectorILNS1_17partition_subalgoE4EjNS0_10empty_typeEbEEZZNS1_14partition_implILS8_4ELb0ES6_15HIP_vector_typeIjLj2EENS0_17counting_iteratorIjlEEPS9_SG_NS0_5tupleIJPjSI_NS0_16reverse_iteratorISI_EEEEENSH_IJSG_SG_SG_EEES9_SI_JZNS1_25segmented_radix_sort_implINS0_14default_configELb1EPK12hip_bfloat16PSP_PKlPlN2at6native12_GLOBAL__N_18offset_tEEE10hipError_tPvRmT1_PNSt15iterator_traitsIS13_E10value_typeET2_T3_PNS14_IS19_E10value_typeET4_jRbjT5_S1F_jjP12ihipStream_tbEUljE_ZNSN_ISO_Lb1ESR_SS_SU_SV_SZ_EES10_S11_S12_S13_S17_S18_S19_S1C_S1D_jS1E_jS1F_S1F_jjS1H_bEUljE0_EEES10_S11_S12_S19_S1D_S1F_T6_T7_T9_mT8_S1H_bDpT10_ENKUlT_T0_E_clISt17integral_constantIbLb0EES1U_IbLb1EEEEDaS1Q_S1R_EUlS1Q_E_NS1_11comp_targetILNS1_3genE8ELNS1_11target_archE1030ELNS1_3gpuE2ELNS1_3repE0EEENS1_30default_config_static_selectorELNS0_4arch9wavefront6targetE1EEEvS13_.has_recursion, 0
	.set _ZN7rocprim17ROCPRIM_400000_NS6detail17trampoline_kernelINS0_13select_configILj256ELj13ELNS0_17block_load_methodE3ELS4_3ELS4_3ELNS0_20block_scan_algorithmE0ELj4294967295EEENS1_25partition_config_selectorILNS1_17partition_subalgoE4EjNS0_10empty_typeEbEEZZNS1_14partition_implILS8_4ELb0ES6_15HIP_vector_typeIjLj2EENS0_17counting_iteratorIjlEEPS9_SG_NS0_5tupleIJPjSI_NS0_16reverse_iteratorISI_EEEEENSH_IJSG_SG_SG_EEES9_SI_JZNS1_25segmented_radix_sort_implINS0_14default_configELb1EPK12hip_bfloat16PSP_PKlPlN2at6native12_GLOBAL__N_18offset_tEEE10hipError_tPvRmT1_PNSt15iterator_traitsIS13_E10value_typeET2_T3_PNS14_IS19_E10value_typeET4_jRbjT5_S1F_jjP12ihipStream_tbEUljE_ZNSN_ISO_Lb1ESR_SS_SU_SV_SZ_EES10_S11_S12_S13_S17_S18_S19_S1C_S1D_jS1E_jS1F_S1F_jjS1H_bEUljE0_EEES10_S11_S12_S19_S1D_S1F_T6_T7_T9_mT8_S1H_bDpT10_ENKUlT_T0_E_clISt17integral_constantIbLb0EES1U_IbLb1EEEEDaS1Q_S1R_EUlS1Q_E_NS1_11comp_targetILNS1_3genE8ELNS1_11target_archE1030ELNS1_3gpuE2ELNS1_3repE0EEENS1_30default_config_static_selectorELNS0_4arch9wavefront6targetE1EEEvS13_.has_indirect_call, 0
	.section	.AMDGPU.csdata,"",@progbits
; Kernel info:
; codeLenInByte = 0
; TotalNumSgprs: 4
; NumVgprs: 0
; ScratchSize: 0
; MemoryBound: 0
; FloatMode: 240
; IeeeMode: 1
; LDSByteSize: 0 bytes/workgroup (compile time only)
; SGPRBlocks: 0
; VGPRBlocks: 0
; NumSGPRsForWavesPerEU: 4
; NumVGPRsForWavesPerEU: 1
; Occupancy: 10
; WaveLimiterHint : 0
; COMPUTE_PGM_RSRC2:SCRATCH_EN: 0
; COMPUTE_PGM_RSRC2:USER_SGPR: 6
; COMPUTE_PGM_RSRC2:TRAP_HANDLER: 0
; COMPUTE_PGM_RSRC2:TGID_X_EN: 1
; COMPUTE_PGM_RSRC2:TGID_Y_EN: 0
; COMPUTE_PGM_RSRC2:TGID_Z_EN: 0
; COMPUTE_PGM_RSRC2:TIDIG_COMP_CNT: 0
	.section	.text._ZN7rocprim17ROCPRIM_400000_NS6detail17trampoline_kernelINS0_13select_configILj256ELj13ELNS0_17block_load_methodE3ELS4_3ELS4_3ELNS0_20block_scan_algorithmE0ELj4294967295EEENS1_25partition_config_selectorILNS1_17partition_subalgoE3EjNS0_10empty_typeEbEEZZNS1_14partition_implILS8_3ELb0ES6_jNS0_17counting_iteratorIjlEEPS9_SE_NS0_5tupleIJPjSE_EEENSF_IJSE_SE_EEES9_SG_JZNS1_25segmented_radix_sort_implINS0_14default_configELb1EPK12hip_bfloat16PSL_PKlPlN2at6native12_GLOBAL__N_18offset_tEEE10hipError_tPvRmT1_PNSt15iterator_traitsISZ_E10value_typeET2_T3_PNS10_IS15_E10value_typeET4_jRbjT5_S1B_jjP12ihipStream_tbEUljE_EEESW_SX_SY_S15_S19_S1B_T6_T7_T9_mT8_S1D_bDpT10_ENKUlT_T0_E_clISt17integral_constantIbLb0EES1Q_EEDaS1L_S1M_EUlS1L_E_NS1_11comp_targetILNS1_3genE0ELNS1_11target_archE4294967295ELNS1_3gpuE0ELNS1_3repE0EEENS1_30default_config_static_selectorELNS0_4arch9wavefront6targetE1EEEvSZ_,"axG",@progbits,_ZN7rocprim17ROCPRIM_400000_NS6detail17trampoline_kernelINS0_13select_configILj256ELj13ELNS0_17block_load_methodE3ELS4_3ELS4_3ELNS0_20block_scan_algorithmE0ELj4294967295EEENS1_25partition_config_selectorILNS1_17partition_subalgoE3EjNS0_10empty_typeEbEEZZNS1_14partition_implILS8_3ELb0ES6_jNS0_17counting_iteratorIjlEEPS9_SE_NS0_5tupleIJPjSE_EEENSF_IJSE_SE_EEES9_SG_JZNS1_25segmented_radix_sort_implINS0_14default_configELb1EPK12hip_bfloat16PSL_PKlPlN2at6native12_GLOBAL__N_18offset_tEEE10hipError_tPvRmT1_PNSt15iterator_traitsISZ_E10value_typeET2_T3_PNS10_IS15_E10value_typeET4_jRbjT5_S1B_jjP12ihipStream_tbEUljE_EEESW_SX_SY_S15_S19_S1B_T6_T7_T9_mT8_S1D_bDpT10_ENKUlT_T0_E_clISt17integral_constantIbLb0EES1Q_EEDaS1L_S1M_EUlS1L_E_NS1_11comp_targetILNS1_3genE0ELNS1_11target_archE4294967295ELNS1_3gpuE0ELNS1_3repE0EEENS1_30default_config_static_selectorELNS0_4arch9wavefront6targetE1EEEvSZ_,comdat
	.globl	_ZN7rocprim17ROCPRIM_400000_NS6detail17trampoline_kernelINS0_13select_configILj256ELj13ELNS0_17block_load_methodE3ELS4_3ELS4_3ELNS0_20block_scan_algorithmE0ELj4294967295EEENS1_25partition_config_selectorILNS1_17partition_subalgoE3EjNS0_10empty_typeEbEEZZNS1_14partition_implILS8_3ELb0ES6_jNS0_17counting_iteratorIjlEEPS9_SE_NS0_5tupleIJPjSE_EEENSF_IJSE_SE_EEES9_SG_JZNS1_25segmented_radix_sort_implINS0_14default_configELb1EPK12hip_bfloat16PSL_PKlPlN2at6native12_GLOBAL__N_18offset_tEEE10hipError_tPvRmT1_PNSt15iterator_traitsISZ_E10value_typeET2_T3_PNS10_IS15_E10value_typeET4_jRbjT5_S1B_jjP12ihipStream_tbEUljE_EEESW_SX_SY_S15_S19_S1B_T6_T7_T9_mT8_S1D_bDpT10_ENKUlT_T0_E_clISt17integral_constantIbLb0EES1Q_EEDaS1L_S1M_EUlS1L_E_NS1_11comp_targetILNS1_3genE0ELNS1_11target_archE4294967295ELNS1_3gpuE0ELNS1_3repE0EEENS1_30default_config_static_selectorELNS0_4arch9wavefront6targetE1EEEvSZ_ ; -- Begin function _ZN7rocprim17ROCPRIM_400000_NS6detail17trampoline_kernelINS0_13select_configILj256ELj13ELNS0_17block_load_methodE3ELS4_3ELS4_3ELNS0_20block_scan_algorithmE0ELj4294967295EEENS1_25partition_config_selectorILNS1_17partition_subalgoE3EjNS0_10empty_typeEbEEZZNS1_14partition_implILS8_3ELb0ES6_jNS0_17counting_iteratorIjlEEPS9_SE_NS0_5tupleIJPjSE_EEENSF_IJSE_SE_EEES9_SG_JZNS1_25segmented_radix_sort_implINS0_14default_configELb1EPK12hip_bfloat16PSL_PKlPlN2at6native12_GLOBAL__N_18offset_tEEE10hipError_tPvRmT1_PNSt15iterator_traitsISZ_E10value_typeET2_T3_PNS10_IS15_E10value_typeET4_jRbjT5_S1B_jjP12ihipStream_tbEUljE_EEESW_SX_SY_S15_S19_S1B_T6_T7_T9_mT8_S1D_bDpT10_ENKUlT_T0_E_clISt17integral_constantIbLb0EES1Q_EEDaS1L_S1M_EUlS1L_E_NS1_11comp_targetILNS1_3genE0ELNS1_11target_archE4294967295ELNS1_3gpuE0ELNS1_3repE0EEENS1_30default_config_static_selectorELNS0_4arch9wavefront6targetE1EEEvSZ_
	.p2align	8
	.type	_ZN7rocprim17ROCPRIM_400000_NS6detail17trampoline_kernelINS0_13select_configILj256ELj13ELNS0_17block_load_methodE3ELS4_3ELS4_3ELNS0_20block_scan_algorithmE0ELj4294967295EEENS1_25partition_config_selectorILNS1_17partition_subalgoE3EjNS0_10empty_typeEbEEZZNS1_14partition_implILS8_3ELb0ES6_jNS0_17counting_iteratorIjlEEPS9_SE_NS0_5tupleIJPjSE_EEENSF_IJSE_SE_EEES9_SG_JZNS1_25segmented_radix_sort_implINS0_14default_configELb1EPK12hip_bfloat16PSL_PKlPlN2at6native12_GLOBAL__N_18offset_tEEE10hipError_tPvRmT1_PNSt15iterator_traitsISZ_E10value_typeET2_T3_PNS10_IS15_E10value_typeET4_jRbjT5_S1B_jjP12ihipStream_tbEUljE_EEESW_SX_SY_S15_S19_S1B_T6_T7_T9_mT8_S1D_bDpT10_ENKUlT_T0_E_clISt17integral_constantIbLb0EES1Q_EEDaS1L_S1M_EUlS1L_E_NS1_11comp_targetILNS1_3genE0ELNS1_11target_archE4294967295ELNS1_3gpuE0ELNS1_3repE0EEENS1_30default_config_static_selectorELNS0_4arch9wavefront6targetE1EEEvSZ_,@function
_ZN7rocprim17ROCPRIM_400000_NS6detail17trampoline_kernelINS0_13select_configILj256ELj13ELNS0_17block_load_methodE3ELS4_3ELS4_3ELNS0_20block_scan_algorithmE0ELj4294967295EEENS1_25partition_config_selectorILNS1_17partition_subalgoE3EjNS0_10empty_typeEbEEZZNS1_14partition_implILS8_3ELb0ES6_jNS0_17counting_iteratorIjlEEPS9_SE_NS0_5tupleIJPjSE_EEENSF_IJSE_SE_EEES9_SG_JZNS1_25segmented_radix_sort_implINS0_14default_configELb1EPK12hip_bfloat16PSL_PKlPlN2at6native12_GLOBAL__N_18offset_tEEE10hipError_tPvRmT1_PNSt15iterator_traitsISZ_E10value_typeET2_T3_PNS10_IS15_E10value_typeET4_jRbjT5_S1B_jjP12ihipStream_tbEUljE_EEESW_SX_SY_S15_S19_S1B_T6_T7_T9_mT8_S1D_bDpT10_ENKUlT_T0_E_clISt17integral_constantIbLb0EES1Q_EEDaS1L_S1M_EUlS1L_E_NS1_11comp_targetILNS1_3genE0ELNS1_11target_archE4294967295ELNS1_3gpuE0ELNS1_3repE0EEENS1_30default_config_static_selectorELNS0_4arch9wavefront6targetE1EEEvSZ_: ; @_ZN7rocprim17ROCPRIM_400000_NS6detail17trampoline_kernelINS0_13select_configILj256ELj13ELNS0_17block_load_methodE3ELS4_3ELS4_3ELNS0_20block_scan_algorithmE0ELj4294967295EEENS1_25partition_config_selectorILNS1_17partition_subalgoE3EjNS0_10empty_typeEbEEZZNS1_14partition_implILS8_3ELb0ES6_jNS0_17counting_iteratorIjlEEPS9_SE_NS0_5tupleIJPjSE_EEENSF_IJSE_SE_EEES9_SG_JZNS1_25segmented_radix_sort_implINS0_14default_configELb1EPK12hip_bfloat16PSL_PKlPlN2at6native12_GLOBAL__N_18offset_tEEE10hipError_tPvRmT1_PNSt15iterator_traitsISZ_E10value_typeET2_T3_PNS10_IS15_E10value_typeET4_jRbjT5_S1B_jjP12ihipStream_tbEUljE_EEESW_SX_SY_S15_S19_S1B_T6_T7_T9_mT8_S1D_bDpT10_ENKUlT_T0_E_clISt17integral_constantIbLb0EES1Q_EEDaS1L_S1M_EUlS1L_E_NS1_11comp_targetILNS1_3genE0ELNS1_11target_archE4294967295ELNS1_3gpuE0ELNS1_3repE0EEENS1_30default_config_static_selectorELNS0_4arch9wavefront6targetE1EEEvSZ_
; %bb.0:
	.section	.rodata,"a",@progbits
	.p2align	6, 0x0
	.amdhsa_kernel _ZN7rocprim17ROCPRIM_400000_NS6detail17trampoline_kernelINS0_13select_configILj256ELj13ELNS0_17block_load_methodE3ELS4_3ELS4_3ELNS0_20block_scan_algorithmE0ELj4294967295EEENS1_25partition_config_selectorILNS1_17partition_subalgoE3EjNS0_10empty_typeEbEEZZNS1_14partition_implILS8_3ELb0ES6_jNS0_17counting_iteratorIjlEEPS9_SE_NS0_5tupleIJPjSE_EEENSF_IJSE_SE_EEES9_SG_JZNS1_25segmented_radix_sort_implINS0_14default_configELb1EPK12hip_bfloat16PSL_PKlPlN2at6native12_GLOBAL__N_18offset_tEEE10hipError_tPvRmT1_PNSt15iterator_traitsISZ_E10value_typeET2_T3_PNS10_IS15_E10value_typeET4_jRbjT5_S1B_jjP12ihipStream_tbEUljE_EEESW_SX_SY_S15_S19_S1B_T6_T7_T9_mT8_S1D_bDpT10_ENKUlT_T0_E_clISt17integral_constantIbLb0EES1Q_EEDaS1L_S1M_EUlS1L_E_NS1_11comp_targetILNS1_3genE0ELNS1_11target_archE4294967295ELNS1_3gpuE0ELNS1_3repE0EEENS1_30default_config_static_selectorELNS0_4arch9wavefront6targetE1EEEvSZ_
		.amdhsa_group_segment_fixed_size 0
		.amdhsa_private_segment_fixed_size 0
		.amdhsa_kernarg_size 144
		.amdhsa_user_sgpr_count 6
		.amdhsa_user_sgpr_private_segment_buffer 1
		.amdhsa_user_sgpr_dispatch_ptr 0
		.amdhsa_user_sgpr_queue_ptr 0
		.amdhsa_user_sgpr_kernarg_segment_ptr 1
		.amdhsa_user_sgpr_dispatch_id 0
		.amdhsa_user_sgpr_flat_scratch_init 0
		.amdhsa_user_sgpr_private_segment_size 0
		.amdhsa_uses_dynamic_stack 0
		.amdhsa_system_sgpr_private_segment_wavefront_offset 0
		.amdhsa_system_sgpr_workgroup_id_x 1
		.amdhsa_system_sgpr_workgroup_id_y 0
		.amdhsa_system_sgpr_workgroup_id_z 0
		.amdhsa_system_sgpr_workgroup_info 0
		.amdhsa_system_vgpr_workitem_id 0
		.amdhsa_next_free_vgpr 1
		.amdhsa_next_free_sgpr 0
		.amdhsa_reserve_vcc 0
		.amdhsa_reserve_flat_scratch 0
		.amdhsa_float_round_mode_32 0
		.amdhsa_float_round_mode_16_64 0
		.amdhsa_float_denorm_mode_32 3
		.amdhsa_float_denorm_mode_16_64 3
		.amdhsa_dx10_clamp 1
		.amdhsa_ieee_mode 1
		.amdhsa_fp16_overflow 0
		.amdhsa_exception_fp_ieee_invalid_op 0
		.amdhsa_exception_fp_denorm_src 0
		.amdhsa_exception_fp_ieee_div_zero 0
		.amdhsa_exception_fp_ieee_overflow 0
		.amdhsa_exception_fp_ieee_underflow 0
		.amdhsa_exception_fp_ieee_inexact 0
		.amdhsa_exception_int_div_zero 0
	.end_amdhsa_kernel
	.section	.text._ZN7rocprim17ROCPRIM_400000_NS6detail17trampoline_kernelINS0_13select_configILj256ELj13ELNS0_17block_load_methodE3ELS4_3ELS4_3ELNS0_20block_scan_algorithmE0ELj4294967295EEENS1_25partition_config_selectorILNS1_17partition_subalgoE3EjNS0_10empty_typeEbEEZZNS1_14partition_implILS8_3ELb0ES6_jNS0_17counting_iteratorIjlEEPS9_SE_NS0_5tupleIJPjSE_EEENSF_IJSE_SE_EEES9_SG_JZNS1_25segmented_radix_sort_implINS0_14default_configELb1EPK12hip_bfloat16PSL_PKlPlN2at6native12_GLOBAL__N_18offset_tEEE10hipError_tPvRmT1_PNSt15iterator_traitsISZ_E10value_typeET2_T3_PNS10_IS15_E10value_typeET4_jRbjT5_S1B_jjP12ihipStream_tbEUljE_EEESW_SX_SY_S15_S19_S1B_T6_T7_T9_mT8_S1D_bDpT10_ENKUlT_T0_E_clISt17integral_constantIbLb0EES1Q_EEDaS1L_S1M_EUlS1L_E_NS1_11comp_targetILNS1_3genE0ELNS1_11target_archE4294967295ELNS1_3gpuE0ELNS1_3repE0EEENS1_30default_config_static_selectorELNS0_4arch9wavefront6targetE1EEEvSZ_,"axG",@progbits,_ZN7rocprim17ROCPRIM_400000_NS6detail17trampoline_kernelINS0_13select_configILj256ELj13ELNS0_17block_load_methodE3ELS4_3ELS4_3ELNS0_20block_scan_algorithmE0ELj4294967295EEENS1_25partition_config_selectorILNS1_17partition_subalgoE3EjNS0_10empty_typeEbEEZZNS1_14partition_implILS8_3ELb0ES6_jNS0_17counting_iteratorIjlEEPS9_SE_NS0_5tupleIJPjSE_EEENSF_IJSE_SE_EEES9_SG_JZNS1_25segmented_radix_sort_implINS0_14default_configELb1EPK12hip_bfloat16PSL_PKlPlN2at6native12_GLOBAL__N_18offset_tEEE10hipError_tPvRmT1_PNSt15iterator_traitsISZ_E10value_typeET2_T3_PNS10_IS15_E10value_typeET4_jRbjT5_S1B_jjP12ihipStream_tbEUljE_EEESW_SX_SY_S15_S19_S1B_T6_T7_T9_mT8_S1D_bDpT10_ENKUlT_T0_E_clISt17integral_constantIbLb0EES1Q_EEDaS1L_S1M_EUlS1L_E_NS1_11comp_targetILNS1_3genE0ELNS1_11target_archE4294967295ELNS1_3gpuE0ELNS1_3repE0EEENS1_30default_config_static_selectorELNS0_4arch9wavefront6targetE1EEEvSZ_,comdat
.Lfunc_end1914:
	.size	_ZN7rocprim17ROCPRIM_400000_NS6detail17trampoline_kernelINS0_13select_configILj256ELj13ELNS0_17block_load_methodE3ELS4_3ELS4_3ELNS0_20block_scan_algorithmE0ELj4294967295EEENS1_25partition_config_selectorILNS1_17partition_subalgoE3EjNS0_10empty_typeEbEEZZNS1_14partition_implILS8_3ELb0ES6_jNS0_17counting_iteratorIjlEEPS9_SE_NS0_5tupleIJPjSE_EEENSF_IJSE_SE_EEES9_SG_JZNS1_25segmented_radix_sort_implINS0_14default_configELb1EPK12hip_bfloat16PSL_PKlPlN2at6native12_GLOBAL__N_18offset_tEEE10hipError_tPvRmT1_PNSt15iterator_traitsISZ_E10value_typeET2_T3_PNS10_IS15_E10value_typeET4_jRbjT5_S1B_jjP12ihipStream_tbEUljE_EEESW_SX_SY_S15_S19_S1B_T6_T7_T9_mT8_S1D_bDpT10_ENKUlT_T0_E_clISt17integral_constantIbLb0EES1Q_EEDaS1L_S1M_EUlS1L_E_NS1_11comp_targetILNS1_3genE0ELNS1_11target_archE4294967295ELNS1_3gpuE0ELNS1_3repE0EEENS1_30default_config_static_selectorELNS0_4arch9wavefront6targetE1EEEvSZ_, .Lfunc_end1914-_ZN7rocprim17ROCPRIM_400000_NS6detail17trampoline_kernelINS0_13select_configILj256ELj13ELNS0_17block_load_methodE3ELS4_3ELS4_3ELNS0_20block_scan_algorithmE0ELj4294967295EEENS1_25partition_config_selectorILNS1_17partition_subalgoE3EjNS0_10empty_typeEbEEZZNS1_14partition_implILS8_3ELb0ES6_jNS0_17counting_iteratorIjlEEPS9_SE_NS0_5tupleIJPjSE_EEENSF_IJSE_SE_EEES9_SG_JZNS1_25segmented_radix_sort_implINS0_14default_configELb1EPK12hip_bfloat16PSL_PKlPlN2at6native12_GLOBAL__N_18offset_tEEE10hipError_tPvRmT1_PNSt15iterator_traitsISZ_E10value_typeET2_T3_PNS10_IS15_E10value_typeET4_jRbjT5_S1B_jjP12ihipStream_tbEUljE_EEESW_SX_SY_S15_S19_S1B_T6_T7_T9_mT8_S1D_bDpT10_ENKUlT_T0_E_clISt17integral_constantIbLb0EES1Q_EEDaS1L_S1M_EUlS1L_E_NS1_11comp_targetILNS1_3genE0ELNS1_11target_archE4294967295ELNS1_3gpuE0ELNS1_3repE0EEENS1_30default_config_static_selectorELNS0_4arch9wavefront6targetE1EEEvSZ_
                                        ; -- End function
	.set _ZN7rocprim17ROCPRIM_400000_NS6detail17trampoline_kernelINS0_13select_configILj256ELj13ELNS0_17block_load_methodE3ELS4_3ELS4_3ELNS0_20block_scan_algorithmE0ELj4294967295EEENS1_25partition_config_selectorILNS1_17partition_subalgoE3EjNS0_10empty_typeEbEEZZNS1_14partition_implILS8_3ELb0ES6_jNS0_17counting_iteratorIjlEEPS9_SE_NS0_5tupleIJPjSE_EEENSF_IJSE_SE_EEES9_SG_JZNS1_25segmented_radix_sort_implINS0_14default_configELb1EPK12hip_bfloat16PSL_PKlPlN2at6native12_GLOBAL__N_18offset_tEEE10hipError_tPvRmT1_PNSt15iterator_traitsISZ_E10value_typeET2_T3_PNS10_IS15_E10value_typeET4_jRbjT5_S1B_jjP12ihipStream_tbEUljE_EEESW_SX_SY_S15_S19_S1B_T6_T7_T9_mT8_S1D_bDpT10_ENKUlT_T0_E_clISt17integral_constantIbLb0EES1Q_EEDaS1L_S1M_EUlS1L_E_NS1_11comp_targetILNS1_3genE0ELNS1_11target_archE4294967295ELNS1_3gpuE0ELNS1_3repE0EEENS1_30default_config_static_selectorELNS0_4arch9wavefront6targetE1EEEvSZ_.num_vgpr, 0
	.set _ZN7rocprim17ROCPRIM_400000_NS6detail17trampoline_kernelINS0_13select_configILj256ELj13ELNS0_17block_load_methodE3ELS4_3ELS4_3ELNS0_20block_scan_algorithmE0ELj4294967295EEENS1_25partition_config_selectorILNS1_17partition_subalgoE3EjNS0_10empty_typeEbEEZZNS1_14partition_implILS8_3ELb0ES6_jNS0_17counting_iteratorIjlEEPS9_SE_NS0_5tupleIJPjSE_EEENSF_IJSE_SE_EEES9_SG_JZNS1_25segmented_radix_sort_implINS0_14default_configELb1EPK12hip_bfloat16PSL_PKlPlN2at6native12_GLOBAL__N_18offset_tEEE10hipError_tPvRmT1_PNSt15iterator_traitsISZ_E10value_typeET2_T3_PNS10_IS15_E10value_typeET4_jRbjT5_S1B_jjP12ihipStream_tbEUljE_EEESW_SX_SY_S15_S19_S1B_T6_T7_T9_mT8_S1D_bDpT10_ENKUlT_T0_E_clISt17integral_constantIbLb0EES1Q_EEDaS1L_S1M_EUlS1L_E_NS1_11comp_targetILNS1_3genE0ELNS1_11target_archE4294967295ELNS1_3gpuE0ELNS1_3repE0EEENS1_30default_config_static_selectorELNS0_4arch9wavefront6targetE1EEEvSZ_.num_agpr, 0
	.set _ZN7rocprim17ROCPRIM_400000_NS6detail17trampoline_kernelINS0_13select_configILj256ELj13ELNS0_17block_load_methodE3ELS4_3ELS4_3ELNS0_20block_scan_algorithmE0ELj4294967295EEENS1_25partition_config_selectorILNS1_17partition_subalgoE3EjNS0_10empty_typeEbEEZZNS1_14partition_implILS8_3ELb0ES6_jNS0_17counting_iteratorIjlEEPS9_SE_NS0_5tupleIJPjSE_EEENSF_IJSE_SE_EEES9_SG_JZNS1_25segmented_radix_sort_implINS0_14default_configELb1EPK12hip_bfloat16PSL_PKlPlN2at6native12_GLOBAL__N_18offset_tEEE10hipError_tPvRmT1_PNSt15iterator_traitsISZ_E10value_typeET2_T3_PNS10_IS15_E10value_typeET4_jRbjT5_S1B_jjP12ihipStream_tbEUljE_EEESW_SX_SY_S15_S19_S1B_T6_T7_T9_mT8_S1D_bDpT10_ENKUlT_T0_E_clISt17integral_constantIbLb0EES1Q_EEDaS1L_S1M_EUlS1L_E_NS1_11comp_targetILNS1_3genE0ELNS1_11target_archE4294967295ELNS1_3gpuE0ELNS1_3repE0EEENS1_30default_config_static_selectorELNS0_4arch9wavefront6targetE1EEEvSZ_.numbered_sgpr, 0
	.set _ZN7rocprim17ROCPRIM_400000_NS6detail17trampoline_kernelINS0_13select_configILj256ELj13ELNS0_17block_load_methodE3ELS4_3ELS4_3ELNS0_20block_scan_algorithmE0ELj4294967295EEENS1_25partition_config_selectorILNS1_17partition_subalgoE3EjNS0_10empty_typeEbEEZZNS1_14partition_implILS8_3ELb0ES6_jNS0_17counting_iteratorIjlEEPS9_SE_NS0_5tupleIJPjSE_EEENSF_IJSE_SE_EEES9_SG_JZNS1_25segmented_radix_sort_implINS0_14default_configELb1EPK12hip_bfloat16PSL_PKlPlN2at6native12_GLOBAL__N_18offset_tEEE10hipError_tPvRmT1_PNSt15iterator_traitsISZ_E10value_typeET2_T3_PNS10_IS15_E10value_typeET4_jRbjT5_S1B_jjP12ihipStream_tbEUljE_EEESW_SX_SY_S15_S19_S1B_T6_T7_T9_mT8_S1D_bDpT10_ENKUlT_T0_E_clISt17integral_constantIbLb0EES1Q_EEDaS1L_S1M_EUlS1L_E_NS1_11comp_targetILNS1_3genE0ELNS1_11target_archE4294967295ELNS1_3gpuE0ELNS1_3repE0EEENS1_30default_config_static_selectorELNS0_4arch9wavefront6targetE1EEEvSZ_.num_named_barrier, 0
	.set _ZN7rocprim17ROCPRIM_400000_NS6detail17trampoline_kernelINS0_13select_configILj256ELj13ELNS0_17block_load_methodE3ELS4_3ELS4_3ELNS0_20block_scan_algorithmE0ELj4294967295EEENS1_25partition_config_selectorILNS1_17partition_subalgoE3EjNS0_10empty_typeEbEEZZNS1_14partition_implILS8_3ELb0ES6_jNS0_17counting_iteratorIjlEEPS9_SE_NS0_5tupleIJPjSE_EEENSF_IJSE_SE_EEES9_SG_JZNS1_25segmented_radix_sort_implINS0_14default_configELb1EPK12hip_bfloat16PSL_PKlPlN2at6native12_GLOBAL__N_18offset_tEEE10hipError_tPvRmT1_PNSt15iterator_traitsISZ_E10value_typeET2_T3_PNS10_IS15_E10value_typeET4_jRbjT5_S1B_jjP12ihipStream_tbEUljE_EEESW_SX_SY_S15_S19_S1B_T6_T7_T9_mT8_S1D_bDpT10_ENKUlT_T0_E_clISt17integral_constantIbLb0EES1Q_EEDaS1L_S1M_EUlS1L_E_NS1_11comp_targetILNS1_3genE0ELNS1_11target_archE4294967295ELNS1_3gpuE0ELNS1_3repE0EEENS1_30default_config_static_selectorELNS0_4arch9wavefront6targetE1EEEvSZ_.private_seg_size, 0
	.set _ZN7rocprim17ROCPRIM_400000_NS6detail17trampoline_kernelINS0_13select_configILj256ELj13ELNS0_17block_load_methodE3ELS4_3ELS4_3ELNS0_20block_scan_algorithmE0ELj4294967295EEENS1_25partition_config_selectorILNS1_17partition_subalgoE3EjNS0_10empty_typeEbEEZZNS1_14partition_implILS8_3ELb0ES6_jNS0_17counting_iteratorIjlEEPS9_SE_NS0_5tupleIJPjSE_EEENSF_IJSE_SE_EEES9_SG_JZNS1_25segmented_radix_sort_implINS0_14default_configELb1EPK12hip_bfloat16PSL_PKlPlN2at6native12_GLOBAL__N_18offset_tEEE10hipError_tPvRmT1_PNSt15iterator_traitsISZ_E10value_typeET2_T3_PNS10_IS15_E10value_typeET4_jRbjT5_S1B_jjP12ihipStream_tbEUljE_EEESW_SX_SY_S15_S19_S1B_T6_T7_T9_mT8_S1D_bDpT10_ENKUlT_T0_E_clISt17integral_constantIbLb0EES1Q_EEDaS1L_S1M_EUlS1L_E_NS1_11comp_targetILNS1_3genE0ELNS1_11target_archE4294967295ELNS1_3gpuE0ELNS1_3repE0EEENS1_30default_config_static_selectorELNS0_4arch9wavefront6targetE1EEEvSZ_.uses_vcc, 0
	.set _ZN7rocprim17ROCPRIM_400000_NS6detail17trampoline_kernelINS0_13select_configILj256ELj13ELNS0_17block_load_methodE3ELS4_3ELS4_3ELNS0_20block_scan_algorithmE0ELj4294967295EEENS1_25partition_config_selectorILNS1_17partition_subalgoE3EjNS0_10empty_typeEbEEZZNS1_14partition_implILS8_3ELb0ES6_jNS0_17counting_iteratorIjlEEPS9_SE_NS0_5tupleIJPjSE_EEENSF_IJSE_SE_EEES9_SG_JZNS1_25segmented_radix_sort_implINS0_14default_configELb1EPK12hip_bfloat16PSL_PKlPlN2at6native12_GLOBAL__N_18offset_tEEE10hipError_tPvRmT1_PNSt15iterator_traitsISZ_E10value_typeET2_T3_PNS10_IS15_E10value_typeET4_jRbjT5_S1B_jjP12ihipStream_tbEUljE_EEESW_SX_SY_S15_S19_S1B_T6_T7_T9_mT8_S1D_bDpT10_ENKUlT_T0_E_clISt17integral_constantIbLb0EES1Q_EEDaS1L_S1M_EUlS1L_E_NS1_11comp_targetILNS1_3genE0ELNS1_11target_archE4294967295ELNS1_3gpuE0ELNS1_3repE0EEENS1_30default_config_static_selectorELNS0_4arch9wavefront6targetE1EEEvSZ_.uses_flat_scratch, 0
	.set _ZN7rocprim17ROCPRIM_400000_NS6detail17trampoline_kernelINS0_13select_configILj256ELj13ELNS0_17block_load_methodE3ELS4_3ELS4_3ELNS0_20block_scan_algorithmE0ELj4294967295EEENS1_25partition_config_selectorILNS1_17partition_subalgoE3EjNS0_10empty_typeEbEEZZNS1_14partition_implILS8_3ELb0ES6_jNS0_17counting_iteratorIjlEEPS9_SE_NS0_5tupleIJPjSE_EEENSF_IJSE_SE_EEES9_SG_JZNS1_25segmented_radix_sort_implINS0_14default_configELb1EPK12hip_bfloat16PSL_PKlPlN2at6native12_GLOBAL__N_18offset_tEEE10hipError_tPvRmT1_PNSt15iterator_traitsISZ_E10value_typeET2_T3_PNS10_IS15_E10value_typeET4_jRbjT5_S1B_jjP12ihipStream_tbEUljE_EEESW_SX_SY_S15_S19_S1B_T6_T7_T9_mT8_S1D_bDpT10_ENKUlT_T0_E_clISt17integral_constantIbLb0EES1Q_EEDaS1L_S1M_EUlS1L_E_NS1_11comp_targetILNS1_3genE0ELNS1_11target_archE4294967295ELNS1_3gpuE0ELNS1_3repE0EEENS1_30default_config_static_selectorELNS0_4arch9wavefront6targetE1EEEvSZ_.has_dyn_sized_stack, 0
	.set _ZN7rocprim17ROCPRIM_400000_NS6detail17trampoline_kernelINS0_13select_configILj256ELj13ELNS0_17block_load_methodE3ELS4_3ELS4_3ELNS0_20block_scan_algorithmE0ELj4294967295EEENS1_25partition_config_selectorILNS1_17partition_subalgoE3EjNS0_10empty_typeEbEEZZNS1_14partition_implILS8_3ELb0ES6_jNS0_17counting_iteratorIjlEEPS9_SE_NS0_5tupleIJPjSE_EEENSF_IJSE_SE_EEES9_SG_JZNS1_25segmented_radix_sort_implINS0_14default_configELb1EPK12hip_bfloat16PSL_PKlPlN2at6native12_GLOBAL__N_18offset_tEEE10hipError_tPvRmT1_PNSt15iterator_traitsISZ_E10value_typeET2_T3_PNS10_IS15_E10value_typeET4_jRbjT5_S1B_jjP12ihipStream_tbEUljE_EEESW_SX_SY_S15_S19_S1B_T6_T7_T9_mT8_S1D_bDpT10_ENKUlT_T0_E_clISt17integral_constantIbLb0EES1Q_EEDaS1L_S1M_EUlS1L_E_NS1_11comp_targetILNS1_3genE0ELNS1_11target_archE4294967295ELNS1_3gpuE0ELNS1_3repE0EEENS1_30default_config_static_selectorELNS0_4arch9wavefront6targetE1EEEvSZ_.has_recursion, 0
	.set _ZN7rocprim17ROCPRIM_400000_NS6detail17trampoline_kernelINS0_13select_configILj256ELj13ELNS0_17block_load_methodE3ELS4_3ELS4_3ELNS0_20block_scan_algorithmE0ELj4294967295EEENS1_25partition_config_selectorILNS1_17partition_subalgoE3EjNS0_10empty_typeEbEEZZNS1_14partition_implILS8_3ELb0ES6_jNS0_17counting_iteratorIjlEEPS9_SE_NS0_5tupleIJPjSE_EEENSF_IJSE_SE_EEES9_SG_JZNS1_25segmented_radix_sort_implINS0_14default_configELb1EPK12hip_bfloat16PSL_PKlPlN2at6native12_GLOBAL__N_18offset_tEEE10hipError_tPvRmT1_PNSt15iterator_traitsISZ_E10value_typeET2_T3_PNS10_IS15_E10value_typeET4_jRbjT5_S1B_jjP12ihipStream_tbEUljE_EEESW_SX_SY_S15_S19_S1B_T6_T7_T9_mT8_S1D_bDpT10_ENKUlT_T0_E_clISt17integral_constantIbLb0EES1Q_EEDaS1L_S1M_EUlS1L_E_NS1_11comp_targetILNS1_3genE0ELNS1_11target_archE4294967295ELNS1_3gpuE0ELNS1_3repE0EEENS1_30default_config_static_selectorELNS0_4arch9wavefront6targetE1EEEvSZ_.has_indirect_call, 0
	.section	.AMDGPU.csdata,"",@progbits
; Kernel info:
; codeLenInByte = 0
; TotalNumSgprs: 4
; NumVgprs: 0
; ScratchSize: 0
; MemoryBound: 0
; FloatMode: 240
; IeeeMode: 1
; LDSByteSize: 0 bytes/workgroup (compile time only)
; SGPRBlocks: 0
; VGPRBlocks: 0
; NumSGPRsForWavesPerEU: 4
; NumVGPRsForWavesPerEU: 1
; Occupancy: 10
; WaveLimiterHint : 0
; COMPUTE_PGM_RSRC2:SCRATCH_EN: 0
; COMPUTE_PGM_RSRC2:USER_SGPR: 6
; COMPUTE_PGM_RSRC2:TRAP_HANDLER: 0
; COMPUTE_PGM_RSRC2:TGID_X_EN: 1
; COMPUTE_PGM_RSRC2:TGID_Y_EN: 0
; COMPUTE_PGM_RSRC2:TGID_Z_EN: 0
; COMPUTE_PGM_RSRC2:TIDIG_COMP_CNT: 0
	.section	.text._ZN7rocprim17ROCPRIM_400000_NS6detail17trampoline_kernelINS0_13select_configILj256ELj13ELNS0_17block_load_methodE3ELS4_3ELS4_3ELNS0_20block_scan_algorithmE0ELj4294967295EEENS1_25partition_config_selectorILNS1_17partition_subalgoE3EjNS0_10empty_typeEbEEZZNS1_14partition_implILS8_3ELb0ES6_jNS0_17counting_iteratorIjlEEPS9_SE_NS0_5tupleIJPjSE_EEENSF_IJSE_SE_EEES9_SG_JZNS1_25segmented_radix_sort_implINS0_14default_configELb1EPK12hip_bfloat16PSL_PKlPlN2at6native12_GLOBAL__N_18offset_tEEE10hipError_tPvRmT1_PNSt15iterator_traitsISZ_E10value_typeET2_T3_PNS10_IS15_E10value_typeET4_jRbjT5_S1B_jjP12ihipStream_tbEUljE_EEESW_SX_SY_S15_S19_S1B_T6_T7_T9_mT8_S1D_bDpT10_ENKUlT_T0_E_clISt17integral_constantIbLb0EES1Q_EEDaS1L_S1M_EUlS1L_E_NS1_11comp_targetILNS1_3genE5ELNS1_11target_archE942ELNS1_3gpuE9ELNS1_3repE0EEENS1_30default_config_static_selectorELNS0_4arch9wavefront6targetE1EEEvSZ_,"axG",@progbits,_ZN7rocprim17ROCPRIM_400000_NS6detail17trampoline_kernelINS0_13select_configILj256ELj13ELNS0_17block_load_methodE3ELS4_3ELS4_3ELNS0_20block_scan_algorithmE0ELj4294967295EEENS1_25partition_config_selectorILNS1_17partition_subalgoE3EjNS0_10empty_typeEbEEZZNS1_14partition_implILS8_3ELb0ES6_jNS0_17counting_iteratorIjlEEPS9_SE_NS0_5tupleIJPjSE_EEENSF_IJSE_SE_EEES9_SG_JZNS1_25segmented_radix_sort_implINS0_14default_configELb1EPK12hip_bfloat16PSL_PKlPlN2at6native12_GLOBAL__N_18offset_tEEE10hipError_tPvRmT1_PNSt15iterator_traitsISZ_E10value_typeET2_T3_PNS10_IS15_E10value_typeET4_jRbjT5_S1B_jjP12ihipStream_tbEUljE_EEESW_SX_SY_S15_S19_S1B_T6_T7_T9_mT8_S1D_bDpT10_ENKUlT_T0_E_clISt17integral_constantIbLb0EES1Q_EEDaS1L_S1M_EUlS1L_E_NS1_11comp_targetILNS1_3genE5ELNS1_11target_archE942ELNS1_3gpuE9ELNS1_3repE0EEENS1_30default_config_static_selectorELNS0_4arch9wavefront6targetE1EEEvSZ_,comdat
	.globl	_ZN7rocprim17ROCPRIM_400000_NS6detail17trampoline_kernelINS0_13select_configILj256ELj13ELNS0_17block_load_methodE3ELS4_3ELS4_3ELNS0_20block_scan_algorithmE0ELj4294967295EEENS1_25partition_config_selectorILNS1_17partition_subalgoE3EjNS0_10empty_typeEbEEZZNS1_14partition_implILS8_3ELb0ES6_jNS0_17counting_iteratorIjlEEPS9_SE_NS0_5tupleIJPjSE_EEENSF_IJSE_SE_EEES9_SG_JZNS1_25segmented_radix_sort_implINS0_14default_configELb1EPK12hip_bfloat16PSL_PKlPlN2at6native12_GLOBAL__N_18offset_tEEE10hipError_tPvRmT1_PNSt15iterator_traitsISZ_E10value_typeET2_T3_PNS10_IS15_E10value_typeET4_jRbjT5_S1B_jjP12ihipStream_tbEUljE_EEESW_SX_SY_S15_S19_S1B_T6_T7_T9_mT8_S1D_bDpT10_ENKUlT_T0_E_clISt17integral_constantIbLb0EES1Q_EEDaS1L_S1M_EUlS1L_E_NS1_11comp_targetILNS1_3genE5ELNS1_11target_archE942ELNS1_3gpuE9ELNS1_3repE0EEENS1_30default_config_static_selectorELNS0_4arch9wavefront6targetE1EEEvSZ_ ; -- Begin function _ZN7rocprim17ROCPRIM_400000_NS6detail17trampoline_kernelINS0_13select_configILj256ELj13ELNS0_17block_load_methodE3ELS4_3ELS4_3ELNS0_20block_scan_algorithmE0ELj4294967295EEENS1_25partition_config_selectorILNS1_17partition_subalgoE3EjNS0_10empty_typeEbEEZZNS1_14partition_implILS8_3ELb0ES6_jNS0_17counting_iteratorIjlEEPS9_SE_NS0_5tupleIJPjSE_EEENSF_IJSE_SE_EEES9_SG_JZNS1_25segmented_radix_sort_implINS0_14default_configELb1EPK12hip_bfloat16PSL_PKlPlN2at6native12_GLOBAL__N_18offset_tEEE10hipError_tPvRmT1_PNSt15iterator_traitsISZ_E10value_typeET2_T3_PNS10_IS15_E10value_typeET4_jRbjT5_S1B_jjP12ihipStream_tbEUljE_EEESW_SX_SY_S15_S19_S1B_T6_T7_T9_mT8_S1D_bDpT10_ENKUlT_T0_E_clISt17integral_constantIbLb0EES1Q_EEDaS1L_S1M_EUlS1L_E_NS1_11comp_targetILNS1_3genE5ELNS1_11target_archE942ELNS1_3gpuE9ELNS1_3repE0EEENS1_30default_config_static_selectorELNS0_4arch9wavefront6targetE1EEEvSZ_
	.p2align	8
	.type	_ZN7rocprim17ROCPRIM_400000_NS6detail17trampoline_kernelINS0_13select_configILj256ELj13ELNS0_17block_load_methodE3ELS4_3ELS4_3ELNS0_20block_scan_algorithmE0ELj4294967295EEENS1_25partition_config_selectorILNS1_17partition_subalgoE3EjNS0_10empty_typeEbEEZZNS1_14partition_implILS8_3ELb0ES6_jNS0_17counting_iteratorIjlEEPS9_SE_NS0_5tupleIJPjSE_EEENSF_IJSE_SE_EEES9_SG_JZNS1_25segmented_radix_sort_implINS0_14default_configELb1EPK12hip_bfloat16PSL_PKlPlN2at6native12_GLOBAL__N_18offset_tEEE10hipError_tPvRmT1_PNSt15iterator_traitsISZ_E10value_typeET2_T3_PNS10_IS15_E10value_typeET4_jRbjT5_S1B_jjP12ihipStream_tbEUljE_EEESW_SX_SY_S15_S19_S1B_T6_T7_T9_mT8_S1D_bDpT10_ENKUlT_T0_E_clISt17integral_constantIbLb0EES1Q_EEDaS1L_S1M_EUlS1L_E_NS1_11comp_targetILNS1_3genE5ELNS1_11target_archE942ELNS1_3gpuE9ELNS1_3repE0EEENS1_30default_config_static_selectorELNS0_4arch9wavefront6targetE1EEEvSZ_,@function
_ZN7rocprim17ROCPRIM_400000_NS6detail17trampoline_kernelINS0_13select_configILj256ELj13ELNS0_17block_load_methodE3ELS4_3ELS4_3ELNS0_20block_scan_algorithmE0ELj4294967295EEENS1_25partition_config_selectorILNS1_17partition_subalgoE3EjNS0_10empty_typeEbEEZZNS1_14partition_implILS8_3ELb0ES6_jNS0_17counting_iteratorIjlEEPS9_SE_NS0_5tupleIJPjSE_EEENSF_IJSE_SE_EEES9_SG_JZNS1_25segmented_radix_sort_implINS0_14default_configELb1EPK12hip_bfloat16PSL_PKlPlN2at6native12_GLOBAL__N_18offset_tEEE10hipError_tPvRmT1_PNSt15iterator_traitsISZ_E10value_typeET2_T3_PNS10_IS15_E10value_typeET4_jRbjT5_S1B_jjP12ihipStream_tbEUljE_EEESW_SX_SY_S15_S19_S1B_T6_T7_T9_mT8_S1D_bDpT10_ENKUlT_T0_E_clISt17integral_constantIbLb0EES1Q_EEDaS1L_S1M_EUlS1L_E_NS1_11comp_targetILNS1_3genE5ELNS1_11target_archE942ELNS1_3gpuE9ELNS1_3repE0EEENS1_30default_config_static_selectorELNS0_4arch9wavefront6targetE1EEEvSZ_: ; @_ZN7rocprim17ROCPRIM_400000_NS6detail17trampoline_kernelINS0_13select_configILj256ELj13ELNS0_17block_load_methodE3ELS4_3ELS4_3ELNS0_20block_scan_algorithmE0ELj4294967295EEENS1_25partition_config_selectorILNS1_17partition_subalgoE3EjNS0_10empty_typeEbEEZZNS1_14partition_implILS8_3ELb0ES6_jNS0_17counting_iteratorIjlEEPS9_SE_NS0_5tupleIJPjSE_EEENSF_IJSE_SE_EEES9_SG_JZNS1_25segmented_radix_sort_implINS0_14default_configELb1EPK12hip_bfloat16PSL_PKlPlN2at6native12_GLOBAL__N_18offset_tEEE10hipError_tPvRmT1_PNSt15iterator_traitsISZ_E10value_typeET2_T3_PNS10_IS15_E10value_typeET4_jRbjT5_S1B_jjP12ihipStream_tbEUljE_EEESW_SX_SY_S15_S19_S1B_T6_T7_T9_mT8_S1D_bDpT10_ENKUlT_T0_E_clISt17integral_constantIbLb0EES1Q_EEDaS1L_S1M_EUlS1L_E_NS1_11comp_targetILNS1_3genE5ELNS1_11target_archE942ELNS1_3gpuE9ELNS1_3repE0EEENS1_30default_config_static_selectorELNS0_4arch9wavefront6targetE1EEEvSZ_
; %bb.0:
	.section	.rodata,"a",@progbits
	.p2align	6, 0x0
	.amdhsa_kernel _ZN7rocprim17ROCPRIM_400000_NS6detail17trampoline_kernelINS0_13select_configILj256ELj13ELNS0_17block_load_methodE3ELS4_3ELS4_3ELNS0_20block_scan_algorithmE0ELj4294967295EEENS1_25partition_config_selectorILNS1_17partition_subalgoE3EjNS0_10empty_typeEbEEZZNS1_14partition_implILS8_3ELb0ES6_jNS0_17counting_iteratorIjlEEPS9_SE_NS0_5tupleIJPjSE_EEENSF_IJSE_SE_EEES9_SG_JZNS1_25segmented_radix_sort_implINS0_14default_configELb1EPK12hip_bfloat16PSL_PKlPlN2at6native12_GLOBAL__N_18offset_tEEE10hipError_tPvRmT1_PNSt15iterator_traitsISZ_E10value_typeET2_T3_PNS10_IS15_E10value_typeET4_jRbjT5_S1B_jjP12ihipStream_tbEUljE_EEESW_SX_SY_S15_S19_S1B_T6_T7_T9_mT8_S1D_bDpT10_ENKUlT_T0_E_clISt17integral_constantIbLb0EES1Q_EEDaS1L_S1M_EUlS1L_E_NS1_11comp_targetILNS1_3genE5ELNS1_11target_archE942ELNS1_3gpuE9ELNS1_3repE0EEENS1_30default_config_static_selectorELNS0_4arch9wavefront6targetE1EEEvSZ_
		.amdhsa_group_segment_fixed_size 0
		.amdhsa_private_segment_fixed_size 0
		.amdhsa_kernarg_size 144
		.amdhsa_user_sgpr_count 6
		.amdhsa_user_sgpr_private_segment_buffer 1
		.amdhsa_user_sgpr_dispatch_ptr 0
		.amdhsa_user_sgpr_queue_ptr 0
		.amdhsa_user_sgpr_kernarg_segment_ptr 1
		.amdhsa_user_sgpr_dispatch_id 0
		.amdhsa_user_sgpr_flat_scratch_init 0
		.amdhsa_user_sgpr_private_segment_size 0
		.amdhsa_uses_dynamic_stack 0
		.amdhsa_system_sgpr_private_segment_wavefront_offset 0
		.amdhsa_system_sgpr_workgroup_id_x 1
		.amdhsa_system_sgpr_workgroup_id_y 0
		.amdhsa_system_sgpr_workgroup_id_z 0
		.amdhsa_system_sgpr_workgroup_info 0
		.amdhsa_system_vgpr_workitem_id 0
		.amdhsa_next_free_vgpr 1
		.amdhsa_next_free_sgpr 0
		.amdhsa_reserve_vcc 0
		.amdhsa_reserve_flat_scratch 0
		.amdhsa_float_round_mode_32 0
		.amdhsa_float_round_mode_16_64 0
		.amdhsa_float_denorm_mode_32 3
		.amdhsa_float_denorm_mode_16_64 3
		.amdhsa_dx10_clamp 1
		.amdhsa_ieee_mode 1
		.amdhsa_fp16_overflow 0
		.amdhsa_exception_fp_ieee_invalid_op 0
		.amdhsa_exception_fp_denorm_src 0
		.amdhsa_exception_fp_ieee_div_zero 0
		.amdhsa_exception_fp_ieee_overflow 0
		.amdhsa_exception_fp_ieee_underflow 0
		.amdhsa_exception_fp_ieee_inexact 0
		.amdhsa_exception_int_div_zero 0
	.end_amdhsa_kernel
	.section	.text._ZN7rocprim17ROCPRIM_400000_NS6detail17trampoline_kernelINS0_13select_configILj256ELj13ELNS0_17block_load_methodE3ELS4_3ELS4_3ELNS0_20block_scan_algorithmE0ELj4294967295EEENS1_25partition_config_selectorILNS1_17partition_subalgoE3EjNS0_10empty_typeEbEEZZNS1_14partition_implILS8_3ELb0ES6_jNS0_17counting_iteratorIjlEEPS9_SE_NS0_5tupleIJPjSE_EEENSF_IJSE_SE_EEES9_SG_JZNS1_25segmented_radix_sort_implINS0_14default_configELb1EPK12hip_bfloat16PSL_PKlPlN2at6native12_GLOBAL__N_18offset_tEEE10hipError_tPvRmT1_PNSt15iterator_traitsISZ_E10value_typeET2_T3_PNS10_IS15_E10value_typeET4_jRbjT5_S1B_jjP12ihipStream_tbEUljE_EEESW_SX_SY_S15_S19_S1B_T6_T7_T9_mT8_S1D_bDpT10_ENKUlT_T0_E_clISt17integral_constantIbLb0EES1Q_EEDaS1L_S1M_EUlS1L_E_NS1_11comp_targetILNS1_3genE5ELNS1_11target_archE942ELNS1_3gpuE9ELNS1_3repE0EEENS1_30default_config_static_selectorELNS0_4arch9wavefront6targetE1EEEvSZ_,"axG",@progbits,_ZN7rocprim17ROCPRIM_400000_NS6detail17trampoline_kernelINS0_13select_configILj256ELj13ELNS0_17block_load_methodE3ELS4_3ELS4_3ELNS0_20block_scan_algorithmE0ELj4294967295EEENS1_25partition_config_selectorILNS1_17partition_subalgoE3EjNS0_10empty_typeEbEEZZNS1_14partition_implILS8_3ELb0ES6_jNS0_17counting_iteratorIjlEEPS9_SE_NS0_5tupleIJPjSE_EEENSF_IJSE_SE_EEES9_SG_JZNS1_25segmented_radix_sort_implINS0_14default_configELb1EPK12hip_bfloat16PSL_PKlPlN2at6native12_GLOBAL__N_18offset_tEEE10hipError_tPvRmT1_PNSt15iterator_traitsISZ_E10value_typeET2_T3_PNS10_IS15_E10value_typeET4_jRbjT5_S1B_jjP12ihipStream_tbEUljE_EEESW_SX_SY_S15_S19_S1B_T6_T7_T9_mT8_S1D_bDpT10_ENKUlT_T0_E_clISt17integral_constantIbLb0EES1Q_EEDaS1L_S1M_EUlS1L_E_NS1_11comp_targetILNS1_3genE5ELNS1_11target_archE942ELNS1_3gpuE9ELNS1_3repE0EEENS1_30default_config_static_selectorELNS0_4arch9wavefront6targetE1EEEvSZ_,comdat
.Lfunc_end1915:
	.size	_ZN7rocprim17ROCPRIM_400000_NS6detail17trampoline_kernelINS0_13select_configILj256ELj13ELNS0_17block_load_methodE3ELS4_3ELS4_3ELNS0_20block_scan_algorithmE0ELj4294967295EEENS1_25partition_config_selectorILNS1_17partition_subalgoE3EjNS0_10empty_typeEbEEZZNS1_14partition_implILS8_3ELb0ES6_jNS0_17counting_iteratorIjlEEPS9_SE_NS0_5tupleIJPjSE_EEENSF_IJSE_SE_EEES9_SG_JZNS1_25segmented_radix_sort_implINS0_14default_configELb1EPK12hip_bfloat16PSL_PKlPlN2at6native12_GLOBAL__N_18offset_tEEE10hipError_tPvRmT1_PNSt15iterator_traitsISZ_E10value_typeET2_T3_PNS10_IS15_E10value_typeET4_jRbjT5_S1B_jjP12ihipStream_tbEUljE_EEESW_SX_SY_S15_S19_S1B_T6_T7_T9_mT8_S1D_bDpT10_ENKUlT_T0_E_clISt17integral_constantIbLb0EES1Q_EEDaS1L_S1M_EUlS1L_E_NS1_11comp_targetILNS1_3genE5ELNS1_11target_archE942ELNS1_3gpuE9ELNS1_3repE0EEENS1_30default_config_static_selectorELNS0_4arch9wavefront6targetE1EEEvSZ_, .Lfunc_end1915-_ZN7rocprim17ROCPRIM_400000_NS6detail17trampoline_kernelINS0_13select_configILj256ELj13ELNS0_17block_load_methodE3ELS4_3ELS4_3ELNS0_20block_scan_algorithmE0ELj4294967295EEENS1_25partition_config_selectorILNS1_17partition_subalgoE3EjNS0_10empty_typeEbEEZZNS1_14partition_implILS8_3ELb0ES6_jNS0_17counting_iteratorIjlEEPS9_SE_NS0_5tupleIJPjSE_EEENSF_IJSE_SE_EEES9_SG_JZNS1_25segmented_radix_sort_implINS0_14default_configELb1EPK12hip_bfloat16PSL_PKlPlN2at6native12_GLOBAL__N_18offset_tEEE10hipError_tPvRmT1_PNSt15iterator_traitsISZ_E10value_typeET2_T3_PNS10_IS15_E10value_typeET4_jRbjT5_S1B_jjP12ihipStream_tbEUljE_EEESW_SX_SY_S15_S19_S1B_T6_T7_T9_mT8_S1D_bDpT10_ENKUlT_T0_E_clISt17integral_constantIbLb0EES1Q_EEDaS1L_S1M_EUlS1L_E_NS1_11comp_targetILNS1_3genE5ELNS1_11target_archE942ELNS1_3gpuE9ELNS1_3repE0EEENS1_30default_config_static_selectorELNS0_4arch9wavefront6targetE1EEEvSZ_
                                        ; -- End function
	.set _ZN7rocprim17ROCPRIM_400000_NS6detail17trampoline_kernelINS0_13select_configILj256ELj13ELNS0_17block_load_methodE3ELS4_3ELS4_3ELNS0_20block_scan_algorithmE0ELj4294967295EEENS1_25partition_config_selectorILNS1_17partition_subalgoE3EjNS0_10empty_typeEbEEZZNS1_14partition_implILS8_3ELb0ES6_jNS0_17counting_iteratorIjlEEPS9_SE_NS0_5tupleIJPjSE_EEENSF_IJSE_SE_EEES9_SG_JZNS1_25segmented_radix_sort_implINS0_14default_configELb1EPK12hip_bfloat16PSL_PKlPlN2at6native12_GLOBAL__N_18offset_tEEE10hipError_tPvRmT1_PNSt15iterator_traitsISZ_E10value_typeET2_T3_PNS10_IS15_E10value_typeET4_jRbjT5_S1B_jjP12ihipStream_tbEUljE_EEESW_SX_SY_S15_S19_S1B_T6_T7_T9_mT8_S1D_bDpT10_ENKUlT_T0_E_clISt17integral_constantIbLb0EES1Q_EEDaS1L_S1M_EUlS1L_E_NS1_11comp_targetILNS1_3genE5ELNS1_11target_archE942ELNS1_3gpuE9ELNS1_3repE0EEENS1_30default_config_static_selectorELNS0_4arch9wavefront6targetE1EEEvSZ_.num_vgpr, 0
	.set _ZN7rocprim17ROCPRIM_400000_NS6detail17trampoline_kernelINS0_13select_configILj256ELj13ELNS0_17block_load_methodE3ELS4_3ELS4_3ELNS0_20block_scan_algorithmE0ELj4294967295EEENS1_25partition_config_selectorILNS1_17partition_subalgoE3EjNS0_10empty_typeEbEEZZNS1_14partition_implILS8_3ELb0ES6_jNS0_17counting_iteratorIjlEEPS9_SE_NS0_5tupleIJPjSE_EEENSF_IJSE_SE_EEES9_SG_JZNS1_25segmented_radix_sort_implINS0_14default_configELb1EPK12hip_bfloat16PSL_PKlPlN2at6native12_GLOBAL__N_18offset_tEEE10hipError_tPvRmT1_PNSt15iterator_traitsISZ_E10value_typeET2_T3_PNS10_IS15_E10value_typeET4_jRbjT5_S1B_jjP12ihipStream_tbEUljE_EEESW_SX_SY_S15_S19_S1B_T6_T7_T9_mT8_S1D_bDpT10_ENKUlT_T0_E_clISt17integral_constantIbLb0EES1Q_EEDaS1L_S1M_EUlS1L_E_NS1_11comp_targetILNS1_3genE5ELNS1_11target_archE942ELNS1_3gpuE9ELNS1_3repE0EEENS1_30default_config_static_selectorELNS0_4arch9wavefront6targetE1EEEvSZ_.num_agpr, 0
	.set _ZN7rocprim17ROCPRIM_400000_NS6detail17trampoline_kernelINS0_13select_configILj256ELj13ELNS0_17block_load_methodE3ELS4_3ELS4_3ELNS0_20block_scan_algorithmE0ELj4294967295EEENS1_25partition_config_selectorILNS1_17partition_subalgoE3EjNS0_10empty_typeEbEEZZNS1_14partition_implILS8_3ELb0ES6_jNS0_17counting_iteratorIjlEEPS9_SE_NS0_5tupleIJPjSE_EEENSF_IJSE_SE_EEES9_SG_JZNS1_25segmented_radix_sort_implINS0_14default_configELb1EPK12hip_bfloat16PSL_PKlPlN2at6native12_GLOBAL__N_18offset_tEEE10hipError_tPvRmT1_PNSt15iterator_traitsISZ_E10value_typeET2_T3_PNS10_IS15_E10value_typeET4_jRbjT5_S1B_jjP12ihipStream_tbEUljE_EEESW_SX_SY_S15_S19_S1B_T6_T7_T9_mT8_S1D_bDpT10_ENKUlT_T0_E_clISt17integral_constantIbLb0EES1Q_EEDaS1L_S1M_EUlS1L_E_NS1_11comp_targetILNS1_3genE5ELNS1_11target_archE942ELNS1_3gpuE9ELNS1_3repE0EEENS1_30default_config_static_selectorELNS0_4arch9wavefront6targetE1EEEvSZ_.numbered_sgpr, 0
	.set _ZN7rocprim17ROCPRIM_400000_NS6detail17trampoline_kernelINS0_13select_configILj256ELj13ELNS0_17block_load_methodE3ELS4_3ELS4_3ELNS0_20block_scan_algorithmE0ELj4294967295EEENS1_25partition_config_selectorILNS1_17partition_subalgoE3EjNS0_10empty_typeEbEEZZNS1_14partition_implILS8_3ELb0ES6_jNS0_17counting_iteratorIjlEEPS9_SE_NS0_5tupleIJPjSE_EEENSF_IJSE_SE_EEES9_SG_JZNS1_25segmented_radix_sort_implINS0_14default_configELb1EPK12hip_bfloat16PSL_PKlPlN2at6native12_GLOBAL__N_18offset_tEEE10hipError_tPvRmT1_PNSt15iterator_traitsISZ_E10value_typeET2_T3_PNS10_IS15_E10value_typeET4_jRbjT5_S1B_jjP12ihipStream_tbEUljE_EEESW_SX_SY_S15_S19_S1B_T6_T7_T9_mT8_S1D_bDpT10_ENKUlT_T0_E_clISt17integral_constantIbLb0EES1Q_EEDaS1L_S1M_EUlS1L_E_NS1_11comp_targetILNS1_3genE5ELNS1_11target_archE942ELNS1_3gpuE9ELNS1_3repE0EEENS1_30default_config_static_selectorELNS0_4arch9wavefront6targetE1EEEvSZ_.num_named_barrier, 0
	.set _ZN7rocprim17ROCPRIM_400000_NS6detail17trampoline_kernelINS0_13select_configILj256ELj13ELNS0_17block_load_methodE3ELS4_3ELS4_3ELNS0_20block_scan_algorithmE0ELj4294967295EEENS1_25partition_config_selectorILNS1_17partition_subalgoE3EjNS0_10empty_typeEbEEZZNS1_14partition_implILS8_3ELb0ES6_jNS0_17counting_iteratorIjlEEPS9_SE_NS0_5tupleIJPjSE_EEENSF_IJSE_SE_EEES9_SG_JZNS1_25segmented_radix_sort_implINS0_14default_configELb1EPK12hip_bfloat16PSL_PKlPlN2at6native12_GLOBAL__N_18offset_tEEE10hipError_tPvRmT1_PNSt15iterator_traitsISZ_E10value_typeET2_T3_PNS10_IS15_E10value_typeET4_jRbjT5_S1B_jjP12ihipStream_tbEUljE_EEESW_SX_SY_S15_S19_S1B_T6_T7_T9_mT8_S1D_bDpT10_ENKUlT_T0_E_clISt17integral_constantIbLb0EES1Q_EEDaS1L_S1M_EUlS1L_E_NS1_11comp_targetILNS1_3genE5ELNS1_11target_archE942ELNS1_3gpuE9ELNS1_3repE0EEENS1_30default_config_static_selectorELNS0_4arch9wavefront6targetE1EEEvSZ_.private_seg_size, 0
	.set _ZN7rocprim17ROCPRIM_400000_NS6detail17trampoline_kernelINS0_13select_configILj256ELj13ELNS0_17block_load_methodE3ELS4_3ELS4_3ELNS0_20block_scan_algorithmE0ELj4294967295EEENS1_25partition_config_selectorILNS1_17partition_subalgoE3EjNS0_10empty_typeEbEEZZNS1_14partition_implILS8_3ELb0ES6_jNS0_17counting_iteratorIjlEEPS9_SE_NS0_5tupleIJPjSE_EEENSF_IJSE_SE_EEES9_SG_JZNS1_25segmented_radix_sort_implINS0_14default_configELb1EPK12hip_bfloat16PSL_PKlPlN2at6native12_GLOBAL__N_18offset_tEEE10hipError_tPvRmT1_PNSt15iterator_traitsISZ_E10value_typeET2_T3_PNS10_IS15_E10value_typeET4_jRbjT5_S1B_jjP12ihipStream_tbEUljE_EEESW_SX_SY_S15_S19_S1B_T6_T7_T9_mT8_S1D_bDpT10_ENKUlT_T0_E_clISt17integral_constantIbLb0EES1Q_EEDaS1L_S1M_EUlS1L_E_NS1_11comp_targetILNS1_3genE5ELNS1_11target_archE942ELNS1_3gpuE9ELNS1_3repE0EEENS1_30default_config_static_selectorELNS0_4arch9wavefront6targetE1EEEvSZ_.uses_vcc, 0
	.set _ZN7rocprim17ROCPRIM_400000_NS6detail17trampoline_kernelINS0_13select_configILj256ELj13ELNS0_17block_load_methodE3ELS4_3ELS4_3ELNS0_20block_scan_algorithmE0ELj4294967295EEENS1_25partition_config_selectorILNS1_17partition_subalgoE3EjNS0_10empty_typeEbEEZZNS1_14partition_implILS8_3ELb0ES6_jNS0_17counting_iteratorIjlEEPS9_SE_NS0_5tupleIJPjSE_EEENSF_IJSE_SE_EEES9_SG_JZNS1_25segmented_radix_sort_implINS0_14default_configELb1EPK12hip_bfloat16PSL_PKlPlN2at6native12_GLOBAL__N_18offset_tEEE10hipError_tPvRmT1_PNSt15iterator_traitsISZ_E10value_typeET2_T3_PNS10_IS15_E10value_typeET4_jRbjT5_S1B_jjP12ihipStream_tbEUljE_EEESW_SX_SY_S15_S19_S1B_T6_T7_T9_mT8_S1D_bDpT10_ENKUlT_T0_E_clISt17integral_constantIbLb0EES1Q_EEDaS1L_S1M_EUlS1L_E_NS1_11comp_targetILNS1_3genE5ELNS1_11target_archE942ELNS1_3gpuE9ELNS1_3repE0EEENS1_30default_config_static_selectorELNS0_4arch9wavefront6targetE1EEEvSZ_.uses_flat_scratch, 0
	.set _ZN7rocprim17ROCPRIM_400000_NS6detail17trampoline_kernelINS0_13select_configILj256ELj13ELNS0_17block_load_methodE3ELS4_3ELS4_3ELNS0_20block_scan_algorithmE0ELj4294967295EEENS1_25partition_config_selectorILNS1_17partition_subalgoE3EjNS0_10empty_typeEbEEZZNS1_14partition_implILS8_3ELb0ES6_jNS0_17counting_iteratorIjlEEPS9_SE_NS0_5tupleIJPjSE_EEENSF_IJSE_SE_EEES9_SG_JZNS1_25segmented_radix_sort_implINS0_14default_configELb1EPK12hip_bfloat16PSL_PKlPlN2at6native12_GLOBAL__N_18offset_tEEE10hipError_tPvRmT1_PNSt15iterator_traitsISZ_E10value_typeET2_T3_PNS10_IS15_E10value_typeET4_jRbjT5_S1B_jjP12ihipStream_tbEUljE_EEESW_SX_SY_S15_S19_S1B_T6_T7_T9_mT8_S1D_bDpT10_ENKUlT_T0_E_clISt17integral_constantIbLb0EES1Q_EEDaS1L_S1M_EUlS1L_E_NS1_11comp_targetILNS1_3genE5ELNS1_11target_archE942ELNS1_3gpuE9ELNS1_3repE0EEENS1_30default_config_static_selectorELNS0_4arch9wavefront6targetE1EEEvSZ_.has_dyn_sized_stack, 0
	.set _ZN7rocprim17ROCPRIM_400000_NS6detail17trampoline_kernelINS0_13select_configILj256ELj13ELNS0_17block_load_methodE3ELS4_3ELS4_3ELNS0_20block_scan_algorithmE0ELj4294967295EEENS1_25partition_config_selectorILNS1_17partition_subalgoE3EjNS0_10empty_typeEbEEZZNS1_14partition_implILS8_3ELb0ES6_jNS0_17counting_iteratorIjlEEPS9_SE_NS0_5tupleIJPjSE_EEENSF_IJSE_SE_EEES9_SG_JZNS1_25segmented_radix_sort_implINS0_14default_configELb1EPK12hip_bfloat16PSL_PKlPlN2at6native12_GLOBAL__N_18offset_tEEE10hipError_tPvRmT1_PNSt15iterator_traitsISZ_E10value_typeET2_T3_PNS10_IS15_E10value_typeET4_jRbjT5_S1B_jjP12ihipStream_tbEUljE_EEESW_SX_SY_S15_S19_S1B_T6_T7_T9_mT8_S1D_bDpT10_ENKUlT_T0_E_clISt17integral_constantIbLb0EES1Q_EEDaS1L_S1M_EUlS1L_E_NS1_11comp_targetILNS1_3genE5ELNS1_11target_archE942ELNS1_3gpuE9ELNS1_3repE0EEENS1_30default_config_static_selectorELNS0_4arch9wavefront6targetE1EEEvSZ_.has_recursion, 0
	.set _ZN7rocprim17ROCPRIM_400000_NS6detail17trampoline_kernelINS0_13select_configILj256ELj13ELNS0_17block_load_methodE3ELS4_3ELS4_3ELNS0_20block_scan_algorithmE0ELj4294967295EEENS1_25partition_config_selectorILNS1_17partition_subalgoE3EjNS0_10empty_typeEbEEZZNS1_14partition_implILS8_3ELb0ES6_jNS0_17counting_iteratorIjlEEPS9_SE_NS0_5tupleIJPjSE_EEENSF_IJSE_SE_EEES9_SG_JZNS1_25segmented_radix_sort_implINS0_14default_configELb1EPK12hip_bfloat16PSL_PKlPlN2at6native12_GLOBAL__N_18offset_tEEE10hipError_tPvRmT1_PNSt15iterator_traitsISZ_E10value_typeET2_T3_PNS10_IS15_E10value_typeET4_jRbjT5_S1B_jjP12ihipStream_tbEUljE_EEESW_SX_SY_S15_S19_S1B_T6_T7_T9_mT8_S1D_bDpT10_ENKUlT_T0_E_clISt17integral_constantIbLb0EES1Q_EEDaS1L_S1M_EUlS1L_E_NS1_11comp_targetILNS1_3genE5ELNS1_11target_archE942ELNS1_3gpuE9ELNS1_3repE0EEENS1_30default_config_static_selectorELNS0_4arch9wavefront6targetE1EEEvSZ_.has_indirect_call, 0
	.section	.AMDGPU.csdata,"",@progbits
; Kernel info:
; codeLenInByte = 0
; TotalNumSgprs: 4
; NumVgprs: 0
; ScratchSize: 0
; MemoryBound: 0
; FloatMode: 240
; IeeeMode: 1
; LDSByteSize: 0 bytes/workgroup (compile time only)
; SGPRBlocks: 0
; VGPRBlocks: 0
; NumSGPRsForWavesPerEU: 4
; NumVGPRsForWavesPerEU: 1
; Occupancy: 10
; WaveLimiterHint : 0
; COMPUTE_PGM_RSRC2:SCRATCH_EN: 0
; COMPUTE_PGM_RSRC2:USER_SGPR: 6
; COMPUTE_PGM_RSRC2:TRAP_HANDLER: 0
; COMPUTE_PGM_RSRC2:TGID_X_EN: 1
; COMPUTE_PGM_RSRC2:TGID_Y_EN: 0
; COMPUTE_PGM_RSRC2:TGID_Z_EN: 0
; COMPUTE_PGM_RSRC2:TIDIG_COMP_CNT: 0
	.section	.text._ZN7rocprim17ROCPRIM_400000_NS6detail17trampoline_kernelINS0_13select_configILj256ELj13ELNS0_17block_load_methodE3ELS4_3ELS4_3ELNS0_20block_scan_algorithmE0ELj4294967295EEENS1_25partition_config_selectorILNS1_17partition_subalgoE3EjNS0_10empty_typeEbEEZZNS1_14partition_implILS8_3ELb0ES6_jNS0_17counting_iteratorIjlEEPS9_SE_NS0_5tupleIJPjSE_EEENSF_IJSE_SE_EEES9_SG_JZNS1_25segmented_radix_sort_implINS0_14default_configELb1EPK12hip_bfloat16PSL_PKlPlN2at6native12_GLOBAL__N_18offset_tEEE10hipError_tPvRmT1_PNSt15iterator_traitsISZ_E10value_typeET2_T3_PNS10_IS15_E10value_typeET4_jRbjT5_S1B_jjP12ihipStream_tbEUljE_EEESW_SX_SY_S15_S19_S1B_T6_T7_T9_mT8_S1D_bDpT10_ENKUlT_T0_E_clISt17integral_constantIbLb0EES1Q_EEDaS1L_S1M_EUlS1L_E_NS1_11comp_targetILNS1_3genE4ELNS1_11target_archE910ELNS1_3gpuE8ELNS1_3repE0EEENS1_30default_config_static_selectorELNS0_4arch9wavefront6targetE1EEEvSZ_,"axG",@progbits,_ZN7rocprim17ROCPRIM_400000_NS6detail17trampoline_kernelINS0_13select_configILj256ELj13ELNS0_17block_load_methodE3ELS4_3ELS4_3ELNS0_20block_scan_algorithmE0ELj4294967295EEENS1_25partition_config_selectorILNS1_17partition_subalgoE3EjNS0_10empty_typeEbEEZZNS1_14partition_implILS8_3ELb0ES6_jNS0_17counting_iteratorIjlEEPS9_SE_NS0_5tupleIJPjSE_EEENSF_IJSE_SE_EEES9_SG_JZNS1_25segmented_radix_sort_implINS0_14default_configELb1EPK12hip_bfloat16PSL_PKlPlN2at6native12_GLOBAL__N_18offset_tEEE10hipError_tPvRmT1_PNSt15iterator_traitsISZ_E10value_typeET2_T3_PNS10_IS15_E10value_typeET4_jRbjT5_S1B_jjP12ihipStream_tbEUljE_EEESW_SX_SY_S15_S19_S1B_T6_T7_T9_mT8_S1D_bDpT10_ENKUlT_T0_E_clISt17integral_constantIbLb0EES1Q_EEDaS1L_S1M_EUlS1L_E_NS1_11comp_targetILNS1_3genE4ELNS1_11target_archE910ELNS1_3gpuE8ELNS1_3repE0EEENS1_30default_config_static_selectorELNS0_4arch9wavefront6targetE1EEEvSZ_,comdat
	.globl	_ZN7rocprim17ROCPRIM_400000_NS6detail17trampoline_kernelINS0_13select_configILj256ELj13ELNS0_17block_load_methodE3ELS4_3ELS4_3ELNS0_20block_scan_algorithmE0ELj4294967295EEENS1_25partition_config_selectorILNS1_17partition_subalgoE3EjNS0_10empty_typeEbEEZZNS1_14partition_implILS8_3ELb0ES6_jNS0_17counting_iteratorIjlEEPS9_SE_NS0_5tupleIJPjSE_EEENSF_IJSE_SE_EEES9_SG_JZNS1_25segmented_radix_sort_implINS0_14default_configELb1EPK12hip_bfloat16PSL_PKlPlN2at6native12_GLOBAL__N_18offset_tEEE10hipError_tPvRmT1_PNSt15iterator_traitsISZ_E10value_typeET2_T3_PNS10_IS15_E10value_typeET4_jRbjT5_S1B_jjP12ihipStream_tbEUljE_EEESW_SX_SY_S15_S19_S1B_T6_T7_T9_mT8_S1D_bDpT10_ENKUlT_T0_E_clISt17integral_constantIbLb0EES1Q_EEDaS1L_S1M_EUlS1L_E_NS1_11comp_targetILNS1_3genE4ELNS1_11target_archE910ELNS1_3gpuE8ELNS1_3repE0EEENS1_30default_config_static_selectorELNS0_4arch9wavefront6targetE1EEEvSZ_ ; -- Begin function _ZN7rocprim17ROCPRIM_400000_NS6detail17trampoline_kernelINS0_13select_configILj256ELj13ELNS0_17block_load_methodE3ELS4_3ELS4_3ELNS0_20block_scan_algorithmE0ELj4294967295EEENS1_25partition_config_selectorILNS1_17partition_subalgoE3EjNS0_10empty_typeEbEEZZNS1_14partition_implILS8_3ELb0ES6_jNS0_17counting_iteratorIjlEEPS9_SE_NS0_5tupleIJPjSE_EEENSF_IJSE_SE_EEES9_SG_JZNS1_25segmented_radix_sort_implINS0_14default_configELb1EPK12hip_bfloat16PSL_PKlPlN2at6native12_GLOBAL__N_18offset_tEEE10hipError_tPvRmT1_PNSt15iterator_traitsISZ_E10value_typeET2_T3_PNS10_IS15_E10value_typeET4_jRbjT5_S1B_jjP12ihipStream_tbEUljE_EEESW_SX_SY_S15_S19_S1B_T6_T7_T9_mT8_S1D_bDpT10_ENKUlT_T0_E_clISt17integral_constantIbLb0EES1Q_EEDaS1L_S1M_EUlS1L_E_NS1_11comp_targetILNS1_3genE4ELNS1_11target_archE910ELNS1_3gpuE8ELNS1_3repE0EEENS1_30default_config_static_selectorELNS0_4arch9wavefront6targetE1EEEvSZ_
	.p2align	8
	.type	_ZN7rocprim17ROCPRIM_400000_NS6detail17trampoline_kernelINS0_13select_configILj256ELj13ELNS0_17block_load_methodE3ELS4_3ELS4_3ELNS0_20block_scan_algorithmE0ELj4294967295EEENS1_25partition_config_selectorILNS1_17partition_subalgoE3EjNS0_10empty_typeEbEEZZNS1_14partition_implILS8_3ELb0ES6_jNS0_17counting_iteratorIjlEEPS9_SE_NS0_5tupleIJPjSE_EEENSF_IJSE_SE_EEES9_SG_JZNS1_25segmented_radix_sort_implINS0_14default_configELb1EPK12hip_bfloat16PSL_PKlPlN2at6native12_GLOBAL__N_18offset_tEEE10hipError_tPvRmT1_PNSt15iterator_traitsISZ_E10value_typeET2_T3_PNS10_IS15_E10value_typeET4_jRbjT5_S1B_jjP12ihipStream_tbEUljE_EEESW_SX_SY_S15_S19_S1B_T6_T7_T9_mT8_S1D_bDpT10_ENKUlT_T0_E_clISt17integral_constantIbLb0EES1Q_EEDaS1L_S1M_EUlS1L_E_NS1_11comp_targetILNS1_3genE4ELNS1_11target_archE910ELNS1_3gpuE8ELNS1_3repE0EEENS1_30default_config_static_selectorELNS0_4arch9wavefront6targetE1EEEvSZ_,@function
_ZN7rocprim17ROCPRIM_400000_NS6detail17trampoline_kernelINS0_13select_configILj256ELj13ELNS0_17block_load_methodE3ELS4_3ELS4_3ELNS0_20block_scan_algorithmE0ELj4294967295EEENS1_25partition_config_selectorILNS1_17partition_subalgoE3EjNS0_10empty_typeEbEEZZNS1_14partition_implILS8_3ELb0ES6_jNS0_17counting_iteratorIjlEEPS9_SE_NS0_5tupleIJPjSE_EEENSF_IJSE_SE_EEES9_SG_JZNS1_25segmented_radix_sort_implINS0_14default_configELb1EPK12hip_bfloat16PSL_PKlPlN2at6native12_GLOBAL__N_18offset_tEEE10hipError_tPvRmT1_PNSt15iterator_traitsISZ_E10value_typeET2_T3_PNS10_IS15_E10value_typeET4_jRbjT5_S1B_jjP12ihipStream_tbEUljE_EEESW_SX_SY_S15_S19_S1B_T6_T7_T9_mT8_S1D_bDpT10_ENKUlT_T0_E_clISt17integral_constantIbLb0EES1Q_EEDaS1L_S1M_EUlS1L_E_NS1_11comp_targetILNS1_3genE4ELNS1_11target_archE910ELNS1_3gpuE8ELNS1_3repE0EEENS1_30default_config_static_selectorELNS0_4arch9wavefront6targetE1EEEvSZ_: ; @_ZN7rocprim17ROCPRIM_400000_NS6detail17trampoline_kernelINS0_13select_configILj256ELj13ELNS0_17block_load_methodE3ELS4_3ELS4_3ELNS0_20block_scan_algorithmE0ELj4294967295EEENS1_25partition_config_selectorILNS1_17partition_subalgoE3EjNS0_10empty_typeEbEEZZNS1_14partition_implILS8_3ELb0ES6_jNS0_17counting_iteratorIjlEEPS9_SE_NS0_5tupleIJPjSE_EEENSF_IJSE_SE_EEES9_SG_JZNS1_25segmented_radix_sort_implINS0_14default_configELb1EPK12hip_bfloat16PSL_PKlPlN2at6native12_GLOBAL__N_18offset_tEEE10hipError_tPvRmT1_PNSt15iterator_traitsISZ_E10value_typeET2_T3_PNS10_IS15_E10value_typeET4_jRbjT5_S1B_jjP12ihipStream_tbEUljE_EEESW_SX_SY_S15_S19_S1B_T6_T7_T9_mT8_S1D_bDpT10_ENKUlT_T0_E_clISt17integral_constantIbLb0EES1Q_EEDaS1L_S1M_EUlS1L_E_NS1_11comp_targetILNS1_3genE4ELNS1_11target_archE910ELNS1_3gpuE8ELNS1_3repE0EEENS1_30default_config_static_selectorELNS0_4arch9wavefront6targetE1EEEvSZ_
; %bb.0:
	.section	.rodata,"a",@progbits
	.p2align	6, 0x0
	.amdhsa_kernel _ZN7rocprim17ROCPRIM_400000_NS6detail17trampoline_kernelINS0_13select_configILj256ELj13ELNS0_17block_load_methodE3ELS4_3ELS4_3ELNS0_20block_scan_algorithmE0ELj4294967295EEENS1_25partition_config_selectorILNS1_17partition_subalgoE3EjNS0_10empty_typeEbEEZZNS1_14partition_implILS8_3ELb0ES6_jNS0_17counting_iteratorIjlEEPS9_SE_NS0_5tupleIJPjSE_EEENSF_IJSE_SE_EEES9_SG_JZNS1_25segmented_radix_sort_implINS0_14default_configELb1EPK12hip_bfloat16PSL_PKlPlN2at6native12_GLOBAL__N_18offset_tEEE10hipError_tPvRmT1_PNSt15iterator_traitsISZ_E10value_typeET2_T3_PNS10_IS15_E10value_typeET4_jRbjT5_S1B_jjP12ihipStream_tbEUljE_EEESW_SX_SY_S15_S19_S1B_T6_T7_T9_mT8_S1D_bDpT10_ENKUlT_T0_E_clISt17integral_constantIbLb0EES1Q_EEDaS1L_S1M_EUlS1L_E_NS1_11comp_targetILNS1_3genE4ELNS1_11target_archE910ELNS1_3gpuE8ELNS1_3repE0EEENS1_30default_config_static_selectorELNS0_4arch9wavefront6targetE1EEEvSZ_
		.amdhsa_group_segment_fixed_size 0
		.amdhsa_private_segment_fixed_size 0
		.amdhsa_kernarg_size 144
		.amdhsa_user_sgpr_count 6
		.amdhsa_user_sgpr_private_segment_buffer 1
		.amdhsa_user_sgpr_dispatch_ptr 0
		.amdhsa_user_sgpr_queue_ptr 0
		.amdhsa_user_sgpr_kernarg_segment_ptr 1
		.amdhsa_user_sgpr_dispatch_id 0
		.amdhsa_user_sgpr_flat_scratch_init 0
		.amdhsa_user_sgpr_private_segment_size 0
		.amdhsa_uses_dynamic_stack 0
		.amdhsa_system_sgpr_private_segment_wavefront_offset 0
		.amdhsa_system_sgpr_workgroup_id_x 1
		.amdhsa_system_sgpr_workgroup_id_y 0
		.amdhsa_system_sgpr_workgroup_id_z 0
		.amdhsa_system_sgpr_workgroup_info 0
		.amdhsa_system_vgpr_workitem_id 0
		.amdhsa_next_free_vgpr 1
		.amdhsa_next_free_sgpr 0
		.amdhsa_reserve_vcc 0
		.amdhsa_reserve_flat_scratch 0
		.amdhsa_float_round_mode_32 0
		.amdhsa_float_round_mode_16_64 0
		.amdhsa_float_denorm_mode_32 3
		.amdhsa_float_denorm_mode_16_64 3
		.amdhsa_dx10_clamp 1
		.amdhsa_ieee_mode 1
		.amdhsa_fp16_overflow 0
		.amdhsa_exception_fp_ieee_invalid_op 0
		.amdhsa_exception_fp_denorm_src 0
		.amdhsa_exception_fp_ieee_div_zero 0
		.amdhsa_exception_fp_ieee_overflow 0
		.amdhsa_exception_fp_ieee_underflow 0
		.amdhsa_exception_fp_ieee_inexact 0
		.amdhsa_exception_int_div_zero 0
	.end_amdhsa_kernel
	.section	.text._ZN7rocprim17ROCPRIM_400000_NS6detail17trampoline_kernelINS0_13select_configILj256ELj13ELNS0_17block_load_methodE3ELS4_3ELS4_3ELNS0_20block_scan_algorithmE0ELj4294967295EEENS1_25partition_config_selectorILNS1_17partition_subalgoE3EjNS0_10empty_typeEbEEZZNS1_14partition_implILS8_3ELb0ES6_jNS0_17counting_iteratorIjlEEPS9_SE_NS0_5tupleIJPjSE_EEENSF_IJSE_SE_EEES9_SG_JZNS1_25segmented_radix_sort_implINS0_14default_configELb1EPK12hip_bfloat16PSL_PKlPlN2at6native12_GLOBAL__N_18offset_tEEE10hipError_tPvRmT1_PNSt15iterator_traitsISZ_E10value_typeET2_T3_PNS10_IS15_E10value_typeET4_jRbjT5_S1B_jjP12ihipStream_tbEUljE_EEESW_SX_SY_S15_S19_S1B_T6_T7_T9_mT8_S1D_bDpT10_ENKUlT_T0_E_clISt17integral_constantIbLb0EES1Q_EEDaS1L_S1M_EUlS1L_E_NS1_11comp_targetILNS1_3genE4ELNS1_11target_archE910ELNS1_3gpuE8ELNS1_3repE0EEENS1_30default_config_static_selectorELNS0_4arch9wavefront6targetE1EEEvSZ_,"axG",@progbits,_ZN7rocprim17ROCPRIM_400000_NS6detail17trampoline_kernelINS0_13select_configILj256ELj13ELNS0_17block_load_methodE3ELS4_3ELS4_3ELNS0_20block_scan_algorithmE0ELj4294967295EEENS1_25partition_config_selectorILNS1_17partition_subalgoE3EjNS0_10empty_typeEbEEZZNS1_14partition_implILS8_3ELb0ES6_jNS0_17counting_iteratorIjlEEPS9_SE_NS0_5tupleIJPjSE_EEENSF_IJSE_SE_EEES9_SG_JZNS1_25segmented_radix_sort_implINS0_14default_configELb1EPK12hip_bfloat16PSL_PKlPlN2at6native12_GLOBAL__N_18offset_tEEE10hipError_tPvRmT1_PNSt15iterator_traitsISZ_E10value_typeET2_T3_PNS10_IS15_E10value_typeET4_jRbjT5_S1B_jjP12ihipStream_tbEUljE_EEESW_SX_SY_S15_S19_S1B_T6_T7_T9_mT8_S1D_bDpT10_ENKUlT_T0_E_clISt17integral_constantIbLb0EES1Q_EEDaS1L_S1M_EUlS1L_E_NS1_11comp_targetILNS1_3genE4ELNS1_11target_archE910ELNS1_3gpuE8ELNS1_3repE0EEENS1_30default_config_static_selectorELNS0_4arch9wavefront6targetE1EEEvSZ_,comdat
.Lfunc_end1916:
	.size	_ZN7rocprim17ROCPRIM_400000_NS6detail17trampoline_kernelINS0_13select_configILj256ELj13ELNS0_17block_load_methodE3ELS4_3ELS4_3ELNS0_20block_scan_algorithmE0ELj4294967295EEENS1_25partition_config_selectorILNS1_17partition_subalgoE3EjNS0_10empty_typeEbEEZZNS1_14partition_implILS8_3ELb0ES6_jNS0_17counting_iteratorIjlEEPS9_SE_NS0_5tupleIJPjSE_EEENSF_IJSE_SE_EEES9_SG_JZNS1_25segmented_radix_sort_implINS0_14default_configELb1EPK12hip_bfloat16PSL_PKlPlN2at6native12_GLOBAL__N_18offset_tEEE10hipError_tPvRmT1_PNSt15iterator_traitsISZ_E10value_typeET2_T3_PNS10_IS15_E10value_typeET4_jRbjT5_S1B_jjP12ihipStream_tbEUljE_EEESW_SX_SY_S15_S19_S1B_T6_T7_T9_mT8_S1D_bDpT10_ENKUlT_T0_E_clISt17integral_constantIbLb0EES1Q_EEDaS1L_S1M_EUlS1L_E_NS1_11comp_targetILNS1_3genE4ELNS1_11target_archE910ELNS1_3gpuE8ELNS1_3repE0EEENS1_30default_config_static_selectorELNS0_4arch9wavefront6targetE1EEEvSZ_, .Lfunc_end1916-_ZN7rocprim17ROCPRIM_400000_NS6detail17trampoline_kernelINS0_13select_configILj256ELj13ELNS0_17block_load_methodE3ELS4_3ELS4_3ELNS0_20block_scan_algorithmE0ELj4294967295EEENS1_25partition_config_selectorILNS1_17partition_subalgoE3EjNS0_10empty_typeEbEEZZNS1_14partition_implILS8_3ELb0ES6_jNS0_17counting_iteratorIjlEEPS9_SE_NS0_5tupleIJPjSE_EEENSF_IJSE_SE_EEES9_SG_JZNS1_25segmented_radix_sort_implINS0_14default_configELb1EPK12hip_bfloat16PSL_PKlPlN2at6native12_GLOBAL__N_18offset_tEEE10hipError_tPvRmT1_PNSt15iterator_traitsISZ_E10value_typeET2_T3_PNS10_IS15_E10value_typeET4_jRbjT5_S1B_jjP12ihipStream_tbEUljE_EEESW_SX_SY_S15_S19_S1B_T6_T7_T9_mT8_S1D_bDpT10_ENKUlT_T0_E_clISt17integral_constantIbLb0EES1Q_EEDaS1L_S1M_EUlS1L_E_NS1_11comp_targetILNS1_3genE4ELNS1_11target_archE910ELNS1_3gpuE8ELNS1_3repE0EEENS1_30default_config_static_selectorELNS0_4arch9wavefront6targetE1EEEvSZ_
                                        ; -- End function
	.set _ZN7rocprim17ROCPRIM_400000_NS6detail17trampoline_kernelINS0_13select_configILj256ELj13ELNS0_17block_load_methodE3ELS4_3ELS4_3ELNS0_20block_scan_algorithmE0ELj4294967295EEENS1_25partition_config_selectorILNS1_17partition_subalgoE3EjNS0_10empty_typeEbEEZZNS1_14partition_implILS8_3ELb0ES6_jNS0_17counting_iteratorIjlEEPS9_SE_NS0_5tupleIJPjSE_EEENSF_IJSE_SE_EEES9_SG_JZNS1_25segmented_radix_sort_implINS0_14default_configELb1EPK12hip_bfloat16PSL_PKlPlN2at6native12_GLOBAL__N_18offset_tEEE10hipError_tPvRmT1_PNSt15iterator_traitsISZ_E10value_typeET2_T3_PNS10_IS15_E10value_typeET4_jRbjT5_S1B_jjP12ihipStream_tbEUljE_EEESW_SX_SY_S15_S19_S1B_T6_T7_T9_mT8_S1D_bDpT10_ENKUlT_T0_E_clISt17integral_constantIbLb0EES1Q_EEDaS1L_S1M_EUlS1L_E_NS1_11comp_targetILNS1_3genE4ELNS1_11target_archE910ELNS1_3gpuE8ELNS1_3repE0EEENS1_30default_config_static_selectorELNS0_4arch9wavefront6targetE1EEEvSZ_.num_vgpr, 0
	.set _ZN7rocprim17ROCPRIM_400000_NS6detail17trampoline_kernelINS0_13select_configILj256ELj13ELNS0_17block_load_methodE3ELS4_3ELS4_3ELNS0_20block_scan_algorithmE0ELj4294967295EEENS1_25partition_config_selectorILNS1_17partition_subalgoE3EjNS0_10empty_typeEbEEZZNS1_14partition_implILS8_3ELb0ES6_jNS0_17counting_iteratorIjlEEPS9_SE_NS0_5tupleIJPjSE_EEENSF_IJSE_SE_EEES9_SG_JZNS1_25segmented_radix_sort_implINS0_14default_configELb1EPK12hip_bfloat16PSL_PKlPlN2at6native12_GLOBAL__N_18offset_tEEE10hipError_tPvRmT1_PNSt15iterator_traitsISZ_E10value_typeET2_T3_PNS10_IS15_E10value_typeET4_jRbjT5_S1B_jjP12ihipStream_tbEUljE_EEESW_SX_SY_S15_S19_S1B_T6_T7_T9_mT8_S1D_bDpT10_ENKUlT_T0_E_clISt17integral_constantIbLb0EES1Q_EEDaS1L_S1M_EUlS1L_E_NS1_11comp_targetILNS1_3genE4ELNS1_11target_archE910ELNS1_3gpuE8ELNS1_3repE0EEENS1_30default_config_static_selectorELNS0_4arch9wavefront6targetE1EEEvSZ_.num_agpr, 0
	.set _ZN7rocprim17ROCPRIM_400000_NS6detail17trampoline_kernelINS0_13select_configILj256ELj13ELNS0_17block_load_methodE3ELS4_3ELS4_3ELNS0_20block_scan_algorithmE0ELj4294967295EEENS1_25partition_config_selectorILNS1_17partition_subalgoE3EjNS0_10empty_typeEbEEZZNS1_14partition_implILS8_3ELb0ES6_jNS0_17counting_iteratorIjlEEPS9_SE_NS0_5tupleIJPjSE_EEENSF_IJSE_SE_EEES9_SG_JZNS1_25segmented_radix_sort_implINS0_14default_configELb1EPK12hip_bfloat16PSL_PKlPlN2at6native12_GLOBAL__N_18offset_tEEE10hipError_tPvRmT1_PNSt15iterator_traitsISZ_E10value_typeET2_T3_PNS10_IS15_E10value_typeET4_jRbjT5_S1B_jjP12ihipStream_tbEUljE_EEESW_SX_SY_S15_S19_S1B_T6_T7_T9_mT8_S1D_bDpT10_ENKUlT_T0_E_clISt17integral_constantIbLb0EES1Q_EEDaS1L_S1M_EUlS1L_E_NS1_11comp_targetILNS1_3genE4ELNS1_11target_archE910ELNS1_3gpuE8ELNS1_3repE0EEENS1_30default_config_static_selectorELNS0_4arch9wavefront6targetE1EEEvSZ_.numbered_sgpr, 0
	.set _ZN7rocprim17ROCPRIM_400000_NS6detail17trampoline_kernelINS0_13select_configILj256ELj13ELNS0_17block_load_methodE3ELS4_3ELS4_3ELNS0_20block_scan_algorithmE0ELj4294967295EEENS1_25partition_config_selectorILNS1_17partition_subalgoE3EjNS0_10empty_typeEbEEZZNS1_14partition_implILS8_3ELb0ES6_jNS0_17counting_iteratorIjlEEPS9_SE_NS0_5tupleIJPjSE_EEENSF_IJSE_SE_EEES9_SG_JZNS1_25segmented_radix_sort_implINS0_14default_configELb1EPK12hip_bfloat16PSL_PKlPlN2at6native12_GLOBAL__N_18offset_tEEE10hipError_tPvRmT1_PNSt15iterator_traitsISZ_E10value_typeET2_T3_PNS10_IS15_E10value_typeET4_jRbjT5_S1B_jjP12ihipStream_tbEUljE_EEESW_SX_SY_S15_S19_S1B_T6_T7_T9_mT8_S1D_bDpT10_ENKUlT_T0_E_clISt17integral_constantIbLb0EES1Q_EEDaS1L_S1M_EUlS1L_E_NS1_11comp_targetILNS1_3genE4ELNS1_11target_archE910ELNS1_3gpuE8ELNS1_3repE0EEENS1_30default_config_static_selectorELNS0_4arch9wavefront6targetE1EEEvSZ_.num_named_barrier, 0
	.set _ZN7rocprim17ROCPRIM_400000_NS6detail17trampoline_kernelINS0_13select_configILj256ELj13ELNS0_17block_load_methodE3ELS4_3ELS4_3ELNS0_20block_scan_algorithmE0ELj4294967295EEENS1_25partition_config_selectorILNS1_17partition_subalgoE3EjNS0_10empty_typeEbEEZZNS1_14partition_implILS8_3ELb0ES6_jNS0_17counting_iteratorIjlEEPS9_SE_NS0_5tupleIJPjSE_EEENSF_IJSE_SE_EEES9_SG_JZNS1_25segmented_radix_sort_implINS0_14default_configELb1EPK12hip_bfloat16PSL_PKlPlN2at6native12_GLOBAL__N_18offset_tEEE10hipError_tPvRmT1_PNSt15iterator_traitsISZ_E10value_typeET2_T3_PNS10_IS15_E10value_typeET4_jRbjT5_S1B_jjP12ihipStream_tbEUljE_EEESW_SX_SY_S15_S19_S1B_T6_T7_T9_mT8_S1D_bDpT10_ENKUlT_T0_E_clISt17integral_constantIbLb0EES1Q_EEDaS1L_S1M_EUlS1L_E_NS1_11comp_targetILNS1_3genE4ELNS1_11target_archE910ELNS1_3gpuE8ELNS1_3repE0EEENS1_30default_config_static_selectorELNS0_4arch9wavefront6targetE1EEEvSZ_.private_seg_size, 0
	.set _ZN7rocprim17ROCPRIM_400000_NS6detail17trampoline_kernelINS0_13select_configILj256ELj13ELNS0_17block_load_methodE3ELS4_3ELS4_3ELNS0_20block_scan_algorithmE0ELj4294967295EEENS1_25partition_config_selectorILNS1_17partition_subalgoE3EjNS0_10empty_typeEbEEZZNS1_14partition_implILS8_3ELb0ES6_jNS0_17counting_iteratorIjlEEPS9_SE_NS0_5tupleIJPjSE_EEENSF_IJSE_SE_EEES9_SG_JZNS1_25segmented_radix_sort_implINS0_14default_configELb1EPK12hip_bfloat16PSL_PKlPlN2at6native12_GLOBAL__N_18offset_tEEE10hipError_tPvRmT1_PNSt15iterator_traitsISZ_E10value_typeET2_T3_PNS10_IS15_E10value_typeET4_jRbjT5_S1B_jjP12ihipStream_tbEUljE_EEESW_SX_SY_S15_S19_S1B_T6_T7_T9_mT8_S1D_bDpT10_ENKUlT_T0_E_clISt17integral_constantIbLb0EES1Q_EEDaS1L_S1M_EUlS1L_E_NS1_11comp_targetILNS1_3genE4ELNS1_11target_archE910ELNS1_3gpuE8ELNS1_3repE0EEENS1_30default_config_static_selectorELNS0_4arch9wavefront6targetE1EEEvSZ_.uses_vcc, 0
	.set _ZN7rocprim17ROCPRIM_400000_NS6detail17trampoline_kernelINS0_13select_configILj256ELj13ELNS0_17block_load_methodE3ELS4_3ELS4_3ELNS0_20block_scan_algorithmE0ELj4294967295EEENS1_25partition_config_selectorILNS1_17partition_subalgoE3EjNS0_10empty_typeEbEEZZNS1_14partition_implILS8_3ELb0ES6_jNS0_17counting_iteratorIjlEEPS9_SE_NS0_5tupleIJPjSE_EEENSF_IJSE_SE_EEES9_SG_JZNS1_25segmented_radix_sort_implINS0_14default_configELb1EPK12hip_bfloat16PSL_PKlPlN2at6native12_GLOBAL__N_18offset_tEEE10hipError_tPvRmT1_PNSt15iterator_traitsISZ_E10value_typeET2_T3_PNS10_IS15_E10value_typeET4_jRbjT5_S1B_jjP12ihipStream_tbEUljE_EEESW_SX_SY_S15_S19_S1B_T6_T7_T9_mT8_S1D_bDpT10_ENKUlT_T0_E_clISt17integral_constantIbLb0EES1Q_EEDaS1L_S1M_EUlS1L_E_NS1_11comp_targetILNS1_3genE4ELNS1_11target_archE910ELNS1_3gpuE8ELNS1_3repE0EEENS1_30default_config_static_selectorELNS0_4arch9wavefront6targetE1EEEvSZ_.uses_flat_scratch, 0
	.set _ZN7rocprim17ROCPRIM_400000_NS6detail17trampoline_kernelINS0_13select_configILj256ELj13ELNS0_17block_load_methodE3ELS4_3ELS4_3ELNS0_20block_scan_algorithmE0ELj4294967295EEENS1_25partition_config_selectorILNS1_17partition_subalgoE3EjNS0_10empty_typeEbEEZZNS1_14partition_implILS8_3ELb0ES6_jNS0_17counting_iteratorIjlEEPS9_SE_NS0_5tupleIJPjSE_EEENSF_IJSE_SE_EEES9_SG_JZNS1_25segmented_radix_sort_implINS0_14default_configELb1EPK12hip_bfloat16PSL_PKlPlN2at6native12_GLOBAL__N_18offset_tEEE10hipError_tPvRmT1_PNSt15iterator_traitsISZ_E10value_typeET2_T3_PNS10_IS15_E10value_typeET4_jRbjT5_S1B_jjP12ihipStream_tbEUljE_EEESW_SX_SY_S15_S19_S1B_T6_T7_T9_mT8_S1D_bDpT10_ENKUlT_T0_E_clISt17integral_constantIbLb0EES1Q_EEDaS1L_S1M_EUlS1L_E_NS1_11comp_targetILNS1_3genE4ELNS1_11target_archE910ELNS1_3gpuE8ELNS1_3repE0EEENS1_30default_config_static_selectorELNS0_4arch9wavefront6targetE1EEEvSZ_.has_dyn_sized_stack, 0
	.set _ZN7rocprim17ROCPRIM_400000_NS6detail17trampoline_kernelINS0_13select_configILj256ELj13ELNS0_17block_load_methodE3ELS4_3ELS4_3ELNS0_20block_scan_algorithmE0ELj4294967295EEENS1_25partition_config_selectorILNS1_17partition_subalgoE3EjNS0_10empty_typeEbEEZZNS1_14partition_implILS8_3ELb0ES6_jNS0_17counting_iteratorIjlEEPS9_SE_NS0_5tupleIJPjSE_EEENSF_IJSE_SE_EEES9_SG_JZNS1_25segmented_radix_sort_implINS0_14default_configELb1EPK12hip_bfloat16PSL_PKlPlN2at6native12_GLOBAL__N_18offset_tEEE10hipError_tPvRmT1_PNSt15iterator_traitsISZ_E10value_typeET2_T3_PNS10_IS15_E10value_typeET4_jRbjT5_S1B_jjP12ihipStream_tbEUljE_EEESW_SX_SY_S15_S19_S1B_T6_T7_T9_mT8_S1D_bDpT10_ENKUlT_T0_E_clISt17integral_constantIbLb0EES1Q_EEDaS1L_S1M_EUlS1L_E_NS1_11comp_targetILNS1_3genE4ELNS1_11target_archE910ELNS1_3gpuE8ELNS1_3repE0EEENS1_30default_config_static_selectorELNS0_4arch9wavefront6targetE1EEEvSZ_.has_recursion, 0
	.set _ZN7rocprim17ROCPRIM_400000_NS6detail17trampoline_kernelINS0_13select_configILj256ELj13ELNS0_17block_load_methodE3ELS4_3ELS4_3ELNS0_20block_scan_algorithmE0ELj4294967295EEENS1_25partition_config_selectorILNS1_17partition_subalgoE3EjNS0_10empty_typeEbEEZZNS1_14partition_implILS8_3ELb0ES6_jNS0_17counting_iteratorIjlEEPS9_SE_NS0_5tupleIJPjSE_EEENSF_IJSE_SE_EEES9_SG_JZNS1_25segmented_radix_sort_implINS0_14default_configELb1EPK12hip_bfloat16PSL_PKlPlN2at6native12_GLOBAL__N_18offset_tEEE10hipError_tPvRmT1_PNSt15iterator_traitsISZ_E10value_typeET2_T3_PNS10_IS15_E10value_typeET4_jRbjT5_S1B_jjP12ihipStream_tbEUljE_EEESW_SX_SY_S15_S19_S1B_T6_T7_T9_mT8_S1D_bDpT10_ENKUlT_T0_E_clISt17integral_constantIbLb0EES1Q_EEDaS1L_S1M_EUlS1L_E_NS1_11comp_targetILNS1_3genE4ELNS1_11target_archE910ELNS1_3gpuE8ELNS1_3repE0EEENS1_30default_config_static_selectorELNS0_4arch9wavefront6targetE1EEEvSZ_.has_indirect_call, 0
	.section	.AMDGPU.csdata,"",@progbits
; Kernel info:
; codeLenInByte = 0
; TotalNumSgprs: 4
; NumVgprs: 0
; ScratchSize: 0
; MemoryBound: 0
; FloatMode: 240
; IeeeMode: 1
; LDSByteSize: 0 bytes/workgroup (compile time only)
; SGPRBlocks: 0
; VGPRBlocks: 0
; NumSGPRsForWavesPerEU: 4
; NumVGPRsForWavesPerEU: 1
; Occupancy: 10
; WaveLimiterHint : 0
; COMPUTE_PGM_RSRC2:SCRATCH_EN: 0
; COMPUTE_PGM_RSRC2:USER_SGPR: 6
; COMPUTE_PGM_RSRC2:TRAP_HANDLER: 0
; COMPUTE_PGM_RSRC2:TGID_X_EN: 1
; COMPUTE_PGM_RSRC2:TGID_Y_EN: 0
; COMPUTE_PGM_RSRC2:TGID_Z_EN: 0
; COMPUTE_PGM_RSRC2:TIDIG_COMP_CNT: 0
	.section	.text._ZN7rocprim17ROCPRIM_400000_NS6detail17trampoline_kernelINS0_13select_configILj256ELj13ELNS0_17block_load_methodE3ELS4_3ELS4_3ELNS0_20block_scan_algorithmE0ELj4294967295EEENS1_25partition_config_selectorILNS1_17partition_subalgoE3EjNS0_10empty_typeEbEEZZNS1_14partition_implILS8_3ELb0ES6_jNS0_17counting_iteratorIjlEEPS9_SE_NS0_5tupleIJPjSE_EEENSF_IJSE_SE_EEES9_SG_JZNS1_25segmented_radix_sort_implINS0_14default_configELb1EPK12hip_bfloat16PSL_PKlPlN2at6native12_GLOBAL__N_18offset_tEEE10hipError_tPvRmT1_PNSt15iterator_traitsISZ_E10value_typeET2_T3_PNS10_IS15_E10value_typeET4_jRbjT5_S1B_jjP12ihipStream_tbEUljE_EEESW_SX_SY_S15_S19_S1B_T6_T7_T9_mT8_S1D_bDpT10_ENKUlT_T0_E_clISt17integral_constantIbLb0EES1Q_EEDaS1L_S1M_EUlS1L_E_NS1_11comp_targetILNS1_3genE3ELNS1_11target_archE908ELNS1_3gpuE7ELNS1_3repE0EEENS1_30default_config_static_selectorELNS0_4arch9wavefront6targetE1EEEvSZ_,"axG",@progbits,_ZN7rocprim17ROCPRIM_400000_NS6detail17trampoline_kernelINS0_13select_configILj256ELj13ELNS0_17block_load_methodE3ELS4_3ELS4_3ELNS0_20block_scan_algorithmE0ELj4294967295EEENS1_25partition_config_selectorILNS1_17partition_subalgoE3EjNS0_10empty_typeEbEEZZNS1_14partition_implILS8_3ELb0ES6_jNS0_17counting_iteratorIjlEEPS9_SE_NS0_5tupleIJPjSE_EEENSF_IJSE_SE_EEES9_SG_JZNS1_25segmented_radix_sort_implINS0_14default_configELb1EPK12hip_bfloat16PSL_PKlPlN2at6native12_GLOBAL__N_18offset_tEEE10hipError_tPvRmT1_PNSt15iterator_traitsISZ_E10value_typeET2_T3_PNS10_IS15_E10value_typeET4_jRbjT5_S1B_jjP12ihipStream_tbEUljE_EEESW_SX_SY_S15_S19_S1B_T6_T7_T9_mT8_S1D_bDpT10_ENKUlT_T0_E_clISt17integral_constantIbLb0EES1Q_EEDaS1L_S1M_EUlS1L_E_NS1_11comp_targetILNS1_3genE3ELNS1_11target_archE908ELNS1_3gpuE7ELNS1_3repE0EEENS1_30default_config_static_selectorELNS0_4arch9wavefront6targetE1EEEvSZ_,comdat
	.globl	_ZN7rocprim17ROCPRIM_400000_NS6detail17trampoline_kernelINS0_13select_configILj256ELj13ELNS0_17block_load_methodE3ELS4_3ELS4_3ELNS0_20block_scan_algorithmE0ELj4294967295EEENS1_25partition_config_selectorILNS1_17partition_subalgoE3EjNS0_10empty_typeEbEEZZNS1_14partition_implILS8_3ELb0ES6_jNS0_17counting_iteratorIjlEEPS9_SE_NS0_5tupleIJPjSE_EEENSF_IJSE_SE_EEES9_SG_JZNS1_25segmented_radix_sort_implINS0_14default_configELb1EPK12hip_bfloat16PSL_PKlPlN2at6native12_GLOBAL__N_18offset_tEEE10hipError_tPvRmT1_PNSt15iterator_traitsISZ_E10value_typeET2_T3_PNS10_IS15_E10value_typeET4_jRbjT5_S1B_jjP12ihipStream_tbEUljE_EEESW_SX_SY_S15_S19_S1B_T6_T7_T9_mT8_S1D_bDpT10_ENKUlT_T0_E_clISt17integral_constantIbLb0EES1Q_EEDaS1L_S1M_EUlS1L_E_NS1_11comp_targetILNS1_3genE3ELNS1_11target_archE908ELNS1_3gpuE7ELNS1_3repE0EEENS1_30default_config_static_selectorELNS0_4arch9wavefront6targetE1EEEvSZ_ ; -- Begin function _ZN7rocprim17ROCPRIM_400000_NS6detail17trampoline_kernelINS0_13select_configILj256ELj13ELNS0_17block_load_methodE3ELS4_3ELS4_3ELNS0_20block_scan_algorithmE0ELj4294967295EEENS1_25partition_config_selectorILNS1_17partition_subalgoE3EjNS0_10empty_typeEbEEZZNS1_14partition_implILS8_3ELb0ES6_jNS0_17counting_iteratorIjlEEPS9_SE_NS0_5tupleIJPjSE_EEENSF_IJSE_SE_EEES9_SG_JZNS1_25segmented_radix_sort_implINS0_14default_configELb1EPK12hip_bfloat16PSL_PKlPlN2at6native12_GLOBAL__N_18offset_tEEE10hipError_tPvRmT1_PNSt15iterator_traitsISZ_E10value_typeET2_T3_PNS10_IS15_E10value_typeET4_jRbjT5_S1B_jjP12ihipStream_tbEUljE_EEESW_SX_SY_S15_S19_S1B_T6_T7_T9_mT8_S1D_bDpT10_ENKUlT_T0_E_clISt17integral_constantIbLb0EES1Q_EEDaS1L_S1M_EUlS1L_E_NS1_11comp_targetILNS1_3genE3ELNS1_11target_archE908ELNS1_3gpuE7ELNS1_3repE0EEENS1_30default_config_static_selectorELNS0_4arch9wavefront6targetE1EEEvSZ_
	.p2align	8
	.type	_ZN7rocprim17ROCPRIM_400000_NS6detail17trampoline_kernelINS0_13select_configILj256ELj13ELNS0_17block_load_methodE3ELS4_3ELS4_3ELNS0_20block_scan_algorithmE0ELj4294967295EEENS1_25partition_config_selectorILNS1_17partition_subalgoE3EjNS0_10empty_typeEbEEZZNS1_14partition_implILS8_3ELb0ES6_jNS0_17counting_iteratorIjlEEPS9_SE_NS0_5tupleIJPjSE_EEENSF_IJSE_SE_EEES9_SG_JZNS1_25segmented_radix_sort_implINS0_14default_configELb1EPK12hip_bfloat16PSL_PKlPlN2at6native12_GLOBAL__N_18offset_tEEE10hipError_tPvRmT1_PNSt15iterator_traitsISZ_E10value_typeET2_T3_PNS10_IS15_E10value_typeET4_jRbjT5_S1B_jjP12ihipStream_tbEUljE_EEESW_SX_SY_S15_S19_S1B_T6_T7_T9_mT8_S1D_bDpT10_ENKUlT_T0_E_clISt17integral_constantIbLb0EES1Q_EEDaS1L_S1M_EUlS1L_E_NS1_11comp_targetILNS1_3genE3ELNS1_11target_archE908ELNS1_3gpuE7ELNS1_3repE0EEENS1_30default_config_static_selectorELNS0_4arch9wavefront6targetE1EEEvSZ_,@function
_ZN7rocprim17ROCPRIM_400000_NS6detail17trampoline_kernelINS0_13select_configILj256ELj13ELNS0_17block_load_methodE3ELS4_3ELS4_3ELNS0_20block_scan_algorithmE0ELj4294967295EEENS1_25partition_config_selectorILNS1_17partition_subalgoE3EjNS0_10empty_typeEbEEZZNS1_14partition_implILS8_3ELb0ES6_jNS0_17counting_iteratorIjlEEPS9_SE_NS0_5tupleIJPjSE_EEENSF_IJSE_SE_EEES9_SG_JZNS1_25segmented_radix_sort_implINS0_14default_configELb1EPK12hip_bfloat16PSL_PKlPlN2at6native12_GLOBAL__N_18offset_tEEE10hipError_tPvRmT1_PNSt15iterator_traitsISZ_E10value_typeET2_T3_PNS10_IS15_E10value_typeET4_jRbjT5_S1B_jjP12ihipStream_tbEUljE_EEESW_SX_SY_S15_S19_S1B_T6_T7_T9_mT8_S1D_bDpT10_ENKUlT_T0_E_clISt17integral_constantIbLb0EES1Q_EEDaS1L_S1M_EUlS1L_E_NS1_11comp_targetILNS1_3genE3ELNS1_11target_archE908ELNS1_3gpuE7ELNS1_3repE0EEENS1_30default_config_static_selectorELNS0_4arch9wavefront6targetE1EEEvSZ_: ; @_ZN7rocprim17ROCPRIM_400000_NS6detail17trampoline_kernelINS0_13select_configILj256ELj13ELNS0_17block_load_methodE3ELS4_3ELS4_3ELNS0_20block_scan_algorithmE0ELj4294967295EEENS1_25partition_config_selectorILNS1_17partition_subalgoE3EjNS0_10empty_typeEbEEZZNS1_14partition_implILS8_3ELb0ES6_jNS0_17counting_iteratorIjlEEPS9_SE_NS0_5tupleIJPjSE_EEENSF_IJSE_SE_EEES9_SG_JZNS1_25segmented_radix_sort_implINS0_14default_configELb1EPK12hip_bfloat16PSL_PKlPlN2at6native12_GLOBAL__N_18offset_tEEE10hipError_tPvRmT1_PNSt15iterator_traitsISZ_E10value_typeET2_T3_PNS10_IS15_E10value_typeET4_jRbjT5_S1B_jjP12ihipStream_tbEUljE_EEESW_SX_SY_S15_S19_S1B_T6_T7_T9_mT8_S1D_bDpT10_ENKUlT_T0_E_clISt17integral_constantIbLb0EES1Q_EEDaS1L_S1M_EUlS1L_E_NS1_11comp_targetILNS1_3genE3ELNS1_11target_archE908ELNS1_3gpuE7ELNS1_3repE0EEENS1_30default_config_static_selectorELNS0_4arch9wavefront6targetE1EEEvSZ_
; %bb.0:
	.section	.rodata,"a",@progbits
	.p2align	6, 0x0
	.amdhsa_kernel _ZN7rocprim17ROCPRIM_400000_NS6detail17trampoline_kernelINS0_13select_configILj256ELj13ELNS0_17block_load_methodE3ELS4_3ELS4_3ELNS0_20block_scan_algorithmE0ELj4294967295EEENS1_25partition_config_selectorILNS1_17partition_subalgoE3EjNS0_10empty_typeEbEEZZNS1_14partition_implILS8_3ELb0ES6_jNS0_17counting_iteratorIjlEEPS9_SE_NS0_5tupleIJPjSE_EEENSF_IJSE_SE_EEES9_SG_JZNS1_25segmented_radix_sort_implINS0_14default_configELb1EPK12hip_bfloat16PSL_PKlPlN2at6native12_GLOBAL__N_18offset_tEEE10hipError_tPvRmT1_PNSt15iterator_traitsISZ_E10value_typeET2_T3_PNS10_IS15_E10value_typeET4_jRbjT5_S1B_jjP12ihipStream_tbEUljE_EEESW_SX_SY_S15_S19_S1B_T6_T7_T9_mT8_S1D_bDpT10_ENKUlT_T0_E_clISt17integral_constantIbLb0EES1Q_EEDaS1L_S1M_EUlS1L_E_NS1_11comp_targetILNS1_3genE3ELNS1_11target_archE908ELNS1_3gpuE7ELNS1_3repE0EEENS1_30default_config_static_selectorELNS0_4arch9wavefront6targetE1EEEvSZ_
		.amdhsa_group_segment_fixed_size 0
		.amdhsa_private_segment_fixed_size 0
		.amdhsa_kernarg_size 144
		.amdhsa_user_sgpr_count 6
		.amdhsa_user_sgpr_private_segment_buffer 1
		.amdhsa_user_sgpr_dispatch_ptr 0
		.amdhsa_user_sgpr_queue_ptr 0
		.amdhsa_user_sgpr_kernarg_segment_ptr 1
		.amdhsa_user_sgpr_dispatch_id 0
		.amdhsa_user_sgpr_flat_scratch_init 0
		.amdhsa_user_sgpr_private_segment_size 0
		.amdhsa_uses_dynamic_stack 0
		.amdhsa_system_sgpr_private_segment_wavefront_offset 0
		.amdhsa_system_sgpr_workgroup_id_x 1
		.amdhsa_system_sgpr_workgroup_id_y 0
		.amdhsa_system_sgpr_workgroup_id_z 0
		.amdhsa_system_sgpr_workgroup_info 0
		.amdhsa_system_vgpr_workitem_id 0
		.amdhsa_next_free_vgpr 1
		.amdhsa_next_free_sgpr 0
		.amdhsa_reserve_vcc 0
		.amdhsa_reserve_flat_scratch 0
		.amdhsa_float_round_mode_32 0
		.amdhsa_float_round_mode_16_64 0
		.amdhsa_float_denorm_mode_32 3
		.amdhsa_float_denorm_mode_16_64 3
		.amdhsa_dx10_clamp 1
		.amdhsa_ieee_mode 1
		.amdhsa_fp16_overflow 0
		.amdhsa_exception_fp_ieee_invalid_op 0
		.amdhsa_exception_fp_denorm_src 0
		.amdhsa_exception_fp_ieee_div_zero 0
		.amdhsa_exception_fp_ieee_overflow 0
		.amdhsa_exception_fp_ieee_underflow 0
		.amdhsa_exception_fp_ieee_inexact 0
		.amdhsa_exception_int_div_zero 0
	.end_amdhsa_kernel
	.section	.text._ZN7rocprim17ROCPRIM_400000_NS6detail17trampoline_kernelINS0_13select_configILj256ELj13ELNS0_17block_load_methodE3ELS4_3ELS4_3ELNS0_20block_scan_algorithmE0ELj4294967295EEENS1_25partition_config_selectorILNS1_17partition_subalgoE3EjNS0_10empty_typeEbEEZZNS1_14partition_implILS8_3ELb0ES6_jNS0_17counting_iteratorIjlEEPS9_SE_NS0_5tupleIJPjSE_EEENSF_IJSE_SE_EEES9_SG_JZNS1_25segmented_radix_sort_implINS0_14default_configELb1EPK12hip_bfloat16PSL_PKlPlN2at6native12_GLOBAL__N_18offset_tEEE10hipError_tPvRmT1_PNSt15iterator_traitsISZ_E10value_typeET2_T3_PNS10_IS15_E10value_typeET4_jRbjT5_S1B_jjP12ihipStream_tbEUljE_EEESW_SX_SY_S15_S19_S1B_T6_T7_T9_mT8_S1D_bDpT10_ENKUlT_T0_E_clISt17integral_constantIbLb0EES1Q_EEDaS1L_S1M_EUlS1L_E_NS1_11comp_targetILNS1_3genE3ELNS1_11target_archE908ELNS1_3gpuE7ELNS1_3repE0EEENS1_30default_config_static_selectorELNS0_4arch9wavefront6targetE1EEEvSZ_,"axG",@progbits,_ZN7rocprim17ROCPRIM_400000_NS6detail17trampoline_kernelINS0_13select_configILj256ELj13ELNS0_17block_load_methodE3ELS4_3ELS4_3ELNS0_20block_scan_algorithmE0ELj4294967295EEENS1_25partition_config_selectorILNS1_17partition_subalgoE3EjNS0_10empty_typeEbEEZZNS1_14partition_implILS8_3ELb0ES6_jNS0_17counting_iteratorIjlEEPS9_SE_NS0_5tupleIJPjSE_EEENSF_IJSE_SE_EEES9_SG_JZNS1_25segmented_radix_sort_implINS0_14default_configELb1EPK12hip_bfloat16PSL_PKlPlN2at6native12_GLOBAL__N_18offset_tEEE10hipError_tPvRmT1_PNSt15iterator_traitsISZ_E10value_typeET2_T3_PNS10_IS15_E10value_typeET4_jRbjT5_S1B_jjP12ihipStream_tbEUljE_EEESW_SX_SY_S15_S19_S1B_T6_T7_T9_mT8_S1D_bDpT10_ENKUlT_T0_E_clISt17integral_constantIbLb0EES1Q_EEDaS1L_S1M_EUlS1L_E_NS1_11comp_targetILNS1_3genE3ELNS1_11target_archE908ELNS1_3gpuE7ELNS1_3repE0EEENS1_30default_config_static_selectorELNS0_4arch9wavefront6targetE1EEEvSZ_,comdat
.Lfunc_end1917:
	.size	_ZN7rocprim17ROCPRIM_400000_NS6detail17trampoline_kernelINS0_13select_configILj256ELj13ELNS0_17block_load_methodE3ELS4_3ELS4_3ELNS0_20block_scan_algorithmE0ELj4294967295EEENS1_25partition_config_selectorILNS1_17partition_subalgoE3EjNS0_10empty_typeEbEEZZNS1_14partition_implILS8_3ELb0ES6_jNS0_17counting_iteratorIjlEEPS9_SE_NS0_5tupleIJPjSE_EEENSF_IJSE_SE_EEES9_SG_JZNS1_25segmented_radix_sort_implINS0_14default_configELb1EPK12hip_bfloat16PSL_PKlPlN2at6native12_GLOBAL__N_18offset_tEEE10hipError_tPvRmT1_PNSt15iterator_traitsISZ_E10value_typeET2_T3_PNS10_IS15_E10value_typeET4_jRbjT5_S1B_jjP12ihipStream_tbEUljE_EEESW_SX_SY_S15_S19_S1B_T6_T7_T9_mT8_S1D_bDpT10_ENKUlT_T0_E_clISt17integral_constantIbLb0EES1Q_EEDaS1L_S1M_EUlS1L_E_NS1_11comp_targetILNS1_3genE3ELNS1_11target_archE908ELNS1_3gpuE7ELNS1_3repE0EEENS1_30default_config_static_selectorELNS0_4arch9wavefront6targetE1EEEvSZ_, .Lfunc_end1917-_ZN7rocprim17ROCPRIM_400000_NS6detail17trampoline_kernelINS0_13select_configILj256ELj13ELNS0_17block_load_methodE3ELS4_3ELS4_3ELNS0_20block_scan_algorithmE0ELj4294967295EEENS1_25partition_config_selectorILNS1_17partition_subalgoE3EjNS0_10empty_typeEbEEZZNS1_14partition_implILS8_3ELb0ES6_jNS0_17counting_iteratorIjlEEPS9_SE_NS0_5tupleIJPjSE_EEENSF_IJSE_SE_EEES9_SG_JZNS1_25segmented_radix_sort_implINS0_14default_configELb1EPK12hip_bfloat16PSL_PKlPlN2at6native12_GLOBAL__N_18offset_tEEE10hipError_tPvRmT1_PNSt15iterator_traitsISZ_E10value_typeET2_T3_PNS10_IS15_E10value_typeET4_jRbjT5_S1B_jjP12ihipStream_tbEUljE_EEESW_SX_SY_S15_S19_S1B_T6_T7_T9_mT8_S1D_bDpT10_ENKUlT_T0_E_clISt17integral_constantIbLb0EES1Q_EEDaS1L_S1M_EUlS1L_E_NS1_11comp_targetILNS1_3genE3ELNS1_11target_archE908ELNS1_3gpuE7ELNS1_3repE0EEENS1_30default_config_static_selectorELNS0_4arch9wavefront6targetE1EEEvSZ_
                                        ; -- End function
	.set _ZN7rocprim17ROCPRIM_400000_NS6detail17trampoline_kernelINS0_13select_configILj256ELj13ELNS0_17block_load_methodE3ELS4_3ELS4_3ELNS0_20block_scan_algorithmE0ELj4294967295EEENS1_25partition_config_selectorILNS1_17partition_subalgoE3EjNS0_10empty_typeEbEEZZNS1_14partition_implILS8_3ELb0ES6_jNS0_17counting_iteratorIjlEEPS9_SE_NS0_5tupleIJPjSE_EEENSF_IJSE_SE_EEES9_SG_JZNS1_25segmented_radix_sort_implINS0_14default_configELb1EPK12hip_bfloat16PSL_PKlPlN2at6native12_GLOBAL__N_18offset_tEEE10hipError_tPvRmT1_PNSt15iterator_traitsISZ_E10value_typeET2_T3_PNS10_IS15_E10value_typeET4_jRbjT5_S1B_jjP12ihipStream_tbEUljE_EEESW_SX_SY_S15_S19_S1B_T6_T7_T9_mT8_S1D_bDpT10_ENKUlT_T0_E_clISt17integral_constantIbLb0EES1Q_EEDaS1L_S1M_EUlS1L_E_NS1_11comp_targetILNS1_3genE3ELNS1_11target_archE908ELNS1_3gpuE7ELNS1_3repE0EEENS1_30default_config_static_selectorELNS0_4arch9wavefront6targetE1EEEvSZ_.num_vgpr, 0
	.set _ZN7rocprim17ROCPRIM_400000_NS6detail17trampoline_kernelINS0_13select_configILj256ELj13ELNS0_17block_load_methodE3ELS4_3ELS4_3ELNS0_20block_scan_algorithmE0ELj4294967295EEENS1_25partition_config_selectorILNS1_17partition_subalgoE3EjNS0_10empty_typeEbEEZZNS1_14partition_implILS8_3ELb0ES6_jNS0_17counting_iteratorIjlEEPS9_SE_NS0_5tupleIJPjSE_EEENSF_IJSE_SE_EEES9_SG_JZNS1_25segmented_radix_sort_implINS0_14default_configELb1EPK12hip_bfloat16PSL_PKlPlN2at6native12_GLOBAL__N_18offset_tEEE10hipError_tPvRmT1_PNSt15iterator_traitsISZ_E10value_typeET2_T3_PNS10_IS15_E10value_typeET4_jRbjT5_S1B_jjP12ihipStream_tbEUljE_EEESW_SX_SY_S15_S19_S1B_T6_T7_T9_mT8_S1D_bDpT10_ENKUlT_T0_E_clISt17integral_constantIbLb0EES1Q_EEDaS1L_S1M_EUlS1L_E_NS1_11comp_targetILNS1_3genE3ELNS1_11target_archE908ELNS1_3gpuE7ELNS1_3repE0EEENS1_30default_config_static_selectorELNS0_4arch9wavefront6targetE1EEEvSZ_.num_agpr, 0
	.set _ZN7rocprim17ROCPRIM_400000_NS6detail17trampoline_kernelINS0_13select_configILj256ELj13ELNS0_17block_load_methodE3ELS4_3ELS4_3ELNS0_20block_scan_algorithmE0ELj4294967295EEENS1_25partition_config_selectorILNS1_17partition_subalgoE3EjNS0_10empty_typeEbEEZZNS1_14partition_implILS8_3ELb0ES6_jNS0_17counting_iteratorIjlEEPS9_SE_NS0_5tupleIJPjSE_EEENSF_IJSE_SE_EEES9_SG_JZNS1_25segmented_radix_sort_implINS0_14default_configELb1EPK12hip_bfloat16PSL_PKlPlN2at6native12_GLOBAL__N_18offset_tEEE10hipError_tPvRmT1_PNSt15iterator_traitsISZ_E10value_typeET2_T3_PNS10_IS15_E10value_typeET4_jRbjT5_S1B_jjP12ihipStream_tbEUljE_EEESW_SX_SY_S15_S19_S1B_T6_T7_T9_mT8_S1D_bDpT10_ENKUlT_T0_E_clISt17integral_constantIbLb0EES1Q_EEDaS1L_S1M_EUlS1L_E_NS1_11comp_targetILNS1_3genE3ELNS1_11target_archE908ELNS1_3gpuE7ELNS1_3repE0EEENS1_30default_config_static_selectorELNS0_4arch9wavefront6targetE1EEEvSZ_.numbered_sgpr, 0
	.set _ZN7rocprim17ROCPRIM_400000_NS6detail17trampoline_kernelINS0_13select_configILj256ELj13ELNS0_17block_load_methodE3ELS4_3ELS4_3ELNS0_20block_scan_algorithmE0ELj4294967295EEENS1_25partition_config_selectorILNS1_17partition_subalgoE3EjNS0_10empty_typeEbEEZZNS1_14partition_implILS8_3ELb0ES6_jNS0_17counting_iteratorIjlEEPS9_SE_NS0_5tupleIJPjSE_EEENSF_IJSE_SE_EEES9_SG_JZNS1_25segmented_radix_sort_implINS0_14default_configELb1EPK12hip_bfloat16PSL_PKlPlN2at6native12_GLOBAL__N_18offset_tEEE10hipError_tPvRmT1_PNSt15iterator_traitsISZ_E10value_typeET2_T3_PNS10_IS15_E10value_typeET4_jRbjT5_S1B_jjP12ihipStream_tbEUljE_EEESW_SX_SY_S15_S19_S1B_T6_T7_T9_mT8_S1D_bDpT10_ENKUlT_T0_E_clISt17integral_constantIbLb0EES1Q_EEDaS1L_S1M_EUlS1L_E_NS1_11comp_targetILNS1_3genE3ELNS1_11target_archE908ELNS1_3gpuE7ELNS1_3repE0EEENS1_30default_config_static_selectorELNS0_4arch9wavefront6targetE1EEEvSZ_.num_named_barrier, 0
	.set _ZN7rocprim17ROCPRIM_400000_NS6detail17trampoline_kernelINS0_13select_configILj256ELj13ELNS0_17block_load_methodE3ELS4_3ELS4_3ELNS0_20block_scan_algorithmE0ELj4294967295EEENS1_25partition_config_selectorILNS1_17partition_subalgoE3EjNS0_10empty_typeEbEEZZNS1_14partition_implILS8_3ELb0ES6_jNS0_17counting_iteratorIjlEEPS9_SE_NS0_5tupleIJPjSE_EEENSF_IJSE_SE_EEES9_SG_JZNS1_25segmented_radix_sort_implINS0_14default_configELb1EPK12hip_bfloat16PSL_PKlPlN2at6native12_GLOBAL__N_18offset_tEEE10hipError_tPvRmT1_PNSt15iterator_traitsISZ_E10value_typeET2_T3_PNS10_IS15_E10value_typeET4_jRbjT5_S1B_jjP12ihipStream_tbEUljE_EEESW_SX_SY_S15_S19_S1B_T6_T7_T9_mT8_S1D_bDpT10_ENKUlT_T0_E_clISt17integral_constantIbLb0EES1Q_EEDaS1L_S1M_EUlS1L_E_NS1_11comp_targetILNS1_3genE3ELNS1_11target_archE908ELNS1_3gpuE7ELNS1_3repE0EEENS1_30default_config_static_selectorELNS0_4arch9wavefront6targetE1EEEvSZ_.private_seg_size, 0
	.set _ZN7rocprim17ROCPRIM_400000_NS6detail17trampoline_kernelINS0_13select_configILj256ELj13ELNS0_17block_load_methodE3ELS4_3ELS4_3ELNS0_20block_scan_algorithmE0ELj4294967295EEENS1_25partition_config_selectorILNS1_17partition_subalgoE3EjNS0_10empty_typeEbEEZZNS1_14partition_implILS8_3ELb0ES6_jNS0_17counting_iteratorIjlEEPS9_SE_NS0_5tupleIJPjSE_EEENSF_IJSE_SE_EEES9_SG_JZNS1_25segmented_radix_sort_implINS0_14default_configELb1EPK12hip_bfloat16PSL_PKlPlN2at6native12_GLOBAL__N_18offset_tEEE10hipError_tPvRmT1_PNSt15iterator_traitsISZ_E10value_typeET2_T3_PNS10_IS15_E10value_typeET4_jRbjT5_S1B_jjP12ihipStream_tbEUljE_EEESW_SX_SY_S15_S19_S1B_T6_T7_T9_mT8_S1D_bDpT10_ENKUlT_T0_E_clISt17integral_constantIbLb0EES1Q_EEDaS1L_S1M_EUlS1L_E_NS1_11comp_targetILNS1_3genE3ELNS1_11target_archE908ELNS1_3gpuE7ELNS1_3repE0EEENS1_30default_config_static_selectorELNS0_4arch9wavefront6targetE1EEEvSZ_.uses_vcc, 0
	.set _ZN7rocprim17ROCPRIM_400000_NS6detail17trampoline_kernelINS0_13select_configILj256ELj13ELNS0_17block_load_methodE3ELS4_3ELS4_3ELNS0_20block_scan_algorithmE0ELj4294967295EEENS1_25partition_config_selectorILNS1_17partition_subalgoE3EjNS0_10empty_typeEbEEZZNS1_14partition_implILS8_3ELb0ES6_jNS0_17counting_iteratorIjlEEPS9_SE_NS0_5tupleIJPjSE_EEENSF_IJSE_SE_EEES9_SG_JZNS1_25segmented_radix_sort_implINS0_14default_configELb1EPK12hip_bfloat16PSL_PKlPlN2at6native12_GLOBAL__N_18offset_tEEE10hipError_tPvRmT1_PNSt15iterator_traitsISZ_E10value_typeET2_T3_PNS10_IS15_E10value_typeET4_jRbjT5_S1B_jjP12ihipStream_tbEUljE_EEESW_SX_SY_S15_S19_S1B_T6_T7_T9_mT8_S1D_bDpT10_ENKUlT_T0_E_clISt17integral_constantIbLb0EES1Q_EEDaS1L_S1M_EUlS1L_E_NS1_11comp_targetILNS1_3genE3ELNS1_11target_archE908ELNS1_3gpuE7ELNS1_3repE0EEENS1_30default_config_static_selectorELNS0_4arch9wavefront6targetE1EEEvSZ_.uses_flat_scratch, 0
	.set _ZN7rocprim17ROCPRIM_400000_NS6detail17trampoline_kernelINS0_13select_configILj256ELj13ELNS0_17block_load_methodE3ELS4_3ELS4_3ELNS0_20block_scan_algorithmE0ELj4294967295EEENS1_25partition_config_selectorILNS1_17partition_subalgoE3EjNS0_10empty_typeEbEEZZNS1_14partition_implILS8_3ELb0ES6_jNS0_17counting_iteratorIjlEEPS9_SE_NS0_5tupleIJPjSE_EEENSF_IJSE_SE_EEES9_SG_JZNS1_25segmented_radix_sort_implINS0_14default_configELb1EPK12hip_bfloat16PSL_PKlPlN2at6native12_GLOBAL__N_18offset_tEEE10hipError_tPvRmT1_PNSt15iterator_traitsISZ_E10value_typeET2_T3_PNS10_IS15_E10value_typeET4_jRbjT5_S1B_jjP12ihipStream_tbEUljE_EEESW_SX_SY_S15_S19_S1B_T6_T7_T9_mT8_S1D_bDpT10_ENKUlT_T0_E_clISt17integral_constantIbLb0EES1Q_EEDaS1L_S1M_EUlS1L_E_NS1_11comp_targetILNS1_3genE3ELNS1_11target_archE908ELNS1_3gpuE7ELNS1_3repE0EEENS1_30default_config_static_selectorELNS0_4arch9wavefront6targetE1EEEvSZ_.has_dyn_sized_stack, 0
	.set _ZN7rocprim17ROCPRIM_400000_NS6detail17trampoline_kernelINS0_13select_configILj256ELj13ELNS0_17block_load_methodE3ELS4_3ELS4_3ELNS0_20block_scan_algorithmE0ELj4294967295EEENS1_25partition_config_selectorILNS1_17partition_subalgoE3EjNS0_10empty_typeEbEEZZNS1_14partition_implILS8_3ELb0ES6_jNS0_17counting_iteratorIjlEEPS9_SE_NS0_5tupleIJPjSE_EEENSF_IJSE_SE_EEES9_SG_JZNS1_25segmented_radix_sort_implINS0_14default_configELb1EPK12hip_bfloat16PSL_PKlPlN2at6native12_GLOBAL__N_18offset_tEEE10hipError_tPvRmT1_PNSt15iterator_traitsISZ_E10value_typeET2_T3_PNS10_IS15_E10value_typeET4_jRbjT5_S1B_jjP12ihipStream_tbEUljE_EEESW_SX_SY_S15_S19_S1B_T6_T7_T9_mT8_S1D_bDpT10_ENKUlT_T0_E_clISt17integral_constantIbLb0EES1Q_EEDaS1L_S1M_EUlS1L_E_NS1_11comp_targetILNS1_3genE3ELNS1_11target_archE908ELNS1_3gpuE7ELNS1_3repE0EEENS1_30default_config_static_selectorELNS0_4arch9wavefront6targetE1EEEvSZ_.has_recursion, 0
	.set _ZN7rocprim17ROCPRIM_400000_NS6detail17trampoline_kernelINS0_13select_configILj256ELj13ELNS0_17block_load_methodE3ELS4_3ELS4_3ELNS0_20block_scan_algorithmE0ELj4294967295EEENS1_25partition_config_selectorILNS1_17partition_subalgoE3EjNS0_10empty_typeEbEEZZNS1_14partition_implILS8_3ELb0ES6_jNS0_17counting_iteratorIjlEEPS9_SE_NS0_5tupleIJPjSE_EEENSF_IJSE_SE_EEES9_SG_JZNS1_25segmented_radix_sort_implINS0_14default_configELb1EPK12hip_bfloat16PSL_PKlPlN2at6native12_GLOBAL__N_18offset_tEEE10hipError_tPvRmT1_PNSt15iterator_traitsISZ_E10value_typeET2_T3_PNS10_IS15_E10value_typeET4_jRbjT5_S1B_jjP12ihipStream_tbEUljE_EEESW_SX_SY_S15_S19_S1B_T6_T7_T9_mT8_S1D_bDpT10_ENKUlT_T0_E_clISt17integral_constantIbLb0EES1Q_EEDaS1L_S1M_EUlS1L_E_NS1_11comp_targetILNS1_3genE3ELNS1_11target_archE908ELNS1_3gpuE7ELNS1_3repE0EEENS1_30default_config_static_selectorELNS0_4arch9wavefront6targetE1EEEvSZ_.has_indirect_call, 0
	.section	.AMDGPU.csdata,"",@progbits
; Kernel info:
; codeLenInByte = 0
; TotalNumSgprs: 4
; NumVgprs: 0
; ScratchSize: 0
; MemoryBound: 0
; FloatMode: 240
; IeeeMode: 1
; LDSByteSize: 0 bytes/workgroup (compile time only)
; SGPRBlocks: 0
; VGPRBlocks: 0
; NumSGPRsForWavesPerEU: 4
; NumVGPRsForWavesPerEU: 1
; Occupancy: 10
; WaveLimiterHint : 0
; COMPUTE_PGM_RSRC2:SCRATCH_EN: 0
; COMPUTE_PGM_RSRC2:USER_SGPR: 6
; COMPUTE_PGM_RSRC2:TRAP_HANDLER: 0
; COMPUTE_PGM_RSRC2:TGID_X_EN: 1
; COMPUTE_PGM_RSRC2:TGID_Y_EN: 0
; COMPUTE_PGM_RSRC2:TGID_Z_EN: 0
; COMPUTE_PGM_RSRC2:TIDIG_COMP_CNT: 0
	.section	.text._ZN7rocprim17ROCPRIM_400000_NS6detail17trampoline_kernelINS0_13select_configILj256ELj13ELNS0_17block_load_methodE3ELS4_3ELS4_3ELNS0_20block_scan_algorithmE0ELj4294967295EEENS1_25partition_config_selectorILNS1_17partition_subalgoE3EjNS0_10empty_typeEbEEZZNS1_14partition_implILS8_3ELb0ES6_jNS0_17counting_iteratorIjlEEPS9_SE_NS0_5tupleIJPjSE_EEENSF_IJSE_SE_EEES9_SG_JZNS1_25segmented_radix_sort_implINS0_14default_configELb1EPK12hip_bfloat16PSL_PKlPlN2at6native12_GLOBAL__N_18offset_tEEE10hipError_tPvRmT1_PNSt15iterator_traitsISZ_E10value_typeET2_T3_PNS10_IS15_E10value_typeET4_jRbjT5_S1B_jjP12ihipStream_tbEUljE_EEESW_SX_SY_S15_S19_S1B_T6_T7_T9_mT8_S1D_bDpT10_ENKUlT_T0_E_clISt17integral_constantIbLb0EES1Q_EEDaS1L_S1M_EUlS1L_E_NS1_11comp_targetILNS1_3genE2ELNS1_11target_archE906ELNS1_3gpuE6ELNS1_3repE0EEENS1_30default_config_static_selectorELNS0_4arch9wavefront6targetE1EEEvSZ_,"axG",@progbits,_ZN7rocprim17ROCPRIM_400000_NS6detail17trampoline_kernelINS0_13select_configILj256ELj13ELNS0_17block_load_methodE3ELS4_3ELS4_3ELNS0_20block_scan_algorithmE0ELj4294967295EEENS1_25partition_config_selectorILNS1_17partition_subalgoE3EjNS0_10empty_typeEbEEZZNS1_14partition_implILS8_3ELb0ES6_jNS0_17counting_iteratorIjlEEPS9_SE_NS0_5tupleIJPjSE_EEENSF_IJSE_SE_EEES9_SG_JZNS1_25segmented_radix_sort_implINS0_14default_configELb1EPK12hip_bfloat16PSL_PKlPlN2at6native12_GLOBAL__N_18offset_tEEE10hipError_tPvRmT1_PNSt15iterator_traitsISZ_E10value_typeET2_T3_PNS10_IS15_E10value_typeET4_jRbjT5_S1B_jjP12ihipStream_tbEUljE_EEESW_SX_SY_S15_S19_S1B_T6_T7_T9_mT8_S1D_bDpT10_ENKUlT_T0_E_clISt17integral_constantIbLb0EES1Q_EEDaS1L_S1M_EUlS1L_E_NS1_11comp_targetILNS1_3genE2ELNS1_11target_archE906ELNS1_3gpuE6ELNS1_3repE0EEENS1_30default_config_static_selectorELNS0_4arch9wavefront6targetE1EEEvSZ_,comdat
	.globl	_ZN7rocprim17ROCPRIM_400000_NS6detail17trampoline_kernelINS0_13select_configILj256ELj13ELNS0_17block_load_methodE3ELS4_3ELS4_3ELNS0_20block_scan_algorithmE0ELj4294967295EEENS1_25partition_config_selectorILNS1_17partition_subalgoE3EjNS0_10empty_typeEbEEZZNS1_14partition_implILS8_3ELb0ES6_jNS0_17counting_iteratorIjlEEPS9_SE_NS0_5tupleIJPjSE_EEENSF_IJSE_SE_EEES9_SG_JZNS1_25segmented_radix_sort_implINS0_14default_configELb1EPK12hip_bfloat16PSL_PKlPlN2at6native12_GLOBAL__N_18offset_tEEE10hipError_tPvRmT1_PNSt15iterator_traitsISZ_E10value_typeET2_T3_PNS10_IS15_E10value_typeET4_jRbjT5_S1B_jjP12ihipStream_tbEUljE_EEESW_SX_SY_S15_S19_S1B_T6_T7_T9_mT8_S1D_bDpT10_ENKUlT_T0_E_clISt17integral_constantIbLb0EES1Q_EEDaS1L_S1M_EUlS1L_E_NS1_11comp_targetILNS1_3genE2ELNS1_11target_archE906ELNS1_3gpuE6ELNS1_3repE0EEENS1_30default_config_static_selectorELNS0_4arch9wavefront6targetE1EEEvSZ_ ; -- Begin function _ZN7rocprim17ROCPRIM_400000_NS6detail17trampoline_kernelINS0_13select_configILj256ELj13ELNS0_17block_load_methodE3ELS4_3ELS4_3ELNS0_20block_scan_algorithmE0ELj4294967295EEENS1_25partition_config_selectorILNS1_17partition_subalgoE3EjNS0_10empty_typeEbEEZZNS1_14partition_implILS8_3ELb0ES6_jNS0_17counting_iteratorIjlEEPS9_SE_NS0_5tupleIJPjSE_EEENSF_IJSE_SE_EEES9_SG_JZNS1_25segmented_radix_sort_implINS0_14default_configELb1EPK12hip_bfloat16PSL_PKlPlN2at6native12_GLOBAL__N_18offset_tEEE10hipError_tPvRmT1_PNSt15iterator_traitsISZ_E10value_typeET2_T3_PNS10_IS15_E10value_typeET4_jRbjT5_S1B_jjP12ihipStream_tbEUljE_EEESW_SX_SY_S15_S19_S1B_T6_T7_T9_mT8_S1D_bDpT10_ENKUlT_T0_E_clISt17integral_constantIbLb0EES1Q_EEDaS1L_S1M_EUlS1L_E_NS1_11comp_targetILNS1_3genE2ELNS1_11target_archE906ELNS1_3gpuE6ELNS1_3repE0EEENS1_30default_config_static_selectorELNS0_4arch9wavefront6targetE1EEEvSZ_
	.p2align	8
	.type	_ZN7rocprim17ROCPRIM_400000_NS6detail17trampoline_kernelINS0_13select_configILj256ELj13ELNS0_17block_load_methodE3ELS4_3ELS4_3ELNS0_20block_scan_algorithmE0ELj4294967295EEENS1_25partition_config_selectorILNS1_17partition_subalgoE3EjNS0_10empty_typeEbEEZZNS1_14partition_implILS8_3ELb0ES6_jNS0_17counting_iteratorIjlEEPS9_SE_NS0_5tupleIJPjSE_EEENSF_IJSE_SE_EEES9_SG_JZNS1_25segmented_radix_sort_implINS0_14default_configELb1EPK12hip_bfloat16PSL_PKlPlN2at6native12_GLOBAL__N_18offset_tEEE10hipError_tPvRmT1_PNSt15iterator_traitsISZ_E10value_typeET2_T3_PNS10_IS15_E10value_typeET4_jRbjT5_S1B_jjP12ihipStream_tbEUljE_EEESW_SX_SY_S15_S19_S1B_T6_T7_T9_mT8_S1D_bDpT10_ENKUlT_T0_E_clISt17integral_constantIbLb0EES1Q_EEDaS1L_S1M_EUlS1L_E_NS1_11comp_targetILNS1_3genE2ELNS1_11target_archE906ELNS1_3gpuE6ELNS1_3repE0EEENS1_30default_config_static_selectorELNS0_4arch9wavefront6targetE1EEEvSZ_,@function
_ZN7rocprim17ROCPRIM_400000_NS6detail17trampoline_kernelINS0_13select_configILj256ELj13ELNS0_17block_load_methodE3ELS4_3ELS4_3ELNS0_20block_scan_algorithmE0ELj4294967295EEENS1_25partition_config_selectorILNS1_17partition_subalgoE3EjNS0_10empty_typeEbEEZZNS1_14partition_implILS8_3ELb0ES6_jNS0_17counting_iteratorIjlEEPS9_SE_NS0_5tupleIJPjSE_EEENSF_IJSE_SE_EEES9_SG_JZNS1_25segmented_radix_sort_implINS0_14default_configELb1EPK12hip_bfloat16PSL_PKlPlN2at6native12_GLOBAL__N_18offset_tEEE10hipError_tPvRmT1_PNSt15iterator_traitsISZ_E10value_typeET2_T3_PNS10_IS15_E10value_typeET4_jRbjT5_S1B_jjP12ihipStream_tbEUljE_EEESW_SX_SY_S15_S19_S1B_T6_T7_T9_mT8_S1D_bDpT10_ENKUlT_T0_E_clISt17integral_constantIbLb0EES1Q_EEDaS1L_S1M_EUlS1L_E_NS1_11comp_targetILNS1_3genE2ELNS1_11target_archE906ELNS1_3gpuE6ELNS1_3repE0EEENS1_30default_config_static_selectorELNS0_4arch9wavefront6targetE1EEEvSZ_: ; @_ZN7rocprim17ROCPRIM_400000_NS6detail17trampoline_kernelINS0_13select_configILj256ELj13ELNS0_17block_load_methodE3ELS4_3ELS4_3ELNS0_20block_scan_algorithmE0ELj4294967295EEENS1_25partition_config_selectorILNS1_17partition_subalgoE3EjNS0_10empty_typeEbEEZZNS1_14partition_implILS8_3ELb0ES6_jNS0_17counting_iteratorIjlEEPS9_SE_NS0_5tupleIJPjSE_EEENSF_IJSE_SE_EEES9_SG_JZNS1_25segmented_radix_sort_implINS0_14default_configELb1EPK12hip_bfloat16PSL_PKlPlN2at6native12_GLOBAL__N_18offset_tEEE10hipError_tPvRmT1_PNSt15iterator_traitsISZ_E10value_typeET2_T3_PNS10_IS15_E10value_typeET4_jRbjT5_S1B_jjP12ihipStream_tbEUljE_EEESW_SX_SY_S15_S19_S1B_T6_T7_T9_mT8_S1D_bDpT10_ENKUlT_T0_E_clISt17integral_constantIbLb0EES1Q_EEDaS1L_S1M_EUlS1L_E_NS1_11comp_targetILNS1_3genE2ELNS1_11target_archE906ELNS1_3gpuE6ELNS1_3repE0EEENS1_30default_config_static_selectorELNS0_4arch9wavefront6targetE1EEEvSZ_
; %bb.0:
	s_load_dwordx2 s[28:29], s[4:5], 0x58
	s_load_dwordx4 s[24:27], s[4:5], 0x48
	s_load_dword s12, s[4:5], 0x8
	s_load_dwordx2 s[30:31], s[4:5], 0x10
	s_load_dword s0, s[4:5], 0x70
	s_load_dword s7, s[4:5], 0x88
	s_load_dwordx4 s[8:11], s[4:5], 0x78
	s_waitcnt lgkmcnt(0)
	s_load_dwordx2 s[34:35], s[26:27], 0x0
	s_mul_i32 s44, s6, 0xd00
	s_add_i32 s2, s0, -1
	s_mulk_i32 s0, 0xd00
	s_add_i32 s1, s0, s30
	s_sub_i32 s33, s28, s1
	s_addk_i32 s33, 0xd00
	s_add_u32 s0, s30, s0
	s_addc_u32 s1, s31, 0
	v_mov_b32_e32 v2, s1
	v_mov_b32_e32 v1, s0
	s_cmp_eq_u32 s6, s2
	v_cmp_gt_u64_e32 vcc, s[28:29], v[1:2]
	s_cselect_b64 s[22:23], -1, 0
	s_cmp_lg_u32 s6, s2
	s_cselect_b64 s[0:1], -1, 0
	s_add_i32 s12, s12, s44
	s_or_b64 s[2:3], s[0:1], vcc
	s_add_i32 s12, s12, s30
	s_mov_b64 s[0:1], -1
	s_and_b64 vcc, exec, s[2:3]
	v_add_u32_e32 v1, s12, v0
	v_lshlrev_b32_e32 v23, 2, v0
	s_cbranch_vccz .LBB1918_2
; %bb.1:
	v_add_u32_e32 v2, 0x100, v1
	v_add_u32_e32 v3, 0x200, v1
	;; [unrolled: 1-line block ×12, first 2 shown]
	ds_write2st64_b32 v23, v1, v2 offset1:4
	ds_write2st64_b32 v23, v3, v4 offset0:8 offset1:12
	ds_write2st64_b32 v23, v5, v6 offset0:16 offset1:20
	;; [unrolled: 1-line block ×5, first 2 shown]
	ds_write_b32 v23, v13 offset:12288
	s_waitcnt lgkmcnt(0)
	s_barrier
	s_mov_b64 s[0:1], 0
.LBB1918_2:
	s_andn2_b64 vcc, exec, s[0:1]
	v_cmp_gt_u32_e64 s[0:1], s33, v0
	s_cbranch_vccnz .LBB1918_4
; %bb.3:
	v_or_b32_e32 v2, 0x100, v0
	v_add_u32_e32 v3, s12, v2
	v_cmp_gt_u32_e32 vcc, s33, v2
	v_cndmask_b32_e32 v2, 0, v3, vcc
	v_or_b32_e32 v3, 0x200, v0
	v_add_u32_e32 v4, s12, v3
	v_cmp_gt_u32_e32 vcc, s33, v3
	v_cndmask_b32_e32 v3, 0, v4, vcc
	;; [unrolled: 4-line block ×11, first 2 shown]
	v_or_b32_e32 v13, 0xc00, v0
	v_cndmask_b32_e64 v1, 0, v1, s[0:1]
	v_add_u32_e32 v14, s12, v13
	v_cmp_gt_u32_e32 vcc, s33, v13
	v_cndmask_b32_e32 v13, 0, v14, vcc
	ds_write2st64_b32 v23, v1, v2 offset1:4
	ds_write2st64_b32 v23, v3, v4 offset0:8 offset1:12
	ds_write2st64_b32 v23, v5, v6 offset0:16 offset1:20
	;; [unrolled: 1-line block ×5, first 2 shown]
	ds_write_b32 v23, v13 offset:12288
	s_waitcnt lgkmcnt(0)
	s_barrier
.LBB1918_4:
	v_mul_u32_u24_e32 v25, 13, v0
	v_lshlrev_b32_e32 v1, 2, v25
	s_waitcnt lgkmcnt(0)
	ds_read2_b32 v[13:14], v1 offset1:1
	ds_read2_b32 v[11:12], v1 offset0:2 offset1:3
	ds_read2_b32 v[9:10], v1 offset0:4 offset1:5
	;; [unrolled: 1-line block ×5, first 2 shown]
	ds_read_b32 v24, v1 offset:48
	v_cndmask_b32_e64 v1, 0, 1, s[2:3]
	v_cmp_ne_u32_e64 s[0:1], 1, v1
	s_andn2_b64 vcc, exec, s[2:3]
	s_waitcnt lgkmcnt(0)
	s_barrier
	s_cbranch_vccnz .LBB1918_6
; %bb.5:
	v_add_u32_e32 v1, s9, v13
	v_add_u32_e32 v2, s11, v13
	v_mul_lo_u32 v1, v1, s8
	v_mul_lo_u32 v2, v2, s10
	v_add_u32_e32 v15, s9, v11
	v_add_u32_e32 v16, s11, v11
	v_mul_lo_u32 v15, v15, s8
	v_sub_u32_e32 v1, v1, v2
	v_cmp_lt_u32_e32 vcc, s7, v1
	v_add_u32_e32 v1, s9, v14
	v_add_u32_e32 v2, s11, v14
	v_mul_lo_u32 v1, v1, s8
	v_mul_lo_u32 v2, v2, s10
	;; [unrolled: 1-line block ×3, first 2 shown]
	v_cndmask_b32_e64 v26, 0, 1, vcc
	v_sub_u32_e32 v1, v1, v2
	v_cmp_lt_u32_e32 vcc, s7, v1
	v_sub_u32_e32 v1, v15, v16
	v_cndmask_b32_e64 v27, 0, 1, vcc
	v_cmp_lt_u32_e32 vcc, s7, v1
	v_add_u32_e32 v1, s9, v12
	v_add_u32_e32 v2, s11, v12
	v_mul_lo_u32 v1, v1, s8
	v_mul_lo_u32 v2, v2, s10
	v_add_u32_e32 v15, s9, v9
	v_add_u32_e32 v16, s11, v9
	v_mul_lo_u32 v15, v15, s8
	v_mul_lo_u32 v16, v16, s10
	v_sub_u32_e32 v1, v1, v2
	v_cndmask_b32_e64 v28, 0, 1, vcc
	v_cmp_lt_u32_e32 vcc, s7, v1
	v_sub_u32_e32 v1, v15, v16
	v_cndmask_b32_e64 v29, 0, 1, vcc
	v_cmp_lt_u32_e32 vcc, s7, v1
	v_add_u32_e32 v1, s9, v10
	v_add_u32_e32 v2, s11, v10
	v_mul_lo_u32 v1, v1, s8
	v_mul_lo_u32 v2, v2, s10
	v_add_u32_e32 v15, s9, v7
	v_add_u32_e32 v16, s11, v7
	v_mul_lo_u32 v15, v15, s8
	v_mul_lo_u32 v16, v16, s10
	v_sub_u32_e32 v1, v1, v2
	v_cndmask_b32_e64 v30, 0, 1, vcc
	;; [unrolled: 14-line block ×5, first 2 shown]
	v_cmp_lt_u32_e32 vcc, s7, v1
	v_sub_u32_e32 v1, v15, v16
	v_cndmask_b32_e64 v37, 0, 1, vcc
	v_cmp_lt_u32_e64 s[38:39], s7, v1
	s_load_dwordx2 s[26:27], s[4:5], 0x28
	s_load_dwordx2 s[36:37], s[4:5], 0x68
	s_cbranch_execz .LBB1918_7
	s_branch .LBB1918_34
.LBB1918_6:
                                        ; implicit-def: $sgpr38_sgpr39
                                        ; implicit-def: $vgpr37
                                        ; implicit-def: $vgpr36
                                        ; implicit-def: $vgpr35
                                        ; implicit-def: $vgpr34
                                        ; implicit-def: $vgpr33
                                        ; implicit-def: $vgpr32
                                        ; implicit-def: $vgpr31
                                        ; implicit-def: $vgpr30
                                        ; implicit-def: $vgpr26
                                        ; implicit-def: $vgpr27
                                        ; implicit-def: $vgpr28
                                        ; implicit-def: $vgpr29
	s_load_dwordx2 s[26:27], s[4:5], 0x28
	s_load_dwordx2 s[36:37], s[4:5], 0x68
.LBB1918_7:
	v_cmp_gt_u32_e32 vcc, s33, v25
	v_mov_b32_e32 v27, 0
	v_mov_b32_e32 v26, 0
	s_and_saveexec_b64 s[2:3], vcc
	s_cbranch_execz .LBB1918_9
; %bb.8:
	v_add_u32_e32 v1, s9, v13
	v_add_u32_e32 v2, s11, v13
	v_mul_lo_u32 v1, v1, s8
	v_mul_lo_u32 v2, v2, s10
	v_sub_u32_e32 v1, v1, v2
	v_cmp_lt_u32_e32 vcc, s7, v1
	v_cndmask_b32_e64 v26, 0, 1, vcc
.LBB1918_9:
	s_or_b64 exec, exec, s[2:3]
	v_add_u32_e32 v1, 1, v25
	v_cmp_gt_u32_e32 vcc, s33, v1
	s_and_saveexec_b64 s[2:3], vcc
	s_cbranch_execz .LBB1918_11
; %bb.10:
	v_add_u32_e32 v1, s9, v14
	v_add_u32_e32 v2, s11, v14
	v_mul_lo_u32 v1, v1, s8
	v_mul_lo_u32 v2, v2, s10
	v_sub_u32_e32 v1, v1, v2
	v_cmp_lt_u32_e32 vcc, s7, v1
	v_cndmask_b32_e64 v27, 0, 1, vcc
.LBB1918_11:
	s_or_b64 exec, exec, s[2:3]
	v_add_u32_e32 v1, 2, v25
	v_cmp_gt_u32_e32 vcc, s33, v1
	v_mov_b32_e32 v29, 0
	v_mov_b32_e32 v28, 0
	s_and_saveexec_b64 s[2:3], vcc
	s_cbranch_execz .LBB1918_13
; %bb.12:
	v_add_u32_e32 v1, s9, v11
	v_add_u32_e32 v2, s11, v11
	v_mul_lo_u32 v1, v1, s8
	v_mul_lo_u32 v2, v2, s10
	v_sub_u32_e32 v1, v1, v2
	v_cmp_lt_u32_e32 vcc, s7, v1
	v_cndmask_b32_e64 v28, 0, 1, vcc
.LBB1918_13:
	s_or_b64 exec, exec, s[2:3]
	v_add_u32_e32 v1, 3, v25
	v_cmp_gt_u32_e32 vcc, s33, v1
	s_and_saveexec_b64 s[2:3], vcc
	s_cbranch_execz .LBB1918_15
; %bb.14:
	v_add_u32_e32 v1, s9, v12
	v_add_u32_e32 v2, s11, v12
	v_mul_lo_u32 v1, v1, s8
	v_mul_lo_u32 v2, v2, s10
	v_sub_u32_e32 v1, v1, v2
	v_cmp_lt_u32_e32 vcc, s7, v1
	v_cndmask_b32_e64 v29, 0, 1, vcc
.LBB1918_15:
	s_or_b64 exec, exec, s[2:3]
	v_add_u32_e32 v1, 4, v25
	v_cmp_gt_u32_e32 vcc, s33, v1
	v_mov_b32_e32 v31, 0
	v_mov_b32_e32 v30, 0
	s_and_saveexec_b64 s[2:3], vcc
	s_cbranch_execz .LBB1918_17
; %bb.16:
	v_add_u32_e32 v1, s9, v9
	v_add_u32_e32 v2, s11, v9
	v_mul_lo_u32 v1, v1, s8
	v_mul_lo_u32 v2, v2, s10
	v_sub_u32_e32 v1, v1, v2
	v_cmp_lt_u32_e32 vcc, s7, v1
	v_cndmask_b32_e64 v30, 0, 1, vcc
.LBB1918_17:
	s_or_b64 exec, exec, s[2:3]
	v_add_u32_e32 v1, 5, v25
	v_cmp_gt_u32_e32 vcc, s33, v1
	s_and_saveexec_b64 s[2:3], vcc
	s_cbranch_execz .LBB1918_19
; %bb.18:
	v_add_u32_e32 v1, s9, v10
	v_add_u32_e32 v2, s11, v10
	v_mul_lo_u32 v1, v1, s8
	v_mul_lo_u32 v2, v2, s10
	v_sub_u32_e32 v1, v1, v2
	v_cmp_lt_u32_e32 vcc, s7, v1
	v_cndmask_b32_e64 v31, 0, 1, vcc
.LBB1918_19:
	s_or_b64 exec, exec, s[2:3]
	v_add_u32_e32 v1, 6, v25
	v_cmp_gt_u32_e32 vcc, s33, v1
	v_mov_b32_e32 v33, 0
	v_mov_b32_e32 v32, 0
	s_and_saveexec_b64 s[2:3], vcc
	s_cbranch_execz .LBB1918_21
; %bb.20:
	v_add_u32_e32 v1, s9, v7
	v_add_u32_e32 v2, s11, v7
	v_mul_lo_u32 v1, v1, s8
	v_mul_lo_u32 v2, v2, s10
	v_sub_u32_e32 v1, v1, v2
	v_cmp_lt_u32_e32 vcc, s7, v1
	v_cndmask_b32_e64 v32, 0, 1, vcc
.LBB1918_21:
	s_or_b64 exec, exec, s[2:3]
	v_add_u32_e32 v1, 7, v25
	v_cmp_gt_u32_e32 vcc, s33, v1
	s_and_saveexec_b64 s[2:3], vcc
	s_cbranch_execz .LBB1918_23
; %bb.22:
	v_add_u32_e32 v1, s9, v8
	v_add_u32_e32 v2, s11, v8
	v_mul_lo_u32 v1, v1, s8
	v_mul_lo_u32 v2, v2, s10
	v_sub_u32_e32 v1, v1, v2
	v_cmp_lt_u32_e32 vcc, s7, v1
	v_cndmask_b32_e64 v33, 0, 1, vcc
.LBB1918_23:
	s_or_b64 exec, exec, s[2:3]
	v_add_u32_e32 v1, 8, v25
	v_cmp_gt_u32_e32 vcc, s33, v1
	v_mov_b32_e32 v35, 0
	v_mov_b32_e32 v34, 0
	s_and_saveexec_b64 s[2:3], vcc
	s_cbranch_execz .LBB1918_25
; %bb.24:
	v_add_u32_e32 v1, s9, v5
	v_add_u32_e32 v2, s11, v5
	v_mul_lo_u32 v1, v1, s8
	v_mul_lo_u32 v2, v2, s10
	v_sub_u32_e32 v1, v1, v2
	v_cmp_lt_u32_e32 vcc, s7, v1
	v_cndmask_b32_e64 v34, 0, 1, vcc
.LBB1918_25:
	s_or_b64 exec, exec, s[2:3]
	v_add_u32_e32 v1, 9, v25
	v_cmp_gt_u32_e32 vcc, s33, v1
	s_and_saveexec_b64 s[2:3], vcc
	s_cbranch_execz .LBB1918_27
; %bb.26:
	v_add_u32_e32 v1, s9, v6
	v_add_u32_e32 v2, s11, v6
	v_mul_lo_u32 v1, v1, s8
	v_mul_lo_u32 v2, v2, s10
	v_sub_u32_e32 v1, v1, v2
	v_cmp_lt_u32_e32 vcc, s7, v1
	v_cndmask_b32_e64 v35, 0, 1, vcc
.LBB1918_27:
	s_or_b64 exec, exec, s[2:3]
	v_add_u32_e32 v1, 10, v25
	v_cmp_gt_u32_e32 vcc, s33, v1
	v_mov_b32_e32 v37, 0
	v_mov_b32_e32 v36, 0
	s_and_saveexec_b64 s[2:3], vcc
	s_cbranch_execz .LBB1918_29
; %bb.28:
	v_add_u32_e32 v1, s9, v3
	v_add_u32_e32 v2, s11, v3
	v_mul_lo_u32 v1, v1, s8
	v_mul_lo_u32 v2, v2, s10
	v_sub_u32_e32 v1, v1, v2
	v_cmp_lt_u32_e32 vcc, s7, v1
	v_cndmask_b32_e64 v36, 0, 1, vcc
.LBB1918_29:
	s_or_b64 exec, exec, s[2:3]
	v_add_u32_e32 v1, 11, v25
	v_cmp_gt_u32_e32 vcc, s33, v1
	s_and_saveexec_b64 s[2:3], vcc
	s_cbranch_execz .LBB1918_31
; %bb.30:
	v_add_u32_e32 v1, s9, v4
	v_add_u32_e32 v2, s11, v4
	v_mul_lo_u32 v2, v2, s10
	v_mul_lo_u32 v1, v1, s8
	v_sub_u32_e32 v1, v1, v2
	v_cmp_lt_u32_e32 vcc, s7, v1
	v_cndmask_b32_e64 v37, 0, 1, vcc
.LBB1918_31:
	s_or_b64 exec, exec, s[2:3]
	v_add_u32_e32 v1, 12, v25
	v_cmp_gt_u32_e32 vcc, s33, v1
	s_mov_b64 s[38:39], 0
	s_and_saveexec_b64 s[2:3], vcc
	s_cbranch_execz .LBB1918_33
; %bb.32:
	v_add_u32_e32 v1, s9, v24
	v_add_u32_e32 v2, s11, v24
	v_mul_lo_u32 v1, v1, s8
	v_mul_lo_u32 v2, v2, s10
	v_sub_u32_e32 v1, v1, v2
	v_cmp_lt_u32_e32 vcc, s7, v1
	s_and_b64 s[38:39], vcc, exec
.LBB1918_33:
	s_or_b64 exec, exec, s[2:3]
.LBB1918_34:
	v_and_b32_e32 v40, 0xff, v27
	v_and_b32_e32 v41, 0xff, v28
	;; [unrolled: 1-line block ×5, first 2 shown]
	v_add3_u32 v2, v41, v42, v40
	v_and_b32_e32 v44, 0xff, v31
	v_and_b32_e32 v45, 0xff, v32
	v_add3_u32 v2, v2, v39, v43
	v_and_b32_e32 v46, 0xff, v33
	v_and_b32_e32 v47, 0xff, v34
	v_add3_u32 v2, v2, v44, v45
	v_and_b32_e32 v48, 0xff, v35
	v_and_b32_e32 v49, 0xff, v36
	v_add3_u32 v2, v2, v46, v47
	v_and_b32_e32 v38, 0xff, v37
	v_cndmask_b32_e64 v1, 0, 1, s[38:39]
	v_add3_u32 v2, v2, v48, v49
	v_add3_u32 v52, v2, v38, v1
	v_mbcnt_lo_u32_b32 v1, -1, 0
	v_mbcnt_hi_u32_b32 v50, -1, v1
	v_and_b32_e32 v1, 15, v50
	v_cmp_eq_u32_e64 s[14:15], 0, v1
	v_cmp_lt_u32_e64 s[12:13], 1, v1
	v_cmp_lt_u32_e64 s[10:11], 3, v1
	v_cmp_lt_u32_e64 s[8:9], 7, v1
	v_and_b32_e32 v1, 16, v50
	v_cmp_eq_u32_e64 s[18:19], 0, v1
	v_or_b32_e32 v1, 63, v0
	s_cmp_lg_u32 s6, 0
	v_cmp_lt_u32_e64 s[2:3], 31, v50
	v_lshrrev_b32_e32 v51, 6, v0
	v_cmp_eq_u32_e64 s[4:5], v0, v1
	s_cbranch_scc0 .LBB1918_56
; %bb.35:
	v_mov_b32_dpp v1, v52 row_shr:1 row_mask:0xf bank_mask:0xf
	v_cndmask_b32_e64 v1, v1, 0, s[14:15]
	v_add_u32_e32 v1, v1, v52
	s_nop 1
	v_mov_b32_dpp v2, v1 row_shr:2 row_mask:0xf bank_mask:0xf
	v_cndmask_b32_e64 v2, 0, v2, s[12:13]
	v_add_u32_e32 v1, v1, v2
	s_nop 1
	;; [unrolled: 4-line block ×4, first 2 shown]
	v_mov_b32_dpp v2, v1 row_bcast:15 row_mask:0xf bank_mask:0xf
	v_cndmask_b32_e64 v2, v2, 0, s[18:19]
	v_add_u32_e32 v1, v1, v2
	s_nop 1
	v_mov_b32_dpp v2, v1 row_bcast:31 row_mask:0xf bank_mask:0xf
	v_cndmask_b32_e64 v2, 0, v2, s[2:3]
	v_add_u32_e32 v1, v1, v2
	s_and_saveexec_b64 s[16:17], s[4:5]
; %bb.36:
	v_lshlrev_b32_e32 v2, 2, v51
	ds_write_b32 v2, v1
; %bb.37:
	s_or_b64 exec, exec, s[16:17]
	v_cmp_gt_u32_e32 vcc, 4, v0
	s_waitcnt lgkmcnt(0)
	s_barrier
	s_and_saveexec_b64 s[16:17], vcc
	s_cbranch_execz .LBB1918_39
; %bb.38:
	ds_read_b32 v2, v23
	v_and_b32_e32 v15, 3, v50
	v_cmp_ne_u32_e32 vcc, 0, v15
	s_waitcnt lgkmcnt(0)
	v_mov_b32_dpp v16, v2 row_shr:1 row_mask:0xf bank_mask:0xf
	v_cndmask_b32_e32 v16, 0, v16, vcc
	v_add_u32_e32 v2, v16, v2
	v_cmp_lt_u32_e32 vcc, 1, v15
	s_nop 0
	v_mov_b32_dpp v16, v2 row_shr:2 row_mask:0xf bank_mask:0xf
	v_cndmask_b32_e32 v15, 0, v16, vcc
	v_add_u32_e32 v2, v2, v15
	ds_write_b32 v23, v2
.LBB1918_39:
	s_or_b64 exec, exec, s[16:17]
	v_cmp_gt_u32_e32 vcc, 64, v0
	v_cmp_lt_u32_e64 s[16:17], 63, v0
	s_waitcnt lgkmcnt(0)
	s_barrier
                                        ; implicit-def: $vgpr53
	s_and_saveexec_b64 s[20:21], s[16:17]
	s_cbranch_execz .LBB1918_41
; %bb.40:
	v_lshl_add_u32 v2, v51, 2, -4
	ds_read_b32 v53, v2
	s_waitcnt lgkmcnt(0)
	v_add_u32_e32 v1, v53, v1
.LBB1918_41:
	s_or_b64 exec, exec, s[20:21]
	v_subrev_co_u32_e64 v2, s[16:17], 1, v50
	v_and_b32_e32 v15, 64, v50
	v_cmp_lt_i32_e64 s[20:21], v2, v15
	v_cndmask_b32_e64 v2, v2, v50, s[20:21]
	v_lshlrev_b32_e32 v2, 2, v2
	ds_bpermute_b32 v54, v2, v1
	s_and_saveexec_b64 s[20:21], vcc
	s_cbranch_execz .LBB1918_61
; %bb.42:
	v_mov_b32_e32 v19, 0
	ds_read_b32 v1, v19 offset:12
	s_and_saveexec_b64 s[40:41], s[16:17]
	s_cbranch_execz .LBB1918_44
; %bb.43:
	s_add_i32 s42, s6, 64
	s_mov_b32 s43, 0
	s_lshl_b64 s[42:43], s[42:43], 3
	s_add_u32 s42, s36, s42
	v_mov_b32_e32 v2, 1
	s_addc_u32 s43, s37, s43
	s_waitcnt lgkmcnt(0)
	global_store_dwordx2 v19, v[1:2], s[42:43]
.LBB1918_44:
	s_or_b64 exec, exec, s[40:41]
	v_xad_u32 v15, v50, -1, s6
	v_add_u32_e32 v18, 64, v15
	v_lshlrev_b64 v[16:17], 3, v[18:19]
	v_mov_b32_e32 v2, s37
	v_add_co_u32_e32 v20, vcc, s36, v16
	v_addc_co_u32_e32 v21, vcc, v2, v17, vcc
	global_load_dwordx2 v[17:18], v[20:21], off glc
	s_waitcnt vmcnt(0)
	v_cmp_eq_u16_sdwa s[42:43], v18, v19 src0_sel:BYTE_0 src1_sel:DWORD
	s_and_saveexec_b64 s[40:41], s[42:43]
	s_cbranch_execz .LBB1918_48
; %bb.45:
	s_mov_b64 s[42:43], 0
	v_mov_b32_e32 v2, 0
.LBB1918_46:                            ; =>This Inner Loop Header: Depth=1
	global_load_dwordx2 v[17:18], v[20:21], off glc
	s_waitcnt vmcnt(0)
	v_cmp_ne_u16_sdwa s[46:47], v18, v2 src0_sel:BYTE_0 src1_sel:DWORD
	s_or_b64 s[42:43], s[46:47], s[42:43]
	s_andn2_b64 exec, exec, s[42:43]
	s_cbranch_execnz .LBB1918_46
; %bb.47:
	s_or_b64 exec, exec, s[42:43]
.LBB1918_48:
	s_or_b64 exec, exec, s[40:41]
	v_and_b32_e32 v56, 63, v50
	v_mov_b32_e32 v55, 2
	v_lshlrev_b64 v[19:20], v50, -1
	v_cmp_ne_u32_e32 vcc, 63, v56
	v_cmp_eq_u16_sdwa s[40:41], v18, v55 src0_sel:BYTE_0 src1_sel:DWORD
	v_addc_co_u32_e32 v21, vcc, 0, v50, vcc
	v_and_b32_e32 v2, s41, v20
	v_lshlrev_b32_e32 v57, 2, v21
	v_or_b32_e32 v2, 0x80000000, v2
	ds_bpermute_b32 v21, v57, v17
	v_and_b32_e32 v16, s40, v19
	v_ffbl_b32_e32 v2, v2
	v_add_u32_e32 v2, 32, v2
	v_ffbl_b32_e32 v16, v16
	v_min_u32_e32 v2, v16, v2
	v_cmp_lt_u32_e32 vcc, v56, v2
	s_waitcnt lgkmcnt(0)
	v_cndmask_b32_e32 v16, 0, v21, vcc
	v_cmp_gt_u32_e32 vcc, 62, v56
	v_add_u32_e32 v16, v16, v17
	v_cndmask_b32_e64 v17, 0, 2, vcc
	v_add_lshl_u32 v58, v17, v50, 2
	ds_bpermute_b32 v17, v58, v16
	v_add_u32_e32 v59, 2, v56
	v_cmp_le_u32_e32 vcc, v59, v2
	v_add_u32_e32 v61, 4, v56
	v_add_u32_e32 v63, 8, v56
	s_waitcnt lgkmcnt(0)
	v_cndmask_b32_e32 v17, 0, v17, vcc
	v_cmp_gt_u32_e32 vcc, 60, v56
	v_add_u32_e32 v16, v16, v17
	v_cndmask_b32_e64 v17, 0, 4, vcc
	v_add_lshl_u32 v60, v17, v50, 2
	ds_bpermute_b32 v17, v60, v16
	v_cmp_le_u32_e32 vcc, v61, v2
	v_add_u32_e32 v65, 16, v56
	v_add_u32_e32 v67, 32, v56
	s_waitcnt lgkmcnt(0)
	v_cndmask_b32_e32 v17, 0, v17, vcc
	v_cmp_gt_u32_e32 vcc, 56, v56
	v_add_u32_e32 v16, v16, v17
	v_cndmask_b32_e64 v17, 0, 8, vcc
	v_add_lshl_u32 v62, v17, v50, 2
	ds_bpermute_b32 v17, v62, v16
	v_cmp_le_u32_e32 vcc, v63, v2
	s_waitcnt lgkmcnt(0)
	v_cndmask_b32_e32 v17, 0, v17, vcc
	v_cmp_gt_u32_e32 vcc, 48, v56
	v_add_u32_e32 v16, v16, v17
	v_cndmask_b32_e64 v17, 0, 16, vcc
	v_add_lshl_u32 v64, v17, v50, 2
	ds_bpermute_b32 v17, v64, v16
	v_cmp_le_u32_e32 vcc, v65, v2
	s_waitcnt lgkmcnt(0)
	v_cndmask_b32_e32 v17, 0, v17, vcc
	v_add_u32_e32 v16, v16, v17
	v_mov_b32_e32 v17, 0x80
	v_lshl_or_b32 v66, v50, 2, v17
	ds_bpermute_b32 v17, v66, v16
	v_cmp_le_u32_e32 vcc, v67, v2
	s_waitcnt lgkmcnt(0)
	v_cndmask_b32_e32 v2, 0, v17, vcc
	v_add_u32_e32 v17, v16, v2
	v_mov_b32_e32 v16, 0
	s_branch .LBB1918_52
.LBB1918_49:                            ;   in Loop: Header=BB1918_52 Depth=1
	s_or_b64 exec, exec, s[42:43]
.LBB1918_50:                            ;   in Loop: Header=BB1918_52 Depth=1
	s_or_b64 exec, exec, s[40:41]
	v_cmp_eq_u16_sdwa s[40:41], v18, v55 src0_sel:BYTE_0 src1_sel:DWORD
	v_and_b32_e32 v21, s41, v20
	v_or_b32_e32 v21, 0x80000000, v21
	ds_bpermute_b32 v68, v57, v17
	v_and_b32_e32 v22, s40, v19
	v_ffbl_b32_e32 v21, v21
	v_add_u32_e32 v21, 32, v21
	v_ffbl_b32_e32 v22, v22
	v_min_u32_e32 v21, v22, v21
	v_cmp_lt_u32_e32 vcc, v56, v21
	s_waitcnt lgkmcnt(0)
	v_cndmask_b32_e32 v22, 0, v68, vcc
	v_add_u32_e32 v17, v22, v17
	ds_bpermute_b32 v22, v58, v17
	v_cmp_le_u32_e32 vcc, v59, v21
	v_subrev_u32_e32 v15, 64, v15
	s_mov_b64 s[40:41], 0
	s_waitcnt lgkmcnt(0)
	v_cndmask_b32_e32 v22, 0, v22, vcc
	v_add_u32_e32 v17, v17, v22
	ds_bpermute_b32 v22, v60, v17
	v_cmp_le_u32_e32 vcc, v61, v21
	s_waitcnt lgkmcnt(0)
	v_cndmask_b32_e32 v22, 0, v22, vcc
	v_add_u32_e32 v17, v17, v22
	ds_bpermute_b32 v22, v62, v17
	v_cmp_le_u32_e32 vcc, v63, v21
	;; [unrolled: 5-line block ×4, first 2 shown]
	s_waitcnt lgkmcnt(0)
	v_cndmask_b32_e32 v21, 0, v22, vcc
	v_add3_u32 v17, v21, v2, v17
.LBB1918_51:                            ;   in Loop: Header=BB1918_52 Depth=1
	s_and_b64 vcc, exec, s[40:41]
	s_cbranch_vccnz .LBB1918_57
.LBB1918_52:                            ; =>This Loop Header: Depth=1
                                        ;     Child Loop BB1918_55 Depth 2
	v_cmp_ne_u16_sdwa s[40:41], v18, v55 src0_sel:BYTE_0 src1_sel:DWORD
	v_mov_b32_e32 v2, v17
	s_cmp_lg_u64 s[40:41], exec
	s_mov_b64 s[40:41], -1
                                        ; implicit-def: $vgpr17
                                        ; implicit-def: $vgpr18
	s_cbranch_scc1 .LBB1918_51
; %bb.53:                               ;   in Loop: Header=BB1918_52 Depth=1
	v_lshlrev_b64 v[17:18], 3, v[15:16]
	v_mov_b32_e32 v22, s37
	v_add_co_u32_e32 v21, vcc, s36, v17
	v_addc_co_u32_e32 v22, vcc, v22, v18, vcc
	global_load_dwordx2 v[17:18], v[21:22], off glc
	s_waitcnt vmcnt(0)
	v_cmp_eq_u16_sdwa s[42:43], v18, v16 src0_sel:BYTE_0 src1_sel:DWORD
	s_and_saveexec_b64 s[40:41], s[42:43]
	s_cbranch_execz .LBB1918_50
; %bb.54:                               ;   in Loop: Header=BB1918_52 Depth=1
	s_mov_b64 s[42:43], 0
.LBB1918_55:                            ;   Parent Loop BB1918_52 Depth=1
                                        ; =>  This Inner Loop Header: Depth=2
	global_load_dwordx2 v[17:18], v[21:22], off glc
	s_waitcnt vmcnt(0)
	v_cmp_ne_u16_sdwa s[46:47], v18, v16 src0_sel:BYTE_0 src1_sel:DWORD
	s_or_b64 s[42:43], s[46:47], s[42:43]
	s_andn2_b64 exec, exec, s[42:43]
	s_cbranch_execnz .LBB1918_55
	s_branch .LBB1918_49
.LBB1918_56:
                                        ; implicit-def: $vgpr2
                                        ; implicit-def: $vgpr15
	s_cbranch_execnz .LBB1918_62
	s_branch .LBB1918_71
.LBB1918_57:
	s_and_saveexec_b64 s[40:41], s[16:17]
	s_cbranch_execz .LBB1918_59
; %bb.58:
	s_add_i32 s6, s6, 64
	s_mov_b32 s7, 0
	s_lshl_b64 s[6:7], s[6:7], 3
	s_add_u32 s6, s36, s6
	v_add_u32_e32 v15, v2, v1
	v_mov_b32_e32 v16, 2
	s_addc_u32 s7, s37, s7
	v_mov_b32_e32 v17, 0
	global_store_dwordx2 v17, v[15:16], s[6:7]
	ds_write_b64 v17, v[1:2] offset:13312
.LBB1918_59:
	s_or_b64 exec, exec, s[40:41]
	v_cmp_eq_u32_e32 vcc, 0, v0
	s_and_b64 exec, exec, vcc
; %bb.60:
	v_mov_b32_e32 v1, 0
	ds_write_b32 v1, v2 offset:12
.LBB1918_61:
	s_or_b64 exec, exec, s[20:21]
	v_mov_b32_e32 v1, 0
	s_waitcnt vmcnt(0) lgkmcnt(0)
	s_barrier
	ds_read_b32 v16, v1 offset:12
	s_waitcnt lgkmcnt(0)
	s_barrier
	ds_read_b64 v[1:2], v1 offset:13312
	v_cndmask_b32_e64 v15, v54, v53, s[16:17]
	v_cmp_ne_u32_e32 vcc, 0, v0
	v_cndmask_b32_e32 v15, 0, v15, vcc
	v_add_u32_e32 v15, v16, v15
	s_branch .LBB1918_71
.LBB1918_62:
	s_waitcnt lgkmcnt(0)
	v_mov_b32_dpp v1, v52 row_shr:1 row_mask:0xf bank_mask:0xf
	v_cndmask_b32_e64 v1, v1, 0, s[14:15]
	v_add_u32_e32 v1, v1, v52
	s_nop 1
	v_mov_b32_dpp v2, v1 row_shr:2 row_mask:0xf bank_mask:0xf
	v_cndmask_b32_e64 v2, 0, v2, s[12:13]
	v_add_u32_e32 v1, v1, v2
	s_nop 1
	;; [unrolled: 4-line block ×4, first 2 shown]
	v_mov_b32_dpp v2, v1 row_bcast:15 row_mask:0xf bank_mask:0xf
	v_cndmask_b32_e64 v2, v2, 0, s[18:19]
	v_add_u32_e32 v1, v1, v2
	s_nop 1
	v_mov_b32_dpp v2, v1 row_bcast:31 row_mask:0xf bank_mask:0xf
	v_cndmask_b32_e64 v2, 0, v2, s[2:3]
	v_add_u32_e32 v1, v1, v2
	s_and_saveexec_b64 s[2:3], s[4:5]
; %bb.63:
	v_lshlrev_b32_e32 v2, 2, v51
	ds_write_b32 v2, v1
; %bb.64:
	s_or_b64 exec, exec, s[2:3]
	v_cmp_gt_u32_e32 vcc, 4, v0
	s_waitcnt lgkmcnt(0)
	s_barrier
	s_and_saveexec_b64 s[2:3], vcc
	s_cbranch_execz .LBB1918_66
; %bb.65:
	ds_read_b32 v2, v23
	v_and_b32_e32 v15, 3, v50
	v_cmp_ne_u32_e32 vcc, 0, v15
	s_waitcnt lgkmcnt(0)
	v_mov_b32_dpp v16, v2 row_shr:1 row_mask:0xf bank_mask:0xf
	v_cndmask_b32_e32 v16, 0, v16, vcc
	v_add_u32_e32 v2, v16, v2
	v_cmp_lt_u32_e32 vcc, 1, v15
	s_nop 0
	v_mov_b32_dpp v16, v2 row_shr:2 row_mask:0xf bank_mask:0xf
	v_cndmask_b32_e32 v15, 0, v16, vcc
	v_add_u32_e32 v2, v2, v15
	ds_write_b32 v23, v2
.LBB1918_66:
	s_or_b64 exec, exec, s[2:3]
	v_cmp_lt_u32_e32 vcc, 63, v0
	v_mov_b32_e32 v2, 0
	v_mov_b32_e32 v15, 0
	s_waitcnt lgkmcnt(0)
	s_barrier
	s_and_saveexec_b64 s[2:3], vcc
; %bb.67:
	v_lshl_add_u32 v15, v51, 2, -4
	ds_read_b32 v15, v15
; %bb.68:
	s_or_b64 exec, exec, s[2:3]
	v_subrev_co_u32_e32 v16, vcc, 1, v50
	v_and_b32_e32 v17, 64, v50
	v_cmp_lt_i32_e64 s[2:3], v16, v17
	v_cndmask_b32_e64 v16, v16, v50, s[2:3]
	s_waitcnt lgkmcnt(0)
	v_add_u32_e32 v1, v15, v1
	v_lshlrev_b32_e32 v16, 2, v16
	ds_bpermute_b32 v16, v16, v1
	ds_read_b32 v1, v2 offset:12
	v_cmp_eq_u32_e64 s[2:3], 0, v0
	s_and_saveexec_b64 s[4:5], s[2:3]
	s_cbranch_execz .LBB1918_70
; %bb.69:
	v_mov_b32_e32 v17, 0
	v_mov_b32_e32 v2, 2
	s_waitcnt lgkmcnt(0)
	global_store_dwordx2 v17, v[1:2], s[36:37] offset:512
.LBB1918_70:
	s_or_b64 exec, exec, s[4:5]
	s_waitcnt lgkmcnt(1)
	v_cndmask_b32_e32 v2, v16, v15, vcc
	v_cndmask_b32_e64 v15, v2, 0, s[2:3]
	s_waitcnt vmcnt(0) lgkmcnt(0)
	s_barrier
	v_mov_b32_e32 v2, 0
.LBB1918_71:
	v_add_u32_e32 v16, v15, v39
	v_add_u32_e32 v17, v16, v40
	;; [unrolled: 1-line block ×4, first 2 shown]
	s_waitcnt lgkmcnt(0)
	v_add_u32_e32 v25, v1, v25
	v_sub_u32_e32 v15, v15, v2
	v_and_b32_e32 v26, 1, v26
	v_add_u32_e32 v20, v19, v43
	v_sub_u32_e32 v43, v25, v15
	v_cmp_eq_u32_e32 vcc, 1, v26
	v_cndmask_b32_e32 v15, v43, v15, vcc
	v_lshlrev_b32_e32 v15, 2, v15
	ds_write_b32 v15, v13
	v_sub_u32_e32 v13, v16, v2
	v_sub_u32_e32 v15, v25, v13
	v_and_b32_e32 v16, 1, v27
	v_add_u32_e32 v15, 1, v15
	v_cmp_eq_u32_e32 vcc, 1, v16
	v_cndmask_b32_e32 v13, v15, v13, vcc
	v_lshlrev_b32_e32 v13, 2, v13
	ds_write_b32 v13, v14
	v_sub_u32_e32 v13, v17, v2
	v_sub_u32_e32 v14, v25, v13
	v_and_b32_e32 v15, 1, v28
	v_add_u32_e32 v14, 2, v14
	;; [unrolled: 8-line block ×5, first 2 shown]
	v_cmp_eq_u32_e32 vcc, 1, v12
	v_cndmask_b32_e32 v9, v11, v9, vcc
	v_add_u32_e32 v21, v20, v44
	v_lshlrev_b32_e32 v9, 2, v9
	ds_write_b32 v9, v10
	v_sub_u32_e32 v9, v21, v2
	v_sub_u32_e32 v10, v25, v9
	v_and_b32_e32 v11, 1, v32
	v_add_u32_e32 v10, 6, v10
	v_cmp_eq_u32_e32 vcc, 1, v11
	v_cndmask_b32_e32 v9, v10, v9, vcc
	v_add_u32_e32 v22, v21, v45
	v_lshlrev_b32_e32 v9, 2, v9
	ds_write_b32 v9, v7
	v_sub_u32_e32 v7, v22, v2
	v_sub_u32_e32 v9, v25, v7
	v_and_b32_e32 v10, 1, v33
	v_add_u32_e32 v9, 7, v9
	;; [unrolled: 9-line block ×6, first 2 shown]
	v_cmp_eq_u32_e32 vcc, 1, v6
	v_cndmask_b32_e32 v3, v5, v3, vcc
	v_lshlrev_b32_e32 v3, 2, v3
	ds_write_b32 v3, v4
	v_sub_u32_e32 v3, v38, v2
	v_add_u32_e32 v3, v42, v3
	v_sub_u32_e32 v4, v25, v3
	v_add_u32_e32 v4, 12, v4
	v_cndmask_b32_e64 v3, v4, v3, s[38:39]
	v_lshlrev_b32_e32 v3, 2, v3
	ds_write_b32 v3, v24
	s_waitcnt lgkmcnt(0)
	s_barrier
	ds_read2st64_b32 v[13:14], v23 offset1:4
	ds_read2st64_b32 v[11:12], v23 offset0:8 offset1:12
	ds_read2st64_b32 v[9:10], v23 offset0:16 offset1:20
	;; [unrolled: 1-line block ×5, first 2 shown]
	ds_read_b32 v19, v23 offset:12288
	v_mov_b32_e32 v15, s35
	s_and_b64 vcc, exec, s[0:1]
	v_add_co_u32_e64 v17, s[0:1], s34, v2
	v_or_b32_e32 v33, 0x100, v0
	v_or_b32_e32 v31, 0x200, v0
	;; [unrolled: 1-line block ×12, first 2 shown]
	v_addc_co_u32_e64 v18, s[0:1], 0, v15, s[0:1]
	s_cbranch_vccnz .LBB1918_125
; %bb.72:
	v_mov_b32_e32 v2, s31
	v_subrev_co_u32_e32 v15, vcc, s30, v17
	s_sub_u32 s0, s28, s44
	v_subb_co_u32_e32 v16, vcc, v18, v2, vcc
	s_subb_u32 s1, s29, 0
	v_mov_b32_e32 v2, s1
	v_add_co_u32_e32 v23, vcc, s0, v1
	v_addc_co_u32_e32 v32, vcc, 0, v2, vcc
	v_add_co_u32_e32 v2, vcc, v23, v15
	v_addc_co_u32_e32 v23, vcc, v32, v16, vcc
	v_cmp_ge_u32_e32 vcc, v0, v1
                                        ; implicit-def: $vgpr15_vgpr16
	s_and_saveexec_b64 s[0:1], vcc
	s_xor_b64 s[0:1], exec, s[0:1]
; %bb.73:
	v_not_b32_e32 v15, v0
	v_ashrrev_i32_e32 v16, 31, v15
	v_add_co_u32_e32 v15, vcc, v2, v15
	v_addc_co_u32_e32 v16, vcc, v23, v16, vcc
; %bb.74:
	s_andn2_saveexec_b64 s[0:1], s[0:1]
; %bb.75:
	v_add_co_u32_e32 v15, vcc, v17, v0
	v_addc_co_u32_e32 v16, vcc, 0, v18, vcc
; %bb.76:
	s_or_b64 exec, exec, s[0:1]
	v_lshlrev_b64 v[15:16], 2, v[15:16]
	v_mov_b32_e32 v32, s27
	v_add_co_u32_e32 v15, vcc, s26, v15
	v_addc_co_u32_e32 v16, vcc, v32, v16, vcc
	v_cmp_ge_u32_e32 vcc, v33, v1
	s_waitcnt lgkmcnt(6)
	global_store_dword v[15:16], v13, off
                                        ; implicit-def: $vgpr15_vgpr16
	s_and_saveexec_b64 s[0:1], vcc
	s_xor_b64 s[0:1], exec, s[0:1]
; %bb.77:
	v_xor_b32_e32 v15, 0xfffffeff, v0
	v_ashrrev_i32_e32 v16, 31, v15
	v_add_co_u32_e32 v15, vcc, v2, v15
	v_addc_co_u32_e32 v16, vcc, v23, v16, vcc
; %bb.78:
	s_andn2_saveexec_b64 s[0:1], s[0:1]
; %bb.79:
	v_add_co_u32_e32 v15, vcc, v17, v33
	v_addc_co_u32_e32 v16, vcc, 0, v18, vcc
; %bb.80:
	s_or_b64 exec, exec, s[0:1]
	v_lshlrev_b64 v[15:16], 2, v[15:16]
	v_mov_b32_e32 v32, s27
	v_add_co_u32_e32 v15, vcc, s26, v15
	v_addc_co_u32_e32 v16, vcc, v32, v16, vcc
	v_cmp_ge_u32_e32 vcc, v31, v1
	global_store_dword v[15:16], v14, off
                                        ; implicit-def: $vgpr15_vgpr16
	s_and_saveexec_b64 s[0:1], vcc
	s_xor_b64 s[0:1], exec, s[0:1]
; %bb.81:
	v_xor_b32_e32 v15, 0xfffffdff, v0
	v_ashrrev_i32_e32 v16, 31, v15
	v_add_co_u32_e32 v15, vcc, v2, v15
	v_addc_co_u32_e32 v16, vcc, v23, v16, vcc
; %bb.82:
	s_andn2_saveexec_b64 s[0:1], s[0:1]
; %bb.83:
	v_add_co_u32_e32 v15, vcc, v17, v31
	v_addc_co_u32_e32 v16, vcc, 0, v18, vcc
; %bb.84:
	s_or_b64 exec, exec, s[0:1]
	v_lshlrev_b64 v[15:16], 2, v[15:16]
	v_mov_b32_e32 v32, s27
	v_add_co_u32_e32 v15, vcc, s26, v15
	v_addc_co_u32_e32 v16, vcc, v32, v16, vcc
	v_cmp_ge_u32_e32 vcc, v30, v1
	s_waitcnt lgkmcnt(5)
	global_store_dword v[15:16], v11, off
                                        ; implicit-def: $vgpr15_vgpr16
	s_and_saveexec_b64 s[0:1], vcc
	s_xor_b64 s[0:1], exec, s[0:1]
; %bb.85:
	v_xor_b32_e32 v15, 0xfffffcff, v0
	v_ashrrev_i32_e32 v16, 31, v15
	v_add_co_u32_e32 v15, vcc, v2, v15
	v_addc_co_u32_e32 v16, vcc, v23, v16, vcc
; %bb.86:
	s_andn2_saveexec_b64 s[0:1], s[0:1]
; %bb.87:
	v_add_co_u32_e32 v15, vcc, v17, v30
	v_addc_co_u32_e32 v16, vcc, 0, v18, vcc
; %bb.88:
	s_or_b64 exec, exec, s[0:1]
	v_lshlrev_b64 v[15:16], 2, v[15:16]
	v_mov_b32_e32 v32, s27
	v_add_co_u32_e32 v15, vcc, s26, v15
	v_addc_co_u32_e32 v16, vcc, v32, v16, vcc
	v_cmp_ge_u32_e32 vcc, v29, v1
	global_store_dword v[15:16], v12, off
                                        ; implicit-def: $vgpr15_vgpr16
	s_and_saveexec_b64 s[0:1], vcc
	s_xor_b64 s[0:1], exec, s[0:1]
; %bb.89:
	v_xor_b32_e32 v15, 0xfffffbff, v0
	;; [unrolled: 43-line block ×6, first 2 shown]
	v_ashrrev_i32_e32 v16, 31, v15
	v_add_co_u32_e32 v15, vcc, v2, v15
	v_addc_co_u32_e32 v16, vcc, v23, v16, vcc
; %bb.122:
	s_andn2_saveexec_b64 s[0:1], s[0:1]
; %bb.123:
	v_add_co_u32_e32 v15, vcc, v17, v20
	v_addc_co_u32_e32 v16, vcc, 0, v18, vcc
; %bb.124:
	s_or_b64 exec, exec, s[0:1]
	s_mov_b64 s[0:1], -1
	s_branch .LBB1918_205
.LBB1918_125:
	s_mov_b64 s[0:1], 0
                                        ; implicit-def: $vgpr15_vgpr16
	s_cbranch_execz .LBB1918_205
; %bb.126:
	s_add_u32 s2, s30, s44
	s_addc_u32 s3, s31, 0
	s_sub_u32 s2, s28, s2
	s_subb_u32 s3, s29, s3
	v_mov_b32_e32 v2, s3
	v_add_co_u32_e32 v15, vcc, s2, v1
	v_addc_co_u32_e32 v2, vcc, 0, v2, vcc
	v_add_co_u32_e32 v23, vcc, v15, v17
	v_addc_co_u32_e32 v32, vcc, v2, v18, vcc
	v_cmp_gt_u32_e32 vcc, s33, v0
	s_and_saveexec_b64 s[2:3], vcc
	s_cbranch_execz .LBB1918_162
; %bb.127:
	v_cmp_ge_u32_e32 vcc, v0, v1
                                        ; implicit-def: $vgpr15_vgpr16
	s_and_saveexec_b64 s[4:5], vcc
	s_xor_b64 s[4:5], exec, s[4:5]
; %bb.128:
	v_not_b32_e32 v2, v0
	v_ashrrev_i32_e32 v16, 31, v2
	v_add_co_u32_e32 v15, vcc, v23, v2
	v_addc_co_u32_e32 v16, vcc, v32, v16, vcc
; %bb.129:
	s_andn2_saveexec_b64 s[4:5], s[4:5]
; %bb.130:
	v_add_co_u32_e32 v15, vcc, v17, v0
	v_addc_co_u32_e32 v16, vcc, 0, v18, vcc
; %bb.131:
	s_or_b64 exec, exec, s[4:5]
	v_lshlrev_b64 v[15:16], 2, v[15:16]
	v_mov_b32_e32 v2, s27
	v_add_co_u32_e32 v15, vcc, s26, v15
	v_addc_co_u32_e32 v16, vcc, v2, v16, vcc
	s_waitcnt lgkmcnt(6)
	global_store_dword v[15:16], v13, off
	s_or_b64 exec, exec, s[2:3]
	v_cmp_gt_u32_e32 vcc, s33, v33
	s_and_saveexec_b64 s[2:3], vcc
	s_cbranch_execnz .LBB1918_163
.LBB1918_132:
	s_or_b64 exec, exec, s[2:3]
	v_cmp_gt_u32_e32 vcc, s33, v31
	s_and_saveexec_b64 s[2:3], vcc
	s_cbranch_execz .LBB1918_168
.LBB1918_133:
	v_cmp_ge_u32_e32 vcc, v31, v1
                                        ; implicit-def: $vgpr13_vgpr14
	s_and_saveexec_b64 s[4:5], vcc
	s_xor_b64 s[4:5], exec, s[4:5]
	s_cbranch_execz .LBB1918_135
; %bb.134:
	v_xor_b32_e32 v2, 0xfffffdff, v0
	s_waitcnt lgkmcnt(6)
	v_ashrrev_i32_e32 v14, 31, v2
	v_add_co_u32_e32 v13, vcc, v23, v2
	v_addc_co_u32_e32 v14, vcc, v32, v14, vcc
                                        ; implicit-def: $vgpr31
.LBB1918_135:
	s_andn2_saveexec_b64 s[4:5], s[4:5]
	s_cbranch_execz .LBB1918_137
; %bb.136:
	s_waitcnt lgkmcnt(6)
	v_add_co_u32_e32 v13, vcc, v17, v31
	v_addc_co_u32_e32 v14, vcc, 0, v18, vcc
.LBB1918_137:
	s_or_b64 exec, exec, s[4:5]
	s_waitcnt lgkmcnt(6)
	v_lshlrev_b64 v[13:14], 2, v[13:14]
	v_mov_b32_e32 v2, s27
	v_add_co_u32_e32 v13, vcc, s26, v13
	v_addc_co_u32_e32 v14, vcc, v2, v14, vcc
	s_waitcnt lgkmcnt(5)
	global_store_dword v[13:14], v11, off
	s_or_b64 exec, exec, s[2:3]
	v_cmp_gt_u32_e32 vcc, s33, v30
	s_and_saveexec_b64 s[2:3], vcc
	s_cbranch_execnz .LBB1918_169
.LBB1918_138:
	s_or_b64 exec, exec, s[2:3]
	v_cmp_gt_u32_e32 vcc, s33, v29
	s_and_saveexec_b64 s[2:3], vcc
	s_cbranch_execz .LBB1918_174
.LBB1918_139:
	v_cmp_ge_u32_e32 vcc, v29, v1
                                        ; implicit-def: $vgpr11_vgpr12
	s_and_saveexec_b64 s[4:5], vcc
	s_xor_b64 s[4:5], exec, s[4:5]
	s_cbranch_execz .LBB1918_141
; %bb.140:
	v_xor_b32_e32 v2, 0xfffffbff, v0
	s_waitcnt lgkmcnt(5)
	v_ashrrev_i32_e32 v12, 31, v2
	v_add_co_u32_e32 v11, vcc, v23, v2
	v_addc_co_u32_e32 v12, vcc, v32, v12, vcc
                                        ; implicit-def: $vgpr29
.LBB1918_141:
	s_andn2_saveexec_b64 s[4:5], s[4:5]
	s_cbranch_execz .LBB1918_143
; %bb.142:
	s_waitcnt lgkmcnt(5)
	v_add_co_u32_e32 v11, vcc, v17, v29
	v_addc_co_u32_e32 v12, vcc, 0, v18, vcc
.LBB1918_143:
	s_or_b64 exec, exec, s[4:5]
	s_waitcnt lgkmcnt(5)
	v_lshlrev_b64 v[11:12], 2, v[11:12]
	v_mov_b32_e32 v2, s27
	v_add_co_u32_e32 v11, vcc, s26, v11
	v_addc_co_u32_e32 v12, vcc, v2, v12, vcc
	s_waitcnt lgkmcnt(4)
	global_store_dword v[11:12], v9, off
	s_or_b64 exec, exec, s[2:3]
	v_cmp_gt_u32_e32 vcc, s33, v28
	s_and_saveexec_b64 s[2:3], vcc
	s_cbranch_execnz .LBB1918_175
.LBB1918_144:
	s_or_b64 exec, exec, s[2:3]
	v_cmp_gt_u32_e32 vcc, s33, v27
	s_and_saveexec_b64 s[2:3], vcc
	s_cbranch_execz .LBB1918_180
.LBB1918_145:
	v_cmp_ge_u32_e32 vcc, v27, v1
                                        ; implicit-def: $vgpr9_vgpr10
	s_and_saveexec_b64 s[4:5], vcc
	s_xor_b64 s[4:5], exec, s[4:5]
	s_cbranch_execz .LBB1918_147
; %bb.146:
	v_xor_b32_e32 v2, 0xfffff9ff, v0
	s_waitcnt lgkmcnt(4)
	v_ashrrev_i32_e32 v10, 31, v2
	v_add_co_u32_e32 v9, vcc, v23, v2
	v_addc_co_u32_e32 v10, vcc, v32, v10, vcc
                                        ; implicit-def: $vgpr27
.LBB1918_147:
	s_andn2_saveexec_b64 s[4:5], s[4:5]
	s_cbranch_execz .LBB1918_149
; %bb.148:
	s_waitcnt lgkmcnt(4)
	v_add_co_u32_e32 v9, vcc, v17, v27
	v_addc_co_u32_e32 v10, vcc, 0, v18, vcc
.LBB1918_149:
	s_or_b64 exec, exec, s[4:5]
	s_waitcnt lgkmcnt(4)
	v_lshlrev_b64 v[9:10], 2, v[9:10]
	v_mov_b32_e32 v2, s27
	v_add_co_u32_e32 v9, vcc, s26, v9
	v_addc_co_u32_e32 v10, vcc, v2, v10, vcc
	s_waitcnt lgkmcnt(3)
	global_store_dword v[9:10], v7, off
	s_or_b64 exec, exec, s[2:3]
	v_cmp_gt_u32_e32 vcc, s33, v26
	s_and_saveexec_b64 s[2:3], vcc
	s_cbranch_execnz .LBB1918_181
.LBB1918_150:
	s_or_b64 exec, exec, s[2:3]
	v_cmp_gt_u32_e32 vcc, s33, v25
	s_and_saveexec_b64 s[2:3], vcc
	s_cbranch_execz .LBB1918_186
.LBB1918_151:
	v_cmp_ge_u32_e32 vcc, v25, v1
                                        ; implicit-def: $vgpr7_vgpr8
	s_and_saveexec_b64 s[4:5], vcc
	s_xor_b64 s[4:5], exec, s[4:5]
	s_cbranch_execz .LBB1918_153
; %bb.152:
	v_xor_b32_e32 v2, 0xfffff7ff, v0
	s_waitcnt lgkmcnt(3)
	v_ashrrev_i32_e32 v8, 31, v2
	v_add_co_u32_e32 v7, vcc, v23, v2
	v_addc_co_u32_e32 v8, vcc, v32, v8, vcc
                                        ; implicit-def: $vgpr25
.LBB1918_153:
	s_andn2_saveexec_b64 s[4:5], s[4:5]
	s_cbranch_execz .LBB1918_155
; %bb.154:
	s_waitcnt lgkmcnt(3)
	v_add_co_u32_e32 v7, vcc, v17, v25
	v_addc_co_u32_e32 v8, vcc, 0, v18, vcc
.LBB1918_155:
	s_or_b64 exec, exec, s[4:5]
	s_waitcnt lgkmcnt(3)
	v_lshlrev_b64 v[7:8], 2, v[7:8]
	v_mov_b32_e32 v2, s27
	v_add_co_u32_e32 v7, vcc, s26, v7
	v_addc_co_u32_e32 v8, vcc, v2, v8, vcc
	s_waitcnt lgkmcnt(2)
	global_store_dword v[7:8], v5, off
	s_or_b64 exec, exec, s[2:3]
	v_cmp_gt_u32_e32 vcc, s33, v24
	s_and_saveexec_b64 s[2:3], vcc
	s_cbranch_execnz .LBB1918_187
.LBB1918_156:
	s_or_b64 exec, exec, s[2:3]
	v_cmp_gt_u32_e32 vcc, s33, v22
	s_and_saveexec_b64 s[2:3], vcc
	s_cbranch_execz .LBB1918_192
.LBB1918_157:
	v_cmp_ge_u32_e32 vcc, v22, v1
                                        ; implicit-def: $vgpr5_vgpr6
	s_and_saveexec_b64 s[4:5], vcc
	s_xor_b64 s[4:5], exec, s[4:5]
	s_cbranch_execz .LBB1918_159
; %bb.158:
	v_xor_b32_e32 v2, 0xfffff5ff, v0
	s_waitcnt lgkmcnt(2)
	v_ashrrev_i32_e32 v6, 31, v2
	v_add_co_u32_e32 v5, vcc, v23, v2
	v_addc_co_u32_e32 v6, vcc, v32, v6, vcc
                                        ; implicit-def: $vgpr22
.LBB1918_159:
	s_andn2_saveexec_b64 s[4:5], s[4:5]
	s_cbranch_execz .LBB1918_161
; %bb.160:
	s_waitcnt lgkmcnt(2)
	v_add_co_u32_e32 v5, vcc, v17, v22
	v_addc_co_u32_e32 v6, vcc, 0, v18, vcc
.LBB1918_161:
	s_or_b64 exec, exec, s[4:5]
	s_waitcnt lgkmcnt(2)
	v_lshlrev_b64 v[5:6], 2, v[5:6]
	v_mov_b32_e32 v2, s27
	v_add_co_u32_e32 v5, vcc, s26, v5
	v_addc_co_u32_e32 v6, vcc, v2, v6, vcc
	s_waitcnt lgkmcnt(1)
	global_store_dword v[5:6], v3, off
	s_or_b64 exec, exec, s[2:3]
	v_cmp_gt_u32_e32 vcc, s33, v21
	s_and_saveexec_b64 s[2:3], vcc
	s_cbranch_execz .LBB1918_198
	s_branch .LBB1918_193
.LBB1918_162:
	s_or_b64 exec, exec, s[2:3]
	v_cmp_gt_u32_e32 vcc, s33, v33
	s_and_saveexec_b64 s[2:3], vcc
	s_cbranch_execz .LBB1918_132
.LBB1918_163:
	v_cmp_ge_u32_e32 vcc, v33, v1
                                        ; implicit-def: $vgpr15_vgpr16
	s_and_saveexec_b64 s[4:5], vcc
	s_xor_b64 s[4:5], exec, s[4:5]
	s_cbranch_execz .LBB1918_165
; %bb.164:
	v_xor_b32_e32 v2, 0xfffffeff, v0
	s_waitcnt lgkmcnt(6)
	v_ashrrev_i32_e32 v13, 31, v2
	v_add_co_u32_e32 v15, vcc, v23, v2
	v_addc_co_u32_e32 v16, vcc, v32, v13, vcc
                                        ; implicit-def: $vgpr33
.LBB1918_165:
	s_andn2_saveexec_b64 s[4:5], s[4:5]
; %bb.166:
	v_add_co_u32_e32 v15, vcc, v17, v33
	v_addc_co_u32_e32 v16, vcc, 0, v18, vcc
; %bb.167:
	s_or_b64 exec, exec, s[4:5]
	v_lshlrev_b64 v[15:16], 2, v[15:16]
	v_mov_b32_e32 v2, s27
	v_add_co_u32_e32 v15, vcc, s26, v15
	v_addc_co_u32_e32 v16, vcc, v2, v16, vcc
	s_waitcnt lgkmcnt(6)
	global_store_dword v[15:16], v14, off
	s_or_b64 exec, exec, s[2:3]
	v_cmp_gt_u32_e32 vcc, s33, v31
	s_and_saveexec_b64 s[2:3], vcc
	s_cbranch_execnz .LBB1918_133
.LBB1918_168:
	s_or_b64 exec, exec, s[2:3]
	v_cmp_gt_u32_e32 vcc, s33, v30
	s_and_saveexec_b64 s[2:3], vcc
	s_cbranch_execz .LBB1918_138
.LBB1918_169:
	v_cmp_ge_u32_e32 vcc, v30, v1
                                        ; implicit-def: $vgpr13_vgpr14
	s_and_saveexec_b64 s[4:5], vcc
	s_xor_b64 s[4:5], exec, s[4:5]
	s_cbranch_execz .LBB1918_171
; %bb.170:
	v_xor_b32_e32 v2, 0xfffffcff, v0
	s_waitcnt lgkmcnt(5)
	v_ashrrev_i32_e32 v11, 31, v2
	v_add_co_u32_e32 v13, vcc, v23, v2
	v_addc_co_u32_e32 v14, vcc, v32, v11, vcc
                                        ; implicit-def: $vgpr30
.LBB1918_171:
	s_andn2_saveexec_b64 s[4:5], s[4:5]
	s_cbranch_execz .LBB1918_173
; %bb.172:
	s_waitcnt lgkmcnt(6)
	v_add_co_u32_e32 v13, vcc, v17, v30
	v_addc_co_u32_e32 v14, vcc, 0, v18, vcc
.LBB1918_173:
	s_or_b64 exec, exec, s[4:5]
	s_waitcnt lgkmcnt(6)
	v_lshlrev_b64 v[13:14], 2, v[13:14]
	v_mov_b32_e32 v2, s27
	v_add_co_u32_e32 v13, vcc, s26, v13
	v_addc_co_u32_e32 v14, vcc, v2, v14, vcc
	s_waitcnt lgkmcnt(5)
	global_store_dword v[13:14], v12, off
	s_or_b64 exec, exec, s[2:3]
	v_cmp_gt_u32_e32 vcc, s33, v29
	s_and_saveexec_b64 s[2:3], vcc
	s_cbranch_execnz .LBB1918_139
.LBB1918_174:
	s_or_b64 exec, exec, s[2:3]
	v_cmp_gt_u32_e32 vcc, s33, v28
	s_and_saveexec_b64 s[2:3], vcc
	s_cbranch_execz .LBB1918_144
.LBB1918_175:
	v_cmp_ge_u32_e32 vcc, v28, v1
                                        ; implicit-def: $vgpr11_vgpr12
	s_and_saveexec_b64 s[4:5], vcc
	s_xor_b64 s[4:5], exec, s[4:5]
	s_cbranch_execz .LBB1918_177
; %bb.176:
	v_xor_b32_e32 v2, 0xfffffaff, v0
	s_waitcnt lgkmcnt(4)
	v_ashrrev_i32_e32 v9, 31, v2
	v_add_co_u32_e32 v11, vcc, v23, v2
	v_addc_co_u32_e32 v12, vcc, v32, v9, vcc
                                        ; implicit-def: $vgpr28
.LBB1918_177:
	s_andn2_saveexec_b64 s[4:5], s[4:5]
	s_cbranch_execz .LBB1918_179
; %bb.178:
	s_waitcnt lgkmcnt(5)
	v_add_co_u32_e32 v11, vcc, v17, v28
	v_addc_co_u32_e32 v12, vcc, 0, v18, vcc
.LBB1918_179:
	s_or_b64 exec, exec, s[4:5]
	s_waitcnt lgkmcnt(5)
	v_lshlrev_b64 v[11:12], 2, v[11:12]
	v_mov_b32_e32 v2, s27
	v_add_co_u32_e32 v11, vcc, s26, v11
	v_addc_co_u32_e32 v12, vcc, v2, v12, vcc
	s_waitcnt lgkmcnt(4)
	global_store_dword v[11:12], v10, off
	s_or_b64 exec, exec, s[2:3]
	v_cmp_gt_u32_e32 vcc, s33, v27
	s_and_saveexec_b64 s[2:3], vcc
	s_cbranch_execnz .LBB1918_145
.LBB1918_180:
	s_or_b64 exec, exec, s[2:3]
	v_cmp_gt_u32_e32 vcc, s33, v26
	s_and_saveexec_b64 s[2:3], vcc
	s_cbranch_execz .LBB1918_150
.LBB1918_181:
	v_cmp_ge_u32_e32 vcc, v26, v1
                                        ; implicit-def: $vgpr9_vgpr10
	s_and_saveexec_b64 s[4:5], vcc
	s_xor_b64 s[4:5], exec, s[4:5]
	s_cbranch_execz .LBB1918_183
; %bb.182:
	v_xor_b32_e32 v2, 0xfffff8ff, v0
	s_waitcnt lgkmcnt(3)
	v_ashrrev_i32_e32 v7, 31, v2
	v_add_co_u32_e32 v9, vcc, v23, v2
	v_addc_co_u32_e32 v10, vcc, v32, v7, vcc
                                        ; implicit-def: $vgpr26
.LBB1918_183:
	s_andn2_saveexec_b64 s[4:5], s[4:5]
	s_cbranch_execz .LBB1918_185
; %bb.184:
	s_waitcnt lgkmcnt(4)
	v_add_co_u32_e32 v9, vcc, v17, v26
	v_addc_co_u32_e32 v10, vcc, 0, v18, vcc
.LBB1918_185:
	s_or_b64 exec, exec, s[4:5]
	s_waitcnt lgkmcnt(4)
	v_lshlrev_b64 v[9:10], 2, v[9:10]
	v_mov_b32_e32 v2, s27
	v_add_co_u32_e32 v9, vcc, s26, v9
	v_addc_co_u32_e32 v10, vcc, v2, v10, vcc
	s_waitcnt lgkmcnt(3)
	global_store_dword v[9:10], v8, off
	s_or_b64 exec, exec, s[2:3]
	v_cmp_gt_u32_e32 vcc, s33, v25
	s_and_saveexec_b64 s[2:3], vcc
	s_cbranch_execnz .LBB1918_151
.LBB1918_186:
	s_or_b64 exec, exec, s[2:3]
	v_cmp_gt_u32_e32 vcc, s33, v24
	s_and_saveexec_b64 s[2:3], vcc
	s_cbranch_execz .LBB1918_156
.LBB1918_187:
	v_cmp_ge_u32_e32 vcc, v24, v1
                                        ; implicit-def: $vgpr7_vgpr8
	s_and_saveexec_b64 s[4:5], vcc
	s_xor_b64 s[4:5], exec, s[4:5]
	s_cbranch_execz .LBB1918_189
; %bb.188:
	v_xor_b32_e32 v2, 0xfffff6ff, v0
	s_waitcnt lgkmcnt(2)
	v_ashrrev_i32_e32 v5, 31, v2
	v_add_co_u32_e32 v7, vcc, v23, v2
	v_addc_co_u32_e32 v8, vcc, v32, v5, vcc
                                        ; implicit-def: $vgpr24
.LBB1918_189:
	s_andn2_saveexec_b64 s[4:5], s[4:5]
	s_cbranch_execz .LBB1918_191
; %bb.190:
	s_waitcnt lgkmcnt(3)
	v_add_co_u32_e32 v7, vcc, v17, v24
	v_addc_co_u32_e32 v8, vcc, 0, v18, vcc
.LBB1918_191:
	s_or_b64 exec, exec, s[4:5]
	s_waitcnt lgkmcnt(3)
	v_lshlrev_b64 v[7:8], 2, v[7:8]
	v_mov_b32_e32 v2, s27
	v_add_co_u32_e32 v7, vcc, s26, v7
	v_addc_co_u32_e32 v8, vcc, v2, v8, vcc
	s_waitcnt lgkmcnt(2)
	global_store_dword v[7:8], v6, off
	s_or_b64 exec, exec, s[2:3]
	v_cmp_gt_u32_e32 vcc, s33, v22
	s_and_saveexec_b64 s[2:3], vcc
	s_cbranch_execnz .LBB1918_157
.LBB1918_192:
	s_or_b64 exec, exec, s[2:3]
	v_cmp_gt_u32_e32 vcc, s33, v21
	s_and_saveexec_b64 s[2:3], vcc
	s_cbranch_execz .LBB1918_198
.LBB1918_193:
	v_cmp_ge_u32_e32 vcc, v21, v1
                                        ; implicit-def: $vgpr2_vgpr3
	s_and_saveexec_b64 s[4:5], vcc
	s_xor_b64 s[4:5], exec, s[4:5]
	s_cbranch_execz .LBB1918_195
; %bb.194:
	v_xor_b32_e32 v2, 0xfffff4ff, v0
	s_waitcnt lgkmcnt(1)
	v_ashrrev_i32_e32 v3, 31, v2
	v_add_co_u32_e32 v2, vcc, v23, v2
	v_addc_co_u32_e32 v3, vcc, v32, v3, vcc
                                        ; implicit-def: $vgpr21
.LBB1918_195:
	s_andn2_saveexec_b64 s[4:5], s[4:5]
	s_cbranch_execz .LBB1918_197
; %bb.196:
	v_add_co_u32_e32 v2, vcc, v17, v21
	s_waitcnt lgkmcnt(1)
	v_addc_co_u32_e32 v3, vcc, 0, v18, vcc
.LBB1918_197:
	s_or_b64 exec, exec, s[4:5]
	s_waitcnt lgkmcnt(1)
	v_lshlrev_b64 v[2:3], 2, v[2:3]
	v_mov_b32_e32 v5, s27
	v_add_co_u32_e32 v2, vcc, s26, v2
	v_addc_co_u32_e32 v3, vcc, v5, v3, vcc
	global_store_dword v[2:3], v4, off
.LBB1918_198:
	s_or_b64 exec, exec, s[2:3]
	v_cmp_gt_u32_e32 vcc, s33, v20
                                        ; implicit-def: $vgpr15_vgpr16
	s_and_saveexec_b64 s[2:3], vcc
	s_cbranch_execz .LBB1918_204
; %bb.199:
	v_cmp_ge_u32_e32 vcc, v20, v1
                                        ; implicit-def: $vgpr15_vgpr16
	s_and_saveexec_b64 s[4:5], vcc
	s_xor_b64 s[4:5], exec, s[4:5]
	s_cbranch_execz .LBB1918_201
; %bb.200:
	v_xor_b32_e32 v2, 0xfffff3ff, v0
	s_waitcnt lgkmcnt(1)
	v_ashrrev_i32_e32 v3, 31, v2
	v_add_co_u32_e32 v15, vcc, v23, v2
	v_addc_co_u32_e32 v16, vcc, v32, v3, vcc
                                        ; implicit-def: $vgpr20
.LBB1918_201:
	s_andn2_saveexec_b64 s[4:5], s[4:5]
; %bb.202:
	v_add_co_u32_e32 v15, vcc, v17, v20
	v_addc_co_u32_e32 v16, vcc, 0, v18, vcc
; %bb.203:
	s_or_b64 exec, exec, s[4:5]
	s_or_b64 s[0:1], s[0:1], exec
.LBB1918_204:
	s_or_b64 exec, exec, s[2:3]
.LBB1918_205:
	s_and_saveexec_b64 s[2:3], s[0:1]
	s_cbranch_execz .LBB1918_207
; %bb.206:
	s_waitcnt lgkmcnt(1)
	v_lshlrev_b64 v[2:3], 2, v[15:16]
	v_mov_b32_e32 v4, s27
	v_add_co_u32_e32 v2, vcc, s26, v2
	v_addc_co_u32_e32 v3, vcc, v4, v3, vcc
	s_waitcnt lgkmcnt(0)
	global_store_dword v[2:3], v19, off
.LBB1918_207:
	s_or_b64 exec, exec, s[2:3]
	v_cmp_eq_u32_e32 vcc, 0, v0
	s_and_b64 s[0:1], vcc, s[22:23]
	s_and_saveexec_b64 s[2:3], s[0:1]
	s_cbranch_execz .LBB1918_209
; %bb.208:
	v_add_co_u32_e32 v0, vcc, v17, v1
	v_mov_b32_e32 v2, 0
	v_addc_co_u32_e32 v1, vcc, 0, v18, vcc
	global_store_dwordx2 v2, v[0:1], s[24:25]
.LBB1918_209:
	s_endpgm
	.section	.rodata,"a",@progbits
	.p2align	6, 0x0
	.amdhsa_kernel _ZN7rocprim17ROCPRIM_400000_NS6detail17trampoline_kernelINS0_13select_configILj256ELj13ELNS0_17block_load_methodE3ELS4_3ELS4_3ELNS0_20block_scan_algorithmE0ELj4294967295EEENS1_25partition_config_selectorILNS1_17partition_subalgoE3EjNS0_10empty_typeEbEEZZNS1_14partition_implILS8_3ELb0ES6_jNS0_17counting_iteratorIjlEEPS9_SE_NS0_5tupleIJPjSE_EEENSF_IJSE_SE_EEES9_SG_JZNS1_25segmented_radix_sort_implINS0_14default_configELb1EPK12hip_bfloat16PSL_PKlPlN2at6native12_GLOBAL__N_18offset_tEEE10hipError_tPvRmT1_PNSt15iterator_traitsISZ_E10value_typeET2_T3_PNS10_IS15_E10value_typeET4_jRbjT5_S1B_jjP12ihipStream_tbEUljE_EEESW_SX_SY_S15_S19_S1B_T6_T7_T9_mT8_S1D_bDpT10_ENKUlT_T0_E_clISt17integral_constantIbLb0EES1Q_EEDaS1L_S1M_EUlS1L_E_NS1_11comp_targetILNS1_3genE2ELNS1_11target_archE906ELNS1_3gpuE6ELNS1_3repE0EEENS1_30default_config_static_selectorELNS0_4arch9wavefront6targetE1EEEvSZ_
		.amdhsa_group_segment_fixed_size 13320
		.amdhsa_private_segment_fixed_size 0
		.amdhsa_kernarg_size 144
		.amdhsa_user_sgpr_count 6
		.amdhsa_user_sgpr_private_segment_buffer 1
		.amdhsa_user_sgpr_dispatch_ptr 0
		.amdhsa_user_sgpr_queue_ptr 0
		.amdhsa_user_sgpr_kernarg_segment_ptr 1
		.amdhsa_user_sgpr_dispatch_id 0
		.amdhsa_user_sgpr_flat_scratch_init 0
		.amdhsa_user_sgpr_private_segment_size 0
		.amdhsa_uses_dynamic_stack 0
		.amdhsa_system_sgpr_private_segment_wavefront_offset 0
		.amdhsa_system_sgpr_workgroup_id_x 1
		.amdhsa_system_sgpr_workgroup_id_y 0
		.amdhsa_system_sgpr_workgroup_id_z 0
		.amdhsa_system_sgpr_workgroup_info 0
		.amdhsa_system_vgpr_workitem_id 0
		.amdhsa_next_free_vgpr 69
		.amdhsa_next_free_sgpr 98
		.amdhsa_reserve_vcc 1
		.amdhsa_reserve_flat_scratch 0
		.amdhsa_float_round_mode_32 0
		.amdhsa_float_round_mode_16_64 0
		.amdhsa_float_denorm_mode_32 3
		.amdhsa_float_denorm_mode_16_64 3
		.amdhsa_dx10_clamp 1
		.amdhsa_ieee_mode 1
		.amdhsa_fp16_overflow 0
		.amdhsa_exception_fp_ieee_invalid_op 0
		.amdhsa_exception_fp_denorm_src 0
		.amdhsa_exception_fp_ieee_div_zero 0
		.amdhsa_exception_fp_ieee_overflow 0
		.amdhsa_exception_fp_ieee_underflow 0
		.amdhsa_exception_fp_ieee_inexact 0
		.amdhsa_exception_int_div_zero 0
	.end_amdhsa_kernel
	.section	.text._ZN7rocprim17ROCPRIM_400000_NS6detail17trampoline_kernelINS0_13select_configILj256ELj13ELNS0_17block_load_methodE3ELS4_3ELS4_3ELNS0_20block_scan_algorithmE0ELj4294967295EEENS1_25partition_config_selectorILNS1_17partition_subalgoE3EjNS0_10empty_typeEbEEZZNS1_14partition_implILS8_3ELb0ES6_jNS0_17counting_iteratorIjlEEPS9_SE_NS0_5tupleIJPjSE_EEENSF_IJSE_SE_EEES9_SG_JZNS1_25segmented_radix_sort_implINS0_14default_configELb1EPK12hip_bfloat16PSL_PKlPlN2at6native12_GLOBAL__N_18offset_tEEE10hipError_tPvRmT1_PNSt15iterator_traitsISZ_E10value_typeET2_T3_PNS10_IS15_E10value_typeET4_jRbjT5_S1B_jjP12ihipStream_tbEUljE_EEESW_SX_SY_S15_S19_S1B_T6_T7_T9_mT8_S1D_bDpT10_ENKUlT_T0_E_clISt17integral_constantIbLb0EES1Q_EEDaS1L_S1M_EUlS1L_E_NS1_11comp_targetILNS1_3genE2ELNS1_11target_archE906ELNS1_3gpuE6ELNS1_3repE0EEENS1_30default_config_static_selectorELNS0_4arch9wavefront6targetE1EEEvSZ_,"axG",@progbits,_ZN7rocprim17ROCPRIM_400000_NS6detail17trampoline_kernelINS0_13select_configILj256ELj13ELNS0_17block_load_methodE3ELS4_3ELS4_3ELNS0_20block_scan_algorithmE0ELj4294967295EEENS1_25partition_config_selectorILNS1_17partition_subalgoE3EjNS0_10empty_typeEbEEZZNS1_14partition_implILS8_3ELb0ES6_jNS0_17counting_iteratorIjlEEPS9_SE_NS0_5tupleIJPjSE_EEENSF_IJSE_SE_EEES9_SG_JZNS1_25segmented_radix_sort_implINS0_14default_configELb1EPK12hip_bfloat16PSL_PKlPlN2at6native12_GLOBAL__N_18offset_tEEE10hipError_tPvRmT1_PNSt15iterator_traitsISZ_E10value_typeET2_T3_PNS10_IS15_E10value_typeET4_jRbjT5_S1B_jjP12ihipStream_tbEUljE_EEESW_SX_SY_S15_S19_S1B_T6_T7_T9_mT8_S1D_bDpT10_ENKUlT_T0_E_clISt17integral_constantIbLb0EES1Q_EEDaS1L_S1M_EUlS1L_E_NS1_11comp_targetILNS1_3genE2ELNS1_11target_archE906ELNS1_3gpuE6ELNS1_3repE0EEENS1_30default_config_static_selectorELNS0_4arch9wavefront6targetE1EEEvSZ_,comdat
.Lfunc_end1918:
	.size	_ZN7rocprim17ROCPRIM_400000_NS6detail17trampoline_kernelINS0_13select_configILj256ELj13ELNS0_17block_load_methodE3ELS4_3ELS4_3ELNS0_20block_scan_algorithmE0ELj4294967295EEENS1_25partition_config_selectorILNS1_17partition_subalgoE3EjNS0_10empty_typeEbEEZZNS1_14partition_implILS8_3ELb0ES6_jNS0_17counting_iteratorIjlEEPS9_SE_NS0_5tupleIJPjSE_EEENSF_IJSE_SE_EEES9_SG_JZNS1_25segmented_radix_sort_implINS0_14default_configELb1EPK12hip_bfloat16PSL_PKlPlN2at6native12_GLOBAL__N_18offset_tEEE10hipError_tPvRmT1_PNSt15iterator_traitsISZ_E10value_typeET2_T3_PNS10_IS15_E10value_typeET4_jRbjT5_S1B_jjP12ihipStream_tbEUljE_EEESW_SX_SY_S15_S19_S1B_T6_T7_T9_mT8_S1D_bDpT10_ENKUlT_T0_E_clISt17integral_constantIbLb0EES1Q_EEDaS1L_S1M_EUlS1L_E_NS1_11comp_targetILNS1_3genE2ELNS1_11target_archE906ELNS1_3gpuE6ELNS1_3repE0EEENS1_30default_config_static_selectorELNS0_4arch9wavefront6targetE1EEEvSZ_, .Lfunc_end1918-_ZN7rocprim17ROCPRIM_400000_NS6detail17trampoline_kernelINS0_13select_configILj256ELj13ELNS0_17block_load_methodE3ELS4_3ELS4_3ELNS0_20block_scan_algorithmE0ELj4294967295EEENS1_25partition_config_selectorILNS1_17partition_subalgoE3EjNS0_10empty_typeEbEEZZNS1_14partition_implILS8_3ELb0ES6_jNS0_17counting_iteratorIjlEEPS9_SE_NS0_5tupleIJPjSE_EEENSF_IJSE_SE_EEES9_SG_JZNS1_25segmented_radix_sort_implINS0_14default_configELb1EPK12hip_bfloat16PSL_PKlPlN2at6native12_GLOBAL__N_18offset_tEEE10hipError_tPvRmT1_PNSt15iterator_traitsISZ_E10value_typeET2_T3_PNS10_IS15_E10value_typeET4_jRbjT5_S1B_jjP12ihipStream_tbEUljE_EEESW_SX_SY_S15_S19_S1B_T6_T7_T9_mT8_S1D_bDpT10_ENKUlT_T0_E_clISt17integral_constantIbLb0EES1Q_EEDaS1L_S1M_EUlS1L_E_NS1_11comp_targetILNS1_3genE2ELNS1_11target_archE906ELNS1_3gpuE6ELNS1_3repE0EEENS1_30default_config_static_selectorELNS0_4arch9wavefront6targetE1EEEvSZ_
                                        ; -- End function
	.set _ZN7rocprim17ROCPRIM_400000_NS6detail17trampoline_kernelINS0_13select_configILj256ELj13ELNS0_17block_load_methodE3ELS4_3ELS4_3ELNS0_20block_scan_algorithmE0ELj4294967295EEENS1_25partition_config_selectorILNS1_17partition_subalgoE3EjNS0_10empty_typeEbEEZZNS1_14partition_implILS8_3ELb0ES6_jNS0_17counting_iteratorIjlEEPS9_SE_NS0_5tupleIJPjSE_EEENSF_IJSE_SE_EEES9_SG_JZNS1_25segmented_radix_sort_implINS0_14default_configELb1EPK12hip_bfloat16PSL_PKlPlN2at6native12_GLOBAL__N_18offset_tEEE10hipError_tPvRmT1_PNSt15iterator_traitsISZ_E10value_typeET2_T3_PNS10_IS15_E10value_typeET4_jRbjT5_S1B_jjP12ihipStream_tbEUljE_EEESW_SX_SY_S15_S19_S1B_T6_T7_T9_mT8_S1D_bDpT10_ENKUlT_T0_E_clISt17integral_constantIbLb0EES1Q_EEDaS1L_S1M_EUlS1L_E_NS1_11comp_targetILNS1_3genE2ELNS1_11target_archE906ELNS1_3gpuE6ELNS1_3repE0EEENS1_30default_config_static_selectorELNS0_4arch9wavefront6targetE1EEEvSZ_.num_vgpr, 69
	.set _ZN7rocprim17ROCPRIM_400000_NS6detail17trampoline_kernelINS0_13select_configILj256ELj13ELNS0_17block_load_methodE3ELS4_3ELS4_3ELNS0_20block_scan_algorithmE0ELj4294967295EEENS1_25partition_config_selectorILNS1_17partition_subalgoE3EjNS0_10empty_typeEbEEZZNS1_14partition_implILS8_3ELb0ES6_jNS0_17counting_iteratorIjlEEPS9_SE_NS0_5tupleIJPjSE_EEENSF_IJSE_SE_EEES9_SG_JZNS1_25segmented_radix_sort_implINS0_14default_configELb1EPK12hip_bfloat16PSL_PKlPlN2at6native12_GLOBAL__N_18offset_tEEE10hipError_tPvRmT1_PNSt15iterator_traitsISZ_E10value_typeET2_T3_PNS10_IS15_E10value_typeET4_jRbjT5_S1B_jjP12ihipStream_tbEUljE_EEESW_SX_SY_S15_S19_S1B_T6_T7_T9_mT8_S1D_bDpT10_ENKUlT_T0_E_clISt17integral_constantIbLb0EES1Q_EEDaS1L_S1M_EUlS1L_E_NS1_11comp_targetILNS1_3genE2ELNS1_11target_archE906ELNS1_3gpuE6ELNS1_3repE0EEENS1_30default_config_static_selectorELNS0_4arch9wavefront6targetE1EEEvSZ_.num_agpr, 0
	.set _ZN7rocprim17ROCPRIM_400000_NS6detail17trampoline_kernelINS0_13select_configILj256ELj13ELNS0_17block_load_methodE3ELS4_3ELS4_3ELNS0_20block_scan_algorithmE0ELj4294967295EEENS1_25partition_config_selectorILNS1_17partition_subalgoE3EjNS0_10empty_typeEbEEZZNS1_14partition_implILS8_3ELb0ES6_jNS0_17counting_iteratorIjlEEPS9_SE_NS0_5tupleIJPjSE_EEENSF_IJSE_SE_EEES9_SG_JZNS1_25segmented_radix_sort_implINS0_14default_configELb1EPK12hip_bfloat16PSL_PKlPlN2at6native12_GLOBAL__N_18offset_tEEE10hipError_tPvRmT1_PNSt15iterator_traitsISZ_E10value_typeET2_T3_PNS10_IS15_E10value_typeET4_jRbjT5_S1B_jjP12ihipStream_tbEUljE_EEESW_SX_SY_S15_S19_S1B_T6_T7_T9_mT8_S1D_bDpT10_ENKUlT_T0_E_clISt17integral_constantIbLb0EES1Q_EEDaS1L_S1M_EUlS1L_E_NS1_11comp_targetILNS1_3genE2ELNS1_11target_archE906ELNS1_3gpuE6ELNS1_3repE0EEENS1_30default_config_static_selectorELNS0_4arch9wavefront6targetE1EEEvSZ_.numbered_sgpr, 48
	.set _ZN7rocprim17ROCPRIM_400000_NS6detail17trampoline_kernelINS0_13select_configILj256ELj13ELNS0_17block_load_methodE3ELS4_3ELS4_3ELNS0_20block_scan_algorithmE0ELj4294967295EEENS1_25partition_config_selectorILNS1_17partition_subalgoE3EjNS0_10empty_typeEbEEZZNS1_14partition_implILS8_3ELb0ES6_jNS0_17counting_iteratorIjlEEPS9_SE_NS0_5tupleIJPjSE_EEENSF_IJSE_SE_EEES9_SG_JZNS1_25segmented_radix_sort_implINS0_14default_configELb1EPK12hip_bfloat16PSL_PKlPlN2at6native12_GLOBAL__N_18offset_tEEE10hipError_tPvRmT1_PNSt15iterator_traitsISZ_E10value_typeET2_T3_PNS10_IS15_E10value_typeET4_jRbjT5_S1B_jjP12ihipStream_tbEUljE_EEESW_SX_SY_S15_S19_S1B_T6_T7_T9_mT8_S1D_bDpT10_ENKUlT_T0_E_clISt17integral_constantIbLb0EES1Q_EEDaS1L_S1M_EUlS1L_E_NS1_11comp_targetILNS1_3genE2ELNS1_11target_archE906ELNS1_3gpuE6ELNS1_3repE0EEENS1_30default_config_static_selectorELNS0_4arch9wavefront6targetE1EEEvSZ_.num_named_barrier, 0
	.set _ZN7rocprim17ROCPRIM_400000_NS6detail17trampoline_kernelINS0_13select_configILj256ELj13ELNS0_17block_load_methodE3ELS4_3ELS4_3ELNS0_20block_scan_algorithmE0ELj4294967295EEENS1_25partition_config_selectorILNS1_17partition_subalgoE3EjNS0_10empty_typeEbEEZZNS1_14partition_implILS8_3ELb0ES6_jNS0_17counting_iteratorIjlEEPS9_SE_NS0_5tupleIJPjSE_EEENSF_IJSE_SE_EEES9_SG_JZNS1_25segmented_radix_sort_implINS0_14default_configELb1EPK12hip_bfloat16PSL_PKlPlN2at6native12_GLOBAL__N_18offset_tEEE10hipError_tPvRmT1_PNSt15iterator_traitsISZ_E10value_typeET2_T3_PNS10_IS15_E10value_typeET4_jRbjT5_S1B_jjP12ihipStream_tbEUljE_EEESW_SX_SY_S15_S19_S1B_T6_T7_T9_mT8_S1D_bDpT10_ENKUlT_T0_E_clISt17integral_constantIbLb0EES1Q_EEDaS1L_S1M_EUlS1L_E_NS1_11comp_targetILNS1_3genE2ELNS1_11target_archE906ELNS1_3gpuE6ELNS1_3repE0EEENS1_30default_config_static_selectorELNS0_4arch9wavefront6targetE1EEEvSZ_.private_seg_size, 0
	.set _ZN7rocprim17ROCPRIM_400000_NS6detail17trampoline_kernelINS0_13select_configILj256ELj13ELNS0_17block_load_methodE3ELS4_3ELS4_3ELNS0_20block_scan_algorithmE0ELj4294967295EEENS1_25partition_config_selectorILNS1_17partition_subalgoE3EjNS0_10empty_typeEbEEZZNS1_14partition_implILS8_3ELb0ES6_jNS0_17counting_iteratorIjlEEPS9_SE_NS0_5tupleIJPjSE_EEENSF_IJSE_SE_EEES9_SG_JZNS1_25segmented_radix_sort_implINS0_14default_configELb1EPK12hip_bfloat16PSL_PKlPlN2at6native12_GLOBAL__N_18offset_tEEE10hipError_tPvRmT1_PNSt15iterator_traitsISZ_E10value_typeET2_T3_PNS10_IS15_E10value_typeET4_jRbjT5_S1B_jjP12ihipStream_tbEUljE_EEESW_SX_SY_S15_S19_S1B_T6_T7_T9_mT8_S1D_bDpT10_ENKUlT_T0_E_clISt17integral_constantIbLb0EES1Q_EEDaS1L_S1M_EUlS1L_E_NS1_11comp_targetILNS1_3genE2ELNS1_11target_archE906ELNS1_3gpuE6ELNS1_3repE0EEENS1_30default_config_static_selectorELNS0_4arch9wavefront6targetE1EEEvSZ_.uses_vcc, 1
	.set _ZN7rocprim17ROCPRIM_400000_NS6detail17trampoline_kernelINS0_13select_configILj256ELj13ELNS0_17block_load_methodE3ELS4_3ELS4_3ELNS0_20block_scan_algorithmE0ELj4294967295EEENS1_25partition_config_selectorILNS1_17partition_subalgoE3EjNS0_10empty_typeEbEEZZNS1_14partition_implILS8_3ELb0ES6_jNS0_17counting_iteratorIjlEEPS9_SE_NS0_5tupleIJPjSE_EEENSF_IJSE_SE_EEES9_SG_JZNS1_25segmented_radix_sort_implINS0_14default_configELb1EPK12hip_bfloat16PSL_PKlPlN2at6native12_GLOBAL__N_18offset_tEEE10hipError_tPvRmT1_PNSt15iterator_traitsISZ_E10value_typeET2_T3_PNS10_IS15_E10value_typeET4_jRbjT5_S1B_jjP12ihipStream_tbEUljE_EEESW_SX_SY_S15_S19_S1B_T6_T7_T9_mT8_S1D_bDpT10_ENKUlT_T0_E_clISt17integral_constantIbLb0EES1Q_EEDaS1L_S1M_EUlS1L_E_NS1_11comp_targetILNS1_3genE2ELNS1_11target_archE906ELNS1_3gpuE6ELNS1_3repE0EEENS1_30default_config_static_selectorELNS0_4arch9wavefront6targetE1EEEvSZ_.uses_flat_scratch, 0
	.set _ZN7rocprim17ROCPRIM_400000_NS6detail17trampoline_kernelINS0_13select_configILj256ELj13ELNS0_17block_load_methodE3ELS4_3ELS4_3ELNS0_20block_scan_algorithmE0ELj4294967295EEENS1_25partition_config_selectorILNS1_17partition_subalgoE3EjNS0_10empty_typeEbEEZZNS1_14partition_implILS8_3ELb0ES6_jNS0_17counting_iteratorIjlEEPS9_SE_NS0_5tupleIJPjSE_EEENSF_IJSE_SE_EEES9_SG_JZNS1_25segmented_radix_sort_implINS0_14default_configELb1EPK12hip_bfloat16PSL_PKlPlN2at6native12_GLOBAL__N_18offset_tEEE10hipError_tPvRmT1_PNSt15iterator_traitsISZ_E10value_typeET2_T3_PNS10_IS15_E10value_typeET4_jRbjT5_S1B_jjP12ihipStream_tbEUljE_EEESW_SX_SY_S15_S19_S1B_T6_T7_T9_mT8_S1D_bDpT10_ENKUlT_T0_E_clISt17integral_constantIbLb0EES1Q_EEDaS1L_S1M_EUlS1L_E_NS1_11comp_targetILNS1_3genE2ELNS1_11target_archE906ELNS1_3gpuE6ELNS1_3repE0EEENS1_30default_config_static_selectorELNS0_4arch9wavefront6targetE1EEEvSZ_.has_dyn_sized_stack, 0
	.set _ZN7rocprim17ROCPRIM_400000_NS6detail17trampoline_kernelINS0_13select_configILj256ELj13ELNS0_17block_load_methodE3ELS4_3ELS4_3ELNS0_20block_scan_algorithmE0ELj4294967295EEENS1_25partition_config_selectorILNS1_17partition_subalgoE3EjNS0_10empty_typeEbEEZZNS1_14partition_implILS8_3ELb0ES6_jNS0_17counting_iteratorIjlEEPS9_SE_NS0_5tupleIJPjSE_EEENSF_IJSE_SE_EEES9_SG_JZNS1_25segmented_radix_sort_implINS0_14default_configELb1EPK12hip_bfloat16PSL_PKlPlN2at6native12_GLOBAL__N_18offset_tEEE10hipError_tPvRmT1_PNSt15iterator_traitsISZ_E10value_typeET2_T3_PNS10_IS15_E10value_typeET4_jRbjT5_S1B_jjP12ihipStream_tbEUljE_EEESW_SX_SY_S15_S19_S1B_T6_T7_T9_mT8_S1D_bDpT10_ENKUlT_T0_E_clISt17integral_constantIbLb0EES1Q_EEDaS1L_S1M_EUlS1L_E_NS1_11comp_targetILNS1_3genE2ELNS1_11target_archE906ELNS1_3gpuE6ELNS1_3repE0EEENS1_30default_config_static_selectorELNS0_4arch9wavefront6targetE1EEEvSZ_.has_recursion, 0
	.set _ZN7rocprim17ROCPRIM_400000_NS6detail17trampoline_kernelINS0_13select_configILj256ELj13ELNS0_17block_load_methodE3ELS4_3ELS4_3ELNS0_20block_scan_algorithmE0ELj4294967295EEENS1_25partition_config_selectorILNS1_17partition_subalgoE3EjNS0_10empty_typeEbEEZZNS1_14partition_implILS8_3ELb0ES6_jNS0_17counting_iteratorIjlEEPS9_SE_NS0_5tupleIJPjSE_EEENSF_IJSE_SE_EEES9_SG_JZNS1_25segmented_radix_sort_implINS0_14default_configELb1EPK12hip_bfloat16PSL_PKlPlN2at6native12_GLOBAL__N_18offset_tEEE10hipError_tPvRmT1_PNSt15iterator_traitsISZ_E10value_typeET2_T3_PNS10_IS15_E10value_typeET4_jRbjT5_S1B_jjP12ihipStream_tbEUljE_EEESW_SX_SY_S15_S19_S1B_T6_T7_T9_mT8_S1D_bDpT10_ENKUlT_T0_E_clISt17integral_constantIbLb0EES1Q_EEDaS1L_S1M_EUlS1L_E_NS1_11comp_targetILNS1_3genE2ELNS1_11target_archE906ELNS1_3gpuE6ELNS1_3repE0EEENS1_30default_config_static_selectorELNS0_4arch9wavefront6targetE1EEEvSZ_.has_indirect_call, 0
	.section	.AMDGPU.csdata,"",@progbits
; Kernel info:
; codeLenInByte = 7612
; TotalNumSgprs: 52
; NumVgprs: 69
; ScratchSize: 0
; MemoryBound: 0
; FloatMode: 240
; IeeeMode: 1
; LDSByteSize: 13320 bytes/workgroup (compile time only)
; SGPRBlocks: 12
; VGPRBlocks: 17
; NumSGPRsForWavesPerEU: 102
; NumVGPRsForWavesPerEU: 69
; Occupancy: 3
; WaveLimiterHint : 0
; COMPUTE_PGM_RSRC2:SCRATCH_EN: 0
; COMPUTE_PGM_RSRC2:USER_SGPR: 6
; COMPUTE_PGM_RSRC2:TRAP_HANDLER: 0
; COMPUTE_PGM_RSRC2:TGID_X_EN: 1
; COMPUTE_PGM_RSRC2:TGID_Y_EN: 0
; COMPUTE_PGM_RSRC2:TGID_Z_EN: 0
; COMPUTE_PGM_RSRC2:TIDIG_COMP_CNT: 0
	.section	.text._ZN7rocprim17ROCPRIM_400000_NS6detail17trampoline_kernelINS0_13select_configILj256ELj13ELNS0_17block_load_methodE3ELS4_3ELS4_3ELNS0_20block_scan_algorithmE0ELj4294967295EEENS1_25partition_config_selectorILNS1_17partition_subalgoE3EjNS0_10empty_typeEbEEZZNS1_14partition_implILS8_3ELb0ES6_jNS0_17counting_iteratorIjlEEPS9_SE_NS0_5tupleIJPjSE_EEENSF_IJSE_SE_EEES9_SG_JZNS1_25segmented_radix_sort_implINS0_14default_configELb1EPK12hip_bfloat16PSL_PKlPlN2at6native12_GLOBAL__N_18offset_tEEE10hipError_tPvRmT1_PNSt15iterator_traitsISZ_E10value_typeET2_T3_PNS10_IS15_E10value_typeET4_jRbjT5_S1B_jjP12ihipStream_tbEUljE_EEESW_SX_SY_S15_S19_S1B_T6_T7_T9_mT8_S1D_bDpT10_ENKUlT_T0_E_clISt17integral_constantIbLb0EES1Q_EEDaS1L_S1M_EUlS1L_E_NS1_11comp_targetILNS1_3genE10ELNS1_11target_archE1200ELNS1_3gpuE4ELNS1_3repE0EEENS1_30default_config_static_selectorELNS0_4arch9wavefront6targetE1EEEvSZ_,"axG",@progbits,_ZN7rocprim17ROCPRIM_400000_NS6detail17trampoline_kernelINS0_13select_configILj256ELj13ELNS0_17block_load_methodE3ELS4_3ELS4_3ELNS0_20block_scan_algorithmE0ELj4294967295EEENS1_25partition_config_selectorILNS1_17partition_subalgoE3EjNS0_10empty_typeEbEEZZNS1_14partition_implILS8_3ELb0ES6_jNS0_17counting_iteratorIjlEEPS9_SE_NS0_5tupleIJPjSE_EEENSF_IJSE_SE_EEES9_SG_JZNS1_25segmented_radix_sort_implINS0_14default_configELb1EPK12hip_bfloat16PSL_PKlPlN2at6native12_GLOBAL__N_18offset_tEEE10hipError_tPvRmT1_PNSt15iterator_traitsISZ_E10value_typeET2_T3_PNS10_IS15_E10value_typeET4_jRbjT5_S1B_jjP12ihipStream_tbEUljE_EEESW_SX_SY_S15_S19_S1B_T6_T7_T9_mT8_S1D_bDpT10_ENKUlT_T0_E_clISt17integral_constantIbLb0EES1Q_EEDaS1L_S1M_EUlS1L_E_NS1_11comp_targetILNS1_3genE10ELNS1_11target_archE1200ELNS1_3gpuE4ELNS1_3repE0EEENS1_30default_config_static_selectorELNS0_4arch9wavefront6targetE1EEEvSZ_,comdat
	.globl	_ZN7rocprim17ROCPRIM_400000_NS6detail17trampoline_kernelINS0_13select_configILj256ELj13ELNS0_17block_load_methodE3ELS4_3ELS4_3ELNS0_20block_scan_algorithmE0ELj4294967295EEENS1_25partition_config_selectorILNS1_17partition_subalgoE3EjNS0_10empty_typeEbEEZZNS1_14partition_implILS8_3ELb0ES6_jNS0_17counting_iteratorIjlEEPS9_SE_NS0_5tupleIJPjSE_EEENSF_IJSE_SE_EEES9_SG_JZNS1_25segmented_radix_sort_implINS0_14default_configELb1EPK12hip_bfloat16PSL_PKlPlN2at6native12_GLOBAL__N_18offset_tEEE10hipError_tPvRmT1_PNSt15iterator_traitsISZ_E10value_typeET2_T3_PNS10_IS15_E10value_typeET4_jRbjT5_S1B_jjP12ihipStream_tbEUljE_EEESW_SX_SY_S15_S19_S1B_T6_T7_T9_mT8_S1D_bDpT10_ENKUlT_T0_E_clISt17integral_constantIbLb0EES1Q_EEDaS1L_S1M_EUlS1L_E_NS1_11comp_targetILNS1_3genE10ELNS1_11target_archE1200ELNS1_3gpuE4ELNS1_3repE0EEENS1_30default_config_static_selectorELNS0_4arch9wavefront6targetE1EEEvSZ_ ; -- Begin function _ZN7rocprim17ROCPRIM_400000_NS6detail17trampoline_kernelINS0_13select_configILj256ELj13ELNS0_17block_load_methodE3ELS4_3ELS4_3ELNS0_20block_scan_algorithmE0ELj4294967295EEENS1_25partition_config_selectorILNS1_17partition_subalgoE3EjNS0_10empty_typeEbEEZZNS1_14partition_implILS8_3ELb0ES6_jNS0_17counting_iteratorIjlEEPS9_SE_NS0_5tupleIJPjSE_EEENSF_IJSE_SE_EEES9_SG_JZNS1_25segmented_radix_sort_implINS0_14default_configELb1EPK12hip_bfloat16PSL_PKlPlN2at6native12_GLOBAL__N_18offset_tEEE10hipError_tPvRmT1_PNSt15iterator_traitsISZ_E10value_typeET2_T3_PNS10_IS15_E10value_typeET4_jRbjT5_S1B_jjP12ihipStream_tbEUljE_EEESW_SX_SY_S15_S19_S1B_T6_T7_T9_mT8_S1D_bDpT10_ENKUlT_T0_E_clISt17integral_constantIbLb0EES1Q_EEDaS1L_S1M_EUlS1L_E_NS1_11comp_targetILNS1_3genE10ELNS1_11target_archE1200ELNS1_3gpuE4ELNS1_3repE0EEENS1_30default_config_static_selectorELNS0_4arch9wavefront6targetE1EEEvSZ_
	.p2align	8
	.type	_ZN7rocprim17ROCPRIM_400000_NS6detail17trampoline_kernelINS0_13select_configILj256ELj13ELNS0_17block_load_methodE3ELS4_3ELS4_3ELNS0_20block_scan_algorithmE0ELj4294967295EEENS1_25partition_config_selectorILNS1_17partition_subalgoE3EjNS0_10empty_typeEbEEZZNS1_14partition_implILS8_3ELb0ES6_jNS0_17counting_iteratorIjlEEPS9_SE_NS0_5tupleIJPjSE_EEENSF_IJSE_SE_EEES9_SG_JZNS1_25segmented_radix_sort_implINS0_14default_configELb1EPK12hip_bfloat16PSL_PKlPlN2at6native12_GLOBAL__N_18offset_tEEE10hipError_tPvRmT1_PNSt15iterator_traitsISZ_E10value_typeET2_T3_PNS10_IS15_E10value_typeET4_jRbjT5_S1B_jjP12ihipStream_tbEUljE_EEESW_SX_SY_S15_S19_S1B_T6_T7_T9_mT8_S1D_bDpT10_ENKUlT_T0_E_clISt17integral_constantIbLb0EES1Q_EEDaS1L_S1M_EUlS1L_E_NS1_11comp_targetILNS1_3genE10ELNS1_11target_archE1200ELNS1_3gpuE4ELNS1_3repE0EEENS1_30default_config_static_selectorELNS0_4arch9wavefront6targetE1EEEvSZ_,@function
_ZN7rocprim17ROCPRIM_400000_NS6detail17trampoline_kernelINS0_13select_configILj256ELj13ELNS0_17block_load_methodE3ELS4_3ELS4_3ELNS0_20block_scan_algorithmE0ELj4294967295EEENS1_25partition_config_selectorILNS1_17partition_subalgoE3EjNS0_10empty_typeEbEEZZNS1_14partition_implILS8_3ELb0ES6_jNS0_17counting_iteratorIjlEEPS9_SE_NS0_5tupleIJPjSE_EEENSF_IJSE_SE_EEES9_SG_JZNS1_25segmented_radix_sort_implINS0_14default_configELb1EPK12hip_bfloat16PSL_PKlPlN2at6native12_GLOBAL__N_18offset_tEEE10hipError_tPvRmT1_PNSt15iterator_traitsISZ_E10value_typeET2_T3_PNS10_IS15_E10value_typeET4_jRbjT5_S1B_jjP12ihipStream_tbEUljE_EEESW_SX_SY_S15_S19_S1B_T6_T7_T9_mT8_S1D_bDpT10_ENKUlT_T0_E_clISt17integral_constantIbLb0EES1Q_EEDaS1L_S1M_EUlS1L_E_NS1_11comp_targetILNS1_3genE10ELNS1_11target_archE1200ELNS1_3gpuE4ELNS1_3repE0EEENS1_30default_config_static_selectorELNS0_4arch9wavefront6targetE1EEEvSZ_: ; @_ZN7rocprim17ROCPRIM_400000_NS6detail17trampoline_kernelINS0_13select_configILj256ELj13ELNS0_17block_load_methodE3ELS4_3ELS4_3ELNS0_20block_scan_algorithmE0ELj4294967295EEENS1_25partition_config_selectorILNS1_17partition_subalgoE3EjNS0_10empty_typeEbEEZZNS1_14partition_implILS8_3ELb0ES6_jNS0_17counting_iteratorIjlEEPS9_SE_NS0_5tupleIJPjSE_EEENSF_IJSE_SE_EEES9_SG_JZNS1_25segmented_radix_sort_implINS0_14default_configELb1EPK12hip_bfloat16PSL_PKlPlN2at6native12_GLOBAL__N_18offset_tEEE10hipError_tPvRmT1_PNSt15iterator_traitsISZ_E10value_typeET2_T3_PNS10_IS15_E10value_typeET4_jRbjT5_S1B_jjP12ihipStream_tbEUljE_EEESW_SX_SY_S15_S19_S1B_T6_T7_T9_mT8_S1D_bDpT10_ENKUlT_T0_E_clISt17integral_constantIbLb0EES1Q_EEDaS1L_S1M_EUlS1L_E_NS1_11comp_targetILNS1_3genE10ELNS1_11target_archE1200ELNS1_3gpuE4ELNS1_3repE0EEENS1_30default_config_static_selectorELNS0_4arch9wavefront6targetE1EEEvSZ_
; %bb.0:
	.section	.rodata,"a",@progbits
	.p2align	6, 0x0
	.amdhsa_kernel _ZN7rocprim17ROCPRIM_400000_NS6detail17trampoline_kernelINS0_13select_configILj256ELj13ELNS0_17block_load_methodE3ELS4_3ELS4_3ELNS0_20block_scan_algorithmE0ELj4294967295EEENS1_25partition_config_selectorILNS1_17partition_subalgoE3EjNS0_10empty_typeEbEEZZNS1_14partition_implILS8_3ELb0ES6_jNS0_17counting_iteratorIjlEEPS9_SE_NS0_5tupleIJPjSE_EEENSF_IJSE_SE_EEES9_SG_JZNS1_25segmented_radix_sort_implINS0_14default_configELb1EPK12hip_bfloat16PSL_PKlPlN2at6native12_GLOBAL__N_18offset_tEEE10hipError_tPvRmT1_PNSt15iterator_traitsISZ_E10value_typeET2_T3_PNS10_IS15_E10value_typeET4_jRbjT5_S1B_jjP12ihipStream_tbEUljE_EEESW_SX_SY_S15_S19_S1B_T6_T7_T9_mT8_S1D_bDpT10_ENKUlT_T0_E_clISt17integral_constantIbLb0EES1Q_EEDaS1L_S1M_EUlS1L_E_NS1_11comp_targetILNS1_3genE10ELNS1_11target_archE1200ELNS1_3gpuE4ELNS1_3repE0EEENS1_30default_config_static_selectorELNS0_4arch9wavefront6targetE1EEEvSZ_
		.amdhsa_group_segment_fixed_size 0
		.amdhsa_private_segment_fixed_size 0
		.amdhsa_kernarg_size 144
		.amdhsa_user_sgpr_count 6
		.amdhsa_user_sgpr_private_segment_buffer 1
		.amdhsa_user_sgpr_dispatch_ptr 0
		.amdhsa_user_sgpr_queue_ptr 0
		.amdhsa_user_sgpr_kernarg_segment_ptr 1
		.amdhsa_user_sgpr_dispatch_id 0
		.amdhsa_user_sgpr_flat_scratch_init 0
		.amdhsa_user_sgpr_private_segment_size 0
		.amdhsa_uses_dynamic_stack 0
		.amdhsa_system_sgpr_private_segment_wavefront_offset 0
		.amdhsa_system_sgpr_workgroup_id_x 1
		.amdhsa_system_sgpr_workgroup_id_y 0
		.amdhsa_system_sgpr_workgroup_id_z 0
		.amdhsa_system_sgpr_workgroup_info 0
		.amdhsa_system_vgpr_workitem_id 0
		.amdhsa_next_free_vgpr 1
		.amdhsa_next_free_sgpr 0
		.amdhsa_reserve_vcc 0
		.amdhsa_reserve_flat_scratch 0
		.amdhsa_float_round_mode_32 0
		.amdhsa_float_round_mode_16_64 0
		.amdhsa_float_denorm_mode_32 3
		.amdhsa_float_denorm_mode_16_64 3
		.amdhsa_dx10_clamp 1
		.amdhsa_ieee_mode 1
		.amdhsa_fp16_overflow 0
		.amdhsa_exception_fp_ieee_invalid_op 0
		.amdhsa_exception_fp_denorm_src 0
		.amdhsa_exception_fp_ieee_div_zero 0
		.amdhsa_exception_fp_ieee_overflow 0
		.amdhsa_exception_fp_ieee_underflow 0
		.amdhsa_exception_fp_ieee_inexact 0
		.amdhsa_exception_int_div_zero 0
	.end_amdhsa_kernel
	.section	.text._ZN7rocprim17ROCPRIM_400000_NS6detail17trampoline_kernelINS0_13select_configILj256ELj13ELNS0_17block_load_methodE3ELS4_3ELS4_3ELNS0_20block_scan_algorithmE0ELj4294967295EEENS1_25partition_config_selectorILNS1_17partition_subalgoE3EjNS0_10empty_typeEbEEZZNS1_14partition_implILS8_3ELb0ES6_jNS0_17counting_iteratorIjlEEPS9_SE_NS0_5tupleIJPjSE_EEENSF_IJSE_SE_EEES9_SG_JZNS1_25segmented_radix_sort_implINS0_14default_configELb1EPK12hip_bfloat16PSL_PKlPlN2at6native12_GLOBAL__N_18offset_tEEE10hipError_tPvRmT1_PNSt15iterator_traitsISZ_E10value_typeET2_T3_PNS10_IS15_E10value_typeET4_jRbjT5_S1B_jjP12ihipStream_tbEUljE_EEESW_SX_SY_S15_S19_S1B_T6_T7_T9_mT8_S1D_bDpT10_ENKUlT_T0_E_clISt17integral_constantIbLb0EES1Q_EEDaS1L_S1M_EUlS1L_E_NS1_11comp_targetILNS1_3genE10ELNS1_11target_archE1200ELNS1_3gpuE4ELNS1_3repE0EEENS1_30default_config_static_selectorELNS0_4arch9wavefront6targetE1EEEvSZ_,"axG",@progbits,_ZN7rocprim17ROCPRIM_400000_NS6detail17trampoline_kernelINS0_13select_configILj256ELj13ELNS0_17block_load_methodE3ELS4_3ELS4_3ELNS0_20block_scan_algorithmE0ELj4294967295EEENS1_25partition_config_selectorILNS1_17partition_subalgoE3EjNS0_10empty_typeEbEEZZNS1_14partition_implILS8_3ELb0ES6_jNS0_17counting_iteratorIjlEEPS9_SE_NS0_5tupleIJPjSE_EEENSF_IJSE_SE_EEES9_SG_JZNS1_25segmented_radix_sort_implINS0_14default_configELb1EPK12hip_bfloat16PSL_PKlPlN2at6native12_GLOBAL__N_18offset_tEEE10hipError_tPvRmT1_PNSt15iterator_traitsISZ_E10value_typeET2_T3_PNS10_IS15_E10value_typeET4_jRbjT5_S1B_jjP12ihipStream_tbEUljE_EEESW_SX_SY_S15_S19_S1B_T6_T7_T9_mT8_S1D_bDpT10_ENKUlT_T0_E_clISt17integral_constantIbLb0EES1Q_EEDaS1L_S1M_EUlS1L_E_NS1_11comp_targetILNS1_3genE10ELNS1_11target_archE1200ELNS1_3gpuE4ELNS1_3repE0EEENS1_30default_config_static_selectorELNS0_4arch9wavefront6targetE1EEEvSZ_,comdat
.Lfunc_end1919:
	.size	_ZN7rocprim17ROCPRIM_400000_NS6detail17trampoline_kernelINS0_13select_configILj256ELj13ELNS0_17block_load_methodE3ELS4_3ELS4_3ELNS0_20block_scan_algorithmE0ELj4294967295EEENS1_25partition_config_selectorILNS1_17partition_subalgoE3EjNS0_10empty_typeEbEEZZNS1_14partition_implILS8_3ELb0ES6_jNS0_17counting_iteratorIjlEEPS9_SE_NS0_5tupleIJPjSE_EEENSF_IJSE_SE_EEES9_SG_JZNS1_25segmented_radix_sort_implINS0_14default_configELb1EPK12hip_bfloat16PSL_PKlPlN2at6native12_GLOBAL__N_18offset_tEEE10hipError_tPvRmT1_PNSt15iterator_traitsISZ_E10value_typeET2_T3_PNS10_IS15_E10value_typeET4_jRbjT5_S1B_jjP12ihipStream_tbEUljE_EEESW_SX_SY_S15_S19_S1B_T6_T7_T9_mT8_S1D_bDpT10_ENKUlT_T0_E_clISt17integral_constantIbLb0EES1Q_EEDaS1L_S1M_EUlS1L_E_NS1_11comp_targetILNS1_3genE10ELNS1_11target_archE1200ELNS1_3gpuE4ELNS1_3repE0EEENS1_30default_config_static_selectorELNS0_4arch9wavefront6targetE1EEEvSZ_, .Lfunc_end1919-_ZN7rocprim17ROCPRIM_400000_NS6detail17trampoline_kernelINS0_13select_configILj256ELj13ELNS0_17block_load_methodE3ELS4_3ELS4_3ELNS0_20block_scan_algorithmE0ELj4294967295EEENS1_25partition_config_selectorILNS1_17partition_subalgoE3EjNS0_10empty_typeEbEEZZNS1_14partition_implILS8_3ELb0ES6_jNS0_17counting_iteratorIjlEEPS9_SE_NS0_5tupleIJPjSE_EEENSF_IJSE_SE_EEES9_SG_JZNS1_25segmented_radix_sort_implINS0_14default_configELb1EPK12hip_bfloat16PSL_PKlPlN2at6native12_GLOBAL__N_18offset_tEEE10hipError_tPvRmT1_PNSt15iterator_traitsISZ_E10value_typeET2_T3_PNS10_IS15_E10value_typeET4_jRbjT5_S1B_jjP12ihipStream_tbEUljE_EEESW_SX_SY_S15_S19_S1B_T6_T7_T9_mT8_S1D_bDpT10_ENKUlT_T0_E_clISt17integral_constantIbLb0EES1Q_EEDaS1L_S1M_EUlS1L_E_NS1_11comp_targetILNS1_3genE10ELNS1_11target_archE1200ELNS1_3gpuE4ELNS1_3repE0EEENS1_30default_config_static_selectorELNS0_4arch9wavefront6targetE1EEEvSZ_
                                        ; -- End function
	.set _ZN7rocprim17ROCPRIM_400000_NS6detail17trampoline_kernelINS0_13select_configILj256ELj13ELNS0_17block_load_methodE3ELS4_3ELS4_3ELNS0_20block_scan_algorithmE0ELj4294967295EEENS1_25partition_config_selectorILNS1_17partition_subalgoE3EjNS0_10empty_typeEbEEZZNS1_14partition_implILS8_3ELb0ES6_jNS0_17counting_iteratorIjlEEPS9_SE_NS0_5tupleIJPjSE_EEENSF_IJSE_SE_EEES9_SG_JZNS1_25segmented_radix_sort_implINS0_14default_configELb1EPK12hip_bfloat16PSL_PKlPlN2at6native12_GLOBAL__N_18offset_tEEE10hipError_tPvRmT1_PNSt15iterator_traitsISZ_E10value_typeET2_T3_PNS10_IS15_E10value_typeET4_jRbjT5_S1B_jjP12ihipStream_tbEUljE_EEESW_SX_SY_S15_S19_S1B_T6_T7_T9_mT8_S1D_bDpT10_ENKUlT_T0_E_clISt17integral_constantIbLb0EES1Q_EEDaS1L_S1M_EUlS1L_E_NS1_11comp_targetILNS1_3genE10ELNS1_11target_archE1200ELNS1_3gpuE4ELNS1_3repE0EEENS1_30default_config_static_selectorELNS0_4arch9wavefront6targetE1EEEvSZ_.num_vgpr, 0
	.set _ZN7rocprim17ROCPRIM_400000_NS6detail17trampoline_kernelINS0_13select_configILj256ELj13ELNS0_17block_load_methodE3ELS4_3ELS4_3ELNS0_20block_scan_algorithmE0ELj4294967295EEENS1_25partition_config_selectorILNS1_17partition_subalgoE3EjNS0_10empty_typeEbEEZZNS1_14partition_implILS8_3ELb0ES6_jNS0_17counting_iteratorIjlEEPS9_SE_NS0_5tupleIJPjSE_EEENSF_IJSE_SE_EEES9_SG_JZNS1_25segmented_radix_sort_implINS0_14default_configELb1EPK12hip_bfloat16PSL_PKlPlN2at6native12_GLOBAL__N_18offset_tEEE10hipError_tPvRmT1_PNSt15iterator_traitsISZ_E10value_typeET2_T3_PNS10_IS15_E10value_typeET4_jRbjT5_S1B_jjP12ihipStream_tbEUljE_EEESW_SX_SY_S15_S19_S1B_T6_T7_T9_mT8_S1D_bDpT10_ENKUlT_T0_E_clISt17integral_constantIbLb0EES1Q_EEDaS1L_S1M_EUlS1L_E_NS1_11comp_targetILNS1_3genE10ELNS1_11target_archE1200ELNS1_3gpuE4ELNS1_3repE0EEENS1_30default_config_static_selectorELNS0_4arch9wavefront6targetE1EEEvSZ_.num_agpr, 0
	.set _ZN7rocprim17ROCPRIM_400000_NS6detail17trampoline_kernelINS0_13select_configILj256ELj13ELNS0_17block_load_methodE3ELS4_3ELS4_3ELNS0_20block_scan_algorithmE0ELj4294967295EEENS1_25partition_config_selectorILNS1_17partition_subalgoE3EjNS0_10empty_typeEbEEZZNS1_14partition_implILS8_3ELb0ES6_jNS0_17counting_iteratorIjlEEPS9_SE_NS0_5tupleIJPjSE_EEENSF_IJSE_SE_EEES9_SG_JZNS1_25segmented_radix_sort_implINS0_14default_configELb1EPK12hip_bfloat16PSL_PKlPlN2at6native12_GLOBAL__N_18offset_tEEE10hipError_tPvRmT1_PNSt15iterator_traitsISZ_E10value_typeET2_T3_PNS10_IS15_E10value_typeET4_jRbjT5_S1B_jjP12ihipStream_tbEUljE_EEESW_SX_SY_S15_S19_S1B_T6_T7_T9_mT8_S1D_bDpT10_ENKUlT_T0_E_clISt17integral_constantIbLb0EES1Q_EEDaS1L_S1M_EUlS1L_E_NS1_11comp_targetILNS1_3genE10ELNS1_11target_archE1200ELNS1_3gpuE4ELNS1_3repE0EEENS1_30default_config_static_selectorELNS0_4arch9wavefront6targetE1EEEvSZ_.numbered_sgpr, 0
	.set _ZN7rocprim17ROCPRIM_400000_NS6detail17trampoline_kernelINS0_13select_configILj256ELj13ELNS0_17block_load_methodE3ELS4_3ELS4_3ELNS0_20block_scan_algorithmE0ELj4294967295EEENS1_25partition_config_selectorILNS1_17partition_subalgoE3EjNS0_10empty_typeEbEEZZNS1_14partition_implILS8_3ELb0ES6_jNS0_17counting_iteratorIjlEEPS9_SE_NS0_5tupleIJPjSE_EEENSF_IJSE_SE_EEES9_SG_JZNS1_25segmented_radix_sort_implINS0_14default_configELb1EPK12hip_bfloat16PSL_PKlPlN2at6native12_GLOBAL__N_18offset_tEEE10hipError_tPvRmT1_PNSt15iterator_traitsISZ_E10value_typeET2_T3_PNS10_IS15_E10value_typeET4_jRbjT5_S1B_jjP12ihipStream_tbEUljE_EEESW_SX_SY_S15_S19_S1B_T6_T7_T9_mT8_S1D_bDpT10_ENKUlT_T0_E_clISt17integral_constantIbLb0EES1Q_EEDaS1L_S1M_EUlS1L_E_NS1_11comp_targetILNS1_3genE10ELNS1_11target_archE1200ELNS1_3gpuE4ELNS1_3repE0EEENS1_30default_config_static_selectorELNS0_4arch9wavefront6targetE1EEEvSZ_.num_named_barrier, 0
	.set _ZN7rocprim17ROCPRIM_400000_NS6detail17trampoline_kernelINS0_13select_configILj256ELj13ELNS0_17block_load_methodE3ELS4_3ELS4_3ELNS0_20block_scan_algorithmE0ELj4294967295EEENS1_25partition_config_selectorILNS1_17partition_subalgoE3EjNS0_10empty_typeEbEEZZNS1_14partition_implILS8_3ELb0ES6_jNS0_17counting_iteratorIjlEEPS9_SE_NS0_5tupleIJPjSE_EEENSF_IJSE_SE_EEES9_SG_JZNS1_25segmented_radix_sort_implINS0_14default_configELb1EPK12hip_bfloat16PSL_PKlPlN2at6native12_GLOBAL__N_18offset_tEEE10hipError_tPvRmT1_PNSt15iterator_traitsISZ_E10value_typeET2_T3_PNS10_IS15_E10value_typeET4_jRbjT5_S1B_jjP12ihipStream_tbEUljE_EEESW_SX_SY_S15_S19_S1B_T6_T7_T9_mT8_S1D_bDpT10_ENKUlT_T0_E_clISt17integral_constantIbLb0EES1Q_EEDaS1L_S1M_EUlS1L_E_NS1_11comp_targetILNS1_3genE10ELNS1_11target_archE1200ELNS1_3gpuE4ELNS1_3repE0EEENS1_30default_config_static_selectorELNS0_4arch9wavefront6targetE1EEEvSZ_.private_seg_size, 0
	.set _ZN7rocprim17ROCPRIM_400000_NS6detail17trampoline_kernelINS0_13select_configILj256ELj13ELNS0_17block_load_methodE3ELS4_3ELS4_3ELNS0_20block_scan_algorithmE0ELj4294967295EEENS1_25partition_config_selectorILNS1_17partition_subalgoE3EjNS0_10empty_typeEbEEZZNS1_14partition_implILS8_3ELb0ES6_jNS0_17counting_iteratorIjlEEPS9_SE_NS0_5tupleIJPjSE_EEENSF_IJSE_SE_EEES9_SG_JZNS1_25segmented_radix_sort_implINS0_14default_configELb1EPK12hip_bfloat16PSL_PKlPlN2at6native12_GLOBAL__N_18offset_tEEE10hipError_tPvRmT1_PNSt15iterator_traitsISZ_E10value_typeET2_T3_PNS10_IS15_E10value_typeET4_jRbjT5_S1B_jjP12ihipStream_tbEUljE_EEESW_SX_SY_S15_S19_S1B_T6_T7_T9_mT8_S1D_bDpT10_ENKUlT_T0_E_clISt17integral_constantIbLb0EES1Q_EEDaS1L_S1M_EUlS1L_E_NS1_11comp_targetILNS1_3genE10ELNS1_11target_archE1200ELNS1_3gpuE4ELNS1_3repE0EEENS1_30default_config_static_selectorELNS0_4arch9wavefront6targetE1EEEvSZ_.uses_vcc, 0
	.set _ZN7rocprim17ROCPRIM_400000_NS6detail17trampoline_kernelINS0_13select_configILj256ELj13ELNS0_17block_load_methodE3ELS4_3ELS4_3ELNS0_20block_scan_algorithmE0ELj4294967295EEENS1_25partition_config_selectorILNS1_17partition_subalgoE3EjNS0_10empty_typeEbEEZZNS1_14partition_implILS8_3ELb0ES6_jNS0_17counting_iteratorIjlEEPS9_SE_NS0_5tupleIJPjSE_EEENSF_IJSE_SE_EEES9_SG_JZNS1_25segmented_radix_sort_implINS0_14default_configELb1EPK12hip_bfloat16PSL_PKlPlN2at6native12_GLOBAL__N_18offset_tEEE10hipError_tPvRmT1_PNSt15iterator_traitsISZ_E10value_typeET2_T3_PNS10_IS15_E10value_typeET4_jRbjT5_S1B_jjP12ihipStream_tbEUljE_EEESW_SX_SY_S15_S19_S1B_T6_T7_T9_mT8_S1D_bDpT10_ENKUlT_T0_E_clISt17integral_constantIbLb0EES1Q_EEDaS1L_S1M_EUlS1L_E_NS1_11comp_targetILNS1_3genE10ELNS1_11target_archE1200ELNS1_3gpuE4ELNS1_3repE0EEENS1_30default_config_static_selectorELNS0_4arch9wavefront6targetE1EEEvSZ_.uses_flat_scratch, 0
	.set _ZN7rocprim17ROCPRIM_400000_NS6detail17trampoline_kernelINS0_13select_configILj256ELj13ELNS0_17block_load_methodE3ELS4_3ELS4_3ELNS0_20block_scan_algorithmE0ELj4294967295EEENS1_25partition_config_selectorILNS1_17partition_subalgoE3EjNS0_10empty_typeEbEEZZNS1_14partition_implILS8_3ELb0ES6_jNS0_17counting_iteratorIjlEEPS9_SE_NS0_5tupleIJPjSE_EEENSF_IJSE_SE_EEES9_SG_JZNS1_25segmented_radix_sort_implINS0_14default_configELb1EPK12hip_bfloat16PSL_PKlPlN2at6native12_GLOBAL__N_18offset_tEEE10hipError_tPvRmT1_PNSt15iterator_traitsISZ_E10value_typeET2_T3_PNS10_IS15_E10value_typeET4_jRbjT5_S1B_jjP12ihipStream_tbEUljE_EEESW_SX_SY_S15_S19_S1B_T6_T7_T9_mT8_S1D_bDpT10_ENKUlT_T0_E_clISt17integral_constantIbLb0EES1Q_EEDaS1L_S1M_EUlS1L_E_NS1_11comp_targetILNS1_3genE10ELNS1_11target_archE1200ELNS1_3gpuE4ELNS1_3repE0EEENS1_30default_config_static_selectorELNS0_4arch9wavefront6targetE1EEEvSZ_.has_dyn_sized_stack, 0
	.set _ZN7rocprim17ROCPRIM_400000_NS6detail17trampoline_kernelINS0_13select_configILj256ELj13ELNS0_17block_load_methodE3ELS4_3ELS4_3ELNS0_20block_scan_algorithmE0ELj4294967295EEENS1_25partition_config_selectorILNS1_17partition_subalgoE3EjNS0_10empty_typeEbEEZZNS1_14partition_implILS8_3ELb0ES6_jNS0_17counting_iteratorIjlEEPS9_SE_NS0_5tupleIJPjSE_EEENSF_IJSE_SE_EEES9_SG_JZNS1_25segmented_radix_sort_implINS0_14default_configELb1EPK12hip_bfloat16PSL_PKlPlN2at6native12_GLOBAL__N_18offset_tEEE10hipError_tPvRmT1_PNSt15iterator_traitsISZ_E10value_typeET2_T3_PNS10_IS15_E10value_typeET4_jRbjT5_S1B_jjP12ihipStream_tbEUljE_EEESW_SX_SY_S15_S19_S1B_T6_T7_T9_mT8_S1D_bDpT10_ENKUlT_T0_E_clISt17integral_constantIbLb0EES1Q_EEDaS1L_S1M_EUlS1L_E_NS1_11comp_targetILNS1_3genE10ELNS1_11target_archE1200ELNS1_3gpuE4ELNS1_3repE0EEENS1_30default_config_static_selectorELNS0_4arch9wavefront6targetE1EEEvSZ_.has_recursion, 0
	.set _ZN7rocprim17ROCPRIM_400000_NS6detail17trampoline_kernelINS0_13select_configILj256ELj13ELNS0_17block_load_methodE3ELS4_3ELS4_3ELNS0_20block_scan_algorithmE0ELj4294967295EEENS1_25partition_config_selectorILNS1_17partition_subalgoE3EjNS0_10empty_typeEbEEZZNS1_14partition_implILS8_3ELb0ES6_jNS0_17counting_iteratorIjlEEPS9_SE_NS0_5tupleIJPjSE_EEENSF_IJSE_SE_EEES9_SG_JZNS1_25segmented_radix_sort_implINS0_14default_configELb1EPK12hip_bfloat16PSL_PKlPlN2at6native12_GLOBAL__N_18offset_tEEE10hipError_tPvRmT1_PNSt15iterator_traitsISZ_E10value_typeET2_T3_PNS10_IS15_E10value_typeET4_jRbjT5_S1B_jjP12ihipStream_tbEUljE_EEESW_SX_SY_S15_S19_S1B_T6_T7_T9_mT8_S1D_bDpT10_ENKUlT_T0_E_clISt17integral_constantIbLb0EES1Q_EEDaS1L_S1M_EUlS1L_E_NS1_11comp_targetILNS1_3genE10ELNS1_11target_archE1200ELNS1_3gpuE4ELNS1_3repE0EEENS1_30default_config_static_selectorELNS0_4arch9wavefront6targetE1EEEvSZ_.has_indirect_call, 0
	.section	.AMDGPU.csdata,"",@progbits
; Kernel info:
; codeLenInByte = 0
; TotalNumSgprs: 4
; NumVgprs: 0
; ScratchSize: 0
; MemoryBound: 0
; FloatMode: 240
; IeeeMode: 1
; LDSByteSize: 0 bytes/workgroup (compile time only)
; SGPRBlocks: 0
; VGPRBlocks: 0
; NumSGPRsForWavesPerEU: 4
; NumVGPRsForWavesPerEU: 1
; Occupancy: 10
; WaveLimiterHint : 0
; COMPUTE_PGM_RSRC2:SCRATCH_EN: 0
; COMPUTE_PGM_RSRC2:USER_SGPR: 6
; COMPUTE_PGM_RSRC2:TRAP_HANDLER: 0
; COMPUTE_PGM_RSRC2:TGID_X_EN: 1
; COMPUTE_PGM_RSRC2:TGID_Y_EN: 0
; COMPUTE_PGM_RSRC2:TGID_Z_EN: 0
; COMPUTE_PGM_RSRC2:TIDIG_COMP_CNT: 0
	.section	.text._ZN7rocprim17ROCPRIM_400000_NS6detail17trampoline_kernelINS0_13select_configILj256ELj13ELNS0_17block_load_methodE3ELS4_3ELS4_3ELNS0_20block_scan_algorithmE0ELj4294967295EEENS1_25partition_config_selectorILNS1_17partition_subalgoE3EjNS0_10empty_typeEbEEZZNS1_14partition_implILS8_3ELb0ES6_jNS0_17counting_iteratorIjlEEPS9_SE_NS0_5tupleIJPjSE_EEENSF_IJSE_SE_EEES9_SG_JZNS1_25segmented_radix_sort_implINS0_14default_configELb1EPK12hip_bfloat16PSL_PKlPlN2at6native12_GLOBAL__N_18offset_tEEE10hipError_tPvRmT1_PNSt15iterator_traitsISZ_E10value_typeET2_T3_PNS10_IS15_E10value_typeET4_jRbjT5_S1B_jjP12ihipStream_tbEUljE_EEESW_SX_SY_S15_S19_S1B_T6_T7_T9_mT8_S1D_bDpT10_ENKUlT_T0_E_clISt17integral_constantIbLb0EES1Q_EEDaS1L_S1M_EUlS1L_E_NS1_11comp_targetILNS1_3genE9ELNS1_11target_archE1100ELNS1_3gpuE3ELNS1_3repE0EEENS1_30default_config_static_selectorELNS0_4arch9wavefront6targetE1EEEvSZ_,"axG",@progbits,_ZN7rocprim17ROCPRIM_400000_NS6detail17trampoline_kernelINS0_13select_configILj256ELj13ELNS0_17block_load_methodE3ELS4_3ELS4_3ELNS0_20block_scan_algorithmE0ELj4294967295EEENS1_25partition_config_selectorILNS1_17partition_subalgoE3EjNS0_10empty_typeEbEEZZNS1_14partition_implILS8_3ELb0ES6_jNS0_17counting_iteratorIjlEEPS9_SE_NS0_5tupleIJPjSE_EEENSF_IJSE_SE_EEES9_SG_JZNS1_25segmented_radix_sort_implINS0_14default_configELb1EPK12hip_bfloat16PSL_PKlPlN2at6native12_GLOBAL__N_18offset_tEEE10hipError_tPvRmT1_PNSt15iterator_traitsISZ_E10value_typeET2_T3_PNS10_IS15_E10value_typeET4_jRbjT5_S1B_jjP12ihipStream_tbEUljE_EEESW_SX_SY_S15_S19_S1B_T6_T7_T9_mT8_S1D_bDpT10_ENKUlT_T0_E_clISt17integral_constantIbLb0EES1Q_EEDaS1L_S1M_EUlS1L_E_NS1_11comp_targetILNS1_3genE9ELNS1_11target_archE1100ELNS1_3gpuE3ELNS1_3repE0EEENS1_30default_config_static_selectorELNS0_4arch9wavefront6targetE1EEEvSZ_,comdat
	.globl	_ZN7rocprim17ROCPRIM_400000_NS6detail17trampoline_kernelINS0_13select_configILj256ELj13ELNS0_17block_load_methodE3ELS4_3ELS4_3ELNS0_20block_scan_algorithmE0ELj4294967295EEENS1_25partition_config_selectorILNS1_17partition_subalgoE3EjNS0_10empty_typeEbEEZZNS1_14partition_implILS8_3ELb0ES6_jNS0_17counting_iteratorIjlEEPS9_SE_NS0_5tupleIJPjSE_EEENSF_IJSE_SE_EEES9_SG_JZNS1_25segmented_radix_sort_implINS0_14default_configELb1EPK12hip_bfloat16PSL_PKlPlN2at6native12_GLOBAL__N_18offset_tEEE10hipError_tPvRmT1_PNSt15iterator_traitsISZ_E10value_typeET2_T3_PNS10_IS15_E10value_typeET4_jRbjT5_S1B_jjP12ihipStream_tbEUljE_EEESW_SX_SY_S15_S19_S1B_T6_T7_T9_mT8_S1D_bDpT10_ENKUlT_T0_E_clISt17integral_constantIbLb0EES1Q_EEDaS1L_S1M_EUlS1L_E_NS1_11comp_targetILNS1_3genE9ELNS1_11target_archE1100ELNS1_3gpuE3ELNS1_3repE0EEENS1_30default_config_static_selectorELNS0_4arch9wavefront6targetE1EEEvSZ_ ; -- Begin function _ZN7rocprim17ROCPRIM_400000_NS6detail17trampoline_kernelINS0_13select_configILj256ELj13ELNS0_17block_load_methodE3ELS4_3ELS4_3ELNS0_20block_scan_algorithmE0ELj4294967295EEENS1_25partition_config_selectorILNS1_17partition_subalgoE3EjNS0_10empty_typeEbEEZZNS1_14partition_implILS8_3ELb0ES6_jNS0_17counting_iteratorIjlEEPS9_SE_NS0_5tupleIJPjSE_EEENSF_IJSE_SE_EEES9_SG_JZNS1_25segmented_radix_sort_implINS0_14default_configELb1EPK12hip_bfloat16PSL_PKlPlN2at6native12_GLOBAL__N_18offset_tEEE10hipError_tPvRmT1_PNSt15iterator_traitsISZ_E10value_typeET2_T3_PNS10_IS15_E10value_typeET4_jRbjT5_S1B_jjP12ihipStream_tbEUljE_EEESW_SX_SY_S15_S19_S1B_T6_T7_T9_mT8_S1D_bDpT10_ENKUlT_T0_E_clISt17integral_constantIbLb0EES1Q_EEDaS1L_S1M_EUlS1L_E_NS1_11comp_targetILNS1_3genE9ELNS1_11target_archE1100ELNS1_3gpuE3ELNS1_3repE0EEENS1_30default_config_static_selectorELNS0_4arch9wavefront6targetE1EEEvSZ_
	.p2align	8
	.type	_ZN7rocprim17ROCPRIM_400000_NS6detail17trampoline_kernelINS0_13select_configILj256ELj13ELNS0_17block_load_methodE3ELS4_3ELS4_3ELNS0_20block_scan_algorithmE0ELj4294967295EEENS1_25partition_config_selectorILNS1_17partition_subalgoE3EjNS0_10empty_typeEbEEZZNS1_14partition_implILS8_3ELb0ES6_jNS0_17counting_iteratorIjlEEPS9_SE_NS0_5tupleIJPjSE_EEENSF_IJSE_SE_EEES9_SG_JZNS1_25segmented_radix_sort_implINS0_14default_configELb1EPK12hip_bfloat16PSL_PKlPlN2at6native12_GLOBAL__N_18offset_tEEE10hipError_tPvRmT1_PNSt15iterator_traitsISZ_E10value_typeET2_T3_PNS10_IS15_E10value_typeET4_jRbjT5_S1B_jjP12ihipStream_tbEUljE_EEESW_SX_SY_S15_S19_S1B_T6_T7_T9_mT8_S1D_bDpT10_ENKUlT_T0_E_clISt17integral_constantIbLb0EES1Q_EEDaS1L_S1M_EUlS1L_E_NS1_11comp_targetILNS1_3genE9ELNS1_11target_archE1100ELNS1_3gpuE3ELNS1_3repE0EEENS1_30default_config_static_selectorELNS0_4arch9wavefront6targetE1EEEvSZ_,@function
_ZN7rocprim17ROCPRIM_400000_NS6detail17trampoline_kernelINS0_13select_configILj256ELj13ELNS0_17block_load_methodE3ELS4_3ELS4_3ELNS0_20block_scan_algorithmE0ELj4294967295EEENS1_25partition_config_selectorILNS1_17partition_subalgoE3EjNS0_10empty_typeEbEEZZNS1_14partition_implILS8_3ELb0ES6_jNS0_17counting_iteratorIjlEEPS9_SE_NS0_5tupleIJPjSE_EEENSF_IJSE_SE_EEES9_SG_JZNS1_25segmented_radix_sort_implINS0_14default_configELb1EPK12hip_bfloat16PSL_PKlPlN2at6native12_GLOBAL__N_18offset_tEEE10hipError_tPvRmT1_PNSt15iterator_traitsISZ_E10value_typeET2_T3_PNS10_IS15_E10value_typeET4_jRbjT5_S1B_jjP12ihipStream_tbEUljE_EEESW_SX_SY_S15_S19_S1B_T6_T7_T9_mT8_S1D_bDpT10_ENKUlT_T0_E_clISt17integral_constantIbLb0EES1Q_EEDaS1L_S1M_EUlS1L_E_NS1_11comp_targetILNS1_3genE9ELNS1_11target_archE1100ELNS1_3gpuE3ELNS1_3repE0EEENS1_30default_config_static_selectorELNS0_4arch9wavefront6targetE1EEEvSZ_: ; @_ZN7rocprim17ROCPRIM_400000_NS6detail17trampoline_kernelINS0_13select_configILj256ELj13ELNS0_17block_load_methodE3ELS4_3ELS4_3ELNS0_20block_scan_algorithmE0ELj4294967295EEENS1_25partition_config_selectorILNS1_17partition_subalgoE3EjNS0_10empty_typeEbEEZZNS1_14partition_implILS8_3ELb0ES6_jNS0_17counting_iteratorIjlEEPS9_SE_NS0_5tupleIJPjSE_EEENSF_IJSE_SE_EEES9_SG_JZNS1_25segmented_radix_sort_implINS0_14default_configELb1EPK12hip_bfloat16PSL_PKlPlN2at6native12_GLOBAL__N_18offset_tEEE10hipError_tPvRmT1_PNSt15iterator_traitsISZ_E10value_typeET2_T3_PNS10_IS15_E10value_typeET4_jRbjT5_S1B_jjP12ihipStream_tbEUljE_EEESW_SX_SY_S15_S19_S1B_T6_T7_T9_mT8_S1D_bDpT10_ENKUlT_T0_E_clISt17integral_constantIbLb0EES1Q_EEDaS1L_S1M_EUlS1L_E_NS1_11comp_targetILNS1_3genE9ELNS1_11target_archE1100ELNS1_3gpuE3ELNS1_3repE0EEENS1_30default_config_static_selectorELNS0_4arch9wavefront6targetE1EEEvSZ_
; %bb.0:
	.section	.rodata,"a",@progbits
	.p2align	6, 0x0
	.amdhsa_kernel _ZN7rocprim17ROCPRIM_400000_NS6detail17trampoline_kernelINS0_13select_configILj256ELj13ELNS0_17block_load_methodE3ELS4_3ELS4_3ELNS0_20block_scan_algorithmE0ELj4294967295EEENS1_25partition_config_selectorILNS1_17partition_subalgoE3EjNS0_10empty_typeEbEEZZNS1_14partition_implILS8_3ELb0ES6_jNS0_17counting_iteratorIjlEEPS9_SE_NS0_5tupleIJPjSE_EEENSF_IJSE_SE_EEES9_SG_JZNS1_25segmented_radix_sort_implINS0_14default_configELb1EPK12hip_bfloat16PSL_PKlPlN2at6native12_GLOBAL__N_18offset_tEEE10hipError_tPvRmT1_PNSt15iterator_traitsISZ_E10value_typeET2_T3_PNS10_IS15_E10value_typeET4_jRbjT5_S1B_jjP12ihipStream_tbEUljE_EEESW_SX_SY_S15_S19_S1B_T6_T7_T9_mT8_S1D_bDpT10_ENKUlT_T0_E_clISt17integral_constantIbLb0EES1Q_EEDaS1L_S1M_EUlS1L_E_NS1_11comp_targetILNS1_3genE9ELNS1_11target_archE1100ELNS1_3gpuE3ELNS1_3repE0EEENS1_30default_config_static_selectorELNS0_4arch9wavefront6targetE1EEEvSZ_
		.amdhsa_group_segment_fixed_size 0
		.amdhsa_private_segment_fixed_size 0
		.amdhsa_kernarg_size 144
		.amdhsa_user_sgpr_count 6
		.amdhsa_user_sgpr_private_segment_buffer 1
		.amdhsa_user_sgpr_dispatch_ptr 0
		.amdhsa_user_sgpr_queue_ptr 0
		.amdhsa_user_sgpr_kernarg_segment_ptr 1
		.amdhsa_user_sgpr_dispatch_id 0
		.amdhsa_user_sgpr_flat_scratch_init 0
		.amdhsa_user_sgpr_private_segment_size 0
		.amdhsa_uses_dynamic_stack 0
		.amdhsa_system_sgpr_private_segment_wavefront_offset 0
		.amdhsa_system_sgpr_workgroup_id_x 1
		.amdhsa_system_sgpr_workgroup_id_y 0
		.amdhsa_system_sgpr_workgroup_id_z 0
		.amdhsa_system_sgpr_workgroup_info 0
		.amdhsa_system_vgpr_workitem_id 0
		.amdhsa_next_free_vgpr 1
		.amdhsa_next_free_sgpr 0
		.amdhsa_reserve_vcc 0
		.amdhsa_reserve_flat_scratch 0
		.amdhsa_float_round_mode_32 0
		.amdhsa_float_round_mode_16_64 0
		.amdhsa_float_denorm_mode_32 3
		.amdhsa_float_denorm_mode_16_64 3
		.amdhsa_dx10_clamp 1
		.amdhsa_ieee_mode 1
		.amdhsa_fp16_overflow 0
		.amdhsa_exception_fp_ieee_invalid_op 0
		.amdhsa_exception_fp_denorm_src 0
		.amdhsa_exception_fp_ieee_div_zero 0
		.amdhsa_exception_fp_ieee_overflow 0
		.amdhsa_exception_fp_ieee_underflow 0
		.amdhsa_exception_fp_ieee_inexact 0
		.amdhsa_exception_int_div_zero 0
	.end_amdhsa_kernel
	.section	.text._ZN7rocprim17ROCPRIM_400000_NS6detail17trampoline_kernelINS0_13select_configILj256ELj13ELNS0_17block_load_methodE3ELS4_3ELS4_3ELNS0_20block_scan_algorithmE0ELj4294967295EEENS1_25partition_config_selectorILNS1_17partition_subalgoE3EjNS0_10empty_typeEbEEZZNS1_14partition_implILS8_3ELb0ES6_jNS0_17counting_iteratorIjlEEPS9_SE_NS0_5tupleIJPjSE_EEENSF_IJSE_SE_EEES9_SG_JZNS1_25segmented_radix_sort_implINS0_14default_configELb1EPK12hip_bfloat16PSL_PKlPlN2at6native12_GLOBAL__N_18offset_tEEE10hipError_tPvRmT1_PNSt15iterator_traitsISZ_E10value_typeET2_T3_PNS10_IS15_E10value_typeET4_jRbjT5_S1B_jjP12ihipStream_tbEUljE_EEESW_SX_SY_S15_S19_S1B_T6_T7_T9_mT8_S1D_bDpT10_ENKUlT_T0_E_clISt17integral_constantIbLb0EES1Q_EEDaS1L_S1M_EUlS1L_E_NS1_11comp_targetILNS1_3genE9ELNS1_11target_archE1100ELNS1_3gpuE3ELNS1_3repE0EEENS1_30default_config_static_selectorELNS0_4arch9wavefront6targetE1EEEvSZ_,"axG",@progbits,_ZN7rocprim17ROCPRIM_400000_NS6detail17trampoline_kernelINS0_13select_configILj256ELj13ELNS0_17block_load_methodE3ELS4_3ELS4_3ELNS0_20block_scan_algorithmE0ELj4294967295EEENS1_25partition_config_selectorILNS1_17partition_subalgoE3EjNS0_10empty_typeEbEEZZNS1_14partition_implILS8_3ELb0ES6_jNS0_17counting_iteratorIjlEEPS9_SE_NS0_5tupleIJPjSE_EEENSF_IJSE_SE_EEES9_SG_JZNS1_25segmented_radix_sort_implINS0_14default_configELb1EPK12hip_bfloat16PSL_PKlPlN2at6native12_GLOBAL__N_18offset_tEEE10hipError_tPvRmT1_PNSt15iterator_traitsISZ_E10value_typeET2_T3_PNS10_IS15_E10value_typeET4_jRbjT5_S1B_jjP12ihipStream_tbEUljE_EEESW_SX_SY_S15_S19_S1B_T6_T7_T9_mT8_S1D_bDpT10_ENKUlT_T0_E_clISt17integral_constantIbLb0EES1Q_EEDaS1L_S1M_EUlS1L_E_NS1_11comp_targetILNS1_3genE9ELNS1_11target_archE1100ELNS1_3gpuE3ELNS1_3repE0EEENS1_30default_config_static_selectorELNS0_4arch9wavefront6targetE1EEEvSZ_,comdat
.Lfunc_end1920:
	.size	_ZN7rocprim17ROCPRIM_400000_NS6detail17trampoline_kernelINS0_13select_configILj256ELj13ELNS0_17block_load_methodE3ELS4_3ELS4_3ELNS0_20block_scan_algorithmE0ELj4294967295EEENS1_25partition_config_selectorILNS1_17partition_subalgoE3EjNS0_10empty_typeEbEEZZNS1_14partition_implILS8_3ELb0ES6_jNS0_17counting_iteratorIjlEEPS9_SE_NS0_5tupleIJPjSE_EEENSF_IJSE_SE_EEES9_SG_JZNS1_25segmented_radix_sort_implINS0_14default_configELb1EPK12hip_bfloat16PSL_PKlPlN2at6native12_GLOBAL__N_18offset_tEEE10hipError_tPvRmT1_PNSt15iterator_traitsISZ_E10value_typeET2_T3_PNS10_IS15_E10value_typeET4_jRbjT5_S1B_jjP12ihipStream_tbEUljE_EEESW_SX_SY_S15_S19_S1B_T6_T7_T9_mT8_S1D_bDpT10_ENKUlT_T0_E_clISt17integral_constantIbLb0EES1Q_EEDaS1L_S1M_EUlS1L_E_NS1_11comp_targetILNS1_3genE9ELNS1_11target_archE1100ELNS1_3gpuE3ELNS1_3repE0EEENS1_30default_config_static_selectorELNS0_4arch9wavefront6targetE1EEEvSZ_, .Lfunc_end1920-_ZN7rocprim17ROCPRIM_400000_NS6detail17trampoline_kernelINS0_13select_configILj256ELj13ELNS0_17block_load_methodE3ELS4_3ELS4_3ELNS0_20block_scan_algorithmE0ELj4294967295EEENS1_25partition_config_selectorILNS1_17partition_subalgoE3EjNS0_10empty_typeEbEEZZNS1_14partition_implILS8_3ELb0ES6_jNS0_17counting_iteratorIjlEEPS9_SE_NS0_5tupleIJPjSE_EEENSF_IJSE_SE_EEES9_SG_JZNS1_25segmented_radix_sort_implINS0_14default_configELb1EPK12hip_bfloat16PSL_PKlPlN2at6native12_GLOBAL__N_18offset_tEEE10hipError_tPvRmT1_PNSt15iterator_traitsISZ_E10value_typeET2_T3_PNS10_IS15_E10value_typeET4_jRbjT5_S1B_jjP12ihipStream_tbEUljE_EEESW_SX_SY_S15_S19_S1B_T6_T7_T9_mT8_S1D_bDpT10_ENKUlT_T0_E_clISt17integral_constantIbLb0EES1Q_EEDaS1L_S1M_EUlS1L_E_NS1_11comp_targetILNS1_3genE9ELNS1_11target_archE1100ELNS1_3gpuE3ELNS1_3repE0EEENS1_30default_config_static_selectorELNS0_4arch9wavefront6targetE1EEEvSZ_
                                        ; -- End function
	.set _ZN7rocprim17ROCPRIM_400000_NS6detail17trampoline_kernelINS0_13select_configILj256ELj13ELNS0_17block_load_methodE3ELS4_3ELS4_3ELNS0_20block_scan_algorithmE0ELj4294967295EEENS1_25partition_config_selectorILNS1_17partition_subalgoE3EjNS0_10empty_typeEbEEZZNS1_14partition_implILS8_3ELb0ES6_jNS0_17counting_iteratorIjlEEPS9_SE_NS0_5tupleIJPjSE_EEENSF_IJSE_SE_EEES9_SG_JZNS1_25segmented_radix_sort_implINS0_14default_configELb1EPK12hip_bfloat16PSL_PKlPlN2at6native12_GLOBAL__N_18offset_tEEE10hipError_tPvRmT1_PNSt15iterator_traitsISZ_E10value_typeET2_T3_PNS10_IS15_E10value_typeET4_jRbjT5_S1B_jjP12ihipStream_tbEUljE_EEESW_SX_SY_S15_S19_S1B_T6_T7_T9_mT8_S1D_bDpT10_ENKUlT_T0_E_clISt17integral_constantIbLb0EES1Q_EEDaS1L_S1M_EUlS1L_E_NS1_11comp_targetILNS1_3genE9ELNS1_11target_archE1100ELNS1_3gpuE3ELNS1_3repE0EEENS1_30default_config_static_selectorELNS0_4arch9wavefront6targetE1EEEvSZ_.num_vgpr, 0
	.set _ZN7rocprim17ROCPRIM_400000_NS6detail17trampoline_kernelINS0_13select_configILj256ELj13ELNS0_17block_load_methodE3ELS4_3ELS4_3ELNS0_20block_scan_algorithmE0ELj4294967295EEENS1_25partition_config_selectorILNS1_17partition_subalgoE3EjNS0_10empty_typeEbEEZZNS1_14partition_implILS8_3ELb0ES6_jNS0_17counting_iteratorIjlEEPS9_SE_NS0_5tupleIJPjSE_EEENSF_IJSE_SE_EEES9_SG_JZNS1_25segmented_radix_sort_implINS0_14default_configELb1EPK12hip_bfloat16PSL_PKlPlN2at6native12_GLOBAL__N_18offset_tEEE10hipError_tPvRmT1_PNSt15iterator_traitsISZ_E10value_typeET2_T3_PNS10_IS15_E10value_typeET4_jRbjT5_S1B_jjP12ihipStream_tbEUljE_EEESW_SX_SY_S15_S19_S1B_T6_T7_T9_mT8_S1D_bDpT10_ENKUlT_T0_E_clISt17integral_constantIbLb0EES1Q_EEDaS1L_S1M_EUlS1L_E_NS1_11comp_targetILNS1_3genE9ELNS1_11target_archE1100ELNS1_3gpuE3ELNS1_3repE0EEENS1_30default_config_static_selectorELNS0_4arch9wavefront6targetE1EEEvSZ_.num_agpr, 0
	.set _ZN7rocprim17ROCPRIM_400000_NS6detail17trampoline_kernelINS0_13select_configILj256ELj13ELNS0_17block_load_methodE3ELS4_3ELS4_3ELNS0_20block_scan_algorithmE0ELj4294967295EEENS1_25partition_config_selectorILNS1_17partition_subalgoE3EjNS0_10empty_typeEbEEZZNS1_14partition_implILS8_3ELb0ES6_jNS0_17counting_iteratorIjlEEPS9_SE_NS0_5tupleIJPjSE_EEENSF_IJSE_SE_EEES9_SG_JZNS1_25segmented_radix_sort_implINS0_14default_configELb1EPK12hip_bfloat16PSL_PKlPlN2at6native12_GLOBAL__N_18offset_tEEE10hipError_tPvRmT1_PNSt15iterator_traitsISZ_E10value_typeET2_T3_PNS10_IS15_E10value_typeET4_jRbjT5_S1B_jjP12ihipStream_tbEUljE_EEESW_SX_SY_S15_S19_S1B_T6_T7_T9_mT8_S1D_bDpT10_ENKUlT_T0_E_clISt17integral_constantIbLb0EES1Q_EEDaS1L_S1M_EUlS1L_E_NS1_11comp_targetILNS1_3genE9ELNS1_11target_archE1100ELNS1_3gpuE3ELNS1_3repE0EEENS1_30default_config_static_selectorELNS0_4arch9wavefront6targetE1EEEvSZ_.numbered_sgpr, 0
	.set _ZN7rocprim17ROCPRIM_400000_NS6detail17trampoline_kernelINS0_13select_configILj256ELj13ELNS0_17block_load_methodE3ELS4_3ELS4_3ELNS0_20block_scan_algorithmE0ELj4294967295EEENS1_25partition_config_selectorILNS1_17partition_subalgoE3EjNS0_10empty_typeEbEEZZNS1_14partition_implILS8_3ELb0ES6_jNS0_17counting_iteratorIjlEEPS9_SE_NS0_5tupleIJPjSE_EEENSF_IJSE_SE_EEES9_SG_JZNS1_25segmented_radix_sort_implINS0_14default_configELb1EPK12hip_bfloat16PSL_PKlPlN2at6native12_GLOBAL__N_18offset_tEEE10hipError_tPvRmT1_PNSt15iterator_traitsISZ_E10value_typeET2_T3_PNS10_IS15_E10value_typeET4_jRbjT5_S1B_jjP12ihipStream_tbEUljE_EEESW_SX_SY_S15_S19_S1B_T6_T7_T9_mT8_S1D_bDpT10_ENKUlT_T0_E_clISt17integral_constantIbLb0EES1Q_EEDaS1L_S1M_EUlS1L_E_NS1_11comp_targetILNS1_3genE9ELNS1_11target_archE1100ELNS1_3gpuE3ELNS1_3repE0EEENS1_30default_config_static_selectorELNS0_4arch9wavefront6targetE1EEEvSZ_.num_named_barrier, 0
	.set _ZN7rocprim17ROCPRIM_400000_NS6detail17trampoline_kernelINS0_13select_configILj256ELj13ELNS0_17block_load_methodE3ELS4_3ELS4_3ELNS0_20block_scan_algorithmE0ELj4294967295EEENS1_25partition_config_selectorILNS1_17partition_subalgoE3EjNS0_10empty_typeEbEEZZNS1_14partition_implILS8_3ELb0ES6_jNS0_17counting_iteratorIjlEEPS9_SE_NS0_5tupleIJPjSE_EEENSF_IJSE_SE_EEES9_SG_JZNS1_25segmented_radix_sort_implINS0_14default_configELb1EPK12hip_bfloat16PSL_PKlPlN2at6native12_GLOBAL__N_18offset_tEEE10hipError_tPvRmT1_PNSt15iterator_traitsISZ_E10value_typeET2_T3_PNS10_IS15_E10value_typeET4_jRbjT5_S1B_jjP12ihipStream_tbEUljE_EEESW_SX_SY_S15_S19_S1B_T6_T7_T9_mT8_S1D_bDpT10_ENKUlT_T0_E_clISt17integral_constantIbLb0EES1Q_EEDaS1L_S1M_EUlS1L_E_NS1_11comp_targetILNS1_3genE9ELNS1_11target_archE1100ELNS1_3gpuE3ELNS1_3repE0EEENS1_30default_config_static_selectorELNS0_4arch9wavefront6targetE1EEEvSZ_.private_seg_size, 0
	.set _ZN7rocprim17ROCPRIM_400000_NS6detail17trampoline_kernelINS0_13select_configILj256ELj13ELNS0_17block_load_methodE3ELS4_3ELS4_3ELNS0_20block_scan_algorithmE0ELj4294967295EEENS1_25partition_config_selectorILNS1_17partition_subalgoE3EjNS0_10empty_typeEbEEZZNS1_14partition_implILS8_3ELb0ES6_jNS0_17counting_iteratorIjlEEPS9_SE_NS0_5tupleIJPjSE_EEENSF_IJSE_SE_EEES9_SG_JZNS1_25segmented_radix_sort_implINS0_14default_configELb1EPK12hip_bfloat16PSL_PKlPlN2at6native12_GLOBAL__N_18offset_tEEE10hipError_tPvRmT1_PNSt15iterator_traitsISZ_E10value_typeET2_T3_PNS10_IS15_E10value_typeET4_jRbjT5_S1B_jjP12ihipStream_tbEUljE_EEESW_SX_SY_S15_S19_S1B_T6_T7_T9_mT8_S1D_bDpT10_ENKUlT_T0_E_clISt17integral_constantIbLb0EES1Q_EEDaS1L_S1M_EUlS1L_E_NS1_11comp_targetILNS1_3genE9ELNS1_11target_archE1100ELNS1_3gpuE3ELNS1_3repE0EEENS1_30default_config_static_selectorELNS0_4arch9wavefront6targetE1EEEvSZ_.uses_vcc, 0
	.set _ZN7rocprim17ROCPRIM_400000_NS6detail17trampoline_kernelINS0_13select_configILj256ELj13ELNS0_17block_load_methodE3ELS4_3ELS4_3ELNS0_20block_scan_algorithmE0ELj4294967295EEENS1_25partition_config_selectorILNS1_17partition_subalgoE3EjNS0_10empty_typeEbEEZZNS1_14partition_implILS8_3ELb0ES6_jNS0_17counting_iteratorIjlEEPS9_SE_NS0_5tupleIJPjSE_EEENSF_IJSE_SE_EEES9_SG_JZNS1_25segmented_radix_sort_implINS0_14default_configELb1EPK12hip_bfloat16PSL_PKlPlN2at6native12_GLOBAL__N_18offset_tEEE10hipError_tPvRmT1_PNSt15iterator_traitsISZ_E10value_typeET2_T3_PNS10_IS15_E10value_typeET4_jRbjT5_S1B_jjP12ihipStream_tbEUljE_EEESW_SX_SY_S15_S19_S1B_T6_T7_T9_mT8_S1D_bDpT10_ENKUlT_T0_E_clISt17integral_constantIbLb0EES1Q_EEDaS1L_S1M_EUlS1L_E_NS1_11comp_targetILNS1_3genE9ELNS1_11target_archE1100ELNS1_3gpuE3ELNS1_3repE0EEENS1_30default_config_static_selectorELNS0_4arch9wavefront6targetE1EEEvSZ_.uses_flat_scratch, 0
	.set _ZN7rocprim17ROCPRIM_400000_NS6detail17trampoline_kernelINS0_13select_configILj256ELj13ELNS0_17block_load_methodE3ELS4_3ELS4_3ELNS0_20block_scan_algorithmE0ELj4294967295EEENS1_25partition_config_selectorILNS1_17partition_subalgoE3EjNS0_10empty_typeEbEEZZNS1_14partition_implILS8_3ELb0ES6_jNS0_17counting_iteratorIjlEEPS9_SE_NS0_5tupleIJPjSE_EEENSF_IJSE_SE_EEES9_SG_JZNS1_25segmented_radix_sort_implINS0_14default_configELb1EPK12hip_bfloat16PSL_PKlPlN2at6native12_GLOBAL__N_18offset_tEEE10hipError_tPvRmT1_PNSt15iterator_traitsISZ_E10value_typeET2_T3_PNS10_IS15_E10value_typeET4_jRbjT5_S1B_jjP12ihipStream_tbEUljE_EEESW_SX_SY_S15_S19_S1B_T6_T7_T9_mT8_S1D_bDpT10_ENKUlT_T0_E_clISt17integral_constantIbLb0EES1Q_EEDaS1L_S1M_EUlS1L_E_NS1_11comp_targetILNS1_3genE9ELNS1_11target_archE1100ELNS1_3gpuE3ELNS1_3repE0EEENS1_30default_config_static_selectorELNS0_4arch9wavefront6targetE1EEEvSZ_.has_dyn_sized_stack, 0
	.set _ZN7rocprim17ROCPRIM_400000_NS6detail17trampoline_kernelINS0_13select_configILj256ELj13ELNS0_17block_load_methodE3ELS4_3ELS4_3ELNS0_20block_scan_algorithmE0ELj4294967295EEENS1_25partition_config_selectorILNS1_17partition_subalgoE3EjNS0_10empty_typeEbEEZZNS1_14partition_implILS8_3ELb0ES6_jNS0_17counting_iteratorIjlEEPS9_SE_NS0_5tupleIJPjSE_EEENSF_IJSE_SE_EEES9_SG_JZNS1_25segmented_radix_sort_implINS0_14default_configELb1EPK12hip_bfloat16PSL_PKlPlN2at6native12_GLOBAL__N_18offset_tEEE10hipError_tPvRmT1_PNSt15iterator_traitsISZ_E10value_typeET2_T3_PNS10_IS15_E10value_typeET4_jRbjT5_S1B_jjP12ihipStream_tbEUljE_EEESW_SX_SY_S15_S19_S1B_T6_T7_T9_mT8_S1D_bDpT10_ENKUlT_T0_E_clISt17integral_constantIbLb0EES1Q_EEDaS1L_S1M_EUlS1L_E_NS1_11comp_targetILNS1_3genE9ELNS1_11target_archE1100ELNS1_3gpuE3ELNS1_3repE0EEENS1_30default_config_static_selectorELNS0_4arch9wavefront6targetE1EEEvSZ_.has_recursion, 0
	.set _ZN7rocprim17ROCPRIM_400000_NS6detail17trampoline_kernelINS0_13select_configILj256ELj13ELNS0_17block_load_methodE3ELS4_3ELS4_3ELNS0_20block_scan_algorithmE0ELj4294967295EEENS1_25partition_config_selectorILNS1_17partition_subalgoE3EjNS0_10empty_typeEbEEZZNS1_14partition_implILS8_3ELb0ES6_jNS0_17counting_iteratorIjlEEPS9_SE_NS0_5tupleIJPjSE_EEENSF_IJSE_SE_EEES9_SG_JZNS1_25segmented_radix_sort_implINS0_14default_configELb1EPK12hip_bfloat16PSL_PKlPlN2at6native12_GLOBAL__N_18offset_tEEE10hipError_tPvRmT1_PNSt15iterator_traitsISZ_E10value_typeET2_T3_PNS10_IS15_E10value_typeET4_jRbjT5_S1B_jjP12ihipStream_tbEUljE_EEESW_SX_SY_S15_S19_S1B_T6_T7_T9_mT8_S1D_bDpT10_ENKUlT_T0_E_clISt17integral_constantIbLb0EES1Q_EEDaS1L_S1M_EUlS1L_E_NS1_11comp_targetILNS1_3genE9ELNS1_11target_archE1100ELNS1_3gpuE3ELNS1_3repE0EEENS1_30default_config_static_selectorELNS0_4arch9wavefront6targetE1EEEvSZ_.has_indirect_call, 0
	.section	.AMDGPU.csdata,"",@progbits
; Kernel info:
; codeLenInByte = 0
; TotalNumSgprs: 4
; NumVgprs: 0
; ScratchSize: 0
; MemoryBound: 0
; FloatMode: 240
; IeeeMode: 1
; LDSByteSize: 0 bytes/workgroup (compile time only)
; SGPRBlocks: 0
; VGPRBlocks: 0
; NumSGPRsForWavesPerEU: 4
; NumVGPRsForWavesPerEU: 1
; Occupancy: 10
; WaveLimiterHint : 0
; COMPUTE_PGM_RSRC2:SCRATCH_EN: 0
; COMPUTE_PGM_RSRC2:USER_SGPR: 6
; COMPUTE_PGM_RSRC2:TRAP_HANDLER: 0
; COMPUTE_PGM_RSRC2:TGID_X_EN: 1
; COMPUTE_PGM_RSRC2:TGID_Y_EN: 0
; COMPUTE_PGM_RSRC2:TGID_Z_EN: 0
; COMPUTE_PGM_RSRC2:TIDIG_COMP_CNT: 0
	.section	.text._ZN7rocprim17ROCPRIM_400000_NS6detail17trampoline_kernelINS0_13select_configILj256ELj13ELNS0_17block_load_methodE3ELS4_3ELS4_3ELNS0_20block_scan_algorithmE0ELj4294967295EEENS1_25partition_config_selectorILNS1_17partition_subalgoE3EjNS0_10empty_typeEbEEZZNS1_14partition_implILS8_3ELb0ES6_jNS0_17counting_iteratorIjlEEPS9_SE_NS0_5tupleIJPjSE_EEENSF_IJSE_SE_EEES9_SG_JZNS1_25segmented_radix_sort_implINS0_14default_configELb1EPK12hip_bfloat16PSL_PKlPlN2at6native12_GLOBAL__N_18offset_tEEE10hipError_tPvRmT1_PNSt15iterator_traitsISZ_E10value_typeET2_T3_PNS10_IS15_E10value_typeET4_jRbjT5_S1B_jjP12ihipStream_tbEUljE_EEESW_SX_SY_S15_S19_S1B_T6_T7_T9_mT8_S1D_bDpT10_ENKUlT_T0_E_clISt17integral_constantIbLb0EES1Q_EEDaS1L_S1M_EUlS1L_E_NS1_11comp_targetILNS1_3genE8ELNS1_11target_archE1030ELNS1_3gpuE2ELNS1_3repE0EEENS1_30default_config_static_selectorELNS0_4arch9wavefront6targetE1EEEvSZ_,"axG",@progbits,_ZN7rocprim17ROCPRIM_400000_NS6detail17trampoline_kernelINS0_13select_configILj256ELj13ELNS0_17block_load_methodE3ELS4_3ELS4_3ELNS0_20block_scan_algorithmE0ELj4294967295EEENS1_25partition_config_selectorILNS1_17partition_subalgoE3EjNS0_10empty_typeEbEEZZNS1_14partition_implILS8_3ELb0ES6_jNS0_17counting_iteratorIjlEEPS9_SE_NS0_5tupleIJPjSE_EEENSF_IJSE_SE_EEES9_SG_JZNS1_25segmented_radix_sort_implINS0_14default_configELb1EPK12hip_bfloat16PSL_PKlPlN2at6native12_GLOBAL__N_18offset_tEEE10hipError_tPvRmT1_PNSt15iterator_traitsISZ_E10value_typeET2_T3_PNS10_IS15_E10value_typeET4_jRbjT5_S1B_jjP12ihipStream_tbEUljE_EEESW_SX_SY_S15_S19_S1B_T6_T7_T9_mT8_S1D_bDpT10_ENKUlT_T0_E_clISt17integral_constantIbLb0EES1Q_EEDaS1L_S1M_EUlS1L_E_NS1_11comp_targetILNS1_3genE8ELNS1_11target_archE1030ELNS1_3gpuE2ELNS1_3repE0EEENS1_30default_config_static_selectorELNS0_4arch9wavefront6targetE1EEEvSZ_,comdat
	.globl	_ZN7rocprim17ROCPRIM_400000_NS6detail17trampoline_kernelINS0_13select_configILj256ELj13ELNS0_17block_load_methodE3ELS4_3ELS4_3ELNS0_20block_scan_algorithmE0ELj4294967295EEENS1_25partition_config_selectorILNS1_17partition_subalgoE3EjNS0_10empty_typeEbEEZZNS1_14partition_implILS8_3ELb0ES6_jNS0_17counting_iteratorIjlEEPS9_SE_NS0_5tupleIJPjSE_EEENSF_IJSE_SE_EEES9_SG_JZNS1_25segmented_radix_sort_implINS0_14default_configELb1EPK12hip_bfloat16PSL_PKlPlN2at6native12_GLOBAL__N_18offset_tEEE10hipError_tPvRmT1_PNSt15iterator_traitsISZ_E10value_typeET2_T3_PNS10_IS15_E10value_typeET4_jRbjT5_S1B_jjP12ihipStream_tbEUljE_EEESW_SX_SY_S15_S19_S1B_T6_T7_T9_mT8_S1D_bDpT10_ENKUlT_T0_E_clISt17integral_constantIbLb0EES1Q_EEDaS1L_S1M_EUlS1L_E_NS1_11comp_targetILNS1_3genE8ELNS1_11target_archE1030ELNS1_3gpuE2ELNS1_3repE0EEENS1_30default_config_static_selectorELNS0_4arch9wavefront6targetE1EEEvSZ_ ; -- Begin function _ZN7rocprim17ROCPRIM_400000_NS6detail17trampoline_kernelINS0_13select_configILj256ELj13ELNS0_17block_load_methodE3ELS4_3ELS4_3ELNS0_20block_scan_algorithmE0ELj4294967295EEENS1_25partition_config_selectorILNS1_17partition_subalgoE3EjNS0_10empty_typeEbEEZZNS1_14partition_implILS8_3ELb0ES6_jNS0_17counting_iteratorIjlEEPS9_SE_NS0_5tupleIJPjSE_EEENSF_IJSE_SE_EEES9_SG_JZNS1_25segmented_radix_sort_implINS0_14default_configELb1EPK12hip_bfloat16PSL_PKlPlN2at6native12_GLOBAL__N_18offset_tEEE10hipError_tPvRmT1_PNSt15iterator_traitsISZ_E10value_typeET2_T3_PNS10_IS15_E10value_typeET4_jRbjT5_S1B_jjP12ihipStream_tbEUljE_EEESW_SX_SY_S15_S19_S1B_T6_T7_T9_mT8_S1D_bDpT10_ENKUlT_T0_E_clISt17integral_constantIbLb0EES1Q_EEDaS1L_S1M_EUlS1L_E_NS1_11comp_targetILNS1_3genE8ELNS1_11target_archE1030ELNS1_3gpuE2ELNS1_3repE0EEENS1_30default_config_static_selectorELNS0_4arch9wavefront6targetE1EEEvSZ_
	.p2align	8
	.type	_ZN7rocprim17ROCPRIM_400000_NS6detail17trampoline_kernelINS0_13select_configILj256ELj13ELNS0_17block_load_methodE3ELS4_3ELS4_3ELNS0_20block_scan_algorithmE0ELj4294967295EEENS1_25partition_config_selectorILNS1_17partition_subalgoE3EjNS0_10empty_typeEbEEZZNS1_14partition_implILS8_3ELb0ES6_jNS0_17counting_iteratorIjlEEPS9_SE_NS0_5tupleIJPjSE_EEENSF_IJSE_SE_EEES9_SG_JZNS1_25segmented_radix_sort_implINS0_14default_configELb1EPK12hip_bfloat16PSL_PKlPlN2at6native12_GLOBAL__N_18offset_tEEE10hipError_tPvRmT1_PNSt15iterator_traitsISZ_E10value_typeET2_T3_PNS10_IS15_E10value_typeET4_jRbjT5_S1B_jjP12ihipStream_tbEUljE_EEESW_SX_SY_S15_S19_S1B_T6_T7_T9_mT8_S1D_bDpT10_ENKUlT_T0_E_clISt17integral_constantIbLb0EES1Q_EEDaS1L_S1M_EUlS1L_E_NS1_11comp_targetILNS1_3genE8ELNS1_11target_archE1030ELNS1_3gpuE2ELNS1_3repE0EEENS1_30default_config_static_selectorELNS0_4arch9wavefront6targetE1EEEvSZ_,@function
_ZN7rocprim17ROCPRIM_400000_NS6detail17trampoline_kernelINS0_13select_configILj256ELj13ELNS0_17block_load_methodE3ELS4_3ELS4_3ELNS0_20block_scan_algorithmE0ELj4294967295EEENS1_25partition_config_selectorILNS1_17partition_subalgoE3EjNS0_10empty_typeEbEEZZNS1_14partition_implILS8_3ELb0ES6_jNS0_17counting_iteratorIjlEEPS9_SE_NS0_5tupleIJPjSE_EEENSF_IJSE_SE_EEES9_SG_JZNS1_25segmented_radix_sort_implINS0_14default_configELb1EPK12hip_bfloat16PSL_PKlPlN2at6native12_GLOBAL__N_18offset_tEEE10hipError_tPvRmT1_PNSt15iterator_traitsISZ_E10value_typeET2_T3_PNS10_IS15_E10value_typeET4_jRbjT5_S1B_jjP12ihipStream_tbEUljE_EEESW_SX_SY_S15_S19_S1B_T6_T7_T9_mT8_S1D_bDpT10_ENKUlT_T0_E_clISt17integral_constantIbLb0EES1Q_EEDaS1L_S1M_EUlS1L_E_NS1_11comp_targetILNS1_3genE8ELNS1_11target_archE1030ELNS1_3gpuE2ELNS1_3repE0EEENS1_30default_config_static_selectorELNS0_4arch9wavefront6targetE1EEEvSZ_: ; @_ZN7rocprim17ROCPRIM_400000_NS6detail17trampoline_kernelINS0_13select_configILj256ELj13ELNS0_17block_load_methodE3ELS4_3ELS4_3ELNS0_20block_scan_algorithmE0ELj4294967295EEENS1_25partition_config_selectorILNS1_17partition_subalgoE3EjNS0_10empty_typeEbEEZZNS1_14partition_implILS8_3ELb0ES6_jNS0_17counting_iteratorIjlEEPS9_SE_NS0_5tupleIJPjSE_EEENSF_IJSE_SE_EEES9_SG_JZNS1_25segmented_radix_sort_implINS0_14default_configELb1EPK12hip_bfloat16PSL_PKlPlN2at6native12_GLOBAL__N_18offset_tEEE10hipError_tPvRmT1_PNSt15iterator_traitsISZ_E10value_typeET2_T3_PNS10_IS15_E10value_typeET4_jRbjT5_S1B_jjP12ihipStream_tbEUljE_EEESW_SX_SY_S15_S19_S1B_T6_T7_T9_mT8_S1D_bDpT10_ENKUlT_T0_E_clISt17integral_constantIbLb0EES1Q_EEDaS1L_S1M_EUlS1L_E_NS1_11comp_targetILNS1_3genE8ELNS1_11target_archE1030ELNS1_3gpuE2ELNS1_3repE0EEENS1_30default_config_static_selectorELNS0_4arch9wavefront6targetE1EEEvSZ_
; %bb.0:
	.section	.rodata,"a",@progbits
	.p2align	6, 0x0
	.amdhsa_kernel _ZN7rocprim17ROCPRIM_400000_NS6detail17trampoline_kernelINS0_13select_configILj256ELj13ELNS0_17block_load_methodE3ELS4_3ELS4_3ELNS0_20block_scan_algorithmE0ELj4294967295EEENS1_25partition_config_selectorILNS1_17partition_subalgoE3EjNS0_10empty_typeEbEEZZNS1_14partition_implILS8_3ELb0ES6_jNS0_17counting_iteratorIjlEEPS9_SE_NS0_5tupleIJPjSE_EEENSF_IJSE_SE_EEES9_SG_JZNS1_25segmented_radix_sort_implINS0_14default_configELb1EPK12hip_bfloat16PSL_PKlPlN2at6native12_GLOBAL__N_18offset_tEEE10hipError_tPvRmT1_PNSt15iterator_traitsISZ_E10value_typeET2_T3_PNS10_IS15_E10value_typeET4_jRbjT5_S1B_jjP12ihipStream_tbEUljE_EEESW_SX_SY_S15_S19_S1B_T6_T7_T9_mT8_S1D_bDpT10_ENKUlT_T0_E_clISt17integral_constantIbLb0EES1Q_EEDaS1L_S1M_EUlS1L_E_NS1_11comp_targetILNS1_3genE8ELNS1_11target_archE1030ELNS1_3gpuE2ELNS1_3repE0EEENS1_30default_config_static_selectorELNS0_4arch9wavefront6targetE1EEEvSZ_
		.amdhsa_group_segment_fixed_size 0
		.amdhsa_private_segment_fixed_size 0
		.amdhsa_kernarg_size 144
		.amdhsa_user_sgpr_count 6
		.amdhsa_user_sgpr_private_segment_buffer 1
		.amdhsa_user_sgpr_dispatch_ptr 0
		.amdhsa_user_sgpr_queue_ptr 0
		.amdhsa_user_sgpr_kernarg_segment_ptr 1
		.amdhsa_user_sgpr_dispatch_id 0
		.amdhsa_user_sgpr_flat_scratch_init 0
		.amdhsa_user_sgpr_private_segment_size 0
		.amdhsa_uses_dynamic_stack 0
		.amdhsa_system_sgpr_private_segment_wavefront_offset 0
		.amdhsa_system_sgpr_workgroup_id_x 1
		.amdhsa_system_sgpr_workgroup_id_y 0
		.amdhsa_system_sgpr_workgroup_id_z 0
		.amdhsa_system_sgpr_workgroup_info 0
		.amdhsa_system_vgpr_workitem_id 0
		.amdhsa_next_free_vgpr 1
		.amdhsa_next_free_sgpr 0
		.amdhsa_reserve_vcc 0
		.amdhsa_reserve_flat_scratch 0
		.amdhsa_float_round_mode_32 0
		.amdhsa_float_round_mode_16_64 0
		.amdhsa_float_denorm_mode_32 3
		.amdhsa_float_denorm_mode_16_64 3
		.amdhsa_dx10_clamp 1
		.amdhsa_ieee_mode 1
		.amdhsa_fp16_overflow 0
		.amdhsa_exception_fp_ieee_invalid_op 0
		.amdhsa_exception_fp_denorm_src 0
		.amdhsa_exception_fp_ieee_div_zero 0
		.amdhsa_exception_fp_ieee_overflow 0
		.amdhsa_exception_fp_ieee_underflow 0
		.amdhsa_exception_fp_ieee_inexact 0
		.amdhsa_exception_int_div_zero 0
	.end_amdhsa_kernel
	.section	.text._ZN7rocprim17ROCPRIM_400000_NS6detail17trampoline_kernelINS0_13select_configILj256ELj13ELNS0_17block_load_methodE3ELS4_3ELS4_3ELNS0_20block_scan_algorithmE0ELj4294967295EEENS1_25partition_config_selectorILNS1_17partition_subalgoE3EjNS0_10empty_typeEbEEZZNS1_14partition_implILS8_3ELb0ES6_jNS0_17counting_iteratorIjlEEPS9_SE_NS0_5tupleIJPjSE_EEENSF_IJSE_SE_EEES9_SG_JZNS1_25segmented_radix_sort_implINS0_14default_configELb1EPK12hip_bfloat16PSL_PKlPlN2at6native12_GLOBAL__N_18offset_tEEE10hipError_tPvRmT1_PNSt15iterator_traitsISZ_E10value_typeET2_T3_PNS10_IS15_E10value_typeET4_jRbjT5_S1B_jjP12ihipStream_tbEUljE_EEESW_SX_SY_S15_S19_S1B_T6_T7_T9_mT8_S1D_bDpT10_ENKUlT_T0_E_clISt17integral_constantIbLb0EES1Q_EEDaS1L_S1M_EUlS1L_E_NS1_11comp_targetILNS1_3genE8ELNS1_11target_archE1030ELNS1_3gpuE2ELNS1_3repE0EEENS1_30default_config_static_selectorELNS0_4arch9wavefront6targetE1EEEvSZ_,"axG",@progbits,_ZN7rocprim17ROCPRIM_400000_NS6detail17trampoline_kernelINS0_13select_configILj256ELj13ELNS0_17block_load_methodE3ELS4_3ELS4_3ELNS0_20block_scan_algorithmE0ELj4294967295EEENS1_25partition_config_selectorILNS1_17partition_subalgoE3EjNS0_10empty_typeEbEEZZNS1_14partition_implILS8_3ELb0ES6_jNS0_17counting_iteratorIjlEEPS9_SE_NS0_5tupleIJPjSE_EEENSF_IJSE_SE_EEES9_SG_JZNS1_25segmented_radix_sort_implINS0_14default_configELb1EPK12hip_bfloat16PSL_PKlPlN2at6native12_GLOBAL__N_18offset_tEEE10hipError_tPvRmT1_PNSt15iterator_traitsISZ_E10value_typeET2_T3_PNS10_IS15_E10value_typeET4_jRbjT5_S1B_jjP12ihipStream_tbEUljE_EEESW_SX_SY_S15_S19_S1B_T6_T7_T9_mT8_S1D_bDpT10_ENKUlT_T0_E_clISt17integral_constantIbLb0EES1Q_EEDaS1L_S1M_EUlS1L_E_NS1_11comp_targetILNS1_3genE8ELNS1_11target_archE1030ELNS1_3gpuE2ELNS1_3repE0EEENS1_30default_config_static_selectorELNS0_4arch9wavefront6targetE1EEEvSZ_,comdat
.Lfunc_end1921:
	.size	_ZN7rocprim17ROCPRIM_400000_NS6detail17trampoline_kernelINS0_13select_configILj256ELj13ELNS0_17block_load_methodE3ELS4_3ELS4_3ELNS0_20block_scan_algorithmE0ELj4294967295EEENS1_25partition_config_selectorILNS1_17partition_subalgoE3EjNS0_10empty_typeEbEEZZNS1_14partition_implILS8_3ELb0ES6_jNS0_17counting_iteratorIjlEEPS9_SE_NS0_5tupleIJPjSE_EEENSF_IJSE_SE_EEES9_SG_JZNS1_25segmented_radix_sort_implINS0_14default_configELb1EPK12hip_bfloat16PSL_PKlPlN2at6native12_GLOBAL__N_18offset_tEEE10hipError_tPvRmT1_PNSt15iterator_traitsISZ_E10value_typeET2_T3_PNS10_IS15_E10value_typeET4_jRbjT5_S1B_jjP12ihipStream_tbEUljE_EEESW_SX_SY_S15_S19_S1B_T6_T7_T9_mT8_S1D_bDpT10_ENKUlT_T0_E_clISt17integral_constantIbLb0EES1Q_EEDaS1L_S1M_EUlS1L_E_NS1_11comp_targetILNS1_3genE8ELNS1_11target_archE1030ELNS1_3gpuE2ELNS1_3repE0EEENS1_30default_config_static_selectorELNS0_4arch9wavefront6targetE1EEEvSZ_, .Lfunc_end1921-_ZN7rocprim17ROCPRIM_400000_NS6detail17trampoline_kernelINS0_13select_configILj256ELj13ELNS0_17block_load_methodE3ELS4_3ELS4_3ELNS0_20block_scan_algorithmE0ELj4294967295EEENS1_25partition_config_selectorILNS1_17partition_subalgoE3EjNS0_10empty_typeEbEEZZNS1_14partition_implILS8_3ELb0ES6_jNS0_17counting_iteratorIjlEEPS9_SE_NS0_5tupleIJPjSE_EEENSF_IJSE_SE_EEES9_SG_JZNS1_25segmented_radix_sort_implINS0_14default_configELb1EPK12hip_bfloat16PSL_PKlPlN2at6native12_GLOBAL__N_18offset_tEEE10hipError_tPvRmT1_PNSt15iterator_traitsISZ_E10value_typeET2_T3_PNS10_IS15_E10value_typeET4_jRbjT5_S1B_jjP12ihipStream_tbEUljE_EEESW_SX_SY_S15_S19_S1B_T6_T7_T9_mT8_S1D_bDpT10_ENKUlT_T0_E_clISt17integral_constantIbLb0EES1Q_EEDaS1L_S1M_EUlS1L_E_NS1_11comp_targetILNS1_3genE8ELNS1_11target_archE1030ELNS1_3gpuE2ELNS1_3repE0EEENS1_30default_config_static_selectorELNS0_4arch9wavefront6targetE1EEEvSZ_
                                        ; -- End function
	.set _ZN7rocprim17ROCPRIM_400000_NS6detail17trampoline_kernelINS0_13select_configILj256ELj13ELNS0_17block_load_methodE3ELS4_3ELS4_3ELNS0_20block_scan_algorithmE0ELj4294967295EEENS1_25partition_config_selectorILNS1_17partition_subalgoE3EjNS0_10empty_typeEbEEZZNS1_14partition_implILS8_3ELb0ES6_jNS0_17counting_iteratorIjlEEPS9_SE_NS0_5tupleIJPjSE_EEENSF_IJSE_SE_EEES9_SG_JZNS1_25segmented_radix_sort_implINS0_14default_configELb1EPK12hip_bfloat16PSL_PKlPlN2at6native12_GLOBAL__N_18offset_tEEE10hipError_tPvRmT1_PNSt15iterator_traitsISZ_E10value_typeET2_T3_PNS10_IS15_E10value_typeET4_jRbjT5_S1B_jjP12ihipStream_tbEUljE_EEESW_SX_SY_S15_S19_S1B_T6_T7_T9_mT8_S1D_bDpT10_ENKUlT_T0_E_clISt17integral_constantIbLb0EES1Q_EEDaS1L_S1M_EUlS1L_E_NS1_11comp_targetILNS1_3genE8ELNS1_11target_archE1030ELNS1_3gpuE2ELNS1_3repE0EEENS1_30default_config_static_selectorELNS0_4arch9wavefront6targetE1EEEvSZ_.num_vgpr, 0
	.set _ZN7rocprim17ROCPRIM_400000_NS6detail17trampoline_kernelINS0_13select_configILj256ELj13ELNS0_17block_load_methodE3ELS4_3ELS4_3ELNS0_20block_scan_algorithmE0ELj4294967295EEENS1_25partition_config_selectorILNS1_17partition_subalgoE3EjNS0_10empty_typeEbEEZZNS1_14partition_implILS8_3ELb0ES6_jNS0_17counting_iteratorIjlEEPS9_SE_NS0_5tupleIJPjSE_EEENSF_IJSE_SE_EEES9_SG_JZNS1_25segmented_radix_sort_implINS0_14default_configELb1EPK12hip_bfloat16PSL_PKlPlN2at6native12_GLOBAL__N_18offset_tEEE10hipError_tPvRmT1_PNSt15iterator_traitsISZ_E10value_typeET2_T3_PNS10_IS15_E10value_typeET4_jRbjT5_S1B_jjP12ihipStream_tbEUljE_EEESW_SX_SY_S15_S19_S1B_T6_T7_T9_mT8_S1D_bDpT10_ENKUlT_T0_E_clISt17integral_constantIbLb0EES1Q_EEDaS1L_S1M_EUlS1L_E_NS1_11comp_targetILNS1_3genE8ELNS1_11target_archE1030ELNS1_3gpuE2ELNS1_3repE0EEENS1_30default_config_static_selectorELNS0_4arch9wavefront6targetE1EEEvSZ_.num_agpr, 0
	.set _ZN7rocprim17ROCPRIM_400000_NS6detail17trampoline_kernelINS0_13select_configILj256ELj13ELNS0_17block_load_methodE3ELS4_3ELS4_3ELNS0_20block_scan_algorithmE0ELj4294967295EEENS1_25partition_config_selectorILNS1_17partition_subalgoE3EjNS0_10empty_typeEbEEZZNS1_14partition_implILS8_3ELb0ES6_jNS0_17counting_iteratorIjlEEPS9_SE_NS0_5tupleIJPjSE_EEENSF_IJSE_SE_EEES9_SG_JZNS1_25segmented_radix_sort_implINS0_14default_configELb1EPK12hip_bfloat16PSL_PKlPlN2at6native12_GLOBAL__N_18offset_tEEE10hipError_tPvRmT1_PNSt15iterator_traitsISZ_E10value_typeET2_T3_PNS10_IS15_E10value_typeET4_jRbjT5_S1B_jjP12ihipStream_tbEUljE_EEESW_SX_SY_S15_S19_S1B_T6_T7_T9_mT8_S1D_bDpT10_ENKUlT_T0_E_clISt17integral_constantIbLb0EES1Q_EEDaS1L_S1M_EUlS1L_E_NS1_11comp_targetILNS1_3genE8ELNS1_11target_archE1030ELNS1_3gpuE2ELNS1_3repE0EEENS1_30default_config_static_selectorELNS0_4arch9wavefront6targetE1EEEvSZ_.numbered_sgpr, 0
	.set _ZN7rocprim17ROCPRIM_400000_NS6detail17trampoline_kernelINS0_13select_configILj256ELj13ELNS0_17block_load_methodE3ELS4_3ELS4_3ELNS0_20block_scan_algorithmE0ELj4294967295EEENS1_25partition_config_selectorILNS1_17partition_subalgoE3EjNS0_10empty_typeEbEEZZNS1_14partition_implILS8_3ELb0ES6_jNS0_17counting_iteratorIjlEEPS9_SE_NS0_5tupleIJPjSE_EEENSF_IJSE_SE_EEES9_SG_JZNS1_25segmented_radix_sort_implINS0_14default_configELb1EPK12hip_bfloat16PSL_PKlPlN2at6native12_GLOBAL__N_18offset_tEEE10hipError_tPvRmT1_PNSt15iterator_traitsISZ_E10value_typeET2_T3_PNS10_IS15_E10value_typeET4_jRbjT5_S1B_jjP12ihipStream_tbEUljE_EEESW_SX_SY_S15_S19_S1B_T6_T7_T9_mT8_S1D_bDpT10_ENKUlT_T0_E_clISt17integral_constantIbLb0EES1Q_EEDaS1L_S1M_EUlS1L_E_NS1_11comp_targetILNS1_3genE8ELNS1_11target_archE1030ELNS1_3gpuE2ELNS1_3repE0EEENS1_30default_config_static_selectorELNS0_4arch9wavefront6targetE1EEEvSZ_.num_named_barrier, 0
	.set _ZN7rocprim17ROCPRIM_400000_NS6detail17trampoline_kernelINS0_13select_configILj256ELj13ELNS0_17block_load_methodE3ELS4_3ELS4_3ELNS0_20block_scan_algorithmE0ELj4294967295EEENS1_25partition_config_selectorILNS1_17partition_subalgoE3EjNS0_10empty_typeEbEEZZNS1_14partition_implILS8_3ELb0ES6_jNS0_17counting_iteratorIjlEEPS9_SE_NS0_5tupleIJPjSE_EEENSF_IJSE_SE_EEES9_SG_JZNS1_25segmented_radix_sort_implINS0_14default_configELb1EPK12hip_bfloat16PSL_PKlPlN2at6native12_GLOBAL__N_18offset_tEEE10hipError_tPvRmT1_PNSt15iterator_traitsISZ_E10value_typeET2_T3_PNS10_IS15_E10value_typeET4_jRbjT5_S1B_jjP12ihipStream_tbEUljE_EEESW_SX_SY_S15_S19_S1B_T6_T7_T9_mT8_S1D_bDpT10_ENKUlT_T0_E_clISt17integral_constantIbLb0EES1Q_EEDaS1L_S1M_EUlS1L_E_NS1_11comp_targetILNS1_3genE8ELNS1_11target_archE1030ELNS1_3gpuE2ELNS1_3repE0EEENS1_30default_config_static_selectorELNS0_4arch9wavefront6targetE1EEEvSZ_.private_seg_size, 0
	.set _ZN7rocprim17ROCPRIM_400000_NS6detail17trampoline_kernelINS0_13select_configILj256ELj13ELNS0_17block_load_methodE3ELS4_3ELS4_3ELNS0_20block_scan_algorithmE0ELj4294967295EEENS1_25partition_config_selectorILNS1_17partition_subalgoE3EjNS0_10empty_typeEbEEZZNS1_14partition_implILS8_3ELb0ES6_jNS0_17counting_iteratorIjlEEPS9_SE_NS0_5tupleIJPjSE_EEENSF_IJSE_SE_EEES9_SG_JZNS1_25segmented_radix_sort_implINS0_14default_configELb1EPK12hip_bfloat16PSL_PKlPlN2at6native12_GLOBAL__N_18offset_tEEE10hipError_tPvRmT1_PNSt15iterator_traitsISZ_E10value_typeET2_T3_PNS10_IS15_E10value_typeET4_jRbjT5_S1B_jjP12ihipStream_tbEUljE_EEESW_SX_SY_S15_S19_S1B_T6_T7_T9_mT8_S1D_bDpT10_ENKUlT_T0_E_clISt17integral_constantIbLb0EES1Q_EEDaS1L_S1M_EUlS1L_E_NS1_11comp_targetILNS1_3genE8ELNS1_11target_archE1030ELNS1_3gpuE2ELNS1_3repE0EEENS1_30default_config_static_selectorELNS0_4arch9wavefront6targetE1EEEvSZ_.uses_vcc, 0
	.set _ZN7rocprim17ROCPRIM_400000_NS6detail17trampoline_kernelINS0_13select_configILj256ELj13ELNS0_17block_load_methodE3ELS4_3ELS4_3ELNS0_20block_scan_algorithmE0ELj4294967295EEENS1_25partition_config_selectorILNS1_17partition_subalgoE3EjNS0_10empty_typeEbEEZZNS1_14partition_implILS8_3ELb0ES6_jNS0_17counting_iteratorIjlEEPS9_SE_NS0_5tupleIJPjSE_EEENSF_IJSE_SE_EEES9_SG_JZNS1_25segmented_radix_sort_implINS0_14default_configELb1EPK12hip_bfloat16PSL_PKlPlN2at6native12_GLOBAL__N_18offset_tEEE10hipError_tPvRmT1_PNSt15iterator_traitsISZ_E10value_typeET2_T3_PNS10_IS15_E10value_typeET4_jRbjT5_S1B_jjP12ihipStream_tbEUljE_EEESW_SX_SY_S15_S19_S1B_T6_T7_T9_mT8_S1D_bDpT10_ENKUlT_T0_E_clISt17integral_constantIbLb0EES1Q_EEDaS1L_S1M_EUlS1L_E_NS1_11comp_targetILNS1_3genE8ELNS1_11target_archE1030ELNS1_3gpuE2ELNS1_3repE0EEENS1_30default_config_static_selectorELNS0_4arch9wavefront6targetE1EEEvSZ_.uses_flat_scratch, 0
	.set _ZN7rocprim17ROCPRIM_400000_NS6detail17trampoline_kernelINS0_13select_configILj256ELj13ELNS0_17block_load_methodE3ELS4_3ELS4_3ELNS0_20block_scan_algorithmE0ELj4294967295EEENS1_25partition_config_selectorILNS1_17partition_subalgoE3EjNS0_10empty_typeEbEEZZNS1_14partition_implILS8_3ELb0ES6_jNS0_17counting_iteratorIjlEEPS9_SE_NS0_5tupleIJPjSE_EEENSF_IJSE_SE_EEES9_SG_JZNS1_25segmented_radix_sort_implINS0_14default_configELb1EPK12hip_bfloat16PSL_PKlPlN2at6native12_GLOBAL__N_18offset_tEEE10hipError_tPvRmT1_PNSt15iterator_traitsISZ_E10value_typeET2_T3_PNS10_IS15_E10value_typeET4_jRbjT5_S1B_jjP12ihipStream_tbEUljE_EEESW_SX_SY_S15_S19_S1B_T6_T7_T9_mT8_S1D_bDpT10_ENKUlT_T0_E_clISt17integral_constantIbLb0EES1Q_EEDaS1L_S1M_EUlS1L_E_NS1_11comp_targetILNS1_3genE8ELNS1_11target_archE1030ELNS1_3gpuE2ELNS1_3repE0EEENS1_30default_config_static_selectorELNS0_4arch9wavefront6targetE1EEEvSZ_.has_dyn_sized_stack, 0
	.set _ZN7rocprim17ROCPRIM_400000_NS6detail17trampoline_kernelINS0_13select_configILj256ELj13ELNS0_17block_load_methodE3ELS4_3ELS4_3ELNS0_20block_scan_algorithmE0ELj4294967295EEENS1_25partition_config_selectorILNS1_17partition_subalgoE3EjNS0_10empty_typeEbEEZZNS1_14partition_implILS8_3ELb0ES6_jNS0_17counting_iteratorIjlEEPS9_SE_NS0_5tupleIJPjSE_EEENSF_IJSE_SE_EEES9_SG_JZNS1_25segmented_radix_sort_implINS0_14default_configELb1EPK12hip_bfloat16PSL_PKlPlN2at6native12_GLOBAL__N_18offset_tEEE10hipError_tPvRmT1_PNSt15iterator_traitsISZ_E10value_typeET2_T3_PNS10_IS15_E10value_typeET4_jRbjT5_S1B_jjP12ihipStream_tbEUljE_EEESW_SX_SY_S15_S19_S1B_T6_T7_T9_mT8_S1D_bDpT10_ENKUlT_T0_E_clISt17integral_constantIbLb0EES1Q_EEDaS1L_S1M_EUlS1L_E_NS1_11comp_targetILNS1_3genE8ELNS1_11target_archE1030ELNS1_3gpuE2ELNS1_3repE0EEENS1_30default_config_static_selectorELNS0_4arch9wavefront6targetE1EEEvSZ_.has_recursion, 0
	.set _ZN7rocprim17ROCPRIM_400000_NS6detail17trampoline_kernelINS0_13select_configILj256ELj13ELNS0_17block_load_methodE3ELS4_3ELS4_3ELNS0_20block_scan_algorithmE0ELj4294967295EEENS1_25partition_config_selectorILNS1_17partition_subalgoE3EjNS0_10empty_typeEbEEZZNS1_14partition_implILS8_3ELb0ES6_jNS0_17counting_iteratorIjlEEPS9_SE_NS0_5tupleIJPjSE_EEENSF_IJSE_SE_EEES9_SG_JZNS1_25segmented_radix_sort_implINS0_14default_configELb1EPK12hip_bfloat16PSL_PKlPlN2at6native12_GLOBAL__N_18offset_tEEE10hipError_tPvRmT1_PNSt15iterator_traitsISZ_E10value_typeET2_T3_PNS10_IS15_E10value_typeET4_jRbjT5_S1B_jjP12ihipStream_tbEUljE_EEESW_SX_SY_S15_S19_S1B_T6_T7_T9_mT8_S1D_bDpT10_ENKUlT_T0_E_clISt17integral_constantIbLb0EES1Q_EEDaS1L_S1M_EUlS1L_E_NS1_11comp_targetILNS1_3genE8ELNS1_11target_archE1030ELNS1_3gpuE2ELNS1_3repE0EEENS1_30default_config_static_selectorELNS0_4arch9wavefront6targetE1EEEvSZ_.has_indirect_call, 0
	.section	.AMDGPU.csdata,"",@progbits
; Kernel info:
; codeLenInByte = 0
; TotalNumSgprs: 4
; NumVgprs: 0
; ScratchSize: 0
; MemoryBound: 0
; FloatMode: 240
; IeeeMode: 1
; LDSByteSize: 0 bytes/workgroup (compile time only)
; SGPRBlocks: 0
; VGPRBlocks: 0
; NumSGPRsForWavesPerEU: 4
; NumVGPRsForWavesPerEU: 1
; Occupancy: 10
; WaveLimiterHint : 0
; COMPUTE_PGM_RSRC2:SCRATCH_EN: 0
; COMPUTE_PGM_RSRC2:USER_SGPR: 6
; COMPUTE_PGM_RSRC2:TRAP_HANDLER: 0
; COMPUTE_PGM_RSRC2:TGID_X_EN: 1
; COMPUTE_PGM_RSRC2:TGID_Y_EN: 0
; COMPUTE_PGM_RSRC2:TGID_Z_EN: 0
; COMPUTE_PGM_RSRC2:TIDIG_COMP_CNT: 0
	.section	.text._ZN7rocprim17ROCPRIM_400000_NS6detail17trampoline_kernelINS0_13select_configILj256ELj13ELNS0_17block_load_methodE3ELS4_3ELS4_3ELNS0_20block_scan_algorithmE0ELj4294967295EEENS1_25partition_config_selectorILNS1_17partition_subalgoE3EjNS0_10empty_typeEbEEZZNS1_14partition_implILS8_3ELb0ES6_jNS0_17counting_iteratorIjlEEPS9_SE_NS0_5tupleIJPjSE_EEENSF_IJSE_SE_EEES9_SG_JZNS1_25segmented_radix_sort_implINS0_14default_configELb1EPK12hip_bfloat16PSL_PKlPlN2at6native12_GLOBAL__N_18offset_tEEE10hipError_tPvRmT1_PNSt15iterator_traitsISZ_E10value_typeET2_T3_PNS10_IS15_E10value_typeET4_jRbjT5_S1B_jjP12ihipStream_tbEUljE_EEESW_SX_SY_S15_S19_S1B_T6_T7_T9_mT8_S1D_bDpT10_ENKUlT_T0_E_clISt17integral_constantIbLb1EES1Q_EEDaS1L_S1M_EUlS1L_E_NS1_11comp_targetILNS1_3genE0ELNS1_11target_archE4294967295ELNS1_3gpuE0ELNS1_3repE0EEENS1_30default_config_static_selectorELNS0_4arch9wavefront6targetE1EEEvSZ_,"axG",@progbits,_ZN7rocprim17ROCPRIM_400000_NS6detail17trampoline_kernelINS0_13select_configILj256ELj13ELNS0_17block_load_methodE3ELS4_3ELS4_3ELNS0_20block_scan_algorithmE0ELj4294967295EEENS1_25partition_config_selectorILNS1_17partition_subalgoE3EjNS0_10empty_typeEbEEZZNS1_14partition_implILS8_3ELb0ES6_jNS0_17counting_iteratorIjlEEPS9_SE_NS0_5tupleIJPjSE_EEENSF_IJSE_SE_EEES9_SG_JZNS1_25segmented_radix_sort_implINS0_14default_configELb1EPK12hip_bfloat16PSL_PKlPlN2at6native12_GLOBAL__N_18offset_tEEE10hipError_tPvRmT1_PNSt15iterator_traitsISZ_E10value_typeET2_T3_PNS10_IS15_E10value_typeET4_jRbjT5_S1B_jjP12ihipStream_tbEUljE_EEESW_SX_SY_S15_S19_S1B_T6_T7_T9_mT8_S1D_bDpT10_ENKUlT_T0_E_clISt17integral_constantIbLb1EES1Q_EEDaS1L_S1M_EUlS1L_E_NS1_11comp_targetILNS1_3genE0ELNS1_11target_archE4294967295ELNS1_3gpuE0ELNS1_3repE0EEENS1_30default_config_static_selectorELNS0_4arch9wavefront6targetE1EEEvSZ_,comdat
	.globl	_ZN7rocprim17ROCPRIM_400000_NS6detail17trampoline_kernelINS0_13select_configILj256ELj13ELNS0_17block_load_methodE3ELS4_3ELS4_3ELNS0_20block_scan_algorithmE0ELj4294967295EEENS1_25partition_config_selectorILNS1_17partition_subalgoE3EjNS0_10empty_typeEbEEZZNS1_14partition_implILS8_3ELb0ES6_jNS0_17counting_iteratorIjlEEPS9_SE_NS0_5tupleIJPjSE_EEENSF_IJSE_SE_EEES9_SG_JZNS1_25segmented_radix_sort_implINS0_14default_configELb1EPK12hip_bfloat16PSL_PKlPlN2at6native12_GLOBAL__N_18offset_tEEE10hipError_tPvRmT1_PNSt15iterator_traitsISZ_E10value_typeET2_T3_PNS10_IS15_E10value_typeET4_jRbjT5_S1B_jjP12ihipStream_tbEUljE_EEESW_SX_SY_S15_S19_S1B_T6_T7_T9_mT8_S1D_bDpT10_ENKUlT_T0_E_clISt17integral_constantIbLb1EES1Q_EEDaS1L_S1M_EUlS1L_E_NS1_11comp_targetILNS1_3genE0ELNS1_11target_archE4294967295ELNS1_3gpuE0ELNS1_3repE0EEENS1_30default_config_static_selectorELNS0_4arch9wavefront6targetE1EEEvSZ_ ; -- Begin function _ZN7rocprim17ROCPRIM_400000_NS6detail17trampoline_kernelINS0_13select_configILj256ELj13ELNS0_17block_load_methodE3ELS4_3ELS4_3ELNS0_20block_scan_algorithmE0ELj4294967295EEENS1_25partition_config_selectorILNS1_17partition_subalgoE3EjNS0_10empty_typeEbEEZZNS1_14partition_implILS8_3ELb0ES6_jNS0_17counting_iteratorIjlEEPS9_SE_NS0_5tupleIJPjSE_EEENSF_IJSE_SE_EEES9_SG_JZNS1_25segmented_radix_sort_implINS0_14default_configELb1EPK12hip_bfloat16PSL_PKlPlN2at6native12_GLOBAL__N_18offset_tEEE10hipError_tPvRmT1_PNSt15iterator_traitsISZ_E10value_typeET2_T3_PNS10_IS15_E10value_typeET4_jRbjT5_S1B_jjP12ihipStream_tbEUljE_EEESW_SX_SY_S15_S19_S1B_T6_T7_T9_mT8_S1D_bDpT10_ENKUlT_T0_E_clISt17integral_constantIbLb1EES1Q_EEDaS1L_S1M_EUlS1L_E_NS1_11comp_targetILNS1_3genE0ELNS1_11target_archE4294967295ELNS1_3gpuE0ELNS1_3repE0EEENS1_30default_config_static_selectorELNS0_4arch9wavefront6targetE1EEEvSZ_
	.p2align	8
	.type	_ZN7rocprim17ROCPRIM_400000_NS6detail17trampoline_kernelINS0_13select_configILj256ELj13ELNS0_17block_load_methodE3ELS4_3ELS4_3ELNS0_20block_scan_algorithmE0ELj4294967295EEENS1_25partition_config_selectorILNS1_17partition_subalgoE3EjNS0_10empty_typeEbEEZZNS1_14partition_implILS8_3ELb0ES6_jNS0_17counting_iteratorIjlEEPS9_SE_NS0_5tupleIJPjSE_EEENSF_IJSE_SE_EEES9_SG_JZNS1_25segmented_radix_sort_implINS0_14default_configELb1EPK12hip_bfloat16PSL_PKlPlN2at6native12_GLOBAL__N_18offset_tEEE10hipError_tPvRmT1_PNSt15iterator_traitsISZ_E10value_typeET2_T3_PNS10_IS15_E10value_typeET4_jRbjT5_S1B_jjP12ihipStream_tbEUljE_EEESW_SX_SY_S15_S19_S1B_T6_T7_T9_mT8_S1D_bDpT10_ENKUlT_T0_E_clISt17integral_constantIbLb1EES1Q_EEDaS1L_S1M_EUlS1L_E_NS1_11comp_targetILNS1_3genE0ELNS1_11target_archE4294967295ELNS1_3gpuE0ELNS1_3repE0EEENS1_30default_config_static_selectorELNS0_4arch9wavefront6targetE1EEEvSZ_,@function
_ZN7rocprim17ROCPRIM_400000_NS6detail17trampoline_kernelINS0_13select_configILj256ELj13ELNS0_17block_load_methodE3ELS4_3ELS4_3ELNS0_20block_scan_algorithmE0ELj4294967295EEENS1_25partition_config_selectorILNS1_17partition_subalgoE3EjNS0_10empty_typeEbEEZZNS1_14partition_implILS8_3ELb0ES6_jNS0_17counting_iteratorIjlEEPS9_SE_NS0_5tupleIJPjSE_EEENSF_IJSE_SE_EEES9_SG_JZNS1_25segmented_radix_sort_implINS0_14default_configELb1EPK12hip_bfloat16PSL_PKlPlN2at6native12_GLOBAL__N_18offset_tEEE10hipError_tPvRmT1_PNSt15iterator_traitsISZ_E10value_typeET2_T3_PNS10_IS15_E10value_typeET4_jRbjT5_S1B_jjP12ihipStream_tbEUljE_EEESW_SX_SY_S15_S19_S1B_T6_T7_T9_mT8_S1D_bDpT10_ENKUlT_T0_E_clISt17integral_constantIbLb1EES1Q_EEDaS1L_S1M_EUlS1L_E_NS1_11comp_targetILNS1_3genE0ELNS1_11target_archE4294967295ELNS1_3gpuE0ELNS1_3repE0EEENS1_30default_config_static_selectorELNS0_4arch9wavefront6targetE1EEEvSZ_: ; @_ZN7rocprim17ROCPRIM_400000_NS6detail17trampoline_kernelINS0_13select_configILj256ELj13ELNS0_17block_load_methodE3ELS4_3ELS4_3ELNS0_20block_scan_algorithmE0ELj4294967295EEENS1_25partition_config_selectorILNS1_17partition_subalgoE3EjNS0_10empty_typeEbEEZZNS1_14partition_implILS8_3ELb0ES6_jNS0_17counting_iteratorIjlEEPS9_SE_NS0_5tupleIJPjSE_EEENSF_IJSE_SE_EEES9_SG_JZNS1_25segmented_radix_sort_implINS0_14default_configELb1EPK12hip_bfloat16PSL_PKlPlN2at6native12_GLOBAL__N_18offset_tEEE10hipError_tPvRmT1_PNSt15iterator_traitsISZ_E10value_typeET2_T3_PNS10_IS15_E10value_typeET4_jRbjT5_S1B_jjP12ihipStream_tbEUljE_EEESW_SX_SY_S15_S19_S1B_T6_T7_T9_mT8_S1D_bDpT10_ENKUlT_T0_E_clISt17integral_constantIbLb1EES1Q_EEDaS1L_S1M_EUlS1L_E_NS1_11comp_targetILNS1_3genE0ELNS1_11target_archE4294967295ELNS1_3gpuE0ELNS1_3repE0EEENS1_30default_config_static_selectorELNS0_4arch9wavefront6targetE1EEEvSZ_
; %bb.0:
	.section	.rodata,"a",@progbits
	.p2align	6, 0x0
	.amdhsa_kernel _ZN7rocprim17ROCPRIM_400000_NS6detail17trampoline_kernelINS0_13select_configILj256ELj13ELNS0_17block_load_methodE3ELS4_3ELS4_3ELNS0_20block_scan_algorithmE0ELj4294967295EEENS1_25partition_config_selectorILNS1_17partition_subalgoE3EjNS0_10empty_typeEbEEZZNS1_14partition_implILS8_3ELb0ES6_jNS0_17counting_iteratorIjlEEPS9_SE_NS0_5tupleIJPjSE_EEENSF_IJSE_SE_EEES9_SG_JZNS1_25segmented_radix_sort_implINS0_14default_configELb1EPK12hip_bfloat16PSL_PKlPlN2at6native12_GLOBAL__N_18offset_tEEE10hipError_tPvRmT1_PNSt15iterator_traitsISZ_E10value_typeET2_T3_PNS10_IS15_E10value_typeET4_jRbjT5_S1B_jjP12ihipStream_tbEUljE_EEESW_SX_SY_S15_S19_S1B_T6_T7_T9_mT8_S1D_bDpT10_ENKUlT_T0_E_clISt17integral_constantIbLb1EES1Q_EEDaS1L_S1M_EUlS1L_E_NS1_11comp_targetILNS1_3genE0ELNS1_11target_archE4294967295ELNS1_3gpuE0ELNS1_3repE0EEENS1_30default_config_static_selectorELNS0_4arch9wavefront6targetE1EEEvSZ_
		.amdhsa_group_segment_fixed_size 0
		.amdhsa_private_segment_fixed_size 0
		.amdhsa_kernarg_size 152
		.amdhsa_user_sgpr_count 6
		.amdhsa_user_sgpr_private_segment_buffer 1
		.amdhsa_user_sgpr_dispatch_ptr 0
		.amdhsa_user_sgpr_queue_ptr 0
		.amdhsa_user_sgpr_kernarg_segment_ptr 1
		.amdhsa_user_sgpr_dispatch_id 0
		.amdhsa_user_sgpr_flat_scratch_init 0
		.amdhsa_user_sgpr_private_segment_size 0
		.amdhsa_uses_dynamic_stack 0
		.amdhsa_system_sgpr_private_segment_wavefront_offset 0
		.amdhsa_system_sgpr_workgroup_id_x 1
		.amdhsa_system_sgpr_workgroup_id_y 0
		.amdhsa_system_sgpr_workgroup_id_z 0
		.amdhsa_system_sgpr_workgroup_info 0
		.amdhsa_system_vgpr_workitem_id 0
		.amdhsa_next_free_vgpr 1
		.amdhsa_next_free_sgpr 0
		.amdhsa_reserve_vcc 0
		.amdhsa_reserve_flat_scratch 0
		.amdhsa_float_round_mode_32 0
		.amdhsa_float_round_mode_16_64 0
		.amdhsa_float_denorm_mode_32 3
		.amdhsa_float_denorm_mode_16_64 3
		.amdhsa_dx10_clamp 1
		.amdhsa_ieee_mode 1
		.amdhsa_fp16_overflow 0
		.amdhsa_exception_fp_ieee_invalid_op 0
		.amdhsa_exception_fp_denorm_src 0
		.amdhsa_exception_fp_ieee_div_zero 0
		.amdhsa_exception_fp_ieee_overflow 0
		.amdhsa_exception_fp_ieee_underflow 0
		.amdhsa_exception_fp_ieee_inexact 0
		.amdhsa_exception_int_div_zero 0
	.end_amdhsa_kernel
	.section	.text._ZN7rocprim17ROCPRIM_400000_NS6detail17trampoline_kernelINS0_13select_configILj256ELj13ELNS0_17block_load_methodE3ELS4_3ELS4_3ELNS0_20block_scan_algorithmE0ELj4294967295EEENS1_25partition_config_selectorILNS1_17partition_subalgoE3EjNS0_10empty_typeEbEEZZNS1_14partition_implILS8_3ELb0ES6_jNS0_17counting_iteratorIjlEEPS9_SE_NS0_5tupleIJPjSE_EEENSF_IJSE_SE_EEES9_SG_JZNS1_25segmented_radix_sort_implINS0_14default_configELb1EPK12hip_bfloat16PSL_PKlPlN2at6native12_GLOBAL__N_18offset_tEEE10hipError_tPvRmT1_PNSt15iterator_traitsISZ_E10value_typeET2_T3_PNS10_IS15_E10value_typeET4_jRbjT5_S1B_jjP12ihipStream_tbEUljE_EEESW_SX_SY_S15_S19_S1B_T6_T7_T9_mT8_S1D_bDpT10_ENKUlT_T0_E_clISt17integral_constantIbLb1EES1Q_EEDaS1L_S1M_EUlS1L_E_NS1_11comp_targetILNS1_3genE0ELNS1_11target_archE4294967295ELNS1_3gpuE0ELNS1_3repE0EEENS1_30default_config_static_selectorELNS0_4arch9wavefront6targetE1EEEvSZ_,"axG",@progbits,_ZN7rocprim17ROCPRIM_400000_NS6detail17trampoline_kernelINS0_13select_configILj256ELj13ELNS0_17block_load_methodE3ELS4_3ELS4_3ELNS0_20block_scan_algorithmE0ELj4294967295EEENS1_25partition_config_selectorILNS1_17partition_subalgoE3EjNS0_10empty_typeEbEEZZNS1_14partition_implILS8_3ELb0ES6_jNS0_17counting_iteratorIjlEEPS9_SE_NS0_5tupleIJPjSE_EEENSF_IJSE_SE_EEES9_SG_JZNS1_25segmented_radix_sort_implINS0_14default_configELb1EPK12hip_bfloat16PSL_PKlPlN2at6native12_GLOBAL__N_18offset_tEEE10hipError_tPvRmT1_PNSt15iterator_traitsISZ_E10value_typeET2_T3_PNS10_IS15_E10value_typeET4_jRbjT5_S1B_jjP12ihipStream_tbEUljE_EEESW_SX_SY_S15_S19_S1B_T6_T7_T9_mT8_S1D_bDpT10_ENKUlT_T0_E_clISt17integral_constantIbLb1EES1Q_EEDaS1L_S1M_EUlS1L_E_NS1_11comp_targetILNS1_3genE0ELNS1_11target_archE4294967295ELNS1_3gpuE0ELNS1_3repE0EEENS1_30default_config_static_selectorELNS0_4arch9wavefront6targetE1EEEvSZ_,comdat
.Lfunc_end1922:
	.size	_ZN7rocprim17ROCPRIM_400000_NS6detail17trampoline_kernelINS0_13select_configILj256ELj13ELNS0_17block_load_methodE3ELS4_3ELS4_3ELNS0_20block_scan_algorithmE0ELj4294967295EEENS1_25partition_config_selectorILNS1_17partition_subalgoE3EjNS0_10empty_typeEbEEZZNS1_14partition_implILS8_3ELb0ES6_jNS0_17counting_iteratorIjlEEPS9_SE_NS0_5tupleIJPjSE_EEENSF_IJSE_SE_EEES9_SG_JZNS1_25segmented_radix_sort_implINS0_14default_configELb1EPK12hip_bfloat16PSL_PKlPlN2at6native12_GLOBAL__N_18offset_tEEE10hipError_tPvRmT1_PNSt15iterator_traitsISZ_E10value_typeET2_T3_PNS10_IS15_E10value_typeET4_jRbjT5_S1B_jjP12ihipStream_tbEUljE_EEESW_SX_SY_S15_S19_S1B_T6_T7_T9_mT8_S1D_bDpT10_ENKUlT_T0_E_clISt17integral_constantIbLb1EES1Q_EEDaS1L_S1M_EUlS1L_E_NS1_11comp_targetILNS1_3genE0ELNS1_11target_archE4294967295ELNS1_3gpuE0ELNS1_3repE0EEENS1_30default_config_static_selectorELNS0_4arch9wavefront6targetE1EEEvSZ_, .Lfunc_end1922-_ZN7rocprim17ROCPRIM_400000_NS6detail17trampoline_kernelINS0_13select_configILj256ELj13ELNS0_17block_load_methodE3ELS4_3ELS4_3ELNS0_20block_scan_algorithmE0ELj4294967295EEENS1_25partition_config_selectorILNS1_17partition_subalgoE3EjNS0_10empty_typeEbEEZZNS1_14partition_implILS8_3ELb0ES6_jNS0_17counting_iteratorIjlEEPS9_SE_NS0_5tupleIJPjSE_EEENSF_IJSE_SE_EEES9_SG_JZNS1_25segmented_radix_sort_implINS0_14default_configELb1EPK12hip_bfloat16PSL_PKlPlN2at6native12_GLOBAL__N_18offset_tEEE10hipError_tPvRmT1_PNSt15iterator_traitsISZ_E10value_typeET2_T3_PNS10_IS15_E10value_typeET4_jRbjT5_S1B_jjP12ihipStream_tbEUljE_EEESW_SX_SY_S15_S19_S1B_T6_T7_T9_mT8_S1D_bDpT10_ENKUlT_T0_E_clISt17integral_constantIbLb1EES1Q_EEDaS1L_S1M_EUlS1L_E_NS1_11comp_targetILNS1_3genE0ELNS1_11target_archE4294967295ELNS1_3gpuE0ELNS1_3repE0EEENS1_30default_config_static_selectorELNS0_4arch9wavefront6targetE1EEEvSZ_
                                        ; -- End function
	.set _ZN7rocprim17ROCPRIM_400000_NS6detail17trampoline_kernelINS0_13select_configILj256ELj13ELNS0_17block_load_methodE3ELS4_3ELS4_3ELNS0_20block_scan_algorithmE0ELj4294967295EEENS1_25partition_config_selectorILNS1_17partition_subalgoE3EjNS0_10empty_typeEbEEZZNS1_14partition_implILS8_3ELb0ES6_jNS0_17counting_iteratorIjlEEPS9_SE_NS0_5tupleIJPjSE_EEENSF_IJSE_SE_EEES9_SG_JZNS1_25segmented_radix_sort_implINS0_14default_configELb1EPK12hip_bfloat16PSL_PKlPlN2at6native12_GLOBAL__N_18offset_tEEE10hipError_tPvRmT1_PNSt15iterator_traitsISZ_E10value_typeET2_T3_PNS10_IS15_E10value_typeET4_jRbjT5_S1B_jjP12ihipStream_tbEUljE_EEESW_SX_SY_S15_S19_S1B_T6_T7_T9_mT8_S1D_bDpT10_ENKUlT_T0_E_clISt17integral_constantIbLb1EES1Q_EEDaS1L_S1M_EUlS1L_E_NS1_11comp_targetILNS1_3genE0ELNS1_11target_archE4294967295ELNS1_3gpuE0ELNS1_3repE0EEENS1_30default_config_static_selectorELNS0_4arch9wavefront6targetE1EEEvSZ_.num_vgpr, 0
	.set _ZN7rocprim17ROCPRIM_400000_NS6detail17trampoline_kernelINS0_13select_configILj256ELj13ELNS0_17block_load_methodE3ELS4_3ELS4_3ELNS0_20block_scan_algorithmE0ELj4294967295EEENS1_25partition_config_selectorILNS1_17partition_subalgoE3EjNS0_10empty_typeEbEEZZNS1_14partition_implILS8_3ELb0ES6_jNS0_17counting_iteratorIjlEEPS9_SE_NS0_5tupleIJPjSE_EEENSF_IJSE_SE_EEES9_SG_JZNS1_25segmented_radix_sort_implINS0_14default_configELb1EPK12hip_bfloat16PSL_PKlPlN2at6native12_GLOBAL__N_18offset_tEEE10hipError_tPvRmT1_PNSt15iterator_traitsISZ_E10value_typeET2_T3_PNS10_IS15_E10value_typeET4_jRbjT5_S1B_jjP12ihipStream_tbEUljE_EEESW_SX_SY_S15_S19_S1B_T6_T7_T9_mT8_S1D_bDpT10_ENKUlT_T0_E_clISt17integral_constantIbLb1EES1Q_EEDaS1L_S1M_EUlS1L_E_NS1_11comp_targetILNS1_3genE0ELNS1_11target_archE4294967295ELNS1_3gpuE0ELNS1_3repE0EEENS1_30default_config_static_selectorELNS0_4arch9wavefront6targetE1EEEvSZ_.num_agpr, 0
	.set _ZN7rocprim17ROCPRIM_400000_NS6detail17trampoline_kernelINS0_13select_configILj256ELj13ELNS0_17block_load_methodE3ELS4_3ELS4_3ELNS0_20block_scan_algorithmE0ELj4294967295EEENS1_25partition_config_selectorILNS1_17partition_subalgoE3EjNS0_10empty_typeEbEEZZNS1_14partition_implILS8_3ELb0ES6_jNS0_17counting_iteratorIjlEEPS9_SE_NS0_5tupleIJPjSE_EEENSF_IJSE_SE_EEES9_SG_JZNS1_25segmented_radix_sort_implINS0_14default_configELb1EPK12hip_bfloat16PSL_PKlPlN2at6native12_GLOBAL__N_18offset_tEEE10hipError_tPvRmT1_PNSt15iterator_traitsISZ_E10value_typeET2_T3_PNS10_IS15_E10value_typeET4_jRbjT5_S1B_jjP12ihipStream_tbEUljE_EEESW_SX_SY_S15_S19_S1B_T6_T7_T9_mT8_S1D_bDpT10_ENKUlT_T0_E_clISt17integral_constantIbLb1EES1Q_EEDaS1L_S1M_EUlS1L_E_NS1_11comp_targetILNS1_3genE0ELNS1_11target_archE4294967295ELNS1_3gpuE0ELNS1_3repE0EEENS1_30default_config_static_selectorELNS0_4arch9wavefront6targetE1EEEvSZ_.numbered_sgpr, 0
	.set _ZN7rocprim17ROCPRIM_400000_NS6detail17trampoline_kernelINS0_13select_configILj256ELj13ELNS0_17block_load_methodE3ELS4_3ELS4_3ELNS0_20block_scan_algorithmE0ELj4294967295EEENS1_25partition_config_selectorILNS1_17partition_subalgoE3EjNS0_10empty_typeEbEEZZNS1_14partition_implILS8_3ELb0ES6_jNS0_17counting_iteratorIjlEEPS9_SE_NS0_5tupleIJPjSE_EEENSF_IJSE_SE_EEES9_SG_JZNS1_25segmented_radix_sort_implINS0_14default_configELb1EPK12hip_bfloat16PSL_PKlPlN2at6native12_GLOBAL__N_18offset_tEEE10hipError_tPvRmT1_PNSt15iterator_traitsISZ_E10value_typeET2_T3_PNS10_IS15_E10value_typeET4_jRbjT5_S1B_jjP12ihipStream_tbEUljE_EEESW_SX_SY_S15_S19_S1B_T6_T7_T9_mT8_S1D_bDpT10_ENKUlT_T0_E_clISt17integral_constantIbLb1EES1Q_EEDaS1L_S1M_EUlS1L_E_NS1_11comp_targetILNS1_3genE0ELNS1_11target_archE4294967295ELNS1_3gpuE0ELNS1_3repE0EEENS1_30default_config_static_selectorELNS0_4arch9wavefront6targetE1EEEvSZ_.num_named_barrier, 0
	.set _ZN7rocprim17ROCPRIM_400000_NS6detail17trampoline_kernelINS0_13select_configILj256ELj13ELNS0_17block_load_methodE3ELS4_3ELS4_3ELNS0_20block_scan_algorithmE0ELj4294967295EEENS1_25partition_config_selectorILNS1_17partition_subalgoE3EjNS0_10empty_typeEbEEZZNS1_14partition_implILS8_3ELb0ES6_jNS0_17counting_iteratorIjlEEPS9_SE_NS0_5tupleIJPjSE_EEENSF_IJSE_SE_EEES9_SG_JZNS1_25segmented_radix_sort_implINS0_14default_configELb1EPK12hip_bfloat16PSL_PKlPlN2at6native12_GLOBAL__N_18offset_tEEE10hipError_tPvRmT1_PNSt15iterator_traitsISZ_E10value_typeET2_T3_PNS10_IS15_E10value_typeET4_jRbjT5_S1B_jjP12ihipStream_tbEUljE_EEESW_SX_SY_S15_S19_S1B_T6_T7_T9_mT8_S1D_bDpT10_ENKUlT_T0_E_clISt17integral_constantIbLb1EES1Q_EEDaS1L_S1M_EUlS1L_E_NS1_11comp_targetILNS1_3genE0ELNS1_11target_archE4294967295ELNS1_3gpuE0ELNS1_3repE0EEENS1_30default_config_static_selectorELNS0_4arch9wavefront6targetE1EEEvSZ_.private_seg_size, 0
	.set _ZN7rocprim17ROCPRIM_400000_NS6detail17trampoline_kernelINS0_13select_configILj256ELj13ELNS0_17block_load_methodE3ELS4_3ELS4_3ELNS0_20block_scan_algorithmE0ELj4294967295EEENS1_25partition_config_selectorILNS1_17partition_subalgoE3EjNS0_10empty_typeEbEEZZNS1_14partition_implILS8_3ELb0ES6_jNS0_17counting_iteratorIjlEEPS9_SE_NS0_5tupleIJPjSE_EEENSF_IJSE_SE_EEES9_SG_JZNS1_25segmented_radix_sort_implINS0_14default_configELb1EPK12hip_bfloat16PSL_PKlPlN2at6native12_GLOBAL__N_18offset_tEEE10hipError_tPvRmT1_PNSt15iterator_traitsISZ_E10value_typeET2_T3_PNS10_IS15_E10value_typeET4_jRbjT5_S1B_jjP12ihipStream_tbEUljE_EEESW_SX_SY_S15_S19_S1B_T6_T7_T9_mT8_S1D_bDpT10_ENKUlT_T0_E_clISt17integral_constantIbLb1EES1Q_EEDaS1L_S1M_EUlS1L_E_NS1_11comp_targetILNS1_3genE0ELNS1_11target_archE4294967295ELNS1_3gpuE0ELNS1_3repE0EEENS1_30default_config_static_selectorELNS0_4arch9wavefront6targetE1EEEvSZ_.uses_vcc, 0
	.set _ZN7rocprim17ROCPRIM_400000_NS6detail17trampoline_kernelINS0_13select_configILj256ELj13ELNS0_17block_load_methodE3ELS4_3ELS4_3ELNS0_20block_scan_algorithmE0ELj4294967295EEENS1_25partition_config_selectorILNS1_17partition_subalgoE3EjNS0_10empty_typeEbEEZZNS1_14partition_implILS8_3ELb0ES6_jNS0_17counting_iteratorIjlEEPS9_SE_NS0_5tupleIJPjSE_EEENSF_IJSE_SE_EEES9_SG_JZNS1_25segmented_radix_sort_implINS0_14default_configELb1EPK12hip_bfloat16PSL_PKlPlN2at6native12_GLOBAL__N_18offset_tEEE10hipError_tPvRmT1_PNSt15iterator_traitsISZ_E10value_typeET2_T3_PNS10_IS15_E10value_typeET4_jRbjT5_S1B_jjP12ihipStream_tbEUljE_EEESW_SX_SY_S15_S19_S1B_T6_T7_T9_mT8_S1D_bDpT10_ENKUlT_T0_E_clISt17integral_constantIbLb1EES1Q_EEDaS1L_S1M_EUlS1L_E_NS1_11comp_targetILNS1_3genE0ELNS1_11target_archE4294967295ELNS1_3gpuE0ELNS1_3repE0EEENS1_30default_config_static_selectorELNS0_4arch9wavefront6targetE1EEEvSZ_.uses_flat_scratch, 0
	.set _ZN7rocprim17ROCPRIM_400000_NS6detail17trampoline_kernelINS0_13select_configILj256ELj13ELNS0_17block_load_methodE3ELS4_3ELS4_3ELNS0_20block_scan_algorithmE0ELj4294967295EEENS1_25partition_config_selectorILNS1_17partition_subalgoE3EjNS0_10empty_typeEbEEZZNS1_14partition_implILS8_3ELb0ES6_jNS0_17counting_iteratorIjlEEPS9_SE_NS0_5tupleIJPjSE_EEENSF_IJSE_SE_EEES9_SG_JZNS1_25segmented_radix_sort_implINS0_14default_configELb1EPK12hip_bfloat16PSL_PKlPlN2at6native12_GLOBAL__N_18offset_tEEE10hipError_tPvRmT1_PNSt15iterator_traitsISZ_E10value_typeET2_T3_PNS10_IS15_E10value_typeET4_jRbjT5_S1B_jjP12ihipStream_tbEUljE_EEESW_SX_SY_S15_S19_S1B_T6_T7_T9_mT8_S1D_bDpT10_ENKUlT_T0_E_clISt17integral_constantIbLb1EES1Q_EEDaS1L_S1M_EUlS1L_E_NS1_11comp_targetILNS1_3genE0ELNS1_11target_archE4294967295ELNS1_3gpuE0ELNS1_3repE0EEENS1_30default_config_static_selectorELNS0_4arch9wavefront6targetE1EEEvSZ_.has_dyn_sized_stack, 0
	.set _ZN7rocprim17ROCPRIM_400000_NS6detail17trampoline_kernelINS0_13select_configILj256ELj13ELNS0_17block_load_methodE3ELS4_3ELS4_3ELNS0_20block_scan_algorithmE0ELj4294967295EEENS1_25partition_config_selectorILNS1_17partition_subalgoE3EjNS0_10empty_typeEbEEZZNS1_14partition_implILS8_3ELb0ES6_jNS0_17counting_iteratorIjlEEPS9_SE_NS0_5tupleIJPjSE_EEENSF_IJSE_SE_EEES9_SG_JZNS1_25segmented_radix_sort_implINS0_14default_configELb1EPK12hip_bfloat16PSL_PKlPlN2at6native12_GLOBAL__N_18offset_tEEE10hipError_tPvRmT1_PNSt15iterator_traitsISZ_E10value_typeET2_T3_PNS10_IS15_E10value_typeET4_jRbjT5_S1B_jjP12ihipStream_tbEUljE_EEESW_SX_SY_S15_S19_S1B_T6_T7_T9_mT8_S1D_bDpT10_ENKUlT_T0_E_clISt17integral_constantIbLb1EES1Q_EEDaS1L_S1M_EUlS1L_E_NS1_11comp_targetILNS1_3genE0ELNS1_11target_archE4294967295ELNS1_3gpuE0ELNS1_3repE0EEENS1_30default_config_static_selectorELNS0_4arch9wavefront6targetE1EEEvSZ_.has_recursion, 0
	.set _ZN7rocprim17ROCPRIM_400000_NS6detail17trampoline_kernelINS0_13select_configILj256ELj13ELNS0_17block_load_methodE3ELS4_3ELS4_3ELNS0_20block_scan_algorithmE0ELj4294967295EEENS1_25partition_config_selectorILNS1_17partition_subalgoE3EjNS0_10empty_typeEbEEZZNS1_14partition_implILS8_3ELb0ES6_jNS0_17counting_iteratorIjlEEPS9_SE_NS0_5tupleIJPjSE_EEENSF_IJSE_SE_EEES9_SG_JZNS1_25segmented_radix_sort_implINS0_14default_configELb1EPK12hip_bfloat16PSL_PKlPlN2at6native12_GLOBAL__N_18offset_tEEE10hipError_tPvRmT1_PNSt15iterator_traitsISZ_E10value_typeET2_T3_PNS10_IS15_E10value_typeET4_jRbjT5_S1B_jjP12ihipStream_tbEUljE_EEESW_SX_SY_S15_S19_S1B_T6_T7_T9_mT8_S1D_bDpT10_ENKUlT_T0_E_clISt17integral_constantIbLb1EES1Q_EEDaS1L_S1M_EUlS1L_E_NS1_11comp_targetILNS1_3genE0ELNS1_11target_archE4294967295ELNS1_3gpuE0ELNS1_3repE0EEENS1_30default_config_static_selectorELNS0_4arch9wavefront6targetE1EEEvSZ_.has_indirect_call, 0
	.section	.AMDGPU.csdata,"",@progbits
; Kernel info:
; codeLenInByte = 0
; TotalNumSgprs: 4
; NumVgprs: 0
; ScratchSize: 0
; MemoryBound: 0
; FloatMode: 240
; IeeeMode: 1
; LDSByteSize: 0 bytes/workgroup (compile time only)
; SGPRBlocks: 0
; VGPRBlocks: 0
; NumSGPRsForWavesPerEU: 4
; NumVGPRsForWavesPerEU: 1
; Occupancy: 10
; WaveLimiterHint : 0
; COMPUTE_PGM_RSRC2:SCRATCH_EN: 0
; COMPUTE_PGM_RSRC2:USER_SGPR: 6
; COMPUTE_PGM_RSRC2:TRAP_HANDLER: 0
; COMPUTE_PGM_RSRC2:TGID_X_EN: 1
; COMPUTE_PGM_RSRC2:TGID_Y_EN: 0
; COMPUTE_PGM_RSRC2:TGID_Z_EN: 0
; COMPUTE_PGM_RSRC2:TIDIG_COMP_CNT: 0
	.section	.text._ZN7rocprim17ROCPRIM_400000_NS6detail17trampoline_kernelINS0_13select_configILj256ELj13ELNS0_17block_load_methodE3ELS4_3ELS4_3ELNS0_20block_scan_algorithmE0ELj4294967295EEENS1_25partition_config_selectorILNS1_17partition_subalgoE3EjNS0_10empty_typeEbEEZZNS1_14partition_implILS8_3ELb0ES6_jNS0_17counting_iteratorIjlEEPS9_SE_NS0_5tupleIJPjSE_EEENSF_IJSE_SE_EEES9_SG_JZNS1_25segmented_radix_sort_implINS0_14default_configELb1EPK12hip_bfloat16PSL_PKlPlN2at6native12_GLOBAL__N_18offset_tEEE10hipError_tPvRmT1_PNSt15iterator_traitsISZ_E10value_typeET2_T3_PNS10_IS15_E10value_typeET4_jRbjT5_S1B_jjP12ihipStream_tbEUljE_EEESW_SX_SY_S15_S19_S1B_T6_T7_T9_mT8_S1D_bDpT10_ENKUlT_T0_E_clISt17integral_constantIbLb1EES1Q_EEDaS1L_S1M_EUlS1L_E_NS1_11comp_targetILNS1_3genE5ELNS1_11target_archE942ELNS1_3gpuE9ELNS1_3repE0EEENS1_30default_config_static_selectorELNS0_4arch9wavefront6targetE1EEEvSZ_,"axG",@progbits,_ZN7rocprim17ROCPRIM_400000_NS6detail17trampoline_kernelINS0_13select_configILj256ELj13ELNS0_17block_load_methodE3ELS4_3ELS4_3ELNS0_20block_scan_algorithmE0ELj4294967295EEENS1_25partition_config_selectorILNS1_17partition_subalgoE3EjNS0_10empty_typeEbEEZZNS1_14partition_implILS8_3ELb0ES6_jNS0_17counting_iteratorIjlEEPS9_SE_NS0_5tupleIJPjSE_EEENSF_IJSE_SE_EEES9_SG_JZNS1_25segmented_radix_sort_implINS0_14default_configELb1EPK12hip_bfloat16PSL_PKlPlN2at6native12_GLOBAL__N_18offset_tEEE10hipError_tPvRmT1_PNSt15iterator_traitsISZ_E10value_typeET2_T3_PNS10_IS15_E10value_typeET4_jRbjT5_S1B_jjP12ihipStream_tbEUljE_EEESW_SX_SY_S15_S19_S1B_T6_T7_T9_mT8_S1D_bDpT10_ENKUlT_T0_E_clISt17integral_constantIbLb1EES1Q_EEDaS1L_S1M_EUlS1L_E_NS1_11comp_targetILNS1_3genE5ELNS1_11target_archE942ELNS1_3gpuE9ELNS1_3repE0EEENS1_30default_config_static_selectorELNS0_4arch9wavefront6targetE1EEEvSZ_,comdat
	.globl	_ZN7rocprim17ROCPRIM_400000_NS6detail17trampoline_kernelINS0_13select_configILj256ELj13ELNS0_17block_load_methodE3ELS4_3ELS4_3ELNS0_20block_scan_algorithmE0ELj4294967295EEENS1_25partition_config_selectorILNS1_17partition_subalgoE3EjNS0_10empty_typeEbEEZZNS1_14partition_implILS8_3ELb0ES6_jNS0_17counting_iteratorIjlEEPS9_SE_NS0_5tupleIJPjSE_EEENSF_IJSE_SE_EEES9_SG_JZNS1_25segmented_radix_sort_implINS0_14default_configELb1EPK12hip_bfloat16PSL_PKlPlN2at6native12_GLOBAL__N_18offset_tEEE10hipError_tPvRmT1_PNSt15iterator_traitsISZ_E10value_typeET2_T3_PNS10_IS15_E10value_typeET4_jRbjT5_S1B_jjP12ihipStream_tbEUljE_EEESW_SX_SY_S15_S19_S1B_T6_T7_T9_mT8_S1D_bDpT10_ENKUlT_T0_E_clISt17integral_constantIbLb1EES1Q_EEDaS1L_S1M_EUlS1L_E_NS1_11comp_targetILNS1_3genE5ELNS1_11target_archE942ELNS1_3gpuE9ELNS1_3repE0EEENS1_30default_config_static_selectorELNS0_4arch9wavefront6targetE1EEEvSZ_ ; -- Begin function _ZN7rocprim17ROCPRIM_400000_NS6detail17trampoline_kernelINS0_13select_configILj256ELj13ELNS0_17block_load_methodE3ELS4_3ELS4_3ELNS0_20block_scan_algorithmE0ELj4294967295EEENS1_25partition_config_selectorILNS1_17partition_subalgoE3EjNS0_10empty_typeEbEEZZNS1_14partition_implILS8_3ELb0ES6_jNS0_17counting_iteratorIjlEEPS9_SE_NS0_5tupleIJPjSE_EEENSF_IJSE_SE_EEES9_SG_JZNS1_25segmented_radix_sort_implINS0_14default_configELb1EPK12hip_bfloat16PSL_PKlPlN2at6native12_GLOBAL__N_18offset_tEEE10hipError_tPvRmT1_PNSt15iterator_traitsISZ_E10value_typeET2_T3_PNS10_IS15_E10value_typeET4_jRbjT5_S1B_jjP12ihipStream_tbEUljE_EEESW_SX_SY_S15_S19_S1B_T6_T7_T9_mT8_S1D_bDpT10_ENKUlT_T0_E_clISt17integral_constantIbLb1EES1Q_EEDaS1L_S1M_EUlS1L_E_NS1_11comp_targetILNS1_3genE5ELNS1_11target_archE942ELNS1_3gpuE9ELNS1_3repE0EEENS1_30default_config_static_selectorELNS0_4arch9wavefront6targetE1EEEvSZ_
	.p2align	8
	.type	_ZN7rocprim17ROCPRIM_400000_NS6detail17trampoline_kernelINS0_13select_configILj256ELj13ELNS0_17block_load_methodE3ELS4_3ELS4_3ELNS0_20block_scan_algorithmE0ELj4294967295EEENS1_25partition_config_selectorILNS1_17partition_subalgoE3EjNS0_10empty_typeEbEEZZNS1_14partition_implILS8_3ELb0ES6_jNS0_17counting_iteratorIjlEEPS9_SE_NS0_5tupleIJPjSE_EEENSF_IJSE_SE_EEES9_SG_JZNS1_25segmented_radix_sort_implINS0_14default_configELb1EPK12hip_bfloat16PSL_PKlPlN2at6native12_GLOBAL__N_18offset_tEEE10hipError_tPvRmT1_PNSt15iterator_traitsISZ_E10value_typeET2_T3_PNS10_IS15_E10value_typeET4_jRbjT5_S1B_jjP12ihipStream_tbEUljE_EEESW_SX_SY_S15_S19_S1B_T6_T7_T9_mT8_S1D_bDpT10_ENKUlT_T0_E_clISt17integral_constantIbLb1EES1Q_EEDaS1L_S1M_EUlS1L_E_NS1_11comp_targetILNS1_3genE5ELNS1_11target_archE942ELNS1_3gpuE9ELNS1_3repE0EEENS1_30default_config_static_selectorELNS0_4arch9wavefront6targetE1EEEvSZ_,@function
_ZN7rocprim17ROCPRIM_400000_NS6detail17trampoline_kernelINS0_13select_configILj256ELj13ELNS0_17block_load_methodE3ELS4_3ELS4_3ELNS0_20block_scan_algorithmE0ELj4294967295EEENS1_25partition_config_selectorILNS1_17partition_subalgoE3EjNS0_10empty_typeEbEEZZNS1_14partition_implILS8_3ELb0ES6_jNS0_17counting_iteratorIjlEEPS9_SE_NS0_5tupleIJPjSE_EEENSF_IJSE_SE_EEES9_SG_JZNS1_25segmented_radix_sort_implINS0_14default_configELb1EPK12hip_bfloat16PSL_PKlPlN2at6native12_GLOBAL__N_18offset_tEEE10hipError_tPvRmT1_PNSt15iterator_traitsISZ_E10value_typeET2_T3_PNS10_IS15_E10value_typeET4_jRbjT5_S1B_jjP12ihipStream_tbEUljE_EEESW_SX_SY_S15_S19_S1B_T6_T7_T9_mT8_S1D_bDpT10_ENKUlT_T0_E_clISt17integral_constantIbLb1EES1Q_EEDaS1L_S1M_EUlS1L_E_NS1_11comp_targetILNS1_3genE5ELNS1_11target_archE942ELNS1_3gpuE9ELNS1_3repE0EEENS1_30default_config_static_selectorELNS0_4arch9wavefront6targetE1EEEvSZ_: ; @_ZN7rocprim17ROCPRIM_400000_NS6detail17trampoline_kernelINS0_13select_configILj256ELj13ELNS0_17block_load_methodE3ELS4_3ELS4_3ELNS0_20block_scan_algorithmE0ELj4294967295EEENS1_25partition_config_selectorILNS1_17partition_subalgoE3EjNS0_10empty_typeEbEEZZNS1_14partition_implILS8_3ELb0ES6_jNS0_17counting_iteratorIjlEEPS9_SE_NS0_5tupleIJPjSE_EEENSF_IJSE_SE_EEES9_SG_JZNS1_25segmented_radix_sort_implINS0_14default_configELb1EPK12hip_bfloat16PSL_PKlPlN2at6native12_GLOBAL__N_18offset_tEEE10hipError_tPvRmT1_PNSt15iterator_traitsISZ_E10value_typeET2_T3_PNS10_IS15_E10value_typeET4_jRbjT5_S1B_jjP12ihipStream_tbEUljE_EEESW_SX_SY_S15_S19_S1B_T6_T7_T9_mT8_S1D_bDpT10_ENKUlT_T0_E_clISt17integral_constantIbLb1EES1Q_EEDaS1L_S1M_EUlS1L_E_NS1_11comp_targetILNS1_3genE5ELNS1_11target_archE942ELNS1_3gpuE9ELNS1_3repE0EEENS1_30default_config_static_selectorELNS0_4arch9wavefront6targetE1EEEvSZ_
; %bb.0:
	.section	.rodata,"a",@progbits
	.p2align	6, 0x0
	.amdhsa_kernel _ZN7rocprim17ROCPRIM_400000_NS6detail17trampoline_kernelINS0_13select_configILj256ELj13ELNS0_17block_load_methodE3ELS4_3ELS4_3ELNS0_20block_scan_algorithmE0ELj4294967295EEENS1_25partition_config_selectorILNS1_17partition_subalgoE3EjNS0_10empty_typeEbEEZZNS1_14partition_implILS8_3ELb0ES6_jNS0_17counting_iteratorIjlEEPS9_SE_NS0_5tupleIJPjSE_EEENSF_IJSE_SE_EEES9_SG_JZNS1_25segmented_radix_sort_implINS0_14default_configELb1EPK12hip_bfloat16PSL_PKlPlN2at6native12_GLOBAL__N_18offset_tEEE10hipError_tPvRmT1_PNSt15iterator_traitsISZ_E10value_typeET2_T3_PNS10_IS15_E10value_typeET4_jRbjT5_S1B_jjP12ihipStream_tbEUljE_EEESW_SX_SY_S15_S19_S1B_T6_T7_T9_mT8_S1D_bDpT10_ENKUlT_T0_E_clISt17integral_constantIbLb1EES1Q_EEDaS1L_S1M_EUlS1L_E_NS1_11comp_targetILNS1_3genE5ELNS1_11target_archE942ELNS1_3gpuE9ELNS1_3repE0EEENS1_30default_config_static_selectorELNS0_4arch9wavefront6targetE1EEEvSZ_
		.amdhsa_group_segment_fixed_size 0
		.amdhsa_private_segment_fixed_size 0
		.amdhsa_kernarg_size 152
		.amdhsa_user_sgpr_count 6
		.amdhsa_user_sgpr_private_segment_buffer 1
		.amdhsa_user_sgpr_dispatch_ptr 0
		.amdhsa_user_sgpr_queue_ptr 0
		.amdhsa_user_sgpr_kernarg_segment_ptr 1
		.amdhsa_user_sgpr_dispatch_id 0
		.amdhsa_user_sgpr_flat_scratch_init 0
		.amdhsa_user_sgpr_private_segment_size 0
		.amdhsa_uses_dynamic_stack 0
		.amdhsa_system_sgpr_private_segment_wavefront_offset 0
		.amdhsa_system_sgpr_workgroup_id_x 1
		.amdhsa_system_sgpr_workgroup_id_y 0
		.amdhsa_system_sgpr_workgroup_id_z 0
		.amdhsa_system_sgpr_workgroup_info 0
		.amdhsa_system_vgpr_workitem_id 0
		.amdhsa_next_free_vgpr 1
		.amdhsa_next_free_sgpr 0
		.amdhsa_reserve_vcc 0
		.amdhsa_reserve_flat_scratch 0
		.amdhsa_float_round_mode_32 0
		.amdhsa_float_round_mode_16_64 0
		.amdhsa_float_denorm_mode_32 3
		.amdhsa_float_denorm_mode_16_64 3
		.amdhsa_dx10_clamp 1
		.amdhsa_ieee_mode 1
		.amdhsa_fp16_overflow 0
		.amdhsa_exception_fp_ieee_invalid_op 0
		.amdhsa_exception_fp_denorm_src 0
		.amdhsa_exception_fp_ieee_div_zero 0
		.amdhsa_exception_fp_ieee_overflow 0
		.amdhsa_exception_fp_ieee_underflow 0
		.amdhsa_exception_fp_ieee_inexact 0
		.amdhsa_exception_int_div_zero 0
	.end_amdhsa_kernel
	.section	.text._ZN7rocprim17ROCPRIM_400000_NS6detail17trampoline_kernelINS0_13select_configILj256ELj13ELNS0_17block_load_methodE3ELS4_3ELS4_3ELNS0_20block_scan_algorithmE0ELj4294967295EEENS1_25partition_config_selectorILNS1_17partition_subalgoE3EjNS0_10empty_typeEbEEZZNS1_14partition_implILS8_3ELb0ES6_jNS0_17counting_iteratorIjlEEPS9_SE_NS0_5tupleIJPjSE_EEENSF_IJSE_SE_EEES9_SG_JZNS1_25segmented_radix_sort_implINS0_14default_configELb1EPK12hip_bfloat16PSL_PKlPlN2at6native12_GLOBAL__N_18offset_tEEE10hipError_tPvRmT1_PNSt15iterator_traitsISZ_E10value_typeET2_T3_PNS10_IS15_E10value_typeET4_jRbjT5_S1B_jjP12ihipStream_tbEUljE_EEESW_SX_SY_S15_S19_S1B_T6_T7_T9_mT8_S1D_bDpT10_ENKUlT_T0_E_clISt17integral_constantIbLb1EES1Q_EEDaS1L_S1M_EUlS1L_E_NS1_11comp_targetILNS1_3genE5ELNS1_11target_archE942ELNS1_3gpuE9ELNS1_3repE0EEENS1_30default_config_static_selectorELNS0_4arch9wavefront6targetE1EEEvSZ_,"axG",@progbits,_ZN7rocprim17ROCPRIM_400000_NS6detail17trampoline_kernelINS0_13select_configILj256ELj13ELNS0_17block_load_methodE3ELS4_3ELS4_3ELNS0_20block_scan_algorithmE0ELj4294967295EEENS1_25partition_config_selectorILNS1_17partition_subalgoE3EjNS0_10empty_typeEbEEZZNS1_14partition_implILS8_3ELb0ES6_jNS0_17counting_iteratorIjlEEPS9_SE_NS0_5tupleIJPjSE_EEENSF_IJSE_SE_EEES9_SG_JZNS1_25segmented_radix_sort_implINS0_14default_configELb1EPK12hip_bfloat16PSL_PKlPlN2at6native12_GLOBAL__N_18offset_tEEE10hipError_tPvRmT1_PNSt15iterator_traitsISZ_E10value_typeET2_T3_PNS10_IS15_E10value_typeET4_jRbjT5_S1B_jjP12ihipStream_tbEUljE_EEESW_SX_SY_S15_S19_S1B_T6_T7_T9_mT8_S1D_bDpT10_ENKUlT_T0_E_clISt17integral_constantIbLb1EES1Q_EEDaS1L_S1M_EUlS1L_E_NS1_11comp_targetILNS1_3genE5ELNS1_11target_archE942ELNS1_3gpuE9ELNS1_3repE0EEENS1_30default_config_static_selectorELNS0_4arch9wavefront6targetE1EEEvSZ_,comdat
.Lfunc_end1923:
	.size	_ZN7rocprim17ROCPRIM_400000_NS6detail17trampoline_kernelINS0_13select_configILj256ELj13ELNS0_17block_load_methodE3ELS4_3ELS4_3ELNS0_20block_scan_algorithmE0ELj4294967295EEENS1_25partition_config_selectorILNS1_17partition_subalgoE3EjNS0_10empty_typeEbEEZZNS1_14partition_implILS8_3ELb0ES6_jNS0_17counting_iteratorIjlEEPS9_SE_NS0_5tupleIJPjSE_EEENSF_IJSE_SE_EEES9_SG_JZNS1_25segmented_radix_sort_implINS0_14default_configELb1EPK12hip_bfloat16PSL_PKlPlN2at6native12_GLOBAL__N_18offset_tEEE10hipError_tPvRmT1_PNSt15iterator_traitsISZ_E10value_typeET2_T3_PNS10_IS15_E10value_typeET4_jRbjT5_S1B_jjP12ihipStream_tbEUljE_EEESW_SX_SY_S15_S19_S1B_T6_T7_T9_mT8_S1D_bDpT10_ENKUlT_T0_E_clISt17integral_constantIbLb1EES1Q_EEDaS1L_S1M_EUlS1L_E_NS1_11comp_targetILNS1_3genE5ELNS1_11target_archE942ELNS1_3gpuE9ELNS1_3repE0EEENS1_30default_config_static_selectorELNS0_4arch9wavefront6targetE1EEEvSZ_, .Lfunc_end1923-_ZN7rocprim17ROCPRIM_400000_NS6detail17trampoline_kernelINS0_13select_configILj256ELj13ELNS0_17block_load_methodE3ELS4_3ELS4_3ELNS0_20block_scan_algorithmE0ELj4294967295EEENS1_25partition_config_selectorILNS1_17partition_subalgoE3EjNS0_10empty_typeEbEEZZNS1_14partition_implILS8_3ELb0ES6_jNS0_17counting_iteratorIjlEEPS9_SE_NS0_5tupleIJPjSE_EEENSF_IJSE_SE_EEES9_SG_JZNS1_25segmented_radix_sort_implINS0_14default_configELb1EPK12hip_bfloat16PSL_PKlPlN2at6native12_GLOBAL__N_18offset_tEEE10hipError_tPvRmT1_PNSt15iterator_traitsISZ_E10value_typeET2_T3_PNS10_IS15_E10value_typeET4_jRbjT5_S1B_jjP12ihipStream_tbEUljE_EEESW_SX_SY_S15_S19_S1B_T6_T7_T9_mT8_S1D_bDpT10_ENKUlT_T0_E_clISt17integral_constantIbLb1EES1Q_EEDaS1L_S1M_EUlS1L_E_NS1_11comp_targetILNS1_3genE5ELNS1_11target_archE942ELNS1_3gpuE9ELNS1_3repE0EEENS1_30default_config_static_selectorELNS0_4arch9wavefront6targetE1EEEvSZ_
                                        ; -- End function
	.set _ZN7rocprim17ROCPRIM_400000_NS6detail17trampoline_kernelINS0_13select_configILj256ELj13ELNS0_17block_load_methodE3ELS4_3ELS4_3ELNS0_20block_scan_algorithmE0ELj4294967295EEENS1_25partition_config_selectorILNS1_17partition_subalgoE3EjNS0_10empty_typeEbEEZZNS1_14partition_implILS8_3ELb0ES6_jNS0_17counting_iteratorIjlEEPS9_SE_NS0_5tupleIJPjSE_EEENSF_IJSE_SE_EEES9_SG_JZNS1_25segmented_radix_sort_implINS0_14default_configELb1EPK12hip_bfloat16PSL_PKlPlN2at6native12_GLOBAL__N_18offset_tEEE10hipError_tPvRmT1_PNSt15iterator_traitsISZ_E10value_typeET2_T3_PNS10_IS15_E10value_typeET4_jRbjT5_S1B_jjP12ihipStream_tbEUljE_EEESW_SX_SY_S15_S19_S1B_T6_T7_T9_mT8_S1D_bDpT10_ENKUlT_T0_E_clISt17integral_constantIbLb1EES1Q_EEDaS1L_S1M_EUlS1L_E_NS1_11comp_targetILNS1_3genE5ELNS1_11target_archE942ELNS1_3gpuE9ELNS1_3repE0EEENS1_30default_config_static_selectorELNS0_4arch9wavefront6targetE1EEEvSZ_.num_vgpr, 0
	.set _ZN7rocprim17ROCPRIM_400000_NS6detail17trampoline_kernelINS0_13select_configILj256ELj13ELNS0_17block_load_methodE3ELS4_3ELS4_3ELNS0_20block_scan_algorithmE0ELj4294967295EEENS1_25partition_config_selectorILNS1_17partition_subalgoE3EjNS0_10empty_typeEbEEZZNS1_14partition_implILS8_3ELb0ES6_jNS0_17counting_iteratorIjlEEPS9_SE_NS0_5tupleIJPjSE_EEENSF_IJSE_SE_EEES9_SG_JZNS1_25segmented_radix_sort_implINS0_14default_configELb1EPK12hip_bfloat16PSL_PKlPlN2at6native12_GLOBAL__N_18offset_tEEE10hipError_tPvRmT1_PNSt15iterator_traitsISZ_E10value_typeET2_T3_PNS10_IS15_E10value_typeET4_jRbjT5_S1B_jjP12ihipStream_tbEUljE_EEESW_SX_SY_S15_S19_S1B_T6_T7_T9_mT8_S1D_bDpT10_ENKUlT_T0_E_clISt17integral_constantIbLb1EES1Q_EEDaS1L_S1M_EUlS1L_E_NS1_11comp_targetILNS1_3genE5ELNS1_11target_archE942ELNS1_3gpuE9ELNS1_3repE0EEENS1_30default_config_static_selectorELNS0_4arch9wavefront6targetE1EEEvSZ_.num_agpr, 0
	.set _ZN7rocprim17ROCPRIM_400000_NS6detail17trampoline_kernelINS0_13select_configILj256ELj13ELNS0_17block_load_methodE3ELS4_3ELS4_3ELNS0_20block_scan_algorithmE0ELj4294967295EEENS1_25partition_config_selectorILNS1_17partition_subalgoE3EjNS0_10empty_typeEbEEZZNS1_14partition_implILS8_3ELb0ES6_jNS0_17counting_iteratorIjlEEPS9_SE_NS0_5tupleIJPjSE_EEENSF_IJSE_SE_EEES9_SG_JZNS1_25segmented_radix_sort_implINS0_14default_configELb1EPK12hip_bfloat16PSL_PKlPlN2at6native12_GLOBAL__N_18offset_tEEE10hipError_tPvRmT1_PNSt15iterator_traitsISZ_E10value_typeET2_T3_PNS10_IS15_E10value_typeET4_jRbjT5_S1B_jjP12ihipStream_tbEUljE_EEESW_SX_SY_S15_S19_S1B_T6_T7_T9_mT8_S1D_bDpT10_ENKUlT_T0_E_clISt17integral_constantIbLb1EES1Q_EEDaS1L_S1M_EUlS1L_E_NS1_11comp_targetILNS1_3genE5ELNS1_11target_archE942ELNS1_3gpuE9ELNS1_3repE0EEENS1_30default_config_static_selectorELNS0_4arch9wavefront6targetE1EEEvSZ_.numbered_sgpr, 0
	.set _ZN7rocprim17ROCPRIM_400000_NS6detail17trampoline_kernelINS0_13select_configILj256ELj13ELNS0_17block_load_methodE3ELS4_3ELS4_3ELNS0_20block_scan_algorithmE0ELj4294967295EEENS1_25partition_config_selectorILNS1_17partition_subalgoE3EjNS0_10empty_typeEbEEZZNS1_14partition_implILS8_3ELb0ES6_jNS0_17counting_iteratorIjlEEPS9_SE_NS0_5tupleIJPjSE_EEENSF_IJSE_SE_EEES9_SG_JZNS1_25segmented_radix_sort_implINS0_14default_configELb1EPK12hip_bfloat16PSL_PKlPlN2at6native12_GLOBAL__N_18offset_tEEE10hipError_tPvRmT1_PNSt15iterator_traitsISZ_E10value_typeET2_T3_PNS10_IS15_E10value_typeET4_jRbjT5_S1B_jjP12ihipStream_tbEUljE_EEESW_SX_SY_S15_S19_S1B_T6_T7_T9_mT8_S1D_bDpT10_ENKUlT_T0_E_clISt17integral_constantIbLb1EES1Q_EEDaS1L_S1M_EUlS1L_E_NS1_11comp_targetILNS1_3genE5ELNS1_11target_archE942ELNS1_3gpuE9ELNS1_3repE0EEENS1_30default_config_static_selectorELNS0_4arch9wavefront6targetE1EEEvSZ_.num_named_barrier, 0
	.set _ZN7rocprim17ROCPRIM_400000_NS6detail17trampoline_kernelINS0_13select_configILj256ELj13ELNS0_17block_load_methodE3ELS4_3ELS4_3ELNS0_20block_scan_algorithmE0ELj4294967295EEENS1_25partition_config_selectorILNS1_17partition_subalgoE3EjNS0_10empty_typeEbEEZZNS1_14partition_implILS8_3ELb0ES6_jNS0_17counting_iteratorIjlEEPS9_SE_NS0_5tupleIJPjSE_EEENSF_IJSE_SE_EEES9_SG_JZNS1_25segmented_radix_sort_implINS0_14default_configELb1EPK12hip_bfloat16PSL_PKlPlN2at6native12_GLOBAL__N_18offset_tEEE10hipError_tPvRmT1_PNSt15iterator_traitsISZ_E10value_typeET2_T3_PNS10_IS15_E10value_typeET4_jRbjT5_S1B_jjP12ihipStream_tbEUljE_EEESW_SX_SY_S15_S19_S1B_T6_T7_T9_mT8_S1D_bDpT10_ENKUlT_T0_E_clISt17integral_constantIbLb1EES1Q_EEDaS1L_S1M_EUlS1L_E_NS1_11comp_targetILNS1_3genE5ELNS1_11target_archE942ELNS1_3gpuE9ELNS1_3repE0EEENS1_30default_config_static_selectorELNS0_4arch9wavefront6targetE1EEEvSZ_.private_seg_size, 0
	.set _ZN7rocprim17ROCPRIM_400000_NS6detail17trampoline_kernelINS0_13select_configILj256ELj13ELNS0_17block_load_methodE3ELS4_3ELS4_3ELNS0_20block_scan_algorithmE0ELj4294967295EEENS1_25partition_config_selectorILNS1_17partition_subalgoE3EjNS0_10empty_typeEbEEZZNS1_14partition_implILS8_3ELb0ES6_jNS0_17counting_iteratorIjlEEPS9_SE_NS0_5tupleIJPjSE_EEENSF_IJSE_SE_EEES9_SG_JZNS1_25segmented_radix_sort_implINS0_14default_configELb1EPK12hip_bfloat16PSL_PKlPlN2at6native12_GLOBAL__N_18offset_tEEE10hipError_tPvRmT1_PNSt15iterator_traitsISZ_E10value_typeET2_T3_PNS10_IS15_E10value_typeET4_jRbjT5_S1B_jjP12ihipStream_tbEUljE_EEESW_SX_SY_S15_S19_S1B_T6_T7_T9_mT8_S1D_bDpT10_ENKUlT_T0_E_clISt17integral_constantIbLb1EES1Q_EEDaS1L_S1M_EUlS1L_E_NS1_11comp_targetILNS1_3genE5ELNS1_11target_archE942ELNS1_3gpuE9ELNS1_3repE0EEENS1_30default_config_static_selectorELNS0_4arch9wavefront6targetE1EEEvSZ_.uses_vcc, 0
	.set _ZN7rocprim17ROCPRIM_400000_NS6detail17trampoline_kernelINS0_13select_configILj256ELj13ELNS0_17block_load_methodE3ELS4_3ELS4_3ELNS0_20block_scan_algorithmE0ELj4294967295EEENS1_25partition_config_selectorILNS1_17partition_subalgoE3EjNS0_10empty_typeEbEEZZNS1_14partition_implILS8_3ELb0ES6_jNS0_17counting_iteratorIjlEEPS9_SE_NS0_5tupleIJPjSE_EEENSF_IJSE_SE_EEES9_SG_JZNS1_25segmented_radix_sort_implINS0_14default_configELb1EPK12hip_bfloat16PSL_PKlPlN2at6native12_GLOBAL__N_18offset_tEEE10hipError_tPvRmT1_PNSt15iterator_traitsISZ_E10value_typeET2_T3_PNS10_IS15_E10value_typeET4_jRbjT5_S1B_jjP12ihipStream_tbEUljE_EEESW_SX_SY_S15_S19_S1B_T6_T7_T9_mT8_S1D_bDpT10_ENKUlT_T0_E_clISt17integral_constantIbLb1EES1Q_EEDaS1L_S1M_EUlS1L_E_NS1_11comp_targetILNS1_3genE5ELNS1_11target_archE942ELNS1_3gpuE9ELNS1_3repE0EEENS1_30default_config_static_selectorELNS0_4arch9wavefront6targetE1EEEvSZ_.uses_flat_scratch, 0
	.set _ZN7rocprim17ROCPRIM_400000_NS6detail17trampoline_kernelINS0_13select_configILj256ELj13ELNS0_17block_load_methodE3ELS4_3ELS4_3ELNS0_20block_scan_algorithmE0ELj4294967295EEENS1_25partition_config_selectorILNS1_17partition_subalgoE3EjNS0_10empty_typeEbEEZZNS1_14partition_implILS8_3ELb0ES6_jNS0_17counting_iteratorIjlEEPS9_SE_NS0_5tupleIJPjSE_EEENSF_IJSE_SE_EEES9_SG_JZNS1_25segmented_radix_sort_implINS0_14default_configELb1EPK12hip_bfloat16PSL_PKlPlN2at6native12_GLOBAL__N_18offset_tEEE10hipError_tPvRmT1_PNSt15iterator_traitsISZ_E10value_typeET2_T3_PNS10_IS15_E10value_typeET4_jRbjT5_S1B_jjP12ihipStream_tbEUljE_EEESW_SX_SY_S15_S19_S1B_T6_T7_T9_mT8_S1D_bDpT10_ENKUlT_T0_E_clISt17integral_constantIbLb1EES1Q_EEDaS1L_S1M_EUlS1L_E_NS1_11comp_targetILNS1_3genE5ELNS1_11target_archE942ELNS1_3gpuE9ELNS1_3repE0EEENS1_30default_config_static_selectorELNS0_4arch9wavefront6targetE1EEEvSZ_.has_dyn_sized_stack, 0
	.set _ZN7rocprim17ROCPRIM_400000_NS6detail17trampoline_kernelINS0_13select_configILj256ELj13ELNS0_17block_load_methodE3ELS4_3ELS4_3ELNS0_20block_scan_algorithmE0ELj4294967295EEENS1_25partition_config_selectorILNS1_17partition_subalgoE3EjNS0_10empty_typeEbEEZZNS1_14partition_implILS8_3ELb0ES6_jNS0_17counting_iteratorIjlEEPS9_SE_NS0_5tupleIJPjSE_EEENSF_IJSE_SE_EEES9_SG_JZNS1_25segmented_radix_sort_implINS0_14default_configELb1EPK12hip_bfloat16PSL_PKlPlN2at6native12_GLOBAL__N_18offset_tEEE10hipError_tPvRmT1_PNSt15iterator_traitsISZ_E10value_typeET2_T3_PNS10_IS15_E10value_typeET4_jRbjT5_S1B_jjP12ihipStream_tbEUljE_EEESW_SX_SY_S15_S19_S1B_T6_T7_T9_mT8_S1D_bDpT10_ENKUlT_T0_E_clISt17integral_constantIbLb1EES1Q_EEDaS1L_S1M_EUlS1L_E_NS1_11comp_targetILNS1_3genE5ELNS1_11target_archE942ELNS1_3gpuE9ELNS1_3repE0EEENS1_30default_config_static_selectorELNS0_4arch9wavefront6targetE1EEEvSZ_.has_recursion, 0
	.set _ZN7rocprim17ROCPRIM_400000_NS6detail17trampoline_kernelINS0_13select_configILj256ELj13ELNS0_17block_load_methodE3ELS4_3ELS4_3ELNS0_20block_scan_algorithmE0ELj4294967295EEENS1_25partition_config_selectorILNS1_17partition_subalgoE3EjNS0_10empty_typeEbEEZZNS1_14partition_implILS8_3ELb0ES6_jNS0_17counting_iteratorIjlEEPS9_SE_NS0_5tupleIJPjSE_EEENSF_IJSE_SE_EEES9_SG_JZNS1_25segmented_radix_sort_implINS0_14default_configELb1EPK12hip_bfloat16PSL_PKlPlN2at6native12_GLOBAL__N_18offset_tEEE10hipError_tPvRmT1_PNSt15iterator_traitsISZ_E10value_typeET2_T3_PNS10_IS15_E10value_typeET4_jRbjT5_S1B_jjP12ihipStream_tbEUljE_EEESW_SX_SY_S15_S19_S1B_T6_T7_T9_mT8_S1D_bDpT10_ENKUlT_T0_E_clISt17integral_constantIbLb1EES1Q_EEDaS1L_S1M_EUlS1L_E_NS1_11comp_targetILNS1_3genE5ELNS1_11target_archE942ELNS1_3gpuE9ELNS1_3repE0EEENS1_30default_config_static_selectorELNS0_4arch9wavefront6targetE1EEEvSZ_.has_indirect_call, 0
	.section	.AMDGPU.csdata,"",@progbits
; Kernel info:
; codeLenInByte = 0
; TotalNumSgprs: 4
; NumVgprs: 0
; ScratchSize: 0
; MemoryBound: 0
; FloatMode: 240
; IeeeMode: 1
; LDSByteSize: 0 bytes/workgroup (compile time only)
; SGPRBlocks: 0
; VGPRBlocks: 0
; NumSGPRsForWavesPerEU: 4
; NumVGPRsForWavesPerEU: 1
; Occupancy: 10
; WaveLimiterHint : 0
; COMPUTE_PGM_RSRC2:SCRATCH_EN: 0
; COMPUTE_PGM_RSRC2:USER_SGPR: 6
; COMPUTE_PGM_RSRC2:TRAP_HANDLER: 0
; COMPUTE_PGM_RSRC2:TGID_X_EN: 1
; COMPUTE_PGM_RSRC2:TGID_Y_EN: 0
; COMPUTE_PGM_RSRC2:TGID_Z_EN: 0
; COMPUTE_PGM_RSRC2:TIDIG_COMP_CNT: 0
	.section	.text._ZN7rocprim17ROCPRIM_400000_NS6detail17trampoline_kernelINS0_13select_configILj256ELj13ELNS0_17block_load_methodE3ELS4_3ELS4_3ELNS0_20block_scan_algorithmE0ELj4294967295EEENS1_25partition_config_selectorILNS1_17partition_subalgoE3EjNS0_10empty_typeEbEEZZNS1_14partition_implILS8_3ELb0ES6_jNS0_17counting_iteratorIjlEEPS9_SE_NS0_5tupleIJPjSE_EEENSF_IJSE_SE_EEES9_SG_JZNS1_25segmented_radix_sort_implINS0_14default_configELb1EPK12hip_bfloat16PSL_PKlPlN2at6native12_GLOBAL__N_18offset_tEEE10hipError_tPvRmT1_PNSt15iterator_traitsISZ_E10value_typeET2_T3_PNS10_IS15_E10value_typeET4_jRbjT5_S1B_jjP12ihipStream_tbEUljE_EEESW_SX_SY_S15_S19_S1B_T6_T7_T9_mT8_S1D_bDpT10_ENKUlT_T0_E_clISt17integral_constantIbLb1EES1Q_EEDaS1L_S1M_EUlS1L_E_NS1_11comp_targetILNS1_3genE4ELNS1_11target_archE910ELNS1_3gpuE8ELNS1_3repE0EEENS1_30default_config_static_selectorELNS0_4arch9wavefront6targetE1EEEvSZ_,"axG",@progbits,_ZN7rocprim17ROCPRIM_400000_NS6detail17trampoline_kernelINS0_13select_configILj256ELj13ELNS0_17block_load_methodE3ELS4_3ELS4_3ELNS0_20block_scan_algorithmE0ELj4294967295EEENS1_25partition_config_selectorILNS1_17partition_subalgoE3EjNS0_10empty_typeEbEEZZNS1_14partition_implILS8_3ELb0ES6_jNS0_17counting_iteratorIjlEEPS9_SE_NS0_5tupleIJPjSE_EEENSF_IJSE_SE_EEES9_SG_JZNS1_25segmented_radix_sort_implINS0_14default_configELb1EPK12hip_bfloat16PSL_PKlPlN2at6native12_GLOBAL__N_18offset_tEEE10hipError_tPvRmT1_PNSt15iterator_traitsISZ_E10value_typeET2_T3_PNS10_IS15_E10value_typeET4_jRbjT5_S1B_jjP12ihipStream_tbEUljE_EEESW_SX_SY_S15_S19_S1B_T6_T7_T9_mT8_S1D_bDpT10_ENKUlT_T0_E_clISt17integral_constantIbLb1EES1Q_EEDaS1L_S1M_EUlS1L_E_NS1_11comp_targetILNS1_3genE4ELNS1_11target_archE910ELNS1_3gpuE8ELNS1_3repE0EEENS1_30default_config_static_selectorELNS0_4arch9wavefront6targetE1EEEvSZ_,comdat
	.globl	_ZN7rocprim17ROCPRIM_400000_NS6detail17trampoline_kernelINS0_13select_configILj256ELj13ELNS0_17block_load_methodE3ELS4_3ELS4_3ELNS0_20block_scan_algorithmE0ELj4294967295EEENS1_25partition_config_selectorILNS1_17partition_subalgoE3EjNS0_10empty_typeEbEEZZNS1_14partition_implILS8_3ELb0ES6_jNS0_17counting_iteratorIjlEEPS9_SE_NS0_5tupleIJPjSE_EEENSF_IJSE_SE_EEES9_SG_JZNS1_25segmented_radix_sort_implINS0_14default_configELb1EPK12hip_bfloat16PSL_PKlPlN2at6native12_GLOBAL__N_18offset_tEEE10hipError_tPvRmT1_PNSt15iterator_traitsISZ_E10value_typeET2_T3_PNS10_IS15_E10value_typeET4_jRbjT5_S1B_jjP12ihipStream_tbEUljE_EEESW_SX_SY_S15_S19_S1B_T6_T7_T9_mT8_S1D_bDpT10_ENKUlT_T0_E_clISt17integral_constantIbLb1EES1Q_EEDaS1L_S1M_EUlS1L_E_NS1_11comp_targetILNS1_3genE4ELNS1_11target_archE910ELNS1_3gpuE8ELNS1_3repE0EEENS1_30default_config_static_selectorELNS0_4arch9wavefront6targetE1EEEvSZ_ ; -- Begin function _ZN7rocprim17ROCPRIM_400000_NS6detail17trampoline_kernelINS0_13select_configILj256ELj13ELNS0_17block_load_methodE3ELS4_3ELS4_3ELNS0_20block_scan_algorithmE0ELj4294967295EEENS1_25partition_config_selectorILNS1_17partition_subalgoE3EjNS0_10empty_typeEbEEZZNS1_14partition_implILS8_3ELb0ES6_jNS0_17counting_iteratorIjlEEPS9_SE_NS0_5tupleIJPjSE_EEENSF_IJSE_SE_EEES9_SG_JZNS1_25segmented_radix_sort_implINS0_14default_configELb1EPK12hip_bfloat16PSL_PKlPlN2at6native12_GLOBAL__N_18offset_tEEE10hipError_tPvRmT1_PNSt15iterator_traitsISZ_E10value_typeET2_T3_PNS10_IS15_E10value_typeET4_jRbjT5_S1B_jjP12ihipStream_tbEUljE_EEESW_SX_SY_S15_S19_S1B_T6_T7_T9_mT8_S1D_bDpT10_ENKUlT_T0_E_clISt17integral_constantIbLb1EES1Q_EEDaS1L_S1M_EUlS1L_E_NS1_11comp_targetILNS1_3genE4ELNS1_11target_archE910ELNS1_3gpuE8ELNS1_3repE0EEENS1_30default_config_static_selectorELNS0_4arch9wavefront6targetE1EEEvSZ_
	.p2align	8
	.type	_ZN7rocprim17ROCPRIM_400000_NS6detail17trampoline_kernelINS0_13select_configILj256ELj13ELNS0_17block_load_methodE3ELS4_3ELS4_3ELNS0_20block_scan_algorithmE0ELj4294967295EEENS1_25partition_config_selectorILNS1_17partition_subalgoE3EjNS0_10empty_typeEbEEZZNS1_14partition_implILS8_3ELb0ES6_jNS0_17counting_iteratorIjlEEPS9_SE_NS0_5tupleIJPjSE_EEENSF_IJSE_SE_EEES9_SG_JZNS1_25segmented_radix_sort_implINS0_14default_configELb1EPK12hip_bfloat16PSL_PKlPlN2at6native12_GLOBAL__N_18offset_tEEE10hipError_tPvRmT1_PNSt15iterator_traitsISZ_E10value_typeET2_T3_PNS10_IS15_E10value_typeET4_jRbjT5_S1B_jjP12ihipStream_tbEUljE_EEESW_SX_SY_S15_S19_S1B_T6_T7_T9_mT8_S1D_bDpT10_ENKUlT_T0_E_clISt17integral_constantIbLb1EES1Q_EEDaS1L_S1M_EUlS1L_E_NS1_11comp_targetILNS1_3genE4ELNS1_11target_archE910ELNS1_3gpuE8ELNS1_3repE0EEENS1_30default_config_static_selectorELNS0_4arch9wavefront6targetE1EEEvSZ_,@function
_ZN7rocprim17ROCPRIM_400000_NS6detail17trampoline_kernelINS0_13select_configILj256ELj13ELNS0_17block_load_methodE3ELS4_3ELS4_3ELNS0_20block_scan_algorithmE0ELj4294967295EEENS1_25partition_config_selectorILNS1_17partition_subalgoE3EjNS0_10empty_typeEbEEZZNS1_14partition_implILS8_3ELb0ES6_jNS0_17counting_iteratorIjlEEPS9_SE_NS0_5tupleIJPjSE_EEENSF_IJSE_SE_EEES9_SG_JZNS1_25segmented_radix_sort_implINS0_14default_configELb1EPK12hip_bfloat16PSL_PKlPlN2at6native12_GLOBAL__N_18offset_tEEE10hipError_tPvRmT1_PNSt15iterator_traitsISZ_E10value_typeET2_T3_PNS10_IS15_E10value_typeET4_jRbjT5_S1B_jjP12ihipStream_tbEUljE_EEESW_SX_SY_S15_S19_S1B_T6_T7_T9_mT8_S1D_bDpT10_ENKUlT_T0_E_clISt17integral_constantIbLb1EES1Q_EEDaS1L_S1M_EUlS1L_E_NS1_11comp_targetILNS1_3genE4ELNS1_11target_archE910ELNS1_3gpuE8ELNS1_3repE0EEENS1_30default_config_static_selectorELNS0_4arch9wavefront6targetE1EEEvSZ_: ; @_ZN7rocprim17ROCPRIM_400000_NS6detail17trampoline_kernelINS0_13select_configILj256ELj13ELNS0_17block_load_methodE3ELS4_3ELS4_3ELNS0_20block_scan_algorithmE0ELj4294967295EEENS1_25partition_config_selectorILNS1_17partition_subalgoE3EjNS0_10empty_typeEbEEZZNS1_14partition_implILS8_3ELb0ES6_jNS0_17counting_iteratorIjlEEPS9_SE_NS0_5tupleIJPjSE_EEENSF_IJSE_SE_EEES9_SG_JZNS1_25segmented_radix_sort_implINS0_14default_configELb1EPK12hip_bfloat16PSL_PKlPlN2at6native12_GLOBAL__N_18offset_tEEE10hipError_tPvRmT1_PNSt15iterator_traitsISZ_E10value_typeET2_T3_PNS10_IS15_E10value_typeET4_jRbjT5_S1B_jjP12ihipStream_tbEUljE_EEESW_SX_SY_S15_S19_S1B_T6_T7_T9_mT8_S1D_bDpT10_ENKUlT_T0_E_clISt17integral_constantIbLb1EES1Q_EEDaS1L_S1M_EUlS1L_E_NS1_11comp_targetILNS1_3genE4ELNS1_11target_archE910ELNS1_3gpuE8ELNS1_3repE0EEENS1_30default_config_static_selectorELNS0_4arch9wavefront6targetE1EEEvSZ_
; %bb.0:
	.section	.rodata,"a",@progbits
	.p2align	6, 0x0
	.amdhsa_kernel _ZN7rocprim17ROCPRIM_400000_NS6detail17trampoline_kernelINS0_13select_configILj256ELj13ELNS0_17block_load_methodE3ELS4_3ELS4_3ELNS0_20block_scan_algorithmE0ELj4294967295EEENS1_25partition_config_selectorILNS1_17partition_subalgoE3EjNS0_10empty_typeEbEEZZNS1_14partition_implILS8_3ELb0ES6_jNS0_17counting_iteratorIjlEEPS9_SE_NS0_5tupleIJPjSE_EEENSF_IJSE_SE_EEES9_SG_JZNS1_25segmented_radix_sort_implINS0_14default_configELb1EPK12hip_bfloat16PSL_PKlPlN2at6native12_GLOBAL__N_18offset_tEEE10hipError_tPvRmT1_PNSt15iterator_traitsISZ_E10value_typeET2_T3_PNS10_IS15_E10value_typeET4_jRbjT5_S1B_jjP12ihipStream_tbEUljE_EEESW_SX_SY_S15_S19_S1B_T6_T7_T9_mT8_S1D_bDpT10_ENKUlT_T0_E_clISt17integral_constantIbLb1EES1Q_EEDaS1L_S1M_EUlS1L_E_NS1_11comp_targetILNS1_3genE4ELNS1_11target_archE910ELNS1_3gpuE8ELNS1_3repE0EEENS1_30default_config_static_selectorELNS0_4arch9wavefront6targetE1EEEvSZ_
		.amdhsa_group_segment_fixed_size 0
		.amdhsa_private_segment_fixed_size 0
		.amdhsa_kernarg_size 152
		.amdhsa_user_sgpr_count 6
		.amdhsa_user_sgpr_private_segment_buffer 1
		.amdhsa_user_sgpr_dispatch_ptr 0
		.amdhsa_user_sgpr_queue_ptr 0
		.amdhsa_user_sgpr_kernarg_segment_ptr 1
		.amdhsa_user_sgpr_dispatch_id 0
		.amdhsa_user_sgpr_flat_scratch_init 0
		.amdhsa_user_sgpr_private_segment_size 0
		.amdhsa_uses_dynamic_stack 0
		.amdhsa_system_sgpr_private_segment_wavefront_offset 0
		.amdhsa_system_sgpr_workgroup_id_x 1
		.amdhsa_system_sgpr_workgroup_id_y 0
		.amdhsa_system_sgpr_workgroup_id_z 0
		.amdhsa_system_sgpr_workgroup_info 0
		.amdhsa_system_vgpr_workitem_id 0
		.amdhsa_next_free_vgpr 1
		.amdhsa_next_free_sgpr 0
		.amdhsa_reserve_vcc 0
		.amdhsa_reserve_flat_scratch 0
		.amdhsa_float_round_mode_32 0
		.amdhsa_float_round_mode_16_64 0
		.amdhsa_float_denorm_mode_32 3
		.amdhsa_float_denorm_mode_16_64 3
		.amdhsa_dx10_clamp 1
		.amdhsa_ieee_mode 1
		.amdhsa_fp16_overflow 0
		.amdhsa_exception_fp_ieee_invalid_op 0
		.amdhsa_exception_fp_denorm_src 0
		.amdhsa_exception_fp_ieee_div_zero 0
		.amdhsa_exception_fp_ieee_overflow 0
		.amdhsa_exception_fp_ieee_underflow 0
		.amdhsa_exception_fp_ieee_inexact 0
		.amdhsa_exception_int_div_zero 0
	.end_amdhsa_kernel
	.section	.text._ZN7rocprim17ROCPRIM_400000_NS6detail17trampoline_kernelINS0_13select_configILj256ELj13ELNS0_17block_load_methodE3ELS4_3ELS4_3ELNS0_20block_scan_algorithmE0ELj4294967295EEENS1_25partition_config_selectorILNS1_17partition_subalgoE3EjNS0_10empty_typeEbEEZZNS1_14partition_implILS8_3ELb0ES6_jNS0_17counting_iteratorIjlEEPS9_SE_NS0_5tupleIJPjSE_EEENSF_IJSE_SE_EEES9_SG_JZNS1_25segmented_radix_sort_implINS0_14default_configELb1EPK12hip_bfloat16PSL_PKlPlN2at6native12_GLOBAL__N_18offset_tEEE10hipError_tPvRmT1_PNSt15iterator_traitsISZ_E10value_typeET2_T3_PNS10_IS15_E10value_typeET4_jRbjT5_S1B_jjP12ihipStream_tbEUljE_EEESW_SX_SY_S15_S19_S1B_T6_T7_T9_mT8_S1D_bDpT10_ENKUlT_T0_E_clISt17integral_constantIbLb1EES1Q_EEDaS1L_S1M_EUlS1L_E_NS1_11comp_targetILNS1_3genE4ELNS1_11target_archE910ELNS1_3gpuE8ELNS1_3repE0EEENS1_30default_config_static_selectorELNS0_4arch9wavefront6targetE1EEEvSZ_,"axG",@progbits,_ZN7rocprim17ROCPRIM_400000_NS6detail17trampoline_kernelINS0_13select_configILj256ELj13ELNS0_17block_load_methodE3ELS4_3ELS4_3ELNS0_20block_scan_algorithmE0ELj4294967295EEENS1_25partition_config_selectorILNS1_17partition_subalgoE3EjNS0_10empty_typeEbEEZZNS1_14partition_implILS8_3ELb0ES6_jNS0_17counting_iteratorIjlEEPS9_SE_NS0_5tupleIJPjSE_EEENSF_IJSE_SE_EEES9_SG_JZNS1_25segmented_radix_sort_implINS0_14default_configELb1EPK12hip_bfloat16PSL_PKlPlN2at6native12_GLOBAL__N_18offset_tEEE10hipError_tPvRmT1_PNSt15iterator_traitsISZ_E10value_typeET2_T3_PNS10_IS15_E10value_typeET4_jRbjT5_S1B_jjP12ihipStream_tbEUljE_EEESW_SX_SY_S15_S19_S1B_T6_T7_T9_mT8_S1D_bDpT10_ENKUlT_T0_E_clISt17integral_constantIbLb1EES1Q_EEDaS1L_S1M_EUlS1L_E_NS1_11comp_targetILNS1_3genE4ELNS1_11target_archE910ELNS1_3gpuE8ELNS1_3repE0EEENS1_30default_config_static_selectorELNS0_4arch9wavefront6targetE1EEEvSZ_,comdat
.Lfunc_end1924:
	.size	_ZN7rocprim17ROCPRIM_400000_NS6detail17trampoline_kernelINS0_13select_configILj256ELj13ELNS0_17block_load_methodE3ELS4_3ELS4_3ELNS0_20block_scan_algorithmE0ELj4294967295EEENS1_25partition_config_selectorILNS1_17partition_subalgoE3EjNS0_10empty_typeEbEEZZNS1_14partition_implILS8_3ELb0ES6_jNS0_17counting_iteratorIjlEEPS9_SE_NS0_5tupleIJPjSE_EEENSF_IJSE_SE_EEES9_SG_JZNS1_25segmented_radix_sort_implINS0_14default_configELb1EPK12hip_bfloat16PSL_PKlPlN2at6native12_GLOBAL__N_18offset_tEEE10hipError_tPvRmT1_PNSt15iterator_traitsISZ_E10value_typeET2_T3_PNS10_IS15_E10value_typeET4_jRbjT5_S1B_jjP12ihipStream_tbEUljE_EEESW_SX_SY_S15_S19_S1B_T6_T7_T9_mT8_S1D_bDpT10_ENKUlT_T0_E_clISt17integral_constantIbLb1EES1Q_EEDaS1L_S1M_EUlS1L_E_NS1_11comp_targetILNS1_3genE4ELNS1_11target_archE910ELNS1_3gpuE8ELNS1_3repE0EEENS1_30default_config_static_selectorELNS0_4arch9wavefront6targetE1EEEvSZ_, .Lfunc_end1924-_ZN7rocprim17ROCPRIM_400000_NS6detail17trampoline_kernelINS0_13select_configILj256ELj13ELNS0_17block_load_methodE3ELS4_3ELS4_3ELNS0_20block_scan_algorithmE0ELj4294967295EEENS1_25partition_config_selectorILNS1_17partition_subalgoE3EjNS0_10empty_typeEbEEZZNS1_14partition_implILS8_3ELb0ES6_jNS0_17counting_iteratorIjlEEPS9_SE_NS0_5tupleIJPjSE_EEENSF_IJSE_SE_EEES9_SG_JZNS1_25segmented_radix_sort_implINS0_14default_configELb1EPK12hip_bfloat16PSL_PKlPlN2at6native12_GLOBAL__N_18offset_tEEE10hipError_tPvRmT1_PNSt15iterator_traitsISZ_E10value_typeET2_T3_PNS10_IS15_E10value_typeET4_jRbjT5_S1B_jjP12ihipStream_tbEUljE_EEESW_SX_SY_S15_S19_S1B_T6_T7_T9_mT8_S1D_bDpT10_ENKUlT_T0_E_clISt17integral_constantIbLb1EES1Q_EEDaS1L_S1M_EUlS1L_E_NS1_11comp_targetILNS1_3genE4ELNS1_11target_archE910ELNS1_3gpuE8ELNS1_3repE0EEENS1_30default_config_static_selectorELNS0_4arch9wavefront6targetE1EEEvSZ_
                                        ; -- End function
	.set _ZN7rocprim17ROCPRIM_400000_NS6detail17trampoline_kernelINS0_13select_configILj256ELj13ELNS0_17block_load_methodE3ELS4_3ELS4_3ELNS0_20block_scan_algorithmE0ELj4294967295EEENS1_25partition_config_selectorILNS1_17partition_subalgoE3EjNS0_10empty_typeEbEEZZNS1_14partition_implILS8_3ELb0ES6_jNS0_17counting_iteratorIjlEEPS9_SE_NS0_5tupleIJPjSE_EEENSF_IJSE_SE_EEES9_SG_JZNS1_25segmented_radix_sort_implINS0_14default_configELb1EPK12hip_bfloat16PSL_PKlPlN2at6native12_GLOBAL__N_18offset_tEEE10hipError_tPvRmT1_PNSt15iterator_traitsISZ_E10value_typeET2_T3_PNS10_IS15_E10value_typeET4_jRbjT5_S1B_jjP12ihipStream_tbEUljE_EEESW_SX_SY_S15_S19_S1B_T6_T7_T9_mT8_S1D_bDpT10_ENKUlT_T0_E_clISt17integral_constantIbLb1EES1Q_EEDaS1L_S1M_EUlS1L_E_NS1_11comp_targetILNS1_3genE4ELNS1_11target_archE910ELNS1_3gpuE8ELNS1_3repE0EEENS1_30default_config_static_selectorELNS0_4arch9wavefront6targetE1EEEvSZ_.num_vgpr, 0
	.set _ZN7rocprim17ROCPRIM_400000_NS6detail17trampoline_kernelINS0_13select_configILj256ELj13ELNS0_17block_load_methodE3ELS4_3ELS4_3ELNS0_20block_scan_algorithmE0ELj4294967295EEENS1_25partition_config_selectorILNS1_17partition_subalgoE3EjNS0_10empty_typeEbEEZZNS1_14partition_implILS8_3ELb0ES6_jNS0_17counting_iteratorIjlEEPS9_SE_NS0_5tupleIJPjSE_EEENSF_IJSE_SE_EEES9_SG_JZNS1_25segmented_radix_sort_implINS0_14default_configELb1EPK12hip_bfloat16PSL_PKlPlN2at6native12_GLOBAL__N_18offset_tEEE10hipError_tPvRmT1_PNSt15iterator_traitsISZ_E10value_typeET2_T3_PNS10_IS15_E10value_typeET4_jRbjT5_S1B_jjP12ihipStream_tbEUljE_EEESW_SX_SY_S15_S19_S1B_T6_T7_T9_mT8_S1D_bDpT10_ENKUlT_T0_E_clISt17integral_constantIbLb1EES1Q_EEDaS1L_S1M_EUlS1L_E_NS1_11comp_targetILNS1_3genE4ELNS1_11target_archE910ELNS1_3gpuE8ELNS1_3repE0EEENS1_30default_config_static_selectorELNS0_4arch9wavefront6targetE1EEEvSZ_.num_agpr, 0
	.set _ZN7rocprim17ROCPRIM_400000_NS6detail17trampoline_kernelINS0_13select_configILj256ELj13ELNS0_17block_load_methodE3ELS4_3ELS4_3ELNS0_20block_scan_algorithmE0ELj4294967295EEENS1_25partition_config_selectorILNS1_17partition_subalgoE3EjNS0_10empty_typeEbEEZZNS1_14partition_implILS8_3ELb0ES6_jNS0_17counting_iteratorIjlEEPS9_SE_NS0_5tupleIJPjSE_EEENSF_IJSE_SE_EEES9_SG_JZNS1_25segmented_radix_sort_implINS0_14default_configELb1EPK12hip_bfloat16PSL_PKlPlN2at6native12_GLOBAL__N_18offset_tEEE10hipError_tPvRmT1_PNSt15iterator_traitsISZ_E10value_typeET2_T3_PNS10_IS15_E10value_typeET4_jRbjT5_S1B_jjP12ihipStream_tbEUljE_EEESW_SX_SY_S15_S19_S1B_T6_T7_T9_mT8_S1D_bDpT10_ENKUlT_T0_E_clISt17integral_constantIbLb1EES1Q_EEDaS1L_S1M_EUlS1L_E_NS1_11comp_targetILNS1_3genE4ELNS1_11target_archE910ELNS1_3gpuE8ELNS1_3repE0EEENS1_30default_config_static_selectorELNS0_4arch9wavefront6targetE1EEEvSZ_.numbered_sgpr, 0
	.set _ZN7rocprim17ROCPRIM_400000_NS6detail17trampoline_kernelINS0_13select_configILj256ELj13ELNS0_17block_load_methodE3ELS4_3ELS4_3ELNS0_20block_scan_algorithmE0ELj4294967295EEENS1_25partition_config_selectorILNS1_17partition_subalgoE3EjNS0_10empty_typeEbEEZZNS1_14partition_implILS8_3ELb0ES6_jNS0_17counting_iteratorIjlEEPS9_SE_NS0_5tupleIJPjSE_EEENSF_IJSE_SE_EEES9_SG_JZNS1_25segmented_radix_sort_implINS0_14default_configELb1EPK12hip_bfloat16PSL_PKlPlN2at6native12_GLOBAL__N_18offset_tEEE10hipError_tPvRmT1_PNSt15iterator_traitsISZ_E10value_typeET2_T3_PNS10_IS15_E10value_typeET4_jRbjT5_S1B_jjP12ihipStream_tbEUljE_EEESW_SX_SY_S15_S19_S1B_T6_T7_T9_mT8_S1D_bDpT10_ENKUlT_T0_E_clISt17integral_constantIbLb1EES1Q_EEDaS1L_S1M_EUlS1L_E_NS1_11comp_targetILNS1_3genE4ELNS1_11target_archE910ELNS1_3gpuE8ELNS1_3repE0EEENS1_30default_config_static_selectorELNS0_4arch9wavefront6targetE1EEEvSZ_.num_named_barrier, 0
	.set _ZN7rocprim17ROCPRIM_400000_NS6detail17trampoline_kernelINS0_13select_configILj256ELj13ELNS0_17block_load_methodE3ELS4_3ELS4_3ELNS0_20block_scan_algorithmE0ELj4294967295EEENS1_25partition_config_selectorILNS1_17partition_subalgoE3EjNS0_10empty_typeEbEEZZNS1_14partition_implILS8_3ELb0ES6_jNS0_17counting_iteratorIjlEEPS9_SE_NS0_5tupleIJPjSE_EEENSF_IJSE_SE_EEES9_SG_JZNS1_25segmented_radix_sort_implINS0_14default_configELb1EPK12hip_bfloat16PSL_PKlPlN2at6native12_GLOBAL__N_18offset_tEEE10hipError_tPvRmT1_PNSt15iterator_traitsISZ_E10value_typeET2_T3_PNS10_IS15_E10value_typeET4_jRbjT5_S1B_jjP12ihipStream_tbEUljE_EEESW_SX_SY_S15_S19_S1B_T6_T7_T9_mT8_S1D_bDpT10_ENKUlT_T0_E_clISt17integral_constantIbLb1EES1Q_EEDaS1L_S1M_EUlS1L_E_NS1_11comp_targetILNS1_3genE4ELNS1_11target_archE910ELNS1_3gpuE8ELNS1_3repE0EEENS1_30default_config_static_selectorELNS0_4arch9wavefront6targetE1EEEvSZ_.private_seg_size, 0
	.set _ZN7rocprim17ROCPRIM_400000_NS6detail17trampoline_kernelINS0_13select_configILj256ELj13ELNS0_17block_load_methodE3ELS4_3ELS4_3ELNS0_20block_scan_algorithmE0ELj4294967295EEENS1_25partition_config_selectorILNS1_17partition_subalgoE3EjNS0_10empty_typeEbEEZZNS1_14partition_implILS8_3ELb0ES6_jNS0_17counting_iteratorIjlEEPS9_SE_NS0_5tupleIJPjSE_EEENSF_IJSE_SE_EEES9_SG_JZNS1_25segmented_radix_sort_implINS0_14default_configELb1EPK12hip_bfloat16PSL_PKlPlN2at6native12_GLOBAL__N_18offset_tEEE10hipError_tPvRmT1_PNSt15iterator_traitsISZ_E10value_typeET2_T3_PNS10_IS15_E10value_typeET4_jRbjT5_S1B_jjP12ihipStream_tbEUljE_EEESW_SX_SY_S15_S19_S1B_T6_T7_T9_mT8_S1D_bDpT10_ENKUlT_T0_E_clISt17integral_constantIbLb1EES1Q_EEDaS1L_S1M_EUlS1L_E_NS1_11comp_targetILNS1_3genE4ELNS1_11target_archE910ELNS1_3gpuE8ELNS1_3repE0EEENS1_30default_config_static_selectorELNS0_4arch9wavefront6targetE1EEEvSZ_.uses_vcc, 0
	.set _ZN7rocprim17ROCPRIM_400000_NS6detail17trampoline_kernelINS0_13select_configILj256ELj13ELNS0_17block_load_methodE3ELS4_3ELS4_3ELNS0_20block_scan_algorithmE0ELj4294967295EEENS1_25partition_config_selectorILNS1_17partition_subalgoE3EjNS0_10empty_typeEbEEZZNS1_14partition_implILS8_3ELb0ES6_jNS0_17counting_iteratorIjlEEPS9_SE_NS0_5tupleIJPjSE_EEENSF_IJSE_SE_EEES9_SG_JZNS1_25segmented_radix_sort_implINS0_14default_configELb1EPK12hip_bfloat16PSL_PKlPlN2at6native12_GLOBAL__N_18offset_tEEE10hipError_tPvRmT1_PNSt15iterator_traitsISZ_E10value_typeET2_T3_PNS10_IS15_E10value_typeET4_jRbjT5_S1B_jjP12ihipStream_tbEUljE_EEESW_SX_SY_S15_S19_S1B_T6_T7_T9_mT8_S1D_bDpT10_ENKUlT_T0_E_clISt17integral_constantIbLb1EES1Q_EEDaS1L_S1M_EUlS1L_E_NS1_11comp_targetILNS1_3genE4ELNS1_11target_archE910ELNS1_3gpuE8ELNS1_3repE0EEENS1_30default_config_static_selectorELNS0_4arch9wavefront6targetE1EEEvSZ_.uses_flat_scratch, 0
	.set _ZN7rocprim17ROCPRIM_400000_NS6detail17trampoline_kernelINS0_13select_configILj256ELj13ELNS0_17block_load_methodE3ELS4_3ELS4_3ELNS0_20block_scan_algorithmE0ELj4294967295EEENS1_25partition_config_selectorILNS1_17partition_subalgoE3EjNS0_10empty_typeEbEEZZNS1_14partition_implILS8_3ELb0ES6_jNS0_17counting_iteratorIjlEEPS9_SE_NS0_5tupleIJPjSE_EEENSF_IJSE_SE_EEES9_SG_JZNS1_25segmented_radix_sort_implINS0_14default_configELb1EPK12hip_bfloat16PSL_PKlPlN2at6native12_GLOBAL__N_18offset_tEEE10hipError_tPvRmT1_PNSt15iterator_traitsISZ_E10value_typeET2_T3_PNS10_IS15_E10value_typeET4_jRbjT5_S1B_jjP12ihipStream_tbEUljE_EEESW_SX_SY_S15_S19_S1B_T6_T7_T9_mT8_S1D_bDpT10_ENKUlT_T0_E_clISt17integral_constantIbLb1EES1Q_EEDaS1L_S1M_EUlS1L_E_NS1_11comp_targetILNS1_3genE4ELNS1_11target_archE910ELNS1_3gpuE8ELNS1_3repE0EEENS1_30default_config_static_selectorELNS0_4arch9wavefront6targetE1EEEvSZ_.has_dyn_sized_stack, 0
	.set _ZN7rocprim17ROCPRIM_400000_NS6detail17trampoline_kernelINS0_13select_configILj256ELj13ELNS0_17block_load_methodE3ELS4_3ELS4_3ELNS0_20block_scan_algorithmE0ELj4294967295EEENS1_25partition_config_selectorILNS1_17partition_subalgoE3EjNS0_10empty_typeEbEEZZNS1_14partition_implILS8_3ELb0ES6_jNS0_17counting_iteratorIjlEEPS9_SE_NS0_5tupleIJPjSE_EEENSF_IJSE_SE_EEES9_SG_JZNS1_25segmented_radix_sort_implINS0_14default_configELb1EPK12hip_bfloat16PSL_PKlPlN2at6native12_GLOBAL__N_18offset_tEEE10hipError_tPvRmT1_PNSt15iterator_traitsISZ_E10value_typeET2_T3_PNS10_IS15_E10value_typeET4_jRbjT5_S1B_jjP12ihipStream_tbEUljE_EEESW_SX_SY_S15_S19_S1B_T6_T7_T9_mT8_S1D_bDpT10_ENKUlT_T0_E_clISt17integral_constantIbLb1EES1Q_EEDaS1L_S1M_EUlS1L_E_NS1_11comp_targetILNS1_3genE4ELNS1_11target_archE910ELNS1_3gpuE8ELNS1_3repE0EEENS1_30default_config_static_selectorELNS0_4arch9wavefront6targetE1EEEvSZ_.has_recursion, 0
	.set _ZN7rocprim17ROCPRIM_400000_NS6detail17trampoline_kernelINS0_13select_configILj256ELj13ELNS0_17block_load_methodE3ELS4_3ELS4_3ELNS0_20block_scan_algorithmE0ELj4294967295EEENS1_25partition_config_selectorILNS1_17partition_subalgoE3EjNS0_10empty_typeEbEEZZNS1_14partition_implILS8_3ELb0ES6_jNS0_17counting_iteratorIjlEEPS9_SE_NS0_5tupleIJPjSE_EEENSF_IJSE_SE_EEES9_SG_JZNS1_25segmented_radix_sort_implINS0_14default_configELb1EPK12hip_bfloat16PSL_PKlPlN2at6native12_GLOBAL__N_18offset_tEEE10hipError_tPvRmT1_PNSt15iterator_traitsISZ_E10value_typeET2_T3_PNS10_IS15_E10value_typeET4_jRbjT5_S1B_jjP12ihipStream_tbEUljE_EEESW_SX_SY_S15_S19_S1B_T6_T7_T9_mT8_S1D_bDpT10_ENKUlT_T0_E_clISt17integral_constantIbLb1EES1Q_EEDaS1L_S1M_EUlS1L_E_NS1_11comp_targetILNS1_3genE4ELNS1_11target_archE910ELNS1_3gpuE8ELNS1_3repE0EEENS1_30default_config_static_selectorELNS0_4arch9wavefront6targetE1EEEvSZ_.has_indirect_call, 0
	.section	.AMDGPU.csdata,"",@progbits
; Kernel info:
; codeLenInByte = 0
; TotalNumSgprs: 4
; NumVgprs: 0
; ScratchSize: 0
; MemoryBound: 0
; FloatMode: 240
; IeeeMode: 1
; LDSByteSize: 0 bytes/workgroup (compile time only)
; SGPRBlocks: 0
; VGPRBlocks: 0
; NumSGPRsForWavesPerEU: 4
; NumVGPRsForWavesPerEU: 1
; Occupancy: 10
; WaveLimiterHint : 0
; COMPUTE_PGM_RSRC2:SCRATCH_EN: 0
; COMPUTE_PGM_RSRC2:USER_SGPR: 6
; COMPUTE_PGM_RSRC2:TRAP_HANDLER: 0
; COMPUTE_PGM_RSRC2:TGID_X_EN: 1
; COMPUTE_PGM_RSRC2:TGID_Y_EN: 0
; COMPUTE_PGM_RSRC2:TGID_Z_EN: 0
; COMPUTE_PGM_RSRC2:TIDIG_COMP_CNT: 0
	.section	.text._ZN7rocprim17ROCPRIM_400000_NS6detail17trampoline_kernelINS0_13select_configILj256ELj13ELNS0_17block_load_methodE3ELS4_3ELS4_3ELNS0_20block_scan_algorithmE0ELj4294967295EEENS1_25partition_config_selectorILNS1_17partition_subalgoE3EjNS0_10empty_typeEbEEZZNS1_14partition_implILS8_3ELb0ES6_jNS0_17counting_iteratorIjlEEPS9_SE_NS0_5tupleIJPjSE_EEENSF_IJSE_SE_EEES9_SG_JZNS1_25segmented_radix_sort_implINS0_14default_configELb1EPK12hip_bfloat16PSL_PKlPlN2at6native12_GLOBAL__N_18offset_tEEE10hipError_tPvRmT1_PNSt15iterator_traitsISZ_E10value_typeET2_T3_PNS10_IS15_E10value_typeET4_jRbjT5_S1B_jjP12ihipStream_tbEUljE_EEESW_SX_SY_S15_S19_S1B_T6_T7_T9_mT8_S1D_bDpT10_ENKUlT_T0_E_clISt17integral_constantIbLb1EES1Q_EEDaS1L_S1M_EUlS1L_E_NS1_11comp_targetILNS1_3genE3ELNS1_11target_archE908ELNS1_3gpuE7ELNS1_3repE0EEENS1_30default_config_static_selectorELNS0_4arch9wavefront6targetE1EEEvSZ_,"axG",@progbits,_ZN7rocprim17ROCPRIM_400000_NS6detail17trampoline_kernelINS0_13select_configILj256ELj13ELNS0_17block_load_methodE3ELS4_3ELS4_3ELNS0_20block_scan_algorithmE0ELj4294967295EEENS1_25partition_config_selectorILNS1_17partition_subalgoE3EjNS0_10empty_typeEbEEZZNS1_14partition_implILS8_3ELb0ES6_jNS0_17counting_iteratorIjlEEPS9_SE_NS0_5tupleIJPjSE_EEENSF_IJSE_SE_EEES9_SG_JZNS1_25segmented_radix_sort_implINS0_14default_configELb1EPK12hip_bfloat16PSL_PKlPlN2at6native12_GLOBAL__N_18offset_tEEE10hipError_tPvRmT1_PNSt15iterator_traitsISZ_E10value_typeET2_T3_PNS10_IS15_E10value_typeET4_jRbjT5_S1B_jjP12ihipStream_tbEUljE_EEESW_SX_SY_S15_S19_S1B_T6_T7_T9_mT8_S1D_bDpT10_ENKUlT_T0_E_clISt17integral_constantIbLb1EES1Q_EEDaS1L_S1M_EUlS1L_E_NS1_11comp_targetILNS1_3genE3ELNS1_11target_archE908ELNS1_3gpuE7ELNS1_3repE0EEENS1_30default_config_static_selectorELNS0_4arch9wavefront6targetE1EEEvSZ_,comdat
	.globl	_ZN7rocprim17ROCPRIM_400000_NS6detail17trampoline_kernelINS0_13select_configILj256ELj13ELNS0_17block_load_methodE3ELS4_3ELS4_3ELNS0_20block_scan_algorithmE0ELj4294967295EEENS1_25partition_config_selectorILNS1_17partition_subalgoE3EjNS0_10empty_typeEbEEZZNS1_14partition_implILS8_3ELb0ES6_jNS0_17counting_iteratorIjlEEPS9_SE_NS0_5tupleIJPjSE_EEENSF_IJSE_SE_EEES9_SG_JZNS1_25segmented_radix_sort_implINS0_14default_configELb1EPK12hip_bfloat16PSL_PKlPlN2at6native12_GLOBAL__N_18offset_tEEE10hipError_tPvRmT1_PNSt15iterator_traitsISZ_E10value_typeET2_T3_PNS10_IS15_E10value_typeET4_jRbjT5_S1B_jjP12ihipStream_tbEUljE_EEESW_SX_SY_S15_S19_S1B_T6_T7_T9_mT8_S1D_bDpT10_ENKUlT_T0_E_clISt17integral_constantIbLb1EES1Q_EEDaS1L_S1M_EUlS1L_E_NS1_11comp_targetILNS1_3genE3ELNS1_11target_archE908ELNS1_3gpuE7ELNS1_3repE0EEENS1_30default_config_static_selectorELNS0_4arch9wavefront6targetE1EEEvSZ_ ; -- Begin function _ZN7rocprim17ROCPRIM_400000_NS6detail17trampoline_kernelINS0_13select_configILj256ELj13ELNS0_17block_load_methodE3ELS4_3ELS4_3ELNS0_20block_scan_algorithmE0ELj4294967295EEENS1_25partition_config_selectorILNS1_17partition_subalgoE3EjNS0_10empty_typeEbEEZZNS1_14partition_implILS8_3ELb0ES6_jNS0_17counting_iteratorIjlEEPS9_SE_NS0_5tupleIJPjSE_EEENSF_IJSE_SE_EEES9_SG_JZNS1_25segmented_radix_sort_implINS0_14default_configELb1EPK12hip_bfloat16PSL_PKlPlN2at6native12_GLOBAL__N_18offset_tEEE10hipError_tPvRmT1_PNSt15iterator_traitsISZ_E10value_typeET2_T3_PNS10_IS15_E10value_typeET4_jRbjT5_S1B_jjP12ihipStream_tbEUljE_EEESW_SX_SY_S15_S19_S1B_T6_T7_T9_mT8_S1D_bDpT10_ENKUlT_T0_E_clISt17integral_constantIbLb1EES1Q_EEDaS1L_S1M_EUlS1L_E_NS1_11comp_targetILNS1_3genE3ELNS1_11target_archE908ELNS1_3gpuE7ELNS1_3repE0EEENS1_30default_config_static_selectorELNS0_4arch9wavefront6targetE1EEEvSZ_
	.p2align	8
	.type	_ZN7rocprim17ROCPRIM_400000_NS6detail17trampoline_kernelINS0_13select_configILj256ELj13ELNS0_17block_load_methodE3ELS4_3ELS4_3ELNS0_20block_scan_algorithmE0ELj4294967295EEENS1_25partition_config_selectorILNS1_17partition_subalgoE3EjNS0_10empty_typeEbEEZZNS1_14partition_implILS8_3ELb0ES6_jNS0_17counting_iteratorIjlEEPS9_SE_NS0_5tupleIJPjSE_EEENSF_IJSE_SE_EEES9_SG_JZNS1_25segmented_radix_sort_implINS0_14default_configELb1EPK12hip_bfloat16PSL_PKlPlN2at6native12_GLOBAL__N_18offset_tEEE10hipError_tPvRmT1_PNSt15iterator_traitsISZ_E10value_typeET2_T3_PNS10_IS15_E10value_typeET4_jRbjT5_S1B_jjP12ihipStream_tbEUljE_EEESW_SX_SY_S15_S19_S1B_T6_T7_T9_mT8_S1D_bDpT10_ENKUlT_T0_E_clISt17integral_constantIbLb1EES1Q_EEDaS1L_S1M_EUlS1L_E_NS1_11comp_targetILNS1_3genE3ELNS1_11target_archE908ELNS1_3gpuE7ELNS1_3repE0EEENS1_30default_config_static_selectorELNS0_4arch9wavefront6targetE1EEEvSZ_,@function
_ZN7rocprim17ROCPRIM_400000_NS6detail17trampoline_kernelINS0_13select_configILj256ELj13ELNS0_17block_load_methodE3ELS4_3ELS4_3ELNS0_20block_scan_algorithmE0ELj4294967295EEENS1_25partition_config_selectorILNS1_17partition_subalgoE3EjNS0_10empty_typeEbEEZZNS1_14partition_implILS8_3ELb0ES6_jNS0_17counting_iteratorIjlEEPS9_SE_NS0_5tupleIJPjSE_EEENSF_IJSE_SE_EEES9_SG_JZNS1_25segmented_radix_sort_implINS0_14default_configELb1EPK12hip_bfloat16PSL_PKlPlN2at6native12_GLOBAL__N_18offset_tEEE10hipError_tPvRmT1_PNSt15iterator_traitsISZ_E10value_typeET2_T3_PNS10_IS15_E10value_typeET4_jRbjT5_S1B_jjP12ihipStream_tbEUljE_EEESW_SX_SY_S15_S19_S1B_T6_T7_T9_mT8_S1D_bDpT10_ENKUlT_T0_E_clISt17integral_constantIbLb1EES1Q_EEDaS1L_S1M_EUlS1L_E_NS1_11comp_targetILNS1_3genE3ELNS1_11target_archE908ELNS1_3gpuE7ELNS1_3repE0EEENS1_30default_config_static_selectorELNS0_4arch9wavefront6targetE1EEEvSZ_: ; @_ZN7rocprim17ROCPRIM_400000_NS6detail17trampoline_kernelINS0_13select_configILj256ELj13ELNS0_17block_load_methodE3ELS4_3ELS4_3ELNS0_20block_scan_algorithmE0ELj4294967295EEENS1_25partition_config_selectorILNS1_17partition_subalgoE3EjNS0_10empty_typeEbEEZZNS1_14partition_implILS8_3ELb0ES6_jNS0_17counting_iteratorIjlEEPS9_SE_NS0_5tupleIJPjSE_EEENSF_IJSE_SE_EEES9_SG_JZNS1_25segmented_radix_sort_implINS0_14default_configELb1EPK12hip_bfloat16PSL_PKlPlN2at6native12_GLOBAL__N_18offset_tEEE10hipError_tPvRmT1_PNSt15iterator_traitsISZ_E10value_typeET2_T3_PNS10_IS15_E10value_typeET4_jRbjT5_S1B_jjP12ihipStream_tbEUljE_EEESW_SX_SY_S15_S19_S1B_T6_T7_T9_mT8_S1D_bDpT10_ENKUlT_T0_E_clISt17integral_constantIbLb1EES1Q_EEDaS1L_S1M_EUlS1L_E_NS1_11comp_targetILNS1_3genE3ELNS1_11target_archE908ELNS1_3gpuE7ELNS1_3repE0EEENS1_30default_config_static_selectorELNS0_4arch9wavefront6targetE1EEEvSZ_
; %bb.0:
	.section	.rodata,"a",@progbits
	.p2align	6, 0x0
	.amdhsa_kernel _ZN7rocprim17ROCPRIM_400000_NS6detail17trampoline_kernelINS0_13select_configILj256ELj13ELNS0_17block_load_methodE3ELS4_3ELS4_3ELNS0_20block_scan_algorithmE0ELj4294967295EEENS1_25partition_config_selectorILNS1_17partition_subalgoE3EjNS0_10empty_typeEbEEZZNS1_14partition_implILS8_3ELb0ES6_jNS0_17counting_iteratorIjlEEPS9_SE_NS0_5tupleIJPjSE_EEENSF_IJSE_SE_EEES9_SG_JZNS1_25segmented_radix_sort_implINS0_14default_configELb1EPK12hip_bfloat16PSL_PKlPlN2at6native12_GLOBAL__N_18offset_tEEE10hipError_tPvRmT1_PNSt15iterator_traitsISZ_E10value_typeET2_T3_PNS10_IS15_E10value_typeET4_jRbjT5_S1B_jjP12ihipStream_tbEUljE_EEESW_SX_SY_S15_S19_S1B_T6_T7_T9_mT8_S1D_bDpT10_ENKUlT_T0_E_clISt17integral_constantIbLb1EES1Q_EEDaS1L_S1M_EUlS1L_E_NS1_11comp_targetILNS1_3genE3ELNS1_11target_archE908ELNS1_3gpuE7ELNS1_3repE0EEENS1_30default_config_static_selectorELNS0_4arch9wavefront6targetE1EEEvSZ_
		.amdhsa_group_segment_fixed_size 0
		.amdhsa_private_segment_fixed_size 0
		.amdhsa_kernarg_size 152
		.amdhsa_user_sgpr_count 6
		.amdhsa_user_sgpr_private_segment_buffer 1
		.amdhsa_user_sgpr_dispatch_ptr 0
		.amdhsa_user_sgpr_queue_ptr 0
		.amdhsa_user_sgpr_kernarg_segment_ptr 1
		.amdhsa_user_sgpr_dispatch_id 0
		.amdhsa_user_sgpr_flat_scratch_init 0
		.amdhsa_user_sgpr_private_segment_size 0
		.amdhsa_uses_dynamic_stack 0
		.amdhsa_system_sgpr_private_segment_wavefront_offset 0
		.amdhsa_system_sgpr_workgroup_id_x 1
		.amdhsa_system_sgpr_workgroup_id_y 0
		.amdhsa_system_sgpr_workgroup_id_z 0
		.amdhsa_system_sgpr_workgroup_info 0
		.amdhsa_system_vgpr_workitem_id 0
		.amdhsa_next_free_vgpr 1
		.amdhsa_next_free_sgpr 0
		.amdhsa_reserve_vcc 0
		.amdhsa_reserve_flat_scratch 0
		.amdhsa_float_round_mode_32 0
		.amdhsa_float_round_mode_16_64 0
		.amdhsa_float_denorm_mode_32 3
		.amdhsa_float_denorm_mode_16_64 3
		.amdhsa_dx10_clamp 1
		.amdhsa_ieee_mode 1
		.amdhsa_fp16_overflow 0
		.amdhsa_exception_fp_ieee_invalid_op 0
		.amdhsa_exception_fp_denorm_src 0
		.amdhsa_exception_fp_ieee_div_zero 0
		.amdhsa_exception_fp_ieee_overflow 0
		.amdhsa_exception_fp_ieee_underflow 0
		.amdhsa_exception_fp_ieee_inexact 0
		.amdhsa_exception_int_div_zero 0
	.end_amdhsa_kernel
	.section	.text._ZN7rocprim17ROCPRIM_400000_NS6detail17trampoline_kernelINS0_13select_configILj256ELj13ELNS0_17block_load_methodE3ELS4_3ELS4_3ELNS0_20block_scan_algorithmE0ELj4294967295EEENS1_25partition_config_selectorILNS1_17partition_subalgoE3EjNS0_10empty_typeEbEEZZNS1_14partition_implILS8_3ELb0ES6_jNS0_17counting_iteratorIjlEEPS9_SE_NS0_5tupleIJPjSE_EEENSF_IJSE_SE_EEES9_SG_JZNS1_25segmented_radix_sort_implINS0_14default_configELb1EPK12hip_bfloat16PSL_PKlPlN2at6native12_GLOBAL__N_18offset_tEEE10hipError_tPvRmT1_PNSt15iterator_traitsISZ_E10value_typeET2_T3_PNS10_IS15_E10value_typeET4_jRbjT5_S1B_jjP12ihipStream_tbEUljE_EEESW_SX_SY_S15_S19_S1B_T6_T7_T9_mT8_S1D_bDpT10_ENKUlT_T0_E_clISt17integral_constantIbLb1EES1Q_EEDaS1L_S1M_EUlS1L_E_NS1_11comp_targetILNS1_3genE3ELNS1_11target_archE908ELNS1_3gpuE7ELNS1_3repE0EEENS1_30default_config_static_selectorELNS0_4arch9wavefront6targetE1EEEvSZ_,"axG",@progbits,_ZN7rocprim17ROCPRIM_400000_NS6detail17trampoline_kernelINS0_13select_configILj256ELj13ELNS0_17block_load_methodE3ELS4_3ELS4_3ELNS0_20block_scan_algorithmE0ELj4294967295EEENS1_25partition_config_selectorILNS1_17partition_subalgoE3EjNS0_10empty_typeEbEEZZNS1_14partition_implILS8_3ELb0ES6_jNS0_17counting_iteratorIjlEEPS9_SE_NS0_5tupleIJPjSE_EEENSF_IJSE_SE_EEES9_SG_JZNS1_25segmented_radix_sort_implINS0_14default_configELb1EPK12hip_bfloat16PSL_PKlPlN2at6native12_GLOBAL__N_18offset_tEEE10hipError_tPvRmT1_PNSt15iterator_traitsISZ_E10value_typeET2_T3_PNS10_IS15_E10value_typeET4_jRbjT5_S1B_jjP12ihipStream_tbEUljE_EEESW_SX_SY_S15_S19_S1B_T6_T7_T9_mT8_S1D_bDpT10_ENKUlT_T0_E_clISt17integral_constantIbLb1EES1Q_EEDaS1L_S1M_EUlS1L_E_NS1_11comp_targetILNS1_3genE3ELNS1_11target_archE908ELNS1_3gpuE7ELNS1_3repE0EEENS1_30default_config_static_selectorELNS0_4arch9wavefront6targetE1EEEvSZ_,comdat
.Lfunc_end1925:
	.size	_ZN7rocprim17ROCPRIM_400000_NS6detail17trampoline_kernelINS0_13select_configILj256ELj13ELNS0_17block_load_methodE3ELS4_3ELS4_3ELNS0_20block_scan_algorithmE0ELj4294967295EEENS1_25partition_config_selectorILNS1_17partition_subalgoE3EjNS0_10empty_typeEbEEZZNS1_14partition_implILS8_3ELb0ES6_jNS0_17counting_iteratorIjlEEPS9_SE_NS0_5tupleIJPjSE_EEENSF_IJSE_SE_EEES9_SG_JZNS1_25segmented_radix_sort_implINS0_14default_configELb1EPK12hip_bfloat16PSL_PKlPlN2at6native12_GLOBAL__N_18offset_tEEE10hipError_tPvRmT1_PNSt15iterator_traitsISZ_E10value_typeET2_T3_PNS10_IS15_E10value_typeET4_jRbjT5_S1B_jjP12ihipStream_tbEUljE_EEESW_SX_SY_S15_S19_S1B_T6_T7_T9_mT8_S1D_bDpT10_ENKUlT_T0_E_clISt17integral_constantIbLb1EES1Q_EEDaS1L_S1M_EUlS1L_E_NS1_11comp_targetILNS1_3genE3ELNS1_11target_archE908ELNS1_3gpuE7ELNS1_3repE0EEENS1_30default_config_static_selectorELNS0_4arch9wavefront6targetE1EEEvSZ_, .Lfunc_end1925-_ZN7rocprim17ROCPRIM_400000_NS6detail17trampoline_kernelINS0_13select_configILj256ELj13ELNS0_17block_load_methodE3ELS4_3ELS4_3ELNS0_20block_scan_algorithmE0ELj4294967295EEENS1_25partition_config_selectorILNS1_17partition_subalgoE3EjNS0_10empty_typeEbEEZZNS1_14partition_implILS8_3ELb0ES6_jNS0_17counting_iteratorIjlEEPS9_SE_NS0_5tupleIJPjSE_EEENSF_IJSE_SE_EEES9_SG_JZNS1_25segmented_radix_sort_implINS0_14default_configELb1EPK12hip_bfloat16PSL_PKlPlN2at6native12_GLOBAL__N_18offset_tEEE10hipError_tPvRmT1_PNSt15iterator_traitsISZ_E10value_typeET2_T3_PNS10_IS15_E10value_typeET4_jRbjT5_S1B_jjP12ihipStream_tbEUljE_EEESW_SX_SY_S15_S19_S1B_T6_T7_T9_mT8_S1D_bDpT10_ENKUlT_T0_E_clISt17integral_constantIbLb1EES1Q_EEDaS1L_S1M_EUlS1L_E_NS1_11comp_targetILNS1_3genE3ELNS1_11target_archE908ELNS1_3gpuE7ELNS1_3repE0EEENS1_30default_config_static_selectorELNS0_4arch9wavefront6targetE1EEEvSZ_
                                        ; -- End function
	.set _ZN7rocprim17ROCPRIM_400000_NS6detail17trampoline_kernelINS0_13select_configILj256ELj13ELNS0_17block_load_methodE3ELS4_3ELS4_3ELNS0_20block_scan_algorithmE0ELj4294967295EEENS1_25partition_config_selectorILNS1_17partition_subalgoE3EjNS0_10empty_typeEbEEZZNS1_14partition_implILS8_3ELb0ES6_jNS0_17counting_iteratorIjlEEPS9_SE_NS0_5tupleIJPjSE_EEENSF_IJSE_SE_EEES9_SG_JZNS1_25segmented_radix_sort_implINS0_14default_configELb1EPK12hip_bfloat16PSL_PKlPlN2at6native12_GLOBAL__N_18offset_tEEE10hipError_tPvRmT1_PNSt15iterator_traitsISZ_E10value_typeET2_T3_PNS10_IS15_E10value_typeET4_jRbjT5_S1B_jjP12ihipStream_tbEUljE_EEESW_SX_SY_S15_S19_S1B_T6_T7_T9_mT8_S1D_bDpT10_ENKUlT_T0_E_clISt17integral_constantIbLb1EES1Q_EEDaS1L_S1M_EUlS1L_E_NS1_11comp_targetILNS1_3genE3ELNS1_11target_archE908ELNS1_3gpuE7ELNS1_3repE0EEENS1_30default_config_static_selectorELNS0_4arch9wavefront6targetE1EEEvSZ_.num_vgpr, 0
	.set _ZN7rocprim17ROCPRIM_400000_NS6detail17trampoline_kernelINS0_13select_configILj256ELj13ELNS0_17block_load_methodE3ELS4_3ELS4_3ELNS0_20block_scan_algorithmE0ELj4294967295EEENS1_25partition_config_selectorILNS1_17partition_subalgoE3EjNS0_10empty_typeEbEEZZNS1_14partition_implILS8_3ELb0ES6_jNS0_17counting_iteratorIjlEEPS9_SE_NS0_5tupleIJPjSE_EEENSF_IJSE_SE_EEES9_SG_JZNS1_25segmented_radix_sort_implINS0_14default_configELb1EPK12hip_bfloat16PSL_PKlPlN2at6native12_GLOBAL__N_18offset_tEEE10hipError_tPvRmT1_PNSt15iterator_traitsISZ_E10value_typeET2_T3_PNS10_IS15_E10value_typeET4_jRbjT5_S1B_jjP12ihipStream_tbEUljE_EEESW_SX_SY_S15_S19_S1B_T6_T7_T9_mT8_S1D_bDpT10_ENKUlT_T0_E_clISt17integral_constantIbLb1EES1Q_EEDaS1L_S1M_EUlS1L_E_NS1_11comp_targetILNS1_3genE3ELNS1_11target_archE908ELNS1_3gpuE7ELNS1_3repE0EEENS1_30default_config_static_selectorELNS0_4arch9wavefront6targetE1EEEvSZ_.num_agpr, 0
	.set _ZN7rocprim17ROCPRIM_400000_NS6detail17trampoline_kernelINS0_13select_configILj256ELj13ELNS0_17block_load_methodE3ELS4_3ELS4_3ELNS0_20block_scan_algorithmE0ELj4294967295EEENS1_25partition_config_selectorILNS1_17partition_subalgoE3EjNS0_10empty_typeEbEEZZNS1_14partition_implILS8_3ELb0ES6_jNS0_17counting_iteratorIjlEEPS9_SE_NS0_5tupleIJPjSE_EEENSF_IJSE_SE_EEES9_SG_JZNS1_25segmented_radix_sort_implINS0_14default_configELb1EPK12hip_bfloat16PSL_PKlPlN2at6native12_GLOBAL__N_18offset_tEEE10hipError_tPvRmT1_PNSt15iterator_traitsISZ_E10value_typeET2_T3_PNS10_IS15_E10value_typeET4_jRbjT5_S1B_jjP12ihipStream_tbEUljE_EEESW_SX_SY_S15_S19_S1B_T6_T7_T9_mT8_S1D_bDpT10_ENKUlT_T0_E_clISt17integral_constantIbLb1EES1Q_EEDaS1L_S1M_EUlS1L_E_NS1_11comp_targetILNS1_3genE3ELNS1_11target_archE908ELNS1_3gpuE7ELNS1_3repE0EEENS1_30default_config_static_selectorELNS0_4arch9wavefront6targetE1EEEvSZ_.numbered_sgpr, 0
	.set _ZN7rocprim17ROCPRIM_400000_NS6detail17trampoline_kernelINS0_13select_configILj256ELj13ELNS0_17block_load_methodE3ELS4_3ELS4_3ELNS0_20block_scan_algorithmE0ELj4294967295EEENS1_25partition_config_selectorILNS1_17partition_subalgoE3EjNS0_10empty_typeEbEEZZNS1_14partition_implILS8_3ELb0ES6_jNS0_17counting_iteratorIjlEEPS9_SE_NS0_5tupleIJPjSE_EEENSF_IJSE_SE_EEES9_SG_JZNS1_25segmented_radix_sort_implINS0_14default_configELb1EPK12hip_bfloat16PSL_PKlPlN2at6native12_GLOBAL__N_18offset_tEEE10hipError_tPvRmT1_PNSt15iterator_traitsISZ_E10value_typeET2_T3_PNS10_IS15_E10value_typeET4_jRbjT5_S1B_jjP12ihipStream_tbEUljE_EEESW_SX_SY_S15_S19_S1B_T6_T7_T9_mT8_S1D_bDpT10_ENKUlT_T0_E_clISt17integral_constantIbLb1EES1Q_EEDaS1L_S1M_EUlS1L_E_NS1_11comp_targetILNS1_3genE3ELNS1_11target_archE908ELNS1_3gpuE7ELNS1_3repE0EEENS1_30default_config_static_selectorELNS0_4arch9wavefront6targetE1EEEvSZ_.num_named_barrier, 0
	.set _ZN7rocprim17ROCPRIM_400000_NS6detail17trampoline_kernelINS0_13select_configILj256ELj13ELNS0_17block_load_methodE3ELS4_3ELS4_3ELNS0_20block_scan_algorithmE0ELj4294967295EEENS1_25partition_config_selectorILNS1_17partition_subalgoE3EjNS0_10empty_typeEbEEZZNS1_14partition_implILS8_3ELb0ES6_jNS0_17counting_iteratorIjlEEPS9_SE_NS0_5tupleIJPjSE_EEENSF_IJSE_SE_EEES9_SG_JZNS1_25segmented_radix_sort_implINS0_14default_configELb1EPK12hip_bfloat16PSL_PKlPlN2at6native12_GLOBAL__N_18offset_tEEE10hipError_tPvRmT1_PNSt15iterator_traitsISZ_E10value_typeET2_T3_PNS10_IS15_E10value_typeET4_jRbjT5_S1B_jjP12ihipStream_tbEUljE_EEESW_SX_SY_S15_S19_S1B_T6_T7_T9_mT8_S1D_bDpT10_ENKUlT_T0_E_clISt17integral_constantIbLb1EES1Q_EEDaS1L_S1M_EUlS1L_E_NS1_11comp_targetILNS1_3genE3ELNS1_11target_archE908ELNS1_3gpuE7ELNS1_3repE0EEENS1_30default_config_static_selectorELNS0_4arch9wavefront6targetE1EEEvSZ_.private_seg_size, 0
	.set _ZN7rocprim17ROCPRIM_400000_NS6detail17trampoline_kernelINS0_13select_configILj256ELj13ELNS0_17block_load_methodE3ELS4_3ELS4_3ELNS0_20block_scan_algorithmE0ELj4294967295EEENS1_25partition_config_selectorILNS1_17partition_subalgoE3EjNS0_10empty_typeEbEEZZNS1_14partition_implILS8_3ELb0ES6_jNS0_17counting_iteratorIjlEEPS9_SE_NS0_5tupleIJPjSE_EEENSF_IJSE_SE_EEES9_SG_JZNS1_25segmented_radix_sort_implINS0_14default_configELb1EPK12hip_bfloat16PSL_PKlPlN2at6native12_GLOBAL__N_18offset_tEEE10hipError_tPvRmT1_PNSt15iterator_traitsISZ_E10value_typeET2_T3_PNS10_IS15_E10value_typeET4_jRbjT5_S1B_jjP12ihipStream_tbEUljE_EEESW_SX_SY_S15_S19_S1B_T6_T7_T9_mT8_S1D_bDpT10_ENKUlT_T0_E_clISt17integral_constantIbLb1EES1Q_EEDaS1L_S1M_EUlS1L_E_NS1_11comp_targetILNS1_3genE3ELNS1_11target_archE908ELNS1_3gpuE7ELNS1_3repE0EEENS1_30default_config_static_selectorELNS0_4arch9wavefront6targetE1EEEvSZ_.uses_vcc, 0
	.set _ZN7rocprim17ROCPRIM_400000_NS6detail17trampoline_kernelINS0_13select_configILj256ELj13ELNS0_17block_load_methodE3ELS4_3ELS4_3ELNS0_20block_scan_algorithmE0ELj4294967295EEENS1_25partition_config_selectorILNS1_17partition_subalgoE3EjNS0_10empty_typeEbEEZZNS1_14partition_implILS8_3ELb0ES6_jNS0_17counting_iteratorIjlEEPS9_SE_NS0_5tupleIJPjSE_EEENSF_IJSE_SE_EEES9_SG_JZNS1_25segmented_radix_sort_implINS0_14default_configELb1EPK12hip_bfloat16PSL_PKlPlN2at6native12_GLOBAL__N_18offset_tEEE10hipError_tPvRmT1_PNSt15iterator_traitsISZ_E10value_typeET2_T3_PNS10_IS15_E10value_typeET4_jRbjT5_S1B_jjP12ihipStream_tbEUljE_EEESW_SX_SY_S15_S19_S1B_T6_T7_T9_mT8_S1D_bDpT10_ENKUlT_T0_E_clISt17integral_constantIbLb1EES1Q_EEDaS1L_S1M_EUlS1L_E_NS1_11comp_targetILNS1_3genE3ELNS1_11target_archE908ELNS1_3gpuE7ELNS1_3repE0EEENS1_30default_config_static_selectorELNS0_4arch9wavefront6targetE1EEEvSZ_.uses_flat_scratch, 0
	.set _ZN7rocprim17ROCPRIM_400000_NS6detail17trampoline_kernelINS0_13select_configILj256ELj13ELNS0_17block_load_methodE3ELS4_3ELS4_3ELNS0_20block_scan_algorithmE0ELj4294967295EEENS1_25partition_config_selectorILNS1_17partition_subalgoE3EjNS0_10empty_typeEbEEZZNS1_14partition_implILS8_3ELb0ES6_jNS0_17counting_iteratorIjlEEPS9_SE_NS0_5tupleIJPjSE_EEENSF_IJSE_SE_EEES9_SG_JZNS1_25segmented_radix_sort_implINS0_14default_configELb1EPK12hip_bfloat16PSL_PKlPlN2at6native12_GLOBAL__N_18offset_tEEE10hipError_tPvRmT1_PNSt15iterator_traitsISZ_E10value_typeET2_T3_PNS10_IS15_E10value_typeET4_jRbjT5_S1B_jjP12ihipStream_tbEUljE_EEESW_SX_SY_S15_S19_S1B_T6_T7_T9_mT8_S1D_bDpT10_ENKUlT_T0_E_clISt17integral_constantIbLb1EES1Q_EEDaS1L_S1M_EUlS1L_E_NS1_11comp_targetILNS1_3genE3ELNS1_11target_archE908ELNS1_3gpuE7ELNS1_3repE0EEENS1_30default_config_static_selectorELNS0_4arch9wavefront6targetE1EEEvSZ_.has_dyn_sized_stack, 0
	.set _ZN7rocprim17ROCPRIM_400000_NS6detail17trampoline_kernelINS0_13select_configILj256ELj13ELNS0_17block_load_methodE3ELS4_3ELS4_3ELNS0_20block_scan_algorithmE0ELj4294967295EEENS1_25partition_config_selectorILNS1_17partition_subalgoE3EjNS0_10empty_typeEbEEZZNS1_14partition_implILS8_3ELb0ES6_jNS0_17counting_iteratorIjlEEPS9_SE_NS0_5tupleIJPjSE_EEENSF_IJSE_SE_EEES9_SG_JZNS1_25segmented_radix_sort_implINS0_14default_configELb1EPK12hip_bfloat16PSL_PKlPlN2at6native12_GLOBAL__N_18offset_tEEE10hipError_tPvRmT1_PNSt15iterator_traitsISZ_E10value_typeET2_T3_PNS10_IS15_E10value_typeET4_jRbjT5_S1B_jjP12ihipStream_tbEUljE_EEESW_SX_SY_S15_S19_S1B_T6_T7_T9_mT8_S1D_bDpT10_ENKUlT_T0_E_clISt17integral_constantIbLb1EES1Q_EEDaS1L_S1M_EUlS1L_E_NS1_11comp_targetILNS1_3genE3ELNS1_11target_archE908ELNS1_3gpuE7ELNS1_3repE0EEENS1_30default_config_static_selectorELNS0_4arch9wavefront6targetE1EEEvSZ_.has_recursion, 0
	.set _ZN7rocprim17ROCPRIM_400000_NS6detail17trampoline_kernelINS0_13select_configILj256ELj13ELNS0_17block_load_methodE3ELS4_3ELS4_3ELNS0_20block_scan_algorithmE0ELj4294967295EEENS1_25partition_config_selectorILNS1_17partition_subalgoE3EjNS0_10empty_typeEbEEZZNS1_14partition_implILS8_3ELb0ES6_jNS0_17counting_iteratorIjlEEPS9_SE_NS0_5tupleIJPjSE_EEENSF_IJSE_SE_EEES9_SG_JZNS1_25segmented_radix_sort_implINS0_14default_configELb1EPK12hip_bfloat16PSL_PKlPlN2at6native12_GLOBAL__N_18offset_tEEE10hipError_tPvRmT1_PNSt15iterator_traitsISZ_E10value_typeET2_T3_PNS10_IS15_E10value_typeET4_jRbjT5_S1B_jjP12ihipStream_tbEUljE_EEESW_SX_SY_S15_S19_S1B_T6_T7_T9_mT8_S1D_bDpT10_ENKUlT_T0_E_clISt17integral_constantIbLb1EES1Q_EEDaS1L_S1M_EUlS1L_E_NS1_11comp_targetILNS1_3genE3ELNS1_11target_archE908ELNS1_3gpuE7ELNS1_3repE0EEENS1_30default_config_static_selectorELNS0_4arch9wavefront6targetE1EEEvSZ_.has_indirect_call, 0
	.section	.AMDGPU.csdata,"",@progbits
; Kernel info:
; codeLenInByte = 0
; TotalNumSgprs: 4
; NumVgprs: 0
; ScratchSize: 0
; MemoryBound: 0
; FloatMode: 240
; IeeeMode: 1
; LDSByteSize: 0 bytes/workgroup (compile time only)
; SGPRBlocks: 0
; VGPRBlocks: 0
; NumSGPRsForWavesPerEU: 4
; NumVGPRsForWavesPerEU: 1
; Occupancy: 10
; WaveLimiterHint : 0
; COMPUTE_PGM_RSRC2:SCRATCH_EN: 0
; COMPUTE_PGM_RSRC2:USER_SGPR: 6
; COMPUTE_PGM_RSRC2:TRAP_HANDLER: 0
; COMPUTE_PGM_RSRC2:TGID_X_EN: 1
; COMPUTE_PGM_RSRC2:TGID_Y_EN: 0
; COMPUTE_PGM_RSRC2:TGID_Z_EN: 0
; COMPUTE_PGM_RSRC2:TIDIG_COMP_CNT: 0
	.section	.text._ZN7rocprim17ROCPRIM_400000_NS6detail17trampoline_kernelINS0_13select_configILj256ELj13ELNS0_17block_load_methodE3ELS4_3ELS4_3ELNS0_20block_scan_algorithmE0ELj4294967295EEENS1_25partition_config_selectorILNS1_17partition_subalgoE3EjNS0_10empty_typeEbEEZZNS1_14partition_implILS8_3ELb0ES6_jNS0_17counting_iteratorIjlEEPS9_SE_NS0_5tupleIJPjSE_EEENSF_IJSE_SE_EEES9_SG_JZNS1_25segmented_radix_sort_implINS0_14default_configELb1EPK12hip_bfloat16PSL_PKlPlN2at6native12_GLOBAL__N_18offset_tEEE10hipError_tPvRmT1_PNSt15iterator_traitsISZ_E10value_typeET2_T3_PNS10_IS15_E10value_typeET4_jRbjT5_S1B_jjP12ihipStream_tbEUljE_EEESW_SX_SY_S15_S19_S1B_T6_T7_T9_mT8_S1D_bDpT10_ENKUlT_T0_E_clISt17integral_constantIbLb1EES1Q_EEDaS1L_S1M_EUlS1L_E_NS1_11comp_targetILNS1_3genE2ELNS1_11target_archE906ELNS1_3gpuE6ELNS1_3repE0EEENS1_30default_config_static_selectorELNS0_4arch9wavefront6targetE1EEEvSZ_,"axG",@progbits,_ZN7rocprim17ROCPRIM_400000_NS6detail17trampoline_kernelINS0_13select_configILj256ELj13ELNS0_17block_load_methodE3ELS4_3ELS4_3ELNS0_20block_scan_algorithmE0ELj4294967295EEENS1_25partition_config_selectorILNS1_17partition_subalgoE3EjNS0_10empty_typeEbEEZZNS1_14partition_implILS8_3ELb0ES6_jNS0_17counting_iteratorIjlEEPS9_SE_NS0_5tupleIJPjSE_EEENSF_IJSE_SE_EEES9_SG_JZNS1_25segmented_radix_sort_implINS0_14default_configELb1EPK12hip_bfloat16PSL_PKlPlN2at6native12_GLOBAL__N_18offset_tEEE10hipError_tPvRmT1_PNSt15iterator_traitsISZ_E10value_typeET2_T3_PNS10_IS15_E10value_typeET4_jRbjT5_S1B_jjP12ihipStream_tbEUljE_EEESW_SX_SY_S15_S19_S1B_T6_T7_T9_mT8_S1D_bDpT10_ENKUlT_T0_E_clISt17integral_constantIbLb1EES1Q_EEDaS1L_S1M_EUlS1L_E_NS1_11comp_targetILNS1_3genE2ELNS1_11target_archE906ELNS1_3gpuE6ELNS1_3repE0EEENS1_30default_config_static_selectorELNS0_4arch9wavefront6targetE1EEEvSZ_,comdat
	.globl	_ZN7rocprim17ROCPRIM_400000_NS6detail17trampoline_kernelINS0_13select_configILj256ELj13ELNS0_17block_load_methodE3ELS4_3ELS4_3ELNS0_20block_scan_algorithmE0ELj4294967295EEENS1_25partition_config_selectorILNS1_17partition_subalgoE3EjNS0_10empty_typeEbEEZZNS1_14partition_implILS8_3ELb0ES6_jNS0_17counting_iteratorIjlEEPS9_SE_NS0_5tupleIJPjSE_EEENSF_IJSE_SE_EEES9_SG_JZNS1_25segmented_radix_sort_implINS0_14default_configELb1EPK12hip_bfloat16PSL_PKlPlN2at6native12_GLOBAL__N_18offset_tEEE10hipError_tPvRmT1_PNSt15iterator_traitsISZ_E10value_typeET2_T3_PNS10_IS15_E10value_typeET4_jRbjT5_S1B_jjP12ihipStream_tbEUljE_EEESW_SX_SY_S15_S19_S1B_T6_T7_T9_mT8_S1D_bDpT10_ENKUlT_T0_E_clISt17integral_constantIbLb1EES1Q_EEDaS1L_S1M_EUlS1L_E_NS1_11comp_targetILNS1_3genE2ELNS1_11target_archE906ELNS1_3gpuE6ELNS1_3repE0EEENS1_30default_config_static_selectorELNS0_4arch9wavefront6targetE1EEEvSZ_ ; -- Begin function _ZN7rocprim17ROCPRIM_400000_NS6detail17trampoline_kernelINS0_13select_configILj256ELj13ELNS0_17block_load_methodE3ELS4_3ELS4_3ELNS0_20block_scan_algorithmE0ELj4294967295EEENS1_25partition_config_selectorILNS1_17partition_subalgoE3EjNS0_10empty_typeEbEEZZNS1_14partition_implILS8_3ELb0ES6_jNS0_17counting_iteratorIjlEEPS9_SE_NS0_5tupleIJPjSE_EEENSF_IJSE_SE_EEES9_SG_JZNS1_25segmented_radix_sort_implINS0_14default_configELb1EPK12hip_bfloat16PSL_PKlPlN2at6native12_GLOBAL__N_18offset_tEEE10hipError_tPvRmT1_PNSt15iterator_traitsISZ_E10value_typeET2_T3_PNS10_IS15_E10value_typeET4_jRbjT5_S1B_jjP12ihipStream_tbEUljE_EEESW_SX_SY_S15_S19_S1B_T6_T7_T9_mT8_S1D_bDpT10_ENKUlT_T0_E_clISt17integral_constantIbLb1EES1Q_EEDaS1L_S1M_EUlS1L_E_NS1_11comp_targetILNS1_3genE2ELNS1_11target_archE906ELNS1_3gpuE6ELNS1_3repE0EEENS1_30default_config_static_selectorELNS0_4arch9wavefront6targetE1EEEvSZ_
	.p2align	8
	.type	_ZN7rocprim17ROCPRIM_400000_NS6detail17trampoline_kernelINS0_13select_configILj256ELj13ELNS0_17block_load_methodE3ELS4_3ELS4_3ELNS0_20block_scan_algorithmE0ELj4294967295EEENS1_25partition_config_selectorILNS1_17partition_subalgoE3EjNS0_10empty_typeEbEEZZNS1_14partition_implILS8_3ELb0ES6_jNS0_17counting_iteratorIjlEEPS9_SE_NS0_5tupleIJPjSE_EEENSF_IJSE_SE_EEES9_SG_JZNS1_25segmented_radix_sort_implINS0_14default_configELb1EPK12hip_bfloat16PSL_PKlPlN2at6native12_GLOBAL__N_18offset_tEEE10hipError_tPvRmT1_PNSt15iterator_traitsISZ_E10value_typeET2_T3_PNS10_IS15_E10value_typeET4_jRbjT5_S1B_jjP12ihipStream_tbEUljE_EEESW_SX_SY_S15_S19_S1B_T6_T7_T9_mT8_S1D_bDpT10_ENKUlT_T0_E_clISt17integral_constantIbLb1EES1Q_EEDaS1L_S1M_EUlS1L_E_NS1_11comp_targetILNS1_3genE2ELNS1_11target_archE906ELNS1_3gpuE6ELNS1_3repE0EEENS1_30default_config_static_selectorELNS0_4arch9wavefront6targetE1EEEvSZ_,@function
_ZN7rocprim17ROCPRIM_400000_NS6detail17trampoline_kernelINS0_13select_configILj256ELj13ELNS0_17block_load_methodE3ELS4_3ELS4_3ELNS0_20block_scan_algorithmE0ELj4294967295EEENS1_25partition_config_selectorILNS1_17partition_subalgoE3EjNS0_10empty_typeEbEEZZNS1_14partition_implILS8_3ELb0ES6_jNS0_17counting_iteratorIjlEEPS9_SE_NS0_5tupleIJPjSE_EEENSF_IJSE_SE_EEES9_SG_JZNS1_25segmented_radix_sort_implINS0_14default_configELb1EPK12hip_bfloat16PSL_PKlPlN2at6native12_GLOBAL__N_18offset_tEEE10hipError_tPvRmT1_PNSt15iterator_traitsISZ_E10value_typeET2_T3_PNS10_IS15_E10value_typeET4_jRbjT5_S1B_jjP12ihipStream_tbEUljE_EEESW_SX_SY_S15_S19_S1B_T6_T7_T9_mT8_S1D_bDpT10_ENKUlT_T0_E_clISt17integral_constantIbLb1EES1Q_EEDaS1L_S1M_EUlS1L_E_NS1_11comp_targetILNS1_3genE2ELNS1_11target_archE906ELNS1_3gpuE6ELNS1_3repE0EEENS1_30default_config_static_selectorELNS0_4arch9wavefront6targetE1EEEvSZ_: ; @_ZN7rocprim17ROCPRIM_400000_NS6detail17trampoline_kernelINS0_13select_configILj256ELj13ELNS0_17block_load_methodE3ELS4_3ELS4_3ELNS0_20block_scan_algorithmE0ELj4294967295EEENS1_25partition_config_selectorILNS1_17partition_subalgoE3EjNS0_10empty_typeEbEEZZNS1_14partition_implILS8_3ELb0ES6_jNS0_17counting_iteratorIjlEEPS9_SE_NS0_5tupleIJPjSE_EEENSF_IJSE_SE_EEES9_SG_JZNS1_25segmented_radix_sort_implINS0_14default_configELb1EPK12hip_bfloat16PSL_PKlPlN2at6native12_GLOBAL__N_18offset_tEEE10hipError_tPvRmT1_PNSt15iterator_traitsISZ_E10value_typeET2_T3_PNS10_IS15_E10value_typeET4_jRbjT5_S1B_jjP12ihipStream_tbEUljE_EEESW_SX_SY_S15_S19_S1B_T6_T7_T9_mT8_S1D_bDpT10_ENKUlT_T0_E_clISt17integral_constantIbLb1EES1Q_EEDaS1L_S1M_EUlS1L_E_NS1_11comp_targetILNS1_3genE2ELNS1_11target_archE906ELNS1_3gpuE6ELNS1_3repE0EEENS1_30default_config_static_selectorELNS0_4arch9wavefront6targetE1EEEvSZ_
; %bb.0:
	s_endpgm
	.section	.rodata,"a",@progbits
	.p2align	6, 0x0
	.amdhsa_kernel _ZN7rocprim17ROCPRIM_400000_NS6detail17trampoline_kernelINS0_13select_configILj256ELj13ELNS0_17block_load_methodE3ELS4_3ELS4_3ELNS0_20block_scan_algorithmE0ELj4294967295EEENS1_25partition_config_selectorILNS1_17partition_subalgoE3EjNS0_10empty_typeEbEEZZNS1_14partition_implILS8_3ELb0ES6_jNS0_17counting_iteratorIjlEEPS9_SE_NS0_5tupleIJPjSE_EEENSF_IJSE_SE_EEES9_SG_JZNS1_25segmented_radix_sort_implINS0_14default_configELb1EPK12hip_bfloat16PSL_PKlPlN2at6native12_GLOBAL__N_18offset_tEEE10hipError_tPvRmT1_PNSt15iterator_traitsISZ_E10value_typeET2_T3_PNS10_IS15_E10value_typeET4_jRbjT5_S1B_jjP12ihipStream_tbEUljE_EEESW_SX_SY_S15_S19_S1B_T6_T7_T9_mT8_S1D_bDpT10_ENKUlT_T0_E_clISt17integral_constantIbLb1EES1Q_EEDaS1L_S1M_EUlS1L_E_NS1_11comp_targetILNS1_3genE2ELNS1_11target_archE906ELNS1_3gpuE6ELNS1_3repE0EEENS1_30default_config_static_selectorELNS0_4arch9wavefront6targetE1EEEvSZ_
		.amdhsa_group_segment_fixed_size 0
		.amdhsa_private_segment_fixed_size 0
		.amdhsa_kernarg_size 152
		.amdhsa_user_sgpr_count 6
		.amdhsa_user_sgpr_private_segment_buffer 1
		.amdhsa_user_sgpr_dispatch_ptr 0
		.amdhsa_user_sgpr_queue_ptr 0
		.amdhsa_user_sgpr_kernarg_segment_ptr 1
		.amdhsa_user_sgpr_dispatch_id 0
		.amdhsa_user_sgpr_flat_scratch_init 0
		.amdhsa_user_sgpr_private_segment_size 0
		.amdhsa_uses_dynamic_stack 0
		.amdhsa_system_sgpr_private_segment_wavefront_offset 0
		.amdhsa_system_sgpr_workgroup_id_x 1
		.amdhsa_system_sgpr_workgroup_id_y 0
		.amdhsa_system_sgpr_workgroup_id_z 0
		.amdhsa_system_sgpr_workgroup_info 0
		.amdhsa_system_vgpr_workitem_id 0
		.amdhsa_next_free_vgpr 1
		.amdhsa_next_free_sgpr 0
		.amdhsa_reserve_vcc 0
		.amdhsa_reserve_flat_scratch 0
		.amdhsa_float_round_mode_32 0
		.amdhsa_float_round_mode_16_64 0
		.amdhsa_float_denorm_mode_32 3
		.amdhsa_float_denorm_mode_16_64 3
		.amdhsa_dx10_clamp 1
		.amdhsa_ieee_mode 1
		.amdhsa_fp16_overflow 0
		.amdhsa_exception_fp_ieee_invalid_op 0
		.amdhsa_exception_fp_denorm_src 0
		.amdhsa_exception_fp_ieee_div_zero 0
		.amdhsa_exception_fp_ieee_overflow 0
		.amdhsa_exception_fp_ieee_underflow 0
		.amdhsa_exception_fp_ieee_inexact 0
		.amdhsa_exception_int_div_zero 0
	.end_amdhsa_kernel
	.section	.text._ZN7rocprim17ROCPRIM_400000_NS6detail17trampoline_kernelINS0_13select_configILj256ELj13ELNS0_17block_load_methodE3ELS4_3ELS4_3ELNS0_20block_scan_algorithmE0ELj4294967295EEENS1_25partition_config_selectorILNS1_17partition_subalgoE3EjNS0_10empty_typeEbEEZZNS1_14partition_implILS8_3ELb0ES6_jNS0_17counting_iteratorIjlEEPS9_SE_NS0_5tupleIJPjSE_EEENSF_IJSE_SE_EEES9_SG_JZNS1_25segmented_radix_sort_implINS0_14default_configELb1EPK12hip_bfloat16PSL_PKlPlN2at6native12_GLOBAL__N_18offset_tEEE10hipError_tPvRmT1_PNSt15iterator_traitsISZ_E10value_typeET2_T3_PNS10_IS15_E10value_typeET4_jRbjT5_S1B_jjP12ihipStream_tbEUljE_EEESW_SX_SY_S15_S19_S1B_T6_T7_T9_mT8_S1D_bDpT10_ENKUlT_T0_E_clISt17integral_constantIbLb1EES1Q_EEDaS1L_S1M_EUlS1L_E_NS1_11comp_targetILNS1_3genE2ELNS1_11target_archE906ELNS1_3gpuE6ELNS1_3repE0EEENS1_30default_config_static_selectorELNS0_4arch9wavefront6targetE1EEEvSZ_,"axG",@progbits,_ZN7rocprim17ROCPRIM_400000_NS6detail17trampoline_kernelINS0_13select_configILj256ELj13ELNS0_17block_load_methodE3ELS4_3ELS4_3ELNS0_20block_scan_algorithmE0ELj4294967295EEENS1_25partition_config_selectorILNS1_17partition_subalgoE3EjNS0_10empty_typeEbEEZZNS1_14partition_implILS8_3ELb0ES6_jNS0_17counting_iteratorIjlEEPS9_SE_NS0_5tupleIJPjSE_EEENSF_IJSE_SE_EEES9_SG_JZNS1_25segmented_radix_sort_implINS0_14default_configELb1EPK12hip_bfloat16PSL_PKlPlN2at6native12_GLOBAL__N_18offset_tEEE10hipError_tPvRmT1_PNSt15iterator_traitsISZ_E10value_typeET2_T3_PNS10_IS15_E10value_typeET4_jRbjT5_S1B_jjP12ihipStream_tbEUljE_EEESW_SX_SY_S15_S19_S1B_T6_T7_T9_mT8_S1D_bDpT10_ENKUlT_T0_E_clISt17integral_constantIbLb1EES1Q_EEDaS1L_S1M_EUlS1L_E_NS1_11comp_targetILNS1_3genE2ELNS1_11target_archE906ELNS1_3gpuE6ELNS1_3repE0EEENS1_30default_config_static_selectorELNS0_4arch9wavefront6targetE1EEEvSZ_,comdat
.Lfunc_end1926:
	.size	_ZN7rocprim17ROCPRIM_400000_NS6detail17trampoline_kernelINS0_13select_configILj256ELj13ELNS0_17block_load_methodE3ELS4_3ELS4_3ELNS0_20block_scan_algorithmE0ELj4294967295EEENS1_25partition_config_selectorILNS1_17partition_subalgoE3EjNS0_10empty_typeEbEEZZNS1_14partition_implILS8_3ELb0ES6_jNS0_17counting_iteratorIjlEEPS9_SE_NS0_5tupleIJPjSE_EEENSF_IJSE_SE_EEES9_SG_JZNS1_25segmented_radix_sort_implINS0_14default_configELb1EPK12hip_bfloat16PSL_PKlPlN2at6native12_GLOBAL__N_18offset_tEEE10hipError_tPvRmT1_PNSt15iterator_traitsISZ_E10value_typeET2_T3_PNS10_IS15_E10value_typeET4_jRbjT5_S1B_jjP12ihipStream_tbEUljE_EEESW_SX_SY_S15_S19_S1B_T6_T7_T9_mT8_S1D_bDpT10_ENKUlT_T0_E_clISt17integral_constantIbLb1EES1Q_EEDaS1L_S1M_EUlS1L_E_NS1_11comp_targetILNS1_3genE2ELNS1_11target_archE906ELNS1_3gpuE6ELNS1_3repE0EEENS1_30default_config_static_selectorELNS0_4arch9wavefront6targetE1EEEvSZ_, .Lfunc_end1926-_ZN7rocprim17ROCPRIM_400000_NS6detail17trampoline_kernelINS0_13select_configILj256ELj13ELNS0_17block_load_methodE3ELS4_3ELS4_3ELNS0_20block_scan_algorithmE0ELj4294967295EEENS1_25partition_config_selectorILNS1_17partition_subalgoE3EjNS0_10empty_typeEbEEZZNS1_14partition_implILS8_3ELb0ES6_jNS0_17counting_iteratorIjlEEPS9_SE_NS0_5tupleIJPjSE_EEENSF_IJSE_SE_EEES9_SG_JZNS1_25segmented_radix_sort_implINS0_14default_configELb1EPK12hip_bfloat16PSL_PKlPlN2at6native12_GLOBAL__N_18offset_tEEE10hipError_tPvRmT1_PNSt15iterator_traitsISZ_E10value_typeET2_T3_PNS10_IS15_E10value_typeET4_jRbjT5_S1B_jjP12ihipStream_tbEUljE_EEESW_SX_SY_S15_S19_S1B_T6_T7_T9_mT8_S1D_bDpT10_ENKUlT_T0_E_clISt17integral_constantIbLb1EES1Q_EEDaS1L_S1M_EUlS1L_E_NS1_11comp_targetILNS1_3genE2ELNS1_11target_archE906ELNS1_3gpuE6ELNS1_3repE0EEENS1_30default_config_static_selectorELNS0_4arch9wavefront6targetE1EEEvSZ_
                                        ; -- End function
	.set _ZN7rocprim17ROCPRIM_400000_NS6detail17trampoline_kernelINS0_13select_configILj256ELj13ELNS0_17block_load_methodE3ELS4_3ELS4_3ELNS0_20block_scan_algorithmE0ELj4294967295EEENS1_25partition_config_selectorILNS1_17partition_subalgoE3EjNS0_10empty_typeEbEEZZNS1_14partition_implILS8_3ELb0ES6_jNS0_17counting_iteratorIjlEEPS9_SE_NS0_5tupleIJPjSE_EEENSF_IJSE_SE_EEES9_SG_JZNS1_25segmented_radix_sort_implINS0_14default_configELb1EPK12hip_bfloat16PSL_PKlPlN2at6native12_GLOBAL__N_18offset_tEEE10hipError_tPvRmT1_PNSt15iterator_traitsISZ_E10value_typeET2_T3_PNS10_IS15_E10value_typeET4_jRbjT5_S1B_jjP12ihipStream_tbEUljE_EEESW_SX_SY_S15_S19_S1B_T6_T7_T9_mT8_S1D_bDpT10_ENKUlT_T0_E_clISt17integral_constantIbLb1EES1Q_EEDaS1L_S1M_EUlS1L_E_NS1_11comp_targetILNS1_3genE2ELNS1_11target_archE906ELNS1_3gpuE6ELNS1_3repE0EEENS1_30default_config_static_selectorELNS0_4arch9wavefront6targetE1EEEvSZ_.num_vgpr, 0
	.set _ZN7rocprim17ROCPRIM_400000_NS6detail17trampoline_kernelINS0_13select_configILj256ELj13ELNS0_17block_load_methodE3ELS4_3ELS4_3ELNS0_20block_scan_algorithmE0ELj4294967295EEENS1_25partition_config_selectorILNS1_17partition_subalgoE3EjNS0_10empty_typeEbEEZZNS1_14partition_implILS8_3ELb0ES6_jNS0_17counting_iteratorIjlEEPS9_SE_NS0_5tupleIJPjSE_EEENSF_IJSE_SE_EEES9_SG_JZNS1_25segmented_radix_sort_implINS0_14default_configELb1EPK12hip_bfloat16PSL_PKlPlN2at6native12_GLOBAL__N_18offset_tEEE10hipError_tPvRmT1_PNSt15iterator_traitsISZ_E10value_typeET2_T3_PNS10_IS15_E10value_typeET4_jRbjT5_S1B_jjP12ihipStream_tbEUljE_EEESW_SX_SY_S15_S19_S1B_T6_T7_T9_mT8_S1D_bDpT10_ENKUlT_T0_E_clISt17integral_constantIbLb1EES1Q_EEDaS1L_S1M_EUlS1L_E_NS1_11comp_targetILNS1_3genE2ELNS1_11target_archE906ELNS1_3gpuE6ELNS1_3repE0EEENS1_30default_config_static_selectorELNS0_4arch9wavefront6targetE1EEEvSZ_.num_agpr, 0
	.set _ZN7rocprim17ROCPRIM_400000_NS6detail17trampoline_kernelINS0_13select_configILj256ELj13ELNS0_17block_load_methodE3ELS4_3ELS4_3ELNS0_20block_scan_algorithmE0ELj4294967295EEENS1_25partition_config_selectorILNS1_17partition_subalgoE3EjNS0_10empty_typeEbEEZZNS1_14partition_implILS8_3ELb0ES6_jNS0_17counting_iteratorIjlEEPS9_SE_NS0_5tupleIJPjSE_EEENSF_IJSE_SE_EEES9_SG_JZNS1_25segmented_radix_sort_implINS0_14default_configELb1EPK12hip_bfloat16PSL_PKlPlN2at6native12_GLOBAL__N_18offset_tEEE10hipError_tPvRmT1_PNSt15iterator_traitsISZ_E10value_typeET2_T3_PNS10_IS15_E10value_typeET4_jRbjT5_S1B_jjP12ihipStream_tbEUljE_EEESW_SX_SY_S15_S19_S1B_T6_T7_T9_mT8_S1D_bDpT10_ENKUlT_T0_E_clISt17integral_constantIbLb1EES1Q_EEDaS1L_S1M_EUlS1L_E_NS1_11comp_targetILNS1_3genE2ELNS1_11target_archE906ELNS1_3gpuE6ELNS1_3repE0EEENS1_30default_config_static_selectorELNS0_4arch9wavefront6targetE1EEEvSZ_.numbered_sgpr, 0
	.set _ZN7rocprim17ROCPRIM_400000_NS6detail17trampoline_kernelINS0_13select_configILj256ELj13ELNS0_17block_load_methodE3ELS4_3ELS4_3ELNS0_20block_scan_algorithmE0ELj4294967295EEENS1_25partition_config_selectorILNS1_17partition_subalgoE3EjNS0_10empty_typeEbEEZZNS1_14partition_implILS8_3ELb0ES6_jNS0_17counting_iteratorIjlEEPS9_SE_NS0_5tupleIJPjSE_EEENSF_IJSE_SE_EEES9_SG_JZNS1_25segmented_radix_sort_implINS0_14default_configELb1EPK12hip_bfloat16PSL_PKlPlN2at6native12_GLOBAL__N_18offset_tEEE10hipError_tPvRmT1_PNSt15iterator_traitsISZ_E10value_typeET2_T3_PNS10_IS15_E10value_typeET4_jRbjT5_S1B_jjP12ihipStream_tbEUljE_EEESW_SX_SY_S15_S19_S1B_T6_T7_T9_mT8_S1D_bDpT10_ENKUlT_T0_E_clISt17integral_constantIbLb1EES1Q_EEDaS1L_S1M_EUlS1L_E_NS1_11comp_targetILNS1_3genE2ELNS1_11target_archE906ELNS1_3gpuE6ELNS1_3repE0EEENS1_30default_config_static_selectorELNS0_4arch9wavefront6targetE1EEEvSZ_.num_named_barrier, 0
	.set _ZN7rocprim17ROCPRIM_400000_NS6detail17trampoline_kernelINS0_13select_configILj256ELj13ELNS0_17block_load_methodE3ELS4_3ELS4_3ELNS0_20block_scan_algorithmE0ELj4294967295EEENS1_25partition_config_selectorILNS1_17partition_subalgoE3EjNS0_10empty_typeEbEEZZNS1_14partition_implILS8_3ELb0ES6_jNS0_17counting_iteratorIjlEEPS9_SE_NS0_5tupleIJPjSE_EEENSF_IJSE_SE_EEES9_SG_JZNS1_25segmented_radix_sort_implINS0_14default_configELb1EPK12hip_bfloat16PSL_PKlPlN2at6native12_GLOBAL__N_18offset_tEEE10hipError_tPvRmT1_PNSt15iterator_traitsISZ_E10value_typeET2_T3_PNS10_IS15_E10value_typeET4_jRbjT5_S1B_jjP12ihipStream_tbEUljE_EEESW_SX_SY_S15_S19_S1B_T6_T7_T9_mT8_S1D_bDpT10_ENKUlT_T0_E_clISt17integral_constantIbLb1EES1Q_EEDaS1L_S1M_EUlS1L_E_NS1_11comp_targetILNS1_3genE2ELNS1_11target_archE906ELNS1_3gpuE6ELNS1_3repE0EEENS1_30default_config_static_selectorELNS0_4arch9wavefront6targetE1EEEvSZ_.private_seg_size, 0
	.set _ZN7rocprim17ROCPRIM_400000_NS6detail17trampoline_kernelINS0_13select_configILj256ELj13ELNS0_17block_load_methodE3ELS4_3ELS4_3ELNS0_20block_scan_algorithmE0ELj4294967295EEENS1_25partition_config_selectorILNS1_17partition_subalgoE3EjNS0_10empty_typeEbEEZZNS1_14partition_implILS8_3ELb0ES6_jNS0_17counting_iteratorIjlEEPS9_SE_NS0_5tupleIJPjSE_EEENSF_IJSE_SE_EEES9_SG_JZNS1_25segmented_radix_sort_implINS0_14default_configELb1EPK12hip_bfloat16PSL_PKlPlN2at6native12_GLOBAL__N_18offset_tEEE10hipError_tPvRmT1_PNSt15iterator_traitsISZ_E10value_typeET2_T3_PNS10_IS15_E10value_typeET4_jRbjT5_S1B_jjP12ihipStream_tbEUljE_EEESW_SX_SY_S15_S19_S1B_T6_T7_T9_mT8_S1D_bDpT10_ENKUlT_T0_E_clISt17integral_constantIbLb1EES1Q_EEDaS1L_S1M_EUlS1L_E_NS1_11comp_targetILNS1_3genE2ELNS1_11target_archE906ELNS1_3gpuE6ELNS1_3repE0EEENS1_30default_config_static_selectorELNS0_4arch9wavefront6targetE1EEEvSZ_.uses_vcc, 0
	.set _ZN7rocprim17ROCPRIM_400000_NS6detail17trampoline_kernelINS0_13select_configILj256ELj13ELNS0_17block_load_methodE3ELS4_3ELS4_3ELNS0_20block_scan_algorithmE0ELj4294967295EEENS1_25partition_config_selectorILNS1_17partition_subalgoE3EjNS0_10empty_typeEbEEZZNS1_14partition_implILS8_3ELb0ES6_jNS0_17counting_iteratorIjlEEPS9_SE_NS0_5tupleIJPjSE_EEENSF_IJSE_SE_EEES9_SG_JZNS1_25segmented_radix_sort_implINS0_14default_configELb1EPK12hip_bfloat16PSL_PKlPlN2at6native12_GLOBAL__N_18offset_tEEE10hipError_tPvRmT1_PNSt15iterator_traitsISZ_E10value_typeET2_T3_PNS10_IS15_E10value_typeET4_jRbjT5_S1B_jjP12ihipStream_tbEUljE_EEESW_SX_SY_S15_S19_S1B_T6_T7_T9_mT8_S1D_bDpT10_ENKUlT_T0_E_clISt17integral_constantIbLb1EES1Q_EEDaS1L_S1M_EUlS1L_E_NS1_11comp_targetILNS1_3genE2ELNS1_11target_archE906ELNS1_3gpuE6ELNS1_3repE0EEENS1_30default_config_static_selectorELNS0_4arch9wavefront6targetE1EEEvSZ_.uses_flat_scratch, 0
	.set _ZN7rocprim17ROCPRIM_400000_NS6detail17trampoline_kernelINS0_13select_configILj256ELj13ELNS0_17block_load_methodE3ELS4_3ELS4_3ELNS0_20block_scan_algorithmE0ELj4294967295EEENS1_25partition_config_selectorILNS1_17partition_subalgoE3EjNS0_10empty_typeEbEEZZNS1_14partition_implILS8_3ELb0ES6_jNS0_17counting_iteratorIjlEEPS9_SE_NS0_5tupleIJPjSE_EEENSF_IJSE_SE_EEES9_SG_JZNS1_25segmented_radix_sort_implINS0_14default_configELb1EPK12hip_bfloat16PSL_PKlPlN2at6native12_GLOBAL__N_18offset_tEEE10hipError_tPvRmT1_PNSt15iterator_traitsISZ_E10value_typeET2_T3_PNS10_IS15_E10value_typeET4_jRbjT5_S1B_jjP12ihipStream_tbEUljE_EEESW_SX_SY_S15_S19_S1B_T6_T7_T9_mT8_S1D_bDpT10_ENKUlT_T0_E_clISt17integral_constantIbLb1EES1Q_EEDaS1L_S1M_EUlS1L_E_NS1_11comp_targetILNS1_3genE2ELNS1_11target_archE906ELNS1_3gpuE6ELNS1_3repE0EEENS1_30default_config_static_selectorELNS0_4arch9wavefront6targetE1EEEvSZ_.has_dyn_sized_stack, 0
	.set _ZN7rocprim17ROCPRIM_400000_NS6detail17trampoline_kernelINS0_13select_configILj256ELj13ELNS0_17block_load_methodE3ELS4_3ELS4_3ELNS0_20block_scan_algorithmE0ELj4294967295EEENS1_25partition_config_selectorILNS1_17partition_subalgoE3EjNS0_10empty_typeEbEEZZNS1_14partition_implILS8_3ELb0ES6_jNS0_17counting_iteratorIjlEEPS9_SE_NS0_5tupleIJPjSE_EEENSF_IJSE_SE_EEES9_SG_JZNS1_25segmented_radix_sort_implINS0_14default_configELb1EPK12hip_bfloat16PSL_PKlPlN2at6native12_GLOBAL__N_18offset_tEEE10hipError_tPvRmT1_PNSt15iterator_traitsISZ_E10value_typeET2_T3_PNS10_IS15_E10value_typeET4_jRbjT5_S1B_jjP12ihipStream_tbEUljE_EEESW_SX_SY_S15_S19_S1B_T6_T7_T9_mT8_S1D_bDpT10_ENKUlT_T0_E_clISt17integral_constantIbLb1EES1Q_EEDaS1L_S1M_EUlS1L_E_NS1_11comp_targetILNS1_3genE2ELNS1_11target_archE906ELNS1_3gpuE6ELNS1_3repE0EEENS1_30default_config_static_selectorELNS0_4arch9wavefront6targetE1EEEvSZ_.has_recursion, 0
	.set _ZN7rocprim17ROCPRIM_400000_NS6detail17trampoline_kernelINS0_13select_configILj256ELj13ELNS0_17block_load_methodE3ELS4_3ELS4_3ELNS0_20block_scan_algorithmE0ELj4294967295EEENS1_25partition_config_selectorILNS1_17partition_subalgoE3EjNS0_10empty_typeEbEEZZNS1_14partition_implILS8_3ELb0ES6_jNS0_17counting_iteratorIjlEEPS9_SE_NS0_5tupleIJPjSE_EEENSF_IJSE_SE_EEES9_SG_JZNS1_25segmented_radix_sort_implINS0_14default_configELb1EPK12hip_bfloat16PSL_PKlPlN2at6native12_GLOBAL__N_18offset_tEEE10hipError_tPvRmT1_PNSt15iterator_traitsISZ_E10value_typeET2_T3_PNS10_IS15_E10value_typeET4_jRbjT5_S1B_jjP12ihipStream_tbEUljE_EEESW_SX_SY_S15_S19_S1B_T6_T7_T9_mT8_S1D_bDpT10_ENKUlT_T0_E_clISt17integral_constantIbLb1EES1Q_EEDaS1L_S1M_EUlS1L_E_NS1_11comp_targetILNS1_3genE2ELNS1_11target_archE906ELNS1_3gpuE6ELNS1_3repE0EEENS1_30default_config_static_selectorELNS0_4arch9wavefront6targetE1EEEvSZ_.has_indirect_call, 0
	.section	.AMDGPU.csdata,"",@progbits
; Kernel info:
; codeLenInByte = 4
; TotalNumSgprs: 4
; NumVgprs: 0
; ScratchSize: 0
; MemoryBound: 0
; FloatMode: 240
; IeeeMode: 1
; LDSByteSize: 0 bytes/workgroup (compile time only)
; SGPRBlocks: 0
; VGPRBlocks: 0
; NumSGPRsForWavesPerEU: 4
; NumVGPRsForWavesPerEU: 1
; Occupancy: 10
; WaveLimiterHint : 0
; COMPUTE_PGM_RSRC2:SCRATCH_EN: 0
; COMPUTE_PGM_RSRC2:USER_SGPR: 6
; COMPUTE_PGM_RSRC2:TRAP_HANDLER: 0
; COMPUTE_PGM_RSRC2:TGID_X_EN: 1
; COMPUTE_PGM_RSRC2:TGID_Y_EN: 0
; COMPUTE_PGM_RSRC2:TGID_Z_EN: 0
; COMPUTE_PGM_RSRC2:TIDIG_COMP_CNT: 0
	.section	.text._ZN7rocprim17ROCPRIM_400000_NS6detail17trampoline_kernelINS0_13select_configILj256ELj13ELNS0_17block_load_methodE3ELS4_3ELS4_3ELNS0_20block_scan_algorithmE0ELj4294967295EEENS1_25partition_config_selectorILNS1_17partition_subalgoE3EjNS0_10empty_typeEbEEZZNS1_14partition_implILS8_3ELb0ES6_jNS0_17counting_iteratorIjlEEPS9_SE_NS0_5tupleIJPjSE_EEENSF_IJSE_SE_EEES9_SG_JZNS1_25segmented_radix_sort_implINS0_14default_configELb1EPK12hip_bfloat16PSL_PKlPlN2at6native12_GLOBAL__N_18offset_tEEE10hipError_tPvRmT1_PNSt15iterator_traitsISZ_E10value_typeET2_T3_PNS10_IS15_E10value_typeET4_jRbjT5_S1B_jjP12ihipStream_tbEUljE_EEESW_SX_SY_S15_S19_S1B_T6_T7_T9_mT8_S1D_bDpT10_ENKUlT_T0_E_clISt17integral_constantIbLb1EES1Q_EEDaS1L_S1M_EUlS1L_E_NS1_11comp_targetILNS1_3genE10ELNS1_11target_archE1200ELNS1_3gpuE4ELNS1_3repE0EEENS1_30default_config_static_selectorELNS0_4arch9wavefront6targetE1EEEvSZ_,"axG",@progbits,_ZN7rocprim17ROCPRIM_400000_NS6detail17trampoline_kernelINS0_13select_configILj256ELj13ELNS0_17block_load_methodE3ELS4_3ELS4_3ELNS0_20block_scan_algorithmE0ELj4294967295EEENS1_25partition_config_selectorILNS1_17partition_subalgoE3EjNS0_10empty_typeEbEEZZNS1_14partition_implILS8_3ELb0ES6_jNS0_17counting_iteratorIjlEEPS9_SE_NS0_5tupleIJPjSE_EEENSF_IJSE_SE_EEES9_SG_JZNS1_25segmented_radix_sort_implINS0_14default_configELb1EPK12hip_bfloat16PSL_PKlPlN2at6native12_GLOBAL__N_18offset_tEEE10hipError_tPvRmT1_PNSt15iterator_traitsISZ_E10value_typeET2_T3_PNS10_IS15_E10value_typeET4_jRbjT5_S1B_jjP12ihipStream_tbEUljE_EEESW_SX_SY_S15_S19_S1B_T6_T7_T9_mT8_S1D_bDpT10_ENKUlT_T0_E_clISt17integral_constantIbLb1EES1Q_EEDaS1L_S1M_EUlS1L_E_NS1_11comp_targetILNS1_3genE10ELNS1_11target_archE1200ELNS1_3gpuE4ELNS1_3repE0EEENS1_30default_config_static_selectorELNS0_4arch9wavefront6targetE1EEEvSZ_,comdat
	.globl	_ZN7rocprim17ROCPRIM_400000_NS6detail17trampoline_kernelINS0_13select_configILj256ELj13ELNS0_17block_load_methodE3ELS4_3ELS4_3ELNS0_20block_scan_algorithmE0ELj4294967295EEENS1_25partition_config_selectorILNS1_17partition_subalgoE3EjNS0_10empty_typeEbEEZZNS1_14partition_implILS8_3ELb0ES6_jNS0_17counting_iteratorIjlEEPS9_SE_NS0_5tupleIJPjSE_EEENSF_IJSE_SE_EEES9_SG_JZNS1_25segmented_radix_sort_implINS0_14default_configELb1EPK12hip_bfloat16PSL_PKlPlN2at6native12_GLOBAL__N_18offset_tEEE10hipError_tPvRmT1_PNSt15iterator_traitsISZ_E10value_typeET2_T3_PNS10_IS15_E10value_typeET4_jRbjT5_S1B_jjP12ihipStream_tbEUljE_EEESW_SX_SY_S15_S19_S1B_T6_T7_T9_mT8_S1D_bDpT10_ENKUlT_T0_E_clISt17integral_constantIbLb1EES1Q_EEDaS1L_S1M_EUlS1L_E_NS1_11comp_targetILNS1_3genE10ELNS1_11target_archE1200ELNS1_3gpuE4ELNS1_3repE0EEENS1_30default_config_static_selectorELNS0_4arch9wavefront6targetE1EEEvSZ_ ; -- Begin function _ZN7rocprim17ROCPRIM_400000_NS6detail17trampoline_kernelINS0_13select_configILj256ELj13ELNS0_17block_load_methodE3ELS4_3ELS4_3ELNS0_20block_scan_algorithmE0ELj4294967295EEENS1_25partition_config_selectorILNS1_17partition_subalgoE3EjNS0_10empty_typeEbEEZZNS1_14partition_implILS8_3ELb0ES6_jNS0_17counting_iteratorIjlEEPS9_SE_NS0_5tupleIJPjSE_EEENSF_IJSE_SE_EEES9_SG_JZNS1_25segmented_radix_sort_implINS0_14default_configELb1EPK12hip_bfloat16PSL_PKlPlN2at6native12_GLOBAL__N_18offset_tEEE10hipError_tPvRmT1_PNSt15iterator_traitsISZ_E10value_typeET2_T3_PNS10_IS15_E10value_typeET4_jRbjT5_S1B_jjP12ihipStream_tbEUljE_EEESW_SX_SY_S15_S19_S1B_T6_T7_T9_mT8_S1D_bDpT10_ENKUlT_T0_E_clISt17integral_constantIbLb1EES1Q_EEDaS1L_S1M_EUlS1L_E_NS1_11comp_targetILNS1_3genE10ELNS1_11target_archE1200ELNS1_3gpuE4ELNS1_3repE0EEENS1_30default_config_static_selectorELNS0_4arch9wavefront6targetE1EEEvSZ_
	.p2align	8
	.type	_ZN7rocprim17ROCPRIM_400000_NS6detail17trampoline_kernelINS0_13select_configILj256ELj13ELNS0_17block_load_methodE3ELS4_3ELS4_3ELNS0_20block_scan_algorithmE0ELj4294967295EEENS1_25partition_config_selectorILNS1_17partition_subalgoE3EjNS0_10empty_typeEbEEZZNS1_14partition_implILS8_3ELb0ES6_jNS0_17counting_iteratorIjlEEPS9_SE_NS0_5tupleIJPjSE_EEENSF_IJSE_SE_EEES9_SG_JZNS1_25segmented_radix_sort_implINS0_14default_configELb1EPK12hip_bfloat16PSL_PKlPlN2at6native12_GLOBAL__N_18offset_tEEE10hipError_tPvRmT1_PNSt15iterator_traitsISZ_E10value_typeET2_T3_PNS10_IS15_E10value_typeET4_jRbjT5_S1B_jjP12ihipStream_tbEUljE_EEESW_SX_SY_S15_S19_S1B_T6_T7_T9_mT8_S1D_bDpT10_ENKUlT_T0_E_clISt17integral_constantIbLb1EES1Q_EEDaS1L_S1M_EUlS1L_E_NS1_11comp_targetILNS1_3genE10ELNS1_11target_archE1200ELNS1_3gpuE4ELNS1_3repE0EEENS1_30default_config_static_selectorELNS0_4arch9wavefront6targetE1EEEvSZ_,@function
_ZN7rocprim17ROCPRIM_400000_NS6detail17trampoline_kernelINS0_13select_configILj256ELj13ELNS0_17block_load_methodE3ELS4_3ELS4_3ELNS0_20block_scan_algorithmE0ELj4294967295EEENS1_25partition_config_selectorILNS1_17partition_subalgoE3EjNS0_10empty_typeEbEEZZNS1_14partition_implILS8_3ELb0ES6_jNS0_17counting_iteratorIjlEEPS9_SE_NS0_5tupleIJPjSE_EEENSF_IJSE_SE_EEES9_SG_JZNS1_25segmented_radix_sort_implINS0_14default_configELb1EPK12hip_bfloat16PSL_PKlPlN2at6native12_GLOBAL__N_18offset_tEEE10hipError_tPvRmT1_PNSt15iterator_traitsISZ_E10value_typeET2_T3_PNS10_IS15_E10value_typeET4_jRbjT5_S1B_jjP12ihipStream_tbEUljE_EEESW_SX_SY_S15_S19_S1B_T6_T7_T9_mT8_S1D_bDpT10_ENKUlT_T0_E_clISt17integral_constantIbLb1EES1Q_EEDaS1L_S1M_EUlS1L_E_NS1_11comp_targetILNS1_3genE10ELNS1_11target_archE1200ELNS1_3gpuE4ELNS1_3repE0EEENS1_30default_config_static_selectorELNS0_4arch9wavefront6targetE1EEEvSZ_: ; @_ZN7rocprim17ROCPRIM_400000_NS6detail17trampoline_kernelINS0_13select_configILj256ELj13ELNS0_17block_load_methodE3ELS4_3ELS4_3ELNS0_20block_scan_algorithmE0ELj4294967295EEENS1_25partition_config_selectorILNS1_17partition_subalgoE3EjNS0_10empty_typeEbEEZZNS1_14partition_implILS8_3ELb0ES6_jNS0_17counting_iteratorIjlEEPS9_SE_NS0_5tupleIJPjSE_EEENSF_IJSE_SE_EEES9_SG_JZNS1_25segmented_radix_sort_implINS0_14default_configELb1EPK12hip_bfloat16PSL_PKlPlN2at6native12_GLOBAL__N_18offset_tEEE10hipError_tPvRmT1_PNSt15iterator_traitsISZ_E10value_typeET2_T3_PNS10_IS15_E10value_typeET4_jRbjT5_S1B_jjP12ihipStream_tbEUljE_EEESW_SX_SY_S15_S19_S1B_T6_T7_T9_mT8_S1D_bDpT10_ENKUlT_T0_E_clISt17integral_constantIbLb1EES1Q_EEDaS1L_S1M_EUlS1L_E_NS1_11comp_targetILNS1_3genE10ELNS1_11target_archE1200ELNS1_3gpuE4ELNS1_3repE0EEENS1_30default_config_static_selectorELNS0_4arch9wavefront6targetE1EEEvSZ_
; %bb.0:
	.section	.rodata,"a",@progbits
	.p2align	6, 0x0
	.amdhsa_kernel _ZN7rocprim17ROCPRIM_400000_NS6detail17trampoline_kernelINS0_13select_configILj256ELj13ELNS0_17block_load_methodE3ELS4_3ELS4_3ELNS0_20block_scan_algorithmE0ELj4294967295EEENS1_25partition_config_selectorILNS1_17partition_subalgoE3EjNS0_10empty_typeEbEEZZNS1_14partition_implILS8_3ELb0ES6_jNS0_17counting_iteratorIjlEEPS9_SE_NS0_5tupleIJPjSE_EEENSF_IJSE_SE_EEES9_SG_JZNS1_25segmented_radix_sort_implINS0_14default_configELb1EPK12hip_bfloat16PSL_PKlPlN2at6native12_GLOBAL__N_18offset_tEEE10hipError_tPvRmT1_PNSt15iterator_traitsISZ_E10value_typeET2_T3_PNS10_IS15_E10value_typeET4_jRbjT5_S1B_jjP12ihipStream_tbEUljE_EEESW_SX_SY_S15_S19_S1B_T6_T7_T9_mT8_S1D_bDpT10_ENKUlT_T0_E_clISt17integral_constantIbLb1EES1Q_EEDaS1L_S1M_EUlS1L_E_NS1_11comp_targetILNS1_3genE10ELNS1_11target_archE1200ELNS1_3gpuE4ELNS1_3repE0EEENS1_30default_config_static_selectorELNS0_4arch9wavefront6targetE1EEEvSZ_
		.amdhsa_group_segment_fixed_size 0
		.amdhsa_private_segment_fixed_size 0
		.amdhsa_kernarg_size 152
		.amdhsa_user_sgpr_count 6
		.amdhsa_user_sgpr_private_segment_buffer 1
		.amdhsa_user_sgpr_dispatch_ptr 0
		.amdhsa_user_sgpr_queue_ptr 0
		.amdhsa_user_sgpr_kernarg_segment_ptr 1
		.amdhsa_user_sgpr_dispatch_id 0
		.amdhsa_user_sgpr_flat_scratch_init 0
		.amdhsa_user_sgpr_private_segment_size 0
		.amdhsa_uses_dynamic_stack 0
		.amdhsa_system_sgpr_private_segment_wavefront_offset 0
		.amdhsa_system_sgpr_workgroup_id_x 1
		.amdhsa_system_sgpr_workgroup_id_y 0
		.amdhsa_system_sgpr_workgroup_id_z 0
		.amdhsa_system_sgpr_workgroup_info 0
		.amdhsa_system_vgpr_workitem_id 0
		.amdhsa_next_free_vgpr 1
		.amdhsa_next_free_sgpr 0
		.amdhsa_reserve_vcc 0
		.amdhsa_reserve_flat_scratch 0
		.amdhsa_float_round_mode_32 0
		.amdhsa_float_round_mode_16_64 0
		.amdhsa_float_denorm_mode_32 3
		.amdhsa_float_denorm_mode_16_64 3
		.amdhsa_dx10_clamp 1
		.amdhsa_ieee_mode 1
		.amdhsa_fp16_overflow 0
		.amdhsa_exception_fp_ieee_invalid_op 0
		.amdhsa_exception_fp_denorm_src 0
		.amdhsa_exception_fp_ieee_div_zero 0
		.amdhsa_exception_fp_ieee_overflow 0
		.amdhsa_exception_fp_ieee_underflow 0
		.amdhsa_exception_fp_ieee_inexact 0
		.amdhsa_exception_int_div_zero 0
	.end_amdhsa_kernel
	.section	.text._ZN7rocprim17ROCPRIM_400000_NS6detail17trampoline_kernelINS0_13select_configILj256ELj13ELNS0_17block_load_methodE3ELS4_3ELS4_3ELNS0_20block_scan_algorithmE0ELj4294967295EEENS1_25partition_config_selectorILNS1_17partition_subalgoE3EjNS0_10empty_typeEbEEZZNS1_14partition_implILS8_3ELb0ES6_jNS0_17counting_iteratorIjlEEPS9_SE_NS0_5tupleIJPjSE_EEENSF_IJSE_SE_EEES9_SG_JZNS1_25segmented_radix_sort_implINS0_14default_configELb1EPK12hip_bfloat16PSL_PKlPlN2at6native12_GLOBAL__N_18offset_tEEE10hipError_tPvRmT1_PNSt15iterator_traitsISZ_E10value_typeET2_T3_PNS10_IS15_E10value_typeET4_jRbjT5_S1B_jjP12ihipStream_tbEUljE_EEESW_SX_SY_S15_S19_S1B_T6_T7_T9_mT8_S1D_bDpT10_ENKUlT_T0_E_clISt17integral_constantIbLb1EES1Q_EEDaS1L_S1M_EUlS1L_E_NS1_11comp_targetILNS1_3genE10ELNS1_11target_archE1200ELNS1_3gpuE4ELNS1_3repE0EEENS1_30default_config_static_selectorELNS0_4arch9wavefront6targetE1EEEvSZ_,"axG",@progbits,_ZN7rocprim17ROCPRIM_400000_NS6detail17trampoline_kernelINS0_13select_configILj256ELj13ELNS0_17block_load_methodE3ELS4_3ELS4_3ELNS0_20block_scan_algorithmE0ELj4294967295EEENS1_25partition_config_selectorILNS1_17partition_subalgoE3EjNS0_10empty_typeEbEEZZNS1_14partition_implILS8_3ELb0ES6_jNS0_17counting_iteratorIjlEEPS9_SE_NS0_5tupleIJPjSE_EEENSF_IJSE_SE_EEES9_SG_JZNS1_25segmented_radix_sort_implINS0_14default_configELb1EPK12hip_bfloat16PSL_PKlPlN2at6native12_GLOBAL__N_18offset_tEEE10hipError_tPvRmT1_PNSt15iterator_traitsISZ_E10value_typeET2_T3_PNS10_IS15_E10value_typeET4_jRbjT5_S1B_jjP12ihipStream_tbEUljE_EEESW_SX_SY_S15_S19_S1B_T6_T7_T9_mT8_S1D_bDpT10_ENKUlT_T0_E_clISt17integral_constantIbLb1EES1Q_EEDaS1L_S1M_EUlS1L_E_NS1_11comp_targetILNS1_3genE10ELNS1_11target_archE1200ELNS1_3gpuE4ELNS1_3repE0EEENS1_30default_config_static_selectorELNS0_4arch9wavefront6targetE1EEEvSZ_,comdat
.Lfunc_end1927:
	.size	_ZN7rocprim17ROCPRIM_400000_NS6detail17trampoline_kernelINS0_13select_configILj256ELj13ELNS0_17block_load_methodE3ELS4_3ELS4_3ELNS0_20block_scan_algorithmE0ELj4294967295EEENS1_25partition_config_selectorILNS1_17partition_subalgoE3EjNS0_10empty_typeEbEEZZNS1_14partition_implILS8_3ELb0ES6_jNS0_17counting_iteratorIjlEEPS9_SE_NS0_5tupleIJPjSE_EEENSF_IJSE_SE_EEES9_SG_JZNS1_25segmented_radix_sort_implINS0_14default_configELb1EPK12hip_bfloat16PSL_PKlPlN2at6native12_GLOBAL__N_18offset_tEEE10hipError_tPvRmT1_PNSt15iterator_traitsISZ_E10value_typeET2_T3_PNS10_IS15_E10value_typeET4_jRbjT5_S1B_jjP12ihipStream_tbEUljE_EEESW_SX_SY_S15_S19_S1B_T6_T7_T9_mT8_S1D_bDpT10_ENKUlT_T0_E_clISt17integral_constantIbLb1EES1Q_EEDaS1L_S1M_EUlS1L_E_NS1_11comp_targetILNS1_3genE10ELNS1_11target_archE1200ELNS1_3gpuE4ELNS1_3repE0EEENS1_30default_config_static_selectorELNS0_4arch9wavefront6targetE1EEEvSZ_, .Lfunc_end1927-_ZN7rocprim17ROCPRIM_400000_NS6detail17trampoline_kernelINS0_13select_configILj256ELj13ELNS0_17block_load_methodE3ELS4_3ELS4_3ELNS0_20block_scan_algorithmE0ELj4294967295EEENS1_25partition_config_selectorILNS1_17partition_subalgoE3EjNS0_10empty_typeEbEEZZNS1_14partition_implILS8_3ELb0ES6_jNS0_17counting_iteratorIjlEEPS9_SE_NS0_5tupleIJPjSE_EEENSF_IJSE_SE_EEES9_SG_JZNS1_25segmented_radix_sort_implINS0_14default_configELb1EPK12hip_bfloat16PSL_PKlPlN2at6native12_GLOBAL__N_18offset_tEEE10hipError_tPvRmT1_PNSt15iterator_traitsISZ_E10value_typeET2_T3_PNS10_IS15_E10value_typeET4_jRbjT5_S1B_jjP12ihipStream_tbEUljE_EEESW_SX_SY_S15_S19_S1B_T6_T7_T9_mT8_S1D_bDpT10_ENKUlT_T0_E_clISt17integral_constantIbLb1EES1Q_EEDaS1L_S1M_EUlS1L_E_NS1_11comp_targetILNS1_3genE10ELNS1_11target_archE1200ELNS1_3gpuE4ELNS1_3repE0EEENS1_30default_config_static_selectorELNS0_4arch9wavefront6targetE1EEEvSZ_
                                        ; -- End function
	.set _ZN7rocprim17ROCPRIM_400000_NS6detail17trampoline_kernelINS0_13select_configILj256ELj13ELNS0_17block_load_methodE3ELS4_3ELS4_3ELNS0_20block_scan_algorithmE0ELj4294967295EEENS1_25partition_config_selectorILNS1_17partition_subalgoE3EjNS0_10empty_typeEbEEZZNS1_14partition_implILS8_3ELb0ES6_jNS0_17counting_iteratorIjlEEPS9_SE_NS0_5tupleIJPjSE_EEENSF_IJSE_SE_EEES9_SG_JZNS1_25segmented_radix_sort_implINS0_14default_configELb1EPK12hip_bfloat16PSL_PKlPlN2at6native12_GLOBAL__N_18offset_tEEE10hipError_tPvRmT1_PNSt15iterator_traitsISZ_E10value_typeET2_T3_PNS10_IS15_E10value_typeET4_jRbjT5_S1B_jjP12ihipStream_tbEUljE_EEESW_SX_SY_S15_S19_S1B_T6_T7_T9_mT8_S1D_bDpT10_ENKUlT_T0_E_clISt17integral_constantIbLb1EES1Q_EEDaS1L_S1M_EUlS1L_E_NS1_11comp_targetILNS1_3genE10ELNS1_11target_archE1200ELNS1_3gpuE4ELNS1_3repE0EEENS1_30default_config_static_selectorELNS0_4arch9wavefront6targetE1EEEvSZ_.num_vgpr, 0
	.set _ZN7rocprim17ROCPRIM_400000_NS6detail17trampoline_kernelINS0_13select_configILj256ELj13ELNS0_17block_load_methodE3ELS4_3ELS4_3ELNS0_20block_scan_algorithmE0ELj4294967295EEENS1_25partition_config_selectorILNS1_17partition_subalgoE3EjNS0_10empty_typeEbEEZZNS1_14partition_implILS8_3ELb0ES6_jNS0_17counting_iteratorIjlEEPS9_SE_NS0_5tupleIJPjSE_EEENSF_IJSE_SE_EEES9_SG_JZNS1_25segmented_radix_sort_implINS0_14default_configELb1EPK12hip_bfloat16PSL_PKlPlN2at6native12_GLOBAL__N_18offset_tEEE10hipError_tPvRmT1_PNSt15iterator_traitsISZ_E10value_typeET2_T3_PNS10_IS15_E10value_typeET4_jRbjT5_S1B_jjP12ihipStream_tbEUljE_EEESW_SX_SY_S15_S19_S1B_T6_T7_T9_mT8_S1D_bDpT10_ENKUlT_T0_E_clISt17integral_constantIbLb1EES1Q_EEDaS1L_S1M_EUlS1L_E_NS1_11comp_targetILNS1_3genE10ELNS1_11target_archE1200ELNS1_3gpuE4ELNS1_3repE0EEENS1_30default_config_static_selectorELNS0_4arch9wavefront6targetE1EEEvSZ_.num_agpr, 0
	.set _ZN7rocprim17ROCPRIM_400000_NS6detail17trampoline_kernelINS0_13select_configILj256ELj13ELNS0_17block_load_methodE3ELS4_3ELS4_3ELNS0_20block_scan_algorithmE0ELj4294967295EEENS1_25partition_config_selectorILNS1_17partition_subalgoE3EjNS0_10empty_typeEbEEZZNS1_14partition_implILS8_3ELb0ES6_jNS0_17counting_iteratorIjlEEPS9_SE_NS0_5tupleIJPjSE_EEENSF_IJSE_SE_EEES9_SG_JZNS1_25segmented_radix_sort_implINS0_14default_configELb1EPK12hip_bfloat16PSL_PKlPlN2at6native12_GLOBAL__N_18offset_tEEE10hipError_tPvRmT1_PNSt15iterator_traitsISZ_E10value_typeET2_T3_PNS10_IS15_E10value_typeET4_jRbjT5_S1B_jjP12ihipStream_tbEUljE_EEESW_SX_SY_S15_S19_S1B_T6_T7_T9_mT8_S1D_bDpT10_ENKUlT_T0_E_clISt17integral_constantIbLb1EES1Q_EEDaS1L_S1M_EUlS1L_E_NS1_11comp_targetILNS1_3genE10ELNS1_11target_archE1200ELNS1_3gpuE4ELNS1_3repE0EEENS1_30default_config_static_selectorELNS0_4arch9wavefront6targetE1EEEvSZ_.numbered_sgpr, 0
	.set _ZN7rocprim17ROCPRIM_400000_NS6detail17trampoline_kernelINS0_13select_configILj256ELj13ELNS0_17block_load_methodE3ELS4_3ELS4_3ELNS0_20block_scan_algorithmE0ELj4294967295EEENS1_25partition_config_selectorILNS1_17partition_subalgoE3EjNS0_10empty_typeEbEEZZNS1_14partition_implILS8_3ELb0ES6_jNS0_17counting_iteratorIjlEEPS9_SE_NS0_5tupleIJPjSE_EEENSF_IJSE_SE_EEES9_SG_JZNS1_25segmented_radix_sort_implINS0_14default_configELb1EPK12hip_bfloat16PSL_PKlPlN2at6native12_GLOBAL__N_18offset_tEEE10hipError_tPvRmT1_PNSt15iterator_traitsISZ_E10value_typeET2_T3_PNS10_IS15_E10value_typeET4_jRbjT5_S1B_jjP12ihipStream_tbEUljE_EEESW_SX_SY_S15_S19_S1B_T6_T7_T9_mT8_S1D_bDpT10_ENKUlT_T0_E_clISt17integral_constantIbLb1EES1Q_EEDaS1L_S1M_EUlS1L_E_NS1_11comp_targetILNS1_3genE10ELNS1_11target_archE1200ELNS1_3gpuE4ELNS1_3repE0EEENS1_30default_config_static_selectorELNS0_4arch9wavefront6targetE1EEEvSZ_.num_named_barrier, 0
	.set _ZN7rocprim17ROCPRIM_400000_NS6detail17trampoline_kernelINS0_13select_configILj256ELj13ELNS0_17block_load_methodE3ELS4_3ELS4_3ELNS0_20block_scan_algorithmE0ELj4294967295EEENS1_25partition_config_selectorILNS1_17partition_subalgoE3EjNS0_10empty_typeEbEEZZNS1_14partition_implILS8_3ELb0ES6_jNS0_17counting_iteratorIjlEEPS9_SE_NS0_5tupleIJPjSE_EEENSF_IJSE_SE_EEES9_SG_JZNS1_25segmented_radix_sort_implINS0_14default_configELb1EPK12hip_bfloat16PSL_PKlPlN2at6native12_GLOBAL__N_18offset_tEEE10hipError_tPvRmT1_PNSt15iterator_traitsISZ_E10value_typeET2_T3_PNS10_IS15_E10value_typeET4_jRbjT5_S1B_jjP12ihipStream_tbEUljE_EEESW_SX_SY_S15_S19_S1B_T6_T7_T9_mT8_S1D_bDpT10_ENKUlT_T0_E_clISt17integral_constantIbLb1EES1Q_EEDaS1L_S1M_EUlS1L_E_NS1_11comp_targetILNS1_3genE10ELNS1_11target_archE1200ELNS1_3gpuE4ELNS1_3repE0EEENS1_30default_config_static_selectorELNS0_4arch9wavefront6targetE1EEEvSZ_.private_seg_size, 0
	.set _ZN7rocprim17ROCPRIM_400000_NS6detail17trampoline_kernelINS0_13select_configILj256ELj13ELNS0_17block_load_methodE3ELS4_3ELS4_3ELNS0_20block_scan_algorithmE0ELj4294967295EEENS1_25partition_config_selectorILNS1_17partition_subalgoE3EjNS0_10empty_typeEbEEZZNS1_14partition_implILS8_3ELb0ES6_jNS0_17counting_iteratorIjlEEPS9_SE_NS0_5tupleIJPjSE_EEENSF_IJSE_SE_EEES9_SG_JZNS1_25segmented_radix_sort_implINS0_14default_configELb1EPK12hip_bfloat16PSL_PKlPlN2at6native12_GLOBAL__N_18offset_tEEE10hipError_tPvRmT1_PNSt15iterator_traitsISZ_E10value_typeET2_T3_PNS10_IS15_E10value_typeET4_jRbjT5_S1B_jjP12ihipStream_tbEUljE_EEESW_SX_SY_S15_S19_S1B_T6_T7_T9_mT8_S1D_bDpT10_ENKUlT_T0_E_clISt17integral_constantIbLb1EES1Q_EEDaS1L_S1M_EUlS1L_E_NS1_11comp_targetILNS1_3genE10ELNS1_11target_archE1200ELNS1_3gpuE4ELNS1_3repE0EEENS1_30default_config_static_selectorELNS0_4arch9wavefront6targetE1EEEvSZ_.uses_vcc, 0
	.set _ZN7rocprim17ROCPRIM_400000_NS6detail17trampoline_kernelINS0_13select_configILj256ELj13ELNS0_17block_load_methodE3ELS4_3ELS4_3ELNS0_20block_scan_algorithmE0ELj4294967295EEENS1_25partition_config_selectorILNS1_17partition_subalgoE3EjNS0_10empty_typeEbEEZZNS1_14partition_implILS8_3ELb0ES6_jNS0_17counting_iteratorIjlEEPS9_SE_NS0_5tupleIJPjSE_EEENSF_IJSE_SE_EEES9_SG_JZNS1_25segmented_radix_sort_implINS0_14default_configELb1EPK12hip_bfloat16PSL_PKlPlN2at6native12_GLOBAL__N_18offset_tEEE10hipError_tPvRmT1_PNSt15iterator_traitsISZ_E10value_typeET2_T3_PNS10_IS15_E10value_typeET4_jRbjT5_S1B_jjP12ihipStream_tbEUljE_EEESW_SX_SY_S15_S19_S1B_T6_T7_T9_mT8_S1D_bDpT10_ENKUlT_T0_E_clISt17integral_constantIbLb1EES1Q_EEDaS1L_S1M_EUlS1L_E_NS1_11comp_targetILNS1_3genE10ELNS1_11target_archE1200ELNS1_3gpuE4ELNS1_3repE0EEENS1_30default_config_static_selectorELNS0_4arch9wavefront6targetE1EEEvSZ_.uses_flat_scratch, 0
	.set _ZN7rocprim17ROCPRIM_400000_NS6detail17trampoline_kernelINS0_13select_configILj256ELj13ELNS0_17block_load_methodE3ELS4_3ELS4_3ELNS0_20block_scan_algorithmE0ELj4294967295EEENS1_25partition_config_selectorILNS1_17partition_subalgoE3EjNS0_10empty_typeEbEEZZNS1_14partition_implILS8_3ELb0ES6_jNS0_17counting_iteratorIjlEEPS9_SE_NS0_5tupleIJPjSE_EEENSF_IJSE_SE_EEES9_SG_JZNS1_25segmented_radix_sort_implINS0_14default_configELb1EPK12hip_bfloat16PSL_PKlPlN2at6native12_GLOBAL__N_18offset_tEEE10hipError_tPvRmT1_PNSt15iterator_traitsISZ_E10value_typeET2_T3_PNS10_IS15_E10value_typeET4_jRbjT5_S1B_jjP12ihipStream_tbEUljE_EEESW_SX_SY_S15_S19_S1B_T6_T7_T9_mT8_S1D_bDpT10_ENKUlT_T0_E_clISt17integral_constantIbLb1EES1Q_EEDaS1L_S1M_EUlS1L_E_NS1_11comp_targetILNS1_3genE10ELNS1_11target_archE1200ELNS1_3gpuE4ELNS1_3repE0EEENS1_30default_config_static_selectorELNS0_4arch9wavefront6targetE1EEEvSZ_.has_dyn_sized_stack, 0
	.set _ZN7rocprim17ROCPRIM_400000_NS6detail17trampoline_kernelINS0_13select_configILj256ELj13ELNS0_17block_load_methodE3ELS4_3ELS4_3ELNS0_20block_scan_algorithmE0ELj4294967295EEENS1_25partition_config_selectorILNS1_17partition_subalgoE3EjNS0_10empty_typeEbEEZZNS1_14partition_implILS8_3ELb0ES6_jNS0_17counting_iteratorIjlEEPS9_SE_NS0_5tupleIJPjSE_EEENSF_IJSE_SE_EEES9_SG_JZNS1_25segmented_radix_sort_implINS0_14default_configELb1EPK12hip_bfloat16PSL_PKlPlN2at6native12_GLOBAL__N_18offset_tEEE10hipError_tPvRmT1_PNSt15iterator_traitsISZ_E10value_typeET2_T3_PNS10_IS15_E10value_typeET4_jRbjT5_S1B_jjP12ihipStream_tbEUljE_EEESW_SX_SY_S15_S19_S1B_T6_T7_T9_mT8_S1D_bDpT10_ENKUlT_T0_E_clISt17integral_constantIbLb1EES1Q_EEDaS1L_S1M_EUlS1L_E_NS1_11comp_targetILNS1_3genE10ELNS1_11target_archE1200ELNS1_3gpuE4ELNS1_3repE0EEENS1_30default_config_static_selectorELNS0_4arch9wavefront6targetE1EEEvSZ_.has_recursion, 0
	.set _ZN7rocprim17ROCPRIM_400000_NS6detail17trampoline_kernelINS0_13select_configILj256ELj13ELNS0_17block_load_methodE3ELS4_3ELS4_3ELNS0_20block_scan_algorithmE0ELj4294967295EEENS1_25partition_config_selectorILNS1_17partition_subalgoE3EjNS0_10empty_typeEbEEZZNS1_14partition_implILS8_3ELb0ES6_jNS0_17counting_iteratorIjlEEPS9_SE_NS0_5tupleIJPjSE_EEENSF_IJSE_SE_EEES9_SG_JZNS1_25segmented_radix_sort_implINS0_14default_configELb1EPK12hip_bfloat16PSL_PKlPlN2at6native12_GLOBAL__N_18offset_tEEE10hipError_tPvRmT1_PNSt15iterator_traitsISZ_E10value_typeET2_T3_PNS10_IS15_E10value_typeET4_jRbjT5_S1B_jjP12ihipStream_tbEUljE_EEESW_SX_SY_S15_S19_S1B_T6_T7_T9_mT8_S1D_bDpT10_ENKUlT_T0_E_clISt17integral_constantIbLb1EES1Q_EEDaS1L_S1M_EUlS1L_E_NS1_11comp_targetILNS1_3genE10ELNS1_11target_archE1200ELNS1_3gpuE4ELNS1_3repE0EEENS1_30default_config_static_selectorELNS0_4arch9wavefront6targetE1EEEvSZ_.has_indirect_call, 0
	.section	.AMDGPU.csdata,"",@progbits
; Kernel info:
; codeLenInByte = 0
; TotalNumSgprs: 4
; NumVgprs: 0
; ScratchSize: 0
; MemoryBound: 0
; FloatMode: 240
; IeeeMode: 1
; LDSByteSize: 0 bytes/workgroup (compile time only)
; SGPRBlocks: 0
; VGPRBlocks: 0
; NumSGPRsForWavesPerEU: 4
; NumVGPRsForWavesPerEU: 1
; Occupancy: 10
; WaveLimiterHint : 0
; COMPUTE_PGM_RSRC2:SCRATCH_EN: 0
; COMPUTE_PGM_RSRC2:USER_SGPR: 6
; COMPUTE_PGM_RSRC2:TRAP_HANDLER: 0
; COMPUTE_PGM_RSRC2:TGID_X_EN: 1
; COMPUTE_PGM_RSRC2:TGID_Y_EN: 0
; COMPUTE_PGM_RSRC2:TGID_Z_EN: 0
; COMPUTE_PGM_RSRC2:TIDIG_COMP_CNT: 0
	.section	.text._ZN7rocprim17ROCPRIM_400000_NS6detail17trampoline_kernelINS0_13select_configILj256ELj13ELNS0_17block_load_methodE3ELS4_3ELS4_3ELNS0_20block_scan_algorithmE0ELj4294967295EEENS1_25partition_config_selectorILNS1_17partition_subalgoE3EjNS0_10empty_typeEbEEZZNS1_14partition_implILS8_3ELb0ES6_jNS0_17counting_iteratorIjlEEPS9_SE_NS0_5tupleIJPjSE_EEENSF_IJSE_SE_EEES9_SG_JZNS1_25segmented_radix_sort_implINS0_14default_configELb1EPK12hip_bfloat16PSL_PKlPlN2at6native12_GLOBAL__N_18offset_tEEE10hipError_tPvRmT1_PNSt15iterator_traitsISZ_E10value_typeET2_T3_PNS10_IS15_E10value_typeET4_jRbjT5_S1B_jjP12ihipStream_tbEUljE_EEESW_SX_SY_S15_S19_S1B_T6_T7_T9_mT8_S1D_bDpT10_ENKUlT_T0_E_clISt17integral_constantIbLb1EES1Q_EEDaS1L_S1M_EUlS1L_E_NS1_11comp_targetILNS1_3genE9ELNS1_11target_archE1100ELNS1_3gpuE3ELNS1_3repE0EEENS1_30default_config_static_selectorELNS0_4arch9wavefront6targetE1EEEvSZ_,"axG",@progbits,_ZN7rocprim17ROCPRIM_400000_NS6detail17trampoline_kernelINS0_13select_configILj256ELj13ELNS0_17block_load_methodE3ELS4_3ELS4_3ELNS0_20block_scan_algorithmE0ELj4294967295EEENS1_25partition_config_selectorILNS1_17partition_subalgoE3EjNS0_10empty_typeEbEEZZNS1_14partition_implILS8_3ELb0ES6_jNS0_17counting_iteratorIjlEEPS9_SE_NS0_5tupleIJPjSE_EEENSF_IJSE_SE_EEES9_SG_JZNS1_25segmented_radix_sort_implINS0_14default_configELb1EPK12hip_bfloat16PSL_PKlPlN2at6native12_GLOBAL__N_18offset_tEEE10hipError_tPvRmT1_PNSt15iterator_traitsISZ_E10value_typeET2_T3_PNS10_IS15_E10value_typeET4_jRbjT5_S1B_jjP12ihipStream_tbEUljE_EEESW_SX_SY_S15_S19_S1B_T6_T7_T9_mT8_S1D_bDpT10_ENKUlT_T0_E_clISt17integral_constantIbLb1EES1Q_EEDaS1L_S1M_EUlS1L_E_NS1_11comp_targetILNS1_3genE9ELNS1_11target_archE1100ELNS1_3gpuE3ELNS1_3repE0EEENS1_30default_config_static_selectorELNS0_4arch9wavefront6targetE1EEEvSZ_,comdat
	.globl	_ZN7rocprim17ROCPRIM_400000_NS6detail17trampoline_kernelINS0_13select_configILj256ELj13ELNS0_17block_load_methodE3ELS4_3ELS4_3ELNS0_20block_scan_algorithmE0ELj4294967295EEENS1_25partition_config_selectorILNS1_17partition_subalgoE3EjNS0_10empty_typeEbEEZZNS1_14partition_implILS8_3ELb0ES6_jNS0_17counting_iteratorIjlEEPS9_SE_NS0_5tupleIJPjSE_EEENSF_IJSE_SE_EEES9_SG_JZNS1_25segmented_radix_sort_implINS0_14default_configELb1EPK12hip_bfloat16PSL_PKlPlN2at6native12_GLOBAL__N_18offset_tEEE10hipError_tPvRmT1_PNSt15iterator_traitsISZ_E10value_typeET2_T3_PNS10_IS15_E10value_typeET4_jRbjT5_S1B_jjP12ihipStream_tbEUljE_EEESW_SX_SY_S15_S19_S1B_T6_T7_T9_mT8_S1D_bDpT10_ENKUlT_T0_E_clISt17integral_constantIbLb1EES1Q_EEDaS1L_S1M_EUlS1L_E_NS1_11comp_targetILNS1_3genE9ELNS1_11target_archE1100ELNS1_3gpuE3ELNS1_3repE0EEENS1_30default_config_static_selectorELNS0_4arch9wavefront6targetE1EEEvSZ_ ; -- Begin function _ZN7rocprim17ROCPRIM_400000_NS6detail17trampoline_kernelINS0_13select_configILj256ELj13ELNS0_17block_load_methodE3ELS4_3ELS4_3ELNS0_20block_scan_algorithmE0ELj4294967295EEENS1_25partition_config_selectorILNS1_17partition_subalgoE3EjNS0_10empty_typeEbEEZZNS1_14partition_implILS8_3ELb0ES6_jNS0_17counting_iteratorIjlEEPS9_SE_NS0_5tupleIJPjSE_EEENSF_IJSE_SE_EEES9_SG_JZNS1_25segmented_radix_sort_implINS0_14default_configELb1EPK12hip_bfloat16PSL_PKlPlN2at6native12_GLOBAL__N_18offset_tEEE10hipError_tPvRmT1_PNSt15iterator_traitsISZ_E10value_typeET2_T3_PNS10_IS15_E10value_typeET4_jRbjT5_S1B_jjP12ihipStream_tbEUljE_EEESW_SX_SY_S15_S19_S1B_T6_T7_T9_mT8_S1D_bDpT10_ENKUlT_T0_E_clISt17integral_constantIbLb1EES1Q_EEDaS1L_S1M_EUlS1L_E_NS1_11comp_targetILNS1_3genE9ELNS1_11target_archE1100ELNS1_3gpuE3ELNS1_3repE0EEENS1_30default_config_static_selectorELNS0_4arch9wavefront6targetE1EEEvSZ_
	.p2align	8
	.type	_ZN7rocprim17ROCPRIM_400000_NS6detail17trampoline_kernelINS0_13select_configILj256ELj13ELNS0_17block_load_methodE3ELS4_3ELS4_3ELNS0_20block_scan_algorithmE0ELj4294967295EEENS1_25partition_config_selectorILNS1_17partition_subalgoE3EjNS0_10empty_typeEbEEZZNS1_14partition_implILS8_3ELb0ES6_jNS0_17counting_iteratorIjlEEPS9_SE_NS0_5tupleIJPjSE_EEENSF_IJSE_SE_EEES9_SG_JZNS1_25segmented_radix_sort_implINS0_14default_configELb1EPK12hip_bfloat16PSL_PKlPlN2at6native12_GLOBAL__N_18offset_tEEE10hipError_tPvRmT1_PNSt15iterator_traitsISZ_E10value_typeET2_T3_PNS10_IS15_E10value_typeET4_jRbjT5_S1B_jjP12ihipStream_tbEUljE_EEESW_SX_SY_S15_S19_S1B_T6_T7_T9_mT8_S1D_bDpT10_ENKUlT_T0_E_clISt17integral_constantIbLb1EES1Q_EEDaS1L_S1M_EUlS1L_E_NS1_11comp_targetILNS1_3genE9ELNS1_11target_archE1100ELNS1_3gpuE3ELNS1_3repE0EEENS1_30default_config_static_selectorELNS0_4arch9wavefront6targetE1EEEvSZ_,@function
_ZN7rocprim17ROCPRIM_400000_NS6detail17trampoline_kernelINS0_13select_configILj256ELj13ELNS0_17block_load_methodE3ELS4_3ELS4_3ELNS0_20block_scan_algorithmE0ELj4294967295EEENS1_25partition_config_selectorILNS1_17partition_subalgoE3EjNS0_10empty_typeEbEEZZNS1_14partition_implILS8_3ELb0ES6_jNS0_17counting_iteratorIjlEEPS9_SE_NS0_5tupleIJPjSE_EEENSF_IJSE_SE_EEES9_SG_JZNS1_25segmented_radix_sort_implINS0_14default_configELb1EPK12hip_bfloat16PSL_PKlPlN2at6native12_GLOBAL__N_18offset_tEEE10hipError_tPvRmT1_PNSt15iterator_traitsISZ_E10value_typeET2_T3_PNS10_IS15_E10value_typeET4_jRbjT5_S1B_jjP12ihipStream_tbEUljE_EEESW_SX_SY_S15_S19_S1B_T6_T7_T9_mT8_S1D_bDpT10_ENKUlT_T0_E_clISt17integral_constantIbLb1EES1Q_EEDaS1L_S1M_EUlS1L_E_NS1_11comp_targetILNS1_3genE9ELNS1_11target_archE1100ELNS1_3gpuE3ELNS1_3repE0EEENS1_30default_config_static_selectorELNS0_4arch9wavefront6targetE1EEEvSZ_: ; @_ZN7rocprim17ROCPRIM_400000_NS6detail17trampoline_kernelINS0_13select_configILj256ELj13ELNS0_17block_load_methodE3ELS4_3ELS4_3ELNS0_20block_scan_algorithmE0ELj4294967295EEENS1_25partition_config_selectorILNS1_17partition_subalgoE3EjNS0_10empty_typeEbEEZZNS1_14partition_implILS8_3ELb0ES6_jNS0_17counting_iteratorIjlEEPS9_SE_NS0_5tupleIJPjSE_EEENSF_IJSE_SE_EEES9_SG_JZNS1_25segmented_radix_sort_implINS0_14default_configELb1EPK12hip_bfloat16PSL_PKlPlN2at6native12_GLOBAL__N_18offset_tEEE10hipError_tPvRmT1_PNSt15iterator_traitsISZ_E10value_typeET2_T3_PNS10_IS15_E10value_typeET4_jRbjT5_S1B_jjP12ihipStream_tbEUljE_EEESW_SX_SY_S15_S19_S1B_T6_T7_T9_mT8_S1D_bDpT10_ENKUlT_T0_E_clISt17integral_constantIbLb1EES1Q_EEDaS1L_S1M_EUlS1L_E_NS1_11comp_targetILNS1_3genE9ELNS1_11target_archE1100ELNS1_3gpuE3ELNS1_3repE0EEENS1_30default_config_static_selectorELNS0_4arch9wavefront6targetE1EEEvSZ_
; %bb.0:
	.section	.rodata,"a",@progbits
	.p2align	6, 0x0
	.amdhsa_kernel _ZN7rocprim17ROCPRIM_400000_NS6detail17trampoline_kernelINS0_13select_configILj256ELj13ELNS0_17block_load_methodE3ELS4_3ELS4_3ELNS0_20block_scan_algorithmE0ELj4294967295EEENS1_25partition_config_selectorILNS1_17partition_subalgoE3EjNS0_10empty_typeEbEEZZNS1_14partition_implILS8_3ELb0ES6_jNS0_17counting_iteratorIjlEEPS9_SE_NS0_5tupleIJPjSE_EEENSF_IJSE_SE_EEES9_SG_JZNS1_25segmented_radix_sort_implINS0_14default_configELb1EPK12hip_bfloat16PSL_PKlPlN2at6native12_GLOBAL__N_18offset_tEEE10hipError_tPvRmT1_PNSt15iterator_traitsISZ_E10value_typeET2_T3_PNS10_IS15_E10value_typeET4_jRbjT5_S1B_jjP12ihipStream_tbEUljE_EEESW_SX_SY_S15_S19_S1B_T6_T7_T9_mT8_S1D_bDpT10_ENKUlT_T0_E_clISt17integral_constantIbLb1EES1Q_EEDaS1L_S1M_EUlS1L_E_NS1_11comp_targetILNS1_3genE9ELNS1_11target_archE1100ELNS1_3gpuE3ELNS1_3repE0EEENS1_30default_config_static_selectorELNS0_4arch9wavefront6targetE1EEEvSZ_
		.amdhsa_group_segment_fixed_size 0
		.amdhsa_private_segment_fixed_size 0
		.amdhsa_kernarg_size 152
		.amdhsa_user_sgpr_count 6
		.amdhsa_user_sgpr_private_segment_buffer 1
		.amdhsa_user_sgpr_dispatch_ptr 0
		.amdhsa_user_sgpr_queue_ptr 0
		.amdhsa_user_sgpr_kernarg_segment_ptr 1
		.amdhsa_user_sgpr_dispatch_id 0
		.amdhsa_user_sgpr_flat_scratch_init 0
		.amdhsa_user_sgpr_private_segment_size 0
		.amdhsa_uses_dynamic_stack 0
		.amdhsa_system_sgpr_private_segment_wavefront_offset 0
		.amdhsa_system_sgpr_workgroup_id_x 1
		.amdhsa_system_sgpr_workgroup_id_y 0
		.amdhsa_system_sgpr_workgroup_id_z 0
		.amdhsa_system_sgpr_workgroup_info 0
		.amdhsa_system_vgpr_workitem_id 0
		.amdhsa_next_free_vgpr 1
		.amdhsa_next_free_sgpr 0
		.amdhsa_reserve_vcc 0
		.amdhsa_reserve_flat_scratch 0
		.amdhsa_float_round_mode_32 0
		.amdhsa_float_round_mode_16_64 0
		.amdhsa_float_denorm_mode_32 3
		.amdhsa_float_denorm_mode_16_64 3
		.amdhsa_dx10_clamp 1
		.amdhsa_ieee_mode 1
		.amdhsa_fp16_overflow 0
		.amdhsa_exception_fp_ieee_invalid_op 0
		.amdhsa_exception_fp_denorm_src 0
		.amdhsa_exception_fp_ieee_div_zero 0
		.amdhsa_exception_fp_ieee_overflow 0
		.amdhsa_exception_fp_ieee_underflow 0
		.amdhsa_exception_fp_ieee_inexact 0
		.amdhsa_exception_int_div_zero 0
	.end_amdhsa_kernel
	.section	.text._ZN7rocprim17ROCPRIM_400000_NS6detail17trampoline_kernelINS0_13select_configILj256ELj13ELNS0_17block_load_methodE3ELS4_3ELS4_3ELNS0_20block_scan_algorithmE0ELj4294967295EEENS1_25partition_config_selectorILNS1_17partition_subalgoE3EjNS0_10empty_typeEbEEZZNS1_14partition_implILS8_3ELb0ES6_jNS0_17counting_iteratorIjlEEPS9_SE_NS0_5tupleIJPjSE_EEENSF_IJSE_SE_EEES9_SG_JZNS1_25segmented_radix_sort_implINS0_14default_configELb1EPK12hip_bfloat16PSL_PKlPlN2at6native12_GLOBAL__N_18offset_tEEE10hipError_tPvRmT1_PNSt15iterator_traitsISZ_E10value_typeET2_T3_PNS10_IS15_E10value_typeET4_jRbjT5_S1B_jjP12ihipStream_tbEUljE_EEESW_SX_SY_S15_S19_S1B_T6_T7_T9_mT8_S1D_bDpT10_ENKUlT_T0_E_clISt17integral_constantIbLb1EES1Q_EEDaS1L_S1M_EUlS1L_E_NS1_11comp_targetILNS1_3genE9ELNS1_11target_archE1100ELNS1_3gpuE3ELNS1_3repE0EEENS1_30default_config_static_selectorELNS0_4arch9wavefront6targetE1EEEvSZ_,"axG",@progbits,_ZN7rocprim17ROCPRIM_400000_NS6detail17trampoline_kernelINS0_13select_configILj256ELj13ELNS0_17block_load_methodE3ELS4_3ELS4_3ELNS0_20block_scan_algorithmE0ELj4294967295EEENS1_25partition_config_selectorILNS1_17partition_subalgoE3EjNS0_10empty_typeEbEEZZNS1_14partition_implILS8_3ELb0ES6_jNS0_17counting_iteratorIjlEEPS9_SE_NS0_5tupleIJPjSE_EEENSF_IJSE_SE_EEES9_SG_JZNS1_25segmented_radix_sort_implINS0_14default_configELb1EPK12hip_bfloat16PSL_PKlPlN2at6native12_GLOBAL__N_18offset_tEEE10hipError_tPvRmT1_PNSt15iterator_traitsISZ_E10value_typeET2_T3_PNS10_IS15_E10value_typeET4_jRbjT5_S1B_jjP12ihipStream_tbEUljE_EEESW_SX_SY_S15_S19_S1B_T6_T7_T9_mT8_S1D_bDpT10_ENKUlT_T0_E_clISt17integral_constantIbLb1EES1Q_EEDaS1L_S1M_EUlS1L_E_NS1_11comp_targetILNS1_3genE9ELNS1_11target_archE1100ELNS1_3gpuE3ELNS1_3repE0EEENS1_30default_config_static_selectorELNS0_4arch9wavefront6targetE1EEEvSZ_,comdat
.Lfunc_end1928:
	.size	_ZN7rocprim17ROCPRIM_400000_NS6detail17trampoline_kernelINS0_13select_configILj256ELj13ELNS0_17block_load_methodE3ELS4_3ELS4_3ELNS0_20block_scan_algorithmE0ELj4294967295EEENS1_25partition_config_selectorILNS1_17partition_subalgoE3EjNS0_10empty_typeEbEEZZNS1_14partition_implILS8_3ELb0ES6_jNS0_17counting_iteratorIjlEEPS9_SE_NS0_5tupleIJPjSE_EEENSF_IJSE_SE_EEES9_SG_JZNS1_25segmented_radix_sort_implINS0_14default_configELb1EPK12hip_bfloat16PSL_PKlPlN2at6native12_GLOBAL__N_18offset_tEEE10hipError_tPvRmT1_PNSt15iterator_traitsISZ_E10value_typeET2_T3_PNS10_IS15_E10value_typeET4_jRbjT5_S1B_jjP12ihipStream_tbEUljE_EEESW_SX_SY_S15_S19_S1B_T6_T7_T9_mT8_S1D_bDpT10_ENKUlT_T0_E_clISt17integral_constantIbLb1EES1Q_EEDaS1L_S1M_EUlS1L_E_NS1_11comp_targetILNS1_3genE9ELNS1_11target_archE1100ELNS1_3gpuE3ELNS1_3repE0EEENS1_30default_config_static_selectorELNS0_4arch9wavefront6targetE1EEEvSZ_, .Lfunc_end1928-_ZN7rocprim17ROCPRIM_400000_NS6detail17trampoline_kernelINS0_13select_configILj256ELj13ELNS0_17block_load_methodE3ELS4_3ELS4_3ELNS0_20block_scan_algorithmE0ELj4294967295EEENS1_25partition_config_selectorILNS1_17partition_subalgoE3EjNS0_10empty_typeEbEEZZNS1_14partition_implILS8_3ELb0ES6_jNS0_17counting_iteratorIjlEEPS9_SE_NS0_5tupleIJPjSE_EEENSF_IJSE_SE_EEES9_SG_JZNS1_25segmented_radix_sort_implINS0_14default_configELb1EPK12hip_bfloat16PSL_PKlPlN2at6native12_GLOBAL__N_18offset_tEEE10hipError_tPvRmT1_PNSt15iterator_traitsISZ_E10value_typeET2_T3_PNS10_IS15_E10value_typeET4_jRbjT5_S1B_jjP12ihipStream_tbEUljE_EEESW_SX_SY_S15_S19_S1B_T6_T7_T9_mT8_S1D_bDpT10_ENKUlT_T0_E_clISt17integral_constantIbLb1EES1Q_EEDaS1L_S1M_EUlS1L_E_NS1_11comp_targetILNS1_3genE9ELNS1_11target_archE1100ELNS1_3gpuE3ELNS1_3repE0EEENS1_30default_config_static_selectorELNS0_4arch9wavefront6targetE1EEEvSZ_
                                        ; -- End function
	.set _ZN7rocprim17ROCPRIM_400000_NS6detail17trampoline_kernelINS0_13select_configILj256ELj13ELNS0_17block_load_methodE3ELS4_3ELS4_3ELNS0_20block_scan_algorithmE0ELj4294967295EEENS1_25partition_config_selectorILNS1_17partition_subalgoE3EjNS0_10empty_typeEbEEZZNS1_14partition_implILS8_3ELb0ES6_jNS0_17counting_iteratorIjlEEPS9_SE_NS0_5tupleIJPjSE_EEENSF_IJSE_SE_EEES9_SG_JZNS1_25segmented_radix_sort_implINS0_14default_configELb1EPK12hip_bfloat16PSL_PKlPlN2at6native12_GLOBAL__N_18offset_tEEE10hipError_tPvRmT1_PNSt15iterator_traitsISZ_E10value_typeET2_T3_PNS10_IS15_E10value_typeET4_jRbjT5_S1B_jjP12ihipStream_tbEUljE_EEESW_SX_SY_S15_S19_S1B_T6_T7_T9_mT8_S1D_bDpT10_ENKUlT_T0_E_clISt17integral_constantIbLb1EES1Q_EEDaS1L_S1M_EUlS1L_E_NS1_11comp_targetILNS1_3genE9ELNS1_11target_archE1100ELNS1_3gpuE3ELNS1_3repE0EEENS1_30default_config_static_selectorELNS0_4arch9wavefront6targetE1EEEvSZ_.num_vgpr, 0
	.set _ZN7rocprim17ROCPRIM_400000_NS6detail17trampoline_kernelINS0_13select_configILj256ELj13ELNS0_17block_load_methodE3ELS4_3ELS4_3ELNS0_20block_scan_algorithmE0ELj4294967295EEENS1_25partition_config_selectorILNS1_17partition_subalgoE3EjNS0_10empty_typeEbEEZZNS1_14partition_implILS8_3ELb0ES6_jNS0_17counting_iteratorIjlEEPS9_SE_NS0_5tupleIJPjSE_EEENSF_IJSE_SE_EEES9_SG_JZNS1_25segmented_radix_sort_implINS0_14default_configELb1EPK12hip_bfloat16PSL_PKlPlN2at6native12_GLOBAL__N_18offset_tEEE10hipError_tPvRmT1_PNSt15iterator_traitsISZ_E10value_typeET2_T3_PNS10_IS15_E10value_typeET4_jRbjT5_S1B_jjP12ihipStream_tbEUljE_EEESW_SX_SY_S15_S19_S1B_T6_T7_T9_mT8_S1D_bDpT10_ENKUlT_T0_E_clISt17integral_constantIbLb1EES1Q_EEDaS1L_S1M_EUlS1L_E_NS1_11comp_targetILNS1_3genE9ELNS1_11target_archE1100ELNS1_3gpuE3ELNS1_3repE0EEENS1_30default_config_static_selectorELNS0_4arch9wavefront6targetE1EEEvSZ_.num_agpr, 0
	.set _ZN7rocprim17ROCPRIM_400000_NS6detail17trampoline_kernelINS0_13select_configILj256ELj13ELNS0_17block_load_methodE3ELS4_3ELS4_3ELNS0_20block_scan_algorithmE0ELj4294967295EEENS1_25partition_config_selectorILNS1_17partition_subalgoE3EjNS0_10empty_typeEbEEZZNS1_14partition_implILS8_3ELb0ES6_jNS0_17counting_iteratorIjlEEPS9_SE_NS0_5tupleIJPjSE_EEENSF_IJSE_SE_EEES9_SG_JZNS1_25segmented_radix_sort_implINS0_14default_configELb1EPK12hip_bfloat16PSL_PKlPlN2at6native12_GLOBAL__N_18offset_tEEE10hipError_tPvRmT1_PNSt15iterator_traitsISZ_E10value_typeET2_T3_PNS10_IS15_E10value_typeET4_jRbjT5_S1B_jjP12ihipStream_tbEUljE_EEESW_SX_SY_S15_S19_S1B_T6_T7_T9_mT8_S1D_bDpT10_ENKUlT_T0_E_clISt17integral_constantIbLb1EES1Q_EEDaS1L_S1M_EUlS1L_E_NS1_11comp_targetILNS1_3genE9ELNS1_11target_archE1100ELNS1_3gpuE3ELNS1_3repE0EEENS1_30default_config_static_selectorELNS0_4arch9wavefront6targetE1EEEvSZ_.numbered_sgpr, 0
	.set _ZN7rocprim17ROCPRIM_400000_NS6detail17trampoline_kernelINS0_13select_configILj256ELj13ELNS0_17block_load_methodE3ELS4_3ELS4_3ELNS0_20block_scan_algorithmE0ELj4294967295EEENS1_25partition_config_selectorILNS1_17partition_subalgoE3EjNS0_10empty_typeEbEEZZNS1_14partition_implILS8_3ELb0ES6_jNS0_17counting_iteratorIjlEEPS9_SE_NS0_5tupleIJPjSE_EEENSF_IJSE_SE_EEES9_SG_JZNS1_25segmented_radix_sort_implINS0_14default_configELb1EPK12hip_bfloat16PSL_PKlPlN2at6native12_GLOBAL__N_18offset_tEEE10hipError_tPvRmT1_PNSt15iterator_traitsISZ_E10value_typeET2_T3_PNS10_IS15_E10value_typeET4_jRbjT5_S1B_jjP12ihipStream_tbEUljE_EEESW_SX_SY_S15_S19_S1B_T6_T7_T9_mT8_S1D_bDpT10_ENKUlT_T0_E_clISt17integral_constantIbLb1EES1Q_EEDaS1L_S1M_EUlS1L_E_NS1_11comp_targetILNS1_3genE9ELNS1_11target_archE1100ELNS1_3gpuE3ELNS1_3repE0EEENS1_30default_config_static_selectorELNS0_4arch9wavefront6targetE1EEEvSZ_.num_named_barrier, 0
	.set _ZN7rocprim17ROCPRIM_400000_NS6detail17trampoline_kernelINS0_13select_configILj256ELj13ELNS0_17block_load_methodE3ELS4_3ELS4_3ELNS0_20block_scan_algorithmE0ELj4294967295EEENS1_25partition_config_selectorILNS1_17partition_subalgoE3EjNS0_10empty_typeEbEEZZNS1_14partition_implILS8_3ELb0ES6_jNS0_17counting_iteratorIjlEEPS9_SE_NS0_5tupleIJPjSE_EEENSF_IJSE_SE_EEES9_SG_JZNS1_25segmented_radix_sort_implINS0_14default_configELb1EPK12hip_bfloat16PSL_PKlPlN2at6native12_GLOBAL__N_18offset_tEEE10hipError_tPvRmT1_PNSt15iterator_traitsISZ_E10value_typeET2_T3_PNS10_IS15_E10value_typeET4_jRbjT5_S1B_jjP12ihipStream_tbEUljE_EEESW_SX_SY_S15_S19_S1B_T6_T7_T9_mT8_S1D_bDpT10_ENKUlT_T0_E_clISt17integral_constantIbLb1EES1Q_EEDaS1L_S1M_EUlS1L_E_NS1_11comp_targetILNS1_3genE9ELNS1_11target_archE1100ELNS1_3gpuE3ELNS1_3repE0EEENS1_30default_config_static_selectorELNS0_4arch9wavefront6targetE1EEEvSZ_.private_seg_size, 0
	.set _ZN7rocprim17ROCPRIM_400000_NS6detail17trampoline_kernelINS0_13select_configILj256ELj13ELNS0_17block_load_methodE3ELS4_3ELS4_3ELNS0_20block_scan_algorithmE0ELj4294967295EEENS1_25partition_config_selectorILNS1_17partition_subalgoE3EjNS0_10empty_typeEbEEZZNS1_14partition_implILS8_3ELb0ES6_jNS0_17counting_iteratorIjlEEPS9_SE_NS0_5tupleIJPjSE_EEENSF_IJSE_SE_EEES9_SG_JZNS1_25segmented_radix_sort_implINS0_14default_configELb1EPK12hip_bfloat16PSL_PKlPlN2at6native12_GLOBAL__N_18offset_tEEE10hipError_tPvRmT1_PNSt15iterator_traitsISZ_E10value_typeET2_T3_PNS10_IS15_E10value_typeET4_jRbjT5_S1B_jjP12ihipStream_tbEUljE_EEESW_SX_SY_S15_S19_S1B_T6_T7_T9_mT8_S1D_bDpT10_ENKUlT_T0_E_clISt17integral_constantIbLb1EES1Q_EEDaS1L_S1M_EUlS1L_E_NS1_11comp_targetILNS1_3genE9ELNS1_11target_archE1100ELNS1_3gpuE3ELNS1_3repE0EEENS1_30default_config_static_selectorELNS0_4arch9wavefront6targetE1EEEvSZ_.uses_vcc, 0
	.set _ZN7rocprim17ROCPRIM_400000_NS6detail17trampoline_kernelINS0_13select_configILj256ELj13ELNS0_17block_load_methodE3ELS4_3ELS4_3ELNS0_20block_scan_algorithmE0ELj4294967295EEENS1_25partition_config_selectorILNS1_17partition_subalgoE3EjNS0_10empty_typeEbEEZZNS1_14partition_implILS8_3ELb0ES6_jNS0_17counting_iteratorIjlEEPS9_SE_NS0_5tupleIJPjSE_EEENSF_IJSE_SE_EEES9_SG_JZNS1_25segmented_radix_sort_implINS0_14default_configELb1EPK12hip_bfloat16PSL_PKlPlN2at6native12_GLOBAL__N_18offset_tEEE10hipError_tPvRmT1_PNSt15iterator_traitsISZ_E10value_typeET2_T3_PNS10_IS15_E10value_typeET4_jRbjT5_S1B_jjP12ihipStream_tbEUljE_EEESW_SX_SY_S15_S19_S1B_T6_T7_T9_mT8_S1D_bDpT10_ENKUlT_T0_E_clISt17integral_constantIbLb1EES1Q_EEDaS1L_S1M_EUlS1L_E_NS1_11comp_targetILNS1_3genE9ELNS1_11target_archE1100ELNS1_3gpuE3ELNS1_3repE0EEENS1_30default_config_static_selectorELNS0_4arch9wavefront6targetE1EEEvSZ_.uses_flat_scratch, 0
	.set _ZN7rocprim17ROCPRIM_400000_NS6detail17trampoline_kernelINS0_13select_configILj256ELj13ELNS0_17block_load_methodE3ELS4_3ELS4_3ELNS0_20block_scan_algorithmE0ELj4294967295EEENS1_25partition_config_selectorILNS1_17partition_subalgoE3EjNS0_10empty_typeEbEEZZNS1_14partition_implILS8_3ELb0ES6_jNS0_17counting_iteratorIjlEEPS9_SE_NS0_5tupleIJPjSE_EEENSF_IJSE_SE_EEES9_SG_JZNS1_25segmented_radix_sort_implINS0_14default_configELb1EPK12hip_bfloat16PSL_PKlPlN2at6native12_GLOBAL__N_18offset_tEEE10hipError_tPvRmT1_PNSt15iterator_traitsISZ_E10value_typeET2_T3_PNS10_IS15_E10value_typeET4_jRbjT5_S1B_jjP12ihipStream_tbEUljE_EEESW_SX_SY_S15_S19_S1B_T6_T7_T9_mT8_S1D_bDpT10_ENKUlT_T0_E_clISt17integral_constantIbLb1EES1Q_EEDaS1L_S1M_EUlS1L_E_NS1_11comp_targetILNS1_3genE9ELNS1_11target_archE1100ELNS1_3gpuE3ELNS1_3repE0EEENS1_30default_config_static_selectorELNS0_4arch9wavefront6targetE1EEEvSZ_.has_dyn_sized_stack, 0
	.set _ZN7rocprim17ROCPRIM_400000_NS6detail17trampoline_kernelINS0_13select_configILj256ELj13ELNS0_17block_load_methodE3ELS4_3ELS4_3ELNS0_20block_scan_algorithmE0ELj4294967295EEENS1_25partition_config_selectorILNS1_17partition_subalgoE3EjNS0_10empty_typeEbEEZZNS1_14partition_implILS8_3ELb0ES6_jNS0_17counting_iteratorIjlEEPS9_SE_NS0_5tupleIJPjSE_EEENSF_IJSE_SE_EEES9_SG_JZNS1_25segmented_radix_sort_implINS0_14default_configELb1EPK12hip_bfloat16PSL_PKlPlN2at6native12_GLOBAL__N_18offset_tEEE10hipError_tPvRmT1_PNSt15iterator_traitsISZ_E10value_typeET2_T3_PNS10_IS15_E10value_typeET4_jRbjT5_S1B_jjP12ihipStream_tbEUljE_EEESW_SX_SY_S15_S19_S1B_T6_T7_T9_mT8_S1D_bDpT10_ENKUlT_T0_E_clISt17integral_constantIbLb1EES1Q_EEDaS1L_S1M_EUlS1L_E_NS1_11comp_targetILNS1_3genE9ELNS1_11target_archE1100ELNS1_3gpuE3ELNS1_3repE0EEENS1_30default_config_static_selectorELNS0_4arch9wavefront6targetE1EEEvSZ_.has_recursion, 0
	.set _ZN7rocprim17ROCPRIM_400000_NS6detail17trampoline_kernelINS0_13select_configILj256ELj13ELNS0_17block_load_methodE3ELS4_3ELS4_3ELNS0_20block_scan_algorithmE0ELj4294967295EEENS1_25partition_config_selectorILNS1_17partition_subalgoE3EjNS0_10empty_typeEbEEZZNS1_14partition_implILS8_3ELb0ES6_jNS0_17counting_iteratorIjlEEPS9_SE_NS0_5tupleIJPjSE_EEENSF_IJSE_SE_EEES9_SG_JZNS1_25segmented_radix_sort_implINS0_14default_configELb1EPK12hip_bfloat16PSL_PKlPlN2at6native12_GLOBAL__N_18offset_tEEE10hipError_tPvRmT1_PNSt15iterator_traitsISZ_E10value_typeET2_T3_PNS10_IS15_E10value_typeET4_jRbjT5_S1B_jjP12ihipStream_tbEUljE_EEESW_SX_SY_S15_S19_S1B_T6_T7_T9_mT8_S1D_bDpT10_ENKUlT_T0_E_clISt17integral_constantIbLb1EES1Q_EEDaS1L_S1M_EUlS1L_E_NS1_11comp_targetILNS1_3genE9ELNS1_11target_archE1100ELNS1_3gpuE3ELNS1_3repE0EEENS1_30default_config_static_selectorELNS0_4arch9wavefront6targetE1EEEvSZ_.has_indirect_call, 0
	.section	.AMDGPU.csdata,"",@progbits
; Kernel info:
; codeLenInByte = 0
; TotalNumSgprs: 4
; NumVgprs: 0
; ScratchSize: 0
; MemoryBound: 0
; FloatMode: 240
; IeeeMode: 1
; LDSByteSize: 0 bytes/workgroup (compile time only)
; SGPRBlocks: 0
; VGPRBlocks: 0
; NumSGPRsForWavesPerEU: 4
; NumVGPRsForWavesPerEU: 1
; Occupancy: 10
; WaveLimiterHint : 0
; COMPUTE_PGM_RSRC2:SCRATCH_EN: 0
; COMPUTE_PGM_RSRC2:USER_SGPR: 6
; COMPUTE_PGM_RSRC2:TRAP_HANDLER: 0
; COMPUTE_PGM_RSRC2:TGID_X_EN: 1
; COMPUTE_PGM_RSRC2:TGID_Y_EN: 0
; COMPUTE_PGM_RSRC2:TGID_Z_EN: 0
; COMPUTE_PGM_RSRC2:TIDIG_COMP_CNT: 0
	.section	.text._ZN7rocprim17ROCPRIM_400000_NS6detail17trampoline_kernelINS0_13select_configILj256ELj13ELNS0_17block_load_methodE3ELS4_3ELS4_3ELNS0_20block_scan_algorithmE0ELj4294967295EEENS1_25partition_config_selectorILNS1_17partition_subalgoE3EjNS0_10empty_typeEbEEZZNS1_14partition_implILS8_3ELb0ES6_jNS0_17counting_iteratorIjlEEPS9_SE_NS0_5tupleIJPjSE_EEENSF_IJSE_SE_EEES9_SG_JZNS1_25segmented_radix_sort_implINS0_14default_configELb1EPK12hip_bfloat16PSL_PKlPlN2at6native12_GLOBAL__N_18offset_tEEE10hipError_tPvRmT1_PNSt15iterator_traitsISZ_E10value_typeET2_T3_PNS10_IS15_E10value_typeET4_jRbjT5_S1B_jjP12ihipStream_tbEUljE_EEESW_SX_SY_S15_S19_S1B_T6_T7_T9_mT8_S1D_bDpT10_ENKUlT_T0_E_clISt17integral_constantIbLb1EES1Q_EEDaS1L_S1M_EUlS1L_E_NS1_11comp_targetILNS1_3genE8ELNS1_11target_archE1030ELNS1_3gpuE2ELNS1_3repE0EEENS1_30default_config_static_selectorELNS0_4arch9wavefront6targetE1EEEvSZ_,"axG",@progbits,_ZN7rocprim17ROCPRIM_400000_NS6detail17trampoline_kernelINS0_13select_configILj256ELj13ELNS0_17block_load_methodE3ELS4_3ELS4_3ELNS0_20block_scan_algorithmE0ELj4294967295EEENS1_25partition_config_selectorILNS1_17partition_subalgoE3EjNS0_10empty_typeEbEEZZNS1_14partition_implILS8_3ELb0ES6_jNS0_17counting_iteratorIjlEEPS9_SE_NS0_5tupleIJPjSE_EEENSF_IJSE_SE_EEES9_SG_JZNS1_25segmented_radix_sort_implINS0_14default_configELb1EPK12hip_bfloat16PSL_PKlPlN2at6native12_GLOBAL__N_18offset_tEEE10hipError_tPvRmT1_PNSt15iterator_traitsISZ_E10value_typeET2_T3_PNS10_IS15_E10value_typeET4_jRbjT5_S1B_jjP12ihipStream_tbEUljE_EEESW_SX_SY_S15_S19_S1B_T6_T7_T9_mT8_S1D_bDpT10_ENKUlT_T0_E_clISt17integral_constantIbLb1EES1Q_EEDaS1L_S1M_EUlS1L_E_NS1_11comp_targetILNS1_3genE8ELNS1_11target_archE1030ELNS1_3gpuE2ELNS1_3repE0EEENS1_30default_config_static_selectorELNS0_4arch9wavefront6targetE1EEEvSZ_,comdat
	.globl	_ZN7rocprim17ROCPRIM_400000_NS6detail17trampoline_kernelINS0_13select_configILj256ELj13ELNS0_17block_load_methodE3ELS4_3ELS4_3ELNS0_20block_scan_algorithmE0ELj4294967295EEENS1_25partition_config_selectorILNS1_17partition_subalgoE3EjNS0_10empty_typeEbEEZZNS1_14partition_implILS8_3ELb0ES6_jNS0_17counting_iteratorIjlEEPS9_SE_NS0_5tupleIJPjSE_EEENSF_IJSE_SE_EEES9_SG_JZNS1_25segmented_radix_sort_implINS0_14default_configELb1EPK12hip_bfloat16PSL_PKlPlN2at6native12_GLOBAL__N_18offset_tEEE10hipError_tPvRmT1_PNSt15iterator_traitsISZ_E10value_typeET2_T3_PNS10_IS15_E10value_typeET4_jRbjT5_S1B_jjP12ihipStream_tbEUljE_EEESW_SX_SY_S15_S19_S1B_T6_T7_T9_mT8_S1D_bDpT10_ENKUlT_T0_E_clISt17integral_constantIbLb1EES1Q_EEDaS1L_S1M_EUlS1L_E_NS1_11comp_targetILNS1_3genE8ELNS1_11target_archE1030ELNS1_3gpuE2ELNS1_3repE0EEENS1_30default_config_static_selectorELNS0_4arch9wavefront6targetE1EEEvSZ_ ; -- Begin function _ZN7rocprim17ROCPRIM_400000_NS6detail17trampoline_kernelINS0_13select_configILj256ELj13ELNS0_17block_load_methodE3ELS4_3ELS4_3ELNS0_20block_scan_algorithmE0ELj4294967295EEENS1_25partition_config_selectorILNS1_17partition_subalgoE3EjNS0_10empty_typeEbEEZZNS1_14partition_implILS8_3ELb0ES6_jNS0_17counting_iteratorIjlEEPS9_SE_NS0_5tupleIJPjSE_EEENSF_IJSE_SE_EEES9_SG_JZNS1_25segmented_radix_sort_implINS0_14default_configELb1EPK12hip_bfloat16PSL_PKlPlN2at6native12_GLOBAL__N_18offset_tEEE10hipError_tPvRmT1_PNSt15iterator_traitsISZ_E10value_typeET2_T3_PNS10_IS15_E10value_typeET4_jRbjT5_S1B_jjP12ihipStream_tbEUljE_EEESW_SX_SY_S15_S19_S1B_T6_T7_T9_mT8_S1D_bDpT10_ENKUlT_T0_E_clISt17integral_constantIbLb1EES1Q_EEDaS1L_S1M_EUlS1L_E_NS1_11comp_targetILNS1_3genE8ELNS1_11target_archE1030ELNS1_3gpuE2ELNS1_3repE0EEENS1_30default_config_static_selectorELNS0_4arch9wavefront6targetE1EEEvSZ_
	.p2align	8
	.type	_ZN7rocprim17ROCPRIM_400000_NS6detail17trampoline_kernelINS0_13select_configILj256ELj13ELNS0_17block_load_methodE3ELS4_3ELS4_3ELNS0_20block_scan_algorithmE0ELj4294967295EEENS1_25partition_config_selectorILNS1_17partition_subalgoE3EjNS0_10empty_typeEbEEZZNS1_14partition_implILS8_3ELb0ES6_jNS0_17counting_iteratorIjlEEPS9_SE_NS0_5tupleIJPjSE_EEENSF_IJSE_SE_EEES9_SG_JZNS1_25segmented_radix_sort_implINS0_14default_configELb1EPK12hip_bfloat16PSL_PKlPlN2at6native12_GLOBAL__N_18offset_tEEE10hipError_tPvRmT1_PNSt15iterator_traitsISZ_E10value_typeET2_T3_PNS10_IS15_E10value_typeET4_jRbjT5_S1B_jjP12ihipStream_tbEUljE_EEESW_SX_SY_S15_S19_S1B_T6_T7_T9_mT8_S1D_bDpT10_ENKUlT_T0_E_clISt17integral_constantIbLb1EES1Q_EEDaS1L_S1M_EUlS1L_E_NS1_11comp_targetILNS1_3genE8ELNS1_11target_archE1030ELNS1_3gpuE2ELNS1_3repE0EEENS1_30default_config_static_selectorELNS0_4arch9wavefront6targetE1EEEvSZ_,@function
_ZN7rocprim17ROCPRIM_400000_NS6detail17trampoline_kernelINS0_13select_configILj256ELj13ELNS0_17block_load_methodE3ELS4_3ELS4_3ELNS0_20block_scan_algorithmE0ELj4294967295EEENS1_25partition_config_selectorILNS1_17partition_subalgoE3EjNS0_10empty_typeEbEEZZNS1_14partition_implILS8_3ELb0ES6_jNS0_17counting_iteratorIjlEEPS9_SE_NS0_5tupleIJPjSE_EEENSF_IJSE_SE_EEES9_SG_JZNS1_25segmented_radix_sort_implINS0_14default_configELb1EPK12hip_bfloat16PSL_PKlPlN2at6native12_GLOBAL__N_18offset_tEEE10hipError_tPvRmT1_PNSt15iterator_traitsISZ_E10value_typeET2_T3_PNS10_IS15_E10value_typeET4_jRbjT5_S1B_jjP12ihipStream_tbEUljE_EEESW_SX_SY_S15_S19_S1B_T6_T7_T9_mT8_S1D_bDpT10_ENKUlT_T0_E_clISt17integral_constantIbLb1EES1Q_EEDaS1L_S1M_EUlS1L_E_NS1_11comp_targetILNS1_3genE8ELNS1_11target_archE1030ELNS1_3gpuE2ELNS1_3repE0EEENS1_30default_config_static_selectorELNS0_4arch9wavefront6targetE1EEEvSZ_: ; @_ZN7rocprim17ROCPRIM_400000_NS6detail17trampoline_kernelINS0_13select_configILj256ELj13ELNS0_17block_load_methodE3ELS4_3ELS4_3ELNS0_20block_scan_algorithmE0ELj4294967295EEENS1_25partition_config_selectorILNS1_17partition_subalgoE3EjNS0_10empty_typeEbEEZZNS1_14partition_implILS8_3ELb0ES6_jNS0_17counting_iteratorIjlEEPS9_SE_NS0_5tupleIJPjSE_EEENSF_IJSE_SE_EEES9_SG_JZNS1_25segmented_radix_sort_implINS0_14default_configELb1EPK12hip_bfloat16PSL_PKlPlN2at6native12_GLOBAL__N_18offset_tEEE10hipError_tPvRmT1_PNSt15iterator_traitsISZ_E10value_typeET2_T3_PNS10_IS15_E10value_typeET4_jRbjT5_S1B_jjP12ihipStream_tbEUljE_EEESW_SX_SY_S15_S19_S1B_T6_T7_T9_mT8_S1D_bDpT10_ENKUlT_T0_E_clISt17integral_constantIbLb1EES1Q_EEDaS1L_S1M_EUlS1L_E_NS1_11comp_targetILNS1_3genE8ELNS1_11target_archE1030ELNS1_3gpuE2ELNS1_3repE0EEENS1_30default_config_static_selectorELNS0_4arch9wavefront6targetE1EEEvSZ_
; %bb.0:
	.section	.rodata,"a",@progbits
	.p2align	6, 0x0
	.amdhsa_kernel _ZN7rocprim17ROCPRIM_400000_NS6detail17trampoline_kernelINS0_13select_configILj256ELj13ELNS0_17block_load_methodE3ELS4_3ELS4_3ELNS0_20block_scan_algorithmE0ELj4294967295EEENS1_25partition_config_selectorILNS1_17partition_subalgoE3EjNS0_10empty_typeEbEEZZNS1_14partition_implILS8_3ELb0ES6_jNS0_17counting_iteratorIjlEEPS9_SE_NS0_5tupleIJPjSE_EEENSF_IJSE_SE_EEES9_SG_JZNS1_25segmented_radix_sort_implINS0_14default_configELb1EPK12hip_bfloat16PSL_PKlPlN2at6native12_GLOBAL__N_18offset_tEEE10hipError_tPvRmT1_PNSt15iterator_traitsISZ_E10value_typeET2_T3_PNS10_IS15_E10value_typeET4_jRbjT5_S1B_jjP12ihipStream_tbEUljE_EEESW_SX_SY_S15_S19_S1B_T6_T7_T9_mT8_S1D_bDpT10_ENKUlT_T0_E_clISt17integral_constantIbLb1EES1Q_EEDaS1L_S1M_EUlS1L_E_NS1_11comp_targetILNS1_3genE8ELNS1_11target_archE1030ELNS1_3gpuE2ELNS1_3repE0EEENS1_30default_config_static_selectorELNS0_4arch9wavefront6targetE1EEEvSZ_
		.amdhsa_group_segment_fixed_size 0
		.amdhsa_private_segment_fixed_size 0
		.amdhsa_kernarg_size 152
		.amdhsa_user_sgpr_count 6
		.amdhsa_user_sgpr_private_segment_buffer 1
		.amdhsa_user_sgpr_dispatch_ptr 0
		.amdhsa_user_sgpr_queue_ptr 0
		.amdhsa_user_sgpr_kernarg_segment_ptr 1
		.amdhsa_user_sgpr_dispatch_id 0
		.amdhsa_user_sgpr_flat_scratch_init 0
		.amdhsa_user_sgpr_private_segment_size 0
		.amdhsa_uses_dynamic_stack 0
		.amdhsa_system_sgpr_private_segment_wavefront_offset 0
		.amdhsa_system_sgpr_workgroup_id_x 1
		.amdhsa_system_sgpr_workgroup_id_y 0
		.amdhsa_system_sgpr_workgroup_id_z 0
		.amdhsa_system_sgpr_workgroup_info 0
		.amdhsa_system_vgpr_workitem_id 0
		.amdhsa_next_free_vgpr 1
		.amdhsa_next_free_sgpr 0
		.amdhsa_reserve_vcc 0
		.amdhsa_reserve_flat_scratch 0
		.amdhsa_float_round_mode_32 0
		.amdhsa_float_round_mode_16_64 0
		.amdhsa_float_denorm_mode_32 3
		.amdhsa_float_denorm_mode_16_64 3
		.amdhsa_dx10_clamp 1
		.amdhsa_ieee_mode 1
		.amdhsa_fp16_overflow 0
		.amdhsa_exception_fp_ieee_invalid_op 0
		.amdhsa_exception_fp_denorm_src 0
		.amdhsa_exception_fp_ieee_div_zero 0
		.amdhsa_exception_fp_ieee_overflow 0
		.amdhsa_exception_fp_ieee_underflow 0
		.amdhsa_exception_fp_ieee_inexact 0
		.amdhsa_exception_int_div_zero 0
	.end_amdhsa_kernel
	.section	.text._ZN7rocprim17ROCPRIM_400000_NS6detail17trampoline_kernelINS0_13select_configILj256ELj13ELNS0_17block_load_methodE3ELS4_3ELS4_3ELNS0_20block_scan_algorithmE0ELj4294967295EEENS1_25partition_config_selectorILNS1_17partition_subalgoE3EjNS0_10empty_typeEbEEZZNS1_14partition_implILS8_3ELb0ES6_jNS0_17counting_iteratorIjlEEPS9_SE_NS0_5tupleIJPjSE_EEENSF_IJSE_SE_EEES9_SG_JZNS1_25segmented_radix_sort_implINS0_14default_configELb1EPK12hip_bfloat16PSL_PKlPlN2at6native12_GLOBAL__N_18offset_tEEE10hipError_tPvRmT1_PNSt15iterator_traitsISZ_E10value_typeET2_T3_PNS10_IS15_E10value_typeET4_jRbjT5_S1B_jjP12ihipStream_tbEUljE_EEESW_SX_SY_S15_S19_S1B_T6_T7_T9_mT8_S1D_bDpT10_ENKUlT_T0_E_clISt17integral_constantIbLb1EES1Q_EEDaS1L_S1M_EUlS1L_E_NS1_11comp_targetILNS1_3genE8ELNS1_11target_archE1030ELNS1_3gpuE2ELNS1_3repE0EEENS1_30default_config_static_selectorELNS0_4arch9wavefront6targetE1EEEvSZ_,"axG",@progbits,_ZN7rocprim17ROCPRIM_400000_NS6detail17trampoline_kernelINS0_13select_configILj256ELj13ELNS0_17block_load_methodE3ELS4_3ELS4_3ELNS0_20block_scan_algorithmE0ELj4294967295EEENS1_25partition_config_selectorILNS1_17partition_subalgoE3EjNS0_10empty_typeEbEEZZNS1_14partition_implILS8_3ELb0ES6_jNS0_17counting_iteratorIjlEEPS9_SE_NS0_5tupleIJPjSE_EEENSF_IJSE_SE_EEES9_SG_JZNS1_25segmented_radix_sort_implINS0_14default_configELb1EPK12hip_bfloat16PSL_PKlPlN2at6native12_GLOBAL__N_18offset_tEEE10hipError_tPvRmT1_PNSt15iterator_traitsISZ_E10value_typeET2_T3_PNS10_IS15_E10value_typeET4_jRbjT5_S1B_jjP12ihipStream_tbEUljE_EEESW_SX_SY_S15_S19_S1B_T6_T7_T9_mT8_S1D_bDpT10_ENKUlT_T0_E_clISt17integral_constantIbLb1EES1Q_EEDaS1L_S1M_EUlS1L_E_NS1_11comp_targetILNS1_3genE8ELNS1_11target_archE1030ELNS1_3gpuE2ELNS1_3repE0EEENS1_30default_config_static_selectorELNS0_4arch9wavefront6targetE1EEEvSZ_,comdat
.Lfunc_end1929:
	.size	_ZN7rocprim17ROCPRIM_400000_NS6detail17trampoline_kernelINS0_13select_configILj256ELj13ELNS0_17block_load_methodE3ELS4_3ELS4_3ELNS0_20block_scan_algorithmE0ELj4294967295EEENS1_25partition_config_selectorILNS1_17partition_subalgoE3EjNS0_10empty_typeEbEEZZNS1_14partition_implILS8_3ELb0ES6_jNS0_17counting_iteratorIjlEEPS9_SE_NS0_5tupleIJPjSE_EEENSF_IJSE_SE_EEES9_SG_JZNS1_25segmented_radix_sort_implINS0_14default_configELb1EPK12hip_bfloat16PSL_PKlPlN2at6native12_GLOBAL__N_18offset_tEEE10hipError_tPvRmT1_PNSt15iterator_traitsISZ_E10value_typeET2_T3_PNS10_IS15_E10value_typeET4_jRbjT5_S1B_jjP12ihipStream_tbEUljE_EEESW_SX_SY_S15_S19_S1B_T6_T7_T9_mT8_S1D_bDpT10_ENKUlT_T0_E_clISt17integral_constantIbLb1EES1Q_EEDaS1L_S1M_EUlS1L_E_NS1_11comp_targetILNS1_3genE8ELNS1_11target_archE1030ELNS1_3gpuE2ELNS1_3repE0EEENS1_30default_config_static_selectorELNS0_4arch9wavefront6targetE1EEEvSZ_, .Lfunc_end1929-_ZN7rocprim17ROCPRIM_400000_NS6detail17trampoline_kernelINS0_13select_configILj256ELj13ELNS0_17block_load_methodE3ELS4_3ELS4_3ELNS0_20block_scan_algorithmE0ELj4294967295EEENS1_25partition_config_selectorILNS1_17partition_subalgoE3EjNS0_10empty_typeEbEEZZNS1_14partition_implILS8_3ELb0ES6_jNS0_17counting_iteratorIjlEEPS9_SE_NS0_5tupleIJPjSE_EEENSF_IJSE_SE_EEES9_SG_JZNS1_25segmented_radix_sort_implINS0_14default_configELb1EPK12hip_bfloat16PSL_PKlPlN2at6native12_GLOBAL__N_18offset_tEEE10hipError_tPvRmT1_PNSt15iterator_traitsISZ_E10value_typeET2_T3_PNS10_IS15_E10value_typeET4_jRbjT5_S1B_jjP12ihipStream_tbEUljE_EEESW_SX_SY_S15_S19_S1B_T6_T7_T9_mT8_S1D_bDpT10_ENKUlT_T0_E_clISt17integral_constantIbLb1EES1Q_EEDaS1L_S1M_EUlS1L_E_NS1_11comp_targetILNS1_3genE8ELNS1_11target_archE1030ELNS1_3gpuE2ELNS1_3repE0EEENS1_30default_config_static_selectorELNS0_4arch9wavefront6targetE1EEEvSZ_
                                        ; -- End function
	.set _ZN7rocprim17ROCPRIM_400000_NS6detail17trampoline_kernelINS0_13select_configILj256ELj13ELNS0_17block_load_methodE3ELS4_3ELS4_3ELNS0_20block_scan_algorithmE0ELj4294967295EEENS1_25partition_config_selectorILNS1_17partition_subalgoE3EjNS0_10empty_typeEbEEZZNS1_14partition_implILS8_3ELb0ES6_jNS0_17counting_iteratorIjlEEPS9_SE_NS0_5tupleIJPjSE_EEENSF_IJSE_SE_EEES9_SG_JZNS1_25segmented_radix_sort_implINS0_14default_configELb1EPK12hip_bfloat16PSL_PKlPlN2at6native12_GLOBAL__N_18offset_tEEE10hipError_tPvRmT1_PNSt15iterator_traitsISZ_E10value_typeET2_T3_PNS10_IS15_E10value_typeET4_jRbjT5_S1B_jjP12ihipStream_tbEUljE_EEESW_SX_SY_S15_S19_S1B_T6_T7_T9_mT8_S1D_bDpT10_ENKUlT_T0_E_clISt17integral_constantIbLb1EES1Q_EEDaS1L_S1M_EUlS1L_E_NS1_11comp_targetILNS1_3genE8ELNS1_11target_archE1030ELNS1_3gpuE2ELNS1_3repE0EEENS1_30default_config_static_selectorELNS0_4arch9wavefront6targetE1EEEvSZ_.num_vgpr, 0
	.set _ZN7rocprim17ROCPRIM_400000_NS6detail17trampoline_kernelINS0_13select_configILj256ELj13ELNS0_17block_load_methodE3ELS4_3ELS4_3ELNS0_20block_scan_algorithmE0ELj4294967295EEENS1_25partition_config_selectorILNS1_17partition_subalgoE3EjNS0_10empty_typeEbEEZZNS1_14partition_implILS8_3ELb0ES6_jNS0_17counting_iteratorIjlEEPS9_SE_NS0_5tupleIJPjSE_EEENSF_IJSE_SE_EEES9_SG_JZNS1_25segmented_radix_sort_implINS0_14default_configELb1EPK12hip_bfloat16PSL_PKlPlN2at6native12_GLOBAL__N_18offset_tEEE10hipError_tPvRmT1_PNSt15iterator_traitsISZ_E10value_typeET2_T3_PNS10_IS15_E10value_typeET4_jRbjT5_S1B_jjP12ihipStream_tbEUljE_EEESW_SX_SY_S15_S19_S1B_T6_T7_T9_mT8_S1D_bDpT10_ENKUlT_T0_E_clISt17integral_constantIbLb1EES1Q_EEDaS1L_S1M_EUlS1L_E_NS1_11comp_targetILNS1_3genE8ELNS1_11target_archE1030ELNS1_3gpuE2ELNS1_3repE0EEENS1_30default_config_static_selectorELNS0_4arch9wavefront6targetE1EEEvSZ_.num_agpr, 0
	.set _ZN7rocprim17ROCPRIM_400000_NS6detail17trampoline_kernelINS0_13select_configILj256ELj13ELNS0_17block_load_methodE3ELS4_3ELS4_3ELNS0_20block_scan_algorithmE0ELj4294967295EEENS1_25partition_config_selectorILNS1_17partition_subalgoE3EjNS0_10empty_typeEbEEZZNS1_14partition_implILS8_3ELb0ES6_jNS0_17counting_iteratorIjlEEPS9_SE_NS0_5tupleIJPjSE_EEENSF_IJSE_SE_EEES9_SG_JZNS1_25segmented_radix_sort_implINS0_14default_configELb1EPK12hip_bfloat16PSL_PKlPlN2at6native12_GLOBAL__N_18offset_tEEE10hipError_tPvRmT1_PNSt15iterator_traitsISZ_E10value_typeET2_T3_PNS10_IS15_E10value_typeET4_jRbjT5_S1B_jjP12ihipStream_tbEUljE_EEESW_SX_SY_S15_S19_S1B_T6_T7_T9_mT8_S1D_bDpT10_ENKUlT_T0_E_clISt17integral_constantIbLb1EES1Q_EEDaS1L_S1M_EUlS1L_E_NS1_11comp_targetILNS1_3genE8ELNS1_11target_archE1030ELNS1_3gpuE2ELNS1_3repE0EEENS1_30default_config_static_selectorELNS0_4arch9wavefront6targetE1EEEvSZ_.numbered_sgpr, 0
	.set _ZN7rocprim17ROCPRIM_400000_NS6detail17trampoline_kernelINS0_13select_configILj256ELj13ELNS0_17block_load_methodE3ELS4_3ELS4_3ELNS0_20block_scan_algorithmE0ELj4294967295EEENS1_25partition_config_selectorILNS1_17partition_subalgoE3EjNS0_10empty_typeEbEEZZNS1_14partition_implILS8_3ELb0ES6_jNS0_17counting_iteratorIjlEEPS9_SE_NS0_5tupleIJPjSE_EEENSF_IJSE_SE_EEES9_SG_JZNS1_25segmented_radix_sort_implINS0_14default_configELb1EPK12hip_bfloat16PSL_PKlPlN2at6native12_GLOBAL__N_18offset_tEEE10hipError_tPvRmT1_PNSt15iterator_traitsISZ_E10value_typeET2_T3_PNS10_IS15_E10value_typeET4_jRbjT5_S1B_jjP12ihipStream_tbEUljE_EEESW_SX_SY_S15_S19_S1B_T6_T7_T9_mT8_S1D_bDpT10_ENKUlT_T0_E_clISt17integral_constantIbLb1EES1Q_EEDaS1L_S1M_EUlS1L_E_NS1_11comp_targetILNS1_3genE8ELNS1_11target_archE1030ELNS1_3gpuE2ELNS1_3repE0EEENS1_30default_config_static_selectorELNS0_4arch9wavefront6targetE1EEEvSZ_.num_named_barrier, 0
	.set _ZN7rocprim17ROCPRIM_400000_NS6detail17trampoline_kernelINS0_13select_configILj256ELj13ELNS0_17block_load_methodE3ELS4_3ELS4_3ELNS0_20block_scan_algorithmE0ELj4294967295EEENS1_25partition_config_selectorILNS1_17partition_subalgoE3EjNS0_10empty_typeEbEEZZNS1_14partition_implILS8_3ELb0ES6_jNS0_17counting_iteratorIjlEEPS9_SE_NS0_5tupleIJPjSE_EEENSF_IJSE_SE_EEES9_SG_JZNS1_25segmented_radix_sort_implINS0_14default_configELb1EPK12hip_bfloat16PSL_PKlPlN2at6native12_GLOBAL__N_18offset_tEEE10hipError_tPvRmT1_PNSt15iterator_traitsISZ_E10value_typeET2_T3_PNS10_IS15_E10value_typeET4_jRbjT5_S1B_jjP12ihipStream_tbEUljE_EEESW_SX_SY_S15_S19_S1B_T6_T7_T9_mT8_S1D_bDpT10_ENKUlT_T0_E_clISt17integral_constantIbLb1EES1Q_EEDaS1L_S1M_EUlS1L_E_NS1_11comp_targetILNS1_3genE8ELNS1_11target_archE1030ELNS1_3gpuE2ELNS1_3repE0EEENS1_30default_config_static_selectorELNS0_4arch9wavefront6targetE1EEEvSZ_.private_seg_size, 0
	.set _ZN7rocprim17ROCPRIM_400000_NS6detail17trampoline_kernelINS0_13select_configILj256ELj13ELNS0_17block_load_methodE3ELS4_3ELS4_3ELNS0_20block_scan_algorithmE0ELj4294967295EEENS1_25partition_config_selectorILNS1_17partition_subalgoE3EjNS0_10empty_typeEbEEZZNS1_14partition_implILS8_3ELb0ES6_jNS0_17counting_iteratorIjlEEPS9_SE_NS0_5tupleIJPjSE_EEENSF_IJSE_SE_EEES9_SG_JZNS1_25segmented_radix_sort_implINS0_14default_configELb1EPK12hip_bfloat16PSL_PKlPlN2at6native12_GLOBAL__N_18offset_tEEE10hipError_tPvRmT1_PNSt15iterator_traitsISZ_E10value_typeET2_T3_PNS10_IS15_E10value_typeET4_jRbjT5_S1B_jjP12ihipStream_tbEUljE_EEESW_SX_SY_S15_S19_S1B_T6_T7_T9_mT8_S1D_bDpT10_ENKUlT_T0_E_clISt17integral_constantIbLb1EES1Q_EEDaS1L_S1M_EUlS1L_E_NS1_11comp_targetILNS1_3genE8ELNS1_11target_archE1030ELNS1_3gpuE2ELNS1_3repE0EEENS1_30default_config_static_selectorELNS0_4arch9wavefront6targetE1EEEvSZ_.uses_vcc, 0
	.set _ZN7rocprim17ROCPRIM_400000_NS6detail17trampoline_kernelINS0_13select_configILj256ELj13ELNS0_17block_load_methodE3ELS4_3ELS4_3ELNS0_20block_scan_algorithmE0ELj4294967295EEENS1_25partition_config_selectorILNS1_17partition_subalgoE3EjNS0_10empty_typeEbEEZZNS1_14partition_implILS8_3ELb0ES6_jNS0_17counting_iteratorIjlEEPS9_SE_NS0_5tupleIJPjSE_EEENSF_IJSE_SE_EEES9_SG_JZNS1_25segmented_radix_sort_implINS0_14default_configELb1EPK12hip_bfloat16PSL_PKlPlN2at6native12_GLOBAL__N_18offset_tEEE10hipError_tPvRmT1_PNSt15iterator_traitsISZ_E10value_typeET2_T3_PNS10_IS15_E10value_typeET4_jRbjT5_S1B_jjP12ihipStream_tbEUljE_EEESW_SX_SY_S15_S19_S1B_T6_T7_T9_mT8_S1D_bDpT10_ENKUlT_T0_E_clISt17integral_constantIbLb1EES1Q_EEDaS1L_S1M_EUlS1L_E_NS1_11comp_targetILNS1_3genE8ELNS1_11target_archE1030ELNS1_3gpuE2ELNS1_3repE0EEENS1_30default_config_static_selectorELNS0_4arch9wavefront6targetE1EEEvSZ_.uses_flat_scratch, 0
	.set _ZN7rocprim17ROCPRIM_400000_NS6detail17trampoline_kernelINS0_13select_configILj256ELj13ELNS0_17block_load_methodE3ELS4_3ELS4_3ELNS0_20block_scan_algorithmE0ELj4294967295EEENS1_25partition_config_selectorILNS1_17partition_subalgoE3EjNS0_10empty_typeEbEEZZNS1_14partition_implILS8_3ELb0ES6_jNS0_17counting_iteratorIjlEEPS9_SE_NS0_5tupleIJPjSE_EEENSF_IJSE_SE_EEES9_SG_JZNS1_25segmented_radix_sort_implINS0_14default_configELb1EPK12hip_bfloat16PSL_PKlPlN2at6native12_GLOBAL__N_18offset_tEEE10hipError_tPvRmT1_PNSt15iterator_traitsISZ_E10value_typeET2_T3_PNS10_IS15_E10value_typeET4_jRbjT5_S1B_jjP12ihipStream_tbEUljE_EEESW_SX_SY_S15_S19_S1B_T6_T7_T9_mT8_S1D_bDpT10_ENKUlT_T0_E_clISt17integral_constantIbLb1EES1Q_EEDaS1L_S1M_EUlS1L_E_NS1_11comp_targetILNS1_3genE8ELNS1_11target_archE1030ELNS1_3gpuE2ELNS1_3repE0EEENS1_30default_config_static_selectorELNS0_4arch9wavefront6targetE1EEEvSZ_.has_dyn_sized_stack, 0
	.set _ZN7rocprim17ROCPRIM_400000_NS6detail17trampoline_kernelINS0_13select_configILj256ELj13ELNS0_17block_load_methodE3ELS4_3ELS4_3ELNS0_20block_scan_algorithmE0ELj4294967295EEENS1_25partition_config_selectorILNS1_17partition_subalgoE3EjNS0_10empty_typeEbEEZZNS1_14partition_implILS8_3ELb0ES6_jNS0_17counting_iteratorIjlEEPS9_SE_NS0_5tupleIJPjSE_EEENSF_IJSE_SE_EEES9_SG_JZNS1_25segmented_radix_sort_implINS0_14default_configELb1EPK12hip_bfloat16PSL_PKlPlN2at6native12_GLOBAL__N_18offset_tEEE10hipError_tPvRmT1_PNSt15iterator_traitsISZ_E10value_typeET2_T3_PNS10_IS15_E10value_typeET4_jRbjT5_S1B_jjP12ihipStream_tbEUljE_EEESW_SX_SY_S15_S19_S1B_T6_T7_T9_mT8_S1D_bDpT10_ENKUlT_T0_E_clISt17integral_constantIbLb1EES1Q_EEDaS1L_S1M_EUlS1L_E_NS1_11comp_targetILNS1_3genE8ELNS1_11target_archE1030ELNS1_3gpuE2ELNS1_3repE0EEENS1_30default_config_static_selectorELNS0_4arch9wavefront6targetE1EEEvSZ_.has_recursion, 0
	.set _ZN7rocprim17ROCPRIM_400000_NS6detail17trampoline_kernelINS0_13select_configILj256ELj13ELNS0_17block_load_methodE3ELS4_3ELS4_3ELNS0_20block_scan_algorithmE0ELj4294967295EEENS1_25partition_config_selectorILNS1_17partition_subalgoE3EjNS0_10empty_typeEbEEZZNS1_14partition_implILS8_3ELb0ES6_jNS0_17counting_iteratorIjlEEPS9_SE_NS0_5tupleIJPjSE_EEENSF_IJSE_SE_EEES9_SG_JZNS1_25segmented_radix_sort_implINS0_14default_configELb1EPK12hip_bfloat16PSL_PKlPlN2at6native12_GLOBAL__N_18offset_tEEE10hipError_tPvRmT1_PNSt15iterator_traitsISZ_E10value_typeET2_T3_PNS10_IS15_E10value_typeET4_jRbjT5_S1B_jjP12ihipStream_tbEUljE_EEESW_SX_SY_S15_S19_S1B_T6_T7_T9_mT8_S1D_bDpT10_ENKUlT_T0_E_clISt17integral_constantIbLb1EES1Q_EEDaS1L_S1M_EUlS1L_E_NS1_11comp_targetILNS1_3genE8ELNS1_11target_archE1030ELNS1_3gpuE2ELNS1_3repE0EEENS1_30default_config_static_selectorELNS0_4arch9wavefront6targetE1EEEvSZ_.has_indirect_call, 0
	.section	.AMDGPU.csdata,"",@progbits
; Kernel info:
; codeLenInByte = 0
; TotalNumSgprs: 4
; NumVgprs: 0
; ScratchSize: 0
; MemoryBound: 0
; FloatMode: 240
; IeeeMode: 1
; LDSByteSize: 0 bytes/workgroup (compile time only)
; SGPRBlocks: 0
; VGPRBlocks: 0
; NumSGPRsForWavesPerEU: 4
; NumVGPRsForWavesPerEU: 1
; Occupancy: 10
; WaveLimiterHint : 0
; COMPUTE_PGM_RSRC2:SCRATCH_EN: 0
; COMPUTE_PGM_RSRC2:USER_SGPR: 6
; COMPUTE_PGM_RSRC2:TRAP_HANDLER: 0
; COMPUTE_PGM_RSRC2:TGID_X_EN: 1
; COMPUTE_PGM_RSRC2:TGID_Y_EN: 0
; COMPUTE_PGM_RSRC2:TGID_Z_EN: 0
; COMPUTE_PGM_RSRC2:TIDIG_COMP_CNT: 0
	.section	.text._ZN7rocprim17ROCPRIM_400000_NS6detail17trampoline_kernelINS0_13select_configILj256ELj13ELNS0_17block_load_methodE3ELS4_3ELS4_3ELNS0_20block_scan_algorithmE0ELj4294967295EEENS1_25partition_config_selectorILNS1_17partition_subalgoE3EjNS0_10empty_typeEbEEZZNS1_14partition_implILS8_3ELb0ES6_jNS0_17counting_iteratorIjlEEPS9_SE_NS0_5tupleIJPjSE_EEENSF_IJSE_SE_EEES9_SG_JZNS1_25segmented_radix_sort_implINS0_14default_configELb1EPK12hip_bfloat16PSL_PKlPlN2at6native12_GLOBAL__N_18offset_tEEE10hipError_tPvRmT1_PNSt15iterator_traitsISZ_E10value_typeET2_T3_PNS10_IS15_E10value_typeET4_jRbjT5_S1B_jjP12ihipStream_tbEUljE_EEESW_SX_SY_S15_S19_S1B_T6_T7_T9_mT8_S1D_bDpT10_ENKUlT_T0_E_clISt17integral_constantIbLb1EES1P_IbLb0EEEEDaS1L_S1M_EUlS1L_E_NS1_11comp_targetILNS1_3genE0ELNS1_11target_archE4294967295ELNS1_3gpuE0ELNS1_3repE0EEENS1_30default_config_static_selectorELNS0_4arch9wavefront6targetE1EEEvSZ_,"axG",@progbits,_ZN7rocprim17ROCPRIM_400000_NS6detail17trampoline_kernelINS0_13select_configILj256ELj13ELNS0_17block_load_methodE3ELS4_3ELS4_3ELNS0_20block_scan_algorithmE0ELj4294967295EEENS1_25partition_config_selectorILNS1_17partition_subalgoE3EjNS0_10empty_typeEbEEZZNS1_14partition_implILS8_3ELb0ES6_jNS0_17counting_iteratorIjlEEPS9_SE_NS0_5tupleIJPjSE_EEENSF_IJSE_SE_EEES9_SG_JZNS1_25segmented_radix_sort_implINS0_14default_configELb1EPK12hip_bfloat16PSL_PKlPlN2at6native12_GLOBAL__N_18offset_tEEE10hipError_tPvRmT1_PNSt15iterator_traitsISZ_E10value_typeET2_T3_PNS10_IS15_E10value_typeET4_jRbjT5_S1B_jjP12ihipStream_tbEUljE_EEESW_SX_SY_S15_S19_S1B_T6_T7_T9_mT8_S1D_bDpT10_ENKUlT_T0_E_clISt17integral_constantIbLb1EES1P_IbLb0EEEEDaS1L_S1M_EUlS1L_E_NS1_11comp_targetILNS1_3genE0ELNS1_11target_archE4294967295ELNS1_3gpuE0ELNS1_3repE0EEENS1_30default_config_static_selectorELNS0_4arch9wavefront6targetE1EEEvSZ_,comdat
	.globl	_ZN7rocprim17ROCPRIM_400000_NS6detail17trampoline_kernelINS0_13select_configILj256ELj13ELNS0_17block_load_methodE3ELS4_3ELS4_3ELNS0_20block_scan_algorithmE0ELj4294967295EEENS1_25partition_config_selectorILNS1_17partition_subalgoE3EjNS0_10empty_typeEbEEZZNS1_14partition_implILS8_3ELb0ES6_jNS0_17counting_iteratorIjlEEPS9_SE_NS0_5tupleIJPjSE_EEENSF_IJSE_SE_EEES9_SG_JZNS1_25segmented_radix_sort_implINS0_14default_configELb1EPK12hip_bfloat16PSL_PKlPlN2at6native12_GLOBAL__N_18offset_tEEE10hipError_tPvRmT1_PNSt15iterator_traitsISZ_E10value_typeET2_T3_PNS10_IS15_E10value_typeET4_jRbjT5_S1B_jjP12ihipStream_tbEUljE_EEESW_SX_SY_S15_S19_S1B_T6_T7_T9_mT8_S1D_bDpT10_ENKUlT_T0_E_clISt17integral_constantIbLb1EES1P_IbLb0EEEEDaS1L_S1M_EUlS1L_E_NS1_11comp_targetILNS1_3genE0ELNS1_11target_archE4294967295ELNS1_3gpuE0ELNS1_3repE0EEENS1_30default_config_static_selectorELNS0_4arch9wavefront6targetE1EEEvSZ_ ; -- Begin function _ZN7rocprim17ROCPRIM_400000_NS6detail17trampoline_kernelINS0_13select_configILj256ELj13ELNS0_17block_load_methodE3ELS4_3ELS4_3ELNS0_20block_scan_algorithmE0ELj4294967295EEENS1_25partition_config_selectorILNS1_17partition_subalgoE3EjNS0_10empty_typeEbEEZZNS1_14partition_implILS8_3ELb0ES6_jNS0_17counting_iteratorIjlEEPS9_SE_NS0_5tupleIJPjSE_EEENSF_IJSE_SE_EEES9_SG_JZNS1_25segmented_radix_sort_implINS0_14default_configELb1EPK12hip_bfloat16PSL_PKlPlN2at6native12_GLOBAL__N_18offset_tEEE10hipError_tPvRmT1_PNSt15iterator_traitsISZ_E10value_typeET2_T3_PNS10_IS15_E10value_typeET4_jRbjT5_S1B_jjP12ihipStream_tbEUljE_EEESW_SX_SY_S15_S19_S1B_T6_T7_T9_mT8_S1D_bDpT10_ENKUlT_T0_E_clISt17integral_constantIbLb1EES1P_IbLb0EEEEDaS1L_S1M_EUlS1L_E_NS1_11comp_targetILNS1_3genE0ELNS1_11target_archE4294967295ELNS1_3gpuE0ELNS1_3repE0EEENS1_30default_config_static_selectorELNS0_4arch9wavefront6targetE1EEEvSZ_
	.p2align	8
	.type	_ZN7rocprim17ROCPRIM_400000_NS6detail17trampoline_kernelINS0_13select_configILj256ELj13ELNS0_17block_load_methodE3ELS4_3ELS4_3ELNS0_20block_scan_algorithmE0ELj4294967295EEENS1_25partition_config_selectorILNS1_17partition_subalgoE3EjNS0_10empty_typeEbEEZZNS1_14partition_implILS8_3ELb0ES6_jNS0_17counting_iteratorIjlEEPS9_SE_NS0_5tupleIJPjSE_EEENSF_IJSE_SE_EEES9_SG_JZNS1_25segmented_radix_sort_implINS0_14default_configELb1EPK12hip_bfloat16PSL_PKlPlN2at6native12_GLOBAL__N_18offset_tEEE10hipError_tPvRmT1_PNSt15iterator_traitsISZ_E10value_typeET2_T3_PNS10_IS15_E10value_typeET4_jRbjT5_S1B_jjP12ihipStream_tbEUljE_EEESW_SX_SY_S15_S19_S1B_T6_T7_T9_mT8_S1D_bDpT10_ENKUlT_T0_E_clISt17integral_constantIbLb1EES1P_IbLb0EEEEDaS1L_S1M_EUlS1L_E_NS1_11comp_targetILNS1_3genE0ELNS1_11target_archE4294967295ELNS1_3gpuE0ELNS1_3repE0EEENS1_30default_config_static_selectorELNS0_4arch9wavefront6targetE1EEEvSZ_,@function
_ZN7rocprim17ROCPRIM_400000_NS6detail17trampoline_kernelINS0_13select_configILj256ELj13ELNS0_17block_load_methodE3ELS4_3ELS4_3ELNS0_20block_scan_algorithmE0ELj4294967295EEENS1_25partition_config_selectorILNS1_17partition_subalgoE3EjNS0_10empty_typeEbEEZZNS1_14partition_implILS8_3ELb0ES6_jNS0_17counting_iteratorIjlEEPS9_SE_NS0_5tupleIJPjSE_EEENSF_IJSE_SE_EEES9_SG_JZNS1_25segmented_radix_sort_implINS0_14default_configELb1EPK12hip_bfloat16PSL_PKlPlN2at6native12_GLOBAL__N_18offset_tEEE10hipError_tPvRmT1_PNSt15iterator_traitsISZ_E10value_typeET2_T3_PNS10_IS15_E10value_typeET4_jRbjT5_S1B_jjP12ihipStream_tbEUljE_EEESW_SX_SY_S15_S19_S1B_T6_T7_T9_mT8_S1D_bDpT10_ENKUlT_T0_E_clISt17integral_constantIbLb1EES1P_IbLb0EEEEDaS1L_S1M_EUlS1L_E_NS1_11comp_targetILNS1_3genE0ELNS1_11target_archE4294967295ELNS1_3gpuE0ELNS1_3repE0EEENS1_30default_config_static_selectorELNS0_4arch9wavefront6targetE1EEEvSZ_: ; @_ZN7rocprim17ROCPRIM_400000_NS6detail17trampoline_kernelINS0_13select_configILj256ELj13ELNS0_17block_load_methodE3ELS4_3ELS4_3ELNS0_20block_scan_algorithmE0ELj4294967295EEENS1_25partition_config_selectorILNS1_17partition_subalgoE3EjNS0_10empty_typeEbEEZZNS1_14partition_implILS8_3ELb0ES6_jNS0_17counting_iteratorIjlEEPS9_SE_NS0_5tupleIJPjSE_EEENSF_IJSE_SE_EEES9_SG_JZNS1_25segmented_radix_sort_implINS0_14default_configELb1EPK12hip_bfloat16PSL_PKlPlN2at6native12_GLOBAL__N_18offset_tEEE10hipError_tPvRmT1_PNSt15iterator_traitsISZ_E10value_typeET2_T3_PNS10_IS15_E10value_typeET4_jRbjT5_S1B_jjP12ihipStream_tbEUljE_EEESW_SX_SY_S15_S19_S1B_T6_T7_T9_mT8_S1D_bDpT10_ENKUlT_T0_E_clISt17integral_constantIbLb1EES1P_IbLb0EEEEDaS1L_S1M_EUlS1L_E_NS1_11comp_targetILNS1_3genE0ELNS1_11target_archE4294967295ELNS1_3gpuE0ELNS1_3repE0EEENS1_30default_config_static_selectorELNS0_4arch9wavefront6targetE1EEEvSZ_
; %bb.0:
	.section	.rodata,"a",@progbits
	.p2align	6, 0x0
	.amdhsa_kernel _ZN7rocprim17ROCPRIM_400000_NS6detail17trampoline_kernelINS0_13select_configILj256ELj13ELNS0_17block_load_methodE3ELS4_3ELS4_3ELNS0_20block_scan_algorithmE0ELj4294967295EEENS1_25partition_config_selectorILNS1_17partition_subalgoE3EjNS0_10empty_typeEbEEZZNS1_14partition_implILS8_3ELb0ES6_jNS0_17counting_iteratorIjlEEPS9_SE_NS0_5tupleIJPjSE_EEENSF_IJSE_SE_EEES9_SG_JZNS1_25segmented_radix_sort_implINS0_14default_configELb1EPK12hip_bfloat16PSL_PKlPlN2at6native12_GLOBAL__N_18offset_tEEE10hipError_tPvRmT1_PNSt15iterator_traitsISZ_E10value_typeET2_T3_PNS10_IS15_E10value_typeET4_jRbjT5_S1B_jjP12ihipStream_tbEUljE_EEESW_SX_SY_S15_S19_S1B_T6_T7_T9_mT8_S1D_bDpT10_ENKUlT_T0_E_clISt17integral_constantIbLb1EES1P_IbLb0EEEEDaS1L_S1M_EUlS1L_E_NS1_11comp_targetILNS1_3genE0ELNS1_11target_archE4294967295ELNS1_3gpuE0ELNS1_3repE0EEENS1_30default_config_static_selectorELNS0_4arch9wavefront6targetE1EEEvSZ_
		.amdhsa_group_segment_fixed_size 0
		.amdhsa_private_segment_fixed_size 0
		.amdhsa_kernarg_size 144
		.amdhsa_user_sgpr_count 6
		.amdhsa_user_sgpr_private_segment_buffer 1
		.amdhsa_user_sgpr_dispatch_ptr 0
		.amdhsa_user_sgpr_queue_ptr 0
		.amdhsa_user_sgpr_kernarg_segment_ptr 1
		.amdhsa_user_sgpr_dispatch_id 0
		.amdhsa_user_sgpr_flat_scratch_init 0
		.amdhsa_user_sgpr_private_segment_size 0
		.amdhsa_uses_dynamic_stack 0
		.amdhsa_system_sgpr_private_segment_wavefront_offset 0
		.amdhsa_system_sgpr_workgroup_id_x 1
		.amdhsa_system_sgpr_workgroup_id_y 0
		.amdhsa_system_sgpr_workgroup_id_z 0
		.amdhsa_system_sgpr_workgroup_info 0
		.amdhsa_system_vgpr_workitem_id 0
		.amdhsa_next_free_vgpr 1
		.amdhsa_next_free_sgpr 0
		.amdhsa_reserve_vcc 0
		.amdhsa_reserve_flat_scratch 0
		.amdhsa_float_round_mode_32 0
		.amdhsa_float_round_mode_16_64 0
		.amdhsa_float_denorm_mode_32 3
		.amdhsa_float_denorm_mode_16_64 3
		.amdhsa_dx10_clamp 1
		.amdhsa_ieee_mode 1
		.amdhsa_fp16_overflow 0
		.amdhsa_exception_fp_ieee_invalid_op 0
		.amdhsa_exception_fp_denorm_src 0
		.amdhsa_exception_fp_ieee_div_zero 0
		.amdhsa_exception_fp_ieee_overflow 0
		.amdhsa_exception_fp_ieee_underflow 0
		.amdhsa_exception_fp_ieee_inexact 0
		.amdhsa_exception_int_div_zero 0
	.end_amdhsa_kernel
	.section	.text._ZN7rocprim17ROCPRIM_400000_NS6detail17trampoline_kernelINS0_13select_configILj256ELj13ELNS0_17block_load_methodE3ELS4_3ELS4_3ELNS0_20block_scan_algorithmE0ELj4294967295EEENS1_25partition_config_selectorILNS1_17partition_subalgoE3EjNS0_10empty_typeEbEEZZNS1_14partition_implILS8_3ELb0ES6_jNS0_17counting_iteratorIjlEEPS9_SE_NS0_5tupleIJPjSE_EEENSF_IJSE_SE_EEES9_SG_JZNS1_25segmented_radix_sort_implINS0_14default_configELb1EPK12hip_bfloat16PSL_PKlPlN2at6native12_GLOBAL__N_18offset_tEEE10hipError_tPvRmT1_PNSt15iterator_traitsISZ_E10value_typeET2_T3_PNS10_IS15_E10value_typeET4_jRbjT5_S1B_jjP12ihipStream_tbEUljE_EEESW_SX_SY_S15_S19_S1B_T6_T7_T9_mT8_S1D_bDpT10_ENKUlT_T0_E_clISt17integral_constantIbLb1EES1P_IbLb0EEEEDaS1L_S1M_EUlS1L_E_NS1_11comp_targetILNS1_3genE0ELNS1_11target_archE4294967295ELNS1_3gpuE0ELNS1_3repE0EEENS1_30default_config_static_selectorELNS0_4arch9wavefront6targetE1EEEvSZ_,"axG",@progbits,_ZN7rocprim17ROCPRIM_400000_NS6detail17trampoline_kernelINS0_13select_configILj256ELj13ELNS0_17block_load_methodE3ELS4_3ELS4_3ELNS0_20block_scan_algorithmE0ELj4294967295EEENS1_25partition_config_selectorILNS1_17partition_subalgoE3EjNS0_10empty_typeEbEEZZNS1_14partition_implILS8_3ELb0ES6_jNS0_17counting_iteratorIjlEEPS9_SE_NS0_5tupleIJPjSE_EEENSF_IJSE_SE_EEES9_SG_JZNS1_25segmented_radix_sort_implINS0_14default_configELb1EPK12hip_bfloat16PSL_PKlPlN2at6native12_GLOBAL__N_18offset_tEEE10hipError_tPvRmT1_PNSt15iterator_traitsISZ_E10value_typeET2_T3_PNS10_IS15_E10value_typeET4_jRbjT5_S1B_jjP12ihipStream_tbEUljE_EEESW_SX_SY_S15_S19_S1B_T6_T7_T9_mT8_S1D_bDpT10_ENKUlT_T0_E_clISt17integral_constantIbLb1EES1P_IbLb0EEEEDaS1L_S1M_EUlS1L_E_NS1_11comp_targetILNS1_3genE0ELNS1_11target_archE4294967295ELNS1_3gpuE0ELNS1_3repE0EEENS1_30default_config_static_selectorELNS0_4arch9wavefront6targetE1EEEvSZ_,comdat
.Lfunc_end1930:
	.size	_ZN7rocprim17ROCPRIM_400000_NS6detail17trampoline_kernelINS0_13select_configILj256ELj13ELNS0_17block_load_methodE3ELS4_3ELS4_3ELNS0_20block_scan_algorithmE0ELj4294967295EEENS1_25partition_config_selectorILNS1_17partition_subalgoE3EjNS0_10empty_typeEbEEZZNS1_14partition_implILS8_3ELb0ES6_jNS0_17counting_iteratorIjlEEPS9_SE_NS0_5tupleIJPjSE_EEENSF_IJSE_SE_EEES9_SG_JZNS1_25segmented_radix_sort_implINS0_14default_configELb1EPK12hip_bfloat16PSL_PKlPlN2at6native12_GLOBAL__N_18offset_tEEE10hipError_tPvRmT1_PNSt15iterator_traitsISZ_E10value_typeET2_T3_PNS10_IS15_E10value_typeET4_jRbjT5_S1B_jjP12ihipStream_tbEUljE_EEESW_SX_SY_S15_S19_S1B_T6_T7_T9_mT8_S1D_bDpT10_ENKUlT_T0_E_clISt17integral_constantIbLb1EES1P_IbLb0EEEEDaS1L_S1M_EUlS1L_E_NS1_11comp_targetILNS1_3genE0ELNS1_11target_archE4294967295ELNS1_3gpuE0ELNS1_3repE0EEENS1_30default_config_static_selectorELNS0_4arch9wavefront6targetE1EEEvSZ_, .Lfunc_end1930-_ZN7rocprim17ROCPRIM_400000_NS6detail17trampoline_kernelINS0_13select_configILj256ELj13ELNS0_17block_load_methodE3ELS4_3ELS4_3ELNS0_20block_scan_algorithmE0ELj4294967295EEENS1_25partition_config_selectorILNS1_17partition_subalgoE3EjNS0_10empty_typeEbEEZZNS1_14partition_implILS8_3ELb0ES6_jNS0_17counting_iteratorIjlEEPS9_SE_NS0_5tupleIJPjSE_EEENSF_IJSE_SE_EEES9_SG_JZNS1_25segmented_radix_sort_implINS0_14default_configELb1EPK12hip_bfloat16PSL_PKlPlN2at6native12_GLOBAL__N_18offset_tEEE10hipError_tPvRmT1_PNSt15iterator_traitsISZ_E10value_typeET2_T3_PNS10_IS15_E10value_typeET4_jRbjT5_S1B_jjP12ihipStream_tbEUljE_EEESW_SX_SY_S15_S19_S1B_T6_T7_T9_mT8_S1D_bDpT10_ENKUlT_T0_E_clISt17integral_constantIbLb1EES1P_IbLb0EEEEDaS1L_S1M_EUlS1L_E_NS1_11comp_targetILNS1_3genE0ELNS1_11target_archE4294967295ELNS1_3gpuE0ELNS1_3repE0EEENS1_30default_config_static_selectorELNS0_4arch9wavefront6targetE1EEEvSZ_
                                        ; -- End function
	.set _ZN7rocprim17ROCPRIM_400000_NS6detail17trampoline_kernelINS0_13select_configILj256ELj13ELNS0_17block_load_methodE3ELS4_3ELS4_3ELNS0_20block_scan_algorithmE0ELj4294967295EEENS1_25partition_config_selectorILNS1_17partition_subalgoE3EjNS0_10empty_typeEbEEZZNS1_14partition_implILS8_3ELb0ES6_jNS0_17counting_iteratorIjlEEPS9_SE_NS0_5tupleIJPjSE_EEENSF_IJSE_SE_EEES9_SG_JZNS1_25segmented_radix_sort_implINS0_14default_configELb1EPK12hip_bfloat16PSL_PKlPlN2at6native12_GLOBAL__N_18offset_tEEE10hipError_tPvRmT1_PNSt15iterator_traitsISZ_E10value_typeET2_T3_PNS10_IS15_E10value_typeET4_jRbjT5_S1B_jjP12ihipStream_tbEUljE_EEESW_SX_SY_S15_S19_S1B_T6_T7_T9_mT8_S1D_bDpT10_ENKUlT_T0_E_clISt17integral_constantIbLb1EES1P_IbLb0EEEEDaS1L_S1M_EUlS1L_E_NS1_11comp_targetILNS1_3genE0ELNS1_11target_archE4294967295ELNS1_3gpuE0ELNS1_3repE0EEENS1_30default_config_static_selectorELNS0_4arch9wavefront6targetE1EEEvSZ_.num_vgpr, 0
	.set _ZN7rocprim17ROCPRIM_400000_NS6detail17trampoline_kernelINS0_13select_configILj256ELj13ELNS0_17block_load_methodE3ELS4_3ELS4_3ELNS0_20block_scan_algorithmE0ELj4294967295EEENS1_25partition_config_selectorILNS1_17partition_subalgoE3EjNS0_10empty_typeEbEEZZNS1_14partition_implILS8_3ELb0ES6_jNS0_17counting_iteratorIjlEEPS9_SE_NS0_5tupleIJPjSE_EEENSF_IJSE_SE_EEES9_SG_JZNS1_25segmented_radix_sort_implINS0_14default_configELb1EPK12hip_bfloat16PSL_PKlPlN2at6native12_GLOBAL__N_18offset_tEEE10hipError_tPvRmT1_PNSt15iterator_traitsISZ_E10value_typeET2_T3_PNS10_IS15_E10value_typeET4_jRbjT5_S1B_jjP12ihipStream_tbEUljE_EEESW_SX_SY_S15_S19_S1B_T6_T7_T9_mT8_S1D_bDpT10_ENKUlT_T0_E_clISt17integral_constantIbLb1EES1P_IbLb0EEEEDaS1L_S1M_EUlS1L_E_NS1_11comp_targetILNS1_3genE0ELNS1_11target_archE4294967295ELNS1_3gpuE0ELNS1_3repE0EEENS1_30default_config_static_selectorELNS0_4arch9wavefront6targetE1EEEvSZ_.num_agpr, 0
	.set _ZN7rocprim17ROCPRIM_400000_NS6detail17trampoline_kernelINS0_13select_configILj256ELj13ELNS0_17block_load_methodE3ELS4_3ELS4_3ELNS0_20block_scan_algorithmE0ELj4294967295EEENS1_25partition_config_selectorILNS1_17partition_subalgoE3EjNS0_10empty_typeEbEEZZNS1_14partition_implILS8_3ELb0ES6_jNS0_17counting_iteratorIjlEEPS9_SE_NS0_5tupleIJPjSE_EEENSF_IJSE_SE_EEES9_SG_JZNS1_25segmented_radix_sort_implINS0_14default_configELb1EPK12hip_bfloat16PSL_PKlPlN2at6native12_GLOBAL__N_18offset_tEEE10hipError_tPvRmT1_PNSt15iterator_traitsISZ_E10value_typeET2_T3_PNS10_IS15_E10value_typeET4_jRbjT5_S1B_jjP12ihipStream_tbEUljE_EEESW_SX_SY_S15_S19_S1B_T6_T7_T9_mT8_S1D_bDpT10_ENKUlT_T0_E_clISt17integral_constantIbLb1EES1P_IbLb0EEEEDaS1L_S1M_EUlS1L_E_NS1_11comp_targetILNS1_3genE0ELNS1_11target_archE4294967295ELNS1_3gpuE0ELNS1_3repE0EEENS1_30default_config_static_selectorELNS0_4arch9wavefront6targetE1EEEvSZ_.numbered_sgpr, 0
	.set _ZN7rocprim17ROCPRIM_400000_NS6detail17trampoline_kernelINS0_13select_configILj256ELj13ELNS0_17block_load_methodE3ELS4_3ELS4_3ELNS0_20block_scan_algorithmE0ELj4294967295EEENS1_25partition_config_selectorILNS1_17partition_subalgoE3EjNS0_10empty_typeEbEEZZNS1_14partition_implILS8_3ELb0ES6_jNS0_17counting_iteratorIjlEEPS9_SE_NS0_5tupleIJPjSE_EEENSF_IJSE_SE_EEES9_SG_JZNS1_25segmented_radix_sort_implINS0_14default_configELb1EPK12hip_bfloat16PSL_PKlPlN2at6native12_GLOBAL__N_18offset_tEEE10hipError_tPvRmT1_PNSt15iterator_traitsISZ_E10value_typeET2_T3_PNS10_IS15_E10value_typeET4_jRbjT5_S1B_jjP12ihipStream_tbEUljE_EEESW_SX_SY_S15_S19_S1B_T6_T7_T9_mT8_S1D_bDpT10_ENKUlT_T0_E_clISt17integral_constantIbLb1EES1P_IbLb0EEEEDaS1L_S1M_EUlS1L_E_NS1_11comp_targetILNS1_3genE0ELNS1_11target_archE4294967295ELNS1_3gpuE0ELNS1_3repE0EEENS1_30default_config_static_selectorELNS0_4arch9wavefront6targetE1EEEvSZ_.num_named_barrier, 0
	.set _ZN7rocprim17ROCPRIM_400000_NS6detail17trampoline_kernelINS0_13select_configILj256ELj13ELNS0_17block_load_methodE3ELS4_3ELS4_3ELNS0_20block_scan_algorithmE0ELj4294967295EEENS1_25partition_config_selectorILNS1_17partition_subalgoE3EjNS0_10empty_typeEbEEZZNS1_14partition_implILS8_3ELb0ES6_jNS0_17counting_iteratorIjlEEPS9_SE_NS0_5tupleIJPjSE_EEENSF_IJSE_SE_EEES9_SG_JZNS1_25segmented_radix_sort_implINS0_14default_configELb1EPK12hip_bfloat16PSL_PKlPlN2at6native12_GLOBAL__N_18offset_tEEE10hipError_tPvRmT1_PNSt15iterator_traitsISZ_E10value_typeET2_T3_PNS10_IS15_E10value_typeET4_jRbjT5_S1B_jjP12ihipStream_tbEUljE_EEESW_SX_SY_S15_S19_S1B_T6_T7_T9_mT8_S1D_bDpT10_ENKUlT_T0_E_clISt17integral_constantIbLb1EES1P_IbLb0EEEEDaS1L_S1M_EUlS1L_E_NS1_11comp_targetILNS1_3genE0ELNS1_11target_archE4294967295ELNS1_3gpuE0ELNS1_3repE0EEENS1_30default_config_static_selectorELNS0_4arch9wavefront6targetE1EEEvSZ_.private_seg_size, 0
	.set _ZN7rocprim17ROCPRIM_400000_NS6detail17trampoline_kernelINS0_13select_configILj256ELj13ELNS0_17block_load_methodE3ELS4_3ELS4_3ELNS0_20block_scan_algorithmE0ELj4294967295EEENS1_25partition_config_selectorILNS1_17partition_subalgoE3EjNS0_10empty_typeEbEEZZNS1_14partition_implILS8_3ELb0ES6_jNS0_17counting_iteratorIjlEEPS9_SE_NS0_5tupleIJPjSE_EEENSF_IJSE_SE_EEES9_SG_JZNS1_25segmented_radix_sort_implINS0_14default_configELb1EPK12hip_bfloat16PSL_PKlPlN2at6native12_GLOBAL__N_18offset_tEEE10hipError_tPvRmT1_PNSt15iterator_traitsISZ_E10value_typeET2_T3_PNS10_IS15_E10value_typeET4_jRbjT5_S1B_jjP12ihipStream_tbEUljE_EEESW_SX_SY_S15_S19_S1B_T6_T7_T9_mT8_S1D_bDpT10_ENKUlT_T0_E_clISt17integral_constantIbLb1EES1P_IbLb0EEEEDaS1L_S1M_EUlS1L_E_NS1_11comp_targetILNS1_3genE0ELNS1_11target_archE4294967295ELNS1_3gpuE0ELNS1_3repE0EEENS1_30default_config_static_selectorELNS0_4arch9wavefront6targetE1EEEvSZ_.uses_vcc, 0
	.set _ZN7rocprim17ROCPRIM_400000_NS6detail17trampoline_kernelINS0_13select_configILj256ELj13ELNS0_17block_load_methodE3ELS4_3ELS4_3ELNS0_20block_scan_algorithmE0ELj4294967295EEENS1_25partition_config_selectorILNS1_17partition_subalgoE3EjNS0_10empty_typeEbEEZZNS1_14partition_implILS8_3ELb0ES6_jNS0_17counting_iteratorIjlEEPS9_SE_NS0_5tupleIJPjSE_EEENSF_IJSE_SE_EEES9_SG_JZNS1_25segmented_radix_sort_implINS0_14default_configELb1EPK12hip_bfloat16PSL_PKlPlN2at6native12_GLOBAL__N_18offset_tEEE10hipError_tPvRmT1_PNSt15iterator_traitsISZ_E10value_typeET2_T3_PNS10_IS15_E10value_typeET4_jRbjT5_S1B_jjP12ihipStream_tbEUljE_EEESW_SX_SY_S15_S19_S1B_T6_T7_T9_mT8_S1D_bDpT10_ENKUlT_T0_E_clISt17integral_constantIbLb1EES1P_IbLb0EEEEDaS1L_S1M_EUlS1L_E_NS1_11comp_targetILNS1_3genE0ELNS1_11target_archE4294967295ELNS1_3gpuE0ELNS1_3repE0EEENS1_30default_config_static_selectorELNS0_4arch9wavefront6targetE1EEEvSZ_.uses_flat_scratch, 0
	.set _ZN7rocprim17ROCPRIM_400000_NS6detail17trampoline_kernelINS0_13select_configILj256ELj13ELNS0_17block_load_methodE3ELS4_3ELS4_3ELNS0_20block_scan_algorithmE0ELj4294967295EEENS1_25partition_config_selectorILNS1_17partition_subalgoE3EjNS0_10empty_typeEbEEZZNS1_14partition_implILS8_3ELb0ES6_jNS0_17counting_iteratorIjlEEPS9_SE_NS0_5tupleIJPjSE_EEENSF_IJSE_SE_EEES9_SG_JZNS1_25segmented_radix_sort_implINS0_14default_configELb1EPK12hip_bfloat16PSL_PKlPlN2at6native12_GLOBAL__N_18offset_tEEE10hipError_tPvRmT1_PNSt15iterator_traitsISZ_E10value_typeET2_T3_PNS10_IS15_E10value_typeET4_jRbjT5_S1B_jjP12ihipStream_tbEUljE_EEESW_SX_SY_S15_S19_S1B_T6_T7_T9_mT8_S1D_bDpT10_ENKUlT_T0_E_clISt17integral_constantIbLb1EES1P_IbLb0EEEEDaS1L_S1M_EUlS1L_E_NS1_11comp_targetILNS1_3genE0ELNS1_11target_archE4294967295ELNS1_3gpuE0ELNS1_3repE0EEENS1_30default_config_static_selectorELNS0_4arch9wavefront6targetE1EEEvSZ_.has_dyn_sized_stack, 0
	.set _ZN7rocprim17ROCPRIM_400000_NS6detail17trampoline_kernelINS0_13select_configILj256ELj13ELNS0_17block_load_methodE3ELS4_3ELS4_3ELNS0_20block_scan_algorithmE0ELj4294967295EEENS1_25partition_config_selectorILNS1_17partition_subalgoE3EjNS0_10empty_typeEbEEZZNS1_14partition_implILS8_3ELb0ES6_jNS0_17counting_iteratorIjlEEPS9_SE_NS0_5tupleIJPjSE_EEENSF_IJSE_SE_EEES9_SG_JZNS1_25segmented_radix_sort_implINS0_14default_configELb1EPK12hip_bfloat16PSL_PKlPlN2at6native12_GLOBAL__N_18offset_tEEE10hipError_tPvRmT1_PNSt15iterator_traitsISZ_E10value_typeET2_T3_PNS10_IS15_E10value_typeET4_jRbjT5_S1B_jjP12ihipStream_tbEUljE_EEESW_SX_SY_S15_S19_S1B_T6_T7_T9_mT8_S1D_bDpT10_ENKUlT_T0_E_clISt17integral_constantIbLb1EES1P_IbLb0EEEEDaS1L_S1M_EUlS1L_E_NS1_11comp_targetILNS1_3genE0ELNS1_11target_archE4294967295ELNS1_3gpuE0ELNS1_3repE0EEENS1_30default_config_static_selectorELNS0_4arch9wavefront6targetE1EEEvSZ_.has_recursion, 0
	.set _ZN7rocprim17ROCPRIM_400000_NS6detail17trampoline_kernelINS0_13select_configILj256ELj13ELNS0_17block_load_methodE3ELS4_3ELS4_3ELNS0_20block_scan_algorithmE0ELj4294967295EEENS1_25partition_config_selectorILNS1_17partition_subalgoE3EjNS0_10empty_typeEbEEZZNS1_14partition_implILS8_3ELb0ES6_jNS0_17counting_iteratorIjlEEPS9_SE_NS0_5tupleIJPjSE_EEENSF_IJSE_SE_EEES9_SG_JZNS1_25segmented_radix_sort_implINS0_14default_configELb1EPK12hip_bfloat16PSL_PKlPlN2at6native12_GLOBAL__N_18offset_tEEE10hipError_tPvRmT1_PNSt15iterator_traitsISZ_E10value_typeET2_T3_PNS10_IS15_E10value_typeET4_jRbjT5_S1B_jjP12ihipStream_tbEUljE_EEESW_SX_SY_S15_S19_S1B_T6_T7_T9_mT8_S1D_bDpT10_ENKUlT_T0_E_clISt17integral_constantIbLb1EES1P_IbLb0EEEEDaS1L_S1M_EUlS1L_E_NS1_11comp_targetILNS1_3genE0ELNS1_11target_archE4294967295ELNS1_3gpuE0ELNS1_3repE0EEENS1_30default_config_static_selectorELNS0_4arch9wavefront6targetE1EEEvSZ_.has_indirect_call, 0
	.section	.AMDGPU.csdata,"",@progbits
; Kernel info:
; codeLenInByte = 0
; TotalNumSgprs: 4
; NumVgprs: 0
; ScratchSize: 0
; MemoryBound: 0
; FloatMode: 240
; IeeeMode: 1
; LDSByteSize: 0 bytes/workgroup (compile time only)
; SGPRBlocks: 0
; VGPRBlocks: 0
; NumSGPRsForWavesPerEU: 4
; NumVGPRsForWavesPerEU: 1
; Occupancy: 10
; WaveLimiterHint : 0
; COMPUTE_PGM_RSRC2:SCRATCH_EN: 0
; COMPUTE_PGM_RSRC2:USER_SGPR: 6
; COMPUTE_PGM_RSRC2:TRAP_HANDLER: 0
; COMPUTE_PGM_RSRC2:TGID_X_EN: 1
; COMPUTE_PGM_RSRC2:TGID_Y_EN: 0
; COMPUTE_PGM_RSRC2:TGID_Z_EN: 0
; COMPUTE_PGM_RSRC2:TIDIG_COMP_CNT: 0
	.section	.text._ZN7rocprim17ROCPRIM_400000_NS6detail17trampoline_kernelINS0_13select_configILj256ELj13ELNS0_17block_load_methodE3ELS4_3ELS4_3ELNS0_20block_scan_algorithmE0ELj4294967295EEENS1_25partition_config_selectorILNS1_17partition_subalgoE3EjNS0_10empty_typeEbEEZZNS1_14partition_implILS8_3ELb0ES6_jNS0_17counting_iteratorIjlEEPS9_SE_NS0_5tupleIJPjSE_EEENSF_IJSE_SE_EEES9_SG_JZNS1_25segmented_radix_sort_implINS0_14default_configELb1EPK12hip_bfloat16PSL_PKlPlN2at6native12_GLOBAL__N_18offset_tEEE10hipError_tPvRmT1_PNSt15iterator_traitsISZ_E10value_typeET2_T3_PNS10_IS15_E10value_typeET4_jRbjT5_S1B_jjP12ihipStream_tbEUljE_EEESW_SX_SY_S15_S19_S1B_T6_T7_T9_mT8_S1D_bDpT10_ENKUlT_T0_E_clISt17integral_constantIbLb1EES1P_IbLb0EEEEDaS1L_S1M_EUlS1L_E_NS1_11comp_targetILNS1_3genE5ELNS1_11target_archE942ELNS1_3gpuE9ELNS1_3repE0EEENS1_30default_config_static_selectorELNS0_4arch9wavefront6targetE1EEEvSZ_,"axG",@progbits,_ZN7rocprim17ROCPRIM_400000_NS6detail17trampoline_kernelINS0_13select_configILj256ELj13ELNS0_17block_load_methodE3ELS4_3ELS4_3ELNS0_20block_scan_algorithmE0ELj4294967295EEENS1_25partition_config_selectorILNS1_17partition_subalgoE3EjNS0_10empty_typeEbEEZZNS1_14partition_implILS8_3ELb0ES6_jNS0_17counting_iteratorIjlEEPS9_SE_NS0_5tupleIJPjSE_EEENSF_IJSE_SE_EEES9_SG_JZNS1_25segmented_radix_sort_implINS0_14default_configELb1EPK12hip_bfloat16PSL_PKlPlN2at6native12_GLOBAL__N_18offset_tEEE10hipError_tPvRmT1_PNSt15iterator_traitsISZ_E10value_typeET2_T3_PNS10_IS15_E10value_typeET4_jRbjT5_S1B_jjP12ihipStream_tbEUljE_EEESW_SX_SY_S15_S19_S1B_T6_T7_T9_mT8_S1D_bDpT10_ENKUlT_T0_E_clISt17integral_constantIbLb1EES1P_IbLb0EEEEDaS1L_S1M_EUlS1L_E_NS1_11comp_targetILNS1_3genE5ELNS1_11target_archE942ELNS1_3gpuE9ELNS1_3repE0EEENS1_30default_config_static_selectorELNS0_4arch9wavefront6targetE1EEEvSZ_,comdat
	.globl	_ZN7rocprim17ROCPRIM_400000_NS6detail17trampoline_kernelINS0_13select_configILj256ELj13ELNS0_17block_load_methodE3ELS4_3ELS4_3ELNS0_20block_scan_algorithmE0ELj4294967295EEENS1_25partition_config_selectorILNS1_17partition_subalgoE3EjNS0_10empty_typeEbEEZZNS1_14partition_implILS8_3ELb0ES6_jNS0_17counting_iteratorIjlEEPS9_SE_NS0_5tupleIJPjSE_EEENSF_IJSE_SE_EEES9_SG_JZNS1_25segmented_radix_sort_implINS0_14default_configELb1EPK12hip_bfloat16PSL_PKlPlN2at6native12_GLOBAL__N_18offset_tEEE10hipError_tPvRmT1_PNSt15iterator_traitsISZ_E10value_typeET2_T3_PNS10_IS15_E10value_typeET4_jRbjT5_S1B_jjP12ihipStream_tbEUljE_EEESW_SX_SY_S15_S19_S1B_T6_T7_T9_mT8_S1D_bDpT10_ENKUlT_T0_E_clISt17integral_constantIbLb1EES1P_IbLb0EEEEDaS1L_S1M_EUlS1L_E_NS1_11comp_targetILNS1_3genE5ELNS1_11target_archE942ELNS1_3gpuE9ELNS1_3repE0EEENS1_30default_config_static_selectorELNS0_4arch9wavefront6targetE1EEEvSZ_ ; -- Begin function _ZN7rocprim17ROCPRIM_400000_NS6detail17trampoline_kernelINS0_13select_configILj256ELj13ELNS0_17block_load_methodE3ELS4_3ELS4_3ELNS0_20block_scan_algorithmE0ELj4294967295EEENS1_25partition_config_selectorILNS1_17partition_subalgoE3EjNS0_10empty_typeEbEEZZNS1_14partition_implILS8_3ELb0ES6_jNS0_17counting_iteratorIjlEEPS9_SE_NS0_5tupleIJPjSE_EEENSF_IJSE_SE_EEES9_SG_JZNS1_25segmented_radix_sort_implINS0_14default_configELb1EPK12hip_bfloat16PSL_PKlPlN2at6native12_GLOBAL__N_18offset_tEEE10hipError_tPvRmT1_PNSt15iterator_traitsISZ_E10value_typeET2_T3_PNS10_IS15_E10value_typeET4_jRbjT5_S1B_jjP12ihipStream_tbEUljE_EEESW_SX_SY_S15_S19_S1B_T6_T7_T9_mT8_S1D_bDpT10_ENKUlT_T0_E_clISt17integral_constantIbLb1EES1P_IbLb0EEEEDaS1L_S1M_EUlS1L_E_NS1_11comp_targetILNS1_3genE5ELNS1_11target_archE942ELNS1_3gpuE9ELNS1_3repE0EEENS1_30default_config_static_selectorELNS0_4arch9wavefront6targetE1EEEvSZ_
	.p2align	8
	.type	_ZN7rocprim17ROCPRIM_400000_NS6detail17trampoline_kernelINS0_13select_configILj256ELj13ELNS0_17block_load_methodE3ELS4_3ELS4_3ELNS0_20block_scan_algorithmE0ELj4294967295EEENS1_25partition_config_selectorILNS1_17partition_subalgoE3EjNS0_10empty_typeEbEEZZNS1_14partition_implILS8_3ELb0ES6_jNS0_17counting_iteratorIjlEEPS9_SE_NS0_5tupleIJPjSE_EEENSF_IJSE_SE_EEES9_SG_JZNS1_25segmented_radix_sort_implINS0_14default_configELb1EPK12hip_bfloat16PSL_PKlPlN2at6native12_GLOBAL__N_18offset_tEEE10hipError_tPvRmT1_PNSt15iterator_traitsISZ_E10value_typeET2_T3_PNS10_IS15_E10value_typeET4_jRbjT5_S1B_jjP12ihipStream_tbEUljE_EEESW_SX_SY_S15_S19_S1B_T6_T7_T9_mT8_S1D_bDpT10_ENKUlT_T0_E_clISt17integral_constantIbLb1EES1P_IbLb0EEEEDaS1L_S1M_EUlS1L_E_NS1_11comp_targetILNS1_3genE5ELNS1_11target_archE942ELNS1_3gpuE9ELNS1_3repE0EEENS1_30default_config_static_selectorELNS0_4arch9wavefront6targetE1EEEvSZ_,@function
_ZN7rocprim17ROCPRIM_400000_NS6detail17trampoline_kernelINS0_13select_configILj256ELj13ELNS0_17block_load_methodE3ELS4_3ELS4_3ELNS0_20block_scan_algorithmE0ELj4294967295EEENS1_25partition_config_selectorILNS1_17partition_subalgoE3EjNS0_10empty_typeEbEEZZNS1_14partition_implILS8_3ELb0ES6_jNS0_17counting_iteratorIjlEEPS9_SE_NS0_5tupleIJPjSE_EEENSF_IJSE_SE_EEES9_SG_JZNS1_25segmented_radix_sort_implINS0_14default_configELb1EPK12hip_bfloat16PSL_PKlPlN2at6native12_GLOBAL__N_18offset_tEEE10hipError_tPvRmT1_PNSt15iterator_traitsISZ_E10value_typeET2_T3_PNS10_IS15_E10value_typeET4_jRbjT5_S1B_jjP12ihipStream_tbEUljE_EEESW_SX_SY_S15_S19_S1B_T6_T7_T9_mT8_S1D_bDpT10_ENKUlT_T0_E_clISt17integral_constantIbLb1EES1P_IbLb0EEEEDaS1L_S1M_EUlS1L_E_NS1_11comp_targetILNS1_3genE5ELNS1_11target_archE942ELNS1_3gpuE9ELNS1_3repE0EEENS1_30default_config_static_selectorELNS0_4arch9wavefront6targetE1EEEvSZ_: ; @_ZN7rocprim17ROCPRIM_400000_NS6detail17trampoline_kernelINS0_13select_configILj256ELj13ELNS0_17block_load_methodE3ELS4_3ELS4_3ELNS0_20block_scan_algorithmE0ELj4294967295EEENS1_25partition_config_selectorILNS1_17partition_subalgoE3EjNS0_10empty_typeEbEEZZNS1_14partition_implILS8_3ELb0ES6_jNS0_17counting_iteratorIjlEEPS9_SE_NS0_5tupleIJPjSE_EEENSF_IJSE_SE_EEES9_SG_JZNS1_25segmented_radix_sort_implINS0_14default_configELb1EPK12hip_bfloat16PSL_PKlPlN2at6native12_GLOBAL__N_18offset_tEEE10hipError_tPvRmT1_PNSt15iterator_traitsISZ_E10value_typeET2_T3_PNS10_IS15_E10value_typeET4_jRbjT5_S1B_jjP12ihipStream_tbEUljE_EEESW_SX_SY_S15_S19_S1B_T6_T7_T9_mT8_S1D_bDpT10_ENKUlT_T0_E_clISt17integral_constantIbLb1EES1P_IbLb0EEEEDaS1L_S1M_EUlS1L_E_NS1_11comp_targetILNS1_3genE5ELNS1_11target_archE942ELNS1_3gpuE9ELNS1_3repE0EEENS1_30default_config_static_selectorELNS0_4arch9wavefront6targetE1EEEvSZ_
; %bb.0:
	.section	.rodata,"a",@progbits
	.p2align	6, 0x0
	.amdhsa_kernel _ZN7rocprim17ROCPRIM_400000_NS6detail17trampoline_kernelINS0_13select_configILj256ELj13ELNS0_17block_load_methodE3ELS4_3ELS4_3ELNS0_20block_scan_algorithmE0ELj4294967295EEENS1_25partition_config_selectorILNS1_17partition_subalgoE3EjNS0_10empty_typeEbEEZZNS1_14partition_implILS8_3ELb0ES6_jNS0_17counting_iteratorIjlEEPS9_SE_NS0_5tupleIJPjSE_EEENSF_IJSE_SE_EEES9_SG_JZNS1_25segmented_radix_sort_implINS0_14default_configELb1EPK12hip_bfloat16PSL_PKlPlN2at6native12_GLOBAL__N_18offset_tEEE10hipError_tPvRmT1_PNSt15iterator_traitsISZ_E10value_typeET2_T3_PNS10_IS15_E10value_typeET4_jRbjT5_S1B_jjP12ihipStream_tbEUljE_EEESW_SX_SY_S15_S19_S1B_T6_T7_T9_mT8_S1D_bDpT10_ENKUlT_T0_E_clISt17integral_constantIbLb1EES1P_IbLb0EEEEDaS1L_S1M_EUlS1L_E_NS1_11comp_targetILNS1_3genE5ELNS1_11target_archE942ELNS1_3gpuE9ELNS1_3repE0EEENS1_30default_config_static_selectorELNS0_4arch9wavefront6targetE1EEEvSZ_
		.amdhsa_group_segment_fixed_size 0
		.amdhsa_private_segment_fixed_size 0
		.amdhsa_kernarg_size 144
		.amdhsa_user_sgpr_count 6
		.amdhsa_user_sgpr_private_segment_buffer 1
		.amdhsa_user_sgpr_dispatch_ptr 0
		.amdhsa_user_sgpr_queue_ptr 0
		.amdhsa_user_sgpr_kernarg_segment_ptr 1
		.amdhsa_user_sgpr_dispatch_id 0
		.amdhsa_user_sgpr_flat_scratch_init 0
		.amdhsa_user_sgpr_private_segment_size 0
		.amdhsa_uses_dynamic_stack 0
		.amdhsa_system_sgpr_private_segment_wavefront_offset 0
		.amdhsa_system_sgpr_workgroup_id_x 1
		.amdhsa_system_sgpr_workgroup_id_y 0
		.amdhsa_system_sgpr_workgroup_id_z 0
		.amdhsa_system_sgpr_workgroup_info 0
		.amdhsa_system_vgpr_workitem_id 0
		.amdhsa_next_free_vgpr 1
		.amdhsa_next_free_sgpr 0
		.amdhsa_reserve_vcc 0
		.amdhsa_reserve_flat_scratch 0
		.amdhsa_float_round_mode_32 0
		.amdhsa_float_round_mode_16_64 0
		.amdhsa_float_denorm_mode_32 3
		.amdhsa_float_denorm_mode_16_64 3
		.amdhsa_dx10_clamp 1
		.amdhsa_ieee_mode 1
		.amdhsa_fp16_overflow 0
		.amdhsa_exception_fp_ieee_invalid_op 0
		.amdhsa_exception_fp_denorm_src 0
		.amdhsa_exception_fp_ieee_div_zero 0
		.amdhsa_exception_fp_ieee_overflow 0
		.amdhsa_exception_fp_ieee_underflow 0
		.amdhsa_exception_fp_ieee_inexact 0
		.amdhsa_exception_int_div_zero 0
	.end_amdhsa_kernel
	.section	.text._ZN7rocprim17ROCPRIM_400000_NS6detail17trampoline_kernelINS0_13select_configILj256ELj13ELNS0_17block_load_methodE3ELS4_3ELS4_3ELNS0_20block_scan_algorithmE0ELj4294967295EEENS1_25partition_config_selectorILNS1_17partition_subalgoE3EjNS0_10empty_typeEbEEZZNS1_14partition_implILS8_3ELb0ES6_jNS0_17counting_iteratorIjlEEPS9_SE_NS0_5tupleIJPjSE_EEENSF_IJSE_SE_EEES9_SG_JZNS1_25segmented_radix_sort_implINS0_14default_configELb1EPK12hip_bfloat16PSL_PKlPlN2at6native12_GLOBAL__N_18offset_tEEE10hipError_tPvRmT1_PNSt15iterator_traitsISZ_E10value_typeET2_T3_PNS10_IS15_E10value_typeET4_jRbjT5_S1B_jjP12ihipStream_tbEUljE_EEESW_SX_SY_S15_S19_S1B_T6_T7_T9_mT8_S1D_bDpT10_ENKUlT_T0_E_clISt17integral_constantIbLb1EES1P_IbLb0EEEEDaS1L_S1M_EUlS1L_E_NS1_11comp_targetILNS1_3genE5ELNS1_11target_archE942ELNS1_3gpuE9ELNS1_3repE0EEENS1_30default_config_static_selectorELNS0_4arch9wavefront6targetE1EEEvSZ_,"axG",@progbits,_ZN7rocprim17ROCPRIM_400000_NS6detail17trampoline_kernelINS0_13select_configILj256ELj13ELNS0_17block_load_methodE3ELS4_3ELS4_3ELNS0_20block_scan_algorithmE0ELj4294967295EEENS1_25partition_config_selectorILNS1_17partition_subalgoE3EjNS0_10empty_typeEbEEZZNS1_14partition_implILS8_3ELb0ES6_jNS0_17counting_iteratorIjlEEPS9_SE_NS0_5tupleIJPjSE_EEENSF_IJSE_SE_EEES9_SG_JZNS1_25segmented_radix_sort_implINS0_14default_configELb1EPK12hip_bfloat16PSL_PKlPlN2at6native12_GLOBAL__N_18offset_tEEE10hipError_tPvRmT1_PNSt15iterator_traitsISZ_E10value_typeET2_T3_PNS10_IS15_E10value_typeET4_jRbjT5_S1B_jjP12ihipStream_tbEUljE_EEESW_SX_SY_S15_S19_S1B_T6_T7_T9_mT8_S1D_bDpT10_ENKUlT_T0_E_clISt17integral_constantIbLb1EES1P_IbLb0EEEEDaS1L_S1M_EUlS1L_E_NS1_11comp_targetILNS1_3genE5ELNS1_11target_archE942ELNS1_3gpuE9ELNS1_3repE0EEENS1_30default_config_static_selectorELNS0_4arch9wavefront6targetE1EEEvSZ_,comdat
.Lfunc_end1931:
	.size	_ZN7rocprim17ROCPRIM_400000_NS6detail17trampoline_kernelINS0_13select_configILj256ELj13ELNS0_17block_load_methodE3ELS4_3ELS4_3ELNS0_20block_scan_algorithmE0ELj4294967295EEENS1_25partition_config_selectorILNS1_17partition_subalgoE3EjNS0_10empty_typeEbEEZZNS1_14partition_implILS8_3ELb0ES6_jNS0_17counting_iteratorIjlEEPS9_SE_NS0_5tupleIJPjSE_EEENSF_IJSE_SE_EEES9_SG_JZNS1_25segmented_radix_sort_implINS0_14default_configELb1EPK12hip_bfloat16PSL_PKlPlN2at6native12_GLOBAL__N_18offset_tEEE10hipError_tPvRmT1_PNSt15iterator_traitsISZ_E10value_typeET2_T3_PNS10_IS15_E10value_typeET4_jRbjT5_S1B_jjP12ihipStream_tbEUljE_EEESW_SX_SY_S15_S19_S1B_T6_T7_T9_mT8_S1D_bDpT10_ENKUlT_T0_E_clISt17integral_constantIbLb1EES1P_IbLb0EEEEDaS1L_S1M_EUlS1L_E_NS1_11comp_targetILNS1_3genE5ELNS1_11target_archE942ELNS1_3gpuE9ELNS1_3repE0EEENS1_30default_config_static_selectorELNS0_4arch9wavefront6targetE1EEEvSZ_, .Lfunc_end1931-_ZN7rocprim17ROCPRIM_400000_NS6detail17trampoline_kernelINS0_13select_configILj256ELj13ELNS0_17block_load_methodE3ELS4_3ELS4_3ELNS0_20block_scan_algorithmE0ELj4294967295EEENS1_25partition_config_selectorILNS1_17partition_subalgoE3EjNS0_10empty_typeEbEEZZNS1_14partition_implILS8_3ELb0ES6_jNS0_17counting_iteratorIjlEEPS9_SE_NS0_5tupleIJPjSE_EEENSF_IJSE_SE_EEES9_SG_JZNS1_25segmented_radix_sort_implINS0_14default_configELb1EPK12hip_bfloat16PSL_PKlPlN2at6native12_GLOBAL__N_18offset_tEEE10hipError_tPvRmT1_PNSt15iterator_traitsISZ_E10value_typeET2_T3_PNS10_IS15_E10value_typeET4_jRbjT5_S1B_jjP12ihipStream_tbEUljE_EEESW_SX_SY_S15_S19_S1B_T6_T7_T9_mT8_S1D_bDpT10_ENKUlT_T0_E_clISt17integral_constantIbLb1EES1P_IbLb0EEEEDaS1L_S1M_EUlS1L_E_NS1_11comp_targetILNS1_3genE5ELNS1_11target_archE942ELNS1_3gpuE9ELNS1_3repE0EEENS1_30default_config_static_selectorELNS0_4arch9wavefront6targetE1EEEvSZ_
                                        ; -- End function
	.set _ZN7rocprim17ROCPRIM_400000_NS6detail17trampoline_kernelINS0_13select_configILj256ELj13ELNS0_17block_load_methodE3ELS4_3ELS4_3ELNS0_20block_scan_algorithmE0ELj4294967295EEENS1_25partition_config_selectorILNS1_17partition_subalgoE3EjNS0_10empty_typeEbEEZZNS1_14partition_implILS8_3ELb0ES6_jNS0_17counting_iteratorIjlEEPS9_SE_NS0_5tupleIJPjSE_EEENSF_IJSE_SE_EEES9_SG_JZNS1_25segmented_radix_sort_implINS0_14default_configELb1EPK12hip_bfloat16PSL_PKlPlN2at6native12_GLOBAL__N_18offset_tEEE10hipError_tPvRmT1_PNSt15iterator_traitsISZ_E10value_typeET2_T3_PNS10_IS15_E10value_typeET4_jRbjT5_S1B_jjP12ihipStream_tbEUljE_EEESW_SX_SY_S15_S19_S1B_T6_T7_T9_mT8_S1D_bDpT10_ENKUlT_T0_E_clISt17integral_constantIbLb1EES1P_IbLb0EEEEDaS1L_S1M_EUlS1L_E_NS1_11comp_targetILNS1_3genE5ELNS1_11target_archE942ELNS1_3gpuE9ELNS1_3repE0EEENS1_30default_config_static_selectorELNS0_4arch9wavefront6targetE1EEEvSZ_.num_vgpr, 0
	.set _ZN7rocprim17ROCPRIM_400000_NS6detail17trampoline_kernelINS0_13select_configILj256ELj13ELNS0_17block_load_methodE3ELS4_3ELS4_3ELNS0_20block_scan_algorithmE0ELj4294967295EEENS1_25partition_config_selectorILNS1_17partition_subalgoE3EjNS0_10empty_typeEbEEZZNS1_14partition_implILS8_3ELb0ES6_jNS0_17counting_iteratorIjlEEPS9_SE_NS0_5tupleIJPjSE_EEENSF_IJSE_SE_EEES9_SG_JZNS1_25segmented_radix_sort_implINS0_14default_configELb1EPK12hip_bfloat16PSL_PKlPlN2at6native12_GLOBAL__N_18offset_tEEE10hipError_tPvRmT1_PNSt15iterator_traitsISZ_E10value_typeET2_T3_PNS10_IS15_E10value_typeET4_jRbjT5_S1B_jjP12ihipStream_tbEUljE_EEESW_SX_SY_S15_S19_S1B_T6_T7_T9_mT8_S1D_bDpT10_ENKUlT_T0_E_clISt17integral_constantIbLb1EES1P_IbLb0EEEEDaS1L_S1M_EUlS1L_E_NS1_11comp_targetILNS1_3genE5ELNS1_11target_archE942ELNS1_3gpuE9ELNS1_3repE0EEENS1_30default_config_static_selectorELNS0_4arch9wavefront6targetE1EEEvSZ_.num_agpr, 0
	.set _ZN7rocprim17ROCPRIM_400000_NS6detail17trampoline_kernelINS0_13select_configILj256ELj13ELNS0_17block_load_methodE3ELS4_3ELS4_3ELNS0_20block_scan_algorithmE0ELj4294967295EEENS1_25partition_config_selectorILNS1_17partition_subalgoE3EjNS0_10empty_typeEbEEZZNS1_14partition_implILS8_3ELb0ES6_jNS0_17counting_iteratorIjlEEPS9_SE_NS0_5tupleIJPjSE_EEENSF_IJSE_SE_EEES9_SG_JZNS1_25segmented_radix_sort_implINS0_14default_configELb1EPK12hip_bfloat16PSL_PKlPlN2at6native12_GLOBAL__N_18offset_tEEE10hipError_tPvRmT1_PNSt15iterator_traitsISZ_E10value_typeET2_T3_PNS10_IS15_E10value_typeET4_jRbjT5_S1B_jjP12ihipStream_tbEUljE_EEESW_SX_SY_S15_S19_S1B_T6_T7_T9_mT8_S1D_bDpT10_ENKUlT_T0_E_clISt17integral_constantIbLb1EES1P_IbLb0EEEEDaS1L_S1M_EUlS1L_E_NS1_11comp_targetILNS1_3genE5ELNS1_11target_archE942ELNS1_3gpuE9ELNS1_3repE0EEENS1_30default_config_static_selectorELNS0_4arch9wavefront6targetE1EEEvSZ_.numbered_sgpr, 0
	.set _ZN7rocprim17ROCPRIM_400000_NS6detail17trampoline_kernelINS0_13select_configILj256ELj13ELNS0_17block_load_methodE3ELS4_3ELS4_3ELNS0_20block_scan_algorithmE0ELj4294967295EEENS1_25partition_config_selectorILNS1_17partition_subalgoE3EjNS0_10empty_typeEbEEZZNS1_14partition_implILS8_3ELb0ES6_jNS0_17counting_iteratorIjlEEPS9_SE_NS0_5tupleIJPjSE_EEENSF_IJSE_SE_EEES9_SG_JZNS1_25segmented_radix_sort_implINS0_14default_configELb1EPK12hip_bfloat16PSL_PKlPlN2at6native12_GLOBAL__N_18offset_tEEE10hipError_tPvRmT1_PNSt15iterator_traitsISZ_E10value_typeET2_T3_PNS10_IS15_E10value_typeET4_jRbjT5_S1B_jjP12ihipStream_tbEUljE_EEESW_SX_SY_S15_S19_S1B_T6_T7_T9_mT8_S1D_bDpT10_ENKUlT_T0_E_clISt17integral_constantIbLb1EES1P_IbLb0EEEEDaS1L_S1M_EUlS1L_E_NS1_11comp_targetILNS1_3genE5ELNS1_11target_archE942ELNS1_3gpuE9ELNS1_3repE0EEENS1_30default_config_static_selectorELNS0_4arch9wavefront6targetE1EEEvSZ_.num_named_barrier, 0
	.set _ZN7rocprim17ROCPRIM_400000_NS6detail17trampoline_kernelINS0_13select_configILj256ELj13ELNS0_17block_load_methodE3ELS4_3ELS4_3ELNS0_20block_scan_algorithmE0ELj4294967295EEENS1_25partition_config_selectorILNS1_17partition_subalgoE3EjNS0_10empty_typeEbEEZZNS1_14partition_implILS8_3ELb0ES6_jNS0_17counting_iteratorIjlEEPS9_SE_NS0_5tupleIJPjSE_EEENSF_IJSE_SE_EEES9_SG_JZNS1_25segmented_radix_sort_implINS0_14default_configELb1EPK12hip_bfloat16PSL_PKlPlN2at6native12_GLOBAL__N_18offset_tEEE10hipError_tPvRmT1_PNSt15iterator_traitsISZ_E10value_typeET2_T3_PNS10_IS15_E10value_typeET4_jRbjT5_S1B_jjP12ihipStream_tbEUljE_EEESW_SX_SY_S15_S19_S1B_T6_T7_T9_mT8_S1D_bDpT10_ENKUlT_T0_E_clISt17integral_constantIbLb1EES1P_IbLb0EEEEDaS1L_S1M_EUlS1L_E_NS1_11comp_targetILNS1_3genE5ELNS1_11target_archE942ELNS1_3gpuE9ELNS1_3repE0EEENS1_30default_config_static_selectorELNS0_4arch9wavefront6targetE1EEEvSZ_.private_seg_size, 0
	.set _ZN7rocprim17ROCPRIM_400000_NS6detail17trampoline_kernelINS0_13select_configILj256ELj13ELNS0_17block_load_methodE3ELS4_3ELS4_3ELNS0_20block_scan_algorithmE0ELj4294967295EEENS1_25partition_config_selectorILNS1_17partition_subalgoE3EjNS0_10empty_typeEbEEZZNS1_14partition_implILS8_3ELb0ES6_jNS0_17counting_iteratorIjlEEPS9_SE_NS0_5tupleIJPjSE_EEENSF_IJSE_SE_EEES9_SG_JZNS1_25segmented_radix_sort_implINS0_14default_configELb1EPK12hip_bfloat16PSL_PKlPlN2at6native12_GLOBAL__N_18offset_tEEE10hipError_tPvRmT1_PNSt15iterator_traitsISZ_E10value_typeET2_T3_PNS10_IS15_E10value_typeET4_jRbjT5_S1B_jjP12ihipStream_tbEUljE_EEESW_SX_SY_S15_S19_S1B_T6_T7_T9_mT8_S1D_bDpT10_ENKUlT_T0_E_clISt17integral_constantIbLb1EES1P_IbLb0EEEEDaS1L_S1M_EUlS1L_E_NS1_11comp_targetILNS1_3genE5ELNS1_11target_archE942ELNS1_3gpuE9ELNS1_3repE0EEENS1_30default_config_static_selectorELNS0_4arch9wavefront6targetE1EEEvSZ_.uses_vcc, 0
	.set _ZN7rocprim17ROCPRIM_400000_NS6detail17trampoline_kernelINS0_13select_configILj256ELj13ELNS0_17block_load_methodE3ELS4_3ELS4_3ELNS0_20block_scan_algorithmE0ELj4294967295EEENS1_25partition_config_selectorILNS1_17partition_subalgoE3EjNS0_10empty_typeEbEEZZNS1_14partition_implILS8_3ELb0ES6_jNS0_17counting_iteratorIjlEEPS9_SE_NS0_5tupleIJPjSE_EEENSF_IJSE_SE_EEES9_SG_JZNS1_25segmented_radix_sort_implINS0_14default_configELb1EPK12hip_bfloat16PSL_PKlPlN2at6native12_GLOBAL__N_18offset_tEEE10hipError_tPvRmT1_PNSt15iterator_traitsISZ_E10value_typeET2_T3_PNS10_IS15_E10value_typeET4_jRbjT5_S1B_jjP12ihipStream_tbEUljE_EEESW_SX_SY_S15_S19_S1B_T6_T7_T9_mT8_S1D_bDpT10_ENKUlT_T0_E_clISt17integral_constantIbLb1EES1P_IbLb0EEEEDaS1L_S1M_EUlS1L_E_NS1_11comp_targetILNS1_3genE5ELNS1_11target_archE942ELNS1_3gpuE9ELNS1_3repE0EEENS1_30default_config_static_selectorELNS0_4arch9wavefront6targetE1EEEvSZ_.uses_flat_scratch, 0
	.set _ZN7rocprim17ROCPRIM_400000_NS6detail17trampoline_kernelINS0_13select_configILj256ELj13ELNS0_17block_load_methodE3ELS4_3ELS4_3ELNS0_20block_scan_algorithmE0ELj4294967295EEENS1_25partition_config_selectorILNS1_17partition_subalgoE3EjNS0_10empty_typeEbEEZZNS1_14partition_implILS8_3ELb0ES6_jNS0_17counting_iteratorIjlEEPS9_SE_NS0_5tupleIJPjSE_EEENSF_IJSE_SE_EEES9_SG_JZNS1_25segmented_radix_sort_implINS0_14default_configELb1EPK12hip_bfloat16PSL_PKlPlN2at6native12_GLOBAL__N_18offset_tEEE10hipError_tPvRmT1_PNSt15iterator_traitsISZ_E10value_typeET2_T3_PNS10_IS15_E10value_typeET4_jRbjT5_S1B_jjP12ihipStream_tbEUljE_EEESW_SX_SY_S15_S19_S1B_T6_T7_T9_mT8_S1D_bDpT10_ENKUlT_T0_E_clISt17integral_constantIbLb1EES1P_IbLb0EEEEDaS1L_S1M_EUlS1L_E_NS1_11comp_targetILNS1_3genE5ELNS1_11target_archE942ELNS1_3gpuE9ELNS1_3repE0EEENS1_30default_config_static_selectorELNS0_4arch9wavefront6targetE1EEEvSZ_.has_dyn_sized_stack, 0
	.set _ZN7rocprim17ROCPRIM_400000_NS6detail17trampoline_kernelINS0_13select_configILj256ELj13ELNS0_17block_load_methodE3ELS4_3ELS4_3ELNS0_20block_scan_algorithmE0ELj4294967295EEENS1_25partition_config_selectorILNS1_17partition_subalgoE3EjNS0_10empty_typeEbEEZZNS1_14partition_implILS8_3ELb0ES6_jNS0_17counting_iteratorIjlEEPS9_SE_NS0_5tupleIJPjSE_EEENSF_IJSE_SE_EEES9_SG_JZNS1_25segmented_radix_sort_implINS0_14default_configELb1EPK12hip_bfloat16PSL_PKlPlN2at6native12_GLOBAL__N_18offset_tEEE10hipError_tPvRmT1_PNSt15iterator_traitsISZ_E10value_typeET2_T3_PNS10_IS15_E10value_typeET4_jRbjT5_S1B_jjP12ihipStream_tbEUljE_EEESW_SX_SY_S15_S19_S1B_T6_T7_T9_mT8_S1D_bDpT10_ENKUlT_T0_E_clISt17integral_constantIbLb1EES1P_IbLb0EEEEDaS1L_S1M_EUlS1L_E_NS1_11comp_targetILNS1_3genE5ELNS1_11target_archE942ELNS1_3gpuE9ELNS1_3repE0EEENS1_30default_config_static_selectorELNS0_4arch9wavefront6targetE1EEEvSZ_.has_recursion, 0
	.set _ZN7rocprim17ROCPRIM_400000_NS6detail17trampoline_kernelINS0_13select_configILj256ELj13ELNS0_17block_load_methodE3ELS4_3ELS4_3ELNS0_20block_scan_algorithmE0ELj4294967295EEENS1_25partition_config_selectorILNS1_17partition_subalgoE3EjNS0_10empty_typeEbEEZZNS1_14partition_implILS8_3ELb0ES6_jNS0_17counting_iteratorIjlEEPS9_SE_NS0_5tupleIJPjSE_EEENSF_IJSE_SE_EEES9_SG_JZNS1_25segmented_radix_sort_implINS0_14default_configELb1EPK12hip_bfloat16PSL_PKlPlN2at6native12_GLOBAL__N_18offset_tEEE10hipError_tPvRmT1_PNSt15iterator_traitsISZ_E10value_typeET2_T3_PNS10_IS15_E10value_typeET4_jRbjT5_S1B_jjP12ihipStream_tbEUljE_EEESW_SX_SY_S15_S19_S1B_T6_T7_T9_mT8_S1D_bDpT10_ENKUlT_T0_E_clISt17integral_constantIbLb1EES1P_IbLb0EEEEDaS1L_S1M_EUlS1L_E_NS1_11comp_targetILNS1_3genE5ELNS1_11target_archE942ELNS1_3gpuE9ELNS1_3repE0EEENS1_30default_config_static_selectorELNS0_4arch9wavefront6targetE1EEEvSZ_.has_indirect_call, 0
	.section	.AMDGPU.csdata,"",@progbits
; Kernel info:
; codeLenInByte = 0
; TotalNumSgprs: 4
; NumVgprs: 0
; ScratchSize: 0
; MemoryBound: 0
; FloatMode: 240
; IeeeMode: 1
; LDSByteSize: 0 bytes/workgroup (compile time only)
; SGPRBlocks: 0
; VGPRBlocks: 0
; NumSGPRsForWavesPerEU: 4
; NumVGPRsForWavesPerEU: 1
; Occupancy: 10
; WaveLimiterHint : 0
; COMPUTE_PGM_RSRC2:SCRATCH_EN: 0
; COMPUTE_PGM_RSRC2:USER_SGPR: 6
; COMPUTE_PGM_RSRC2:TRAP_HANDLER: 0
; COMPUTE_PGM_RSRC2:TGID_X_EN: 1
; COMPUTE_PGM_RSRC2:TGID_Y_EN: 0
; COMPUTE_PGM_RSRC2:TGID_Z_EN: 0
; COMPUTE_PGM_RSRC2:TIDIG_COMP_CNT: 0
	.section	.text._ZN7rocprim17ROCPRIM_400000_NS6detail17trampoline_kernelINS0_13select_configILj256ELj13ELNS0_17block_load_methodE3ELS4_3ELS4_3ELNS0_20block_scan_algorithmE0ELj4294967295EEENS1_25partition_config_selectorILNS1_17partition_subalgoE3EjNS0_10empty_typeEbEEZZNS1_14partition_implILS8_3ELb0ES6_jNS0_17counting_iteratorIjlEEPS9_SE_NS0_5tupleIJPjSE_EEENSF_IJSE_SE_EEES9_SG_JZNS1_25segmented_radix_sort_implINS0_14default_configELb1EPK12hip_bfloat16PSL_PKlPlN2at6native12_GLOBAL__N_18offset_tEEE10hipError_tPvRmT1_PNSt15iterator_traitsISZ_E10value_typeET2_T3_PNS10_IS15_E10value_typeET4_jRbjT5_S1B_jjP12ihipStream_tbEUljE_EEESW_SX_SY_S15_S19_S1B_T6_T7_T9_mT8_S1D_bDpT10_ENKUlT_T0_E_clISt17integral_constantIbLb1EES1P_IbLb0EEEEDaS1L_S1M_EUlS1L_E_NS1_11comp_targetILNS1_3genE4ELNS1_11target_archE910ELNS1_3gpuE8ELNS1_3repE0EEENS1_30default_config_static_selectorELNS0_4arch9wavefront6targetE1EEEvSZ_,"axG",@progbits,_ZN7rocprim17ROCPRIM_400000_NS6detail17trampoline_kernelINS0_13select_configILj256ELj13ELNS0_17block_load_methodE3ELS4_3ELS4_3ELNS0_20block_scan_algorithmE0ELj4294967295EEENS1_25partition_config_selectorILNS1_17partition_subalgoE3EjNS0_10empty_typeEbEEZZNS1_14partition_implILS8_3ELb0ES6_jNS0_17counting_iteratorIjlEEPS9_SE_NS0_5tupleIJPjSE_EEENSF_IJSE_SE_EEES9_SG_JZNS1_25segmented_radix_sort_implINS0_14default_configELb1EPK12hip_bfloat16PSL_PKlPlN2at6native12_GLOBAL__N_18offset_tEEE10hipError_tPvRmT1_PNSt15iterator_traitsISZ_E10value_typeET2_T3_PNS10_IS15_E10value_typeET4_jRbjT5_S1B_jjP12ihipStream_tbEUljE_EEESW_SX_SY_S15_S19_S1B_T6_T7_T9_mT8_S1D_bDpT10_ENKUlT_T0_E_clISt17integral_constantIbLb1EES1P_IbLb0EEEEDaS1L_S1M_EUlS1L_E_NS1_11comp_targetILNS1_3genE4ELNS1_11target_archE910ELNS1_3gpuE8ELNS1_3repE0EEENS1_30default_config_static_selectorELNS0_4arch9wavefront6targetE1EEEvSZ_,comdat
	.globl	_ZN7rocprim17ROCPRIM_400000_NS6detail17trampoline_kernelINS0_13select_configILj256ELj13ELNS0_17block_load_methodE3ELS4_3ELS4_3ELNS0_20block_scan_algorithmE0ELj4294967295EEENS1_25partition_config_selectorILNS1_17partition_subalgoE3EjNS0_10empty_typeEbEEZZNS1_14partition_implILS8_3ELb0ES6_jNS0_17counting_iteratorIjlEEPS9_SE_NS0_5tupleIJPjSE_EEENSF_IJSE_SE_EEES9_SG_JZNS1_25segmented_radix_sort_implINS0_14default_configELb1EPK12hip_bfloat16PSL_PKlPlN2at6native12_GLOBAL__N_18offset_tEEE10hipError_tPvRmT1_PNSt15iterator_traitsISZ_E10value_typeET2_T3_PNS10_IS15_E10value_typeET4_jRbjT5_S1B_jjP12ihipStream_tbEUljE_EEESW_SX_SY_S15_S19_S1B_T6_T7_T9_mT8_S1D_bDpT10_ENKUlT_T0_E_clISt17integral_constantIbLb1EES1P_IbLb0EEEEDaS1L_S1M_EUlS1L_E_NS1_11comp_targetILNS1_3genE4ELNS1_11target_archE910ELNS1_3gpuE8ELNS1_3repE0EEENS1_30default_config_static_selectorELNS0_4arch9wavefront6targetE1EEEvSZ_ ; -- Begin function _ZN7rocprim17ROCPRIM_400000_NS6detail17trampoline_kernelINS0_13select_configILj256ELj13ELNS0_17block_load_methodE3ELS4_3ELS4_3ELNS0_20block_scan_algorithmE0ELj4294967295EEENS1_25partition_config_selectorILNS1_17partition_subalgoE3EjNS0_10empty_typeEbEEZZNS1_14partition_implILS8_3ELb0ES6_jNS0_17counting_iteratorIjlEEPS9_SE_NS0_5tupleIJPjSE_EEENSF_IJSE_SE_EEES9_SG_JZNS1_25segmented_radix_sort_implINS0_14default_configELb1EPK12hip_bfloat16PSL_PKlPlN2at6native12_GLOBAL__N_18offset_tEEE10hipError_tPvRmT1_PNSt15iterator_traitsISZ_E10value_typeET2_T3_PNS10_IS15_E10value_typeET4_jRbjT5_S1B_jjP12ihipStream_tbEUljE_EEESW_SX_SY_S15_S19_S1B_T6_T7_T9_mT8_S1D_bDpT10_ENKUlT_T0_E_clISt17integral_constantIbLb1EES1P_IbLb0EEEEDaS1L_S1M_EUlS1L_E_NS1_11comp_targetILNS1_3genE4ELNS1_11target_archE910ELNS1_3gpuE8ELNS1_3repE0EEENS1_30default_config_static_selectorELNS0_4arch9wavefront6targetE1EEEvSZ_
	.p2align	8
	.type	_ZN7rocprim17ROCPRIM_400000_NS6detail17trampoline_kernelINS0_13select_configILj256ELj13ELNS0_17block_load_methodE3ELS4_3ELS4_3ELNS0_20block_scan_algorithmE0ELj4294967295EEENS1_25partition_config_selectorILNS1_17partition_subalgoE3EjNS0_10empty_typeEbEEZZNS1_14partition_implILS8_3ELb0ES6_jNS0_17counting_iteratorIjlEEPS9_SE_NS0_5tupleIJPjSE_EEENSF_IJSE_SE_EEES9_SG_JZNS1_25segmented_radix_sort_implINS0_14default_configELb1EPK12hip_bfloat16PSL_PKlPlN2at6native12_GLOBAL__N_18offset_tEEE10hipError_tPvRmT1_PNSt15iterator_traitsISZ_E10value_typeET2_T3_PNS10_IS15_E10value_typeET4_jRbjT5_S1B_jjP12ihipStream_tbEUljE_EEESW_SX_SY_S15_S19_S1B_T6_T7_T9_mT8_S1D_bDpT10_ENKUlT_T0_E_clISt17integral_constantIbLb1EES1P_IbLb0EEEEDaS1L_S1M_EUlS1L_E_NS1_11comp_targetILNS1_3genE4ELNS1_11target_archE910ELNS1_3gpuE8ELNS1_3repE0EEENS1_30default_config_static_selectorELNS0_4arch9wavefront6targetE1EEEvSZ_,@function
_ZN7rocprim17ROCPRIM_400000_NS6detail17trampoline_kernelINS0_13select_configILj256ELj13ELNS0_17block_load_methodE3ELS4_3ELS4_3ELNS0_20block_scan_algorithmE0ELj4294967295EEENS1_25partition_config_selectorILNS1_17partition_subalgoE3EjNS0_10empty_typeEbEEZZNS1_14partition_implILS8_3ELb0ES6_jNS0_17counting_iteratorIjlEEPS9_SE_NS0_5tupleIJPjSE_EEENSF_IJSE_SE_EEES9_SG_JZNS1_25segmented_radix_sort_implINS0_14default_configELb1EPK12hip_bfloat16PSL_PKlPlN2at6native12_GLOBAL__N_18offset_tEEE10hipError_tPvRmT1_PNSt15iterator_traitsISZ_E10value_typeET2_T3_PNS10_IS15_E10value_typeET4_jRbjT5_S1B_jjP12ihipStream_tbEUljE_EEESW_SX_SY_S15_S19_S1B_T6_T7_T9_mT8_S1D_bDpT10_ENKUlT_T0_E_clISt17integral_constantIbLb1EES1P_IbLb0EEEEDaS1L_S1M_EUlS1L_E_NS1_11comp_targetILNS1_3genE4ELNS1_11target_archE910ELNS1_3gpuE8ELNS1_3repE0EEENS1_30default_config_static_selectorELNS0_4arch9wavefront6targetE1EEEvSZ_: ; @_ZN7rocprim17ROCPRIM_400000_NS6detail17trampoline_kernelINS0_13select_configILj256ELj13ELNS0_17block_load_methodE3ELS4_3ELS4_3ELNS0_20block_scan_algorithmE0ELj4294967295EEENS1_25partition_config_selectorILNS1_17partition_subalgoE3EjNS0_10empty_typeEbEEZZNS1_14partition_implILS8_3ELb0ES6_jNS0_17counting_iteratorIjlEEPS9_SE_NS0_5tupleIJPjSE_EEENSF_IJSE_SE_EEES9_SG_JZNS1_25segmented_radix_sort_implINS0_14default_configELb1EPK12hip_bfloat16PSL_PKlPlN2at6native12_GLOBAL__N_18offset_tEEE10hipError_tPvRmT1_PNSt15iterator_traitsISZ_E10value_typeET2_T3_PNS10_IS15_E10value_typeET4_jRbjT5_S1B_jjP12ihipStream_tbEUljE_EEESW_SX_SY_S15_S19_S1B_T6_T7_T9_mT8_S1D_bDpT10_ENKUlT_T0_E_clISt17integral_constantIbLb1EES1P_IbLb0EEEEDaS1L_S1M_EUlS1L_E_NS1_11comp_targetILNS1_3genE4ELNS1_11target_archE910ELNS1_3gpuE8ELNS1_3repE0EEENS1_30default_config_static_selectorELNS0_4arch9wavefront6targetE1EEEvSZ_
; %bb.0:
	.section	.rodata,"a",@progbits
	.p2align	6, 0x0
	.amdhsa_kernel _ZN7rocprim17ROCPRIM_400000_NS6detail17trampoline_kernelINS0_13select_configILj256ELj13ELNS0_17block_load_methodE3ELS4_3ELS4_3ELNS0_20block_scan_algorithmE0ELj4294967295EEENS1_25partition_config_selectorILNS1_17partition_subalgoE3EjNS0_10empty_typeEbEEZZNS1_14partition_implILS8_3ELb0ES6_jNS0_17counting_iteratorIjlEEPS9_SE_NS0_5tupleIJPjSE_EEENSF_IJSE_SE_EEES9_SG_JZNS1_25segmented_radix_sort_implINS0_14default_configELb1EPK12hip_bfloat16PSL_PKlPlN2at6native12_GLOBAL__N_18offset_tEEE10hipError_tPvRmT1_PNSt15iterator_traitsISZ_E10value_typeET2_T3_PNS10_IS15_E10value_typeET4_jRbjT5_S1B_jjP12ihipStream_tbEUljE_EEESW_SX_SY_S15_S19_S1B_T6_T7_T9_mT8_S1D_bDpT10_ENKUlT_T0_E_clISt17integral_constantIbLb1EES1P_IbLb0EEEEDaS1L_S1M_EUlS1L_E_NS1_11comp_targetILNS1_3genE4ELNS1_11target_archE910ELNS1_3gpuE8ELNS1_3repE0EEENS1_30default_config_static_selectorELNS0_4arch9wavefront6targetE1EEEvSZ_
		.amdhsa_group_segment_fixed_size 0
		.amdhsa_private_segment_fixed_size 0
		.amdhsa_kernarg_size 144
		.amdhsa_user_sgpr_count 6
		.amdhsa_user_sgpr_private_segment_buffer 1
		.amdhsa_user_sgpr_dispatch_ptr 0
		.amdhsa_user_sgpr_queue_ptr 0
		.amdhsa_user_sgpr_kernarg_segment_ptr 1
		.amdhsa_user_sgpr_dispatch_id 0
		.amdhsa_user_sgpr_flat_scratch_init 0
		.amdhsa_user_sgpr_private_segment_size 0
		.amdhsa_uses_dynamic_stack 0
		.amdhsa_system_sgpr_private_segment_wavefront_offset 0
		.amdhsa_system_sgpr_workgroup_id_x 1
		.amdhsa_system_sgpr_workgroup_id_y 0
		.amdhsa_system_sgpr_workgroup_id_z 0
		.amdhsa_system_sgpr_workgroup_info 0
		.amdhsa_system_vgpr_workitem_id 0
		.amdhsa_next_free_vgpr 1
		.amdhsa_next_free_sgpr 0
		.amdhsa_reserve_vcc 0
		.amdhsa_reserve_flat_scratch 0
		.amdhsa_float_round_mode_32 0
		.amdhsa_float_round_mode_16_64 0
		.amdhsa_float_denorm_mode_32 3
		.amdhsa_float_denorm_mode_16_64 3
		.amdhsa_dx10_clamp 1
		.amdhsa_ieee_mode 1
		.amdhsa_fp16_overflow 0
		.amdhsa_exception_fp_ieee_invalid_op 0
		.amdhsa_exception_fp_denorm_src 0
		.amdhsa_exception_fp_ieee_div_zero 0
		.amdhsa_exception_fp_ieee_overflow 0
		.amdhsa_exception_fp_ieee_underflow 0
		.amdhsa_exception_fp_ieee_inexact 0
		.amdhsa_exception_int_div_zero 0
	.end_amdhsa_kernel
	.section	.text._ZN7rocprim17ROCPRIM_400000_NS6detail17trampoline_kernelINS0_13select_configILj256ELj13ELNS0_17block_load_methodE3ELS4_3ELS4_3ELNS0_20block_scan_algorithmE0ELj4294967295EEENS1_25partition_config_selectorILNS1_17partition_subalgoE3EjNS0_10empty_typeEbEEZZNS1_14partition_implILS8_3ELb0ES6_jNS0_17counting_iteratorIjlEEPS9_SE_NS0_5tupleIJPjSE_EEENSF_IJSE_SE_EEES9_SG_JZNS1_25segmented_radix_sort_implINS0_14default_configELb1EPK12hip_bfloat16PSL_PKlPlN2at6native12_GLOBAL__N_18offset_tEEE10hipError_tPvRmT1_PNSt15iterator_traitsISZ_E10value_typeET2_T3_PNS10_IS15_E10value_typeET4_jRbjT5_S1B_jjP12ihipStream_tbEUljE_EEESW_SX_SY_S15_S19_S1B_T6_T7_T9_mT8_S1D_bDpT10_ENKUlT_T0_E_clISt17integral_constantIbLb1EES1P_IbLb0EEEEDaS1L_S1M_EUlS1L_E_NS1_11comp_targetILNS1_3genE4ELNS1_11target_archE910ELNS1_3gpuE8ELNS1_3repE0EEENS1_30default_config_static_selectorELNS0_4arch9wavefront6targetE1EEEvSZ_,"axG",@progbits,_ZN7rocprim17ROCPRIM_400000_NS6detail17trampoline_kernelINS0_13select_configILj256ELj13ELNS0_17block_load_methodE3ELS4_3ELS4_3ELNS0_20block_scan_algorithmE0ELj4294967295EEENS1_25partition_config_selectorILNS1_17partition_subalgoE3EjNS0_10empty_typeEbEEZZNS1_14partition_implILS8_3ELb0ES6_jNS0_17counting_iteratorIjlEEPS9_SE_NS0_5tupleIJPjSE_EEENSF_IJSE_SE_EEES9_SG_JZNS1_25segmented_radix_sort_implINS0_14default_configELb1EPK12hip_bfloat16PSL_PKlPlN2at6native12_GLOBAL__N_18offset_tEEE10hipError_tPvRmT1_PNSt15iterator_traitsISZ_E10value_typeET2_T3_PNS10_IS15_E10value_typeET4_jRbjT5_S1B_jjP12ihipStream_tbEUljE_EEESW_SX_SY_S15_S19_S1B_T6_T7_T9_mT8_S1D_bDpT10_ENKUlT_T0_E_clISt17integral_constantIbLb1EES1P_IbLb0EEEEDaS1L_S1M_EUlS1L_E_NS1_11comp_targetILNS1_3genE4ELNS1_11target_archE910ELNS1_3gpuE8ELNS1_3repE0EEENS1_30default_config_static_selectorELNS0_4arch9wavefront6targetE1EEEvSZ_,comdat
.Lfunc_end1932:
	.size	_ZN7rocprim17ROCPRIM_400000_NS6detail17trampoline_kernelINS0_13select_configILj256ELj13ELNS0_17block_load_methodE3ELS4_3ELS4_3ELNS0_20block_scan_algorithmE0ELj4294967295EEENS1_25partition_config_selectorILNS1_17partition_subalgoE3EjNS0_10empty_typeEbEEZZNS1_14partition_implILS8_3ELb0ES6_jNS0_17counting_iteratorIjlEEPS9_SE_NS0_5tupleIJPjSE_EEENSF_IJSE_SE_EEES9_SG_JZNS1_25segmented_radix_sort_implINS0_14default_configELb1EPK12hip_bfloat16PSL_PKlPlN2at6native12_GLOBAL__N_18offset_tEEE10hipError_tPvRmT1_PNSt15iterator_traitsISZ_E10value_typeET2_T3_PNS10_IS15_E10value_typeET4_jRbjT5_S1B_jjP12ihipStream_tbEUljE_EEESW_SX_SY_S15_S19_S1B_T6_T7_T9_mT8_S1D_bDpT10_ENKUlT_T0_E_clISt17integral_constantIbLb1EES1P_IbLb0EEEEDaS1L_S1M_EUlS1L_E_NS1_11comp_targetILNS1_3genE4ELNS1_11target_archE910ELNS1_3gpuE8ELNS1_3repE0EEENS1_30default_config_static_selectorELNS0_4arch9wavefront6targetE1EEEvSZ_, .Lfunc_end1932-_ZN7rocprim17ROCPRIM_400000_NS6detail17trampoline_kernelINS0_13select_configILj256ELj13ELNS0_17block_load_methodE3ELS4_3ELS4_3ELNS0_20block_scan_algorithmE0ELj4294967295EEENS1_25partition_config_selectorILNS1_17partition_subalgoE3EjNS0_10empty_typeEbEEZZNS1_14partition_implILS8_3ELb0ES6_jNS0_17counting_iteratorIjlEEPS9_SE_NS0_5tupleIJPjSE_EEENSF_IJSE_SE_EEES9_SG_JZNS1_25segmented_radix_sort_implINS0_14default_configELb1EPK12hip_bfloat16PSL_PKlPlN2at6native12_GLOBAL__N_18offset_tEEE10hipError_tPvRmT1_PNSt15iterator_traitsISZ_E10value_typeET2_T3_PNS10_IS15_E10value_typeET4_jRbjT5_S1B_jjP12ihipStream_tbEUljE_EEESW_SX_SY_S15_S19_S1B_T6_T7_T9_mT8_S1D_bDpT10_ENKUlT_T0_E_clISt17integral_constantIbLb1EES1P_IbLb0EEEEDaS1L_S1M_EUlS1L_E_NS1_11comp_targetILNS1_3genE4ELNS1_11target_archE910ELNS1_3gpuE8ELNS1_3repE0EEENS1_30default_config_static_selectorELNS0_4arch9wavefront6targetE1EEEvSZ_
                                        ; -- End function
	.set _ZN7rocprim17ROCPRIM_400000_NS6detail17trampoline_kernelINS0_13select_configILj256ELj13ELNS0_17block_load_methodE3ELS4_3ELS4_3ELNS0_20block_scan_algorithmE0ELj4294967295EEENS1_25partition_config_selectorILNS1_17partition_subalgoE3EjNS0_10empty_typeEbEEZZNS1_14partition_implILS8_3ELb0ES6_jNS0_17counting_iteratorIjlEEPS9_SE_NS0_5tupleIJPjSE_EEENSF_IJSE_SE_EEES9_SG_JZNS1_25segmented_radix_sort_implINS0_14default_configELb1EPK12hip_bfloat16PSL_PKlPlN2at6native12_GLOBAL__N_18offset_tEEE10hipError_tPvRmT1_PNSt15iterator_traitsISZ_E10value_typeET2_T3_PNS10_IS15_E10value_typeET4_jRbjT5_S1B_jjP12ihipStream_tbEUljE_EEESW_SX_SY_S15_S19_S1B_T6_T7_T9_mT8_S1D_bDpT10_ENKUlT_T0_E_clISt17integral_constantIbLb1EES1P_IbLb0EEEEDaS1L_S1M_EUlS1L_E_NS1_11comp_targetILNS1_3genE4ELNS1_11target_archE910ELNS1_3gpuE8ELNS1_3repE0EEENS1_30default_config_static_selectorELNS0_4arch9wavefront6targetE1EEEvSZ_.num_vgpr, 0
	.set _ZN7rocprim17ROCPRIM_400000_NS6detail17trampoline_kernelINS0_13select_configILj256ELj13ELNS0_17block_load_methodE3ELS4_3ELS4_3ELNS0_20block_scan_algorithmE0ELj4294967295EEENS1_25partition_config_selectorILNS1_17partition_subalgoE3EjNS0_10empty_typeEbEEZZNS1_14partition_implILS8_3ELb0ES6_jNS0_17counting_iteratorIjlEEPS9_SE_NS0_5tupleIJPjSE_EEENSF_IJSE_SE_EEES9_SG_JZNS1_25segmented_radix_sort_implINS0_14default_configELb1EPK12hip_bfloat16PSL_PKlPlN2at6native12_GLOBAL__N_18offset_tEEE10hipError_tPvRmT1_PNSt15iterator_traitsISZ_E10value_typeET2_T3_PNS10_IS15_E10value_typeET4_jRbjT5_S1B_jjP12ihipStream_tbEUljE_EEESW_SX_SY_S15_S19_S1B_T6_T7_T9_mT8_S1D_bDpT10_ENKUlT_T0_E_clISt17integral_constantIbLb1EES1P_IbLb0EEEEDaS1L_S1M_EUlS1L_E_NS1_11comp_targetILNS1_3genE4ELNS1_11target_archE910ELNS1_3gpuE8ELNS1_3repE0EEENS1_30default_config_static_selectorELNS0_4arch9wavefront6targetE1EEEvSZ_.num_agpr, 0
	.set _ZN7rocprim17ROCPRIM_400000_NS6detail17trampoline_kernelINS0_13select_configILj256ELj13ELNS0_17block_load_methodE3ELS4_3ELS4_3ELNS0_20block_scan_algorithmE0ELj4294967295EEENS1_25partition_config_selectorILNS1_17partition_subalgoE3EjNS0_10empty_typeEbEEZZNS1_14partition_implILS8_3ELb0ES6_jNS0_17counting_iteratorIjlEEPS9_SE_NS0_5tupleIJPjSE_EEENSF_IJSE_SE_EEES9_SG_JZNS1_25segmented_radix_sort_implINS0_14default_configELb1EPK12hip_bfloat16PSL_PKlPlN2at6native12_GLOBAL__N_18offset_tEEE10hipError_tPvRmT1_PNSt15iterator_traitsISZ_E10value_typeET2_T3_PNS10_IS15_E10value_typeET4_jRbjT5_S1B_jjP12ihipStream_tbEUljE_EEESW_SX_SY_S15_S19_S1B_T6_T7_T9_mT8_S1D_bDpT10_ENKUlT_T0_E_clISt17integral_constantIbLb1EES1P_IbLb0EEEEDaS1L_S1M_EUlS1L_E_NS1_11comp_targetILNS1_3genE4ELNS1_11target_archE910ELNS1_3gpuE8ELNS1_3repE0EEENS1_30default_config_static_selectorELNS0_4arch9wavefront6targetE1EEEvSZ_.numbered_sgpr, 0
	.set _ZN7rocprim17ROCPRIM_400000_NS6detail17trampoline_kernelINS0_13select_configILj256ELj13ELNS0_17block_load_methodE3ELS4_3ELS4_3ELNS0_20block_scan_algorithmE0ELj4294967295EEENS1_25partition_config_selectorILNS1_17partition_subalgoE3EjNS0_10empty_typeEbEEZZNS1_14partition_implILS8_3ELb0ES6_jNS0_17counting_iteratorIjlEEPS9_SE_NS0_5tupleIJPjSE_EEENSF_IJSE_SE_EEES9_SG_JZNS1_25segmented_radix_sort_implINS0_14default_configELb1EPK12hip_bfloat16PSL_PKlPlN2at6native12_GLOBAL__N_18offset_tEEE10hipError_tPvRmT1_PNSt15iterator_traitsISZ_E10value_typeET2_T3_PNS10_IS15_E10value_typeET4_jRbjT5_S1B_jjP12ihipStream_tbEUljE_EEESW_SX_SY_S15_S19_S1B_T6_T7_T9_mT8_S1D_bDpT10_ENKUlT_T0_E_clISt17integral_constantIbLb1EES1P_IbLb0EEEEDaS1L_S1M_EUlS1L_E_NS1_11comp_targetILNS1_3genE4ELNS1_11target_archE910ELNS1_3gpuE8ELNS1_3repE0EEENS1_30default_config_static_selectorELNS0_4arch9wavefront6targetE1EEEvSZ_.num_named_barrier, 0
	.set _ZN7rocprim17ROCPRIM_400000_NS6detail17trampoline_kernelINS0_13select_configILj256ELj13ELNS0_17block_load_methodE3ELS4_3ELS4_3ELNS0_20block_scan_algorithmE0ELj4294967295EEENS1_25partition_config_selectorILNS1_17partition_subalgoE3EjNS0_10empty_typeEbEEZZNS1_14partition_implILS8_3ELb0ES6_jNS0_17counting_iteratorIjlEEPS9_SE_NS0_5tupleIJPjSE_EEENSF_IJSE_SE_EEES9_SG_JZNS1_25segmented_radix_sort_implINS0_14default_configELb1EPK12hip_bfloat16PSL_PKlPlN2at6native12_GLOBAL__N_18offset_tEEE10hipError_tPvRmT1_PNSt15iterator_traitsISZ_E10value_typeET2_T3_PNS10_IS15_E10value_typeET4_jRbjT5_S1B_jjP12ihipStream_tbEUljE_EEESW_SX_SY_S15_S19_S1B_T6_T7_T9_mT8_S1D_bDpT10_ENKUlT_T0_E_clISt17integral_constantIbLb1EES1P_IbLb0EEEEDaS1L_S1M_EUlS1L_E_NS1_11comp_targetILNS1_3genE4ELNS1_11target_archE910ELNS1_3gpuE8ELNS1_3repE0EEENS1_30default_config_static_selectorELNS0_4arch9wavefront6targetE1EEEvSZ_.private_seg_size, 0
	.set _ZN7rocprim17ROCPRIM_400000_NS6detail17trampoline_kernelINS0_13select_configILj256ELj13ELNS0_17block_load_methodE3ELS4_3ELS4_3ELNS0_20block_scan_algorithmE0ELj4294967295EEENS1_25partition_config_selectorILNS1_17partition_subalgoE3EjNS0_10empty_typeEbEEZZNS1_14partition_implILS8_3ELb0ES6_jNS0_17counting_iteratorIjlEEPS9_SE_NS0_5tupleIJPjSE_EEENSF_IJSE_SE_EEES9_SG_JZNS1_25segmented_radix_sort_implINS0_14default_configELb1EPK12hip_bfloat16PSL_PKlPlN2at6native12_GLOBAL__N_18offset_tEEE10hipError_tPvRmT1_PNSt15iterator_traitsISZ_E10value_typeET2_T3_PNS10_IS15_E10value_typeET4_jRbjT5_S1B_jjP12ihipStream_tbEUljE_EEESW_SX_SY_S15_S19_S1B_T6_T7_T9_mT8_S1D_bDpT10_ENKUlT_T0_E_clISt17integral_constantIbLb1EES1P_IbLb0EEEEDaS1L_S1M_EUlS1L_E_NS1_11comp_targetILNS1_3genE4ELNS1_11target_archE910ELNS1_3gpuE8ELNS1_3repE0EEENS1_30default_config_static_selectorELNS0_4arch9wavefront6targetE1EEEvSZ_.uses_vcc, 0
	.set _ZN7rocprim17ROCPRIM_400000_NS6detail17trampoline_kernelINS0_13select_configILj256ELj13ELNS0_17block_load_methodE3ELS4_3ELS4_3ELNS0_20block_scan_algorithmE0ELj4294967295EEENS1_25partition_config_selectorILNS1_17partition_subalgoE3EjNS0_10empty_typeEbEEZZNS1_14partition_implILS8_3ELb0ES6_jNS0_17counting_iteratorIjlEEPS9_SE_NS0_5tupleIJPjSE_EEENSF_IJSE_SE_EEES9_SG_JZNS1_25segmented_radix_sort_implINS0_14default_configELb1EPK12hip_bfloat16PSL_PKlPlN2at6native12_GLOBAL__N_18offset_tEEE10hipError_tPvRmT1_PNSt15iterator_traitsISZ_E10value_typeET2_T3_PNS10_IS15_E10value_typeET4_jRbjT5_S1B_jjP12ihipStream_tbEUljE_EEESW_SX_SY_S15_S19_S1B_T6_T7_T9_mT8_S1D_bDpT10_ENKUlT_T0_E_clISt17integral_constantIbLb1EES1P_IbLb0EEEEDaS1L_S1M_EUlS1L_E_NS1_11comp_targetILNS1_3genE4ELNS1_11target_archE910ELNS1_3gpuE8ELNS1_3repE0EEENS1_30default_config_static_selectorELNS0_4arch9wavefront6targetE1EEEvSZ_.uses_flat_scratch, 0
	.set _ZN7rocprim17ROCPRIM_400000_NS6detail17trampoline_kernelINS0_13select_configILj256ELj13ELNS0_17block_load_methodE3ELS4_3ELS4_3ELNS0_20block_scan_algorithmE0ELj4294967295EEENS1_25partition_config_selectorILNS1_17partition_subalgoE3EjNS0_10empty_typeEbEEZZNS1_14partition_implILS8_3ELb0ES6_jNS0_17counting_iteratorIjlEEPS9_SE_NS0_5tupleIJPjSE_EEENSF_IJSE_SE_EEES9_SG_JZNS1_25segmented_radix_sort_implINS0_14default_configELb1EPK12hip_bfloat16PSL_PKlPlN2at6native12_GLOBAL__N_18offset_tEEE10hipError_tPvRmT1_PNSt15iterator_traitsISZ_E10value_typeET2_T3_PNS10_IS15_E10value_typeET4_jRbjT5_S1B_jjP12ihipStream_tbEUljE_EEESW_SX_SY_S15_S19_S1B_T6_T7_T9_mT8_S1D_bDpT10_ENKUlT_T0_E_clISt17integral_constantIbLb1EES1P_IbLb0EEEEDaS1L_S1M_EUlS1L_E_NS1_11comp_targetILNS1_3genE4ELNS1_11target_archE910ELNS1_3gpuE8ELNS1_3repE0EEENS1_30default_config_static_selectorELNS0_4arch9wavefront6targetE1EEEvSZ_.has_dyn_sized_stack, 0
	.set _ZN7rocprim17ROCPRIM_400000_NS6detail17trampoline_kernelINS0_13select_configILj256ELj13ELNS0_17block_load_methodE3ELS4_3ELS4_3ELNS0_20block_scan_algorithmE0ELj4294967295EEENS1_25partition_config_selectorILNS1_17partition_subalgoE3EjNS0_10empty_typeEbEEZZNS1_14partition_implILS8_3ELb0ES6_jNS0_17counting_iteratorIjlEEPS9_SE_NS0_5tupleIJPjSE_EEENSF_IJSE_SE_EEES9_SG_JZNS1_25segmented_radix_sort_implINS0_14default_configELb1EPK12hip_bfloat16PSL_PKlPlN2at6native12_GLOBAL__N_18offset_tEEE10hipError_tPvRmT1_PNSt15iterator_traitsISZ_E10value_typeET2_T3_PNS10_IS15_E10value_typeET4_jRbjT5_S1B_jjP12ihipStream_tbEUljE_EEESW_SX_SY_S15_S19_S1B_T6_T7_T9_mT8_S1D_bDpT10_ENKUlT_T0_E_clISt17integral_constantIbLb1EES1P_IbLb0EEEEDaS1L_S1M_EUlS1L_E_NS1_11comp_targetILNS1_3genE4ELNS1_11target_archE910ELNS1_3gpuE8ELNS1_3repE0EEENS1_30default_config_static_selectorELNS0_4arch9wavefront6targetE1EEEvSZ_.has_recursion, 0
	.set _ZN7rocprim17ROCPRIM_400000_NS6detail17trampoline_kernelINS0_13select_configILj256ELj13ELNS0_17block_load_methodE3ELS4_3ELS4_3ELNS0_20block_scan_algorithmE0ELj4294967295EEENS1_25partition_config_selectorILNS1_17partition_subalgoE3EjNS0_10empty_typeEbEEZZNS1_14partition_implILS8_3ELb0ES6_jNS0_17counting_iteratorIjlEEPS9_SE_NS0_5tupleIJPjSE_EEENSF_IJSE_SE_EEES9_SG_JZNS1_25segmented_radix_sort_implINS0_14default_configELb1EPK12hip_bfloat16PSL_PKlPlN2at6native12_GLOBAL__N_18offset_tEEE10hipError_tPvRmT1_PNSt15iterator_traitsISZ_E10value_typeET2_T3_PNS10_IS15_E10value_typeET4_jRbjT5_S1B_jjP12ihipStream_tbEUljE_EEESW_SX_SY_S15_S19_S1B_T6_T7_T9_mT8_S1D_bDpT10_ENKUlT_T0_E_clISt17integral_constantIbLb1EES1P_IbLb0EEEEDaS1L_S1M_EUlS1L_E_NS1_11comp_targetILNS1_3genE4ELNS1_11target_archE910ELNS1_3gpuE8ELNS1_3repE0EEENS1_30default_config_static_selectorELNS0_4arch9wavefront6targetE1EEEvSZ_.has_indirect_call, 0
	.section	.AMDGPU.csdata,"",@progbits
; Kernel info:
; codeLenInByte = 0
; TotalNumSgprs: 4
; NumVgprs: 0
; ScratchSize: 0
; MemoryBound: 0
; FloatMode: 240
; IeeeMode: 1
; LDSByteSize: 0 bytes/workgroup (compile time only)
; SGPRBlocks: 0
; VGPRBlocks: 0
; NumSGPRsForWavesPerEU: 4
; NumVGPRsForWavesPerEU: 1
; Occupancy: 10
; WaveLimiterHint : 0
; COMPUTE_PGM_RSRC2:SCRATCH_EN: 0
; COMPUTE_PGM_RSRC2:USER_SGPR: 6
; COMPUTE_PGM_RSRC2:TRAP_HANDLER: 0
; COMPUTE_PGM_RSRC2:TGID_X_EN: 1
; COMPUTE_PGM_RSRC2:TGID_Y_EN: 0
; COMPUTE_PGM_RSRC2:TGID_Z_EN: 0
; COMPUTE_PGM_RSRC2:TIDIG_COMP_CNT: 0
	.section	.text._ZN7rocprim17ROCPRIM_400000_NS6detail17trampoline_kernelINS0_13select_configILj256ELj13ELNS0_17block_load_methodE3ELS4_3ELS4_3ELNS0_20block_scan_algorithmE0ELj4294967295EEENS1_25partition_config_selectorILNS1_17partition_subalgoE3EjNS0_10empty_typeEbEEZZNS1_14partition_implILS8_3ELb0ES6_jNS0_17counting_iteratorIjlEEPS9_SE_NS0_5tupleIJPjSE_EEENSF_IJSE_SE_EEES9_SG_JZNS1_25segmented_radix_sort_implINS0_14default_configELb1EPK12hip_bfloat16PSL_PKlPlN2at6native12_GLOBAL__N_18offset_tEEE10hipError_tPvRmT1_PNSt15iterator_traitsISZ_E10value_typeET2_T3_PNS10_IS15_E10value_typeET4_jRbjT5_S1B_jjP12ihipStream_tbEUljE_EEESW_SX_SY_S15_S19_S1B_T6_T7_T9_mT8_S1D_bDpT10_ENKUlT_T0_E_clISt17integral_constantIbLb1EES1P_IbLb0EEEEDaS1L_S1M_EUlS1L_E_NS1_11comp_targetILNS1_3genE3ELNS1_11target_archE908ELNS1_3gpuE7ELNS1_3repE0EEENS1_30default_config_static_selectorELNS0_4arch9wavefront6targetE1EEEvSZ_,"axG",@progbits,_ZN7rocprim17ROCPRIM_400000_NS6detail17trampoline_kernelINS0_13select_configILj256ELj13ELNS0_17block_load_methodE3ELS4_3ELS4_3ELNS0_20block_scan_algorithmE0ELj4294967295EEENS1_25partition_config_selectorILNS1_17partition_subalgoE3EjNS0_10empty_typeEbEEZZNS1_14partition_implILS8_3ELb0ES6_jNS0_17counting_iteratorIjlEEPS9_SE_NS0_5tupleIJPjSE_EEENSF_IJSE_SE_EEES9_SG_JZNS1_25segmented_radix_sort_implINS0_14default_configELb1EPK12hip_bfloat16PSL_PKlPlN2at6native12_GLOBAL__N_18offset_tEEE10hipError_tPvRmT1_PNSt15iterator_traitsISZ_E10value_typeET2_T3_PNS10_IS15_E10value_typeET4_jRbjT5_S1B_jjP12ihipStream_tbEUljE_EEESW_SX_SY_S15_S19_S1B_T6_T7_T9_mT8_S1D_bDpT10_ENKUlT_T0_E_clISt17integral_constantIbLb1EES1P_IbLb0EEEEDaS1L_S1M_EUlS1L_E_NS1_11comp_targetILNS1_3genE3ELNS1_11target_archE908ELNS1_3gpuE7ELNS1_3repE0EEENS1_30default_config_static_selectorELNS0_4arch9wavefront6targetE1EEEvSZ_,comdat
	.globl	_ZN7rocprim17ROCPRIM_400000_NS6detail17trampoline_kernelINS0_13select_configILj256ELj13ELNS0_17block_load_methodE3ELS4_3ELS4_3ELNS0_20block_scan_algorithmE0ELj4294967295EEENS1_25partition_config_selectorILNS1_17partition_subalgoE3EjNS0_10empty_typeEbEEZZNS1_14partition_implILS8_3ELb0ES6_jNS0_17counting_iteratorIjlEEPS9_SE_NS0_5tupleIJPjSE_EEENSF_IJSE_SE_EEES9_SG_JZNS1_25segmented_radix_sort_implINS0_14default_configELb1EPK12hip_bfloat16PSL_PKlPlN2at6native12_GLOBAL__N_18offset_tEEE10hipError_tPvRmT1_PNSt15iterator_traitsISZ_E10value_typeET2_T3_PNS10_IS15_E10value_typeET4_jRbjT5_S1B_jjP12ihipStream_tbEUljE_EEESW_SX_SY_S15_S19_S1B_T6_T7_T9_mT8_S1D_bDpT10_ENKUlT_T0_E_clISt17integral_constantIbLb1EES1P_IbLb0EEEEDaS1L_S1M_EUlS1L_E_NS1_11comp_targetILNS1_3genE3ELNS1_11target_archE908ELNS1_3gpuE7ELNS1_3repE0EEENS1_30default_config_static_selectorELNS0_4arch9wavefront6targetE1EEEvSZ_ ; -- Begin function _ZN7rocprim17ROCPRIM_400000_NS6detail17trampoline_kernelINS0_13select_configILj256ELj13ELNS0_17block_load_methodE3ELS4_3ELS4_3ELNS0_20block_scan_algorithmE0ELj4294967295EEENS1_25partition_config_selectorILNS1_17partition_subalgoE3EjNS0_10empty_typeEbEEZZNS1_14partition_implILS8_3ELb0ES6_jNS0_17counting_iteratorIjlEEPS9_SE_NS0_5tupleIJPjSE_EEENSF_IJSE_SE_EEES9_SG_JZNS1_25segmented_radix_sort_implINS0_14default_configELb1EPK12hip_bfloat16PSL_PKlPlN2at6native12_GLOBAL__N_18offset_tEEE10hipError_tPvRmT1_PNSt15iterator_traitsISZ_E10value_typeET2_T3_PNS10_IS15_E10value_typeET4_jRbjT5_S1B_jjP12ihipStream_tbEUljE_EEESW_SX_SY_S15_S19_S1B_T6_T7_T9_mT8_S1D_bDpT10_ENKUlT_T0_E_clISt17integral_constantIbLb1EES1P_IbLb0EEEEDaS1L_S1M_EUlS1L_E_NS1_11comp_targetILNS1_3genE3ELNS1_11target_archE908ELNS1_3gpuE7ELNS1_3repE0EEENS1_30default_config_static_selectorELNS0_4arch9wavefront6targetE1EEEvSZ_
	.p2align	8
	.type	_ZN7rocprim17ROCPRIM_400000_NS6detail17trampoline_kernelINS0_13select_configILj256ELj13ELNS0_17block_load_methodE3ELS4_3ELS4_3ELNS0_20block_scan_algorithmE0ELj4294967295EEENS1_25partition_config_selectorILNS1_17partition_subalgoE3EjNS0_10empty_typeEbEEZZNS1_14partition_implILS8_3ELb0ES6_jNS0_17counting_iteratorIjlEEPS9_SE_NS0_5tupleIJPjSE_EEENSF_IJSE_SE_EEES9_SG_JZNS1_25segmented_radix_sort_implINS0_14default_configELb1EPK12hip_bfloat16PSL_PKlPlN2at6native12_GLOBAL__N_18offset_tEEE10hipError_tPvRmT1_PNSt15iterator_traitsISZ_E10value_typeET2_T3_PNS10_IS15_E10value_typeET4_jRbjT5_S1B_jjP12ihipStream_tbEUljE_EEESW_SX_SY_S15_S19_S1B_T6_T7_T9_mT8_S1D_bDpT10_ENKUlT_T0_E_clISt17integral_constantIbLb1EES1P_IbLb0EEEEDaS1L_S1M_EUlS1L_E_NS1_11comp_targetILNS1_3genE3ELNS1_11target_archE908ELNS1_3gpuE7ELNS1_3repE0EEENS1_30default_config_static_selectorELNS0_4arch9wavefront6targetE1EEEvSZ_,@function
_ZN7rocprim17ROCPRIM_400000_NS6detail17trampoline_kernelINS0_13select_configILj256ELj13ELNS0_17block_load_methodE3ELS4_3ELS4_3ELNS0_20block_scan_algorithmE0ELj4294967295EEENS1_25partition_config_selectorILNS1_17partition_subalgoE3EjNS0_10empty_typeEbEEZZNS1_14partition_implILS8_3ELb0ES6_jNS0_17counting_iteratorIjlEEPS9_SE_NS0_5tupleIJPjSE_EEENSF_IJSE_SE_EEES9_SG_JZNS1_25segmented_radix_sort_implINS0_14default_configELb1EPK12hip_bfloat16PSL_PKlPlN2at6native12_GLOBAL__N_18offset_tEEE10hipError_tPvRmT1_PNSt15iterator_traitsISZ_E10value_typeET2_T3_PNS10_IS15_E10value_typeET4_jRbjT5_S1B_jjP12ihipStream_tbEUljE_EEESW_SX_SY_S15_S19_S1B_T6_T7_T9_mT8_S1D_bDpT10_ENKUlT_T0_E_clISt17integral_constantIbLb1EES1P_IbLb0EEEEDaS1L_S1M_EUlS1L_E_NS1_11comp_targetILNS1_3genE3ELNS1_11target_archE908ELNS1_3gpuE7ELNS1_3repE0EEENS1_30default_config_static_selectorELNS0_4arch9wavefront6targetE1EEEvSZ_: ; @_ZN7rocprim17ROCPRIM_400000_NS6detail17trampoline_kernelINS0_13select_configILj256ELj13ELNS0_17block_load_methodE3ELS4_3ELS4_3ELNS0_20block_scan_algorithmE0ELj4294967295EEENS1_25partition_config_selectorILNS1_17partition_subalgoE3EjNS0_10empty_typeEbEEZZNS1_14partition_implILS8_3ELb0ES6_jNS0_17counting_iteratorIjlEEPS9_SE_NS0_5tupleIJPjSE_EEENSF_IJSE_SE_EEES9_SG_JZNS1_25segmented_radix_sort_implINS0_14default_configELb1EPK12hip_bfloat16PSL_PKlPlN2at6native12_GLOBAL__N_18offset_tEEE10hipError_tPvRmT1_PNSt15iterator_traitsISZ_E10value_typeET2_T3_PNS10_IS15_E10value_typeET4_jRbjT5_S1B_jjP12ihipStream_tbEUljE_EEESW_SX_SY_S15_S19_S1B_T6_T7_T9_mT8_S1D_bDpT10_ENKUlT_T0_E_clISt17integral_constantIbLb1EES1P_IbLb0EEEEDaS1L_S1M_EUlS1L_E_NS1_11comp_targetILNS1_3genE3ELNS1_11target_archE908ELNS1_3gpuE7ELNS1_3repE0EEENS1_30default_config_static_selectorELNS0_4arch9wavefront6targetE1EEEvSZ_
; %bb.0:
	.section	.rodata,"a",@progbits
	.p2align	6, 0x0
	.amdhsa_kernel _ZN7rocprim17ROCPRIM_400000_NS6detail17trampoline_kernelINS0_13select_configILj256ELj13ELNS0_17block_load_methodE3ELS4_3ELS4_3ELNS0_20block_scan_algorithmE0ELj4294967295EEENS1_25partition_config_selectorILNS1_17partition_subalgoE3EjNS0_10empty_typeEbEEZZNS1_14partition_implILS8_3ELb0ES6_jNS0_17counting_iteratorIjlEEPS9_SE_NS0_5tupleIJPjSE_EEENSF_IJSE_SE_EEES9_SG_JZNS1_25segmented_radix_sort_implINS0_14default_configELb1EPK12hip_bfloat16PSL_PKlPlN2at6native12_GLOBAL__N_18offset_tEEE10hipError_tPvRmT1_PNSt15iterator_traitsISZ_E10value_typeET2_T3_PNS10_IS15_E10value_typeET4_jRbjT5_S1B_jjP12ihipStream_tbEUljE_EEESW_SX_SY_S15_S19_S1B_T6_T7_T9_mT8_S1D_bDpT10_ENKUlT_T0_E_clISt17integral_constantIbLb1EES1P_IbLb0EEEEDaS1L_S1M_EUlS1L_E_NS1_11comp_targetILNS1_3genE3ELNS1_11target_archE908ELNS1_3gpuE7ELNS1_3repE0EEENS1_30default_config_static_selectorELNS0_4arch9wavefront6targetE1EEEvSZ_
		.amdhsa_group_segment_fixed_size 0
		.amdhsa_private_segment_fixed_size 0
		.amdhsa_kernarg_size 144
		.amdhsa_user_sgpr_count 6
		.amdhsa_user_sgpr_private_segment_buffer 1
		.amdhsa_user_sgpr_dispatch_ptr 0
		.amdhsa_user_sgpr_queue_ptr 0
		.amdhsa_user_sgpr_kernarg_segment_ptr 1
		.amdhsa_user_sgpr_dispatch_id 0
		.amdhsa_user_sgpr_flat_scratch_init 0
		.amdhsa_user_sgpr_private_segment_size 0
		.amdhsa_uses_dynamic_stack 0
		.amdhsa_system_sgpr_private_segment_wavefront_offset 0
		.amdhsa_system_sgpr_workgroup_id_x 1
		.amdhsa_system_sgpr_workgroup_id_y 0
		.amdhsa_system_sgpr_workgroup_id_z 0
		.amdhsa_system_sgpr_workgroup_info 0
		.amdhsa_system_vgpr_workitem_id 0
		.amdhsa_next_free_vgpr 1
		.amdhsa_next_free_sgpr 0
		.amdhsa_reserve_vcc 0
		.amdhsa_reserve_flat_scratch 0
		.amdhsa_float_round_mode_32 0
		.amdhsa_float_round_mode_16_64 0
		.amdhsa_float_denorm_mode_32 3
		.amdhsa_float_denorm_mode_16_64 3
		.amdhsa_dx10_clamp 1
		.amdhsa_ieee_mode 1
		.amdhsa_fp16_overflow 0
		.amdhsa_exception_fp_ieee_invalid_op 0
		.amdhsa_exception_fp_denorm_src 0
		.amdhsa_exception_fp_ieee_div_zero 0
		.amdhsa_exception_fp_ieee_overflow 0
		.amdhsa_exception_fp_ieee_underflow 0
		.amdhsa_exception_fp_ieee_inexact 0
		.amdhsa_exception_int_div_zero 0
	.end_amdhsa_kernel
	.section	.text._ZN7rocprim17ROCPRIM_400000_NS6detail17trampoline_kernelINS0_13select_configILj256ELj13ELNS0_17block_load_methodE3ELS4_3ELS4_3ELNS0_20block_scan_algorithmE0ELj4294967295EEENS1_25partition_config_selectorILNS1_17partition_subalgoE3EjNS0_10empty_typeEbEEZZNS1_14partition_implILS8_3ELb0ES6_jNS0_17counting_iteratorIjlEEPS9_SE_NS0_5tupleIJPjSE_EEENSF_IJSE_SE_EEES9_SG_JZNS1_25segmented_radix_sort_implINS0_14default_configELb1EPK12hip_bfloat16PSL_PKlPlN2at6native12_GLOBAL__N_18offset_tEEE10hipError_tPvRmT1_PNSt15iterator_traitsISZ_E10value_typeET2_T3_PNS10_IS15_E10value_typeET4_jRbjT5_S1B_jjP12ihipStream_tbEUljE_EEESW_SX_SY_S15_S19_S1B_T6_T7_T9_mT8_S1D_bDpT10_ENKUlT_T0_E_clISt17integral_constantIbLb1EES1P_IbLb0EEEEDaS1L_S1M_EUlS1L_E_NS1_11comp_targetILNS1_3genE3ELNS1_11target_archE908ELNS1_3gpuE7ELNS1_3repE0EEENS1_30default_config_static_selectorELNS0_4arch9wavefront6targetE1EEEvSZ_,"axG",@progbits,_ZN7rocprim17ROCPRIM_400000_NS6detail17trampoline_kernelINS0_13select_configILj256ELj13ELNS0_17block_load_methodE3ELS4_3ELS4_3ELNS0_20block_scan_algorithmE0ELj4294967295EEENS1_25partition_config_selectorILNS1_17partition_subalgoE3EjNS0_10empty_typeEbEEZZNS1_14partition_implILS8_3ELb0ES6_jNS0_17counting_iteratorIjlEEPS9_SE_NS0_5tupleIJPjSE_EEENSF_IJSE_SE_EEES9_SG_JZNS1_25segmented_radix_sort_implINS0_14default_configELb1EPK12hip_bfloat16PSL_PKlPlN2at6native12_GLOBAL__N_18offset_tEEE10hipError_tPvRmT1_PNSt15iterator_traitsISZ_E10value_typeET2_T3_PNS10_IS15_E10value_typeET4_jRbjT5_S1B_jjP12ihipStream_tbEUljE_EEESW_SX_SY_S15_S19_S1B_T6_T7_T9_mT8_S1D_bDpT10_ENKUlT_T0_E_clISt17integral_constantIbLb1EES1P_IbLb0EEEEDaS1L_S1M_EUlS1L_E_NS1_11comp_targetILNS1_3genE3ELNS1_11target_archE908ELNS1_3gpuE7ELNS1_3repE0EEENS1_30default_config_static_selectorELNS0_4arch9wavefront6targetE1EEEvSZ_,comdat
.Lfunc_end1933:
	.size	_ZN7rocprim17ROCPRIM_400000_NS6detail17trampoline_kernelINS0_13select_configILj256ELj13ELNS0_17block_load_methodE3ELS4_3ELS4_3ELNS0_20block_scan_algorithmE0ELj4294967295EEENS1_25partition_config_selectorILNS1_17partition_subalgoE3EjNS0_10empty_typeEbEEZZNS1_14partition_implILS8_3ELb0ES6_jNS0_17counting_iteratorIjlEEPS9_SE_NS0_5tupleIJPjSE_EEENSF_IJSE_SE_EEES9_SG_JZNS1_25segmented_radix_sort_implINS0_14default_configELb1EPK12hip_bfloat16PSL_PKlPlN2at6native12_GLOBAL__N_18offset_tEEE10hipError_tPvRmT1_PNSt15iterator_traitsISZ_E10value_typeET2_T3_PNS10_IS15_E10value_typeET4_jRbjT5_S1B_jjP12ihipStream_tbEUljE_EEESW_SX_SY_S15_S19_S1B_T6_T7_T9_mT8_S1D_bDpT10_ENKUlT_T0_E_clISt17integral_constantIbLb1EES1P_IbLb0EEEEDaS1L_S1M_EUlS1L_E_NS1_11comp_targetILNS1_3genE3ELNS1_11target_archE908ELNS1_3gpuE7ELNS1_3repE0EEENS1_30default_config_static_selectorELNS0_4arch9wavefront6targetE1EEEvSZ_, .Lfunc_end1933-_ZN7rocprim17ROCPRIM_400000_NS6detail17trampoline_kernelINS0_13select_configILj256ELj13ELNS0_17block_load_methodE3ELS4_3ELS4_3ELNS0_20block_scan_algorithmE0ELj4294967295EEENS1_25partition_config_selectorILNS1_17partition_subalgoE3EjNS0_10empty_typeEbEEZZNS1_14partition_implILS8_3ELb0ES6_jNS0_17counting_iteratorIjlEEPS9_SE_NS0_5tupleIJPjSE_EEENSF_IJSE_SE_EEES9_SG_JZNS1_25segmented_radix_sort_implINS0_14default_configELb1EPK12hip_bfloat16PSL_PKlPlN2at6native12_GLOBAL__N_18offset_tEEE10hipError_tPvRmT1_PNSt15iterator_traitsISZ_E10value_typeET2_T3_PNS10_IS15_E10value_typeET4_jRbjT5_S1B_jjP12ihipStream_tbEUljE_EEESW_SX_SY_S15_S19_S1B_T6_T7_T9_mT8_S1D_bDpT10_ENKUlT_T0_E_clISt17integral_constantIbLb1EES1P_IbLb0EEEEDaS1L_S1M_EUlS1L_E_NS1_11comp_targetILNS1_3genE3ELNS1_11target_archE908ELNS1_3gpuE7ELNS1_3repE0EEENS1_30default_config_static_selectorELNS0_4arch9wavefront6targetE1EEEvSZ_
                                        ; -- End function
	.set _ZN7rocprim17ROCPRIM_400000_NS6detail17trampoline_kernelINS0_13select_configILj256ELj13ELNS0_17block_load_methodE3ELS4_3ELS4_3ELNS0_20block_scan_algorithmE0ELj4294967295EEENS1_25partition_config_selectorILNS1_17partition_subalgoE3EjNS0_10empty_typeEbEEZZNS1_14partition_implILS8_3ELb0ES6_jNS0_17counting_iteratorIjlEEPS9_SE_NS0_5tupleIJPjSE_EEENSF_IJSE_SE_EEES9_SG_JZNS1_25segmented_radix_sort_implINS0_14default_configELb1EPK12hip_bfloat16PSL_PKlPlN2at6native12_GLOBAL__N_18offset_tEEE10hipError_tPvRmT1_PNSt15iterator_traitsISZ_E10value_typeET2_T3_PNS10_IS15_E10value_typeET4_jRbjT5_S1B_jjP12ihipStream_tbEUljE_EEESW_SX_SY_S15_S19_S1B_T6_T7_T9_mT8_S1D_bDpT10_ENKUlT_T0_E_clISt17integral_constantIbLb1EES1P_IbLb0EEEEDaS1L_S1M_EUlS1L_E_NS1_11comp_targetILNS1_3genE3ELNS1_11target_archE908ELNS1_3gpuE7ELNS1_3repE0EEENS1_30default_config_static_selectorELNS0_4arch9wavefront6targetE1EEEvSZ_.num_vgpr, 0
	.set _ZN7rocprim17ROCPRIM_400000_NS6detail17trampoline_kernelINS0_13select_configILj256ELj13ELNS0_17block_load_methodE3ELS4_3ELS4_3ELNS0_20block_scan_algorithmE0ELj4294967295EEENS1_25partition_config_selectorILNS1_17partition_subalgoE3EjNS0_10empty_typeEbEEZZNS1_14partition_implILS8_3ELb0ES6_jNS0_17counting_iteratorIjlEEPS9_SE_NS0_5tupleIJPjSE_EEENSF_IJSE_SE_EEES9_SG_JZNS1_25segmented_radix_sort_implINS0_14default_configELb1EPK12hip_bfloat16PSL_PKlPlN2at6native12_GLOBAL__N_18offset_tEEE10hipError_tPvRmT1_PNSt15iterator_traitsISZ_E10value_typeET2_T3_PNS10_IS15_E10value_typeET4_jRbjT5_S1B_jjP12ihipStream_tbEUljE_EEESW_SX_SY_S15_S19_S1B_T6_T7_T9_mT8_S1D_bDpT10_ENKUlT_T0_E_clISt17integral_constantIbLb1EES1P_IbLb0EEEEDaS1L_S1M_EUlS1L_E_NS1_11comp_targetILNS1_3genE3ELNS1_11target_archE908ELNS1_3gpuE7ELNS1_3repE0EEENS1_30default_config_static_selectorELNS0_4arch9wavefront6targetE1EEEvSZ_.num_agpr, 0
	.set _ZN7rocprim17ROCPRIM_400000_NS6detail17trampoline_kernelINS0_13select_configILj256ELj13ELNS0_17block_load_methodE3ELS4_3ELS4_3ELNS0_20block_scan_algorithmE0ELj4294967295EEENS1_25partition_config_selectorILNS1_17partition_subalgoE3EjNS0_10empty_typeEbEEZZNS1_14partition_implILS8_3ELb0ES6_jNS0_17counting_iteratorIjlEEPS9_SE_NS0_5tupleIJPjSE_EEENSF_IJSE_SE_EEES9_SG_JZNS1_25segmented_radix_sort_implINS0_14default_configELb1EPK12hip_bfloat16PSL_PKlPlN2at6native12_GLOBAL__N_18offset_tEEE10hipError_tPvRmT1_PNSt15iterator_traitsISZ_E10value_typeET2_T3_PNS10_IS15_E10value_typeET4_jRbjT5_S1B_jjP12ihipStream_tbEUljE_EEESW_SX_SY_S15_S19_S1B_T6_T7_T9_mT8_S1D_bDpT10_ENKUlT_T0_E_clISt17integral_constantIbLb1EES1P_IbLb0EEEEDaS1L_S1M_EUlS1L_E_NS1_11comp_targetILNS1_3genE3ELNS1_11target_archE908ELNS1_3gpuE7ELNS1_3repE0EEENS1_30default_config_static_selectorELNS0_4arch9wavefront6targetE1EEEvSZ_.numbered_sgpr, 0
	.set _ZN7rocprim17ROCPRIM_400000_NS6detail17trampoline_kernelINS0_13select_configILj256ELj13ELNS0_17block_load_methodE3ELS4_3ELS4_3ELNS0_20block_scan_algorithmE0ELj4294967295EEENS1_25partition_config_selectorILNS1_17partition_subalgoE3EjNS0_10empty_typeEbEEZZNS1_14partition_implILS8_3ELb0ES6_jNS0_17counting_iteratorIjlEEPS9_SE_NS0_5tupleIJPjSE_EEENSF_IJSE_SE_EEES9_SG_JZNS1_25segmented_radix_sort_implINS0_14default_configELb1EPK12hip_bfloat16PSL_PKlPlN2at6native12_GLOBAL__N_18offset_tEEE10hipError_tPvRmT1_PNSt15iterator_traitsISZ_E10value_typeET2_T3_PNS10_IS15_E10value_typeET4_jRbjT5_S1B_jjP12ihipStream_tbEUljE_EEESW_SX_SY_S15_S19_S1B_T6_T7_T9_mT8_S1D_bDpT10_ENKUlT_T0_E_clISt17integral_constantIbLb1EES1P_IbLb0EEEEDaS1L_S1M_EUlS1L_E_NS1_11comp_targetILNS1_3genE3ELNS1_11target_archE908ELNS1_3gpuE7ELNS1_3repE0EEENS1_30default_config_static_selectorELNS0_4arch9wavefront6targetE1EEEvSZ_.num_named_barrier, 0
	.set _ZN7rocprim17ROCPRIM_400000_NS6detail17trampoline_kernelINS0_13select_configILj256ELj13ELNS0_17block_load_methodE3ELS4_3ELS4_3ELNS0_20block_scan_algorithmE0ELj4294967295EEENS1_25partition_config_selectorILNS1_17partition_subalgoE3EjNS0_10empty_typeEbEEZZNS1_14partition_implILS8_3ELb0ES6_jNS0_17counting_iteratorIjlEEPS9_SE_NS0_5tupleIJPjSE_EEENSF_IJSE_SE_EEES9_SG_JZNS1_25segmented_radix_sort_implINS0_14default_configELb1EPK12hip_bfloat16PSL_PKlPlN2at6native12_GLOBAL__N_18offset_tEEE10hipError_tPvRmT1_PNSt15iterator_traitsISZ_E10value_typeET2_T3_PNS10_IS15_E10value_typeET4_jRbjT5_S1B_jjP12ihipStream_tbEUljE_EEESW_SX_SY_S15_S19_S1B_T6_T7_T9_mT8_S1D_bDpT10_ENKUlT_T0_E_clISt17integral_constantIbLb1EES1P_IbLb0EEEEDaS1L_S1M_EUlS1L_E_NS1_11comp_targetILNS1_3genE3ELNS1_11target_archE908ELNS1_3gpuE7ELNS1_3repE0EEENS1_30default_config_static_selectorELNS0_4arch9wavefront6targetE1EEEvSZ_.private_seg_size, 0
	.set _ZN7rocprim17ROCPRIM_400000_NS6detail17trampoline_kernelINS0_13select_configILj256ELj13ELNS0_17block_load_methodE3ELS4_3ELS4_3ELNS0_20block_scan_algorithmE0ELj4294967295EEENS1_25partition_config_selectorILNS1_17partition_subalgoE3EjNS0_10empty_typeEbEEZZNS1_14partition_implILS8_3ELb0ES6_jNS0_17counting_iteratorIjlEEPS9_SE_NS0_5tupleIJPjSE_EEENSF_IJSE_SE_EEES9_SG_JZNS1_25segmented_radix_sort_implINS0_14default_configELb1EPK12hip_bfloat16PSL_PKlPlN2at6native12_GLOBAL__N_18offset_tEEE10hipError_tPvRmT1_PNSt15iterator_traitsISZ_E10value_typeET2_T3_PNS10_IS15_E10value_typeET4_jRbjT5_S1B_jjP12ihipStream_tbEUljE_EEESW_SX_SY_S15_S19_S1B_T6_T7_T9_mT8_S1D_bDpT10_ENKUlT_T0_E_clISt17integral_constantIbLb1EES1P_IbLb0EEEEDaS1L_S1M_EUlS1L_E_NS1_11comp_targetILNS1_3genE3ELNS1_11target_archE908ELNS1_3gpuE7ELNS1_3repE0EEENS1_30default_config_static_selectorELNS0_4arch9wavefront6targetE1EEEvSZ_.uses_vcc, 0
	.set _ZN7rocprim17ROCPRIM_400000_NS6detail17trampoline_kernelINS0_13select_configILj256ELj13ELNS0_17block_load_methodE3ELS4_3ELS4_3ELNS0_20block_scan_algorithmE0ELj4294967295EEENS1_25partition_config_selectorILNS1_17partition_subalgoE3EjNS0_10empty_typeEbEEZZNS1_14partition_implILS8_3ELb0ES6_jNS0_17counting_iteratorIjlEEPS9_SE_NS0_5tupleIJPjSE_EEENSF_IJSE_SE_EEES9_SG_JZNS1_25segmented_radix_sort_implINS0_14default_configELb1EPK12hip_bfloat16PSL_PKlPlN2at6native12_GLOBAL__N_18offset_tEEE10hipError_tPvRmT1_PNSt15iterator_traitsISZ_E10value_typeET2_T3_PNS10_IS15_E10value_typeET4_jRbjT5_S1B_jjP12ihipStream_tbEUljE_EEESW_SX_SY_S15_S19_S1B_T6_T7_T9_mT8_S1D_bDpT10_ENKUlT_T0_E_clISt17integral_constantIbLb1EES1P_IbLb0EEEEDaS1L_S1M_EUlS1L_E_NS1_11comp_targetILNS1_3genE3ELNS1_11target_archE908ELNS1_3gpuE7ELNS1_3repE0EEENS1_30default_config_static_selectorELNS0_4arch9wavefront6targetE1EEEvSZ_.uses_flat_scratch, 0
	.set _ZN7rocprim17ROCPRIM_400000_NS6detail17trampoline_kernelINS0_13select_configILj256ELj13ELNS0_17block_load_methodE3ELS4_3ELS4_3ELNS0_20block_scan_algorithmE0ELj4294967295EEENS1_25partition_config_selectorILNS1_17partition_subalgoE3EjNS0_10empty_typeEbEEZZNS1_14partition_implILS8_3ELb0ES6_jNS0_17counting_iteratorIjlEEPS9_SE_NS0_5tupleIJPjSE_EEENSF_IJSE_SE_EEES9_SG_JZNS1_25segmented_radix_sort_implINS0_14default_configELb1EPK12hip_bfloat16PSL_PKlPlN2at6native12_GLOBAL__N_18offset_tEEE10hipError_tPvRmT1_PNSt15iterator_traitsISZ_E10value_typeET2_T3_PNS10_IS15_E10value_typeET4_jRbjT5_S1B_jjP12ihipStream_tbEUljE_EEESW_SX_SY_S15_S19_S1B_T6_T7_T9_mT8_S1D_bDpT10_ENKUlT_T0_E_clISt17integral_constantIbLb1EES1P_IbLb0EEEEDaS1L_S1M_EUlS1L_E_NS1_11comp_targetILNS1_3genE3ELNS1_11target_archE908ELNS1_3gpuE7ELNS1_3repE0EEENS1_30default_config_static_selectorELNS0_4arch9wavefront6targetE1EEEvSZ_.has_dyn_sized_stack, 0
	.set _ZN7rocprim17ROCPRIM_400000_NS6detail17trampoline_kernelINS0_13select_configILj256ELj13ELNS0_17block_load_methodE3ELS4_3ELS4_3ELNS0_20block_scan_algorithmE0ELj4294967295EEENS1_25partition_config_selectorILNS1_17partition_subalgoE3EjNS0_10empty_typeEbEEZZNS1_14partition_implILS8_3ELb0ES6_jNS0_17counting_iteratorIjlEEPS9_SE_NS0_5tupleIJPjSE_EEENSF_IJSE_SE_EEES9_SG_JZNS1_25segmented_radix_sort_implINS0_14default_configELb1EPK12hip_bfloat16PSL_PKlPlN2at6native12_GLOBAL__N_18offset_tEEE10hipError_tPvRmT1_PNSt15iterator_traitsISZ_E10value_typeET2_T3_PNS10_IS15_E10value_typeET4_jRbjT5_S1B_jjP12ihipStream_tbEUljE_EEESW_SX_SY_S15_S19_S1B_T6_T7_T9_mT8_S1D_bDpT10_ENKUlT_T0_E_clISt17integral_constantIbLb1EES1P_IbLb0EEEEDaS1L_S1M_EUlS1L_E_NS1_11comp_targetILNS1_3genE3ELNS1_11target_archE908ELNS1_3gpuE7ELNS1_3repE0EEENS1_30default_config_static_selectorELNS0_4arch9wavefront6targetE1EEEvSZ_.has_recursion, 0
	.set _ZN7rocprim17ROCPRIM_400000_NS6detail17trampoline_kernelINS0_13select_configILj256ELj13ELNS0_17block_load_methodE3ELS4_3ELS4_3ELNS0_20block_scan_algorithmE0ELj4294967295EEENS1_25partition_config_selectorILNS1_17partition_subalgoE3EjNS0_10empty_typeEbEEZZNS1_14partition_implILS8_3ELb0ES6_jNS0_17counting_iteratorIjlEEPS9_SE_NS0_5tupleIJPjSE_EEENSF_IJSE_SE_EEES9_SG_JZNS1_25segmented_radix_sort_implINS0_14default_configELb1EPK12hip_bfloat16PSL_PKlPlN2at6native12_GLOBAL__N_18offset_tEEE10hipError_tPvRmT1_PNSt15iterator_traitsISZ_E10value_typeET2_T3_PNS10_IS15_E10value_typeET4_jRbjT5_S1B_jjP12ihipStream_tbEUljE_EEESW_SX_SY_S15_S19_S1B_T6_T7_T9_mT8_S1D_bDpT10_ENKUlT_T0_E_clISt17integral_constantIbLb1EES1P_IbLb0EEEEDaS1L_S1M_EUlS1L_E_NS1_11comp_targetILNS1_3genE3ELNS1_11target_archE908ELNS1_3gpuE7ELNS1_3repE0EEENS1_30default_config_static_selectorELNS0_4arch9wavefront6targetE1EEEvSZ_.has_indirect_call, 0
	.section	.AMDGPU.csdata,"",@progbits
; Kernel info:
; codeLenInByte = 0
; TotalNumSgprs: 4
; NumVgprs: 0
; ScratchSize: 0
; MemoryBound: 0
; FloatMode: 240
; IeeeMode: 1
; LDSByteSize: 0 bytes/workgroup (compile time only)
; SGPRBlocks: 0
; VGPRBlocks: 0
; NumSGPRsForWavesPerEU: 4
; NumVGPRsForWavesPerEU: 1
; Occupancy: 10
; WaveLimiterHint : 0
; COMPUTE_PGM_RSRC2:SCRATCH_EN: 0
; COMPUTE_PGM_RSRC2:USER_SGPR: 6
; COMPUTE_PGM_RSRC2:TRAP_HANDLER: 0
; COMPUTE_PGM_RSRC2:TGID_X_EN: 1
; COMPUTE_PGM_RSRC2:TGID_Y_EN: 0
; COMPUTE_PGM_RSRC2:TGID_Z_EN: 0
; COMPUTE_PGM_RSRC2:TIDIG_COMP_CNT: 0
	.section	.text._ZN7rocprim17ROCPRIM_400000_NS6detail17trampoline_kernelINS0_13select_configILj256ELj13ELNS0_17block_load_methodE3ELS4_3ELS4_3ELNS0_20block_scan_algorithmE0ELj4294967295EEENS1_25partition_config_selectorILNS1_17partition_subalgoE3EjNS0_10empty_typeEbEEZZNS1_14partition_implILS8_3ELb0ES6_jNS0_17counting_iteratorIjlEEPS9_SE_NS0_5tupleIJPjSE_EEENSF_IJSE_SE_EEES9_SG_JZNS1_25segmented_radix_sort_implINS0_14default_configELb1EPK12hip_bfloat16PSL_PKlPlN2at6native12_GLOBAL__N_18offset_tEEE10hipError_tPvRmT1_PNSt15iterator_traitsISZ_E10value_typeET2_T3_PNS10_IS15_E10value_typeET4_jRbjT5_S1B_jjP12ihipStream_tbEUljE_EEESW_SX_SY_S15_S19_S1B_T6_T7_T9_mT8_S1D_bDpT10_ENKUlT_T0_E_clISt17integral_constantIbLb1EES1P_IbLb0EEEEDaS1L_S1M_EUlS1L_E_NS1_11comp_targetILNS1_3genE2ELNS1_11target_archE906ELNS1_3gpuE6ELNS1_3repE0EEENS1_30default_config_static_selectorELNS0_4arch9wavefront6targetE1EEEvSZ_,"axG",@progbits,_ZN7rocprim17ROCPRIM_400000_NS6detail17trampoline_kernelINS0_13select_configILj256ELj13ELNS0_17block_load_methodE3ELS4_3ELS4_3ELNS0_20block_scan_algorithmE0ELj4294967295EEENS1_25partition_config_selectorILNS1_17partition_subalgoE3EjNS0_10empty_typeEbEEZZNS1_14partition_implILS8_3ELb0ES6_jNS0_17counting_iteratorIjlEEPS9_SE_NS0_5tupleIJPjSE_EEENSF_IJSE_SE_EEES9_SG_JZNS1_25segmented_radix_sort_implINS0_14default_configELb1EPK12hip_bfloat16PSL_PKlPlN2at6native12_GLOBAL__N_18offset_tEEE10hipError_tPvRmT1_PNSt15iterator_traitsISZ_E10value_typeET2_T3_PNS10_IS15_E10value_typeET4_jRbjT5_S1B_jjP12ihipStream_tbEUljE_EEESW_SX_SY_S15_S19_S1B_T6_T7_T9_mT8_S1D_bDpT10_ENKUlT_T0_E_clISt17integral_constantIbLb1EES1P_IbLb0EEEEDaS1L_S1M_EUlS1L_E_NS1_11comp_targetILNS1_3genE2ELNS1_11target_archE906ELNS1_3gpuE6ELNS1_3repE0EEENS1_30default_config_static_selectorELNS0_4arch9wavefront6targetE1EEEvSZ_,comdat
	.globl	_ZN7rocprim17ROCPRIM_400000_NS6detail17trampoline_kernelINS0_13select_configILj256ELj13ELNS0_17block_load_methodE3ELS4_3ELS4_3ELNS0_20block_scan_algorithmE0ELj4294967295EEENS1_25partition_config_selectorILNS1_17partition_subalgoE3EjNS0_10empty_typeEbEEZZNS1_14partition_implILS8_3ELb0ES6_jNS0_17counting_iteratorIjlEEPS9_SE_NS0_5tupleIJPjSE_EEENSF_IJSE_SE_EEES9_SG_JZNS1_25segmented_radix_sort_implINS0_14default_configELb1EPK12hip_bfloat16PSL_PKlPlN2at6native12_GLOBAL__N_18offset_tEEE10hipError_tPvRmT1_PNSt15iterator_traitsISZ_E10value_typeET2_T3_PNS10_IS15_E10value_typeET4_jRbjT5_S1B_jjP12ihipStream_tbEUljE_EEESW_SX_SY_S15_S19_S1B_T6_T7_T9_mT8_S1D_bDpT10_ENKUlT_T0_E_clISt17integral_constantIbLb1EES1P_IbLb0EEEEDaS1L_S1M_EUlS1L_E_NS1_11comp_targetILNS1_3genE2ELNS1_11target_archE906ELNS1_3gpuE6ELNS1_3repE0EEENS1_30default_config_static_selectorELNS0_4arch9wavefront6targetE1EEEvSZ_ ; -- Begin function _ZN7rocprim17ROCPRIM_400000_NS6detail17trampoline_kernelINS0_13select_configILj256ELj13ELNS0_17block_load_methodE3ELS4_3ELS4_3ELNS0_20block_scan_algorithmE0ELj4294967295EEENS1_25partition_config_selectorILNS1_17partition_subalgoE3EjNS0_10empty_typeEbEEZZNS1_14partition_implILS8_3ELb0ES6_jNS0_17counting_iteratorIjlEEPS9_SE_NS0_5tupleIJPjSE_EEENSF_IJSE_SE_EEES9_SG_JZNS1_25segmented_radix_sort_implINS0_14default_configELb1EPK12hip_bfloat16PSL_PKlPlN2at6native12_GLOBAL__N_18offset_tEEE10hipError_tPvRmT1_PNSt15iterator_traitsISZ_E10value_typeET2_T3_PNS10_IS15_E10value_typeET4_jRbjT5_S1B_jjP12ihipStream_tbEUljE_EEESW_SX_SY_S15_S19_S1B_T6_T7_T9_mT8_S1D_bDpT10_ENKUlT_T0_E_clISt17integral_constantIbLb1EES1P_IbLb0EEEEDaS1L_S1M_EUlS1L_E_NS1_11comp_targetILNS1_3genE2ELNS1_11target_archE906ELNS1_3gpuE6ELNS1_3repE0EEENS1_30default_config_static_selectorELNS0_4arch9wavefront6targetE1EEEvSZ_
	.p2align	8
	.type	_ZN7rocprim17ROCPRIM_400000_NS6detail17trampoline_kernelINS0_13select_configILj256ELj13ELNS0_17block_load_methodE3ELS4_3ELS4_3ELNS0_20block_scan_algorithmE0ELj4294967295EEENS1_25partition_config_selectorILNS1_17partition_subalgoE3EjNS0_10empty_typeEbEEZZNS1_14partition_implILS8_3ELb0ES6_jNS0_17counting_iteratorIjlEEPS9_SE_NS0_5tupleIJPjSE_EEENSF_IJSE_SE_EEES9_SG_JZNS1_25segmented_radix_sort_implINS0_14default_configELb1EPK12hip_bfloat16PSL_PKlPlN2at6native12_GLOBAL__N_18offset_tEEE10hipError_tPvRmT1_PNSt15iterator_traitsISZ_E10value_typeET2_T3_PNS10_IS15_E10value_typeET4_jRbjT5_S1B_jjP12ihipStream_tbEUljE_EEESW_SX_SY_S15_S19_S1B_T6_T7_T9_mT8_S1D_bDpT10_ENKUlT_T0_E_clISt17integral_constantIbLb1EES1P_IbLb0EEEEDaS1L_S1M_EUlS1L_E_NS1_11comp_targetILNS1_3genE2ELNS1_11target_archE906ELNS1_3gpuE6ELNS1_3repE0EEENS1_30default_config_static_selectorELNS0_4arch9wavefront6targetE1EEEvSZ_,@function
_ZN7rocprim17ROCPRIM_400000_NS6detail17trampoline_kernelINS0_13select_configILj256ELj13ELNS0_17block_load_methodE3ELS4_3ELS4_3ELNS0_20block_scan_algorithmE0ELj4294967295EEENS1_25partition_config_selectorILNS1_17partition_subalgoE3EjNS0_10empty_typeEbEEZZNS1_14partition_implILS8_3ELb0ES6_jNS0_17counting_iteratorIjlEEPS9_SE_NS0_5tupleIJPjSE_EEENSF_IJSE_SE_EEES9_SG_JZNS1_25segmented_radix_sort_implINS0_14default_configELb1EPK12hip_bfloat16PSL_PKlPlN2at6native12_GLOBAL__N_18offset_tEEE10hipError_tPvRmT1_PNSt15iterator_traitsISZ_E10value_typeET2_T3_PNS10_IS15_E10value_typeET4_jRbjT5_S1B_jjP12ihipStream_tbEUljE_EEESW_SX_SY_S15_S19_S1B_T6_T7_T9_mT8_S1D_bDpT10_ENKUlT_T0_E_clISt17integral_constantIbLb1EES1P_IbLb0EEEEDaS1L_S1M_EUlS1L_E_NS1_11comp_targetILNS1_3genE2ELNS1_11target_archE906ELNS1_3gpuE6ELNS1_3repE0EEENS1_30default_config_static_selectorELNS0_4arch9wavefront6targetE1EEEvSZ_: ; @_ZN7rocprim17ROCPRIM_400000_NS6detail17trampoline_kernelINS0_13select_configILj256ELj13ELNS0_17block_load_methodE3ELS4_3ELS4_3ELNS0_20block_scan_algorithmE0ELj4294967295EEENS1_25partition_config_selectorILNS1_17partition_subalgoE3EjNS0_10empty_typeEbEEZZNS1_14partition_implILS8_3ELb0ES6_jNS0_17counting_iteratorIjlEEPS9_SE_NS0_5tupleIJPjSE_EEENSF_IJSE_SE_EEES9_SG_JZNS1_25segmented_radix_sort_implINS0_14default_configELb1EPK12hip_bfloat16PSL_PKlPlN2at6native12_GLOBAL__N_18offset_tEEE10hipError_tPvRmT1_PNSt15iterator_traitsISZ_E10value_typeET2_T3_PNS10_IS15_E10value_typeET4_jRbjT5_S1B_jjP12ihipStream_tbEUljE_EEESW_SX_SY_S15_S19_S1B_T6_T7_T9_mT8_S1D_bDpT10_ENKUlT_T0_E_clISt17integral_constantIbLb1EES1P_IbLb0EEEEDaS1L_S1M_EUlS1L_E_NS1_11comp_targetILNS1_3genE2ELNS1_11target_archE906ELNS1_3gpuE6ELNS1_3repE0EEENS1_30default_config_static_selectorELNS0_4arch9wavefront6targetE1EEEvSZ_
; %bb.0:
	s_endpgm
	.section	.rodata,"a",@progbits
	.p2align	6, 0x0
	.amdhsa_kernel _ZN7rocprim17ROCPRIM_400000_NS6detail17trampoline_kernelINS0_13select_configILj256ELj13ELNS0_17block_load_methodE3ELS4_3ELS4_3ELNS0_20block_scan_algorithmE0ELj4294967295EEENS1_25partition_config_selectorILNS1_17partition_subalgoE3EjNS0_10empty_typeEbEEZZNS1_14partition_implILS8_3ELb0ES6_jNS0_17counting_iteratorIjlEEPS9_SE_NS0_5tupleIJPjSE_EEENSF_IJSE_SE_EEES9_SG_JZNS1_25segmented_radix_sort_implINS0_14default_configELb1EPK12hip_bfloat16PSL_PKlPlN2at6native12_GLOBAL__N_18offset_tEEE10hipError_tPvRmT1_PNSt15iterator_traitsISZ_E10value_typeET2_T3_PNS10_IS15_E10value_typeET4_jRbjT5_S1B_jjP12ihipStream_tbEUljE_EEESW_SX_SY_S15_S19_S1B_T6_T7_T9_mT8_S1D_bDpT10_ENKUlT_T0_E_clISt17integral_constantIbLb1EES1P_IbLb0EEEEDaS1L_S1M_EUlS1L_E_NS1_11comp_targetILNS1_3genE2ELNS1_11target_archE906ELNS1_3gpuE6ELNS1_3repE0EEENS1_30default_config_static_selectorELNS0_4arch9wavefront6targetE1EEEvSZ_
		.amdhsa_group_segment_fixed_size 0
		.amdhsa_private_segment_fixed_size 0
		.amdhsa_kernarg_size 144
		.amdhsa_user_sgpr_count 6
		.amdhsa_user_sgpr_private_segment_buffer 1
		.amdhsa_user_sgpr_dispatch_ptr 0
		.amdhsa_user_sgpr_queue_ptr 0
		.amdhsa_user_sgpr_kernarg_segment_ptr 1
		.amdhsa_user_sgpr_dispatch_id 0
		.amdhsa_user_sgpr_flat_scratch_init 0
		.amdhsa_user_sgpr_private_segment_size 0
		.amdhsa_uses_dynamic_stack 0
		.amdhsa_system_sgpr_private_segment_wavefront_offset 0
		.amdhsa_system_sgpr_workgroup_id_x 1
		.amdhsa_system_sgpr_workgroup_id_y 0
		.amdhsa_system_sgpr_workgroup_id_z 0
		.amdhsa_system_sgpr_workgroup_info 0
		.amdhsa_system_vgpr_workitem_id 0
		.amdhsa_next_free_vgpr 1
		.amdhsa_next_free_sgpr 0
		.amdhsa_reserve_vcc 0
		.amdhsa_reserve_flat_scratch 0
		.amdhsa_float_round_mode_32 0
		.amdhsa_float_round_mode_16_64 0
		.amdhsa_float_denorm_mode_32 3
		.amdhsa_float_denorm_mode_16_64 3
		.amdhsa_dx10_clamp 1
		.amdhsa_ieee_mode 1
		.amdhsa_fp16_overflow 0
		.amdhsa_exception_fp_ieee_invalid_op 0
		.amdhsa_exception_fp_denorm_src 0
		.amdhsa_exception_fp_ieee_div_zero 0
		.amdhsa_exception_fp_ieee_overflow 0
		.amdhsa_exception_fp_ieee_underflow 0
		.amdhsa_exception_fp_ieee_inexact 0
		.amdhsa_exception_int_div_zero 0
	.end_amdhsa_kernel
	.section	.text._ZN7rocprim17ROCPRIM_400000_NS6detail17trampoline_kernelINS0_13select_configILj256ELj13ELNS0_17block_load_methodE3ELS4_3ELS4_3ELNS0_20block_scan_algorithmE0ELj4294967295EEENS1_25partition_config_selectorILNS1_17partition_subalgoE3EjNS0_10empty_typeEbEEZZNS1_14partition_implILS8_3ELb0ES6_jNS0_17counting_iteratorIjlEEPS9_SE_NS0_5tupleIJPjSE_EEENSF_IJSE_SE_EEES9_SG_JZNS1_25segmented_radix_sort_implINS0_14default_configELb1EPK12hip_bfloat16PSL_PKlPlN2at6native12_GLOBAL__N_18offset_tEEE10hipError_tPvRmT1_PNSt15iterator_traitsISZ_E10value_typeET2_T3_PNS10_IS15_E10value_typeET4_jRbjT5_S1B_jjP12ihipStream_tbEUljE_EEESW_SX_SY_S15_S19_S1B_T6_T7_T9_mT8_S1D_bDpT10_ENKUlT_T0_E_clISt17integral_constantIbLb1EES1P_IbLb0EEEEDaS1L_S1M_EUlS1L_E_NS1_11comp_targetILNS1_3genE2ELNS1_11target_archE906ELNS1_3gpuE6ELNS1_3repE0EEENS1_30default_config_static_selectorELNS0_4arch9wavefront6targetE1EEEvSZ_,"axG",@progbits,_ZN7rocprim17ROCPRIM_400000_NS6detail17trampoline_kernelINS0_13select_configILj256ELj13ELNS0_17block_load_methodE3ELS4_3ELS4_3ELNS0_20block_scan_algorithmE0ELj4294967295EEENS1_25partition_config_selectorILNS1_17partition_subalgoE3EjNS0_10empty_typeEbEEZZNS1_14partition_implILS8_3ELb0ES6_jNS0_17counting_iteratorIjlEEPS9_SE_NS0_5tupleIJPjSE_EEENSF_IJSE_SE_EEES9_SG_JZNS1_25segmented_radix_sort_implINS0_14default_configELb1EPK12hip_bfloat16PSL_PKlPlN2at6native12_GLOBAL__N_18offset_tEEE10hipError_tPvRmT1_PNSt15iterator_traitsISZ_E10value_typeET2_T3_PNS10_IS15_E10value_typeET4_jRbjT5_S1B_jjP12ihipStream_tbEUljE_EEESW_SX_SY_S15_S19_S1B_T6_T7_T9_mT8_S1D_bDpT10_ENKUlT_T0_E_clISt17integral_constantIbLb1EES1P_IbLb0EEEEDaS1L_S1M_EUlS1L_E_NS1_11comp_targetILNS1_3genE2ELNS1_11target_archE906ELNS1_3gpuE6ELNS1_3repE0EEENS1_30default_config_static_selectorELNS0_4arch9wavefront6targetE1EEEvSZ_,comdat
.Lfunc_end1934:
	.size	_ZN7rocprim17ROCPRIM_400000_NS6detail17trampoline_kernelINS0_13select_configILj256ELj13ELNS0_17block_load_methodE3ELS4_3ELS4_3ELNS0_20block_scan_algorithmE0ELj4294967295EEENS1_25partition_config_selectorILNS1_17partition_subalgoE3EjNS0_10empty_typeEbEEZZNS1_14partition_implILS8_3ELb0ES6_jNS0_17counting_iteratorIjlEEPS9_SE_NS0_5tupleIJPjSE_EEENSF_IJSE_SE_EEES9_SG_JZNS1_25segmented_radix_sort_implINS0_14default_configELb1EPK12hip_bfloat16PSL_PKlPlN2at6native12_GLOBAL__N_18offset_tEEE10hipError_tPvRmT1_PNSt15iterator_traitsISZ_E10value_typeET2_T3_PNS10_IS15_E10value_typeET4_jRbjT5_S1B_jjP12ihipStream_tbEUljE_EEESW_SX_SY_S15_S19_S1B_T6_T7_T9_mT8_S1D_bDpT10_ENKUlT_T0_E_clISt17integral_constantIbLb1EES1P_IbLb0EEEEDaS1L_S1M_EUlS1L_E_NS1_11comp_targetILNS1_3genE2ELNS1_11target_archE906ELNS1_3gpuE6ELNS1_3repE0EEENS1_30default_config_static_selectorELNS0_4arch9wavefront6targetE1EEEvSZ_, .Lfunc_end1934-_ZN7rocprim17ROCPRIM_400000_NS6detail17trampoline_kernelINS0_13select_configILj256ELj13ELNS0_17block_load_methodE3ELS4_3ELS4_3ELNS0_20block_scan_algorithmE0ELj4294967295EEENS1_25partition_config_selectorILNS1_17partition_subalgoE3EjNS0_10empty_typeEbEEZZNS1_14partition_implILS8_3ELb0ES6_jNS0_17counting_iteratorIjlEEPS9_SE_NS0_5tupleIJPjSE_EEENSF_IJSE_SE_EEES9_SG_JZNS1_25segmented_radix_sort_implINS0_14default_configELb1EPK12hip_bfloat16PSL_PKlPlN2at6native12_GLOBAL__N_18offset_tEEE10hipError_tPvRmT1_PNSt15iterator_traitsISZ_E10value_typeET2_T3_PNS10_IS15_E10value_typeET4_jRbjT5_S1B_jjP12ihipStream_tbEUljE_EEESW_SX_SY_S15_S19_S1B_T6_T7_T9_mT8_S1D_bDpT10_ENKUlT_T0_E_clISt17integral_constantIbLb1EES1P_IbLb0EEEEDaS1L_S1M_EUlS1L_E_NS1_11comp_targetILNS1_3genE2ELNS1_11target_archE906ELNS1_3gpuE6ELNS1_3repE0EEENS1_30default_config_static_selectorELNS0_4arch9wavefront6targetE1EEEvSZ_
                                        ; -- End function
	.set _ZN7rocprim17ROCPRIM_400000_NS6detail17trampoline_kernelINS0_13select_configILj256ELj13ELNS0_17block_load_methodE3ELS4_3ELS4_3ELNS0_20block_scan_algorithmE0ELj4294967295EEENS1_25partition_config_selectorILNS1_17partition_subalgoE3EjNS0_10empty_typeEbEEZZNS1_14partition_implILS8_3ELb0ES6_jNS0_17counting_iteratorIjlEEPS9_SE_NS0_5tupleIJPjSE_EEENSF_IJSE_SE_EEES9_SG_JZNS1_25segmented_radix_sort_implINS0_14default_configELb1EPK12hip_bfloat16PSL_PKlPlN2at6native12_GLOBAL__N_18offset_tEEE10hipError_tPvRmT1_PNSt15iterator_traitsISZ_E10value_typeET2_T3_PNS10_IS15_E10value_typeET4_jRbjT5_S1B_jjP12ihipStream_tbEUljE_EEESW_SX_SY_S15_S19_S1B_T6_T7_T9_mT8_S1D_bDpT10_ENKUlT_T0_E_clISt17integral_constantIbLb1EES1P_IbLb0EEEEDaS1L_S1M_EUlS1L_E_NS1_11comp_targetILNS1_3genE2ELNS1_11target_archE906ELNS1_3gpuE6ELNS1_3repE0EEENS1_30default_config_static_selectorELNS0_4arch9wavefront6targetE1EEEvSZ_.num_vgpr, 0
	.set _ZN7rocprim17ROCPRIM_400000_NS6detail17trampoline_kernelINS0_13select_configILj256ELj13ELNS0_17block_load_methodE3ELS4_3ELS4_3ELNS0_20block_scan_algorithmE0ELj4294967295EEENS1_25partition_config_selectorILNS1_17partition_subalgoE3EjNS0_10empty_typeEbEEZZNS1_14partition_implILS8_3ELb0ES6_jNS0_17counting_iteratorIjlEEPS9_SE_NS0_5tupleIJPjSE_EEENSF_IJSE_SE_EEES9_SG_JZNS1_25segmented_radix_sort_implINS0_14default_configELb1EPK12hip_bfloat16PSL_PKlPlN2at6native12_GLOBAL__N_18offset_tEEE10hipError_tPvRmT1_PNSt15iterator_traitsISZ_E10value_typeET2_T3_PNS10_IS15_E10value_typeET4_jRbjT5_S1B_jjP12ihipStream_tbEUljE_EEESW_SX_SY_S15_S19_S1B_T6_T7_T9_mT8_S1D_bDpT10_ENKUlT_T0_E_clISt17integral_constantIbLb1EES1P_IbLb0EEEEDaS1L_S1M_EUlS1L_E_NS1_11comp_targetILNS1_3genE2ELNS1_11target_archE906ELNS1_3gpuE6ELNS1_3repE0EEENS1_30default_config_static_selectorELNS0_4arch9wavefront6targetE1EEEvSZ_.num_agpr, 0
	.set _ZN7rocprim17ROCPRIM_400000_NS6detail17trampoline_kernelINS0_13select_configILj256ELj13ELNS0_17block_load_methodE3ELS4_3ELS4_3ELNS0_20block_scan_algorithmE0ELj4294967295EEENS1_25partition_config_selectorILNS1_17partition_subalgoE3EjNS0_10empty_typeEbEEZZNS1_14partition_implILS8_3ELb0ES6_jNS0_17counting_iteratorIjlEEPS9_SE_NS0_5tupleIJPjSE_EEENSF_IJSE_SE_EEES9_SG_JZNS1_25segmented_radix_sort_implINS0_14default_configELb1EPK12hip_bfloat16PSL_PKlPlN2at6native12_GLOBAL__N_18offset_tEEE10hipError_tPvRmT1_PNSt15iterator_traitsISZ_E10value_typeET2_T3_PNS10_IS15_E10value_typeET4_jRbjT5_S1B_jjP12ihipStream_tbEUljE_EEESW_SX_SY_S15_S19_S1B_T6_T7_T9_mT8_S1D_bDpT10_ENKUlT_T0_E_clISt17integral_constantIbLb1EES1P_IbLb0EEEEDaS1L_S1M_EUlS1L_E_NS1_11comp_targetILNS1_3genE2ELNS1_11target_archE906ELNS1_3gpuE6ELNS1_3repE0EEENS1_30default_config_static_selectorELNS0_4arch9wavefront6targetE1EEEvSZ_.numbered_sgpr, 0
	.set _ZN7rocprim17ROCPRIM_400000_NS6detail17trampoline_kernelINS0_13select_configILj256ELj13ELNS0_17block_load_methodE3ELS4_3ELS4_3ELNS0_20block_scan_algorithmE0ELj4294967295EEENS1_25partition_config_selectorILNS1_17partition_subalgoE3EjNS0_10empty_typeEbEEZZNS1_14partition_implILS8_3ELb0ES6_jNS0_17counting_iteratorIjlEEPS9_SE_NS0_5tupleIJPjSE_EEENSF_IJSE_SE_EEES9_SG_JZNS1_25segmented_radix_sort_implINS0_14default_configELb1EPK12hip_bfloat16PSL_PKlPlN2at6native12_GLOBAL__N_18offset_tEEE10hipError_tPvRmT1_PNSt15iterator_traitsISZ_E10value_typeET2_T3_PNS10_IS15_E10value_typeET4_jRbjT5_S1B_jjP12ihipStream_tbEUljE_EEESW_SX_SY_S15_S19_S1B_T6_T7_T9_mT8_S1D_bDpT10_ENKUlT_T0_E_clISt17integral_constantIbLb1EES1P_IbLb0EEEEDaS1L_S1M_EUlS1L_E_NS1_11comp_targetILNS1_3genE2ELNS1_11target_archE906ELNS1_3gpuE6ELNS1_3repE0EEENS1_30default_config_static_selectorELNS0_4arch9wavefront6targetE1EEEvSZ_.num_named_barrier, 0
	.set _ZN7rocprim17ROCPRIM_400000_NS6detail17trampoline_kernelINS0_13select_configILj256ELj13ELNS0_17block_load_methodE3ELS4_3ELS4_3ELNS0_20block_scan_algorithmE0ELj4294967295EEENS1_25partition_config_selectorILNS1_17partition_subalgoE3EjNS0_10empty_typeEbEEZZNS1_14partition_implILS8_3ELb0ES6_jNS0_17counting_iteratorIjlEEPS9_SE_NS0_5tupleIJPjSE_EEENSF_IJSE_SE_EEES9_SG_JZNS1_25segmented_radix_sort_implINS0_14default_configELb1EPK12hip_bfloat16PSL_PKlPlN2at6native12_GLOBAL__N_18offset_tEEE10hipError_tPvRmT1_PNSt15iterator_traitsISZ_E10value_typeET2_T3_PNS10_IS15_E10value_typeET4_jRbjT5_S1B_jjP12ihipStream_tbEUljE_EEESW_SX_SY_S15_S19_S1B_T6_T7_T9_mT8_S1D_bDpT10_ENKUlT_T0_E_clISt17integral_constantIbLb1EES1P_IbLb0EEEEDaS1L_S1M_EUlS1L_E_NS1_11comp_targetILNS1_3genE2ELNS1_11target_archE906ELNS1_3gpuE6ELNS1_3repE0EEENS1_30default_config_static_selectorELNS0_4arch9wavefront6targetE1EEEvSZ_.private_seg_size, 0
	.set _ZN7rocprim17ROCPRIM_400000_NS6detail17trampoline_kernelINS0_13select_configILj256ELj13ELNS0_17block_load_methodE3ELS4_3ELS4_3ELNS0_20block_scan_algorithmE0ELj4294967295EEENS1_25partition_config_selectorILNS1_17partition_subalgoE3EjNS0_10empty_typeEbEEZZNS1_14partition_implILS8_3ELb0ES6_jNS0_17counting_iteratorIjlEEPS9_SE_NS0_5tupleIJPjSE_EEENSF_IJSE_SE_EEES9_SG_JZNS1_25segmented_radix_sort_implINS0_14default_configELb1EPK12hip_bfloat16PSL_PKlPlN2at6native12_GLOBAL__N_18offset_tEEE10hipError_tPvRmT1_PNSt15iterator_traitsISZ_E10value_typeET2_T3_PNS10_IS15_E10value_typeET4_jRbjT5_S1B_jjP12ihipStream_tbEUljE_EEESW_SX_SY_S15_S19_S1B_T6_T7_T9_mT8_S1D_bDpT10_ENKUlT_T0_E_clISt17integral_constantIbLb1EES1P_IbLb0EEEEDaS1L_S1M_EUlS1L_E_NS1_11comp_targetILNS1_3genE2ELNS1_11target_archE906ELNS1_3gpuE6ELNS1_3repE0EEENS1_30default_config_static_selectorELNS0_4arch9wavefront6targetE1EEEvSZ_.uses_vcc, 0
	.set _ZN7rocprim17ROCPRIM_400000_NS6detail17trampoline_kernelINS0_13select_configILj256ELj13ELNS0_17block_load_methodE3ELS4_3ELS4_3ELNS0_20block_scan_algorithmE0ELj4294967295EEENS1_25partition_config_selectorILNS1_17partition_subalgoE3EjNS0_10empty_typeEbEEZZNS1_14partition_implILS8_3ELb0ES6_jNS0_17counting_iteratorIjlEEPS9_SE_NS0_5tupleIJPjSE_EEENSF_IJSE_SE_EEES9_SG_JZNS1_25segmented_radix_sort_implINS0_14default_configELb1EPK12hip_bfloat16PSL_PKlPlN2at6native12_GLOBAL__N_18offset_tEEE10hipError_tPvRmT1_PNSt15iterator_traitsISZ_E10value_typeET2_T3_PNS10_IS15_E10value_typeET4_jRbjT5_S1B_jjP12ihipStream_tbEUljE_EEESW_SX_SY_S15_S19_S1B_T6_T7_T9_mT8_S1D_bDpT10_ENKUlT_T0_E_clISt17integral_constantIbLb1EES1P_IbLb0EEEEDaS1L_S1M_EUlS1L_E_NS1_11comp_targetILNS1_3genE2ELNS1_11target_archE906ELNS1_3gpuE6ELNS1_3repE0EEENS1_30default_config_static_selectorELNS0_4arch9wavefront6targetE1EEEvSZ_.uses_flat_scratch, 0
	.set _ZN7rocprim17ROCPRIM_400000_NS6detail17trampoline_kernelINS0_13select_configILj256ELj13ELNS0_17block_load_methodE3ELS4_3ELS4_3ELNS0_20block_scan_algorithmE0ELj4294967295EEENS1_25partition_config_selectorILNS1_17partition_subalgoE3EjNS0_10empty_typeEbEEZZNS1_14partition_implILS8_3ELb0ES6_jNS0_17counting_iteratorIjlEEPS9_SE_NS0_5tupleIJPjSE_EEENSF_IJSE_SE_EEES9_SG_JZNS1_25segmented_radix_sort_implINS0_14default_configELb1EPK12hip_bfloat16PSL_PKlPlN2at6native12_GLOBAL__N_18offset_tEEE10hipError_tPvRmT1_PNSt15iterator_traitsISZ_E10value_typeET2_T3_PNS10_IS15_E10value_typeET4_jRbjT5_S1B_jjP12ihipStream_tbEUljE_EEESW_SX_SY_S15_S19_S1B_T6_T7_T9_mT8_S1D_bDpT10_ENKUlT_T0_E_clISt17integral_constantIbLb1EES1P_IbLb0EEEEDaS1L_S1M_EUlS1L_E_NS1_11comp_targetILNS1_3genE2ELNS1_11target_archE906ELNS1_3gpuE6ELNS1_3repE0EEENS1_30default_config_static_selectorELNS0_4arch9wavefront6targetE1EEEvSZ_.has_dyn_sized_stack, 0
	.set _ZN7rocprim17ROCPRIM_400000_NS6detail17trampoline_kernelINS0_13select_configILj256ELj13ELNS0_17block_load_methodE3ELS4_3ELS4_3ELNS0_20block_scan_algorithmE0ELj4294967295EEENS1_25partition_config_selectorILNS1_17partition_subalgoE3EjNS0_10empty_typeEbEEZZNS1_14partition_implILS8_3ELb0ES6_jNS0_17counting_iteratorIjlEEPS9_SE_NS0_5tupleIJPjSE_EEENSF_IJSE_SE_EEES9_SG_JZNS1_25segmented_radix_sort_implINS0_14default_configELb1EPK12hip_bfloat16PSL_PKlPlN2at6native12_GLOBAL__N_18offset_tEEE10hipError_tPvRmT1_PNSt15iterator_traitsISZ_E10value_typeET2_T3_PNS10_IS15_E10value_typeET4_jRbjT5_S1B_jjP12ihipStream_tbEUljE_EEESW_SX_SY_S15_S19_S1B_T6_T7_T9_mT8_S1D_bDpT10_ENKUlT_T0_E_clISt17integral_constantIbLb1EES1P_IbLb0EEEEDaS1L_S1M_EUlS1L_E_NS1_11comp_targetILNS1_3genE2ELNS1_11target_archE906ELNS1_3gpuE6ELNS1_3repE0EEENS1_30default_config_static_selectorELNS0_4arch9wavefront6targetE1EEEvSZ_.has_recursion, 0
	.set _ZN7rocprim17ROCPRIM_400000_NS6detail17trampoline_kernelINS0_13select_configILj256ELj13ELNS0_17block_load_methodE3ELS4_3ELS4_3ELNS0_20block_scan_algorithmE0ELj4294967295EEENS1_25partition_config_selectorILNS1_17partition_subalgoE3EjNS0_10empty_typeEbEEZZNS1_14partition_implILS8_3ELb0ES6_jNS0_17counting_iteratorIjlEEPS9_SE_NS0_5tupleIJPjSE_EEENSF_IJSE_SE_EEES9_SG_JZNS1_25segmented_radix_sort_implINS0_14default_configELb1EPK12hip_bfloat16PSL_PKlPlN2at6native12_GLOBAL__N_18offset_tEEE10hipError_tPvRmT1_PNSt15iterator_traitsISZ_E10value_typeET2_T3_PNS10_IS15_E10value_typeET4_jRbjT5_S1B_jjP12ihipStream_tbEUljE_EEESW_SX_SY_S15_S19_S1B_T6_T7_T9_mT8_S1D_bDpT10_ENKUlT_T0_E_clISt17integral_constantIbLb1EES1P_IbLb0EEEEDaS1L_S1M_EUlS1L_E_NS1_11comp_targetILNS1_3genE2ELNS1_11target_archE906ELNS1_3gpuE6ELNS1_3repE0EEENS1_30default_config_static_selectorELNS0_4arch9wavefront6targetE1EEEvSZ_.has_indirect_call, 0
	.section	.AMDGPU.csdata,"",@progbits
; Kernel info:
; codeLenInByte = 4
; TotalNumSgprs: 4
; NumVgprs: 0
; ScratchSize: 0
; MemoryBound: 0
; FloatMode: 240
; IeeeMode: 1
; LDSByteSize: 0 bytes/workgroup (compile time only)
; SGPRBlocks: 0
; VGPRBlocks: 0
; NumSGPRsForWavesPerEU: 4
; NumVGPRsForWavesPerEU: 1
; Occupancy: 10
; WaveLimiterHint : 0
; COMPUTE_PGM_RSRC2:SCRATCH_EN: 0
; COMPUTE_PGM_RSRC2:USER_SGPR: 6
; COMPUTE_PGM_RSRC2:TRAP_HANDLER: 0
; COMPUTE_PGM_RSRC2:TGID_X_EN: 1
; COMPUTE_PGM_RSRC2:TGID_Y_EN: 0
; COMPUTE_PGM_RSRC2:TGID_Z_EN: 0
; COMPUTE_PGM_RSRC2:TIDIG_COMP_CNT: 0
	.section	.text._ZN7rocprim17ROCPRIM_400000_NS6detail17trampoline_kernelINS0_13select_configILj256ELj13ELNS0_17block_load_methodE3ELS4_3ELS4_3ELNS0_20block_scan_algorithmE0ELj4294967295EEENS1_25partition_config_selectorILNS1_17partition_subalgoE3EjNS0_10empty_typeEbEEZZNS1_14partition_implILS8_3ELb0ES6_jNS0_17counting_iteratorIjlEEPS9_SE_NS0_5tupleIJPjSE_EEENSF_IJSE_SE_EEES9_SG_JZNS1_25segmented_radix_sort_implINS0_14default_configELb1EPK12hip_bfloat16PSL_PKlPlN2at6native12_GLOBAL__N_18offset_tEEE10hipError_tPvRmT1_PNSt15iterator_traitsISZ_E10value_typeET2_T3_PNS10_IS15_E10value_typeET4_jRbjT5_S1B_jjP12ihipStream_tbEUljE_EEESW_SX_SY_S15_S19_S1B_T6_T7_T9_mT8_S1D_bDpT10_ENKUlT_T0_E_clISt17integral_constantIbLb1EES1P_IbLb0EEEEDaS1L_S1M_EUlS1L_E_NS1_11comp_targetILNS1_3genE10ELNS1_11target_archE1200ELNS1_3gpuE4ELNS1_3repE0EEENS1_30default_config_static_selectorELNS0_4arch9wavefront6targetE1EEEvSZ_,"axG",@progbits,_ZN7rocprim17ROCPRIM_400000_NS6detail17trampoline_kernelINS0_13select_configILj256ELj13ELNS0_17block_load_methodE3ELS4_3ELS4_3ELNS0_20block_scan_algorithmE0ELj4294967295EEENS1_25partition_config_selectorILNS1_17partition_subalgoE3EjNS0_10empty_typeEbEEZZNS1_14partition_implILS8_3ELb0ES6_jNS0_17counting_iteratorIjlEEPS9_SE_NS0_5tupleIJPjSE_EEENSF_IJSE_SE_EEES9_SG_JZNS1_25segmented_radix_sort_implINS0_14default_configELb1EPK12hip_bfloat16PSL_PKlPlN2at6native12_GLOBAL__N_18offset_tEEE10hipError_tPvRmT1_PNSt15iterator_traitsISZ_E10value_typeET2_T3_PNS10_IS15_E10value_typeET4_jRbjT5_S1B_jjP12ihipStream_tbEUljE_EEESW_SX_SY_S15_S19_S1B_T6_T7_T9_mT8_S1D_bDpT10_ENKUlT_T0_E_clISt17integral_constantIbLb1EES1P_IbLb0EEEEDaS1L_S1M_EUlS1L_E_NS1_11comp_targetILNS1_3genE10ELNS1_11target_archE1200ELNS1_3gpuE4ELNS1_3repE0EEENS1_30default_config_static_selectorELNS0_4arch9wavefront6targetE1EEEvSZ_,comdat
	.globl	_ZN7rocprim17ROCPRIM_400000_NS6detail17trampoline_kernelINS0_13select_configILj256ELj13ELNS0_17block_load_methodE3ELS4_3ELS4_3ELNS0_20block_scan_algorithmE0ELj4294967295EEENS1_25partition_config_selectorILNS1_17partition_subalgoE3EjNS0_10empty_typeEbEEZZNS1_14partition_implILS8_3ELb0ES6_jNS0_17counting_iteratorIjlEEPS9_SE_NS0_5tupleIJPjSE_EEENSF_IJSE_SE_EEES9_SG_JZNS1_25segmented_radix_sort_implINS0_14default_configELb1EPK12hip_bfloat16PSL_PKlPlN2at6native12_GLOBAL__N_18offset_tEEE10hipError_tPvRmT1_PNSt15iterator_traitsISZ_E10value_typeET2_T3_PNS10_IS15_E10value_typeET4_jRbjT5_S1B_jjP12ihipStream_tbEUljE_EEESW_SX_SY_S15_S19_S1B_T6_T7_T9_mT8_S1D_bDpT10_ENKUlT_T0_E_clISt17integral_constantIbLb1EES1P_IbLb0EEEEDaS1L_S1M_EUlS1L_E_NS1_11comp_targetILNS1_3genE10ELNS1_11target_archE1200ELNS1_3gpuE4ELNS1_3repE0EEENS1_30default_config_static_selectorELNS0_4arch9wavefront6targetE1EEEvSZ_ ; -- Begin function _ZN7rocprim17ROCPRIM_400000_NS6detail17trampoline_kernelINS0_13select_configILj256ELj13ELNS0_17block_load_methodE3ELS4_3ELS4_3ELNS0_20block_scan_algorithmE0ELj4294967295EEENS1_25partition_config_selectorILNS1_17partition_subalgoE3EjNS0_10empty_typeEbEEZZNS1_14partition_implILS8_3ELb0ES6_jNS0_17counting_iteratorIjlEEPS9_SE_NS0_5tupleIJPjSE_EEENSF_IJSE_SE_EEES9_SG_JZNS1_25segmented_radix_sort_implINS0_14default_configELb1EPK12hip_bfloat16PSL_PKlPlN2at6native12_GLOBAL__N_18offset_tEEE10hipError_tPvRmT1_PNSt15iterator_traitsISZ_E10value_typeET2_T3_PNS10_IS15_E10value_typeET4_jRbjT5_S1B_jjP12ihipStream_tbEUljE_EEESW_SX_SY_S15_S19_S1B_T6_T7_T9_mT8_S1D_bDpT10_ENKUlT_T0_E_clISt17integral_constantIbLb1EES1P_IbLb0EEEEDaS1L_S1M_EUlS1L_E_NS1_11comp_targetILNS1_3genE10ELNS1_11target_archE1200ELNS1_3gpuE4ELNS1_3repE0EEENS1_30default_config_static_selectorELNS0_4arch9wavefront6targetE1EEEvSZ_
	.p2align	8
	.type	_ZN7rocprim17ROCPRIM_400000_NS6detail17trampoline_kernelINS0_13select_configILj256ELj13ELNS0_17block_load_methodE3ELS4_3ELS4_3ELNS0_20block_scan_algorithmE0ELj4294967295EEENS1_25partition_config_selectorILNS1_17partition_subalgoE3EjNS0_10empty_typeEbEEZZNS1_14partition_implILS8_3ELb0ES6_jNS0_17counting_iteratorIjlEEPS9_SE_NS0_5tupleIJPjSE_EEENSF_IJSE_SE_EEES9_SG_JZNS1_25segmented_radix_sort_implINS0_14default_configELb1EPK12hip_bfloat16PSL_PKlPlN2at6native12_GLOBAL__N_18offset_tEEE10hipError_tPvRmT1_PNSt15iterator_traitsISZ_E10value_typeET2_T3_PNS10_IS15_E10value_typeET4_jRbjT5_S1B_jjP12ihipStream_tbEUljE_EEESW_SX_SY_S15_S19_S1B_T6_T7_T9_mT8_S1D_bDpT10_ENKUlT_T0_E_clISt17integral_constantIbLb1EES1P_IbLb0EEEEDaS1L_S1M_EUlS1L_E_NS1_11comp_targetILNS1_3genE10ELNS1_11target_archE1200ELNS1_3gpuE4ELNS1_3repE0EEENS1_30default_config_static_selectorELNS0_4arch9wavefront6targetE1EEEvSZ_,@function
_ZN7rocprim17ROCPRIM_400000_NS6detail17trampoline_kernelINS0_13select_configILj256ELj13ELNS0_17block_load_methodE3ELS4_3ELS4_3ELNS0_20block_scan_algorithmE0ELj4294967295EEENS1_25partition_config_selectorILNS1_17partition_subalgoE3EjNS0_10empty_typeEbEEZZNS1_14partition_implILS8_3ELb0ES6_jNS0_17counting_iteratorIjlEEPS9_SE_NS0_5tupleIJPjSE_EEENSF_IJSE_SE_EEES9_SG_JZNS1_25segmented_radix_sort_implINS0_14default_configELb1EPK12hip_bfloat16PSL_PKlPlN2at6native12_GLOBAL__N_18offset_tEEE10hipError_tPvRmT1_PNSt15iterator_traitsISZ_E10value_typeET2_T3_PNS10_IS15_E10value_typeET4_jRbjT5_S1B_jjP12ihipStream_tbEUljE_EEESW_SX_SY_S15_S19_S1B_T6_T7_T9_mT8_S1D_bDpT10_ENKUlT_T0_E_clISt17integral_constantIbLb1EES1P_IbLb0EEEEDaS1L_S1M_EUlS1L_E_NS1_11comp_targetILNS1_3genE10ELNS1_11target_archE1200ELNS1_3gpuE4ELNS1_3repE0EEENS1_30default_config_static_selectorELNS0_4arch9wavefront6targetE1EEEvSZ_: ; @_ZN7rocprim17ROCPRIM_400000_NS6detail17trampoline_kernelINS0_13select_configILj256ELj13ELNS0_17block_load_methodE3ELS4_3ELS4_3ELNS0_20block_scan_algorithmE0ELj4294967295EEENS1_25partition_config_selectorILNS1_17partition_subalgoE3EjNS0_10empty_typeEbEEZZNS1_14partition_implILS8_3ELb0ES6_jNS0_17counting_iteratorIjlEEPS9_SE_NS0_5tupleIJPjSE_EEENSF_IJSE_SE_EEES9_SG_JZNS1_25segmented_radix_sort_implINS0_14default_configELb1EPK12hip_bfloat16PSL_PKlPlN2at6native12_GLOBAL__N_18offset_tEEE10hipError_tPvRmT1_PNSt15iterator_traitsISZ_E10value_typeET2_T3_PNS10_IS15_E10value_typeET4_jRbjT5_S1B_jjP12ihipStream_tbEUljE_EEESW_SX_SY_S15_S19_S1B_T6_T7_T9_mT8_S1D_bDpT10_ENKUlT_T0_E_clISt17integral_constantIbLb1EES1P_IbLb0EEEEDaS1L_S1M_EUlS1L_E_NS1_11comp_targetILNS1_3genE10ELNS1_11target_archE1200ELNS1_3gpuE4ELNS1_3repE0EEENS1_30default_config_static_selectorELNS0_4arch9wavefront6targetE1EEEvSZ_
; %bb.0:
	.section	.rodata,"a",@progbits
	.p2align	6, 0x0
	.amdhsa_kernel _ZN7rocprim17ROCPRIM_400000_NS6detail17trampoline_kernelINS0_13select_configILj256ELj13ELNS0_17block_load_methodE3ELS4_3ELS4_3ELNS0_20block_scan_algorithmE0ELj4294967295EEENS1_25partition_config_selectorILNS1_17partition_subalgoE3EjNS0_10empty_typeEbEEZZNS1_14partition_implILS8_3ELb0ES6_jNS0_17counting_iteratorIjlEEPS9_SE_NS0_5tupleIJPjSE_EEENSF_IJSE_SE_EEES9_SG_JZNS1_25segmented_radix_sort_implINS0_14default_configELb1EPK12hip_bfloat16PSL_PKlPlN2at6native12_GLOBAL__N_18offset_tEEE10hipError_tPvRmT1_PNSt15iterator_traitsISZ_E10value_typeET2_T3_PNS10_IS15_E10value_typeET4_jRbjT5_S1B_jjP12ihipStream_tbEUljE_EEESW_SX_SY_S15_S19_S1B_T6_T7_T9_mT8_S1D_bDpT10_ENKUlT_T0_E_clISt17integral_constantIbLb1EES1P_IbLb0EEEEDaS1L_S1M_EUlS1L_E_NS1_11comp_targetILNS1_3genE10ELNS1_11target_archE1200ELNS1_3gpuE4ELNS1_3repE0EEENS1_30default_config_static_selectorELNS0_4arch9wavefront6targetE1EEEvSZ_
		.amdhsa_group_segment_fixed_size 0
		.amdhsa_private_segment_fixed_size 0
		.amdhsa_kernarg_size 144
		.amdhsa_user_sgpr_count 6
		.amdhsa_user_sgpr_private_segment_buffer 1
		.amdhsa_user_sgpr_dispatch_ptr 0
		.amdhsa_user_sgpr_queue_ptr 0
		.amdhsa_user_sgpr_kernarg_segment_ptr 1
		.amdhsa_user_sgpr_dispatch_id 0
		.amdhsa_user_sgpr_flat_scratch_init 0
		.amdhsa_user_sgpr_private_segment_size 0
		.amdhsa_uses_dynamic_stack 0
		.amdhsa_system_sgpr_private_segment_wavefront_offset 0
		.amdhsa_system_sgpr_workgroup_id_x 1
		.amdhsa_system_sgpr_workgroup_id_y 0
		.amdhsa_system_sgpr_workgroup_id_z 0
		.amdhsa_system_sgpr_workgroup_info 0
		.amdhsa_system_vgpr_workitem_id 0
		.amdhsa_next_free_vgpr 1
		.amdhsa_next_free_sgpr 0
		.amdhsa_reserve_vcc 0
		.amdhsa_reserve_flat_scratch 0
		.amdhsa_float_round_mode_32 0
		.amdhsa_float_round_mode_16_64 0
		.amdhsa_float_denorm_mode_32 3
		.amdhsa_float_denorm_mode_16_64 3
		.amdhsa_dx10_clamp 1
		.amdhsa_ieee_mode 1
		.amdhsa_fp16_overflow 0
		.amdhsa_exception_fp_ieee_invalid_op 0
		.amdhsa_exception_fp_denorm_src 0
		.amdhsa_exception_fp_ieee_div_zero 0
		.amdhsa_exception_fp_ieee_overflow 0
		.amdhsa_exception_fp_ieee_underflow 0
		.amdhsa_exception_fp_ieee_inexact 0
		.amdhsa_exception_int_div_zero 0
	.end_amdhsa_kernel
	.section	.text._ZN7rocprim17ROCPRIM_400000_NS6detail17trampoline_kernelINS0_13select_configILj256ELj13ELNS0_17block_load_methodE3ELS4_3ELS4_3ELNS0_20block_scan_algorithmE0ELj4294967295EEENS1_25partition_config_selectorILNS1_17partition_subalgoE3EjNS0_10empty_typeEbEEZZNS1_14partition_implILS8_3ELb0ES6_jNS0_17counting_iteratorIjlEEPS9_SE_NS0_5tupleIJPjSE_EEENSF_IJSE_SE_EEES9_SG_JZNS1_25segmented_radix_sort_implINS0_14default_configELb1EPK12hip_bfloat16PSL_PKlPlN2at6native12_GLOBAL__N_18offset_tEEE10hipError_tPvRmT1_PNSt15iterator_traitsISZ_E10value_typeET2_T3_PNS10_IS15_E10value_typeET4_jRbjT5_S1B_jjP12ihipStream_tbEUljE_EEESW_SX_SY_S15_S19_S1B_T6_T7_T9_mT8_S1D_bDpT10_ENKUlT_T0_E_clISt17integral_constantIbLb1EES1P_IbLb0EEEEDaS1L_S1M_EUlS1L_E_NS1_11comp_targetILNS1_3genE10ELNS1_11target_archE1200ELNS1_3gpuE4ELNS1_3repE0EEENS1_30default_config_static_selectorELNS0_4arch9wavefront6targetE1EEEvSZ_,"axG",@progbits,_ZN7rocprim17ROCPRIM_400000_NS6detail17trampoline_kernelINS0_13select_configILj256ELj13ELNS0_17block_load_methodE3ELS4_3ELS4_3ELNS0_20block_scan_algorithmE0ELj4294967295EEENS1_25partition_config_selectorILNS1_17partition_subalgoE3EjNS0_10empty_typeEbEEZZNS1_14partition_implILS8_3ELb0ES6_jNS0_17counting_iteratorIjlEEPS9_SE_NS0_5tupleIJPjSE_EEENSF_IJSE_SE_EEES9_SG_JZNS1_25segmented_radix_sort_implINS0_14default_configELb1EPK12hip_bfloat16PSL_PKlPlN2at6native12_GLOBAL__N_18offset_tEEE10hipError_tPvRmT1_PNSt15iterator_traitsISZ_E10value_typeET2_T3_PNS10_IS15_E10value_typeET4_jRbjT5_S1B_jjP12ihipStream_tbEUljE_EEESW_SX_SY_S15_S19_S1B_T6_T7_T9_mT8_S1D_bDpT10_ENKUlT_T0_E_clISt17integral_constantIbLb1EES1P_IbLb0EEEEDaS1L_S1M_EUlS1L_E_NS1_11comp_targetILNS1_3genE10ELNS1_11target_archE1200ELNS1_3gpuE4ELNS1_3repE0EEENS1_30default_config_static_selectorELNS0_4arch9wavefront6targetE1EEEvSZ_,comdat
.Lfunc_end1935:
	.size	_ZN7rocprim17ROCPRIM_400000_NS6detail17trampoline_kernelINS0_13select_configILj256ELj13ELNS0_17block_load_methodE3ELS4_3ELS4_3ELNS0_20block_scan_algorithmE0ELj4294967295EEENS1_25partition_config_selectorILNS1_17partition_subalgoE3EjNS0_10empty_typeEbEEZZNS1_14partition_implILS8_3ELb0ES6_jNS0_17counting_iteratorIjlEEPS9_SE_NS0_5tupleIJPjSE_EEENSF_IJSE_SE_EEES9_SG_JZNS1_25segmented_radix_sort_implINS0_14default_configELb1EPK12hip_bfloat16PSL_PKlPlN2at6native12_GLOBAL__N_18offset_tEEE10hipError_tPvRmT1_PNSt15iterator_traitsISZ_E10value_typeET2_T3_PNS10_IS15_E10value_typeET4_jRbjT5_S1B_jjP12ihipStream_tbEUljE_EEESW_SX_SY_S15_S19_S1B_T6_T7_T9_mT8_S1D_bDpT10_ENKUlT_T0_E_clISt17integral_constantIbLb1EES1P_IbLb0EEEEDaS1L_S1M_EUlS1L_E_NS1_11comp_targetILNS1_3genE10ELNS1_11target_archE1200ELNS1_3gpuE4ELNS1_3repE0EEENS1_30default_config_static_selectorELNS0_4arch9wavefront6targetE1EEEvSZ_, .Lfunc_end1935-_ZN7rocprim17ROCPRIM_400000_NS6detail17trampoline_kernelINS0_13select_configILj256ELj13ELNS0_17block_load_methodE3ELS4_3ELS4_3ELNS0_20block_scan_algorithmE0ELj4294967295EEENS1_25partition_config_selectorILNS1_17partition_subalgoE3EjNS0_10empty_typeEbEEZZNS1_14partition_implILS8_3ELb0ES6_jNS0_17counting_iteratorIjlEEPS9_SE_NS0_5tupleIJPjSE_EEENSF_IJSE_SE_EEES9_SG_JZNS1_25segmented_radix_sort_implINS0_14default_configELb1EPK12hip_bfloat16PSL_PKlPlN2at6native12_GLOBAL__N_18offset_tEEE10hipError_tPvRmT1_PNSt15iterator_traitsISZ_E10value_typeET2_T3_PNS10_IS15_E10value_typeET4_jRbjT5_S1B_jjP12ihipStream_tbEUljE_EEESW_SX_SY_S15_S19_S1B_T6_T7_T9_mT8_S1D_bDpT10_ENKUlT_T0_E_clISt17integral_constantIbLb1EES1P_IbLb0EEEEDaS1L_S1M_EUlS1L_E_NS1_11comp_targetILNS1_3genE10ELNS1_11target_archE1200ELNS1_3gpuE4ELNS1_3repE0EEENS1_30default_config_static_selectorELNS0_4arch9wavefront6targetE1EEEvSZ_
                                        ; -- End function
	.set _ZN7rocprim17ROCPRIM_400000_NS6detail17trampoline_kernelINS0_13select_configILj256ELj13ELNS0_17block_load_methodE3ELS4_3ELS4_3ELNS0_20block_scan_algorithmE0ELj4294967295EEENS1_25partition_config_selectorILNS1_17partition_subalgoE3EjNS0_10empty_typeEbEEZZNS1_14partition_implILS8_3ELb0ES6_jNS0_17counting_iteratorIjlEEPS9_SE_NS0_5tupleIJPjSE_EEENSF_IJSE_SE_EEES9_SG_JZNS1_25segmented_radix_sort_implINS0_14default_configELb1EPK12hip_bfloat16PSL_PKlPlN2at6native12_GLOBAL__N_18offset_tEEE10hipError_tPvRmT1_PNSt15iterator_traitsISZ_E10value_typeET2_T3_PNS10_IS15_E10value_typeET4_jRbjT5_S1B_jjP12ihipStream_tbEUljE_EEESW_SX_SY_S15_S19_S1B_T6_T7_T9_mT8_S1D_bDpT10_ENKUlT_T0_E_clISt17integral_constantIbLb1EES1P_IbLb0EEEEDaS1L_S1M_EUlS1L_E_NS1_11comp_targetILNS1_3genE10ELNS1_11target_archE1200ELNS1_3gpuE4ELNS1_3repE0EEENS1_30default_config_static_selectorELNS0_4arch9wavefront6targetE1EEEvSZ_.num_vgpr, 0
	.set _ZN7rocprim17ROCPRIM_400000_NS6detail17trampoline_kernelINS0_13select_configILj256ELj13ELNS0_17block_load_methodE3ELS4_3ELS4_3ELNS0_20block_scan_algorithmE0ELj4294967295EEENS1_25partition_config_selectorILNS1_17partition_subalgoE3EjNS0_10empty_typeEbEEZZNS1_14partition_implILS8_3ELb0ES6_jNS0_17counting_iteratorIjlEEPS9_SE_NS0_5tupleIJPjSE_EEENSF_IJSE_SE_EEES9_SG_JZNS1_25segmented_radix_sort_implINS0_14default_configELb1EPK12hip_bfloat16PSL_PKlPlN2at6native12_GLOBAL__N_18offset_tEEE10hipError_tPvRmT1_PNSt15iterator_traitsISZ_E10value_typeET2_T3_PNS10_IS15_E10value_typeET4_jRbjT5_S1B_jjP12ihipStream_tbEUljE_EEESW_SX_SY_S15_S19_S1B_T6_T7_T9_mT8_S1D_bDpT10_ENKUlT_T0_E_clISt17integral_constantIbLb1EES1P_IbLb0EEEEDaS1L_S1M_EUlS1L_E_NS1_11comp_targetILNS1_3genE10ELNS1_11target_archE1200ELNS1_3gpuE4ELNS1_3repE0EEENS1_30default_config_static_selectorELNS0_4arch9wavefront6targetE1EEEvSZ_.num_agpr, 0
	.set _ZN7rocprim17ROCPRIM_400000_NS6detail17trampoline_kernelINS0_13select_configILj256ELj13ELNS0_17block_load_methodE3ELS4_3ELS4_3ELNS0_20block_scan_algorithmE0ELj4294967295EEENS1_25partition_config_selectorILNS1_17partition_subalgoE3EjNS0_10empty_typeEbEEZZNS1_14partition_implILS8_3ELb0ES6_jNS0_17counting_iteratorIjlEEPS9_SE_NS0_5tupleIJPjSE_EEENSF_IJSE_SE_EEES9_SG_JZNS1_25segmented_radix_sort_implINS0_14default_configELb1EPK12hip_bfloat16PSL_PKlPlN2at6native12_GLOBAL__N_18offset_tEEE10hipError_tPvRmT1_PNSt15iterator_traitsISZ_E10value_typeET2_T3_PNS10_IS15_E10value_typeET4_jRbjT5_S1B_jjP12ihipStream_tbEUljE_EEESW_SX_SY_S15_S19_S1B_T6_T7_T9_mT8_S1D_bDpT10_ENKUlT_T0_E_clISt17integral_constantIbLb1EES1P_IbLb0EEEEDaS1L_S1M_EUlS1L_E_NS1_11comp_targetILNS1_3genE10ELNS1_11target_archE1200ELNS1_3gpuE4ELNS1_3repE0EEENS1_30default_config_static_selectorELNS0_4arch9wavefront6targetE1EEEvSZ_.numbered_sgpr, 0
	.set _ZN7rocprim17ROCPRIM_400000_NS6detail17trampoline_kernelINS0_13select_configILj256ELj13ELNS0_17block_load_methodE3ELS4_3ELS4_3ELNS0_20block_scan_algorithmE0ELj4294967295EEENS1_25partition_config_selectorILNS1_17partition_subalgoE3EjNS0_10empty_typeEbEEZZNS1_14partition_implILS8_3ELb0ES6_jNS0_17counting_iteratorIjlEEPS9_SE_NS0_5tupleIJPjSE_EEENSF_IJSE_SE_EEES9_SG_JZNS1_25segmented_radix_sort_implINS0_14default_configELb1EPK12hip_bfloat16PSL_PKlPlN2at6native12_GLOBAL__N_18offset_tEEE10hipError_tPvRmT1_PNSt15iterator_traitsISZ_E10value_typeET2_T3_PNS10_IS15_E10value_typeET4_jRbjT5_S1B_jjP12ihipStream_tbEUljE_EEESW_SX_SY_S15_S19_S1B_T6_T7_T9_mT8_S1D_bDpT10_ENKUlT_T0_E_clISt17integral_constantIbLb1EES1P_IbLb0EEEEDaS1L_S1M_EUlS1L_E_NS1_11comp_targetILNS1_3genE10ELNS1_11target_archE1200ELNS1_3gpuE4ELNS1_3repE0EEENS1_30default_config_static_selectorELNS0_4arch9wavefront6targetE1EEEvSZ_.num_named_barrier, 0
	.set _ZN7rocprim17ROCPRIM_400000_NS6detail17trampoline_kernelINS0_13select_configILj256ELj13ELNS0_17block_load_methodE3ELS4_3ELS4_3ELNS0_20block_scan_algorithmE0ELj4294967295EEENS1_25partition_config_selectorILNS1_17partition_subalgoE3EjNS0_10empty_typeEbEEZZNS1_14partition_implILS8_3ELb0ES6_jNS0_17counting_iteratorIjlEEPS9_SE_NS0_5tupleIJPjSE_EEENSF_IJSE_SE_EEES9_SG_JZNS1_25segmented_radix_sort_implINS0_14default_configELb1EPK12hip_bfloat16PSL_PKlPlN2at6native12_GLOBAL__N_18offset_tEEE10hipError_tPvRmT1_PNSt15iterator_traitsISZ_E10value_typeET2_T3_PNS10_IS15_E10value_typeET4_jRbjT5_S1B_jjP12ihipStream_tbEUljE_EEESW_SX_SY_S15_S19_S1B_T6_T7_T9_mT8_S1D_bDpT10_ENKUlT_T0_E_clISt17integral_constantIbLb1EES1P_IbLb0EEEEDaS1L_S1M_EUlS1L_E_NS1_11comp_targetILNS1_3genE10ELNS1_11target_archE1200ELNS1_3gpuE4ELNS1_3repE0EEENS1_30default_config_static_selectorELNS0_4arch9wavefront6targetE1EEEvSZ_.private_seg_size, 0
	.set _ZN7rocprim17ROCPRIM_400000_NS6detail17trampoline_kernelINS0_13select_configILj256ELj13ELNS0_17block_load_methodE3ELS4_3ELS4_3ELNS0_20block_scan_algorithmE0ELj4294967295EEENS1_25partition_config_selectorILNS1_17partition_subalgoE3EjNS0_10empty_typeEbEEZZNS1_14partition_implILS8_3ELb0ES6_jNS0_17counting_iteratorIjlEEPS9_SE_NS0_5tupleIJPjSE_EEENSF_IJSE_SE_EEES9_SG_JZNS1_25segmented_radix_sort_implINS0_14default_configELb1EPK12hip_bfloat16PSL_PKlPlN2at6native12_GLOBAL__N_18offset_tEEE10hipError_tPvRmT1_PNSt15iterator_traitsISZ_E10value_typeET2_T3_PNS10_IS15_E10value_typeET4_jRbjT5_S1B_jjP12ihipStream_tbEUljE_EEESW_SX_SY_S15_S19_S1B_T6_T7_T9_mT8_S1D_bDpT10_ENKUlT_T0_E_clISt17integral_constantIbLb1EES1P_IbLb0EEEEDaS1L_S1M_EUlS1L_E_NS1_11comp_targetILNS1_3genE10ELNS1_11target_archE1200ELNS1_3gpuE4ELNS1_3repE0EEENS1_30default_config_static_selectorELNS0_4arch9wavefront6targetE1EEEvSZ_.uses_vcc, 0
	.set _ZN7rocprim17ROCPRIM_400000_NS6detail17trampoline_kernelINS0_13select_configILj256ELj13ELNS0_17block_load_methodE3ELS4_3ELS4_3ELNS0_20block_scan_algorithmE0ELj4294967295EEENS1_25partition_config_selectorILNS1_17partition_subalgoE3EjNS0_10empty_typeEbEEZZNS1_14partition_implILS8_3ELb0ES6_jNS0_17counting_iteratorIjlEEPS9_SE_NS0_5tupleIJPjSE_EEENSF_IJSE_SE_EEES9_SG_JZNS1_25segmented_radix_sort_implINS0_14default_configELb1EPK12hip_bfloat16PSL_PKlPlN2at6native12_GLOBAL__N_18offset_tEEE10hipError_tPvRmT1_PNSt15iterator_traitsISZ_E10value_typeET2_T3_PNS10_IS15_E10value_typeET4_jRbjT5_S1B_jjP12ihipStream_tbEUljE_EEESW_SX_SY_S15_S19_S1B_T6_T7_T9_mT8_S1D_bDpT10_ENKUlT_T0_E_clISt17integral_constantIbLb1EES1P_IbLb0EEEEDaS1L_S1M_EUlS1L_E_NS1_11comp_targetILNS1_3genE10ELNS1_11target_archE1200ELNS1_3gpuE4ELNS1_3repE0EEENS1_30default_config_static_selectorELNS0_4arch9wavefront6targetE1EEEvSZ_.uses_flat_scratch, 0
	.set _ZN7rocprim17ROCPRIM_400000_NS6detail17trampoline_kernelINS0_13select_configILj256ELj13ELNS0_17block_load_methodE3ELS4_3ELS4_3ELNS0_20block_scan_algorithmE0ELj4294967295EEENS1_25partition_config_selectorILNS1_17partition_subalgoE3EjNS0_10empty_typeEbEEZZNS1_14partition_implILS8_3ELb0ES6_jNS0_17counting_iteratorIjlEEPS9_SE_NS0_5tupleIJPjSE_EEENSF_IJSE_SE_EEES9_SG_JZNS1_25segmented_radix_sort_implINS0_14default_configELb1EPK12hip_bfloat16PSL_PKlPlN2at6native12_GLOBAL__N_18offset_tEEE10hipError_tPvRmT1_PNSt15iterator_traitsISZ_E10value_typeET2_T3_PNS10_IS15_E10value_typeET4_jRbjT5_S1B_jjP12ihipStream_tbEUljE_EEESW_SX_SY_S15_S19_S1B_T6_T7_T9_mT8_S1D_bDpT10_ENKUlT_T0_E_clISt17integral_constantIbLb1EES1P_IbLb0EEEEDaS1L_S1M_EUlS1L_E_NS1_11comp_targetILNS1_3genE10ELNS1_11target_archE1200ELNS1_3gpuE4ELNS1_3repE0EEENS1_30default_config_static_selectorELNS0_4arch9wavefront6targetE1EEEvSZ_.has_dyn_sized_stack, 0
	.set _ZN7rocprim17ROCPRIM_400000_NS6detail17trampoline_kernelINS0_13select_configILj256ELj13ELNS0_17block_load_methodE3ELS4_3ELS4_3ELNS0_20block_scan_algorithmE0ELj4294967295EEENS1_25partition_config_selectorILNS1_17partition_subalgoE3EjNS0_10empty_typeEbEEZZNS1_14partition_implILS8_3ELb0ES6_jNS0_17counting_iteratorIjlEEPS9_SE_NS0_5tupleIJPjSE_EEENSF_IJSE_SE_EEES9_SG_JZNS1_25segmented_radix_sort_implINS0_14default_configELb1EPK12hip_bfloat16PSL_PKlPlN2at6native12_GLOBAL__N_18offset_tEEE10hipError_tPvRmT1_PNSt15iterator_traitsISZ_E10value_typeET2_T3_PNS10_IS15_E10value_typeET4_jRbjT5_S1B_jjP12ihipStream_tbEUljE_EEESW_SX_SY_S15_S19_S1B_T6_T7_T9_mT8_S1D_bDpT10_ENKUlT_T0_E_clISt17integral_constantIbLb1EES1P_IbLb0EEEEDaS1L_S1M_EUlS1L_E_NS1_11comp_targetILNS1_3genE10ELNS1_11target_archE1200ELNS1_3gpuE4ELNS1_3repE0EEENS1_30default_config_static_selectorELNS0_4arch9wavefront6targetE1EEEvSZ_.has_recursion, 0
	.set _ZN7rocprim17ROCPRIM_400000_NS6detail17trampoline_kernelINS0_13select_configILj256ELj13ELNS0_17block_load_methodE3ELS4_3ELS4_3ELNS0_20block_scan_algorithmE0ELj4294967295EEENS1_25partition_config_selectorILNS1_17partition_subalgoE3EjNS0_10empty_typeEbEEZZNS1_14partition_implILS8_3ELb0ES6_jNS0_17counting_iteratorIjlEEPS9_SE_NS0_5tupleIJPjSE_EEENSF_IJSE_SE_EEES9_SG_JZNS1_25segmented_radix_sort_implINS0_14default_configELb1EPK12hip_bfloat16PSL_PKlPlN2at6native12_GLOBAL__N_18offset_tEEE10hipError_tPvRmT1_PNSt15iterator_traitsISZ_E10value_typeET2_T3_PNS10_IS15_E10value_typeET4_jRbjT5_S1B_jjP12ihipStream_tbEUljE_EEESW_SX_SY_S15_S19_S1B_T6_T7_T9_mT8_S1D_bDpT10_ENKUlT_T0_E_clISt17integral_constantIbLb1EES1P_IbLb0EEEEDaS1L_S1M_EUlS1L_E_NS1_11comp_targetILNS1_3genE10ELNS1_11target_archE1200ELNS1_3gpuE4ELNS1_3repE0EEENS1_30default_config_static_selectorELNS0_4arch9wavefront6targetE1EEEvSZ_.has_indirect_call, 0
	.section	.AMDGPU.csdata,"",@progbits
; Kernel info:
; codeLenInByte = 0
; TotalNumSgprs: 4
; NumVgprs: 0
; ScratchSize: 0
; MemoryBound: 0
; FloatMode: 240
; IeeeMode: 1
; LDSByteSize: 0 bytes/workgroup (compile time only)
; SGPRBlocks: 0
; VGPRBlocks: 0
; NumSGPRsForWavesPerEU: 4
; NumVGPRsForWavesPerEU: 1
; Occupancy: 10
; WaveLimiterHint : 0
; COMPUTE_PGM_RSRC2:SCRATCH_EN: 0
; COMPUTE_PGM_RSRC2:USER_SGPR: 6
; COMPUTE_PGM_RSRC2:TRAP_HANDLER: 0
; COMPUTE_PGM_RSRC2:TGID_X_EN: 1
; COMPUTE_PGM_RSRC2:TGID_Y_EN: 0
; COMPUTE_PGM_RSRC2:TGID_Z_EN: 0
; COMPUTE_PGM_RSRC2:TIDIG_COMP_CNT: 0
	.section	.text._ZN7rocprim17ROCPRIM_400000_NS6detail17trampoline_kernelINS0_13select_configILj256ELj13ELNS0_17block_load_methodE3ELS4_3ELS4_3ELNS0_20block_scan_algorithmE0ELj4294967295EEENS1_25partition_config_selectorILNS1_17partition_subalgoE3EjNS0_10empty_typeEbEEZZNS1_14partition_implILS8_3ELb0ES6_jNS0_17counting_iteratorIjlEEPS9_SE_NS0_5tupleIJPjSE_EEENSF_IJSE_SE_EEES9_SG_JZNS1_25segmented_radix_sort_implINS0_14default_configELb1EPK12hip_bfloat16PSL_PKlPlN2at6native12_GLOBAL__N_18offset_tEEE10hipError_tPvRmT1_PNSt15iterator_traitsISZ_E10value_typeET2_T3_PNS10_IS15_E10value_typeET4_jRbjT5_S1B_jjP12ihipStream_tbEUljE_EEESW_SX_SY_S15_S19_S1B_T6_T7_T9_mT8_S1D_bDpT10_ENKUlT_T0_E_clISt17integral_constantIbLb1EES1P_IbLb0EEEEDaS1L_S1M_EUlS1L_E_NS1_11comp_targetILNS1_3genE9ELNS1_11target_archE1100ELNS1_3gpuE3ELNS1_3repE0EEENS1_30default_config_static_selectorELNS0_4arch9wavefront6targetE1EEEvSZ_,"axG",@progbits,_ZN7rocprim17ROCPRIM_400000_NS6detail17trampoline_kernelINS0_13select_configILj256ELj13ELNS0_17block_load_methodE3ELS4_3ELS4_3ELNS0_20block_scan_algorithmE0ELj4294967295EEENS1_25partition_config_selectorILNS1_17partition_subalgoE3EjNS0_10empty_typeEbEEZZNS1_14partition_implILS8_3ELb0ES6_jNS0_17counting_iteratorIjlEEPS9_SE_NS0_5tupleIJPjSE_EEENSF_IJSE_SE_EEES9_SG_JZNS1_25segmented_radix_sort_implINS0_14default_configELb1EPK12hip_bfloat16PSL_PKlPlN2at6native12_GLOBAL__N_18offset_tEEE10hipError_tPvRmT1_PNSt15iterator_traitsISZ_E10value_typeET2_T3_PNS10_IS15_E10value_typeET4_jRbjT5_S1B_jjP12ihipStream_tbEUljE_EEESW_SX_SY_S15_S19_S1B_T6_T7_T9_mT8_S1D_bDpT10_ENKUlT_T0_E_clISt17integral_constantIbLb1EES1P_IbLb0EEEEDaS1L_S1M_EUlS1L_E_NS1_11comp_targetILNS1_3genE9ELNS1_11target_archE1100ELNS1_3gpuE3ELNS1_3repE0EEENS1_30default_config_static_selectorELNS0_4arch9wavefront6targetE1EEEvSZ_,comdat
	.globl	_ZN7rocprim17ROCPRIM_400000_NS6detail17trampoline_kernelINS0_13select_configILj256ELj13ELNS0_17block_load_methodE3ELS4_3ELS4_3ELNS0_20block_scan_algorithmE0ELj4294967295EEENS1_25partition_config_selectorILNS1_17partition_subalgoE3EjNS0_10empty_typeEbEEZZNS1_14partition_implILS8_3ELb0ES6_jNS0_17counting_iteratorIjlEEPS9_SE_NS0_5tupleIJPjSE_EEENSF_IJSE_SE_EEES9_SG_JZNS1_25segmented_radix_sort_implINS0_14default_configELb1EPK12hip_bfloat16PSL_PKlPlN2at6native12_GLOBAL__N_18offset_tEEE10hipError_tPvRmT1_PNSt15iterator_traitsISZ_E10value_typeET2_T3_PNS10_IS15_E10value_typeET4_jRbjT5_S1B_jjP12ihipStream_tbEUljE_EEESW_SX_SY_S15_S19_S1B_T6_T7_T9_mT8_S1D_bDpT10_ENKUlT_T0_E_clISt17integral_constantIbLb1EES1P_IbLb0EEEEDaS1L_S1M_EUlS1L_E_NS1_11comp_targetILNS1_3genE9ELNS1_11target_archE1100ELNS1_3gpuE3ELNS1_3repE0EEENS1_30default_config_static_selectorELNS0_4arch9wavefront6targetE1EEEvSZ_ ; -- Begin function _ZN7rocprim17ROCPRIM_400000_NS6detail17trampoline_kernelINS0_13select_configILj256ELj13ELNS0_17block_load_methodE3ELS4_3ELS4_3ELNS0_20block_scan_algorithmE0ELj4294967295EEENS1_25partition_config_selectorILNS1_17partition_subalgoE3EjNS0_10empty_typeEbEEZZNS1_14partition_implILS8_3ELb0ES6_jNS0_17counting_iteratorIjlEEPS9_SE_NS0_5tupleIJPjSE_EEENSF_IJSE_SE_EEES9_SG_JZNS1_25segmented_radix_sort_implINS0_14default_configELb1EPK12hip_bfloat16PSL_PKlPlN2at6native12_GLOBAL__N_18offset_tEEE10hipError_tPvRmT1_PNSt15iterator_traitsISZ_E10value_typeET2_T3_PNS10_IS15_E10value_typeET4_jRbjT5_S1B_jjP12ihipStream_tbEUljE_EEESW_SX_SY_S15_S19_S1B_T6_T7_T9_mT8_S1D_bDpT10_ENKUlT_T0_E_clISt17integral_constantIbLb1EES1P_IbLb0EEEEDaS1L_S1M_EUlS1L_E_NS1_11comp_targetILNS1_3genE9ELNS1_11target_archE1100ELNS1_3gpuE3ELNS1_3repE0EEENS1_30default_config_static_selectorELNS0_4arch9wavefront6targetE1EEEvSZ_
	.p2align	8
	.type	_ZN7rocprim17ROCPRIM_400000_NS6detail17trampoline_kernelINS0_13select_configILj256ELj13ELNS0_17block_load_methodE3ELS4_3ELS4_3ELNS0_20block_scan_algorithmE0ELj4294967295EEENS1_25partition_config_selectorILNS1_17partition_subalgoE3EjNS0_10empty_typeEbEEZZNS1_14partition_implILS8_3ELb0ES6_jNS0_17counting_iteratorIjlEEPS9_SE_NS0_5tupleIJPjSE_EEENSF_IJSE_SE_EEES9_SG_JZNS1_25segmented_radix_sort_implINS0_14default_configELb1EPK12hip_bfloat16PSL_PKlPlN2at6native12_GLOBAL__N_18offset_tEEE10hipError_tPvRmT1_PNSt15iterator_traitsISZ_E10value_typeET2_T3_PNS10_IS15_E10value_typeET4_jRbjT5_S1B_jjP12ihipStream_tbEUljE_EEESW_SX_SY_S15_S19_S1B_T6_T7_T9_mT8_S1D_bDpT10_ENKUlT_T0_E_clISt17integral_constantIbLb1EES1P_IbLb0EEEEDaS1L_S1M_EUlS1L_E_NS1_11comp_targetILNS1_3genE9ELNS1_11target_archE1100ELNS1_3gpuE3ELNS1_3repE0EEENS1_30default_config_static_selectorELNS0_4arch9wavefront6targetE1EEEvSZ_,@function
_ZN7rocprim17ROCPRIM_400000_NS6detail17trampoline_kernelINS0_13select_configILj256ELj13ELNS0_17block_load_methodE3ELS4_3ELS4_3ELNS0_20block_scan_algorithmE0ELj4294967295EEENS1_25partition_config_selectorILNS1_17partition_subalgoE3EjNS0_10empty_typeEbEEZZNS1_14partition_implILS8_3ELb0ES6_jNS0_17counting_iteratorIjlEEPS9_SE_NS0_5tupleIJPjSE_EEENSF_IJSE_SE_EEES9_SG_JZNS1_25segmented_radix_sort_implINS0_14default_configELb1EPK12hip_bfloat16PSL_PKlPlN2at6native12_GLOBAL__N_18offset_tEEE10hipError_tPvRmT1_PNSt15iterator_traitsISZ_E10value_typeET2_T3_PNS10_IS15_E10value_typeET4_jRbjT5_S1B_jjP12ihipStream_tbEUljE_EEESW_SX_SY_S15_S19_S1B_T6_T7_T9_mT8_S1D_bDpT10_ENKUlT_T0_E_clISt17integral_constantIbLb1EES1P_IbLb0EEEEDaS1L_S1M_EUlS1L_E_NS1_11comp_targetILNS1_3genE9ELNS1_11target_archE1100ELNS1_3gpuE3ELNS1_3repE0EEENS1_30default_config_static_selectorELNS0_4arch9wavefront6targetE1EEEvSZ_: ; @_ZN7rocprim17ROCPRIM_400000_NS6detail17trampoline_kernelINS0_13select_configILj256ELj13ELNS0_17block_load_methodE3ELS4_3ELS4_3ELNS0_20block_scan_algorithmE0ELj4294967295EEENS1_25partition_config_selectorILNS1_17partition_subalgoE3EjNS0_10empty_typeEbEEZZNS1_14partition_implILS8_3ELb0ES6_jNS0_17counting_iteratorIjlEEPS9_SE_NS0_5tupleIJPjSE_EEENSF_IJSE_SE_EEES9_SG_JZNS1_25segmented_radix_sort_implINS0_14default_configELb1EPK12hip_bfloat16PSL_PKlPlN2at6native12_GLOBAL__N_18offset_tEEE10hipError_tPvRmT1_PNSt15iterator_traitsISZ_E10value_typeET2_T3_PNS10_IS15_E10value_typeET4_jRbjT5_S1B_jjP12ihipStream_tbEUljE_EEESW_SX_SY_S15_S19_S1B_T6_T7_T9_mT8_S1D_bDpT10_ENKUlT_T0_E_clISt17integral_constantIbLb1EES1P_IbLb0EEEEDaS1L_S1M_EUlS1L_E_NS1_11comp_targetILNS1_3genE9ELNS1_11target_archE1100ELNS1_3gpuE3ELNS1_3repE0EEENS1_30default_config_static_selectorELNS0_4arch9wavefront6targetE1EEEvSZ_
; %bb.0:
	.section	.rodata,"a",@progbits
	.p2align	6, 0x0
	.amdhsa_kernel _ZN7rocprim17ROCPRIM_400000_NS6detail17trampoline_kernelINS0_13select_configILj256ELj13ELNS0_17block_load_methodE3ELS4_3ELS4_3ELNS0_20block_scan_algorithmE0ELj4294967295EEENS1_25partition_config_selectorILNS1_17partition_subalgoE3EjNS0_10empty_typeEbEEZZNS1_14partition_implILS8_3ELb0ES6_jNS0_17counting_iteratorIjlEEPS9_SE_NS0_5tupleIJPjSE_EEENSF_IJSE_SE_EEES9_SG_JZNS1_25segmented_radix_sort_implINS0_14default_configELb1EPK12hip_bfloat16PSL_PKlPlN2at6native12_GLOBAL__N_18offset_tEEE10hipError_tPvRmT1_PNSt15iterator_traitsISZ_E10value_typeET2_T3_PNS10_IS15_E10value_typeET4_jRbjT5_S1B_jjP12ihipStream_tbEUljE_EEESW_SX_SY_S15_S19_S1B_T6_T7_T9_mT8_S1D_bDpT10_ENKUlT_T0_E_clISt17integral_constantIbLb1EES1P_IbLb0EEEEDaS1L_S1M_EUlS1L_E_NS1_11comp_targetILNS1_3genE9ELNS1_11target_archE1100ELNS1_3gpuE3ELNS1_3repE0EEENS1_30default_config_static_selectorELNS0_4arch9wavefront6targetE1EEEvSZ_
		.amdhsa_group_segment_fixed_size 0
		.amdhsa_private_segment_fixed_size 0
		.amdhsa_kernarg_size 144
		.amdhsa_user_sgpr_count 6
		.amdhsa_user_sgpr_private_segment_buffer 1
		.amdhsa_user_sgpr_dispatch_ptr 0
		.amdhsa_user_sgpr_queue_ptr 0
		.amdhsa_user_sgpr_kernarg_segment_ptr 1
		.amdhsa_user_sgpr_dispatch_id 0
		.amdhsa_user_sgpr_flat_scratch_init 0
		.amdhsa_user_sgpr_private_segment_size 0
		.amdhsa_uses_dynamic_stack 0
		.amdhsa_system_sgpr_private_segment_wavefront_offset 0
		.amdhsa_system_sgpr_workgroup_id_x 1
		.amdhsa_system_sgpr_workgroup_id_y 0
		.amdhsa_system_sgpr_workgroup_id_z 0
		.amdhsa_system_sgpr_workgroup_info 0
		.amdhsa_system_vgpr_workitem_id 0
		.amdhsa_next_free_vgpr 1
		.amdhsa_next_free_sgpr 0
		.amdhsa_reserve_vcc 0
		.amdhsa_reserve_flat_scratch 0
		.amdhsa_float_round_mode_32 0
		.amdhsa_float_round_mode_16_64 0
		.amdhsa_float_denorm_mode_32 3
		.amdhsa_float_denorm_mode_16_64 3
		.amdhsa_dx10_clamp 1
		.amdhsa_ieee_mode 1
		.amdhsa_fp16_overflow 0
		.amdhsa_exception_fp_ieee_invalid_op 0
		.amdhsa_exception_fp_denorm_src 0
		.amdhsa_exception_fp_ieee_div_zero 0
		.amdhsa_exception_fp_ieee_overflow 0
		.amdhsa_exception_fp_ieee_underflow 0
		.amdhsa_exception_fp_ieee_inexact 0
		.amdhsa_exception_int_div_zero 0
	.end_amdhsa_kernel
	.section	.text._ZN7rocprim17ROCPRIM_400000_NS6detail17trampoline_kernelINS0_13select_configILj256ELj13ELNS0_17block_load_methodE3ELS4_3ELS4_3ELNS0_20block_scan_algorithmE0ELj4294967295EEENS1_25partition_config_selectorILNS1_17partition_subalgoE3EjNS0_10empty_typeEbEEZZNS1_14partition_implILS8_3ELb0ES6_jNS0_17counting_iteratorIjlEEPS9_SE_NS0_5tupleIJPjSE_EEENSF_IJSE_SE_EEES9_SG_JZNS1_25segmented_radix_sort_implINS0_14default_configELb1EPK12hip_bfloat16PSL_PKlPlN2at6native12_GLOBAL__N_18offset_tEEE10hipError_tPvRmT1_PNSt15iterator_traitsISZ_E10value_typeET2_T3_PNS10_IS15_E10value_typeET4_jRbjT5_S1B_jjP12ihipStream_tbEUljE_EEESW_SX_SY_S15_S19_S1B_T6_T7_T9_mT8_S1D_bDpT10_ENKUlT_T0_E_clISt17integral_constantIbLb1EES1P_IbLb0EEEEDaS1L_S1M_EUlS1L_E_NS1_11comp_targetILNS1_3genE9ELNS1_11target_archE1100ELNS1_3gpuE3ELNS1_3repE0EEENS1_30default_config_static_selectorELNS0_4arch9wavefront6targetE1EEEvSZ_,"axG",@progbits,_ZN7rocprim17ROCPRIM_400000_NS6detail17trampoline_kernelINS0_13select_configILj256ELj13ELNS0_17block_load_methodE3ELS4_3ELS4_3ELNS0_20block_scan_algorithmE0ELj4294967295EEENS1_25partition_config_selectorILNS1_17partition_subalgoE3EjNS0_10empty_typeEbEEZZNS1_14partition_implILS8_3ELb0ES6_jNS0_17counting_iteratorIjlEEPS9_SE_NS0_5tupleIJPjSE_EEENSF_IJSE_SE_EEES9_SG_JZNS1_25segmented_radix_sort_implINS0_14default_configELb1EPK12hip_bfloat16PSL_PKlPlN2at6native12_GLOBAL__N_18offset_tEEE10hipError_tPvRmT1_PNSt15iterator_traitsISZ_E10value_typeET2_T3_PNS10_IS15_E10value_typeET4_jRbjT5_S1B_jjP12ihipStream_tbEUljE_EEESW_SX_SY_S15_S19_S1B_T6_T7_T9_mT8_S1D_bDpT10_ENKUlT_T0_E_clISt17integral_constantIbLb1EES1P_IbLb0EEEEDaS1L_S1M_EUlS1L_E_NS1_11comp_targetILNS1_3genE9ELNS1_11target_archE1100ELNS1_3gpuE3ELNS1_3repE0EEENS1_30default_config_static_selectorELNS0_4arch9wavefront6targetE1EEEvSZ_,comdat
.Lfunc_end1936:
	.size	_ZN7rocprim17ROCPRIM_400000_NS6detail17trampoline_kernelINS0_13select_configILj256ELj13ELNS0_17block_load_methodE3ELS4_3ELS4_3ELNS0_20block_scan_algorithmE0ELj4294967295EEENS1_25partition_config_selectorILNS1_17partition_subalgoE3EjNS0_10empty_typeEbEEZZNS1_14partition_implILS8_3ELb0ES6_jNS0_17counting_iteratorIjlEEPS9_SE_NS0_5tupleIJPjSE_EEENSF_IJSE_SE_EEES9_SG_JZNS1_25segmented_radix_sort_implINS0_14default_configELb1EPK12hip_bfloat16PSL_PKlPlN2at6native12_GLOBAL__N_18offset_tEEE10hipError_tPvRmT1_PNSt15iterator_traitsISZ_E10value_typeET2_T3_PNS10_IS15_E10value_typeET4_jRbjT5_S1B_jjP12ihipStream_tbEUljE_EEESW_SX_SY_S15_S19_S1B_T6_T7_T9_mT8_S1D_bDpT10_ENKUlT_T0_E_clISt17integral_constantIbLb1EES1P_IbLb0EEEEDaS1L_S1M_EUlS1L_E_NS1_11comp_targetILNS1_3genE9ELNS1_11target_archE1100ELNS1_3gpuE3ELNS1_3repE0EEENS1_30default_config_static_selectorELNS0_4arch9wavefront6targetE1EEEvSZ_, .Lfunc_end1936-_ZN7rocprim17ROCPRIM_400000_NS6detail17trampoline_kernelINS0_13select_configILj256ELj13ELNS0_17block_load_methodE3ELS4_3ELS4_3ELNS0_20block_scan_algorithmE0ELj4294967295EEENS1_25partition_config_selectorILNS1_17partition_subalgoE3EjNS0_10empty_typeEbEEZZNS1_14partition_implILS8_3ELb0ES6_jNS0_17counting_iteratorIjlEEPS9_SE_NS0_5tupleIJPjSE_EEENSF_IJSE_SE_EEES9_SG_JZNS1_25segmented_radix_sort_implINS0_14default_configELb1EPK12hip_bfloat16PSL_PKlPlN2at6native12_GLOBAL__N_18offset_tEEE10hipError_tPvRmT1_PNSt15iterator_traitsISZ_E10value_typeET2_T3_PNS10_IS15_E10value_typeET4_jRbjT5_S1B_jjP12ihipStream_tbEUljE_EEESW_SX_SY_S15_S19_S1B_T6_T7_T9_mT8_S1D_bDpT10_ENKUlT_T0_E_clISt17integral_constantIbLb1EES1P_IbLb0EEEEDaS1L_S1M_EUlS1L_E_NS1_11comp_targetILNS1_3genE9ELNS1_11target_archE1100ELNS1_3gpuE3ELNS1_3repE0EEENS1_30default_config_static_selectorELNS0_4arch9wavefront6targetE1EEEvSZ_
                                        ; -- End function
	.set _ZN7rocprim17ROCPRIM_400000_NS6detail17trampoline_kernelINS0_13select_configILj256ELj13ELNS0_17block_load_methodE3ELS4_3ELS4_3ELNS0_20block_scan_algorithmE0ELj4294967295EEENS1_25partition_config_selectorILNS1_17partition_subalgoE3EjNS0_10empty_typeEbEEZZNS1_14partition_implILS8_3ELb0ES6_jNS0_17counting_iteratorIjlEEPS9_SE_NS0_5tupleIJPjSE_EEENSF_IJSE_SE_EEES9_SG_JZNS1_25segmented_radix_sort_implINS0_14default_configELb1EPK12hip_bfloat16PSL_PKlPlN2at6native12_GLOBAL__N_18offset_tEEE10hipError_tPvRmT1_PNSt15iterator_traitsISZ_E10value_typeET2_T3_PNS10_IS15_E10value_typeET4_jRbjT5_S1B_jjP12ihipStream_tbEUljE_EEESW_SX_SY_S15_S19_S1B_T6_T7_T9_mT8_S1D_bDpT10_ENKUlT_T0_E_clISt17integral_constantIbLb1EES1P_IbLb0EEEEDaS1L_S1M_EUlS1L_E_NS1_11comp_targetILNS1_3genE9ELNS1_11target_archE1100ELNS1_3gpuE3ELNS1_3repE0EEENS1_30default_config_static_selectorELNS0_4arch9wavefront6targetE1EEEvSZ_.num_vgpr, 0
	.set _ZN7rocprim17ROCPRIM_400000_NS6detail17trampoline_kernelINS0_13select_configILj256ELj13ELNS0_17block_load_methodE3ELS4_3ELS4_3ELNS0_20block_scan_algorithmE0ELj4294967295EEENS1_25partition_config_selectorILNS1_17partition_subalgoE3EjNS0_10empty_typeEbEEZZNS1_14partition_implILS8_3ELb0ES6_jNS0_17counting_iteratorIjlEEPS9_SE_NS0_5tupleIJPjSE_EEENSF_IJSE_SE_EEES9_SG_JZNS1_25segmented_radix_sort_implINS0_14default_configELb1EPK12hip_bfloat16PSL_PKlPlN2at6native12_GLOBAL__N_18offset_tEEE10hipError_tPvRmT1_PNSt15iterator_traitsISZ_E10value_typeET2_T3_PNS10_IS15_E10value_typeET4_jRbjT5_S1B_jjP12ihipStream_tbEUljE_EEESW_SX_SY_S15_S19_S1B_T6_T7_T9_mT8_S1D_bDpT10_ENKUlT_T0_E_clISt17integral_constantIbLb1EES1P_IbLb0EEEEDaS1L_S1M_EUlS1L_E_NS1_11comp_targetILNS1_3genE9ELNS1_11target_archE1100ELNS1_3gpuE3ELNS1_3repE0EEENS1_30default_config_static_selectorELNS0_4arch9wavefront6targetE1EEEvSZ_.num_agpr, 0
	.set _ZN7rocprim17ROCPRIM_400000_NS6detail17trampoline_kernelINS0_13select_configILj256ELj13ELNS0_17block_load_methodE3ELS4_3ELS4_3ELNS0_20block_scan_algorithmE0ELj4294967295EEENS1_25partition_config_selectorILNS1_17partition_subalgoE3EjNS0_10empty_typeEbEEZZNS1_14partition_implILS8_3ELb0ES6_jNS0_17counting_iteratorIjlEEPS9_SE_NS0_5tupleIJPjSE_EEENSF_IJSE_SE_EEES9_SG_JZNS1_25segmented_radix_sort_implINS0_14default_configELb1EPK12hip_bfloat16PSL_PKlPlN2at6native12_GLOBAL__N_18offset_tEEE10hipError_tPvRmT1_PNSt15iterator_traitsISZ_E10value_typeET2_T3_PNS10_IS15_E10value_typeET4_jRbjT5_S1B_jjP12ihipStream_tbEUljE_EEESW_SX_SY_S15_S19_S1B_T6_T7_T9_mT8_S1D_bDpT10_ENKUlT_T0_E_clISt17integral_constantIbLb1EES1P_IbLb0EEEEDaS1L_S1M_EUlS1L_E_NS1_11comp_targetILNS1_3genE9ELNS1_11target_archE1100ELNS1_3gpuE3ELNS1_3repE0EEENS1_30default_config_static_selectorELNS0_4arch9wavefront6targetE1EEEvSZ_.numbered_sgpr, 0
	.set _ZN7rocprim17ROCPRIM_400000_NS6detail17trampoline_kernelINS0_13select_configILj256ELj13ELNS0_17block_load_methodE3ELS4_3ELS4_3ELNS0_20block_scan_algorithmE0ELj4294967295EEENS1_25partition_config_selectorILNS1_17partition_subalgoE3EjNS0_10empty_typeEbEEZZNS1_14partition_implILS8_3ELb0ES6_jNS0_17counting_iteratorIjlEEPS9_SE_NS0_5tupleIJPjSE_EEENSF_IJSE_SE_EEES9_SG_JZNS1_25segmented_radix_sort_implINS0_14default_configELb1EPK12hip_bfloat16PSL_PKlPlN2at6native12_GLOBAL__N_18offset_tEEE10hipError_tPvRmT1_PNSt15iterator_traitsISZ_E10value_typeET2_T3_PNS10_IS15_E10value_typeET4_jRbjT5_S1B_jjP12ihipStream_tbEUljE_EEESW_SX_SY_S15_S19_S1B_T6_T7_T9_mT8_S1D_bDpT10_ENKUlT_T0_E_clISt17integral_constantIbLb1EES1P_IbLb0EEEEDaS1L_S1M_EUlS1L_E_NS1_11comp_targetILNS1_3genE9ELNS1_11target_archE1100ELNS1_3gpuE3ELNS1_3repE0EEENS1_30default_config_static_selectorELNS0_4arch9wavefront6targetE1EEEvSZ_.num_named_barrier, 0
	.set _ZN7rocprim17ROCPRIM_400000_NS6detail17trampoline_kernelINS0_13select_configILj256ELj13ELNS0_17block_load_methodE3ELS4_3ELS4_3ELNS0_20block_scan_algorithmE0ELj4294967295EEENS1_25partition_config_selectorILNS1_17partition_subalgoE3EjNS0_10empty_typeEbEEZZNS1_14partition_implILS8_3ELb0ES6_jNS0_17counting_iteratorIjlEEPS9_SE_NS0_5tupleIJPjSE_EEENSF_IJSE_SE_EEES9_SG_JZNS1_25segmented_radix_sort_implINS0_14default_configELb1EPK12hip_bfloat16PSL_PKlPlN2at6native12_GLOBAL__N_18offset_tEEE10hipError_tPvRmT1_PNSt15iterator_traitsISZ_E10value_typeET2_T3_PNS10_IS15_E10value_typeET4_jRbjT5_S1B_jjP12ihipStream_tbEUljE_EEESW_SX_SY_S15_S19_S1B_T6_T7_T9_mT8_S1D_bDpT10_ENKUlT_T0_E_clISt17integral_constantIbLb1EES1P_IbLb0EEEEDaS1L_S1M_EUlS1L_E_NS1_11comp_targetILNS1_3genE9ELNS1_11target_archE1100ELNS1_3gpuE3ELNS1_3repE0EEENS1_30default_config_static_selectorELNS0_4arch9wavefront6targetE1EEEvSZ_.private_seg_size, 0
	.set _ZN7rocprim17ROCPRIM_400000_NS6detail17trampoline_kernelINS0_13select_configILj256ELj13ELNS0_17block_load_methodE3ELS4_3ELS4_3ELNS0_20block_scan_algorithmE0ELj4294967295EEENS1_25partition_config_selectorILNS1_17partition_subalgoE3EjNS0_10empty_typeEbEEZZNS1_14partition_implILS8_3ELb0ES6_jNS0_17counting_iteratorIjlEEPS9_SE_NS0_5tupleIJPjSE_EEENSF_IJSE_SE_EEES9_SG_JZNS1_25segmented_radix_sort_implINS0_14default_configELb1EPK12hip_bfloat16PSL_PKlPlN2at6native12_GLOBAL__N_18offset_tEEE10hipError_tPvRmT1_PNSt15iterator_traitsISZ_E10value_typeET2_T3_PNS10_IS15_E10value_typeET4_jRbjT5_S1B_jjP12ihipStream_tbEUljE_EEESW_SX_SY_S15_S19_S1B_T6_T7_T9_mT8_S1D_bDpT10_ENKUlT_T0_E_clISt17integral_constantIbLb1EES1P_IbLb0EEEEDaS1L_S1M_EUlS1L_E_NS1_11comp_targetILNS1_3genE9ELNS1_11target_archE1100ELNS1_3gpuE3ELNS1_3repE0EEENS1_30default_config_static_selectorELNS0_4arch9wavefront6targetE1EEEvSZ_.uses_vcc, 0
	.set _ZN7rocprim17ROCPRIM_400000_NS6detail17trampoline_kernelINS0_13select_configILj256ELj13ELNS0_17block_load_methodE3ELS4_3ELS4_3ELNS0_20block_scan_algorithmE0ELj4294967295EEENS1_25partition_config_selectorILNS1_17partition_subalgoE3EjNS0_10empty_typeEbEEZZNS1_14partition_implILS8_3ELb0ES6_jNS0_17counting_iteratorIjlEEPS9_SE_NS0_5tupleIJPjSE_EEENSF_IJSE_SE_EEES9_SG_JZNS1_25segmented_radix_sort_implINS0_14default_configELb1EPK12hip_bfloat16PSL_PKlPlN2at6native12_GLOBAL__N_18offset_tEEE10hipError_tPvRmT1_PNSt15iterator_traitsISZ_E10value_typeET2_T3_PNS10_IS15_E10value_typeET4_jRbjT5_S1B_jjP12ihipStream_tbEUljE_EEESW_SX_SY_S15_S19_S1B_T6_T7_T9_mT8_S1D_bDpT10_ENKUlT_T0_E_clISt17integral_constantIbLb1EES1P_IbLb0EEEEDaS1L_S1M_EUlS1L_E_NS1_11comp_targetILNS1_3genE9ELNS1_11target_archE1100ELNS1_3gpuE3ELNS1_3repE0EEENS1_30default_config_static_selectorELNS0_4arch9wavefront6targetE1EEEvSZ_.uses_flat_scratch, 0
	.set _ZN7rocprim17ROCPRIM_400000_NS6detail17trampoline_kernelINS0_13select_configILj256ELj13ELNS0_17block_load_methodE3ELS4_3ELS4_3ELNS0_20block_scan_algorithmE0ELj4294967295EEENS1_25partition_config_selectorILNS1_17partition_subalgoE3EjNS0_10empty_typeEbEEZZNS1_14partition_implILS8_3ELb0ES6_jNS0_17counting_iteratorIjlEEPS9_SE_NS0_5tupleIJPjSE_EEENSF_IJSE_SE_EEES9_SG_JZNS1_25segmented_radix_sort_implINS0_14default_configELb1EPK12hip_bfloat16PSL_PKlPlN2at6native12_GLOBAL__N_18offset_tEEE10hipError_tPvRmT1_PNSt15iterator_traitsISZ_E10value_typeET2_T3_PNS10_IS15_E10value_typeET4_jRbjT5_S1B_jjP12ihipStream_tbEUljE_EEESW_SX_SY_S15_S19_S1B_T6_T7_T9_mT8_S1D_bDpT10_ENKUlT_T0_E_clISt17integral_constantIbLb1EES1P_IbLb0EEEEDaS1L_S1M_EUlS1L_E_NS1_11comp_targetILNS1_3genE9ELNS1_11target_archE1100ELNS1_3gpuE3ELNS1_3repE0EEENS1_30default_config_static_selectorELNS0_4arch9wavefront6targetE1EEEvSZ_.has_dyn_sized_stack, 0
	.set _ZN7rocprim17ROCPRIM_400000_NS6detail17trampoline_kernelINS0_13select_configILj256ELj13ELNS0_17block_load_methodE3ELS4_3ELS4_3ELNS0_20block_scan_algorithmE0ELj4294967295EEENS1_25partition_config_selectorILNS1_17partition_subalgoE3EjNS0_10empty_typeEbEEZZNS1_14partition_implILS8_3ELb0ES6_jNS0_17counting_iteratorIjlEEPS9_SE_NS0_5tupleIJPjSE_EEENSF_IJSE_SE_EEES9_SG_JZNS1_25segmented_radix_sort_implINS0_14default_configELb1EPK12hip_bfloat16PSL_PKlPlN2at6native12_GLOBAL__N_18offset_tEEE10hipError_tPvRmT1_PNSt15iterator_traitsISZ_E10value_typeET2_T3_PNS10_IS15_E10value_typeET4_jRbjT5_S1B_jjP12ihipStream_tbEUljE_EEESW_SX_SY_S15_S19_S1B_T6_T7_T9_mT8_S1D_bDpT10_ENKUlT_T0_E_clISt17integral_constantIbLb1EES1P_IbLb0EEEEDaS1L_S1M_EUlS1L_E_NS1_11comp_targetILNS1_3genE9ELNS1_11target_archE1100ELNS1_3gpuE3ELNS1_3repE0EEENS1_30default_config_static_selectorELNS0_4arch9wavefront6targetE1EEEvSZ_.has_recursion, 0
	.set _ZN7rocprim17ROCPRIM_400000_NS6detail17trampoline_kernelINS0_13select_configILj256ELj13ELNS0_17block_load_methodE3ELS4_3ELS4_3ELNS0_20block_scan_algorithmE0ELj4294967295EEENS1_25partition_config_selectorILNS1_17partition_subalgoE3EjNS0_10empty_typeEbEEZZNS1_14partition_implILS8_3ELb0ES6_jNS0_17counting_iteratorIjlEEPS9_SE_NS0_5tupleIJPjSE_EEENSF_IJSE_SE_EEES9_SG_JZNS1_25segmented_radix_sort_implINS0_14default_configELb1EPK12hip_bfloat16PSL_PKlPlN2at6native12_GLOBAL__N_18offset_tEEE10hipError_tPvRmT1_PNSt15iterator_traitsISZ_E10value_typeET2_T3_PNS10_IS15_E10value_typeET4_jRbjT5_S1B_jjP12ihipStream_tbEUljE_EEESW_SX_SY_S15_S19_S1B_T6_T7_T9_mT8_S1D_bDpT10_ENKUlT_T0_E_clISt17integral_constantIbLb1EES1P_IbLb0EEEEDaS1L_S1M_EUlS1L_E_NS1_11comp_targetILNS1_3genE9ELNS1_11target_archE1100ELNS1_3gpuE3ELNS1_3repE0EEENS1_30default_config_static_selectorELNS0_4arch9wavefront6targetE1EEEvSZ_.has_indirect_call, 0
	.section	.AMDGPU.csdata,"",@progbits
; Kernel info:
; codeLenInByte = 0
; TotalNumSgprs: 4
; NumVgprs: 0
; ScratchSize: 0
; MemoryBound: 0
; FloatMode: 240
; IeeeMode: 1
; LDSByteSize: 0 bytes/workgroup (compile time only)
; SGPRBlocks: 0
; VGPRBlocks: 0
; NumSGPRsForWavesPerEU: 4
; NumVGPRsForWavesPerEU: 1
; Occupancy: 10
; WaveLimiterHint : 0
; COMPUTE_PGM_RSRC2:SCRATCH_EN: 0
; COMPUTE_PGM_RSRC2:USER_SGPR: 6
; COMPUTE_PGM_RSRC2:TRAP_HANDLER: 0
; COMPUTE_PGM_RSRC2:TGID_X_EN: 1
; COMPUTE_PGM_RSRC2:TGID_Y_EN: 0
; COMPUTE_PGM_RSRC2:TGID_Z_EN: 0
; COMPUTE_PGM_RSRC2:TIDIG_COMP_CNT: 0
	.section	.text._ZN7rocprim17ROCPRIM_400000_NS6detail17trampoline_kernelINS0_13select_configILj256ELj13ELNS0_17block_load_methodE3ELS4_3ELS4_3ELNS0_20block_scan_algorithmE0ELj4294967295EEENS1_25partition_config_selectorILNS1_17partition_subalgoE3EjNS0_10empty_typeEbEEZZNS1_14partition_implILS8_3ELb0ES6_jNS0_17counting_iteratorIjlEEPS9_SE_NS0_5tupleIJPjSE_EEENSF_IJSE_SE_EEES9_SG_JZNS1_25segmented_radix_sort_implINS0_14default_configELb1EPK12hip_bfloat16PSL_PKlPlN2at6native12_GLOBAL__N_18offset_tEEE10hipError_tPvRmT1_PNSt15iterator_traitsISZ_E10value_typeET2_T3_PNS10_IS15_E10value_typeET4_jRbjT5_S1B_jjP12ihipStream_tbEUljE_EEESW_SX_SY_S15_S19_S1B_T6_T7_T9_mT8_S1D_bDpT10_ENKUlT_T0_E_clISt17integral_constantIbLb1EES1P_IbLb0EEEEDaS1L_S1M_EUlS1L_E_NS1_11comp_targetILNS1_3genE8ELNS1_11target_archE1030ELNS1_3gpuE2ELNS1_3repE0EEENS1_30default_config_static_selectorELNS0_4arch9wavefront6targetE1EEEvSZ_,"axG",@progbits,_ZN7rocprim17ROCPRIM_400000_NS6detail17trampoline_kernelINS0_13select_configILj256ELj13ELNS0_17block_load_methodE3ELS4_3ELS4_3ELNS0_20block_scan_algorithmE0ELj4294967295EEENS1_25partition_config_selectorILNS1_17partition_subalgoE3EjNS0_10empty_typeEbEEZZNS1_14partition_implILS8_3ELb0ES6_jNS0_17counting_iteratorIjlEEPS9_SE_NS0_5tupleIJPjSE_EEENSF_IJSE_SE_EEES9_SG_JZNS1_25segmented_radix_sort_implINS0_14default_configELb1EPK12hip_bfloat16PSL_PKlPlN2at6native12_GLOBAL__N_18offset_tEEE10hipError_tPvRmT1_PNSt15iterator_traitsISZ_E10value_typeET2_T3_PNS10_IS15_E10value_typeET4_jRbjT5_S1B_jjP12ihipStream_tbEUljE_EEESW_SX_SY_S15_S19_S1B_T6_T7_T9_mT8_S1D_bDpT10_ENKUlT_T0_E_clISt17integral_constantIbLb1EES1P_IbLb0EEEEDaS1L_S1M_EUlS1L_E_NS1_11comp_targetILNS1_3genE8ELNS1_11target_archE1030ELNS1_3gpuE2ELNS1_3repE0EEENS1_30default_config_static_selectorELNS0_4arch9wavefront6targetE1EEEvSZ_,comdat
	.globl	_ZN7rocprim17ROCPRIM_400000_NS6detail17trampoline_kernelINS0_13select_configILj256ELj13ELNS0_17block_load_methodE3ELS4_3ELS4_3ELNS0_20block_scan_algorithmE0ELj4294967295EEENS1_25partition_config_selectorILNS1_17partition_subalgoE3EjNS0_10empty_typeEbEEZZNS1_14partition_implILS8_3ELb0ES6_jNS0_17counting_iteratorIjlEEPS9_SE_NS0_5tupleIJPjSE_EEENSF_IJSE_SE_EEES9_SG_JZNS1_25segmented_radix_sort_implINS0_14default_configELb1EPK12hip_bfloat16PSL_PKlPlN2at6native12_GLOBAL__N_18offset_tEEE10hipError_tPvRmT1_PNSt15iterator_traitsISZ_E10value_typeET2_T3_PNS10_IS15_E10value_typeET4_jRbjT5_S1B_jjP12ihipStream_tbEUljE_EEESW_SX_SY_S15_S19_S1B_T6_T7_T9_mT8_S1D_bDpT10_ENKUlT_T0_E_clISt17integral_constantIbLb1EES1P_IbLb0EEEEDaS1L_S1M_EUlS1L_E_NS1_11comp_targetILNS1_3genE8ELNS1_11target_archE1030ELNS1_3gpuE2ELNS1_3repE0EEENS1_30default_config_static_selectorELNS0_4arch9wavefront6targetE1EEEvSZ_ ; -- Begin function _ZN7rocprim17ROCPRIM_400000_NS6detail17trampoline_kernelINS0_13select_configILj256ELj13ELNS0_17block_load_methodE3ELS4_3ELS4_3ELNS0_20block_scan_algorithmE0ELj4294967295EEENS1_25partition_config_selectorILNS1_17partition_subalgoE3EjNS0_10empty_typeEbEEZZNS1_14partition_implILS8_3ELb0ES6_jNS0_17counting_iteratorIjlEEPS9_SE_NS0_5tupleIJPjSE_EEENSF_IJSE_SE_EEES9_SG_JZNS1_25segmented_radix_sort_implINS0_14default_configELb1EPK12hip_bfloat16PSL_PKlPlN2at6native12_GLOBAL__N_18offset_tEEE10hipError_tPvRmT1_PNSt15iterator_traitsISZ_E10value_typeET2_T3_PNS10_IS15_E10value_typeET4_jRbjT5_S1B_jjP12ihipStream_tbEUljE_EEESW_SX_SY_S15_S19_S1B_T6_T7_T9_mT8_S1D_bDpT10_ENKUlT_T0_E_clISt17integral_constantIbLb1EES1P_IbLb0EEEEDaS1L_S1M_EUlS1L_E_NS1_11comp_targetILNS1_3genE8ELNS1_11target_archE1030ELNS1_3gpuE2ELNS1_3repE0EEENS1_30default_config_static_selectorELNS0_4arch9wavefront6targetE1EEEvSZ_
	.p2align	8
	.type	_ZN7rocprim17ROCPRIM_400000_NS6detail17trampoline_kernelINS0_13select_configILj256ELj13ELNS0_17block_load_methodE3ELS4_3ELS4_3ELNS0_20block_scan_algorithmE0ELj4294967295EEENS1_25partition_config_selectorILNS1_17partition_subalgoE3EjNS0_10empty_typeEbEEZZNS1_14partition_implILS8_3ELb0ES6_jNS0_17counting_iteratorIjlEEPS9_SE_NS0_5tupleIJPjSE_EEENSF_IJSE_SE_EEES9_SG_JZNS1_25segmented_radix_sort_implINS0_14default_configELb1EPK12hip_bfloat16PSL_PKlPlN2at6native12_GLOBAL__N_18offset_tEEE10hipError_tPvRmT1_PNSt15iterator_traitsISZ_E10value_typeET2_T3_PNS10_IS15_E10value_typeET4_jRbjT5_S1B_jjP12ihipStream_tbEUljE_EEESW_SX_SY_S15_S19_S1B_T6_T7_T9_mT8_S1D_bDpT10_ENKUlT_T0_E_clISt17integral_constantIbLb1EES1P_IbLb0EEEEDaS1L_S1M_EUlS1L_E_NS1_11comp_targetILNS1_3genE8ELNS1_11target_archE1030ELNS1_3gpuE2ELNS1_3repE0EEENS1_30default_config_static_selectorELNS0_4arch9wavefront6targetE1EEEvSZ_,@function
_ZN7rocprim17ROCPRIM_400000_NS6detail17trampoline_kernelINS0_13select_configILj256ELj13ELNS0_17block_load_methodE3ELS4_3ELS4_3ELNS0_20block_scan_algorithmE0ELj4294967295EEENS1_25partition_config_selectorILNS1_17partition_subalgoE3EjNS0_10empty_typeEbEEZZNS1_14partition_implILS8_3ELb0ES6_jNS0_17counting_iteratorIjlEEPS9_SE_NS0_5tupleIJPjSE_EEENSF_IJSE_SE_EEES9_SG_JZNS1_25segmented_radix_sort_implINS0_14default_configELb1EPK12hip_bfloat16PSL_PKlPlN2at6native12_GLOBAL__N_18offset_tEEE10hipError_tPvRmT1_PNSt15iterator_traitsISZ_E10value_typeET2_T3_PNS10_IS15_E10value_typeET4_jRbjT5_S1B_jjP12ihipStream_tbEUljE_EEESW_SX_SY_S15_S19_S1B_T6_T7_T9_mT8_S1D_bDpT10_ENKUlT_T0_E_clISt17integral_constantIbLb1EES1P_IbLb0EEEEDaS1L_S1M_EUlS1L_E_NS1_11comp_targetILNS1_3genE8ELNS1_11target_archE1030ELNS1_3gpuE2ELNS1_3repE0EEENS1_30default_config_static_selectorELNS0_4arch9wavefront6targetE1EEEvSZ_: ; @_ZN7rocprim17ROCPRIM_400000_NS6detail17trampoline_kernelINS0_13select_configILj256ELj13ELNS0_17block_load_methodE3ELS4_3ELS4_3ELNS0_20block_scan_algorithmE0ELj4294967295EEENS1_25partition_config_selectorILNS1_17partition_subalgoE3EjNS0_10empty_typeEbEEZZNS1_14partition_implILS8_3ELb0ES6_jNS0_17counting_iteratorIjlEEPS9_SE_NS0_5tupleIJPjSE_EEENSF_IJSE_SE_EEES9_SG_JZNS1_25segmented_radix_sort_implINS0_14default_configELb1EPK12hip_bfloat16PSL_PKlPlN2at6native12_GLOBAL__N_18offset_tEEE10hipError_tPvRmT1_PNSt15iterator_traitsISZ_E10value_typeET2_T3_PNS10_IS15_E10value_typeET4_jRbjT5_S1B_jjP12ihipStream_tbEUljE_EEESW_SX_SY_S15_S19_S1B_T6_T7_T9_mT8_S1D_bDpT10_ENKUlT_T0_E_clISt17integral_constantIbLb1EES1P_IbLb0EEEEDaS1L_S1M_EUlS1L_E_NS1_11comp_targetILNS1_3genE8ELNS1_11target_archE1030ELNS1_3gpuE2ELNS1_3repE0EEENS1_30default_config_static_selectorELNS0_4arch9wavefront6targetE1EEEvSZ_
; %bb.0:
	.section	.rodata,"a",@progbits
	.p2align	6, 0x0
	.amdhsa_kernel _ZN7rocprim17ROCPRIM_400000_NS6detail17trampoline_kernelINS0_13select_configILj256ELj13ELNS0_17block_load_methodE3ELS4_3ELS4_3ELNS0_20block_scan_algorithmE0ELj4294967295EEENS1_25partition_config_selectorILNS1_17partition_subalgoE3EjNS0_10empty_typeEbEEZZNS1_14partition_implILS8_3ELb0ES6_jNS0_17counting_iteratorIjlEEPS9_SE_NS0_5tupleIJPjSE_EEENSF_IJSE_SE_EEES9_SG_JZNS1_25segmented_radix_sort_implINS0_14default_configELb1EPK12hip_bfloat16PSL_PKlPlN2at6native12_GLOBAL__N_18offset_tEEE10hipError_tPvRmT1_PNSt15iterator_traitsISZ_E10value_typeET2_T3_PNS10_IS15_E10value_typeET4_jRbjT5_S1B_jjP12ihipStream_tbEUljE_EEESW_SX_SY_S15_S19_S1B_T6_T7_T9_mT8_S1D_bDpT10_ENKUlT_T0_E_clISt17integral_constantIbLb1EES1P_IbLb0EEEEDaS1L_S1M_EUlS1L_E_NS1_11comp_targetILNS1_3genE8ELNS1_11target_archE1030ELNS1_3gpuE2ELNS1_3repE0EEENS1_30default_config_static_selectorELNS0_4arch9wavefront6targetE1EEEvSZ_
		.amdhsa_group_segment_fixed_size 0
		.amdhsa_private_segment_fixed_size 0
		.amdhsa_kernarg_size 144
		.amdhsa_user_sgpr_count 6
		.amdhsa_user_sgpr_private_segment_buffer 1
		.amdhsa_user_sgpr_dispatch_ptr 0
		.amdhsa_user_sgpr_queue_ptr 0
		.amdhsa_user_sgpr_kernarg_segment_ptr 1
		.amdhsa_user_sgpr_dispatch_id 0
		.amdhsa_user_sgpr_flat_scratch_init 0
		.amdhsa_user_sgpr_private_segment_size 0
		.amdhsa_uses_dynamic_stack 0
		.amdhsa_system_sgpr_private_segment_wavefront_offset 0
		.amdhsa_system_sgpr_workgroup_id_x 1
		.amdhsa_system_sgpr_workgroup_id_y 0
		.amdhsa_system_sgpr_workgroup_id_z 0
		.amdhsa_system_sgpr_workgroup_info 0
		.amdhsa_system_vgpr_workitem_id 0
		.amdhsa_next_free_vgpr 1
		.amdhsa_next_free_sgpr 0
		.amdhsa_reserve_vcc 0
		.amdhsa_reserve_flat_scratch 0
		.amdhsa_float_round_mode_32 0
		.amdhsa_float_round_mode_16_64 0
		.amdhsa_float_denorm_mode_32 3
		.amdhsa_float_denorm_mode_16_64 3
		.amdhsa_dx10_clamp 1
		.amdhsa_ieee_mode 1
		.amdhsa_fp16_overflow 0
		.amdhsa_exception_fp_ieee_invalid_op 0
		.amdhsa_exception_fp_denorm_src 0
		.amdhsa_exception_fp_ieee_div_zero 0
		.amdhsa_exception_fp_ieee_overflow 0
		.amdhsa_exception_fp_ieee_underflow 0
		.amdhsa_exception_fp_ieee_inexact 0
		.amdhsa_exception_int_div_zero 0
	.end_amdhsa_kernel
	.section	.text._ZN7rocprim17ROCPRIM_400000_NS6detail17trampoline_kernelINS0_13select_configILj256ELj13ELNS0_17block_load_methodE3ELS4_3ELS4_3ELNS0_20block_scan_algorithmE0ELj4294967295EEENS1_25partition_config_selectorILNS1_17partition_subalgoE3EjNS0_10empty_typeEbEEZZNS1_14partition_implILS8_3ELb0ES6_jNS0_17counting_iteratorIjlEEPS9_SE_NS0_5tupleIJPjSE_EEENSF_IJSE_SE_EEES9_SG_JZNS1_25segmented_radix_sort_implINS0_14default_configELb1EPK12hip_bfloat16PSL_PKlPlN2at6native12_GLOBAL__N_18offset_tEEE10hipError_tPvRmT1_PNSt15iterator_traitsISZ_E10value_typeET2_T3_PNS10_IS15_E10value_typeET4_jRbjT5_S1B_jjP12ihipStream_tbEUljE_EEESW_SX_SY_S15_S19_S1B_T6_T7_T9_mT8_S1D_bDpT10_ENKUlT_T0_E_clISt17integral_constantIbLb1EES1P_IbLb0EEEEDaS1L_S1M_EUlS1L_E_NS1_11comp_targetILNS1_3genE8ELNS1_11target_archE1030ELNS1_3gpuE2ELNS1_3repE0EEENS1_30default_config_static_selectorELNS0_4arch9wavefront6targetE1EEEvSZ_,"axG",@progbits,_ZN7rocprim17ROCPRIM_400000_NS6detail17trampoline_kernelINS0_13select_configILj256ELj13ELNS0_17block_load_methodE3ELS4_3ELS4_3ELNS0_20block_scan_algorithmE0ELj4294967295EEENS1_25partition_config_selectorILNS1_17partition_subalgoE3EjNS0_10empty_typeEbEEZZNS1_14partition_implILS8_3ELb0ES6_jNS0_17counting_iteratorIjlEEPS9_SE_NS0_5tupleIJPjSE_EEENSF_IJSE_SE_EEES9_SG_JZNS1_25segmented_radix_sort_implINS0_14default_configELb1EPK12hip_bfloat16PSL_PKlPlN2at6native12_GLOBAL__N_18offset_tEEE10hipError_tPvRmT1_PNSt15iterator_traitsISZ_E10value_typeET2_T3_PNS10_IS15_E10value_typeET4_jRbjT5_S1B_jjP12ihipStream_tbEUljE_EEESW_SX_SY_S15_S19_S1B_T6_T7_T9_mT8_S1D_bDpT10_ENKUlT_T0_E_clISt17integral_constantIbLb1EES1P_IbLb0EEEEDaS1L_S1M_EUlS1L_E_NS1_11comp_targetILNS1_3genE8ELNS1_11target_archE1030ELNS1_3gpuE2ELNS1_3repE0EEENS1_30default_config_static_selectorELNS0_4arch9wavefront6targetE1EEEvSZ_,comdat
.Lfunc_end1937:
	.size	_ZN7rocprim17ROCPRIM_400000_NS6detail17trampoline_kernelINS0_13select_configILj256ELj13ELNS0_17block_load_methodE3ELS4_3ELS4_3ELNS0_20block_scan_algorithmE0ELj4294967295EEENS1_25partition_config_selectorILNS1_17partition_subalgoE3EjNS0_10empty_typeEbEEZZNS1_14partition_implILS8_3ELb0ES6_jNS0_17counting_iteratorIjlEEPS9_SE_NS0_5tupleIJPjSE_EEENSF_IJSE_SE_EEES9_SG_JZNS1_25segmented_radix_sort_implINS0_14default_configELb1EPK12hip_bfloat16PSL_PKlPlN2at6native12_GLOBAL__N_18offset_tEEE10hipError_tPvRmT1_PNSt15iterator_traitsISZ_E10value_typeET2_T3_PNS10_IS15_E10value_typeET4_jRbjT5_S1B_jjP12ihipStream_tbEUljE_EEESW_SX_SY_S15_S19_S1B_T6_T7_T9_mT8_S1D_bDpT10_ENKUlT_T0_E_clISt17integral_constantIbLb1EES1P_IbLb0EEEEDaS1L_S1M_EUlS1L_E_NS1_11comp_targetILNS1_3genE8ELNS1_11target_archE1030ELNS1_3gpuE2ELNS1_3repE0EEENS1_30default_config_static_selectorELNS0_4arch9wavefront6targetE1EEEvSZ_, .Lfunc_end1937-_ZN7rocprim17ROCPRIM_400000_NS6detail17trampoline_kernelINS0_13select_configILj256ELj13ELNS0_17block_load_methodE3ELS4_3ELS4_3ELNS0_20block_scan_algorithmE0ELj4294967295EEENS1_25partition_config_selectorILNS1_17partition_subalgoE3EjNS0_10empty_typeEbEEZZNS1_14partition_implILS8_3ELb0ES6_jNS0_17counting_iteratorIjlEEPS9_SE_NS0_5tupleIJPjSE_EEENSF_IJSE_SE_EEES9_SG_JZNS1_25segmented_radix_sort_implINS0_14default_configELb1EPK12hip_bfloat16PSL_PKlPlN2at6native12_GLOBAL__N_18offset_tEEE10hipError_tPvRmT1_PNSt15iterator_traitsISZ_E10value_typeET2_T3_PNS10_IS15_E10value_typeET4_jRbjT5_S1B_jjP12ihipStream_tbEUljE_EEESW_SX_SY_S15_S19_S1B_T6_T7_T9_mT8_S1D_bDpT10_ENKUlT_T0_E_clISt17integral_constantIbLb1EES1P_IbLb0EEEEDaS1L_S1M_EUlS1L_E_NS1_11comp_targetILNS1_3genE8ELNS1_11target_archE1030ELNS1_3gpuE2ELNS1_3repE0EEENS1_30default_config_static_selectorELNS0_4arch9wavefront6targetE1EEEvSZ_
                                        ; -- End function
	.set _ZN7rocprim17ROCPRIM_400000_NS6detail17trampoline_kernelINS0_13select_configILj256ELj13ELNS0_17block_load_methodE3ELS4_3ELS4_3ELNS0_20block_scan_algorithmE0ELj4294967295EEENS1_25partition_config_selectorILNS1_17partition_subalgoE3EjNS0_10empty_typeEbEEZZNS1_14partition_implILS8_3ELb0ES6_jNS0_17counting_iteratorIjlEEPS9_SE_NS0_5tupleIJPjSE_EEENSF_IJSE_SE_EEES9_SG_JZNS1_25segmented_radix_sort_implINS0_14default_configELb1EPK12hip_bfloat16PSL_PKlPlN2at6native12_GLOBAL__N_18offset_tEEE10hipError_tPvRmT1_PNSt15iterator_traitsISZ_E10value_typeET2_T3_PNS10_IS15_E10value_typeET4_jRbjT5_S1B_jjP12ihipStream_tbEUljE_EEESW_SX_SY_S15_S19_S1B_T6_T7_T9_mT8_S1D_bDpT10_ENKUlT_T0_E_clISt17integral_constantIbLb1EES1P_IbLb0EEEEDaS1L_S1M_EUlS1L_E_NS1_11comp_targetILNS1_3genE8ELNS1_11target_archE1030ELNS1_3gpuE2ELNS1_3repE0EEENS1_30default_config_static_selectorELNS0_4arch9wavefront6targetE1EEEvSZ_.num_vgpr, 0
	.set _ZN7rocprim17ROCPRIM_400000_NS6detail17trampoline_kernelINS0_13select_configILj256ELj13ELNS0_17block_load_methodE3ELS4_3ELS4_3ELNS0_20block_scan_algorithmE0ELj4294967295EEENS1_25partition_config_selectorILNS1_17partition_subalgoE3EjNS0_10empty_typeEbEEZZNS1_14partition_implILS8_3ELb0ES6_jNS0_17counting_iteratorIjlEEPS9_SE_NS0_5tupleIJPjSE_EEENSF_IJSE_SE_EEES9_SG_JZNS1_25segmented_radix_sort_implINS0_14default_configELb1EPK12hip_bfloat16PSL_PKlPlN2at6native12_GLOBAL__N_18offset_tEEE10hipError_tPvRmT1_PNSt15iterator_traitsISZ_E10value_typeET2_T3_PNS10_IS15_E10value_typeET4_jRbjT5_S1B_jjP12ihipStream_tbEUljE_EEESW_SX_SY_S15_S19_S1B_T6_T7_T9_mT8_S1D_bDpT10_ENKUlT_T0_E_clISt17integral_constantIbLb1EES1P_IbLb0EEEEDaS1L_S1M_EUlS1L_E_NS1_11comp_targetILNS1_3genE8ELNS1_11target_archE1030ELNS1_3gpuE2ELNS1_3repE0EEENS1_30default_config_static_selectorELNS0_4arch9wavefront6targetE1EEEvSZ_.num_agpr, 0
	.set _ZN7rocprim17ROCPRIM_400000_NS6detail17trampoline_kernelINS0_13select_configILj256ELj13ELNS0_17block_load_methodE3ELS4_3ELS4_3ELNS0_20block_scan_algorithmE0ELj4294967295EEENS1_25partition_config_selectorILNS1_17partition_subalgoE3EjNS0_10empty_typeEbEEZZNS1_14partition_implILS8_3ELb0ES6_jNS0_17counting_iteratorIjlEEPS9_SE_NS0_5tupleIJPjSE_EEENSF_IJSE_SE_EEES9_SG_JZNS1_25segmented_radix_sort_implINS0_14default_configELb1EPK12hip_bfloat16PSL_PKlPlN2at6native12_GLOBAL__N_18offset_tEEE10hipError_tPvRmT1_PNSt15iterator_traitsISZ_E10value_typeET2_T3_PNS10_IS15_E10value_typeET4_jRbjT5_S1B_jjP12ihipStream_tbEUljE_EEESW_SX_SY_S15_S19_S1B_T6_T7_T9_mT8_S1D_bDpT10_ENKUlT_T0_E_clISt17integral_constantIbLb1EES1P_IbLb0EEEEDaS1L_S1M_EUlS1L_E_NS1_11comp_targetILNS1_3genE8ELNS1_11target_archE1030ELNS1_3gpuE2ELNS1_3repE0EEENS1_30default_config_static_selectorELNS0_4arch9wavefront6targetE1EEEvSZ_.numbered_sgpr, 0
	.set _ZN7rocprim17ROCPRIM_400000_NS6detail17trampoline_kernelINS0_13select_configILj256ELj13ELNS0_17block_load_methodE3ELS4_3ELS4_3ELNS0_20block_scan_algorithmE0ELj4294967295EEENS1_25partition_config_selectorILNS1_17partition_subalgoE3EjNS0_10empty_typeEbEEZZNS1_14partition_implILS8_3ELb0ES6_jNS0_17counting_iteratorIjlEEPS9_SE_NS0_5tupleIJPjSE_EEENSF_IJSE_SE_EEES9_SG_JZNS1_25segmented_radix_sort_implINS0_14default_configELb1EPK12hip_bfloat16PSL_PKlPlN2at6native12_GLOBAL__N_18offset_tEEE10hipError_tPvRmT1_PNSt15iterator_traitsISZ_E10value_typeET2_T3_PNS10_IS15_E10value_typeET4_jRbjT5_S1B_jjP12ihipStream_tbEUljE_EEESW_SX_SY_S15_S19_S1B_T6_T7_T9_mT8_S1D_bDpT10_ENKUlT_T0_E_clISt17integral_constantIbLb1EES1P_IbLb0EEEEDaS1L_S1M_EUlS1L_E_NS1_11comp_targetILNS1_3genE8ELNS1_11target_archE1030ELNS1_3gpuE2ELNS1_3repE0EEENS1_30default_config_static_selectorELNS0_4arch9wavefront6targetE1EEEvSZ_.num_named_barrier, 0
	.set _ZN7rocprim17ROCPRIM_400000_NS6detail17trampoline_kernelINS0_13select_configILj256ELj13ELNS0_17block_load_methodE3ELS4_3ELS4_3ELNS0_20block_scan_algorithmE0ELj4294967295EEENS1_25partition_config_selectorILNS1_17partition_subalgoE3EjNS0_10empty_typeEbEEZZNS1_14partition_implILS8_3ELb0ES6_jNS0_17counting_iteratorIjlEEPS9_SE_NS0_5tupleIJPjSE_EEENSF_IJSE_SE_EEES9_SG_JZNS1_25segmented_radix_sort_implINS0_14default_configELb1EPK12hip_bfloat16PSL_PKlPlN2at6native12_GLOBAL__N_18offset_tEEE10hipError_tPvRmT1_PNSt15iterator_traitsISZ_E10value_typeET2_T3_PNS10_IS15_E10value_typeET4_jRbjT5_S1B_jjP12ihipStream_tbEUljE_EEESW_SX_SY_S15_S19_S1B_T6_T7_T9_mT8_S1D_bDpT10_ENKUlT_T0_E_clISt17integral_constantIbLb1EES1P_IbLb0EEEEDaS1L_S1M_EUlS1L_E_NS1_11comp_targetILNS1_3genE8ELNS1_11target_archE1030ELNS1_3gpuE2ELNS1_3repE0EEENS1_30default_config_static_selectorELNS0_4arch9wavefront6targetE1EEEvSZ_.private_seg_size, 0
	.set _ZN7rocprim17ROCPRIM_400000_NS6detail17trampoline_kernelINS0_13select_configILj256ELj13ELNS0_17block_load_methodE3ELS4_3ELS4_3ELNS0_20block_scan_algorithmE0ELj4294967295EEENS1_25partition_config_selectorILNS1_17partition_subalgoE3EjNS0_10empty_typeEbEEZZNS1_14partition_implILS8_3ELb0ES6_jNS0_17counting_iteratorIjlEEPS9_SE_NS0_5tupleIJPjSE_EEENSF_IJSE_SE_EEES9_SG_JZNS1_25segmented_radix_sort_implINS0_14default_configELb1EPK12hip_bfloat16PSL_PKlPlN2at6native12_GLOBAL__N_18offset_tEEE10hipError_tPvRmT1_PNSt15iterator_traitsISZ_E10value_typeET2_T3_PNS10_IS15_E10value_typeET4_jRbjT5_S1B_jjP12ihipStream_tbEUljE_EEESW_SX_SY_S15_S19_S1B_T6_T7_T9_mT8_S1D_bDpT10_ENKUlT_T0_E_clISt17integral_constantIbLb1EES1P_IbLb0EEEEDaS1L_S1M_EUlS1L_E_NS1_11comp_targetILNS1_3genE8ELNS1_11target_archE1030ELNS1_3gpuE2ELNS1_3repE0EEENS1_30default_config_static_selectorELNS0_4arch9wavefront6targetE1EEEvSZ_.uses_vcc, 0
	.set _ZN7rocprim17ROCPRIM_400000_NS6detail17trampoline_kernelINS0_13select_configILj256ELj13ELNS0_17block_load_methodE3ELS4_3ELS4_3ELNS0_20block_scan_algorithmE0ELj4294967295EEENS1_25partition_config_selectorILNS1_17partition_subalgoE3EjNS0_10empty_typeEbEEZZNS1_14partition_implILS8_3ELb0ES6_jNS0_17counting_iteratorIjlEEPS9_SE_NS0_5tupleIJPjSE_EEENSF_IJSE_SE_EEES9_SG_JZNS1_25segmented_radix_sort_implINS0_14default_configELb1EPK12hip_bfloat16PSL_PKlPlN2at6native12_GLOBAL__N_18offset_tEEE10hipError_tPvRmT1_PNSt15iterator_traitsISZ_E10value_typeET2_T3_PNS10_IS15_E10value_typeET4_jRbjT5_S1B_jjP12ihipStream_tbEUljE_EEESW_SX_SY_S15_S19_S1B_T6_T7_T9_mT8_S1D_bDpT10_ENKUlT_T0_E_clISt17integral_constantIbLb1EES1P_IbLb0EEEEDaS1L_S1M_EUlS1L_E_NS1_11comp_targetILNS1_3genE8ELNS1_11target_archE1030ELNS1_3gpuE2ELNS1_3repE0EEENS1_30default_config_static_selectorELNS0_4arch9wavefront6targetE1EEEvSZ_.uses_flat_scratch, 0
	.set _ZN7rocprim17ROCPRIM_400000_NS6detail17trampoline_kernelINS0_13select_configILj256ELj13ELNS0_17block_load_methodE3ELS4_3ELS4_3ELNS0_20block_scan_algorithmE0ELj4294967295EEENS1_25partition_config_selectorILNS1_17partition_subalgoE3EjNS0_10empty_typeEbEEZZNS1_14partition_implILS8_3ELb0ES6_jNS0_17counting_iteratorIjlEEPS9_SE_NS0_5tupleIJPjSE_EEENSF_IJSE_SE_EEES9_SG_JZNS1_25segmented_radix_sort_implINS0_14default_configELb1EPK12hip_bfloat16PSL_PKlPlN2at6native12_GLOBAL__N_18offset_tEEE10hipError_tPvRmT1_PNSt15iterator_traitsISZ_E10value_typeET2_T3_PNS10_IS15_E10value_typeET4_jRbjT5_S1B_jjP12ihipStream_tbEUljE_EEESW_SX_SY_S15_S19_S1B_T6_T7_T9_mT8_S1D_bDpT10_ENKUlT_T0_E_clISt17integral_constantIbLb1EES1P_IbLb0EEEEDaS1L_S1M_EUlS1L_E_NS1_11comp_targetILNS1_3genE8ELNS1_11target_archE1030ELNS1_3gpuE2ELNS1_3repE0EEENS1_30default_config_static_selectorELNS0_4arch9wavefront6targetE1EEEvSZ_.has_dyn_sized_stack, 0
	.set _ZN7rocprim17ROCPRIM_400000_NS6detail17trampoline_kernelINS0_13select_configILj256ELj13ELNS0_17block_load_methodE3ELS4_3ELS4_3ELNS0_20block_scan_algorithmE0ELj4294967295EEENS1_25partition_config_selectorILNS1_17partition_subalgoE3EjNS0_10empty_typeEbEEZZNS1_14partition_implILS8_3ELb0ES6_jNS0_17counting_iteratorIjlEEPS9_SE_NS0_5tupleIJPjSE_EEENSF_IJSE_SE_EEES9_SG_JZNS1_25segmented_radix_sort_implINS0_14default_configELb1EPK12hip_bfloat16PSL_PKlPlN2at6native12_GLOBAL__N_18offset_tEEE10hipError_tPvRmT1_PNSt15iterator_traitsISZ_E10value_typeET2_T3_PNS10_IS15_E10value_typeET4_jRbjT5_S1B_jjP12ihipStream_tbEUljE_EEESW_SX_SY_S15_S19_S1B_T6_T7_T9_mT8_S1D_bDpT10_ENKUlT_T0_E_clISt17integral_constantIbLb1EES1P_IbLb0EEEEDaS1L_S1M_EUlS1L_E_NS1_11comp_targetILNS1_3genE8ELNS1_11target_archE1030ELNS1_3gpuE2ELNS1_3repE0EEENS1_30default_config_static_selectorELNS0_4arch9wavefront6targetE1EEEvSZ_.has_recursion, 0
	.set _ZN7rocprim17ROCPRIM_400000_NS6detail17trampoline_kernelINS0_13select_configILj256ELj13ELNS0_17block_load_methodE3ELS4_3ELS4_3ELNS0_20block_scan_algorithmE0ELj4294967295EEENS1_25partition_config_selectorILNS1_17partition_subalgoE3EjNS0_10empty_typeEbEEZZNS1_14partition_implILS8_3ELb0ES6_jNS0_17counting_iteratorIjlEEPS9_SE_NS0_5tupleIJPjSE_EEENSF_IJSE_SE_EEES9_SG_JZNS1_25segmented_radix_sort_implINS0_14default_configELb1EPK12hip_bfloat16PSL_PKlPlN2at6native12_GLOBAL__N_18offset_tEEE10hipError_tPvRmT1_PNSt15iterator_traitsISZ_E10value_typeET2_T3_PNS10_IS15_E10value_typeET4_jRbjT5_S1B_jjP12ihipStream_tbEUljE_EEESW_SX_SY_S15_S19_S1B_T6_T7_T9_mT8_S1D_bDpT10_ENKUlT_T0_E_clISt17integral_constantIbLb1EES1P_IbLb0EEEEDaS1L_S1M_EUlS1L_E_NS1_11comp_targetILNS1_3genE8ELNS1_11target_archE1030ELNS1_3gpuE2ELNS1_3repE0EEENS1_30default_config_static_selectorELNS0_4arch9wavefront6targetE1EEEvSZ_.has_indirect_call, 0
	.section	.AMDGPU.csdata,"",@progbits
; Kernel info:
; codeLenInByte = 0
; TotalNumSgprs: 4
; NumVgprs: 0
; ScratchSize: 0
; MemoryBound: 0
; FloatMode: 240
; IeeeMode: 1
; LDSByteSize: 0 bytes/workgroup (compile time only)
; SGPRBlocks: 0
; VGPRBlocks: 0
; NumSGPRsForWavesPerEU: 4
; NumVGPRsForWavesPerEU: 1
; Occupancy: 10
; WaveLimiterHint : 0
; COMPUTE_PGM_RSRC2:SCRATCH_EN: 0
; COMPUTE_PGM_RSRC2:USER_SGPR: 6
; COMPUTE_PGM_RSRC2:TRAP_HANDLER: 0
; COMPUTE_PGM_RSRC2:TGID_X_EN: 1
; COMPUTE_PGM_RSRC2:TGID_Y_EN: 0
; COMPUTE_PGM_RSRC2:TGID_Z_EN: 0
; COMPUTE_PGM_RSRC2:TIDIG_COMP_CNT: 0
	.section	.text._ZN7rocprim17ROCPRIM_400000_NS6detail17trampoline_kernelINS0_13select_configILj256ELj13ELNS0_17block_load_methodE3ELS4_3ELS4_3ELNS0_20block_scan_algorithmE0ELj4294967295EEENS1_25partition_config_selectorILNS1_17partition_subalgoE3EjNS0_10empty_typeEbEEZZNS1_14partition_implILS8_3ELb0ES6_jNS0_17counting_iteratorIjlEEPS9_SE_NS0_5tupleIJPjSE_EEENSF_IJSE_SE_EEES9_SG_JZNS1_25segmented_radix_sort_implINS0_14default_configELb1EPK12hip_bfloat16PSL_PKlPlN2at6native12_GLOBAL__N_18offset_tEEE10hipError_tPvRmT1_PNSt15iterator_traitsISZ_E10value_typeET2_T3_PNS10_IS15_E10value_typeET4_jRbjT5_S1B_jjP12ihipStream_tbEUljE_EEESW_SX_SY_S15_S19_S1B_T6_T7_T9_mT8_S1D_bDpT10_ENKUlT_T0_E_clISt17integral_constantIbLb0EES1P_IbLb1EEEEDaS1L_S1M_EUlS1L_E_NS1_11comp_targetILNS1_3genE0ELNS1_11target_archE4294967295ELNS1_3gpuE0ELNS1_3repE0EEENS1_30default_config_static_selectorELNS0_4arch9wavefront6targetE1EEEvSZ_,"axG",@progbits,_ZN7rocprim17ROCPRIM_400000_NS6detail17trampoline_kernelINS0_13select_configILj256ELj13ELNS0_17block_load_methodE3ELS4_3ELS4_3ELNS0_20block_scan_algorithmE0ELj4294967295EEENS1_25partition_config_selectorILNS1_17partition_subalgoE3EjNS0_10empty_typeEbEEZZNS1_14partition_implILS8_3ELb0ES6_jNS0_17counting_iteratorIjlEEPS9_SE_NS0_5tupleIJPjSE_EEENSF_IJSE_SE_EEES9_SG_JZNS1_25segmented_radix_sort_implINS0_14default_configELb1EPK12hip_bfloat16PSL_PKlPlN2at6native12_GLOBAL__N_18offset_tEEE10hipError_tPvRmT1_PNSt15iterator_traitsISZ_E10value_typeET2_T3_PNS10_IS15_E10value_typeET4_jRbjT5_S1B_jjP12ihipStream_tbEUljE_EEESW_SX_SY_S15_S19_S1B_T6_T7_T9_mT8_S1D_bDpT10_ENKUlT_T0_E_clISt17integral_constantIbLb0EES1P_IbLb1EEEEDaS1L_S1M_EUlS1L_E_NS1_11comp_targetILNS1_3genE0ELNS1_11target_archE4294967295ELNS1_3gpuE0ELNS1_3repE0EEENS1_30default_config_static_selectorELNS0_4arch9wavefront6targetE1EEEvSZ_,comdat
	.globl	_ZN7rocprim17ROCPRIM_400000_NS6detail17trampoline_kernelINS0_13select_configILj256ELj13ELNS0_17block_load_methodE3ELS4_3ELS4_3ELNS0_20block_scan_algorithmE0ELj4294967295EEENS1_25partition_config_selectorILNS1_17partition_subalgoE3EjNS0_10empty_typeEbEEZZNS1_14partition_implILS8_3ELb0ES6_jNS0_17counting_iteratorIjlEEPS9_SE_NS0_5tupleIJPjSE_EEENSF_IJSE_SE_EEES9_SG_JZNS1_25segmented_radix_sort_implINS0_14default_configELb1EPK12hip_bfloat16PSL_PKlPlN2at6native12_GLOBAL__N_18offset_tEEE10hipError_tPvRmT1_PNSt15iterator_traitsISZ_E10value_typeET2_T3_PNS10_IS15_E10value_typeET4_jRbjT5_S1B_jjP12ihipStream_tbEUljE_EEESW_SX_SY_S15_S19_S1B_T6_T7_T9_mT8_S1D_bDpT10_ENKUlT_T0_E_clISt17integral_constantIbLb0EES1P_IbLb1EEEEDaS1L_S1M_EUlS1L_E_NS1_11comp_targetILNS1_3genE0ELNS1_11target_archE4294967295ELNS1_3gpuE0ELNS1_3repE0EEENS1_30default_config_static_selectorELNS0_4arch9wavefront6targetE1EEEvSZ_ ; -- Begin function _ZN7rocprim17ROCPRIM_400000_NS6detail17trampoline_kernelINS0_13select_configILj256ELj13ELNS0_17block_load_methodE3ELS4_3ELS4_3ELNS0_20block_scan_algorithmE0ELj4294967295EEENS1_25partition_config_selectorILNS1_17partition_subalgoE3EjNS0_10empty_typeEbEEZZNS1_14partition_implILS8_3ELb0ES6_jNS0_17counting_iteratorIjlEEPS9_SE_NS0_5tupleIJPjSE_EEENSF_IJSE_SE_EEES9_SG_JZNS1_25segmented_radix_sort_implINS0_14default_configELb1EPK12hip_bfloat16PSL_PKlPlN2at6native12_GLOBAL__N_18offset_tEEE10hipError_tPvRmT1_PNSt15iterator_traitsISZ_E10value_typeET2_T3_PNS10_IS15_E10value_typeET4_jRbjT5_S1B_jjP12ihipStream_tbEUljE_EEESW_SX_SY_S15_S19_S1B_T6_T7_T9_mT8_S1D_bDpT10_ENKUlT_T0_E_clISt17integral_constantIbLb0EES1P_IbLb1EEEEDaS1L_S1M_EUlS1L_E_NS1_11comp_targetILNS1_3genE0ELNS1_11target_archE4294967295ELNS1_3gpuE0ELNS1_3repE0EEENS1_30default_config_static_selectorELNS0_4arch9wavefront6targetE1EEEvSZ_
	.p2align	8
	.type	_ZN7rocprim17ROCPRIM_400000_NS6detail17trampoline_kernelINS0_13select_configILj256ELj13ELNS0_17block_load_methodE3ELS4_3ELS4_3ELNS0_20block_scan_algorithmE0ELj4294967295EEENS1_25partition_config_selectorILNS1_17partition_subalgoE3EjNS0_10empty_typeEbEEZZNS1_14partition_implILS8_3ELb0ES6_jNS0_17counting_iteratorIjlEEPS9_SE_NS0_5tupleIJPjSE_EEENSF_IJSE_SE_EEES9_SG_JZNS1_25segmented_radix_sort_implINS0_14default_configELb1EPK12hip_bfloat16PSL_PKlPlN2at6native12_GLOBAL__N_18offset_tEEE10hipError_tPvRmT1_PNSt15iterator_traitsISZ_E10value_typeET2_T3_PNS10_IS15_E10value_typeET4_jRbjT5_S1B_jjP12ihipStream_tbEUljE_EEESW_SX_SY_S15_S19_S1B_T6_T7_T9_mT8_S1D_bDpT10_ENKUlT_T0_E_clISt17integral_constantIbLb0EES1P_IbLb1EEEEDaS1L_S1M_EUlS1L_E_NS1_11comp_targetILNS1_3genE0ELNS1_11target_archE4294967295ELNS1_3gpuE0ELNS1_3repE0EEENS1_30default_config_static_selectorELNS0_4arch9wavefront6targetE1EEEvSZ_,@function
_ZN7rocprim17ROCPRIM_400000_NS6detail17trampoline_kernelINS0_13select_configILj256ELj13ELNS0_17block_load_methodE3ELS4_3ELS4_3ELNS0_20block_scan_algorithmE0ELj4294967295EEENS1_25partition_config_selectorILNS1_17partition_subalgoE3EjNS0_10empty_typeEbEEZZNS1_14partition_implILS8_3ELb0ES6_jNS0_17counting_iteratorIjlEEPS9_SE_NS0_5tupleIJPjSE_EEENSF_IJSE_SE_EEES9_SG_JZNS1_25segmented_radix_sort_implINS0_14default_configELb1EPK12hip_bfloat16PSL_PKlPlN2at6native12_GLOBAL__N_18offset_tEEE10hipError_tPvRmT1_PNSt15iterator_traitsISZ_E10value_typeET2_T3_PNS10_IS15_E10value_typeET4_jRbjT5_S1B_jjP12ihipStream_tbEUljE_EEESW_SX_SY_S15_S19_S1B_T6_T7_T9_mT8_S1D_bDpT10_ENKUlT_T0_E_clISt17integral_constantIbLb0EES1P_IbLb1EEEEDaS1L_S1M_EUlS1L_E_NS1_11comp_targetILNS1_3genE0ELNS1_11target_archE4294967295ELNS1_3gpuE0ELNS1_3repE0EEENS1_30default_config_static_selectorELNS0_4arch9wavefront6targetE1EEEvSZ_: ; @_ZN7rocprim17ROCPRIM_400000_NS6detail17trampoline_kernelINS0_13select_configILj256ELj13ELNS0_17block_load_methodE3ELS4_3ELS4_3ELNS0_20block_scan_algorithmE0ELj4294967295EEENS1_25partition_config_selectorILNS1_17partition_subalgoE3EjNS0_10empty_typeEbEEZZNS1_14partition_implILS8_3ELb0ES6_jNS0_17counting_iteratorIjlEEPS9_SE_NS0_5tupleIJPjSE_EEENSF_IJSE_SE_EEES9_SG_JZNS1_25segmented_radix_sort_implINS0_14default_configELb1EPK12hip_bfloat16PSL_PKlPlN2at6native12_GLOBAL__N_18offset_tEEE10hipError_tPvRmT1_PNSt15iterator_traitsISZ_E10value_typeET2_T3_PNS10_IS15_E10value_typeET4_jRbjT5_S1B_jjP12ihipStream_tbEUljE_EEESW_SX_SY_S15_S19_S1B_T6_T7_T9_mT8_S1D_bDpT10_ENKUlT_T0_E_clISt17integral_constantIbLb0EES1P_IbLb1EEEEDaS1L_S1M_EUlS1L_E_NS1_11comp_targetILNS1_3genE0ELNS1_11target_archE4294967295ELNS1_3gpuE0ELNS1_3repE0EEENS1_30default_config_static_selectorELNS0_4arch9wavefront6targetE1EEEvSZ_
; %bb.0:
	.section	.rodata,"a",@progbits
	.p2align	6, 0x0
	.amdhsa_kernel _ZN7rocprim17ROCPRIM_400000_NS6detail17trampoline_kernelINS0_13select_configILj256ELj13ELNS0_17block_load_methodE3ELS4_3ELS4_3ELNS0_20block_scan_algorithmE0ELj4294967295EEENS1_25partition_config_selectorILNS1_17partition_subalgoE3EjNS0_10empty_typeEbEEZZNS1_14partition_implILS8_3ELb0ES6_jNS0_17counting_iteratorIjlEEPS9_SE_NS0_5tupleIJPjSE_EEENSF_IJSE_SE_EEES9_SG_JZNS1_25segmented_radix_sort_implINS0_14default_configELb1EPK12hip_bfloat16PSL_PKlPlN2at6native12_GLOBAL__N_18offset_tEEE10hipError_tPvRmT1_PNSt15iterator_traitsISZ_E10value_typeET2_T3_PNS10_IS15_E10value_typeET4_jRbjT5_S1B_jjP12ihipStream_tbEUljE_EEESW_SX_SY_S15_S19_S1B_T6_T7_T9_mT8_S1D_bDpT10_ENKUlT_T0_E_clISt17integral_constantIbLb0EES1P_IbLb1EEEEDaS1L_S1M_EUlS1L_E_NS1_11comp_targetILNS1_3genE0ELNS1_11target_archE4294967295ELNS1_3gpuE0ELNS1_3repE0EEENS1_30default_config_static_selectorELNS0_4arch9wavefront6targetE1EEEvSZ_
		.amdhsa_group_segment_fixed_size 0
		.amdhsa_private_segment_fixed_size 0
		.amdhsa_kernarg_size 152
		.amdhsa_user_sgpr_count 6
		.amdhsa_user_sgpr_private_segment_buffer 1
		.amdhsa_user_sgpr_dispatch_ptr 0
		.amdhsa_user_sgpr_queue_ptr 0
		.amdhsa_user_sgpr_kernarg_segment_ptr 1
		.amdhsa_user_sgpr_dispatch_id 0
		.amdhsa_user_sgpr_flat_scratch_init 0
		.amdhsa_user_sgpr_private_segment_size 0
		.amdhsa_uses_dynamic_stack 0
		.amdhsa_system_sgpr_private_segment_wavefront_offset 0
		.amdhsa_system_sgpr_workgroup_id_x 1
		.amdhsa_system_sgpr_workgroup_id_y 0
		.amdhsa_system_sgpr_workgroup_id_z 0
		.amdhsa_system_sgpr_workgroup_info 0
		.amdhsa_system_vgpr_workitem_id 0
		.amdhsa_next_free_vgpr 1
		.amdhsa_next_free_sgpr 0
		.amdhsa_reserve_vcc 0
		.amdhsa_reserve_flat_scratch 0
		.amdhsa_float_round_mode_32 0
		.amdhsa_float_round_mode_16_64 0
		.amdhsa_float_denorm_mode_32 3
		.amdhsa_float_denorm_mode_16_64 3
		.amdhsa_dx10_clamp 1
		.amdhsa_ieee_mode 1
		.amdhsa_fp16_overflow 0
		.amdhsa_exception_fp_ieee_invalid_op 0
		.amdhsa_exception_fp_denorm_src 0
		.amdhsa_exception_fp_ieee_div_zero 0
		.amdhsa_exception_fp_ieee_overflow 0
		.amdhsa_exception_fp_ieee_underflow 0
		.amdhsa_exception_fp_ieee_inexact 0
		.amdhsa_exception_int_div_zero 0
	.end_amdhsa_kernel
	.section	.text._ZN7rocprim17ROCPRIM_400000_NS6detail17trampoline_kernelINS0_13select_configILj256ELj13ELNS0_17block_load_methodE3ELS4_3ELS4_3ELNS0_20block_scan_algorithmE0ELj4294967295EEENS1_25partition_config_selectorILNS1_17partition_subalgoE3EjNS0_10empty_typeEbEEZZNS1_14partition_implILS8_3ELb0ES6_jNS0_17counting_iteratorIjlEEPS9_SE_NS0_5tupleIJPjSE_EEENSF_IJSE_SE_EEES9_SG_JZNS1_25segmented_radix_sort_implINS0_14default_configELb1EPK12hip_bfloat16PSL_PKlPlN2at6native12_GLOBAL__N_18offset_tEEE10hipError_tPvRmT1_PNSt15iterator_traitsISZ_E10value_typeET2_T3_PNS10_IS15_E10value_typeET4_jRbjT5_S1B_jjP12ihipStream_tbEUljE_EEESW_SX_SY_S15_S19_S1B_T6_T7_T9_mT8_S1D_bDpT10_ENKUlT_T0_E_clISt17integral_constantIbLb0EES1P_IbLb1EEEEDaS1L_S1M_EUlS1L_E_NS1_11comp_targetILNS1_3genE0ELNS1_11target_archE4294967295ELNS1_3gpuE0ELNS1_3repE0EEENS1_30default_config_static_selectorELNS0_4arch9wavefront6targetE1EEEvSZ_,"axG",@progbits,_ZN7rocprim17ROCPRIM_400000_NS6detail17trampoline_kernelINS0_13select_configILj256ELj13ELNS0_17block_load_methodE3ELS4_3ELS4_3ELNS0_20block_scan_algorithmE0ELj4294967295EEENS1_25partition_config_selectorILNS1_17partition_subalgoE3EjNS0_10empty_typeEbEEZZNS1_14partition_implILS8_3ELb0ES6_jNS0_17counting_iteratorIjlEEPS9_SE_NS0_5tupleIJPjSE_EEENSF_IJSE_SE_EEES9_SG_JZNS1_25segmented_radix_sort_implINS0_14default_configELb1EPK12hip_bfloat16PSL_PKlPlN2at6native12_GLOBAL__N_18offset_tEEE10hipError_tPvRmT1_PNSt15iterator_traitsISZ_E10value_typeET2_T3_PNS10_IS15_E10value_typeET4_jRbjT5_S1B_jjP12ihipStream_tbEUljE_EEESW_SX_SY_S15_S19_S1B_T6_T7_T9_mT8_S1D_bDpT10_ENKUlT_T0_E_clISt17integral_constantIbLb0EES1P_IbLb1EEEEDaS1L_S1M_EUlS1L_E_NS1_11comp_targetILNS1_3genE0ELNS1_11target_archE4294967295ELNS1_3gpuE0ELNS1_3repE0EEENS1_30default_config_static_selectorELNS0_4arch9wavefront6targetE1EEEvSZ_,comdat
.Lfunc_end1938:
	.size	_ZN7rocprim17ROCPRIM_400000_NS6detail17trampoline_kernelINS0_13select_configILj256ELj13ELNS0_17block_load_methodE3ELS4_3ELS4_3ELNS0_20block_scan_algorithmE0ELj4294967295EEENS1_25partition_config_selectorILNS1_17partition_subalgoE3EjNS0_10empty_typeEbEEZZNS1_14partition_implILS8_3ELb0ES6_jNS0_17counting_iteratorIjlEEPS9_SE_NS0_5tupleIJPjSE_EEENSF_IJSE_SE_EEES9_SG_JZNS1_25segmented_radix_sort_implINS0_14default_configELb1EPK12hip_bfloat16PSL_PKlPlN2at6native12_GLOBAL__N_18offset_tEEE10hipError_tPvRmT1_PNSt15iterator_traitsISZ_E10value_typeET2_T3_PNS10_IS15_E10value_typeET4_jRbjT5_S1B_jjP12ihipStream_tbEUljE_EEESW_SX_SY_S15_S19_S1B_T6_T7_T9_mT8_S1D_bDpT10_ENKUlT_T0_E_clISt17integral_constantIbLb0EES1P_IbLb1EEEEDaS1L_S1M_EUlS1L_E_NS1_11comp_targetILNS1_3genE0ELNS1_11target_archE4294967295ELNS1_3gpuE0ELNS1_3repE0EEENS1_30default_config_static_selectorELNS0_4arch9wavefront6targetE1EEEvSZ_, .Lfunc_end1938-_ZN7rocprim17ROCPRIM_400000_NS6detail17trampoline_kernelINS0_13select_configILj256ELj13ELNS0_17block_load_methodE3ELS4_3ELS4_3ELNS0_20block_scan_algorithmE0ELj4294967295EEENS1_25partition_config_selectorILNS1_17partition_subalgoE3EjNS0_10empty_typeEbEEZZNS1_14partition_implILS8_3ELb0ES6_jNS0_17counting_iteratorIjlEEPS9_SE_NS0_5tupleIJPjSE_EEENSF_IJSE_SE_EEES9_SG_JZNS1_25segmented_radix_sort_implINS0_14default_configELb1EPK12hip_bfloat16PSL_PKlPlN2at6native12_GLOBAL__N_18offset_tEEE10hipError_tPvRmT1_PNSt15iterator_traitsISZ_E10value_typeET2_T3_PNS10_IS15_E10value_typeET4_jRbjT5_S1B_jjP12ihipStream_tbEUljE_EEESW_SX_SY_S15_S19_S1B_T6_T7_T9_mT8_S1D_bDpT10_ENKUlT_T0_E_clISt17integral_constantIbLb0EES1P_IbLb1EEEEDaS1L_S1M_EUlS1L_E_NS1_11comp_targetILNS1_3genE0ELNS1_11target_archE4294967295ELNS1_3gpuE0ELNS1_3repE0EEENS1_30default_config_static_selectorELNS0_4arch9wavefront6targetE1EEEvSZ_
                                        ; -- End function
	.set _ZN7rocprim17ROCPRIM_400000_NS6detail17trampoline_kernelINS0_13select_configILj256ELj13ELNS0_17block_load_methodE3ELS4_3ELS4_3ELNS0_20block_scan_algorithmE0ELj4294967295EEENS1_25partition_config_selectorILNS1_17partition_subalgoE3EjNS0_10empty_typeEbEEZZNS1_14partition_implILS8_3ELb0ES6_jNS0_17counting_iteratorIjlEEPS9_SE_NS0_5tupleIJPjSE_EEENSF_IJSE_SE_EEES9_SG_JZNS1_25segmented_radix_sort_implINS0_14default_configELb1EPK12hip_bfloat16PSL_PKlPlN2at6native12_GLOBAL__N_18offset_tEEE10hipError_tPvRmT1_PNSt15iterator_traitsISZ_E10value_typeET2_T3_PNS10_IS15_E10value_typeET4_jRbjT5_S1B_jjP12ihipStream_tbEUljE_EEESW_SX_SY_S15_S19_S1B_T6_T7_T9_mT8_S1D_bDpT10_ENKUlT_T0_E_clISt17integral_constantIbLb0EES1P_IbLb1EEEEDaS1L_S1M_EUlS1L_E_NS1_11comp_targetILNS1_3genE0ELNS1_11target_archE4294967295ELNS1_3gpuE0ELNS1_3repE0EEENS1_30default_config_static_selectorELNS0_4arch9wavefront6targetE1EEEvSZ_.num_vgpr, 0
	.set _ZN7rocprim17ROCPRIM_400000_NS6detail17trampoline_kernelINS0_13select_configILj256ELj13ELNS0_17block_load_methodE3ELS4_3ELS4_3ELNS0_20block_scan_algorithmE0ELj4294967295EEENS1_25partition_config_selectorILNS1_17partition_subalgoE3EjNS0_10empty_typeEbEEZZNS1_14partition_implILS8_3ELb0ES6_jNS0_17counting_iteratorIjlEEPS9_SE_NS0_5tupleIJPjSE_EEENSF_IJSE_SE_EEES9_SG_JZNS1_25segmented_radix_sort_implINS0_14default_configELb1EPK12hip_bfloat16PSL_PKlPlN2at6native12_GLOBAL__N_18offset_tEEE10hipError_tPvRmT1_PNSt15iterator_traitsISZ_E10value_typeET2_T3_PNS10_IS15_E10value_typeET4_jRbjT5_S1B_jjP12ihipStream_tbEUljE_EEESW_SX_SY_S15_S19_S1B_T6_T7_T9_mT8_S1D_bDpT10_ENKUlT_T0_E_clISt17integral_constantIbLb0EES1P_IbLb1EEEEDaS1L_S1M_EUlS1L_E_NS1_11comp_targetILNS1_3genE0ELNS1_11target_archE4294967295ELNS1_3gpuE0ELNS1_3repE0EEENS1_30default_config_static_selectorELNS0_4arch9wavefront6targetE1EEEvSZ_.num_agpr, 0
	.set _ZN7rocprim17ROCPRIM_400000_NS6detail17trampoline_kernelINS0_13select_configILj256ELj13ELNS0_17block_load_methodE3ELS4_3ELS4_3ELNS0_20block_scan_algorithmE0ELj4294967295EEENS1_25partition_config_selectorILNS1_17partition_subalgoE3EjNS0_10empty_typeEbEEZZNS1_14partition_implILS8_3ELb0ES6_jNS0_17counting_iteratorIjlEEPS9_SE_NS0_5tupleIJPjSE_EEENSF_IJSE_SE_EEES9_SG_JZNS1_25segmented_radix_sort_implINS0_14default_configELb1EPK12hip_bfloat16PSL_PKlPlN2at6native12_GLOBAL__N_18offset_tEEE10hipError_tPvRmT1_PNSt15iterator_traitsISZ_E10value_typeET2_T3_PNS10_IS15_E10value_typeET4_jRbjT5_S1B_jjP12ihipStream_tbEUljE_EEESW_SX_SY_S15_S19_S1B_T6_T7_T9_mT8_S1D_bDpT10_ENKUlT_T0_E_clISt17integral_constantIbLb0EES1P_IbLb1EEEEDaS1L_S1M_EUlS1L_E_NS1_11comp_targetILNS1_3genE0ELNS1_11target_archE4294967295ELNS1_3gpuE0ELNS1_3repE0EEENS1_30default_config_static_selectorELNS0_4arch9wavefront6targetE1EEEvSZ_.numbered_sgpr, 0
	.set _ZN7rocprim17ROCPRIM_400000_NS6detail17trampoline_kernelINS0_13select_configILj256ELj13ELNS0_17block_load_methodE3ELS4_3ELS4_3ELNS0_20block_scan_algorithmE0ELj4294967295EEENS1_25partition_config_selectorILNS1_17partition_subalgoE3EjNS0_10empty_typeEbEEZZNS1_14partition_implILS8_3ELb0ES6_jNS0_17counting_iteratorIjlEEPS9_SE_NS0_5tupleIJPjSE_EEENSF_IJSE_SE_EEES9_SG_JZNS1_25segmented_radix_sort_implINS0_14default_configELb1EPK12hip_bfloat16PSL_PKlPlN2at6native12_GLOBAL__N_18offset_tEEE10hipError_tPvRmT1_PNSt15iterator_traitsISZ_E10value_typeET2_T3_PNS10_IS15_E10value_typeET4_jRbjT5_S1B_jjP12ihipStream_tbEUljE_EEESW_SX_SY_S15_S19_S1B_T6_T7_T9_mT8_S1D_bDpT10_ENKUlT_T0_E_clISt17integral_constantIbLb0EES1P_IbLb1EEEEDaS1L_S1M_EUlS1L_E_NS1_11comp_targetILNS1_3genE0ELNS1_11target_archE4294967295ELNS1_3gpuE0ELNS1_3repE0EEENS1_30default_config_static_selectorELNS0_4arch9wavefront6targetE1EEEvSZ_.num_named_barrier, 0
	.set _ZN7rocprim17ROCPRIM_400000_NS6detail17trampoline_kernelINS0_13select_configILj256ELj13ELNS0_17block_load_methodE3ELS4_3ELS4_3ELNS0_20block_scan_algorithmE0ELj4294967295EEENS1_25partition_config_selectorILNS1_17partition_subalgoE3EjNS0_10empty_typeEbEEZZNS1_14partition_implILS8_3ELb0ES6_jNS0_17counting_iteratorIjlEEPS9_SE_NS0_5tupleIJPjSE_EEENSF_IJSE_SE_EEES9_SG_JZNS1_25segmented_radix_sort_implINS0_14default_configELb1EPK12hip_bfloat16PSL_PKlPlN2at6native12_GLOBAL__N_18offset_tEEE10hipError_tPvRmT1_PNSt15iterator_traitsISZ_E10value_typeET2_T3_PNS10_IS15_E10value_typeET4_jRbjT5_S1B_jjP12ihipStream_tbEUljE_EEESW_SX_SY_S15_S19_S1B_T6_T7_T9_mT8_S1D_bDpT10_ENKUlT_T0_E_clISt17integral_constantIbLb0EES1P_IbLb1EEEEDaS1L_S1M_EUlS1L_E_NS1_11comp_targetILNS1_3genE0ELNS1_11target_archE4294967295ELNS1_3gpuE0ELNS1_3repE0EEENS1_30default_config_static_selectorELNS0_4arch9wavefront6targetE1EEEvSZ_.private_seg_size, 0
	.set _ZN7rocprim17ROCPRIM_400000_NS6detail17trampoline_kernelINS0_13select_configILj256ELj13ELNS0_17block_load_methodE3ELS4_3ELS4_3ELNS0_20block_scan_algorithmE0ELj4294967295EEENS1_25partition_config_selectorILNS1_17partition_subalgoE3EjNS0_10empty_typeEbEEZZNS1_14partition_implILS8_3ELb0ES6_jNS0_17counting_iteratorIjlEEPS9_SE_NS0_5tupleIJPjSE_EEENSF_IJSE_SE_EEES9_SG_JZNS1_25segmented_radix_sort_implINS0_14default_configELb1EPK12hip_bfloat16PSL_PKlPlN2at6native12_GLOBAL__N_18offset_tEEE10hipError_tPvRmT1_PNSt15iterator_traitsISZ_E10value_typeET2_T3_PNS10_IS15_E10value_typeET4_jRbjT5_S1B_jjP12ihipStream_tbEUljE_EEESW_SX_SY_S15_S19_S1B_T6_T7_T9_mT8_S1D_bDpT10_ENKUlT_T0_E_clISt17integral_constantIbLb0EES1P_IbLb1EEEEDaS1L_S1M_EUlS1L_E_NS1_11comp_targetILNS1_3genE0ELNS1_11target_archE4294967295ELNS1_3gpuE0ELNS1_3repE0EEENS1_30default_config_static_selectorELNS0_4arch9wavefront6targetE1EEEvSZ_.uses_vcc, 0
	.set _ZN7rocprim17ROCPRIM_400000_NS6detail17trampoline_kernelINS0_13select_configILj256ELj13ELNS0_17block_load_methodE3ELS4_3ELS4_3ELNS0_20block_scan_algorithmE0ELj4294967295EEENS1_25partition_config_selectorILNS1_17partition_subalgoE3EjNS0_10empty_typeEbEEZZNS1_14partition_implILS8_3ELb0ES6_jNS0_17counting_iteratorIjlEEPS9_SE_NS0_5tupleIJPjSE_EEENSF_IJSE_SE_EEES9_SG_JZNS1_25segmented_radix_sort_implINS0_14default_configELb1EPK12hip_bfloat16PSL_PKlPlN2at6native12_GLOBAL__N_18offset_tEEE10hipError_tPvRmT1_PNSt15iterator_traitsISZ_E10value_typeET2_T3_PNS10_IS15_E10value_typeET4_jRbjT5_S1B_jjP12ihipStream_tbEUljE_EEESW_SX_SY_S15_S19_S1B_T6_T7_T9_mT8_S1D_bDpT10_ENKUlT_T0_E_clISt17integral_constantIbLb0EES1P_IbLb1EEEEDaS1L_S1M_EUlS1L_E_NS1_11comp_targetILNS1_3genE0ELNS1_11target_archE4294967295ELNS1_3gpuE0ELNS1_3repE0EEENS1_30default_config_static_selectorELNS0_4arch9wavefront6targetE1EEEvSZ_.uses_flat_scratch, 0
	.set _ZN7rocprim17ROCPRIM_400000_NS6detail17trampoline_kernelINS0_13select_configILj256ELj13ELNS0_17block_load_methodE3ELS4_3ELS4_3ELNS0_20block_scan_algorithmE0ELj4294967295EEENS1_25partition_config_selectorILNS1_17partition_subalgoE3EjNS0_10empty_typeEbEEZZNS1_14partition_implILS8_3ELb0ES6_jNS0_17counting_iteratorIjlEEPS9_SE_NS0_5tupleIJPjSE_EEENSF_IJSE_SE_EEES9_SG_JZNS1_25segmented_radix_sort_implINS0_14default_configELb1EPK12hip_bfloat16PSL_PKlPlN2at6native12_GLOBAL__N_18offset_tEEE10hipError_tPvRmT1_PNSt15iterator_traitsISZ_E10value_typeET2_T3_PNS10_IS15_E10value_typeET4_jRbjT5_S1B_jjP12ihipStream_tbEUljE_EEESW_SX_SY_S15_S19_S1B_T6_T7_T9_mT8_S1D_bDpT10_ENKUlT_T0_E_clISt17integral_constantIbLb0EES1P_IbLb1EEEEDaS1L_S1M_EUlS1L_E_NS1_11comp_targetILNS1_3genE0ELNS1_11target_archE4294967295ELNS1_3gpuE0ELNS1_3repE0EEENS1_30default_config_static_selectorELNS0_4arch9wavefront6targetE1EEEvSZ_.has_dyn_sized_stack, 0
	.set _ZN7rocprim17ROCPRIM_400000_NS6detail17trampoline_kernelINS0_13select_configILj256ELj13ELNS0_17block_load_methodE3ELS4_3ELS4_3ELNS0_20block_scan_algorithmE0ELj4294967295EEENS1_25partition_config_selectorILNS1_17partition_subalgoE3EjNS0_10empty_typeEbEEZZNS1_14partition_implILS8_3ELb0ES6_jNS0_17counting_iteratorIjlEEPS9_SE_NS0_5tupleIJPjSE_EEENSF_IJSE_SE_EEES9_SG_JZNS1_25segmented_radix_sort_implINS0_14default_configELb1EPK12hip_bfloat16PSL_PKlPlN2at6native12_GLOBAL__N_18offset_tEEE10hipError_tPvRmT1_PNSt15iterator_traitsISZ_E10value_typeET2_T3_PNS10_IS15_E10value_typeET4_jRbjT5_S1B_jjP12ihipStream_tbEUljE_EEESW_SX_SY_S15_S19_S1B_T6_T7_T9_mT8_S1D_bDpT10_ENKUlT_T0_E_clISt17integral_constantIbLb0EES1P_IbLb1EEEEDaS1L_S1M_EUlS1L_E_NS1_11comp_targetILNS1_3genE0ELNS1_11target_archE4294967295ELNS1_3gpuE0ELNS1_3repE0EEENS1_30default_config_static_selectorELNS0_4arch9wavefront6targetE1EEEvSZ_.has_recursion, 0
	.set _ZN7rocprim17ROCPRIM_400000_NS6detail17trampoline_kernelINS0_13select_configILj256ELj13ELNS0_17block_load_methodE3ELS4_3ELS4_3ELNS0_20block_scan_algorithmE0ELj4294967295EEENS1_25partition_config_selectorILNS1_17partition_subalgoE3EjNS0_10empty_typeEbEEZZNS1_14partition_implILS8_3ELb0ES6_jNS0_17counting_iteratorIjlEEPS9_SE_NS0_5tupleIJPjSE_EEENSF_IJSE_SE_EEES9_SG_JZNS1_25segmented_radix_sort_implINS0_14default_configELb1EPK12hip_bfloat16PSL_PKlPlN2at6native12_GLOBAL__N_18offset_tEEE10hipError_tPvRmT1_PNSt15iterator_traitsISZ_E10value_typeET2_T3_PNS10_IS15_E10value_typeET4_jRbjT5_S1B_jjP12ihipStream_tbEUljE_EEESW_SX_SY_S15_S19_S1B_T6_T7_T9_mT8_S1D_bDpT10_ENKUlT_T0_E_clISt17integral_constantIbLb0EES1P_IbLb1EEEEDaS1L_S1M_EUlS1L_E_NS1_11comp_targetILNS1_3genE0ELNS1_11target_archE4294967295ELNS1_3gpuE0ELNS1_3repE0EEENS1_30default_config_static_selectorELNS0_4arch9wavefront6targetE1EEEvSZ_.has_indirect_call, 0
	.section	.AMDGPU.csdata,"",@progbits
; Kernel info:
; codeLenInByte = 0
; TotalNumSgprs: 4
; NumVgprs: 0
; ScratchSize: 0
; MemoryBound: 0
; FloatMode: 240
; IeeeMode: 1
; LDSByteSize: 0 bytes/workgroup (compile time only)
; SGPRBlocks: 0
; VGPRBlocks: 0
; NumSGPRsForWavesPerEU: 4
; NumVGPRsForWavesPerEU: 1
; Occupancy: 10
; WaveLimiterHint : 0
; COMPUTE_PGM_RSRC2:SCRATCH_EN: 0
; COMPUTE_PGM_RSRC2:USER_SGPR: 6
; COMPUTE_PGM_RSRC2:TRAP_HANDLER: 0
; COMPUTE_PGM_RSRC2:TGID_X_EN: 1
; COMPUTE_PGM_RSRC2:TGID_Y_EN: 0
; COMPUTE_PGM_RSRC2:TGID_Z_EN: 0
; COMPUTE_PGM_RSRC2:TIDIG_COMP_CNT: 0
	.section	.text._ZN7rocprim17ROCPRIM_400000_NS6detail17trampoline_kernelINS0_13select_configILj256ELj13ELNS0_17block_load_methodE3ELS4_3ELS4_3ELNS0_20block_scan_algorithmE0ELj4294967295EEENS1_25partition_config_selectorILNS1_17partition_subalgoE3EjNS0_10empty_typeEbEEZZNS1_14partition_implILS8_3ELb0ES6_jNS0_17counting_iteratorIjlEEPS9_SE_NS0_5tupleIJPjSE_EEENSF_IJSE_SE_EEES9_SG_JZNS1_25segmented_radix_sort_implINS0_14default_configELb1EPK12hip_bfloat16PSL_PKlPlN2at6native12_GLOBAL__N_18offset_tEEE10hipError_tPvRmT1_PNSt15iterator_traitsISZ_E10value_typeET2_T3_PNS10_IS15_E10value_typeET4_jRbjT5_S1B_jjP12ihipStream_tbEUljE_EEESW_SX_SY_S15_S19_S1B_T6_T7_T9_mT8_S1D_bDpT10_ENKUlT_T0_E_clISt17integral_constantIbLb0EES1P_IbLb1EEEEDaS1L_S1M_EUlS1L_E_NS1_11comp_targetILNS1_3genE5ELNS1_11target_archE942ELNS1_3gpuE9ELNS1_3repE0EEENS1_30default_config_static_selectorELNS0_4arch9wavefront6targetE1EEEvSZ_,"axG",@progbits,_ZN7rocprim17ROCPRIM_400000_NS6detail17trampoline_kernelINS0_13select_configILj256ELj13ELNS0_17block_load_methodE3ELS4_3ELS4_3ELNS0_20block_scan_algorithmE0ELj4294967295EEENS1_25partition_config_selectorILNS1_17partition_subalgoE3EjNS0_10empty_typeEbEEZZNS1_14partition_implILS8_3ELb0ES6_jNS0_17counting_iteratorIjlEEPS9_SE_NS0_5tupleIJPjSE_EEENSF_IJSE_SE_EEES9_SG_JZNS1_25segmented_radix_sort_implINS0_14default_configELb1EPK12hip_bfloat16PSL_PKlPlN2at6native12_GLOBAL__N_18offset_tEEE10hipError_tPvRmT1_PNSt15iterator_traitsISZ_E10value_typeET2_T3_PNS10_IS15_E10value_typeET4_jRbjT5_S1B_jjP12ihipStream_tbEUljE_EEESW_SX_SY_S15_S19_S1B_T6_T7_T9_mT8_S1D_bDpT10_ENKUlT_T0_E_clISt17integral_constantIbLb0EES1P_IbLb1EEEEDaS1L_S1M_EUlS1L_E_NS1_11comp_targetILNS1_3genE5ELNS1_11target_archE942ELNS1_3gpuE9ELNS1_3repE0EEENS1_30default_config_static_selectorELNS0_4arch9wavefront6targetE1EEEvSZ_,comdat
	.globl	_ZN7rocprim17ROCPRIM_400000_NS6detail17trampoline_kernelINS0_13select_configILj256ELj13ELNS0_17block_load_methodE3ELS4_3ELS4_3ELNS0_20block_scan_algorithmE0ELj4294967295EEENS1_25partition_config_selectorILNS1_17partition_subalgoE3EjNS0_10empty_typeEbEEZZNS1_14partition_implILS8_3ELb0ES6_jNS0_17counting_iteratorIjlEEPS9_SE_NS0_5tupleIJPjSE_EEENSF_IJSE_SE_EEES9_SG_JZNS1_25segmented_radix_sort_implINS0_14default_configELb1EPK12hip_bfloat16PSL_PKlPlN2at6native12_GLOBAL__N_18offset_tEEE10hipError_tPvRmT1_PNSt15iterator_traitsISZ_E10value_typeET2_T3_PNS10_IS15_E10value_typeET4_jRbjT5_S1B_jjP12ihipStream_tbEUljE_EEESW_SX_SY_S15_S19_S1B_T6_T7_T9_mT8_S1D_bDpT10_ENKUlT_T0_E_clISt17integral_constantIbLb0EES1P_IbLb1EEEEDaS1L_S1M_EUlS1L_E_NS1_11comp_targetILNS1_3genE5ELNS1_11target_archE942ELNS1_3gpuE9ELNS1_3repE0EEENS1_30default_config_static_selectorELNS0_4arch9wavefront6targetE1EEEvSZ_ ; -- Begin function _ZN7rocprim17ROCPRIM_400000_NS6detail17trampoline_kernelINS0_13select_configILj256ELj13ELNS0_17block_load_methodE3ELS4_3ELS4_3ELNS0_20block_scan_algorithmE0ELj4294967295EEENS1_25partition_config_selectorILNS1_17partition_subalgoE3EjNS0_10empty_typeEbEEZZNS1_14partition_implILS8_3ELb0ES6_jNS0_17counting_iteratorIjlEEPS9_SE_NS0_5tupleIJPjSE_EEENSF_IJSE_SE_EEES9_SG_JZNS1_25segmented_radix_sort_implINS0_14default_configELb1EPK12hip_bfloat16PSL_PKlPlN2at6native12_GLOBAL__N_18offset_tEEE10hipError_tPvRmT1_PNSt15iterator_traitsISZ_E10value_typeET2_T3_PNS10_IS15_E10value_typeET4_jRbjT5_S1B_jjP12ihipStream_tbEUljE_EEESW_SX_SY_S15_S19_S1B_T6_T7_T9_mT8_S1D_bDpT10_ENKUlT_T0_E_clISt17integral_constantIbLb0EES1P_IbLb1EEEEDaS1L_S1M_EUlS1L_E_NS1_11comp_targetILNS1_3genE5ELNS1_11target_archE942ELNS1_3gpuE9ELNS1_3repE0EEENS1_30default_config_static_selectorELNS0_4arch9wavefront6targetE1EEEvSZ_
	.p2align	8
	.type	_ZN7rocprim17ROCPRIM_400000_NS6detail17trampoline_kernelINS0_13select_configILj256ELj13ELNS0_17block_load_methodE3ELS4_3ELS4_3ELNS0_20block_scan_algorithmE0ELj4294967295EEENS1_25partition_config_selectorILNS1_17partition_subalgoE3EjNS0_10empty_typeEbEEZZNS1_14partition_implILS8_3ELb0ES6_jNS0_17counting_iteratorIjlEEPS9_SE_NS0_5tupleIJPjSE_EEENSF_IJSE_SE_EEES9_SG_JZNS1_25segmented_radix_sort_implINS0_14default_configELb1EPK12hip_bfloat16PSL_PKlPlN2at6native12_GLOBAL__N_18offset_tEEE10hipError_tPvRmT1_PNSt15iterator_traitsISZ_E10value_typeET2_T3_PNS10_IS15_E10value_typeET4_jRbjT5_S1B_jjP12ihipStream_tbEUljE_EEESW_SX_SY_S15_S19_S1B_T6_T7_T9_mT8_S1D_bDpT10_ENKUlT_T0_E_clISt17integral_constantIbLb0EES1P_IbLb1EEEEDaS1L_S1M_EUlS1L_E_NS1_11comp_targetILNS1_3genE5ELNS1_11target_archE942ELNS1_3gpuE9ELNS1_3repE0EEENS1_30default_config_static_selectorELNS0_4arch9wavefront6targetE1EEEvSZ_,@function
_ZN7rocprim17ROCPRIM_400000_NS6detail17trampoline_kernelINS0_13select_configILj256ELj13ELNS0_17block_load_methodE3ELS4_3ELS4_3ELNS0_20block_scan_algorithmE0ELj4294967295EEENS1_25partition_config_selectorILNS1_17partition_subalgoE3EjNS0_10empty_typeEbEEZZNS1_14partition_implILS8_3ELb0ES6_jNS0_17counting_iteratorIjlEEPS9_SE_NS0_5tupleIJPjSE_EEENSF_IJSE_SE_EEES9_SG_JZNS1_25segmented_radix_sort_implINS0_14default_configELb1EPK12hip_bfloat16PSL_PKlPlN2at6native12_GLOBAL__N_18offset_tEEE10hipError_tPvRmT1_PNSt15iterator_traitsISZ_E10value_typeET2_T3_PNS10_IS15_E10value_typeET4_jRbjT5_S1B_jjP12ihipStream_tbEUljE_EEESW_SX_SY_S15_S19_S1B_T6_T7_T9_mT8_S1D_bDpT10_ENKUlT_T0_E_clISt17integral_constantIbLb0EES1P_IbLb1EEEEDaS1L_S1M_EUlS1L_E_NS1_11comp_targetILNS1_3genE5ELNS1_11target_archE942ELNS1_3gpuE9ELNS1_3repE0EEENS1_30default_config_static_selectorELNS0_4arch9wavefront6targetE1EEEvSZ_: ; @_ZN7rocprim17ROCPRIM_400000_NS6detail17trampoline_kernelINS0_13select_configILj256ELj13ELNS0_17block_load_methodE3ELS4_3ELS4_3ELNS0_20block_scan_algorithmE0ELj4294967295EEENS1_25partition_config_selectorILNS1_17partition_subalgoE3EjNS0_10empty_typeEbEEZZNS1_14partition_implILS8_3ELb0ES6_jNS0_17counting_iteratorIjlEEPS9_SE_NS0_5tupleIJPjSE_EEENSF_IJSE_SE_EEES9_SG_JZNS1_25segmented_radix_sort_implINS0_14default_configELb1EPK12hip_bfloat16PSL_PKlPlN2at6native12_GLOBAL__N_18offset_tEEE10hipError_tPvRmT1_PNSt15iterator_traitsISZ_E10value_typeET2_T3_PNS10_IS15_E10value_typeET4_jRbjT5_S1B_jjP12ihipStream_tbEUljE_EEESW_SX_SY_S15_S19_S1B_T6_T7_T9_mT8_S1D_bDpT10_ENKUlT_T0_E_clISt17integral_constantIbLb0EES1P_IbLb1EEEEDaS1L_S1M_EUlS1L_E_NS1_11comp_targetILNS1_3genE5ELNS1_11target_archE942ELNS1_3gpuE9ELNS1_3repE0EEENS1_30default_config_static_selectorELNS0_4arch9wavefront6targetE1EEEvSZ_
; %bb.0:
	.section	.rodata,"a",@progbits
	.p2align	6, 0x0
	.amdhsa_kernel _ZN7rocprim17ROCPRIM_400000_NS6detail17trampoline_kernelINS0_13select_configILj256ELj13ELNS0_17block_load_methodE3ELS4_3ELS4_3ELNS0_20block_scan_algorithmE0ELj4294967295EEENS1_25partition_config_selectorILNS1_17partition_subalgoE3EjNS0_10empty_typeEbEEZZNS1_14partition_implILS8_3ELb0ES6_jNS0_17counting_iteratorIjlEEPS9_SE_NS0_5tupleIJPjSE_EEENSF_IJSE_SE_EEES9_SG_JZNS1_25segmented_radix_sort_implINS0_14default_configELb1EPK12hip_bfloat16PSL_PKlPlN2at6native12_GLOBAL__N_18offset_tEEE10hipError_tPvRmT1_PNSt15iterator_traitsISZ_E10value_typeET2_T3_PNS10_IS15_E10value_typeET4_jRbjT5_S1B_jjP12ihipStream_tbEUljE_EEESW_SX_SY_S15_S19_S1B_T6_T7_T9_mT8_S1D_bDpT10_ENKUlT_T0_E_clISt17integral_constantIbLb0EES1P_IbLb1EEEEDaS1L_S1M_EUlS1L_E_NS1_11comp_targetILNS1_3genE5ELNS1_11target_archE942ELNS1_3gpuE9ELNS1_3repE0EEENS1_30default_config_static_selectorELNS0_4arch9wavefront6targetE1EEEvSZ_
		.amdhsa_group_segment_fixed_size 0
		.amdhsa_private_segment_fixed_size 0
		.amdhsa_kernarg_size 152
		.amdhsa_user_sgpr_count 6
		.amdhsa_user_sgpr_private_segment_buffer 1
		.amdhsa_user_sgpr_dispatch_ptr 0
		.amdhsa_user_sgpr_queue_ptr 0
		.amdhsa_user_sgpr_kernarg_segment_ptr 1
		.amdhsa_user_sgpr_dispatch_id 0
		.amdhsa_user_sgpr_flat_scratch_init 0
		.amdhsa_user_sgpr_private_segment_size 0
		.amdhsa_uses_dynamic_stack 0
		.amdhsa_system_sgpr_private_segment_wavefront_offset 0
		.amdhsa_system_sgpr_workgroup_id_x 1
		.amdhsa_system_sgpr_workgroup_id_y 0
		.amdhsa_system_sgpr_workgroup_id_z 0
		.amdhsa_system_sgpr_workgroup_info 0
		.amdhsa_system_vgpr_workitem_id 0
		.amdhsa_next_free_vgpr 1
		.amdhsa_next_free_sgpr 0
		.amdhsa_reserve_vcc 0
		.amdhsa_reserve_flat_scratch 0
		.amdhsa_float_round_mode_32 0
		.amdhsa_float_round_mode_16_64 0
		.amdhsa_float_denorm_mode_32 3
		.amdhsa_float_denorm_mode_16_64 3
		.amdhsa_dx10_clamp 1
		.amdhsa_ieee_mode 1
		.amdhsa_fp16_overflow 0
		.amdhsa_exception_fp_ieee_invalid_op 0
		.amdhsa_exception_fp_denorm_src 0
		.amdhsa_exception_fp_ieee_div_zero 0
		.amdhsa_exception_fp_ieee_overflow 0
		.amdhsa_exception_fp_ieee_underflow 0
		.amdhsa_exception_fp_ieee_inexact 0
		.amdhsa_exception_int_div_zero 0
	.end_amdhsa_kernel
	.section	.text._ZN7rocprim17ROCPRIM_400000_NS6detail17trampoline_kernelINS0_13select_configILj256ELj13ELNS0_17block_load_methodE3ELS4_3ELS4_3ELNS0_20block_scan_algorithmE0ELj4294967295EEENS1_25partition_config_selectorILNS1_17partition_subalgoE3EjNS0_10empty_typeEbEEZZNS1_14partition_implILS8_3ELb0ES6_jNS0_17counting_iteratorIjlEEPS9_SE_NS0_5tupleIJPjSE_EEENSF_IJSE_SE_EEES9_SG_JZNS1_25segmented_radix_sort_implINS0_14default_configELb1EPK12hip_bfloat16PSL_PKlPlN2at6native12_GLOBAL__N_18offset_tEEE10hipError_tPvRmT1_PNSt15iterator_traitsISZ_E10value_typeET2_T3_PNS10_IS15_E10value_typeET4_jRbjT5_S1B_jjP12ihipStream_tbEUljE_EEESW_SX_SY_S15_S19_S1B_T6_T7_T9_mT8_S1D_bDpT10_ENKUlT_T0_E_clISt17integral_constantIbLb0EES1P_IbLb1EEEEDaS1L_S1M_EUlS1L_E_NS1_11comp_targetILNS1_3genE5ELNS1_11target_archE942ELNS1_3gpuE9ELNS1_3repE0EEENS1_30default_config_static_selectorELNS0_4arch9wavefront6targetE1EEEvSZ_,"axG",@progbits,_ZN7rocprim17ROCPRIM_400000_NS6detail17trampoline_kernelINS0_13select_configILj256ELj13ELNS0_17block_load_methodE3ELS4_3ELS4_3ELNS0_20block_scan_algorithmE0ELj4294967295EEENS1_25partition_config_selectorILNS1_17partition_subalgoE3EjNS0_10empty_typeEbEEZZNS1_14partition_implILS8_3ELb0ES6_jNS0_17counting_iteratorIjlEEPS9_SE_NS0_5tupleIJPjSE_EEENSF_IJSE_SE_EEES9_SG_JZNS1_25segmented_radix_sort_implINS0_14default_configELb1EPK12hip_bfloat16PSL_PKlPlN2at6native12_GLOBAL__N_18offset_tEEE10hipError_tPvRmT1_PNSt15iterator_traitsISZ_E10value_typeET2_T3_PNS10_IS15_E10value_typeET4_jRbjT5_S1B_jjP12ihipStream_tbEUljE_EEESW_SX_SY_S15_S19_S1B_T6_T7_T9_mT8_S1D_bDpT10_ENKUlT_T0_E_clISt17integral_constantIbLb0EES1P_IbLb1EEEEDaS1L_S1M_EUlS1L_E_NS1_11comp_targetILNS1_3genE5ELNS1_11target_archE942ELNS1_3gpuE9ELNS1_3repE0EEENS1_30default_config_static_selectorELNS0_4arch9wavefront6targetE1EEEvSZ_,comdat
.Lfunc_end1939:
	.size	_ZN7rocprim17ROCPRIM_400000_NS6detail17trampoline_kernelINS0_13select_configILj256ELj13ELNS0_17block_load_methodE3ELS4_3ELS4_3ELNS0_20block_scan_algorithmE0ELj4294967295EEENS1_25partition_config_selectorILNS1_17partition_subalgoE3EjNS0_10empty_typeEbEEZZNS1_14partition_implILS8_3ELb0ES6_jNS0_17counting_iteratorIjlEEPS9_SE_NS0_5tupleIJPjSE_EEENSF_IJSE_SE_EEES9_SG_JZNS1_25segmented_radix_sort_implINS0_14default_configELb1EPK12hip_bfloat16PSL_PKlPlN2at6native12_GLOBAL__N_18offset_tEEE10hipError_tPvRmT1_PNSt15iterator_traitsISZ_E10value_typeET2_T3_PNS10_IS15_E10value_typeET4_jRbjT5_S1B_jjP12ihipStream_tbEUljE_EEESW_SX_SY_S15_S19_S1B_T6_T7_T9_mT8_S1D_bDpT10_ENKUlT_T0_E_clISt17integral_constantIbLb0EES1P_IbLb1EEEEDaS1L_S1M_EUlS1L_E_NS1_11comp_targetILNS1_3genE5ELNS1_11target_archE942ELNS1_3gpuE9ELNS1_3repE0EEENS1_30default_config_static_selectorELNS0_4arch9wavefront6targetE1EEEvSZ_, .Lfunc_end1939-_ZN7rocprim17ROCPRIM_400000_NS6detail17trampoline_kernelINS0_13select_configILj256ELj13ELNS0_17block_load_methodE3ELS4_3ELS4_3ELNS0_20block_scan_algorithmE0ELj4294967295EEENS1_25partition_config_selectorILNS1_17partition_subalgoE3EjNS0_10empty_typeEbEEZZNS1_14partition_implILS8_3ELb0ES6_jNS0_17counting_iteratorIjlEEPS9_SE_NS0_5tupleIJPjSE_EEENSF_IJSE_SE_EEES9_SG_JZNS1_25segmented_radix_sort_implINS0_14default_configELb1EPK12hip_bfloat16PSL_PKlPlN2at6native12_GLOBAL__N_18offset_tEEE10hipError_tPvRmT1_PNSt15iterator_traitsISZ_E10value_typeET2_T3_PNS10_IS15_E10value_typeET4_jRbjT5_S1B_jjP12ihipStream_tbEUljE_EEESW_SX_SY_S15_S19_S1B_T6_T7_T9_mT8_S1D_bDpT10_ENKUlT_T0_E_clISt17integral_constantIbLb0EES1P_IbLb1EEEEDaS1L_S1M_EUlS1L_E_NS1_11comp_targetILNS1_3genE5ELNS1_11target_archE942ELNS1_3gpuE9ELNS1_3repE0EEENS1_30default_config_static_selectorELNS0_4arch9wavefront6targetE1EEEvSZ_
                                        ; -- End function
	.set _ZN7rocprim17ROCPRIM_400000_NS6detail17trampoline_kernelINS0_13select_configILj256ELj13ELNS0_17block_load_methodE3ELS4_3ELS4_3ELNS0_20block_scan_algorithmE0ELj4294967295EEENS1_25partition_config_selectorILNS1_17partition_subalgoE3EjNS0_10empty_typeEbEEZZNS1_14partition_implILS8_3ELb0ES6_jNS0_17counting_iteratorIjlEEPS9_SE_NS0_5tupleIJPjSE_EEENSF_IJSE_SE_EEES9_SG_JZNS1_25segmented_radix_sort_implINS0_14default_configELb1EPK12hip_bfloat16PSL_PKlPlN2at6native12_GLOBAL__N_18offset_tEEE10hipError_tPvRmT1_PNSt15iterator_traitsISZ_E10value_typeET2_T3_PNS10_IS15_E10value_typeET4_jRbjT5_S1B_jjP12ihipStream_tbEUljE_EEESW_SX_SY_S15_S19_S1B_T6_T7_T9_mT8_S1D_bDpT10_ENKUlT_T0_E_clISt17integral_constantIbLb0EES1P_IbLb1EEEEDaS1L_S1M_EUlS1L_E_NS1_11comp_targetILNS1_3genE5ELNS1_11target_archE942ELNS1_3gpuE9ELNS1_3repE0EEENS1_30default_config_static_selectorELNS0_4arch9wavefront6targetE1EEEvSZ_.num_vgpr, 0
	.set _ZN7rocprim17ROCPRIM_400000_NS6detail17trampoline_kernelINS0_13select_configILj256ELj13ELNS0_17block_load_methodE3ELS4_3ELS4_3ELNS0_20block_scan_algorithmE0ELj4294967295EEENS1_25partition_config_selectorILNS1_17partition_subalgoE3EjNS0_10empty_typeEbEEZZNS1_14partition_implILS8_3ELb0ES6_jNS0_17counting_iteratorIjlEEPS9_SE_NS0_5tupleIJPjSE_EEENSF_IJSE_SE_EEES9_SG_JZNS1_25segmented_radix_sort_implINS0_14default_configELb1EPK12hip_bfloat16PSL_PKlPlN2at6native12_GLOBAL__N_18offset_tEEE10hipError_tPvRmT1_PNSt15iterator_traitsISZ_E10value_typeET2_T3_PNS10_IS15_E10value_typeET4_jRbjT5_S1B_jjP12ihipStream_tbEUljE_EEESW_SX_SY_S15_S19_S1B_T6_T7_T9_mT8_S1D_bDpT10_ENKUlT_T0_E_clISt17integral_constantIbLb0EES1P_IbLb1EEEEDaS1L_S1M_EUlS1L_E_NS1_11comp_targetILNS1_3genE5ELNS1_11target_archE942ELNS1_3gpuE9ELNS1_3repE0EEENS1_30default_config_static_selectorELNS0_4arch9wavefront6targetE1EEEvSZ_.num_agpr, 0
	.set _ZN7rocprim17ROCPRIM_400000_NS6detail17trampoline_kernelINS0_13select_configILj256ELj13ELNS0_17block_load_methodE3ELS4_3ELS4_3ELNS0_20block_scan_algorithmE0ELj4294967295EEENS1_25partition_config_selectorILNS1_17partition_subalgoE3EjNS0_10empty_typeEbEEZZNS1_14partition_implILS8_3ELb0ES6_jNS0_17counting_iteratorIjlEEPS9_SE_NS0_5tupleIJPjSE_EEENSF_IJSE_SE_EEES9_SG_JZNS1_25segmented_radix_sort_implINS0_14default_configELb1EPK12hip_bfloat16PSL_PKlPlN2at6native12_GLOBAL__N_18offset_tEEE10hipError_tPvRmT1_PNSt15iterator_traitsISZ_E10value_typeET2_T3_PNS10_IS15_E10value_typeET4_jRbjT5_S1B_jjP12ihipStream_tbEUljE_EEESW_SX_SY_S15_S19_S1B_T6_T7_T9_mT8_S1D_bDpT10_ENKUlT_T0_E_clISt17integral_constantIbLb0EES1P_IbLb1EEEEDaS1L_S1M_EUlS1L_E_NS1_11comp_targetILNS1_3genE5ELNS1_11target_archE942ELNS1_3gpuE9ELNS1_3repE0EEENS1_30default_config_static_selectorELNS0_4arch9wavefront6targetE1EEEvSZ_.numbered_sgpr, 0
	.set _ZN7rocprim17ROCPRIM_400000_NS6detail17trampoline_kernelINS0_13select_configILj256ELj13ELNS0_17block_load_methodE3ELS4_3ELS4_3ELNS0_20block_scan_algorithmE0ELj4294967295EEENS1_25partition_config_selectorILNS1_17partition_subalgoE3EjNS0_10empty_typeEbEEZZNS1_14partition_implILS8_3ELb0ES6_jNS0_17counting_iteratorIjlEEPS9_SE_NS0_5tupleIJPjSE_EEENSF_IJSE_SE_EEES9_SG_JZNS1_25segmented_radix_sort_implINS0_14default_configELb1EPK12hip_bfloat16PSL_PKlPlN2at6native12_GLOBAL__N_18offset_tEEE10hipError_tPvRmT1_PNSt15iterator_traitsISZ_E10value_typeET2_T3_PNS10_IS15_E10value_typeET4_jRbjT5_S1B_jjP12ihipStream_tbEUljE_EEESW_SX_SY_S15_S19_S1B_T6_T7_T9_mT8_S1D_bDpT10_ENKUlT_T0_E_clISt17integral_constantIbLb0EES1P_IbLb1EEEEDaS1L_S1M_EUlS1L_E_NS1_11comp_targetILNS1_3genE5ELNS1_11target_archE942ELNS1_3gpuE9ELNS1_3repE0EEENS1_30default_config_static_selectorELNS0_4arch9wavefront6targetE1EEEvSZ_.num_named_barrier, 0
	.set _ZN7rocprim17ROCPRIM_400000_NS6detail17trampoline_kernelINS0_13select_configILj256ELj13ELNS0_17block_load_methodE3ELS4_3ELS4_3ELNS0_20block_scan_algorithmE0ELj4294967295EEENS1_25partition_config_selectorILNS1_17partition_subalgoE3EjNS0_10empty_typeEbEEZZNS1_14partition_implILS8_3ELb0ES6_jNS0_17counting_iteratorIjlEEPS9_SE_NS0_5tupleIJPjSE_EEENSF_IJSE_SE_EEES9_SG_JZNS1_25segmented_radix_sort_implINS0_14default_configELb1EPK12hip_bfloat16PSL_PKlPlN2at6native12_GLOBAL__N_18offset_tEEE10hipError_tPvRmT1_PNSt15iterator_traitsISZ_E10value_typeET2_T3_PNS10_IS15_E10value_typeET4_jRbjT5_S1B_jjP12ihipStream_tbEUljE_EEESW_SX_SY_S15_S19_S1B_T6_T7_T9_mT8_S1D_bDpT10_ENKUlT_T0_E_clISt17integral_constantIbLb0EES1P_IbLb1EEEEDaS1L_S1M_EUlS1L_E_NS1_11comp_targetILNS1_3genE5ELNS1_11target_archE942ELNS1_3gpuE9ELNS1_3repE0EEENS1_30default_config_static_selectorELNS0_4arch9wavefront6targetE1EEEvSZ_.private_seg_size, 0
	.set _ZN7rocprim17ROCPRIM_400000_NS6detail17trampoline_kernelINS0_13select_configILj256ELj13ELNS0_17block_load_methodE3ELS4_3ELS4_3ELNS0_20block_scan_algorithmE0ELj4294967295EEENS1_25partition_config_selectorILNS1_17partition_subalgoE3EjNS0_10empty_typeEbEEZZNS1_14partition_implILS8_3ELb0ES6_jNS0_17counting_iteratorIjlEEPS9_SE_NS0_5tupleIJPjSE_EEENSF_IJSE_SE_EEES9_SG_JZNS1_25segmented_radix_sort_implINS0_14default_configELb1EPK12hip_bfloat16PSL_PKlPlN2at6native12_GLOBAL__N_18offset_tEEE10hipError_tPvRmT1_PNSt15iterator_traitsISZ_E10value_typeET2_T3_PNS10_IS15_E10value_typeET4_jRbjT5_S1B_jjP12ihipStream_tbEUljE_EEESW_SX_SY_S15_S19_S1B_T6_T7_T9_mT8_S1D_bDpT10_ENKUlT_T0_E_clISt17integral_constantIbLb0EES1P_IbLb1EEEEDaS1L_S1M_EUlS1L_E_NS1_11comp_targetILNS1_3genE5ELNS1_11target_archE942ELNS1_3gpuE9ELNS1_3repE0EEENS1_30default_config_static_selectorELNS0_4arch9wavefront6targetE1EEEvSZ_.uses_vcc, 0
	.set _ZN7rocprim17ROCPRIM_400000_NS6detail17trampoline_kernelINS0_13select_configILj256ELj13ELNS0_17block_load_methodE3ELS4_3ELS4_3ELNS0_20block_scan_algorithmE0ELj4294967295EEENS1_25partition_config_selectorILNS1_17partition_subalgoE3EjNS0_10empty_typeEbEEZZNS1_14partition_implILS8_3ELb0ES6_jNS0_17counting_iteratorIjlEEPS9_SE_NS0_5tupleIJPjSE_EEENSF_IJSE_SE_EEES9_SG_JZNS1_25segmented_radix_sort_implINS0_14default_configELb1EPK12hip_bfloat16PSL_PKlPlN2at6native12_GLOBAL__N_18offset_tEEE10hipError_tPvRmT1_PNSt15iterator_traitsISZ_E10value_typeET2_T3_PNS10_IS15_E10value_typeET4_jRbjT5_S1B_jjP12ihipStream_tbEUljE_EEESW_SX_SY_S15_S19_S1B_T6_T7_T9_mT8_S1D_bDpT10_ENKUlT_T0_E_clISt17integral_constantIbLb0EES1P_IbLb1EEEEDaS1L_S1M_EUlS1L_E_NS1_11comp_targetILNS1_3genE5ELNS1_11target_archE942ELNS1_3gpuE9ELNS1_3repE0EEENS1_30default_config_static_selectorELNS0_4arch9wavefront6targetE1EEEvSZ_.uses_flat_scratch, 0
	.set _ZN7rocprim17ROCPRIM_400000_NS6detail17trampoline_kernelINS0_13select_configILj256ELj13ELNS0_17block_load_methodE3ELS4_3ELS4_3ELNS0_20block_scan_algorithmE0ELj4294967295EEENS1_25partition_config_selectorILNS1_17partition_subalgoE3EjNS0_10empty_typeEbEEZZNS1_14partition_implILS8_3ELb0ES6_jNS0_17counting_iteratorIjlEEPS9_SE_NS0_5tupleIJPjSE_EEENSF_IJSE_SE_EEES9_SG_JZNS1_25segmented_radix_sort_implINS0_14default_configELb1EPK12hip_bfloat16PSL_PKlPlN2at6native12_GLOBAL__N_18offset_tEEE10hipError_tPvRmT1_PNSt15iterator_traitsISZ_E10value_typeET2_T3_PNS10_IS15_E10value_typeET4_jRbjT5_S1B_jjP12ihipStream_tbEUljE_EEESW_SX_SY_S15_S19_S1B_T6_T7_T9_mT8_S1D_bDpT10_ENKUlT_T0_E_clISt17integral_constantIbLb0EES1P_IbLb1EEEEDaS1L_S1M_EUlS1L_E_NS1_11comp_targetILNS1_3genE5ELNS1_11target_archE942ELNS1_3gpuE9ELNS1_3repE0EEENS1_30default_config_static_selectorELNS0_4arch9wavefront6targetE1EEEvSZ_.has_dyn_sized_stack, 0
	.set _ZN7rocprim17ROCPRIM_400000_NS6detail17trampoline_kernelINS0_13select_configILj256ELj13ELNS0_17block_load_methodE3ELS4_3ELS4_3ELNS0_20block_scan_algorithmE0ELj4294967295EEENS1_25partition_config_selectorILNS1_17partition_subalgoE3EjNS0_10empty_typeEbEEZZNS1_14partition_implILS8_3ELb0ES6_jNS0_17counting_iteratorIjlEEPS9_SE_NS0_5tupleIJPjSE_EEENSF_IJSE_SE_EEES9_SG_JZNS1_25segmented_radix_sort_implINS0_14default_configELb1EPK12hip_bfloat16PSL_PKlPlN2at6native12_GLOBAL__N_18offset_tEEE10hipError_tPvRmT1_PNSt15iterator_traitsISZ_E10value_typeET2_T3_PNS10_IS15_E10value_typeET4_jRbjT5_S1B_jjP12ihipStream_tbEUljE_EEESW_SX_SY_S15_S19_S1B_T6_T7_T9_mT8_S1D_bDpT10_ENKUlT_T0_E_clISt17integral_constantIbLb0EES1P_IbLb1EEEEDaS1L_S1M_EUlS1L_E_NS1_11comp_targetILNS1_3genE5ELNS1_11target_archE942ELNS1_3gpuE9ELNS1_3repE0EEENS1_30default_config_static_selectorELNS0_4arch9wavefront6targetE1EEEvSZ_.has_recursion, 0
	.set _ZN7rocprim17ROCPRIM_400000_NS6detail17trampoline_kernelINS0_13select_configILj256ELj13ELNS0_17block_load_methodE3ELS4_3ELS4_3ELNS0_20block_scan_algorithmE0ELj4294967295EEENS1_25partition_config_selectorILNS1_17partition_subalgoE3EjNS0_10empty_typeEbEEZZNS1_14partition_implILS8_3ELb0ES6_jNS0_17counting_iteratorIjlEEPS9_SE_NS0_5tupleIJPjSE_EEENSF_IJSE_SE_EEES9_SG_JZNS1_25segmented_radix_sort_implINS0_14default_configELb1EPK12hip_bfloat16PSL_PKlPlN2at6native12_GLOBAL__N_18offset_tEEE10hipError_tPvRmT1_PNSt15iterator_traitsISZ_E10value_typeET2_T3_PNS10_IS15_E10value_typeET4_jRbjT5_S1B_jjP12ihipStream_tbEUljE_EEESW_SX_SY_S15_S19_S1B_T6_T7_T9_mT8_S1D_bDpT10_ENKUlT_T0_E_clISt17integral_constantIbLb0EES1P_IbLb1EEEEDaS1L_S1M_EUlS1L_E_NS1_11comp_targetILNS1_3genE5ELNS1_11target_archE942ELNS1_3gpuE9ELNS1_3repE0EEENS1_30default_config_static_selectorELNS0_4arch9wavefront6targetE1EEEvSZ_.has_indirect_call, 0
	.section	.AMDGPU.csdata,"",@progbits
; Kernel info:
; codeLenInByte = 0
; TotalNumSgprs: 4
; NumVgprs: 0
; ScratchSize: 0
; MemoryBound: 0
; FloatMode: 240
; IeeeMode: 1
; LDSByteSize: 0 bytes/workgroup (compile time only)
; SGPRBlocks: 0
; VGPRBlocks: 0
; NumSGPRsForWavesPerEU: 4
; NumVGPRsForWavesPerEU: 1
; Occupancy: 10
; WaveLimiterHint : 0
; COMPUTE_PGM_RSRC2:SCRATCH_EN: 0
; COMPUTE_PGM_RSRC2:USER_SGPR: 6
; COMPUTE_PGM_RSRC2:TRAP_HANDLER: 0
; COMPUTE_PGM_RSRC2:TGID_X_EN: 1
; COMPUTE_PGM_RSRC2:TGID_Y_EN: 0
; COMPUTE_PGM_RSRC2:TGID_Z_EN: 0
; COMPUTE_PGM_RSRC2:TIDIG_COMP_CNT: 0
	.section	.text._ZN7rocprim17ROCPRIM_400000_NS6detail17trampoline_kernelINS0_13select_configILj256ELj13ELNS0_17block_load_methodE3ELS4_3ELS4_3ELNS0_20block_scan_algorithmE0ELj4294967295EEENS1_25partition_config_selectorILNS1_17partition_subalgoE3EjNS0_10empty_typeEbEEZZNS1_14partition_implILS8_3ELb0ES6_jNS0_17counting_iteratorIjlEEPS9_SE_NS0_5tupleIJPjSE_EEENSF_IJSE_SE_EEES9_SG_JZNS1_25segmented_radix_sort_implINS0_14default_configELb1EPK12hip_bfloat16PSL_PKlPlN2at6native12_GLOBAL__N_18offset_tEEE10hipError_tPvRmT1_PNSt15iterator_traitsISZ_E10value_typeET2_T3_PNS10_IS15_E10value_typeET4_jRbjT5_S1B_jjP12ihipStream_tbEUljE_EEESW_SX_SY_S15_S19_S1B_T6_T7_T9_mT8_S1D_bDpT10_ENKUlT_T0_E_clISt17integral_constantIbLb0EES1P_IbLb1EEEEDaS1L_S1M_EUlS1L_E_NS1_11comp_targetILNS1_3genE4ELNS1_11target_archE910ELNS1_3gpuE8ELNS1_3repE0EEENS1_30default_config_static_selectorELNS0_4arch9wavefront6targetE1EEEvSZ_,"axG",@progbits,_ZN7rocprim17ROCPRIM_400000_NS6detail17trampoline_kernelINS0_13select_configILj256ELj13ELNS0_17block_load_methodE3ELS4_3ELS4_3ELNS0_20block_scan_algorithmE0ELj4294967295EEENS1_25partition_config_selectorILNS1_17partition_subalgoE3EjNS0_10empty_typeEbEEZZNS1_14partition_implILS8_3ELb0ES6_jNS0_17counting_iteratorIjlEEPS9_SE_NS0_5tupleIJPjSE_EEENSF_IJSE_SE_EEES9_SG_JZNS1_25segmented_radix_sort_implINS0_14default_configELb1EPK12hip_bfloat16PSL_PKlPlN2at6native12_GLOBAL__N_18offset_tEEE10hipError_tPvRmT1_PNSt15iterator_traitsISZ_E10value_typeET2_T3_PNS10_IS15_E10value_typeET4_jRbjT5_S1B_jjP12ihipStream_tbEUljE_EEESW_SX_SY_S15_S19_S1B_T6_T7_T9_mT8_S1D_bDpT10_ENKUlT_T0_E_clISt17integral_constantIbLb0EES1P_IbLb1EEEEDaS1L_S1M_EUlS1L_E_NS1_11comp_targetILNS1_3genE4ELNS1_11target_archE910ELNS1_3gpuE8ELNS1_3repE0EEENS1_30default_config_static_selectorELNS0_4arch9wavefront6targetE1EEEvSZ_,comdat
	.globl	_ZN7rocprim17ROCPRIM_400000_NS6detail17trampoline_kernelINS0_13select_configILj256ELj13ELNS0_17block_load_methodE3ELS4_3ELS4_3ELNS0_20block_scan_algorithmE0ELj4294967295EEENS1_25partition_config_selectorILNS1_17partition_subalgoE3EjNS0_10empty_typeEbEEZZNS1_14partition_implILS8_3ELb0ES6_jNS0_17counting_iteratorIjlEEPS9_SE_NS0_5tupleIJPjSE_EEENSF_IJSE_SE_EEES9_SG_JZNS1_25segmented_radix_sort_implINS0_14default_configELb1EPK12hip_bfloat16PSL_PKlPlN2at6native12_GLOBAL__N_18offset_tEEE10hipError_tPvRmT1_PNSt15iterator_traitsISZ_E10value_typeET2_T3_PNS10_IS15_E10value_typeET4_jRbjT5_S1B_jjP12ihipStream_tbEUljE_EEESW_SX_SY_S15_S19_S1B_T6_T7_T9_mT8_S1D_bDpT10_ENKUlT_T0_E_clISt17integral_constantIbLb0EES1P_IbLb1EEEEDaS1L_S1M_EUlS1L_E_NS1_11comp_targetILNS1_3genE4ELNS1_11target_archE910ELNS1_3gpuE8ELNS1_3repE0EEENS1_30default_config_static_selectorELNS0_4arch9wavefront6targetE1EEEvSZ_ ; -- Begin function _ZN7rocprim17ROCPRIM_400000_NS6detail17trampoline_kernelINS0_13select_configILj256ELj13ELNS0_17block_load_methodE3ELS4_3ELS4_3ELNS0_20block_scan_algorithmE0ELj4294967295EEENS1_25partition_config_selectorILNS1_17partition_subalgoE3EjNS0_10empty_typeEbEEZZNS1_14partition_implILS8_3ELb0ES6_jNS0_17counting_iteratorIjlEEPS9_SE_NS0_5tupleIJPjSE_EEENSF_IJSE_SE_EEES9_SG_JZNS1_25segmented_radix_sort_implINS0_14default_configELb1EPK12hip_bfloat16PSL_PKlPlN2at6native12_GLOBAL__N_18offset_tEEE10hipError_tPvRmT1_PNSt15iterator_traitsISZ_E10value_typeET2_T3_PNS10_IS15_E10value_typeET4_jRbjT5_S1B_jjP12ihipStream_tbEUljE_EEESW_SX_SY_S15_S19_S1B_T6_T7_T9_mT8_S1D_bDpT10_ENKUlT_T0_E_clISt17integral_constantIbLb0EES1P_IbLb1EEEEDaS1L_S1M_EUlS1L_E_NS1_11comp_targetILNS1_3genE4ELNS1_11target_archE910ELNS1_3gpuE8ELNS1_3repE0EEENS1_30default_config_static_selectorELNS0_4arch9wavefront6targetE1EEEvSZ_
	.p2align	8
	.type	_ZN7rocprim17ROCPRIM_400000_NS6detail17trampoline_kernelINS0_13select_configILj256ELj13ELNS0_17block_load_methodE3ELS4_3ELS4_3ELNS0_20block_scan_algorithmE0ELj4294967295EEENS1_25partition_config_selectorILNS1_17partition_subalgoE3EjNS0_10empty_typeEbEEZZNS1_14partition_implILS8_3ELb0ES6_jNS0_17counting_iteratorIjlEEPS9_SE_NS0_5tupleIJPjSE_EEENSF_IJSE_SE_EEES9_SG_JZNS1_25segmented_radix_sort_implINS0_14default_configELb1EPK12hip_bfloat16PSL_PKlPlN2at6native12_GLOBAL__N_18offset_tEEE10hipError_tPvRmT1_PNSt15iterator_traitsISZ_E10value_typeET2_T3_PNS10_IS15_E10value_typeET4_jRbjT5_S1B_jjP12ihipStream_tbEUljE_EEESW_SX_SY_S15_S19_S1B_T6_T7_T9_mT8_S1D_bDpT10_ENKUlT_T0_E_clISt17integral_constantIbLb0EES1P_IbLb1EEEEDaS1L_S1M_EUlS1L_E_NS1_11comp_targetILNS1_3genE4ELNS1_11target_archE910ELNS1_3gpuE8ELNS1_3repE0EEENS1_30default_config_static_selectorELNS0_4arch9wavefront6targetE1EEEvSZ_,@function
_ZN7rocprim17ROCPRIM_400000_NS6detail17trampoline_kernelINS0_13select_configILj256ELj13ELNS0_17block_load_methodE3ELS4_3ELS4_3ELNS0_20block_scan_algorithmE0ELj4294967295EEENS1_25partition_config_selectorILNS1_17partition_subalgoE3EjNS0_10empty_typeEbEEZZNS1_14partition_implILS8_3ELb0ES6_jNS0_17counting_iteratorIjlEEPS9_SE_NS0_5tupleIJPjSE_EEENSF_IJSE_SE_EEES9_SG_JZNS1_25segmented_radix_sort_implINS0_14default_configELb1EPK12hip_bfloat16PSL_PKlPlN2at6native12_GLOBAL__N_18offset_tEEE10hipError_tPvRmT1_PNSt15iterator_traitsISZ_E10value_typeET2_T3_PNS10_IS15_E10value_typeET4_jRbjT5_S1B_jjP12ihipStream_tbEUljE_EEESW_SX_SY_S15_S19_S1B_T6_T7_T9_mT8_S1D_bDpT10_ENKUlT_T0_E_clISt17integral_constantIbLb0EES1P_IbLb1EEEEDaS1L_S1M_EUlS1L_E_NS1_11comp_targetILNS1_3genE4ELNS1_11target_archE910ELNS1_3gpuE8ELNS1_3repE0EEENS1_30default_config_static_selectorELNS0_4arch9wavefront6targetE1EEEvSZ_: ; @_ZN7rocprim17ROCPRIM_400000_NS6detail17trampoline_kernelINS0_13select_configILj256ELj13ELNS0_17block_load_methodE3ELS4_3ELS4_3ELNS0_20block_scan_algorithmE0ELj4294967295EEENS1_25partition_config_selectorILNS1_17partition_subalgoE3EjNS0_10empty_typeEbEEZZNS1_14partition_implILS8_3ELb0ES6_jNS0_17counting_iteratorIjlEEPS9_SE_NS0_5tupleIJPjSE_EEENSF_IJSE_SE_EEES9_SG_JZNS1_25segmented_radix_sort_implINS0_14default_configELb1EPK12hip_bfloat16PSL_PKlPlN2at6native12_GLOBAL__N_18offset_tEEE10hipError_tPvRmT1_PNSt15iterator_traitsISZ_E10value_typeET2_T3_PNS10_IS15_E10value_typeET4_jRbjT5_S1B_jjP12ihipStream_tbEUljE_EEESW_SX_SY_S15_S19_S1B_T6_T7_T9_mT8_S1D_bDpT10_ENKUlT_T0_E_clISt17integral_constantIbLb0EES1P_IbLb1EEEEDaS1L_S1M_EUlS1L_E_NS1_11comp_targetILNS1_3genE4ELNS1_11target_archE910ELNS1_3gpuE8ELNS1_3repE0EEENS1_30default_config_static_selectorELNS0_4arch9wavefront6targetE1EEEvSZ_
; %bb.0:
	.section	.rodata,"a",@progbits
	.p2align	6, 0x0
	.amdhsa_kernel _ZN7rocprim17ROCPRIM_400000_NS6detail17trampoline_kernelINS0_13select_configILj256ELj13ELNS0_17block_load_methodE3ELS4_3ELS4_3ELNS0_20block_scan_algorithmE0ELj4294967295EEENS1_25partition_config_selectorILNS1_17partition_subalgoE3EjNS0_10empty_typeEbEEZZNS1_14partition_implILS8_3ELb0ES6_jNS0_17counting_iteratorIjlEEPS9_SE_NS0_5tupleIJPjSE_EEENSF_IJSE_SE_EEES9_SG_JZNS1_25segmented_radix_sort_implINS0_14default_configELb1EPK12hip_bfloat16PSL_PKlPlN2at6native12_GLOBAL__N_18offset_tEEE10hipError_tPvRmT1_PNSt15iterator_traitsISZ_E10value_typeET2_T3_PNS10_IS15_E10value_typeET4_jRbjT5_S1B_jjP12ihipStream_tbEUljE_EEESW_SX_SY_S15_S19_S1B_T6_T7_T9_mT8_S1D_bDpT10_ENKUlT_T0_E_clISt17integral_constantIbLb0EES1P_IbLb1EEEEDaS1L_S1M_EUlS1L_E_NS1_11comp_targetILNS1_3genE4ELNS1_11target_archE910ELNS1_3gpuE8ELNS1_3repE0EEENS1_30default_config_static_selectorELNS0_4arch9wavefront6targetE1EEEvSZ_
		.amdhsa_group_segment_fixed_size 0
		.amdhsa_private_segment_fixed_size 0
		.amdhsa_kernarg_size 152
		.amdhsa_user_sgpr_count 6
		.amdhsa_user_sgpr_private_segment_buffer 1
		.amdhsa_user_sgpr_dispatch_ptr 0
		.amdhsa_user_sgpr_queue_ptr 0
		.amdhsa_user_sgpr_kernarg_segment_ptr 1
		.amdhsa_user_sgpr_dispatch_id 0
		.amdhsa_user_sgpr_flat_scratch_init 0
		.amdhsa_user_sgpr_private_segment_size 0
		.amdhsa_uses_dynamic_stack 0
		.amdhsa_system_sgpr_private_segment_wavefront_offset 0
		.amdhsa_system_sgpr_workgroup_id_x 1
		.amdhsa_system_sgpr_workgroup_id_y 0
		.amdhsa_system_sgpr_workgroup_id_z 0
		.amdhsa_system_sgpr_workgroup_info 0
		.amdhsa_system_vgpr_workitem_id 0
		.amdhsa_next_free_vgpr 1
		.amdhsa_next_free_sgpr 0
		.amdhsa_reserve_vcc 0
		.amdhsa_reserve_flat_scratch 0
		.amdhsa_float_round_mode_32 0
		.amdhsa_float_round_mode_16_64 0
		.amdhsa_float_denorm_mode_32 3
		.amdhsa_float_denorm_mode_16_64 3
		.amdhsa_dx10_clamp 1
		.amdhsa_ieee_mode 1
		.amdhsa_fp16_overflow 0
		.amdhsa_exception_fp_ieee_invalid_op 0
		.amdhsa_exception_fp_denorm_src 0
		.amdhsa_exception_fp_ieee_div_zero 0
		.amdhsa_exception_fp_ieee_overflow 0
		.amdhsa_exception_fp_ieee_underflow 0
		.amdhsa_exception_fp_ieee_inexact 0
		.amdhsa_exception_int_div_zero 0
	.end_amdhsa_kernel
	.section	.text._ZN7rocprim17ROCPRIM_400000_NS6detail17trampoline_kernelINS0_13select_configILj256ELj13ELNS0_17block_load_methodE3ELS4_3ELS4_3ELNS0_20block_scan_algorithmE0ELj4294967295EEENS1_25partition_config_selectorILNS1_17partition_subalgoE3EjNS0_10empty_typeEbEEZZNS1_14partition_implILS8_3ELb0ES6_jNS0_17counting_iteratorIjlEEPS9_SE_NS0_5tupleIJPjSE_EEENSF_IJSE_SE_EEES9_SG_JZNS1_25segmented_radix_sort_implINS0_14default_configELb1EPK12hip_bfloat16PSL_PKlPlN2at6native12_GLOBAL__N_18offset_tEEE10hipError_tPvRmT1_PNSt15iterator_traitsISZ_E10value_typeET2_T3_PNS10_IS15_E10value_typeET4_jRbjT5_S1B_jjP12ihipStream_tbEUljE_EEESW_SX_SY_S15_S19_S1B_T6_T7_T9_mT8_S1D_bDpT10_ENKUlT_T0_E_clISt17integral_constantIbLb0EES1P_IbLb1EEEEDaS1L_S1M_EUlS1L_E_NS1_11comp_targetILNS1_3genE4ELNS1_11target_archE910ELNS1_3gpuE8ELNS1_3repE0EEENS1_30default_config_static_selectorELNS0_4arch9wavefront6targetE1EEEvSZ_,"axG",@progbits,_ZN7rocprim17ROCPRIM_400000_NS6detail17trampoline_kernelINS0_13select_configILj256ELj13ELNS0_17block_load_methodE3ELS4_3ELS4_3ELNS0_20block_scan_algorithmE0ELj4294967295EEENS1_25partition_config_selectorILNS1_17partition_subalgoE3EjNS0_10empty_typeEbEEZZNS1_14partition_implILS8_3ELb0ES6_jNS0_17counting_iteratorIjlEEPS9_SE_NS0_5tupleIJPjSE_EEENSF_IJSE_SE_EEES9_SG_JZNS1_25segmented_radix_sort_implINS0_14default_configELb1EPK12hip_bfloat16PSL_PKlPlN2at6native12_GLOBAL__N_18offset_tEEE10hipError_tPvRmT1_PNSt15iterator_traitsISZ_E10value_typeET2_T3_PNS10_IS15_E10value_typeET4_jRbjT5_S1B_jjP12ihipStream_tbEUljE_EEESW_SX_SY_S15_S19_S1B_T6_T7_T9_mT8_S1D_bDpT10_ENKUlT_T0_E_clISt17integral_constantIbLb0EES1P_IbLb1EEEEDaS1L_S1M_EUlS1L_E_NS1_11comp_targetILNS1_3genE4ELNS1_11target_archE910ELNS1_3gpuE8ELNS1_3repE0EEENS1_30default_config_static_selectorELNS0_4arch9wavefront6targetE1EEEvSZ_,comdat
.Lfunc_end1940:
	.size	_ZN7rocprim17ROCPRIM_400000_NS6detail17trampoline_kernelINS0_13select_configILj256ELj13ELNS0_17block_load_methodE3ELS4_3ELS4_3ELNS0_20block_scan_algorithmE0ELj4294967295EEENS1_25partition_config_selectorILNS1_17partition_subalgoE3EjNS0_10empty_typeEbEEZZNS1_14partition_implILS8_3ELb0ES6_jNS0_17counting_iteratorIjlEEPS9_SE_NS0_5tupleIJPjSE_EEENSF_IJSE_SE_EEES9_SG_JZNS1_25segmented_radix_sort_implINS0_14default_configELb1EPK12hip_bfloat16PSL_PKlPlN2at6native12_GLOBAL__N_18offset_tEEE10hipError_tPvRmT1_PNSt15iterator_traitsISZ_E10value_typeET2_T3_PNS10_IS15_E10value_typeET4_jRbjT5_S1B_jjP12ihipStream_tbEUljE_EEESW_SX_SY_S15_S19_S1B_T6_T7_T9_mT8_S1D_bDpT10_ENKUlT_T0_E_clISt17integral_constantIbLb0EES1P_IbLb1EEEEDaS1L_S1M_EUlS1L_E_NS1_11comp_targetILNS1_3genE4ELNS1_11target_archE910ELNS1_3gpuE8ELNS1_3repE0EEENS1_30default_config_static_selectorELNS0_4arch9wavefront6targetE1EEEvSZ_, .Lfunc_end1940-_ZN7rocprim17ROCPRIM_400000_NS6detail17trampoline_kernelINS0_13select_configILj256ELj13ELNS0_17block_load_methodE3ELS4_3ELS4_3ELNS0_20block_scan_algorithmE0ELj4294967295EEENS1_25partition_config_selectorILNS1_17partition_subalgoE3EjNS0_10empty_typeEbEEZZNS1_14partition_implILS8_3ELb0ES6_jNS0_17counting_iteratorIjlEEPS9_SE_NS0_5tupleIJPjSE_EEENSF_IJSE_SE_EEES9_SG_JZNS1_25segmented_radix_sort_implINS0_14default_configELb1EPK12hip_bfloat16PSL_PKlPlN2at6native12_GLOBAL__N_18offset_tEEE10hipError_tPvRmT1_PNSt15iterator_traitsISZ_E10value_typeET2_T3_PNS10_IS15_E10value_typeET4_jRbjT5_S1B_jjP12ihipStream_tbEUljE_EEESW_SX_SY_S15_S19_S1B_T6_T7_T9_mT8_S1D_bDpT10_ENKUlT_T0_E_clISt17integral_constantIbLb0EES1P_IbLb1EEEEDaS1L_S1M_EUlS1L_E_NS1_11comp_targetILNS1_3genE4ELNS1_11target_archE910ELNS1_3gpuE8ELNS1_3repE0EEENS1_30default_config_static_selectorELNS0_4arch9wavefront6targetE1EEEvSZ_
                                        ; -- End function
	.set _ZN7rocprim17ROCPRIM_400000_NS6detail17trampoline_kernelINS0_13select_configILj256ELj13ELNS0_17block_load_methodE3ELS4_3ELS4_3ELNS0_20block_scan_algorithmE0ELj4294967295EEENS1_25partition_config_selectorILNS1_17partition_subalgoE3EjNS0_10empty_typeEbEEZZNS1_14partition_implILS8_3ELb0ES6_jNS0_17counting_iteratorIjlEEPS9_SE_NS0_5tupleIJPjSE_EEENSF_IJSE_SE_EEES9_SG_JZNS1_25segmented_radix_sort_implINS0_14default_configELb1EPK12hip_bfloat16PSL_PKlPlN2at6native12_GLOBAL__N_18offset_tEEE10hipError_tPvRmT1_PNSt15iterator_traitsISZ_E10value_typeET2_T3_PNS10_IS15_E10value_typeET4_jRbjT5_S1B_jjP12ihipStream_tbEUljE_EEESW_SX_SY_S15_S19_S1B_T6_T7_T9_mT8_S1D_bDpT10_ENKUlT_T0_E_clISt17integral_constantIbLb0EES1P_IbLb1EEEEDaS1L_S1M_EUlS1L_E_NS1_11comp_targetILNS1_3genE4ELNS1_11target_archE910ELNS1_3gpuE8ELNS1_3repE0EEENS1_30default_config_static_selectorELNS0_4arch9wavefront6targetE1EEEvSZ_.num_vgpr, 0
	.set _ZN7rocprim17ROCPRIM_400000_NS6detail17trampoline_kernelINS0_13select_configILj256ELj13ELNS0_17block_load_methodE3ELS4_3ELS4_3ELNS0_20block_scan_algorithmE0ELj4294967295EEENS1_25partition_config_selectorILNS1_17partition_subalgoE3EjNS0_10empty_typeEbEEZZNS1_14partition_implILS8_3ELb0ES6_jNS0_17counting_iteratorIjlEEPS9_SE_NS0_5tupleIJPjSE_EEENSF_IJSE_SE_EEES9_SG_JZNS1_25segmented_radix_sort_implINS0_14default_configELb1EPK12hip_bfloat16PSL_PKlPlN2at6native12_GLOBAL__N_18offset_tEEE10hipError_tPvRmT1_PNSt15iterator_traitsISZ_E10value_typeET2_T3_PNS10_IS15_E10value_typeET4_jRbjT5_S1B_jjP12ihipStream_tbEUljE_EEESW_SX_SY_S15_S19_S1B_T6_T7_T9_mT8_S1D_bDpT10_ENKUlT_T0_E_clISt17integral_constantIbLb0EES1P_IbLb1EEEEDaS1L_S1M_EUlS1L_E_NS1_11comp_targetILNS1_3genE4ELNS1_11target_archE910ELNS1_3gpuE8ELNS1_3repE0EEENS1_30default_config_static_selectorELNS0_4arch9wavefront6targetE1EEEvSZ_.num_agpr, 0
	.set _ZN7rocprim17ROCPRIM_400000_NS6detail17trampoline_kernelINS0_13select_configILj256ELj13ELNS0_17block_load_methodE3ELS4_3ELS4_3ELNS0_20block_scan_algorithmE0ELj4294967295EEENS1_25partition_config_selectorILNS1_17partition_subalgoE3EjNS0_10empty_typeEbEEZZNS1_14partition_implILS8_3ELb0ES6_jNS0_17counting_iteratorIjlEEPS9_SE_NS0_5tupleIJPjSE_EEENSF_IJSE_SE_EEES9_SG_JZNS1_25segmented_radix_sort_implINS0_14default_configELb1EPK12hip_bfloat16PSL_PKlPlN2at6native12_GLOBAL__N_18offset_tEEE10hipError_tPvRmT1_PNSt15iterator_traitsISZ_E10value_typeET2_T3_PNS10_IS15_E10value_typeET4_jRbjT5_S1B_jjP12ihipStream_tbEUljE_EEESW_SX_SY_S15_S19_S1B_T6_T7_T9_mT8_S1D_bDpT10_ENKUlT_T0_E_clISt17integral_constantIbLb0EES1P_IbLb1EEEEDaS1L_S1M_EUlS1L_E_NS1_11comp_targetILNS1_3genE4ELNS1_11target_archE910ELNS1_3gpuE8ELNS1_3repE0EEENS1_30default_config_static_selectorELNS0_4arch9wavefront6targetE1EEEvSZ_.numbered_sgpr, 0
	.set _ZN7rocprim17ROCPRIM_400000_NS6detail17trampoline_kernelINS0_13select_configILj256ELj13ELNS0_17block_load_methodE3ELS4_3ELS4_3ELNS0_20block_scan_algorithmE0ELj4294967295EEENS1_25partition_config_selectorILNS1_17partition_subalgoE3EjNS0_10empty_typeEbEEZZNS1_14partition_implILS8_3ELb0ES6_jNS0_17counting_iteratorIjlEEPS9_SE_NS0_5tupleIJPjSE_EEENSF_IJSE_SE_EEES9_SG_JZNS1_25segmented_radix_sort_implINS0_14default_configELb1EPK12hip_bfloat16PSL_PKlPlN2at6native12_GLOBAL__N_18offset_tEEE10hipError_tPvRmT1_PNSt15iterator_traitsISZ_E10value_typeET2_T3_PNS10_IS15_E10value_typeET4_jRbjT5_S1B_jjP12ihipStream_tbEUljE_EEESW_SX_SY_S15_S19_S1B_T6_T7_T9_mT8_S1D_bDpT10_ENKUlT_T0_E_clISt17integral_constantIbLb0EES1P_IbLb1EEEEDaS1L_S1M_EUlS1L_E_NS1_11comp_targetILNS1_3genE4ELNS1_11target_archE910ELNS1_3gpuE8ELNS1_3repE0EEENS1_30default_config_static_selectorELNS0_4arch9wavefront6targetE1EEEvSZ_.num_named_barrier, 0
	.set _ZN7rocprim17ROCPRIM_400000_NS6detail17trampoline_kernelINS0_13select_configILj256ELj13ELNS0_17block_load_methodE3ELS4_3ELS4_3ELNS0_20block_scan_algorithmE0ELj4294967295EEENS1_25partition_config_selectorILNS1_17partition_subalgoE3EjNS0_10empty_typeEbEEZZNS1_14partition_implILS8_3ELb0ES6_jNS0_17counting_iteratorIjlEEPS9_SE_NS0_5tupleIJPjSE_EEENSF_IJSE_SE_EEES9_SG_JZNS1_25segmented_radix_sort_implINS0_14default_configELb1EPK12hip_bfloat16PSL_PKlPlN2at6native12_GLOBAL__N_18offset_tEEE10hipError_tPvRmT1_PNSt15iterator_traitsISZ_E10value_typeET2_T3_PNS10_IS15_E10value_typeET4_jRbjT5_S1B_jjP12ihipStream_tbEUljE_EEESW_SX_SY_S15_S19_S1B_T6_T7_T9_mT8_S1D_bDpT10_ENKUlT_T0_E_clISt17integral_constantIbLb0EES1P_IbLb1EEEEDaS1L_S1M_EUlS1L_E_NS1_11comp_targetILNS1_3genE4ELNS1_11target_archE910ELNS1_3gpuE8ELNS1_3repE0EEENS1_30default_config_static_selectorELNS0_4arch9wavefront6targetE1EEEvSZ_.private_seg_size, 0
	.set _ZN7rocprim17ROCPRIM_400000_NS6detail17trampoline_kernelINS0_13select_configILj256ELj13ELNS0_17block_load_methodE3ELS4_3ELS4_3ELNS0_20block_scan_algorithmE0ELj4294967295EEENS1_25partition_config_selectorILNS1_17partition_subalgoE3EjNS0_10empty_typeEbEEZZNS1_14partition_implILS8_3ELb0ES6_jNS0_17counting_iteratorIjlEEPS9_SE_NS0_5tupleIJPjSE_EEENSF_IJSE_SE_EEES9_SG_JZNS1_25segmented_radix_sort_implINS0_14default_configELb1EPK12hip_bfloat16PSL_PKlPlN2at6native12_GLOBAL__N_18offset_tEEE10hipError_tPvRmT1_PNSt15iterator_traitsISZ_E10value_typeET2_T3_PNS10_IS15_E10value_typeET4_jRbjT5_S1B_jjP12ihipStream_tbEUljE_EEESW_SX_SY_S15_S19_S1B_T6_T7_T9_mT8_S1D_bDpT10_ENKUlT_T0_E_clISt17integral_constantIbLb0EES1P_IbLb1EEEEDaS1L_S1M_EUlS1L_E_NS1_11comp_targetILNS1_3genE4ELNS1_11target_archE910ELNS1_3gpuE8ELNS1_3repE0EEENS1_30default_config_static_selectorELNS0_4arch9wavefront6targetE1EEEvSZ_.uses_vcc, 0
	.set _ZN7rocprim17ROCPRIM_400000_NS6detail17trampoline_kernelINS0_13select_configILj256ELj13ELNS0_17block_load_methodE3ELS4_3ELS4_3ELNS0_20block_scan_algorithmE0ELj4294967295EEENS1_25partition_config_selectorILNS1_17partition_subalgoE3EjNS0_10empty_typeEbEEZZNS1_14partition_implILS8_3ELb0ES6_jNS0_17counting_iteratorIjlEEPS9_SE_NS0_5tupleIJPjSE_EEENSF_IJSE_SE_EEES9_SG_JZNS1_25segmented_radix_sort_implINS0_14default_configELb1EPK12hip_bfloat16PSL_PKlPlN2at6native12_GLOBAL__N_18offset_tEEE10hipError_tPvRmT1_PNSt15iterator_traitsISZ_E10value_typeET2_T3_PNS10_IS15_E10value_typeET4_jRbjT5_S1B_jjP12ihipStream_tbEUljE_EEESW_SX_SY_S15_S19_S1B_T6_T7_T9_mT8_S1D_bDpT10_ENKUlT_T0_E_clISt17integral_constantIbLb0EES1P_IbLb1EEEEDaS1L_S1M_EUlS1L_E_NS1_11comp_targetILNS1_3genE4ELNS1_11target_archE910ELNS1_3gpuE8ELNS1_3repE0EEENS1_30default_config_static_selectorELNS0_4arch9wavefront6targetE1EEEvSZ_.uses_flat_scratch, 0
	.set _ZN7rocprim17ROCPRIM_400000_NS6detail17trampoline_kernelINS0_13select_configILj256ELj13ELNS0_17block_load_methodE3ELS4_3ELS4_3ELNS0_20block_scan_algorithmE0ELj4294967295EEENS1_25partition_config_selectorILNS1_17partition_subalgoE3EjNS0_10empty_typeEbEEZZNS1_14partition_implILS8_3ELb0ES6_jNS0_17counting_iteratorIjlEEPS9_SE_NS0_5tupleIJPjSE_EEENSF_IJSE_SE_EEES9_SG_JZNS1_25segmented_radix_sort_implINS0_14default_configELb1EPK12hip_bfloat16PSL_PKlPlN2at6native12_GLOBAL__N_18offset_tEEE10hipError_tPvRmT1_PNSt15iterator_traitsISZ_E10value_typeET2_T3_PNS10_IS15_E10value_typeET4_jRbjT5_S1B_jjP12ihipStream_tbEUljE_EEESW_SX_SY_S15_S19_S1B_T6_T7_T9_mT8_S1D_bDpT10_ENKUlT_T0_E_clISt17integral_constantIbLb0EES1P_IbLb1EEEEDaS1L_S1M_EUlS1L_E_NS1_11comp_targetILNS1_3genE4ELNS1_11target_archE910ELNS1_3gpuE8ELNS1_3repE0EEENS1_30default_config_static_selectorELNS0_4arch9wavefront6targetE1EEEvSZ_.has_dyn_sized_stack, 0
	.set _ZN7rocprim17ROCPRIM_400000_NS6detail17trampoline_kernelINS0_13select_configILj256ELj13ELNS0_17block_load_methodE3ELS4_3ELS4_3ELNS0_20block_scan_algorithmE0ELj4294967295EEENS1_25partition_config_selectorILNS1_17partition_subalgoE3EjNS0_10empty_typeEbEEZZNS1_14partition_implILS8_3ELb0ES6_jNS0_17counting_iteratorIjlEEPS9_SE_NS0_5tupleIJPjSE_EEENSF_IJSE_SE_EEES9_SG_JZNS1_25segmented_radix_sort_implINS0_14default_configELb1EPK12hip_bfloat16PSL_PKlPlN2at6native12_GLOBAL__N_18offset_tEEE10hipError_tPvRmT1_PNSt15iterator_traitsISZ_E10value_typeET2_T3_PNS10_IS15_E10value_typeET4_jRbjT5_S1B_jjP12ihipStream_tbEUljE_EEESW_SX_SY_S15_S19_S1B_T6_T7_T9_mT8_S1D_bDpT10_ENKUlT_T0_E_clISt17integral_constantIbLb0EES1P_IbLb1EEEEDaS1L_S1M_EUlS1L_E_NS1_11comp_targetILNS1_3genE4ELNS1_11target_archE910ELNS1_3gpuE8ELNS1_3repE0EEENS1_30default_config_static_selectorELNS0_4arch9wavefront6targetE1EEEvSZ_.has_recursion, 0
	.set _ZN7rocprim17ROCPRIM_400000_NS6detail17trampoline_kernelINS0_13select_configILj256ELj13ELNS0_17block_load_methodE3ELS4_3ELS4_3ELNS0_20block_scan_algorithmE0ELj4294967295EEENS1_25partition_config_selectorILNS1_17partition_subalgoE3EjNS0_10empty_typeEbEEZZNS1_14partition_implILS8_3ELb0ES6_jNS0_17counting_iteratorIjlEEPS9_SE_NS0_5tupleIJPjSE_EEENSF_IJSE_SE_EEES9_SG_JZNS1_25segmented_radix_sort_implINS0_14default_configELb1EPK12hip_bfloat16PSL_PKlPlN2at6native12_GLOBAL__N_18offset_tEEE10hipError_tPvRmT1_PNSt15iterator_traitsISZ_E10value_typeET2_T3_PNS10_IS15_E10value_typeET4_jRbjT5_S1B_jjP12ihipStream_tbEUljE_EEESW_SX_SY_S15_S19_S1B_T6_T7_T9_mT8_S1D_bDpT10_ENKUlT_T0_E_clISt17integral_constantIbLb0EES1P_IbLb1EEEEDaS1L_S1M_EUlS1L_E_NS1_11comp_targetILNS1_3genE4ELNS1_11target_archE910ELNS1_3gpuE8ELNS1_3repE0EEENS1_30default_config_static_selectorELNS0_4arch9wavefront6targetE1EEEvSZ_.has_indirect_call, 0
	.section	.AMDGPU.csdata,"",@progbits
; Kernel info:
; codeLenInByte = 0
; TotalNumSgprs: 4
; NumVgprs: 0
; ScratchSize: 0
; MemoryBound: 0
; FloatMode: 240
; IeeeMode: 1
; LDSByteSize: 0 bytes/workgroup (compile time only)
; SGPRBlocks: 0
; VGPRBlocks: 0
; NumSGPRsForWavesPerEU: 4
; NumVGPRsForWavesPerEU: 1
; Occupancy: 10
; WaveLimiterHint : 0
; COMPUTE_PGM_RSRC2:SCRATCH_EN: 0
; COMPUTE_PGM_RSRC2:USER_SGPR: 6
; COMPUTE_PGM_RSRC2:TRAP_HANDLER: 0
; COMPUTE_PGM_RSRC2:TGID_X_EN: 1
; COMPUTE_PGM_RSRC2:TGID_Y_EN: 0
; COMPUTE_PGM_RSRC2:TGID_Z_EN: 0
; COMPUTE_PGM_RSRC2:TIDIG_COMP_CNT: 0
	.section	.text._ZN7rocprim17ROCPRIM_400000_NS6detail17trampoline_kernelINS0_13select_configILj256ELj13ELNS0_17block_load_methodE3ELS4_3ELS4_3ELNS0_20block_scan_algorithmE0ELj4294967295EEENS1_25partition_config_selectorILNS1_17partition_subalgoE3EjNS0_10empty_typeEbEEZZNS1_14partition_implILS8_3ELb0ES6_jNS0_17counting_iteratorIjlEEPS9_SE_NS0_5tupleIJPjSE_EEENSF_IJSE_SE_EEES9_SG_JZNS1_25segmented_radix_sort_implINS0_14default_configELb1EPK12hip_bfloat16PSL_PKlPlN2at6native12_GLOBAL__N_18offset_tEEE10hipError_tPvRmT1_PNSt15iterator_traitsISZ_E10value_typeET2_T3_PNS10_IS15_E10value_typeET4_jRbjT5_S1B_jjP12ihipStream_tbEUljE_EEESW_SX_SY_S15_S19_S1B_T6_T7_T9_mT8_S1D_bDpT10_ENKUlT_T0_E_clISt17integral_constantIbLb0EES1P_IbLb1EEEEDaS1L_S1M_EUlS1L_E_NS1_11comp_targetILNS1_3genE3ELNS1_11target_archE908ELNS1_3gpuE7ELNS1_3repE0EEENS1_30default_config_static_selectorELNS0_4arch9wavefront6targetE1EEEvSZ_,"axG",@progbits,_ZN7rocprim17ROCPRIM_400000_NS6detail17trampoline_kernelINS0_13select_configILj256ELj13ELNS0_17block_load_methodE3ELS4_3ELS4_3ELNS0_20block_scan_algorithmE0ELj4294967295EEENS1_25partition_config_selectorILNS1_17partition_subalgoE3EjNS0_10empty_typeEbEEZZNS1_14partition_implILS8_3ELb0ES6_jNS0_17counting_iteratorIjlEEPS9_SE_NS0_5tupleIJPjSE_EEENSF_IJSE_SE_EEES9_SG_JZNS1_25segmented_radix_sort_implINS0_14default_configELb1EPK12hip_bfloat16PSL_PKlPlN2at6native12_GLOBAL__N_18offset_tEEE10hipError_tPvRmT1_PNSt15iterator_traitsISZ_E10value_typeET2_T3_PNS10_IS15_E10value_typeET4_jRbjT5_S1B_jjP12ihipStream_tbEUljE_EEESW_SX_SY_S15_S19_S1B_T6_T7_T9_mT8_S1D_bDpT10_ENKUlT_T0_E_clISt17integral_constantIbLb0EES1P_IbLb1EEEEDaS1L_S1M_EUlS1L_E_NS1_11comp_targetILNS1_3genE3ELNS1_11target_archE908ELNS1_3gpuE7ELNS1_3repE0EEENS1_30default_config_static_selectorELNS0_4arch9wavefront6targetE1EEEvSZ_,comdat
	.globl	_ZN7rocprim17ROCPRIM_400000_NS6detail17trampoline_kernelINS0_13select_configILj256ELj13ELNS0_17block_load_methodE3ELS4_3ELS4_3ELNS0_20block_scan_algorithmE0ELj4294967295EEENS1_25partition_config_selectorILNS1_17partition_subalgoE3EjNS0_10empty_typeEbEEZZNS1_14partition_implILS8_3ELb0ES6_jNS0_17counting_iteratorIjlEEPS9_SE_NS0_5tupleIJPjSE_EEENSF_IJSE_SE_EEES9_SG_JZNS1_25segmented_radix_sort_implINS0_14default_configELb1EPK12hip_bfloat16PSL_PKlPlN2at6native12_GLOBAL__N_18offset_tEEE10hipError_tPvRmT1_PNSt15iterator_traitsISZ_E10value_typeET2_T3_PNS10_IS15_E10value_typeET4_jRbjT5_S1B_jjP12ihipStream_tbEUljE_EEESW_SX_SY_S15_S19_S1B_T6_T7_T9_mT8_S1D_bDpT10_ENKUlT_T0_E_clISt17integral_constantIbLb0EES1P_IbLb1EEEEDaS1L_S1M_EUlS1L_E_NS1_11comp_targetILNS1_3genE3ELNS1_11target_archE908ELNS1_3gpuE7ELNS1_3repE0EEENS1_30default_config_static_selectorELNS0_4arch9wavefront6targetE1EEEvSZ_ ; -- Begin function _ZN7rocprim17ROCPRIM_400000_NS6detail17trampoline_kernelINS0_13select_configILj256ELj13ELNS0_17block_load_methodE3ELS4_3ELS4_3ELNS0_20block_scan_algorithmE0ELj4294967295EEENS1_25partition_config_selectorILNS1_17partition_subalgoE3EjNS0_10empty_typeEbEEZZNS1_14partition_implILS8_3ELb0ES6_jNS0_17counting_iteratorIjlEEPS9_SE_NS0_5tupleIJPjSE_EEENSF_IJSE_SE_EEES9_SG_JZNS1_25segmented_radix_sort_implINS0_14default_configELb1EPK12hip_bfloat16PSL_PKlPlN2at6native12_GLOBAL__N_18offset_tEEE10hipError_tPvRmT1_PNSt15iterator_traitsISZ_E10value_typeET2_T3_PNS10_IS15_E10value_typeET4_jRbjT5_S1B_jjP12ihipStream_tbEUljE_EEESW_SX_SY_S15_S19_S1B_T6_T7_T9_mT8_S1D_bDpT10_ENKUlT_T0_E_clISt17integral_constantIbLb0EES1P_IbLb1EEEEDaS1L_S1M_EUlS1L_E_NS1_11comp_targetILNS1_3genE3ELNS1_11target_archE908ELNS1_3gpuE7ELNS1_3repE0EEENS1_30default_config_static_selectorELNS0_4arch9wavefront6targetE1EEEvSZ_
	.p2align	8
	.type	_ZN7rocprim17ROCPRIM_400000_NS6detail17trampoline_kernelINS0_13select_configILj256ELj13ELNS0_17block_load_methodE3ELS4_3ELS4_3ELNS0_20block_scan_algorithmE0ELj4294967295EEENS1_25partition_config_selectorILNS1_17partition_subalgoE3EjNS0_10empty_typeEbEEZZNS1_14partition_implILS8_3ELb0ES6_jNS0_17counting_iteratorIjlEEPS9_SE_NS0_5tupleIJPjSE_EEENSF_IJSE_SE_EEES9_SG_JZNS1_25segmented_radix_sort_implINS0_14default_configELb1EPK12hip_bfloat16PSL_PKlPlN2at6native12_GLOBAL__N_18offset_tEEE10hipError_tPvRmT1_PNSt15iterator_traitsISZ_E10value_typeET2_T3_PNS10_IS15_E10value_typeET4_jRbjT5_S1B_jjP12ihipStream_tbEUljE_EEESW_SX_SY_S15_S19_S1B_T6_T7_T9_mT8_S1D_bDpT10_ENKUlT_T0_E_clISt17integral_constantIbLb0EES1P_IbLb1EEEEDaS1L_S1M_EUlS1L_E_NS1_11comp_targetILNS1_3genE3ELNS1_11target_archE908ELNS1_3gpuE7ELNS1_3repE0EEENS1_30default_config_static_selectorELNS0_4arch9wavefront6targetE1EEEvSZ_,@function
_ZN7rocprim17ROCPRIM_400000_NS6detail17trampoline_kernelINS0_13select_configILj256ELj13ELNS0_17block_load_methodE3ELS4_3ELS4_3ELNS0_20block_scan_algorithmE0ELj4294967295EEENS1_25partition_config_selectorILNS1_17partition_subalgoE3EjNS0_10empty_typeEbEEZZNS1_14partition_implILS8_3ELb0ES6_jNS0_17counting_iteratorIjlEEPS9_SE_NS0_5tupleIJPjSE_EEENSF_IJSE_SE_EEES9_SG_JZNS1_25segmented_radix_sort_implINS0_14default_configELb1EPK12hip_bfloat16PSL_PKlPlN2at6native12_GLOBAL__N_18offset_tEEE10hipError_tPvRmT1_PNSt15iterator_traitsISZ_E10value_typeET2_T3_PNS10_IS15_E10value_typeET4_jRbjT5_S1B_jjP12ihipStream_tbEUljE_EEESW_SX_SY_S15_S19_S1B_T6_T7_T9_mT8_S1D_bDpT10_ENKUlT_T0_E_clISt17integral_constantIbLb0EES1P_IbLb1EEEEDaS1L_S1M_EUlS1L_E_NS1_11comp_targetILNS1_3genE3ELNS1_11target_archE908ELNS1_3gpuE7ELNS1_3repE0EEENS1_30default_config_static_selectorELNS0_4arch9wavefront6targetE1EEEvSZ_: ; @_ZN7rocprim17ROCPRIM_400000_NS6detail17trampoline_kernelINS0_13select_configILj256ELj13ELNS0_17block_load_methodE3ELS4_3ELS4_3ELNS0_20block_scan_algorithmE0ELj4294967295EEENS1_25partition_config_selectorILNS1_17partition_subalgoE3EjNS0_10empty_typeEbEEZZNS1_14partition_implILS8_3ELb0ES6_jNS0_17counting_iteratorIjlEEPS9_SE_NS0_5tupleIJPjSE_EEENSF_IJSE_SE_EEES9_SG_JZNS1_25segmented_radix_sort_implINS0_14default_configELb1EPK12hip_bfloat16PSL_PKlPlN2at6native12_GLOBAL__N_18offset_tEEE10hipError_tPvRmT1_PNSt15iterator_traitsISZ_E10value_typeET2_T3_PNS10_IS15_E10value_typeET4_jRbjT5_S1B_jjP12ihipStream_tbEUljE_EEESW_SX_SY_S15_S19_S1B_T6_T7_T9_mT8_S1D_bDpT10_ENKUlT_T0_E_clISt17integral_constantIbLb0EES1P_IbLb1EEEEDaS1L_S1M_EUlS1L_E_NS1_11comp_targetILNS1_3genE3ELNS1_11target_archE908ELNS1_3gpuE7ELNS1_3repE0EEENS1_30default_config_static_selectorELNS0_4arch9wavefront6targetE1EEEvSZ_
; %bb.0:
	.section	.rodata,"a",@progbits
	.p2align	6, 0x0
	.amdhsa_kernel _ZN7rocprim17ROCPRIM_400000_NS6detail17trampoline_kernelINS0_13select_configILj256ELj13ELNS0_17block_load_methodE3ELS4_3ELS4_3ELNS0_20block_scan_algorithmE0ELj4294967295EEENS1_25partition_config_selectorILNS1_17partition_subalgoE3EjNS0_10empty_typeEbEEZZNS1_14partition_implILS8_3ELb0ES6_jNS0_17counting_iteratorIjlEEPS9_SE_NS0_5tupleIJPjSE_EEENSF_IJSE_SE_EEES9_SG_JZNS1_25segmented_radix_sort_implINS0_14default_configELb1EPK12hip_bfloat16PSL_PKlPlN2at6native12_GLOBAL__N_18offset_tEEE10hipError_tPvRmT1_PNSt15iterator_traitsISZ_E10value_typeET2_T3_PNS10_IS15_E10value_typeET4_jRbjT5_S1B_jjP12ihipStream_tbEUljE_EEESW_SX_SY_S15_S19_S1B_T6_T7_T9_mT8_S1D_bDpT10_ENKUlT_T0_E_clISt17integral_constantIbLb0EES1P_IbLb1EEEEDaS1L_S1M_EUlS1L_E_NS1_11comp_targetILNS1_3genE3ELNS1_11target_archE908ELNS1_3gpuE7ELNS1_3repE0EEENS1_30default_config_static_selectorELNS0_4arch9wavefront6targetE1EEEvSZ_
		.amdhsa_group_segment_fixed_size 0
		.amdhsa_private_segment_fixed_size 0
		.amdhsa_kernarg_size 152
		.amdhsa_user_sgpr_count 6
		.amdhsa_user_sgpr_private_segment_buffer 1
		.amdhsa_user_sgpr_dispatch_ptr 0
		.amdhsa_user_sgpr_queue_ptr 0
		.amdhsa_user_sgpr_kernarg_segment_ptr 1
		.amdhsa_user_sgpr_dispatch_id 0
		.amdhsa_user_sgpr_flat_scratch_init 0
		.amdhsa_user_sgpr_private_segment_size 0
		.amdhsa_uses_dynamic_stack 0
		.amdhsa_system_sgpr_private_segment_wavefront_offset 0
		.amdhsa_system_sgpr_workgroup_id_x 1
		.amdhsa_system_sgpr_workgroup_id_y 0
		.amdhsa_system_sgpr_workgroup_id_z 0
		.amdhsa_system_sgpr_workgroup_info 0
		.amdhsa_system_vgpr_workitem_id 0
		.amdhsa_next_free_vgpr 1
		.amdhsa_next_free_sgpr 0
		.amdhsa_reserve_vcc 0
		.amdhsa_reserve_flat_scratch 0
		.amdhsa_float_round_mode_32 0
		.amdhsa_float_round_mode_16_64 0
		.amdhsa_float_denorm_mode_32 3
		.amdhsa_float_denorm_mode_16_64 3
		.amdhsa_dx10_clamp 1
		.amdhsa_ieee_mode 1
		.amdhsa_fp16_overflow 0
		.amdhsa_exception_fp_ieee_invalid_op 0
		.amdhsa_exception_fp_denorm_src 0
		.amdhsa_exception_fp_ieee_div_zero 0
		.amdhsa_exception_fp_ieee_overflow 0
		.amdhsa_exception_fp_ieee_underflow 0
		.amdhsa_exception_fp_ieee_inexact 0
		.amdhsa_exception_int_div_zero 0
	.end_amdhsa_kernel
	.section	.text._ZN7rocprim17ROCPRIM_400000_NS6detail17trampoline_kernelINS0_13select_configILj256ELj13ELNS0_17block_load_methodE3ELS4_3ELS4_3ELNS0_20block_scan_algorithmE0ELj4294967295EEENS1_25partition_config_selectorILNS1_17partition_subalgoE3EjNS0_10empty_typeEbEEZZNS1_14partition_implILS8_3ELb0ES6_jNS0_17counting_iteratorIjlEEPS9_SE_NS0_5tupleIJPjSE_EEENSF_IJSE_SE_EEES9_SG_JZNS1_25segmented_radix_sort_implINS0_14default_configELb1EPK12hip_bfloat16PSL_PKlPlN2at6native12_GLOBAL__N_18offset_tEEE10hipError_tPvRmT1_PNSt15iterator_traitsISZ_E10value_typeET2_T3_PNS10_IS15_E10value_typeET4_jRbjT5_S1B_jjP12ihipStream_tbEUljE_EEESW_SX_SY_S15_S19_S1B_T6_T7_T9_mT8_S1D_bDpT10_ENKUlT_T0_E_clISt17integral_constantIbLb0EES1P_IbLb1EEEEDaS1L_S1M_EUlS1L_E_NS1_11comp_targetILNS1_3genE3ELNS1_11target_archE908ELNS1_3gpuE7ELNS1_3repE0EEENS1_30default_config_static_selectorELNS0_4arch9wavefront6targetE1EEEvSZ_,"axG",@progbits,_ZN7rocprim17ROCPRIM_400000_NS6detail17trampoline_kernelINS0_13select_configILj256ELj13ELNS0_17block_load_methodE3ELS4_3ELS4_3ELNS0_20block_scan_algorithmE0ELj4294967295EEENS1_25partition_config_selectorILNS1_17partition_subalgoE3EjNS0_10empty_typeEbEEZZNS1_14partition_implILS8_3ELb0ES6_jNS0_17counting_iteratorIjlEEPS9_SE_NS0_5tupleIJPjSE_EEENSF_IJSE_SE_EEES9_SG_JZNS1_25segmented_radix_sort_implINS0_14default_configELb1EPK12hip_bfloat16PSL_PKlPlN2at6native12_GLOBAL__N_18offset_tEEE10hipError_tPvRmT1_PNSt15iterator_traitsISZ_E10value_typeET2_T3_PNS10_IS15_E10value_typeET4_jRbjT5_S1B_jjP12ihipStream_tbEUljE_EEESW_SX_SY_S15_S19_S1B_T6_T7_T9_mT8_S1D_bDpT10_ENKUlT_T0_E_clISt17integral_constantIbLb0EES1P_IbLb1EEEEDaS1L_S1M_EUlS1L_E_NS1_11comp_targetILNS1_3genE3ELNS1_11target_archE908ELNS1_3gpuE7ELNS1_3repE0EEENS1_30default_config_static_selectorELNS0_4arch9wavefront6targetE1EEEvSZ_,comdat
.Lfunc_end1941:
	.size	_ZN7rocprim17ROCPRIM_400000_NS6detail17trampoline_kernelINS0_13select_configILj256ELj13ELNS0_17block_load_methodE3ELS4_3ELS4_3ELNS0_20block_scan_algorithmE0ELj4294967295EEENS1_25partition_config_selectorILNS1_17partition_subalgoE3EjNS0_10empty_typeEbEEZZNS1_14partition_implILS8_3ELb0ES6_jNS0_17counting_iteratorIjlEEPS9_SE_NS0_5tupleIJPjSE_EEENSF_IJSE_SE_EEES9_SG_JZNS1_25segmented_radix_sort_implINS0_14default_configELb1EPK12hip_bfloat16PSL_PKlPlN2at6native12_GLOBAL__N_18offset_tEEE10hipError_tPvRmT1_PNSt15iterator_traitsISZ_E10value_typeET2_T3_PNS10_IS15_E10value_typeET4_jRbjT5_S1B_jjP12ihipStream_tbEUljE_EEESW_SX_SY_S15_S19_S1B_T6_T7_T9_mT8_S1D_bDpT10_ENKUlT_T0_E_clISt17integral_constantIbLb0EES1P_IbLb1EEEEDaS1L_S1M_EUlS1L_E_NS1_11comp_targetILNS1_3genE3ELNS1_11target_archE908ELNS1_3gpuE7ELNS1_3repE0EEENS1_30default_config_static_selectorELNS0_4arch9wavefront6targetE1EEEvSZ_, .Lfunc_end1941-_ZN7rocprim17ROCPRIM_400000_NS6detail17trampoline_kernelINS0_13select_configILj256ELj13ELNS0_17block_load_methodE3ELS4_3ELS4_3ELNS0_20block_scan_algorithmE0ELj4294967295EEENS1_25partition_config_selectorILNS1_17partition_subalgoE3EjNS0_10empty_typeEbEEZZNS1_14partition_implILS8_3ELb0ES6_jNS0_17counting_iteratorIjlEEPS9_SE_NS0_5tupleIJPjSE_EEENSF_IJSE_SE_EEES9_SG_JZNS1_25segmented_radix_sort_implINS0_14default_configELb1EPK12hip_bfloat16PSL_PKlPlN2at6native12_GLOBAL__N_18offset_tEEE10hipError_tPvRmT1_PNSt15iterator_traitsISZ_E10value_typeET2_T3_PNS10_IS15_E10value_typeET4_jRbjT5_S1B_jjP12ihipStream_tbEUljE_EEESW_SX_SY_S15_S19_S1B_T6_T7_T9_mT8_S1D_bDpT10_ENKUlT_T0_E_clISt17integral_constantIbLb0EES1P_IbLb1EEEEDaS1L_S1M_EUlS1L_E_NS1_11comp_targetILNS1_3genE3ELNS1_11target_archE908ELNS1_3gpuE7ELNS1_3repE0EEENS1_30default_config_static_selectorELNS0_4arch9wavefront6targetE1EEEvSZ_
                                        ; -- End function
	.set _ZN7rocprim17ROCPRIM_400000_NS6detail17trampoline_kernelINS0_13select_configILj256ELj13ELNS0_17block_load_methodE3ELS4_3ELS4_3ELNS0_20block_scan_algorithmE0ELj4294967295EEENS1_25partition_config_selectorILNS1_17partition_subalgoE3EjNS0_10empty_typeEbEEZZNS1_14partition_implILS8_3ELb0ES6_jNS0_17counting_iteratorIjlEEPS9_SE_NS0_5tupleIJPjSE_EEENSF_IJSE_SE_EEES9_SG_JZNS1_25segmented_radix_sort_implINS0_14default_configELb1EPK12hip_bfloat16PSL_PKlPlN2at6native12_GLOBAL__N_18offset_tEEE10hipError_tPvRmT1_PNSt15iterator_traitsISZ_E10value_typeET2_T3_PNS10_IS15_E10value_typeET4_jRbjT5_S1B_jjP12ihipStream_tbEUljE_EEESW_SX_SY_S15_S19_S1B_T6_T7_T9_mT8_S1D_bDpT10_ENKUlT_T0_E_clISt17integral_constantIbLb0EES1P_IbLb1EEEEDaS1L_S1M_EUlS1L_E_NS1_11comp_targetILNS1_3genE3ELNS1_11target_archE908ELNS1_3gpuE7ELNS1_3repE0EEENS1_30default_config_static_selectorELNS0_4arch9wavefront6targetE1EEEvSZ_.num_vgpr, 0
	.set _ZN7rocprim17ROCPRIM_400000_NS6detail17trampoline_kernelINS0_13select_configILj256ELj13ELNS0_17block_load_methodE3ELS4_3ELS4_3ELNS0_20block_scan_algorithmE0ELj4294967295EEENS1_25partition_config_selectorILNS1_17partition_subalgoE3EjNS0_10empty_typeEbEEZZNS1_14partition_implILS8_3ELb0ES6_jNS0_17counting_iteratorIjlEEPS9_SE_NS0_5tupleIJPjSE_EEENSF_IJSE_SE_EEES9_SG_JZNS1_25segmented_radix_sort_implINS0_14default_configELb1EPK12hip_bfloat16PSL_PKlPlN2at6native12_GLOBAL__N_18offset_tEEE10hipError_tPvRmT1_PNSt15iterator_traitsISZ_E10value_typeET2_T3_PNS10_IS15_E10value_typeET4_jRbjT5_S1B_jjP12ihipStream_tbEUljE_EEESW_SX_SY_S15_S19_S1B_T6_T7_T9_mT8_S1D_bDpT10_ENKUlT_T0_E_clISt17integral_constantIbLb0EES1P_IbLb1EEEEDaS1L_S1M_EUlS1L_E_NS1_11comp_targetILNS1_3genE3ELNS1_11target_archE908ELNS1_3gpuE7ELNS1_3repE0EEENS1_30default_config_static_selectorELNS0_4arch9wavefront6targetE1EEEvSZ_.num_agpr, 0
	.set _ZN7rocprim17ROCPRIM_400000_NS6detail17trampoline_kernelINS0_13select_configILj256ELj13ELNS0_17block_load_methodE3ELS4_3ELS4_3ELNS0_20block_scan_algorithmE0ELj4294967295EEENS1_25partition_config_selectorILNS1_17partition_subalgoE3EjNS0_10empty_typeEbEEZZNS1_14partition_implILS8_3ELb0ES6_jNS0_17counting_iteratorIjlEEPS9_SE_NS0_5tupleIJPjSE_EEENSF_IJSE_SE_EEES9_SG_JZNS1_25segmented_radix_sort_implINS0_14default_configELb1EPK12hip_bfloat16PSL_PKlPlN2at6native12_GLOBAL__N_18offset_tEEE10hipError_tPvRmT1_PNSt15iterator_traitsISZ_E10value_typeET2_T3_PNS10_IS15_E10value_typeET4_jRbjT5_S1B_jjP12ihipStream_tbEUljE_EEESW_SX_SY_S15_S19_S1B_T6_T7_T9_mT8_S1D_bDpT10_ENKUlT_T0_E_clISt17integral_constantIbLb0EES1P_IbLb1EEEEDaS1L_S1M_EUlS1L_E_NS1_11comp_targetILNS1_3genE3ELNS1_11target_archE908ELNS1_3gpuE7ELNS1_3repE0EEENS1_30default_config_static_selectorELNS0_4arch9wavefront6targetE1EEEvSZ_.numbered_sgpr, 0
	.set _ZN7rocprim17ROCPRIM_400000_NS6detail17trampoline_kernelINS0_13select_configILj256ELj13ELNS0_17block_load_methodE3ELS4_3ELS4_3ELNS0_20block_scan_algorithmE0ELj4294967295EEENS1_25partition_config_selectorILNS1_17partition_subalgoE3EjNS0_10empty_typeEbEEZZNS1_14partition_implILS8_3ELb0ES6_jNS0_17counting_iteratorIjlEEPS9_SE_NS0_5tupleIJPjSE_EEENSF_IJSE_SE_EEES9_SG_JZNS1_25segmented_radix_sort_implINS0_14default_configELb1EPK12hip_bfloat16PSL_PKlPlN2at6native12_GLOBAL__N_18offset_tEEE10hipError_tPvRmT1_PNSt15iterator_traitsISZ_E10value_typeET2_T3_PNS10_IS15_E10value_typeET4_jRbjT5_S1B_jjP12ihipStream_tbEUljE_EEESW_SX_SY_S15_S19_S1B_T6_T7_T9_mT8_S1D_bDpT10_ENKUlT_T0_E_clISt17integral_constantIbLb0EES1P_IbLb1EEEEDaS1L_S1M_EUlS1L_E_NS1_11comp_targetILNS1_3genE3ELNS1_11target_archE908ELNS1_3gpuE7ELNS1_3repE0EEENS1_30default_config_static_selectorELNS0_4arch9wavefront6targetE1EEEvSZ_.num_named_barrier, 0
	.set _ZN7rocprim17ROCPRIM_400000_NS6detail17trampoline_kernelINS0_13select_configILj256ELj13ELNS0_17block_load_methodE3ELS4_3ELS4_3ELNS0_20block_scan_algorithmE0ELj4294967295EEENS1_25partition_config_selectorILNS1_17partition_subalgoE3EjNS0_10empty_typeEbEEZZNS1_14partition_implILS8_3ELb0ES6_jNS0_17counting_iteratorIjlEEPS9_SE_NS0_5tupleIJPjSE_EEENSF_IJSE_SE_EEES9_SG_JZNS1_25segmented_radix_sort_implINS0_14default_configELb1EPK12hip_bfloat16PSL_PKlPlN2at6native12_GLOBAL__N_18offset_tEEE10hipError_tPvRmT1_PNSt15iterator_traitsISZ_E10value_typeET2_T3_PNS10_IS15_E10value_typeET4_jRbjT5_S1B_jjP12ihipStream_tbEUljE_EEESW_SX_SY_S15_S19_S1B_T6_T7_T9_mT8_S1D_bDpT10_ENKUlT_T0_E_clISt17integral_constantIbLb0EES1P_IbLb1EEEEDaS1L_S1M_EUlS1L_E_NS1_11comp_targetILNS1_3genE3ELNS1_11target_archE908ELNS1_3gpuE7ELNS1_3repE0EEENS1_30default_config_static_selectorELNS0_4arch9wavefront6targetE1EEEvSZ_.private_seg_size, 0
	.set _ZN7rocprim17ROCPRIM_400000_NS6detail17trampoline_kernelINS0_13select_configILj256ELj13ELNS0_17block_load_methodE3ELS4_3ELS4_3ELNS0_20block_scan_algorithmE0ELj4294967295EEENS1_25partition_config_selectorILNS1_17partition_subalgoE3EjNS0_10empty_typeEbEEZZNS1_14partition_implILS8_3ELb0ES6_jNS0_17counting_iteratorIjlEEPS9_SE_NS0_5tupleIJPjSE_EEENSF_IJSE_SE_EEES9_SG_JZNS1_25segmented_radix_sort_implINS0_14default_configELb1EPK12hip_bfloat16PSL_PKlPlN2at6native12_GLOBAL__N_18offset_tEEE10hipError_tPvRmT1_PNSt15iterator_traitsISZ_E10value_typeET2_T3_PNS10_IS15_E10value_typeET4_jRbjT5_S1B_jjP12ihipStream_tbEUljE_EEESW_SX_SY_S15_S19_S1B_T6_T7_T9_mT8_S1D_bDpT10_ENKUlT_T0_E_clISt17integral_constantIbLb0EES1P_IbLb1EEEEDaS1L_S1M_EUlS1L_E_NS1_11comp_targetILNS1_3genE3ELNS1_11target_archE908ELNS1_3gpuE7ELNS1_3repE0EEENS1_30default_config_static_selectorELNS0_4arch9wavefront6targetE1EEEvSZ_.uses_vcc, 0
	.set _ZN7rocprim17ROCPRIM_400000_NS6detail17trampoline_kernelINS0_13select_configILj256ELj13ELNS0_17block_load_methodE3ELS4_3ELS4_3ELNS0_20block_scan_algorithmE0ELj4294967295EEENS1_25partition_config_selectorILNS1_17partition_subalgoE3EjNS0_10empty_typeEbEEZZNS1_14partition_implILS8_3ELb0ES6_jNS0_17counting_iteratorIjlEEPS9_SE_NS0_5tupleIJPjSE_EEENSF_IJSE_SE_EEES9_SG_JZNS1_25segmented_radix_sort_implINS0_14default_configELb1EPK12hip_bfloat16PSL_PKlPlN2at6native12_GLOBAL__N_18offset_tEEE10hipError_tPvRmT1_PNSt15iterator_traitsISZ_E10value_typeET2_T3_PNS10_IS15_E10value_typeET4_jRbjT5_S1B_jjP12ihipStream_tbEUljE_EEESW_SX_SY_S15_S19_S1B_T6_T7_T9_mT8_S1D_bDpT10_ENKUlT_T0_E_clISt17integral_constantIbLb0EES1P_IbLb1EEEEDaS1L_S1M_EUlS1L_E_NS1_11comp_targetILNS1_3genE3ELNS1_11target_archE908ELNS1_3gpuE7ELNS1_3repE0EEENS1_30default_config_static_selectorELNS0_4arch9wavefront6targetE1EEEvSZ_.uses_flat_scratch, 0
	.set _ZN7rocprim17ROCPRIM_400000_NS6detail17trampoline_kernelINS0_13select_configILj256ELj13ELNS0_17block_load_methodE3ELS4_3ELS4_3ELNS0_20block_scan_algorithmE0ELj4294967295EEENS1_25partition_config_selectorILNS1_17partition_subalgoE3EjNS0_10empty_typeEbEEZZNS1_14partition_implILS8_3ELb0ES6_jNS0_17counting_iteratorIjlEEPS9_SE_NS0_5tupleIJPjSE_EEENSF_IJSE_SE_EEES9_SG_JZNS1_25segmented_radix_sort_implINS0_14default_configELb1EPK12hip_bfloat16PSL_PKlPlN2at6native12_GLOBAL__N_18offset_tEEE10hipError_tPvRmT1_PNSt15iterator_traitsISZ_E10value_typeET2_T3_PNS10_IS15_E10value_typeET4_jRbjT5_S1B_jjP12ihipStream_tbEUljE_EEESW_SX_SY_S15_S19_S1B_T6_T7_T9_mT8_S1D_bDpT10_ENKUlT_T0_E_clISt17integral_constantIbLb0EES1P_IbLb1EEEEDaS1L_S1M_EUlS1L_E_NS1_11comp_targetILNS1_3genE3ELNS1_11target_archE908ELNS1_3gpuE7ELNS1_3repE0EEENS1_30default_config_static_selectorELNS0_4arch9wavefront6targetE1EEEvSZ_.has_dyn_sized_stack, 0
	.set _ZN7rocprim17ROCPRIM_400000_NS6detail17trampoline_kernelINS0_13select_configILj256ELj13ELNS0_17block_load_methodE3ELS4_3ELS4_3ELNS0_20block_scan_algorithmE0ELj4294967295EEENS1_25partition_config_selectorILNS1_17partition_subalgoE3EjNS0_10empty_typeEbEEZZNS1_14partition_implILS8_3ELb0ES6_jNS0_17counting_iteratorIjlEEPS9_SE_NS0_5tupleIJPjSE_EEENSF_IJSE_SE_EEES9_SG_JZNS1_25segmented_radix_sort_implINS0_14default_configELb1EPK12hip_bfloat16PSL_PKlPlN2at6native12_GLOBAL__N_18offset_tEEE10hipError_tPvRmT1_PNSt15iterator_traitsISZ_E10value_typeET2_T3_PNS10_IS15_E10value_typeET4_jRbjT5_S1B_jjP12ihipStream_tbEUljE_EEESW_SX_SY_S15_S19_S1B_T6_T7_T9_mT8_S1D_bDpT10_ENKUlT_T0_E_clISt17integral_constantIbLb0EES1P_IbLb1EEEEDaS1L_S1M_EUlS1L_E_NS1_11comp_targetILNS1_3genE3ELNS1_11target_archE908ELNS1_3gpuE7ELNS1_3repE0EEENS1_30default_config_static_selectorELNS0_4arch9wavefront6targetE1EEEvSZ_.has_recursion, 0
	.set _ZN7rocprim17ROCPRIM_400000_NS6detail17trampoline_kernelINS0_13select_configILj256ELj13ELNS0_17block_load_methodE3ELS4_3ELS4_3ELNS0_20block_scan_algorithmE0ELj4294967295EEENS1_25partition_config_selectorILNS1_17partition_subalgoE3EjNS0_10empty_typeEbEEZZNS1_14partition_implILS8_3ELb0ES6_jNS0_17counting_iteratorIjlEEPS9_SE_NS0_5tupleIJPjSE_EEENSF_IJSE_SE_EEES9_SG_JZNS1_25segmented_radix_sort_implINS0_14default_configELb1EPK12hip_bfloat16PSL_PKlPlN2at6native12_GLOBAL__N_18offset_tEEE10hipError_tPvRmT1_PNSt15iterator_traitsISZ_E10value_typeET2_T3_PNS10_IS15_E10value_typeET4_jRbjT5_S1B_jjP12ihipStream_tbEUljE_EEESW_SX_SY_S15_S19_S1B_T6_T7_T9_mT8_S1D_bDpT10_ENKUlT_T0_E_clISt17integral_constantIbLb0EES1P_IbLb1EEEEDaS1L_S1M_EUlS1L_E_NS1_11comp_targetILNS1_3genE3ELNS1_11target_archE908ELNS1_3gpuE7ELNS1_3repE0EEENS1_30default_config_static_selectorELNS0_4arch9wavefront6targetE1EEEvSZ_.has_indirect_call, 0
	.section	.AMDGPU.csdata,"",@progbits
; Kernel info:
; codeLenInByte = 0
; TotalNumSgprs: 4
; NumVgprs: 0
; ScratchSize: 0
; MemoryBound: 0
; FloatMode: 240
; IeeeMode: 1
; LDSByteSize: 0 bytes/workgroup (compile time only)
; SGPRBlocks: 0
; VGPRBlocks: 0
; NumSGPRsForWavesPerEU: 4
; NumVGPRsForWavesPerEU: 1
; Occupancy: 10
; WaveLimiterHint : 0
; COMPUTE_PGM_RSRC2:SCRATCH_EN: 0
; COMPUTE_PGM_RSRC2:USER_SGPR: 6
; COMPUTE_PGM_RSRC2:TRAP_HANDLER: 0
; COMPUTE_PGM_RSRC2:TGID_X_EN: 1
; COMPUTE_PGM_RSRC2:TGID_Y_EN: 0
; COMPUTE_PGM_RSRC2:TGID_Z_EN: 0
; COMPUTE_PGM_RSRC2:TIDIG_COMP_CNT: 0
	.section	.text._ZN7rocprim17ROCPRIM_400000_NS6detail17trampoline_kernelINS0_13select_configILj256ELj13ELNS0_17block_load_methodE3ELS4_3ELS4_3ELNS0_20block_scan_algorithmE0ELj4294967295EEENS1_25partition_config_selectorILNS1_17partition_subalgoE3EjNS0_10empty_typeEbEEZZNS1_14partition_implILS8_3ELb0ES6_jNS0_17counting_iteratorIjlEEPS9_SE_NS0_5tupleIJPjSE_EEENSF_IJSE_SE_EEES9_SG_JZNS1_25segmented_radix_sort_implINS0_14default_configELb1EPK12hip_bfloat16PSL_PKlPlN2at6native12_GLOBAL__N_18offset_tEEE10hipError_tPvRmT1_PNSt15iterator_traitsISZ_E10value_typeET2_T3_PNS10_IS15_E10value_typeET4_jRbjT5_S1B_jjP12ihipStream_tbEUljE_EEESW_SX_SY_S15_S19_S1B_T6_T7_T9_mT8_S1D_bDpT10_ENKUlT_T0_E_clISt17integral_constantIbLb0EES1P_IbLb1EEEEDaS1L_S1M_EUlS1L_E_NS1_11comp_targetILNS1_3genE2ELNS1_11target_archE906ELNS1_3gpuE6ELNS1_3repE0EEENS1_30default_config_static_selectorELNS0_4arch9wavefront6targetE1EEEvSZ_,"axG",@progbits,_ZN7rocprim17ROCPRIM_400000_NS6detail17trampoline_kernelINS0_13select_configILj256ELj13ELNS0_17block_load_methodE3ELS4_3ELS4_3ELNS0_20block_scan_algorithmE0ELj4294967295EEENS1_25partition_config_selectorILNS1_17partition_subalgoE3EjNS0_10empty_typeEbEEZZNS1_14partition_implILS8_3ELb0ES6_jNS0_17counting_iteratorIjlEEPS9_SE_NS0_5tupleIJPjSE_EEENSF_IJSE_SE_EEES9_SG_JZNS1_25segmented_radix_sort_implINS0_14default_configELb1EPK12hip_bfloat16PSL_PKlPlN2at6native12_GLOBAL__N_18offset_tEEE10hipError_tPvRmT1_PNSt15iterator_traitsISZ_E10value_typeET2_T3_PNS10_IS15_E10value_typeET4_jRbjT5_S1B_jjP12ihipStream_tbEUljE_EEESW_SX_SY_S15_S19_S1B_T6_T7_T9_mT8_S1D_bDpT10_ENKUlT_T0_E_clISt17integral_constantIbLb0EES1P_IbLb1EEEEDaS1L_S1M_EUlS1L_E_NS1_11comp_targetILNS1_3genE2ELNS1_11target_archE906ELNS1_3gpuE6ELNS1_3repE0EEENS1_30default_config_static_selectorELNS0_4arch9wavefront6targetE1EEEvSZ_,comdat
	.globl	_ZN7rocprim17ROCPRIM_400000_NS6detail17trampoline_kernelINS0_13select_configILj256ELj13ELNS0_17block_load_methodE3ELS4_3ELS4_3ELNS0_20block_scan_algorithmE0ELj4294967295EEENS1_25partition_config_selectorILNS1_17partition_subalgoE3EjNS0_10empty_typeEbEEZZNS1_14partition_implILS8_3ELb0ES6_jNS0_17counting_iteratorIjlEEPS9_SE_NS0_5tupleIJPjSE_EEENSF_IJSE_SE_EEES9_SG_JZNS1_25segmented_radix_sort_implINS0_14default_configELb1EPK12hip_bfloat16PSL_PKlPlN2at6native12_GLOBAL__N_18offset_tEEE10hipError_tPvRmT1_PNSt15iterator_traitsISZ_E10value_typeET2_T3_PNS10_IS15_E10value_typeET4_jRbjT5_S1B_jjP12ihipStream_tbEUljE_EEESW_SX_SY_S15_S19_S1B_T6_T7_T9_mT8_S1D_bDpT10_ENKUlT_T0_E_clISt17integral_constantIbLb0EES1P_IbLb1EEEEDaS1L_S1M_EUlS1L_E_NS1_11comp_targetILNS1_3genE2ELNS1_11target_archE906ELNS1_3gpuE6ELNS1_3repE0EEENS1_30default_config_static_selectorELNS0_4arch9wavefront6targetE1EEEvSZ_ ; -- Begin function _ZN7rocprim17ROCPRIM_400000_NS6detail17trampoline_kernelINS0_13select_configILj256ELj13ELNS0_17block_load_methodE3ELS4_3ELS4_3ELNS0_20block_scan_algorithmE0ELj4294967295EEENS1_25partition_config_selectorILNS1_17partition_subalgoE3EjNS0_10empty_typeEbEEZZNS1_14partition_implILS8_3ELb0ES6_jNS0_17counting_iteratorIjlEEPS9_SE_NS0_5tupleIJPjSE_EEENSF_IJSE_SE_EEES9_SG_JZNS1_25segmented_radix_sort_implINS0_14default_configELb1EPK12hip_bfloat16PSL_PKlPlN2at6native12_GLOBAL__N_18offset_tEEE10hipError_tPvRmT1_PNSt15iterator_traitsISZ_E10value_typeET2_T3_PNS10_IS15_E10value_typeET4_jRbjT5_S1B_jjP12ihipStream_tbEUljE_EEESW_SX_SY_S15_S19_S1B_T6_T7_T9_mT8_S1D_bDpT10_ENKUlT_T0_E_clISt17integral_constantIbLb0EES1P_IbLb1EEEEDaS1L_S1M_EUlS1L_E_NS1_11comp_targetILNS1_3genE2ELNS1_11target_archE906ELNS1_3gpuE6ELNS1_3repE0EEENS1_30default_config_static_selectorELNS0_4arch9wavefront6targetE1EEEvSZ_
	.p2align	8
	.type	_ZN7rocprim17ROCPRIM_400000_NS6detail17trampoline_kernelINS0_13select_configILj256ELj13ELNS0_17block_load_methodE3ELS4_3ELS4_3ELNS0_20block_scan_algorithmE0ELj4294967295EEENS1_25partition_config_selectorILNS1_17partition_subalgoE3EjNS0_10empty_typeEbEEZZNS1_14partition_implILS8_3ELb0ES6_jNS0_17counting_iteratorIjlEEPS9_SE_NS0_5tupleIJPjSE_EEENSF_IJSE_SE_EEES9_SG_JZNS1_25segmented_radix_sort_implINS0_14default_configELb1EPK12hip_bfloat16PSL_PKlPlN2at6native12_GLOBAL__N_18offset_tEEE10hipError_tPvRmT1_PNSt15iterator_traitsISZ_E10value_typeET2_T3_PNS10_IS15_E10value_typeET4_jRbjT5_S1B_jjP12ihipStream_tbEUljE_EEESW_SX_SY_S15_S19_S1B_T6_T7_T9_mT8_S1D_bDpT10_ENKUlT_T0_E_clISt17integral_constantIbLb0EES1P_IbLb1EEEEDaS1L_S1M_EUlS1L_E_NS1_11comp_targetILNS1_3genE2ELNS1_11target_archE906ELNS1_3gpuE6ELNS1_3repE0EEENS1_30default_config_static_selectorELNS0_4arch9wavefront6targetE1EEEvSZ_,@function
_ZN7rocprim17ROCPRIM_400000_NS6detail17trampoline_kernelINS0_13select_configILj256ELj13ELNS0_17block_load_methodE3ELS4_3ELS4_3ELNS0_20block_scan_algorithmE0ELj4294967295EEENS1_25partition_config_selectorILNS1_17partition_subalgoE3EjNS0_10empty_typeEbEEZZNS1_14partition_implILS8_3ELb0ES6_jNS0_17counting_iteratorIjlEEPS9_SE_NS0_5tupleIJPjSE_EEENSF_IJSE_SE_EEES9_SG_JZNS1_25segmented_radix_sort_implINS0_14default_configELb1EPK12hip_bfloat16PSL_PKlPlN2at6native12_GLOBAL__N_18offset_tEEE10hipError_tPvRmT1_PNSt15iterator_traitsISZ_E10value_typeET2_T3_PNS10_IS15_E10value_typeET4_jRbjT5_S1B_jjP12ihipStream_tbEUljE_EEESW_SX_SY_S15_S19_S1B_T6_T7_T9_mT8_S1D_bDpT10_ENKUlT_T0_E_clISt17integral_constantIbLb0EES1P_IbLb1EEEEDaS1L_S1M_EUlS1L_E_NS1_11comp_targetILNS1_3genE2ELNS1_11target_archE906ELNS1_3gpuE6ELNS1_3repE0EEENS1_30default_config_static_selectorELNS0_4arch9wavefront6targetE1EEEvSZ_: ; @_ZN7rocprim17ROCPRIM_400000_NS6detail17trampoline_kernelINS0_13select_configILj256ELj13ELNS0_17block_load_methodE3ELS4_3ELS4_3ELNS0_20block_scan_algorithmE0ELj4294967295EEENS1_25partition_config_selectorILNS1_17partition_subalgoE3EjNS0_10empty_typeEbEEZZNS1_14partition_implILS8_3ELb0ES6_jNS0_17counting_iteratorIjlEEPS9_SE_NS0_5tupleIJPjSE_EEENSF_IJSE_SE_EEES9_SG_JZNS1_25segmented_radix_sort_implINS0_14default_configELb1EPK12hip_bfloat16PSL_PKlPlN2at6native12_GLOBAL__N_18offset_tEEE10hipError_tPvRmT1_PNSt15iterator_traitsISZ_E10value_typeET2_T3_PNS10_IS15_E10value_typeET4_jRbjT5_S1B_jjP12ihipStream_tbEUljE_EEESW_SX_SY_S15_S19_S1B_T6_T7_T9_mT8_S1D_bDpT10_ENKUlT_T0_E_clISt17integral_constantIbLb0EES1P_IbLb1EEEEDaS1L_S1M_EUlS1L_E_NS1_11comp_targetILNS1_3genE2ELNS1_11target_archE906ELNS1_3gpuE6ELNS1_3repE0EEENS1_30default_config_static_selectorELNS0_4arch9wavefront6targetE1EEEvSZ_
; %bb.0:
	s_load_dwordx2 s[28:29], s[4:5], 0x10
	s_load_dwordx2 s[22:23], s[4:5], 0x28
	;; [unrolled: 1-line block ×3, first 2 shown]
	s_load_dwordx4 s[24:27], s[4:5], 0x48
	s_load_dword s14, s[4:5], 0x90
	s_load_dwordx2 s[34:35], s[4:5], 0x68
	s_load_dwordx4 s[8:11], s[4:5], 0x80
	v_cmp_eq_u32_e64 s[0:1], 0, v0
	s_and_saveexec_b64 s[2:3], s[0:1]
	s_cbranch_execz .LBB1942_4
; %bb.1:
	s_mov_b64 s[12:13], exec
	v_mbcnt_lo_u32_b32 v1, s12, 0
	v_mbcnt_hi_u32_b32 v1, s13, v1
	v_cmp_eq_u32_e32 vcc, 0, v1
                                        ; implicit-def: $vgpr2
	s_and_saveexec_b64 s[6:7], vcc
	s_cbranch_execz .LBB1942_3
; %bb.2:
	s_load_dwordx2 s[16:17], s[4:5], 0x78
	s_bcnt1_i32_b64 s12, s[12:13]
	v_mov_b32_e32 v2, 0
	v_mov_b32_e32 v3, s12
	s_waitcnt lgkmcnt(0)
	global_atomic_add v2, v2, v3, s[16:17] glc
.LBB1942_3:
	s_or_b64 exec, exec, s[6:7]
	s_waitcnt vmcnt(0)
	v_readfirstlane_b32 s6, v2
	v_add_u32_e32 v1, s6, v1
	v_mov_b32_e32 v2, 0
	ds_write_b32 v2, v1
.LBB1942_4:
	s_or_b64 exec, exec, s[2:3]
	v_mov_b32_e32 v1, 0
	s_load_dword s6, s[4:5], 0x8
	s_load_dword s2, s[4:5], 0x70
	s_waitcnt lgkmcnt(0)
	s_barrier
	ds_read_b32 v5, v1
	s_waitcnt lgkmcnt(0)
	s_barrier
	global_load_dwordx2 v[3:4], v1, s[26:27]
	s_add_i32 s4, s2, -1
	s_mulk_i32 s2, 0xd00
	s_add_i32 s3, s2, s28
	s_sub_i32 s33, s30, s3
	s_add_i32 s6, s6, s28
	s_addk_i32 s33, 0xd00
	s_add_u32 s2, s28, s2
	s_addc_u32 s3, s29, 0
	v_mov_b32_e32 v1, s2
	v_mov_b32_e32 v2, s3
	v_readfirstlane_b32 s43, v5
	v_cmp_gt_u64_e32 vcc, s[30:31], v[1:2]
	s_cmp_eq_u32 s43, s4
	v_cmp_ne_u32_e64 s[2:3], s4, v5
	s_cselect_b64 s[26:27], -1, 0
	s_or_b64 s[4:5], vcc, s[2:3]
	s_mul_i32 s42, s43, 0xd00
	s_mov_b64 s[2:3], -1
	s_and_b64 vcc, exec, s[4:5]
	v_lshlrev_b32_e32 v25, 2, v0
	s_cbranch_vccz .LBB1942_6
; %bb.5:
	s_add_i32 s2, s42, s6
	v_add_u32_e32 v1, s2, v0
	v_add_u32_e32 v2, 0x100, v1
	;; [unrolled: 1-line block ×13, first 2 shown]
	ds_write2st64_b32 v25, v1, v2 offset1:4
	ds_write2st64_b32 v25, v5, v6 offset0:8 offset1:12
	ds_write2st64_b32 v25, v7, v8 offset0:16 offset1:20
	;; [unrolled: 1-line block ×5, first 2 shown]
	ds_write_b32 v25, v15 offset:12288
	s_waitcnt vmcnt(0) lgkmcnt(0)
	s_barrier
	s_mov_b64 s[2:3], 0
.LBB1942_6:
	s_andn2_b64 vcc, exec, s[2:3]
	v_cmp_gt_u32_e64 s[2:3], s33, v0
	s_cbranch_vccnz .LBB1942_8
; %bb.7:
	s_add_i32 s6, s42, s6
	v_or_b32_e32 v2, 0x100, v0
	v_add_u32_e32 v5, s6, v2
	v_cmp_gt_u32_e32 vcc, s33, v2
	v_cndmask_b32_e32 v2, 0, v5, vcc
	v_or_b32_e32 v5, 0x200, v0
	v_add_u32_e32 v6, s6, v5
	v_cmp_gt_u32_e32 vcc, s33, v5
	v_cndmask_b32_e32 v5, 0, v6, vcc
	;; [unrolled: 4-line block ×10, first 2 shown]
	v_or_b32_e32 v14, 0xb00, v0
	v_add_u32_e32 v15, s6, v14
	v_cmp_gt_u32_e32 vcc, s33, v14
	v_add_u32_e32 v1, s6, v0
	v_cndmask_b32_e32 v14, 0, v15, vcc
	v_or_b32_e32 v15, 0xc00, v0
	v_cndmask_b32_e64 v1, 0, v1, s[2:3]
	v_add_u32_e32 v16, s6, v15
	v_cmp_gt_u32_e32 vcc, s33, v15
	v_cndmask_b32_e32 v15, 0, v16, vcc
	ds_write2st64_b32 v25, v1, v2 offset1:4
	ds_write2st64_b32 v25, v5, v6 offset0:8 offset1:12
	ds_write2st64_b32 v25, v7, v8 offset0:16 offset1:20
	;; [unrolled: 1-line block ×5, first 2 shown]
	ds_write_b32 v25, v15 offset:12288
	s_waitcnt vmcnt(0) lgkmcnt(0)
	s_barrier
.LBB1942_8:
	v_mul_u32_u24_e32 v27, 13, v0
	v_lshlrev_b32_e32 v1, 2, v27
	ds_read2_b32 v[15:16], v1 offset1:1
	ds_read2_b32 v[13:14], v1 offset0:2 offset1:3
	ds_read2_b32 v[11:12], v1 offset0:4 offset1:5
	;; [unrolled: 1-line block ×5, first 2 shown]
	ds_read_b32 v26, v1 offset:48
	v_cndmask_b32_e64 v1, 0, 1, s[4:5]
	v_cmp_ne_u32_e64 s[2:3], 1, v1
	s_andn2_b64 vcc, exec, s[4:5]
	s_waitcnt vmcnt(0) lgkmcnt(0)
	s_barrier
	s_cbranch_vccnz .LBB1942_10
; %bb.9:
	v_add_u32_e32 v1, s9, v15
	v_add_u32_e32 v2, s11, v15
	v_mul_lo_u32 v1, v1, s8
	v_mul_lo_u32 v2, v2, s10
	v_add_u32_e32 v17, s9, v13
	v_add_u32_e32 v18, s11, v13
	v_mul_lo_u32 v17, v17, s8
	v_sub_u32_e32 v1, v1, v2
	v_cmp_lt_u32_e32 vcc, s14, v1
	v_add_u32_e32 v1, s9, v16
	v_add_u32_e32 v2, s11, v16
	v_mul_lo_u32 v1, v1, s8
	v_mul_lo_u32 v2, v2, s10
	;; [unrolled: 1-line block ×3, first 2 shown]
	v_cndmask_b32_e64 v28, 0, 1, vcc
	v_sub_u32_e32 v1, v1, v2
	v_cmp_lt_u32_e32 vcc, s14, v1
	v_sub_u32_e32 v1, v17, v18
	v_cndmask_b32_e64 v29, 0, 1, vcc
	v_cmp_lt_u32_e32 vcc, s14, v1
	v_add_u32_e32 v1, s9, v14
	v_add_u32_e32 v2, s11, v14
	v_mul_lo_u32 v1, v1, s8
	v_mul_lo_u32 v2, v2, s10
	v_add_u32_e32 v17, s9, v11
	v_add_u32_e32 v18, s11, v11
	v_mul_lo_u32 v17, v17, s8
	v_mul_lo_u32 v18, v18, s10
	v_sub_u32_e32 v1, v1, v2
	v_cndmask_b32_e64 v30, 0, 1, vcc
	v_cmp_lt_u32_e32 vcc, s14, v1
	v_sub_u32_e32 v1, v17, v18
	v_cndmask_b32_e64 v31, 0, 1, vcc
	v_cmp_lt_u32_e32 vcc, s14, v1
	v_add_u32_e32 v1, s9, v12
	v_add_u32_e32 v2, s11, v12
	v_mul_lo_u32 v1, v1, s8
	v_mul_lo_u32 v2, v2, s10
	v_add_u32_e32 v17, s9, v9
	v_add_u32_e32 v18, s11, v9
	v_mul_lo_u32 v17, v17, s8
	v_mul_lo_u32 v18, v18, s10
	v_sub_u32_e32 v1, v1, v2
	v_cndmask_b32_e64 v32, 0, 1, vcc
	v_cmp_lt_u32_e32 vcc, s14, v1
	v_sub_u32_e32 v1, v17, v18
	v_cndmask_b32_e64 v33, 0, 1, vcc
	v_cmp_lt_u32_e32 vcc, s14, v1
	v_add_u32_e32 v1, s9, v10
	v_add_u32_e32 v2, s11, v10
	v_mul_lo_u32 v1, v1, s8
	v_mul_lo_u32 v2, v2, s10
	v_add_u32_e32 v17, s9, v7
	v_add_u32_e32 v18, s11, v7
	v_mul_lo_u32 v17, v17, s8
	v_mul_lo_u32 v18, v18, s10
	v_sub_u32_e32 v1, v1, v2
	v_cndmask_b32_e64 v34, 0, 1, vcc
	v_cmp_lt_u32_e32 vcc, s14, v1
	v_sub_u32_e32 v1, v17, v18
	v_cndmask_b32_e64 v35, 0, 1, vcc
	v_cmp_lt_u32_e32 vcc, s14, v1
	v_add_u32_e32 v1, s9, v8
	v_add_u32_e32 v2, s11, v8
	v_mul_lo_u32 v1, v1, s8
	v_mul_lo_u32 v2, v2, s10
	v_add_u32_e32 v17, s9, v5
	v_add_u32_e32 v18, s11, v5
	v_mul_lo_u32 v17, v17, s8
	v_mul_lo_u32 v18, v18, s10
	v_sub_u32_e32 v1, v1, v2
	v_cndmask_b32_e64 v36, 0, 1, vcc
	v_cmp_lt_u32_e32 vcc, s14, v1
	v_sub_u32_e32 v1, v17, v18
	v_cndmask_b32_e64 v37, 0, 1, vcc
	v_cmp_lt_u32_e32 vcc, s14, v1
	v_add_u32_e32 v1, s9, v6
	v_add_u32_e32 v2, s11, v6
	v_mul_lo_u32 v1, v1, s8
	v_mul_lo_u32 v2, v2, s10
	v_add_u32_e32 v17, s9, v26
	v_add_u32_e32 v18, s11, v26
	v_mul_lo_u32 v17, v17, s8
	v_mul_lo_u32 v18, v18, s10
	v_sub_u32_e32 v1, v1, v2
	v_cndmask_b32_e64 v38, 0, 1, vcc
	v_cmp_lt_u32_e32 vcc, s14, v1
	v_sub_u32_e32 v1, v17, v18
	v_cndmask_b32_e64 v39, 0, 1, vcc
	v_cmp_lt_u32_e64 s[36:37], s14, v1
	s_cbranch_execz .LBB1942_11
	s_branch .LBB1942_38
.LBB1942_10:
                                        ; implicit-def: $sgpr36_sgpr37
                                        ; implicit-def: $vgpr39
                                        ; implicit-def: $vgpr38
                                        ; implicit-def: $vgpr37
                                        ; implicit-def: $vgpr36
                                        ; implicit-def: $vgpr35
                                        ; implicit-def: $vgpr34
                                        ; implicit-def: $vgpr33
                                        ; implicit-def: $vgpr32
                                        ; implicit-def: $vgpr28
                                        ; implicit-def: $vgpr29
                                        ; implicit-def: $vgpr30
                                        ; implicit-def: $vgpr31
.LBB1942_11:
	v_cmp_gt_u32_e32 vcc, s33, v27
	v_mov_b32_e32 v29, 0
	v_mov_b32_e32 v28, 0
	s_and_saveexec_b64 s[4:5], vcc
	s_cbranch_execz .LBB1942_13
; %bb.12:
	v_add_u32_e32 v1, s9, v15
	v_add_u32_e32 v2, s11, v15
	v_mul_lo_u32 v1, v1, s8
	v_mul_lo_u32 v2, v2, s10
	v_sub_u32_e32 v1, v1, v2
	v_cmp_lt_u32_e32 vcc, s14, v1
	v_cndmask_b32_e64 v28, 0, 1, vcc
.LBB1942_13:
	s_or_b64 exec, exec, s[4:5]
	v_add_u32_e32 v1, 1, v27
	v_cmp_gt_u32_e32 vcc, s33, v1
	s_and_saveexec_b64 s[4:5], vcc
	s_cbranch_execz .LBB1942_15
; %bb.14:
	v_add_u32_e32 v1, s9, v16
	v_add_u32_e32 v2, s11, v16
	v_mul_lo_u32 v1, v1, s8
	v_mul_lo_u32 v2, v2, s10
	v_sub_u32_e32 v1, v1, v2
	v_cmp_lt_u32_e32 vcc, s14, v1
	v_cndmask_b32_e64 v29, 0, 1, vcc
.LBB1942_15:
	s_or_b64 exec, exec, s[4:5]
	v_add_u32_e32 v1, 2, v27
	v_cmp_gt_u32_e32 vcc, s33, v1
	v_mov_b32_e32 v31, 0
	v_mov_b32_e32 v30, 0
	s_and_saveexec_b64 s[4:5], vcc
	s_cbranch_execz .LBB1942_17
; %bb.16:
	v_add_u32_e32 v1, s9, v13
	v_add_u32_e32 v2, s11, v13
	v_mul_lo_u32 v1, v1, s8
	v_mul_lo_u32 v2, v2, s10
	v_sub_u32_e32 v1, v1, v2
	v_cmp_lt_u32_e32 vcc, s14, v1
	v_cndmask_b32_e64 v30, 0, 1, vcc
.LBB1942_17:
	s_or_b64 exec, exec, s[4:5]
	v_add_u32_e32 v1, 3, v27
	v_cmp_gt_u32_e32 vcc, s33, v1
	s_and_saveexec_b64 s[4:5], vcc
	s_cbranch_execz .LBB1942_19
; %bb.18:
	v_add_u32_e32 v1, s9, v14
	v_add_u32_e32 v2, s11, v14
	v_mul_lo_u32 v1, v1, s8
	v_mul_lo_u32 v2, v2, s10
	v_sub_u32_e32 v1, v1, v2
	v_cmp_lt_u32_e32 vcc, s14, v1
	v_cndmask_b32_e64 v31, 0, 1, vcc
.LBB1942_19:
	s_or_b64 exec, exec, s[4:5]
	v_add_u32_e32 v1, 4, v27
	;; [unrolled: 30-line block ×6, first 2 shown]
	v_cmp_gt_u32_e32 vcc, s33, v1
	s_mov_b64 s[36:37], 0
	s_and_saveexec_b64 s[4:5], vcc
	s_cbranch_execz .LBB1942_37
; %bb.36:
	v_add_u32_e32 v1, s9, v26
	v_add_u32_e32 v2, s11, v26
	v_mul_lo_u32 v1, v1, s8
	v_mul_lo_u32 v2, v2, s10
	v_sub_u32_e32 v1, v1, v2
	v_cmp_lt_u32_e32 vcc, s14, v1
	s_and_b64 s[36:37], vcc, exec
.LBB1942_37:
	s_or_b64 exec, exec, s[4:5]
.LBB1942_38:
	v_and_b32_e32 v42, 0xff, v29
	v_and_b32_e32 v43, 0xff, v30
	v_and_b32_e32 v44, 0xff, v31
	v_and_b32_e32 v41, 0xff, v28
	v_and_b32_e32 v45, 0xff, v32
	v_add3_u32 v2, v43, v44, v42
	v_and_b32_e32 v46, 0xff, v33
	v_and_b32_e32 v47, 0xff, v34
	v_add3_u32 v2, v2, v41, v45
	v_and_b32_e32 v48, 0xff, v35
	v_and_b32_e32 v49, 0xff, v36
	;; [unrolled: 3-line block ×3, first 2 shown]
	v_add3_u32 v2, v2, v48, v49
	v_and_b32_e32 v40, 0xff, v39
	v_cndmask_b32_e64 v1, 0, 1, s[36:37]
	v_add3_u32 v2, v2, v50, v51
	v_add3_u32 v54, v2, v40, v1
	v_mbcnt_lo_u32_b32 v1, -1, 0
	v_mbcnt_hi_u32_b32 v52, -1, v1
	v_and_b32_e32 v1, 15, v52
	v_cmp_eq_u32_e64 s[16:17], 0, v1
	v_cmp_lt_u32_e64 s[14:15], 1, v1
	v_cmp_lt_u32_e64 s[12:13], 3, v1
	;; [unrolled: 1-line block ×3, first 2 shown]
	v_and_b32_e32 v1, 16, v52
	v_cmp_eq_u32_e64 s[8:9], 0, v1
	v_or_b32_e32 v1, 63, v0
	s_cmp_lg_u32 s43, 0
	v_cmp_lt_u32_e64 s[4:5], 31, v52
	v_lshrrev_b32_e32 v53, 6, v0
	v_cmp_eq_u32_e64 s[6:7], v0, v1
	s_cbranch_scc0 .LBB1942_60
; %bb.39:
	v_mov_b32_dpp v1, v54 row_shr:1 row_mask:0xf bank_mask:0xf
	v_cndmask_b32_e64 v1, v1, 0, s[16:17]
	v_add_u32_e32 v1, v1, v54
	s_nop 1
	v_mov_b32_dpp v2, v1 row_shr:2 row_mask:0xf bank_mask:0xf
	v_cndmask_b32_e64 v2, 0, v2, s[14:15]
	v_add_u32_e32 v1, v1, v2
	s_nop 1
	;; [unrolled: 4-line block ×4, first 2 shown]
	v_mov_b32_dpp v2, v1 row_bcast:15 row_mask:0xf bank_mask:0xf
	v_cndmask_b32_e64 v2, v2, 0, s[8:9]
	v_add_u32_e32 v1, v1, v2
	s_nop 1
	v_mov_b32_dpp v2, v1 row_bcast:31 row_mask:0xf bank_mask:0xf
	v_cndmask_b32_e64 v2, 0, v2, s[4:5]
	v_add_u32_e32 v1, v1, v2
	s_and_saveexec_b64 s[18:19], s[6:7]
; %bb.40:
	v_lshlrev_b32_e32 v2, 2, v53
	ds_write_b32 v2, v1
; %bb.41:
	s_or_b64 exec, exec, s[18:19]
	v_cmp_gt_u32_e32 vcc, 4, v0
	s_waitcnt lgkmcnt(0)
	s_barrier
	s_and_saveexec_b64 s[18:19], vcc
	s_cbranch_execz .LBB1942_43
; %bb.42:
	ds_read_b32 v2, v25
	v_and_b32_e32 v17, 3, v52
	v_cmp_ne_u32_e32 vcc, 0, v17
	s_waitcnt lgkmcnt(0)
	v_mov_b32_dpp v18, v2 row_shr:1 row_mask:0xf bank_mask:0xf
	v_cndmask_b32_e32 v18, 0, v18, vcc
	v_add_u32_e32 v2, v18, v2
	v_cmp_lt_u32_e32 vcc, 1, v17
	s_nop 0
	v_mov_b32_dpp v18, v2 row_shr:2 row_mask:0xf bank_mask:0xf
	v_cndmask_b32_e32 v17, 0, v18, vcc
	v_add_u32_e32 v2, v2, v17
	ds_write_b32 v25, v2
.LBB1942_43:
	s_or_b64 exec, exec, s[18:19]
	v_cmp_gt_u32_e32 vcc, 64, v0
	v_cmp_lt_u32_e64 s[18:19], 63, v0
	s_waitcnt lgkmcnt(0)
	s_barrier
                                        ; implicit-def: $vgpr55
	s_and_saveexec_b64 s[20:21], s[18:19]
	s_cbranch_execz .LBB1942_45
; %bb.44:
	v_lshl_add_u32 v2, v53, 2, -4
	ds_read_b32 v55, v2
	s_waitcnt lgkmcnt(0)
	v_add_u32_e32 v1, v55, v1
.LBB1942_45:
	s_or_b64 exec, exec, s[20:21]
	v_subrev_co_u32_e64 v2, s[18:19], 1, v52
	v_and_b32_e32 v17, 64, v52
	v_cmp_lt_i32_e64 s[20:21], v2, v17
	v_cndmask_b32_e64 v2, v2, v52, s[20:21]
	v_lshlrev_b32_e32 v2, 2, v2
	ds_bpermute_b32 v56, v2, v1
	s_and_saveexec_b64 s[20:21], vcc
	s_cbranch_execz .LBB1942_65
; %bb.46:
	v_mov_b32_e32 v21, 0
	ds_read_b32 v1, v21 offset:12
	s_and_saveexec_b64 s[38:39], s[18:19]
	s_cbranch_execz .LBB1942_48
; %bb.47:
	s_add_i32 s40, s43, 64
	s_mov_b32 s41, 0
	s_lshl_b64 s[40:41], s[40:41], 3
	s_add_u32 s40, s34, s40
	v_mov_b32_e32 v2, 1
	s_addc_u32 s41, s35, s41
	s_waitcnt lgkmcnt(0)
	global_store_dwordx2 v21, v[1:2], s[40:41]
.LBB1942_48:
	s_or_b64 exec, exec, s[38:39]
	v_xad_u32 v17, v52, -1, s43
	v_add_u32_e32 v20, 64, v17
	v_lshlrev_b64 v[18:19], 3, v[20:21]
	v_mov_b32_e32 v2, s35
	v_add_co_u32_e32 v22, vcc, s34, v18
	v_addc_co_u32_e32 v23, vcc, v2, v19, vcc
	global_load_dwordx2 v[19:20], v[22:23], off glc
	s_waitcnt vmcnt(0)
	v_cmp_eq_u16_sdwa s[40:41], v20, v21 src0_sel:BYTE_0 src1_sel:DWORD
	s_and_saveexec_b64 s[38:39], s[40:41]
	s_cbranch_execz .LBB1942_52
; %bb.49:
	s_mov_b64 s[40:41], 0
	v_mov_b32_e32 v2, 0
.LBB1942_50:                            ; =>This Inner Loop Header: Depth=1
	global_load_dwordx2 v[19:20], v[22:23], off glc
	s_waitcnt vmcnt(0)
	v_cmp_ne_u16_sdwa s[44:45], v20, v2 src0_sel:BYTE_0 src1_sel:DWORD
	s_or_b64 s[40:41], s[44:45], s[40:41]
	s_andn2_b64 exec, exec, s[40:41]
	s_cbranch_execnz .LBB1942_50
; %bb.51:
	s_or_b64 exec, exec, s[40:41]
.LBB1942_52:
	s_or_b64 exec, exec, s[38:39]
	v_and_b32_e32 v58, 63, v52
	v_mov_b32_e32 v57, 2
	v_lshlrev_b64 v[21:22], v52, -1
	v_cmp_ne_u32_e32 vcc, 63, v58
	v_cmp_eq_u16_sdwa s[38:39], v20, v57 src0_sel:BYTE_0 src1_sel:DWORD
	v_addc_co_u32_e32 v23, vcc, 0, v52, vcc
	v_and_b32_e32 v2, s39, v22
	v_lshlrev_b32_e32 v59, 2, v23
	v_or_b32_e32 v2, 0x80000000, v2
	ds_bpermute_b32 v23, v59, v19
	v_and_b32_e32 v18, s38, v21
	v_ffbl_b32_e32 v2, v2
	v_add_u32_e32 v2, 32, v2
	v_ffbl_b32_e32 v18, v18
	v_min_u32_e32 v2, v18, v2
	v_cmp_lt_u32_e32 vcc, v58, v2
	s_waitcnt lgkmcnt(0)
	v_cndmask_b32_e32 v18, 0, v23, vcc
	v_cmp_gt_u32_e32 vcc, 62, v58
	v_add_u32_e32 v18, v18, v19
	v_cndmask_b32_e64 v19, 0, 2, vcc
	v_add_lshl_u32 v60, v19, v52, 2
	ds_bpermute_b32 v19, v60, v18
	v_add_u32_e32 v61, 2, v58
	v_cmp_le_u32_e32 vcc, v61, v2
	v_add_u32_e32 v63, 4, v58
	v_add_u32_e32 v65, 8, v58
	s_waitcnt lgkmcnt(0)
	v_cndmask_b32_e32 v19, 0, v19, vcc
	v_cmp_gt_u32_e32 vcc, 60, v58
	v_add_u32_e32 v18, v18, v19
	v_cndmask_b32_e64 v19, 0, 4, vcc
	v_add_lshl_u32 v62, v19, v52, 2
	ds_bpermute_b32 v19, v62, v18
	v_cmp_le_u32_e32 vcc, v63, v2
	v_add_u32_e32 v67, 16, v58
	v_add_u32_e32 v69, 32, v58
	s_waitcnt lgkmcnt(0)
	v_cndmask_b32_e32 v19, 0, v19, vcc
	v_cmp_gt_u32_e32 vcc, 56, v58
	v_add_u32_e32 v18, v18, v19
	v_cndmask_b32_e64 v19, 0, 8, vcc
	v_add_lshl_u32 v64, v19, v52, 2
	ds_bpermute_b32 v19, v64, v18
	v_cmp_le_u32_e32 vcc, v65, v2
	s_waitcnt lgkmcnt(0)
	v_cndmask_b32_e32 v19, 0, v19, vcc
	v_cmp_gt_u32_e32 vcc, 48, v58
	v_add_u32_e32 v18, v18, v19
	v_cndmask_b32_e64 v19, 0, 16, vcc
	v_add_lshl_u32 v66, v19, v52, 2
	ds_bpermute_b32 v19, v66, v18
	v_cmp_le_u32_e32 vcc, v67, v2
	s_waitcnt lgkmcnt(0)
	v_cndmask_b32_e32 v19, 0, v19, vcc
	v_add_u32_e32 v18, v18, v19
	v_mov_b32_e32 v19, 0x80
	v_lshl_or_b32 v68, v52, 2, v19
	ds_bpermute_b32 v19, v68, v18
	v_cmp_le_u32_e32 vcc, v69, v2
	s_waitcnt lgkmcnt(0)
	v_cndmask_b32_e32 v2, 0, v19, vcc
	v_add_u32_e32 v19, v18, v2
	v_mov_b32_e32 v18, 0
	s_branch .LBB1942_56
.LBB1942_53:                            ;   in Loop: Header=BB1942_56 Depth=1
	s_or_b64 exec, exec, s[40:41]
.LBB1942_54:                            ;   in Loop: Header=BB1942_56 Depth=1
	s_or_b64 exec, exec, s[38:39]
	v_cmp_eq_u16_sdwa s[38:39], v20, v57 src0_sel:BYTE_0 src1_sel:DWORD
	v_and_b32_e32 v23, s39, v22
	v_or_b32_e32 v23, 0x80000000, v23
	ds_bpermute_b32 v70, v59, v19
	v_and_b32_e32 v24, s38, v21
	v_ffbl_b32_e32 v23, v23
	v_add_u32_e32 v23, 32, v23
	v_ffbl_b32_e32 v24, v24
	v_min_u32_e32 v23, v24, v23
	v_cmp_lt_u32_e32 vcc, v58, v23
	s_waitcnt lgkmcnt(0)
	v_cndmask_b32_e32 v24, 0, v70, vcc
	v_add_u32_e32 v19, v24, v19
	ds_bpermute_b32 v24, v60, v19
	v_cmp_le_u32_e32 vcc, v61, v23
	v_subrev_u32_e32 v17, 64, v17
	s_mov_b64 s[38:39], 0
	s_waitcnt lgkmcnt(0)
	v_cndmask_b32_e32 v24, 0, v24, vcc
	v_add_u32_e32 v19, v19, v24
	ds_bpermute_b32 v24, v62, v19
	v_cmp_le_u32_e32 vcc, v63, v23
	s_waitcnt lgkmcnt(0)
	v_cndmask_b32_e32 v24, 0, v24, vcc
	v_add_u32_e32 v19, v19, v24
	ds_bpermute_b32 v24, v64, v19
	v_cmp_le_u32_e32 vcc, v65, v23
	;; [unrolled: 5-line block ×4, first 2 shown]
	s_waitcnt lgkmcnt(0)
	v_cndmask_b32_e32 v23, 0, v24, vcc
	v_add3_u32 v19, v23, v2, v19
.LBB1942_55:                            ;   in Loop: Header=BB1942_56 Depth=1
	s_and_b64 vcc, exec, s[38:39]
	s_cbranch_vccnz .LBB1942_61
.LBB1942_56:                            ; =>This Loop Header: Depth=1
                                        ;     Child Loop BB1942_59 Depth 2
	v_cmp_ne_u16_sdwa s[38:39], v20, v57 src0_sel:BYTE_0 src1_sel:DWORD
	v_mov_b32_e32 v2, v19
	s_cmp_lg_u64 s[38:39], exec
	s_mov_b64 s[38:39], -1
                                        ; implicit-def: $vgpr19
                                        ; implicit-def: $vgpr20
	s_cbranch_scc1 .LBB1942_55
; %bb.57:                               ;   in Loop: Header=BB1942_56 Depth=1
	v_lshlrev_b64 v[19:20], 3, v[17:18]
	v_mov_b32_e32 v24, s35
	v_add_co_u32_e32 v23, vcc, s34, v19
	v_addc_co_u32_e32 v24, vcc, v24, v20, vcc
	global_load_dwordx2 v[19:20], v[23:24], off glc
	s_waitcnt vmcnt(0)
	v_cmp_eq_u16_sdwa s[40:41], v20, v18 src0_sel:BYTE_0 src1_sel:DWORD
	s_and_saveexec_b64 s[38:39], s[40:41]
	s_cbranch_execz .LBB1942_54
; %bb.58:                               ;   in Loop: Header=BB1942_56 Depth=1
	s_mov_b64 s[40:41], 0
.LBB1942_59:                            ;   Parent Loop BB1942_56 Depth=1
                                        ; =>  This Inner Loop Header: Depth=2
	global_load_dwordx2 v[19:20], v[23:24], off glc
	s_waitcnt vmcnt(0)
	v_cmp_ne_u16_sdwa s[44:45], v20, v18 src0_sel:BYTE_0 src1_sel:DWORD
	s_or_b64 s[40:41], s[44:45], s[40:41]
	s_andn2_b64 exec, exec, s[40:41]
	s_cbranch_execnz .LBB1942_59
	s_branch .LBB1942_53
.LBB1942_60:
                                        ; implicit-def: $vgpr2
                                        ; implicit-def: $vgpr17
	s_cbranch_execnz .LBB1942_66
	s_branch .LBB1942_75
.LBB1942_61:
	s_and_saveexec_b64 s[38:39], s[18:19]
	s_cbranch_execz .LBB1942_63
; %bb.62:
	s_add_i32 s40, s43, 64
	s_mov_b32 s41, 0
	s_lshl_b64 s[40:41], s[40:41], 3
	s_add_u32 s40, s34, s40
	v_add_u32_e32 v17, v2, v1
	v_mov_b32_e32 v18, 2
	s_addc_u32 s41, s35, s41
	v_mov_b32_e32 v19, 0
	global_store_dwordx2 v19, v[17:18], s[40:41]
	ds_write_b64 v19, v[1:2] offset:13312
.LBB1942_63:
	s_or_b64 exec, exec, s[38:39]
	s_and_b64 exec, exec, s[0:1]
; %bb.64:
	v_mov_b32_e32 v1, 0
	ds_write_b32 v1, v2 offset:12
.LBB1942_65:
	s_or_b64 exec, exec, s[20:21]
	v_mov_b32_e32 v1, 0
	s_waitcnt vmcnt(0) lgkmcnt(0)
	s_barrier
	ds_read_b32 v17, v1 offset:12
	s_waitcnt lgkmcnt(0)
	s_barrier
	ds_read_b64 v[1:2], v1 offset:13312
	v_cndmask_b32_e64 v18, v56, v55, s[18:19]
	v_cndmask_b32_e64 v18, v18, 0, s[0:1]
	v_add_u32_e32 v17, v17, v18
	s_branch .LBB1942_75
.LBB1942_66:
	s_waitcnt lgkmcnt(0)
	v_mov_b32_dpp v1, v54 row_shr:1 row_mask:0xf bank_mask:0xf
	v_cndmask_b32_e64 v1, v1, 0, s[16:17]
	v_add_u32_e32 v1, v1, v54
	s_nop 1
	v_mov_b32_dpp v2, v1 row_shr:2 row_mask:0xf bank_mask:0xf
	v_cndmask_b32_e64 v2, 0, v2, s[14:15]
	v_add_u32_e32 v1, v1, v2
	s_nop 1
	;; [unrolled: 4-line block ×4, first 2 shown]
	v_mov_b32_dpp v2, v1 row_bcast:15 row_mask:0xf bank_mask:0xf
	v_cndmask_b32_e64 v2, v2, 0, s[8:9]
	v_add_u32_e32 v1, v1, v2
	s_nop 1
	v_mov_b32_dpp v2, v1 row_bcast:31 row_mask:0xf bank_mask:0xf
	v_cndmask_b32_e64 v2, 0, v2, s[4:5]
	v_add_u32_e32 v1, v1, v2
	s_and_saveexec_b64 s[4:5], s[6:7]
; %bb.67:
	v_lshlrev_b32_e32 v2, 2, v53
	ds_write_b32 v2, v1
; %bb.68:
	s_or_b64 exec, exec, s[4:5]
	v_cmp_gt_u32_e32 vcc, 4, v0
	s_waitcnt lgkmcnt(0)
	s_barrier
	s_and_saveexec_b64 s[4:5], vcc
	s_cbranch_execz .LBB1942_70
; %bb.69:
	ds_read_b32 v2, v25
	v_and_b32_e32 v17, 3, v52
	v_cmp_ne_u32_e32 vcc, 0, v17
	s_waitcnt lgkmcnt(0)
	v_mov_b32_dpp v18, v2 row_shr:1 row_mask:0xf bank_mask:0xf
	v_cndmask_b32_e32 v18, 0, v18, vcc
	v_add_u32_e32 v2, v18, v2
	v_cmp_lt_u32_e32 vcc, 1, v17
	s_nop 0
	v_mov_b32_dpp v18, v2 row_shr:2 row_mask:0xf bank_mask:0xf
	v_cndmask_b32_e32 v17, 0, v18, vcc
	v_add_u32_e32 v2, v2, v17
	ds_write_b32 v25, v2
.LBB1942_70:
	s_or_b64 exec, exec, s[4:5]
	v_cmp_lt_u32_e32 vcc, 63, v0
	v_mov_b32_e32 v2, 0
	v_mov_b32_e32 v17, 0
	s_waitcnt lgkmcnt(0)
	s_barrier
	s_and_saveexec_b64 s[4:5], vcc
; %bb.71:
	v_lshl_add_u32 v17, v53, 2, -4
	ds_read_b32 v17, v17
; %bb.72:
	s_or_b64 exec, exec, s[4:5]
	v_subrev_co_u32_e32 v18, vcc, 1, v52
	v_and_b32_e32 v19, 64, v52
	v_cmp_lt_i32_e64 s[4:5], v18, v19
	v_cndmask_b32_e64 v18, v18, v52, s[4:5]
	s_waitcnt lgkmcnt(0)
	v_add_u32_e32 v1, v17, v1
	v_lshlrev_b32_e32 v18, 2, v18
	ds_bpermute_b32 v18, v18, v1
	ds_read_b32 v1, v2 offset:12
	s_and_saveexec_b64 s[4:5], s[0:1]
	s_cbranch_execz .LBB1942_74
; %bb.73:
	v_mov_b32_e32 v19, 0
	v_mov_b32_e32 v2, 2
	s_waitcnt lgkmcnt(0)
	global_store_dwordx2 v19, v[1:2], s[34:35] offset:512
.LBB1942_74:
	s_or_b64 exec, exec, s[4:5]
	s_waitcnt lgkmcnt(1)
	v_cndmask_b32_e32 v2, v18, v17, vcc
	v_cndmask_b32_e64 v17, v2, 0, s[0:1]
	s_waitcnt vmcnt(0) lgkmcnt(0)
	s_barrier
	v_mov_b32_e32 v2, 0
.LBB1942_75:
	v_add_u32_e32 v18, v17, v41
	v_add_u32_e32 v19, v18, v42
	;; [unrolled: 1-line block ×4, first 2 shown]
	s_waitcnt lgkmcnt(0)
	v_add_u32_e32 v27, v1, v27
	v_sub_u32_e32 v17, v17, v2
	v_and_b32_e32 v28, 1, v28
	v_add_u32_e32 v22, v21, v45
	v_sub_u32_e32 v45, v27, v17
	v_cmp_eq_u32_e32 vcc, 1, v28
	v_cndmask_b32_e32 v17, v45, v17, vcc
	v_lshlrev_b32_e32 v17, 2, v17
	ds_write_b32 v17, v15
	v_sub_u32_e32 v15, v18, v2
	v_sub_u32_e32 v17, v27, v15
	v_and_b32_e32 v18, 1, v29
	v_add_u32_e32 v17, 1, v17
	v_cmp_eq_u32_e32 vcc, 1, v18
	v_cndmask_b32_e32 v15, v17, v15, vcc
	v_lshlrev_b32_e32 v15, 2, v15
	ds_write_b32 v15, v16
	v_sub_u32_e32 v15, v19, v2
	v_sub_u32_e32 v16, v27, v15
	v_and_b32_e32 v17, 1, v30
	v_add_u32_e32 v16, 2, v16
	;; [unrolled: 8-line block ×5, first 2 shown]
	v_cmp_eq_u32_e32 vcc, 1, v14
	v_cndmask_b32_e32 v11, v13, v11, vcc
	v_add_u32_e32 v23, v22, v46
	v_lshlrev_b32_e32 v11, 2, v11
	ds_write_b32 v11, v12
	v_sub_u32_e32 v11, v23, v2
	v_sub_u32_e32 v12, v27, v11
	v_and_b32_e32 v13, 1, v34
	v_add_u32_e32 v12, 6, v12
	v_cmp_eq_u32_e32 vcc, 1, v13
	v_cndmask_b32_e32 v11, v12, v11, vcc
	v_add_u32_e32 v24, v23, v47
	v_lshlrev_b32_e32 v11, 2, v11
	ds_write_b32 v11, v9
	v_sub_u32_e32 v9, v24, v2
	v_sub_u32_e32 v11, v27, v9
	v_and_b32_e32 v12, 1, v35
	v_add_u32_e32 v11, 7, v11
	;; [unrolled: 9-line block ×6, first 2 shown]
	v_cmp_eq_u32_e32 vcc, 1, v8
	v_cndmask_b32_e32 v5, v7, v5, vcc
	v_lshlrev_b32_e32 v5, 2, v5
	ds_write_b32 v5, v6
	v_sub_u32_e32 v5, v40, v2
	v_add_u32_e32 v5, v44, v5
	v_sub_u32_e32 v6, v27, v5
	v_add_u32_e32 v6, 12, v6
	v_cndmask_b32_e64 v5, v6, v5, s[36:37]
	v_lshlrev_b32_e32 v5, 2, v5
	ds_write_b32 v5, v26
	s_waitcnt lgkmcnt(0)
	s_barrier
	ds_read2st64_b32 v[15:16], v25 offset1:4
	ds_read2st64_b32 v[13:14], v25 offset0:8 offset1:12
	ds_read2st64_b32 v[11:12], v25 offset0:16 offset1:20
	;; [unrolled: 1-line block ×5, first 2 shown]
	ds_read_b32 v18, v25 offset:12288
	s_and_b64 vcc, exec, s[2:3]
	v_add_co_u32_e64 v17, s[2:3], v3, v2
	v_or_b32_e32 v32, 0x100, v0
	v_or_b32_e32 v30, 0x200, v0
	;; [unrolled: 1-line block ×12, first 2 shown]
	v_addc_co_u32_e64 v4, s[2:3], 0, v4, s[2:3]
	s_cbranch_vccnz .LBB1942_132
; %bb.76:
	v_mov_b32_e32 v2, s29
	v_subrev_co_u32_e32 v3, vcc, s28, v17
	s_sub_u32 s2, s30, s42
	v_subb_co_u32_e32 v2, vcc, v4, v2, vcc
	s_subb_u32 s3, s31, 0
	v_mov_b32_e32 v25, s3
	v_add_co_u32_e32 v31, vcc, s2, v1
	v_addc_co_u32_e32 v33, vcc, 0, v25, vcc
	v_add_co_u32_e32 v25, vcc, v31, v3
	v_addc_co_u32_e32 v31, vcc, v33, v2, vcc
	v_cmp_ge_u32_e32 vcc, v0, v1
                                        ; implicit-def: $vgpr2_vgpr3
	s_and_saveexec_b64 s[2:3], vcc
	s_xor_b64 s[2:3], exec, s[2:3]
; %bb.77:
	v_not_b32_e32 v2, v0
	v_ashrrev_i32_e32 v3, 31, v2
	v_add_co_u32_e32 v2, vcc, v25, v2
	v_addc_co_u32_e32 v3, vcc, v31, v3, vcc
; %bb.78:
	s_andn2_saveexec_b64 s[2:3], s[2:3]
; %bb.79:
	v_add_co_u32_e32 v2, vcc, v17, v0
	v_addc_co_u32_e32 v3, vcc, 0, v4, vcc
; %bb.80:
	s_or_b64 exec, exec, s[2:3]
	v_lshlrev_b64 v[2:3], 2, v[2:3]
	v_mov_b32_e32 v33, s23
	v_add_co_u32_e32 v2, vcc, s22, v2
	v_addc_co_u32_e32 v3, vcc, v33, v3, vcc
	v_cmp_ge_u32_e32 vcc, v32, v1
	s_waitcnt lgkmcnt(6)
	global_store_dword v[2:3], v15, off
                                        ; implicit-def: $vgpr2_vgpr3
	s_and_saveexec_b64 s[2:3], vcc
	s_xor_b64 s[2:3], exec, s[2:3]
; %bb.81:
	v_xor_b32_e32 v2, 0xfffffeff, v0
	v_ashrrev_i32_e32 v3, 31, v2
	v_add_co_u32_e32 v2, vcc, v25, v2
	v_addc_co_u32_e32 v3, vcc, v31, v3, vcc
; %bb.82:
	s_andn2_saveexec_b64 s[2:3], s[2:3]
; %bb.83:
	v_add_co_u32_e32 v2, vcc, v17, v32
	v_addc_co_u32_e32 v3, vcc, 0, v4, vcc
; %bb.84:
	s_or_b64 exec, exec, s[2:3]
	v_lshlrev_b64 v[2:3], 2, v[2:3]
	v_mov_b32_e32 v33, s23
	v_add_co_u32_e32 v2, vcc, s22, v2
	v_addc_co_u32_e32 v3, vcc, v33, v3, vcc
	v_cmp_ge_u32_e32 vcc, v30, v1
	global_store_dword v[2:3], v16, off
                                        ; implicit-def: $vgpr2_vgpr3
	s_and_saveexec_b64 s[2:3], vcc
	s_xor_b64 s[2:3], exec, s[2:3]
; %bb.85:
	v_xor_b32_e32 v2, 0xfffffdff, v0
	v_ashrrev_i32_e32 v3, 31, v2
	v_add_co_u32_e32 v2, vcc, v25, v2
	v_addc_co_u32_e32 v3, vcc, v31, v3, vcc
; %bb.86:
	s_andn2_saveexec_b64 s[2:3], s[2:3]
; %bb.87:
	v_add_co_u32_e32 v2, vcc, v17, v30
	v_addc_co_u32_e32 v3, vcc, 0, v4, vcc
; %bb.88:
	s_or_b64 exec, exec, s[2:3]
	v_lshlrev_b64 v[2:3], 2, v[2:3]
	v_mov_b32_e32 v33, s23
	v_add_co_u32_e32 v2, vcc, s22, v2
	v_addc_co_u32_e32 v3, vcc, v33, v3, vcc
	v_cmp_ge_u32_e32 vcc, v29, v1
	s_waitcnt lgkmcnt(5)
	global_store_dword v[2:3], v13, off
                                        ; implicit-def: $vgpr2_vgpr3
	s_and_saveexec_b64 s[2:3], vcc
	s_xor_b64 s[2:3], exec, s[2:3]
; %bb.89:
	v_xor_b32_e32 v2, 0xfffffcff, v0
	v_ashrrev_i32_e32 v3, 31, v2
	v_add_co_u32_e32 v2, vcc, v25, v2
	v_addc_co_u32_e32 v3, vcc, v31, v3, vcc
; %bb.90:
	s_andn2_saveexec_b64 s[2:3], s[2:3]
; %bb.91:
	v_add_co_u32_e32 v2, vcc, v17, v29
	v_addc_co_u32_e32 v3, vcc, 0, v4, vcc
; %bb.92:
	s_or_b64 exec, exec, s[2:3]
	v_lshlrev_b64 v[2:3], 2, v[2:3]
	v_mov_b32_e32 v33, s23
	v_add_co_u32_e32 v2, vcc, s22, v2
	v_addc_co_u32_e32 v3, vcc, v33, v3, vcc
	v_cmp_ge_u32_e32 vcc, v28, v1
	global_store_dword v[2:3], v14, off
                                        ; implicit-def: $vgpr2_vgpr3
	s_and_saveexec_b64 s[2:3], vcc
	s_xor_b64 s[2:3], exec, s[2:3]
; %bb.93:
	v_xor_b32_e32 v2, 0xfffffbff, v0
	;; [unrolled: 43-line block ×6, first 2 shown]
	v_ashrrev_i32_e32 v3, 31, v2
	v_add_co_u32_e32 v2, vcc, v25, v2
	v_addc_co_u32_e32 v3, vcc, v31, v3, vcc
; %bb.126:
	s_andn2_saveexec_b64 s[2:3], s[2:3]
; %bb.127:
	v_add_co_u32_e32 v2, vcc, v17, v19
	v_addc_co_u32_e32 v3, vcc, 0, v4, vcc
; %bb.128:
	s_or_b64 exec, exec, s[2:3]
	s_mov_b64 s[2:3], -1
.LBB1942_129:
	s_and_saveexec_b64 s[4:5], s[2:3]
	s_cbranch_execz .LBB1942_212
.LBB1942_130:
	v_lshlrev_b64 v[2:3], 2, v[2:3]
	v_mov_b32_e32 v0, s23
	v_add_co_u32_e32 v2, vcc, s22, v2
	v_addc_co_u32_e32 v3, vcc, v0, v3, vcc
	s_waitcnt lgkmcnt(0)
	global_store_dword v[2:3], v18, off
	s_or_b64 exec, exec, s[4:5]
	s_and_b64 s[0:1], s[0:1], s[26:27]
	s_and_saveexec_b64 s[2:3], s[0:1]
	s_cbranch_execnz .LBB1942_213
.LBB1942_131:
	s_endpgm
.LBB1942_132:
	s_mov_b64 s[2:3], 0
                                        ; implicit-def: $vgpr2_vgpr3
	s_cbranch_execz .LBB1942_129
; %bb.133:
	s_add_u32 s4, s28, s42
	s_addc_u32 s5, s29, 0
	s_sub_u32 s4, s30, s4
	s_subb_u32 s5, s31, s5
	v_mov_b32_e32 v2, s5
	v_add_co_u32_e32 v3, vcc, s4, v1
	v_addc_co_u32_e32 v2, vcc, 0, v2, vcc
	v_add_co_u32_e32 v25, vcc, v3, v17
	v_addc_co_u32_e32 v31, vcc, v2, v4, vcc
	v_cmp_gt_u32_e32 vcc, s33, v0
	s_and_saveexec_b64 s[4:5], vcc
	s_cbranch_execz .LBB1942_169
; %bb.134:
	v_cmp_ge_u32_e32 vcc, v0, v1
                                        ; implicit-def: $vgpr2_vgpr3
	s_and_saveexec_b64 s[6:7], vcc
	s_xor_b64 s[6:7], exec, s[6:7]
; %bb.135:
	v_not_b32_e32 v2, v0
	v_ashrrev_i32_e32 v3, 31, v2
	v_add_co_u32_e32 v2, vcc, v25, v2
	v_addc_co_u32_e32 v3, vcc, v31, v3, vcc
; %bb.136:
	s_andn2_saveexec_b64 s[6:7], s[6:7]
; %bb.137:
	v_add_co_u32_e32 v2, vcc, v17, v0
	v_addc_co_u32_e32 v3, vcc, 0, v4, vcc
; %bb.138:
	s_or_b64 exec, exec, s[6:7]
	v_lshlrev_b64 v[2:3], 2, v[2:3]
	v_mov_b32_e32 v33, s23
	v_add_co_u32_e32 v2, vcc, s22, v2
	v_addc_co_u32_e32 v3, vcc, v33, v3, vcc
	s_waitcnt lgkmcnt(6)
	global_store_dword v[2:3], v15, off
	s_or_b64 exec, exec, s[4:5]
	v_cmp_gt_u32_e32 vcc, s33, v32
	s_and_saveexec_b64 s[4:5], vcc
	s_cbranch_execnz .LBB1942_170
.LBB1942_139:
	s_or_b64 exec, exec, s[4:5]
	v_cmp_gt_u32_e32 vcc, s33, v30
	s_and_saveexec_b64 s[4:5], vcc
	s_cbranch_execz .LBB1942_175
.LBB1942_140:
	v_cmp_ge_u32_e32 vcc, v30, v1
                                        ; implicit-def: $vgpr2_vgpr3
	s_and_saveexec_b64 s[6:7], vcc
	s_xor_b64 s[6:7], exec, s[6:7]
; %bb.141:
	v_xor_b32_e32 v2, 0xfffffdff, v0
	v_ashrrev_i32_e32 v3, 31, v2
	v_add_co_u32_e32 v2, vcc, v25, v2
	v_addc_co_u32_e32 v3, vcc, v31, v3, vcc
                                        ; implicit-def: $vgpr30
; %bb.142:
	s_andn2_saveexec_b64 s[6:7], s[6:7]
; %bb.143:
	v_add_co_u32_e32 v2, vcc, v17, v30
	v_addc_co_u32_e32 v3, vcc, 0, v4, vcc
; %bb.144:
	s_or_b64 exec, exec, s[6:7]
	v_lshlrev_b64 v[2:3], 2, v[2:3]
	s_waitcnt lgkmcnt(6)
	v_mov_b32_e32 v15, s23
	v_add_co_u32_e32 v2, vcc, s22, v2
	v_addc_co_u32_e32 v3, vcc, v15, v3, vcc
	s_waitcnt lgkmcnt(5)
	global_store_dword v[2:3], v13, off
	s_or_b64 exec, exec, s[4:5]
	v_cmp_gt_u32_e32 vcc, s33, v29
	s_and_saveexec_b64 s[4:5], vcc
	s_cbranch_execnz .LBB1942_176
.LBB1942_145:
	s_or_b64 exec, exec, s[4:5]
	v_cmp_gt_u32_e32 vcc, s33, v28
	s_and_saveexec_b64 s[4:5], vcc
	s_cbranch_execz .LBB1942_181
.LBB1942_146:
	v_cmp_ge_u32_e32 vcc, v28, v1
                                        ; implicit-def: $vgpr2_vgpr3
	s_and_saveexec_b64 s[6:7], vcc
	s_xor_b64 s[6:7], exec, s[6:7]
; %bb.147:
	v_xor_b32_e32 v2, 0xfffffbff, v0
	v_ashrrev_i32_e32 v3, 31, v2
	v_add_co_u32_e32 v2, vcc, v25, v2
	v_addc_co_u32_e32 v3, vcc, v31, v3, vcc
                                        ; implicit-def: $vgpr28
; %bb.148:
	s_andn2_saveexec_b64 s[6:7], s[6:7]
; %bb.149:
	v_add_co_u32_e32 v2, vcc, v17, v28
	v_addc_co_u32_e32 v3, vcc, 0, v4, vcc
; %bb.150:
	s_or_b64 exec, exec, s[6:7]
	v_lshlrev_b64 v[2:3], 2, v[2:3]
	s_waitcnt lgkmcnt(5)
	v_mov_b32_e32 v13, s23
	v_add_co_u32_e32 v2, vcc, s22, v2
	v_addc_co_u32_e32 v3, vcc, v13, v3, vcc
	s_waitcnt lgkmcnt(4)
	global_store_dword v[2:3], v11, off
	s_or_b64 exec, exec, s[4:5]
	v_cmp_gt_u32_e32 vcc, s33, v27
	s_and_saveexec_b64 s[4:5], vcc
	s_cbranch_execnz .LBB1942_182
.LBB1942_151:
	s_or_b64 exec, exec, s[4:5]
	v_cmp_gt_u32_e32 vcc, s33, v26
	s_and_saveexec_b64 s[4:5], vcc
	s_cbranch_execz .LBB1942_187
.LBB1942_152:
	v_cmp_ge_u32_e32 vcc, v26, v1
                                        ; implicit-def: $vgpr2_vgpr3
	s_and_saveexec_b64 s[6:7], vcc
	s_xor_b64 s[6:7], exec, s[6:7]
; %bb.153:
	v_xor_b32_e32 v2, 0xfffff9ff, v0
	v_ashrrev_i32_e32 v3, 31, v2
	v_add_co_u32_e32 v2, vcc, v25, v2
	v_addc_co_u32_e32 v3, vcc, v31, v3, vcc
                                        ; implicit-def: $vgpr26
; %bb.154:
	s_andn2_saveexec_b64 s[6:7], s[6:7]
; %bb.155:
	v_add_co_u32_e32 v2, vcc, v17, v26
	v_addc_co_u32_e32 v3, vcc, 0, v4, vcc
; %bb.156:
	s_or_b64 exec, exec, s[6:7]
	v_lshlrev_b64 v[2:3], 2, v[2:3]
	s_waitcnt lgkmcnt(4)
	v_mov_b32_e32 v11, s23
	v_add_co_u32_e32 v2, vcc, s22, v2
	v_addc_co_u32_e32 v3, vcc, v11, v3, vcc
	s_waitcnt lgkmcnt(3)
	global_store_dword v[2:3], v9, off
	s_or_b64 exec, exec, s[4:5]
	v_cmp_gt_u32_e32 vcc, s33, v24
	s_and_saveexec_b64 s[4:5], vcc
	s_cbranch_execnz .LBB1942_188
.LBB1942_157:
	s_or_b64 exec, exec, s[4:5]
	v_cmp_gt_u32_e32 vcc, s33, v23
	s_and_saveexec_b64 s[4:5], vcc
	s_cbranch_execz .LBB1942_193
.LBB1942_158:
	v_cmp_ge_u32_e32 vcc, v23, v1
                                        ; implicit-def: $vgpr2_vgpr3
	s_and_saveexec_b64 s[6:7], vcc
	s_xor_b64 s[6:7], exec, s[6:7]
; %bb.159:
	v_xor_b32_e32 v2, 0xfffff7ff, v0
	v_ashrrev_i32_e32 v3, 31, v2
	v_add_co_u32_e32 v2, vcc, v25, v2
	v_addc_co_u32_e32 v3, vcc, v31, v3, vcc
                                        ; implicit-def: $vgpr23
; %bb.160:
	s_andn2_saveexec_b64 s[6:7], s[6:7]
; %bb.161:
	v_add_co_u32_e32 v2, vcc, v17, v23
	v_addc_co_u32_e32 v3, vcc, 0, v4, vcc
; %bb.162:
	s_or_b64 exec, exec, s[6:7]
	v_lshlrev_b64 v[2:3], 2, v[2:3]
	s_waitcnt lgkmcnt(3)
	v_mov_b32_e32 v9, s23
	v_add_co_u32_e32 v2, vcc, s22, v2
	v_addc_co_u32_e32 v3, vcc, v9, v3, vcc
	s_waitcnt lgkmcnt(2)
	global_store_dword v[2:3], v7, off
	s_or_b64 exec, exec, s[4:5]
	v_cmp_gt_u32_e32 vcc, s33, v22
	s_and_saveexec_b64 s[4:5], vcc
	s_cbranch_execnz .LBB1942_194
.LBB1942_163:
	s_or_b64 exec, exec, s[4:5]
	v_cmp_gt_u32_e32 vcc, s33, v21
	s_and_saveexec_b64 s[4:5], vcc
	s_cbranch_execz .LBB1942_199
.LBB1942_164:
	v_cmp_ge_u32_e32 vcc, v21, v1
                                        ; implicit-def: $vgpr2_vgpr3
	s_and_saveexec_b64 s[6:7], vcc
	s_xor_b64 s[6:7], exec, s[6:7]
; %bb.165:
	v_xor_b32_e32 v2, 0xfffff5ff, v0
	v_ashrrev_i32_e32 v3, 31, v2
	v_add_co_u32_e32 v2, vcc, v25, v2
	v_addc_co_u32_e32 v3, vcc, v31, v3, vcc
                                        ; implicit-def: $vgpr21
; %bb.166:
	s_andn2_saveexec_b64 s[6:7], s[6:7]
; %bb.167:
	v_add_co_u32_e32 v2, vcc, v17, v21
	v_addc_co_u32_e32 v3, vcc, 0, v4, vcc
; %bb.168:
	s_or_b64 exec, exec, s[6:7]
	v_lshlrev_b64 v[2:3], 2, v[2:3]
	s_waitcnt lgkmcnt(2)
	v_mov_b32_e32 v7, s23
	v_add_co_u32_e32 v2, vcc, s22, v2
	v_addc_co_u32_e32 v3, vcc, v7, v3, vcc
	s_waitcnt lgkmcnt(1)
	global_store_dword v[2:3], v5, off
	s_or_b64 exec, exec, s[4:5]
	v_cmp_gt_u32_e32 vcc, s33, v20
	s_and_saveexec_b64 s[4:5], vcc
	s_cbranch_execz .LBB1942_205
	s_branch .LBB1942_200
.LBB1942_169:
	s_or_b64 exec, exec, s[4:5]
	v_cmp_gt_u32_e32 vcc, s33, v32
	s_and_saveexec_b64 s[4:5], vcc
	s_cbranch_execz .LBB1942_139
.LBB1942_170:
	v_cmp_ge_u32_e32 vcc, v32, v1
                                        ; implicit-def: $vgpr2_vgpr3
	s_and_saveexec_b64 s[6:7], vcc
	s_xor_b64 s[6:7], exec, s[6:7]
; %bb.171:
	v_xor_b32_e32 v2, 0xfffffeff, v0
	v_ashrrev_i32_e32 v3, 31, v2
	v_add_co_u32_e32 v2, vcc, v25, v2
	v_addc_co_u32_e32 v3, vcc, v31, v3, vcc
                                        ; implicit-def: $vgpr32
; %bb.172:
	s_andn2_saveexec_b64 s[6:7], s[6:7]
; %bb.173:
	v_add_co_u32_e32 v2, vcc, v17, v32
	v_addc_co_u32_e32 v3, vcc, 0, v4, vcc
; %bb.174:
	s_or_b64 exec, exec, s[6:7]
	v_lshlrev_b64 v[2:3], 2, v[2:3]
	s_waitcnt lgkmcnt(6)
	v_mov_b32_e32 v15, s23
	v_add_co_u32_e32 v2, vcc, s22, v2
	v_addc_co_u32_e32 v3, vcc, v15, v3, vcc
	global_store_dword v[2:3], v16, off
	s_or_b64 exec, exec, s[4:5]
	v_cmp_gt_u32_e32 vcc, s33, v30
	s_and_saveexec_b64 s[4:5], vcc
	s_cbranch_execnz .LBB1942_140
.LBB1942_175:
	s_or_b64 exec, exec, s[4:5]
	v_cmp_gt_u32_e32 vcc, s33, v29
	s_and_saveexec_b64 s[4:5], vcc
	s_cbranch_execz .LBB1942_145
.LBB1942_176:
	v_cmp_ge_u32_e32 vcc, v29, v1
                                        ; implicit-def: $vgpr2_vgpr3
	s_and_saveexec_b64 s[6:7], vcc
	s_xor_b64 s[6:7], exec, s[6:7]
; %bb.177:
	v_xor_b32_e32 v2, 0xfffffcff, v0
	v_ashrrev_i32_e32 v3, 31, v2
	v_add_co_u32_e32 v2, vcc, v25, v2
	v_addc_co_u32_e32 v3, vcc, v31, v3, vcc
                                        ; implicit-def: $vgpr29
; %bb.178:
	s_andn2_saveexec_b64 s[6:7], s[6:7]
; %bb.179:
	v_add_co_u32_e32 v2, vcc, v17, v29
	v_addc_co_u32_e32 v3, vcc, 0, v4, vcc
; %bb.180:
	s_or_b64 exec, exec, s[6:7]
	v_lshlrev_b64 v[2:3], 2, v[2:3]
	s_waitcnt lgkmcnt(5)
	v_mov_b32_e32 v13, s23
	v_add_co_u32_e32 v2, vcc, s22, v2
	v_addc_co_u32_e32 v3, vcc, v13, v3, vcc
	global_store_dword v[2:3], v14, off
	s_or_b64 exec, exec, s[4:5]
	v_cmp_gt_u32_e32 vcc, s33, v28
	s_and_saveexec_b64 s[4:5], vcc
	s_cbranch_execnz .LBB1942_146
.LBB1942_181:
	s_or_b64 exec, exec, s[4:5]
	v_cmp_gt_u32_e32 vcc, s33, v27
	s_and_saveexec_b64 s[4:5], vcc
	s_cbranch_execz .LBB1942_151
.LBB1942_182:
	v_cmp_ge_u32_e32 vcc, v27, v1
                                        ; implicit-def: $vgpr2_vgpr3
	s_and_saveexec_b64 s[6:7], vcc
	s_xor_b64 s[6:7], exec, s[6:7]
; %bb.183:
	v_xor_b32_e32 v2, 0xfffffaff, v0
	v_ashrrev_i32_e32 v3, 31, v2
	v_add_co_u32_e32 v2, vcc, v25, v2
	v_addc_co_u32_e32 v3, vcc, v31, v3, vcc
                                        ; implicit-def: $vgpr27
; %bb.184:
	s_andn2_saveexec_b64 s[6:7], s[6:7]
; %bb.185:
	v_add_co_u32_e32 v2, vcc, v17, v27
	v_addc_co_u32_e32 v3, vcc, 0, v4, vcc
; %bb.186:
	s_or_b64 exec, exec, s[6:7]
	v_lshlrev_b64 v[2:3], 2, v[2:3]
	s_waitcnt lgkmcnt(4)
	v_mov_b32_e32 v11, s23
	v_add_co_u32_e32 v2, vcc, s22, v2
	v_addc_co_u32_e32 v3, vcc, v11, v3, vcc
	global_store_dword v[2:3], v12, off
	s_or_b64 exec, exec, s[4:5]
	v_cmp_gt_u32_e32 vcc, s33, v26
	s_and_saveexec_b64 s[4:5], vcc
	s_cbranch_execnz .LBB1942_152
.LBB1942_187:
	s_or_b64 exec, exec, s[4:5]
	v_cmp_gt_u32_e32 vcc, s33, v24
	s_and_saveexec_b64 s[4:5], vcc
	s_cbranch_execz .LBB1942_157
.LBB1942_188:
	v_cmp_ge_u32_e32 vcc, v24, v1
                                        ; implicit-def: $vgpr2_vgpr3
	s_and_saveexec_b64 s[6:7], vcc
	s_xor_b64 s[6:7], exec, s[6:7]
; %bb.189:
	v_xor_b32_e32 v2, 0xfffff8ff, v0
	v_ashrrev_i32_e32 v3, 31, v2
	v_add_co_u32_e32 v2, vcc, v25, v2
	v_addc_co_u32_e32 v3, vcc, v31, v3, vcc
                                        ; implicit-def: $vgpr24
; %bb.190:
	s_andn2_saveexec_b64 s[6:7], s[6:7]
; %bb.191:
	v_add_co_u32_e32 v2, vcc, v17, v24
	v_addc_co_u32_e32 v3, vcc, 0, v4, vcc
; %bb.192:
	s_or_b64 exec, exec, s[6:7]
	v_lshlrev_b64 v[2:3], 2, v[2:3]
	s_waitcnt lgkmcnt(3)
	v_mov_b32_e32 v9, s23
	v_add_co_u32_e32 v2, vcc, s22, v2
	v_addc_co_u32_e32 v3, vcc, v9, v3, vcc
	global_store_dword v[2:3], v10, off
	s_or_b64 exec, exec, s[4:5]
	v_cmp_gt_u32_e32 vcc, s33, v23
	s_and_saveexec_b64 s[4:5], vcc
	s_cbranch_execnz .LBB1942_158
.LBB1942_193:
	s_or_b64 exec, exec, s[4:5]
	v_cmp_gt_u32_e32 vcc, s33, v22
	s_and_saveexec_b64 s[4:5], vcc
	s_cbranch_execz .LBB1942_163
.LBB1942_194:
	v_cmp_ge_u32_e32 vcc, v22, v1
                                        ; implicit-def: $vgpr2_vgpr3
	s_and_saveexec_b64 s[6:7], vcc
	s_xor_b64 s[6:7], exec, s[6:7]
; %bb.195:
	v_xor_b32_e32 v2, 0xfffff6ff, v0
	v_ashrrev_i32_e32 v3, 31, v2
	v_add_co_u32_e32 v2, vcc, v25, v2
	v_addc_co_u32_e32 v3, vcc, v31, v3, vcc
                                        ; implicit-def: $vgpr22
; %bb.196:
	s_andn2_saveexec_b64 s[6:7], s[6:7]
; %bb.197:
	v_add_co_u32_e32 v2, vcc, v17, v22
	v_addc_co_u32_e32 v3, vcc, 0, v4, vcc
; %bb.198:
	s_or_b64 exec, exec, s[6:7]
	v_lshlrev_b64 v[2:3], 2, v[2:3]
	s_waitcnt lgkmcnt(2)
	v_mov_b32_e32 v7, s23
	v_add_co_u32_e32 v2, vcc, s22, v2
	v_addc_co_u32_e32 v3, vcc, v7, v3, vcc
	global_store_dword v[2:3], v8, off
	s_or_b64 exec, exec, s[4:5]
	v_cmp_gt_u32_e32 vcc, s33, v21
	s_and_saveexec_b64 s[4:5], vcc
	s_cbranch_execnz .LBB1942_164
.LBB1942_199:
	s_or_b64 exec, exec, s[4:5]
	v_cmp_gt_u32_e32 vcc, s33, v20
	s_and_saveexec_b64 s[4:5], vcc
	s_cbranch_execz .LBB1942_205
.LBB1942_200:
	v_cmp_ge_u32_e32 vcc, v20, v1
                                        ; implicit-def: $vgpr2_vgpr3
	s_and_saveexec_b64 s[6:7], vcc
	s_xor_b64 s[6:7], exec, s[6:7]
; %bb.201:
	v_xor_b32_e32 v2, 0xfffff4ff, v0
	v_ashrrev_i32_e32 v3, 31, v2
	v_add_co_u32_e32 v2, vcc, v25, v2
	v_addc_co_u32_e32 v3, vcc, v31, v3, vcc
                                        ; implicit-def: $vgpr20
; %bb.202:
	s_andn2_saveexec_b64 s[6:7], s[6:7]
; %bb.203:
	v_add_co_u32_e32 v2, vcc, v17, v20
	v_addc_co_u32_e32 v3, vcc, 0, v4, vcc
; %bb.204:
	s_or_b64 exec, exec, s[6:7]
	v_lshlrev_b64 v[2:3], 2, v[2:3]
	s_waitcnt lgkmcnt(1)
	v_mov_b32_e32 v5, s23
	v_add_co_u32_e32 v2, vcc, s22, v2
	v_addc_co_u32_e32 v3, vcc, v5, v3, vcc
	global_store_dword v[2:3], v6, off
.LBB1942_205:
	s_or_b64 exec, exec, s[4:5]
	v_cmp_gt_u32_e32 vcc, s33, v19
                                        ; implicit-def: $vgpr2_vgpr3
	s_and_saveexec_b64 s[4:5], vcc
	s_cbranch_execz .LBB1942_211
; %bb.206:
	v_cmp_ge_u32_e32 vcc, v19, v1
                                        ; implicit-def: $vgpr2_vgpr3
	s_and_saveexec_b64 s[6:7], vcc
	s_xor_b64 s[6:7], exec, s[6:7]
; %bb.207:
	v_xor_b32_e32 v0, 0xfffff3ff, v0
	v_ashrrev_i32_e32 v3, 31, v0
	v_add_co_u32_e32 v2, vcc, v25, v0
	v_addc_co_u32_e32 v3, vcc, v31, v3, vcc
                                        ; implicit-def: $vgpr19
; %bb.208:
	s_andn2_saveexec_b64 s[6:7], s[6:7]
; %bb.209:
	v_add_co_u32_e32 v2, vcc, v17, v19
	v_addc_co_u32_e32 v3, vcc, 0, v4, vcc
; %bb.210:
	s_or_b64 exec, exec, s[6:7]
	s_or_b64 s[2:3], s[2:3], exec
.LBB1942_211:
	s_or_b64 exec, exec, s[4:5]
	s_and_saveexec_b64 s[4:5], s[2:3]
	s_cbranch_execnz .LBB1942_130
.LBB1942_212:
	s_or_b64 exec, exec, s[4:5]
	s_and_b64 s[0:1], s[0:1], s[26:27]
	s_and_saveexec_b64 s[2:3], s[0:1]
	s_cbranch_execz .LBB1942_131
.LBB1942_213:
	v_add_co_u32_e32 v0, vcc, v17, v1
	v_mov_b32_e32 v2, 0
	v_addc_co_u32_e32 v1, vcc, 0, v4, vcc
	global_store_dwordx2 v2, v[0:1], s[24:25]
	s_endpgm
	.section	.rodata,"a",@progbits
	.p2align	6, 0x0
	.amdhsa_kernel _ZN7rocprim17ROCPRIM_400000_NS6detail17trampoline_kernelINS0_13select_configILj256ELj13ELNS0_17block_load_methodE3ELS4_3ELS4_3ELNS0_20block_scan_algorithmE0ELj4294967295EEENS1_25partition_config_selectorILNS1_17partition_subalgoE3EjNS0_10empty_typeEbEEZZNS1_14partition_implILS8_3ELb0ES6_jNS0_17counting_iteratorIjlEEPS9_SE_NS0_5tupleIJPjSE_EEENSF_IJSE_SE_EEES9_SG_JZNS1_25segmented_radix_sort_implINS0_14default_configELb1EPK12hip_bfloat16PSL_PKlPlN2at6native12_GLOBAL__N_18offset_tEEE10hipError_tPvRmT1_PNSt15iterator_traitsISZ_E10value_typeET2_T3_PNS10_IS15_E10value_typeET4_jRbjT5_S1B_jjP12ihipStream_tbEUljE_EEESW_SX_SY_S15_S19_S1B_T6_T7_T9_mT8_S1D_bDpT10_ENKUlT_T0_E_clISt17integral_constantIbLb0EES1P_IbLb1EEEEDaS1L_S1M_EUlS1L_E_NS1_11comp_targetILNS1_3genE2ELNS1_11target_archE906ELNS1_3gpuE6ELNS1_3repE0EEENS1_30default_config_static_selectorELNS0_4arch9wavefront6targetE1EEEvSZ_
		.amdhsa_group_segment_fixed_size 13320
		.amdhsa_private_segment_fixed_size 0
		.amdhsa_kernarg_size 152
		.amdhsa_user_sgpr_count 6
		.amdhsa_user_sgpr_private_segment_buffer 1
		.amdhsa_user_sgpr_dispatch_ptr 0
		.amdhsa_user_sgpr_queue_ptr 0
		.amdhsa_user_sgpr_kernarg_segment_ptr 1
		.amdhsa_user_sgpr_dispatch_id 0
		.amdhsa_user_sgpr_flat_scratch_init 0
		.amdhsa_user_sgpr_private_segment_size 0
		.amdhsa_uses_dynamic_stack 0
		.amdhsa_system_sgpr_private_segment_wavefront_offset 0
		.amdhsa_system_sgpr_workgroup_id_x 1
		.amdhsa_system_sgpr_workgroup_id_y 0
		.amdhsa_system_sgpr_workgroup_id_z 0
		.amdhsa_system_sgpr_workgroup_info 0
		.amdhsa_system_vgpr_workitem_id 0
		.amdhsa_next_free_vgpr 71
		.amdhsa_next_free_sgpr 98
		.amdhsa_reserve_vcc 1
		.amdhsa_reserve_flat_scratch 0
		.amdhsa_float_round_mode_32 0
		.amdhsa_float_round_mode_16_64 0
		.amdhsa_float_denorm_mode_32 3
		.amdhsa_float_denorm_mode_16_64 3
		.amdhsa_dx10_clamp 1
		.amdhsa_ieee_mode 1
		.amdhsa_fp16_overflow 0
		.amdhsa_exception_fp_ieee_invalid_op 0
		.amdhsa_exception_fp_denorm_src 0
		.amdhsa_exception_fp_ieee_div_zero 0
		.amdhsa_exception_fp_ieee_overflow 0
		.amdhsa_exception_fp_ieee_underflow 0
		.amdhsa_exception_fp_ieee_inexact 0
		.amdhsa_exception_int_div_zero 0
	.end_amdhsa_kernel
	.section	.text._ZN7rocprim17ROCPRIM_400000_NS6detail17trampoline_kernelINS0_13select_configILj256ELj13ELNS0_17block_load_methodE3ELS4_3ELS4_3ELNS0_20block_scan_algorithmE0ELj4294967295EEENS1_25partition_config_selectorILNS1_17partition_subalgoE3EjNS0_10empty_typeEbEEZZNS1_14partition_implILS8_3ELb0ES6_jNS0_17counting_iteratorIjlEEPS9_SE_NS0_5tupleIJPjSE_EEENSF_IJSE_SE_EEES9_SG_JZNS1_25segmented_radix_sort_implINS0_14default_configELb1EPK12hip_bfloat16PSL_PKlPlN2at6native12_GLOBAL__N_18offset_tEEE10hipError_tPvRmT1_PNSt15iterator_traitsISZ_E10value_typeET2_T3_PNS10_IS15_E10value_typeET4_jRbjT5_S1B_jjP12ihipStream_tbEUljE_EEESW_SX_SY_S15_S19_S1B_T6_T7_T9_mT8_S1D_bDpT10_ENKUlT_T0_E_clISt17integral_constantIbLb0EES1P_IbLb1EEEEDaS1L_S1M_EUlS1L_E_NS1_11comp_targetILNS1_3genE2ELNS1_11target_archE906ELNS1_3gpuE6ELNS1_3repE0EEENS1_30default_config_static_selectorELNS0_4arch9wavefront6targetE1EEEvSZ_,"axG",@progbits,_ZN7rocprim17ROCPRIM_400000_NS6detail17trampoline_kernelINS0_13select_configILj256ELj13ELNS0_17block_load_methodE3ELS4_3ELS4_3ELNS0_20block_scan_algorithmE0ELj4294967295EEENS1_25partition_config_selectorILNS1_17partition_subalgoE3EjNS0_10empty_typeEbEEZZNS1_14partition_implILS8_3ELb0ES6_jNS0_17counting_iteratorIjlEEPS9_SE_NS0_5tupleIJPjSE_EEENSF_IJSE_SE_EEES9_SG_JZNS1_25segmented_radix_sort_implINS0_14default_configELb1EPK12hip_bfloat16PSL_PKlPlN2at6native12_GLOBAL__N_18offset_tEEE10hipError_tPvRmT1_PNSt15iterator_traitsISZ_E10value_typeET2_T3_PNS10_IS15_E10value_typeET4_jRbjT5_S1B_jjP12ihipStream_tbEUljE_EEESW_SX_SY_S15_S19_S1B_T6_T7_T9_mT8_S1D_bDpT10_ENKUlT_T0_E_clISt17integral_constantIbLb0EES1P_IbLb1EEEEDaS1L_S1M_EUlS1L_E_NS1_11comp_targetILNS1_3genE2ELNS1_11target_archE906ELNS1_3gpuE6ELNS1_3repE0EEENS1_30default_config_static_selectorELNS0_4arch9wavefront6targetE1EEEvSZ_,comdat
.Lfunc_end1942:
	.size	_ZN7rocprim17ROCPRIM_400000_NS6detail17trampoline_kernelINS0_13select_configILj256ELj13ELNS0_17block_load_methodE3ELS4_3ELS4_3ELNS0_20block_scan_algorithmE0ELj4294967295EEENS1_25partition_config_selectorILNS1_17partition_subalgoE3EjNS0_10empty_typeEbEEZZNS1_14partition_implILS8_3ELb0ES6_jNS0_17counting_iteratorIjlEEPS9_SE_NS0_5tupleIJPjSE_EEENSF_IJSE_SE_EEES9_SG_JZNS1_25segmented_radix_sort_implINS0_14default_configELb1EPK12hip_bfloat16PSL_PKlPlN2at6native12_GLOBAL__N_18offset_tEEE10hipError_tPvRmT1_PNSt15iterator_traitsISZ_E10value_typeET2_T3_PNS10_IS15_E10value_typeET4_jRbjT5_S1B_jjP12ihipStream_tbEUljE_EEESW_SX_SY_S15_S19_S1B_T6_T7_T9_mT8_S1D_bDpT10_ENKUlT_T0_E_clISt17integral_constantIbLb0EES1P_IbLb1EEEEDaS1L_S1M_EUlS1L_E_NS1_11comp_targetILNS1_3genE2ELNS1_11target_archE906ELNS1_3gpuE6ELNS1_3repE0EEENS1_30default_config_static_selectorELNS0_4arch9wavefront6targetE1EEEvSZ_, .Lfunc_end1942-_ZN7rocprim17ROCPRIM_400000_NS6detail17trampoline_kernelINS0_13select_configILj256ELj13ELNS0_17block_load_methodE3ELS4_3ELS4_3ELNS0_20block_scan_algorithmE0ELj4294967295EEENS1_25partition_config_selectorILNS1_17partition_subalgoE3EjNS0_10empty_typeEbEEZZNS1_14partition_implILS8_3ELb0ES6_jNS0_17counting_iteratorIjlEEPS9_SE_NS0_5tupleIJPjSE_EEENSF_IJSE_SE_EEES9_SG_JZNS1_25segmented_radix_sort_implINS0_14default_configELb1EPK12hip_bfloat16PSL_PKlPlN2at6native12_GLOBAL__N_18offset_tEEE10hipError_tPvRmT1_PNSt15iterator_traitsISZ_E10value_typeET2_T3_PNS10_IS15_E10value_typeET4_jRbjT5_S1B_jjP12ihipStream_tbEUljE_EEESW_SX_SY_S15_S19_S1B_T6_T7_T9_mT8_S1D_bDpT10_ENKUlT_T0_E_clISt17integral_constantIbLb0EES1P_IbLb1EEEEDaS1L_S1M_EUlS1L_E_NS1_11comp_targetILNS1_3genE2ELNS1_11target_archE906ELNS1_3gpuE6ELNS1_3repE0EEENS1_30default_config_static_selectorELNS0_4arch9wavefront6targetE1EEEvSZ_
                                        ; -- End function
	.set _ZN7rocprim17ROCPRIM_400000_NS6detail17trampoline_kernelINS0_13select_configILj256ELj13ELNS0_17block_load_methodE3ELS4_3ELS4_3ELNS0_20block_scan_algorithmE0ELj4294967295EEENS1_25partition_config_selectorILNS1_17partition_subalgoE3EjNS0_10empty_typeEbEEZZNS1_14partition_implILS8_3ELb0ES6_jNS0_17counting_iteratorIjlEEPS9_SE_NS0_5tupleIJPjSE_EEENSF_IJSE_SE_EEES9_SG_JZNS1_25segmented_radix_sort_implINS0_14default_configELb1EPK12hip_bfloat16PSL_PKlPlN2at6native12_GLOBAL__N_18offset_tEEE10hipError_tPvRmT1_PNSt15iterator_traitsISZ_E10value_typeET2_T3_PNS10_IS15_E10value_typeET4_jRbjT5_S1B_jjP12ihipStream_tbEUljE_EEESW_SX_SY_S15_S19_S1B_T6_T7_T9_mT8_S1D_bDpT10_ENKUlT_T0_E_clISt17integral_constantIbLb0EES1P_IbLb1EEEEDaS1L_S1M_EUlS1L_E_NS1_11comp_targetILNS1_3genE2ELNS1_11target_archE906ELNS1_3gpuE6ELNS1_3repE0EEENS1_30default_config_static_selectorELNS0_4arch9wavefront6targetE1EEEvSZ_.num_vgpr, 71
	.set _ZN7rocprim17ROCPRIM_400000_NS6detail17trampoline_kernelINS0_13select_configILj256ELj13ELNS0_17block_load_methodE3ELS4_3ELS4_3ELNS0_20block_scan_algorithmE0ELj4294967295EEENS1_25partition_config_selectorILNS1_17partition_subalgoE3EjNS0_10empty_typeEbEEZZNS1_14partition_implILS8_3ELb0ES6_jNS0_17counting_iteratorIjlEEPS9_SE_NS0_5tupleIJPjSE_EEENSF_IJSE_SE_EEES9_SG_JZNS1_25segmented_radix_sort_implINS0_14default_configELb1EPK12hip_bfloat16PSL_PKlPlN2at6native12_GLOBAL__N_18offset_tEEE10hipError_tPvRmT1_PNSt15iterator_traitsISZ_E10value_typeET2_T3_PNS10_IS15_E10value_typeET4_jRbjT5_S1B_jjP12ihipStream_tbEUljE_EEESW_SX_SY_S15_S19_S1B_T6_T7_T9_mT8_S1D_bDpT10_ENKUlT_T0_E_clISt17integral_constantIbLb0EES1P_IbLb1EEEEDaS1L_S1M_EUlS1L_E_NS1_11comp_targetILNS1_3genE2ELNS1_11target_archE906ELNS1_3gpuE6ELNS1_3repE0EEENS1_30default_config_static_selectorELNS0_4arch9wavefront6targetE1EEEvSZ_.num_agpr, 0
	.set _ZN7rocprim17ROCPRIM_400000_NS6detail17trampoline_kernelINS0_13select_configILj256ELj13ELNS0_17block_load_methodE3ELS4_3ELS4_3ELNS0_20block_scan_algorithmE0ELj4294967295EEENS1_25partition_config_selectorILNS1_17partition_subalgoE3EjNS0_10empty_typeEbEEZZNS1_14partition_implILS8_3ELb0ES6_jNS0_17counting_iteratorIjlEEPS9_SE_NS0_5tupleIJPjSE_EEENSF_IJSE_SE_EEES9_SG_JZNS1_25segmented_radix_sort_implINS0_14default_configELb1EPK12hip_bfloat16PSL_PKlPlN2at6native12_GLOBAL__N_18offset_tEEE10hipError_tPvRmT1_PNSt15iterator_traitsISZ_E10value_typeET2_T3_PNS10_IS15_E10value_typeET4_jRbjT5_S1B_jjP12ihipStream_tbEUljE_EEESW_SX_SY_S15_S19_S1B_T6_T7_T9_mT8_S1D_bDpT10_ENKUlT_T0_E_clISt17integral_constantIbLb0EES1P_IbLb1EEEEDaS1L_S1M_EUlS1L_E_NS1_11comp_targetILNS1_3genE2ELNS1_11target_archE906ELNS1_3gpuE6ELNS1_3repE0EEENS1_30default_config_static_selectorELNS0_4arch9wavefront6targetE1EEEvSZ_.numbered_sgpr, 46
	.set _ZN7rocprim17ROCPRIM_400000_NS6detail17trampoline_kernelINS0_13select_configILj256ELj13ELNS0_17block_load_methodE3ELS4_3ELS4_3ELNS0_20block_scan_algorithmE0ELj4294967295EEENS1_25partition_config_selectorILNS1_17partition_subalgoE3EjNS0_10empty_typeEbEEZZNS1_14partition_implILS8_3ELb0ES6_jNS0_17counting_iteratorIjlEEPS9_SE_NS0_5tupleIJPjSE_EEENSF_IJSE_SE_EEES9_SG_JZNS1_25segmented_radix_sort_implINS0_14default_configELb1EPK12hip_bfloat16PSL_PKlPlN2at6native12_GLOBAL__N_18offset_tEEE10hipError_tPvRmT1_PNSt15iterator_traitsISZ_E10value_typeET2_T3_PNS10_IS15_E10value_typeET4_jRbjT5_S1B_jjP12ihipStream_tbEUljE_EEESW_SX_SY_S15_S19_S1B_T6_T7_T9_mT8_S1D_bDpT10_ENKUlT_T0_E_clISt17integral_constantIbLb0EES1P_IbLb1EEEEDaS1L_S1M_EUlS1L_E_NS1_11comp_targetILNS1_3genE2ELNS1_11target_archE906ELNS1_3gpuE6ELNS1_3repE0EEENS1_30default_config_static_selectorELNS0_4arch9wavefront6targetE1EEEvSZ_.num_named_barrier, 0
	.set _ZN7rocprim17ROCPRIM_400000_NS6detail17trampoline_kernelINS0_13select_configILj256ELj13ELNS0_17block_load_methodE3ELS4_3ELS4_3ELNS0_20block_scan_algorithmE0ELj4294967295EEENS1_25partition_config_selectorILNS1_17partition_subalgoE3EjNS0_10empty_typeEbEEZZNS1_14partition_implILS8_3ELb0ES6_jNS0_17counting_iteratorIjlEEPS9_SE_NS0_5tupleIJPjSE_EEENSF_IJSE_SE_EEES9_SG_JZNS1_25segmented_radix_sort_implINS0_14default_configELb1EPK12hip_bfloat16PSL_PKlPlN2at6native12_GLOBAL__N_18offset_tEEE10hipError_tPvRmT1_PNSt15iterator_traitsISZ_E10value_typeET2_T3_PNS10_IS15_E10value_typeET4_jRbjT5_S1B_jjP12ihipStream_tbEUljE_EEESW_SX_SY_S15_S19_S1B_T6_T7_T9_mT8_S1D_bDpT10_ENKUlT_T0_E_clISt17integral_constantIbLb0EES1P_IbLb1EEEEDaS1L_S1M_EUlS1L_E_NS1_11comp_targetILNS1_3genE2ELNS1_11target_archE906ELNS1_3gpuE6ELNS1_3repE0EEENS1_30default_config_static_selectorELNS0_4arch9wavefront6targetE1EEEvSZ_.private_seg_size, 0
	.set _ZN7rocprim17ROCPRIM_400000_NS6detail17trampoline_kernelINS0_13select_configILj256ELj13ELNS0_17block_load_methodE3ELS4_3ELS4_3ELNS0_20block_scan_algorithmE0ELj4294967295EEENS1_25partition_config_selectorILNS1_17partition_subalgoE3EjNS0_10empty_typeEbEEZZNS1_14partition_implILS8_3ELb0ES6_jNS0_17counting_iteratorIjlEEPS9_SE_NS0_5tupleIJPjSE_EEENSF_IJSE_SE_EEES9_SG_JZNS1_25segmented_radix_sort_implINS0_14default_configELb1EPK12hip_bfloat16PSL_PKlPlN2at6native12_GLOBAL__N_18offset_tEEE10hipError_tPvRmT1_PNSt15iterator_traitsISZ_E10value_typeET2_T3_PNS10_IS15_E10value_typeET4_jRbjT5_S1B_jjP12ihipStream_tbEUljE_EEESW_SX_SY_S15_S19_S1B_T6_T7_T9_mT8_S1D_bDpT10_ENKUlT_T0_E_clISt17integral_constantIbLb0EES1P_IbLb1EEEEDaS1L_S1M_EUlS1L_E_NS1_11comp_targetILNS1_3genE2ELNS1_11target_archE906ELNS1_3gpuE6ELNS1_3repE0EEENS1_30default_config_static_selectorELNS0_4arch9wavefront6targetE1EEEvSZ_.uses_vcc, 1
	.set _ZN7rocprim17ROCPRIM_400000_NS6detail17trampoline_kernelINS0_13select_configILj256ELj13ELNS0_17block_load_methodE3ELS4_3ELS4_3ELNS0_20block_scan_algorithmE0ELj4294967295EEENS1_25partition_config_selectorILNS1_17partition_subalgoE3EjNS0_10empty_typeEbEEZZNS1_14partition_implILS8_3ELb0ES6_jNS0_17counting_iteratorIjlEEPS9_SE_NS0_5tupleIJPjSE_EEENSF_IJSE_SE_EEES9_SG_JZNS1_25segmented_radix_sort_implINS0_14default_configELb1EPK12hip_bfloat16PSL_PKlPlN2at6native12_GLOBAL__N_18offset_tEEE10hipError_tPvRmT1_PNSt15iterator_traitsISZ_E10value_typeET2_T3_PNS10_IS15_E10value_typeET4_jRbjT5_S1B_jjP12ihipStream_tbEUljE_EEESW_SX_SY_S15_S19_S1B_T6_T7_T9_mT8_S1D_bDpT10_ENKUlT_T0_E_clISt17integral_constantIbLb0EES1P_IbLb1EEEEDaS1L_S1M_EUlS1L_E_NS1_11comp_targetILNS1_3genE2ELNS1_11target_archE906ELNS1_3gpuE6ELNS1_3repE0EEENS1_30default_config_static_selectorELNS0_4arch9wavefront6targetE1EEEvSZ_.uses_flat_scratch, 0
	.set _ZN7rocprim17ROCPRIM_400000_NS6detail17trampoline_kernelINS0_13select_configILj256ELj13ELNS0_17block_load_methodE3ELS4_3ELS4_3ELNS0_20block_scan_algorithmE0ELj4294967295EEENS1_25partition_config_selectorILNS1_17partition_subalgoE3EjNS0_10empty_typeEbEEZZNS1_14partition_implILS8_3ELb0ES6_jNS0_17counting_iteratorIjlEEPS9_SE_NS0_5tupleIJPjSE_EEENSF_IJSE_SE_EEES9_SG_JZNS1_25segmented_radix_sort_implINS0_14default_configELb1EPK12hip_bfloat16PSL_PKlPlN2at6native12_GLOBAL__N_18offset_tEEE10hipError_tPvRmT1_PNSt15iterator_traitsISZ_E10value_typeET2_T3_PNS10_IS15_E10value_typeET4_jRbjT5_S1B_jjP12ihipStream_tbEUljE_EEESW_SX_SY_S15_S19_S1B_T6_T7_T9_mT8_S1D_bDpT10_ENKUlT_T0_E_clISt17integral_constantIbLb0EES1P_IbLb1EEEEDaS1L_S1M_EUlS1L_E_NS1_11comp_targetILNS1_3genE2ELNS1_11target_archE906ELNS1_3gpuE6ELNS1_3repE0EEENS1_30default_config_static_selectorELNS0_4arch9wavefront6targetE1EEEvSZ_.has_dyn_sized_stack, 0
	.set _ZN7rocprim17ROCPRIM_400000_NS6detail17trampoline_kernelINS0_13select_configILj256ELj13ELNS0_17block_load_methodE3ELS4_3ELS4_3ELNS0_20block_scan_algorithmE0ELj4294967295EEENS1_25partition_config_selectorILNS1_17partition_subalgoE3EjNS0_10empty_typeEbEEZZNS1_14partition_implILS8_3ELb0ES6_jNS0_17counting_iteratorIjlEEPS9_SE_NS0_5tupleIJPjSE_EEENSF_IJSE_SE_EEES9_SG_JZNS1_25segmented_radix_sort_implINS0_14default_configELb1EPK12hip_bfloat16PSL_PKlPlN2at6native12_GLOBAL__N_18offset_tEEE10hipError_tPvRmT1_PNSt15iterator_traitsISZ_E10value_typeET2_T3_PNS10_IS15_E10value_typeET4_jRbjT5_S1B_jjP12ihipStream_tbEUljE_EEESW_SX_SY_S15_S19_S1B_T6_T7_T9_mT8_S1D_bDpT10_ENKUlT_T0_E_clISt17integral_constantIbLb0EES1P_IbLb1EEEEDaS1L_S1M_EUlS1L_E_NS1_11comp_targetILNS1_3genE2ELNS1_11target_archE906ELNS1_3gpuE6ELNS1_3repE0EEENS1_30default_config_static_selectorELNS0_4arch9wavefront6targetE1EEEvSZ_.has_recursion, 0
	.set _ZN7rocprim17ROCPRIM_400000_NS6detail17trampoline_kernelINS0_13select_configILj256ELj13ELNS0_17block_load_methodE3ELS4_3ELS4_3ELNS0_20block_scan_algorithmE0ELj4294967295EEENS1_25partition_config_selectorILNS1_17partition_subalgoE3EjNS0_10empty_typeEbEEZZNS1_14partition_implILS8_3ELb0ES6_jNS0_17counting_iteratorIjlEEPS9_SE_NS0_5tupleIJPjSE_EEENSF_IJSE_SE_EEES9_SG_JZNS1_25segmented_radix_sort_implINS0_14default_configELb1EPK12hip_bfloat16PSL_PKlPlN2at6native12_GLOBAL__N_18offset_tEEE10hipError_tPvRmT1_PNSt15iterator_traitsISZ_E10value_typeET2_T3_PNS10_IS15_E10value_typeET4_jRbjT5_S1B_jjP12ihipStream_tbEUljE_EEESW_SX_SY_S15_S19_S1B_T6_T7_T9_mT8_S1D_bDpT10_ENKUlT_T0_E_clISt17integral_constantIbLb0EES1P_IbLb1EEEEDaS1L_S1M_EUlS1L_E_NS1_11comp_targetILNS1_3genE2ELNS1_11target_archE906ELNS1_3gpuE6ELNS1_3repE0EEENS1_30default_config_static_selectorELNS0_4arch9wavefront6targetE1EEEvSZ_.has_indirect_call, 0
	.section	.AMDGPU.csdata,"",@progbits
; Kernel info:
; codeLenInByte = 7548
; TotalNumSgprs: 50
; NumVgprs: 71
; ScratchSize: 0
; MemoryBound: 0
; FloatMode: 240
; IeeeMode: 1
; LDSByteSize: 13320 bytes/workgroup (compile time only)
; SGPRBlocks: 12
; VGPRBlocks: 17
; NumSGPRsForWavesPerEU: 102
; NumVGPRsForWavesPerEU: 71
; Occupancy: 3
; WaveLimiterHint : 0
; COMPUTE_PGM_RSRC2:SCRATCH_EN: 0
; COMPUTE_PGM_RSRC2:USER_SGPR: 6
; COMPUTE_PGM_RSRC2:TRAP_HANDLER: 0
; COMPUTE_PGM_RSRC2:TGID_X_EN: 1
; COMPUTE_PGM_RSRC2:TGID_Y_EN: 0
; COMPUTE_PGM_RSRC2:TGID_Z_EN: 0
; COMPUTE_PGM_RSRC2:TIDIG_COMP_CNT: 0
	.section	.text._ZN7rocprim17ROCPRIM_400000_NS6detail17trampoline_kernelINS0_13select_configILj256ELj13ELNS0_17block_load_methodE3ELS4_3ELS4_3ELNS0_20block_scan_algorithmE0ELj4294967295EEENS1_25partition_config_selectorILNS1_17partition_subalgoE3EjNS0_10empty_typeEbEEZZNS1_14partition_implILS8_3ELb0ES6_jNS0_17counting_iteratorIjlEEPS9_SE_NS0_5tupleIJPjSE_EEENSF_IJSE_SE_EEES9_SG_JZNS1_25segmented_radix_sort_implINS0_14default_configELb1EPK12hip_bfloat16PSL_PKlPlN2at6native12_GLOBAL__N_18offset_tEEE10hipError_tPvRmT1_PNSt15iterator_traitsISZ_E10value_typeET2_T3_PNS10_IS15_E10value_typeET4_jRbjT5_S1B_jjP12ihipStream_tbEUljE_EEESW_SX_SY_S15_S19_S1B_T6_T7_T9_mT8_S1D_bDpT10_ENKUlT_T0_E_clISt17integral_constantIbLb0EES1P_IbLb1EEEEDaS1L_S1M_EUlS1L_E_NS1_11comp_targetILNS1_3genE10ELNS1_11target_archE1200ELNS1_3gpuE4ELNS1_3repE0EEENS1_30default_config_static_selectorELNS0_4arch9wavefront6targetE1EEEvSZ_,"axG",@progbits,_ZN7rocprim17ROCPRIM_400000_NS6detail17trampoline_kernelINS0_13select_configILj256ELj13ELNS0_17block_load_methodE3ELS4_3ELS4_3ELNS0_20block_scan_algorithmE0ELj4294967295EEENS1_25partition_config_selectorILNS1_17partition_subalgoE3EjNS0_10empty_typeEbEEZZNS1_14partition_implILS8_3ELb0ES6_jNS0_17counting_iteratorIjlEEPS9_SE_NS0_5tupleIJPjSE_EEENSF_IJSE_SE_EEES9_SG_JZNS1_25segmented_radix_sort_implINS0_14default_configELb1EPK12hip_bfloat16PSL_PKlPlN2at6native12_GLOBAL__N_18offset_tEEE10hipError_tPvRmT1_PNSt15iterator_traitsISZ_E10value_typeET2_T3_PNS10_IS15_E10value_typeET4_jRbjT5_S1B_jjP12ihipStream_tbEUljE_EEESW_SX_SY_S15_S19_S1B_T6_T7_T9_mT8_S1D_bDpT10_ENKUlT_T0_E_clISt17integral_constantIbLb0EES1P_IbLb1EEEEDaS1L_S1M_EUlS1L_E_NS1_11comp_targetILNS1_3genE10ELNS1_11target_archE1200ELNS1_3gpuE4ELNS1_3repE0EEENS1_30default_config_static_selectorELNS0_4arch9wavefront6targetE1EEEvSZ_,comdat
	.globl	_ZN7rocprim17ROCPRIM_400000_NS6detail17trampoline_kernelINS0_13select_configILj256ELj13ELNS0_17block_load_methodE3ELS4_3ELS4_3ELNS0_20block_scan_algorithmE0ELj4294967295EEENS1_25partition_config_selectorILNS1_17partition_subalgoE3EjNS0_10empty_typeEbEEZZNS1_14partition_implILS8_3ELb0ES6_jNS0_17counting_iteratorIjlEEPS9_SE_NS0_5tupleIJPjSE_EEENSF_IJSE_SE_EEES9_SG_JZNS1_25segmented_radix_sort_implINS0_14default_configELb1EPK12hip_bfloat16PSL_PKlPlN2at6native12_GLOBAL__N_18offset_tEEE10hipError_tPvRmT1_PNSt15iterator_traitsISZ_E10value_typeET2_T3_PNS10_IS15_E10value_typeET4_jRbjT5_S1B_jjP12ihipStream_tbEUljE_EEESW_SX_SY_S15_S19_S1B_T6_T7_T9_mT8_S1D_bDpT10_ENKUlT_T0_E_clISt17integral_constantIbLb0EES1P_IbLb1EEEEDaS1L_S1M_EUlS1L_E_NS1_11comp_targetILNS1_3genE10ELNS1_11target_archE1200ELNS1_3gpuE4ELNS1_3repE0EEENS1_30default_config_static_selectorELNS0_4arch9wavefront6targetE1EEEvSZ_ ; -- Begin function _ZN7rocprim17ROCPRIM_400000_NS6detail17trampoline_kernelINS0_13select_configILj256ELj13ELNS0_17block_load_methodE3ELS4_3ELS4_3ELNS0_20block_scan_algorithmE0ELj4294967295EEENS1_25partition_config_selectorILNS1_17partition_subalgoE3EjNS0_10empty_typeEbEEZZNS1_14partition_implILS8_3ELb0ES6_jNS0_17counting_iteratorIjlEEPS9_SE_NS0_5tupleIJPjSE_EEENSF_IJSE_SE_EEES9_SG_JZNS1_25segmented_radix_sort_implINS0_14default_configELb1EPK12hip_bfloat16PSL_PKlPlN2at6native12_GLOBAL__N_18offset_tEEE10hipError_tPvRmT1_PNSt15iterator_traitsISZ_E10value_typeET2_T3_PNS10_IS15_E10value_typeET4_jRbjT5_S1B_jjP12ihipStream_tbEUljE_EEESW_SX_SY_S15_S19_S1B_T6_T7_T9_mT8_S1D_bDpT10_ENKUlT_T0_E_clISt17integral_constantIbLb0EES1P_IbLb1EEEEDaS1L_S1M_EUlS1L_E_NS1_11comp_targetILNS1_3genE10ELNS1_11target_archE1200ELNS1_3gpuE4ELNS1_3repE0EEENS1_30default_config_static_selectorELNS0_4arch9wavefront6targetE1EEEvSZ_
	.p2align	8
	.type	_ZN7rocprim17ROCPRIM_400000_NS6detail17trampoline_kernelINS0_13select_configILj256ELj13ELNS0_17block_load_methodE3ELS4_3ELS4_3ELNS0_20block_scan_algorithmE0ELj4294967295EEENS1_25partition_config_selectorILNS1_17partition_subalgoE3EjNS0_10empty_typeEbEEZZNS1_14partition_implILS8_3ELb0ES6_jNS0_17counting_iteratorIjlEEPS9_SE_NS0_5tupleIJPjSE_EEENSF_IJSE_SE_EEES9_SG_JZNS1_25segmented_radix_sort_implINS0_14default_configELb1EPK12hip_bfloat16PSL_PKlPlN2at6native12_GLOBAL__N_18offset_tEEE10hipError_tPvRmT1_PNSt15iterator_traitsISZ_E10value_typeET2_T3_PNS10_IS15_E10value_typeET4_jRbjT5_S1B_jjP12ihipStream_tbEUljE_EEESW_SX_SY_S15_S19_S1B_T6_T7_T9_mT8_S1D_bDpT10_ENKUlT_T0_E_clISt17integral_constantIbLb0EES1P_IbLb1EEEEDaS1L_S1M_EUlS1L_E_NS1_11comp_targetILNS1_3genE10ELNS1_11target_archE1200ELNS1_3gpuE4ELNS1_3repE0EEENS1_30default_config_static_selectorELNS0_4arch9wavefront6targetE1EEEvSZ_,@function
_ZN7rocprim17ROCPRIM_400000_NS6detail17trampoline_kernelINS0_13select_configILj256ELj13ELNS0_17block_load_methodE3ELS4_3ELS4_3ELNS0_20block_scan_algorithmE0ELj4294967295EEENS1_25partition_config_selectorILNS1_17partition_subalgoE3EjNS0_10empty_typeEbEEZZNS1_14partition_implILS8_3ELb0ES6_jNS0_17counting_iteratorIjlEEPS9_SE_NS0_5tupleIJPjSE_EEENSF_IJSE_SE_EEES9_SG_JZNS1_25segmented_radix_sort_implINS0_14default_configELb1EPK12hip_bfloat16PSL_PKlPlN2at6native12_GLOBAL__N_18offset_tEEE10hipError_tPvRmT1_PNSt15iterator_traitsISZ_E10value_typeET2_T3_PNS10_IS15_E10value_typeET4_jRbjT5_S1B_jjP12ihipStream_tbEUljE_EEESW_SX_SY_S15_S19_S1B_T6_T7_T9_mT8_S1D_bDpT10_ENKUlT_T0_E_clISt17integral_constantIbLb0EES1P_IbLb1EEEEDaS1L_S1M_EUlS1L_E_NS1_11comp_targetILNS1_3genE10ELNS1_11target_archE1200ELNS1_3gpuE4ELNS1_3repE0EEENS1_30default_config_static_selectorELNS0_4arch9wavefront6targetE1EEEvSZ_: ; @_ZN7rocprim17ROCPRIM_400000_NS6detail17trampoline_kernelINS0_13select_configILj256ELj13ELNS0_17block_load_methodE3ELS4_3ELS4_3ELNS0_20block_scan_algorithmE0ELj4294967295EEENS1_25partition_config_selectorILNS1_17partition_subalgoE3EjNS0_10empty_typeEbEEZZNS1_14partition_implILS8_3ELb0ES6_jNS0_17counting_iteratorIjlEEPS9_SE_NS0_5tupleIJPjSE_EEENSF_IJSE_SE_EEES9_SG_JZNS1_25segmented_radix_sort_implINS0_14default_configELb1EPK12hip_bfloat16PSL_PKlPlN2at6native12_GLOBAL__N_18offset_tEEE10hipError_tPvRmT1_PNSt15iterator_traitsISZ_E10value_typeET2_T3_PNS10_IS15_E10value_typeET4_jRbjT5_S1B_jjP12ihipStream_tbEUljE_EEESW_SX_SY_S15_S19_S1B_T6_T7_T9_mT8_S1D_bDpT10_ENKUlT_T0_E_clISt17integral_constantIbLb0EES1P_IbLb1EEEEDaS1L_S1M_EUlS1L_E_NS1_11comp_targetILNS1_3genE10ELNS1_11target_archE1200ELNS1_3gpuE4ELNS1_3repE0EEENS1_30default_config_static_selectorELNS0_4arch9wavefront6targetE1EEEvSZ_
; %bb.0:
	.section	.rodata,"a",@progbits
	.p2align	6, 0x0
	.amdhsa_kernel _ZN7rocprim17ROCPRIM_400000_NS6detail17trampoline_kernelINS0_13select_configILj256ELj13ELNS0_17block_load_methodE3ELS4_3ELS4_3ELNS0_20block_scan_algorithmE0ELj4294967295EEENS1_25partition_config_selectorILNS1_17partition_subalgoE3EjNS0_10empty_typeEbEEZZNS1_14partition_implILS8_3ELb0ES6_jNS0_17counting_iteratorIjlEEPS9_SE_NS0_5tupleIJPjSE_EEENSF_IJSE_SE_EEES9_SG_JZNS1_25segmented_radix_sort_implINS0_14default_configELb1EPK12hip_bfloat16PSL_PKlPlN2at6native12_GLOBAL__N_18offset_tEEE10hipError_tPvRmT1_PNSt15iterator_traitsISZ_E10value_typeET2_T3_PNS10_IS15_E10value_typeET4_jRbjT5_S1B_jjP12ihipStream_tbEUljE_EEESW_SX_SY_S15_S19_S1B_T6_T7_T9_mT8_S1D_bDpT10_ENKUlT_T0_E_clISt17integral_constantIbLb0EES1P_IbLb1EEEEDaS1L_S1M_EUlS1L_E_NS1_11comp_targetILNS1_3genE10ELNS1_11target_archE1200ELNS1_3gpuE4ELNS1_3repE0EEENS1_30default_config_static_selectorELNS0_4arch9wavefront6targetE1EEEvSZ_
		.amdhsa_group_segment_fixed_size 0
		.amdhsa_private_segment_fixed_size 0
		.amdhsa_kernarg_size 152
		.amdhsa_user_sgpr_count 6
		.amdhsa_user_sgpr_private_segment_buffer 1
		.amdhsa_user_sgpr_dispatch_ptr 0
		.amdhsa_user_sgpr_queue_ptr 0
		.amdhsa_user_sgpr_kernarg_segment_ptr 1
		.amdhsa_user_sgpr_dispatch_id 0
		.amdhsa_user_sgpr_flat_scratch_init 0
		.amdhsa_user_sgpr_private_segment_size 0
		.amdhsa_uses_dynamic_stack 0
		.amdhsa_system_sgpr_private_segment_wavefront_offset 0
		.amdhsa_system_sgpr_workgroup_id_x 1
		.amdhsa_system_sgpr_workgroup_id_y 0
		.amdhsa_system_sgpr_workgroup_id_z 0
		.amdhsa_system_sgpr_workgroup_info 0
		.amdhsa_system_vgpr_workitem_id 0
		.amdhsa_next_free_vgpr 1
		.amdhsa_next_free_sgpr 0
		.amdhsa_reserve_vcc 0
		.amdhsa_reserve_flat_scratch 0
		.amdhsa_float_round_mode_32 0
		.amdhsa_float_round_mode_16_64 0
		.amdhsa_float_denorm_mode_32 3
		.amdhsa_float_denorm_mode_16_64 3
		.amdhsa_dx10_clamp 1
		.amdhsa_ieee_mode 1
		.amdhsa_fp16_overflow 0
		.amdhsa_exception_fp_ieee_invalid_op 0
		.amdhsa_exception_fp_denorm_src 0
		.amdhsa_exception_fp_ieee_div_zero 0
		.amdhsa_exception_fp_ieee_overflow 0
		.amdhsa_exception_fp_ieee_underflow 0
		.amdhsa_exception_fp_ieee_inexact 0
		.amdhsa_exception_int_div_zero 0
	.end_amdhsa_kernel
	.section	.text._ZN7rocprim17ROCPRIM_400000_NS6detail17trampoline_kernelINS0_13select_configILj256ELj13ELNS0_17block_load_methodE3ELS4_3ELS4_3ELNS0_20block_scan_algorithmE0ELj4294967295EEENS1_25partition_config_selectorILNS1_17partition_subalgoE3EjNS0_10empty_typeEbEEZZNS1_14partition_implILS8_3ELb0ES6_jNS0_17counting_iteratorIjlEEPS9_SE_NS0_5tupleIJPjSE_EEENSF_IJSE_SE_EEES9_SG_JZNS1_25segmented_radix_sort_implINS0_14default_configELb1EPK12hip_bfloat16PSL_PKlPlN2at6native12_GLOBAL__N_18offset_tEEE10hipError_tPvRmT1_PNSt15iterator_traitsISZ_E10value_typeET2_T3_PNS10_IS15_E10value_typeET4_jRbjT5_S1B_jjP12ihipStream_tbEUljE_EEESW_SX_SY_S15_S19_S1B_T6_T7_T9_mT8_S1D_bDpT10_ENKUlT_T0_E_clISt17integral_constantIbLb0EES1P_IbLb1EEEEDaS1L_S1M_EUlS1L_E_NS1_11comp_targetILNS1_3genE10ELNS1_11target_archE1200ELNS1_3gpuE4ELNS1_3repE0EEENS1_30default_config_static_selectorELNS0_4arch9wavefront6targetE1EEEvSZ_,"axG",@progbits,_ZN7rocprim17ROCPRIM_400000_NS6detail17trampoline_kernelINS0_13select_configILj256ELj13ELNS0_17block_load_methodE3ELS4_3ELS4_3ELNS0_20block_scan_algorithmE0ELj4294967295EEENS1_25partition_config_selectorILNS1_17partition_subalgoE3EjNS0_10empty_typeEbEEZZNS1_14partition_implILS8_3ELb0ES6_jNS0_17counting_iteratorIjlEEPS9_SE_NS0_5tupleIJPjSE_EEENSF_IJSE_SE_EEES9_SG_JZNS1_25segmented_radix_sort_implINS0_14default_configELb1EPK12hip_bfloat16PSL_PKlPlN2at6native12_GLOBAL__N_18offset_tEEE10hipError_tPvRmT1_PNSt15iterator_traitsISZ_E10value_typeET2_T3_PNS10_IS15_E10value_typeET4_jRbjT5_S1B_jjP12ihipStream_tbEUljE_EEESW_SX_SY_S15_S19_S1B_T6_T7_T9_mT8_S1D_bDpT10_ENKUlT_T0_E_clISt17integral_constantIbLb0EES1P_IbLb1EEEEDaS1L_S1M_EUlS1L_E_NS1_11comp_targetILNS1_3genE10ELNS1_11target_archE1200ELNS1_3gpuE4ELNS1_3repE0EEENS1_30default_config_static_selectorELNS0_4arch9wavefront6targetE1EEEvSZ_,comdat
.Lfunc_end1943:
	.size	_ZN7rocprim17ROCPRIM_400000_NS6detail17trampoline_kernelINS0_13select_configILj256ELj13ELNS0_17block_load_methodE3ELS4_3ELS4_3ELNS0_20block_scan_algorithmE0ELj4294967295EEENS1_25partition_config_selectorILNS1_17partition_subalgoE3EjNS0_10empty_typeEbEEZZNS1_14partition_implILS8_3ELb0ES6_jNS0_17counting_iteratorIjlEEPS9_SE_NS0_5tupleIJPjSE_EEENSF_IJSE_SE_EEES9_SG_JZNS1_25segmented_radix_sort_implINS0_14default_configELb1EPK12hip_bfloat16PSL_PKlPlN2at6native12_GLOBAL__N_18offset_tEEE10hipError_tPvRmT1_PNSt15iterator_traitsISZ_E10value_typeET2_T3_PNS10_IS15_E10value_typeET4_jRbjT5_S1B_jjP12ihipStream_tbEUljE_EEESW_SX_SY_S15_S19_S1B_T6_T7_T9_mT8_S1D_bDpT10_ENKUlT_T0_E_clISt17integral_constantIbLb0EES1P_IbLb1EEEEDaS1L_S1M_EUlS1L_E_NS1_11comp_targetILNS1_3genE10ELNS1_11target_archE1200ELNS1_3gpuE4ELNS1_3repE0EEENS1_30default_config_static_selectorELNS0_4arch9wavefront6targetE1EEEvSZ_, .Lfunc_end1943-_ZN7rocprim17ROCPRIM_400000_NS6detail17trampoline_kernelINS0_13select_configILj256ELj13ELNS0_17block_load_methodE3ELS4_3ELS4_3ELNS0_20block_scan_algorithmE0ELj4294967295EEENS1_25partition_config_selectorILNS1_17partition_subalgoE3EjNS0_10empty_typeEbEEZZNS1_14partition_implILS8_3ELb0ES6_jNS0_17counting_iteratorIjlEEPS9_SE_NS0_5tupleIJPjSE_EEENSF_IJSE_SE_EEES9_SG_JZNS1_25segmented_radix_sort_implINS0_14default_configELb1EPK12hip_bfloat16PSL_PKlPlN2at6native12_GLOBAL__N_18offset_tEEE10hipError_tPvRmT1_PNSt15iterator_traitsISZ_E10value_typeET2_T3_PNS10_IS15_E10value_typeET4_jRbjT5_S1B_jjP12ihipStream_tbEUljE_EEESW_SX_SY_S15_S19_S1B_T6_T7_T9_mT8_S1D_bDpT10_ENKUlT_T0_E_clISt17integral_constantIbLb0EES1P_IbLb1EEEEDaS1L_S1M_EUlS1L_E_NS1_11comp_targetILNS1_3genE10ELNS1_11target_archE1200ELNS1_3gpuE4ELNS1_3repE0EEENS1_30default_config_static_selectorELNS0_4arch9wavefront6targetE1EEEvSZ_
                                        ; -- End function
	.set _ZN7rocprim17ROCPRIM_400000_NS6detail17trampoline_kernelINS0_13select_configILj256ELj13ELNS0_17block_load_methodE3ELS4_3ELS4_3ELNS0_20block_scan_algorithmE0ELj4294967295EEENS1_25partition_config_selectorILNS1_17partition_subalgoE3EjNS0_10empty_typeEbEEZZNS1_14partition_implILS8_3ELb0ES6_jNS0_17counting_iteratorIjlEEPS9_SE_NS0_5tupleIJPjSE_EEENSF_IJSE_SE_EEES9_SG_JZNS1_25segmented_radix_sort_implINS0_14default_configELb1EPK12hip_bfloat16PSL_PKlPlN2at6native12_GLOBAL__N_18offset_tEEE10hipError_tPvRmT1_PNSt15iterator_traitsISZ_E10value_typeET2_T3_PNS10_IS15_E10value_typeET4_jRbjT5_S1B_jjP12ihipStream_tbEUljE_EEESW_SX_SY_S15_S19_S1B_T6_T7_T9_mT8_S1D_bDpT10_ENKUlT_T0_E_clISt17integral_constantIbLb0EES1P_IbLb1EEEEDaS1L_S1M_EUlS1L_E_NS1_11comp_targetILNS1_3genE10ELNS1_11target_archE1200ELNS1_3gpuE4ELNS1_3repE0EEENS1_30default_config_static_selectorELNS0_4arch9wavefront6targetE1EEEvSZ_.num_vgpr, 0
	.set _ZN7rocprim17ROCPRIM_400000_NS6detail17trampoline_kernelINS0_13select_configILj256ELj13ELNS0_17block_load_methodE3ELS4_3ELS4_3ELNS0_20block_scan_algorithmE0ELj4294967295EEENS1_25partition_config_selectorILNS1_17partition_subalgoE3EjNS0_10empty_typeEbEEZZNS1_14partition_implILS8_3ELb0ES6_jNS0_17counting_iteratorIjlEEPS9_SE_NS0_5tupleIJPjSE_EEENSF_IJSE_SE_EEES9_SG_JZNS1_25segmented_radix_sort_implINS0_14default_configELb1EPK12hip_bfloat16PSL_PKlPlN2at6native12_GLOBAL__N_18offset_tEEE10hipError_tPvRmT1_PNSt15iterator_traitsISZ_E10value_typeET2_T3_PNS10_IS15_E10value_typeET4_jRbjT5_S1B_jjP12ihipStream_tbEUljE_EEESW_SX_SY_S15_S19_S1B_T6_T7_T9_mT8_S1D_bDpT10_ENKUlT_T0_E_clISt17integral_constantIbLb0EES1P_IbLb1EEEEDaS1L_S1M_EUlS1L_E_NS1_11comp_targetILNS1_3genE10ELNS1_11target_archE1200ELNS1_3gpuE4ELNS1_3repE0EEENS1_30default_config_static_selectorELNS0_4arch9wavefront6targetE1EEEvSZ_.num_agpr, 0
	.set _ZN7rocprim17ROCPRIM_400000_NS6detail17trampoline_kernelINS0_13select_configILj256ELj13ELNS0_17block_load_methodE3ELS4_3ELS4_3ELNS0_20block_scan_algorithmE0ELj4294967295EEENS1_25partition_config_selectorILNS1_17partition_subalgoE3EjNS0_10empty_typeEbEEZZNS1_14partition_implILS8_3ELb0ES6_jNS0_17counting_iteratorIjlEEPS9_SE_NS0_5tupleIJPjSE_EEENSF_IJSE_SE_EEES9_SG_JZNS1_25segmented_radix_sort_implINS0_14default_configELb1EPK12hip_bfloat16PSL_PKlPlN2at6native12_GLOBAL__N_18offset_tEEE10hipError_tPvRmT1_PNSt15iterator_traitsISZ_E10value_typeET2_T3_PNS10_IS15_E10value_typeET4_jRbjT5_S1B_jjP12ihipStream_tbEUljE_EEESW_SX_SY_S15_S19_S1B_T6_T7_T9_mT8_S1D_bDpT10_ENKUlT_T0_E_clISt17integral_constantIbLb0EES1P_IbLb1EEEEDaS1L_S1M_EUlS1L_E_NS1_11comp_targetILNS1_3genE10ELNS1_11target_archE1200ELNS1_3gpuE4ELNS1_3repE0EEENS1_30default_config_static_selectorELNS0_4arch9wavefront6targetE1EEEvSZ_.numbered_sgpr, 0
	.set _ZN7rocprim17ROCPRIM_400000_NS6detail17trampoline_kernelINS0_13select_configILj256ELj13ELNS0_17block_load_methodE3ELS4_3ELS4_3ELNS0_20block_scan_algorithmE0ELj4294967295EEENS1_25partition_config_selectorILNS1_17partition_subalgoE3EjNS0_10empty_typeEbEEZZNS1_14partition_implILS8_3ELb0ES6_jNS0_17counting_iteratorIjlEEPS9_SE_NS0_5tupleIJPjSE_EEENSF_IJSE_SE_EEES9_SG_JZNS1_25segmented_radix_sort_implINS0_14default_configELb1EPK12hip_bfloat16PSL_PKlPlN2at6native12_GLOBAL__N_18offset_tEEE10hipError_tPvRmT1_PNSt15iterator_traitsISZ_E10value_typeET2_T3_PNS10_IS15_E10value_typeET4_jRbjT5_S1B_jjP12ihipStream_tbEUljE_EEESW_SX_SY_S15_S19_S1B_T6_T7_T9_mT8_S1D_bDpT10_ENKUlT_T0_E_clISt17integral_constantIbLb0EES1P_IbLb1EEEEDaS1L_S1M_EUlS1L_E_NS1_11comp_targetILNS1_3genE10ELNS1_11target_archE1200ELNS1_3gpuE4ELNS1_3repE0EEENS1_30default_config_static_selectorELNS0_4arch9wavefront6targetE1EEEvSZ_.num_named_barrier, 0
	.set _ZN7rocprim17ROCPRIM_400000_NS6detail17trampoline_kernelINS0_13select_configILj256ELj13ELNS0_17block_load_methodE3ELS4_3ELS4_3ELNS0_20block_scan_algorithmE0ELj4294967295EEENS1_25partition_config_selectorILNS1_17partition_subalgoE3EjNS0_10empty_typeEbEEZZNS1_14partition_implILS8_3ELb0ES6_jNS0_17counting_iteratorIjlEEPS9_SE_NS0_5tupleIJPjSE_EEENSF_IJSE_SE_EEES9_SG_JZNS1_25segmented_radix_sort_implINS0_14default_configELb1EPK12hip_bfloat16PSL_PKlPlN2at6native12_GLOBAL__N_18offset_tEEE10hipError_tPvRmT1_PNSt15iterator_traitsISZ_E10value_typeET2_T3_PNS10_IS15_E10value_typeET4_jRbjT5_S1B_jjP12ihipStream_tbEUljE_EEESW_SX_SY_S15_S19_S1B_T6_T7_T9_mT8_S1D_bDpT10_ENKUlT_T0_E_clISt17integral_constantIbLb0EES1P_IbLb1EEEEDaS1L_S1M_EUlS1L_E_NS1_11comp_targetILNS1_3genE10ELNS1_11target_archE1200ELNS1_3gpuE4ELNS1_3repE0EEENS1_30default_config_static_selectorELNS0_4arch9wavefront6targetE1EEEvSZ_.private_seg_size, 0
	.set _ZN7rocprim17ROCPRIM_400000_NS6detail17trampoline_kernelINS0_13select_configILj256ELj13ELNS0_17block_load_methodE3ELS4_3ELS4_3ELNS0_20block_scan_algorithmE0ELj4294967295EEENS1_25partition_config_selectorILNS1_17partition_subalgoE3EjNS0_10empty_typeEbEEZZNS1_14partition_implILS8_3ELb0ES6_jNS0_17counting_iteratorIjlEEPS9_SE_NS0_5tupleIJPjSE_EEENSF_IJSE_SE_EEES9_SG_JZNS1_25segmented_radix_sort_implINS0_14default_configELb1EPK12hip_bfloat16PSL_PKlPlN2at6native12_GLOBAL__N_18offset_tEEE10hipError_tPvRmT1_PNSt15iterator_traitsISZ_E10value_typeET2_T3_PNS10_IS15_E10value_typeET4_jRbjT5_S1B_jjP12ihipStream_tbEUljE_EEESW_SX_SY_S15_S19_S1B_T6_T7_T9_mT8_S1D_bDpT10_ENKUlT_T0_E_clISt17integral_constantIbLb0EES1P_IbLb1EEEEDaS1L_S1M_EUlS1L_E_NS1_11comp_targetILNS1_3genE10ELNS1_11target_archE1200ELNS1_3gpuE4ELNS1_3repE0EEENS1_30default_config_static_selectorELNS0_4arch9wavefront6targetE1EEEvSZ_.uses_vcc, 0
	.set _ZN7rocprim17ROCPRIM_400000_NS6detail17trampoline_kernelINS0_13select_configILj256ELj13ELNS0_17block_load_methodE3ELS4_3ELS4_3ELNS0_20block_scan_algorithmE0ELj4294967295EEENS1_25partition_config_selectorILNS1_17partition_subalgoE3EjNS0_10empty_typeEbEEZZNS1_14partition_implILS8_3ELb0ES6_jNS0_17counting_iteratorIjlEEPS9_SE_NS0_5tupleIJPjSE_EEENSF_IJSE_SE_EEES9_SG_JZNS1_25segmented_radix_sort_implINS0_14default_configELb1EPK12hip_bfloat16PSL_PKlPlN2at6native12_GLOBAL__N_18offset_tEEE10hipError_tPvRmT1_PNSt15iterator_traitsISZ_E10value_typeET2_T3_PNS10_IS15_E10value_typeET4_jRbjT5_S1B_jjP12ihipStream_tbEUljE_EEESW_SX_SY_S15_S19_S1B_T6_T7_T9_mT8_S1D_bDpT10_ENKUlT_T0_E_clISt17integral_constantIbLb0EES1P_IbLb1EEEEDaS1L_S1M_EUlS1L_E_NS1_11comp_targetILNS1_3genE10ELNS1_11target_archE1200ELNS1_3gpuE4ELNS1_3repE0EEENS1_30default_config_static_selectorELNS0_4arch9wavefront6targetE1EEEvSZ_.uses_flat_scratch, 0
	.set _ZN7rocprim17ROCPRIM_400000_NS6detail17trampoline_kernelINS0_13select_configILj256ELj13ELNS0_17block_load_methodE3ELS4_3ELS4_3ELNS0_20block_scan_algorithmE0ELj4294967295EEENS1_25partition_config_selectorILNS1_17partition_subalgoE3EjNS0_10empty_typeEbEEZZNS1_14partition_implILS8_3ELb0ES6_jNS0_17counting_iteratorIjlEEPS9_SE_NS0_5tupleIJPjSE_EEENSF_IJSE_SE_EEES9_SG_JZNS1_25segmented_radix_sort_implINS0_14default_configELb1EPK12hip_bfloat16PSL_PKlPlN2at6native12_GLOBAL__N_18offset_tEEE10hipError_tPvRmT1_PNSt15iterator_traitsISZ_E10value_typeET2_T3_PNS10_IS15_E10value_typeET4_jRbjT5_S1B_jjP12ihipStream_tbEUljE_EEESW_SX_SY_S15_S19_S1B_T6_T7_T9_mT8_S1D_bDpT10_ENKUlT_T0_E_clISt17integral_constantIbLb0EES1P_IbLb1EEEEDaS1L_S1M_EUlS1L_E_NS1_11comp_targetILNS1_3genE10ELNS1_11target_archE1200ELNS1_3gpuE4ELNS1_3repE0EEENS1_30default_config_static_selectorELNS0_4arch9wavefront6targetE1EEEvSZ_.has_dyn_sized_stack, 0
	.set _ZN7rocprim17ROCPRIM_400000_NS6detail17trampoline_kernelINS0_13select_configILj256ELj13ELNS0_17block_load_methodE3ELS4_3ELS4_3ELNS0_20block_scan_algorithmE0ELj4294967295EEENS1_25partition_config_selectorILNS1_17partition_subalgoE3EjNS0_10empty_typeEbEEZZNS1_14partition_implILS8_3ELb0ES6_jNS0_17counting_iteratorIjlEEPS9_SE_NS0_5tupleIJPjSE_EEENSF_IJSE_SE_EEES9_SG_JZNS1_25segmented_radix_sort_implINS0_14default_configELb1EPK12hip_bfloat16PSL_PKlPlN2at6native12_GLOBAL__N_18offset_tEEE10hipError_tPvRmT1_PNSt15iterator_traitsISZ_E10value_typeET2_T3_PNS10_IS15_E10value_typeET4_jRbjT5_S1B_jjP12ihipStream_tbEUljE_EEESW_SX_SY_S15_S19_S1B_T6_T7_T9_mT8_S1D_bDpT10_ENKUlT_T0_E_clISt17integral_constantIbLb0EES1P_IbLb1EEEEDaS1L_S1M_EUlS1L_E_NS1_11comp_targetILNS1_3genE10ELNS1_11target_archE1200ELNS1_3gpuE4ELNS1_3repE0EEENS1_30default_config_static_selectorELNS0_4arch9wavefront6targetE1EEEvSZ_.has_recursion, 0
	.set _ZN7rocprim17ROCPRIM_400000_NS6detail17trampoline_kernelINS0_13select_configILj256ELj13ELNS0_17block_load_methodE3ELS4_3ELS4_3ELNS0_20block_scan_algorithmE0ELj4294967295EEENS1_25partition_config_selectorILNS1_17partition_subalgoE3EjNS0_10empty_typeEbEEZZNS1_14partition_implILS8_3ELb0ES6_jNS0_17counting_iteratorIjlEEPS9_SE_NS0_5tupleIJPjSE_EEENSF_IJSE_SE_EEES9_SG_JZNS1_25segmented_radix_sort_implINS0_14default_configELb1EPK12hip_bfloat16PSL_PKlPlN2at6native12_GLOBAL__N_18offset_tEEE10hipError_tPvRmT1_PNSt15iterator_traitsISZ_E10value_typeET2_T3_PNS10_IS15_E10value_typeET4_jRbjT5_S1B_jjP12ihipStream_tbEUljE_EEESW_SX_SY_S15_S19_S1B_T6_T7_T9_mT8_S1D_bDpT10_ENKUlT_T0_E_clISt17integral_constantIbLb0EES1P_IbLb1EEEEDaS1L_S1M_EUlS1L_E_NS1_11comp_targetILNS1_3genE10ELNS1_11target_archE1200ELNS1_3gpuE4ELNS1_3repE0EEENS1_30default_config_static_selectorELNS0_4arch9wavefront6targetE1EEEvSZ_.has_indirect_call, 0
	.section	.AMDGPU.csdata,"",@progbits
; Kernel info:
; codeLenInByte = 0
; TotalNumSgprs: 4
; NumVgprs: 0
; ScratchSize: 0
; MemoryBound: 0
; FloatMode: 240
; IeeeMode: 1
; LDSByteSize: 0 bytes/workgroup (compile time only)
; SGPRBlocks: 0
; VGPRBlocks: 0
; NumSGPRsForWavesPerEU: 4
; NumVGPRsForWavesPerEU: 1
; Occupancy: 10
; WaveLimiterHint : 0
; COMPUTE_PGM_RSRC2:SCRATCH_EN: 0
; COMPUTE_PGM_RSRC2:USER_SGPR: 6
; COMPUTE_PGM_RSRC2:TRAP_HANDLER: 0
; COMPUTE_PGM_RSRC2:TGID_X_EN: 1
; COMPUTE_PGM_RSRC2:TGID_Y_EN: 0
; COMPUTE_PGM_RSRC2:TGID_Z_EN: 0
; COMPUTE_PGM_RSRC2:TIDIG_COMP_CNT: 0
	.section	.text._ZN7rocprim17ROCPRIM_400000_NS6detail17trampoline_kernelINS0_13select_configILj256ELj13ELNS0_17block_load_methodE3ELS4_3ELS4_3ELNS0_20block_scan_algorithmE0ELj4294967295EEENS1_25partition_config_selectorILNS1_17partition_subalgoE3EjNS0_10empty_typeEbEEZZNS1_14partition_implILS8_3ELb0ES6_jNS0_17counting_iteratorIjlEEPS9_SE_NS0_5tupleIJPjSE_EEENSF_IJSE_SE_EEES9_SG_JZNS1_25segmented_radix_sort_implINS0_14default_configELb1EPK12hip_bfloat16PSL_PKlPlN2at6native12_GLOBAL__N_18offset_tEEE10hipError_tPvRmT1_PNSt15iterator_traitsISZ_E10value_typeET2_T3_PNS10_IS15_E10value_typeET4_jRbjT5_S1B_jjP12ihipStream_tbEUljE_EEESW_SX_SY_S15_S19_S1B_T6_T7_T9_mT8_S1D_bDpT10_ENKUlT_T0_E_clISt17integral_constantIbLb0EES1P_IbLb1EEEEDaS1L_S1M_EUlS1L_E_NS1_11comp_targetILNS1_3genE9ELNS1_11target_archE1100ELNS1_3gpuE3ELNS1_3repE0EEENS1_30default_config_static_selectorELNS0_4arch9wavefront6targetE1EEEvSZ_,"axG",@progbits,_ZN7rocprim17ROCPRIM_400000_NS6detail17trampoline_kernelINS0_13select_configILj256ELj13ELNS0_17block_load_methodE3ELS4_3ELS4_3ELNS0_20block_scan_algorithmE0ELj4294967295EEENS1_25partition_config_selectorILNS1_17partition_subalgoE3EjNS0_10empty_typeEbEEZZNS1_14partition_implILS8_3ELb0ES6_jNS0_17counting_iteratorIjlEEPS9_SE_NS0_5tupleIJPjSE_EEENSF_IJSE_SE_EEES9_SG_JZNS1_25segmented_radix_sort_implINS0_14default_configELb1EPK12hip_bfloat16PSL_PKlPlN2at6native12_GLOBAL__N_18offset_tEEE10hipError_tPvRmT1_PNSt15iterator_traitsISZ_E10value_typeET2_T3_PNS10_IS15_E10value_typeET4_jRbjT5_S1B_jjP12ihipStream_tbEUljE_EEESW_SX_SY_S15_S19_S1B_T6_T7_T9_mT8_S1D_bDpT10_ENKUlT_T0_E_clISt17integral_constantIbLb0EES1P_IbLb1EEEEDaS1L_S1M_EUlS1L_E_NS1_11comp_targetILNS1_3genE9ELNS1_11target_archE1100ELNS1_3gpuE3ELNS1_3repE0EEENS1_30default_config_static_selectorELNS0_4arch9wavefront6targetE1EEEvSZ_,comdat
	.globl	_ZN7rocprim17ROCPRIM_400000_NS6detail17trampoline_kernelINS0_13select_configILj256ELj13ELNS0_17block_load_methodE3ELS4_3ELS4_3ELNS0_20block_scan_algorithmE0ELj4294967295EEENS1_25partition_config_selectorILNS1_17partition_subalgoE3EjNS0_10empty_typeEbEEZZNS1_14partition_implILS8_3ELb0ES6_jNS0_17counting_iteratorIjlEEPS9_SE_NS0_5tupleIJPjSE_EEENSF_IJSE_SE_EEES9_SG_JZNS1_25segmented_radix_sort_implINS0_14default_configELb1EPK12hip_bfloat16PSL_PKlPlN2at6native12_GLOBAL__N_18offset_tEEE10hipError_tPvRmT1_PNSt15iterator_traitsISZ_E10value_typeET2_T3_PNS10_IS15_E10value_typeET4_jRbjT5_S1B_jjP12ihipStream_tbEUljE_EEESW_SX_SY_S15_S19_S1B_T6_T7_T9_mT8_S1D_bDpT10_ENKUlT_T0_E_clISt17integral_constantIbLb0EES1P_IbLb1EEEEDaS1L_S1M_EUlS1L_E_NS1_11comp_targetILNS1_3genE9ELNS1_11target_archE1100ELNS1_3gpuE3ELNS1_3repE0EEENS1_30default_config_static_selectorELNS0_4arch9wavefront6targetE1EEEvSZ_ ; -- Begin function _ZN7rocprim17ROCPRIM_400000_NS6detail17trampoline_kernelINS0_13select_configILj256ELj13ELNS0_17block_load_methodE3ELS4_3ELS4_3ELNS0_20block_scan_algorithmE0ELj4294967295EEENS1_25partition_config_selectorILNS1_17partition_subalgoE3EjNS0_10empty_typeEbEEZZNS1_14partition_implILS8_3ELb0ES6_jNS0_17counting_iteratorIjlEEPS9_SE_NS0_5tupleIJPjSE_EEENSF_IJSE_SE_EEES9_SG_JZNS1_25segmented_radix_sort_implINS0_14default_configELb1EPK12hip_bfloat16PSL_PKlPlN2at6native12_GLOBAL__N_18offset_tEEE10hipError_tPvRmT1_PNSt15iterator_traitsISZ_E10value_typeET2_T3_PNS10_IS15_E10value_typeET4_jRbjT5_S1B_jjP12ihipStream_tbEUljE_EEESW_SX_SY_S15_S19_S1B_T6_T7_T9_mT8_S1D_bDpT10_ENKUlT_T0_E_clISt17integral_constantIbLb0EES1P_IbLb1EEEEDaS1L_S1M_EUlS1L_E_NS1_11comp_targetILNS1_3genE9ELNS1_11target_archE1100ELNS1_3gpuE3ELNS1_3repE0EEENS1_30default_config_static_selectorELNS0_4arch9wavefront6targetE1EEEvSZ_
	.p2align	8
	.type	_ZN7rocprim17ROCPRIM_400000_NS6detail17trampoline_kernelINS0_13select_configILj256ELj13ELNS0_17block_load_methodE3ELS4_3ELS4_3ELNS0_20block_scan_algorithmE0ELj4294967295EEENS1_25partition_config_selectorILNS1_17partition_subalgoE3EjNS0_10empty_typeEbEEZZNS1_14partition_implILS8_3ELb0ES6_jNS0_17counting_iteratorIjlEEPS9_SE_NS0_5tupleIJPjSE_EEENSF_IJSE_SE_EEES9_SG_JZNS1_25segmented_radix_sort_implINS0_14default_configELb1EPK12hip_bfloat16PSL_PKlPlN2at6native12_GLOBAL__N_18offset_tEEE10hipError_tPvRmT1_PNSt15iterator_traitsISZ_E10value_typeET2_T3_PNS10_IS15_E10value_typeET4_jRbjT5_S1B_jjP12ihipStream_tbEUljE_EEESW_SX_SY_S15_S19_S1B_T6_T7_T9_mT8_S1D_bDpT10_ENKUlT_T0_E_clISt17integral_constantIbLb0EES1P_IbLb1EEEEDaS1L_S1M_EUlS1L_E_NS1_11comp_targetILNS1_3genE9ELNS1_11target_archE1100ELNS1_3gpuE3ELNS1_3repE0EEENS1_30default_config_static_selectorELNS0_4arch9wavefront6targetE1EEEvSZ_,@function
_ZN7rocprim17ROCPRIM_400000_NS6detail17trampoline_kernelINS0_13select_configILj256ELj13ELNS0_17block_load_methodE3ELS4_3ELS4_3ELNS0_20block_scan_algorithmE0ELj4294967295EEENS1_25partition_config_selectorILNS1_17partition_subalgoE3EjNS0_10empty_typeEbEEZZNS1_14partition_implILS8_3ELb0ES6_jNS0_17counting_iteratorIjlEEPS9_SE_NS0_5tupleIJPjSE_EEENSF_IJSE_SE_EEES9_SG_JZNS1_25segmented_radix_sort_implINS0_14default_configELb1EPK12hip_bfloat16PSL_PKlPlN2at6native12_GLOBAL__N_18offset_tEEE10hipError_tPvRmT1_PNSt15iterator_traitsISZ_E10value_typeET2_T3_PNS10_IS15_E10value_typeET4_jRbjT5_S1B_jjP12ihipStream_tbEUljE_EEESW_SX_SY_S15_S19_S1B_T6_T7_T9_mT8_S1D_bDpT10_ENKUlT_T0_E_clISt17integral_constantIbLb0EES1P_IbLb1EEEEDaS1L_S1M_EUlS1L_E_NS1_11comp_targetILNS1_3genE9ELNS1_11target_archE1100ELNS1_3gpuE3ELNS1_3repE0EEENS1_30default_config_static_selectorELNS0_4arch9wavefront6targetE1EEEvSZ_: ; @_ZN7rocprim17ROCPRIM_400000_NS6detail17trampoline_kernelINS0_13select_configILj256ELj13ELNS0_17block_load_methodE3ELS4_3ELS4_3ELNS0_20block_scan_algorithmE0ELj4294967295EEENS1_25partition_config_selectorILNS1_17partition_subalgoE3EjNS0_10empty_typeEbEEZZNS1_14partition_implILS8_3ELb0ES6_jNS0_17counting_iteratorIjlEEPS9_SE_NS0_5tupleIJPjSE_EEENSF_IJSE_SE_EEES9_SG_JZNS1_25segmented_radix_sort_implINS0_14default_configELb1EPK12hip_bfloat16PSL_PKlPlN2at6native12_GLOBAL__N_18offset_tEEE10hipError_tPvRmT1_PNSt15iterator_traitsISZ_E10value_typeET2_T3_PNS10_IS15_E10value_typeET4_jRbjT5_S1B_jjP12ihipStream_tbEUljE_EEESW_SX_SY_S15_S19_S1B_T6_T7_T9_mT8_S1D_bDpT10_ENKUlT_T0_E_clISt17integral_constantIbLb0EES1P_IbLb1EEEEDaS1L_S1M_EUlS1L_E_NS1_11comp_targetILNS1_3genE9ELNS1_11target_archE1100ELNS1_3gpuE3ELNS1_3repE0EEENS1_30default_config_static_selectorELNS0_4arch9wavefront6targetE1EEEvSZ_
; %bb.0:
	.section	.rodata,"a",@progbits
	.p2align	6, 0x0
	.amdhsa_kernel _ZN7rocprim17ROCPRIM_400000_NS6detail17trampoline_kernelINS0_13select_configILj256ELj13ELNS0_17block_load_methodE3ELS4_3ELS4_3ELNS0_20block_scan_algorithmE0ELj4294967295EEENS1_25partition_config_selectorILNS1_17partition_subalgoE3EjNS0_10empty_typeEbEEZZNS1_14partition_implILS8_3ELb0ES6_jNS0_17counting_iteratorIjlEEPS9_SE_NS0_5tupleIJPjSE_EEENSF_IJSE_SE_EEES9_SG_JZNS1_25segmented_radix_sort_implINS0_14default_configELb1EPK12hip_bfloat16PSL_PKlPlN2at6native12_GLOBAL__N_18offset_tEEE10hipError_tPvRmT1_PNSt15iterator_traitsISZ_E10value_typeET2_T3_PNS10_IS15_E10value_typeET4_jRbjT5_S1B_jjP12ihipStream_tbEUljE_EEESW_SX_SY_S15_S19_S1B_T6_T7_T9_mT8_S1D_bDpT10_ENKUlT_T0_E_clISt17integral_constantIbLb0EES1P_IbLb1EEEEDaS1L_S1M_EUlS1L_E_NS1_11comp_targetILNS1_3genE9ELNS1_11target_archE1100ELNS1_3gpuE3ELNS1_3repE0EEENS1_30default_config_static_selectorELNS0_4arch9wavefront6targetE1EEEvSZ_
		.amdhsa_group_segment_fixed_size 0
		.amdhsa_private_segment_fixed_size 0
		.amdhsa_kernarg_size 152
		.amdhsa_user_sgpr_count 6
		.amdhsa_user_sgpr_private_segment_buffer 1
		.amdhsa_user_sgpr_dispatch_ptr 0
		.amdhsa_user_sgpr_queue_ptr 0
		.amdhsa_user_sgpr_kernarg_segment_ptr 1
		.amdhsa_user_sgpr_dispatch_id 0
		.amdhsa_user_sgpr_flat_scratch_init 0
		.amdhsa_user_sgpr_private_segment_size 0
		.amdhsa_uses_dynamic_stack 0
		.amdhsa_system_sgpr_private_segment_wavefront_offset 0
		.amdhsa_system_sgpr_workgroup_id_x 1
		.amdhsa_system_sgpr_workgroup_id_y 0
		.amdhsa_system_sgpr_workgroup_id_z 0
		.amdhsa_system_sgpr_workgroup_info 0
		.amdhsa_system_vgpr_workitem_id 0
		.amdhsa_next_free_vgpr 1
		.amdhsa_next_free_sgpr 0
		.amdhsa_reserve_vcc 0
		.amdhsa_reserve_flat_scratch 0
		.amdhsa_float_round_mode_32 0
		.amdhsa_float_round_mode_16_64 0
		.amdhsa_float_denorm_mode_32 3
		.amdhsa_float_denorm_mode_16_64 3
		.amdhsa_dx10_clamp 1
		.amdhsa_ieee_mode 1
		.amdhsa_fp16_overflow 0
		.amdhsa_exception_fp_ieee_invalid_op 0
		.amdhsa_exception_fp_denorm_src 0
		.amdhsa_exception_fp_ieee_div_zero 0
		.amdhsa_exception_fp_ieee_overflow 0
		.amdhsa_exception_fp_ieee_underflow 0
		.amdhsa_exception_fp_ieee_inexact 0
		.amdhsa_exception_int_div_zero 0
	.end_amdhsa_kernel
	.section	.text._ZN7rocprim17ROCPRIM_400000_NS6detail17trampoline_kernelINS0_13select_configILj256ELj13ELNS0_17block_load_methodE3ELS4_3ELS4_3ELNS0_20block_scan_algorithmE0ELj4294967295EEENS1_25partition_config_selectorILNS1_17partition_subalgoE3EjNS0_10empty_typeEbEEZZNS1_14partition_implILS8_3ELb0ES6_jNS0_17counting_iteratorIjlEEPS9_SE_NS0_5tupleIJPjSE_EEENSF_IJSE_SE_EEES9_SG_JZNS1_25segmented_radix_sort_implINS0_14default_configELb1EPK12hip_bfloat16PSL_PKlPlN2at6native12_GLOBAL__N_18offset_tEEE10hipError_tPvRmT1_PNSt15iterator_traitsISZ_E10value_typeET2_T3_PNS10_IS15_E10value_typeET4_jRbjT5_S1B_jjP12ihipStream_tbEUljE_EEESW_SX_SY_S15_S19_S1B_T6_T7_T9_mT8_S1D_bDpT10_ENKUlT_T0_E_clISt17integral_constantIbLb0EES1P_IbLb1EEEEDaS1L_S1M_EUlS1L_E_NS1_11comp_targetILNS1_3genE9ELNS1_11target_archE1100ELNS1_3gpuE3ELNS1_3repE0EEENS1_30default_config_static_selectorELNS0_4arch9wavefront6targetE1EEEvSZ_,"axG",@progbits,_ZN7rocprim17ROCPRIM_400000_NS6detail17trampoline_kernelINS0_13select_configILj256ELj13ELNS0_17block_load_methodE3ELS4_3ELS4_3ELNS0_20block_scan_algorithmE0ELj4294967295EEENS1_25partition_config_selectorILNS1_17partition_subalgoE3EjNS0_10empty_typeEbEEZZNS1_14partition_implILS8_3ELb0ES6_jNS0_17counting_iteratorIjlEEPS9_SE_NS0_5tupleIJPjSE_EEENSF_IJSE_SE_EEES9_SG_JZNS1_25segmented_radix_sort_implINS0_14default_configELb1EPK12hip_bfloat16PSL_PKlPlN2at6native12_GLOBAL__N_18offset_tEEE10hipError_tPvRmT1_PNSt15iterator_traitsISZ_E10value_typeET2_T3_PNS10_IS15_E10value_typeET4_jRbjT5_S1B_jjP12ihipStream_tbEUljE_EEESW_SX_SY_S15_S19_S1B_T6_T7_T9_mT8_S1D_bDpT10_ENKUlT_T0_E_clISt17integral_constantIbLb0EES1P_IbLb1EEEEDaS1L_S1M_EUlS1L_E_NS1_11comp_targetILNS1_3genE9ELNS1_11target_archE1100ELNS1_3gpuE3ELNS1_3repE0EEENS1_30default_config_static_selectorELNS0_4arch9wavefront6targetE1EEEvSZ_,comdat
.Lfunc_end1944:
	.size	_ZN7rocprim17ROCPRIM_400000_NS6detail17trampoline_kernelINS0_13select_configILj256ELj13ELNS0_17block_load_methodE3ELS4_3ELS4_3ELNS0_20block_scan_algorithmE0ELj4294967295EEENS1_25partition_config_selectorILNS1_17partition_subalgoE3EjNS0_10empty_typeEbEEZZNS1_14partition_implILS8_3ELb0ES6_jNS0_17counting_iteratorIjlEEPS9_SE_NS0_5tupleIJPjSE_EEENSF_IJSE_SE_EEES9_SG_JZNS1_25segmented_radix_sort_implINS0_14default_configELb1EPK12hip_bfloat16PSL_PKlPlN2at6native12_GLOBAL__N_18offset_tEEE10hipError_tPvRmT1_PNSt15iterator_traitsISZ_E10value_typeET2_T3_PNS10_IS15_E10value_typeET4_jRbjT5_S1B_jjP12ihipStream_tbEUljE_EEESW_SX_SY_S15_S19_S1B_T6_T7_T9_mT8_S1D_bDpT10_ENKUlT_T0_E_clISt17integral_constantIbLb0EES1P_IbLb1EEEEDaS1L_S1M_EUlS1L_E_NS1_11comp_targetILNS1_3genE9ELNS1_11target_archE1100ELNS1_3gpuE3ELNS1_3repE0EEENS1_30default_config_static_selectorELNS0_4arch9wavefront6targetE1EEEvSZ_, .Lfunc_end1944-_ZN7rocprim17ROCPRIM_400000_NS6detail17trampoline_kernelINS0_13select_configILj256ELj13ELNS0_17block_load_methodE3ELS4_3ELS4_3ELNS0_20block_scan_algorithmE0ELj4294967295EEENS1_25partition_config_selectorILNS1_17partition_subalgoE3EjNS0_10empty_typeEbEEZZNS1_14partition_implILS8_3ELb0ES6_jNS0_17counting_iteratorIjlEEPS9_SE_NS0_5tupleIJPjSE_EEENSF_IJSE_SE_EEES9_SG_JZNS1_25segmented_radix_sort_implINS0_14default_configELb1EPK12hip_bfloat16PSL_PKlPlN2at6native12_GLOBAL__N_18offset_tEEE10hipError_tPvRmT1_PNSt15iterator_traitsISZ_E10value_typeET2_T3_PNS10_IS15_E10value_typeET4_jRbjT5_S1B_jjP12ihipStream_tbEUljE_EEESW_SX_SY_S15_S19_S1B_T6_T7_T9_mT8_S1D_bDpT10_ENKUlT_T0_E_clISt17integral_constantIbLb0EES1P_IbLb1EEEEDaS1L_S1M_EUlS1L_E_NS1_11comp_targetILNS1_3genE9ELNS1_11target_archE1100ELNS1_3gpuE3ELNS1_3repE0EEENS1_30default_config_static_selectorELNS0_4arch9wavefront6targetE1EEEvSZ_
                                        ; -- End function
	.set _ZN7rocprim17ROCPRIM_400000_NS6detail17trampoline_kernelINS0_13select_configILj256ELj13ELNS0_17block_load_methodE3ELS4_3ELS4_3ELNS0_20block_scan_algorithmE0ELj4294967295EEENS1_25partition_config_selectorILNS1_17partition_subalgoE3EjNS0_10empty_typeEbEEZZNS1_14partition_implILS8_3ELb0ES6_jNS0_17counting_iteratorIjlEEPS9_SE_NS0_5tupleIJPjSE_EEENSF_IJSE_SE_EEES9_SG_JZNS1_25segmented_radix_sort_implINS0_14default_configELb1EPK12hip_bfloat16PSL_PKlPlN2at6native12_GLOBAL__N_18offset_tEEE10hipError_tPvRmT1_PNSt15iterator_traitsISZ_E10value_typeET2_T3_PNS10_IS15_E10value_typeET4_jRbjT5_S1B_jjP12ihipStream_tbEUljE_EEESW_SX_SY_S15_S19_S1B_T6_T7_T9_mT8_S1D_bDpT10_ENKUlT_T0_E_clISt17integral_constantIbLb0EES1P_IbLb1EEEEDaS1L_S1M_EUlS1L_E_NS1_11comp_targetILNS1_3genE9ELNS1_11target_archE1100ELNS1_3gpuE3ELNS1_3repE0EEENS1_30default_config_static_selectorELNS0_4arch9wavefront6targetE1EEEvSZ_.num_vgpr, 0
	.set _ZN7rocprim17ROCPRIM_400000_NS6detail17trampoline_kernelINS0_13select_configILj256ELj13ELNS0_17block_load_methodE3ELS4_3ELS4_3ELNS0_20block_scan_algorithmE0ELj4294967295EEENS1_25partition_config_selectorILNS1_17partition_subalgoE3EjNS0_10empty_typeEbEEZZNS1_14partition_implILS8_3ELb0ES6_jNS0_17counting_iteratorIjlEEPS9_SE_NS0_5tupleIJPjSE_EEENSF_IJSE_SE_EEES9_SG_JZNS1_25segmented_radix_sort_implINS0_14default_configELb1EPK12hip_bfloat16PSL_PKlPlN2at6native12_GLOBAL__N_18offset_tEEE10hipError_tPvRmT1_PNSt15iterator_traitsISZ_E10value_typeET2_T3_PNS10_IS15_E10value_typeET4_jRbjT5_S1B_jjP12ihipStream_tbEUljE_EEESW_SX_SY_S15_S19_S1B_T6_T7_T9_mT8_S1D_bDpT10_ENKUlT_T0_E_clISt17integral_constantIbLb0EES1P_IbLb1EEEEDaS1L_S1M_EUlS1L_E_NS1_11comp_targetILNS1_3genE9ELNS1_11target_archE1100ELNS1_3gpuE3ELNS1_3repE0EEENS1_30default_config_static_selectorELNS0_4arch9wavefront6targetE1EEEvSZ_.num_agpr, 0
	.set _ZN7rocprim17ROCPRIM_400000_NS6detail17trampoline_kernelINS0_13select_configILj256ELj13ELNS0_17block_load_methodE3ELS4_3ELS4_3ELNS0_20block_scan_algorithmE0ELj4294967295EEENS1_25partition_config_selectorILNS1_17partition_subalgoE3EjNS0_10empty_typeEbEEZZNS1_14partition_implILS8_3ELb0ES6_jNS0_17counting_iteratorIjlEEPS9_SE_NS0_5tupleIJPjSE_EEENSF_IJSE_SE_EEES9_SG_JZNS1_25segmented_radix_sort_implINS0_14default_configELb1EPK12hip_bfloat16PSL_PKlPlN2at6native12_GLOBAL__N_18offset_tEEE10hipError_tPvRmT1_PNSt15iterator_traitsISZ_E10value_typeET2_T3_PNS10_IS15_E10value_typeET4_jRbjT5_S1B_jjP12ihipStream_tbEUljE_EEESW_SX_SY_S15_S19_S1B_T6_T7_T9_mT8_S1D_bDpT10_ENKUlT_T0_E_clISt17integral_constantIbLb0EES1P_IbLb1EEEEDaS1L_S1M_EUlS1L_E_NS1_11comp_targetILNS1_3genE9ELNS1_11target_archE1100ELNS1_3gpuE3ELNS1_3repE0EEENS1_30default_config_static_selectorELNS0_4arch9wavefront6targetE1EEEvSZ_.numbered_sgpr, 0
	.set _ZN7rocprim17ROCPRIM_400000_NS6detail17trampoline_kernelINS0_13select_configILj256ELj13ELNS0_17block_load_methodE3ELS4_3ELS4_3ELNS0_20block_scan_algorithmE0ELj4294967295EEENS1_25partition_config_selectorILNS1_17partition_subalgoE3EjNS0_10empty_typeEbEEZZNS1_14partition_implILS8_3ELb0ES6_jNS0_17counting_iteratorIjlEEPS9_SE_NS0_5tupleIJPjSE_EEENSF_IJSE_SE_EEES9_SG_JZNS1_25segmented_radix_sort_implINS0_14default_configELb1EPK12hip_bfloat16PSL_PKlPlN2at6native12_GLOBAL__N_18offset_tEEE10hipError_tPvRmT1_PNSt15iterator_traitsISZ_E10value_typeET2_T3_PNS10_IS15_E10value_typeET4_jRbjT5_S1B_jjP12ihipStream_tbEUljE_EEESW_SX_SY_S15_S19_S1B_T6_T7_T9_mT8_S1D_bDpT10_ENKUlT_T0_E_clISt17integral_constantIbLb0EES1P_IbLb1EEEEDaS1L_S1M_EUlS1L_E_NS1_11comp_targetILNS1_3genE9ELNS1_11target_archE1100ELNS1_3gpuE3ELNS1_3repE0EEENS1_30default_config_static_selectorELNS0_4arch9wavefront6targetE1EEEvSZ_.num_named_barrier, 0
	.set _ZN7rocprim17ROCPRIM_400000_NS6detail17trampoline_kernelINS0_13select_configILj256ELj13ELNS0_17block_load_methodE3ELS4_3ELS4_3ELNS0_20block_scan_algorithmE0ELj4294967295EEENS1_25partition_config_selectorILNS1_17partition_subalgoE3EjNS0_10empty_typeEbEEZZNS1_14partition_implILS8_3ELb0ES6_jNS0_17counting_iteratorIjlEEPS9_SE_NS0_5tupleIJPjSE_EEENSF_IJSE_SE_EEES9_SG_JZNS1_25segmented_radix_sort_implINS0_14default_configELb1EPK12hip_bfloat16PSL_PKlPlN2at6native12_GLOBAL__N_18offset_tEEE10hipError_tPvRmT1_PNSt15iterator_traitsISZ_E10value_typeET2_T3_PNS10_IS15_E10value_typeET4_jRbjT5_S1B_jjP12ihipStream_tbEUljE_EEESW_SX_SY_S15_S19_S1B_T6_T7_T9_mT8_S1D_bDpT10_ENKUlT_T0_E_clISt17integral_constantIbLb0EES1P_IbLb1EEEEDaS1L_S1M_EUlS1L_E_NS1_11comp_targetILNS1_3genE9ELNS1_11target_archE1100ELNS1_3gpuE3ELNS1_3repE0EEENS1_30default_config_static_selectorELNS0_4arch9wavefront6targetE1EEEvSZ_.private_seg_size, 0
	.set _ZN7rocprim17ROCPRIM_400000_NS6detail17trampoline_kernelINS0_13select_configILj256ELj13ELNS0_17block_load_methodE3ELS4_3ELS4_3ELNS0_20block_scan_algorithmE0ELj4294967295EEENS1_25partition_config_selectorILNS1_17partition_subalgoE3EjNS0_10empty_typeEbEEZZNS1_14partition_implILS8_3ELb0ES6_jNS0_17counting_iteratorIjlEEPS9_SE_NS0_5tupleIJPjSE_EEENSF_IJSE_SE_EEES9_SG_JZNS1_25segmented_radix_sort_implINS0_14default_configELb1EPK12hip_bfloat16PSL_PKlPlN2at6native12_GLOBAL__N_18offset_tEEE10hipError_tPvRmT1_PNSt15iterator_traitsISZ_E10value_typeET2_T3_PNS10_IS15_E10value_typeET4_jRbjT5_S1B_jjP12ihipStream_tbEUljE_EEESW_SX_SY_S15_S19_S1B_T6_T7_T9_mT8_S1D_bDpT10_ENKUlT_T0_E_clISt17integral_constantIbLb0EES1P_IbLb1EEEEDaS1L_S1M_EUlS1L_E_NS1_11comp_targetILNS1_3genE9ELNS1_11target_archE1100ELNS1_3gpuE3ELNS1_3repE0EEENS1_30default_config_static_selectorELNS0_4arch9wavefront6targetE1EEEvSZ_.uses_vcc, 0
	.set _ZN7rocprim17ROCPRIM_400000_NS6detail17trampoline_kernelINS0_13select_configILj256ELj13ELNS0_17block_load_methodE3ELS4_3ELS4_3ELNS0_20block_scan_algorithmE0ELj4294967295EEENS1_25partition_config_selectorILNS1_17partition_subalgoE3EjNS0_10empty_typeEbEEZZNS1_14partition_implILS8_3ELb0ES6_jNS0_17counting_iteratorIjlEEPS9_SE_NS0_5tupleIJPjSE_EEENSF_IJSE_SE_EEES9_SG_JZNS1_25segmented_radix_sort_implINS0_14default_configELb1EPK12hip_bfloat16PSL_PKlPlN2at6native12_GLOBAL__N_18offset_tEEE10hipError_tPvRmT1_PNSt15iterator_traitsISZ_E10value_typeET2_T3_PNS10_IS15_E10value_typeET4_jRbjT5_S1B_jjP12ihipStream_tbEUljE_EEESW_SX_SY_S15_S19_S1B_T6_T7_T9_mT8_S1D_bDpT10_ENKUlT_T0_E_clISt17integral_constantIbLb0EES1P_IbLb1EEEEDaS1L_S1M_EUlS1L_E_NS1_11comp_targetILNS1_3genE9ELNS1_11target_archE1100ELNS1_3gpuE3ELNS1_3repE0EEENS1_30default_config_static_selectorELNS0_4arch9wavefront6targetE1EEEvSZ_.uses_flat_scratch, 0
	.set _ZN7rocprim17ROCPRIM_400000_NS6detail17trampoline_kernelINS0_13select_configILj256ELj13ELNS0_17block_load_methodE3ELS4_3ELS4_3ELNS0_20block_scan_algorithmE0ELj4294967295EEENS1_25partition_config_selectorILNS1_17partition_subalgoE3EjNS0_10empty_typeEbEEZZNS1_14partition_implILS8_3ELb0ES6_jNS0_17counting_iteratorIjlEEPS9_SE_NS0_5tupleIJPjSE_EEENSF_IJSE_SE_EEES9_SG_JZNS1_25segmented_radix_sort_implINS0_14default_configELb1EPK12hip_bfloat16PSL_PKlPlN2at6native12_GLOBAL__N_18offset_tEEE10hipError_tPvRmT1_PNSt15iterator_traitsISZ_E10value_typeET2_T3_PNS10_IS15_E10value_typeET4_jRbjT5_S1B_jjP12ihipStream_tbEUljE_EEESW_SX_SY_S15_S19_S1B_T6_T7_T9_mT8_S1D_bDpT10_ENKUlT_T0_E_clISt17integral_constantIbLb0EES1P_IbLb1EEEEDaS1L_S1M_EUlS1L_E_NS1_11comp_targetILNS1_3genE9ELNS1_11target_archE1100ELNS1_3gpuE3ELNS1_3repE0EEENS1_30default_config_static_selectorELNS0_4arch9wavefront6targetE1EEEvSZ_.has_dyn_sized_stack, 0
	.set _ZN7rocprim17ROCPRIM_400000_NS6detail17trampoline_kernelINS0_13select_configILj256ELj13ELNS0_17block_load_methodE3ELS4_3ELS4_3ELNS0_20block_scan_algorithmE0ELj4294967295EEENS1_25partition_config_selectorILNS1_17partition_subalgoE3EjNS0_10empty_typeEbEEZZNS1_14partition_implILS8_3ELb0ES6_jNS0_17counting_iteratorIjlEEPS9_SE_NS0_5tupleIJPjSE_EEENSF_IJSE_SE_EEES9_SG_JZNS1_25segmented_radix_sort_implINS0_14default_configELb1EPK12hip_bfloat16PSL_PKlPlN2at6native12_GLOBAL__N_18offset_tEEE10hipError_tPvRmT1_PNSt15iterator_traitsISZ_E10value_typeET2_T3_PNS10_IS15_E10value_typeET4_jRbjT5_S1B_jjP12ihipStream_tbEUljE_EEESW_SX_SY_S15_S19_S1B_T6_T7_T9_mT8_S1D_bDpT10_ENKUlT_T0_E_clISt17integral_constantIbLb0EES1P_IbLb1EEEEDaS1L_S1M_EUlS1L_E_NS1_11comp_targetILNS1_3genE9ELNS1_11target_archE1100ELNS1_3gpuE3ELNS1_3repE0EEENS1_30default_config_static_selectorELNS0_4arch9wavefront6targetE1EEEvSZ_.has_recursion, 0
	.set _ZN7rocprim17ROCPRIM_400000_NS6detail17trampoline_kernelINS0_13select_configILj256ELj13ELNS0_17block_load_methodE3ELS4_3ELS4_3ELNS0_20block_scan_algorithmE0ELj4294967295EEENS1_25partition_config_selectorILNS1_17partition_subalgoE3EjNS0_10empty_typeEbEEZZNS1_14partition_implILS8_3ELb0ES6_jNS0_17counting_iteratorIjlEEPS9_SE_NS0_5tupleIJPjSE_EEENSF_IJSE_SE_EEES9_SG_JZNS1_25segmented_radix_sort_implINS0_14default_configELb1EPK12hip_bfloat16PSL_PKlPlN2at6native12_GLOBAL__N_18offset_tEEE10hipError_tPvRmT1_PNSt15iterator_traitsISZ_E10value_typeET2_T3_PNS10_IS15_E10value_typeET4_jRbjT5_S1B_jjP12ihipStream_tbEUljE_EEESW_SX_SY_S15_S19_S1B_T6_T7_T9_mT8_S1D_bDpT10_ENKUlT_T0_E_clISt17integral_constantIbLb0EES1P_IbLb1EEEEDaS1L_S1M_EUlS1L_E_NS1_11comp_targetILNS1_3genE9ELNS1_11target_archE1100ELNS1_3gpuE3ELNS1_3repE0EEENS1_30default_config_static_selectorELNS0_4arch9wavefront6targetE1EEEvSZ_.has_indirect_call, 0
	.section	.AMDGPU.csdata,"",@progbits
; Kernel info:
; codeLenInByte = 0
; TotalNumSgprs: 4
; NumVgprs: 0
; ScratchSize: 0
; MemoryBound: 0
; FloatMode: 240
; IeeeMode: 1
; LDSByteSize: 0 bytes/workgroup (compile time only)
; SGPRBlocks: 0
; VGPRBlocks: 0
; NumSGPRsForWavesPerEU: 4
; NumVGPRsForWavesPerEU: 1
; Occupancy: 10
; WaveLimiterHint : 0
; COMPUTE_PGM_RSRC2:SCRATCH_EN: 0
; COMPUTE_PGM_RSRC2:USER_SGPR: 6
; COMPUTE_PGM_RSRC2:TRAP_HANDLER: 0
; COMPUTE_PGM_RSRC2:TGID_X_EN: 1
; COMPUTE_PGM_RSRC2:TGID_Y_EN: 0
; COMPUTE_PGM_RSRC2:TGID_Z_EN: 0
; COMPUTE_PGM_RSRC2:TIDIG_COMP_CNT: 0
	.section	.text._ZN7rocprim17ROCPRIM_400000_NS6detail17trampoline_kernelINS0_13select_configILj256ELj13ELNS0_17block_load_methodE3ELS4_3ELS4_3ELNS0_20block_scan_algorithmE0ELj4294967295EEENS1_25partition_config_selectorILNS1_17partition_subalgoE3EjNS0_10empty_typeEbEEZZNS1_14partition_implILS8_3ELb0ES6_jNS0_17counting_iteratorIjlEEPS9_SE_NS0_5tupleIJPjSE_EEENSF_IJSE_SE_EEES9_SG_JZNS1_25segmented_radix_sort_implINS0_14default_configELb1EPK12hip_bfloat16PSL_PKlPlN2at6native12_GLOBAL__N_18offset_tEEE10hipError_tPvRmT1_PNSt15iterator_traitsISZ_E10value_typeET2_T3_PNS10_IS15_E10value_typeET4_jRbjT5_S1B_jjP12ihipStream_tbEUljE_EEESW_SX_SY_S15_S19_S1B_T6_T7_T9_mT8_S1D_bDpT10_ENKUlT_T0_E_clISt17integral_constantIbLb0EES1P_IbLb1EEEEDaS1L_S1M_EUlS1L_E_NS1_11comp_targetILNS1_3genE8ELNS1_11target_archE1030ELNS1_3gpuE2ELNS1_3repE0EEENS1_30default_config_static_selectorELNS0_4arch9wavefront6targetE1EEEvSZ_,"axG",@progbits,_ZN7rocprim17ROCPRIM_400000_NS6detail17trampoline_kernelINS0_13select_configILj256ELj13ELNS0_17block_load_methodE3ELS4_3ELS4_3ELNS0_20block_scan_algorithmE0ELj4294967295EEENS1_25partition_config_selectorILNS1_17partition_subalgoE3EjNS0_10empty_typeEbEEZZNS1_14partition_implILS8_3ELb0ES6_jNS0_17counting_iteratorIjlEEPS9_SE_NS0_5tupleIJPjSE_EEENSF_IJSE_SE_EEES9_SG_JZNS1_25segmented_radix_sort_implINS0_14default_configELb1EPK12hip_bfloat16PSL_PKlPlN2at6native12_GLOBAL__N_18offset_tEEE10hipError_tPvRmT1_PNSt15iterator_traitsISZ_E10value_typeET2_T3_PNS10_IS15_E10value_typeET4_jRbjT5_S1B_jjP12ihipStream_tbEUljE_EEESW_SX_SY_S15_S19_S1B_T6_T7_T9_mT8_S1D_bDpT10_ENKUlT_T0_E_clISt17integral_constantIbLb0EES1P_IbLb1EEEEDaS1L_S1M_EUlS1L_E_NS1_11comp_targetILNS1_3genE8ELNS1_11target_archE1030ELNS1_3gpuE2ELNS1_3repE0EEENS1_30default_config_static_selectorELNS0_4arch9wavefront6targetE1EEEvSZ_,comdat
	.globl	_ZN7rocprim17ROCPRIM_400000_NS6detail17trampoline_kernelINS0_13select_configILj256ELj13ELNS0_17block_load_methodE3ELS4_3ELS4_3ELNS0_20block_scan_algorithmE0ELj4294967295EEENS1_25partition_config_selectorILNS1_17partition_subalgoE3EjNS0_10empty_typeEbEEZZNS1_14partition_implILS8_3ELb0ES6_jNS0_17counting_iteratorIjlEEPS9_SE_NS0_5tupleIJPjSE_EEENSF_IJSE_SE_EEES9_SG_JZNS1_25segmented_radix_sort_implINS0_14default_configELb1EPK12hip_bfloat16PSL_PKlPlN2at6native12_GLOBAL__N_18offset_tEEE10hipError_tPvRmT1_PNSt15iterator_traitsISZ_E10value_typeET2_T3_PNS10_IS15_E10value_typeET4_jRbjT5_S1B_jjP12ihipStream_tbEUljE_EEESW_SX_SY_S15_S19_S1B_T6_T7_T9_mT8_S1D_bDpT10_ENKUlT_T0_E_clISt17integral_constantIbLb0EES1P_IbLb1EEEEDaS1L_S1M_EUlS1L_E_NS1_11comp_targetILNS1_3genE8ELNS1_11target_archE1030ELNS1_3gpuE2ELNS1_3repE0EEENS1_30default_config_static_selectorELNS0_4arch9wavefront6targetE1EEEvSZ_ ; -- Begin function _ZN7rocprim17ROCPRIM_400000_NS6detail17trampoline_kernelINS0_13select_configILj256ELj13ELNS0_17block_load_methodE3ELS4_3ELS4_3ELNS0_20block_scan_algorithmE0ELj4294967295EEENS1_25partition_config_selectorILNS1_17partition_subalgoE3EjNS0_10empty_typeEbEEZZNS1_14partition_implILS8_3ELb0ES6_jNS0_17counting_iteratorIjlEEPS9_SE_NS0_5tupleIJPjSE_EEENSF_IJSE_SE_EEES9_SG_JZNS1_25segmented_radix_sort_implINS0_14default_configELb1EPK12hip_bfloat16PSL_PKlPlN2at6native12_GLOBAL__N_18offset_tEEE10hipError_tPvRmT1_PNSt15iterator_traitsISZ_E10value_typeET2_T3_PNS10_IS15_E10value_typeET4_jRbjT5_S1B_jjP12ihipStream_tbEUljE_EEESW_SX_SY_S15_S19_S1B_T6_T7_T9_mT8_S1D_bDpT10_ENKUlT_T0_E_clISt17integral_constantIbLb0EES1P_IbLb1EEEEDaS1L_S1M_EUlS1L_E_NS1_11comp_targetILNS1_3genE8ELNS1_11target_archE1030ELNS1_3gpuE2ELNS1_3repE0EEENS1_30default_config_static_selectorELNS0_4arch9wavefront6targetE1EEEvSZ_
	.p2align	8
	.type	_ZN7rocprim17ROCPRIM_400000_NS6detail17trampoline_kernelINS0_13select_configILj256ELj13ELNS0_17block_load_methodE3ELS4_3ELS4_3ELNS0_20block_scan_algorithmE0ELj4294967295EEENS1_25partition_config_selectorILNS1_17partition_subalgoE3EjNS0_10empty_typeEbEEZZNS1_14partition_implILS8_3ELb0ES6_jNS0_17counting_iteratorIjlEEPS9_SE_NS0_5tupleIJPjSE_EEENSF_IJSE_SE_EEES9_SG_JZNS1_25segmented_radix_sort_implINS0_14default_configELb1EPK12hip_bfloat16PSL_PKlPlN2at6native12_GLOBAL__N_18offset_tEEE10hipError_tPvRmT1_PNSt15iterator_traitsISZ_E10value_typeET2_T3_PNS10_IS15_E10value_typeET4_jRbjT5_S1B_jjP12ihipStream_tbEUljE_EEESW_SX_SY_S15_S19_S1B_T6_T7_T9_mT8_S1D_bDpT10_ENKUlT_T0_E_clISt17integral_constantIbLb0EES1P_IbLb1EEEEDaS1L_S1M_EUlS1L_E_NS1_11comp_targetILNS1_3genE8ELNS1_11target_archE1030ELNS1_3gpuE2ELNS1_3repE0EEENS1_30default_config_static_selectorELNS0_4arch9wavefront6targetE1EEEvSZ_,@function
_ZN7rocprim17ROCPRIM_400000_NS6detail17trampoline_kernelINS0_13select_configILj256ELj13ELNS0_17block_load_methodE3ELS4_3ELS4_3ELNS0_20block_scan_algorithmE0ELj4294967295EEENS1_25partition_config_selectorILNS1_17partition_subalgoE3EjNS0_10empty_typeEbEEZZNS1_14partition_implILS8_3ELb0ES6_jNS0_17counting_iteratorIjlEEPS9_SE_NS0_5tupleIJPjSE_EEENSF_IJSE_SE_EEES9_SG_JZNS1_25segmented_radix_sort_implINS0_14default_configELb1EPK12hip_bfloat16PSL_PKlPlN2at6native12_GLOBAL__N_18offset_tEEE10hipError_tPvRmT1_PNSt15iterator_traitsISZ_E10value_typeET2_T3_PNS10_IS15_E10value_typeET4_jRbjT5_S1B_jjP12ihipStream_tbEUljE_EEESW_SX_SY_S15_S19_S1B_T6_T7_T9_mT8_S1D_bDpT10_ENKUlT_T0_E_clISt17integral_constantIbLb0EES1P_IbLb1EEEEDaS1L_S1M_EUlS1L_E_NS1_11comp_targetILNS1_3genE8ELNS1_11target_archE1030ELNS1_3gpuE2ELNS1_3repE0EEENS1_30default_config_static_selectorELNS0_4arch9wavefront6targetE1EEEvSZ_: ; @_ZN7rocprim17ROCPRIM_400000_NS6detail17trampoline_kernelINS0_13select_configILj256ELj13ELNS0_17block_load_methodE3ELS4_3ELS4_3ELNS0_20block_scan_algorithmE0ELj4294967295EEENS1_25partition_config_selectorILNS1_17partition_subalgoE3EjNS0_10empty_typeEbEEZZNS1_14partition_implILS8_3ELb0ES6_jNS0_17counting_iteratorIjlEEPS9_SE_NS0_5tupleIJPjSE_EEENSF_IJSE_SE_EEES9_SG_JZNS1_25segmented_radix_sort_implINS0_14default_configELb1EPK12hip_bfloat16PSL_PKlPlN2at6native12_GLOBAL__N_18offset_tEEE10hipError_tPvRmT1_PNSt15iterator_traitsISZ_E10value_typeET2_T3_PNS10_IS15_E10value_typeET4_jRbjT5_S1B_jjP12ihipStream_tbEUljE_EEESW_SX_SY_S15_S19_S1B_T6_T7_T9_mT8_S1D_bDpT10_ENKUlT_T0_E_clISt17integral_constantIbLb0EES1P_IbLb1EEEEDaS1L_S1M_EUlS1L_E_NS1_11comp_targetILNS1_3genE8ELNS1_11target_archE1030ELNS1_3gpuE2ELNS1_3repE0EEENS1_30default_config_static_selectorELNS0_4arch9wavefront6targetE1EEEvSZ_
; %bb.0:
	.section	.rodata,"a",@progbits
	.p2align	6, 0x0
	.amdhsa_kernel _ZN7rocprim17ROCPRIM_400000_NS6detail17trampoline_kernelINS0_13select_configILj256ELj13ELNS0_17block_load_methodE3ELS4_3ELS4_3ELNS0_20block_scan_algorithmE0ELj4294967295EEENS1_25partition_config_selectorILNS1_17partition_subalgoE3EjNS0_10empty_typeEbEEZZNS1_14partition_implILS8_3ELb0ES6_jNS0_17counting_iteratorIjlEEPS9_SE_NS0_5tupleIJPjSE_EEENSF_IJSE_SE_EEES9_SG_JZNS1_25segmented_radix_sort_implINS0_14default_configELb1EPK12hip_bfloat16PSL_PKlPlN2at6native12_GLOBAL__N_18offset_tEEE10hipError_tPvRmT1_PNSt15iterator_traitsISZ_E10value_typeET2_T3_PNS10_IS15_E10value_typeET4_jRbjT5_S1B_jjP12ihipStream_tbEUljE_EEESW_SX_SY_S15_S19_S1B_T6_T7_T9_mT8_S1D_bDpT10_ENKUlT_T0_E_clISt17integral_constantIbLb0EES1P_IbLb1EEEEDaS1L_S1M_EUlS1L_E_NS1_11comp_targetILNS1_3genE8ELNS1_11target_archE1030ELNS1_3gpuE2ELNS1_3repE0EEENS1_30default_config_static_selectorELNS0_4arch9wavefront6targetE1EEEvSZ_
		.amdhsa_group_segment_fixed_size 0
		.amdhsa_private_segment_fixed_size 0
		.amdhsa_kernarg_size 152
		.amdhsa_user_sgpr_count 6
		.amdhsa_user_sgpr_private_segment_buffer 1
		.amdhsa_user_sgpr_dispatch_ptr 0
		.amdhsa_user_sgpr_queue_ptr 0
		.amdhsa_user_sgpr_kernarg_segment_ptr 1
		.amdhsa_user_sgpr_dispatch_id 0
		.amdhsa_user_sgpr_flat_scratch_init 0
		.amdhsa_user_sgpr_private_segment_size 0
		.amdhsa_uses_dynamic_stack 0
		.amdhsa_system_sgpr_private_segment_wavefront_offset 0
		.amdhsa_system_sgpr_workgroup_id_x 1
		.amdhsa_system_sgpr_workgroup_id_y 0
		.amdhsa_system_sgpr_workgroup_id_z 0
		.amdhsa_system_sgpr_workgroup_info 0
		.amdhsa_system_vgpr_workitem_id 0
		.amdhsa_next_free_vgpr 1
		.amdhsa_next_free_sgpr 0
		.amdhsa_reserve_vcc 0
		.amdhsa_reserve_flat_scratch 0
		.amdhsa_float_round_mode_32 0
		.amdhsa_float_round_mode_16_64 0
		.amdhsa_float_denorm_mode_32 3
		.amdhsa_float_denorm_mode_16_64 3
		.amdhsa_dx10_clamp 1
		.amdhsa_ieee_mode 1
		.amdhsa_fp16_overflow 0
		.amdhsa_exception_fp_ieee_invalid_op 0
		.amdhsa_exception_fp_denorm_src 0
		.amdhsa_exception_fp_ieee_div_zero 0
		.amdhsa_exception_fp_ieee_overflow 0
		.amdhsa_exception_fp_ieee_underflow 0
		.amdhsa_exception_fp_ieee_inexact 0
		.amdhsa_exception_int_div_zero 0
	.end_amdhsa_kernel
	.section	.text._ZN7rocprim17ROCPRIM_400000_NS6detail17trampoline_kernelINS0_13select_configILj256ELj13ELNS0_17block_load_methodE3ELS4_3ELS4_3ELNS0_20block_scan_algorithmE0ELj4294967295EEENS1_25partition_config_selectorILNS1_17partition_subalgoE3EjNS0_10empty_typeEbEEZZNS1_14partition_implILS8_3ELb0ES6_jNS0_17counting_iteratorIjlEEPS9_SE_NS0_5tupleIJPjSE_EEENSF_IJSE_SE_EEES9_SG_JZNS1_25segmented_radix_sort_implINS0_14default_configELb1EPK12hip_bfloat16PSL_PKlPlN2at6native12_GLOBAL__N_18offset_tEEE10hipError_tPvRmT1_PNSt15iterator_traitsISZ_E10value_typeET2_T3_PNS10_IS15_E10value_typeET4_jRbjT5_S1B_jjP12ihipStream_tbEUljE_EEESW_SX_SY_S15_S19_S1B_T6_T7_T9_mT8_S1D_bDpT10_ENKUlT_T0_E_clISt17integral_constantIbLb0EES1P_IbLb1EEEEDaS1L_S1M_EUlS1L_E_NS1_11comp_targetILNS1_3genE8ELNS1_11target_archE1030ELNS1_3gpuE2ELNS1_3repE0EEENS1_30default_config_static_selectorELNS0_4arch9wavefront6targetE1EEEvSZ_,"axG",@progbits,_ZN7rocprim17ROCPRIM_400000_NS6detail17trampoline_kernelINS0_13select_configILj256ELj13ELNS0_17block_load_methodE3ELS4_3ELS4_3ELNS0_20block_scan_algorithmE0ELj4294967295EEENS1_25partition_config_selectorILNS1_17partition_subalgoE3EjNS0_10empty_typeEbEEZZNS1_14partition_implILS8_3ELb0ES6_jNS0_17counting_iteratorIjlEEPS9_SE_NS0_5tupleIJPjSE_EEENSF_IJSE_SE_EEES9_SG_JZNS1_25segmented_radix_sort_implINS0_14default_configELb1EPK12hip_bfloat16PSL_PKlPlN2at6native12_GLOBAL__N_18offset_tEEE10hipError_tPvRmT1_PNSt15iterator_traitsISZ_E10value_typeET2_T3_PNS10_IS15_E10value_typeET4_jRbjT5_S1B_jjP12ihipStream_tbEUljE_EEESW_SX_SY_S15_S19_S1B_T6_T7_T9_mT8_S1D_bDpT10_ENKUlT_T0_E_clISt17integral_constantIbLb0EES1P_IbLb1EEEEDaS1L_S1M_EUlS1L_E_NS1_11comp_targetILNS1_3genE8ELNS1_11target_archE1030ELNS1_3gpuE2ELNS1_3repE0EEENS1_30default_config_static_selectorELNS0_4arch9wavefront6targetE1EEEvSZ_,comdat
.Lfunc_end1945:
	.size	_ZN7rocprim17ROCPRIM_400000_NS6detail17trampoline_kernelINS0_13select_configILj256ELj13ELNS0_17block_load_methodE3ELS4_3ELS4_3ELNS0_20block_scan_algorithmE0ELj4294967295EEENS1_25partition_config_selectorILNS1_17partition_subalgoE3EjNS0_10empty_typeEbEEZZNS1_14partition_implILS8_3ELb0ES6_jNS0_17counting_iteratorIjlEEPS9_SE_NS0_5tupleIJPjSE_EEENSF_IJSE_SE_EEES9_SG_JZNS1_25segmented_radix_sort_implINS0_14default_configELb1EPK12hip_bfloat16PSL_PKlPlN2at6native12_GLOBAL__N_18offset_tEEE10hipError_tPvRmT1_PNSt15iterator_traitsISZ_E10value_typeET2_T3_PNS10_IS15_E10value_typeET4_jRbjT5_S1B_jjP12ihipStream_tbEUljE_EEESW_SX_SY_S15_S19_S1B_T6_T7_T9_mT8_S1D_bDpT10_ENKUlT_T0_E_clISt17integral_constantIbLb0EES1P_IbLb1EEEEDaS1L_S1M_EUlS1L_E_NS1_11comp_targetILNS1_3genE8ELNS1_11target_archE1030ELNS1_3gpuE2ELNS1_3repE0EEENS1_30default_config_static_selectorELNS0_4arch9wavefront6targetE1EEEvSZ_, .Lfunc_end1945-_ZN7rocprim17ROCPRIM_400000_NS6detail17trampoline_kernelINS0_13select_configILj256ELj13ELNS0_17block_load_methodE3ELS4_3ELS4_3ELNS0_20block_scan_algorithmE0ELj4294967295EEENS1_25partition_config_selectorILNS1_17partition_subalgoE3EjNS0_10empty_typeEbEEZZNS1_14partition_implILS8_3ELb0ES6_jNS0_17counting_iteratorIjlEEPS9_SE_NS0_5tupleIJPjSE_EEENSF_IJSE_SE_EEES9_SG_JZNS1_25segmented_radix_sort_implINS0_14default_configELb1EPK12hip_bfloat16PSL_PKlPlN2at6native12_GLOBAL__N_18offset_tEEE10hipError_tPvRmT1_PNSt15iterator_traitsISZ_E10value_typeET2_T3_PNS10_IS15_E10value_typeET4_jRbjT5_S1B_jjP12ihipStream_tbEUljE_EEESW_SX_SY_S15_S19_S1B_T6_T7_T9_mT8_S1D_bDpT10_ENKUlT_T0_E_clISt17integral_constantIbLb0EES1P_IbLb1EEEEDaS1L_S1M_EUlS1L_E_NS1_11comp_targetILNS1_3genE8ELNS1_11target_archE1030ELNS1_3gpuE2ELNS1_3repE0EEENS1_30default_config_static_selectorELNS0_4arch9wavefront6targetE1EEEvSZ_
                                        ; -- End function
	.set _ZN7rocprim17ROCPRIM_400000_NS6detail17trampoline_kernelINS0_13select_configILj256ELj13ELNS0_17block_load_methodE3ELS4_3ELS4_3ELNS0_20block_scan_algorithmE0ELj4294967295EEENS1_25partition_config_selectorILNS1_17partition_subalgoE3EjNS0_10empty_typeEbEEZZNS1_14partition_implILS8_3ELb0ES6_jNS0_17counting_iteratorIjlEEPS9_SE_NS0_5tupleIJPjSE_EEENSF_IJSE_SE_EEES9_SG_JZNS1_25segmented_radix_sort_implINS0_14default_configELb1EPK12hip_bfloat16PSL_PKlPlN2at6native12_GLOBAL__N_18offset_tEEE10hipError_tPvRmT1_PNSt15iterator_traitsISZ_E10value_typeET2_T3_PNS10_IS15_E10value_typeET4_jRbjT5_S1B_jjP12ihipStream_tbEUljE_EEESW_SX_SY_S15_S19_S1B_T6_T7_T9_mT8_S1D_bDpT10_ENKUlT_T0_E_clISt17integral_constantIbLb0EES1P_IbLb1EEEEDaS1L_S1M_EUlS1L_E_NS1_11comp_targetILNS1_3genE8ELNS1_11target_archE1030ELNS1_3gpuE2ELNS1_3repE0EEENS1_30default_config_static_selectorELNS0_4arch9wavefront6targetE1EEEvSZ_.num_vgpr, 0
	.set _ZN7rocprim17ROCPRIM_400000_NS6detail17trampoline_kernelINS0_13select_configILj256ELj13ELNS0_17block_load_methodE3ELS4_3ELS4_3ELNS0_20block_scan_algorithmE0ELj4294967295EEENS1_25partition_config_selectorILNS1_17partition_subalgoE3EjNS0_10empty_typeEbEEZZNS1_14partition_implILS8_3ELb0ES6_jNS0_17counting_iteratorIjlEEPS9_SE_NS0_5tupleIJPjSE_EEENSF_IJSE_SE_EEES9_SG_JZNS1_25segmented_radix_sort_implINS0_14default_configELb1EPK12hip_bfloat16PSL_PKlPlN2at6native12_GLOBAL__N_18offset_tEEE10hipError_tPvRmT1_PNSt15iterator_traitsISZ_E10value_typeET2_T3_PNS10_IS15_E10value_typeET4_jRbjT5_S1B_jjP12ihipStream_tbEUljE_EEESW_SX_SY_S15_S19_S1B_T6_T7_T9_mT8_S1D_bDpT10_ENKUlT_T0_E_clISt17integral_constantIbLb0EES1P_IbLb1EEEEDaS1L_S1M_EUlS1L_E_NS1_11comp_targetILNS1_3genE8ELNS1_11target_archE1030ELNS1_3gpuE2ELNS1_3repE0EEENS1_30default_config_static_selectorELNS0_4arch9wavefront6targetE1EEEvSZ_.num_agpr, 0
	.set _ZN7rocprim17ROCPRIM_400000_NS6detail17trampoline_kernelINS0_13select_configILj256ELj13ELNS0_17block_load_methodE3ELS4_3ELS4_3ELNS0_20block_scan_algorithmE0ELj4294967295EEENS1_25partition_config_selectorILNS1_17partition_subalgoE3EjNS0_10empty_typeEbEEZZNS1_14partition_implILS8_3ELb0ES6_jNS0_17counting_iteratorIjlEEPS9_SE_NS0_5tupleIJPjSE_EEENSF_IJSE_SE_EEES9_SG_JZNS1_25segmented_radix_sort_implINS0_14default_configELb1EPK12hip_bfloat16PSL_PKlPlN2at6native12_GLOBAL__N_18offset_tEEE10hipError_tPvRmT1_PNSt15iterator_traitsISZ_E10value_typeET2_T3_PNS10_IS15_E10value_typeET4_jRbjT5_S1B_jjP12ihipStream_tbEUljE_EEESW_SX_SY_S15_S19_S1B_T6_T7_T9_mT8_S1D_bDpT10_ENKUlT_T0_E_clISt17integral_constantIbLb0EES1P_IbLb1EEEEDaS1L_S1M_EUlS1L_E_NS1_11comp_targetILNS1_3genE8ELNS1_11target_archE1030ELNS1_3gpuE2ELNS1_3repE0EEENS1_30default_config_static_selectorELNS0_4arch9wavefront6targetE1EEEvSZ_.numbered_sgpr, 0
	.set _ZN7rocprim17ROCPRIM_400000_NS6detail17trampoline_kernelINS0_13select_configILj256ELj13ELNS0_17block_load_methodE3ELS4_3ELS4_3ELNS0_20block_scan_algorithmE0ELj4294967295EEENS1_25partition_config_selectorILNS1_17partition_subalgoE3EjNS0_10empty_typeEbEEZZNS1_14partition_implILS8_3ELb0ES6_jNS0_17counting_iteratorIjlEEPS9_SE_NS0_5tupleIJPjSE_EEENSF_IJSE_SE_EEES9_SG_JZNS1_25segmented_radix_sort_implINS0_14default_configELb1EPK12hip_bfloat16PSL_PKlPlN2at6native12_GLOBAL__N_18offset_tEEE10hipError_tPvRmT1_PNSt15iterator_traitsISZ_E10value_typeET2_T3_PNS10_IS15_E10value_typeET4_jRbjT5_S1B_jjP12ihipStream_tbEUljE_EEESW_SX_SY_S15_S19_S1B_T6_T7_T9_mT8_S1D_bDpT10_ENKUlT_T0_E_clISt17integral_constantIbLb0EES1P_IbLb1EEEEDaS1L_S1M_EUlS1L_E_NS1_11comp_targetILNS1_3genE8ELNS1_11target_archE1030ELNS1_3gpuE2ELNS1_3repE0EEENS1_30default_config_static_selectorELNS0_4arch9wavefront6targetE1EEEvSZ_.num_named_barrier, 0
	.set _ZN7rocprim17ROCPRIM_400000_NS6detail17trampoline_kernelINS0_13select_configILj256ELj13ELNS0_17block_load_methodE3ELS4_3ELS4_3ELNS0_20block_scan_algorithmE0ELj4294967295EEENS1_25partition_config_selectorILNS1_17partition_subalgoE3EjNS0_10empty_typeEbEEZZNS1_14partition_implILS8_3ELb0ES6_jNS0_17counting_iteratorIjlEEPS9_SE_NS0_5tupleIJPjSE_EEENSF_IJSE_SE_EEES9_SG_JZNS1_25segmented_radix_sort_implINS0_14default_configELb1EPK12hip_bfloat16PSL_PKlPlN2at6native12_GLOBAL__N_18offset_tEEE10hipError_tPvRmT1_PNSt15iterator_traitsISZ_E10value_typeET2_T3_PNS10_IS15_E10value_typeET4_jRbjT5_S1B_jjP12ihipStream_tbEUljE_EEESW_SX_SY_S15_S19_S1B_T6_T7_T9_mT8_S1D_bDpT10_ENKUlT_T0_E_clISt17integral_constantIbLb0EES1P_IbLb1EEEEDaS1L_S1M_EUlS1L_E_NS1_11comp_targetILNS1_3genE8ELNS1_11target_archE1030ELNS1_3gpuE2ELNS1_3repE0EEENS1_30default_config_static_selectorELNS0_4arch9wavefront6targetE1EEEvSZ_.private_seg_size, 0
	.set _ZN7rocprim17ROCPRIM_400000_NS6detail17trampoline_kernelINS0_13select_configILj256ELj13ELNS0_17block_load_methodE3ELS4_3ELS4_3ELNS0_20block_scan_algorithmE0ELj4294967295EEENS1_25partition_config_selectorILNS1_17partition_subalgoE3EjNS0_10empty_typeEbEEZZNS1_14partition_implILS8_3ELb0ES6_jNS0_17counting_iteratorIjlEEPS9_SE_NS0_5tupleIJPjSE_EEENSF_IJSE_SE_EEES9_SG_JZNS1_25segmented_radix_sort_implINS0_14default_configELb1EPK12hip_bfloat16PSL_PKlPlN2at6native12_GLOBAL__N_18offset_tEEE10hipError_tPvRmT1_PNSt15iterator_traitsISZ_E10value_typeET2_T3_PNS10_IS15_E10value_typeET4_jRbjT5_S1B_jjP12ihipStream_tbEUljE_EEESW_SX_SY_S15_S19_S1B_T6_T7_T9_mT8_S1D_bDpT10_ENKUlT_T0_E_clISt17integral_constantIbLb0EES1P_IbLb1EEEEDaS1L_S1M_EUlS1L_E_NS1_11comp_targetILNS1_3genE8ELNS1_11target_archE1030ELNS1_3gpuE2ELNS1_3repE0EEENS1_30default_config_static_selectorELNS0_4arch9wavefront6targetE1EEEvSZ_.uses_vcc, 0
	.set _ZN7rocprim17ROCPRIM_400000_NS6detail17trampoline_kernelINS0_13select_configILj256ELj13ELNS0_17block_load_methodE3ELS4_3ELS4_3ELNS0_20block_scan_algorithmE0ELj4294967295EEENS1_25partition_config_selectorILNS1_17partition_subalgoE3EjNS0_10empty_typeEbEEZZNS1_14partition_implILS8_3ELb0ES6_jNS0_17counting_iteratorIjlEEPS9_SE_NS0_5tupleIJPjSE_EEENSF_IJSE_SE_EEES9_SG_JZNS1_25segmented_radix_sort_implINS0_14default_configELb1EPK12hip_bfloat16PSL_PKlPlN2at6native12_GLOBAL__N_18offset_tEEE10hipError_tPvRmT1_PNSt15iterator_traitsISZ_E10value_typeET2_T3_PNS10_IS15_E10value_typeET4_jRbjT5_S1B_jjP12ihipStream_tbEUljE_EEESW_SX_SY_S15_S19_S1B_T6_T7_T9_mT8_S1D_bDpT10_ENKUlT_T0_E_clISt17integral_constantIbLb0EES1P_IbLb1EEEEDaS1L_S1M_EUlS1L_E_NS1_11comp_targetILNS1_3genE8ELNS1_11target_archE1030ELNS1_3gpuE2ELNS1_3repE0EEENS1_30default_config_static_selectorELNS0_4arch9wavefront6targetE1EEEvSZ_.uses_flat_scratch, 0
	.set _ZN7rocprim17ROCPRIM_400000_NS6detail17trampoline_kernelINS0_13select_configILj256ELj13ELNS0_17block_load_methodE3ELS4_3ELS4_3ELNS0_20block_scan_algorithmE0ELj4294967295EEENS1_25partition_config_selectorILNS1_17partition_subalgoE3EjNS0_10empty_typeEbEEZZNS1_14partition_implILS8_3ELb0ES6_jNS0_17counting_iteratorIjlEEPS9_SE_NS0_5tupleIJPjSE_EEENSF_IJSE_SE_EEES9_SG_JZNS1_25segmented_radix_sort_implINS0_14default_configELb1EPK12hip_bfloat16PSL_PKlPlN2at6native12_GLOBAL__N_18offset_tEEE10hipError_tPvRmT1_PNSt15iterator_traitsISZ_E10value_typeET2_T3_PNS10_IS15_E10value_typeET4_jRbjT5_S1B_jjP12ihipStream_tbEUljE_EEESW_SX_SY_S15_S19_S1B_T6_T7_T9_mT8_S1D_bDpT10_ENKUlT_T0_E_clISt17integral_constantIbLb0EES1P_IbLb1EEEEDaS1L_S1M_EUlS1L_E_NS1_11comp_targetILNS1_3genE8ELNS1_11target_archE1030ELNS1_3gpuE2ELNS1_3repE0EEENS1_30default_config_static_selectorELNS0_4arch9wavefront6targetE1EEEvSZ_.has_dyn_sized_stack, 0
	.set _ZN7rocprim17ROCPRIM_400000_NS6detail17trampoline_kernelINS0_13select_configILj256ELj13ELNS0_17block_load_methodE3ELS4_3ELS4_3ELNS0_20block_scan_algorithmE0ELj4294967295EEENS1_25partition_config_selectorILNS1_17partition_subalgoE3EjNS0_10empty_typeEbEEZZNS1_14partition_implILS8_3ELb0ES6_jNS0_17counting_iteratorIjlEEPS9_SE_NS0_5tupleIJPjSE_EEENSF_IJSE_SE_EEES9_SG_JZNS1_25segmented_radix_sort_implINS0_14default_configELb1EPK12hip_bfloat16PSL_PKlPlN2at6native12_GLOBAL__N_18offset_tEEE10hipError_tPvRmT1_PNSt15iterator_traitsISZ_E10value_typeET2_T3_PNS10_IS15_E10value_typeET4_jRbjT5_S1B_jjP12ihipStream_tbEUljE_EEESW_SX_SY_S15_S19_S1B_T6_T7_T9_mT8_S1D_bDpT10_ENKUlT_T0_E_clISt17integral_constantIbLb0EES1P_IbLb1EEEEDaS1L_S1M_EUlS1L_E_NS1_11comp_targetILNS1_3genE8ELNS1_11target_archE1030ELNS1_3gpuE2ELNS1_3repE0EEENS1_30default_config_static_selectorELNS0_4arch9wavefront6targetE1EEEvSZ_.has_recursion, 0
	.set _ZN7rocprim17ROCPRIM_400000_NS6detail17trampoline_kernelINS0_13select_configILj256ELj13ELNS0_17block_load_methodE3ELS4_3ELS4_3ELNS0_20block_scan_algorithmE0ELj4294967295EEENS1_25partition_config_selectorILNS1_17partition_subalgoE3EjNS0_10empty_typeEbEEZZNS1_14partition_implILS8_3ELb0ES6_jNS0_17counting_iteratorIjlEEPS9_SE_NS0_5tupleIJPjSE_EEENSF_IJSE_SE_EEES9_SG_JZNS1_25segmented_radix_sort_implINS0_14default_configELb1EPK12hip_bfloat16PSL_PKlPlN2at6native12_GLOBAL__N_18offset_tEEE10hipError_tPvRmT1_PNSt15iterator_traitsISZ_E10value_typeET2_T3_PNS10_IS15_E10value_typeET4_jRbjT5_S1B_jjP12ihipStream_tbEUljE_EEESW_SX_SY_S15_S19_S1B_T6_T7_T9_mT8_S1D_bDpT10_ENKUlT_T0_E_clISt17integral_constantIbLb0EES1P_IbLb1EEEEDaS1L_S1M_EUlS1L_E_NS1_11comp_targetILNS1_3genE8ELNS1_11target_archE1030ELNS1_3gpuE2ELNS1_3repE0EEENS1_30default_config_static_selectorELNS0_4arch9wavefront6targetE1EEEvSZ_.has_indirect_call, 0
	.section	.AMDGPU.csdata,"",@progbits
; Kernel info:
; codeLenInByte = 0
; TotalNumSgprs: 4
; NumVgprs: 0
; ScratchSize: 0
; MemoryBound: 0
; FloatMode: 240
; IeeeMode: 1
; LDSByteSize: 0 bytes/workgroup (compile time only)
; SGPRBlocks: 0
; VGPRBlocks: 0
; NumSGPRsForWavesPerEU: 4
; NumVGPRsForWavesPerEU: 1
; Occupancy: 10
; WaveLimiterHint : 0
; COMPUTE_PGM_RSRC2:SCRATCH_EN: 0
; COMPUTE_PGM_RSRC2:USER_SGPR: 6
; COMPUTE_PGM_RSRC2:TRAP_HANDLER: 0
; COMPUTE_PGM_RSRC2:TGID_X_EN: 1
; COMPUTE_PGM_RSRC2:TGID_Y_EN: 0
; COMPUTE_PGM_RSRC2:TGID_Z_EN: 0
; COMPUTE_PGM_RSRC2:TIDIG_COMP_CNT: 0
	.section	.text._ZN7rocprim17ROCPRIM_400000_NS6detail17trampoline_kernelINS0_14default_configENS1_36segmented_radix_sort_config_selectorI12hip_bfloat16lEEZNS1_25segmented_radix_sort_implIS3_Lb1EPKS5_PS5_PKlPlN2at6native12_GLOBAL__N_18offset_tEEE10hipError_tPvRmT1_PNSt15iterator_traitsISL_E10value_typeET2_T3_PNSM_ISR_E10value_typeET4_jRbjT5_SX_jjP12ihipStream_tbEUlT_E_NS1_11comp_targetILNS1_3genE0ELNS1_11target_archE4294967295ELNS1_3gpuE0ELNS1_3repE0EEENS1_30default_config_static_selectorELNS0_4arch9wavefront6targetE1EEEvSL_,"axG",@progbits,_ZN7rocprim17ROCPRIM_400000_NS6detail17trampoline_kernelINS0_14default_configENS1_36segmented_radix_sort_config_selectorI12hip_bfloat16lEEZNS1_25segmented_radix_sort_implIS3_Lb1EPKS5_PS5_PKlPlN2at6native12_GLOBAL__N_18offset_tEEE10hipError_tPvRmT1_PNSt15iterator_traitsISL_E10value_typeET2_T3_PNSM_ISR_E10value_typeET4_jRbjT5_SX_jjP12ihipStream_tbEUlT_E_NS1_11comp_targetILNS1_3genE0ELNS1_11target_archE4294967295ELNS1_3gpuE0ELNS1_3repE0EEENS1_30default_config_static_selectorELNS0_4arch9wavefront6targetE1EEEvSL_,comdat
	.globl	_ZN7rocprim17ROCPRIM_400000_NS6detail17trampoline_kernelINS0_14default_configENS1_36segmented_radix_sort_config_selectorI12hip_bfloat16lEEZNS1_25segmented_radix_sort_implIS3_Lb1EPKS5_PS5_PKlPlN2at6native12_GLOBAL__N_18offset_tEEE10hipError_tPvRmT1_PNSt15iterator_traitsISL_E10value_typeET2_T3_PNSM_ISR_E10value_typeET4_jRbjT5_SX_jjP12ihipStream_tbEUlT_E_NS1_11comp_targetILNS1_3genE0ELNS1_11target_archE4294967295ELNS1_3gpuE0ELNS1_3repE0EEENS1_30default_config_static_selectorELNS0_4arch9wavefront6targetE1EEEvSL_ ; -- Begin function _ZN7rocprim17ROCPRIM_400000_NS6detail17trampoline_kernelINS0_14default_configENS1_36segmented_radix_sort_config_selectorI12hip_bfloat16lEEZNS1_25segmented_radix_sort_implIS3_Lb1EPKS5_PS5_PKlPlN2at6native12_GLOBAL__N_18offset_tEEE10hipError_tPvRmT1_PNSt15iterator_traitsISL_E10value_typeET2_T3_PNSM_ISR_E10value_typeET4_jRbjT5_SX_jjP12ihipStream_tbEUlT_E_NS1_11comp_targetILNS1_3genE0ELNS1_11target_archE4294967295ELNS1_3gpuE0ELNS1_3repE0EEENS1_30default_config_static_selectorELNS0_4arch9wavefront6targetE1EEEvSL_
	.p2align	8
	.type	_ZN7rocprim17ROCPRIM_400000_NS6detail17trampoline_kernelINS0_14default_configENS1_36segmented_radix_sort_config_selectorI12hip_bfloat16lEEZNS1_25segmented_radix_sort_implIS3_Lb1EPKS5_PS5_PKlPlN2at6native12_GLOBAL__N_18offset_tEEE10hipError_tPvRmT1_PNSt15iterator_traitsISL_E10value_typeET2_T3_PNSM_ISR_E10value_typeET4_jRbjT5_SX_jjP12ihipStream_tbEUlT_E_NS1_11comp_targetILNS1_3genE0ELNS1_11target_archE4294967295ELNS1_3gpuE0ELNS1_3repE0EEENS1_30default_config_static_selectorELNS0_4arch9wavefront6targetE1EEEvSL_,@function
_ZN7rocprim17ROCPRIM_400000_NS6detail17trampoline_kernelINS0_14default_configENS1_36segmented_radix_sort_config_selectorI12hip_bfloat16lEEZNS1_25segmented_radix_sort_implIS3_Lb1EPKS5_PS5_PKlPlN2at6native12_GLOBAL__N_18offset_tEEE10hipError_tPvRmT1_PNSt15iterator_traitsISL_E10value_typeET2_T3_PNSM_ISR_E10value_typeET4_jRbjT5_SX_jjP12ihipStream_tbEUlT_E_NS1_11comp_targetILNS1_3genE0ELNS1_11target_archE4294967295ELNS1_3gpuE0ELNS1_3repE0EEENS1_30default_config_static_selectorELNS0_4arch9wavefront6targetE1EEEvSL_: ; @_ZN7rocprim17ROCPRIM_400000_NS6detail17trampoline_kernelINS0_14default_configENS1_36segmented_radix_sort_config_selectorI12hip_bfloat16lEEZNS1_25segmented_radix_sort_implIS3_Lb1EPKS5_PS5_PKlPlN2at6native12_GLOBAL__N_18offset_tEEE10hipError_tPvRmT1_PNSt15iterator_traitsISL_E10value_typeET2_T3_PNSM_ISR_E10value_typeET4_jRbjT5_SX_jjP12ihipStream_tbEUlT_E_NS1_11comp_targetILNS1_3genE0ELNS1_11target_archE4294967295ELNS1_3gpuE0ELNS1_3repE0EEENS1_30default_config_static_selectorELNS0_4arch9wavefront6targetE1EEEvSL_
; %bb.0:
	.section	.rodata,"a",@progbits
	.p2align	6, 0x0
	.amdhsa_kernel _ZN7rocprim17ROCPRIM_400000_NS6detail17trampoline_kernelINS0_14default_configENS1_36segmented_radix_sort_config_selectorI12hip_bfloat16lEEZNS1_25segmented_radix_sort_implIS3_Lb1EPKS5_PS5_PKlPlN2at6native12_GLOBAL__N_18offset_tEEE10hipError_tPvRmT1_PNSt15iterator_traitsISL_E10value_typeET2_T3_PNSM_ISR_E10value_typeET4_jRbjT5_SX_jjP12ihipStream_tbEUlT_E_NS1_11comp_targetILNS1_3genE0ELNS1_11target_archE4294967295ELNS1_3gpuE0ELNS1_3repE0EEENS1_30default_config_static_selectorELNS0_4arch9wavefront6targetE1EEEvSL_
		.amdhsa_group_segment_fixed_size 0
		.amdhsa_private_segment_fixed_size 0
		.amdhsa_kernarg_size 96
		.amdhsa_user_sgpr_count 6
		.amdhsa_user_sgpr_private_segment_buffer 1
		.amdhsa_user_sgpr_dispatch_ptr 0
		.amdhsa_user_sgpr_queue_ptr 0
		.amdhsa_user_sgpr_kernarg_segment_ptr 1
		.amdhsa_user_sgpr_dispatch_id 0
		.amdhsa_user_sgpr_flat_scratch_init 0
		.amdhsa_user_sgpr_private_segment_size 0
		.amdhsa_uses_dynamic_stack 0
		.amdhsa_system_sgpr_private_segment_wavefront_offset 0
		.amdhsa_system_sgpr_workgroup_id_x 1
		.amdhsa_system_sgpr_workgroup_id_y 0
		.amdhsa_system_sgpr_workgroup_id_z 0
		.amdhsa_system_sgpr_workgroup_info 0
		.amdhsa_system_vgpr_workitem_id 0
		.amdhsa_next_free_vgpr 1
		.amdhsa_next_free_sgpr 0
		.amdhsa_reserve_vcc 0
		.amdhsa_reserve_flat_scratch 0
		.amdhsa_float_round_mode_32 0
		.amdhsa_float_round_mode_16_64 0
		.amdhsa_float_denorm_mode_32 3
		.amdhsa_float_denorm_mode_16_64 3
		.amdhsa_dx10_clamp 1
		.amdhsa_ieee_mode 1
		.amdhsa_fp16_overflow 0
		.amdhsa_exception_fp_ieee_invalid_op 0
		.amdhsa_exception_fp_denorm_src 0
		.amdhsa_exception_fp_ieee_div_zero 0
		.amdhsa_exception_fp_ieee_overflow 0
		.amdhsa_exception_fp_ieee_underflow 0
		.amdhsa_exception_fp_ieee_inexact 0
		.amdhsa_exception_int_div_zero 0
	.end_amdhsa_kernel
	.section	.text._ZN7rocprim17ROCPRIM_400000_NS6detail17trampoline_kernelINS0_14default_configENS1_36segmented_radix_sort_config_selectorI12hip_bfloat16lEEZNS1_25segmented_radix_sort_implIS3_Lb1EPKS5_PS5_PKlPlN2at6native12_GLOBAL__N_18offset_tEEE10hipError_tPvRmT1_PNSt15iterator_traitsISL_E10value_typeET2_T3_PNSM_ISR_E10value_typeET4_jRbjT5_SX_jjP12ihipStream_tbEUlT_E_NS1_11comp_targetILNS1_3genE0ELNS1_11target_archE4294967295ELNS1_3gpuE0ELNS1_3repE0EEENS1_30default_config_static_selectorELNS0_4arch9wavefront6targetE1EEEvSL_,"axG",@progbits,_ZN7rocprim17ROCPRIM_400000_NS6detail17trampoline_kernelINS0_14default_configENS1_36segmented_radix_sort_config_selectorI12hip_bfloat16lEEZNS1_25segmented_radix_sort_implIS3_Lb1EPKS5_PS5_PKlPlN2at6native12_GLOBAL__N_18offset_tEEE10hipError_tPvRmT1_PNSt15iterator_traitsISL_E10value_typeET2_T3_PNSM_ISR_E10value_typeET4_jRbjT5_SX_jjP12ihipStream_tbEUlT_E_NS1_11comp_targetILNS1_3genE0ELNS1_11target_archE4294967295ELNS1_3gpuE0ELNS1_3repE0EEENS1_30default_config_static_selectorELNS0_4arch9wavefront6targetE1EEEvSL_,comdat
.Lfunc_end1946:
	.size	_ZN7rocprim17ROCPRIM_400000_NS6detail17trampoline_kernelINS0_14default_configENS1_36segmented_radix_sort_config_selectorI12hip_bfloat16lEEZNS1_25segmented_radix_sort_implIS3_Lb1EPKS5_PS5_PKlPlN2at6native12_GLOBAL__N_18offset_tEEE10hipError_tPvRmT1_PNSt15iterator_traitsISL_E10value_typeET2_T3_PNSM_ISR_E10value_typeET4_jRbjT5_SX_jjP12ihipStream_tbEUlT_E_NS1_11comp_targetILNS1_3genE0ELNS1_11target_archE4294967295ELNS1_3gpuE0ELNS1_3repE0EEENS1_30default_config_static_selectorELNS0_4arch9wavefront6targetE1EEEvSL_, .Lfunc_end1946-_ZN7rocprim17ROCPRIM_400000_NS6detail17trampoline_kernelINS0_14default_configENS1_36segmented_radix_sort_config_selectorI12hip_bfloat16lEEZNS1_25segmented_radix_sort_implIS3_Lb1EPKS5_PS5_PKlPlN2at6native12_GLOBAL__N_18offset_tEEE10hipError_tPvRmT1_PNSt15iterator_traitsISL_E10value_typeET2_T3_PNSM_ISR_E10value_typeET4_jRbjT5_SX_jjP12ihipStream_tbEUlT_E_NS1_11comp_targetILNS1_3genE0ELNS1_11target_archE4294967295ELNS1_3gpuE0ELNS1_3repE0EEENS1_30default_config_static_selectorELNS0_4arch9wavefront6targetE1EEEvSL_
                                        ; -- End function
	.set _ZN7rocprim17ROCPRIM_400000_NS6detail17trampoline_kernelINS0_14default_configENS1_36segmented_radix_sort_config_selectorI12hip_bfloat16lEEZNS1_25segmented_radix_sort_implIS3_Lb1EPKS5_PS5_PKlPlN2at6native12_GLOBAL__N_18offset_tEEE10hipError_tPvRmT1_PNSt15iterator_traitsISL_E10value_typeET2_T3_PNSM_ISR_E10value_typeET4_jRbjT5_SX_jjP12ihipStream_tbEUlT_E_NS1_11comp_targetILNS1_3genE0ELNS1_11target_archE4294967295ELNS1_3gpuE0ELNS1_3repE0EEENS1_30default_config_static_selectorELNS0_4arch9wavefront6targetE1EEEvSL_.num_vgpr, 0
	.set _ZN7rocprim17ROCPRIM_400000_NS6detail17trampoline_kernelINS0_14default_configENS1_36segmented_radix_sort_config_selectorI12hip_bfloat16lEEZNS1_25segmented_radix_sort_implIS3_Lb1EPKS5_PS5_PKlPlN2at6native12_GLOBAL__N_18offset_tEEE10hipError_tPvRmT1_PNSt15iterator_traitsISL_E10value_typeET2_T3_PNSM_ISR_E10value_typeET4_jRbjT5_SX_jjP12ihipStream_tbEUlT_E_NS1_11comp_targetILNS1_3genE0ELNS1_11target_archE4294967295ELNS1_3gpuE0ELNS1_3repE0EEENS1_30default_config_static_selectorELNS0_4arch9wavefront6targetE1EEEvSL_.num_agpr, 0
	.set _ZN7rocprim17ROCPRIM_400000_NS6detail17trampoline_kernelINS0_14default_configENS1_36segmented_radix_sort_config_selectorI12hip_bfloat16lEEZNS1_25segmented_radix_sort_implIS3_Lb1EPKS5_PS5_PKlPlN2at6native12_GLOBAL__N_18offset_tEEE10hipError_tPvRmT1_PNSt15iterator_traitsISL_E10value_typeET2_T3_PNSM_ISR_E10value_typeET4_jRbjT5_SX_jjP12ihipStream_tbEUlT_E_NS1_11comp_targetILNS1_3genE0ELNS1_11target_archE4294967295ELNS1_3gpuE0ELNS1_3repE0EEENS1_30default_config_static_selectorELNS0_4arch9wavefront6targetE1EEEvSL_.numbered_sgpr, 0
	.set _ZN7rocprim17ROCPRIM_400000_NS6detail17trampoline_kernelINS0_14default_configENS1_36segmented_radix_sort_config_selectorI12hip_bfloat16lEEZNS1_25segmented_radix_sort_implIS3_Lb1EPKS5_PS5_PKlPlN2at6native12_GLOBAL__N_18offset_tEEE10hipError_tPvRmT1_PNSt15iterator_traitsISL_E10value_typeET2_T3_PNSM_ISR_E10value_typeET4_jRbjT5_SX_jjP12ihipStream_tbEUlT_E_NS1_11comp_targetILNS1_3genE0ELNS1_11target_archE4294967295ELNS1_3gpuE0ELNS1_3repE0EEENS1_30default_config_static_selectorELNS0_4arch9wavefront6targetE1EEEvSL_.num_named_barrier, 0
	.set _ZN7rocprim17ROCPRIM_400000_NS6detail17trampoline_kernelINS0_14default_configENS1_36segmented_radix_sort_config_selectorI12hip_bfloat16lEEZNS1_25segmented_radix_sort_implIS3_Lb1EPKS5_PS5_PKlPlN2at6native12_GLOBAL__N_18offset_tEEE10hipError_tPvRmT1_PNSt15iterator_traitsISL_E10value_typeET2_T3_PNSM_ISR_E10value_typeET4_jRbjT5_SX_jjP12ihipStream_tbEUlT_E_NS1_11comp_targetILNS1_3genE0ELNS1_11target_archE4294967295ELNS1_3gpuE0ELNS1_3repE0EEENS1_30default_config_static_selectorELNS0_4arch9wavefront6targetE1EEEvSL_.private_seg_size, 0
	.set _ZN7rocprim17ROCPRIM_400000_NS6detail17trampoline_kernelINS0_14default_configENS1_36segmented_radix_sort_config_selectorI12hip_bfloat16lEEZNS1_25segmented_radix_sort_implIS3_Lb1EPKS5_PS5_PKlPlN2at6native12_GLOBAL__N_18offset_tEEE10hipError_tPvRmT1_PNSt15iterator_traitsISL_E10value_typeET2_T3_PNSM_ISR_E10value_typeET4_jRbjT5_SX_jjP12ihipStream_tbEUlT_E_NS1_11comp_targetILNS1_3genE0ELNS1_11target_archE4294967295ELNS1_3gpuE0ELNS1_3repE0EEENS1_30default_config_static_selectorELNS0_4arch9wavefront6targetE1EEEvSL_.uses_vcc, 0
	.set _ZN7rocprim17ROCPRIM_400000_NS6detail17trampoline_kernelINS0_14default_configENS1_36segmented_radix_sort_config_selectorI12hip_bfloat16lEEZNS1_25segmented_radix_sort_implIS3_Lb1EPKS5_PS5_PKlPlN2at6native12_GLOBAL__N_18offset_tEEE10hipError_tPvRmT1_PNSt15iterator_traitsISL_E10value_typeET2_T3_PNSM_ISR_E10value_typeET4_jRbjT5_SX_jjP12ihipStream_tbEUlT_E_NS1_11comp_targetILNS1_3genE0ELNS1_11target_archE4294967295ELNS1_3gpuE0ELNS1_3repE0EEENS1_30default_config_static_selectorELNS0_4arch9wavefront6targetE1EEEvSL_.uses_flat_scratch, 0
	.set _ZN7rocprim17ROCPRIM_400000_NS6detail17trampoline_kernelINS0_14default_configENS1_36segmented_radix_sort_config_selectorI12hip_bfloat16lEEZNS1_25segmented_radix_sort_implIS3_Lb1EPKS5_PS5_PKlPlN2at6native12_GLOBAL__N_18offset_tEEE10hipError_tPvRmT1_PNSt15iterator_traitsISL_E10value_typeET2_T3_PNSM_ISR_E10value_typeET4_jRbjT5_SX_jjP12ihipStream_tbEUlT_E_NS1_11comp_targetILNS1_3genE0ELNS1_11target_archE4294967295ELNS1_3gpuE0ELNS1_3repE0EEENS1_30default_config_static_selectorELNS0_4arch9wavefront6targetE1EEEvSL_.has_dyn_sized_stack, 0
	.set _ZN7rocprim17ROCPRIM_400000_NS6detail17trampoline_kernelINS0_14default_configENS1_36segmented_radix_sort_config_selectorI12hip_bfloat16lEEZNS1_25segmented_radix_sort_implIS3_Lb1EPKS5_PS5_PKlPlN2at6native12_GLOBAL__N_18offset_tEEE10hipError_tPvRmT1_PNSt15iterator_traitsISL_E10value_typeET2_T3_PNSM_ISR_E10value_typeET4_jRbjT5_SX_jjP12ihipStream_tbEUlT_E_NS1_11comp_targetILNS1_3genE0ELNS1_11target_archE4294967295ELNS1_3gpuE0ELNS1_3repE0EEENS1_30default_config_static_selectorELNS0_4arch9wavefront6targetE1EEEvSL_.has_recursion, 0
	.set _ZN7rocprim17ROCPRIM_400000_NS6detail17trampoline_kernelINS0_14default_configENS1_36segmented_radix_sort_config_selectorI12hip_bfloat16lEEZNS1_25segmented_radix_sort_implIS3_Lb1EPKS5_PS5_PKlPlN2at6native12_GLOBAL__N_18offset_tEEE10hipError_tPvRmT1_PNSt15iterator_traitsISL_E10value_typeET2_T3_PNSM_ISR_E10value_typeET4_jRbjT5_SX_jjP12ihipStream_tbEUlT_E_NS1_11comp_targetILNS1_3genE0ELNS1_11target_archE4294967295ELNS1_3gpuE0ELNS1_3repE0EEENS1_30default_config_static_selectorELNS0_4arch9wavefront6targetE1EEEvSL_.has_indirect_call, 0
	.section	.AMDGPU.csdata,"",@progbits
; Kernel info:
; codeLenInByte = 0
; TotalNumSgprs: 4
; NumVgprs: 0
; ScratchSize: 0
; MemoryBound: 0
; FloatMode: 240
; IeeeMode: 1
; LDSByteSize: 0 bytes/workgroup (compile time only)
; SGPRBlocks: 0
; VGPRBlocks: 0
; NumSGPRsForWavesPerEU: 4
; NumVGPRsForWavesPerEU: 1
; Occupancy: 10
; WaveLimiterHint : 0
; COMPUTE_PGM_RSRC2:SCRATCH_EN: 0
; COMPUTE_PGM_RSRC2:USER_SGPR: 6
; COMPUTE_PGM_RSRC2:TRAP_HANDLER: 0
; COMPUTE_PGM_RSRC2:TGID_X_EN: 1
; COMPUTE_PGM_RSRC2:TGID_Y_EN: 0
; COMPUTE_PGM_RSRC2:TGID_Z_EN: 0
; COMPUTE_PGM_RSRC2:TIDIG_COMP_CNT: 0
	.section	.text._ZN7rocprim17ROCPRIM_400000_NS6detail17trampoline_kernelINS0_14default_configENS1_36segmented_radix_sort_config_selectorI12hip_bfloat16lEEZNS1_25segmented_radix_sort_implIS3_Lb1EPKS5_PS5_PKlPlN2at6native12_GLOBAL__N_18offset_tEEE10hipError_tPvRmT1_PNSt15iterator_traitsISL_E10value_typeET2_T3_PNSM_ISR_E10value_typeET4_jRbjT5_SX_jjP12ihipStream_tbEUlT_E_NS1_11comp_targetILNS1_3genE5ELNS1_11target_archE942ELNS1_3gpuE9ELNS1_3repE0EEENS1_30default_config_static_selectorELNS0_4arch9wavefront6targetE1EEEvSL_,"axG",@progbits,_ZN7rocprim17ROCPRIM_400000_NS6detail17trampoline_kernelINS0_14default_configENS1_36segmented_radix_sort_config_selectorI12hip_bfloat16lEEZNS1_25segmented_radix_sort_implIS3_Lb1EPKS5_PS5_PKlPlN2at6native12_GLOBAL__N_18offset_tEEE10hipError_tPvRmT1_PNSt15iterator_traitsISL_E10value_typeET2_T3_PNSM_ISR_E10value_typeET4_jRbjT5_SX_jjP12ihipStream_tbEUlT_E_NS1_11comp_targetILNS1_3genE5ELNS1_11target_archE942ELNS1_3gpuE9ELNS1_3repE0EEENS1_30default_config_static_selectorELNS0_4arch9wavefront6targetE1EEEvSL_,comdat
	.globl	_ZN7rocprim17ROCPRIM_400000_NS6detail17trampoline_kernelINS0_14default_configENS1_36segmented_radix_sort_config_selectorI12hip_bfloat16lEEZNS1_25segmented_radix_sort_implIS3_Lb1EPKS5_PS5_PKlPlN2at6native12_GLOBAL__N_18offset_tEEE10hipError_tPvRmT1_PNSt15iterator_traitsISL_E10value_typeET2_T3_PNSM_ISR_E10value_typeET4_jRbjT5_SX_jjP12ihipStream_tbEUlT_E_NS1_11comp_targetILNS1_3genE5ELNS1_11target_archE942ELNS1_3gpuE9ELNS1_3repE0EEENS1_30default_config_static_selectorELNS0_4arch9wavefront6targetE1EEEvSL_ ; -- Begin function _ZN7rocprim17ROCPRIM_400000_NS6detail17trampoline_kernelINS0_14default_configENS1_36segmented_radix_sort_config_selectorI12hip_bfloat16lEEZNS1_25segmented_radix_sort_implIS3_Lb1EPKS5_PS5_PKlPlN2at6native12_GLOBAL__N_18offset_tEEE10hipError_tPvRmT1_PNSt15iterator_traitsISL_E10value_typeET2_T3_PNSM_ISR_E10value_typeET4_jRbjT5_SX_jjP12ihipStream_tbEUlT_E_NS1_11comp_targetILNS1_3genE5ELNS1_11target_archE942ELNS1_3gpuE9ELNS1_3repE0EEENS1_30default_config_static_selectorELNS0_4arch9wavefront6targetE1EEEvSL_
	.p2align	8
	.type	_ZN7rocprim17ROCPRIM_400000_NS6detail17trampoline_kernelINS0_14default_configENS1_36segmented_radix_sort_config_selectorI12hip_bfloat16lEEZNS1_25segmented_radix_sort_implIS3_Lb1EPKS5_PS5_PKlPlN2at6native12_GLOBAL__N_18offset_tEEE10hipError_tPvRmT1_PNSt15iterator_traitsISL_E10value_typeET2_T3_PNSM_ISR_E10value_typeET4_jRbjT5_SX_jjP12ihipStream_tbEUlT_E_NS1_11comp_targetILNS1_3genE5ELNS1_11target_archE942ELNS1_3gpuE9ELNS1_3repE0EEENS1_30default_config_static_selectorELNS0_4arch9wavefront6targetE1EEEvSL_,@function
_ZN7rocprim17ROCPRIM_400000_NS6detail17trampoline_kernelINS0_14default_configENS1_36segmented_radix_sort_config_selectorI12hip_bfloat16lEEZNS1_25segmented_radix_sort_implIS3_Lb1EPKS5_PS5_PKlPlN2at6native12_GLOBAL__N_18offset_tEEE10hipError_tPvRmT1_PNSt15iterator_traitsISL_E10value_typeET2_T3_PNSM_ISR_E10value_typeET4_jRbjT5_SX_jjP12ihipStream_tbEUlT_E_NS1_11comp_targetILNS1_3genE5ELNS1_11target_archE942ELNS1_3gpuE9ELNS1_3repE0EEENS1_30default_config_static_selectorELNS0_4arch9wavefront6targetE1EEEvSL_: ; @_ZN7rocprim17ROCPRIM_400000_NS6detail17trampoline_kernelINS0_14default_configENS1_36segmented_radix_sort_config_selectorI12hip_bfloat16lEEZNS1_25segmented_radix_sort_implIS3_Lb1EPKS5_PS5_PKlPlN2at6native12_GLOBAL__N_18offset_tEEE10hipError_tPvRmT1_PNSt15iterator_traitsISL_E10value_typeET2_T3_PNSM_ISR_E10value_typeET4_jRbjT5_SX_jjP12ihipStream_tbEUlT_E_NS1_11comp_targetILNS1_3genE5ELNS1_11target_archE942ELNS1_3gpuE9ELNS1_3repE0EEENS1_30default_config_static_selectorELNS0_4arch9wavefront6targetE1EEEvSL_
; %bb.0:
	.section	.rodata,"a",@progbits
	.p2align	6, 0x0
	.amdhsa_kernel _ZN7rocprim17ROCPRIM_400000_NS6detail17trampoline_kernelINS0_14default_configENS1_36segmented_radix_sort_config_selectorI12hip_bfloat16lEEZNS1_25segmented_radix_sort_implIS3_Lb1EPKS5_PS5_PKlPlN2at6native12_GLOBAL__N_18offset_tEEE10hipError_tPvRmT1_PNSt15iterator_traitsISL_E10value_typeET2_T3_PNSM_ISR_E10value_typeET4_jRbjT5_SX_jjP12ihipStream_tbEUlT_E_NS1_11comp_targetILNS1_3genE5ELNS1_11target_archE942ELNS1_3gpuE9ELNS1_3repE0EEENS1_30default_config_static_selectorELNS0_4arch9wavefront6targetE1EEEvSL_
		.amdhsa_group_segment_fixed_size 0
		.amdhsa_private_segment_fixed_size 0
		.amdhsa_kernarg_size 96
		.amdhsa_user_sgpr_count 6
		.amdhsa_user_sgpr_private_segment_buffer 1
		.amdhsa_user_sgpr_dispatch_ptr 0
		.amdhsa_user_sgpr_queue_ptr 0
		.amdhsa_user_sgpr_kernarg_segment_ptr 1
		.amdhsa_user_sgpr_dispatch_id 0
		.amdhsa_user_sgpr_flat_scratch_init 0
		.amdhsa_user_sgpr_private_segment_size 0
		.amdhsa_uses_dynamic_stack 0
		.amdhsa_system_sgpr_private_segment_wavefront_offset 0
		.amdhsa_system_sgpr_workgroup_id_x 1
		.amdhsa_system_sgpr_workgroup_id_y 0
		.amdhsa_system_sgpr_workgroup_id_z 0
		.amdhsa_system_sgpr_workgroup_info 0
		.amdhsa_system_vgpr_workitem_id 0
		.amdhsa_next_free_vgpr 1
		.amdhsa_next_free_sgpr 0
		.amdhsa_reserve_vcc 0
		.amdhsa_reserve_flat_scratch 0
		.amdhsa_float_round_mode_32 0
		.amdhsa_float_round_mode_16_64 0
		.amdhsa_float_denorm_mode_32 3
		.amdhsa_float_denorm_mode_16_64 3
		.amdhsa_dx10_clamp 1
		.amdhsa_ieee_mode 1
		.amdhsa_fp16_overflow 0
		.amdhsa_exception_fp_ieee_invalid_op 0
		.amdhsa_exception_fp_denorm_src 0
		.amdhsa_exception_fp_ieee_div_zero 0
		.amdhsa_exception_fp_ieee_overflow 0
		.amdhsa_exception_fp_ieee_underflow 0
		.amdhsa_exception_fp_ieee_inexact 0
		.amdhsa_exception_int_div_zero 0
	.end_amdhsa_kernel
	.section	.text._ZN7rocprim17ROCPRIM_400000_NS6detail17trampoline_kernelINS0_14default_configENS1_36segmented_radix_sort_config_selectorI12hip_bfloat16lEEZNS1_25segmented_radix_sort_implIS3_Lb1EPKS5_PS5_PKlPlN2at6native12_GLOBAL__N_18offset_tEEE10hipError_tPvRmT1_PNSt15iterator_traitsISL_E10value_typeET2_T3_PNSM_ISR_E10value_typeET4_jRbjT5_SX_jjP12ihipStream_tbEUlT_E_NS1_11comp_targetILNS1_3genE5ELNS1_11target_archE942ELNS1_3gpuE9ELNS1_3repE0EEENS1_30default_config_static_selectorELNS0_4arch9wavefront6targetE1EEEvSL_,"axG",@progbits,_ZN7rocprim17ROCPRIM_400000_NS6detail17trampoline_kernelINS0_14default_configENS1_36segmented_radix_sort_config_selectorI12hip_bfloat16lEEZNS1_25segmented_radix_sort_implIS3_Lb1EPKS5_PS5_PKlPlN2at6native12_GLOBAL__N_18offset_tEEE10hipError_tPvRmT1_PNSt15iterator_traitsISL_E10value_typeET2_T3_PNSM_ISR_E10value_typeET4_jRbjT5_SX_jjP12ihipStream_tbEUlT_E_NS1_11comp_targetILNS1_3genE5ELNS1_11target_archE942ELNS1_3gpuE9ELNS1_3repE0EEENS1_30default_config_static_selectorELNS0_4arch9wavefront6targetE1EEEvSL_,comdat
.Lfunc_end1947:
	.size	_ZN7rocprim17ROCPRIM_400000_NS6detail17trampoline_kernelINS0_14default_configENS1_36segmented_radix_sort_config_selectorI12hip_bfloat16lEEZNS1_25segmented_radix_sort_implIS3_Lb1EPKS5_PS5_PKlPlN2at6native12_GLOBAL__N_18offset_tEEE10hipError_tPvRmT1_PNSt15iterator_traitsISL_E10value_typeET2_T3_PNSM_ISR_E10value_typeET4_jRbjT5_SX_jjP12ihipStream_tbEUlT_E_NS1_11comp_targetILNS1_3genE5ELNS1_11target_archE942ELNS1_3gpuE9ELNS1_3repE0EEENS1_30default_config_static_selectorELNS0_4arch9wavefront6targetE1EEEvSL_, .Lfunc_end1947-_ZN7rocprim17ROCPRIM_400000_NS6detail17trampoline_kernelINS0_14default_configENS1_36segmented_radix_sort_config_selectorI12hip_bfloat16lEEZNS1_25segmented_radix_sort_implIS3_Lb1EPKS5_PS5_PKlPlN2at6native12_GLOBAL__N_18offset_tEEE10hipError_tPvRmT1_PNSt15iterator_traitsISL_E10value_typeET2_T3_PNSM_ISR_E10value_typeET4_jRbjT5_SX_jjP12ihipStream_tbEUlT_E_NS1_11comp_targetILNS1_3genE5ELNS1_11target_archE942ELNS1_3gpuE9ELNS1_3repE0EEENS1_30default_config_static_selectorELNS0_4arch9wavefront6targetE1EEEvSL_
                                        ; -- End function
	.set _ZN7rocprim17ROCPRIM_400000_NS6detail17trampoline_kernelINS0_14default_configENS1_36segmented_radix_sort_config_selectorI12hip_bfloat16lEEZNS1_25segmented_radix_sort_implIS3_Lb1EPKS5_PS5_PKlPlN2at6native12_GLOBAL__N_18offset_tEEE10hipError_tPvRmT1_PNSt15iterator_traitsISL_E10value_typeET2_T3_PNSM_ISR_E10value_typeET4_jRbjT5_SX_jjP12ihipStream_tbEUlT_E_NS1_11comp_targetILNS1_3genE5ELNS1_11target_archE942ELNS1_3gpuE9ELNS1_3repE0EEENS1_30default_config_static_selectorELNS0_4arch9wavefront6targetE1EEEvSL_.num_vgpr, 0
	.set _ZN7rocprim17ROCPRIM_400000_NS6detail17trampoline_kernelINS0_14default_configENS1_36segmented_radix_sort_config_selectorI12hip_bfloat16lEEZNS1_25segmented_radix_sort_implIS3_Lb1EPKS5_PS5_PKlPlN2at6native12_GLOBAL__N_18offset_tEEE10hipError_tPvRmT1_PNSt15iterator_traitsISL_E10value_typeET2_T3_PNSM_ISR_E10value_typeET4_jRbjT5_SX_jjP12ihipStream_tbEUlT_E_NS1_11comp_targetILNS1_3genE5ELNS1_11target_archE942ELNS1_3gpuE9ELNS1_3repE0EEENS1_30default_config_static_selectorELNS0_4arch9wavefront6targetE1EEEvSL_.num_agpr, 0
	.set _ZN7rocprim17ROCPRIM_400000_NS6detail17trampoline_kernelINS0_14default_configENS1_36segmented_radix_sort_config_selectorI12hip_bfloat16lEEZNS1_25segmented_radix_sort_implIS3_Lb1EPKS5_PS5_PKlPlN2at6native12_GLOBAL__N_18offset_tEEE10hipError_tPvRmT1_PNSt15iterator_traitsISL_E10value_typeET2_T3_PNSM_ISR_E10value_typeET4_jRbjT5_SX_jjP12ihipStream_tbEUlT_E_NS1_11comp_targetILNS1_3genE5ELNS1_11target_archE942ELNS1_3gpuE9ELNS1_3repE0EEENS1_30default_config_static_selectorELNS0_4arch9wavefront6targetE1EEEvSL_.numbered_sgpr, 0
	.set _ZN7rocprim17ROCPRIM_400000_NS6detail17trampoline_kernelINS0_14default_configENS1_36segmented_radix_sort_config_selectorI12hip_bfloat16lEEZNS1_25segmented_radix_sort_implIS3_Lb1EPKS5_PS5_PKlPlN2at6native12_GLOBAL__N_18offset_tEEE10hipError_tPvRmT1_PNSt15iterator_traitsISL_E10value_typeET2_T3_PNSM_ISR_E10value_typeET4_jRbjT5_SX_jjP12ihipStream_tbEUlT_E_NS1_11comp_targetILNS1_3genE5ELNS1_11target_archE942ELNS1_3gpuE9ELNS1_3repE0EEENS1_30default_config_static_selectorELNS0_4arch9wavefront6targetE1EEEvSL_.num_named_barrier, 0
	.set _ZN7rocprim17ROCPRIM_400000_NS6detail17trampoline_kernelINS0_14default_configENS1_36segmented_radix_sort_config_selectorI12hip_bfloat16lEEZNS1_25segmented_radix_sort_implIS3_Lb1EPKS5_PS5_PKlPlN2at6native12_GLOBAL__N_18offset_tEEE10hipError_tPvRmT1_PNSt15iterator_traitsISL_E10value_typeET2_T3_PNSM_ISR_E10value_typeET4_jRbjT5_SX_jjP12ihipStream_tbEUlT_E_NS1_11comp_targetILNS1_3genE5ELNS1_11target_archE942ELNS1_3gpuE9ELNS1_3repE0EEENS1_30default_config_static_selectorELNS0_4arch9wavefront6targetE1EEEvSL_.private_seg_size, 0
	.set _ZN7rocprim17ROCPRIM_400000_NS6detail17trampoline_kernelINS0_14default_configENS1_36segmented_radix_sort_config_selectorI12hip_bfloat16lEEZNS1_25segmented_radix_sort_implIS3_Lb1EPKS5_PS5_PKlPlN2at6native12_GLOBAL__N_18offset_tEEE10hipError_tPvRmT1_PNSt15iterator_traitsISL_E10value_typeET2_T3_PNSM_ISR_E10value_typeET4_jRbjT5_SX_jjP12ihipStream_tbEUlT_E_NS1_11comp_targetILNS1_3genE5ELNS1_11target_archE942ELNS1_3gpuE9ELNS1_3repE0EEENS1_30default_config_static_selectorELNS0_4arch9wavefront6targetE1EEEvSL_.uses_vcc, 0
	.set _ZN7rocprim17ROCPRIM_400000_NS6detail17trampoline_kernelINS0_14default_configENS1_36segmented_radix_sort_config_selectorI12hip_bfloat16lEEZNS1_25segmented_radix_sort_implIS3_Lb1EPKS5_PS5_PKlPlN2at6native12_GLOBAL__N_18offset_tEEE10hipError_tPvRmT1_PNSt15iterator_traitsISL_E10value_typeET2_T3_PNSM_ISR_E10value_typeET4_jRbjT5_SX_jjP12ihipStream_tbEUlT_E_NS1_11comp_targetILNS1_3genE5ELNS1_11target_archE942ELNS1_3gpuE9ELNS1_3repE0EEENS1_30default_config_static_selectorELNS0_4arch9wavefront6targetE1EEEvSL_.uses_flat_scratch, 0
	.set _ZN7rocprim17ROCPRIM_400000_NS6detail17trampoline_kernelINS0_14default_configENS1_36segmented_radix_sort_config_selectorI12hip_bfloat16lEEZNS1_25segmented_radix_sort_implIS3_Lb1EPKS5_PS5_PKlPlN2at6native12_GLOBAL__N_18offset_tEEE10hipError_tPvRmT1_PNSt15iterator_traitsISL_E10value_typeET2_T3_PNSM_ISR_E10value_typeET4_jRbjT5_SX_jjP12ihipStream_tbEUlT_E_NS1_11comp_targetILNS1_3genE5ELNS1_11target_archE942ELNS1_3gpuE9ELNS1_3repE0EEENS1_30default_config_static_selectorELNS0_4arch9wavefront6targetE1EEEvSL_.has_dyn_sized_stack, 0
	.set _ZN7rocprim17ROCPRIM_400000_NS6detail17trampoline_kernelINS0_14default_configENS1_36segmented_radix_sort_config_selectorI12hip_bfloat16lEEZNS1_25segmented_radix_sort_implIS3_Lb1EPKS5_PS5_PKlPlN2at6native12_GLOBAL__N_18offset_tEEE10hipError_tPvRmT1_PNSt15iterator_traitsISL_E10value_typeET2_T3_PNSM_ISR_E10value_typeET4_jRbjT5_SX_jjP12ihipStream_tbEUlT_E_NS1_11comp_targetILNS1_3genE5ELNS1_11target_archE942ELNS1_3gpuE9ELNS1_3repE0EEENS1_30default_config_static_selectorELNS0_4arch9wavefront6targetE1EEEvSL_.has_recursion, 0
	.set _ZN7rocprim17ROCPRIM_400000_NS6detail17trampoline_kernelINS0_14default_configENS1_36segmented_radix_sort_config_selectorI12hip_bfloat16lEEZNS1_25segmented_radix_sort_implIS3_Lb1EPKS5_PS5_PKlPlN2at6native12_GLOBAL__N_18offset_tEEE10hipError_tPvRmT1_PNSt15iterator_traitsISL_E10value_typeET2_T3_PNSM_ISR_E10value_typeET4_jRbjT5_SX_jjP12ihipStream_tbEUlT_E_NS1_11comp_targetILNS1_3genE5ELNS1_11target_archE942ELNS1_3gpuE9ELNS1_3repE0EEENS1_30default_config_static_selectorELNS0_4arch9wavefront6targetE1EEEvSL_.has_indirect_call, 0
	.section	.AMDGPU.csdata,"",@progbits
; Kernel info:
; codeLenInByte = 0
; TotalNumSgprs: 4
; NumVgprs: 0
; ScratchSize: 0
; MemoryBound: 0
; FloatMode: 240
; IeeeMode: 1
; LDSByteSize: 0 bytes/workgroup (compile time only)
; SGPRBlocks: 0
; VGPRBlocks: 0
; NumSGPRsForWavesPerEU: 4
; NumVGPRsForWavesPerEU: 1
; Occupancy: 10
; WaveLimiterHint : 0
; COMPUTE_PGM_RSRC2:SCRATCH_EN: 0
; COMPUTE_PGM_RSRC2:USER_SGPR: 6
; COMPUTE_PGM_RSRC2:TRAP_HANDLER: 0
; COMPUTE_PGM_RSRC2:TGID_X_EN: 1
; COMPUTE_PGM_RSRC2:TGID_Y_EN: 0
; COMPUTE_PGM_RSRC2:TGID_Z_EN: 0
; COMPUTE_PGM_RSRC2:TIDIG_COMP_CNT: 0
	.section	.text._ZN7rocprim17ROCPRIM_400000_NS6detail17trampoline_kernelINS0_14default_configENS1_36segmented_radix_sort_config_selectorI12hip_bfloat16lEEZNS1_25segmented_radix_sort_implIS3_Lb1EPKS5_PS5_PKlPlN2at6native12_GLOBAL__N_18offset_tEEE10hipError_tPvRmT1_PNSt15iterator_traitsISL_E10value_typeET2_T3_PNSM_ISR_E10value_typeET4_jRbjT5_SX_jjP12ihipStream_tbEUlT_E_NS1_11comp_targetILNS1_3genE4ELNS1_11target_archE910ELNS1_3gpuE8ELNS1_3repE0EEENS1_30default_config_static_selectorELNS0_4arch9wavefront6targetE1EEEvSL_,"axG",@progbits,_ZN7rocprim17ROCPRIM_400000_NS6detail17trampoline_kernelINS0_14default_configENS1_36segmented_radix_sort_config_selectorI12hip_bfloat16lEEZNS1_25segmented_radix_sort_implIS3_Lb1EPKS5_PS5_PKlPlN2at6native12_GLOBAL__N_18offset_tEEE10hipError_tPvRmT1_PNSt15iterator_traitsISL_E10value_typeET2_T3_PNSM_ISR_E10value_typeET4_jRbjT5_SX_jjP12ihipStream_tbEUlT_E_NS1_11comp_targetILNS1_3genE4ELNS1_11target_archE910ELNS1_3gpuE8ELNS1_3repE0EEENS1_30default_config_static_selectorELNS0_4arch9wavefront6targetE1EEEvSL_,comdat
	.globl	_ZN7rocprim17ROCPRIM_400000_NS6detail17trampoline_kernelINS0_14default_configENS1_36segmented_radix_sort_config_selectorI12hip_bfloat16lEEZNS1_25segmented_radix_sort_implIS3_Lb1EPKS5_PS5_PKlPlN2at6native12_GLOBAL__N_18offset_tEEE10hipError_tPvRmT1_PNSt15iterator_traitsISL_E10value_typeET2_T3_PNSM_ISR_E10value_typeET4_jRbjT5_SX_jjP12ihipStream_tbEUlT_E_NS1_11comp_targetILNS1_3genE4ELNS1_11target_archE910ELNS1_3gpuE8ELNS1_3repE0EEENS1_30default_config_static_selectorELNS0_4arch9wavefront6targetE1EEEvSL_ ; -- Begin function _ZN7rocprim17ROCPRIM_400000_NS6detail17trampoline_kernelINS0_14default_configENS1_36segmented_radix_sort_config_selectorI12hip_bfloat16lEEZNS1_25segmented_radix_sort_implIS3_Lb1EPKS5_PS5_PKlPlN2at6native12_GLOBAL__N_18offset_tEEE10hipError_tPvRmT1_PNSt15iterator_traitsISL_E10value_typeET2_T3_PNSM_ISR_E10value_typeET4_jRbjT5_SX_jjP12ihipStream_tbEUlT_E_NS1_11comp_targetILNS1_3genE4ELNS1_11target_archE910ELNS1_3gpuE8ELNS1_3repE0EEENS1_30default_config_static_selectorELNS0_4arch9wavefront6targetE1EEEvSL_
	.p2align	8
	.type	_ZN7rocprim17ROCPRIM_400000_NS6detail17trampoline_kernelINS0_14default_configENS1_36segmented_radix_sort_config_selectorI12hip_bfloat16lEEZNS1_25segmented_radix_sort_implIS3_Lb1EPKS5_PS5_PKlPlN2at6native12_GLOBAL__N_18offset_tEEE10hipError_tPvRmT1_PNSt15iterator_traitsISL_E10value_typeET2_T3_PNSM_ISR_E10value_typeET4_jRbjT5_SX_jjP12ihipStream_tbEUlT_E_NS1_11comp_targetILNS1_3genE4ELNS1_11target_archE910ELNS1_3gpuE8ELNS1_3repE0EEENS1_30default_config_static_selectorELNS0_4arch9wavefront6targetE1EEEvSL_,@function
_ZN7rocprim17ROCPRIM_400000_NS6detail17trampoline_kernelINS0_14default_configENS1_36segmented_radix_sort_config_selectorI12hip_bfloat16lEEZNS1_25segmented_radix_sort_implIS3_Lb1EPKS5_PS5_PKlPlN2at6native12_GLOBAL__N_18offset_tEEE10hipError_tPvRmT1_PNSt15iterator_traitsISL_E10value_typeET2_T3_PNSM_ISR_E10value_typeET4_jRbjT5_SX_jjP12ihipStream_tbEUlT_E_NS1_11comp_targetILNS1_3genE4ELNS1_11target_archE910ELNS1_3gpuE8ELNS1_3repE0EEENS1_30default_config_static_selectorELNS0_4arch9wavefront6targetE1EEEvSL_: ; @_ZN7rocprim17ROCPRIM_400000_NS6detail17trampoline_kernelINS0_14default_configENS1_36segmented_radix_sort_config_selectorI12hip_bfloat16lEEZNS1_25segmented_radix_sort_implIS3_Lb1EPKS5_PS5_PKlPlN2at6native12_GLOBAL__N_18offset_tEEE10hipError_tPvRmT1_PNSt15iterator_traitsISL_E10value_typeET2_T3_PNSM_ISR_E10value_typeET4_jRbjT5_SX_jjP12ihipStream_tbEUlT_E_NS1_11comp_targetILNS1_3genE4ELNS1_11target_archE910ELNS1_3gpuE8ELNS1_3repE0EEENS1_30default_config_static_selectorELNS0_4arch9wavefront6targetE1EEEvSL_
; %bb.0:
	.section	.rodata,"a",@progbits
	.p2align	6, 0x0
	.amdhsa_kernel _ZN7rocprim17ROCPRIM_400000_NS6detail17trampoline_kernelINS0_14default_configENS1_36segmented_radix_sort_config_selectorI12hip_bfloat16lEEZNS1_25segmented_radix_sort_implIS3_Lb1EPKS5_PS5_PKlPlN2at6native12_GLOBAL__N_18offset_tEEE10hipError_tPvRmT1_PNSt15iterator_traitsISL_E10value_typeET2_T3_PNSM_ISR_E10value_typeET4_jRbjT5_SX_jjP12ihipStream_tbEUlT_E_NS1_11comp_targetILNS1_3genE4ELNS1_11target_archE910ELNS1_3gpuE8ELNS1_3repE0EEENS1_30default_config_static_selectorELNS0_4arch9wavefront6targetE1EEEvSL_
		.amdhsa_group_segment_fixed_size 0
		.amdhsa_private_segment_fixed_size 0
		.amdhsa_kernarg_size 96
		.amdhsa_user_sgpr_count 6
		.amdhsa_user_sgpr_private_segment_buffer 1
		.amdhsa_user_sgpr_dispatch_ptr 0
		.amdhsa_user_sgpr_queue_ptr 0
		.amdhsa_user_sgpr_kernarg_segment_ptr 1
		.amdhsa_user_sgpr_dispatch_id 0
		.amdhsa_user_sgpr_flat_scratch_init 0
		.amdhsa_user_sgpr_private_segment_size 0
		.amdhsa_uses_dynamic_stack 0
		.amdhsa_system_sgpr_private_segment_wavefront_offset 0
		.amdhsa_system_sgpr_workgroup_id_x 1
		.amdhsa_system_sgpr_workgroup_id_y 0
		.amdhsa_system_sgpr_workgroup_id_z 0
		.amdhsa_system_sgpr_workgroup_info 0
		.amdhsa_system_vgpr_workitem_id 0
		.amdhsa_next_free_vgpr 1
		.amdhsa_next_free_sgpr 0
		.amdhsa_reserve_vcc 0
		.amdhsa_reserve_flat_scratch 0
		.amdhsa_float_round_mode_32 0
		.amdhsa_float_round_mode_16_64 0
		.amdhsa_float_denorm_mode_32 3
		.amdhsa_float_denorm_mode_16_64 3
		.amdhsa_dx10_clamp 1
		.amdhsa_ieee_mode 1
		.amdhsa_fp16_overflow 0
		.amdhsa_exception_fp_ieee_invalid_op 0
		.amdhsa_exception_fp_denorm_src 0
		.amdhsa_exception_fp_ieee_div_zero 0
		.amdhsa_exception_fp_ieee_overflow 0
		.amdhsa_exception_fp_ieee_underflow 0
		.amdhsa_exception_fp_ieee_inexact 0
		.amdhsa_exception_int_div_zero 0
	.end_amdhsa_kernel
	.section	.text._ZN7rocprim17ROCPRIM_400000_NS6detail17trampoline_kernelINS0_14default_configENS1_36segmented_radix_sort_config_selectorI12hip_bfloat16lEEZNS1_25segmented_radix_sort_implIS3_Lb1EPKS5_PS5_PKlPlN2at6native12_GLOBAL__N_18offset_tEEE10hipError_tPvRmT1_PNSt15iterator_traitsISL_E10value_typeET2_T3_PNSM_ISR_E10value_typeET4_jRbjT5_SX_jjP12ihipStream_tbEUlT_E_NS1_11comp_targetILNS1_3genE4ELNS1_11target_archE910ELNS1_3gpuE8ELNS1_3repE0EEENS1_30default_config_static_selectorELNS0_4arch9wavefront6targetE1EEEvSL_,"axG",@progbits,_ZN7rocprim17ROCPRIM_400000_NS6detail17trampoline_kernelINS0_14default_configENS1_36segmented_radix_sort_config_selectorI12hip_bfloat16lEEZNS1_25segmented_radix_sort_implIS3_Lb1EPKS5_PS5_PKlPlN2at6native12_GLOBAL__N_18offset_tEEE10hipError_tPvRmT1_PNSt15iterator_traitsISL_E10value_typeET2_T3_PNSM_ISR_E10value_typeET4_jRbjT5_SX_jjP12ihipStream_tbEUlT_E_NS1_11comp_targetILNS1_3genE4ELNS1_11target_archE910ELNS1_3gpuE8ELNS1_3repE0EEENS1_30default_config_static_selectorELNS0_4arch9wavefront6targetE1EEEvSL_,comdat
.Lfunc_end1948:
	.size	_ZN7rocprim17ROCPRIM_400000_NS6detail17trampoline_kernelINS0_14default_configENS1_36segmented_radix_sort_config_selectorI12hip_bfloat16lEEZNS1_25segmented_radix_sort_implIS3_Lb1EPKS5_PS5_PKlPlN2at6native12_GLOBAL__N_18offset_tEEE10hipError_tPvRmT1_PNSt15iterator_traitsISL_E10value_typeET2_T3_PNSM_ISR_E10value_typeET4_jRbjT5_SX_jjP12ihipStream_tbEUlT_E_NS1_11comp_targetILNS1_3genE4ELNS1_11target_archE910ELNS1_3gpuE8ELNS1_3repE0EEENS1_30default_config_static_selectorELNS0_4arch9wavefront6targetE1EEEvSL_, .Lfunc_end1948-_ZN7rocprim17ROCPRIM_400000_NS6detail17trampoline_kernelINS0_14default_configENS1_36segmented_radix_sort_config_selectorI12hip_bfloat16lEEZNS1_25segmented_radix_sort_implIS3_Lb1EPKS5_PS5_PKlPlN2at6native12_GLOBAL__N_18offset_tEEE10hipError_tPvRmT1_PNSt15iterator_traitsISL_E10value_typeET2_T3_PNSM_ISR_E10value_typeET4_jRbjT5_SX_jjP12ihipStream_tbEUlT_E_NS1_11comp_targetILNS1_3genE4ELNS1_11target_archE910ELNS1_3gpuE8ELNS1_3repE0EEENS1_30default_config_static_selectorELNS0_4arch9wavefront6targetE1EEEvSL_
                                        ; -- End function
	.set _ZN7rocprim17ROCPRIM_400000_NS6detail17trampoline_kernelINS0_14default_configENS1_36segmented_radix_sort_config_selectorI12hip_bfloat16lEEZNS1_25segmented_radix_sort_implIS3_Lb1EPKS5_PS5_PKlPlN2at6native12_GLOBAL__N_18offset_tEEE10hipError_tPvRmT1_PNSt15iterator_traitsISL_E10value_typeET2_T3_PNSM_ISR_E10value_typeET4_jRbjT5_SX_jjP12ihipStream_tbEUlT_E_NS1_11comp_targetILNS1_3genE4ELNS1_11target_archE910ELNS1_3gpuE8ELNS1_3repE0EEENS1_30default_config_static_selectorELNS0_4arch9wavefront6targetE1EEEvSL_.num_vgpr, 0
	.set _ZN7rocprim17ROCPRIM_400000_NS6detail17trampoline_kernelINS0_14default_configENS1_36segmented_radix_sort_config_selectorI12hip_bfloat16lEEZNS1_25segmented_radix_sort_implIS3_Lb1EPKS5_PS5_PKlPlN2at6native12_GLOBAL__N_18offset_tEEE10hipError_tPvRmT1_PNSt15iterator_traitsISL_E10value_typeET2_T3_PNSM_ISR_E10value_typeET4_jRbjT5_SX_jjP12ihipStream_tbEUlT_E_NS1_11comp_targetILNS1_3genE4ELNS1_11target_archE910ELNS1_3gpuE8ELNS1_3repE0EEENS1_30default_config_static_selectorELNS0_4arch9wavefront6targetE1EEEvSL_.num_agpr, 0
	.set _ZN7rocprim17ROCPRIM_400000_NS6detail17trampoline_kernelINS0_14default_configENS1_36segmented_radix_sort_config_selectorI12hip_bfloat16lEEZNS1_25segmented_radix_sort_implIS3_Lb1EPKS5_PS5_PKlPlN2at6native12_GLOBAL__N_18offset_tEEE10hipError_tPvRmT1_PNSt15iterator_traitsISL_E10value_typeET2_T3_PNSM_ISR_E10value_typeET4_jRbjT5_SX_jjP12ihipStream_tbEUlT_E_NS1_11comp_targetILNS1_3genE4ELNS1_11target_archE910ELNS1_3gpuE8ELNS1_3repE0EEENS1_30default_config_static_selectorELNS0_4arch9wavefront6targetE1EEEvSL_.numbered_sgpr, 0
	.set _ZN7rocprim17ROCPRIM_400000_NS6detail17trampoline_kernelINS0_14default_configENS1_36segmented_radix_sort_config_selectorI12hip_bfloat16lEEZNS1_25segmented_radix_sort_implIS3_Lb1EPKS5_PS5_PKlPlN2at6native12_GLOBAL__N_18offset_tEEE10hipError_tPvRmT1_PNSt15iterator_traitsISL_E10value_typeET2_T3_PNSM_ISR_E10value_typeET4_jRbjT5_SX_jjP12ihipStream_tbEUlT_E_NS1_11comp_targetILNS1_3genE4ELNS1_11target_archE910ELNS1_3gpuE8ELNS1_3repE0EEENS1_30default_config_static_selectorELNS0_4arch9wavefront6targetE1EEEvSL_.num_named_barrier, 0
	.set _ZN7rocprim17ROCPRIM_400000_NS6detail17trampoline_kernelINS0_14default_configENS1_36segmented_radix_sort_config_selectorI12hip_bfloat16lEEZNS1_25segmented_radix_sort_implIS3_Lb1EPKS5_PS5_PKlPlN2at6native12_GLOBAL__N_18offset_tEEE10hipError_tPvRmT1_PNSt15iterator_traitsISL_E10value_typeET2_T3_PNSM_ISR_E10value_typeET4_jRbjT5_SX_jjP12ihipStream_tbEUlT_E_NS1_11comp_targetILNS1_3genE4ELNS1_11target_archE910ELNS1_3gpuE8ELNS1_3repE0EEENS1_30default_config_static_selectorELNS0_4arch9wavefront6targetE1EEEvSL_.private_seg_size, 0
	.set _ZN7rocprim17ROCPRIM_400000_NS6detail17trampoline_kernelINS0_14default_configENS1_36segmented_radix_sort_config_selectorI12hip_bfloat16lEEZNS1_25segmented_radix_sort_implIS3_Lb1EPKS5_PS5_PKlPlN2at6native12_GLOBAL__N_18offset_tEEE10hipError_tPvRmT1_PNSt15iterator_traitsISL_E10value_typeET2_T3_PNSM_ISR_E10value_typeET4_jRbjT5_SX_jjP12ihipStream_tbEUlT_E_NS1_11comp_targetILNS1_3genE4ELNS1_11target_archE910ELNS1_3gpuE8ELNS1_3repE0EEENS1_30default_config_static_selectorELNS0_4arch9wavefront6targetE1EEEvSL_.uses_vcc, 0
	.set _ZN7rocprim17ROCPRIM_400000_NS6detail17trampoline_kernelINS0_14default_configENS1_36segmented_radix_sort_config_selectorI12hip_bfloat16lEEZNS1_25segmented_radix_sort_implIS3_Lb1EPKS5_PS5_PKlPlN2at6native12_GLOBAL__N_18offset_tEEE10hipError_tPvRmT1_PNSt15iterator_traitsISL_E10value_typeET2_T3_PNSM_ISR_E10value_typeET4_jRbjT5_SX_jjP12ihipStream_tbEUlT_E_NS1_11comp_targetILNS1_3genE4ELNS1_11target_archE910ELNS1_3gpuE8ELNS1_3repE0EEENS1_30default_config_static_selectorELNS0_4arch9wavefront6targetE1EEEvSL_.uses_flat_scratch, 0
	.set _ZN7rocprim17ROCPRIM_400000_NS6detail17trampoline_kernelINS0_14default_configENS1_36segmented_radix_sort_config_selectorI12hip_bfloat16lEEZNS1_25segmented_radix_sort_implIS3_Lb1EPKS5_PS5_PKlPlN2at6native12_GLOBAL__N_18offset_tEEE10hipError_tPvRmT1_PNSt15iterator_traitsISL_E10value_typeET2_T3_PNSM_ISR_E10value_typeET4_jRbjT5_SX_jjP12ihipStream_tbEUlT_E_NS1_11comp_targetILNS1_3genE4ELNS1_11target_archE910ELNS1_3gpuE8ELNS1_3repE0EEENS1_30default_config_static_selectorELNS0_4arch9wavefront6targetE1EEEvSL_.has_dyn_sized_stack, 0
	.set _ZN7rocprim17ROCPRIM_400000_NS6detail17trampoline_kernelINS0_14default_configENS1_36segmented_radix_sort_config_selectorI12hip_bfloat16lEEZNS1_25segmented_radix_sort_implIS3_Lb1EPKS5_PS5_PKlPlN2at6native12_GLOBAL__N_18offset_tEEE10hipError_tPvRmT1_PNSt15iterator_traitsISL_E10value_typeET2_T3_PNSM_ISR_E10value_typeET4_jRbjT5_SX_jjP12ihipStream_tbEUlT_E_NS1_11comp_targetILNS1_3genE4ELNS1_11target_archE910ELNS1_3gpuE8ELNS1_3repE0EEENS1_30default_config_static_selectorELNS0_4arch9wavefront6targetE1EEEvSL_.has_recursion, 0
	.set _ZN7rocprim17ROCPRIM_400000_NS6detail17trampoline_kernelINS0_14default_configENS1_36segmented_radix_sort_config_selectorI12hip_bfloat16lEEZNS1_25segmented_radix_sort_implIS3_Lb1EPKS5_PS5_PKlPlN2at6native12_GLOBAL__N_18offset_tEEE10hipError_tPvRmT1_PNSt15iterator_traitsISL_E10value_typeET2_T3_PNSM_ISR_E10value_typeET4_jRbjT5_SX_jjP12ihipStream_tbEUlT_E_NS1_11comp_targetILNS1_3genE4ELNS1_11target_archE910ELNS1_3gpuE8ELNS1_3repE0EEENS1_30default_config_static_selectorELNS0_4arch9wavefront6targetE1EEEvSL_.has_indirect_call, 0
	.section	.AMDGPU.csdata,"",@progbits
; Kernel info:
; codeLenInByte = 0
; TotalNumSgprs: 4
; NumVgprs: 0
; ScratchSize: 0
; MemoryBound: 0
; FloatMode: 240
; IeeeMode: 1
; LDSByteSize: 0 bytes/workgroup (compile time only)
; SGPRBlocks: 0
; VGPRBlocks: 0
; NumSGPRsForWavesPerEU: 4
; NumVGPRsForWavesPerEU: 1
; Occupancy: 10
; WaveLimiterHint : 0
; COMPUTE_PGM_RSRC2:SCRATCH_EN: 0
; COMPUTE_PGM_RSRC2:USER_SGPR: 6
; COMPUTE_PGM_RSRC2:TRAP_HANDLER: 0
; COMPUTE_PGM_RSRC2:TGID_X_EN: 1
; COMPUTE_PGM_RSRC2:TGID_Y_EN: 0
; COMPUTE_PGM_RSRC2:TGID_Z_EN: 0
; COMPUTE_PGM_RSRC2:TIDIG_COMP_CNT: 0
	.section	.text._ZN7rocprim17ROCPRIM_400000_NS6detail17trampoline_kernelINS0_14default_configENS1_36segmented_radix_sort_config_selectorI12hip_bfloat16lEEZNS1_25segmented_radix_sort_implIS3_Lb1EPKS5_PS5_PKlPlN2at6native12_GLOBAL__N_18offset_tEEE10hipError_tPvRmT1_PNSt15iterator_traitsISL_E10value_typeET2_T3_PNSM_ISR_E10value_typeET4_jRbjT5_SX_jjP12ihipStream_tbEUlT_E_NS1_11comp_targetILNS1_3genE3ELNS1_11target_archE908ELNS1_3gpuE7ELNS1_3repE0EEENS1_30default_config_static_selectorELNS0_4arch9wavefront6targetE1EEEvSL_,"axG",@progbits,_ZN7rocprim17ROCPRIM_400000_NS6detail17trampoline_kernelINS0_14default_configENS1_36segmented_radix_sort_config_selectorI12hip_bfloat16lEEZNS1_25segmented_radix_sort_implIS3_Lb1EPKS5_PS5_PKlPlN2at6native12_GLOBAL__N_18offset_tEEE10hipError_tPvRmT1_PNSt15iterator_traitsISL_E10value_typeET2_T3_PNSM_ISR_E10value_typeET4_jRbjT5_SX_jjP12ihipStream_tbEUlT_E_NS1_11comp_targetILNS1_3genE3ELNS1_11target_archE908ELNS1_3gpuE7ELNS1_3repE0EEENS1_30default_config_static_selectorELNS0_4arch9wavefront6targetE1EEEvSL_,comdat
	.globl	_ZN7rocprim17ROCPRIM_400000_NS6detail17trampoline_kernelINS0_14default_configENS1_36segmented_radix_sort_config_selectorI12hip_bfloat16lEEZNS1_25segmented_radix_sort_implIS3_Lb1EPKS5_PS5_PKlPlN2at6native12_GLOBAL__N_18offset_tEEE10hipError_tPvRmT1_PNSt15iterator_traitsISL_E10value_typeET2_T3_PNSM_ISR_E10value_typeET4_jRbjT5_SX_jjP12ihipStream_tbEUlT_E_NS1_11comp_targetILNS1_3genE3ELNS1_11target_archE908ELNS1_3gpuE7ELNS1_3repE0EEENS1_30default_config_static_selectorELNS0_4arch9wavefront6targetE1EEEvSL_ ; -- Begin function _ZN7rocprim17ROCPRIM_400000_NS6detail17trampoline_kernelINS0_14default_configENS1_36segmented_radix_sort_config_selectorI12hip_bfloat16lEEZNS1_25segmented_radix_sort_implIS3_Lb1EPKS5_PS5_PKlPlN2at6native12_GLOBAL__N_18offset_tEEE10hipError_tPvRmT1_PNSt15iterator_traitsISL_E10value_typeET2_T3_PNSM_ISR_E10value_typeET4_jRbjT5_SX_jjP12ihipStream_tbEUlT_E_NS1_11comp_targetILNS1_3genE3ELNS1_11target_archE908ELNS1_3gpuE7ELNS1_3repE0EEENS1_30default_config_static_selectorELNS0_4arch9wavefront6targetE1EEEvSL_
	.p2align	8
	.type	_ZN7rocprim17ROCPRIM_400000_NS6detail17trampoline_kernelINS0_14default_configENS1_36segmented_radix_sort_config_selectorI12hip_bfloat16lEEZNS1_25segmented_radix_sort_implIS3_Lb1EPKS5_PS5_PKlPlN2at6native12_GLOBAL__N_18offset_tEEE10hipError_tPvRmT1_PNSt15iterator_traitsISL_E10value_typeET2_T3_PNSM_ISR_E10value_typeET4_jRbjT5_SX_jjP12ihipStream_tbEUlT_E_NS1_11comp_targetILNS1_3genE3ELNS1_11target_archE908ELNS1_3gpuE7ELNS1_3repE0EEENS1_30default_config_static_selectorELNS0_4arch9wavefront6targetE1EEEvSL_,@function
_ZN7rocprim17ROCPRIM_400000_NS6detail17trampoline_kernelINS0_14default_configENS1_36segmented_radix_sort_config_selectorI12hip_bfloat16lEEZNS1_25segmented_radix_sort_implIS3_Lb1EPKS5_PS5_PKlPlN2at6native12_GLOBAL__N_18offset_tEEE10hipError_tPvRmT1_PNSt15iterator_traitsISL_E10value_typeET2_T3_PNSM_ISR_E10value_typeET4_jRbjT5_SX_jjP12ihipStream_tbEUlT_E_NS1_11comp_targetILNS1_3genE3ELNS1_11target_archE908ELNS1_3gpuE7ELNS1_3repE0EEENS1_30default_config_static_selectorELNS0_4arch9wavefront6targetE1EEEvSL_: ; @_ZN7rocprim17ROCPRIM_400000_NS6detail17trampoline_kernelINS0_14default_configENS1_36segmented_radix_sort_config_selectorI12hip_bfloat16lEEZNS1_25segmented_radix_sort_implIS3_Lb1EPKS5_PS5_PKlPlN2at6native12_GLOBAL__N_18offset_tEEE10hipError_tPvRmT1_PNSt15iterator_traitsISL_E10value_typeET2_T3_PNSM_ISR_E10value_typeET4_jRbjT5_SX_jjP12ihipStream_tbEUlT_E_NS1_11comp_targetILNS1_3genE3ELNS1_11target_archE908ELNS1_3gpuE7ELNS1_3repE0EEENS1_30default_config_static_selectorELNS0_4arch9wavefront6targetE1EEEvSL_
; %bb.0:
	.section	.rodata,"a",@progbits
	.p2align	6, 0x0
	.amdhsa_kernel _ZN7rocprim17ROCPRIM_400000_NS6detail17trampoline_kernelINS0_14default_configENS1_36segmented_radix_sort_config_selectorI12hip_bfloat16lEEZNS1_25segmented_radix_sort_implIS3_Lb1EPKS5_PS5_PKlPlN2at6native12_GLOBAL__N_18offset_tEEE10hipError_tPvRmT1_PNSt15iterator_traitsISL_E10value_typeET2_T3_PNSM_ISR_E10value_typeET4_jRbjT5_SX_jjP12ihipStream_tbEUlT_E_NS1_11comp_targetILNS1_3genE3ELNS1_11target_archE908ELNS1_3gpuE7ELNS1_3repE0EEENS1_30default_config_static_selectorELNS0_4arch9wavefront6targetE1EEEvSL_
		.amdhsa_group_segment_fixed_size 0
		.amdhsa_private_segment_fixed_size 0
		.amdhsa_kernarg_size 96
		.amdhsa_user_sgpr_count 6
		.amdhsa_user_sgpr_private_segment_buffer 1
		.amdhsa_user_sgpr_dispatch_ptr 0
		.amdhsa_user_sgpr_queue_ptr 0
		.amdhsa_user_sgpr_kernarg_segment_ptr 1
		.amdhsa_user_sgpr_dispatch_id 0
		.amdhsa_user_sgpr_flat_scratch_init 0
		.amdhsa_user_sgpr_private_segment_size 0
		.amdhsa_uses_dynamic_stack 0
		.amdhsa_system_sgpr_private_segment_wavefront_offset 0
		.amdhsa_system_sgpr_workgroup_id_x 1
		.amdhsa_system_sgpr_workgroup_id_y 0
		.amdhsa_system_sgpr_workgroup_id_z 0
		.amdhsa_system_sgpr_workgroup_info 0
		.amdhsa_system_vgpr_workitem_id 0
		.amdhsa_next_free_vgpr 1
		.amdhsa_next_free_sgpr 0
		.amdhsa_reserve_vcc 0
		.amdhsa_reserve_flat_scratch 0
		.amdhsa_float_round_mode_32 0
		.amdhsa_float_round_mode_16_64 0
		.amdhsa_float_denorm_mode_32 3
		.amdhsa_float_denorm_mode_16_64 3
		.amdhsa_dx10_clamp 1
		.amdhsa_ieee_mode 1
		.amdhsa_fp16_overflow 0
		.amdhsa_exception_fp_ieee_invalid_op 0
		.amdhsa_exception_fp_denorm_src 0
		.amdhsa_exception_fp_ieee_div_zero 0
		.amdhsa_exception_fp_ieee_overflow 0
		.amdhsa_exception_fp_ieee_underflow 0
		.amdhsa_exception_fp_ieee_inexact 0
		.amdhsa_exception_int_div_zero 0
	.end_amdhsa_kernel
	.section	.text._ZN7rocprim17ROCPRIM_400000_NS6detail17trampoline_kernelINS0_14default_configENS1_36segmented_radix_sort_config_selectorI12hip_bfloat16lEEZNS1_25segmented_radix_sort_implIS3_Lb1EPKS5_PS5_PKlPlN2at6native12_GLOBAL__N_18offset_tEEE10hipError_tPvRmT1_PNSt15iterator_traitsISL_E10value_typeET2_T3_PNSM_ISR_E10value_typeET4_jRbjT5_SX_jjP12ihipStream_tbEUlT_E_NS1_11comp_targetILNS1_3genE3ELNS1_11target_archE908ELNS1_3gpuE7ELNS1_3repE0EEENS1_30default_config_static_selectorELNS0_4arch9wavefront6targetE1EEEvSL_,"axG",@progbits,_ZN7rocprim17ROCPRIM_400000_NS6detail17trampoline_kernelINS0_14default_configENS1_36segmented_radix_sort_config_selectorI12hip_bfloat16lEEZNS1_25segmented_radix_sort_implIS3_Lb1EPKS5_PS5_PKlPlN2at6native12_GLOBAL__N_18offset_tEEE10hipError_tPvRmT1_PNSt15iterator_traitsISL_E10value_typeET2_T3_PNSM_ISR_E10value_typeET4_jRbjT5_SX_jjP12ihipStream_tbEUlT_E_NS1_11comp_targetILNS1_3genE3ELNS1_11target_archE908ELNS1_3gpuE7ELNS1_3repE0EEENS1_30default_config_static_selectorELNS0_4arch9wavefront6targetE1EEEvSL_,comdat
.Lfunc_end1949:
	.size	_ZN7rocprim17ROCPRIM_400000_NS6detail17trampoline_kernelINS0_14default_configENS1_36segmented_radix_sort_config_selectorI12hip_bfloat16lEEZNS1_25segmented_radix_sort_implIS3_Lb1EPKS5_PS5_PKlPlN2at6native12_GLOBAL__N_18offset_tEEE10hipError_tPvRmT1_PNSt15iterator_traitsISL_E10value_typeET2_T3_PNSM_ISR_E10value_typeET4_jRbjT5_SX_jjP12ihipStream_tbEUlT_E_NS1_11comp_targetILNS1_3genE3ELNS1_11target_archE908ELNS1_3gpuE7ELNS1_3repE0EEENS1_30default_config_static_selectorELNS0_4arch9wavefront6targetE1EEEvSL_, .Lfunc_end1949-_ZN7rocprim17ROCPRIM_400000_NS6detail17trampoline_kernelINS0_14default_configENS1_36segmented_radix_sort_config_selectorI12hip_bfloat16lEEZNS1_25segmented_radix_sort_implIS3_Lb1EPKS5_PS5_PKlPlN2at6native12_GLOBAL__N_18offset_tEEE10hipError_tPvRmT1_PNSt15iterator_traitsISL_E10value_typeET2_T3_PNSM_ISR_E10value_typeET4_jRbjT5_SX_jjP12ihipStream_tbEUlT_E_NS1_11comp_targetILNS1_3genE3ELNS1_11target_archE908ELNS1_3gpuE7ELNS1_3repE0EEENS1_30default_config_static_selectorELNS0_4arch9wavefront6targetE1EEEvSL_
                                        ; -- End function
	.set _ZN7rocprim17ROCPRIM_400000_NS6detail17trampoline_kernelINS0_14default_configENS1_36segmented_radix_sort_config_selectorI12hip_bfloat16lEEZNS1_25segmented_radix_sort_implIS3_Lb1EPKS5_PS5_PKlPlN2at6native12_GLOBAL__N_18offset_tEEE10hipError_tPvRmT1_PNSt15iterator_traitsISL_E10value_typeET2_T3_PNSM_ISR_E10value_typeET4_jRbjT5_SX_jjP12ihipStream_tbEUlT_E_NS1_11comp_targetILNS1_3genE3ELNS1_11target_archE908ELNS1_3gpuE7ELNS1_3repE0EEENS1_30default_config_static_selectorELNS0_4arch9wavefront6targetE1EEEvSL_.num_vgpr, 0
	.set _ZN7rocprim17ROCPRIM_400000_NS6detail17trampoline_kernelINS0_14default_configENS1_36segmented_radix_sort_config_selectorI12hip_bfloat16lEEZNS1_25segmented_radix_sort_implIS3_Lb1EPKS5_PS5_PKlPlN2at6native12_GLOBAL__N_18offset_tEEE10hipError_tPvRmT1_PNSt15iterator_traitsISL_E10value_typeET2_T3_PNSM_ISR_E10value_typeET4_jRbjT5_SX_jjP12ihipStream_tbEUlT_E_NS1_11comp_targetILNS1_3genE3ELNS1_11target_archE908ELNS1_3gpuE7ELNS1_3repE0EEENS1_30default_config_static_selectorELNS0_4arch9wavefront6targetE1EEEvSL_.num_agpr, 0
	.set _ZN7rocprim17ROCPRIM_400000_NS6detail17trampoline_kernelINS0_14default_configENS1_36segmented_radix_sort_config_selectorI12hip_bfloat16lEEZNS1_25segmented_radix_sort_implIS3_Lb1EPKS5_PS5_PKlPlN2at6native12_GLOBAL__N_18offset_tEEE10hipError_tPvRmT1_PNSt15iterator_traitsISL_E10value_typeET2_T3_PNSM_ISR_E10value_typeET4_jRbjT5_SX_jjP12ihipStream_tbEUlT_E_NS1_11comp_targetILNS1_3genE3ELNS1_11target_archE908ELNS1_3gpuE7ELNS1_3repE0EEENS1_30default_config_static_selectorELNS0_4arch9wavefront6targetE1EEEvSL_.numbered_sgpr, 0
	.set _ZN7rocprim17ROCPRIM_400000_NS6detail17trampoline_kernelINS0_14default_configENS1_36segmented_radix_sort_config_selectorI12hip_bfloat16lEEZNS1_25segmented_radix_sort_implIS3_Lb1EPKS5_PS5_PKlPlN2at6native12_GLOBAL__N_18offset_tEEE10hipError_tPvRmT1_PNSt15iterator_traitsISL_E10value_typeET2_T3_PNSM_ISR_E10value_typeET4_jRbjT5_SX_jjP12ihipStream_tbEUlT_E_NS1_11comp_targetILNS1_3genE3ELNS1_11target_archE908ELNS1_3gpuE7ELNS1_3repE0EEENS1_30default_config_static_selectorELNS0_4arch9wavefront6targetE1EEEvSL_.num_named_barrier, 0
	.set _ZN7rocprim17ROCPRIM_400000_NS6detail17trampoline_kernelINS0_14default_configENS1_36segmented_radix_sort_config_selectorI12hip_bfloat16lEEZNS1_25segmented_radix_sort_implIS3_Lb1EPKS5_PS5_PKlPlN2at6native12_GLOBAL__N_18offset_tEEE10hipError_tPvRmT1_PNSt15iterator_traitsISL_E10value_typeET2_T3_PNSM_ISR_E10value_typeET4_jRbjT5_SX_jjP12ihipStream_tbEUlT_E_NS1_11comp_targetILNS1_3genE3ELNS1_11target_archE908ELNS1_3gpuE7ELNS1_3repE0EEENS1_30default_config_static_selectorELNS0_4arch9wavefront6targetE1EEEvSL_.private_seg_size, 0
	.set _ZN7rocprim17ROCPRIM_400000_NS6detail17trampoline_kernelINS0_14default_configENS1_36segmented_radix_sort_config_selectorI12hip_bfloat16lEEZNS1_25segmented_radix_sort_implIS3_Lb1EPKS5_PS5_PKlPlN2at6native12_GLOBAL__N_18offset_tEEE10hipError_tPvRmT1_PNSt15iterator_traitsISL_E10value_typeET2_T3_PNSM_ISR_E10value_typeET4_jRbjT5_SX_jjP12ihipStream_tbEUlT_E_NS1_11comp_targetILNS1_3genE3ELNS1_11target_archE908ELNS1_3gpuE7ELNS1_3repE0EEENS1_30default_config_static_selectorELNS0_4arch9wavefront6targetE1EEEvSL_.uses_vcc, 0
	.set _ZN7rocprim17ROCPRIM_400000_NS6detail17trampoline_kernelINS0_14default_configENS1_36segmented_radix_sort_config_selectorI12hip_bfloat16lEEZNS1_25segmented_radix_sort_implIS3_Lb1EPKS5_PS5_PKlPlN2at6native12_GLOBAL__N_18offset_tEEE10hipError_tPvRmT1_PNSt15iterator_traitsISL_E10value_typeET2_T3_PNSM_ISR_E10value_typeET4_jRbjT5_SX_jjP12ihipStream_tbEUlT_E_NS1_11comp_targetILNS1_3genE3ELNS1_11target_archE908ELNS1_3gpuE7ELNS1_3repE0EEENS1_30default_config_static_selectorELNS0_4arch9wavefront6targetE1EEEvSL_.uses_flat_scratch, 0
	.set _ZN7rocprim17ROCPRIM_400000_NS6detail17trampoline_kernelINS0_14default_configENS1_36segmented_radix_sort_config_selectorI12hip_bfloat16lEEZNS1_25segmented_radix_sort_implIS3_Lb1EPKS5_PS5_PKlPlN2at6native12_GLOBAL__N_18offset_tEEE10hipError_tPvRmT1_PNSt15iterator_traitsISL_E10value_typeET2_T3_PNSM_ISR_E10value_typeET4_jRbjT5_SX_jjP12ihipStream_tbEUlT_E_NS1_11comp_targetILNS1_3genE3ELNS1_11target_archE908ELNS1_3gpuE7ELNS1_3repE0EEENS1_30default_config_static_selectorELNS0_4arch9wavefront6targetE1EEEvSL_.has_dyn_sized_stack, 0
	.set _ZN7rocprim17ROCPRIM_400000_NS6detail17trampoline_kernelINS0_14default_configENS1_36segmented_radix_sort_config_selectorI12hip_bfloat16lEEZNS1_25segmented_radix_sort_implIS3_Lb1EPKS5_PS5_PKlPlN2at6native12_GLOBAL__N_18offset_tEEE10hipError_tPvRmT1_PNSt15iterator_traitsISL_E10value_typeET2_T3_PNSM_ISR_E10value_typeET4_jRbjT5_SX_jjP12ihipStream_tbEUlT_E_NS1_11comp_targetILNS1_3genE3ELNS1_11target_archE908ELNS1_3gpuE7ELNS1_3repE0EEENS1_30default_config_static_selectorELNS0_4arch9wavefront6targetE1EEEvSL_.has_recursion, 0
	.set _ZN7rocprim17ROCPRIM_400000_NS6detail17trampoline_kernelINS0_14default_configENS1_36segmented_radix_sort_config_selectorI12hip_bfloat16lEEZNS1_25segmented_radix_sort_implIS3_Lb1EPKS5_PS5_PKlPlN2at6native12_GLOBAL__N_18offset_tEEE10hipError_tPvRmT1_PNSt15iterator_traitsISL_E10value_typeET2_T3_PNSM_ISR_E10value_typeET4_jRbjT5_SX_jjP12ihipStream_tbEUlT_E_NS1_11comp_targetILNS1_3genE3ELNS1_11target_archE908ELNS1_3gpuE7ELNS1_3repE0EEENS1_30default_config_static_selectorELNS0_4arch9wavefront6targetE1EEEvSL_.has_indirect_call, 0
	.section	.AMDGPU.csdata,"",@progbits
; Kernel info:
; codeLenInByte = 0
; TotalNumSgprs: 4
; NumVgprs: 0
; ScratchSize: 0
; MemoryBound: 0
; FloatMode: 240
; IeeeMode: 1
; LDSByteSize: 0 bytes/workgroup (compile time only)
; SGPRBlocks: 0
; VGPRBlocks: 0
; NumSGPRsForWavesPerEU: 4
; NumVGPRsForWavesPerEU: 1
; Occupancy: 10
; WaveLimiterHint : 0
; COMPUTE_PGM_RSRC2:SCRATCH_EN: 0
; COMPUTE_PGM_RSRC2:USER_SGPR: 6
; COMPUTE_PGM_RSRC2:TRAP_HANDLER: 0
; COMPUTE_PGM_RSRC2:TGID_X_EN: 1
; COMPUTE_PGM_RSRC2:TGID_Y_EN: 0
; COMPUTE_PGM_RSRC2:TGID_Z_EN: 0
; COMPUTE_PGM_RSRC2:TIDIG_COMP_CNT: 0
	.text
	.p2align	2                               ; -- Begin function _ZN7rocprim17ROCPRIM_400000_NS6detail40segmented_radix_sort_single_block_helperI12hip_bfloat16lLj256ELj8ELb1EE4sortIPKS3_PS3_PKlPlEEbT_T0_T1_T2_jjjjRNS4_12storage_typeE
	.type	_ZN7rocprim17ROCPRIM_400000_NS6detail40segmented_radix_sort_single_block_helperI12hip_bfloat16lLj256ELj8ELb1EE4sortIPKS3_PS3_PKlPlEEbT_T0_T1_T2_jjjjRNS4_12storage_typeE,@function
_ZN7rocprim17ROCPRIM_400000_NS6detail40segmented_radix_sort_single_block_helperI12hip_bfloat16lLj256ELj8ELb1EE4sortIPKS3_PS3_PKlPlEEbT_T0_T1_T2_jjjjRNS4_12storage_typeE: ; @_ZN7rocprim17ROCPRIM_400000_NS6detail40segmented_radix_sort_single_block_helperI12hip_bfloat16lLj256ELj8ELb1EE4sortIPKS3_PS3_PKlPlEEbT_T0_T1_T2_jjjjRNS4_12storage_typeE
; %bb.0:
	s_waitcnt vmcnt(0) expcnt(0) lgkmcnt(0)
	v_sub_u32_e32 v71, v9, v8
	s_movk_i32 s4, 0x801
	v_cmp_gt_u32_e32 vcc, s4, v71
	s_and_saveexec_b64 s[46:47], vcc
	s_cbranch_execz .LBB1950_199
; %bb.1:
	s_movk_i32 s4, 0x400
	v_cmp_lt_u32_e32 vcc, s4, v71
	v_bfe_u32 v17, v31, 10, 10
	v_bfe_u32 v18, v31, 20, 10
	v_mbcnt_lo_u32_b32 v19, -1, 0
	s_and_saveexec_b64 s[4:5], vcc
	s_xor_b64 s[56:57], exec, s[4:5]
	s_cbranch_execz .LBB1950_79
; %bb.2:
	s_load_dwordx2 s[4:5], s[8:9], 0x0
	v_mov_b32_e32 v9, 0
	v_lshlrev_b64 v[26:27], 1, v[8:9]
	v_and_b32_e32 v14, 0x3ff, v31
	v_add_co_u32_e32 v24, vcc, v0, v26
	s_waitcnt lgkmcnt(0)
	s_cmp_lt_u32 s13, s5
	s_cselect_b32 s5, 14, 20
	s_add_u32 s6, s8, s5
	s_addc_u32 s7, s9, 0
	s_cmp_lt_u32 s12, s4
	s_cselect_b32 s4, 12, 18
	s_add_u32 s4, s8, s4
	global_load_ushort v15, v9, s[6:7]
	s_addc_u32 s5, s9, 0
	global_load_ushort v22, v9, s[4:5]
	v_addc_co_u32_e32 v25, vcc, v1, v27, vcc
	v_mbcnt_hi_u32_b32 v19, -1, v19
	v_and_b32_e32 v20, 63, v19
	v_mov_b32_e32 v16, v9
	v_lshlrev_b32_e32 v23, 1, v20
	v_mov_b32_e32 v21, -1
	s_waitcnt vmcnt(1)
	v_mad_u32_u24 v0, v18, v15, v17
	s_waitcnt vmcnt(0)
	v_mad_u64_u32 v[0:1], s[4:5], v0, v22, v[14:15]
	v_add_co_u32_e32 v22, vcc, v24, v23
	v_lshlrev_b32_e32 v1, 3, v0
	v_and_b32_e32 v15, 0xfffffe00, v1
	v_lshlrev_b64 v[17:18], 1, v[15:16]
	v_addc_co_u32_e32 v23, vcc, 0, v25, vcc
	v_or_b32_e32 v1, v15, v20
	v_add_co_u32_e64 v17, s[4:5], v22, v17
	v_cmp_lt_u32_e32 vcc, v1, v71
	v_addc_co_u32_e64 v18, s[4:5], v23, v18, s[4:5]
	v_mov_b32_e32 v22, -1
	s_and_saveexec_b64 s[4:5], vcc
	s_cbranch_execz .LBB1950_4
; %bb.3:
	flat_load_ushort v22, v[17:18]
.LBB1950_4:
	s_or_b64 exec, exec, s[4:5]
	v_or_b32_e32 v23, 64, v1
	v_cmp_lt_u32_e64 s[4:5], v23, v71
	s_and_saveexec_b64 s[6:7], s[4:5]
	s_cbranch_execz .LBB1950_6
; %bb.5:
	flat_load_ushort v21, v[17:18] offset:128
.LBB1950_6:
	s_or_b64 exec, exec, s[6:7]
	v_or_b32_e32 v23, 0x80, v1
	v_cmp_lt_u32_e64 s[6:7], v23, v71
	v_mov_b32_e32 v23, -1
	v_mov_b32_e32 v28, -1
	s_and_saveexec_b64 s[10:11], s[6:7]
	s_cbranch_execz .LBB1950_8
; %bb.7:
	flat_load_ushort v28, v[17:18] offset:256
.LBB1950_8:
	s_or_b64 exec, exec, s[10:11]
	v_or_b32_e32 v24, 0xc0, v1
	v_cmp_lt_u32_e64 s[10:11], v24, v71
	s_and_saveexec_b64 s[14:15], s[10:11]
	s_cbranch_execz .LBB1950_10
; %bb.9:
	flat_load_ushort v23, v[17:18] offset:384
.LBB1950_10:
	s_or_b64 exec, exec, s[14:15]
	v_or_b32_e32 v24, 0x100, v1
	v_cmp_lt_u32_e64 s[20:21], v24, v71
	v_mov_b32_e32 v29, -1
	v_mov_b32_e32 v30, -1
	s_and_saveexec_b64 s[14:15], s[20:21]
	s_cbranch_execz .LBB1950_12
; %bb.11:
	flat_load_ushort v30, v[17:18] offset:512
.LBB1950_12:
	;; [unrolled: 18-line block ×3, first 2 shown]
	s_or_b64 exec, exec, s[18:19]
	v_or_b32_e32 v1, 0x1c0, v1
	v_cmp_lt_u32_e64 s[18:19], v1, v71
	s_and_saveexec_b64 s[22:23], s[18:19]
	s_cbranch_execz .LBB1950_18
; %bb.17:
	flat_load_ushort v31, v[17:18] offset:896
.LBB1950_18:
	s_or_b64 exec, exec, s[22:23]
	v_lshlrev_b64 v[24:25], 3, v[8:9]
                                        ; implicit-def: $vgpr34_vgpr35
	v_add_co_u32_e64 v1, s[22:23], v4, v24
	v_addc_co_u32_e64 v4, s[22:23], v5, v25, s[22:23]
	v_lshlrev_b32_e32 v5, 3, v20
	v_add_co_u32_e64 v1, s[22:23], v1, v5
	v_addc_co_u32_e64 v8, s[22:23], 0, v4, s[22:23]
	v_lshlrev_b64 v[4:5], 3, v[15:16]
	v_add_co_u32_e64 v4, s[22:23], v1, v4
	v_addc_co_u32_e64 v5, s[22:23], v8, v5, s[22:23]
	s_and_saveexec_b64 s[22:23], vcc
	s_cbranch_execnz .LBB1950_112
; %bb.19:
	s_or_b64 exec, exec, s[22:23]
                                        ; implicit-def: $vgpr36_vgpr37
	s_and_saveexec_b64 s[22:23], s[4:5]
	s_cbranch_execnz .LBB1950_113
.LBB1950_20:
	s_or_b64 exec, exec, s[22:23]
                                        ; implicit-def: $vgpr38_vgpr39
	s_and_saveexec_b64 s[4:5], s[6:7]
	s_cbranch_execnz .LBB1950_114
.LBB1950_21:
	s_or_b64 exec, exec, s[4:5]
                                        ; implicit-def: $vgpr48_vgpr49
	s_and_saveexec_b64 s[4:5], s[10:11]
	s_cbranch_execnz .LBB1950_115
.LBB1950_22:
	s_or_b64 exec, exec, s[4:5]
                                        ; implicit-def: $vgpr69_vgpr70
	s_and_saveexec_b64 s[4:5], s[20:21]
	s_cbranch_execnz .LBB1950_116
.LBB1950_23:
	s_or_b64 exec, exec, s[4:5]
                                        ; implicit-def: $vgpr81_vgpr82
	s_and_saveexec_b64 s[4:5], s[14:15]
	s_cbranch_execnz .LBB1950_117
.LBB1950_24:
	s_or_b64 exec, exec, s[4:5]
                                        ; implicit-def: $vgpr96_vgpr97
	s_and_saveexec_b64 s[4:5], s[16:17]
	s_cbranch_execnz .LBB1950_118
.LBB1950_25:
	s_or_b64 exec, exec, s[4:5]
                                        ; implicit-def: $vgpr112_vgpr113
	s_and_saveexec_b64 s[4:5], s[18:19]
	s_cbranch_execz .LBB1950_27
.LBB1950_26:
	flat_load_dwordx2 v[112:113], v[4:5] offset:3584
.LBB1950_27:
	s_or_b64 exec, exec, s[4:5]
	v_mov_b32_e32 v1, 0x7fff
	s_waitcnt vmcnt(0) lgkmcnt(0)
	v_cmp_gt_i16_e32 vcc, 0, v22
	v_cndmask_b32_e64 v4, v1, 0, vcc
	v_cmp_gt_i16_e32 vcc, 0, v21
	v_xor_b32_e32 v51, v4, v22
	v_cndmask_b32_e64 v4, v1, 0, vcc
	v_cmp_gt_i16_e32 vcc, 0, v28
	v_xor_b32_e32 v53, v4, v21
	;; [unrolled: 3-line block ×7, first 2 shown]
	v_cndmask_b32_e64 v4, v1, 0, vcc
	v_xor_b32_e32 v194, v4, v31
	v_lshl_add_u32 v4, v14, 4, v12
	s_getpc_b64 s[4:5]
	s_add_u32 s4, s4, _ZN7rocprim17ROCPRIM_400000_NS16block_radix_sortI12hip_bfloat16Lj256ELj8ElLj1ELj1ELj8ELNS0_26block_radix_rank_algorithmE2ELNS0_18block_padding_hintE2ELNS0_4arch9wavefront6targetE1EE19radix_bits_per_passE@rel32@lo+4
	s_addc_u32 s5, s5, _ZN7rocprim17ROCPRIM_400000_NS16block_radix_sortI12hip_bfloat16Lj256ELj8ElLj1ELj1ELj8ELNS0_26block_radix_rank_algorithmE2ELNS0_18block_padding_hintE2ELNS0_4arch9wavefront6targetE1EE19radix_bits_per_passE@rel32@hi+12
	v_add_u32_e32 v23, 16, v4
	v_add_u32_e32 v87, 20, v4
	;; [unrolled: 1-line block ×4, first 2 shown]
	v_and_b32_e32 v4, 15, v19
	s_load_dword s62, s[4:5], 0x0
	v_cmp_eq_u32_e32 vcc, 0, v4
	v_cmp_lt_u32_e64 s[4:5], 1, v4
	v_cmp_lt_u32_e64 s[6:7], 3, v4
	;; [unrolled: 1-line block ×3, first 2 shown]
	v_and_b32_e32 v4, 16, v19
	v_cmp_eq_u32_e64 s[40:41], 0, v4
	v_and_b32_e32 v4, 0x3c0, v14
	v_min_u32_e32 v4, 0xc0, v4
	v_or_b32_e32 v4, 63, v4
	v_cmp_eq_u32_e64 s[16:17], v14, v4
	v_subrev_co_u32_e64 v4, s[22:23], 1, v19
	v_and_b32_e32 v5, 64, v19
	v_cmp_lt_i32_e64 s[24:25], v4, v5
	v_cndmask_b32_e64 v4, v4, v19, s[24:25]
	v_lshlrev_b32_e32 v131, 2, v4
	v_lshrrev_b32_e32 v4, 4, v14
	v_and_b32_e32 v4, 60, v4
	v_add_u32_e32 v132, v12, v4
	v_and_b32_e32 v4, 3, v19
	v_cmp_eq_u32_e64 s[26:27], 0, v4
	v_cmp_lt_u32_e64 s[28:29], 1, v4
	v_lshlrev_b32_e32 v4, 3, v14
	s_movk_i32 s42, 0x1e00
	v_and_or_b32 v4, v4, s42, v20
	v_lshl_add_u32 v135, v4, 1, v12
	v_mul_u32_u24_e32 v4, 6, v4
	v_add_u32_e32 v151, v135, v4
	v_lshrrev_b32_e32 v130, 6, v0
	v_cmp_lt_u32_e64 s[14:15], 31, v19
	v_cmp_gt_u32_e64 s[18:19], 4, v14
	v_cmp_lt_u32_e64 s[20:21], 63, v14
	v_cmp_eq_u32_e64 s[24:25], 0, v14
	v_mov_b32_e32 v5, 0
	v_lshl_add_u32 v133, v14, 2, v12
	v_add_u32_e32 v134, -4, v132
	v_add_u32_e32 v144, 0x80, v135
	v_add_u32_e32 v145, 0x100, v135
	;; [unrolled: 1-line block ×14, first 2 shown]
	v_sub_u32_e32 v167, v11, v10
	s_mov_b64 s[58:59], 0
	s_movk_i32 s63, 0x8000
	s_waitcnt lgkmcnt(0)
	s_barrier
	s_branch .LBB1950_29
.LBB1950_28:                            ;   in Loop: Header=BB1950_29 Depth=1
	s_or_b64 exec, exec, s[44:45]
	s_and_b64 s[42:43], exec, s[60:61]
	s_or_b64 s[58:59], s[42:43], s[58:59]
	s_andn2_b64 exec, exec, s[58:59]
	s_cbranch_execz .LBB1950_53
.LBB1950_29:                            ; =>This Inner Loop Header: Depth=1
	v_mov_b32_e32 v183, v51
	v_min_u32_e32 v4, s62, v167
	v_mov_b32_e32 v28, v38
	v_lshlrev_b32_e64 v4, v4, -1
	v_cmp_ne_u16_e64 s[42:43], s63, v183
	v_mov_b32_e32 v29, v39
	v_not_b32_e32 v39, v4
	v_cndmask_b32_e64 v4, v1, v183, s[42:43]
	v_mov_b32_e32 v30, v36
	v_lshrrev_b32_sdwa v4, v10, v4 dst_sel:DWORD dst_unused:UNUSED_PAD src0_sel:DWORD src1_sel:WORD_0
	v_mov_b32_e32 v31, v37
	v_and_b32_e32 v36, v4, v39
	v_lshlrev_b32_e32 v4, 2, v36
	v_add_lshl_u32 v4, v4, v130, 2
	v_mov_b32_e32 v32, v34
	v_add_co_u32_e64 v4, s[42:43], v12, v4
	v_mov_b32_e32 v33, v35
	v_add_co_u32_e64 v4, s[42:43], 16, v4
	v_and_b32_e32 v34, 1, v36
	v_add_co_u32_e64 v35, s[42:43], -1, v34
	v_addc_co_u32_e64 v37, s[42:43], 0, -1, s[42:43]
	v_cmp_ne_u32_e64 s[42:43], 0, v34
	v_xor_b32_e32 v34, s43, v37
	v_xor_b32_e32 v35, s42, v35
	v_and_b32_e32 v37, exec_hi, v34
	v_and_b32_e32 v38, exec_lo, v35
	v_lshlrev_b32_e32 v35, 30, v36
	v_mov_b32_e32 v34, v5
	v_cmp_gt_i64_e64 s[42:43], 0, v[34:35]
	v_not_b32_e32 v34, v35
	v_ashrrev_i32_e32 v34, 31, v34
	v_xor_b32_e32 v35, s43, v34
	v_xor_b32_e32 v34, s42, v34
	v_and_b32_e32 v37, v37, v35
	v_and_b32_e32 v38, v38, v34
	v_lshlrev_b32_e32 v35, 29, v36
	v_mov_b32_e32 v34, v5
	v_cmp_gt_i64_e64 s[42:43], 0, v[34:35]
	v_not_b32_e32 v34, v35
	v_ashrrev_i32_e32 v34, 31, v34
	v_xor_b32_e32 v35, s43, v34
	v_xor_b32_e32 v34, s42, v34
	v_and_b32_e32 v37, v37, v35
	v_and_b32_e32 v38, v38, v34
	;; [unrolled: 9-line block ×7, first 2 shown]
	v_mbcnt_lo_u32_b32 v36, v34, 0
	v_mbcnt_hi_u32_b32 v36, v35, v36
	v_cmp_ne_u64_e64 s[42:43], 0, v[34:35]
	v_mov_b32_e32 v21, v48
	v_mov_b32_e32 v19, v69
	;; [unrolled: 1-line block ×5, first 2 shown]
	v_cmp_eq_u32_e64 s[44:45], 0, v36
	v_mov_b32_e32 v22, v49
	v_mov_b32_e32 v20, v70
	;; [unrolled: 1-line block ×12, first 2 shown]
	s_and_b64 s[44:45], s[42:43], s[44:45]
	ds_write_b32 v23, v5
	ds_write_b32 v87, v5
	;; [unrolled: 1-line block ×4, first 2 shown]
	s_waitcnt lgkmcnt(0)
	s_barrier
	; wave barrier
	s_and_saveexec_b64 s[42:43], s[44:45]
; %bb.30:                               ;   in Loop: Header=BB1950_29 Depth=1
	v_bcnt_u32_b32 v34, v34, 0
	v_bcnt_u32_b32 v34, v35, v34
	ds_write_b32 v4, v34
; %bb.31:                               ;   in Loop: Header=BB1950_29 Depth=1
	s_or_b64 exec, exec, s[42:43]
	v_cmp_ne_u16_e64 s[42:43], s63, v182
	v_cndmask_b32_e64 v34, v1, v182, s[42:43]
	v_lshrrev_b32_sdwa v34, v10, v34 dst_sel:DWORD dst_unused:UNUSED_PAD src0_sel:DWORD src1_sel:WORD_0
	v_and_b32_e32 v48, v34, v39
	v_lshl_add_u32 v34, v48, 2, v130
	v_lshl_add_u32 v34, v34, 2, v12
	; wave barrier
	v_add_u32_e32 v38, 16, v34
	ds_read_b32 v37, v34 offset:16
	v_and_b32_e32 v34, 1, v48
	v_add_co_u32_e64 v35, s[42:43], -1, v34
	v_addc_co_u32_e64 v49, s[42:43], 0, -1, s[42:43]
	v_cmp_ne_u32_e64 s[42:43], 0, v34
	v_xor_b32_e32 v34, s43, v49
	v_xor_b32_e32 v35, s42, v35
	v_and_b32_e32 v49, exec_hi, v34
	v_and_b32_e32 v50, exec_lo, v35
	v_lshlrev_b32_e32 v35, 30, v48
	v_mov_b32_e32 v34, v5
	v_cmp_gt_i64_e64 s[42:43], 0, v[34:35]
	v_not_b32_e32 v34, v35
	v_ashrrev_i32_e32 v34, 31, v34
	v_xor_b32_e32 v35, s43, v34
	v_xor_b32_e32 v34, s42, v34
	v_and_b32_e32 v49, v49, v35
	v_and_b32_e32 v50, v50, v34
	v_lshlrev_b32_e32 v35, 29, v48
	v_mov_b32_e32 v34, v5
	v_cmp_gt_i64_e64 s[42:43], 0, v[34:35]
	v_not_b32_e32 v34, v35
	v_ashrrev_i32_e32 v34, 31, v34
	v_xor_b32_e32 v35, s43, v34
	v_xor_b32_e32 v34, s42, v34
	v_and_b32_e32 v49, v49, v35
	v_and_b32_e32 v50, v50, v34
	;; [unrolled: 9-line block ×7, first 2 shown]
	v_mbcnt_lo_u32_b32 v48, v34, 0
	v_mbcnt_hi_u32_b32 v48, v35, v48
	v_cmp_ne_u64_e64 s[42:43], 0, v[34:35]
	v_cmp_eq_u32_e64 s[44:45], 0, v48
	s_and_b64 s[44:45], s[42:43], s[44:45]
	; wave barrier
	s_and_saveexec_b64 s[42:43], s[44:45]
	s_cbranch_execz .LBB1950_33
; %bb.32:                               ;   in Loop: Header=BB1950_29 Depth=1
	v_bcnt_u32_b32 v34, v34, 0
	v_bcnt_u32_b32 v34, v35, v34
	s_waitcnt lgkmcnt(0)
	v_add_u32_e32 v34, v37, v34
	ds_write_b32 v38, v34
.LBB1950_33:                            ;   in Loop: Header=BB1950_29 Depth=1
	s_or_b64 exec, exec, s[42:43]
	v_cmp_ne_u16_e64 s[42:43], s63, v181
	v_cndmask_b32_e64 v34, v1, v181, s[42:43]
	v_lshrrev_b32_sdwa v34, v10, v34 dst_sel:DWORD dst_unused:UNUSED_PAD src0_sel:DWORD src1_sel:WORD_0
	v_and_b32_e32 v51, v34, v39
	v_lshl_add_u32 v34, v51, 2, v130
	v_lshl_add_u32 v34, v34, 2, v12
	; wave barrier
	v_add_u32_e32 v50, 16, v34
	ds_read_b32 v49, v34 offset:16
	v_and_b32_e32 v34, 1, v51
	v_add_co_u32_e64 v35, s[42:43], -1, v34
	v_addc_co_u32_e64 v52, s[42:43], 0, -1, s[42:43]
	v_cmp_ne_u32_e64 s[42:43], 0, v34
	v_xor_b32_e32 v34, s43, v52
	v_xor_b32_e32 v35, s42, v35
	v_and_b32_e32 v52, exec_hi, v34
	v_and_b32_e32 v53, exec_lo, v35
	v_lshlrev_b32_e32 v35, 30, v51
	v_mov_b32_e32 v34, v5
	v_cmp_gt_i64_e64 s[42:43], 0, v[34:35]
	v_not_b32_e32 v34, v35
	v_ashrrev_i32_e32 v34, 31, v34
	v_xor_b32_e32 v35, s43, v34
	v_xor_b32_e32 v34, s42, v34
	v_and_b32_e32 v52, v52, v35
	v_and_b32_e32 v53, v53, v34
	v_lshlrev_b32_e32 v35, 29, v51
	v_mov_b32_e32 v34, v5
	v_cmp_gt_i64_e64 s[42:43], 0, v[34:35]
	v_not_b32_e32 v34, v35
	v_ashrrev_i32_e32 v34, 31, v34
	v_xor_b32_e32 v35, s43, v34
	v_xor_b32_e32 v34, s42, v34
	v_and_b32_e32 v52, v52, v35
	v_and_b32_e32 v53, v53, v34
	;; [unrolled: 9-line block ×7, first 2 shown]
	v_mbcnt_lo_u32_b32 v51, v34, 0
	v_mbcnt_hi_u32_b32 v51, v35, v51
	v_cmp_ne_u64_e64 s[42:43], 0, v[34:35]
	v_cmp_eq_u32_e64 s[44:45], 0, v51
	s_and_b64 s[44:45], s[42:43], s[44:45]
	; wave barrier
	s_and_saveexec_b64 s[42:43], s[44:45]
	s_cbranch_execz .LBB1950_35
; %bb.34:                               ;   in Loop: Header=BB1950_29 Depth=1
	v_bcnt_u32_b32 v34, v34, 0
	v_bcnt_u32_b32 v34, v35, v34
	s_waitcnt lgkmcnt(0)
	v_add_u32_e32 v34, v49, v34
	ds_write_b32 v50, v34
.LBB1950_35:                            ;   in Loop: Header=BB1950_29 Depth=1
	s_or_b64 exec, exec, s[42:43]
	v_cmp_ne_u16_e64 s[42:43], s63, v180
	v_cndmask_b32_e64 v34, v1, v180, s[42:43]
	v_lshrrev_b32_sdwa v34, v10, v34 dst_sel:DWORD dst_unused:UNUSED_PAD src0_sel:DWORD src1_sel:WORD_0
	v_and_b32_e32 v54, v34, v39
	v_lshl_add_u32 v34, v54, 2, v130
	v_lshl_add_u32 v34, v34, 2, v12
	; wave barrier
	v_add_u32_e32 v53, 16, v34
	ds_read_b32 v52, v34 offset:16
	v_and_b32_e32 v34, 1, v54
	v_add_co_u32_e64 v35, s[42:43], -1, v34
	v_addc_co_u32_e64 v55, s[42:43], 0, -1, s[42:43]
	v_cmp_ne_u32_e64 s[42:43], 0, v34
	v_xor_b32_e32 v34, s43, v55
	v_xor_b32_e32 v35, s42, v35
	v_and_b32_e32 v55, exec_hi, v34
	v_and_b32_e32 v64, exec_lo, v35
	v_lshlrev_b32_e32 v35, 30, v54
	v_mov_b32_e32 v34, v5
	v_cmp_gt_i64_e64 s[42:43], 0, v[34:35]
	v_not_b32_e32 v34, v35
	v_ashrrev_i32_e32 v34, 31, v34
	v_xor_b32_e32 v35, s43, v34
	v_xor_b32_e32 v34, s42, v34
	v_and_b32_e32 v55, v55, v35
	v_and_b32_e32 v64, v64, v34
	v_lshlrev_b32_e32 v35, 29, v54
	v_mov_b32_e32 v34, v5
	v_cmp_gt_i64_e64 s[42:43], 0, v[34:35]
	v_not_b32_e32 v34, v35
	v_ashrrev_i32_e32 v34, 31, v34
	v_xor_b32_e32 v35, s43, v34
	v_xor_b32_e32 v34, s42, v34
	v_and_b32_e32 v55, v55, v35
	v_and_b32_e32 v64, v64, v34
	;; [unrolled: 9-line block ×7, first 2 shown]
	v_mbcnt_lo_u32_b32 v54, v34, 0
	v_mbcnt_hi_u32_b32 v55, v35, v54
	v_cmp_ne_u64_e64 s[42:43], 0, v[34:35]
	v_cmp_eq_u32_e64 s[44:45], 0, v55
	s_and_b64 s[44:45], s[42:43], s[44:45]
	; wave barrier
	s_and_saveexec_b64 s[42:43], s[44:45]
	s_cbranch_execz .LBB1950_37
; %bb.36:                               ;   in Loop: Header=BB1950_29 Depth=1
	v_bcnt_u32_b32 v34, v34, 0
	v_bcnt_u32_b32 v34, v35, v34
	s_waitcnt lgkmcnt(0)
	v_add_u32_e32 v34, v52, v34
	ds_write_b32 v53, v34
.LBB1950_37:                            ;   in Loop: Header=BB1950_29 Depth=1
	s_or_b64 exec, exec, s[42:43]
	v_cmp_ne_u16_e64 s[42:43], s63, v179
	v_cndmask_b32_e64 v34, v1, v179, s[42:43]
	v_lshrrev_b32_sdwa v34, v10, v34 dst_sel:DWORD dst_unused:UNUSED_PAD src0_sel:DWORD src1_sel:WORD_0
	v_and_b32_e32 v54, v34, v39
	v_lshl_add_u32 v34, v54, 2, v130
	v_lshl_add_u32 v34, v34, 2, v12
	; wave barrier
	v_add_u32_e32 v65, 16, v34
	ds_read_b32 v64, v34 offset:16
	v_and_b32_e32 v34, 1, v54
	v_add_co_u32_e64 v35, s[42:43], -1, v34
	v_addc_co_u32_e64 v66, s[42:43], 0, -1, s[42:43]
	v_cmp_ne_u32_e64 s[42:43], 0, v34
	v_xor_b32_e32 v34, s43, v66
	v_xor_b32_e32 v35, s42, v35
	v_and_b32_e32 v66, exec_hi, v34
	v_and_b32_e32 v67, exec_lo, v35
	v_lshlrev_b32_e32 v35, 30, v54
	v_mov_b32_e32 v34, v5
	v_cmp_gt_i64_e64 s[42:43], 0, v[34:35]
	v_not_b32_e32 v34, v35
	v_ashrrev_i32_e32 v34, 31, v34
	v_xor_b32_e32 v35, s43, v34
	v_xor_b32_e32 v34, s42, v34
	v_and_b32_e32 v66, v66, v35
	v_and_b32_e32 v67, v67, v34
	v_lshlrev_b32_e32 v35, 29, v54
	v_mov_b32_e32 v34, v5
	v_cmp_gt_i64_e64 s[42:43], 0, v[34:35]
	v_not_b32_e32 v34, v35
	v_ashrrev_i32_e32 v34, 31, v34
	v_xor_b32_e32 v35, s43, v34
	v_xor_b32_e32 v34, s42, v34
	v_and_b32_e32 v66, v66, v35
	v_and_b32_e32 v67, v67, v34
	;; [unrolled: 9-line block ×7, first 2 shown]
	v_mbcnt_lo_u32_b32 v54, v34, 0
	v_mbcnt_hi_u32_b32 v66, v35, v54
	v_cmp_ne_u64_e64 s[42:43], 0, v[34:35]
	v_cmp_eq_u32_e64 s[44:45], 0, v66
	s_and_b64 s[44:45], s[42:43], s[44:45]
	; wave barrier
	s_and_saveexec_b64 s[42:43], s[44:45]
	s_cbranch_execz .LBB1950_39
; %bb.38:                               ;   in Loop: Header=BB1950_29 Depth=1
	v_bcnt_u32_b32 v34, v34, 0
	v_bcnt_u32_b32 v34, v35, v34
	s_waitcnt lgkmcnt(0)
	v_add_u32_e32 v34, v64, v34
	ds_write_b32 v65, v34
.LBB1950_39:                            ;   in Loop: Header=BB1950_29 Depth=1
	s_or_b64 exec, exec, s[42:43]
	v_cmp_ne_u16_e64 s[42:43], s63, v178
	v_cndmask_b32_e64 v34, v1, v178, s[42:43]
	v_lshrrev_b32_sdwa v34, v10, v34 dst_sel:DWORD dst_unused:UNUSED_PAD src0_sel:DWORD src1_sel:WORD_0
	v_and_b32_e32 v54, v34, v39
	v_lshl_add_u32 v34, v54, 2, v130
	v_lshl_add_u32 v34, v34, 2, v12
	; wave barrier
	v_add_u32_e32 v68, 16, v34
	ds_read_b32 v67, v34 offset:16
	v_and_b32_e32 v34, 1, v54
	v_add_co_u32_e64 v35, s[42:43], -1, v34
	v_addc_co_u32_e64 v69, s[42:43], 0, -1, s[42:43]
	v_cmp_ne_u32_e64 s[42:43], 0, v34
	v_xor_b32_e32 v34, s43, v69
	v_xor_b32_e32 v35, s42, v35
	v_and_b32_e32 v69, exec_hi, v34
	v_and_b32_e32 v70, exec_lo, v35
	v_lshlrev_b32_e32 v35, 30, v54
	v_mov_b32_e32 v34, v5
	v_cmp_gt_i64_e64 s[42:43], 0, v[34:35]
	v_not_b32_e32 v34, v35
	v_ashrrev_i32_e32 v34, 31, v34
	v_xor_b32_e32 v35, s43, v34
	v_xor_b32_e32 v34, s42, v34
	v_and_b32_e32 v69, v69, v35
	v_and_b32_e32 v70, v70, v34
	v_lshlrev_b32_e32 v35, 29, v54
	v_mov_b32_e32 v34, v5
	v_cmp_gt_i64_e64 s[42:43], 0, v[34:35]
	v_not_b32_e32 v34, v35
	v_ashrrev_i32_e32 v34, 31, v34
	v_xor_b32_e32 v35, s43, v34
	v_xor_b32_e32 v34, s42, v34
	v_and_b32_e32 v69, v69, v35
	v_and_b32_e32 v70, v70, v34
	v_lshlrev_b32_e32 v35, 28, v54
	v_mov_b32_e32 v34, v5
	v_cmp_gt_i64_e64 s[42:43], 0, v[34:35]
	v_not_b32_e32 v34, v35
	v_ashrrev_i32_e32 v34, 31, v34
	v_xor_b32_e32 v35, s43, v34
	v_xor_b32_e32 v34, s42, v34
	v_and_b32_e32 v69, v69, v35
	v_and_b32_e32 v70, v70, v34
	v_lshlrev_b32_e32 v35, 27, v54
	v_mov_b32_e32 v34, v5
	v_cmp_gt_i64_e64 s[42:43], 0, v[34:35]
	v_not_b32_e32 v34, v35
	v_ashrrev_i32_e32 v34, 31, v34
	v_xor_b32_e32 v35, s43, v34
	v_xor_b32_e32 v34, s42, v34
	v_and_b32_e32 v69, v69, v35
	v_and_b32_e32 v70, v70, v34
	v_lshlrev_b32_e32 v35, 26, v54
	v_mov_b32_e32 v34, v5
	v_cmp_gt_i64_e64 s[42:43], 0, v[34:35]
	v_not_b32_e32 v34, v35
	v_ashrrev_i32_e32 v34, 31, v34
	v_xor_b32_e32 v35, s43, v34
	v_xor_b32_e32 v34, s42, v34
	v_and_b32_e32 v69, v69, v35
	v_and_b32_e32 v70, v70, v34
	v_lshlrev_b32_e32 v35, 25, v54
	v_mov_b32_e32 v34, v5
	v_cmp_gt_i64_e64 s[42:43], 0, v[34:35]
	v_not_b32_e32 v34, v35
	v_ashrrev_i32_e32 v34, 31, v34
	v_xor_b32_e32 v35, s43, v34
	v_xor_b32_e32 v34, s42, v34
	v_and_b32_e32 v69, v69, v35
	v_and_b32_e32 v70, v70, v34
	v_lshlrev_b32_e32 v35, 24, v54
	v_mov_b32_e32 v34, v5
	v_cmp_gt_i64_e64 s[42:43], 0, v[34:35]
	v_not_b32_e32 v34, v35
	v_ashrrev_i32_e32 v34, 31, v34
	v_xor_b32_e32 v35, s43, v34
	v_xor_b32_e32 v34, s42, v34
	v_and_b32_e32 v34, v70, v34
	v_and_b32_e32 v35, v69, v35
	v_mbcnt_lo_u32_b32 v54, v34, 0
	v_mbcnt_hi_u32_b32 v69, v35, v54
	v_cmp_ne_u64_e64 s[42:43], 0, v[34:35]
	v_cmp_eq_u32_e64 s[44:45], 0, v69
	s_and_b64 s[44:45], s[42:43], s[44:45]
	; wave barrier
	s_and_saveexec_b64 s[42:43], s[44:45]
	s_cbranch_execz .LBB1950_41
; %bb.40:                               ;   in Loop: Header=BB1950_29 Depth=1
	v_bcnt_u32_b32 v34, v34, 0
	v_bcnt_u32_b32 v34, v35, v34
	s_waitcnt lgkmcnt(0)
	v_add_u32_e32 v34, v67, v34
	ds_write_b32 v68, v34
.LBB1950_41:                            ;   in Loop: Header=BB1950_29 Depth=1
	s_or_b64 exec, exec, s[42:43]
	v_cmp_ne_u16_e64 s[42:43], s63, v177
	v_cndmask_b32_e64 v34, v1, v177, s[42:43]
	v_lshrrev_b32_sdwa v34, v10, v34 dst_sel:DWORD dst_unused:UNUSED_PAD src0_sel:DWORD src1_sel:WORD_0
	v_and_b32_e32 v54, v34, v39
	v_lshl_add_u32 v34, v54, 2, v130
	v_lshl_add_u32 v34, v34, 2, v12
	; wave barrier
	v_add_u32_e32 v80, 16, v34
	ds_read_b32 v70, v34 offset:16
	v_and_b32_e32 v34, 1, v54
	v_add_co_u32_e64 v35, s[42:43], -1, v34
	v_addc_co_u32_e64 v81, s[42:43], 0, -1, s[42:43]
	v_cmp_ne_u32_e64 s[42:43], 0, v34
	v_xor_b32_e32 v34, s43, v81
	v_xor_b32_e32 v35, s42, v35
	v_and_b32_e32 v81, exec_hi, v34
	v_and_b32_e32 v82, exec_lo, v35
	v_lshlrev_b32_e32 v35, 30, v54
	v_mov_b32_e32 v34, v5
	v_cmp_gt_i64_e64 s[42:43], 0, v[34:35]
	v_not_b32_e32 v34, v35
	v_ashrrev_i32_e32 v34, 31, v34
	v_xor_b32_e32 v35, s43, v34
	v_xor_b32_e32 v34, s42, v34
	v_and_b32_e32 v81, v81, v35
	v_and_b32_e32 v82, v82, v34
	v_lshlrev_b32_e32 v35, 29, v54
	v_mov_b32_e32 v34, v5
	v_cmp_gt_i64_e64 s[42:43], 0, v[34:35]
	v_not_b32_e32 v34, v35
	v_ashrrev_i32_e32 v34, 31, v34
	v_xor_b32_e32 v35, s43, v34
	v_xor_b32_e32 v34, s42, v34
	v_and_b32_e32 v81, v81, v35
	v_and_b32_e32 v82, v82, v34
	;; [unrolled: 9-line block ×7, first 2 shown]
	v_mbcnt_lo_u32_b32 v54, v34, 0
	v_mbcnt_hi_u32_b32 v81, v35, v54
	v_cmp_ne_u64_e64 s[42:43], 0, v[34:35]
	v_cmp_eq_u32_e64 s[44:45], 0, v81
	s_and_b64 s[44:45], s[42:43], s[44:45]
	; wave barrier
	s_and_saveexec_b64 s[42:43], s[44:45]
	s_cbranch_execz .LBB1950_43
; %bb.42:                               ;   in Loop: Header=BB1950_29 Depth=1
	v_bcnt_u32_b32 v34, v34, 0
	v_bcnt_u32_b32 v34, v35, v34
	s_waitcnt lgkmcnt(0)
	v_add_u32_e32 v34, v70, v34
	ds_write_b32 v80, v34
.LBB1950_43:                            ;   in Loop: Header=BB1950_29 Depth=1
	s_or_b64 exec, exec, s[42:43]
	v_cmp_ne_u16_e64 s[42:43], s63, v176
	v_cndmask_b32_e64 v34, v1, v176, s[42:43]
	v_lshrrev_b32_sdwa v34, v10, v34 dst_sel:DWORD dst_unused:UNUSED_PAD src0_sel:DWORD src1_sel:WORD_0
	v_and_b32_e32 v54, v34, v39
	v_lshl_add_u32 v34, v54, 2, v130
	v_lshl_add_u32 v34, v34, 2, v12
	; wave barrier
	v_add_u32_e32 v82, 16, v34
	ds_read_b32 v39, v34 offset:16
	v_and_b32_e32 v34, 1, v54
	v_add_co_u32_e64 v35, s[42:43], -1, v34
	v_addc_co_u32_e64 v83, s[42:43], 0, -1, s[42:43]
	v_cmp_ne_u32_e64 s[42:43], 0, v34
	v_xor_b32_e32 v34, s43, v83
	v_xor_b32_e32 v35, s42, v35
	v_and_b32_e32 v83, exec_hi, v34
	v_and_b32_e32 v84, exec_lo, v35
	v_lshlrev_b32_e32 v35, 30, v54
	v_mov_b32_e32 v34, v5
	v_cmp_gt_i64_e64 s[42:43], 0, v[34:35]
	v_not_b32_e32 v34, v35
	v_ashrrev_i32_e32 v34, 31, v34
	v_xor_b32_e32 v35, s43, v34
	v_xor_b32_e32 v34, s42, v34
	v_and_b32_e32 v83, v83, v35
	v_and_b32_e32 v84, v84, v34
	v_lshlrev_b32_e32 v35, 29, v54
	v_mov_b32_e32 v34, v5
	v_cmp_gt_i64_e64 s[42:43], 0, v[34:35]
	v_not_b32_e32 v34, v35
	v_ashrrev_i32_e32 v34, 31, v34
	v_xor_b32_e32 v35, s43, v34
	v_xor_b32_e32 v34, s42, v34
	v_and_b32_e32 v83, v83, v35
	v_and_b32_e32 v84, v84, v34
	;; [unrolled: 9-line block ×7, first 2 shown]
	v_mbcnt_lo_u32_b32 v54, v34, 0
	v_mbcnt_hi_u32_b32 v83, v35, v54
	v_cmp_ne_u64_e64 s[42:43], 0, v[34:35]
	v_cmp_eq_u32_e64 s[44:45], 0, v83
	s_and_b64 s[44:45], s[42:43], s[44:45]
	; wave barrier
	s_and_saveexec_b64 s[42:43], s[44:45]
	s_cbranch_execz .LBB1950_45
; %bb.44:                               ;   in Loop: Header=BB1950_29 Depth=1
	v_bcnt_u32_b32 v34, v34, 0
	v_bcnt_u32_b32 v34, v35, v34
	s_waitcnt lgkmcnt(0)
	v_add_u32_e32 v34, v39, v34
	ds_write_b32 v82, v34
.LBB1950_45:                            ;   in Loop: Header=BB1950_29 Depth=1
	s_or_b64 exec, exec, s[42:43]
	; wave barrier
	s_waitcnt lgkmcnt(0)
	s_barrier
	ds_read_b32 v54, v23
	ds_read_b32 v35, v87
	;; [unrolled: 1-line block ×4, first 2 shown]
	s_waitcnt lgkmcnt(2)
	v_add_u32_e32 v85, v35, v54
	s_waitcnt lgkmcnt(0)
	v_add3_u32 v84, v85, v34, v84
	s_nop 1
	v_mov_b32_dpp v85, v84 row_shr:1 row_mask:0xf bank_mask:0xf
	v_cndmask_b32_e64 v85, v85, 0, vcc
	v_add_u32_e32 v84, v85, v84
	s_nop 1
	v_mov_b32_dpp v85, v84 row_shr:2 row_mask:0xf bank_mask:0xf
	v_cndmask_b32_e64 v85, 0, v85, s[4:5]
	v_add_u32_e32 v84, v84, v85
	s_nop 1
	v_mov_b32_dpp v85, v84 row_shr:4 row_mask:0xf bank_mask:0xf
	v_cndmask_b32_e64 v85, 0, v85, s[6:7]
	;; [unrolled: 4-line block ×3, first 2 shown]
	v_add_u32_e32 v84, v84, v85
	s_nop 1
	v_mov_b32_dpp v85, v84 row_bcast:15 row_mask:0xf bank_mask:0xf
	v_cndmask_b32_e64 v85, v85, 0, s[40:41]
	v_add_u32_e32 v84, v84, v85
	s_nop 1
	v_mov_b32_dpp v85, v84 row_bcast:31 row_mask:0xf bank_mask:0xf
	v_cndmask_b32_e64 v85, 0, v85, s[14:15]
	v_add_u32_e32 v84, v84, v85
	s_and_saveexec_b64 s[42:43], s[16:17]
; %bb.46:                               ;   in Loop: Header=BB1950_29 Depth=1
	ds_write_b32 v132, v84
; %bb.47:                               ;   in Loop: Header=BB1950_29 Depth=1
	s_or_b64 exec, exec, s[42:43]
	s_waitcnt lgkmcnt(0)
	s_barrier
	s_and_saveexec_b64 s[42:43], s[18:19]
	s_cbranch_execz .LBB1950_49
; %bb.48:                               ;   in Loop: Header=BB1950_29 Depth=1
	ds_read_b32 v85, v133
	s_waitcnt lgkmcnt(0)
	s_nop 0
	v_mov_b32_dpp v86, v85 row_shr:1 row_mask:0xf bank_mask:0xf
	v_cndmask_b32_e64 v86, v86, 0, s[26:27]
	v_add_u32_e32 v85, v86, v85
	s_nop 1
	v_mov_b32_dpp v86, v85 row_shr:2 row_mask:0xf bank_mask:0xf
	v_cndmask_b32_e64 v86, 0, v86, s[28:29]
	v_add_u32_e32 v85, v85, v86
	ds_write_b32 v133, v85
.LBB1950_49:                            ;   in Loop: Header=BB1950_29 Depth=1
	s_or_b64 exec, exec, s[42:43]
	v_mov_b32_e32 v85, 0
	s_waitcnt lgkmcnt(0)
	s_barrier
	s_and_saveexec_b64 s[42:43], s[20:21]
; %bb.50:                               ;   in Loop: Header=BB1950_29 Depth=1
	ds_read_b32 v85, v134
; %bb.51:                               ;   in Loop: Header=BB1950_29 Depth=1
	s_or_b64 exec, exec, s[42:43]
	s_waitcnt lgkmcnt(0)
	v_add_u32_e32 v84, v85, v84
	ds_bpermute_b32 v84, v131, v84
	v_add_u32_e32 v10, 8, v10
	v_cmp_lt_u32_e64 s[42:43], v10, v11
	s_mov_b64 s[60:61], -1
                                        ; implicit-def: $vgpr96_vgpr97
                                        ; implicit-def: $vgpr112_vgpr113
                                        ; implicit-def: $vgpr192
                                        ; implicit-def: $vgpr193
                                        ; implicit-def: $vgpr194
	s_waitcnt lgkmcnt(0)
	v_cndmask_b32_e64 v84, v84, v85, s[22:23]
	v_cndmask_b32_e64 v84, v84, 0, s[24:25]
	v_add_u32_e32 v54, v84, v54
	v_add_u32_e32 v35, v54, v35
	;; [unrolled: 1-line block ×3, first 2 shown]
	ds_write_b32 v23, v84
	ds_write_b32 v87, v54
	;; [unrolled: 1-line block ×4, first 2 shown]
	s_waitcnt lgkmcnt(0)
	s_barrier
	ds_read_b32 v4, v4
	ds_read_b32 v34, v38
	;; [unrolled: 1-line block ×3, first 2 shown]
	s_waitcnt lgkmcnt(2)
	v_add_u32_e32 v4, v4, v36
	s_waitcnt lgkmcnt(1)
	v_add3_u32 v54, v48, v37, v34
	s_waitcnt lgkmcnt(0)
	v_add3_u32 v50, v51, v49, v35
	ds_read_b32 v34, v53
	ds_read_b32 v35, v65
	;; [unrolled: 1-line block ×5, first 2 shown]
	s_waitcnt lgkmcnt(4)
	v_add3_u32 v80, v55, v52, v34
	s_waitcnt lgkmcnt(3)
	v_add3_u32 v68, v66, v64, v35
	v_lshlrev_b64 v[34:35], 1, v[4:5]
	v_mov_b32_e32 v55, v5
	s_waitcnt lgkmcnt(0)
	v_add3_u32 v52, v83, v39, v38
	v_add_co_u32_e64 v83, s[44:45], v12, v34
	v_addc_co_u32_e64 v84, s[44:45], v13, v35, s[44:45]
	v_lshlrev_b64 v[34:35], 1, v[54:55]
	v_mov_b32_e32 v51, v5
	v_add_co_u32_e64 v85, s[44:45], v12, v34
	v_addc_co_u32_e64 v86, s[44:45], v13, v35, s[44:45]
	v_lshlrev_b64 v[34:35], 1, v[50:51]
	v_add3_u32 v64, v81, v70, v37
	v_add_co_u32_e64 v98, s[44:45], v12, v34
	v_mov_b32_e32 v81, v5
	v_addc_co_u32_e64 v99, s[44:45], v13, v35, s[44:45]
	v_lshlrev_b64 v[34:35], 1, v[80:81]
	v_add3_u32 v66, v69, v67, v36
	v_add_co_u32_e64 v100, s[44:45], v12, v34
	v_mov_b32_e32 v69, v5
	v_addc_co_u32_e64 v101, s[44:45], v13, v35, s[44:45]
	v_lshlrev_b64 v[34:35], 1, v[68:69]
	v_mov_b32_e32 v67, v5
	v_add_co_u32_e64 v102, s[44:45], v12, v34
	v_addc_co_u32_e64 v103, s[44:45], v13, v35, s[44:45]
	v_lshlrev_b64 v[34:35], 1, v[66:67]
	v_mov_b32_e32 v65, v5
	v_add_co_u32_e64 v114, s[44:45], v12, v34
	;; [unrolled: 4-line block ×3, first 2 shown]
	v_addc_co_u32_e64 v117, s[44:45], v13, v35, s[44:45]
	v_lshlrev_b64 v[34:35], 1, v[52:53]
	v_add_co_u32_e64 v118, s[44:45], v12, v34
	v_addc_co_u32_e64 v119, s[44:45], v13, v35, s[44:45]
                                        ; implicit-def: $vgpr34_vgpr35
                                        ; implicit-def: $vgpr36_vgpr37
                                        ; implicit-def: $vgpr38_vgpr39
                                        ; implicit-def: $vgpr48_vgpr49
                                        ; implicit-def: $vgpr69_vgpr70
                                        ; implicit-def: $vgpr81_vgpr82
                                        ; implicit-def: $vgpr51
                                        ; implicit-def: $vgpr53
                                        ; implicit-def: $vgpr55
                                        ; implicit-def: $vgpr65
                                        ; implicit-def: $vgpr67
	s_and_saveexec_b64 s[44:45], s[42:43]
	s_cbranch_execz .LBB1950_28
; %bb.52:                               ;   in Loop: Header=BB1950_29 Depth=1
	v_mad_u64_u32 v[34:35], s[42:43], v4, 6, v[83:84]
	v_mad_u64_u32 v[35:36], s[42:43], v54, 6, v[85:86]
	;; [unrolled: 1-line block ×4, first 2 shown]
	s_barrier
	ds_write_b16 v83, v183
	ds_write_b16 v85, v182
	;; [unrolled: 1-line block ×8, first 2 shown]
	s_waitcnt lgkmcnt(0)
	s_barrier
	ds_read_u16 v51, v135
	ds_read_u16 v53, v144
	;; [unrolled: 1-line block ×8, first 2 shown]
	s_waitcnt lgkmcnt(0)
	s_barrier
	ds_write_b64 v34, v[32:33]
	ds_write_b64 v35, v[30:31]
	;; [unrolled: 1-line block ×4, first 2 shown]
	v_mad_u64_u32 v[34:35], s[42:43], v68, 6, v[102:103]
	v_mad_u64_u32 v[35:36], s[42:43], v66, 6, v[114:115]
	;; [unrolled: 1-line block ×4, first 2 shown]
	ds_write_b64 v34, v[19:20]
	ds_write_b64 v35, v[17:18]
	;; [unrolled: 1-line block ×4, first 2 shown]
	s_waitcnt lgkmcnt(0)
	s_barrier
	ds_read_b64 v[34:35], v151
	ds_read_b64 v[36:37], v160
	;; [unrolled: 1-line block ×8, first 2 shown]
	v_add_u32_e32 v167, -8, v167
	s_xor_b64 s[60:61], exec, -1
	s_waitcnt lgkmcnt(0)
	s_barrier
	s_branch .LBB1950_28
.LBB1950_53:
	s_or_b64 exec, exec, s[58:59]
	v_mad_u64_u32 v[10:11], s[4:5], v4, 6, v[83:84]
	v_lshl_add_u32 v1, v14, 1, v12
	v_mad_u64_u32 v[11:12], s[4:5], v54, 6, v[85:86]
	v_mad_u64_u32 v[12:13], s[4:5], v50, 6, v[98:99]
	;; [unrolled: 1-line block ×3, first 2 shown]
	s_barrier
	ds_write_b16 v83, v183
	ds_write_b16 v85, v182
	;; [unrolled: 1-line block ×8, first 2 shown]
	s_waitcnt lgkmcnt(0)
	s_barrier
	ds_read_u16 v48, v1
	ds_read_u16 v39, v1 offset:512
	ds_read_u16 v38, v1 offset:1024
	;; [unrolled: 1-line block ×7, first 2 shown]
	s_waitcnt lgkmcnt(0)
	s_barrier
	ds_write_b64 v10, v[32:33]
	ds_write_b64 v11, v[30:31]
	;; [unrolled: 1-line block ×4, first 2 shown]
	v_mad_u64_u32 v[10:11], s[4:5], v68, 6, v[102:103]
	v_mad_u64_u32 v[11:12], s[4:5], v66, 6, v[114:115]
	;; [unrolled: 1-line block ×3, first 2 shown]
	v_mul_u32_u24_e32 v4, 6, v14
	v_mad_u64_u32 v[21:22], s[4:5], v52, 6, v[118:119]
	v_add_u32_e32 v1, v1, v4
	ds_write_b64 v10, v[19:20]
	ds_write_b64 v11, v[17:18]
	;; [unrolled: 1-line block ×4, first 2 shown]
	s_waitcnt lgkmcnt(0)
	s_barrier
	ds_read2st64_b64 v[20:23], v1 offset1:4
	ds_read2st64_b64 v[16:19], v1 offset0:8 offset1:12
	ds_read2st64_b64 v[12:15], v1 offset0:16 offset1:20
	;; [unrolled: 1-line block ×3, first 2 shown]
	v_add_co_u32_e32 v4, vcc, v2, v26
	v_mov_b32_e32 v1, 0
	v_addc_co_u32_e32 v26, vcc, v3, v27, vcc
	v_lshlrev_b64 v[2:3], 1, v[0:1]
	s_waitcnt lgkmcnt(0)
	v_add_co_u32_e32 v2, vcc, v4, v2
	v_addc_co_u32_e32 v3, vcc, v26, v3, vcc
	v_cmp_lt_u32_e32 vcc, v0, v71
	s_barrier
	s_and_saveexec_b64 s[6:7], vcc
	s_cbranch_execz .LBB1950_55
; %bb.54:
	v_mov_b32_e32 v4, 0x7fff
	v_cmp_gt_i16_e64 s[4:5], 0, v48
	v_cndmask_b32_e64 v4, v4, 0, s[4:5]
	v_xor_b32_e32 v4, v4, v48
	flat_store_short v[2:3], v4
.LBB1950_55:
	s_or_b64 exec, exec, s[6:7]
	v_add_u32_e32 v4, 0x100, v0
	v_cmp_lt_u32_e64 s[4:5], v4, v71
	s_and_saveexec_b64 s[10:11], s[4:5]
	s_cbranch_execz .LBB1950_57
; %bb.56:
	v_mov_b32_e32 v4, 0x7fff
	v_cmp_gt_i16_e64 s[6:7], 0, v39
	v_cndmask_b32_e64 v4, v4, 0, s[6:7]
	v_xor_b32_e32 v4, v4, v39
	flat_store_short v[2:3], v4 offset:512
.LBB1950_57:
	s_or_b64 exec, exec, s[10:11]
	v_add_u32_e32 v4, 0x200, v0
	v_cmp_lt_u32_e64 s[6:7], v4, v71
	s_and_saveexec_b64 s[14:15], s[6:7]
	s_cbranch_execz .LBB1950_59
; %bb.58:
	v_mov_b32_e32 v4, 0x7fff
	v_cmp_gt_i16_e64 s[10:11], 0, v38
	v_cndmask_b32_e64 v4, v4, 0, s[10:11]
	v_xor_b32_e32 v4, v4, v38
	flat_store_short v[2:3], v4 offset:1024
.LBB1950_59:
	s_or_b64 exec, exec, s[14:15]
	v_add_u32_e32 v4, 0x300, v0
	v_cmp_lt_u32_e64 s[10:11], v4, v71
	s_and_saveexec_b64 s[16:17], s[10:11]
	s_cbranch_execz .LBB1950_61
; %bb.60:
	v_mov_b32_e32 v4, 0x7fff
	v_cmp_gt_i16_e64 s[14:15], 0, v37
	v_cndmask_b32_e64 v4, v4, 0, s[14:15]
	v_xor_b32_e32 v4, v4, v37
	flat_store_short v[2:3], v4 offset:1536
.LBB1950_61:
	s_or_b64 exec, exec, s[16:17]
	v_add_u32_e32 v4, 0x400, v0
	v_cmp_lt_u32_e64 s[20:21], v4, v71
	s_and_saveexec_b64 s[16:17], s[20:21]
	s_cbranch_execz .LBB1950_63
; %bb.62:
	v_mov_b32_e32 v4, 0x7fff
	v_cmp_gt_i16_e64 s[14:15], 0, v36
	v_cndmask_b32_e64 v4, v4, 0, s[14:15]
	v_xor_b32_e32 v4, v4, v36
	flat_store_short v[2:3], v4 offset:2048
.LBB1950_63:
	s_or_b64 exec, exec, s[16:17]
	v_add_u32_e32 v4, 0x500, v0
	v_cmp_lt_u32_e64 s[14:15], v4, v71
	s_and_saveexec_b64 s[18:19], s[14:15]
	s_cbranch_execz .LBB1950_65
; %bb.64:
	v_mov_b32_e32 v4, 0x7fff
	v_cmp_gt_i16_e64 s[16:17], 0, v35
	v_cndmask_b32_e64 v4, v4, 0, s[16:17]
	v_xor_b32_e32 v4, v4, v35
	flat_store_short v[2:3], v4 offset:2560
.LBB1950_65:
	s_or_b64 exec, exec, s[18:19]
	v_add_u32_e32 v4, 0x600, v0
	v_cmp_lt_u32_e64 s[16:17], v4, v71
	s_and_saveexec_b64 s[22:23], s[16:17]
	s_cbranch_execz .LBB1950_67
; %bb.66:
	v_mov_b32_e32 v4, 0x7fff
	v_cmp_gt_i16_e64 s[18:19], 0, v34
	v_cndmask_b32_e64 v4, v4, 0, s[18:19]
	v_xor_b32_e32 v4, v4, v34
	flat_store_short v[2:3], v4 offset:3072
.LBB1950_67:
	s_or_b64 exec, exec, s[22:23]
	v_add_u32_e32 v4, 0x700, v0
	v_cmp_lt_u32_e64 s[18:19], v4, v71
	s_and_saveexec_b64 s[24:25], s[18:19]
	s_cbranch_execz .LBB1950_69
; %bb.68:
	v_mov_b32_e32 v4, 0x7fff
	v_cmp_gt_i16_e64 s[22:23], 0, v5
	v_cndmask_b32_e64 v4, v4, 0, s[22:23]
	v_xor_b32_e32 v4, v4, v5
	flat_store_short v[2:3], v4 offset:3584
.LBB1950_69:
	s_or_b64 exec, exec, s[24:25]
	v_add_co_u32_e64 v2, s[22:23], v6, v24
	v_lshlrev_b64 v[0:1], 3, v[0:1]
	v_addc_co_u32_e64 v3, s[22:23], v7, v25, s[22:23]
	v_add_co_u32_e64 v0, s[22:23], v2, v0
	v_addc_co_u32_e64 v1, s[22:23], v3, v1, s[22:23]
	s_and_saveexec_b64 s[22:23], vcc
	s_cbranch_execnz .LBB1950_119
; %bb.70:
	s_or_b64 exec, exec, s[22:23]
	s_and_saveexec_b64 s[22:23], s[4:5]
	s_cbranch_execnz .LBB1950_120
.LBB1950_71:
	s_or_b64 exec, exec, s[22:23]
	s_and_saveexec_b64 s[4:5], s[6:7]
	s_cbranch_execnz .LBB1950_121
.LBB1950_72:
	s_or_b64 exec, exec, s[4:5]
	s_and_saveexec_b64 s[4:5], s[10:11]
	s_cbranch_execnz .LBB1950_122
.LBB1950_73:
	s_or_b64 exec, exec, s[4:5]
	s_and_saveexec_b64 s[4:5], s[20:21]
	s_cbranch_execnz .LBB1950_123
.LBB1950_74:
	s_or_b64 exec, exec, s[4:5]
	s_and_saveexec_b64 s[4:5], s[14:15]
	s_cbranch_execnz .LBB1950_124
.LBB1950_75:
	s_or_b64 exec, exec, s[4:5]
	s_and_saveexec_b64 s[4:5], s[16:17]
	s_cbranch_execnz .LBB1950_125
.LBB1950_76:
	s_or_b64 exec, exec, s[4:5]
	s_and_saveexec_b64 s[4:5], s[18:19]
	s_cbranch_execz .LBB1950_78
.LBB1950_77:
	v_add_co_u32_e32 v0, vcc, 0x3000, v0
	v_addc_co_u32_e32 v1, vcc, 0, v1, vcc
	flat_store_dwordx2 v[0:1], v[10:11] offset:2048
.LBB1950_78:
	s_or_b64 exec, exec, s[4:5]
                                        ; implicit-def: $vgpr71
                                        ; implicit-def: $vgpr0
                                        ; implicit-def: $vgpr1
                                        ; implicit-def: $vgpr2
                                        ; implicit-def: $vgpr3
                                        ; implicit-def: $vgpr4
                                        ; implicit-def: $vgpr5
                                        ; implicit-def: $vgpr6
                                        ; implicit-def: $vgpr7
                                        ; implicit-def: $vgpr8
                                        ; implicit-def: $vgpr10
                                        ; implicit-def: $vgpr11
                                        ; implicit-def: $vgpr12
                                        ; implicit-def: $vgpr13
                                        ; implicit-def: $vgpr31
                                        ; implicit-def: $vgpr17
                                        ; implicit-def: $vgpr18
                                        ; implicit-def: $vgpr19
.LBB1950_79:
	s_andn2_saveexec_b64 s[4:5], s[56:57]
	s_cbranch_execz .LBB1950_199
; %bb.80:
	s_movk_i32 s4, 0x200
	v_cmp_lt_u32_e32 vcc, s4, v71
	s_and_saveexec_b64 s[4:5], vcc
	s_xor_b64 s[56:57], exec, s[4:5]
	s_cbranch_execz .LBB1950_140
; %bb.81:
	s_load_dwordx2 s[4:5], s[8:9], 0x0
	v_mov_b32_e32 v9, 0
	v_and_b32_e32 v30, 0x3ff, v31
	v_lshlrev_b64 v[31:32], 1, v[8:9]
	v_mbcnt_hi_u32_b32 v19, -1, v19
	s_waitcnt lgkmcnt(0)
	s_cmp_lt_u32 s13, s5
	s_cselect_b32 s5, 14, 20
	s_add_u32 s6, s8, s5
	s_addc_u32 s7, s9, 0
	s_cmp_lt_u32 s12, s4
	s_cselect_b32 s4, 12, 18
	s_add_u32 s4, s8, s4
	global_load_ushort v14, v9, s[6:7]
	s_addc_u32 s5, s9, 0
	global_load_ushort v16, v9, s[4:5]
	v_add_co_u32_e32 v23, vcc, v0, v31
	v_addc_co_u32_e32 v24, vcc, v1, v32, vcc
	v_and_b32_e32 v20, 63, v19
	v_mov_b32_e32 v15, v9
	v_lshlrev_b32_e32 v22, 1, v20
	v_mov_b32_e32 v21, -1
	s_waitcnt vmcnt(0)
	v_mad_u32_u24 v0, v18, v14, v17
	v_add_co_u32_e32 v18, vcc, v23, v22
	v_mad_u64_u32 v[0:1], s[4:5], v0, v16, v[30:31]
	v_addc_co_u32_e32 v22, vcc, 0, v24, vcc
	v_lshlrev_b32_e32 v1, 2, v0
	v_and_b32_e32 v14, 0xffffff00, v1
	v_lshlrev_b64 v[16:17], 1, v[14:15]
	v_or_b32_e32 v1, v14, v20
	v_add_co_u32_e32 v16, vcc, v18, v16
	v_cmp_lt_u32_e64 s[10:11], v1, v71
	v_addc_co_u32_e32 v17, vcc, v22, v17, vcc
	v_mov_b32_e32 v18, -1
	s_and_saveexec_b64 s[4:5], s[10:11]
	s_cbranch_execz .LBB1950_83
; %bb.82:
	flat_load_ushort v18, v[16:17]
.LBB1950_83:
	s_or_b64 exec, exec, s[4:5]
	v_or_b32_e32 v22, 64, v1
	v_cmp_lt_u32_e64 s[6:7], v22, v71
	s_and_saveexec_b64 s[4:5], s[6:7]
	s_cbranch_execz .LBB1950_85
; %bb.84:
	flat_load_ushort v21, v[16:17] offset:128
.LBB1950_85:
	s_or_b64 exec, exec, s[4:5]
	v_or_b32_e32 v22, 0x80, v1
	v_cmp_lt_u32_e64 s[4:5], v22, v71
	v_mov_b32_e32 v35, -1
	v_mov_b32_e32 v37, -1
	s_and_saveexec_b64 s[14:15], s[4:5]
	s_cbranch_execz .LBB1950_87
; %bb.86:
	flat_load_ushort v37, v[16:17] offset:256
.LBB1950_87:
	s_or_b64 exec, exec, s[14:15]
	v_or_b32_e32 v1, 0xc0, v1
	v_cmp_lt_u32_e32 vcc, v1, v71
	s_and_saveexec_b64 s[14:15], vcc
	s_cbranch_execz .LBB1950_89
; %bb.88:
	flat_load_ushort v35, v[16:17] offset:384
.LBB1950_89:
	s_or_b64 exec, exec, s[14:15]
	v_lshlrev_b64 v[33:34], 3, v[8:9]
	v_mov_b32_e32 v22, 0
	v_add_co_u32_e64 v1, s[14:15], v4, v33
	v_addc_co_u32_e64 v4, s[14:15], v5, v34, s[14:15]
	v_lshlrev_b32_e32 v5, 3, v20
	v_add_co_u32_e64 v1, s[14:15], v1, v5
	v_addc_co_u32_e64 v8, s[14:15], 0, v4, s[14:15]
	v_lshlrev_b64 v[4:5], 3, v[14:15]
	v_mov_b32_e32 v23, v22
	v_add_co_u32_e64 v4, s[14:15], v1, v4
	v_addc_co_u32_e64 v5, s[14:15], v8, v5, s[14:15]
	v_mov_b32_e32 v24, v22
	v_mov_b32_e32 v25, v22
	;; [unrolled: 1-line block ×6, first 2 shown]
	s_and_saveexec_b64 s[14:15], s[10:11]
	s_cbranch_execnz .LBB1950_164
; %bb.90:
	s_or_b64 exec, exec, s[14:15]
	s_and_saveexec_b64 s[10:11], s[6:7]
	s_cbranch_execnz .LBB1950_165
.LBB1950_91:
	s_or_b64 exec, exec, s[10:11]
	s_and_saveexec_b64 s[6:7], s[4:5]
	s_cbranch_execnz .LBB1950_166
.LBB1950_92:
	s_or_b64 exec, exec, s[6:7]
	s_and_saveexec_b64 s[4:5], vcc
	s_cbranch_execz .LBB1950_94
.LBB1950_93:
	flat_load_dwordx2 v[28:29], v[4:5] offset:1536
.LBB1950_94:
	s_or_b64 exec, exec, s[4:5]
	v_mov_b32_e32 v1, 0x7fff
	s_waitcnt vmcnt(0) lgkmcnt(0)
	v_cmp_gt_i16_e32 vcc, 0, v18
	v_cndmask_b32_e64 v4, v1, 0, vcc
	v_cmp_gt_i16_e32 vcc, 0, v21
	v_xor_b32_e32 v9, v4, v18
	v_cndmask_b32_e64 v4, v1, 0, vcc
	v_cmp_gt_i16_e32 vcc, 0, v37
	v_lshl_add_u32 v5, v30, 4, v12
	v_xor_b32_e32 v36, v4, v21
	v_cndmask_b32_e64 v4, v1, 0, vcc
	v_cmp_gt_i16_e32 vcc, 0, v35
	s_getpc_b64 s[4:5]
	s_add_u32 s4, s4, _ZN7rocprim17ROCPRIM_400000_NS16block_radix_sortI12hip_bfloat16Lj256ELj4ElLj1ELj1ELj8ELNS0_26block_radix_rank_algorithmE2ELNS0_18block_padding_hintE2ELNS0_4arch9wavefront6targetE1EE19radix_bits_per_passE@rel32@lo+4
	s_addc_u32 s5, s5, _ZN7rocprim17ROCPRIM_400000_NS16block_radix_sortI12hip_bfloat16Lj256ELj4ElLj1ELj1ELj8ELNS0_26block_radix_rank_algorithmE2ELNS0_18block_padding_hintE2ELNS0_4arch9wavefront6targetE1EE19radix_bits_per_passE@rel32@hi+12
	v_add_u32_e32 v54, 16, v5
	v_add_u32_e32 v55, 20, v5
	;; [unrolled: 1-line block ×4, first 2 shown]
	v_and_b32_e32 v5, 15, v19
	v_xor_b32_e32 v101, v4, v37
	v_cndmask_b32_e64 v4, v1, 0, vcc
	s_load_dword s62, s[4:5], 0x0
	v_cmp_eq_u32_e32 vcc, 0, v5
	v_cmp_lt_u32_e64 s[4:5], 1, v5
	v_cmp_lt_u32_e64 s[6:7], 3, v5
	;; [unrolled: 1-line block ×3, first 2 shown]
	v_and_b32_e32 v5, 16, v19
	v_cmp_eq_u32_e64 s[40:41], 0, v5
	v_and_b32_e32 v5, 0x3c0, v30
	v_min_u32_e32 v5, 0xc0, v5
	v_or_b32_e32 v5, 63, v5
	v_cmp_eq_u32_e64 s[16:17], v30, v5
	v_subrev_co_u32_e64 v5, s[22:23], 1, v19
	v_and_b32_e32 v8, 64, v19
	v_cmp_lt_i32_e64 s[24:25], v5, v8
	v_xor_b32_e32 v102, v4, v35
	v_lshlrev_b32_e32 v4, 2, v30
	v_cndmask_b32_e64 v5, v5, v19, s[24:25]
	s_movk_i32 s42, 0xf00
	v_lshlrev_b32_e32 v67, 2, v5
	v_lshrrev_b32_e32 v5, 4, v30
	v_add_u32_e32 v69, v12, v4
	v_and_or_b32 v4, v4, s42, v20
	v_and_b32_e32 v5, 60, v5
	v_lshl_add_u32 v80, v4, 1, v12
	v_mul_u32_u24_e32 v4, 6, v4
	v_add_u32_e32 v68, v12, v5
	v_and_b32_e32 v8, 3, v19
	v_add_u32_e32 v84, v80, v4
	v_lshrrev_b32_e32 v66, 6, v0
	v_cmp_lt_u32_e64 s[14:15], 31, v19
	v_cmp_gt_u32_e64 s[18:19], 4, v30
	v_cmp_lt_u32_e64 s[20:21], 63, v30
	v_cmp_eq_u32_e64 s[24:25], 0, v30
	v_mov_b32_e32 v5, 0
	v_cmp_eq_u32_e64 s[26:27], 0, v8
	v_cmp_lt_u32_e64 s[28:29], 1, v8
	v_add_u32_e32 v70, -4, v68
	v_add_u32_e32 v81, 0x80, v80
	v_add_u32_e32 v82, 0x100, v80
	;; [unrolled: 1-line block ×6, first 2 shown]
	v_sub_u32_e32 v96, v11, v10
	s_mov_b64 s[58:59], 0
	s_movk_i32 s63, 0x8000
	s_waitcnt lgkmcnt(0)
	s_barrier
	s_branch .LBB1950_96
.LBB1950_95:                            ;   in Loop: Header=BB1950_96 Depth=1
	s_or_b64 exec, exec, s[44:45]
	s_and_b64 s[42:43], exec, s[60:61]
	s_or_b64 s[58:59], s[42:43], s[58:59]
	s_andn2_b64 exec, exec, s[58:59]
	s_cbranch_execz .LBB1950_126
.LBB1950_96:                            ; =>This Inner Loop Header: Depth=1
	v_mov_b32_e32 v100, v9
	v_min_u32_e32 v4, s62, v96
	v_mov_b32_e32 v14, v22
	v_lshlrev_b32_e64 v4, v4, -1
	v_cmp_ne_u16_e64 s[42:43], s63, v100
	v_mov_b32_e32 v15, v23
	v_mov_b32_e32 v16, v24
	;; [unrolled: 1-line block ×7, first 2 shown]
	v_not_b32_e32 v25, v4
	v_cndmask_b32_e64 v4, v1, v100, s[42:43]
	v_lshrrev_b32_sdwa v4, v10, v4 dst_sel:DWORD dst_unused:UNUSED_PAD src0_sel:DWORD src1_sel:WORD_0
	v_and_b32_e32 v22, v4, v25
	v_lshlrev_b32_e32 v4, 2, v22
	v_add_lshl_u32 v4, v4, v66, 2
	v_add_co_u32_e64 v4, s[42:43], v12, v4
	v_add_co_u32_e64 v4, s[42:43], 16, v4
	v_and_b32_e32 v8, 1, v22
	v_add_co_u32_e64 v9, s[42:43], -1, v8
	v_addc_co_u32_e64 v23, s[42:43], 0, -1, s[42:43]
	v_cmp_ne_u32_e64 s[42:43], 0, v8
	v_xor_b32_e32 v8, s43, v23
	v_xor_b32_e32 v9, s42, v9
	v_and_b32_e32 v23, exec_hi, v8
	v_and_b32_e32 v24, exec_lo, v9
	v_lshlrev_b32_e32 v9, 30, v22
	v_mov_b32_e32 v8, v5
	v_cmp_gt_i64_e64 s[42:43], 0, v[8:9]
	v_not_b32_e32 v8, v9
	v_ashrrev_i32_e32 v8, 31, v8
	v_xor_b32_e32 v9, s43, v8
	v_xor_b32_e32 v8, s42, v8
	v_and_b32_e32 v23, v23, v9
	v_and_b32_e32 v24, v24, v8
	v_lshlrev_b32_e32 v9, 29, v22
	v_mov_b32_e32 v8, v5
	v_cmp_gt_i64_e64 s[42:43], 0, v[8:9]
	v_not_b32_e32 v8, v9
	v_ashrrev_i32_e32 v8, 31, v8
	v_xor_b32_e32 v9, s43, v8
	v_xor_b32_e32 v8, s42, v8
	v_and_b32_e32 v23, v23, v9
	v_and_b32_e32 v24, v24, v8
	;; [unrolled: 9-line block ×7, first 2 shown]
	v_mbcnt_lo_u32_b32 v22, v8, 0
	v_mbcnt_hi_u32_b32 v22, v9, v22
	v_cmp_ne_u64_e64 s[42:43], 0, v[8:9]
	v_cmp_eq_u32_e64 s[44:45], 0, v22
	v_mov_b32_e32 v99, v36
	v_mov_b32_e32 v98, v101
	v_mov_b32_e32 v97, v102
	s_and_b64 s[44:45], s[42:43], s[44:45]
	ds_write_b32 v54, v5
	ds_write_b32 v55, v5
	ds_write_b32 v64, v5
	ds_write_b32 v65, v5
	s_waitcnt lgkmcnt(0)
	s_barrier
	; wave barrier
	s_and_saveexec_b64 s[42:43], s[44:45]
; %bb.97:                               ;   in Loop: Header=BB1950_96 Depth=1
	v_bcnt_u32_b32 v8, v8, 0
	v_bcnt_u32_b32 v8, v9, v8
	ds_write_b32 v4, v8
; %bb.98:                               ;   in Loop: Header=BB1950_96 Depth=1
	s_or_b64 exec, exec, s[42:43]
	v_cmp_ne_u16_e64 s[42:43], s63, v99
	v_cndmask_b32_e64 v8, v1, v99, s[42:43]
	v_lshrrev_b32_sdwa v8, v10, v8 dst_sel:DWORD dst_unused:UNUSED_PAD src0_sel:DWORD src1_sel:WORD_0
	v_and_b32_e32 v26, v8, v25
	v_lshl_add_u32 v8, v26, 2, v66
	v_lshl_add_u32 v8, v8, 2, v12
	; wave barrier
	v_add_u32_e32 v24, 16, v8
	ds_read_b32 v23, v8 offset:16
	v_and_b32_e32 v8, 1, v26
	v_add_co_u32_e64 v9, s[42:43], -1, v8
	v_addc_co_u32_e64 v27, s[42:43], 0, -1, s[42:43]
	v_cmp_ne_u32_e64 s[42:43], 0, v8
	v_xor_b32_e32 v8, s43, v27
	v_xor_b32_e32 v9, s42, v9
	v_and_b32_e32 v27, exec_hi, v8
	v_and_b32_e32 v28, exec_lo, v9
	v_lshlrev_b32_e32 v9, 30, v26
	v_mov_b32_e32 v8, v5
	v_cmp_gt_i64_e64 s[42:43], 0, v[8:9]
	v_not_b32_e32 v8, v9
	v_ashrrev_i32_e32 v8, 31, v8
	v_xor_b32_e32 v9, s43, v8
	v_xor_b32_e32 v8, s42, v8
	v_and_b32_e32 v27, v27, v9
	v_and_b32_e32 v28, v28, v8
	v_lshlrev_b32_e32 v9, 29, v26
	v_mov_b32_e32 v8, v5
	v_cmp_gt_i64_e64 s[42:43], 0, v[8:9]
	v_not_b32_e32 v8, v9
	v_ashrrev_i32_e32 v8, 31, v8
	v_xor_b32_e32 v9, s43, v8
	v_xor_b32_e32 v8, s42, v8
	v_and_b32_e32 v27, v27, v9
	v_and_b32_e32 v28, v28, v8
	;; [unrolled: 9-line block ×7, first 2 shown]
	v_mbcnt_lo_u32_b32 v26, v8, 0
	v_mbcnt_hi_u32_b32 v26, v9, v26
	v_cmp_ne_u64_e64 s[42:43], 0, v[8:9]
	v_cmp_eq_u32_e64 s[44:45], 0, v26
	s_and_b64 s[44:45], s[42:43], s[44:45]
	; wave barrier
	s_and_saveexec_b64 s[42:43], s[44:45]
	s_cbranch_execz .LBB1950_100
; %bb.99:                               ;   in Loop: Header=BB1950_96 Depth=1
	v_bcnt_u32_b32 v8, v8, 0
	v_bcnt_u32_b32 v8, v9, v8
	s_waitcnt lgkmcnt(0)
	v_add_u32_e32 v8, v23, v8
	ds_write_b32 v24, v8
.LBB1950_100:                           ;   in Loop: Header=BB1950_96 Depth=1
	s_or_b64 exec, exec, s[42:43]
	v_cmp_ne_u16_e64 s[42:43], s63, v98
	v_cndmask_b32_e64 v8, v1, v98, s[42:43]
	v_lshrrev_b32_sdwa v8, v10, v8 dst_sel:DWORD dst_unused:UNUSED_PAD src0_sel:DWORD src1_sel:WORD_0
	v_and_b32_e32 v29, v8, v25
	v_lshl_add_u32 v8, v29, 2, v66
	v_lshl_add_u32 v8, v8, 2, v12
	; wave barrier
	v_add_u32_e32 v28, 16, v8
	ds_read_b32 v27, v8 offset:16
	v_and_b32_e32 v8, 1, v29
	v_add_co_u32_e64 v9, s[42:43], -1, v8
	v_addc_co_u32_e64 v35, s[42:43], 0, -1, s[42:43]
	v_cmp_ne_u32_e64 s[42:43], 0, v8
	v_xor_b32_e32 v8, s43, v35
	v_xor_b32_e32 v9, s42, v9
	v_and_b32_e32 v35, exec_hi, v8
	v_and_b32_e32 v36, exec_lo, v9
	v_lshlrev_b32_e32 v9, 30, v29
	v_mov_b32_e32 v8, v5
	v_cmp_gt_i64_e64 s[42:43], 0, v[8:9]
	v_not_b32_e32 v8, v9
	v_ashrrev_i32_e32 v8, 31, v8
	v_xor_b32_e32 v9, s43, v8
	v_xor_b32_e32 v8, s42, v8
	v_and_b32_e32 v35, v35, v9
	v_and_b32_e32 v36, v36, v8
	v_lshlrev_b32_e32 v9, 29, v29
	v_mov_b32_e32 v8, v5
	v_cmp_gt_i64_e64 s[42:43], 0, v[8:9]
	v_not_b32_e32 v8, v9
	v_ashrrev_i32_e32 v8, 31, v8
	v_xor_b32_e32 v9, s43, v8
	v_xor_b32_e32 v8, s42, v8
	v_and_b32_e32 v35, v35, v9
	v_and_b32_e32 v36, v36, v8
	;; [unrolled: 9-line block ×7, first 2 shown]
	v_mbcnt_lo_u32_b32 v29, v8, 0
	v_mbcnt_hi_u32_b32 v29, v9, v29
	v_cmp_ne_u64_e64 s[42:43], 0, v[8:9]
	v_cmp_eq_u32_e64 s[44:45], 0, v29
	s_and_b64 s[44:45], s[42:43], s[44:45]
	; wave barrier
	s_and_saveexec_b64 s[42:43], s[44:45]
	s_cbranch_execz .LBB1950_102
; %bb.101:                              ;   in Loop: Header=BB1950_96 Depth=1
	v_bcnt_u32_b32 v8, v8, 0
	v_bcnt_u32_b32 v8, v9, v8
	s_waitcnt lgkmcnt(0)
	v_add_u32_e32 v8, v27, v8
	ds_write_b32 v28, v8
.LBB1950_102:                           ;   in Loop: Header=BB1950_96 Depth=1
	s_or_b64 exec, exec, s[42:43]
	v_cmp_ne_u16_e64 s[42:43], s63, v97
	v_cndmask_b32_e64 v8, v1, v97, s[42:43]
	v_lshrrev_b32_sdwa v8, v10, v8 dst_sel:DWORD dst_unused:UNUSED_PAD src0_sel:DWORD src1_sel:WORD_0
	v_and_b32_e32 v36, v8, v25
	v_lshl_add_u32 v8, v36, 2, v66
	v_lshl_add_u32 v8, v8, 2, v12
	; wave barrier
	v_add_u32_e32 v35, 16, v8
	ds_read_b32 v25, v8 offset:16
	v_and_b32_e32 v8, 1, v36
	v_add_co_u32_e64 v9, s[42:43], -1, v8
	v_addc_co_u32_e64 v37, s[42:43], 0, -1, s[42:43]
	v_cmp_ne_u32_e64 s[42:43], 0, v8
	v_xor_b32_e32 v8, s43, v37
	v_xor_b32_e32 v9, s42, v9
	v_and_b32_e32 v37, exec_hi, v8
	v_and_b32_e32 v38, exec_lo, v9
	v_lshlrev_b32_e32 v9, 30, v36
	v_mov_b32_e32 v8, v5
	v_cmp_gt_i64_e64 s[42:43], 0, v[8:9]
	v_not_b32_e32 v8, v9
	v_ashrrev_i32_e32 v8, 31, v8
	v_xor_b32_e32 v9, s43, v8
	v_xor_b32_e32 v8, s42, v8
	v_and_b32_e32 v37, v37, v9
	v_and_b32_e32 v38, v38, v8
	v_lshlrev_b32_e32 v9, 29, v36
	v_mov_b32_e32 v8, v5
	v_cmp_gt_i64_e64 s[42:43], 0, v[8:9]
	v_not_b32_e32 v8, v9
	v_ashrrev_i32_e32 v8, 31, v8
	v_xor_b32_e32 v9, s43, v8
	v_xor_b32_e32 v8, s42, v8
	v_and_b32_e32 v37, v37, v9
	v_and_b32_e32 v38, v38, v8
	;; [unrolled: 9-line block ×7, first 2 shown]
	v_mbcnt_lo_u32_b32 v36, v8, 0
	v_mbcnt_hi_u32_b32 v36, v9, v36
	v_cmp_ne_u64_e64 s[42:43], 0, v[8:9]
	v_cmp_eq_u32_e64 s[44:45], 0, v36
	s_and_b64 s[44:45], s[42:43], s[44:45]
	; wave barrier
	s_and_saveexec_b64 s[42:43], s[44:45]
	s_cbranch_execz .LBB1950_104
; %bb.103:                              ;   in Loop: Header=BB1950_96 Depth=1
	v_bcnt_u32_b32 v8, v8, 0
	v_bcnt_u32_b32 v8, v9, v8
	s_waitcnt lgkmcnt(0)
	v_add_u32_e32 v8, v25, v8
	ds_write_b32 v35, v8
.LBB1950_104:                           ;   in Loop: Header=BB1950_96 Depth=1
	s_or_b64 exec, exec, s[42:43]
	; wave barrier
	s_waitcnt lgkmcnt(0)
	s_barrier
	ds_read_b32 v37, v54
	ds_read_b32 v9, v55
	;; [unrolled: 1-line block ×4, first 2 shown]
	s_waitcnt lgkmcnt(2)
	v_add_u32_e32 v39, v9, v37
	s_waitcnt lgkmcnt(0)
	v_add3_u32 v38, v39, v8, v38
	s_nop 1
	v_mov_b32_dpp v39, v38 row_shr:1 row_mask:0xf bank_mask:0xf
	v_cndmask_b32_e64 v39, v39, 0, vcc
	v_add_u32_e32 v38, v39, v38
	s_nop 1
	v_mov_b32_dpp v39, v38 row_shr:2 row_mask:0xf bank_mask:0xf
	v_cndmask_b32_e64 v39, 0, v39, s[4:5]
	v_add_u32_e32 v38, v38, v39
	s_nop 1
	v_mov_b32_dpp v39, v38 row_shr:4 row_mask:0xf bank_mask:0xf
	v_cndmask_b32_e64 v39, 0, v39, s[6:7]
	;; [unrolled: 4-line block ×3, first 2 shown]
	v_add_u32_e32 v38, v38, v39
	s_nop 1
	v_mov_b32_dpp v39, v38 row_bcast:15 row_mask:0xf bank_mask:0xf
	v_cndmask_b32_e64 v39, v39, 0, s[40:41]
	v_add_u32_e32 v38, v38, v39
	s_nop 1
	v_mov_b32_dpp v39, v38 row_bcast:31 row_mask:0xf bank_mask:0xf
	v_cndmask_b32_e64 v39, 0, v39, s[14:15]
	v_add_u32_e32 v38, v38, v39
	s_and_saveexec_b64 s[42:43], s[16:17]
; %bb.105:                              ;   in Loop: Header=BB1950_96 Depth=1
	ds_write_b32 v68, v38
; %bb.106:                              ;   in Loop: Header=BB1950_96 Depth=1
	s_or_b64 exec, exec, s[42:43]
	s_waitcnt lgkmcnt(0)
	s_barrier
	s_and_saveexec_b64 s[42:43], s[18:19]
	s_cbranch_execz .LBB1950_108
; %bb.107:                              ;   in Loop: Header=BB1950_96 Depth=1
	ds_read_b32 v39, v69
	s_waitcnt lgkmcnt(0)
	s_nop 0
	v_mov_b32_dpp v48, v39 row_shr:1 row_mask:0xf bank_mask:0xf
	v_cndmask_b32_e64 v48, v48, 0, s[26:27]
	v_add_u32_e32 v39, v48, v39
	s_nop 1
	v_mov_b32_dpp v48, v39 row_shr:2 row_mask:0xf bank_mask:0xf
	v_cndmask_b32_e64 v48, 0, v48, s[28:29]
	v_add_u32_e32 v39, v39, v48
	ds_write_b32 v69, v39
.LBB1950_108:                           ;   in Loop: Header=BB1950_96 Depth=1
	s_or_b64 exec, exec, s[42:43]
	v_mov_b32_e32 v39, 0
	s_waitcnt lgkmcnt(0)
	s_barrier
	s_and_saveexec_b64 s[42:43], s[20:21]
; %bb.109:                              ;   in Loop: Header=BB1950_96 Depth=1
	ds_read_b32 v39, v70
; %bb.110:                              ;   in Loop: Header=BB1950_96 Depth=1
	s_or_b64 exec, exec, s[42:43]
	s_waitcnt lgkmcnt(0)
	v_add_u32_e32 v38, v39, v38
	ds_bpermute_b32 v38, v67, v38
	v_add_u32_e32 v10, 8, v10
	v_cmp_lt_u32_e64 s[42:43], v10, v11
	s_mov_b64 s[60:61], -1
                                        ; implicit-def: $vgpr101
                                        ; implicit-def: $vgpr102
	s_waitcnt lgkmcnt(0)
	v_cndmask_b32_e64 v38, v38, v39, s[22:23]
	v_cndmask_b32_e64 v38, v38, 0, s[24:25]
	v_add_u32_e32 v37, v38, v37
	v_add_u32_e32 v9, v37, v9
	;; [unrolled: 1-line block ×3, first 2 shown]
	ds_write_b32 v54, v38
	ds_write_b32 v55, v37
	;; [unrolled: 1-line block ×4, first 2 shown]
	s_waitcnt lgkmcnt(0)
	s_barrier
	ds_read_b32 v4, v4
	ds_read_b32 v8, v24
	;; [unrolled: 1-line block ×4, first 2 shown]
	v_mov_b32_e32 v38, v5
	s_waitcnt lgkmcnt(3)
	v_add_u32_e32 v4, v4, v22
	s_waitcnt lgkmcnt(2)
	v_add3_u32 v37, v26, v23, v8
	v_lshlrev_b64 v[22:23], 1, v[4:5]
	s_waitcnt lgkmcnt(1)
	v_add3_u32 v35, v29, v27, v9
	v_add_co_u32_e64 v48, s[44:45], v12, v22
	v_addc_co_u32_e64 v49, s[44:45], v13, v23, s[44:45]
	v_lshlrev_b64 v[22:23], 1, v[37:38]
	s_waitcnt lgkmcnt(0)
	v_add3_u32 v8, v36, v25, v24
	v_add_co_u32_e64 v38, s[44:45], v12, v22
	v_mov_b32_e32 v36, v5
	v_addc_co_u32_e64 v39, s[44:45], v13, v23, s[44:45]
	v_lshlrev_b64 v[22:23], 1, v[35:36]
	v_mov_b32_e32 v9, v5
	v_add_co_u32_e64 v50, s[44:45], v12, v22
	v_addc_co_u32_e64 v51, s[44:45], v13, v23, s[44:45]
	v_lshlrev_b64 v[22:23], 1, v[8:9]
	v_add_co_u32_e64 v52, s[44:45], v12, v22
	v_addc_co_u32_e64 v53, s[44:45], v13, v23, s[44:45]
                                        ; implicit-def: $vgpr22_vgpr23_vgpr24_vgpr25_vgpr26_vgpr27_vgpr28_vgpr29
                                        ; implicit-def: $vgpr9
                                        ; implicit-def: $vgpr36
	s_and_saveexec_b64 s[44:45], s[42:43]
	s_cbranch_execz .LBB1950_95
; %bb.111:                              ;   in Loop: Header=BB1950_96 Depth=1
	v_mad_u64_u32 v[22:23], s[42:43], v4, 6, v[48:49]
	v_mad_u64_u32 v[23:24], s[42:43], v37, 6, v[38:39]
	;; [unrolled: 1-line block ×4, first 2 shown]
	s_barrier
	ds_write_b16 v48, v100
	ds_write_b16 v38, v99
	;; [unrolled: 1-line block ×4, first 2 shown]
	s_waitcnt lgkmcnt(0)
	s_barrier
	ds_read_u16 v9, v80
	ds_read_u16 v36, v81
	;; [unrolled: 1-line block ×4, first 2 shown]
	s_waitcnt lgkmcnt(0)
	s_barrier
	ds_write_b64 v22, v[14:15]
	ds_write_b64 v23, v[16:17]
	;; [unrolled: 1-line block ×4, first 2 shown]
	s_waitcnt lgkmcnt(0)
	s_barrier
	ds_read_b64 v[22:23], v84
	ds_read_b64 v[24:25], v85
	;; [unrolled: 1-line block ×4, first 2 shown]
	v_add_u32_e32 v96, -8, v96
	s_xor_b64 s[60:61], exec, -1
	s_waitcnt lgkmcnt(0)
	s_barrier
	s_branch .LBB1950_95
.LBB1950_112:
	flat_load_dwordx2 v[34:35], v[4:5]
	s_or_b64 exec, exec, s[22:23]
                                        ; implicit-def: $vgpr36_vgpr37
	s_and_saveexec_b64 s[22:23], s[4:5]
	s_cbranch_execz .LBB1950_20
.LBB1950_113:
	flat_load_dwordx2 v[36:37], v[4:5] offset:512
	s_or_b64 exec, exec, s[22:23]
                                        ; implicit-def: $vgpr38_vgpr39
	s_and_saveexec_b64 s[4:5], s[6:7]
	s_cbranch_execz .LBB1950_21
.LBB1950_114:
	flat_load_dwordx2 v[38:39], v[4:5] offset:1024
	s_or_b64 exec, exec, s[4:5]
                                        ; implicit-def: $vgpr48_vgpr49
	s_and_saveexec_b64 s[4:5], s[10:11]
	s_cbranch_execz .LBB1950_22
.LBB1950_115:
	flat_load_dwordx2 v[48:49], v[4:5] offset:1536
	s_or_b64 exec, exec, s[4:5]
                                        ; implicit-def: $vgpr69_vgpr70
	s_and_saveexec_b64 s[4:5], s[20:21]
	s_cbranch_execz .LBB1950_23
.LBB1950_116:
	flat_load_dwordx2 v[69:70], v[4:5] offset:2048
	s_or_b64 exec, exec, s[4:5]
                                        ; implicit-def: $vgpr81_vgpr82
	s_and_saveexec_b64 s[4:5], s[14:15]
	s_cbranch_execz .LBB1950_24
.LBB1950_117:
	flat_load_dwordx2 v[81:82], v[4:5] offset:2560
	s_or_b64 exec, exec, s[4:5]
                                        ; implicit-def: $vgpr96_vgpr97
	s_and_saveexec_b64 s[4:5], s[16:17]
	s_cbranch_execz .LBB1950_25
.LBB1950_118:
	flat_load_dwordx2 v[96:97], v[4:5] offset:3072
	s_or_b64 exec, exec, s[4:5]
                                        ; implicit-def: $vgpr112_vgpr113
	s_and_saveexec_b64 s[4:5], s[18:19]
	s_cbranch_execnz .LBB1950_26
	s_branch .LBB1950_27
.LBB1950_119:
	flat_store_dwordx2 v[0:1], v[20:21]
	s_or_b64 exec, exec, s[22:23]
	s_and_saveexec_b64 s[22:23], s[4:5]
	s_cbranch_execz .LBB1950_71
.LBB1950_120:
	flat_store_dwordx2 v[0:1], v[22:23] offset:2048
	s_or_b64 exec, exec, s[22:23]
	s_and_saveexec_b64 s[4:5], s[6:7]
	s_cbranch_execz .LBB1950_72
.LBB1950_121:
	v_add_co_u32_e32 v2, vcc, 0x1000, v0
	v_addc_co_u32_e32 v3, vcc, 0, v1, vcc
	flat_store_dwordx2 v[2:3], v[16:17]
	s_or_b64 exec, exec, s[4:5]
	s_and_saveexec_b64 s[4:5], s[10:11]
	s_cbranch_execz .LBB1950_73
.LBB1950_122:
	v_add_co_u32_e32 v2, vcc, 0x1000, v0
	v_addc_co_u32_e32 v3, vcc, 0, v1, vcc
	flat_store_dwordx2 v[2:3], v[18:19] offset:2048
	s_or_b64 exec, exec, s[4:5]
	s_and_saveexec_b64 s[4:5], s[20:21]
	s_cbranch_execz .LBB1950_74
.LBB1950_123:
	v_add_co_u32_e32 v2, vcc, 0x2000, v0
	v_addc_co_u32_e32 v3, vcc, 0, v1, vcc
	flat_store_dwordx2 v[2:3], v[12:13]
	s_or_b64 exec, exec, s[4:5]
	s_and_saveexec_b64 s[4:5], s[14:15]
	s_cbranch_execz .LBB1950_75
.LBB1950_124:
	v_add_co_u32_e32 v2, vcc, 0x2000, v0
	v_addc_co_u32_e32 v3, vcc, 0, v1, vcc
	flat_store_dwordx2 v[2:3], v[14:15] offset:2048
	s_or_b64 exec, exec, s[4:5]
	s_and_saveexec_b64 s[4:5], s[16:17]
	s_cbranch_execz .LBB1950_76
.LBB1950_125:
	v_add_co_u32_e32 v2, vcc, 0x3000, v0
	v_addc_co_u32_e32 v3, vcc, 0, v1, vcc
	flat_store_dwordx2 v[2:3], v[8:9]
	s_or_b64 exec, exec, s[4:5]
	s_and_saveexec_b64 s[4:5], s[18:19]
	s_cbranch_execnz .LBB1950_77
	s_branch .LBB1950_78
.LBB1950_126:
	s_or_b64 exec, exec, s[58:59]
	v_mad_u64_u32 v[9:10], s[4:5], v4, 6, v[48:49]
	v_mad_u64_u32 v[10:11], s[4:5], v37, 6, v[38:39]
	v_lshl_add_u32 v1, v30, 1, v12
	v_mad_u64_u32 v[11:12], s[4:5], v35, 6, v[50:51]
	v_mul_u32_u24_e32 v4, 6, v30
	s_barrier
	ds_write_b16 v48, v100
	ds_write_b16 v38, v99
	;; [unrolled: 1-line block ×4, first 2 shown]
	s_waitcnt lgkmcnt(0)
	s_barrier
	ds_read_u16 v24, v1
	ds_read_u16 v23, v1 offset:512
	ds_read_u16 v22, v1 offset:1024
	;; [unrolled: 1-line block ×3, first 2 shown]
	v_mad_u64_u32 v[12:13], s[4:5], v8, 6, v[52:53]
	v_add_u32_e32 v1, v1, v4
	s_waitcnt lgkmcnt(0)
	s_barrier
	ds_write_b64 v9, v[14:15]
	ds_write_b64 v10, v[16:17]
	;; [unrolled: 1-line block ×4, first 2 shown]
	s_waitcnt lgkmcnt(0)
	s_barrier
	ds_read2st64_b64 v[12:15], v1 offset1:4
	ds_read2st64_b64 v[8:11], v1 offset0:8 offset1:12
	v_add_co_u32_e32 v4, vcc, v2, v31
	v_mov_b32_e32 v1, 0
	v_addc_co_u32_e32 v16, vcc, v3, v32, vcc
	v_lshlrev_b64 v[2:3], 1, v[0:1]
	s_waitcnt lgkmcnt(0)
	v_add_co_u32_e32 v2, vcc, v4, v2
	v_addc_co_u32_e32 v3, vcc, v16, v3, vcc
	v_cmp_lt_u32_e32 vcc, v0, v71
	s_barrier
	s_and_saveexec_b64 s[6:7], vcc
	s_cbranch_execz .LBB1950_128
; %bb.127:
	v_mov_b32_e32 v4, 0x7fff
	v_cmp_gt_i16_e64 s[4:5], 0, v24
	v_cndmask_b32_e64 v4, v4, 0, s[4:5]
	v_xor_b32_e32 v4, v4, v24
	flat_store_short v[2:3], v4
.LBB1950_128:
	s_or_b64 exec, exec, s[6:7]
	v_add_u32_e32 v4, 0x100, v0
	v_cmp_lt_u32_e64 s[4:5], v4, v71
	s_and_saveexec_b64 s[10:11], s[4:5]
	s_cbranch_execz .LBB1950_130
; %bb.129:
	v_mov_b32_e32 v4, 0x7fff
	v_cmp_gt_i16_e64 s[6:7], 0, v23
	v_cndmask_b32_e64 v4, v4, 0, s[6:7]
	v_xor_b32_e32 v4, v4, v23
	flat_store_short v[2:3], v4 offset:512
.LBB1950_130:
	s_or_b64 exec, exec, s[10:11]
	v_add_u32_e32 v4, 0x200, v0
	v_cmp_lt_u32_e64 s[6:7], v4, v71
	s_and_saveexec_b64 s[14:15], s[6:7]
	s_cbranch_execz .LBB1950_132
; %bb.131:
	v_mov_b32_e32 v4, 0x7fff
	v_cmp_gt_i16_e64 s[10:11], 0, v22
	v_cndmask_b32_e64 v4, v4, 0, s[10:11]
	v_xor_b32_e32 v4, v4, v22
	flat_store_short v[2:3], v4 offset:1024
.LBB1950_132:
	;; [unrolled: 12-line block ×3, first 2 shown]
	s_or_b64 exec, exec, s[16:17]
	v_add_co_u32_e64 v2, s[14:15], v6, v33
	v_lshlrev_b64 v[0:1], 3, v[0:1]
	v_addc_co_u32_e64 v3, s[14:15], v7, v34, s[14:15]
	v_add_co_u32_e64 v0, s[14:15], v2, v0
	v_addc_co_u32_e64 v1, s[14:15], v3, v1, s[14:15]
	s_and_saveexec_b64 s[14:15], vcc
	s_cbranch_execnz .LBB1950_167
; %bb.135:
	s_or_b64 exec, exec, s[14:15]
	s_and_saveexec_b64 s[14:15], s[4:5]
	s_cbranch_execnz .LBB1950_168
.LBB1950_136:
	s_or_b64 exec, exec, s[14:15]
	s_and_saveexec_b64 s[4:5], s[6:7]
	s_cbranch_execnz .LBB1950_169
.LBB1950_137:
	s_or_b64 exec, exec, s[4:5]
	s_and_saveexec_b64 s[4:5], s[10:11]
	s_cbranch_execz .LBB1950_139
.LBB1950_138:
	v_add_co_u32_e32 v0, vcc, 0x1000, v0
	v_addc_co_u32_e32 v1, vcc, 0, v1, vcc
	flat_store_dwordx2 v[0:1], v[10:11] offset:2048
.LBB1950_139:
	s_or_b64 exec, exec, s[4:5]
                                        ; implicit-def: $vgpr71
                                        ; implicit-def: $vgpr0
                                        ; implicit-def: $vgpr1
                                        ; implicit-def: $vgpr2
                                        ; implicit-def: $vgpr3
                                        ; implicit-def: $vgpr4
                                        ; implicit-def: $vgpr5
                                        ; implicit-def: $vgpr6
                                        ; implicit-def: $vgpr7
                                        ; implicit-def: $vgpr8
                                        ; implicit-def: $vgpr10
                                        ; implicit-def: $vgpr11
                                        ; implicit-def: $vgpr12
                                        ; implicit-def: $vgpr13
                                        ; implicit-def: $vgpr31
                                        ; implicit-def: $vgpr17
                                        ; implicit-def: $vgpr18
                                        ; implicit-def: $vgpr19
.LBB1950_140:
	s_andn2_saveexec_b64 s[4:5], s[56:57]
	s_cbranch_execz .LBB1950_199
; %bb.141:
	s_load_dwordx2 s[4:5], s[8:9], 0x0
	v_mov_b32_e32 v9, 0
	s_waitcnt lgkmcnt(0)
	s_cmp_lt_u32 s13, s5
	s_cselect_b32 s5, 14, 20
	s_add_u32 s6, s8, s5
	s_addc_u32 s7, s9, 0
	s_cmp_lt_u32 s12, s4
	s_cselect_b32 s4, 12, 18
	s_add_u32 s4, s8, s4
	global_load_ushort v14, v9, s[6:7]
	s_addc_u32 s5, s9, 0
	global_load_ushort v15, v9, s[4:5]
	s_waitcnt vmcnt(0)
	v_mad_u32_u24 v14, v18, v14, v17
	v_and_b32_e32 v18, 0x3ff, v31
	v_mad_u64_u32 v[14:15], s[4:5], v14, v15, v[18:19]
	s_movk_i32 s4, 0x100
	v_lshlrev_b64 v[16:17], 1, v[8:9]
	v_cmp_lt_u32_e32 vcc, s4, v71
	s_and_saveexec_b64 s[4:5], vcc
	s_xor_b64 s[42:43], exec, s[4:5]
	s_cbranch_execz .LBB1950_179
; %bb.142:
	v_mbcnt_hi_u32_b32 v26, -1, v19
	v_add_co_u32_e32 v0, vcc, v0, v16
	v_and_b32_e32 v25, 63, v26
	v_lshlrev_b32_e32 v15, 1, v14
	v_addc_co_u32_e32 v1, vcc, v1, v17, vcc
	v_and_b32_e32 v19, 0xffffff80, v15
	v_lshlrev_b32_e32 v15, 1, v25
	v_add_co_u32_e32 v15, vcc, v0, v15
	v_mov_b32_e32 v20, v9
	v_addc_co_u32_e32 v21, vcc, 0, v1, vcc
	v_lshlrev_b64 v[0:1], 1, v[19:20]
	v_mov_b32_e32 v27, -1
	v_add_co_u32_e32 v0, vcc, v15, v0
	v_addc_co_u32_e32 v1, vcc, v21, v1, vcc
	v_or_b32_e32 v15, v25, v19
	v_cmp_lt_u32_e32 vcc, v15, v71
	v_mov_b32_e32 v28, -1
	s_and_saveexec_b64 s[4:5], vcc
	s_cbranch_execz .LBB1950_144
; %bb.143:
	flat_load_ushort v28, v[0:1]
.LBB1950_144:
	s_or_b64 exec, exec, s[4:5]
	v_or_b32_e32 v15, 64, v15
	v_cmp_lt_u32_e64 s[4:5], v15, v71
	s_and_saveexec_b64 s[6:7], s[4:5]
	s_cbranch_execz .LBB1950_146
; %bb.145:
	flat_load_ushort v27, v[0:1] offset:128
.LBB1950_146:
	s_or_b64 exec, exec, s[6:7]
	v_lshlrev_b64 v[0:1], 3, v[8:9]
	v_lshlrev_b32_e32 v8, 3, v25
	v_add_co_u32_e64 v4, s[6:7], v4, v0
	v_addc_co_u32_e64 v5, s[6:7], v5, v1, s[6:7]
	v_add_co_u32_e64 v8, s[6:7], v4, v8
	v_addc_co_u32_e64 v9, s[6:7], 0, v5, s[6:7]
	v_lshlrev_b64 v[4:5], 3, v[19:20]
	v_mov_b32_e32 v23, 0
	v_mov_b32_e32 v21, 0
	v_add_co_u32_e64 v4, s[6:7], v8, v4
	v_mov_b32_e32 v24, 0
	v_mov_b32_e32 v22, 0
	v_addc_co_u32_e64 v5, s[6:7], v9, v5, s[6:7]
	s_and_saveexec_b64 s[6:7], vcc
	s_cbranch_execz .LBB1950_148
; %bb.147:
	flat_load_dwordx2 v[21:22], v[4:5]
.LBB1950_148:
	s_or_b64 exec, exec, s[6:7]
	s_and_saveexec_b64 s[6:7], s[4:5]
	s_cbranch_execz .LBB1950_150
; %bb.149:
	flat_load_dwordx2 v[23:24], v[4:5] offset:512
.LBB1950_150:
	s_or_b64 exec, exec, s[6:7]
	v_mov_b32_e32 v15, 0x7fff
	s_waitcnt vmcnt(0) lgkmcnt(0)
	v_cmp_gt_i16_e32 vcc, 0, v28
	v_cndmask_b32_e64 v4, v15, 0, vcc
	v_cmp_gt_i16_e32 vcc, 0, v27
	v_xor_b32_e32 v55, v4, v28
	v_cndmask_b32_e64 v4, v15, 0, vcc
	v_xor_b32_e32 v64, v4, v27
	v_lshl_add_u32 v4, v18, 4, v12
	s_getpc_b64 s[4:5]
	s_add_u32 s4, s4, _ZN7rocprim17ROCPRIM_400000_NS16block_radix_sortI12hip_bfloat16Lj256ELj2ElLj1ELj1ELj8ELNS0_26block_radix_rank_algorithmE2ELNS0_18block_padding_hintE2ELNS0_4arch9wavefront6targetE1EE19radix_bits_per_passE@rel32@lo+4
	s_addc_u32 s5, s5, _ZN7rocprim17ROCPRIM_400000_NS16block_radix_sortI12hip_bfloat16Lj256ELj2ElLj1ELj1ELj8ELNS0_26block_radix_rank_algorithmE2ELNS0_18block_padding_hintE2ELNS0_4arch9wavefront6targetE1EE19radix_bits_per_passE@rel32@hi+12
	v_add_u32_e32 v31, 16, v4
	v_add_u32_e32 v32, 20, v4
	;; [unrolled: 1-line block ×4, first 2 shown]
	v_and_b32_e32 v4, 15, v26
	s_load_dword s58, s[4:5], 0x0
	v_cmp_eq_u32_e32 vcc, 0, v4
	v_cmp_lt_u32_e64 s[4:5], 1, v4
	v_cmp_lt_u32_e64 s[6:7], 3, v4
	;; [unrolled: 1-line block ×3, first 2 shown]
	v_and_b32_e32 v4, 16, v26
	v_cmp_eq_u32_e64 s[10:11], 0, v4
	v_and_b32_e32 v4, 0x3c0, v18
	v_min_u32_e32 v4, 0xc0, v4
	v_or_b32_e32 v4, 63, v4
	v_cmp_eq_u32_e64 s[14:15], v18, v4
	v_subrev_co_u32_e64 v4, s[20:21], 1, v26
	v_and_b32_e32 v5, 64, v26
	v_cmp_lt_i32_e64 s[22:23], v4, v5
	v_cndmask_b32_e64 v4, v4, v26, s[22:23]
	v_lshlrev_b32_e32 v36, 2, v4
	v_lshrrev_b32_e32 v4, 4, v18
	v_and_b32_e32 v4, 60, v4
	v_add_u32_e32 v37, v12, v4
	v_and_b32_e32 v4, 3, v26
	v_cmp_eq_u32_e64 s[24:25], 0, v4
	v_cmp_lt_u32_e64 s[26:27], 1, v4
	v_lshlrev_b32_e32 v4, 1, v18
	s_movk_i32 s28, 0x780
	v_and_or_b32 v4, v4, s28, v25
	v_lshl_add_u32 v48, v4, 1, v12
	v_mul_u32_u24_e32 v4, 6, v4
	v_add_u32_e32 v50, v48, v4
	v_lshrrev_b32_e32 v35, 6, v14
	v_cmp_lt_u32_e64 s[12:13], 31, v26
	v_cmp_gt_u32_e64 s[16:17], 4, v18
	v_cmp_lt_u32_e64 s[18:19], 63, v18
	v_cmp_eq_u32_e64 s[22:23], 0, v18
	v_mov_b32_e32 v5, 0
	v_lshl_add_u32 v38, v18, 2, v12
	v_add_u32_e32 v39, -4, v37
	v_add_u32_e32 v49, 0x80, v48
	v_add_u32_e32 v51, 0x200, v50
	v_sub_u32_e32 v52, v11, v10
	s_mov_b64 s[44:45], 0
	s_movk_i32 s59, 0x8000
	s_waitcnt lgkmcnt(0)
	s_barrier
	s_branch .LBB1950_152
.LBB1950_151:                           ;   in Loop: Header=BB1950_152 Depth=1
	s_or_b64 exec, exec, s[40:41]
	s_and_b64 s[28:29], exec, s[56:57]
	s_or_b64 s[44:45], s[28:29], s[44:45]
	s_andn2_b64 exec, exec, s[44:45]
	s_cbranch_execz .LBB1950_170
.LBB1950_152:                           ; =>This Inner Loop Header: Depth=1
	v_mov_b32_e32 v54, v55
	v_min_u32_e32 v4, s58, v52
	v_mov_b32_e32 v8, v23
	v_lshlrev_b32_e64 v4, v4, -1
	v_cmp_ne_u16_e64 s[28:29], s59, v54
	v_mov_b32_e32 v9, v24
	v_not_b32_e32 v24, v4
	v_cndmask_b32_e64 v4, v15, v54, s[28:29]
	v_lshrrev_b32_sdwa v4, v10, v4 dst_sel:DWORD dst_unused:UNUSED_PAD src0_sel:DWORD src1_sel:WORD_0
	v_and_b32_e32 v23, v4, v24
	v_lshlrev_b32_e32 v4, 2, v23
	v_add_lshl_u32 v4, v4, v35, 2
	v_mov_b32_e32 v19, v21
	v_add_co_u32_e64 v4, s[28:29], v12, v4
	v_mov_b32_e32 v20, v22
	v_add_co_u32_e64 v4, s[28:29], 16, v4
	v_and_b32_e32 v21, 1, v23
	v_add_co_u32_e64 v22, s[28:29], -1, v21
	v_addc_co_u32_e64 v25, s[28:29], 0, -1, s[28:29]
	v_cmp_ne_u32_e64 s[28:29], 0, v21
	v_xor_b32_e32 v21, s29, v25
	v_xor_b32_e32 v22, s28, v22
	v_and_b32_e32 v25, exec_hi, v21
	v_and_b32_e32 v26, exec_lo, v22
	v_lshlrev_b32_e32 v22, 30, v23
	v_mov_b32_e32 v21, v5
	v_cmp_gt_i64_e64 s[28:29], 0, v[21:22]
	v_not_b32_e32 v21, v22
	v_ashrrev_i32_e32 v21, 31, v21
	v_xor_b32_e32 v22, s29, v21
	v_xor_b32_e32 v21, s28, v21
	v_and_b32_e32 v25, v25, v22
	v_and_b32_e32 v26, v26, v21
	v_lshlrev_b32_e32 v22, 29, v23
	v_mov_b32_e32 v21, v5
	v_cmp_gt_i64_e64 s[28:29], 0, v[21:22]
	v_not_b32_e32 v21, v22
	v_ashrrev_i32_e32 v21, 31, v21
	v_xor_b32_e32 v22, s29, v21
	v_xor_b32_e32 v21, s28, v21
	v_and_b32_e32 v25, v25, v22
	v_and_b32_e32 v26, v26, v21
	;; [unrolled: 9-line block ×7, first 2 shown]
	v_mbcnt_lo_u32_b32 v23, v21, 0
	v_mbcnt_hi_u32_b32 v23, v22, v23
	v_cmp_ne_u64_e64 s[28:29], 0, v[21:22]
	v_cmp_eq_u32_e64 s[40:41], 0, v23
	v_mov_b32_e32 v53, v64
	s_and_b64 s[40:41], s[28:29], s[40:41]
	ds_write_b32 v31, v5
	ds_write_b32 v32, v5
	;; [unrolled: 1-line block ×4, first 2 shown]
	s_waitcnt lgkmcnt(0)
	s_barrier
	; wave barrier
	s_and_saveexec_b64 s[28:29], s[40:41]
; %bb.153:                              ;   in Loop: Header=BB1950_152 Depth=1
	v_bcnt_u32_b32 v21, v21, 0
	v_bcnt_u32_b32 v21, v22, v21
	ds_write_b32 v4, v21
; %bb.154:                              ;   in Loop: Header=BB1950_152 Depth=1
	s_or_b64 exec, exec, s[28:29]
	v_cmp_ne_u16_e64 s[28:29], s59, v53
	v_cndmask_b32_e64 v21, v15, v53, s[28:29]
	v_lshrrev_b32_sdwa v21, v10, v21 dst_sel:DWORD dst_unused:UNUSED_PAD src0_sel:DWORD src1_sel:WORD_0
	v_and_b32_e32 v26, v21, v24
	v_lshl_add_u32 v21, v26, 2, v35
	v_lshl_add_u32 v21, v21, 2, v12
	; wave barrier
	v_add_u32_e32 v25, 16, v21
	ds_read_b32 v24, v21 offset:16
	v_and_b32_e32 v21, 1, v26
	v_add_co_u32_e64 v22, s[28:29], -1, v21
	v_addc_co_u32_e64 v27, s[28:29], 0, -1, s[28:29]
	v_cmp_ne_u32_e64 s[28:29], 0, v21
	v_xor_b32_e32 v21, s29, v27
	v_xor_b32_e32 v22, s28, v22
	v_and_b32_e32 v27, exec_hi, v21
	v_and_b32_e32 v28, exec_lo, v22
	v_lshlrev_b32_e32 v22, 30, v26
	v_mov_b32_e32 v21, v5
	v_cmp_gt_i64_e64 s[28:29], 0, v[21:22]
	v_not_b32_e32 v21, v22
	v_ashrrev_i32_e32 v21, 31, v21
	v_xor_b32_e32 v22, s29, v21
	v_xor_b32_e32 v21, s28, v21
	v_and_b32_e32 v27, v27, v22
	v_and_b32_e32 v28, v28, v21
	v_lshlrev_b32_e32 v22, 29, v26
	v_mov_b32_e32 v21, v5
	v_cmp_gt_i64_e64 s[28:29], 0, v[21:22]
	v_not_b32_e32 v21, v22
	v_ashrrev_i32_e32 v21, 31, v21
	v_xor_b32_e32 v22, s29, v21
	v_xor_b32_e32 v21, s28, v21
	v_and_b32_e32 v27, v27, v22
	v_and_b32_e32 v28, v28, v21
	;; [unrolled: 9-line block ×7, first 2 shown]
	v_mbcnt_lo_u32_b32 v26, v21, 0
	v_mbcnt_hi_u32_b32 v26, v22, v26
	v_cmp_ne_u64_e64 s[28:29], 0, v[21:22]
	v_cmp_eq_u32_e64 s[40:41], 0, v26
	s_and_b64 s[40:41], s[28:29], s[40:41]
	; wave barrier
	s_and_saveexec_b64 s[28:29], s[40:41]
	s_cbranch_execz .LBB1950_156
; %bb.155:                              ;   in Loop: Header=BB1950_152 Depth=1
	v_bcnt_u32_b32 v21, v21, 0
	v_bcnt_u32_b32 v21, v22, v21
	s_waitcnt lgkmcnt(0)
	v_add_u32_e32 v21, v24, v21
	ds_write_b32 v25, v21
.LBB1950_156:                           ;   in Loop: Header=BB1950_152 Depth=1
	s_or_b64 exec, exec, s[28:29]
	; wave barrier
	s_waitcnt lgkmcnt(0)
	s_barrier
	ds_read_b32 v27, v31
	ds_read_b32 v22, v32
	;; [unrolled: 1-line block ×4, first 2 shown]
	s_waitcnt lgkmcnt(2)
	v_add_u32_e32 v29, v22, v27
	s_waitcnt lgkmcnt(0)
	v_add3_u32 v28, v29, v21, v28
	s_nop 1
	v_mov_b32_dpp v29, v28 row_shr:1 row_mask:0xf bank_mask:0xf
	v_cndmask_b32_e64 v29, v29, 0, vcc
	v_add_u32_e32 v28, v29, v28
	s_nop 1
	v_mov_b32_dpp v29, v28 row_shr:2 row_mask:0xf bank_mask:0xf
	v_cndmask_b32_e64 v29, 0, v29, s[4:5]
	v_add_u32_e32 v28, v28, v29
	s_nop 1
	v_mov_b32_dpp v29, v28 row_shr:4 row_mask:0xf bank_mask:0xf
	v_cndmask_b32_e64 v29, 0, v29, s[6:7]
	;; [unrolled: 4-line block ×3, first 2 shown]
	v_add_u32_e32 v28, v28, v29
	s_nop 1
	v_mov_b32_dpp v29, v28 row_bcast:15 row_mask:0xf bank_mask:0xf
	v_cndmask_b32_e64 v29, v29, 0, s[10:11]
	v_add_u32_e32 v28, v28, v29
	s_nop 1
	v_mov_b32_dpp v29, v28 row_bcast:31 row_mask:0xf bank_mask:0xf
	v_cndmask_b32_e64 v29, 0, v29, s[12:13]
	v_add_u32_e32 v28, v28, v29
	s_and_saveexec_b64 s[28:29], s[14:15]
; %bb.157:                              ;   in Loop: Header=BB1950_152 Depth=1
	ds_write_b32 v37, v28
; %bb.158:                              ;   in Loop: Header=BB1950_152 Depth=1
	s_or_b64 exec, exec, s[28:29]
	s_waitcnt lgkmcnt(0)
	s_barrier
	s_and_saveexec_b64 s[28:29], s[16:17]
	s_cbranch_execz .LBB1950_160
; %bb.159:                              ;   in Loop: Header=BB1950_152 Depth=1
	ds_read_b32 v29, v38
	s_waitcnt lgkmcnt(0)
	s_nop 0
	v_mov_b32_dpp v30, v29 row_shr:1 row_mask:0xf bank_mask:0xf
	v_cndmask_b32_e64 v30, v30, 0, s[24:25]
	v_add_u32_e32 v29, v30, v29
	s_nop 1
	v_mov_b32_dpp v30, v29 row_shr:2 row_mask:0xf bank_mask:0xf
	v_cndmask_b32_e64 v30, 0, v30, s[26:27]
	v_add_u32_e32 v29, v29, v30
	ds_write_b32 v38, v29
.LBB1950_160:                           ;   in Loop: Header=BB1950_152 Depth=1
	s_or_b64 exec, exec, s[28:29]
	v_mov_b32_e32 v29, 0
	s_waitcnt lgkmcnt(0)
	s_barrier
	s_and_saveexec_b64 s[28:29], s[18:19]
; %bb.161:                              ;   in Loop: Header=BB1950_152 Depth=1
	ds_read_b32 v29, v39
; %bb.162:                              ;   in Loop: Header=BB1950_152 Depth=1
	s_or_b64 exec, exec, s[28:29]
	s_waitcnt lgkmcnt(0)
	v_add_u32_e32 v28, v29, v28
	ds_bpermute_b32 v28, v36, v28
	v_add_u32_e32 v10, 8, v10
	v_cmp_lt_u32_e64 s[28:29], v10, v11
	s_mov_b64 s[56:57], -1
                                        ; implicit-def: $vgpr55
                                        ; implicit-def: $vgpr64
	s_waitcnt lgkmcnt(0)
	v_cndmask_b32_e64 v28, v28, v29, s[20:21]
	v_cndmask_b32_e64 v28, v28, 0, s[22:23]
	v_add_u32_e32 v27, v28, v27
	v_add_u32_e32 v22, v27, v22
	;; [unrolled: 1-line block ×3, first 2 shown]
	ds_write_b32 v31, v28
	ds_write_b32 v32, v27
	;; [unrolled: 1-line block ×4, first 2 shown]
	s_waitcnt lgkmcnt(0)
	s_barrier
	ds_read_b32 v4, v4
	ds_read_b32 v21, v25
	s_waitcnt lgkmcnt(0)
	v_add_u32_e32 v4, v4, v23
	v_add3_u32 v25, v26, v24, v21
	v_lshlrev_b64 v[21:22], 1, v[4:5]
	v_mov_b32_e32 v26, v5
	v_add_co_u32_e64 v27, s[40:41], v12, v21
	v_addc_co_u32_e64 v28, s[40:41], v13, v22, s[40:41]
	v_lshlrev_b64 v[21:22], 1, v[25:26]
                                        ; implicit-def: $vgpr23_vgpr24
	v_add_co_u32_e64 v29, s[40:41], v12, v21
	v_addc_co_u32_e64 v30, s[40:41], v13, v22, s[40:41]
                                        ; implicit-def: $vgpr21_vgpr22
	s_and_saveexec_b64 s[40:41], s[28:29]
	s_cbranch_execz .LBB1950_151
; %bb.163:                              ;   in Loop: Header=BB1950_152 Depth=1
	v_mad_u64_u32 v[21:22], s[28:29], v4, 6, v[27:28]
	v_mad_u64_u32 v[22:23], s[28:29], v25, 6, v[29:30]
	s_barrier
	ds_write_b16 v27, v54
	ds_write_b16 v29, v53
	s_waitcnt lgkmcnt(0)
	s_barrier
	ds_read_u16 v55, v48
	ds_read_u16 v64, v49
	s_waitcnt lgkmcnt(0)
	s_barrier
	ds_write_b64 v21, v[19:20]
	ds_write_b64 v22, v[8:9]
	s_waitcnt lgkmcnt(0)
	s_barrier
	ds_read_b64 v[21:22], v50
	ds_read_b64 v[23:24], v51
	v_add_u32_e32 v52, -8, v52
	s_xor_b64 s[56:57], exec, -1
	s_waitcnt lgkmcnt(0)
	s_barrier
	s_branch .LBB1950_151
.LBB1950_164:
	flat_load_dwordx2 v[48:49], v[4:5]
	v_mov_b32_e32 v50, v22
	v_mov_b32_e32 v51, v22
	;; [unrolled: 1-line block ×6, first 2 shown]
	s_waitcnt vmcnt(0) lgkmcnt(0)
	v_mov_b32_e32 v22, v48
	v_mov_b32_e32 v23, v49
	v_mov_b32_e32 v24, v50
	v_mov_b32_e32 v25, v51
	v_mov_b32_e32 v26, v52
	v_mov_b32_e32 v27, v53
	v_mov_b32_e32 v28, v54
	v_mov_b32_e32 v29, v55
	s_or_b64 exec, exec, s[14:15]
	s_and_saveexec_b64 s[10:11], s[6:7]
	s_cbranch_execz .LBB1950_91
.LBB1950_165:
	flat_load_dwordx2 v[24:25], v[4:5] offset:512
	s_or_b64 exec, exec, s[10:11]
	s_and_saveexec_b64 s[6:7], s[4:5]
	s_cbranch_execz .LBB1950_92
.LBB1950_166:
	flat_load_dwordx2 v[26:27], v[4:5] offset:1024
	s_or_b64 exec, exec, s[6:7]
	s_and_saveexec_b64 s[4:5], vcc
	s_cbranch_execnz .LBB1950_93
	s_branch .LBB1950_94
.LBB1950_167:
	flat_store_dwordx2 v[0:1], v[12:13]
	s_or_b64 exec, exec, s[14:15]
	s_and_saveexec_b64 s[14:15], s[4:5]
	s_cbranch_execz .LBB1950_136
.LBB1950_168:
	flat_store_dwordx2 v[0:1], v[14:15] offset:2048
	s_or_b64 exec, exec, s[14:15]
	s_and_saveexec_b64 s[4:5], s[6:7]
	s_cbranch_execz .LBB1950_137
.LBB1950_169:
	v_add_co_u32_e32 v2, vcc, 0x1000, v0
	v_addc_co_u32_e32 v3, vcc, 0, v1, vcc
	flat_store_dwordx2 v[2:3], v[8:9]
	s_or_b64 exec, exec, s[4:5]
	s_and_saveexec_b64 s[4:5], s[10:11]
	s_cbranch_execnz .LBB1950_138
	s_branch .LBB1950_139
.LBB1950_170:
	s_or_b64 exec, exec, s[44:45]
	v_mad_u64_u32 v[10:11], s[4:5], v4, 6, v[27:28]
	v_mad_u64_u32 v[21:22], s[4:5], v25, 6, v[29:30]
	v_lshl_add_u32 v13, v18, 1, v12
	v_mul_u32_u24_e32 v4, 6, v18
	v_add_u32_e32 v4, v13, v4
	s_barrier
	ds_write_b16 v27, v54
	ds_write_b16 v29, v53
	s_waitcnt lgkmcnt(0)
	s_barrier
	ds_read_u16 v12, v13
	ds_read_u16 v5, v13 offset:512
	s_waitcnt lgkmcnt(0)
	s_barrier
	ds_write_b64 v10, v[19:20]
	ds_write_b64 v21, v[8:9]
	s_waitcnt lgkmcnt(0)
	s_barrier
	ds_read2st64_b64 v[8:11], v4 offset1:4
	v_add_co_u32_e32 v4, vcc, v2, v16
	v_mov_b32_e32 v15, 0
	v_addc_co_u32_e32 v13, vcc, v3, v17, vcc
	v_lshlrev_b64 v[2:3], 1, v[14:15]
	s_waitcnt lgkmcnt(0)
	v_add_co_u32_e32 v2, vcc, v4, v2
	v_addc_co_u32_e32 v3, vcc, v13, v3, vcc
	v_cmp_lt_u32_e32 vcc, v14, v71
	s_barrier
	s_and_saveexec_b64 s[6:7], vcc
	s_cbranch_execz .LBB1950_172
; %bb.171:
	v_mov_b32_e32 v4, 0x7fff
	v_cmp_gt_i16_e64 s[4:5], 0, v12
	v_cndmask_b32_e64 v4, v4, 0, s[4:5]
	v_xor_b32_e32 v4, v4, v12
	flat_store_short v[2:3], v4
.LBB1950_172:
	s_or_b64 exec, exec, s[6:7]
	v_add_u32_e32 v4, 0x100, v14
	v_cmp_lt_u32_e64 s[4:5], v4, v71
	s_and_saveexec_b64 s[8:9], s[4:5]
	s_cbranch_execz .LBB1950_174
; %bb.173:
	v_mov_b32_e32 v4, 0x7fff
	v_cmp_gt_i16_e64 s[6:7], 0, v5
	v_cndmask_b32_e64 v4, v4, 0, s[6:7]
	v_xor_b32_e32 v4, v4, v5
	flat_store_short v[2:3], v4 offset:512
.LBB1950_174:
	s_or_b64 exec, exec, s[8:9]
	v_add_co_u32_e64 v2, s[6:7], v6, v0
	v_addc_co_u32_e64 v3, s[6:7], v7, v1, s[6:7]
	v_lshlrev_b64 v[0:1], 3, v[14:15]
	v_add_co_u32_e64 v0, s[6:7], v2, v0
	v_addc_co_u32_e64 v1, s[6:7], v3, v1, s[6:7]
	s_and_saveexec_b64 s[6:7], vcc
	s_cbranch_execz .LBB1950_176
; %bb.175:
	flat_store_dwordx2 v[0:1], v[8:9]
.LBB1950_176:
	s_or_b64 exec, exec, s[6:7]
	s_and_saveexec_b64 s[6:7], s[4:5]
	s_cbranch_execz .LBB1950_178
; %bb.177:
	flat_store_dwordx2 v[0:1], v[10:11] offset:2048
.LBB1950_178:
	s_or_b64 exec, exec, s[6:7]
                                        ; implicit-def: $vgpr18
                                        ; implicit-def: $vgpr14_vgpr15
                                        ; implicit-def: $vgpr8_vgpr9
                                        ; implicit-def: $vgpr16_vgpr17
                                        ; implicit-def: $vgpr71
                                        ; implicit-def: $vgpr0
                                        ; implicit-def: $vgpr1
                                        ; implicit-def: $vgpr2
                                        ; implicit-def: $vgpr3
                                        ; implicit-def: $vgpr4
                                        ; implicit-def: $vgpr5
                                        ; implicit-def: $vgpr6
                                        ; implicit-def: $vgpr7
                                        ; implicit-def: $vgpr10
                                        ; implicit-def: $vgpr11
                                        ; implicit-def: $vgpr12
                                        ; implicit-def: $vgpr13
                                        ; implicit-def: $vgpr19
.LBB1950_179:
	s_andn2_saveexec_b64 s[4:5], s[42:43]
	s_cbranch_execz .LBB1950_199
; %bb.180:
	v_mbcnt_hi_u32_b32 v31, -1, v19
	v_bfi_b32 v15, 63, v31, v14
	v_and_b32_e32 v32, 63, v31
	v_and_b32_e32 v21, 0xffffffc0, v14
	v_cmp_lt_u32_e32 vcc, v15, v71
	v_mov_b32_e32 v23, -1
	s_and_saveexec_b64 s[6:7], vcc
	s_cbranch_execz .LBB1950_182
; %bb.181:
	v_add_co_u32_e64 v0, s[4:5], v0, v16
	v_addc_co_u32_e64 v1, s[4:5], v1, v17, s[4:5]
	v_lshlrev_b32_e32 v15, 1, v32
	v_mov_b32_e32 v22, 0
	v_add_co_u32_e64 v15, s[4:5], v0, v15
	v_addc_co_u32_e64 v19, s[4:5], 0, v1, s[4:5]
	v_lshlrev_b64 v[0:1], 1, v[21:22]
	v_add_co_u32_e64 v0, s[4:5], v15, v0
	v_addc_co_u32_e64 v1, s[4:5], v19, v1, s[4:5]
	flat_load_ushort v23, v[0:1]
.LBB1950_182:
	s_or_b64 exec, exec, s[6:7]
	v_lshlrev_b64 v[0:1], 3, v[8:9]
                                        ; implicit-def: $vgpr19_vgpr20
	s_and_saveexec_b64 s[4:5], vcc
	s_cbranch_execz .LBB1950_184
; %bb.183:
	v_add_co_u32_e32 v4, vcc, v4, v0
	v_addc_co_u32_e32 v5, vcc, v5, v1, vcc
	v_lshlrev_b32_e32 v8, 3, v32
	v_mov_b32_e32 v22, 0
	v_add_co_u32_e32 v8, vcc, v4, v8
	v_addc_co_u32_e32 v9, vcc, 0, v5, vcc
	v_lshlrev_b64 v[4:5], 3, v[21:22]
	v_add_co_u32_e32 v4, vcc, v8, v4
	v_addc_co_u32_e32 v5, vcc, v9, v5, vcc
	flat_load_dwordx2 v[19:20], v[4:5]
.LBB1950_184:
	s_or_b64 exec, exec, s[4:5]
	v_mov_b32_e32 v15, 0x7fff
	s_waitcnt vmcnt(0) lgkmcnt(0)
	v_cmp_gt_i16_e32 vcc, 0, v23
	v_cndmask_b32_e64 v4, v15, 0, vcc
	v_lshl_add_u32 v8, v18, 4, v12
	v_xor_b32_e32 v36, v4, v23
	s_getpc_b64 s[4:5]
	s_add_u32 s4, s4, _ZN7rocprim17ROCPRIM_400000_NS16block_radix_sortI12hip_bfloat16Lj256ELj1ElLj1ELj1ELj8ELNS0_26block_radix_rank_algorithmE2ELNS0_18block_padding_hintE2ELNS0_4arch9wavefront6targetE1EE19radix_bits_per_passE@rel32@lo+4
	s_addc_u32 s5, s5, _ZN7rocprim17ROCPRIM_400000_NS16block_radix_sortI12hip_bfloat16Lj256ELj1ElLj1ELj1ELj8ELNS0_26block_radix_rank_algorithmE2ELNS0_18block_padding_hintE2ELNS0_4arch9wavefront6targetE1EE19radix_bits_per_passE@rel32@hi+12
	v_add_u32_e32 v23, 16, v8
	v_add_u32_e32 v24, 20, v8
	;; [unrolled: 1-line block ×4, first 2 shown]
	v_and_b32_e32 v8, 15, v31
	s_load_dword s56, s[4:5], 0x0
	v_cmp_eq_u32_e32 vcc, 0, v8
	v_cmp_lt_u32_e64 s[4:5], 1, v8
	v_cmp_lt_u32_e64 s[6:7], 3, v8
	;; [unrolled: 1-line block ×3, first 2 shown]
	v_and_b32_e32 v8, 16, v31
	v_cmp_eq_u32_e64 s[10:11], 0, v8
	v_and_b32_e32 v8, 0x3c0, v18
	v_min_u32_e32 v9, 0xc0, v8
	v_or_b32_e32 v9, 63, v9
	v_cmp_eq_u32_e64 s[14:15], v18, v9
	v_subrev_co_u32_e64 v9, s[20:21], 1, v31
	v_and_b32_e32 v21, 64, v31
	v_cmp_lt_i32_e64 s[22:23], v9, v21
	v_lshlrev_b32_e32 v4, 2, v18
	v_cndmask_b32_e64 v9, v9, v31, s[22:23]
	v_lshlrev_b32_e32 v29, 2, v9
	v_lshrrev_b32_e32 v9, 4, v18
	v_add_co_u32_e64 v28, s[24:25], v12, v4
	v_and_b32_e32 v4, 3, v31
	v_and_b32_e32 v9, 60, v9
	v_cmp_eq_u32_e64 s[24:25], 0, v4
	v_cmp_lt_u32_e64 s[26:27], 1, v4
	v_or_b32_e32 v4, v32, v8
	v_add_u32_e32 v30, v12, v9
	v_lshl_add_u32 v32, v4, 1, v12
	v_mul_u32_u24_e32 v4, 6, v4
	v_mov_b32_e32 v5, 0
	v_lshrrev_b32_e32 v27, 6, v14
	v_cmp_lt_u32_e64 s[12:13], 31, v31
	v_cmp_gt_u32_e64 s[16:17], 4, v18
	v_cmp_lt_u32_e64 s[18:19], 63, v18
	v_cmp_eq_u32_e64 s[22:23], 0, v18
	v_add_u32_e32 v31, -4, v30
	v_add_u32_e32 v33, v32, v4
	v_sub_u32_e32 v34, v11, v10
	s_mov_b64 s[42:43], 0
	s_movk_i32 s57, 0x8000
	s_waitcnt lgkmcnt(0)
	s_barrier
	s_branch .LBB1950_186
.LBB1950_185:                           ;   in Loop: Header=BB1950_186 Depth=1
	s_or_b64 exec, exec, s[40:41]
	s_and_b64 s[28:29], exec, s[44:45]
	s_or_b64 s[42:43], s[28:29], s[42:43]
	s_andn2_b64 exec, exec, s[42:43]
	s_cbranch_execz .LBB1950_196
.LBB1950_186:                           ; =>This Inner Loop Header: Depth=1
	v_mov_b32_e32 v35, v36
	v_mov_b32_e32 v8, v19
	v_cmp_ne_u16_e64 s[28:29], s57, v35
	v_mov_b32_e32 v9, v20
	v_cndmask_b32_e64 v19, v15, v35, s[28:29]
	v_min_u32_e32 v4, s56, v34
	v_lshrrev_b32_sdwa v19, v10, v19 dst_sel:DWORD dst_unused:UNUSED_PAD src0_sel:DWORD src1_sel:WORD_0
	v_bfe_u32 v21, v19, 0, v4
	v_lshlrev_b32_e32 v4, 2, v21
	v_add_lshl_u32 v4, v4, v27, 2
	v_add_co_u32_e64 v4, s[28:29], v12, v4
	v_add_co_u32_e64 v4, s[28:29], 16, v4
	v_and_b32_e32 v19, 1, v21
	v_add_co_u32_e64 v20, s[28:29], -1, v19
	v_addc_co_u32_e64 v22, s[28:29], 0, -1, s[28:29]
	v_cmp_ne_u32_e64 s[28:29], 0, v19
	v_xor_b32_e32 v19, s29, v22
	v_xor_b32_e32 v20, s28, v20
	v_and_b32_e32 v22, exec_hi, v19
	v_and_b32_e32 v36, exec_lo, v20
	v_lshlrev_b32_e32 v20, 30, v21
	v_mov_b32_e32 v19, v5
	v_cmp_gt_i64_e64 s[28:29], 0, v[19:20]
	v_not_b32_e32 v19, v20
	v_ashrrev_i32_e32 v19, 31, v19
	v_xor_b32_e32 v20, s29, v19
	v_xor_b32_e32 v19, s28, v19
	v_and_b32_e32 v22, v22, v20
	v_and_b32_e32 v36, v36, v19
	v_lshlrev_b32_e32 v20, 29, v21
	v_mov_b32_e32 v19, v5
	v_cmp_gt_i64_e64 s[28:29], 0, v[19:20]
	v_not_b32_e32 v19, v20
	v_ashrrev_i32_e32 v19, 31, v19
	v_xor_b32_e32 v20, s29, v19
	v_xor_b32_e32 v19, s28, v19
	v_and_b32_e32 v22, v22, v20
	v_and_b32_e32 v36, v36, v19
	;; [unrolled: 9-line block ×7, first 2 shown]
	v_mbcnt_lo_u32_b32 v21, v19, 0
	v_mbcnt_hi_u32_b32 v21, v20, v21
	v_cmp_ne_u64_e64 s[28:29], 0, v[19:20]
	v_cmp_eq_u32_e64 s[40:41], 0, v21
	s_and_b64 s[40:41], s[28:29], s[40:41]
	ds_write_b32 v23, v5
	ds_write_b32 v24, v5
	;; [unrolled: 1-line block ×4, first 2 shown]
	s_waitcnt lgkmcnt(0)
	s_barrier
	; wave barrier
	s_and_saveexec_b64 s[28:29], s[40:41]
; %bb.187:                              ;   in Loop: Header=BB1950_186 Depth=1
	v_bcnt_u32_b32 v19, v19, 0
	v_bcnt_u32_b32 v19, v20, v19
	ds_write_b32 v4, v19
; %bb.188:                              ;   in Loop: Header=BB1950_186 Depth=1
	s_or_b64 exec, exec, s[28:29]
	; wave barrier
	s_waitcnt lgkmcnt(0)
	s_barrier
	ds_read_b32 v22, v23
	ds_read_b32 v20, v24
	;; [unrolled: 1-line block ×4, first 2 shown]
	s_waitcnt lgkmcnt(2)
	v_add_u32_e32 v37, v20, v22
	s_waitcnt lgkmcnt(0)
	v_add3_u32 v36, v37, v19, v36
	s_nop 1
	v_mov_b32_dpp v37, v36 row_shr:1 row_mask:0xf bank_mask:0xf
	v_cndmask_b32_e64 v37, v37, 0, vcc
	v_add_u32_e32 v36, v37, v36
	s_nop 1
	v_mov_b32_dpp v37, v36 row_shr:2 row_mask:0xf bank_mask:0xf
	v_cndmask_b32_e64 v37, 0, v37, s[4:5]
	v_add_u32_e32 v36, v36, v37
	s_nop 1
	v_mov_b32_dpp v37, v36 row_shr:4 row_mask:0xf bank_mask:0xf
	v_cndmask_b32_e64 v37, 0, v37, s[6:7]
	;; [unrolled: 4-line block ×3, first 2 shown]
	v_add_u32_e32 v36, v36, v37
	s_nop 1
	v_mov_b32_dpp v37, v36 row_bcast:15 row_mask:0xf bank_mask:0xf
	v_cndmask_b32_e64 v37, v37, 0, s[10:11]
	v_add_u32_e32 v36, v36, v37
	s_nop 1
	v_mov_b32_dpp v37, v36 row_bcast:31 row_mask:0xf bank_mask:0xf
	v_cndmask_b32_e64 v37, 0, v37, s[12:13]
	v_add_u32_e32 v36, v36, v37
	s_and_saveexec_b64 s[28:29], s[14:15]
; %bb.189:                              ;   in Loop: Header=BB1950_186 Depth=1
	ds_write_b32 v30, v36
; %bb.190:                              ;   in Loop: Header=BB1950_186 Depth=1
	s_or_b64 exec, exec, s[28:29]
	s_waitcnt lgkmcnt(0)
	s_barrier
	s_and_saveexec_b64 s[28:29], s[16:17]
	s_cbranch_execz .LBB1950_192
; %bb.191:                              ;   in Loop: Header=BB1950_186 Depth=1
	ds_read_b32 v37, v28
	s_waitcnt lgkmcnt(0)
	s_nop 0
	v_mov_b32_dpp v38, v37 row_shr:1 row_mask:0xf bank_mask:0xf
	v_cndmask_b32_e64 v38, v38, 0, s[24:25]
	v_add_u32_e32 v37, v38, v37
	s_nop 1
	v_mov_b32_dpp v38, v37 row_shr:2 row_mask:0xf bank_mask:0xf
	v_cndmask_b32_e64 v38, 0, v38, s[26:27]
	v_add_u32_e32 v37, v37, v38
	ds_write_b32 v28, v37
.LBB1950_192:                           ;   in Loop: Header=BB1950_186 Depth=1
	s_or_b64 exec, exec, s[28:29]
	v_mov_b32_e32 v37, 0
	s_waitcnt lgkmcnt(0)
	s_barrier
	s_and_saveexec_b64 s[28:29], s[18:19]
; %bb.193:                              ;   in Loop: Header=BB1950_186 Depth=1
	ds_read_b32 v37, v31
; %bb.194:                              ;   in Loop: Header=BB1950_186 Depth=1
	s_or_b64 exec, exec, s[28:29]
	s_waitcnt lgkmcnt(0)
	v_add_u32_e32 v36, v37, v36
	ds_bpermute_b32 v36, v29, v36
	v_add_u32_e32 v10, 8, v10
	v_cmp_lt_u32_e64 s[28:29], v10, v11
	s_mov_b64 s[44:45], -1
	s_waitcnt lgkmcnt(0)
	v_cndmask_b32_e64 v36, v36, v37, s[20:21]
	v_cndmask_b32_e64 v36, v36, 0, s[22:23]
	v_add_u32_e32 v22, v36, v22
	v_add_u32_e32 v20, v22, v20
	ds_write_b32 v23, v36
	ds_write_b32 v24, v22
	v_add_u32_e32 v19, v20, v19
	ds_write_b32 v25, v20
	ds_write_b32 v26, v19
	s_waitcnt lgkmcnt(0)
	s_barrier
	ds_read_b32 v4, v4
	s_waitcnt lgkmcnt(0)
                                        ; implicit-def: $vgpr36
	v_add_u32_e32 v4, v4, v21
	v_lshlrev_b64 v[19:20], 1, v[4:5]
	v_add_co_u32_e64 v21, s[40:41], v12, v19
	v_addc_co_u32_e64 v22, s[40:41], v13, v20, s[40:41]
                                        ; implicit-def: $vgpr19_vgpr20
	s_and_saveexec_b64 s[40:41], s[28:29]
	s_cbranch_execz .LBB1950_185
; %bb.195:                              ;   in Loop: Header=BB1950_186 Depth=1
	v_mad_u64_u32 v[19:20], s[28:29], v4, 6, v[21:22]
	s_barrier
	ds_write_b16 v21, v35
	s_waitcnt lgkmcnt(0)
	s_barrier
	ds_read_u16 v36, v32
	s_waitcnt lgkmcnt(0)
	s_barrier
	ds_write_b64 v19, v[8:9]
	s_waitcnt lgkmcnt(0)
	s_barrier
	ds_read_b64 v[19:20], v33
	v_add_u32_e32 v34, -8, v34
	s_xor_b64 s[44:45], exec, -1
	s_waitcnt lgkmcnt(0)
	s_barrier
	s_branch .LBB1950_185
.LBB1950_196:
	s_or_b64 exec, exec, s[42:43]
	v_lshlrev_b32_e32 v5, 1, v18
	v_sub_u32_e32 v11, v28, v5
	v_mad_u64_u32 v[4:5], s[4:5], v4, 6, v[21:22]
	s_barrier
	ds_write_b16 v21, v35
	s_waitcnt lgkmcnt(0)
	s_barrier
	ds_read_u16 v10, v11
	s_waitcnt lgkmcnt(0)
	s_barrier
	ds_write_b64 v4, v[8:9]
	v_mul_u32_u24_e32 v4, 6, v18
	v_add_u32_e32 v4, v11, v4
	s_waitcnt lgkmcnt(0)
	s_barrier
	ds_read_b64 v[4:5], v4
	v_cmp_lt_u32_e32 vcc, v14, v71
	s_waitcnt lgkmcnt(0)
	s_barrier
	s_and_saveexec_b64 s[4:5], vcc
	s_cbranch_execz .LBB1950_198
; %bb.197:
	v_add_co_u32_e32 v6, vcc, v6, v0
	v_mov_b32_e32 v15, 0
	v_addc_co_u32_e32 v7, vcc, v7, v1, vcc
	v_lshlrev_b64 v[0:1], 3, v[14:15]
	v_add_co_u32_e32 v0, vcc, v6, v0
	v_addc_co_u32_e32 v1, vcc, v7, v1, vcc
	v_mov_b32_e32 v6, 0x7fff
	v_cmp_gt_i16_e32 vcc, 0, v10
	v_cndmask_b32_e64 v6, v6, 0, vcc
	v_add_co_u32_e32 v7, vcc, v2, v16
	v_addc_co_u32_e32 v8, vcc, v3, v17, vcc
	v_lshlrev_b64 v[2:3], 1, v[14:15]
	v_xor_b32_e32 v6, v6, v10
	v_add_co_u32_e32 v2, vcc, v7, v2
	v_addc_co_u32_e32 v3, vcc, v8, v3, vcc
	flat_store_short v[2:3], v6
	flat_store_dwordx2 v[0:1], v[4:5]
.LBB1950_198:
	s_or_b64 exec, exec, s[4:5]
.LBB1950_199:
	s_or_b64 exec, exec, s[46:47]
	s_waitcnt vmcnt(0) lgkmcnt(0)
	s_setpc_b64 s[30:31]
.Lfunc_end1950:
	.size	_ZN7rocprim17ROCPRIM_400000_NS6detail40segmented_radix_sort_single_block_helperI12hip_bfloat16lLj256ELj8ELb1EE4sortIPKS3_PS3_PKlPlEEbT_T0_T1_T2_jjjjRNS4_12storage_typeE, .Lfunc_end1950-_ZN7rocprim17ROCPRIM_400000_NS6detail40segmented_radix_sort_single_block_helperI12hip_bfloat16lLj256ELj8ELb1EE4sortIPKS3_PS3_PKlPlEEbT_T0_T1_T2_jjjjRNS4_12storage_typeE
                                        ; -- End function
	.set .L_ZN7rocprim17ROCPRIM_400000_NS6detail40segmented_radix_sort_single_block_helperI12hip_bfloat16lLj256ELj8ELb1EE4sortIPKS3_PS3_PKlPlEEbT_T0_T1_T2_jjjjRNS4_12storage_typeE.num_vgpr, 195
	.set .L_ZN7rocprim17ROCPRIM_400000_NS6detail40segmented_radix_sort_single_block_helperI12hip_bfloat16lLj256ELj8ELb1EE4sortIPKS3_PS3_PKlPlEEbT_T0_T1_T2_jjjjRNS4_12storage_typeE.num_agpr, 0
	.set .L_ZN7rocprim17ROCPRIM_400000_NS6detail40segmented_radix_sort_single_block_helperI12hip_bfloat16lLj256ELj8ELb1EE4sortIPKS3_PS3_PKlPlEEbT_T0_T1_T2_jjjjRNS4_12storage_typeE.numbered_sgpr, 64
	.set .L_ZN7rocprim17ROCPRIM_400000_NS6detail40segmented_radix_sort_single_block_helperI12hip_bfloat16lLj256ELj8ELb1EE4sortIPKS3_PS3_PKlPlEEbT_T0_T1_T2_jjjjRNS4_12storage_typeE.num_named_barrier, 0
	.set .L_ZN7rocprim17ROCPRIM_400000_NS6detail40segmented_radix_sort_single_block_helperI12hip_bfloat16lLj256ELj8ELb1EE4sortIPKS3_PS3_PKlPlEEbT_T0_T1_T2_jjjjRNS4_12storage_typeE.private_seg_size, 0
	.set .L_ZN7rocprim17ROCPRIM_400000_NS6detail40segmented_radix_sort_single_block_helperI12hip_bfloat16lLj256ELj8ELb1EE4sortIPKS3_PS3_PKlPlEEbT_T0_T1_T2_jjjjRNS4_12storage_typeE.uses_vcc, 1
	.set .L_ZN7rocprim17ROCPRIM_400000_NS6detail40segmented_radix_sort_single_block_helperI12hip_bfloat16lLj256ELj8ELb1EE4sortIPKS3_PS3_PKlPlEEbT_T0_T1_T2_jjjjRNS4_12storage_typeE.uses_flat_scratch, 0
	.set .L_ZN7rocprim17ROCPRIM_400000_NS6detail40segmented_radix_sort_single_block_helperI12hip_bfloat16lLj256ELj8ELb1EE4sortIPKS3_PS3_PKlPlEEbT_T0_T1_T2_jjjjRNS4_12storage_typeE.has_dyn_sized_stack, 0
	.set .L_ZN7rocprim17ROCPRIM_400000_NS6detail40segmented_radix_sort_single_block_helperI12hip_bfloat16lLj256ELj8ELb1EE4sortIPKS3_PS3_PKlPlEEbT_T0_T1_T2_jjjjRNS4_12storage_typeE.has_recursion, 0
	.set .L_ZN7rocprim17ROCPRIM_400000_NS6detail40segmented_radix_sort_single_block_helperI12hip_bfloat16lLj256ELj8ELb1EE4sortIPKS3_PS3_PKlPlEEbT_T0_T1_T2_jjjjRNS4_12storage_typeE.has_indirect_call, 0
	.section	.AMDGPU.csdata,"",@progbits
; Function info:
; codeLenInByte = 16748
; TotalNumSgprs: 68
; NumVgprs: 195
; ScratchSize: 0
; MemoryBound: 1
	.section	.text._ZN7rocprim17ROCPRIM_400000_NS6detail17trampoline_kernelINS0_14default_configENS1_36segmented_radix_sort_config_selectorI12hip_bfloat16lEEZNS1_25segmented_radix_sort_implIS3_Lb1EPKS5_PS5_PKlPlN2at6native12_GLOBAL__N_18offset_tEEE10hipError_tPvRmT1_PNSt15iterator_traitsISL_E10value_typeET2_T3_PNSM_ISR_E10value_typeET4_jRbjT5_SX_jjP12ihipStream_tbEUlT_E_NS1_11comp_targetILNS1_3genE2ELNS1_11target_archE906ELNS1_3gpuE6ELNS1_3repE0EEENS1_30default_config_static_selectorELNS0_4arch9wavefront6targetE1EEEvSL_,"axG",@progbits,_ZN7rocprim17ROCPRIM_400000_NS6detail17trampoline_kernelINS0_14default_configENS1_36segmented_radix_sort_config_selectorI12hip_bfloat16lEEZNS1_25segmented_radix_sort_implIS3_Lb1EPKS5_PS5_PKlPlN2at6native12_GLOBAL__N_18offset_tEEE10hipError_tPvRmT1_PNSt15iterator_traitsISL_E10value_typeET2_T3_PNSM_ISR_E10value_typeET4_jRbjT5_SX_jjP12ihipStream_tbEUlT_E_NS1_11comp_targetILNS1_3genE2ELNS1_11target_archE906ELNS1_3gpuE6ELNS1_3repE0EEENS1_30default_config_static_selectorELNS0_4arch9wavefront6targetE1EEEvSL_,comdat
	.globl	_ZN7rocprim17ROCPRIM_400000_NS6detail17trampoline_kernelINS0_14default_configENS1_36segmented_radix_sort_config_selectorI12hip_bfloat16lEEZNS1_25segmented_radix_sort_implIS3_Lb1EPKS5_PS5_PKlPlN2at6native12_GLOBAL__N_18offset_tEEE10hipError_tPvRmT1_PNSt15iterator_traitsISL_E10value_typeET2_T3_PNSM_ISR_E10value_typeET4_jRbjT5_SX_jjP12ihipStream_tbEUlT_E_NS1_11comp_targetILNS1_3genE2ELNS1_11target_archE906ELNS1_3gpuE6ELNS1_3repE0EEENS1_30default_config_static_selectorELNS0_4arch9wavefront6targetE1EEEvSL_ ; -- Begin function _ZN7rocprim17ROCPRIM_400000_NS6detail17trampoline_kernelINS0_14default_configENS1_36segmented_radix_sort_config_selectorI12hip_bfloat16lEEZNS1_25segmented_radix_sort_implIS3_Lb1EPKS5_PS5_PKlPlN2at6native12_GLOBAL__N_18offset_tEEE10hipError_tPvRmT1_PNSt15iterator_traitsISL_E10value_typeET2_T3_PNSM_ISR_E10value_typeET4_jRbjT5_SX_jjP12ihipStream_tbEUlT_E_NS1_11comp_targetILNS1_3genE2ELNS1_11target_archE906ELNS1_3gpuE6ELNS1_3repE0EEENS1_30default_config_static_selectorELNS0_4arch9wavefront6targetE1EEEvSL_
	.p2align	8
	.type	_ZN7rocprim17ROCPRIM_400000_NS6detail17trampoline_kernelINS0_14default_configENS1_36segmented_radix_sort_config_selectorI12hip_bfloat16lEEZNS1_25segmented_radix_sort_implIS3_Lb1EPKS5_PS5_PKlPlN2at6native12_GLOBAL__N_18offset_tEEE10hipError_tPvRmT1_PNSt15iterator_traitsISL_E10value_typeET2_T3_PNSM_ISR_E10value_typeET4_jRbjT5_SX_jjP12ihipStream_tbEUlT_E_NS1_11comp_targetILNS1_3genE2ELNS1_11target_archE906ELNS1_3gpuE6ELNS1_3repE0EEENS1_30default_config_static_selectorELNS0_4arch9wavefront6targetE1EEEvSL_,@function
_ZN7rocprim17ROCPRIM_400000_NS6detail17trampoline_kernelINS0_14default_configENS1_36segmented_radix_sort_config_selectorI12hip_bfloat16lEEZNS1_25segmented_radix_sort_implIS3_Lb1EPKS5_PS5_PKlPlN2at6native12_GLOBAL__N_18offset_tEEE10hipError_tPvRmT1_PNSt15iterator_traitsISL_E10value_typeET2_T3_PNSM_ISR_E10value_typeET4_jRbjT5_SX_jjP12ihipStream_tbEUlT_E_NS1_11comp_targetILNS1_3genE2ELNS1_11target_archE906ELNS1_3gpuE6ELNS1_3repE0EEENS1_30default_config_static_selectorELNS0_4arch9wavefront6targetE1EEEvSL_: ; @_ZN7rocprim17ROCPRIM_400000_NS6detail17trampoline_kernelINS0_14default_configENS1_36segmented_radix_sort_config_selectorI12hip_bfloat16lEEZNS1_25segmented_radix_sort_implIS3_Lb1EPKS5_PS5_PKlPlN2at6native12_GLOBAL__N_18offset_tEEE10hipError_tPvRmT1_PNSt15iterator_traitsISL_E10value_typeET2_T3_PNSM_ISR_E10value_typeET4_jRbjT5_SX_jjP12ihipStream_tbEUlT_E_NS1_11comp_targetILNS1_3genE2ELNS1_11target_archE906ELNS1_3gpuE6ELNS1_3repE0EEENS1_30default_config_static_selectorELNS0_4arch9wavefront6targetE1EEEvSL_
; %bb.0:
	s_add_u32 s0, s0, s8
	s_mov_b64 s[34:35], s[4:5]
	s_load_dwordx2 s[4:5], s[4:5], 0x38
	s_nop 0
	s_load_dwordx4 s[8:11], s[34:35], 0x40
	s_mov_b32 s33, s7
	s_mov_b32 s7, 0
	s_addc_u32 s1, s1, 0
	s_lshl_b64 s[12:13], s[6:7], 2
	s_waitcnt lgkmcnt(0)
	s_add_u32 s4, s4, s12
	s_addc_u32 s5, s5, s13
	s_load_dword s4, s[4:5], 0x0
	s_mov_b32 s32, 0
	s_waitcnt lgkmcnt(0)
	s_add_i32 s80, s4, s9
	s_add_i32 s81, s4, s11
	s_mul_i32 s80, s80, s8
	s_mul_i32 s81, s81, s10
	s_cmp_le_u32 s81, s80
	s_cbranch_scc1 .LBB1951_670
; %bb.1:
	s_load_dword s4, s[34:35], 0x30
	s_load_dwordx4 s[72:75], s[34:35], 0x20
	s_load_dwordx4 s[76:79], s[34:35], 0x50
	s_load_dwordx8 s[64:71], s[34:35], 0x0
	s_waitcnt lgkmcnt(0)
	s_bitcmp1_b32 s4, 0
	s_cselect_b64 s[54:55], -1, 0
	s_sub_i32 s79, s81, s80
	s_cmpk_lt_u32 s79, 0x801
	s_mov_b64 s[4:5], -1
	s_cbranch_scc0 .LBB1951_7
; %bb.2:
	s_and_b32 s4, s76, 1
	v_cndmask_b32_e64 v3, 0, 1, s[54:55]
	v_cmp_ne_u32_e32 vcc, s4, v3
	s_mov_b64 s[4:5], -1
	v_lshlrev_b32_e32 v41, 20, v2
	v_lshlrev_b32_e32 v42, 10, v1
	s_cbranch_vccnz .LBB1951_4
; %bb.3:
	s_add_u32 s8, s34, 0x60
	s_mov_b64 s[4:5], src_shared_base
	s_addc_u32 s9, s35, 0
	s_getpc_b64 s[10:11]
	s_add_u32 s10, s10, _ZN7rocprim17ROCPRIM_400000_NS6detail40segmented_radix_sort_single_block_helperI12hip_bfloat16lLj256ELj8ELb1EE4sortIPKS3_PS3_PKlPlEEbT_T0_T1_T2_jjjjRNS4_12storage_typeE@rel32@lo+4
	s_addc_u32 s11, s11, _ZN7rocprim17ROCPRIM_400000_NS6detail40segmented_radix_sort_single_block_helperI12hip_bfloat16lLj256ELj8ELb1EE4sortIPKS3_PS3_PKlPlEEbT_T0_T1_T2_jjjjRNS4_12storage_typeE@rel32@hi+12
	v_or3_b32 v31, v0, v42, v41
	s_mov_b32 s12, s6
	s_mov_b32 s13, s33
	v_mov_b32_e32 v40, v0
	v_mov_b32_e32 v0, s64
	;; [unrolled: 1-line block ×17, first 2 shown]
	s_mov_b32 s36, s6
	s_swappc_b64 s[30:31], s[10:11]
	v_mov_b32_e32 v1, v43
	v_mov_b32_e32 v2, v44
	;; [unrolled: 1-line block ×3, first 2 shown]
	s_mov_b32 s6, s36
	s_mov_b64 s[4:5], 0
.LBB1951_4:
	s_andn2_b64 vcc, exec, s[4:5]
	s_cbranch_vccnz .LBB1951_6
; %bb.5:
	s_add_u32 s8, s34, 0x60
	s_mov_b64 s[4:5], src_shared_base
	s_addc_u32 s9, s35, 0
	s_getpc_b64 s[10:11]
	s_add_u32 s10, s10, _ZN7rocprim17ROCPRIM_400000_NS6detail40segmented_radix_sort_single_block_helperI12hip_bfloat16lLj256ELj8ELb1EE4sortIPKS3_PS3_PKlPlEEbT_T0_T1_T2_jjjjRNS4_12storage_typeE@rel32@lo+4
	s_addc_u32 s11, s11, _ZN7rocprim17ROCPRIM_400000_NS6detail40segmented_radix_sort_single_block_helperI12hip_bfloat16lLj256ELj8ELb1EE4sortIPKS3_PS3_PKlPlEEbT_T0_T1_T2_jjjjRNS4_12storage_typeE@rel32@hi+12
	v_or3_b32 v31, v0, v42, v41
	s_mov_b32 s12, s6
	s_mov_b32 s13, s33
	v_mov_b32_e32 v40, v0
	v_mov_b32_e32 v0, s64
	;; [unrolled: 1-line block ×17, first 2 shown]
	s_mov_b32 s36, s6
	s_swappc_b64 s[30:31], s[10:11]
	v_mov_b32_e32 v1, v41
	v_mov_b32_e32 v2, v42
	;; [unrolled: 1-line block ×3, first 2 shown]
	s_mov_b32 s6, s36
.LBB1951_6:
	s_mov_b64 s[4:5], 0
.LBB1951_7:
	s_andn2_b64 vcc, exec, s[4:5]
	s_cbranch_vccnz .LBB1951_670
; %bb.8:
	s_cmp_ge_u32 s77, s78
	s_cbranch_scc1 .LBB1951_670
; %bb.9:
	v_and_b32_e32 v4, 3, v0
	v_lshlrev_b32_e32 v35, 2, v4
	v_or_b32_e32 v4, 63, v0
	v_lshlrev_b32_e32 v25, 2, v0
	v_lshlrev_b32_e32 v5, 1, v0
	v_cmp_eq_u32_e64 s[8:9], v0, v4
	v_lshrrev_b32_e32 v4, 4, v0
	v_mov_b32_e32 v6, s69
	v_add_co_u32_e32 v29, vcc, s68, v5
	v_mad_u32_u24 v36, v0, 12, v25
	v_and_b32_e32 v37, 12, v4
	v_lshlrev_b32_e32 v4, 3, v0
	v_addc_co_u32_e32 v30, vcc, 0, v6, vcc
	v_and_b32_e32 v4, 0x600, v4
	v_add_u32_e32 v41, v36, v25
	v_lshlrev_b32_e32 v6, 4, v0
	v_sub_u32_e32 v42, v41, v6
	v_lshlrev_b32_e32 v6, 3, v4
	v_mov_b32_e32 v7, s75
	v_add_co_u32_e32 v43, vcc, s74, v6
	v_addc_co_u32_e32 v44, vcc, 0, v7, vcc
	v_lshlrev_b32_e32 v7, 1, v4
	v_mov_b32_e32 v8, s69
	v_add_co_u32_e32 v45, vcc, s68, v7
	v_addc_co_u32_e32 v46, vcc, 0, v8, vcc
	v_mov_b32_e32 v8, s67
	v_add_co_u32_e32 v49, vcc, s66, v5
	v_addc_co_u32_e32 v50, vcc, 0, v8, vcc
	;; [unrolled: 3-line block ×5, first 2 shown]
	v_sub_u32_e32 v47, v42, v5
	v_mov_b32_e32 v5, s71
	v_add_co_u32_e32 v57, vcc, s70, v6
	v_addc_co_u32_e32 v58, vcc, 0, v5, vcc
	v_mov_b32_e32 v5, s65
	v_add_co_u32_e32 v59, vcc, s64, v7
	v_addc_co_u32_e32 v60, vcc, 0, v5, vcc
	v_mbcnt_lo_u32_b32 v5, -1, 0
	v_mbcnt_hi_u32_b32 v66, -1, v5
	v_and_b32_e32 v5, 63, v66
	s_movk_i32 s4, 0x100
	s_add_u32 s56, s34, 0x60
	s_movk_i32 s7, 0xff
	v_or_b32_e32 v73, v5, v4
	v_mov_b32_e32 v3, 0
	v_or_b32_e32 v26, 0x100, v0
	v_or_b32_e32 v27, 0x200, v0
	v_or_b32_e32 v28, 0x300, v0
	v_or_b32_e32 v31, 0x400, v0
	v_or_b32_e32 v32, 0x500, v0
	v_or_b32_e32 v33, 0x600, v0
	v_or_b32_e32 v34, 0x700, v0
	v_cmp_gt_u32_e64 s[4:5], s4, v0
	v_or_b32_e32 v38, 0x4400, v37
	v_cmp_gt_u32_e64 s[10:11], 4, v0
	v_or_b32_e32 v39, 0x4400, v25
	v_cmp_lt_u32_e64 s[12:13], 63, v0
	v_add_u32_e32 v40, 0x43fc, v37
	s_addc_u32 s57, s35, 0
	s_mov_b32 s59, 0
	v_cmp_eq_u32_e64 s[14:15], 0, v0
	v_cmp_ne_u32_e64 s[16:17], s7, v0
	v_mul_u32_u24_e32 v48, 6, v0
	s_movk_i32 s7, 0x8000
	v_mov_b32_e32 v61, 1
	v_add_u32_e32 v62, 0x410, v41
	v_add_u32_e32 v63, 0x418, v41
	v_lshlrev_b32_e32 v64, 1, v0
	v_mov_b32_e32 v65, 0x7fff
	v_and_b32_e32 v67, 15, v66
	v_bfe_i32 v68, v66, 4, 1
	v_and_b32_e32 v69, 16, v66
	v_and_b32_e32 v70, 3, v66
	;; [unrolled: 1-line block ×3, first 2 shown]
	v_lshlrev_b32_e32 v72, 3, v5
	v_or_b32_e32 v74, 64, v73
	v_or_b32_e32 v75, 0x80, v73
	;; [unrolled: 1-line block ×7, first 2 shown]
	v_lshlrev_b32_e32 v81, 1, v5
	s_mov_b32 s62, s77
	s_branch .LBB1951_12
.LBB1951_10:                            ;   in Loop: Header=BB1951_12 Depth=1
	s_waitcnt lgkmcnt(0)
	s_barrier
.LBB1951_11:                            ;   in Loop: Header=BB1951_12 Depth=1
	s_add_i32 s62, s62, 8
	s_cmp_ge_u32 s62, s78
	s_cbranch_scc1 .LBB1951_670
.LBB1951_12:                            ; =>This Loop Header: Depth=1
                                        ;     Child Loop BB1951_16 Depth 2
                                        ;     Child Loop BB1951_64 Depth 2
	;; [unrolled: 1-line block ×8, first 2 shown]
	s_sub_i32 s18, s78, s62
	s_min_u32 s18, s18, 8
	s_lshl_b32 s18, -1, s18
	s_xor_b64 s[54:55], s[54:55], -1
	s_not_b32 s63, s18
	s_cmp_lg_u32 s62, s77
	s_mov_b64 s[18:19], -1
	ds_write2st64_b32 v25, v3, v3 offset1:4
	ds_write2st64_b32 v25, v3, v3 offset0:8 offset1:12
	s_waitcnt lgkmcnt(0)
	s_cbranch_scc0 .LBB1951_342
; %bb.13:                               ;   in Loop: Header=BB1951_12 Depth=1
	s_and_b64 vcc, exec, s[54:55]
	s_cbranch_vccz .LBB1951_177
; %bb.14:                               ;   in Loop: Header=BB1951_12 Depth=1
	s_mov_b32 s22, s79
	s_mov_b32 s58, s80
	s_barrier
                                        ; implicit-def: $vgpr4
                                        ; implicit-def: $vgpr5
                                        ; implicit-def: $vgpr6
                                        ; implicit-def: $vgpr7
                                        ; implicit-def: $vgpr8
                                        ; implicit-def: $vgpr9
                                        ; implicit-def: $vgpr10
                                        ; implicit-def: $vgpr11
	s_branch .LBB1951_16
.LBB1951_15:                            ;   in Loop: Header=BB1951_16 Depth=2
	s_or_b64 exec, exec, s[18:19]
	s_addk_i32 s22, 0xf800
	s_cmp_ge_u32 s23, s81
	s_mov_b32 s58, s23
	s_cbranch_scc1 .LBB1951_52
.LBB1951_16:                            ;   Parent Loop BB1951_12 Depth=1
                                        ; =>  This Inner Loop Header: Depth=2
	s_add_i32 s23, s58, 0x800
	s_cmp_gt_u32 s23, s81
	s_mov_b64 s[18:19], -1
                                        ; implicit-def: $vgpr12
                                        ; implicit-def: $vgpr13
                                        ; implicit-def: $vgpr14
                                        ; implicit-def: $vgpr15
                                        ; implicit-def: $vgpr16
                                        ; implicit-def: $vgpr17
                                        ; implicit-def: $vgpr18
                                        ; implicit-def: $vgpr19
	s_cbranch_scc1 .LBB1951_18
; %bb.17:                               ;   in Loop: Header=BB1951_16 Depth=2
	s_lshl_b64 s[18:19], s[58:59], 1
	v_mov_b32_e32 v12, s19
	v_add_co_u32_e32 v20, vcc, s18, v29
	v_addc_co_u32_e32 v21, vcc, v30, v12, vcc
	global_load_ushort v12, v[20:21], off
	global_load_ushort v13, v[20:21], off offset:512
	global_load_ushort v14, v[20:21], off offset:1024
	;; [unrolled: 1-line block ×7, first 2 shown]
	s_mov_b64 s[18:19], 0
.LBB1951_18:                            ;   in Loop: Header=BB1951_16 Depth=2
	s_andn2_b64 vcc, exec, s[18:19]
	s_movk_i32 s20, 0x800
	s_cbranch_vccnz .LBB1951_29
; %bb.19:                               ;   in Loop: Header=BB1951_16 Depth=2
	s_lshl_b64 s[18:19], s[58:59], 1
	s_add_u32 s18, s68, s18
	s_addc_u32 s19, s69, s19
	v_cmp_gt_u32_e32 vcc, s22, v0
	s_and_saveexec_b64 s[20:21], vcc
	s_cbranch_execnz .LBB1951_45
; %bb.20:                               ;   in Loop: Header=BB1951_16 Depth=2
	s_or_b64 exec, exec, s[20:21]
	v_cmp_gt_u32_e32 vcc, s22, v26
	s_and_saveexec_b64 s[20:21], vcc
	s_cbranch_execnz .LBB1951_46
.LBB1951_21:                            ;   in Loop: Header=BB1951_16 Depth=2
	s_or_b64 exec, exec, s[20:21]
	v_cmp_gt_u32_e32 vcc, s22, v27
	s_and_saveexec_b64 s[20:21], vcc
	s_cbranch_execnz .LBB1951_47
.LBB1951_22:                            ;   in Loop: Header=BB1951_16 Depth=2
	s_or_b64 exec, exec, s[20:21]
	v_cmp_gt_u32_e32 vcc, s22, v28
	s_and_saveexec_b64 s[20:21], vcc
	s_cbranch_execnz .LBB1951_48
.LBB1951_23:                            ;   in Loop: Header=BB1951_16 Depth=2
	s_or_b64 exec, exec, s[20:21]
	v_cmp_gt_u32_e32 vcc, s22, v31
	s_and_saveexec_b64 s[20:21], vcc
	s_cbranch_execnz .LBB1951_49
.LBB1951_24:                            ;   in Loop: Header=BB1951_16 Depth=2
	s_or_b64 exec, exec, s[20:21]
	v_cmp_gt_u32_e32 vcc, s22, v32
	s_and_saveexec_b64 s[20:21], vcc
	s_cbranch_execnz .LBB1951_50
.LBB1951_25:                            ;   in Loop: Header=BB1951_16 Depth=2
	s_or_b64 exec, exec, s[20:21]
	v_cmp_gt_u32_e32 vcc, s22, v33
	s_and_saveexec_b64 s[20:21], vcc
	s_cbranch_execnz .LBB1951_51
.LBB1951_26:                            ;   in Loop: Header=BB1951_16 Depth=2
	s_or_b64 exec, exec, s[20:21]
	v_cmp_gt_u32_e32 vcc, s22, v34
	s_and_saveexec_b64 s[20:21], vcc
	s_cbranch_execz .LBB1951_28
.LBB1951_27:                            ;   in Loop: Header=BB1951_16 Depth=2
	global_load_ushort v4, v64, s[18:19] offset:3584
.LBB1951_28:                            ;   in Loop: Header=BB1951_16 Depth=2
	s_or_b64 exec, exec, s[20:21]
	s_mov_b32 s20, s22
	s_waitcnt vmcnt(0)
	v_mov_b32_e32 v12, v11
	v_mov_b32_e32 v13, v10
	;; [unrolled: 1-line block ×8, first 2 shown]
.LBB1951_29:                            ;   in Loop: Header=BB1951_16 Depth=2
	s_waitcnt vmcnt(0)
	v_mov_b32_e32 v4, v19
	v_mov_b32_e32 v5, v18
	v_mov_b32_e32 v6, v17
	v_mov_b32_e32 v7, v16
	v_mov_b32_e32 v8, v15
	v_mov_b32_e32 v9, v14
	v_mov_b32_e32 v10, v13
	v_mov_b32_e32 v11, v12
	v_cmp_gt_u32_e32 vcc, s20, v0
	s_and_saveexec_b64 s[18:19], vcc
	s_cbranch_execnz .LBB1951_37
; %bb.30:                               ;   in Loop: Header=BB1951_16 Depth=2
	s_or_b64 exec, exec, s[18:19]
	v_cmp_gt_u32_e32 vcc, s20, v26
	s_and_saveexec_b64 s[18:19], vcc
	s_cbranch_execnz .LBB1951_38
.LBB1951_31:                            ;   in Loop: Header=BB1951_16 Depth=2
	s_or_b64 exec, exec, s[18:19]
	v_cmp_gt_u32_e32 vcc, s20, v27
	s_and_saveexec_b64 s[18:19], vcc
	s_cbranch_execnz .LBB1951_39
.LBB1951_32:                            ;   in Loop: Header=BB1951_16 Depth=2
	s_or_b64 exec, exec, s[18:19]
	v_cmp_gt_u32_e32 vcc, s20, v28
	s_and_saveexec_b64 s[18:19], vcc
	s_cbranch_execnz .LBB1951_40
.LBB1951_33:                            ;   in Loop: Header=BB1951_16 Depth=2
	s_or_b64 exec, exec, s[18:19]
	v_cmp_gt_u32_e32 vcc, s20, v31
	s_and_saveexec_b64 s[18:19], vcc
	s_cbranch_execnz .LBB1951_41
.LBB1951_34:                            ;   in Loop: Header=BB1951_16 Depth=2
	s_or_b64 exec, exec, s[18:19]
	v_cmp_gt_u32_e32 vcc, s20, v32
	s_and_saveexec_b64 s[18:19], vcc
	s_cbranch_execnz .LBB1951_42
.LBB1951_35:                            ;   in Loop: Header=BB1951_16 Depth=2
	s_or_b64 exec, exec, s[18:19]
	v_cmp_gt_u32_e32 vcc, s20, v33
	s_and_saveexec_b64 s[18:19], vcc
	s_cbranch_execnz .LBB1951_43
.LBB1951_36:                            ;   in Loop: Header=BB1951_16 Depth=2
	s_or_b64 exec, exec, s[18:19]
	v_cmp_gt_u32_e32 vcc, s20, v34
	s_and_saveexec_b64 s[18:19], vcc
	s_cbranch_execz .LBB1951_15
	s_branch .LBB1951_44
.LBB1951_37:                            ;   in Loop: Header=BB1951_16 Depth=2
	v_cmp_gt_i16_e32 vcc, 0, v11
	v_cndmask_b32_e64 v12, v65, 0, vcc
	v_xor_b32_e32 v12, v12, v11
	v_cmp_ne_u16_e32 vcc, s7, v12
	v_cndmask_b32_e32 v12, v65, v12, vcc
	v_lshrrev_b32_sdwa v12, s62, v12 dst_sel:DWORD dst_unused:UNUSED_PAD src0_sel:DWORD src1_sel:WORD_0
	v_and_b32_e32 v12, s63, v12
	v_lshl_or_b32 v12, v12, 4, v35
	ds_add_u32 v12, v61
	s_or_b64 exec, exec, s[18:19]
	v_cmp_gt_u32_e32 vcc, s20, v26
	s_and_saveexec_b64 s[18:19], vcc
	s_cbranch_execz .LBB1951_31
.LBB1951_38:                            ;   in Loop: Header=BB1951_16 Depth=2
	v_cmp_gt_i16_e32 vcc, 0, v10
	v_cndmask_b32_e64 v12, v65, 0, vcc
	v_xor_b32_e32 v12, v12, v10
	v_cmp_ne_u16_e32 vcc, s7, v12
	v_cndmask_b32_e32 v12, v65, v12, vcc
	v_lshrrev_b32_sdwa v12, s62, v12 dst_sel:DWORD dst_unused:UNUSED_PAD src0_sel:DWORD src1_sel:WORD_0
	v_and_b32_e32 v12, s63, v12
	v_lshl_or_b32 v12, v12, 4, v35
	ds_add_u32 v12, v61
	s_or_b64 exec, exec, s[18:19]
	v_cmp_gt_u32_e32 vcc, s20, v27
	s_and_saveexec_b64 s[18:19], vcc
	s_cbranch_execz .LBB1951_32
.LBB1951_39:                            ;   in Loop: Header=BB1951_16 Depth=2
	v_cmp_gt_i16_e32 vcc, 0, v9
	v_cndmask_b32_e64 v12, v65, 0, vcc
	v_xor_b32_e32 v12, v12, v9
	v_cmp_ne_u16_e32 vcc, s7, v12
	v_cndmask_b32_e32 v12, v65, v12, vcc
	v_lshrrev_b32_sdwa v12, s62, v12 dst_sel:DWORD dst_unused:UNUSED_PAD src0_sel:DWORD src1_sel:WORD_0
	v_and_b32_e32 v12, s63, v12
	v_lshl_or_b32 v12, v12, 4, v35
	ds_add_u32 v12, v61
	s_or_b64 exec, exec, s[18:19]
	v_cmp_gt_u32_e32 vcc, s20, v28
	s_and_saveexec_b64 s[18:19], vcc
	s_cbranch_execz .LBB1951_33
.LBB1951_40:                            ;   in Loop: Header=BB1951_16 Depth=2
	v_cmp_gt_i16_e32 vcc, 0, v8
	v_cndmask_b32_e64 v12, v65, 0, vcc
	v_xor_b32_e32 v12, v12, v8
	v_cmp_ne_u16_e32 vcc, s7, v12
	v_cndmask_b32_e32 v12, v65, v12, vcc
	v_lshrrev_b32_sdwa v12, s62, v12 dst_sel:DWORD dst_unused:UNUSED_PAD src0_sel:DWORD src1_sel:WORD_0
	v_and_b32_e32 v12, s63, v12
	v_lshl_or_b32 v12, v12, 4, v35
	ds_add_u32 v12, v61
	s_or_b64 exec, exec, s[18:19]
	v_cmp_gt_u32_e32 vcc, s20, v31
	s_and_saveexec_b64 s[18:19], vcc
	s_cbranch_execz .LBB1951_34
.LBB1951_41:                            ;   in Loop: Header=BB1951_16 Depth=2
	v_cmp_gt_i16_e32 vcc, 0, v7
	v_cndmask_b32_e64 v12, v65, 0, vcc
	v_xor_b32_e32 v12, v12, v7
	v_cmp_ne_u16_e32 vcc, s7, v12
	v_cndmask_b32_e32 v12, v65, v12, vcc
	v_lshrrev_b32_sdwa v12, s62, v12 dst_sel:DWORD dst_unused:UNUSED_PAD src0_sel:DWORD src1_sel:WORD_0
	v_and_b32_e32 v12, s63, v12
	v_lshl_or_b32 v12, v12, 4, v35
	ds_add_u32 v12, v61
	s_or_b64 exec, exec, s[18:19]
	v_cmp_gt_u32_e32 vcc, s20, v32
	s_and_saveexec_b64 s[18:19], vcc
	s_cbranch_execz .LBB1951_35
.LBB1951_42:                            ;   in Loop: Header=BB1951_16 Depth=2
	v_cmp_gt_i16_e32 vcc, 0, v6
	v_cndmask_b32_e64 v12, v65, 0, vcc
	v_xor_b32_e32 v12, v12, v6
	v_cmp_ne_u16_e32 vcc, s7, v12
	v_cndmask_b32_e32 v12, v65, v12, vcc
	v_lshrrev_b32_sdwa v12, s62, v12 dst_sel:DWORD dst_unused:UNUSED_PAD src0_sel:DWORD src1_sel:WORD_0
	v_and_b32_e32 v12, s63, v12
	v_lshl_or_b32 v12, v12, 4, v35
	ds_add_u32 v12, v61
	s_or_b64 exec, exec, s[18:19]
	v_cmp_gt_u32_e32 vcc, s20, v33
	s_and_saveexec_b64 s[18:19], vcc
	s_cbranch_execz .LBB1951_36
.LBB1951_43:                            ;   in Loop: Header=BB1951_16 Depth=2
	v_cmp_gt_i16_e32 vcc, 0, v5
	v_cndmask_b32_e64 v12, v65, 0, vcc
	v_xor_b32_e32 v12, v12, v5
	v_cmp_ne_u16_e32 vcc, s7, v12
	v_cndmask_b32_e32 v12, v65, v12, vcc
	v_lshrrev_b32_sdwa v12, s62, v12 dst_sel:DWORD dst_unused:UNUSED_PAD src0_sel:DWORD src1_sel:WORD_0
	v_and_b32_e32 v12, s63, v12
	v_lshl_or_b32 v12, v12, 4, v35
	ds_add_u32 v12, v61
	s_or_b64 exec, exec, s[18:19]
	v_cmp_gt_u32_e32 vcc, s20, v34
	s_and_saveexec_b64 s[18:19], vcc
	s_cbranch_execz .LBB1951_15
.LBB1951_44:                            ;   in Loop: Header=BB1951_16 Depth=2
	v_cmp_gt_i16_e32 vcc, 0, v4
	v_cndmask_b32_e64 v12, v65, 0, vcc
	v_xor_b32_e32 v12, v12, v4
	v_cmp_ne_u16_e32 vcc, s7, v12
	v_cndmask_b32_e32 v12, v65, v12, vcc
	v_lshrrev_b32_sdwa v12, s62, v12 dst_sel:DWORD dst_unused:UNUSED_PAD src0_sel:DWORD src1_sel:WORD_0
	v_and_b32_e32 v12, s63, v12
	v_lshl_or_b32 v12, v12, 4, v35
	ds_add_u32 v12, v61
	s_branch .LBB1951_15
.LBB1951_45:                            ;   in Loop: Header=BB1951_16 Depth=2
	global_load_ushort v11, v64, s[18:19]
	s_or_b64 exec, exec, s[20:21]
	v_cmp_gt_u32_e32 vcc, s22, v26
	s_and_saveexec_b64 s[20:21], vcc
	s_cbranch_execz .LBB1951_21
.LBB1951_46:                            ;   in Loop: Header=BB1951_16 Depth=2
	global_load_ushort v10, v64, s[18:19] offset:512
	s_or_b64 exec, exec, s[20:21]
	v_cmp_gt_u32_e32 vcc, s22, v27
	s_and_saveexec_b64 s[20:21], vcc
	s_cbranch_execz .LBB1951_22
.LBB1951_47:                            ;   in Loop: Header=BB1951_16 Depth=2
	global_load_ushort v9, v64, s[18:19] offset:1024
	s_or_b64 exec, exec, s[20:21]
	v_cmp_gt_u32_e32 vcc, s22, v28
	s_and_saveexec_b64 s[20:21], vcc
	s_cbranch_execz .LBB1951_23
.LBB1951_48:                            ;   in Loop: Header=BB1951_16 Depth=2
	global_load_ushort v8, v64, s[18:19] offset:1536
	s_or_b64 exec, exec, s[20:21]
	v_cmp_gt_u32_e32 vcc, s22, v31
	s_and_saveexec_b64 s[20:21], vcc
	s_cbranch_execz .LBB1951_24
.LBB1951_49:                            ;   in Loop: Header=BB1951_16 Depth=2
	global_load_ushort v7, v64, s[18:19] offset:2048
	s_or_b64 exec, exec, s[20:21]
	v_cmp_gt_u32_e32 vcc, s22, v32
	s_and_saveexec_b64 s[20:21], vcc
	s_cbranch_execz .LBB1951_25
.LBB1951_50:                            ;   in Loop: Header=BB1951_16 Depth=2
	global_load_ushort v6, v64, s[18:19] offset:2560
	s_or_b64 exec, exec, s[20:21]
	v_cmp_gt_u32_e32 vcc, s22, v33
	s_and_saveexec_b64 s[20:21], vcc
	s_cbranch_execz .LBB1951_26
.LBB1951_51:                            ;   in Loop: Header=BB1951_16 Depth=2
	global_load_ushort v5, v64, s[18:19] offset:3072
	s_or_b64 exec, exec, s[20:21]
	v_cmp_gt_u32_e32 vcc, s22, v34
	s_and_saveexec_b64 s[20:21], vcc
	s_cbranch_execnz .LBB1951_27
	s_branch .LBB1951_28
.LBB1951_52:                            ;   in Loop: Header=BB1951_12 Depth=1
	v_mov_b32_e32 v4, 0
	s_waitcnt lgkmcnt(0)
	s_barrier
	s_and_saveexec_b64 s[18:19], s[4:5]
	s_cbranch_execz .LBB1951_54
; %bb.53:                               ;   in Loop: Header=BB1951_12 Depth=1
	ds_read2_b64 v[4:7], v36 offset1:1
	s_waitcnt lgkmcnt(0)
	v_add_u32_e32 v4, v5, v4
	v_add3_u32 v4, v4, v6, v7
.LBB1951_54:                            ;   in Loop: Header=BB1951_12 Depth=1
	s_or_b64 exec, exec, s[18:19]
	s_nop 0
	v_mov_b32_dpp v5, v4 row_shr:1 row_mask:0xf bank_mask:0xf
	v_cmp_eq_u32_e64 s[18:19], 0, v67
	v_cndmask_b32_e64 v5, v5, 0, s[18:19]
	v_add_u32_e32 v4, v5, v4
	v_cmp_lt_u32_e64 s[20:21], 1, v67
	v_cmp_lt_u32_e64 s[22:23], 3, v67
	v_mov_b32_dpp v5, v4 row_shr:2 row_mask:0xf bank_mask:0xf
	v_cndmask_b32_e64 v5, 0, v5, s[20:21]
	v_add_u32_e32 v4, v4, v5
	v_cmp_lt_u32_e64 s[24:25], 7, v67
	v_cmp_lt_u32_e64 s[28:29], 31, v66
	v_mov_b32_dpp v5, v4 row_shr:4 row_mask:0xf bank_mask:0xf
	v_cndmask_b32_e64 v5, 0, v5, s[22:23]
	v_add_u32_e32 v4, v4, v5
	v_cmp_eq_u32_e64 s[26:27], 0, v69
	s_nop 0
	v_mov_b32_dpp v5, v4 row_shr:8 row_mask:0xf bank_mask:0xf
	v_cndmask_b32_e64 v5, 0, v5, s[24:25]
	v_add_u32_e32 v4, v4, v5
	s_nop 1
	v_mov_b32_dpp v5, v4 row_bcast:15 row_mask:0xf bank_mask:0xf
	v_and_b32_e32 v5, v68, v5
	v_add_u32_e32 v4, v4, v5
	s_nop 1
	v_mov_b32_dpp v5, v4 row_bcast:31 row_mask:0xf bank_mask:0xf
	v_cndmask_b32_e64 v5, 0, v5, s[28:29]
	v_add_u32_e32 v4, v4, v5
	s_and_saveexec_b64 s[30:31], s[8:9]
; %bb.55:                               ;   in Loop: Header=BB1951_12 Depth=1
	ds_write_b32 v38, v4
; %bb.56:                               ;   in Loop: Header=BB1951_12 Depth=1
	s_or_b64 exec, exec, s[30:31]
	s_waitcnt lgkmcnt(0)
	s_barrier
	s_and_saveexec_b64 s[30:31], s[10:11]
	s_cbranch_execz .LBB1951_58
; %bb.57:                               ;   in Loop: Header=BB1951_12 Depth=1
	ds_read_b32 v5, v39
	v_cmp_ne_u32_e32 vcc, 0, v70
	s_waitcnt lgkmcnt(0)
	v_mov_b32_dpp v6, v5 row_shr:1 row_mask:0xf bank_mask:0xf
	v_cndmask_b32_e32 v6, 0, v6, vcc
	v_add_u32_e32 v5, v6, v5
	v_cmp_lt_u32_e32 vcc, 1, v70
	s_nop 0
	v_mov_b32_dpp v6, v5 row_shr:2 row_mask:0xf bank_mask:0xf
	v_cndmask_b32_e32 v6, 0, v6, vcc
	v_add_u32_e32 v5, v5, v6
	ds_write_b32 v39, v5
.LBB1951_58:                            ;   in Loop: Header=BB1951_12 Depth=1
	s_or_b64 exec, exec, s[30:31]
	v_mov_b32_e32 v5, 0
	s_waitcnt lgkmcnt(0)
	s_barrier
	s_and_saveexec_b64 s[30:31], s[12:13]
; %bb.59:                               ;   in Loop: Header=BB1951_12 Depth=1
	ds_read_b32 v5, v40
; %bb.60:                               ;   in Loop: Header=BB1951_12 Depth=1
	s_or_b64 exec, exec, s[30:31]
	v_subrev_co_u32_e64 v6, s[30:31], 1, v66
	v_cmp_lt_i32_e32 vcc, v6, v71
	v_cndmask_b32_e32 v6, v6, v66, vcc
	s_waitcnt lgkmcnt(0)
	v_add_u32_e32 v4, v5, v4
	v_lshlrev_b32_e32 v82, 2, v6
	ds_bpermute_b32 v4, v82, v4
	s_waitcnt lgkmcnt(0)
	s_barrier
	s_and_saveexec_b64 s[34:35], s[4:5]
; %bb.61:                               ;   in Loop: Header=BB1951_12 Depth=1
	v_cndmask_b32_e64 v4, v4, v5, s[30:31]
	v_add_u32_e32 v4, s80, v4
	ds_write_b32 v25, v4
; %bb.62:                               ;   in Loop: Header=BB1951_12 Depth=1
	s_or_b64 exec, exec, s[34:35]
	s_load_dword s34, s[56:57], 0x4
	s_load_dword s38, s[56:57], 0xc
	v_add_co_u32_e32 v83, vcc, v43, v72
	v_addc_co_u32_e32 v84, vcc, 0, v44, vcc
	s_waitcnt lgkmcnt(0)
	s_cmp_lt_u32 s33, s34
	s_cselect_b32 s34, 14, 20
	s_add_u32 s34, s56, s34
	s_addc_u32 s35, s57, 0
	global_load_ushort v4, v3, s[34:35]
	s_and_b32 s38, s38, 0xffff
	v_add_co_u32_e32 v85, vcc, v45, v81
	v_cmp_eq_u32_e64 s[34:35], 0, v70
	v_cmp_lt_u32_e64 s[36:37], 1, v70
	v_addc_co_u32_e32 v86, vcc, 0, v46, vcc
	s_mov_b32 s70, s79
	s_mov_b32 s58, s80
                                        ; implicit-def: $vgpr7_vgpr8
                                        ; implicit-def: $vgpr9_vgpr10
                                        ; implicit-def: $vgpr11_vgpr12
                                        ; implicit-def: $vgpr13_vgpr14
                                        ; implicit-def: $vgpr15_vgpr16
                                        ; implicit-def: $vgpr17_vgpr18
                                        ; implicit-def: $vgpr19_vgpr20
                                        ; implicit-def: $vgpr87
                                        ; implicit-def: $vgpr88
                                        ; implicit-def: $vgpr89
                                        ; implicit-def: $vgpr90
                                        ; implicit-def: $vgpr92
                                        ; implicit-def: $vgpr93
                                        ; implicit-def: $vgpr94
                                        ; implicit-def: $vgpr95
	s_waitcnt vmcnt(0)
	v_mad_u32_u24 v4, v2, v4, v1
	v_mad_u64_u32 v[4:5], s[38:39], v4, s38, v[0:1]
                                        ; implicit-def: $vgpr5_vgpr6
	v_lshrrev_b32_e32 v4, 4, v4
	v_and_b32_e32 v91, 0xffffffc, v4
	s_branch .LBB1951_64
.LBB1951_63:                            ;   in Loop: Header=BB1951_64 Depth=2
	s_or_b64 exec, exec, s[38:39]
	s_addk_i32 s70, 0xf800
	s_cmp_lt_u32 s71, s81
	s_mov_b32 s58, s71
	s_cbranch_scc0 .LBB1951_176
.LBB1951_64:                            ;   Parent Loop BB1951_12 Depth=1
                                        ; =>  This Inner Loop Header: Depth=2
	s_add_i32 s71, s58, 0x800
	s_cmp_gt_u32 s71, s81
	s_cbranch_scc1 .LBB1951_66
; %bb.65:                               ;   in Loop: Header=BB1951_64 Depth=2
	s_lshl_b64 s[38:39], s[58:59], 1
	v_mov_b32_e32 v4, s39
	v_add_co_u32_e32 v21, vcc, s38, v85
	v_addc_co_u32_e32 v22, vcc, v86, v4, vcc
	global_load_ushort v4, v[21:22], off
	global_load_ushort v99, v[21:22], off offset:128
	global_load_ushort v103, v[21:22], off offset:256
	;; [unrolled: 1-line block ×6, first 2 shown]
	s_mov_b64 s[38:39], -1
	s_movk_i32 s42, 0x800
	s_cbranch_execz .LBB1951_67
	s_branch .LBB1951_82
.LBB1951_66:                            ;   in Loop: Header=BB1951_64 Depth=2
	s_mov_b64 s[38:39], 0
                                        ; implicit-def: $vgpr4
                                        ; implicit-def: $vgpr99
                                        ; implicit-def: $vgpr103
                                        ; implicit-def: $vgpr107
                                        ; implicit-def: $vgpr112
                                        ; implicit-def: $vgpr108
                                        ; implicit-def: $vgpr24
	s_movk_i32 s42, 0x800
.LBB1951_67:                            ;   in Loop: Header=BB1951_64 Depth=2
	s_lshl_b64 s[38:39], s[58:59], 1
	s_waitcnt vmcnt(6)
	v_mov_b32_e32 v4, s39
	v_add_co_u32_e32 v21, vcc, s38, v85
	v_addc_co_u32_e32 v22, vcc, v86, v4, vcc
	v_cmp_gt_u32_e32 vcc, s70, v73
	s_waitcnt vmcnt(5)
	v_mov_b32_e32 v99, -1
	v_mov_b32_e32 v4, -1
	s_and_saveexec_b64 s[38:39], vcc
	s_cbranch_execz .LBB1951_69
; %bb.68:                               ;   in Loop: Header=BB1951_64 Depth=2
	global_load_ushort v4, v[21:22], off
.LBB1951_69:                            ;   in Loop: Header=BB1951_64 Depth=2
	s_or_b64 exec, exec, s[38:39]
	v_cmp_gt_u32_e32 vcc, s70, v74
	s_and_saveexec_b64 s[38:39], vcc
	s_cbranch_execz .LBB1951_71
; %bb.70:                               ;   in Loop: Header=BB1951_64 Depth=2
	global_load_ushort v99, v[21:22], off offset:128
.LBB1951_71:                            ;   in Loop: Header=BB1951_64 Depth=2
	s_or_b64 exec, exec, s[38:39]
	v_cmp_gt_u32_e32 vcc, s70, v75
	s_waitcnt vmcnt(3)
	v_mov_b32_e32 v107, -1
	v_mov_b32_e32 v103, -1
	s_and_saveexec_b64 s[38:39], vcc
	s_cbranch_execz .LBB1951_73
; %bb.72:                               ;   in Loop: Header=BB1951_64 Depth=2
	global_load_ushort v103, v[21:22], off offset:256
.LBB1951_73:                            ;   in Loop: Header=BB1951_64 Depth=2
	s_or_b64 exec, exec, s[38:39]
	v_cmp_gt_u32_e32 vcc, s70, v76
	s_and_saveexec_b64 s[38:39], vcc
	s_cbranch_execz .LBB1951_75
; %bb.74:                               ;   in Loop: Header=BB1951_64 Depth=2
	global_load_ushort v107, v[21:22], off offset:384
.LBB1951_75:                            ;   in Loop: Header=BB1951_64 Depth=2
	s_or_b64 exec, exec, s[38:39]
	v_cmp_gt_u32_e32 vcc, s70, v77
	s_waitcnt vmcnt(1)
	v_mov_b32_e32 v108, -1
	v_mov_b32_e32 v112, -1
	s_and_saveexec_b64 s[38:39], vcc
	s_cbranch_execz .LBB1951_77
; %bb.76:                               ;   in Loop: Header=BB1951_64 Depth=2
	global_load_ushort v112, v[21:22], off offset:512
.LBB1951_77:                            ;   in Loop: Header=BB1951_64 Depth=2
	s_or_b64 exec, exec, s[38:39]
	v_cmp_gt_u32_e32 vcc, s70, v78
	s_and_saveexec_b64 s[38:39], vcc
	s_cbranch_execz .LBB1951_79
; %bb.78:                               ;   in Loop: Header=BB1951_64 Depth=2
	global_load_ushort v108, v[21:22], off offset:640
.LBB1951_79:                            ;   in Loop: Header=BB1951_64 Depth=2
	s_or_b64 exec, exec, s[38:39]
	v_cmp_gt_u32_e32 vcc, s70, v79
	s_waitcnt vmcnt(0)
	v_mov_b32_e32 v24, -1
	s_and_saveexec_b64 s[38:39], vcc
	s_cbranch_execz .LBB1951_81
; %bb.80:                               ;   in Loop: Header=BB1951_64 Depth=2
	global_load_ushort v24, v[21:22], off offset:768
.LBB1951_81:                            ;   in Loop: Header=BB1951_64 Depth=2
	s_or_b64 exec, exec, s[38:39]
	s_sub_i32 s42, s81, s58
	v_cmp_gt_u32_e64 s[38:39], s70, v80
.LBB1951_82:                            ;   in Loop: Header=BB1951_64 Depth=2
	v_mov_b32_e32 v23, -1
	v_mov_b32_e32 v96, s70
	s_and_saveexec_b64 s[40:41], s[38:39]
	s_cbranch_execz .LBB1951_84
; %bb.83:                               ;   in Loop: Header=BB1951_64 Depth=2
	s_lshl_b64 s[38:39], s[58:59], 1
	v_mov_b32_e32 v22, s39
	v_add_co_u32_e32 v21, vcc, s38, v85
	v_addc_co_u32_e32 v22, vcc, v86, v22, vcc
	global_load_ushort v23, v[21:22], off offset:896
	v_mov_b32_e32 v96, s42
.LBB1951_84:                            ;   in Loop: Header=BB1951_64 Depth=2
	s_or_b64 exec, exec, s[40:41]
	s_waitcnt vmcnt(6)
	v_cmp_gt_i16_e32 vcc, 0, v4
	v_cndmask_b32_e64 v21, v65, 0, vcc
	v_xor_b32_e32 v97, v21, v4
	v_cmp_ne_u16_e32 vcc, s7, v97
	v_cndmask_b32_e32 v4, v65, v97, vcc
	v_lshrrev_b32_sdwa v4, s62, v4 dst_sel:DWORD dst_unused:UNUSED_PAD src0_sel:DWORD src1_sel:WORD_0
	v_and_b32_e32 v21, s63, v4
	v_and_b32_e32 v4, 1, v21
	v_add_co_u32_e32 v22, vcc, -1, v4
	v_addc_co_u32_e64 v98, s[38:39], 0, -1, vcc
	v_cmp_ne_u32_e32 vcc, 0, v4
	v_xor_b32_e32 v4, vcc_hi, v98
	v_and_b32_e32 v98, exec_hi, v4
	v_lshlrev_b32_e32 v4, 30, v21
	v_xor_b32_e32 v22, vcc_lo, v22
	v_cmp_gt_i64_e32 vcc, 0, v[3:4]
	v_not_b32_e32 v4, v4
	v_ashrrev_i32_e32 v4, 31, v4
	v_and_b32_e32 v22, exec_lo, v22
	v_xor_b32_e32 v101, vcc_hi, v4
	v_xor_b32_e32 v4, vcc_lo, v4
	v_and_b32_e32 v22, v22, v4
	v_lshlrev_b32_e32 v4, 29, v21
	v_cmp_gt_i64_e32 vcc, 0, v[3:4]
	v_not_b32_e32 v4, v4
	v_ashrrev_i32_e32 v4, 31, v4
	v_and_b32_e32 v98, v98, v101
	v_xor_b32_e32 v101, vcc_hi, v4
	v_xor_b32_e32 v4, vcc_lo, v4
	v_and_b32_e32 v22, v22, v4
	v_lshlrev_b32_e32 v4, 28, v21
	v_cmp_gt_i64_e32 vcc, 0, v[3:4]
	v_not_b32_e32 v4, v4
	v_ashrrev_i32_e32 v4, 31, v4
	v_and_b32_e32 v98, v98, v101
	;; [unrolled: 8-line block ×5, first 2 shown]
	v_xor_b32_e32 v101, vcc_hi, v4
	v_xor_b32_e32 v4, vcc_lo, v4
	v_and_b32_e32 v98, v98, v101
	v_and_b32_e32 v101, v22, v4
	v_lshlrev_b32_e32 v4, 24, v21
	v_cmp_gt_i64_e32 vcc, 0, v[3:4]
	v_not_b32_e32 v4, v4
	v_ashrrev_i32_e32 v4, 31, v4
	v_mul_u32_u24_e32 v100, 20, v21
	v_xor_b32_e32 v21, vcc_hi, v4
	v_xor_b32_e32 v4, vcc_lo, v4
	v_and_b32_e32 v22, v98, v21
	v_and_b32_e32 v21, v101, v4
	v_mbcnt_lo_u32_b32 v4, v21, 0
	v_mbcnt_hi_u32_b32 v98, v22, v4
	v_cmp_ne_u64_e32 vcc, 0, v[21:22]
	v_cmp_eq_u32_e64 s[38:39], 0, v98
	s_and_b64 s[40:41], vcc, s[38:39]
	v_add_u32_e32 v101, v91, v100
	ds_write2_b32 v62, v3, v3 offset1:1
	ds_write2_b32 v63, v3, v3 offset1:1
	ds_write_b32 v41, v3 offset:1056
	s_waitcnt vmcnt(0) lgkmcnt(0)
	s_barrier
	; wave barrier
	s_and_saveexec_b64 s[38:39], s[40:41]
; %bb.85:                               ;   in Loop: Header=BB1951_64 Depth=2
	v_bcnt_u32_b32 v4, v21, 0
	v_bcnt_u32_b32 v4, v22, v4
	ds_write_b32 v101, v4 offset:1040
; %bb.86:                               ;   in Loop: Header=BB1951_64 Depth=2
	s_or_b64 exec, exec, s[38:39]
	v_cmp_gt_i16_e32 vcc, 0, v99
	v_cndmask_b32_e64 v4, v65, 0, vcc
	v_xor_b32_e32 v99, v4, v99
	v_cmp_ne_u16_e32 vcc, s7, v99
	v_cndmask_b32_e32 v4, v65, v99, vcc
	v_lshrrev_b32_sdwa v4, s62, v4 dst_sel:DWORD dst_unused:UNUSED_PAD src0_sel:DWORD src1_sel:WORD_0
	v_and_b32_e32 v21, s63, v4
	v_mad_u32_u24 v4, v21, 20, v91
	; wave barrier
	ds_read_b32 v100, v4 offset:1040
	v_and_b32_e32 v4, 1, v21
	v_add_co_u32_e32 v22, vcc, -1, v4
	v_addc_co_u32_e64 v102, s[38:39], 0, -1, vcc
	v_cmp_ne_u32_e32 vcc, 0, v4
	v_xor_b32_e32 v4, vcc_hi, v102
	v_and_b32_e32 v102, exec_hi, v4
	v_lshlrev_b32_e32 v4, 30, v21
	v_xor_b32_e32 v22, vcc_lo, v22
	v_cmp_gt_i64_e32 vcc, 0, v[3:4]
	v_not_b32_e32 v4, v4
	v_ashrrev_i32_e32 v4, 31, v4
	v_and_b32_e32 v22, exec_lo, v22
	v_xor_b32_e32 v105, vcc_hi, v4
	v_xor_b32_e32 v4, vcc_lo, v4
	v_and_b32_e32 v22, v22, v4
	v_lshlrev_b32_e32 v4, 29, v21
	v_cmp_gt_i64_e32 vcc, 0, v[3:4]
	v_not_b32_e32 v4, v4
	v_ashrrev_i32_e32 v4, 31, v4
	v_and_b32_e32 v102, v102, v105
	v_xor_b32_e32 v105, vcc_hi, v4
	v_xor_b32_e32 v4, vcc_lo, v4
	v_and_b32_e32 v22, v22, v4
	v_lshlrev_b32_e32 v4, 28, v21
	v_cmp_gt_i64_e32 vcc, 0, v[3:4]
	v_not_b32_e32 v4, v4
	v_ashrrev_i32_e32 v4, 31, v4
	v_and_b32_e32 v102, v102, v105
	;; [unrolled: 8-line block ×5, first 2 shown]
	v_xor_b32_e32 v105, vcc_hi, v4
	v_xor_b32_e32 v4, vcc_lo, v4
	v_and_b32_e32 v102, v102, v105
	v_and_b32_e32 v105, v22, v4
	v_lshlrev_b32_e32 v4, 24, v21
	v_cmp_gt_i64_e32 vcc, 0, v[3:4]
	v_not_b32_e32 v4, v4
	v_ashrrev_i32_e32 v4, 31, v4
	v_mul_u32_u24_e32 v104, 20, v21
	v_xor_b32_e32 v21, vcc_hi, v4
	v_xor_b32_e32 v4, vcc_lo, v4
	v_and_b32_e32 v22, v102, v21
	v_and_b32_e32 v21, v105, v4
	v_mbcnt_lo_u32_b32 v4, v21, 0
	v_mbcnt_hi_u32_b32 v102, v22, v4
	v_cmp_ne_u64_e32 vcc, 0, v[21:22]
	v_cmp_eq_u32_e64 s[38:39], 0, v102
	s_and_b64 s[40:41], vcc, s[38:39]
	v_add_u32_e32 v105, v91, v104
	; wave barrier
	s_and_saveexec_b64 s[38:39], s[40:41]
	s_cbranch_execz .LBB1951_88
; %bb.87:                               ;   in Loop: Header=BB1951_64 Depth=2
	v_bcnt_u32_b32 v4, v21, 0
	v_bcnt_u32_b32 v4, v22, v4
	s_waitcnt lgkmcnt(0)
	v_add_u32_e32 v4, v100, v4
	ds_write_b32 v105, v4 offset:1040
.LBB1951_88:                            ;   in Loop: Header=BB1951_64 Depth=2
	s_or_b64 exec, exec, s[38:39]
	v_cmp_gt_i16_e32 vcc, 0, v103
	v_cndmask_b32_e64 v4, v65, 0, vcc
	v_xor_b32_e32 v103, v4, v103
	v_cmp_ne_u16_e32 vcc, s7, v103
	v_cndmask_b32_e32 v4, v65, v103, vcc
	v_lshrrev_b32_sdwa v4, s62, v4 dst_sel:DWORD dst_unused:UNUSED_PAD src0_sel:DWORD src1_sel:WORD_0
	v_and_b32_e32 v21, s63, v4
	v_mad_u32_u24 v4, v21, 20, v91
	; wave barrier
	ds_read_b32 v104, v4 offset:1040
	v_and_b32_e32 v4, 1, v21
	v_add_co_u32_e32 v22, vcc, -1, v4
	v_addc_co_u32_e64 v106, s[38:39], 0, -1, vcc
	v_cmp_ne_u32_e32 vcc, 0, v4
	v_xor_b32_e32 v4, vcc_hi, v106
	v_and_b32_e32 v106, exec_hi, v4
	v_lshlrev_b32_e32 v4, 30, v21
	v_xor_b32_e32 v22, vcc_lo, v22
	v_cmp_gt_i64_e32 vcc, 0, v[3:4]
	v_not_b32_e32 v4, v4
	v_ashrrev_i32_e32 v4, 31, v4
	v_and_b32_e32 v22, exec_lo, v22
	v_xor_b32_e32 v110, vcc_hi, v4
	v_xor_b32_e32 v4, vcc_lo, v4
	v_and_b32_e32 v22, v22, v4
	v_lshlrev_b32_e32 v4, 29, v21
	v_cmp_gt_i64_e32 vcc, 0, v[3:4]
	v_not_b32_e32 v4, v4
	v_ashrrev_i32_e32 v4, 31, v4
	v_and_b32_e32 v106, v106, v110
	v_xor_b32_e32 v110, vcc_hi, v4
	v_xor_b32_e32 v4, vcc_lo, v4
	v_and_b32_e32 v22, v22, v4
	v_lshlrev_b32_e32 v4, 28, v21
	v_cmp_gt_i64_e32 vcc, 0, v[3:4]
	v_not_b32_e32 v4, v4
	v_ashrrev_i32_e32 v4, 31, v4
	v_and_b32_e32 v106, v106, v110
	;; [unrolled: 8-line block ×5, first 2 shown]
	v_xor_b32_e32 v110, vcc_hi, v4
	v_xor_b32_e32 v4, vcc_lo, v4
	v_and_b32_e32 v106, v106, v110
	v_and_b32_e32 v110, v22, v4
	v_lshlrev_b32_e32 v4, 24, v21
	v_cmp_gt_i64_e32 vcc, 0, v[3:4]
	v_not_b32_e32 v4, v4
	v_ashrrev_i32_e32 v4, 31, v4
	v_mul_u32_u24_e32 v109, 20, v21
	v_xor_b32_e32 v21, vcc_hi, v4
	v_xor_b32_e32 v4, vcc_lo, v4
	v_and_b32_e32 v22, v106, v21
	v_and_b32_e32 v21, v110, v4
	v_mbcnt_lo_u32_b32 v4, v21, 0
	v_mbcnt_hi_u32_b32 v106, v22, v4
	v_cmp_ne_u64_e32 vcc, 0, v[21:22]
	v_cmp_eq_u32_e64 s[38:39], 0, v106
	s_and_b64 s[40:41], vcc, s[38:39]
	v_add_u32_e32 v110, v91, v109
	; wave barrier
	s_and_saveexec_b64 s[38:39], s[40:41]
	s_cbranch_execz .LBB1951_90
; %bb.89:                               ;   in Loop: Header=BB1951_64 Depth=2
	v_bcnt_u32_b32 v4, v21, 0
	v_bcnt_u32_b32 v4, v22, v4
	s_waitcnt lgkmcnt(0)
	v_add_u32_e32 v4, v104, v4
	ds_write_b32 v110, v4 offset:1040
.LBB1951_90:                            ;   in Loop: Header=BB1951_64 Depth=2
	s_or_b64 exec, exec, s[38:39]
	v_cmp_gt_i16_e32 vcc, 0, v107
	v_cndmask_b32_e64 v4, v65, 0, vcc
	v_xor_b32_e32 v107, v4, v107
	v_cmp_ne_u16_e32 vcc, s7, v107
	v_cndmask_b32_e32 v4, v65, v107, vcc
	v_lshrrev_b32_sdwa v4, s62, v4 dst_sel:DWORD dst_unused:UNUSED_PAD src0_sel:DWORD src1_sel:WORD_0
	v_and_b32_e32 v21, s63, v4
	v_mad_u32_u24 v4, v21, 20, v91
	; wave barrier
	ds_read_b32 v109, v4 offset:1040
	v_and_b32_e32 v4, 1, v21
	v_add_co_u32_e32 v22, vcc, -1, v4
	v_addc_co_u32_e64 v111, s[38:39], 0, -1, vcc
	v_cmp_ne_u32_e32 vcc, 0, v4
	v_xor_b32_e32 v4, vcc_hi, v111
	v_and_b32_e32 v111, exec_hi, v4
	v_lshlrev_b32_e32 v4, 30, v21
	v_xor_b32_e32 v22, vcc_lo, v22
	v_cmp_gt_i64_e32 vcc, 0, v[3:4]
	v_not_b32_e32 v4, v4
	v_ashrrev_i32_e32 v4, 31, v4
	v_and_b32_e32 v22, exec_lo, v22
	v_xor_b32_e32 v114, vcc_hi, v4
	v_xor_b32_e32 v4, vcc_lo, v4
	v_and_b32_e32 v22, v22, v4
	v_lshlrev_b32_e32 v4, 29, v21
	v_cmp_gt_i64_e32 vcc, 0, v[3:4]
	v_not_b32_e32 v4, v4
	v_ashrrev_i32_e32 v4, 31, v4
	v_and_b32_e32 v111, v111, v114
	v_xor_b32_e32 v114, vcc_hi, v4
	v_xor_b32_e32 v4, vcc_lo, v4
	v_and_b32_e32 v22, v22, v4
	v_lshlrev_b32_e32 v4, 28, v21
	v_cmp_gt_i64_e32 vcc, 0, v[3:4]
	v_not_b32_e32 v4, v4
	v_ashrrev_i32_e32 v4, 31, v4
	v_and_b32_e32 v111, v111, v114
	;; [unrolled: 8-line block ×5, first 2 shown]
	v_xor_b32_e32 v114, vcc_hi, v4
	v_xor_b32_e32 v4, vcc_lo, v4
	v_and_b32_e32 v111, v111, v114
	v_and_b32_e32 v114, v22, v4
	v_lshlrev_b32_e32 v4, 24, v21
	v_cmp_gt_i64_e32 vcc, 0, v[3:4]
	v_not_b32_e32 v4, v4
	v_ashrrev_i32_e32 v4, 31, v4
	v_mul_u32_u24_e32 v113, 20, v21
	v_xor_b32_e32 v21, vcc_hi, v4
	v_xor_b32_e32 v4, vcc_lo, v4
	v_and_b32_e32 v22, v111, v21
	v_and_b32_e32 v21, v114, v4
	v_mbcnt_lo_u32_b32 v4, v21, 0
	v_mbcnt_hi_u32_b32 v111, v22, v4
	v_cmp_ne_u64_e32 vcc, 0, v[21:22]
	v_cmp_eq_u32_e64 s[38:39], 0, v111
	s_and_b64 s[40:41], vcc, s[38:39]
	v_add_u32_e32 v114, v91, v113
	; wave barrier
	s_and_saveexec_b64 s[38:39], s[40:41]
	s_cbranch_execz .LBB1951_92
; %bb.91:                               ;   in Loop: Header=BB1951_64 Depth=2
	v_bcnt_u32_b32 v4, v21, 0
	v_bcnt_u32_b32 v4, v22, v4
	s_waitcnt lgkmcnt(0)
	v_add_u32_e32 v4, v109, v4
	ds_write_b32 v114, v4 offset:1040
.LBB1951_92:                            ;   in Loop: Header=BB1951_64 Depth=2
	s_or_b64 exec, exec, s[38:39]
	v_cmp_gt_i16_e32 vcc, 0, v112
	v_cndmask_b32_e64 v4, v65, 0, vcc
	v_xor_b32_e32 v112, v4, v112
	v_cmp_ne_u16_e32 vcc, s7, v112
	v_cndmask_b32_e32 v4, v65, v112, vcc
	v_lshrrev_b32_sdwa v4, s62, v4 dst_sel:DWORD dst_unused:UNUSED_PAD src0_sel:DWORD src1_sel:WORD_0
	v_and_b32_e32 v21, s63, v4
	v_mad_u32_u24 v4, v21, 20, v91
	; wave barrier
	ds_read_b32 v113, v4 offset:1040
	v_and_b32_e32 v4, 1, v21
	v_add_co_u32_e32 v22, vcc, -1, v4
	v_addc_co_u32_e64 v115, s[38:39], 0, -1, vcc
	v_cmp_ne_u32_e32 vcc, 0, v4
	v_xor_b32_e32 v4, vcc_hi, v115
	v_and_b32_e32 v115, exec_hi, v4
	v_lshlrev_b32_e32 v4, 30, v21
	v_xor_b32_e32 v22, vcc_lo, v22
	v_cmp_gt_i64_e32 vcc, 0, v[3:4]
	v_not_b32_e32 v4, v4
	v_ashrrev_i32_e32 v4, 31, v4
	v_and_b32_e32 v22, exec_lo, v22
	v_xor_b32_e32 v117, vcc_hi, v4
	v_xor_b32_e32 v4, vcc_lo, v4
	v_and_b32_e32 v22, v22, v4
	v_lshlrev_b32_e32 v4, 29, v21
	v_cmp_gt_i64_e32 vcc, 0, v[3:4]
	v_not_b32_e32 v4, v4
	v_ashrrev_i32_e32 v4, 31, v4
	v_and_b32_e32 v115, v115, v117
	v_xor_b32_e32 v117, vcc_hi, v4
	v_xor_b32_e32 v4, vcc_lo, v4
	v_and_b32_e32 v22, v22, v4
	v_lshlrev_b32_e32 v4, 28, v21
	v_cmp_gt_i64_e32 vcc, 0, v[3:4]
	v_not_b32_e32 v4, v4
	v_ashrrev_i32_e32 v4, 31, v4
	v_and_b32_e32 v115, v115, v117
	;; [unrolled: 8-line block ×5, first 2 shown]
	v_xor_b32_e32 v117, vcc_hi, v4
	v_xor_b32_e32 v4, vcc_lo, v4
	v_and_b32_e32 v115, v115, v117
	v_and_b32_e32 v117, v22, v4
	v_lshlrev_b32_e32 v4, 24, v21
	v_cmp_gt_i64_e32 vcc, 0, v[3:4]
	v_not_b32_e32 v4, v4
	v_ashrrev_i32_e32 v4, 31, v4
	v_mul_u32_u24_e32 v116, 20, v21
	v_xor_b32_e32 v21, vcc_hi, v4
	v_xor_b32_e32 v4, vcc_lo, v4
	v_and_b32_e32 v22, v115, v21
	v_and_b32_e32 v21, v117, v4
	v_mbcnt_lo_u32_b32 v4, v21, 0
	v_mbcnt_hi_u32_b32 v115, v22, v4
	v_cmp_ne_u64_e32 vcc, 0, v[21:22]
	v_cmp_eq_u32_e64 s[38:39], 0, v115
	s_and_b64 s[40:41], vcc, s[38:39]
	v_add_u32_e32 v118, v91, v116
	; wave barrier
	s_and_saveexec_b64 s[38:39], s[40:41]
	s_cbranch_execz .LBB1951_94
; %bb.93:                               ;   in Loop: Header=BB1951_64 Depth=2
	v_bcnt_u32_b32 v4, v21, 0
	v_bcnt_u32_b32 v4, v22, v4
	s_waitcnt lgkmcnt(0)
	v_add_u32_e32 v4, v113, v4
	ds_write_b32 v118, v4 offset:1040
.LBB1951_94:                            ;   in Loop: Header=BB1951_64 Depth=2
	s_or_b64 exec, exec, s[38:39]
	v_cmp_gt_i16_e32 vcc, 0, v108
	v_cndmask_b32_e64 v4, v65, 0, vcc
	v_xor_b32_e32 v116, v4, v108
	v_cmp_ne_u16_e32 vcc, s7, v116
	v_cndmask_b32_e32 v4, v65, v116, vcc
	v_lshrrev_b32_sdwa v4, s62, v4 dst_sel:DWORD dst_unused:UNUSED_PAD src0_sel:DWORD src1_sel:WORD_0
	v_and_b32_e32 v21, s63, v4
	v_mad_u32_u24 v4, v21, 20, v91
	; wave barrier
	ds_read_b32 v117, v4 offset:1040
	v_and_b32_e32 v4, 1, v21
	v_add_co_u32_e32 v22, vcc, -1, v4
	v_addc_co_u32_e64 v119, s[38:39], 0, -1, vcc
	v_cmp_ne_u32_e32 vcc, 0, v4
	v_xor_b32_e32 v4, vcc_hi, v119
	v_and_b32_e32 v119, exec_hi, v4
	v_lshlrev_b32_e32 v4, 30, v21
	v_xor_b32_e32 v22, vcc_lo, v22
	v_cmp_gt_i64_e32 vcc, 0, v[3:4]
	v_not_b32_e32 v4, v4
	v_ashrrev_i32_e32 v4, 31, v4
	v_and_b32_e32 v22, exec_lo, v22
	v_xor_b32_e32 v120, vcc_hi, v4
	v_xor_b32_e32 v4, vcc_lo, v4
	v_and_b32_e32 v22, v22, v4
	v_lshlrev_b32_e32 v4, 29, v21
	v_cmp_gt_i64_e32 vcc, 0, v[3:4]
	v_not_b32_e32 v4, v4
	v_ashrrev_i32_e32 v4, 31, v4
	v_and_b32_e32 v119, v119, v120
	v_xor_b32_e32 v120, vcc_hi, v4
	v_xor_b32_e32 v4, vcc_lo, v4
	v_and_b32_e32 v22, v22, v4
	v_lshlrev_b32_e32 v4, 28, v21
	v_cmp_gt_i64_e32 vcc, 0, v[3:4]
	v_not_b32_e32 v4, v4
	v_ashrrev_i32_e32 v4, 31, v4
	v_and_b32_e32 v119, v119, v120
	;; [unrolled: 8-line block ×5, first 2 shown]
	v_xor_b32_e32 v120, vcc_hi, v4
	v_xor_b32_e32 v4, vcc_lo, v4
	v_and_b32_e32 v119, v119, v120
	v_and_b32_e32 v120, v22, v4
	v_lshlrev_b32_e32 v4, 24, v21
	v_cmp_gt_i64_e32 vcc, 0, v[3:4]
	v_not_b32_e32 v4, v4
	v_ashrrev_i32_e32 v4, 31, v4
	v_mul_u32_u24_e32 v108, 20, v21
	v_xor_b32_e32 v21, vcc_hi, v4
	v_xor_b32_e32 v4, vcc_lo, v4
	v_and_b32_e32 v22, v119, v21
	v_and_b32_e32 v21, v120, v4
	v_mbcnt_lo_u32_b32 v4, v21, 0
	v_mbcnt_hi_u32_b32 v119, v22, v4
	v_cmp_ne_u64_e32 vcc, 0, v[21:22]
	v_cmp_eq_u32_e64 s[38:39], 0, v119
	s_and_b64 s[40:41], vcc, s[38:39]
	v_add_u32_e32 v108, v91, v108
	; wave barrier
	s_and_saveexec_b64 s[38:39], s[40:41]
	s_cbranch_execz .LBB1951_96
; %bb.95:                               ;   in Loop: Header=BB1951_64 Depth=2
	v_bcnt_u32_b32 v4, v21, 0
	v_bcnt_u32_b32 v4, v22, v4
	s_waitcnt lgkmcnt(0)
	v_add_u32_e32 v4, v117, v4
	ds_write_b32 v108, v4 offset:1040
.LBB1951_96:                            ;   in Loop: Header=BB1951_64 Depth=2
	s_or_b64 exec, exec, s[38:39]
	v_cmp_gt_i16_e32 vcc, 0, v24
	v_cndmask_b32_e64 v4, v65, 0, vcc
	v_xor_b32_e32 v120, v4, v24
	v_cmp_ne_u16_e32 vcc, s7, v120
	v_cndmask_b32_e32 v4, v65, v120, vcc
	v_lshrrev_b32_sdwa v4, s62, v4 dst_sel:DWORD dst_unused:UNUSED_PAD src0_sel:DWORD src1_sel:WORD_0
	v_and_b32_e32 v21, s63, v4
	v_mad_u32_u24 v4, v21, 20, v91
	; wave barrier
	ds_read_b32 v121, v4 offset:1040
	v_and_b32_e32 v4, 1, v21
	v_add_co_u32_e32 v22, vcc, -1, v4
	v_addc_co_u32_e64 v122, s[38:39], 0, -1, vcc
	v_cmp_ne_u32_e32 vcc, 0, v4
	v_xor_b32_e32 v4, vcc_hi, v122
	v_and_b32_e32 v122, exec_hi, v4
	v_lshlrev_b32_e32 v4, 30, v21
	v_xor_b32_e32 v22, vcc_lo, v22
	v_cmp_gt_i64_e32 vcc, 0, v[3:4]
	v_not_b32_e32 v4, v4
	v_ashrrev_i32_e32 v4, 31, v4
	v_and_b32_e32 v22, exec_lo, v22
	v_xor_b32_e32 v123, vcc_hi, v4
	v_xor_b32_e32 v4, vcc_lo, v4
	v_and_b32_e32 v22, v22, v4
	v_lshlrev_b32_e32 v4, 29, v21
	v_cmp_gt_i64_e32 vcc, 0, v[3:4]
	v_not_b32_e32 v4, v4
	v_ashrrev_i32_e32 v4, 31, v4
	v_and_b32_e32 v122, v122, v123
	v_xor_b32_e32 v123, vcc_hi, v4
	v_xor_b32_e32 v4, vcc_lo, v4
	v_and_b32_e32 v22, v22, v4
	v_lshlrev_b32_e32 v4, 28, v21
	v_cmp_gt_i64_e32 vcc, 0, v[3:4]
	v_not_b32_e32 v4, v4
	v_ashrrev_i32_e32 v4, 31, v4
	v_and_b32_e32 v122, v122, v123
	;; [unrolled: 8-line block ×5, first 2 shown]
	v_xor_b32_e32 v123, vcc_hi, v4
	v_xor_b32_e32 v4, vcc_lo, v4
	v_and_b32_e32 v122, v122, v123
	v_and_b32_e32 v123, v22, v4
	v_lshlrev_b32_e32 v4, 24, v21
	v_cmp_gt_i64_e32 vcc, 0, v[3:4]
	v_not_b32_e32 v4, v4
	v_ashrrev_i32_e32 v4, 31, v4
	v_mul_u32_u24_e32 v24, 20, v21
	v_xor_b32_e32 v21, vcc_hi, v4
	v_xor_b32_e32 v4, vcc_lo, v4
	v_and_b32_e32 v22, v122, v21
	v_and_b32_e32 v21, v123, v4
	v_mbcnt_lo_u32_b32 v4, v21, 0
	v_mbcnt_hi_u32_b32 v122, v22, v4
	v_cmp_ne_u64_e32 vcc, 0, v[21:22]
	v_cmp_eq_u32_e64 s[38:39], 0, v122
	s_and_b64 s[40:41], vcc, s[38:39]
	v_add_u32_e32 v125, v91, v24
	; wave barrier
	s_and_saveexec_b64 s[38:39], s[40:41]
	s_cbranch_execz .LBB1951_98
; %bb.97:                               ;   in Loop: Header=BB1951_64 Depth=2
	v_bcnt_u32_b32 v4, v21, 0
	v_bcnt_u32_b32 v4, v22, v4
	s_waitcnt lgkmcnt(0)
	v_add_u32_e32 v4, v121, v4
	ds_write_b32 v125, v4 offset:1040
.LBB1951_98:                            ;   in Loop: Header=BB1951_64 Depth=2
	s_or_b64 exec, exec, s[38:39]
	v_cmp_gt_i16_e32 vcc, 0, v23
	v_cndmask_b32_e64 v4, v65, 0, vcc
	v_xor_b32_e32 v123, v4, v23
	v_cmp_ne_u16_e32 vcc, s7, v123
	v_cndmask_b32_e32 v4, v65, v123, vcc
	v_lshrrev_b32_sdwa v4, s62, v4 dst_sel:DWORD dst_unused:UNUSED_PAD src0_sel:DWORD src1_sel:WORD_0
	v_and_b32_e32 v21, s63, v4
	v_mad_u32_u24 v4, v21, 20, v91
	; wave barrier
	ds_read_b32 v124, v4 offset:1040
	v_and_b32_e32 v4, 1, v21
	v_add_co_u32_e32 v22, vcc, -1, v4
	v_addc_co_u32_e64 v24, s[38:39], 0, -1, vcc
	v_cmp_ne_u32_e32 vcc, 0, v4
	v_xor_b32_e32 v4, vcc_hi, v24
	v_and_b32_e32 v24, exec_hi, v4
	v_lshlrev_b32_e32 v4, 30, v21
	v_xor_b32_e32 v22, vcc_lo, v22
	v_cmp_gt_i64_e32 vcc, 0, v[3:4]
	v_not_b32_e32 v4, v4
	v_ashrrev_i32_e32 v4, 31, v4
	v_and_b32_e32 v22, exec_lo, v22
	v_xor_b32_e32 v126, vcc_hi, v4
	v_xor_b32_e32 v4, vcc_lo, v4
	v_and_b32_e32 v22, v22, v4
	v_lshlrev_b32_e32 v4, 29, v21
	v_cmp_gt_i64_e32 vcc, 0, v[3:4]
	v_not_b32_e32 v4, v4
	v_ashrrev_i32_e32 v4, 31, v4
	v_and_b32_e32 v24, v24, v126
	v_xor_b32_e32 v126, vcc_hi, v4
	v_xor_b32_e32 v4, vcc_lo, v4
	v_and_b32_e32 v22, v22, v4
	v_lshlrev_b32_e32 v4, 28, v21
	v_cmp_gt_i64_e32 vcc, 0, v[3:4]
	v_not_b32_e32 v4, v4
	v_ashrrev_i32_e32 v4, 31, v4
	v_and_b32_e32 v24, v24, v126
	;; [unrolled: 8-line block ×5, first 2 shown]
	v_xor_b32_e32 v126, vcc_hi, v4
	v_xor_b32_e32 v4, vcc_lo, v4
	v_and_b32_e32 v24, v24, v126
	v_and_b32_e32 v126, v22, v4
	v_lshlrev_b32_e32 v4, 24, v21
	v_cmp_gt_i64_e32 vcc, 0, v[3:4]
	v_not_b32_e32 v4, v4
	v_ashrrev_i32_e32 v4, 31, v4
	v_mul_u32_u24_e32 v23, 20, v21
	v_xor_b32_e32 v21, vcc_hi, v4
	v_xor_b32_e32 v4, vcc_lo, v4
	v_and_b32_e32 v22, v24, v21
	v_and_b32_e32 v21, v126, v4
	v_mbcnt_lo_u32_b32 v4, v21, 0
	v_mbcnt_hi_u32_b32 v126, v22, v4
	v_cmp_ne_u64_e32 vcc, 0, v[21:22]
	v_cmp_eq_u32_e64 s[38:39], 0, v126
	s_and_b64 s[40:41], vcc, s[38:39]
	v_add_u32_e32 v4, v91, v23
	; wave barrier
	s_and_saveexec_b64 s[38:39], s[40:41]
	s_cbranch_execz .LBB1951_100
; %bb.99:                               ;   in Loop: Header=BB1951_64 Depth=2
	v_bcnt_u32_b32 v21, v21, 0
	v_bcnt_u32_b32 v21, v22, v21
	s_waitcnt lgkmcnt(0)
	v_add_u32_e32 v21, v124, v21
	ds_write_b32 v4, v21 offset:1040
.LBB1951_100:                           ;   in Loop: Header=BB1951_64 Depth=2
	s_or_b64 exec, exec, s[38:39]
	; wave barrier
	s_waitcnt lgkmcnt(0)
	s_barrier
	ds_read2_b32 v[23:24], v62 offset1:1
	ds_read2_b32 v[21:22], v63 offset1:1
	ds_read_b32 v127, v41 offset:1056
	s_waitcnt lgkmcnt(1)
	v_add3_u32 v128, v24, v23, v21
	s_waitcnt lgkmcnt(0)
	v_add3_u32 v127, v128, v22, v127
	s_nop 1
	v_mov_b32_dpp v128, v127 row_shr:1 row_mask:0xf bank_mask:0xf
	v_cndmask_b32_e64 v128, v128, 0, s[18:19]
	v_add_u32_e32 v127, v128, v127
	s_nop 1
	v_mov_b32_dpp v128, v127 row_shr:2 row_mask:0xf bank_mask:0xf
	v_cndmask_b32_e64 v128, 0, v128, s[20:21]
	v_add_u32_e32 v127, v127, v128
	;; [unrolled: 4-line block ×4, first 2 shown]
	s_nop 1
	v_mov_b32_dpp v128, v127 row_bcast:15 row_mask:0xf bank_mask:0xf
	v_cndmask_b32_e64 v128, v128, 0, s[26:27]
	v_add_u32_e32 v127, v127, v128
	s_nop 1
	v_mov_b32_dpp v128, v127 row_bcast:31 row_mask:0xf bank_mask:0xf
	v_cndmask_b32_e64 v128, 0, v128, s[28:29]
	v_add_u32_e32 v127, v127, v128
	s_and_saveexec_b64 s[38:39], s[8:9]
; %bb.101:                              ;   in Loop: Header=BB1951_64 Depth=2
	ds_write_b32 v37, v127 offset:1024
; %bb.102:                              ;   in Loop: Header=BB1951_64 Depth=2
	s_or_b64 exec, exec, s[38:39]
	s_waitcnt lgkmcnt(0)
	s_barrier
	s_and_saveexec_b64 s[38:39], s[10:11]
	s_cbranch_execz .LBB1951_104
; %bb.103:                              ;   in Loop: Header=BB1951_64 Depth=2
	ds_read_b32 v128, v42 offset:1024
	s_waitcnt lgkmcnt(0)
	s_nop 0
	v_mov_b32_dpp v129, v128 row_shr:1 row_mask:0xf bank_mask:0xf
	v_cndmask_b32_e64 v129, v129, 0, s[34:35]
	v_add_u32_e32 v128, v129, v128
	s_nop 1
	v_mov_b32_dpp v129, v128 row_shr:2 row_mask:0xf bank_mask:0xf
	v_cndmask_b32_e64 v129, 0, v129, s[36:37]
	v_add_u32_e32 v128, v128, v129
	ds_write_b32 v42, v128 offset:1024
.LBB1951_104:                           ;   in Loop: Header=BB1951_64 Depth=2
	s_or_b64 exec, exec, s[38:39]
	v_mov_b32_e32 v128, 0
	s_waitcnt lgkmcnt(0)
	s_barrier
	s_and_saveexec_b64 s[38:39], s[12:13]
; %bb.105:                              ;   in Loop: Header=BB1951_64 Depth=2
	ds_read_b32 v128, v37 offset:1020
; %bb.106:                              ;   in Loop: Header=BB1951_64 Depth=2
	s_or_b64 exec, exec, s[38:39]
	s_waitcnt lgkmcnt(0)
	v_add_u32_e32 v127, v128, v127
	ds_bpermute_b32 v127, v82, v127
	s_waitcnt lgkmcnt(0)
	v_cndmask_b32_e64 v127, v127, v128, s[30:31]
	v_cndmask_b32_e64 v127, v127, 0, s[14:15]
	v_add_u32_e32 v23, v127, v23
	v_add_u32_e32 v24, v23, v24
	;; [unrolled: 1-line block ×4, first 2 shown]
	ds_write2_b32 v62, v127, v23 offset1:1
	ds_write2_b32 v63, v24, v21 offset1:1
	ds_write_b32 v41, v22 offset:1056
	s_waitcnt lgkmcnt(0)
	s_barrier
	ds_read_b32 v21, v101 offset:1040
	ds_read_b32 v22, v105 offset:1040
	;; [unrolled: 1-line block ×9, first 2 shown]
	v_mov_b32_e32 v4, 0x800
	s_and_saveexec_b64 s[38:39], s[16:17]
; %bb.107:                              ;   in Loop: Header=BB1951_64 Depth=2
	ds_read_b32 v4, v41 offset:1060
; %bb.108:                              ;   in Loop: Header=BB1951_64 Depth=2
	s_or_b64 exec, exec, s[38:39]
	s_waitcnt lgkmcnt(0)
	s_barrier
	s_and_saveexec_b64 s[38:39], s[4:5]
	s_cbranch_execz .LBB1951_110
; %bb.109:                              ;   in Loop: Header=BB1951_64 Depth=2
	ds_read_b32 v105, v25
	s_waitcnt lgkmcnt(0)
	v_sub_u32_e32 v101, v105, v101
	ds_write_b32 v25, v101
.LBB1951_110:                           ;   in Loop: Header=BB1951_64 Depth=2
	s_or_b64 exec, exec, s[38:39]
	v_add_u32_e32 v108, v21, v98
	v_add3_u32 v105, v102, v100, v22
	v_lshlrev_b32_e32 v21, 1, v108
	v_add3_u32 v102, v106, v104, v23
	ds_write_b16 v21, v97 offset:1024
	v_lshlrev_b32_e32 v21, 1, v105
	v_add3_u32 v101, v111, v109, v24
	ds_write_b16 v21, v99 offset:1024
	;; [unrolled: 3-line block ×6, first 2 shown]
	v_lshlrev_b32_e32 v21, 1, v24
	ds_write_b16 v21, v120 offset:1024
	v_lshlrev_b32_e32 v21, 1, v23
	v_cmp_lt_u32_e32 vcc, v0, v96
	ds_write_b16 v21, v123 offset:1024
	s_waitcnt lgkmcnt(0)
	s_barrier
	s_and_saveexec_b64 s[40:41], vcc
	s_cbranch_execnz .LBB1951_147
; %bb.111:                              ;   in Loop: Header=BB1951_64 Depth=2
	s_or_b64 exec, exec, s[40:41]
	v_cmp_lt_u32_e64 s[38:39], v26, v96
	s_and_saveexec_b64 s[42:43], s[38:39]
	s_cbranch_execnz .LBB1951_148
.LBB1951_112:                           ;   in Loop: Header=BB1951_64 Depth=2
	s_or_b64 exec, exec, s[42:43]
	v_cmp_lt_u32_e64 s[40:41], v27, v96
	s_and_saveexec_b64 s[44:45], s[40:41]
	s_cbranch_execnz .LBB1951_149
.LBB1951_113:                           ;   in Loop: Header=BB1951_64 Depth=2
	s_or_b64 exec, exec, s[44:45]
	v_cmp_lt_u32_e64 s[42:43], v28, v96
	s_and_saveexec_b64 s[46:47], s[42:43]
	s_cbranch_execnz .LBB1951_150
.LBB1951_114:                           ;   in Loop: Header=BB1951_64 Depth=2
	s_or_b64 exec, exec, s[46:47]
	v_cmp_lt_u32_e64 s[44:45], v31, v96
	s_and_saveexec_b64 s[48:49], s[44:45]
	s_cbranch_execnz .LBB1951_151
.LBB1951_115:                           ;   in Loop: Header=BB1951_64 Depth=2
	s_or_b64 exec, exec, s[48:49]
	v_cmp_lt_u32_e64 s[46:47], v32, v96
	s_and_saveexec_b64 s[50:51], s[46:47]
	s_cbranch_execnz .LBB1951_152
.LBB1951_116:                           ;   in Loop: Header=BB1951_64 Depth=2
	s_or_b64 exec, exec, s[50:51]
	v_cmp_lt_u32_e64 s[48:49], v33, v96
	s_and_saveexec_b64 s[52:53], s[48:49]
	s_cbranch_execnz .LBB1951_153
.LBB1951_117:                           ;   in Loop: Header=BB1951_64 Depth=2
	s_or_b64 exec, exec, s[52:53]
	v_cmp_lt_u32_e64 s[50:51], v34, v96
	s_and_saveexec_b64 s[60:61], s[50:51]
	s_cbranch_execz .LBB1951_119
.LBB1951_118:                           ;   in Loop: Header=BB1951_64 Depth=2
	ds_read_u16 v21, v47 offset:4608
	v_mov_b32_e32 v22, v3
	v_mov_b32_e32 v99, s67
	s_waitcnt lgkmcnt(0)
	v_cmp_ne_u16_e64 s[52:53], s7, v21
	v_cndmask_b32_e64 v97, v65, v21, s[52:53]
	v_lshrrev_b32_sdwa v97, s62, v97 dst_sel:DWORD dst_unused:UNUSED_PAD src0_sel:DWORD src1_sel:WORD_0
	v_and_b32_e32 v97, s63, v97
	v_lshlrev_b32_e32 v97, 2, v97
	ds_read_b32 v97, v97
	v_cmp_gt_i16_e64 s[52:53], 0, v21
	v_cndmask_b32_e64 v103, v65, 0, s[52:53]
	v_xor_b32_e32 v103, v103, v21
	s_waitcnt lgkmcnt(0)
	v_add_u32_e32 v21, v97, v34
	v_lshlrev_b64 v[21:22], 1, v[21:22]
	v_add_co_u32_e64 v21, s[52:53], s66, v21
	v_addc_co_u32_e64 v22, s[52:53], v99, v22, s[52:53]
	global_store_short v[21:22], v103, off
.LBB1951_119:                           ;   in Loop: Header=BB1951_64 Depth=2
	s_or_b64 exec, exec, s[60:61]
	s_lshl_b64 s[52:53], s[58:59], 3
	v_mov_b32_e32 v22, s53
	v_add_co_u32_e64 v21, s[52:53], s52, v83
	v_addc_co_u32_e64 v22, s[52:53], v84, v22, s[52:53]
	v_cmp_lt_u32_e64 s[52:53], v73, v96
	s_and_saveexec_b64 s[60:61], s[52:53]
	s_xor_b64 s[52:53], exec, s[60:61]
	s_cbranch_execnz .LBB1951_154
; %bb.120:                              ;   in Loop: Header=BB1951_64 Depth=2
	s_or_b64 exec, exec, s[52:53]
	v_cmp_lt_u32_e64 s[52:53], v74, v96
	s_and_saveexec_b64 s[60:61], s[52:53]
	s_cbranch_execnz .LBB1951_155
.LBB1951_121:                           ;   in Loop: Header=BB1951_64 Depth=2
	s_or_b64 exec, exec, s[60:61]
	v_cmp_lt_u32_e64 s[52:53], v75, v96
	s_and_saveexec_b64 s[60:61], s[52:53]
	s_cbranch_execnz .LBB1951_156
.LBB1951_122:                           ;   in Loop: Header=BB1951_64 Depth=2
	s_or_b64 exec, exec, s[60:61]
	v_cmp_lt_u32_e64 s[52:53], v76, v96
	s_and_saveexec_b64 s[60:61], s[52:53]
	s_cbranch_execnz .LBB1951_157
.LBB1951_123:                           ;   in Loop: Header=BB1951_64 Depth=2
	s_or_b64 exec, exec, s[60:61]
	v_cmp_lt_u32_e64 s[52:53], v77, v96
	s_and_saveexec_b64 s[60:61], s[52:53]
	s_cbranch_execnz .LBB1951_158
.LBB1951_124:                           ;   in Loop: Header=BB1951_64 Depth=2
	s_or_b64 exec, exec, s[60:61]
	v_cmp_lt_u32_e64 s[52:53], v78, v96
	s_and_saveexec_b64 s[60:61], s[52:53]
	s_cbranch_execnz .LBB1951_159
.LBB1951_125:                           ;   in Loop: Header=BB1951_64 Depth=2
	s_or_b64 exec, exec, s[60:61]
	v_cmp_lt_u32_e64 s[52:53], v79, v96
	s_and_saveexec_b64 s[60:61], s[52:53]
	s_cbranch_execnz .LBB1951_160
.LBB1951_126:                           ;   in Loop: Header=BB1951_64 Depth=2
	s_or_b64 exec, exec, s[60:61]
	v_cmp_lt_u32_e64 s[52:53], v80, v96
	s_and_saveexec_b64 s[60:61], s[52:53]
	s_cbranch_execnz .LBB1951_161
.LBB1951_127:                           ;   in Loop: Header=BB1951_64 Depth=2
	s_or_b64 exec, exec, s[60:61]
	s_and_saveexec_b64 s[60:61], vcc
	s_cbranch_execnz .LBB1951_162
.LBB1951_128:                           ;   in Loop: Header=BB1951_64 Depth=2
	s_or_b64 exec, exec, s[60:61]
	s_and_saveexec_b64 s[60:61], s[38:39]
	s_cbranch_execnz .LBB1951_163
.LBB1951_129:                           ;   in Loop: Header=BB1951_64 Depth=2
	s_or_b64 exec, exec, s[60:61]
	s_and_saveexec_b64 s[60:61], s[40:41]
	s_cbranch_execnz .LBB1951_164
.LBB1951_130:                           ;   in Loop: Header=BB1951_64 Depth=2
	s_or_b64 exec, exec, s[60:61]
	s_and_saveexec_b64 s[60:61], s[42:43]
	s_cbranch_execnz .LBB1951_165
.LBB1951_131:                           ;   in Loop: Header=BB1951_64 Depth=2
	s_or_b64 exec, exec, s[60:61]
	s_and_saveexec_b64 s[60:61], s[44:45]
	s_cbranch_execnz .LBB1951_166
.LBB1951_132:                           ;   in Loop: Header=BB1951_64 Depth=2
	s_or_b64 exec, exec, s[60:61]
	s_and_saveexec_b64 s[60:61], s[46:47]
	s_cbranch_execnz .LBB1951_167
.LBB1951_133:                           ;   in Loop: Header=BB1951_64 Depth=2
	s_or_b64 exec, exec, s[60:61]
	s_and_saveexec_b64 s[60:61], s[48:49]
	s_cbranch_execnz .LBB1951_168
.LBB1951_134:                           ;   in Loop: Header=BB1951_64 Depth=2
	s_or_b64 exec, exec, s[60:61]
	s_and_saveexec_b64 s[60:61], s[50:51]
	s_cbranch_execz .LBB1951_136
.LBB1951_135:                           ;   in Loop: Header=BB1951_64 Depth=2
	ds_read_u16 v21, v47 offset:4608
	s_waitcnt lgkmcnt(0)
	v_cmp_ne_u16_e64 s[52:53], s7, v21
	v_cndmask_b32_e64 v21, v65, v21, s[52:53]
	v_lshrrev_b32_sdwa v21, s62, v21 dst_sel:DWORD dst_unused:UNUSED_PAD src0_sel:DWORD src1_sel:WORD_0
	v_and_b32_e32 v87, s63, v21
.LBB1951_136:                           ;   in Loop: Header=BB1951_64 Depth=2
	s_or_b64 exec, exec, s[60:61]
	v_lshlrev_b32_e32 v21, 3, v108
	s_waitcnt vmcnt(0)
	s_barrier
	ds_write_b64 v21, v[19:20] offset:1024
	v_lshlrev_b32_e32 v21, 3, v105
	ds_write_b64 v21, v[17:18] offset:1024
	v_lshlrev_b32_e32 v21, 3, v102
	;; [unrolled: 2-line block ×7, first 2 shown]
	ds_write_b64 v21, v[5:6] offset:1024
	s_waitcnt lgkmcnt(0)
	s_barrier
	s_and_saveexec_b64 s[52:53], vcc
	s_cbranch_execnz .LBB1951_169
; %bb.137:                              ;   in Loop: Header=BB1951_64 Depth=2
	s_or_b64 exec, exec, s[52:53]
	s_and_saveexec_b64 s[52:53], s[38:39]
	s_cbranch_execnz .LBB1951_170
.LBB1951_138:                           ;   in Loop: Header=BB1951_64 Depth=2
	s_or_b64 exec, exec, s[52:53]
	s_and_saveexec_b64 s[38:39], s[40:41]
	s_cbranch_execnz .LBB1951_171
.LBB1951_139:                           ;   in Loop: Header=BB1951_64 Depth=2
	s_or_b64 exec, exec, s[38:39]
	s_and_saveexec_b64 s[38:39], s[42:43]
	s_cbranch_execnz .LBB1951_172
.LBB1951_140:                           ;   in Loop: Header=BB1951_64 Depth=2
	s_or_b64 exec, exec, s[38:39]
	s_and_saveexec_b64 s[38:39], s[44:45]
	s_cbranch_execnz .LBB1951_173
.LBB1951_141:                           ;   in Loop: Header=BB1951_64 Depth=2
	s_or_b64 exec, exec, s[38:39]
	s_and_saveexec_b64 s[38:39], s[46:47]
	s_cbranch_execnz .LBB1951_174
.LBB1951_142:                           ;   in Loop: Header=BB1951_64 Depth=2
	s_or_b64 exec, exec, s[38:39]
	s_and_saveexec_b64 s[38:39], s[48:49]
	s_cbranch_execnz .LBB1951_175
.LBB1951_143:                           ;   in Loop: Header=BB1951_64 Depth=2
	s_or_b64 exec, exec, s[38:39]
	s_and_saveexec_b64 s[38:39], s[50:51]
	s_cbranch_execz .LBB1951_145
.LBB1951_144:                           ;   in Loop: Header=BB1951_64 Depth=2
	v_lshlrev_b32_e32 v21, 2, v87
	ds_read_b32 v23, v21
	v_add_u32_e32 v21, v47, v48
	ds_read_b64 v[21:22], v21 offset:15360
	v_mov_b32_e32 v24, v3
	v_mov_b32_e32 v96, s73
	s_waitcnt lgkmcnt(1)
	v_add_u32_e32 v23, v23, v34
	v_lshlrev_b64 v[23:24], 3, v[23:24]
	v_add_co_u32_e32 v23, vcc, s72, v23
	v_addc_co_u32_e32 v24, vcc, v96, v24, vcc
	s_waitcnt lgkmcnt(0)
	global_store_dwordx2 v[23:24], v[21:22], off
.LBB1951_145:                           ;   in Loop: Header=BB1951_64 Depth=2
	s_or_b64 exec, exec, s[38:39]
	s_waitcnt vmcnt(0)
	s_barrier
	s_and_saveexec_b64 s[38:39], s[4:5]
	s_cbranch_execz .LBB1951_63
; %bb.146:                              ;   in Loop: Header=BB1951_64 Depth=2
	ds_read_b32 v21, v25
	s_waitcnt lgkmcnt(0)
	v_add_u32_e32 v4, v21, v4
	ds_write_b32 v25, v4
	s_branch .LBB1951_63
.LBB1951_147:                           ;   in Loop: Header=BB1951_64 Depth=2
	ds_read_u16 v21, v47 offset:1024
	v_mov_b32_e32 v22, v3
	v_mov_b32_e32 v99, s67
	s_waitcnt lgkmcnt(0)
	v_cmp_ne_u16_e64 s[38:39], s7, v21
	v_cndmask_b32_e64 v97, v65, v21, s[38:39]
	v_lshrrev_b32_sdwa v97, s62, v97 dst_sel:DWORD dst_unused:UNUSED_PAD src0_sel:DWORD src1_sel:WORD_0
	v_and_b32_e32 v97, s63, v97
	v_lshlrev_b32_e32 v97, 2, v97
	ds_read_b32 v97, v97
	v_cmp_gt_i16_e64 s[38:39], 0, v21
	v_cndmask_b32_e64 v103, v65, 0, s[38:39]
	v_xor_b32_e32 v103, v103, v21
	s_waitcnt lgkmcnt(0)
	v_add_u32_e32 v21, v97, v0
	v_lshlrev_b64 v[21:22], 1, v[21:22]
	v_add_co_u32_e64 v21, s[38:39], s66, v21
	v_addc_co_u32_e64 v22, s[38:39], v99, v22, s[38:39]
	global_store_short v[21:22], v103, off
	s_or_b64 exec, exec, s[40:41]
	v_cmp_lt_u32_e64 s[38:39], v26, v96
	s_and_saveexec_b64 s[42:43], s[38:39]
	s_cbranch_execz .LBB1951_112
.LBB1951_148:                           ;   in Loop: Header=BB1951_64 Depth=2
	ds_read_u16 v21, v47 offset:1536
	v_mov_b32_e32 v22, v3
	v_mov_b32_e32 v99, s67
	s_waitcnt lgkmcnt(0)
	v_cmp_ne_u16_e64 s[40:41], s7, v21
	v_cndmask_b32_e64 v97, v65, v21, s[40:41]
	v_lshrrev_b32_sdwa v97, s62, v97 dst_sel:DWORD dst_unused:UNUSED_PAD src0_sel:DWORD src1_sel:WORD_0
	v_and_b32_e32 v97, s63, v97
	v_lshlrev_b32_e32 v97, 2, v97
	ds_read_b32 v97, v97
	v_cmp_gt_i16_e64 s[40:41], 0, v21
	v_cndmask_b32_e64 v103, v65, 0, s[40:41]
	v_xor_b32_e32 v103, v103, v21
	s_waitcnt lgkmcnt(0)
	v_add_u32_e32 v21, v97, v26
	v_lshlrev_b64 v[21:22], 1, v[21:22]
	v_add_co_u32_e64 v21, s[40:41], s66, v21
	v_addc_co_u32_e64 v22, s[40:41], v99, v22, s[40:41]
	global_store_short v[21:22], v103, off
	s_or_b64 exec, exec, s[42:43]
	v_cmp_lt_u32_e64 s[40:41], v27, v96
	s_and_saveexec_b64 s[44:45], s[40:41]
	s_cbranch_execz .LBB1951_113
.LBB1951_149:                           ;   in Loop: Header=BB1951_64 Depth=2
	ds_read_u16 v21, v47 offset:2048
	v_mov_b32_e32 v22, v3
	v_mov_b32_e32 v99, s67
	s_waitcnt lgkmcnt(0)
	v_cmp_ne_u16_e64 s[42:43], s7, v21
	v_cndmask_b32_e64 v97, v65, v21, s[42:43]
	v_lshrrev_b32_sdwa v97, s62, v97 dst_sel:DWORD dst_unused:UNUSED_PAD src0_sel:DWORD src1_sel:WORD_0
	v_and_b32_e32 v97, s63, v97
	v_lshlrev_b32_e32 v97, 2, v97
	ds_read_b32 v97, v97
	v_cmp_gt_i16_e64 s[42:43], 0, v21
	v_cndmask_b32_e64 v103, v65, 0, s[42:43]
	v_xor_b32_e32 v103, v103, v21
	s_waitcnt lgkmcnt(0)
	v_add_u32_e32 v21, v97, v27
	v_lshlrev_b64 v[21:22], 1, v[21:22]
	v_add_co_u32_e64 v21, s[42:43], s66, v21
	v_addc_co_u32_e64 v22, s[42:43], v99, v22, s[42:43]
	global_store_short v[21:22], v103, off
	s_or_b64 exec, exec, s[44:45]
	v_cmp_lt_u32_e64 s[42:43], v28, v96
	s_and_saveexec_b64 s[46:47], s[42:43]
	s_cbranch_execz .LBB1951_114
.LBB1951_150:                           ;   in Loop: Header=BB1951_64 Depth=2
	ds_read_u16 v21, v47 offset:2560
	v_mov_b32_e32 v22, v3
	v_mov_b32_e32 v99, s67
	s_waitcnt lgkmcnt(0)
	v_cmp_ne_u16_e64 s[44:45], s7, v21
	v_cndmask_b32_e64 v97, v65, v21, s[44:45]
	v_lshrrev_b32_sdwa v97, s62, v97 dst_sel:DWORD dst_unused:UNUSED_PAD src0_sel:DWORD src1_sel:WORD_0
	v_and_b32_e32 v97, s63, v97
	v_lshlrev_b32_e32 v97, 2, v97
	ds_read_b32 v97, v97
	v_cmp_gt_i16_e64 s[44:45], 0, v21
	v_cndmask_b32_e64 v103, v65, 0, s[44:45]
	v_xor_b32_e32 v103, v103, v21
	s_waitcnt lgkmcnt(0)
	v_add_u32_e32 v21, v97, v28
	v_lshlrev_b64 v[21:22], 1, v[21:22]
	v_add_co_u32_e64 v21, s[44:45], s66, v21
	v_addc_co_u32_e64 v22, s[44:45], v99, v22, s[44:45]
	global_store_short v[21:22], v103, off
	s_or_b64 exec, exec, s[46:47]
	v_cmp_lt_u32_e64 s[44:45], v31, v96
	s_and_saveexec_b64 s[48:49], s[44:45]
	s_cbranch_execz .LBB1951_115
.LBB1951_151:                           ;   in Loop: Header=BB1951_64 Depth=2
	ds_read_u16 v21, v47 offset:3072
	v_mov_b32_e32 v22, v3
	v_mov_b32_e32 v99, s67
	s_waitcnt lgkmcnt(0)
	v_cmp_ne_u16_e64 s[46:47], s7, v21
	v_cndmask_b32_e64 v97, v65, v21, s[46:47]
	v_lshrrev_b32_sdwa v97, s62, v97 dst_sel:DWORD dst_unused:UNUSED_PAD src0_sel:DWORD src1_sel:WORD_0
	v_and_b32_e32 v97, s63, v97
	v_lshlrev_b32_e32 v97, 2, v97
	ds_read_b32 v97, v97
	v_cmp_gt_i16_e64 s[46:47], 0, v21
	v_cndmask_b32_e64 v103, v65, 0, s[46:47]
	v_xor_b32_e32 v103, v103, v21
	s_waitcnt lgkmcnt(0)
	v_add_u32_e32 v21, v97, v31
	v_lshlrev_b64 v[21:22], 1, v[21:22]
	v_add_co_u32_e64 v21, s[46:47], s66, v21
	v_addc_co_u32_e64 v22, s[46:47], v99, v22, s[46:47]
	global_store_short v[21:22], v103, off
	s_or_b64 exec, exec, s[48:49]
	v_cmp_lt_u32_e64 s[46:47], v32, v96
	s_and_saveexec_b64 s[50:51], s[46:47]
	s_cbranch_execz .LBB1951_116
.LBB1951_152:                           ;   in Loop: Header=BB1951_64 Depth=2
	ds_read_u16 v21, v47 offset:3584
	v_mov_b32_e32 v22, v3
	v_mov_b32_e32 v99, s67
	s_waitcnt lgkmcnt(0)
	v_cmp_ne_u16_e64 s[48:49], s7, v21
	v_cndmask_b32_e64 v97, v65, v21, s[48:49]
	v_lshrrev_b32_sdwa v97, s62, v97 dst_sel:DWORD dst_unused:UNUSED_PAD src0_sel:DWORD src1_sel:WORD_0
	v_and_b32_e32 v97, s63, v97
	v_lshlrev_b32_e32 v97, 2, v97
	ds_read_b32 v97, v97
	v_cmp_gt_i16_e64 s[48:49], 0, v21
	v_cndmask_b32_e64 v103, v65, 0, s[48:49]
	v_xor_b32_e32 v103, v103, v21
	s_waitcnt lgkmcnt(0)
	v_add_u32_e32 v21, v97, v32
	v_lshlrev_b64 v[21:22], 1, v[21:22]
	v_add_co_u32_e64 v21, s[48:49], s66, v21
	v_addc_co_u32_e64 v22, s[48:49], v99, v22, s[48:49]
	global_store_short v[21:22], v103, off
	s_or_b64 exec, exec, s[50:51]
	v_cmp_lt_u32_e64 s[48:49], v33, v96
	s_and_saveexec_b64 s[52:53], s[48:49]
	s_cbranch_execz .LBB1951_117
.LBB1951_153:                           ;   in Loop: Header=BB1951_64 Depth=2
	ds_read_u16 v21, v47 offset:4096
	v_mov_b32_e32 v22, v3
	v_mov_b32_e32 v99, s67
	s_waitcnt lgkmcnt(0)
	v_cmp_ne_u16_e64 s[50:51], s7, v21
	v_cndmask_b32_e64 v97, v65, v21, s[50:51]
	v_lshrrev_b32_sdwa v97, s62, v97 dst_sel:DWORD dst_unused:UNUSED_PAD src0_sel:DWORD src1_sel:WORD_0
	v_and_b32_e32 v97, s63, v97
	v_lshlrev_b32_e32 v97, 2, v97
	ds_read_b32 v97, v97
	v_cmp_gt_i16_e64 s[50:51], 0, v21
	v_cndmask_b32_e64 v103, v65, 0, s[50:51]
	v_xor_b32_e32 v103, v103, v21
	s_waitcnt lgkmcnt(0)
	v_add_u32_e32 v21, v97, v33
	v_lshlrev_b64 v[21:22], 1, v[21:22]
	v_add_co_u32_e64 v21, s[50:51], s66, v21
	v_addc_co_u32_e64 v22, s[50:51], v99, v22, s[50:51]
	global_store_short v[21:22], v103, off
	s_or_b64 exec, exec, s[52:53]
	v_cmp_lt_u32_e64 s[50:51], v34, v96
	s_and_saveexec_b64 s[60:61], s[50:51]
	s_cbranch_execnz .LBB1951_118
	s_branch .LBB1951_119
.LBB1951_154:                           ;   in Loop: Header=BB1951_64 Depth=2
	global_load_dwordx2 v[19:20], v[21:22], off
	s_or_b64 exec, exec, s[52:53]
	v_cmp_lt_u32_e64 s[52:53], v74, v96
	s_and_saveexec_b64 s[60:61], s[52:53]
	s_cbranch_execz .LBB1951_121
.LBB1951_155:                           ;   in Loop: Header=BB1951_64 Depth=2
	global_load_dwordx2 v[17:18], v[21:22], off offset:512
	s_or_b64 exec, exec, s[60:61]
	v_cmp_lt_u32_e64 s[52:53], v75, v96
	s_and_saveexec_b64 s[60:61], s[52:53]
	s_cbranch_execz .LBB1951_122
.LBB1951_156:                           ;   in Loop: Header=BB1951_64 Depth=2
	global_load_dwordx2 v[15:16], v[21:22], off offset:1024
	s_or_b64 exec, exec, s[60:61]
	v_cmp_lt_u32_e64 s[52:53], v76, v96
	s_and_saveexec_b64 s[60:61], s[52:53]
	s_cbranch_execz .LBB1951_123
.LBB1951_157:                           ;   in Loop: Header=BB1951_64 Depth=2
	global_load_dwordx2 v[13:14], v[21:22], off offset:1536
	s_or_b64 exec, exec, s[60:61]
	v_cmp_lt_u32_e64 s[52:53], v77, v96
	s_and_saveexec_b64 s[60:61], s[52:53]
	s_cbranch_execz .LBB1951_124
.LBB1951_158:                           ;   in Loop: Header=BB1951_64 Depth=2
	global_load_dwordx2 v[11:12], v[21:22], off offset:2048
	s_or_b64 exec, exec, s[60:61]
	v_cmp_lt_u32_e64 s[52:53], v78, v96
	s_and_saveexec_b64 s[60:61], s[52:53]
	s_cbranch_execz .LBB1951_125
.LBB1951_159:                           ;   in Loop: Header=BB1951_64 Depth=2
	global_load_dwordx2 v[9:10], v[21:22], off offset:2560
	s_or_b64 exec, exec, s[60:61]
	v_cmp_lt_u32_e64 s[52:53], v79, v96
	s_and_saveexec_b64 s[60:61], s[52:53]
	s_cbranch_execz .LBB1951_126
.LBB1951_160:                           ;   in Loop: Header=BB1951_64 Depth=2
	global_load_dwordx2 v[7:8], v[21:22], off offset:3072
	s_or_b64 exec, exec, s[60:61]
	v_cmp_lt_u32_e64 s[52:53], v80, v96
	s_and_saveexec_b64 s[60:61], s[52:53]
	s_cbranch_execz .LBB1951_127
.LBB1951_161:                           ;   in Loop: Header=BB1951_64 Depth=2
	global_load_dwordx2 v[5:6], v[21:22], off offset:3584
	s_or_b64 exec, exec, s[60:61]
	s_and_saveexec_b64 s[60:61], vcc
	s_cbranch_execz .LBB1951_128
.LBB1951_162:                           ;   in Loop: Header=BB1951_64 Depth=2
	ds_read_u16 v21, v47 offset:1024
	s_waitcnt lgkmcnt(0)
	v_cmp_ne_u16_e64 s[52:53], s7, v21
	v_cndmask_b32_e64 v21, v65, v21, s[52:53]
	v_lshrrev_b32_sdwa v21, s62, v21 dst_sel:DWORD dst_unused:UNUSED_PAD src0_sel:DWORD src1_sel:WORD_0
	v_and_b32_e32 v95, s63, v21
	s_or_b64 exec, exec, s[60:61]
	s_and_saveexec_b64 s[60:61], s[38:39]
	s_cbranch_execz .LBB1951_129
.LBB1951_163:                           ;   in Loop: Header=BB1951_64 Depth=2
	ds_read_u16 v21, v47 offset:1536
	s_waitcnt lgkmcnt(0)
	v_cmp_ne_u16_e64 s[52:53], s7, v21
	v_cndmask_b32_e64 v21, v65, v21, s[52:53]
	v_lshrrev_b32_sdwa v21, s62, v21 dst_sel:DWORD dst_unused:UNUSED_PAD src0_sel:DWORD src1_sel:WORD_0
	v_and_b32_e32 v94, s63, v21
	s_or_b64 exec, exec, s[60:61]
	s_and_saveexec_b64 s[60:61], s[40:41]
	s_cbranch_execz .LBB1951_130
.LBB1951_164:                           ;   in Loop: Header=BB1951_64 Depth=2
	ds_read_u16 v21, v47 offset:2048
	s_waitcnt lgkmcnt(0)
	v_cmp_ne_u16_e64 s[52:53], s7, v21
	v_cndmask_b32_e64 v21, v65, v21, s[52:53]
	v_lshrrev_b32_sdwa v21, s62, v21 dst_sel:DWORD dst_unused:UNUSED_PAD src0_sel:DWORD src1_sel:WORD_0
	v_and_b32_e32 v93, s63, v21
	s_or_b64 exec, exec, s[60:61]
	s_and_saveexec_b64 s[60:61], s[42:43]
	s_cbranch_execz .LBB1951_131
.LBB1951_165:                           ;   in Loop: Header=BB1951_64 Depth=2
	ds_read_u16 v21, v47 offset:2560
	s_waitcnt lgkmcnt(0)
	v_cmp_ne_u16_e64 s[52:53], s7, v21
	v_cndmask_b32_e64 v21, v65, v21, s[52:53]
	v_lshrrev_b32_sdwa v21, s62, v21 dst_sel:DWORD dst_unused:UNUSED_PAD src0_sel:DWORD src1_sel:WORD_0
	v_and_b32_e32 v92, s63, v21
	s_or_b64 exec, exec, s[60:61]
	s_and_saveexec_b64 s[60:61], s[44:45]
	s_cbranch_execz .LBB1951_132
.LBB1951_166:                           ;   in Loop: Header=BB1951_64 Depth=2
	ds_read_u16 v21, v47 offset:3072
	s_waitcnt lgkmcnt(0)
	v_cmp_ne_u16_e64 s[52:53], s7, v21
	v_cndmask_b32_e64 v21, v65, v21, s[52:53]
	v_lshrrev_b32_sdwa v21, s62, v21 dst_sel:DWORD dst_unused:UNUSED_PAD src0_sel:DWORD src1_sel:WORD_0
	v_and_b32_e32 v90, s63, v21
	s_or_b64 exec, exec, s[60:61]
	s_and_saveexec_b64 s[60:61], s[46:47]
	s_cbranch_execz .LBB1951_133
.LBB1951_167:                           ;   in Loop: Header=BB1951_64 Depth=2
	ds_read_u16 v21, v47 offset:3584
	s_waitcnt lgkmcnt(0)
	v_cmp_ne_u16_e64 s[52:53], s7, v21
	v_cndmask_b32_e64 v21, v65, v21, s[52:53]
	v_lshrrev_b32_sdwa v21, s62, v21 dst_sel:DWORD dst_unused:UNUSED_PAD src0_sel:DWORD src1_sel:WORD_0
	v_and_b32_e32 v89, s63, v21
	s_or_b64 exec, exec, s[60:61]
	s_and_saveexec_b64 s[60:61], s[48:49]
	s_cbranch_execz .LBB1951_134
.LBB1951_168:                           ;   in Loop: Header=BB1951_64 Depth=2
	ds_read_u16 v21, v47 offset:4096
	s_waitcnt lgkmcnt(0)
	v_cmp_ne_u16_e64 s[52:53], s7, v21
	v_cndmask_b32_e64 v21, v65, v21, s[52:53]
	v_lshrrev_b32_sdwa v21, s62, v21 dst_sel:DWORD dst_unused:UNUSED_PAD src0_sel:DWORD src1_sel:WORD_0
	v_and_b32_e32 v88, s63, v21
	s_or_b64 exec, exec, s[60:61]
	s_and_saveexec_b64 s[60:61], s[50:51]
	s_cbranch_execnz .LBB1951_135
	s_branch .LBB1951_136
.LBB1951_169:                           ;   in Loop: Header=BB1951_64 Depth=2
	v_lshlrev_b32_e32 v21, 2, v95
	ds_read_b32 v23, v21
	v_add_u32_e32 v21, v47, v48
	ds_read_b64 v[21:22], v21 offset:1024
	v_mov_b32_e32 v24, v3
	v_mov_b32_e32 v96, s73
	s_waitcnt lgkmcnt(1)
	v_add_u32_e32 v23, v23, v0
	v_lshlrev_b64 v[23:24], 3, v[23:24]
	v_add_co_u32_e32 v23, vcc, s72, v23
	v_addc_co_u32_e32 v24, vcc, v96, v24, vcc
	s_waitcnt lgkmcnt(0)
	global_store_dwordx2 v[23:24], v[21:22], off
	s_or_b64 exec, exec, s[52:53]
	s_and_saveexec_b64 s[52:53], s[38:39]
	s_cbranch_execz .LBB1951_138
.LBB1951_170:                           ;   in Loop: Header=BB1951_64 Depth=2
	v_lshlrev_b32_e32 v21, 2, v94
	ds_read_b32 v23, v21
	v_add_u32_e32 v21, v47, v48
	ds_read_b64 v[21:22], v21 offset:3072
	v_mov_b32_e32 v24, v3
	v_mov_b32_e32 v96, s73
	s_waitcnt lgkmcnt(1)
	v_add_u32_e32 v23, v23, v26
	v_lshlrev_b64 v[23:24], 3, v[23:24]
	v_add_co_u32_e32 v23, vcc, s72, v23
	v_addc_co_u32_e32 v24, vcc, v96, v24, vcc
	s_waitcnt lgkmcnt(0)
	global_store_dwordx2 v[23:24], v[21:22], off
	s_or_b64 exec, exec, s[52:53]
	s_and_saveexec_b64 s[38:39], s[40:41]
	s_cbranch_execz .LBB1951_139
.LBB1951_171:                           ;   in Loop: Header=BB1951_64 Depth=2
	v_lshlrev_b32_e32 v21, 2, v93
	ds_read_b32 v23, v21
	v_add_u32_e32 v21, v47, v48
	ds_read_b64 v[21:22], v21 offset:5120
	v_mov_b32_e32 v24, v3
	v_mov_b32_e32 v96, s73
	s_waitcnt lgkmcnt(1)
	v_add_u32_e32 v23, v23, v27
	v_lshlrev_b64 v[23:24], 3, v[23:24]
	v_add_co_u32_e32 v23, vcc, s72, v23
	v_addc_co_u32_e32 v24, vcc, v96, v24, vcc
	s_waitcnt lgkmcnt(0)
	global_store_dwordx2 v[23:24], v[21:22], off
	s_or_b64 exec, exec, s[38:39]
	s_and_saveexec_b64 s[38:39], s[42:43]
	s_cbranch_execz .LBB1951_140
.LBB1951_172:                           ;   in Loop: Header=BB1951_64 Depth=2
	v_lshlrev_b32_e32 v21, 2, v92
	ds_read_b32 v23, v21
	v_add_u32_e32 v21, v47, v48
	ds_read_b64 v[21:22], v21 offset:7168
	v_mov_b32_e32 v24, v3
	v_mov_b32_e32 v96, s73
	s_waitcnt lgkmcnt(1)
	v_add_u32_e32 v23, v23, v28
	v_lshlrev_b64 v[23:24], 3, v[23:24]
	v_add_co_u32_e32 v23, vcc, s72, v23
	v_addc_co_u32_e32 v24, vcc, v96, v24, vcc
	s_waitcnt lgkmcnt(0)
	global_store_dwordx2 v[23:24], v[21:22], off
	s_or_b64 exec, exec, s[38:39]
	s_and_saveexec_b64 s[38:39], s[44:45]
	s_cbranch_execz .LBB1951_141
.LBB1951_173:                           ;   in Loop: Header=BB1951_64 Depth=2
	v_lshlrev_b32_e32 v21, 2, v90
	ds_read_b32 v23, v21
	v_add_u32_e32 v21, v47, v48
	ds_read_b64 v[21:22], v21 offset:9216
	v_mov_b32_e32 v24, v3
	v_mov_b32_e32 v96, s73
	s_waitcnt lgkmcnt(1)
	v_add_u32_e32 v23, v23, v31
	v_lshlrev_b64 v[23:24], 3, v[23:24]
	v_add_co_u32_e32 v23, vcc, s72, v23
	v_addc_co_u32_e32 v24, vcc, v96, v24, vcc
	s_waitcnt lgkmcnt(0)
	global_store_dwordx2 v[23:24], v[21:22], off
	s_or_b64 exec, exec, s[38:39]
	s_and_saveexec_b64 s[38:39], s[46:47]
	s_cbranch_execz .LBB1951_142
.LBB1951_174:                           ;   in Loop: Header=BB1951_64 Depth=2
	v_lshlrev_b32_e32 v21, 2, v89
	ds_read_b32 v23, v21
	v_add_u32_e32 v21, v47, v48
	ds_read_b64 v[21:22], v21 offset:11264
	v_mov_b32_e32 v24, v3
	v_mov_b32_e32 v96, s73
	s_waitcnt lgkmcnt(1)
	v_add_u32_e32 v23, v23, v32
	v_lshlrev_b64 v[23:24], 3, v[23:24]
	v_add_co_u32_e32 v23, vcc, s72, v23
	v_addc_co_u32_e32 v24, vcc, v96, v24, vcc
	s_waitcnt lgkmcnt(0)
	global_store_dwordx2 v[23:24], v[21:22], off
	s_or_b64 exec, exec, s[38:39]
	s_and_saveexec_b64 s[38:39], s[48:49]
	s_cbranch_execz .LBB1951_143
.LBB1951_175:                           ;   in Loop: Header=BB1951_64 Depth=2
	v_lshlrev_b32_e32 v21, 2, v88
	ds_read_b32 v23, v21
	v_add_u32_e32 v21, v47, v48
	ds_read_b64 v[21:22], v21 offset:13312
	v_mov_b32_e32 v24, v3
	v_mov_b32_e32 v96, s73
	s_waitcnt lgkmcnt(1)
	v_add_u32_e32 v23, v23, v33
	v_lshlrev_b64 v[23:24], 3, v[23:24]
	v_add_co_u32_e32 v23, vcc, s72, v23
	v_addc_co_u32_e32 v24, vcc, v96, v24, vcc
	s_waitcnt lgkmcnt(0)
	global_store_dwordx2 v[23:24], v[21:22], off
	s_or_b64 exec, exec, s[38:39]
	s_and_saveexec_b64 s[38:39], s[50:51]
	s_cbranch_execnz .LBB1951_144
	s_branch .LBB1951_145
.LBB1951_176:                           ;   in Loop: Header=BB1951_12 Depth=1
	s_waitcnt lgkmcnt(0)
	s_barrier
	s_mov_b64 s[18:19], 0
.LBB1951_177:                           ;   in Loop: Header=BB1951_12 Depth=1
	s_and_b64 vcc, exec, s[18:19]
	s_cbranch_vccz .LBB1951_341
; %bb.178:                              ;   in Loop: Header=BB1951_12 Depth=1
	s_mov_b32 s22, s79
	s_mov_b32 s58, s80
	s_barrier
                                        ; implicit-def: $vgpr4
                                        ; implicit-def: $vgpr5
                                        ; implicit-def: $vgpr6
                                        ; implicit-def: $vgpr7
                                        ; implicit-def: $vgpr8
                                        ; implicit-def: $vgpr9
                                        ; implicit-def: $vgpr10
                                        ; implicit-def: $vgpr11
	s_branch .LBB1951_180
.LBB1951_179:                           ;   in Loop: Header=BB1951_180 Depth=2
	s_or_b64 exec, exec, s[18:19]
	s_addk_i32 s22, 0xf800
	s_cmp_ge_u32 s23, s81
	s_mov_b32 s58, s23
	s_cbranch_scc1 .LBB1951_216
.LBB1951_180:                           ;   Parent Loop BB1951_12 Depth=1
                                        ; =>  This Inner Loop Header: Depth=2
	s_add_i32 s23, s58, 0x800
	s_cmp_gt_u32 s23, s81
	s_mov_b64 s[18:19], -1
                                        ; implicit-def: $vgpr12
                                        ; implicit-def: $vgpr13
                                        ; implicit-def: $vgpr14
                                        ; implicit-def: $vgpr15
                                        ; implicit-def: $vgpr16
                                        ; implicit-def: $vgpr17
                                        ; implicit-def: $vgpr18
                                        ; implicit-def: $vgpr19
	s_cbranch_scc1 .LBB1951_182
; %bb.181:                              ;   in Loop: Header=BB1951_180 Depth=2
	s_lshl_b64 s[18:19], s[58:59], 1
	v_mov_b32_e32 v12, s19
	v_add_co_u32_e32 v20, vcc, s18, v49
	v_addc_co_u32_e32 v21, vcc, v50, v12, vcc
	global_load_ushort v12, v[20:21], off
	global_load_ushort v13, v[20:21], off offset:512
	global_load_ushort v14, v[20:21], off offset:1024
	;; [unrolled: 1-line block ×7, first 2 shown]
	s_mov_b64 s[18:19], 0
.LBB1951_182:                           ;   in Loop: Header=BB1951_180 Depth=2
	s_andn2_b64 vcc, exec, s[18:19]
	s_movk_i32 s20, 0x800
	s_cbranch_vccnz .LBB1951_193
; %bb.183:                              ;   in Loop: Header=BB1951_180 Depth=2
	s_lshl_b64 s[18:19], s[58:59], 1
	s_add_u32 s18, s66, s18
	s_addc_u32 s19, s67, s19
	v_cmp_gt_u32_e32 vcc, s22, v0
	s_and_saveexec_b64 s[20:21], vcc
	s_cbranch_execnz .LBB1951_209
; %bb.184:                              ;   in Loop: Header=BB1951_180 Depth=2
	s_or_b64 exec, exec, s[20:21]
	v_cmp_gt_u32_e32 vcc, s22, v26
	s_and_saveexec_b64 s[20:21], vcc
	s_cbranch_execnz .LBB1951_210
.LBB1951_185:                           ;   in Loop: Header=BB1951_180 Depth=2
	s_or_b64 exec, exec, s[20:21]
	v_cmp_gt_u32_e32 vcc, s22, v27
	s_and_saveexec_b64 s[20:21], vcc
	s_cbranch_execnz .LBB1951_211
.LBB1951_186:                           ;   in Loop: Header=BB1951_180 Depth=2
	s_or_b64 exec, exec, s[20:21]
	v_cmp_gt_u32_e32 vcc, s22, v28
	s_and_saveexec_b64 s[20:21], vcc
	s_cbranch_execnz .LBB1951_212
.LBB1951_187:                           ;   in Loop: Header=BB1951_180 Depth=2
	s_or_b64 exec, exec, s[20:21]
	v_cmp_gt_u32_e32 vcc, s22, v31
	s_and_saveexec_b64 s[20:21], vcc
	s_cbranch_execnz .LBB1951_213
.LBB1951_188:                           ;   in Loop: Header=BB1951_180 Depth=2
	s_or_b64 exec, exec, s[20:21]
	v_cmp_gt_u32_e32 vcc, s22, v32
	s_and_saveexec_b64 s[20:21], vcc
	s_cbranch_execnz .LBB1951_214
.LBB1951_189:                           ;   in Loop: Header=BB1951_180 Depth=2
	s_or_b64 exec, exec, s[20:21]
	v_cmp_gt_u32_e32 vcc, s22, v33
	s_and_saveexec_b64 s[20:21], vcc
	s_cbranch_execnz .LBB1951_215
.LBB1951_190:                           ;   in Loop: Header=BB1951_180 Depth=2
	s_or_b64 exec, exec, s[20:21]
	v_cmp_gt_u32_e32 vcc, s22, v34
	s_and_saveexec_b64 s[20:21], vcc
	s_cbranch_execz .LBB1951_192
.LBB1951_191:                           ;   in Loop: Header=BB1951_180 Depth=2
	global_load_ushort v4, v64, s[18:19] offset:3584
.LBB1951_192:                           ;   in Loop: Header=BB1951_180 Depth=2
	s_or_b64 exec, exec, s[20:21]
	s_mov_b32 s20, s22
	s_waitcnt vmcnt(0)
	v_mov_b32_e32 v12, v11
	v_mov_b32_e32 v13, v10
	;; [unrolled: 1-line block ×8, first 2 shown]
.LBB1951_193:                           ;   in Loop: Header=BB1951_180 Depth=2
	s_waitcnt vmcnt(0)
	v_mov_b32_e32 v4, v19
	v_mov_b32_e32 v5, v18
	;; [unrolled: 1-line block ×8, first 2 shown]
	v_cmp_gt_u32_e32 vcc, s20, v0
	s_and_saveexec_b64 s[18:19], vcc
	s_cbranch_execnz .LBB1951_201
; %bb.194:                              ;   in Loop: Header=BB1951_180 Depth=2
	s_or_b64 exec, exec, s[18:19]
	v_cmp_gt_u32_e32 vcc, s20, v26
	s_and_saveexec_b64 s[18:19], vcc
	s_cbranch_execnz .LBB1951_202
.LBB1951_195:                           ;   in Loop: Header=BB1951_180 Depth=2
	s_or_b64 exec, exec, s[18:19]
	v_cmp_gt_u32_e32 vcc, s20, v27
	s_and_saveexec_b64 s[18:19], vcc
	s_cbranch_execnz .LBB1951_203
.LBB1951_196:                           ;   in Loop: Header=BB1951_180 Depth=2
	s_or_b64 exec, exec, s[18:19]
	v_cmp_gt_u32_e32 vcc, s20, v28
	s_and_saveexec_b64 s[18:19], vcc
	s_cbranch_execnz .LBB1951_204
.LBB1951_197:                           ;   in Loop: Header=BB1951_180 Depth=2
	s_or_b64 exec, exec, s[18:19]
	v_cmp_gt_u32_e32 vcc, s20, v31
	s_and_saveexec_b64 s[18:19], vcc
	s_cbranch_execnz .LBB1951_205
.LBB1951_198:                           ;   in Loop: Header=BB1951_180 Depth=2
	s_or_b64 exec, exec, s[18:19]
	v_cmp_gt_u32_e32 vcc, s20, v32
	s_and_saveexec_b64 s[18:19], vcc
	s_cbranch_execnz .LBB1951_206
.LBB1951_199:                           ;   in Loop: Header=BB1951_180 Depth=2
	s_or_b64 exec, exec, s[18:19]
	v_cmp_gt_u32_e32 vcc, s20, v33
	s_and_saveexec_b64 s[18:19], vcc
	s_cbranch_execnz .LBB1951_207
.LBB1951_200:                           ;   in Loop: Header=BB1951_180 Depth=2
	s_or_b64 exec, exec, s[18:19]
	v_cmp_gt_u32_e32 vcc, s20, v34
	s_and_saveexec_b64 s[18:19], vcc
	s_cbranch_execz .LBB1951_179
	s_branch .LBB1951_208
.LBB1951_201:                           ;   in Loop: Header=BB1951_180 Depth=2
	v_cmp_gt_i16_e32 vcc, 0, v11
	v_cndmask_b32_e64 v12, v65, 0, vcc
	v_xor_b32_e32 v12, v12, v11
	v_cmp_ne_u16_e32 vcc, s7, v12
	v_cndmask_b32_e32 v12, v65, v12, vcc
	v_lshrrev_b32_sdwa v12, s62, v12 dst_sel:DWORD dst_unused:UNUSED_PAD src0_sel:DWORD src1_sel:WORD_0
	v_and_b32_e32 v12, s63, v12
	v_lshl_or_b32 v12, v12, 4, v35
	ds_add_u32 v12, v61
	s_or_b64 exec, exec, s[18:19]
	v_cmp_gt_u32_e32 vcc, s20, v26
	s_and_saveexec_b64 s[18:19], vcc
	s_cbranch_execz .LBB1951_195
.LBB1951_202:                           ;   in Loop: Header=BB1951_180 Depth=2
	v_cmp_gt_i16_e32 vcc, 0, v10
	v_cndmask_b32_e64 v12, v65, 0, vcc
	v_xor_b32_e32 v12, v12, v10
	v_cmp_ne_u16_e32 vcc, s7, v12
	v_cndmask_b32_e32 v12, v65, v12, vcc
	v_lshrrev_b32_sdwa v12, s62, v12 dst_sel:DWORD dst_unused:UNUSED_PAD src0_sel:DWORD src1_sel:WORD_0
	v_and_b32_e32 v12, s63, v12
	v_lshl_or_b32 v12, v12, 4, v35
	ds_add_u32 v12, v61
	s_or_b64 exec, exec, s[18:19]
	v_cmp_gt_u32_e32 vcc, s20, v27
	s_and_saveexec_b64 s[18:19], vcc
	s_cbranch_execz .LBB1951_196
.LBB1951_203:                           ;   in Loop: Header=BB1951_180 Depth=2
	v_cmp_gt_i16_e32 vcc, 0, v9
	v_cndmask_b32_e64 v12, v65, 0, vcc
	v_xor_b32_e32 v12, v12, v9
	v_cmp_ne_u16_e32 vcc, s7, v12
	v_cndmask_b32_e32 v12, v65, v12, vcc
	v_lshrrev_b32_sdwa v12, s62, v12 dst_sel:DWORD dst_unused:UNUSED_PAD src0_sel:DWORD src1_sel:WORD_0
	v_and_b32_e32 v12, s63, v12
	v_lshl_or_b32 v12, v12, 4, v35
	ds_add_u32 v12, v61
	s_or_b64 exec, exec, s[18:19]
	v_cmp_gt_u32_e32 vcc, s20, v28
	s_and_saveexec_b64 s[18:19], vcc
	s_cbranch_execz .LBB1951_197
.LBB1951_204:                           ;   in Loop: Header=BB1951_180 Depth=2
	v_cmp_gt_i16_e32 vcc, 0, v8
	v_cndmask_b32_e64 v12, v65, 0, vcc
	v_xor_b32_e32 v12, v12, v8
	v_cmp_ne_u16_e32 vcc, s7, v12
	v_cndmask_b32_e32 v12, v65, v12, vcc
	v_lshrrev_b32_sdwa v12, s62, v12 dst_sel:DWORD dst_unused:UNUSED_PAD src0_sel:DWORD src1_sel:WORD_0
	v_and_b32_e32 v12, s63, v12
	v_lshl_or_b32 v12, v12, 4, v35
	ds_add_u32 v12, v61
	s_or_b64 exec, exec, s[18:19]
	v_cmp_gt_u32_e32 vcc, s20, v31
	s_and_saveexec_b64 s[18:19], vcc
	s_cbranch_execz .LBB1951_198
.LBB1951_205:                           ;   in Loop: Header=BB1951_180 Depth=2
	v_cmp_gt_i16_e32 vcc, 0, v7
	v_cndmask_b32_e64 v12, v65, 0, vcc
	v_xor_b32_e32 v12, v12, v7
	v_cmp_ne_u16_e32 vcc, s7, v12
	v_cndmask_b32_e32 v12, v65, v12, vcc
	v_lshrrev_b32_sdwa v12, s62, v12 dst_sel:DWORD dst_unused:UNUSED_PAD src0_sel:DWORD src1_sel:WORD_0
	v_and_b32_e32 v12, s63, v12
	v_lshl_or_b32 v12, v12, 4, v35
	ds_add_u32 v12, v61
	s_or_b64 exec, exec, s[18:19]
	v_cmp_gt_u32_e32 vcc, s20, v32
	s_and_saveexec_b64 s[18:19], vcc
	s_cbranch_execz .LBB1951_199
.LBB1951_206:                           ;   in Loop: Header=BB1951_180 Depth=2
	v_cmp_gt_i16_e32 vcc, 0, v6
	v_cndmask_b32_e64 v12, v65, 0, vcc
	v_xor_b32_e32 v12, v12, v6
	v_cmp_ne_u16_e32 vcc, s7, v12
	v_cndmask_b32_e32 v12, v65, v12, vcc
	v_lshrrev_b32_sdwa v12, s62, v12 dst_sel:DWORD dst_unused:UNUSED_PAD src0_sel:DWORD src1_sel:WORD_0
	v_and_b32_e32 v12, s63, v12
	v_lshl_or_b32 v12, v12, 4, v35
	ds_add_u32 v12, v61
	s_or_b64 exec, exec, s[18:19]
	v_cmp_gt_u32_e32 vcc, s20, v33
	s_and_saveexec_b64 s[18:19], vcc
	s_cbranch_execz .LBB1951_200
.LBB1951_207:                           ;   in Loop: Header=BB1951_180 Depth=2
	v_cmp_gt_i16_e32 vcc, 0, v5
	v_cndmask_b32_e64 v12, v65, 0, vcc
	v_xor_b32_e32 v12, v12, v5
	v_cmp_ne_u16_e32 vcc, s7, v12
	v_cndmask_b32_e32 v12, v65, v12, vcc
	v_lshrrev_b32_sdwa v12, s62, v12 dst_sel:DWORD dst_unused:UNUSED_PAD src0_sel:DWORD src1_sel:WORD_0
	v_and_b32_e32 v12, s63, v12
	v_lshl_or_b32 v12, v12, 4, v35
	ds_add_u32 v12, v61
	s_or_b64 exec, exec, s[18:19]
	v_cmp_gt_u32_e32 vcc, s20, v34
	s_and_saveexec_b64 s[18:19], vcc
	s_cbranch_execz .LBB1951_179
.LBB1951_208:                           ;   in Loop: Header=BB1951_180 Depth=2
	v_cmp_gt_i16_e32 vcc, 0, v4
	v_cndmask_b32_e64 v12, v65, 0, vcc
	v_xor_b32_e32 v12, v12, v4
	v_cmp_ne_u16_e32 vcc, s7, v12
	v_cndmask_b32_e32 v12, v65, v12, vcc
	v_lshrrev_b32_sdwa v12, s62, v12 dst_sel:DWORD dst_unused:UNUSED_PAD src0_sel:DWORD src1_sel:WORD_0
	v_and_b32_e32 v12, s63, v12
	v_lshl_or_b32 v12, v12, 4, v35
	ds_add_u32 v12, v61
	s_branch .LBB1951_179
.LBB1951_209:                           ;   in Loop: Header=BB1951_180 Depth=2
	global_load_ushort v11, v64, s[18:19]
	s_or_b64 exec, exec, s[20:21]
	v_cmp_gt_u32_e32 vcc, s22, v26
	s_and_saveexec_b64 s[20:21], vcc
	s_cbranch_execz .LBB1951_185
.LBB1951_210:                           ;   in Loop: Header=BB1951_180 Depth=2
	global_load_ushort v10, v64, s[18:19] offset:512
	s_or_b64 exec, exec, s[20:21]
	v_cmp_gt_u32_e32 vcc, s22, v27
	s_and_saveexec_b64 s[20:21], vcc
	s_cbranch_execz .LBB1951_186
.LBB1951_211:                           ;   in Loop: Header=BB1951_180 Depth=2
	global_load_ushort v9, v64, s[18:19] offset:1024
	s_or_b64 exec, exec, s[20:21]
	v_cmp_gt_u32_e32 vcc, s22, v28
	s_and_saveexec_b64 s[20:21], vcc
	s_cbranch_execz .LBB1951_187
.LBB1951_212:                           ;   in Loop: Header=BB1951_180 Depth=2
	global_load_ushort v8, v64, s[18:19] offset:1536
	s_or_b64 exec, exec, s[20:21]
	v_cmp_gt_u32_e32 vcc, s22, v31
	s_and_saveexec_b64 s[20:21], vcc
	s_cbranch_execz .LBB1951_188
.LBB1951_213:                           ;   in Loop: Header=BB1951_180 Depth=2
	global_load_ushort v7, v64, s[18:19] offset:2048
	s_or_b64 exec, exec, s[20:21]
	v_cmp_gt_u32_e32 vcc, s22, v32
	s_and_saveexec_b64 s[20:21], vcc
	s_cbranch_execz .LBB1951_189
.LBB1951_214:                           ;   in Loop: Header=BB1951_180 Depth=2
	global_load_ushort v6, v64, s[18:19] offset:2560
	s_or_b64 exec, exec, s[20:21]
	v_cmp_gt_u32_e32 vcc, s22, v33
	s_and_saveexec_b64 s[20:21], vcc
	s_cbranch_execz .LBB1951_190
.LBB1951_215:                           ;   in Loop: Header=BB1951_180 Depth=2
	global_load_ushort v5, v64, s[18:19] offset:3072
	s_or_b64 exec, exec, s[20:21]
	v_cmp_gt_u32_e32 vcc, s22, v34
	s_and_saveexec_b64 s[20:21], vcc
	s_cbranch_execnz .LBB1951_191
	s_branch .LBB1951_192
.LBB1951_216:                           ;   in Loop: Header=BB1951_12 Depth=1
	v_mov_b32_e32 v4, 0
	s_waitcnt lgkmcnt(0)
	s_barrier
	s_and_saveexec_b64 s[18:19], s[4:5]
	s_cbranch_execz .LBB1951_218
; %bb.217:                              ;   in Loop: Header=BB1951_12 Depth=1
	ds_read2_b64 v[4:7], v36 offset1:1
	s_waitcnt lgkmcnt(0)
	v_add_u32_e32 v4, v5, v4
	v_add3_u32 v4, v4, v6, v7
.LBB1951_218:                           ;   in Loop: Header=BB1951_12 Depth=1
	s_or_b64 exec, exec, s[18:19]
	s_nop 0
	v_mov_b32_dpp v5, v4 row_shr:1 row_mask:0xf bank_mask:0xf
	v_cmp_eq_u32_e64 s[18:19], 0, v67
	v_cndmask_b32_e64 v5, v5, 0, s[18:19]
	v_add_u32_e32 v4, v5, v4
	v_cmp_lt_u32_e64 s[20:21], 1, v67
	v_cmp_lt_u32_e64 s[22:23], 3, v67
	v_mov_b32_dpp v5, v4 row_shr:2 row_mask:0xf bank_mask:0xf
	v_cndmask_b32_e64 v5, 0, v5, s[20:21]
	v_add_u32_e32 v4, v4, v5
	v_cmp_lt_u32_e64 s[24:25], 7, v67
	v_cmp_lt_u32_e64 s[28:29], 31, v66
	v_mov_b32_dpp v5, v4 row_shr:4 row_mask:0xf bank_mask:0xf
	v_cndmask_b32_e64 v5, 0, v5, s[22:23]
	v_add_u32_e32 v4, v4, v5
	v_cmp_eq_u32_e64 s[26:27], 0, v69
	s_nop 0
	v_mov_b32_dpp v5, v4 row_shr:8 row_mask:0xf bank_mask:0xf
	v_cndmask_b32_e64 v5, 0, v5, s[24:25]
	v_add_u32_e32 v4, v4, v5
	s_nop 1
	v_mov_b32_dpp v5, v4 row_bcast:15 row_mask:0xf bank_mask:0xf
	v_and_b32_e32 v5, v68, v5
	v_add_u32_e32 v4, v4, v5
	s_nop 1
	v_mov_b32_dpp v5, v4 row_bcast:31 row_mask:0xf bank_mask:0xf
	v_cndmask_b32_e64 v5, 0, v5, s[28:29]
	v_add_u32_e32 v4, v4, v5
	s_and_saveexec_b64 s[30:31], s[8:9]
; %bb.219:                              ;   in Loop: Header=BB1951_12 Depth=1
	ds_write_b32 v38, v4
; %bb.220:                              ;   in Loop: Header=BB1951_12 Depth=1
	s_or_b64 exec, exec, s[30:31]
	s_waitcnt lgkmcnt(0)
	s_barrier
	s_and_saveexec_b64 s[30:31], s[10:11]
	s_cbranch_execz .LBB1951_222
; %bb.221:                              ;   in Loop: Header=BB1951_12 Depth=1
	ds_read_b32 v5, v39
	v_cmp_ne_u32_e32 vcc, 0, v70
	s_waitcnt lgkmcnt(0)
	v_mov_b32_dpp v6, v5 row_shr:1 row_mask:0xf bank_mask:0xf
	v_cndmask_b32_e32 v6, 0, v6, vcc
	v_add_u32_e32 v5, v6, v5
	v_cmp_lt_u32_e32 vcc, 1, v70
	s_nop 0
	v_mov_b32_dpp v6, v5 row_shr:2 row_mask:0xf bank_mask:0xf
	v_cndmask_b32_e32 v6, 0, v6, vcc
	v_add_u32_e32 v5, v5, v6
	ds_write_b32 v39, v5
.LBB1951_222:                           ;   in Loop: Header=BB1951_12 Depth=1
	s_or_b64 exec, exec, s[30:31]
	v_mov_b32_e32 v5, 0
	s_waitcnt lgkmcnt(0)
	s_barrier
	s_and_saveexec_b64 s[30:31], s[12:13]
; %bb.223:                              ;   in Loop: Header=BB1951_12 Depth=1
	ds_read_b32 v5, v40
; %bb.224:                              ;   in Loop: Header=BB1951_12 Depth=1
	s_or_b64 exec, exec, s[30:31]
	v_subrev_co_u32_e64 v6, s[30:31], 1, v66
	v_cmp_lt_i32_e32 vcc, v6, v71
	v_cndmask_b32_e32 v6, v6, v66, vcc
	s_waitcnt lgkmcnt(0)
	v_add_u32_e32 v4, v5, v4
	v_lshlrev_b32_e32 v82, 2, v6
	ds_bpermute_b32 v4, v82, v4
	s_waitcnt lgkmcnt(0)
	s_barrier
	s_and_saveexec_b64 s[34:35], s[4:5]
; %bb.225:                              ;   in Loop: Header=BB1951_12 Depth=1
	v_cndmask_b32_e64 v4, v4, v5, s[30:31]
	v_add_u32_e32 v4, s80, v4
	ds_write_b32 v25, v4
; %bb.226:                              ;   in Loop: Header=BB1951_12 Depth=1
	s_or_b64 exec, exec, s[34:35]
	s_load_dwordx2 s[34:35], s[56:57], 0x0
	v_add_co_u32_e32 v83, vcc, v51, v72
	v_addc_co_u32_e32 v84, vcc, 0, v52, vcc
	s_waitcnt lgkmcnt(0)
	s_cmp_lt_u32 s33, s35
	s_cselect_b32 s35, 14, 20
	s_add_u32 s36, s56, s35
	s_addc_u32 s37, s57, 0
	s_cmp_lt_u32 s6, s34
	s_cselect_b32 s34, 12, 18
	s_add_u32 s34, s56, s34
	global_load_ushort v4, v3, s[36:37]
	s_addc_u32 s35, s57, 0
	global_load_ushort v5, v3, s[34:35]
	v_add_co_u32_e32 v85, vcc, v53, v81
	v_cmp_eq_u32_e64 s[34:35], 0, v70
	v_cmp_lt_u32_e64 s[36:37], 1, v70
	v_addc_co_u32_e32 v86, vcc, 0, v54, vcc
	s_mov_b32 s70, s79
	s_mov_b32 s58, s80
                                        ; implicit-def: $vgpr7_vgpr8
                                        ; implicit-def: $vgpr9_vgpr10
                                        ; implicit-def: $vgpr11_vgpr12
                                        ; implicit-def: $vgpr13_vgpr14
                                        ; implicit-def: $vgpr15_vgpr16
                                        ; implicit-def: $vgpr17_vgpr18
                                        ; implicit-def: $vgpr19_vgpr20
                                        ; implicit-def: $vgpr87
                                        ; implicit-def: $vgpr88
                                        ; implicit-def: $vgpr89
                                        ; implicit-def: $vgpr90
                                        ; implicit-def: $vgpr92
                                        ; implicit-def: $vgpr93
                                        ; implicit-def: $vgpr94
                                        ; implicit-def: $vgpr95
	s_waitcnt vmcnt(1)
	v_mad_u32_u24 v4, v2, v4, v1
	s_waitcnt vmcnt(0)
	v_mad_u64_u32 v[4:5], s[38:39], v4, v5, v[0:1]
                                        ; implicit-def: $vgpr5_vgpr6
	v_lshrrev_b32_e32 v4, 4, v4
	v_and_b32_e32 v91, 0xffffffc, v4
	s_branch .LBB1951_228
.LBB1951_227:                           ;   in Loop: Header=BB1951_228 Depth=2
	s_or_b64 exec, exec, s[38:39]
	s_addk_i32 s70, 0xf800
	s_cmp_lt_u32 s71, s81
	s_mov_b32 s58, s71
	s_cbranch_scc0 .LBB1951_340
.LBB1951_228:                           ;   Parent Loop BB1951_12 Depth=1
                                        ; =>  This Inner Loop Header: Depth=2
	s_add_i32 s71, s58, 0x800
	s_cmp_gt_u32 s71, s81
	s_cbranch_scc1 .LBB1951_230
; %bb.229:                              ;   in Loop: Header=BB1951_228 Depth=2
	s_lshl_b64 s[38:39], s[58:59], 1
	v_mov_b32_e32 v4, s39
	v_add_co_u32_e32 v21, vcc, s38, v85
	v_addc_co_u32_e32 v22, vcc, v86, v4, vcc
	global_load_ushort v4, v[21:22], off
	global_load_ushort v99, v[21:22], off offset:128
	global_load_ushort v103, v[21:22], off offset:256
	global_load_ushort v107, v[21:22], off offset:384
	global_load_ushort v112, v[21:22], off offset:512
	global_load_ushort v108, v[21:22], off offset:640
	global_load_ushort v24, v[21:22], off offset:768
	s_mov_b64 s[38:39], -1
	s_movk_i32 s42, 0x800
	s_cbranch_execz .LBB1951_231
	s_branch .LBB1951_246
.LBB1951_230:                           ;   in Loop: Header=BB1951_228 Depth=2
	s_mov_b64 s[38:39], 0
                                        ; implicit-def: $vgpr4
                                        ; implicit-def: $vgpr99
                                        ; implicit-def: $vgpr103
                                        ; implicit-def: $vgpr107
                                        ; implicit-def: $vgpr112
                                        ; implicit-def: $vgpr108
                                        ; implicit-def: $vgpr24
	s_movk_i32 s42, 0x800
.LBB1951_231:                           ;   in Loop: Header=BB1951_228 Depth=2
	s_lshl_b64 s[38:39], s[58:59], 1
	s_waitcnt vmcnt(6)
	v_mov_b32_e32 v4, s39
	v_add_co_u32_e32 v21, vcc, s38, v85
	v_addc_co_u32_e32 v22, vcc, v86, v4, vcc
	v_cmp_gt_u32_e32 vcc, s70, v73
	s_waitcnt vmcnt(5)
	v_mov_b32_e32 v99, -1
	v_mov_b32_e32 v4, -1
	s_and_saveexec_b64 s[38:39], vcc
	s_cbranch_execz .LBB1951_233
; %bb.232:                              ;   in Loop: Header=BB1951_228 Depth=2
	global_load_ushort v4, v[21:22], off
.LBB1951_233:                           ;   in Loop: Header=BB1951_228 Depth=2
	s_or_b64 exec, exec, s[38:39]
	v_cmp_gt_u32_e32 vcc, s70, v74
	s_and_saveexec_b64 s[38:39], vcc
	s_cbranch_execz .LBB1951_235
; %bb.234:                              ;   in Loop: Header=BB1951_228 Depth=2
	global_load_ushort v99, v[21:22], off offset:128
.LBB1951_235:                           ;   in Loop: Header=BB1951_228 Depth=2
	s_or_b64 exec, exec, s[38:39]
	v_cmp_gt_u32_e32 vcc, s70, v75
	s_waitcnt vmcnt(3)
	v_mov_b32_e32 v107, -1
	v_mov_b32_e32 v103, -1
	s_and_saveexec_b64 s[38:39], vcc
	s_cbranch_execz .LBB1951_237
; %bb.236:                              ;   in Loop: Header=BB1951_228 Depth=2
	global_load_ushort v103, v[21:22], off offset:256
.LBB1951_237:                           ;   in Loop: Header=BB1951_228 Depth=2
	s_or_b64 exec, exec, s[38:39]
	v_cmp_gt_u32_e32 vcc, s70, v76
	s_and_saveexec_b64 s[38:39], vcc
	s_cbranch_execz .LBB1951_239
; %bb.238:                              ;   in Loop: Header=BB1951_228 Depth=2
	global_load_ushort v107, v[21:22], off offset:384
.LBB1951_239:                           ;   in Loop: Header=BB1951_228 Depth=2
	s_or_b64 exec, exec, s[38:39]
	v_cmp_gt_u32_e32 vcc, s70, v77
	s_waitcnt vmcnt(1)
	v_mov_b32_e32 v108, -1
	v_mov_b32_e32 v112, -1
	s_and_saveexec_b64 s[38:39], vcc
	s_cbranch_execz .LBB1951_241
; %bb.240:                              ;   in Loop: Header=BB1951_228 Depth=2
	global_load_ushort v112, v[21:22], off offset:512
.LBB1951_241:                           ;   in Loop: Header=BB1951_228 Depth=2
	s_or_b64 exec, exec, s[38:39]
	v_cmp_gt_u32_e32 vcc, s70, v78
	s_and_saveexec_b64 s[38:39], vcc
	s_cbranch_execz .LBB1951_243
; %bb.242:                              ;   in Loop: Header=BB1951_228 Depth=2
	global_load_ushort v108, v[21:22], off offset:640
.LBB1951_243:                           ;   in Loop: Header=BB1951_228 Depth=2
	s_or_b64 exec, exec, s[38:39]
	v_cmp_gt_u32_e32 vcc, s70, v79
	s_waitcnt vmcnt(0)
	v_mov_b32_e32 v24, -1
	s_and_saveexec_b64 s[38:39], vcc
	s_cbranch_execz .LBB1951_245
; %bb.244:                              ;   in Loop: Header=BB1951_228 Depth=2
	global_load_ushort v24, v[21:22], off offset:768
.LBB1951_245:                           ;   in Loop: Header=BB1951_228 Depth=2
	s_or_b64 exec, exec, s[38:39]
	s_sub_i32 s42, s81, s58
	v_cmp_gt_u32_e64 s[38:39], s70, v80
.LBB1951_246:                           ;   in Loop: Header=BB1951_228 Depth=2
	v_mov_b32_e32 v23, -1
	v_mov_b32_e32 v96, s70
	s_and_saveexec_b64 s[40:41], s[38:39]
	s_cbranch_execz .LBB1951_248
; %bb.247:                              ;   in Loop: Header=BB1951_228 Depth=2
	s_lshl_b64 s[38:39], s[58:59], 1
	v_mov_b32_e32 v22, s39
	v_add_co_u32_e32 v21, vcc, s38, v85
	v_addc_co_u32_e32 v22, vcc, v86, v22, vcc
	global_load_ushort v23, v[21:22], off offset:896
	v_mov_b32_e32 v96, s42
.LBB1951_248:                           ;   in Loop: Header=BB1951_228 Depth=2
	s_or_b64 exec, exec, s[40:41]
	s_waitcnt vmcnt(6)
	v_cmp_gt_i16_e32 vcc, 0, v4
	v_cndmask_b32_e64 v21, v65, 0, vcc
	v_xor_b32_e32 v97, v21, v4
	v_cmp_ne_u16_e32 vcc, s7, v97
	v_cndmask_b32_e32 v4, v65, v97, vcc
	v_lshrrev_b32_sdwa v4, s62, v4 dst_sel:DWORD dst_unused:UNUSED_PAD src0_sel:DWORD src1_sel:WORD_0
	v_and_b32_e32 v21, s63, v4
	v_and_b32_e32 v4, 1, v21
	v_add_co_u32_e32 v22, vcc, -1, v4
	v_addc_co_u32_e64 v98, s[38:39], 0, -1, vcc
	v_cmp_ne_u32_e32 vcc, 0, v4
	v_xor_b32_e32 v4, vcc_hi, v98
	v_and_b32_e32 v98, exec_hi, v4
	v_lshlrev_b32_e32 v4, 30, v21
	v_xor_b32_e32 v22, vcc_lo, v22
	v_cmp_gt_i64_e32 vcc, 0, v[3:4]
	v_not_b32_e32 v4, v4
	v_ashrrev_i32_e32 v4, 31, v4
	v_and_b32_e32 v22, exec_lo, v22
	v_xor_b32_e32 v101, vcc_hi, v4
	v_xor_b32_e32 v4, vcc_lo, v4
	v_and_b32_e32 v22, v22, v4
	v_lshlrev_b32_e32 v4, 29, v21
	v_cmp_gt_i64_e32 vcc, 0, v[3:4]
	v_not_b32_e32 v4, v4
	v_ashrrev_i32_e32 v4, 31, v4
	v_and_b32_e32 v98, v98, v101
	v_xor_b32_e32 v101, vcc_hi, v4
	v_xor_b32_e32 v4, vcc_lo, v4
	v_and_b32_e32 v22, v22, v4
	v_lshlrev_b32_e32 v4, 28, v21
	v_cmp_gt_i64_e32 vcc, 0, v[3:4]
	v_not_b32_e32 v4, v4
	v_ashrrev_i32_e32 v4, 31, v4
	v_and_b32_e32 v98, v98, v101
	;; [unrolled: 8-line block ×5, first 2 shown]
	v_xor_b32_e32 v101, vcc_hi, v4
	v_xor_b32_e32 v4, vcc_lo, v4
	v_and_b32_e32 v98, v98, v101
	v_and_b32_e32 v101, v22, v4
	v_lshlrev_b32_e32 v4, 24, v21
	v_cmp_gt_i64_e32 vcc, 0, v[3:4]
	v_not_b32_e32 v4, v4
	v_ashrrev_i32_e32 v4, 31, v4
	v_mul_u32_u24_e32 v100, 20, v21
	v_xor_b32_e32 v21, vcc_hi, v4
	v_xor_b32_e32 v4, vcc_lo, v4
	v_and_b32_e32 v22, v98, v21
	v_and_b32_e32 v21, v101, v4
	v_mbcnt_lo_u32_b32 v4, v21, 0
	v_mbcnt_hi_u32_b32 v98, v22, v4
	v_cmp_ne_u64_e32 vcc, 0, v[21:22]
	v_cmp_eq_u32_e64 s[38:39], 0, v98
	s_and_b64 s[40:41], vcc, s[38:39]
	v_add_u32_e32 v101, v91, v100
	ds_write2_b32 v62, v3, v3 offset1:1
	ds_write2_b32 v63, v3, v3 offset1:1
	ds_write_b32 v41, v3 offset:1056
	s_waitcnt vmcnt(0) lgkmcnt(0)
	s_barrier
	; wave barrier
	s_and_saveexec_b64 s[38:39], s[40:41]
; %bb.249:                              ;   in Loop: Header=BB1951_228 Depth=2
	v_bcnt_u32_b32 v4, v21, 0
	v_bcnt_u32_b32 v4, v22, v4
	ds_write_b32 v101, v4 offset:1040
; %bb.250:                              ;   in Loop: Header=BB1951_228 Depth=2
	s_or_b64 exec, exec, s[38:39]
	v_cmp_gt_i16_e32 vcc, 0, v99
	v_cndmask_b32_e64 v4, v65, 0, vcc
	v_xor_b32_e32 v99, v4, v99
	v_cmp_ne_u16_e32 vcc, s7, v99
	v_cndmask_b32_e32 v4, v65, v99, vcc
	v_lshrrev_b32_sdwa v4, s62, v4 dst_sel:DWORD dst_unused:UNUSED_PAD src0_sel:DWORD src1_sel:WORD_0
	v_and_b32_e32 v21, s63, v4
	v_mad_u32_u24 v4, v21, 20, v91
	; wave barrier
	ds_read_b32 v100, v4 offset:1040
	v_and_b32_e32 v4, 1, v21
	v_add_co_u32_e32 v22, vcc, -1, v4
	v_addc_co_u32_e64 v102, s[38:39], 0, -1, vcc
	v_cmp_ne_u32_e32 vcc, 0, v4
	v_xor_b32_e32 v4, vcc_hi, v102
	v_and_b32_e32 v102, exec_hi, v4
	v_lshlrev_b32_e32 v4, 30, v21
	v_xor_b32_e32 v22, vcc_lo, v22
	v_cmp_gt_i64_e32 vcc, 0, v[3:4]
	v_not_b32_e32 v4, v4
	v_ashrrev_i32_e32 v4, 31, v4
	v_and_b32_e32 v22, exec_lo, v22
	v_xor_b32_e32 v105, vcc_hi, v4
	v_xor_b32_e32 v4, vcc_lo, v4
	v_and_b32_e32 v22, v22, v4
	v_lshlrev_b32_e32 v4, 29, v21
	v_cmp_gt_i64_e32 vcc, 0, v[3:4]
	v_not_b32_e32 v4, v4
	v_ashrrev_i32_e32 v4, 31, v4
	v_and_b32_e32 v102, v102, v105
	v_xor_b32_e32 v105, vcc_hi, v4
	v_xor_b32_e32 v4, vcc_lo, v4
	v_and_b32_e32 v22, v22, v4
	v_lshlrev_b32_e32 v4, 28, v21
	v_cmp_gt_i64_e32 vcc, 0, v[3:4]
	v_not_b32_e32 v4, v4
	v_ashrrev_i32_e32 v4, 31, v4
	v_and_b32_e32 v102, v102, v105
	;; [unrolled: 8-line block ×5, first 2 shown]
	v_xor_b32_e32 v105, vcc_hi, v4
	v_xor_b32_e32 v4, vcc_lo, v4
	v_and_b32_e32 v102, v102, v105
	v_and_b32_e32 v105, v22, v4
	v_lshlrev_b32_e32 v4, 24, v21
	v_cmp_gt_i64_e32 vcc, 0, v[3:4]
	v_not_b32_e32 v4, v4
	v_ashrrev_i32_e32 v4, 31, v4
	v_mul_u32_u24_e32 v104, 20, v21
	v_xor_b32_e32 v21, vcc_hi, v4
	v_xor_b32_e32 v4, vcc_lo, v4
	v_and_b32_e32 v22, v102, v21
	v_and_b32_e32 v21, v105, v4
	v_mbcnt_lo_u32_b32 v4, v21, 0
	v_mbcnt_hi_u32_b32 v102, v22, v4
	v_cmp_ne_u64_e32 vcc, 0, v[21:22]
	v_cmp_eq_u32_e64 s[38:39], 0, v102
	s_and_b64 s[40:41], vcc, s[38:39]
	v_add_u32_e32 v105, v91, v104
	; wave barrier
	s_and_saveexec_b64 s[38:39], s[40:41]
	s_cbranch_execz .LBB1951_252
; %bb.251:                              ;   in Loop: Header=BB1951_228 Depth=2
	v_bcnt_u32_b32 v4, v21, 0
	v_bcnt_u32_b32 v4, v22, v4
	s_waitcnt lgkmcnt(0)
	v_add_u32_e32 v4, v100, v4
	ds_write_b32 v105, v4 offset:1040
.LBB1951_252:                           ;   in Loop: Header=BB1951_228 Depth=2
	s_or_b64 exec, exec, s[38:39]
	v_cmp_gt_i16_e32 vcc, 0, v103
	v_cndmask_b32_e64 v4, v65, 0, vcc
	v_xor_b32_e32 v103, v4, v103
	v_cmp_ne_u16_e32 vcc, s7, v103
	v_cndmask_b32_e32 v4, v65, v103, vcc
	v_lshrrev_b32_sdwa v4, s62, v4 dst_sel:DWORD dst_unused:UNUSED_PAD src0_sel:DWORD src1_sel:WORD_0
	v_and_b32_e32 v21, s63, v4
	v_mad_u32_u24 v4, v21, 20, v91
	; wave barrier
	ds_read_b32 v104, v4 offset:1040
	v_and_b32_e32 v4, 1, v21
	v_add_co_u32_e32 v22, vcc, -1, v4
	v_addc_co_u32_e64 v106, s[38:39], 0, -1, vcc
	v_cmp_ne_u32_e32 vcc, 0, v4
	v_xor_b32_e32 v4, vcc_hi, v106
	v_and_b32_e32 v106, exec_hi, v4
	v_lshlrev_b32_e32 v4, 30, v21
	v_xor_b32_e32 v22, vcc_lo, v22
	v_cmp_gt_i64_e32 vcc, 0, v[3:4]
	v_not_b32_e32 v4, v4
	v_ashrrev_i32_e32 v4, 31, v4
	v_and_b32_e32 v22, exec_lo, v22
	v_xor_b32_e32 v110, vcc_hi, v4
	v_xor_b32_e32 v4, vcc_lo, v4
	v_and_b32_e32 v22, v22, v4
	v_lshlrev_b32_e32 v4, 29, v21
	v_cmp_gt_i64_e32 vcc, 0, v[3:4]
	v_not_b32_e32 v4, v4
	v_ashrrev_i32_e32 v4, 31, v4
	v_and_b32_e32 v106, v106, v110
	v_xor_b32_e32 v110, vcc_hi, v4
	v_xor_b32_e32 v4, vcc_lo, v4
	v_and_b32_e32 v22, v22, v4
	v_lshlrev_b32_e32 v4, 28, v21
	v_cmp_gt_i64_e32 vcc, 0, v[3:4]
	v_not_b32_e32 v4, v4
	v_ashrrev_i32_e32 v4, 31, v4
	v_and_b32_e32 v106, v106, v110
	;; [unrolled: 8-line block ×5, first 2 shown]
	v_xor_b32_e32 v110, vcc_hi, v4
	v_xor_b32_e32 v4, vcc_lo, v4
	v_and_b32_e32 v106, v106, v110
	v_and_b32_e32 v110, v22, v4
	v_lshlrev_b32_e32 v4, 24, v21
	v_cmp_gt_i64_e32 vcc, 0, v[3:4]
	v_not_b32_e32 v4, v4
	v_ashrrev_i32_e32 v4, 31, v4
	v_mul_u32_u24_e32 v109, 20, v21
	v_xor_b32_e32 v21, vcc_hi, v4
	v_xor_b32_e32 v4, vcc_lo, v4
	v_and_b32_e32 v22, v106, v21
	v_and_b32_e32 v21, v110, v4
	v_mbcnt_lo_u32_b32 v4, v21, 0
	v_mbcnt_hi_u32_b32 v106, v22, v4
	v_cmp_ne_u64_e32 vcc, 0, v[21:22]
	v_cmp_eq_u32_e64 s[38:39], 0, v106
	s_and_b64 s[40:41], vcc, s[38:39]
	v_add_u32_e32 v110, v91, v109
	; wave barrier
	s_and_saveexec_b64 s[38:39], s[40:41]
	s_cbranch_execz .LBB1951_254
; %bb.253:                              ;   in Loop: Header=BB1951_228 Depth=2
	v_bcnt_u32_b32 v4, v21, 0
	v_bcnt_u32_b32 v4, v22, v4
	s_waitcnt lgkmcnt(0)
	v_add_u32_e32 v4, v104, v4
	ds_write_b32 v110, v4 offset:1040
.LBB1951_254:                           ;   in Loop: Header=BB1951_228 Depth=2
	s_or_b64 exec, exec, s[38:39]
	v_cmp_gt_i16_e32 vcc, 0, v107
	v_cndmask_b32_e64 v4, v65, 0, vcc
	v_xor_b32_e32 v107, v4, v107
	v_cmp_ne_u16_e32 vcc, s7, v107
	v_cndmask_b32_e32 v4, v65, v107, vcc
	v_lshrrev_b32_sdwa v4, s62, v4 dst_sel:DWORD dst_unused:UNUSED_PAD src0_sel:DWORD src1_sel:WORD_0
	v_and_b32_e32 v21, s63, v4
	v_mad_u32_u24 v4, v21, 20, v91
	; wave barrier
	ds_read_b32 v109, v4 offset:1040
	v_and_b32_e32 v4, 1, v21
	v_add_co_u32_e32 v22, vcc, -1, v4
	v_addc_co_u32_e64 v111, s[38:39], 0, -1, vcc
	v_cmp_ne_u32_e32 vcc, 0, v4
	v_xor_b32_e32 v4, vcc_hi, v111
	v_and_b32_e32 v111, exec_hi, v4
	v_lshlrev_b32_e32 v4, 30, v21
	v_xor_b32_e32 v22, vcc_lo, v22
	v_cmp_gt_i64_e32 vcc, 0, v[3:4]
	v_not_b32_e32 v4, v4
	v_ashrrev_i32_e32 v4, 31, v4
	v_and_b32_e32 v22, exec_lo, v22
	v_xor_b32_e32 v114, vcc_hi, v4
	v_xor_b32_e32 v4, vcc_lo, v4
	v_and_b32_e32 v22, v22, v4
	v_lshlrev_b32_e32 v4, 29, v21
	v_cmp_gt_i64_e32 vcc, 0, v[3:4]
	v_not_b32_e32 v4, v4
	v_ashrrev_i32_e32 v4, 31, v4
	v_and_b32_e32 v111, v111, v114
	v_xor_b32_e32 v114, vcc_hi, v4
	v_xor_b32_e32 v4, vcc_lo, v4
	v_and_b32_e32 v22, v22, v4
	v_lshlrev_b32_e32 v4, 28, v21
	v_cmp_gt_i64_e32 vcc, 0, v[3:4]
	v_not_b32_e32 v4, v4
	v_ashrrev_i32_e32 v4, 31, v4
	v_and_b32_e32 v111, v111, v114
	;; [unrolled: 8-line block ×5, first 2 shown]
	v_xor_b32_e32 v114, vcc_hi, v4
	v_xor_b32_e32 v4, vcc_lo, v4
	v_and_b32_e32 v111, v111, v114
	v_and_b32_e32 v114, v22, v4
	v_lshlrev_b32_e32 v4, 24, v21
	v_cmp_gt_i64_e32 vcc, 0, v[3:4]
	v_not_b32_e32 v4, v4
	v_ashrrev_i32_e32 v4, 31, v4
	v_mul_u32_u24_e32 v113, 20, v21
	v_xor_b32_e32 v21, vcc_hi, v4
	v_xor_b32_e32 v4, vcc_lo, v4
	v_and_b32_e32 v22, v111, v21
	v_and_b32_e32 v21, v114, v4
	v_mbcnt_lo_u32_b32 v4, v21, 0
	v_mbcnt_hi_u32_b32 v111, v22, v4
	v_cmp_ne_u64_e32 vcc, 0, v[21:22]
	v_cmp_eq_u32_e64 s[38:39], 0, v111
	s_and_b64 s[40:41], vcc, s[38:39]
	v_add_u32_e32 v114, v91, v113
	; wave barrier
	s_and_saveexec_b64 s[38:39], s[40:41]
	s_cbranch_execz .LBB1951_256
; %bb.255:                              ;   in Loop: Header=BB1951_228 Depth=2
	v_bcnt_u32_b32 v4, v21, 0
	v_bcnt_u32_b32 v4, v22, v4
	s_waitcnt lgkmcnt(0)
	v_add_u32_e32 v4, v109, v4
	ds_write_b32 v114, v4 offset:1040
.LBB1951_256:                           ;   in Loop: Header=BB1951_228 Depth=2
	s_or_b64 exec, exec, s[38:39]
	v_cmp_gt_i16_e32 vcc, 0, v112
	v_cndmask_b32_e64 v4, v65, 0, vcc
	v_xor_b32_e32 v112, v4, v112
	v_cmp_ne_u16_e32 vcc, s7, v112
	v_cndmask_b32_e32 v4, v65, v112, vcc
	v_lshrrev_b32_sdwa v4, s62, v4 dst_sel:DWORD dst_unused:UNUSED_PAD src0_sel:DWORD src1_sel:WORD_0
	v_and_b32_e32 v21, s63, v4
	v_mad_u32_u24 v4, v21, 20, v91
	; wave barrier
	ds_read_b32 v113, v4 offset:1040
	v_and_b32_e32 v4, 1, v21
	v_add_co_u32_e32 v22, vcc, -1, v4
	v_addc_co_u32_e64 v115, s[38:39], 0, -1, vcc
	v_cmp_ne_u32_e32 vcc, 0, v4
	v_xor_b32_e32 v4, vcc_hi, v115
	v_and_b32_e32 v115, exec_hi, v4
	v_lshlrev_b32_e32 v4, 30, v21
	v_xor_b32_e32 v22, vcc_lo, v22
	v_cmp_gt_i64_e32 vcc, 0, v[3:4]
	v_not_b32_e32 v4, v4
	v_ashrrev_i32_e32 v4, 31, v4
	v_and_b32_e32 v22, exec_lo, v22
	v_xor_b32_e32 v117, vcc_hi, v4
	v_xor_b32_e32 v4, vcc_lo, v4
	v_and_b32_e32 v22, v22, v4
	v_lshlrev_b32_e32 v4, 29, v21
	v_cmp_gt_i64_e32 vcc, 0, v[3:4]
	v_not_b32_e32 v4, v4
	v_ashrrev_i32_e32 v4, 31, v4
	v_and_b32_e32 v115, v115, v117
	v_xor_b32_e32 v117, vcc_hi, v4
	v_xor_b32_e32 v4, vcc_lo, v4
	v_and_b32_e32 v22, v22, v4
	v_lshlrev_b32_e32 v4, 28, v21
	v_cmp_gt_i64_e32 vcc, 0, v[3:4]
	v_not_b32_e32 v4, v4
	v_ashrrev_i32_e32 v4, 31, v4
	v_and_b32_e32 v115, v115, v117
	;; [unrolled: 8-line block ×5, first 2 shown]
	v_xor_b32_e32 v117, vcc_hi, v4
	v_xor_b32_e32 v4, vcc_lo, v4
	v_and_b32_e32 v115, v115, v117
	v_and_b32_e32 v117, v22, v4
	v_lshlrev_b32_e32 v4, 24, v21
	v_cmp_gt_i64_e32 vcc, 0, v[3:4]
	v_not_b32_e32 v4, v4
	v_ashrrev_i32_e32 v4, 31, v4
	v_mul_u32_u24_e32 v116, 20, v21
	v_xor_b32_e32 v21, vcc_hi, v4
	v_xor_b32_e32 v4, vcc_lo, v4
	v_and_b32_e32 v22, v115, v21
	v_and_b32_e32 v21, v117, v4
	v_mbcnt_lo_u32_b32 v4, v21, 0
	v_mbcnt_hi_u32_b32 v115, v22, v4
	v_cmp_ne_u64_e32 vcc, 0, v[21:22]
	v_cmp_eq_u32_e64 s[38:39], 0, v115
	s_and_b64 s[40:41], vcc, s[38:39]
	v_add_u32_e32 v118, v91, v116
	; wave barrier
	s_and_saveexec_b64 s[38:39], s[40:41]
	s_cbranch_execz .LBB1951_258
; %bb.257:                              ;   in Loop: Header=BB1951_228 Depth=2
	v_bcnt_u32_b32 v4, v21, 0
	v_bcnt_u32_b32 v4, v22, v4
	s_waitcnt lgkmcnt(0)
	v_add_u32_e32 v4, v113, v4
	ds_write_b32 v118, v4 offset:1040
.LBB1951_258:                           ;   in Loop: Header=BB1951_228 Depth=2
	s_or_b64 exec, exec, s[38:39]
	v_cmp_gt_i16_e32 vcc, 0, v108
	v_cndmask_b32_e64 v4, v65, 0, vcc
	v_xor_b32_e32 v116, v4, v108
	v_cmp_ne_u16_e32 vcc, s7, v116
	v_cndmask_b32_e32 v4, v65, v116, vcc
	v_lshrrev_b32_sdwa v4, s62, v4 dst_sel:DWORD dst_unused:UNUSED_PAD src0_sel:DWORD src1_sel:WORD_0
	v_and_b32_e32 v21, s63, v4
	v_mad_u32_u24 v4, v21, 20, v91
	; wave barrier
	ds_read_b32 v117, v4 offset:1040
	v_and_b32_e32 v4, 1, v21
	v_add_co_u32_e32 v22, vcc, -1, v4
	v_addc_co_u32_e64 v119, s[38:39], 0, -1, vcc
	v_cmp_ne_u32_e32 vcc, 0, v4
	v_xor_b32_e32 v4, vcc_hi, v119
	v_and_b32_e32 v119, exec_hi, v4
	v_lshlrev_b32_e32 v4, 30, v21
	v_xor_b32_e32 v22, vcc_lo, v22
	v_cmp_gt_i64_e32 vcc, 0, v[3:4]
	v_not_b32_e32 v4, v4
	v_ashrrev_i32_e32 v4, 31, v4
	v_and_b32_e32 v22, exec_lo, v22
	v_xor_b32_e32 v120, vcc_hi, v4
	v_xor_b32_e32 v4, vcc_lo, v4
	v_and_b32_e32 v22, v22, v4
	v_lshlrev_b32_e32 v4, 29, v21
	v_cmp_gt_i64_e32 vcc, 0, v[3:4]
	v_not_b32_e32 v4, v4
	v_ashrrev_i32_e32 v4, 31, v4
	v_and_b32_e32 v119, v119, v120
	v_xor_b32_e32 v120, vcc_hi, v4
	v_xor_b32_e32 v4, vcc_lo, v4
	v_and_b32_e32 v22, v22, v4
	v_lshlrev_b32_e32 v4, 28, v21
	v_cmp_gt_i64_e32 vcc, 0, v[3:4]
	v_not_b32_e32 v4, v4
	v_ashrrev_i32_e32 v4, 31, v4
	v_and_b32_e32 v119, v119, v120
	;; [unrolled: 8-line block ×5, first 2 shown]
	v_xor_b32_e32 v120, vcc_hi, v4
	v_xor_b32_e32 v4, vcc_lo, v4
	v_and_b32_e32 v119, v119, v120
	v_and_b32_e32 v120, v22, v4
	v_lshlrev_b32_e32 v4, 24, v21
	v_cmp_gt_i64_e32 vcc, 0, v[3:4]
	v_not_b32_e32 v4, v4
	v_ashrrev_i32_e32 v4, 31, v4
	v_mul_u32_u24_e32 v108, 20, v21
	v_xor_b32_e32 v21, vcc_hi, v4
	v_xor_b32_e32 v4, vcc_lo, v4
	v_and_b32_e32 v22, v119, v21
	v_and_b32_e32 v21, v120, v4
	v_mbcnt_lo_u32_b32 v4, v21, 0
	v_mbcnt_hi_u32_b32 v119, v22, v4
	v_cmp_ne_u64_e32 vcc, 0, v[21:22]
	v_cmp_eq_u32_e64 s[38:39], 0, v119
	s_and_b64 s[40:41], vcc, s[38:39]
	v_add_u32_e32 v108, v91, v108
	; wave barrier
	s_and_saveexec_b64 s[38:39], s[40:41]
	s_cbranch_execz .LBB1951_260
; %bb.259:                              ;   in Loop: Header=BB1951_228 Depth=2
	v_bcnt_u32_b32 v4, v21, 0
	v_bcnt_u32_b32 v4, v22, v4
	s_waitcnt lgkmcnt(0)
	v_add_u32_e32 v4, v117, v4
	ds_write_b32 v108, v4 offset:1040
.LBB1951_260:                           ;   in Loop: Header=BB1951_228 Depth=2
	s_or_b64 exec, exec, s[38:39]
	v_cmp_gt_i16_e32 vcc, 0, v24
	v_cndmask_b32_e64 v4, v65, 0, vcc
	v_xor_b32_e32 v120, v4, v24
	v_cmp_ne_u16_e32 vcc, s7, v120
	v_cndmask_b32_e32 v4, v65, v120, vcc
	v_lshrrev_b32_sdwa v4, s62, v4 dst_sel:DWORD dst_unused:UNUSED_PAD src0_sel:DWORD src1_sel:WORD_0
	v_and_b32_e32 v21, s63, v4
	v_mad_u32_u24 v4, v21, 20, v91
	; wave barrier
	ds_read_b32 v121, v4 offset:1040
	v_and_b32_e32 v4, 1, v21
	v_add_co_u32_e32 v22, vcc, -1, v4
	v_addc_co_u32_e64 v122, s[38:39], 0, -1, vcc
	v_cmp_ne_u32_e32 vcc, 0, v4
	v_xor_b32_e32 v4, vcc_hi, v122
	v_and_b32_e32 v122, exec_hi, v4
	v_lshlrev_b32_e32 v4, 30, v21
	v_xor_b32_e32 v22, vcc_lo, v22
	v_cmp_gt_i64_e32 vcc, 0, v[3:4]
	v_not_b32_e32 v4, v4
	v_ashrrev_i32_e32 v4, 31, v4
	v_and_b32_e32 v22, exec_lo, v22
	v_xor_b32_e32 v123, vcc_hi, v4
	v_xor_b32_e32 v4, vcc_lo, v4
	v_and_b32_e32 v22, v22, v4
	v_lshlrev_b32_e32 v4, 29, v21
	v_cmp_gt_i64_e32 vcc, 0, v[3:4]
	v_not_b32_e32 v4, v4
	v_ashrrev_i32_e32 v4, 31, v4
	v_and_b32_e32 v122, v122, v123
	v_xor_b32_e32 v123, vcc_hi, v4
	v_xor_b32_e32 v4, vcc_lo, v4
	v_and_b32_e32 v22, v22, v4
	v_lshlrev_b32_e32 v4, 28, v21
	v_cmp_gt_i64_e32 vcc, 0, v[3:4]
	v_not_b32_e32 v4, v4
	v_ashrrev_i32_e32 v4, 31, v4
	v_and_b32_e32 v122, v122, v123
	;; [unrolled: 8-line block ×5, first 2 shown]
	v_xor_b32_e32 v123, vcc_hi, v4
	v_xor_b32_e32 v4, vcc_lo, v4
	v_and_b32_e32 v122, v122, v123
	v_and_b32_e32 v123, v22, v4
	v_lshlrev_b32_e32 v4, 24, v21
	v_cmp_gt_i64_e32 vcc, 0, v[3:4]
	v_not_b32_e32 v4, v4
	v_ashrrev_i32_e32 v4, 31, v4
	v_mul_u32_u24_e32 v24, 20, v21
	v_xor_b32_e32 v21, vcc_hi, v4
	v_xor_b32_e32 v4, vcc_lo, v4
	v_and_b32_e32 v22, v122, v21
	v_and_b32_e32 v21, v123, v4
	v_mbcnt_lo_u32_b32 v4, v21, 0
	v_mbcnt_hi_u32_b32 v122, v22, v4
	v_cmp_ne_u64_e32 vcc, 0, v[21:22]
	v_cmp_eq_u32_e64 s[38:39], 0, v122
	s_and_b64 s[40:41], vcc, s[38:39]
	v_add_u32_e32 v125, v91, v24
	; wave barrier
	s_and_saveexec_b64 s[38:39], s[40:41]
	s_cbranch_execz .LBB1951_262
; %bb.261:                              ;   in Loop: Header=BB1951_228 Depth=2
	v_bcnt_u32_b32 v4, v21, 0
	v_bcnt_u32_b32 v4, v22, v4
	s_waitcnt lgkmcnt(0)
	v_add_u32_e32 v4, v121, v4
	ds_write_b32 v125, v4 offset:1040
.LBB1951_262:                           ;   in Loop: Header=BB1951_228 Depth=2
	s_or_b64 exec, exec, s[38:39]
	v_cmp_gt_i16_e32 vcc, 0, v23
	v_cndmask_b32_e64 v4, v65, 0, vcc
	v_xor_b32_e32 v123, v4, v23
	v_cmp_ne_u16_e32 vcc, s7, v123
	v_cndmask_b32_e32 v4, v65, v123, vcc
	v_lshrrev_b32_sdwa v4, s62, v4 dst_sel:DWORD dst_unused:UNUSED_PAD src0_sel:DWORD src1_sel:WORD_0
	v_and_b32_e32 v21, s63, v4
	v_mad_u32_u24 v4, v21, 20, v91
	; wave barrier
	ds_read_b32 v124, v4 offset:1040
	v_and_b32_e32 v4, 1, v21
	v_add_co_u32_e32 v22, vcc, -1, v4
	v_addc_co_u32_e64 v24, s[38:39], 0, -1, vcc
	v_cmp_ne_u32_e32 vcc, 0, v4
	v_xor_b32_e32 v4, vcc_hi, v24
	v_and_b32_e32 v24, exec_hi, v4
	v_lshlrev_b32_e32 v4, 30, v21
	v_xor_b32_e32 v22, vcc_lo, v22
	v_cmp_gt_i64_e32 vcc, 0, v[3:4]
	v_not_b32_e32 v4, v4
	v_ashrrev_i32_e32 v4, 31, v4
	v_and_b32_e32 v22, exec_lo, v22
	v_xor_b32_e32 v126, vcc_hi, v4
	v_xor_b32_e32 v4, vcc_lo, v4
	v_and_b32_e32 v22, v22, v4
	v_lshlrev_b32_e32 v4, 29, v21
	v_cmp_gt_i64_e32 vcc, 0, v[3:4]
	v_not_b32_e32 v4, v4
	v_ashrrev_i32_e32 v4, 31, v4
	v_and_b32_e32 v24, v24, v126
	v_xor_b32_e32 v126, vcc_hi, v4
	v_xor_b32_e32 v4, vcc_lo, v4
	v_and_b32_e32 v22, v22, v4
	v_lshlrev_b32_e32 v4, 28, v21
	v_cmp_gt_i64_e32 vcc, 0, v[3:4]
	v_not_b32_e32 v4, v4
	v_ashrrev_i32_e32 v4, 31, v4
	v_and_b32_e32 v24, v24, v126
	v_xor_b32_e32 v126, vcc_hi, v4
	v_xor_b32_e32 v4, vcc_lo, v4
	v_and_b32_e32 v22, v22, v4
	v_lshlrev_b32_e32 v4, 27, v21
	v_cmp_gt_i64_e32 vcc, 0, v[3:4]
	v_not_b32_e32 v4, v4
	v_ashrrev_i32_e32 v4, 31, v4
	v_and_b32_e32 v24, v24, v126
	v_xor_b32_e32 v126, vcc_hi, v4
	v_xor_b32_e32 v4, vcc_lo, v4
	v_and_b32_e32 v22, v22, v4
	v_lshlrev_b32_e32 v4, 26, v21
	v_cmp_gt_i64_e32 vcc, 0, v[3:4]
	v_not_b32_e32 v4, v4
	v_ashrrev_i32_e32 v4, 31, v4
	v_and_b32_e32 v24, v24, v126
	v_xor_b32_e32 v126, vcc_hi, v4
	v_xor_b32_e32 v4, vcc_lo, v4
	v_and_b32_e32 v22, v22, v4
	v_lshlrev_b32_e32 v4, 25, v21
	v_cmp_gt_i64_e32 vcc, 0, v[3:4]
	v_not_b32_e32 v4, v4
	v_ashrrev_i32_e32 v4, 31, v4
	v_and_b32_e32 v24, v24, v126
	v_xor_b32_e32 v126, vcc_hi, v4
	v_xor_b32_e32 v4, vcc_lo, v4
	v_and_b32_e32 v24, v24, v126
	v_and_b32_e32 v126, v22, v4
	v_lshlrev_b32_e32 v4, 24, v21
	v_cmp_gt_i64_e32 vcc, 0, v[3:4]
	v_not_b32_e32 v4, v4
	v_ashrrev_i32_e32 v4, 31, v4
	v_mul_u32_u24_e32 v23, 20, v21
	v_xor_b32_e32 v21, vcc_hi, v4
	v_xor_b32_e32 v4, vcc_lo, v4
	v_and_b32_e32 v22, v24, v21
	v_and_b32_e32 v21, v126, v4
	v_mbcnt_lo_u32_b32 v4, v21, 0
	v_mbcnt_hi_u32_b32 v126, v22, v4
	v_cmp_ne_u64_e32 vcc, 0, v[21:22]
	v_cmp_eq_u32_e64 s[38:39], 0, v126
	s_and_b64 s[40:41], vcc, s[38:39]
	v_add_u32_e32 v4, v91, v23
	; wave barrier
	s_and_saveexec_b64 s[38:39], s[40:41]
	s_cbranch_execz .LBB1951_264
; %bb.263:                              ;   in Loop: Header=BB1951_228 Depth=2
	v_bcnt_u32_b32 v21, v21, 0
	v_bcnt_u32_b32 v21, v22, v21
	s_waitcnt lgkmcnt(0)
	v_add_u32_e32 v21, v124, v21
	ds_write_b32 v4, v21 offset:1040
.LBB1951_264:                           ;   in Loop: Header=BB1951_228 Depth=2
	s_or_b64 exec, exec, s[38:39]
	; wave barrier
	s_waitcnt lgkmcnt(0)
	s_barrier
	ds_read2_b32 v[23:24], v62 offset1:1
	ds_read2_b32 v[21:22], v63 offset1:1
	ds_read_b32 v127, v41 offset:1056
	s_waitcnt lgkmcnt(1)
	v_add3_u32 v128, v24, v23, v21
	s_waitcnt lgkmcnt(0)
	v_add3_u32 v127, v128, v22, v127
	s_nop 1
	v_mov_b32_dpp v128, v127 row_shr:1 row_mask:0xf bank_mask:0xf
	v_cndmask_b32_e64 v128, v128, 0, s[18:19]
	v_add_u32_e32 v127, v128, v127
	s_nop 1
	v_mov_b32_dpp v128, v127 row_shr:2 row_mask:0xf bank_mask:0xf
	v_cndmask_b32_e64 v128, 0, v128, s[20:21]
	v_add_u32_e32 v127, v127, v128
	;; [unrolled: 4-line block ×4, first 2 shown]
	s_nop 1
	v_mov_b32_dpp v128, v127 row_bcast:15 row_mask:0xf bank_mask:0xf
	v_cndmask_b32_e64 v128, v128, 0, s[26:27]
	v_add_u32_e32 v127, v127, v128
	s_nop 1
	v_mov_b32_dpp v128, v127 row_bcast:31 row_mask:0xf bank_mask:0xf
	v_cndmask_b32_e64 v128, 0, v128, s[28:29]
	v_add_u32_e32 v127, v127, v128
	s_and_saveexec_b64 s[38:39], s[8:9]
; %bb.265:                              ;   in Loop: Header=BB1951_228 Depth=2
	ds_write_b32 v37, v127 offset:1024
; %bb.266:                              ;   in Loop: Header=BB1951_228 Depth=2
	s_or_b64 exec, exec, s[38:39]
	s_waitcnt lgkmcnt(0)
	s_barrier
	s_and_saveexec_b64 s[38:39], s[10:11]
	s_cbranch_execz .LBB1951_268
; %bb.267:                              ;   in Loop: Header=BB1951_228 Depth=2
	ds_read_b32 v128, v42 offset:1024
	s_waitcnt lgkmcnt(0)
	s_nop 0
	v_mov_b32_dpp v129, v128 row_shr:1 row_mask:0xf bank_mask:0xf
	v_cndmask_b32_e64 v129, v129, 0, s[34:35]
	v_add_u32_e32 v128, v129, v128
	s_nop 1
	v_mov_b32_dpp v129, v128 row_shr:2 row_mask:0xf bank_mask:0xf
	v_cndmask_b32_e64 v129, 0, v129, s[36:37]
	v_add_u32_e32 v128, v128, v129
	ds_write_b32 v42, v128 offset:1024
.LBB1951_268:                           ;   in Loop: Header=BB1951_228 Depth=2
	s_or_b64 exec, exec, s[38:39]
	v_mov_b32_e32 v128, 0
	s_waitcnt lgkmcnt(0)
	s_barrier
	s_and_saveexec_b64 s[38:39], s[12:13]
; %bb.269:                              ;   in Loop: Header=BB1951_228 Depth=2
	ds_read_b32 v128, v37 offset:1020
; %bb.270:                              ;   in Loop: Header=BB1951_228 Depth=2
	s_or_b64 exec, exec, s[38:39]
	s_waitcnt lgkmcnt(0)
	v_add_u32_e32 v127, v128, v127
	ds_bpermute_b32 v127, v82, v127
	s_waitcnt lgkmcnt(0)
	v_cndmask_b32_e64 v127, v127, v128, s[30:31]
	v_cndmask_b32_e64 v127, v127, 0, s[14:15]
	v_add_u32_e32 v23, v127, v23
	v_add_u32_e32 v24, v23, v24
	;; [unrolled: 1-line block ×4, first 2 shown]
	ds_write2_b32 v62, v127, v23 offset1:1
	ds_write2_b32 v63, v24, v21 offset1:1
	ds_write_b32 v41, v22 offset:1056
	s_waitcnt lgkmcnt(0)
	s_barrier
	ds_read_b32 v21, v101 offset:1040
	ds_read_b32 v22, v105 offset:1040
	;; [unrolled: 1-line block ×9, first 2 shown]
	v_mov_b32_e32 v4, 0x800
	s_and_saveexec_b64 s[38:39], s[16:17]
; %bb.271:                              ;   in Loop: Header=BB1951_228 Depth=2
	ds_read_b32 v4, v41 offset:1060
; %bb.272:                              ;   in Loop: Header=BB1951_228 Depth=2
	s_or_b64 exec, exec, s[38:39]
	s_waitcnt lgkmcnt(0)
	s_barrier
	s_and_saveexec_b64 s[38:39], s[4:5]
	s_cbranch_execz .LBB1951_274
; %bb.273:                              ;   in Loop: Header=BB1951_228 Depth=2
	ds_read_b32 v105, v25
	s_waitcnt lgkmcnt(0)
	v_sub_u32_e32 v101, v105, v101
	ds_write_b32 v25, v101
.LBB1951_274:                           ;   in Loop: Header=BB1951_228 Depth=2
	s_or_b64 exec, exec, s[38:39]
	v_add_u32_e32 v108, v21, v98
	v_add3_u32 v105, v102, v100, v22
	v_lshlrev_b32_e32 v21, 1, v108
	v_add3_u32 v102, v106, v104, v23
	ds_write_b16 v21, v97 offset:1024
	v_lshlrev_b32_e32 v21, 1, v105
	v_add3_u32 v101, v111, v109, v24
	ds_write_b16 v21, v99 offset:1024
	v_lshlrev_b32_e32 v21, 1, v102
	v_add3_u32 v100, v115, v113, v110
	ds_write_b16 v21, v103 offset:1024
	v_lshlrev_b32_e32 v21, 1, v101
	v_add3_u32 v98, v119, v117, v114
	ds_write_b16 v21, v107 offset:1024
	v_lshlrev_b32_e32 v21, 1, v100
	v_add3_u32 v24, v122, v121, v118
	ds_write_b16 v21, v112 offset:1024
	v_lshlrev_b32_e32 v21, 1, v98
	v_add3_u32 v23, v126, v124, v125
	ds_write_b16 v21, v116 offset:1024
	v_lshlrev_b32_e32 v21, 1, v24
	ds_write_b16 v21, v120 offset:1024
	v_lshlrev_b32_e32 v21, 1, v23
	v_cmp_lt_u32_e32 vcc, v0, v96
	ds_write_b16 v21, v123 offset:1024
	s_waitcnt lgkmcnt(0)
	s_barrier
	s_and_saveexec_b64 s[40:41], vcc
	s_cbranch_execnz .LBB1951_311
; %bb.275:                              ;   in Loop: Header=BB1951_228 Depth=2
	s_or_b64 exec, exec, s[40:41]
	v_cmp_lt_u32_e64 s[38:39], v26, v96
	s_and_saveexec_b64 s[42:43], s[38:39]
	s_cbranch_execnz .LBB1951_312
.LBB1951_276:                           ;   in Loop: Header=BB1951_228 Depth=2
	s_or_b64 exec, exec, s[42:43]
	v_cmp_lt_u32_e64 s[40:41], v27, v96
	s_and_saveexec_b64 s[44:45], s[40:41]
	s_cbranch_execnz .LBB1951_313
.LBB1951_277:                           ;   in Loop: Header=BB1951_228 Depth=2
	s_or_b64 exec, exec, s[44:45]
	v_cmp_lt_u32_e64 s[42:43], v28, v96
	s_and_saveexec_b64 s[46:47], s[42:43]
	s_cbranch_execnz .LBB1951_314
.LBB1951_278:                           ;   in Loop: Header=BB1951_228 Depth=2
	s_or_b64 exec, exec, s[46:47]
	v_cmp_lt_u32_e64 s[44:45], v31, v96
	s_and_saveexec_b64 s[48:49], s[44:45]
	s_cbranch_execnz .LBB1951_315
.LBB1951_279:                           ;   in Loop: Header=BB1951_228 Depth=2
	s_or_b64 exec, exec, s[48:49]
	v_cmp_lt_u32_e64 s[46:47], v32, v96
	s_and_saveexec_b64 s[50:51], s[46:47]
	s_cbranch_execnz .LBB1951_316
.LBB1951_280:                           ;   in Loop: Header=BB1951_228 Depth=2
	s_or_b64 exec, exec, s[50:51]
	v_cmp_lt_u32_e64 s[48:49], v33, v96
	s_and_saveexec_b64 s[52:53], s[48:49]
	s_cbranch_execnz .LBB1951_317
.LBB1951_281:                           ;   in Loop: Header=BB1951_228 Depth=2
	s_or_b64 exec, exec, s[52:53]
	v_cmp_lt_u32_e64 s[50:51], v34, v96
	s_and_saveexec_b64 s[60:61], s[50:51]
	s_cbranch_execz .LBB1951_283
.LBB1951_282:                           ;   in Loop: Header=BB1951_228 Depth=2
	ds_read_u16 v21, v47 offset:4608
	v_mov_b32_e32 v22, v3
	v_mov_b32_e32 v99, s69
	s_waitcnt lgkmcnt(0)
	v_cmp_ne_u16_e64 s[52:53], s7, v21
	v_cndmask_b32_e64 v97, v65, v21, s[52:53]
	v_lshrrev_b32_sdwa v97, s62, v97 dst_sel:DWORD dst_unused:UNUSED_PAD src0_sel:DWORD src1_sel:WORD_0
	v_and_b32_e32 v97, s63, v97
	v_lshlrev_b32_e32 v97, 2, v97
	ds_read_b32 v97, v97
	v_cmp_gt_i16_e64 s[52:53], 0, v21
	v_cndmask_b32_e64 v103, v65, 0, s[52:53]
	v_xor_b32_e32 v103, v103, v21
	s_waitcnt lgkmcnt(0)
	v_add_u32_e32 v21, v97, v34
	v_lshlrev_b64 v[21:22], 1, v[21:22]
	v_add_co_u32_e64 v21, s[52:53], s68, v21
	v_addc_co_u32_e64 v22, s[52:53], v99, v22, s[52:53]
	global_store_short v[21:22], v103, off
.LBB1951_283:                           ;   in Loop: Header=BB1951_228 Depth=2
	s_or_b64 exec, exec, s[60:61]
	s_lshl_b64 s[52:53], s[58:59], 3
	v_mov_b32_e32 v22, s53
	v_add_co_u32_e64 v21, s[52:53], s52, v83
	v_addc_co_u32_e64 v22, s[52:53], v84, v22, s[52:53]
	v_cmp_lt_u32_e64 s[52:53], v73, v96
	s_and_saveexec_b64 s[60:61], s[52:53]
	s_xor_b64 s[52:53], exec, s[60:61]
	s_cbranch_execnz .LBB1951_318
; %bb.284:                              ;   in Loop: Header=BB1951_228 Depth=2
	s_or_b64 exec, exec, s[52:53]
	v_cmp_lt_u32_e64 s[52:53], v74, v96
	s_and_saveexec_b64 s[60:61], s[52:53]
	s_cbranch_execnz .LBB1951_319
.LBB1951_285:                           ;   in Loop: Header=BB1951_228 Depth=2
	s_or_b64 exec, exec, s[60:61]
	v_cmp_lt_u32_e64 s[52:53], v75, v96
	s_and_saveexec_b64 s[60:61], s[52:53]
	s_cbranch_execnz .LBB1951_320
.LBB1951_286:                           ;   in Loop: Header=BB1951_228 Depth=2
	s_or_b64 exec, exec, s[60:61]
	v_cmp_lt_u32_e64 s[52:53], v76, v96
	s_and_saveexec_b64 s[60:61], s[52:53]
	s_cbranch_execnz .LBB1951_321
.LBB1951_287:                           ;   in Loop: Header=BB1951_228 Depth=2
	s_or_b64 exec, exec, s[60:61]
	v_cmp_lt_u32_e64 s[52:53], v77, v96
	s_and_saveexec_b64 s[60:61], s[52:53]
	s_cbranch_execnz .LBB1951_322
.LBB1951_288:                           ;   in Loop: Header=BB1951_228 Depth=2
	s_or_b64 exec, exec, s[60:61]
	v_cmp_lt_u32_e64 s[52:53], v78, v96
	s_and_saveexec_b64 s[60:61], s[52:53]
	s_cbranch_execnz .LBB1951_323
.LBB1951_289:                           ;   in Loop: Header=BB1951_228 Depth=2
	s_or_b64 exec, exec, s[60:61]
	v_cmp_lt_u32_e64 s[52:53], v79, v96
	s_and_saveexec_b64 s[60:61], s[52:53]
	s_cbranch_execnz .LBB1951_324
.LBB1951_290:                           ;   in Loop: Header=BB1951_228 Depth=2
	s_or_b64 exec, exec, s[60:61]
	v_cmp_lt_u32_e64 s[52:53], v80, v96
	s_and_saveexec_b64 s[60:61], s[52:53]
	s_cbranch_execnz .LBB1951_325
.LBB1951_291:                           ;   in Loop: Header=BB1951_228 Depth=2
	s_or_b64 exec, exec, s[60:61]
	s_and_saveexec_b64 s[60:61], vcc
	s_cbranch_execnz .LBB1951_326
.LBB1951_292:                           ;   in Loop: Header=BB1951_228 Depth=2
	s_or_b64 exec, exec, s[60:61]
	s_and_saveexec_b64 s[60:61], s[38:39]
	s_cbranch_execnz .LBB1951_327
.LBB1951_293:                           ;   in Loop: Header=BB1951_228 Depth=2
	s_or_b64 exec, exec, s[60:61]
	s_and_saveexec_b64 s[60:61], s[40:41]
	s_cbranch_execnz .LBB1951_328
.LBB1951_294:                           ;   in Loop: Header=BB1951_228 Depth=2
	s_or_b64 exec, exec, s[60:61]
	s_and_saveexec_b64 s[60:61], s[42:43]
	s_cbranch_execnz .LBB1951_329
.LBB1951_295:                           ;   in Loop: Header=BB1951_228 Depth=2
	s_or_b64 exec, exec, s[60:61]
	s_and_saveexec_b64 s[60:61], s[44:45]
	s_cbranch_execnz .LBB1951_330
.LBB1951_296:                           ;   in Loop: Header=BB1951_228 Depth=2
	s_or_b64 exec, exec, s[60:61]
	s_and_saveexec_b64 s[60:61], s[46:47]
	s_cbranch_execnz .LBB1951_331
.LBB1951_297:                           ;   in Loop: Header=BB1951_228 Depth=2
	s_or_b64 exec, exec, s[60:61]
	s_and_saveexec_b64 s[60:61], s[48:49]
	s_cbranch_execnz .LBB1951_332
.LBB1951_298:                           ;   in Loop: Header=BB1951_228 Depth=2
	s_or_b64 exec, exec, s[60:61]
	s_and_saveexec_b64 s[60:61], s[50:51]
	s_cbranch_execz .LBB1951_300
.LBB1951_299:                           ;   in Loop: Header=BB1951_228 Depth=2
	ds_read_u16 v21, v47 offset:4608
	s_waitcnt lgkmcnt(0)
	v_cmp_ne_u16_e64 s[52:53], s7, v21
	v_cndmask_b32_e64 v21, v65, v21, s[52:53]
	v_lshrrev_b32_sdwa v21, s62, v21 dst_sel:DWORD dst_unused:UNUSED_PAD src0_sel:DWORD src1_sel:WORD_0
	v_and_b32_e32 v87, s63, v21
.LBB1951_300:                           ;   in Loop: Header=BB1951_228 Depth=2
	s_or_b64 exec, exec, s[60:61]
	v_lshlrev_b32_e32 v21, 3, v108
	s_waitcnt vmcnt(0)
	s_barrier
	ds_write_b64 v21, v[19:20] offset:1024
	v_lshlrev_b32_e32 v21, 3, v105
	ds_write_b64 v21, v[17:18] offset:1024
	v_lshlrev_b32_e32 v21, 3, v102
	;; [unrolled: 2-line block ×7, first 2 shown]
	ds_write_b64 v21, v[5:6] offset:1024
	s_waitcnt lgkmcnt(0)
	s_barrier
	s_and_saveexec_b64 s[52:53], vcc
	s_cbranch_execnz .LBB1951_333
; %bb.301:                              ;   in Loop: Header=BB1951_228 Depth=2
	s_or_b64 exec, exec, s[52:53]
	s_and_saveexec_b64 s[52:53], s[38:39]
	s_cbranch_execnz .LBB1951_334
.LBB1951_302:                           ;   in Loop: Header=BB1951_228 Depth=2
	s_or_b64 exec, exec, s[52:53]
	s_and_saveexec_b64 s[38:39], s[40:41]
	s_cbranch_execnz .LBB1951_335
.LBB1951_303:                           ;   in Loop: Header=BB1951_228 Depth=2
	s_or_b64 exec, exec, s[38:39]
	s_and_saveexec_b64 s[38:39], s[42:43]
	s_cbranch_execnz .LBB1951_336
.LBB1951_304:                           ;   in Loop: Header=BB1951_228 Depth=2
	s_or_b64 exec, exec, s[38:39]
	s_and_saveexec_b64 s[38:39], s[44:45]
	s_cbranch_execnz .LBB1951_337
.LBB1951_305:                           ;   in Loop: Header=BB1951_228 Depth=2
	s_or_b64 exec, exec, s[38:39]
	s_and_saveexec_b64 s[38:39], s[46:47]
	s_cbranch_execnz .LBB1951_338
.LBB1951_306:                           ;   in Loop: Header=BB1951_228 Depth=2
	s_or_b64 exec, exec, s[38:39]
	s_and_saveexec_b64 s[38:39], s[48:49]
	s_cbranch_execnz .LBB1951_339
.LBB1951_307:                           ;   in Loop: Header=BB1951_228 Depth=2
	s_or_b64 exec, exec, s[38:39]
	s_and_saveexec_b64 s[38:39], s[50:51]
	s_cbranch_execz .LBB1951_309
.LBB1951_308:                           ;   in Loop: Header=BB1951_228 Depth=2
	v_lshlrev_b32_e32 v21, 2, v87
	ds_read_b32 v23, v21
	v_add_u32_e32 v21, v47, v48
	ds_read_b64 v[21:22], v21 offset:15360
	v_mov_b32_e32 v24, v3
	v_mov_b32_e32 v96, s75
	s_waitcnt lgkmcnt(1)
	v_add_u32_e32 v23, v23, v34
	v_lshlrev_b64 v[23:24], 3, v[23:24]
	v_add_co_u32_e32 v23, vcc, s74, v23
	v_addc_co_u32_e32 v24, vcc, v96, v24, vcc
	s_waitcnt lgkmcnt(0)
	global_store_dwordx2 v[23:24], v[21:22], off
.LBB1951_309:                           ;   in Loop: Header=BB1951_228 Depth=2
	s_or_b64 exec, exec, s[38:39]
	s_waitcnt vmcnt(0)
	s_barrier
	s_and_saveexec_b64 s[38:39], s[4:5]
	s_cbranch_execz .LBB1951_227
; %bb.310:                              ;   in Loop: Header=BB1951_228 Depth=2
	ds_read_b32 v21, v25
	s_waitcnt lgkmcnt(0)
	v_add_u32_e32 v4, v21, v4
	ds_write_b32 v25, v4
	s_branch .LBB1951_227
.LBB1951_311:                           ;   in Loop: Header=BB1951_228 Depth=2
	ds_read_u16 v21, v47 offset:1024
	v_mov_b32_e32 v22, v3
	v_mov_b32_e32 v99, s69
	s_waitcnt lgkmcnt(0)
	v_cmp_ne_u16_e64 s[38:39], s7, v21
	v_cndmask_b32_e64 v97, v65, v21, s[38:39]
	v_lshrrev_b32_sdwa v97, s62, v97 dst_sel:DWORD dst_unused:UNUSED_PAD src0_sel:DWORD src1_sel:WORD_0
	v_and_b32_e32 v97, s63, v97
	v_lshlrev_b32_e32 v97, 2, v97
	ds_read_b32 v97, v97
	v_cmp_gt_i16_e64 s[38:39], 0, v21
	v_cndmask_b32_e64 v103, v65, 0, s[38:39]
	v_xor_b32_e32 v103, v103, v21
	s_waitcnt lgkmcnt(0)
	v_add_u32_e32 v21, v97, v0
	v_lshlrev_b64 v[21:22], 1, v[21:22]
	v_add_co_u32_e64 v21, s[38:39], s68, v21
	v_addc_co_u32_e64 v22, s[38:39], v99, v22, s[38:39]
	global_store_short v[21:22], v103, off
	s_or_b64 exec, exec, s[40:41]
	v_cmp_lt_u32_e64 s[38:39], v26, v96
	s_and_saveexec_b64 s[42:43], s[38:39]
	s_cbranch_execz .LBB1951_276
.LBB1951_312:                           ;   in Loop: Header=BB1951_228 Depth=2
	ds_read_u16 v21, v47 offset:1536
	v_mov_b32_e32 v22, v3
	v_mov_b32_e32 v99, s69
	s_waitcnt lgkmcnt(0)
	v_cmp_ne_u16_e64 s[40:41], s7, v21
	v_cndmask_b32_e64 v97, v65, v21, s[40:41]
	v_lshrrev_b32_sdwa v97, s62, v97 dst_sel:DWORD dst_unused:UNUSED_PAD src0_sel:DWORD src1_sel:WORD_0
	v_and_b32_e32 v97, s63, v97
	v_lshlrev_b32_e32 v97, 2, v97
	ds_read_b32 v97, v97
	v_cmp_gt_i16_e64 s[40:41], 0, v21
	v_cndmask_b32_e64 v103, v65, 0, s[40:41]
	v_xor_b32_e32 v103, v103, v21
	s_waitcnt lgkmcnt(0)
	v_add_u32_e32 v21, v97, v26
	v_lshlrev_b64 v[21:22], 1, v[21:22]
	v_add_co_u32_e64 v21, s[40:41], s68, v21
	v_addc_co_u32_e64 v22, s[40:41], v99, v22, s[40:41]
	global_store_short v[21:22], v103, off
	s_or_b64 exec, exec, s[42:43]
	v_cmp_lt_u32_e64 s[40:41], v27, v96
	s_and_saveexec_b64 s[44:45], s[40:41]
	s_cbranch_execz .LBB1951_277
.LBB1951_313:                           ;   in Loop: Header=BB1951_228 Depth=2
	ds_read_u16 v21, v47 offset:2048
	v_mov_b32_e32 v22, v3
	v_mov_b32_e32 v99, s69
	s_waitcnt lgkmcnt(0)
	v_cmp_ne_u16_e64 s[42:43], s7, v21
	v_cndmask_b32_e64 v97, v65, v21, s[42:43]
	v_lshrrev_b32_sdwa v97, s62, v97 dst_sel:DWORD dst_unused:UNUSED_PAD src0_sel:DWORD src1_sel:WORD_0
	v_and_b32_e32 v97, s63, v97
	v_lshlrev_b32_e32 v97, 2, v97
	ds_read_b32 v97, v97
	v_cmp_gt_i16_e64 s[42:43], 0, v21
	v_cndmask_b32_e64 v103, v65, 0, s[42:43]
	v_xor_b32_e32 v103, v103, v21
	s_waitcnt lgkmcnt(0)
	v_add_u32_e32 v21, v97, v27
	v_lshlrev_b64 v[21:22], 1, v[21:22]
	v_add_co_u32_e64 v21, s[42:43], s68, v21
	v_addc_co_u32_e64 v22, s[42:43], v99, v22, s[42:43]
	global_store_short v[21:22], v103, off
	s_or_b64 exec, exec, s[44:45]
	v_cmp_lt_u32_e64 s[42:43], v28, v96
	s_and_saveexec_b64 s[46:47], s[42:43]
	s_cbranch_execz .LBB1951_278
.LBB1951_314:                           ;   in Loop: Header=BB1951_228 Depth=2
	ds_read_u16 v21, v47 offset:2560
	v_mov_b32_e32 v22, v3
	v_mov_b32_e32 v99, s69
	s_waitcnt lgkmcnt(0)
	v_cmp_ne_u16_e64 s[44:45], s7, v21
	v_cndmask_b32_e64 v97, v65, v21, s[44:45]
	v_lshrrev_b32_sdwa v97, s62, v97 dst_sel:DWORD dst_unused:UNUSED_PAD src0_sel:DWORD src1_sel:WORD_0
	v_and_b32_e32 v97, s63, v97
	v_lshlrev_b32_e32 v97, 2, v97
	ds_read_b32 v97, v97
	v_cmp_gt_i16_e64 s[44:45], 0, v21
	v_cndmask_b32_e64 v103, v65, 0, s[44:45]
	v_xor_b32_e32 v103, v103, v21
	s_waitcnt lgkmcnt(0)
	v_add_u32_e32 v21, v97, v28
	v_lshlrev_b64 v[21:22], 1, v[21:22]
	v_add_co_u32_e64 v21, s[44:45], s68, v21
	v_addc_co_u32_e64 v22, s[44:45], v99, v22, s[44:45]
	global_store_short v[21:22], v103, off
	s_or_b64 exec, exec, s[46:47]
	v_cmp_lt_u32_e64 s[44:45], v31, v96
	s_and_saveexec_b64 s[48:49], s[44:45]
	s_cbranch_execz .LBB1951_279
.LBB1951_315:                           ;   in Loop: Header=BB1951_228 Depth=2
	ds_read_u16 v21, v47 offset:3072
	v_mov_b32_e32 v22, v3
	v_mov_b32_e32 v99, s69
	s_waitcnt lgkmcnt(0)
	v_cmp_ne_u16_e64 s[46:47], s7, v21
	v_cndmask_b32_e64 v97, v65, v21, s[46:47]
	v_lshrrev_b32_sdwa v97, s62, v97 dst_sel:DWORD dst_unused:UNUSED_PAD src0_sel:DWORD src1_sel:WORD_0
	v_and_b32_e32 v97, s63, v97
	v_lshlrev_b32_e32 v97, 2, v97
	ds_read_b32 v97, v97
	v_cmp_gt_i16_e64 s[46:47], 0, v21
	v_cndmask_b32_e64 v103, v65, 0, s[46:47]
	v_xor_b32_e32 v103, v103, v21
	s_waitcnt lgkmcnt(0)
	v_add_u32_e32 v21, v97, v31
	v_lshlrev_b64 v[21:22], 1, v[21:22]
	v_add_co_u32_e64 v21, s[46:47], s68, v21
	v_addc_co_u32_e64 v22, s[46:47], v99, v22, s[46:47]
	global_store_short v[21:22], v103, off
	s_or_b64 exec, exec, s[48:49]
	v_cmp_lt_u32_e64 s[46:47], v32, v96
	s_and_saveexec_b64 s[50:51], s[46:47]
	s_cbranch_execz .LBB1951_280
.LBB1951_316:                           ;   in Loop: Header=BB1951_228 Depth=2
	ds_read_u16 v21, v47 offset:3584
	v_mov_b32_e32 v22, v3
	v_mov_b32_e32 v99, s69
	s_waitcnt lgkmcnt(0)
	v_cmp_ne_u16_e64 s[48:49], s7, v21
	v_cndmask_b32_e64 v97, v65, v21, s[48:49]
	v_lshrrev_b32_sdwa v97, s62, v97 dst_sel:DWORD dst_unused:UNUSED_PAD src0_sel:DWORD src1_sel:WORD_0
	v_and_b32_e32 v97, s63, v97
	v_lshlrev_b32_e32 v97, 2, v97
	ds_read_b32 v97, v97
	v_cmp_gt_i16_e64 s[48:49], 0, v21
	v_cndmask_b32_e64 v103, v65, 0, s[48:49]
	v_xor_b32_e32 v103, v103, v21
	s_waitcnt lgkmcnt(0)
	v_add_u32_e32 v21, v97, v32
	v_lshlrev_b64 v[21:22], 1, v[21:22]
	v_add_co_u32_e64 v21, s[48:49], s68, v21
	v_addc_co_u32_e64 v22, s[48:49], v99, v22, s[48:49]
	global_store_short v[21:22], v103, off
	s_or_b64 exec, exec, s[50:51]
	v_cmp_lt_u32_e64 s[48:49], v33, v96
	s_and_saveexec_b64 s[52:53], s[48:49]
	s_cbranch_execz .LBB1951_281
.LBB1951_317:                           ;   in Loop: Header=BB1951_228 Depth=2
	ds_read_u16 v21, v47 offset:4096
	v_mov_b32_e32 v22, v3
	v_mov_b32_e32 v99, s69
	s_waitcnt lgkmcnt(0)
	v_cmp_ne_u16_e64 s[50:51], s7, v21
	v_cndmask_b32_e64 v97, v65, v21, s[50:51]
	v_lshrrev_b32_sdwa v97, s62, v97 dst_sel:DWORD dst_unused:UNUSED_PAD src0_sel:DWORD src1_sel:WORD_0
	v_and_b32_e32 v97, s63, v97
	v_lshlrev_b32_e32 v97, 2, v97
	ds_read_b32 v97, v97
	v_cmp_gt_i16_e64 s[50:51], 0, v21
	v_cndmask_b32_e64 v103, v65, 0, s[50:51]
	v_xor_b32_e32 v103, v103, v21
	s_waitcnt lgkmcnt(0)
	v_add_u32_e32 v21, v97, v33
	v_lshlrev_b64 v[21:22], 1, v[21:22]
	v_add_co_u32_e64 v21, s[50:51], s68, v21
	v_addc_co_u32_e64 v22, s[50:51], v99, v22, s[50:51]
	global_store_short v[21:22], v103, off
	s_or_b64 exec, exec, s[52:53]
	v_cmp_lt_u32_e64 s[50:51], v34, v96
	s_and_saveexec_b64 s[60:61], s[50:51]
	s_cbranch_execnz .LBB1951_282
	s_branch .LBB1951_283
.LBB1951_318:                           ;   in Loop: Header=BB1951_228 Depth=2
	global_load_dwordx2 v[19:20], v[21:22], off
	s_or_b64 exec, exec, s[52:53]
	v_cmp_lt_u32_e64 s[52:53], v74, v96
	s_and_saveexec_b64 s[60:61], s[52:53]
	s_cbranch_execz .LBB1951_285
.LBB1951_319:                           ;   in Loop: Header=BB1951_228 Depth=2
	global_load_dwordx2 v[17:18], v[21:22], off offset:512
	s_or_b64 exec, exec, s[60:61]
	v_cmp_lt_u32_e64 s[52:53], v75, v96
	s_and_saveexec_b64 s[60:61], s[52:53]
	s_cbranch_execz .LBB1951_286
.LBB1951_320:                           ;   in Loop: Header=BB1951_228 Depth=2
	global_load_dwordx2 v[15:16], v[21:22], off offset:1024
	s_or_b64 exec, exec, s[60:61]
	v_cmp_lt_u32_e64 s[52:53], v76, v96
	s_and_saveexec_b64 s[60:61], s[52:53]
	s_cbranch_execz .LBB1951_287
.LBB1951_321:                           ;   in Loop: Header=BB1951_228 Depth=2
	global_load_dwordx2 v[13:14], v[21:22], off offset:1536
	s_or_b64 exec, exec, s[60:61]
	v_cmp_lt_u32_e64 s[52:53], v77, v96
	s_and_saveexec_b64 s[60:61], s[52:53]
	s_cbranch_execz .LBB1951_288
.LBB1951_322:                           ;   in Loop: Header=BB1951_228 Depth=2
	global_load_dwordx2 v[11:12], v[21:22], off offset:2048
	s_or_b64 exec, exec, s[60:61]
	v_cmp_lt_u32_e64 s[52:53], v78, v96
	s_and_saveexec_b64 s[60:61], s[52:53]
	s_cbranch_execz .LBB1951_289
.LBB1951_323:                           ;   in Loop: Header=BB1951_228 Depth=2
	global_load_dwordx2 v[9:10], v[21:22], off offset:2560
	s_or_b64 exec, exec, s[60:61]
	v_cmp_lt_u32_e64 s[52:53], v79, v96
	s_and_saveexec_b64 s[60:61], s[52:53]
	s_cbranch_execz .LBB1951_290
.LBB1951_324:                           ;   in Loop: Header=BB1951_228 Depth=2
	global_load_dwordx2 v[7:8], v[21:22], off offset:3072
	s_or_b64 exec, exec, s[60:61]
	v_cmp_lt_u32_e64 s[52:53], v80, v96
	s_and_saveexec_b64 s[60:61], s[52:53]
	s_cbranch_execz .LBB1951_291
.LBB1951_325:                           ;   in Loop: Header=BB1951_228 Depth=2
	global_load_dwordx2 v[5:6], v[21:22], off offset:3584
	s_or_b64 exec, exec, s[60:61]
	s_and_saveexec_b64 s[60:61], vcc
	s_cbranch_execz .LBB1951_292
.LBB1951_326:                           ;   in Loop: Header=BB1951_228 Depth=2
	ds_read_u16 v21, v47 offset:1024
	s_waitcnt lgkmcnt(0)
	v_cmp_ne_u16_e64 s[52:53], s7, v21
	v_cndmask_b32_e64 v21, v65, v21, s[52:53]
	v_lshrrev_b32_sdwa v21, s62, v21 dst_sel:DWORD dst_unused:UNUSED_PAD src0_sel:DWORD src1_sel:WORD_0
	v_and_b32_e32 v95, s63, v21
	s_or_b64 exec, exec, s[60:61]
	s_and_saveexec_b64 s[60:61], s[38:39]
	s_cbranch_execz .LBB1951_293
.LBB1951_327:                           ;   in Loop: Header=BB1951_228 Depth=2
	ds_read_u16 v21, v47 offset:1536
	s_waitcnt lgkmcnt(0)
	v_cmp_ne_u16_e64 s[52:53], s7, v21
	v_cndmask_b32_e64 v21, v65, v21, s[52:53]
	v_lshrrev_b32_sdwa v21, s62, v21 dst_sel:DWORD dst_unused:UNUSED_PAD src0_sel:DWORD src1_sel:WORD_0
	v_and_b32_e32 v94, s63, v21
	s_or_b64 exec, exec, s[60:61]
	s_and_saveexec_b64 s[60:61], s[40:41]
	s_cbranch_execz .LBB1951_294
.LBB1951_328:                           ;   in Loop: Header=BB1951_228 Depth=2
	ds_read_u16 v21, v47 offset:2048
	s_waitcnt lgkmcnt(0)
	v_cmp_ne_u16_e64 s[52:53], s7, v21
	v_cndmask_b32_e64 v21, v65, v21, s[52:53]
	v_lshrrev_b32_sdwa v21, s62, v21 dst_sel:DWORD dst_unused:UNUSED_PAD src0_sel:DWORD src1_sel:WORD_0
	v_and_b32_e32 v93, s63, v21
	s_or_b64 exec, exec, s[60:61]
	s_and_saveexec_b64 s[60:61], s[42:43]
	s_cbranch_execz .LBB1951_295
.LBB1951_329:                           ;   in Loop: Header=BB1951_228 Depth=2
	ds_read_u16 v21, v47 offset:2560
	s_waitcnt lgkmcnt(0)
	v_cmp_ne_u16_e64 s[52:53], s7, v21
	v_cndmask_b32_e64 v21, v65, v21, s[52:53]
	v_lshrrev_b32_sdwa v21, s62, v21 dst_sel:DWORD dst_unused:UNUSED_PAD src0_sel:DWORD src1_sel:WORD_0
	v_and_b32_e32 v92, s63, v21
	s_or_b64 exec, exec, s[60:61]
	s_and_saveexec_b64 s[60:61], s[44:45]
	s_cbranch_execz .LBB1951_296
.LBB1951_330:                           ;   in Loop: Header=BB1951_228 Depth=2
	ds_read_u16 v21, v47 offset:3072
	s_waitcnt lgkmcnt(0)
	v_cmp_ne_u16_e64 s[52:53], s7, v21
	v_cndmask_b32_e64 v21, v65, v21, s[52:53]
	v_lshrrev_b32_sdwa v21, s62, v21 dst_sel:DWORD dst_unused:UNUSED_PAD src0_sel:DWORD src1_sel:WORD_0
	v_and_b32_e32 v90, s63, v21
	s_or_b64 exec, exec, s[60:61]
	s_and_saveexec_b64 s[60:61], s[46:47]
	s_cbranch_execz .LBB1951_297
.LBB1951_331:                           ;   in Loop: Header=BB1951_228 Depth=2
	ds_read_u16 v21, v47 offset:3584
	s_waitcnt lgkmcnt(0)
	v_cmp_ne_u16_e64 s[52:53], s7, v21
	v_cndmask_b32_e64 v21, v65, v21, s[52:53]
	v_lshrrev_b32_sdwa v21, s62, v21 dst_sel:DWORD dst_unused:UNUSED_PAD src0_sel:DWORD src1_sel:WORD_0
	v_and_b32_e32 v89, s63, v21
	s_or_b64 exec, exec, s[60:61]
	s_and_saveexec_b64 s[60:61], s[48:49]
	s_cbranch_execz .LBB1951_298
.LBB1951_332:                           ;   in Loop: Header=BB1951_228 Depth=2
	ds_read_u16 v21, v47 offset:4096
	s_waitcnt lgkmcnt(0)
	v_cmp_ne_u16_e64 s[52:53], s7, v21
	v_cndmask_b32_e64 v21, v65, v21, s[52:53]
	v_lshrrev_b32_sdwa v21, s62, v21 dst_sel:DWORD dst_unused:UNUSED_PAD src0_sel:DWORD src1_sel:WORD_0
	v_and_b32_e32 v88, s63, v21
	s_or_b64 exec, exec, s[60:61]
	s_and_saveexec_b64 s[60:61], s[50:51]
	s_cbranch_execnz .LBB1951_299
	s_branch .LBB1951_300
.LBB1951_333:                           ;   in Loop: Header=BB1951_228 Depth=2
	v_lshlrev_b32_e32 v21, 2, v95
	ds_read_b32 v23, v21
	v_add_u32_e32 v21, v47, v48
	ds_read_b64 v[21:22], v21 offset:1024
	v_mov_b32_e32 v24, v3
	v_mov_b32_e32 v96, s75
	s_waitcnt lgkmcnt(1)
	v_add_u32_e32 v23, v23, v0
	v_lshlrev_b64 v[23:24], 3, v[23:24]
	v_add_co_u32_e32 v23, vcc, s74, v23
	v_addc_co_u32_e32 v24, vcc, v96, v24, vcc
	s_waitcnt lgkmcnt(0)
	global_store_dwordx2 v[23:24], v[21:22], off
	s_or_b64 exec, exec, s[52:53]
	s_and_saveexec_b64 s[52:53], s[38:39]
	s_cbranch_execz .LBB1951_302
.LBB1951_334:                           ;   in Loop: Header=BB1951_228 Depth=2
	v_lshlrev_b32_e32 v21, 2, v94
	ds_read_b32 v23, v21
	v_add_u32_e32 v21, v47, v48
	ds_read_b64 v[21:22], v21 offset:3072
	v_mov_b32_e32 v24, v3
	v_mov_b32_e32 v96, s75
	s_waitcnt lgkmcnt(1)
	v_add_u32_e32 v23, v23, v26
	v_lshlrev_b64 v[23:24], 3, v[23:24]
	v_add_co_u32_e32 v23, vcc, s74, v23
	v_addc_co_u32_e32 v24, vcc, v96, v24, vcc
	s_waitcnt lgkmcnt(0)
	global_store_dwordx2 v[23:24], v[21:22], off
	s_or_b64 exec, exec, s[52:53]
	s_and_saveexec_b64 s[38:39], s[40:41]
	s_cbranch_execz .LBB1951_303
.LBB1951_335:                           ;   in Loop: Header=BB1951_228 Depth=2
	v_lshlrev_b32_e32 v21, 2, v93
	ds_read_b32 v23, v21
	v_add_u32_e32 v21, v47, v48
	ds_read_b64 v[21:22], v21 offset:5120
	v_mov_b32_e32 v24, v3
	v_mov_b32_e32 v96, s75
	s_waitcnt lgkmcnt(1)
	v_add_u32_e32 v23, v23, v27
	v_lshlrev_b64 v[23:24], 3, v[23:24]
	v_add_co_u32_e32 v23, vcc, s74, v23
	v_addc_co_u32_e32 v24, vcc, v96, v24, vcc
	s_waitcnt lgkmcnt(0)
	global_store_dwordx2 v[23:24], v[21:22], off
	s_or_b64 exec, exec, s[38:39]
	s_and_saveexec_b64 s[38:39], s[42:43]
	s_cbranch_execz .LBB1951_304
.LBB1951_336:                           ;   in Loop: Header=BB1951_228 Depth=2
	v_lshlrev_b32_e32 v21, 2, v92
	ds_read_b32 v23, v21
	v_add_u32_e32 v21, v47, v48
	ds_read_b64 v[21:22], v21 offset:7168
	v_mov_b32_e32 v24, v3
	v_mov_b32_e32 v96, s75
	s_waitcnt lgkmcnt(1)
	v_add_u32_e32 v23, v23, v28
	v_lshlrev_b64 v[23:24], 3, v[23:24]
	v_add_co_u32_e32 v23, vcc, s74, v23
	v_addc_co_u32_e32 v24, vcc, v96, v24, vcc
	s_waitcnt lgkmcnt(0)
	global_store_dwordx2 v[23:24], v[21:22], off
	s_or_b64 exec, exec, s[38:39]
	s_and_saveexec_b64 s[38:39], s[44:45]
	s_cbranch_execz .LBB1951_305
.LBB1951_337:                           ;   in Loop: Header=BB1951_228 Depth=2
	v_lshlrev_b32_e32 v21, 2, v90
	ds_read_b32 v23, v21
	v_add_u32_e32 v21, v47, v48
	ds_read_b64 v[21:22], v21 offset:9216
	v_mov_b32_e32 v24, v3
	v_mov_b32_e32 v96, s75
	s_waitcnt lgkmcnt(1)
	v_add_u32_e32 v23, v23, v31
	v_lshlrev_b64 v[23:24], 3, v[23:24]
	v_add_co_u32_e32 v23, vcc, s74, v23
	v_addc_co_u32_e32 v24, vcc, v96, v24, vcc
	s_waitcnt lgkmcnt(0)
	global_store_dwordx2 v[23:24], v[21:22], off
	s_or_b64 exec, exec, s[38:39]
	s_and_saveexec_b64 s[38:39], s[46:47]
	s_cbranch_execz .LBB1951_306
.LBB1951_338:                           ;   in Loop: Header=BB1951_228 Depth=2
	v_lshlrev_b32_e32 v21, 2, v89
	ds_read_b32 v23, v21
	v_add_u32_e32 v21, v47, v48
	ds_read_b64 v[21:22], v21 offset:11264
	v_mov_b32_e32 v24, v3
	v_mov_b32_e32 v96, s75
	s_waitcnt lgkmcnt(1)
	v_add_u32_e32 v23, v23, v32
	v_lshlrev_b64 v[23:24], 3, v[23:24]
	v_add_co_u32_e32 v23, vcc, s74, v23
	v_addc_co_u32_e32 v24, vcc, v96, v24, vcc
	s_waitcnt lgkmcnt(0)
	global_store_dwordx2 v[23:24], v[21:22], off
	s_or_b64 exec, exec, s[38:39]
	s_and_saveexec_b64 s[38:39], s[48:49]
	s_cbranch_execz .LBB1951_307
.LBB1951_339:                           ;   in Loop: Header=BB1951_228 Depth=2
	v_lshlrev_b32_e32 v21, 2, v88
	ds_read_b32 v23, v21
	v_add_u32_e32 v21, v47, v48
	ds_read_b64 v[21:22], v21 offset:13312
	v_mov_b32_e32 v24, v3
	v_mov_b32_e32 v96, s75
	s_waitcnt lgkmcnt(1)
	v_add_u32_e32 v23, v23, v33
	v_lshlrev_b64 v[23:24], 3, v[23:24]
	v_add_co_u32_e32 v23, vcc, s74, v23
	v_addc_co_u32_e32 v24, vcc, v96, v24, vcc
	s_waitcnt lgkmcnt(0)
	global_store_dwordx2 v[23:24], v[21:22], off
	s_or_b64 exec, exec, s[38:39]
	s_and_saveexec_b64 s[38:39], s[50:51]
	s_cbranch_execnz .LBB1951_308
	s_branch .LBB1951_309
.LBB1951_340:                           ;   in Loop: Header=BB1951_12 Depth=1
	s_waitcnt lgkmcnt(0)
	s_barrier
.LBB1951_341:                           ;   in Loop: Header=BB1951_12 Depth=1
	s_mov_b64 s[18:19], 0
.LBB1951_342:                           ;   in Loop: Header=BB1951_12 Depth=1
	s_andn2_b64 vcc, exec, s[18:19]
	s_cbranch_vccnz .LBB1951_11
; %bb.343:                              ;   in Loop: Header=BB1951_12 Depth=1
	s_mov_b64 s[18:19], -1
	s_and_b64 vcc, exec, s[54:55]
	s_cbranch_vccz .LBB1951_507
; %bb.344:                              ;   in Loop: Header=BB1951_12 Depth=1
	s_mov_b32 s22, s79
	s_mov_b32 s58, s80
	s_barrier
                                        ; implicit-def: $vgpr4
                                        ; implicit-def: $vgpr5
                                        ; implicit-def: $vgpr6
                                        ; implicit-def: $vgpr7
                                        ; implicit-def: $vgpr8
                                        ; implicit-def: $vgpr9
                                        ; implicit-def: $vgpr10
                                        ; implicit-def: $vgpr11
	s_branch .LBB1951_346
.LBB1951_345:                           ;   in Loop: Header=BB1951_346 Depth=2
	s_or_b64 exec, exec, s[18:19]
	s_addk_i32 s22, 0xf800
	s_cmp_ge_u32 s23, s81
	s_mov_b32 s58, s23
	s_cbranch_scc1 .LBB1951_382
.LBB1951_346:                           ;   Parent Loop BB1951_12 Depth=1
                                        ; =>  This Inner Loop Header: Depth=2
	s_add_i32 s23, s58, 0x800
	s_cmp_gt_u32 s23, s81
	s_mov_b64 s[18:19], -1
                                        ; implicit-def: $vgpr12
                                        ; implicit-def: $vgpr13
                                        ; implicit-def: $vgpr14
                                        ; implicit-def: $vgpr15
                                        ; implicit-def: $vgpr16
                                        ; implicit-def: $vgpr17
                                        ; implicit-def: $vgpr18
                                        ; implicit-def: $vgpr19
	s_cbranch_scc1 .LBB1951_348
; %bb.347:                              ;   in Loop: Header=BB1951_346 Depth=2
	s_lshl_b64 s[18:19], s[58:59], 1
	v_mov_b32_e32 v12, s19
	v_add_co_u32_e32 v20, vcc, s18, v55
	v_addc_co_u32_e32 v21, vcc, v56, v12, vcc
	global_load_ushort v12, v[20:21], off
	global_load_ushort v13, v[20:21], off offset:512
	global_load_ushort v14, v[20:21], off offset:1024
	;; [unrolled: 1-line block ×7, first 2 shown]
	s_mov_b64 s[18:19], 0
.LBB1951_348:                           ;   in Loop: Header=BB1951_346 Depth=2
	s_andn2_b64 vcc, exec, s[18:19]
	s_movk_i32 s20, 0x800
	s_cbranch_vccnz .LBB1951_359
; %bb.349:                              ;   in Loop: Header=BB1951_346 Depth=2
	s_lshl_b64 s[18:19], s[58:59], 1
	s_add_u32 s18, s64, s18
	s_addc_u32 s19, s65, s19
	v_cmp_gt_u32_e32 vcc, s22, v0
	s_and_saveexec_b64 s[20:21], vcc
	s_cbranch_execnz .LBB1951_375
; %bb.350:                              ;   in Loop: Header=BB1951_346 Depth=2
	s_or_b64 exec, exec, s[20:21]
	v_cmp_gt_u32_e32 vcc, s22, v26
	s_and_saveexec_b64 s[20:21], vcc
	s_cbranch_execnz .LBB1951_376
.LBB1951_351:                           ;   in Loop: Header=BB1951_346 Depth=2
	s_or_b64 exec, exec, s[20:21]
	v_cmp_gt_u32_e32 vcc, s22, v27
	s_and_saveexec_b64 s[20:21], vcc
	s_cbranch_execnz .LBB1951_377
.LBB1951_352:                           ;   in Loop: Header=BB1951_346 Depth=2
	s_or_b64 exec, exec, s[20:21]
	v_cmp_gt_u32_e32 vcc, s22, v28
	s_and_saveexec_b64 s[20:21], vcc
	s_cbranch_execnz .LBB1951_378
.LBB1951_353:                           ;   in Loop: Header=BB1951_346 Depth=2
	s_or_b64 exec, exec, s[20:21]
	v_cmp_gt_u32_e32 vcc, s22, v31
	s_and_saveexec_b64 s[20:21], vcc
	s_cbranch_execnz .LBB1951_379
.LBB1951_354:                           ;   in Loop: Header=BB1951_346 Depth=2
	s_or_b64 exec, exec, s[20:21]
	v_cmp_gt_u32_e32 vcc, s22, v32
	s_and_saveexec_b64 s[20:21], vcc
	s_cbranch_execnz .LBB1951_380
.LBB1951_355:                           ;   in Loop: Header=BB1951_346 Depth=2
	s_or_b64 exec, exec, s[20:21]
	v_cmp_gt_u32_e32 vcc, s22, v33
	s_and_saveexec_b64 s[20:21], vcc
	s_cbranch_execnz .LBB1951_381
.LBB1951_356:                           ;   in Loop: Header=BB1951_346 Depth=2
	s_or_b64 exec, exec, s[20:21]
	v_cmp_gt_u32_e32 vcc, s22, v34
	s_and_saveexec_b64 s[20:21], vcc
	s_cbranch_execz .LBB1951_358
.LBB1951_357:                           ;   in Loop: Header=BB1951_346 Depth=2
	global_load_ushort v4, v64, s[18:19] offset:3584
.LBB1951_358:                           ;   in Loop: Header=BB1951_346 Depth=2
	s_or_b64 exec, exec, s[20:21]
	s_mov_b32 s20, s22
	s_waitcnt vmcnt(0)
	v_mov_b32_e32 v12, v11
	v_mov_b32_e32 v13, v10
	;; [unrolled: 1-line block ×8, first 2 shown]
.LBB1951_359:                           ;   in Loop: Header=BB1951_346 Depth=2
	s_waitcnt vmcnt(0)
	v_mov_b32_e32 v4, v19
	v_mov_b32_e32 v5, v18
	;; [unrolled: 1-line block ×8, first 2 shown]
	v_cmp_gt_u32_e32 vcc, s20, v0
	s_and_saveexec_b64 s[18:19], vcc
	s_cbranch_execnz .LBB1951_367
; %bb.360:                              ;   in Loop: Header=BB1951_346 Depth=2
	s_or_b64 exec, exec, s[18:19]
	v_cmp_gt_u32_e32 vcc, s20, v26
	s_and_saveexec_b64 s[18:19], vcc
	s_cbranch_execnz .LBB1951_368
.LBB1951_361:                           ;   in Loop: Header=BB1951_346 Depth=2
	s_or_b64 exec, exec, s[18:19]
	v_cmp_gt_u32_e32 vcc, s20, v27
	s_and_saveexec_b64 s[18:19], vcc
	s_cbranch_execnz .LBB1951_369
.LBB1951_362:                           ;   in Loop: Header=BB1951_346 Depth=2
	s_or_b64 exec, exec, s[18:19]
	v_cmp_gt_u32_e32 vcc, s20, v28
	s_and_saveexec_b64 s[18:19], vcc
	s_cbranch_execnz .LBB1951_370
.LBB1951_363:                           ;   in Loop: Header=BB1951_346 Depth=2
	s_or_b64 exec, exec, s[18:19]
	v_cmp_gt_u32_e32 vcc, s20, v31
	s_and_saveexec_b64 s[18:19], vcc
	s_cbranch_execnz .LBB1951_371
.LBB1951_364:                           ;   in Loop: Header=BB1951_346 Depth=2
	s_or_b64 exec, exec, s[18:19]
	v_cmp_gt_u32_e32 vcc, s20, v32
	s_and_saveexec_b64 s[18:19], vcc
	s_cbranch_execnz .LBB1951_372
.LBB1951_365:                           ;   in Loop: Header=BB1951_346 Depth=2
	s_or_b64 exec, exec, s[18:19]
	v_cmp_gt_u32_e32 vcc, s20, v33
	s_and_saveexec_b64 s[18:19], vcc
	s_cbranch_execnz .LBB1951_373
.LBB1951_366:                           ;   in Loop: Header=BB1951_346 Depth=2
	s_or_b64 exec, exec, s[18:19]
	v_cmp_gt_u32_e32 vcc, s20, v34
	s_and_saveexec_b64 s[18:19], vcc
	s_cbranch_execz .LBB1951_345
	s_branch .LBB1951_374
.LBB1951_367:                           ;   in Loop: Header=BB1951_346 Depth=2
	v_cmp_gt_i16_e32 vcc, 0, v11
	v_cndmask_b32_e64 v12, v65, 0, vcc
	v_xor_b32_e32 v12, v12, v11
	v_cmp_ne_u16_e32 vcc, s7, v12
	v_cndmask_b32_e32 v12, v65, v12, vcc
	v_lshrrev_b32_sdwa v12, s77, v12 dst_sel:DWORD dst_unused:UNUSED_PAD src0_sel:DWORD src1_sel:WORD_0
	v_and_b32_e32 v12, s63, v12
	v_lshl_or_b32 v12, v12, 4, v35
	ds_add_u32 v12, v61
	s_or_b64 exec, exec, s[18:19]
	v_cmp_gt_u32_e32 vcc, s20, v26
	s_and_saveexec_b64 s[18:19], vcc
	s_cbranch_execz .LBB1951_361
.LBB1951_368:                           ;   in Loop: Header=BB1951_346 Depth=2
	v_cmp_gt_i16_e32 vcc, 0, v10
	v_cndmask_b32_e64 v12, v65, 0, vcc
	v_xor_b32_e32 v12, v12, v10
	v_cmp_ne_u16_e32 vcc, s7, v12
	v_cndmask_b32_e32 v12, v65, v12, vcc
	v_lshrrev_b32_sdwa v12, s77, v12 dst_sel:DWORD dst_unused:UNUSED_PAD src0_sel:DWORD src1_sel:WORD_0
	v_and_b32_e32 v12, s63, v12
	v_lshl_or_b32 v12, v12, 4, v35
	ds_add_u32 v12, v61
	s_or_b64 exec, exec, s[18:19]
	v_cmp_gt_u32_e32 vcc, s20, v27
	s_and_saveexec_b64 s[18:19], vcc
	s_cbranch_execz .LBB1951_362
.LBB1951_369:                           ;   in Loop: Header=BB1951_346 Depth=2
	v_cmp_gt_i16_e32 vcc, 0, v9
	v_cndmask_b32_e64 v12, v65, 0, vcc
	v_xor_b32_e32 v12, v12, v9
	v_cmp_ne_u16_e32 vcc, s7, v12
	v_cndmask_b32_e32 v12, v65, v12, vcc
	v_lshrrev_b32_sdwa v12, s77, v12 dst_sel:DWORD dst_unused:UNUSED_PAD src0_sel:DWORD src1_sel:WORD_0
	v_and_b32_e32 v12, s63, v12
	v_lshl_or_b32 v12, v12, 4, v35
	ds_add_u32 v12, v61
	s_or_b64 exec, exec, s[18:19]
	v_cmp_gt_u32_e32 vcc, s20, v28
	s_and_saveexec_b64 s[18:19], vcc
	s_cbranch_execz .LBB1951_363
.LBB1951_370:                           ;   in Loop: Header=BB1951_346 Depth=2
	v_cmp_gt_i16_e32 vcc, 0, v8
	v_cndmask_b32_e64 v12, v65, 0, vcc
	v_xor_b32_e32 v12, v12, v8
	v_cmp_ne_u16_e32 vcc, s7, v12
	v_cndmask_b32_e32 v12, v65, v12, vcc
	v_lshrrev_b32_sdwa v12, s77, v12 dst_sel:DWORD dst_unused:UNUSED_PAD src0_sel:DWORD src1_sel:WORD_0
	v_and_b32_e32 v12, s63, v12
	v_lshl_or_b32 v12, v12, 4, v35
	ds_add_u32 v12, v61
	s_or_b64 exec, exec, s[18:19]
	v_cmp_gt_u32_e32 vcc, s20, v31
	s_and_saveexec_b64 s[18:19], vcc
	s_cbranch_execz .LBB1951_364
.LBB1951_371:                           ;   in Loop: Header=BB1951_346 Depth=2
	v_cmp_gt_i16_e32 vcc, 0, v7
	v_cndmask_b32_e64 v12, v65, 0, vcc
	v_xor_b32_e32 v12, v12, v7
	v_cmp_ne_u16_e32 vcc, s7, v12
	v_cndmask_b32_e32 v12, v65, v12, vcc
	v_lshrrev_b32_sdwa v12, s77, v12 dst_sel:DWORD dst_unused:UNUSED_PAD src0_sel:DWORD src1_sel:WORD_0
	v_and_b32_e32 v12, s63, v12
	v_lshl_or_b32 v12, v12, 4, v35
	ds_add_u32 v12, v61
	s_or_b64 exec, exec, s[18:19]
	v_cmp_gt_u32_e32 vcc, s20, v32
	s_and_saveexec_b64 s[18:19], vcc
	s_cbranch_execz .LBB1951_365
.LBB1951_372:                           ;   in Loop: Header=BB1951_346 Depth=2
	v_cmp_gt_i16_e32 vcc, 0, v6
	v_cndmask_b32_e64 v12, v65, 0, vcc
	v_xor_b32_e32 v12, v12, v6
	v_cmp_ne_u16_e32 vcc, s7, v12
	v_cndmask_b32_e32 v12, v65, v12, vcc
	v_lshrrev_b32_sdwa v12, s77, v12 dst_sel:DWORD dst_unused:UNUSED_PAD src0_sel:DWORD src1_sel:WORD_0
	v_and_b32_e32 v12, s63, v12
	v_lshl_or_b32 v12, v12, 4, v35
	ds_add_u32 v12, v61
	s_or_b64 exec, exec, s[18:19]
	v_cmp_gt_u32_e32 vcc, s20, v33
	s_and_saveexec_b64 s[18:19], vcc
	s_cbranch_execz .LBB1951_366
.LBB1951_373:                           ;   in Loop: Header=BB1951_346 Depth=2
	v_cmp_gt_i16_e32 vcc, 0, v5
	v_cndmask_b32_e64 v12, v65, 0, vcc
	v_xor_b32_e32 v12, v12, v5
	v_cmp_ne_u16_e32 vcc, s7, v12
	v_cndmask_b32_e32 v12, v65, v12, vcc
	v_lshrrev_b32_sdwa v12, s77, v12 dst_sel:DWORD dst_unused:UNUSED_PAD src0_sel:DWORD src1_sel:WORD_0
	v_and_b32_e32 v12, s63, v12
	v_lshl_or_b32 v12, v12, 4, v35
	ds_add_u32 v12, v61
	s_or_b64 exec, exec, s[18:19]
	v_cmp_gt_u32_e32 vcc, s20, v34
	s_and_saveexec_b64 s[18:19], vcc
	s_cbranch_execz .LBB1951_345
.LBB1951_374:                           ;   in Loop: Header=BB1951_346 Depth=2
	v_cmp_gt_i16_e32 vcc, 0, v4
	v_cndmask_b32_e64 v12, v65, 0, vcc
	v_xor_b32_e32 v12, v12, v4
	v_cmp_ne_u16_e32 vcc, s7, v12
	v_cndmask_b32_e32 v12, v65, v12, vcc
	v_lshrrev_b32_sdwa v12, s77, v12 dst_sel:DWORD dst_unused:UNUSED_PAD src0_sel:DWORD src1_sel:WORD_0
	v_and_b32_e32 v12, s63, v12
	v_lshl_or_b32 v12, v12, 4, v35
	ds_add_u32 v12, v61
	s_branch .LBB1951_345
.LBB1951_375:                           ;   in Loop: Header=BB1951_346 Depth=2
	global_load_ushort v11, v64, s[18:19]
	s_or_b64 exec, exec, s[20:21]
	v_cmp_gt_u32_e32 vcc, s22, v26
	s_and_saveexec_b64 s[20:21], vcc
	s_cbranch_execz .LBB1951_351
.LBB1951_376:                           ;   in Loop: Header=BB1951_346 Depth=2
	global_load_ushort v10, v64, s[18:19] offset:512
	s_or_b64 exec, exec, s[20:21]
	v_cmp_gt_u32_e32 vcc, s22, v27
	s_and_saveexec_b64 s[20:21], vcc
	s_cbranch_execz .LBB1951_352
.LBB1951_377:                           ;   in Loop: Header=BB1951_346 Depth=2
	global_load_ushort v9, v64, s[18:19] offset:1024
	s_or_b64 exec, exec, s[20:21]
	v_cmp_gt_u32_e32 vcc, s22, v28
	s_and_saveexec_b64 s[20:21], vcc
	s_cbranch_execz .LBB1951_353
.LBB1951_378:                           ;   in Loop: Header=BB1951_346 Depth=2
	global_load_ushort v8, v64, s[18:19] offset:1536
	s_or_b64 exec, exec, s[20:21]
	v_cmp_gt_u32_e32 vcc, s22, v31
	s_and_saveexec_b64 s[20:21], vcc
	s_cbranch_execz .LBB1951_354
.LBB1951_379:                           ;   in Loop: Header=BB1951_346 Depth=2
	global_load_ushort v7, v64, s[18:19] offset:2048
	s_or_b64 exec, exec, s[20:21]
	v_cmp_gt_u32_e32 vcc, s22, v32
	s_and_saveexec_b64 s[20:21], vcc
	s_cbranch_execz .LBB1951_355
.LBB1951_380:                           ;   in Loop: Header=BB1951_346 Depth=2
	global_load_ushort v6, v64, s[18:19] offset:2560
	s_or_b64 exec, exec, s[20:21]
	v_cmp_gt_u32_e32 vcc, s22, v33
	s_and_saveexec_b64 s[20:21], vcc
	s_cbranch_execz .LBB1951_356
.LBB1951_381:                           ;   in Loop: Header=BB1951_346 Depth=2
	global_load_ushort v5, v64, s[18:19] offset:3072
	s_or_b64 exec, exec, s[20:21]
	v_cmp_gt_u32_e32 vcc, s22, v34
	s_and_saveexec_b64 s[20:21], vcc
	s_cbranch_execnz .LBB1951_357
	s_branch .LBB1951_358
.LBB1951_382:                           ;   in Loop: Header=BB1951_12 Depth=1
	v_mov_b32_e32 v4, 0
	s_waitcnt lgkmcnt(0)
	s_barrier
	s_and_saveexec_b64 s[18:19], s[4:5]
	s_cbranch_execz .LBB1951_384
; %bb.383:                              ;   in Loop: Header=BB1951_12 Depth=1
	ds_read2_b64 v[4:7], v36 offset1:1
	s_waitcnt lgkmcnt(0)
	v_add_u32_e32 v4, v5, v4
	v_add3_u32 v4, v4, v6, v7
.LBB1951_384:                           ;   in Loop: Header=BB1951_12 Depth=1
	s_or_b64 exec, exec, s[18:19]
	s_nop 0
	v_mov_b32_dpp v5, v4 row_shr:1 row_mask:0xf bank_mask:0xf
	v_cmp_eq_u32_e64 s[18:19], 0, v67
	v_cndmask_b32_e64 v5, v5, 0, s[18:19]
	v_add_u32_e32 v4, v5, v4
	v_cmp_lt_u32_e64 s[20:21], 1, v67
	v_cmp_lt_u32_e64 s[22:23], 3, v67
	v_mov_b32_dpp v5, v4 row_shr:2 row_mask:0xf bank_mask:0xf
	v_cndmask_b32_e64 v5, 0, v5, s[20:21]
	v_add_u32_e32 v4, v4, v5
	v_cmp_lt_u32_e64 s[24:25], 7, v67
	v_cmp_lt_u32_e64 s[28:29], 31, v66
	v_mov_b32_dpp v5, v4 row_shr:4 row_mask:0xf bank_mask:0xf
	v_cndmask_b32_e64 v5, 0, v5, s[22:23]
	v_add_u32_e32 v4, v4, v5
	v_cmp_eq_u32_e64 s[26:27], 0, v69
	s_nop 0
	v_mov_b32_dpp v5, v4 row_shr:8 row_mask:0xf bank_mask:0xf
	v_cndmask_b32_e64 v5, 0, v5, s[24:25]
	v_add_u32_e32 v4, v4, v5
	s_nop 1
	v_mov_b32_dpp v5, v4 row_bcast:15 row_mask:0xf bank_mask:0xf
	v_and_b32_e32 v5, v68, v5
	v_add_u32_e32 v4, v4, v5
	s_nop 1
	v_mov_b32_dpp v5, v4 row_bcast:31 row_mask:0xf bank_mask:0xf
	v_cndmask_b32_e64 v5, 0, v5, s[28:29]
	v_add_u32_e32 v4, v4, v5
	s_and_saveexec_b64 s[30:31], s[8:9]
; %bb.385:                              ;   in Loop: Header=BB1951_12 Depth=1
	ds_write_b32 v38, v4
; %bb.386:                              ;   in Loop: Header=BB1951_12 Depth=1
	s_or_b64 exec, exec, s[30:31]
	s_waitcnt lgkmcnt(0)
	s_barrier
	s_and_saveexec_b64 s[30:31], s[10:11]
	s_cbranch_execz .LBB1951_388
; %bb.387:                              ;   in Loop: Header=BB1951_12 Depth=1
	ds_read_b32 v5, v39
	v_cmp_ne_u32_e32 vcc, 0, v70
	s_waitcnt lgkmcnt(0)
	v_mov_b32_dpp v6, v5 row_shr:1 row_mask:0xf bank_mask:0xf
	v_cndmask_b32_e32 v6, 0, v6, vcc
	v_add_u32_e32 v5, v6, v5
	v_cmp_lt_u32_e32 vcc, 1, v70
	s_nop 0
	v_mov_b32_dpp v6, v5 row_shr:2 row_mask:0xf bank_mask:0xf
	v_cndmask_b32_e32 v6, 0, v6, vcc
	v_add_u32_e32 v5, v5, v6
	ds_write_b32 v39, v5
.LBB1951_388:                           ;   in Loop: Header=BB1951_12 Depth=1
	s_or_b64 exec, exec, s[30:31]
	v_mov_b32_e32 v5, 0
	s_waitcnt lgkmcnt(0)
	s_barrier
	s_and_saveexec_b64 s[30:31], s[12:13]
; %bb.389:                              ;   in Loop: Header=BB1951_12 Depth=1
	ds_read_b32 v5, v40
; %bb.390:                              ;   in Loop: Header=BB1951_12 Depth=1
	s_or_b64 exec, exec, s[30:31]
	v_subrev_co_u32_e64 v6, s[30:31], 1, v66
	v_cmp_lt_i32_e32 vcc, v6, v71
	v_cndmask_b32_e32 v6, v6, v66, vcc
	s_waitcnt lgkmcnt(0)
	v_add_u32_e32 v4, v5, v4
	v_lshlrev_b32_e32 v82, 2, v6
	ds_bpermute_b32 v4, v82, v4
	s_waitcnt lgkmcnt(0)
	s_barrier
	s_and_saveexec_b64 s[34:35], s[4:5]
; %bb.391:                              ;   in Loop: Header=BB1951_12 Depth=1
	v_cndmask_b32_e64 v4, v4, v5, s[30:31]
	v_add_u32_e32 v4, s80, v4
	ds_write_b32 v25, v4
; %bb.392:                              ;   in Loop: Header=BB1951_12 Depth=1
	s_or_b64 exec, exec, s[34:35]
	s_load_dwordx2 s[34:35], s[56:57], 0x0
	v_add_co_u32_e32 v83, vcc, v57, v72
	v_addc_co_u32_e32 v84, vcc, 0, v58, vcc
	s_waitcnt lgkmcnt(0)
	s_cmp_lt_u32 s33, s35
	s_cselect_b32 s35, 14, 20
	s_add_u32 s36, s56, s35
	s_addc_u32 s37, s57, 0
	s_cmp_lt_u32 s6, s34
	s_cselect_b32 s34, 12, 18
	s_add_u32 s34, s56, s34
	global_load_ushort v4, v3, s[36:37]
	s_addc_u32 s35, s57, 0
	global_load_ushort v5, v3, s[34:35]
	v_add_co_u32_e32 v85, vcc, v59, v81
	v_cmp_eq_u32_e64 s[34:35], 0, v70
	v_cmp_lt_u32_e64 s[36:37], 1, v70
	v_addc_co_u32_e32 v86, vcc, 0, v60, vcc
	s_mov_b32 s70, s79
	s_mov_b32 s58, s80
                                        ; implicit-def: $vgpr7_vgpr8
                                        ; implicit-def: $vgpr9_vgpr10
                                        ; implicit-def: $vgpr11_vgpr12
                                        ; implicit-def: $vgpr13_vgpr14
                                        ; implicit-def: $vgpr15_vgpr16
                                        ; implicit-def: $vgpr17_vgpr18
                                        ; implicit-def: $vgpr19_vgpr20
                                        ; implicit-def: $vgpr87
                                        ; implicit-def: $vgpr88
                                        ; implicit-def: $vgpr89
                                        ; implicit-def: $vgpr90
                                        ; implicit-def: $vgpr92
                                        ; implicit-def: $vgpr93
                                        ; implicit-def: $vgpr94
                                        ; implicit-def: $vgpr95
	s_waitcnt vmcnt(1)
	v_mad_u32_u24 v4, v2, v4, v1
	s_waitcnt vmcnt(0)
	v_mad_u64_u32 v[4:5], s[38:39], v4, v5, v[0:1]
                                        ; implicit-def: $vgpr5_vgpr6
	v_lshrrev_b32_e32 v4, 4, v4
	v_and_b32_e32 v91, 0xffffffc, v4
	s_branch .LBB1951_394
.LBB1951_393:                           ;   in Loop: Header=BB1951_394 Depth=2
	s_or_b64 exec, exec, s[38:39]
	s_addk_i32 s70, 0xf800
	s_cmp_lt_u32 s71, s81
	s_mov_b32 s58, s71
	s_cbranch_scc0 .LBB1951_506
.LBB1951_394:                           ;   Parent Loop BB1951_12 Depth=1
                                        ; =>  This Inner Loop Header: Depth=2
	s_add_i32 s71, s58, 0x800
	s_cmp_gt_u32 s71, s81
	s_cbranch_scc1 .LBB1951_396
; %bb.395:                              ;   in Loop: Header=BB1951_394 Depth=2
	s_lshl_b64 s[38:39], s[58:59], 1
	v_mov_b32_e32 v4, s39
	v_add_co_u32_e32 v21, vcc, s38, v85
	v_addc_co_u32_e32 v22, vcc, v86, v4, vcc
	global_load_ushort v4, v[21:22], off
	global_load_ushort v99, v[21:22], off offset:128
	global_load_ushort v103, v[21:22], off offset:256
	;; [unrolled: 1-line block ×6, first 2 shown]
	s_mov_b64 s[38:39], -1
	s_movk_i32 s42, 0x800
	s_cbranch_execz .LBB1951_397
	s_branch .LBB1951_412
.LBB1951_396:                           ;   in Loop: Header=BB1951_394 Depth=2
	s_mov_b64 s[38:39], 0
                                        ; implicit-def: $vgpr4
                                        ; implicit-def: $vgpr99
                                        ; implicit-def: $vgpr103
                                        ; implicit-def: $vgpr107
                                        ; implicit-def: $vgpr112
                                        ; implicit-def: $vgpr108
                                        ; implicit-def: $vgpr24
	s_movk_i32 s42, 0x800
.LBB1951_397:                           ;   in Loop: Header=BB1951_394 Depth=2
	s_lshl_b64 s[38:39], s[58:59], 1
	s_waitcnt vmcnt(6)
	v_mov_b32_e32 v4, s39
	v_add_co_u32_e32 v21, vcc, s38, v85
	v_addc_co_u32_e32 v22, vcc, v86, v4, vcc
	v_cmp_gt_u32_e32 vcc, s70, v73
	s_waitcnt vmcnt(5)
	v_mov_b32_e32 v99, -1
	v_mov_b32_e32 v4, -1
	s_and_saveexec_b64 s[38:39], vcc
	s_cbranch_execz .LBB1951_399
; %bb.398:                              ;   in Loop: Header=BB1951_394 Depth=2
	global_load_ushort v4, v[21:22], off
.LBB1951_399:                           ;   in Loop: Header=BB1951_394 Depth=2
	s_or_b64 exec, exec, s[38:39]
	v_cmp_gt_u32_e32 vcc, s70, v74
	s_and_saveexec_b64 s[38:39], vcc
	s_cbranch_execz .LBB1951_401
; %bb.400:                              ;   in Loop: Header=BB1951_394 Depth=2
	global_load_ushort v99, v[21:22], off offset:128
.LBB1951_401:                           ;   in Loop: Header=BB1951_394 Depth=2
	s_or_b64 exec, exec, s[38:39]
	v_cmp_gt_u32_e32 vcc, s70, v75
	s_waitcnt vmcnt(3)
	v_mov_b32_e32 v107, -1
	v_mov_b32_e32 v103, -1
	s_and_saveexec_b64 s[38:39], vcc
	s_cbranch_execz .LBB1951_403
; %bb.402:                              ;   in Loop: Header=BB1951_394 Depth=2
	global_load_ushort v103, v[21:22], off offset:256
.LBB1951_403:                           ;   in Loop: Header=BB1951_394 Depth=2
	s_or_b64 exec, exec, s[38:39]
	v_cmp_gt_u32_e32 vcc, s70, v76
	s_and_saveexec_b64 s[38:39], vcc
	s_cbranch_execz .LBB1951_405
; %bb.404:                              ;   in Loop: Header=BB1951_394 Depth=2
	global_load_ushort v107, v[21:22], off offset:384
.LBB1951_405:                           ;   in Loop: Header=BB1951_394 Depth=2
	s_or_b64 exec, exec, s[38:39]
	v_cmp_gt_u32_e32 vcc, s70, v77
	s_waitcnt vmcnt(1)
	v_mov_b32_e32 v108, -1
	v_mov_b32_e32 v112, -1
	s_and_saveexec_b64 s[38:39], vcc
	s_cbranch_execz .LBB1951_407
; %bb.406:                              ;   in Loop: Header=BB1951_394 Depth=2
	global_load_ushort v112, v[21:22], off offset:512
.LBB1951_407:                           ;   in Loop: Header=BB1951_394 Depth=2
	s_or_b64 exec, exec, s[38:39]
	v_cmp_gt_u32_e32 vcc, s70, v78
	s_and_saveexec_b64 s[38:39], vcc
	s_cbranch_execz .LBB1951_409
; %bb.408:                              ;   in Loop: Header=BB1951_394 Depth=2
	global_load_ushort v108, v[21:22], off offset:640
.LBB1951_409:                           ;   in Loop: Header=BB1951_394 Depth=2
	s_or_b64 exec, exec, s[38:39]
	v_cmp_gt_u32_e32 vcc, s70, v79
	s_waitcnt vmcnt(0)
	v_mov_b32_e32 v24, -1
	s_and_saveexec_b64 s[38:39], vcc
	s_cbranch_execz .LBB1951_411
; %bb.410:                              ;   in Loop: Header=BB1951_394 Depth=2
	global_load_ushort v24, v[21:22], off offset:768
.LBB1951_411:                           ;   in Loop: Header=BB1951_394 Depth=2
	s_or_b64 exec, exec, s[38:39]
	s_sub_i32 s42, s81, s58
	v_cmp_gt_u32_e64 s[38:39], s70, v80
.LBB1951_412:                           ;   in Loop: Header=BB1951_394 Depth=2
	v_mov_b32_e32 v23, -1
	v_mov_b32_e32 v96, s70
	s_and_saveexec_b64 s[40:41], s[38:39]
	s_cbranch_execz .LBB1951_414
; %bb.413:                              ;   in Loop: Header=BB1951_394 Depth=2
	s_lshl_b64 s[38:39], s[58:59], 1
	v_mov_b32_e32 v22, s39
	v_add_co_u32_e32 v21, vcc, s38, v85
	v_addc_co_u32_e32 v22, vcc, v86, v22, vcc
	global_load_ushort v23, v[21:22], off offset:896
	v_mov_b32_e32 v96, s42
.LBB1951_414:                           ;   in Loop: Header=BB1951_394 Depth=2
	s_or_b64 exec, exec, s[40:41]
	s_waitcnt vmcnt(6)
	v_cmp_gt_i16_e32 vcc, 0, v4
	v_cndmask_b32_e64 v21, v65, 0, vcc
	v_xor_b32_e32 v97, v21, v4
	v_cmp_ne_u16_e32 vcc, s7, v97
	v_cndmask_b32_e32 v4, v65, v97, vcc
	v_lshrrev_b32_sdwa v4, s77, v4 dst_sel:DWORD dst_unused:UNUSED_PAD src0_sel:DWORD src1_sel:WORD_0
	v_and_b32_e32 v21, s63, v4
	v_and_b32_e32 v4, 1, v21
	v_add_co_u32_e32 v22, vcc, -1, v4
	v_addc_co_u32_e64 v98, s[38:39], 0, -1, vcc
	v_cmp_ne_u32_e32 vcc, 0, v4
	v_xor_b32_e32 v4, vcc_hi, v98
	v_and_b32_e32 v98, exec_hi, v4
	v_lshlrev_b32_e32 v4, 30, v21
	v_xor_b32_e32 v22, vcc_lo, v22
	v_cmp_gt_i64_e32 vcc, 0, v[3:4]
	v_not_b32_e32 v4, v4
	v_ashrrev_i32_e32 v4, 31, v4
	v_and_b32_e32 v22, exec_lo, v22
	v_xor_b32_e32 v101, vcc_hi, v4
	v_xor_b32_e32 v4, vcc_lo, v4
	v_and_b32_e32 v22, v22, v4
	v_lshlrev_b32_e32 v4, 29, v21
	v_cmp_gt_i64_e32 vcc, 0, v[3:4]
	v_not_b32_e32 v4, v4
	v_ashrrev_i32_e32 v4, 31, v4
	v_and_b32_e32 v98, v98, v101
	v_xor_b32_e32 v101, vcc_hi, v4
	v_xor_b32_e32 v4, vcc_lo, v4
	v_and_b32_e32 v22, v22, v4
	v_lshlrev_b32_e32 v4, 28, v21
	v_cmp_gt_i64_e32 vcc, 0, v[3:4]
	v_not_b32_e32 v4, v4
	v_ashrrev_i32_e32 v4, 31, v4
	v_and_b32_e32 v98, v98, v101
	;; [unrolled: 8-line block ×5, first 2 shown]
	v_xor_b32_e32 v101, vcc_hi, v4
	v_xor_b32_e32 v4, vcc_lo, v4
	v_and_b32_e32 v98, v98, v101
	v_and_b32_e32 v101, v22, v4
	v_lshlrev_b32_e32 v4, 24, v21
	v_cmp_gt_i64_e32 vcc, 0, v[3:4]
	v_not_b32_e32 v4, v4
	v_ashrrev_i32_e32 v4, 31, v4
	v_mul_u32_u24_e32 v100, 20, v21
	v_xor_b32_e32 v21, vcc_hi, v4
	v_xor_b32_e32 v4, vcc_lo, v4
	v_and_b32_e32 v22, v98, v21
	v_and_b32_e32 v21, v101, v4
	v_mbcnt_lo_u32_b32 v4, v21, 0
	v_mbcnt_hi_u32_b32 v98, v22, v4
	v_cmp_ne_u64_e32 vcc, 0, v[21:22]
	v_cmp_eq_u32_e64 s[38:39], 0, v98
	s_and_b64 s[40:41], vcc, s[38:39]
	v_add_u32_e32 v101, v91, v100
	ds_write2_b32 v62, v3, v3 offset1:1
	ds_write2_b32 v63, v3, v3 offset1:1
	ds_write_b32 v41, v3 offset:1056
	s_waitcnt vmcnt(0) lgkmcnt(0)
	s_barrier
	; wave barrier
	s_and_saveexec_b64 s[38:39], s[40:41]
; %bb.415:                              ;   in Loop: Header=BB1951_394 Depth=2
	v_bcnt_u32_b32 v4, v21, 0
	v_bcnt_u32_b32 v4, v22, v4
	ds_write_b32 v101, v4 offset:1040
; %bb.416:                              ;   in Loop: Header=BB1951_394 Depth=2
	s_or_b64 exec, exec, s[38:39]
	v_cmp_gt_i16_e32 vcc, 0, v99
	v_cndmask_b32_e64 v4, v65, 0, vcc
	v_xor_b32_e32 v99, v4, v99
	v_cmp_ne_u16_e32 vcc, s7, v99
	v_cndmask_b32_e32 v4, v65, v99, vcc
	v_lshrrev_b32_sdwa v4, s77, v4 dst_sel:DWORD dst_unused:UNUSED_PAD src0_sel:DWORD src1_sel:WORD_0
	v_and_b32_e32 v21, s63, v4
	v_mad_u32_u24 v4, v21, 20, v91
	; wave barrier
	ds_read_b32 v100, v4 offset:1040
	v_and_b32_e32 v4, 1, v21
	v_add_co_u32_e32 v22, vcc, -1, v4
	v_addc_co_u32_e64 v102, s[38:39], 0, -1, vcc
	v_cmp_ne_u32_e32 vcc, 0, v4
	v_xor_b32_e32 v4, vcc_hi, v102
	v_and_b32_e32 v102, exec_hi, v4
	v_lshlrev_b32_e32 v4, 30, v21
	v_xor_b32_e32 v22, vcc_lo, v22
	v_cmp_gt_i64_e32 vcc, 0, v[3:4]
	v_not_b32_e32 v4, v4
	v_ashrrev_i32_e32 v4, 31, v4
	v_and_b32_e32 v22, exec_lo, v22
	v_xor_b32_e32 v105, vcc_hi, v4
	v_xor_b32_e32 v4, vcc_lo, v4
	v_and_b32_e32 v22, v22, v4
	v_lshlrev_b32_e32 v4, 29, v21
	v_cmp_gt_i64_e32 vcc, 0, v[3:4]
	v_not_b32_e32 v4, v4
	v_ashrrev_i32_e32 v4, 31, v4
	v_and_b32_e32 v102, v102, v105
	v_xor_b32_e32 v105, vcc_hi, v4
	v_xor_b32_e32 v4, vcc_lo, v4
	v_and_b32_e32 v22, v22, v4
	v_lshlrev_b32_e32 v4, 28, v21
	v_cmp_gt_i64_e32 vcc, 0, v[3:4]
	v_not_b32_e32 v4, v4
	v_ashrrev_i32_e32 v4, 31, v4
	v_and_b32_e32 v102, v102, v105
	v_xor_b32_e32 v105, vcc_hi, v4
	v_xor_b32_e32 v4, vcc_lo, v4
	v_and_b32_e32 v22, v22, v4
	v_lshlrev_b32_e32 v4, 27, v21
	v_cmp_gt_i64_e32 vcc, 0, v[3:4]
	v_not_b32_e32 v4, v4
	v_ashrrev_i32_e32 v4, 31, v4
	v_and_b32_e32 v102, v102, v105
	v_xor_b32_e32 v105, vcc_hi, v4
	v_xor_b32_e32 v4, vcc_lo, v4
	v_and_b32_e32 v22, v22, v4
	v_lshlrev_b32_e32 v4, 26, v21
	v_cmp_gt_i64_e32 vcc, 0, v[3:4]
	v_not_b32_e32 v4, v4
	v_ashrrev_i32_e32 v4, 31, v4
	v_and_b32_e32 v102, v102, v105
	v_xor_b32_e32 v105, vcc_hi, v4
	v_xor_b32_e32 v4, vcc_lo, v4
	v_and_b32_e32 v22, v22, v4
	v_lshlrev_b32_e32 v4, 25, v21
	v_cmp_gt_i64_e32 vcc, 0, v[3:4]
	v_not_b32_e32 v4, v4
	v_ashrrev_i32_e32 v4, 31, v4
	v_and_b32_e32 v102, v102, v105
	v_xor_b32_e32 v105, vcc_hi, v4
	v_xor_b32_e32 v4, vcc_lo, v4
	v_and_b32_e32 v102, v102, v105
	v_and_b32_e32 v105, v22, v4
	v_lshlrev_b32_e32 v4, 24, v21
	v_cmp_gt_i64_e32 vcc, 0, v[3:4]
	v_not_b32_e32 v4, v4
	v_ashrrev_i32_e32 v4, 31, v4
	v_mul_u32_u24_e32 v104, 20, v21
	v_xor_b32_e32 v21, vcc_hi, v4
	v_xor_b32_e32 v4, vcc_lo, v4
	v_and_b32_e32 v22, v102, v21
	v_and_b32_e32 v21, v105, v4
	v_mbcnt_lo_u32_b32 v4, v21, 0
	v_mbcnt_hi_u32_b32 v102, v22, v4
	v_cmp_ne_u64_e32 vcc, 0, v[21:22]
	v_cmp_eq_u32_e64 s[38:39], 0, v102
	s_and_b64 s[40:41], vcc, s[38:39]
	v_add_u32_e32 v105, v91, v104
	; wave barrier
	s_and_saveexec_b64 s[38:39], s[40:41]
	s_cbranch_execz .LBB1951_418
; %bb.417:                              ;   in Loop: Header=BB1951_394 Depth=2
	v_bcnt_u32_b32 v4, v21, 0
	v_bcnt_u32_b32 v4, v22, v4
	s_waitcnt lgkmcnt(0)
	v_add_u32_e32 v4, v100, v4
	ds_write_b32 v105, v4 offset:1040
.LBB1951_418:                           ;   in Loop: Header=BB1951_394 Depth=2
	s_or_b64 exec, exec, s[38:39]
	v_cmp_gt_i16_e32 vcc, 0, v103
	v_cndmask_b32_e64 v4, v65, 0, vcc
	v_xor_b32_e32 v103, v4, v103
	v_cmp_ne_u16_e32 vcc, s7, v103
	v_cndmask_b32_e32 v4, v65, v103, vcc
	v_lshrrev_b32_sdwa v4, s77, v4 dst_sel:DWORD dst_unused:UNUSED_PAD src0_sel:DWORD src1_sel:WORD_0
	v_and_b32_e32 v21, s63, v4
	v_mad_u32_u24 v4, v21, 20, v91
	; wave barrier
	ds_read_b32 v104, v4 offset:1040
	v_and_b32_e32 v4, 1, v21
	v_add_co_u32_e32 v22, vcc, -1, v4
	v_addc_co_u32_e64 v106, s[38:39], 0, -1, vcc
	v_cmp_ne_u32_e32 vcc, 0, v4
	v_xor_b32_e32 v4, vcc_hi, v106
	v_and_b32_e32 v106, exec_hi, v4
	v_lshlrev_b32_e32 v4, 30, v21
	v_xor_b32_e32 v22, vcc_lo, v22
	v_cmp_gt_i64_e32 vcc, 0, v[3:4]
	v_not_b32_e32 v4, v4
	v_ashrrev_i32_e32 v4, 31, v4
	v_and_b32_e32 v22, exec_lo, v22
	v_xor_b32_e32 v110, vcc_hi, v4
	v_xor_b32_e32 v4, vcc_lo, v4
	v_and_b32_e32 v22, v22, v4
	v_lshlrev_b32_e32 v4, 29, v21
	v_cmp_gt_i64_e32 vcc, 0, v[3:4]
	v_not_b32_e32 v4, v4
	v_ashrrev_i32_e32 v4, 31, v4
	v_and_b32_e32 v106, v106, v110
	v_xor_b32_e32 v110, vcc_hi, v4
	v_xor_b32_e32 v4, vcc_lo, v4
	v_and_b32_e32 v22, v22, v4
	v_lshlrev_b32_e32 v4, 28, v21
	v_cmp_gt_i64_e32 vcc, 0, v[3:4]
	v_not_b32_e32 v4, v4
	v_ashrrev_i32_e32 v4, 31, v4
	v_and_b32_e32 v106, v106, v110
	;; [unrolled: 8-line block ×5, first 2 shown]
	v_xor_b32_e32 v110, vcc_hi, v4
	v_xor_b32_e32 v4, vcc_lo, v4
	v_and_b32_e32 v106, v106, v110
	v_and_b32_e32 v110, v22, v4
	v_lshlrev_b32_e32 v4, 24, v21
	v_cmp_gt_i64_e32 vcc, 0, v[3:4]
	v_not_b32_e32 v4, v4
	v_ashrrev_i32_e32 v4, 31, v4
	v_mul_u32_u24_e32 v109, 20, v21
	v_xor_b32_e32 v21, vcc_hi, v4
	v_xor_b32_e32 v4, vcc_lo, v4
	v_and_b32_e32 v22, v106, v21
	v_and_b32_e32 v21, v110, v4
	v_mbcnt_lo_u32_b32 v4, v21, 0
	v_mbcnt_hi_u32_b32 v106, v22, v4
	v_cmp_ne_u64_e32 vcc, 0, v[21:22]
	v_cmp_eq_u32_e64 s[38:39], 0, v106
	s_and_b64 s[40:41], vcc, s[38:39]
	v_add_u32_e32 v110, v91, v109
	; wave barrier
	s_and_saveexec_b64 s[38:39], s[40:41]
	s_cbranch_execz .LBB1951_420
; %bb.419:                              ;   in Loop: Header=BB1951_394 Depth=2
	v_bcnt_u32_b32 v4, v21, 0
	v_bcnt_u32_b32 v4, v22, v4
	s_waitcnt lgkmcnt(0)
	v_add_u32_e32 v4, v104, v4
	ds_write_b32 v110, v4 offset:1040
.LBB1951_420:                           ;   in Loop: Header=BB1951_394 Depth=2
	s_or_b64 exec, exec, s[38:39]
	v_cmp_gt_i16_e32 vcc, 0, v107
	v_cndmask_b32_e64 v4, v65, 0, vcc
	v_xor_b32_e32 v107, v4, v107
	v_cmp_ne_u16_e32 vcc, s7, v107
	v_cndmask_b32_e32 v4, v65, v107, vcc
	v_lshrrev_b32_sdwa v4, s77, v4 dst_sel:DWORD dst_unused:UNUSED_PAD src0_sel:DWORD src1_sel:WORD_0
	v_and_b32_e32 v21, s63, v4
	v_mad_u32_u24 v4, v21, 20, v91
	; wave barrier
	ds_read_b32 v109, v4 offset:1040
	v_and_b32_e32 v4, 1, v21
	v_add_co_u32_e32 v22, vcc, -1, v4
	v_addc_co_u32_e64 v111, s[38:39], 0, -1, vcc
	v_cmp_ne_u32_e32 vcc, 0, v4
	v_xor_b32_e32 v4, vcc_hi, v111
	v_and_b32_e32 v111, exec_hi, v4
	v_lshlrev_b32_e32 v4, 30, v21
	v_xor_b32_e32 v22, vcc_lo, v22
	v_cmp_gt_i64_e32 vcc, 0, v[3:4]
	v_not_b32_e32 v4, v4
	v_ashrrev_i32_e32 v4, 31, v4
	v_and_b32_e32 v22, exec_lo, v22
	v_xor_b32_e32 v114, vcc_hi, v4
	v_xor_b32_e32 v4, vcc_lo, v4
	v_and_b32_e32 v22, v22, v4
	v_lshlrev_b32_e32 v4, 29, v21
	v_cmp_gt_i64_e32 vcc, 0, v[3:4]
	v_not_b32_e32 v4, v4
	v_ashrrev_i32_e32 v4, 31, v4
	v_and_b32_e32 v111, v111, v114
	v_xor_b32_e32 v114, vcc_hi, v4
	v_xor_b32_e32 v4, vcc_lo, v4
	v_and_b32_e32 v22, v22, v4
	v_lshlrev_b32_e32 v4, 28, v21
	v_cmp_gt_i64_e32 vcc, 0, v[3:4]
	v_not_b32_e32 v4, v4
	v_ashrrev_i32_e32 v4, 31, v4
	v_and_b32_e32 v111, v111, v114
	;; [unrolled: 8-line block ×5, first 2 shown]
	v_xor_b32_e32 v114, vcc_hi, v4
	v_xor_b32_e32 v4, vcc_lo, v4
	v_and_b32_e32 v111, v111, v114
	v_and_b32_e32 v114, v22, v4
	v_lshlrev_b32_e32 v4, 24, v21
	v_cmp_gt_i64_e32 vcc, 0, v[3:4]
	v_not_b32_e32 v4, v4
	v_ashrrev_i32_e32 v4, 31, v4
	v_mul_u32_u24_e32 v113, 20, v21
	v_xor_b32_e32 v21, vcc_hi, v4
	v_xor_b32_e32 v4, vcc_lo, v4
	v_and_b32_e32 v22, v111, v21
	v_and_b32_e32 v21, v114, v4
	v_mbcnt_lo_u32_b32 v4, v21, 0
	v_mbcnt_hi_u32_b32 v111, v22, v4
	v_cmp_ne_u64_e32 vcc, 0, v[21:22]
	v_cmp_eq_u32_e64 s[38:39], 0, v111
	s_and_b64 s[40:41], vcc, s[38:39]
	v_add_u32_e32 v114, v91, v113
	; wave barrier
	s_and_saveexec_b64 s[38:39], s[40:41]
	s_cbranch_execz .LBB1951_422
; %bb.421:                              ;   in Loop: Header=BB1951_394 Depth=2
	v_bcnt_u32_b32 v4, v21, 0
	v_bcnt_u32_b32 v4, v22, v4
	s_waitcnt lgkmcnt(0)
	v_add_u32_e32 v4, v109, v4
	ds_write_b32 v114, v4 offset:1040
.LBB1951_422:                           ;   in Loop: Header=BB1951_394 Depth=2
	s_or_b64 exec, exec, s[38:39]
	v_cmp_gt_i16_e32 vcc, 0, v112
	v_cndmask_b32_e64 v4, v65, 0, vcc
	v_xor_b32_e32 v112, v4, v112
	v_cmp_ne_u16_e32 vcc, s7, v112
	v_cndmask_b32_e32 v4, v65, v112, vcc
	v_lshrrev_b32_sdwa v4, s77, v4 dst_sel:DWORD dst_unused:UNUSED_PAD src0_sel:DWORD src1_sel:WORD_0
	v_and_b32_e32 v21, s63, v4
	v_mad_u32_u24 v4, v21, 20, v91
	; wave barrier
	ds_read_b32 v113, v4 offset:1040
	v_and_b32_e32 v4, 1, v21
	v_add_co_u32_e32 v22, vcc, -1, v4
	v_addc_co_u32_e64 v115, s[38:39], 0, -1, vcc
	v_cmp_ne_u32_e32 vcc, 0, v4
	v_xor_b32_e32 v4, vcc_hi, v115
	v_and_b32_e32 v115, exec_hi, v4
	v_lshlrev_b32_e32 v4, 30, v21
	v_xor_b32_e32 v22, vcc_lo, v22
	v_cmp_gt_i64_e32 vcc, 0, v[3:4]
	v_not_b32_e32 v4, v4
	v_ashrrev_i32_e32 v4, 31, v4
	v_and_b32_e32 v22, exec_lo, v22
	v_xor_b32_e32 v117, vcc_hi, v4
	v_xor_b32_e32 v4, vcc_lo, v4
	v_and_b32_e32 v22, v22, v4
	v_lshlrev_b32_e32 v4, 29, v21
	v_cmp_gt_i64_e32 vcc, 0, v[3:4]
	v_not_b32_e32 v4, v4
	v_ashrrev_i32_e32 v4, 31, v4
	v_and_b32_e32 v115, v115, v117
	v_xor_b32_e32 v117, vcc_hi, v4
	v_xor_b32_e32 v4, vcc_lo, v4
	v_and_b32_e32 v22, v22, v4
	v_lshlrev_b32_e32 v4, 28, v21
	v_cmp_gt_i64_e32 vcc, 0, v[3:4]
	v_not_b32_e32 v4, v4
	v_ashrrev_i32_e32 v4, 31, v4
	v_and_b32_e32 v115, v115, v117
	;; [unrolled: 8-line block ×5, first 2 shown]
	v_xor_b32_e32 v117, vcc_hi, v4
	v_xor_b32_e32 v4, vcc_lo, v4
	v_and_b32_e32 v115, v115, v117
	v_and_b32_e32 v117, v22, v4
	v_lshlrev_b32_e32 v4, 24, v21
	v_cmp_gt_i64_e32 vcc, 0, v[3:4]
	v_not_b32_e32 v4, v4
	v_ashrrev_i32_e32 v4, 31, v4
	v_mul_u32_u24_e32 v116, 20, v21
	v_xor_b32_e32 v21, vcc_hi, v4
	v_xor_b32_e32 v4, vcc_lo, v4
	v_and_b32_e32 v22, v115, v21
	v_and_b32_e32 v21, v117, v4
	v_mbcnt_lo_u32_b32 v4, v21, 0
	v_mbcnt_hi_u32_b32 v115, v22, v4
	v_cmp_ne_u64_e32 vcc, 0, v[21:22]
	v_cmp_eq_u32_e64 s[38:39], 0, v115
	s_and_b64 s[40:41], vcc, s[38:39]
	v_add_u32_e32 v118, v91, v116
	; wave barrier
	s_and_saveexec_b64 s[38:39], s[40:41]
	s_cbranch_execz .LBB1951_424
; %bb.423:                              ;   in Loop: Header=BB1951_394 Depth=2
	v_bcnt_u32_b32 v4, v21, 0
	v_bcnt_u32_b32 v4, v22, v4
	s_waitcnt lgkmcnt(0)
	v_add_u32_e32 v4, v113, v4
	ds_write_b32 v118, v4 offset:1040
.LBB1951_424:                           ;   in Loop: Header=BB1951_394 Depth=2
	s_or_b64 exec, exec, s[38:39]
	v_cmp_gt_i16_e32 vcc, 0, v108
	v_cndmask_b32_e64 v4, v65, 0, vcc
	v_xor_b32_e32 v116, v4, v108
	v_cmp_ne_u16_e32 vcc, s7, v116
	v_cndmask_b32_e32 v4, v65, v116, vcc
	v_lshrrev_b32_sdwa v4, s77, v4 dst_sel:DWORD dst_unused:UNUSED_PAD src0_sel:DWORD src1_sel:WORD_0
	v_and_b32_e32 v21, s63, v4
	v_mad_u32_u24 v4, v21, 20, v91
	; wave barrier
	ds_read_b32 v117, v4 offset:1040
	v_and_b32_e32 v4, 1, v21
	v_add_co_u32_e32 v22, vcc, -1, v4
	v_addc_co_u32_e64 v119, s[38:39], 0, -1, vcc
	v_cmp_ne_u32_e32 vcc, 0, v4
	v_xor_b32_e32 v4, vcc_hi, v119
	v_and_b32_e32 v119, exec_hi, v4
	v_lshlrev_b32_e32 v4, 30, v21
	v_xor_b32_e32 v22, vcc_lo, v22
	v_cmp_gt_i64_e32 vcc, 0, v[3:4]
	v_not_b32_e32 v4, v4
	v_ashrrev_i32_e32 v4, 31, v4
	v_and_b32_e32 v22, exec_lo, v22
	v_xor_b32_e32 v120, vcc_hi, v4
	v_xor_b32_e32 v4, vcc_lo, v4
	v_and_b32_e32 v22, v22, v4
	v_lshlrev_b32_e32 v4, 29, v21
	v_cmp_gt_i64_e32 vcc, 0, v[3:4]
	v_not_b32_e32 v4, v4
	v_ashrrev_i32_e32 v4, 31, v4
	v_and_b32_e32 v119, v119, v120
	v_xor_b32_e32 v120, vcc_hi, v4
	v_xor_b32_e32 v4, vcc_lo, v4
	v_and_b32_e32 v22, v22, v4
	v_lshlrev_b32_e32 v4, 28, v21
	v_cmp_gt_i64_e32 vcc, 0, v[3:4]
	v_not_b32_e32 v4, v4
	v_ashrrev_i32_e32 v4, 31, v4
	v_and_b32_e32 v119, v119, v120
	v_xor_b32_e32 v120, vcc_hi, v4
	v_xor_b32_e32 v4, vcc_lo, v4
	v_and_b32_e32 v22, v22, v4
	v_lshlrev_b32_e32 v4, 27, v21
	v_cmp_gt_i64_e32 vcc, 0, v[3:4]
	v_not_b32_e32 v4, v4
	v_ashrrev_i32_e32 v4, 31, v4
	v_and_b32_e32 v119, v119, v120
	v_xor_b32_e32 v120, vcc_hi, v4
	v_xor_b32_e32 v4, vcc_lo, v4
	v_and_b32_e32 v22, v22, v4
	v_lshlrev_b32_e32 v4, 26, v21
	v_cmp_gt_i64_e32 vcc, 0, v[3:4]
	v_not_b32_e32 v4, v4
	v_ashrrev_i32_e32 v4, 31, v4
	v_and_b32_e32 v119, v119, v120
	v_xor_b32_e32 v120, vcc_hi, v4
	v_xor_b32_e32 v4, vcc_lo, v4
	v_and_b32_e32 v22, v22, v4
	v_lshlrev_b32_e32 v4, 25, v21
	v_cmp_gt_i64_e32 vcc, 0, v[3:4]
	v_not_b32_e32 v4, v4
	v_ashrrev_i32_e32 v4, 31, v4
	v_and_b32_e32 v119, v119, v120
	v_xor_b32_e32 v120, vcc_hi, v4
	v_xor_b32_e32 v4, vcc_lo, v4
	v_and_b32_e32 v119, v119, v120
	v_and_b32_e32 v120, v22, v4
	v_lshlrev_b32_e32 v4, 24, v21
	v_cmp_gt_i64_e32 vcc, 0, v[3:4]
	v_not_b32_e32 v4, v4
	v_ashrrev_i32_e32 v4, 31, v4
	v_mul_u32_u24_e32 v108, 20, v21
	v_xor_b32_e32 v21, vcc_hi, v4
	v_xor_b32_e32 v4, vcc_lo, v4
	v_and_b32_e32 v22, v119, v21
	v_and_b32_e32 v21, v120, v4
	v_mbcnt_lo_u32_b32 v4, v21, 0
	v_mbcnt_hi_u32_b32 v119, v22, v4
	v_cmp_ne_u64_e32 vcc, 0, v[21:22]
	v_cmp_eq_u32_e64 s[38:39], 0, v119
	s_and_b64 s[40:41], vcc, s[38:39]
	v_add_u32_e32 v108, v91, v108
	; wave barrier
	s_and_saveexec_b64 s[38:39], s[40:41]
	s_cbranch_execz .LBB1951_426
; %bb.425:                              ;   in Loop: Header=BB1951_394 Depth=2
	v_bcnt_u32_b32 v4, v21, 0
	v_bcnt_u32_b32 v4, v22, v4
	s_waitcnt lgkmcnt(0)
	v_add_u32_e32 v4, v117, v4
	ds_write_b32 v108, v4 offset:1040
.LBB1951_426:                           ;   in Loop: Header=BB1951_394 Depth=2
	s_or_b64 exec, exec, s[38:39]
	v_cmp_gt_i16_e32 vcc, 0, v24
	v_cndmask_b32_e64 v4, v65, 0, vcc
	v_xor_b32_e32 v120, v4, v24
	v_cmp_ne_u16_e32 vcc, s7, v120
	v_cndmask_b32_e32 v4, v65, v120, vcc
	v_lshrrev_b32_sdwa v4, s77, v4 dst_sel:DWORD dst_unused:UNUSED_PAD src0_sel:DWORD src1_sel:WORD_0
	v_and_b32_e32 v21, s63, v4
	v_mad_u32_u24 v4, v21, 20, v91
	; wave barrier
	ds_read_b32 v121, v4 offset:1040
	v_and_b32_e32 v4, 1, v21
	v_add_co_u32_e32 v22, vcc, -1, v4
	v_addc_co_u32_e64 v122, s[38:39], 0, -1, vcc
	v_cmp_ne_u32_e32 vcc, 0, v4
	v_xor_b32_e32 v4, vcc_hi, v122
	v_and_b32_e32 v122, exec_hi, v4
	v_lshlrev_b32_e32 v4, 30, v21
	v_xor_b32_e32 v22, vcc_lo, v22
	v_cmp_gt_i64_e32 vcc, 0, v[3:4]
	v_not_b32_e32 v4, v4
	v_ashrrev_i32_e32 v4, 31, v4
	v_and_b32_e32 v22, exec_lo, v22
	v_xor_b32_e32 v123, vcc_hi, v4
	v_xor_b32_e32 v4, vcc_lo, v4
	v_and_b32_e32 v22, v22, v4
	v_lshlrev_b32_e32 v4, 29, v21
	v_cmp_gt_i64_e32 vcc, 0, v[3:4]
	v_not_b32_e32 v4, v4
	v_ashrrev_i32_e32 v4, 31, v4
	v_and_b32_e32 v122, v122, v123
	v_xor_b32_e32 v123, vcc_hi, v4
	v_xor_b32_e32 v4, vcc_lo, v4
	v_and_b32_e32 v22, v22, v4
	v_lshlrev_b32_e32 v4, 28, v21
	v_cmp_gt_i64_e32 vcc, 0, v[3:4]
	v_not_b32_e32 v4, v4
	v_ashrrev_i32_e32 v4, 31, v4
	v_and_b32_e32 v122, v122, v123
	;; [unrolled: 8-line block ×5, first 2 shown]
	v_xor_b32_e32 v123, vcc_hi, v4
	v_xor_b32_e32 v4, vcc_lo, v4
	v_and_b32_e32 v122, v122, v123
	v_and_b32_e32 v123, v22, v4
	v_lshlrev_b32_e32 v4, 24, v21
	v_cmp_gt_i64_e32 vcc, 0, v[3:4]
	v_not_b32_e32 v4, v4
	v_ashrrev_i32_e32 v4, 31, v4
	v_mul_u32_u24_e32 v24, 20, v21
	v_xor_b32_e32 v21, vcc_hi, v4
	v_xor_b32_e32 v4, vcc_lo, v4
	v_and_b32_e32 v22, v122, v21
	v_and_b32_e32 v21, v123, v4
	v_mbcnt_lo_u32_b32 v4, v21, 0
	v_mbcnt_hi_u32_b32 v122, v22, v4
	v_cmp_ne_u64_e32 vcc, 0, v[21:22]
	v_cmp_eq_u32_e64 s[38:39], 0, v122
	s_and_b64 s[40:41], vcc, s[38:39]
	v_add_u32_e32 v125, v91, v24
	; wave barrier
	s_and_saveexec_b64 s[38:39], s[40:41]
	s_cbranch_execz .LBB1951_428
; %bb.427:                              ;   in Loop: Header=BB1951_394 Depth=2
	v_bcnt_u32_b32 v4, v21, 0
	v_bcnt_u32_b32 v4, v22, v4
	s_waitcnt lgkmcnt(0)
	v_add_u32_e32 v4, v121, v4
	ds_write_b32 v125, v4 offset:1040
.LBB1951_428:                           ;   in Loop: Header=BB1951_394 Depth=2
	s_or_b64 exec, exec, s[38:39]
	v_cmp_gt_i16_e32 vcc, 0, v23
	v_cndmask_b32_e64 v4, v65, 0, vcc
	v_xor_b32_e32 v123, v4, v23
	v_cmp_ne_u16_e32 vcc, s7, v123
	v_cndmask_b32_e32 v4, v65, v123, vcc
	v_lshrrev_b32_sdwa v4, s77, v4 dst_sel:DWORD dst_unused:UNUSED_PAD src0_sel:DWORD src1_sel:WORD_0
	v_and_b32_e32 v21, s63, v4
	v_mad_u32_u24 v4, v21, 20, v91
	; wave barrier
	ds_read_b32 v124, v4 offset:1040
	v_and_b32_e32 v4, 1, v21
	v_add_co_u32_e32 v22, vcc, -1, v4
	v_addc_co_u32_e64 v24, s[38:39], 0, -1, vcc
	v_cmp_ne_u32_e32 vcc, 0, v4
	v_xor_b32_e32 v4, vcc_hi, v24
	v_and_b32_e32 v24, exec_hi, v4
	v_lshlrev_b32_e32 v4, 30, v21
	v_xor_b32_e32 v22, vcc_lo, v22
	v_cmp_gt_i64_e32 vcc, 0, v[3:4]
	v_not_b32_e32 v4, v4
	v_ashrrev_i32_e32 v4, 31, v4
	v_and_b32_e32 v22, exec_lo, v22
	v_xor_b32_e32 v126, vcc_hi, v4
	v_xor_b32_e32 v4, vcc_lo, v4
	v_and_b32_e32 v22, v22, v4
	v_lshlrev_b32_e32 v4, 29, v21
	v_cmp_gt_i64_e32 vcc, 0, v[3:4]
	v_not_b32_e32 v4, v4
	v_ashrrev_i32_e32 v4, 31, v4
	v_and_b32_e32 v24, v24, v126
	v_xor_b32_e32 v126, vcc_hi, v4
	v_xor_b32_e32 v4, vcc_lo, v4
	v_and_b32_e32 v22, v22, v4
	v_lshlrev_b32_e32 v4, 28, v21
	v_cmp_gt_i64_e32 vcc, 0, v[3:4]
	v_not_b32_e32 v4, v4
	v_ashrrev_i32_e32 v4, 31, v4
	v_and_b32_e32 v24, v24, v126
	;; [unrolled: 8-line block ×5, first 2 shown]
	v_xor_b32_e32 v126, vcc_hi, v4
	v_xor_b32_e32 v4, vcc_lo, v4
	v_and_b32_e32 v24, v24, v126
	v_and_b32_e32 v126, v22, v4
	v_lshlrev_b32_e32 v4, 24, v21
	v_cmp_gt_i64_e32 vcc, 0, v[3:4]
	v_not_b32_e32 v4, v4
	v_ashrrev_i32_e32 v4, 31, v4
	v_mul_u32_u24_e32 v23, 20, v21
	v_xor_b32_e32 v21, vcc_hi, v4
	v_xor_b32_e32 v4, vcc_lo, v4
	v_and_b32_e32 v22, v24, v21
	v_and_b32_e32 v21, v126, v4
	v_mbcnt_lo_u32_b32 v4, v21, 0
	v_mbcnt_hi_u32_b32 v126, v22, v4
	v_cmp_ne_u64_e32 vcc, 0, v[21:22]
	v_cmp_eq_u32_e64 s[38:39], 0, v126
	s_and_b64 s[40:41], vcc, s[38:39]
	v_add_u32_e32 v4, v91, v23
	; wave barrier
	s_and_saveexec_b64 s[38:39], s[40:41]
	s_cbranch_execz .LBB1951_430
; %bb.429:                              ;   in Loop: Header=BB1951_394 Depth=2
	v_bcnt_u32_b32 v21, v21, 0
	v_bcnt_u32_b32 v21, v22, v21
	s_waitcnt lgkmcnt(0)
	v_add_u32_e32 v21, v124, v21
	ds_write_b32 v4, v21 offset:1040
.LBB1951_430:                           ;   in Loop: Header=BB1951_394 Depth=2
	s_or_b64 exec, exec, s[38:39]
	; wave barrier
	s_waitcnt lgkmcnt(0)
	s_barrier
	ds_read2_b32 v[23:24], v62 offset1:1
	ds_read2_b32 v[21:22], v63 offset1:1
	ds_read_b32 v127, v41 offset:1056
	s_waitcnt lgkmcnt(1)
	v_add3_u32 v128, v24, v23, v21
	s_waitcnt lgkmcnt(0)
	v_add3_u32 v127, v128, v22, v127
	s_nop 1
	v_mov_b32_dpp v128, v127 row_shr:1 row_mask:0xf bank_mask:0xf
	v_cndmask_b32_e64 v128, v128, 0, s[18:19]
	v_add_u32_e32 v127, v128, v127
	s_nop 1
	v_mov_b32_dpp v128, v127 row_shr:2 row_mask:0xf bank_mask:0xf
	v_cndmask_b32_e64 v128, 0, v128, s[20:21]
	v_add_u32_e32 v127, v127, v128
	;; [unrolled: 4-line block ×4, first 2 shown]
	s_nop 1
	v_mov_b32_dpp v128, v127 row_bcast:15 row_mask:0xf bank_mask:0xf
	v_cndmask_b32_e64 v128, v128, 0, s[26:27]
	v_add_u32_e32 v127, v127, v128
	s_nop 1
	v_mov_b32_dpp v128, v127 row_bcast:31 row_mask:0xf bank_mask:0xf
	v_cndmask_b32_e64 v128, 0, v128, s[28:29]
	v_add_u32_e32 v127, v127, v128
	s_and_saveexec_b64 s[38:39], s[8:9]
; %bb.431:                              ;   in Loop: Header=BB1951_394 Depth=2
	ds_write_b32 v37, v127 offset:1024
; %bb.432:                              ;   in Loop: Header=BB1951_394 Depth=2
	s_or_b64 exec, exec, s[38:39]
	s_waitcnt lgkmcnt(0)
	s_barrier
	s_and_saveexec_b64 s[38:39], s[10:11]
	s_cbranch_execz .LBB1951_434
; %bb.433:                              ;   in Loop: Header=BB1951_394 Depth=2
	ds_read_b32 v128, v42 offset:1024
	s_waitcnt lgkmcnt(0)
	s_nop 0
	v_mov_b32_dpp v129, v128 row_shr:1 row_mask:0xf bank_mask:0xf
	v_cndmask_b32_e64 v129, v129, 0, s[34:35]
	v_add_u32_e32 v128, v129, v128
	s_nop 1
	v_mov_b32_dpp v129, v128 row_shr:2 row_mask:0xf bank_mask:0xf
	v_cndmask_b32_e64 v129, 0, v129, s[36:37]
	v_add_u32_e32 v128, v128, v129
	ds_write_b32 v42, v128 offset:1024
.LBB1951_434:                           ;   in Loop: Header=BB1951_394 Depth=2
	s_or_b64 exec, exec, s[38:39]
	v_mov_b32_e32 v128, 0
	s_waitcnt lgkmcnt(0)
	s_barrier
	s_and_saveexec_b64 s[38:39], s[12:13]
; %bb.435:                              ;   in Loop: Header=BB1951_394 Depth=2
	ds_read_b32 v128, v37 offset:1020
; %bb.436:                              ;   in Loop: Header=BB1951_394 Depth=2
	s_or_b64 exec, exec, s[38:39]
	s_waitcnt lgkmcnt(0)
	v_add_u32_e32 v127, v128, v127
	ds_bpermute_b32 v127, v82, v127
	s_waitcnt lgkmcnt(0)
	v_cndmask_b32_e64 v127, v127, v128, s[30:31]
	v_cndmask_b32_e64 v127, v127, 0, s[14:15]
	v_add_u32_e32 v23, v127, v23
	v_add_u32_e32 v24, v23, v24
	;; [unrolled: 1-line block ×4, first 2 shown]
	ds_write2_b32 v62, v127, v23 offset1:1
	ds_write2_b32 v63, v24, v21 offset1:1
	ds_write_b32 v41, v22 offset:1056
	s_waitcnt lgkmcnt(0)
	s_barrier
	ds_read_b32 v21, v101 offset:1040
	ds_read_b32 v22, v105 offset:1040
	;; [unrolled: 1-line block ×9, first 2 shown]
	v_mov_b32_e32 v4, 0x800
	s_and_saveexec_b64 s[38:39], s[16:17]
; %bb.437:                              ;   in Loop: Header=BB1951_394 Depth=2
	ds_read_b32 v4, v41 offset:1060
; %bb.438:                              ;   in Loop: Header=BB1951_394 Depth=2
	s_or_b64 exec, exec, s[38:39]
	s_waitcnt lgkmcnt(0)
	s_barrier
	s_and_saveexec_b64 s[38:39], s[4:5]
	s_cbranch_execz .LBB1951_440
; %bb.439:                              ;   in Loop: Header=BB1951_394 Depth=2
	ds_read_b32 v105, v25
	s_waitcnt lgkmcnt(0)
	v_sub_u32_e32 v101, v105, v101
	ds_write_b32 v25, v101
.LBB1951_440:                           ;   in Loop: Header=BB1951_394 Depth=2
	s_or_b64 exec, exec, s[38:39]
	v_add_u32_e32 v108, v21, v98
	v_add3_u32 v105, v102, v100, v22
	v_lshlrev_b32_e32 v21, 1, v108
	v_add3_u32 v102, v106, v104, v23
	ds_write_b16 v21, v97 offset:1024
	v_lshlrev_b32_e32 v21, 1, v105
	v_add3_u32 v101, v111, v109, v24
	ds_write_b16 v21, v99 offset:1024
	;; [unrolled: 3-line block ×6, first 2 shown]
	v_lshlrev_b32_e32 v21, 1, v24
	ds_write_b16 v21, v120 offset:1024
	v_lshlrev_b32_e32 v21, 1, v23
	v_cmp_lt_u32_e32 vcc, v0, v96
	ds_write_b16 v21, v123 offset:1024
	s_waitcnt lgkmcnt(0)
	s_barrier
	s_and_saveexec_b64 s[40:41], vcc
	s_cbranch_execnz .LBB1951_477
; %bb.441:                              ;   in Loop: Header=BB1951_394 Depth=2
	s_or_b64 exec, exec, s[40:41]
	v_cmp_lt_u32_e64 s[38:39], v26, v96
	s_and_saveexec_b64 s[42:43], s[38:39]
	s_cbranch_execnz .LBB1951_478
.LBB1951_442:                           ;   in Loop: Header=BB1951_394 Depth=2
	s_or_b64 exec, exec, s[42:43]
	v_cmp_lt_u32_e64 s[40:41], v27, v96
	s_and_saveexec_b64 s[44:45], s[40:41]
	s_cbranch_execnz .LBB1951_479
.LBB1951_443:                           ;   in Loop: Header=BB1951_394 Depth=2
	s_or_b64 exec, exec, s[44:45]
	v_cmp_lt_u32_e64 s[42:43], v28, v96
	s_and_saveexec_b64 s[46:47], s[42:43]
	s_cbranch_execnz .LBB1951_480
.LBB1951_444:                           ;   in Loop: Header=BB1951_394 Depth=2
	s_or_b64 exec, exec, s[46:47]
	v_cmp_lt_u32_e64 s[44:45], v31, v96
	s_and_saveexec_b64 s[48:49], s[44:45]
	s_cbranch_execnz .LBB1951_481
.LBB1951_445:                           ;   in Loop: Header=BB1951_394 Depth=2
	s_or_b64 exec, exec, s[48:49]
	v_cmp_lt_u32_e64 s[46:47], v32, v96
	s_and_saveexec_b64 s[50:51], s[46:47]
	s_cbranch_execnz .LBB1951_482
.LBB1951_446:                           ;   in Loop: Header=BB1951_394 Depth=2
	s_or_b64 exec, exec, s[50:51]
	v_cmp_lt_u32_e64 s[48:49], v33, v96
	s_and_saveexec_b64 s[52:53], s[48:49]
	s_cbranch_execnz .LBB1951_483
.LBB1951_447:                           ;   in Loop: Header=BB1951_394 Depth=2
	s_or_b64 exec, exec, s[52:53]
	v_cmp_lt_u32_e64 s[50:51], v34, v96
	s_and_saveexec_b64 s[60:61], s[50:51]
	s_cbranch_execz .LBB1951_449
.LBB1951_448:                           ;   in Loop: Header=BB1951_394 Depth=2
	ds_read_u16 v21, v47 offset:4608
	v_mov_b32_e32 v22, v3
	v_mov_b32_e32 v99, s67
	s_waitcnt lgkmcnt(0)
	v_cmp_ne_u16_e64 s[52:53], s7, v21
	v_cndmask_b32_e64 v97, v65, v21, s[52:53]
	v_lshrrev_b32_sdwa v97, s77, v97 dst_sel:DWORD dst_unused:UNUSED_PAD src0_sel:DWORD src1_sel:WORD_0
	v_and_b32_e32 v97, s63, v97
	v_lshlrev_b32_e32 v97, 2, v97
	ds_read_b32 v97, v97
	v_cmp_gt_i16_e64 s[52:53], 0, v21
	v_cndmask_b32_e64 v103, v65, 0, s[52:53]
	v_xor_b32_e32 v103, v103, v21
	s_waitcnt lgkmcnt(0)
	v_add_u32_e32 v21, v97, v34
	v_lshlrev_b64 v[21:22], 1, v[21:22]
	v_add_co_u32_e64 v21, s[52:53], s66, v21
	v_addc_co_u32_e64 v22, s[52:53], v99, v22, s[52:53]
	global_store_short v[21:22], v103, off
.LBB1951_449:                           ;   in Loop: Header=BB1951_394 Depth=2
	s_or_b64 exec, exec, s[60:61]
	s_lshl_b64 s[52:53], s[58:59], 3
	v_mov_b32_e32 v22, s53
	v_add_co_u32_e64 v21, s[52:53], s52, v83
	v_addc_co_u32_e64 v22, s[52:53], v84, v22, s[52:53]
	v_cmp_lt_u32_e64 s[52:53], v73, v96
	s_and_saveexec_b64 s[60:61], s[52:53]
	s_xor_b64 s[52:53], exec, s[60:61]
	s_cbranch_execnz .LBB1951_484
; %bb.450:                              ;   in Loop: Header=BB1951_394 Depth=2
	s_or_b64 exec, exec, s[52:53]
	v_cmp_lt_u32_e64 s[52:53], v74, v96
	s_and_saveexec_b64 s[60:61], s[52:53]
	s_cbranch_execnz .LBB1951_485
.LBB1951_451:                           ;   in Loop: Header=BB1951_394 Depth=2
	s_or_b64 exec, exec, s[60:61]
	v_cmp_lt_u32_e64 s[52:53], v75, v96
	s_and_saveexec_b64 s[60:61], s[52:53]
	s_cbranch_execnz .LBB1951_486
.LBB1951_452:                           ;   in Loop: Header=BB1951_394 Depth=2
	s_or_b64 exec, exec, s[60:61]
	v_cmp_lt_u32_e64 s[52:53], v76, v96
	s_and_saveexec_b64 s[60:61], s[52:53]
	s_cbranch_execnz .LBB1951_487
.LBB1951_453:                           ;   in Loop: Header=BB1951_394 Depth=2
	s_or_b64 exec, exec, s[60:61]
	v_cmp_lt_u32_e64 s[52:53], v77, v96
	s_and_saveexec_b64 s[60:61], s[52:53]
	s_cbranch_execnz .LBB1951_488
.LBB1951_454:                           ;   in Loop: Header=BB1951_394 Depth=2
	s_or_b64 exec, exec, s[60:61]
	v_cmp_lt_u32_e64 s[52:53], v78, v96
	s_and_saveexec_b64 s[60:61], s[52:53]
	s_cbranch_execnz .LBB1951_489
.LBB1951_455:                           ;   in Loop: Header=BB1951_394 Depth=2
	s_or_b64 exec, exec, s[60:61]
	v_cmp_lt_u32_e64 s[52:53], v79, v96
	s_and_saveexec_b64 s[60:61], s[52:53]
	s_cbranch_execnz .LBB1951_490
.LBB1951_456:                           ;   in Loop: Header=BB1951_394 Depth=2
	s_or_b64 exec, exec, s[60:61]
	v_cmp_lt_u32_e64 s[52:53], v80, v96
	s_and_saveexec_b64 s[60:61], s[52:53]
	s_cbranch_execnz .LBB1951_491
.LBB1951_457:                           ;   in Loop: Header=BB1951_394 Depth=2
	s_or_b64 exec, exec, s[60:61]
	s_and_saveexec_b64 s[60:61], vcc
	s_cbranch_execnz .LBB1951_492
.LBB1951_458:                           ;   in Loop: Header=BB1951_394 Depth=2
	s_or_b64 exec, exec, s[60:61]
	s_and_saveexec_b64 s[60:61], s[38:39]
	s_cbranch_execnz .LBB1951_493
.LBB1951_459:                           ;   in Loop: Header=BB1951_394 Depth=2
	s_or_b64 exec, exec, s[60:61]
	s_and_saveexec_b64 s[60:61], s[40:41]
	s_cbranch_execnz .LBB1951_494
.LBB1951_460:                           ;   in Loop: Header=BB1951_394 Depth=2
	s_or_b64 exec, exec, s[60:61]
	s_and_saveexec_b64 s[60:61], s[42:43]
	s_cbranch_execnz .LBB1951_495
.LBB1951_461:                           ;   in Loop: Header=BB1951_394 Depth=2
	s_or_b64 exec, exec, s[60:61]
	s_and_saveexec_b64 s[60:61], s[44:45]
	s_cbranch_execnz .LBB1951_496
.LBB1951_462:                           ;   in Loop: Header=BB1951_394 Depth=2
	s_or_b64 exec, exec, s[60:61]
	s_and_saveexec_b64 s[60:61], s[46:47]
	s_cbranch_execnz .LBB1951_497
.LBB1951_463:                           ;   in Loop: Header=BB1951_394 Depth=2
	s_or_b64 exec, exec, s[60:61]
	s_and_saveexec_b64 s[60:61], s[48:49]
	s_cbranch_execnz .LBB1951_498
.LBB1951_464:                           ;   in Loop: Header=BB1951_394 Depth=2
	s_or_b64 exec, exec, s[60:61]
	s_and_saveexec_b64 s[60:61], s[50:51]
	s_cbranch_execz .LBB1951_466
.LBB1951_465:                           ;   in Loop: Header=BB1951_394 Depth=2
	ds_read_u16 v21, v47 offset:4608
	s_waitcnt lgkmcnt(0)
	v_cmp_ne_u16_e64 s[52:53], s7, v21
	v_cndmask_b32_e64 v21, v65, v21, s[52:53]
	v_lshrrev_b32_sdwa v21, s77, v21 dst_sel:DWORD dst_unused:UNUSED_PAD src0_sel:DWORD src1_sel:WORD_0
	v_and_b32_e32 v87, s63, v21
.LBB1951_466:                           ;   in Loop: Header=BB1951_394 Depth=2
	s_or_b64 exec, exec, s[60:61]
	v_lshlrev_b32_e32 v21, 3, v108
	s_waitcnt vmcnt(0)
	s_barrier
	ds_write_b64 v21, v[19:20] offset:1024
	v_lshlrev_b32_e32 v21, 3, v105
	ds_write_b64 v21, v[17:18] offset:1024
	v_lshlrev_b32_e32 v21, 3, v102
	;; [unrolled: 2-line block ×7, first 2 shown]
	ds_write_b64 v21, v[5:6] offset:1024
	s_waitcnt lgkmcnt(0)
	s_barrier
	s_and_saveexec_b64 s[52:53], vcc
	s_cbranch_execnz .LBB1951_499
; %bb.467:                              ;   in Loop: Header=BB1951_394 Depth=2
	s_or_b64 exec, exec, s[52:53]
	s_and_saveexec_b64 s[52:53], s[38:39]
	s_cbranch_execnz .LBB1951_500
.LBB1951_468:                           ;   in Loop: Header=BB1951_394 Depth=2
	s_or_b64 exec, exec, s[52:53]
	s_and_saveexec_b64 s[38:39], s[40:41]
	s_cbranch_execnz .LBB1951_501
.LBB1951_469:                           ;   in Loop: Header=BB1951_394 Depth=2
	s_or_b64 exec, exec, s[38:39]
	s_and_saveexec_b64 s[38:39], s[42:43]
	s_cbranch_execnz .LBB1951_502
.LBB1951_470:                           ;   in Loop: Header=BB1951_394 Depth=2
	s_or_b64 exec, exec, s[38:39]
	s_and_saveexec_b64 s[38:39], s[44:45]
	s_cbranch_execnz .LBB1951_503
.LBB1951_471:                           ;   in Loop: Header=BB1951_394 Depth=2
	s_or_b64 exec, exec, s[38:39]
	s_and_saveexec_b64 s[38:39], s[46:47]
	s_cbranch_execnz .LBB1951_504
.LBB1951_472:                           ;   in Loop: Header=BB1951_394 Depth=2
	s_or_b64 exec, exec, s[38:39]
	s_and_saveexec_b64 s[38:39], s[48:49]
	s_cbranch_execnz .LBB1951_505
.LBB1951_473:                           ;   in Loop: Header=BB1951_394 Depth=2
	s_or_b64 exec, exec, s[38:39]
	s_and_saveexec_b64 s[38:39], s[50:51]
	s_cbranch_execz .LBB1951_475
.LBB1951_474:                           ;   in Loop: Header=BB1951_394 Depth=2
	v_lshlrev_b32_e32 v21, 2, v87
	ds_read_b32 v23, v21
	v_add_u32_e32 v21, v47, v48
	ds_read_b64 v[21:22], v21 offset:15360
	v_mov_b32_e32 v24, v3
	v_mov_b32_e32 v96, s73
	s_waitcnt lgkmcnt(1)
	v_add_u32_e32 v23, v23, v34
	v_lshlrev_b64 v[23:24], 3, v[23:24]
	v_add_co_u32_e32 v23, vcc, s72, v23
	v_addc_co_u32_e32 v24, vcc, v96, v24, vcc
	s_waitcnt lgkmcnt(0)
	global_store_dwordx2 v[23:24], v[21:22], off
.LBB1951_475:                           ;   in Loop: Header=BB1951_394 Depth=2
	s_or_b64 exec, exec, s[38:39]
	s_waitcnt vmcnt(0)
	s_barrier
	s_and_saveexec_b64 s[38:39], s[4:5]
	s_cbranch_execz .LBB1951_393
; %bb.476:                              ;   in Loop: Header=BB1951_394 Depth=2
	ds_read_b32 v21, v25
	s_waitcnt lgkmcnt(0)
	v_add_u32_e32 v4, v21, v4
	ds_write_b32 v25, v4
	s_branch .LBB1951_393
.LBB1951_477:                           ;   in Loop: Header=BB1951_394 Depth=2
	ds_read_u16 v21, v47 offset:1024
	v_mov_b32_e32 v22, v3
	v_mov_b32_e32 v99, s67
	s_waitcnt lgkmcnt(0)
	v_cmp_ne_u16_e64 s[38:39], s7, v21
	v_cndmask_b32_e64 v97, v65, v21, s[38:39]
	v_lshrrev_b32_sdwa v97, s77, v97 dst_sel:DWORD dst_unused:UNUSED_PAD src0_sel:DWORD src1_sel:WORD_0
	v_and_b32_e32 v97, s63, v97
	v_lshlrev_b32_e32 v97, 2, v97
	ds_read_b32 v97, v97
	v_cmp_gt_i16_e64 s[38:39], 0, v21
	v_cndmask_b32_e64 v103, v65, 0, s[38:39]
	v_xor_b32_e32 v103, v103, v21
	s_waitcnt lgkmcnt(0)
	v_add_u32_e32 v21, v97, v0
	v_lshlrev_b64 v[21:22], 1, v[21:22]
	v_add_co_u32_e64 v21, s[38:39], s66, v21
	v_addc_co_u32_e64 v22, s[38:39], v99, v22, s[38:39]
	global_store_short v[21:22], v103, off
	s_or_b64 exec, exec, s[40:41]
	v_cmp_lt_u32_e64 s[38:39], v26, v96
	s_and_saveexec_b64 s[42:43], s[38:39]
	s_cbranch_execz .LBB1951_442
.LBB1951_478:                           ;   in Loop: Header=BB1951_394 Depth=2
	ds_read_u16 v21, v47 offset:1536
	v_mov_b32_e32 v22, v3
	v_mov_b32_e32 v99, s67
	s_waitcnt lgkmcnt(0)
	v_cmp_ne_u16_e64 s[40:41], s7, v21
	v_cndmask_b32_e64 v97, v65, v21, s[40:41]
	v_lshrrev_b32_sdwa v97, s77, v97 dst_sel:DWORD dst_unused:UNUSED_PAD src0_sel:DWORD src1_sel:WORD_0
	v_and_b32_e32 v97, s63, v97
	v_lshlrev_b32_e32 v97, 2, v97
	ds_read_b32 v97, v97
	v_cmp_gt_i16_e64 s[40:41], 0, v21
	v_cndmask_b32_e64 v103, v65, 0, s[40:41]
	v_xor_b32_e32 v103, v103, v21
	s_waitcnt lgkmcnt(0)
	v_add_u32_e32 v21, v97, v26
	v_lshlrev_b64 v[21:22], 1, v[21:22]
	v_add_co_u32_e64 v21, s[40:41], s66, v21
	v_addc_co_u32_e64 v22, s[40:41], v99, v22, s[40:41]
	global_store_short v[21:22], v103, off
	s_or_b64 exec, exec, s[42:43]
	v_cmp_lt_u32_e64 s[40:41], v27, v96
	s_and_saveexec_b64 s[44:45], s[40:41]
	s_cbranch_execz .LBB1951_443
.LBB1951_479:                           ;   in Loop: Header=BB1951_394 Depth=2
	ds_read_u16 v21, v47 offset:2048
	v_mov_b32_e32 v22, v3
	v_mov_b32_e32 v99, s67
	s_waitcnt lgkmcnt(0)
	v_cmp_ne_u16_e64 s[42:43], s7, v21
	v_cndmask_b32_e64 v97, v65, v21, s[42:43]
	v_lshrrev_b32_sdwa v97, s77, v97 dst_sel:DWORD dst_unused:UNUSED_PAD src0_sel:DWORD src1_sel:WORD_0
	v_and_b32_e32 v97, s63, v97
	v_lshlrev_b32_e32 v97, 2, v97
	ds_read_b32 v97, v97
	v_cmp_gt_i16_e64 s[42:43], 0, v21
	v_cndmask_b32_e64 v103, v65, 0, s[42:43]
	v_xor_b32_e32 v103, v103, v21
	s_waitcnt lgkmcnt(0)
	v_add_u32_e32 v21, v97, v27
	v_lshlrev_b64 v[21:22], 1, v[21:22]
	v_add_co_u32_e64 v21, s[42:43], s66, v21
	v_addc_co_u32_e64 v22, s[42:43], v99, v22, s[42:43]
	global_store_short v[21:22], v103, off
	s_or_b64 exec, exec, s[44:45]
	v_cmp_lt_u32_e64 s[42:43], v28, v96
	s_and_saveexec_b64 s[46:47], s[42:43]
	s_cbranch_execz .LBB1951_444
.LBB1951_480:                           ;   in Loop: Header=BB1951_394 Depth=2
	ds_read_u16 v21, v47 offset:2560
	v_mov_b32_e32 v22, v3
	v_mov_b32_e32 v99, s67
	s_waitcnt lgkmcnt(0)
	v_cmp_ne_u16_e64 s[44:45], s7, v21
	v_cndmask_b32_e64 v97, v65, v21, s[44:45]
	v_lshrrev_b32_sdwa v97, s77, v97 dst_sel:DWORD dst_unused:UNUSED_PAD src0_sel:DWORD src1_sel:WORD_0
	v_and_b32_e32 v97, s63, v97
	v_lshlrev_b32_e32 v97, 2, v97
	ds_read_b32 v97, v97
	v_cmp_gt_i16_e64 s[44:45], 0, v21
	v_cndmask_b32_e64 v103, v65, 0, s[44:45]
	v_xor_b32_e32 v103, v103, v21
	s_waitcnt lgkmcnt(0)
	v_add_u32_e32 v21, v97, v28
	v_lshlrev_b64 v[21:22], 1, v[21:22]
	v_add_co_u32_e64 v21, s[44:45], s66, v21
	v_addc_co_u32_e64 v22, s[44:45], v99, v22, s[44:45]
	global_store_short v[21:22], v103, off
	s_or_b64 exec, exec, s[46:47]
	v_cmp_lt_u32_e64 s[44:45], v31, v96
	s_and_saveexec_b64 s[48:49], s[44:45]
	s_cbranch_execz .LBB1951_445
.LBB1951_481:                           ;   in Loop: Header=BB1951_394 Depth=2
	ds_read_u16 v21, v47 offset:3072
	v_mov_b32_e32 v22, v3
	v_mov_b32_e32 v99, s67
	s_waitcnt lgkmcnt(0)
	v_cmp_ne_u16_e64 s[46:47], s7, v21
	v_cndmask_b32_e64 v97, v65, v21, s[46:47]
	v_lshrrev_b32_sdwa v97, s77, v97 dst_sel:DWORD dst_unused:UNUSED_PAD src0_sel:DWORD src1_sel:WORD_0
	v_and_b32_e32 v97, s63, v97
	v_lshlrev_b32_e32 v97, 2, v97
	ds_read_b32 v97, v97
	v_cmp_gt_i16_e64 s[46:47], 0, v21
	v_cndmask_b32_e64 v103, v65, 0, s[46:47]
	v_xor_b32_e32 v103, v103, v21
	s_waitcnt lgkmcnt(0)
	v_add_u32_e32 v21, v97, v31
	v_lshlrev_b64 v[21:22], 1, v[21:22]
	v_add_co_u32_e64 v21, s[46:47], s66, v21
	v_addc_co_u32_e64 v22, s[46:47], v99, v22, s[46:47]
	global_store_short v[21:22], v103, off
	s_or_b64 exec, exec, s[48:49]
	v_cmp_lt_u32_e64 s[46:47], v32, v96
	s_and_saveexec_b64 s[50:51], s[46:47]
	s_cbranch_execz .LBB1951_446
.LBB1951_482:                           ;   in Loop: Header=BB1951_394 Depth=2
	ds_read_u16 v21, v47 offset:3584
	v_mov_b32_e32 v22, v3
	v_mov_b32_e32 v99, s67
	s_waitcnt lgkmcnt(0)
	v_cmp_ne_u16_e64 s[48:49], s7, v21
	v_cndmask_b32_e64 v97, v65, v21, s[48:49]
	v_lshrrev_b32_sdwa v97, s77, v97 dst_sel:DWORD dst_unused:UNUSED_PAD src0_sel:DWORD src1_sel:WORD_0
	v_and_b32_e32 v97, s63, v97
	v_lshlrev_b32_e32 v97, 2, v97
	ds_read_b32 v97, v97
	v_cmp_gt_i16_e64 s[48:49], 0, v21
	v_cndmask_b32_e64 v103, v65, 0, s[48:49]
	v_xor_b32_e32 v103, v103, v21
	s_waitcnt lgkmcnt(0)
	v_add_u32_e32 v21, v97, v32
	v_lshlrev_b64 v[21:22], 1, v[21:22]
	v_add_co_u32_e64 v21, s[48:49], s66, v21
	v_addc_co_u32_e64 v22, s[48:49], v99, v22, s[48:49]
	global_store_short v[21:22], v103, off
	s_or_b64 exec, exec, s[50:51]
	v_cmp_lt_u32_e64 s[48:49], v33, v96
	s_and_saveexec_b64 s[52:53], s[48:49]
	s_cbranch_execz .LBB1951_447
.LBB1951_483:                           ;   in Loop: Header=BB1951_394 Depth=2
	ds_read_u16 v21, v47 offset:4096
	v_mov_b32_e32 v22, v3
	v_mov_b32_e32 v99, s67
	s_waitcnt lgkmcnt(0)
	v_cmp_ne_u16_e64 s[50:51], s7, v21
	v_cndmask_b32_e64 v97, v65, v21, s[50:51]
	v_lshrrev_b32_sdwa v97, s77, v97 dst_sel:DWORD dst_unused:UNUSED_PAD src0_sel:DWORD src1_sel:WORD_0
	v_and_b32_e32 v97, s63, v97
	v_lshlrev_b32_e32 v97, 2, v97
	ds_read_b32 v97, v97
	v_cmp_gt_i16_e64 s[50:51], 0, v21
	v_cndmask_b32_e64 v103, v65, 0, s[50:51]
	v_xor_b32_e32 v103, v103, v21
	s_waitcnt lgkmcnt(0)
	v_add_u32_e32 v21, v97, v33
	v_lshlrev_b64 v[21:22], 1, v[21:22]
	v_add_co_u32_e64 v21, s[50:51], s66, v21
	v_addc_co_u32_e64 v22, s[50:51], v99, v22, s[50:51]
	global_store_short v[21:22], v103, off
	s_or_b64 exec, exec, s[52:53]
	v_cmp_lt_u32_e64 s[50:51], v34, v96
	s_and_saveexec_b64 s[60:61], s[50:51]
	s_cbranch_execnz .LBB1951_448
	s_branch .LBB1951_449
.LBB1951_484:                           ;   in Loop: Header=BB1951_394 Depth=2
	global_load_dwordx2 v[19:20], v[21:22], off
	s_or_b64 exec, exec, s[52:53]
	v_cmp_lt_u32_e64 s[52:53], v74, v96
	s_and_saveexec_b64 s[60:61], s[52:53]
	s_cbranch_execz .LBB1951_451
.LBB1951_485:                           ;   in Loop: Header=BB1951_394 Depth=2
	global_load_dwordx2 v[17:18], v[21:22], off offset:512
	s_or_b64 exec, exec, s[60:61]
	v_cmp_lt_u32_e64 s[52:53], v75, v96
	s_and_saveexec_b64 s[60:61], s[52:53]
	s_cbranch_execz .LBB1951_452
.LBB1951_486:                           ;   in Loop: Header=BB1951_394 Depth=2
	global_load_dwordx2 v[15:16], v[21:22], off offset:1024
	s_or_b64 exec, exec, s[60:61]
	v_cmp_lt_u32_e64 s[52:53], v76, v96
	s_and_saveexec_b64 s[60:61], s[52:53]
	s_cbranch_execz .LBB1951_453
.LBB1951_487:                           ;   in Loop: Header=BB1951_394 Depth=2
	global_load_dwordx2 v[13:14], v[21:22], off offset:1536
	s_or_b64 exec, exec, s[60:61]
	v_cmp_lt_u32_e64 s[52:53], v77, v96
	s_and_saveexec_b64 s[60:61], s[52:53]
	s_cbranch_execz .LBB1951_454
.LBB1951_488:                           ;   in Loop: Header=BB1951_394 Depth=2
	global_load_dwordx2 v[11:12], v[21:22], off offset:2048
	s_or_b64 exec, exec, s[60:61]
	v_cmp_lt_u32_e64 s[52:53], v78, v96
	s_and_saveexec_b64 s[60:61], s[52:53]
	s_cbranch_execz .LBB1951_455
.LBB1951_489:                           ;   in Loop: Header=BB1951_394 Depth=2
	global_load_dwordx2 v[9:10], v[21:22], off offset:2560
	s_or_b64 exec, exec, s[60:61]
	v_cmp_lt_u32_e64 s[52:53], v79, v96
	s_and_saveexec_b64 s[60:61], s[52:53]
	s_cbranch_execz .LBB1951_456
.LBB1951_490:                           ;   in Loop: Header=BB1951_394 Depth=2
	global_load_dwordx2 v[7:8], v[21:22], off offset:3072
	s_or_b64 exec, exec, s[60:61]
	v_cmp_lt_u32_e64 s[52:53], v80, v96
	s_and_saveexec_b64 s[60:61], s[52:53]
	s_cbranch_execz .LBB1951_457
.LBB1951_491:                           ;   in Loop: Header=BB1951_394 Depth=2
	global_load_dwordx2 v[5:6], v[21:22], off offset:3584
	s_or_b64 exec, exec, s[60:61]
	s_and_saveexec_b64 s[60:61], vcc
	s_cbranch_execz .LBB1951_458
.LBB1951_492:                           ;   in Loop: Header=BB1951_394 Depth=2
	ds_read_u16 v21, v47 offset:1024
	s_waitcnt lgkmcnt(0)
	v_cmp_ne_u16_e64 s[52:53], s7, v21
	v_cndmask_b32_e64 v21, v65, v21, s[52:53]
	v_lshrrev_b32_sdwa v21, s77, v21 dst_sel:DWORD dst_unused:UNUSED_PAD src0_sel:DWORD src1_sel:WORD_0
	v_and_b32_e32 v95, s63, v21
	s_or_b64 exec, exec, s[60:61]
	s_and_saveexec_b64 s[60:61], s[38:39]
	s_cbranch_execz .LBB1951_459
.LBB1951_493:                           ;   in Loop: Header=BB1951_394 Depth=2
	ds_read_u16 v21, v47 offset:1536
	s_waitcnt lgkmcnt(0)
	v_cmp_ne_u16_e64 s[52:53], s7, v21
	v_cndmask_b32_e64 v21, v65, v21, s[52:53]
	v_lshrrev_b32_sdwa v21, s77, v21 dst_sel:DWORD dst_unused:UNUSED_PAD src0_sel:DWORD src1_sel:WORD_0
	v_and_b32_e32 v94, s63, v21
	s_or_b64 exec, exec, s[60:61]
	s_and_saveexec_b64 s[60:61], s[40:41]
	s_cbranch_execz .LBB1951_460
.LBB1951_494:                           ;   in Loop: Header=BB1951_394 Depth=2
	ds_read_u16 v21, v47 offset:2048
	s_waitcnt lgkmcnt(0)
	v_cmp_ne_u16_e64 s[52:53], s7, v21
	v_cndmask_b32_e64 v21, v65, v21, s[52:53]
	v_lshrrev_b32_sdwa v21, s77, v21 dst_sel:DWORD dst_unused:UNUSED_PAD src0_sel:DWORD src1_sel:WORD_0
	v_and_b32_e32 v93, s63, v21
	s_or_b64 exec, exec, s[60:61]
	s_and_saveexec_b64 s[60:61], s[42:43]
	s_cbranch_execz .LBB1951_461
.LBB1951_495:                           ;   in Loop: Header=BB1951_394 Depth=2
	ds_read_u16 v21, v47 offset:2560
	s_waitcnt lgkmcnt(0)
	v_cmp_ne_u16_e64 s[52:53], s7, v21
	v_cndmask_b32_e64 v21, v65, v21, s[52:53]
	v_lshrrev_b32_sdwa v21, s77, v21 dst_sel:DWORD dst_unused:UNUSED_PAD src0_sel:DWORD src1_sel:WORD_0
	v_and_b32_e32 v92, s63, v21
	s_or_b64 exec, exec, s[60:61]
	s_and_saveexec_b64 s[60:61], s[44:45]
	s_cbranch_execz .LBB1951_462
.LBB1951_496:                           ;   in Loop: Header=BB1951_394 Depth=2
	ds_read_u16 v21, v47 offset:3072
	s_waitcnt lgkmcnt(0)
	v_cmp_ne_u16_e64 s[52:53], s7, v21
	v_cndmask_b32_e64 v21, v65, v21, s[52:53]
	v_lshrrev_b32_sdwa v21, s77, v21 dst_sel:DWORD dst_unused:UNUSED_PAD src0_sel:DWORD src1_sel:WORD_0
	v_and_b32_e32 v90, s63, v21
	s_or_b64 exec, exec, s[60:61]
	s_and_saveexec_b64 s[60:61], s[46:47]
	s_cbranch_execz .LBB1951_463
.LBB1951_497:                           ;   in Loop: Header=BB1951_394 Depth=2
	ds_read_u16 v21, v47 offset:3584
	s_waitcnt lgkmcnt(0)
	v_cmp_ne_u16_e64 s[52:53], s7, v21
	v_cndmask_b32_e64 v21, v65, v21, s[52:53]
	v_lshrrev_b32_sdwa v21, s77, v21 dst_sel:DWORD dst_unused:UNUSED_PAD src0_sel:DWORD src1_sel:WORD_0
	v_and_b32_e32 v89, s63, v21
	s_or_b64 exec, exec, s[60:61]
	s_and_saveexec_b64 s[60:61], s[48:49]
	s_cbranch_execz .LBB1951_464
.LBB1951_498:                           ;   in Loop: Header=BB1951_394 Depth=2
	ds_read_u16 v21, v47 offset:4096
	s_waitcnt lgkmcnt(0)
	v_cmp_ne_u16_e64 s[52:53], s7, v21
	v_cndmask_b32_e64 v21, v65, v21, s[52:53]
	v_lshrrev_b32_sdwa v21, s77, v21 dst_sel:DWORD dst_unused:UNUSED_PAD src0_sel:DWORD src1_sel:WORD_0
	v_and_b32_e32 v88, s63, v21
	s_or_b64 exec, exec, s[60:61]
	s_and_saveexec_b64 s[60:61], s[50:51]
	s_cbranch_execnz .LBB1951_465
	s_branch .LBB1951_466
.LBB1951_499:                           ;   in Loop: Header=BB1951_394 Depth=2
	v_lshlrev_b32_e32 v21, 2, v95
	ds_read_b32 v23, v21
	v_add_u32_e32 v21, v47, v48
	ds_read_b64 v[21:22], v21 offset:1024
	v_mov_b32_e32 v24, v3
	v_mov_b32_e32 v96, s73
	s_waitcnt lgkmcnt(1)
	v_add_u32_e32 v23, v23, v0
	v_lshlrev_b64 v[23:24], 3, v[23:24]
	v_add_co_u32_e32 v23, vcc, s72, v23
	v_addc_co_u32_e32 v24, vcc, v96, v24, vcc
	s_waitcnt lgkmcnt(0)
	global_store_dwordx2 v[23:24], v[21:22], off
	s_or_b64 exec, exec, s[52:53]
	s_and_saveexec_b64 s[52:53], s[38:39]
	s_cbranch_execz .LBB1951_468
.LBB1951_500:                           ;   in Loop: Header=BB1951_394 Depth=2
	v_lshlrev_b32_e32 v21, 2, v94
	ds_read_b32 v23, v21
	v_add_u32_e32 v21, v47, v48
	ds_read_b64 v[21:22], v21 offset:3072
	v_mov_b32_e32 v24, v3
	v_mov_b32_e32 v96, s73
	s_waitcnt lgkmcnt(1)
	v_add_u32_e32 v23, v23, v26
	v_lshlrev_b64 v[23:24], 3, v[23:24]
	v_add_co_u32_e32 v23, vcc, s72, v23
	v_addc_co_u32_e32 v24, vcc, v96, v24, vcc
	s_waitcnt lgkmcnt(0)
	global_store_dwordx2 v[23:24], v[21:22], off
	s_or_b64 exec, exec, s[52:53]
	s_and_saveexec_b64 s[38:39], s[40:41]
	s_cbranch_execz .LBB1951_469
.LBB1951_501:                           ;   in Loop: Header=BB1951_394 Depth=2
	v_lshlrev_b32_e32 v21, 2, v93
	ds_read_b32 v23, v21
	v_add_u32_e32 v21, v47, v48
	ds_read_b64 v[21:22], v21 offset:5120
	v_mov_b32_e32 v24, v3
	v_mov_b32_e32 v96, s73
	s_waitcnt lgkmcnt(1)
	v_add_u32_e32 v23, v23, v27
	v_lshlrev_b64 v[23:24], 3, v[23:24]
	v_add_co_u32_e32 v23, vcc, s72, v23
	v_addc_co_u32_e32 v24, vcc, v96, v24, vcc
	s_waitcnt lgkmcnt(0)
	global_store_dwordx2 v[23:24], v[21:22], off
	s_or_b64 exec, exec, s[38:39]
	s_and_saveexec_b64 s[38:39], s[42:43]
	s_cbranch_execz .LBB1951_470
.LBB1951_502:                           ;   in Loop: Header=BB1951_394 Depth=2
	v_lshlrev_b32_e32 v21, 2, v92
	ds_read_b32 v23, v21
	v_add_u32_e32 v21, v47, v48
	ds_read_b64 v[21:22], v21 offset:7168
	v_mov_b32_e32 v24, v3
	v_mov_b32_e32 v96, s73
	s_waitcnt lgkmcnt(1)
	v_add_u32_e32 v23, v23, v28
	v_lshlrev_b64 v[23:24], 3, v[23:24]
	v_add_co_u32_e32 v23, vcc, s72, v23
	v_addc_co_u32_e32 v24, vcc, v96, v24, vcc
	s_waitcnt lgkmcnt(0)
	global_store_dwordx2 v[23:24], v[21:22], off
	s_or_b64 exec, exec, s[38:39]
	s_and_saveexec_b64 s[38:39], s[44:45]
	s_cbranch_execz .LBB1951_471
.LBB1951_503:                           ;   in Loop: Header=BB1951_394 Depth=2
	v_lshlrev_b32_e32 v21, 2, v90
	ds_read_b32 v23, v21
	v_add_u32_e32 v21, v47, v48
	ds_read_b64 v[21:22], v21 offset:9216
	v_mov_b32_e32 v24, v3
	v_mov_b32_e32 v96, s73
	s_waitcnt lgkmcnt(1)
	v_add_u32_e32 v23, v23, v31
	v_lshlrev_b64 v[23:24], 3, v[23:24]
	v_add_co_u32_e32 v23, vcc, s72, v23
	v_addc_co_u32_e32 v24, vcc, v96, v24, vcc
	s_waitcnt lgkmcnt(0)
	global_store_dwordx2 v[23:24], v[21:22], off
	s_or_b64 exec, exec, s[38:39]
	s_and_saveexec_b64 s[38:39], s[46:47]
	s_cbranch_execz .LBB1951_472
.LBB1951_504:                           ;   in Loop: Header=BB1951_394 Depth=2
	v_lshlrev_b32_e32 v21, 2, v89
	ds_read_b32 v23, v21
	v_add_u32_e32 v21, v47, v48
	ds_read_b64 v[21:22], v21 offset:11264
	v_mov_b32_e32 v24, v3
	v_mov_b32_e32 v96, s73
	s_waitcnt lgkmcnt(1)
	v_add_u32_e32 v23, v23, v32
	v_lshlrev_b64 v[23:24], 3, v[23:24]
	v_add_co_u32_e32 v23, vcc, s72, v23
	v_addc_co_u32_e32 v24, vcc, v96, v24, vcc
	s_waitcnt lgkmcnt(0)
	global_store_dwordx2 v[23:24], v[21:22], off
	s_or_b64 exec, exec, s[38:39]
	s_and_saveexec_b64 s[38:39], s[48:49]
	s_cbranch_execz .LBB1951_473
.LBB1951_505:                           ;   in Loop: Header=BB1951_394 Depth=2
	v_lshlrev_b32_e32 v21, 2, v88
	ds_read_b32 v23, v21
	v_add_u32_e32 v21, v47, v48
	ds_read_b64 v[21:22], v21 offset:13312
	v_mov_b32_e32 v24, v3
	v_mov_b32_e32 v96, s73
	s_waitcnt lgkmcnt(1)
	v_add_u32_e32 v23, v23, v33
	v_lshlrev_b64 v[23:24], 3, v[23:24]
	v_add_co_u32_e32 v23, vcc, s72, v23
	v_addc_co_u32_e32 v24, vcc, v96, v24, vcc
	s_waitcnt lgkmcnt(0)
	global_store_dwordx2 v[23:24], v[21:22], off
	s_or_b64 exec, exec, s[38:39]
	s_and_saveexec_b64 s[38:39], s[50:51]
	s_cbranch_execnz .LBB1951_474
	s_branch .LBB1951_475
.LBB1951_506:                           ;   in Loop: Header=BB1951_12 Depth=1
	s_waitcnt lgkmcnt(0)
	s_barrier
	s_mov_b64 s[18:19], 0
.LBB1951_507:                           ;   in Loop: Header=BB1951_12 Depth=1
	s_and_b64 vcc, exec, s[18:19]
	s_cbranch_vccz .LBB1951_11
; %bb.508:                              ;   in Loop: Header=BB1951_12 Depth=1
	s_mov_b32 s22, s79
	s_mov_b32 s58, s80
	s_barrier
                                        ; implicit-def: $vgpr4
                                        ; implicit-def: $vgpr5
                                        ; implicit-def: $vgpr6
                                        ; implicit-def: $vgpr7
                                        ; implicit-def: $vgpr8
                                        ; implicit-def: $vgpr9
                                        ; implicit-def: $vgpr10
                                        ; implicit-def: $vgpr11
	s_branch .LBB1951_510
.LBB1951_509:                           ;   in Loop: Header=BB1951_510 Depth=2
	s_or_b64 exec, exec, s[18:19]
	s_addk_i32 s22, 0xf800
	s_cmp_ge_u32 s23, s81
	s_mov_b32 s58, s23
	s_cbranch_scc1 .LBB1951_546
.LBB1951_510:                           ;   Parent Loop BB1951_12 Depth=1
                                        ; =>  This Inner Loop Header: Depth=2
	s_add_i32 s23, s58, 0x800
	s_cmp_gt_u32 s23, s81
	s_mov_b64 s[18:19], -1
                                        ; implicit-def: $vgpr12
                                        ; implicit-def: $vgpr13
                                        ; implicit-def: $vgpr14
                                        ; implicit-def: $vgpr15
                                        ; implicit-def: $vgpr16
                                        ; implicit-def: $vgpr17
                                        ; implicit-def: $vgpr18
                                        ; implicit-def: $vgpr19
	s_cbranch_scc1 .LBB1951_512
; %bb.511:                              ;   in Loop: Header=BB1951_510 Depth=2
	s_lshl_b64 s[18:19], s[58:59], 1
	v_mov_b32_e32 v12, s19
	v_add_co_u32_e32 v20, vcc, s18, v55
	v_addc_co_u32_e32 v21, vcc, v56, v12, vcc
	global_load_ushort v12, v[20:21], off
	global_load_ushort v13, v[20:21], off offset:512
	global_load_ushort v14, v[20:21], off offset:1024
	;; [unrolled: 1-line block ×7, first 2 shown]
	s_mov_b64 s[18:19], 0
.LBB1951_512:                           ;   in Loop: Header=BB1951_510 Depth=2
	s_andn2_b64 vcc, exec, s[18:19]
	s_movk_i32 s20, 0x800
	s_cbranch_vccnz .LBB1951_523
; %bb.513:                              ;   in Loop: Header=BB1951_510 Depth=2
	s_lshl_b64 s[18:19], s[58:59], 1
	s_add_u32 s18, s64, s18
	s_addc_u32 s19, s65, s19
	v_cmp_gt_u32_e32 vcc, s22, v0
	s_and_saveexec_b64 s[20:21], vcc
	s_cbranch_execnz .LBB1951_539
; %bb.514:                              ;   in Loop: Header=BB1951_510 Depth=2
	s_or_b64 exec, exec, s[20:21]
	v_cmp_gt_u32_e32 vcc, s22, v26
	s_and_saveexec_b64 s[20:21], vcc
	s_cbranch_execnz .LBB1951_540
.LBB1951_515:                           ;   in Loop: Header=BB1951_510 Depth=2
	s_or_b64 exec, exec, s[20:21]
	v_cmp_gt_u32_e32 vcc, s22, v27
	s_and_saveexec_b64 s[20:21], vcc
	s_cbranch_execnz .LBB1951_541
.LBB1951_516:                           ;   in Loop: Header=BB1951_510 Depth=2
	s_or_b64 exec, exec, s[20:21]
	v_cmp_gt_u32_e32 vcc, s22, v28
	s_and_saveexec_b64 s[20:21], vcc
	s_cbranch_execnz .LBB1951_542
.LBB1951_517:                           ;   in Loop: Header=BB1951_510 Depth=2
	s_or_b64 exec, exec, s[20:21]
	v_cmp_gt_u32_e32 vcc, s22, v31
	s_and_saveexec_b64 s[20:21], vcc
	s_cbranch_execnz .LBB1951_543
.LBB1951_518:                           ;   in Loop: Header=BB1951_510 Depth=2
	s_or_b64 exec, exec, s[20:21]
	v_cmp_gt_u32_e32 vcc, s22, v32
	s_and_saveexec_b64 s[20:21], vcc
	s_cbranch_execnz .LBB1951_544
.LBB1951_519:                           ;   in Loop: Header=BB1951_510 Depth=2
	s_or_b64 exec, exec, s[20:21]
	v_cmp_gt_u32_e32 vcc, s22, v33
	s_and_saveexec_b64 s[20:21], vcc
	s_cbranch_execnz .LBB1951_545
.LBB1951_520:                           ;   in Loop: Header=BB1951_510 Depth=2
	s_or_b64 exec, exec, s[20:21]
	v_cmp_gt_u32_e32 vcc, s22, v34
	s_and_saveexec_b64 s[20:21], vcc
	s_cbranch_execz .LBB1951_522
.LBB1951_521:                           ;   in Loop: Header=BB1951_510 Depth=2
	global_load_ushort v4, v64, s[18:19] offset:3584
.LBB1951_522:                           ;   in Loop: Header=BB1951_510 Depth=2
	s_or_b64 exec, exec, s[20:21]
	s_mov_b32 s20, s22
	s_waitcnt vmcnt(0)
	v_mov_b32_e32 v12, v11
	v_mov_b32_e32 v13, v10
	;; [unrolled: 1-line block ×8, first 2 shown]
.LBB1951_523:                           ;   in Loop: Header=BB1951_510 Depth=2
	s_waitcnt vmcnt(0)
	v_mov_b32_e32 v4, v19
	v_mov_b32_e32 v5, v18
	;; [unrolled: 1-line block ×8, first 2 shown]
	v_cmp_gt_u32_e32 vcc, s20, v0
	s_and_saveexec_b64 s[18:19], vcc
	s_cbranch_execnz .LBB1951_531
; %bb.524:                              ;   in Loop: Header=BB1951_510 Depth=2
	s_or_b64 exec, exec, s[18:19]
	v_cmp_gt_u32_e32 vcc, s20, v26
	s_and_saveexec_b64 s[18:19], vcc
	s_cbranch_execnz .LBB1951_532
.LBB1951_525:                           ;   in Loop: Header=BB1951_510 Depth=2
	s_or_b64 exec, exec, s[18:19]
	v_cmp_gt_u32_e32 vcc, s20, v27
	s_and_saveexec_b64 s[18:19], vcc
	s_cbranch_execnz .LBB1951_533
.LBB1951_526:                           ;   in Loop: Header=BB1951_510 Depth=2
	s_or_b64 exec, exec, s[18:19]
	v_cmp_gt_u32_e32 vcc, s20, v28
	s_and_saveexec_b64 s[18:19], vcc
	s_cbranch_execnz .LBB1951_534
.LBB1951_527:                           ;   in Loop: Header=BB1951_510 Depth=2
	s_or_b64 exec, exec, s[18:19]
	v_cmp_gt_u32_e32 vcc, s20, v31
	s_and_saveexec_b64 s[18:19], vcc
	s_cbranch_execnz .LBB1951_535
.LBB1951_528:                           ;   in Loop: Header=BB1951_510 Depth=2
	s_or_b64 exec, exec, s[18:19]
	v_cmp_gt_u32_e32 vcc, s20, v32
	s_and_saveexec_b64 s[18:19], vcc
	s_cbranch_execnz .LBB1951_536
.LBB1951_529:                           ;   in Loop: Header=BB1951_510 Depth=2
	s_or_b64 exec, exec, s[18:19]
	v_cmp_gt_u32_e32 vcc, s20, v33
	s_and_saveexec_b64 s[18:19], vcc
	s_cbranch_execnz .LBB1951_537
.LBB1951_530:                           ;   in Loop: Header=BB1951_510 Depth=2
	s_or_b64 exec, exec, s[18:19]
	v_cmp_gt_u32_e32 vcc, s20, v34
	s_and_saveexec_b64 s[18:19], vcc
	s_cbranch_execz .LBB1951_509
	s_branch .LBB1951_538
.LBB1951_531:                           ;   in Loop: Header=BB1951_510 Depth=2
	v_cmp_gt_i16_e32 vcc, 0, v11
	v_cndmask_b32_e64 v12, v65, 0, vcc
	v_xor_b32_e32 v12, v12, v11
	v_cmp_ne_u16_e32 vcc, s7, v12
	v_cndmask_b32_e32 v12, v65, v12, vcc
	v_lshrrev_b32_sdwa v12, s77, v12 dst_sel:DWORD dst_unused:UNUSED_PAD src0_sel:DWORD src1_sel:WORD_0
	v_and_b32_e32 v12, s63, v12
	v_lshl_or_b32 v12, v12, 4, v35
	ds_add_u32 v12, v61
	s_or_b64 exec, exec, s[18:19]
	v_cmp_gt_u32_e32 vcc, s20, v26
	s_and_saveexec_b64 s[18:19], vcc
	s_cbranch_execz .LBB1951_525
.LBB1951_532:                           ;   in Loop: Header=BB1951_510 Depth=2
	v_cmp_gt_i16_e32 vcc, 0, v10
	v_cndmask_b32_e64 v12, v65, 0, vcc
	v_xor_b32_e32 v12, v12, v10
	v_cmp_ne_u16_e32 vcc, s7, v12
	v_cndmask_b32_e32 v12, v65, v12, vcc
	v_lshrrev_b32_sdwa v12, s77, v12 dst_sel:DWORD dst_unused:UNUSED_PAD src0_sel:DWORD src1_sel:WORD_0
	v_and_b32_e32 v12, s63, v12
	v_lshl_or_b32 v12, v12, 4, v35
	ds_add_u32 v12, v61
	s_or_b64 exec, exec, s[18:19]
	v_cmp_gt_u32_e32 vcc, s20, v27
	s_and_saveexec_b64 s[18:19], vcc
	s_cbranch_execz .LBB1951_526
.LBB1951_533:                           ;   in Loop: Header=BB1951_510 Depth=2
	v_cmp_gt_i16_e32 vcc, 0, v9
	v_cndmask_b32_e64 v12, v65, 0, vcc
	v_xor_b32_e32 v12, v12, v9
	v_cmp_ne_u16_e32 vcc, s7, v12
	v_cndmask_b32_e32 v12, v65, v12, vcc
	v_lshrrev_b32_sdwa v12, s77, v12 dst_sel:DWORD dst_unused:UNUSED_PAD src0_sel:DWORD src1_sel:WORD_0
	v_and_b32_e32 v12, s63, v12
	v_lshl_or_b32 v12, v12, 4, v35
	ds_add_u32 v12, v61
	s_or_b64 exec, exec, s[18:19]
	v_cmp_gt_u32_e32 vcc, s20, v28
	s_and_saveexec_b64 s[18:19], vcc
	s_cbranch_execz .LBB1951_527
.LBB1951_534:                           ;   in Loop: Header=BB1951_510 Depth=2
	v_cmp_gt_i16_e32 vcc, 0, v8
	v_cndmask_b32_e64 v12, v65, 0, vcc
	v_xor_b32_e32 v12, v12, v8
	v_cmp_ne_u16_e32 vcc, s7, v12
	v_cndmask_b32_e32 v12, v65, v12, vcc
	v_lshrrev_b32_sdwa v12, s77, v12 dst_sel:DWORD dst_unused:UNUSED_PAD src0_sel:DWORD src1_sel:WORD_0
	v_and_b32_e32 v12, s63, v12
	v_lshl_or_b32 v12, v12, 4, v35
	ds_add_u32 v12, v61
	s_or_b64 exec, exec, s[18:19]
	v_cmp_gt_u32_e32 vcc, s20, v31
	s_and_saveexec_b64 s[18:19], vcc
	s_cbranch_execz .LBB1951_528
.LBB1951_535:                           ;   in Loop: Header=BB1951_510 Depth=2
	v_cmp_gt_i16_e32 vcc, 0, v7
	v_cndmask_b32_e64 v12, v65, 0, vcc
	v_xor_b32_e32 v12, v12, v7
	v_cmp_ne_u16_e32 vcc, s7, v12
	v_cndmask_b32_e32 v12, v65, v12, vcc
	v_lshrrev_b32_sdwa v12, s77, v12 dst_sel:DWORD dst_unused:UNUSED_PAD src0_sel:DWORD src1_sel:WORD_0
	v_and_b32_e32 v12, s63, v12
	v_lshl_or_b32 v12, v12, 4, v35
	ds_add_u32 v12, v61
	s_or_b64 exec, exec, s[18:19]
	v_cmp_gt_u32_e32 vcc, s20, v32
	s_and_saveexec_b64 s[18:19], vcc
	s_cbranch_execz .LBB1951_529
.LBB1951_536:                           ;   in Loop: Header=BB1951_510 Depth=2
	v_cmp_gt_i16_e32 vcc, 0, v6
	v_cndmask_b32_e64 v12, v65, 0, vcc
	v_xor_b32_e32 v12, v12, v6
	v_cmp_ne_u16_e32 vcc, s7, v12
	v_cndmask_b32_e32 v12, v65, v12, vcc
	v_lshrrev_b32_sdwa v12, s77, v12 dst_sel:DWORD dst_unused:UNUSED_PAD src0_sel:DWORD src1_sel:WORD_0
	v_and_b32_e32 v12, s63, v12
	v_lshl_or_b32 v12, v12, 4, v35
	ds_add_u32 v12, v61
	s_or_b64 exec, exec, s[18:19]
	v_cmp_gt_u32_e32 vcc, s20, v33
	s_and_saveexec_b64 s[18:19], vcc
	s_cbranch_execz .LBB1951_530
.LBB1951_537:                           ;   in Loop: Header=BB1951_510 Depth=2
	v_cmp_gt_i16_e32 vcc, 0, v5
	v_cndmask_b32_e64 v12, v65, 0, vcc
	v_xor_b32_e32 v12, v12, v5
	v_cmp_ne_u16_e32 vcc, s7, v12
	v_cndmask_b32_e32 v12, v65, v12, vcc
	v_lshrrev_b32_sdwa v12, s77, v12 dst_sel:DWORD dst_unused:UNUSED_PAD src0_sel:DWORD src1_sel:WORD_0
	v_and_b32_e32 v12, s63, v12
	v_lshl_or_b32 v12, v12, 4, v35
	ds_add_u32 v12, v61
	s_or_b64 exec, exec, s[18:19]
	v_cmp_gt_u32_e32 vcc, s20, v34
	s_and_saveexec_b64 s[18:19], vcc
	s_cbranch_execz .LBB1951_509
.LBB1951_538:                           ;   in Loop: Header=BB1951_510 Depth=2
	v_cmp_gt_i16_e32 vcc, 0, v4
	v_cndmask_b32_e64 v12, v65, 0, vcc
	v_xor_b32_e32 v12, v12, v4
	v_cmp_ne_u16_e32 vcc, s7, v12
	v_cndmask_b32_e32 v12, v65, v12, vcc
	v_lshrrev_b32_sdwa v12, s77, v12 dst_sel:DWORD dst_unused:UNUSED_PAD src0_sel:DWORD src1_sel:WORD_0
	v_and_b32_e32 v12, s63, v12
	v_lshl_or_b32 v12, v12, 4, v35
	ds_add_u32 v12, v61
	s_branch .LBB1951_509
.LBB1951_539:                           ;   in Loop: Header=BB1951_510 Depth=2
	global_load_ushort v11, v64, s[18:19]
	s_or_b64 exec, exec, s[20:21]
	v_cmp_gt_u32_e32 vcc, s22, v26
	s_and_saveexec_b64 s[20:21], vcc
	s_cbranch_execz .LBB1951_515
.LBB1951_540:                           ;   in Loop: Header=BB1951_510 Depth=2
	global_load_ushort v10, v64, s[18:19] offset:512
	s_or_b64 exec, exec, s[20:21]
	v_cmp_gt_u32_e32 vcc, s22, v27
	s_and_saveexec_b64 s[20:21], vcc
	s_cbranch_execz .LBB1951_516
.LBB1951_541:                           ;   in Loop: Header=BB1951_510 Depth=2
	global_load_ushort v9, v64, s[18:19] offset:1024
	s_or_b64 exec, exec, s[20:21]
	v_cmp_gt_u32_e32 vcc, s22, v28
	s_and_saveexec_b64 s[20:21], vcc
	s_cbranch_execz .LBB1951_517
.LBB1951_542:                           ;   in Loop: Header=BB1951_510 Depth=2
	global_load_ushort v8, v64, s[18:19] offset:1536
	s_or_b64 exec, exec, s[20:21]
	v_cmp_gt_u32_e32 vcc, s22, v31
	s_and_saveexec_b64 s[20:21], vcc
	s_cbranch_execz .LBB1951_518
.LBB1951_543:                           ;   in Loop: Header=BB1951_510 Depth=2
	global_load_ushort v7, v64, s[18:19] offset:2048
	s_or_b64 exec, exec, s[20:21]
	v_cmp_gt_u32_e32 vcc, s22, v32
	s_and_saveexec_b64 s[20:21], vcc
	s_cbranch_execz .LBB1951_519
.LBB1951_544:                           ;   in Loop: Header=BB1951_510 Depth=2
	global_load_ushort v6, v64, s[18:19] offset:2560
	s_or_b64 exec, exec, s[20:21]
	v_cmp_gt_u32_e32 vcc, s22, v33
	s_and_saveexec_b64 s[20:21], vcc
	s_cbranch_execz .LBB1951_520
.LBB1951_545:                           ;   in Loop: Header=BB1951_510 Depth=2
	global_load_ushort v5, v64, s[18:19] offset:3072
	s_or_b64 exec, exec, s[20:21]
	v_cmp_gt_u32_e32 vcc, s22, v34
	s_and_saveexec_b64 s[20:21], vcc
	s_cbranch_execnz .LBB1951_521
	s_branch .LBB1951_522
.LBB1951_546:                           ;   in Loop: Header=BB1951_12 Depth=1
	v_mov_b32_e32 v4, 0
	s_waitcnt lgkmcnt(0)
	s_barrier
	s_and_saveexec_b64 s[18:19], s[4:5]
	s_cbranch_execz .LBB1951_548
; %bb.547:                              ;   in Loop: Header=BB1951_12 Depth=1
	ds_read2_b64 v[4:7], v36 offset1:1
	s_waitcnt lgkmcnt(0)
	v_add_u32_e32 v4, v5, v4
	v_add3_u32 v4, v4, v6, v7
.LBB1951_548:                           ;   in Loop: Header=BB1951_12 Depth=1
	s_or_b64 exec, exec, s[18:19]
	s_nop 0
	v_mov_b32_dpp v5, v4 row_shr:1 row_mask:0xf bank_mask:0xf
	v_cmp_eq_u32_e64 s[18:19], 0, v67
	v_cndmask_b32_e64 v5, v5, 0, s[18:19]
	v_add_u32_e32 v4, v5, v4
	v_cmp_lt_u32_e64 s[20:21], 1, v67
	v_cmp_lt_u32_e64 s[22:23], 3, v67
	v_mov_b32_dpp v5, v4 row_shr:2 row_mask:0xf bank_mask:0xf
	v_cndmask_b32_e64 v5, 0, v5, s[20:21]
	v_add_u32_e32 v4, v4, v5
	v_cmp_lt_u32_e64 s[24:25], 7, v67
	v_cmp_lt_u32_e64 s[28:29], 31, v66
	v_mov_b32_dpp v5, v4 row_shr:4 row_mask:0xf bank_mask:0xf
	v_cndmask_b32_e64 v5, 0, v5, s[22:23]
	v_add_u32_e32 v4, v4, v5
	v_cmp_eq_u32_e64 s[26:27], 0, v69
	s_nop 0
	v_mov_b32_dpp v5, v4 row_shr:8 row_mask:0xf bank_mask:0xf
	v_cndmask_b32_e64 v5, 0, v5, s[24:25]
	v_add_u32_e32 v4, v4, v5
	s_nop 1
	v_mov_b32_dpp v5, v4 row_bcast:15 row_mask:0xf bank_mask:0xf
	v_and_b32_e32 v5, v68, v5
	v_add_u32_e32 v4, v4, v5
	s_nop 1
	v_mov_b32_dpp v5, v4 row_bcast:31 row_mask:0xf bank_mask:0xf
	v_cndmask_b32_e64 v5, 0, v5, s[28:29]
	v_add_u32_e32 v4, v4, v5
	s_and_saveexec_b64 s[30:31], s[8:9]
; %bb.549:                              ;   in Loop: Header=BB1951_12 Depth=1
	ds_write_b32 v38, v4
; %bb.550:                              ;   in Loop: Header=BB1951_12 Depth=1
	s_or_b64 exec, exec, s[30:31]
	s_waitcnt lgkmcnt(0)
	s_barrier
	s_and_saveexec_b64 s[30:31], s[10:11]
	s_cbranch_execz .LBB1951_552
; %bb.551:                              ;   in Loop: Header=BB1951_12 Depth=1
	ds_read_b32 v5, v39
	v_cmp_ne_u32_e32 vcc, 0, v70
	s_waitcnt lgkmcnt(0)
	v_mov_b32_dpp v6, v5 row_shr:1 row_mask:0xf bank_mask:0xf
	v_cndmask_b32_e32 v6, 0, v6, vcc
	v_add_u32_e32 v5, v6, v5
	v_cmp_lt_u32_e32 vcc, 1, v70
	s_nop 0
	v_mov_b32_dpp v6, v5 row_shr:2 row_mask:0xf bank_mask:0xf
	v_cndmask_b32_e32 v6, 0, v6, vcc
	v_add_u32_e32 v5, v5, v6
	ds_write_b32 v39, v5
.LBB1951_552:                           ;   in Loop: Header=BB1951_12 Depth=1
	s_or_b64 exec, exec, s[30:31]
	v_mov_b32_e32 v5, 0
	s_waitcnt lgkmcnt(0)
	s_barrier
	s_and_saveexec_b64 s[30:31], s[12:13]
; %bb.553:                              ;   in Loop: Header=BB1951_12 Depth=1
	ds_read_b32 v5, v40
; %bb.554:                              ;   in Loop: Header=BB1951_12 Depth=1
	s_or_b64 exec, exec, s[30:31]
	v_subrev_co_u32_e64 v6, s[30:31], 1, v66
	v_cmp_lt_i32_e32 vcc, v6, v71
	v_cndmask_b32_e32 v6, v6, v66, vcc
	s_waitcnt lgkmcnt(0)
	v_add_u32_e32 v4, v5, v4
	v_lshlrev_b32_e32 v82, 2, v6
	ds_bpermute_b32 v4, v82, v4
	s_waitcnt lgkmcnt(0)
	s_barrier
	s_and_saveexec_b64 s[34:35], s[4:5]
; %bb.555:                              ;   in Loop: Header=BB1951_12 Depth=1
	v_cndmask_b32_e64 v4, v4, v5, s[30:31]
	v_add_u32_e32 v4, s80, v4
	ds_write_b32 v25, v4
; %bb.556:                              ;   in Loop: Header=BB1951_12 Depth=1
	s_or_b64 exec, exec, s[34:35]
	s_load_dwordx2 s[34:35], s[56:57], 0x0
	v_add_co_u32_e32 v83, vcc, v57, v72
	v_addc_co_u32_e32 v84, vcc, 0, v58, vcc
	s_waitcnt lgkmcnt(0)
	s_cmp_lt_u32 s33, s35
	s_cselect_b32 s35, 14, 20
	s_add_u32 s36, s56, s35
	s_addc_u32 s37, s57, 0
	s_cmp_lt_u32 s6, s34
	s_cselect_b32 s34, 12, 18
	s_add_u32 s34, s56, s34
	global_load_ushort v4, v3, s[36:37]
	s_addc_u32 s35, s57, 0
	global_load_ushort v5, v3, s[34:35]
	v_add_co_u32_e32 v85, vcc, v59, v81
	v_cmp_eq_u32_e64 s[34:35], 0, v70
	v_cmp_lt_u32_e64 s[36:37], 1, v70
	v_addc_co_u32_e32 v86, vcc, 0, v60, vcc
	s_mov_b32 s70, s79
	s_mov_b32 s58, s80
                                        ; implicit-def: $vgpr7_vgpr8
                                        ; implicit-def: $vgpr9_vgpr10
                                        ; implicit-def: $vgpr11_vgpr12
                                        ; implicit-def: $vgpr13_vgpr14
                                        ; implicit-def: $vgpr15_vgpr16
                                        ; implicit-def: $vgpr17_vgpr18
                                        ; implicit-def: $vgpr19_vgpr20
                                        ; implicit-def: $vgpr87
                                        ; implicit-def: $vgpr88
                                        ; implicit-def: $vgpr89
                                        ; implicit-def: $vgpr90
                                        ; implicit-def: $vgpr92
                                        ; implicit-def: $vgpr93
                                        ; implicit-def: $vgpr94
                                        ; implicit-def: $vgpr95
	s_waitcnt vmcnt(1)
	v_mad_u32_u24 v4, v2, v4, v1
	s_waitcnt vmcnt(0)
	v_mad_u64_u32 v[4:5], s[38:39], v4, v5, v[0:1]
                                        ; implicit-def: $vgpr5_vgpr6
	v_lshrrev_b32_e32 v4, 4, v4
	v_and_b32_e32 v91, 0xffffffc, v4
	s_branch .LBB1951_558
.LBB1951_557:                           ;   in Loop: Header=BB1951_558 Depth=2
	s_or_b64 exec, exec, s[38:39]
	s_addk_i32 s70, 0xf800
	s_cmp_lt_u32 s71, s81
	s_mov_b32 s58, s71
	s_cbranch_scc0 .LBB1951_10
.LBB1951_558:                           ;   Parent Loop BB1951_12 Depth=1
                                        ; =>  This Inner Loop Header: Depth=2
	s_add_i32 s71, s58, 0x800
	s_cmp_gt_u32 s71, s81
	s_cbranch_scc1 .LBB1951_560
; %bb.559:                              ;   in Loop: Header=BB1951_558 Depth=2
	s_lshl_b64 s[38:39], s[58:59], 1
	v_mov_b32_e32 v4, s39
	v_add_co_u32_e32 v21, vcc, s38, v85
	v_addc_co_u32_e32 v22, vcc, v86, v4, vcc
	global_load_ushort v4, v[21:22], off
	global_load_ushort v99, v[21:22], off offset:128
	global_load_ushort v103, v[21:22], off offset:256
	global_load_ushort v107, v[21:22], off offset:384
	global_load_ushort v112, v[21:22], off offset:512
	global_load_ushort v108, v[21:22], off offset:640
	global_load_ushort v24, v[21:22], off offset:768
	s_mov_b64 s[38:39], -1
	s_movk_i32 s42, 0x800
	s_cbranch_execz .LBB1951_561
	s_branch .LBB1951_576
.LBB1951_560:                           ;   in Loop: Header=BB1951_558 Depth=2
	s_mov_b64 s[38:39], 0
                                        ; implicit-def: $vgpr4
                                        ; implicit-def: $vgpr99
                                        ; implicit-def: $vgpr103
                                        ; implicit-def: $vgpr107
                                        ; implicit-def: $vgpr112
                                        ; implicit-def: $vgpr108
                                        ; implicit-def: $vgpr24
	s_movk_i32 s42, 0x800
.LBB1951_561:                           ;   in Loop: Header=BB1951_558 Depth=2
	s_lshl_b64 s[38:39], s[58:59], 1
	s_waitcnt vmcnt(6)
	v_mov_b32_e32 v4, s39
	v_add_co_u32_e32 v21, vcc, s38, v85
	v_addc_co_u32_e32 v22, vcc, v86, v4, vcc
	v_cmp_gt_u32_e32 vcc, s70, v73
	s_waitcnt vmcnt(5)
	v_mov_b32_e32 v99, -1
	v_mov_b32_e32 v4, -1
	s_and_saveexec_b64 s[38:39], vcc
	s_cbranch_execz .LBB1951_563
; %bb.562:                              ;   in Loop: Header=BB1951_558 Depth=2
	global_load_ushort v4, v[21:22], off
.LBB1951_563:                           ;   in Loop: Header=BB1951_558 Depth=2
	s_or_b64 exec, exec, s[38:39]
	v_cmp_gt_u32_e32 vcc, s70, v74
	s_and_saveexec_b64 s[38:39], vcc
	s_cbranch_execz .LBB1951_565
; %bb.564:                              ;   in Loop: Header=BB1951_558 Depth=2
	global_load_ushort v99, v[21:22], off offset:128
.LBB1951_565:                           ;   in Loop: Header=BB1951_558 Depth=2
	s_or_b64 exec, exec, s[38:39]
	v_cmp_gt_u32_e32 vcc, s70, v75
	s_waitcnt vmcnt(3)
	v_mov_b32_e32 v107, -1
	v_mov_b32_e32 v103, -1
	s_and_saveexec_b64 s[38:39], vcc
	s_cbranch_execz .LBB1951_567
; %bb.566:                              ;   in Loop: Header=BB1951_558 Depth=2
	global_load_ushort v103, v[21:22], off offset:256
.LBB1951_567:                           ;   in Loop: Header=BB1951_558 Depth=2
	s_or_b64 exec, exec, s[38:39]
	v_cmp_gt_u32_e32 vcc, s70, v76
	s_and_saveexec_b64 s[38:39], vcc
	s_cbranch_execz .LBB1951_569
; %bb.568:                              ;   in Loop: Header=BB1951_558 Depth=2
	global_load_ushort v107, v[21:22], off offset:384
.LBB1951_569:                           ;   in Loop: Header=BB1951_558 Depth=2
	s_or_b64 exec, exec, s[38:39]
	v_cmp_gt_u32_e32 vcc, s70, v77
	s_waitcnt vmcnt(1)
	v_mov_b32_e32 v108, -1
	v_mov_b32_e32 v112, -1
	s_and_saveexec_b64 s[38:39], vcc
	s_cbranch_execz .LBB1951_571
; %bb.570:                              ;   in Loop: Header=BB1951_558 Depth=2
	global_load_ushort v112, v[21:22], off offset:512
.LBB1951_571:                           ;   in Loop: Header=BB1951_558 Depth=2
	s_or_b64 exec, exec, s[38:39]
	v_cmp_gt_u32_e32 vcc, s70, v78
	s_and_saveexec_b64 s[38:39], vcc
	s_cbranch_execz .LBB1951_573
; %bb.572:                              ;   in Loop: Header=BB1951_558 Depth=2
	global_load_ushort v108, v[21:22], off offset:640
.LBB1951_573:                           ;   in Loop: Header=BB1951_558 Depth=2
	s_or_b64 exec, exec, s[38:39]
	v_cmp_gt_u32_e32 vcc, s70, v79
	s_waitcnt vmcnt(0)
	v_mov_b32_e32 v24, -1
	s_and_saveexec_b64 s[38:39], vcc
	s_cbranch_execz .LBB1951_575
; %bb.574:                              ;   in Loop: Header=BB1951_558 Depth=2
	global_load_ushort v24, v[21:22], off offset:768
.LBB1951_575:                           ;   in Loop: Header=BB1951_558 Depth=2
	s_or_b64 exec, exec, s[38:39]
	s_sub_i32 s42, s81, s58
	v_cmp_gt_u32_e64 s[38:39], s70, v80
.LBB1951_576:                           ;   in Loop: Header=BB1951_558 Depth=2
	v_mov_b32_e32 v23, -1
	v_mov_b32_e32 v96, s70
	s_and_saveexec_b64 s[40:41], s[38:39]
	s_cbranch_execz .LBB1951_578
; %bb.577:                              ;   in Loop: Header=BB1951_558 Depth=2
	s_lshl_b64 s[38:39], s[58:59], 1
	v_mov_b32_e32 v22, s39
	v_add_co_u32_e32 v21, vcc, s38, v85
	v_addc_co_u32_e32 v22, vcc, v86, v22, vcc
	global_load_ushort v23, v[21:22], off offset:896
	v_mov_b32_e32 v96, s42
.LBB1951_578:                           ;   in Loop: Header=BB1951_558 Depth=2
	s_or_b64 exec, exec, s[40:41]
	s_waitcnt vmcnt(6)
	v_cmp_gt_i16_e32 vcc, 0, v4
	v_cndmask_b32_e64 v21, v65, 0, vcc
	v_xor_b32_e32 v97, v21, v4
	v_cmp_ne_u16_e32 vcc, s7, v97
	v_cndmask_b32_e32 v4, v65, v97, vcc
	v_lshrrev_b32_sdwa v4, s77, v4 dst_sel:DWORD dst_unused:UNUSED_PAD src0_sel:DWORD src1_sel:WORD_0
	v_and_b32_e32 v21, s63, v4
	v_and_b32_e32 v4, 1, v21
	v_add_co_u32_e32 v22, vcc, -1, v4
	v_addc_co_u32_e64 v98, s[38:39], 0, -1, vcc
	v_cmp_ne_u32_e32 vcc, 0, v4
	v_xor_b32_e32 v4, vcc_hi, v98
	v_and_b32_e32 v98, exec_hi, v4
	v_lshlrev_b32_e32 v4, 30, v21
	v_xor_b32_e32 v22, vcc_lo, v22
	v_cmp_gt_i64_e32 vcc, 0, v[3:4]
	v_not_b32_e32 v4, v4
	v_ashrrev_i32_e32 v4, 31, v4
	v_and_b32_e32 v22, exec_lo, v22
	v_xor_b32_e32 v101, vcc_hi, v4
	v_xor_b32_e32 v4, vcc_lo, v4
	v_and_b32_e32 v22, v22, v4
	v_lshlrev_b32_e32 v4, 29, v21
	v_cmp_gt_i64_e32 vcc, 0, v[3:4]
	v_not_b32_e32 v4, v4
	v_ashrrev_i32_e32 v4, 31, v4
	v_and_b32_e32 v98, v98, v101
	v_xor_b32_e32 v101, vcc_hi, v4
	v_xor_b32_e32 v4, vcc_lo, v4
	v_and_b32_e32 v22, v22, v4
	v_lshlrev_b32_e32 v4, 28, v21
	v_cmp_gt_i64_e32 vcc, 0, v[3:4]
	v_not_b32_e32 v4, v4
	v_ashrrev_i32_e32 v4, 31, v4
	v_and_b32_e32 v98, v98, v101
	v_xor_b32_e32 v101, vcc_hi, v4
	v_xor_b32_e32 v4, vcc_lo, v4
	v_and_b32_e32 v22, v22, v4
	v_lshlrev_b32_e32 v4, 27, v21
	v_cmp_gt_i64_e32 vcc, 0, v[3:4]
	v_not_b32_e32 v4, v4
	v_ashrrev_i32_e32 v4, 31, v4
	v_and_b32_e32 v98, v98, v101
	v_xor_b32_e32 v101, vcc_hi, v4
	v_xor_b32_e32 v4, vcc_lo, v4
	v_and_b32_e32 v22, v22, v4
	v_lshlrev_b32_e32 v4, 26, v21
	v_cmp_gt_i64_e32 vcc, 0, v[3:4]
	v_not_b32_e32 v4, v4
	v_ashrrev_i32_e32 v4, 31, v4
	v_and_b32_e32 v98, v98, v101
	v_xor_b32_e32 v101, vcc_hi, v4
	v_xor_b32_e32 v4, vcc_lo, v4
	v_and_b32_e32 v22, v22, v4
	v_lshlrev_b32_e32 v4, 25, v21
	v_cmp_gt_i64_e32 vcc, 0, v[3:4]
	v_not_b32_e32 v4, v4
	v_ashrrev_i32_e32 v4, 31, v4
	v_and_b32_e32 v98, v98, v101
	v_xor_b32_e32 v101, vcc_hi, v4
	v_xor_b32_e32 v4, vcc_lo, v4
	v_and_b32_e32 v98, v98, v101
	v_and_b32_e32 v101, v22, v4
	v_lshlrev_b32_e32 v4, 24, v21
	v_cmp_gt_i64_e32 vcc, 0, v[3:4]
	v_not_b32_e32 v4, v4
	v_ashrrev_i32_e32 v4, 31, v4
	v_mul_u32_u24_e32 v100, 20, v21
	v_xor_b32_e32 v21, vcc_hi, v4
	v_xor_b32_e32 v4, vcc_lo, v4
	v_and_b32_e32 v22, v98, v21
	v_and_b32_e32 v21, v101, v4
	v_mbcnt_lo_u32_b32 v4, v21, 0
	v_mbcnt_hi_u32_b32 v98, v22, v4
	v_cmp_ne_u64_e32 vcc, 0, v[21:22]
	v_cmp_eq_u32_e64 s[38:39], 0, v98
	s_and_b64 s[40:41], vcc, s[38:39]
	v_add_u32_e32 v101, v91, v100
	ds_write2_b32 v62, v3, v3 offset1:1
	ds_write2_b32 v63, v3, v3 offset1:1
	ds_write_b32 v41, v3 offset:1056
	s_waitcnt vmcnt(0) lgkmcnt(0)
	s_barrier
	; wave barrier
	s_and_saveexec_b64 s[38:39], s[40:41]
; %bb.579:                              ;   in Loop: Header=BB1951_558 Depth=2
	v_bcnt_u32_b32 v4, v21, 0
	v_bcnt_u32_b32 v4, v22, v4
	ds_write_b32 v101, v4 offset:1040
; %bb.580:                              ;   in Loop: Header=BB1951_558 Depth=2
	s_or_b64 exec, exec, s[38:39]
	v_cmp_gt_i16_e32 vcc, 0, v99
	v_cndmask_b32_e64 v4, v65, 0, vcc
	v_xor_b32_e32 v99, v4, v99
	v_cmp_ne_u16_e32 vcc, s7, v99
	v_cndmask_b32_e32 v4, v65, v99, vcc
	v_lshrrev_b32_sdwa v4, s77, v4 dst_sel:DWORD dst_unused:UNUSED_PAD src0_sel:DWORD src1_sel:WORD_0
	v_and_b32_e32 v21, s63, v4
	v_mad_u32_u24 v4, v21, 20, v91
	; wave barrier
	ds_read_b32 v100, v4 offset:1040
	v_and_b32_e32 v4, 1, v21
	v_add_co_u32_e32 v22, vcc, -1, v4
	v_addc_co_u32_e64 v102, s[38:39], 0, -1, vcc
	v_cmp_ne_u32_e32 vcc, 0, v4
	v_xor_b32_e32 v4, vcc_hi, v102
	v_and_b32_e32 v102, exec_hi, v4
	v_lshlrev_b32_e32 v4, 30, v21
	v_xor_b32_e32 v22, vcc_lo, v22
	v_cmp_gt_i64_e32 vcc, 0, v[3:4]
	v_not_b32_e32 v4, v4
	v_ashrrev_i32_e32 v4, 31, v4
	v_and_b32_e32 v22, exec_lo, v22
	v_xor_b32_e32 v105, vcc_hi, v4
	v_xor_b32_e32 v4, vcc_lo, v4
	v_and_b32_e32 v22, v22, v4
	v_lshlrev_b32_e32 v4, 29, v21
	v_cmp_gt_i64_e32 vcc, 0, v[3:4]
	v_not_b32_e32 v4, v4
	v_ashrrev_i32_e32 v4, 31, v4
	v_and_b32_e32 v102, v102, v105
	v_xor_b32_e32 v105, vcc_hi, v4
	v_xor_b32_e32 v4, vcc_lo, v4
	v_and_b32_e32 v22, v22, v4
	v_lshlrev_b32_e32 v4, 28, v21
	v_cmp_gt_i64_e32 vcc, 0, v[3:4]
	v_not_b32_e32 v4, v4
	v_ashrrev_i32_e32 v4, 31, v4
	v_and_b32_e32 v102, v102, v105
	;; [unrolled: 8-line block ×5, first 2 shown]
	v_xor_b32_e32 v105, vcc_hi, v4
	v_xor_b32_e32 v4, vcc_lo, v4
	v_and_b32_e32 v102, v102, v105
	v_and_b32_e32 v105, v22, v4
	v_lshlrev_b32_e32 v4, 24, v21
	v_cmp_gt_i64_e32 vcc, 0, v[3:4]
	v_not_b32_e32 v4, v4
	v_ashrrev_i32_e32 v4, 31, v4
	v_mul_u32_u24_e32 v104, 20, v21
	v_xor_b32_e32 v21, vcc_hi, v4
	v_xor_b32_e32 v4, vcc_lo, v4
	v_and_b32_e32 v22, v102, v21
	v_and_b32_e32 v21, v105, v4
	v_mbcnt_lo_u32_b32 v4, v21, 0
	v_mbcnt_hi_u32_b32 v102, v22, v4
	v_cmp_ne_u64_e32 vcc, 0, v[21:22]
	v_cmp_eq_u32_e64 s[38:39], 0, v102
	s_and_b64 s[40:41], vcc, s[38:39]
	v_add_u32_e32 v105, v91, v104
	; wave barrier
	s_and_saveexec_b64 s[38:39], s[40:41]
	s_cbranch_execz .LBB1951_582
; %bb.581:                              ;   in Loop: Header=BB1951_558 Depth=2
	v_bcnt_u32_b32 v4, v21, 0
	v_bcnt_u32_b32 v4, v22, v4
	s_waitcnt lgkmcnt(0)
	v_add_u32_e32 v4, v100, v4
	ds_write_b32 v105, v4 offset:1040
.LBB1951_582:                           ;   in Loop: Header=BB1951_558 Depth=2
	s_or_b64 exec, exec, s[38:39]
	v_cmp_gt_i16_e32 vcc, 0, v103
	v_cndmask_b32_e64 v4, v65, 0, vcc
	v_xor_b32_e32 v103, v4, v103
	v_cmp_ne_u16_e32 vcc, s7, v103
	v_cndmask_b32_e32 v4, v65, v103, vcc
	v_lshrrev_b32_sdwa v4, s77, v4 dst_sel:DWORD dst_unused:UNUSED_PAD src0_sel:DWORD src1_sel:WORD_0
	v_and_b32_e32 v21, s63, v4
	v_mad_u32_u24 v4, v21, 20, v91
	; wave barrier
	ds_read_b32 v104, v4 offset:1040
	v_and_b32_e32 v4, 1, v21
	v_add_co_u32_e32 v22, vcc, -1, v4
	v_addc_co_u32_e64 v106, s[38:39], 0, -1, vcc
	v_cmp_ne_u32_e32 vcc, 0, v4
	v_xor_b32_e32 v4, vcc_hi, v106
	v_and_b32_e32 v106, exec_hi, v4
	v_lshlrev_b32_e32 v4, 30, v21
	v_xor_b32_e32 v22, vcc_lo, v22
	v_cmp_gt_i64_e32 vcc, 0, v[3:4]
	v_not_b32_e32 v4, v4
	v_ashrrev_i32_e32 v4, 31, v4
	v_and_b32_e32 v22, exec_lo, v22
	v_xor_b32_e32 v110, vcc_hi, v4
	v_xor_b32_e32 v4, vcc_lo, v4
	v_and_b32_e32 v22, v22, v4
	v_lshlrev_b32_e32 v4, 29, v21
	v_cmp_gt_i64_e32 vcc, 0, v[3:4]
	v_not_b32_e32 v4, v4
	v_ashrrev_i32_e32 v4, 31, v4
	v_and_b32_e32 v106, v106, v110
	v_xor_b32_e32 v110, vcc_hi, v4
	v_xor_b32_e32 v4, vcc_lo, v4
	v_and_b32_e32 v22, v22, v4
	v_lshlrev_b32_e32 v4, 28, v21
	v_cmp_gt_i64_e32 vcc, 0, v[3:4]
	v_not_b32_e32 v4, v4
	v_ashrrev_i32_e32 v4, 31, v4
	v_and_b32_e32 v106, v106, v110
	;; [unrolled: 8-line block ×5, first 2 shown]
	v_xor_b32_e32 v110, vcc_hi, v4
	v_xor_b32_e32 v4, vcc_lo, v4
	v_and_b32_e32 v106, v106, v110
	v_and_b32_e32 v110, v22, v4
	v_lshlrev_b32_e32 v4, 24, v21
	v_cmp_gt_i64_e32 vcc, 0, v[3:4]
	v_not_b32_e32 v4, v4
	v_ashrrev_i32_e32 v4, 31, v4
	v_mul_u32_u24_e32 v109, 20, v21
	v_xor_b32_e32 v21, vcc_hi, v4
	v_xor_b32_e32 v4, vcc_lo, v4
	v_and_b32_e32 v22, v106, v21
	v_and_b32_e32 v21, v110, v4
	v_mbcnt_lo_u32_b32 v4, v21, 0
	v_mbcnt_hi_u32_b32 v106, v22, v4
	v_cmp_ne_u64_e32 vcc, 0, v[21:22]
	v_cmp_eq_u32_e64 s[38:39], 0, v106
	s_and_b64 s[40:41], vcc, s[38:39]
	v_add_u32_e32 v110, v91, v109
	; wave barrier
	s_and_saveexec_b64 s[38:39], s[40:41]
	s_cbranch_execz .LBB1951_584
; %bb.583:                              ;   in Loop: Header=BB1951_558 Depth=2
	v_bcnt_u32_b32 v4, v21, 0
	v_bcnt_u32_b32 v4, v22, v4
	s_waitcnt lgkmcnt(0)
	v_add_u32_e32 v4, v104, v4
	ds_write_b32 v110, v4 offset:1040
.LBB1951_584:                           ;   in Loop: Header=BB1951_558 Depth=2
	s_or_b64 exec, exec, s[38:39]
	v_cmp_gt_i16_e32 vcc, 0, v107
	v_cndmask_b32_e64 v4, v65, 0, vcc
	v_xor_b32_e32 v107, v4, v107
	v_cmp_ne_u16_e32 vcc, s7, v107
	v_cndmask_b32_e32 v4, v65, v107, vcc
	v_lshrrev_b32_sdwa v4, s77, v4 dst_sel:DWORD dst_unused:UNUSED_PAD src0_sel:DWORD src1_sel:WORD_0
	v_and_b32_e32 v21, s63, v4
	v_mad_u32_u24 v4, v21, 20, v91
	; wave barrier
	ds_read_b32 v109, v4 offset:1040
	v_and_b32_e32 v4, 1, v21
	v_add_co_u32_e32 v22, vcc, -1, v4
	v_addc_co_u32_e64 v111, s[38:39], 0, -1, vcc
	v_cmp_ne_u32_e32 vcc, 0, v4
	v_xor_b32_e32 v4, vcc_hi, v111
	v_and_b32_e32 v111, exec_hi, v4
	v_lshlrev_b32_e32 v4, 30, v21
	v_xor_b32_e32 v22, vcc_lo, v22
	v_cmp_gt_i64_e32 vcc, 0, v[3:4]
	v_not_b32_e32 v4, v4
	v_ashrrev_i32_e32 v4, 31, v4
	v_and_b32_e32 v22, exec_lo, v22
	v_xor_b32_e32 v114, vcc_hi, v4
	v_xor_b32_e32 v4, vcc_lo, v4
	v_and_b32_e32 v22, v22, v4
	v_lshlrev_b32_e32 v4, 29, v21
	v_cmp_gt_i64_e32 vcc, 0, v[3:4]
	v_not_b32_e32 v4, v4
	v_ashrrev_i32_e32 v4, 31, v4
	v_and_b32_e32 v111, v111, v114
	v_xor_b32_e32 v114, vcc_hi, v4
	v_xor_b32_e32 v4, vcc_lo, v4
	v_and_b32_e32 v22, v22, v4
	v_lshlrev_b32_e32 v4, 28, v21
	v_cmp_gt_i64_e32 vcc, 0, v[3:4]
	v_not_b32_e32 v4, v4
	v_ashrrev_i32_e32 v4, 31, v4
	v_and_b32_e32 v111, v111, v114
	;; [unrolled: 8-line block ×5, first 2 shown]
	v_xor_b32_e32 v114, vcc_hi, v4
	v_xor_b32_e32 v4, vcc_lo, v4
	v_and_b32_e32 v111, v111, v114
	v_and_b32_e32 v114, v22, v4
	v_lshlrev_b32_e32 v4, 24, v21
	v_cmp_gt_i64_e32 vcc, 0, v[3:4]
	v_not_b32_e32 v4, v4
	v_ashrrev_i32_e32 v4, 31, v4
	v_mul_u32_u24_e32 v113, 20, v21
	v_xor_b32_e32 v21, vcc_hi, v4
	v_xor_b32_e32 v4, vcc_lo, v4
	v_and_b32_e32 v22, v111, v21
	v_and_b32_e32 v21, v114, v4
	v_mbcnt_lo_u32_b32 v4, v21, 0
	v_mbcnt_hi_u32_b32 v111, v22, v4
	v_cmp_ne_u64_e32 vcc, 0, v[21:22]
	v_cmp_eq_u32_e64 s[38:39], 0, v111
	s_and_b64 s[40:41], vcc, s[38:39]
	v_add_u32_e32 v114, v91, v113
	; wave barrier
	s_and_saveexec_b64 s[38:39], s[40:41]
	s_cbranch_execz .LBB1951_586
; %bb.585:                              ;   in Loop: Header=BB1951_558 Depth=2
	v_bcnt_u32_b32 v4, v21, 0
	v_bcnt_u32_b32 v4, v22, v4
	s_waitcnt lgkmcnt(0)
	v_add_u32_e32 v4, v109, v4
	ds_write_b32 v114, v4 offset:1040
.LBB1951_586:                           ;   in Loop: Header=BB1951_558 Depth=2
	s_or_b64 exec, exec, s[38:39]
	v_cmp_gt_i16_e32 vcc, 0, v112
	v_cndmask_b32_e64 v4, v65, 0, vcc
	v_xor_b32_e32 v112, v4, v112
	v_cmp_ne_u16_e32 vcc, s7, v112
	v_cndmask_b32_e32 v4, v65, v112, vcc
	v_lshrrev_b32_sdwa v4, s77, v4 dst_sel:DWORD dst_unused:UNUSED_PAD src0_sel:DWORD src1_sel:WORD_0
	v_and_b32_e32 v21, s63, v4
	v_mad_u32_u24 v4, v21, 20, v91
	; wave barrier
	ds_read_b32 v113, v4 offset:1040
	v_and_b32_e32 v4, 1, v21
	v_add_co_u32_e32 v22, vcc, -1, v4
	v_addc_co_u32_e64 v115, s[38:39], 0, -1, vcc
	v_cmp_ne_u32_e32 vcc, 0, v4
	v_xor_b32_e32 v4, vcc_hi, v115
	v_and_b32_e32 v115, exec_hi, v4
	v_lshlrev_b32_e32 v4, 30, v21
	v_xor_b32_e32 v22, vcc_lo, v22
	v_cmp_gt_i64_e32 vcc, 0, v[3:4]
	v_not_b32_e32 v4, v4
	v_ashrrev_i32_e32 v4, 31, v4
	v_and_b32_e32 v22, exec_lo, v22
	v_xor_b32_e32 v117, vcc_hi, v4
	v_xor_b32_e32 v4, vcc_lo, v4
	v_and_b32_e32 v22, v22, v4
	v_lshlrev_b32_e32 v4, 29, v21
	v_cmp_gt_i64_e32 vcc, 0, v[3:4]
	v_not_b32_e32 v4, v4
	v_ashrrev_i32_e32 v4, 31, v4
	v_and_b32_e32 v115, v115, v117
	v_xor_b32_e32 v117, vcc_hi, v4
	v_xor_b32_e32 v4, vcc_lo, v4
	v_and_b32_e32 v22, v22, v4
	v_lshlrev_b32_e32 v4, 28, v21
	v_cmp_gt_i64_e32 vcc, 0, v[3:4]
	v_not_b32_e32 v4, v4
	v_ashrrev_i32_e32 v4, 31, v4
	v_and_b32_e32 v115, v115, v117
	;; [unrolled: 8-line block ×5, first 2 shown]
	v_xor_b32_e32 v117, vcc_hi, v4
	v_xor_b32_e32 v4, vcc_lo, v4
	v_and_b32_e32 v115, v115, v117
	v_and_b32_e32 v117, v22, v4
	v_lshlrev_b32_e32 v4, 24, v21
	v_cmp_gt_i64_e32 vcc, 0, v[3:4]
	v_not_b32_e32 v4, v4
	v_ashrrev_i32_e32 v4, 31, v4
	v_mul_u32_u24_e32 v116, 20, v21
	v_xor_b32_e32 v21, vcc_hi, v4
	v_xor_b32_e32 v4, vcc_lo, v4
	v_and_b32_e32 v22, v115, v21
	v_and_b32_e32 v21, v117, v4
	v_mbcnt_lo_u32_b32 v4, v21, 0
	v_mbcnt_hi_u32_b32 v115, v22, v4
	v_cmp_ne_u64_e32 vcc, 0, v[21:22]
	v_cmp_eq_u32_e64 s[38:39], 0, v115
	s_and_b64 s[40:41], vcc, s[38:39]
	v_add_u32_e32 v118, v91, v116
	; wave barrier
	s_and_saveexec_b64 s[38:39], s[40:41]
	s_cbranch_execz .LBB1951_588
; %bb.587:                              ;   in Loop: Header=BB1951_558 Depth=2
	v_bcnt_u32_b32 v4, v21, 0
	v_bcnt_u32_b32 v4, v22, v4
	s_waitcnt lgkmcnt(0)
	v_add_u32_e32 v4, v113, v4
	ds_write_b32 v118, v4 offset:1040
.LBB1951_588:                           ;   in Loop: Header=BB1951_558 Depth=2
	s_or_b64 exec, exec, s[38:39]
	v_cmp_gt_i16_e32 vcc, 0, v108
	v_cndmask_b32_e64 v4, v65, 0, vcc
	v_xor_b32_e32 v116, v4, v108
	v_cmp_ne_u16_e32 vcc, s7, v116
	v_cndmask_b32_e32 v4, v65, v116, vcc
	v_lshrrev_b32_sdwa v4, s77, v4 dst_sel:DWORD dst_unused:UNUSED_PAD src0_sel:DWORD src1_sel:WORD_0
	v_and_b32_e32 v21, s63, v4
	v_mad_u32_u24 v4, v21, 20, v91
	; wave barrier
	ds_read_b32 v117, v4 offset:1040
	v_and_b32_e32 v4, 1, v21
	v_add_co_u32_e32 v22, vcc, -1, v4
	v_addc_co_u32_e64 v119, s[38:39], 0, -1, vcc
	v_cmp_ne_u32_e32 vcc, 0, v4
	v_xor_b32_e32 v4, vcc_hi, v119
	v_and_b32_e32 v119, exec_hi, v4
	v_lshlrev_b32_e32 v4, 30, v21
	v_xor_b32_e32 v22, vcc_lo, v22
	v_cmp_gt_i64_e32 vcc, 0, v[3:4]
	v_not_b32_e32 v4, v4
	v_ashrrev_i32_e32 v4, 31, v4
	v_and_b32_e32 v22, exec_lo, v22
	v_xor_b32_e32 v120, vcc_hi, v4
	v_xor_b32_e32 v4, vcc_lo, v4
	v_and_b32_e32 v22, v22, v4
	v_lshlrev_b32_e32 v4, 29, v21
	v_cmp_gt_i64_e32 vcc, 0, v[3:4]
	v_not_b32_e32 v4, v4
	v_ashrrev_i32_e32 v4, 31, v4
	v_and_b32_e32 v119, v119, v120
	v_xor_b32_e32 v120, vcc_hi, v4
	v_xor_b32_e32 v4, vcc_lo, v4
	v_and_b32_e32 v22, v22, v4
	v_lshlrev_b32_e32 v4, 28, v21
	v_cmp_gt_i64_e32 vcc, 0, v[3:4]
	v_not_b32_e32 v4, v4
	v_ashrrev_i32_e32 v4, 31, v4
	v_and_b32_e32 v119, v119, v120
	;; [unrolled: 8-line block ×5, first 2 shown]
	v_xor_b32_e32 v120, vcc_hi, v4
	v_xor_b32_e32 v4, vcc_lo, v4
	v_and_b32_e32 v119, v119, v120
	v_and_b32_e32 v120, v22, v4
	v_lshlrev_b32_e32 v4, 24, v21
	v_cmp_gt_i64_e32 vcc, 0, v[3:4]
	v_not_b32_e32 v4, v4
	v_ashrrev_i32_e32 v4, 31, v4
	v_mul_u32_u24_e32 v108, 20, v21
	v_xor_b32_e32 v21, vcc_hi, v4
	v_xor_b32_e32 v4, vcc_lo, v4
	v_and_b32_e32 v22, v119, v21
	v_and_b32_e32 v21, v120, v4
	v_mbcnt_lo_u32_b32 v4, v21, 0
	v_mbcnt_hi_u32_b32 v119, v22, v4
	v_cmp_ne_u64_e32 vcc, 0, v[21:22]
	v_cmp_eq_u32_e64 s[38:39], 0, v119
	s_and_b64 s[40:41], vcc, s[38:39]
	v_add_u32_e32 v108, v91, v108
	; wave barrier
	s_and_saveexec_b64 s[38:39], s[40:41]
	s_cbranch_execz .LBB1951_590
; %bb.589:                              ;   in Loop: Header=BB1951_558 Depth=2
	v_bcnt_u32_b32 v4, v21, 0
	v_bcnt_u32_b32 v4, v22, v4
	s_waitcnt lgkmcnt(0)
	v_add_u32_e32 v4, v117, v4
	ds_write_b32 v108, v4 offset:1040
.LBB1951_590:                           ;   in Loop: Header=BB1951_558 Depth=2
	s_or_b64 exec, exec, s[38:39]
	v_cmp_gt_i16_e32 vcc, 0, v24
	v_cndmask_b32_e64 v4, v65, 0, vcc
	v_xor_b32_e32 v120, v4, v24
	v_cmp_ne_u16_e32 vcc, s7, v120
	v_cndmask_b32_e32 v4, v65, v120, vcc
	v_lshrrev_b32_sdwa v4, s77, v4 dst_sel:DWORD dst_unused:UNUSED_PAD src0_sel:DWORD src1_sel:WORD_0
	v_and_b32_e32 v21, s63, v4
	v_mad_u32_u24 v4, v21, 20, v91
	; wave barrier
	ds_read_b32 v121, v4 offset:1040
	v_and_b32_e32 v4, 1, v21
	v_add_co_u32_e32 v22, vcc, -1, v4
	v_addc_co_u32_e64 v122, s[38:39], 0, -1, vcc
	v_cmp_ne_u32_e32 vcc, 0, v4
	v_xor_b32_e32 v4, vcc_hi, v122
	v_and_b32_e32 v122, exec_hi, v4
	v_lshlrev_b32_e32 v4, 30, v21
	v_xor_b32_e32 v22, vcc_lo, v22
	v_cmp_gt_i64_e32 vcc, 0, v[3:4]
	v_not_b32_e32 v4, v4
	v_ashrrev_i32_e32 v4, 31, v4
	v_and_b32_e32 v22, exec_lo, v22
	v_xor_b32_e32 v123, vcc_hi, v4
	v_xor_b32_e32 v4, vcc_lo, v4
	v_and_b32_e32 v22, v22, v4
	v_lshlrev_b32_e32 v4, 29, v21
	v_cmp_gt_i64_e32 vcc, 0, v[3:4]
	v_not_b32_e32 v4, v4
	v_ashrrev_i32_e32 v4, 31, v4
	v_and_b32_e32 v122, v122, v123
	v_xor_b32_e32 v123, vcc_hi, v4
	v_xor_b32_e32 v4, vcc_lo, v4
	v_and_b32_e32 v22, v22, v4
	v_lshlrev_b32_e32 v4, 28, v21
	v_cmp_gt_i64_e32 vcc, 0, v[3:4]
	v_not_b32_e32 v4, v4
	v_ashrrev_i32_e32 v4, 31, v4
	v_and_b32_e32 v122, v122, v123
	;; [unrolled: 8-line block ×5, first 2 shown]
	v_xor_b32_e32 v123, vcc_hi, v4
	v_xor_b32_e32 v4, vcc_lo, v4
	v_and_b32_e32 v122, v122, v123
	v_and_b32_e32 v123, v22, v4
	v_lshlrev_b32_e32 v4, 24, v21
	v_cmp_gt_i64_e32 vcc, 0, v[3:4]
	v_not_b32_e32 v4, v4
	v_ashrrev_i32_e32 v4, 31, v4
	v_mul_u32_u24_e32 v24, 20, v21
	v_xor_b32_e32 v21, vcc_hi, v4
	v_xor_b32_e32 v4, vcc_lo, v4
	v_and_b32_e32 v22, v122, v21
	v_and_b32_e32 v21, v123, v4
	v_mbcnt_lo_u32_b32 v4, v21, 0
	v_mbcnt_hi_u32_b32 v122, v22, v4
	v_cmp_ne_u64_e32 vcc, 0, v[21:22]
	v_cmp_eq_u32_e64 s[38:39], 0, v122
	s_and_b64 s[40:41], vcc, s[38:39]
	v_add_u32_e32 v125, v91, v24
	; wave barrier
	s_and_saveexec_b64 s[38:39], s[40:41]
	s_cbranch_execz .LBB1951_592
; %bb.591:                              ;   in Loop: Header=BB1951_558 Depth=2
	v_bcnt_u32_b32 v4, v21, 0
	v_bcnt_u32_b32 v4, v22, v4
	s_waitcnt lgkmcnt(0)
	v_add_u32_e32 v4, v121, v4
	ds_write_b32 v125, v4 offset:1040
.LBB1951_592:                           ;   in Loop: Header=BB1951_558 Depth=2
	s_or_b64 exec, exec, s[38:39]
	v_cmp_gt_i16_e32 vcc, 0, v23
	v_cndmask_b32_e64 v4, v65, 0, vcc
	v_xor_b32_e32 v123, v4, v23
	v_cmp_ne_u16_e32 vcc, s7, v123
	v_cndmask_b32_e32 v4, v65, v123, vcc
	v_lshrrev_b32_sdwa v4, s77, v4 dst_sel:DWORD dst_unused:UNUSED_PAD src0_sel:DWORD src1_sel:WORD_0
	v_and_b32_e32 v21, s63, v4
	v_mad_u32_u24 v4, v21, 20, v91
	; wave barrier
	ds_read_b32 v124, v4 offset:1040
	v_and_b32_e32 v4, 1, v21
	v_add_co_u32_e32 v22, vcc, -1, v4
	v_addc_co_u32_e64 v24, s[38:39], 0, -1, vcc
	v_cmp_ne_u32_e32 vcc, 0, v4
	v_xor_b32_e32 v4, vcc_hi, v24
	v_and_b32_e32 v24, exec_hi, v4
	v_lshlrev_b32_e32 v4, 30, v21
	v_xor_b32_e32 v22, vcc_lo, v22
	v_cmp_gt_i64_e32 vcc, 0, v[3:4]
	v_not_b32_e32 v4, v4
	v_ashrrev_i32_e32 v4, 31, v4
	v_and_b32_e32 v22, exec_lo, v22
	v_xor_b32_e32 v126, vcc_hi, v4
	v_xor_b32_e32 v4, vcc_lo, v4
	v_and_b32_e32 v22, v22, v4
	v_lshlrev_b32_e32 v4, 29, v21
	v_cmp_gt_i64_e32 vcc, 0, v[3:4]
	v_not_b32_e32 v4, v4
	v_ashrrev_i32_e32 v4, 31, v4
	v_and_b32_e32 v24, v24, v126
	v_xor_b32_e32 v126, vcc_hi, v4
	v_xor_b32_e32 v4, vcc_lo, v4
	v_and_b32_e32 v22, v22, v4
	v_lshlrev_b32_e32 v4, 28, v21
	v_cmp_gt_i64_e32 vcc, 0, v[3:4]
	v_not_b32_e32 v4, v4
	v_ashrrev_i32_e32 v4, 31, v4
	v_and_b32_e32 v24, v24, v126
	;; [unrolled: 8-line block ×5, first 2 shown]
	v_xor_b32_e32 v126, vcc_hi, v4
	v_xor_b32_e32 v4, vcc_lo, v4
	v_and_b32_e32 v24, v24, v126
	v_and_b32_e32 v126, v22, v4
	v_lshlrev_b32_e32 v4, 24, v21
	v_cmp_gt_i64_e32 vcc, 0, v[3:4]
	v_not_b32_e32 v4, v4
	v_ashrrev_i32_e32 v4, 31, v4
	v_mul_u32_u24_e32 v23, 20, v21
	v_xor_b32_e32 v21, vcc_hi, v4
	v_xor_b32_e32 v4, vcc_lo, v4
	v_and_b32_e32 v22, v24, v21
	v_and_b32_e32 v21, v126, v4
	v_mbcnt_lo_u32_b32 v4, v21, 0
	v_mbcnt_hi_u32_b32 v126, v22, v4
	v_cmp_ne_u64_e32 vcc, 0, v[21:22]
	v_cmp_eq_u32_e64 s[38:39], 0, v126
	s_and_b64 s[40:41], vcc, s[38:39]
	v_add_u32_e32 v4, v91, v23
	; wave barrier
	s_and_saveexec_b64 s[38:39], s[40:41]
	s_cbranch_execz .LBB1951_594
; %bb.593:                              ;   in Loop: Header=BB1951_558 Depth=2
	v_bcnt_u32_b32 v21, v21, 0
	v_bcnt_u32_b32 v21, v22, v21
	s_waitcnt lgkmcnt(0)
	v_add_u32_e32 v21, v124, v21
	ds_write_b32 v4, v21 offset:1040
.LBB1951_594:                           ;   in Loop: Header=BB1951_558 Depth=2
	s_or_b64 exec, exec, s[38:39]
	; wave barrier
	s_waitcnt lgkmcnt(0)
	s_barrier
	ds_read2_b32 v[23:24], v62 offset1:1
	ds_read2_b32 v[21:22], v63 offset1:1
	ds_read_b32 v127, v41 offset:1056
	s_waitcnt lgkmcnt(1)
	v_add3_u32 v128, v24, v23, v21
	s_waitcnt lgkmcnt(0)
	v_add3_u32 v127, v128, v22, v127
	s_nop 1
	v_mov_b32_dpp v128, v127 row_shr:1 row_mask:0xf bank_mask:0xf
	v_cndmask_b32_e64 v128, v128, 0, s[18:19]
	v_add_u32_e32 v127, v128, v127
	s_nop 1
	v_mov_b32_dpp v128, v127 row_shr:2 row_mask:0xf bank_mask:0xf
	v_cndmask_b32_e64 v128, 0, v128, s[20:21]
	v_add_u32_e32 v127, v127, v128
	;; [unrolled: 4-line block ×4, first 2 shown]
	s_nop 1
	v_mov_b32_dpp v128, v127 row_bcast:15 row_mask:0xf bank_mask:0xf
	v_cndmask_b32_e64 v128, v128, 0, s[26:27]
	v_add_u32_e32 v127, v127, v128
	s_nop 1
	v_mov_b32_dpp v128, v127 row_bcast:31 row_mask:0xf bank_mask:0xf
	v_cndmask_b32_e64 v128, 0, v128, s[28:29]
	v_add_u32_e32 v127, v127, v128
	s_and_saveexec_b64 s[38:39], s[8:9]
; %bb.595:                              ;   in Loop: Header=BB1951_558 Depth=2
	ds_write_b32 v37, v127 offset:1024
; %bb.596:                              ;   in Loop: Header=BB1951_558 Depth=2
	s_or_b64 exec, exec, s[38:39]
	s_waitcnt lgkmcnt(0)
	s_barrier
	s_and_saveexec_b64 s[38:39], s[10:11]
	s_cbranch_execz .LBB1951_598
; %bb.597:                              ;   in Loop: Header=BB1951_558 Depth=2
	ds_read_b32 v128, v42 offset:1024
	s_waitcnt lgkmcnt(0)
	s_nop 0
	v_mov_b32_dpp v129, v128 row_shr:1 row_mask:0xf bank_mask:0xf
	v_cndmask_b32_e64 v129, v129, 0, s[34:35]
	v_add_u32_e32 v128, v129, v128
	s_nop 1
	v_mov_b32_dpp v129, v128 row_shr:2 row_mask:0xf bank_mask:0xf
	v_cndmask_b32_e64 v129, 0, v129, s[36:37]
	v_add_u32_e32 v128, v128, v129
	ds_write_b32 v42, v128 offset:1024
.LBB1951_598:                           ;   in Loop: Header=BB1951_558 Depth=2
	s_or_b64 exec, exec, s[38:39]
	v_mov_b32_e32 v128, 0
	s_waitcnt lgkmcnt(0)
	s_barrier
	s_and_saveexec_b64 s[38:39], s[12:13]
; %bb.599:                              ;   in Loop: Header=BB1951_558 Depth=2
	ds_read_b32 v128, v37 offset:1020
; %bb.600:                              ;   in Loop: Header=BB1951_558 Depth=2
	s_or_b64 exec, exec, s[38:39]
	s_waitcnt lgkmcnt(0)
	v_add_u32_e32 v127, v128, v127
	ds_bpermute_b32 v127, v82, v127
	s_waitcnt lgkmcnt(0)
	v_cndmask_b32_e64 v127, v127, v128, s[30:31]
	v_cndmask_b32_e64 v127, v127, 0, s[14:15]
	v_add_u32_e32 v23, v127, v23
	v_add_u32_e32 v24, v23, v24
	;; [unrolled: 1-line block ×4, first 2 shown]
	ds_write2_b32 v62, v127, v23 offset1:1
	ds_write2_b32 v63, v24, v21 offset1:1
	ds_write_b32 v41, v22 offset:1056
	s_waitcnt lgkmcnt(0)
	s_barrier
	ds_read_b32 v21, v101 offset:1040
	ds_read_b32 v22, v105 offset:1040
	;; [unrolled: 1-line block ×9, first 2 shown]
	v_mov_b32_e32 v4, 0x800
	s_and_saveexec_b64 s[38:39], s[16:17]
; %bb.601:                              ;   in Loop: Header=BB1951_558 Depth=2
	ds_read_b32 v4, v41 offset:1060
; %bb.602:                              ;   in Loop: Header=BB1951_558 Depth=2
	s_or_b64 exec, exec, s[38:39]
	s_waitcnt lgkmcnt(0)
	s_barrier
	s_and_saveexec_b64 s[38:39], s[4:5]
	s_cbranch_execz .LBB1951_604
; %bb.603:                              ;   in Loop: Header=BB1951_558 Depth=2
	ds_read_b32 v105, v25
	s_waitcnt lgkmcnt(0)
	v_sub_u32_e32 v101, v105, v101
	ds_write_b32 v25, v101
.LBB1951_604:                           ;   in Loop: Header=BB1951_558 Depth=2
	s_or_b64 exec, exec, s[38:39]
	v_add_u32_e32 v108, v21, v98
	v_add3_u32 v105, v102, v100, v22
	v_lshlrev_b32_e32 v21, 1, v108
	v_add3_u32 v102, v106, v104, v23
	ds_write_b16 v21, v97 offset:1024
	v_lshlrev_b32_e32 v21, 1, v105
	v_add3_u32 v101, v111, v109, v24
	ds_write_b16 v21, v99 offset:1024
	;; [unrolled: 3-line block ×6, first 2 shown]
	v_lshlrev_b32_e32 v21, 1, v24
	ds_write_b16 v21, v120 offset:1024
	v_lshlrev_b32_e32 v21, 1, v23
	v_cmp_lt_u32_e32 vcc, v0, v96
	ds_write_b16 v21, v123 offset:1024
	s_waitcnt lgkmcnt(0)
	s_barrier
	s_and_saveexec_b64 s[40:41], vcc
	s_cbranch_execnz .LBB1951_641
; %bb.605:                              ;   in Loop: Header=BB1951_558 Depth=2
	s_or_b64 exec, exec, s[40:41]
	v_cmp_lt_u32_e64 s[38:39], v26, v96
	s_and_saveexec_b64 s[42:43], s[38:39]
	s_cbranch_execnz .LBB1951_642
.LBB1951_606:                           ;   in Loop: Header=BB1951_558 Depth=2
	s_or_b64 exec, exec, s[42:43]
	v_cmp_lt_u32_e64 s[40:41], v27, v96
	s_and_saveexec_b64 s[44:45], s[40:41]
	s_cbranch_execnz .LBB1951_643
.LBB1951_607:                           ;   in Loop: Header=BB1951_558 Depth=2
	s_or_b64 exec, exec, s[44:45]
	v_cmp_lt_u32_e64 s[42:43], v28, v96
	s_and_saveexec_b64 s[46:47], s[42:43]
	s_cbranch_execnz .LBB1951_644
.LBB1951_608:                           ;   in Loop: Header=BB1951_558 Depth=2
	s_or_b64 exec, exec, s[46:47]
	v_cmp_lt_u32_e64 s[44:45], v31, v96
	s_and_saveexec_b64 s[48:49], s[44:45]
	s_cbranch_execnz .LBB1951_645
.LBB1951_609:                           ;   in Loop: Header=BB1951_558 Depth=2
	s_or_b64 exec, exec, s[48:49]
	v_cmp_lt_u32_e64 s[46:47], v32, v96
	s_and_saveexec_b64 s[50:51], s[46:47]
	s_cbranch_execnz .LBB1951_646
.LBB1951_610:                           ;   in Loop: Header=BB1951_558 Depth=2
	s_or_b64 exec, exec, s[50:51]
	v_cmp_lt_u32_e64 s[48:49], v33, v96
	s_and_saveexec_b64 s[52:53], s[48:49]
	s_cbranch_execnz .LBB1951_647
.LBB1951_611:                           ;   in Loop: Header=BB1951_558 Depth=2
	s_or_b64 exec, exec, s[52:53]
	v_cmp_lt_u32_e64 s[50:51], v34, v96
	s_and_saveexec_b64 s[60:61], s[50:51]
	s_cbranch_execz .LBB1951_613
.LBB1951_612:                           ;   in Loop: Header=BB1951_558 Depth=2
	ds_read_u16 v21, v47 offset:4608
	v_mov_b32_e32 v22, v3
	v_mov_b32_e32 v99, s69
	s_waitcnt lgkmcnt(0)
	v_cmp_ne_u16_e64 s[52:53], s7, v21
	v_cndmask_b32_e64 v97, v65, v21, s[52:53]
	v_lshrrev_b32_sdwa v97, s77, v97 dst_sel:DWORD dst_unused:UNUSED_PAD src0_sel:DWORD src1_sel:WORD_0
	v_and_b32_e32 v97, s63, v97
	v_lshlrev_b32_e32 v97, 2, v97
	ds_read_b32 v97, v97
	v_cmp_gt_i16_e64 s[52:53], 0, v21
	v_cndmask_b32_e64 v103, v65, 0, s[52:53]
	v_xor_b32_e32 v103, v103, v21
	s_waitcnt lgkmcnt(0)
	v_add_u32_e32 v21, v97, v34
	v_lshlrev_b64 v[21:22], 1, v[21:22]
	v_add_co_u32_e64 v21, s[52:53], s68, v21
	v_addc_co_u32_e64 v22, s[52:53], v99, v22, s[52:53]
	global_store_short v[21:22], v103, off
.LBB1951_613:                           ;   in Loop: Header=BB1951_558 Depth=2
	s_or_b64 exec, exec, s[60:61]
	s_lshl_b64 s[52:53], s[58:59], 3
	v_mov_b32_e32 v22, s53
	v_add_co_u32_e64 v21, s[52:53], s52, v83
	v_addc_co_u32_e64 v22, s[52:53], v84, v22, s[52:53]
	v_cmp_lt_u32_e64 s[52:53], v73, v96
	s_and_saveexec_b64 s[60:61], s[52:53]
	s_xor_b64 s[52:53], exec, s[60:61]
	s_cbranch_execnz .LBB1951_648
; %bb.614:                              ;   in Loop: Header=BB1951_558 Depth=2
	s_or_b64 exec, exec, s[52:53]
	v_cmp_lt_u32_e64 s[52:53], v74, v96
	s_and_saveexec_b64 s[60:61], s[52:53]
	s_cbranch_execnz .LBB1951_649
.LBB1951_615:                           ;   in Loop: Header=BB1951_558 Depth=2
	s_or_b64 exec, exec, s[60:61]
	v_cmp_lt_u32_e64 s[52:53], v75, v96
	s_and_saveexec_b64 s[60:61], s[52:53]
	s_cbranch_execnz .LBB1951_650
.LBB1951_616:                           ;   in Loop: Header=BB1951_558 Depth=2
	s_or_b64 exec, exec, s[60:61]
	v_cmp_lt_u32_e64 s[52:53], v76, v96
	s_and_saveexec_b64 s[60:61], s[52:53]
	s_cbranch_execnz .LBB1951_651
.LBB1951_617:                           ;   in Loop: Header=BB1951_558 Depth=2
	s_or_b64 exec, exec, s[60:61]
	v_cmp_lt_u32_e64 s[52:53], v77, v96
	s_and_saveexec_b64 s[60:61], s[52:53]
	s_cbranch_execnz .LBB1951_652
.LBB1951_618:                           ;   in Loop: Header=BB1951_558 Depth=2
	s_or_b64 exec, exec, s[60:61]
	v_cmp_lt_u32_e64 s[52:53], v78, v96
	s_and_saveexec_b64 s[60:61], s[52:53]
	s_cbranch_execnz .LBB1951_653
.LBB1951_619:                           ;   in Loop: Header=BB1951_558 Depth=2
	s_or_b64 exec, exec, s[60:61]
	v_cmp_lt_u32_e64 s[52:53], v79, v96
	s_and_saveexec_b64 s[60:61], s[52:53]
	s_cbranch_execnz .LBB1951_654
.LBB1951_620:                           ;   in Loop: Header=BB1951_558 Depth=2
	s_or_b64 exec, exec, s[60:61]
	v_cmp_lt_u32_e64 s[52:53], v80, v96
	s_and_saveexec_b64 s[60:61], s[52:53]
	s_cbranch_execnz .LBB1951_655
.LBB1951_621:                           ;   in Loop: Header=BB1951_558 Depth=2
	s_or_b64 exec, exec, s[60:61]
	s_and_saveexec_b64 s[60:61], vcc
	s_cbranch_execnz .LBB1951_656
.LBB1951_622:                           ;   in Loop: Header=BB1951_558 Depth=2
	s_or_b64 exec, exec, s[60:61]
	s_and_saveexec_b64 s[60:61], s[38:39]
	s_cbranch_execnz .LBB1951_657
.LBB1951_623:                           ;   in Loop: Header=BB1951_558 Depth=2
	s_or_b64 exec, exec, s[60:61]
	s_and_saveexec_b64 s[60:61], s[40:41]
	s_cbranch_execnz .LBB1951_658
.LBB1951_624:                           ;   in Loop: Header=BB1951_558 Depth=2
	s_or_b64 exec, exec, s[60:61]
	s_and_saveexec_b64 s[60:61], s[42:43]
	s_cbranch_execnz .LBB1951_659
.LBB1951_625:                           ;   in Loop: Header=BB1951_558 Depth=2
	s_or_b64 exec, exec, s[60:61]
	s_and_saveexec_b64 s[60:61], s[44:45]
	s_cbranch_execnz .LBB1951_660
.LBB1951_626:                           ;   in Loop: Header=BB1951_558 Depth=2
	s_or_b64 exec, exec, s[60:61]
	s_and_saveexec_b64 s[60:61], s[46:47]
	s_cbranch_execnz .LBB1951_661
.LBB1951_627:                           ;   in Loop: Header=BB1951_558 Depth=2
	s_or_b64 exec, exec, s[60:61]
	s_and_saveexec_b64 s[60:61], s[48:49]
	s_cbranch_execnz .LBB1951_662
.LBB1951_628:                           ;   in Loop: Header=BB1951_558 Depth=2
	s_or_b64 exec, exec, s[60:61]
	s_and_saveexec_b64 s[60:61], s[50:51]
	s_cbranch_execz .LBB1951_630
.LBB1951_629:                           ;   in Loop: Header=BB1951_558 Depth=2
	ds_read_u16 v21, v47 offset:4608
	s_waitcnt lgkmcnt(0)
	v_cmp_ne_u16_e64 s[52:53], s7, v21
	v_cndmask_b32_e64 v21, v65, v21, s[52:53]
	v_lshrrev_b32_sdwa v21, s77, v21 dst_sel:DWORD dst_unused:UNUSED_PAD src0_sel:DWORD src1_sel:WORD_0
	v_and_b32_e32 v87, s63, v21
.LBB1951_630:                           ;   in Loop: Header=BB1951_558 Depth=2
	s_or_b64 exec, exec, s[60:61]
	v_lshlrev_b32_e32 v21, 3, v108
	s_waitcnt vmcnt(0)
	s_barrier
	ds_write_b64 v21, v[19:20] offset:1024
	v_lshlrev_b32_e32 v21, 3, v105
	ds_write_b64 v21, v[17:18] offset:1024
	v_lshlrev_b32_e32 v21, 3, v102
	;; [unrolled: 2-line block ×7, first 2 shown]
	ds_write_b64 v21, v[5:6] offset:1024
	v_add_u32_e32 v21, v47, v48
	s_waitcnt lgkmcnt(0)
	s_barrier
	s_and_saveexec_b64 s[52:53], vcc
	s_cbranch_execnz .LBB1951_663
; %bb.631:                              ;   in Loop: Header=BB1951_558 Depth=2
	s_or_b64 exec, exec, s[52:53]
	s_and_saveexec_b64 s[52:53], s[38:39]
	s_cbranch_execnz .LBB1951_664
.LBB1951_632:                           ;   in Loop: Header=BB1951_558 Depth=2
	s_or_b64 exec, exec, s[52:53]
	s_and_saveexec_b64 s[38:39], s[40:41]
	s_cbranch_execnz .LBB1951_665
.LBB1951_633:                           ;   in Loop: Header=BB1951_558 Depth=2
	s_or_b64 exec, exec, s[38:39]
	s_and_saveexec_b64 s[38:39], s[42:43]
	s_cbranch_execnz .LBB1951_666
.LBB1951_634:                           ;   in Loop: Header=BB1951_558 Depth=2
	s_or_b64 exec, exec, s[38:39]
	s_and_saveexec_b64 s[38:39], s[44:45]
	s_cbranch_execnz .LBB1951_667
.LBB1951_635:                           ;   in Loop: Header=BB1951_558 Depth=2
	s_or_b64 exec, exec, s[38:39]
	s_and_saveexec_b64 s[38:39], s[46:47]
	s_cbranch_execnz .LBB1951_668
.LBB1951_636:                           ;   in Loop: Header=BB1951_558 Depth=2
	s_or_b64 exec, exec, s[38:39]
	s_and_saveexec_b64 s[38:39], s[48:49]
	s_cbranch_execnz .LBB1951_669
.LBB1951_637:                           ;   in Loop: Header=BB1951_558 Depth=2
	s_or_b64 exec, exec, s[38:39]
	s_and_saveexec_b64 s[38:39], s[50:51]
	s_cbranch_execz .LBB1951_639
.LBB1951_638:                           ;   in Loop: Header=BB1951_558 Depth=2
	v_lshlrev_b32_e32 v22, 2, v87
	ds_read_b32 v23, v22
	ds_read_b64 v[21:22], v21 offset:15360
	v_mov_b32_e32 v24, v3
	v_mov_b32_e32 v96, s75
	s_waitcnt lgkmcnt(1)
	v_add_u32_e32 v23, v23, v34
	v_lshlrev_b64 v[23:24], 3, v[23:24]
	v_add_co_u32_e32 v23, vcc, s74, v23
	v_addc_co_u32_e32 v24, vcc, v96, v24, vcc
	s_waitcnt lgkmcnt(0)
	global_store_dwordx2 v[23:24], v[21:22], off
.LBB1951_639:                           ;   in Loop: Header=BB1951_558 Depth=2
	s_or_b64 exec, exec, s[38:39]
	s_waitcnt vmcnt(0)
	s_barrier
	s_and_saveexec_b64 s[38:39], s[4:5]
	s_cbranch_execz .LBB1951_557
; %bb.640:                              ;   in Loop: Header=BB1951_558 Depth=2
	ds_read_b32 v21, v25
	s_waitcnt lgkmcnt(0)
	v_add_u32_e32 v4, v21, v4
	ds_write_b32 v25, v4
	s_branch .LBB1951_557
.LBB1951_641:                           ;   in Loop: Header=BB1951_558 Depth=2
	ds_read_u16 v21, v47 offset:1024
	v_mov_b32_e32 v22, v3
	v_mov_b32_e32 v99, s69
	s_waitcnt lgkmcnt(0)
	v_cmp_ne_u16_e64 s[38:39], s7, v21
	v_cndmask_b32_e64 v97, v65, v21, s[38:39]
	v_lshrrev_b32_sdwa v97, s77, v97 dst_sel:DWORD dst_unused:UNUSED_PAD src0_sel:DWORD src1_sel:WORD_0
	v_and_b32_e32 v97, s63, v97
	v_lshlrev_b32_e32 v97, 2, v97
	ds_read_b32 v97, v97
	v_cmp_gt_i16_e64 s[38:39], 0, v21
	v_cndmask_b32_e64 v103, v65, 0, s[38:39]
	v_xor_b32_e32 v103, v103, v21
	s_waitcnt lgkmcnt(0)
	v_add_u32_e32 v21, v97, v0
	v_lshlrev_b64 v[21:22], 1, v[21:22]
	v_add_co_u32_e64 v21, s[38:39], s68, v21
	v_addc_co_u32_e64 v22, s[38:39], v99, v22, s[38:39]
	global_store_short v[21:22], v103, off
	s_or_b64 exec, exec, s[40:41]
	v_cmp_lt_u32_e64 s[38:39], v26, v96
	s_and_saveexec_b64 s[42:43], s[38:39]
	s_cbranch_execz .LBB1951_606
.LBB1951_642:                           ;   in Loop: Header=BB1951_558 Depth=2
	ds_read_u16 v21, v47 offset:1536
	v_mov_b32_e32 v22, v3
	v_mov_b32_e32 v99, s69
	s_waitcnt lgkmcnt(0)
	v_cmp_ne_u16_e64 s[40:41], s7, v21
	v_cndmask_b32_e64 v97, v65, v21, s[40:41]
	v_lshrrev_b32_sdwa v97, s77, v97 dst_sel:DWORD dst_unused:UNUSED_PAD src0_sel:DWORD src1_sel:WORD_0
	v_and_b32_e32 v97, s63, v97
	v_lshlrev_b32_e32 v97, 2, v97
	ds_read_b32 v97, v97
	v_cmp_gt_i16_e64 s[40:41], 0, v21
	v_cndmask_b32_e64 v103, v65, 0, s[40:41]
	v_xor_b32_e32 v103, v103, v21
	s_waitcnt lgkmcnt(0)
	v_add_u32_e32 v21, v97, v26
	v_lshlrev_b64 v[21:22], 1, v[21:22]
	v_add_co_u32_e64 v21, s[40:41], s68, v21
	v_addc_co_u32_e64 v22, s[40:41], v99, v22, s[40:41]
	global_store_short v[21:22], v103, off
	s_or_b64 exec, exec, s[42:43]
	v_cmp_lt_u32_e64 s[40:41], v27, v96
	s_and_saveexec_b64 s[44:45], s[40:41]
	s_cbranch_execz .LBB1951_607
.LBB1951_643:                           ;   in Loop: Header=BB1951_558 Depth=2
	ds_read_u16 v21, v47 offset:2048
	v_mov_b32_e32 v22, v3
	v_mov_b32_e32 v99, s69
	s_waitcnt lgkmcnt(0)
	v_cmp_ne_u16_e64 s[42:43], s7, v21
	v_cndmask_b32_e64 v97, v65, v21, s[42:43]
	v_lshrrev_b32_sdwa v97, s77, v97 dst_sel:DWORD dst_unused:UNUSED_PAD src0_sel:DWORD src1_sel:WORD_0
	v_and_b32_e32 v97, s63, v97
	v_lshlrev_b32_e32 v97, 2, v97
	ds_read_b32 v97, v97
	v_cmp_gt_i16_e64 s[42:43], 0, v21
	v_cndmask_b32_e64 v103, v65, 0, s[42:43]
	v_xor_b32_e32 v103, v103, v21
	s_waitcnt lgkmcnt(0)
	v_add_u32_e32 v21, v97, v27
	v_lshlrev_b64 v[21:22], 1, v[21:22]
	v_add_co_u32_e64 v21, s[42:43], s68, v21
	v_addc_co_u32_e64 v22, s[42:43], v99, v22, s[42:43]
	global_store_short v[21:22], v103, off
	s_or_b64 exec, exec, s[44:45]
	v_cmp_lt_u32_e64 s[42:43], v28, v96
	s_and_saveexec_b64 s[46:47], s[42:43]
	s_cbranch_execz .LBB1951_608
.LBB1951_644:                           ;   in Loop: Header=BB1951_558 Depth=2
	ds_read_u16 v21, v47 offset:2560
	v_mov_b32_e32 v22, v3
	v_mov_b32_e32 v99, s69
	s_waitcnt lgkmcnt(0)
	v_cmp_ne_u16_e64 s[44:45], s7, v21
	v_cndmask_b32_e64 v97, v65, v21, s[44:45]
	v_lshrrev_b32_sdwa v97, s77, v97 dst_sel:DWORD dst_unused:UNUSED_PAD src0_sel:DWORD src1_sel:WORD_0
	v_and_b32_e32 v97, s63, v97
	v_lshlrev_b32_e32 v97, 2, v97
	ds_read_b32 v97, v97
	v_cmp_gt_i16_e64 s[44:45], 0, v21
	v_cndmask_b32_e64 v103, v65, 0, s[44:45]
	v_xor_b32_e32 v103, v103, v21
	s_waitcnt lgkmcnt(0)
	v_add_u32_e32 v21, v97, v28
	v_lshlrev_b64 v[21:22], 1, v[21:22]
	v_add_co_u32_e64 v21, s[44:45], s68, v21
	v_addc_co_u32_e64 v22, s[44:45], v99, v22, s[44:45]
	global_store_short v[21:22], v103, off
	s_or_b64 exec, exec, s[46:47]
	v_cmp_lt_u32_e64 s[44:45], v31, v96
	s_and_saveexec_b64 s[48:49], s[44:45]
	s_cbranch_execz .LBB1951_609
.LBB1951_645:                           ;   in Loop: Header=BB1951_558 Depth=2
	ds_read_u16 v21, v47 offset:3072
	v_mov_b32_e32 v22, v3
	v_mov_b32_e32 v99, s69
	s_waitcnt lgkmcnt(0)
	v_cmp_ne_u16_e64 s[46:47], s7, v21
	v_cndmask_b32_e64 v97, v65, v21, s[46:47]
	v_lshrrev_b32_sdwa v97, s77, v97 dst_sel:DWORD dst_unused:UNUSED_PAD src0_sel:DWORD src1_sel:WORD_0
	v_and_b32_e32 v97, s63, v97
	v_lshlrev_b32_e32 v97, 2, v97
	ds_read_b32 v97, v97
	v_cmp_gt_i16_e64 s[46:47], 0, v21
	v_cndmask_b32_e64 v103, v65, 0, s[46:47]
	v_xor_b32_e32 v103, v103, v21
	s_waitcnt lgkmcnt(0)
	v_add_u32_e32 v21, v97, v31
	v_lshlrev_b64 v[21:22], 1, v[21:22]
	v_add_co_u32_e64 v21, s[46:47], s68, v21
	v_addc_co_u32_e64 v22, s[46:47], v99, v22, s[46:47]
	global_store_short v[21:22], v103, off
	s_or_b64 exec, exec, s[48:49]
	v_cmp_lt_u32_e64 s[46:47], v32, v96
	s_and_saveexec_b64 s[50:51], s[46:47]
	s_cbranch_execz .LBB1951_610
.LBB1951_646:                           ;   in Loop: Header=BB1951_558 Depth=2
	ds_read_u16 v21, v47 offset:3584
	v_mov_b32_e32 v22, v3
	v_mov_b32_e32 v99, s69
	s_waitcnt lgkmcnt(0)
	v_cmp_ne_u16_e64 s[48:49], s7, v21
	v_cndmask_b32_e64 v97, v65, v21, s[48:49]
	v_lshrrev_b32_sdwa v97, s77, v97 dst_sel:DWORD dst_unused:UNUSED_PAD src0_sel:DWORD src1_sel:WORD_0
	v_and_b32_e32 v97, s63, v97
	v_lshlrev_b32_e32 v97, 2, v97
	ds_read_b32 v97, v97
	v_cmp_gt_i16_e64 s[48:49], 0, v21
	v_cndmask_b32_e64 v103, v65, 0, s[48:49]
	v_xor_b32_e32 v103, v103, v21
	s_waitcnt lgkmcnt(0)
	v_add_u32_e32 v21, v97, v32
	v_lshlrev_b64 v[21:22], 1, v[21:22]
	v_add_co_u32_e64 v21, s[48:49], s68, v21
	v_addc_co_u32_e64 v22, s[48:49], v99, v22, s[48:49]
	global_store_short v[21:22], v103, off
	s_or_b64 exec, exec, s[50:51]
	v_cmp_lt_u32_e64 s[48:49], v33, v96
	s_and_saveexec_b64 s[52:53], s[48:49]
	s_cbranch_execz .LBB1951_611
.LBB1951_647:                           ;   in Loop: Header=BB1951_558 Depth=2
	ds_read_u16 v21, v47 offset:4096
	v_mov_b32_e32 v22, v3
	v_mov_b32_e32 v99, s69
	s_waitcnt lgkmcnt(0)
	v_cmp_ne_u16_e64 s[50:51], s7, v21
	v_cndmask_b32_e64 v97, v65, v21, s[50:51]
	v_lshrrev_b32_sdwa v97, s77, v97 dst_sel:DWORD dst_unused:UNUSED_PAD src0_sel:DWORD src1_sel:WORD_0
	v_and_b32_e32 v97, s63, v97
	v_lshlrev_b32_e32 v97, 2, v97
	ds_read_b32 v97, v97
	v_cmp_gt_i16_e64 s[50:51], 0, v21
	v_cndmask_b32_e64 v103, v65, 0, s[50:51]
	v_xor_b32_e32 v103, v103, v21
	s_waitcnt lgkmcnt(0)
	v_add_u32_e32 v21, v97, v33
	v_lshlrev_b64 v[21:22], 1, v[21:22]
	v_add_co_u32_e64 v21, s[50:51], s68, v21
	v_addc_co_u32_e64 v22, s[50:51], v99, v22, s[50:51]
	global_store_short v[21:22], v103, off
	s_or_b64 exec, exec, s[52:53]
	v_cmp_lt_u32_e64 s[50:51], v34, v96
	s_and_saveexec_b64 s[60:61], s[50:51]
	s_cbranch_execnz .LBB1951_612
	s_branch .LBB1951_613
.LBB1951_648:                           ;   in Loop: Header=BB1951_558 Depth=2
	global_load_dwordx2 v[19:20], v[21:22], off
	s_or_b64 exec, exec, s[52:53]
	v_cmp_lt_u32_e64 s[52:53], v74, v96
	s_and_saveexec_b64 s[60:61], s[52:53]
	s_cbranch_execz .LBB1951_615
.LBB1951_649:                           ;   in Loop: Header=BB1951_558 Depth=2
	global_load_dwordx2 v[17:18], v[21:22], off offset:512
	s_or_b64 exec, exec, s[60:61]
	v_cmp_lt_u32_e64 s[52:53], v75, v96
	s_and_saveexec_b64 s[60:61], s[52:53]
	s_cbranch_execz .LBB1951_616
.LBB1951_650:                           ;   in Loop: Header=BB1951_558 Depth=2
	global_load_dwordx2 v[15:16], v[21:22], off offset:1024
	s_or_b64 exec, exec, s[60:61]
	v_cmp_lt_u32_e64 s[52:53], v76, v96
	s_and_saveexec_b64 s[60:61], s[52:53]
	s_cbranch_execz .LBB1951_617
.LBB1951_651:                           ;   in Loop: Header=BB1951_558 Depth=2
	global_load_dwordx2 v[13:14], v[21:22], off offset:1536
	s_or_b64 exec, exec, s[60:61]
	v_cmp_lt_u32_e64 s[52:53], v77, v96
	s_and_saveexec_b64 s[60:61], s[52:53]
	s_cbranch_execz .LBB1951_618
.LBB1951_652:                           ;   in Loop: Header=BB1951_558 Depth=2
	global_load_dwordx2 v[11:12], v[21:22], off offset:2048
	s_or_b64 exec, exec, s[60:61]
	v_cmp_lt_u32_e64 s[52:53], v78, v96
	s_and_saveexec_b64 s[60:61], s[52:53]
	s_cbranch_execz .LBB1951_619
.LBB1951_653:                           ;   in Loop: Header=BB1951_558 Depth=2
	global_load_dwordx2 v[9:10], v[21:22], off offset:2560
	s_or_b64 exec, exec, s[60:61]
	v_cmp_lt_u32_e64 s[52:53], v79, v96
	s_and_saveexec_b64 s[60:61], s[52:53]
	s_cbranch_execz .LBB1951_620
.LBB1951_654:                           ;   in Loop: Header=BB1951_558 Depth=2
	global_load_dwordx2 v[7:8], v[21:22], off offset:3072
	s_or_b64 exec, exec, s[60:61]
	v_cmp_lt_u32_e64 s[52:53], v80, v96
	s_and_saveexec_b64 s[60:61], s[52:53]
	s_cbranch_execz .LBB1951_621
.LBB1951_655:                           ;   in Loop: Header=BB1951_558 Depth=2
	global_load_dwordx2 v[5:6], v[21:22], off offset:3584
	s_or_b64 exec, exec, s[60:61]
	s_and_saveexec_b64 s[60:61], vcc
	s_cbranch_execz .LBB1951_622
.LBB1951_656:                           ;   in Loop: Header=BB1951_558 Depth=2
	ds_read_u16 v21, v47 offset:1024
	s_waitcnt lgkmcnt(0)
	v_cmp_ne_u16_e64 s[52:53], s7, v21
	v_cndmask_b32_e64 v21, v65, v21, s[52:53]
	v_lshrrev_b32_sdwa v21, s77, v21 dst_sel:DWORD dst_unused:UNUSED_PAD src0_sel:DWORD src1_sel:WORD_0
	v_and_b32_e32 v95, s63, v21
	s_or_b64 exec, exec, s[60:61]
	s_and_saveexec_b64 s[60:61], s[38:39]
	s_cbranch_execz .LBB1951_623
.LBB1951_657:                           ;   in Loop: Header=BB1951_558 Depth=2
	ds_read_u16 v21, v47 offset:1536
	s_waitcnt lgkmcnt(0)
	v_cmp_ne_u16_e64 s[52:53], s7, v21
	v_cndmask_b32_e64 v21, v65, v21, s[52:53]
	v_lshrrev_b32_sdwa v21, s77, v21 dst_sel:DWORD dst_unused:UNUSED_PAD src0_sel:DWORD src1_sel:WORD_0
	v_and_b32_e32 v94, s63, v21
	s_or_b64 exec, exec, s[60:61]
	s_and_saveexec_b64 s[60:61], s[40:41]
	s_cbranch_execz .LBB1951_624
.LBB1951_658:                           ;   in Loop: Header=BB1951_558 Depth=2
	ds_read_u16 v21, v47 offset:2048
	s_waitcnt lgkmcnt(0)
	v_cmp_ne_u16_e64 s[52:53], s7, v21
	v_cndmask_b32_e64 v21, v65, v21, s[52:53]
	v_lshrrev_b32_sdwa v21, s77, v21 dst_sel:DWORD dst_unused:UNUSED_PAD src0_sel:DWORD src1_sel:WORD_0
	v_and_b32_e32 v93, s63, v21
	s_or_b64 exec, exec, s[60:61]
	s_and_saveexec_b64 s[60:61], s[42:43]
	s_cbranch_execz .LBB1951_625
.LBB1951_659:                           ;   in Loop: Header=BB1951_558 Depth=2
	ds_read_u16 v21, v47 offset:2560
	s_waitcnt lgkmcnt(0)
	v_cmp_ne_u16_e64 s[52:53], s7, v21
	v_cndmask_b32_e64 v21, v65, v21, s[52:53]
	v_lshrrev_b32_sdwa v21, s77, v21 dst_sel:DWORD dst_unused:UNUSED_PAD src0_sel:DWORD src1_sel:WORD_0
	v_and_b32_e32 v92, s63, v21
	s_or_b64 exec, exec, s[60:61]
	s_and_saveexec_b64 s[60:61], s[44:45]
	s_cbranch_execz .LBB1951_626
.LBB1951_660:                           ;   in Loop: Header=BB1951_558 Depth=2
	ds_read_u16 v21, v47 offset:3072
	s_waitcnt lgkmcnt(0)
	v_cmp_ne_u16_e64 s[52:53], s7, v21
	v_cndmask_b32_e64 v21, v65, v21, s[52:53]
	v_lshrrev_b32_sdwa v21, s77, v21 dst_sel:DWORD dst_unused:UNUSED_PAD src0_sel:DWORD src1_sel:WORD_0
	v_and_b32_e32 v90, s63, v21
	s_or_b64 exec, exec, s[60:61]
	s_and_saveexec_b64 s[60:61], s[46:47]
	s_cbranch_execz .LBB1951_627
.LBB1951_661:                           ;   in Loop: Header=BB1951_558 Depth=2
	ds_read_u16 v21, v47 offset:3584
	s_waitcnt lgkmcnt(0)
	v_cmp_ne_u16_e64 s[52:53], s7, v21
	v_cndmask_b32_e64 v21, v65, v21, s[52:53]
	v_lshrrev_b32_sdwa v21, s77, v21 dst_sel:DWORD dst_unused:UNUSED_PAD src0_sel:DWORD src1_sel:WORD_0
	v_and_b32_e32 v89, s63, v21
	s_or_b64 exec, exec, s[60:61]
	s_and_saveexec_b64 s[60:61], s[48:49]
	s_cbranch_execz .LBB1951_628
.LBB1951_662:                           ;   in Loop: Header=BB1951_558 Depth=2
	ds_read_u16 v21, v47 offset:4096
	s_waitcnt lgkmcnt(0)
	v_cmp_ne_u16_e64 s[52:53], s7, v21
	v_cndmask_b32_e64 v21, v65, v21, s[52:53]
	v_lshrrev_b32_sdwa v21, s77, v21 dst_sel:DWORD dst_unused:UNUSED_PAD src0_sel:DWORD src1_sel:WORD_0
	v_and_b32_e32 v88, s63, v21
	s_or_b64 exec, exec, s[60:61]
	s_and_saveexec_b64 s[60:61], s[50:51]
	s_cbranch_execnz .LBB1951_629
	s_branch .LBB1951_630
.LBB1951_663:                           ;   in Loop: Header=BB1951_558 Depth=2
	v_lshlrev_b32_e32 v22, 2, v95
	ds_read_b32 v24, v22
	ds_read_b64 v[22:23], v21 offset:1024
	v_mov_b32_e32 v97, v3
	v_mov_b32_e32 v98, s75
	s_waitcnt lgkmcnt(1)
	v_add_u32_e32 v96, v24, v0
	v_lshlrev_b64 v[96:97], 3, v[96:97]
	v_add_co_u32_e32 v96, vcc, s74, v96
	v_addc_co_u32_e32 v97, vcc, v98, v97, vcc
	s_waitcnt lgkmcnt(0)
	global_store_dwordx2 v[96:97], v[22:23], off
	s_or_b64 exec, exec, s[52:53]
	s_and_saveexec_b64 s[52:53], s[38:39]
	s_cbranch_execz .LBB1951_632
.LBB1951_664:                           ;   in Loop: Header=BB1951_558 Depth=2
	v_lshlrev_b32_e32 v22, 2, v94
	ds_read_b32 v24, v22
	ds_read_b64 v[22:23], v21 offset:3072
	v_mov_b32_e32 v97, v3
	v_mov_b32_e32 v98, s75
	s_waitcnt lgkmcnt(1)
	v_add_u32_e32 v96, v24, v26
	v_lshlrev_b64 v[96:97], 3, v[96:97]
	v_add_co_u32_e32 v96, vcc, s74, v96
	v_addc_co_u32_e32 v97, vcc, v98, v97, vcc
	s_waitcnt lgkmcnt(0)
	global_store_dwordx2 v[96:97], v[22:23], off
	s_or_b64 exec, exec, s[52:53]
	s_and_saveexec_b64 s[38:39], s[40:41]
	s_cbranch_execz .LBB1951_633
.LBB1951_665:                           ;   in Loop: Header=BB1951_558 Depth=2
	v_lshlrev_b32_e32 v22, 2, v93
	ds_read_b32 v24, v22
	ds_read_b64 v[22:23], v21 offset:5120
	v_mov_b32_e32 v97, v3
	v_mov_b32_e32 v98, s75
	s_waitcnt lgkmcnt(1)
	v_add_u32_e32 v96, v24, v27
	v_lshlrev_b64 v[96:97], 3, v[96:97]
	v_add_co_u32_e32 v96, vcc, s74, v96
	v_addc_co_u32_e32 v97, vcc, v98, v97, vcc
	s_waitcnt lgkmcnt(0)
	global_store_dwordx2 v[96:97], v[22:23], off
	s_or_b64 exec, exec, s[38:39]
	s_and_saveexec_b64 s[38:39], s[42:43]
	s_cbranch_execz .LBB1951_634
.LBB1951_666:                           ;   in Loop: Header=BB1951_558 Depth=2
	v_lshlrev_b32_e32 v22, 2, v92
	ds_read_b32 v24, v22
	ds_read_b64 v[22:23], v21 offset:7168
	v_mov_b32_e32 v97, v3
	v_mov_b32_e32 v98, s75
	s_waitcnt lgkmcnt(1)
	v_add_u32_e32 v96, v24, v28
	v_lshlrev_b64 v[96:97], 3, v[96:97]
	v_add_co_u32_e32 v96, vcc, s74, v96
	v_addc_co_u32_e32 v97, vcc, v98, v97, vcc
	s_waitcnt lgkmcnt(0)
	global_store_dwordx2 v[96:97], v[22:23], off
	s_or_b64 exec, exec, s[38:39]
	s_and_saveexec_b64 s[38:39], s[44:45]
	s_cbranch_execz .LBB1951_635
.LBB1951_667:                           ;   in Loop: Header=BB1951_558 Depth=2
	v_lshlrev_b32_e32 v22, 2, v90
	ds_read_b32 v24, v22
	ds_read_b64 v[22:23], v21 offset:9216
	v_mov_b32_e32 v97, v3
	v_mov_b32_e32 v98, s75
	s_waitcnt lgkmcnt(1)
	v_add_u32_e32 v96, v24, v31
	v_lshlrev_b64 v[96:97], 3, v[96:97]
	v_add_co_u32_e32 v96, vcc, s74, v96
	v_addc_co_u32_e32 v97, vcc, v98, v97, vcc
	s_waitcnt lgkmcnt(0)
	global_store_dwordx2 v[96:97], v[22:23], off
	s_or_b64 exec, exec, s[38:39]
	s_and_saveexec_b64 s[38:39], s[46:47]
	s_cbranch_execz .LBB1951_636
.LBB1951_668:                           ;   in Loop: Header=BB1951_558 Depth=2
	v_lshlrev_b32_e32 v22, 2, v89
	ds_read_b32 v24, v22
	ds_read_b64 v[22:23], v21 offset:11264
	v_mov_b32_e32 v97, v3
	v_mov_b32_e32 v98, s75
	s_waitcnt lgkmcnt(1)
	v_add_u32_e32 v96, v24, v32
	v_lshlrev_b64 v[96:97], 3, v[96:97]
	v_add_co_u32_e32 v96, vcc, s74, v96
	v_addc_co_u32_e32 v97, vcc, v98, v97, vcc
	s_waitcnt lgkmcnt(0)
	global_store_dwordx2 v[96:97], v[22:23], off
	s_or_b64 exec, exec, s[38:39]
	s_and_saveexec_b64 s[38:39], s[48:49]
	s_cbranch_execz .LBB1951_637
.LBB1951_669:                           ;   in Loop: Header=BB1951_558 Depth=2
	v_lshlrev_b32_e32 v22, 2, v88
	ds_read_b32 v24, v22
	ds_read_b64 v[22:23], v21 offset:13312
	v_mov_b32_e32 v97, v3
	v_mov_b32_e32 v98, s75
	s_waitcnt lgkmcnt(1)
	v_add_u32_e32 v96, v24, v33
	v_lshlrev_b64 v[96:97], 3, v[96:97]
	v_add_co_u32_e32 v96, vcc, s74, v96
	v_addc_co_u32_e32 v97, vcc, v98, v97, vcc
	s_waitcnt lgkmcnt(0)
	global_store_dwordx2 v[96:97], v[22:23], off
	s_or_b64 exec, exec, s[38:39]
	s_and_saveexec_b64 s[38:39], s[50:51]
	s_cbranch_execnz .LBB1951_638
	s_branch .LBB1951_639
.LBB1951_670:
	s_endpgm
	.section	.rodata,"a",@progbits
	.p2align	6, 0x0
	.amdhsa_kernel _ZN7rocprim17ROCPRIM_400000_NS6detail17trampoline_kernelINS0_14default_configENS1_36segmented_radix_sort_config_selectorI12hip_bfloat16lEEZNS1_25segmented_radix_sort_implIS3_Lb1EPKS5_PS5_PKlPlN2at6native12_GLOBAL__N_18offset_tEEE10hipError_tPvRmT1_PNSt15iterator_traitsISL_E10value_typeET2_T3_PNSM_ISR_E10value_typeET4_jRbjT5_SX_jjP12ihipStream_tbEUlT_E_NS1_11comp_targetILNS1_3genE2ELNS1_11target_archE906ELNS1_3gpuE6ELNS1_3repE0EEENS1_30default_config_static_selectorELNS0_4arch9wavefront6targetE1EEEvSL_
		.amdhsa_group_segment_fixed_size 17424
		.amdhsa_private_segment_fixed_size 0
		.amdhsa_kernarg_size 352
		.amdhsa_user_sgpr_count 6
		.amdhsa_user_sgpr_private_segment_buffer 1
		.amdhsa_user_sgpr_dispatch_ptr 0
		.amdhsa_user_sgpr_queue_ptr 0
		.amdhsa_user_sgpr_kernarg_segment_ptr 1
		.amdhsa_user_sgpr_dispatch_id 0
		.amdhsa_user_sgpr_flat_scratch_init 0
		.amdhsa_user_sgpr_private_segment_size 0
		.amdhsa_uses_dynamic_stack 0
		.amdhsa_system_sgpr_private_segment_wavefront_offset 0
		.amdhsa_system_sgpr_workgroup_id_x 1
		.amdhsa_system_sgpr_workgroup_id_y 1
		.amdhsa_system_sgpr_workgroup_id_z 0
		.amdhsa_system_sgpr_workgroup_info 0
		.amdhsa_system_vgpr_workitem_id 2
		.amdhsa_next_free_vgpr 195
		.amdhsa_next_free_sgpr 98
		.amdhsa_reserve_vcc 1
		.amdhsa_reserve_flat_scratch 0
		.amdhsa_float_round_mode_32 0
		.amdhsa_float_round_mode_16_64 0
		.amdhsa_float_denorm_mode_32 3
		.amdhsa_float_denorm_mode_16_64 3
		.amdhsa_dx10_clamp 1
		.amdhsa_ieee_mode 1
		.amdhsa_fp16_overflow 0
		.amdhsa_exception_fp_ieee_invalid_op 0
		.amdhsa_exception_fp_denorm_src 0
		.amdhsa_exception_fp_ieee_div_zero 0
		.amdhsa_exception_fp_ieee_overflow 0
		.amdhsa_exception_fp_ieee_underflow 0
		.amdhsa_exception_fp_ieee_inexact 0
		.amdhsa_exception_int_div_zero 0
	.end_amdhsa_kernel
	.section	.text._ZN7rocprim17ROCPRIM_400000_NS6detail17trampoline_kernelINS0_14default_configENS1_36segmented_radix_sort_config_selectorI12hip_bfloat16lEEZNS1_25segmented_radix_sort_implIS3_Lb1EPKS5_PS5_PKlPlN2at6native12_GLOBAL__N_18offset_tEEE10hipError_tPvRmT1_PNSt15iterator_traitsISL_E10value_typeET2_T3_PNSM_ISR_E10value_typeET4_jRbjT5_SX_jjP12ihipStream_tbEUlT_E_NS1_11comp_targetILNS1_3genE2ELNS1_11target_archE906ELNS1_3gpuE6ELNS1_3repE0EEENS1_30default_config_static_selectorELNS0_4arch9wavefront6targetE1EEEvSL_,"axG",@progbits,_ZN7rocprim17ROCPRIM_400000_NS6detail17trampoline_kernelINS0_14default_configENS1_36segmented_radix_sort_config_selectorI12hip_bfloat16lEEZNS1_25segmented_radix_sort_implIS3_Lb1EPKS5_PS5_PKlPlN2at6native12_GLOBAL__N_18offset_tEEE10hipError_tPvRmT1_PNSt15iterator_traitsISL_E10value_typeET2_T3_PNSM_ISR_E10value_typeET4_jRbjT5_SX_jjP12ihipStream_tbEUlT_E_NS1_11comp_targetILNS1_3genE2ELNS1_11target_archE906ELNS1_3gpuE6ELNS1_3repE0EEENS1_30default_config_static_selectorELNS0_4arch9wavefront6targetE1EEEvSL_,comdat
.Lfunc_end1951:
	.size	_ZN7rocprim17ROCPRIM_400000_NS6detail17trampoline_kernelINS0_14default_configENS1_36segmented_radix_sort_config_selectorI12hip_bfloat16lEEZNS1_25segmented_radix_sort_implIS3_Lb1EPKS5_PS5_PKlPlN2at6native12_GLOBAL__N_18offset_tEEE10hipError_tPvRmT1_PNSt15iterator_traitsISL_E10value_typeET2_T3_PNSM_ISR_E10value_typeET4_jRbjT5_SX_jjP12ihipStream_tbEUlT_E_NS1_11comp_targetILNS1_3genE2ELNS1_11target_archE906ELNS1_3gpuE6ELNS1_3repE0EEENS1_30default_config_static_selectorELNS0_4arch9wavefront6targetE1EEEvSL_, .Lfunc_end1951-_ZN7rocprim17ROCPRIM_400000_NS6detail17trampoline_kernelINS0_14default_configENS1_36segmented_radix_sort_config_selectorI12hip_bfloat16lEEZNS1_25segmented_radix_sort_implIS3_Lb1EPKS5_PS5_PKlPlN2at6native12_GLOBAL__N_18offset_tEEE10hipError_tPvRmT1_PNSt15iterator_traitsISL_E10value_typeET2_T3_PNSM_ISR_E10value_typeET4_jRbjT5_SX_jjP12ihipStream_tbEUlT_E_NS1_11comp_targetILNS1_3genE2ELNS1_11target_archE906ELNS1_3gpuE6ELNS1_3repE0EEENS1_30default_config_static_selectorELNS0_4arch9wavefront6targetE1EEEvSL_
                                        ; -- End function
	.set _ZN7rocprim17ROCPRIM_400000_NS6detail17trampoline_kernelINS0_14default_configENS1_36segmented_radix_sort_config_selectorI12hip_bfloat16lEEZNS1_25segmented_radix_sort_implIS3_Lb1EPKS5_PS5_PKlPlN2at6native12_GLOBAL__N_18offset_tEEE10hipError_tPvRmT1_PNSt15iterator_traitsISL_E10value_typeET2_T3_PNSM_ISR_E10value_typeET4_jRbjT5_SX_jjP12ihipStream_tbEUlT_E_NS1_11comp_targetILNS1_3genE2ELNS1_11target_archE906ELNS1_3gpuE6ELNS1_3repE0EEENS1_30default_config_static_selectorELNS0_4arch9wavefront6targetE1EEEvSL_.num_vgpr, max(130, .L_ZN7rocprim17ROCPRIM_400000_NS6detail40segmented_radix_sort_single_block_helperI12hip_bfloat16lLj256ELj8ELb1EE4sortIPKS3_PS3_PKlPlEEbT_T0_T1_T2_jjjjRNS4_12storage_typeE.num_vgpr)
	.set _ZN7rocprim17ROCPRIM_400000_NS6detail17trampoline_kernelINS0_14default_configENS1_36segmented_radix_sort_config_selectorI12hip_bfloat16lEEZNS1_25segmented_radix_sort_implIS3_Lb1EPKS5_PS5_PKlPlN2at6native12_GLOBAL__N_18offset_tEEE10hipError_tPvRmT1_PNSt15iterator_traitsISL_E10value_typeET2_T3_PNSM_ISR_E10value_typeET4_jRbjT5_SX_jjP12ihipStream_tbEUlT_E_NS1_11comp_targetILNS1_3genE2ELNS1_11target_archE906ELNS1_3gpuE6ELNS1_3repE0EEENS1_30default_config_static_selectorELNS0_4arch9wavefront6targetE1EEEvSL_.num_agpr, max(0, .L_ZN7rocprim17ROCPRIM_400000_NS6detail40segmented_radix_sort_single_block_helperI12hip_bfloat16lLj256ELj8ELb1EE4sortIPKS3_PS3_PKlPlEEbT_T0_T1_T2_jjjjRNS4_12storage_typeE.num_agpr)
	.set _ZN7rocprim17ROCPRIM_400000_NS6detail17trampoline_kernelINS0_14default_configENS1_36segmented_radix_sort_config_selectorI12hip_bfloat16lEEZNS1_25segmented_radix_sort_implIS3_Lb1EPKS5_PS5_PKlPlN2at6native12_GLOBAL__N_18offset_tEEE10hipError_tPvRmT1_PNSt15iterator_traitsISL_E10value_typeET2_T3_PNSM_ISR_E10value_typeET4_jRbjT5_SX_jjP12ihipStream_tbEUlT_E_NS1_11comp_targetILNS1_3genE2ELNS1_11target_archE906ELNS1_3gpuE6ELNS1_3repE0EEENS1_30default_config_static_selectorELNS0_4arch9wavefront6targetE1EEEvSL_.numbered_sgpr, max(82, .L_ZN7rocprim17ROCPRIM_400000_NS6detail40segmented_radix_sort_single_block_helperI12hip_bfloat16lLj256ELj8ELb1EE4sortIPKS3_PS3_PKlPlEEbT_T0_T1_T2_jjjjRNS4_12storage_typeE.numbered_sgpr)
	.set _ZN7rocprim17ROCPRIM_400000_NS6detail17trampoline_kernelINS0_14default_configENS1_36segmented_radix_sort_config_selectorI12hip_bfloat16lEEZNS1_25segmented_radix_sort_implIS3_Lb1EPKS5_PS5_PKlPlN2at6native12_GLOBAL__N_18offset_tEEE10hipError_tPvRmT1_PNSt15iterator_traitsISL_E10value_typeET2_T3_PNSM_ISR_E10value_typeET4_jRbjT5_SX_jjP12ihipStream_tbEUlT_E_NS1_11comp_targetILNS1_3genE2ELNS1_11target_archE906ELNS1_3gpuE6ELNS1_3repE0EEENS1_30default_config_static_selectorELNS0_4arch9wavefront6targetE1EEEvSL_.num_named_barrier, max(0, .L_ZN7rocprim17ROCPRIM_400000_NS6detail40segmented_radix_sort_single_block_helperI12hip_bfloat16lLj256ELj8ELb1EE4sortIPKS3_PS3_PKlPlEEbT_T0_T1_T2_jjjjRNS4_12storage_typeE.num_named_barrier)
	.set _ZN7rocprim17ROCPRIM_400000_NS6detail17trampoline_kernelINS0_14default_configENS1_36segmented_radix_sort_config_selectorI12hip_bfloat16lEEZNS1_25segmented_radix_sort_implIS3_Lb1EPKS5_PS5_PKlPlN2at6native12_GLOBAL__N_18offset_tEEE10hipError_tPvRmT1_PNSt15iterator_traitsISL_E10value_typeET2_T3_PNSM_ISR_E10value_typeET4_jRbjT5_SX_jjP12ihipStream_tbEUlT_E_NS1_11comp_targetILNS1_3genE2ELNS1_11target_archE906ELNS1_3gpuE6ELNS1_3repE0EEENS1_30default_config_static_selectorELNS0_4arch9wavefront6targetE1EEEvSL_.private_seg_size, 0+max(.L_ZN7rocprim17ROCPRIM_400000_NS6detail40segmented_radix_sort_single_block_helperI12hip_bfloat16lLj256ELj8ELb1EE4sortIPKS3_PS3_PKlPlEEbT_T0_T1_T2_jjjjRNS4_12storage_typeE.private_seg_size)
	.set _ZN7rocprim17ROCPRIM_400000_NS6detail17trampoline_kernelINS0_14default_configENS1_36segmented_radix_sort_config_selectorI12hip_bfloat16lEEZNS1_25segmented_radix_sort_implIS3_Lb1EPKS5_PS5_PKlPlN2at6native12_GLOBAL__N_18offset_tEEE10hipError_tPvRmT1_PNSt15iterator_traitsISL_E10value_typeET2_T3_PNSM_ISR_E10value_typeET4_jRbjT5_SX_jjP12ihipStream_tbEUlT_E_NS1_11comp_targetILNS1_3genE2ELNS1_11target_archE906ELNS1_3gpuE6ELNS1_3repE0EEENS1_30default_config_static_selectorELNS0_4arch9wavefront6targetE1EEEvSL_.uses_vcc, or(1, .L_ZN7rocprim17ROCPRIM_400000_NS6detail40segmented_radix_sort_single_block_helperI12hip_bfloat16lLj256ELj8ELb1EE4sortIPKS3_PS3_PKlPlEEbT_T0_T1_T2_jjjjRNS4_12storage_typeE.uses_vcc)
	.set _ZN7rocprim17ROCPRIM_400000_NS6detail17trampoline_kernelINS0_14default_configENS1_36segmented_radix_sort_config_selectorI12hip_bfloat16lEEZNS1_25segmented_radix_sort_implIS3_Lb1EPKS5_PS5_PKlPlN2at6native12_GLOBAL__N_18offset_tEEE10hipError_tPvRmT1_PNSt15iterator_traitsISL_E10value_typeET2_T3_PNSM_ISR_E10value_typeET4_jRbjT5_SX_jjP12ihipStream_tbEUlT_E_NS1_11comp_targetILNS1_3genE2ELNS1_11target_archE906ELNS1_3gpuE6ELNS1_3repE0EEENS1_30default_config_static_selectorELNS0_4arch9wavefront6targetE1EEEvSL_.uses_flat_scratch, or(0, .L_ZN7rocprim17ROCPRIM_400000_NS6detail40segmented_radix_sort_single_block_helperI12hip_bfloat16lLj256ELj8ELb1EE4sortIPKS3_PS3_PKlPlEEbT_T0_T1_T2_jjjjRNS4_12storage_typeE.uses_flat_scratch)
	.set _ZN7rocprim17ROCPRIM_400000_NS6detail17trampoline_kernelINS0_14default_configENS1_36segmented_radix_sort_config_selectorI12hip_bfloat16lEEZNS1_25segmented_radix_sort_implIS3_Lb1EPKS5_PS5_PKlPlN2at6native12_GLOBAL__N_18offset_tEEE10hipError_tPvRmT1_PNSt15iterator_traitsISL_E10value_typeET2_T3_PNSM_ISR_E10value_typeET4_jRbjT5_SX_jjP12ihipStream_tbEUlT_E_NS1_11comp_targetILNS1_3genE2ELNS1_11target_archE906ELNS1_3gpuE6ELNS1_3repE0EEENS1_30default_config_static_selectorELNS0_4arch9wavefront6targetE1EEEvSL_.has_dyn_sized_stack, or(0, .L_ZN7rocprim17ROCPRIM_400000_NS6detail40segmented_radix_sort_single_block_helperI12hip_bfloat16lLj256ELj8ELb1EE4sortIPKS3_PS3_PKlPlEEbT_T0_T1_T2_jjjjRNS4_12storage_typeE.has_dyn_sized_stack)
	.set _ZN7rocprim17ROCPRIM_400000_NS6detail17trampoline_kernelINS0_14default_configENS1_36segmented_radix_sort_config_selectorI12hip_bfloat16lEEZNS1_25segmented_radix_sort_implIS3_Lb1EPKS5_PS5_PKlPlN2at6native12_GLOBAL__N_18offset_tEEE10hipError_tPvRmT1_PNSt15iterator_traitsISL_E10value_typeET2_T3_PNSM_ISR_E10value_typeET4_jRbjT5_SX_jjP12ihipStream_tbEUlT_E_NS1_11comp_targetILNS1_3genE2ELNS1_11target_archE906ELNS1_3gpuE6ELNS1_3repE0EEENS1_30default_config_static_selectorELNS0_4arch9wavefront6targetE1EEEvSL_.has_recursion, or(0, .L_ZN7rocprim17ROCPRIM_400000_NS6detail40segmented_radix_sort_single_block_helperI12hip_bfloat16lLj256ELj8ELb1EE4sortIPKS3_PS3_PKlPlEEbT_T0_T1_T2_jjjjRNS4_12storage_typeE.has_recursion)
	.set _ZN7rocprim17ROCPRIM_400000_NS6detail17trampoline_kernelINS0_14default_configENS1_36segmented_radix_sort_config_selectorI12hip_bfloat16lEEZNS1_25segmented_radix_sort_implIS3_Lb1EPKS5_PS5_PKlPlN2at6native12_GLOBAL__N_18offset_tEEE10hipError_tPvRmT1_PNSt15iterator_traitsISL_E10value_typeET2_T3_PNSM_ISR_E10value_typeET4_jRbjT5_SX_jjP12ihipStream_tbEUlT_E_NS1_11comp_targetILNS1_3genE2ELNS1_11target_archE906ELNS1_3gpuE6ELNS1_3repE0EEENS1_30default_config_static_selectorELNS0_4arch9wavefront6targetE1EEEvSL_.has_indirect_call, or(0, .L_ZN7rocprim17ROCPRIM_400000_NS6detail40segmented_radix_sort_single_block_helperI12hip_bfloat16lLj256ELj8ELb1EE4sortIPKS3_PS3_PKlPlEEbT_T0_T1_T2_jjjjRNS4_12storage_typeE.has_indirect_call)
	.section	.AMDGPU.csdata,"",@progbits
; Kernel info:
; codeLenInByte = 37708
; TotalNumSgprs: 86
; NumVgprs: 195
; ScratchSize: 0
; MemoryBound: 0
; FloatMode: 240
; IeeeMode: 1
; LDSByteSize: 17424 bytes/workgroup (compile time only)
; SGPRBlocks: 12
; VGPRBlocks: 48
; NumSGPRsForWavesPerEU: 102
; NumVGPRsForWavesPerEU: 195
; Occupancy: 1
; WaveLimiterHint : 1
; COMPUTE_PGM_RSRC2:SCRATCH_EN: 0
; COMPUTE_PGM_RSRC2:USER_SGPR: 6
; COMPUTE_PGM_RSRC2:TRAP_HANDLER: 0
; COMPUTE_PGM_RSRC2:TGID_X_EN: 1
; COMPUTE_PGM_RSRC2:TGID_Y_EN: 1
; COMPUTE_PGM_RSRC2:TGID_Z_EN: 0
; COMPUTE_PGM_RSRC2:TIDIG_COMP_CNT: 2
	.section	.text._ZN7rocprim17ROCPRIM_400000_NS6detail17trampoline_kernelINS0_14default_configENS1_36segmented_radix_sort_config_selectorI12hip_bfloat16lEEZNS1_25segmented_radix_sort_implIS3_Lb1EPKS5_PS5_PKlPlN2at6native12_GLOBAL__N_18offset_tEEE10hipError_tPvRmT1_PNSt15iterator_traitsISL_E10value_typeET2_T3_PNSM_ISR_E10value_typeET4_jRbjT5_SX_jjP12ihipStream_tbEUlT_E_NS1_11comp_targetILNS1_3genE10ELNS1_11target_archE1201ELNS1_3gpuE5ELNS1_3repE0EEENS1_30default_config_static_selectorELNS0_4arch9wavefront6targetE1EEEvSL_,"axG",@progbits,_ZN7rocprim17ROCPRIM_400000_NS6detail17trampoline_kernelINS0_14default_configENS1_36segmented_radix_sort_config_selectorI12hip_bfloat16lEEZNS1_25segmented_radix_sort_implIS3_Lb1EPKS5_PS5_PKlPlN2at6native12_GLOBAL__N_18offset_tEEE10hipError_tPvRmT1_PNSt15iterator_traitsISL_E10value_typeET2_T3_PNSM_ISR_E10value_typeET4_jRbjT5_SX_jjP12ihipStream_tbEUlT_E_NS1_11comp_targetILNS1_3genE10ELNS1_11target_archE1201ELNS1_3gpuE5ELNS1_3repE0EEENS1_30default_config_static_selectorELNS0_4arch9wavefront6targetE1EEEvSL_,comdat
	.globl	_ZN7rocprim17ROCPRIM_400000_NS6detail17trampoline_kernelINS0_14default_configENS1_36segmented_radix_sort_config_selectorI12hip_bfloat16lEEZNS1_25segmented_radix_sort_implIS3_Lb1EPKS5_PS5_PKlPlN2at6native12_GLOBAL__N_18offset_tEEE10hipError_tPvRmT1_PNSt15iterator_traitsISL_E10value_typeET2_T3_PNSM_ISR_E10value_typeET4_jRbjT5_SX_jjP12ihipStream_tbEUlT_E_NS1_11comp_targetILNS1_3genE10ELNS1_11target_archE1201ELNS1_3gpuE5ELNS1_3repE0EEENS1_30default_config_static_selectorELNS0_4arch9wavefront6targetE1EEEvSL_ ; -- Begin function _ZN7rocprim17ROCPRIM_400000_NS6detail17trampoline_kernelINS0_14default_configENS1_36segmented_radix_sort_config_selectorI12hip_bfloat16lEEZNS1_25segmented_radix_sort_implIS3_Lb1EPKS5_PS5_PKlPlN2at6native12_GLOBAL__N_18offset_tEEE10hipError_tPvRmT1_PNSt15iterator_traitsISL_E10value_typeET2_T3_PNSM_ISR_E10value_typeET4_jRbjT5_SX_jjP12ihipStream_tbEUlT_E_NS1_11comp_targetILNS1_3genE10ELNS1_11target_archE1201ELNS1_3gpuE5ELNS1_3repE0EEENS1_30default_config_static_selectorELNS0_4arch9wavefront6targetE1EEEvSL_
	.p2align	8
	.type	_ZN7rocprim17ROCPRIM_400000_NS6detail17trampoline_kernelINS0_14default_configENS1_36segmented_radix_sort_config_selectorI12hip_bfloat16lEEZNS1_25segmented_radix_sort_implIS3_Lb1EPKS5_PS5_PKlPlN2at6native12_GLOBAL__N_18offset_tEEE10hipError_tPvRmT1_PNSt15iterator_traitsISL_E10value_typeET2_T3_PNSM_ISR_E10value_typeET4_jRbjT5_SX_jjP12ihipStream_tbEUlT_E_NS1_11comp_targetILNS1_3genE10ELNS1_11target_archE1201ELNS1_3gpuE5ELNS1_3repE0EEENS1_30default_config_static_selectorELNS0_4arch9wavefront6targetE1EEEvSL_,@function
_ZN7rocprim17ROCPRIM_400000_NS6detail17trampoline_kernelINS0_14default_configENS1_36segmented_radix_sort_config_selectorI12hip_bfloat16lEEZNS1_25segmented_radix_sort_implIS3_Lb1EPKS5_PS5_PKlPlN2at6native12_GLOBAL__N_18offset_tEEE10hipError_tPvRmT1_PNSt15iterator_traitsISL_E10value_typeET2_T3_PNSM_ISR_E10value_typeET4_jRbjT5_SX_jjP12ihipStream_tbEUlT_E_NS1_11comp_targetILNS1_3genE10ELNS1_11target_archE1201ELNS1_3gpuE5ELNS1_3repE0EEENS1_30default_config_static_selectorELNS0_4arch9wavefront6targetE1EEEvSL_: ; @_ZN7rocprim17ROCPRIM_400000_NS6detail17trampoline_kernelINS0_14default_configENS1_36segmented_radix_sort_config_selectorI12hip_bfloat16lEEZNS1_25segmented_radix_sort_implIS3_Lb1EPKS5_PS5_PKlPlN2at6native12_GLOBAL__N_18offset_tEEE10hipError_tPvRmT1_PNSt15iterator_traitsISL_E10value_typeET2_T3_PNSM_ISR_E10value_typeET4_jRbjT5_SX_jjP12ihipStream_tbEUlT_E_NS1_11comp_targetILNS1_3genE10ELNS1_11target_archE1201ELNS1_3gpuE5ELNS1_3repE0EEENS1_30default_config_static_selectorELNS0_4arch9wavefront6targetE1EEEvSL_
; %bb.0:
	.section	.rodata,"a",@progbits
	.p2align	6, 0x0
	.amdhsa_kernel _ZN7rocprim17ROCPRIM_400000_NS6detail17trampoline_kernelINS0_14default_configENS1_36segmented_radix_sort_config_selectorI12hip_bfloat16lEEZNS1_25segmented_radix_sort_implIS3_Lb1EPKS5_PS5_PKlPlN2at6native12_GLOBAL__N_18offset_tEEE10hipError_tPvRmT1_PNSt15iterator_traitsISL_E10value_typeET2_T3_PNSM_ISR_E10value_typeET4_jRbjT5_SX_jjP12ihipStream_tbEUlT_E_NS1_11comp_targetILNS1_3genE10ELNS1_11target_archE1201ELNS1_3gpuE5ELNS1_3repE0EEENS1_30default_config_static_selectorELNS0_4arch9wavefront6targetE1EEEvSL_
		.amdhsa_group_segment_fixed_size 0
		.amdhsa_private_segment_fixed_size 0
		.amdhsa_kernarg_size 96
		.amdhsa_user_sgpr_count 6
		.amdhsa_user_sgpr_private_segment_buffer 1
		.amdhsa_user_sgpr_dispatch_ptr 0
		.amdhsa_user_sgpr_queue_ptr 0
		.amdhsa_user_sgpr_kernarg_segment_ptr 1
		.amdhsa_user_sgpr_dispatch_id 0
		.amdhsa_user_sgpr_flat_scratch_init 0
		.amdhsa_user_sgpr_private_segment_size 0
		.amdhsa_uses_dynamic_stack 0
		.amdhsa_system_sgpr_private_segment_wavefront_offset 0
		.amdhsa_system_sgpr_workgroup_id_x 1
		.amdhsa_system_sgpr_workgroup_id_y 0
		.amdhsa_system_sgpr_workgroup_id_z 0
		.amdhsa_system_sgpr_workgroup_info 0
		.amdhsa_system_vgpr_workitem_id 0
		.amdhsa_next_free_vgpr 1
		.amdhsa_next_free_sgpr 0
		.amdhsa_reserve_vcc 0
		.amdhsa_reserve_flat_scratch 0
		.amdhsa_float_round_mode_32 0
		.amdhsa_float_round_mode_16_64 0
		.amdhsa_float_denorm_mode_32 3
		.amdhsa_float_denorm_mode_16_64 3
		.amdhsa_dx10_clamp 1
		.amdhsa_ieee_mode 1
		.amdhsa_fp16_overflow 0
		.amdhsa_exception_fp_ieee_invalid_op 0
		.amdhsa_exception_fp_denorm_src 0
		.amdhsa_exception_fp_ieee_div_zero 0
		.amdhsa_exception_fp_ieee_overflow 0
		.amdhsa_exception_fp_ieee_underflow 0
		.amdhsa_exception_fp_ieee_inexact 0
		.amdhsa_exception_int_div_zero 0
	.end_amdhsa_kernel
	.section	.text._ZN7rocprim17ROCPRIM_400000_NS6detail17trampoline_kernelINS0_14default_configENS1_36segmented_radix_sort_config_selectorI12hip_bfloat16lEEZNS1_25segmented_radix_sort_implIS3_Lb1EPKS5_PS5_PKlPlN2at6native12_GLOBAL__N_18offset_tEEE10hipError_tPvRmT1_PNSt15iterator_traitsISL_E10value_typeET2_T3_PNSM_ISR_E10value_typeET4_jRbjT5_SX_jjP12ihipStream_tbEUlT_E_NS1_11comp_targetILNS1_3genE10ELNS1_11target_archE1201ELNS1_3gpuE5ELNS1_3repE0EEENS1_30default_config_static_selectorELNS0_4arch9wavefront6targetE1EEEvSL_,"axG",@progbits,_ZN7rocprim17ROCPRIM_400000_NS6detail17trampoline_kernelINS0_14default_configENS1_36segmented_radix_sort_config_selectorI12hip_bfloat16lEEZNS1_25segmented_radix_sort_implIS3_Lb1EPKS5_PS5_PKlPlN2at6native12_GLOBAL__N_18offset_tEEE10hipError_tPvRmT1_PNSt15iterator_traitsISL_E10value_typeET2_T3_PNSM_ISR_E10value_typeET4_jRbjT5_SX_jjP12ihipStream_tbEUlT_E_NS1_11comp_targetILNS1_3genE10ELNS1_11target_archE1201ELNS1_3gpuE5ELNS1_3repE0EEENS1_30default_config_static_selectorELNS0_4arch9wavefront6targetE1EEEvSL_,comdat
.Lfunc_end1952:
	.size	_ZN7rocprim17ROCPRIM_400000_NS6detail17trampoline_kernelINS0_14default_configENS1_36segmented_radix_sort_config_selectorI12hip_bfloat16lEEZNS1_25segmented_radix_sort_implIS3_Lb1EPKS5_PS5_PKlPlN2at6native12_GLOBAL__N_18offset_tEEE10hipError_tPvRmT1_PNSt15iterator_traitsISL_E10value_typeET2_T3_PNSM_ISR_E10value_typeET4_jRbjT5_SX_jjP12ihipStream_tbEUlT_E_NS1_11comp_targetILNS1_3genE10ELNS1_11target_archE1201ELNS1_3gpuE5ELNS1_3repE0EEENS1_30default_config_static_selectorELNS0_4arch9wavefront6targetE1EEEvSL_, .Lfunc_end1952-_ZN7rocprim17ROCPRIM_400000_NS6detail17trampoline_kernelINS0_14default_configENS1_36segmented_radix_sort_config_selectorI12hip_bfloat16lEEZNS1_25segmented_radix_sort_implIS3_Lb1EPKS5_PS5_PKlPlN2at6native12_GLOBAL__N_18offset_tEEE10hipError_tPvRmT1_PNSt15iterator_traitsISL_E10value_typeET2_T3_PNSM_ISR_E10value_typeET4_jRbjT5_SX_jjP12ihipStream_tbEUlT_E_NS1_11comp_targetILNS1_3genE10ELNS1_11target_archE1201ELNS1_3gpuE5ELNS1_3repE0EEENS1_30default_config_static_selectorELNS0_4arch9wavefront6targetE1EEEvSL_
                                        ; -- End function
	.set _ZN7rocprim17ROCPRIM_400000_NS6detail17trampoline_kernelINS0_14default_configENS1_36segmented_radix_sort_config_selectorI12hip_bfloat16lEEZNS1_25segmented_radix_sort_implIS3_Lb1EPKS5_PS5_PKlPlN2at6native12_GLOBAL__N_18offset_tEEE10hipError_tPvRmT1_PNSt15iterator_traitsISL_E10value_typeET2_T3_PNSM_ISR_E10value_typeET4_jRbjT5_SX_jjP12ihipStream_tbEUlT_E_NS1_11comp_targetILNS1_3genE10ELNS1_11target_archE1201ELNS1_3gpuE5ELNS1_3repE0EEENS1_30default_config_static_selectorELNS0_4arch9wavefront6targetE1EEEvSL_.num_vgpr, 0
	.set _ZN7rocprim17ROCPRIM_400000_NS6detail17trampoline_kernelINS0_14default_configENS1_36segmented_radix_sort_config_selectorI12hip_bfloat16lEEZNS1_25segmented_radix_sort_implIS3_Lb1EPKS5_PS5_PKlPlN2at6native12_GLOBAL__N_18offset_tEEE10hipError_tPvRmT1_PNSt15iterator_traitsISL_E10value_typeET2_T3_PNSM_ISR_E10value_typeET4_jRbjT5_SX_jjP12ihipStream_tbEUlT_E_NS1_11comp_targetILNS1_3genE10ELNS1_11target_archE1201ELNS1_3gpuE5ELNS1_3repE0EEENS1_30default_config_static_selectorELNS0_4arch9wavefront6targetE1EEEvSL_.num_agpr, 0
	.set _ZN7rocprim17ROCPRIM_400000_NS6detail17trampoline_kernelINS0_14default_configENS1_36segmented_radix_sort_config_selectorI12hip_bfloat16lEEZNS1_25segmented_radix_sort_implIS3_Lb1EPKS5_PS5_PKlPlN2at6native12_GLOBAL__N_18offset_tEEE10hipError_tPvRmT1_PNSt15iterator_traitsISL_E10value_typeET2_T3_PNSM_ISR_E10value_typeET4_jRbjT5_SX_jjP12ihipStream_tbEUlT_E_NS1_11comp_targetILNS1_3genE10ELNS1_11target_archE1201ELNS1_3gpuE5ELNS1_3repE0EEENS1_30default_config_static_selectorELNS0_4arch9wavefront6targetE1EEEvSL_.numbered_sgpr, 0
	.set _ZN7rocprim17ROCPRIM_400000_NS6detail17trampoline_kernelINS0_14default_configENS1_36segmented_radix_sort_config_selectorI12hip_bfloat16lEEZNS1_25segmented_radix_sort_implIS3_Lb1EPKS5_PS5_PKlPlN2at6native12_GLOBAL__N_18offset_tEEE10hipError_tPvRmT1_PNSt15iterator_traitsISL_E10value_typeET2_T3_PNSM_ISR_E10value_typeET4_jRbjT5_SX_jjP12ihipStream_tbEUlT_E_NS1_11comp_targetILNS1_3genE10ELNS1_11target_archE1201ELNS1_3gpuE5ELNS1_3repE0EEENS1_30default_config_static_selectorELNS0_4arch9wavefront6targetE1EEEvSL_.num_named_barrier, 0
	.set _ZN7rocprim17ROCPRIM_400000_NS6detail17trampoline_kernelINS0_14default_configENS1_36segmented_radix_sort_config_selectorI12hip_bfloat16lEEZNS1_25segmented_radix_sort_implIS3_Lb1EPKS5_PS5_PKlPlN2at6native12_GLOBAL__N_18offset_tEEE10hipError_tPvRmT1_PNSt15iterator_traitsISL_E10value_typeET2_T3_PNSM_ISR_E10value_typeET4_jRbjT5_SX_jjP12ihipStream_tbEUlT_E_NS1_11comp_targetILNS1_3genE10ELNS1_11target_archE1201ELNS1_3gpuE5ELNS1_3repE0EEENS1_30default_config_static_selectorELNS0_4arch9wavefront6targetE1EEEvSL_.private_seg_size, 0
	.set _ZN7rocprim17ROCPRIM_400000_NS6detail17trampoline_kernelINS0_14default_configENS1_36segmented_radix_sort_config_selectorI12hip_bfloat16lEEZNS1_25segmented_radix_sort_implIS3_Lb1EPKS5_PS5_PKlPlN2at6native12_GLOBAL__N_18offset_tEEE10hipError_tPvRmT1_PNSt15iterator_traitsISL_E10value_typeET2_T3_PNSM_ISR_E10value_typeET4_jRbjT5_SX_jjP12ihipStream_tbEUlT_E_NS1_11comp_targetILNS1_3genE10ELNS1_11target_archE1201ELNS1_3gpuE5ELNS1_3repE0EEENS1_30default_config_static_selectorELNS0_4arch9wavefront6targetE1EEEvSL_.uses_vcc, 0
	.set _ZN7rocprim17ROCPRIM_400000_NS6detail17trampoline_kernelINS0_14default_configENS1_36segmented_radix_sort_config_selectorI12hip_bfloat16lEEZNS1_25segmented_radix_sort_implIS3_Lb1EPKS5_PS5_PKlPlN2at6native12_GLOBAL__N_18offset_tEEE10hipError_tPvRmT1_PNSt15iterator_traitsISL_E10value_typeET2_T3_PNSM_ISR_E10value_typeET4_jRbjT5_SX_jjP12ihipStream_tbEUlT_E_NS1_11comp_targetILNS1_3genE10ELNS1_11target_archE1201ELNS1_3gpuE5ELNS1_3repE0EEENS1_30default_config_static_selectorELNS0_4arch9wavefront6targetE1EEEvSL_.uses_flat_scratch, 0
	.set _ZN7rocprim17ROCPRIM_400000_NS6detail17trampoline_kernelINS0_14default_configENS1_36segmented_radix_sort_config_selectorI12hip_bfloat16lEEZNS1_25segmented_radix_sort_implIS3_Lb1EPKS5_PS5_PKlPlN2at6native12_GLOBAL__N_18offset_tEEE10hipError_tPvRmT1_PNSt15iterator_traitsISL_E10value_typeET2_T3_PNSM_ISR_E10value_typeET4_jRbjT5_SX_jjP12ihipStream_tbEUlT_E_NS1_11comp_targetILNS1_3genE10ELNS1_11target_archE1201ELNS1_3gpuE5ELNS1_3repE0EEENS1_30default_config_static_selectorELNS0_4arch9wavefront6targetE1EEEvSL_.has_dyn_sized_stack, 0
	.set _ZN7rocprim17ROCPRIM_400000_NS6detail17trampoline_kernelINS0_14default_configENS1_36segmented_radix_sort_config_selectorI12hip_bfloat16lEEZNS1_25segmented_radix_sort_implIS3_Lb1EPKS5_PS5_PKlPlN2at6native12_GLOBAL__N_18offset_tEEE10hipError_tPvRmT1_PNSt15iterator_traitsISL_E10value_typeET2_T3_PNSM_ISR_E10value_typeET4_jRbjT5_SX_jjP12ihipStream_tbEUlT_E_NS1_11comp_targetILNS1_3genE10ELNS1_11target_archE1201ELNS1_3gpuE5ELNS1_3repE0EEENS1_30default_config_static_selectorELNS0_4arch9wavefront6targetE1EEEvSL_.has_recursion, 0
	.set _ZN7rocprim17ROCPRIM_400000_NS6detail17trampoline_kernelINS0_14default_configENS1_36segmented_radix_sort_config_selectorI12hip_bfloat16lEEZNS1_25segmented_radix_sort_implIS3_Lb1EPKS5_PS5_PKlPlN2at6native12_GLOBAL__N_18offset_tEEE10hipError_tPvRmT1_PNSt15iterator_traitsISL_E10value_typeET2_T3_PNSM_ISR_E10value_typeET4_jRbjT5_SX_jjP12ihipStream_tbEUlT_E_NS1_11comp_targetILNS1_3genE10ELNS1_11target_archE1201ELNS1_3gpuE5ELNS1_3repE0EEENS1_30default_config_static_selectorELNS0_4arch9wavefront6targetE1EEEvSL_.has_indirect_call, 0
	.section	.AMDGPU.csdata,"",@progbits
; Kernel info:
; codeLenInByte = 0
; TotalNumSgprs: 4
; NumVgprs: 0
; ScratchSize: 0
; MemoryBound: 0
; FloatMode: 240
; IeeeMode: 1
; LDSByteSize: 0 bytes/workgroup (compile time only)
; SGPRBlocks: 0
; VGPRBlocks: 0
; NumSGPRsForWavesPerEU: 4
; NumVGPRsForWavesPerEU: 1
; Occupancy: 10
; WaveLimiterHint : 0
; COMPUTE_PGM_RSRC2:SCRATCH_EN: 0
; COMPUTE_PGM_RSRC2:USER_SGPR: 6
; COMPUTE_PGM_RSRC2:TRAP_HANDLER: 0
; COMPUTE_PGM_RSRC2:TGID_X_EN: 1
; COMPUTE_PGM_RSRC2:TGID_Y_EN: 0
; COMPUTE_PGM_RSRC2:TGID_Z_EN: 0
; COMPUTE_PGM_RSRC2:TIDIG_COMP_CNT: 0
	.section	.text._ZN7rocprim17ROCPRIM_400000_NS6detail17trampoline_kernelINS0_14default_configENS1_36segmented_radix_sort_config_selectorI12hip_bfloat16lEEZNS1_25segmented_radix_sort_implIS3_Lb1EPKS5_PS5_PKlPlN2at6native12_GLOBAL__N_18offset_tEEE10hipError_tPvRmT1_PNSt15iterator_traitsISL_E10value_typeET2_T3_PNSM_ISR_E10value_typeET4_jRbjT5_SX_jjP12ihipStream_tbEUlT_E_NS1_11comp_targetILNS1_3genE10ELNS1_11target_archE1200ELNS1_3gpuE4ELNS1_3repE0EEENS1_30default_config_static_selectorELNS0_4arch9wavefront6targetE1EEEvSL_,"axG",@progbits,_ZN7rocprim17ROCPRIM_400000_NS6detail17trampoline_kernelINS0_14default_configENS1_36segmented_radix_sort_config_selectorI12hip_bfloat16lEEZNS1_25segmented_radix_sort_implIS3_Lb1EPKS5_PS5_PKlPlN2at6native12_GLOBAL__N_18offset_tEEE10hipError_tPvRmT1_PNSt15iterator_traitsISL_E10value_typeET2_T3_PNSM_ISR_E10value_typeET4_jRbjT5_SX_jjP12ihipStream_tbEUlT_E_NS1_11comp_targetILNS1_3genE10ELNS1_11target_archE1200ELNS1_3gpuE4ELNS1_3repE0EEENS1_30default_config_static_selectorELNS0_4arch9wavefront6targetE1EEEvSL_,comdat
	.globl	_ZN7rocprim17ROCPRIM_400000_NS6detail17trampoline_kernelINS0_14default_configENS1_36segmented_radix_sort_config_selectorI12hip_bfloat16lEEZNS1_25segmented_radix_sort_implIS3_Lb1EPKS5_PS5_PKlPlN2at6native12_GLOBAL__N_18offset_tEEE10hipError_tPvRmT1_PNSt15iterator_traitsISL_E10value_typeET2_T3_PNSM_ISR_E10value_typeET4_jRbjT5_SX_jjP12ihipStream_tbEUlT_E_NS1_11comp_targetILNS1_3genE10ELNS1_11target_archE1200ELNS1_3gpuE4ELNS1_3repE0EEENS1_30default_config_static_selectorELNS0_4arch9wavefront6targetE1EEEvSL_ ; -- Begin function _ZN7rocprim17ROCPRIM_400000_NS6detail17trampoline_kernelINS0_14default_configENS1_36segmented_radix_sort_config_selectorI12hip_bfloat16lEEZNS1_25segmented_radix_sort_implIS3_Lb1EPKS5_PS5_PKlPlN2at6native12_GLOBAL__N_18offset_tEEE10hipError_tPvRmT1_PNSt15iterator_traitsISL_E10value_typeET2_T3_PNSM_ISR_E10value_typeET4_jRbjT5_SX_jjP12ihipStream_tbEUlT_E_NS1_11comp_targetILNS1_3genE10ELNS1_11target_archE1200ELNS1_3gpuE4ELNS1_3repE0EEENS1_30default_config_static_selectorELNS0_4arch9wavefront6targetE1EEEvSL_
	.p2align	8
	.type	_ZN7rocprim17ROCPRIM_400000_NS6detail17trampoline_kernelINS0_14default_configENS1_36segmented_radix_sort_config_selectorI12hip_bfloat16lEEZNS1_25segmented_radix_sort_implIS3_Lb1EPKS5_PS5_PKlPlN2at6native12_GLOBAL__N_18offset_tEEE10hipError_tPvRmT1_PNSt15iterator_traitsISL_E10value_typeET2_T3_PNSM_ISR_E10value_typeET4_jRbjT5_SX_jjP12ihipStream_tbEUlT_E_NS1_11comp_targetILNS1_3genE10ELNS1_11target_archE1200ELNS1_3gpuE4ELNS1_3repE0EEENS1_30default_config_static_selectorELNS0_4arch9wavefront6targetE1EEEvSL_,@function
_ZN7rocprim17ROCPRIM_400000_NS6detail17trampoline_kernelINS0_14default_configENS1_36segmented_radix_sort_config_selectorI12hip_bfloat16lEEZNS1_25segmented_radix_sort_implIS3_Lb1EPKS5_PS5_PKlPlN2at6native12_GLOBAL__N_18offset_tEEE10hipError_tPvRmT1_PNSt15iterator_traitsISL_E10value_typeET2_T3_PNSM_ISR_E10value_typeET4_jRbjT5_SX_jjP12ihipStream_tbEUlT_E_NS1_11comp_targetILNS1_3genE10ELNS1_11target_archE1200ELNS1_3gpuE4ELNS1_3repE0EEENS1_30default_config_static_selectorELNS0_4arch9wavefront6targetE1EEEvSL_: ; @_ZN7rocprim17ROCPRIM_400000_NS6detail17trampoline_kernelINS0_14default_configENS1_36segmented_radix_sort_config_selectorI12hip_bfloat16lEEZNS1_25segmented_radix_sort_implIS3_Lb1EPKS5_PS5_PKlPlN2at6native12_GLOBAL__N_18offset_tEEE10hipError_tPvRmT1_PNSt15iterator_traitsISL_E10value_typeET2_T3_PNSM_ISR_E10value_typeET4_jRbjT5_SX_jjP12ihipStream_tbEUlT_E_NS1_11comp_targetILNS1_3genE10ELNS1_11target_archE1200ELNS1_3gpuE4ELNS1_3repE0EEENS1_30default_config_static_selectorELNS0_4arch9wavefront6targetE1EEEvSL_
; %bb.0:
	.section	.rodata,"a",@progbits
	.p2align	6, 0x0
	.amdhsa_kernel _ZN7rocprim17ROCPRIM_400000_NS6detail17trampoline_kernelINS0_14default_configENS1_36segmented_radix_sort_config_selectorI12hip_bfloat16lEEZNS1_25segmented_radix_sort_implIS3_Lb1EPKS5_PS5_PKlPlN2at6native12_GLOBAL__N_18offset_tEEE10hipError_tPvRmT1_PNSt15iterator_traitsISL_E10value_typeET2_T3_PNSM_ISR_E10value_typeET4_jRbjT5_SX_jjP12ihipStream_tbEUlT_E_NS1_11comp_targetILNS1_3genE10ELNS1_11target_archE1200ELNS1_3gpuE4ELNS1_3repE0EEENS1_30default_config_static_selectorELNS0_4arch9wavefront6targetE1EEEvSL_
		.amdhsa_group_segment_fixed_size 0
		.amdhsa_private_segment_fixed_size 0
		.amdhsa_kernarg_size 96
		.amdhsa_user_sgpr_count 6
		.amdhsa_user_sgpr_private_segment_buffer 1
		.amdhsa_user_sgpr_dispatch_ptr 0
		.amdhsa_user_sgpr_queue_ptr 0
		.amdhsa_user_sgpr_kernarg_segment_ptr 1
		.amdhsa_user_sgpr_dispatch_id 0
		.amdhsa_user_sgpr_flat_scratch_init 0
		.amdhsa_user_sgpr_private_segment_size 0
		.amdhsa_uses_dynamic_stack 0
		.amdhsa_system_sgpr_private_segment_wavefront_offset 0
		.amdhsa_system_sgpr_workgroup_id_x 1
		.amdhsa_system_sgpr_workgroup_id_y 0
		.amdhsa_system_sgpr_workgroup_id_z 0
		.amdhsa_system_sgpr_workgroup_info 0
		.amdhsa_system_vgpr_workitem_id 0
		.amdhsa_next_free_vgpr 1
		.amdhsa_next_free_sgpr 0
		.amdhsa_reserve_vcc 0
		.amdhsa_reserve_flat_scratch 0
		.amdhsa_float_round_mode_32 0
		.amdhsa_float_round_mode_16_64 0
		.amdhsa_float_denorm_mode_32 3
		.amdhsa_float_denorm_mode_16_64 3
		.amdhsa_dx10_clamp 1
		.amdhsa_ieee_mode 1
		.amdhsa_fp16_overflow 0
		.amdhsa_exception_fp_ieee_invalid_op 0
		.amdhsa_exception_fp_denorm_src 0
		.amdhsa_exception_fp_ieee_div_zero 0
		.amdhsa_exception_fp_ieee_overflow 0
		.amdhsa_exception_fp_ieee_underflow 0
		.amdhsa_exception_fp_ieee_inexact 0
		.amdhsa_exception_int_div_zero 0
	.end_amdhsa_kernel
	.section	.text._ZN7rocprim17ROCPRIM_400000_NS6detail17trampoline_kernelINS0_14default_configENS1_36segmented_radix_sort_config_selectorI12hip_bfloat16lEEZNS1_25segmented_radix_sort_implIS3_Lb1EPKS5_PS5_PKlPlN2at6native12_GLOBAL__N_18offset_tEEE10hipError_tPvRmT1_PNSt15iterator_traitsISL_E10value_typeET2_T3_PNSM_ISR_E10value_typeET4_jRbjT5_SX_jjP12ihipStream_tbEUlT_E_NS1_11comp_targetILNS1_3genE10ELNS1_11target_archE1200ELNS1_3gpuE4ELNS1_3repE0EEENS1_30default_config_static_selectorELNS0_4arch9wavefront6targetE1EEEvSL_,"axG",@progbits,_ZN7rocprim17ROCPRIM_400000_NS6detail17trampoline_kernelINS0_14default_configENS1_36segmented_radix_sort_config_selectorI12hip_bfloat16lEEZNS1_25segmented_radix_sort_implIS3_Lb1EPKS5_PS5_PKlPlN2at6native12_GLOBAL__N_18offset_tEEE10hipError_tPvRmT1_PNSt15iterator_traitsISL_E10value_typeET2_T3_PNSM_ISR_E10value_typeET4_jRbjT5_SX_jjP12ihipStream_tbEUlT_E_NS1_11comp_targetILNS1_3genE10ELNS1_11target_archE1200ELNS1_3gpuE4ELNS1_3repE0EEENS1_30default_config_static_selectorELNS0_4arch9wavefront6targetE1EEEvSL_,comdat
.Lfunc_end1953:
	.size	_ZN7rocprim17ROCPRIM_400000_NS6detail17trampoline_kernelINS0_14default_configENS1_36segmented_radix_sort_config_selectorI12hip_bfloat16lEEZNS1_25segmented_radix_sort_implIS3_Lb1EPKS5_PS5_PKlPlN2at6native12_GLOBAL__N_18offset_tEEE10hipError_tPvRmT1_PNSt15iterator_traitsISL_E10value_typeET2_T3_PNSM_ISR_E10value_typeET4_jRbjT5_SX_jjP12ihipStream_tbEUlT_E_NS1_11comp_targetILNS1_3genE10ELNS1_11target_archE1200ELNS1_3gpuE4ELNS1_3repE0EEENS1_30default_config_static_selectorELNS0_4arch9wavefront6targetE1EEEvSL_, .Lfunc_end1953-_ZN7rocprim17ROCPRIM_400000_NS6detail17trampoline_kernelINS0_14default_configENS1_36segmented_radix_sort_config_selectorI12hip_bfloat16lEEZNS1_25segmented_radix_sort_implIS3_Lb1EPKS5_PS5_PKlPlN2at6native12_GLOBAL__N_18offset_tEEE10hipError_tPvRmT1_PNSt15iterator_traitsISL_E10value_typeET2_T3_PNSM_ISR_E10value_typeET4_jRbjT5_SX_jjP12ihipStream_tbEUlT_E_NS1_11comp_targetILNS1_3genE10ELNS1_11target_archE1200ELNS1_3gpuE4ELNS1_3repE0EEENS1_30default_config_static_selectorELNS0_4arch9wavefront6targetE1EEEvSL_
                                        ; -- End function
	.set _ZN7rocprim17ROCPRIM_400000_NS6detail17trampoline_kernelINS0_14default_configENS1_36segmented_radix_sort_config_selectorI12hip_bfloat16lEEZNS1_25segmented_radix_sort_implIS3_Lb1EPKS5_PS5_PKlPlN2at6native12_GLOBAL__N_18offset_tEEE10hipError_tPvRmT1_PNSt15iterator_traitsISL_E10value_typeET2_T3_PNSM_ISR_E10value_typeET4_jRbjT5_SX_jjP12ihipStream_tbEUlT_E_NS1_11comp_targetILNS1_3genE10ELNS1_11target_archE1200ELNS1_3gpuE4ELNS1_3repE0EEENS1_30default_config_static_selectorELNS0_4arch9wavefront6targetE1EEEvSL_.num_vgpr, 0
	.set _ZN7rocprim17ROCPRIM_400000_NS6detail17trampoline_kernelINS0_14default_configENS1_36segmented_radix_sort_config_selectorI12hip_bfloat16lEEZNS1_25segmented_radix_sort_implIS3_Lb1EPKS5_PS5_PKlPlN2at6native12_GLOBAL__N_18offset_tEEE10hipError_tPvRmT1_PNSt15iterator_traitsISL_E10value_typeET2_T3_PNSM_ISR_E10value_typeET4_jRbjT5_SX_jjP12ihipStream_tbEUlT_E_NS1_11comp_targetILNS1_3genE10ELNS1_11target_archE1200ELNS1_3gpuE4ELNS1_3repE0EEENS1_30default_config_static_selectorELNS0_4arch9wavefront6targetE1EEEvSL_.num_agpr, 0
	.set _ZN7rocprim17ROCPRIM_400000_NS6detail17trampoline_kernelINS0_14default_configENS1_36segmented_radix_sort_config_selectorI12hip_bfloat16lEEZNS1_25segmented_radix_sort_implIS3_Lb1EPKS5_PS5_PKlPlN2at6native12_GLOBAL__N_18offset_tEEE10hipError_tPvRmT1_PNSt15iterator_traitsISL_E10value_typeET2_T3_PNSM_ISR_E10value_typeET4_jRbjT5_SX_jjP12ihipStream_tbEUlT_E_NS1_11comp_targetILNS1_3genE10ELNS1_11target_archE1200ELNS1_3gpuE4ELNS1_3repE0EEENS1_30default_config_static_selectorELNS0_4arch9wavefront6targetE1EEEvSL_.numbered_sgpr, 0
	.set _ZN7rocprim17ROCPRIM_400000_NS6detail17trampoline_kernelINS0_14default_configENS1_36segmented_radix_sort_config_selectorI12hip_bfloat16lEEZNS1_25segmented_radix_sort_implIS3_Lb1EPKS5_PS5_PKlPlN2at6native12_GLOBAL__N_18offset_tEEE10hipError_tPvRmT1_PNSt15iterator_traitsISL_E10value_typeET2_T3_PNSM_ISR_E10value_typeET4_jRbjT5_SX_jjP12ihipStream_tbEUlT_E_NS1_11comp_targetILNS1_3genE10ELNS1_11target_archE1200ELNS1_3gpuE4ELNS1_3repE0EEENS1_30default_config_static_selectorELNS0_4arch9wavefront6targetE1EEEvSL_.num_named_barrier, 0
	.set _ZN7rocprim17ROCPRIM_400000_NS6detail17trampoline_kernelINS0_14default_configENS1_36segmented_radix_sort_config_selectorI12hip_bfloat16lEEZNS1_25segmented_radix_sort_implIS3_Lb1EPKS5_PS5_PKlPlN2at6native12_GLOBAL__N_18offset_tEEE10hipError_tPvRmT1_PNSt15iterator_traitsISL_E10value_typeET2_T3_PNSM_ISR_E10value_typeET4_jRbjT5_SX_jjP12ihipStream_tbEUlT_E_NS1_11comp_targetILNS1_3genE10ELNS1_11target_archE1200ELNS1_3gpuE4ELNS1_3repE0EEENS1_30default_config_static_selectorELNS0_4arch9wavefront6targetE1EEEvSL_.private_seg_size, 0
	.set _ZN7rocprim17ROCPRIM_400000_NS6detail17trampoline_kernelINS0_14default_configENS1_36segmented_radix_sort_config_selectorI12hip_bfloat16lEEZNS1_25segmented_radix_sort_implIS3_Lb1EPKS5_PS5_PKlPlN2at6native12_GLOBAL__N_18offset_tEEE10hipError_tPvRmT1_PNSt15iterator_traitsISL_E10value_typeET2_T3_PNSM_ISR_E10value_typeET4_jRbjT5_SX_jjP12ihipStream_tbEUlT_E_NS1_11comp_targetILNS1_3genE10ELNS1_11target_archE1200ELNS1_3gpuE4ELNS1_3repE0EEENS1_30default_config_static_selectorELNS0_4arch9wavefront6targetE1EEEvSL_.uses_vcc, 0
	.set _ZN7rocprim17ROCPRIM_400000_NS6detail17trampoline_kernelINS0_14default_configENS1_36segmented_radix_sort_config_selectorI12hip_bfloat16lEEZNS1_25segmented_radix_sort_implIS3_Lb1EPKS5_PS5_PKlPlN2at6native12_GLOBAL__N_18offset_tEEE10hipError_tPvRmT1_PNSt15iterator_traitsISL_E10value_typeET2_T3_PNSM_ISR_E10value_typeET4_jRbjT5_SX_jjP12ihipStream_tbEUlT_E_NS1_11comp_targetILNS1_3genE10ELNS1_11target_archE1200ELNS1_3gpuE4ELNS1_3repE0EEENS1_30default_config_static_selectorELNS0_4arch9wavefront6targetE1EEEvSL_.uses_flat_scratch, 0
	.set _ZN7rocprim17ROCPRIM_400000_NS6detail17trampoline_kernelINS0_14default_configENS1_36segmented_radix_sort_config_selectorI12hip_bfloat16lEEZNS1_25segmented_radix_sort_implIS3_Lb1EPKS5_PS5_PKlPlN2at6native12_GLOBAL__N_18offset_tEEE10hipError_tPvRmT1_PNSt15iterator_traitsISL_E10value_typeET2_T3_PNSM_ISR_E10value_typeET4_jRbjT5_SX_jjP12ihipStream_tbEUlT_E_NS1_11comp_targetILNS1_3genE10ELNS1_11target_archE1200ELNS1_3gpuE4ELNS1_3repE0EEENS1_30default_config_static_selectorELNS0_4arch9wavefront6targetE1EEEvSL_.has_dyn_sized_stack, 0
	.set _ZN7rocprim17ROCPRIM_400000_NS6detail17trampoline_kernelINS0_14default_configENS1_36segmented_radix_sort_config_selectorI12hip_bfloat16lEEZNS1_25segmented_radix_sort_implIS3_Lb1EPKS5_PS5_PKlPlN2at6native12_GLOBAL__N_18offset_tEEE10hipError_tPvRmT1_PNSt15iterator_traitsISL_E10value_typeET2_T3_PNSM_ISR_E10value_typeET4_jRbjT5_SX_jjP12ihipStream_tbEUlT_E_NS1_11comp_targetILNS1_3genE10ELNS1_11target_archE1200ELNS1_3gpuE4ELNS1_3repE0EEENS1_30default_config_static_selectorELNS0_4arch9wavefront6targetE1EEEvSL_.has_recursion, 0
	.set _ZN7rocprim17ROCPRIM_400000_NS6detail17trampoline_kernelINS0_14default_configENS1_36segmented_radix_sort_config_selectorI12hip_bfloat16lEEZNS1_25segmented_radix_sort_implIS3_Lb1EPKS5_PS5_PKlPlN2at6native12_GLOBAL__N_18offset_tEEE10hipError_tPvRmT1_PNSt15iterator_traitsISL_E10value_typeET2_T3_PNSM_ISR_E10value_typeET4_jRbjT5_SX_jjP12ihipStream_tbEUlT_E_NS1_11comp_targetILNS1_3genE10ELNS1_11target_archE1200ELNS1_3gpuE4ELNS1_3repE0EEENS1_30default_config_static_selectorELNS0_4arch9wavefront6targetE1EEEvSL_.has_indirect_call, 0
	.section	.AMDGPU.csdata,"",@progbits
; Kernel info:
; codeLenInByte = 0
; TotalNumSgprs: 4
; NumVgprs: 0
; ScratchSize: 0
; MemoryBound: 0
; FloatMode: 240
; IeeeMode: 1
; LDSByteSize: 0 bytes/workgroup (compile time only)
; SGPRBlocks: 0
; VGPRBlocks: 0
; NumSGPRsForWavesPerEU: 4
; NumVGPRsForWavesPerEU: 1
; Occupancy: 10
; WaveLimiterHint : 0
; COMPUTE_PGM_RSRC2:SCRATCH_EN: 0
; COMPUTE_PGM_RSRC2:USER_SGPR: 6
; COMPUTE_PGM_RSRC2:TRAP_HANDLER: 0
; COMPUTE_PGM_RSRC2:TGID_X_EN: 1
; COMPUTE_PGM_RSRC2:TGID_Y_EN: 0
; COMPUTE_PGM_RSRC2:TGID_Z_EN: 0
; COMPUTE_PGM_RSRC2:TIDIG_COMP_CNT: 0
	.section	.text._ZN7rocprim17ROCPRIM_400000_NS6detail17trampoline_kernelINS0_14default_configENS1_36segmented_radix_sort_config_selectorI12hip_bfloat16lEEZNS1_25segmented_radix_sort_implIS3_Lb1EPKS5_PS5_PKlPlN2at6native12_GLOBAL__N_18offset_tEEE10hipError_tPvRmT1_PNSt15iterator_traitsISL_E10value_typeET2_T3_PNSM_ISR_E10value_typeET4_jRbjT5_SX_jjP12ihipStream_tbEUlT_E_NS1_11comp_targetILNS1_3genE9ELNS1_11target_archE1100ELNS1_3gpuE3ELNS1_3repE0EEENS1_30default_config_static_selectorELNS0_4arch9wavefront6targetE1EEEvSL_,"axG",@progbits,_ZN7rocprim17ROCPRIM_400000_NS6detail17trampoline_kernelINS0_14default_configENS1_36segmented_radix_sort_config_selectorI12hip_bfloat16lEEZNS1_25segmented_radix_sort_implIS3_Lb1EPKS5_PS5_PKlPlN2at6native12_GLOBAL__N_18offset_tEEE10hipError_tPvRmT1_PNSt15iterator_traitsISL_E10value_typeET2_T3_PNSM_ISR_E10value_typeET4_jRbjT5_SX_jjP12ihipStream_tbEUlT_E_NS1_11comp_targetILNS1_3genE9ELNS1_11target_archE1100ELNS1_3gpuE3ELNS1_3repE0EEENS1_30default_config_static_selectorELNS0_4arch9wavefront6targetE1EEEvSL_,comdat
	.globl	_ZN7rocprim17ROCPRIM_400000_NS6detail17trampoline_kernelINS0_14default_configENS1_36segmented_radix_sort_config_selectorI12hip_bfloat16lEEZNS1_25segmented_radix_sort_implIS3_Lb1EPKS5_PS5_PKlPlN2at6native12_GLOBAL__N_18offset_tEEE10hipError_tPvRmT1_PNSt15iterator_traitsISL_E10value_typeET2_T3_PNSM_ISR_E10value_typeET4_jRbjT5_SX_jjP12ihipStream_tbEUlT_E_NS1_11comp_targetILNS1_3genE9ELNS1_11target_archE1100ELNS1_3gpuE3ELNS1_3repE0EEENS1_30default_config_static_selectorELNS0_4arch9wavefront6targetE1EEEvSL_ ; -- Begin function _ZN7rocprim17ROCPRIM_400000_NS6detail17trampoline_kernelINS0_14default_configENS1_36segmented_radix_sort_config_selectorI12hip_bfloat16lEEZNS1_25segmented_radix_sort_implIS3_Lb1EPKS5_PS5_PKlPlN2at6native12_GLOBAL__N_18offset_tEEE10hipError_tPvRmT1_PNSt15iterator_traitsISL_E10value_typeET2_T3_PNSM_ISR_E10value_typeET4_jRbjT5_SX_jjP12ihipStream_tbEUlT_E_NS1_11comp_targetILNS1_3genE9ELNS1_11target_archE1100ELNS1_3gpuE3ELNS1_3repE0EEENS1_30default_config_static_selectorELNS0_4arch9wavefront6targetE1EEEvSL_
	.p2align	8
	.type	_ZN7rocprim17ROCPRIM_400000_NS6detail17trampoline_kernelINS0_14default_configENS1_36segmented_radix_sort_config_selectorI12hip_bfloat16lEEZNS1_25segmented_radix_sort_implIS3_Lb1EPKS5_PS5_PKlPlN2at6native12_GLOBAL__N_18offset_tEEE10hipError_tPvRmT1_PNSt15iterator_traitsISL_E10value_typeET2_T3_PNSM_ISR_E10value_typeET4_jRbjT5_SX_jjP12ihipStream_tbEUlT_E_NS1_11comp_targetILNS1_3genE9ELNS1_11target_archE1100ELNS1_3gpuE3ELNS1_3repE0EEENS1_30default_config_static_selectorELNS0_4arch9wavefront6targetE1EEEvSL_,@function
_ZN7rocprim17ROCPRIM_400000_NS6detail17trampoline_kernelINS0_14default_configENS1_36segmented_radix_sort_config_selectorI12hip_bfloat16lEEZNS1_25segmented_radix_sort_implIS3_Lb1EPKS5_PS5_PKlPlN2at6native12_GLOBAL__N_18offset_tEEE10hipError_tPvRmT1_PNSt15iterator_traitsISL_E10value_typeET2_T3_PNSM_ISR_E10value_typeET4_jRbjT5_SX_jjP12ihipStream_tbEUlT_E_NS1_11comp_targetILNS1_3genE9ELNS1_11target_archE1100ELNS1_3gpuE3ELNS1_3repE0EEENS1_30default_config_static_selectorELNS0_4arch9wavefront6targetE1EEEvSL_: ; @_ZN7rocprim17ROCPRIM_400000_NS6detail17trampoline_kernelINS0_14default_configENS1_36segmented_radix_sort_config_selectorI12hip_bfloat16lEEZNS1_25segmented_radix_sort_implIS3_Lb1EPKS5_PS5_PKlPlN2at6native12_GLOBAL__N_18offset_tEEE10hipError_tPvRmT1_PNSt15iterator_traitsISL_E10value_typeET2_T3_PNSM_ISR_E10value_typeET4_jRbjT5_SX_jjP12ihipStream_tbEUlT_E_NS1_11comp_targetILNS1_3genE9ELNS1_11target_archE1100ELNS1_3gpuE3ELNS1_3repE0EEENS1_30default_config_static_selectorELNS0_4arch9wavefront6targetE1EEEvSL_
; %bb.0:
	.section	.rodata,"a",@progbits
	.p2align	6, 0x0
	.amdhsa_kernel _ZN7rocprim17ROCPRIM_400000_NS6detail17trampoline_kernelINS0_14default_configENS1_36segmented_radix_sort_config_selectorI12hip_bfloat16lEEZNS1_25segmented_radix_sort_implIS3_Lb1EPKS5_PS5_PKlPlN2at6native12_GLOBAL__N_18offset_tEEE10hipError_tPvRmT1_PNSt15iterator_traitsISL_E10value_typeET2_T3_PNSM_ISR_E10value_typeET4_jRbjT5_SX_jjP12ihipStream_tbEUlT_E_NS1_11comp_targetILNS1_3genE9ELNS1_11target_archE1100ELNS1_3gpuE3ELNS1_3repE0EEENS1_30default_config_static_selectorELNS0_4arch9wavefront6targetE1EEEvSL_
		.amdhsa_group_segment_fixed_size 0
		.amdhsa_private_segment_fixed_size 0
		.amdhsa_kernarg_size 96
		.amdhsa_user_sgpr_count 6
		.amdhsa_user_sgpr_private_segment_buffer 1
		.amdhsa_user_sgpr_dispatch_ptr 0
		.amdhsa_user_sgpr_queue_ptr 0
		.amdhsa_user_sgpr_kernarg_segment_ptr 1
		.amdhsa_user_sgpr_dispatch_id 0
		.amdhsa_user_sgpr_flat_scratch_init 0
		.amdhsa_user_sgpr_private_segment_size 0
		.amdhsa_uses_dynamic_stack 0
		.amdhsa_system_sgpr_private_segment_wavefront_offset 0
		.amdhsa_system_sgpr_workgroup_id_x 1
		.amdhsa_system_sgpr_workgroup_id_y 0
		.amdhsa_system_sgpr_workgroup_id_z 0
		.amdhsa_system_sgpr_workgroup_info 0
		.amdhsa_system_vgpr_workitem_id 0
		.amdhsa_next_free_vgpr 1
		.amdhsa_next_free_sgpr 0
		.amdhsa_reserve_vcc 0
		.amdhsa_reserve_flat_scratch 0
		.amdhsa_float_round_mode_32 0
		.amdhsa_float_round_mode_16_64 0
		.amdhsa_float_denorm_mode_32 3
		.amdhsa_float_denorm_mode_16_64 3
		.amdhsa_dx10_clamp 1
		.amdhsa_ieee_mode 1
		.amdhsa_fp16_overflow 0
		.amdhsa_exception_fp_ieee_invalid_op 0
		.amdhsa_exception_fp_denorm_src 0
		.amdhsa_exception_fp_ieee_div_zero 0
		.amdhsa_exception_fp_ieee_overflow 0
		.amdhsa_exception_fp_ieee_underflow 0
		.amdhsa_exception_fp_ieee_inexact 0
		.amdhsa_exception_int_div_zero 0
	.end_amdhsa_kernel
	.section	.text._ZN7rocprim17ROCPRIM_400000_NS6detail17trampoline_kernelINS0_14default_configENS1_36segmented_radix_sort_config_selectorI12hip_bfloat16lEEZNS1_25segmented_radix_sort_implIS3_Lb1EPKS5_PS5_PKlPlN2at6native12_GLOBAL__N_18offset_tEEE10hipError_tPvRmT1_PNSt15iterator_traitsISL_E10value_typeET2_T3_PNSM_ISR_E10value_typeET4_jRbjT5_SX_jjP12ihipStream_tbEUlT_E_NS1_11comp_targetILNS1_3genE9ELNS1_11target_archE1100ELNS1_3gpuE3ELNS1_3repE0EEENS1_30default_config_static_selectorELNS0_4arch9wavefront6targetE1EEEvSL_,"axG",@progbits,_ZN7rocprim17ROCPRIM_400000_NS6detail17trampoline_kernelINS0_14default_configENS1_36segmented_radix_sort_config_selectorI12hip_bfloat16lEEZNS1_25segmented_radix_sort_implIS3_Lb1EPKS5_PS5_PKlPlN2at6native12_GLOBAL__N_18offset_tEEE10hipError_tPvRmT1_PNSt15iterator_traitsISL_E10value_typeET2_T3_PNSM_ISR_E10value_typeET4_jRbjT5_SX_jjP12ihipStream_tbEUlT_E_NS1_11comp_targetILNS1_3genE9ELNS1_11target_archE1100ELNS1_3gpuE3ELNS1_3repE0EEENS1_30default_config_static_selectorELNS0_4arch9wavefront6targetE1EEEvSL_,comdat
.Lfunc_end1954:
	.size	_ZN7rocprim17ROCPRIM_400000_NS6detail17trampoline_kernelINS0_14default_configENS1_36segmented_radix_sort_config_selectorI12hip_bfloat16lEEZNS1_25segmented_radix_sort_implIS3_Lb1EPKS5_PS5_PKlPlN2at6native12_GLOBAL__N_18offset_tEEE10hipError_tPvRmT1_PNSt15iterator_traitsISL_E10value_typeET2_T3_PNSM_ISR_E10value_typeET4_jRbjT5_SX_jjP12ihipStream_tbEUlT_E_NS1_11comp_targetILNS1_3genE9ELNS1_11target_archE1100ELNS1_3gpuE3ELNS1_3repE0EEENS1_30default_config_static_selectorELNS0_4arch9wavefront6targetE1EEEvSL_, .Lfunc_end1954-_ZN7rocprim17ROCPRIM_400000_NS6detail17trampoline_kernelINS0_14default_configENS1_36segmented_radix_sort_config_selectorI12hip_bfloat16lEEZNS1_25segmented_radix_sort_implIS3_Lb1EPKS5_PS5_PKlPlN2at6native12_GLOBAL__N_18offset_tEEE10hipError_tPvRmT1_PNSt15iterator_traitsISL_E10value_typeET2_T3_PNSM_ISR_E10value_typeET4_jRbjT5_SX_jjP12ihipStream_tbEUlT_E_NS1_11comp_targetILNS1_3genE9ELNS1_11target_archE1100ELNS1_3gpuE3ELNS1_3repE0EEENS1_30default_config_static_selectorELNS0_4arch9wavefront6targetE1EEEvSL_
                                        ; -- End function
	.set _ZN7rocprim17ROCPRIM_400000_NS6detail17trampoline_kernelINS0_14default_configENS1_36segmented_radix_sort_config_selectorI12hip_bfloat16lEEZNS1_25segmented_radix_sort_implIS3_Lb1EPKS5_PS5_PKlPlN2at6native12_GLOBAL__N_18offset_tEEE10hipError_tPvRmT1_PNSt15iterator_traitsISL_E10value_typeET2_T3_PNSM_ISR_E10value_typeET4_jRbjT5_SX_jjP12ihipStream_tbEUlT_E_NS1_11comp_targetILNS1_3genE9ELNS1_11target_archE1100ELNS1_3gpuE3ELNS1_3repE0EEENS1_30default_config_static_selectorELNS0_4arch9wavefront6targetE1EEEvSL_.num_vgpr, 0
	.set _ZN7rocprim17ROCPRIM_400000_NS6detail17trampoline_kernelINS0_14default_configENS1_36segmented_radix_sort_config_selectorI12hip_bfloat16lEEZNS1_25segmented_radix_sort_implIS3_Lb1EPKS5_PS5_PKlPlN2at6native12_GLOBAL__N_18offset_tEEE10hipError_tPvRmT1_PNSt15iterator_traitsISL_E10value_typeET2_T3_PNSM_ISR_E10value_typeET4_jRbjT5_SX_jjP12ihipStream_tbEUlT_E_NS1_11comp_targetILNS1_3genE9ELNS1_11target_archE1100ELNS1_3gpuE3ELNS1_3repE0EEENS1_30default_config_static_selectorELNS0_4arch9wavefront6targetE1EEEvSL_.num_agpr, 0
	.set _ZN7rocprim17ROCPRIM_400000_NS6detail17trampoline_kernelINS0_14default_configENS1_36segmented_radix_sort_config_selectorI12hip_bfloat16lEEZNS1_25segmented_radix_sort_implIS3_Lb1EPKS5_PS5_PKlPlN2at6native12_GLOBAL__N_18offset_tEEE10hipError_tPvRmT1_PNSt15iterator_traitsISL_E10value_typeET2_T3_PNSM_ISR_E10value_typeET4_jRbjT5_SX_jjP12ihipStream_tbEUlT_E_NS1_11comp_targetILNS1_3genE9ELNS1_11target_archE1100ELNS1_3gpuE3ELNS1_3repE0EEENS1_30default_config_static_selectorELNS0_4arch9wavefront6targetE1EEEvSL_.numbered_sgpr, 0
	.set _ZN7rocprim17ROCPRIM_400000_NS6detail17trampoline_kernelINS0_14default_configENS1_36segmented_radix_sort_config_selectorI12hip_bfloat16lEEZNS1_25segmented_radix_sort_implIS3_Lb1EPKS5_PS5_PKlPlN2at6native12_GLOBAL__N_18offset_tEEE10hipError_tPvRmT1_PNSt15iterator_traitsISL_E10value_typeET2_T3_PNSM_ISR_E10value_typeET4_jRbjT5_SX_jjP12ihipStream_tbEUlT_E_NS1_11comp_targetILNS1_3genE9ELNS1_11target_archE1100ELNS1_3gpuE3ELNS1_3repE0EEENS1_30default_config_static_selectorELNS0_4arch9wavefront6targetE1EEEvSL_.num_named_barrier, 0
	.set _ZN7rocprim17ROCPRIM_400000_NS6detail17trampoline_kernelINS0_14default_configENS1_36segmented_radix_sort_config_selectorI12hip_bfloat16lEEZNS1_25segmented_radix_sort_implIS3_Lb1EPKS5_PS5_PKlPlN2at6native12_GLOBAL__N_18offset_tEEE10hipError_tPvRmT1_PNSt15iterator_traitsISL_E10value_typeET2_T3_PNSM_ISR_E10value_typeET4_jRbjT5_SX_jjP12ihipStream_tbEUlT_E_NS1_11comp_targetILNS1_3genE9ELNS1_11target_archE1100ELNS1_3gpuE3ELNS1_3repE0EEENS1_30default_config_static_selectorELNS0_4arch9wavefront6targetE1EEEvSL_.private_seg_size, 0
	.set _ZN7rocprim17ROCPRIM_400000_NS6detail17trampoline_kernelINS0_14default_configENS1_36segmented_radix_sort_config_selectorI12hip_bfloat16lEEZNS1_25segmented_radix_sort_implIS3_Lb1EPKS5_PS5_PKlPlN2at6native12_GLOBAL__N_18offset_tEEE10hipError_tPvRmT1_PNSt15iterator_traitsISL_E10value_typeET2_T3_PNSM_ISR_E10value_typeET4_jRbjT5_SX_jjP12ihipStream_tbEUlT_E_NS1_11comp_targetILNS1_3genE9ELNS1_11target_archE1100ELNS1_3gpuE3ELNS1_3repE0EEENS1_30default_config_static_selectorELNS0_4arch9wavefront6targetE1EEEvSL_.uses_vcc, 0
	.set _ZN7rocprim17ROCPRIM_400000_NS6detail17trampoline_kernelINS0_14default_configENS1_36segmented_radix_sort_config_selectorI12hip_bfloat16lEEZNS1_25segmented_radix_sort_implIS3_Lb1EPKS5_PS5_PKlPlN2at6native12_GLOBAL__N_18offset_tEEE10hipError_tPvRmT1_PNSt15iterator_traitsISL_E10value_typeET2_T3_PNSM_ISR_E10value_typeET4_jRbjT5_SX_jjP12ihipStream_tbEUlT_E_NS1_11comp_targetILNS1_3genE9ELNS1_11target_archE1100ELNS1_3gpuE3ELNS1_3repE0EEENS1_30default_config_static_selectorELNS0_4arch9wavefront6targetE1EEEvSL_.uses_flat_scratch, 0
	.set _ZN7rocprim17ROCPRIM_400000_NS6detail17trampoline_kernelINS0_14default_configENS1_36segmented_radix_sort_config_selectorI12hip_bfloat16lEEZNS1_25segmented_radix_sort_implIS3_Lb1EPKS5_PS5_PKlPlN2at6native12_GLOBAL__N_18offset_tEEE10hipError_tPvRmT1_PNSt15iterator_traitsISL_E10value_typeET2_T3_PNSM_ISR_E10value_typeET4_jRbjT5_SX_jjP12ihipStream_tbEUlT_E_NS1_11comp_targetILNS1_3genE9ELNS1_11target_archE1100ELNS1_3gpuE3ELNS1_3repE0EEENS1_30default_config_static_selectorELNS0_4arch9wavefront6targetE1EEEvSL_.has_dyn_sized_stack, 0
	.set _ZN7rocprim17ROCPRIM_400000_NS6detail17trampoline_kernelINS0_14default_configENS1_36segmented_radix_sort_config_selectorI12hip_bfloat16lEEZNS1_25segmented_radix_sort_implIS3_Lb1EPKS5_PS5_PKlPlN2at6native12_GLOBAL__N_18offset_tEEE10hipError_tPvRmT1_PNSt15iterator_traitsISL_E10value_typeET2_T3_PNSM_ISR_E10value_typeET4_jRbjT5_SX_jjP12ihipStream_tbEUlT_E_NS1_11comp_targetILNS1_3genE9ELNS1_11target_archE1100ELNS1_3gpuE3ELNS1_3repE0EEENS1_30default_config_static_selectorELNS0_4arch9wavefront6targetE1EEEvSL_.has_recursion, 0
	.set _ZN7rocprim17ROCPRIM_400000_NS6detail17trampoline_kernelINS0_14default_configENS1_36segmented_radix_sort_config_selectorI12hip_bfloat16lEEZNS1_25segmented_radix_sort_implIS3_Lb1EPKS5_PS5_PKlPlN2at6native12_GLOBAL__N_18offset_tEEE10hipError_tPvRmT1_PNSt15iterator_traitsISL_E10value_typeET2_T3_PNSM_ISR_E10value_typeET4_jRbjT5_SX_jjP12ihipStream_tbEUlT_E_NS1_11comp_targetILNS1_3genE9ELNS1_11target_archE1100ELNS1_3gpuE3ELNS1_3repE0EEENS1_30default_config_static_selectorELNS0_4arch9wavefront6targetE1EEEvSL_.has_indirect_call, 0
	.section	.AMDGPU.csdata,"",@progbits
; Kernel info:
; codeLenInByte = 0
; TotalNumSgprs: 4
; NumVgprs: 0
; ScratchSize: 0
; MemoryBound: 0
; FloatMode: 240
; IeeeMode: 1
; LDSByteSize: 0 bytes/workgroup (compile time only)
; SGPRBlocks: 0
; VGPRBlocks: 0
; NumSGPRsForWavesPerEU: 4
; NumVGPRsForWavesPerEU: 1
; Occupancy: 10
; WaveLimiterHint : 0
; COMPUTE_PGM_RSRC2:SCRATCH_EN: 0
; COMPUTE_PGM_RSRC2:USER_SGPR: 6
; COMPUTE_PGM_RSRC2:TRAP_HANDLER: 0
; COMPUTE_PGM_RSRC2:TGID_X_EN: 1
; COMPUTE_PGM_RSRC2:TGID_Y_EN: 0
; COMPUTE_PGM_RSRC2:TGID_Z_EN: 0
; COMPUTE_PGM_RSRC2:TIDIG_COMP_CNT: 0
	.section	.text._ZN7rocprim17ROCPRIM_400000_NS6detail17trampoline_kernelINS0_14default_configENS1_36segmented_radix_sort_config_selectorI12hip_bfloat16lEEZNS1_25segmented_radix_sort_implIS3_Lb1EPKS5_PS5_PKlPlN2at6native12_GLOBAL__N_18offset_tEEE10hipError_tPvRmT1_PNSt15iterator_traitsISL_E10value_typeET2_T3_PNSM_ISR_E10value_typeET4_jRbjT5_SX_jjP12ihipStream_tbEUlT_E_NS1_11comp_targetILNS1_3genE8ELNS1_11target_archE1030ELNS1_3gpuE2ELNS1_3repE0EEENS1_30default_config_static_selectorELNS0_4arch9wavefront6targetE1EEEvSL_,"axG",@progbits,_ZN7rocprim17ROCPRIM_400000_NS6detail17trampoline_kernelINS0_14default_configENS1_36segmented_radix_sort_config_selectorI12hip_bfloat16lEEZNS1_25segmented_radix_sort_implIS3_Lb1EPKS5_PS5_PKlPlN2at6native12_GLOBAL__N_18offset_tEEE10hipError_tPvRmT1_PNSt15iterator_traitsISL_E10value_typeET2_T3_PNSM_ISR_E10value_typeET4_jRbjT5_SX_jjP12ihipStream_tbEUlT_E_NS1_11comp_targetILNS1_3genE8ELNS1_11target_archE1030ELNS1_3gpuE2ELNS1_3repE0EEENS1_30default_config_static_selectorELNS0_4arch9wavefront6targetE1EEEvSL_,comdat
	.globl	_ZN7rocprim17ROCPRIM_400000_NS6detail17trampoline_kernelINS0_14default_configENS1_36segmented_radix_sort_config_selectorI12hip_bfloat16lEEZNS1_25segmented_radix_sort_implIS3_Lb1EPKS5_PS5_PKlPlN2at6native12_GLOBAL__N_18offset_tEEE10hipError_tPvRmT1_PNSt15iterator_traitsISL_E10value_typeET2_T3_PNSM_ISR_E10value_typeET4_jRbjT5_SX_jjP12ihipStream_tbEUlT_E_NS1_11comp_targetILNS1_3genE8ELNS1_11target_archE1030ELNS1_3gpuE2ELNS1_3repE0EEENS1_30default_config_static_selectorELNS0_4arch9wavefront6targetE1EEEvSL_ ; -- Begin function _ZN7rocprim17ROCPRIM_400000_NS6detail17trampoline_kernelINS0_14default_configENS1_36segmented_radix_sort_config_selectorI12hip_bfloat16lEEZNS1_25segmented_radix_sort_implIS3_Lb1EPKS5_PS5_PKlPlN2at6native12_GLOBAL__N_18offset_tEEE10hipError_tPvRmT1_PNSt15iterator_traitsISL_E10value_typeET2_T3_PNSM_ISR_E10value_typeET4_jRbjT5_SX_jjP12ihipStream_tbEUlT_E_NS1_11comp_targetILNS1_3genE8ELNS1_11target_archE1030ELNS1_3gpuE2ELNS1_3repE0EEENS1_30default_config_static_selectorELNS0_4arch9wavefront6targetE1EEEvSL_
	.p2align	8
	.type	_ZN7rocprim17ROCPRIM_400000_NS6detail17trampoline_kernelINS0_14default_configENS1_36segmented_radix_sort_config_selectorI12hip_bfloat16lEEZNS1_25segmented_radix_sort_implIS3_Lb1EPKS5_PS5_PKlPlN2at6native12_GLOBAL__N_18offset_tEEE10hipError_tPvRmT1_PNSt15iterator_traitsISL_E10value_typeET2_T3_PNSM_ISR_E10value_typeET4_jRbjT5_SX_jjP12ihipStream_tbEUlT_E_NS1_11comp_targetILNS1_3genE8ELNS1_11target_archE1030ELNS1_3gpuE2ELNS1_3repE0EEENS1_30default_config_static_selectorELNS0_4arch9wavefront6targetE1EEEvSL_,@function
_ZN7rocprim17ROCPRIM_400000_NS6detail17trampoline_kernelINS0_14default_configENS1_36segmented_radix_sort_config_selectorI12hip_bfloat16lEEZNS1_25segmented_radix_sort_implIS3_Lb1EPKS5_PS5_PKlPlN2at6native12_GLOBAL__N_18offset_tEEE10hipError_tPvRmT1_PNSt15iterator_traitsISL_E10value_typeET2_T3_PNSM_ISR_E10value_typeET4_jRbjT5_SX_jjP12ihipStream_tbEUlT_E_NS1_11comp_targetILNS1_3genE8ELNS1_11target_archE1030ELNS1_3gpuE2ELNS1_3repE0EEENS1_30default_config_static_selectorELNS0_4arch9wavefront6targetE1EEEvSL_: ; @_ZN7rocprim17ROCPRIM_400000_NS6detail17trampoline_kernelINS0_14default_configENS1_36segmented_radix_sort_config_selectorI12hip_bfloat16lEEZNS1_25segmented_radix_sort_implIS3_Lb1EPKS5_PS5_PKlPlN2at6native12_GLOBAL__N_18offset_tEEE10hipError_tPvRmT1_PNSt15iterator_traitsISL_E10value_typeET2_T3_PNSM_ISR_E10value_typeET4_jRbjT5_SX_jjP12ihipStream_tbEUlT_E_NS1_11comp_targetILNS1_3genE8ELNS1_11target_archE1030ELNS1_3gpuE2ELNS1_3repE0EEENS1_30default_config_static_selectorELNS0_4arch9wavefront6targetE1EEEvSL_
; %bb.0:
	.section	.rodata,"a",@progbits
	.p2align	6, 0x0
	.amdhsa_kernel _ZN7rocprim17ROCPRIM_400000_NS6detail17trampoline_kernelINS0_14default_configENS1_36segmented_radix_sort_config_selectorI12hip_bfloat16lEEZNS1_25segmented_radix_sort_implIS3_Lb1EPKS5_PS5_PKlPlN2at6native12_GLOBAL__N_18offset_tEEE10hipError_tPvRmT1_PNSt15iterator_traitsISL_E10value_typeET2_T3_PNSM_ISR_E10value_typeET4_jRbjT5_SX_jjP12ihipStream_tbEUlT_E_NS1_11comp_targetILNS1_3genE8ELNS1_11target_archE1030ELNS1_3gpuE2ELNS1_3repE0EEENS1_30default_config_static_selectorELNS0_4arch9wavefront6targetE1EEEvSL_
		.amdhsa_group_segment_fixed_size 0
		.amdhsa_private_segment_fixed_size 0
		.amdhsa_kernarg_size 96
		.amdhsa_user_sgpr_count 6
		.amdhsa_user_sgpr_private_segment_buffer 1
		.amdhsa_user_sgpr_dispatch_ptr 0
		.amdhsa_user_sgpr_queue_ptr 0
		.amdhsa_user_sgpr_kernarg_segment_ptr 1
		.amdhsa_user_sgpr_dispatch_id 0
		.amdhsa_user_sgpr_flat_scratch_init 0
		.amdhsa_user_sgpr_private_segment_size 0
		.amdhsa_uses_dynamic_stack 0
		.amdhsa_system_sgpr_private_segment_wavefront_offset 0
		.amdhsa_system_sgpr_workgroup_id_x 1
		.amdhsa_system_sgpr_workgroup_id_y 0
		.amdhsa_system_sgpr_workgroup_id_z 0
		.amdhsa_system_sgpr_workgroup_info 0
		.amdhsa_system_vgpr_workitem_id 0
		.amdhsa_next_free_vgpr 1
		.amdhsa_next_free_sgpr 0
		.amdhsa_reserve_vcc 0
		.amdhsa_reserve_flat_scratch 0
		.amdhsa_float_round_mode_32 0
		.amdhsa_float_round_mode_16_64 0
		.amdhsa_float_denorm_mode_32 3
		.amdhsa_float_denorm_mode_16_64 3
		.amdhsa_dx10_clamp 1
		.amdhsa_ieee_mode 1
		.amdhsa_fp16_overflow 0
		.amdhsa_exception_fp_ieee_invalid_op 0
		.amdhsa_exception_fp_denorm_src 0
		.amdhsa_exception_fp_ieee_div_zero 0
		.amdhsa_exception_fp_ieee_overflow 0
		.amdhsa_exception_fp_ieee_underflow 0
		.amdhsa_exception_fp_ieee_inexact 0
		.amdhsa_exception_int_div_zero 0
	.end_amdhsa_kernel
	.section	.text._ZN7rocprim17ROCPRIM_400000_NS6detail17trampoline_kernelINS0_14default_configENS1_36segmented_radix_sort_config_selectorI12hip_bfloat16lEEZNS1_25segmented_radix_sort_implIS3_Lb1EPKS5_PS5_PKlPlN2at6native12_GLOBAL__N_18offset_tEEE10hipError_tPvRmT1_PNSt15iterator_traitsISL_E10value_typeET2_T3_PNSM_ISR_E10value_typeET4_jRbjT5_SX_jjP12ihipStream_tbEUlT_E_NS1_11comp_targetILNS1_3genE8ELNS1_11target_archE1030ELNS1_3gpuE2ELNS1_3repE0EEENS1_30default_config_static_selectorELNS0_4arch9wavefront6targetE1EEEvSL_,"axG",@progbits,_ZN7rocprim17ROCPRIM_400000_NS6detail17trampoline_kernelINS0_14default_configENS1_36segmented_radix_sort_config_selectorI12hip_bfloat16lEEZNS1_25segmented_radix_sort_implIS3_Lb1EPKS5_PS5_PKlPlN2at6native12_GLOBAL__N_18offset_tEEE10hipError_tPvRmT1_PNSt15iterator_traitsISL_E10value_typeET2_T3_PNSM_ISR_E10value_typeET4_jRbjT5_SX_jjP12ihipStream_tbEUlT_E_NS1_11comp_targetILNS1_3genE8ELNS1_11target_archE1030ELNS1_3gpuE2ELNS1_3repE0EEENS1_30default_config_static_selectorELNS0_4arch9wavefront6targetE1EEEvSL_,comdat
.Lfunc_end1955:
	.size	_ZN7rocprim17ROCPRIM_400000_NS6detail17trampoline_kernelINS0_14default_configENS1_36segmented_radix_sort_config_selectorI12hip_bfloat16lEEZNS1_25segmented_radix_sort_implIS3_Lb1EPKS5_PS5_PKlPlN2at6native12_GLOBAL__N_18offset_tEEE10hipError_tPvRmT1_PNSt15iterator_traitsISL_E10value_typeET2_T3_PNSM_ISR_E10value_typeET4_jRbjT5_SX_jjP12ihipStream_tbEUlT_E_NS1_11comp_targetILNS1_3genE8ELNS1_11target_archE1030ELNS1_3gpuE2ELNS1_3repE0EEENS1_30default_config_static_selectorELNS0_4arch9wavefront6targetE1EEEvSL_, .Lfunc_end1955-_ZN7rocprim17ROCPRIM_400000_NS6detail17trampoline_kernelINS0_14default_configENS1_36segmented_radix_sort_config_selectorI12hip_bfloat16lEEZNS1_25segmented_radix_sort_implIS3_Lb1EPKS5_PS5_PKlPlN2at6native12_GLOBAL__N_18offset_tEEE10hipError_tPvRmT1_PNSt15iterator_traitsISL_E10value_typeET2_T3_PNSM_ISR_E10value_typeET4_jRbjT5_SX_jjP12ihipStream_tbEUlT_E_NS1_11comp_targetILNS1_3genE8ELNS1_11target_archE1030ELNS1_3gpuE2ELNS1_3repE0EEENS1_30default_config_static_selectorELNS0_4arch9wavefront6targetE1EEEvSL_
                                        ; -- End function
	.set _ZN7rocprim17ROCPRIM_400000_NS6detail17trampoline_kernelINS0_14default_configENS1_36segmented_radix_sort_config_selectorI12hip_bfloat16lEEZNS1_25segmented_radix_sort_implIS3_Lb1EPKS5_PS5_PKlPlN2at6native12_GLOBAL__N_18offset_tEEE10hipError_tPvRmT1_PNSt15iterator_traitsISL_E10value_typeET2_T3_PNSM_ISR_E10value_typeET4_jRbjT5_SX_jjP12ihipStream_tbEUlT_E_NS1_11comp_targetILNS1_3genE8ELNS1_11target_archE1030ELNS1_3gpuE2ELNS1_3repE0EEENS1_30default_config_static_selectorELNS0_4arch9wavefront6targetE1EEEvSL_.num_vgpr, 0
	.set _ZN7rocprim17ROCPRIM_400000_NS6detail17trampoline_kernelINS0_14default_configENS1_36segmented_radix_sort_config_selectorI12hip_bfloat16lEEZNS1_25segmented_radix_sort_implIS3_Lb1EPKS5_PS5_PKlPlN2at6native12_GLOBAL__N_18offset_tEEE10hipError_tPvRmT1_PNSt15iterator_traitsISL_E10value_typeET2_T3_PNSM_ISR_E10value_typeET4_jRbjT5_SX_jjP12ihipStream_tbEUlT_E_NS1_11comp_targetILNS1_3genE8ELNS1_11target_archE1030ELNS1_3gpuE2ELNS1_3repE0EEENS1_30default_config_static_selectorELNS0_4arch9wavefront6targetE1EEEvSL_.num_agpr, 0
	.set _ZN7rocprim17ROCPRIM_400000_NS6detail17trampoline_kernelINS0_14default_configENS1_36segmented_radix_sort_config_selectorI12hip_bfloat16lEEZNS1_25segmented_radix_sort_implIS3_Lb1EPKS5_PS5_PKlPlN2at6native12_GLOBAL__N_18offset_tEEE10hipError_tPvRmT1_PNSt15iterator_traitsISL_E10value_typeET2_T3_PNSM_ISR_E10value_typeET4_jRbjT5_SX_jjP12ihipStream_tbEUlT_E_NS1_11comp_targetILNS1_3genE8ELNS1_11target_archE1030ELNS1_3gpuE2ELNS1_3repE0EEENS1_30default_config_static_selectorELNS0_4arch9wavefront6targetE1EEEvSL_.numbered_sgpr, 0
	.set _ZN7rocprim17ROCPRIM_400000_NS6detail17trampoline_kernelINS0_14default_configENS1_36segmented_radix_sort_config_selectorI12hip_bfloat16lEEZNS1_25segmented_radix_sort_implIS3_Lb1EPKS5_PS5_PKlPlN2at6native12_GLOBAL__N_18offset_tEEE10hipError_tPvRmT1_PNSt15iterator_traitsISL_E10value_typeET2_T3_PNSM_ISR_E10value_typeET4_jRbjT5_SX_jjP12ihipStream_tbEUlT_E_NS1_11comp_targetILNS1_3genE8ELNS1_11target_archE1030ELNS1_3gpuE2ELNS1_3repE0EEENS1_30default_config_static_selectorELNS0_4arch9wavefront6targetE1EEEvSL_.num_named_barrier, 0
	.set _ZN7rocprim17ROCPRIM_400000_NS6detail17trampoline_kernelINS0_14default_configENS1_36segmented_radix_sort_config_selectorI12hip_bfloat16lEEZNS1_25segmented_radix_sort_implIS3_Lb1EPKS5_PS5_PKlPlN2at6native12_GLOBAL__N_18offset_tEEE10hipError_tPvRmT1_PNSt15iterator_traitsISL_E10value_typeET2_T3_PNSM_ISR_E10value_typeET4_jRbjT5_SX_jjP12ihipStream_tbEUlT_E_NS1_11comp_targetILNS1_3genE8ELNS1_11target_archE1030ELNS1_3gpuE2ELNS1_3repE0EEENS1_30default_config_static_selectorELNS0_4arch9wavefront6targetE1EEEvSL_.private_seg_size, 0
	.set _ZN7rocprim17ROCPRIM_400000_NS6detail17trampoline_kernelINS0_14default_configENS1_36segmented_radix_sort_config_selectorI12hip_bfloat16lEEZNS1_25segmented_radix_sort_implIS3_Lb1EPKS5_PS5_PKlPlN2at6native12_GLOBAL__N_18offset_tEEE10hipError_tPvRmT1_PNSt15iterator_traitsISL_E10value_typeET2_T3_PNSM_ISR_E10value_typeET4_jRbjT5_SX_jjP12ihipStream_tbEUlT_E_NS1_11comp_targetILNS1_3genE8ELNS1_11target_archE1030ELNS1_3gpuE2ELNS1_3repE0EEENS1_30default_config_static_selectorELNS0_4arch9wavefront6targetE1EEEvSL_.uses_vcc, 0
	.set _ZN7rocprim17ROCPRIM_400000_NS6detail17trampoline_kernelINS0_14default_configENS1_36segmented_radix_sort_config_selectorI12hip_bfloat16lEEZNS1_25segmented_radix_sort_implIS3_Lb1EPKS5_PS5_PKlPlN2at6native12_GLOBAL__N_18offset_tEEE10hipError_tPvRmT1_PNSt15iterator_traitsISL_E10value_typeET2_T3_PNSM_ISR_E10value_typeET4_jRbjT5_SX_jjP12ihipStream_tbEUlT_E_NS1_11comp_targetILNS1_3genE8ELNS1_11target_archE1030ELNS1_3gpuE2ELNS1_3repE0EEENS1_30default_config_static_selectorELNS0_4arch9wavefront6targetE1EEEvSL_.uses_flat_scratch, 0
	.set _ZN7rocprim17ROCPRIM_400000_NS6detail17trampoline_kernelINS0_14default_configENS1_36segmented_radix_sort_config_selectorI12hip_bfloat16lEEZNS1_25segmented_radix_sort_implIS3_Lb1EPKS5_PS5_PKlPlN2at6native12_GLOBAL__N_18offset_tEEE10hipError_tPvRmT1_PNSt15iterator_traitsISL_E10value_typeET2_T3_PNSM_ISR_E10value_typeET4_jRbjT5_SX_jjP12ihipStream_tbEUlT_E_NS1_11comp_targetILNS1_3genE8ELNS1_11target_archE1030ELNS1_3gpuE2ELNS1_3repE0EEENS1_30default_config_static_selectorELNS0_4arch9wavefront6targetE1EEEvSL_.has_dyn_sized_stack, 0
	.set _ZN7rocprim17ROCPRIM_400000_NS6detail17trampoline_kernelINS0_14default_configENS1_36segmented_radix_sort_config_selectorI12hip_bfloat16lEEZNS1_25segmented_radix_sort_implIS3_Lb1EPKS5_PS5_PKlPlN2at6native12_GLOBAL__N_18offset_tEEE10hipError_tPvRmT1_PNSt15iterator_traitsISL_E10value_typeET2_T3_PNSM_ISR_E10value_typeET4_jRbjT5_SX_jjP12ihipStream_tbEUlT_E_NS1_11comp_targetILNS1_3genE8ELNS1_11target_archE1030ELNS1_3gpuE2ELNS1_3repE0EEENS1_30default_config_static_selectorELNS0_4arch9wavefront6targetE1EEEvSL_.has_recursion, 0
	.set _ZN7rocprim17ROCPRIM_400000_NS6detail17trampoline_kernelINS0_14default_configENS1_36segmented_radix_sort_config_selectorI12hip_bfloat16lEEZNS1_25segmented_radix_sort_implIS3_Lb1EPKS5_PS5_PKlPlN2at6native12_GLOBAL__N_18offset_tEEE10hipError_tPvRmT1_PNSt15iterator_traitsISL_E10value_typeET2_T3_PNSM_ISR_E10value_typeET4_jRbjT5_SX_jjP12ihipStream_tbEUlT_E_NS1_11comp_targetILNS1_3genE8ELNS1_11target_archE1030ELNS1_3gpuE2ELNS1_3repE0EEENS1_30default_config_static_selectorELNS0_4arch9wavefront6targetE1EEEvSL_.has_indirect_call, 0
	.section	.AMDGPU.csdata,"",@progbits
; Kernel info:
; codeLenInByte = 0
; TotalNumSgprs: 4
; NumVgprs: 0
; ScratchSize: 0
; MemoryBound: 0
; FloatMode: 240
; IeeeMode: 1
; LDSByteSize: 0 bytes/workgroup (compile time only)
; SGPRBlocks: 0
; VGPRBlocks: 0
; NumSGPRsForWavesPerEU: 4
; NumVGPRsForWavesPerEU: 1
; Occupancy: 10
; WaveLimiterHint : 0
; COMPUTE_PGM_RSRC2:SCRATCH_EN: 0
; COMPUTE_PGM_RSRC2:USER_SGPR: 6
; COMPUTE_PGM_RSRC2:TRAP_HANDLER: 0
; COMPUTE_PGM_RSRC2:TGID_X_EN: 1
; COMPUTE_PGM_RSRC2:TGID_Y_EN: 0
; COMPUTE_PGM_RSRC2:TGID_Z_EN: 0
; COMPUTE_PGM_RSRC2:TIDIG_COMP_CNT: 0
	.section	.text._ZN7rocprim17ROCPRIM_400000_NS6detail17trampoline_kernelINS0_14default_configENS1_36segmented_radix_sort_config_selectorI12hip_bfloat16lEEZNS1_25segmented_radix_sort_implIS3_Lb1EPKS5_PS5_PKlPlN2at6native12_GLOBAL__N_18offset_tEEE10hipError_tPvRmT1_PNSt15iterator_traitsISL_E10value_typeET2_T3_PNSM_ISR_E10value_typeET4_jRbjT5_SX_jjP12ihipStream_tbEUlT_E0_NS1_11comp_targetILNS1_3genE0ELNS1_11target_archE4294967295ELNS1_3gpuE0ELNS1_3repE0EEENS1_60segmented_radix_sort_warp_sort_medium_config_static_selectorELNS0_4arch9wavefront6targetE1EEEvSL_,"axG",@progbits,_ZN7rocprim17ROCPRIM_400000_NS6detail17trampoline_kernelINS0_14default_configENS1_36segmented_radix_sort_config_selectorI12hip_bfloat16lEEZNS1_25segmented_radix_sort_implIS3_Lb1EPKS5_PS5_PKlPlN2at6native12_GLOBAL__N_18offset_tEEE10hipError_tPvRmT1_PNSt15iterator_traitsISL_E10value_typeET2_T3_PNSM_ISR_E10value_typeET4_jRbjT5_SX_jjP12ihipStream_tbEUlT_E0_NS1_11comp_targetILNS1_3genE0ELNS1_11target_archE4294967295ELNS1_3gpuE0ELNS1_3repE0EEENS1_60segmented_radix_sort_warp_sort_medium_config_static_selectorELNS0_4arch9wavefront6targetE1EEEvSL_,comdat
	.globl	_ZN7rocprim17ROCPRIM_400000_NS6detail17trampoline_kernelINS0_14default_configENS1_36segmented_radix_sort_config_selectorI12hip_bfloat16lEEZNS1_25segmented_radix_sort_implIS3_Lb1EPKS5_PS5_PKlPlN2at6native12_GLOBAL__N_18offset_tEEE10hipError_tPvRmT1_PNSt15iterator_traitsISL_E10value_typeET2_T3_PNSM_ISR_E10value_typeET4_jRbjT5_SX_jjP12ihipStream_tbEUlT_E0_NS1_11comp_targetILNS1_3genE0ELNS1_11target_archE4294967295ELNS1_3gpuE0ELNS1_3repE0EEENS1_60segmented_radix_sort_warp_sort_medium_config_static_selectorELNS0_4arch9wavefront6targetE1EEEvSL_ ; -- Begin function _ZN7rocprim17ROCPRIM_400000_NS6detail17trampoline_kernelINS0_14default_configENS1_36segmented_radix_sort_config_selectorI12hip_bfloat16lEEZNS1_25segmented_radix_sort_implIS3_Lb1EPKS5_PS5_PKlPlN2at6native12_GLOBAL__N_18offset_tEEE10hipError_tPvRmT1_PNSt15iterator_traitsISL_E10value_typeET2_T3_PNSM_ISR_E10value_typeET4_jRbjT5_SX_jjP12ihipStream_tbEUlT_E0_NS1_11comp_targetILNS1_3genE0ELNS1_11target_archE4294967295ELNS1_3gpuE0ELNS1_3repE0EEENS1_60segmented_radix_sort_warp_sort_medium_config_static_selectorELNS0_4arch9wavefront6targetE1EEEvSL_
	.p2align	8
	.type	_ZN7rocprim17ROCPRIM_400000_NS6detail17trampoline_kernelINS0_14default_configENS1_36segmented_radix_sort_config_selectorI12hip_bfloat16lEEZNS1_25segmented_radix_sort_implIS3_Lb1EPKS5_PS5_PKlPlN2at6native12_GLOBAL__N_18offset_tEEE10hipError_tPvRmT1_PNSt15iterator_traitsISL_E10value_typeET2_T3_PNSM_ISR_E10value_typeET4_jRbjT5_SX_jjP12ihipStream_tbEUlT_E0_NS1_11comp_targetILNS1_3genE0ELNS1_11target_archE4294967295ELNS1_3gpuE0ELNS1_3repE0EEENS1_60segmented_radix_sort_warp_sort_medium_config_static_selectorELNS0_4arch9wavefront6targetE1EEEvSL_,@function
_ZN7rocprim17ROCPRIM_400000_NS6detail17trampoline_kernelINS0_14default_configENS1_36segmented_radix_sort_config_selectorI12hip_bfloat16lEEZNS1_25segmented_radix_sort_implIS3_Lb1EPKS5_PS5_PKlPlN2at6native12_GLOBAL__N_18offset_tEEE10hipError_tPvRmT1_PNSt15iterator_traitsISL_E10value_typeET2_T3_PNSM_ISR_E10value_typeET4_jRbjT5_SX_jjP12ihipStream_tbEUlT_E0_NS1_11comp_targetILNS1_3genE0ELNS1_11target_archE4294967295ELNS1_3gpuE0ELNS1_3repE0EEENS1_60segmented_radix_sort_warp_sort_medium_config_static_selectorELNS0_4arch9wavefront6targetE1EEEvSL_: ; @_ZN7rocprim17ROCPRIM_400000_NS6detail17trampoline_kernelINS0_14default_configENS1_36segmented_radix_sort_config_selectorI12hip_bfloat16lEEZNS1_25segmented_radix_sort_implIS3_Lb1EPKS5_PS5_PKlPlN2at6native12_GLOBAL__N_18offset_tEEE10hipError_tPvRmT1_PNSt15iterator_traitsISL_E10value_typeET2_T3_PNSM_ISR_E10value_typeET4_jRbjT5_SX_jjP12ihipStream_tbEUlT_E0_NS1_11comp_targetILNS1_3genE0ELNS1_11target_archE4294967295ELNS1_3gpuE0ELNS1_3repE0EEENS1_60segmented_radix_sort_warp_sort_medium_config_static_selectorELNS0_4arch9wavefront6targetE1EEEvSL_
; %bb.0:
	.section	.rodata,"a",@progbits
	.p2align	6, 0x0
	.amdhsa_kernel _ZN7rocprim17ROCPRIM_400000_NS6detail17trampoline_kernelINS0_14default_configENS1_36segmented_radix_sort_config_selectorI12hip_bfloat16lEEZNS1_25segmented_radix_sort_implIS3_Lb1EPKS5_PS5_PKlPlN2at6native12_GLOBAL__N_18offset_tEEE10hipError_tPvRmT1_PNSt15iterator_traitsISL_E10value_typeET2_T3_PNSM_ISR_E10value_typeET4_jRbjT5_SX_jjP12ihipStream_tbEUlT_E0_NS1_11comp_targetILNS1_3genE0ELNS1_11target_archE4294967295ELNS1_3gpuE0ELNS1_3repE0EEENS1_60segmented_radix_sort_warp_sort_medium_config_static_selectorELNS0_4arch9wavefront6targetE1EEEvSL_
		.amdhsa_group_segment_fixed_size 0
		.amdhsa_private_segment_fixed_size 0
		.amdhsa_kernarg_size 88
		.amdhsa_user_sgpr_count 6
		.amdhsa_user_sgpr_private_segment_buffer 1
		.amdhsa_user_sgpr_dispatch_ptr 0
		.amdhsa_user_sgpr_queue_ptr 0
		.amdhsa_user_sgpr_kernarg_segment_ptr 1
		.amdhsa_user_sgpr_dispatch_id 0
		.amdhsa_user_sgpr_flat_scratch_init 0
		.amdhsa_user_sgpr_private_segment_size 0
		.amdhsa_uses_dynamic_stack 0
		.amdhsa_system_sgpr_private_segment_wavefront_offset 0
		.amdhsa_system_sgpr_workgroup_id_x 1
		.amdhsa_system_sgpr_workgroup_id_y 0
		.amdhsa_system_sgpr_workgroup_id_z 0
		.amdhsa_system_sgpr_workgroup_info 0
		.amdhsa_system_vgpr_workitem_id 0
		.amdhsa_next_free_vgpr 1
		.amdhsa_next_free_sgpr 0
		.amdhsa_reserve_vcc 0
		.amdhsa_reserve_flat_scratch 0
		.amdhsa_float_round_mode_32 0
		.amdhsa_float_round_mode_16_64 0
		.amdhsa_float_denorm_mode_32 3
		.amdhsa_float_denorm_mode_16_64 3
		.amdhsa_dx10_clamp 1
		.amdhsa_ieee_mode 1
		.amdhsa_fp16_overflow 0
		.amdhsa_exception_fp_ieee_invalid_op 0
		.amdhsa_exception_fp_denorm_src 0
		.amdhsa_exception_fp_ieee_div_zero 0
		.amdhsa_exception_fp_ieee_overflow 0
		.amdhsa_exception_fp_ieee_underflow 0
		.amdhsa_exception_fp_ieee_inexact 0
		.amdhsa_exception_int_div_zero 0
	.end_amdhsa_kernel
	.section	.text._ZN7rocprim17ROCPRIM_400000_NS6detail17trampoline_kernelINS0_14default_configENS1_36segmented_radix_sort_config_selectorI12hip_bfloat16lEEZNS1_25segmented_radix_sort_implIS3_Lb1EPKS5_PS5_PKlPlN2at6native12_GLOBAL__N_18offset_tEEE10hipError_tPvRmT1_PNSt15iterator_traitsISL_E10value_typeET2_T3_PNSM_ISR_E10value_typeET4_jRbjT5_SX_jjP12ihipStream_tbEUlT_E0_NS1_11comp_targetILNS1_3genE0ELNS1_11target_archE4294967295ELNS1_3gpuE0ELNS1_3repE0EEENS1_60segmented_radix_sort_warp_sort_medium_config_static_selectorELNS0_4arch9wavefront6targetE1EEEvSL_,"axG",@progbits,_ZN7rocprim17ROCPRIM_400000_NS6detail17trampoline_kernelINS0_14default_configENS1_36segmented_radix_sort_config_selectorI12hip_bfloat16lEEZNS1_25segmented_radix_sort_implIS3_Lb1EPKS5_PS5_PKlPlN2at6native12_GLOBAL__N_18offset_tEEE10hipError_tPvRmT1_PNSt15iterator_traitsISL_E10value_typeET2_T3_PNSM_ISR_E10value_typeET4_jRbjT5_SX_jjP12ihipStream_tbEUlT_E0_NS1_11comp_targetILNS1_3genE0ELNS1_11target_archE4294967295ELNS1_3gpuE0ELNS1_3repE0EEENS1_60segmented_radix_sort_warp_sort_medium_config_static_selectorELNS0_4arch9wavefront6targetE1EEEvSL_,comdat
.Lfunc_end1956:
	.size	_ZN7rocprim17ROCPRIM_400000_NS6detail17trampoline_kernelINS0_14default_configENS1_36segmented_radix_sort_config_selectorI12hip_bfloat16lEEZNS1_25segmented_radix_sort_implIS3_Lb1EPKS5_PS5_PKlPlN2at6native12_GLOBAL__N_18offset_tEEE10hipError_tPvRmT1_PNSt15iterator_traitsISL_E10value_typeET2_T3_PNSM_ISR_E10value_typeET4_jRbjT5_SX_jjP12ihipStream_tbEUlT_E0_NS1_11comp_targetILNS1_3genE0ELNS1_11target_archE4294967295ELNS1_3gpuE0ELNS1_3repE0EEENS1_60segmented_radix_sort_warp_sort_medium_config_static_selectorELNS0_4arch9wavefront6targetE1EEEvSL_, .Lfunc_end1956-_ZN7rocprim17ROCPRIM_400000_NS6detail17trampoline_kernelINS0_14default_configENS1_36segmented_radix_sort_config_selectorI12hip_bfloat16lEEZNS1_25segmented_radix_sort_implIS3_Lb1EPKS5_PS5_PKlPlN2at6native12_GLOBAL__N_18offset_tEEE10hipError_tPvRmT1_PNSt15iterator_traitsISL_E10value_typeET2_T3_PNSM_ISR_E10value_typeET4_jRbjT5_SX_jjP12ihipStream_tbEUlT_E0_NS1_11comp_targetILNS1_3genE0ELNS1_11target_archE4294967295ELNS1_3gpuE0ELNS1_3repE0EEENS1_60segmented_radix_sort_warp_sort_medium_config_static_selectorELNS0_4arch9wavefront6targetE1EEEvSL_
                                        ; -- End function
	.set _ZN7rocprim17ROCPRIM_400000_NS6detail17trampoline_kernelINS0_14default_configENS1_36segmented_radix_sort_config_selectorI12hip_bfloat16lEEZNS1_25segmented_radix_sort_implIS3_Lb1EPKS5_PS5_PKlPlN2at6native12_GLOBAL__N_18offset_tEEE10hipError_tPvRmT1_PNSt15iterator_traitsISL_E10value_typeET2_T3_PNSM_ISR_E10value_typeET4_jRbjT5_SX_jjP12ihipStream_tbEUlT_E0_NS1_11comp_targetILNS1_3genE0ELNS1_11target_archE4294967295ELNS1_3gpuE0ELNS1_3repE0EEENS1_60segmented_radix_sort_warp_sort_medium_config_static_selectorELNS0_4arch9wavefront6targetE1EEEvSL_.num_vgpr, 0
	.set _ZN7rocprim17ROCPRIM_400000_NS6detail17trampoline_kernelINS0_14default_configENS1_36segmented_radix_sort_config_selectorI12hip_bfloat16lEEZNS1_25segmented_radix_sort_implIS3_Lb1EPKS5_PS5_PKlPlN2at6native12_GLOBAL__N_18offset_tEEE10hipError_tPvRmT1_PNSt15iterator_traitsISL_E10value_typeET2_T3_PNSM_ISR_E10value_typeET4_jRbjT5_SX_jjP12ihipStream_tbEUlT_E0_NS1_11comp_targetILNS1_3genE0ELNS1_11target_archE4294967295ELNS1_3gpuE0ELNS1_3repE0EEENS1_60segmented_radix_sort_warp_sort_medium_config_static_selectorELNS0_4arch9wavefront6targetE1EEEvSL_.num_agpr, 0
	.set _ZN7rocprim17ROCPRIM_400000_NS6detail17trampoline_kernelINS0_14default_configENS1_36segmented_radix_sort_config_selectorI12hip_bfloat16lEEZNS1_25segmented_radix_sort_implIS3_Lb1EPKS5_PS5_PKlPlN2at6native12_GLOBAL__N_18offset_tEEE10hipError_tPvRmT1_PNSt15iterator_traitsISL_E10value_typeET2_T3_PNSM_ISR_E10value_typeET4_jRbjT5_SX_jjP12ihipStream_tbEUlT_E0_NS1_11comp_targetILNS1_3genE0ELNS1_11target_archE4294967295ELNS1_3gpuE0ELNS1_3repE0EEENS1_60segmented_radix_sort_warp_sort_medium_config_static_selectorELNS0_4arch9wavefront6targetE1EEEvSL_.numbered_sgpr, 0
	.set _ZN7rocprim17ROCPRIM_400000_NS6detail17trampoline_kernelINS0_14default_configENS1_36segmented_radix_sort_config_selectorI12hip_bfloat16lEEZNS1_25segmented_radix_sort_implIS3_Lb1EPKS5_PS5_PKlPlN2at6native12_GLOBAL__N_18offset_tEEE10hipError_tPvRmT1_PNSt15iterator_traitsISL_E10value_typeET2_T3_PNSM_ISR_E10value_typeET4_jRbjT5_SX_jjP12ihipStream_tbEUlT_E0_NS1_11comp_targetILNS1_3genE0ELNS1_11target_archE4294967295ELNS1_3gpuE0ELNS1_3repE0EEENS1_60segmented_radix_sort_warp_sort_medium_config_static_selectorELNS0_4arch9wavefront6targetE1EEEvSL_.num_named_barrier, 0
	.set _ZN7rocprim17ROCPRIM_400000_NS6detail17trampoline_kernelINS0_14default_configENS1_36segmented_radix_sort_config_selectorI12hip_bfloat16lEEZNS1_25segmented_radix_sort_implIS3_Lb1EPKS5_PS5_PKlPlN2at6native12_GLOBAL__N_18offset_tEEE10hipError_tPvRmT1_PNSt15iterator_traitsISL_E10value_typeET2_T3_PNSM_ISR_E10value_typeET4_jRbjT5_SX_jjP12ihipStream_tbEUlT_E0_NS1_11comp_targetILNS1_3genE0ELNS1_11target_archE4294967295ELNS1_3gpuE0ELNS1_3repE0EEENS1_60segmented_radix_sort_warp_sort_medium_config_static_selectorELNS0_4arch9wavefront6targetE1EEEvSL_.private_seg_size, 0
	.set _ZN7rocprim17ROCPRIM_400000_NS6detail17trampoline_kernelINS0_14default_configENS1_36segmented_radix_sort_config_selectorI12hip_bfloat16lEEZNS1_25segmented_radix_sort_implIS3_Lb1EPKS5_PS5_PKlPlN2at6native12_GLOBAL__N_18offset_tEEE10hipError_tPvRmT1_PNSt15iterator_traitsISL_E10value_typeET2_T3_PNSM_ISR_E10value_typeET4_jRbjT5_SX_jjP12ihipStream_tbEUlT_E0_NS1_11comp_targetILNS1_3genE0ELNS1_11target_archE4294967295ELNS1_3gpuE0ELNS1_3repE0EEENS1_60segmented_radix_sort_warp_sort_medium_config_static_selectorELNS0_4arch9wavefront6targetE1EEEvSL_.uses_vcc, 0
	.set _ZN7rocprim17ROCPRIM_400000_NS6detail17trampoline_kernelINS0_14default_configENS1_36segmented_radix_sort_config_selectorI12hip_bfloat16lEEZNS1_25segmented_radix_sort_implIS3_Lb1EPKS5_PS5_PKlPlN2at6native12_GLOBAL__N_18offset_tEEE10hipError_tPvRmT1_PNSt15iterator_traitsISL_E10value_typeET2_T3_PNSM_ISR_E10value_typeET4_jRbjT5_SX_jjP12ihipStream_tbEUlT_E0_NS1_11comp_targetILNS1_3genE0ELNS1_11target_archE4294967295ELNS1_3gpuE0ELNS1_3repE0EEENS1_60segmented_radix_sort_warp_sort_medium_config_static_selectorELNS0_4arch9wavefront6targetE1EEEvSL_.uses_flat_scratch, 0
	.set _ZN7rocprim17ROCPRIM_400000_NS6detail17trampoline_kernelINS0_14default_configENS1_36segmented_radix_sort_config_selectorI12hip_bfloat16lEEZNS1_25segmented_radix_sort_implIS3_Lb1EPKS5_PS5_PKlPlN2at6native12_GLOBAL__N_18offset_tEEE10hipError_tPvRmT1_PNSt15iterator_traitsISL_E10value_typeET2_T3_PNSM_ISR_E10value_typeET4_jRbjT5_SX_jjP12ihipStream_tbEUlT_E0_NS1_11comp_targetILNS1_3genE0ELNS1_11target_archE4294967295ELNS1_3gpuE0ELNS1_3repE0EEENS1_60segmented_radix_sort_warp_sort_medium_config_static_selectorELNS0_4arch9wavefront6targetE1EEEvSL_.has_dyn_sized_stack, 0
	.set _ZN7rocprim17ROCPRIM_400000_NS6detail17trampoline_kernelINS0_14default_configENS1_36segmented_radix_sort_config_selectorI12hip_bfloat16lEEZNS1_25segmented_radix_sort_implIS3_Lb1EPKS5_PS5_PKlPlN2at6native12_GLOBAL__N_18offset_tEEE10hipError_tPvRmT1_PNSt15iterator_traitsISL_E10value_typeET2_T3_PNSM_ISR_E10value_typeET4_jRbjT5_SX_jjP12ihipStream_tbEUlT_E0_NS1_11comp_targetILNS1_3genE0ELNS1_11target_archE4294967295ELNS1_3gpuE0ELNS1_3repE0EEENS1_60segmented_radix_sort_warp_sort_medium_config_static_selectorELNS0_4arch9wavefront6targetE1EEEvSL_.has_recursion, 0
	.set _ZN7rocprim17ROCPRIM_400000_NS6detail17trampoline_kernelINS0_14default_configENS1_36segmented_radix_sort_config_selectorI12hip_bfloat16lEEZNS1_25segmented_radix_sort_implIS3_Lb1EPKS5_PS5_PKlPlN2at6native12_GLOBAL__N_18offset_tEEE10hipError_tPvRmT1_PNSt15iterator_traitsISL_E10value_typeET2_T3_PNSM_ISR_E10value_typeET4_jRbjT5_SX_jjP12ihipStream_tbEUlT_E0_NS1_11comp_targetILNS1_3genE0ELNS1_11target_archE4294967295ELNS1_3gpuE0ELNS1_3repE0EEENS1_60segmented_radix_sort_warp_sort_medium_config_static_selectorELNS0_4arch9wavefront6targetE1EEEvSL_.has_indirect_call, 0
	.section	.AMDGPU.csdata,"",@progbits
; Kernel info:
; codeLenInByte = 0
; TotalNumSgprs: 4
; NumVgprs: 0
; ScratchSize: 0
; MemoryBound: 0
; FloatMode: 240
; IeeeMode: 1
; LDSByteSize: 0 bytes/workgroup (compile time only)
; SGPRBlocks: 0
; VGPRBlocks: 0
; NumSGPRsForWavesPerEU: 4
; NumVGPRsForWavesPerEU: 1
; Occupancy: 10
; WaveLimiterHint : 0
; COMPUTE_PGM_RSRC2:SCRATCH_EN: 0
; COMPUTE_PGM_RSRC2:USER_SGPR: 6
; COMPUTE_PGM_RSRC2:TRAP_HANDLER: 0
; COMPUTE_PGM_RSRC2:TGID_X_EN: 1
; COMPUTE_PGM_RSRC2:TGID_Y_EN: 0
; COMPUTE_PGM_RSRC2:TGID_Z_EN: 0
; COMPUTE_PGM_RSRC2:TIDIG_COMP_CNT: 0
	.section	.text._ZN7rocprim17ROCPRIM_400000_NS6detail17trampoline_kernelINS0_14default_configENS1_36segmented_radix_sort_config_selectorI12hip_bfloat16lEEZNS1_25segmented_radix_sort_implIS3_Lb1EPKS5_PS5_PKlPlN2at6native12_GLOBAL__N_18offset_tEEE10hipError_tPvRmT1_PNSt15iterator_traitsISL_E10value_typeET2_T3_PNSM_ISR_E10value_typeET4_jRbjT5_SX_jjP12ihipStream_tbEUlT_E0_NS1_11comp_targetILNS1_3genE5ELNS1_11target_archE942ELNS1_3gpuE9ELNS1_3repE0EEENS1_60segmented_radix_sort_warp_sort_medium_config_static_selectorELNS0_4arch9wavefront6targetE1EEEvSL_,"axG",@progbits,_ZN7rocprim17ROCPRIM_400000_NS6detail17trampoline_kernelINS0_14default_configENS1_36segmented_radix_sort_config_selectorI12hip_bfloat16lEEZNS1_25segmented_radix_sort_implIS3_Lb1EPKS5_PS5_PKlPlN2at6native12_GLOBAL__N_18offset_tEEE10hipError_tPvRmT1_PNSt15iterator_traitsISL_E10value_typeET2_T3_PNSM_ISR_E10value_typeET4_jRbjT5_SX_jjP12ihipStream_tbEUlT_E0_NS1_11comp_targetILNS1_3genE5ELNS1_11target_archE942ELNS1_3gpuE9ELNS1_3repE0EEENS1_60segmented_radix_sort_warp_sort_medium_config_static_selectorELNS0_4arch9wavefront6targetE1EEEvSL_,comdat
	.globl	_ZN7rocprim17ROCPRIM_400000_NS6detail17trampoline_kernelINS0_14default_configENS1_36segmented_radix_sort_config_selectorI12hip_bfloat16lEEZNS1_25segmented_radix_sort_implIS3_Lb1EPKS5_PS5_PKlPlN2at6native12_GLOBAL__N_18offset_tEEE10hipError_tPvRmT1_PNSt15iterator_traitsISL_E10value_typeET2_T3_PNSM_ISR_E10value_typeET4_jRbjT5_SX_jjP12ihipStream_tbEUlT_E0_NS1_11comp_targetILNS1_3genE5ELNS1_11target_archE942ELNS1_3gpuE9ELNS1_3repE0EEENS1_60segmented_radix_sort_warp_sort_medium_config_static_selectorELNS0_4arch9wavefront6targetE1EEEvSL_ ; -- Begin function _ZN7rocprim17ROCPRIM_400000_NS6detail17trampoline_kernelINS0_14default_configENS1_36segmented_radix_sort_config_selectorI12hip_bfloat16lEEZNS1_25segmented_radix_sort_implIS3_Lb1EPKS5_PS5_PKlPlN2at6native12_GLOBAL__N_18offset_tEEE10hipError_tPvRmT1_PNSt15iterator_traitsISL_E10value_typeET2_T3_PNSM_ISR_E10value_typeET4_jRbjT5_SX_jjP12ihipStream_tbEUlT_E0_NS1_11comp_targetILNS1_3genE5ELNS1_11target_archE942ELNS1_3gpuE9ELNS1_3repE0EEENS1_60segmented_radix_sort_warp_sort_medium_config_static_selectorELNS0_4arch9wavefront6targetE1EEEvSL_
	.p2align	8
	.type	_ZN7rocprim17ROCPRIM_400000_NS6detail17trampoline_kernelINS0_14default_configENS1_36segmented_radix_sort_config_selectorI12hip_bfloat16lEEZNS1_25segmented_radix_sort_implIS3_Lb1EPKS5_PS5_PKlPlN2at6native12_GLOBAL__N_18offset_tEEE10hipError_tPvRmT1_PNSt15iterator_traitsISL_E10value_typeET2_T3_PNSM_ISR_E10value_typeET4_jRbjT5_SX_jjP12ihipStream_tbEUlT_E0_NS1_11comp_targetILNS1_3genE5ELNS1_11target_archE942ELNS1_3gpuE9ELNS1_3repE0EEENS1_60segmented_radix_sort_warp_sort_medium_config_static_selectorELNS0_4arch9wavefront6targetE1EEEvSL_,@function
_ZN7rocprim17ROCPRIM_400000_NS6detail17trampoline_kernelINS0_14default_configENS1_36segmented_radix_sort_config_selectorI12hip_bfloat16lEEZNS1_25segmented_radix_sort_implIS3_Lb1EPKS5_PS5_PKlPlN2at6native12_GLOBAL__N_18offset_tEEE10hipError_tPvRmT1_PNSt15iterator_traitsISL_E10value_typeET2_T3_PNSM_ISR_E10value_typeET4_jRbjT5_SX_jjP12ihipStream_tbEUlT_E0_NS1_11comp_targetILNS1_3genE5ELNS1_11target_archE942ELNS1_3gpuE9ELNS1_3repE0EEENS1_60segmented_radix_sort_warp_sort_medium_config_static_selectorELNS0_4arch9wavefront6targetE1EEEvSL_: ; @_ZN7rocprim17ROCPRIM_400000_NS6detail17trampoline_kernelINS0_14default_configENS1_36segmented_radix_sort_config_selectorI12hip_bfloat16lEEZNS1_25segmented_radix_sort_implIS3_Lb1EPKS5_PS5_PKlPlN2at6native12_GLOBAL__N_18offset_tEEE10hipError_tPvRmT1_PNSt15iterator_traitsISL_E10value_typeET2_T3_PNSM_ISR_E10value_typeET4_jRbjT5_SX_jjP12ihipStream_tbEUlT_E0_NS1_11comp_targetILNS1_3genE5ELNS1_11target_archE942ELNS1_3gpuE9ELNS1_3repE0EEENS1_60segmented_radix_sort_warp_sort_medium_config_static_selectorELNS0_4arch9wavefront6targetE1EEEvSL_
; %bb.0:
	.section	.rodata,"a",@progbits
	.p2align	6, 0x0
	.amdhsa_kernel _ZN7rocprim17ROCPRIM_400000_NS6detail17trampoline_kernelINS0_14default_configENS1_36segmented_radix_sort_config_selectorI12hip_bfloat16lEEZNS1_25segmented_radix_sort_implIS3_Lb1EPKS5_PS5_PKlPlN2at6native12_GLOBAL__N_18offset_tEEE10hipError_tPvRmT1_PNSt15iterator_traitsISL_E10value_typeET2_T3_PNSM_ISR_E10value_typeET4_jRbjT5_SX_jjP12ihipStream_tbEUlT_E0_NS1_11comp_targetILNS1_3genE5ELNS1_11target_archE942ELNS1_3gpuE9ELNS1_3repE0EEENS1_60segmented_radix_sort_warp_sort_medium_config_static_selectorELNS0_4arch9wavefront6targetE1EEEvSL_
		.amdhsa_group_segment_fixed_size 0
		.amdhsa_private_segment_fixed_size 0
		.amdhsa_kernarg_size 88
		.amdhsa_user_sgpr_count 6
		.amdhsa_user_sgpr_private_segment_buffer 1
		.amdhsa_user_sgpr_dispatch_ptr 0
		.amdhsa_user_sgpr_queue_ptr 0
		.amdhsa_user_sgpr_kernarg_segment_ptr 1
		.amdhsa_user_sgpr_dispatch_id 0
		.amdhsa_user_sgpr_flat_scratch_init 0
		.amdhsa_user_sgpr_private_segment_size 0
		.amdhsa_uses_dynamic_stack 0
		.amdhsa_system_sgpr_private_segment_wavefront_offset 0
		.amdhsa_system_sgpr_workgroup_id_x 1
		.amdhsa_system_sgpr_workgroup_id_y 0
		.amdhsa_system_sgpr_workgroup_id_z 0
		.amdhsa_system_sgpr_workgroup_info 0
		.amdhsa_system_vgpr_workitem_id 0
		.amdhsa_next_free_vgpr 1
		.amdhsa_next_free_sgpr 0
		.amdhsa_reserve_vcc 0
		.amdhsa_reserve_flat_scratch 0
		.amdhsa_float_round_mode_32 0
		.amdhsa_float_round_mode_16_64 0
		.amdhsa_float_denorm_mode_32 3
		.amdhsa_float_denorm_mode_16_64 3
		.amdhsa_dx10_clamp 1
		.amdhsa_ieee_mode 1
		.amdhsa_fp16_overflow 0
		.amdhsa_exception_fp_ieee_invalid_op 0
		.amdhsa_exception_fp_denorm_src 0
		.amdhsa_exception_fp_ieee_div_zero 0
		.amdhsa_exception_fp_ieee_overflow 0
		.amdhsa_exception_fp_ieee_underflow 0
		.amdhsa_exception_fp_ieee_inexact 0
		.amdhsa_exception_int_div_zero 0
	.end_amdhsa_kernel
	.section	.text._ZN7rocprim17ROCPRIM_400000_NS6detail17trampoline_kernelINS0_14default_configENS1_36segmented_radix_sort_config_selectorI12hip_bfloat16lEEZNS1_25segmented_radix_sort_implIS3_Lb1EPKS5_PS5_PKlPlN2at6native12_GLOBAL__N_18offset_tEEE10hipError_tPvRmT1_PNSt15iterator_traitsISL_E10value_typeET2_T3_PNSM_ISR_E10value_typeET4_jRbjT5_SX_jjP12ihipStream_tbEUlT_E0_NS1_11comp_targetILNS1_3genE5ELNS1_11target_archE942ELNS1_3gpuE9ELNS1_3repE0EEENS1_60segmented_radix_sort_warp_sort_medium_config_static_selectorELNS0_4arch9wavefront6targetE1EEEvSL_,"axG",@progbits,_ZN7rocprim17ROCPRIM_400000_NS6detail17trampoline_kernelINS0_14default_configENS1_36segmented_radix_sort_config_selectorI12hip_bfloat16lEEZNS1_25segmented_radix_sort_implIS3_Lb1EPKS5_PS5_PKlPlN2at6native12_GLOBAL__N_18offset_tEEE10hipError_tPvRmT1_PNSt15iterator_traitsISL_E10value_typeET2_T3_PNSM_ISR_E10value_typeET4_jRbjT5_SX_jjP12ihipStream_tbEUlT_E0_NS1_11comp_targetILNS1_3genE5ELNS1_11target_archE942ELNS1_3gpuE9ELNS1_3repE0EEENS1_60segmented_radix_sort_warp_sort_medium_config_static_selectorELNS0_4arch9wavefront6targetE1EEEvSL_,comdat
.Lfunc_end1957:
	.size	_ZN7rocprim17ROCPRIM_400000_NS6detail17trampoline_kernelINS0_14default_configENS1_36segmented_radix_sort_config_selectorI12hip_bfloat16lEEZNS1_25segmented_radix_sort_implIS3_Lb1EPKS5_PS5_PKlPlN2at6native12_GLOBAL__N_18offset_tEEE10hipError_tPvRmT1_PNSt15iterator_traitsISL_E10value_typeET2_T3_PNSM_ISR_E10value_typeET4_jRbjT5_SX_jjP12ihipStream_tbEUlT_E0_NS1_11comp_targetILNS1_3genE5ELNS1_11target_archE942ELNS1_3gpuE9ELNS1_3repE0EEENS1_60segmented_radix_sort_warp_sort_medium_config_static_selectorELNS0_4arch9wavefront6targetE1EEEvSL_, .Lfunc_end1957-_ZN7rocprim17ROCPRIM_400000_NS6detail17trampoline_kernelINS0_14default_configENS1_36segmented_radix_sort_config_selectorI12hip_bfloat16lEEZNS1_25segmented_radix_sort_implIS3_Lb1EPKS5_PS5_PKlPlN2at6native12_GLOBAL__N_18offset_tEEE10hipError_tPvRmT1_PNSt15iterator_traitsISL_E10value_typeET2_T3_PNSM_ISR_E10value_typeET4_jRbjT5_SX_jjP12ihipStream_tbEUlT_E0_NS1_11comp_targetILNS1_3genE5ELNS1_11target_archE942ELNS1_3gpuE9ELNS1_3repE0EEENS1_60segmented_radix_sort_warp_sort_medium_config_static_selectorELNS0_4arch9wavefront6targetE1EEEvSL_
                                        ; -- End function
	.set _ZN7rocprim17ROCPRIM_400000_NS6detail17trampoline_kernelINS0_14default_configENS1_36segmented_radix_sort_config_selectorI12hip_bfloat16lEEZNS1_25segmented_radix_sort_implIS3_Lb1EPKS5_PS5_PKlPlN2at6native12_GLOBAL__N_18offset_tEEE10hipError_tPvRmT1_PNSt15iterator_traitsISL_E10value_typeET2_T3_PNSM_ISR_E10value_typeET4_jRbjT5_SX_jjP12ihipStream_tbEUlT_E0_NS1_11comp_targetILNS1_3genE5ELNS1_11target_archE942ELNS1_3gpuE9ELNS1_3repE0EEENS1_60segmented_radix_sort_warp_sort_medium_config_static_selectorELNS0_4arch9wavefront6targetE1EEEvSL_.num_vgpr, 0
	.set _ZN7rocprim17ROCPRIM_400000_NS6detail17trampoline_kernelINS0_14default_configENS1_36segmented_radix_sort_config_selectorI12hip_bfloat16lEEZNS1_25segmented_radix_sort_implIS3_Lb1EPKS5_PS5_PKlPlN2at6native12_GLOBAL__N_18offset_tEEE10hipError_tPvRmT1_PNSt15iterator_traitsISL_E10value_typeET2_T3_PNSM_ISR_E10value_typeET4_jRbjT5_SX_jjP12ihipStream_tbEUlT_E0_NS1_11comp_targetILNS1_3genE5ELNS1_11target_archE942ELNS1_3gpuE9ELNS1_3repE0EEENS1_60segmented_radix_sort_warp_sort_medium_config_static_selectorELNS0_4arch9wavefront6targetE1EEEvSL_.num_agpr, 0
	.set _ZN7rocprim17ROCPRIM_400000_NS6detail17trampoline_kernelINS0_14default_configENS1_36segmented_radix_sort_config_selectorI12hip_bfloat16lEEZNS1_25segmented_radix_sort_implIS3_Lb1EPKS5_PS5_PKlPlN2at6native12_GLOBAL__N_18offset_tEEE10hipError_tPvRmT1_PNSt15iterator_traitsISL_E10value_typeET2_T3_PNSM_ISR_E10value_typeET4_jRbjT5_SX_jjP12ihipStream_tbEUlT_E0_NS1_11comp_targetILNS1_3genE5ELNS1_11target_archE942ELNS1_3gpuE9ELNS1_3repE0EEENS1_60segmented_radix_sort_warp_sort_medium_config_static_selectorELNS0_4arch9wavefront6targetE1EEEvSL_.numbered_sgpr, 0
	.set _ZN7rocprim17ROCPRIM_400000_NS6detail17trampoline_kernelINS0_14default_configENS1_36segmented_radix_sort_config_selectorI12hip_bfloat16lEEZNS1_25segmented_radix_sort_implIS3_Lb1EPKS5_PS5_PKlPlN2at6native12_GLOBAL__N_18offset_tEEE10hipError_tPvRmT1_PNSt15iterator_traitsISL_E10value_typeET2_T3_PNSM_ISR_E10value_typeET4_jRbjT5_SX_jjP12ihipStream_tbEUlT_E0_NS1_11comp_targetILNS1_3genE5ELNS1_11target_archE942ELNS1_3gpuE9ELNS1_3repE0EEENS1_60segmented_radix_sort_warp_sort_medium_config_static_selectorELNS0_4arch9wavefront6targetE1EEEvSL_.num_named_barrier, 0
	.set _ZN7rocprim17ROCPRIM_400000_NS6detail17trampoline_kernelINS0_14default_configENS1_36segmented_radix_sort_config_selectorI12hip_bfloat16lEEZNS1_25segmented_radix_sort_implIS3_Lb1EPKS5_PS5_PKlPlN2at6native12_GLOBAL__N_18offset_tEEE10hipError_tPvRmT1_PNSt15iterator_traitsISL_E10value_typeET2_T3_PNSM_ISR_E10value_typeET4_jRbjT5_SX_jjP12ihipStream_tbEUlT_E0_NS1_11comp_targetILNS1_3genE5ELNS1_11target_archE942ELNS1_3gpuE9ELNS1_3repE0EEENS1_60segmented_radix_sort_warp_sort_medium_config_static_selectorELNS0_4arch9wavefront6targetE1EEEvSL_.private_seg_size, 0
	.set _ZN7rocprim17ROCPRIM_400000_NS6detail17trampoline_kernelINS0_14default_configENS1_36segmented_radix_sort_config_selectorI12hip_bfloat16lEEZNS1_25segmented_radix_sort_implIS3_Lb1EPKS5_PS5_PKlPlN2at6native12_GLOBAL__N_18offset_tEEE10hipError_tPvRmT1_PNSt15iterator_traitsISL_E10value_typeET2_T3_PNSM_ISR_E10value_typeET4_jRbjT5_SX_jjP12ihipStream_tbEUlT_E0_NS1_11comp_targetILNS1_3genE5ELNS1_11target_archE942ELNS1_3gpuE9ELNS1_3repE0EEENS1_60segmented_radix_sort_warp_sort_medium_config_static_selectorELNS0_4arch9wavefront6targetE1EEEvSL_.uses_vcc, 0
	.set _ZN7rocprim17ROCPRIM_400000_NS6detail17trampoline_kernelINS0_14default_configENS1_36segmented_radix_sort_config_selectorI12hip_bfloat16lEEZNS1_25segmented_radix_sort_implIS3_Lb1EPKS5_PS5_PKlPlN2at6native12_GLOBAL__N_18offset_tEEE10hipError_tPvRmT1_PNSt15iterator_traitsISL_E10value_typeET2_T3_PNSM_ISR_E10value_typeET4_jRbjT5_SX_jjP12ihipStream_tbEUlT_E0_NS1_11comp_targetILNS1_3genE5ELNS1_11target_archE942ELNS1_3gpuE9ELNS1_3repE0EEENS1_60segmented_radix_sort_warp_sort_medium_config_static_selectorELNS0_4arch9wavefront6targetE1EEEvSL_.uses_flat_scratch, 0
	.set _ZN7rocprim17ROCPRIM_400000_NS6detail17trampoline_kernelINS0_14default_configENS1_36segmented_radix_sort_config_selectorI12hip_bfloat16lEEZNS1_25segmented_radix_sort_implIS3_Lb1EPKS5_PS5_PKlPlN2at6native12_GLOBAL__N_18offset_tEEE10hipError_tPvRmT1_PNSt15iterator_traitsISL_E10value_typeET2_T3_PNSM_ISR_E10value_typeET4_jRbjT5_SX_jjP12ihipStream_tbEUlT_E0_NS1_11comp_targetILNS1_3genE5ELNS1_11target_archE942ELNS1_3gpuE9ELNS1_3repE0EEENS1_60segmented_radix_sort_warp_sort_medium_config_static_selectorELNS0_4arch9wavefront6targetE1EEEvSL_.has_dyn_sized_stack, 0
	.set _ZN7rocprim17ROCPRIM_400000_NS6detail17trampoline_kernelINS0_14default_configENS1_36segmented_radix_sort_config_selectorI12hip_bfloat16lEEZNS1_25segmented_radix_sort_implIS3_Lb1EPKS5_PS5_PKlPlN2at6native12_GLOBAL__N_18offset_tEEE10hipError_tPvRmT1_PNSt15iterator_traitsISL_E10value_typeET2_T3_PNSM_ISR_E10value_typeET4_jRbjT5_SX_jjP12ihipStream_tbEUlT_E0_NS1_11comp_targetILNS1_3genE5ELNS1_11target_archE942ELNS1_3gpuE9ELNS1_3repE0EEENS1_60segmented_radix_sort_warp_sort_medium_config_static_selectorELNS0_4arch9wavefront6targetE1EEEvSL_.has_recursion, 0
	.set _ZN7rocprim17ROCPRIM_400000_NS6detail17trampoline_kernelINS0_14default_configENS1_36segmented_radix_sort_config_selectorI12hip_bfloat16lEEZNS1_25segmented_radix_sort_implIS3_Lb1EPKS5_PS5_PKlPlN2at6native12_GLOBAL__N_18offset_tEEE10hipError_tPvRmT1_PNSt15iterator_traitsISL_E10value_typeET2_T3_PNSM_ISR_E10value_typeET4_jRbjT5_SX_jjP12ihipStream_tbEUlT_E0_NS1_11comp_targetILNS1_3genE5ELNS1_11target_archE942ELNS1_3gpuE9ELNS1_3repE0EEENS1_60segmented_radix_sort_warp_sort_medium_config_static_selectorELNS0_4arch9wavefront6targetE1EEEvSL_.has_indirect_call, 0
	.section	.AMDGPU.csdata,"",@progbits
; Kernel info:
; codeLenInByte = 0
; TotalNumSgprs: 4
; NumVgprs: 0
; ScratchSize: 0
; MemoryBound: 0
; FloatMode: 240
; IeeeMode: 1
; LDSByteSize: 0 bytes/workgroup (compile time only)
; SGPRBlocks: 0
; VGPRBlocks: 0
; NumSGPRsForWavesPerEU: 4
; NumVGPRsForWavesPerEU: 1
; Occupancy: 10
; WaveLimiterHint : 0
; COMPUTE_PGM_RSRC2:SCRATCH_EN: 0
; COMPUTE_PGM_RSRC2:USER_SGPR: 6
; COMPUTE_PGM_RSRC2:TRAP_HANDLER: 0
; COMPUTE_PGM_RSRC2:TGID_X_EN: 1
; COMPUTE_PGM_RSRC2:TGID_Y_EN: 0
; COMPUTE_PGM_RSRC2:TGID_Z_EN: 0
; COMPUTE_PGM_RSRC2:TIDIG_COMP_CNT: 0
	.section	.text._ZN7rocprim17ROCPRIM_400000_NS6detail17trampoline_kernelINS0_14default_configENS1_36segmented_radix_sort_config_selectorI12hip_bfloat16lEEZNS1_25segmented_radix_sort_implIS3_Lb1EPKS5_PS5_PKlPlN2at6native12_GLOBAL__N_18offset_tEEE10hipError_tPvRmT1_PNSt15iterator_traitsISL_E10value_typeET2_T3_PNSM_ISR_E10value_typeET4_jRbjT5_SX_jjP12ihipStream_tbEUlT_E0_NS1_11comp_targetILNS1_3genE4ELNS1_11target_archE910ELNS1_3gpuE8ELNS1_3repE0EEENS1_60segmented_radix_sort_warp_sort_medium_config_static_selectorELNS0_4arch9wavefront6targetE1EEEvSL_,"axG",@progbits,_ZN7rocprim17ROCPRIM_400000_NS6detail17trampoline_kernelINS0_14default_configENS1_36segmented_radix_sort_config_selectorI12hip_bfloat16lEEZNS1_25segmented_radix_sort_implIS3_Lb1EPKS5_PS5_PKlPlN2at6native12_GLOBAL__N_18offset_tEEE10hipError_tPvRmT1_PNSt15iterator_traitsISL_E10value_typeET2_T3_PNSM_ISR_E10value_typeET4_jRbjT5_SX_jjP12ihipStream_tbEUlT_E0_NS1_11comp_targetILNS1_3genE4ELNS1_11target_archE910ELNS1_3gpuE8ELNS1_3repE0EEENS1_60segmented_radix_sort_warp_sort_medium_config_static_selectorELNS0_4arch9wavefront6targetE1EEEvSL_,comdat
	.globl	_ZN7rocprim17ROCPRIM_400000_NS6detail17trampoline_kernelINS0_14default_configENS1_36segmented_radix_sort_config_selectorI12hip_bfloat16lEEZNS1_25segmented_radix_sort_implIS3_Lb1EPKS5_PS5_PKlPlN2at6native12_GLOBAL__N_18offset_tEEE10hipError_tPvRmT1_PNSt15iterator_traitsISL_E10value_typeET2_T3_PNSM_ISR_E10value_typeET4_jRbjT5_SX_jjP12ihipStream_tbEUlT_E0_NS1_11comp_targetILNS1_3genE4ELNS1_11target_archE910ELNS1_3gpuE8ELNS1_3repE0EEENS1_60segmented_radix_sort_warp_sort_medium_config_static_selectorELNS0_4arch9wavefront6targetE1EEEvSL_ ; -- Begin function _ZN7rocprim17ROCPRIM_400000_NS6detail17trampoline_kernelINS0_14default_configENS1_36segmented_radix_sort_config_selectorI12hip_bfloat16lEEZNS1_25segmented_radix_sort_implIS3_Lb1EPKS5_PS5_PKlPlN2at6native12_GLOBAL__N_18offset_tEEE10hipError_tPvRmT1_PNSt15iterator_traitsISL_E10value_typeET2_T3_PNSM_ISR_E10value_typeET4_jRbjT5_SX_jjP12ihipStream_tbEUlT_E0_NS1_11comp_targetILNS1_3genE4ELNS1_11target_archE910ELNS1_3gpuE8ELNS1_3repE0EEENS1_60segmented_radix_sort_warp_sort_medium_config_static_selectorELNS0_4arch9wavefront6targetE1EEEvSL_
	.p2align	8
	.type	_ZN7rocprim17ROCPRIM_400000_NS6detail17trampoline_kernelINS0_14default_configENS1_36segmented_radix_sort_config_selectorI12hip_bfloat16lEEZNS1_25segmented_radix_sort_implIS3_Lb1EPKS5_PS5_PKlPlN2at6native12_GLOBAL__N_18offset_tEEE10hipError_tPvRmT1_PNSt15iterator_traitsISL_E10value_typeET2_T3_PNSM_ISR_E10value_typeET4_jRbjT5_SX_jjP12ihipStream_tbEUlT_E0_NS1_11comp_targetILNS1_3genE4ELNS1_11target_archE910ELNS1_3gpuE8ELNS1_3repE0EEENS1_60segmented_radix_sort_warp_sort_medium_config_static_selectorELNS0_4arch9wavefront6targetE1EEEvSL_,@function
_ZN7rocprim17ROCPRIM_400000_NS6detail17trampoline_kernelINS0_14default_configENS1_36segmented_radix_sort_config_selectorI12hip_bfloat16lEEZNS1_25segmented_radix_sort_implIS3_Lb1EPKS5_PS5_PKlPlN2at6native12_GLOBAL__N_18offset_tEEE10hipError_tPvRmT1_PNSt15iterator_traitsISL_E10value_typeET2_T3_PNSM_ISR_E10value_typeET4_jRbjT5_SX_jjP12ihipStream_tbEUlT_E0_NS1_11comp_targetILNS1_3genE4ELNS1_11target_archE910ELNS1_3gpuE8ELNS1_3repE0EEENS1_60segmented_radix_sort_warp_sort_medium_config_static_selectorELNS0_4arch9wavefront6targetE1EEEvSL_: ; @_ZN7rocprim17ROCPRIM_400000_NS6detail17trampoline_kernelINS0_14default_configENS1_36segmented_radix_sort_config_selectorI12hip_bfloat16lEEZNS1_25segmented_radix_sort_implIS3_Lb1EPKS5_PS5_PKlPlN2at6native12_GLOBAL__N_18offset_tEEE10hipError_tPvRmT1_PNSt15iterator_traitsISL_E10value_typeET2_T3_PNSM_ISR_E10value_typeET4_jRbjT5_SX_jjP12ihipStream_tbEUlT_E0_NS1_11comp_targetILNS1_3genE4ELNS1_11target_archE910ELNS1_3gpuE8ELNS1_3repE0EEENS1_60segmented_radix_sort_warp_sort_medium_config_static_selectorELNS0_4arch9wavefront6targetE1EEEvSL_
; %bb.0:
	.section	.rodata,"a",@progbits
	.p2align	6, 0x0
	.amdhsa_kernel _ZN7rocprim17ROCPRIM_400000_NS6detail17trampoline_kernelINS0_14default_configENS1_36segmented_radix_sort_config_selectorI12hip_bfloat16lEEZNS1_25segmented_radix_sort_implIS3_Lb1EPKS5_PS5_PKlPlN2at6native12_GLOBAL__N_18offset_tEEE10hipError_tPvRmT1_PNSt15iterator_traitsISL_E10value_typeET2_T3_PNSM_ISR_E10value_typeET4_jRbjT5_SX_jjP12ihipStream_tbEUlT_E0_NS1_11comp_targetILNS1_3genE4ELNS1_11target_archE910ELNS1_3gpuE8ELNS1_3repE0EEENS1_60segmented_radix_sort_warp_sort_medium_config_static_selectorELNS0_4arch9wavefront6targetE1EEEvSL_
		.amdhsa_group_segment_fixed_size 0
		.amdhsa_private_segment_fixed_size 0
		.amdhsa_kernarg_size 88
		.amdhsa_user_sgpr_count 6
		.amdhsa_user_sgpr_private_segment_buffer 1
		.amdhsa_user_sgpr_dispatch_ptr 0
		.amdhsa_user_sgpr_queue_ptr 0
		.amdhsa_user_sgpr_kernarg_segment_ptr 1
		.amdhsa_user_sgpr_dispatch_id 0
		.amdhsa_user_sgpr_flat_scratch_init 0
		.amdhsa_user_sgpr_private_segment_size 0
		.amdhsa_uses_dynamic_stack 0
		.amdhsa_system_sgpr_private_segment_wavefront_offset 0
		.amdhsa_system_sgpr_workgroup_id_x 1
		.amdhsa_system_sgpr_workgroup_id_y 0
		.amdhsa_system_sgpr_workgroup_id_z 0
		.amdhsa_system_sgpr_workgroup_info 0
		.amdhsa_system_vgpr_workitem_id 0
		.amdhsa_next_free_vgpr 1
		.amdhsa_next_free_sgpr 0
		.amdhsa_reserve_vcc 0
		.amdhsa_reserve_flat_scratch 0
		.amdhsa_float_round_mode_32 0
		.amdhsa_float_round_mode_16_64 0
		.amdhsa_float_denorm_mode_32 3
		.amdhsa_float_denorm_mode_16_64 3
		.amdhsa_dx10_clamp 1
		.amdhsa_ieee_mode 1
		.amdhsa_fp16_overflow 0
		.amdhsa_exception_fp_ieee_invalid_op 0
		.amdhsa_exception_fp_denorm_src 0
		.amdhsa_exception_fp_ieee_div_zero 0
		.amdhsa_exception_fp_ieee_overflow 0
		.amdhsa_exception_fp_ieee_underflow 0
		.amdhsa_exception_fp_ieee_inexact 0
		.amdhsa_exception_int_div_zero 0
	.end_amdhsa_kernel
	.section	.text._ZN7rocprim17ROCPRIM_400000_NS6detail17trampoline_kernelINS0_14default_configENS1_36segmented_radix_sort_config_selectorI12hip_bfloat16lEEZNS1_25segmented_radix_sort_implIS3_Lb1EPKS5_PS5_PKlPlN2at6native12_GLOBAL__N_18offset_tEEE10hipError_tPvRmT1_PNSt15iterator_traitsISL_E10value_typeET2_T3_PNSM_ISR_E10value_typeET4_jRbjT5_SX_jjP12ihipStream_tbEUlT_E0_NS1_11comp_targetILNS1_3genE4ELNS1_11target_archE910ELNS1_3gpuE8ELNS1_3repE0EEENS1_60segmented_radix_sort_warp_sort_medium_config_static_selectorELNS0_4arch9wavefront6targetE1EEEvSL_,"axG",@progbits,_ZN7rocprim17ROCPRIM_400000_NS6detail17trampoline_kernelINS0_14default_configENS1_36segmented_radix_sort_config_selectorI12hip_bfloat16lEEZNS1_25segmented_radix_sort_implIS3_Lb1EPKS5_PS5_PKlPlN2at6native12_GLOBAL__N_18offset_tEEE10hipError_tPvRmT1_PNSt15iterator_traitsISL_E10value_typeET2_T3_PNSM_ISR_E10value_typeET4_jRbjT5_SX_jjP12ihipStream_tbEUlT_E0_NS1_11comp_targetILNS1_3genE4ELNS1_11target_archE910ELNS1_3gpuE8ELNS1_3repE0EEENS1_60segmented_radix_sort_warp_sort_medium_config_static_selectorELNS0_4arch9wavefront6targetE1EEEvSL_,comdat
.Lfunc_end1958:
	.size	_ZN7rocprim17ROCPRIM_400000_NS6detail17trampoline_kernelINS0_14default_configENS1_36segmented_radix_sort_config_selectorI12hip_bfloat16lEEZNS1_25segmented_radix_sort_implIS3_Lb1EPKS5_PS5_PKlPlN2at6native12_GLOBAL__N_18offset_tEEE10hipError_tPvRmT1_PNSt15iterator_traitsISL_E10value_typeET2_T3_PNSM_ISR_E10value_typeET4_jRbjT5_SX_jjP12ihipStream_tbEUlT_E0_NS1_11comp_targetILNS1_3genE4ELNS1_11target_archE910ELNS1_3gpuE8ELNS1_3repE0EEENS1_60segmented_radix_sort_warp_sort_medium_config_static_selectorELNS0_4arch9wavefront6targetE1EEEvSL_, .Lfunc_end1958-_ZN7rocprim17ROCPRIM_400000_NS6detail17trampoline_kernelINS0_14default_configENS1_36segmented_radix_sort_config_selectorI12hip_bfloat16lEEZNS1_25segmented_radix_sort_implIS3_Lb1EPKS5_PS5_PKlPlN2at6native12_GLOBAL__N_18offset_tEEE10hipError_tPvRmT1_PNSt15iterator_traitsISL_E10value_typeET2_T3_PNSM_ISR_E10value_typeET4_jRbjT5_SX_jjP12ihipStream_tbEUlT_E0_NS1_11comp_targetILNS1_3genE4ELNS1_11target_archE910ELNS1_3gpuE8ELNS1_3repE0EEENS1_60segmented_radix_sort_warp_sort_medium_config_static_selectorELNS0_4arch9wavefront6targetE1EEEvSL_
                                        ; -- End function
	.set _ZN7rocprim17ROCPRIM_400000_NS6detail17trampoline_kernelINS0_14default_configENS1_36segmented_radix_sort_config_selectorI12hip_bfloat16lEEZNS1_25segmented_radix_sort_implIS3_Lb1EPKS5_PS5_PKlPlN2at6native12_GLOBAL__N_18offset_tEEE10hipError_tPvRmT1_PNSt15iterator_traitsISL_E10value_typeET2_T3_PNSM_ISR_E10value_typeET4_jRbjT5_SX_jjP12ihipStream_tbEUlT_E0_NS1_11comp_targetILNS1_3genE4ELNS1_11target_archE910ELNS1_3gpuE8ELNS1_3repE0EEENS1_60segmented_radix_sort_warp_sort_medium_config_static_selectorELNS0_4arch9wavefront6targetE1EEEvSL_.num_vgpr, 0
	.set _ZN7rocprim17ROCPRIM_400000_NS6detail17trampoline_kernelINS0_14default_configENS1_36segmented_radix_sort_config_selectorI12hip_bfloat16lEEZNS1_25segmented_radix_sort_implIS3_Lb1EPKS5_PS5_PKlPlN2at6native12_GLOBAL__N_18offset_tEEE10hipError_tPvRmT1_PNSt15iterator_traitsISL_E10value_typeET2_T3_PNSM_ISR_E10value_typeET4_jRbjT5_SX_jjP12ihipStream_tbEUlT_E0_NS1_11comp_targetILNS1_3genE4ELNS1_11target_archE910ELNS1_3gpuE8ELNS1_3repE0EEENS1_60segmented_radix_sort_warp_sort_medium_config_static_selectorELNS0_4arch9wavefront6targetE1EEEvSL_.num_agpr, 0
	.set _ZN7rocprim17ROCPRIM_400000_NS6detail17trampoline_kernelINS0_14default_configENS1_36segmented_radix_sort_config_selectorI12hip_bfloat16lEEZNS1_25segmented_radix_sort_implIS3_Lb1EPKS5_PS5_PKlPlN2at6native12_GLOBAL__N_18offset_tEEE10hipError_tPvRmT1_PNSt15iterator_traitsISL_E10value_typeET2_T3_PNSM_ISR_E10value_typeET4_jRbjT5_SX_jjP12ihipStream_tbEUlT_E0_NS1_11comp_targetILNS1_3genE4ELNS1_11target_archE910ELNS1_3gpuE8ELNS1_3repE0EEENS1_60segmented_radix_sort_warp_sort_medium_config_static_selectorELNS0_4arch9wavefront6targetE1EEEvSL_.numbered_sgpr, 0
	.set _ZN7rocprim17ROCPRIM_400000_NS6detail17trampoline_kernelINS0_14default_configENS1_36segmented_radix_sort_config_selectorI12hip_bfloat16lEEZNS1_25segmented_radix_sort_implIS3_Lb1EPKS5_PS5_PKlPlN2at6native12_GLOBAL__N_18offset_tEEE10hipError_tPvRmT1_PNSt15iterator_traitsISL_E10value_typeET2_T3_PNSM_ISR_E10value_typeET4_jRbjT5_SX_jjP12ihipStream_tbEUlT_E0_NS1_11comp_targetILNS1_3genE4ELNS1_11target_archE910ELNS1_3gpuE8ELNS1_3repE0EEENS1_60segmented_radix_sort_warp_sort_medium_config_static_selectorELNS0_4arch9wavefront6targetE1EEEvSL_.num_named_barrier, 0
	.set _ZN7rocprim17ROCPRIM_400000_NS6detail17trampoline_kernelINS0_14default_configENS1_36segmented_radix_sort_config_selectorI12hip_bfloat16lEEZNS1_25segmented_radix_sort_implIS3_Lb1EPKS5_PS5_PKlPlN2at6native12_GLOBAL__N_18offset_tEEE10hipError_tPvRmT1_PNSt15iterator_traitsISL_E10value_typeET2_T3_PNSM_ISR_E10value_typeET4_jRbjT5_SX_jjP12ihipStream_tbEUlT_E0_NS1_11comp_targetILNS1_3genE4ELNS1_11target_archE910ELNS1_3gpuE8ELNS1_3repE0EEENS1_60segmented_radix_sort_warp_sort_medium_config_static_selectorELNS0_4arch9wavefront6targetE1EEEvSL_.private_seg_size, 0
	.set _ZN7rocprim17ROCPRIM_400000_NS6detail17trampoline_kernelINS0_14default_configENS1_36segmented_radix_sort_config_selectorI12hip_bfloat16lEEZNS1_25segmented_radix_sort_implIS3_Lb1EPKS5_PS5_PKlPlN2at6native12_GLOBAL__N_18offset_tEEE10hipError_tPvRmT1_PNSt15iterator_traitsISL_E10value_typeET2_T3_PNSM_ISR_E10value_typeET4_jRbjT5_SX_jjP12ihipStream_tbEUlT_E0_NS1_11comp_targetILNS1_3genE4ELNS1_11target_archE910ELNS1_3gpuE8ELNS1_3repE0EEENS1_60segmented_radix_sort_warp_sort_medium_config_static_selectorELNS0_4arch9wavefront6targetE1EEEvSL_.uses_vcc, 0
	.set _ZN7rocprim17ROCPRIM_400000_NS6detail17trampoline_kernelINS0_14default_configENS1_36segmented_radix_sort_config_selectorI12hip_bfloat16lEEZNS1_25segmented_radix_sort_implIS3_Lb1EPKS5_PS5_PKlPlN2at6native12_GLOBAL__N_18offset_tEEE10hipError_tPvRmT1_PNSt15iterator_traitsISL_E10value_typeET2_T3_PNSM_ISR_E10value_typeET4_jRbjT5_SX_jjP12ihipStream_tbEUlT_E0_NS1_11comp_targetILNS1_3genE4ELNS1_11target_archE910ELNS1_3gpuE8ELNS1_3repE0EEENS1_60segmented_radix_sort_warp_sort_medium_config_static_selectorELNS0_4arch9wavefront6targetE1EEEvSL_.uses_flat_scratch, 0
	.set _ZN7rocprim17ROCPRIM_400000_NS6detail17trampoline_kernelINS0_14default_configENS1_36segmented_radix_sort_config_selectorI12hip_bfloat16lEEZNS1_25segmented_radix_sort_implIS3_Lb1EPKS5_PS5_PKlPlN2at6native12_GLOBAL__N_18offset_tEEE10hipError_tPvRmT1_PNSt15iterator_traitsISL_E10value_typeET2_T3_PNSM_ISR_E10value_typeET4_jRbjT5_SX_jjP12ihipStream_tbEUlT_E0_NS1_11comp_targetILNS1_3genE4ELNS1_11target_archE910ELNS1_3gpuE8ELNS1_3repE0EEENS1_60segmented_radix_sort_warp_sort_medium_config_static_selectorELNS0_4arch9wavefront6targetE1EEEvSL_.has_dyn_sized_stack, 0
	.set _ZN7rocprim17ROCPRIM_400000_NS6detail17trampoline_kernelINS0_14default_configENS1_36segmented_radix_sort_config_selectorI12hip_bfloat16lEEZNS1_25segmented_radix_sort_implIS3_Lb1EPKS5_PS5_PKlPlN2at6native12_GLOBAL__N_18offset_tEEE10hipError_tPvRmT1_PNSt15iterator_traitsISL_E10value_typeET2_T3_PNSM_ISR_E10value_typeET4_jRbjT5_SX_jjP12ihipStream_tbEUlT_E0_NS1_11comp_targetILNS1_3genE4ELNS1_11target_archE910ELNS1_3gpuE8ELNS1_3repE0EEENS1_60segmented_radix_sort_warp_sort_medium_config_static_selectorELNS0_4arch9wavefront6targetE1EEEvSL_.has_recursion, 0
	.set _ZN7rocprim17ROCPRIM_400000_NS6detail17trampoline_kernelINS0_14default_configENS1_36segmented_radix_sort_config_selectorI12hip_bfloat16lEEZNS1_25segmented_radix_sort_implIS3_Lb1EPKS5_PS5_PKlPlN2at6native12_GLOBAL__N_18offset_tEEE10hipError_tPvRmT1_PNSt15iterator_traitsISL_E10value_typeET2_T3_PNSM_ISR_E10value_typeET4_jRbjT5_SX_jjP12ihipStream_tbEUlT_E0_NS1_11comp_targetILNS1_3genE4ELNS1_11target_archE910ELNS1_3gpuE8ELNS1_3repE0EEENS1_60segmented_radix_sort_warp_sort_medium_config_static_selectorELNS0_4arch9wavefront6targetE1EEEvSL_.has_indirect_call, 0
	.section	.AMDGPU.csdata,"",@progbits
; Kernel info:
; codeLenInByte = 0
; TotalNumSgprs: 4
; NumVgprs: 0
; ScratchSize: 0
; MemoryBound: 0
; FloatMode: 240
; IeeeMode: 1
; LDSByteSize: 0 bytes/workgroup (compile time only)
; SGPRBlocks: 0
; VGPRBlocks: 0
; NumSGPRsForWavesPerEU: 4
; NumVGPRsForWavesPerEU: 1
; Occupancy: 10
; WaveLimiterHint : 0
; COMPUTE_PGM_RSRC2:SCRATCH_EN: 0
; COMPUTE_PGM_RSRC2:USER_SGPR: 6
; COMPUTE_PGM_RSRC2:TRAP_HANDLER: 0
; COMPUTE_PGM_RSRC2:TGID_X_EN: 1
; COMPUTE_PGM_RSRC2:TGID_Y_EN: 0
; COMPUTE_PGM_RSRC2:TGID_Z_EN: 0
; COMPUTE_PGM_RSRC2:TIDIG_COMP_CNT: 0
	.section	.text._ZN7rocprim17ROCPRIM_400000_NS6detail17trampoline_kernelINS0_14default_configENS1_36segmented_radix_sort_config_selectorI12hip_bfloat16lEEZNS1_25segmented_radix_sort_implIS3_Lb1EPKS5_PS5_PKlPlN2at6native12_GLOBAL__N_18offset_tEEE10hipError_tPvRmT1_PNSt15iterator_traitsISL_E10value_typeET2_T3_PNSM_ISR_E10value_typeET4_jRbjT5_SX_jjP12ihipStream_tbEUlT_E0_NS1_11comp_targetILNS1_3genE3ELNS1_11target_archE908ELNS1_3gpuE7ELNS1_3repE0EEENS1_60segmented_radix_sort_warp_sort_medium_config_static_selectorELNS0_4arch9wavefront6targetE1EEEvSL_,"axG",@progbits,_ZN7rocprim17ROCPRIM_400000_NS6detail17trampoline_kernelINS0_14default_configENS1_36segmented_radix_sort_config_selectorI12hip_bfloat16lEEZNS1_25segmented_radix_sort_implIS3_Lb1EPKS5_PS5_PKlPlN2at6native12_GLOBAL__N_18offset_tEEE10hipError_tPvRmT1_PNSt15iterator_traitsISL_E10value_typeET2_T3_PNSM_ISR_E10value_typeET4_jRbjT5_SX_jjP12ihipStream_tbEUlT_E0_NS1_11comp_targetILNS1_3genE3ELNS1_11target_archE908ELNS1_3gpuE7ELNS1_3repE0EEENS1_60segmented_radix_sort_warp_sort_medium_config_static_selectorELNS0_4arch9wavefront6targetE1EEEvSL_,comdat
	.globl	_ZN7rocprim17ROCPRIM_400000_NS6detail17trampoline_kernelINS0_14default_configENS1_36segmented_radix_sort_config_selectorI12hip_bfloat16lEEZNS1_25segmented_radix_sort_implIS3_Lb1EPKS5_PS5_PKlPlN2at6native12_GLOBAL__N_18offset_tEEE10hipError_tPvRmT1_PNSt15iterator_traitsISL_E10value_typeET2_T3_PNSM_ISR_E10value_typeET4_jRbjT5_SX_jjP12ihipStream_tbEUlT_E0_NS1_11comp_targetILNS1_3genE3ELNS1_11target_archE908ELNS1_3gpuE7ELNS1_3repE0EEENS1_60segmented_radix_sort_warp_sort_medium_config_static_selectorELNS0_4arch9wavefront6targetE1EEEvSL_ ; -- Begin function _ZN7rocprim17ROCPRIM_400000_NS6detail17trampoline_kernelINS0_14default_configENS1_36segmented_radix_sort_config_selectorI12hip_bfloat16lEEZNS1_25segmented_radix_sort_implIS3_Lb1EPKS5_PS5_PKlPlN2at6native12_GLOBAL__N_18offset_tEEE10hipError_tPvRmT1_PNSt15iterator_traitsISL_E10value_typeET2_T3_PNSM_ISR_E10value_typeET4_jRbjT5_SX_jjP12ihipStream_tbEUlT_E0_NS1_11comp_targetILNS1_3genE3ELNS1_11target_archE908ELNS1_3gpuE7ELNS1_3repE0EEENS1_60segmented_radix_sort_warp_sort_medium_config_static_selectorELNS0_4arch9wavefront6targetE1EEEvSL_
	.p2align	8
	.type	_ZN7rocprim17ROCPRIM_400000_NS6detail17trampoline_kernelINS0_14default_configENS1_36segmented_radix_sort_config_selectorI12hip_bfloat16lEEZNS1_25segmented_radix_sort_implIS3_Lb1EPKS5_PS5_PKlPlN2at6native12_GLOBAL__N_18offset_tEEE10hipError_tPvRmT1_PNSt15iterator_traitsISL_E10value_typeET2_T3_PNSM_ISR_E10value_typeET4_jRbjT5_SX_jjP12ihipStream_tbEUlT_E0_NS1_11comp_targetILNS1_3genE3ELNS1_11target_archE908ELNS1_3gpuE7ELNS1_3repE0EEENS1_60segmented_radix_sort_warp_sort_medium_config_static_selectorELNS0_4arch9wavefront6targetE1EEEvSL_,@function
_ZN7rocprim17ROCPRIM_400000_NS6detail17trampoline_kernelINS0_14default_configENS1_36segmented_radix_sort_config_selectorI12hip_bfloat16lEEZNS1_25segmented_radix_sort_implIS3_Lb1EPKS5_PS5_PKlPlN2at6native12_GLOBAL__N_18offset_tEEE10hipError_tPvRmT1_PNSt15iterator_traitsISL_E10value_typeET2_T3_PNSM_ISR_E10value_typeET4_jRbjT5_SX_jjP12ihipStream_tbEUlT_E0_NS1_11comp_targetILNS1_3genE3ELNS1_11target_archE908ELNS1_3gpuE7ELNS1_3repE0EEENS1_60segmented_radix_sort_warp_sort_medium_config_static_selectorELNS0_4arch9wavefront6targetE1EEEvSL_: ; @_ZN7rocprim17ROCPRIM_400000_NS6detail17trampoline_kernelINS0_14default_configENS1_36segmented_radix_sort_config_selectorI12hip_bfloat16lEEZNS1_25segmented_radix_sort_implIS3_Lb1EPKS5_PS5_PKlPlN2at6native12_GLOBAL__N_18offset_tEEE10hipError_tPvRmT1_PNSt15iterator_traitsISL_E10value_typeET2_T3_PNSM_ISR_E10value_typeET4_jRbjT5_SX_jjP12ihipStream_tbEUlT_E0_NS1_11comp_targetILNS1_3genE3ELNS1_11target_archE908ELNS1_3gpuE7ELNS1_3repE0EEENS1_60segmented_radix_sort_warp_sort_medium_config_static_selectorELNS0_4arch9wavefront6targetE1EEEvSL_
; %bb.0:
	.section	.rodata,"a",@progbits
	.p2align	6, 0x0
	.amdhsa_kernel _ZN7rocprim17ROCPRIM_400000_NS6detail17trampoline_kernelINS0_14default_configENS1_36segmented_radix_sort_config_selectorI12hip_bfloat16lEEZNS1_25segmented_radix_sort_implIS3_Lb1EPKS5_PS5_PKlPlN2at6native12_GLOBAL__N_18offset_tEEE10hipError_tPvRmT1_PNSt15iterator_traitsISL_E10value_typeET2_T3_PNSM_ISR_E10value_typeET4_jRbjT5_SX_jjP12ihipStream_tbEUlT_E0_NS1_11comp_targetILNS1_3genE3ELNS1_11target_archE908ELNS1_3gpuE7ELNS1_3repE0EEENS1_60segmented_radix_sort_warp_sort_medium_config_static_selectorELNS0_4arch9wavefront6targetE1EEEvSL_
		.amdhsa_group_segment_fixed_size 0
		.amdhsa_private_segment_fixed_size 0
		.amdhsa_kernarg_size 88
		.amdhsa_user_sgpr_count 6
		.amdhsa_user_sgpr_private_segment_buffer 1
		.amdhsa_user_sgpr_dispatch_ptr 0
		.amdhsa_user_sgpr_queue_ptr 0
		.amdhsa_user_sgpr_kernarg_segment_ptr 1
		.amdhsa_user_sgpr_dispatch_id 0
		.amdhsa_user_sgpr_flat_scratch_init 0
		.amdhsa_user_sgpr_private_segment_size 0
		.amdhsa_uses_dynamic_stack 0
		.amdhsa_system_sgpr_private_segment_wavefront_offset 0
		.amdhsa_system_sgpr_workgroup_id_x 1
		.amdhsa_system_sgpr_workgroup_id_y 0
		.amdhsa_system_sgpr_workgroup_id_z 0
		.amdhsa_system_sgpr_workgroup_info 0
		.amdhsa_system_vgpr_workitem_id 0
		.amdhsa_next_free_vgpr 1
		.amdhsa_next_free_sgpr 0
		.amdhsa_reserve_vcc 0
		.amdhsa_reserve_flat_scratch 0
		.amdhsa_float_round_mode_32 0
		.amdhsa_float_round_mode_16_64 0
		.amdhsa_float_denorm_mode_32 3
		.amdhsa_float_denorm_mode_16_64 3
		.amdhsa_dx10_clamp 1
		.amdhsa_ieee_mode 1
		.amdhsa_fp16_overflow 0
		.amdhsa_exception_fp_ieee_invalid_op 0
		.amdhsa_exception_fp_denorm_src 0
		.amdhsa_exception_fp_ieee_div_zero 0
		.amdhsa_exception_fp_ieee_overflow 0
		.amdhsa_exception_fp_ieee_underflow 0
		.amdhsa_exception_fp_ieee_inexact 0
		.amdhsa_exception_int_div_zero 0
	.end_amdhsa_kernel
	.section	.text._ZN7rocprim17ROCPRIM_400000_NS6detail17trampoline_kernelINS0_14default_configENS1_36segmented_radix_sort_config_selectorI12hip_bfloat16lEEZNS1_25segmented_radix_sort_implIS3_Lb1EPKS5_PS5_PKlPlN2at6native12_GLOBAL__N_18offset_tEEE10hipError_tPvRmT1_PNSt15iterator_traitsISL_E10value_typeET2_T3_PNSM_ISR_E10value_typeET4_jRbjT5_SX_jjP12ihipStream_tbEUlT_E0_NS1_11comp_targetILNS1_3genE3ELNS1_11target_archE908ELNS1_3gpuE7ELNS1_3repE0EEENS1_60segmented_radix_sort_warp_sort_medium_config_static_selectorELNS0_4arch9wavefront6targetE1EEEvSL_,"axG",@progbits,_ZN7rocprim17ROCPRIM_400000_NS6detail17trampoline_kernelINS0_14default_configENS1_36segmented_radix_sort_config_selectorI12hip_bfloat16lEEZNS1_25segmented_radix_sort_implIS3_Lb1EPKS5_PS5_PKlPlN2at6native12_GLOBAL__N_18offset_tEEE10hipError_tPvRmT1_PNSt15iterator_traitsISL_E10value_typeET2_T3_PNSM_ISR_E10value_typeET4_jRbjT5_SX_jjP12ihipStream_tbEUlT_E0_NS1_11comp_targetILNS1_3genE3ELNS1_11target_archE908ELNS1_3gpuE7ELNS1_3repE0EEENS1_60segmented_radix_sort_warp_sort_medium_config_static_selectorELNS0_4arch9wavefront6targetE1EEEvSL_,comdat
.Lfunc_end1959:
	.size	_ZN7rocprim17ROCPRIM_400000_NS6detail17trampoline_kernelINS0_14default_configENS1_36segmented_radix_sort_config_selectorI12hip_bfloat16lEEZNS1_25segmented_radix_sort_implIS3_Lb1EPKS5_PS5_PKlPlN2at6native12_GLOBAL__N_18offset_tEEE10hipError_tPvRmT1_PNSt15iterator_traitsISL_E10value_typeET2_T3_PNSM_ISR_E10value_typeET4_jRbjT5_SX_jjP12ihipStream_tbEUlT_E0_NS1_11comp_targetILNS1_3genE3ELNS1_11target_archE908ELNS1_3gpuE7ELNS1_3repE0EEENS1_60segmented_radix_sort_warp_sort_medium_config_static_selectorELNS0_4arch9wavefront6targetE1EEEvSL_, .Lfunc_end1959-_ZN7rocprim17ROCPRIM_400000_NS6detail17trampoline_kernelINS0_14default_configENS1_36segmented_radix_sort_config_selectorI12hip_bfloat16lEEZNS1_25segmented_radix_sort_implIS3_Lb1EPKS5_PS5_PKlPlN2at6native12_GLOBAL__N_18offset_tEEE10hipError_tPvRmT1_PNSt15iterator_traitsISL_E10value_typeET2_T3_PNSM_ISR_E10value_typeET4_jRbjT5_SX_jjP12ihipStream_tbEUlT_E0_NS1_11comp_targetILNS1_3genE3ELNS1_11target_archE908ELNS1_3gpuE7ELNS1_3repE0EEENS1_60segmented_radix_sort_warp_sort_medium_config_static_selectorELNS0_4arch9wavefront6targetE1EEEvSL_
                                        ; -- End function
	.set _ZN7rocprim17ROCPRIM_400000_NS6detail17trampoline_kernelINS0_14default_configENS1_36segmented_radix_sort_config_selectorI12hip_bfloat16lEEZNS1_25segmented_radix_sort_implIS3_Lb1EPKS5_PS5_PKlPlN2at6native12_GLOBAL__N_18offset_tEEE10hipError_tPvRmT1_PNSt15iterator_traitsISL_E10value_typeET2_T3_PNSM_ISR_E10value_typeET4_jRbjT5_SX_jjP12ihipStream_tbEUlT_E0_NS1_11comp_targetILNS1_3genE3ELNS1_11target_archE908ELNS1_3gpuE7ELNS1_3repE0EEENS1_60segmented_radix_sort_warp_sort_medium_config_static_selectorELNS0_4arch9wavefront6targetE1EEEvSL_.num_vgpr, 0
	.set _ZN7rocprim17ROCPRIM_400000_NS6detail17trampoline_kernelINS0_14default_configENS1_36segmented_radix_sort_config_selectorI12hip_bfloat16lEEZNS1_25segmented_radix_sort_implIS3_Lb1EPKS5_PS5_PKlPlN2at6native12_GLOBAL__N_18offset_tEEE10hipError_tPvRmT1_PNSt15iterator_traitsISL_E10value_typeET2_T3_PNSM_ISR_E10value_typeET4_jRbjT5_SX_jjP12ihipStream_tbEUlT_E0_NS1_11comp_targetILNS1_3genE3ELNS1_11target_archE908ELNS1_3gpuE7ELNS1_3repE0EEENS1_60segmented_radix_sort_warp_sort_medium_config_static_selectorELNS0_4arch9wavefront6targetE1EEEvSL_.num_agpr, 0
	.set _ZN7rocprim17ROCPRIM_400000_NS6detail17trampoline_kernelINS0_14default_configENS1_36segmented_radix_sort_config_selectorI12hip_bfloat16lEEZNS1_25segmented_radix_sort_implIS3_Lb1EPKS5_PS5_PKlPlN2at6native12_GLOBAL__N_18offset_tEEE10hipError_tPvRmT1_PNSt15iterator_traitsISL_E10value_typeET2_T3_PNSM_ISR_E10value_typeET4_jRbjT5_SX_jjP12ihipStream_tbEUlT_E0_NS1_11comp_targetILNS1_3genE3ELNS1_11target_archE908ELNS1_3gpuE7ELNS1_3repE0EEENS1_60segmented_radix_sort_warp_sort_medium_config_static_selectorELNS0_4arch9wavefront6targetE1EEEvSL_.numbered_sgpr, 0
	.set _ZN7rocprim17ROCPRIM_400000_NS6detail17trampoline_kernelINS0_14default_configENS1_36segmented_radix_sort_config_selectorI12hip_bfloat16lEEZNS1_25segmented_radix_sort_implIS3_Lb1EPKS5_PS5_PKlPlN2at6native12_GLOBAL__N_18offset_tEEE10hipError_tPvRmT1_PNSt15iterator_traitsISL_E10value_typeET2_T3_PNSM_ISR_E10value_typeET4_jRbjT5_SX_jjP12ihipStream_tbEUlT_E0_NS1_11comp_targetILNS1_3genE3ELNS1_11target_archE908ELNS1_3gpuE7ELNS1_3repE0EEENS1_60segmented_radix_sort_warp_sort_medium_config_static_selectorELNS0_4arch9wavefront6targetE1EEEvSL_.num_named_barrier, 0
	.set _ZN7rocprim17ROCPRIM_400000_NS6detail17trampoline_kernelINS0_14default_configENS1_36segmented_radix_sort_config_selectorI12hip_bfloat16lEEZNS1_25segmented_radix_sort_implIS3_Lb1EPKS5_PS5_PKlPlN2at6native12_GLOBAL__N_18offset_tEEE10hipError_tPvRmT1_PNSt15iterator_traitsISL_E10value_typeET2_T3_PNSM_ISR_E10value_typeET4_jRbjT5_SX_jjP12ihipStream_tbEUlT_E0_NS1_11comp_targetILNS1_3genE3ELNS1_11target_archE908ELNS1_3gpuE7ELNS1_3repE0EEENS1_60segmented_radix_sort_warp_sort_medium_config_static_selectorELNS0_4arch9wavefront6targetE1EEEvSL_.private_seg_size, 0
	.set _ZN7rocprim17ROCPRIM_400000_NS6detail17trampoline_kernelINS0_14default_configENS1_36segmented_radix_sort_config_selectorI12hip_bfloat16lEEZNS1_25segmented_radix_sort_implIS3_Lb1EPKS5_PS5_PKlPlN2at6native12_GLOBAL__N_18offset_tEEE10hipError_tPvRmT1_PNSt15iterator_traitsISL_E10value_typeET2_T3_PNSM_ISR_E10value_typeET4_jRbjT5_SX_jjP12ihipStream_tbEUlT_E0_NS1_11comp_targetILNS1_3genE3ELNS1_11target_archE908ELNS1_3gpuE7ELNS1_3repE0EEENS1_60segmented_radix_sort_warp_sort_medium_config_static_selectorELNS0_4arch9wavefront6targetE1EEEvSL_.uses_vcc, 0
	.set _ZN7rocprim17ROCPRIM_400000_NS6detail17trampoline_kernelINS0_14default_configENS1_36segmented_radix_sort_config_selectorI12hip_bfloat16lEEZNS1_25segmented_radix_sort_implIS3_Lb1EPKS5_PS5_PKlPlN2at6native12_GLOBAL__N_18offset_tEEE10hipError_tPvRmT1_PNSt15iterator_traitsISL_E10value_typeET2_T3_PNSM_ISR_E10value_typeET4_jRbjT5_SX_jjP12ihipStream_tbEUlT_E0_NS1_11comp_targetILNS1_3genE3ELNS1_11target_archE908ELNS1_3gpuE7ELNS1_3repE0EEENS1_60segmented_radix_sort_warp_sort_medium_config_static_selectorELNS0_4arch9wavefront6targetE1EEEvSL_.uses_flat_scratch, 0
	.set _ZN7rocprim17ROCPRIM_400000_NS6detail17trampoline_kernelINS0_14default_configENS1_36segmented_radix_sort_config_selectorI12hip_bfloat16lEEZNS1_25segmented_radix_sort_implIS3_Lb1EPKS5_PS5_PKlPlN2at6native12_GLOBAL__N_18offset_tEEE10hipError_tPvRmT1_PNSt15iterator_traitsISL_E10value_typeET2_T3_PNSM_ISR_E10value_typeET4_jRbjT5_SX_jjP12ihipStream_tbEUlT_E0_NS1_11comp_targetILNS1_3genE3ELNS1_11target_archE908ELNS1_3gpuE7ELNS1_3repE0EEENS1_60segmented_radix_sort_warp_sort_medium_config_static_selectorELNS0_4arch9wavefront6targetE1EEEvSL_.has_dyn_sized_stack, 0
	.set _ZN7rocprim17ROCPRIM_400000_NS6detail17trampoline_kernelINS0_14default_configENS1_36segmented_radix_sort_config_selectorI12hip_bfloat16lEEZNS1_25segmented_radix_sort_implIS3_Lb1EPKS5_PS5_PKlPlN2at6native12_GLOBAL__N_18offset_tEEE10hipError_tPvRmT1_PNSt15iterator_traitsISL_E10value_typeET2_T3_PNSM_ISR_E10value_typeET4_jRbjT5_SX_jjP12ihipStream_tbEUlT_E0_NS1_11comp_targetILNS1_3genE3ELNS1_11target_archE908ELNS1_3gpuE7ELNS1_3repE0EEENS1_60segmented_radix_sort_warp_sort_medium_config_static_selectorELNS0_4arch9wavefront6targetE1EEEvSL_.has_recursion, 0
	.set _ZN7rocprim17ROCPRIM_400000_NS6detail17trampoline_kernelINS0_14default_configENS1_36segmented_radix_sort_config_selectorI12hip_bfloat16lEEZNS1_25segmented_radix_sort_implIS3_Lb1EPKS5_PS5_PKlPlN2at6native12_GLOBAL__N_18offset_tEEE10hipError_tPvRmT1_PNSt15iterator_traitsISL_E10value_typeET2_T3_PNSM_ISR_E10value_typeET4_jRbjT5_SX_jjP12ihipStream_tbEUlT_E0_NS1_11comp_targetILNS1_3genE3ELNS1_11target_archE908ELNS1_3gpuE7ELNS1_3repE0EEENS1_60segmented_radix_sort_warp_sort_medium_config_static_selectorELNS0_4arch9wavefront6targetE1EEEvSL_.has_indirect_call, 0
	.section	.AMDGPU.csdata,"",@progbits
; Kernel info:
; codeLenInByte = 0
; TotalNumSgprs: 4
; NumVgprs: 0
; ScratchSize: 0
; MemoryBound: 0
; FloatMode: 240
; IeeeMode: 1
; LDSByteSize: 0 bytes/workgroup (compile time only)
; SGPRBlocks: 0
; VGPRBlocks: 0
; NumSGPRsForWavesPerEU: 4
; NumVGPRsForWavesPerEU: 1
; Occupancy: 10
; WaveLimiterHint : 0
; COMPUTE_PGM_RSRC2:SCRATCH_EN: 0
; COMPUTE_PGM_RSRC2:USER_SGPR: 6
; COMPUTE_PGM_RSRC2:TRAP_HANDLER: 0
; COMPUTE_PGM_RSRC2:TGID_X_EN: 1
; COMPUTE_PGM_RSRC2:TGID_Y_EN: 0
; COMPUTE_PGM_RSRC2:TGID_Z_EN: 0
; COMPUTE_PGM_RSRC2:TIDIG_COMP_CNT: 0
	.text
	.p2align	2                               ; -- Begin function _ZN7rocprim17ROCPRIM_400000_NS6detail26segmented_warp_sort_helperINS1_20WarpSortHelperConfigILj16ELj8ELj256EEE12hip_bfloat16lLi256ELb1EvE4sortIPKS5_PS5_PKlPlEEvT_T0_T1_T2_jjjjRNS6_12storage_typeE
	.type	_ZN7rocprim17ROCPRIM_400000_NS6detail26segmented_warp_sort_helperINS1_20WarpSortHelperConfigILj16ELj8ELj256EEE12hip_bfloat16lLi256ELb1EvE4sortIPKS5_PS5_PKlPlEEvT_T0_T1_T2_jjjjRNS6_12storage_typeE,@function
_ZN7rocprim17ROCPRIM_400000_NS6detail26segmented_warp_sort_helperINS1_20WarpSortHelperConfigILj16ELj8ELj256EEE12hip_bfloat16lLi256ELb1EvE4sortIPKS5_PS5_PKlPlEEvT_T0_T1_T2_jjjjRNS6_12storage_typeE: ; @_ZN7rocprim17ROCPRIM_400000_NS6detail26segmented_warp_sort_helperINS1_20WarpSortHelperConfigILj16ELj8ELj256EEE12hip_bfloat16lLi256ELb1EvE4sortIPKS5_PS5_PKlPlEEvT_T0_T1_T2_jjjjRNS6_12storage_typeE
; %bb.0:
	s_waitcnt vmcnt(0) expcnt(0) lgkmcnt(0)
	v_sub_u32_e32 v12, v9, v8
	v_mov_b32_e32 v9, 0
	v_mbcnt_lo_u32_b32 v13, -1, 0
	v_lshlrev_b64 v[10:11], 1, v[8:9]
	v_mbcnt_hi_u32_b32 v13, -1, v13
	v_lshlrev_b32_e32 v35, 3, v13
	v_add_co_u32_e32 v0, vcc, v0, v10
	v_and_b32_e32 v34, 0x78, v35
	v_addc_co_u32_e32 v1, vcc, v1, v11, vcc
	v_lshlrev_b32_e32 v32, 1, v34
	v_add_co_u32_e32 v0, vcc, v0, v32
	v_addc_co_u32_e32 v1, vcc, 0, v1, vcc
	v_cmp_lt_u32_e32 vcc, v34, v12
	v_mov_b32_e32 v48, -1
	v_mov_b32_e32 v36, -1
	s_and_saveexec_b64 s[4:5], vcc
	s_cbranch_execz .LBB1960_2
; %bb.1:
	flat_load_ushort v36, v[0:1]
.LBB1960_2:
	s_or_b64 exec, exec, s[4:5]
	v_or_b32_e32 v13, 1, v34
	v_cmp_lt_u32_e64 s[4:5], v13, v12
	s_and_saveexec_b64 s[6:7], s[4:5]
	s_cbranch_execz .LBB1960_4
; %bb.3:
	flat_load_ushort v48, v[0:1] offset:2
.LBB1960_4:
	s_or_b64 exec, exec, s[6:7]
	v_or_b32_e32 v13, 2, v34
	v_cmp_lt_u32_e64 s[6:7], v13, v12
	v_mov_b32_e32 v51, -1
	v_mov_b32_e32 v49, -1
	s_and_saveexec_b64 s[10:11], s[6:7]
	s_cbranch_execz .LBB1960_6
; %bb.5:
	flat_load_ushort v49, v[0:1] offset:4
.LBB1960_6:
	s_or_b64 exec, exec, s[10:11]
	v_or_b32_e32 v13, 3, v34
	v_cmp_lt_u32_e64 s[18:19], v13, v12
	s_and_saveexec_b64 s[10:11], s[18:19]
	s_cbranch_execz .LBB1960_8
; %bb.7:
	flat_load_ushort v51, v[0:1] offset:6
.LBB1960_8:
	s_or_b64 exec, exec, s[10:11]
	v_or_b32_e32 v13, 4, v34
	v_cmp_lt_u32_e64 s[10:11], v13, v12
	v_mov_b32_e32 v38, -1
	v_mov_b32_e32 v39, -1
	s_and_saveexec_b64 s[14:15], s[10:11]
	s_cbranch_execz .LBB1960_10
; %bb.9:
	flat_load_ushort v39, v[0:1] offset:8
.LBB1960_10:
	;; [unrolled: 18-line block ×3, first 2 shown]
	s_or_b64 exec, exec, s[16:17]
	v_or_b32_e32 v13, 7, v34
	v_cmp_lt_u32_e64 s[16:17], v13, v12
	s_and_saveexec_b64 s[22:23], s[16:17]
	s_cbranch_execz .LBB1960_16
; %bb.15:
	flat_load_ushort v37, v[0:1] offset:14
.LBB1960_16:
	s_or_b64 exec, exec, s[22:23]
	v_lshlrev_b64 v[0:1], 3, v[8:9]
	v_lshlrev_b32_e32 v33, 3, v34
	v_add_co_u32_e64 v4, s[22:23], v4, v0
	v_addc_co_u32_e64 v5, s[22:23], v5, v1, s[22:23]
	v_add_co_u32_e64 v8, s[22:23], v4, v33
	v_addc_co_u32_e64 v9, s[22:23], 0, v5, s[22:23]
	; wave barrier
                                        ; implicit-def: $vgpr4_vgpr5
	s_and_saveexec_b64 s[22:23], vcc
	s_cbranch_execnz .LBB1960_318
; %bb.17:
	s_or_b64 exec, exec, s[22:23]
	s_and_saveexec_b64 s[22:23], s[4:5]
                                        ; implicit-def: $vgpr12_vgpr13
	s_cbranch_execnz .LBB1960_319
.LBB1960_18:
	s_or_b64 exec, exec, s[22:23]
                                        ; implicit-def: $vgpr15_vgpr16
	s_and_saveexec_b64 s[22:23], s[6:7]
	s_cbranch_execnz .LBB1960_320
.LBB1960_19:
	s_or_b64 exec, exec, s[22:23]
	s_and_saveexec_b64 s[22:23], s[18:19]
                                        ; implicit-def: $vgpr17_vgpr18
	s_cbranch_execnz .LBB1960_321
.LBB1960_20:
	s_or_b64 exec, exec, s[22:23]
                                        ; implicit-def: $vgpr19_vgpr20
	s_and_saveexec_b64 s[22:23], s[10:11]
	s_cbranch_execnz .LBB1960_322
.LBB1960_21:
	s_or_b64 exec, exec, s[22:23]
	s_and_saveexec_b64 s[22:23], s[20:21]
                                        ; implicit-def: $vgpr23_vgpr24
	s_cbranch_execnz .LBB1960_323
.LBB1960_22:
	s_or_b64 exec, exec, s[22:23]
                                        ; implicit-def: $vgpr21_vgpr22
	s_and_saveexec_b64 s[22:23], s[14:15]
	s_cbranch_execnz .LBB1960_324
.LBB1960_23:
	s_or_b64 exec, exec, s[22:23]
	s_and_saveexec_b64 s[22:23], s[16:17]
                                        ; implicit-def: $vgpr25_vgpr26
	s_cbranch_execz .LBB1960_25
.LBB1960_24:
	flat_load_dwordx2 v[25:26], v[8:9] offset:56
.LBB1960_25:
	s_or_b64 exec, exec, s[22:23]
	; wave barrier
	s_load_dwordx2 s[22:23], s[8:9], 0x0
	v_mov_b32_e32 v8, 0
	v_bfe_u32 v27, v31, 20, 10
	s_waitcnt lgkmcnt(0)
	s_cmp_lt_u32 s13, s23
	s_cselect_b32 s13, 14, 20
	s_add_u32 s24, s8, s13
	s_addc_u32 s25, s9, 0
	s_cmp_lt_u32 s12, s22
	s_cselect_b32 s12, 12, 18
	s_add_u32 s8, s8, s12
	s_addc_u32 s9, s9, 0
	global_load_ushort v9, v8, s[24:25]
	global_load_ushort v14, v8, s[8:9]
	v_bfe_u32 v8, v31, 10, 10
	s_movk_i32 s8, 0x800
	s_waitcnt vmcnt(0)
	v_mad_u32_u24 v8, v27, v9, v8
	v_mul_lo_u32 v8, v8, v14
	v_and_b32_e32 v9, 0x3ff, v31
	v_add_lshl_u32 v31, v8, v9, 3
	v_cmp_gt_u32_e64 s[8:9], s8, v31
	s_and_saveexec_b64 s[12:13], s[8:9]
	s_cbranch_execz .LBB1960_307
; %bb.26:
	v_lshlrev_b32_e32 v8, 16, v48
	v_add_f32_e32 v9, 0, v8
	s_mov_b32 s8, 0x7f800000
	v_and_b32_e32 v8, 0x7f800000, v9
	v_cmp_ne_u32_e64 s[8:9], s8, v8
                                        ; implicit-def: $vgpr8
	s_and_saveexec_b64 s[22:23], s[8:9]
	s_xor_b64 s[8:9], exec, s[22:23]
; %bb.27:
	v_bfe_u32 v8, v9, 16, 1
	s_movk_i32 s22, 0x7fff
	v_add3_u32 v8, v9, v8, s22
                                        ; implicit-def: $vgpr9
; %bb.28:
	s_andn2_saveexec_b64 s[22:23], s[8:9]
; %bb.29:
	v_mov_b32_e32 v8, 0
	v_or_b32_e32 v14, 0x10000, v9
	v_cmp_eq_u32_sdwa s[8:9], v9, v8 src0_sel:WORD_0 src1_sel:DWORD
	v_cndmask_b32_e64 v8, v14, v9, s[8:9]
; %bb.30:
	s_or_b64 exec, exec, s[22:23]
	v_lshlrev_b32_e32 v9, 16, v36
	v_add_f32_e32 v14, 0, v9
	s_mov_b32 s8, 0x7f800000
	v_and_b32_e32 v9, 0x7f800000, v14
	v_cmp_ne_u32_e64 s[8:9], s8, v9
                                        ; implicit-def: $vgpr9
	s_and_saveexec_b64 s[22:23], s[8:9]
	s_xor_b64 s[8:9], exec, s[22:23]
; %bb.31:
	v_bfe_u32 v9, v14, 16, 1
	s_movk_i32 s22, 0x7fff
	v_add3_u32 v9, v14, v9, s22
                                        ; implicit-def: $vgpr14
; %bb.32:
	s_andn2_saveexec_b64 s[22:23], s[8:9]
; %bb.33:
	v_mov_b32_e32 v9, 0
	v_or_b32_e32 v27, 0x10000, v14
	v_cmp_eq_u32_sdwa s[8:9], v14, v9 src0_sel:WORD_0 src1_sel:DWORD
	v_cndmask_b32_e64 v9, v27, v14, s[8:9]
; %bb.34:
	s_or_b64 exec, exec, s[22:23]
	s_mov_b32 s8, 0x7060302
	v_perm_b32 v14, v9, v8, s8
	v_mov_b32_e32 v27, 0xffff8000
	v_cmp_lt_i32_e64 s[8:9], -1, v8
	v_cndmask_b32_e64 v8, -1, v27, s[8:9]
	v_cmp_lt_i32_e64 s[8:9], -1, v9
	v_cndmask_b32_e64 v9, -1, v27, s[8:9]
	s_mov_b32 s8, 0x5040100
	v_perm_b32 v8, v9, v8, s8
	v_xor_b32_e32 v8, v8, v14
	v_mov_b32_e32 v28, v13
	v_cmp_gt_u16_sdwa s[22:23], v8, v8 src0_sel:DWORD src1_sel:WORD_1
	v_mov_b32_e32 v52, v48
	v_mov_b32_e32 v27, v12
	s_and_saveexec_b64 s[8:9], s[22:23]
; %bb.35:
	v_mov_b32_e32 v28, v5
	v_mov_b32_e32 v27, v4
	;; [unrolled: 1-line block ×6, first 2 shown]
; %bb.36:
	s_or_b64 exec, exec, s[8:9]
	v_lshlrev_b32_e32 v8, 16, v51
	v_add_f32_e32 v9, 0, v8
	s_mov_b32 s8, 0x7f800000
	v_and_b32_e32 v8, 0x7f800000, v9
	v_cmp_ne_u32_e64 s[8:9], s8, v8
                                        ; implicit-def: $vgpr8
	s_and_saveexec_b64 s[22:23], s[8:9]
	s_xor_b64 s[8:9], exec, s[22:23]
; %bb.37:
	v_bfe_u32 v8, v9, 16, 1
	s_movk_i32 s22, 0x7fff
	v_add3_u32 v8, v9, v8, s22
                                        ; implicit-def: $vgpr9
; %bb.38:
	s_andn2_saveexec_b64 s[22:23], s[8:9]
; %bb.39:
	v_mov_b32_e32 v8, 0
	v_or_b32_e32 v12, 0x10000, v9
	v_cmp_eq_u32_sdwa s[8:9], v9, v8 src0_sel:WORD_0 src1_sel:DWORD
	v_cndmask_b32_e64 v8, v12, v9, s[8:9]
; %bb.40:
	s_or_b64 exec, exec, s[22:23]
	v_lshlrev_b32_e32 v9, 16, v49
	v_add_f32_e32 v12, 0, v9
	s_mov_b32 s8, 0x7f800000
	v_and_b32_e32 v9, 0x7f800000, v12
	v_cmp_ne_u32_e64 s[8:9], s8, v9
                                        ; implicit-def: $vgpr9
	s_and_saveexec_b64 s[22:23], s[8:9]
	s_xor_b64 s[8:9], exec, s[22:23]
; %bb.41:
	v_bfe_u32 v9, v12, 16, 1
	s_movk_i32 s22, 0x7fff
	v_add3_u32 v9, v12, v9, s22
                                        ; implicit-def: $vgpr12
; %bb.42:
	s_andn2_saveexec_b64 s[22:23], s[8:9]
; %bb.43:
	v_mov_b32_e32 v9, 0
	v_or_b32_e32 v13, 0x10000, v12
	v_cmp_eq_u32_sdwa s[8:9], v12, v9 src0_sel:WORD_0 src1_sel:DWORD
	v_cndmask_b32_e64 v9, v13, v12, s[8:9]
; %bb.44:
	s_or_b64 exec, exec, s[22:23]
	s_mov_b32 s8, 0x7060302
	v_perm_b32 v12, v9, v8, s8
	v_mov_b32_e32 v13, 0xffff8000
	v_cmp_lt_i32_e64 s[8:9], -1, v8
	v_cndmask_b32_e64 v8, -1, v13, s[8:9]
	v_cmp_lt_i32_e64 s[8:9], -1, v9
	v_cndmask_b32_e64 v9, -1, v13, s[8:9]
	s_mov_b32 s8, 0x5040100
	v_perm_b32 v8, v9, v8, s8
	v_xor_b32_e32 v8, v8, v12
	v_mov_b32_e32 v30, v18
	v_cmp_gt_u16_sdwa s[22:23], v8, v8 src0_sel:DWORD src1_sel:WORD_1
	v_mov_b32_e32 v14, v51
	v_mov_b32_e32 v29, v17
	s_and_saveexec_b64 s[8:9], s[22:23]
; %bb.45:
	v_mov_b32_e32 v30, v16
	v_mov_b32_e32 v29, v15
	;; [unrolled: 1-line block ×6, first 2 shown]
; %bb.46:
	s_or_b64 exec, exec, s[8:9]
	v_lshlrev_b32_e32 v8, 16, v38
	v_add_f32_e32 v9, 0, v8
	s_mov_b32 s8, 0x7f800000
	v_and_b32_e32 v8, 0x7f800000, v9
	v_cmp_ne_u32_e64 s[8:9], s8, v8
                                        ; implicit-def: $vgpr8
	s_and_saveexec_b64 s[22:23], s[8:9]
	s_xor_b64 s[8:9], exec, s[22:23]
; %bb.47:
	v_bfe_u32 v8, v9, 16, 1
	s_movk_i32 s22, 0x7fff
	v_add3_u32 v8, v9, v8, s22
                                        ; implicit-def: $vgpr9
; %bb.48:
	s_andn2_saveexec_b64 s[22:23], s[8:9]
; %bb.49:
	v_mov_b32_e32 v8, 0
	v_or_b32_e32 v12, 0x10000, v9
	v_cmp_eq_u32_sdwa s[8:9], v9, v8 src0_sel:WORD_0 src1_sel:DWORD
	v_cndmask_b32_e64 v8, v12, v9, s[8:9]
; %bb.50:
	s_or_b64 exec, exec, s[22:23]
	v_lshlrev_b32_e32 v9, 16, v39
	v_add_f32_e32 v12, 0, v9
	s_mov_b32 s8, 0x7f800000
	v_and_b32_e32 v9, 0x7f800000, v12
	v_cmp_ne_u32_e64 s[8:9], s8, v9
                                        ; implicit-def: $vgpr9
	s_and_saveexec_b64 s[22:23], s[8:9]
	s_xor_b64 s[8:9], exec, s[22:23]
; %bb.51:
	v_bfe_u32 v9, v12, 16, 1
	s_movk_i32 s22, 0x7fff
	v_add3_u32 v9, v12, v9, s22
                                        ; implicit-def: $vgpr12
; %bb.52:
	s_andn2_saveexec_b64 s[22:23], s[8:9]
; %bb.53:
	v_mov_b32_e32 v9, 0
	v_or_b32_e32 v13, 0x10000, v12
	v_cmp_eq_u32_sdwa s[8:9], v12, v9 src0_sel:WORD_0 src1_sel:DWORD
	v_cndmask_b32_e64 v9, v13, v12, s[8:9]
; %bb.54:
	s_or_b64 exec, exec, s[22:23]
	s_mov_b32 s8, 0x7060302
	v_perm_b32 v12, v9, v8, s8
	v_mov_b32_e32 v13, 0xffff8000
	v_cmp_lt_i32_e64 s[8:9], -1, v8
	v_cndmask_b32_e64 v8, -1, v13, s[8:9]
	v_cmp_lt_i32_e64 s[8:9], -1, v9
	v_cndmask_b32_e64 v9, -1, v13, s[8:9]
	s_mov_b32 s8, 0x5040100
	v_perm_b32 v8, v9, v8, s8
	v_xor_b32_e32 v8, v8, v12
	v_cmp_gt_u16_sdwa s[22:23], v8, v8 src0_sel:DWORD src1_sel:WORD_1
	v_mov_b32_e32 v8, v23
	v_mov_b32_e32 v9, v24
	;; [unrolled: 1-line block ×3, first 2 shown]
	s_and_saveexec_b64 s[8:9], s[22:23]
; %bb.55:
	v_mov_b32_e32 v8, v19
	v_mov_b32_e32 v9, v20
	;; [unrolled: 1-line block ×6, first 2 shown]
; %bb.56:
	s_or_b64 exec, exec, s[8:9]
	v_lshlrev_b32_e32 v12, 16, v37
	v_add_f32_e32 v13, 0, v12
	s_mov_b32 s8, 0x7f800000
	v_and_b32_e32 v12, 0x7f800000, v13
	v_cmp_ne_u32_e64 s[8:9], s8, v12
                                        ; implicit-def: $vgpr12
	s_and_saveexec_b64 s[22:23], s[8:9]
	s_xor_b64 s[8:9], exec, s[22:23]
; %bb.57:
	v_bfe_u32 v12, v13, 16, 1
	s_movk_i32 s22, 0x7fff
	v_add3_u32 v12, v13, v12, s22
                                        ; implicit-def: $vgpr13
; %bb.58:
	s_andn2_saveexec_b64 s[22:23], s[8:9]
; %bb.59:
	v_mov_b32_e32 v12, 0
	v_or_b32_e32 v17, 0x10000, v13
	v_cmp_eq_u32_sdwa s[8:9], v13, v12 src0_sel:WORD_0 src1_sel:DWORD
	v_cndmask_b32_e64 v12, v17, v13, s[8:9]
; %bb.60:
	s_or_b64 exec, exec, s[22:23]
	v_lshlrev_b32_e32 v13, 16, v50
	v_add_f32_e32 v17, 0, v13
	s_mov_b32 s8, 0x7f800000
	v_and_b32_e32 v13, 0x7f800000, v17
	v_cmp_ne_u32_e64 s[8:9], s8, v13
                                        ; implicit-def: $vgpr13
	s_and_saveexec_b64 s[22:23], s[8:9]
	s_xor_b64 s[8:9], exec, s[22:23]
; %bb.61:
	v_bfe_u32 v13, v17, 16, 1
	s_movk_i32 s22, 0x7fff
	v_add3_u32 v13, v17, v13, s22
                                        ; implicit-def: $vgpr17
; %bb.62:
	s_andn2_saveexec_b64 s[22:23], s[8:9]
; %bb.63:
	v_mov_b32_e32 v13, 0
	v_or_b32_e32 v18, 0x10000, v17
	v_cmp_eq_u32_sdwa s[8:9], v17, v13 src0_sel:WORD_0 src1_sel:DWORD
	v_cndmask_b32_e64 v13, v18, v17, s[8:9]
; %bb.64:
	s_or_b64 exec, exec, s[22:23]
	s_mov_b32 s8, 0x7060302
	v_perm_b32 v17, v13, v12, s8
	v_mov_b32_e32 v18, 0xffff8000
	v_cmp_lt_i32_e64 s[8:9], -1, v12
	v_cndmask_b32_e64 v12, -1, v18, s[8:9]
	v_cmp_lt_i32_e64 s[8:9], -1, v13
	v_cndmask_b32_e64 v13, -1, v18, s[8:9]
	s_mov_b32 s8, 0x5040100
	v_perm_b32 v12, v13, v12, s8
	v_xor_b32_e32 v12, v12, v17
	v_cmp_gt_u16_sdwa s[22:23], v12, v12 src0_sel:DWORD src1_sel:WORD_1
	v_mov_b32_e32 v12, v25
	v_mov_b32_e32 v13, v26
	;; [unrolled: 1-line block ×3, first 2 shown]
	s_and_saveexec_b64 s[8:9], s[22:23]
; %bb.65:
	v_mov_b32_e32 v12, v21
	v_mov_b32_e32 v13, v22
	;; [unrolled: 1-line block ×6, first 2 shown]
; %bb.66:
	s_or_b64 exec, exec, s[8:9]
	v_lshlrev_b32_e32 v17, 16, v49
	v_add_f32_e32 v18, 0, v17
	s_mov_b32 s8, 0x7f800000
	v_and_b32_e32 v17, 0x7f800000, v18
	v_cmp_ne_u32_e64 s[8:9], s8, v17
                                        ; implicit-def: $vgpr17
	s_and_saveexec_b64 s[22:23], s[8:9]
	s_xor_b64 s[8:9], exec, s[22:23]
; %bb.67:
	v_bfe_u32 v17, v18, 16, 1
	s_movk_i32 s22, 0x7fff
	v_add3_u32 v17, v18, v17, s22
                                        ; implicit-def: $vgpr18
; %bb.68:
	s_andn2_saveexec_b64 s[22:23], s[8:9]
; %bb.69:
	v_mov_b32_e32 v17, 0
	v_or_b32_e32 v23, 0x10000, v18
	v_cmp_eq_u32_sdwa s[8:9], v18, v17 src0_sel:WORD_0 src1_sel:DWORD
	v_cndmask_b32_e64 v17, v23, v18, s[8:9]
; %bb.70:
	s_or_b64 exec, exec, s[22:23]
	v_lshlrev_b32_e32 v18, 16, v52
	v_add_f32_e32 v23, 0, v18
	s_mov_b32 s8, 0x7f800000
	v_and_b32_e32 v18, 0x7f800000, v23
	v_cmp_ne_u32_e64 s[8:9], s8, v18
                                        ; implicit-def: $vgpr18
	s_and_saveexec_b64 s[22:23], s[8:9]
	s_xor_b64 s[8:9], exec, s[22:23]
; %bb.71:
	v_bfe_u32 v18, v23, 16, 1
	s_movk_i32 s22, 0x7fff
	v_add3_u32 v18, v23, v18, s22
                                        ; implicit-def: $vgpr23
; %bb.72:
	s_andn2_saveexec_b64 s[22:23], s[8:9]
; %bb.73:
	v_mov_b32_e32 v18, 0
	v_or_b32_e32 v24, 0x10000, v23
	v_cmp_eq_u32_sdwa s[8:9], v23, v18 src0_sel:WORD_0 src1_sel:DWORD
	v_cndmask_b32_e64 v18, v24, v23, s[8:9]
; %bb.74:
	s_or_b64 exec, exec, s[22:23]
	s_mov_b32 s8, 0x7060302
	v_perm_b32 v23, v18, v17, s8
	v_mov_b32_e32 v24, 0xffff8000
	v_cmp_lt_i32_e64 s[8:9], -1, v17
	v_cndmask_b32_e64 v17, -1, v24, s[8:9]
	v_cmp_lt_i32_e64 s[8:9], -1, v18
	v_cndmask_b32_e64 v18, -1, v24, s[8:9]
	s_mov_b32 s8, 0x5040100
	v_perm_b32 v17, v18, v17, s8
	v_xor_b32_e32 v17, v17, v23
	v_mov_b32_e32 v26, v16
	v_cmp_gt_u16_sdwa s[22:23], v17, v17 src0_sel:DWORD src1_sel:WORD_1
	v_mov_b32_e32 v39, v49
	v_mov_b32_e32 v25, v15
	s_and_saveexec_b64 s[8:9], s[22:23]
; %bb.75:
	v_mov_b32_e32 v25, v27
	v_mov_b32_e32 v26, v28
	v_mov_b32_e32 v28, v16
	v_mov_b32_e32 v39, v52
	v_mov_b32_e32 v52, v49
	v_mov_b32_e32 v27, v15
; %bb.76:
	s_or_b64 exec, exec, s[8:9]
	v_lshlrev_b32_e32 v15, 16, v51
	v_add_f32_e32 v16, 0, v15
	s_mov_b32 s8, 0x7f800000
	v_and_b32_e32 v15, 0x7f800000, v16
	v_cmp_ne_u32_e64 s[8:9], s8, v15
                                        ; implicit-def: $vgpr15
	s_and_saveexec_b64 s[22:23], s[8:9]
	s_xor_b64 s[8:9], exec, s[22:23]
; %bb.77:
	v_bfe_u32 v15, v16, 16, 1
	s_movk_i32 s22, 0x7fff
	v_add3_u32 v15, v16, v15, s22
                                        ; implicit-def: $vgpr16
; %bb.78:
	s_andn2_saveexec_b64 s[22:23], s[8:9]
; %bb.79:
	v_mov_b32_e32 v15, 0
	v_or_b32_e32 v17, 0x10000, v16
	v_cmp_eq_u32_sdwa s[8:9], v16, v15 src0_sel:WORD_0 src1_sel:DWORD
	v_cndmask_b32_e64 v15, v17, v16, s[8:9]
; %bb.80:
	s_or_b64 exec, exec, s[22:23]
	v_lshlrev_b32_e32 v16, 16, v14
	v_add_f32_e32 v17, 0, v16
	s_mov_b32 s8, 0x7f800000
	v_and_b32_e32 v16, 0x7f800000, v17
	v_cmp_ne_u32_e64 s[8:9], s8, v16
                                        ; implicit-def: $vgpr16
	s_and_saveexec_b64 s[22:23], s[8:9]
	s_xor_b64 s[8:9], exec, s[22:23]
; %bb.81:
	v_bfe_u32 v16, v17, 16, 1
	s_movk_i32 s22, 0x7fff
	v_add3_u32 v16, v17, v16, s22
                                        ; implicit-def: $vgpr17
; %bb.82:
	s_andn2_saveexec_b64 s[22:23], s[8:9]
; %bb.83:
	v_mov_b32_e32 v16, 0
	v_or_b32_e32 v18, 0x10000, v17
	v_cmp_eq_u32_sdwa s[8:9], v17, v16 src0_sel:WORD_0 src1_sel:DWORD
	v_cndmask_b32_e64 v16, v18, v17, s[8:9]
; %bb.84:
	s_or_b64 exec, exec, s[22:23]
	s_mov_b32 s8, 0x7060302
	v_perm_b32 v17, v16, v15, s8
	v_mov_b32_e32 v18, 0xffff8000
	v_cmp_lt_i32_e64 s[8:9], -1, v15
	v_cndmask_b32_e64 v15, -1, v18, s[8:9]
	v_cmp_lt_i32_e64 s[8:9], -1, v16
	v_cndmask_b32_e64 v16, -1, v18, s[8:9]
	s_mov_b32 s8, 0x5040100
	v_perm_b32 v15, v16, v15, s8
	v_xor_b32_e32 v15, v15, v17
	v_mov_b32_e32 v24, v20
	v_cmp_gt_u16_sdwa s[22:23], v15, v15 src0_sel:DWORD src1_sel:WORD_1
	v_mov_b32_e32 v16, v14
	v_mov_b32_e32 v23, v19
	s_and_saveexec_b64 s[8:9], s[22:23]
; %bb.85:
	v_mov_b32_e32 v23, v29
	v_mov_b32_e32 v24, v30
	;; [unrolled: 1-line block ×6, first 2 shown]
; %bb.86:
	s_or_b64 exec, exec, s[8:9]
	v_lshlrev_b32_e32 v14, 16, v48
	v_add_f32_e32 v15, 0, v14
	s_mov_b32 s8, 0x7f800000
	v_and_b32_e32 v14, 0x7f800000, v15
	v_cmp_ne_u32_e64 s[8:9], s8, v14
                                        ; implicit-def: $vgpr14
	s_and_saveexec_b64 s[22:23], s[8:9]
	s_xor_b64 s[8:9], exec, s[22:23]
; %bb.87:
	v_bfe_u32 v14, v15, 16, 1
	s_movk_i32 s22, 0x7fff
	v_add3_u32 v14, v15, v14, s22
                                        ; implicit-def: $vgpr15
; %bb.88:
	s_andn2_saveexec_b64 s[22:23], s[8:9]
; %bb.89:
	v_mov_b32_e32 v14, 0
	v_or_b32_e32 v17, 0x10000, v15
	v_cmp_eq_u32_sdwa s[8:9], v15, v14 src0_sel:WORD_0 src1_sel:DWORD
	v_cndmask_b32_e64 v14, v17, v15, s[8:9]
; %bb.90:
	s_or_b64 exec, exec, s[22:23]
	v_lshlrev_b32_e32 v15, 16, v38
	v_add_f32_e32 v17, 0, v15
	s_mov_b32 s8, 0x7f800000
	v_and_b32_e32 v15, 0x7f800000, v17
	v_cmp_ne_u32_e64 s[8:9], s8, v15
                                        ; implicit-def: $vgpr15
	s_and_saveexec_b64 s[22:23], s[8:9]
	s_xor_b64 s[8:9], exec, s[22:23]
; %bb.91:
	v_bfe_u32 v15, v17, 16, 1
	s_movk_i32 s22, 0x7fff
	v_add3_u32 v15, v17, v15, s22
                                        ; implicit-def: $vgpr17
; %bb.92:
	s_andn2_saveexec_b64 s[22:23], s[8:9]
; %bb.93:
	v_mov_b32_e32 v15, 0
	v_or_b32_e32 v18, 0x10000, v17
	v_cmp_eq_u32_sdwa s[8:9], v17, v15 src0_sel:WORD_0 src1_sel:DWORD
	v_cndmask_b32_e64 v15, v18, v17, s[8:9]
; %bb.94:
	s_or_b64 exec, exec, s[22:23]
	s_mov_b32 s8, 0x7060302
	v_perm_b32 v17, v15, v14, s8
	v_mov_b32_e32 v18, 0xffff8000
	v_cmp_lt_i32_e64 s[8:9], -1, v14
	v_cndmask_b32_e64 v14, -1, v18, s[8:9]
	v_cmp_lt_i32_e64 s[8:9], -1, v15
	v_cndmask_b32_e64 v15, -1, v18, s[8:9]
	s_mov_b32 s8, 0x5040100
	v_perm_b32 v14, v15, v14, s8
	v_xor_b32_e32 v14, v14, v17
	v_cmp_gt_u16_sdwa s[22:23], v14, v14 src0_sel:DWORD src1_sel:WORD_1
	v_mov_b32_e32 v14, v21
	v_mov_b32_e32 v15, v22
	;; [unrolled: 1-line block ×3, first 2 shown]
	s_and_saveexec_b64 s[8:9], s[22:23]
; %bb.95:
	v_mov_b32_e32 v15, v9
	v_mov_b32_e32 v14, v8
	;; [unrolled: 1-line block ×6, first 2 shown]
; %bb.96:
	s_or_b64 exec, exec, s[8:9]
	v_lshlrev_b32_e32 v17, 16, v52
	v_add_f32_e32 v18, 0, v17
	s_mov_b32 s8, 0x7f800000
	v_and_b32_e32 v17, 0x7f800000, v18
	v_cmp_ne_u32_e64 s[8:9], s8, v17
                                        ; implicit-def: $vgpr17
	s_and_saveexec_b64 s[22:23], s[8:9]
	s_xor_b64 s[8:9], exec, s[22:23]
; %bb.97:
	v_bfe_u32 v17, v18, 16, 1
	s_movk_i32 s22, 0x7fff
	v_add3_u32 v17, v18, v17, s22
                                        ; implicit-def: $vgpr18
; %bb.98:
	s_andn2_saveexec_b64 s[22:23], s[8:9]
; %bb.99:
	v_mov_b32_e32 v17, 0
	v_or_b32_e32 v19, 0x10000, v18
	v_cmp_eq_u32_sdwa s[8:9], v18, v17 src0_sel:WORD_0 src1_sel:DWORD
	v_cndmask_b32_e64 v17, v19, v18, s[8:9]
; %bb.100:
	s_or_b64 exec, exec, s[22:23]
	v_lshlrev_b32_e32 v18, 16, v36
	v_add_f32_e32 v19, 0, v18
	s_mov_b32 s8, 0x7f800000
	v_and_b32_e32 v18, 0x7f800000, v19
	v_cmp_ne_u32_e64 s[8:9], s8, v18
                                        ; implicit-def: $vgpr18
	s_and_saveexec_b64 s[22:23], s[8:9]
	s_xor_b64 s[8:9], exec, s[22:23]
; %bb.101:
	v_bfe_u32 v18, v19, 16, 1
	s_movk_i32 s22, 0x7fff
	v_add3_u32 v18, v19, v18, s22
                                        ; implicit-def: $vgpr19
; %bb.102:
	s_andn2_saveexec_b64 s[22:23], s[8:9]
; %bb.103:
	v_mov_b32_e32 v18, 0
	v_or_b32_e32 v20, 0x10000, v19
	v_cmp_eq_u32_sdwa s[8:9], v19, v18 src0_sel:WORD_0 src1_sel:DWORD
	v_cndmask_b32_e64 v18, v20, v19, s[8:9]
; %bb.104:
	s_or_b64 exec, exec, s[22:23]
	s_mov_b32 s8, 0x7060302
	v_perm_b32 v19, v18, v17, s8
	v_mov_b32_e32 v20, 0xffff8000
	v_cmp_lt_i32_e64 s[8:9], -1, v17
	v_cndmask_b32_e64 v17, -1, v20, s[8:9]
	v_cmp_lt_i32_e64 s[8:9], -1, v18
	v_cndmask_b32_e64 v18, -1, v20, s[8:9]
	s_mov_b32 s8, 0x5040100
	v_perm_b32 v17, v18, v17, s8
	v_xor_b32_e32 v17, v17, v19
	v_mov_b32_e32 v18, v27
	v_cmp_gt_u16_sdwa s[22:23], v17, v17 src0_sel:DWORD src1_sel:WORD_1
	v_mov_b32_e32 v20, v52
	v_mov_b32_e32 v19, v28
	s_and_saveexec_b64 s[8:9], s[22:23]
; %bb.105:
	v_mov_b32_e32 v19, v5
	v_mov_b32_e32 v18, v4
	;; [unrolled: 1-line block ×6, first 2 shown]
; %bb.106:
	s_or_b64 exec, exec, s[8:9]
	v_lshlrev_b32_e32 v17, 16, v16
	v_add_f32_e32 v21, 0, v17
	s_mov_b32 s8, 0x7f800000
	v_and_b32_e32 v17, 0x7f800000, v21
	v_cmp_ne_u32_e64 s[8:9], s8, v17
                                        ; implicit-def: $vgpr17
	s_and_saveexec_b64 s[22:23], s[8:9]
	s_xor_b64 s[8:9], exec, s[22:23]
; %bb.107:
	v_bfe_u32 v17, v21, 16, 1
	s_movk_i32 s22, 0x7fff
	v_add3_u32 v17, v21, v17, s22
                                        ; implicit-def: $vgpr21
; %bb.108:
	s_andn2_saveexec_b64 s[22:23], s[8:9]
; %bb.109:
	v_mov_b32_e32 v17, 0
	v_or_b32_e32 v22, 0x10000, v21
	v_cmp_eq_u32_sdwa s[8:9], v21, v17 src0_sel:WORD_0 src1_sel:DWORD
	v_cndmask_b32_e64 v17, v22, v21, s[8:9]
; %bb.110:
	s_or_b64 exec, exec, s[22:23]
	v_lshlrev_b32_e32 v21, 16, v39
	v_add_f32_e32 v22, 0, v21
	s_mov_b32 s8, 0x7f800000
	v_and_b32_e32 v21, 0x7f800000, v22
	v_cmp_ne_u32_e64 s[8:9], s8, v21
                                        ; implicit-def: $vgpr21
	s_and_saveexec_b64 s[22:23], s[8:9]
	s_xor_b64 s[8:9], exec, s[22:23]
; %bb.111:
	v_bfe_u32 v21, v22, 16, 1
	s_movk_i32 s22, 0x7fff
	v_add3_u32 v21, v22, v21, s22
                                        ; implicit-def: $vgpr22
; %bb.112:
	s_andn2_saveexec_b64 s[22:23], s[8:9]
; %bb.113:
	v_mov_b32_e32 v21, 0
	v_or_b32_e32 v27, 0x10000, v22
	v_cmp_eq_u32_sdwa s[8:9], v22, v21 src0_sel:WORD_0 src1_sel:DWORD
	v_cndmask_b32_e64 v21, v27, v22, s[8:9]
; %bb.114:
	s_or_b64 exec, exec, s[22:23]
	s_mov_b32 s8, 0x7060302
	v_perm_b32 v22, v21, v17, s8
	v_mov_b32_e32 v27, 0xffff8000
	v_cmp_lt_i32_e64 s[8:9], -1, v17
	v_cndmask_b32_e64 v17, -1, v27, s[8:9]
	v_cmp_lt_i32_e64 s[8:9], -1, v21
	v_cndmask_b32_e64 v21, -1, v27, s[8:9]
	s_mov_b32 s8, 0x5040100
	v_perm_b32 v17, v21, v17, s8
	v_xor_b32_e32 v17, v17, v22
	v_mov_b32_e32 v27, v29
	v_cmp_gt_u16_sdwa s[22:23], v17, v17 src0_sel:DWORD src1_sel:WORD_1
	v_mov_b32_e32 v53, v16
	v_mov_b32_e32 v28, v30
	s_and_saveexec_b64 s[8:9], s[22:23]
; %bb.115:
	v_mov_b32_e32 v28, v26
	v_mov_b32_e32 v27, v25
	v_mov_b32_e32 v25, v29
	v_mov_b32_e32 v53, v39
	v_mov_b32_e32 v39, v16
	v_mov_b32_e32 v26, v30
; %bb.116:
	s_or_b64 exec, exec, s[8:9]
	v_lshlrev_b32_e32 v16, 16, v49
	v_add_f32_e32 v17, 0, v16
	s_mov_b32 s8, 0x7f800000
	v_and_b32_e32 v16, 0x7f800000, v17
	v_cmp_ne_u32_e64 s[8:9], s8, v16
                                        ; implicit-def: $vgpr16
	s_and_saveexec_b64 s[22:23], s[8:9]
	s_xor_b64 s[8:9], exec, s[22:23]
; %bb.117:
	v_bfe_u32 v16, v17, 16, 1
	s_movk_i32 s22, 0x7fff
	v_add3_u32 v16, v17, v16, s22
                                        ; implicit-def: $vgpr17
; %bb.118:
	s_andn2_saveexec_b64 s[22:23], s[8:9]
; %bb.119:
	v_mov_b32_e32 v16, 0
	v_or_b32_e32 v21, 0x10000, v17
	v_cmp_eq_u32_sdwa s[8:9], v17, v16 src0_sel:WORD_0 src1_sel:DWORD
	v_cndmask_b32_e64 v16, v21, v17, s[8:9]
; %bb.120:
	s_or_b64 exec, exec, s[22:23]
	v_lshlrev_b32_e32 v17, 16, v51
	v_add_f32_e32 v21, 0, v17
	s_mov_b32 s8, 0x7f800000
	v_and_b32_e32 v17, 0x7f800000, v21
	v_cmp_ne_u32_e64 s[8:9], s8, v17
                                        ; implicit-def: $vgpr17
	s_and_saveexec_b64 s[22:23], s[8:9]
	s_xor_b64 s[8:9], exec, s[22:23]
; %bb.121:
	v_bfe_u32 v17, v21, 16, 1
	s_movk_i32 s22, 0x7fff
	v_add3_u32 v17, v21, v17, s22
                                        ; implicit-def: $vgpr21
; %bb.122:
	s_andn2_saveexec_b64 s[22:23], s[8:9]
; %bb.123:
	v_mov_b32_e32 v17, 0
	v_or_b32_e32 v22, 0x10000, v21
	v_cmp_eq_u32_sdwa s[8:9], v21, v17 src0_sel:WORD_0 src1_sel:DWORD
	v_cndmask_b32_e64 v17, v22, v21, s[8:9]
; %bb.124:
	s_or_b64 exec, exec, s[22:23]
	s_mov_b32 s8, 0x7060302
	v_perm_b32 v21, v17, v16, s8
	v_mov_b32_e32 v22, 0xffff8000
	v_cmp_lt_i32_e64 s[8:9], -1, v16
	v_cndmask_b32_e64 v16, -1, v22, s[8:9]
	v_cmp_lt_i32_e64 s[8:9], -1, v17
	v_cndmask_b32_e64 v17, -1, v22, s[8:9]
	s_mov_b32 s8, 0x5040100
	v_perm_b32 v16, v17, v16, s8
	v_xor_b32_e32 v16, v16, v21
	v_cmp_gt_u16_sdwa s[22:23], v16, v16 src0_sel:DWORD src1_sel:WORD_1
	v_mov_b32_e32 v17, v9
	v_mov_b32_e32 v16, v8
	;; [unrolled: 1-line block ×3, first 2 shown]
	s_and_saveexec_b64 s[8:9], s[22:23]
; %bb.125:
	v_mov_b32_e32 v16, v23
	v_mov_b32_e32 v17, v24
	;; [unrolled: 1-line block ×6, first 2 shown]
; %bb.126:
	s_or_b64 exec, exec, s[8:9]
	v_lshlrev_b32_e32 v8, 16, v37
	v_add_f32_e32 v9, 0, v8
	s_mov_b32 s8, 0x7f800000
	v_and_b32_e32 v8, 0x7f800000, v9
	v_cmp_ne_u32_e64 s[8:9], s8, v8
                                        ; implicit-def: $vgpr8
	s_and_saveexec_b64 s[22:23], s[8:9]
	s_xor_b64 s[8:9], exec, s[22:23]
; %bb.127:
	v_bfe_u32 v8, v9, 16, 1
	s_movk_i32 s22, 0x7fff
	v_add3_u32 v8, v9, v8, s22
                                        ; implicit-def: $vgpr9
; %bb.128:
	s_andn2_saveexec_b64 s[22:23], s[8:9]
; %bb.129:
	v_mov_b32_e32 v8, 0
	v_or_b32_e32 v21, 0x10000, v9
	v_cmp_eq_u32_sdwa s[8:9], v9, v8 src0_sel:WORD_0 src1_sel:DWORD
	v_cndmask_b32_e64 v8, v21, v9, s[8:9]
; %bb.130:
	s_or_b64 exec, exec, s[22:23]
	v_lshlrev_b32_e32 v9, 16, v48
	v_add_f32_e32 v21, 0, v9
	s_mov_b32 s8, 0x7f800000
	v_and_b32_e32 v9, 0x7f800000, v21
	v_cmp_ne_u32_e64 s[8:9], s8, v9
                                        ; implicit-def: $vgpr9
	s_and_saveexec_b64 s[22:23], s[8:9]
	s_xor_b64 s[8:9], exec, s[22:23]
; %bb.131:
	v_bfe_u32 v9, v21, 16, 1
	s_movk_i32 s22, 0x7fff
	v_add3_u32 v9, v21, v9, s22
                                        ; implicit-def: $vgpr21
; %bb.132:
	s_andn2_saveexec_b64 s[22:23], s[8:9]
; %bb.133:
	v_mov_b32_e32 v9, 0
	v_or_b32_e32 v22, 0x10000, v21
	v_cmp_eq_u32_sdwa s[8:9], v21, v9 src0_sel:WORD_0 src1_sel:DWORD
	v_cndmask_b32_e64 v9, v22, v21, s[8:9]
; %bb.134:
	s_or_b64 exec, exec, s[22:23]
	s_mov_b32 s8, 0x7060302
	v_perm_b32 v21, v9, v8, s8
	v_mov_b32_e32 v22, 0xffff8000
	v_cmp_lt_i32_e64 s[8:9], -1, v8
	v_cndmask_b32_e64 v8, -1, v22, s[8:9]
	v_cmp_lt_i32_e64 s[8:9], -1, v9
	v_cndmask_b32_e64 v9, -1, v22, s[8:9]
	s_mov_b32 s8, 0x5040100
	v_perm_b32 v8, v9, v8, s8
	v_xor_b32_e32 v8, v8, v21
	v_cmp_gt_u16_sdwa s[22:23], v8, v8 src0_sel:DWORD src1_sel:WORD_1
	v_mov_b32_e32 v8, v12
	v_mov_b32_e32 v9, v13
	;; [unrolled: 1-line block ×3, first 2 shown]
	s_and_saveexec_b64 s[8:9], s[22:23]
; %bb.135:
	v_mov_b32_e32 v8, v14
	v_mov_b32_e32 v9, v15
	;; [unrolled: 1-line block ×6, first 2 shown]
; %bb.136:
	s_or_b64 exec, exec, s[8:9]
	v_lshlrev_b32_e32 v12, 16, v39
	v_add_f32_e32 v13, 0, v12
	s_mov_b32 s8, 0x7f800000
	v_and_b32_e32 v12, 0x7f800000, v13
	v_cmp_ne_u32_e64 s[8:9], s8, v12
                                        ; implicit-def: $vgpr12
	s_and_saveexec_b64 s[22:23], s[8:9]
	s_xor_b64 s[8:9], exec, s[22:23]
; %bb.137:
	v_bfe_u32 v12, v13, 16, 1
	s_movk_i32 s22, 0x7fff
	v_add3_u32 v12, v13, v12, s22
                                        ; implicit-def: $vgpr13
; %bb.138:
	s_andn2_saveexec_b64 s[22:23], s[8:9]
; %bb.139:
	v_mov_b32_e32 v12, 0
	v_or_b32_e32 v21, 0x10000, v13
	v_cmp_eq_u32_sdwa s[8:9], v13, v12 src0_sel:WORD_0 src1_sel:DWORD
	v_cndmask_b32_e64 v12, v21, v13, s[8:9]
; %bb.140:
	s_or_b64 exec, exec, s[22:23]
	v_lshlrev_b32_e32 v13, 16, v20
	v_add_f32_e32 v21, 0, v13
	s_mov_b32 s8, 0x7f800000
	v_and_b32_e32 v13, 0x7f800000, v21
	v_cmp_ne_u32_e64 s[8:9], s8, v13
                                        ; implicit-def: $vgpr13
	s_and_saveexec_b64 s[22:23], s[8:9]
	s_xor_b64 s[8:9], exec, s[22:23]
; %bb.141:
	v_bfe_u32 v13, v21, 16, 1
	s_movk_i32 s22, 0x7fff
	v_add3_u32 v13, v21, v13, s22
                                        ; implicit-def: $vgpr21
; %bb.142:
	s_andn2_saveexec_b64 s[22:23], s[8:9]
; %bb.143:
	v_mov_b32_e32 v13, 0
	v_or_b32_e32 v22, 0x10000, v21
	v_cmp_eq_u32_sdwa s[8:9], v21, v13 src0_sel:WORD_0 src1_sel:DWORD
	v_cndmask_b32_e64 v13, v22, v21, s[8:9]
; %bb.144:
	s_or_b64 exec, exec, s[22:23]
	s_mov_b32 s8, 0x7060302
	v_perm_b32 v21, v13, v12, s8
	v_mov_b32_e32 v22, 0xffff8000
	v_cmp_lt_i32_e64 s[8:9], -1, v12
	v_cndmask_b32_e64 v12, -1, v22, s[8:9]
	v_cmp_lt_i32_e64 s[8:9], -1, v13
	v_cndmask_b32_e64 v13, -1, v22, s[8:9]
	s_mov_b32 s8, 0x5040100
	v_perm_b32 v12, v13, v12, s8
	v_xor_b32_e32 v12, v12, v21
	v_mov_b32_e32 v30, v26
	v_cmp_gt_u16_sdwa s[22:23], v12, v12 src0_sel:DWORD src1_sel:WORD_1
	v_mov_b32_e32 v38, v39
	v_mov_b32_e32 v29, v25
	s_and_saveexec_b64 s[8:9], s[22:23]
; %bb.145:
	v_mov_b32_e32 v30, v19
	v_mov_b32_e32 v29, v18
	;; [unrolled: 1-line block ×6, first 2 shown]
; %bb.146:
	s_or_b64 exec, exec, s[8:9]
	v_lshlrev_b32_e32 v12, 16, v52
	v_add_f32_e32 v13, 0, v12
	s_mov_b32 s8, 0x7f800000
	v_and_b32_e32 v12, 0x7f800000, v13
	v_cmp_ne_u32_e64 s[8:9], s8, v12
                                        ; implicit-def: $vgpr12
	s_and_saveexec_b64 s[22:23], s[8:9]
	s_xor_b64 s[8:9], exec, s[22:23]
; %bb.147:
	v_bfe_u32 v12, v13, 16, 1
	s_movk_i32 s22, 0x7fff
	v_add3_u32 v12, v13, v12, s22
                                        ; implicit-def: $vgpr13
; %bb.148:
	s_andn2_saveexec_b64 s[22:23], s[8:9]
; %bb.149:
	v_mov_b32_e32 v12, 0
	v_or_b32_e32 v21, 0x10000, v13
	v_cmp_eq_u32_sdwa s[8:9], v13, v12 src0_sel:WORD_0 src1_sel:DWORD
	v_cndmask_b32_e64 v12, v21, v13, s[8:9]
; %bb.150:
	s_or_b64 exec, exec, s[22:23]
	v_lshlrev_b32_e32 v13, 16, v53
	v_add_f32_e32 v21, 0, v13
	s_mov_b32 s8, 0x7f800000
	v_and_b32_e32 v13, 0x7f800000, v21
	v_cmp_ne_u32_e64 s[8:9], s8, v13
                                        ; implicit-def: $vgpr13
	s_and_saveexec_b64 s[22:23], s[8:9]
	s_xor_b64 s[8:9], exec, s[22:23]
; %bb.151:
	v_bfe_u32 v13, v21, 16, 1
	s_movk_i32 s22, 0x7fff
	v_add3_u32 v13, v21, v13, s22
                                        ; implicit-def: $vgpr21
; %bb.152:
	s_andn2_saveexec_b64 s[22:23], s[8:9]
; %bb.153:
	v_mov_b32_e32 v13, 0
	v_or_b32_e32 v22, 0x10000, v21
	v_cmp_eq_u32_sdwa s[8:9], v21, v13 src0_sel:WORD_0 src1_sel:DWORD
	v_cndmask_b32_e64 v13, v22, v21, s[8:9]
; %bb.154:
	s_or_b64 exec, exec, s[22:23]
	s_mov_b32 s8, 0x7060302
	v_perm_b32 v21, v13, v12, s8
	v_mov_b32_e32 v22, 0xffff8000
	v_cmp_lt_i32_e64 s[8:9], -1, v12
	v_cndmask_b32_e64 v12, -1, v22, s[8:9]
	v_cmp_lt_i32_e64 s[8:9], -1, v13
	v_cndmask_b32_e64 v13, -1, v22, s[8:9]
	s_mov_b32 s8, 0x5040100
	v_perm_b32 v12, v13, v12, s8
	v_xor_b32_e32 v12, v12, v21
	v_mov_b32_e32 v21, v23
	v_cmp_gt_u16_sdwa s[22:23], v12, v12 src0_sel:DWORD src1_sel:WORD_1
	v_mov_b32_e32 v51, v53
	v_mov_b32_e32 v22, v24
	s_and_saveexec_b64 s[8:9], s[22:23]
; %bb.155:
	v_mov_b32_e32 v21, v27
	v_mov_b32_e32 v22, v28
	;; [unrolled: 1-line block ×6, first 2 shown]
; %bb.156:
	s_or_b64 exec, exec, s[8:9]
	v_lshlrev_b32_e32 v12, 16, v50
	v_add_f32_e32 v13, 0, v12
	s_mov_b32 s8, 0x7f800000
	v_and_b32_e32 v12, 0x7f800000, v13
	v_cmp_ne_u32_e64 s[8:9], s8, v12
                                        ; implicit-def: $vgpr12
	s_and_saveexec_b64 s[22:23], s[8:9]
	s_xor_b64 s[8:9], exec, s[22:23]
; %bb.157:
	v_bfe_u32 v12, v13, 16, 1
	s_movk_i32 s22, 0x7fff
	v_add3_u32 v12, v13, v12, s22
                                        ; implicit-def: $vgpr13
; %bb.158:
	s_andn2_saveexec_b64 s[22:23], s[8:9]
; %bb.159:
	v_mov_b32_e32 v12, 0
	v_or_b32_e32 v23, 0x10000, v13
	v_cmp_eq_u32_sdwa s[8:9], v13, v12 src0_sel:WORD_0 src1_sel:DWORD
	v_cndmask_b32_e64 v12, v23, v13, s[8:9]
; %bb.160:
	s_or_b64 exec, exec, s[22:23]
	v_lshlrev_b32_e32 v13, 16, v49
	v_add_f32_e32 v23, 0, v13
	s_mov_b32 s8, 0x7f800000
	v_and_b32_e32 v13, 0x7f800000, v23
	v_cmp_ne_u32_e64 s[8:9], s8, v13
                                        ; implicit-def: $vgpr13
	s_and_saveexec_b64 s[22:23], s[8:9]
	s_xor_b64 s[8:9], exec, s[22:23]
; %bb.161:
	v_bfe_u32 v13, v23, 16, 1
	s_movk_i32 s22, 0x7fff
	v_add3_u32 v13, v23, v13, s22
                                        ; implicit-def: $vgpr23
; %bb.162:
	s_andn2_saveexec_b64 s[22:23], s[8:9]
; %bb.163:
	v_mov_b32_e32 v13, 0
	v_or_b32_e32 v24, 0x10000, v23
	v_cmp_eq_u32_sdwa s[8:9], v23, v13 src0_sel:WORD_0 src1_sel:DWORD
	v_cndmask_b32_e64 v13, v24, v23, s[8:9]
; %bb.164:
	s_or_b64 exec, exec, s[22:23]
	s_mov_b32 s8, 0x7060302
	v_perm_b32 v23, v13, v12, s8
	v_mov_b32_e32 v24, 0xffff8000
	v_cmp_lt_i32_e64 s[8:9], -1, v12
	v_cndmask_b32_e64 v12, -1, v24, s[8:9]
	v_cmp_lt_i32_e64 s[8:9], -1, v13
	v_cndmask_b32_e64 v13, -1, v24, s[8:9]
	s_mov_b32 s8, 0x5040100
	v_perm_b32 v12, v13, v12, s8
	v_xor_b32_e32 v12, v12, v23
	v_cmp_gt_u16_sdwa s[22:23], v12, v12 src0_sel:DWORD src1_sel:WORD_1
	v_mov_b32_e32 v12, v14
	v_mov_b32_e32 v13, v15
	;; [unrolled: 1-line block ×3, first 2 shown]
	s_and_saveexec_b64 s[8:9], s[22:23]
; %bb.165:
	v_mov_b32_e32 v12, v16
	v_mov_b32_e32 v13, v17
	;; [unrolled: 1-line block ×6, first 2 shown]
; %bb.166:
	s_or_b64 exec, exec, s[8:9]
	v_lshlrev_b32_e32 v14, 16, v20
	v_add_f32_e32 v15, 0, v14
	s_mov_b32 s8, 0x7f800000
	v_and_b32_e32 v14, 0x7f800000, v15
	v_cmp_ne_u32_e64 s[8:9], s8, v14
                                        ; implicit-def: $vgpr14
	s_and_saveexec_b64 s[22:23], s[8:9]
	s_xor_b64 s[8:9], exec, s[22:23]
; %bb.167:
	v_bfe_u32 v14, v15, 16, 1
	s_movk_i32 s22, 0x7fff
	v_add3_u32 v14, v15, v14, s22
                                        ; implicit-def: $vgpr15
; %bb.168:
	s_andn2_saveexec_b64 s[22:23], s[8:9]
; %bb.169:
	v_mov_b32_e32 v14, 0
	v_or_b32_e32 v23, 0x10000, v15
	v_cmp_eq_u32_sdwa s[8:9], v15, v14 src0_sel:WORD_0 src1_sel:DWORD
	v_cndmask_b32_e64 v14, v23, v15, s[8:9]
; %bb.170:
	s_or_b64 exec, exec, s[22:23]
	v_lshlrev_b32_e32 v15, 16, v36
	v_add_f32_e32 v23, 0, v15
	s_mov_b32 s8, 0x7f800000
	v_and_b32_e32 v15, 0x7f800000, v23
	v_cmp_ne_u32_e64 s[8:9], s8, v15
                                        ; implicit-def: $vgpr15
	s_and_saveexec_b64 s[22:23], s[8:9]
	s_xor_b64 s[8:9], exec, s[22:23]
; %bb.171:
	v_bfe_u32 v15, v23, 16, 1
	s_movk_i32 s22, 0x7fff
	v_add3_u32 v15, v23, v15, s22
                                        ; implicit-def: $vgpr23
; %bb.172:
	s_andn2_saveexec_b64 s[22:23], s[8:9]
; %bb.173:
	v_mov_b32_e32 v15, 0
	v_or_b32_e32 v24, 0x10000, v23
	v_cmp_eq_u32_sdwa s[8:9], v23, v15 src0_sel:WORD_0 src1_sel:DWORD
	v_cndmask_b32_e64 v15, v24, v23, s[8:9]
; %bb.174:
	s_or_b64 exec, exec, s[22:23]
	s_mov_b32 s8, 0x7060302
	v_perm_b32 v23, v15, v14, s8
	v_mov_b32_e32 v24, 0xffff8000
	v_cmp_lt_i32_e64 s[8:9], -1, v14
	v_cndmask_b32_e64 v14, -1, v24, s[8:9]
	v_cmp_lt_i32_e64 s[8:9], -1, v15
	v_cndmask_b32_e64 v15, -1, v24, s[8:9]
	s_mov_b32 s8, 0x5040100
	v_perm_b32 v14, v15, v14, s8
	v_xor_b32_e32 v14, v14, v23
	v_mov_b32_e32 v24, v19
	v_cmp_gt_u16_sdwa s[22:23], v14, v14 src0_sel:DWORD src1_sel:WORD_1
	v_mov_b32_e32 v39, v20
	v_mov_b32_e32 v23, v18
	s_and_saveexec_b64 s[8:9], s[22:23]
; %bb.175:
	v_mov_b32_e32 v24, v5
	v_mov_b32_e32 v23, v4
	;; [unrolled: 1-line block ×6, first 2 shown]
; %bb.176:
	s_or_b64 exec, exec, s[8:9]
	v_lshlrev_b32_e32 v14, 16, v51
	v_add_f32_e32 v15, 0, v14
	s_mov_b32 s8, 0x7f800000
	v_and_b32_e32 v14, 0x7f800000, v15
	v_cmp_ne_u32_e64 s[8:9], s8, v14
                                        ; implicit-def: $vgpr14
	s_and_saveexec_b64 s[22:23], s[8:9]
	s_xor_b64 s[8:9], exec, s[22:23]
; %bb.177:
	v_bfe_u32 v14, v15, 16, 1
	s_movk_i32 s22, 0x7fff
	v_add3_u32 v14, v15, v14, s22
                                        ; implicit-def: $vgpr15
; %bb.178:
	s_andn2_saveexec_b64 s[22:23], s[8:9]
; %bb.179:
	v_mov_b32_e32 v14, 0
	v_or_b32_e32 v18, 0x10000, v15
	v_cmp_eq_u32_sdwa s[8:9], v15, v14 src0_sel:WORD_0 src1_sel:DWORD
	v_cndmask_b32_e64 v14, v18, v15, s[8:9]
; %bb.180:
	s_or_b64 exec, exec, s[22:23]
	v_lshlrev_b32_e32 v15, 16, v38
	v_add_f32_e32 v18, 0, v15
	s_mov_b32 s8, 0x7f800000
	v_and_b32_e32 v15, 0x7f800000, v18
	v_cmp_ne_u32_e64 s[8:9], s8, v15
                                        ; implicit-def: $vgpr15
	s_and_saveexec_b64 s[22:23], s[8:9]
	s_xor_b64 s[8:9], exec, s[22:23]
; %bb.181:
	v_bfe_u32 v15, v18, 16, 1
	s_movk_i32 s22, 0x7fff
	v_add3_u32 v15, v18, v15, s22
                                        ; implicit-def: $vgpr18
; %bb.182:
	s_andn2_saveexec_b64 s[22:23], s[8:9]
; %bb.183:
	v_mov_b32_e32 v15, 0
	v_or_b32_e32 v19, 0x10000, v18
	v_cmp_eq_u32_sdwa s[8:9], v18, v15 src0_sel:WORD_0 src1_sel:DWORD
	v_cndmask_b32_e64 v15, v19, v18, s[8:9]
; %bb.184:
	s_or_b64 exec, exec, s[22:23]
	s_mov_b32 s8, 0x7060302
	v_perm_b32 v18, v15, v14, s8
	v_mov_b32_e32 v19, 0xffff8000
	v_cmp_lt_i32_e64 s[8:9], -1, v14
	v_cndmask_b32_e64 v14, -1, v19, s[8:9]
	v_cmp_lt_i32_e64 s[8:9], -1, v15
	v_cndmask_b32_e64 v15, -1, v19, s[8:9]
	s_mov_b32 s8, 0x5040100
	v_perm_b32 v14, v15, v14, s8
	v_xor_b32_e32 v14, v14, v18
	v_mov_b32_e32 v25, v27
	v_cmp_gt_u16_sdwa s[22:23], v14, v14 src0_sel:DWORD src1_sel:WORD_1
	v_mov_b32_e32 v18, v51
	v_mov_b32_e32 v26, v28
	s_and_saveexec_b64 s[8:9], s[22:23]
; %bb.185:
	v_mov_b32_e32 v25, v29
	v_mov_b32_e32 v26, v30
	;; [unrolled: 1-line block ×6, first 2 shown]
; %bb.186:
	s_or_b64 exec, exec, s[8:9]
	v_lshlrev_b32_e32 v14, 16, v48
	v_add_f32_e32 v15, 0, v14
	s_mov_b32 s8, 0x7f800000
	v_and_b32_e32 v14, 0x7f800000, v15
	v_cmp_ne_u32_e64 s[8:9], s8, v14
                                        ; implicit-def: $vgpr14
	s_and_saveexec_b64 s[22:23], s[8:9]
	s_xor_b64 s[8:9], exec, s[22:23]
; %bb.187:
	v_bfe_u32 v14, v15, 16, 1
	s_movk_i32 s22, 0x7fff
	v_add3_u32 v14, v15, v14, s22
                                        ; implicit-def: $vgpr15
; %bb.188:
	s_andn2_saveexec_b64 s[22:23], s[8:9]
; %bb.189:
	v_mov_b32_e32 v14, 0
	v_or_b32_e32 v19, 0x10000, v15
	v_cmp_eq_u32_sdwa s[8:9], v15, v14 src0_sel:WORD_0 src1_sel:DWORD
	v_cndmask_b32_e64 v14, v19, v15, s[8:9]
; %bb.190:
	s_or_b64 exec, exec, s[22:23]
	v_lshlrev_b32_e32 v15, 16, v52
	v_add_f32_e32 v19, 0, v15
	s_mov_b32 s8, 0x7f800000
	v_and_b32_e32 v15, 0x7f800000, v19
	v_cmp_ne_u32_e64 s[8:9], s8, v15
                                        ; implicit-def: $vgpr15
	s_and_saveexec_b64 s[22:23], s[8:9]
	s_xor_b64 s[8:9], exec, s[22:23]
; %bb.191:
	v_bfe_u32 v15, v19, 16, 1
	s_movk_i32 s22, 0x7fff
	v_add3_u32 v15, v19, v15, s22
                                        ; implicit-def: $vgpr19
; %bb.192:
	s_andn2_saveexec_b64 s[22:23], s[8:9]
; %bb.193:
	v_mov_b32_e32 v15, 0
	v_or_b32_e32 v20, 0x10000, v19
	v_cmp_eq_u32_sdwa s[8:9], v19, v15 src0_sel:WORD_0 src1_sel:DWORD
	v_cndmask_b32_e64 v15, v20, v19, s[8:9]
; %bb.194:
	s_or_b64 exec, exec, s[22:23]
	s_mov_b32 s8, 0x7060302
	v_perm_b32 v19, v15, v14, s8
	v_mov_b32_e32 v20, 0xffff8000
	v_cmp_lt_i32_e64 s[8:9], -1, v14
	v_cndmask_b32_e64 v14, -1, v20, s[8:9]
	v_cmp_lt_i32_e64 s[8:9], -1, v15
	v_cndmask_b32_e64 v15, -1, v20, s[8:9]
	s_mov_b32 s8, 0x5040100
	v_perm_b32 v14, v15, v14, s8
	v_xor_b32_e32 v14, v14, v19
	v_mov_b32_e32 v20, v17
	v_cmp_gt_u16_sdwa s[22:23], v14, v14 src0_sel:DWORD src1_sel:WORD_1
	v_mov_b32_e32 v19, v16
	v_mov_b32_e32 v49, v52
	s_and_saveexec_b64 s[8:9], s[22:23]
; %bb.195:
	v_mov_b32_e32 v19, v21
	v_mov_b32_e32 v20, v22
	;; [unrolled: 1-line block ×6, first 2 shown]
; %bb.196:
	s_or_b64 exec, exec, s[8:9]
	v_lshlrev_b32_e32 v14, 16, v37
	v_add_f32_e32 v15, 0, v14
	s_mov_b32 s8, 0x7f800000
	v_and_b32_e32 v14, 0x7f800000, v15
	v_cmp_ne_u32_e64 s[8:9], s8, v14
                                        ; implicit-def: $vgpr14
	s_and_saveexec_b64 s[22:23], s[8:9]
	s_xor_b64 s[8:9], exec, s[22:23]
; %bb.197:
	v_bfe_u32 v14, v15, 16, 1
	s_movk_i32 s22, 0x7fff
	v_add3_u32 v14, v15, v14, s22
                                        ; implicit-def: $vgpr15
; %bb.198:
	s_andn2_saveexec_b64 s[22:23], s[8:9]
; %bb.199:
	v_mov_b32_e32 v14, 0
	v_or_b32_e32 v16, 0x10000, v15
	v_cmp_eq_u32_sdwa s[8:9], v15, v14 src0_sel:WORD_0 src1_sel:DWORD
	v_cndmask_b32_e64 v14, v16, v15, s[8:9]
; %bb.200:
	s_or_b64 exec, exec, s[22:23]
	v_lshlrev_b32_e32 v15, 16, v50
	v_add_f32_e32 v16, 0, v15
	s_mov_b32 s8, 0x7f800000
	v_and_b32_e32 v15, 0x7f800000, v16
	v_cmp_ne_u32_e64 s[8:9], s8, v15
                                        ; implicit-def: $vgpr15
	s_and_saveexec_b64 s[22:23], s[8:9]
	s_xor_b64 s[8:9], exec, s[22:23]
; %bb.201:
	v_bfe_u32 v15, v16, 16, 1
	s_movk_i32 s22, 0x7fff
	v_add3_u32 v15, v16, v15, s22
                                        ; implicit-def: $vgpr16
; %bb.202:
	s_andn2_saveexec_b64 s[22:23], s[8:9]
; %bb.203:
	v_mov_b32_e32 v15, 0
	v_or_b32_e32 v17, 0x10000, v16
	v_cmp_eq_u32_sdwa s[8:9], v16, v15 src0_sel:WORD_0 src1_sel:DWORD
	v_cndmask_b32_e64 v15, v17, v16, s[8:9]
; %bb.204:
	s_or_b64 exec, exec, s[22:23]
	s_mov_b32 s8, 0x7060302
	v_perm_b32 v16, v15, v14, s8
	v_mov_b32_e32 v17, 0xffff8000
	v_cmp_lt_i32_e64 s[8:9], -1, v14
	v_cndmask_b32_e64 v14, -1, v17, s[8:9]
	v_cmp_lt_i32_e64 s[8:9], -1, v15
	v_cndmask_b32_e64 v15, -1, v17, s[8:9]
	s_mov_b32 s8, 0x5040100
	v_perm_b32 v14, v15, v14, s8
	v_xor_b32_e32 v14, v14, v16
	v_cmp_gt_u16_sdwa s[22:23], v14, v14 src0_sel:DWORD src1_sel:WORD_1
	v_mov_b32_e32 v15, v9
	v_mov_b32_e32 v14, v8
	;; [unrolled: 1-line block ×3, first 2 shown]
	s_and_saveexec_b64 s[8:9], s[22:23]
; %bb.205:
	v_mov_b32_e32 v15, v13
	v_mov_b32_e32 v14, v12
	;; [unrolled: 1-line block ×6, first 2 shown]
; %bb.206:
	s_or_b64 exec, exec, s[8:9]
	v_lshlrev_b32_e32 v8, 16, v38
	v_add_f32_e32 v9, 0, v8
	s_mov_b32 s8, 0x7f800000
	v_and_b32_e32 v8, 0x7f800000, v9
	v_cmp_ne_u32_e64 s[8:9], s8, v8
                                        ; implicit-def: $vgpr8
	s_and_saveexec_b64 s[22:23], s[8:9]
	s_xor_b64 s[8:9], exec, s[22:23]
; %bb.207:
	v_bfe_u32 v8, v9, 16, 1
	s_movk_i32 s22, 0x7fff
	v_add3_u32 v8, v9, v8, s22
                                        ; implicit-def: $vgpr9
; %bb.208:
	s_andn2_saveexec_b64 s[22:23], s[8:9]
; %bb.209:
	v_mov_b32_e32 v8, 0
	v_or_b32_e32 v17, 0x10000, v9
	v_cmp_eq_u32_sdwa s[8:9], v9, v8 src0_sel:WORD_0 src1_sel:DWORD
	v_cndmask_b32_e64 v8, v17, v9, s[8:9]
; %bb.210:
	s_or_b64 exec, exec, s[22:23]
	v_lshlrev_b32_e32 v9, 16, v39
	v_add_f32_e32 v17, 0, v9
	s_mov_b32 s8, 0x7f800000
	v_and_b32_e32 v9, 0x7f800000, v17
	v_cmp_ne_u32_e64 s[8:9], s8, v9
                                        ; implicit-def: $vgpr9
	s_and_saveexec_b64 s[22:23], s[8:9]
	s_xor_b64 s[8:9], exec, s[22:23]
; %bb.211:
	v_bfe_u32 v9, v17, 16, 1
	s_movk_i32 s22, 0x7fff
	v_add3_u32 v9, v17, v9, s22
                                        ; implicit-def: $vgpr17
; %bb.212:
	s_andn2_saveexec_b64 s[22:23], s[8:9]
; %bb.213:
	v_mov_b32_e32 v9, 0
	v_or_b32_e32 v27, 0x10000, v17
	v_cmp_eq_u32_sdwa s[8:9], v17, v9 src0_sel:WORD_0 src1_sel:DWORD
	v_cndmask_b32_e64 v9, v27, v17, s[8:9]
; %bb.214:
	s_or_b64 exec, exec, s[22:23]
	s_mov_b32 s8, 0x7060302
	v_perm_b32 v17, v9, v8, s8
	v_mov_b32_e32 v27, 0xffff8000
	v_cmp_lt_i32_e64 s[8:9], -1, v8
	v_cndmask_b32_e64 v8, -1, v27, s[8:9]
	v_cmp_lt_i32_e64 s[8:9], -1, v9
	v_cndmask_b32_e64 v9, -1, v27, s[8:9]
	s_mov_b32 s8, 0x5040100
	v_perm_b32 v8, v9, v8, s8
	v_xor_b32_e32 v8, v8, v17
	v_mov_b32_e32 v27, v29
	v_cmp_gt_u16_sdwa s[22:23], v8, v8 src0_sel:DWORD src1_sel:WORD_1
	v_mov_b32_e32 v50, v38
	v_mov_b32_e32 v28, v30
	s_and_saveexec_b64 s[8:9], s[22:23]
; %bb.215:
	v_mov_b32_e32 v28, v24
	v_mov_b32_e32 v27, v23
	;; [unrolled: 1-line block ×6, first 2 shown]
; %bb.216:
	s_or_b64 exec, exec, s[8:9]
	v_lshlrev_b32_e32 v8, 16, v49
	v_add_f32_e32 v9, 0, v8
	s_mov_b32 s8, 0x7f800000
	v_and_b32_e32 v8, 0x7f800000, v9
	v_cmp_ne_u32_e64 s[8:9], s8, v8
                                        ; implicit-def: $vgpr8
	s_and_saveexec_b64 s[22:23], s[8:9]
	s_xor_b64 s[8:9], exec, s[22:23]
; %bb.217:
	v_bfe_u32 v8, v9, 16, 1
	s_movk_i32 s22, 0x7fff
	v_add3_u32 v8, v9, v8, s22
                                        ; implicit-def: $vgpr9
; %bb.218:
	s_andn2_saveexec_b64 s[22:23], s[8:9]
; %bb.219:
	v_mov_b32_e32 v8, 0
	v_or_b32_e32 v17, 0x10000, v9
	v_cmp_eq_u32_sdwa s[8:9], v9, v8 src0_sel:WORD_0 src1_sel:DWORD
	v_cndmask_b32_e64 v8, v17, v9, s[8:9]
; %bb.220:
	s_or_b64 exec, exec, s[22:23]
	v_lshlrev_b32_e32 v9, 16, v18
	v_add_f32_e32 v17, 0, v9
	s_mov_b32 s8, 0x7f800000
	v_and_b32_e32 v9, 0x7f800000, v17
	v_cmp_ne_u32_e64 s[8:9], s8, v9
                                        ; implicit-def: $vgpr9
	s_and_saveexec_b64 s[22:23], s[8:9]
	s_xor_b64 s[8:9], exec, s[22:23]
; %bb.221:
	v_bfe_u32 v9, v17, 16, 1
	s_movk_i32 s22, 0x7fff
	v_add3_u32 v9, v17, v9, s22
                                        ; implicit-def: $vgpr17
; %bb.222:
	s_andn2_saveexec_b64 s[22:23], s[8:9]
; %bb.223:
	v_mov_b32_e32 v9, 0
	v_or_b32_e32 v29, 0x10000, v17
	v_cmp_eq_u32_sdwa s[8:9], v17, v9 src0_sel:WORD_0 src1_sel:DWORD
	v_cndmask_b32_e64 v9, v29, v17, s[8:9]
; %bb.224:
	s_or_b64 exec, exec, s[22:23]
	s_mov_b32 s8, 0x7060302
	v_perm_b32 v17, v9, v8, s8
	v_mov_b32_e32 v29, 0xffff8000
	v_cmp_lt_i32_e64 s[8:9], -1, v8
	v_cndmask_b32_e64 v8, -1, v29, s[8:9]
	v_cmp_lt_i32_e64 s[8:9], -1, v9
	v_cndmask_b32_e64 v9, -1, v29, s[8:9]
	s_mov_b32 s8, 0x5040100
	v_perm_b32 v8, v9, v8, s8
	v_xor_b32_e32 v8, v8, v17
	v_cmp_gt_u16_sdwa s[22:23], v8, v8 src0_sel:DWORD src1_sel:WORD_1
	v_mov_b32_e32 v8, v21
	v_mov_b32_e32 v29, v18
	;; [unrolled: 1-line block ×3, first 2 shown]
	s_and_saveexec_b64 s[8:9], s[22:23]
; %bb.225:
	v_mov_b32_e32 v8, v25
	v_mov_b32_e32 v9, v26
	;; [unrolled: 1-line block ×6, first 2 shown]
; %bb.226:
	s_or_b64 exec, exec, s[8:9]
	v_lshlrev_b32_e32 v17, 16, v16
	v_add_f32_e32 v18, 0, v17
	s_mov_b32 s8, 0x7f800000
	v_and_b32_e32 v17, 0x7f800000, v18
	v_cmp_ne_u32_e64 s[8:9], s8, v17
                                        ; implicit-def: $vgpr17
	s_and_saveexec_b64 s[22:23], s[8:9]
	s_xor_b64 s[8:9], exec, s[22:23]
; %bb.227:
	v_bfe_u32 v17, v18, 16, 1
	s_movk_i32 s22, 0x7fff
	v_add3_u32 v17, v18, v17, s22
                                        ; implicit-def: $vgpr18
; %bb.228:
	s_andn2_saveexec_b64 s[22:23], s[8:9]
; %bb.229:
	v_mov_b32_e32 v17, 0
	v_or_b32_e32 v21, 0x10000, v18
	v_cmp_eq_u32_sdwa s[8:9], v18, v17 src0_sel:WORD_0 src1_sel:DWORD
	v_cndmask_b32_e64 v17, v21, v18, s[8:9]
; %bb.230:
	s_or_b64 exec, exec, s[22:23]
	v_lshlrev_b32_e32 v18, 16, v48
	v_add_f32_e32 v21, 0, v18
	s_mov_b32 s8, 0x7f800000
	v_and_b32_e32 v18, 0x7f800000, v21
	v_cmp_ne_u32_e64 s[8:9], s8, v18
                                        ; implicit-def: $vgpr18
	s_and_saveexec_b64 s[22:23], s[8:9]
	s_xor_b64 s[8:9], exec, s[22:23]
; %bb.231:
	v_bfe_u32 v18, v21, 16, 1
	s_movk_i32 s22, 0x7fff
	v_add3_u32 v18, v21, v18, s22
                                        ; implicit-def: $vgpr21
; %bb.232:
	s_andn2_saveexec_b64 s[22:23], s[8:9]
; %bb.233:
	v_mov_b32_e32 v18, 0
	v_or_b32_e32 v22, 0x10000, v21
	v_cmp_eq_u32_sdwa s[8:9], v21, v18 src0_sel:WORD_0 src1_sel:DWORD
	v_cndmask_b32_e64 v18, v22, v21, s[8:9]
; %bb.234:
	s_or_b64 exec, exec, s[22:23]
	s_mov_b32 s8, 0x7060302
	v_perm_b32 v21, v18, v17, s8
	v_mov_b32_e32 v22, 0xffff8000
	v_cmp_lt_i32_e64 s[8:9], -1, v17
	v_cndmask_b32_e64 v17, -1, v22, s[8:9]
	v_cmp_lt_i32_e64 s[8:9], -1, v18
	v_cndmask_b32_e64 v18, -1, v22, s[8:9]
	s_mov_b32 s8, 0x5040100
	v_perm_b32 v17, v18, v17, s8
	v_xor_b32_e32 v17, v17, v21
	v_mov_b32_e32 v22, v13
	v_cmp_gt_u16_sdwa s[22:23], v17, v17 src0_sel:DWORD src1_sel:WORD_1
	v_mov_b32_e32 v21, v12
	v_mov_b32_e32 v38, v48
	s_and_saveexec_b64 s[8:9], s[22:23]
; %bb.235:
	v_mov_b32_e32 v22, v20
	v_mov_b32_e32 v21, v19
	;; [unrolled: 1-line block ×6, first 2 shown]
; %bb.236:
	s_or_b64 exec, exec, s[8:9]
	v_lshlrev_b32_e32 v12, 16, v39
	v_add_f32_e32 v13, 0, v12
	s_mov_b32 s8, 0x7f800000
	v_and_b32_e32 v12, 0x7f800000, v13
	v_cmp_ne_u32_e64 s[8:9], s8, v12
                                        ; implicit-def: $vgpr12
	s_and_saveexec_b64 s[22:23], s[8:9]
	s_xor_b64 s[8:9], exec, s[22:23]
; %bb.237:
	v_bfe_u32 v12, v13, 16, 1
	s_movk_i32 s22, 0x7fff
	v_add3_u32 v12, v13, v12, s22
                                        ; implicit-def: $vgpr13
; %bb.238:
	s_andn2_saveexec_b64 s[22:23], s[8:9]
; %bb.239:
	v_mov_b32_e32 v12, 0
	v_or_b32_e32 v17, 0x10000, v13
	v_cmp_eq_u32_sdwa s[8:9], v13, v12 src0_sel:WORD_0 src1_sel:DWORD
	v_cndmask_b32_e64 v12, v17, v13, s[8:9]
; %bb.240:
	s_or_b64 exec, exec, s[22:23]
	v_lshlrev_b32_e32 v13, 16, v36
	v_add_f32_e32 v17, 0, v13
	s_mov_b32 s8, 0x7f800000
	v_and_b32_e32 v13, 0x7f800000, v17
	v_cmp_ne_u32_e64 s[8:9], s8, v13
                                        ; implicit-def: $vgpr13
	s_and_saveexec_b64 s[22:23], s[8:9]
	s_xor_b64 s[8:9], exec, s[22:23]
; %bb.241:
	v_bfe_u32 v13, v17, 16, 1
	s_movk_i32 s22, 0x7fff
	v_add3_u32 v13, v17, v13, s22
                                        ; implicit-def: $vgpr17
; %bb.242:
	s_andn2_saveexec_b64 s[22:23], s[8:9]
; %bb.243:
	v_mov_b32_e32 v13, 0
	v_or_b32_e32 v18, 0x10000, v17
	v_cmp_eq_u32_sdwa s[8:9], v17, v13 src0_sel:WORD_0 src1_sel:DWORD
	v_cndmask_b32_e64 v13, v18, v17, s[8:9]
; %bb.244:
	s_or_b64 exec, exec, s[22:23]
	s_mov_b32 s8, 0x7060302
	v_perm_b32 v17, v13, v12, s8
	v_mov_b32_e32 v18, 0xffff8000
	v_cmp_lt_i32_e64 s[8:9], -1, v12
	v_cndmask_b32_e64 v12, -1, v18, s[8:9]
	v_cmp_lt_i32_e64 s[8:9], -1, v13
	v_cndmask_b32_e64 v13, -1, v18, s[8:9]
	s_mov_b32 s8, 0x5040100
	v_perm_b32 v12, v13, v12, s8
	v_xor_b32_e32 v12, v12, v17
	v_cmp_gt_u16_sdwa s[22:23], v12, v12 src0_sel:DWORD src1_sel:WORD_1
	v_mov_b32_e32 v12, v23
	v_mov_b32_e32 v48, v39
	;; [unrolled: 1-line block ×3, first 2 shown]
	s_and_saveexec_b64 s[8:9], s[22:23]
; %bb.245:
	v_mov_b32_e32 v13, v5
	v_mov_b32_e32 v12, v4
	;; [unrolled: 1-line block ×6, first 2 shown]
; %bb.246:
	s_or_b64 exec, exec, s[8:9]
	v_lshlrev_b32_e32 v17, 16, v29
	v_add_f32_e32 v18, 0, v17
	s_mov_b32 s8, 0x7f800000
	v_and_b32_e32 v17, 0x7f800000, v18
	v_cmp_ne_u32_e64 s[8:9], s8, v17
                                        ; implicit-def: $vgpr17
	s_and_saveexec_b64 s[22:23], s[8:9]
	s_xor_b64 s[8:9], exec, s[22:23]
; %bb.247:
	v_bfe_u32 v17, v18, 16, 1
	s_movk_i32 s22, 0x7fff
	v_add3_u32 v17, v18, v17, s22
                                        ; implicit-def: $vgpr18
; %bb.248:
	s_andn2_saveexec_b64 s[22:23], s[8:9]
; %bb.249:
	v_mov_b32_e32 v17, 0
	v_or_b32_e32 v23, 0x10000, v18
	v_cmp_eq_u32_sdwa s[8:9], v18, v17 src0_sel:WORD_0 src1_sel:DWORD
	v_cndmask_b32_e64 v17, v23, v18, s[8:9]
; %bb.250:
	s_or_b64 exec, exec, s[22:23]
	v_lshlrev_b32_e32 v18, 16, v50
	v_add_f32_e32 v23, 0, v18
	s_mov_b32 s8, 0x7f800000
	v_and_b32_e32 v18, 0x7f800000, v23
	v_cmp_ne_u32_e64 s[8:9], s8, v18
                                        ; implicit-def: $vgpr18
	s_and_saveexec_b64 s[22:23], s[8:9]
	s_xor_b64 s[8:9], exec, s[22:23]
; %bb.251:
	v_bfe_u32 v18, v23, 16, 1
	s_movk_i32 s22, 0x7fff
	v_add3_u32 v18, v23, v18, s22
                                        ; implicit-def: $vgpr23
; %bb.252:
	s_andn2_saveexec_b64 s[22:23], s[8:9]
; %bb.253:
	v_mov_b32_e32 v18, 0
	v_or_b32_e32 v24, 0x10000, v23
	v_cmp_eq_u32_sdwa s[8:9], v23, v18 src0_sel:WORD_0 src1_sel:DWORD
	v_cndmask_b32_e64 v18, v24, v23, s[8:9]
; %bb.254:
	s_or_b64 exec, exec, s[22:23]
	s_mov_b32 s8, 0x7060302
	v_perm_b32 v23, v18, v17, s8
	v_mov_b32_e32 v24, 0xffff8000
	v_cmp_lt_i32_e64 s[8:9], -1, v17
	v_cndmask_b32_e64 v17, -1, v24, s[8:9]
	v_cmp_lt_i32_e64 s[8:9], -1, v18
	v_cndmask_b32_e64 v18, -1, v24, s[8:9]
	s_mov_b32 s8, 0x5040100
	v_perm_b32 v17, v18, v17, s8
	v_xor_b32_e32 v17, v17, v23
	v_cmp_gt_u16_sdwa s[22:23], v17, v17 src0_sel:DWORD src1_sel:WORD_1
	v_mov_b32_e32 v17, v25
	v_mov_b32_e32 v23, v29
	;; [unrolled: 1-line block ×3, first 2 shown]
	s_and_saveexec_b64 s[8:9], s[22:23]
; %bb.255:
	v_mov_b32_e32 v17, v27
	v_mov_b32_e32 v18, v28
	;; [unrolled: 1-line block ×6, first 2 shown]
; %bb.256:
	s_or_b64 exec, exec, s[8:9]
	v_lshlrev_b32_e32 v24, 16, v38
	v_add_f32_e32 v25, 0, v24
	s_mov_b32 s8, 0x7f800000
	v_and_b32_e32 v24, 0x7f800000, v25
	v_cmp_ne_u32_e64 s[8:9], s8, v24
                                        ; implicit-def: $vgpr24
	s_and_saveexec_b64 s[22:23], s[8:9]
	s_xor_b64 s[8:9], exec, s[22:23]
; %bb.257:
	v_bfe_u32 v24, v25, 16, 1
	s_movk_i32 s22, 0x7fff
	v_add3_u32 v24, v25, v24, s22
                                        ; implicit-def: $vgpr25
; %bb.258:
	s_andn2_saveexec_b64 s[22:23], s[8:9]
; %bb.259:
	v_mov_b32_e32 v24, 0
	v_or_b32_e32 v26, 0x10000, v25
	v_cmp_eq_u32_sdwa s[8:9], v25, v24 src0_sel:WORD_0 src1_sel:DWORD
	v_cndmask_b32_e64 v24, v26, v25, s[8:9]
; %bb.260:
	s_or_b64 exec, exec, s[22:23]
	v_lshlrev_b32_e32 v25, 16, v49
	v_add_f32_e32 v26, 0, v25
	s_mov_b32 s8, 0x7f800000
	v_and_b32_e32 v25, 0x7f800000, v26
	v_cmp_ne_u32_e64 s[8:9], s8, v25
                                        ; implicit-def: $vgpr25
	s_and_saveexec_b64 s[22:23], s[8:9]
	s_xor_b64 s[8:9], exec, s[22:23]
; %bb.261:
	v_bfe_u32 v25, v26, 16, 1
	s_movk_i32 s22, 0x7fff
	v_add3_u32 v25, v26, v25, s22
                                        ; implicit-def: $vgpr26
; %bb.262:
	s_andn2_saveexec_b64 s[22:23], s[8:9]
; %bb.263:
	v_mov_b32_e32 v25, 0
	v_or_b32_e32 v29, 0x10000, v26
	v_cmp_eq_u32_sdwa s[8:9], v26, v25 src0_sel:WORD_0 src1_sel:DWORD
	v_cndmask_b32_e64 v25, v29, v26, s[8:9]
; %bb.264:
	s_or_b64 exec, exec, s[22:23]
	s_mov_b32 s8, 0x7060302
	v_perm_b32 v26, v25, v24, s8
	v_mov_b32_e32 v29, 0xffff8000
	v_cmp_lt_i32_e64 s[8:9], -1, v24
	v_cndmask_b32_e64 v24, -1, v29, s[8:9]
	v_cmp_lt_i32_e64 s[8:9], -1, v25
	v_cndmask_b32_e64 v25, -1, v29, s[8:9]
	s_mov_b32 s8, 0x5040100
	v_perm_b32 v24, v25, v24, s8
	v_xor_b32_e32 v24, v24, v26
	v_mov_b32_e32 v30, v20
	v_cmp_gt_u16_sdwa s[22:23], v24, v24 src0_sel:DWORD src1_sel:WORD_1
	v_mov_b32_e32 v29, v19
	v_mov_b32_e32 v39, v49
	s_and_saveexec_b64 s[8:9], s[22:23]
; %bb.265:
	v_mov_b32_e32 v30, v9
	v_mov_b32_e32 v29, v8
	;; [unrolled: 1-line block ×6, first 2 shown]
; %bb.266:
	s_or_b64 exec, exec, s[8:9]
	v_lshlrev_b32_e32 v19, 16, v37
	v_add_f32_e32 v20, 0, v19
	s_mov_b32 s8, 0x7f800000
	v_and_b32_e32 v19, 0x7f800000, v20
	v_cmp_ne_u32_e64 s[8:9], s8, v19
                                        ; implicit-def: $vgpr19
	s_and_saveexec_b64 s[22:23], s[8:9]
	s_xor_b64 s[8:9], exec, s[22:23]
; %bb.267:
	v_bfe_u32 v19, v20, 16, 1
	s_movk_i32 s22, 0x7fff
	v_add3_u32 v19, v20, v19, s22
                                        ; implicit-def: $vgpr20
; %bb.268:
	s_andn2_saveexec_b64 s[22:23], s[8:9]
; %bb.269:
	v_mov_b32_e32 v19, 0
	v_or_b32_e32 v24, 0x10000, v20
	v_cmp_eq_u32_sdwa s[8:9], v20, v19 src0_sel:WORD_0 src1_sel:DWORD
	v_cndmask_b32_e64 v19, v24, v20, s[8:9]
; %bb.270:
	s_or_b64 exec, exec, s[22:23]
	v_lshlrev_b32_e32 v20, 16, v16
	v_add_f32_e32 v24, 0, v20
	s_mov_b32 s8, 0x7f800000
	v_and_b32_e32 v20, 0x7f800000, v24
	v_cmp_ne_u32_e64 s[8:9], s8, v20
                                        ; implicit-def: $vgpr20
	s_and_saveexec_b64 s[22:23], s[8:9]
	s_xor_b64 s[8:9], exec, s[22:23]
; %bb.271:
	v_bfe_u32 v20, v24, 16, 1
	s_movk_i32 s22, 0x7fff
	v_add3_u32 v20, v24, v20, s22
                                        ; implicit-def: $vgpr24
; %bb.272:
	s_andn2_saveexec_b64 s[22:23], s[8:9]
; %bb.273:
	v_mov_b32_e32 v20, 0
	v_or_b32_e32 v25, 0x10000, v24
	v_cmp_eq_u32_sdwa s[8:9], v24, v20 src0_sel:WORD_0 src1_sel:DWORD
	v_cndmask_b32_e64 v20, v25, v24, s[8:9]
; %bb.274:
	s_or_b64 exec, exec, s[22:23]
	s_mov_b32 s8, 0x7060302
	v_perm_b32 v24, v20, v19, s8
	v_mov_b32_e32 v25, 0xffff8000
	v_cmp_lt_i32_e64 s[8:9], -1, v19
	v_cndmask_b32_e64 v19, -1, v25, s[8:9]
	v_cmp_lt_i32_e64 s[8:9], -1, v20
	v_cndmask_b32_e64 v20, -1, v25, s[8:9]
	s_mov_b32 s8, 0x5040100
	v_perm_b32 v19, v20, v19, s8
	v_xor_b32_e32 v19, v19, v24
	v_mov_b32_e32 v26, v15
	v_cmp_gt_u16_sdwa s[22:23], v19, v19 src0_sel:DWORD src1_sel:WORD_1
	v_mov_b32_e32 v25, v14
	v_mov_b32_e32 v52, v16
	s_and_saveexec_b64 s[8:9], s[22:23]
; %bb.275:
	v_mov_b32_e32 v26, v22
	v_mov_b32_e32 v25, v21
	;; [unrolled: 1-line block ×6, first 2 shown]
; %bb.276:
	s_or_b64 exec, exec, s[8:9]
	v_lshlrev_b32_e32 v14, 16, v50
	v_add_f32_e32 v15, 0, v14
	s_mov_b32 s8, 0x7f800000
	v_and_b32_e32 v14, 0x7f800000, v15
	v_cmp_ne_u32_e64 s[8:9], s8, v14
                                        ; implicit-def: $vgpr14
	s_and_saveexec_b64 s[22:23], s[8:9]
	s_xor_b64 s[8:9], exec, s[22:23]
; %bb.277:
	v_bfe_u32 v14, v15, 16, 1
	s_movk_i32 s22, 0x7fff
	v_add3_u32 v14, v15, v14, s22
                                        ; implicit-def: $vgpr15
; %bb.278:
	s_andn2_saveexec_b64 s[22:23], s[8:9]
; %bb.279:
	v_mov_b32_e32 v14, 0
	v_or_b32_e32 v16, 0x10000, v15
	v_cmp_eq_u32_sdwa s[8:9], v15, v14 src0_sel:WORD_0 src1_sel:DWORD
	v_cndmask_b32_e64 v14, v16, v15, s[8:9]
; %bb.280:
	s_or_b64 exec, exec, s[22:23]
	v_lshlrev_b32_e32 v15, 16, v48
	v_add_f32_e32 v16, 0, v15
	s_mov_b32 s8, 0x7f800000
	v_and_b32_e32 v15, 0x7f800000, v16
	v_cmp_ne_u32_e64 s[8:9], s8, v15
                                        ; implicit-def: $vgpr15
	s_and_saveexec_b64 s[22:23], s[8:9]
	s_xor_b64 s[8:9], exec, s[22:23]
; %bb.281:
	v_bfe_u32 v15, v16, 16, 1
	s_movk_i32 s22, 0x7fff
	v_add3_u32 v15, v16, v15, s22
                                        ; implicit-def: $vgpr16
; %bb.282:
	s_andn2_saveexec_b64 s[22:23], s[8:9]
; %bb.283:
	v_mov_b32_e32 v15, 0
	v_or_b32_e32 v19, 0x10000, v16
	v_cmp_eq_u32_sdwa s[8:9], v16, v15 src0_sel:WORD_0 src1_sel:DWORD
	v_cndmask_b32_e64 v15, v19, v16, s[8:9]
; %bb.284:
	s_or_b64 exec, exec, s[22:23]
	s_mov_b32 s8, 0x7060302
	v_perm_b32 v16, v15, v14, s8
	v_mov_b32_e32 v19, 0xffff8000
	v_cmp_lt_i32_e64 s[8:9], -1, v14
	v_cndmask_b32_e64 v14, -1, v19, s[8:9]
	v_cmp_lt_i32_e64 s[8:9], -1, v15
	v_cndmask_b32_e64 v15, -1, v19, s[8:9]
	s_mov_b32 s8, 0x5040100
	v_perm_b32 v14, v15, v14, s8
	v_xor_b32_e32 v14, v14, v16
	v_mov_b32_e32 v15, v27
	v_cmp_gt_u16_sdwa s[22:23], v14, v14 src0_sel:DWORD src1_sel:WORD_1
	v_mov_b32_e32 v49, v50
	v_mov_b32_e32 v16, v28
	s_and_saveexec_b64 s[8:9], s[22:23]
; %bb.285:
	v_mov_b32_e32 v16, v13
	v_mov_b32_e32 v15, v12
	;; [unrolled: 1-line block ×6, first 2 shown]
; %bb.286:
	s_or_b64 exec, exec, s[8:9]
	v_lshlrev_b32_e32 v14, 16, v39
	v_add_f32_e32 v19, 0, v14
	s_mov_b32 s8, 0x7f800000
	v_and_b32_e32 v14, 0x7f800000, v19
	v_cmp_ne_u32_e64 s[8:9], s8, v14
                                        ; implicit-def: $vgpr14
	s_and_saveexec_b64 s[22:23], s[8:9]
	s_xor_b64 s[8:9], exec, s[22:23]
; %bb.287:
	v_bfe_u32 v14, v19, 16, 1
	s_movk_i32 s22, 0x7fff
	v_add3_u32 v14, v19, v14, s22
                                        ; implicit-def: $vgpr19
; %bb.288:
	s_andn2_saveexec_b64 s[22:23], s[8:9]
; %bb.289:
	v_mov_b32_e32 v14, 0
	v_or_b32_e32 v20, 0x10000, v19
	v_cmp_eq_u32_sdwa s[8:9], v19, v14 src0_sel:WORD_0 src1_sel:DWORD
	v_cndmask_b32_e64 v14, v20, v19, s[8:9]
; %bb.290:
	s_or_b64 exec, exec, s[22:23]
	v_lshlrev_b32_e32 v19, 16, v23
	v_add_f32_e32 v20, 0, v19
	s_mov_b32 s8, 0x7f800000
	v_and_b32_e32 v19, 0x7f800000, v20
	v_cmp_ne_u32_e64 s[8:9], s8, v19
                                        ; implicit-def: $vgpr19
	s_and_saveexec_b64 s[22:23], s[8:9]
	s_xor_b64 s[8:9], exec, s[22:23]
; %bb.291:
	v_bfe_u32 v19, v20, 16, 1
	s_movk_i32 s22, 0x7fff
	v_add3_u32 v19, v20, v19, s22
                                        ; implicit-def: $vgpr20
; %bb.292:
	s_andn2_saveexec_b64 s[22:23], s[8:9]
; %bb.293:
	v_mov_b32_e32 v19, 0
	v_or_b32_e32 v24, 0x10000, v20
	v_cmp_eq_u32_sdwa s[8:9], v20, v19 src0_sel:WORD_0 src1_sel:DWORD
	v_cndmask_b32_e64 v19, v24, v20, s[8:9]
; %bb.294:
	s_or_b64 exec, exec, s[22:23]
	s_mov_b32 s8, 0x7060302
	v_perm_b32 v20, v19, v14, s8
	v_mov_b32_e32 v24, 0xffff8000
	v_cmp_lt_i32_e64 s[8:9], -1, v14
	v_cndmask_b32_e64 v14, -1, v24, s[8:9]
	v_cmp_lt_i32_e64 s[8:9], -1, v19
	v_cndmask_b32_e64 v19, -1, v24, s[8:9]
	s_mov_b32 s8, 0x5040100
	v_perm_b32 v14, v19, v14, s8
	v_xor_b32_e32 v14, v14, v20
	v_mov_b32_e32 v20, v9
	v_cmp_gt_u16_sdwa s[22:23], v14, v14 src0_sel:DWORD src1_sel:WORD_1
	v_mov_b32_e32 v51, v23
	v_mov_b32_e32 v19, v8
	s_and_saveexec_b64 s[8:9], s[22:23]
; %bb.295:
	v_mov_b32_e32 v20, v18
	v_mov_b32_e32 v19, v17
	;; [unrolled: 1-line block ×6, first 2 shown]
; %bb.296:
	s_or_b64 exec, exec, s[8:9]
	v_lshlrev_b32_e32 v8, 16, v52
	v_add_f32_e32 v9, 0, v8
	s_mov_b32 s8, 0x7f800000
	v_and_b32_e32 v8, 0x7f800000, v9
	v_cmp_ne_u32_e64 s[8:9], s8, v8
                                        ; implicit-def: $vgpr8
	s_and_saveexec_b64 s[22:23], s[8:9]
	s_xor_b64 s[8:9], exec, s[22:23]
; %bb.297:
	v_bfe_u32 v8, v9, 16, 1
	s_movk_i32 s22, 0x7fff
	v_add3_u32 v8, v9, v8, s22
                                        ; implicit-def: $vgpr9
; %bb.298:
	s_andn2_saveexec_b64 s[22:23], s[8:9]
; %bb.299:
	v_mov_b32_e32 v8, 0
	v_or_b32_e32 v14, 0x10000, v9
	v_cmp_eq_u32_sdwa s[8:9], v9, v8 src0_sel:WORD_0 src1_sel:DWORD
	v_cndmask_b32_e64 v8, v14, v9, s[8:9]
; %bb.300:
	s_or_b64 exec, exec, s[22:23]
	v_lshlrev_b32_e32 v9, 16, v38
	v_add_f32_e32 v14, 0, v9
	s_mov_b32 s8, 0x7f800000
	v_and_b32_e32 v9, 0x7f800000, v14
	v_cmp_ne_u32_e64 s[8:9], s8, v9
                                        ; implicit-def: $vgpr9
	s_and_saveexec_b64 s[22:23], s[8:9]
	s_xor_b64 s[8:9], exec, s[22:23]
; %bb.301:
	v_bfe_u32 v9, v14, 16, 1
	s_movk_i32 s22, 0x7fff
	v_add3_u32 v9, v14, v9, s22
                                        ; implicit-def: $vgpr14
; %bb.302:
	s_andn2_saveexec_b64 s[22:23], s[8:9]
; %bb.303:
	v_mov_b32_e32 v9, 0
	v_or_b32_e32 v23, 0x10000, v14
	v_cmp_eq_u32_sdwa s[8:9], v14, v9 src0_sel:WORD_0 src1_sel:DWORD
	v_cndmask_b32_e64 v9, v23, v14, s[8:9]
; %bb.304:
	s_or_b64 exec, exec, s[22:23]
	s_mov_b32 s8, 0x7060302
	v_perm_b32 v14, v9, v8, s8
	v_mov_b32_e32 v23, 0xffff8000
	v_cmp_lt_i32_e64 s[8:9], -1, v8
	v_cndmask_b32_e64 v8, -1, v23, s[8:9]
	v_cmp_lt_i32_e64 s[8:9], -1, v9
	v_cndmask_b32_e64 v9, -1, v23, s[8:9]
	s_mov_b32 s8, 0x5040100
	v_perm_b32 v8, v9, v8, s8
	v_xor_b32_e32 v8, v8, v14
	v_mov_b32_e32 v23, v29
	v_cmp_gt_u16_sdwa s[22:23], v8, v8 src0_sel:DWORD src1_sel:WORD_1
	v_mov_b32_e32 v50, v52
	v_mov_b32_e32 v24, v30
	s_and_saveexec_b64 s[8:9], s[22:23]
; %bb.305:
	v_mov_b32_e32 v24, v22
	v_mov_b32_e32 v23, v21
	;; [unrolled: 1-line block ×6, first 2 shown]
; %bb.306:
	s_or_b64 exec, exec, s[8:9]
.LBB1960_307:
	s_or_b64 exec, exec, s[12:13]
	v_and_b32_e32 v27, 0xfffffe00, v31
	v_lshlrev_b32_e32 v14, 1, v27
	v_mad_u64_u32 v[8:9], s[8:9], v27, 6, v[14:15]
	s_movk_i32 s8, 0x800
	v_sub_u32_e64 v9, s8, v27 clamp
	v_lshl_add_u32 v28, v35, 3, v8
	v_add_u32_e32 v29, 0x1000, v28
	ds_write2_b64 v29, v[4:5], v[12:13] offset1:1
	v_add_u32_e32 v29, 0x1010, v28
	ds_write2_b64 v29, v[15:16], v[17:18] offset1:1
	v_add_u32_e32 v29, 0x1020, v28
	s_mov_b32 s8, 0x5040100
	v_lshl_add_u32 v27, v35, 1, v14
	ds_write2_b64 v29, v[19:20], v[23:24] offset1:1
	v_perm_b32 v30, v37, v50, s8
	v_perm_b32 v29, v38, v39, s8
	;; [unrolled: 1-line block ×4, first 2 shown]
	v_add_u32_e32 v31, 0x1030, v28
	ds_write2_b64 v27, v[52:53], v[29:30] offset1:1
	ds_write2_b64 v31, v[21:22], v[25:26] offset1:1
	v_or_b32_e32 v29, 8, v35
	v_min_u32_e32 v29, v9, v29
	v_add_u32_e32 v30, 8, v29
	v_and_b32_e32 v31, 0x3f0, v35
	v_min_u32_e32 v30, v9, v30
	v_and_b32_e32 v52, 8, v35
	v_min_u32_e32 v53, v9, v52
	v_sub_u32_e32 v52, v29, v31
	v_sub_u32_e32 v55, v30, v29
	v_sub_u32_e64 v55, v53, v55 clamp
	v_min_u32_e32 v52, v53, v52
	v_lshl_add_u32 v54, v31, 1, v14
	v_cmp_lt_u32_e64 s[8:9], v55, v52
	; wave barrier
	s_and_saveexec_b64 s[12:13], s[8:9]
	s_cbranch_execz .LBB1960_326
; %bb.308:
	v_lshlrev_b32_e32 v64, 1, v29
	v_lshlrev_b32_e32 v65, 1, v53
	v_add3_u32 v64, v14, v64, v65
	s_mov_b64 s[22:23], 0
	s_mov_b32 s26, 0x7f800000
	s_movk_i32 s27, 0x7fff
	v_mov_b32_e32 v65, 0
	v_mov_b32_e32 v66, 0xffff8000
	s_branch .LBB1960_310
.LBB1960_309:                           ;   in Loop: Header=BB1960_310 Depth=1
	s_or_b64 exec, exec, s[24:25]
	v_cmp_lt_i32_e64 s[8:9], -1, v68
	v_cndmask_b32_e64 v70, -1, v66, s[8:9]
	v_cmp_lt_i32_e64 s[8:9], -1, v69
	v_xor_b32_sdwa v68, v70, v68 dst_sel:DWORD dst_unused:UNUSED_PAD src0_sel:DWORD src1_sel:WORD_1
	v_cndmask_b32_e64 v70, -1, v66, s[8:9]
	v_xor_b32_sdwa v69, v70, v69 dst_sel:DWORD dst_unused:UNUSED_PAD src0_sel:DWORD src1_sel:WORD_1
	v_add_u32_e32 v70, 1, v67
	v_cmp_gt_u16_e64 s[8:9], v68, v69
	v_cndmask_b32_e64 v52, v52, v67, s[8:9]
	v_cndmask_b32_e64 v55, v70, v55, s[8:9]
	v_cmp_ge_u32_e64 s[8:9], v55, v52
	s_or_b64 s[22:23], s[8:9], s[22:23]
	s_andn2_b64 exec, exec, s[22:23]
	s_cbranch_execz .LBB1960_325
.LBB1960_310:                           ; =>This Inner Loop Header: Depth=1
	v_add_u32_e32 v68, v52, v55
	v_lshrrev_b32_e32 v67, 1, v68
	v_not_b32_e32 v69, v67
	v_lshl_add_u32 v69, v69, 1, v64
	ds_read_u16 v70, v69
	v_and_b32_e32 v68, -2, v68
	v_add_u32_e32 v68, v54, v68
	ds_read_u16 v69, v68
	s_waitcnt lgkmcnt(1)
	v_lshlrev_b32_e32 v68, 16, v70
	v_add_f32_e32 v70, 0, v68
	v_and_b32_e32 v68, 0x7f800000, v70
	v_cmp_ne_u32_e64 s[8:9], s26, v68
                                        ; implicit-def: $vgpr68
	s_and_saveexec_b64 s[24:25], s[8:9]
	s_xor_b64 s[8:9], exec, s[24:25]
; %bb.311:                              ;   in Loop: Header=BB1960_310 Depth=1
	v_bfe_u32 v68, v70, 16, 1
	v_add3_u32 v68, v70, v68, s27
                                        ; implicit-def: $vgpr70
; %bb.312:                              ;   in Loop: Header=BB1960_310 Depth=1
	s_andn2_saveexec_b64 s[24:25], s[8:9]
; %bb.313:                              ;   in Loop: Header=BB1960_310 Depth=1
	v_or_b32_e32 v68, 0x10000, v70
	v_cmp_eq_u32_sdwa s[8:9], v70, v65 src0_sel:WORD_0 src1_sel:DWORD
	v_cndmask_b32_e64 v68, v68, v70, s[8:9]
; %bb.314:                              ;   in Loop: Header=BB1960_310 Depth=1
	s_or_b64 exec, exec, s[24:25]
	s_waitcnt lgkmcnt(0)
	v_lshlrev_b32_e32 v69, 16, v69
	v_add_f32_e32 v70, 0, v69
	v_and_b32_e32 v69, 0x7f800000, v70
	v_cmp_ne_u32_e64 s[8:9], s26, v69
                                        ; implicit-def: $vgpr69
	s_and_saveexec_b64 s[24:25], s[8:9]
	s_xor_b64 s[8:9], exec, s[24:25]
; %bb.315:                              ;   in Loop: Header=BB1960_310 Depth=1
	v_bfe_u32 v69, v70, 16, 1
	v_add3_u32 v69, v70, v69, s27
                                        ; implicit-def: $vgpr70
; %bb.316:                              ;   in Loop: Header=BB1960_310 Depth=1
	s_andn2_saveexec_b64 s[24:25], s[8:9]
	s_cbranch_execz .LBB1960_309
; %bb.317:                              ;   in Loop: Header=BB1960_310 Depth=1
	v_or_b32_e32 v69, 0x10000, v70
	v_cmp_eq_u32_sdwa s[8:9], v70, v65 src0_sel:WORD_0 src1_sel:DWORD
	v_cndmask_b32_e64 v69, v69, v70, s[8:9]
	s_branch .LBB1960_309
.LBB1960_318:
	flat_load_dwordx2 v[4:5], v[8:9]
	s_or_b64 exec, exec, s[22:23]
	s_and_saveexec_b64 s[22:23], s[4:5]
                                        ; implicit-def: $vgpr12_vgpr13
	s_cbranch_execz .LBB1960_18
.LBB1960_319:
	flat_load_dwordx2 v[12:13], v[8:9] offset:8
	s_or_b64 exec, exec, s[22:23]
                                        ; implicit-def: $vgpr15_vgpr16
	s_and_saveexec_b64 s[22:23], s[6:7]
	s_cbranch_execz .LBB1960_19
.LBB1960_320:
	flat_load_dwordx2 v[15:16], v[8:9] offset:16
	s_or_b64 exec, exec, s[22:23]
	s_and_saveexec_b64 s[22:23], s[18:19]
                                        ; implicit-def: $vgpr17_vgpr18
	s_cbranch_execz .LBB1960_20
.LBB1960_321:
	flat_load_dwordx2 v[17:18], v[8:9] offset:24
	s_or_b64 exec, exec, s[22:23]
                                        ; implicit-def: $vgpr19_vgpr20
	s_and_saveexec_b64 s[22:23], s[10:11]
	s_cbranch_execz .LBB1960_21
.LBB1960_322:
	flat_load_dwordx2 v[19:20], v[8:9] offset:32
	s_or_b64 exec, exec, s[22:23]
	s_and_saveexec_b64 s[22:23], s[20:21]
                                        ; implicit-def: $vgpr23_vgpr24
	s_cbranch_execz .LBB1960_22
.LBB1960_323:
	flat_load_dwordx2 v[23:24], v[8:9] offset:40
	s_or_b64 exec, exec, s[22:23]
                                        ; implicit-def: $vgpr21_vgpr22
	s_and_saveexec_b64 s[22:23], s[14:15]
	s_cbranch_execz .LBB1960_23
.LBB1960_324:
	flat_load_dwordx2 v[21:22], v[8:9] offset:48
	s_or_b64 exec, exec, s[22:23]
	s_and_saveexec_b64 s[22:23], s[16:17]
                                        ; implicit-def: $vgpr25_vgpr26
	s_cbranch_execnz .LBB1960_24
	s_branch .LBB1960_25
.LBB1960_325:
	s_or_b64 exec, exec, s[22:23]
.LBB1960_326:
	s_or_b64 exec, exec, s[12:13]
	v_add_u32_e32 v52, v55, v31
	v_add_u32_e32 v31, v29, v53
	v_sub_u32_e32 v53, v31, v55
	v_cmp_le_u32_e64 s[8:9], v52, v29
	v_cmp_le_u32_e64 s[12:13], v53, v30
	s_or_b64 s[8:9], s[8:9], s[12:13]
	s_and_saveexec_b64 s[22:23], s[8:9]
	s_cbranch_execz .LBB1960_426
; %bb.327:
	v_cmp_ge_u32_e64 s[8:9], v52, v29
	v_cmp_lt_u32_e64 s[12:13], v52, v29
                                        ; implicit-def: $vgpr31
	s_and_saveexec_b64 s[24:25], s[12:13]
; %bb.328:
	v_lshl_add_u32 v4, v55, 1, v54
	ds_read_u16 v31, v4
; %bb.329:
	s_or_b64 exec, exec, s[24:25]
	v_cmp_ge_u32_e64 s[24:25], v53, v30
	v_cmp_lt_u32_e64 s[12:13], v53, v30
                                        ; implicit-def: $vgpr36
	s_and_saveexec_b64 s[26:27], s[12:13]
; %bb.330:
	v_lshl_add_u32 v4, v53, 1, v14
	ds_read_u16 v36, v4
; %bb.331:
	s_or_b64 exec, exec, s[26:27]
	s_nor_b64 s[8:9], s[8:9], s[24:25]
	s_and_saveexec_b64 s[12:13], s[8:9]
	s_cbranch_execz .LBB1960_341
; %bb.332:
	s_waitcnt lgkmcnt(0)
	v_lshlrev_b32_e32 v4, 16, v36
	v_add_f32_e32 v5, 0, v4
	s_mov_b32 s8, 0x7f800000
	v_and_b32_e32 v4, 0x7f800000, v5
	v_cmp_ne_u32_e64 s[8:9], s8, v4
                                        ; implicit-def: $vgpr4
	s_and_saveexec_b64 s[26:27], s[8:9]
	s_xor_b64 s[8:9], exec, s[26:27]
; %bb.333:
	v_bfe_u32 v4, v5, 16, 1
	s_movk_i32 s26, 0x7fff
	v_add3_u32 v4, v5, v4, s26
                                        ; implicit-def: $vgpr5
; %bb.334:
	s_andn2_saveexec_b64 s[26:27], s[8:9]
; %bb.335:
	v_mov_b32_e32 v4, 0
	v_or_b32_e32 v12, 0x10000, v5
	v_cmp_eq_u32_sdwa s[8:9], v5, v4 src0_sel:WORD_0 src1_sel:DWORD
	v_cndmask_b32_e64 v4, v12, v5, s[8:9]
; %bb.336:
	s_or_b64 exec, exec, s[26:27]
	v_lshlrev_b32_e32 v5, 16, v31
	v_add_f32_e32 v12, 0, v5
	s_mov_b32 s8, 0x7f800000
	v_and_b32_e32 v5, 0x7f800000, v12
	v_cmp_ne_u32_e64 s[8:9], s8, v5
                                        ; implicit-def: $vgpr5
	s_and_saveexec_b64 s[26:27], s[8:9]
	s_xor_b64 s[8:9], exec, s[26:27]
; %bb.337:
	v_bfe_u32 v5, v12, 16, 1
	s_movk_i32 s26, 0x7fff
	v_add3_u32 v5, v12, v5, s26
                                        ; implicit-def: $vgpr12
; %bb.338:
	s_andn2_saveexec_b64 s[26:27], s[8:9]
; %bb.339:
	v_mov_b32_e32 v5, 0
	v_or_b32_e32 v13, 0x10000, v12
	v_cmp_eq_u32_sdwa s[8:9], v12, v5 src0_sel:WORD_0 src1_sel:DWORD
	v_cndmask_b32_e64 v5, v13, v12, s[8:9]
; %bb.340:
	s_or_b64 exec, exec, s[26:27]
	s_mov_b32 s8, 0x7060302
	v_perm_b32 v12, v5, v4, s8
	v_mov_b32_e32 v13, 0xffff8000
	v_cmp_lt_i32_e64 s[8:9], -1, v4
	v_cndmask_b32_e64 v4, -1, v13, s[8:9]
	v_cmp_lt_i32_e64 s[8:9], -1, v5
	v_cndmask_b32_e64 v5, -1, v13, s[8:9]
	s_mov_b32 s8, 0x5040100
	v_perm_b32 v4, v5, v4, s8
	v_xor_b32_e32 v4, v4, v12
	v_cmp_le_u16_sdwa s[8:9], v4, v4 src0_sel:DWORD src1_sel:WORD_1
	s_andn2_b64 s[24:25], s[24:25], exec
	s_and_b64 s[8:9], s[8:9], exec
	s_or_b64 s[24:25], s[24:25], s[8:9]
.LBB1960_341:
	s_or_b64 exec, exec, s[12:13]
	v_cndmask_b32_e64 v4, v53, v52, s[24:25]
	v_cndmask_b32_e64 v5, v30, v29, s[24:25]
	v_add_u32_e32 v12, 1, v4
	v_add_u32_e32 v5, -1, v5
	v_min_u32_e32 v5, v12, v5
	v_lshl_add_u32 v5, v5, 1, v14
	ds_read_u16 v13, v5
	v_lshl_add_u32 v4, v4, 3, v8
	ds_read_b64 v[4:5], v4 offset:4096
	v_cndmask_b32_e64 v15, v12, v53, s[24:25]
	v_cndmask_b32_e64 v16, v52, v12, s[24:25]
	s_waitcnt lgkmcnt(1)
	v_cndmask_b32_e64 v37, v13, v36, s[24:25]
	v_cndmask_b32_e64 v48, v31, v13, s[24:25]
	v_cmp_lt_u32_e64 s[8:9], v15, v30
	s_mov_b64 s[26:27], -1
	s_mov_b64 s[12:13], -1
	s_and_saveexec_b64 s[28:29], s[8:9]
	s_cbranch_execz .LBB1960_353
; %bb.342:
	v_cmp_lt_u32_e64 s[8:9], v16, v29
	s_mov_b64 s[40:41], 0
	s_and_saveexec_b64 s[12:13], s[8:9]
	s_cbranch_execz .LBB1960_352
; %bb.343:
	v_lshlrev_b32_e32 v12, 16, v37
	v_add_f32_e32 v13, 0, v12
	s_mov_b32 s8, 0x7f800000
	v_and_b32_e32 v12, 0x7f800000, v13
	v_cmp_ne_u32_e64 s[8:9], s8, v12
                                        ; implicit-def: $vgpr12
	s_and_saveexec_b64 s[40:41], s[8:9]
	s_xor_b64 s[8:9], exec, s[40:41]
; %bb.344:
	v_bfe_u32 v12, v13, 16, 1
	s_movk_i32 s40, 0x7fff
	v_add3_u32 v12, v13, v12, s40
                                        ; implicit-def: $vgpr13
; %bb.345:
	s_andn2_saveexec_b64 s[40:41], s[8:9]
; %bb.346:
	v_mov_b32_e32 v12, 0
	v_or_b32_e32 v17, 0x10000, v13
	v_cmp_eq_u32_sdwa s[8:9], v13, v12 src0_sel:WORD_0 src1_sel:DWORD
	v_cndmask_b32_e64 v12, v17, v13, s[8:9]
; %bb.347:
	s_or_b64 exec, exec, s[40:41]
	v_lshlrev_b32_e32 v13, 16, v48
	v_add_f32_e32 v17, 0, v13
	s_mov_b32 s8, 0x7f800000
	v_and_b32_e32 v13, 0x7f800000, v17
	v_cmp_ne_u32_e64 s[8:9], s8, v13
                                        ; implicit-def: $vgpr13
	s_and_saveexec_b64 s[40:41], s[8:9]
	s_xor_b64 s[8:9], exec, s[40:41]
; %bb.348:
	v_bfe_u32 v13, v17, 16, 1
	s_movk_i32 s40, 0x7fff
	v_add3_u32 v13, v17, v13, s40
                                        ; implicit-def: $vgpr17
; %bb.349:
	s_andn2_saveexec_b64 s[40:41], s[8:9]
; %bb.350:
	v_mov_b32_e32 v13, 0
	v_or_b32_e32 v18, 0x10000, v17
	v_cmp_eq_u32_sdwa s[8:9], v17, v13 src0_sel:WORD_0 src1_sel:DWORD
	v_cndmask_b32_e64 v13, v18, v17, s[8:9]
; %bb.351:
	s_or_b64 exec, exec, s[40:41]
	s_mov_b32 s8, 0x7060302
	v_perm_b32 v17, v13, v12, s8
	v_mov_b32_e32 v18, 0xffff8000
	v_cmp_lt_i32_e64 s[8:9], -1, v12
	v_cndmask_b32_e64 v12, -1, v18, s[8:9]
	v_cmp_lt_i32_e64 s[8:9], -1, v13
	v_cndmask_b32_e64 v13, -1, v18, s[8:9]
	s_mov_b32 s8, 0x5040100
	v_perm_b32 v12, v13, v12, s8
	v_xor_b32_e32 v12, v12, v17
	v_cmp_le_u16_sdwa s[8:9], v12, v12 src0_sel:DWORD src1_sel:WORD_1
	s_and_b64 s[40:41], s[8:9], exec
.LBB1960_352:
	s_or_b64 exec, exec, s[12:13]
	s_orn2_b64 s[12:13], s[40:41], exec
.LBB1960_353:
	s_or_b64 exec, exec, s[28:29]
	v_cndmask_b32_e64 v12, v15, v16, s[12:13]
	v_cndmask_b32_e64 v13, v30, v29, s[12:13]
	v_add_u32_e32 v18, 1, v12
	v_add_u32_e32 v13, -1, v13
	v_min_u32_e32 v13, v18, v13
	v_lshl_add_u32 v13, v13, 1, v14
	ds_read_u16 v17, v13
	v_lshl_add_u32 v12, v12, 3, v8
	ds_read_b64 v[12:13], v12 offset:4096
	s_waitcnt lgkmcnt(1)
	v_cndmask_b32_e64 v49, v17, v37, s[12:13]
	v_cndmask_b32_e64 v52, v48, v17, s[12:13]
	;; [unrolled: 1-line block ×4, first 2 shown]
	v_cmp_lt_u32_e64 s[8:9], v17, v30
	s_and_saveexec_b64 s[28:29], s[8:9]
	s_cbranch_execz .LBB1960_365
; %bb.354:
	v_cmp_lt_u32_e64 s[8:9], v18, v29
	s_mov_b64 s[40:41], 0
	s_and_saveexec_b64 s[26:27], s[8:9]
	s_cbranch_execz .LBB1960_364
; %bb.355:
	v_lshlrev_b32_e32 v15, 16, v49
	v_add_f32_e32 v16, 0, v15
	s_mov_b32 s8, 0x7f800000
	v_and_b32_e32 v15, 0x7f800000, v16
	v_cmp_ne_u32_e64 s[8:9], s8, v15
                                        ; implicit-def: $vgpr15
	s_and_saveexec_b64 s[40:41], s[8:9]
	s_xor_b64 s[8:9], exec, s[40:41]
; %bb.356:
	v_bfe_u32 v15, v16, 16, 1
	s_movk_i32 s40, 0x7fff
	v_add3_u32 v15, v16, v15, s40
                                        ; implicit-def: $vgpr16
; %bb.357:
	s_andn2_saveexec_b64 s[40:41], s[8:9]
; %bb.358:
	v_mov_b32_e32 v15, 0
	v_or_b32_e32 v19, 0x10000, v16
	v_cmp_eq_u32_sdwa s[8:9], v16, v15 src0_sel:WORD_0 src1_sel:DWORD
	v_cndmask_b32_e64 v15, v19, v16, s[8:9]
; %bb.359:
	s_or_b64 exec, exec, s[40:41]
	v_lshlrev_b32_e32 v16, 16, v52
	v_add_f32_e32 v19, 0, v16
	s_mov_b32 s8, 0x7f800000
	v_and_b32_e32 v16, 0x7f800000, v19
	v_cmp_ne_u32_e64 s[8:9], s8, v16
                                        ; implicit-def: $vgpr16
	s_and_saveexec_b64 s[40:41], s[8:9]
	s_xor_b64 s[8:9], exec, s[40:41]
; %bb.360:
	v_bfe_u32 v16, v19, 16, 1
	s_movk_i32 s40, 0x7fff
	v_add3_u32 v16, v19, v16, s40
                                        ; implicit-def: $vgpr19
; %bb.361:
	s_andn2_saveexec_b64 s[40:41], s[8:9]
; %bb.362:
	v_mov_b32_e32 v16, 0
	v_or_b32_e32 v20, 0x10000, v19
	v_cmp_eq_u32_sdwa s[8:9], v19, v16 src0_sel:WORD_0 src1_sel:DWORD
	v_cndmask_b32_e64 v16, v20, v19, s[8:9]
; %bb.363:
	s_or_b64 exec, exec, s[40:41]
	s_mov_b32 s8, 0x7060302
	v_perm_b32 v19, v16, v15, s8
	v_mov_b32_e32 v20, 0xffff8000
	v_cmp_lt_i32_e64 s[8:9], -1, v15
	v_cndmask_b32_e64 v15, -1, v20, s[8:9]
	v_cmp_lt_i32_e64 s[8:9], -1, v16
	v_cndmask_b32_e64 v16, -1, v20, s[8:9]
	s_mov_b32 s8, 0x5040100
	v_perm_b32 v15, v16, v15, s8
	v_xor_b32_e32 v15, v15, v19
	v_cmp_le_u16_sdwa s[8:9], v15, v15 src0_sel:DWORD src1_sel:WORD_1
	s_and_b64 s[40:41], s[8:9], exec
.LBB1960_364:
	s_or_b64 exec, exec, s[26:27]
	s_orn2_b64 s[26:27], s[40:41], exec
.LBB1960_365:
	s_or_b64 exec, exec, s[28:29]
	v_cndmask_b32_e64 v15, v17, v18, s[26:27]
	v_cndmask_b32_e64 v16, v30, v29, s[26:27]
	v_add_u32_e32 v20, 1, v15
	v_add_u32_e32 v16, -1, v16
	v_min_u32_e32 v16, v20, v16
	v_lshl_add_u32 v16, v16, 1, v14
	ds_read_u16 v19, v16
	v_lshl_add_u32 v15, v15, 3, v8
	ds_read_b64 v[15:16], v15 offset:4096
	s_mov_b64 s[40:41], -1
	s_mov_b64 s[28:29], -1
	s_waitcnt lgkmcnt(1)
	v_cndmask_b32_e64 v25, v19, v49, s[26:27]
	v_cndmask_b32_e64 v26, v52, v19, s[26:27]
	;; [unrolled: 1-line block ×4, first 2 shown]
	v_cmp_lt_u32_e64 s[8:9], v19, v30
	s_and_saveexec_b64 s[42:43], s[8:9]
	s_cbranch_execz .LBB1960_377
; %bb.366:
	v_cmp_lt_u32_e64 s[8:9], v20, v29
	s_mov_b64 s[44:45], 0
	s_and_saveexec_b64 s[28:29], s[8:9]
	s_cbranch_execz .LBB1960_376
; %bb.367:
	v_lshlrev_b32_e32 v17, 16, v25
	v_add_f32_e32 v18, 0, v17
	s_mov_b32 s8, 0x7f800000
	v_and_b32_e32 v17, 0x7f800000, v18
	v_cmp_ne_u32_e64 s[8:9], s8, v17
                                        ; implicit-def: $vgpr17
	s_and_saveexec_b64 s[44:45], s[8:9]
	s_xor_b64 s[8:9], exec, s[44:45]
; %bb.368:
	v_bfe_u32 v17, v18, 16, 1
	s_movk_i32 s44, 0x7fff
	v_add3_u32 v17, v18, v17, s44
                                        ; implicit-def: $vgpr18
; %bb.369:
	s_andn2_saveexec_b64 s[44:45], s[8:9]
; %bb.370:
	v_mov_b32_e32 v17, 0
	v_or_b32_e32 v21, 0x10000, v18
	v_cmp_eq_u32_sdwa s[8:9], v18, v17 src0_sel:WORD_0 src1_sel:DWORD
	v_cndmask_b32_e64 v17, v21, v18, s[8:9]
; %bb.371:
	s_or_b64 exec, exec, s[44:45]
	v_lshlrev_b32_e32 v18, 16, v26
	v_add_f32_e32 v21, 0, v18
	s_mov_b32 s8, 0x7f800000
	v_and_b32_e32 v18, 0x7f800000, v21
	v_cmp_ne_u32_e64 s[8:9], s8, v18
                                        ; implicit-def: $vgpr18
	s_and_saveexec_b64 s[44:45], s[8:9]
	s_xor_b64 s[8:9], exec, s[44:45]
; %bb.372:
	v_bfe_u32 v18, v21, 16, 1
	s_movk_i32 s44, 0x7fff
	v_add3_u32 v18, v21, v18, s44
                                        ; implicit-def: $vgpr21
; %bb.373:
	s_andn2_saveexec_b64 s[44:45], s[8:9]
; %bb.374:
	v_mov_b32_e32 v18, 0
	v_or_b32_e32 v22, 0x10000, v21
	v_cmp_eq_u32_sdwa s[8:9], v21, v18 src0_sel:WORD_0 src1_sel:DWORD
	v_cndmask_b32_e64 v18, v22, v21, s[8:9]
; %bb.375:
	s_or_b64 exec, exec, s[44:45]
	s_mov_b32 s8, 0x7060302
	v_perm_b32 v21, v18, v17, s8
	v_mov_b32_e32 v22, 0xffff8000
	v_cmp_lt_i32_e64 s[8:9], -1, v17
	v_cndmask_b32_e64 v17, -1, v22, s[8:9]
	v_cmp_lt_i32_e64 s[8:9], -1, v18
	v_cndmask_b32_e64 v18, -1, v22, s[8:9]
	s_mov_b32 s8, 0x5040100
	v_perm_b32 v17, v18, v17, s8
	v_xor_b32_e32 v17, v17, v21
	v_cmp_le_u16_sdwa s[8:9], v17, v17 src0_sel:DWORD src1_sel:WORD_1
	s_and_b64 s[44:45], s[8:9], exec
.LBB1960_376:
	s_or_b64 exec, exec, s[28:29]
	s_orn2_b64 s[28:29], s[44:45], exec
.LBB1960_377:
	s_or_b64 exec, exec, s[42:43]
	v_cndmask_b32_e64 v17, v19, v20, s[28:29]
	v_cndmask_b32_e64 v18, v30, v29, s[28:29]
	v_add_u32_e32 v22, 1, v17
	v_add_u32_e32 v18, -1, v18
	v_min_u32_e32 v18, v22, v18
	v_lshl_add_u32 v18, v18, 1, v14
	ds_read_u16 v21, v18
	v_lshl_add_u32 v17, v17, 3, v8
	ds_read_b64 v[17:18], v17 offset:4096
	s_waitcnt lgkmcnt(1)
	v_cndmask_b32_e64 v39, v21, v25, s[28:29]
	v_cndmask_b32_e64 v51, v26, v21, s[28:29]
	;; [unrolled: 1-line block ×4, first 2 shown]
	v_cmp_lt_u32_e64 s[8:9], v21, v30
	s_and_saveexec_b64 s[42:43], s[8:9]
	s_cbranch_execz .LBB1960_389
; %bb.378:
	v_cmp_lt_u32_e64 s[8:9], v22, v29
	s_mov_b64 s[44:45], 0
	s_and_saveexec_b64 s[40:41], s[8:9]
	s_cbranch_execz .LBB1960_388
; %bb.379:
	v_lshlrev_b32_e32 v19, 16, v39
	v_add_f32_e32 v20, 0, v19
	s_mov_b32 s8, 0x7f800000
	v_and_b32_e32 v19, 0x7f800000, v20
	v_cmp_ne_u32_e64 s[8:9], s8, v19
                                        ; implicit-def: $vgpr19
	s_and_saveexec_b64 s[44:45], s[8:9]
	s_xor_b64 s[8:9], exec, s[44:45]
; %bb.380:
	v_bfe_u32 v19, v20, 16, 1
	s_movk_i32 s44, 0x7fff
	v_add3_u32 v19, v20, v19, s44
                                        ; implicit-def: $vgpr20
; %bb.381:
	s_andn2_saveexec_b64 s[44:45], s[8:9]
; %bb.382:
	v_mov_b32_e32 v19, 0
	v_or_b32_e32 v23, 0x10000, v20
	v_cmp_eq_u32_sdwa s[8:9], v20, v19 src0_sel:WORD_0 src1_sel:DWORD
	v_cndmask_b32_e64 v19, v23, v20, s[8:9]
; %bb.383:
	s_or_b64 exec, exec, s[44:45]
	v_lshlrev_b32_e32 v20, 16, v51
	v_add_f32_e32 v23, 0, v20
	s_mov_b32 s8, 0x7f800000
	v_and_b32_e32 v20, 0x7f800000, v23
	v_cmp_ne_u32_e64 s[8:9], s8, v20
                                        ; implicit-def: $vgpr20
	s_and_saveexec_b64 s[44:45], s[8:9]
	s_xor_b64 s[8:9], exec, s[44:45]
; %bb.384:
	v_bfe_u32 v20, v23, 16, 1
	s_movk_i32 s44, 0x7fff
	v_add3_u32 v20, v23, v20, s44
                                        ; implicit-def: $vgpr23
; %bb.385:
	s_andn2_saveexec_b64 s[44:45], s[8:9]
; %bb.386:
	v_mov_b32_e32 v20, 0
	v_or_b32_e32 v24, 0x10000, v23
	v_cmp_eq_u32_sdwa s[8:9], v23, v20 src0_sel:WORD_0 src1_sel:DWORD
	v_cndmask_b32_e64 v20, v24, v23, s[8:9]
; %bb.387:
	s_or_b64 exec, exec, s[44:45]
	s_mov_b32 s8, 0x7060302
	v_perm_b32 v23, v20, v19, s8
	v_mov_b32_e32 v24, 0xffff8000
	v_cmp_lt_i32_e64 s[8:9], -1, v19
	v_cndmask_b32_e64 v19, -1, v24, s[8:9]
	v_cmp_lt_i32_e64 s[8:9], -1, v20
	v_cndmask_b32_e64 v20, -1, v24, s[8:9]
	s_mov_b32 s8, 0x5040100
	v_perm_b32 v19, v20, v19, s8
	v_xor_b32_e32 v19, v19, v23
	v_cmp_le_u16_sdwa s[8:9], v19, v19 src0_sel:DWORD src1_sel:WORD_1
	s_and_b64 s[44:45], s[8:9], exec
.LBB1960_388:
	s_or_b64 exec, exec, s[40:41]
	s_orn2_b64 s[40:41], s[44:45], exec
.LBB1960_389:
	s_or_b64 exec, exec, s[42:43]
	v_cndmask_b32_e64 v19, v21, v22, s[40:41]
	v_cndmask_b32_e64 v20, v30, v29, s[40:41]
	v_add_u32_e32 v23, 1, v19
	v_add_u32_e32 v20, -1, v20
	v_min_u32_e32 v20, v23, v20
	v_lshl_add_u32 v20, v20, 1, v14
	ds_read_u16 v24, v20
	v_lshl_add_u32 v19, v19, 3, v8
	ds_read_b64 v[19:20], v19 offset:4096
	v_cndmask_b32_e64 v21, v23, v21, s[40:41]
	v_cndmask_b32_e64 v22, v22, v23, s[40:41]
	s_waitcnt lgkmcnt(1)
	v_cndmask_b32_e64 v38, v24, v39, s[40:41]
	v_cndmask_b32_e64 v53, v51, v24, s[40:41]
	v_cmp_lt_u32_e64 s[8:9], v21, v30
	s_mov_b64 s[44:45], -1
	s_mov_b64 s[42:43], -1
	s_and_saveexec_b64 s[46:47], s[8:9]
	s_cbranch_execz .LBB1960_401
; %bb.390:
	v_cmp_lt_u32_e64 s[8:9], v22, v29
	s_mov_b64 s[56:57], 0
	s_and_saveexec_b64 s[42:43], s[8:9]
	s_cbranch_execz .LBB1960_400
; %bb.391:
	v_lshlrev_b32_e32 v23, 16, v38
	v_add_f32_e32 v24, 0, v23
	s_mov_b32 s8, 0x7f800000
	v_and_b32_e32 v23, 0x7f800000, v24
	v_cmp_ne_u32_e64 s[8:9], s8, v23
                                        ; implicit-def: $vgpr23
	s_and_saveexec_b64 s[56:57], s[8:9]
	s_xor_b64 s[8:9], exec, s[56:57]
; %bb.392:
	v_bfe_u32 v23, v24, 16, 1
	s_movk_i32 s56, 0x7fff
	v_add3_u32 v23, v24, v23, s56
                                        ; implicit-def: $vgpr24
; %bb.393:
	s_andn2_saveexec_b64 s[56:57], s[8:9]
; %bb.394:
	v_mov_b32_e32 v23, 0
	v_or_b32_e32 v50, 0x10000, v24
	v_cmp_eq_u32_sdwa s[8:9], v24, v23 src0_sel:WORD_0 src1_sel:DWORD
	v_cndmask_b32_e64 v23, v50, v24, s[8:9]
; %bb.395:
	s_or_b64 exec, exec, s[56:57]
	v_lshlrev_b32_e32 v24, 16, v53
	v_add_f32_e32 v50, 0, v24
	s_mov_b32 s8, 0x7f800000
	v_and_b32_e32 v24, 0x7f800000, v50
	v_cmp_ne_u32_e64 s[8:9], s8, v24
                                        ; implicit-def: $vgpr24
	s_and_saveexec_b64 s[56:57], s[8:9]
	s_xor_b64 s[8:9], exec, s[56:57]
; %bb.396:
	v_bfe_u32 v24, v50, 16, 1
	s_movk_i32 s56, 0x7fff
	v_add3_u32 v24, v50, v24, s56
                                        ; implicit-def: $vgpr50
; %bb.397:
	s_andn2_saveexec_b64 s[56:57], s[8:9]
; %bb.398:
	v_mov_b32_e32 v24, 0
	v_or_b32_e32 v54, 0x10000, v50
	v_cmp_eq_u32_sdwa s[8:9], v50, v24 src0_sel:WORD_0 src1_sel:DWORD
	v_cndmask_b32_e64 v24, v54, v50, s[8:9]
; %bb.399:
	s_or_b64 exec, exec, s[56:57]
	s_mov_b32 s8, 0x7060302
	v_perm_b32 v50, v24, v23, s8
	v_mov_b32_e32 v54, 0xffff8000
	v_cmp_lt_i32_e64 s[8:9], -1, v23
	v_cndmask_b32_e64 v23, -1, v54, s[8:9]
	v_cmp_lt_i32_e64 s[8:9], -1, v24
	v_cndmask_b32_e64 v24, -1, v54, s[8:9]
	s_mov_b32 s8, 0x5040100
	v_perm_b32 v23, v24, v23, s8
	v_xor_b32_e32 v23, v23, v50
	v_cmp_le_u16_sdwa s[8:9], v23, v23 src0_sel:DWORD src1_sel:WORD_1
	s_and_b64 s[56:57], s[8:9], exec
.LBB1960_400:
	s_or_b64 exec, exec, s[42:43]
	s_orn2_b64 s[42:43], s[56:57], exec
.LBB1960_401:
	s_or_b64 exec, exec, s[46:47]
	v_cndmask_b32_e64 v23, v21, v22, s[42:43]
	v_cndmask_b32_e64 v24, v30, v29, s[42:43]
	v_add_u32_e32 v55, 1, v23
	v_add_u32_e32 v24, -1, v24
	v_min_u32_e32 v24, v55, v24
	v_lshl_add_u32 v24, v24, 1, v14
	ds_read_u16 v54, v24
	v_lshl_add_u32 v23, v23, 3, v8
	ds_read_b64 v[23:24], v23 offset:4096
	v_cndmask_b32_e64 v65, v55, v21, s[42:43]
	v_cndmask_b32_e64 v66, v22, v55, s[42:43]
	s_waitcnt lgkmcnt(1)
	v_cndmask_b32_e64 v50, v54, v38, s[42:43]
	v_cndmask_b32_e64 v54, v53, v54, s[42:43]
	v_cmp_lt_u32_e64 s[8:9], v65, v30
	s_and_saveexec_b64 s[46:47], s[8:9]
	s_cbranch_execz .LBB1960_413
; %bb.402:
	v_cmp_lt_u32_e64 s[8:9], v66, v29
	s_mov_b64 s[56:57], 0
	s_and_saveexec_b64 s[44:45], s[8:9]
	s_cbranch_execz .LBB1960_412
; %bb.403:
	v_lshlrev_b32_e32 v21, 16, v50
	v_add_f32_e32 v22, 0, v21
	s_mov_b32 s8, 0x7f800000
	v_and_b32_e32 v21, 0x7f800000, v22
	v_cmp_ne_u32_e64 s[8:9], s8, v21
                                        ; implicit-def: $vgpr21
	s_and_saveexec_b64 s[56:57], s[8:9]
	s_xor_b64 s[8:9], exec, s[56:57]
; %bb.404:
	v_bfe_u32 v21, v22, 16, 1
	s_movk_i32 s56, 0x7fff
	v_add3_u32 v21, v22, v21, s56
                                        ; implicit-def: $vgpr22
; %bb.405:
	s_andn2_saveexec_b64 s[56:57], s[8:9]
; %bb.406:
	v_mov_b32_e32 v21, 0
	v_or_b32_e32 v55, 0x10000, v22
	v_cmp_eq_u32_sdwa s[8:9], v22, v21 src0_sel:WORD_0 src1_sel:DWORD
	v_cndmask_b32_e64 v21, v55, v22, s[8:9]
; %bb.407:
	s_or_b64 exec, exec, s[56:57]
	v_lshlrev_b32_e32 v22, 16, v54
	v_add_f32_e32 v55, 0, v22
	s_mov_b32 s8, 0x7f800000
	v_and_b32_e32 v22, 0x7f800000, v55
	v_cmp_ne_u32_e64 s[8:9], s8, v22
                                        ; implicit-def: $vgpr22
	s_and_saveexec_b64 s[56:57], s[8:9]
	s_xor_b64 s[8:9], exec, s[56:57]
; %bb.408:
	v_bfe_u32 v22, v55, 16, 1
	s_movk_i32 s56, 0x7fff
	v_add3_u32 v22, v55, v22, s56
                                        ; implicit-def: $vgpr55
; %bb.409:
	s_andn2_saveexec_b64 s[56:57], s[8:9]
; %bb.410:
	v_mov_b32_e32 v22, 0
	v_or_b32_e32 v64, 0x10000, v55
	v_cmp_eq_u32_sdwa s[8:9], v55, v22 src0_sel:WORD_0 src1_sel:DWORD
	v_cndmask_b32_e64 v22, v64, v55, s[8:9]
; %bb.411:
	s_or_b64 exec, exec, s[56:57]
	s_mov_b32 s8, 0x7060302
	v_perm_b32 v55, v22, v21, s8
	v_mov_b32_e32 v64, 0xffff8000
	v_cmp_lt_i32_e64 s[8:9], -1, v21
	v_cndmask_b32_e64 v21, -1, v64, s[8:9]
	v_cmp_lt_i32_e64 s[8:9], -1, v22
	v_cndmask_b32_e64 v22, -1, v64, s[8:9]
	s_mov_b32 s8, 0x5040100
	v_perm_b32 v21, v22, v21, s8
	v_xor_b32_e32 v21, v21, v55
	v_cmp_le_u16_sdwa s[8:9], v21, v21 src0_sel:DWORD src1_sel:WORD_1
	s_and_b64 s[56:57], s[8:9], exec
.LBB1960_412:
	s_or_b64 exec, exec, s[44:45]
	s_orn2_b64 s[44:45], s[56:57], exec
.LBB1960_413:
	s_or_b64 exec, exec, s[46:47]
	v_cndmask_b32_e64 v21, v65, v66, s[44:45]
	v_cndmask_b32_e64 v22, v30, v29, s[44:45]
	v_add_u32_e32 v67, 1, v21
	v_add_u32_e32 v22, -1, v22
	v_min_u32_e32 v22, v67, v22
	v_lshl_add_u32 v22, v22, 1, v14
	ds_read_u16 v64, v22
	v_lshl_add_u32 v21, v21, 3, v8
	ds_read_b64 v[21:22], v21 offset:4096
	v_cndmask_b32_e64 v65, v67, v65, s[44:45]
	v_cndmask_b32_e64 v66, v66, v67, s[44:45]
	s_waitcnt lgkmcnt(1)
	v_cndmask_b32_e64 v55, v64, v50, s[44:45]
	v_cndmask_b32_e64 v64, v54, v64, s[44:45]
	v_cmp_lt_u32_e64 s[8:9], v65, v30
	s_mov_b64 s[56:57], -1
	s_and_saveexec_b64 s[46:47], s[8:9]
	s_cbranch_execz .LBB1960_425
; %bb.414:
	v_cmp_lt_u32_e64 s[8:9], v66, v29
	s_mov_b64 s[58:59], 0
	s_and_saveexec_b64 s[56:57], s[8:9]
	s_cbranch_execz .LBB1960_424
; %bb.415:
	v_lshlrev_b32_e32 v29, 16, v55
	v_add_f32_e32 v30, 0, v29
	s_mov_b32 s8, 0x7f800000
	v_and_b32_e32 v29, 0x7f800000, v30
	v_cmp_ne_u32_e64 s[8:9], s8, v29
                                        ; implicit-def: $vgpr29
	s_and_saveexec_b64 s[58:59], s[8:9]
	s_xor_b64 s[8:9], exec, s[58:59]
; %bb.416:
	v_bfe_u32 v29, v30, 16, 1
	s_movk_i32 s58, 0x7fff
	v_add3_u32 v29, v30, v29, s58
                                        ; implicit-def: $vgpr30
; %bb.417:
	s_andn2_saveexec_b64 s[58:59], s[8:9]
; %bb.418:
	v_mov_b32_e32 v29, 0
	v_or_b32_e32 v67, 0x10000, v30
	v_cmp_eq_u32_sdwa s[8:9], v30, v29 src0_sel:WORD_0 src1_sel:DWORD
	v_cndmask_b32_e64 v29, v67, v30, s[8:9]
; %bb.419:
	s_or_b64 exec, exec, s[58:59]
	v_lshlrev_b32_e32 v30, 16, v64
	v_add_f32_e32 v67, 0, v30
	s_mov_b32 s8, 0x7f800000
	v_and_b32_e32 v30, 0x7f800000, v67
	v_cmp_ne_u32_e64 s[8:9], s8, v30
                                        ; implicit-def: $vgpr30
	s_and_saveexec_b64 s[58:59], s[8:9]
	s_xor_b64 s[8:9], exec, s[58:59]
; %bb.420:
	v_bfe_u32 v30, v67, 16, 1
	s_movk_i32 s58, 0x7fff
	v_add3_u32 v30, v67, v30, s58
                                        ; implicit-def: $vgpr67
; %bb.421:
	s_andn2_saveexec_b64 s[58:59], s[8:9]
; %bb.422:
	v_mov_b32_e32 v30, 0
	v_or_b32_e32 v68, 0x10000, v67
	v_cmp_eq_u32_sdwa s[8:9], v67, v30 src0_sel:WORD_0 src1_sel:DWORD
	v_cndmask_b32_e64 v30, v68, v67, s[8:9]
; %bb.423:
	s_or_b64 exec, exec, s[58:59]
	s_mov_b32 s8, 0x7060302
	v_perm_b32 v67, v30, v29, s8
	v_mov_b32_e32 v68, 0xffff8000
	v_cmp_lt_i32_e64 s[8:9], -1, v29
	v_cndmask_b32_e64 v29, -1, v68, s[8:9]
	v_cmp_lt_i32_e64 s[8:9], -1, v30
	v_cndmask_b32_e64 v30, -1, v68, s[8:9]
	s_mov_b32 s8, 0x5040100
	v_perm_b32 v29, v30, v29, s8
	v_xor_b32_e32 v29, v29, v67
	v_cmp_le_u16_sdwa s[8:9], v29, v29 src0_sel:DWORD src1_sel:WORD_1
	s_and_b64 s[58:59], s[8:9], exec
.LBB1960_424:
	s_or_b64 exec, exec, s[56:57]
	s_orn2_b64 s[56:57], s[58:59], exec
.LBB1960_425:
	s_or_b64 exec, exec, s[46:47]
	v_cndmask_b32_e64 v39, v39, v51, s[40:41]
	v_cndmask_b32_e64 v51, v25, v26, s[28:29]
	;; [unrolled: 1-line block ×3, first 2 shown]
	v_lshl_add_u32 v25, v25, 3, v8
	ds_read_b64 v[25:26], v25 offset:4096
	v_cndmask_b32_e64 v50, v50, v54, s[44:45]
	v_cndmask_b32_e64 v38, v38, v53, s[42:43]
	;; [unrolled: 1-line block ×6, first 2 shown]
.LBB1960_426:
	s_or_b64 exec, exec, s[22:23]
	v_add_u32_e32 v29, 0x1000, v28
	; wave barrier
	ds_write2_b64 v29, v[4:5], v[12:13] offset1:1
	v_add_u32_e32 v29, 0x1010, v28
	ds_write2_b64 v29, v[15:16], v[17:18] offset1:1
	v_add_u32_e32 v29, 0x1020, v28
	s_mov_b32 s8, 0x5040100
	ds_write2_b64 v29, v[19:20], v[23:24] offset1:1
	v_add_u32_e32 v31, 0x1030, v28
	v_perm_b32 v30, v37, v50, s8
	v_perm_b32 v29, v38, v39, s8
	;; [unrolled: 1-line block ×4, first 2 shown]
	ds_write2_b64 v27, v[52:53], v[29:30] offset1:1
	s_waitcnt lgkmcnt(4)
	ds_write2_b64 v31, v[21:22], v[25:26] offset1:1
	v_and_b32_e32 v31, 0x3e0, v35
	v_or_b32_e32 v29, 16, v31
	v_min_u32_e32 v29, v9, v29
	v_add_u32_e32 v30, 16, v29
	v_min_u32_e32 v30, v9, v30
	v_and_b32_e32 v52, 24, v35
	v_min_u32_e32 v53, v9, v52
	v_sub_u32_e32 v52, v29, v31
	v_sub_u32_e32 v55, v30, v29
	v_sub_u32_e64 v55, v53, v55 clamp
	v_min_u32_e32 v52, v53, v52
	v_lshl_add_u32 v54, v31, 1, v14
	v_cmp_lt_u32_e64 s[8:9], v55, v52
	; wave barrier
	s_and_saveexec_b64 s[12:13], s[8:9]
	s_cbranch_execz .LBB1960_438
; %bb.427:
	v_lshlrev_b32_e32 v64, 1, v29
	v_lshlrev_b32_e32 v65, 1, v53
	v_add3_u32 v64, v14, v64, v65
	s_mov_b64 s[22:23], 0
	s_mov_b32 s26, 0x7f800000
	s_movk_i32 s27, 0x7fff
	v_mov_b32_e32 v65, 0
	v_mov_b32_e32 v66, 0xffff8000
	s_branch .LBB1960_429
.LBB1960_428:                           ;   in Loop: Header=BB1960_429 Depth=1
	s_or_b64 exec, exec, s[24:25]
	v_cmp_lt_i32_e64 s[8:9], -1, v68
	v_cndmask_b32_e64 v70, -1, v66, s[8:9]
	v_cmp_lt_i32_e64 s[8:9], -1, v69
	v_xor_b32_sdwa v68, v70, v68 dst_sel:DWORD dst_unused:UNUSED_PAD src0_sel:DWORD src1_sel:WORD_1
	v_cndmask_b32_e64 v70, -1, v66, s[8:9]
	v_xor_b32_sdwa v69, v70, v69 dst_sel:DWORD dst_unused:UNUSED_PAD src0_sel:DWORD src1_sel:WORD_1
	v_add_u32_e32 v70, 1, v67
	v_cmp_gt_u16_e64 s[8:9], v68, v69
	v_cndmask_b32_e64 v52, v52, v67, s[8:9]
	v_cndmask_b32_e64 v55, v70, v55, s[8:9]
	v_cmp_ge_u32_e64 s[8:9], v55, v52
	s_or_b64 s[22:23], s[8:9], s[22:23]
	s_andn2_b64 exec, exec, s[22:23]
	s_cbranch_execz .LBB1960_437
.LBB1960_429:                           ; =>This Inner Loop Header: Depth=1
	v_add_u32_e32 v68, v52, v55
	v_lshrrev_b32_e32 v67, 1, v68
	v_not_b32_e32 v69, v67
	v_lshl_add_u32 v69, v69, 1, v64
	ds_read_u16 v70, v69
	v_and_b32_e32 v68, -2, v68
	v_add_u32_e32 v68, v54, v68
	ds_read_u16 v69, v68
	s_waitcnt lgkmcnt(1)
	v_lshlrev_b32_e32 v68, 16, v70
	v_add_f32_e32 v70, 0, v68
	v_and_b32_e32 v68, 0x7f800000, v70
	v_cmp_ne_u32_e64 s[8:9], s26, v68
                                        ; implicit-def: $vgpr68
	s_and_saveexec_b64 s[24:25], s[8:9]
	s_xor_b64 s[8:9], exec, s[24:25]
; %bb.430:                              ;   in Loop: Header=BB1960_429 Depth=1
	v_bfe_u32 v68, v70, 16, 1
	v_add3_u32 v68, v70, v68, s27
                                        ; implicit-def: $vgpr70
; %bb.431:                              ;   in Loop: Header=BB1960_429 Depth=1
	s_andn2_saveexec_b64 s[24:25], s[8:9]
; %bb.432:                              ;   in Loop: Header=BB1960_429 Depth=1
	v_or_b32_e32 v68, 0x10000, v70
	v_cmp_eq_u32_sdwa s[8:9], v70, v65 src0_sel:WORD_0 src1_sel:DWORD
	v_cndmask_b32_e64 v68, v68, v70, s[8:9]
; %bb.433:                              ;   in Loop: Header=BB1960_429 Depth=1
	s_or_b64 exec, exec, s[24:25]
	s_waitcnt lgkmcnt(0)
	v_lshlrev_b32_e32 v69, 16, v69
	v_add_f32_e32 v70, 0, v69
	v_and_b32_e32 v69, 0x7f800000, v70
	v_cmp_ne_u32_e64 s[8:9], s26, v69
                                        ; implicit-def: $vgpr69
	s_and_saveexec_b64 s[24:25], s[8:9]
	s_xor_b64 s[8:9], exec, s[24:25]
; %bb.434:                              ;   in Loop: Header=BB1960_429 Depth=1
	v_bfe_u32 v69, v70, 16, 1
	v_add3_u32 v69, v70, v69, s27
                                        ; implicit-def: $vgpr70
; %bb.435:                              ;   in Loop: Header=BB1960_429 Depth=1
	s_andn2_saveexec_b64 s[24:25], s[8:9]
	s_cbranch_execz .LBB1960_428
; %bb.436:                              ;   in Loop: Header=BB1960_429 Depth=1
	v_or_b32_e32 v69, 0x10000, v70
	v_cmp_eq_u32_sdwa s[8:9], v70, v65 src0_sel:WORD_0 src1_sel:DWORD
	v_cndmask_b32_e64 v69, v69, v70, s[8:9]
	s_branch .LBB1960_428
.LBB1960_437:
	s_or_b64 exec, exec, s[22:23]
.LBB1960_438:
	s_or_b64 exec, exec, s[12:13]
	v_add_u32_e32 v52, v55, v31
	v_add_u32_e32 v31, v29, v53
	v_sub_u32_e32 v53, v31, v55
	v_cmp_le_u32_e64 s[8:9], v52, v29
	v_cmp_le_u32_e64 s[12:13], v53, v30
	s_or_b64 s[8:9], s[8:9], s[12:13]
	s_and_saveexec_b64 s[22:23], s[8:9]
	s_cbranch_execz .LBB1960_538
; %bb.439:
	v_cmp_ge_u32_e64 s[8:9], v52, v29
	v_cmp_lt_u32_e64 s[12:13], v52, v29
                                        ; implicit-def: $vgpr31
	s_and_saveexec_b64 s[24:25], s[12:13]
; %bb.440:
	v_lshl_add_u32 v4, v55, 1, v54
	ds_read_u16 v31, v4
; %bb.441:
	s_or_b64 exec, exec, s[24:25]
	v_cmp_ge_u32_e64 s[24:25], v53, v30
	v_cmp_lt_u32_e64 s[12:13], v53, v30
                                        ; implicit-def: $vgpr36
	s_and_saveexec_b64 s[26:27], s[12:13]
; %bb.442:
	v_lshl_add_u32 v4, v53, 1, v14
	ds_read_u16 v36, v4
; %bb.443:
	s_or_b64 exec, exec, s[26:27]
	s_nor_b64 s[8:9], s[8:9], s[24:25]
	s_and_saveexec_b64 s[12:13], s[8:9]
	s_cbranch_execz .LBB1960_453
; %bb.444:
	s_waitcnt lgkmcnt(0)
	v_lshlrev_b32_e32 v4, 16, v36
	v_add_f32_e32 v5, 0, v4
	s_mov_b32 s8, 0x7f800000
	v_and_b32_e32 v4, 0x7f800000, v5
	v_cmp_ne_u32_e64 s[8:9], s8, v4
                                        ; implicit-def: $vgpr4
	s_and_saveexec_b64 s[26:27], s[8:9]
	s_xor_b64 s[8:9], exec, s[26:27]
; %bb.445:
	v_bfe_u32 v4, v5, 16, 1
	s_movk_i32 s26, 0x7fff
	v_add3_u32 v4, v5, v4, s26
                                        ; implicit-def: $vgpr5
; %bb.446:
	s_andn2_saveexec_b64 s[26:27], s[8:9]
; %bb.447:
	v_mov_b32_e32 v4, 0
	v_or_b32_e32 v12, 0x10000, v5
	v_cmp_eq_u32_sdwa s[8:9], v5, v4 src0_sel:WORD_0 src1_sel:DWORD
	v_cndmask_b32_e64 v4, v12, v5, s[8:9]
; %bb.448:
	s_or_b64 exec, exec, s[26:27]
	v_lshlrev_b32_e32 v5, 16, v31
	v_add_f32_e32 v12, 0, v5
	s_mov_b32 s8, 0x7f800000
	v_and_b32_e32 v5, 0x7f800000, v12
	v_cmp_ne_u32_e64 s[8:9], s8, v5
                                        ; implicit-def: $vgpr5
	s_and_saveexec_b64 s[26:27], s[8:9]
	s_xor_b64 s[8:9], exec, s[26:27]
; %bb.449:
	v_bfe_u32 v5, v12, 16, 1
	s_movk_i32 s26, 0x7fff
	v_add3_u32 v5, v12, v5, s26
                                        ; implicit-def: $vgpr12
; %bb.450:
	s_andn2_saveexec_b64 s[26:27], s[8:9]
; %bb.451:
	v_mov_b32_e32 v5, 0
	v_or_b32_e32 v13, 0x10000, v12
	v_cmp_eq_u32_sdwa s[8:9], v12, v5 src0_sel:WORD_0 src1_sel:DWORD
	v_cndmask_b32_e64 v5, v13, v12, s[8:9]
; %bb.452:
	s_or_b64 exec, exec, s[26:27]
	s_mov_b32 s8, 0x7060302
	v_perm_b32 v12, v5, v4, s8
	v_mov_b32_e32 v13, 0xffff8000
	v_cmp_lt_i32_e64 s[8:9], -1, v4
	v_cndmask_b32_e64 v4, -1, v13, s[8:9]
	v_cmp_lt_i32_e64 s[8:9], -1, v5
	v_cndmask_b32_e64 v5, -1, v13, s[8:9]
	s_mov_b32 s8, 0x5040100
	v_perm_b32 v4, v5, v4, s8
	v_xor_b32_e32 v4, v4, v12
	v_cmp_le_u16_sdwa s[8:9], v4, v4 src0_sel:DWORD src1_sel:WORD_1
	s_andn2_b64 s[24:25], s[24:25], exec
	s_and_b64 s[8:9], s[8:9], exec
	s_or_b64 s[24:25], s[24:25], s[8:9]
.LBB1960_453:
	s_or_b64 exec, exec, s[12:13]
	v_cndmask_b32_e64 v4, v53, v52, s[24:25]
	v_cndmask_b32_e64 v5, v30, v29, s[24:25]
	v_add_u32_e32 v12, 1, v4
	v_add_u32_e32 v5, -1, v5
	v_min_u32_e32 v5, v12, v5
	v_lshl_add_u32 v5, v5, 1, v14
	ds_read_u16 v13, v5
	v_lshl_add_u32 v4, v4, 3, v8
	ds_read_b64 v[4:5], v4 offset:4096
	v_cndmask_b32_e64 v15, v12, v53, s[24:25]
	v_cndmask_b32_e64 v16, v52, v12, s[24:25]
	s_waitcnt lgkmcnt(1)
	v_cndmask_b32_e64 v37, v13, v36, s[24:25]
	v_cndmask_b32_e64 v48, v31, v13, s[24:25]
	v_cmp_lt_u32_e64 s[8:9], v15, v30
	s_mov_b64 s[26:27], -1
	s_mov_b64 s[12:13], -1
	s_and_saveexec_b64 s[28:29], s[8:9]
	s_cbranch_execz .LBB1960_465
; %bb.454:
	v_cmp_lt_u32_e64 s[8:9], v16, v29
	s_mov_b64 s[40:41], 0
	s_and_saveexec_b64 s[12:13], s[8:9]
	s_cbranch_execz .LBB1960_464
; %bb.455:
	v_lshlrev_b32_e32 v12, 16, v37
	v_add_f32_e32 v13, 0, v12
	s_mov_b32 s8, 0x7f800000
	v_and_b32_e32 v12, 0x7f800000, v13
	v_cmp_ne_u32_e64 s[8:9], s8, v12
                                        ; implicit-def: $vgpr12
	s_and_saveexec_b64 s[40:41], s[8:9]
	s_xor_b64 s[8:9], exec, s[40:41]
; %bb.456:
	v_bfe_u32 v12, v13, 16, 1
	s_movk_i32 s40, 0x7fff
	v_add3_u32 v12, v13, v12, s40
                                        ; implicit-def: $vgpr13
; %bb.457:
	s_andn2_saveexec_b64 s[40:41], s[8:9]
; %bb.458:
	v_mov_b32_e32 v12, 0
	v_or_b32_e32 v17, 0x10000, v13
	v_cmp_eq_u32_sdwa s[8:9], v13, v12 src0_sel:WORD_0 src1_sel:DWORD
	v_cndmask_b32_e64 v12, v17, v13, s[8:9]
; %bb.459:
	s_or_b64 exec, exec, s[40:41]
	v_lshlrev_b32_e32 v13, 16, v48
	v_add_f32_e32 v17, 0, v13
	s_mov_b32 s8, 0x7f800000
	v_and_b32_e32 v13, 0x7f800000, v17
	v_cmp_ne_u32_e64 s[8:9], s8, v13
                                        ; implicit-def: $vgpr13
	s_and_saveexec_b64 s[40:41], s[8:9]
	s_xor_b64 s[8:9], exec, s[40:41]
; %bb.460:
	v_bfe_u32 v13, v17, 16, 1
	s_movk_i32 s40, 0x7fff
	v_add3_u32 v13, v17, v13, s40
                                        ; implicit-def: $vgpr17
; %bb.461:
	s_andn2_saveexec_b64 s[40:41], s[8:9]
; %bb.462:
	v_mov_b32_e32 v13, 0
	v_or_b32_e32 v18, 0x10000, v17
	v_cmp_eq_u32_sdwa s[8:9], v17, v13 src0_sel:WORD_0 src1_sel:DWORD
	v_cndmask_b32_e64 v13, v18, v17, s[8:9]
; %bb.463:
	s_or_b64 exec, exec, s[40:41]
	s_mov_b32 s8, 0x7060302
	v_perm_b32 v17, v13, v12, s8
	v_mov_b32_e32 v18, 0xffff8000
	v_cmp_lt_i32_e64 s[8:9], -1, v12
	v_cndmask_b32_e64 v12, -1, v18, s[8:9]
	v_cmp_lt_i32_e64 s[8:9], -1, v13
	v_cndmask_b32_e64 v13, -1, v18, s[8:9]
	s_mov_b32 s8, 0x5040100
	v_perm_b32 v12, v13, v12, s8
	v_xor_b32_e32 v12, v12, v17
	v_cmp_le_u16_sdwa s[8:9], v12, v12 src0_sel:DWORD src1_sel:WORD_1
	s_and_b64 s[40:41], s[8:9], exec
.LBB1960_464:
	s_or_b64 exec, exec, s[12:13]
	s_orn2_b64 s[12:13], s[40:41], exec
.LBB1960_465:
	s_or_b64 exec, exec, s[28:29]
	v_cndmask_b32_e64 v12, v15, v16, s[12:13]
	v_cndmask_b32_e64 v13, v30, v29, s[12:13]
	v_add_u32_e32 v18, 1, v12
	v_add_u32_e32 v13, -1, v13
	v_min_u32_e32 v13, v18, v13
	v_lshl_add_u32 v13, v13, 1, v14
	ds_read_u16 v17, v13
	v_lshl_add_u32 v12, v12, 3, v8
	ds_read_b64 v[12:13], v12 offset:4096
	s_waitcnt lgkmcnt(1)
	v_cndmask_b32_e64 v49, v17, v37, s[12:13]
	v_cndmask_b32_e64 v52, v48, v17, s[12:13]
	;; [unrolled: 1-line block ×4, first 2 shown]
	v_cmp_lt_u32_e64 s[8:9], v17, v30
	s_and_saveexec_b64 s[28:29], s[8:9]
	s_cbranch_execz .LBB1960_477
; %bb.466:
	v_cmp_lt_u32_e64 s[8:9], v18, v29
	s_mov_b64 s[40:41], 0
	s_and_saveexec_b64 s[26:27], s[8:9]
	s_cbranch_execz .LBB1960_476
; %bb.467:
	v_lshlrev_b32_e32 v15, 16, v49
	v_add_f32_e32 v16, 0, v15
	s_mov_b32 s8, 0x7f800000
	v_and_b32_e32 v15, 0x7f800000, v16
	v_cmp_ne_u32_e64 s[8:9], s8, v15
                                        ; implicit-def: $vgpr15
	s_and_saveexec_b64 s[40:41], s[8:9]
	s_xor_b64 s[8:9], exec, s[40:41]
; %bb.468:
	v_bfe_u32 v15, v16, 16, 1
	s_movk_i32 s40, 0x7fff
	v_add3_u32 v15, v16, v15, s40
                                        ; implicit-def: $vgpr16
; %bb.469:
	s_andn2_saveexec_b64 s[40:41], s[8:9]
; %bb.470:
	v_mov_b32_e32 v15, 0
	v_or_b32_e32 v19, 0x10000, v16
	v_cmp_eq_u32_sdwa s[8:9], v16, v15 src0_sel:WORD_0 src1_sel:DWORD
	v_cndmask_b32_e64 v15, v19, v16, s[8:9]
; %bb.471:
	s_or_b64 exec, exec, s[40:41]
	v_lshlrev_b32_e32 v16, 16, v52
	v_add_f32_e32 v19, 0, v16
	s_mov_b32 s8, 0x7f800000
	v_and_b32_e32 v16, 0x7f800000, v19
	v_cmp_ne_u32_e64 s[8:9], s8, v16
                                        ; implicit-def: $vgpr16
	s_and_saveexec_b64 s[40:41], s[8:9]
	s_xor_b64 s[8:9], exec, s[40:41]
; %bb.472:
	v_bfe_u32 v16, v19, 16, 1
	s_movk_i32 s40, 0x7fff
	v_add3_u32 v16, v19, v16, s40
                                        ; implicit-def: $vgpr19
; %bb.473:
	s_andn2_saveexec_b64 s[40:41], s[8:9]
; %bb.474:
	v_mov_b32_e32 v16, 0
	v_or_b32_e32 v20, 0x10000, v19
	v_cmp_eq_u32_sdwa s[8:9], v19, v16 src0_sel:WORD_0 src1_sel:DWORD
	v_cndmask_b32_e64 v16, v20, v19, s[8:9]
; %bb.475:
	s_or_b64 exec, exec, s[40:41]
	s_mov_b32 s8, 0x7060302
	v_perm_b32 v19, v16, v15, s8
	v_mov_b32_e32 v20, 0xffff8000
	v_cmp_lt_i32_e64 s[8:9], -1, v15
	v_cndmask_b32_e64 v15, -1, v20, s[8:9]
	v_cmp_lt_i32_e64 s[8:9], -1, v16
	v_cndmask_b32_e64 v16, -1, v20, s[8:9]
	s_mov_b32 s8, 0x5040100
	v_perm_b32 v15, v16, v15, s8
	v_xor_b32_e32 v15, v15, v19
	v_cmp_le_u16_sdwa s[8:9], v15, v15 src0_sel:DWORD src1_sel:WORD_1
	s_and_b64 s[40:41], s[8:9], exec
.LBB1960_476:
	s_or_b64 exec, exec, s[26:27]
	s_orn2_b64 s[26:27], s[40:41], exec
.LBB1960_477:
	s_or_b64 exec, exec, s[28:29]
	v_cndmask_b32_e64 v15, v17, v18, s[26:27]
	v_cndmask_b32_e64 v16, v30, v29, s[26:27]
	v_add_u32_e32 v20, 1, v15
	v_add_u32_e32 v16, -1, v16
	v_min_u32_e32 v16, v20, v16
	v_lshl_add_u32 v16, v16, 1, v14
	ds_read_u16 v19, v16
	v_lshl_add_u32 v15, v15, 3, v8
	ds_read_b64 v[15:16], v15 offset:4096
	s_mov_b64 s[40:41], -1
	s_mov_b64 s[28:29], -1
	s_waitcnt lgkmcnt(1)
	v_cndmask_b32_e64 v25, v19, v49, s[26:27]
	v_cndmask_b32_e64 v26, v52, v19, s[26:27]
	;; [unrolled: 1-line block ×4, first 2 shown]
	v_cmp_lt_u32_e64 s[8:9], v19, v30
	s_and_saveexec_b64 s[42:43], s[8:9]
	s_cbranch_execz .LBB1960_489
; %bb.478:
	v_cmp_lt_u32_e64 s[8:9], v20, v29
	s_mov_b64 s[44:45], 0
	s_and_saveexec_b64 s[28:29], s[8:9]
	s_cbranch_execz .LBB1960_488
; %bb.479:
	v_lshlrev_b32_e32 v17, 16, v25
	v_add_f32_e32 v18, 0, v17
	s_mov_b32 s8, 0x7f800000
	v_and_b32_e32 v17, 0x7f800000, v18
	v_cmp_ne_u32_e64 s[8:9], s8, v17
                                        ; implicit-def: $vgpr17
	s_and_saveexec_b64 s[44:45], s[8:9]
	s_xor_b64 s[8:9], exec, s[44:45]
; %bb.480:
	v_bfe_u32 v17, v18, 16, 1
	s_movk_i32 s44, 0x7fff
	v_add3_u32 v17, v18, v17, s44
                                        ; implicit-def: $vgpr18
; %bb.481:
	s_andn2_saveexec_b64 s[44:45], s[8:9]
; %bb.482:
	v_mov_b32_e32 v17, 0
	v_or_b32_e32 v21, 0x10000, v18
	v_cmp_eq_u32_sdwa s[8:9], v18, v17 src0_sel:WORD_0 src1_sel:DWORD
	v_cndmask_b32_e64 v17, v21, v18, s[8:9]
; %bb.483:
	s_or_b64 exec, exec, s[44:45]
	v_lshlrev_b32_e32 v18, 16, v26
	v_add_f32_e32 v21, 0, v18
	s_mov_b32 s8, 0x7f800000
	v_and_b32_e32 v18, 0x7f800000, v21
	v_cmp_ne_u32_e64 s[8:9], s8, v18
                                        ; implicit-def: $vgpr18
	s_and_saveexec_b64 s[44:45], s[8:9]
	s_xor_b64 s[8:9], exec, s[44:45]
; %bb.484:
	v_bfe_u32 v18, v21, 16, 1
	s_movk_i32 s44, 0x7fff
	v_add3_u32 v18, v21, v18, s44
                                        ; implicit-def: $vgpr21
; %bb.485:
	s_andn2_saveexec_b64 s[44:45], s[8:9]
; %bb.486:
	v_mov_b32_e32 v18, 0
	v_or_b32_e32 v22, 0x10000, v21
	v_cmp_eq_u32_sdwa s[8:9], v21, v18 src0_sel:WORD_0 src1_sel:DWORD
	v_cndmask_b32_e64 v18, v22, v21, s[8:9]
; %bb.487:
	s_or_b64 exec, exec, s[44:45]
	s_mov_b32 s8, 0x7060302
	v_perm_b32 v21, v18, v17, s8
	v_mov_b32_e32 v22, 0xffff8000
	v_cmp_lt_i32_e64 s[8:9], -1, v17
	v_cndmask_b32_e64 v17, -1, v22, s[8:9]
	v_cmp_lt_i32_e64 s[8:9], -1, v18
	v_cndmask_b32_e64 v18, -1, v22, s[8:9]
	s_mov_b32 s8, 0x5040100
	v_perm_b32 v17, v18, v17, s8
	v_xor_b32_e32 v17, v17, v21
	v_cmp_le_u16_sdwa s[8:9], v17, v17 src0_sel:DWORD src1_sel:WORD_1
	s_and_b64 s[44:45], s[8:9], exec
.LBB1960_488:
	s_or_b64 exec, exec, s[28:29]
	s_orn2_b64 s[28:29], s[44:45], exec
.LBB1960_489:
	s_or_b64 exec, exec, s[42:43]
	v_cndmask_b32_e64 v17, v19, v20, s[28:29]
	v_cndmask_b32_e64 v18, v30, v29, s[28:29]
	v_add_u32_e32 v22, 1, v17
	v_add_u32_e32 v18, -1, v18
	v_min_u32_e32 v18, v22, v18
	v_lshl_add_u32 v18, v18, 1, v14
	ds_read_u16 v21, v18
	v_lshl_add_u32 v17, v17, 3, v8
	ds_read_b64 v[17:18], v17 offset:4096
	s_waitcnt lgkmcnt(1)
	v_cndmask_b32_e64 v39, v21, v25, s[28:29]
	v_cndmask_b32_e64 v51, v26, v21, s[28:29]
	;; [unrolled: 1-line block ×4, first 2 shown]
	v_cmp_lt_u32_e64 s[8:9], v21, v30
	s_and_saveexec_b64 s[42:43], s[8:9]
	s_cbranch_execz .LBB1960_501
; %bb.490:
	v_cmp_lt_u32_e64 s[8:9], v22, v29
	s_mov_b64 s[44:45], 0
	s_and_saveexec_b64 s[40:41], s[8:9]
	s_cbranch_execz .LBB1960_500
; %bb.491:
	v_lshlrev_b32_e32 v19, 16, v39
	v_add_f32_e32 v20, 0, v19
	s_mov_b32 s8, 0x7f800000
	v_and_b32_e32 v19, 0x7f800000, v20
	v_cmp_ne_u32_e64 s[8:9], s8, v19
                                        ; implicit-def: $vgpr19
	s_and_saveexec_b64 s[44:45], s[8:9]
	s_xor_b64 s[8:9], exec, s[44:45]
; %bb.492:
	v_bfe_u32 v19, v20, 16, 1
	s_movk_i32 s44, 0x7fff
	v_add3_u32 v19, v20, v19, s44
                                        ; implicit-def: $vgpr20
; %bb.493:
	s_andn2_saveexec_b64 s[44:45], s[8:9]
; %bb.494:
	v_mov_b32_e32 v19, 0
	v_or_b32_e32 v23, 0x10000, v20
	v_cmp_eq_u32_sdwa s[8:9], v20, v19 src0_sel:WORD_0 src1_sel:DWORD
	v_cndmask_b32_e64 v19, v23, v20, s[8:9]
; %bb.495:
	s_or_b64 exec, exec, s[44:45]
	v_lshlrev_b32_e32 v20, 16, v51
	v_add_f32_e32 v23, 0, v20
	s_mov_b32 s8, 0x7f800000
	v_and_b32_e32 v20, 0x7f800000, v23
	v_cmp_ne_u32_e64 s[8:9], s8, v20
                                        ; implicit-def: $vgpr20
	s_and_saveexec_b64 s[44:45], s[8:9]
	s_xor_b64 s[8:9], exec, s[44:45]
; %bb.496:
	v_bfe_u32 v20, v23, 16, 1
	s_movk_i32 s44, 0x7fff
	v_add3_u32 v20, v23, v20, s44
                                        ; implicit-def: $vgpr23
; %bb.497:
	s_andn2_saveexec_b64 s[44:45], s[8:9]
; %bb.498:
	v_mov_b32_e32 v20, 0
	v_or_b32_e32 v24, 0x10000, v23
	v_cmp_eq_u32_sdwa s[8:9], v23, v20 src0_sel:WORD_0 src1_sel:DWORD
	v_cndmask_b32_e64 v20, v24, v23, s[8:9]
; %bb.499:
	s_or_b64 exec, exec, s[44:45]
	s_mov_b32 s8, 0x7060302
	v_perm_b32 v23, v20, v19, s8
	v_mov_b32_e32 v24, 0xffff8000
	v_cmp_lt_i32_e64 s[8:9], -1, v19
	v_cndmask_b32_e64 v19, -1, v24, s[8:9]
	v_cmp_lt_i32_e64 s[8:9], -1, v20
	v_cndmask_b32_e64 v20, -1, v24, s[8:9]
	s_mov_b32 s8, 0x5040100
	v_perm_b32 v19, v20, v19, s8
	v_xor_b32_e32 v19, v19, v23
	v_cmp_le_u16_sdwa s[8:9], v19, v19 src0_sel:DWORD src1_sel:WORD_1
	s_and_b64 s[44:45], s[8:9], exec
.LBB1960_500:
	s_or_b64 exec, exec, s[40:41]
	s_orn2_b64 s[40:41], s[44:45], exec
.LBB1960_501:
	s_or_b64 exec, exec, s[42:43]
	v_cndmask_b32_e64 v19, v21, v22, s[40:41]
	v_cndmask_b32_e64 v20, v30, v29, s[40:41]
	v_add_u32_e32 v23, 1, v19
	v_add_u32_e32 v20, -1, v20
	v_min_u32_e32 v20, v23, v20
	v_lshl_add_u32 v20, v20, 1, v14
	ds_read_u16 v24, v20
	v_lshl_add_u32 v19, v19, 3, v8
	ds_read_b64 v[19:20], v19 offset:4096
	v_cndmask_b32_e64 v21, v23, v21, s[40:41]
	v_cndmask_b32_e64 v22, v22, v23, s[40:41]
	s_waitcnt lgkmcnt(1)
	v_cndmask_b32_e64 v38, v24, v39, s[40:41]
	v_cndmask_b32_e64 v53, v51, v24, s[40:41]
	v_cmp_lt_u32_e64 s[8:9], v21, v30
	s_mov_b64 s[44:45], -1
	s_mov_b64 s[42:43], -1
	s_and_saveexec_b64 s[46:47], s[8:9]
	s_cbranch_execz .LBB1960_513
; %bb.502:
	v_cmp_lt_u32_e64 s[8:9], v22, v29
	s_mov_b64 s[56:57], 0
	s_and_saveexec_b64 s[42:43], s[8:9]
	s_cbranch_execz .LBB1960_512
; %bb.503:
	v_lshlrev_b32_e32 v23, 16, v38
	v_add_f32_e32 v24, 0, v23
	s_mov_b32 s8, 0x7f800000
	v_and_b32_e32 v23, 0x7f800000, v24
	v_cmp_ne_u32_e64 s[8:9], s8, v23
                                        ; implicit-def: $vgpr23
	s_and_saveexec_b64 s[56:57], s[8:9]
	s_xor_b64 s[8:9], exec, s[56:57]
; %bb.504:
	v_bfe_u32 v23, v24, 16, 1
	s_movk_i32 s56, 0x7fff
	v_add3_u32 v23, v24, v23, s56
                                        ; implicit-def: $vgpr24
; %bb.505:
	s_andn2_saveexec_b64 s[56:57], s[8:9]
; %bb.506:
	v_mov_b32_e32 v23, 0
	v_or_b32_e32 v50, 0x10000, v24
	v_cmp_eq_u32_sdwa s[8:9], v24, v23 src0_sel:WORD_0 src1_sel:DWORD
	v_cndmask_b32_e64 v23, v50, v24, s[8:9]
; %bb.507:
	s_or_b64 exec, exec, s[56:57]
	v_lshlrev_b32_e32 v24, 16, v53
	v_add_f32_e32 v50, 0, v24
	s_mov_b32 s8, 0x7f800000
	v_and_b32_e32 v24, 0x7f800000, v50
	v_cmp_ne_u32_e64 s[8:9], s8, v24
                                        ; implicit-def: $vgpr24
	s_and_saveexec_b64 s[56:57], s[8:9]
	s_xor_b64 s[8:9], exec, s[56:57]
; %bb.508:
	v_bfe_u32 v24, v50, 16, 1
	s_movk_i32 s56, 0x7fff
	v_add3_u32 v24, v50, v24, s56
                                        ; implicit-def: $vgpr50
; %bb.509:
	s_andn2_saveexec_b64 s[56:57], s[8:9]
; %bb.510:
	v_mov_b32_e32 v24, 0
	v_or_b32_e32 v54, 0x10000, v50
	v_cmp_eq_u32_sdwa s[8:9], v50, v24 src0_sel:WORD_0 src1_sel:DWORD
	v_cndmask_b32_e64 v24, v54, v50, s[8:9]
; %bb.511:
	s_or_b64 exec, exec, s[56:57]
	s_mov_b32 s8, 0x7060302
	v_perm_b32 v50, v24, v23, s8
	v_mov_b32_e32 v54, 0xffff8000
	v_cmp_lt_i32_e64 s[8:9], -1, v23
	v_cndmask_b32_e64 v23, -1, v54, s[8:9]
	v_cmp_lt_i32_e64 s[8:9], -1, v24
	v_cndmask_b32_e64 v24, -1, v54, s[8:9]
	s_mov_b32 s8, 0x5040100
	v_perm_b32 v23, v24, v23, s8
	v_xor_b32_e32 v23, v23, v50
	v_cmp_le_u16_sdwa s[8:9], v23, v23 src0_sel:DWORD src1_sel:WORD_1
	s_and_b64 s[56:57], s[8:9], exec
.LBB1960_512:
	s_or_b64 exec, exec, s[42:43]
	s_orn2_b64 s[42:43], s[56:57], exec
.LBB1960_513:
	s_or_b64 exec, exec, s[46:47]
	v_cndmask_b32_e64 v23, v21, v22, s[42:43]
	v_cndmask_b32_e64 v24, v30, v29, s[42:43]
	v_add_u32_e32 v55, 1, v23
	v_add_u32_e32 v24, -1, v24
	v_min_u32_e32 v24, v55, v24
	v_lshl_add_u32 v24, v24, 1, v14
	ds_read_u16 v54, v24
	v_lshl_add_u32 v23, v23, 3, v8
	ds_read_b64 v[23:24], v23 offset:4096
	v_cndmask_b32_e64 v65, v55, v21, s[42:43]
	v_cndmask_b32_e64 v66, v22, v55, s[42:43]
	s_waitcnt lgkmcnt(1)
	v_cndmask_b32_e64 v50, v54, v38, s[42:43]
	v_cndmask_b32_e64 v54, v53, v54, s[42:43]
	v_cmp_lt_u32_e64 s[8:9], v65, v30
	s_and_saveexec_b64 s[46:47], s[8:9]
	s_cbranch_execz .LBB1960_525
; %bb.514:
	v_cmp_lt_u32_e64 s[8:9], v66, v29
	s_mov_b64 s[56:57], 0
	s_and_saveexec_b64 s[44:45], s[8:9]
	s_cbranch_execz .LBB1960_524
; %bb.515:
	v_lshlrev_b32_e32 v21, 16, v50
	v_add_f32_e32 v22, 0, v21
	s_mov_b32 s8, 0x7f800000
	v_and_b32_e32 v21, 0x7f800000, v22
	v_cmp_ne_u32_e64 s[8:9], s8, v21
                                        ; implicit-def: $vgpr21
	s_and_saveexec_b64 s[56:57], s[8:9]
	s_xor_b64 s[8:9], exec, s[56:57]
; %bb.516:
	v_bfe_u32 v21, v22, 16, 1
	s_movk_i32 s56, 0x7fff
	v_add3_u32 v21, v22, v21, s56
                                        ; implicit-def: $vgpr22
; %bb.517:
	s_andn2_saveexec_b64 s[56:57], s[8:9]
; %bb.518:
	v_mov_b32_e32 v21, 0
	v_or_b32_e32 v55, 0x10000, v22
	v_cmp_eq_u32_sdwa s[8:9], v22, v21 src0_sel:WORD_0 src1_sel:DWORD
	v_cndmask_b32_e64 v21, v55, v22, s[8:9]
; %bb.519:
	s_or_b64 exec, exec, s[56:57]
	v_lshlrev_b32_e32 v22, 16, v54
	v_add_f32_e32 v55, 0, v22
	s_mov_b32 s8, 0x7f800000
	v_and_b32_e32 v22, 0x7f800000, v55
	v_cmp_ne_u32_e64 s[8:9], s8, v22
                                        ; implicit-def: $vgpr22
	s_and_saveexec_b64 s[56:57], s[8:9]
	s_xor_b64 s[8:9], exec, s[56:57]
; %bb.520:
	v_bfe_u32 v22, v55, 16, 1
	s_movk_i32 s56, 0x7fff
	v_add3_u32 v22, v55, v22, s56
                                        ; implicit-def: $vgpr55
; %bb.521:
	s_andn2_saveexec_b64 s[56:57], s[8:9]
; %bb.522:
	v_mov_b32_e32 v22, 0
	v_or_b32_e32 v64, 0x10000, v55
	v_cmp_eq_u32_sdwa s[8:9], v55, v22 src0_sel:WORD_0 src1_sel:DWORD
	v_cndmask_b32_e64 v22, v64, v55, s[8:9]
; %bb.523:
	s_or_b64 exec, exec, s[56:57]
	s_mov_b32 s8, 0x7060302
	v_perm_b32 v55, v22, v21, s8
	v_mov_b32_e32 v64, 0xffff8000
	v_cmp_lt_i32_e64 s[8:9], -1, v21
	v_cndmask_b32_e64 v21, -1, v64, s[8:9]
	v_cmp_lt_i32_e64 s[8:9], -1, v22
	v_cndmask_b32_e64 v22, -1, v64, s[8:9]
	s_mov_b32 s8, 0x5040100
	v_perm_b32 v21, v22, v21, s8
	v_xor_b32_e32 v21, v21, v55
	v_cmp_le_u16_sdwa s[8:9], v21, v21 src0_sel:DWORD src1_sel:WORD_1
	s_and_b64 s[56:57], s[8:9], exec
.LBB1960_524:
	s_or_b64 exec, exec, s[44:45]
	s_orn2_b64 s[44:45], s[56:57], exec
.LBB1960_525:
	s_or_b64 exec, exec, s[46:47]
	v_cndmask_b32_e64 v21, v65, v66, s[44:45]
	v_cndmask_b32_e64 v22, v30, v29, s[44:45]
	v_add_u32_e32 v67, 1, v21
	v_add_u32_e32 v22, -1, v22
	v_min_u32_e32 v22, v67, v22
	v_lshl_add_u32 v22, v22, 1, v14
	ds_read_u16 v64, v22
	v_lshl_add_u32 v21, v21, 3, v8
	ds_read_b64 v[21:22], v21 offset:4096
	v_cndmask_b32_e64 v65, v67, v65, s[44:45]
	v_cndmask_b32_e64 v66, v66, v67, s[44:45]
	s_waitcnt lgkmcnt(1)
	v_cndmask_b32_e64 v55, v64, v50, s[44:45]
	v_cndmask_b32_e64 v64, v54, v64, s[44:45]
	v_cmp_lt_u32_e64 s[8:9], v65, v30
	s_mov_b64 s[56:57], -1
	s_and_saveexec_b64 s[46:47], s[8:9]
	s_cbranch_execz .LBB1960_537
; %bb.526:
	v_cmp_lt_u32_e64 s[8:9], v66, v29
	s_mov_b64 s[58:59], 0
	s_and_saveexec_b64 s[56:57], s[8:9]
	s_cbranch_execz .LBB1960_536
; %bb.527:
	v_lshlrev_b32_e32 v29, 16, v55
	v_add_f32_e32 v30, 0, v29
	s_mov_b32 s8, 0x7f800000
	v_and_b32_e32 v29, 0x7f800000, v30
	v_cmp_ne_u32_e64 s[8:9], s8, v29
                                        ; implicit-def: $vgpr29
	s_and_saveexec_b64 s[58:59], s[8:9]
	s_xor_b64 s[8:9], exec, s[58:59]
; %bb.528:
	v_bfe_u32 v29, v30, 16, 1
	s_movk_i32 s58, 0x7fff
	v_add3_u32 v29, v30, v29, s58
                                        ; implicit-def: $vgpr30
; %bb.529:
	s_andn2_saveexec_b64 s[58:59], s[8:9]
; %bb.530:
	v_mov_b32_e32 v29, 0
	v_or_b32_e32 v67, 0x10000, v30
	v_cmp_eq_u32_sdwa s[8:9], v30, v29 src0_sel:WORD_0 src1_sel:DWORD
	v_cndmask_b32_e64 v29, v67, v30, s[8:9]
; %bb.531:
	s_or_b64 exec, exec, s[58:59]
	v_lshlrev_b32_e32 v30, 16, v64
	v_add_f32_e32 v67, 0, v30
	s_mov_b32 s8, 0x7f800000
	v_and_b32_e32 v30, 0x7f800000, v67
	v_cmp_ne_u32_e64 s[8:9], s8, v30
                                        ; implicit-def: $vgpr30
	s_and_saveexec_b64 s[58:59], s[8:9]
	s_xor_b64 s[8:9], exec, s[58:59]
; %bb.532:
	v_bfe_u32 v30, v67, 16, 1
	s_movk_i32 s58, 0x7fff
	v_add3_u32 v30, v67, v30, s58
                                        ; implicit-def: $vgpr67
; %bb.533:
	s_andn2_saveexec_b64 s[58:59], s[8:9]
; %bb.534:
	v_mov_b32_e32 v30, 0
	v_or_b32_e32 v68, 0x10000, v67
	v_cmp_eq_u32_sdwa s[8:9], v67, v30 src0_sel:WORD_0 src1_sel:DWORD
	v_cndmask_b32_e64 v30, v68, v67, s[8:9]
; %bb.535:
	s_or_b64 exec, exec, s[58:59]
	s_mov_b32 s8, 0x7060302
	v_perm_b32 v67, v30, v29, s8
	v_mov_b32_e32 v68, 0xffff8000
	v_cmp_lt_i32_e64 s[8:9], -1, v29
	v_cndmask_b32_e64 v29, -1, v68, s[8:9]
	v_cmp_lt_i32_e64 s[8:9], -1, v30
	v_cndmask_b32_e64 v30, -1, v68, s[8:9]
	s_mov_b32 s8, 0x5040100
	v_perm_b32 v29, v30, v29, s8
	v_xor_b32_e32 v29, v29, v67
	v_cmp_le_u16_sdwa s[8:9], v29, v29 src0_sel:DWORD src1_sel:WORD_1
	s_and_b64 s[58:59], s[8:9], exec
.LBB1960_536:
	s_or_b64 exec, exec, s[56:57]
	s_orn2_b64 s[56:57], s[58:59], exec
.LBB1960_537:
	s_or_b64 exec, exec, s[46:47]
	v_cndmask_b32_e64 v39, v39, v51, s[40:41]
	v_cndmask_b32_e64 v51, v25, v26, s[28:29]
	;; [unrolled: 1-line block ×3, first 2 shown]
	v_lshl_add_u32 v25, v25, 3, v8
	ds_read_b64 v[25:26], v25 offset:4096
	v_cndmask_b32_e64 v50, v50, v54, s[44:45]
	v_cndmask_b32_e64 v38, v38, v53, s[42:43]
	v_cndmask_b32_e64 v49, v49, v52, s[26:27]
	v_cndmask_b32_e64 v48, v37, v48, s[12:13]
	v_cndmask_b32_e64 v36, v36, v31, s[24:25]
	v_cndmask_b32_e64 v37, v55, v64, s[56:57]
.LBB1960_538:
	s_or_b64 exec, exec, s[22:23]
	v_add_u32_e32 v29, 0x1000, v28
	; wave barrier
	ds_write2_b64 v29, v[4:5], v[12:13] offset1:1
	v_add_u32_e32 v29, 0x1010, v28
	ds_write2_b64 v29, v[15:16], v[17:18] offset1:1
	v_add_u32_e32 v29, 0x1020, v28
	s_mov_b32 s8, 0x5040100
	ds_write2_b64 v29, v[19:20], v[23:24] offset1:1
	v_add_u32_e32 v31, 0x1030, v28
	v_perm_b32 v30, v37, v50, s8
	v_perm_b32 v29, v38, v39, s8
	;; [unrolled: 1-line block ×4, first 2 shown]
	ds_write2_b64 v27, v[52:53], v[29:30] offset1:1
	s_waitcnt lgkmcnt(4)
	ds_write2_b64 v31, v[21:22], v[25:26] offset1:1
	v_and_b32_e32 v31, 0x3c0, v35
	v_or_b32_e32 v29, 32, v31
	v_min_u32_e32 v29, v9, v29
	v_add_u32_e32 v30, 32, v29
	v_min_u32_e32 v30, v9, v30
	v_and_b32_e32 v52, 56, v35
	v_min_u32_e32 v53, v9, v52
	v_sub_u32_e32 v52, v29, v31
	v_sub_u32_e32 v55, v30, v29
	v_sub_u32_e64 v55, v53, v55 clamp
	v_min_u32_e32 v52, v53, v52
	v_lshl_add_u32 v54, v31, 1, v14
	v_cmp_lt_u32_e64 s[8:9], v55, v52
	; wave barrier
	s_and_saveexec_b64 s[12:13], s[8:9]
	s_cbranch_execz .LBB1960_550
; %bb.539:
	v_lshlrev_b32_e32 v64, 1, v29
	v_lshlrev_b32_e32 v65, 1, v53
	v_add3_u32 v64, v14, v64, v65
	s_mov_b64 s[22:23], 0
	s_mov_b32 s26, 0x7f800000
	s_movk_i32 s27, 0x7fff
	v_mov_b32_e32 v65, 0
	v_mov_b32_e32 v66, 0xffff8000
	s_branch .LBB1960_541
.LBB1960_540:                           ;   in Loop: Header=BB1960_541 Depth=1
	s_or_b64 exec, exec, s[24:25]
	v_cmp_lt_i32_e64 s[8:9], -1, v68
	v_cndmask_b32_e64 v70, -1, v66, s[8:9]
	v_cmp_lt_i32_e64 s[8:9], -1, v69
	v_xor_b32_sdwa v68, v70, v68 dst_sel:DWORD dst_unused:UNUSED_PAD src0_sel:DWORD src1_sel:WORD_1
	v_cndmask_b32_e64 v70, -1, v66, s[8:9]
	v_xor_b32_sdwa v69, v70, v69 dst_sel:DWORD dst_unused:UNUSED_PAD src0_sel:DWORD src1_sel:WORD_1
	v_add_u32_e32 v70, 1, v67
	v_cmp_gt_u16_e64 s[8:9], v68, v69
	v_cndmask_b32_e64 v52, v52, v67, s[8:9]
	v_cndmask_b32_e64 v55, v70, v55, s[8:9]
	v_cmp_ge_u32_e64 s[8:9], v55, v52
	s_or_b64 s[22:23], s[8:9], s[22:23]
	s_andn2_b64 exec, exec, s[22:23]
	s_cbranch_execz .LBB1960_549
.LBB1960_541:                           ; =>This Inner Loop Header: Depth=1
	v_add_u32_e32 v68, v52, v55
	v_lshrrev_b32_e32 v67, 1, v68
	v_not_b32_e32 v69, v67
	v_lshl_add_u32 v69, v69, 1, v64
	ds_read_u16 v70, v69
	v_and_b32_e32 v68, -2, v68
	v_add_u32_e32 v68, v54, v68
	ds_read_u16 v69, v68
	s_waitcnt lgkmcnt(1)
	v_lshlrev_b32_e32 v68, 16, v70
	v_add_f32_e32 v70, 0, v68
	v_and_b32_e32 v68, 0x7f800000, v70
	v_cmp_ne_u32_e64 s[8:9], s26, v68
                                        ; implicit-def: $vgpr68
	s_and_saveexec_b64 s[24:25], s[8:9]
	s_xor_b64 s[8:9], exec, s[24:25]
; %bb.542:                              ;   in Loop: Header=BB1960_541 Depth=1
	v_bfe_u32 v68, v70, 16, 1
	v_add3_u32 v68, v70, v68, s27
                                        ; implicit-def: $vgpr70
; %bb.543:                              ;   in Loop: Header=BB1960_541 Depth=1
	s_andn2_saveexec_b64 s[24:25], s[8:9]
; %bb.544:                              ;   in Loop: Header=BB1960_541 Depth=1
	v_or_b32_e32 v68, 0x10000, v70
	v_cmp_eq_u32_sdwa s[8:9], v70, v65 src0_sel:WORD_0 src1_sel:DWORD
	v_cndmask_b32_e64 v68, v68, v70, s[8:9]
; %bb.545:                              ;   in Loop: Header=BB1960_541 Depth=1
	s_or_b64 exec, exec, s[24:25]
	s_waitcnt lgkmcnt(0)
	v_lshlrev_b32_e32 v69, 16, v69
	v_add_f32_e32 v70, 0, v69
	v_and_b32_e32 v69, 0x7f800000, v70
	v_cmp_ne_u32_e64 s[8:9], s26, v69
                                        ; implicit-def: $vgpr69
	s_and_saveexec_b64 s[24:25], s[8:9]
	s_xor_b64 s[8:9], exec, s[24:25]
; %bb.546:                              ;   in Loop: Header=BB1960_541 Depth=1
	v_bfe_u32 v69, v70, 16, 1
	v_add3_u32 v69, v70, v69, s27
                                        ; implicit-def: $vgpr70
; %bb.547:                              ;   in Loop: Header=BB1960_541 Depth=1
	s_andn2_saveexec_b64 s[24:25], s[8:9]
	s_cbranch_execz .LBB1960_540
; %bb.548:                              ;   in Loop: Header=BB1960_541 Depth=1
	v_or_b32_e32 v69, 0x10000, v70
	v_cmp_eq_u32_sdwa s[8:9], v70, v65 src0_sel:WORD_0 src1_sel:DWORD
	v_cndmask_b32_e64 v69, v69, v70, s[8:9]
	s_branch .LBB1960_540
.LBB1960_549:
	s_or_b64 exec, exec, s[22:23]
.LBB1960_550:
	s_or_b64 exec, exec, s[12:13]
	v_add_u32_e32 v52, v55, v31
	v_add_u32_e32 v31, v29, v53
	v_sub_u32_e32 v53, v31, v55
	v_cmp_le_u32_e64 s[8:9], v52, v29
	v_cmp_le_u32_e64 s[12:13], v53, v30
	s_or_b64 s[8:9], s[8:9], s[12:13]
	s_and_saveexec_b64 s[22:23], s[8:9]
	s_cbranch_execz .LBB1960_650
; %bb.551:
	v_cmp_ge_u32_e64 s[8:9], v52, v29
	v_cmp_lt_u32_e64 s[12:13], v52, v29
                                        ; implicit-def: $vgpr31
	s_and_saveexec_b64 s[24:25], s[12:13]
; %bb.552:
	v_lshl_add_u32 v4, v55, 1, v54
	ds_read_u16 v31, v4
; %bb.553:
	s_or_b64 exec, exec, s[24:25]
	v_cmp_ge_u32_e64 s[24:25], v53, v30
	v_cmp_lt_u32_e64 s[12:13], v53, v30
                                        ; implicit-def: $vgpr36
	s_and_saveexec_b64 s[26:27], s[12:13]
; %bb.554:
	v_lshl_add_u32 v4, v53, 1, v14
	ds_read_u16 v36, v4
; %bb.555:
	s_or_b64 exec, exec, s[26:27]
	s_nor_b64 s[8:9], s[8:9], s[24:25]
	s_and_saveexec_b64 s[12:13], s[8:9]
	s_cbranch_execz .LBB1960_565
; %bb.556:
	s_waitcnt lgkmcnt(0)
	v_lshlrev_b32_e32 v4, 16, v36
	v_add_f32_e32 v5, 0, v4
	s_mov_b32 s8, 0x7f800000
	v_and_b32_e32 v4, 0x7f800000, v5
	v_cmp_ne_u32_e64 s[8:9], s8, v4
                                        ; implicit-def: $vgpr4
	s_and_saveexec_b64 s[26:27], s[8:9]
	s_xor_b64 s[8:9], exec, s[26:27]
; %bb.557:
	v_bfe_u32 v4, v5, 16, 1
	s_movk_i32 s26, 0x7fff
	v_add3_u32 v4, v5, v4, s26
                                        ; implicit-def: $vgpr5
; %bb.558:
	s_andn2_saveexec_b64 s[26:27], s[8:9]
; %bb.559:
	v_mov_b32_e32 v4, 0
	v_or_b32_e32 v12, 0x10000, v5
	v_cmp_eq_u32_sdwa s[8:9], v5, v4 src0_sel:WORD_0 src1_sel:DWORD
	v_cndmask_b32_e64 v4, v12, v5, s[8:9]
; %bb.560:
	s_or_b64 exec, exec, s[26:27]
	v_lshlrev_b32_e32 v5, 16, v31
	v_add_f32_e32 v12, 0, v5
	s_mov_b32 s8, 0x7f800000
	v_and_b32_e32 v5, 0x7f800000, v12
	v_cmp_ne_u32_e64 s[8:9], s8, v5
                                        ; implicit-def: $vgpr5
	s_and_saveexec_b64 s[26:27], s[8:9]
	s_xor_b64 s[8:9], exec, s[26:27]
; %bb.561:
	v_bfe_u32 v5, v12, 16, 1
	s_movk_i32 s26, 0x7fff
	v_add3_u32 v5, v12, v5, s26
                                        ; implicit-def: $vgpr12
; %bb.562:
	s_andn2_saveexec_b64 s[26:27], s[8:9]
; %bb.563:
	v_mov_b32_e32 v5, 0
	v_or_b32_e32 v13, 0x10000, v12
	v_cmp_eq_u32_sdwa s[8:9], v12, v5 src0_sel:WORD_0 src1_sel:DWORD
	v_cndmask_b32_e64 v5, v13, v12, s[8:9]
; %bb.564:
	s_or_b64 exec, exec, s[26:27]
	s_mov_b32 s8, 0x7060302
	v_perm_b32 v12, v5, v4, s8
	v_mov_b32_e32 v13, 0xffff8000
	v_cmp_lt_i32_e64 s[8:9], -1, v4
	v_cndmask_b32_e64 v4, -1, v13, s[8:9]
	v_cmp_lt_i32_e64 s[8:9], -1, v5
	v_cndmask_b32_e64 v5, -1, v13, s[8:9]
	s_mov_b32 s8, 0x5040100
	v_perm_b32 v4, v5, v4, s8
	v_xor_b32_e32 v4, v4, v12
	v_cmp_le_u16_sdwa s[8:9], v4, v4 src0_sel:DWORD src1_sel:WORD_1
	s_andn2_b64 s[24:25], s[24:25], exec
	s_and_b64 s[8:9], s[8:9], exec
	s_or_b64 s[24:25], s[24:25], s[8:9]
.LBB1960_565:
	s_or_b64 exec, exec, s[12:13]
	v_cndmask_b32_e64 v4, v53, v52, s[24:25]
	v_cndmask_b32_e64 v5, v30, v29, s[24:25]
	v_add_u32_e32 v12, 1, v4
	v_add_u32_e32 v5, -1, v5
	v_min_u32_e32 v5, v12, v5
	v_lshl_add_u32 v5, v5, 1, v14
	ds_read_u16 v13, v5
	v_lshl_add_u32 v4, v4, 3, v8
	ds_read_b64 v[4:5], v4 offset:4096
	v_cndmask_b32_e64 v15, v12, v53, s[24:25]
	v_cndmask_b32_e64 v16, v52, v12, s[24:25]
	s_waitcnt lgkmcnt(1)
	v_cndmask_b32_e64 v37, v13, v36, s[24:25]
	v_cndmask_b32_e64 v48, v31, v13, s[24:25]
	v_cmp_lt_u32_e64 s[8:9], v15, v30
	s_mov_b64 s[26:27], -1
	s_mov_b64 s[12:13], -1
	s_and_saveexec_b64 s[28:29], s[8:9]
	s_cbranch_execz .LBB1960_577
; %bb.566:
	v_cmp_lt_u32_e64 s[8:9], v16, v29
	s_mov_b64 s[40:41], 0
	s_and_saveexec_b64 s[12:13], s[8:9]
	s_cbranch_execz .LBB1960_576
; %bb.567:
	v_lshlrev_b32_e32 v12, 16, v37
	v_add_f32_e32 v13, 0, v12
	s_mov_b32 s8, 0x7f800000
	v_and_b32_e32 v12, 0x7f800000, v13
	v_cmp_ne_u32_e64 s[8:9], s8, v12
                                        ; implicit-def: $vgpr12
	s_and_saveexec_b64 s[40:41], s[8:9]
	s_xor_b64 s[8:9], exec, s[40:41]
; %bb.568:
	v_bfe_u32 v12, v13, 16, 1
	s_movk_i32 s40, 0x7fff
	v_add3_u32 v12, v13, v12, s40
                                        ; implicit-def: $vgpr13
; %bb.569:
	s_andn2_saveexec_b64 s[40:41], s[8:9]
; %bb.570:
	v_mov_b32_e32 v12, 0
	v_or_b32_e32 v17, 0x10000, v13
	v_cmp_eq_u32_sdwa s[8:9], v13, v12 src0_sel:WORD_0 src1_sel:DWORD
	v_cndmask_b32_e64 v12, v17, v13, s[8:9]
; %bb.571:
	s_or_b64 exec, exec, s[40:41]
	v_lshlrev_b32_e32 v13, 16, v48
	v_add_f32_e32 v17, 0, v13
	s_mov_b32 s8, 0x7f800000
	v_and_b32_e32 v13, 0x7f800000, v17
	v_cmp_ne_u32_e64 s[8:9], s8, v13
                                        ; implicit-def: $vgpr13
	s_and_saveexec_b64 s[40:41], s[8:9]
	s_xor_b64 s[8:9], exec, s[40:41]
; %bb.572:
	v_bfe_u32 v13, v17, 16, 1
	s_movk_i32 s40, 0x7fff
	v_add3_u32 v13, v17, v13, s40
                                        ; implicit-def: $vgpr17
; %bb.573:
	s_andn2_saveexec_b64 s[40:41], s[8:9]
; %bb.574:
	v_mov_b32_e32 v13, 0
	v_or_b32_e32 v18, 0x10000, v17
	v_cmp_eq_u32_sdwa s[8:9], v17, v13 src0_sel:WORD_0 src1_sel:DWORD
	v_cndmask_b32_e64 v13, v18, v17, s[8:9]
; %bb.575:
	s_or_b64 exec, exec, s[40:41]
	s_mov_b32 s8, 0x7060302
	v_perm_b32 v17, v13, v12, s8
	v_mov_b32_e32 v18, 0xffff8000
	v_cmp_lt_i32_e64 s[8:9], -1, v12
	v_cndmask_b32_e64 v12, -1, v18, s[8:9]
	v_cmp_lt_i32_e64 s[8:9], -1, v13
	v_cndmask_b32_e64 v13, -1, v18, s[8:9]
	s_mov_b32 s8, 0x5040100
	v_perm_b32 v12, v13, v12, s8
	v_xor_b32_e32 v12, v12, v17
	v_cmp_le_u16_sdwa s[8:9], v12, v12 src0_sel:DWORD src1_sel:WORD_1
	s_and_b64 s[40:41], s[8:9], exec
.LBB1960_576:
	s_or_b64 exec, exec, s[12:13]
	s_orn2_b64 s[12:13], s[40:41], exec
.LBB1960_577:
	s_or_b64 exec, exec, s[28:29]
	v_cndmask_b32_e64 v12, v15, v16, s[12:13]
	v_cndmask_b32_e64 v13, v30, v29, s[12:13]
	v_add_u32_e32 v18, 1, v12
	v_add_u32_e32 v13, -1, v13
	v_min_u32_e32 v13, v18, v13
	v_lshl_add_u32 v13, v13, 1, v14
	ds_read_u16 v17, v13
	v_lshl_add_u32 v12, v12, 3, v8
	ds_read_b64 v[12:13], v12 offset:4096
	s_waitcnt lgkmcnt(1)
	v_cndmask_b32_e64 v49, v17, v37, s[12:13]
	v_cndmask_b32_e64 v52, v48, v17, s[12:13]
	;; [unrolled: 1-line block ×4, first 2 shown]
	v_cmp_lt_u32_e64 s[8:9], v17, v30
	s_and_saveexec_b64 s[28:29], s[8:9]
	s_cbranch_execz .LBB1960_589
; %bb.578:
	v_cmp_lt_u32_e64 s[8:9], v18, v29
	s_mov_b64 s[40:41], 0
	s_and_saveexec_b64 s[26:27], s[8:9]
	s_cbranch_execz .LBB1960_588
; %bb.579:
	v_lshlrev_b32_e32 v15, 16, v49
	v_add_f32_e32 v16, 0, v15
	s_mov_b32 s8, 0x7f800000
	v_and_b32_e32 v15, 0x7f800000, v16
	v_cmp_ne_u32_e64 s[8:9], s8, v15
                                        ; implicit-def: $vgpr15
	s_and_saveexec_b64 s[40:41], s[8:9]
	s_xor_b64 s[8:9], exec, s[40:41]
; %bb.580:
	v_bfe_u32 v15, v16, 16, 1
	s_movk_i32 s40, 0x7fff
	v_add3_u32 v15, v16, v15, s40
                                        ; implicit-def: $vgpr16
; %bb.581:
	s_andn2_saveexec_b64 s[40:41], s[8:9]
; %bb.582:
	v_mov_b32_e32 v15, 0
	v_or_b32_e32 v19, 0x10000, v16
	v_cmp_eq_u32_sdwa s[8:9], v16, v15 src0_sel:WORD_0 src1_sel:DWORD
	v_cndmask_b32_e64 v15, v19, v16, s[8:9]
; %bb.583:
	s_or_b64 exec, exec, s[40:41]
	v_lshlrev_b32_e32 v16, 16, v52
	v_add_f32_e32 v19, 0, v16
	s_mov_b32 s8, 0x7f800000
	v_and_b32_e32 v16, 0x7f800000, v19
	v_cmp_ne_u32_e64 s[8:9], s8, v16
                                        ; implicit-def: $vgpr16
	s_and_saveexec_b64 s[40:41], s[8:9]
	s_xor_b64 s[8:9], exec, s[40:41]
; %bb.584:
	v_bfe_u32 v16, v19, 16, 1
	s_movk_i32 s40, 0x7fff
	v_add3_u32 v16, v19, v16, s40
                                        ; implicit-def: $vgpr19
; %bb.585:
	s_andn2_saveexec_b64 s[40:41], s[8:9]
; %bb.586:
	v_mov_b32_e32 v16, 0
	v_or_b32_e32 v20, 0x10000, v19
	v_cmp_eq_u32_sdwa s[8:9], v19, v16 src0_sel:WORD_0 src1_sel:DWORD
	v_cndmask_b32_e64 v16, v20, v19, s[8:9]
; %bb.587:
	s_or_b64 exec, exec, s[40:41]
	s_mov_b32 s8, 0x7060302
	v_perm_b32 v19, v16, v15, s8
	v_mov_b32_e32 v20, 0xffff8000
	v_cmp_lt_i32_e64 s[8:9], -1, v15
	v_cndmask_b32_e64 v15, -1, v20, s[8:9]
	v_cmp_lt_i32_e64 s[8:9], -1, v16
	v_cndmask_b32_e64 v16, -1, v20, s[8:9]
	s_mov_b32 s8, 0x5040100
	v_perm_b32 v15, v16, v15, s8
	v_xor_b32_e32 v15, v15, v19
	v_cmp_le_u16_sdwa s[8:9], v15, v15 src0_sel:DWORD src1_sel:WORD_1
	s_and_b64 s[40:41], s[8:9], exec
.LBB1960_588:
	s_or_b64 exec, exec, s[26:27]
	s_orn2_b64 s[26:27], s[40:41], exec
.LBB1960_589:
	s_or_b64 exec, exec, s[28:29]
	v_cndmask_b32_e64 v15, v17, v18, s[26:27]
	v_cndmask_b32_e64 v16, v30, v29, s[26:27]
	v_add_u32_e32 v20, 1, v15
	v_add_u32_e32 v16, -1, v16
	v_min_u32_e32 v16, v20, v16
	v_lshl_add_u32 v16, v16, 1, v14
	ds_read_u16 v19, v16
	v_lshl_add_u32 v15, v15, 3, v8
	ds_read_b64 v[15:16], v15 offset:4096
	s_mov_b64 s[40:41], -1
	s_mov_b64 s[28:29], -1
	s_waitcnt lgkmcnt(1)
	v_cndmask_b32_e64 v25, v19, v49, s[26:27]
	v_cndmask_b32_e64 v26, v52, v19, s[26:27]
	;; [unrolled: 1-line block ×4, first 2 shown]
	v_cmp_lt_u32_e64 s[8:9], v19, v30
	s_and_saveexec_b64 s[42:43], s[8:9]
	s_cbranch_execz .LBB1960_601
; %bb.590:
	v_cmp_lt_u32_e64 s[8:9], v20, v29
	s_mov_b64 s[44:45], 0
	s_and_saveexec_b64 s[28:29], s[8:9]
	s_cbranch_execz .LBB1960_600
; %bb.591:
	v_lshlrev_b32_e32 v17, 16, v25
	v_add_f32_e32 v18, 0, v17
	s_mov_b32 s8, 0x7f800000
	v_and_b32_e32 v17, 0x7f800000, v18
	v_cmp_ne_u32_e64 s[8:9], s8, v17
                                        ; implicit-def: $vgpr17
	s_and_saveexec_b64 s[44:45], s[8:9]
	s_xor_b64 s[8:9], exec, s[44:45]
; %bb.592:
	v_bfe_u32 v17, v18, 16, 1
	s_movk_i32 s44, 0x7fff
	v_add3_u32 v17, v18, v17, s44
                                        ; implicit-def: $vgpr18
; %bb.593:
	s_andn2_saveexec_b64 s[44:45], s[8:9]
; %bb.594:
	v_mov_b32_e32 v17, 0
	v_or_b32_e32 v21, 0x10000, v18
	v_cmp_eq_u32_sdwa s[8:9], v18, v17 src0_sel:WORD_0 src1_sel:DWORD
	v_cndmask_b32_e64 v17, v21, v18, s[8:9]
; %bb.595:
	s_or_b64 exec, exec, s[44:45]
	v_lshlrev_b32_e32 v18, 16, v26
	v_add_f32_e32 v21, 0, v18
	s_mov_b32 s8, 0x7f800000
	v_and_b32_e32 v18, 0x7f800000, v21
	v_cmp_ne_u32_e64 s[8:9], s8, v18
                                        ; implicit-def: $vgpr18
	s_and_saveexec_b64 s[44:45], s[8:9]
	s_xor_b64 s[8:9], exec, s[44:45]
; %bb.596:
	v_bfe_u32 v18, v21, 16, 1
	s_movk_i32 s44, 0x7fff
	v_add3_u32 v18, v21, v18, s44
                                        ; implicit-def: $vgpr21
; %bb.597:
	s_andn2_saveexec_b64 s[44:45], s[8:9]
; %bb.598:
	v_mov_b32_e32 v18, 0
	v_or_b32_e32 v22, 0x10000, v21
	v_cmp_eq_u32_sdwa s[8:9], v21, v18 src0_sel:WORD_0 src1_sel:DWORD
	v_cndmask_b32_e64 v18, v22, v21, s[8:9]
; %bb.599:
	s_or_b64 exec, exec, s[44:45]
	s_mov_b32 s8, 0x7060302
	v_perm_b32 v21, v18, v17, s8
	v_mov_b32_e32 v22, 0xffff8000
	v_cmp_lt_i32_e64 s[8:9], -1, v17
	v_cndmask_b32_e64 v17, -1, v22, s[8:9]
	v_cmp_lt_i32_e64 s[8:9], -1, v18
	v_cndmask_b32_e64 v18, -1, v22, s[8:9]
	s_mov_b32 s8, 0x5040100
	v_perm_b32 v17, v18, v17, s8
	v_xor_b32_e32 v17, v17, v21
	v_cmp_le_u16_sdwa s[8:9], v17, v17 src0_sel:DWORD src1_sel:WORD_1
	s_and_b64 s[44:45], s[8:9], exec
.LBB1960_600:
	s_or_b64 exec, exec, s[28:29]
	s_orn2_b64 s[28:29], s[44:45], exec
.LBB1960_601:
	s_or_b64 exec, exec, s[42:43]
	v_cndmask_b32_e64 v17, v19, v20, s[28:29]
	v_cndmask_b32_e64 v18, v30, v29, s[28:29]
	v_add_u32_e32 v22, 1, v17
	v_add_u32_e32 v18, -1, v18
	v_min_u32_e32 v18, v22, v18
	v_lshl_add_u32 v18, v18, 1, v14
	ds_read_u16 v21, v18
	v_lshl_add_u32 v17, v17, 3, v8
	ds_read_b64 v[17:18], v17 offset:4096
	s_waitcnt lgkmcnt(1)
	v_cndmask_b32_e64 v39, v21, v25, s[28:29]
	v_cndmask_b32_e64 v51, v26, v21, s[28:29]
	;; [unrolled: 1-line block ×4, first 2 shown]
	v_cmp_lt_u32_e64 s[8:9], v21, v30
	s_and_saveexec_b64 s[42:43], s[8:9]
	s_cbranch_execz .LBB1960_613
; %bb.602:
	v_cmp_lt_u32_e64 s[8:9], v22, v29
	s_mov_b64 s[44:45], 0
	s_and_saveexec_b64 s[40:41], s[8:9]
	s_cbranch_execz .LBB1960_612
; %bb.603:
	v_lshlrev_b32_e32 v19, 16, v39
	v_add_f32_e32 v20, 0, v19
	s_mov_b32 s8, 0x7f800000
	v_and_b32_e32 v19, 0x7f800000, v20
	v_cmp_ne_u32_e64 s[8:9], s8, v19
                                        ; implicit-def: $vgpr19
	s_and_saveexec_b64 s[44:45], s[8:9]
	s_xor_b64 s[8:9], exec, s[44:45]
; %bb.604:
	v_bfe_u32 v19, v20, 16, 1
	s_movk_i32 s44, 0x7fff
	v_add3_u32 v19, v20, v19, s44
                                        ; implicit-def: $vgpr20
; %bb.605:
	s_andn2_saveexec_b64 s[44:45], s[8:9]
; %bb.606:
	v_mov_b32_e32 v19, 0
	v_or_b32_e32 v23, 0x10000, v20
	v_cmp_eq_u32_sdwa s[8:9], v20, v19 src0_sel:WORD_0 src1_sel:DWORD
	v_cndmask_b32_e64 v19, v23, v20, s[8:9]
; %bb.607:
	s_or_b64 exec, exec, s[44:45]
	v_lshlrev_b32_e32 v20, 16, v51
	v_add_f32_e32 v23, 0, v20
	s_mov_b32 s8, 0x7f800000
	v_and_b32_e32 v20, 0x7f800000, v23
	v_cmp_ne_u32_e64 s[8:9], s8, v20
                                        ; implicit-def: $vgpr20
	s_and_saveexec_b64 s[44:45], s[8:9]
	s_xor_b64 s[8:9], exec, s[44:45]
; %bb.608:
	v_bfe_u32 v20, v23, 16, 1
	s_movk_i32 s44, 0x7fff
	v_add3_u32 v20, v23, v20, s44
                                        ; implicit-def: $vgpr23
; %bb.609:
	s_andn2_saveexec_b64 s[44:45], s[8:9]
; %bb.610:
	v_mov_b32_e32 v20, 0
	v_or_b32_e32 v24, 0x10000, v23
	v_cmp_eq_u32_sdwa s[8:9], v23, v20 src0_sel:WORD_0 src1_sel:DWORD
	v_cndmask_b32_e64 v20, v24, v23, s[8:9]
; %bb.611:
	s_or_b64 exec, exec, s[44:45]
	s_mov_b32 s8, 0x7060302
	v_perm_b32 v23, v20, v19, s8
	v_mov_b32_e32 v24, 0xffff8000
	v_cmp_lt_i32_e64 s[8:9], -1, v19
	v_cndmask_b32_e64 v19, -1, v24, s[8:9]
	v_cmp_lt_i32_e64 s[8:9], -1, v20
	v_cndmask_b32_e64 v20, -1, v24, s[8:9]
	s_mov_b32 s8, 0x5040100
	v_perm_b32 v19, v20, v19, s8
	v_xor_b32_e32 v19, v19, v23
	v_cmp_le_u16_sdwa s[8:9], v19, v19 src0_sel:DWORD src1_sel:WORD_1
	s_and_b64 s[44:45], s[8:9], exec
.LBB1960_612:
	s_or_b64 exec, exec, s[40:41]
	s_orn2_b64 s[40:41], s[44:45], exec
.LBB1960_613:
	s_or_b64 exec, exec, s[42:43]
	v_cndmask_b32_e64 v19, v21, v22, s[40:41]
	v_cndmask_b32_e64 v20, v30, v29, s[40:41]
	v_add_u32_e32 v23, 1, v19
	v_add_u32_e32 v20, -1, v20
	v_min_u32_e32 v20, v23, v20
	v_lshl_add_u32 v20, v20, 1, v14
	ds_read_u16 v24, v20
	v_lshl_add_u32 v19, v19, 3, v8
	ds_read_b64 v[19:20], v19 offset:4096
	v_cndmask_b32_e64 v21, v23, v21, s[40:41]
	v_cndmask_b32_e64 v22, v22, v23, s[40:41]
	s_waitcnt lgkmcnt(1)
	v_cndmask_b32_e64 v38, v24, v39, s[40:41]
	v_cndmask_b32_e64 v53, v51, v24, s[40:41]
	v_cmp_lt_u32_e64 s[8:9], v21, v30
	s_mov_b64 s[44:45], -1
	s_mov_b64 s[42:43], -1
	s_and_saveexec_b64 s[46:47], s[8:9]
	s_cbranch_execz .LBB1960_625
; %bb.614:
	v_cmp_lt_u32_e64 s[8:9], v22, v29
	s_mov_b64 s[56:57], 0
	s_and_saveexec_b64 s[42:43], s[8:9]
	s_cbranch_execz .LBB1960_624
; %bb.615:
	v_lshlrev_b32_e32 v23, 16, v38
	v_add_f32_e32 v24, 0, v23
	s_mov_b32 s8, 0x7f800000
	v_and_b32_e32 v23, 0x7f800000, v24
	v_cmp_ne_u32_e64 s[8:9], s8, v23
                                        ; implicit-def: $vgpr23
	s_and_saveexec_b64 s[56:57], s[8:9]
	s_xor_b64 s[8:9], exec, s[56:57]
; %bb.616:
	v_bfe_u32 v23, v24, 16, 1
	s_movk_i32 s56, 0x7fff
	v_add3_u32 v23, v24, v23, s56
                                        ; implicit-def: $vgpr24
; %bb.617:
	s_andn2_saveexec_b64 s[56:57], s[8:9]
; %bb.618:
	v_mov_b32_e32 v23, 0
	v_or_b32_e32 v50, 0x10000, v24
	v_cmp_eq_u32_sdwa s[8:9], v24, v23 src0_sel:WORD_0 src1_sel:DWORD
	v_cndmask_b32_e64 v23, v50, v24, s[8:9]
; %bb.619:
	s_or_b64 exec, exec, s[56:57]
	v_lshlrev_b32_e32 v24, 16, v53
	v_add_f32_e32 v50, 0, v24
	s_mov_b32 s8, 0x7f800000
	v_and_b32_e32 v24, 0x7f800000, v50
	v_cmp_ne_u32_e64 s[8:9], s8, v24
                                        ; implicit-def: $vgpr24
	s_and_saveexec_b64 s[56:57], s[8:9]
	s_xor_b64 s[8:9], exec, s[56:57]
; %bb.620:
	v_bfe_u32 v24, v50, 16, 1
	s_movk_i32 s56, 0x7fff
	v_add3_u32 v24, v50, v24, s56
                                        ; implicit-def: $vgpr50
; %bb.621:
	s_andn2_saveexec_b64 s[56:57], s[8:9]
; %bb.622:
	v_mov_b32_e32 v24, 0
	v_or_b32_e32 v54, 0x10000, v50
	v_cmp_eq_u32_sdwa s[8:9], v50, v24 src0_sel:WORD_0 src1_sel:DWORD
	v_cndmask_b32_e64 v24, v54, v50, s[8:9]
; %bb.623:
	s_or_b64 exec, exec, s[56:57]
	s_mov_b32 s8, 0x7060302
	v_perm_b32 v50, v24, v23, s8
	v_mov_b32_e32 v54, 0xffff8000
	v_cmp_lt_i32_e64 s[8:9], -1, v23
	v_cndmask_b32_e64 v23, -1, v54, s[8:9]
	v_cmp_lt_i32_e64 s[8:9], -1, v24
	v_cndmask_b32_e64 v24, -1, v54, s[8:9]
	s_mov_b32 s8, 0x5040100
	v_perm_b32 v23, v24, v23, s8
	v_xor_b32_e32 v23, v23, v50
	v_cmp_le_u16_sdwa s[8:9], v23, v23 src0_sel:DWORD src1_sel:WORD_1
	s_and_b64 s[56:57], s[8:9], exec
.LBB1960_624:
	s_or_b64 exec, exec, s[42:43]
	s_orn2_b64 s[42:43], s[56:57], exec
.LBB1960_625:
	s_or_b64 exec, exec, s[46:47]
	v_cndmask_b32_e64 v23, v21, v22, s[42:43]
	v_cndmask_b32_e64 v24, v30, v29, s[42:43]
	v_add_u32_e32 v55, 1, v23
	v_add_u32_e32 v24, -1, v24
	v_min_u32_e32 v24, v55, v24
	v_lshl_add_u32 v24, v24, 1, v14
	ds_read_u16 v54, v24
	v_lshl_add_u32 v23, v23, 3, v8
	ds_read_b64 v[23:24], v23 offset:4096
	v_cndmask_b32_e64 v65, v55, v21, s[42:43]
	v_cndmask_b32_e64 v66, v22, v55, s[42:43]
	s_waitcnt lgkmcnt(1)
	v_cndmask_b32_e64 v50, v54, v38, s[42:43]
	v_cndmask_b32_e64 v54, v53, v54, s[42:43]
	v_cmp_lt_u32_e64 s[8:9], v65, v30
	s_and_saveexec_b64 s[46:47], s[8:9]
	s_cbranch_execz .LBB1960_637
; %bb.626:
	v_cmp_lt_u32_e64 s[8:9], v66, v29
	s_mov_b64 s[56:57], 0
	s_and_saveexec_b64 s[44:45], s[8:9]
	s_cbranch_execz .LBB1960_636
; %bb.627:
	v_lshlrev_b32_e32 v21, 16, v50
	v_add_f32_e32 v22, 0, v21
	s_mov_b32 s8, 0x7f800000
	v_and_b32_e32 v21, 0x7f800000, v22
	v_cmp_ne_u32_e64 s[8:9], s8, v21
                                        ; implicit-def: $vgpr21
	s_and_saveexec_b64 s[56:57], s[8:9]
	s_xor_b64 s[8:9], exec, s[56:57]
; %bb.628:
	v_bfe_u32 v21, v22, 16, 1
	s_movk_i32 s56, 0x7fff
	v_add3_u32 v21, v22, v21, s56
                                        ; implicit-def: $vgpr22
; %bb.629:
	s_andn2_saveexec_b64 s[56:57], s[8:9]
; %bb.630:
	v_mov_b32_e32 v21, 0
	v_or_b32_e32 v55, 0x10000, v22
	v_cmp_eq_u32_sdwa s[8:9], v22, v21 src0_sel:WORD_0 src1_sel:DWORD
	v_cndmask_b32_e64 v21, v55, v22, s[8:9]
; %bb.631:
	s_or_b64 exec, exec, s[56:57]
	v_lshlrev_b32_e32 v22, 16, v54
	v_add_f32_e32 v55, 0, v22
	s_mov_b32 s8, 0x7f800000
	v_and_b32_e32 v22, 0x7f800000, v55
	v_cmp_ne_u32_e64 s[8:9], s8, v22
                                        ; implicit-def: $vgpr22
	s_and_saveexec_b64 s[56:57], s[8:9]
	s_xor_b64 s[8:9], exec, s[56:57]
; %bb.632:
	v_bfe_u32 v22, v55, 16, 1
	s_movk_i32 s56, 0x7fff
	v_add3_u32 v22, v55, v22, s56
                                        ; implicit-def: $vgpr55
; %bb.633:
	s_andn2_saveexec_b64 s[56:57], s[8:9]
; %bb.634:
	v_mov_b32_e32 v22, 0
	v_or_b32_e32 v64, 0x10000, v55
	v_cmp_eq_u32_sdwa s[8:9], v55, v22 src0_sel:WORD_0 src1_sel:DWORD
	v_cndmask_b32_e64 v22, v64, v55, s[8:9]
; %bb.635:
	s_or_b64 exec, exec, s[56:57]
	s_mov_b32 s8, 0x7060302
	v_perm_b32 v55, v22, v21, s8
	v_mov_b32_e32 v64, 0xffff8000
	v_cmp_lt_i32_e64 s[8:9], -1, v21
	v_cndmask_b32_e64 v21, -1, v64, s[8:9]
	v_cmp_lt_i32_e64 s[8:9], -1, v22
	v_cndmask_b32_e64 v22, -1, v64, s[8:9]
	s_mov_b32 s8, 0x5040100
	v_perm_b32 v21, v22, v21, s8
	v_xor_b32_e32 v21, v21, v55
	v_cmp_le_u16_sdwa s[8:9], v21, v21 src0_sel:DWORD src1_sel:WORD_1
	s_and_b64 s[56:57], s[8:9], exec
.LBB1960_636:
	s_or_b64 exec, exec, s[44:45]
	s_orn2_b64 s[44:45], s[56:57], exec
.LBB1960_637:
	s_or_b64 exec, exec, s[46:47]
	v_cndmask_b32_e64 v21, v65, v66, s[44:45]
	v_cndmask_b32_e64 v22, v30, v29, s[44:45]
	v_add_u32_e32 v67, 1, v21
	v_add_u32_e32 v22, -1, v22
	v_min_u32_e32 v22, v67, v22
	v_lshl_add_u32 v22, v22, 1, v14
	ds_read_u16 v64, v22
	v_lshl_add_u32 v21, v21, 3, v8
	ds_read_b64 v[21:22], v21 offset:4096
	v_cndmask_b32_e64 v65, v67, v65, s[44:45]
	v_cndmask_b32_e64 v66, v66, v67, s[44:45]
	s_waitcnt lgkmcnt(1)
	v_cndmask_b32_e64 v55, v64, v50, s[44:45]
	v_cndmask_b32_e64 v64, v54, v64, s[44:45]
	v_cmp_lt_u32_e64 s[8:9], v65, v30
	s_mov_b64 s[56:57], -1
	s_and_saveexec_b64 s[46:47], s[8:9]
	s_cbranch_execz .LBB1960_649
; %bb.638:
	v_cmp_lt_u32_e64 s[8:9], v66, v29
	s_mov_b64 s[58:59], 0
	s_and_saveexec_b64 s[56:57], s[8:9]
	s_cbranch_execz .LBB1960_648
; %bb.639:
	v_lshlrev_b32_e32 v29, 16, v55
	v_add_f32_e32 v30, 0, v29
	s_mov_b32 s8, 0x7f800000
	v_and_b32_e32 v29, 0x7f800000, v30
	v_cmp_ne_u32_e64 s[8:9], s8, v29
                                        ; implicit-def: $vgpr29
	s_and_saveexec_b64 s[58:59], s[8:9]
	s_xor_b64 s[8:9], exec, s[58:59]
; %bb.640:
	v_bfe_u32 v29, v30, 16, 1
	s_movk_i32 s58, 0x7fff
	v_add3_u32 v29, v30, v29, s58
                                        ; implicit-def: $vgpr30
; %bb.641:
	s_andn2_saveexec_b64 s[58:59], s[8:9]
; %bb.642:
	v_mov_b32_e32 v29, 0
	v_or_b32_e32 v67, 0x10000, v30
	v_cmp_eq_u32_sdwa s[8:9], v30, v29 src0_sel:WORD_0 src1_sel:DWORD
	v_cndmask_b32_e64 v29, v67, v30, s[8:9]
; %bb.643:
	s_or_b64 exec, exec, s[58:59]
	v_lshlrev_b32_e32 v30, 16, v64
	v_add_f32_e32 v67, 0, v30
	s_mov_b32 s8, 0x7f800000
	v_and_b32_e32 v30, 0x7f800000, v67
	v_cmp_ne_u32_e64 s[8:9], s8, v30
                                        ; implicit-def: $vgpr30
	s_and_saveexec_b64 s[58:59], s[8:9]
	s_xor_b64 s[8:9], exec, s[58:59]
; %bb.644:
	v_bfe_u32 v30, v67, 16, 1
	s_movk_i32 s58, 0x7fff
	v_add3_u32 v30, v67, v30, s58
                                        ; implicit-def: $vgpr67
; %bb.645:
	s_andn2_saveexec_b64 s[58:59], s[8:9]
; %bb.646:
	v_mov_b32_e32 v30, 0
	v_or_b32_e32 v68, 0x10000, v67
	v_cmp_eq_u32_sdwa s[8:9], v67, v30 src0_sel:WORD_0 src1_sel:DWORD
	v_cndmask_b32_e64 v30, v68, v67, s[8:9]
; %bb.647:
	s_or_b64 exec, exec, s[58:59]
	s_mov_b32 s8, 0x7060302
	v_perm_b32 v67, v30, v29, s8
	v_mov_b32_e32 v68, 0xffff8000
	v_cmp_lt_i32_e64 s[8:9], -1, v29
	v_cndmask_b32_e64 v29, -1, v68, s[8:9]
	v_cmp_lt_i32_e64 s[8:9], -1, v30
	v_cndmask_b32_e64 v30, -1, v68, s[8:9]
	s_mov_b32 s8, 0x5040100
	v_perm_b32 v29, v30, v29, s8
	v_xor_b32_e32 v29, v29, v67
	v_cmp_le_u16_sdwa s[8:9], v29, v29 src0_sel:DWORD src1_sel:WORD_1
	s_and_b64 s[58:59], s[8:9], exec
.LBB1960_648:
	s_or_b64 exec, exec, s[56:57]
	s_orn2_b64 s[56:57], s[58:59], exec
.LBB1960_649:
	s_or_b64 exec, exec, s[46:47]
	v_cndmask_b32_e64 v39, v39, v51, s[40:41]
	v_cndmask_b32_e64 v51, v25, v26, s[28:29]
	;; [unrolled: 1-line block ×3, first 2 shown]
	v_lshl_add_u32 v25, v25, 3, v8
	ds_read_b64 v[25:26], v25 offset:4096
	v_cndmask_b32_e64 v50, v50, v54, s[44:45]
	v_cndmask_b32_e64 v38, v38, v53, s[42:43]
	;; [unrolled: 1-line block ×6, first 2 shown]
.LBB1960_650:
	s_or_b64 exec, exec, s[22:23]
	v_add_u32_e32 v29, 0x1000, v28
	; wave barrier
	ds_write2_b64 v29, v[4:5], v[12:13] offset1:1
	v_add_u32_e32 v29, 0x1010, v28
	ds_write2_b64 v29, v[15:16], v[17:18] offset1:1
	v_add_u32_e32 v29, 0x1020, v28
	s_mov_b32 s8, 0x5040100
	ds_write2_b64 v29, v[19:20], v[23:24] offset1:1
	v_add_u32_e32 v52, 0x1030, v28
	v_perm_b32 v29, v37, v50, s8
	v_perm_b32 v28, v38, v39, s8
	v_perm_b32 v31, v51, v49, s8
	v_perm_b32 v30, v48, v36, s8
	ds_write2_b64 v27, v[30:31], v[28:29] offset1:1
	s_waitcnt lgkmcnt(4)
	ds_write2_b64 v52, v[21:22], v[25:26] offset1:1
	v_and_b32_e32 v31, 0x380, v35
	v_or_b32_e32 v27, 64, v31
	v_min_u32_e32 v27, v9, v27
	v_add_u32_e32 v28, 64, v27
	v_min_u32_e32 v28, v9, v28
	v_min_u32_e32 v9, v9, v34
	v_sub_u32_e32 v34, v27, v31
	v_sub_u32_e32 v30, v28, v27
	v_sub_u32_e64 v30, v9, v30 clamp
	v_min_u32_e32 v34, v9, v34
	v_lshl_add_u32 v29, v31, 1, v14
	v_cmp_lt_u32_e64 s[8:9], v30, v34
	; wave barrier
	s_and_saveexec_b64 s[12:13], s[8:9]
	s_cbranch_execz .LBB1960_662
; %bb.651:
	v_lshlrev_b32_e32 v35, 1, v27
	v_lshlrev_b32_e32 v52, 1, v9
	v_add3_u32 v35, v14, v35, v52
	s_mov_b64 s[22:23], 0
	s_mov_b32 s26, 0x7f800000
	s_movk_i32 s27, 0x7fff
	v_mov_b32_e32 v52, 0
	v_mov_b32_e32 v53, 0xffff8000
	s_branch .LBB1960_653
.LBB1960_652:                           ;   in Loop: Header=BB1960_653 Depth=1
	s_or_b64 exec, exec, s[24:25]
	v_cmp_lt_i32_e64 s[8:9], -1, v55
	v_cndmask_b32_e64 v65, -1, v53, s[8:9]
	v_cmp_lt_i32_e64 s[8:9], -1, v64
	v_xor_b32_sdwa v55, v65, v55 dst_sel:DWORD dst_unused:UNUSED_PAD src0_sel:DWORD src1_sel:WORD_1
	v_cndmask_b32_e64 v65, -1, v53, s[8:9]
	v_xor_b32_sdwa v64, v65, v64 dst_sel:DWORD dst_unused:UNUSED_PAD src0_sel:DWORD src1_sel:WORD_1
	v_add_u32_e32 v65, 1, v54
	v_cmp_gt_u16_e64 s[8:9], v55, v64
	v_cndmask_b32_e64 v34, v34, v54, s[8:9]
	v_cndmask_b32_e64 v30, v65, v30, s[8:9]
	v_cmp_ge_u32_e64 s[8:9], v30, v34
	s_or_b64 s[22:23], s[8:9], s[22:23]
	s_andn2_b64 exec, exec, s[22:23]
	s_cbranch_execz .LBB1960_661
.LBB1960_653:                           ; =>This Inner Loop Header: Depth=1
	v_add_u32_e32 v55, v34, v30
	v_lshrrev_b32_e32 v54, 1, v55
	v_not_b32_e32 v64, v54
	v_lshl_add_u32 v64, v64, 1, v35
	ds_read_u16 v65, v64
	v_and_b32_e32 v55, -2, v55
	v_add_u32_e32 v55, v29, v55
	ds_read_u16 v64, v55
	s_waitcnt lgkmcnt(1)
	v_lshlrev_b32_e32 v55, 16, v65
	v_add_f32_e32 v65, 0, v55
	v_and_b32_e32 v55, 0x7f800000, v65
	v_cmp_ne_u32_e64 s[8:9], s26, v55
                                        ; implicit-def: $vgpr55
	s_and_saveexec_b64 s[24:25], s[8:9]
	s_xor_b64 s[8:9], exec, s[24:25]
; %bb.654:                              ;   in Loop: Header=BB1960_653 Depth=1
	v_bfe_u32 v55, v65, 16, 1
	v_add3_u32 v55, v65, v55, s27
                                        ; implicit-def: $vgpr65
; %bb.655:                              ;   in Loop: Header=BB1960_653 Depth=1
	s_andn2_saveexec_b64 s[24:25], s[8:9]
; %bb.656:                              ;   in Loop: Header=BB1960_653 Depth=1
	v_or_b32_e32 v55, 0x10000, v65
	v_cmp_eq_u32_sdwa s[8:9], v65, v52 src0_sel:WORD_0 src1_sel:DWORD
	v_cndmask_b32_e64 v55, v55, v65, s[8:9]
; %bb.657:                              ;   in Loop: Header=BB1960_653 Depth=1
	s_or_b64 exec, exec, s[24:25]
	s_waitcnt lgkmcnt(0)
	v_lshlrev_b32_e32 v64, 16, v64
	v_add_f32_e32 v65, 0, v64
	v_and_b32_e32 v64, 0x7f800000, v65
	v_cmp_ne_u32_e64 s[8:9], s26, v64
                                        ; implicit-def: $vgpr64
	s_and_saveexec_b64 s[24:25], s[8:9]
	s_xor_b64 s[8:9], exec, s[24:25]
; %bb.658:                              ;   in Loop: Header=BB1960_653 Depth=1
	v_bfe_u32 v64, v65, 16, 1
	v_add3_u32 v64, v65, v64, s27
                                        ; implicit-def: $vgpr65
; %bb.659:                              ;   in Loop: Header=BB1960_653 Depth=1
	s_andn2_saveexec_b64 s[24:25], s[8:9]
	s_cbranch_execz .LBB1960_652
; %bb.660:                              ;   in Loop: Header=BB1960_653 Depth=1
	v_or_b32_e32 v64, 0x10000, v65
	v_cmp_eq_u32_sdwa s[8:9], v65, v52 src0_sel:WORD_0 src1_sel:DWORD
	v_cndmask_b32_e64 v64, v64, v65, s[8:9]
	s_branch .LBB1960_652
.LBB1960_661:
	s_or_b64 exec, exec, s[22:23]
.LBB1960_662:
	s_or_b64 exec, exec, s[12:13]
	v_add_u32_e32 v9, v27, v9
	v_add_u32_e32 v34, v30, v31
	v_sub_u32_e32 v35, v9, v30
	v_cmp_le_u32_e64 s[8:9], v34, v27
	v_cmp_le_u32_e64 s[12:13], v35, v28
	s_or_b64 s[8:9], s[8:9], s[12:13]
	s_and_saveexec_b64 s[22:23], s[8:9]
	s_cbranch_execz .LBB1960_762
; %bb.663:
	v_cmp_ge_u32_e64 s[8:9], v34, v27
	v_cmp_lt_u32_e64 s[12:13], v34, v27
                                        ; implicit-def: $vgpr9
	s_and_saveexec_b64 s[24:25], s[12:13]
; %bb.664:
	v_lshl_add_u32 v4, v30, 1, v29
	ds_read_u16 v9, v4
; %bb.665:
	s_or_b64 exec, exec, s[24:25]
	v_cmp_ge_u32_e64 s[24:25], v35, v28
	v_cmp_lt_u32_e64 s[12:13], v35, v28
                                        ; implicit-def: $vgpr29
	s_and_saveexec_b64 s[26:27], s[12:13]
; %bb.666:
	v_lshl_add_u32 v4, v35, 1, v14
	ds_read_u16 v29, v4
; %bb.667:
	s_or_b64 exec, exec, s[26:27]
	s_nor_b64 s[8:9], s[8:9], s[24:25]
	s_and_saveexec_b64 s[12:13], s[8:9]
	s_cbranch_execz .LBB1960_677
; %bb.668:
	s_waitcnt lgkmcnt(0)
	v_lshlrev_b32_e32 v4, 16, v29
	v_add_f32_e32 v5, 0, v4
	s_mov_b32 s8, 0x7f800000
	v_and_b32_e32 v4, 0x7f800000, v5
	v_cmp_ne_u32_e64 s[8:9], s8, v4
                                        ; implicit-def: $vgpr4
	s_and_saveexec_b64 s[26:27], s[8:9]
	s_xor_b64 s[8:9], exec, s[26:27]
; %bb.669:
	v_bfe_u32 v4, v5, 16, 1
	s_movk_i32 s26, 0x7fff
	v_add3_u32 v4, v5, v4, s26
                                        ; implicit-def: $vgpr5
; %bb.670:
	s_andn2_saveexec_b64 s[26:27], s[8:9]
; %bb.671:
	v_mov_b32_e32 v4, 0
	v_or_b32_e32 v12, 0x10000, v5
	v_cmp_eq_u32_sdwa s[8:9], v5, v4 src0_sel:WORD_0 src1_sel:DWORD
	v_cndmask_b32_e64 v4, v12, v5, s[8:9]
; %bb.672:
	s_or_b64 exec, exec, s[26:27]
	v_lshlrev_b32_e32 v5, 16, v9
	v_add_f32_e32 v12, 0, v5
	s_mov_b32 s8, 0x7f800000
	v_and_b32_e32 v5, 0x7f800000, v12
	v_cmp_ne_u32_e64 s[8:9], s8, v5
                                        ; implicit-def: $vgpr5
	s_and_saveexec_b64 s[26:27], s[8:9]
	s_xor_b64 s[8:9], exec, s[26:27]
; %bb.673:
	v_bfe_u32 v5, v12, 16, 1
	s_movk_i32 s26, 0x7fff
	v_add3_u32 v5, v12, v5, s26
                                        ; implicit-def: $vgpr12
; %bb.674:
	s_andn2_saveexec_b64 s[26:27], s[8:9]
; %bb.675:
	v_mov_b32_e32 v5, 0
	v_or_b32_e32 v13, 0x10000, v12
	v_cmp_eq_u32_sdwa s[8:9], v12, v5 src0_sel:WORD_0 src1_sel:DWORD
	v_cndmask_b32_e64 v5, v13, v12, s[8:9]
; %bb.676:
	s_or_b64 exec, exec, s[26:27]
	s_mov_b32 s8, 0x7060302
	v_perm_b32 v12, v5, v4, s8
	v_mov_b32_e32 v13, 0xffff8000
	v_cmp_lt_i32_e64 s[8:9], -1, v4
	v_cndmask_b32_e64 v4, -1, v13, s[8:9]
	v_cmp_lt_i32_e64 s[8:9], -1, v5
	v_cndmask_b32_e64 v5, -1, v13, s[8:9]
	s_mov_b32 s8, 0x5040100
	v_perm_b32 v4, v5, v4, s8
	v_xor_b32_e32 v4, v4, v12
	v_cmp_le_u16_sdwa s[8:9], v4, v4 src0_sel:DWORD src1_sel:WORD_1
	s_andn2_b64 s[24:25], s[24:25], exec
	s_and_b64 s[8:9], s[8:9], exec
	s_or_b64 s[24:25], s[24:25], s[8:9]
.LBB1960_677:
	s_or_b64 exec, exec, s[12:13]
	v_cndmask_b32_e64 v4, v35, v34, s[24:25]
	v_cndmask_b32_e64 v5, v28, v27, s[24:25]
	v_add_u32_e32 v12, 1, v4
	v_add_u32_e32 v5, -1, v5
	v_min_u32_e32 v5, v12, v5
	v_lshl_add_u32 v5, v5, 1, v14
	ds_read_u16 v13, v5
	v_lshl_add_u32 v4, v4, 3, v8
	ds_read_b64 v[4:5], v4 offset:4096
	v_cndmask_b32_e64 v15, v12, v35, s[24:25]
	v_cndmask_b32_e64 v16, v34, v12, s[24:25]
	s_waitcnt lgkmcnt(1)
	v_cndmask_b32_e64 v30, v13, v29, s[24:25]
	v_cndmask_b32_e64 v31, v9, v13, s[24:25]
	v_cmp_lt_u32_e64 s[8:9], v15, v28
	s_mov_b64 s[26:27], -1
	s_mov_b64 s[12:13], -1
	s_and_saveexec_b64 s[28:29], s[8:9]
	s_cbranch_execz .LBB1960_689
; %bb.678:
	v_cmp_lt_u32_e64 s[8:9], v16, v27
	s_mov_b64 s[40:41], 0
	s_and_saveexec_b64 s[12:13], s[8:9]
	s_cbranch_execz .LBB1960_688
; %bb.679:
	v_lshlrev_b32_e32 v12, 16, v30
	v_add_f32_e32 v13, 0, v12
	s_mov_b32 s8, 0x7f800000
	v_and_b32_e32 v12, 0x7f800000, v13
	v_cmp_ne_u32_e64 s[8:9], s8, v12
                                        ; implicit-def: $vgpr12
	s_and_saveexec_b64 s[40:41], s[8:9]
	s_xor_b64 s[8:9], exec, s[40:41]
; %bb.680:
	v_bfe_u32 v12, v13, 16, 1
	s_movk_i32 s40, 0x7fff
	v_add3_u32 v12, v13, v12, s40
                                        ; implicit-def: $vgpr13
; %bb.681:
	s_andn2_saveexec_b64 s[40:41], s[8:9]
; %bb.682:
	v_mov_b32_e32 v12, 0
	v_or_b32_e32 v17, 0x10000, v13
	v_cmp_eq_u32_sdwa s[8:9], v13, v12 src0_sel:WORD_0 src1_sel:DWORD
	v_cndmask_b32_e64 v12, v17, v13, s[8:9]
; %bb.683:
	s_or_b64 exec, exec, s[40:41]
	v_lshlrev_b32_e32 v13, 16, v31
	v_add_f32_e32 v17, 0, v13
	s_mov_b32 s8, 0x7f800000
	v_and_b32_e32 v13, 0x7f800000, v17
	v_cmp_ne_u32_e64 s[8:9], s8, v13
                                        ; implicit-def: $vgpr13
	s_and_saveexec_b64 s[40:41], s[8:9]
	s_xor_b64 s[8:9], exec, s[40:41]
; %bb.684:
	v_bfe_u32 v13, v17, 16, 1
	s_movk_i32 s40, 0x7fff
	v_add3_u32 v13, v17, v13, s40
                                        ; implicit-def: $vgpr17
; %bb.685:
	s_andn2_saveexec_b64 s[40:41], s[8:9]
; %bb.686:
	v_mov_b32_e32 v13, 0
	v_or_b32_e32 v18, 0x10000, v17
	v_cmp_eq_u32_sdwa s[8:9], v17, v13 src0_sel:WORD_0 src1_sel:DWORD
	v_cndmask_b32_e64 v13, v18, v17, s[8:9]
; %bb.687:
	s_or_b64 exec, exec, s[40:41]
	s_mov_b32 s8, 0x7060302
	v_perm_b32 v17, v13, v12, s8
	v_mov_b32_e32 v18, 0xffff8000
	v_cmp_lt_i32_e64 s[8:9], -1, v12
	v_cndmask_b32_e64 v12, -1, v18, s[8:9]
	v_cmp_lt_i32_e64 s[8:9], -1, v13
	v_cndmask_b32_e64 v13, -1, v18, s[8:9]
	s_mov_b32 s8, 0x5040100
	v_perm_b32 v12, v13, v12, s8
	v_xor_b32_e32 v12, v12, v17
	v_cmp_le_u16_sdwa s[8:9], v12, v12 src0_sel:DWORD src1_sel:WORD_1
	s_and_b64 s[40:41], s[8:9], exec
.LBB1960_688:
	s_or_b64 exec, exec, s[12:13]
	s_orn2_b64 s[12:13], s[40:41], exec
.LBB1960_689:
	s_or_b64 exec, exec, s[28:29]
	v_cndmask_b32_e64 v12, v15, v16, s[12:13]
	v_cndmask_b32_e64 v13, v28, v27, s[12:13]
	v_add_u32_e32 v18, 1, v12
	v_add_u32_e32 v13, -1, v13
	v_min_u32_e32 v13, v18, v13
	v_lshl_add_u32 v13, v13, 1, v14
	ds_read_u16 v17, v13
	v_lshl_add_u32 v12, v12, 3, v8
	ds_read_b64 v[12:13], v12 offset:4096
	s_waitcnt lgkmcnt(1)
	v_cndmask_b32_e64 v34, v17, v30, s[12:13]
	v_cndmask_b32_e64 v35, v31, v17, s[12:13]
	;; [unrolled: 1-line block ×4, first 2 shown]
	v_cmp_lt_u32_e64 s[8:9], v17, v28
	s_and_saveexec_b64 s[28:29], s[8:9]
	s_cbranch_execz .LBB1960_701
; %bb.690:
	v_cmp_lt_u32_e64 s[8:9], v18, v27
	s_mov_b64 s[40:41], 0
	s_and_saveexec_b64 s[26:27], s[8:9]
	s_cbranch_execz .LBB1960_700
; %bb.691:
	v_lshlrev_b32_e32 v15, 16, v34
	v_add_f32_e32 v16, 0, v15
	s_mov_b32 s8, 0x7f800000
	v_and_b32_e32 v15, 0x7f800000, v16
	v_cmp_ne_u32_e64 s[8:9], s8, v15
                                        ; implicit-def: $vgpr15
	s_and_saveexec_b64 s[40:41], s[8:9]
	s_xor_b64 s[8:9], exec, s[40:41]
; %bb.692:
	v_bfe_u32 v15, v16, 16, 1
	s_movk_i32 s40, 0x7fff
	v_add3_u32 v15, v16, v15, s40
                                        ; implicit-def: $vgpr16
; %bb.693:
	s_andn2_saveexec_b64 s[40:41], s[8:9]
; %bb.694:
	v_mov_b32_e32 v15, 0
	v_or_b32_e32 v19, 0x10000, v16
	v_cmp_eq_u32_sdwa s[8:9], v16, v15 src0_sel:WORD_0 src1_sel:DWORD
	v_cndmask_b32_e64 v15, v19, v16, s[8:9]
; %bb.695:
	s_or_b64 exec, exec, s[40:41]
	v_lshlrev_b32_e32 v16, 16, v35
	v_add_f32_e32 v19, 0, v16
	s_mov_b32 s8, 0x7f800000
	v_and_b32_e32 v16, 0x7f800000, v19
	v_cmp_ne_u32_e64 s[8:9], s8, v16
                                        ; implicit-def: $vgpr16
	s_and_saveexec_b64 s[40:41], s[8:9]
	s_xor_b64 s[8:9], exec, s[40:41]
; %bb.696:
	v_bfe_u32 v16, v19, 16, 1
	s_movk_i32 s40, 0x7fff
	v_add3_u32 v16, v19, v16, s40
                                        ; implicit-def: $vgpr19
; %bb.697:
	s_andn2_saveexec_b64 s[40:41], s[8:9]
; %bb.698:
	v_mov_b32_e32 v16, 0
	v_or_b32_e32 v20, 0x10000, v19
	v_cmp_eq_u32_sdwa s[8:9], v19, v16 src0_sel:WORD_0 src1_sel:DWORD
	v_cndmask_b32_e64 v16, v20, v19, s[8:9]
; %bb.699:
	s_or_b64 exec, exec, s[40:41]
	s_mov_b32 s8, 0x7060302
	v_perm_b32 v19, v16, v15, s8
	v_mov_b32_e32 v20, 0xffff8000
	v_cmp_lt_i32_e64 s[8:9], -1, v15
	v_cndmask_b32_e64 v15, -1, v20, s[8:9]
	v_cmp_lt_i32_e64 s[8:9], -1, v16
	v_cndmask_b32_e64 v16, -1, v20, s[8:9]
	s_mov_b32 s8, 0x5040100
	v_perm_b32 v15, v16, v15, s8
	v_xor_b32_e32 v15, v15, v19
	v_cmp_le_u16_sdwa s[8:9], v15, v15 src0_sel:DWORD src1_sel:WORD_1
	s_and_b64 s[40:41], s[8:9], exec
.LBB1960_700:
	s_or_b64 exec, exec, s[26:27]
	s_orn2_b64 s[26:27], s[40:41], exec
.LBB1960_701:
	s_or_b64 exec, exec, s[28:29]
	v_cndmask_b32_e64 v15, v17, v18, s[26:27]
	v_cndmask_b32_e64 v16, v28, v27, s[26:27]
	v_add_u32_e32 v20, 1, v15
	v_add_u32_e32 v16, -1, v16
	v_min_u32_e32 v16, v20, v16
	v_lshl_add_u32 v16, v16, 1, v14
	ds_read_u16 v19, v16
	v_lshl_add_u32 v15, v15, 3, v8
	ds_read_b64 v[15:16], v15 offset:4096
	s_mov_b64 s[40:41], -1
	s_mov_b64 s[28:29], -1
	s_waitcnt lgkmcnt(1)
	v_cndmask_b32_e64 v25, v19, v34, s[26:27]
	v_cndmask_b32_e64 v26, v35, v19, s[26:27]
	;; [unrolled: 1-line block ×4, first 2 shown]
	v_cmp_lt_u32_e64 s[8:9], v19, v28
	s_and_saveexec_b64 s[42:43], s[8:9]
	s_cbranch_execz .LBB1960_713
; %bb.702:
	v_cmp_lt_u32_e64 s[8:9], v20, v27
	s_mov_b64 s[44:45], 0
	s_and_saveexec_b64 s[28:29], s[8:9]
	s_cbranch_execz .LBB1960_712
; %bb.703:
	v_lshlrev_b32_e32 v17, 16, v25
	v_add_f32_e32 v18, 0, v17
	s_mov_b32 s8, 0x7f800000
	v_and_b32_e32 v17, 0x7f800000, v18
	v_cmp_ne_u32_e64 s[8:9], s8, v17
                                        ; implicit-def: $vgpr17
	s_and_saveexec_b64 s[44:45], s[8:9]
	s_xor_b64 s[8:9], exec, s[44:45]
; %bb.704:
	v_bfe_u32 v17, v18, 16, 1
	s_movk_i32 s44, 0x7fff
	v_add3_u32 v17, v18, v17, s44
                                        ; implicit-def: $vgpr18
; %bb.705:
	s_andn2_saveexec_b64 s[44:45], s[8:9]
; %bb.706:
	v_mov_b32_e32 v17, 0
	v_or_b32_e32 v21, 0x10000, v18
	v_cmp_eq_u32_sdwa s[8:9], v18, v17 src0_sel:WORD_0 src1_sel:DWORD
	v_cndmask_b32_e64 v17, v21, v18, s[8:9]
; %bb.707:
	s_or_b64 exec, exec, s[44:45]
	v_lshlrev_b32_e32 v18, 16, v26
	v_add_f32_e32 v21, 0, v18
	s_mov_b32 s8, 0x7f800000
	v_and_b32_e32 v18, 0x7f800000, v21
	v_cmp_ne_u32_e64 s[8:9], s8, v18
                                        ; implicit-def: $vgpr18
	s_and_saveexec_b64 s[44:45], s[8:9]
	s_xor_b64 s[8:9], exec, s[44:45]
; %bb.708:
	v_bfe_u32 v18, v21, 16, 1
	s_movk_i32 s44, 0x7fff
	v_add3_u32 v18, v21, v18, s44
                                        ; implicit-def: $vgpr21
; %bb.709:
	s_andn2_saveexec_b64 s[44:45], s[8:9]
; %bb.710:
	v_mov_b32_e32 v18, 0
	v_or_b32_e32 v22, 0x10000, v21
	v_cmp_eq_u32_sdwa s[8:9], v21, v18 src0_sel:WORD_0 src1_sel:DWORD
	v_cndmask_b32_e64 v18, v22, v21, s[8:9]
; %bb.711:
	s_or_b64 exec, exec, s[44:45]
	s_mov_b32 s8, 0x7060302
	v_perm_b32 v21, v18, v17, s8
	v_mov_b32_e32 v22, 0xffff8000
	v_cmp_lt_i32_e64 s[8:9], -1, v17
	v_cndmask_b32_e64 v17, -1, v22, s[8:9]
	v_cmp_lt_i32_e64 s[8:9], -1, v18
	v_cndmask_b32_e64 v18, -1, v22, s[8:9]
	s_mov_b32 s8, 0x5040100
	v_perm_b32 v17, v18, v17, s8
	v_xor_b32_e32 v17, v17, v21
	v_cmp_le_u16_sdwa s[8:9], v17, v17 src0_sel:DWORD src1_sel:WORD_1
	s_and_b64 s[44:45], s[8:9], exec
.LBB1960_712:
	s_or_b64 exec, exec, s[28:29]
	s_orn2_b64 s[28:29], s[44:45], exec
.LBB1960_713:
	s_or_b64 exec, exec, s[42:43]
	v_cndmask_b32_e64 v17, v19, v20, s[28:29]
	v_cndmask_b32_e64 v18, v28, v27, s[28:29]
	v_add_u32_e32 v22, 1, v17
	v_add_u32_e32 v18, -1, v18
	v_min_u32_e32 v18, v22, v18
	v_lshl_add_u32 v18, v18, 1, v14
	ds_read_u16 v21, v18
	v_lshl_add_u32 v17, v17, 3, v8
	ds_read_b64 v[17:18], v17 offset:4096
	s_waitcnt lgkmcnt(1)
	v_cndmask_b32_e64 v36, v21, v25, s[28:29]
	v_cndmask_b32_e64 v37, v26, v21, s[28:29]
	;; [unrolled: 1-line block ×4, first 2 shown]
	v_cmp_lt_u32_e64 s[8:9], v21, v28
	s_and_saveexec_b64 s[42:43], s[8:9]
	s_cbranch_execz .LBB1960_725
; %bb.714:
	v_cmp_lt_u32_e64 s[8:9], v22, v27
	s_mov_b64 s[44:45], 0
	s_and_saveexec_b64 s[40:41], s[8:9]
	s_cbranch_execz .LBB1960_724
; %bb.715:
	v_lshlrev_b32_e32 v19, 16, v36
	v_add_f32_e32 v20, 0, v19
	s_mov_b32 s8, 0x7f800000
	v_and_b32_e32 v19, 0x7f800000, v20
	v_cmp_ne_u32_e64 s[8:9], s8, v19
                                        ; implicit-def: $vgpr19
	s_and_saveexec_b64 s[44:45], s[8:9]
	s_xor_b64 s[8:9], exec, s[44:45]
; %bb.716:
	v_bfe_u32 v19, v20, 16, 1
	s_movk_i32 s44, 0x7fff
	v_add3_u32 v19, v20, v19, s44
                                        ; implicit-def: $vgpr20
; %bb.717:
	s_andn2_saveexec_b64 s[44:45], s[8:9]
; %bb.718:
	v_mov_b32_e32 v19, 0
	v_or_b32_e32 v23, 0x10000, v20
	v_cmp_eq_u32_sdwa s[8:9], v20, v19 src0_sel:WORD_0 src1_sel:DWORD
	v_cndmask_b32_e64 v19, v23, v20, s[8:9]
; %bb.719:
	s_or_b64 exec, exec, s[44:45]
	v_lshlrev_b32_e32 v20, 16, v37
	v_add_f32_e32 v23, 0, v20
	s_mov_b32 s8, 0x7f800000
	v_and_b32_e32 v20, 0x7f800000, v23
	v_cmp_ne_u32_e64 s[8:9], s8, v20
                                        ; implicit-def: $vgpr20
	s_and_saveexec_b64 s[44:45], s[8:9]
	s_xor_b64 s[8:9], exec, s[44:45]
; %bb.720:
	v_bfe_u32 v20, v23, 16, 1
	s_movk_i32 s44, 0x7fff
	v_add3_u32 v20, v23, v20, s44
                                        ; implicit-def: $vgpr23
; %bb.721:
	s_andn2_saveexec_b64 s[44:45], s[8:9]
; %bb.722:
	v_mov_b32_e32 v20, 0
	v_or_b32_e32 v24, 0x10000, v23
	v_cmp_eq_u32_sdwa s[8:9], v23, v20 src0_sel:WORD_0 src1_sel:DWORD
	v_cndmask_b32_e64 v20, v24, v23, s[8:9]
; %bb.723:
	s_or_b64 exec, exec, s[44:45]
	s_mov_b32 s8, 0x7060302
	v_perm_b32 v23, v20, v19, s8
	v_mov_b32_e32 v24, 0xffff8000
	v_cmp_lt_i32_e64 s[8:9], -1, v19
	v_cndmask_b32_e64 v19, -1, v24, s[8:9]
	v_cmp_lt_i32_e64 s[8:9], -1, v20
	v_cndmask_b32_e64 v20, -1, v24, s[8:9]
	s_mov_b32 s8, 0x5040100
	v_perm_b32 v19, v20, v19, s8
	v_xor_b32_e32 v19, v19, v23
	v_cmp_le_u16_sdwa s[8:9], v19, v19 src0_sel:DWORD src1_sel:WORD_1
	s_and_b64 s[44:45], s[8:9], exec
.LBB1960_724:
	s_or_b64 exec, exec, s[40:41]
	s_orn2_b64 s[40:41], s[44:45], exec
.LBB1960_725:
	s_or_b64 exec, exec, s[42:43]
	v_cndmask_b32_e64 v19, v21, v22, s[40:41]
	v_cndmask_b32_e64 v20, v28, v27, s[40:41]
	v_add_u32_e32 v23, 1, v19
	v_add_u32_e32 v20, -1, v20
	v_min_u32_e32 v20, v23, v20
	v_lshl_add_u32 v20, v20, 1, v14
	ds_read_u16 v24, v20
	v_lshl_add_u32 v19, v19, 3, v8
	ds_read_b64 v[19:20], v19 offset:4096
	v_cndmask_b32_e64 v21, v23, v21, s[40:41]
	v_cndmask_b32_e64 v22, v22, v23, s[40:41]
	s_waitcnt lgkmcnt(1)
	v_cndmask_b32_e64 v38, v24, v36, s[40:41]
	v_cndmask_b32_e64 v39, v37, v24, s[40:41]
	v_cmp_lt_u32_e64 s[8:9], v21, v28
	s_mov_b64 s[44:45], -1
	s_mov_b64 s[42:43], -1
	s_and_saveexec_b64 s[46:47], s[8:9]
	s_cbranch_execz .LBB1960_737
; %bb.726:
	v_cmp_lt_u32_e64 s[8:9], v22, v27
	s_mov_b64 s[56:57], 0
	s_and_saveexec_b64 s[42:43], s[8:9]
	s_cbranch_execz .LBB1960_736
; %bb.727:
	v_lshlrev_b32_e32 v23, 16, v38
	v_add_f32_e32 v24, 0, v23
	s_mov_b32 s8, 0x7f800000
	v_and_b32_e32 v23, 0x7f800000, v24
	v_cmp_ne_u32_e64 s[8:9], s8, v23
                                        ; implicit-def: $vgpr23
	s_and_saveexec_b64 s[56:57], s[8:9]
	s_xor_b64 s[8:9], exec, s[56:57]
; %bb.728:
	v_bfe_u32 v23, v24, 16, 1
	s_movk_i32 s56, 0x7fff
	v_add3_u32 v23, v24, v23, s56
                                        ; implicit-def: $vgpr24
; %bb.729:
	s_andn2_saveexec_b64 s[56:57], s[8:9]
; %bb.730:
	v_mov_b32_e32 v23, 0
	v_or_b32_e32 v48, 0x10000, v24
	v_cmp_eq_u32_sdwa s[8:9], v24, v23 src0_sel:WORD_0 src1_sel:DWORD
	v_cndmask_b32_e64 v23, v48, v24, s[8:9]
; %bb.731:
	s_or_b64 exec, exec, s[56:57]
	v_lshlrev_b32_e32 v24, 16, v39
	v_add_f32_e32 v48, 0, v24
	s_mov_b32 s8, 0x7f800000
	v_and_b32_e32 v24, 0x7f800000, v48
	v_cmp_ne_u32_e64 s[8:9], s8, v24
                                        ; implicit-def: $vgpr24
	s_and_saveexec_b64 s[56:57], s[8:9]
	s_xor_b64 s[8:9], exec, s[56:57]
; %bb.732:
	v_bfe_u32 v24, v48, 16, 1
	s_movk_i32 s56, 0x7fff
	v_add3_u32 v24, v48, v24, s56
                                        ; implicit-def: $vgpr48
; %bb.733:
	s_andn2_saveexec_b64 s[56:57], s[8:9]
; %bb.734:
	v_mov_b32_e32 v24, 0
	v_or_b32_e32 v49, 0x10000, v48
	v_cmp_eq_u32_sdwa s[8:9], v48, v24 src0_sel:WORD_0 src1_sel:DWORD
	v_cndmask_b32_e64 v24, v49, v48, s[8:9]
; %bb.735:
	s_or_b64 exec, exec, s[56:57]
	s_mov_b32 s8, 0x7060302
	v_perm_b32 v48, v24, v23, s8
	v_mov_b32_e32 v49, 0xffff8000
	v_cmp_lt_i32_e64 s[8:9], -1, v23
	v_cndmask_b32_e64 v23, -1, v49, s[8:9]
	v_cmp_lt_i32_e64 s[8:9], -1, v24
	v_cndmask_b32_e64 v24, -1, v49, s[8:9]
	s_mov_b32 s8, 0x5040100
	v_perm_b32 v23, v24, v23, s8
	v_xor_b32_e32 v23, v23, v48
	v_cmp_le_u16_sdwa s[8:9], v23, v23 src0_sel:DWORD src1_sel:WORD_1
	s_and_b64 s[56:57], s[8:9], exec
.LBB1960_736:
	s_or_b64 exec, exec, s[42:43]
	s_orn2_b64 s[42:43], s[56:57], exec
.LBB1960_737:
	s_or_b64 exec, exec, s[46:47]
	v_cndmask_b32_e64 v23, v21, v22, s[42:43]
	v_cndmask_b32_e64 v24, v28, v27, s[42:43]
	v_add_u32_e32 v51, 1, v23
	v_add_u32_e32 v24, -1, v24
	v_min_u32_e32 v24, v51, v24
	v_lshl_add_u32 v24, v24, 1, v14
	ds_read_u16 v49, v24
	v_lshl_add_u32 v23, v23, 3, v8
	ds_read_b64 v[23:24], v23 offset:4096
	v_cndmask_b32_e64 v50, v51, v21, s[42:43]
	v_cndmask_b32_e64 v51, v22, v51, s[42:43]
	s_waitcnt lgkmcnt(1)
	v_cndmask_b32_e64 v48, v49, v38, s[42:43]
	v_cndmask_b32_e64 v49, v39, v49, s[42:43]
	v_cmp_lt_u32_e64 s[8:9], v50, v28
	s_and_saveexec_b64 s[46:47], s[8:9]
	s_cbranch_execz .LBB1960_749
; %bb.738:
	v_cmp_lt_u32_e64 s[8:9], v51, v27
	s_mov_b64 s[56:57], 0
	s_and_saveexec_b64 s[44:45], s[8:9]
	s_cbranch_execz .LBB1960_748
; %bb.739:
	v_lshlrev_b32_e32 v21, 16, v48
	v_add_f32_e32 v22, 0, v21
	s_mov_b32 s8, 0x7f800000
	v_and_b32_e32 v21, 0x7f800000, v22
	v_cmp_ne_u32_e64 s[8:9], s8, v21
                                        ; implicit-def: $vgpr21
	s_and_saveexec_b64 s[56:57], s[8:9]
	s_xor_b64 s[8:9], exec, s[56:57]
; %bb.740:
	v_bfe_u32 v21, v22, 16, 1
	s_movk_i32 s56, 0x7fff
	v_add3_u32 v21, v22, v21, s56
                                        ; implicit-def: $vgpr22
; %bb.741:
	s_andn2_saveexec_b64 s[56:57], s[8:9]
; %bb.742:
	v_mov_b32_e32 v21, 0
	v_or_b32_e32 v52, 0x10000, v22
	v_cmp_eq_u32_sdwa s[8:9], v22, v21 src0_sel:WORD_0 src1_sel:DWORD
	v_cndmask_b32_e64 v21, v52, v22, s[8:9]
; %bb.743:
	s_or_b64 exec, exec, s[56:57]
	v_lshlrev_b32_e32 v22, 16, v49
	v_add_f32_e32 v52, 0, v22
	s_mov_b32 s8, 0x7f800000
	v_and_b32_e32 v22, 0x7f800000, v52
	v_cmp_ne_u32_e64 s[8:9], s8, v22
                                        ; implicit-def: $vgpr22
	s_and_saveexec_b64 s[56:57], s[8:9]
	s_xor_b64 s[8:9], exec, s[56:57]
; %bb.744:
	v_bfe_u32 v22, v52, 16, 1
	s_movk_i32 s56, 0x7fff
	v_add3_u32 v22, v52, v22, s56
                                        ; implicit-def: $vgpr52
; %bb.745:
	s_andn2_saveexec_b64 s[56:57], s[8:9]
; %bb.746:
	v_mov_b32_e32 v22, 0
	v_or_b32_e32 v53, 0x10000, v52
	v_cmp_eq_u32_sdwa s[8:9], v52, v22 src0_sel:WORD_0 src1_sel:DWORD
	v_cndmask_b32_e64 v22, v53, v52, s[8:9]
; %bb.747:
	s_or_b64 exec, exec, s[56:57]
	s_mov_b32 s8, 0x7060302
	v_perm_b32 v52, v22, v21, s8
	v_mov_b32_e32 v53, 0xffff8000
	v_cmp_lt_i32_e64 s[8:9], -1, v21
	v_cndmask_b32_e64 v21, -1, v53, s[8:9]
	v_cmp_lt_i32_e64 s[8:9], -1, v22
	v_cndmask_b32_e64 v22, -1, v53, s[8:9]
	s_mov_b32 s8, 0x5040100
	v_perm_b32 v21, v22, v21, s8
	v_xor_b32_e32 v21, v21, v52
	v_cmp_le_u16_sdwa s[8:9], v21, v21 src0_sel:DWORD src1_sel:WORD_1
	s_and_b64 s[56:57], s[8:9], exec
.LBB1960_748:
	s_or_b64 exec, exec, s[44:45]
	s_orn2_b64 s[44:45], s[56:57], exec
.LBB1960_749:
	s_or_b64 exec, exec, s[46:47]
	v_cndmask_b32_e64 v21, v50, v51, s[44:45]
	v_cndmask_b32_e64 v22, v28, v27, s[44:45]
	v_add_u32_e32 v54, 1, v21
	v_add_u32_e32 v22, -1, v22
	v_min_u32_e32 v22, v54, v22
	v_lshl_add_u32 v14, v22, 1, v14
	ds_read_u16 v52, v14
	v_lshl_add_u32 v14, v21, 3, v8
	ds_read_b64 v[21:22], v14 offset:4096
	v_cndmask_b32_e64 v53, v54, v50, s[44:45]
	v_cndmask_b32_e64 v54, v51, v54, s[44:45]
	s_waitcnt lgkmcnt(1)
	v_cndmask_b32_e64 v14, v52, v48, s[44:45]
	v_cndmask_b32_e64 v52, v49, v52, s[44:45]
	v_cmp_lt_u32_e64 s[8:9], v53, v28
	s_mov_b64 s[56:57], -1
	s_and_saveexec_b64 s[46:47], s[8:9]
	s_cbranch_execz .LBB1960_761
; %bb.750:
	v_cmp_lt_u32_e64 s[8:9], v54, v27
	s_mov_b64 s[58:59], 0
	s_and_saveexec_b64 s[56:57], s[8:9]
	s_cbranch_execz .LBB1960_760
; %bb.751:
	v_lshlrev_b32_e32 v27, 16, v14
	v_add_f32_e32 v28, 0, v27
	s_mov_b32 s8, 0x7f800000
	v_and_b32_e32 v27, 0x7f800000, v28
	v_cmp_ne_u32_e64 s[8:9], s8, v27
                                        ; implicit-def: $vgpr27
	s_and_saveexec_b64 s[58:59], s[8:9]
	s_xor_b64 s[8:9], exec, s[58:59]
; %bb.752:
	v_bfe_u32 v27, v28, 16, 1
	s_movk_i32 s58, 0x7fff
	v_add3_u32 v27, v28, v27, s58
                                        ; implicit-def: $vgpr28
; %bb.753:
	s_andn2_saveexec_b64 s[58:59], s[8:9]
; %bb.754:
	v_mov_b32_e32 v27, 0
	v_or_b32_e32 v50, 0x10000, v28
	v_cmp_eq_u32_sdwa s[8:9], v28, v27 src0_sel:WORD_0 src1_sel:DWORD
	v_cndmask_b32_e64 v27, v50, v28, s[8:9]
; %bb.755:
	s_or_b64 exec, exec, s[58:59]
	v_lshlrev_b32_e32 v28, 16, v52
	v_add_f32_e32 v50, 0, v28
	s_mov_b32 s8, 0x7f800000
	v_and_b32_e32 v28, 0x7f800000, v50
	v_cmp_ne_u32_e64 s[8:9], s8, v28
                                        ; implicit-def: $vgpr28
	s_and_saveexec_b64 s[58:59], s[8:9]
	s_xor_b64 s[8:9], exec, s[58:59]
; %bb.756:
	v_bfe_u32 v28, v50, 16, 1
	s_movk_i32 s58, 0x7fff
	v_add3_u32 v28, v50, v28, s58
                                        ; implicit-def: $vgpr50
; %bb.757:
	s_andn2_saveexec_b64 s[58:59], s[8:9]
; %bb.758:
	v_mov_b32_e32 v28, 0
	v_or_b32_e32 v51, 0x10000, v50
	v_cmp_eq_u32_sdwa s[8:9], v50, v28 src0_sel:WORD_0 src1_sel:DWORD
	v_cndmask_b32_e64 v28, v51, v50, s[8:9]
; %bb.759:
	s_or_b64 exec, exec, s[58:59]
	s_mov_b32 s8, 0x7060302
	v_perm_b32 v50, v28, v27, s8
	v_mov_b32_e32 v51, 0xffff8000
	v_cmp_lt_i32_e64 s[8:9], -1, v27
	v_cndmask_b32_e64 v27, -1, v51, s[8:9]
	v_cmp_lt_i32_e64 s[8:9], -1, v28
	v_cndmask_b32_e64 v28, -1, v51, s[8:9]
	s_mov_b32 s8, 0x5040100
	v_perm_b32 v27, v28, v27, s8
	v_xor_b32_e32 v27, v27, v50
	v_cmp_le_u16_sdwa s[8:9], v27, v27 src0_sel:DWORD src1_sel:WORD_1
	s_and_b64 s[58:59], s[8:9], exec
.LBB1960_760:
	s_or_b64 exec, exec, s[56:57]
	s_orn2_b64 s[56:57], s[58:59], exec
.LBB1960_761:
	s_or_b64 exec, exec, s[46:47]
	v_cndmask_b32_e64 v51, v25, v26, s[28:29]
	v_cndmask_b32_e64 v25, v53, v54, s[56:57]
	v_lshl_add_u32 v8, v25, 3, v8
	ds_read_b64 v[25:26], v8 offset:4096
	v_cndmask_b32_e64 v50, v48, v49, s[44:45]
	v_cndmask_b32_e64 v38, v38, v39, s[42:43]
	;; [unrolled: 1-line block ×7, first 2 shown]
.LBB1960_762:
	s_or_b64 exec, exec, s[22:23]
	v_add_co_u32_e64 v2, s[8:9], v2, v10
	v_addc_co_u32_e64 v3, s[8:9], v3, v11, s[8:9]
	v_add_co_u32_e64 v2, s[8:9], v2, v32
	v_addc_co_u32_e64 v3, s[8:9], 0, v3, s[8:9]
	; wave barrier
	s_waitcnt lgkmcnt(0)
	s_barrier
	; wave barrier
	s_and_saveexec_b64 s[8:9], vcc
	s_cbranch_execnz .LBB1960_780
; %bb.763:
	s_or_b64 exec, exec, s[8:9]
	s_and_saveexec_b64 s[8:9], s[4:5]
	s_cbranch_execnz .LBB1960_781
.LBB1960_764:
	s_or_b64 exec, exec, s[8:9]
	s_and_saveexec_b64 s[8:9], s[6:7]
	s_cbranch_execnz .LBB1960_782
.LBB1960_765:
	s_or_b64 exec, exec, s[8:9]
	s_and_saveexec_b64 s[8:9], s[18:19]
	s_cbranch_execnz .LBB1960_783
.LBB1960_766:
	s_or_b64 exec, exec, s[8:9]
	s_and_saveexec_b64 s[8:9], s[10:11]
	s_cbranch_execnz .LBB1960_784
.LBB1960_767:
	s_or_b64 exec, exec, s[8:9]
	s_and_saveexec_b64 s[8:9], s[20:21]
	s_cbranch_execnz .LBB1960_785
.LBB1960_768:
	s_or_b64 exec, exec, s[8:9]
	s_and_saveexec_b64 s[8:9], s[14:15]
	s_cbranch_execnz .LBB1960_786
.LBB1960_769:
	s_or_b64 exec, exec, s[8:9]
	s_and_saveexec_b64 s[8:9], s[16:17]
	s_cbranch_execz .LBB1960_771
.LBB1960_770:
	flat_store_short v[2:3], v37 offset:14
.LBB1960_771:
	s_or_b64 exec, exec, s[8:9]
	v_add_co_u32_e64 v0, s[8:9], v6, v0
	v_addc_co_u32_e64 v1, s[8:9], v7, v1, s[8:9]
	v_add_co_u32_e64 v0, s[8:9], v0, v33
	v_addc_co_u32_e64 v1, s[8:9], 0, v1, s[8:9]
	; wave barrier
	s_and_saveexec_b64 s[8:9], vcc
	s_cbranch_execnz .LBB1960_787
; %bb.772:
	s_or_b64 exec, exec, s[8:9]
	s_and_saveexec_b64 s[8:9], s[4:5]
	s_cbranch_execnz .LBB1960_788
.LBB1960_773:
	s_or_b64 exec, exec, s[8:9]
	s_and_saveexec_b64 s[4:5], s[6:7]
	s_cbranch_execnz .LBB1960_789
.LBB1960_774:
	s_or_b64 exec, exec, s[4:5]
	s_and_saveexec_b64 s[4:5], s[18:19]
	s_cbranch_execnz .LBB1960_790
.LBB1960_775:
	s_or_b64 exec, exec, s[4:5]
	s_and_saveexec_b64 s[4:5], s[10:11]
	s_cbranch_execnz .LBB1960_791
.LBB1960_776:
	s_or_b64 exec, exec, s[4:5]
	s_and_saveexec_b64 s[4:5], s[20:21]
	s_cbranch_execnz .LBB1960_792
.LBB1960_777:
	s_or_b64 exec, exec, s[4:5]
	s_and_saveexec_b64 s[4:5], s[14:15]
	s_cbranch_execnz .LBB1960_793
.LBB1960_778:
	s_or_b64 exec, exec, s[4:5]
	s_and_saveexec_b64 s[4:5], s[16:17]
	s_cbranch_execnz .LBB1960_794
.LBB1960_779:
	s_or_b64 exec, exec, s[4:5]
	s_waitcnt vmcnt(0) lgkmcnt(0)
	s_setpc_b64 s[30:31]
.LBB1960_780:
	flat_store_short v[2:3], v36
	s_or_b64 exec, exec, s[8:9]
	s_and_saveexec_b64 s[8:9], s[4:5]
	s_cbranch_execz .LBB1960_764
.LBB1960_781:
	flat_store_short v[2:3], v48 offset:2
	s_or_b64 exec, exec, s[8:9]
	s_and_saveexec_b64 s[8:9], s[6:7]
	s_cbranch_execz .LBB1960_765
.LBB1960_782:
	flat_store_short v[2:3], v49 offset:4
	s_or_b64 exec, exec, s[8:9]
	s_and_saveexec_b64 s[8:9], s[18:19]
	s_cbranch_execz .LBB1960_766
.LBB1960_783:
	flat_store_short v[2:3], v51 offset:6
	s_or_b64 exec, exec, s[8:9]
	s_and_saveexec_b64 s[8:9], s[10:11]
	s_cbranch_execz .LBB1960_767
.LBB1960_784:
	flat_store_short v[2:3], v39 offset:8
	s_or_b64 exec, exec, s[8:9]
	s_and_saveexec_b64 s[8:9], s[20:21]
	s_cbranch_execz .LBB1960_768
.LBB1960_785:
	flat_store_short v[2:3], v38 offset:10
	s_or_b64 exec, exec, s[8:9]
	s_and_saveexec_b64 s[8:9], s[14:15]
	s_cbranch_execz .LBB1960_769
.LBB1960_786:
	flat_store_short v[2:3], v50 offset:12
	s_or_b64 exec, exec, s[8:9]
	s_and_saveexec_b64 s[8:9], s[16:17]
	s_cbranch_execnz .LBB1960_770
	s_branch .LBB1960_771
.LBB1960_787:
	flat_store_dwordx2 v[0:1], v[4:5]
	s_or_b64 exec, exec, s[8:9]
	s_and_saveexec_b64 s[8:9], s[4:5]
	s_cbranch_execz .LBB1960_773
.LBB1960_788:
	flat_store_dwordx2 v[0:1], v[12:13] offset:8
	s_or_b64 exec, exec, s[8:9]
	s_and_saveexec_b64 s[4:5], s[6:7]
	s_cbranch_execz .LBB1960_774
.LBB1960_789:
	flat_store_dwordx2 v[0:1], v[15:16] offset:16
	s_or_b64 exec, exec, s[4:5]
	s_and_saveexec_b64 s[4:5], s[18:19]
	s_cbranch_execz .LBB1960_775
.LBB1960_790:
	flat_store_dwordx2 v[0:1], v[17:18] offset:24
	s_or_b64 exec, exec, s[4:5]
	s_and_saveexec_b64 s[4:5], s[10:11]
	s_cbranch_execz .LBB1960_776
.LBB1960_791:
	flat_store_dwordx2 v[0:1], v[19:20] offset:32
	s_or_b64 exec, exec, s[4:5]
	s_and_saveexec_b64 s[4:5], s[20:21]
	s_cbranch_execz .LBB1960_777
.LBB1960_792:
	flat_store_dwordx2 v[0:1], v[23:24] offset:40
	s_or_b64 exec, exec, s[4:5]
	s_and_saveexec_b64 s[4:5], s[14:15]
	s_cbranch_execz .LBB1960_778
.LBB1960_793:
	flat_store_dwordx2 v[0:1], v[21:22] offset:48
	s_or_b64 exec, exec, s[4:5]
	s_and_saveexec_b64 s[4:5], s[16:17]
	s_cbranch_execz .LBB1960_779
.LBB1960_794:
	flat_store_dwordx2 v[0:1], v[25:26] offset:56
	s_or_b64 exec, exec, s[4:5]
	s_waitcnt vmcnt(0) lgkmcnt(0)
	s_setpc_b64 s[30:31]
.Lfunc_end1960:
	.size	_ZN7rocprim17ROCPRIM_400000_NS6detail26segmented_warp_sort_helperINS1_20WarpSortHelperConfigILj16ELj8ELj256EEE12hip_bfloat16lLi256ELb1EvE4sortIPKS5_PS5_PKlPlEEvT_T0_T1_T2_jjjjRNS6_12storage_typeE, .Lfunc_end1960-_ZN7rocprim17ROCPRIM_400000_NS6detail26segmented_warp_sort_helperINS1_20WarpSortHelperConfigILj16ELj8ELj256EEE12hip_bfloat16lLi256ELb1EvE4sortIPKS5_PS5_PKlPlEEvT_T0_T1_T2_jjjjRNS6_12storage_typeE
                                        ; -- End function
	.set .L_ZN7rocprim17ROCPRIM_400000_NS6detail26segmented_warp_sort_helperINS1_20WarpSortHelperConfigILj16ELj8ELj256EEE12hip_bfloat16lLi256ELb1EvE4sortIPKS5_PS5_PKlPlEEvT_T0_T1_T2_jjjjRNS6_12storage_typeE.num_vgpr, 71
	.set .L_ZN7rocprim17ROCPRIM_400000_NS6detail26segmented_warp_sort_helperINS1_20WarpSortHelperConfigILj16ELj8ELj256EEE12hip_bfloat16lLi256ELb1EvE4sortIPKS5_PS5_PKlPlEEvT_T0_T1_T2_jjjjRNS6_12storage_typeE.num_agpr, 0
	.set .L_ZN7rocprim17ROCPRIM_400000_NS6detail26segmented_warp_sort_helperINS1_20WarpSortHelperConfigILj16ELj8ELj256EEE12hip_bfloat16lLi256ELb1EvE4sortIPKS5_PS5_PKlPlEEvT_T0_T1_T2_jjjjRNS6_12storage_typeE.numbered_sgpr, 60
	.set .L_ZN7rocprim17ROCPRIM_400000_NS6detail26segmented_warp_sort_helperINS1_20WarpSortHelperConfigILj16ELj8ELj256EEE12hip_bfloat16lLi256ELb1EvE4sortIPKS5_PS5_PKlPlEEvT_T0_T1_T2_jjjjRNS6_12storage_typeE.num_named_barrier, 0
	.set .L_ZN7rocprim17ROCPRIM_400000_NS6detail26segmented_warp_sort_helperINS1_20WarpSortHelperConfigILj16ELj8ELj256EEE12hip_bfloat16lLi256ELb1EvE4sortIPKS5_PS5_PKlPlEEvT_T0_T1_T2_jjjjRNS6_12storage_typeE.private_seg_size, 0
	.set .L_ZN7rocprim17ROCPRIM_400000_NS6detail26segmented_warp_sort_helperINS1_20WarpSortHelperConfigILj16ELj8ELj256EEE12hip_bfloat16lLi256ELb1EvE4sortIPKS5_PS5_PKlPlEEvT_T0_T1_T2_jjjjRNS6_12storage_typeE.uses_vcc, 1
	.set .L_ZN7rocprim17ROCPRIM_400000_NS6detail26segmented_warp_sort_helperINS1_20WarpSortHelperConfigILj16ELj8ELj256EEE12hip_bfloat16lLi256ELb1EvE4sortIPKS5_PS5_PKlPlEEvT_T0_T1_T2_jjjjRNS6_12storage_typeE.uses_flat_scratch, 0
	.set .L_ZN7rocprim17ROCPRIM_400000_NS6detail26segmented_warp_sort_helperINS1_20WarpSortHelperConfigILj16ELj8ELj256EEE12hip_bfloat16lLi256ELb1EvE4sortIPKS5_PS5_PKlPlEEvT_T0_T1_T2_jjjjRNS6_12storage_typeE.has_dyn_sized_stack, 0
	.set .L_ZN7rocprim17ROCPRIM_400000_NS6detail26segmented_warp_sort_helperINS1_20WarpSortHelperConfigILj16ELj8ELj256EEE12hip_bfloat16lLi256ELb1EvE4sortIPKS5_PS5_PKlPlEEvT_T0_T1_T2_jjjjRNS6_12storage_typeE.has_recursion, 0
	.set .L_ZN7rocprim17ROCPRIM_400000_NS6detail26segmented_warp_sort_helperINS1_20WarpSortHelperConfigILj16ELj8ELj256EEE12hip_bfloat16lLi256ELb1EvE4sortIPKS5_PS5_PKlPlEEvT_T0_T1_T2_jjjjRNS6_12storage_typeE.has_indirect_call, 0
	.section	.AMDGPU.csdata,"",@progbits
; Function info:
; codeLenInByte = 26684
; TotalNumSgprs: 64
; NumVgprs: 71
; ScratchSize: 0
; MemoryBound: 0
	.section	.text._ZN7rocprim17ROCPRIM_400000_NS6detail17trampoline_kernelINS0_14default_configENS1_36segmented_radix_sort_config_selectorI12hip_bfloat16lEEZNS1_25segmented_radix_sort_implIS3_Lb1EPKS5_PS5_PKlPlN2at6native12_GLOBAL__N_18offset_tEEE10hipError_tPvRmT1_PNSt15iterator_traitsISL_E10value_typeET2_T3_PNSM_ISR_E10value_typeET4_jRbjT5_SX_jjP12ihipStream_tbEUlT_E0_NS1_11comp_targetILNS1_3genE2ELNS1_11target_archE906ELNS1_3gpuE6ELNS1_3repE0EEENS1_60segmented_radix_sort_warp_sort_medium_config_static_selectorELNS0_4arch9wavefront6targetE1EEEvSL_,"axG",@progbits,_ZN7rocprim17ROCPRIM_400000_NS6detail17trampoline_kernelINS0_14default_configENS1_36segmented_radix_sort_config_selectorI12hip_bfloat16lEEZNS1_25segmented_radix_sort_implIS3_Lb1EPKS5_PS5_PKlPlN2at6native12_GLOBAL__N_18offset_tEEE10hipError_tPvRmT1_PNSt15iterator_traitsISL_E10value_typeET2_T3_PNSM_ISR_E10value_typeET4_jRbjT5_SX_jjP12ihipStream_tbEUlT_E0_NS1_11comp_targetILNS1_3genE2ELNS1_11target_archE906ELNS1_3gpuE6ELNS1_3repE0EEENS1_60segmented_radix_sort_warp_sort_medium_config_static_selectorELNS0_4arch9wavefront6targetE1EEEvSL_,comdat
	.globl	_ZN7rocprim17ROCPRIM_400000_NS6detail17trampoline_kernelINS0_14default_configENS1_36segmented_radix_sort_config_selectorI12hip_bfloat16lEEZNS1_25segmented_radix_sort_implIS3_Lb1EPKS5_PS5_PKlPlN2at6native12_GLOBAL__N_18offset_tEEE10hipError_tPvRmT1_PNSt15iterator_traitsISL_E10value_typeET2_T3_PNSM_ISR_E10value_typeET4_jRbjT5_SX_jjP12ihipStream_tbEUlT_E0_NS1_11comp_targetILNS1_3genE2ELNS1_11target_archE906ELNS1_3gpuE6ELNS1_3repE0EEENS1_60segmented_radix_sort_warp_sort_medium_config_static_selectorELNS0_4arch9wavefront6targetE1EEEvSL_ ; -- Begin function _ZN7rocprim17ROCPRIM_400000_NS6detail17trampoline_kernelINS0_14default_configENS1_36segmented_radix_sort_config_selectorI12hip_bfloat16lEEZNS1_25segmented_radix_sort_implIS3_Lb1EPKS5_PS5_PKlPlN2at6native12_GLOBAL__N_18offset_tEEE10hipError_tPvRmT1_PNSt15iterator_traitsISL_E10value_typeET2_T3_PNSM_ISR_E10value_typeET4_jRbjT5_SX_jjP12ihipStream_tbEUlT_E0_NS1_11comp_targetILNS1_3genE2ELNS1_11target_archE906ELNS1_3gpuE6ELNS1_3repE0EEENS1_60segmented_radix_sort_warp_sort_medium_config_static_selectorELNS0_4arch9wavefront6targetE1EEEvSL_
	.p2align	8
	.type	_ZN7rocprim17ROCPRIM_400000_NS6detail17trampoline_kernelINS0_14default_configENS1_36segmented_radix_sort_config_selectorI12hip_bfloat16lEEZNS1_25segmented_radix_sort_implIS3_Lb1EPKS5_PS5_PKlPlN2at6native12_GLOBAL__N_18offset_tEEE10hipError_tPvRmT1_PNSt15iterator_traitsISL_E10value_typeET2_T3_PNSM_ISR_E10value_typeET4_jRbjT5_SX_jjP12ihipStream_tbEUlT_E0_NS1_11comp_targetILNS1_3genE2ELNS1_11target_archE906ELNS1_3gpuE6ELNS1_3repE0EEENS1_60segmented_radix_sort_warp_sort_medium_config_static_selectorELNS0_4arch9wavefront6targetE1EEEvSL_,@function
_ZN7rocprim17ROCPRIM_400000_NS6detail17trampoline_kernelINS0_14default_configENS1_36segmented_radix_sort_config_selectorI12hip_bfloat16lEEZNS1_25segmented_radix_sort_implIS3_Lb1EPKS5_PS5_PKlPlN2at6native12_GLOBAL__N_18offset_tEEE10hipError_tPvRmT1_PNSt15iterator_traitsISL_E10value_typeET2_T3_PNSM_ISR_E10value_typeET4_jRbjT5_SX_jjP12ihipStream_tbEUlT_E0_NS1_11comp_targetILNS1_3genE2ELNS1_11target_archE906ELNS1_3gpuE6ELNS1_3repE0EEENS1_60segmented_radix_sort_warp_sort_medium_config_static_selectorELNS0_4arch9wavefront6targetE1EEEvSL_: ; @_ZN7rocprim17ROCPRIM_400000_NS6detail17trampoline_kernelINS0_14default_configENS1_36segmented_radix_sort_config_selectorI12hip_bfloat16lEEZNS1_25segmented_radix_sort_implIS3_Lb1EPKS5_PS5_PKlPlN2at6native12_GLOBAL__N_18offset_tEEE10hipError_tPvRmT1_PNSt15iterator_traitsISL_E10value_typeET2_T3_PNSM_ISR_E10value_typeET4_jRbjT5_SX_jjP12ihipStream_tbEUlT_E0_NS1_11comp_targetILNS1_3genE2ELNS1_11target_archE906ELNS1_3gpuE6ELNS1_3repE0EEENS1_60segmented_radix_sort_warp_sort_medium_config_static_selectorELNS0_4arch9wavefront6targetE1EEEvSL_
; %bb.0:
	s_add_u32 s0, s0, s8
	s_load_dword s8, s[4:5], 0x64
	s_addc_u32 s1, s1, 0
	s_mov_b32 s32, 0
	s_waitcnt lgkmcnt(0)
	s_lshr_b32 s9, s8, 16
	s_and_b32 s8, s8, 0xffff
	v_mad_u32_u24 v3, v2, s9, v1
	v_mad_u64_u32 v[3:4], s[8:9], v3, s8, v[0:1]
	s_load_dword s8, s[4:5], 0x34
	v_lshrrev_b32_e32 v3, 4, v3
	v_lshl_add_u32 v3, s6, 4, v3
	s_waitcnt lgkmcnt(0)
	v_cmp_gt_u32_e32 vcc, s8, v3
	s_and_saveexec_b64 s[8:9], vcc
	s_cbranch_execz .LBB1961_6
; %bb.1:
	s_load_dwordx2 s[12:13], s[4:5], 0x38
	s_load_dwordx4 s[8:11], s[4:5], 0x40
	v_mov_b32_e32 v4, 0
	v_lshlrev_b64 v[3:4], 2, v[3:4]
	s_waitcnt lgkmcnt(0)
	v_mov_b32_e32 v5, s13
	v_add_co_u32_e32 v3, vcc, s12, v3
	v_addc_co_u32_e32 v4, vcc, v5, v4, vcc
	global_load_dword v3, v[3:4], off
	s_waitcnt vmcnt(0)
	v_add_u32_e32 v4, s9, v3
	v_add_u32_e32 v3, s11, v3
	v_mul_lo_u32 v40, v4, s8
	v_mul_lo_u32 v41, v3, s10
	v_cmp_gt_u32_e32 vcc, v41, v40
	s_and_b64 exec, exec, vcc
	s_cbranch_execz .LBB1961_6
; %bb.2:
	s_load_dword s10, s[4:5], 0x30
	s_load_dwordx4 s[36:39], s[4:5], 0x20
	s_load_dwordx8 s[48:55], s[4:5], 0x0
	s_mov_b64 s[8:9], -1
	v_lshlrev_b32_e32 v43, 20, v2
	s_waitcnt lgkmcnt(0)
	s_bitcmp0_b32 s10, 0
	v_lshlrev_b32_e32 v44, 10, v1
	s_cbranch_scc0 .LBB1961_4
; %bb.3:
	s_add_u32 s8, s4, 0x58
	s_addc_u32 s9, s5, 0
	s_getpc_b64 s[10:11]
	s_add_u32 s10, s10, _ZN7rocprim17ROCPRIM_400000_NS6detail26segmented_warp_sort_helperINS1_20WarpSortHelperConfigILj16ELj8ELj256EEE12hip_bfloat16lLi256ELb1EvE4sortIPKS5_PS5_PKlPlEEvT_T0_T1_T2_jjjjRNS6_12storage_typeE@rel32@lo+4
	s_addc_u32 s11, s11, _ZN7rocprim17ROCPRIM_400000_NS6detail26segmented_warp_sort_helperINS1_20WarpSortHelperConfigILj16ELj8ELj256EEE12hip_bfloat16lLi256ELb1EvE4sortIPKS5_PS5_PKlPlEEvT_T0_T1_T2_jjjjRNS6_12storage_typeE@rel32@hi+12
	v_or3_b32 v31, v0, v44, v43
	s_mov_b32 s12, s6
	s_mov_b32 s13, s7
	v_mov_b32_e32 v42, v0
	v_mov_b32_e32 v0, s48
	;; [unrolled: 1-line block ×11, first 2 shown]
	s_mov_b64 s[34:35], s[4:5]
	s_mov_b32 s36, s7
	s_mov_b32 s33, s6
	s_swappc_b64 s[30:31], s[10:11]
	v_mov_b32_e32 v0, v42
	s_mov_b32 s6, s33
	s_mov_b32 s7, s36
	s_mov_b64 s[4:5], s[34:35]
	s_mov_b64 s[8:9], 0
.LBB1961_4:
	s_andn2_b64 vcc, exec, s[8:9]
	s_cbranch_vccnz .LBB1961_6
; %bb.5:
	s_add_u32 s8, s4, 0x58
	s_addc_u32 s9, s5, 0
	s_getpc_b64 s[4:5]
	s_add_u32 s4, s4, _ZN7rocprim17ROCPRIM_400000_NS6detail26segmented_warp_sort_helperINS1_20WarpSortHelperConfigILj16ELj8ELj256EEE12hip_bfloat16lLi256ELb1EvE4sortIPKS5_PS5_PKlPlEEvT_T0_T1_T2_jjjjRNS6_12storage_typeE@rel32@lo+4
	s_addc_u32 s5, s5, _ZN7rocprim17ROCPRIM_400000_NS6detail26segmented_warp_sort_helperINS1_20WarpSortHelperConfigILj16ELj8ELj256EEE12hip_bfloat16lLi256ELb1EvE4sortIPKS5_PS5_PKlPlEEvT_T0_T1_T2_jjjjRNS6_12storage_typeE@rel32@hi+12
	v_or3_b32 v31, v0, v44, v43
	s_mov_b32 s12, s6
	s_mov_b32 s13, s7
	v_mov_b32_e32 v0, s48
	v_mov_b32_e32 v1, s49
	;; [unrolled: 1-line block ×10, first 2 shown]
	s_swappc_b64 s[30:31], s[4:5]
.LBB1961_6:
	s_endpgm
	.section	.rodata,"a",@progbits
	.p2align	6, 0x0
	.amdhsa_kernel _ZN7rocprim17ROCPRIM_400000_NS6detail17trampoline_kernelINS0_14default_configENS1_36segmented_radix_sort_config_selectorI12hip_bfloat16lEEZNS1_25segmented_radix_sort_implIS3_Lb1EPKS5_PS5_PKlPlN2at6native12_GLOBAL__N_18offset_tEEE10hipError_tPvRmT1_PNSt15iterator_traitsISL_E10value_typeET2_T3_PNSM_ISR_E10value_typeET4_jRbjT5_SX_jjP12ihipStream_tbEUlT_E0_NS1_11comp_targetILNS1_3genE2ELNS1_11target_archE906ELNS1_3gpuE6ELNS1_3repE0EEENS1_60segmented_radix_sort_warp_sort_medium_config_static_selectorELNS0_4arch9wavefront6targetE1EEEvSL_
		.amdhsa_group_segment_fixed_size 20480
		.amdhsa_private_segment_fixed_size 0
		.amdhsa_kernarg_size 344
		.amdhsa_user_sgpr_count 6
		.amdhsa_user_sgpr_private_segment_buffer 1
		.amdhsa_user_sgpr_dispatch_ptr 0
		.amdhsa_user_sgpr_queue_ptr 0
		.amdhsa_user_sgpr_kernarg_segment_ptr 1
		.amdhsa_user_sgpr_dispatch_id 0
		.amdhsa_user_sgpr_flat_scratch_init 0
		.amdhsa_user_sgpr_private_segment_size 0
		.amdhsa_uses_dynamic_stack 0
		.amdhsa_system_sgpr_private_segment_wavefront_offset 0
		.amdhsa_system_sgpr_workgroup_id_x 1
		.amdhsa_system_sgpr_workgroup_id_y 1
		.amdhsa_system_sgpr_workgroup_id_z 0
		.amdhsa_system_sgpr_workgroup_info 0
		.amdhsa_system_vgpr_workitem_id 2
		.amdhsa_next_free_vgpr 71
		.amdhsa_next_free_sgpr 98
		.amdhsa_reserve_vcc 1
		.amdhsa_reserve_flat_scratch 0
		.amdhsa_float_round_mode_32 0
		.amdhsa_float_round_mode_16_64 0
		.amdhsa_float_denorm_mode_32 3
		.amdhsa_float_denorm_mode_16_64 3
		.amdhsa_dx10_clamp 1
		.amdhsa_ieee_mode 1
		.amdhsa_fp16_overflow 0
		.amdhsa_exception_fp_ieee_invalid_op 0
		.amdhsa_exception_fp_denorm_src 0
		.amdhsa_exception_fp_ieee_div_zero 0
		.amdhsa_exception_fp_ieee_overflow 0
		.amdhsa_exception_fp_ieee_underflow 0
		.amdhsa_exception_fp_ieee_inexact 0
		.amdhsa_exception_int_div_zero 0
	.end_amdhsa_kernel
	.section	.text._ZN7rocprim17ROCPRIM_400000_NS6detail17trampoline_kernelINS0_14default_configENS1_36segmented_radix_sort_config_selectorI12hip_bfloat16lEEZNS1_25segmented_radix_sort_implIS3_Lb1EPKS5_PS5_PKlPlN2at6native12_GLOBAL__N_18offset_tEEE10hipError_tPvRmT1_PNSt15iterator_traitsISL_E10value_typeET2_T3_PNSM_ISR_E10value_typeET4_jRbjT5_SX_jjP12ihipStream_tbEUlT_E0_NS1_11comp_targetILNS1_3genE2ELNS1_11target_archE906ELNS1_3gpuE6ELNS1_3repE0EEENS1_60segmented_radix_sort_warp_sort_medium_config_static_selectorELNS0_4arch9wavefront6targetE1EEEvSL_,"axG",@progbits,_ZN7rocprim17ROCPRIM_400000_NS6detail17trampoline_kernelINS0_14default_configENS1_36segmented_radix_sort_config_selectorI12hip_bfloat16lEEZNS1_25segmented_radix_sort_implIS3_Lb1EPKS5_PS5_PKlPlN2at6native12_GLOBAL__N_18offset_tEEE10hipError_tPvRmT1_PNSt15iterator_traitsISL_E10value_typeET2_T3_PNSM_ISR_E10value_typeET4_jRbjT5_SX_jjP12ihipStream_tbEUlT_E0_NS1_11comp_targetILNS1_3genE2ELNS1_11target_archE906ELNS1_3gpuE6ELNS1_3repE0EEENS1_60segmented_radix_sort_warp_sort_medium_config_static_selectorELNS0_4arch9wavefront6targetE1EEEvSL_,comdat
.Lfunc_end1961:
	.size	_ZN7rocprim17ROCPRIM_400000_NS6detail17trampoline_kernelINS0_14default_configENS1_36segmented_radix_sort_config_selectorI12hip_bfloat16lEEZNS1_25segmented_radix_sort_implIS3_Lb1EPKS5_PS5_PKlPlN2at6native12_GLOBAL__N_18offset_tEEE10hipError_tPvRmT1_PNSt15iterator_traitsISL_E10value_typeET2_T3_PNSM_ISR_E10value_typeET4_jRbjT5_SX_jjP12ihipStream_tbEUlT_E0_NS1_11comp_targetILNS1_3genE2ELNS1_11target_archE906ELNS1_3gpuE6ELNS1_3repE0EEENS1_60segmented_radix_sort_warp_sort_medium_config_static_selectorELNS0_4arch9wavefront6targetE1EEEvSL_, .Lfunc_end1961-_ZN7rocprim17ROCPRIM_400000_NS6detail17trampoline_kernelINS0_14default_configENS1_36segmented_radix_sort_config_selectorI12hip_bfloat16lEEZNS1_25segmented_radix_sort_implIS3_Lb1EPKS5_PS5_PKlPlN2at6native12_GLOBAL__N_18offset_tEEE10hipError_tPvRmT1_PNSt15iterator_traitsISL_E10value_typeET2_T3_PNSM_ISR_E10value_typeET4_jRbjT5_SX_jjP12ihipStream_tbEUlT_E0_NS1_11comp_targetILNS1_3genE2ELNS1_11target_archE906ELNS1_3gpuE6ELNS1_3repE0EEENS1_60segmented_radix_sort_warp_sort_medium_config_static_selectorELNS0_4arch9wavefront6targetE1EEEvSL_
                                        ; -- End function
	.set _ZN7rocprim17ROCPRIM_400000_NS6detail17trampoline_kernelINS0_14default_configENS1_36segmented_radix_sort_config_selectorI12hip_bfloat16lEEZNS1_25segmented_radix_sort_implIS3_Lb1EPKS5_PS5_PKlPlN2at6native12_GLOBAL__N_18offset_tEEE10hipError_tPvRmT1_PNSt15iterator_traitsISL_E10value_typeET2_T3_PNSM_ISR_E10value_typeET4_jRbjT5_SX_jjP12ihipStream_tbEUlT_E0_NS1_11comp_targetILNS1_3genE2ELNS1_11target_archE906ELNS1_3gpuE6ELNS1_3repE0EEENS1_60segmented_radix_sort_warp_sort_medium_config_static_selectorELNS0_4arch9wavefront6targetE1EEEvSL_.num_vgpr, max(45, .L_ZN7rocprim17ROCPRIM_400000_NS6detail26segmented_warp_sort_helperINS1_20WarpSortHelperConfigILj16ELj8ELj256EEE12hip_bfloat16lLi256ELb1EvE4sortIPKS5_PS5_PKlPlEEvT_T0_T1_T2_jjjjRNS6_12storage_typeE.num_vgpr)
	.set _ZN7rocprim17ROCPRIM_400000_NS6detail17trampoline_kernelINS0_14default_configENS1_36segmented_radix_sort_config_selectorI12hip_bfloat16lEEZNS1_25segmented_radix_sort_implIS3_Lb1EPKS5_PS5_PKlPlN2at6native12_GLOBAL__N_18offset_tEEE10hipError_tPvRmT1_PNSt15iterator_traitsISL_E10value_typeET2_T3_PNSM_ISR_E10value_typeET4_jRbjT5_SX_jjP12ihipStream_tbEUlT_E0_NS1_11comp_targetILNS1_3genE2ELNS1_11target_archE906ELNS1_3gpuE6ELNS1_3repE0EEENS1_60segmented_radix_sort_warp_sort_medium_config_static_selectorELNS0_4arch9wavefront6targetE1EEEvSL_.num_agpr, max(0, .L_ZN7rocprim17ROCPRIM_400000_NS6detail26segmented_warp_sort_helperINS1_20WarpSortHelperConfigILj16ELj8ELj256EEE12hip_bfloat16lLi256ELb1EvE4sortIPKS5_PS5_PKlPlEEvT_T0_T1_T2_jjjjRNS6_12storage_typeE.num_agpr)
	.set _ZN7rocprim17ROCPRIM_400000_NS6detail17trampoline_kernelINS0_14default_configENS1_36segmented_radix_sort_config_selectorI12hip_bfloat16lEEZNS1_25segmented_radix_sort_implIS3_Lb1EPKS5_PS5_PKlPlN2at6native12_GLOBAL__N_18offset_tEEE10hipError_tPvRmT1_PNSt15iterator_traitsISL_E10value_typeET2_T3_PNSM_ISR_E10value_typeET4_jRbjT5_SX_jjP12ihipStream_tbEUlT_E0_NS1_11comp_targetILNS1_3genE2ELNS1_11target_archE906ELNS1_3gpuE6ELNS1_3repE0EEENS1_60segmented_radix_sort_warp_sort_medium_config_static_selectorELNS0_4arch9wavefront6targetE1EEEvSL_.numbered_sgpr, max(56, .L_ZN7rocprim17ROCPRIM_400000_NS6detail26segmented_warp_sort_helperINS1_20WarpSortHelperConfigILj16ELj8ELj256EEE12hip_bfloat16lLi256ELb1EvE4sortIPKS5_PS5_PKlPlEEvT_T0_T1_T2_jjjjRNS6_12storage_typeE.numbered_sgpr)
	.set _ZN7rocprim17ROCPRIM_400000_NS6detail17trampoline_kernelINS0_14default_configENS1_36segmented_radix_sort_config_selectorI12hip_bfloat16lEEZNS1_25segmented_radix_sort_implIS3_Lb1EPKS5_PS5_PKlPlN2at6native12_GLOBAL__N_18offset_tEEE10hipError_tPvRmT1_PNSt15iterator_traitsISL_E10value_typeET2_T3_PNSM_ISR_E10value_typeET4_jRbjT5_SX_jjP12ihipStream_tbEUlT_E0_NS1_11comp_targetILNS1_3genE2ELNS1_11target_archE906ELNS1_3gpuE6ELNS1_3repE0EEENS1_60segmented_radix_sort_warp_sort_medium_config_static_selectorELNS0_4arch9wavefront6targetE1EEEvSL_.num_named_barrier, max(0, .L_ZN7rocprim17ROCPRIM_400000_NS6detail26segmented_warp_sort_helperINS1_20WarpSortHelperConfigILj16ELj8ELj256EEE12hip_bfloat16lLi256ELb1EvE4sortIPKS5_PS5_PKlPlEEvT_T0_T1_T2_jjjjRNS6_12storage_typeE.num_named_barrier)
	.set _ZN7rocprim17ROCPRIM_400000_NS6detail17trampoline_kernelINS0_14default_configENS1_36segmented_radix_sort_config_selectorI12hip_bfloat16lEEZNS1_25segmented_radix_sort_implIS3_Lb1EPKS5_PS5_PKlPlN2at6native12_GLOBAL__N_18offset_tEEE10hipError_tPvRmT1_PNSt15iterator_traitsISL_E10value_typeET2_T3_PNSM_ISR_E10value_typeET4_jRbjT5_SX_jjP12ihipStream_tbEUlT_E0_NS1_11comp_targetILNS1_3genE2ELNS1_11target_archE906ELNS1_3gpuE6ELNS1_3repE0EEENS1_60segmented_radix_sort_warp_sort_medium_config_static_selectorELNS0_4arch9wavefront6targetE1EEEvSL_.private_seg_size, 0+max(.L_ZN7rocprim17ROCPRIM_400000_NS6detail26segmented_warp_sort_helperINS1_20WarpSortHelperConfigILj16ELj8ELj256EEE12hip_bfloat16lLi256ELb1EvE4sortIPKS5_PS5_PKlPlEEvT_T0_T1_T2_jjjjRNS6_12storage_typeE.private_seg_size)
	.set _ZN7rocprim17ROCPRIM_400000_NS6detail17trampoline_kernelINS0_14default_configENS1_36segmented_radix_sort_config_selectorI12hip_bfloat16lEEZNS1_25segmented_radix_sort_implIS3_Lb1EPKS5_PS5_PKlPlN2at6native12_GLOBAL__N_18offset_tEEE10hipError_tPvRmT1_PNSt15iterator_traitsISL_E10value_typeET2_T3_PNSM_ISR_E10value_typeET4_jRbjT5_SX_jjP12ihipStream_tbEUlT_E0_NS1_11comp_targetILNS1_3genE2ELNS1_11target_archE906ELNS1_3gpuE6ELNS1_3repE0EEENS1_60segmented_radix_sort_warp_sort_medium_config_static_selectorELNS0_4arch9wavefront6targetE1EEEvSL_.uses_vcc, or(1, .L_ZN7rocprim17ROCPRIM_400000_NS6detail26segmented_warp_sort_helperINS1_20WarpSortHelperConfigILj16ELj8ELj256EEE12hip_bfloat16lLi256ELb1EvE4sortIPKS5_PS5_PKlPlEEvT_T0_T1_T2_jjjjRNS6_12storage_typeE.uses_vcc)
	.set _ZN7rocprim17ROCPRIM_400000_NS6detail17trampoline_kernelINS0_14default_configENS1_36segmented_radix_sort_config_selectorI12hip_bfloat16lEEZNS1_25segmented_radix_sort_implIS3_Lb1EPKS5_PS5_PKlPlN2at6native12_GLOBAL__N_18offset_tEEE10hipError_tPvRmT1_PNSt15iterator_traitsISL_E10value_typeET2_T3_PNSM_ISR_E10value_typeET4_jRbjT5_SX_jjP12ihipStream_tbEUlT_E0_NS1_11comp_targetILNS1_3genE2ELNS1_11target_archE906ELNS1_3gpuE6ELNS1_3repE0EEENS1_60segmented_radix_sort_warp_sort_medium_config_static_selectorELNS0_4arch9wavefront6targetE1EEEvSL_.uses_flat_scratch, or(0, .L_ZN7rocprim17ROCPRIM_400000_NS6detail26segmented_warp_sort_helperINS1_20WarpSortHelperConfigILj16ELj8ELj256EEE12hip_bfloat16lLi256ELb1EvE4sortIPKS5_PS5_PKlPlEEvT_T0_T1_T2_jjjjRNS6_12storage_typeE.uses_flat_scratch)
	.set _ZN7rocprim17ROCPRIM_400000_NS6detail17trampoline_kernelINS0_14default_configENS1_36segmented_radix_sort_config_selectorI12hip_bfloat16lEEZNS1_25segmented_radix_sort_implIS3_Lb1EPKS5_PS5_PKlPlN2at6native12_GLOBAL__N_18offset_tEEE10hipError_tPvRmT1_PNSt15iterator_traitsISL_E10value_typeET2_T3_PNSM_ISR_E10value_typeET4_jRbjT5_SX_jjP12ihipStream_tbEUlT_E0_NS1_11comp_targetILNS1_3genE2ELNS1_11target_archE906ELNS1_3gpuE6ELNS1_3repE0EEENS1_60segmented_radix_sort_warp_sort_medium_config_static_selectorELNS0_4arch9wavefront6targetE1EEEvSL_.has_dyn_sized_stack, or(0, .L_ZN7rocprim17ROCPRIM_400000_NS6detail26segmented_warp_sort_helperINS1_20WarpSortHelperConfigILj16ELj8ELj256EEE12hip_bfloat16lLi256ELb1EvE4sortIPKS5_PS5_PKlPlEEvT_T0_T1_T2_jjjjRNS6_12storage_typeE.has_dyn_sized_stack)
	.set _ZN7rocprim17ROCPRIM_400000_NS6detail17trampoline_kernelINS0_14default_configENS1_36segmented_radix_sort_config_selectorI12hip_bfloat16lEEZNS1_25segmented_radix_sort_implIS3_Lb1EPKS5_PS5_PKlPlN2at6native12_GLOBAL__N_18offset_tEEE10hipError_tPvRmT1_PNSt15iterator_traitsISL_E10value_typeET2_T3_PNSM_ISR_E10value_typeET4_jRbjT5_SX_jjP12ihipStream_tbEUlT_E0_NS1_11comp_targetILNS1_3genE2ELNS1_11target_archE906ELNS1_3gpuE6ELNS1_3repE0EEENS1_60segmented_radix_sort_warp_sort_medium_config_static_selectorELNS0_4arch9wavefront6targetE1EEEvSL_.has_recursion, or(0, .L_ZN7rocprim17ROCPRIM_400000_NS6detail26segmented_warp_sort_helperINS1_20WarpSortHelperConfigILj16ELj8ELj256EEE12hip_bfloat16lLi256ELb1EvE4sortIPKS5_PS5_PKlPlEEvT_T0_T1_T2_jjjjRNS6_12storage_typeE.has_recursion)
	.set _ZN7rocprim17ROCPRIM_400000_NS6detail17trampoline_kernelINS0_14default_configENS1_36segmented_radix_sort_config_selectorI12hip_bfloat16lEEZNS1_25segmented_radix_sort_implIS3_Lb1EPKS5_PS5_PKlPlN2at6native12_GLOBAL__N_18offset_tEEE10hipError_tPvRmT1_PNSt15iterator_traitsISL_E10value_typeET2_T3_PNSM_ISR_E10value_typeET4_jRbjT5_SX_jjP12ihipStream_tbEUlT_E0_NS1_11comp_targetILNS1_3genE2ELNS1_11target_archE906ELNS1_3gpuE6ELNS1_3repE0EEENS1_60segmented_radix_sort_warp_sort_medium_config_static_selectorELNS0_4arch9wavefront6targetE1EEEvSL_.has_indirect_call, or(0, .L_ZN7rocprim17ROCPRIM_400000_NS6detail26segmented_warp_sort_helperINS1_20WarpSortHelperConfigILj16ELj8ELj256EEE12hip_bfloat16lLi256ELb1EvE4sortIPKS5_PS5_PKlPlEEvT_T0_T1_T2_jjjjRNS6_12storage_typeE.has_indirect_call)
	.section	.AMDGPU.csdata,"",@progbits
; Kernel info:
; codeLenInByte = 460
; TotalNumSgprs: 64
; NumVgprs: 71
; ScratchSize: 0
; MemoryBound: 0
; FloatMode: 240
; IeeeMode: 1
; LDSByteSize: 20480 bytes/workgroup (compile time only)
; SGPRBlocks: 12
; VGPRBlocks: 17
; NumSGPRsForWavesPerEU: 102
; NumVGPRsForWavesPerEU: 71
; Occupancy: 3
; WaveLimiterHint : 0
; COMPUTE_PGM_RSRC2:SCRATCH_EN: 0
; COMPUTE_PGM_RSRC2:USER_SGPR: 6
; COMPUTE_PGM_RSRC2:TRAP_HANDLER: 0
; COMPUTE_PGM_RSRC2:TGID_X_EN: 1
; COMPUTE_PGM_RSRC2:TGID_Y_EN: 1
; COMPUTE_PGM_RSRC2:TGID_Z_EN: 0
; COMPUTE_PGM_RSRC2:TIDIG_COMP_CNT: 2
	.section	.text._ZN7rocprim17ROCPRIM_400000_NS6detail17trampoline_kernelINS0_14default_configENS1_36segmented_radix_sort_config_selectorI12hip_bfloat16lEEZNS1_25segmented_radix_sort_implIS3_Lb1EPKS5_PS5_PKlPlN2at6native12_GLOBAL__N_18offset_tEEE10hipError_tPvRmT1_PNSt15iterator_traitsISL_E10value_typeET2_T3_PNSM_ISR_E10value_typeET4_jRbjT5_SX_jjP12ihipStream_tbEUlT_E0_NS1_11comp_targetILNS1_3genE10ELNS1_11target_archE1201ELNS1_3gpuE5ELNS1_3repE0EEENS1_60segmented_radix_sort_warp_sort_medium_config_static_selectorELNS0_4arch9wavefront6targetE1EEEvSL_,"axG",@progbits,_ZN7rocprim17ROCPRIM_400000_NS6detail17trampoline_kernelINS0_14default_configENS1_36segmented_radix_sort_config_selectorI12hip_bfloat16lEEZNS1_25segmented_radix_sort_implIS3_Lb1EPKS5_PS5_PKlPlN2at6native12_GLOBAL__N_18offset_tEEE10hipError_tPvRmT1_PNSt15iterator_traitsISL_E10value_typeET2_T3_PNSM_ISR_E10value_typeET4_jRbjT5_SX_jjP12ihipStream_tbEUlT_E0_NS1_11comp_targetILNS1_3genE10ELNS1_11target_archE1201ELNS1_3gpuE5ELNS1_3repE0EEENS1_60segmented_radix_sort_warp_sort_medium_config_static_selectorELNS0_4arch9wavefront6targetE1EEEvSL_,comdat
	.globl	_ZN7rocprim17ROCPRIM_400000_NS6detail17trampoline_kernelINS0_14default_configENS1_36segmented_radix_sort_config_selectorI12hip_bfloat16lEEZNS1_25segmented_radix_sort_implIS3_Lb1EPKS5_PS5_PKlPlN2at6native12_GLOBAL__N_18offset_tEEE10hipError_tPvRmT1_PNSt15iterator_traitsISL_E10value_typeET2_T3_PNSM_ISR_E10value_typeET4_jRbjT5_SX_jjP12ihipStream_tbEUlT_E0_NS1_11comp_targetILNS1_3genE10ELNS1_11target_archE1201ELNS1_3gpuE5ELNS1_3repE0EEENS1_60segmented_radix_sort_warp_sort_medium_config_static_selectorELNS0_4arch9wavefront6targetE1EEEvSL_ ; -- Begin function _ZN7rocprim17ROCPRIM_400000_NS6detail17trampoline_kernelINS0_14default_configENS1_36segmented_radix_sort_config_selectorI12hip_bfloat16lEEZNS1_25segmented_radix_sort_implIS3_Lb1EPKS5_PS5_PKlPlN2at6native12_GLOBAL__N_18offset_tEEE10hipError_tPvRmT1_PNSt15iterator_traitsISL_E10value_typeET2_T3_PNSM_ISR_E10value_typeET4_jRbjT5_SX_jjP12ihipStream_tbEUlT_E0_NS1_11comp_targetILNS1_3genE10ELNS1_11target_archE1201ELNS1_3gpuE5ELNS1_3repE0EEENS1_60segmented_radix_sort_warp_sort_medium_config_static_selectorELNS0_4arch9wavefront6targetE1EEEvSL_
	.p2align	8
	.type	_ZN7rocprim17ROCPRIM_400000_NS6detail17trampoline_kernelINS0_14default_configENS1_36segmented_radix_sort_config_selectorI12hip_bfloat16lEEZNS1_25segmented_radix_sort_implIS3_Lb1EPKS5_PS5_PKlPlN2at6native12_GLOBAL__N_18offset_tEEE10hipError_tPvRmT1_PNSt15iterator_traitsISL_E10value_typeET2_T3_PNSM_ISR_E10value_typeET4_jRbjT5_SX_jjP12ihipStream_tbEUlT_E0_NS1_11comp_targetILNS1_3genE10ELNS1_11target_archE1201ELNS1_3gpuE5ELNS1_3repE0EEENS1_60segmented_radix_sort_warp_sort_medium_config_static_selectorELNS0_4arch9wavefront6targetE1EEEvSL_,@function
_ZN7rocprim17ROCPRIM_400000_NS6detail17trampoline_kernelINS0_14default_configENS1_36segmented_radix_sort_config_selectorI12hip_bfloat16lEEZNS1_25segmented_radix_sort_implIS3_Lb1EPKS5_PS5_PKlPlN2at6native12_GLOBAL__N_18offset_tEEE10hipError_tPvRmT1_PNSt15iterator_traitsISL_E10value_typeET2_T3_PNSM_ISR_E10value_typeET4_jRbjT5_SX_jjP12ihipStream_tbEUlT_E0_NS1_11comp_targetILNS1_3genE10ELNS1_11target_archE1201ELNS1_3gpuE5ELNS1_3repE0EEENS1_60segmented_radix_sort_warp_sort_medium_config_static_selectorELNS0_4arch9wavefront6targetE1EEEvSL_: ; @_ZN7rocprim17ROCPRIM_400000_NS6detail17trampoline_kernelINS0_14default_configENS1_36segmented_radix_sort_config_selectorI12hip_bfloat16lEEZNS1_25segmented_radix_sort_implIS3_Lb1EPKS5_PS5_PKlPlN2at6native12_GLOBAL__N_18offset_tEEE10hipError_tPvRmT1_PNSt15iterator_traitsISL_E10value_typeET2_T3_PNSM_ISR_E10value_typeET4_jRbjT5_SX_jjP12ihipStream_tbEUlT_E0_NS1_11comp_targetILNS1_3genE10ELNS1_11target_archE1201ELNS1_3gpuE5ELNS1_3repE0EEENS1_60segmented_radix_sort_warp_sort_medium_config_static_selectorELNS0_4arch9wavefront6targetE1EEEvSL_
; %bb.0:
	.section	.rodata,"a",@progbits
	.p2align	6, 0x0
	.amdhsa_kernel _ZN7rocprim17ROCPRIM_400000_NS6detail17trampoline_kernelINS0_14default_configENS1_36segmented_radix_sort_config_selectorI12hip_bfloat16lEEZNS1_25segmented_radix_sort_implIS3_Lb1EPKS5_PS5_PKlPlN2at6native12_GLOBAL__N_18offset_tEEE10hipError_tPvRmT1_PNSt15iterator_traitsISL_E10value_typeET2_T3_PNSM_ISR_E10value_typeET4_jRbjT5_SX_jjP12ihipStream_tbEUlT_E0_NS1_11comp_targetILNS1_3genE10ELNS1_11target_archE1201ELNS1_3gpuE5ELNS1_3repE0EEENS1_60segmented_radix_sort_warp_sort_medium_config_static_selectorELNS0_4arch9wavefront6targetE1EEEvSL_
		.amdhsa_group_segment_fixed_size 0
		.amdhsa_private_segment_fixed_size 0
		.amdhsa_kernarg_size 88
		.amdhsa_user_sgpr_count 6
		.amdhsa_user_sgpr_private_segment_buffer 1
		.amdhsa_user_sgpr_dispatch_ptr 0
		.amdhsa_user_sgpr_queue_ptr 0
		.amdhsa_user_sgpr_kernarg_segment_ptr 1
		.amdhsa_user_sgpr_dispatch_id 0
		.amdhsa_user_sgpr_flat_scratch_init 0
		.amdhsa_user_sgpr_private_segment_size 0
		.amdhsa_uses_dynamic_stack 0
		.amdhsa_system_sgpr_private_segment_wavefront_offset 0
		.amdhsa_system_sgpr_workgroup_id_x 1
		.amdhsa_system_sgpr_workgroup_id_y 0
		.amdhsa_system_sgpr_workgroup_id_z 0
		.amdhsa_system_sgpr_workgroup_info 0
		.amdhsa_system_vgpr_workitem_id 0
		.amdhsa_next_free_vgpr 1
		.amdhsa_next_free_sgpr 0
		.amdhsa_reserve_vcc 0
		.amdhsa_reserve_flat_scratch 0
		.amdhsa_float_round_mode_32 0
		.amdhsa_float_round_mode_16_64 0
		.amdhsa_float_denorm_mode_32 3
		.amdhsa_float_denorm_mode_16_64 3
		.amdhsa_dx10_clamp 1
		.amdhsa_ieee_mode 1
		.amdhsa_fp16_overflow 0
		.amdhsa_exception_fp_ieee_invalid_op 0
		.amdhsa_exception_fp_denorm_src 0
		.amdhsa_exception_fp_ieee_div_zero 0
		.amdhsa_exception_fp_ieee_overflow 0
		.amdhsa_exception_fp_ieee_underflow 0
		.amdhsa_exception_fp_ieee_inexact 0
		.amdhsa_exception_int_div_zero 0
	.end_amdhsa_kernel
	.section	.text._ZN7rocprim17ROCPRIM_400000_NS6detail17trampoline_kernelINS0_14default_configENS1_36segmented_radix_sort_config_selectorI12hip_bfloat16lEEZNS1_25segmented_radix_sort_implIS3_Lb1EPKS5_PS5_PKlPlN2at6native12_GLOBAL__N_18offset_tEEE10hipError_tPvRmT1_PNSt15iterator_traitsISL_E10value_typeET2_T3_PNSM_ISR_E10value_typeET4_jRbjT5_SX_jjP12ihipStream_tbEUlT_E0_NS1_11comp_targetILNS1_3genE10ELNS1_11target_archE1201ELNS1_3gpuE5ELNS1_3repE0EEENS1_60segmented_radix_sort_warp_sort_medium_config_static_selectorELNS0_4arch9wavefront6targetE1EEEvSL_,"axG",@progbits,_ZN7rocprim17ROCPRIM_400000_NS6detail17trampoline_kernelINS0_14default_configENS1_36segmented_radix_sort_config_selectorI12hip_bfloat16lEEZNS1_25segmented_radix_sort_implIS3_Lb1EPKS5_PS5_PKlPlN2at6native12_GLOBAL__N_18offset_tEEE10hipError_tPvRmT1_PNSt15iterator_traitsISL_E10value_typeET2_T3_PNSM_ISR_E10value_typeET4_jRbjT5_SX_jjP12ihipStream_tbEUlT_E0_NS1_11comp_targetILNS1_3genE10ELNS1_11target_archE1201ELNS1_3gpuE5ELNS1_3repE0EEENS1_60segmented_radix_sort_warp_sort_medium_config_static_selectorELNS0_4arch9wavefront6targetE1EEEvSL_,comdat
.Lfunc_end1962:
	.size	_ZN7rocprim17ROCPRIM_400000_NS6detail17trampoline_kernelINS0_14default_configENS1_36segmented_radix_sort_config_selectorI12hip_bfloat16lEEZNS1_25segmented_radix_sort_implIS3_Lb1EPKS5_PS5_PKlPlN2at6native12_GLOBAL__N_18offset_tEEE10hipError_tPvRmT1_PNSt15iterator_traitsISL_E10value_typeET2_T3_PNSM_ISR_E10value_typeET4_jRbjT5_SX_jjP12ihipStream_tbEUlT_E0_NS1_11comp_targetILNS1_3genE10ELNS1_11target_archE1201ELNS1_3gpuE5ELNS1_3repE0EEENS1_60segmented_radix_sort_warp_sort_medium_config_static_selectorELNS0_4arch9wavefront6targetE1EEEvSL_, .Lfunc_end1962-_ZN7rocprim17ROCPRIM_400000_NS6detail17trampoline_kernelINS0_14default_configENS1_36segmented_radix_sort_config_selectorI12hip_bfloat16lEEZNS1_25segmented_radix_sort_implIS3_Lb1EPKS5_PS5_PKlPlN2at6native12_GLOBAL__N_18offset_tEEE10hipError_tPvRmT1_PNSt15iterator_traitsISL_E10value_typeET2_T3_PNSM_ISR_E10value_typeET4_jRbjT5_SX_jjP12ihipStream_tbEUlT_E0_NS1_11comp_targetILNS1_3genE10ELNS1_11target_archE1201ELNS1_3gpuE5ELNS1_3repE0EEENS1_60segmented_radix_sort_warp_sort_medium_config_static_selectorELNS0_4arch9wavefront6targetE1EEEvSL_
                                        ; -- End function
	.set _ZN7rocprim17ROCPRIM_400000_NS6detail17trampoline_kernelINS0_14default_configENS1_36segmented_radix_sort_config_selectorI12hip_bfloat16lEEZNS1_25segmented_radix_sort_implIS3_Lb1EPKS5_PS5_PKlPlN2at6native12_GLOBAL__N_18offset_tEEE10hipError_tPvRmT1_PNSt15iterator_traitsISL_E10value_typeET2_T3_PNSM_ISR_E10value_typeET4_jRbjT5_SX_jjP12ihipStream_tbEUlT_E0_NS1_11comp_targetILNS1_3genE10ELNS1_11target_archE1201ELNS1_3gpuE5ELNS1_3repE0EEENS1_60segmented_radix_sort_warp_sort_medium_config_static_selectorELNS0_4arch9wavefront6targetE1EEEvSL_.num_vgpr, 0
	.set _ZN7rocprim17ROCPRIM_400000_NS6detail17trampoline_kernelINS0_14default_configENS1_36segmented_radix_sort_config_selectorI12hip_bfloat16lEEZNS1_25segmented_radix_sort_implIS3_Lb1EPKS5_PS5_PKlPlN2at6native12_GLOBAL__N_18offset_tEEE10hipError_tPvRmT1_PNSt15iterator_traitsISL_E10value_typeET2_T3_PNSM_ISR_E10value_typeET4_jRbjT5_SX_jjP12ihipStream_tbEUlT_E0_NS1_11comp_targetILNS1_3genE10ELNS1_11target_archE1201ELNS1_3gpuE5ELNS1_3repE0EEENS1_60segmented_radix_sort_warp_sort_medium_config_static_selectorELNS0_4arch9wavefront6targetE1EEEvSL_.num_agpr, 0
	.set _ZN7rocprim17ROCPRIM_400000_NS6detail17trampoline_kernelINS0_14default_configENS1_36segmented_radix_sort_config_selectorI12hip_bfloat16lEEZNS1_25segmented_radix_sort_implIS3_Lb1EPKS5_PS5_PKlPlN2at6native12_GLOBAL__N_18offset_tEEE10hipError_tPvRmT1_PNSt15iterator_traitsISL_E10value_typeET2_T3_PNSM_ISR_E10value_typeET4_jRbjT5_SX_jjP12ihipStream_tbEUlT_E0_NS1_11comp_targetILNS1_3genE10ELNS1_11target_archE1201ELNS1_3gpuE5ELNS1_3repE0EEENS1_60segmented_radix_sort_warp_sort_medium_config_static_selectorELNS0_4arch9wavefront6targetE1EEEvSL_.numbered_sgpr, 0
	.set _ZN7rocprim17ROCPRIM_400000_NS6detail17trampoline_kernelINS0_14default_configENS1_36segmented_radix_sort_config_selectorI12hip_bfloat16lEEZNS1_25segmented_radix_sort_implIS3_Lb1EPKS5_PS5_PKlPlN2at6native12_GLOBAL__N_18offset_tEEE10hipError_tPvRmT1_PNSt15iterator_traitsISL_E10value_typeET2_T3_PNSM_ISR_E10value_typeET4_jRbjT5_SX_jjP12ihipStream_tbEUlT_E0_NS1_11comp_targetILNS1_3genE10ELNS1_11target_archE1201ELNS1_3gpuE5ELNS1_3repE0EEENS1_60segmented_radix_sort_warp_sort_medium_config_static_selectorELNS0_4arch9wavefront6targetE1EEEvSL_.num_named_barrier, 0
	.set _ZN7rocprim17ROCPRIM_400000_NS6detail17trampoline_kernelINS0_14default_configENS1_36segmented_radix_sort_config_selectorI12hip_bfloat16lEEZNS1_25segmented_radix_sort_implIS3_Lb1EPKS5_PS5_PKlPlN2at6native12_GLOBAL__N_18offset_tEEE10hipError_tPvRmT1_PNSt15iterator_traitsISL_E10value_typeET2_T3_PNSM_ISR_E10value_typeET4_jRbjT5_SX_jjP12ihipStream_tbEUlT_E0_NS1_11comp_targetILNS1_3genE10ELNS1_11target_archE1201ELNS1_3gpuE5ELNS1_3repE0EEENS1_60segmented_radix_sort_warp_sort_medium_config_static_selectorELNS0_4arch9wavefront6targetE1EEEvSL_.private_seg_size, 0
	.set _ZN7rocprim17ROCPRIM_400000_NS6detail17trampoline_kernelINS0_14default_configENS1_36segmented_radix_sort_config_selectorI12hip_bfloat16lEEZNS1_25segmented_radix_sort_implIS3_Lb1EPKS5_PS5_PKlPlN2at6native12_GLOBAL__N_18offset_tEEE10hipError_tPvRmT1_PNSt15iterator_traitsISL_E10value_typeET2_T3_PNSM_ISR_E10value_typeET4_jRbjT5_SX_jjP12ihipStream_tbEUlT_E0_NS1_11comp_targetILNS1_3genE10ELNS1_11target_archE1201ELNS1_3gpuE5ELNS1_3repE0EEENS1_60segmented_radix_sort_warp_sort_medium_config_static_selectorELNS0_4arch9wavefront6targetE1EEEvSL_.uses_vcc, 0
	.set _ZN7rocprim17ROCPRIM_400000_NS6detail17trampoline_kernelINS0_14default_configENS1_36segmented_radix_sort_config_selectorI12hip_bfloat16lEEZNS1_25segmented_radix_sort_implIS3_Lb1EPKS5_PS5_PKlPlN2at6native12_GLOBAL__N_18offset_tEEE10hipError_tPvRmT1_PNSt15iterator_traitsISL_E10value_typeET2_T3_PNSM_ISR_E10value_typeET4_jRbjT5_SX_jjP12ihipStream_tbEUlT_E0_NS1_11comp_targetILNS1_3genE10ELNS1_11target_archE1201ELNS1_3gpuE5ELNS1_3repE0EEENS1_60segmented_radix_sort_warp_sort_medium_config_static_selectorELNS0_4arch9wavefront6targetE1EEEvSL_.uses_flat_scratch, 0
	.set _ZN7rocprim17ROCPRIM_400000_NS6detail17trampoline_kernelINS0_14default_configENS1_36segmented_radix_sort_config_selectorI12hip_bfloat16lEEZNS1_25segmented_radix_sort_implIS3_Lb1EPKS5_PS5_PKlPlN2at6native12_GLOBAL__N_18offset_tEEE10hipError_tPvRmT1_PNSt15iterator_traitsISL_E10value_typeET2_T3_PNSM_ISR_E10value_typeET4_jRbjT5_SX_jjP12ihipStream_tbEUlT_E0_NS1_11comp_targetILNS1_3genE10ELNS1_11target_archE1201ELNS1_3gpuE5ELNS1_3repE0EEENS1_60segmented_radix_sort_warp_sort_medium_config_static_selectorELNS0_4arch9wavefront6targetE1EEEvSL_.has_dyn_sized_stack, 0
	.set _ZN7rocprim17ROCPRIM_400000_NS6detail17trampoline_kernelINS0_14default_configENS1_36segmented_radix_sort_config_selectorI12hip_bfloat16lEEZNS1_25segmented_radix_sort_implIS3_Lb1EPKS5_PS5_PKlPlN2at6native12_GLOBAL__N_18offset_tEEE10hipError_tPvRmT1_PNSt15iterator_traitsISL_E10value_typeET2_T3_PNSM_ISR_E10value_typeET4_jRbjT5_SX_jjP12ihipStream_tbEUlT_E0_NS1_11comp_targetILNS1_3genE10ELNS1_11target_archE1201ELNS1_3gpuE5ELNS1_3repE0EEENS1_60segmented_radix_sort_warp_sort_medium_config_static_selectorELNS0_4arch9wavefront6targetE1EEEvSL_.has_recursion, 0
	.set _ZN7rocprim17ROCPRIM_400000_NS6detail17trampoline_kernelINS0_14default_configENS1_36segmented_radix_sort_config_selectorI12hip_bfloat16lEEZNS1_25segmented_radix_sort_implIS3_Lb1EPKS5_PS5_PKlPlN2at6native12_GLOBAL__N_18offset_tEEE10hipError_tPvRmT1_PNSt15iterator_traitsISL_E10value_typeET2_T3_PNSM_ISR_E10value_typeET4_jRbjT5_SX_jjP12ihipStream_tbEUlT_E0_NS1_11comp_targetILNS1_3genE10ELNS1_11target_archE1201ELNS1_3gpuE5ELNS1_3repE0EEENS1_60segmented_radix_sort_warp_sort_medium_config_static_selectorELNS0_4arch9wavefront6targetE1EEEvSL_.has_indirect_call, 0
	.section	.AMDGPU.csdata,"",@progbits
; Kernel info:
; codeLenInByte = 0
; TotalNumSgprs: 4
; NumVgprs: 0
; ScratchSize: 0
; MemoryBound: 0
; FloatMode: 240
; IeeeMode: 1
; LDSByteSize: 0 bytes/workgroup (compile time only)
; SGPRBlocks: 0
; VGPRBlocks: 0
; NumSGPRsForWavesPerEU: 4
; NumVGPRsForWavesPerEU: 1
; Occupancy: 10
; WaveLimiterHint : 0
; COMPUTE_PGM_RSRC2:SCRATCH_EN: 0
; COMPUTE_PGM_RSRC2:USER_SGPR: 6
; COMPUTE_PGM_RSRC2:TRAP_HANDLER: 0
; COMPUTE_PGM_RSRC2:TGID_X_EN: 1
; COMPUTE_PGM_RSRC2:TGID_Y_EN: 0
; COMPUTE_PGM_RSRC2:TGID_Z_EN: 0
; COMPUTE_PGM_RSRC2:TIDIG_COMP_CNT: 0
	.section	.text._ZN7rocprim17ROCPRIM_400000_NS6detail17trampoline_kernelINS0_14default_configENS1_36segmented_radix_sort_config_selectorI12hip_bfloat16lEEZNS1_25segmented_radix_sort_implIS3_Lb1EPKS5_PS5_PKlPlN2at6native12_GLOBAL__N_18offset_tEEE10hipError_tPvRmT1_PNSt15iterator_traitsISL_E10value_typeET2_T3_PNSM_ISR_E10value_typeET4_jRbjT5_SX_jjP12ihipStream_tbEUlT_E0_NS1_11comp_targetILNS1_3genE10ELNS1_11target_archE1200ELNS1_3gpuE4ELNS1_3repE0EEENS1_60segmented_radix_sort_warp_sort_medium_config_static_selectorELNS0_4arch9wavefront6targetE1EEEvSL_,"axG",@progbits,_ZN7rocprim17ROCPRIM_400000_NS6detail17trampoline_kernelINS0_14default_configENS1_36segmented_radix_sort_config_selectorI12hip_bfloat16lEEZNS1_25segmented_radix_sort_implIS3_Lb1EPKS5_PS5_PKlPlN2at6native12_GLOBAL__N_18offset_tEEE10hipError_tPvRmT1_PNSt15iterator_traitsISL_E10value_typeET2_T3_PNSM_ISR_E10value_typeET4_jRbjT5_SX_jjP12ihipStream_tbEUlT_E0_NS1_11comp_targetILNS1_3genE10ELNS1_11target_archE1200ELNS1_3gpuE4ELNS1_3repE0EEENS1_60segmented_radix_sort_warp_sort_medium_config_static_selectorELNS0_4arch9wavefront6targetE1EEEvSL_,comdat
	.globl	_ZN7rocprim17ROCPRIM_400000_NS6detail17trampoline_kernelINS0_14default_configENS1_36segmented_radix_sort_config_selectorI12hip_bfloat16lEEZNS1_25segmented_radix_sort_implIS3_Lb1EPKS5_PS5_PKlPlN2at6native12_GLOBAL__N_18offset_tEEE10hipError_tPvRmT1_PNSt15iterator_traitsISL_E10value_typeET2_T3_PNSM_ISR_E10value_typeET4_jRbjT5_SX_jjP12ihipStream_tbEUlT_E0_NS1_11comp_targetILNS1_3genE10ELNS1_11target_archE1200ELNS1_3gpuE4ELNS1_3repE0EEENS1_60segmented_radix_sort_warp_sort_medium_config_static_selectorELNS0_4arch9wavefront6targetE1EEEvSL_ ; -- Begin function _ZN7rocprim17ROCPRIM_400000_NS6detail17trampoline_kernelINS0_14default_configENS1_36segmented_radix_sort_config_selectorI12hip_bfloat16lEEZNS1_25segmented_radix_sort_implIS3_Lb1EPKS5_PS5_PKlPlN2at6native12_GLOBAL__N_18offset_tEEE10hipError_tPvRmT1_PNSt15iterator_traitsISL_E10value_typeET2_T3_PNSM_ISR_E10value_typeET4_jRbjT5_SX_jjP12ihipStream_tbEUlT_E0_NS1_11comp_targetILNS1_3genE10ELNS1_11target_archE1200ELNS1_3gpuE4ELNS1_3repE0EEENS1_60segmented_radix_sort_warp_sort_medium_config_static_selectorELNS0_4arch9wavefront6targetE1EEEvSL_
	.p2align	8
	.type	_ZN7rocprim17ROCPRIM_400000_NS6detail17trampoline_kernelINS0_14default_configENS1_36segmented_radix_sort_config_selectorI12hip_bfloat16lEEZNS1_25segmented_radix_sort_implIS3_Lb1EPKS5_PS5_PKlPlN2at6native12_GLOBAL__N_18offset_tEEE10hipError_tPvRmT1_PNSt15iterator_traitsISL_E10value_typeET2_T3_PNSM_ISR_E10value_typeET4_jRbjT5_SX_jjP12ihipStream_tbEUlT_E0_NS1_11comp_targetILNS1_3genE10ELNS1_11target_archE1200ELNS1_3gpuE4ELNS1_3repE0EEENS1_60segmented_radix_sort_warp_sort_medium_config_static_selectorELNS0_4arch9wavefront6targetE1EEEvSL_,@function
_ZN7rocprim17ROCPRIM_400000_NS6detail17trampoline_kernelINS0_14default_configENS1_36segmented_radix_sort_config_selectorI12hip_bfloat16lEEZNS1_25segmented_radix_sort_implIS3_Lb1EPKS5_PS5_PKlPlN2at6native12_GLOBAL__N_18offset_tEEE10hipError_tPvRmT1_PNSt15iterator_traitsISL_E10value_typeET2_T3_PNSM_ISR_E10value_typeET4_jRbjT5_SX_jjP12ihipStream_tbEUlT_E0_NS1_11comp_targetILNS1_3genE10ELNS1_11target_archE1200ELNS1_3gpuE4ELNS1_3repE0EEENS1_60segmented_radix_sort_warp_sort_medium_config_static_selectorELNS0_4arch9wavefront6targetE1EEEvSL_: ; @_ZN7rocprim17ROCPRIM_400000_NS6detail17trampoline_kernelINS0_14default_configENS1_36segmented_radix_sort_config_selectorI12hip_bfloat16lEEZNS1_25segmented_radix_sort_implIS3_Lb1EPKS5_PS5_PKlPlN2at6native12_GLOBAL__N_18offset_tEEE10hipError_tPvRmT1_PNSt15iterator_traitsISL_E10value_typeET2_T3_PNSM_ISR_E10value_typeET4_jRbjT5_SX_jjP12ihipStream_tbEUlT_E0_NS1_11comp_targetILNS1_3genE10ELNS1_11target_archE1200ELNS1_3gpuE4ELNS1_3repE0EEENS1_60segmented_radix_sort_warp_sort_medium_config_static_selectorELNS0_4arch9wavefront6targetE1EEEvSL_
; %bb.0:
	.section	.rodata,"a",@progbits
	.p2align	6, 0x0
	.amdhsa_kernel _ZN7rocprim17ROCPRIM_400000_NS6detail17trampoline_kernelINS0_14default_configENS1_36segmented_radix_sort_config_selectorI12hip_bfloat16lEEZNS1_25segmented_radix_sort_implIS3_Lb1EPKS5_PS5_PKlPlN2at6native12_GLOBAL__N_18offset_tEEE10hipError_tPvRmT1_PNSt15iterator_traitsISL_E10value_typeET2_T3_PNSM_ISR_E10value_typeET4_jRbjT5_SX_jjP12ihipStream_tbEUlT_E0_NS1_11comp_targetILNS1_3genE10ELNS1_11target_archE1200ELNS1_3gpuE4ELNS1_3repE0EEENS1_60segmented_radix_sort_warp_sort_medium_config_static_selectorELNS0_4arch9wavefront6targetE1EEEvSL_
		.amdhsa_group_segment_fixed_size 0
		.amdhsa_private_segment_fixed_size 0
		.amdhsa_kernarg_size 88
		.amdhsa_user_sgpr_count 6
		.amdhsa_user_sgpr_private_segment_buffer 1
		.amdhsa_user_sgpr_dispatch_ptr 0
		.amdhsa_user_sgpr_queue_ptr 0
		.amdhsa_user_sgpr_kernarg_segment_ptr 1
		.amdhsa_user_sgpr_dispatch_id 0
		.amdhsa_user_sgpr_flat_scratch_init 0
		.amdhsa_user_sgpr_private_segment_size 0
		.amdhsa_uses_dynamic_stack 0
		.amdhsa_system_sgpr_private_segment_wavefront_offset 0
		.amdhsa_system_sgpr_workgroup_id_x 1
		.amdhsa_system_sgpr_workgroup_id_y 0
		.amdhsa_system_sgpr_workgroup_id_z 0
		.amdhsa_system_sgpr_workgroup_info 0
		.amdhsa_system_vgpr_workitem_id 0
		.amdhsa_next_free_vgpr 1
		.amdhsa_next_free_sgpr 0
		.amdhsa_reserve_vcc 0
		.amdhsa_reserve_flat_scratch 0
		.amdhsa_float_round_mode_32 0
		.amdhsa_float_round_mode_16_64 0
		.amdhsa_float_denorm_mode_32 3
		.amdhsa_float_denorm_mode_16_64 3
		.amdhsa_dx10_clamp 1
		.amdhsa_ieee_mode 1
		.amdhsa_fp16_overflow 0
		.amdhsa_exception_fp_ieee_invalid_op 0
		.amdhsa_exception_fp_denorm_src 0
		.amdhsa_exception_fp_ieee_div_zero 0
		.amdhsa_exception_fp_ieee_overflow 0
		.amdhsa_exception_fp_ieee_underflow 0
		.amdhsa_exception_fp_ieee_inexact 0
		.amdhsa_exception_int_div_zero 0
	.end_amdhsa_kernel
	.section	.text._ZN7rocprim17ROCPRIM_400000_NS6detail17trampoline_kernelINS0_14default_configENS1_36segmented_radix_sort_config_selectorI12hip_bfloat16lEEZNS1_25segmented_radix_sort_implIS3_Lb1EPKS5_PS5_PKlPlN2at6native12_GLOBAL__N_18offset_tEEE10hipError_tPvRmT1_PNSt15iterator_traitsISL_E10value_typeET2_T3_PNSM_ISR_E10value_typeET4_jRbjT5_SX_jjP12ihipStream_tbEUlT_E0_NS1_11comp_targetILNS1_3genE10ELNS1_11target_archE1200ELNS1_3gpuE4ELNS1_3repE0EEENS1_60segmented_radix_sort_warp_sort_medium_config_static_selectorELNS0_4arch9wavefront6targetE1EEEvSL_,"axG",@progbits,_ZN7rocprim17ROCPRIM_400000_NS6detail17trampoline_kernelINS0_14default_configENS1_36segmented_radix_sort_config_selectorI12hip_bfloat16lEEZNS1_25segmented_radix_sort_implIS3_Lb1EPKS5_PS5_PKlPlN2at6native12_GLOBAL__N_18offset_tEEE10hipError_tPvRmT1_PNSt15iterator_traitsISL_E10value_typeET2_T3_PNSM_ISR_E10value_typeET4_jRbjT5_SX_jjP12ihipStream_tbEUlT_E0_NS1_11comp_targetILNS1_3genE10ELNS1_11target_archE1200ELNS1_3gpuE4ELNS1_3repE0EEENS1_60segmented_radix_sort_warp_sort_medium_config_static_selectorELNS0_4arch9wavefront6targetE1EEEvSL_,comdat
.Lfunc_end1963:
	.size	_ZN7rocprim17ROCPRIM_400000_NS6detail17trampoline_kernelINS0_14default_configENS1_36segmented_radix_sort_config_selectorI12hip_bfloat16lEEZNS1_25segmented_radix_sort_implIS3_Lb1EPKS5_PS5_PKlPlN2at6native12_GLOBAL__N_18offset_tEEE10hipError_tPvRmT1_PNSt15iterator_traitsISL_E10value_typeET2_T3_PNSM_ISR_E10value_typeET4_jRbjT5_SX_jjP12ihipStream_tbEUlT_E0_NS1_11comp_targetILNS1_3genE10ELNS1_11target_archE1200ELNS1_3gpuE4ELNS1_3repE0EEENS1_60segmented_radix_sort_warp_sort_medium_config_static_selectorELNS0_4arch9wavefront6targetE1EEEvSL_, .Lfunc_end1963-_ZN7rocprim17ROCPRIM_400000_NS6detail17trampoline_kernelINS0_14default_configENS1_36segmented_radix_sort_config_selectorI12hip_bfloat16lEEZNS1_25segmented_radix_sort_implIS3_Lb1EPKS5_PS5_PKlPlN2at6native12_GLOBAL__N_18offset_tEEE10hipError_tPvRmT1_PNSt15iterator_traitsISL_E10value_typeET2_T3_PNSM_ISR_E10value_typeET4_jRbjT5_SX_jjP12ihipStream_tbEUlT_E0_NS1_11comp_targetILNS1_3genE10ELNS1_11target_archE1200ELNS1_3gpuE4ELNS1_3repE0EEENS1_60segmented_radix_sort_warp_sort_medium_config_static_selectorELNS0_4arch9wavefront6targetE1EEEvSL_
                                        ; -- End function
	.set _ZN7rocprim17ROCPRIM_400000_NS6detail17trampoline_kernelINS0_14default_configENS1_36segmented_radix_sort_config_selectorI12hip_bfloat16lEEZNS1_25segmented_radix_sort_implIS3_Lb1EPKS5_PS5_PKlPlN2at6native12_GLOBAL__N_18offset_tEEE10hipError_tPvRmT1_PNSt15iterator_traitsISL_E10value_typeET2_T3_PNSM_ISR_E10value_typeET4_jRbjT5_SX_jjP12ihipStream_tbEUlT_E0_NS1_11comp_targetILNS1_3genE10ELNS1_11target_archE1200ELNS1_3gpuE4ELNS1_3repE0EEENS1_60segmented_radix_sort_warp_sort_medium_config_static_selectorELNS0_4arch9wavefront6targetE1EEEvSL_.num_vgpr, 0
	.set _ZN7rocprim17ROCPRIM_400000_NS6detail17trampoline_kernelINS0_14default_configENS1_36segmented_radix_sort_config_selectorI12hip_bfloat16lEEZNS1_25segmented_radix_sort_implIS3_Lb1EPKS5_PS5_PKlPlN2at6native12_GLOBAL__N_18offset_tEEE10hipError_tPvRmT1_PNSt15iterator_traitsISL_E10value_typeET2_T3_PNSM_ISR_E10value_typeET4_jRbjT5_SX_jjP12ihipStream_tbEUlT_E0_NS1_11comp_targetILNS1_3genE10ELNS1_11target_archE1200ELNS1_3gpuE4ELNS1_3repE0EEENS1_60segmented_radix_sort_warp_sort_medium_config_static_selectorELNS0_4arch9wavefront6targetE1EEEvSL_.num_agpr, 0
	.set _ZN7rocprim17ROCPRIM_400000_NS6detail17trampoline_kernelINS0_14default_configENS1_36segmented_radix_sort_config_selectorI12hip_bfloat16lEEZNS1_25segmented_radix_sort_implIS3_Lb1EPKS5_PS5_PKlPlN2at6native12_GLOBAL__N_18offset_tEEE10hipError_tPvRmT1_PNSt15iterator_traitsISL_E10value_typeET2_T3_PNSM_ISR_E10value_typeET4_jRbjT5_SX_jjP12ihipStream_tbEUlT_E0_NS1_11comp_targetILNS1_3genE10ELNS1_11target_archE1200ELNS1_3gpuE4ELNS1_3repE0EEENS1_60segmented_radix_sort_warp_sort_medium_config_static_selectorELNS0_4arch9wavefront6targetE1EEEvSL_.numbered_sgpr, 0
	.set _ZN7rocprim17ROCPRIM_400000_NS6detail17trampoline_kernelINS0_14default_configENS1_36segmented_radix_sort_config_selectorI12hip_bfloat16lEEZNS1_25segmented_radix_sort_implIS3_Lb1EPKS5_PS5_PKlPlN2at6native12_GLOBAL__N_18offset_tEEE10hipError_tPvRmT1_PNSt15iterator_traitsISL_E10value_typeET2_T3_PNSM_ISR_E10value_typeET4_jRbjT5_SX_jjP12ihipStream_tbEUlT_E0_NS1_11comp_targetILNS1_3genE10ELNS1_11target_archE1200ELNS1_3gpuE4ELNS1_3repE0EEENS1_60segmented_radix_sort_warp_sort_medium_config_static_selectorELNS0_4arch9wavefront6targetE1EEEvSL_.num_named_barrier, 0
	.set _ZN7rocprim17ROCPRIM_400000_NS6detail17trampoline_kernelINS0_14default_configENS1_36segmented_radix_sort_config_selectorI12hip_bfloat16lEEZNS1_25segmented_radix_sort_implIS3_Lb1EPKS5_PS5_PKlPlN2at6native12_GLOBAL__N_18offset_tEEE10hipError_tPvRmT1_PNSt15iterator_traitsISL_E10value_typeET2_T3_PNSM_ISR_E10value_typeET4_jRbjT5_SX_jjP12ihipStream_tbEUlT_E0_NS1_11comp_targetILNS1_3genE10ELNS1_11target_archE1200ELNS1_3gpuE4ELNS1_3repE0EEENS1_60segmented_radix_sort_warp_sort_medium_config_static_selectorELNS0_4arch9wavefront6targetE1EEEvSL_.private_seg_size, 0
	.set _ZN7rocprim17ROCPRIM_400000_NS6detail17trampoline_kernelINS0_14default_configENS1_36segmented_radix_sort_config_selectorI12hip_bfloat16lEEZNS1_25segmented_radix_sort_implIS3_Lb1EPKS5_PS5_PKlPlN2at6native12_GLOBAL__N_18offset_tEEE10hipError_tPvRmT1_PNSt15iterator_traitsISL_E10value_typeET2_T3_PNSM_ISR_E10value_typeET4_jRbjT5_SX_jjP12ihipStream_tbEUlT_E0_NS1_11comp_targetILNS1_3genE10ELNS1_11target_archE1200ELNS1_3gpuE4ELNS1_3repE0EEENS1_60segmented_radix_sort_warp_sort_medium_config_static_selectorELNS0_4arch9wavefront6targetE1EEEvSL_.uses_vcc, 0
	.set _ZN7rocprim17ROCPRIM_400000_NS6detail17trampoline_kernelINS0_14default_configENS1_36segmented_radix_sort_config_selectorI12hip_bfloat16lEEZNS1_25segmented_radix_sort_implIS3_Lb1EPKS5_PS5_PKlPlN2at6native12_GLOBAL__N_18offset_tEEE10hipError_tPvRmT1_PNSt15iterator_traitsISL_E10value_typeET2_T3_PNSM_ISR_E10value_typeET4_jRbjT5_SX_jjP12ihipStream_tbEUlT_E0_NS1_11comp_targetILNS1_3genE10ELNS1_11target_archE1200ELNS1_3gpuE4ELNS1_3repE0EEENS1_60segmented_radix_sort_warp_sort_medium_config_static_selectorELNS0_4arch9wavefront6targetE1EEEvSL_.uses_flat_scratch, 0
	.set _ZN7rocprim17ROCPRIM_400000_NS6detail17trampoline_kernelINS0_14default_configENS1_36segmented_radix_sort_config_selectorI12hip_bfloat16lEEZNS1_25segmented_radix_sort_implIS3_Lb1EPKS5_PS5_PKlPlN2at6native12_GLOBAL__N_18offset_tEEE10hipError_tPvRmT1_PNSt15iterator_traitsISL_E10value_typeET2_T3_PNSM_ISR_E10value_typeET4_jRbjT5_SX_jjP12ihipStream_tbEUlT_E0_NS1_11comp_targetILNS1_3genE10ELNS1_11target_archE1200ELNS1_3gpuE4ELNS1_3repE0EEENS1_60segmented_radix_sort_warp_sort_medium_config_static_selectorELNS0_4arch9wavefront6targetE1EEEvSL_.has_dyn_sized_stack, 0
	.set _ZN7rocprim17ROCPRIM_400000_NS6detail17trampoline_kernelINS0_14default_configENS1_36segmented_radix_sort_config_selectorI12hip_bfloat16lEEZNS1_25segmented_radix_sort_implIS3_Lb1EPKS5_PS5_PKlPlN2at6native12_GLOBAL__N_18offset_tEEE10hipError_tPvRmT1_PNSt15iterator_traitsISL_E10value_typeET2_T3_PNSM_ISR_E10value_typeET4_jRbjT5_SX_jjP12ihipStream_tbEUlT_E0_NS1_11comp_targetILNS1_3genE10ELNS1_11target_archE1200ELNS1_3gpuE4ELNS1_3repE0EEENS1_60segmented_radix_sort_warp_sort_medium_config_static_selectorELNS0_4arch9wavefront6targetE1EEEvSL_.has_recursion, 0
	.set _ZN7rocprim17ROCPRIM_400000_NS6detail17trampoline_kernelINS0_14default_configENS1_36segmented_radix_sort_config_selectorI12hip_bfloat16lEEZNS1_25segmented_radix_sort_implIS3_Lb1EPKS5_PS5_PKlPlN2at6native12_GLOBAL__N_18offset_tEEE10hipError_tPvRmT1_PNSt15iterator_traitsISL_E10value_typeET2_T3_PNSM_ISR_E10value_typeET4_jRbjT5_SX_jjP12ihipStream_tbEUlT_E0_NS1_11comp_targetILNS1_3genE10ELNS1_11target_archE1200ELNS1_3gpuE4ELNS1_3repE0EEENS1_60segmented_radix_sort_warp_sort_medium_config_static_selectorELNS0_4arch9wavefront6targetE1EEEvSL_.has_indirect_call, 0
	.section	.AMDGPU.csdata,"",@progbits
; Kernel info:
; codeLenInByte = 0
; TotalNumSgprs: 4
; NumVgprs: 0
; ScratchSize: 0
; MemoryBound: 0
; FloatMode: 240
; IeeeMode: 1
; LDSByteSize: 0 bytes/workgroup (compile time only)
; SGPRBlocks: 0
; VGPRBlocks: 0
; NumSGPRsForWavesPerEU: 4
; NumVGPRsForWavesPerEU: 1
; Occupancy: 10
; WaveLimiterHint : 0
; COMPUTE_PGM_RSRC2:SCRATCH_EN: 0
; COMPUTE_PGM_RSRC2:USER_SGPR: 6
; COMPUTE_PGM_RSRC2:TRAP_HANDLER: 0
; COMPUTE_PGM_RSRC2:TGID_X_EN: 1
; COMPUTE_PGM_RSRC2:TGID_Y_EN: 0
; COMPUTE_PGM_RSRC2:TGID_Z_EN: 0
; COMPUTE_PGM_RSRC2:TIDIG_COMP_CNT: 0
	.section	.text._ZN7rocprim17ROCPRIM_400000_NS6detail17trampoline_kernelINS0_14default_configENS1_36segmented_radix_sort_config_selectorI12hip_bfloat16lEEZNS1_25segmented_radix_sort_implIS3_Lb1EPKS5_PS5_PKlPlN2at6native12_GLOBAL__N_18offset_tEEE10hipError_tPvRmT1_PNSt15iterator_traitsISL_E10value_typeET2_T3_PNSM_ISR_E10value_typeET4_jRbjT5_SX_jjP12ihipStream_tbEUlT_E0_NS1_11comp_targetILNS1_3genE9ELNS1_11target_archE1100ELNS1_3gpuE3ELNS1_3repE0EEENS1_60segmented_radix_sort_warp_sort_medium_config_static_selectorELNS0_4arch9wavefront6targetE1EEEvSL_,"axG",@progbits,_ZN7rocprim17ROCPRIM_400000_NS6detail17trampoline_kernelINS0_14default_configENS1_36segmented_radix_sort_config_selectorI12hip_bfloat16lEEZNS1_25segmented_radix_sort_implIS3_Lb1EPKS5_PS5_PKlPlN2at6native12_GLOBAL__N_18offset_tEEE10hipError_tPvRmT1_PNSt15iterator_traitsISL_E10value_typeET2_T3_PNSM_ISR_E10value_typeET4_jRbjT5_SX_jjP12ihipStream_tbEUlT_E0_NS1_11comp_targetILNS1_3genE9ELNS1_11target_archE1100ELNS1_3gpuE3ELNS1_3repE0EEENS1_60segmented_radix_sort_warp_sort_medium_config_static_selectorELNS0_4arch9wavefront6targetE1EEEvSL_,comdat
	.globl	_ZN7rocprim17ROCPRIM_400000_NS6detail17trampoline_kernelINS0_14default_configENS1_36segmented_radix_sort_config_selectorI12hip_bfloat16lEEZNS1_25segmented_radix_sort_implIS3_Lb1EPKS5_PS5_PKlPlN2at6native12_GLOBAL__N_18offset_tEEE10hipError_tPvRmT1_PNSt15iterator_traitsISL_E10value_typeET2_T3_PNSM_ISR_E10value_typeET4_jRbjT5_SX_jjP12ihipStream_tbEUlT_E0_NS1_11comp_targetILNS1_3genE9ELNS1_11target_archE1100ELNS1_3gpuE3ELNS1_3repE0EEENS1_60segmented_radix_sort_warp_sort_medium_config_static_selectorELNS0_4arch9wavefront6targetE1EEEvSL_ ; -- Begin function _ZN7rocprim17ROCPRIM_400000_NS6detail17trampoline_kernelINS0_14default_configENS1_36segmented_radix_sort_config_selectorI12hip_bfloat16lEEZNS1_25segmented_radix_sort_implIS3_Lb1EPKS5_PS5_PKlPlN2at6native12_GLOBAL__N_18offset_tEEE10hipError_tPvRmT1_PNSt15iterator_traitsISL_E10value_typeET2_T3_PNSM_ISR_E10value_typeET4_jRbjT5_SX_jjP12ihipStream_tbEUlT_E0_NS1_11comp_targetILNS1_3genE9ELNS1_11target_archE1100ELNS1_3gpuE3ELNS1_3repE0EEENS1_60segmented_radix_sort_warp_sort_medium_config_static_selectorELNS0_4arch9wavefront6targetE1EEEvSL_
	.p2align	8
	.type	_ZN7rocprim17ROCPRIM_400000_NS6detail17trampoline_kernelINS0_14default_configENS1_36segmented_radix_sort_config_selectorI12hip_bfloat16lEEZNS1_25segmented_radix_sort_implIS3_Lb1EPKS5_PS5_PKlPlN2at6native12_GLOBAL__N_18offset_tEEE10hipError_tPvRmT1_PNSt15iterator_traitsISL_E10value_typeET2_T3_PNSM_ISR_E10value_typeET4_jRbjT5_SX_jjP12ihipStream_tbEUlT_E0_NS1_11comp_targetILNS1_3genE9ELNS1_11target_archE1100ELNS1_3gpuE3ELNS1_3repE0EEENS1_60segmented_radix_sort_warp_sort_medium_config_static_selectorELNS0_4arch9wavefront6targetE1EEEvSL_,@function
_ZN7rocprim17ROCPRIM_400000_NS6detail17trampoline_kernelINS0_14default_configENS1_36segmented_radix_sort_config_selectorI12hip_bfloat16lEEZNS1_25segmented_radix_sort_implIS3_Lb1EPKS5_PS5_PKlPlN2at6native12_GLOBAL__N_18offset_tEEE10hipError_tPvRmT1_PNSt15iterator_traitsISL_E10value_typeET2_T3_PNSM_ISR_E10value_typeET4_jRbjT5_SX_jjP12ihipStream_tbEUlT_E0_NS1_11comp_targetILNS1_3genE9ELNS1_11target_archE1100ELNS1_3gpuE3ELNS1_3repE0EEENS1_60segmented_radix_sort_warp_sort_medium_config_static_selectorELNS0_4arch9wavefront6targetE1EEEvSL_: ; @_ZN7rocprim17ROCPRIM_400000_NS6detail17trampoline_kernelINS0_14default_configENS1_36segmented_radix_sort_config_selectorI12hip_bfloat16lEEZNS1_25segmented_radix_sort_implIS3_Lb1EPKS5_PS5_PKlPlN2at6native12_GLOBAL__N_18offset_tEEE10hipError_tPvRmT1_PNSt15iterator_traitsISL_E10value_typeET2_T3_PNSM_ISR_E10value_typeET4_jRbjT5_SX_jjP12ihipStream_tbEUlT_E0_NS1_11comp_targetILNS1_3genE9ELNS1_11target_archE1100ELNS1_3gpuE3ELNS1_3repE0EEENS1_60segmented_radix_sort_warp_sort_medium_config_static_selectorELNS0_4arch9wavefront6targetE1EEEvSL_
; %bb.0:
	.section	.rodata,"a",@progbits
	.p2align	6, 0x0
	.amdhsa_kernel _ZN7rocprim17ROCPRIM_400000_NS6detail17trampoline_kernelINS0_14default_configENS1_36segmented_radix_sort_config_selectorI12hip_bfloat16lEEZNS1_25segmented_radix_sort_implIS3_Lb1EPKS5_PS5_PKlPlN2at6native12_GLOBAL__N_18offset_tEEE10hipError_tPvRmT1_PNSt15iterator_traitsISL_E10value_typeET2_T3_PNSM_ISR_E10value_typeET4_jRbjT5_SX_jjP12ihipStream_tbEUlT_E0_NS1_11comp_targetILNS1_3genE9ELNS1_11target_archE1100ELNS1_3gpuE3ELNS1_3repE0EEENS1_60segmented_radix_sort_warp_sort_medium_config_static_selectorELNS0_4arch9wavefront6targetE1EEEvSL_
		.amdhsa_group_segment_fixed_size 0
		.amdhsa_private_segment_fixed_size 0
		.amdhsa_kernarg_size 88
		.amdhsa_user_sgpr_count 6
		.amdhsa_user_sgpr_private_segment_buffer 1
		.amdhsa_user_sgpr_dispatch_ptr 0
		.amdhsa_user_sgpr_queue_ptr 0
		.amdhsa_user_sgpr_kernarg_segment_ptr 1
		.amdhsa_user_sgpr_dispatch_id 0
		.amdhsa_user_sgpr_flat_scratch_init 0
		.amdhsa_user_sgpr_private_segment_size 0
		.amdhsa_uses_dynamic_stack 0
		.amdhsa_system_sgpr_private_segment_wavefront_offset 0
		.amdhsa_system_sgpr_workgroup_id_x 1
		.amdhsa_system_sgpr_workgroup_id_y 0
		.amdhsa_system_sgpr_workgroup_id_z 0
		.amdhsa_system_sgpr_workgroup_info 0
		.amdhsa_system_vgpr_workitem_id 0
		.amdhsa_next_free_vgpr 1
		.amdhsa_next_free_sgpr 0
		.amdhsa_reserve_vcc 0
		.amdhsa_reserve_flat_scratch 0
		.amdhsa_float_round_mode_32 0
		.amdhsa_float_round_mode_16_64 0
		.amdhsa_float_denorm_mode_32 3
		.amdhsa_float_denorm_mode_16_64 3
		.amdhsa_dx10_clamp 1
		.amdhsa_ieee_mode 1
		.amdhsa_fp16_overflow 0
		.amdhsa_exception_fp_ieee_invalid_op 0
		.amdhsa_exception_fp_denorm_src 0
		.amdhsa_exception_fp_ieee_div_zero 0
		.amdhsa_exception_fp_ieee_overflow 0
		.amdhsa_exception_fp_ieee_underflow 0
		.amdhsa_exception_fp_ieee_inexact 0
		.amdhsa_exception_int_div_zero 0
	.end_amdhsa_kernel
	.section	.text._ZN7rocprim17ROCPRIM_400000_NS6detail17trampoline_kernelINS0_14default_configENS1_36segmented_radix_sort_config_selectorI12hip_bfloat16lEEZNS1_25segmented_radix_sort_implIS3_Lb1EPKS5_PS5_PKlPlN2at6native12_GLOBAL__N_18offset_tEEE10hipError_tPvRmT1_PNSt15iterator_traitsISL_E10value_typeET2_T3_PNSM_ISR_E10value_typeET4_jRbjT5_SX_jjP12ihipStream_tbEUlT_E0_NS1_11comp_targetILNS1_3genE9ELNS1_11target_archE1100ELNS1_3gpuE3ELNS1_3repE0EEENS1_60segmented_radix_sort_warp_sort_medium_config_static_selectorELNS0_4arch9wavefront6targetE1EEEvSL_,"axG",@progbits,_ZN7rocprim17ROCPRIM_400000_NS6detail17trampoline_kernelINS0_14default_configENS1_36segmented_radix_sort_config_selectorI12hip_bfloat16lEEZNS1_25segmented_radix_sort_implIS3_Lb1EPKS5_PS5_PKlPlN2at6native12_GLOBAL__N_18offset_tEEE10hipError_tPvRmT1_PNSt15iterator_traitsISL_E10value_typeET2_T3_PNSM_ISR_E10value_typeET4_jRbjT5_SX_jjP12ihipStream_tbEUlT_E0_NS1_11comp_targetILNS1_3genE9ELNS1_11target_archE1100ELNS1_3gpuE3ELNS1_3repE0EEENS1_60segmented_radix_sort_warp_sort_medium_config_static_selectorELNS0_4arch9wavefront6targetE1EEEvSL_,comdat
.Lfunc_end1964:
	.size	_ZN7rocprim17ROCPRIM_400000_NS6detail17trampoline_kernelINS0_14default_configENS1_36segmented_radix_sort_config_selectorI12hip_bfloat16lEEZNS1_25segmented_radix_sort_implIS3_Lb1EPKS5_PS5_PKlPlN2at6native12_GLOBAL__N_18offset_tEEE10hipError_tPvRmT1_PNSt15iterator_traitsISL_E10value_typeET2_T3_PNSM_ISR_E10value_typeET4_jRbjT5_SX_jjP12ihipStream_tbEUlT_E0_NS1_11comp_targetILNS1_3genE9ELNS1_11target_archE1100ELNS1_3gpuE3ELNS1_3repE0EEENS1_60segmented_radix_sort_warp_sort_medium_config_static_selectorELNS0_4arch9wavefront6targetE1EEEvSL_, .Lfunc_end1964-_ZN7rocprim17ROCPRIM_400000_NS6detail17trampoline_kernelINS0_14default_configENS1_36segmented_radix_sort_config_selectorI12hip_bfloat16lEEZNS1_25segmented_radix_sort_implIS3_Lb1EPKS5_PS5_PKlPlN2at6native12_GLOBAL__N_18offset_tEEE10hipError_tPvRmT1_PNSt15iterator_traitsISL_E10value_typeET2_T3_PNSM_ISR_E10value_typeET4_jRbjT5_SX_jjP12ihipStream_tbEUlT_E0_NS1_11comp_targetILNS1_3genE9ELNS1_11target_archE1100ELNS1_3gpuE3ELNS1_3repE0EEENS1_60segmented_radix_sort_warp_sort_medium_config_static_selectorELNS0_4arch9wavefront6targetE1EEEvSL_
                                        ; -- End function
	.set _ZN7rocprim17ROCPRIM_400000_NS6detail17trampoline_kernelINS0_14default_configENS1_36segmented_radix_sort_config_selectorI12hip_bfloat16lEEZNS1_25segmented_radix_sort_implIS3_Lb1EPKS5_PS5_PKlPlN2at6native12_GLOBAL__N_18offset_tEEE10hipError_tPvRmT1_PNSt15iterator_traitsISL_E10value_typeET2_T3_PNSM_ISR_E10value_typeET4_jRbjT5_SX_jjP12ihipStream_tbEUlT_E0_NS1_11comp_targetILNS1_3genE9ELNS1_11target_archE1100ELNS1_3gpuE3ELNS1_3repE0EEENS1_60segmented_radix_sort_warp_sort_medium_config_static_selectorELNS0_4arch9wavefront6targetE1EEEvSL_.num_vgpr, 0
	.set _ZN7rocprim17ROCPRIM_400000_NS6detail17trampoline_kernelINS0_14default_configENS1_36segmented_radix_sort_config_selectorI12hip_bfloat16lEEZNS1_25segmented_radix_sort_implIS3_Lb1EPKS5_PS5_PKlPlN2at6native12_GLOBAL__N_18offset_tEEE10hipError_tPvRmT1_PNSt15iterator_traitsISL_E10value_typeET2_T3_PNSM_ISR_E10value_typeET4_jRbjT5_SX_jjP12ihipStream_tbEUlT_E0_NS1_11comp_targetILNS1_3genE9ELNS1_11target_archE1100ELNS1_3gpuE3ELNS1_3repE0EEENS1_60segmented_radix_sort_warp_sort_medium_config_static_selectorELNS0_4arch9wavefront6targetE1EEEvSL_.num_agpr, 0
	.set _ZN7rocprim17ROCPRIM_400000_NS6detail17trampoline_kernelINS0_14default_configENS1_36segmented_radix_sort_config_selectorI12hip_bfloat16lEEZNS1_25segmented_radix_sort_implIS3_Lb1EPKS5_PS5_PKlPlN2at6native12_GLOBAL__N_18offset_tEEE10hipError_tPvRmT1_PNSt15iterator_traitsISL_E10value_typeET2_T3_PNSM_ISR_E10value_typeET4_jRbjT5_SX_jjP12ihipStream_tbEUlT_E0_NS1_11comp_targetILNS1_3genE9ELNS1_11target_archE1100ELNS1_3gpuE3ELNS1_3repE0EEENS1_60segmented_radix_sort_warp_sort_medium_config_static_selectorELNS0_4arch9wavefront6targetE1EEEvSL_.numbered_sgpr, 0
	.set _ZN7rocprim17ROCPRIM_400000_NS6detail17trampoline_kernelINS0_14default_configENS1_36segmented_radix_sort_config_selectorI12hip_bfloat16lEEZNS1_25segmented_radix_sort_implIS3_Lb1EPKS5_PS5_PKlPlN2at6native12_GLOBAL__N_18offset_tEEE10hipError_tPvRmT1_PNSt15iterator_traitsISL_E10value_typeET2_T3_PNSM_ISR_E10value_typeET4_jRbjT5_SX_jjP12ihipStream_tbEUlT_E0_NS1_11comp_targetILNS1_3genE9ELNS1_11target_archE1100ELNS1_3gpuE3ELNS1_3repE0EEENS1_60segmented_radix_sort_warp_sort_medium_config_static_selectorELNS0_4arch9wavefront6targetE1EEEvSL_.num_named_barrier, 0
	.set _ZN7rocprim17ROCPRIM_400000_NS6detail17trampoline_kernelINS0_14default_configENS1_36segmented_radix_sort_config_selectorI12hip_bfloat16lEEZNS1_25segmented_radix_sort_implIS3_Lb1EPKS5_PS5_PKlPlN2at6native12_GLOBAL__N_18offset_tEEE10hipError_tPvRmT1_PNSt15iterator_traitsISL_E10value_typeET2_T3_PNSM_ISR_E10value_typeET4_jRbjT5_SX_jjP12ihipStream_tbEUlT_E0_NS1_11comp_targetILNS1_3genE9ELNS1_11target_archE1100ELNS1_3gpuE3ELNS1_3repE0EEENS1_60segmented_radix_sort_warp_sort_medium_config_static_selectorELNS0_4arch9wavefront6targetE1EEEvSL_.private_seg_size, 0
	.set _ZN7rocprim17ROCPRIM_400000_NS6detail17trampoline_kernelINS0_14default_configENS1_36segmented_radix_sort_config_selectorI12hip_bfloat16lEEZNS1_25segmented_radix_sort_implIS3_Lb1EPKS5_PS5_PKlPlN2at6native12_GLOBAL__N_18offset_tEEE10hipError_tPvRmT1_PNSt15iterator_traitsISL_E10value_typeET2_T3_PNSM_ISR_E10value_typeET4_jRbjT5_SX_jjP12ihipStream_tbEUlT_E0_NS1_11comp_targetILNS1_3genE9ELNS1_11target_archE1100ELNS1_3gpuE3ELNS1_3repE0EEENS1_60segmented_radix_sort_warp_sort_medium_config_static_selectorELNS0_4arch9wavefront6targetE1EEEvSL_.uses_vcc, 0
	.set _ZN7rocprim17ROCPRIM_400000_NS6detail17trampoline_kernelINS0_14default_configENS1_36segmented_radix_sort_config_selectorI12hip_bfloat16lEEZNS1_25segmented_radix_sort_implIS3_Lb1EPKS5_PS5_PKlPlN2at6native12_GLOBAL__N_18offset_tEEE10hipError_tPvRmT1_PNSt15iterator_traitsISL_E10value_typeET2_T3_PNSM_ISR_E10value_typeET4_jRbjT5_SX_jjP12ihipStream_tbEUlT_E0_NS1_11comp_targetILNS1_3genE9ELNS1_11target_archE1100ELNS1_3gpuE3ELNS1_3repE0EEENS1_60segmented_radix_sort_warp_sort_medium_config_static_selectorELNS0_4arch9wavefront6targetE1EEEvSL_.uses_flat_scratch, 0
	.set _ZN7rocprim17ROCPRIM_400000_NS6detail17trampoline_kernelINS0_14default_configENS1_36segmented_radix_sort_config_selectorI12hip_bfloat16lEEZNS1_25segmented_radix_sort_implIS3_Lb1EPKS5_PS5_PKlPlN2at6native12_GLOBAL__N_18offset_tEEE10hipError_tPvRmT1_PNSt15iterator_traitsISL_E10value_typeET2_T3_PNSM_ISR_E10value_typeET4_jRbjT5_SX_jjP12ihipStream_tbEUlT_E0_NS1_11comp_targetILNS1_3genE9ELNS1_11target_archE1100ELNS1_3gpuE3ELNS1_3repE0EEENS1_60segmented_radix_sort_warp_sort_medium_config_static_selectorELNS0_4arch9wavefront6targetE1EEEvSL_.has_dyn_sized_stack, 0
	.set _ZN7rocprim17ROCPRIM_400000_NS6detail17trampoline_kernelINS0_14default_configENS1_36segmented_radix_sort_config_selectorI12hip_bfloat16lEEZNS1_25segmented_radix_sort_implIS3_Lb1EPKS5_PS5_PKlPlN2at6native12_GLOBAL__N_18offset_tEEE10hipError_tPvRmT1_PNSt15iterator_traitsISL_E10value_typeET2_T3_PNSM_ISR_E10value_typeET4_jRbjT5_SX_jjP12ihipStream_tbEUlT_E0_NS1_11comp_targetILNS1_3genE9ELNS1_11target_archE1100ELNS1_3gpuE3ELNS1_3repE0EEENS1_60segmented_radix_sort_warp_sort_medium_config_static_selectorELNS0_4arch9wavefront6targetE1EEEvSL_.has_recursion, 0
	.set _ZN7rocprim17ROCPRIM_400000_NS6detail17trampoline_kernelINS0_14default_configENS1_36segmented_radix_sort_config_selectorI12hip_bfloat16lEEZNS1_25segmented_radix_sort_implIS3_Lb1EPKS5_PS5_PKlPlN2at6native12_GLOBAL__N_18offset_tEEE10hipError_tPvRmT1_PNSt15iterator_traitsISL_E10value_typeET2_T3_PNSM_ISR_E10value_typeET4_jRbjT5_SX_jjP12ihipStream_tbEUlT_E0_NS1_11comp_targetILNS1_3genE9ELNS1_11target_archE1100ELNS1_3gpuE3ELNS1_3repE0EEENS1_60segmented_radix_sort_warp_sort_medium_config_static_selectorELNS0_4arch9wavefront6targetE1EEEvSL_.has_indirect_call, 0
	.section	.AMDGPU.csdata,"",@progbits
; Kernel info:
; codeLenInByte = 0
; TotalNumSgprs: 4
; NumVgprs: 0
; ScratchSize: 0
; MemoryBound: 0
; FloatMode: 240
; IeeeMode: 1
; LDSByteSize: 0 bytes/workgroup (compile time only)
; SGPRBlocks: 0
; VGPRBlocks: 0
; NumSGPRsForWavesPerEU: 4
; NumVGPRsForWavesPerEU: 1
; Occupancy: 10
; WaveLimiterHint : 0
; COMPUTE_PGM_RSRC2:SCRATCH_EN: 0
; COMPUTE_PGM_RSRC2:USER_SGPR: 6
; COMPUTE_PGM_RSRC2:TRAP_HANDLER: 0
; COMPUTE_PGM_RSRC2:TGID_X_EN: 1
; COMPUTE_PGM_RSRC2:TGID_Y_EN: 0
; COMPUTE_PGM_RSRC2:TGID_Z_EN: 0
; COMPUTE_PGM_RSRC2:TIDIG_COMP_CNT: 0
	.section	.text._ZN7rocprim17ROCPRIM_400000_NS6detail17trampoline_kernelINS0_14default_configENS1_36segmented_radix_sort_config_selectorI12hip_bfloat16lEEZNS1_25segmented_radix_sort_implIS3_Lb1EPKS5_PS5_PKlPlN2at6native12_GLOBAL__N_18offset_tEEE10hipError_tPvRmT1_PNSt15iterator_traitsISL_E10value_typeET2_T3_PNSM_ISR_E10value_typeET4_jRbjT5_SX_jjP12ihipStream_tbEUlT_E0_NS1_11comp_targetILNS1_3genE8ELNS1_11target_archE1030ELNS1_3gpuE2ELNS1_3repE0EEENS1_60segmented_radix_sort_warp_sort_medium_config_static_selectorELNS0_4arch9wavefront6targetE1EEEvSL_,"axG",@progbits,_ZN7rocprim17ROCPRIM_400000_NS6detail17trampoline_kernelINS0_14default_configENS1_36segmented_radix_sort_config_selectorI12hip_bfloat16lEEZNS1_25segmented_radix_sort_implIS3_Lb1EPKS5_PS5_PKlPlN2at6native12_GLOBAL__N_18offset_tEEE10hipError_tPvRmT1_PNSt15iterator_traitsISL_E10value_typeET2_T3_PNSM_ISR_E10value_typeET4_jRbjT5_SX_jjP12ihipStream_tbEUlT_E0_NS1_11comp_targetILNS1_3genE8ELNS1_11target_archE1030ELNS1_3gpuE2ELNS1_3repE0EEENS1_60segmented_radix_sort_warp_sort_medium_config_static_selectorELNS0_4arch9wavefront6targetE1EEEvSL_,comdat
	.globl	_ZN7rocprim17ROCPRIM_400000_NS6detail17trampoline_kernelINS0_14default_configENS1_36segmented_radix_sort_config_selectorI12hip_bfloat16lEEZNS1_25segmented_radix_sort_implIS3_Lb1EPKS5_PS5_PKlPlN2at6native12_GLOBAL__N_18offset_tEEE10hipError_tPvRmT1_PNSt15iterator_traitsISL_E10value_typeET2_T3_PNSM_ISR_E10value_typeET4_jRbjT5_SX_jjP12ihipStream_tbEUlT_E0_NS1_11comp_targetILNS1_3genE8ELNS1_11target_archE1030ELNS1_3gpuE2ELNS1_3repE0EEENS1_60segmented_radix_sort_warp_sort_medium_config_static_selectorELNS0_4arch9wavefront6targetE1EEEvSL_ ; -- Begin function _ZN7rocprim17ROCPRIM_400000_NS6detail17trampoline_kernelINS0_14default_configENS1_36segmented_radix_sort_config_selectorI12hip_bfloat16lEEZNS1_25segmented_radix_sort_implIS3_Lb1EPKS5_PS5_PKlPlN2at6native12_GLOBAL__N_18offset_tEEE10hipError_tPvRmT1_PNSt15iterator_traitsISL_E10value_typeET2_T3_PNSM_ISR_E10value_typeET4_jRbjT5_SX_jjP12ihipStream_tbEUlT_E0_NS1_11comp_targetILNS1_3genE8ELNS1_11target_archE1030ELNS1_3gpuE2ELNS1_3repE0EEENS1_60segmented_radix_sort_warp_sort_medium_config_static_selectorELNS0_4arch9wavefront6targetE1EEEvSL_
	.p2align	8
	.type	_ZN7rocprim17ROCPRIM_400000_NS6detail17trampoline_kernelINS0_14default_configENS1_36segmented_radix_sort_config_selectorI12hip_bfloat16lEEZNS1_25segmented_radix_sort_implIS3_Lb1EPKS5_PS5_PKlPlN2at6native12_GLOBAL__N_18offset_tEEE10hipError_tPvRmT1_PNSt15iterator_traitsISL_E10value_typeET2_T3_PNSM_ISR_E10value_typeET4_jRbjT5_SX_jjP12ihipStream_tbEUlT_E0_NS1_11comp_targetILNS1_3genE8ELNS1_11target_archE1030ELNS1_3gpuE2ELNS1_3repE0EEENS1_60segmented_radix_sort_warp_sort_medium_config_static_selectorELNS0_4arch9wavefront6targetE1EEEvSL_,@function
_ZN7rocprim17ROCPRIM_400000_NS6detail17trampoline_kernelINS0_14default_configENS1_36segmented_radix_sort_config_selectorI12hip_bfloat16lEEZNS1_25segmented_radix_sort_implIS3_Lb1EPKS5_PS5_PKlPlN2at6native12_GLOBAL__N_18offset_tEEE10hipError_tPvRmT1_PNSt15iterator_traitsISL_E10value_typeET2_T3_PNSM_ISR_E10value_typeET4_jRbjT5_SX_jjP12ihipStream_tbEUlT_E0_NS1_11comp_targetILNS1_3genE8ELNS1_11target_archE1030ELNS1_3gpuE2ELNS1_3repE0EEENS1_60segmented_radix_sort_warp_sort_medium_config_static_selectorELNS0_4arch9wavefront6targetE1EEEvSL_: ; @_ZN7rocprim17ROCPRIM_400000_NS6detail17trampoline_kernelINS0_14default_configENS1_36segmented_radix_sort_config_selectorI12hip_bfloat16lEEZNS1_25segmented_radix_sort_implIS3_Lb1EPKS5_PS5_PKlPlN2at6native12_GLOBAL__N_18offset_tEEE10hipError_tPvRmT1_PNSt15iterator_traitsISL_E10value_typeET2_T3_PNSM_ISR_E10value_typeET4_jRbjT5_SX_jjP12ihipStream_tbEUlT_E0_NS1_11comp_targetILNS1_3genE8ELNS1_11target_archE1030ELNS1_3gpuE2ELNS1_3repE0EEENS1_60segmented_radix_sort_warp_sort_medium_config_static_selectorELNS0_4arch9wavefront6targetE1EEEvSL_
; %bb.0:
	.section	.rodata,"a",@progbits
	.p2align	6, 0x0
	.amdhsa_kernel _ZN7rocprim17ROCPRIM_400000_NS6detail17trampoline_kernelINS0_14default_configENS1_36segmented_radix_sort_config_selectorI12hip_bfloat16lEEZNS1_25segmented_radix_sort_implIS3_Lb1EPKS5_PS5_PKlPlN2at6native12_GLOBAL__N_18offset_tEEE10hipError_tPvRmT1_PNSt15iterator_traitsISL_E10value_typeET2_T3_PNSM_ISR_E10value_typeET4_jRbjT5_SX_jjP12ihipStream_tbEUlT_E0_NS1_11comp_targetILNS1_3genE8ELNS1_11target_archE1030ELNS1_3gpuE2ELNS1_3repE0EEENS1_60segmented_radix_sort_warp_sort_medium_config_static_selectorELNS0_4arch9wavefront6targetE1EEEvSL_
		.amdhsa_group_segment_fixed_size 0
		.amdhsa_private_segment_fixed_size 0
		.amdhsa_kernarg_size 88
		.amdhsa_user_sgpr_count 6
		.amdhsa_user_sgpr_private_segment_buffer 1
		.amdhsa_user_sgpr_dispatch_ptr 0
		.amdhsa_user_sgpr_queue_ptr 0
		.amdhsa_user_sgpr_kernarg_segment_ptr 1
		.amdhsa_user_sgpr_dispatch_id 0
		.amdhsa_user_sgpr_flat_scratch_init 0
		.amdhsa_user_sgpr_private_segment_size 0
		.amdhsa_uses_dynamic_stack 0
		.amdhsa_system_sgpr_private_segment_wavefront_offset 0
		.amdhsa_system_sgpr_workgroup_id_x 1
		.amdhsa_system_sgpr_workgroup_id_y 0
		.amdhsa_system_sgpr_workgroup_id_z 0
		.amdhsa_system_sgpr_workgroup_info 0
		.amdhsa_system_vgpr_workitem_id 0
		.amdhsa_next_free_vgpr 1
		.amdhsa_next_free_sgpr 0
		.amdhsa_reserve_vcc 0
		.amdhsa_reserve_flat_scratch 0
		.amdhsa_float_round_mode_32 0
		.amdhsa_float_round_mode_16_64 0
		.amdhsa_float_denorm_mode_32 3
		.amdhsa_float_denorm_mode_16_64 3
		.amdhsa_dx10_clamp 1
		.amdhsa_ieee_mode 1
		.amdhsa_fp16_overflow 0
		.amdhsa_exception_fp_ieee_invalid_op 0
		.amdhsa_exception_fp_denorm_src 0
		.amdhsa_exception_fp_ieee_div_zero 0
		.amdhsa_exception_fp_ieee_overflow 0
		.amdhsa_exception_fp_ieee_underflow 0
		.amdhsa_exception_fp_ieee_inexact 0
		.amdhsa_exception_int_div_zero 0
	.end_amdhsa_kernel
	.section	.text._ZN7rocprim17ROCPRIM_400000_NS6detail17trampoline_kernelINS0_14default_configENS1_36segmented_radix_sort_config_selectorI12hip_bfloat16lEEZNS1_25segmented_radix_sort_implIS3_Lb1EPKS5_PS5_PKlPlN2at6native12_GLOBAL__N_18offset_tEEE10hipError_tPvRmT1_PNSt15iterator_traitsISL_E10value_typeET2_T3_PNSM_ISR_E10value_typeET4_jRbjT5_SX_jjP12ihipStream_tbEUlT_E0_NS1_11comp_targetILNS1_3genE8ELNS1_11target_archE1030ELNS1_3gpuE2ELNS1_3repE0EEENS1_60segmented_radix_sort_warp_sort_medium_config_static_selectorELNS0_4arch9wavefront6targetE1EEEvSL_,"axG",@progbits,_ZN7rocprim17ROCPRIM_400000_NS6detail17trampoline_kernelINS0_14default_configENS1_36segmented_radix_sort_config_selectorI12hip_bfloat16lEEZNS1_25segmented_radix_sort_implIS3_Lb1EPKS5_PS5_PKlPlN2at6native12_GLOBAL__N_18offset_tEEE10hipError_tPvRmT1_PNSt15iterator_traitsISL_E10value_typeET2_T3_PNSM_ISR_E10value_typeET4_jRbjT5_SX_jjP12ihipStream_tbEUlT_E0_NS1_11comp_targetILNS1_3genE8ELNS1_11target_archE1030ELNS1_3gpuE2ELNS1_3repE0EEENS1_60segmented_radix_sort_warp_sort_medium_config_static_selectorELNS0_4arch9wavefront6targetE1EEEvSL_,comdat
.Lfunc_end1965:
	.size	_ZN7rocprim17ROCPRIM_400000_NS6detail17trampoline_kernelINS0_14default_configENS1_36segmented_radix_sort_config_selectorI12hip_bfloat16lEEZNS1_25segmented_radix_sort_implIS3_Lb1EPKS5_PS5_PKlPlN2at6native12_GLOBAL__N_18offset_tEEE10hipError_tPvRmT1_PNSt15iterator_traitsISL_E10value_typeET2_T3_PNSM_ISR_E10value_typeET4_jRbjT5_SX_jjP12ihipStream_tbEUlT_E0_NS1_11comp_targetILNS1_3genE8ELNS1_11target_archE1030ELNS1_3gpuE2ELNS1_3repE0EEENS1_60segmented_radix_sort_warp_sort_medium_config_static_selectorELNS0_4arch9wavefront6targetE1EEEvSL_, .Lfunc_end1965-_ZN7rocprim17ROCPRIM_400000_NS6detail17trampoline_kernelINS0_14default_configENS1_36segmented_radix_sort_config_selectorI12hip_bfloat16lEEZNS1_25segmented_radix_sort_implIS3_Lb1EPKS5_PS5_PKlPlN2at6native12_GLOBAL__N_18offset_tEEE10hipError_tPvRmT1_PNSt15iterator_traitsISL_E10value_typeET2_T3_PNSM_ISR_E10value_typeET4_jRbjT5_SX_jjP12ihipStream_tbEUlT_E0_NS1_11comp_targetILNS1_3genE8ELNS1_11target_archE1030ELNS1_3gpuE2ELNS1_3repE0EEENS1_60segmented_radix_sort_warp_sort_medium_config_static_selectorELNS0_4arch9wavefront6targetE1EEEvSL_
                                        ; -- End function
	.set _ZN7rocprim17ROCPRIM_400000_NS6detail17trampoline_kernelINS0_14default_configENS1_36segmented_radix_sort_config_selectorI12hip_bfloat16lEEZNS1_25segmented_radix_sort_implIS3_Lb1EPKS5_PS5_PKlPlN2at6native12_GLOBAL__N_18offset_tEEE10hipError_tPvRmT1_PNSt15iterator_traitsISL_E10value_typeET2_T3_PNSM_ISR_E10value_typeET4_jRbjT5_SX_jjP12ihipStream_tbEUlT_E0_NS1_11comp_targetILNS1_3genE8ELNS1_11target_archE1030ELNS1_3gpuE2ELNS1_3repE0EEENS1_60segmented_radix_sort_warp_sort_medium_config_static_selectorELNS0_4arch9wavefront6targetE1EEEvSL_.num_vgpr, 0
	.set _ZN7rocprim17ROCPRIM_400000_NS6detail17trampoline_kernelINS0_14default_configENS1_36segmented_radix_sort_config_selectorI12hip_bfloat16lEEZNS1_25segmented_radix_sort_implIS3_Lb1EPKS5_PS5_PKlPlN2at6native12_GLOBAL__N_18offset_tEEE10hipError_tPvRmT1_PNSt15iterator_traitsISL_E10value_typeET2_T3_PNSM_ISR_E10value_typeET4_jRbjT5_SX_jjP12ihipStream_tbEUlT_E0_NS1_11comp_targetILNS1_3genE8ELNS1_11target_archE1030ELNS1_3gpuE2ELNS1_3repE0EEENS1_60segmented_radix_sort_warp_sort_medium_config_static_selectorELNS0_4arch9wavefront6targetE1EEEvSL_.num_agpr, 0
	.set _ZN7rocprim17ROCPRIM_400000_NS6detail17trampoline_kernelINS0_14default_configENS1_36segmented_radix_sort_config_selectorI12hip_bfloat16lEEZNS1_25segmented_radix_sort_implIS3_Lb1EPKS5_PS5_PKlPlN2at6native12_GLOBAL__N_18offset_tEEE10hipError_tPvRmT1_PNSt15iterator_traitsISL_E10value_typeET2_T3_PNSM_ISR_E10value_typeET4_jRbjT5_SX_jjP12ihipStream_tbEUlT_E0_NS1_11comp_targetILNS1_3genE8ELNS1_11target_archE1030ELNS1_3gpuE2ELNS1_3repE0EEENS1_60segmented_radix_sort_warp_sort_medium_config_static_selectorELNS0_4arch9wavefront6targetE1EEEvSL_.numbered_sgpr, 0
	.set _ZN7rocprim17ROCPRIM_400000_NS6detail17trampoline_kernelINS0_14default_configENS1_36segmented_radix_sort_config_selectorI12hip_bfloat16lEEZNS1_25segmented_radix_sort_implIS3_Lb1EPKS5_PS5_PKlPlN2at6native12_GLOBAL__N_18offset_tEEE10hipError_tPvRmT1_PNSt15iterator_traitsISL_E10value_typeET2_T3_PNSM_ISR_E10value_typeET4_jRbjT5_SX_jjP12ihipStream_tbEUlT_E0_NS1_11comp_targetILNS1_3genE8ELNS1_11target_archE1030ELNS1_3gpuE2ELNS1_3repE0EEENS1_60segmented_radix_sort_warp_sort_medium_config_static_selectorELNS0_4arch9wavefront6targetE1EEEvSL_.num_named_barrier, 0
	.set _ZN7rocprim17ROCPRIM_400000_NS6detail17trampoline_kernelINS0_14default_configENS1_36segmented_radix_sort_config_selectorI12hip_bfloat16lEEZNS1_25segmented_radix_sort_implIS3_Lb1EPKS5_PS5_PKlPlN2at6native12_GLOBAL__N_18offset_tEEE10hipError_tPvRmT1_PNSt15iterator_traitsISL_E10value_typeET2_T3_PNSM_ISR_E10value_typeET4_jRbjT5_SX_jjP12ihipStream_tbEUlT_E0_NS1_11comp_targetILNS1_3genE8ELNS1_11target_archE1030ELNS1_3gpuE2ELNS1_3repE0EEENS1_60segmented_radix_sort_warp_sort_medium_config_static_selectorELNS0_4arch9wavefront6targetE1EEEvSL_.private_seg_size, 0
	.set _ZN7rocprim17ROCPRIM_400000_NS6detail17trampoline_kernelINS0_14default_configENS1_36segmented_radix_sort_config_selectorI12hip_bfloat16lEEZNS1_25segmented_radix_sort_implIS3_Lb1EPKS5_PS5_PKlPlN2at6native12_GLOBAL__N_18offset_tEEE10hipError_tPvRmT1_PNSt15iterator_traitsISL_E10value_typeET2_T3_PNSM_ISR_E10value_typeET4_jRbjT5_SX_jjP12ihipStream_tbEUlT_E0_NS1_11comp_targetILNS1_3genE8ELNS1_11target_archE1030ELNS1_3gpuE2ELNS1_3repE0EEENS1_60segmented_radix_sort_warp_sort_medium_config_static_selectorELNS0_4arch9wavefront6targetE1EEEvSL_.uses_vcc, 0
	.set _ZN7rocprim17ROCPRIM_400000_NS6detail17trampoline_kernelINS0_14default_configENS1_36segmented_radix_sort_config_selectorI12hip_bfloat16lEEZNS1_25segmented_radix_sort_implIS3_Lb1EPKS5_PS5_PKlPlN2at6native12_GLOBAL__N_18offset_tEEE10hipError_tPvRmT1_PNSt15iterator_traitsISL_E10value_typeET2_T3_PNSM_ISR_E10value_typeET4_jRbjT5_SX_jjP12ihipStream_tbEUlT_E0_NS1_11comp_targetILNS1_3genE8ELNS1_11target_archE1030ELNS1_3gpuE2ELNS1_3repE0EEENS1_60segmented_radix_sort_warp_sort_medium_config_static_selectorELNS0_4arch9wavefront6targetE1EEEvSL_.uses_flat_scratch, 0
	.set _ZN7rocprim17ROCPRIM_400000_NS6detail17trampoline_kernelINS0_14default_configENS1_36segmented_radix_sort_config_selectorI12hip_bfloat16lEEZNS1_25segmented_radix_sort_implIS3_Lb1EPKS5_PS5_PKlPlN2at6native12_GLOBAL__N_18offset_tEEE10hipError_tPvRmT1_PNSt15iterator_traitsISL_E10value_typeET2_T3_PNSM_ISR_E10value_typeET4_jRbjT5_SX_jjP12ihipStream_tbEUlT_E0_NS1_11comp_targetILNS1_3genE8ELNS1_11target_archE1030ELNS1_3gpuE2ELNS1_3repE0EEENS1_60segmented_radix_sort_warp_sort_medium_config_static_selectorELNS0_4arch9wavefront6targetE1EEEvSL_.has_dyn_sized_stack, 0
	.set _ZN7rocprim17ROCPRIM_400000_NS6detail17trampoline_kernelINS0_14default_configENS1_36segmented_radix_sort_config_selectorI12hip_bfloat16lEEZNS1_25segmented_radix_sort_implIS3_Lb1EPKS5_PS5_PKlPlN2at6native12_GLOBAL__N_18offset_tEEE10hipError_tPvRmT1_PNSt15iterator_traitsISL_E10value_typeET2_T3_PNSM_ISR_E10value_typeET4_jRbjT5_SX_jjP12ihipStream_tbEUlT_E0_NS1_11comp_targetILNS1_3genE8ELNS1_11target_archE1030ELNS1_3gpuE2ELNS1_3repE0EEENS1_60segmented_radix_sort_warp_sort_medium_config_static_selectorELNS0_4arch9wavefront6targetE1EEEvSL_.has_recursion, 0
	.set _ZN7rocprim17ROCPRIM_400000_NS6detail17trampoline_kernelINS0_14default_configENS1_36segmented_radix_sort_config_selectorI12hip_bfloat16lEEZNS1_25segmented_radix_sort_implIS3_Lb1EPKS5_PS5_PKlPlN2at6native12_GLOBAL__N_18offset_tEEE10hipError_tPvRmT1_PNSt15iterator_traitsISL_E10value_typeET2_T3_PNSM_ISR_E10value_typeET4_jRbjT5_SX_jjP12ihipStream_tbEUlT_E0_NS1_11comp_targetILNS1_3genE8ELNS1_11target_archE1030ELNS1_3gpuE2ELNS1_3repE0EEENS1_60segmented_radix_sort_warp_sort_medium_config_static_selectorELNS0_4arch9wavefront6targetE1EEEvSL_.has_indirect_call, 0
	.section	.AMDGPU.csdata,"",@progbits
; Kernel info:
; codeLenInByte = 0
; TotalNumSgprs: 4
; NumVgprs: 0
; ScratchSize: 0
; MemoryBound: 0
; FloatMode: 240
; IeeeMode: 1
; LDSByteSize: 0 bytes/workgroup (compile time only)
; SGPRBlocks: 0
; VGPRBlocks: 0
; NumSGPRsForWavesPerEU: 4
; NumVGPRsForWavesPerEU: 1
; Occupancy: 10
; WaveLimiterHint : 0
; COMPUTE_PGM_RSRC2:SCRATCH_EN: 0
; COMPUTE_PGM_RSRC2:USER_SGPR: 6
; COMPUTE_PGM_RSRC2:TRAP_HANDLER: 0
; COMPUTE_PGM_RSRC2:TGID_X_EN: 1
; COMPUTE_PGM_RSRC2:TGID_Y_EN: 0
; COMPUTE_PGM_RSRC2:TGID_Z_EN: 0
; COMPUTE_PGM_RSRC2:TIDIG_COMP_CNT: 0
	.section	.text._ZN7rocprim17ROCPRIM_400000_NS6detail17trampoline_kernelINS0_14default_configENS1_36segmented_radix_sort_config_selectorI12hip_bfloat16lEEZNS1_25segmented_radix_sort_implIS3_Lb1EPKS5_PS5_PKlPlN2at6native12_GLOBAL__N_18offset_tEEE10hipError_tPvRmT1_PNSt15iterator_traitsISL_E10value_typeET2_T3_PNSM_ISR_E10value_typeET4_jRbjT5_SX_jjP12ihipStream_tbEUlT_E1_NS1_11comp_targetILNS1_3genE0ELNS1_11target_archE4294967295ELNS1_3gpuE0ELNS1_3repE0EEENS1_59segmented_radix_sort_warp_sort_small_config_static_selectorELNS0_4arch9wavefront6targetE1EEEvSL_,"axG",@progbits,_ZN7rocprim17ROCPRIM_400000_NS6detail17trampoline_kernelINS0_14default_configENS1_36segmented_radix_sort_config_selectorI12hip_bfloat16lEEZNS1_25segmented_radix_sort_implIS3_Lb1EPKS5_PS5_PKlPlN2at6native12_GLOBAL__N_18offset_tEEE10hipError_tPvRmT1_PNSt15iterator_traitsISL_E10value_typeET2_T3_PNSM_ISR_E10value_typeET4_jRbjT5_SX_jjP12ihipStream_tbEUlT_E1_NS1_11comp_targetILNS1_3genE0ELNS1_11target_archE4294967295ELNS1_3gpuE0ELNS1_3repE0EEENS1_59segmented_radix_sort_warp_sort_small_config_static_selectorELNS0_4arch9wavefront6targetE1EEEvSL_,comdat
	.globl	_ZN7rocprim17ROCPRIM_400000_NS6detail17trampoline_kernelINS0_14default_configENS1_36segmented_radix_sort_config_selectorI12hip_bfloat16lEEZNS1_25segmented_radix_sort_implIS3_Lb1EPKS5_PS5_PKlPlN2at6native12_GLOBAL__N_18offset_tEEE10hipError_tPvRmT1_PNSt15iterator_traitsISL_E10value_typeET2_T3_PNSM_ISR_E10value_typeET4_jRbjT5_SX_jjP12ihipStream_tbEUlT_E1_NS1_11comp_targetILNS1_3genE0ELNS1_11target_archE4294967295ELNS1_3gpuE0ELNS1_3repE0EEENS1_59segmented_radix_sort_warp_sort_small_config_static_selectorELNS0_4arch9wavefront6targetE1EEEvSL_ ; -- Begin function _ZN7rocprim17ROCPRIM_400000_NS6detail17trampoline_kernelINS0_14default_configENS1_36segmented_radix_sort_config_selectorI12hip_bfloat16lEEZNS1_25segmented_radix_sort_implIS3_Lb1EPKS5_PS5_PKlPlN2at6native12_GLOBAL__N_18offset_tEEE10hipError_tPvRmT1_PNSt15iterator_traitsISL_E10value_typeET2_T3_PNSM_ISR_E10value_typeET4_jRbjT5_SX_jjP12ihipStream_tbEUlT_E1_NS1_11comp_targetILNS1_3genE0ELNS1_11target_archE4294967295ELNS1_3gpuE0ELNS1_3repE0EEENS1_59segmented_radix_sort_warp_sort_small_config_static_selectorELNS0_4arch9wavefront6targetE1EEEvSL_
	.p2align	8
	.type	_ZN7rocprim17ROCPRIM_400000_NS6detail17trampoline_kernelINS0_14default_configENS1_36segmented_radix_sort_config_selectorI12hip_bfloat16lEEZNS1_25segmented_radix_sort_implIS3_Lb1EPKS5_PS5_PKlPlN2at6native12_GLOBAL__N_18offset_tEEE10hipError_tPvRmT1_PNSt15iterator_traitsISL_E10value_typeET2_T3_PNSM_ISR_E10value_typeET4_jRbjT5_SX_jjP12ihipStream_tbEUlT_E1_NS1_11comp_targetILNS1_3genE0ELNS1_11target_archE4294967295ELNS1_3gpuE0ELNS1_3repE0EEENS1_59segmented_radix_sort_warp_sort_small_config_static_selectorELNS0_4arch9wavefront6targetE1EEEvSL_,@function
_ZN7rocprim17ROCPRIM_400000_NS6detail17trampoline_kernelINS0_14default_configENS1_36segmented_radix_sort_config_selectorI12hip_bfloat16lEEZNS1_25segmented_radix_sort_implIS3_Lb1EPKS5_PS5_PKlPlN2at6native12_GLOBAL__N_18offset_tEEE10hipError_tPvRmT1_PNSt15iterator_traitsISL_E10value_typeET2_T3_PNSM_ISR_E10value_typeET4_jRbjT5_SX_jjP12ihipStream_tbEUlT_E1_NS1_11comp_targetILNS1_3genE0ELNS1_11target_archE4294967295ELNS1_3gpuE0ELNS1_3repE0EEENS1_59segmented_radix_sort_warp_sort_small_config_static_selectorELNS0_4arch9wavefront6targetE1EEEvSL_: ; @_ZN7rocprim17ROCPRIM_400000_NS6detail17trampoline_kernelINS0_14default_configENS1_36segmented_radix_sort_config_selectorI12hip_bfloat16lEEZNS1_25segmented_radix_sort_implIS3_Lb1EPKS5_PS5_PKlPlN2at6native12_GLOBAL__N_18offset_tEEE10hipError_tPvRmT1_PNSt15iterator_traitsISL_E10value_typeET2_T3_PNSM_ISR_E10value_typeET4_jRbjT5_SX_jjP12ihipStream_tbEUlT_E1_NS1_11comp_targetILNS1_3genE0ELNS1_11target_archE4294967295ELNS1_3gpuE0ELNS1_3repE0EEENS1_59segmented_radix_sort_warp_sort_small_config_static_selectorELNS0_4arch9wavefront6targetE1EEEvSL_
; %bb.0:
	.section	.rodata,"a",@progbits
	.p2align	6, 0x0
	.amdhsa_kernel _ZN7rocprim17ROCPRIM_400000_NS6detail17trampoline_kernelINS0_14default_configENS1_36segmented_radix_sort_config_selectorI12hip_bfloat16lEEZNS1_25segmented_radix_sort_implIS3_Lb1EPKS5_PS5_PKlPlN2at6native12_GLOBAL__N_18offset_tEEE10hipError_tPvRmT1_PNSt15iterator_traitsISL_E10value_typeET2_T3_PNSM_ISR_E10value_typeET4_jRbjT5_SX_jjP12ihipStream_tbEUlT_E1_NS1_11comp_targetILNS1_3genE0ELNS1_11target_archE4294967295ELNS1_3gpuE0ELNS1_3repE0EEENS1_59segmented_radix_sort_warp_sort_small_config_static_selectorELNS0_4arch9wavefront6targetE1EEEvSL_
		.amdhsa_group_segment_fixed_size 0
		.amdhsa_private_segment_fixed_size 0
		.amdhsa_kernarg_size 88
		.amdhsa_user_sgpr_count 6
		.amdhsa_user_sgpr_private_segment_buffer 1
		.amdhsa_user_sgpr_dispatch_ptr 0
		.amdhsa_user_sgpr_queue_ptr 0
		.amdhsa_user_sgpr_kernarg_segment_ptr 1
		.amdhsa_user_sgpr_dispatch_id 0
		.amdhsa_user_sgpr_flat_scratch_init 0
		.amdhsa_user_sgpr_private_segment_size 0
		.amdhsa_uses_dynamic_stack 0
		.amdhsa_system_sgpr_private_segment_wavefront_offset 0
		.amdhsa_system_sgpr_workgroup_id_x 1
		.amdhsa_system_sgpr_workgroup_id_y 0
		.amdhsa_system_sgpr_workgroup_id_z 0
		.amdhsa_system_sgpr_workgroup_info 0
		.amdhsa_system_vgpr_workitem_id 0
		.amdhsa_next_free_vgpr 1
		.amdhsa_next_free_sgpr 0
		.amdhsa_reserve_vcc 0
		.amdhsa_reserve_flat_scratch 0
		.amdhsa_float_round_mode_32 0
		.amdhsa_float_round_mode_16_64 0
		.amdhsa_float_denorm_mode_32 3
		.amdhsa_float_denorm_mode_16_64 3
		.amdhsa_dx10_clamp 1
		.amdhsa_ieee_mode 1
		.amdhsa_fp16_overflow 0
		.amdhsa_exception_fp_ieee_invalid_op 0
		.amdhsa_exception_fp_denorm_src 0
		.amdhsa_exception_fp_ieee_div_zero 0
		.amdhsa_exception_fp_ieee_overflow 0
		.amdhsa_exception_fp_ieee_underflow 0
		.amdhsa_exception_fp_ieee_inexact 0
		.amdhsa_exception_int_div_zero 0
	.end_amdhsa_kernel
	.section	.text._ZN7rocprim17ROCPRIM_400000_NS6detail17trampoline_kernelINS0_14default_configENS1_36segmented_radix_sort_config_selectorI12hip_bfloat16lEEZNS1_25segmented_radix_sort_implIS3_Lb1EPKS5_PS5_PKlPlN2at6native12_GLOBAL__N_18offset_tEEE10hipError_tPvRmT1_PNSt15iterator_traitsISL_E10value_typeET2_T3_PNSM_ISR_E10value_typeET4_jRbjT5_SX_jjP12ihipStream_tbEUlT_E1_NS1_11comp_targetILNS1_3genE0ELNS1_11target_archE4294967295ELNS1_3gpuE0ELNS1_3repE0EEENS1_59segmented_radix_sort_warp_sort_small_config_static_selectorELNS0_4arch9wavefront6targetE1EEEvSL_,"axG",@progbits,_ZN7rocprim17ROCPRIM_400000_NS6detail17trampoline_kernelINS0_14default_configENS1_36segmented_radix_sort_config_selectorI12hip_bfloat16lEEZNS1_25segmented_radix_sort_implIS3_Lb1EPKS5_PS5_PKlPlN2at6native12_GLOBAL__N_18offset_tEEE10hipError_tPvRmT1_PNSt15iterator_traitsISL_E10value_typeET2_T3_PNSM_ISR_E10value_typeET4_jRbjT5_SX_jjP12ihipStream_tbEUlT_E1_NS1_11comp_targetILNS1_3genE0ELNS1_11target_archE4294967295ELNS1_3gpuE0ELNS1_3repE0EEENS1_59segmented_radix_sort_warp_sort_small_config_static_selectorELNS0_4arch9wavefront6targetE1EEEvSL_,comdat
.Lfunc_end1966:
	.size	_ZN7rocprim17ROCPRIM_400000_NS6detail17trampoline_kernelINS0_14default_configENS1_36segmented_radix_sort_config_selectorI12hip_bfloat16lEEZNS1_25segmented_radix_sort_implIS3_Lb1EPKS5_PS5_PKlPlN2at6native12_GLOBAL__N_18offset_tEEE10hipError_tPvRmT1_PNSt15iterator_traitsISL_E10value_typeET2_T3_PNSM_ISR_E10value_typeET4_jRbjT5_SX_jjP12ihipStream_tbEUlT_E1_NS1_11comp_targetILNS1_3genE0ELNS1_11target_archE4294967295ELNS1_3gpuE0ELNS1_3repE0EEENS1_59segmented_radix_sort_warp_sort_small_config_static_selectorELNS0_4arch9wavefront6targetE1EEEvSL_, .Lfunc_end1966-_ZN7rocprim17ROCPRIM_400000_NS6detail17trampoline_kernelINS0_14default_configENS1_36segmented_radix_sort_config_selectorI12hip_bfloat16lEEZNS1_25segmented_radix_sort_implIS3_Lb1EPKS5_PS5_PKlPlN2at6native12_GLOBAL__N_18offset_tEEE10hipError_tPvRmT1_PNSt15iterator_traitsISL_E10value_typeET2_T3_PNSM_ISR_E10value_typeET4_jRbjT5_SX_jjP12ihipStream_tbEUlT_E1_NS1_11comp_targetILNS1_3genE0ELNS1_11target_archE4294967295ELNS1_3gpuE0ELNS1_3repE0EEENS1_59segmented_radix_sort_warp_sort_small_config_static_selectorELNS0_4arch9wavefront6targetE1EEEvSL_
                                        ; -- End function
	.set _ZN7rocprim17ROCPRIM_400000_NS6detail17trampoline_kernelINS0_14default_configENS1_36segmented_radix_sort_config_selectorI12hip_bfloat16lEEZNS1_25segmented_radix_sort_implIS3_Lb1EPKS5_PS5_PKlPlN2at6native12_GLOBAL__N_18offset_tEEE10hipError_tPvRmT1_PNSt15iterator_traitsISL_E10value_typeET2_T3_PNSM_ISR_E10value_typeET4_jRbjT5_SX_jjP12ihipStream_tbEUlT_E1_NS1_11comp_targetILNS1_3genE0ELNS1_11target_archE4294967295ELNS1_3gpuE0ELNS1_3repE0EEENS1_59segmented_radix_sort_warp_sort_small_config_static_selectorELNS0_4arch9wavefront6targetE1EEEvSL_.num_vgpr, 0
	.set _ZN7rocprim17ROCPRIM_400000_NS6detail17trampoline_kernelINS0_14default_configENS1_36segmented_radix_sort_config_selectorI12hip_bfloat16lEEZNS1_25segmented_radix_sort_implIS3_Lb1EPKS5_PS5_PKlPlN2at6native12_GLOBAL__N_18offset_tEEE10hipError_tPvRmT1_PNSt15iterator_traitsISL_E10value_typeET2_T3_PNSM_ISR_E10value_typeET4_jRbjT5_SX_jjP12ihipStream_tbEUlT_E1_NS1_11comp_targetILNS1_3genE0ELNS1_11target_archE4294967295ELNS1_3gpuE0ELNS1_3repE0EEENS1_59segmented_radix_sort_warp_sort_small_config_static_selectorELNS0_4arch9wavefront6targetE1EEEvSL_.num_agpr, 0
	.set _ZN7rocprim17ROCPRIM_400000_NS6detail17trampoline_kernelINS0_14default_configENS1_36segmented_radix_sort_config_selectorI12hip_bfloat16lEEZNS1_25segmented_radix_sort_implIS3_Lb1EPKS5_PS5_PKlPlN2at6native12_GLOBAL__N_18offset_tEEE10hipError_tPvRmT1_PNSt15iterator_traitsISL_E10value_typeET2_T3_PNSM_ISR_E10value_typeET4_jRbjT5_SX_jjP12ihipStream_tbEUlT_E1_NS1_11comp_targetILNS1_3genE0ELNS1_11target_archE4294967295ELNS1_3gpuE0ELNS1_3repE0EEENS1_59segmented_radix_sort_warp_sort_small_config_static_selectorELNS0_4arch9wavefront6targetE1EEEvSL_.numbered_sgpr, 0
	.set _ZN7rocprim17ROCPRIM_400000_NS6detail17trampoline_kernelINS0_14default_configENS1_36segmented_radix_sort_config_selectorI12hip_bfloat16lEEZNS1_25segmented_radix_sort_implIS3_Lb1EPKS5_PS5_PKlPlN2at6native12_GLOBAL__N_18offset_tEEE10hipError_tPvRmT1_PNSt15iterator_traitsISL_E10value_typeET2_T3_PNSM_ISR_E10value_typeET4_jRbjT5_SX_jjP12ihipStream_tbEUlT_E1_NS1_11comp_targetILNS1_3genE0ELNS1_11target_archE4294967295ELNS1_3gpuE0ELNS1_3repE0EEENS1_59segmented_radix_sort_warp_sort_small_config_static_selectorELNS0_4arch9wavefront6targetE1EEEvSL_.num_named_barrier, 0
	.set _ZN7rocprim17ROCPRIM_400000_NS6detail17trampoline_kernelINS0_14default_configENS1_36segmented_radix_sort_config_selectorI12hip_bfloat16lEEZNS1_25segmented_radix_sort_implIS3_Lb1EPKS5_PS5_PKlPlN2at6native12_GLOBAL__N_18offset_tEEE10hipError_tPvRmT1_PNSt15iterator_traitsISL_E10value_typeET2_T3_PNSM_ISR_E10value_typeET4_jRbjT5_SX_jjP12ihipStream_tbEUlT_E1_NS1_11comp_targetILNS1_3genE0ELNS1_11target_archE4294967295ELNS1_3gpuE0ELNS1_3repE0EEENS1_59segmented_radix_sort_warp_sort_small_config_static_selectorELNS0_4arch9wavefront6targetE1EEEvSL_.private_seg_size, 0
	.set _ZN7rocprim17ROCPRIM_400000_NS6detail17trampoline_kernelINS0_14default_configENS1_36segmented_radix_sort_config_selectorI12hip_bfloat16lEEZNS1_25segmented_radix_sort_implIS3_Lb1EPKS5_PS5_PKlPlN2at6native12_GLOBAL__N_18offset_tEEE10hipError_tPvRmT1_PNSt15iterator_traitsISL_E10value_typeET2_T3_PNSM_ISR_E10value_typeET4_jRbjT5_SX_jjP12ihipStream_tbEUlT_E1_NS1_11comp_targetILNS1_3genE0ELNS1_11target_archE4294967295ELNS1_3gpuE0ELNS1_3repE0EEENS1_59segmented_radix_sort_warp_sort_small_config_static_selectorELNS0_4arch9wavefront6targetE1EEEvSL_.uses_vcc, 0
	.set _ZN7rocprim17ROCPRIM_400000_NS6detail17trampoline_kernelINS0_14default_configENS1_36segmented_radix_sort_config_selectorI12hip_bfloat16lEEZNS1_25segmented_radix_sort_implIS3_Lb1EPKS5_PS5_PKlPlN2at6native12_GLOBAL__N_18offset_tEEE10hipError_tPvRmT1_PNSt15iterator_traitsISL_E10value_typeET2_T3_PNSM_ISR_E10value_typeET4_jRbjT5_SX_jjP12ihipStream_tbEUlT_E1_NS1_11comp_targetILNS1_3genE0ELNS1_11target_archE4294967295ELNS1_3gpuE0ELNS1_3repE0EEENS1_59segmented_radix_sort_warp_sort_small_config_static_selectorELNS0_4arch9wavefront6targetE1EEEvSL_.uses_flat_scratch, 0
	.set _ZN7rocprim17ROCPRIM_400000_NS6detail17trampoline_kernelINS0_14default_configENS1_36segmented_radix_sort_config_selectorI12hip_bfloat16lEEZNS1_25segmented_radix_sort_implIS3_Lb1EPKS5_PS5_PKlPlN2at6native12_GLOBAL__N_18offset_tEEE10hipError_tPvRmT1_PNSt15iterator_traitsISL_E10value_typeET2_T3_PNSM_ISR_E10value_typeET4_jRbjT5_SX_jjP12ihipStream_tbEUlT_E1_NS1_11comp_targetILNS1_3genE0ELNS1_11target_archE4294967295ELNS1_3gpuE0ELNS1_3repE0EEENS1_59segmented_radix_sort_warp_sort_small_config_static_selectorELNS0_4arch9wavefront6targetE1EEEvSL_.has_dyn_sized_stack, 0
	.set _ZN7rocprim17ROCPRIM_400000_NS6detail17trampoline_kernelINS0_14default_configENS1_36segmented_radix_sort_config_selectorI12hip_bfloat16lEEZNS1_25segmented_radix_sort_implIS3_Lb1EPKS5_PS5_PKlPlN2at6native12_GLOBAL__N_18offset_tEEE10hipError_tPvRmT1_PNSt15iterator_traitsISL_E10value_typeET2_T3_PNSM_ISR_E10value_typeET4_jRbjT5_SX_jjP12ihipStream_tbEUlT_E1_NS1_11comp_targetILNS1_3genE0ELNS1_11target_archE4294967295ELNS1_3gpuE0ELNS1_3repE0EEENS1_59segmented_radix_sort_warp_sort_small_config_static_selectorELNS0_4arch9wavefront6targetE1EEEvSL_.has_recursion, 0
	.set _ZN7rocprim17ROCPRIM_400000_NS6detail17trampoline_kernelINS0_14default_configENS1_36segmented_radix_sort_config_selectorI12hip_bfloat16lEEZNS1_25segmented_radix_sort_implIS3_Lb1EPKS5_PS5_PKlPlN2at6native12_GLOBAL__N_18offset_tEEE10hipError_tPvRmT1_PNSt15iterator_traitsISL_E10value_typeET2_T3_PNSM_ISR_E10value_typeET4_jRbjT5_SX_jjP12ihipStream_tbEUlT_E1_NS1_11comp_targetILNS1_3genE0ELNS1_11target_archE4294967295ELNS1_3gpuE0ELNS1_3repE0EEENS1_59segmented_radix_sort_warp_sort_small_config_static_selectorELNS0_4arch9wavefront6targetE1EEEvSL_.has_indirect_call, 0
	.section	.AMDGPU.csdata,"",@progbits
; Kernel info:
; codeLenInByte = 0
; TotalNumSgprs: 4
; NumVgprs: 0
; ScratchSize: 0
; MemoryBound: 0
; FloatMode: 240
; IeeeMode: 1
; LDSByteSize: 0 bytes/workgroup (compile time only)
; SGPRBlocks: 0
; VGPRBlocks: 0
; NumSGPRsForWavesPerEU: 4
; NumVGPRsForWavesPerEU: 1
; Occupancy: 10
; WaveLimiterHint : 0
; COMPUTE_PGM_RSRC2:SCRATCH_EN: 0
; COMPUTE_PGM_RSRC2:USER_SGPR: 6
; COMPUTE_PGM_RSRC2:TRAP_HANDLER: 0
; COMPUTE_PGM_RSRC2:TGID_X_EN: 1
; COMPUTE_PGM_RSRC2:TGID_Y_EN: 0
; COMPUTE_PGM_RSRC2:TGID_Z_EN: 0
; COMPUTE_PGM_RSRC2:TIDIG_COMP_CNT: 0
	.section	.text._ZN7rocprim17ROCPRIM_400000_NS6detail17trampoline_kernelINS0_14default_configENS1_36segmented_radix_sort_config_selectorI12hip_bfloat16lEEZNS1_25segmented_radix_sort_implIS3_Lb1EPKS5_PS5_PKlPlN2at6native12_GLOBAL__N_18offset_tEEE10hipError_tPvRmT1_PNSt15iterator_traitsISL_E10value_typeET2_T3_PNSM_ISR_E10value_typeET4_jRbjT5_SX_jjP12ihipStream_tbEUlT_E1_NS1_11comp_targetILNS1_3genE5ELNS1_11target_archE942ELNS1_3gpuE9ELNS1_3repE0EEENS1_59segmented_radix_sort_warp_sort_small_config_static_selectorELNS0_4arch9wavefront6targetE1EEEvSL_,"axG",@progbits,_ZN7rocprim17ROCPRIM_400000_NS6detail17trampoline_kernelINS0_14default_configENS1_36segmented_radix_sort_config_selectorI12hip_bfloat16lEEZNS1_25segmented_radix_sort_implIS3_Lb1EPKS5_PS5_PKlPlN2at6native12_GLOBAL__N_18offset_tEEE10hipError_tPvRmT1_PNSt15iterator_traitsISL_E10value_typeET2_T3_PNSM_ISR_E10value_typeET4_jRbjT5_SX_jjP12ihipStream_tbEUlT_E1_NS1_11comp_targetILNS1_3genE5ELNS1_11target_archE942ELNS1_3gpuE9ELNS1_3repE0EEENS1_59segmented_radix_sort_warp_sort_small_config_static_selectorELNS0_4arch9wavefront6targetE1EEEvSL_,comdat
	.globl	_ZN7rocprim17ROCPRIM_400000_NS6detail17trampoline_kernelINS0_14default_configENS1_36segmented_radix_sort_config_selectorI12hip_bfloat16lEEZNS1_25segmented_radix_sort_implIS3_Lb1EPKS5_PS5_PKlPlN2at6native12_GLOBAL__N_18offset_tEEE10hipError_tPvRmT1_PNSt15iterator_traitsISL_E10value_typeET2_T3_PNSM_ISR_E10value_typeET4_jRbjT5_SX_jjP12ihipStream_tbEUlT_E1_NS1_11comp_targetILNS1_3genE5ELNS1_11target_archE942ELNS1_3gpuE9ELNS1_3repE0EEENS1_59segmented_radix_sort_warp_sort_small_config_static_selectorELNS0_4arch9wavefront6targetE1EEEvSL_ ; -- Begin function _ZN7rocprim17ROCPRIM_400000_NS6detail17trampoline_kernelINS0_14default_configENS1_36segmented_radix_sort_config_selectorI12hip_bfloat16lEEZNS1_25segmented_radix_sort_implIS3_Lb1EPKS5_PS5_PKlPlN2at6native12_GLOBAL__N_18offset_tEEE10hipError_tPvRmT1_PNSt15iterator_traitsISL_E10value_typeET2_T3_PNSM_ISR_E10value_typeET4_jRbjT5_SX_jjP12ihipStream_tbEUlT_E1_NS1_11comp_targetILNS1_3genE5ELNS1_11target_archE942ELNS1_3gpuE9ELNS1_3repE0EEENS1_59segmented_radix_sort_warp_sort_small_config_static_selectorELNS0_4arch9wavefront6targetE1EEEvSL_
	.p2align	8
	.type	_ZN7rocprim17ROCPRIM_400000_NS6detail17trampoline_kernelINS0_14default_configENS1_36segmented_radix_sort_config_selectorI12hip_bfloat16lEEZNS1_25segmented_radix_sort_implIS3_Lb1EPKS5_PS5_PKlPlN2at6native12_GLOBAL__N_18offset_tEEE10hipError_tPvRmT1_PNSt15iterator_traitsISL_E10value_typeET2_T3_PNSM_ISR_E10value_typeET4_jRbjT5_SX_jjP12ihipStream_tbEUlT_E1_NS1_11comp_targetILNS1_3genE5ELNS1_11target_archE942ELNS1_3gpuE9ELNS1_3repE0EEENS1_59segmented_radix_sort_warp_sort_small_config_static_selectorELNS0_4arch9wavefront6targetE1EEEvSL_,@function
_ZN7rocprim17ROCPRIM_400000_NS6detail17trampoline_kernelINS0_14default_configENS1_36segmented_radix_sort_config_selectorI12hip_bfloat16lEEZNS1_25segmented_radix_sort_implIS3_Lb1EPKS5_PS5_PKlPlN2at6native12_GLOBAL__N_18offset_tEEE10hipError_tPvRmT1_PNSt15iterator_traitsISL_E10value_typeET2_T3_PNSM_ISR_E10value_typeET4_jRbjT5_SX_jjP12ihipStream_tbEUlT_E1_NS1_11comp_targetILNS1_3genE5ELNS1_11target_archE942ELNS1_3gpuE9ELNS1_3repE0EEENS1_59segmented_radix_sort_warp_sort_small_config_static_selectorELNS0_4arch9wavefront6targetE1EEEvSL_: ; @_ZN7rocprim17ROCPRIM_400000_NS6detail17trampoline_kernelINS0_14default_configENS1_36segmented_radix_sort_config_selectorI12hip_bfloat16lEEZNS1_25segmented_radix_sort_implIS3_Lb1EPKS5_PS5_PKlPlN2at6native12_GLOBAL__N_18offset_tEEE10hipError_tPvRmT1_PNSt15iterator_traitsISL_E10value_typeET2_T3_PNSM_ISR_E10value_typeET4_jRbjT5_SX_jjP12ihipStream_tbEUlT_E1_NS1_11comp_targetILNS1_3genE5ELNS1_11target_archE942ELNS1_3gpuE9ELNS1_3repE0EEENS1_59segmented_radix_sort_warp_sort_small_config_static_selectorELNS0_4arch9wavefront6targetE1EEEvSL_
; %bb.0:
	.section	.rodata,"a",@progbits
	.p2align	6, 0x0
	.amdhsa_kernel _ZN7rocprim17ROCPRIM_400000_NS6detail17trampoline_kernelINS0_14default_configENS1_36segmented_radix_sort_config_selectorI12hip_bfloat16lEEZNS1_25segmented_radix_sort_implIS3_Lb1EPKS5_PS5_PKlPlN2at6native12_GLOBAL__N_18offset_tEEE10hipError_tPvRmT1_PNSt15iterator_traitsISL_E10value_typeET2_T3_PNSM_ISR_E10value_typeET4_jRbjT5_SX_jjP12ihipStream_tbEUlT_E1_NS1_11comp_targetILNS1_3genE5ELNS1_11target_archE942ELNS1_3gpuE9ELNS1_3repE0EEENS1_59segmented_radix_sort_warp_sort_small_config_static_selectorELNS0_4arch9wavefront6targetE1EEEvSL_
		.amdhsa_group_segment_fixed_size 0
		.amdhsa_private_segment_fixed_size 0
		.amdhsa_kernarg_size 88
		.amdhsa_user_sgpr_count 6
		.amdhsa_user_sgpr_private_segment_buffer 1
		.amdhsa_user_sgpr_dispatch_ptr 0
		.amdhsa_user_sgpr_queue_ptr 0
		.amdhsa_user_sgpr_kernarg_segment_ptr 1
		.amdhsa_user_sgpr_dispatch_id 0
		.amdhsa_user_sgpr_flat_scratch_init 0
		.amdhsa_user_sgpr_private_segment_size 0
		.amdhsa_uses_dynamic_stack 0
		.amdhsa_system_sgpr_private_segment_wavefront_offset 0
		.amdhsa_system_sgpr_workgroup_id_x 1
		.amdhsa_system_sgpr_workgroup_id_y 0
		.amdhsa_system_sgpr_workgroup_id_z 0
		.amdhsa_system_sgpr_workgroup_info 0
		.amdhsa_system_vgpr_workitem_id 0
		.amdhsa_next_free_vgpr 1
		.amdhsa_next_free_sgpr 0
		.amdhsa_reserve_vcc 0
		.amdhsa_reserve_flat_scratch 0
		.amdhsa_float_round_mode_32 0
		.amdhsa_float_round_mode_16_64 0
		.amdhsa_float_denorm_mode_32 3
		.amdhsa_float_denorm_mode_16_64 3
		.amdhsa_dx10_clamp 1
		.amdhsa_ieee_mode 1
		.amdhsa_fp16_overflow 0
		.amdhsa_exception_fp_ieee_invalid_op 0
		.amdhsa_exception_fp_denorm_src 0
		.amdhsa_exception_fp_ieee_div_zero 0
		.amdhsa_exception_fp_ieee_overflow 0
		.amdhsa_exception_fp_ieee_underflow 0
		.amdhsa_exception_fp_ieee_inexact 0
		.amdhsa_exception_int_div_zero 0
	.end_amdhsa_kernel
	.section	.text._ZN7rocprim17ROCPRIM_400000_NS6detail17trampoline_kernelINS0_14default_configENS1_36segmented_radix_sort_config_selectorI12hip_bfloat16lEEZNS1_25segmented_radix_sort_implIS3_Lb1EPKS5_PS5_PKlPlN2at6native12_GLOBAL__N_18offset_tEEE10hipError_tPvRmT1_PNSt15iterator_traitsISL_E10value_typeET2_T3_PNSM_ISR_E10value_typeET4_jRbjT5_SX_jjP12ihipStream_tbEUlT_E1_NS1_11comp_targetILNS1_3genE5ELNS1_11target_archE942ELNS1_3gpuE9ELNS1_3repE0EEENS1_59segmented_radix_sort_warp_sort_small_config_static_selectorELNS0_4arch9wavefront6targetE1EEEvSL_,"axG",@progbits,_ZN7rocprim17ROCPRIM_400000_NS6detail17trampoline_kernelINS0_14default_configENS1_36segmented_radix_sort_config_selectorI12hip_bfloat16lEEZNS1_25segmented_radix_sort_implIS3_Lb1EPKS5_PS5_PKlPlN2at6native12_GLOBAL__N_18offset_tEEE10hipError_tPvRmT1_PNSt15iterator_traitsISL_E10value_typeET2_T3_PNSM_ISR_E10value_typeET4_jRbjT5_SX_jjP12ihipStream_tbEUlT_E1_NS1_11comp_targetILNS1_3genE5ELNS1_11target_archE942ELNS1_3gpuE9ELNS1_3repE0EEENS1_59segmented_radix_sort_warp_sort_small_config_static_selectorELNS0_4arch9wavefront6targetE1EEEvSL_,comdat
.Lfunc_end1967:
	.size	_ZN7rocprim17ROCPRIM_400000_NS6detail17trampoline_kernelINS0_14default_configENS1_36segmented_radix_sort_config_selectorI12hip_bfloat16lEEZNS1_25segmented_radix_sort_implIS3_Lb1EPKS5_PS5_PKlPlN2at6native12_GLOBAL__N_18offset_tEEE10hipError_tPvRmT1_PNSt15iterator_traitsISL_E10value_typeET2_T3_PNSM_ISR_E10value_typeET4_jRbjT5_SX_jjP12ihipStream_tbEUlT_E1_NS1_11comp_targetILNS1_3genE5ELNS1_11target_archE942ELNS1_3gpuE9ELNS1_3repE0EEENS1_59segmented_radix_sort_warp_sort_small_config_static_selectorELNS0_4arch9wavefront6targetE1EEEvSL_, .Lfunc_end1967-_ZN7rocprim17ROCPRIM_400000_NS6detail17trampoline_kernelINS0_14default_configENS1_36segmented_radix_sort_config_selectorI12hip_bfloat16lEEZNS1_25segmented_radix_sort_implIS3_Lb1EPKS5_PS5_PKlPlN2at6native12_GLOBAL__N_18offset_tEEE10hipError_tPvRmT1_PNSt15iterator_traitsISL_E10value_typeET2_T3_PNSM_ISR_E10value_typeET4_jRbjT5_SX_jjP12ihipStream_tbEUlT_E1_NS1_11comp_targetILNS1_3genE5ELNS1_11target_archE942ELNS1_3gpuE9ELNS1_3repE0EEENS1_59segmented_radix_sort_warp_sort_small_config_static_selectorELNS0_4arch9wavefront6targetE1EEEvSL_
                                        ; -- End function
	.set _ZN7rocprim17ROCPRIM_400000_NS6detail17trampoline_kernelINS0_14default_configENS1_36segmented_radix_sort_config_selectorI12hip_bfloat16lEEZNS1_25segmented_radix_sort_implIS3_Lb1EPKS5_PS5_PKlPlN2at6native12_GLOBAL__N_18offset_tEEE10hipError_tPvRmT1_PNSt15iterator_traitsISL_E10value_typeET2_T3_PNSM_ISR_E10value_typeET4_jRbjT5_SX_jjP12ihipStream_tbEUlT_E1_NS1_11comp_targetILNS1_3genE5ELNS1_11target_archE942ELNS1_3gpuE9ELNS1_3repE0EEENS1_59segmented_radix_sort_warp_sort_small_config_static_selectorELNS0_4arch9wavefront6targetE1EEEvSL_.num_vgpr, 0
	.set _ZN7rocprim17ROCPRIM_400000_NS6detail17trampoline_kernelINS0_14default_configENS1_36segmented_radix_sort_config_selectorI12hip_bfloat16lEEZNS1_25segmented_radix_sort_implIS3_Lb1EPKS5_PS5_PKlPlN2at6native12_GLOBAL__N_18offset_tEEE10hipError_tPvRmT1_PNSt15iterator_traitsISL_E10value_typeET2_T3_PNSM_ISR_E10value_typeET4_jRbjT5_SX_jjP12ihipStream_tbEUlT_E1_NS1_11comp_targetILNS1_3genE5ELNS1_11target_archE942ELNS1_3gpuE9ELNS1_3repE0EEENS1_59segmented_radix_sort_warp_sort_small_config_static_selectorELNS0_4arch9wavefront6targetE1EEEvSL_.num_agpr, 0
	.set _ZN7rocprim17ROCPRIM_400000_NS6detail17trampoline_kernelINS0_14default_configENS1_36segmented_radix_sort_config_selectorI12hip_bfloat16lEEZNS1_25segmented_radix_sort_implIS3_Lb1EPKS5_PS5_PKlPlN2at6native12_GLOBAL__N_18offset_tEEE10hipError_tPvRmT1_PNSt15iterator_traitsISL_E10value_typeET2_T3_PNSM_ISR_E10value_typeET4_jRbjT5_SX_jjP12ihipStream_tbEUlT_E1_NS1_11comp_targetILNS1_3genE5ELNS1_11target_archE942ELNS1_3gpuE9ELNS1_3repE0EEENS1_59segmented_radix_sort_warp_sort_small_config_static_selectorELNS0_4arch9wavefront6targetE1EEEvSL_.numbered_sgpr, 0
	.set _ZN7rocprim17ROCPRIM_400000_NS6detail17trampoline_kernelINS0_14default_configENS1_36segmented_radix_sort_config_selectorI12hip_bfloat16lEEZNS1_25segmented_radix_sort_implIS3_Lb1EPKS5_PS5_PKlPlN2at6native12_GLOBAL__N_18offset_tEEE10hipError_tPvRmT1_PNSt15iterator_traitsISL_E10value_typeET2_T3_PNSM_ISR_E10value_typeET4_jRbjT5_SX_jjP12ihipStream_tbEUlT_E1_NS1_11comp_targetILNS1_3genE5ELNS1_11target_archE942ELNS1_3gpuE9ELNS1_3repE0EEENS1_59segmented_radix_sort_warp_sort_small_config_static_selectorELNS0_4arch9wavefront6targetE1EEEvSL_.num_named_barrier, 0
	.set _ZN7rocprim17ROCPRIM_400000_NS6detail17trampoline_kernelINS0_14default_configENS1_36segmented_radix_sort_config_selectorI12hip_bfloat16lEEZNS1_25segmented_radix_sort_implIS3_Lb1EPKS5_PS5_PKlPlN2at6native12_GLOBAL__N_18offset_tEEE10hipError_tPvRmT1_PNSt15iterator_traitsISL_E10value_typeET2_T3_PNSM_ISR_E10value_typeET4_jRbjT5_SX_jjP12ihipStream_tbEUlT_E1_NS1_11comp_targetILNS1_3genE5ELNS1_11target_archE942ELNS1_3gpuE9ELNS1_3repE0EEENS1_59segmented_radix_sort_warp_sort_small_config_static_selectorELNS0_4arch9wavefront6targetE1EEEvSL_.private_seg_size, 0
	.set _ZN7rocprim17ROCPRIM_400000_NS6detail17trampoline_kernelINS0_14default_configENS1_36segmented_radix_sort_config_selectorI12hip_bfloat16lEEZNS1_25segmented_radix_sort_implIS3_Lb1EPKS5_PS5_PKlPlN2at6native12_GLOBAL__N_18offset_tEEE10hipError_tPvRmT1_PNSt15iterator_traitsISL_E10value_typeET2_T3_PNSM_ISR_E10value_typeET4_jRbjT5_SX_jjP12ihipStream_tbEUlT_E1_NS1_11comp_targetILNS1_3genE5ELNS1_11target_archE942ELNS1_3gpuE9ELNS1_3repE0EEENS1_59segmented_radix_sort_warp_sort_small_config_static_selectorELNS0_4arch9wavefront6targetE1EEEvSL_.uses_vcc, 0
	.set _ZN7rocprim17ROCPRIM_400000_NS6detail17trampoline_kernelINS0_14default_configENS1_36segmented_radix_sort_config_selectorI12hip_bfloat16lEEZNS1_25segmented_radix_sort_implIS3_Lb1EPKS5_PS5_PKlPlN2at6native12_GLOBAL__N_18offset_tEEE10hipError_tPvRmT1_PNSt15iterator_traitsISL_E10value_typeET2_T3_PNSM_ISR_E10value_typeET4_jRbjT5_SX_jjP12ihipStream_tbEUlT_E1_NS1_11comp_targetILNS1_3genE5ELNS1_11target_archE942ELNS1_3gpuE9ELNS1_3repE0EEENS1_59segmented_radix_sort_warp_sort_small_config_static_selectorELNS0_4arch9wavefront6targetE1EEEvSL_.uses_flat_scratch, 0
	.set _ZN7rocprim17ROCPRIM_400000_NS6detail17trampoline_kernelINS0_14default_configENS1_36segmented_radix_sort_config_selectorI12hip_bfloat16lEEZNS1_25segmented_radix_sort_implIS3_Lb1EPKS5_PS5_PKlPlN2at6native12_GLOBAL__N_18offset_tEEE10hipError_tPvRmT1_PNSt15iterator_traitsISL_E10value_typeET2_T3_PNSM_ISR_E10value_typeET4_jRbjT5_SX_jjP12ihipStream_tbEUlT_E1_NS1_11comp_targetILNS1_3genE5ELNS1_11target_archE942ELNS1_3gpuE9ELNS1_3repE0EEENS1_59segmented_radix_sort_warp_sort_small_config_static_selectorELNS0_4arch9wavefront6targetE1EEEvSL_.has_dyn_sized_stack, 0
	.set _ZN7rocprim17ROCPRIM_400000_NS6detail17trampoline_kernelINS0_14default_configENS1_36segmented_radix_sort_config_selectorI12hip_bfloat16lEEZNS1_25segmented_radix_sort_implIS3_Lb1EPKS5_PS5_PKlPlN2at6native12_GLOBAL__N_18offset_tEEE10hipError_tPvRmT1_PNSt15iterator_traitsISL_E10value_typeET2_T3_PNSM_ISR_E10value_typeET4_jRbjT5_SX_jjP12ihipStream_tbEUlT_E1_NS1_11comp_targetILNS1_3genE5ELNS1_11target_archE942ELNS1_3gpuE9ELNS1_3repE0EEENS1_59segmented_radix_sort_warp_sort_small_config_static_selectorELNS0_4arch9wavefront6targetE1EEEvSL_.has_recursion, 0
	.set _ZN7rocprim17ROCPRIM_400000_NS6detail17trampoline_kernelINS0_14default_configENS1_36segmented_radix_sort_config_selectorI12hip_bfloat16lEEZNS1_25segmented_radix_sort_implIS3_Lb1EPKS5_PS5_PKlPlN2at6native12_GLOBAL__N_18offset_tEEE10hipError_tPvRmT1_PNSt15iterator_traitsISL_E10value_typeET2_T3_PNSM_ISR_E10value_typeET4_jRbjT5_SX_jjP12ihipStream_tbEUlT_E1_NS1_11comp_targetILNS1_3genE5ELNS1_11target_archE942ELNS1_3gpuE9ELNS1_3repE0EEENS1_59segmented_radix_sort_warp_sort_small_config_static_selectorELNS0_4arch9wavefront6targetE1EEEvSL_.has_indirect_call, 0
	.section	.AMDGPU.csdata,"",@progbits
; Kernel info:
; codeLenInByte = 0
; TotalNumSgprs: 4
; NumVgprs: 0
; ScratchSize: 0
; MemoryBound: 0
; FloatMode: 240
; IeeeMode: 1
; LDSByteSize: 0 bytes/workgroup (compile time only)
; SGPRBlocks: 0
; VGPRBlocks: 0
; NumSGPRsForWavesPerEU: 4
; NumVGPRsForWavesPerEU: 1
; Occupancy: 10
; WaveLimiterHint : 0
; COMPUTE_PGM_RSRC2:SCRATCH_EN: 0
; COMPUTE_PGM_RSRC2:USER_SGPR: 6
; COMPUTE_PGM_RSRC2:TRAP_HANDLER: 0
; COMPUTE_PGM_RSRC2:TGID_X_EN: 1
; COMPUTE_PGM_RSRC2:TGID_Y_EN: 0
; COMPUTE_PGM_RSRC2:TGID_Z_EN: 0
; COMPUTE_PGM_RSRC2:TIDIG_COMP_CNT: 0
	.section	.text._ZN7rocprim17ROCPRIM_400000_NS6detail17trampoline_kernelINS0_14default_configENS1_36segmented_radix_sort_config_selectorI12hip_bfloat16lEEZNS1_25segmented_radix_sort_implIS3_Lb1EPKS5_PS5_PKlPlN2at6native12_GLOBAL__N_18offset_tEEE10hipError_tPvRmT1_PNSt15iterator_traitsISL_E10value_typeET2_T3_PNSM_ISR_E10value_typeET4_jRbjT5_SX_jjP12ihipStream_tbEUlT_E1_NS1_11comp_targetILNS1_3genE4ELNS1_11target_archE910ELNS1_3gpuE8ELNS1_3repE0EEENS1_59segmented_radix_sort_warp_sort_small_config_static_selectorELNS0_4arch9wavefront6targetE1EEEvSL_,"axG",@progbits,_ZN7rocprim17ROCPRIM_400000_NS6detail17trampoline_kernelINS0_14default_configENS1_36segmented_radix_sort_config_selectorI12hip_bfloat16lEEZNS1_25segmented_radix_sort_implIS3_Lb1EPKS5_PS5_PKlPlN2at6native12_GLOBAL__N_18offset_tEEE10hipError_tPvRmT1_PNSt15iterator_traitsISL_E10value_typeET2_T3_PNSM_ISR_E10value_typeET4_jRbjT5_SX_jjP12ihipStream_tbEUlT_E1_NS1_11comp_targetILNS1_3genE4ELNS1_11target_archE910ELNS1_3gpuE8ELNS1_3repE0EEENS1_59segmented_radix_sort_warp_sort_small_config_static_selectorELNS0_4arch9wavefront6targetE1EEEvSL_,comdat
	.globl	_ZN7rocprim17ROCPRIM_400000_NS6detail17trampoline_kernelINS0_14default_configENS1_36segmented_radix_sort_config_selectorI12hip_bfloat16lEEZNS1_25segmented_radix_sort_implIS3_Lb1EPKS5_PS5_PKlPlN2at6native12_GLOBAL__N_18offset_tEEE10hipError_tPvRmT1_PNSt15iterator_traitsISL_E10value_typeET2_T3_PNSM_ISR_E10value_typeET4_jRbjT5_SX_jjP12ihipStream_tbEUlT_E1_NS1_11comp_targetILNS1_3genE4ELNS1_11target_archE910ELNS1_3gpuE8ELNS1_3repE0EEENS1_59segmented_radix_sort_warp_sort_small_config_static_selectorELNS0_4arch9wavefront6targetE1EEEvSL_ ; -- Begin function _ZN7rocprim17ROCPRIM_400000_NS6detail17trampoline_kernelINS0_14default_configENS1_36segmented_radix_sort_config_selectorI12hip_bfloat16lEEZNS1_25segmented_radix_sort_implIS3_Lb1EPKS5_PS5_PKlPlN2at6native12_GLOBAL__N_18offset_tEEE10hipError_tPvRmT1_PNSt15iterator_traitsISL_E10value_typeET2_T3_PNSM_ISR_E10value_typeET4_jRbjT5_SX_jjP12ihipStream_tbEUlT_E1_NS1_11comp_targetILNS1_3genE4ELNS1_11target_archE910ELNS1_3gpuE8ELNS1_3repE0EEENS1_59segmented_radix_sort_warp_sort_small_config_static_selectorELNS0_4arch9wavefront6targetE1EEEvSL_
	.p2align	8
	.type	_ZN7rocprim17ROCPRIM_400000_NS6detail17trampoline_kernelINS0_14default_configENS1_36segmented_radix_sort_config_selectorI12hip_bfloat16lEEZNS1_25segmented_radix_sort_implIS3_Lb1EPKS5_PS5_PKlPlN2at6native12_GLOBAL__N_18offset_tEEE10hipError_tPvRmT1_PNSt15iterator_traitsISL_E10value_typeET2_T3_PNSM_ISR_E10value_typeET4_jRbjT5_SX_jjP12ihipStream_tbEUlT_E1_NS1_11comp_targetILNS1_3genE4ELNS1_11target_archE910ELNS1_3gpuE8ELNS1_3repE0EEENS1_59segmented_radix_sort_warp_sort_small_config_static_selectorELNS0_4arch9wavefront6targetE1EEEvSL_,@function
_ZN7rocprim17ROCPRIM_400000_NS6detail17trampoline_kernelINS0_14default_configENS1_36segmented_radix_sort_config_selectorI12hip_bfloat16lEEZNS1_25segmented_radix_sort_implIS3_Lb1EPKS5_PS5_PKlPlN2at6native12_GLOBAL__N_18offset_tEEE10hipError_tPvRmT1_PNSt15iterator_traitsISL_E10value_typeET2_T3_PNSM_ISR_E10value_typeET4_jRbjT5_SX_jjP12ihipStream_tbEUlT_E1_NS1_11comp_targetILNS1_3genE4ELNS1_11target_archE910ELNS1_3gpuE8ELNS1_3repE0EEENS1_59segmented_radix_sort_warp_sort_small_config_static_selectorELNS0_4arch9wavefront6targetE1EEEvSL_: ; @_ZN7rocprim17ROCPRIM_400000_NS6detail17trampoline_kernelINS0_14default_configENS1_36segmented_radix_sort_config_selectorI12hip_bfloat16lEEZNS1_25segmented_radix_sort_implIS3_Lb1EPKS5_PS5_PKlPlN2at6native12_GLOBAL__N_18offset_tEEE10hipError_tPvRmT1_PNSt15iterator_traitsISL_E10value_typeET2_T3_PNSM_ISR_E10value_typeET4_jRbjT5_SX_jjP12ihipStream_tbEUlT_E1_NS1_11comp_targetILNS1_3genE4ELNS1_11target_archE910ELNS1_3gpuE8ELNS1_3repE0EEENS1_59segmented_radix_sort_warp_sort_small_config_static_selectorELNS0_4arch9wavefront6targetE1EEEvSL_
; %bb.0:
	.section	.rodata,"a",@progbits
	.p2align	6, 0x0
	.amdhsa_kernel _ZN7rocprim17ROCPRIM_400000_NS6detail17trampoline_kernelINS0_14default_configENS1_36segmented_radix_sort_config_selectorI12hip_bfloat16lEEZNS1_25segmented_radix_sort_implIS3_Lb1EPKS5_PS5_PKlPlN2at6native12_GLOBAL__N_18offset_tEEE10hipError_tPvRmT1_PNSt15iterator_traitsISL_E10value_typeET2_T3_PNSM_ISR_E10value_typeET4_jRbjT5_SX_jjP12ihipStream_tbEUlT_E1_NS1_11comp_targetILNS1_3genE4ELNS1_11target_archE910ELNS1_3gpuE8ELNS1_3repE0EEENS1_59segmented_radix_sort_warp_sort_small_config_static_selectorELNS0_4arch9wavefront6targetE1EEEvSL_
		.amdhsa_group_segment_fixed_size 0
		.amdhsa_private_segment_fixed_size 0
		.amdhsa_kernarg_size 88
		.amdhsa_user_sgpr_count 6
		.amdhsa_user_sgpr_private_segment_buffer 1
		.amdhsa_user_sgpr_dispatch_ptr 0
		.amdhsa_user_sgpr_queue_ptr 0
		.amdhsa_user_sgpr_kernarg_segment_ptr 1
		.amdhsa_user_sgpr_dispatch_id 0
		.amdhsa_user_sgpr_flat_scratch_init 0
		.amdhsa_user_sgpr_private_segment_size 0
		.amdhsa_uses_dynamic_stack 0
		.amdhsa_system_sgpr_private_segment_wavefront_offset 0
		.amdhsa_system_sgpr_workgroup_id_x 1
		.amdhsa_system_sgpr_workgroup_id_y 0
		.amdhsa_system_sgpr_workgroup_id_z 0
		.amdhsa_system_sgpr_workgroup_info 0
		.amdhsa_system_vgpr_workitem_id 0
		.amdhsa_next_free_vgpr 1
		.amdhsa_next_free_sgpr 0
		.amdhsa_reserve_vcc 0
		.amdhsa_reserve_flat_scratch 0
		.amdhsa_float_round_mode_32 0
		.amdhsa_float_round_mode_16_64 0
		.amdhsa_float_denorm_mode_32 3
		.amdhsa_float_denorm_mode_16_64 3
		.amdhsa_dx10_clamp 1
		.amdhsa_ieee_mode 1
		.amdhsa_fp16_overflow 0
		.amdhsa_exception_fp_ieee_invalid_op 0
		.amdhsa_exception_fp_denorm_src 0
		.amdhsa_exception_fp_ieee_div_zero 0
		.amdhsa_exception_fp_ieee_overflow 0
		.amdhsa_exception_fp_ieee_underflow 0
		.amdhsa_exception_fp_ieee_inexact 0
		.amdhsa_exception_int_div_zero 0
	.end_amdhsa_kernel
	.section	.text._ZN7rocprim17ROCPRIM_400000_NS6detail17trampoline_kernelINS0_14default_configENS1_36segmented_radix_sort_config_selectorI12hip_bfloat16lEEZNS1_25segmented_radix_sort_implIS3_Lb1EPKS5_PS5_PKlPlN2at6native12_GLOBAL__N_18offset_tEEE10hipError_tPvRmT1_PNSt15iterator_traitsISL_E10value_typeET2_T3_PNSM_ISR_E10value_typeET4_jRbjT5_SX_jjP12ihipStream_tbEUlT_E1_NS1_11comp_targetILNS1_3genE4ELNS1_11target_archE910ELNS1_3gpuE8ELNS1_3repE0EEENS1_59segmented_radix_sort_warp_sort_small_config_static_selectorELNS0_4arch9wavefront6targetE1EEEvSL_,"axG",@progbits,_ZN7rocprim17ROCPRIM_400000_NS6detail17trampoline_kernelINS0_14default_configENS1_36segmented_radix_sort_config_selectorI12hip_bfloat16lEEZNS1_25segmented_radix_sort_implIS3_Lb1EPKS5_PS5_PKlPlN2at6native12_GLOBAL__N_18offset_tEEE10hipError_tPvRmT1_PNSt15iterator_traitsISL_E10value_typeET2_T3_PNSM_ISR_E10value_typeET4_jRbjT5_SX_jjP12ihipStream_tbEUlT_E1_NS1_11comp_targetILNS1_3genE4ELNS1_11target_archE910ELNS1_3gpuE8ELNS1_3repE0EEENS1_59segmented_radix_sort_warp_sort_small_config_static_selectorELNS0_4arch9wavefront6targetE1EEEvSL_,comdat
.Lfunc_end1968:
	.size	_ZN7rocprim17ROCPRIM_400000_NS6detail17trampoline_kernelINS0_14default_configENS1_36segmented_radix_sort_config_selectorI12hip_bfloat16lEEZNS1_25segmented_radix_sort_implIS3_Lb1EPKS5_PS5_PKlPlN2at6native12_GLOBAL__N_18offset_tEEE10hipError_tPvRmT1_PNSt15iterator_traitsISL_E10value_typeET2_T3_PNSM_ISR_E10value_typeET4_jRbjT5_SX_jjP12ihipStream_tbEUlT_E1_NS1_11comp_targetILNS1_3genE4ELNS1_11target_archE910ELNS1_3gpuE8ELNS1_3repE0EEENS1_59segmented_radix_sort_warp_sort_small_config_static_selectorELNS0_4arch9wavefront6targetE1EEEvSL_, .Lfunc_end1968-_ZN7rocprim17ROCPRIM_400000_NS6detail17trampoline_kernelINS0_14default_configENS1_36segmented_radix_sort_config_selectorI12hip_bfloat16lEEZNS1_25segmented_radix_sort_implIS3_Lb1EPKS5_PS5_PKlPlN2at6native12_GLOBAL__N_18offset_tEEE10hipError_tPvRmT1_PNSt15iterator_traitsISL_E10value_typeET2_T3_PNSM_ISR_E10value_typeET4_jRbjT5_SX_jjP12ihipStream_tbEUlT_E1_NS1_11comp_targetILNS1_3genE4ELNS1_11target_archE910ELNS1_3gpuE8ELNS1_3repE0EEENS1_59segmented_radix_sort_warp_sort_small_config_static_selectorELNS0_4arch9wavefront6targetE1EEEvSL_
                                        ; -- End function
	.set _ZN7rocprim17ROCPRIM_400000_NS6detail17trampoline_kernelINS0_14default_configENS1_36segmented_radix_sort_config_selectorI12hip_bfloat16lEEZNS1_25segmented_radix_sort_implIS3_Lb1EPKS5_PS5_PKlPlN2at6native12_GLOBAL__N_18offset_tEEE10hipError_tPvRmT1_PNSt15iterator_traitsISL_E10value_typeET2_T3_PNSM_ISR_E10value_typeET4_jRbjT5_SX_jjP12ihipStream_tbEUlT_E1_NS1_11comp_targetILNS1_3genE4ELNS1_11target_archE910ELNS1_3gpuE8ELNS1_3repE0EEENS1_59segmented_radix_sort_warp_sort_small_config_static_selectorELNS0_4arch9wavefront6targetE1EEEvSL_.num_vgpr, 0
	.set _ZN7rocprim17ROCPRIM_400000_NS6detail17trampoline_kernelINS0_14default_configENS1_36segmented_radix_sort_config_selectorI12hip_bfloat16lEEZNS1_25segmented_radix_sort_implIS3_Lb1EPKS5_PS5_PKlPlN2at6native12_GLOBAL__N_18offset_tEEE10hipError_tPvRmT1_PNSt15iterator_traitsISL_E10value_typeET2_T3_PNSM_ISR_E10value_typeET4_jRbjT5_SX_jjP12ihipStream_tbEUlT_E1_NS1_11comp_targetILNS1_3genE4ELNS1_11target_archE910ELNS1_3gpuE8ELNS1_3repE0EEENS1_59segmented_radix_sort_warp_sort_small_config_static_selectorELNS0_4arch9wavefront6targetE1EEEvSL_.num_agpr, 0
	.set _ZN7rocprim17ROCPRIM_400000_NS6detail17trampoline_kernelINS0_14default_configENS1_36segmented_radix_sort_config_selectorI12hip_bfloat16lEEZNS1_25segmented_radix_sort_implIS3_Lb1EPKS5_PS5_PKlPlN2at6native12_GLOBAL__N_18offset_tEEE10hipError_tPvRmT1_PNSt15iterator_traitsISL_E10value_typeET2_T3_PNSM_ISR_E10value_typeET4_jRbjT5_SX_jjP12ihipStream_tbEUlT_E1_NS1_11comp_targetILNS1_3genE4ELNS1_11target_archE910ELNS1_3gpuE8ELNS1_3repE0EEENS1_59segmented_radix_sort_warp_sort_small_config_static_selectorELNS0_4arch9wavefront6targetE1EEEvSL_.numbered_sgpr, 0
	.set _ZN7rocprim17ROCPRIM_400000_NS6detail17trampoline_kernelINS0_14default_configENS1_36segmented_radix_sort_config_selectorI12hip_bfloat16lEEZNS1_25segmented_radix_sort_implIS3_Lb1EPKS5_PS5_PKlPlN2at6native12_GLOBAL__N_18offset_tEEE10hipError_tPvRmT1_PNSt15iterator_traitsISL_E10value_typeET2_T3_PNSM_ISR_E10value_typeET4_jRbjT5_SX_jjP12ihipStream_tbEUlT_E1_NS1_11comp_targetILNS1_3genE4ELNS1_11target_archE910ELNS1_3gpuE8ELNS1_3repE0EEENS1_59segmented_radix_sort_warp_sort_small_config_static_selectorELNS0_4arch9wavefront6targetE1EEEvSL_.num_named_barrier, 0
	.set _ZN7rocprim17ROCPRIM_400000_NS6detail17trampoline_kernelINS0_14default_configENS1_36segmented_radix_sort_config_selectorI12hip_bfloat16lEEZNS1_25segmented_radix_sort_implIS3_Lb1EPKS5_PS5_PKlPlN2at6native12_GLOBAL__N_18offset_tEEE10hipError_tPvRmT1_PNSt15iterator_traitsISL_E10value_typeET2_T3_PNSM_ISR_E10value_typeET4_jRbjT5_SX_jjP12ihipStream_tbEUlT_E1_NS1_11comp_targetILNS1_3genE4ELNS1_11target_archE910ELNS1_3gpuE8ELNS1_3repE0EEENS1_59segmented_radix_sort_warp_sort_small_config_static_selectorELNS0_4arch9wavefront6targetE1EEEvSL_.private_seg_size, 0
	.set _ZN7rocprim17ROCPRIM_400000_NS6detail17trampoline_kernelINS0_14default_configENS1_36segmented_radix_sort_config_selectorI12hip_bfloat16lEEZNS1_25segmented_radix_sort_implIS3_Lb1EPKS5_PS5_PKlPlN2at6native12_GLOBAL__N_18offset_tEEE10hipError_tPvRmT1_PNSt15iterator_traitsISL_E10value_typeET2_T3_PNSM_ISR_E10value_typeET4_jRbjT5_SX_jjP12ihipStream_tbEUlT_E1_NS1_11comp_targetILNS1_3genE4ELNS1_11target_archE910ELNS1_3gpuE8ELNS1_3repE0EEENS1_59segmented_radix_sort_warp_sort_small_config_static_selectorELNS0_4arch9wavefront6targetE1EEEvSL_.uses_vcc, 0
	.set _ZN7rocprim17ROCPRIM_400000_NS6detail17trampoline_kernelINS0_14default_configENS1_36segmented_radix_sort_config_selectorI12hip_bfloat16lEEZNS1_25segmented_radix_sort_implIS3_Lb1EPKS5_PS5_PKlPlN2at6native12_GLOBAL__N_18offset_tEEE10hipError_tPvRmT1_PNSt15iterator_traitsISL_E10value_typeET2_T3_PNSM_ISR_E10value_typeET4_jRbjT5_SX_jjP12ihipStream_tbEUlT_E1_NS1_11comp_targetILNS1_3genE4ELNS1_11target_archE910ELNS1_3gpuE8ELNS1_3repE0EEENS1_59segmented_radix_sort_warp_sort_small_config_static_selectorELNS0_4arch9wavefront6targetE1EEEvSL_.uses_flat_scratch, 0
	.set _ZN7rocprim17ROCPRIM_400000_NS6detail17trampoline_kernelINS0_14default_configENS1_36segmented_radix_sort_config_selectorI12hip_bfloat16lEEZNS1_25segmented_radix_sort_implIS3_Lb1EPKS5_PS5_PKlPlN2at6native12_GLOBAL__N_18offset_tEEE10hipError_tPvRmT1_PNSt15iterator_traitsISL_E10value_typeET2_T3_PNSM_ISR_E10value_typeET4_jRbjT5_SX_jjP12ihipStream_tbEUlT_E1_NS1_11comp_targetILNS1_3genE4ELNS1_11target_archE910ELNS1_3gpuE8ELNS1_3repE0EEENS1_59segmented_radix_sort_warp_sort_small_config_static_selectorELNS0_4arch9wavefront6targetE1EEEvSL_.has_dyn_sized_stack, 0
	.set _ZN7rocprim17ROCPRIM_400000_NS6detail17trampoline_kernelINS0_14default_configENS1_36segmented_radix_sort_config_selectorI12hip_bfloat16lEEZNS1_25segmented_radix_sort_implIS3_Lb1EPKS5_PS5_PKlPlN2at6native12_GLOBAL__N_18offset_tEEE10hipError_tPvRmT1_PNSt15iterator_traitsISL_E10value_typeET2_T3_PNSM_ISR_E10value_typeET4_jRbjT5_SX_jjP12ihipStream_tbEUlT_E1_NS1_11comp_targetILNS1_3genE4ELNS1_11target_archE910ELNS1_3gpuE8ELNS1_3repE0EEENS1_59segmented_radix_sort_warp_sort_small_config_static_selectorELNS0_4arch9wavefront6targetE1EEEvSL_.has_recursion, 0
	.set _ZN7rocprim17ROCPRIM_400000_NS6detail17trampoline_kernelINS0_14default_configENS1_36segmented_radix_sort_config_selectorI12hip_bfloat16lEEZNS1_25segmented_radix_sort_implIS3_Lb1EPKS5_PS5_PKlPlN2at6native12_GLOBAL__N_18offset_tEEE10hipError_tPvRmT1_PNSt15iterator_traitsISL_E10value_typeET2_T3_PNSM_ISR_E10value_typeET4_jRbjT5_SX_jjP12ihipStream_tbEUlT_E1_NS1_11comp_targetILNS1_3genE4ELNS1_11target_archE910ELNS1_3gpuE8ELNS1_3repE0EEENS1_59segmented_radix_sort_warp_sort_small_config_static_selectorELNS0_4arch9wavefront6targetE1EEEvSL_.has_indirect_call, 0
	.section	.AMDGPU.csdata,"",@progbits
; Kernel info:
; codeLenInByte = 0
; TotalNumSgprs: 4
; NumVgprs: 0
; ScratchSize: 0
; MemoryBound: 0
; FloatMode: 240
; IeeeMode: 1
; LDSByteSize: 0 bytes/workgroup (compile time only)
; SGPRBlocks: 0
; VGPRBlocks: 0
; NumSGPRsForWavesPerEU: 4
; NumVGPRsForWavesPerEU: 1
; Occupancy: 10
; WaveLimiterHint : 0
; COMPUTE_PGM_RSRC2:SCRATCH_EN: 0
; COMPUTE_PGM_RSRC2:USER_SGPR: 6
; COMPUTE_PGM_RSRC2:TRAP_HANDLER: 0
; COMPUTE_PGM_RSRC2:TGID_X_EN: 1
; COMPUTE_PGM_RSRC2:TGID_Y_EN: 0
; COMPUTE_PGM_RSRC2:TGID_Z_EN: 0
; COMPUTE_PGM_RSRC2:TIDIG_COMP_CNT: 0
	.section	.text._ZN7rocprim17ROCPRIM_400000_NS6detail17trampoline_kernelINS0_14default_configENS1_36segmented_radix_sort_config_selectorI12hip_bfloat16lEEZNS1_25segmented_radix_sort_implIS3_Lb1EPKS5_PS5_PKlPlN2at6native12_GLOBAL__N_18offset_tEEE10hipError_tPvRmT1_PNSt15iterator_traitsISL_E10value_typeET2_T3_PNSM_ISR_E10value_typeET4_jRbjT5_SX_jjP12ihipStream_tbEUlT_E1_NS1_11comp_targetILNS1_3genE3ELNS1_11target_archE908ELNS1_3gpuE7ELNS1_3repE0EEENS1_59segmented_radix_sort_warp_sort_small_config_static_selectorELNS0_4arch9wavefront6targetE1EEEvSL_,"axG",@progbits,_ZN7rocprim17ROCPRIM_400000_NS6detail17trampoline_kernelINS0_14default_configENS1_36segmented_radix_sort_config_selectorI12hip_bfloat16lEEZNS1_25segmented_radix_sort_implIS3_Lb1EPKS5_PS5_PKlPlN2at6native12_GLOBAL__N_18offset_tEEE10hipError_tPvRmT1_PNSt15iterator_traitsISL_E10value_typeET2_T3_PNSM_ISR_E10value_typeET4_jRbjT5_SX_jjP12ihipStream_tbEUlT_E1_NS1_11comp_targetILNS1_3genE3ELNS1_11target_archE908ELNS1_3gpuE7ELNS1_3repE0EEENS1_59segmented_radix_sort_warp_sort_small_config_static_selectorELNS0_4arch9wavefront6targetE1EEEvSL_,comdat
	.globl	_ZN7rocprim17ROCPRIM_400000_NS6detail17trampoline_kernelINS0_14default_configENS1_36segmented_radix_sort_config_selectorI12hip_bfloat16lEEZNS1_25segmented_radix_sort_implIS3_Lb1EPKS5_PS5_PKlPlN2at6native12_GLOBAL__N_18offset_tEEE10hipError_tPvRmT1_PNSt15iterator_traitsISL_E10value_typeET2_T3_PNSM_ISR_E10value_typeET4_jRbjT5_SX_jjP12ihipStream_tbEUlT_E1_NS1_11comp_targetILNS1_3genE3ELNS1_11target_archE908ELNS1_3gpuE7ELNS1_3repE0EEENS1_59segmented_radix_sort_warp_sort_small_config_static_selectorELNS0_4arch9wavefront6targetE1EEEvSL_ ; -- Begin function _ZN7rocprim17ROCPRIM_400000_NS6detail17trampoline_kernelINS0_14default_configENS1_36segmented_radix_sort_config_selectorI12hip_bfloat16lEEZNS1_25segmented_radix_sort_implIS3_Lb1EPKS5_PS5_PKlPlN2at6native12_GLOBAL__N_18offset_tEEE10hipError_tPvRmT1_PNSt15iterator_traitsISL_E10value_typeET2_T3_PNSM_ISR_E10value_typeET4_jRbjT5_SX_jjP12ihipStream_tbEUlT_E1_NS1_11comp_targetILNS1_3genE3ELNS1_11target_archE908ELNS1_3gpuE7ELNS1_3repE0EEENS1_59segmented_radix_sort_warp_sort_small_config_static_selectorELNS0_4arch9wavefront6targetE1EEEvSL_
	.p2align	8
	.type	_ZN7rocprim17ROCPRIM_400000_NS6detail17trampoline_kernelINS0_14default_configENS1_36segmented_radix_sort_config_selectorI12hip_bfloat16lEEZNS1_25segmented_radix_sort_implIS3_Lb1EPKS5_PS5_PKlPlN2at6native12_GLOBAL__N_18offset_tEEE10hipError_tPvRmT1_PNSt15iterator_traitsISL_E10value_typeET2_T3_PNSM_ISR_E10value_typeET4_jRbjT5_SX_jjP12ihipStream_tbEUlT_E1_NS1_11comp_targetILNS1_3genE3ELNS1_11target_archE908ELNS1_3gpuE7ELNS1_3repE0EEENS1_59segmented_radix_sort_warp_sort_small_config_static_selectorELNS0_4arch9wavefront6targetE1EEEvSL_,@function
_ZN7rocprim17ROCPRIM_400000_NS6detail17trampoline_kernelINS0_14default_configENS1_36segmented_radix_sort_config_selectorI12hip_bfloat16lEEZNS1_25segmented_radix_sort_implIS3_Lb1EPKS5_PS5_PKlPlN2at6native12_GLOBAL__N_18offset_tEEE10hipError_tPvRmT1_PNSt15iterator_traitsISL_E10value_typeET2_T3_PNSM_ISR_E10value_typeET4_jRbjT5_SX_jjP12ihipStream_tbEUlT_E1_NS1_11comp_targetILNS1_3genE3ELNS1_11target_archE908ELNS1_3gpuE7ELNS1_3repE0EEENS1_59segmented_radix_sort_warp_sort_small_config_static_selectorELNS0_4arch9wavefront6targetE1EEEvSL_: ; @_ZN7rocprim17ROCPRIM_400000_NS6detail17trampoline_kernelINS0_14default_configENS1_36segmented_radix_sort_config_selectorI12hip_bfloat16lEEZNS1_25segmented_radix_sort_implIS3_Lb1EPKS5_PS5_PKlPlN2at6native12_GLOBAL__N_18offset_tEEE10hipError_tPvRmT1_PNSt15iterator_traitsISL_E10value_typeET2_T3_PNSM_ISR_E10value_typeET4_jRbjT5_SX_jjP12ihipStream_tbEUlT_E1_NS1_11comp_targetILNS1_3genE3ELNS1_11target_archE908ELNS1_3gpuE7ELNS1_3repE0EEENS1_59segmented_radix_sort_warp_sort_small_config_static_selectorELNS0_4arch9wavefront6targetE1EEEvSL_
; %bb.0:
	.section	.rodata,"a",@progbits
	.p2align	6, 0x0
	.amdhsa_kernel _ZN7rocprim17ROCPRIM_400000_NS6detail17trampoline_kernelINS0_14default_configENS1_36segmented_radix_sort_config_selectorI12hip_bfloat16lEEZNS1_25segmented_radix_sort_implIS3_Lb1EPKS5_PS5_PKlPlN2at6native12_GLOBAL__N_18offset_tEEE10hipError_tPvRmT1_PNSt15iterator_traitsISL_E10value_typeET2_T3_PNSM_ISR_E10value_typeET4_jRbjT5_SX_jjP12ihipStream_tbEUlT_E1_NS1_11comp_targetILNS1_3genE3ELNS1_11target_archE908ELNS1_3gpuE7ELNS1_3repE0EEENS1_59segmented_radix_sort_warp_sort_small_config_static_selectorELNS0_4arch9wavefront6targetE1EEEvSL_
		.amdhsa_group_segment_fixed_size 0
		.amdhsa_private_segment_fixed_size 0
		.amdhsa_kernarg_size 88
		.amdhsa_user_sgpr_count 6
		.amdhsa_user_sgpr_private_segment_buffer 1
		.amdhsa_user_sgpr_dispatch_ptr 0
		.amdhsa_user_sgpr_queue_ptr 0
		.amdhsa_user_sgpr_kernarg_segment_ptr 1
		.amdhsa_user_sgpr_dispatch_id 0
		.amdhsa_user_sgpr_flat_scratch_init 0
		.amdhsa_user_sgpr_private_segment_size 0
		.amdhsa_uses_dynamic_stack 0
		.amdhsa_system_sgpr_private_segment_wavefront_offset 0
		.amdhsa_system_sgpr_workgroup_id_x 1
		.amdhsa_system_sgpr_workgroup_id_y 0
		.amdhsa_system_sgpr_workgroup_id_z 0
		.amdhsa_system_sgpr_workgroup_info 0
		.amdhsa_system_vgpr_workitem_id 0
		.amdhsa_next_free_vgpr 1
		.amdhsa_next_free_sgpr 0
		.amdhsa_reserve_vcc 0
		.amdhsa_reserve_flat_scratch 0
		.amdhsa_float_round_mode_32 0
		.amdhsa_float_round_mode_16_64 0
		.amdhsa_float_denorm_mode_32 3
		.amdhsa_float_denorm_mode_16_64 3
		.amdhsa_dx10_clamp 1
		.amdhsa_ieee_mode 1
		.amdhsa_fp16_overflow 0
		.amdhsa_exception_fp_ieee_invalid_op 0
		.amdhsa_exception_fp_denorm_src 0
		.amdhsa_exception_fp_ieee_div_zero 0
		.amdhsa_exception_fp_ieee_overflow 0
		.amdhsa_exception_fp_ieee_underflow 0
		.amdhsa_exception_fp_ieee_inexact 0
		.amdhsa_exception_int_div_zero 0
	.end_amdhsa_kernel
	.section	.text._ZN7rocprim17ROCPRIM_400000_NS6detail17trampoline_kernelINS0_14default_configENS1_36segmented_radix_sort_config_selectorI12hip_bfloat16lEEZNS1_25segmented_radix_sort_implIS3_Lb1EPKS5_PS5_PKlPlN2at6native12_GLOBAL__N_18offset_tEEE10hipError_tPvRmT1_PNSt15iterator_traitsISL_E10value_typeET2_T3_PNSM_ISR_E10value_typeET4_jRbjT5_SX_jjP12ihipStream_tbEUlT_E1_NS1_11comp_targetILNS1_3genE3ELNS1_11target_archE908ELNS1_3gpuE7ELNS1_3repE0EEENS1_59segmented_radix_sort_warp_sort_small_config_static_selectorELNS0_4arch9wavefront6targetE1EEEvSL_,"axG",@progbits,_ZN7rocprim17ROCPRIM_400000_NS6detail17trampoline_kernelINS0_14default_configENS1_36segmented_radix_sort_config_selectorI12hip_bfloat16lEEZNS1_25segmented_radix_sort_implIS3_Lb1EPKS5_PS5_PKlPlN2at6native12_GLOBAL__N_18offset_tEEE10hipError_tPvRmT1_PNSt15iterator_traitsISL_E10value_typeET2_T3_PNSM_ISR_E10value_typeET4_jRbjT5_SX_jjP12ihipStream_tbEUlT_E1_NS1_11comp_targetILNS1_3genE3ELNS1_11target_archE908ELNS1_3gpuE7ELNS1_3repE0EEENS1_59segmented_radix_sort_warp_sort_small_config_static_selectorELNS0_4arch9wavefront6targetE1EEEvSL_,comdat
.Lfunc_end1969:
	.size	_ZN7rocprim17ROCPRIM_400000_NS6detail17trampoline_kernelINS0_14default_configENS1_36segmented_radix_sort_config_selectorI12hip_bfloat16lEEZNS1_25segmented_radix_sort_implIS3_Lb1EPKS5_PS5_PKlPlN2at6native12_GLOBAL__N_18offset_tEEE10hipError_tPvRmT1_PNSt15iterator_traitsISL_E10value_typeET2_T3_PNSM_ISR_E10value_typeET4_jRbjT5_SX_jjP12ihipStream_tbEUlT_E1_NS1_11comp_targetILNS1_3genE3ELNS1_11target_archE908ELNS1_3gpuE7ELNS1_3repE0EEENS1_59segmented_radix_sort_warp_sort_small_config_static_selectorELNS0_4arch9wavefront6targetE1EEEvSL_, .Lfunc_end1969-_ZN7rocprim17ROCPRIM_400000_NS6detail17trampoline_kernelINS0_14default_configENS1_36segmented_radix_sort_config_selectorI12hip_bfloat16lEEZNS1_25segmented_radix_sort_implIS3_Lb1EPKS5_PS5_PKlPlN2at6native12_GLOBAL__N_18offset_tEEE10hipError_tPvRmT1_PNSt15iterator_traitsISL_E10value_typeET2_T3_PNSM_ISR_E10value_typeET4_jRbjT5_SX_jjP12ihipStream_tbEUlT_E1_NS1_11comp_targetILNS1_3genE3ELNS1_11target_archE908ELNS1_3gpuE7ELNS1_3repE0EEENS1_59segmented_radix_sort_warp_sort_small_config_static_selectorELNS0_4arch9wavefront6targetE1EEEvSL_
                                        ; -- End function
	.set _ZN7rocprim17ROCPRIM_400000_NS6detail17trampoline_kernelINS0_14default_configENS1_36segmented_radix_sort_config_selectorI12hip_bfloat16lEEZNS1_25segmented_radix_sort_implIS3_Lb1EPKS5_PS5_PKlPlN2at6native12_GLOBAL__N_18offset_tEEE10hipError_tPvRmT1_PNSt15iterator_traitsISL_E10value_typeET2_T3_PNSM_ISR_E10value_typeET4_jRbjT5_SX_jjP12ihipStream_tbEUlT_E1_NS1_11comp_targetILNS1_3genE3ELNS1_11target_archE908ELNS1_3gpuE7ELNS1_3repE0EEENS1_59segmented_radix_sort_warp_sort_small_config_static_selectorELNS0_4arch9wavefront6targetE1EEEvSL_.num_vgpr, 0
	.set _ZN7rocprim17ROCPRIM_400000_NS6detail17trampoline_kernelINS0_14default_configENS1_36segmented_radix_sort_config_selectorI12hip_bfloat16lEEZNS1_25segmented_radix_sort_implIS3_Lb1EPKS5_PS5_PKlPlN2at6native12_GLOBAL__N_18offset_tEEE10hipError_tPvRmT1_PNSt15iterator_traitsISL_E10value_typeET2_T3_PNSM_ISR_E10value_typeET4_jRbjT5_SX_jjP12ihipStream_tbEUlT_E1_NS1_11comp_targetILNS1_3genE3ELNS1_11target_archE908ELNS1_3gpuE7ELNS1_3repE0EEENS1_59segmented_radix_sort_warp_sort_small_config_static_selectorELNS0_4arch9wavefront6targetE1EEEvSL_.num_agpr, 0
	.set _ZN7rocprim17ROCPRIM_400000_NS6detail17trampoline_kernelINS0_14default_configENS1_36segmented_radix_sort_config_selectorI12hip_bfloat16lEEZNS1_25segmented_radix_sort_implIS3_Lb1EPKS5_PS5_PKlPlN2at6native12_GLOBAL__N_18offset_tEEE10hipError_tPvRmT1_PNSt15iterator_traitsISL_E10value_typeET2_T3_PNSM_ISR_E10value_typeET4_jRbjT5_SX_jjP12ihipStream_tbEUlT_E1_NS1_11comp_targetILNS1_3genE3ELNS1_11target_archE908ELNS1_3gpuE7ELNS1_3repE0EEENS1_59segmented_radix_sort_warp_sort_small_config_static_selectorELNS0_4arch9wavefront6targetE1EEEvSL_.numbered_sgpr, 0
	.set _ZN7rocprim17ROCPRIM_400000_NS6detail17trampoline_kernelINS0_14default_configENS1_36segmented_radix_sort_config_selectorI12hip_bfloat16lEEZNS1_25segmented_radix_sort_implIS3_Lb1EPKS5_PS5_PKlPlN2at6native12_GLOBAL__N_18offset_tEEE10hipError_tPvRmT1_PNSt15iterator_traitsISL_E10value_typeET2_T3_PNSM_ISR_E10value_typeET4_jRbjT5_SX_jjP12ihipStream_tbEUlT_E1_NS1_11comp_targetILNS1_3genE3ELNS1_11target_archE908ELNS1_3gpuE7ELNS1_3repE0EEENS1_59segmented_radix_sort_warp_sort_small_config_static_selectorELNS0_4arch9wavefront6targetE1EEEvSL_.num_named_barrier, 0
	.set _ZN7rocprim17ROCPRIM_400000_NS6detail17trampoline_kernelINS0_14default_configENS1_36segmented_radix_sort_config_selectorI12hip_bfloat16lEEZNS1_25segmented_radix_sort_implIS3_Lb1EPKS5_PS5_PKlPlN2at6native12_GLOBAL__N_18offset_tEEE10hipError_tPvRmT1_PNSt15iterator_traitsISL_E10value_typeET2_T3_PNSM_ISR_E10value_typeET4_jRbjT5_SX_jjP12ihipStream_tbEUlT_E1_NS1_11comp_targetILNS1_3genE3ELNS1_11target_archE908ELNS1_3gpuE7ELNS1_3repE0EEENS1_59segmented_radix_sort_warp_sort_small_config_static_selectorELNS0_4arch9wavefront6targetE1EEEvSL_.private_seg_size, 0
	.set _ZN7rocprim17ROCPRIM_400000_NS6detail17trampoline_kernelINS0_14default_configENS1_36segmented_radix_sort_config_selectorI12hip_bfloat16lEEZNS1_25segmented_radix_sort_implIS3_Lb1EPKS5_PS5_PKlPlN2at6native12_GLOBAL__N_18offset_tEEE10hipError_tPvRmT1_PNSt15iterator_traitsISL_E10value_typeET2_T3_PNSM_ISR_E10value_typeET4_jRbjT5_SX_jjP12ihipStream_tbEUlT_E1_NS1_11comp_targetILNS1_3genE3ELNS1_11target_archE908ELNS1_3gpuE7ELNS1_3repE0EEENS1_59segmented_radix_sort_warp_sort_small_config_static_selectorELNS0_4arch9wavefront6targetE1EEEvSL_.uses_vcc, 0
	.set _ZN7rocprim17ROCPRIM_400000_NS6detail17trampoline_kernelINS0_14default_configENS1_36segmented_radix_sort_config_selectorI12hip_bfloat16lEEZNS1_25segmented_radix_sort_implIS3_Lb1EPKS5_PS5_PKlPlN2at6native12_GLOBAL__N_18offset_tEEE10hipError_tPvRmT1_PNSt15iterator_traitsISL_E10value_typeET2_T3_PNSM_ISR_E10value_typeET4_jRbjT5_SX_jjP12ihipStream_tbEUlT_E1_NS1_11comp_targetILNS1_3genE3ELNS1_11target_archE908ELNS1_3gpuE7ELNS1_3repE0EEENS1_59segmented_radix_sort_warp_sort_small_config_static_selectorELNS0_4arch9wavefront6targetE1EEEvSL_.uses_flat_scratch, 0
	.set _ZN7rocprim17ROCPRIM_400000_NS6detail17trampoline_kernelINS0_14default_configENS1_36segmented_radix_sort_config_selectorI12hip_bfloat16lEEZNS1_25segmented_radix_sort_implIS3_Lb1EPKS5_PS5_PKlPlN2at6native12_GLOBAL__N_18offset_tEEE10hipError_tPvRmT1_PNSt15iterator_traitsISL_E10value_typeET2_T3_PNSM_ISR_E10value_typeET4_jRbjT5_SX_jjP12ihipStream_tbEUlT_E1_NS1_11comp_targetILNS1_3genE3ELNS1_11target_archE908ELNS1_3gpuE7ELNS1_3repE0EEENS1_59segmented_radix_sort_warp_sort_small_config_static_selectorELNS0_4arch9wavefront6targetE1EEEvSL_.has_dyn_sized_stack, 0
	.set _ZN7rocprim17ROCPRIM_400000_NS6detail17trampoline_kernelINS0_14default_configENS1_36segmented_radix_sort_config_selectorI12hip_bfloat16lEEZNS1_25segmented_radix_sort_implIS3_Lb1EPKS5_PS5_PKlPlN2at6native12_GLOBAL__N_18offset_tEEE10hipError_tPvRmT1_PNSt15iterator_traitsISL_E10value_typeET2_T3_PNSM_ISR_E10value_typeET4_jRbjT5_SX_jjP12ihipStream_tbEUlT_E1_NS1_11comp_targetILNS1_3genE3ELNS1_11target_archE908ELNS1_3gpuE7ELNS1_3repE0EEENS1_59segmented_radix_sort_warp_sort_small_config_static_selectorELNS0_4arch9wavefront6targetE1EEEvSL_.has_recursion, 0
	.set _ZN7rocprim17ROCPRIM_400000_NS6detail17trampoline_kernelINS0_14default_configENS1_36segmented_radix_sort_config_selectorI12hip_bfloat16lEEZNS1_25segmented_radix_sort_implIS3_Lb1EPKS5_PS5_PKlPlN2at6native12_GLOBAL__N_18offset_tEEE10hipError_tPvRmT1_PNSt15iterator_traitsISL_E10value_typeET2_T3_PNSM_ISR_E10value_typeET4_jRbjT5_SX_jjP12ihipStream_tbEUlT_E1_NS1_11comp_targetILNS1_3genE3ELNS1_11target_archE908ELNS1_3gpuE7ELNS1_3repE0EEENS1_59segmented_radix_sort_warp_sort_small_config_static_selectorELNS0_4arch9wavefront6targetE1EEEvSL_.has_indirect_call, 0
	.section	.AMDGPU.csdata,"",@progbits
; Kernel info:
; codeLenInByte = 0
; TotalNumSgprs: 4
; NumVgprs: 0
; ScratchSize: 0
; MemoryBound: 0
; FloatMode: 240
; IeeeMode: 1
; LDSByteSize: 0 bytes/workgroup (compile time only)
; SGPRBlocks: 0
; VGPRBlocks: 0
; NumSGPRsForWavesPerEU: 4
; NumVGPRsForWavesPerEU: 1
; Occupancy: 10
; WaveLimiterHint : 0
; COMPUTE_PGM_RSRC2:SCRATCH_EN: 0
; COMPUTE_PGM_RSRC2:USER_SGPR: 6
; COMPUTE_PGM_RSRC2:TRAP_HANDLER: 0
; COMPUTE_PGM_RSRC2:TGID_X_EN: 1
; COMPUTE_PGM_RSRC2:TGID_Y_EN: 0
; COMPUTE_PGM_RSRC2:TGID_Z_EN: 0
; COMPUTE_PGM_RSRC2:TIDIG_COMP_CNT: 0
	.text
	.p2align	2                               ; -- Begin function _ZN7rocprim17ROCPRIM_400000_NS6detail26segmented_warp_sort_helperINS1_20WarpSortHelperConfigILj8ELj4ELj256EEE12hip_bfloat16lLi256ELb1EvE4sortIPKS5_PS5_PKlPlEEvT_T0_T1_T2_jjjjRNS6_12storage_typeE
	.type	_ZN7rocprim17ROCPRIM_400000_NS6detail26segmented_warp_sort_helperINS1_20WarpSortHelperConfigILj8ELj4ELj256EEE12hip_bfloat16lLi256ELb1EvE4sortIPKS5_PS5_PKlPlEEvT_T0_T1_T2_jjjjRNS6_12storage_typeE,@function
_ZN7rocprim17ROCPRIM_400000_NS6detail26segmented_warp_sort_helperINS1_20WarpSortHelperConfigILj8ELj4ELj256EEE12hip_bfloat16lLi256ELb1EvE4sortIPKS5_PS5_PKlPlEEvT_T0_T1_T2_jjjjRNS6_12storage_typeE: ; @_ZN7rocprim17ROCPRIM_400000_NS6detail26segmented_warp_sort_helperINS1_20WarpSortHelperConfigILj8ELj4ELj256EEE12hip_bfloat16lLi256ELb1EvE4sortIPKS5_PS5_PKlPlEEvT_T0_T1_T2_jjjjRNS6_12storage_typeE
; %bb.0:
	s_waitcnt vmcnt(0) expcnt(0) lgkmcnt(0)
	v_sub_u32_e32 v12, v9, v8
	v_mov_b32_e32 v9, 0
	v_mbcnt_lo_u32_b32 v13, -1, 0
	v_lshlrev_b64 v[28:29], 1, v[8:9]
	v_mbcnt_hi_u32_b32 v13, -1, v13
	v_lshlrev_b32_e32 v34, 2, v13
	v_add_co_u32_e32 v0, vcc, v0, v28
	v_and_b32_e32 v33, 28, v34
	v_addc_co_u32_e32 v1, vcc, v1, v29, vcc
	v_lshlrev_b32_e32 v30, 1, v33
	v_add_co_u32_e32 v0, vcc, v0, v30
	v_addc_co_u32_e32 v1, vcc, 0, v1, vcc
	v_cmp_lt_u32_e32 vcc, v33, v12
	v_mov_b32_e32 v36, -1
	v_mov_b32_e32 v37, -1
	s_and_saveexec_b64 s[4:5], vcc
	s_cbranch_execz .LBB1970_2
; %bb.1:
	flat_load_ushort v37, v[0:1]
.LBB1970_2:
	s_or_b64 exec, exec, s[4:5]
	v_or_b32_e32 v13, 1, v33
	v_cmp_lt_u32_e64 s[4:5], v13, v12
	s_and_saveexec_b64 s[6:7], s[4:5]
	s_cbranch_execz .LBB1970_4
; %bb.3:
	flat_load_ushort v36, v[0:1] offset:2
.LBB1970_4:
	s_or_b64 exec, exec, s[6:7]
	v_or_b32_e32 v13, 2, v33
	v_cmp_lt_u32_e64 s[6:7], v13, v12
	v_mov_b32_e32 v35, -1
	v_mov_b32_e32 v38, -1
	s_and_saveexec_b64 s[10:11], s[6:7]
	s_cbranch_execz .LBB1970_6
; %bb.5:
	flat_load_ushort v38, v[0:1] offset:4
.LBB1970_6:
	s_or_b64 exec, exec, s[10:11]
	v_or_b32_e32 v13, 3, v33
	v_cmp_lt_u32_e64 s[14:15], v13, v12
	s_and_saveexec_b64 s[10:11], s[14:15]
	s_cbranch_execz .LBB1970_8
; %bb.7:
	flat_load_ushort v35, v[0:1] offset:6
.LBB1970_8:
	s_or_b64 exec, exec, s[10:11]
	v_lshlrev_b64 v[0:1], 3, v[8:9]
	v_lshlrev_b32_e32 v32, 3, v33
	v_add_co_u32_e64 v4, s[10:11], v4, v0
	v_addc_co_u32_e64 v5, s[10:11], v5, v1, s[10:11]
	v_mov_b32_e32 v12, 0
	v_add_co_u32_e64 v4, s[10:11], v4, v32
	v_addc_co_u32_e64 v5, s[10:11], 0, v5, s[10:11]
	v_mov_b32_e32 v13, v12
	v_mov_b32_e32 v14, v12
	;; [unrolled: 1-line block ×7, first 2 shown]
	; wave barrier
	s_and_saveexec_b64 s[10:11], vcc
	s_cbranch_execnz .LBB1970_82
; %bb.9:
	s_or_b64 exec, exec, s[10:11]
	s_and_saveexec_b64 s[10:11], s[4:5]
	s_cbranch_execnz .LBB1970_83
.LBB1970_10:
	s_or_b64 exec, exec, s[10:11]
	s_and_saveexec_b64 s[10:11], s[6:7]
	s_cbranch_execnz .LBB1970_84
.LBB1970_11:
	s_or_b64 exec, exec, s[10:11]
	s_and_saveexec_b64 s[10:11], s[14:15]
	s_cbranch_execz .LBB1970_13
.LBB1970_12:
	flat_load_dwordx2 v[18:19], v[4:5] offset:24
.LBB1970_13:
	s_or_b64 exec, exec, s[10:11]
	; wave barrier
	s_load_dwordx2 s[10:11], s[8:9], 0x0
	v_mov_b32_e32 v4, 0
	v_bfe_u32 v9, v31, 20, 10
	s_waitcnt lgkmcnt(0)
	s_cmp_lt_u32 s13, s11
	s_cselect_b32 s11, 14, 20
	s_add_u32 s16, s8, s11
	s_addc_u32 s17, s9, 0
	s_cmp_lt_u32 s12, s10
	s_cselect_b32 s10, 12, 18
	s_add_u32 s8, s8, s10
	s_addc_u32 s9, s9, 0
	global_load_ushort v5, v4, s[16:17]
	global_load_ushort v8, v4, s[8:9]
	v_bfe_u32 v4, v31, 10, 10
	s_movk_i32 s8, 0x400
	s_waitcnt vmcnt(0)
	v_mad_u32_u24 v4, v9, v5, v4
	v_mul_lo_u32 v4, v4, v8
	v_and_b32_e32 v5, 0x3ff, v31
	v_add_lshl_u32 v4, v4, v5, 2
	v_cmp_gt_u32_e64 s[8:9], s8, v4
	s_and_saveexec_b64 s[12:13], s[8:9]
	s_cbranch_execz .LBB1970_71
; %bb.14:
	v_lshlrev_b32_e32 v5, 16, v36
	v_add_f32_e32 v8, 0, v5
	s_mov_b32 s8, 0x7f800000
	v_and_b32_e32 v5, 0x7f800000, v8
	v_cmp_ne_u32_e64 s[8:9], s8, v5
                                        ; implicit-def: $vgpr5
	s_and_saveexec_b64 s[10:11], s[8:9]
	s_xor_b64 s[8:9], exec, s[10:11]
; %bb.15:
	v_bfe_u32 v5, v8, 16, 1
	s_movk_i32 s10, 0x7fff
	v_add3_u32 v5, v8, v5, s10
                                        ; implicit-def: $vgpr8
; %bb.16:
	s_andn2_saveexec_b64 s[10:11], s[8:9]
; %bb.17:
	v_mov_b32_e32 v5, 0
	v_or_b32_e32 v9, 0x10000, v8
	v_cmp_eq_u32_sdwa s[8:9], v8, v5 src0_sel:WORD_0 src1_sel:DWORD
	v_cndmask_b32_e64 v5, v9, v8, s[8:9]
; %bb.18:
	s_or_b64 exec, exec, s[10:11]
	v_lshlrev_b32_e32 v8, 16, v37
	v_add_f32_e32 v8, 0, v8
	s_mov_b32 s8, 0x7f800000
	v_and_b32_e32 v9, 0x7f800000, v8
	v_cmp_ne_u32_e64 s[8:9], s8, v9
                                        ; implicit-def: $vgpr20
	s_and_saveexec_b64 s[10:11], s[8:9]
	s_xor_b64 s[8:9], exec, s[10:11]
; %bb.19:
	v_bfe_u32 v9, v8, 16, 1
	s_movk_i32 s10, 0x7fff
	v_add3_u32 v20, v8, v9, s10
                                        ; implicit-def: $vgpr8
; %bb.20:
	s_andn2_saveexec_b64 s[10:11], s[8:9]
; %bb.21:
	v_mov_b32_e32 v9, 0
	v_or_b32_e32 v20, 0x10000, v8
	v_cmp_eq_u32_sdwa s[8:9], v8, v9 src0_sel:WORD_0 src1_sel:DWORD
	v_cndmask_b32_e64 v20, v20, v8, s[8:9]
; %bb.22:
	s_or_b64 exec, exec, s[10:11]
	v_lshlrev_b32_e32 v8, 16, v35
	v_add_f32_e32 v8, 0, v8
	s_mov_b32 s8, 0x7f800000
	v_and_b32_e32 v9, 0x7f800000, v8
	v_cmp_ne_u32_e64 s[8:9], s8, v9
                                        ; implicit-def: $vgpr24
	s_and_saveexec_b64 s[10:11], s[8:9]
	s_xor_b64 s[8:9], exec, s[10:11]
; %bb.23:
	v_bfe_u32 v9, v8, 16, 1
	s_movk_i32 s10, 0x7fff
	v_add3_u32 v24, v8, v9, s10
; %bb.24:
	s_andn2_saveexec_b64 s[10:11], s[8:9]
; %bb.25:
	v_mov_b32_e32 v9, 0
	v_or_b32_e32 v21, 0x10000, v8
	v_cmp_eq_u32_sdwa s[8:9], v8, v9 src0_sel:WORD_0 src1_sel:DWORD
	v_cndmask_b32_e64 v24, v21, v8, s[8:9]
; %bb.26:
	s_or_b64 exec, exec, s[10:11]
	v_lshlrev_b32_e32 v9, 16, v38
	v_add_f32_e32 v9, 0, v9
	s_mov_b32 s8, 0x7f800000
	v_and_b32_e32 v21, 0x7f800000, v9
	v_cmp_ne_u32_e64 s[8:9], s8, v21
                                        ; implicit-def: $vgpr25
	s_and_saveexec_b64 s[10:11], s[8:9]
	s_xor_b64 s[8:9], exec, s[10:11]
; %bb.27:
	v_bfe_u32 v21, v9, 16, 1
	s_movk_i32 s10, 0x7fff
	v_add3_u32 v25, v9, v21, s10
; %bb.28:
	s_andn2_saveexec_b64 s[10:11], s[8:9]
; %bb.29:
	v_mov_b32_e32 v21, 0
	v_or_b32_e32 v22, 0x10000, v9
	v_cmp_eq_u32_sdwa s[8:9], v9, v21 src0_sel:WORD_0 src1_sel:DWORD
	v_cndmask_b32_e64 v25, v22, v9, s[8:9]
; %bb.30:
	s_or_b64 exec, exec, s[10:11]
	s_mov_b32 s16, 0x7060302
	v_mov_b32_e32 v26, 0xffff8000
	v_cmp_lt_i32_e64 s[8:9], -1, v5
	v_perm_b32 v21, v20, v5, s16
	v_cndmask_b32_e64 v5, -1, v26, s[8:9]
	v_cmp_lt_i32_e64 s[8:9], -1, v20
	v_cndmask_b32_e64 v20, -1, v26, s[8:9]
	s_mov_b32 s17, 0x5040100
	v_perm_b32 v5, v20, v5, s17
	v_xor_b32_e32 v5, v5, v21
	v_cmp_gt_u16_sdwa s[10:11], v5, v5 src0_sel:DWORD src1_sel:WORD_1
	v_cmp_lt_i32_e64 s[8:9], -1, v24
	v_cndmask_b32_e64 v22, v14, v12, s[10:11]
	v_cndmask_b32_e64 v20, v12, v14, s[10:11]
	v_cndmask_b32_e64 v12, -1, v26, s[8:9]
	v_cmp_lt_i32_e64 s[8:9], -1, v25
	v_cndmask_b32_e64 v23, v15, v13, s[10:11]
	v_cndmask_b32_e64 v21, v13, v15, s[10:11]
	v_cndmask_b32_e64 v13, -1, v26, s[8:9]
	v_perm_b32 v5, v25, v24, s16
	v_perm_b32 v12, v13, v12, s17
	v_xor_b32_e32 v5, v12, v5
	v_mov_b32_e32 v25, v17
	v_mov_b32_e32 v27, v19
	v_cmp_gt_u16_sdwa s[16:17], v5, v5 src0_sel:DWORD src1_sel:WORD_1
	v_mov_b32_e32 v5, v38
	v_mov_b32_e32 v24, v16
	;; [unrolled: 1-line block ×3, first 2 shown]
	s_and_saveexec_b64 s[8:9], s[16:17]
; %bb.31:
	v_mov_b32_e32 v25, v19
	v_mov_b32_e32 v27, v17
	;; [unrolled: 1-line block ×7, first 2 shown]
; %bb.32:
	s_or_b64 exec, exec, s[8:9]
	s_mov_b32 s8, 0x7f800000
	v_and_b32_e32 v8, 0x7f800000, v9
	v_cmp_ne_u32_e64 s[8:9], s8, v8
                                        ; implicit-def: $vgpr8
	s_and_saveexec_b64 s[16:17], s[8:9]
	s_xor_b64 s[8:9], exec, s[16:17]
; %bb.33:
	v_bfe_u32 v8, v9, 16, 1
	s_movk_i32 s16, 0x7fff
	v_add3_u32 v8, v9, v8, s16
; %bb.34:
	s_andn2_saveexec_b64 s[16:17], s[8:9]
; %bb.35:
	v_mov_b32_e32 v8, 0
	v_or_b32_e32 v12, 0x10000, v9
	v_cmp_eq_u32_sdwa s[8:9], v9, v8 src0_sel:WORD_0 src1_sel:DWORD
	v_cndmask_b32_e64 v8, v12, v9, s[8:9]
; %bb.36:
	s_or_b64 exec, exec, s[16:17]
	v_cndmask_b32_e64 v12, v36, v37, s[10:11]
	v_lshlrev_b32_e32 v13, 16, v12
	v_add_f32_e32 v13, 0, v13
	s_mov_b32 s8, 0x7f800000
	v_and_b32_e32 v14, 0x7f800000, v13
	v_cmp_ne_u32_e64 s[8:9], s8, v14
                                        ; implicit-def: $vgpr14
	s_and_saveexec_b64 s[16:17], s[8:9]
	s_xor_b64 s[8:9], exec, s[16:17]
; %bb.37:
	v_bfe_u32 v14, v13, 16, 1
	s_movk_i32 s16, 0x7fff
	v_add3_u32 v14, v13, v14, s16
; %bb.38:
	s_andn2_saveexec_b64 s[16:17], s[8:9]
; %bb.39:
	v_mov_b32_e32 v14, 0
	v_or_b32_e32 v15, 0x10000, v13
	v_cmp_eq_u32_sdwa s[8:9], v13, v14 src0_sel:WORD_0 src1_sel:DWORD
	v_cndmask_b32_e64 v14, v15, v13, s[8:9]
; %bb.40:
	s_or_b64 exec, exec, s[16:17]
	s_mov_b32 s8, 0x7060302
	v_perm_b32 v15, v14, v8, s8
	v_mov_b32_e32 v16, 0xffff8000
	v_cmp_lt_i32_e64 s[8:9], -1, v8
	v_cndmask_b32_e64 v8, -1, v16, s[8:9]
	v_cmp_lt_i32_e64 s[8:9], -1, v14
	v_cndmask_b32_e64 v14, -1, v16, s[8:9]
	s_mov_b32 s8, 0x5040100
	v_perm_b32 v8, v14, v8, s8
	v_xor_b32_e32 v8, v8, v15
	v_cmp_gt_u16_sdwa s[16:17], v8, v8 src0_sel:DWORD src1_sel:WORD_1
	v_mov_b32_e32 v8, v12
	s_and_saveexec_b64 s[8:9], s[16:17]
	s_cbranch_execz .LBB1970_42
; %bb.41:
	v_mov_b32_e32 v13, v20
	v_mov_b32_e32 v14, v21
	;; [unrolled: 1-line block ×25, first 2 shown]
.LBB1970_42:
	s_or_b64 exec, exec, s[8:9]
	s_mov_b32 s8, 0x7f800000
	v_and_b32_e32 v9, 0x7f800000, v13
	v_cmp_ne_u32_e64 s[8:9], s8, v9
                                        ; implicit-def: $vgpr12
	s_and_saveexec_b64 s[16:17], s[8:9]
	s_xor_b64 s[8:9], exec, s[16:17]
; %bb.43:
	v_bfe_u32 v9, v13, 16, 1
	s_movk_i32 s16, 0x7fff
	v_add3_u32 v12, v13, v9, s16
                                        ; implicit-def: $vgpr13
; %bb.44:
	s_andn2_saveexec_b64 s[16:17], s[8:9]
; %bb.45:
	v_mov_b32_e32 v9, 0
	v_or_b32_e32 v12, 0x10000, v13
	v_cmp_eq_u32_sdwa s[8:9], v13, v9 src0_sel:WORD_0 src1_sel:DWORD
	v_cndmask_b32_e64 v12, v12, v13, s[8:9]
; %bb.46:
	s_or_b64 exec, exec, s[16:17]
	v_cndmask_b32_e64 v9, v37, v36, s[10:11]
	v_lshlrev_b32_e32 v13, 16, v9
	v_add_f32_e32 v14, 0, v13
	s_mov_b32 s8, 0x7f800000
	v_and_b32_e32 v13, 0x7f800000, v14
	v_cmp_ne_u32_e64 s[8:9], s8, v13
                                        ; implicit-def: $vgpr13
	s_and_saveexec_b64 s[10:11], s[8:9]
	s_xor_b64 s[8:9], exec, s[10:11]
; %bb.47:
	v_bfe_u32 v13, v14, 16, 1
	s_movk_i32 s10, 0x7fff
	v_add3_u32 v13, v14, v13, s10
                                        ; implicit-def: $vgpr14
; %bb.48:
	s_andn2_saveexec_b64 s[10:11], s[8:9]
; %bb.49:
	v_mov_b32_e32 v13, 0
	v_or_b32_e32 v15, 0x10000, v14
	v_cmp_eq_u32_sdwa s[8:9], v14, v13 src0_sel:WORD_0 src1_sel:DWORD
	v_cndmask_b32_e64 v13, v15, v14, s[8:9]
; %bb.50:
	s_or_b64 exec, exec, s[10:11]
	v_lshlrev_b32_e32 v14, 16, v35
	v_add_f32_e32 v31, 0, v14
	s_mov_b32 s8, 0x7f800000
	v_and_b32_e32 v14, 0x7f800000, v31
	v_cmp_ne_u32_e64 s[8:9], s8, v14
                                        ; implicit-def: $vgpr37
	s_and_saveexec_b64 s[10:11], s[8:9]
	s_xor_b64 s[8:9], exec, s[10:11]
; %bb.51:
	v_bfe_u32 v14, v31, 16, 1
	s_movk_i32 s10, 0x7fff
	v_add3_u32 v37, v31, v14, s10
; %bb.52:
	s_andn2_saveexec_b64 s[10:11], s[8:9]
; %bb.53:
	v_mov_b32_e32 v14, 0
	v_or_b32_e32 v15, 0x10000, v31
	v_cmp_eq_u32_sdwa s[8:9], v31, v14 src0_sel:WORD_0 src1_sel:DWORD
	v_cndmask_b32_e64 v37, v15, v31, s[8:9]
; %bb.54:
	s_or_b64 exec, exec, s[10:11]
	v_lshlrev_b32_e32 v14, 16, v5
	v_add_f32_e32 v36, 0, v14
	s_mov_b32 s8, 0x7f800000
	v_and_b32_e32 v14, 0x7f800000, v36
	v_cmp_ne_u32_e64 s[8:9], s8, v14
                                        ; implicit-def: $vgpr38
	s_and_saveexec_b64 s[10:11], s[8:9]
	s_xor_b64 s[8:9], exec, s[10:11]
; %bb.55:
	v_bfe_u32 v14, v36, 16, 1
	s_movk_i32 s10, 0x7fff
	v_add3_u32 v38, v36, v14, s10
; %bb.56:
	s_andn2_saveexec_b64 s[10:11], s[8:9]
; %bb.57:
	v_mov_b32_e32 v14, 0
	v_or_b32_e32 v15, 0x10000, v36
	v_cmp_eq_u32_sdwa s[8:9], v36, v14 src0_sel:WORD_0 src1_sel:DWORD
	v_cndmask_b32_e64 v38, v15, v36, s[8:9]
; %bb.58:
	s_or_b64 exec, exec, s[10:11]
	s_mov_b32 s10, 0x7060302
	v_mov_b32_e32 v39, 0xffff8000
	v_cmp_lt_i32_e64 s[8:9], -1, v12
	v_perm_b32 v14, v13, v12, s10
	v_cndmask_b32_e64 v12, -1, v39, s[8:9]
	v_cmp_lt_i32_e64 s[8:9], -1, v13
	v_cndmask_b32_e64 v13, -1, v39, s[8:9]
	s_mov_b32 s16, 0x5040100
	v_perm_b32 v12, v13, v12, s16
	v_xor_b32_e32 v12, v12, v14
	v_cmp_gt_u16_sdwa s[8:9], v12, v12 src0_sel:DWORD src1_sel:WORD_1
	v_cndmask_b32_e64 v14, v22, v20, s[8:9]
	v_cndmask_b32_e64 v12, v20, v22, s[8:9]
	v_perm_b32 v20, v38, v37, s10
	v_cmp_lt_i32_e64 s[10:11], -1, v37
	v_cndmask_b32_e64 v15, v23, v21, s[8:9]
	v_cndmask_b32_e64 v13, v21, v23, s[8:9]
	v_cndmask_b32_e64 v21, -1, v39, s[10:11]
	v_cmp_lt_i32_e64 s[10:11], -1, v38
	v_cndmask_b32_e64 v22, -1, v39, s[10:11]
	v_perm_b32 v21, v22, v21, s16
	v_xor_b32_e32 v20, v21, v20
	v_mov_b32_e32 v16, v24
	v_mov_b32_e32 v17, v25
	v_mov_b32_e32 v18, v26
	v_mov_b32_e32 v19, v27
	v_cmp_gt_u16_sdwa s[16:17], v20, v20 src0_sel:DWORD src1_sel:WORD_1
	v_mov_b32_e32 v20, v5
	s_and_saveexec_b64 s[10:11], s[16:17]
; %bb.59:
	v_mov_b32_e32 v16, v26
	v_mov_b32_e32 v17, v27
	;; [unrolled: 1-line block ×7, first 2 shown]
; %bb.60:
	s_or_b64 exec, exec, s[10:11]
	s_mov_b32 s10, 0x7f800000
	v_and_b32_e32 v5, 0x7f800000, v36
	v_cmp_ne_u32_e64 s[10:11], s10, v5
                                        ; implicit-def: $vgpr5
	s_and_saveexec_b64 s[16:17], s[10:11]
	s_xor_b64 s[10:11], exec, s[16:17]
; %bb.61:
	v_bfe_u32 v5, v36, 16, 1
	s_movk_i32 s16, 0x7fff
	v_add3_u32 v5, v36, v5, s16
                                        ; implicit-def: $vgpr36
; %bb.62:
	s_andn2_saveexec_b64 s[16:17], s[10:11]
; %bb.63:
	v_mov_b32_e32 v5, 0
	v_or_b32_e32 v21, 0x10000, v36
	v_cmp_eq_u32_sdwa s[10:11], v36, v5 src0_sel:WORD_0 src1_sel:DWORD
	v_cndmask_b32_e64 v5, v21, v36, s[10:11]
; %bb.64:
	s_or_b64 exec, exec, s[16:17]
	v_cndmask_b32_e64 v36, v8, v9, s[8:9]
	v_lshlrev_b32_e32 v21, 16, v36
	v_add_f32_e32 v22, 0, v21
	s_mov_b32 s10, 0x7f800000
	v_and_b32_e32 v21, 0x7f800000, v22
	v_cmp_ne_u32_e64 s[10:11], s10, v21
                                        ; implicit-def: $vgpr21
	s_and_saveexec_b64 s[16:17], s[10:11]
	s_xor_b64 s[10:11], exec, s[16:17]
; %bb.65:
	v_bfe_u32 v21, v22, 16, 1
	s_movk_i32 s16, 0x7fff
	v_add3_u32 v21, v22, v21, s16
                                        ; implicit-def: $vgpr22
; %bb.66:
	s_andn2_saveexec_b64 s[16:17], s[10:11]
; %bb.67:
	v_mov_b32_e32 v21, 0
	v_or_b32_e32 v23, 0x10000, v22
	v_cmp_eq_u32_sdwa s[10:11], v22, v21 src0_sel:WORD_0 src1_sel:DWORD
	v_cndmask_b32_e64 v21, v23, v22, s[10:11]
; %bb.68:
	s_or_b64 exec, exec, s[16:17]
	s_mov_b32 s10, 0x7060302
	v_perm_b32 v22, v21, v5, s10
	v_mov_b32_e32 v23, 0xffff8000
	v_cmp_lt_i32_e64 s[10:11], -1, v5
	v_cndmask_b32_e64 v5, -1, v23, s[10:11]
	v_cmp_lt_i32_e64 s[10:11], -1, v21
	v_cndmask_b32_e64 v21, -1, v23, s[10:11]
	s_mov_b32 s10, 0x5040100
	v_perm_b32 v5, v21, v5, s10
	v_xor_b32_e32 v5, v5, v22
	v_cmp_gt_u16_sdwa s[16:17], v5, v5 src0_sel:DWORD src1_sel:WORD_1
	v_mov_b32_e32 v38, v20
	s_and_saveexec_b64 s[10:11], s[16:17]
	s_cbranch_execz .LBB1970_70
; %bb.69:
	v_mov_b32_e32 v48, v12
	v_mov_b32_e32 v49, v13
	;; [unrolled: 1-line block ×18, first 2 shown]
.LBB1970_70:
	s_or_b64 exec, exec, s[10:11]
	v_cndmask_b32_e64 v37, v9, v8, s[8:9]
.LBB1970_71:
	s_or_b64 exec, exec, s[12:13]
	v_and_b32_e32 v20, 0xffffff00, v4
	v_mov_b32_e32 v21, 0
	v_lshlrev_b64 v[4:5], 1, v[20:21]
	s_movk_i32 s10, 0x400
	v_add_co_u32_e64 v8, s[8:9], v10, v4
	v_addc_co_u32_e64 v9, s[8:9], v11, v5, s[8:9]
	v_mad_u64_u32 v[4:5], s[8:9], v20, 6, v[8:9]
	v_sub_u32_e64 v5, s10, v20 clamp
	v_or_b32_e32 v11, 4, v34
	v_min_u32_e32 v25, v5, v11
	v_add_u32_e32 v11, 4, v25
	v_and_b32_e32 v27, 0x1f8, v34
	v_min_u32_e32 v26, v5, v11
	v_and_b32_e32 v11, 4, v34
	v_min_u32_e32 v31, v5, v11
	v_sub_u32_e32 v11, v25, v27
	v_sub_u32_e32 v20, v26, v25
	v_lshl_add_u32 v24, v34, 3, v4
	v_sub_u32_e64 v48, v31, v20 clamp
	v_min_u32_e32 v11, v31, v11
	v_lshl_add_u32 v9, v34, 1, v8
	v_add_u32_e32 v10, 0x800, v24
	v_cmp_lt_u32_e64 s[8:9], v48, v11
	ds_write_b16 v9, v37
	ds_write_b16 v9, v36 offset:2
	ds_write2_b64 v10, v[12:13], v[14:15] offset1:1
	ds_write_b16 v9, v38 offset:4
	ds_write_b16 v9, v35 offset:6
	ds_write2_b64 v10, v[16:17], v[18:19] offset0:2 offset1:3
	; wave barrier
	s_and_saveexec_b64 s[10:11], s[8:9]
	s_cbranch_execz .LBB1970_86
; %bb.72:
	v_lshlrev_b32_e32 v20, 1, v27
	v_lshlrev_b32_e32 v22, 1, v25
	v_add_co_u32_e64 v20, s[8:9], v8, v20
	v_add_co_u32_e64 v22, s[8:9], v8, v22
	s_mov_b64 s[12:13], 0
	s_mov_b32 s18, 0x7f800000
	s_movk_i32 s19, 0x7fff
	v_mov_b32_e32 v23, 0xffff8000
	s_branch .LBB1970_74
.LBB1970_73:                            ;   in Loop: Header=BB1970_74 Depth=1
	s_or_b64 exec, exec, s[16:17]
	v_cmp_lt_i32_e64 s[8:9], -1, v49
	v_cndmask_b32_e64 v51, -1, v23, s[8:9]
	v_cmp_lt_i32_e64 s[8:9], -1, v50
	v_xor_b32_sdwa v49, v51, v49 dst_sel:DWORD dst_unused:UNUSED_PAD src0_sel:DWORD src1_sel:WORD_1
	v_cndmask_b32_e64 v51, -1, v23, s[8:9]
	v_xor_b32_sdwa v50, v51, v50 dst_sel:DWORD dst_unused:UNUSED_PAD src0_sel:DWORD src1_sel:WORD_1
	v_add_u32_e32 v51, 1, v39
	v_cmp_gt_u16_e64 s[8:9], v49, v50
	v_cndmask_b32_e64 v11, v11, v39, s[8:9]
	v_cndmask_b32_e64 v48, v51, v48, s[8:9]
	v_cmp_ge_u32_e64 s[8:9], v48, v11
	s_or_b64 s[12:13], s[8:9], s[12:13]
	s_andn2_b64 exec, exec, s[12:13]
	s_cbranch_execz .LBB1970_85
.LBB1970_74:                            ; =>This Inner Loop Header: Depth=1
	v_add_u32_e32 v49, v11, v48
	v_lshrrev_b32_e32 v39, 1, v49
	v_xad_u32 v50, v39, -1, v31
	v_lshl_add_u32 v50, v50, 1, v22
	ds_read_u16 v51, v50
	v_and_b32_e32 v49, -2, v49
	v_add_u32_e32 v49, v20, v49
	ds_read_u16 v50, v49
	s_waitcnt lgkmcnt(1)
	v_lshlrev_b32_e32 v49, 16, v51
	v_add_f32_e32 v51, 0, v49
	v_and_b32_e32 v49, 0x7f800000, v51
	v_cmp_ne_u32_e64 s[8:9], s18, v49
                                        ; implicit-def: $vgpr49
	s_and_saveexec_b64 s[16:17], s[8:9]
	s_xor_b64 s[8:9], exec, s[16:17]
; %bb.75:                               ;   in Loop: Header=BB1970_74 Depth=1
	v_bfe_u32 v49, v51, 16, 1
	v_add3_u32 v49, v51, v49, s19
                                        ; implicit-def: $vgpr51
; %bb.76:                               ;   in Loop: Header=BB1970_74 Depth=1
	s_andn2_saveexec_b64 s[16:17], s[8:9]
; %bb.77:                               ;   in Loop: Header=BB1970_74 Depth=1
	v_or_b32_e32 v49, 0x10000, v51
	v_cmp_eq_u32_sdwa s[8:9], v51, v21 src0_sel:WORD_0 src1_sel:DWORD
	v_cndmask_b32_e64 v49, v49, v51, s[8:9]
; %bb.78:                               ;   in Loop: Header=BB1970_74 Depth=1
	s_or_b64 exec, exec, s[16:17]
	s_waitcnt lgkmcnt(0)
	v_lshlrev_b32_e32 v50, 16, v50
	v_add_f32_e32 v51, 0, v50
	v_and_b32_e32 v50, 0x7f800000, v51
	v_cmp_ne_u32_e64 s[8:9], s18, v50
                                        ; implicit-def: $vgpr50
	s_and_saveexec_b64 s[16:17], s[8:9]
	s_xor_b64 s[8:9], exec, s[16:17]
; %bb.79:                               ;   in Loop: Header=BB1970_74 Depth=1
	v_bfe_u32 v50, v51, 16, 1
	v_add3_u32 v50, v51, v50, s19
                                        ; implicit-def: $vgpr51
; %bb.80:                               ;   in Loop: Header=BB1970_74 Depth=1
	s_andn2_saveexec_b64 s[16:17], s[8:9]
	s_cbranch_execz .LBB1970_73
; %bb.81:                               ;   in Loop: Header=BB1970_74 Depth=1
	v_or_b32_e32 v50, 0x10000, v51
	v_cmp_eq_u32_sdwa s[8:9], v51, v21 src0_sel:WORD_0 src1_sel:DWORD
	v_cndmask_b32_e64 v50, v50, v51, s[8:9]
	s_branch .LBB1970_73
.LBB1970_82:
	flat_load_dwordx2 v[13:14], v[4:5]
	v_mov_b32_e32 v15, v12
	v_mov_b32_e32 v16, v12
	;; [unrolled: 1-line block ×6, first 2 shown]
	s_waitcnt vmcnt(0) lgkmcnt(0)
	v_mov_b32_e32 v12, v13
	v_mov_b32_e32 v13, v14
	;; [unrolled: 1-line block ×8, first 2 shown]
	s_or_b64 exec, exec, s[10:11]
	s_and_saveexec_b64 s[10:11], s[4:5]
	s_cbranch_execz .LBB1970_10
.LBB1970_83:
	flat_load_dwordx2 v[14:15], v[4:5] offset:8
	s_or_b64 exec, exec, s[10:11]
	s_and_saveexec_b64 s[10:11], s[6:7]
	s_cbranch_execz .LBB1970_11
.LBB1970_84:
	flat_load_dwordx2 v[16:17], v[4:5] offset:16
	s_or_b64 exec, exec, s[10:11]
	s_and_saveexec_b64 s[10:11], s[14:15]
	s_cbranch_execnz .LBB1970_12
	s_branch .LBB1970_13
.LBB1970_85:
	s_or_b64 exec, exec, s[12:13]
.LBB1970_86:
	s_or_b64 exec, exec, s[10:11]
	v_add_u32_e32 v39, v48, v27
	v_add_u32_e32 v27, v25, v31
	v_sub_u32_e32 v48, v27, v48
	v_cmp_le_u32_e64 s[8:9], v39, v25
	v_cmp_le_u32_e64 s[10:11], v48, v26
	v_add_u32_e32 v11, 2, v9
	v_add_u32_e32 v20, 0x808, v24
	;; [unrolled: 1-line block ×6, first 2 shown]
	s_or_b64 s[8:9], s[8:9], s[10:11]
	s_and_saveexec_b64 s[12:13], s[8:9]
	s_cbranch_execz .LBB1970_138
; %bb.87:
	v_cmp_ge_u32_e64 s[8:9], v39, v25
	v_cmp_lt_u32_e64 s[10:11], v39, v25
                                        ; implicit-def: $vgpr27
	s_and_saveexec_b64 s[16:17], s[10:11]
; %bb.88:
	v_lshl_add_u32 v12, v39, 1, v8
	ds_read_u16 v27, v12
; %bb.89:
	s_or_b64 exec, exec, s[16:17]
	v_cmp_ge_u32_e64 s[16:17], v48, v26
	v_cmp_lt_u32_e64 s[10:11], v48, v26
                                        ; implicit-def: $vgpr31
	s_and_saveexec_b64 s[18:19], s[10:11]
; %bb.90:
	v_lshl_add_u32 v12, v48, 1, v8
	ds_read_u16 v31, v12
; %bb.91:
	s_or_b64 exec, exec, s[18:19]
	s_nor_b64 s[8:9], s[8:9], s[16:17]
	s_and_saveexec_b64 s[10:11], s[8:9]
	s_cbranch_execz .LBB1970_101
; %bb.92:
	s_waitcnt lgkmcnt(0)
	v_lshlrev_b32_e32 v12, 16, v31
	v_add_f32_e32 v13, 0, v12
	s_mov_b32 s8, 0x7f800000
	v_and_b32_e32 v12, 0x7f800000, v13
	v_cmp_ne_u32_e64 s[8:9], s8, v12
                                        ; implicit-def: $vgpr12
	s_and_saveexec_b64 s[18:19], s[8:9]
	s_xor_b64 s[8:9], exec, s[18:19]
; %bb.93:
	v_bfe_u32 v12, v13, 16, 1
	s_movk_i32 s18, 0x7fff
	v_add3_u32 v12, v13, v12, s18
                                        ; implicit-def: $vgpr13
; %bb.94:
	s_andn2_saveexec_b64 s[18:19], s[8:9]
; %bb.95:
	v_mov_b32_e32 v12, 0
	v_or_b32_e32 v14, 0x10000, v13
	v_cmp_eq_u32_sdwa s[8:9], v13, v12 src0_sel:WORD_0 src1_sel:DWORD
	v_cndmask_b32_e64 v12, v14, v13, s[8:9]
; %bb.96:
	s_or_b64 exec, exec, s[18:19]
	v_lshlrev_b32_e32 v13, 16, v27
	v_add_f32_e32 v14, 0, v13
	s_mov_b32 s8, 0x7f800000
	v_and_b32_e32 v13, 0x7f800000, v14
	v_cmp_ne_u32_e64 s[8:9], s8, v13
                                        ; implicit-def: $vgpr13
	s_and_saveexec_b64 s[18:19], s[8:9]
	s_xor_b64 s[8:9], exec, s[18:19]
; %bb.97:
	v_bfe_u32 v13, v14, 16, 1
	s_movk_i32 s18, 0x7fff
	v_add3_u32 v13, v14, v13, s18
                                        ; implicit-def: $vgpr14
; %bb.98:
	s_andn2_saveexec_b64 s[18:19], s[8:9]
; %bb.99:
	v_mov_b32_e32 v13, 0
	v_or_b32_e32 v15, 0x10000, v14
	v_cmp_eq_u32_sdwa s[8:9], v14, v13 src0_sel:WORD_0 src1_sel:DWORD
	v_cndmask_b32_e64 v13, v15, v14, s[8:9]
; %bb.100:
	s_or_b64 exec, exec, s[18:19]
	s_mov_b32 s8, 0x7060302
	v_perm_b32 v14, v13, v12, s8
	v_mov_b32_e32 v15, 0xffff8000
	v_cmp_lt_i32_e64 s[8:9], -1, v12
	v_cndmask_b32_e64 v12, -1, v15, s[8:9]
	v_cmp_lt_i32_e64 s[8:9], -1, v13
	v_cndmask_b32_e64 v13, -1, v15, s[8:9]
	s_mov_b32 s8, 0x5040100
	v_perm_b32 v12, v13, v12, s8
	v_xor_b32_e32 v12, v12, v14
	v_cmp_le_u16_sdwa s[8:9], v12, v12 src0_sel:DWORD src1_sel:WORD_1
	s_andn2_b64 s[16:17], s[16:17], exec
	s_and_b64 s[8:9], s[8:9], exec
	s_or_b64 s[16:17], s[16:17], s[8:9]
.LBB1970_101:
	s_or_b64 exec, exec, s[10:11]
	v_cndmask_b32_e64 v12, v48, v39, s[16:17]
	v_cndmask_b32_e64 v13, v26, v25, s[16:17]
	v_add_u32_e32 v14, 1, v12
	v_add_u32_e32 v13, -1, v13
	v_min_u32_e32 v13, v14, v13
	v_lshl_add_u32 v13, v13, 1, v8
	ds_read_u16 v15, v13
	v_lshl_add_u32 v12, v12, 3, v4
	ds_read_b64 v[12:13], v12 offset:2048
	v_cndmask_b32_e64 v16, v14, v48, s[16:17]
	v_cndmask_b32_e64 v17, v39, v14, s[16:17]
	s_waitcnt lgkmcnt(1)
	v_cndmask_b32_e64 v35, v15, v31, s[16:17]
	v_cndmask_b32_e64 v36, v27, v15, s[16:17]
	v_cmp_lt_u32_e64 s[8:9], v16, v26
	s_mov_b64 s[18:19], -1
	s_mov_b64 s[10:11], -1
	s_and_saveexec_b64 s[20:21], s[8:9]
	s_cbranch_execz .LBB1970_113
; %bb.102:
	v_cmp_lt_u32_e64 s[8:9], v17, v25
	s_mov_b64 s[22:23], 0
	s_and_saveexec_b64 s[10:11], s[8:9]
	s_cbranch_execz .LBB1970_112
; %bb.103:
	v_lshlrev_b32_e32 v14, 16, v35
	v_add_f32_e32 v15, 0, v14
	s_mov_b32 s8, 0x7f800000
	v_and_b32_e32 v14, 0x7f800000, v15
	v_cmp_ne_u32_e64 s[8:9], s8, v14
                                        ; implicit-def: $vgpr14
	s_and_saveexec_b64 s[22:23], s[8:9]
	s_xor_b64 s[8:9], exec, s[22:23]
; %bb.104:
	v_bfe_u32 v14, v15, 16, 1
	s_movk_i32 s22, 0x7fff
	v_add3_u32 v14, v15, v14, s22
                                        ; implicit-def: $vgpr15
; %bb.105:
	s_andn2_saveexec_b64 s[22:23], s[8:9]
; %bb.106:
	v_mov_b32_e32 v14, 0
	v_or_b32_e32 v18, 0x10000, v15
	v_cmp_eq_u32_sdwa s[8:9], v15, v14 src0_sel:WORD_0 src1_sel:DWORD
	v_cndmask_b32_e64 v14, v18, v15, s[8:9]
; %bb.107:
	s_or_b64 exec, exec, s[22:23]
	v_lshlrev_b32_e32 v15, 16, v36
	v_add_f32_e32 v18, 0, v15
	s_mov_b32 s8, 0x7f800000
	v_and_b32_e32 v15, 0x7f800000, v18
	v_cmp_ne_u32_e64 s[8:9], s8, v15
                                        ; implicit-def: $vgpr15
	s_and_saveexec_b64 s[22:23], s[8:9]
	s_xor_b64 s[8:9], exec, s[22:23]
; %bb.108:
	v_bfe_u32 v15, v18, 16, 1
	s_movk_i32 s22, 0x7fff
	v_add3_u32 v15, v18, v15, s22
                                        ; implicit-def: $vgpr18
; %bb.109:
	s_andn2_saveexec_b64 s[22:23], s[8:9]
; %bb.110:
	v_mov_b32_e32 v15, 0
	v_or_b32_e32 v19, 0x10000, v18
	v_cmp_eq_u32_sdwa s[8:9], v18, v15 src0_sel:WORD_0 src1_sel:DWORD
	v_cndmask_b32_e64 v15, v19, v18, s[8:9]
; %bb.111:
	s_or_b64 exec, exec, s[22:23]
	s_mov_b32 s8, 0x7060302
	v_perm_b32 v18, v15, v14, s8
	v_mov_b32_e32 v19, 0xffff8000
	v_cmp_lt_i32_e64 s[8:9], -1, v14
	v_cndmask_b32_e64 v14, -1, v19, s[8:9]
	v_cmp_lt_i32_e64 s[8:9], -1, v15
	v_cndmask_b32_e64 v15, -1, v19, s[8:9]
	s_mov_b32 s8, 0x5040100
	v_perm_b32 v14, v15, v14, s8
	v_xor_b32_e32 v14, v14, v18
	v_cmp_le_u16_sdwa s[8:9], v14, v14 src0_sel:DWORD src1_sel:WORD_1
	s_and_b64 s[22:23], s[8:9], exec
.LBB1970_112:
	s_or_b64 exec, exec, s[10:11]
	s_orn2_b64 s[10:11], s[22:23], exec
.LBB1970_113:
	s_or_b64 exec, exec, s[20:21]
	v_cndmask_b32_e64 v14, v16, v17, s[10:11]
	v_cndmask_b32_e64 v15, v26, v25, s[10:11]
	v_add_u32_e32 v19, 1, v14
	v_add_u32_e32 v15, -1, v15
	v_min_u32_e32 v15, v19, v15
	v_lshl_add_u32 v15, v15, 1, v8
	ds_read_u16 v18, v15
	v_lshl_add_u32 v14, v14, 3, v4
	ds_read_b64 v[14:15], v14 offset:2048
	s_waitcnt lgkmcnt(1)
	v_cndmask_b32_e64 v37, v18, v35, s[10:11]
	v_cndmask_b32_e64 v38, v36, v18, s[10:11]
	;; [unrolled: 1-line block ×4, first 2 shown]
	v_cmp_lt_u32_e64 s[8:9], v18, v26
	s_and_saveexec_b64 s[20:21], s[8:9]
	s_cbranch_execz .LBB1970_125
; %bb.114:
	v_cmp_lt_u32_e64 s[8:9], v19, v25
	s_mov_b64 s[22:23], 0
	s_and_saveexec_b64 s[18:19], s[8:9]
	s_cbranch_execz .LBB1970_124
; %bb.115:
	v_lshlrev_b32_e32 v16, 16, v37
	v_add_f32_e32 v17, 0, v16
	s_mov_b32 s8, 0x7f800000
	v_and_b32_e32 v16, 0x7f800000, v17
	v_cmp_ne_u32_e64 s[8:9], s8, v16
                                        ; implicit-def: $vgpr16
	s_and_saveexec_b64 s[22:23], s[8:9]
	s_xor_b64 s[8:9], exec, s[22:23]
; %bb.116:
	v_bfe_u32 v16, v17, 16, 1
	s_movk_i32 s22, 0x7fff
	v_add3_u32 v16, v17, v16, s22
                                        ; implicit-def: $vgpr17
; %bb.117:
	s_andn2_saveexec_b64 s[22:23], s[8:9]
; %bb.118:
	v_mov_b32_e32 v16, 0
	v_or_b32_e32 v39, 0x10000, v17
	v_cmp_eq_u32_sdwa s[8:9], v17, v16 src0_sel:WORD_0 src1_sel:DWORD
	v_cndmask_b32_e64 v16, v39, v17, s[8:9]
; %bb.119:
	s_or_b64 exec, exec, s[22:23]
	v_lshlrev_b32_e32 v17, 16, v38
	v_add_f32_e32 v39, 0, v17
	s_mov_b32 s8, 0x7f800000
	v_and_b32_e32 v17, 0x7f800000, v39
	v_cmp_ne_u32_e64 s[8:9], s8, v17
                                        ; implicit-def: $vgpr17
	s_and_saveexec_b64 s[22:23], s[8:9]
	s_xor_b64 s[8:9], exec, s[22:23]
; %bb.120:
	v_bfe_u32 v17, v39, 16, 1
	s_movk_i32 s22, 0x7fff
	v_add3_u32 v17, v39, v17, s22
                                        ; implicit-def: $vgpr39
; %bb.121:
	s_andn2_saveexec_b64 s[22:23], s[8:9]
; %bb.122:
	v_mov_b32_e32 v17, 0
	v_or_b32_e32 v48, 0x10000, v39
	v_cmp_eq_u32_sdwa s[8:9], v39, v17 src0_sel:WORD_0 src1_sel:DWORD
	v_cndmask_b32_e64 v17, v48, v39, s[8:9]
; %bb.123:
	s_or_b64 exec, exec, s[22:23]
	s_mov_b32 s8, 0x7060302
	v_perm_b32 v39, v17, v16, s8
	v_mov_b32_e32 v48, 0xffff8000
	v_cmp_lt_i32_e64 s[8:9], -1, v16
	v_cndmask_b32_e64 v16, -1, v48, s[8:9]
	v_cmp_lt_i32_e64 s[8:9], -1, v17
	v_cndmask_b32_e64 v17, -1, v48, s[8:9]
	s_mov_b32 s8, 0x5040100
	v_perm_b32 v16, v17, v16, s8
	v_xor_b32_e32 v16, v16, v39
	v_cmp_le_u16_sdwa s[8:9], v16, v16 src0_sel:DWORD src1_sel:WORD_1
	s_and_b64 s[22:23], s[8:9], exec
.LBB1970_124:
	s_or_b64 exec, exec, s[18:19]
	s_orn2_b64 s[18:19], s[22:23], exec
.LBB1970_125:
	s_or_b64 exec, exec, s[20:21]
	v_cndmask_b32_e64 v16, v18, v19, s[18:19]
	v_cndmask_b32_e64 v17, v26, v25, s[18:19]
	v_add_u32_e32 v49, 1, v16
	v_add_u32_e32 v17, -1, v17
	v_min_u32_e32 v17, v49, v17
	v_lshl_add_u32 v17, v17, 1, v8
	ds_read_u16 v48, v17
	v_lshl_add_u32 v16, v16, 3, v4
	ds_read_b64 v[16:17], v16 offset:2048
	v_cndmask_b32_e64 v18, v49, v18, s[18:19]
	v_cndmask_b32_e64 v19, v19, v49, s[18:19]
	s_waitcnt lgkmcnt(1)
	v_cndmask_b32_e64 v39, v48, v37, s[18:19]
	v_cndmask_b32_e64 v48, v38, v48, s[18:19]
	v_cmp_lt_u32_e64 s[8:9], v18, v26
	s_mov_b64 s[22:23], -1
	s_and_saveexec_b64 s[20:21], s[8:9]
	s_cbranch_execz .LBB1970_137
; %bb.126:
	v_cmp_lt_u32_e64 s[8:9], v19, v25
	s_mov_b64 s[24:25], 0
	s_and_saveexec_b64 s[22:23], s[8:9]
	s_cbranch_execz .LBB1970_136
; %bb.127:
	v_lshlrev_b32_e32 v25, 16, v39
	v_add_f32_e32 v26, 0, v25
	s_mov_b32 s8, 0x7f800000
	v_and_b32_e32 v25, 0x7f800000, v26
	v_cmp_ne_u32_e64 s[8:9], s8, v25
                                        ; implicit-def: $vgpr25
	s_and_saveexec_b64 s[24:25], s[8:9]
	s_xor_b64 s[8:9], exec, s[24:25]
; %bb.128:
	v_bfe_u32 v25, v26, 16, 1
	s_movk_i32 s24, 0x7fff
	v_add3_u32 v25, v26, v25, s24
                                        ; implicit-def: $vgpr26
; %bb.129:
	s_andn2_saveexec_b64 s[24:25], s[8:9]
; %bb.130:
	v_mov_b32_e32 v25, 0
	v_or_b32_e32 v49, 0x10000, v26
	v_cmp_eq_u32_sdwa s[8:9], v26, v25 src0_sel:WORD_0 src1_sel:DWORD
	v_cndmask_b32_e64 v25, v49, v26, s[8:9]
; %bb.131:
	s_or_b64 exec, exec, s[24:25]
	v_lshlrev_b32_e32 v26, 16, v48
	v_add_f32_e32 v49, 0, v26
	s_mov_b32 s8, 0x7f800000
	v_and_b32_e32 v26, 0x7f800000, v49
	v_cmp_ne_u32_e64 s[8:9], s8, v26
                                        ; implicit-def: $vgpr26
	s_and_saveexec_b64 s[24:25], s[8:9]
	s_xor_b64 s[8:9], exec, s[24:25]
; %bb.132:
	v_bfe_u32 v26, v49, 16, 1
	s_movk_i32 s24, 0x7fff
	v_add3_u32 v26, v49, v26, s24
                                        ; implicit-def: $vgpr49
; %bb.133:
	s_andn2_saveexec_b64 s[24:25], s[8:9]
; %bb.134:
	v_mov_b32_e32 v26, 0
	v_or_b32_e32 v50, 0x10000, v49
	v_cmp_eq_u32_sdwa s[8:9], v49, v26 src0_sel:WORD_0 src1_sel:DWORD
	v_cndmask_b32_e64 v26, v50, v49, s[8:9]
; %bb.135:
	s_or_b64 exec, exec, s[24:25]
	s_mov_b32 s8, 0x7060302
	v_perm_b32 v49, v26, v25, s8
	v_mov_b32_e32 v50, 0xffff8000
	v_cmp_lt_i32_e64 s[8:9], -1, v25
	v_cndmask_b32_e64 v25, -1, v50, s[8:9]
	v_cmp_lt_i32_e64 s[8:9], -1, v26
	v_cndmask_b32_e64 v26, -1, v50, s[8:9]
	s_mov_b32 s8, 0x5040100
	v_perm_b32 v25, v26, v25, s8
	v_xor_b32_e32 v25, v25, v49
	v_cmp_le_u16_sdwa s[8:9], v25, v25 src0_sel:DWORD src1_sel:WORD_1
	s_and_b64 s[24:25], s[8:9], exec
.LBB1970_136:
	s_or_b64 exec, exec, s[22:23]
	s_orn2_b64 s[22:23], s[24:25], exec
.LBB1970_137:
	s_or_b64 exec, exec, s[20:21]
	v_cndmask_b32_e64 v18, v18, v19, s[22:23]
	v_lshl_add_u32 v18, v18, 3, v4
	ds_read_b64 v[18:19], v18 offset:2048
	v_cndmask_b32_e64 v38, v37, v38, s[18:19]
	v_cndmask_b32_e64 v36, v35, v36, s[10:11]
	v_cndmask_b32_e64 v37, v31, v27, s[16:17]
	v_cndmask_b32_e64 v35, v39, v48, s[22:23]
.LBB1970_138:
	s_or_b64 exec, exec, s[12:13]
	v_and_b32_e32 v27, 0x1f0, v34
	v_or_b32_e32 v25, 8, v27
	v_min_u32_e32 v25, v5, v25
	v_add_u32_e32 v26, 8, v25
	v_min_u32_e32 v26, v5, v26
	v_and_b32_e32 v31, 12, v34
	v_min_u32_e32 v31, v5, v31
	v_sub_u32_e32 v39, v25, v27
	v_sub_u32_e32 v48, v26, v25
	v_sub_u32_e64 v48, v31, v48 clamp
	v_min_u32_e32 v39, v31, v39
	v_cmp_lt_u32_e64 s[8:9], v48, v39
	; wave barrier
	ds_write_b16 v9, v37
	ds_write_b64 v10, v[12:13]
	ds_write_b16 v11, v36
	ds_write_b64 v20, v[14:15]
	ds_write_b16 v21, v38
	s_waitcnt lgkmcnt(6)
	ds_write_b64 v22, v[16:17]
	ds_write_b16 v23, v35
	s_waitcnt lgkmcnt(7)
	ds_write_b64 v24, v[18:19]
	; wave barrier
	s_and_saveexec_b64 s[10:11], s[8:9]
	s_cbranch_execz .LBB1970_150
; %bb.139:
	v_lshlrev_b32_e32 v49, 1, v27
	v_lshlrev_b32_e32 v50, 1, v25
	v_add_co_u32_e64 v49, s[8:9], v8, v49
	v_add_co_u32_e64 v50, s[8:9], v8, v50
	s_mov_b64 s[12:13], 0
	s_mov_b32 s18, 0x7f800000
	s_movk_i32 s19, 0x7fff
	v_mov_b32_e32 v51, 0
	v_mov_b32_e32 v52, 0xffff8000
	s_branch .LBB1970_141
.LBB1970_140:                           ;   in Loop: Header=BB1970_141 Depth=1
	s_or_b64 exec, exec, s[16:17]
	v_cmp_lt_i32_e64 s[8:9], -1, v54
	v_cndmask_b32_e64 v64, -1, v52, s[8:9]
	v_cmp_lt_i32_e64 s[8:9], -1, v55
	v_xor_b32_sdwa v54, v64, v54 dst_sel:DWORD dst_unused:UNUSED_PAD src0_sel:DWORD src1_sel:WORD_1
	v_cndmask_b32_e64 v64, -1, v52, s[8:9]
	v_xor_b32_sdwa v55, v64, v55 dst_sel:DWORD dst_unused:UNUSED_PAD src0_sel:DWORD src1_sel:WORD_1
	v_add_u32_e32 v64, 1, v53
	v_cmp_gt_u16_e64 s[8:9], v54, v55
	v_cndmask_b32_e64 v39, v39, v53, s[8:9]
	v_cndmask_b32_e64 v48, v64, v48, s[8:9]
	v_cmp_ge_u32_e64 s[8:9], v48, v39
	s_or_b64 s[12:13], s[8:9], s[12:13]
	s_andn2_b64 exec, exec, s[12:13]
	s_cbranch_execz .LBB1970_149
.LBB1970_141:                           ; =>This Inner Loop Header: Depth=1
	v_add_u32_e32 v54, v39, v48
	v_lshrrev_b32_e32 v53, 1, v54
	v_xad_u32 v55, v53, -1, v31
	v_lshl_add_u32 v55, v55, 1, v50
	ds_read_u16 v64, v55
	v_and_b32_e32 v54, -2, v54
	v_add_u32_e32 v54, v49, v54
	ds_read_u16 v55, v54
	s_waitcnt lgkmcnt(1)
	v_lshlrev_b32_e32 v54, 16, v64
	v_add_f32_e32 v64, 0, v54
	v_and_b32_e32 v54, 0x7f800000, v64
	v_cmp_ne_u32_e64 s[8:9], s18, v54
                                        ; implicit-def: $vgpr54
	s_and_saveexec_b64 s[16:17], s[8:9]
	s_xor_b64 s[8:9], exec, s[16:17]
; %bb.142:                              ;   in Loop: Header=BB1970_141 Depth=1
	v_bfe_u32 v54, v64, 16, 1
	v_add3_u32 v54, v64, v54, s19
                                        ; implicit-def: $vgpr64
; %bb.143:                              ;   in Loop: Header=BB1970_141 Depth=1
	s_andn2_saveexec_b64 s[16:17], s[8:9]
; %bb.144:                              ;   in Loop: Header=BB1970_141 Depth=1
	v_or_b32_e32 v54, 0x10000, v64
	v_cmp_eq_u32_sdwa s[8:9], v64, v51 src0_sel:WORD_0 src1_sel:DWORD
	v_cndmask_b32_e64 v54, v54, v64, s[8:9]
; %bb.145:                              ;   in Loop: Header=BB1970_141 Depth=1
	s_or_b64 exec, exec, s[16:17]
	s_waitcnt lgkmcnt(0)
	v_lshlrev_b32_e32 v55, 16, v55
	v_add_f32_e32 v64, 0, v55
	v_and_b32_e32 v55, 0x7f800000, v64
	v_cmp_ne_u32_e64 s[8:9], s18, v55
                                        ; implicit-def: $vgpr55
	s_and_saveexec_b64 s[16:17], s[8:9]
	s_xor_b64 s[8:9], exec, s[16:17]
; %bb.146:                              ;   in Loop: Header=BB1970_141 Depth=1
	v_bfe_u32 v55, v64, 16, 1
	v_add3_u32 v55, v64, v55, s19
                                        ; implicit-def: $vgpr64
; %bb.147:                              ;   in Loop: Header=BB1970_141 Depth=1
	s_andn2_saveexec_b64 s[16:17], s[8:9]
	s_cbranch_execz .LBB1970_140
; %bb.148:                              ;   in Loop: Header=BB1970_141 Depth=1
	v_or_b32_e32 v55, 0x10000, v64
	v_cmp_eq_u32_sdwa s[8:9], v64, v51 src0_sel:WORD_0 src1_sel:DWORD
	v_cndmask_b32_e64 v55, v55, v64, s[8:9]
	s_branch .LBB1970_140
.LBB1970_149:
	s_or_b64 exec, exec, s[12:13]
.LBB1970_150:
	s_or_b64 exec, exec, s[10:11]
	v_add_u32_e32 v39, v48, v27
	v_add_u32_e32 v27, v25, v31
	v_sub_u32_e32 v48, v27, v48
	v_cmp_le_u32_e64 s[8:9], v39, v25
	v_cmp_le_u32_e64 s[10:11], v48, v26
	s_or_b64 s[8:9], s[8:9], s[10:11]
	s_and_saveexec_b64 s[12:13], s[8:9]
	s_cbranch_execz .LBB1970_202
; %bb.151:
	v_cmp_ge_u32_e64 s[8:9], v39, v25
	v_cmp_lt_u32_e64 s[10:11], v39, v25
                                        ; implicit-def: $vgpr27
	s_and_saveexec_b64 s[16:17], s[10:11]
; %bb.152:
	v_lshl_add_u32 v12, v39, 1, v8
	ds_read_u16 v27, v12
; %bb.153:
	s_or_b64 exec, exec, s[16:17]
	v_cmp_ge_u32_e64 s[16:17], v48, v26
	v_cmp_lt_u32_e64 s[10:11], v48, v26
                                        ; implicit-def: $vgpr31
	s_and_saveexec_b64 s[18:19], s[10:11]
; %bb.154:
	v_lshl_add_u32 v12, v48, 1, v8
	ds_read_u16 v31, v12
; %bb.155:
	s_or_b64 exec, exec, s[18:19]
	s_nor_b64 s[8:9], s[8:9], s[16:17]
	s_and_saveexec_b64 s[10:11], s[8:9]
	s_cbranch_execz .LBB1970_165
; %bb.156:
	s_waitcnt lgkmcnt(0)
	v_lshlrev_b32_e32 v12, 16, v31
	v_add_f32_e32 v13, 0, v12
	s_mov_b32 s8, 0x7f800000
	v_and_b32_e32 v12, 0x7f800000, v13
	v_cmp_ne_u32_e64 s[8:9], s8, v12
                                        ; implicit-def: $vgpr12
	s_and_saveexec_b64 s[18:19], s[8:9]
	s_xor_b64 s[8:9], exec, s[18:19]
; %bb.157:
	v_bfe_u32 v12, v13, 16, 1
	s_movk_i32 s18, 0x7fff
	v_add3_u32 v12, v13, v12, s18
                                        ; implicit-def: $vgpr13
; %bb.158:
	s_andn2_saveexec_b64 s[18:19], s[8:9]
; %bb.159:
	v_mov_b32_e32 v12, 0
	v_or_b32_e32 v14, 0x10000, v13
	v_cmp_eq_u32_sdwa s[8:9], v13, v12 src0_sel:WORD_0 src1_sel:DWORD
	v_cndmask_b32_e64 v12, v14, v13, s[8:9]
; %bb.160:
	s_or_b64 exec, exec, s[18:19]
	v_lshlrev_b32_e32 v13, 16, v27
	v_add_f32_e32 v14, 0, v13
	s_mov_b32 s8, 0x7f800000
	v_and_b32_e32 v13, 0x7f800000, v14
	v_cmp_ne_u32_e64 s[8:9], s8, v13
                                        ; implicit-def: $vgpr13
	s_and_saveexec_b64 s[18:19], s[8:9]
	s_xor_b64 s[8:9], exec, s[18:19]
; %bb.161:
	v_bfe_u32 v13, v14, 16, 1
	s_movk_i32 s18, 0x7fff
	v_add3_u32 v13, v14, v13, s18
                                        ; implicit-def: $vgpr14
; %bb.162:
	s_andn2_saveexec_b64 s[18:19], s[8:9]
; %bb.163:
	v_mov_b32_e32 v13, 0
	v_or_b32_e32 v15, 0x10000, v14
	v_cmp_eq_u32_sdwa s[8:9], v14, v13 src0_sel:WORD_0 src1_sel:DWORD
	v_cndmask_b32_e64 v13, v15, v14, s[8:9]
; %bb.164:
	s_or_b64 exec, exec, s[18:19]
	s_mov_b32 s8, 0x7060302
	v_perm_b32 v14, v13, v12, s8
	v_mov_b32_e32 v15, 0xffff8000
	v_cmp_lt_i32_e64 s[8:9], -1, v12
	v_cndmask_b32_e64 v12, -1, v15, s[8:9]
	v_cmp_lt_i32_e64 s[8:9], -1, v13
	v_cndmask_b32_e64 v13, -1, v15, s[8:9]
	s_mov_b32 s8, 0x5040100
	v_perm_b32 v12, v13, v12, s8
	v_xor_b32_e32 v12, v12, v14
	v_cmp_le_u16_sdwa s[8:9], v12, v12 src0_sel:DWORD src1_sel:WORD_1
	s_andn2_b64 s[16:17], s[16:17], exec
	s_and_b64 s[8:9], s[8:9], exec
	s_or_b64 s[16:17], s[16:17], s[8:9]
.LBB1970_165:
	s_or_b64 exec, exec, s[10:11]
	v_cndmask_b32_e64 v12, v48, v39, s[16:17]
	v_cndmask_b32_e64 v13, v26, v25, s[16:17]
	v_add_u32_e32 v14, 1, v12
	v_add_u32_e32 v13, -1, v13
	v_min_u32_e32 v13, v14, v13
	v_lshl_add_u32 v13, v13, 1, v8
	ds_read_u16 v15, v13
	v_lshl_add_u32 v12, v12, 3, v4
	ds_read_b64 v[12:13], v12 offset:2048
	v_cndmask_b32_e64 v16, v14, v48, s[16:17]
	v_cndmask_b32_e64 v17, v39, v14, s[16:17]
	s_waitcnt lgkmcnt(1)
	v_cndmask_b32_e64 v35, v15, v31, s[16:17]
	v_cndmask_b32_e64 v36, v27, v15, s[16:17]
	v_cmp_lt_u32_e64 s[8:9], v16, v26
	s_mov_b64 s[18:19], -1
	s_mov_b64 s[10:11], -1
	s_and_saveexec_b64 s[20:21], s[8:9]
	s_cbranch_execz .LBB1970_177
; %bb.166:
	v_cmp_lt_u32_e64 s[8:9], v17, v25
	s_mov_b64 s[22:23], 0
	s_and_saveexec_b64 s[10:11], s[8:9]
	s_cbranch_execz .LBB1970_176
; %bb.167:
	v_lshlrev_b32_e32 v14, 16, v35
	v_add_f32_e32 v15, 0, v14
	s_mov_b32 s8, 0x7f800000
	v_and_b32_e32 v14, 0x7f800000, v15
	v_cmp_ne_u32_e64 s[8:9], s8, v14
                                        ; implicit-def: $vgpr14
	s_and_saveexec_b64 s[22:23], s[8:9]
	s_xor_b64 s[8:9], exec, s[22:23]
; %bb.168:
	v_bfe_u32 v14, v15, 16, 1
	s_movk_i32 s22, 0x7fff
	v_add3_u32 v14, v15, v14, s22
                                        ; implicit-def: $vgpr15
; %bb.169:
	s_andn2_saveexec_b64 s[22:23], s[8:9]
; %bb.170:
	v_mov_b32_e32 v14, 0
	v_or_b32_e32 v18, 0x10000, v15
	v_cmp_eq_u32_sdwa s[8:9], v15, v14 src0_sel:WORD_0 src1_sel:DWORD
	v_cndmask_b32_e64 v14, v18, v15, s[8:9]
; %bb.171:
	s_or_b64 exec, exec, s[22:23]
	v_lshlrev_b32_e32 v15, 16, v36
	v_add_f32_e32 v18, 0, v15
	s_mov_b32 s8, 0x7f800000
	v_and_b32_e32 v15, 0x7f800000, v18
	v_cmp_ne_u32_e64 s[8:9], s8, v15
                                        ; implicit-def: $vgpr15
	s_and_saveexec_b64 s[22:23], s[8:9]
	s_xor_b64 s[8:9], exec, s[22:23]
; %bb.172:
	v_bfe_u32 v15, v18, 16, 1
	s_movk_i32 s22, 0x7fff
	v_add3_u32 v15, v18, v15, s22
                                        ; implicit-def: $vgpr18
; %bb.173:
	s_andn2_saveexec_b64 s[22:23], s[8:9]
; %bb.174:
	v_mov_b32_e32 v15, 0
	v_or_b32_e32 v19, 0x10000, v18
	v_cmp_eq_u32_sdwa s[8:9], v18, v15 src0_sel:WORD_0 src1_sel:DWORD
	v_cndmask_b32_e64 v15, v19, v18, s[8:9]
; %bb.175:
	s_or_b64 exec, exec, s[22:23]
	s_mov_b32 s8, 0x7060302
	v_perm_b32 v18, v15, v14, s8
	v_mov_b32_e32 v19, 0xffff8000
	v_cmp_lt_i32_e64 s[8:9], -1, v14
	v_cndmask_b32_e64 v14, -1, v19, s[8:9]
	v_cmp_lt_i32_e64 s[8:9], -1, v15
	v_cndmask_b32_e64 v15, -1, v19, s[8:9]
	s_mov_b32 s8, 0x5040100
	v_perm_b32 v14, v15, v14, s8
	v_xor_b32_e32 v14, v14, v18
	v_cmp_le_u16_sdwa s[8:9], v14, v14 src0_sel:DWORD src1_sel:WORD_1
	s_and_b64 s[22:23], s[8:9], exec
.LBB1970_176:
	s_or_b64 exec, exec, s[10:11]
	s_orn2_b64 s[10:11], s[22:23], exec
.LBB1970_177:
	s_or_b64 exec, exec, s[20:21]
	v_cndmask_b32_e64 v14, v16, v17, s[10:11]
	v_cndmask_b32_e64 v15, v26, v25, s[10:11]
	v_add_u32_e32 v19, 1, v14
	v_add_u32_e32 v15, -1, v15
	v_min_u32_e32 v15, v19, v15
	v_lshl_add_u32 v15, v15, 1, v8
	ds_read_u16 v18, v15
	v_lshl_add_u32 v14, v14, 3, v4
	ds_read_b64 v[14:15], v14 offset:2048
	s_waitcnt lgkmcnt(1)
	v_cndmask_b32_e64 v37, v18, v35, s[10:11]
	v_cndmask_b32_e64 v38, v36, v18, s[10:11]
	;; [unrolled: 1-line block ×4, first 2 shown]
	v_cmp_lt_u32_e64 s[8:9], v18, v26
	s_and_saveexec_b64 s[20:21], s[8:9]
	s_cbranch_execz .LBB1970_189
; %bb.178:
	v_cmp_lt_u32_e64 s[8:9], v19, v25
	s_mov_b64 s[22:23], 0
	s_and_saveexec_b64 s[18:19], s[8:9]
	s_cbranch_execz .LBB1970_188
; %bb.179:
	v_lshlrev_b32_e32 v16, 16, v37
	v_add_f32_e32 v17, 0, v16
	s_mov_b32 s8, 0x7f800000
	v_and_b32_e32 v16, 0x7f800000, v17
	v_cmp_ne_u32_e64 s[8:9], s8, v16
                                        ; implicit-def: $vgpr16
	s_and_saveexec_b64 s[22:23], s[8:9]
	s_xor_b64 s[8:9], exec, s[22:23]
; %bb.180:
	v_bfe_u32 v16, v17, 16, 1
	s_movk_i32 s22, 0x7fff
	v_add3_u32 v16, v17, v16, s22
                                        ; implicit-def: $vgpr17
; %bb.181:
	s_andn2_saveexec_b64 s[22:23], s[8:9]
; %bb.182:
	v_mov_b32_e32 v16, 0
	v_or_b32_e32 v39, 0x10000, v17
	v_cmp_eq_u32_sdwa s[8:9], v17, v16 src0_sel:WORD_0 src1_sel:DWORD
	v_cndmask_b32_e64 v16, v39, v17, s[8:9]
; %bb.183:
	s_or_b64 exec, exec, s[22:23]
	v_lshlrev_b32_e32 v17, 16, v38
	v_add_f32_e32 v39, 0, v17
	s_mov_b32 s8, 0x7f800000
	v_and_b32_e32 v17, 0x7f800000, v39
	v_cmp_ne_u32_e64 s[8:9], s8, v17
                                        ; implicit-def: $vgpr17
	s_and_saveexec_b64 s[22:23], s[8:9]
	s_xor_b64 s[8:9], exec, s[22:23]
; %bb.184:
	v_bfe_u32 v17, v39, 16, 1
	s_movk_i32 s22, 0x7fff
	v_add3_u32 v17, v39, v17, s22
                                        ; implicit-def: $vgpr39
; %bb.185:
	s_andn2_saveexec_b64 s[22:23], s[8:9]
; %bb.186:
	v_mov_b32_e32 v17, 0
	v_or_b32_e32 v48, 0x10000, v39
	v_cmp_eq_u32_sdwa s[8:9], v39, v17 src0_sel:WORD_0 src1_sel:DWORD
	v_cndmask_b32_e64 v17, v48, v39, s[8:9]
; %bb.187:
	s_or_b64 exec, exec, s[22:23]
	s_mov_b32 s8, 0x7060302
	v_perm_b32 v39, v17, v16, s8
	v_mov_b32_e32 v48, 0xffff8000
	v_cmp_lt_i32_e64 s[8:9], -1, v16
	v_cndmask_b32_e64 v16, -1, v48, s[8:9]
	v_cmp_lt_i32_e64 s[8:9], -1, v17
	v_cndmask_b32_e64 v17, -1, v48, s[8:9]
	s_mov_b32 s8, 0x5040100
	v_perm_b32 v16, v17, v16, s8
	v_xor_b32_e32 v16, v16, v39
	v_cmp_le_u16_sdwa s[8:9], v16, v16 src0_sel:DWORD src1_sel:WORD_1
	s_and_b64 s[22:23], s[8:9], exec
.LBB1970_188:
	s_or_b64 exec, exec, s[18:19]
	s_orn2_b64 s[18:19], s[22:23], exec
.LBB1970_189:
	s_or_b64 exec, exec, s[20:21]
	v_cndmask_b32_e64 v16, v18, v19, s[18:19]
	v_cndmask_b32_e64 v17, v26, v25, s[18:19]
	v_add_u32_e32 v49, 1, v16
	v_add_u32_e32 v17, -1, v17
	v_min_u32_e32 v17, v49, v17
	v_lshl_add_u32 v17, v17, 1, v8
	ds_read_u16 v48, v17
	v_lshl_add_u32 v16, v16, 3, v4
	ds_read_b64 v[16:17], v16 offset:2048
	v_cndmask_b32_e64 v18, v49, v18, s[18:19]
	v_cndmask_b32_e64 v19, v19, v49, s[18:19]
	s_waitcnt lgkmcnt(1)
	v_cndmask_b32_e64 v39, v48, v37, s[18:19]
	v_cndmask_b32_e64 v48, v38, v48, s[18:19]
	v_cmp_lt_u32_e64 s[8:9], v18, v26
	s_mov_b64 s[22:23], -1
	s_and_saveexec_b64 s[20:21], s[8:9]
	s_cbranch_execz .LBB1970_201
; %bb.190:
	v_cmp_lt_u32_e64 s[8:9], v19, v25
	s_mov_b64 s[24:25], 0
	s_and_saveexec_b64 s[22:23], s[8:9]
	s_cbranch_execz .LBB1970_200
; %bb.191:
	v_lshlrev_b32_e32 v25, 16, v39
	v_add_f32_e32 v26, 0, v25
	s_mov_b32 s8, 0x7f800000
	v_and_b32_e32 v25, 0x7f800000, v26
	v_cmp_ne_u32_e64 s[8:9], s8, v25
                                        ; implicit-def: $vgpr25
	s_and_saveexec_b64 s[24:25], s[8:9]
	s_xor_b64 s[8:9], exec, s[24:25]
; %bb.192:
	v_bfe_u32 v25, v26, 16, 1
	s_movk_i32 s24, 0x7fff
	v_add3_u32 v25, v26, v25, s24
                                        ; implicit-def: $vgpr26
; %bb.193:
	s_andn2_saveexec_b64 s[24:25], s[8:9]
; %bb.194:
	v_mov_b32_e32 v25, 0
	v_or_b32_e32 v49, 0x10000, v26
	v_cmp_eq_u32_sdwa s[8:9], v26, v25 src0_sel:WORD_0 src1_sel:DWORD
	v_cndmask_b32_e64 v25, v49, v26, s[8:9]
; %bb.195:
	s_or_b64 exec, exec, s[24:25]
	v_lshlrev_b32_e32 v26, 16, v48
	v_add_f32_e32 v49, 0, v26
	s_mov_b32 s8, 0x7f800000
	v_and_b32_e32 v26, 0x7f800000, v49
	v_cmp_ne_u32_e64 s[8:9], s8, v26
                                        ; implicit-def: $vgpr26
	s_and_saveexec_b64 s[24:25], s[8:9]
	s_xor_b64 s[8:9], exec, s[24:25]
; %bb.196:
	v_bfe_u32 v26, v49, 16, 1
	s_movk_i32 s24, 0x7fff
	v_add3_u32 v26, v49, v26, s24
                                        ; implicit-def: $vgpr49
; %bb.197:
	s_andn2_saveexec_b64 s[24:25], s[8:9]
; %bb.198:
	v_mov_b32_e32 v26, 0
	v_or_b32_e32 v50, 0x10000, v49
	v_cmp_eq_u32_sdwa s[8:9], v49, v26 src0_sel:WORD_0 src1_sel:DWORD
	v_cndmask_b32_e64 v26, v50, v49, s[8:9]
; %bb.199:
	s_or_b64 exec, exec, s[24:25]
	s_mov_b32 s8, 0x7060302
	v_perm_b32 v49, v26, v25, s8
	v_mov_b32_e32 v50, 0xffff8000
	v_cmp_lt_i32_e64 s[8:9], -1, v25
	v_cndmask_b32_e64 v25, -1, v50, s[8:9]
	v_cmp_lt_i32_e64 s[8:9], -1, v26
	v_cndmask_b32_e64 v26, -1, v50, s[8:9]
	s_mov_b32 s8, 0x5040100
	v_perm_b32 v25, v26, v25, s8
	v_xor_b32_e32 v25, v25, v49
	v_cmp_le_u16_sdwa s[8:9], v25, v25 src0_sel:DWORD src1_sel:WORD_1
	s_and_b64 s[24:25], s[8:9], exec
.LBB1970_200:
	s_or_b64 exec, exec, s[22:23]
	s_orn2_b64 s[22:23], s[24:25], exec
.LBB1970_201:
	s_or_b64 exec, exec, s[20:21]
	v_cndmask_b32_e64 v18, v18, v19, s[22:23]
	v_lshl_add_u32 v18, v18, 3, v4
	ds_read_b64 v[18:19], v18 offset:2048
	v_cndmask_b32_e64 v38, v37, v38, s[18:19]
	v_cndmask_b32_e64 v36, v35, v36, s[10:11]
	;; [unrolled: 1-line block ×4, first 2 shown]
.LBB1970_202:
	s_or_b64 exec, exec, s[12:13]
	; wave barrier
	ds_write_b16 v9, v37
	ds_write_b64 v10, v[12:13]
	ds_write_b16 v11, v36
	ds_write_b64 v20, v[14:15]
	ds_write_b16 v21, v38
	s_waitcnt lgkmcnt(6)
	ds_write_b64 v22, v[16:17]
	ds_write_b16 v23, v35
	s_waitcnt lgkmcnt(7)
	ds_write_b64 v24, v[18:19]
	v_and_b32_e32 v11, 0x1e0, v34
	v_or_b32_e32 v9, 16, v11
	v_min_u32_e32 v9, v5, v9
	v_add_u32_e32 v10, 16, v9
	v_min_u32_e32 v10, v5, v10
	v_min_u32_e32 v5, v5, v33
	v_sub_u32_e32 v21, v9, v11
	v_sub_u32_e32 v20, v10, v9
	v_sub_u32_e64 v20, v5, v20 clamp
	v_min_u32_e32 v21, v5, v21
	v_cmp_lt_u32_e64 s[8:9], v20, v21
	; wave barrier
	s_and_saveexec_b64 s[10:11], s[8:9]
	s_cbranch_execz .LBB1970_214
; %bb.203:
	v_lshlrev_b32_e32 v22, 1, v11
	v_lshlrev_b32_e32 v23, 1, v9
	v_add_co_u32_e64 v22, s[8:9], v8, v22
	v_add_co_u32_e64 v23, s[8:9], v8, v23
	s_mov_b64 s[12:13], 0
	s_mov_b32 s18, 0x7f800000
	s_movk_i32 s19, 0x7fff
	v_mov_b32_e32 v24, 0
	v_mov_b32_e32 v25, 0xffff8000
	s_branch .LBB1970_205
.LBB1970_204:                           ;   in Loop: Header=BB1970_205 Depth=1
	s_or_b64 exec, exec, s[16:17]
	v_cmp_lt_i32_e64 s[8:9], -1, v27
	v_cndmask_b32_e64 v33, -1, v25, s[8:9]
	v_cmp_lt_i32_e64 s[8:9], -1, v31
	v_xor_b32_sdwa v27, v33, v27 dst_sel:DWORD dst_unused:UNUSED_PAD src0_sel:DWORD src1_sel:WORD_1
	v_cndmask_b32_e64 v33, -1, v25, s[8:9]
	v_xor_b32_sdwa v31, v33, v31 dst_sel:DWORD dst_unused:UNUSED_PAD src0_sel:DWORD src1_sel:WORD_1
	v_add_u32_e32 v33, 1, v26
	v_cmp_gt_u16_e64 s[8:9], v27, v31
	v_cndmask_b32_e64 v21, v21, v26, s[8:9]
	v_cndmask_b32_e64 v20, v33, v20, s[8:9]
	v_cmp_ge_u32_e64 s[8:9], v20, v21
	s_or_b64 s[12:13], s[8:9], s[12:13]
	s_andn2_b64 exec, exec, s[12:13]
	s_cbranch_execz .LBB1970_213
.LBB1970_205:                           ; =>This Inner Loop Header: Depth=1
	v_add_u32_e32 v27, v21, v20
	v_lshrrev_b32_e32 v26, 1, v27
	v_xad_u32 v31, v26, -1, v5
	v_lshl_add_u32 v31, v31, 1, v23
	ds_read_u16 v33, v31
	v_and_b32_e32 v27, -2, v27
	v_add_u32_e32 v27, v22, v27
	ds_read_u16 v31, v27
	s_waitcnt lgkmcnt(1)
	v_lshlrev_b32_e32 v27, 16, v33
	v_add_f32_e32 v33, 0, v27
	v_and_b32_e32 v27, 0x7f800000, v33
	v_cmp_ne_u32_e64 s[8:9], s18, v27
                                        ; implicit-def: $vgpr27
	s_and_saveexec_b64 s[16:17], s[8:9]
	s_xor_b64 s[8:9], exec, s[16:17]
; %bb.206:                              ;   in Loop: Header=BB1970_205 Depth=1
	v_bfe_u32 v27, v33, 16, 1
	v_add3_u32 v27, v33, v27, s19
                                        ; implicit-def: $vgpr33
; %bb.207:                              ;   in Loop: Header=BB1970_205 Depth=1
	s_andn2_saveexec_b64 s[16:17], s[8:9]
; %bb.208:                              ;   in Loop: Header=BB1970_205 Depth=1
	v_or_b32_e32 v27, 0x10000, v33
	v_cmp_eq_u32_sdwa s[8:9], v33, v24 src0_sel:WORD_0 src1_sel:DWORD
	v_cndmask_b32_e64 v27, v27, v33, s[8:9]
; %bb.209:                              ;   in Loop: Header=BB1970_205 Depth=1
	s_or_b64 exec, exec, s[16:17]
	s_waitcnt lgkmcnt(0)
	v_lshlrev_b32_e32 v31, 16, v31
	v_add_f32_e32 v33, 0, v31
	v_and_b32_e32 v31, 0x7f800000, v33
	v_cmp_ne_u32_e64 s[8:9], s18, v31
                                        ; implicit-def: $vgpr31
	s_and_saveexec_b64 s[16:17], s[8:9]
	s_xor_b64 s[8:9], exec, s[16:17]
; %bb.210:                              ;   in Loop: Header=BB1970_205 Depth=1
	v_bfe_u32 v31, v33, 16, 1
	v_add3_u32 v31, v33, v31, s19
                                        ; implicit-def: $vgpr33
; %bb.211:                              ;   in Loop: Header=BB1970_205 Depth=1
	s_andn2_saveexec_b64 s[16:17], s[8:9]
	s_cbranch_execz .LBB1970_204
; %bb.212:                              ;   in Loop: Header=BB1970_205 Depth=1
	v_or_b32_e32 v31, 0x10000, v33
	v_cmp_eq_u32_sdwa s[8:9], v33, v24 src0_sel:WORD_0 src1_sel:DWORD
	v_cndmask_b32_e64 v31, v31, v33, s[8:9]
	s_branch .LBB1970_204
.LBB1970_213:
	s_or_b64 exec, exec, s[12:13]
.LBB1970_214:
	s_or_b64 exec, exec, s[10:11]
	v_add_u32_e32 v5, v9, v5
	v_add_u32_e32 v22, v20, v11
	v_sub_u32_e32 v23, v5, v20
	v_cmp_le_u32_e64 s[8:9], v22, v9
	v_cmp_le_u32_e64 s[10:11], v23, v10
	s_or_b64 s[8:9], s[8:9], s[10:11]
	s_and_saveexec_b64 s[12:13], s[8:9]
	s_cbranch_execz .LBB1970_266
; %bb.215:
	v_cmp_ge_u32_e64 s[8:9], v22, v9
	v_cmp_lt_u32_e64 s[10:11], v22, v9
                                        ; implicit-def: $vgpr5
	s_and_saveexec_b64 s[16:17], s[10:11]
; %bb.216:
	v_lshl_add_u32 v5, v22, 1, v8
	ds_read_u16 v5, v5
; %bb.217:
	s_or_b64 exec, exec, s[16:17]
	v_cmp_ge_u32_e64 s[16:17], v23, v10
	v_cmp_lt_u32_e64 s[10:11], v23, v10
                                        ; implicit-def: $vgpr11
	s_and_saveexec_b64 s[18:19], s[10:11]
; %bb.218:
	v_lshl_add_u32 v11, v23, 1, v8
	ds_read_u16 v11, v11
; %bb.219:
	s_or_b64 exec, exec, s[18:19]
	s_nor_b64 s[8:9], s[8:9], s[16:17]
	s_and_saveexec_b64 s[10:11], s[8:9]
	s_cbranch_execz .LBB1970_229
; %bb.220:
	s_waitcnt lgkmcnt(0)
	v_lshlrev_b32_e32 v12, 16, v11
	v_add_f32_e32 v13, 0, v12
	s_mov_b32 s8, 0x7f800000
	v_and_b32_e32 v12, 0x7f800000, v13
	v_cmp_ne_u32_e64 s[8:9], s8, v12
                                        ; implicit-def: $vgpr12
	s_and_saveexec_b64 s[18:19], s[8:9]
	s_xor_b64 s[8:9], exec, s[18:19]
; %bb.221:
	v_bfe_u32 v12, v13, 16, 1
	s_movk_i32 s18, 0x7fff
	v_add3_u32 v12, v13, v12, s18
                                        ; implicit-def: $vgpr13
; %bb.222:
	s_andn2_saveexec_b64 s[18:19], s[8:9]
; %bb.223:
	v_mov_b32_e32 v12, 0
	v_or_b32_e32 v14, 0x10000, v13
	v_cmp_eq_u32_sdwa s[8:9], v13, v12 src0_sel:WORD_0 src1_sel:DWORD
	v_cndmask_b32_e64 v12, v14, v13, s[8:9]
; %bb.224:
	s_or_b64 exec, exec, s[18:19]
	v_lshlrev_b32_e32 v13, 16, v5
	v_add_f32_e32 v14, 0, v13
	s_mov_b32 s8, 0x7f800000
	v_and_b32_e32 v13, 0x7f800000, v14
	v_cmp_ne_u32_e64 s[8:9], s8, v13
                                        ; implicit-def: $vgpr13
	s_and_saveexec_b64 s[18:19], s[8:9]
	s_xor_b64 s[8:9], exec, s[18:19]
; %bb.225:
	v_bfe_u32 v13, v14, 16, 1
	s_movk_i32 s18, 0x7fff
	v_add3_u32 v13, v14, v13, s18
                                        ; implicit-def: $vgpr14
; %bb.226:
	s_andn2_saveexec_b64 s[18:19], s[8:9]
; %bb.227:
	v_mov_b32_e32 v13, 0
	v_or_b32_e32 v15, 0x10000, v14
	v_cmp_eq_u32_sdwa s[8:9], v14, v13 src0_sel:WORD_0 src1_sel:DWORD
	v_cndmask_b32_e64 v13, v15, v14, s[8:9]
; %bb.228:
	s_or_b64 exec, exec, s[18:19]
	s_mov_b32 s8, 0x7060302
	v_perm_b32 v14, v13, v12, s8
	v_mov_b32_e32 v15, 0xffff8000
	v_cmp_lt_i32_e64 s[8:9], -1, v12
	v_cndmask_b32_e64 v12, -1, v15, s[8:9]
	v_cmp_lt_i32_e64 s[8:9], -1, v13
	v_cndmask_b32_e64 v13, -1, v15, s[8:9]
	s_mov_b32 s8, 0x5040100
	v_perm_b32 v12, v13, v12, s8
	v_xor_b32_e32 v12, v12, v14
	v_cmp_le_u16_sdwa s[8:9], v12, v12 src0_sel:DWORD src1_sel:WORD_1
	s_andn2_b64 s[16:17], s[16:17], exec
	s_and_b64 s[8:9], s[8:9], exec
	s_or_b64 s[16:17], s[16:17], s[8:9]
.LBB1970_229:
	s_or_b64 exec, exec, s[10:11]
	v_cndmask_b32_e64 v12, v23, v22, s[16:17]
	v_cndmask_b32_e64 v13, v10, v9, s[16:17]
	v_add_u32_e32 v14, 1, v12
	v_add_u32_e32 v13, -1, v13
	v_min_u32_e32 v13, v14, v13
	v_lshl_add_u32 v13, v13, 1, v8
	ds_read_u16 v15, v13
	v_lshl_add_u32 v12, v12, 3, v4
	ds_read_b64 v[12:13], v12 offset:2048
	v_cndmask_b32_e64 v16, v14, v23, s[16:17]
	v_cndmask_b32_e64 v17, v22, v14, s[16:17]
	s_waitcnt lgkmcnt(1)
	v_cndmask_b32_e64 v20, v15, v11, s[16:17]
	v_cndmask_b32_e64 v21, v5, v15, s[16:17]
	v_cmp_lt_u32_e64 s[8:9], v16, v10
	s_mov_b64 s[18:19], -1
	s_mov_b64 s[10:11], -1
	s_and_saveexec_b64 s[20:21], s[8:9]
	s_cbranch_execz .LBB1970_241
; %bb.230:
	v_cmp_lt_u32_e64 s[8:9], v17, v9
	s_mov_b64 s[22:23], 0
	s_and_saveexec_b64 s[10:11], s[8:9]
	s_cbranch_execz .LBB1970_240
; %bb.231:
	v_lshlrev_b32_e32 v14, 16, v20
	v_add_f32_e32 v15, 0, v14
	s_mov_b32 s8, 0x7f800000
	v_and_b32_e32 v14, 0x7f800000, v15
	v_cmp_ne_u32_e64 s[8:9], s8, v14
                                        ; implicit-def: $vgpr14
	s_and_saveexec_b64 s[22:23], s[8:9]
	s_xor_b64 s[8:9], exec, s[22:23]
; %bb.232:
	v_bfe_u32 v14, v15, 16, 1
	s_movk_i32 s22, 0x7fff
	v_add3_u32 v14, v15, v14, s22
                                        ; implicit-def: $vgpr15
; %bb.233:
	s_andn2_saveexec_b64 s[22:23], s[8:9]
; %bb.234:
	v_mov_b32_e32 v14, 0
	v_or_b32_e32 v18, 0x10000, v15
	v_cmp_eq_u32_sdwa s[8:9], v15, v14 src0_sel:WORD_0 src1_sel:DWORD
	v_cndmask_b32_e64 v14, v18, v15, s[8:9]
; %bb.235:
	s_or_b64 exec, exec, s[22:23]
	v_lshlrev_b32_e32 v15, 16, v21
	v_add_f32_e32 v18, 0, v15
	s_mov_b32 s8, 0x7f800000
	v_and_b32_e32 v15, 0x7f800000, v18
	v_cmp_ne_u32_e64 s[8:9], s8, v15
                                        ; implicit-def: $vgpr15
	s_and_saveexec_b64 s[22:23], s[8:9]
	s_xor_b64 s[8:9], exec, s[22:23]
; %bb.236:
	v_bfe_u32 v15, v18, 16, 1
	s_movk_i32 s22, 0x7fff
	v_add3_u32 v15, v18, v15, s22
                                        ; implicit-def: $vgpr18
; %bb.237:
	s_andn2_saveexec_b64 s[22:23], s[8:9]
; %bb.238:
	v_mov_b32_e32 v15, 0
	v_or_b32_e32 v19, 0x10000, v18
	v_cmp_eq_u32_sdwa s[8:9], v18, v15 src0_sel:WORD_0 src1_sel:DWORD
	v_cndmask_b32_e64 v15, v19, v18, s[8:9]
; %bb.239:
	s_or_b64 exec, exec, s[22:23]
	s_mov_b32 s8, 0x7060302
	v_perm_b32 v18, v15, v14, s8
	v_mov_b32_e32 v19, 0xffff8000
	v_cmp_lt_i32_e64 s[8:9], -1, v14
	v_cndmask_b32_e64 v14, -1, v19, s[8:9]
	v_cmp_lt_i32_e64 s[8:9], -1, v15
	v_cndmask_b32_e64 v15, -1, v19, s[8:9]
	s_mov_b32 s8, 0x5040100
	v_perm_b32 v14, v15, v14, s8
	v_xor_b32_e32 v14, v14, v18
	v_cmp_le_u16_sdwa s[8:9], v14, v14 src0_sel:DWORD src1_sel:WORD_1
	s_and_b64 s[22:23], s[8:9], exec
.LBB1970_240:
	s_or_b64 exec, exec, s[10:11]
	s_orn2_b64 s[10:11], s[22:23], exec
.LBB1970_241:
	s_or_b64 exec, exec, s[20:21]
	v_cndmask_b32_e64 v14, v16, v17, s[10:11]
	v_cndmask_b32_e64 v15, v10, v9, s[10:11]
	v_add_u32_e32 v19, 1, v14
	v_add_u32_e32 v15, -1, v15
	v_min_u32_e32 v15, v19, v15
	v_lshl_add_u32 v15, v15, 1, v8
	ds_read_u16 v18, v15
	v_lshl_add_u32 v14, v14, 3, v4
	ds_read_b64 v[14:15], v14 offset:2048
	s_waitcnt lgkmcnt(1)
	v_cndmask_b32_e64 v22, v18, v20, s[10:11]
	v_cndmask_b32_e64 v23, v21, v18, s[10:11]
	;; [unrolled: 1-line block ×4, first 2 shown]
	v_cmp_lt_u32_e64 s[8:9], v18, v10
	s_and_saveexec_b64 s[20:21], s[8:9]
	s_cbranch_execz .LBB1970_253
; %bb.242:
	v_cmp_lt_u32_e64 s[8:9], v19, v9
	s_mov_b64 s[22:23], 0
	s_and_saveexec_b64 s[18:19], s[8:9]
	s_cbranch_execz .LBB1970_252
; %bb.243:
	v_lshlrev_b32_e32 v16, 16, v22
	v_add_f32_e32 v17, 0, v16
	s_mov_b32 s8, 0x7f800000
	v_and_b32_e32 v16, 0x7f800000, v17
	v_cmp_ne_u32_e64 s[8:9], s8, v16
                                        ; implicit-def: $vgpr16
	s_and_saveexec_b64 s[22:23], s[8:9]
	s_xor_b64 s[8:9], exec, s[22:23]
; %bb.244:
	v_bfe_u32 v16, v17, 16, 1
	s_movk_i32 s22, 0x7fff
	v_add3_u32 v16, v17, v16, s22
                                        ; implicit-def: $vgpr17
; %bb.245:
	s_andn2_saveexec_b64 s[22:23], s[8:9]
; %bb.246:
	v_mov_b32_e32 v16, 0
	v_or_b32_e32 v24, 0x10000, v17
	v_cmp_eq_u32_sdwa s[8:9], v17, v16 src0_sel:WORD_0 src1_sel:DWORD
	v_cndmask_b32_e64 v16, v24, v17, s[8:9]
; %bb.247:
	s_or_b64 exec, exec, s[22:23]
	v_lshlrev_b32_e32 v17, 16, v23
	v_add_f32_e32 v24, 0, v17
	s_mov_b32 s8, 0x7f800000
	v_and_b32_e32 v17, 0x7f800000, v24
	v_cmp_ne_u32_e64 s[8:9], s8, v17
                                        ; implicit-def: $vgpr17
	s_and_saveexec_b64 s[22:23], s[8:9]
	s_xor_b64 s[8:9], exec, s[22:23]
; %bb.248:
	v_bfe_u32 v17, v24, 16, 1
	s_movk_i32 s22, 0x7fff
	v_add3_u32 v17, v24, v17, s22
                                        ; implicit-def: $vgpr24
; %bb.249:
	s_andn2_saveexec_b64 s[22:23], s[8:9]
; %bb.250:
	v_mov_b32_e32 v17, 0
	v_or_b32_e32 v25, 0x10000, v24
	v_cmp_eq_u32_sdwa s[8:9], v24, v17 src0_sel:WORD_0 src1_sel:DWORD
	v_cndmask_b32_e64 v17, v25, v24, s[8:9]
; %bb.251:
	s_or_b64 exec, exec, s[22:23]
	s_mov_b32 s8, 0x7060302
	v_perm_b32 v24, v17, v16, s8
	v_mov_b32_e32 v25, 0xffff8000
	v_cmp_lt_i32_e64 s[8:9], -1, v16
	v_cndmask_b32_e64 v16, -1, v25, s[8:9]
	v_cmp_lt_i32_e64 s[8:9], -1, v17
	v_cndmask_b32_e64 v17, -1, v25, s[8:9]
	s_mov_b32 s8, 0x5040100
	v_perm_b32 v16, v17, v16, s8
	v_xor_b32_e32 v16, v16, v24
	v_cmp_le_u16_sdwa s[8:9], v16, v16 src0_sel:DWORD src1_sel:WORD_1
	s_and_b64 s[22:23], s[8:9], exec
.LBB1970_252:
	s_or_b64 exec, exec, s[18:19]
	s_orn2_b64 s[18:19], s[22:23], exec
.LBB1970_253:
	s_or_b64 exec, exec, s[20:21]
	v_cndmask_b32_e64 v16, v18, v19, s[18:19]
	v_cndmask_b32_e64 v17, v10, v9, s[18:19]
	v_add_u32_e32 v25, 1, v16
	v_add_u32_e32 v17, -1, v17
	v_min_u32_e32 v17, v25, v17
	v_lshl_add_u32 v8, v17, 1, v8
	ds_read_u16 v24, v8
	v_lshl_add_u32 v8, v16, 3, v4
	ds_read_b64 v[16:17], v8 offset:2048
	v_cndmask_b32_e64 v18, v25, v18, s[18:19]
	v_cndmask_b32_e64 v19, v19, v25, s[18:19]
	s_waitcnt lgkmcnt(1)
	v_cndmask_b32_e64 v8, v24, v22, s[18:19]
	v_cndmask_b32_e64 v24, v23, v24, s[18:19]
	v_cmp_lt_u32_e64 s[8:9], v18, v10
	s_mov_b64 s[22:23], -1
	s_and_saveexec_b64 s[20:21], s[8:9]
	s_cbranch_execz .LBB1970_265
; %bb.254:
	v_cmp_lt_u32_e64 s[8:9], v19, v9
	s_mov_b64 s[24:25], 0
	s_and_saveexec_b64 s[22:23], s[8:9]
	s_cbranch_execz .LBB1970_264
; %bb.255:
	v_lshlrev_b32_e32 v9, 16, v8
	v_add_f32_e32 v10, 0, v9
	s_mov_b32 s8, 0x7f800000
	v_and_b32_e32 v9, 0x7f800000, v10
	v_cmp_ne_u32_e64 s[8:9], s8, v9
                                        ; implicit-def: $vgpr9
	s_and_saveexec_b64 s[24:25], s[8:9]
	s_xor_b64 s[8:9], exec, s[24:25]
; %bb.256:
	v_bfe_u32 v9, v10, 16, 1
	s_movk_i32 s24, 0x7fff
	v_add3_u32 v9, v10, v9, s24
                                        ; implicit-def: $vgpr10
; %bb.257:
	s_andn2_saveexec_b64 s[24:25], s[8:9]
; %bb.258:
	v_mov_b32_e32 v9, 0
	v_or_b32_e32 v25, 0x10000, v10
	v_cmp_eq_u32_sdwa s[8:9], v10, v9 src0_sel:WORD_0 src1_sel:DWORD
	v_cndmask_b32_e64 v9, v25, v10, s[8:9]
; %bb.259:
	s_or_b64 exec, exec, s[24:25]
	v_lshlrev_b32_e32 v10, 16, v24
	v_add_f32_e32 v25, 0, v10
	s_mov_b32 s8, 0x7f800000
	v_and_b32_e32 v10, 0x7f800000, v25
	v_cmp_ne_u32_e64 s[8:9], s8, v10
                                        ; implicit-def: $vgpr10
	s_and_saveexec_b64 s[24:25], s[8:9]
	s_xor_b64 s[8:9], exec, s[24:25]
; %bb.260:
	v_bfe_u32 v10, v25, 16, 1
	s_movk_i32 s24, 0x7fff
	v_add3_u32 v10, v25, v10, s24
                                        ; implicit-def: $vgpr25
; %bb.261:
	s_andn2_saveexec_b64 s[24:25], s[8:9]
; %bb.262:
	v_mov_b32_e32 v10, 0
	v_or_b32_e32 v26, 0x10000, v25
	v_cmp_eq_u32_sdwa s[8:9], v25, v10 src0_sel:WORD_0 src1_sel:DWORD
	v_cndmask_b32_e64 v10, v26, v25, s[8:9]
; %bb.263:
	s_or_b64 exec, exec, s[24:25]
	s_mov_b32 s8, 0x7060302
	v_perm_b32 v25, v10, v9, s8
	v_mov_b32_e32 v26, 0xffff8000
	v_cmp_lt_i32_e64 s[8:9], -1, v9
	v_cndmask_b32_e64 v9, -1, v26, s[8:9]
	v_cmp_lt_i32_e64 s[8:9], -1, v10
	v_cndmask_b32_e64 v10, -1, v26, s[8:9]
	s_mov_b32 s8, 0x5040100
	v_perm_b32 v9, v10, v9, s8
	v_xor_b32_e32 v9, v9, v25
	v_cmp_le_u16_sdwa s[8:9], v9, v9 src0_sel:DWORD src1_sel:WORD_1
	s_and_b64 s[24:25], s[8:9], exec
.LBB1970_264:
	s_or_b64 exec, exec, s[22:23]
	s_orn2_b64 s[22:23], s[24:25], exec
.LBB1970_265:
	s_or_b64 exec, exec, s[20:21]
	v_cndmask_b32_e64 v9, v18, v19, s[22:23]
	v_lshl_add_u32 v4, v9, 3, v4
	ds_read_b64 v[18:19], v4 offset:2048
	v_cndmask_b32_e64 v38, v22, v23, s[18:19]
	v_cndmask_b32_e64 v36, v20, v21, s[10:11]
	;; [unrolled: 1-line block ×4, first 2 shown]
.LBB1970_266:
	s_or_b64 exec, exec, s[12:13]
	v_add_co_u32_e64 v2, s[8:9], v2, v28
	v_addc_co_u32_e64 v3, s[8:9], v3, v29, s[8:9]
	v_add_co_u32_e64 v2, s[8:9], v2, v30
	v_addc_co_u32_e64 v3, s[8:9], 0, v3, s[8:9]
	; wave barrier
	s_waitcnt lgkmcnt(0)
	s_barrier
	; wave barrier
	s_and_saveexec_b64 s[8:9], vcc
	s_cbranch_execnz .LBB1970_276
; %bb.267:
	s_or_b64 exec, exec, s[8:9]
	s_and_saveexec_b64 s[8:9], s[4:5]
	s_cbranch_execnz .LBB1970_277
.LBB1970_268:
	s_or_b64 exec, exec, s[8:9]
	s_and_saveexec_b64 s[8:9], s[6:7]
	s_cbranch_execnz .LBB1970_278
.LBB1970_269:
	s_or_b64 exec, exec, s[8:9]
	s_and_saveexec_b64 s[8:9], s[14:15]
	s_cbranch_execz .LBB1970_271
.LBB1970_270:
	flat_store_short v[2:3], v35 offset:6
.LBB1970_271:
	s_or_b64 exec, exec, s[8:9]
	v_add_co_u32_e64 v0, s[8:9], v6, v0
	v_addc_co_u32_e64 v1, s[8:9], v7, v1, s[8:9]
	v_add_co_u32_e64 v0, s[8:9], v0, v32
	v_addc_co_u32_e64 v1, s[8:9], 0, v1, s[8:9]
	; wave barrier
	s_and_saveexec_b64 s[8:9], vcc
	s_cbranch_execnz .LBB1970_279
; %bb.272:
	s_or_b64 exec, exec, s[8:9]
	s_and_saveexec_b64 s[8:9], s[4:5]
	s_cbranch_execnz .LBB1970_280
.LBB1970_273:
	s_or_b64 exec, exec, s[8:9]
	s_and_saveexec_b64 s[4:5], s[6:7]
	s_cbranch_execnz .LBB1970_281
.LBB1970_274:
	s_or_b64 exec, exec, s[4:5]
	s_and_saveexec_b64 s[4:5], s[14:15]
	s_cbranch_execnz .LBB1970_282
.LBB1970_275:
	s_or_b64 exec, exec, s[4:5]
	s_waitcnt vmcnt(0) lgkmcnt(0)
	s_setpc_b64 s[30:31]
.LBB1970_276:
	flat_store_short v[2:3], v37
	s_or_b64 exec, exec, s[8:9]
	s_and_saveexec_b64 s[8:9], s[4:5]
	s_cbranch_execz .LBB1970_268
.LBB1970_277:
	flat_store_short v[2:3], v36 offset:2
	s_or_b64 exec, exec, s[8:9]
	s_and_saveexec_b64 s[8:9], s[6:7]
	s_cbranch_execz .LBB1970_269
.LBB1970_278:
	flat_store_short v[2:3], v38 offset:4
	s_or_b64 exec, exec, s[8:9]
	s_and_saveexec_b64 s[8:9], s[14:15]
	s_cbranch_execnz .LBB1970_270
	s_branch .LBB1970_271
.LBB1970_279:
	flat_store_dwordx2 v[0:1], v[12:13]
	s_or_b64 exec, exec, s[8:9]
	s_and_saveexec_b64 s[8:9], s[4:5]
	s_cbranch_execz .LBB1970_273
.LBB1970_280:
	flat_store_dwordx2 v[0:1], v[14:15] offset:8
	s_or_b64 exec, exec, s[8:9]
	s_and_saveexec_b64 s[4:5], s[6:7]
	s_cbranch_execz .LBB1970_274
.LBB1970_281:
	flat_store_dwordx2 v[0:1], v[16:17] offset:16
	s_or_b64 exec, exec, s[4:5]
	s_and_saveexec_b64 s[4:5], s[14:15]
	s_cbranch_execz .LBB1970_275
.LBB1970_282:
	flat_store_dwordx2 v[0:1], v[18:19] offset:24
	s_or_b64 exec, exec, s[4:5]
	s_waitcnt vmcnt(0) lgkmcnt(0)
	s_setpc_b64 s[30:31]
.Lfunc_end1970:
	.size	_ZN7rocprim17ROCPRIM_400000_NS6detail26segmented_warp_sort_helperINS1_20WarpSortHelperConfigILj8ELj4ELj256EEE12hip_bfloat16lLi256ELb1EvE4sortIPKS5_PS5_PKlPlEEvT_T0_T1_T2_jjjjRNS6_12storage_typeE, .Lfunc_end1970-_ZN7rocprim17ROCPRIM_400000_NS6detail26segmented_warp_sort_helperINS1_20WarpSortHelperConfigILj8ELj4ELj256EEE12hip_bfloat16lLi256ELb1EvE4sortIPKS5_PS5_PKlPlEEvT_T0_T1_T2_jjjjRNS6_12storage_typeE
                                        ; -- End function
	.set .L_ZN7rocprim17ROCPRIM_400000_NS6detail26segmented_warp_sort_helperINS1_20WarpSortHelperConfigILj8ELj4ELj256EEE12hip_bfloat16lLi256ELb1EvE4sortIPKS5_PS5_PKlPlEEvT_T0_T1_T2_jjjjRNS6_12storage_typeE.num_vgpr, 65
	.set .L_ZN7rocprim17ROCPRIM_400000_NS6detail26segmented_warp_sort_helperINS1_20WarpSortHelperConfigILj8ELj4ELj256EEE12hip_bfloat16lLi256ELb1EvE4sortIPKS5_PS5_PKlPlEEvT_T0_T1_T2_jjjjRNS6_12storage_typeE.num_agpr, 0
	.set .L_ZN7rocprim17ROCPRIM_400000_NS6detail26segmented_warp_sort_helperINS1_20WarpSortHelperConfigILj8ELj4ELj256EEE12hip_bfloat16lLi256ELb1EvE4sortIPKS5_PS5_PKlPlEEvT_T0_T1_T2_jjjjRNS6_12storage_typeE.numbered_sgpr, 32
	.set .L_ZN7rocprim17ROCPRIM_400000_NS6detail26segmented_warp_sort_helperINS1_20WarpSortHelperConfigILj8ELj4ELj256EEE12hip_bfloat16lLi256ELb1EvE4sortIPKS5_PS5_PKlPlEEvT_T0_T1_T2_jjjjRNS6_12storage_typeE.num_named_barrier, 0
	.set .L_ZN7rocprim17ROCPRIM_400000_NS6detail26segmented_warp_sort_helperINS1_20WarpSortHelperConfigILj8ELj4ELj256EEE12hip_bfloat16lLi256ELb1EvE4sortIPKS5_PS5_PKlPlEEvT_T0_T1_T2_jjjjRNS6_12storage_typeE.private_seg_size, 0
	.set .L_ZN7rocprim17ROCPRIM_400000_NS6detail26segmented_warp_sort_helperINS1_20WarpSortHelperConfigILj8ELj4ELj256EEE12hip_bfloat16lLi256ELb1EvE4sortIPKS5_PS5_PKlPlEEvT_T0_T1_T2_jjjjRNS6_12storage_typeE.uses_vcc, 1
	.set .L_ZN7rocprim17ROCPRIM_400000_NS6detail26segmented_warp_sort_helperINS1_20WarpSortHelperConfigILj8ELj4ELj256EEE12hip_bfloat16lLi256ELb1EvE4sortIPKS5_PS5_PKlPlEEvT_T0_T1_T2_jjjjRNS6_12storage_typeE.uses_flat_scratch, 0
	.set .L_ZN7rocprim17ROCPRIM_400000_NS6detail26segmented_warp_sort_helperINS1_20WarpSortHelperConfigILj8ELj4ELj256EEE12hip_bfloat16lLi256ELb1EvE4sortIPKS5_PS5_PKlPlEEvT_T0_T1_T2_jjjjRNS6_12storage_typeE.has_dyn_sized_stack, 0
	.set .L_ZN7rocprim17ROCPRIM_400000_NS6detail26segmented_warp_sort_helperINS1_20WarpSortHelperConfigILj8ELj4ELj256EEE12hip_bfloat16lLi256ELb1EvE4sortIPKS5_PS5_PKlPlEEvT_T0_T1_T2_jjjjRNS6_12storage_typeE.has_recursion, 0
	.set .L_ZN7rocprim17ROCPRIM_400000_NS6detail26segmented_warp_sort_helperINS1_20WarpSortHelperConfigILj8ELj4ELj256EEE12hip_bfloat16lLi256ELb1EvE4sortIPKS5_PS5_PKlPlEEvT_T0_T1_T2_jjjjRNS6_12storage_typeE.has_indirect_call, 0
	.section	.AMDGPU.csdata,"",@progbits
; Function info:
; codeLenInByte = 9892
; TotalNumSgprs: 36
; NumVgprs: 65
; ScratchSize: 0
; MemoryBound: 1
	.section	.text._ZN7rocprim17ROCPRIM_400000_NS6detail17trampoline_kernelINS0_14default_configENS1_36segmented_radix_sort_config_selectorI12hip_bfloat16lEEZNS1_25segmented_radix_sort_implIS3_Lb1EPKS5_PS5_PKlPlN2at6native12_GLOBAL__N_18offset_tEEE10hipError_tPvRmT1_PNSt15iterator_traitsISL_E10value_typeET2_T3_PNSM_ISR_E10value_typeET4_jRbjT5_SX_jjP12ihipStream_tbEUlT_E1_NS1_11comp_targetILNS1_3genE2ELNS1_11target_archE906ELNS1_3gpuE6ELNS1_3repE0EEENS1_59segmented_radix_sort_warp_sort_small_config_static_selectorELNS0_4arch9wavefront6targetE1EEEvSL_,"axG",@progbits,_ZN7rocprim17ROCPRIM_400000_NS6detail17trampoline_kernelINS0_14default_configENS1_36segmented_radix_sort_config_selectorI12hip_bfloat16lEEZNS1_25segmented_radix_sort_implIS3_Lb1EPKS5_PS5_PKlPlN2at6native12_GLOBAL__N_18offset_tEEE10hipError_tPvRmT1_PNSt15iterator_traitsISL_E10value_typeET2_T3_PNSM_ISR_E10value_typeET4_jRbjT5_SX_jjP12ihipStream_tbEUlT_E1_NS1_11comp_targetILNS1_3genE2ELNS1_11target_archE906ELNS1_3gpuE6ELNS1_3repE0EEENS1_59segmented_radix_sort_warp_sort_small_config_static_selectorELNS0_4arch9wavefront6targetE1EEEvSL_,comdat
	.globl	_ZN7rocprim17ROCPRIM_400000_NS6detail17trampoline_kernelINS0_14default_configENS1_36segmented_radix_sort_config_selectorI12hip_bfloat16lEEZNS1_25segmented_radix_sort_implIS3_Lb1EPKS5_PS5_PKlPlN2at6native12_GLOBAL__N_18offset_tEEE10hipError_tPvRmT1_PNSt15iterator_traitsISL_E10value_typeET2_T3_PNSM_ISR_E10value_typeET4_jRbjT5_SX_jjP12ihipStream_tbEUlT_E1_NS1_11comp_targetILNS1_3genE2ELNS1_11target_archE906ELNS1_3gpuE6ELNS1_3repE0EEENS1_59segmented_radix_sort_warp_sort_small_config_static_selectorELNS0_4arch9wavefront6targetE1EEEvSL_ ; -- Begin function _ZN7rocprim17ROCPRIM_400000_NS6detail17trampoline_kernelINS0_14default_configENS1_36segmented_radix_sort_config_selectorI12hip_bfloat16lEEZNS1_25segmented_radix_sort_implIS3_Lb1EPKS5_PS5_PKlPlN2at6native12_GLOBAL__N_18offset_tEEE10hipError_tPvRmT1_PNSt15iterator_traitsISL_E10value_typeET2_T3_PNSM_ISR_E10value_typeET4_jRbjT5_SX_jjP12ihipStream_tbEUlT_E1_NS1_11comp_targetILNS1_3genE2ELNS1_11target_archE906ELNS1_3gpuE6ELNS1_3repE0EEENS1_59segmented_radix_sort_warp_sort_small_config_static_selectorELNS0_4arch9wavefront6targetE1EEEvSL_
	.p2align	8
	.type	_ZN7rocprim17ROCPRIM_400000_NS6detail17trampoline_kernelINS0_14default_configENS1_36segmented_radix_sort_config_selectorI12hip_bfloat16lEEZNS1_25segmented_radix_sort_implIS3_Lb1EPKS5_PS5_PKlPlN2at6native12_GLOBAL__N_18offset_tEEE10hipError_tPvRmT1_PNSt15iterator_traitsISL_E10value_typeET2_T3_PNSM_ISR_E10value_typeET4_jRbjT5_SX_jjP12ihipStream_tbEUlT_E1_NS1_11comp_targetILNS1_3genE2ELNS1_11target_archE906ELNS1_3gpuE6ELNS1_3repE0EEENS1_59segmented_radix_sort_warp_sort_small_config_static_selectorELNS0_4arch9wavefront6targetE1EEEvSL_,@function
_ZN7rocprim17ROCPRIM_400000_NS6detail17trampoline_kernelINS0_14default_configENS1_36segmented_radix_sort_config_selectorI12hip_bfloat16lEEZNS1_25segmented_radix_sort_implIS3_Lb1EPKS5_PS5_PKlPlN2at6native12_GLOBAL__N_18offset_tEEE10hipError_tPvRmT1_PNSt15iterator_traitsISL_E10value_typeET2_T3_PNSM_ISR_E10value_typeET4_jRbjT5_SX_jjP12ihipStream_tbEUlT_E1_NS1_11comp_targetILNS1_3genE2ELNS1_11target_archE906ELNS1_3gpuE6ELNS1_3repE0EEENS1_59segmented_radix_sort_warp_sort_small_config_static_selectorELNS0_4arch9wavefront6targetE1EEEvSL_: ; @_ZN7rocprim17ROCPRIM_400000_NS6detail17trampoline_kernelINS0_14default_configENS1_36segmented_radix_sort_config_selectorI12hip_bfloat16lEEZNS1_25segmented_radix_sort_implIS3_Lb1EPKS5_PS5_PKlPlN2at6native12_GLOBAL__N_18offset_tEEE10hipError_tPvRmT1_PNSt15iterator_traitsISL_E10value_typeET2_T3_PNSM_ISR_E10value_typeET4_jRbjT5_SX_jjP12ihipStream_tbEUlT_E1_NS1_11comp_targetILNS1_3genE2ELNS1_11target_archE906ELNS1_3gpuE6ELNS1_3repE0EEENS1_59segmented_radix_sort_warp_sort_small_config_static_selectorELNS0_4arch9wavefront6targetE1EEEvSL_
; %bb.0:
	s_add_u32 s0, s0, s8
	s_load_dword s8, s[4:5], 0x64
	s_addc_u32 s1, s1, 0
	s_mov_b32 s32, 0
	s_waitcnt lgkmcnt(0)
	s_lshr_b32 s9, s8, 16
	s_and_b32 s8, s8, 0xffff
	v_mad_u32_u24 v3, v2, s9, v1
	v_mad_u64_u32 v[3:4], s[8:9], v3, s8, v[0:1]
	s_load_dword s8, s[4:5], 0x34
	v_lshrrev_b32_e32 v3, 3, v3
	v_lshl_add_u32 v3, s6, 5, v3
	s_waitcnt lgkmcnt(0)
	v_cmp_gt_u32_e32 vcc, s8, v3
	s_and_saveexec_b64 s[8:9], vcc
	s_cbranch_execz .LBB1971_6
; %bb.1:
	s_load_dwordx2 s[12:13], s[4:5], 0x38
	s_load_dwordx4 s[8:11], s[4:5], 0x40
	v_mov_b32_e32 v4, 0
	v_lshlrev_b64 v[3:4], 2, v[3:4]
	s_waitcnt lgkmcnt(0)
	v_mov_b32_e32 v5, s13
	v_sub_co_u32_e32 v3, vcc, s12, v3
	v_subb_co_u32_e32 v4, vcc, v5, v4, vcc
	global_load_dword v3, v[3:4], off offset:-4
	s_waitcnt vmcnt(0)
	v_add_u32_e32 v4, s9, v3
	v_add_u32_e32 v3, s11, v3
	v_mul_lo_u32 v40, v4, s8
	v_mul_lo_u32 v41, v3, s10
	v_cmp_gt_u32_e32 vcc, v41, v40
	s_and_b64 exec, exec, vcc
	s_cbranch_execz .LBB1971_6
; %bb.2:
	s_load_dword s10, s[4:5], 0x30
	s_load_dwordx4 s[44:47], s[4:5], 0x20
	s_load_dwordx8 s[36:43], s[4:5], 0x0
	s_mov_b64 s[8:9], -1
	v_lshlrev_b32_e32 v43, 20, v2
	s_waitcnt lgkmcnt(0)
	s_bitcmp0_b32 s10, 0
	v_lshlrev_b32_e32 v44, 10, v1
	s_cbranch_scc0 .LBB1971_4
; %bb.3:
	s_add_u32 s8, s4, 0x58
	s_mov_b64 s[10:11], src_shared_base
	s_addc_u32 s9, s5, 0
	s_getpc_b64 s[14:15]
	s_add_u32 s14, s14, _ZN7rocprim17ROCPRIM_400000_NS6detail26segmented_warp_sort_helperINS1_20WarpSortHelperConfigILj8ELj4ELj256EEE12hip_bfloat16lLi256ELb1EvE4sortIPKS5_PS5_PKlPlEEvT_T0_T1_T2_jjjjRNS6_12storage_typeE@rel32@lo+4
	s_addc_u32 s15, s15, _ZN7rocprim17ROCPRIM_400000_NS6detail26segmented_warp_sort_helperINS1_20WarpSortHelperConfigILj8ELj4ELj256EEE12hip_bfloat16lLi256ELb1EvE4sortIPKS5_PS5_PKlPlEEvT_T0_T1_T2_jjjjRNS6_12storage_typeE@rel32@hi+12
	v_or3_b32 v31, v0, v44, v43
	s_mov_b32 s12, s6
	s_mov_b32 s13, s7
	v_mov_b32_e32 v42, v0
	v_mov_b32_e32 v0, s36
	v_mov_b32_e32 v1, s37
	v_mov_b32_e32 v2, s38
	v_mov_b32_e32 v3, s39
	v_mov_b32_e32 v4, s42
	v_mov_b32_e32 v5, s43
	v_mov_b32_e32 v6, s44
	v_mov_b32_e32 v7, s45
	v_mov_b32_e32 v8, v40
	v_mov_b32_e32 v9, v41
	v_mov_b32_e32 v10, 0
	v_mov_b32_e32 v11, s11
	s_mov_b64 s[26:27], s[4:5]
	s_mov_b32 s29, s7
	s_mov_b32 s28, s6
	s_swappc_b64 s[30:31], s[14:15]
	v_mov_b32_e32 v0, v42
	s_mov_b32 s6, s28
	s_mov_b32 s7, s29
	s_mov_b64 s[4:5], s[26:27]
	s_mov_b64 s[8:9], 0
.LBB1971_4:
	s_andn2_b64 vcc, exec, s[8:9]
	s_cbranch_vccnz .LBB1971_6
; %bb.5:
	s_add_u32 s8, s4, 0x58
	s_mov_b64 s[10:11], src_shared_base
	s_addc_u32 s9, s5, 0
	s_getpc_b64 s[4:5]
	s_add_u32 s4, s4, _ZN7rocprim17ROCPRIM_400000_NS6detail26segmented_warp_sort_helperINS1_20WarpSortHelperConfigILj8ELj4ELj256EEE12hip_bfloat16lLi256ELb1EvE4sortIPKS5_PS5_PKlPlEEvT_T0_T1_T2_jjjjRNS6_12storage_typeE@rel32@lo+4
	s_addc_u32 s5, s5, _ZN7rocprim17ROCPRIM_400000_NS6detail26segmented_warp_sort_helperINS1_20WarpSortHelperConfigILj8ELj4ELj256EEE12hip_bfloat16lLi256ELb1EvE4sortIPKS5_PS5_PKlPlEEvT_T0_T1_T2_jjjjRNS6_12storage_typeE@rel32@hi+12
	v_or3_b32 v31, v0, v44, v43
	s_mov_b32 s12, s6
	s_mov_b32 s13, s7
	v_mov_b32_e32 v0, s36
	v_mov_b32_e32 v1, s37
	;; [unrolled: 1-line block ×12, first 2 shown]
	s_swappc_b64 s[30:31], s[4:5]
.LBB1971_6:
	s_endpgm
	.section	.rodata,"a",@progbits
	.p2align	6, 0x0
	.amdhsa_kernel _ZN7rocprim17ROCPRIM_400000_NS6detail17trampoline_kernelINS0_14default_configENS1_36segmented_radix_sort_config_selectorI12hip_bfloat16lEEZNS1_25segmented_radix_sort_implIS3_Lb1EPKS5_PS5_PKlPlN2at6native12_GLOBAL__N_18offset_tEEE10hipError_tPvRmT1_PNSt15iterator_traitsISL_E10value_typeET2_T3_PNSM_ISR_E10value_typeET4_jRbjT5_SX_jjP12ihipStream_tbEUlT_E1_NS1_11comp_targetILNS1_3genE2ELNS1_11target_archE906ELNS1_3gpuE6ELNS1_3repE0EEENS1_59segmented_radix_sort_warp_sort_small_config_static_selectorELNS0_4arch9wavefront6targetE1EEEvSL_
		.amdhsa_group_segment_fixed_size 10240
		.amdhsa_private_segment_fixed_size 0
		.amdhsa_kernarg_size 344
		.amdhsa_user_sgpr_count 6
		.amdhsa_user_sgpr_private_segment_buffer 1
		.amdhsa_user_sgpr_dispatch_ptr 0
		.amdhsa_user_sgpr_queue_ptr 0
		.amdhsa_user_sgpr_kernarg_segment_ptr 1
		.amdhsa_user_sgpr_dispatch_id 0
		.amdhsa_user_sgpr_flat_scratch_init 0
		.amdhsa_user_sgpr_private_segment_size 0
		.amdhsa_uses_dynamic_stack 0
		.amdhsa_system_sgpr_private_segment_wavefront_offset 0
		.amdhsa_system_sgpr_workgroup_id_x 1
		.amdhsa_system_sgpr_workgroup_id_y 1
		.amdhsa_system_sgpr_workgroup_id_z 0
		.amdhsa_system_sgpr_workgroup_info 0
		.amdhsa_system_vgpr_workitem_id 2
		.amdhsa_next_free_vgpr 65
		.amdhsa_next_free_sgpr 93
		.amdhsa_reserve_vcc 1
		.amdhsa_reserve_flat_scratch 0
		.amdhsa_float_round_mode_32 0
		.amdhsa_float_round_mode_16_64 0
		.amdhsa_float_denorm_mode_32 3
		.amdhsa_float_denorm_mode_16_64 3
		.amdhsa_dx10_clamp 1
		.amdhsa_ieee_mode 1
		.amdhsa_fp16_overflow 0
		.amdhsa_exception_fp_ieee_invalid_op 0
		.amdhsa_exception_fp_denorm_src 0
		.amdhsa_exception_fp_ieee_div_zero 0
		.amdhsa_exception_fp_ieee_overflow 0
		.amdhsa_exception_fp_ieee_underflow 0
		.amdhsa_exception_fp_ieee_inexact 0
		.amdhsa_exception_int_div_zero 0
	.end_amdhsa_kernel
	.section	.text._ZN7rocprim17ROCPRIM_400000_NS6detail17trampoline_kernelINS0_14default_configENS1_36segmented_radix_sort_config_selectorI12hip_bfloat16lEEZNS1_25segmented_radix_sort_implIS3_Lb1EPKS5_PS5_PKlPlN2at6native12_GLOBAL__N_18offset_tEEE10hipError_tPvRmT1_PNSt15iterator_traitsISL_E10value_typeET2_T3_PNSM_ISR_E10value_typeET4_jRbjT5_SX_jjP12ihipStream_tbEUlT_E1_NS1_11comp_targetILNS1_3genE2ELNS1_11target_archE906ELNS1_3gpuE6ELNS1_3repE0EEENS1_59segmented_radix_sort_warp_sort_small_config_static_selectorELNS0_4arch9wavefront6targetE1EEEvSL_,"axG",@progbits,_ZN7rocprim17ROCPRIM_400000_NS6detail17trampoline_kernelINS0_14default_configENS1_36segmented_radix_sort_config_selectorI12hip_bfloat16lEEZNS1_25segmented_radix_sort_implIS3_Lb1EPKS5_PS5_PKlPlN2at6native12_GLOBAL__N_18offset_tEEE10hipError_tPvRmT1_PNSt15iterator_traitsISL_E10value_typeET2_T3_PNSM_ISR_E10value_typeET4_jRbjT5_SX_jjP12ihipStream_tbEUlT_E1_NS1_11comp_targetILNS1_3genE2ELNS1_11target_archE906ELNS1_3gpuE6ELNS1_3repE0EEENS1_59segmented_radix_sort_warp_sort_small_config_static_selectorELNS0_4arch9wavefront6targetE1EEEvSL_,comdat
.Lfunc_end1971:
	.size	_ZN7rocprim17ROCPRIM_400000_NS6detail17trampoline_kernelINS0_14default_configENS1_36segmented_radix_sort_config_selectorI12hip_bfloat16lEEZNS1_25segmented_radix_sort_implIS3_Lb1EPKS5_PS5_PKlPlN2at6native12_GLOBAL__N_18offset_tEEE10hipError_tPvRmT1_PNSt15iterator_traitsISL_E10value_typeET2_T3_PNSM_ISR_E10value_typeET4_jRbjT5_SX_jjP12ihipStream_tbEUlT_E1_NS1_11comp_targetILNS1_3genE2ELNS1_11target_archE906ELNS1_3gpuE6ELNS1_3repE0EEENS1_59segmented_radix_sort_warp_sort_small_config_static_selectorELNS0_4arch9wavefront6targetE1EEEvSL_, .Lfunc_end1971-_ZN7rocprim17ROCPRIM_400000_NS6detail17trampoline_kernelINS0_14default_configENS1_36segmented_radix_sort_config_selectorI12hip_bfloat16lEEZNS1_25segmented_radix_sort_implIS3_Lb1EPKS5_PS5_PKlPlN2at6native12_GLOBAL__N_18offset_tEEE10hipError_tPvRmT1_PNSt15iterator_traitsISL_E10value_typeET2_T3_PNSM_ISR_E10value_typeET4_jRbjT5_SX_jjP12ihipStream_tbEUlT_E1_NS1_11comp_targetILNS1_3genE2ELNS1_11target_archE906ELNS1_3gpuE6ELNS1_3repE0EEENS1_59segmented_radix_sort_warp_sort_small_config_static_selectorELNS0_4arch9wavefront6targetE1EEEvSL_
                                        ; -- End function
	.set _ZN7rocprim17ROCPRIM_400000_NS6detail17trampoline_kernelINS0_14default_configENS1_36segmented_radix_sort_config_selectorI12hip_bfloat16lEEZNS1_25segmented_radix_sort_implIS3_Lb1EPKS5_PS5_PKlPlN2at6native12_GLOBAL__N_18offset_tEEE10hipError_tPvRmT1_PNSt15iterator_traitsISL_E10value_typeET2_T3_PNSM_ISR_E10value_typeET4_jRbjT5_SX_jjP12ihipStream_tbEUlT_E1_NS1_11comp_targetILNS1_3genE2ELNS1_11target_archE906ELNS1_3gpuE6ELNS1_3repE0EEENS1_59segmented_radix_sort_warp_sort_small_config_static_selectorELNS0_4arch9wavefront6targetE1EEEvSL_.num_vgpr, max(45, .L_ZN7rocprim17ROCPRIM_400000_NS6detail26segmented_warp_sort_helperINS1_20WarpSortHelperConfigILj8ELj4ELj256EEE12hip_bfloat16lLi256ELb1EvE4sortIPKS5_PS5_PKlPlEEvT_T0_T1_T2_jjjjRNS6_12storage_typeE.num_vgpr)
	.set _ZN7rocprim17ROCPRIM_400000_NS6detail17trampoline_kernelINS0_14default_configENS1_36segmented_radix_sort_config_selectorI12hip_bfloat16lEEZNS1_25segmented_radix_sort_implIS3_Lb1EPKS5_PS5_PKlPlN2at6native12_GLOBAL__N_18offset_tEEE10hipError_tPvRmT1_PNSt15iterator_traitsISL_E10value_typeET2_T3_PNSM_ISR_E10value_typeET4_jRbjT5_SX_jjP12ihipStream_tbEUlT_E1_NS1_11comp_targetILNS1_3genE2ELNS1_11target_archE906ELNS1_3gpuE6ELNS1_3repE0EEENS1_59segmented_radix_sort_warp_sort_small_config_static_selectorELNS0_4arch9wavefront6targetE1EEEvSL_.num_agpr, max(0, .L_ZN7rocprim17ROCPRIM_400000_NS6detail26segmented_warp_sort_helperINS1_20WarpSortHelperConfigILj8ELj4ELj256EEE12hip_bfloat16lLi256ELb1EvE4sortIPKS5_PS5_PKlPlEEvT_T0_T1_T2_jjjjRNS6_12storage_typeE.num_agpr)
	.set _ZN7rocprim17ROCPRIM_400000_NS6detail17trampoline_kernelINS0_14default_configENS1_36segmented_radix_sort_config_selectorI12hip_bfloat16lEEZNS1_25segmented_radix_sort_implIS3_Lb1EPKS5_PS5_PKlPlN2at6native12_GLOBAL__N_18offset_tEEE10hipError_tPvRmT1_PNSt15iterator_traitsISL_E10value_typeET2_T3_PNSM_ISR_E10value_typeET4_jRbjT5_SX_jjP12ihipStream_tbEUlT_E1_NS1_11comp_targetILNS1_3genE2ELNS1_11target_archE906ELNS1_3gpuE6ELNS1_3repE0EEENS1_59segmented_radix_sort_warp_sort_small_config_static_selectorELNS0_4arch9wavefront6targetE1EEEvSL_.numbered_sgpr, max(48, .L_ZN7rocprim17ROCPRIM_400000_NS6detail26segmented_warp_sort_helperINS1_20WarpSortHelperConfigILj8ELj4ELj256EEE12hip_bfloat16lLi256ELb1EvE4sortIPKS5_PS5_PKlPlEEvT_T0_T1_T2_jjjjRNS6_12storage_typeE.numbered_sgpr)
	.set _ZN7rocprim17ROCPRIM_400000_NS6detail17trampoline_kernelINS0_14default_configENS1_36segmented_radix_sort_config_selectorI12hip_bfloat16lEEZNS1_25segmented_radix_sort_implIS3_Lb1EPKS5_PS5_PKlPlN2at6native12_GLOBAL__N_18offset_tEEE10hipError_tPvRmT1_PNSt15iterator_traitsISL_E10value_typeET2_T3_PNSM_ISR_E10value_typeET4_jRbjT5_SX_jjP12ihipStream_tbEUlT_E1_NS1_11comp_targetILNS1_3genE2ELNS1_11target_archE906ELNS1_3gpuE6ELNS1_3repE0EEENS1_59segmented_radix_sort_warp_sort_small_config_static_selectorELNS0_4arch9wavefront6targetE1EEEvSL_.num_named_barrier, max(0, .L_ZN7rocprim17ROCPRIM_400000_NS6detail26segmented_warp_sort_helperINS1_20WarpSortHelperConfigILj8ELj4ELj256EEE12hip_bfloat16lLi256ELb1EvE4sortIPKS5_PS5_PKlPlEEvT_T0_T1_T2_jjjjRNS6_12storage_typeE.num_named_barrier)
	.set _ZN7rocprim17ROCPRIM_400000_NS6detail17trampoline_kernelINS0_14default_configENS1_36segmented_radix_sort_config_selectorI12hip_bfloat16lEEZNS1_25segmented_radix_sort_implIS3_Lb1EPKS5_PS5_PKlPlN2at6native12_GLOBAL__N_18offset_tEEE10hipError_tPvRmT1_PNSt15iterator_traitsISL_E10value_typeET2_T3_PNSM_ISR_E10value_typeET4_jRbjT5_SX_jjP12ihipStream_tbEUlT_E1_NS1_11comp_targetILNS1_3genE2ELNS1_11target_archE906ELNS1_3gpuE6ELNS1_3repE0EEENS1_59segmented_radix_sort_warp_sort_small_config_static_selectorELNS0_4arch9wavefront6targetE1EEEvSL_.private_seg_size, 0+max(.L_ZN7rocprim17ROCPRIM_400000_NS6detail26segmented_warp_sort_helperINS1_20WarpSortHelperConfigILj8ELj4ELj256EEE12hip_bfloat16lLi256ELb1EvE4sortIPKS5_PS5_PKlPlEEvT_T0_T1_T2_jjjjRNS6_12storage_typeE.private_seg_size)
	.set _ZN7rocprim17ROCPRIM_400000_NS6detail17trampoline_kernelINS0_14default_configENS1_36segmented_radix_sort_config_selectorI12hip_bfloat16lEEZNS1_25segmented_radix_sort_implIS3_Lb1EPKS5_PS5_PKlPlN2at6native12_GLOBAL__N_18offset_tEEE10hipError_tPvRmT1_PNSt15iterator_traitsISL_E10value_typeET2_T3_PNSM_ISR_E10value_typeET4_jRbjT5_SX_jjP12ihipStream_tbEUlT_E1_NS1_11comp_targetILNS1_3genE2ELNS1_11target_archE906ELNS1_3gpuE6ELNS1_3repE0EEENS1_59segmented_radix_sort_warp_sort_small_config_static_selectorELNS0_4arch9wavefront6targetE1EEEvSL_.uses_vcc, or(1, .L_ZN7rocprim17ROCPRIM_400000_NS6detail26segmented_warp_sort_helperINS1_20WarpSortHelperConfigILj8ELj4ELj256EEE12hip_bfloat16lLi256ELb1EvE4sortIPKS5_PS5_PKlPlEEvT_T0_T1_T2_jjjjRNS6_12storage_typeE.uses_vcc)
	.set _ZN7rocprim17ROCPRIM_400000_NS6detail17trampoline_kernelINS0_14default_configENS1_36segmented_radix_sort_config_selectorI12hip_bfloat16lEEZNS1_25segmented_radix_sort_implIS3_Lb1EPKS5_PS5_PKlPlN2at6native12_GLOBAL__N_18offset_tEEE10hipError_tPvRmT1_PNSt15iterator_traitsISL_E10value_typeET2_T3_PNSM_ISR_E10value_typeET4_jRbjT5_SX_jjP12ihipStream_tbEUlT_E1_NS1_11comp_targetILNS1_3genE2ELNS1_11target_archE906ELNS1_3gpuE6ELNS1_3repE0EEENS1_59segmented_radix_sort_warp_sort_small_config_static_selectorELNS0_4arch9wavefront6targetE1EEEvSL_.uses_flat_scratch, or(0, .L_ZN7rocprim17ROCPRIM_400000_NS6detail26segmented_warp_sort_helperINS1_20WarpSortHelperConfigILj8ELj4ELj256EEE12hip_bfloat16lLi256ELb1EvE4sortIPKS5_PS5_PKlPlEEvT_T0_T1_T2_jjjjRNS6_12storage_typeE.uses_flat_scratch)
	.set _ZN7rocprim17ROCPRIM_400000_NS6detail17trampoline_kernelINS0_14default_configENS1_36segmented_radix_sort_config_selectorI12hip_bfloat16lEEZNS1_25segmented_radix_sort_implIS3_Lb1EPKS5_PS5_PKlPlN2at6native12_GLOBAL__N_18offset_tEEE10hipError_tPvRmT1_PNSt15iterator_traitsISL_E10value_typeET2_T3_PNSM_ISR_E10value_typeET4_jRbjT5_SX_jjP12ihipStream_tbEUlT_E1_NS1_11comp_targetILNS1_3genE2ELNS1_11target_archE906ELNS1_3gpuE6ELNS1_3repE0EEENS1_59segmented_radix_sort_warp_sort_small_config_static_selectorELNS0_4arch9wavefront6targetE1EEEvSL_.has_dyn_sized_stack, or(0, .L_ZN7rocprim17ROCPRIM_400000_NS6detail26segmented_warp_sort_helperINS1_20WarpSortHelperConfigILj8ELj4ELj256EEE12hip_bfloat16lLi256ELb1EvE4sortIPKS5_PS5_PKlPlEEvT_T0_T1_T2_jjjjRNS6_12storage_typeE.has_dyn_sized_stack)
	.set _ZN7rocprim17ROCPRIM_400000_NS6detail17trampoline_kernelINS0_14default_configENS1_36segmented_radix_sort_config_selectorI12hip_bfloat16lEEZNS1_25segmented_radix_sort_implIS3_Lb1EPKS5_PS5_PKlPlN2at6native12_GLOBAL__N_18offset_tEEE10hipError_tPvRmT1_PNSt15iterator_traitsISL_E10value_typeET2_T3_PNSM_ISR_E10value_typeET4_jRbjT5_SX_jjP12ihipStream_tbEUlT_E1_NS1_11comp_targetILNS1_3genE2ELNS1_11target_archE906ELNS1_3gpuE6ELNS1_3repE0EEENS1_59segmented_radix_sort_warp_sort_small_config_static_selectorELNS0_4arch9wavefront6targetE1EEEvSL_.has_recursion, or(0, .L_ZN7rocprim17ROCPRIM_400000_NS6detail26segmented_warp_sort_helperINS1_20WarpSortHelperConfigILj8ELj4ELj256EEE12hip_bfloat16lLi256ELb1EvE4sortIPKS5_PS5_PKlPlEEvT_T0_T1_T2_jjjjRNS6_12storage_typeE.has_recursion)
	.set _ZN7rocprim17ROCPRIM_400000_NS6detail17trampoline_kernelINS0_14default_configENS1_36segmented_radix_sort_config_selectorI12hip_bfloat16lEEZNS1_25segmented_radix_sort_implIS3_Lb1EPKS5_PS5_PKlPlN2at6native12_GLOBAL__N_18offset_tEEE10hipError_tPvRmT1_PNSt15iterator_traitsISL_E10value_typeET2_T3_PNSM_ISR_E10value_typeET4_jRbjT5_SX_jjP12ihipStream_tbEUlT_E1_NS1_11comp_targetILNS1_3genE2ELNS1_11target_archE906ELNS1_3gpuE6ELNS1_3repE0EEENS1_59segmented_radix_sort_warp_sort_small_config_static_selectorELNS0_4arch9wavefront6targetE1EEEvSL_.has_indirect_call, or(0, .L_ZN7rocprim17ROCPRIM_400000_NS6detail26segmented_warp_sort_helperINS1_20WarpSortHelperConfigILj8ELj4ELj256EEE12hip_bfloat16lLi256ELb1EvE4sortIPKS5_PS5_PKlPlEEvT_T0_T1_T2_jjjjRNS6_12storage_typeE.has_indirect_call)
	.section	.AMDGPU.csdata,"",@progbits
; Kernel info:
; codeLenInByte = 484
; TotalNumSgprs: 52
; NumVgprs: 65
; ScratchSize: 0
; MemoryBound: 0
; FloatMode: 240
; IeeeMode: 1
; LDSByteSize: 10240 bytes/workgroup (compile time only)
; SGPRBlocks: 12
; VGPRBlocks: 16
; NumSGPRsForWavesPerEU: 97
; NumVGPRsForWavesPerEU: 65
; Occupancy: 3
; WaveLimiterHint : 0
; COMPUTE_PGM_RSRC2:SCRATCH_EN: 0
; COMPUTE_PGM_RSRC2:USER_SGPR: 6
; COMPUTE_PGM_RSRC2:TRAP_HANDLER: 0
; COMPUTE_PGM_RSRC2:TGID_X_EN: 1
; COMPUTE_PGM_RSRC2:TGID_Y_EN: 1
; COMPUTE_PGM_RSRC2:TGID_Z_EN: 0
; COMPUTE_PGM_RSRC2:TIDIG_COMP_CNT: 2
	.section	.text._ZN7rocprim17ROCPRIM_400000_NS6detail17trampoline_kernelINS0_14default_configENS1_36segmented_radix_sort_config_selectorI12hip_bfloat16lEEZNS1_25segmented_radix_sort_implIS3_Lb1EPKS5_PS5_PKlPlN2at6native12_GLOBAL__N_18offset_tEEE10hipError_tPvRmT1_PNSt15iterator_traitsISL_E10value_typeET2_T3_PNSM_ISR_E10value_typeET4_jRbjT5_SX_jjP12ihipStream_tbEUlT_E1_NS1_11comp_targetILNS1_3genE10ELNS1_11target_archE1201ELNS1_3gpuE5ELNS1_3repE0EEENS1_59segmented_radix_sort_warp_sort_small_config_static_selectorELNS0_4arch9wavefront6targetE1EEEvSL_,"axG",@progbits,_ZN7rocprim17ROCPRIM_400000_NS6detail17trampoline_kernelINS0_14default_configENS1_36segmented_radix_sort_config_selectorI12hip_bfloat16lEEZNS1_25segmented_radix_sort_implIS3_Lb1EPKS5_PS5_PKlPlN2at6native12_GLOBAL__N_18offset_tEEE10hipError_tPvRmT1_PNSt15iterator_traitsISL_E10value_typeET2_T3_PNSM_ISR_E10value_typeET4_jRbjT5_SX_jjP12ihipStream_tbEUlT_E1_NS1_11comp_targetILNS1_3genE10ELNS1_11target_archE1201ELNS1_3gpuE5ELNS1_3repE0EEENS1_59segmented_radix_sort_warp_sort_small_config_static_selectorELNS0_4arch9wavefront6targetE1EEEvSL_,comdat
	.globl	_ZN7rocprim17ROCPRIM_400000_NS6detail17trampoline_kernelINS0_14default_configENS1_36segmented_radix_sort_config_selectorI12hip_bfloat16lEEZNS1_25segmented_radix_sort_implIS3_Lb1EPKS5_PS5_PKlPlN2at6native12_GLOBAL__N_18offset_tEEE10hipError_tPvRmT1_PNSt15iterator_traitsISL_E10value_typeET2_T3_PNSM_ISR_E10value_typeET4_jRbjT5_SX_jjP12ihipStream_tbEUlT_E1_NS1_11comp_targetILNS1_3genE10ELNS1_11target_archE1201ELNS1_3gpuE5ELNS1_3repE0EEENS1_59segmented_radix_sort_warp_sort_small_config_static_selectorELNS0_4arch9wavefront6targetE1EEEvSL_ ; -- Begin function _ZN7rocprim17ROCPRIM_400000_NS6detail17trampoline_kernelINS0_14default_configENS1_36segmented_radix_sort_config_selectorI12hip_bfloat16lEEZNS1_25segmented_radix_sort_implIS3_Lb1EPKS5_PS5_PKlPlN2at6native12_GLOBAL__N_18offset_tEEE10hipError_tPvRmT1_PNSt15iterator_traitsISL_E10value_typeET2_T3_PNSM_ISR_E10value_typeET4_jRbjT5_SX_jjP12ihipStream_tbEUlT_E1_NS1_11comp_targetILNS1_3genE10ELNS1_11target_archE1201ELNS1_3gpuE5ELNS1_3repE0EEENS1_59segmented_radix_sort_warp_sort_small_config_static_selectorELNS0_4arch9wavefront6targetE1EEEvSL_
	.p2align	8
	.type	_ZN7rocprim17ROCPRIM_400000_NS6detail17trampoline_kernelINS0_14default_configENS1_36segmented_radix_sort_config_selectorI12hip_bfloat16lEEZNS1_25segmented_radix_sort_implIS3_Lb1EPKS5_PS5_PKlPlN2at6native12_GLOBAL__N_18offset_tEEE10hipError_tPvRmT1_PNSt15iterator_traitsISL_E10value_typeET2_T3_PNSM_ISR_E10value_typeET4_jRbjT5_SX_jjP12ihipStream_tbEUlT_E1_NS1_11comp_targetILNS1_3genE10ELNS1_11target_archE1201ELNS1_3gpuE5ELNS1_3repE0EEENS1_59segmented_radix_sort_warp_sort_small_config_static_selectorELNS0_4arch9wavefront6targetE1EEEvSL_,@function
_ZN7rocprim17ROCPRIM_400000_NS6detail17trampoline_kernelINS0_14default_configENS1_36segmented_radix_sort_config_selectorI12hip_bfloat16lEEZNS1_25segmented_radix_sort_implIS3_Lb1EPKS5_PS5_PKlPlN2at6native12_GLOBAL__N_18offset_tEEE10hipError_tPvRmT1_PNSt15iterator_traitsISL_E10value_typeET2_T3_PNSM_ISR_E10value_typeET4_jRbjT5_SX_jjP12ihipStream_tbEUlT_E1_NS1_11comp_targetILNS1_3genE10ELNS1_11target_archE1201ELNS1_3gpuE5ELNS1_3repE0EEENS1_59segmented_radix_sort_warp_sort_small_config_static_selectorELNS0_4arch9wavefront6targetE1EEEvSL_: ; @_ZN7rocprim17ROCPRIM_400000_NS6detail17trampoline_kernelINS0_14default_configENS1_36segmented_radix_sort_config_selectorI12hip_bfloat16lEEZNS1_25segmented_radix_sort_implIS3_Lb1EPKS5_PS5_PKlPlN2at6native12_GLOBAL__N_18offset_tEEE10hipError_tPvRmT1_PNSt15iterator_traitsISL_E10value_typeET2_T3_PNSM_ISR_E10value_typeET4_jRbjT5_SX_jjP12ihipStream_tbEUlT_E1_NS1_11comp_targetILNS1_3genE10ELNS1_11target_archE1201ELNS1_3gpuE5ELNS1_3repE0EEENS1_59segmented_radix_sort_warp_sort_small_config_static_selectorELNS0_4arch9wavefront6targetE1EEEvSL_
; %bb.0:
	.section	.rodata,"a",@progbits
	.p2align	6, 0x0
	.amdhsa_kernel _ZN7rocprim17ROCPRIM_400000_NS6detail17trampoline_kernelINS0_14default_configENS1_36segmented_radix_sort_config_selectorI12hip_bfloat16lEEZNS1_25segmented_radix_sort_implIS3_Lb1EPKS5_PS5_PKlPlN2at6native12_GLOBAL__N_18offset_tEEE10hipError_tPvRmT1_PNSt15iterator_traitsISL_E10value_typeET2_T3_PNSM_ISR_E10value_typeET4_jRbjT5_SX_jjP12ihipStream_tbEUlT_E1_NS1_11comp_targetILNS1_3genE10ELNS1_11target_archE1201ELNS1_3gpuE5ELNS1_3repE0EEENS1_59segmented_radix_sort_warp_sort_small_config_static_selectorELNS0_4arch9wavefront6targetE1EEEvSL_
		.amdhsa_group_segment_fixed_size 0
		.amdhsa_private_segment_fixed_size 0
		.amdhsa_kernarg_size 88
		.amdhsa_user_sgpr_count 6
		.amdhsa_user_sgpr_private_segment_buffer 1
		.amdhsa_user_sgpr_dispatch_ptr 0
		.amdhsa_user_sgpr_queue_ptr 0
		.amdhsa_user_sgpr_kernarg_segment_ptr 1
		.amdhsa_user_sgpr_dispatch_id 0
		.amdhsa_user_sgpr_flat_scratch_init 0
		.amdhsa_user_sgpr_private_segment_size 0
		.amdhsa_uses_dynamic_stack 0
		.amdhsa_system_sgpr_private_segment_wavefront_offset 0
		.amdhsa_system_sgpr_workgroup_id_x 1
		.amdhsa_system_sgpr_workgroup_id_y 0
		.amdhsa_system_sgpr_workgroup_id_z 0
		.amdhsa_system_sgpr_workgroup_info 0
		.amdhsa_system_vgpr_workitem_id 0
		.amdhsa_next_free_vgpr 1
		.amdhsa_next_free_sgpr 0
		.amdhsa_reserve_vcc 0
		.amdhsa_reserve_flat_scratch 0
		.amdhsa_float_round_mode_32 0
		.amdhsa_float_round_mode_16_64 0
		.amdhsa_float_denorm_mode_32 3
		.amdhsa_float_denorm_mode_16_64 3
		.amdhsa_dx10_clamp 1
		.amdhsa_ieee_mode 1
		.amdhsa_fp16_overflow 0
		.amdhsa_exception_fp_ieee_invalid_op 0
		.amdhsa_exception_fp_denorm_src 0
		.amdhsa_exception_fp_ieee_div_zero 0
		.amdhsa_exception_fp_ieee_overflow 0
		.amdhsa_exception_fp_ieee_underflow 0
		.amdhsa_exception_fp_ieee_inexact 0
		.amdhsa_exception_int_div_zero 0
	.end_amdhsa_kernel
	.section	.text._ZN7rocprim17ROCPRIM_400000_NS6detail17trampoline_kernelINS0_14default_configENS1_36segmented_radix_sort_config_selectorI12hip_bfloat16lEEZNS1_25segmented_radix_sort_implIS3_Lb1EPKS5_PS5_PKlPlN2at6native12_GLOBAL__N_18offset_tEEE10hipError_tPvRmT1_PNSt15iterator_traitsISL_E10value_typeET2_T3_PNSM_ISR_E10value_typeET4_jRbjT5_SX_jjP12ihipStream_tbEUlT_E1_NS1_11comp_targetILNS1_3genE10ELNS1_11target_archE1201ELNS1_3gpuE5ELNS1_3repE0EEENS1_59segmented_radix_sort_warp_sort_small_config_static_selectorELNS0_4arch9wavefront6targetE1EEEvSL_,"axG",@progbits,_ZN7rocprim17ROCPRIM_400000_NS6detail17trampoline_kernelINS0_14default_configENS1_36segmented_radix_sort_config_selectorI12hip_bfloat16lEEZNS1_25segmented_radix_sort_implIS3_Lb1EPKS5_PS5_PKlPlN2at6native12_GLOBAL__N_18offset_tEEE10hipError_tPvRmT1_PNSt15iterator_traitsISL_E10value_typeET2_T3_PNSM_ISR_E10value_typeET4_jRbjT5_SX_jjP12ihipStream_tbEUlT_E1_NS1_11comp_targetILNS1_3genE10ELNS1_11target_archE1201ELNS1_3gpuE5ELNS1_3repE0EEENS1_59segmented_radix_sort_warp_sort_small_config_static_selectorELNS0_4arch9wavefront6targetE1EEEvSL_,comdat
.Lfunc_end1972:
	.size	_ZN7rocprim17ROCPRIM_400000_NS6detail17trampoline_kernelINS0_14default_configENS1_36segmented_radix_sort_config_selectorI12hip_bfloat16lEEZNS1_25segmented_radix_sort_implIS3_Lb1EPKS5_PS5_PKlPlN2at6native12_GLOBAL__N_18offset_tEEE10hipError_tPvRmT1_PNSt15iterator_traitsISL_E10value_typeET2_T3_PNSM_ISR_E10value_typeET4_jRbjT5_SX_jjP12ihipStream_tbEUlT_E1_NS1_11comp_targetILNS1_3genE10ELNS1_11target_archE1201ELNS1_3gpuE5ELNS1_3repE0EEENS1_59segmented_radix_sort_warp_sort_small_config_static_selectorELNS0_4arch9wavefront6targetE1EEEvSL_, .Lfunc_end1972-_ZN7rocprim17ROCPRIM_400000_NS6detail17trampoline_kernelINS0_14default_configENS1_36segmented_radix_sort_config_selectorI12hip_bfloat16lEEZNS1_25segmented_radix_sort_implIS3_Lb1EPKS5_PS5_PKlPlN2at6native12_GLOBAL__N_18offset_tEEE10hipError_tPvRmT1_PNSt15iterator_traitsISL_E10value_typeET2_T3_PNSM_ISR_E10value_typeET4_jRbjT5_SX_jjP12ihipStream_tbEUlT_E1_NS1_11comp_targetILNS1_3genE10ELNS1_11target_archE1201ELNS1_3gpuE5ELNS1_3repE0EEENS1_59segmented_radix_sort_warp_sort_small_config_static_selectorELNS0_4arch9wavefront6targetE1EEEvSL_
                                        ; -- End function
	.set _ZN7rocprim17ROCPRIM_400000_NS6detail17trampoline_kernelINS0_14default_configENS1_36segmented_radix_sort_config_selectorI12hip_bfloat16lEEZNS1_25segmented_radix_sort_implIS3_Lb1EPKS5_PS5_PKlPlN2at6native12_GLOBAL__N_18offset_tEEE10hipError_tPvRmT1_PNSt15iterator_traitsISL_E10value_typeET2_T3_PNSM_ISR_E10value_typeET4_jRbjT5_SX_jjP12ihipStream_tbEUlT_E1_NS1_11comp_targetILNS1_3genE10ELNS1_11target_archE1201ELNS1_3gpuE5ELNS1_3repE0EEENS1_59segmented_radix_sort_warp_sort_small_config_static_selectorELNS0_4arch9wavefront6targetE1EEEvSL_.num_vgpr, 0
	.set _ZN7rocprim17ROCPRIM_400000_NS6detail17trampoline_kernelINS0_14default_configENS1_36segmented_radix_sort_config_selectorI12hip_bfloat16lEEZNS1_25segmented_radix_sort_implIS3_Lb1EPKS5_PS5_PKlPlN2at6native12_GLOBAL__N_18offset_tEEE10hipError_tPvRmT1_PNSt15iterator_traitsISL_E10value_typeET2_T3_PNSM_ISR_E10value_typeET4_jRbjT5_SX_jjP12ihipStream_tbEUlT_E1_NS1_11comp_targetILNS1_3genE10ELNS1_11target_archE1201ELNS1_3gpuE5ELNS1_3repE0EEENS1_59segmented_radix_sort_warp_sort_small_config_static_selectorELNS0_4arch9wavefront6targetE1EEEvSL_.num_agpr, 0
	.set _ZN7rocprim17ROCPRIM_400000_NS6detail17trampoline_kernelINS0_14default_configENS1_36segmented_radix_sort_config_selectorI12hip_bfloat16lEEZNS1_25segmented_radix_sort_implIS3_Lb1EPKS5_PS5_PKlPlN2at6native12_GLOBAL__N_18offset_tEEE10hipError_tPvRmT1_PNSt15iterator_traitsISL_E10value_typeET2_T3_PNSM_ISR_E10value_typeET4_jRbjT5_SX_jjP12ihipStream_tbEUlT_E1_NS1_11comp_targetILNS1_3genE10ELNS1_11target_archE1201ELNS1_3gpuE5ELNS1_3repE0EEENS1_59segmented_radix_sort_warp_sort_small_config_static_selectorELNS0_4arch9wavefront6targetE1EEEvSL_.numbered_sgpr, 0
	.set _ZN7rocprim17ROCPRIM_400000_NS6detail17trampoline_kernelINS0_14default_configENS1_36segmented_radix_sort_config_selectorI12hip_bfloat16lEEZNS1_25segmented_radix_sort_implIS3_Lb1EPKS5_PS5_PKlPlN2at6native12_GLOBAL__N_18offset_tEEE10hipError_tPvRmT1_PNSt15iterator_traitsISL_E10value_typeET2_T3_PNSM_ISR_E10value_typeET4_jRbjT5_SX_jjP12ihipStream_tbEUlT_E1_NS1_11comp_targetILNS1_3genE10ELNS1_11target_archE1201ELNS1_3gpuE5ELNS1_3repE0EEENS1_59segmented_radix_sort_warp_sort_small_config_static_selectorELNS0_4arch9wavefront6targetE1EEEvSL_.num_named_barrier, 0
	.set _ZN7rocprim17ROCPRIM_400000_NS6detail17trampoline_kernelINS0_14default_configENS1_36segmented_radix_sort_config_selectorI12hip_bfloat16lEEZNS1_25segmented_radix_sort_implIS3_Lb1EPKS5_PS5_PKlPlN2at6native12_GLOBAL__N_18offset_tEEE10hipError_tPvRmT1_PNSt15iterator_traitsISL_E10value_typeET2_T3_PNSM_ISR_E10value_typeET4_jRbjT5_SX_jjP12ihipStream_tbEUlT_E1_NS1_11comp_targetILNS1_3genE10ELNS1_11target_archE1201ELNS1_3gpuE5ELNS1_3repE0EEENS1_59segmented_radix_sort_warp_sort_small_config_static_selectorELNS0_4arch9wavefront6targetE1EEEvSL_.private_seg_size, 0
	.set _ZN7rocprim17ROCPRIM_400000_NS6detail17trampoline_kernelINS0_14default_configENS1_36segmented_radix_sort_config_selectorI12hip_bfloat16lEEZNS1_25segmented_radix_sort_implIS3_Lb1EPKS5_PS5_PKlPlN2at6native12_GLOBAL__N_18offset_tEEE10hipError_tPvRmT1_PNSt15iterator_traitsISL_E10value_typeET2_T3_PNSM_ISR_E10value_typeET4_jRbjT5_SX_jjP12ihipStream_tbEUlT_E1_NS1_11comp_targetILNS1_3genE10ELNS1_11target_archE1201ELNS1_3gpuE5ELNS1_3repE0EEENS1_59segmented_radix_sort_warp_sort_small_config_static_selectorELNS0_4arch9wavefront6targetE1EEEvSL_.uses_vcc, 0
	.set _ZN7rocprim17ROCPRIM_400000_NS6detail17trampoline_kernelINS0_14default_configENS1_36segmented_radix_sort_config_selectorI12hip_bfloat16lEEZNS1_25segmented_radix_sort_implIS3_Lb1EPKS5_PS5_PKlPlN2at6native12_GLOBAL__N_18offset_tEEE10hipError_tPvRmT1_PNSt15iterator_traitsISL_E10value_typeET2_T3_PNSM_ISR_E10value_typeET4_jRbjT5_SX_jjP12ihipStream_tbEUlT_E1_NS1_11comp_targetILNS1_3genE10ELNS1_11target_archE1201ELNS1_3gpuE5ELNS1_3repE0EEENS1_59segmented_radix_sort_warp_sort_small_config_static_selectorELNS0_4arch9wavefront6targetE1EEEvSL_.uses_flat_scratch, 0
	.set _ZN7rocprim17ROCPRIM_400000_NS6detail17trampoline_kernelINS0_14default_configENS1_36segmented_radix_sort_config_selectorI12hip_bfloat16lEEZNS1_25segmented_radix_sort_implIS3_Lb1EPKS5_PS5_PKlPlN2at6native12_GLOBAL__N_18offset_tEEE10hipError_tPvRmT1_PNSt15iterator_traitsISL_E10value_typeET2_T3_PNSM_ISR_E10value_typeET4_jRbjT5_SX_jjP12ihipStream_tbEUlT_E1_NS1_11comp_targetILNS1_3genE10ELNS1_11target_archE1201ELNS1_3gpuE5ELNS1_3repE0EEENS1_59segmented_radix_sort_warp_sort_small_config_static_selectorELNS0_4arch9wavefront6targetE1EEEvSL_.has_dyn_sized_stack, 0
	.set _ZN7rocprim17ROCPRIM_400000_NS6detail17trampoline_kernelINS0_14default_configENS1_36segmented_radix_sort_config_selectorI12hip_bfloat16lEEZNS1_25segmented_radix_sort_implIS3_Lb1EPKS5_PS5_PKlPlN2at6native12_GLOBAL__N_18offset_tEEE10hipError_tPvRmT1_PNSt15iterator_traitsISL_E10value_typeET2_T3_PNSM_ISR_E10value_typeET4_jRbjT5_SX_jjP12ihipStream_tbEUlT_E1_NS1_11comp_targetILNS1_3genE10ELNS1_11target_archE1201ELNS1_3gpuE5ELNS1_3repE0EEENS1_59segmented_radix_sort_warp_sort_small_config_static_selectorELNS0_4arch9wavefront6targetE1EEEvSL_.has_recursion, 0
	.set _ZN7rocprim17ROCPRIM_400000_NS6detail17trampoline_kernelINS0_14default_configENS1_36segmented_radix_sort_config_selectorI12hip_bfloat16lEEZNS1_25segmented_radix_sort_implIS3_Lb1EPKS5_PS5_PKlPlN2at6native12_GLOBAL__N_18offset_tEEE10hipError_tPvRmT1_PNSt15iterator_traitsISL_E10value_typeET2_T3_PNSM_ISR_E10value_typeET4_jRbjT5_SX_jjP12ihipStream_tbEUlT_E1_NS1_11comp_targetILNS1_3genE10ELNS1_11target_archE1201ELNS1_3gpuE5ELNS1_3repE0EEENS1_59segmented_radix_sort_warp_sort_small_config_static_selectorELNS0_4arch9wavefront6targetE1EEEvSL_.has_indirect_call, 0
	.section	.AMDGPU.csdata,"",@progbits
; Kernel info:
; codeLenInByte = 0
; TotalNumSgprs: 4
; NumVgprs: 0
; ScratchSize: 0
; MemoryBound: 0
; FloatMode: 240
; IeeeMode: 1
; LDSByteSize: 0 bytes/workgroup (compile time only)
; SGPRBlocks: 0
; VGPRBlocks: 0
; NumSGPRsForWavesPerEU: 4
; NumVGPRsForWavesPerEU: 1
; Occupancy: 10
; WaveLimiterHint : 0
; COMPUTE_PGM_RSRC2:SCRATCH_EN: 0
; COMPUTE_PGM_RSRC2:USER_SGPR: 6
; COMPUTE_PGM_RSRC2:TRAP_HANDLER: 0
; COMPUTE_PGM_RSRC2:TGID_X_EN: 1
; COMPUTE_PGM_RSRC2:TGID_Y_EN: 0
; COMPUTE_PGM_RSRC2:TGID_Z_EN: 0
; COMPUTE_PGM_RSRC2:TIDIG_COMP_CNT: 0
	.section	.text._ZN7rocprim17ROCPRIM_400000_NS6detail17trampoline_kernelINS0_14default_configENS1_36segmented_radix_sort_config_selectorI12hip_bfloat16lEEZNS1_25segmented_radix_sort_implIS3_Lb1EPKS5_PS5_PKlPlN2at6native12_GLOBAL__N_18offset_tEEE10hipError_tPvRmT1_PNSt15iterator_traitsISL_E10value_typeET2_T3_PNSM_ISR_E10value_typeET4_jRbjT5_SX_jjP12ihipStream_tbEUlT_E1_NS1_11comp_targetILNS1_3genE10ELNS1_11target_archE1200ELNS1_3gpuE4ELNS1_3repE0EEENS1_59segmented_radix_sort_warp_sort_small_config_static_selectorELNS0_4arch9wavefront6targetE1EEEvSL_,"axG",@progbits,_ZN7rocprim17ROCPRIM_400000_NS6detail17trampoline_kernelINS0_14default_configENS1_36segmented_radix_sort_config_selectorI12hip_bfloat16lEEZNS1_25segmented_radix_sort_implIS3_Lb1EPKS5_PS5_PKlPlN2at6native12_GLOBAL__N_18offset_tEEE10hipError_tPvRmT1_PNSt15iterator_traitsISL_E10value_typeET2_T3_PNSM_ISR_E10value_typeET4_jRbjT5_SX_jjP12ihipStream_tbEUlT_E1_NS1_11comp_targetILNS1_3genE10ELNS1_11target_archE1200ELNS1_3gpuE4ELNS1_3repE0EEENS1_59segmented_radix_sort_warp_sort_small_config_static_selectorELNS0_4arch9wavefront6targetE1EEEvSL_,comdat
	.globl	_ZN7rocprim17ROCPRIM_400000_NS6detail17trampoline_kernelINS0_14default_configENS1_36segmented_radix_sort_config_selectorI12hip_bfloat16lEEZNS1_25segmented_radix_sort_implIS3_Lb1EPKS5_PS5_PKlPlN2at6native12_GLOBAL__N_18offset_tEEE10hipError_tPvRmT1_PNSt15iterator_traitsISL_E10value_typeET2_T3_PNSM_ISR_E10value_typeET4_jRbjT5_SX_jjP12ihipStream_tbEUlT_E1_NS1_11comp_targetILNS1_3genE10ELNS1_11target_archE1200ELNS1_3gpuE4ELNS1_3repE0EEENS1_59segmented_radix_sort_warp_sort_small_config_static_selectorELNS0_4arch9wavefront6targetE1EEEvSL_ ; -- Begin function _ZN7rocprim17ROCPRIM_400000_NS6detail17trampoline_kernelINS0_14default_configENS1_36segmented_radix_sort_config_selectorI12hip_bfloat16lEEZNS1_25segmented_radix_sort_implIS3_Lb1EPKS5_PS5_PKlPlN2at6native12_GLOBAL__N_18offset_tEEE10hipError_tPvRmT1_PNSt15iterator_traitsISL_E10value_typeET2_T3_PNSM_ISR_E10value_typeET4_jRbjT5_SX_jjP12ihipStream_tbEUlT_E1_NS1_11comp_targetILNS1_3genE10ELNS1_11target_archE1200ELNS1_3gpuE4ELNS1_3repE0EEENS1_59segmented_radix_sort_warp_sort_small_config_static_selectorELNS0_4arch9wavefront6targetE1EEEvSL_
	.p2align	8
	.type	_ZN7rocprim17ROCPRIM_400000_NS6detail17trampoline_kernelINS0_14default_configENS1_36segmented_radix_sort_config_selectorI12hip_bfloat16lEEZNS1_25segmented_radix_sort_implIS3_Lb1EPKS5_PS5_PKlPlN2at6native12_GLOBAL__N_18offset_tEEE10hipError_tPvRmT1_PNSt15iterator_traitsISL_E10value_typeET2_T3_PNSM_ISR_E10value_typeET4_jRbjT5_SX_jjP12ihipStream_tbEUlT_E1_NS1_11comp_targetILNS1_3genE10ELNS1_11target_archE1200ELNS1_3gpuE4ELNS1_3repE0EEENS1_59segmented_radix_sort_warp_sort_small_config_static_selectorELNS0_4arch9wavefront6targetE1EEEvSL_,@function
_ZN7rocprim17ROCPRIM_400000_NS6detail17trampoline_kernelINS0_14default_configENS1_36segmented_radix_sort_config_selectorI12hip_bfloat16lEEZNS1_25segmented_radix_sort_implIS3_Lb1EPKS5_PS5_PKlPlN2at6native12_GLOBAL__N_18offset_tEEE10hipError_tPvRmT1_PNSt15iterator_traitsISL_E10value_typeET2_T3_PNSM_ISR_E10value_typeET4_jRbjT5_SX_jjP12ihipStream_tbEUlT_E1_NS1_11comp_targetILNS1_3genE10ELNS1_11target_archE1200ELNS1_3gpuE4ELNS1_3repE0EEENS1_59segmented_radix_sort_warp_sort_small_config_static_selectorELNS0_4arch9wavefront6targetE1EEEvSL_: ; @_ZN7rocprim17ROCPRIM_400000_NS6detail17trampoline_kernelINS0_14default_configENS1_36segmented_radix_sort_config_selectorI12hip_bfloat16lEEZNS1_25segmented_radix_sort_implIS3_Lb1EPKS5_PS5_PKlPlN2at6native12_GLOBAL__N_18offset_tEEE10hipError_tPvRmT1_PNSt15iterator_traitsISL_E10value_typeET2_T3_PNSM_ISR_E10value_typeET4_jRbjT5_SX_jjP12ihipStream_tbEUlT_E1_NS1_11comp_targetILNS1_3genE10ELNS1_11target_archE1200ELNS1_3gpuE4ELNS1_3repE0EEENS1_59segmented_radix_sort_warp_sort_small_config_static_selectorELNS0_4arch9wavefront6targetE1EEEvSL_
; %bb.0:
	.section	.rodata,"a",@progbits
	.p2align	6, 0x0
	.amdhsa_kernel _ZN7rocprim17ROCPRIM_400000_NS6detail17trampoline_kernelINS0_14default_configENS1_36segmented_radix_sort_config_selectorI12hip_bfloat16lEEZNS1_25segmented_radix_sort_implIS3_Lb1EPKS5_PS5_PKlPlN2at6native12_GLOBAL__N_18offset_tEEE10hipError_tPvRmT1_PNSt15iterator_traitsISL_E10value_typeET2_T3_PNSM_ISR_E10value_typeET4_jRbjT5_SX_jjP12ihipStream_tbEUlT_E1_NS1_11comp_targetILNS1_3genE10ELNS1_11target_archE1200ELNS1_3gpuE4ELNS1_3repE0EEENS1_59segmented_radix_sort_warp_sort_small_config_static_selectorELNS0_4arch9wavefront6targetE1EEEvSL_
		.amdhsa_group_segment_fixed_size 0
		.amdhsa_private_segment_fixed_size 0
		.amdhsa_kernarg_size 88
		.amdhsa_user_sgpr_count 6
		.amdhsa_user_sgpr_private_segment_buffer 1
		.amdhsa_user_sgpr_dispatch_ptr 0
		.amdhsa_user_sgpr_queue_ptr 0
		.amdhsa_user_sgpr_kernarg_segment_ptr 1
		.amdhsa_user_sgpr_dispatch_id 0
		.amdhsa_user_sgpr_flat_scratch_init 0
		.amdhsa_user_sgpr_private_segment_size 0
		.amdhsa_uses_dynamic_stack 0
		.amdhsa_system_sgpr_private_segment_wavefront_offset 0
		.amdhsa_system_sgpr_workgroup_id_x 1
		.amdhsa_system_sgpr_workgroup_id_y 0
		.amdhsa_system_sgpr_workgroup_id_z 0
		.amdhsa_system_sgpr_workgroup_info 0
		.amdhsa_system_vgpr_workitem_id 0
		.amdhsa_next_free_vgpr 1
		.amdhsa_next_free_sgpr 0
		.amdhsa_reserve_vcc 0
		.amdhsa_reserve_flat_scratch 0
		.amdhsa_float_round_mode_32 0
		.amdhsa_float_round_mode_16_64 0
		.amdhsa_float_denorm_mode_32 3
		.amdhsa_float_denorm_mode_16_64 3
		.amdhsa_dx10_clamp 1
		.amdhsa_ieee_mode 1
		.amdhsa_fp16_overflow 0
		.amdhsa_exception_fp_ieee_invalid_op 0
		.amdhsa_exception_fp_denorm_src 0
		.amdhsa_exception_fp_ieee_div_zero 0
		.amdhsa_exception_fp_ieee_overflow 0
		.amdhsa_exception_fp_ieee_underflow 0
		.amdhsa_exception_fp_ieee_inexact 0
		.amdhsa_exception_int_div_zero 0
	.end_amdhsa_kernel
	.section	.text._ZN7rocprim17ROCPRIM_400000_NS6detail17trampoline_kernelINS0_14default_configENS1_36segmented_radix_sort_config_selectorI12hip_bfloat16lEEZNS1_25segmented_radix_sort_implIS3_Lb1EPKS5_PS5_PKlPlN2at6native12_GLOBAL__N_18offset_tEEE10hipError_tPvRmT1_PNSt15iterator_traitsISL_E10value_typeET2_T3_PNSM_ISR_E10value_typeET4_jRbjT5_SX_jjP12ihipStream_tbEUlT_E1_NS1_11comp_targetILNS1_3genE10ELNS1_11target_archE1200ELNS1_3gpuE4ELNS1_3repE0EEENS1_59segmented_radix_sort_warp_sort_small_config_static_selectorELNS0_4arch9wavefront6targetE1EEEvSL_,"axG",@progbits,_ZN7rocprim17ROCPRIM_400000_NS6detail17trampoline_kernelINS0_14default_configENS1_36segmented_radix_sort_config_selectorI12hip_bfloat16lEEZNS1_25segmented_radix_sort_implIS3_Lb1EPKS5_PS5_PKlPlN2at6native12_GLOBAL__N_18offset_tEEE10hipError_tPvRmT1_PNSt15iterator_traitsISL_E10value_typeET2_T3_PNSM_ISR_E10value_typeET4_jRbjT5_SX_jjP12ihipStream_tbEUlT_E1_NS1_11comp_targetILNS1_3genE10ELNS1_11target_archE1200ELNS1_3gpuE4ELNS1_3repE0EEENS1_59segmented_radix_sort_warp_sort_small_config_static_selectorELNS0_4arch9wavefront6targetE1EEEvSL_,comdat
.Lfunc_end1973:
	.size	_ZN7rocprim17ROCPRIM_400000_NS6detail17trampoline_kernelINS0_14default_configENS1_36segmented_radix_sort_config_selectorI12hip_bfloat16lEEZNS1_25segmented_radix_sort_implIS3_Lb1EPKS5_PS5_PKlPlN2at6native12_GLOBAL__N_18offset_tEEE10hipError_tPvRmT1_PNSt15iterator_traitsISL_E10value_typeET2_T3_PNSM_ISR_E10value_typeET4_jRbjT5_SX_jjP12ihipStream_tbEUlT_E1_NS1_11comp_targetILNS1_3genE10ELNS1_11target_archE1200ELNS1_3gpuE4ELNS1_3repE0EEENS1_59segmented_radix_sort_warp_sort_small_config_static_selectorELNS0_4arch9wavefront6targetE1EEEvSL_, .Lfunc_end1973-_ZN7rocprim17ROCPRIM_400000_NS6detail17trampoline_kernelINS0_14default_configENS1_36segmented_radix_sort_config_selectorI12hip_bfloat16lEEZNS1_25segmented_radix_sort_implIS3_Lb1EPKS5_PS5_PKlPlN2at6native12_GLOBAL__N_18offset_tEEE10hipError_tPvRmT1_PNSt15iterator_traitsISL_E10value_typeET2_T3_PNSM_ISR_E10value_typeET4_jRbjT5_SX_jjP12ihipStream_tbEUlT_E1_NS1_11comp_targetILNS1_3genE10ELNS1_11target_archE1200ELNS1_3gpuE4ELNS1_3repE0EEENS1_59segmented_radix_sort_warp_sort_small_config_static_selectorELNS0_4arch9wavefront6targetE1EEEvSL_
                                        ; -- End function
	.set _ZN7rocprim17ROCPRIM_400000_NS6detail17trampoline_kernelINS0_14default_configENS1_36segmented_radix_sort_config_selectorI12hip_bfloat16lEEZNS1_25segmented_radix_sort_implIS3_Lb1EPKS5_PS5_PKlPlN2at6native12_GLOBAL__N_18offset_tEEE10hipError_tPvRmT1_PNSt15iterator_traitsISL_E10value_typeET2_T3_PNSM_ISR_E10value_typeET4_jRbjT5_SX_jjP12ihipStream_tbEUlT_E1_NS1_11comp_targetILNS1_3genE10ELNS1_11target_archE1200ELNS1_3gpuE4ELNS1_3repE0EEENS1_59segmented_radix_sort_warp_sort_small_config_static_selectorELNS0_4arch9wavefront6targetE1EEEvSL_.num_vgpr, 0
	.set _ZN7rocprim17ROCPRIM_400000_NS6detail17trampoline_kernelINS0_14default_configENS1_36segmented_radix_sort_config_selectorI12hip_bfloat16lEEZNS1_25segmented_radix_sort_implIS3_Lb1EPKS5_PS5_PKlPlN2at6native12_GLOBAL__N_18offset_tEEE10hipError_tPvRmT1_PNSt15iterator_traitsISL_E10value_typeET2_T3_PNSM_ISR_E10value_typeET4_jRbjT5_SX_jjP12ihipStream_tbEUlT_E1_NS1_11comp_targetILNS1_3genE10ELNS1_11target_archE1200ELNS1_3gpuE4ELNS1_3repE0EEENS1_59segmented_radix_sort_warp_sort_small_config_static_selectorELNS0_4arch9wavefront6targetE1EEEvSL_.num_agpr, 0
	.set _ZN7rocprim17ROCPRIM_400000_NS6detail17trampoline_kernelINS0_14default_configENS1_36segmented_radix_sort_config_selectorI12hip_bfloat16lEEZNS1_25segmented_radix_sort_implIS3_Lb1EPKS5_PS5_PKlPlN2at6native12_GLOBAL__N_18offset_tEEE10hipError_tPvRmT1_PNSt15iterator_traitsISL_E10value_typeET2_T3_PNSM_ISR_E10value_typeET4_jRbjT5_SX_jjP12ihipStream_tbEUlT_E1_NS1_11comp_targetILNS1_3genE10ELNS1_11target_archE1200ELNS1_3gpuE4ELNS1_3repE0EEENS1_59segmented_radix_sort_warp_sort_small_config_static_selectorELNS0_4arch9wavefront6targetE1EEEvSL_.numbered_sgpr, 0
	.set _ZN7rocprim17ROCPRIM_400000_NS6detail17trampoline_kernelINS0_14default_configENS1_36segmented_radix_sort_config_selectorI12hip_bfloat16lEEZNS1_25segmented_radix_sort_implIS3_Lb1EPKS5_PS5_PKlPlN2at6native12_GLOBAL__N_18offset_tEEE10hipError_tPvRmT1_PNSt15iterator_traitsISL_E10value_typeET2_T3_PNSM_ISR_E10value_typeET4_jRbjT5_SX_jjP12ihipStream_tbEUlT_E1_NS1_11comp_targetILNS1_3genE10ELNS1_11target_archE1200ELNS1_3gpuE4ELNS1_3repE0EEENS1_59segmented_radix_sort_warp_sort_small_config_static_selectorELNS0_4arch9wavefront6targetE1EEEvSL_.num_named_barrier, 0
	.set _ZN7rocprim17ROCPRIM_400000_NS6detail17trampoline_kernelINS0_14default_configENS1_36segmented_radix_sort_config_selectorI12hip_bfloat16lEEZNS1_25segmented_radix_sort_implIS3_Lb1EPKS5_PS5_PKlPlN2at6native12_GLOBAL__N_18offset_tEEE10hipError_tPvRmT1_PNSt15iterator_traitsISL_E10value_typeET2_T3_PNSM_ISR_E10value_typeET4_jRbjT5_SX_jjP12ihipStream_tbEUlT_E1_NS1_11comp_targetILNS1_3genE10ELNS1_11target_archE1200ELNS1_3gpuE4ELNS1_3repE0EEENS1_59segmented_radix_sort_warp_sort_small_config_static_selectorELNS0_4arch9wavefront6targetE1EEEvSL_.private_seg_size, 0
	.set _ZN7rocprim17ROCPRIM_400000_NS6detail17trampoline_kernelINS0_14default_configENS1_36segmented_radix_sort_config_selectorI12hip_bfloat16lEEZNS1_25segmented_radix_sort_implIS3_Lb1EPKS5_PS5_PKlPlN2at6native12_GLOBAL__N_18offset_tEEE10hipError_tPvRmT1_PNSt15iterator_traitsISL_E10value_typeET2_T3_PNSM_ISR_E10value_typeET4_jRbjT5_SX_jjP12ihipStream_tbEUlT_E1_NS1_11comp_targetILNS1_3genE10ELNS1_11target_archE1200ELNS1_3gpuE4ELNS1_3repE0EEENS1_59segmented_radix_sort_warp_sort_small_config_static_selectorELNS0_4arch9wavefront6targetE1EEEvSL_.uses_vcc, 0
	.set _ZN7rocprim17ROCPRIM_400000_NS6detail17trampoline_kernelINS0_14default_configENS1_36segmented_radix_sort_config_selectorI12hip_bfloat16lEEZNS1_25segmented_radix_sort_implIS3_Lb1EPKS5_PS5_PKlPlN2at6native12_GLOBAL__N_18offset_tEEE10hipError_tPvRmT1_PNSt15iterator_traitsISL_E10value_typeET2_T3_PNSM_ISR_E10value_typeET4_jRbjT5_SX_jjP12ihipStream_tbEUlT_E1_NS1_11comp_targetILNS1_3genE10ELNS1_11target_archE1200ELNS1_3gpuE4ELNS1_3repE0EEENS1_59segmented_radix_sort_warp_sort_small_config_static_selectorELNS0_4arch9wavefront6targetE1EEEvSL_.uses_flat_scratch, 0
	.set _ZN7rocprim17ROCPRIM_400000_NS6detail17trampoline_kernelINS0_14default_configENS1_36segmented_radix_sort_config_selectorI12hip_bfloat16lEEZNS1_25segmented_radix_sort_implIS3_Lb1EPKS5_PS5_PKlPlN2at6native12_GLOBAL__N_18offset_tEEE10hipError_tPvRmT1_PNSt15iterator_traitsISL_E10value_typeET2_T3_PNSM_ISR_E10value_typeET4_jRbjT5_SX_jjP12ihipStream_tbEUlT_E1_NS1_11comp_targetILNS1_3genE10ELNS1_11target_archE1200ELNS1_3gpuE4ELNS1_3repE0EEENS1_59segmented_radix_sort_warp_sort_small_config_static_selectorELNS0_4arch9wavefront6targetE1EEEvSL_.has_dyn_sized_stack, 0
	.set _ZN7rocprim17ROCPRIM_400000_NS6detail17trampoline_kernelINS0_14default_configENS1_36segmented_radix_sort_config_selectorI12hip_bfloat16lEEZNS1_25segmented_radix_sort_implIS3_Lb1EPKS5_PS5_PKlPlN2at6native12_GLOBAL__N_18offset_tEEE10hipError_tPvRmT1_PNSt15iterator_traitsISL_E10value_typeET2_T3_PNSM_ISR_E10value_typeET4_jRbjT5_SX_jjP12ihipStream_tbEUlT_E1_NS1_11comp_targetILNS1_3genE10ELNS1_11target_archE1200ELNS1_3gpuE4ELNS1_3repE0EEENS1_59segmented_radix_sort_warp_sort_small_config_static_selectorELNS0_4arch9wavefront6targetE1EEEvSL_.has_recursion, 0
	.set _ZN7rocprim17ROCPRIM_400000_NS6detail17trampoline_kernelINS0_14default_configENS1_36segmented_radix_sort_config_selectorI12hip_bfloat16lEEZNS1_25segmented_radix_sort_implIS3_Lb1EPKS5_PS5_PKlPlN2at6native12_GLOBAL__N_18offset_tEEE10hipError_tPvRmT1_PNSt15iterator_traitsISL_E10value_typeET2_T3_PNSM_ISR_E10value_typeET4_jRbjT5_SX_jjP12ihipStream_tbEUlT_E1_NS1_11comp_targetILNS1_3genE10ELNS1_11target_archE1200ELNS1_3gpuE4ELNS1_3repE0EEENS1_59segmented_radix_sort_warp_sort_small_config_static_selectorELNS0_4arch9wavefront6targetE1EEEvSL_.has_indirect_call, 0
	.section	.AMDGPU.csdata,"",@progbits
; Kernel info:
; codeLenInByte = 0
; TotalNumSgprs: 4
; NumVgprs: 0
; ScratchSize: 0
; MemoryBound: 0
; FloatMode: 240
; IeeeMode: 1
; LDSByteSize: 0 bytes/workgroup (compile time only)
; SGPRBlocks: 0
; VGPRBlocks: 0
; NumSGPRsForWavesPerEU: 4
; NumVGPRsForWavesPerEU: 1
; Occupancy: 10
; WaveLimiterHint : 0
; COMPUTE_PGM_RSRC2:SCRATCH_EN: 0
; COMPUTE_PGM_RSRC2:USER_SGPR: 6
; COMPUTE_PGM_RSRC2:TRAP_HANDLER: 0
; COMPUTE_PGM_RSRC2:TGID_X_EN: 1
; COMPUTE_PGM_RSRC2:TGID_Y_EN: 0
; COMPUTE_PGM_RSRC2:TGID_Z_EN: 0
; COMPUTE_PGM_RSRC2:TIDIG_COMP_CNT: 0
	.section	.text._ZN7rocprim17ROCPRIM_400000_NS6detail17trampoline_kernelINS0_14default_configENS1_36segmented_radix_sort_config_selectorI12hip_bfloat16lEEZNS1_25segmented_radix_sort_implIS3_Lb1EPKS5_PS5_PKlPlN2at6native12_GLOBAL__N_18offset_tEEE10hipError_tPvRmT1_PNSt15iterator_traitsISL_E10value_typeET2_T3_PNSM_ISR_E10value_typeET4_jRbjT5_SX_jjP12ihipStream_tbEUlT_E1_NS1_11comp_targetILNS1_3genE9ELNS1_11target_archE1100ELNS1_3gpuE3ELNS1_3repE0EEENS1_59segmented_radix_sort_warp_sort_small_config_static_selectorELNS0_4arch9wavefront6targetE1EEEvSL_,"axG",@progbits,_ZN7rocprim17ROCPRIM_400000_NS6detail17trampoline_kernelINS0_14default_configENS1_36segmented_radix_sort_config_selectorI12hip_bfloat16lEEZNS1_25segmented_radix_sort_implIS3_Lb1EPKS5_PS5_PKlPlN2at6native12_GLOBAL__N_18offset_tEEE10hipError_tPvRmT1_PNSt15iterator_traitsISL_E10value_typeET2_T3_PNSM_ISR_E10value_typeET4_jRbjT5_SX_jjP12ihipStream_tbEUlT_E1_NS1_11comp_targetILNS1_3genE9ELNS1_11target_archE1100ELNS1_3gpuE3ELNS1_3repE0EEENS1_59segmented_radix_sort_warp_sort_small_config_static_selectorELNS0_4arch9wavefront6targetE1EEEvSL_,comdat
	.globl	_ZN7rocprim17ROCPRIM_400000_NS6detail17trampoline_kernelINS0_14default_configENS1_36segmented_radix_sort_config_selectorI12hip_bfloat16lEEZNS1_25segmented_radix_sort_implIS3_Lb1EPKS5_PS5_PKlPlN2at6native12_GLOBAL__N_18offset_tEEE10hipError_tPvRmT1_PNSt15iterator_traitsISL_E10value_typeET2_T3_PNSM_ISR_E10value_typeET4_jRbjT5_SX_jjP12ihipStream_tbEUlT_E1_NS1_11comp_targetILNS1_3genE9ELNS1_11target_archE1100ELNS1_3gpuE3ELNS1_3repE0EEENS1_59segmented_radix_sort_warp_sort_small_config_static_selectorELNS0_4arch9wavefront6targetE1EEEvSL_ ; -- Begin function _ZN7rocprim17ROCPRIM_400000_NS6detail17trampoline_kernelINS0_14default_configENS1_36segmented_radix_sort_config_selectorI12hip_bfloat16lEEZNS1_25segmented_radix_sort_implIS3_Lb1EPKS5_PS5_PKlPlN2at6native12_GLOBAL__N_18offset_tEEE10hipError_tPvRmT1_PNSt15iterator_traitsISL_E10value_typeET2_T3_PNSM_ISR_E10value_typeET4_jRbjT5_SX_jjP12ihipStream_tbEUlT_E1_NS1_11comp_targetILNS1_3genE9ELNS1_11target_archE1100ELNS1_3gpuE3ELNS1_3repE0EEENS1_59segmented_radix_sort_warp_sort_small_config_static_selectorELNS0_4arch9wavefront6targetE1EEEvSL_
	.p2align	8
	.type	_ZN7rocprim17ROCPRIM_400000_NS6detail17trampoline_kernelINS0_14default_configENS1_36segmented_radix_sort_config_selectorI12hip_bfloat16lEEZNS1_25segmented_radix_sort_implIS3_Lb1EPKS5_PS5_PKlPlN2at6native12_GLOBAL__N_18offset_tEEE10hipError_tPvRmT1_PNSt15iterator_traitsISL_E10value_typeET2_T3_PNSM_ISR_E10value_typeET4_jRbjT5_SX_jjP12ihipStream_tbEUlT_E1_NS1_11comp_targetILNS1_3genE9ELNS1_11target_archE1100ELNS1_3gpuE3ELNS1_3repE0EEENS1_59segmented_radix_sort_warp_sort_small_config_static_selectorELNS0_4arch9wavefront6targetE1EEEvSL_,@function
_ZN7rocprim17ROCPRIM_400000_NS6detail17trampoline_kernelINS0_14default_configENS1_36segmented_radix_sort_config_selectorI12hip_bfloat16lEEZNS1_25segmented_radix_sort_implIS3_Lb1EPKS5_PS5_PKlPlN2at6native12_GLOBAL__N_18offset_tEEE10hipError_tPvRmT1_PNSt15iterator_traitsISL_E10value_typeET2_T3_PNSM_ISR_E10value_typeET4_jRbjT5_SX_jjP12ihipStream_tbEUlT_E1_NS1_11comp_targetILNS1_3genE9ELNS1_11target_archE1100ELNS1_3gpuE3ELNS1_3repE0EEENS1_59segmented_radix_sort_warp_sort_small_config_static_selectorELNS0_4arch9wavefront6targetE1EEEvSL_: ; @_ZN7rocprim17ROCPRIM_400000_NS6detail17trampoline_kernelINS0_14default_configENS1_36segmented_radix_sort_config_selectorI12hip_bfloat16lEEZNS1_25segmented_radix_sort_implIS3_Lb1EPKS5_PS5_PKlPlN2at6native12_GLOBAL__N_18offset_tEEE10hipError_tPvRmT1_PNSt15iterator_traitsISL_E10value_typeET2_T3_PNSM_ISR_E10value_typeET4_jRbjT5_SX_jjP12ihipStream_tbEUlT_E1_NS1_11comp_targetILNS1_3genE9ELNS1_11target_archE1100ELNS1_3gpuE3ELNS1_3repE0EEENS1_59segmented_radix_sort_warp_sort_small_config_static_selectorELNS0_4arch9wavefront6targetE1EEEvSL_
; %bb.0:
	.section	.rodata,"a",@progbits
	.p2align	6, 0x0
	.amdhsa_kernel _ZN7rocprim17ROCPRIM_400000_NS6detail17trampoline_kernelINS0_14default_configENS1_36segmented_radix_sort_config_selectorI12hip_bfloat16lEEZNS1_25segmented_radix_sort_implIS3_Lb1EPKS5_PS5_PKlPlN2at6native12_GLOBAL__N_18offset_tEEE10hipError_tPvRmT1_PNSt15iterator_traitsISL_E10value_typeET2_T3_PNSM_ISR_E10value_typeET4_jRbjT5_SX_jjP12ihipStream_tbEUlT_E1_NS1_11comp_targetILNS1_3genE9ELNS1_11target_archE1100ELNS1_3gpuE3ELNS1_3repE0EEENS1_59segmented_radix_sort_warp_sort_small_config_static_selectorELNS0_4arch9wavefront6targetE1EEEvSL_
		.amdhsa_group_segment_fixed_size 0
		.amdhsa_private_segment_fixed_size 0
		.amdhsa_kernarg_size 88
		.amdhsa_user_sgpr_count 6
		.amdhsa_user_sgpr_private_segment_buffer 1
		.amdhsa_user_sgpr_dispatch_ptr 0
		.amdhsa_user_sgpr_queue_ptr 0
		.amdhsa_user_sgpr_kernarg_segment_ptr 1
		.amdhsa_user_sgpr_dispatch_id 0
		.amdhsa_user_sgpr_flat_scratch_init 0
		.amdhsa_user_sgpr_private_segment_size 0
		.amdhsa_uses_dynamic_stack 0
		.amdhsa_system_sgpr_private_segment_wavefront_offset 0
		.amdhsa_system_sgpr_workgroup_id_x 1
		.amdhsa_system_sgpr_workgroup_id_y 0
		.amdhsa_system_sgpr_workgroup_id_z 0
		.amdhsa_system_sgpr_workgroup_info 0
		.amdhsa_system_vgpr_workitem_id 0
		.amdhsa_next_free_vgpr 1
		.amdhsa_next_free_sgpr 0
		.amdhsa_reserve_vcc 0
		.amdhsa_reserve_flat_scratch 0
		.amdhsa_float_round_mode_32 0
		.amdhsa_float_round_mode_16_64 0
		.amdhsa_float_denorm_mode_32 3
		.amdhsa_float_denorm_mode_16_64 3
		.amdhsa_dx10_clamp 1
		.amdhsa_ieee_mode 1
		.amdhsa_fp16_overflow 0
		.amdhsa_exception_fp_ieee_invalid_op 0
		.amdhsa_exception_fp_denorm_src 0
		.amdhsa_exception_fp_ieee_div_zero 0
		.amdhsa_exception_fp_ieee_overflow 0
		.amdhsa_exception_fp_ieee_underflow 0
		.amdhsa_exception_fp_ieee_inexact 0
		.amdhsa_exception_int_div_zero 0
	.end_amdhsa_kernel
	.section	.text._ZN7rocprim17ROCPRIM_400000_NS6detail17trampoline_kernelINS0_14default_configENS1_36segmented_radix_sort_config_selectorI12hip_bfloat16lEEZNS1_25segmented_radix_sort_implIS3_Lb1EPKS5_PS5_PKlPlN2at6native12_GLOBAL__N_18offset_tEEE10hipError_tPvRmT1_PNSt15iterator_traitsISL_E10value_typeET2_T3_PNSM_ISR_E10value_typeET4_jRbjT5_SX_jjP12ihipStream_tbEUlT_E1_NS1_11comp_targetILNS1_3genE9ELNS1_11target_archE1100ELNS1_3gpuE3ELNS1_3repE0EEENS1_59segmented_radix_sort_warp_sort_small_config_static_selectorELNS0_4arch9wavefront6targetE1EEEvSL_,"axG",@progbits,_ZN7rocprim17ROCPRIM_400000_NS6detail17trampoline_kernelINS0_14default_configENS1_36segmented_radix_sort_config_selectorI12hip_bfloat16lEEZNS1_25segmented_radix_sort_implIS3_Lb1EPKS5_PS5_PKlPlN2at6native12_GLOBAL__N_18offset_tEEE10hipError_tPvRmT1_PNSt15iterator_traitsISL_E10value_typeET2_T3_PNSM_ISR_E10value_typeET4_jRbjT5_SX_jjP12ihipStream_tbEUlT_E1_NS1_11comp_targetILNS1_3genE9ELNS1_11target_archE1100ELNS1_3gpuE3ELNS1_3repE0EEENS1_59segmented_radix_sort_warp_sort_small_config_static_selectorELNS0_4arch9wavefront6targetE1EEEvSL_,comdat
.Lfunc_end1974:
	.size	_ZN7rocprim17ROCPRIM_400000_NS6detail17trampoline_kernelINS0_14default_configENS1_36segmented_radix_sort_config_selectorI12hip_bfloat16lEEZNS1_25segmented_radix_sort_implIS3_Lb1EPKS5_PS5_PKlPlN2at6native12_GLOBAL__N_18offset_tEEE10hipError_tPvRmT1_PNSt15iterator_traitsISL_E10value_typeET2_T3_PNSM_ISR_E10value_typeET4_jRbjT5_SX_jjP12ihipStream_tbEUlT_E1_NS1_11comp_targetILNS1_3genE9ELNS1_11target_archE1100ELNS1_3gpuE3ELNS1_3repE0EEENS1_59segmented_radix_sort_warp_sort_small_config_static_selectorELNS0_4arch9wavefront6targetE1EEEvSL_, .Lfunc_end1974-_ZN7rocprim17ROCPRIM_400000_NS6detail17trampoline_kernelINS0_14default_configENS1_36segmented_radix_sort_config_selectorI12hip_bfloat16lEEZNS1_25segmented_radix_sort_implIS3_Lb1EPKS5_PS5_PKlPlN2at6native12_GLOBAL__N_18offset_tEEE10hipError_tPvRmT1_PNSt15iterator_traitsISL_E10value_typeET2_T3_PNSM_ISR_E10value_typeET4_jRbjT5_SX_jjP12ihipStream_tbEUlT_E1_NS1_11comp_targetILNS1_3genE9ELNS1_11target_archE1100ELNS1_3gpuE3ELNS1_3repE0EEENS1_59segmented_radix_sort_warp_sort_small_config_static_selectorELNS0_4arch9wavefront6targetE1EEEvSL_
                                        ; -- End function
	.set _ZN7rocprim17ROCPRIM_400000_NS6detail17trampoline_kernelINS0_14default_configENS1_36segmented_radix_sort_config_selectorI12hip_bfloat16lEEZNS1_25segmented_radix_sort_implIS3_Lb1EPKS5_PS5_PKlPlN2at6native12_GLOBAL__N_18offset_tEEE10hipError_tPvRmT1_PNSt15iterator_traitsISL_E10value_typeET2_T3_PNSM_ISR_E10value_typeET4_jRbjT5_SX_jjP12ihipStream_tbEUlT_E1_NS1_11comp_targetILNS1_3genE9ELNS1_11target_archE1100ELNS1_3gpuE3ELNS1_3repE0EEENS1_59segmented_radix_sort_warp_sort_small_config_static_selectorELNS0_4arch9wavefront6targetE1EEEvSL_.num_vgpr, 0
	.set _ZN7rocprim17ROCPRIM_400000_NS6detail17trampoline_kernelINS0_14default_configENS1_36segmented_radix_sort_config_selectorI12hip_bfloat16lEEZNS1_25segmented_radix_sort_implIS3_Lb1EPKS5_PS5_PKlPlN2at6native12_GLOBAL__N_18offset_tEEE10hipError_tPvRmT1_PNSt15iterator_traitsISL_E10value_typeET2_T3_PNSM_ISR_E10value_typeET4_jRbjT5_SX_jjP12ihipStream_tbEUlT_E1_NS1_11comp_targetILNS1_3genE9ELNS1_11target_archE1100ELNS1_3gpuE3ELNS1_3repE0EEENS1_59segmented_radix_sort_warp_sort_small_config_static_selectorELNS0_4arch9wavefront6targetE1EEEvSL_.num_agpr, 0
	.set _ZN7rocprim17ROCPRIM_400000_NS6detail17trampoline_kernelINS0_14default_configENS1_36segmented_radix_sort_config_selectorI12hip_bfloat16lEEZNS1_25segmented_radix_sort_implIS3_Lb1EPKS5_PS5_PKlPlN2at6native12_GLOBAL__N_18offset_tEEE10hipError_tPvRmT1_PNSt15iterator_traitsISL_E10value_typeET2_T3_PNSM_ISR_E10value_typeET4_jRbjT5_SX_jjP12ihipStream_tbEUlT_E1_NS1_11comp_targetILNS1_3genE9ELNS1_11target_archE1100ELNS1_3gpuE3ELNS1_3repE0EEENS1_59segmented_radix_sort_warp_sort_small_config_static_selectorELNS0_4arch9wavefront6targetE1EEEvSL_.numbered_sgpr, 0
	.set _ZN7rocprim17ROCPRIM_400000_NS6detail17trampoline_kernelINS0_14default_configENS1_36segmented_radix_sort_config_selectorI12hip_bfloat16lEEZNS1_25segmented_radix_sort_implIS3_Lb1EPKS5_PS5_PKlPlN2at6native12_GLOBAL__N_18offset_tEEE10hipError_tPvRmT1_PNSt15iterator_traitsISL_E10value_typeET2_T3_PNSM_ISR_E10value_typeET4_jRbjT5_SX_jjP12ihipStream_tbEUlT_E1_NS1_11comp_targetILNS1_3genE9ELNS1_11target_archE1100ELNS1_3gpuE3ELNS1_3repE0EEENS1_59segmented_radix_sort_warp_sort_small_config_static_selectorELNS0_4arch9wavefront6targetE1EEEvSL_.num_named_barrier, 0
	.set _ZN7rocprim17ROCPRIM_400000_NS6detail17trampoline_kernelINS0_14default_configENS1_36segmented_radix_sort_config_selectorI12hip_bfloat16lEEZNS1_25segmented_radix_sort_implIS3_Lb1EPKS5_PS5_PKlPlN2at6native12_GLOBAL__N_18offset_tEEE10hipError_tPvRmT1_PNSt15iterator_traitsISL_E10value_typeET2_T3_PNSM_ISR_E10value_typeET4_jRbjT5_SX_jjP12ihipStream_tbEUlT_E1_NS1_11comp_targetILNS1_3genE9ELNS1_11target_archE1100ELNS1_3gpuE3ELNS1_3repE0EEENS1_59segmented_radix_sort_warp_sort_small_config_static_selectorELNS0_4arch9wavefront6targetE1EEEvSL_.private_seg_size, 0
	.set _ZN7rocprim17ROCPRIM_400000_NS6detail17trampoline_kernelINS0_14default_configENS1_36segmented_radix_sort_config_selectorI12hip_bfloat16lEEZNS1_25segmented_radix_sort_implIS3_Lb1EPKS5_PS5_PKlPlN2at6native12_GLOBAL__N_18offset_tEEE10hipError_tPvRmT1_PNSt15iterator_traitsISL_E10value_typeET2_T3_PNSM_ISR_E10value_typeET4_jRbjT5_SX_jjP12ihipStream_tbEUlT_E1_NS1_11comp_targetILNS1_3genE9ELNS1_11target_archE1100ELNS1_3gpuE3ELNS1_3repE0EEENS1_59segmented_radix_sort_warp_sort_small_config_static_selectorELNS0_4arch9wavefront6targetE1EEEvSL_.uses_vcc, 0
	.set _ZN7rocprim17ROCPRIM_400000_NS6detail17trampoline_kernelINS0_14default_configENS1_36segmented_radix_sort_config_selectorI12hip_bfloat16lEEZNS1_25segmented_radix_sort_implIS3_Lb1EPKS5_PS5_PKlPlN2at6native12_GLOBAL__N_18offset_tEEE10hipError_tPvRmT1_PNSt15iterator_traitsISL_E10value_typeET2_T3_PNSM_ISR_E10value_typeET4_jRbjT5_SX_jjP12ihipStream_tbEUlT_E1_NS1_11comp_targetILNS1_3genE9ELNS1_11target_archE1100ELNS1_3gpuE3ELNS1_3repE0EEENS1_59segmented_radix_sort_warp_sort_small_config_static_selectorELNS0_4arch9wavefront6targetE1EEEvSL_.uses_flat_scratch, 0
	.set _ZN7rocprim17ROCPRIM_400000_NS6detail17trampoline_kernelINS0_14default_configENS1_36segmented_radix_sort_config_selectorI12hip_bfloat16lEEZNS1_25segmented_radix_sort_implIS3_Lb1EPKS5_PS5_PKlPlN2at6native12_GLOBAL__N_18offset_tEEE10hipError_tPvRmT1_PNSt15iterator_traitsISL_E10value_typeET2_T3_PNSM_ISR_E10value_typeET4_jRbjT5_SX_jjP12ihipStream_tbEUlT_E1_NS1_11comp_targetILNS1_3genE9ELNS1_11target_archE1100ELNS1_3gpuE3ELNS1_3repE0EEENS1_59segmented_radix_sort_warp_sort_small_config_static_selectorELNS0_4arch9wavefront6targetE1EEEvSL_.has_dyn_sized_stack, 0
	.set _ZN7rocprim17ROCPRIM_400000_NS6detail17trampoline_kernelINS0_14default_configENS1_36segmented_radix_sort_config_selectorI12hip_bfloat16lEEZNS1_25segmented_radix_sort_implIS3_Lb1EPKS5_PS5_PKlPlN2at6native12_GLOBAL__N_18offset_tEEE10hipError_tPvRmT1_PNSt15iterator_traitsISL_E10value_typeET2_T3_PNSM_ISR_E10value_typeET4_jRbjT5_SX_jjP12ihipStream_tbEUlT_E1_NS1_11comp_targetILNS1_3genE9ELNS1_11target_archE1100ELNS1_3gpuE3ELNS1_3repE0EEENS1_59segmented_radix_sort_warp_sort_small_config_static_selectorELNS0_4arch9wavefront6targetE1EEEvSL_.has_recursion, 0
	.set _ZN7rocprim17ROCPRIM_400000_NS6detail17trampoline_kernelINS0_14default_configENS1_36segmented_radix_sort_config_selectorI12hip_bfloat16lEEZNS1_25segmented_radix_sort_implIS3_Lb1EPKS5_PS5_PKlPlN2at6native12_GLOBAL__N_18offset_tEEE10hipError_tPvRmT1_PNSt15iterator_traitsISL_E10value_typeET2_T3_PNSM_ISR_E10value_typeET4_jRbjT5_SX_jjP12ihipStream_tbEUlT_E1_NS1_11comp_targetILNS1_3genE9ELNS1_11target_archE1100ELNS1_3gpuE3ELNS1_3repE0EEENS1_59segmented_radix_sort_warp_sort_small_config_static_selectorELNS0_4arch9wavefront6targetE1EEEvSL_.has_indirect_call, 0
	.section	.AMDGPU.csdata,"",@progbits
; Kernel info:
; codeLenInByte = 0
; TotalNumSgprs: 4
; NumVgprs: 0
; ScratchSize: 0
; MemoryBound: 0
; FloatMode: 240
; IeeeMode: 1
; LDSByteSize: 0 bytes/workgroup (compile time only)
; SGPRBlocks: 0
; VGPRBlocks: 0
; NumSGPRsForWavesPerEU: 4
; NumVGPRsForWavesPerEU: 1
; Occupancy: 10
; WaveLimiterHint : 0
; COMPUTE_PGM_RSRC2:SCRATCH_EN: 0
; COMPUTE_PGM_RSRC2:USER_SGPR: 6
; COMPUTE_PGM_RSRC2:TRAP_HANDLER: 0
; COMPUTE_PGM_RSRC2:TGID_X_EN: 1
; COMPUTE_PGM_RSRC2:TGID_Y_EN: 0
; COMPUTE_PGM_RSRC2:TGID_Z_EN: 0
; COMPUTE_PGM_RSRC2:TIDIG_COMP_CNT: 0
	.section	.text._ZN7rocprim17ROCPRIM_400000_NS6detail17trampoline_kernelINS0_14default_configENS1_36segmented_radix_sort_config_selectorI12hip_bfloat16lEEZNS1_25segmented_radix_sort_implIS3_Lb1EPKS5_PS5_PKlPlN2at6native12_GLOBAL__N_18offset_tEEE10hipError_tPvRmT1_PNSt15iterator_traitsISL_E10value_typeET2_T3_PNSM_ISR_E10value_typeET4_jRbjT5_SX_jjP12ihipStream_tbEUlT_E1_NS1_11comp_targetILNS1_3genE8ELNS1_11target_archE1030ELNS1_3gpuE2ELNS1_3repE0EEENS1_59segmented_radix_sort_warp_sort_small_config_static_selectorELNS0_4arch9wavefront6targetE1EEEvSL_,"axG",@progbits,_ZN7rocprim17ROCPRIM_400000_NS6detail17trampoline_kernelINS0_14default_configENS1_36segmented_radix_sort_config_selectorI12hip_bfloat16lEEZNS1_25segmented_radix_sort_implIS3_Lb1EPKS5_PS5_PKlPlN2at6native12_GLOBAL__N_18offset_tEEE10hipError_tPvRmT1_PNSt15iterator_traitsISL_E10value_typeET2_T3_PNSM_ISR_E10value_typeET4_jRbjT5_SX_jjP12ihipStream_tbEUlT_E1_NS1_11comp_targetILNS1_3genE8ELNS1_11target_archE1030ELNS1_3gpuE2ELNS1_3repE0EEENS1_59segmented_radix_sort_warp_sort_small_config_static_selectorELNS0_4arch9wavefront6targetE1EEEvSL_,comdat
	.globl	_ZN7rocprim17ROCPRIM_400000_NS6detail17trampoline_kernelINS0_14default_configENS1_36segmented_radix_sort_config_selectorI12hip_bfloat16lEEZNS1_25segmented_radix_sort_implIS3_Lb1EPKS5_PS5_PKlPlN2at6native12_GLOBAL__N_18offset_tEEE10hipError_tPvRmT1_PNSt15iterator_traitsISL_E10value_typeET2_T3_PNSM_ISR_E10value_typeET4_jRbjT5_SX_jjP12ihipStream_tbEUlT_E1_NS1_11comp_targetILNS1_3genE8ELNS1_11target_archE1030ELNS1_3gpuE2ELNS1_3repE0EEENS1_59segmented_radix_sort_warp_sort_small_config_static_selectorELNS0_4arch9wavefront6targetE1EEEvSL_ ; -- Begin function _ZN7rocprim17ROCPRIM_400000_NS6detail17trampoline_kernelINS0_14default_configENS1_36segmented_radix_sort_config_selectorI12hip_bfloat16lEEZNS1_25segmented_radix_sort_implIS3_Lb1EPKS5_PS5_PKlPlN2at6native12_GLOBAL__N_18offset_tEEE10hipError_tPvRmT1_PNSt15iterator_traitsISL_E10value_typeET2_T3_PNSM_ISR_E10value_typeET4_jRbjT5_SX_jjP12ihipStream_tbEUlT_E1_NS1_11comp_targetILNS1_3genE8ELNS1_11target_archE1030ELNS1_3gpuE2ELNS1_3repE0EEENS1_59segmented_radix_sort_warp_sort_small_config_static_selectorELNS0_4arch9wavefront6targetE1EEEvSL_
	.p2align	8
	.type	_ZN7rocprim17ROCPRIM_400000_NS6detail17trampoline_kernelINS0_14default_configENS1_36segmented_radix_sort_config_selectorI12hip_bfloat16lEEZNS1_25segmented_radix_sort_implIS3_Lb1EPKS5_PS5_PKlPlN2at6native12_GLOBAL__N_18offset_tEEE10hipError_tPvRmT1_PNSt15iterator_traitsISL_E10value_typeET2_T3_PNSM_ISR_E10value_typeET4_jRbjT5_SX_jjP12ihipStream_tbEUlT_E1_NS1_11comp_targetILNS1_3genE8ELNS1_11target_archE1030ELNS1_3gpuE2ELNS1_3repE0EEENS1_59segmented_radix_sort_warp_sort_small_config_static_selectorELNS0_4arch9wavefront6targetE1EEEvSL_,@function
_ZN7rocprim17ROCPRIM_400000_NS6detail17trampoline_kernelINS0_14default_configENS1_36segmented_radix_sort_config_selectorI12hip_bfloat16lEEZNS1_25segmented_radix_sort_implIS3_Lb1EPKS5_PS5_PKlPlN2at6native12_GLOBAL__N_18offset_tEEE10hipError_tPvRmT1_PNSt15iterator_traitsISL_E10value_typeET2_T3_PNSM_ISR_E10value_typeET4_jRbjT5_SX_jjP12ihipStream_tbEUlT_E1_NS1_11comp_targetILNS1_3genE8ELNS1_11target_archE1030ELNS1_3gpuE2ELNS1_3repE0EEENS1_59segmented_radix_sort_warp_sort_small_config_static_selectorELNS0_4arch9wavefront6targetE1EEEvSL_: ; @_ZN7rocprim17ROCPRIM_400000_NS6detail17trampoline_kernelINS0_14default_configENS1_36segmented_radix_sort_config_selectorI12hip_bfloat16lEEZNS1_25segmented_radix_sort_implIS3_Lb1EPKS5_PS5_PKlPlN2at6native12_GLOBAL__N_18offset_tEEE10hipError_tPvRmT1_PNSt15iterator_traitsISL_E10value_typeET2_T3_PNSM_ISR_E10value_typeET4_jRbjT5_SX_jjP12ihipStream_tbEUlT_E1_NS1_11comp_targetILNS1_3genE8ELNS1_11target_archE1030ELNS1_3gpuE2ELNS1_3repE0EEENS1_59segmented_radix_sort_warp_sort_small_config_static_selectorELNS0_4arch9wavefront6targetE1EEEvSL_
; %bb.0:
	.section	.rodata,"a",@progbits
	.p2align	6, 0x0
	.amdhsa_kernel _ZN7rocprim17ROCPRIM_400000_NS6detail17trampoline_kernelINS0_14default_configENS1_36segmented_radix_sort_config_selectorI12hip_bfloat16lEEZNS1_25segmented_radix_sort_implIS3_Lb1EPKS5_PS5_PKlPlN2at6native12_GLOBAL__N_18offset_tEEE10hipError_tPvRmT1_PNSt15iterator_traitsISL_E10value_typeET2_T3_PNSM_ISR_E10value_typeET4_jRbjT5_SX_jjP12ihipStream_tbEUlT_E1_NS1_11comp_targetILNS1_3genE8ELNS1_11target_archE1030ELNS1_3gpuE2ELNS1_3repE0EEENS1_59segmented_radix_sort_warp_sort_small_config_static_selectorELNS0_4arch9wavefront6targetE1EEEvSL_
		.amdhsa_group_segment_fixed_size 0
		.amdhsa_private_segment_fixed_size 0
		.amdhsa_kernarg_size 88
		.amdhsa_user_sgpr_count 6
		.amdhsa_user_sgpr_private_segment_buffer 1
		.amdhsa_user_sgpr_dispatch_ptr 0
		.amdhsa_user_sgpr_queue_ptr 0
		.amdhsa_user_sgpr_kernarg_segment_ptr 1
		.amdhsa_user_sgpr_dispatch_id 0
		.amdhsa_user_sgpr_flat_scratch_init 0
		.amdhsa_user_sgpr_private_segment_size 0
		.amdhsa_uses_dynamic_stack 0
		.amdhsa_system_sgpr_private_segment_wavefront_offset 0
		.amdhsa_system_sgpr_workgroup_id_x 1
		.amdhsa_system_sgpr_workgroup_id_y 0
		.amdhsa_system_sgpr_workgroup_id_z 0
		.amdhsa_system_sgpr_workgroup_info 0
		.amdhsa_system_vgpr_workitem_id 0
		.amdhsa_next_free_vgpr 1
		.amdhsa_next_free_sgpr 0
		.amdhsa_reserve_vcc 0
		.amdhsa_reserve_flat_scratch 0
		.amdhsa_float_round_mode_32 0
		.amdhsa_float_round_mode_16_64 0
		.amdhsa_float_denorm_mode_32 3
		.amdhsa_float_denorm_mode_16_64 3
		.amdhsa_dx10_clamp 1
		.amdhsa_ieee_mode 1
		.amdhsa_fp16_overflow 0
		.amdhsa_exception_fp_ieee_invalid_op 0
		.amdhsa_exception_fp_denorm_src 0
		.amdhsa_exception_fp_ieee_div_zero 0
		.amdhsa_exception_fp_ieee_overflow 0
		.amdhsa_exception_fp_ieee_underflow 0
		.amdhsa_exception_fp_ieee_inexact 0
		.amdhsa_exception_int_div_zero 0
	.end_amdhsa_kernel
	.section	.text._ZN7rocprim17ROCPRIM_400000_NS6detail17trampoline_kernelINS0_14default_configENS1_36segmented_radix_sort_config_selectorI12hip_bfloat16lEEZNS1_25segmented_radix_sort_implIS3_Lb1EPKS5_PS5_PKlPlN2at6native12_GLOBAL__N_18offset_tEEE10hipError_tPvRmT1_PNSt15iterator_traitsISL_E10value_typeET2_T3_PNSM_ISR_E10value_typeET4_jRbjT5_SX_jjP12ihipStream_tbEUlT_E1_NS1_11comp_targetILNS1_3genE8ELNS1_11target_archE1030ELNS1_3gpuE2ELNS1_3repE0EEENS1_59segmented_radix_sort_warp_sort_small_config_static_selectorELNS0_4arch9wavefront6targetE1EEEvSL_,"axG",@progbits,_ZN7rocprim17ROCPRIM_400000_NS6detail17trampoline_kernelINS0_14default_configENS1_36segmented_radix_sort_config_selectorI12hip_bfloat16lEEZNS1_25segmented_radix_sort_implIS3_Lb1EPKS5_PS5_PKlPlN2at6native12_GLOBAL__N_18offset_tEEE10hipError_tPvRmT1_PNSt15iterator_traitsISL_E10value_typeET2_T3_PNSM_ISR_E10value_typeET4_jRbjT5_SX_jjP12ihipStream_tbEUlT_E1_NS1_11comp_targetILNS1_3genE8ELNS1_11target_archE1030ELNS1_3gpuE2ELNS1_3repE0EEENS1_59segmented_radix_sort_warp_sort_small_config_static_selectorELNS0_4arch9wavefront6targetE1EEEvSL_,comdat
.Lfunc_end1975:
	.size	_ZN7rocprim17ROCPRIM_400000_NS6detail17trampoline_kernelINS0_14default_configENS1_36segmented_radix_sort_config_selectorI12hip_bfloat16lEEZNS1_25segmented_radix_sort_implIS3_Lb1EPKS5_PS5_PKlPlN2at6native12_GLOBAL__N_18offset_tEEE10hipError_tPvRmT1_PNSt15iterator_traitsISL_E10value_typeET2_T3_PNSM_ISR_E10value_typeET4_jRbjT5_SX_jjP12ihipStream_tbEUlT_E1_NS1_11comp_targetILNS1_3genE8ELNS1_11target_archE1030ELNS1_3gpuE2ELNS1_3repE0EEENS1_59segmented_radix_sort_warp_sort_small_config_static_selectorELNS0_4arch9wavefront6targetE1EEEvSL_, .Lfunc_end1975-_ZN7rocprim17ROCPRIM_400000_NS6detail17trampoline_kernelINS0_14default_configENS1_36segmented_radix_sort_config_selectorI12hip_bfloat16lEEZNS1_25segmented_radix_sort_implIS3_Lb1EPKS5_PS5_PKlPlN2at6native12_GLOBAL__N_18offset_tEEE10hipError_tPvRmT1_PNSt15iterator_traitsISL_E10value_typeET2_T3_PNSM_ISR_E10value_typeET4_jRbjT5_SX_jjP12ihipStream_tbEUlT_E1_NS1_11comp_targetILNS1_3genE8ELNS1_11target_archE1030ELNS1_3gpuE2ELNS1_3repE0EEENS1_59segmented_radix_sort_warp_sort_small_config_static_selectorELNS0_4arch9wavefront6targetE1EEEvSL_
                                        ; -- End function
	.set _ZN7rocprim17ROCPRIM_400000_NS6detail17trampoline_kernelINS0_14default_configENS1_36segmented_radix_sort_config_selectorI12hip_bfloat16lEEZNS1_25segmented_radix_sort_implIS3_Lb1EPKS5_PS5_PKlPlN2at6native12_GLOBAL__N_18offset_tEEE10hipError_tPvRmT1_PNSt15iterator_traitsISL_E10value_typeET2_T3_PNSM_ISR_E10value_typeET4_jRbjT5_SX_jjP12ihipStream_tbEUlT_E1_NS1_11comp_targetILNS1_3genE8ELNS1_11target_archE1030ELNS1_3gpuE2ELNS1_3repE0EEENS1_59segmented_radix_sort_warp_sort_small_config_static_selectorELNS0_4arch9wavefront6targetE1EEEvSL_.num_vgpr, 0
	.set _ZN7rocprim17ROCPRIM_400000_NS6detail17trampoline_kernelINS0_14default_configENS1_36segmented_radix_sort_config_selectorI12hip_bfloat16lEEZNS1_25segmented_radix_sort_implIS3_Lb1EPKS5_PS5_PKlPlN2at6native12_GLOBAL__N_18offset_tEEE10hipError_tPvRmT1_PNSt15iterator_traitsISL_E10value_typeET2_T3_PNSM_ISR_E10value_typeET4_jRbjT5_SX_jjP12ihipStream_tbEUlT_E1_NS1_11comp_targetILNS1_3genE8ELNS1_11target_archE1030ELNS1_3gpuE2ELNS1_3repE0EEENS1_59segmented_radix_sort_warp_sort_small_config_static_selectorELNS0_4arch9wavefront6targetE1EEEvSL_.num_agpr, 0
	.set _ZN7rocprim17ROCPRIM_400000_NS6detail17trampoline_kernelINS0_14default_configENS1_36segmented_radix_sort_config_selectorI12hip_bfloat16lEEZNS1_25segmented_radix_sort_implIS3_Lb1EPKS5_PS5_PKlPlN2at6native12_GLOBAL__N_18offset_tEEE10hipError_tPvRmT1_PNSt15iterator_traitsISL_E10value_typeET2_T3_PNSM_ISR_E10value_typeET4_jRbjT5_SX_jjP12ihipStream_tbEUlT_E1_NS1_11comp_targetILNS1_3genE8ELNS1_11target_archE1030ELNS1_3gpuE2ELNS1_3repE0EEENS1_59segmented_radix_sort_warp_sort_small_config_static_selectorELNS0_4arch9wavefront6targetE1EEEvSL_.numbered_sgpr, 0
	.set _ZN7rocprim17ROCPRIM_400000_NS6detail17trampoline_kernelINS0_14default_configENS1_36segmented_radix_sort_config_selectorI12hip_bfloat16lEEZNS1_25segmented_radix_sort_implIS3_Lb1EPKS5_PS5_PKlPlN2at6native12_GLOBAL__N_18offset_tEEE10hipError_tPvRmT1_PNSt15iterator_traitsISL_E10value_typeET2_T3_PNSM_ISR_E10value_typeET4_jRbjT5_SX_jjP12ihipStream_tbEUlT_E1_NS1_11comp_targetILNS1_3genE8ELNS1_11target_archE1030ELNS1_3gpuE2ELNS1_3repE0EEENS1_59segmented_radix_sort_warp_sort_small_config_static_selectorELNS0_4arch9wavefront6targetE1EEEvSL_.num_named_barrier, 0
	.set _ZN7rocprim17ROCPRIM_400000_NS6detail17trampoline_kernelINS0_14default_configENS1_36segmented_radix_sort_config_selectorI12hip_bfloat16lEEZNS1_25segmented_radix_sort_implIS3_Lb1EPKS5_PS5_PKlPlN2at6native12_GLOBAL__N_18offset_tEEE10hipError_tPvRmT1_PNSt15iterator_traitsISL_E10value_typeET2_T3_PNSM_ISR_E10value_typeET4_jRbjT5_SX_jjP12ihipStream_tbEUlT_E1_NS1_11comp_targetILNS1_3genE8ELNS1_11target_archE1030ELNS1_3gpuE2ELNS1_3repE0EEENS1_59segmented_radix_sort_warp_sort_small_config_static_selectorELNS0_4arch9wavefront6targetE1EEEvSL_.private_seg_size, 0
	.set _ZN7rocprim17ROCPRIM_400000_NS6detail17trampoline_kernelINS0_14default_configENS1_36segmented_radix_sort_config_selectorI12hip_bfloat16lEEZNS1_25segmented_radix_sort_implIS3_Lb1EPKS5_PS5_PKlPlN2at6native12_GLOBAL__N_18offset_tEEE10hipError_tPvRmT1_PNSt15iterator_traitsISL_E10value_typeET2_T3_PNSM_ISR_E10value_typeET4_jRbjT5_SX_jjP12ihipStream_tbEUlT_E1_NS1_11comp_targetILNS1_3genE8ELNS1_11target_archE1030ELNS1_3gpuE2ELNS1_3repE0EEENS1_59segmented_radix_sort_warp_sort_small_config_static_selectorELNS0_4arch9wavefront6targetE1EEEvSL_.uses_vcc, 0
	.set _ZN7rocprim17ROCPRIM_400000_NS6detail17trampoline_kernelINS0_14default_configENS1_36segmented_radix_sort_config_selectorI12hip_bfloat16lEEZNS1_25segmented_radix_sort_implIS3_Lb1EPKS5_PS5_PKlPlN2at6native12_GLOBAL__N_18offset_tEEE10hipError_tPvRmT1_PNSt15iterator_traitsISL_E10value_typeET2_T3_PNSM_ISR_E10value_typeET4_jRbjT5_SX_jjP12ihipStream_tbEUlT_E1_NS1_11comp_targetILNS1_3genE8ELNS1_11target_archE1030ELNS1_3gpuE2ELNS1_3repE0EEENS1_59segmented_radix_sort_warp_sort_small_config_static_selectorELNS0_4arch9wavefront6targetE1EEEvSL_.uses_flat_scratch, 0
	.set _ZN7rocprim17ROCPRIM_400000_NS6detail17trampoline_kernelINS0_14default_configENS1_36segmented_radix_sort_config_selectorI12hip_bfloat16lEEZNS1_25segmented_radix_sort_implIS3_Lb1EPKS5_PS5_PKlPlN2at6native12_GLOBAL__N_18offset_tEEE10hipError_tPvRmT1_PNSt15iterator_traitsISL_E10value_typeET2_T3_PNSM_ISR_E10value_typeET4_jRbjT5_SX_jjP12ihipStream_tbEUlT_E1_NS1_11comp_targetILNS1_3genE8ELNS1_11target_archE1030ELNS1_3gpuE2ELNS1_3repE0EEENS1_59segmented_radix_sort_warp_sort_small_config_static_selectorELNS0_4arch9wavefront6targetE1EEEvSL_.has_dyn_sized_stack, 0
	.set _ZN7rocprim17ROCPRIM_400000_NS6detail17trampoline_kernelINS0_14default_configENS1_36segmented_radix_sort_config_selectorI12hip_bfloat16lEEZNS1_25segmented_radix_sort_implIS3_Lb1EPKS5_PS5_PKlPlN2at6native12_GLOBAL__N_18offset_tEEE10hipError_tPvRmT1_PNSt15iterator_traitsISL_E10value_typeET2_T3_PNSM_ISR_E10value_typeET4_jRbjT5_SX_jjP12ihipStream_tbEUlT_E1_NS1_11comp_targetILNS1_3genE8ELNS1_11target_archE1030ELNS1_3gpuE2ELNS1_3repE0EEENS1_59segmented_radix_sort_warp_sort_small_config_static_selectorELNS0_4arch9wavefront6targetE1EEEvSL_.has_recursion, 0
	.set _ZN7rocprim17ROCPRIM_400000_NS6detail17trampoline_kernelINS0_14default_configENS1_36segmented_radix_sort_config_selectorI12hip_bfloat16lEEZNS1_25segmented_radix_sort_implIS3_Lb1EPKS5_PS5_PKlPlN2at6native12_GLOBAL__N_18offset_tEEE10hipError_tPvRmT1_PNSt15iterator_traitsISL_E10value_typeET2_T3_PNSM_ISR_E10value_typeET4_jRbjT5_SX_jjP12ihipStream_tbEUlT_E1_NS1_11comp_targetILNS1_3genE8ELNS1_11target_archE1030ELNS1_3gpuE2ELNS1_3repE0EEENS1_59segmented_radix_sort_warp_sort_small_config_static_selectorELNS0_4arch9wavefront6targetE1EEEvSL_.has_indirect_call, 0
	.section	.AMDGPU.csdata,"",@progbits
; Kernel info:
; codeLenInByte = 0
; TotalNumSgprs: 4
; NumVgprs: 0
; ScratchSize: 0
; MemoryBound: 0
; FloatMode: 240
; IeeeMode: 1
; LDSByteSize: 0 bytes/workgroup (compile time only)
; SGPRBlocks: 0
; VGPRBlocks: 0
; NumSGPRsForWavesPerEU: 4
; NumVGPRsForWavesPerEU: 1
; Occupancy: 10
; WaveLimiterHint : 0
; COMPUTE_PGM_RSRC2:SCRATCH_EN: 0
; COMPUTE_PGM_RSRC2:USER_SGPR: 6
; COMPUTE_PGM_RSRC2:TRAP_HANDLER: 0
; COMPUTE_PGM_RSRC2:TGID_X_EN: 1
; COMPUTE_PGM_RSRC2:TGID_Y_EN: 0
; COMPUTE_PGM_RSRC2:TGID_Z_EN: 0
; COMPUTE_PGM_RSRC2:TIDIG_COMP_CNT: 0
	.section	.text._ZN7rocprim17ROCPRIM_400000_NS6detail17trampoline_kernelINS0_14default_configENS1_36segmented_radix_sort_config_selectorI12hip_bfloat16lEEZNS1_25segmented_radix_sort_implIS3_Lb1EPKS5_PS5_PKlPlN2at6native12_GLOBAL__N_18offset_tEEE10hipError_tPvRmT1_PNSt15iterator_traitsISL_E10value_typeET2_T3_PNSM_ISR_E10value_typeET4_jRbjT5_SX_jjP12ihipStream_tbEUlT_E2_NS1_11comp_targetILNS1_3genE0ELNS1_11target_archE4294967295ELNS1_3gpuE0ELNS1_3repE0EEENS1_30default_config_static_selectorELNS0_4arch9wavefront6targetE1EEEvSL_,"axG",@progbits,_ZN7rocprim17ROCPRIM_400000_NS6detail17trampoline_kernelINS0_14default_configENS1_36segmented_radix_sort_config_selectorI12hip_bfloat16lEEZNS1_25segmented_radix_sort_implIS3_Lb1EPKS5_PS5_PKlPlN2at6native12_GLOBAL__N_18offset_tEEE10hipError_tPvRmT1_PNSt15iterator_traitsISL_E10value_typeET2_T3_PNSM_ISR_E10value_typeET4_jRbjT5_SX_jjP12ihipStream_tbEUlT_E2_NS1_11comp_targetILNS1_3genE0ELNS1_11target_archE4294967295ELNS1_3gpuE0ELNS1_3repE0EEENS1_30default_config_static_selectorELNS0_4arch9wavefront6targetE1EEEvSL_,comdat
	.globl	_ZN7rocprim17ROCPRIM_400000_NS6detail17trampoline_kernelINS0_14default_configENS1_36segmented_radix_sort_config_selectorI12hip_bfloat16lEEZNS1_25segmented_radix_sort_implIS3_Lb1EPKS5_PS5_PKlPlN2at6native12_GLOBAL__N_18offset_tEEE10hipError_tPvRmT1_PNSt15iterator_traitsISL_E10value_typeET2_T3_PNSM_ISR_E10value_typeET4_jRbjT5_SX_jjP12ihipStream_tbEUlT_E2_NS1_11comp_targetILNS1_3genE0ELNS1_11target_archE4294967295ELNS1_3gpuE0ELNS1_3repE0EEENS1_30default_config_static_selectorELNS0_4arch9wavefront6targetE1EEEvSL_ ; -- Begin function _ZN7rocprim17ROCPRIM_400000_NS6detail17trampoline_kernelINS0_14default_configENS1_36segmented_radix_sort_config_selectorI12hip_bfloat16lEEZNS1_25segmented_radix_sort_implIS3_Lb1EPKS5_PS5_PKlPlN2at6native12_GLOBAL__N_18offset_tEEE10hipError_tPvRmT1_PNSt15iterator_traitsISL_E10value_typeET2_T3_PNSM_ISR_E10value_typeET4_jRbjT5_SX_jjP12ihipStream_tbEUlT_E2_NS1_11comp_targetILNS1_3genE0ELNS1_11target_archE4294967295ELNS1_3gpuE0ELNS1_3repE0EEENS1_30default_config_static_selectorELNS0_4arch9wavefront6targetE1EEEvSL_
	.p2align	8
	.type	_ZN7rocprim17ROCPRIM_400000_NS6detail17trampoline_kernelINS0_14default_configENS1_36segmented_radix_sort_config_selectorI12hip_bfloat16lEEZNS1_25segmented_radix_sort_implIS3_Lb1EPKS5_PS5_PKlPlN2at6native12_GLOBAL__N_18offset_tEEE10hipError_tPvRmT1_PNSt15iterator_traitsISL_E10value_typeET2_T3_PNSM_ISR_E10value_typeET4_jRbjT5_SX_jjP12ihipStream_tbEUlT_E2_NS1_11comp_targetILNS1_3genE0ELNS1_11target_archE4294967295ELNS1_3gpuE0ELNS1_3repE0EEENS1_30default_config_static_selectorELNS0_4arch9wavefront6targetE1EEEvSL_,@function
_ZN7rocprim17ROCPRIM_400000_NS6detail17trampoline_kernelINS0_14default_configENS1_36segmented_radix_sort_config_selectorI12hip_bfloat16lEEZNS1_25segmented_radix_sort_implIS3_Lb1EPKS5_PS5_PKlPlN2at6native12_GLOBAL__N_18offset_tEEE10hipError_tPvRmT1_PNSt15iterator_traitsISL_E10value_typeET2_T3_PNSM_ISR_E10value_typeET4_jRbjT5_SX_jjP12ihipStream_tbEUlT_E2_NS1_11comp_targetILNS1_3genE0ELNS1_11target_archE4294967295ELNS1_3gpuE0ELNS1_3repE0EEENS1_30default_config_static_selectorELNS0_4arch9wavefront6targetE1EEEvSL_: ; @_ZN7rocprim17ROCPRIM_400000_NS6detail17trampoline_kernelINS0_14default_configENS1_36segmented_radix_sort_config_selectorI12hip_bfloat16lEEZNS1_25segmented_radix_sort_implIS3_Lb1EPKS5_PS5_PKlPlN2at6native12_GLOBAL__N_18offset_tEEE10hipError_tPvRmT1_PNSt15iterator_traitsISL_E10value_typeET2_T3_PNSM_ISR_E10value_typeET4_jRbjT5_SX_jjP12ihipStream_tbEUlT_E2_NS1_11comp_targetILNS1_3genE0ELNS1_11target_archE4294967295ELNS1_3gpuE0ELNS1_3repE0EEENS1_30default_config_static_selectorELNS0_4arch9wavefront6targetE1EEEvSL_
; %bb.0:
	.section	.rodata,"a",@progbits
	.p2align	6, 0x0
	.amdhsa_kernel _ZN7rocprim17ROCPRIM_400000_NS6detail17trampoline_kernelINS0_14default_configENS1_36segmented_radix_sort_config_selectorI12hip_bfloat16lEEZNS1_25segmented_radix_sort_implIS3_Lb1EPKS5_PS5_PKlPlN2at6native12_GLOBAL__N_18offset_tEEE10hipError_tPvRmT1_PNSt15iterator_traitsISL_E10value_typeET2_T3_PNSM_ISR_E10value_typeET4_jRbjT5_SX_jjP12ihipStream_tbEUlT_E2_NS1_11comp_targetILNS1_3genE0ELNS1_11target_archE4294967295ELNS1_3gpuE0ELNS1_3repE0EEENS1_30default_config_static_selectorELNS0_4arch9wavefront6targetE1EEEvSL_
		.amdhsa_group_segment_fixed_size 0
		.amdhsa_private_segment_fixed_size 0
		.amdhsa_kernarg_size 80
		.amdhsa_user_sgpr_count 6
		.amdhsa_user_sgpr_private_segment_buffer 1
		.amdhsa_user_sgpr_dispatch_ptr 0
		.amdhsa_user_sgpr_queue_ptr 0
		.amdhsa_user_sgpr_kernarg_segment_ptr 1
		.amdhsa_user_sgpr_dispatch_id 0
		.amdhsa_user_sgpr_flat_scratch_init 0
		.amdhsa_user_sgpr_private_segment_size 0
		.amdhsa_uses_dynamic_stack 0
		.amdhsa_system_sgpr_private_segment_wavefront_offset 0
		.amdhsa_system_sgpr_workgroup_id_x 1
		.amdhsa_system_sgpr_workgroup_id_y 0
		.amdhsa_system_sgpr_workgroup_id_z 0
		.amdhsa_system_sgpr_workgroup_info 0
		.amdhsa_system_vgpr_workitem_id 0
		.amdhsa_next_free_vgpr 1
		.amdhsa_next_free_sgpr 0
		.amdhsa_reserve_vcc 0
		.amdhsa_reserve_flat_scratch 0
		.amdhsa_float_round_mode_32 0
		.amdhsa_float_round_mode_16_64 0
		.amdhsa_float_denorm_mode_32 3
		.amdhsa_float_denorm_mode_16_64 3
		.amdhsa_dx10_clamp 1
		.amdhsa_ieee_mode 1
		.amdhsa_fp16_overflow 0
		.amdhsa_exception_fp_ieee_invalid_op 0
		.amdhsa_exception_fp_denorm_src 0
		.amdhsa_exception_fp_ieee_div_zero 0
		.amdhsa_exception_fp_ieee_overflow 0
		.amdhsa_exception_fp_ieee_underflow 0
		.amdhsa_exception_fp_ieee_inexact 0
		.amdhsa_exception_int_div_zero 0
	.end_amdhsa_kernel
	.section	.text._ZN7rocprim17ROCPRIM_400000_NS6detail17trampoline_kernelINS0_14default_configENS1_36segmented_radix_sort_config_selectorI12hip_bfloat16lEEZNS1_25segmented_radix_sort_implIS3_Lb1EPKS5_PS5_PKlPlN2at6native12_GLOBAL__N_18offset_tEEE10hipError_tPvRmT1_PNSt15iterator_traitsISL_E10value_typeET2_T3_PNSM_ISR_E10value_typeET4_jRbjT5_SX_jjP12ihipStream_tbEUlT_E2_NS1_11comp_targetILNS1_3genE0ELNS1_11target_archE4294967295ELNS1_3gpuE0ELNS1_3repE0EEENS1_30default_config_static_selectorELNS0_4arch9wavefront6targetE1EEEvSL_,"axG",@progbits,_ZN7rocprim17ROCPRIM_400000_NS6detail17trampoline_kernelINS0_14default_configENS1_36segmented_radix_sort_config_selectorI12hip_bfloat16lEEZNS1_25segmented_radix_sort_implIS3_Lb1EPKS5_PS5_PKlPlN2at6native12_GLOBAL__N_18offset_tEEE10hipError_tPvRmT1_PNSt15iterator_traitsISL_E10value_typeET2_T3_PNSM_ISR_E10value_typeET4_jRbjT5_SX_jjP12ihipStream_tbEUlT_E2_NS1_11comp_targetILNS1_3genE0ELNS1_11target_archE4294967295ELNS1_3gpuE0ELNS1_3repE0EEENS1_30default_config_static_selectorELNS0_4arch9wavefront6targetE1EEEvSL_,comdat
.Lfunc_end1976:
	.size	_ZN7rocprim17ROCPRIM_400000_NS6detail17trampoline_kernelINS0_14default_configENS1_36segmented_radix_sort_config_selectorI12hip_bfloat16lEEZNS1_25segmented_radix_sort_implIS3_Lb1EPKS5_PS5_PKlPlN2at6native12_GLOBAL__N_18offset_tEEE10hipError_tPvRmT1_PNSt15iterator_traitsISL_E10value_typeET2_T3_PNSM_ISR_E10value_typeET4_jRbjT5_SX_jjP12ihipStream_tbEUlT_E2_NS1_11comp_targetILNS1_3genE0ELNS1_11target_archE4294967295ELNS1_3gpuE0ELNS1_3repE0EEENS1_30default_config_static_selectorELNS0_4arch9wavefront6targetE1EEEvSL_, .Lfunc_end1976-_ZN7rocprim17ROCPRIM_400000_NS6detail17trampoline_kernelINS0_14default_configENS1_36segmented_radix_sort_config_selectorI12hip_bfloat16lEEZNS1_25segmented_radix_sort_implIS3_Lb1EPKS5_PS5_PKlPlN2at6native12_GLOBAL__N_18offset_tEEE10hipError_tPvRmT1_PNSt15iterator_traitsISL_E10value_typeET2_T3_PNSM_ISR_E10value_typeET4_jRbjT5_SX_jjP12ihipStream_tbEUlT_E2_NS1_11comp_targetILNS1_3genE0ELNS1_11target_archE4294967295ELNS1_3gpuE0ELNS1_3repE0EEENS1_30default_config_static_selectorELNS0_4arch9wavefront6targetE1EEEvSL_
                                        ; -- End function
	.set _ZN7rocprim17ROCPRIM_400000_NS6detail17trampoline_kernelINS0_14default_configENS1_36segmented_radix_sort_config_selectorI12hip_bfloat16lEEZNS1_25segmented_radix_sort_implIS3_Lb1EPKS5_PS5_PKlPlN2at6native12_GLOBAL__N_18offset_tEEE10hipError_tPvRmT1_PNSt15iterator_traitsISL_E10value_typeET2_T3_PNSM_ISR_E10value_typeET4_jRbjT5_SX_jjP12ihipStream_tbEUlT_E2_NS1_11comp_targetILNS1_3genE0ELNS1_11target_archE4294967295ELNS1_3gpuE0ELNS1_3repE0EEENS1_30default_config_static_selectorELNS0_4arch9wavefront6targetE1EEEvSL_.num_vgpr, 0
	.set _ZN7rocprim17ROCPRIM_400000_NS6detail17trampoline_kernelINS0_14default_configENS1_36segmented_radix_sort_config_selectorI12hip_bfloat16lEEZNS1_25segmented_radix_sort_implIS3_Lb1EPKS5_PS5_PKlPlN2at6native12_GLOBAL__N_18offset_tEEE10hipError_tPvRmT1_PNSt15iterator_traitsISL_E10value_typeET2_T3_PNSM_ISR_E10value_typeET4_jRbjT5_SX_jjP12ihipStream_tbEUlT_E2_NS1_11comp_targetILNS1_3genE0ELNS1_11target_archE4294967295ELNS1_3gpuE0ELNS1_3repE0EEENS1_30default_config_static_selectorELNS0_4arch9wavefront6targetE1EEEvSL_.num_agpr, 0
	.set _ZN7rocprim17ROCPRIM_400000_NS6detail17trampoline_kernelINS0_14default_configENS1_36segmented_radix_sort_config_selectorI12hip_bfloat16lEEZNS1_25segmented_radix_sort_implIS3_Lb1EPKS5_PS5_PKlPlN2at6native12_GLOBAL__N_18offset_tEEE10hipError_tPvRmT1_PNSt15iterator_traitsISL_E10value_typeET2_T3_PNSM_ISR_E10value_typeET4_jRbjT5_SX_jjP12ihipStream_tbEUlT_E2_NS1_11comp_targetILNS1_3genE0ELNS1_11target_archE4294967295ELNS1_3gpuE0ELNS1_3repE0EEENS1_30default_config_static_selectorELNS0_4arch9wavefront6targetE1EEEvSL_.numbered_sgpr, 0
	.set _ZN7rocprim17ROCPRIM_400000_NS6detail17trampoline_kernelINS0_14default_configENS1_36segmented_radix_sort_config_selectorI12hip_bfloat16lEEZNS1_25segmented_radix_sort_implIS3_Lb1EPKS5_PS5_PKlPlN2at6native12_GLOBAL__N_18offset_tEEE10hipError_tPvRmT1_PNSt15iterator_traitsISL_E10value_typeET2_T3_PNSM_ISR_E10value_typeET4_jRbjT5_SX_jjP12ihipStream_tbEUlT_E2_NS1_11comp_targetILNS1_3genE0ELNS1_11target_archE4294967295ELNS1_3gpuE0ELNS1_3repE0EEENS1_30default_config_static_selectorELNS0_4arch9wavefront6targetE1EEEvSL_.num_named_barrier, 0
	.set _ZN7rocprim17ROCPRIM_400000_NS6detail17trampoline_kernelINS0_14default_configENS1_36segmented_radix_sort_config_selectorI12hip_bfloat16lEEZNS1_25segmented_radix_sort_implIS3_Lb1EPKS5_PS5_PKlPlN2at6native12_GLOBAL__N_18offset_tEEE10hipError_tPvRmT1_PNSt15iterator_traitsISL_E10value_typeET2_T3_PNSM_ISR_E10value_typeET4_jRbjT5_SX_jjP12ihipStream_tbEUlT_E2_NS1_11comp_targetILNS1_3genE0ELNS1_11target_archE4294967295ELNS1_3gpuE0ELNS1_3repE0EEENS1_30default_config_static_selectorELNS0_4arch9wavefront6targetE1EEEvSL_.private_seg_size, 0
	.set _ZN7rocprim17ROCPRIM_400000_NS6detail17trampoline_kernelINS0_14default_configENS1_36segmented_radix_sort_config_selectorI12hip_bfloat16lEEZNS1_25segmented_radix_sort_implIS3_Lb1EPKS5_PS5_PKlPlN2at6native12_GLOBAL__N_18offset_tEEE10hipError_tPvRmT1_PNSt15iterator_traitsISL_E10value_typeET2_T3_PNSM_ISR_E10value_typeET4_jRbjT5_SX_jjP12ihipStream_tbEUlT_E2_NS1_11comp_targetILNS1_3genE0ELNS1_11target_archE4294967295ELNS1_3gpuE0ELNS1_3repE0EEENS1_30default_config_static_selectorELNS0_4arch9wavefront6targetE1EEEvSL_.uses_vcc, 0
	.set _ZN7rocprim17ROCPRIM_400000_NS6detail17trampoline_kernelINS0_14default_configENS1_36segmented_radix_sort_config_selectorI12hip_bfloat16lEEZNS1_25segmented_radix_sort_implIS3_Lb1EPKS5_PS5_PKlPlN2at6native12_GLOBAL__N_18offset_tEEE10hipError_tPvRmT1_PNSt15iterator_traitsISL_E10value_typeET2_T3_PNSM_ISR_E10value_typeET4_jRbjT5_SX_jjP12ihipStream_tbEUlT_E2_NS1_11comp_targetILNS1_3genE0ELNS1_11target_archE4294967295ELNS1_3gpuE0ELNS1_3repE0EEENS1_30default_config_static_selectorELNS0_4arch9wavefront6targetE1EEEvSL_.uses_flat_scratch, 0
	.set _ZN7rocprim17ROCPRIM_400000_NS6detail17trampoline_kernelINS0_14default_configENS1_36segmented_radix_sort_config_selectorI12hip_bfloat16lEEZNS1_25segmented_radix_sort_implIS3_Lb1EPKS5_PS5_PKlPlN2at6native12_GLOBAL__N_18offset_tEEE10hipError_tPvRmT1_PNSt15iterator_traitsISL_E10value_typeET2_T3_PNSM_ISR_E10value_typeET4_jRbjT5_SX_jjP12ihipStream_tbEUlT_E2_NS1_11comp_targetILNS1_3genE0ELNS1_11target_archE4294967295ELNS1_3gpuE0ELNS1_3repE0EEENS1_30default_config_static_selectorELNS0_4arch9wavefront6targetE1EEEvSL_.has_dyn_sized_stack, 0
	.set _ZN7rocprim17ROCPRIM_400000_NS6detail17trampoline_kernelINS0_14default_configENS1_36segmented_radix_sort_config_selectorI12hip_bfloat16lEEZNS1_25segmented_radix_sort_implIS3_Lb1EPKS5_PS5_PKlPlN2at6native12_GLOBAL__N_18offset_tEEE10hipError_tPvRmT1_PNSt15iterator_traitsISL_E10value_typeET2_T3_PNSM_ISR_E10value_typeET4_jRbjT5_SX_jjP12ihipStream_tbEUlT_E2_NS1_11comp_targetILNS1_3genE0ELNS1_11target_archE4294967295ELNS1_3gpuE0ELNS1_3repE0EEENS1_30default_config_static_selectorELNS0_4arch9wavefront6targetE1EEEvSL_.has_recursion, 0
	.set _ZN7rocprim17ROCPRIM_400000_NS6detail17trampoline_kernelINS0_14default_configENS1_36segmented_radix_sort_config_selectorI12hip_bfloat16lEEZNS1_25segmented_radix_sort_implIS3_Lb1EPKS5_PS5_PKlPlN2at6native12_GLOBAL__N_18offset_tEEE10hipError_tPvRmT1_PNSt15iterator_traitsISL_E10value_typeET2_T3_PNSM_ISR_E10value_typeET4_jRbjT5_SX_jjP12ihipStream_tbEUlT_E2_NS1_11comp_targetILNS1_3genE0ELNS1_11target_archE4294967295ELNS1_3gpuE0ELNS1_3repE0EEENS1_30default_config_static_selectorELNS0_4arch9wavefront6targetE1EEEvSL_.has_indirect_call, 0
	.section	.AMDGPU.csdata,"",@progbits
; Kernel info:
; codeLenInByte = 0
; TotalNumSgprs: 4
; NumVgprs: 0
; ScratchSize: 0
; MemoryBound: 0
; FloatMode: 240
; IeeeMode: 1
; LDSByteSize: 0 bytes/workgroup (compile time only)
; SGPRBlocks: 0
; VGPRBlocks: 0
; NumSGPRsForWavesPerEU: 4
; NumVGPRsForWavesPerEU: 1
; Occupancy: 10
; WaveLimiterHint : 0
; COMPUTE_PGM_RSRC2:SCRATCH_EN: 0
; COMPUTE_PGM_RSRC2:USER_SGPR: 6
; COMPUTE_PGM_RSRC2:TRAP_HANDLER: 0
; COMPUTE_PGM_RSRC2:TGID_X_EN: 1
; COMPUTE_PGM_RSRC2:TGID_Y_EN: 0
; COMPUTE_PGM_RSRC2:TGID_Z_EN: 0
; COMPUTE_PGM_RSRC2:TIDIG_COMP_CNT: 0
	.section	.text._ZN7rocprim17ROCPRIM_400000_NS6detail17trampoline_kernelINS0_14default_configENS1_36segmented_radix_sort_config_selectorI12hip_bfloat16lEEZNS1_25segmented_radix_sort_implIS3_Lb1EPKS5_PS5_PKlPlN2at6native12_GLOBAL__N_18offset_tEEE10hipError_tPvRmT1_PNSt15iterator_traitsISL_E10value_typeET2_T3_PNSM_ISR_E10value_typeET4_jRbjT5_SX_jjP12ihipStream_tbEUlT_E2_NS1_11comp_targetILNS1_3genE5ELNS1_11target_archE942ELNS1_3gpuE9ELNS1_3repE0EEENS1_30default_config_static_selectorELNS0_4arch9wavefront6targetE1EEEvSL_,"axG",@progbits,_ZN7rocprim17ROCPRIM_400000_NS6detail17trampoline_kernelINS0_14default_configENS1_36segmented_radix_sort_config_selectorI12hip_bfloat16lEEZNS1_25segmented_radix_sort_implIS3_Lb1EPKS5_PS5_PKlPlN2at6native12_GLOBAL__N_18offset_tEEE10hipError_tPvRmT1_PNSt15iterator_traitsISL_E10value_typeET2_T3_PNSM_ISR_E10value_typeET4_jRbjT5_SX_jjP12ihipStream_tbEUlT_E2_NS1_11comp_targetILNS1_3genE5ELNS1_11target_archE942ELNS1_3gpuE9ELNS1_3repE0EEENS1_30default_config_static_selectorELNS0_4arch9wavefront6targetE1EEEvSL_,comdat
	.globl	_ZN7rocprim17ROCPRIM_400000_NS6detail17trampoline_kernelINS0_14default_configENS1_36segmented_radix_sort_config_selectorI12hip_bfloat16lEEZNS1_25segmented_radix_sort_implIS3_Lb1EPKS5_PS5_PKlPlN2at6native12_GLOBAL__N_18offset_tEEE10hipError_tPvRmT1_PNSt15iterator_traitsISL_E10value_typeET2_T3_PNSM_ISR_E10value_typeET4_jRbjT5_SX_jjP12ihipStream_tbEUlT_E2_NS1_11comp_targetILNS1_3genE5ELNS1_11target_archE942ELNS1_3gpuE9ELNS1_3repE0EEENS1_30default_config_static_selectorELNS0_4arch9wavefront6targetE1EEEvSL_ ; -- Begin function _ZN7rocprim17ROCPRIM_400000_NS6detail17trampoline_kernelINS0_14default_configENS1_36segmented_radix_sort_config_selectorI12hip_bfloat16lEEZNS1_25segmented_radix_sort_implIS3_Lb1EPKS5_PS5_PKlPlN2at6native12_GLOBAL__N_18offset_tEEE10hipError_tPvRmT1_PNSt15iterator_traitsISL_E10value_typeET2_T3_PNSM_ISR_E10value_typeET4_jRbjT5_SX_jjP12ihipStream_tbEUlT_E2_NS1_11comp_targetILNS1_3genE5ELNS1_11target_archE942ELNS1_3gpuE9ELNS1_3repE0EEENS1_30default_config_static_selectorELNS0_4arch9wavefront6targetE1EEEvSL_
	.p2align	8
	.type	_ZN7rocprim17ROCPRIM_400000_NS6detail17trampoline_kernelINS0_14default_configENS1_36segmented_radix_sort_config_selectorI12hip_bfloat16lEEZNS1_25segmented_radix_sort_implIS3_Lb1EPKS5_PS5_PKlPlN2at6native12_GLOBAL__N_18offset_tEEE10hipError_tPvRmT1_PNSt15iterator_traitsISL_E10value_typeET2_T3_PNSM_ISR_E10value_typeET4_jRbjT5_SX_jjP12ihipStream_tbEUlT_E2_NS1_11comp_targetILNS1_3genE5ELNS1_11target_archE942ELNS1_3gpuE9ELNS1_3repE0EEENS1_30default_config_static_selectorELNS0_4arch9wavefront6targetE1EEEvSL_,@function
_ZN7rocprim17ROCPRIM_400000_NS6detail17trampoline_kernelINS0_14default_configENS1_36segmented_radix_sort_config_selectorI12hip_bfloat16lEEZNS1_25segmented_radix_sort_implIS3_Lb1EPKS5_PS5_PKlPlN2at6native12_GLOBAL__N_18offset_tEEE10hipError_tPvRmT1_PNSt15iterator_traitsISL_E10value_typeET2_T3_PNSM_ISR_E10value_typeET4_jRbjT5_SX_jjP12ihipStream_tbEUlT_E2_NS1_11comp_targetILNS1_3genE5ELNS1_11target_archE942ELNS1_3gpuE9ELNS1_3repE0EEENS1_30default_config_static_selectorELNS0_4arch9wavefront6targetE1EEEvSL_: ; @_ZN7rocprim17ROCPRIM_400000_NS6detail17trampoline_kernelINS0_14default_configENS1_36segmented_radix_sort_config_selectorI12hip_bfloat16lEEZNS1_25segmented_radix_sort_implIS3_Lb1EPKS5_PS5_PKlPlN2at6native12_GLOBAL__N_18offset_tEEE10hipError_tPvRmT1_PNSt15iterator_traitsISL_E10value_typeET2_T3_PNSM_ISR_E10value_typeET4_jRbjT5_SX_jjP12ihipStream_tbEUlT_E2_NS1_11comp_targetILNS1_3genE5ELNS1_11target_archE942ELNS1_3gpuE9ELNS1_3repE0EEENS1_30default_config_static_selectorELNS0_4arch9wavefront6targetE1EEEvSL_
; %bb.0:
	.section	.rodata,"a",@progbits
	.p2align	6, 0x0
	.amdhsa_kernel _ZN7rocprim17ROCPRIM_400000_NS6detail17trampoline_kernelINS0_14default_configENS1_36segmented_radix_sort_config_selectorI12hip_bfloat16lEEZNS1_25segmented_radix_sort_implIS3_Lb1EPKS5_PS5_PKlPlN2at6native12_GLOBAL__N_18offset_tEEE10hipError_tPvRmT1_PNSt15iterator_traitsISL_E10value_typeET2_T3_PNSM_ISR_E10value_typeET4_jRbjT5_SX_jjP12ihipStream_tbEUlT_E2_NS1_11comp_targetILNS1_3genE5ELNS1_11target_archE942ELNS1_3gpuE9ELNS1_3repE0EEENS1_30default_config_static_selectorELNS0_4arch9wavefront6targetE1EEEvSL_
		.amdhsa_group_segment_fixed_size 0
		.amdhsa_private_segment_fixed_size 0
		.amdhsa_kernarg_size 80
		.amdhsa_user_sgpr_count 6
		.amdhsa_user_sgpr_private_segment_buffer 1
		.amdhsa_user_sgpr_dispatch_ptr 0
		.amdhsa_user_sgpr_queue_ptr 0
		.amdhsa_user_sgpr_kernarg_segment_ptr 1
		.amdhsa_user_sgpr_dispatch_id 0
		.amdhsa_user_sgpr_flat_scratch_init 0
		.amdhsa_user_sgpr_private_segment_size 0
		.amdhsa_uses_dynamic_stack 0
		.amdhsa_system_sgpr_private_segment_wavefront_offset 0
		.amdhsa_system_sgpr_workgroup_id_x 1
		.amdhsa_system_sgpr_workgroup_id_y 0
		.amdhsa_system_sgpr_workgroup_id_z 0
		.amdhsa_system_sgpr_workgroup_info 0
		.amdhsa_system_vgpr_workitem_id 0
		.amdhsa_next_free_vgpr 1
		.amdhsa_next_free_sgpr 0
		.amdhsa_reserve_vcc 0
		.amdhsa_reserve_flat_scratch 0
		.amdhsa_float_round_mode_32 0
		.amdhsa_float_round_mode_16_64 0
		.amdhsa_float_denorm_mode_32 3
		.amdhsa_float_denorm_mode_16_64 3
		.amdhsa_dx10_clamp 1
		.amdhsa_ieee_mode 1
		.amdhsa_fp16_overflow 0
		.amdhsa_exception_fp_ieee_invalid_op 0
		.amdhsa_exception_fp_denorm_src 0
		.amdhsa_exception_fp_ieee_div_zero 0
		.amdhsa_exception_fp_ieee_overflow 0
		.amdhsa_exception_fp_ieee_underflow 0
		.amdhsa_exception_fp_ieee_inexact 0
		.amdhsa_exception_int_div_zero 0
	.end_amdhsa_kernel
	.section	.text._ZN7rocprim17ROCPRIM_400000_NS6detail17trampoline_kernelINS0_14default_configENS1_36segmented_radix_sort_config_selectorI12hip_bfloat16lEEZNS1_25segmented_radix_sort_implIS3_Lb1EPKS5_PS5_PKlPlN2at6native12_GLOBAL__N_18offset_tEEE10hipError_tPvRmT1_PNSt15iterator_traitsISL_E10value_typeET2_T3_PNSM_ISR_E10value_typeET4_jRbjT5_SX_jjP12ihipStream_tbEUlT_E2_NS1_11comp_targetILNS1_3genE5ELNS1_11target_archE942ELNS1_3gpuE9ELNS1_3repE0EEENS1_30default_config_static_selectorELNS0_4arch9wavefront6targetE1EEEvSL_,"axG",@progbits,_ZN7rocprim17ROCPRIM_400000_NS6detail17trampoline_kernelINS0_14default_configENS1_36segmented_radix_sort_config_selectorI12hip_bfloat16lEEZNS1_25segmented_radix_sort_implIS3_Lb1EPKS5_PS5_PKlPlN2at6native12_GLOBAL__N_18offset_tEEE10hipError_tPvRmT1_PNSt15iterator_traitsISL_E10value_typeET2_T3_PNSM_ISR_E10value_typeET4_jRbjT5_SX_jjP12ihipStream_tbEUlT_E2_NS1_11comp_targetILNS1_3genE5ELNS1_11target_archE942ELNS1_3gpuE9ELNS1_3repE0EEENS1_30default_config_static_selectorELNS0_4arch9wavefront6targetE1EEEvSL_,comdat
.Lfunc_end1977:
	.size	_ZN7rocprim17ROCPRIM_400000_NS6detail17trampoline_kernelINS0_14default_configENS1_36segmented_radix_sort_config_selectorI12hip_bfloat16lEEZNS1_25segmented_radix_sort_implIS3_Lb1EPKS5_PS5_PKlPlN2at6native12_GLOBAL__N_18offset_tEEE10hipError_tPvRmT1_PNSt15iterator_traitsISL_E10value_typeET2_T3_PNSM_ISR_E10value_typeET4_jRbjT5_SX_jjP12ihipStream_tbEUlT_E2_NS1_11comp_targetILNS1_3genE5ELNS1_11target_archE942ELNS1_3gpuE9ELNS1_3repE0EEENS1_30default_config_static_selectorELNS0_4arch9wavefront6targetE1EEEvSL_, .Lfunc_end1977-_ZN7rocprim17ROCPRIM_400000_NS6detail17trampoline_kernelINS0_14default_configENS1_36segmented_radix_sort_config_selectorI12hip_bfloat16lEEZNS1_25segmented_radix_sort_implIS3_Lb1EPKS5_PS5_PKlPlN2at6native12_GLOBAL__N_18offset_tEEE10hipError_tPvRmT1_PNSt15iterator_traitsISL_E10value_typeET2_T3_PNSM_ISR_E10value_typeET4_jRbjT5_SX_jjP12ihipStream_tbEUlT_E2_NS1_11comp_targetILNS1_3genE5ELNS1_11target_archE942ELNS1_3gpuE9ELNS1_3repE0EEENS1_30default_config_static_selectorELNS0_4arch9wavefront6targetE1EEEvSL_
                                        ; -- End function
	.set _ZN7rocprim17ROCPRIM_400000_NS6detail17trampoline_kernelINS0_14default_configENS1_36segmented_radix_sort_config_selectorI12hip_bfloat16lEEZNS1_25segmented_radix_sort_implIS3_Lb1EPKS5_PS5_PKlPlN2at6native12_GLOBAL__N_18offset_tEEE10hipError_tPvRmT1_PNSt15iterator_traitsISL_E10value_typeET2_T3_PNSM_ISR_E10value_typeET4_jRbjT5_SX_jjP12ihipStream_tbEUlT_E2_NS1_11comp_targetILNS1_3genE5ELNS1_11target_archE942ELNS1_3gpuE9ELNS1_3repE0EEENS1_30default_config_static_selectorELNS0_4arch9wavefront6targetE1EEEvSL_.num_vgpr, 0
	.set _ZN7rocprim17ROCPRIM_400000_NS6detail17trampoline_kernelINS0_14default_configENS1_36segmented_radix_sort_config_selectorI12hip_bfloat16lEEZNS1_25segmented_radix_sort_implIS3_Lb1EPKS5_PS5_PKlPlN2at6native12_GLOBAL__N_18offset_tEEE10hipError_tPvRmT1_PNSt15iterator_traitsISL_E10value_typeET2_T3_PNSM_ISR_E10value_typeET4_jRbjT5_SX_jjP12ihipStream_tbEUlT_E2_NS1_11comp_targetILNS1_3genE5ELNS1_11target_archE942ELNS1_3gpuE9ELNS1_3repE0EEENS1_30default_config_static_selectorELNS0_4arch9wavefront6targetE1EEEvSL_.num_agpr, 0
	.set _ZN7rocprim17ROCPRIM_400000_NS6detail17trampoline_kernelINS0_14default_configENS1_36segmented_radix_sort_config_selectorI12hip_bfloat16lEEZNS1_25segmented_radix_sort_implIS3_Lb1EPKS5_PS5_PKlPlN2at6native12_GLOBAL__N_18offset_tEEE10hipError_tPvRmT1_PNSt15iterator_traitsISL_E10value_typeET2_T3_PNSM_ISR_E10value_typeET4_jRbjT5_SX_jjP12ihipStream_tbEUlT_E2_NS1_11comp_targetILNS1_3genE5ELNS1_11target_archE942ELNS1_3gpuE9ELNS1_3repE0EEENS1_30default_config_static_selectorELNS0_4arch9wavefront6targetE1EEEvSL_.numbered_sgpr, 0
	.set _ZN7rocprim17ROCPRIM_400000_NS6detail17trampoline_kernelINS0_14default_configENS1_36segmented_radix_sort_config_selectorI12hip_bfloat16lEEZNS1_25segmented_radix_sort_implIS3_Lb1EPKS5_PS5_PKlPlN2at6native12_GLOBAL__N_18offset_tEEE10hipError_tPvRmT1_PNSt15iterator_traitsISL_E10value_typeET2_T3_PNSM_ISR_E10value_typeET4_jRbjT5_SX_jjP12ihipStream_tbEUlT_E2_NS1_11comp_targetILNS1_3genE5ELNS1_11target_archE942ELNS1_3gpuE9ELNS1_3repE0EEENS1_30default_config_static_selectorELNS0_4arch9wavefront6targetE1EEEvSL_.num_named_barrier, 0
	.set _ZN7rocprim17ROCPRIM_400000_NS6detail17trampoline_kernelINS0_14default_configENS1_36segmented_radix_sort_config_selectorI12hip_bfloat16lEEZNS1_25segmented_radix_sort_implIS3_Lb1EPKS5_PS5_PKlPlN2at6native12_GLOBAL__N_18offset_tEEE10hipError_tPvRmT1_PNSt15iterator_traitsISL_E10value_typeET2_T3_PNSM_ISR_E10value_typeET4_jRbjT5_SX_jjP12ihipStream_tbEUlT_E2_NS1_11comp_targetILNS1_3genE5ELNS1_11target_archE942ELNS1_3gpuE9ELNS1_3repE0EEENS1_30default_config_static_selectorELNS0_4arch9wavefront6targetE1EEEvSL_.private_seg_size, 0
	.set _ZN7rocprim17ROCPRIM_400000_NS6detail17trampoline_kernelINS0_14default_configENS1_36segmented_radix_sort_config_selectorI12hip_bfloat16lEEZNS1_25segmented_radix_sort_implIS3_Lb1EPKS5_PS5_PKlPlN2at6native12_GLOBAL__N_18offset_tEEE10hipError_tPvRmT1_PNSt15iterator_traitsISL_E10value_typeET2_T3_PNSM_ISR_E10value_typeET4_jRbjT5_SX_jjP12ihipStream_tbEUlT_E2_NS1_11comp_targetILNS1_3genE5ELNS1_11target_archE942ELNS1_3gpuE9ELNS1_3repE0EEENS1_30default_config_static_selectorELNS0_4arch9wavefront6targetE1EEEvSL_.uses_vcc, 0
	.set _ZN7rocprim17ROCPRIM_400000_NS6detail17trampoline_kernelINS0_14default_configENS1_36segmented_radix_sort_config_selectorI12hip_bfloat16lEEZNS1_25segmented_radix_sort_implIS3_Lb1EPKS5_PS5_PKlPlN2at6native12_GLOBAL__N_18offset_tEEE10hipError_tPvRmT1_PNSt15iterator_traitsISL_E10value_typeET2_T3_PNSM_ISR_E10value_typeET4_jRbjT5_SX_jjP12ihipStream_tbEUlT_E2_NS1_11comp_targetILNS1_3genE5ELNS1_11target_archE942ELNS1_3gpuE9ELNS1_3repE0EEENS1_30default_config_static_selectorELNS0_4arch9wavefront6targetE1EEEvSL_.uses_flat_scratch, 0
	.set _ZN7rocprim17ROCPRIM_400000_NS6detail17trampoline_kernelINS0_14default_configENS1_36segmented_radix_sort_config_selectorI12hip_bfloat16lEEZNS1_25segmented_radix_sort_implIS3_Lb1EPKS5_PS5_PKlPlN2at6native12_GLOBAL__N_18offset_tEEE10hipError_tPvRmT1_PNSt15iterator_traitsISL_E10value_typeET2_T3_PNSM_ISR_E10value_typeET4_jRbjT5_SX_jjP12ihipStream_tbEUlT_E2_NS1_11comp_targetILNS1_3genE5ELNS1_11target_archE942ELNS1_3gpuE9ELNS1_3repE0EEENS1_30default_config_static_selectorELNS0_4arch9wavefront6targetE1EEEvSL_.has_dyn_sized_stack, 0
	.set _ZN7rocprim17ROCPRIM_400000_NS6detail17trampoline_kernelINS0_14default_configENS1_36segmented_radix_sort_config_selectorI12hip_bfloat16lEEZNS1_25segmented_radix_sort_implIS3_Lb1EPKS5_PS5_PKlPlN2at6native12_GLOBAL__N_18offset_tEEE10hipError_tPvRmT1_PNSt15iterator_traitsISL_E10value_typeET2_T3_PNSM_ISR_E10value_typeET4_jRbjT5_SX_jjP12ihipStream_tbEUlT_E2_NS1_11comp_targetILNS1_3genE5ELNS1_11target_archE942ELNS1_3gpuE9ELNS1_3repE0EEENS1_30default_config_static_selectorELNS0_4arch9wavefront6targetE1EEEvSL_.has_recursion, 0
	.set _ZN7rocprim17ROCPRIM_400000_NS6detail17trampoline_kernelINS0_14default_configENS1_36segmented_radix_sort_config_selectorI12hip_bfloat16lEEZNS1_25segmented_radix_sort_implIS3_Lb1EPKS5_PS5_PKlPlN2at6native12_GLOBAL__N_18offset_tEEE10hipError_tPvRmT1_PNSt15iterator_traitsISL_E10value_typeET2_T3_PNSM_ISR_E10value_typeET4_jRbjT5_SX_jjP12ihipStream_tbEUlT_E2_NS1_11comp_targetILNS1_3genE5ELNS1_11target_archE942ELNS1_3gpuE9ELNS1_3repE0EEENS1_30default_config_static_selectorELNS0_4arch9wavefront6targetE1EEEvSL_.has_indirect_call, 0
	.section	.AMDGPU.csdata,"",@progbits
; Kernel info:
; codeLenInByte = 0
; TotalNumSgprs: 4
; NumVgprs: 0
; ScratchSize: 0
; MemoryBound: 0
; FloatMode: 240
; IeeeMode: 1
; LDSByteSize: 0 bytes/workgroup (compile time only)
; SGPRBlocks: 0
; VGPRBlocks: 0
; NumSGPRsForWavesPerEU: 4
; NumVGPRsForWavesPerEU: 1
; Occupancy: 10
; WaveLimiterHint : 0
; COMPUTE_PGM_RSRC2:SCRATCH_EN: 0
; COMPUTE_PGM_RSRC2:USER_SGPR: 6
; COMPUTE_PGM_RSRC2:TRAP_HANDLER: 0
; COMPUTE_PGM_RSRC2:TGID_X_EN: 1
; COMPUTE_PGM_RSRC2:TGID_Y_EN: 0
; COMPUTE_PGM_RSRC2:TGID_Z_EN: 0
; COMPUTE_PGM_RSRC2:TIDIG_COMP_CNT: 0
	.section	.text._ZN7rocprim17ROCPRIM_400000_NS6detail17trampoline_kernelINS0_14default_configENS1_36segmented_radix_sort_config_selectorI12hip_bfloat16lEEZNS1_25segmented_radix_sort_implIS3_Lb1EPKS5_PS5_PKlPlN2at6native12_GLOBAL__N_18offset_tEEE10hipError_tPvRmT1_PNSt15iterator_traitsISL_E10value_typeET2_T3_PNSM_ISR_E10value_typeET4_jRbjT5_SX_jjP12ihipStream_tbEUlT_E2_NS1_11comp_targetILNS1_3genE4ELNS1_11target_archE910ELNS1_3gpuE8ELNS1_3repE0EEENS1_30default_config_static_selectorELNS0_4arch9wavefront6targetE1EEEvSL_,"axG",@progbits,_ZN7rocprim17ROCPRIM_400000_NS6detail17trampoline_kernelINS0_14default_configENS1_36segmented_radix_sort_config_selectorI12hip_bfloat16lEEZNS1_25segmented_radix_sort_implIS3_Lb1EPKS5_PS5_PKlPlN2at6native12_GLOBAL__N_18offset_tEEE10hipError_tPvRmT1_PNSt15iterator_traitsISL_E10value_typeET2_T3_PNSM_ISR_E10value_typeET4_jRbjT5_SX_jjP12ihipStream_tbEUlT_E2_NS1_11comp_targetILNS1_3genE4ELNS1_11target_archE910ELNS1_3gpuE8ELNS1_3repE0EEENS1_30default_config_static_selectorELNS0_4arch9wavefront6targetE1EEEvSL_,comdat
	.globl	_ZN7rocprim17ROCPRIM_400000_NS6detail17trampoline_kernelINS0_14default_configENS1_36segmented_radix_sort_config_selectorI12hip_bfloat16lEEZNS1_25segmented_radix_sort_implIS3_Lb1EPKS5_PS5_PKlPlN2at6native12_GLOBAL__N_18offset_tEEE10hipError_tPvRmT1_PNSt15iterator_traitsISL_E10value_typeET2_T3_PNSM_ISR_E10value_typeET4_jRbjT5_SX_jjP12ihipStream_tbEUlT_E2_NS1_11comp_targetILNS1_3genE4ELNS1_11target_archE910ELNS1_3gpuE8ELNS1_3repE0EEENS1_30default_config_static_selectorELNS0_4arch9wavefront6targetE1EEEvSL_ ; -- Begin function _ZN7rocprim17ROCPRIM_400000_NS6detail17trampoline_kernelINS0_14default_configENS1_36segmented_radix_sort_config_selectorI12hip_bfloat16lEEZNS1_25segmented_radix_sort_implIS3_Lb1EPKS5_PS5_PKlPlN2at6native12_GLOBAL__N_18offset_tEEE10hipError_tPvRmT1_PNSt15iterator_traitsISL_E10value_typeET2_T3_PNSM_ISR_E10value_typeET4_jRbjT5_SX_jjP12ihipStream_tbEUlT_E2_NS1_11comp_targetILNS1_3genE4ELNS1_11target_archE910ELNS1_3gpuE8ELNS1_3repE0EEENS1_30default_config_static_selectorELNS0_4arch9wavefront6targetE1EEEvSL_
	.p2align	8
	.type	_ZN7rocprim17ROCPRIM_400000_NS6detail17trampoline_kernelINS0_14default_configENS1_36segmented_radix_sort_config_selectorI12hip_bfloat16lEEZNS1_25segmented_radix_sort_implIS3_Lb1EPKS5_PS5_PKlPlN2at6native12_GLOBAL__N_18offset_tEEE10hipError_tPvRmT1_PNSt15iterator_traitsISL_E10value_typeET2_T3_PNSM_ISR_E10value_typeET4_jRbjT5_SX_jjP12ihipStream_tbEUlT_E2_NS1_11comp_targetILNS1_3genE4ELNS1_11target_archE910ELNS1_3gpuE8ELNS1_3repE0EEENS1_30default_config_static_selectorELNS0_4arch9wavefront6targetE1EEEvSL_,@function
_ZN7rocprim17ROCPRIM_400000_NS6detail17trampoline_kernelINS0_14default_configENS1_36segmented_radix_sort_config_selectorI12hip_bfloat16lEEZNS1_25segmented_radix_sort_implIS3_Lb1EPKS5_PS5_PKlPlN2at6native12_GLOBAL__N_18offset_tEEE10hipError_tPvRmT1_PNSt15iterator_traitsISL_E10value_typeET2_T3_PNSM_ISR_E10value_typeET4_jRbjT5_SX_jjP12ihipStream_tbEUlT_E2_NS1_11comp_targetILNS1_3genE4ELNS1_11target_archE910ELNS1_3gpuE8ELNS1_3repE0EEENS1_30default_config_static_selectorELNS0_4arch9wavefront6targetE1EEEvSL_: ; @_ZN7rocprim17ROCPRIM_400000_NS6detail17trampoline_kernelINS0_14default_configENS1_36segmented_radix_sort_config_selectorI12hip_bfloat16lEEZNS1_25segmented_radix_sort_implIS3_Lb1EPKS5_PS5_PKlPlN2at6native12_GLOBAL__N_18offset_tEEE10hipError_tPvRmT1_PNSt15iterator_traitsISL_E10value_typeET2_T3_PNSM_ISR_E10value_typeET4_jRbjT5_SX_jjP12ihipStream_tbEUlT_E2_NS1_11comp_targetILNS1_3genE4ELNS1_11target_archE910ELNS1_3gpuE8ELNS1_3repE0EEENS1_30default_config_static_selectorELNS0_4arch9wavefront6targetE1EEEvSL_
; %bb.0:
	.section	.rodata,"a",@progbits
	.p2align	6, 0x0
	.amdhsa_kernel _ZN7rocprim17ROCPRIM_400000_NS6detail17trampoline_kernelINS0_14default_configENS1_36segmented_radix_sort_config_selectorI12hip_bfloat16lEEZNS1_25segmented_radix_sort_implIS3_Lb1EPKS5_PS5_PKlPlN2at6native12_GLOBAL__N_18offset_tEEE10hipError_tPvRmT1_PNSt15iterator_traitsISL_E10value_typeET2_T3_PNSM_ISR_E10value_typeET4_jRbjT5_SX_jjP12ihipStream_tbEUlT_E2_NS1_11comp_targetILNS1_3genE4ELNS1_11target_archE910ELNS1_3gpuE8ELNS1_3repE0EEENS1_30default_config_static_selectorELNS0_4arch9wavefront6targetE1EEEvSL_
		.amdhsa_group_segment_fixed_size 0
		.amdhsa_private_segment_fixed_size 0
		.amdhsa_kernarg_size 80
		.amdhsa_user_sgpr_count 6
		.amdhsa_user_sgpr_private_segment_buffer 1
		.amdhsa_user_sgpr_dispatch_ptr 0
		.amdhsa_user_sgpr_queue_ptr 0
		.amdhsa_user_sgpr_kernarg_segment_ptr 1
		.amdhsa_user_sgpr_dispatch_id 0
		.amdhsa_user_sgpr_flat_scratch_init 0
		.amdhsa_user_sgpr_private_segment_size 0
		.amdhsa_uses_dynamic_stack 0
		.amdhsa_system_sgpr_private_segment_wavefront_offset 0
		.amdhsa_system_sgpr_workgroup_id_x 1
		.amdhsa_system_sgpr_workgroup_id_y 0
		.amdhsa_system_sgpr_workgroup_id_z 0
		.amdhsa_system_sgpr_workgroup_info 0
		.amdhsa_system_vgpr_workitem_id 0
		.amdhsa_next_free_vgpr 1
		.amdhsa_next_free_sgpr 0
		.amdhsa_reserve_vcc 0
		.amdhsa_reserve_flat_scratch 0
		.amdhsa_float_round_mode_32 0
		.amdhsa_float_round_mode_16_64 0
		.amdhsa_float_denorm_mode_32 3
		.amdhsa_float_denorm_mode_16_64 3
		.amdhsa_dx10_clamp 1
		.amdhsa_ieee_mode 1
		.amdhsa_fp16_overflow 0
		.amdhsa_exception_fp_ieee_invalid_op 0
		.amdhsa_exception_fp_denorm_src 0
		.amdhsa_exception_fp_ieee_div_zero 0
		.amdhsa_exception_fp_ieee_overflow 0
		.amdhsa_exception_fp_ieee_underflow 0
		.amdhsa_exception_fp_ieee_inexact 0
		.amdhsa_exception_int_div_zero 0
	.end_amdhsa_kernel
	.section	.text._ZN7rocprim17ROCPRIM_400000_NS6detail17trampoline_kernelINS0_14default_configENS1_36segmented_radix_sort_config_selectorI12hip_bfloat16lEEZNS1_25segmented_radix_sort_implIS3_Lb1EPKS5_PS5_PKlPlN2at6native12_GLOBAL__N_18offset_tEEE10hipError_tPvRmT1_PNSt15iterator_traitsISL_E10value_typeET2_T3_PNSM_ISR_E10value_typeET4_jRbjT5_SX_jjP12ihipStream_tbEUlT_E2_NS1_11comp_targetILNS1_3genE4ELNS1_11target_archE910ELNS1_3gpuE8ELNS1_3repE0EEENS1_30default_config_static_selectorELNS0_4arch9wavefront6targetE1EEEvSL_,"axG",@progbits,_ZN7rocprim17ROCPRIM_400000_NS6detail17trampoline_kernelINS0_14default_configENS1_36segmented_radix_sort_config_selectorI12hip_bfloat16lEEZNS1_25segmented_radix_sort_implIS3_Lb1EPKS5_PS5_PKlPlN2at6native12_GLOBAL__N_18offset_tEEE10hipError_tPvRmT1_PNSt15iterator_traitsISL_E10value_typeET2_T3_PNSM_ISR_E10value_typeET4_jRbjT5_SX_jjP12ihipStream_tbEUlT_E2_NS1_11comp_targetILNS1_3genE4ELNS1_11target_archE910ELNS1_3gpuE8ELNS1_3repE0EEENS1_30default_config_static_selectorELNS0_4arch9wavefront6targetE1EEEvSL_,comdat
.Lfunc_end1978:
	.size	_ZN7rocprim17ROCPRIM_400000_NS6detail17trampoline_kernelINS0_14default_configENS1_36segmented_radix_sort_config_selectorI12hip_bfloat16lEEZNS1_25segmented_radix_sort_implIS3_Lb1EPKS5_PS5_PKlPlN2at6native12_GLOBAL__N_18offset_tEEE10hipError_tPvRmT1_PNSt15iterator_traitsISL_E10value_typeET2_T3_PNSM_ISR_E10value_typeET4_jRbjT5_SX_jjP12ihipStream_tbEUlT_E2_NS1_11comp_targetILNS1_3genE4ELNS1_11target_archE910ELNS1_3gpuE8ELNS1_3repE0EEENS1_30default_config_static_selectorELNS0_4arch9wavefront6targetE1EEEvSL_, .Lfunc_end1978-_ZN7rocprim17ROCPRIM_400000_NS6detail17trampoline_kernelINS0_14default_configENS1_36segmented_radix_sort_config_selectorI12hip_bfloat16lEEZNS1_25segmented_radix_sort_implIS3_Lb1EPKS5_PS5_PKlPlN2at6native12_GLOBAL__N_18offset_tEEE10hipError_tPvRmT1_PNSt15iterator_traitsISL_E10value_typeET2_T3_PNSM_ISR_E10value_typeET4_jRbjT5_SX_jjP12ihipStream_tbEUlT_E2_NS1_11comp_targetILNS1_3genE4ELNS1_11target_archE910ELNS1_3gpuE8ELNS1_3repE0EEENS1_30default_config_static_selectorELNS0_4arch9wavefront6targetE1EEEvSL_
                                        ; -- End function
	.set _ZN7rocprim17ROCPRIM_400000_NS6detail17trampoline_kernelINS0_14default_configENS1_36segmented_radix_sort_config_selectorI12hip_bfloat16lEEZNS1_25segmented_radix_sort_implIS3_Lb1EPKS5_PS5_PKlPlN2at6native12_GLOBAL__N_18offset_tEEE10hipError_tPvRmT1_PNSt15iterator_traitsISL_E10value_typeET2_T3_PNSM_ISR_E10value_typeET4_jRbjT5_SX_jjP12ihipStream_tbEUlT_E2_NS1_11comp_targetILNS1_3genE4ELNS1_11target_archE910ELNS1_3gpuE8ELNS1_3repE0EEENS1_30default_config_static_selectorELNS0_4arch9wavefront6targetE1EEEvSL_.num_vgpr, 0
	.set _ZN7rocprim17ROCPRIM_400000_NS6detail17trampoline_kernelINS0_14default_configENS1_36segmented_radix_sort_config_selectorI12hip_bfloat16lEEZNS1_25segmented_radix_sort_implIS3_Lb1EPKS5_PS5_PKlPlN2at6native12_GLOBAL__N_18offset_tEEE10hipError_tPvRmT1_PNSt15iterator_traitsISL_E10value_typeET2_T3_PNSM_ISR_E10value_typeET4_jRbjT5_SX_jjP12ihipStream_tbEUlT_E2_NS1_11comp_targetILNS1_3genE4ELNS1_11target_archE910ELNS1_3gpuE8ELNS1_3repE0EEENS1_30default_config_static_selectorELNS0_4arch9wavefront6targetE1EEEvSL_.num_agpr, 0
	.set _ZN7rocprim17ROCPRIM_400000_NS6detail17trampoline_kernelINS0_14default_configENS1_36segmented_radix_sort_config_selectorI12hip_bfloat16lEEZNS1_25segmented_radix_sort_implIS3_Lb1EPKS5_PS5_PKlPlN2at6native12_GLOBAL__N_18offset_tEEE10hipError_tPvRmT1_PNSt15iterator_traitsISL_E10value_typeET2_T3_PNSM_ISR_E10value_typeET4_jRbjT5_SX_jjP12ihipStream_tbEUlT_E2_NS1_11comp_targetILNS1_3genE4ELNS1_11target_archE910ELNS1_3gpuE8ELNS1_3repE0EEENS1_30default_config_static_selectorELNS0_4arch9wavefront6targetE1EEEvSL_.numbered_sgpr, 0
	.set _ZN7rocprim17ROCPRIM_400000_NS6detail17trampoline_kernelINS0_14default_configENS1_36segmented_radix_sort_config_selectorI12hip_bfloat16lEEZNS1_25segmented_radix_sort_implIS3_Lb1EPKS5_PS5_PKlPlN2at6native12_GLOBAL__N_18offset_tEEE10hipError_tPvRmT1_PNSt15iterator_traitsISL_E10value_typeET2_T3_PNSM_ISR_E10value_typeET4_jRbjT5_SX_jjP12ihipStream_tbEUlT_E2_NS1_11comp_targetILNS1_3genE4ELNS1_11target_archE910ELNS1_3gpuE8ELNS1_3repE0EEENS1_30default_config_static_selectorELNS0_4arch9wavefront6targetE1EEEvSL_.num_named_barrier, 0
	.set _ZN7rocprim17ROCPRIM_400000_NS6detail17trampoline_kernelINS0_14default_configENS1_36segmented_radix_sort_config_selectorI12hip_bfloat16lEEZNS1_25segmented_radix_sort_implIS3_Lb1EPKS5_PS5_PKlPlN2at6native12_GLOBAL__N_18offset_tEEE10hipError_tPvRmT1_PNSt15iterator_traitsISL_E10value_typeET2_T3_PNSM_ISR_E10value_typeET4_jRbjT5_SX_jjP12ihipStream_tbEUlT_E2_NS1_11comp_targetILNS1_3genE4ELNS1_11target_archE910ELNS1_3gpuE8ELNS1_3repE0EEENS1_30default_config_static_selectorELNS0_4arch9wavefront6targetE1EEEvSL_.private_seg_size, 0
	.set _ZN7rocprim17ROCPRIM_400000_NS6detail17trampoline_kernelINS0_14default_configENS1_36segmented_radix_sort_config_selectorI12hip_bfloat16lEEZNS1_25segmented_radix_sort_implIS3_Lb1EPKS5_PS5_PKlPlN2at6native12_GLOBAL__N_18offset_tEEE10hipError_tPvRmT1_PNSt15iterator_traitsISL_E10value_typeET2_T3_PNSM_ISR_E10value_typeET4_jRbjT5_SX_jjP12ihipStream_tbEUlT_E2_NS1_11comp_targetILNS1_3genE4ELNS1_11target_archE910ELNS1_3gpuE8ELNS1_3repE0EEENS1_30default_config_static_selectorELNS0_4arch9wavefront6targetE1EEEvSL_.uses_vcc, 0
	.set _ZN7rocprim17ROCPRIM_400000_NS6detail17trampoline_kernelINS0_14default_configENS1_36segmented_radix_sort_config_selectorI12hip_bfloat16lEEZNS1_25segmented_radix_sort_implIS3_Lb1EPKS5_PS5_PKlPlN2at6native12_GLOBAL__N_18offset_tEEE10hipError_tPvRmT1_PNSt15iterator_traitsISL_E10value_typeET2_T3_PNSM_ISR_E10value_typeET4_jRbjT5_SX_jjP12ihipStream_tbEUlT_E2_NS1_11comp_targetILNS1_3genE4ELNS1_11target_archE910ELNS1_3gpuE8ELNS1_3repE0EEENS1_30default_config_static_selectorELNS0_4arch9wavefront6targetE1EEEvSL_.uses_flat_scratch, 0
	.set _ZN7rocprim17ROCPRIM_400000_NS6detail17trampoline_kernelINS0_14default_configENS1_36segmented_radix_sort_config_selectorI12hip_bfloat16lEEZNS1_25segmented_radix_sort_implIS3_Lb1EPKS5_PS5_PKlPlN2at6native12_GLOBAL__N_18offset_tEEE10hipError_tPvRmT1_PNSt15iterator_traitsISL_E10value_typeET2_T3_PNSM_ISR_E10value_typeET4_jRbjT5_SX_jjP12ihipStream_tbEUlT_E2_NS1_11comp_targetILNS1_3genE4ELNS1_11target_archE910ELNS1_3gpuE8ELNS1_3repE0EEENS1_30default_config_static_selectorELNS0_4arch9wavefront6targetE1EEEvSL_.has_dyn_sized_stack, 0
	.set _ZN7rocprim17ROCPRIM_400000_NS6detail17trampoline_kernelINS0_14default_configENS1_36segmented_radix_sort_config_selectorI12hip_bfloat16lEEZNS1_25segmented_radix_sort_implIS3_Lb1EPKS5_PS5_PKlPlN2at6native12_GLOBAL__N_18offset_tEEE10hipError_tPvRmT1_PNSt15iterator_traitsISL_E10value_typeET2_T3_PNSM_ISR_E10value_typeET4_jRbjT5_SX_jjP12ihipStream_tbEUlT_E2_NS1_11comp_targetILNS1_3genE4ELNS1_11target_archE910ELNS1_3gpuE8ELNS1_3repE0EEENS1_30default_config_static_selectorELNS0_4arch9wavefront6targetE1EEEvSL_.has_recursion, 0
	.set _ZN7rocprim17ROCPRIM_400000_NS6detail17trampoline_kernelINS0_14default_configENS1_36segmented_radix_sort_config_selectorI12hip_bfloat16lEEZNS1_25segmented_radix_sort_implIS3_Lb1EPKS5_PS5_PKlPlN2at6native12_GLOBAL__N_18offset_tEEE10hipError_tPvRmT1_PNSt15iterator_traitsISL_E10value_typeET2_T3_PNSM_ISR_E10value_typeET4_jRbjT5_SX_jjP12ihipStream_tbEUlT_E2_NS1_11comp_targetILNS1_3genE4ELNS1_11target_archE910ELNS1_3gpuE8ELNS1_3repE0EEENS1_30default_config_static_selectorELNS0_4arch9wavefront6targetE1EEEvSL_.has_indirect_call, 0
	.section	.AMDGPU.csdata,"",@progbits
; Kernel info:
; codeLenInByte = 0
; TotalNumSgprs: 4
; NumVgprs: 0
; ScratchSize: 0
; MemoryBound: 0
; FloatMode: 240
; IeeeMode: 1
; LDSByteSize: 0 bytes/workgroup (compile time only)
; SGPRBlocks: 0
; VGPRBlocks: 0
; NumSGPRsForWavesPerEU: 4
; NumVGPRsForWavesPerEU: 1
; Occupancy: 10
; WaveLimiterHint : 0
; COMPUTE_PGM_RSRC2:SCRATCH_EN: 0
; COMPUTE_PGM_RSRC2:USER_SGPR: 6
; COMPUTE_PGM_RSRC2:TRAP_HANDLER: 0
; COMPUTE_PGM_RSRC2:TGID_X_EN: 1
; COMPUTE_PGM_RSRC2:TGID_Y_EN: 0
; COMPUTE_PGM_RSRC2:TGID_Z_EN: 0
; COMPUTE_PGM_RSRC2:TIDIG_COMP_CNT: 0
	.section	.text._ZN7rocprim17ROCPRIM_400000_NS6detail17trampoline_kernelINS0_14default_configENS1_36segmented_radix_sort_config_selectorI12hip_bfloat16lEEZNS1_25segmented_radix_sort_implIS3_Lb1EPKS5_PS5_PKlPlN2at6native12_GLOBAL__N_18offset_tEEE10hipError_tPvRmT1_PNSt15iterator_traitsISL_E10value_typeET2_T3_PNSM_ISR_E10value_typeET4_jRbjT5_SX_jjP12ihipStream_tbEUlT_E2_NS1_11comp_targetILNS1_3genE3ELNS1_11target_archE908ELNS1_3gpuE7ELNS1_3repE0EEENS1_30default_config_static_selectorELNS0_4arch9wavefront6targetE1EEEvSL_,"axG",@progbits,_ZN7rocprim17ROCPRIM_400000_NS6detail17trampoline_kernelINS0_14default_configENS1_36segmented_radix_sort_config_selectorI12hip_bfloat16lEEZNS1_25segmented_radix_sort_implIS3_Lb1EPKS5_PS5_PKlPlN2at6native12_GLOBAL__N_18offset_tEEE10hipError_tPvRmT1_PNSt15iterator_traitsISL_E10value_typeET2_T3_PNSM_ISR_E10value_typeET4_jRbjT5_SX_jjP12ihipStream_tbEUlT_E2_NS1_11comp_targetILNS1_3genE3ELNS1_11target_archE908ELNS1_3gpuE7ELNS1_3repE0EEENS1_30default_config_static_selectorELNS0_4arch9wavefront6targetE1EEEvSL_,comdat
	.globl	_ZN7rocprim17ROCPRIM_400000_NS6detail17trampoline_kernelINS0_14default_configENS1_36segmented_radix_sort_config_selectorI12hip_bfloat16lEEZNS1_25segmented_radix_sort_implIS3_Lb1EPKS5_PS5_PKlPlN2at6native12_GLOBAL__N_18offset_tEEE10hipError_tPvRmT1_PNSt15iterator_traitsISL_E10value_typeET2_T3_PNSM_ISR_E10value_typeET4_jRbjT5_SX_jjP12ihipStream_tbEUlT_E2_NS1_11comp_targetILNS1_3genE3ELNS1_11target_archE908ELNS1_3gpuE7ELNS1_3repE0EEENS1_30default_config_static_selectorELNS0_4arch9wavefront6targetE1EEEvSL_ ; -- Begin function _ZN7rocprim17ROCPRIM_400000_NS6detail17trampoline_kernelINS0_14default_configENS1_36segmented_radix_sort_config_selectorI12hip_bfloat16lEEZNS1_25segmented_radix_sort_implIS3_Lb1EPKS5_PS5_PKlPlN2at6native12_GLOBAL__N_18offset_tEEE10hipError_tPvRmT1_PNSt15iterator_traitsISL_E10value_typeET2_T3_PNSM_ISR_E10value_typeET4_jRbjT5_SX_jjP12ihipStream_tbEUlT_E2_NS1_11comp_targetILNS1_3genE3ELNS1_11target_archE908ELNS1_3gpuE7ELNS1_3repE0EEENS1_30default_config_static_selectorELNS0_4arch9wavefront6targetE1EEEvSL_
	.p2align	8
	.type	_ZN7rocprim17ROCPRIM_400000_NS6detail17trampoline_kernelINS0_14default_configENS1_36segmented_radix_sort_config_selectorI12hip_bfloat16lEEZNS1_25segmented_radix_sort_implIS3_Lb1EPKS5_PS5_PKlPlN2at6native12_GLOBAL__N_18offset_tEEE10hipError_tPvRmT1_PNSt15iterator_traitsISL_E10value_typeET2_T3_PNSM_ISR_E10value_typeET4_jRbjT5_SX_jjP12ihipStream_tbEUlT_E2_NS1_11comp_targetILNS1_3genE3ELNS1_11target_archE908ELNS1_3gpuE7ELNS1_3repE0EEENS1_30default_config_static_selectorELNS0_4arch9wavefront6targetE1EEEvSL_,@function
_ZN7rocprim17ROCPRIM_400000_NS6detail17trampoline_kernelINS0_14default_configENS1_36segmented_radix_sort_config_selectorI12hip_bfloat16lEEZNS1_25segmented_radix_sort_implIS3_Lb1EPKS5_PS5_PKlPlN2at6native12_GLOBAL__N_18offset_tEEE10hipError_tPvRmT1_PNSt15iterator_traitsISL_E10value_typeET2_T3_PNSM_ISR_E10value_typeET4_jRbjT5_SX_jjP12ihipStream_tbEUlT_E2_NS1_11comp_targetILNS1_3genE3ELNS1_11target_archE908ELNS1_3gpuE7ELNS1_3repE0EEENS1_30default_config_static_selectorELNS0_4arch9wavefront6targetE1EEEvSL_: ; @_ZN7rocprim17ROCPRIM_400000_NS6detail17trampoline_kernelINS0_14default_configENS1_36segmented_radix_sort_config_selectorI12hip_bfloat16lEEZNS1_25segmented_radix_sort_implIS3_Lb1EPKS5_PS5_PKlPlN2at6native12_GLOBAL__N_18offset_tEEE10hipError_tPvRmT1_PNSt15iterator_traitsISL_E10value_typeET2_T3_PNSM_ISR_E10value_typeET4_jRbjT5_SX_jjP12ihipStream_tbEUlT_E2_NS1_11comp_targetILNS1_3genE3ELNS1_11target_archE908ELNS1_3gpuE7ELNS1_3repE0EEENS1_30default_config_static_selectorELNS0_4arch9wavefront6targetE1EEEvSL_
; %bb.0:
	.section	.rodata,"a",@progbits
	.p2align	6, 0x0
	.amdhsa_kernel _ZN7rocprim17ROCPRIM_400000_NS6detail17trampoline_kernelINS0_14default_configENS1_36segmented_radix_sort_config_selectorI12hip_bfloat16lEEZNS1_25segmented_radix_sort_implIS3_Lb1EPKS5_PS5_PKlPlN2at6native12_GLOBAL__N_18offset_tEEE10hipError_tPvRmT1_PNSt15iterator_traitsISL_E10value_typeET2_T3_PNSM_ISR_E10value_typeET4_jRbjT5_SX_jjP12ihipStream_tbEUlT_E2_NS1_11comp_targetILNS1_3genE3ELNS1_11target_archE908ELNS1_3gpuE7ELNS1_3repE0EEENS1_30default_config_static_selectorELNS0_4arch9wavefront6targetE1EEEvSL_
		.amdhsa_group_segment_fixed_size 0
		.amdhsa_private_segment_fixed_size 0
		.amdhsa_kernarg_size 80
		.amdhsa_user_sgpr_count 6
		.amdhsa_user_sgpr_private_segment_buffer 1
		.amdhsa_user_sgpr_dispatch_ptr 0
		.amdhsa_user_sgpr_queue_ptr 0
		.amdhsa_user_sgpr_kernarg_segment_ptr 1
		.amdhsa_user_sgpr_dispatch_id 0
		.amdhsa_user_sgpr_flat_scratch_init 0
		.amdhsa_user_sgpr_private_segment_size 0
		.amdhsa_uses_dynamic_stack 0
		.amdhsa_system_sgpr_private_segment_wavefront_offset 0
		.amdhsa_system_sgpr_workgroup_id_x 1
		.amdhsa_system_sgpr_workgroup_id_y 0
		.amdhsa_system_sgpr_workgroup_id_z 0
		.amdhsa_system_sgpr_workgroup_info 0
		.amdhsa_system_vgpr_workitem_id 0
		.amdhsa_next_free_vgpr 1
		.amdhsa_next_free_sgpr 0
		.amdhsa_reserve_vcc 0
		.amdhsa_reserve_flat_scratch 0
		.amdhsa_float_round_mode_32 0
		.amdhsa_float_round_mode_16_64 0
		.amdhsa_float_denorm_mode_32 3
		.amdhsa_float_denorm_mode_16_64 3
		.amdhsa_dx10_clamp 1
		.amdhsa_ieee_mode 1
		.amdhsa_fp16_overflow 0
		.amdhsa_exception_fp_ieee_invalid_op 0
		.amdhsa_exception_fp_denorm_src 0
		.amdhsa_exception_fp_ieee_div_zero 0
		.amdhsa_exception_fp_ieee_overflow 0
		.amdhsa_exception_fp_ieee_underflow 0
		.amdhsa_exception_fp_ieee_inexact 0
		.amdhsa_exception_int_div_zero 0
	.end_amdhsa_kernel
	.section	.text._ZN7rocprim17ROCPRIM_400000_NS6detail17trampoline_kernelINS0_14default_configENS1_36segmented_radix_sort_config_selectorI12hip_bfloat16lEEZNS1_25segmented_radix_sort_implIS3_Lb1EPKS5_PS5_PKlPlN2at6native12_GLOBAL__N_18offset_tEEE10hipError_tPvRmT1_PNSt15iterator_traitsISL_E10value_typeET2_T3_PNSM_ISR_E10value_typeET4_jRbjT5_SX_jjP12ihipStream_tbEUlT_E2_NS1_11comp_targetILNS1_3genE3ELNS1_11target_archE908ELNS1_3gpuE7ELNS1_3repE0EEENS1_30default_config_static_selectorELNS0_4arch9wavefront6targetE1EEEvSL_,"axG",@progbits,_ZN7rocprim17ROCPRIM_400000_NS6detail17trampoline_kernelINS0_14default_configENS1_36segmented_radix_sort_config_selectorI12hip_bfloat16lEEZNS1_25segmented_radix_sort_implIS3_Lb1EPKS5_PS5_PKlPlN2at6native12_GLOBAL__N_18offset_tEEE10hipError_tPvRmT1_PNSt15iterator_traitsISL_E10value_typeET2_T3_PNSM_ISR_E10value_typeET4_jRbjT5_SX_jjP12ihipStream_tbEUlT_E2_NS1_11comp_targetILNS1_3genE3ELNS1_11target_archE908ELNS1_3gpuE7ELNS1_3repE0EEENS1_30default_config_static_selectorELNS0_4arch9wavefront6targetE1EEEvSL_,comdat
.Lfunc_end1979:
	.size	_ZN7rocprim17ROCPRIM_400000_NS6detail17trampoline_kernelINS0_14default_configENS1_36segmented_radix_sort_config_selectorI12hip_bfloat16lEEZNS1_25segmented_radix_sort_implIS3_Lb1EPKS5_PS5_PKlPlN2at6native12_GLOBAL__N_18offset_tEEE10hipError_tPvRmT1_PNSt15iterator_traitsISL_E10value_typeET2_T3_PNSM_ISR_E10value_typeET4_jRbjT5_SX_jjP12ihipStream_tbEUlT_E2_NS1_11comp_targetILNS1_3genE3ELNS1_11target_archE908ELNS1_3gpuE7ELNS1_3repE0EEENS1_30default_config_static_selectorELNS0_4arch9wavefront6targetE1EEEvSL_, .Lfunc_end1979-_ZN7rocprim17ROCPRIM_400000_NS6detail17trampoline_kernelINS0_14default_configENS1_36segmented_radix_sort_config_selectorI12hip_bfloat16lEEZNS1_25segmented_radix_sort_implIS3_Lb1EPKS5_PS5_PKlPlN2at6native12_GLOBAL__N_18offset_tEEE10hipError_tPvRmT1_PNSt15iterator_traitsISL_E10value_typeET2_T3_PNSM_ISR_E10value_typeET4_jRbjT5_SX_jjP12ihipStream_tbEUlT_E2_NS1_11comp_targetILNS1_3genE3ELNS1_11target_archE908ELNS1_3gpuE7ELNS1_3repE0EEENS1_30default_config_static_selectorELNS0_4arch9wavefront6targetE1EEEvSL_
                                        ; -- End function
	.set _ZN7rocprim17ROCPRIM_400000_NS6detail17trampoline_kernelINS0_14default_configENS1_36segmented_radix_sort_config_selectorI12hip_bfloat16lEEZNS1_25segmented_radix_sort_implIS3_Lb1EPKS5_PS5_PKlPlN2at6native12_GLOBAL__N_18offset_tEEE10hipError_tPvRmT1_PNSt15iterator_traitsISL_E10value_typeET2_T3_PNSM_ISR_E10value_typeET4_jRbjT5_SX_jjP12ihipStream_tbEUlT_E2_NS1_11comp_targetILNS1_3genE3ELNS1_11target_archE908ELNS1_3gpuE7ELNS1_3repE0EEENS1_30default_config_static_selectorELNS0_4arch9wavefront6targetE1EEEvSL_.num_vgpr, 0
	.set _ZN7rocprim17ROCPRIM_400000_NS6detail17trampoline_kernelINS0_14default_configENS1_36segmented_radix_sort_config_selectorI12hip_bfloat16lEEZNS1_25segmented_radix_sort_implIS3_Lb1EPKS5_PS5_PKlPlN2at6native12_GLOBAL__N_18offset_tEEE10hipError_tPvRmT1_PNSt15iterator_traitsISL_E10value_typeET2_T3_PNSM_ISR_E10value_typeET4_jRbjT5_SX_jjP12ihipStream_tbEUlT_E2_NS1_11comp_targetILNS1_3genE3ELNS1_11target_archE908ELNS1_3gpuE7ELNS1_3repE0EEENS1_30default_config_static_selectorELNS0_4arch9wavefront6targetE1EEEvSL_.num_agpr, 0
	.set _ZN7rocprim17ROCPRIM_400000_NS6detail17trampoline_kernelINS0_14default_configENS1_36segmented_radix_sort_config_selectorI12hip_bfloat16lEEZNS1_25segmented_radix_sort_implIS3_Lb1EPKS5_PS5_PKlPlN2at6native12_GLOBAL__N_18offset_tEEE10hipError_tPvRmT1_PNSt15iterator_traitsISL_E10value_typeET2_T3_PNSM_ISR_E10value_typeET4_jRbjT5_SX_jjP12ihipStream_tbEUlT_E2_NS1_11comp_targetILNS1_3genE3ELNS1_11target_archE908ELNS1_3gpuE7ELNS1_3repE0EEENS1_30default_config_static_selectorELNS0_4arch9wavefront6targetE1EEEvSL_.numbered_sgpr, 0
	.set _ZN7rocprim17ROCPRIM_400000_NS6detail17trampoline_kernelINS0_14default_configENS1_36segmented_radix_sort_config_selectorI12hip_bfloat16lEEZNS1_25segmented_radix_sort_implIS3_Lb1EPKS5_PS5_PKlPlN2at6native12_GLOBAL__N_18offset_tEEE10hipError_tPvRmT1_PNSt15iterator_traitsISL_E10value_typeET2_T3_PNSM_ISR_E10value_typeET4_jRbjT5_SX_jjP12ihipStream_tbEUlT_E2_NS1_11comp_targetILNS1_3genE3ELNS1_11target_archE908ELNS1_3gpuE7ELNS1_3repE0EEENS1_30default_config_static_selectorELNS0_4arch9wavefront6targetE1EEEvSL_.num_named_barrier, 0
	.set _ZN7rocprim17ROCPRIM_400000_NS6detail17trampoline_kernelINS0_14default_configENS1_36segmented_radix_sort_config_selectorI12hip_bfloat16lEEZNS1_25segmented_radix_sort_implIS3_Lb1EPKS5_PS5_PKlPlN2at6native12_GLOBAL__N_18offset_tEEE10hipError_tPvRmT1_PNSt15iterator_traitsISL_E10value_typeET2_T3_PNSM_ISR_E10value_typeET4_jRbjT5_SX_jjP12ihipStream_tbEUlT_E2_NS1_11comp_targetILNS1_3genE3ELNS1_11target_archE908ELNS1_3gpuE7ELNS1_3repE0EEENS1_30default_config_static_selectorELNS0_4arch9wavefront6targetE1EEEvSL_.private_seg_size, 0
	.set _ZN7rocprim17ROCPRIM_400000_NS6detail17trampoline_kernelINS0_14default_configENS1_36segmented_radix_sort_config_selectorI12hip_bfloat16lEEZNS1_25segmented_radix_sort_implIS3_Lb1EPKS5_PS5_PKlPlN2at6native12_GLOBAL__N_18offset_tEEE10hipError_tPvRmT1_PNSt15iterator_traitsISL_E10value_typeET2_T3_PNSM_ISR_E10value_typeET4_jRbjT5_SX_jjP12ihipStream_tbEUlT_E2_NS1_11comp_targetILNS1_3genE3ELNS1_11target_archE908ELNS1_3gpuE7ELNS1_3repE0EEENS1_30default_config_static_selectorELNS0_4arch9wavefront6targetE1EEEvSL_.uses_vcc, 0
	.set _ZN7rocprim17ROCPRIM_400000_NS6detail17trampoline_kernelINS0_14default_configENS1_36segmented_radix_sort_config_selectorI12hip_bfloat16lEEZNS1_25segmented_radix_sort_implIS3_Lb1EPKS5_PS5_PKlPlN2at6native12_GLOBAL__N_18offset_tEEE10hipError_tPvRmT1_PNSt15iterator_traitsISL_E10value_typeET2_T3_PNSM_ISR_E10value_typeET4_jRbjT5_SX_jjP12ihipStream_tbEUlT_E2_NS1_11comp_targetILNS1_3genE3ELNS1_11target_archE908ELNS1_3gpuE7ELNS1_3repE0EEENS1_30default_config_static_selectorELNS0_4arch9wavefront6targetE1EEEvSL_.uses_flat_scratch, 0
	.set _ZN7rocprim17ROCPRIM_400000_NS6detail17trampoline_kernelINS0_14default_configENS1_36segmented_radix_sort_config_selectorI12hip_bfloat16lEEZNS1_25segmented_radix_sort_implIS3_Lb1EPKS5_PS5_PKlPlN2at6native12_GLOBAL__N_18offset_tEEE10hipError_tPvRmT1_PNSt15iterator_traitsISL_E10value_typeET2_T3_PNSM_ISR_E10value_typeET4_jRbjT5_SX_jjP12ihipStream_tbEUlT_E2_NS1_11comp_targetILNS1_3genE3ELNS1_11target_archE908ELNS1_3gpuE7ELNS1_3repE0EEENS1_30default_config_static_selectorELNS0_4arch9wavefront6targetE1EEEvSL_.has_dyn_sized_stack, 0
	.set _ZN7rocprim17ROCPRIM_400000_NS6detail17trampoline_kernelINS0_14default_configENS1_36segmented_radix_sort_config_selectorI12hip_bfloat16lEEZNS1_25segmented_radix_sort_implIS3_Lb1EPKS5_PS5_PKlPlN2at6native12_GLOBAL__N_18offset_tEEE10hipError_tPvRmT1_PNSt15iterator_traitsISL_E10value_typeET2_T3_PNSM_ISR_E10value_typeET4_jRbjT5_SX_jjP12ihipStream_tbEUlT_E2_NS1_11comp_targetILNS1_3genE3ELNS1_11target_archE908ELNS1_3gpuE7ELNS1_3repE0EEENS1_30default_config_static_selectorELNS0_4arch9wavefront6targetE1EEEvSL_.has_recursion, 0
	.set _ZN7rocprim17ROCPRIM_400000_NS6detail17trampoline_kernelINS0_14default_configENS1_36segmented_radix_sort_config_selectorI12hip_bfloat16lEEZNS1_25segmented_radix_sort_implIS3_Lb1EPKS5_PS5_PKlPlN2at6native12_GLOBAL__N_18offset_tEEE10hipError_tPvRmT1_PNSt15iterator_traitsISL_E10value_typeET2_T3_PNSM_ISR_E10value_typeET4_jRbjT5_SX_jjP12ihipStream_tbEUlT_E2_NS1_11comp_targetILNS1_3genE3ELNS1_11target_archE908ELNS1_3gpuE7ELNS1_3repE0EEENS1_30default_config_static_selectorELNS0_4arch9wavefront6targetE1EEEvSL_.has_indirect_call, 0
	.section	.AMDGPU.csdata,"",@progbits
; Kernel info:
; codeLenInByte = 0
; TotalNumSgprs: 4
; NumVgprs: 0
; ScratchSize: 0
; MemoryBound: 0
; FloatMode: 240
; IeeeMode: 1
; LDSByteSize: 0 bytes/workgroup (compile time only)
; SGPRBlocks: 0
; VGPRBlocks: 0
; NumSGPRsForWavesPerEU: 4
; NumVGPRsForWavesPerEU: 1
; Occupancy: 10
; WaveLimiterHint : 0
; COMPUTE_PGM_RSRC2:SCRATCH_EN: 0
; COMPUTE_PGM_RSRC2:USER_SGPR: 6
; COMPUTE_PGM_RSRC2:TRAP_HANDLER: 0
; COMPUTE_PGM_RSRC2:TGID_X_EN: 1
; COMPUTE_PGM_RSRC2:TGID_Y_EN: 0
; COMPUTE_PGM_RSRC2:TGID_Z_EN: 0
; COMPUTE_PGM_RSRC2:TIDIG_COMP_CNT: 0
	.section	.text._ZN7rocprim17ROCPRIM_400000_NS6detail17trampoline_kernelINS0_14default_configENS1_36segmented_radix_sort_config_selectorI12hip_bfloat16lEEZNS1_25segmented_radix_sort_implIS3_Lb1EPKS5_PS5_PKlPlN2at6native12_GLOBAL__N_18offset_tEEE10hipError_tPvRmT1_PNSt15iterator_traitsISL_E10value_typeET2_T3_PNSM_ISR_E10value_typeET4_jRbjT5_SX_jjP12ihipStream_tbEUlT_E2_NS1_11comp_targetILNS1_3genE2ELNS1_11target_archE906ELNS1_3gpuE6ELNS1_3repE0EEENS1_30default_config_static_selectorELNS0_4arch9wavefront6targetE1EEEvSL_,"axG",@progbits,_ZN7rocprim17ROCPRIM_400000_NS6detail17trampoline_kernelINS0_14default_configENS1_36segmented_radix_sort_config_selectorI12hip_bfloat16lEEZNS1_25segmented_radix_sort_implIS3_Lb1EPKS5_PS5_PKlPlN2at6native12_GLOBAL__N_18offset_tEEE10hipError_tPvRmT1_PNSt15iterator_traitsISL_E10value_typeET2_T3_PNSM_ISR_E10value_typeET4_jRbjT5_SX_jjP12ihipStream_tbEUlT_E2_NS1_11comp_targetILNS1_3genE2ELNS1_11target_archE906ELNS1_3gpuE6ELNS1_3repE0EEENS1_30default_config_static_selectorELNS0_4arch9wavefront6targetE1EEEvSL_,comdat
	.globl	_ZN7rocprim17ROCPRIM_400000_NS6detail17trampoline_kernelINS0_14default_configENS1_36segmented_radix_sort_config_selectorI12hip_bfloat16lEEZNS1_25segmented_radix_sort_implIS3_Lb1EPKS5_PS5_PKlPlN2at6native12_GLOBAL__N_18offset_tEEE10hipError_tPvRmT1_PNSt15iterator_traitsISL_E10value_typeET2_T3_PNSM_ISR_E10value_typeET4_jRbjT5_SX_jjP12ihipStream_tbEUlT_E2_NS1_11comp_targetILNS1_3genE2ELNS1_11target_archE906ELNS1_3gpuE6ELNS1_3repE0EEENS1_30default_config_static_selectorELNS0_4arch9wavefront6targetE1EEEvSL_ ; -- Begin function _ZN7rocprim17ROCPRIM_400000_NS6detail17trampoline_kernelINS0_14default_configENS1_36segmented_radix_sort_config_selectorI12hip_bfloat16lEEZNS1_25segmented_radix_sort_implIS3_Lb1EPKS5_PS5_PKlPlN2at6native12_GLOBAL__N_18offset_tEEE10hipError_tPvRmT1_PNSt15iterator_traitsISL_E10value_typeET2_T3_PNSM_ISR_E10value_typeET4_jRbjT5_SX_jjP12ihipStream_tbEUlT_E2_NS1_11comp_targetILNS1_3genE2ELNS1_11target_archE906ELNS1_3gpuE6ELNS1_3repE0EEENS1_30default_config_static_selectorELNS0_4arch9wavefront6targetE1EEEvSL_
	.p2align	8
	.type	_ZN7rocprim17ROCPRIM_400000_NS6detail17trampoline_kernelINS0_14default_configENS1_36segmented_radix_sort_config_selectorI12hip_bfloat16lEEZNS1_25segmented_radix_sort_implIS3_Lb1EPKS5_PS5_PKlPlN2at6native12_GLOBAL__N_18offset_tEEE10hipError_tPvRmT1_PNSt15iterator_traitsISL_E10value_typeET2_T3_PNSM_ISR_E10value_typeET4_jRbjT5_SX_jjP12ihipStream_tbEUlT_E2_NS1_11comp_targetILNS1_3genE2ELNS1_11target_archE906ELNS1_3gpuE6ELNS1_3repE0EEENS1_30default_config_static_selectorELNS0_4arch9wavefront6targetE1EEEvSL_,@function
_ZN7rocprim17ROCPRIM_400000_NS6detail17trampoline_kernelINS0_14default_configENS1_36segmented_radix_sort_config_selectorI12hip_bfloat16lEEZNS1_25segmented_radix_sort_implIS3_Lb1EPKS5_PS5_PKlPlN2at6native12_GLOBAL__N_18offset_tEEE10hipError_tPvRmT1_PNSt15iterator_traitsISL_E10value_typeET2_T3_PNSM_ISR_E10value_typeET4_jRbjT5_SX_jjP12ihipStream_tbEUlT_E2_NS1_11comp_targetILNS1_3genE2ELNS1_11target_archE906ELNS1_3gpuE6ELNS1_3repE0EEENS1_30default_config_static_selectorELNS0_4arch9wavefront6targetE1EEEvSL_: ; @_ZN7rocprim17ROCPRIM_400000_NS6detail17trampoline_kernelINS0_14default_configENS1_36segmented_radix_sort_config_selectorI12hip_bfloat16lEEZNS1_25segmented_radix_sort_implIS3_Lb1EPKS5_PS5_PKlPlN2at6native12_GLOBAL__N_18offset_tEEE10hipError_tPvRmT1_PNSt15iterator_traitsISL_E10value_typeET2_T3_PNSM_ISR_E10value_typeET4_jRbjT5_SX_jjP12ihipStream_tbEUlT_E2_NS1_11comp_targetILNS1_3genE2ELNS1_11target_archE906ELNS1_3gpuE6ELNS1_3repE0EEENS1_30default_config_static_selectorELNS0_4arch9wavefront6targetE1EEEvSL_
; %bb.0:
	s_add_u32 s0, s0, s8
	s_load_dwordx4 s[8:11], s[4:5], 0x34
	s_addc_u32 s1, s1, 0
	s_mov_b32 s32, 0
	s_waitcnt lgkmcnt(0)
	s_add_i32 s51, s9, s6
	s_add_i32 s80, s11, s6
	s_mul_i32 s51, s51, s8
	s_mul_i32 s80, s80, s10
	s_cmp_le_u32 s80, s51
	s_cbranch_scc1 .LBB1980_678
; %bb.1:
	s_mov_b32 s50, s6
	s_load_dword s6, s[4:5], 0x30
	s_load_dwordx4 s[72:75], s[4:5], 0x20
	s_load_dwordx4 s[76:79], s[4:5], 0x44
	s_load_dwordx8 s[64:71], s[4:5], 0x0
	s_mov_b32 s33, s7
	s_waitcnt lgkmcnt(0)
	s_bitcmp1_b32 s6, 0
	s_cselect_b64 s[54:55], -1, 0
	s_sub_i32 s79, s80, s51
	s_cmpk_lt_u32 s79, 0x801
	s_mov_b64 s[6:7], -1
	s_cbranch_scc0 .LBB1980_15
; %bb.2:
	s_cmp_lt_u32 s79, 33
	s_cbranch_scc0 .LBB1980_9
; %bb.3:
	s_load_dword s6, s[4:5], 0x5c
	s_waitcnt lgkmcnt(0)
	s_lshr_b32 s7, s6, 16
	s_and_b32 s6, s6, 0xffff
	v_mad_u32_u24 v3, v2, s7, v1
	v_mad_u64_u32 v[3:4], s[6:7], v3, s6, v[0:1]
	v_cmp_gt_u32_e32 vcc, 8, v3
	s_and_saveexec_b64 s[26:27], vcc
	s_cbranch_execz .LBB1980_8
; %bb.4:
	s_and_b32 s6, s76, 1
	v_cndmask_b32_e64 v3, 0, 1, s[54:55]
	v_cmp_ne_u32_e32 vcc, s6, v3
	s_mov_b64 s[6:7], -1
	s_cbranch_vccnz .LBB1980_6
; %bb.5:
	s_add_u32 s8, s4, 0x50
	s_mov_b64 s[6:7], src_shared_base
	s_addc_u32 s9, s5, 0
	v_lshlrev_b32_e32 v3, 20, v2
	v_lshlrev_b32_e32 v4, 10, v1
	s_getpc_b64 s[10:11]
	s_add_u32 s10, s10, _ZN7rocprim17ROCPRIM_400000_NS6detail26segmented_warp_sort_helperINS1_20WarpSortHelperConfigILj8ELj4ELj256EEE12hip_bfloat16lLi256ELb1EvE4sortIPKS5_PS5_PKlPlEEvT_T0_T1_T2_jjjjRNS6_12storage_typeE@rel32@lo+4
	s_addc_u32 s11, s11, _ZN7rocprim17ROCPRIM_400000_NS6detail26segmented_warp_sort_helperINS1_20WarpSortHelperConfigILj8ELj4ELj256EEE12hip_bfloat16lLi256ELb1EvE4sortIPKS5_PS5_PKlPlEEvT_T0_T1_T2_jjjjRNS6_12storage_typeE@rel32@hi+12
	v_or3_b32 v31, v0, v4, v3
	s_mov_b32 s12, s50
	s_mov_b32 s13, s33
	v_mov_b32_e32 v40, v0
	v_mov_b32_e32 v0, s64
	;; [unrolled: 1-line block ×15, first 2 shown]
	s_mov_b64 s[28:29], s[4:5]
	s_swappc_b64 s[30:31], s[10:11]
	v_mov_b32_e32 v1, v41
	v_mov_b32_e32 v2, v42
	v_mov_b32_e32 v0, v40
	s_mov_b64 s[4:5], s[28:29]
	s_mov_b64 s[6:7], 0
.LBB1980_6:
	s_andn2_b64 vcc, exec, s[6:7]
	s_cbranch_vccnz .LBB1980_8
; %bb.7:
	s_add_u32 s8, s4, 0x50
	s_mov_b64 s[6:7], src_shared_base
	s_addc_u32 s9, s5, 0
	v_lshlrev_b32_e32 v3, 20, v2
	v_lshlrev_b32_e32 v4, 10, v1
	s_getpc_b64 s[10:11]
	s_add_u32 s10, s10, _ZN7rocprim17ROCPRIM_400000_NS6detail26segmented_warp_sort_helperINS1_20WarpSortHelperConfigILj8ELj4ELj256EEE12hip_bfloat16lLi256ELb1EvE4sortIPKS5_PS5_PKlPlEEvT_T0_T1_T2_jjjjRNS6_12storage_typeE@rel32@lo+4
	s_addc_u32 s11, s11, _ZN7rocprim17ROCPRIM_400000_NS6detail26segmented_warp_sort_helperINS1_20WarpSortHelperConfigILj8ELj4ELj256EEE12hip_bfloat16lLi256ELb1EvE4sortIPKS5_PS5_PKlPlEEvT_T0_T1_T2_jjjjRNS6_12storage_typeE@rel32@hi+12
	v_or3_b32 v31, v0, v4, v3
	s_mov_b32 s12, s50
	s_mov_b32 s13, s33
	v_mov_b32_e32 v40, v0
	v_mov_b32_e32 v0, s64
	;; [unrolled: 1-line block ×15, first 2 shown]
	s_mov_b64 s[28:29], s[4:5]
	s_swappc_b64 s[30:31], s[10:11]
	v_mov_b32_e32 v1, v41
	v_mov_b32_e32 v2, v42
	;; [unrolled: 1-line block ×3, first 2 shown]
	s_mov_b64 s[4:5], s[28:29]
.LBB1980_8:
	s_or_b64 exec, exec, s[26:27]
	s_mov_b64 s[6:7], 0
.LBB1980_9:
	s_andn2_b64 vcc, exec, s[6:7]
	s_cbranch_vccnz .LBB1980_14
; %bb.10:
	s_and_b32 s6, s76, 1
	v_cndmask_b32_e64 v3, 0, 1, s[54:55]
	v_cmp_ne_u32_e32 vcc, s6, v3
	s_mov_b64 s[6:7], -1
	v_lshlrev_b32_e32 v41, 20, v2
	v_lshlrev_b32_e32 v42, 10, v1
	s_cbranch_vccnz .LBB1980_12
; %bb.11:
	s_add_u32 s8, s4, 0x50
	s_mov_b64 s[6:7], src_shared_base
	s_addc_u32 s9, s5, 0
	s_getpc_b64 s[10:11]
	s_add_u32 s10, s10, _ZN7rocprim17ROCPRIM_400000_NS6detail40segmented_radix_sort_single_block_helperI12hip_bfloat16lLj256ELj8ELb1EE4sortIPKS3_PS3_PKlPlEEbT_T0_T1_T2_jjjjRNS4_12storage_typeE@rel32@lo+4
	s_addc_u32 s11, s11, _ZN7rocprim17ROCPRIM_400000_NS6detail40segmented_radix_sort_single_block_helperI12hip_bfloat16lLj256ELj8ELb1EE4sortIPKS3_PS3_PKlPlEEbT_T0_T1_T2_jjjjRNS4_12storage_typeE@rel32@hi+12
	v_or3_b32 v31, v0, v42, v41
	s_mov_b32 s12, s50
	s_mov_b32 s13, s33
	v_mov_b32_e32 v40, v0
	v_mov_b32_e32 v0, s64
	;; [unrolled: 1-line block ×17, first 2 shown]
	s_mov_b64 s[34:35], s[4:5]
	s_swappc_b64 s[30:31], s[10:11]
	v_mov_b32_e32 v1, v43
	v_mov_b32_e32 v2, v44
	;; [unrolled: 1-line block ×3, first 2 shown]
	s_mov_b64 s[4:5], s[34:35]
	s_mov_b64 s[6:7], 0
.LBB1980_12:
	s_andn2_b64 vcc, exec, s[6:7]
	s_cbranch_vccnz .LBB1980_14
; %bb.13:
	s_add_u32 s8, s4, 0x50
	s_mov_b64 s[6:7], src_shared_base
	s_addc_u32 s9, s5, 0
	s_getpc_b64 s[10:11]
	s_add_u32 s10, s10, _ZN7rocprim17ROCPRIM_400000_NS6detail40segmented_radix_sort_single_block_helperI12hip_bfloat16lLj256ELj8ELb1EE4sortIPKS3_PS3_PKlPlEEbT_T0_T1_T2_jjjjRNS4_12storage_typeE@rel32@lo+4
	s_addc_u32 s11, s11, _ZN7rocprim17ROCPRIM_400000_NS6detail40segmented_radix_sort_single_block_helperI12hip_bfloat16lLj256ELj8ELb1EE4sortIPKS3_PS3_PKlPlEEbT_T0_T1_T2_jjjjRNS4_12storage_typeE@rel32@hi+12
	v_or3_b32 v31, v0, v42, v41
	s_mov_b32 s12, s50
	s_mov_b32 s13, s33
	v_mov_b32_e32 v40, v0
	v_mov_b32_e32 v0, s64
	;; [unrolled: 1-line block ×17, first 2 shown]
	s_mov_b64 s[34:35], s[4:5]
	s_swappc_b64 s[30:31], s[10:11]
	v_mov_b32_e32 v1, v41
	v_mov_b32_e32 v2, v42
	;; [unrolled: 1-line block ×3, first 2 shown]
	s_mov_b64 s[4:5], s[34:35]
.LBB1980_14:
	s_mov_b64 s[6:7], 0
.LBB1980_15:
	s_andn2_b64 vcc, exec, s[6:7]
	s_cbranch_vccnz .LBB1980_678
; %bb.16:
	s_cmp_ge_u32 s77, s78
	s_cbranch_scc1 .LBB1980_678
; %bb.17:
	v_and_b32_e32 v4, 3, v0
	s_movk_i32 s6, 0x100
	v_lshlrev_b32_e32 v35, 2, v4
	v_or_b32_e32 v4, 63, v0
	v_lshlrev_b32_e32 v25, 2, v0
	v_lshlrev_b32_e32 v5, 1, v0
	s_mov_b64 s[12:13], s[4:5]
	v_cmp_gt_u32_e64 s[4:5], s6, v0
	v_cmp_eq_u32_e64 s[6:7], v0, v4
	v_lshrrev_b32_e32 v4, 4, v0
	v_mov_b32_e32 v6, s69
	v_add_co_u32_e32 v29, vcc, s68, v5
	v_mad_u32_u24 v36, v0, 12, v25
	v_and_b32_e32 v37, 12, v4
	v_lshlrev_b32_e32 v4, 3, v0
	v_addc_co_u32_e32 v30, vcc, 0, v6, vcc
	v_and_b32_e32 v4, 0x600, v4
	v_add_u32_e32 v41, v36, v25
	v_lshlrev_b32_e32 v6, 4, v0
	v_sub_u32_e32 v42, v41, v6
	v_lshlrev_b32_e32 v6, 3, v4
	v_mov_b32_e32 v7, s75
	v_add_co_u32_e32 v43, vcc, s74, v6
	v_addc_co_u32_e32 v44, vcc, 0, v7, vcc
	v_lshlrev_b32_e32 v7, 1, v4
	v_mov_b32_e32 v8, s69
	v_add_co_u32_e32 v45, vcc, s68, v7
	v_addc_co_u32_e32 v46, vcc, 0, v8, vcc
	v_mov_b32_e32 v8, s67
	v_add_co_u32_e32 v49, vcc, s66, v5
	v_addc_co_u32_e32 v50, vcc, 0, v8, vcc
	;; [unrolled: 3-line block ×5, first 2 shown]
	v_sub_u32_e32 v47, v42, v5
	v_mov_b32_e32 v5, s71
	v_add_co_u32_e32 v57, vcc, s70, v6
	v_addc_co_u32_e32 v58, vcc, 0, v5, vcc
	v_mov_b32_e32 v5, s65
	v_add_co_u32_e32 v59, vcc, s64, v7
	v_addc_co_u32_e32 v60, vcc, 0, v5, vcc
	v_mbcnt_lo_u32_b32 v5, -1, 0
	v_mbcnt_hi_u32_b32 v66, -1, v5
	v_and_b32_e32 v5, 63, v66
	s_add_u32 s56, s12, 0x50
	s_movk_i32 s14, 0xff
	v_or_b32_e32 v73, v5, v4
	v_mov_b32_e32 v3, 0
	v_or_b32_e32 v26, 0x100, v0
	v_or_b32_e32 v27, 0x200, v0
	;; [unrolled: 1-line block ×8, first 2 shown]
	v_cmp_gt_u32_e64 s[8:9], 4, v0
	v_or_b32_e32 v39, 0x4400, v25
	v_cmp_lt_u32_e64 s[10:11], 63, v0
	v_add_u32_e32 v40, 0x43fc, v37
	s_addc_u32 s57, s13, 0
	s_mov_b32 s59, 0
	v_cmp_eq_u32_e64 s[12:13], 0, v0
	v_cmp_ne_u32_e64 s[14:15], s14, v0
	v_mul_u32_u24_e32 v48, 6, v0
	s_movk_i32 s62, 0x8000
	v_mov_b32_e32 v61, 1
	v_add_u32_e32 v62, 0x410, v41
	v_add_u32_e32 v63, 0x418, v41
	v_lshlrev_b32_e32 v64, 1, v0
	v_mov_b32_e32 v65, 0x7fff
	v_and_b32_e32 v67, 15, v66
	v_bfe_i32 v68, v66, 4, 1
	v_and_b32_e32 v69, 16, v66
	v_and_b32_e32 v70, 3, v66
	;; [unrolled: 1-line block ×3, first 2 shown]
	v_lshlrev_b32_e32 v72, 3, v5
	v_or_b32_e32 v74, 64, v73
	v_or_b32_e32 v75, 0x80, v73
	v_or_b32_e32 v76, 0xc0, v73
	v_or_b32_e32 v77, 0x100, v73
	v_or_b32_e32 v78, 0x140, v73
	v_or_b32_e32 v79, 0x180, v73
	v_or_b32_e32 v80, 0x1c0, v73
	v_lshlrev_b32_e32 v81, 1, v5
	s_mov_b32 s63, s77
	s_branch .LBB1980_20
.LBB1980_18:                            ;   in Loop: Header=BB1980_20 Depth=1
	s_waitcnt lgkmcnt(0)
	s_barrier
.LBB1980_19:                            ;   in Loop: Header=BB1980_20 Depth=1
	s_add_i32 s63, s63, 8
	s_cmp_ge_u32 s63, s78
	s_cbranch_scc1 .LBB1980_678
.LBB1980_20:                            ; =>This Loop Header: Depth=1
                                        ;     Child Loop BB1980_24 Depth 2
                                        ;     Child Loop BB1980_72 Depth 2
	;; [unrolled: 1-line block ×8, first 2 shown]
	s_sub_i32 s16, s78, s63
	s_min_u32 s16, s16, 8
	s_lshl_b32 s16, -1, s16
	s_xor_b64 s[54:55], s[54:55], -1
	s_not_b32 s70, s16
	s_cmp_lg_u32 s63, s77
	s_mov_b64 s[16:17], -1
	ds_write2st64_b32 v25, v3, v3 offset1:4
	ds_write2st64_b32 v25, v3, v3 offset0:8 offset1:12
	s_waitcnt lgkmcnt(0)
	s_cbranch_scc0 .LBB1980_350
; %bb.21:                               ;   in Loop: Header=BB1980_20 Depth=1
	s_and_b64 vcc, exec, s[54:55]
	s_cbranch_vccz .LBB1980_185
; %bb.22:                               ;   in Loop: Header=BB1980_20 Depth=1
	s_mov_b32 s20, s79
	s_mov_b32 s58, s51
	s_barrier
                                        ; implicit-def: $vgpr4
                                        ; implicit-def: $vgpr5
                                        ; implicit-def: $vgpr6
                                        ; implicit-def: $vgpr7
                                        ; implicit-def: $vgpr8
                                        ; implicit-def: $vgpr9
                                        ; implicit-def: $vgpr10
                                        ; implicit-def: $vgpr11
	s_branch .LBB1980_24
.LBB1980_23:                            ;   in Loop: Header=BB1980_24 Depth=2
	s_or_b64 exec, exec, s[16:17]
	s_addk_i32 s20, 0xf800
	s_cmp_ge_u32 s21, s80
	s_mov_b32 s58, s21
	s_cbranch_scc1 .LBB1980_60
.LBB1980_24:                            ;   Parent Loop BB1980_20 Depth=1
                                        ; =>  This Inner Loop Header: Depth=2
	s_add_i32 s21, s58, 0x800
	s_cmp_gt_u32 s21, s80
	s_mov_b64 s[16:17], -1
                                        ; implicit-def: $vgpr12
                                        ; implicit-def: $vgpr13
                                        ; implicit-def: $vgpr14
                                        ; implicit-def: $vgpr15
                                        ; implicit-def: $vgpr16
                                        ; implicit-def: $vgpr17
                                        ; implicit-def: $vgpr18
                                        ; implicit-def: $vgpr19
	s_cbranch_scc1 .LBB1980_26
; %bb.25:                               ;   in Loop: Header=BB1980_24 Depth=2
	s_lshl_b64 s[16:17], s[58:59], 1
	v_mov_b32_e32 v12, s17
	v_add_co_u32_e32 v20, vcc, s16, v29
	v_addc_co_u32_e32 v21, vcc, v30, v12, vcc
	global_load_ushort v12, v[20:21], off
	global_load_ushort v13, v[20:21], off offset:512
	global_load_ushort v14, v[20:21], off offset:1024
	;; [unrolled: 1-line block ×7, first 2 shown]
	s_mov_b64 s[16:17], 0
.LBB1980_26:                            ;   in Loop: Header=BB1980_24 Depth=2
	s_andn2_b64 vcc, exec, s[16:17]
	s_movk_i32 s18, 0x800
	s_cbranch_vccnz .LBB1980_37
; %bb.27:                               ;   in Loop: Header=BB1980_24 Depth=2
	s_lshl_b64 s[16:17], s[58:59], 1
	s_add_u32 s16, s68, s16
	s_addc_u32 s17, s69, s17
	v_cmp_gt_u32_e32 vcc, s20, v0
	s_and_saveexec_b64 s[18:19], vcc
	s_cbranch_execnz .LBB1980_53
; %bb.28:                               ;   in Loop: Header=BB1980_24 Depth=2
	s_or_b64 exec, exec, s[18:19]
	v_cmp_gt_u32_e32 vcc, s20, v26
	s_and_saveexec_b64 s[18:19], vcc
	s_cbranch_execnz .LBB1980_54
.LBB1980_29:                            ;   in Loop: Header=BB1980_24 Depth=2
	s_or_b64 exec, exec, s[18:19]
	v_cmp_gt_u32_e32 vcc, s20, v27
	s_and_saveexec_b64 s[18:19], vcc
	s_cbranch_execnz .LBB1980_55
.LBB1980_30:                            ;   in Loop: Header=BB1980_24 Depth=2
	s_or_b64 exec, exec, s[18:19]
	v_cmp_gt_u32_e32 vcc, s20, v28
	s_and_saveexec_b64 s[18:19], vcc
	s_cbranch_execnz .LBB1980_56
.LBB1980_31:                            ;   in Loop: Header=BB1980_24 Depth=2
	s_or_b64 exec, exec, s[18:19]
	v_cmp_gt_u32_e32 vcc, s20, v31
	s_and_saveexec_b64 s[18:19], vcc
	s_cbranch_execnz .LBB1980_57
.LBB1980_32:                            ;   in Loop: Header=BB1980_24 Depth=2
	s_or_b64 exec, exec, s[18:19]
	v_cmp_gt_u32_e32 vcc, s20, v32
	s_and_saveexec_b64 s[18:19], vcc
	s_cbranch_execnz .LBB1980_58
.LBB1980_33:                            ;   in Loop: Header=BB1980_24 Depth=2
	s_or_b64 exec, exec, s[18:19]
	v_cmp_gt_u32_e32 vcc, s20, v33
	s_and_saveexec_b64 s[18:19], vcc
	s_cbranch_execnz .LBB1980_59
.LBB1980_34:                            ;   in Loop: Header=BB1980_24 Depth=2
	s_or_b64 exec, exec, s[18:19]
	v_cmp_gt_u32_e32 vcc, s20, v34
	s_and_saveexec_b64 s[18:19], vcc
	s_cbranch_execz .LBB1980_36
.LBB1980_35:                            ;   in Loop: Header=BB1980_24 Depth=2
	global_load_ushort v4, v64, s[16:17] offset:3584
.LBB1980_36:                            ;   in Loop: Header=BB1980_24 Depth=2
	s_or_b64 exec, exec, s[18:19]
	s_mov_b32 s18, s20
	s_waitcnt vmcnt(0)
	v_mov_b32_e32 v12, v11
	v_mov_b32_e32 v13, v10
	;; [unrolled: 1-line block ×8, first 2 shown]
.LBB1980_37:                            ;   in Loop: Header=BB1980_24 Depth=2
	s_waitcnt vmcnt(0)
	v_mov_b32_e32 v4, v19
	v_mov_b32_e32 v5, v18
	;; [unrolled: 1-line block ×8, first 2 shown]
	v_cmp_gt_u32_e32 vcc, s18, v0
	s_and_saveexec_b64 s[16:17], vcc
	s_cbranch_execnz .LBB1980_45
; %bb.38:                               ;   in Loop: Header=BB1980_24 Depth=2
	s_or_b64 exec, exec, s[16:17]
	v_cmp_gt_u32_e32 vcc, s18, v26
	s_and_saveexec_b64 s[16:17], vcc
	s_cbranch_execnz .LBB1980_46
.LBB1980_39:                            ;   in Loop: Header=BB1980_24 Depth=2
	s_or_b64 exec, exec, s[16:17]
	v_cmp_gt_u32_e32 vcc, s18, v27
	s_and_saveexec_b64 s[16:17], vcc
	s_cbranch_execnz .LBB1980_47
.LBB1980_40:                            ;   in Loop: Header=BB1980_24 Depth=2
	s_or_b64 exec, exec, s[16:17]
	v_cmp_gt_u32_e32 vcc, s18, v28
	s_and_saveexec_b64 s[16:17], vcc
	s_cbranch_execnz .LBB1980_48
.LBB1980_41:                            ;   in Loop: Header=BB1980_24 Depth=2
	s_or_b64 exec, exec, s[16:17]
	v_cmp_gt_u32_e32 vcc, s18, v31
	s_and_saveexec_b64 s[16:17], vcc
	s_cbranch_execnz .LBB1980_49
.LBB1980_42:                            ;   in Loop: Header=BB1980_24 Depth=2
	s_or_b64 exec, exec, s[16:17]
	v_cmp_gt_u32_e32 vcc, s18, v32
	s_and_saveexec_b64 s[16:17], vcc
	s_cbranch_execnz .LBB1980_50
.LBB1980_43:                            ;   in Loop: Header=BB1980_24 Depth=2
	s_or_b64 exec, exec, s[16:17]
	v_cmp_gt_u32_e32 vcc, s18, v33
	s_and_saveexec_b64 s[16:17], vcc
	s_cbranch_execnz .LBB1980_51
.LBB1980_44:                            ;   in Loop: Header=BB1980_24 Depth=2
	s_or_b64 exec, exec, s[16:17]
	v_cmp_gt_u32_e32 vcc, s18, v34
	s_and_saveexec_b64 s[16:17], vcc
	s_cbranch_execz .LBB1980_23
	s_branch .LBB1980_52
.LBB1980_45:                            ;   in Loop: Header=BB1980_24 Depth=2
	v_cmp_gt_i16_e32 vcc, 0, v11
	v_cndmask_b32_e64 v12, v65, 0, vcc
	v_xor_b32_e32 v12, v12, v11
	v_cmp_ne_u16_e32 vcc, s62, v12
	v_cndmask_b32_e32 v12, v65, v12, vcc
	v_lshrrev_b32_sdwa v12, s63, v12 dst_sel:DWORD dst_unused:UNUSED_PAD src0_sel:DWORD src1_sel:WORD_0
	v_and_b32_e32 v12, s70, v12
	v_lshl_or_b32 v12, v12, 4, v35
	ds_add_u32 v12, v61
	s_or_b64 exec, exec, s[16:17]
	v_cmp_gt_u32_e32 vcc, s18, v26
	s_and_saveexec_b64 s[16:17], vcc
	s_cbranch_execz .LBB1980_39
.LBB1980_46:                            ;   in Loop: Header=BB1980_24 Depth=2
	v_cmp_gt_i16_e32 vcc, 0, v10
	v_cndmask_b32_e64 v12, v65, 0, vcc
	v_xor_b32_e32 v12, v12, v10
	v_cmp_ne_u16_e32 vcc, s62, v12
	v_cndmask_b32_e32 v12, v65, v12, vcc
	v_lshrrev_b32_sdwa v12, s63, v12 dst_sel:DWORD dst_unused:UNUSED_PAD src0_sel:DWORD src1_sel:WORD_0
	v_and_b32_e32 v12, s70, v12
	v_lshl_or_b32 v12, v12, 4, v35
	ds_add_u32 v12, v61
	s_or_b64 exec, exec, s[16:17]
	v_cmp_gt_u32_e32 vcc, s18, v27
	s_and_saveexec_b64 s[16:17], vcc
	s_cbranch_execz .LBB1980_40
.LBB1980_47:                            ;   in Loop: Header=BB1980_24 Depth=2
	v_cmp_gt_i16_e32 vcc, 0, v9
	v_cndmask_b32_e64 v12, v65, 0, vcc
	v_xor_b32_e32 v12, v12, v9
	v_cmp_ne_u16_e32 vcc, s62, v12
	v_cndmask_b32_e32 v12, v65, v12, vcc
	v_lshrrev_b32_sdwa v12, s63, v12 dst_sel:DWORD dst_unused:UNUSED_PAD src0_sel:DWORD src1_sel:WORD_0
	v_and_b32_e32 v12, s70, v12
	v_lshl_or_b32 v12, v12, 4, v35
	ds_add_u32 v12, v61
	s_or_b64 exec, exec, s[16:17]
	v_cmp_gt_u32_e32 vcc, s18, v28
	s_and_saveexec_b64 s[16:17], vcc
	s_cbranch_execz .LBB1980_41
.LBB1980_48:                            ;   in Loop: Header=BB1980_24 Depth=2
	v_cmp_gt_i16_e32 vcc, 0, v8
	v_cndmask_b32_e64 v12, v65, 0, vcc
	v_xor_b32_e32 v12, v12, v8
	v_cmp_ne_u16_e32 vcc, s62, v12
	v_cndmask_b32_e32 v12, v65, v12, vcc
	v_lshrrev_b32_sdwa v12, s63, v12 dst_sel:DWORD dst_unused:UNUSED_PAD src0_sel:DWORD src1_sel:WORD_0
	v_and_b32_e32 v12, s70, v12
	v_lshl_or_b32 v12, v12, 4, v35
	ds_add_u32 v12, v61
	s_or_b64 exec, exec, s[16:17]
	v_cmp_gt_u32_e32 vcc, s18, v31
	s_and_saveexec_b64 s[16:17], vcc
	s_cbranch_execz .LBB1980_42
.LBB1980_49:                            ;   in Loop: Header=BB1980_24 Depth=2
	v_cmp_gt_i16_e32 vcc, 0, v7
	v_cndmask_b32_e64 v12, v65, 0, vcc
	v_xor_b32_e32 v12, v12, v7
	v_cmp_ne_u16_e32 vcc, s62, v12
	v_cndmask_b32_e32 v12, v65, v12, vcc
	v_lshrrev_b32_sdwa v12, s63, v12 dst_sel:DWORD dst_unused:UNUSED_PAD src0_sel:DWORD src1_sel:WORD_0
	v_and_b32_e32 v12, s70, v12
	v_lshl_or_b32 v12, v12, 4, v35
	ds_add_u32 v12, v61
	s_or_b64 exec, exec, s[16:17]
	v_cmp_gt_u32_e32 vcc, s18, v32
	s_and_saveexec_b64 s[16:17], vcc
	s_cbranch_execz .LBB1980_43
.LBB1980_50:                            ;   in Loop: Header=BB1980_24 Depth=2
	v_cmp_gt_i16_e32 vcc, 0, v6
	v_cndmask_b32_e64 v12, v65, 0, vcc
	v_xor_b32_e32 v12, v12, v6
	v_cmp_ne_u16_e32 vcc, s62, v12
	v_cndmask_b32_e32 v12, v65, v12, vcc
	v_lshrrev_b32_sdwa v12, s63, v12 dst_sel:DWORD dst_unused:UNUSED_PAD src0_sel:DWORD src1_sel:WORD_0
	v_and_b32_e32 v12, s70, v12
	v_lshl_or_b32 v12, v12, 4, v35
	ds_add_u32 v12, v61
	s_or_b64 exec, exec, s[16:17]
	v_cmp_gt_u32_e32 vcc, s18, v33
	s_and_saveexec_b64 s[16:17], vcc
	s_cbranch_execz .LBB1980_44
.LBB1980_51:                            ;   in Loop: Header=BB1980_24 Depth=2
	v_cmp_gt_i16_e32 vcc, 0, v5
	v_cndmask_b32_e64 v12, v65, 0, vcc
	v_xor_b32_e32 v12, v12, v5
	v_cmp_ne_u16_e32 vcc, s62, v12
	v_cndmask_b32_e32 v12, v65, v12, vcc
	v_lshrrev_b32_sdwa v12, s63, v12 dst_sel:DWORD dst_unused:UNUSED_PAD src0_sel:DWORD src1_sel:WORD_0
	v_and_b32_e32 v12, s70, v12
	v_lshl_or_b32 v12, v12, 4, v35
	ds_add_u32 v12, v61
	s_or_b64 exec, exec, s[16:17]
	v_cmp_gt_u32_e32 vcc, s18, v34
	s_and_saveexec_b64 s[16:17], vcc
	s_cbranch_execz .LBB1980_23
.LBB1980_52:                            ;   in Loop: Header=BB1980_24 Depth=2
	v_cmp_gt_i16_e32 vcc, 0, v4
	v_cndmask_b32_e64 v12, v65, 0, vcc
	v_xor_b32_e32 v12, v12, v4
	v_cmp_ne_u16_e32 vcc, s62, v12
	v_cndmask_b32_e32 v12, v65, v12, vcc
	v_lshrrev_b32_sdwa v12, s63, v12 dst_sel:DWORD dst_unused:UNUSED_PAD src0_sel:DWORD src1_sel:WORD_0
	v_and_b32_e32 v12, s70, v12
	v_lshl_or_b32 v12, v12, 4, v35
	ds_add_u32 v12, v61
	s_branch .LBB1980_23
.LBB1980_53:                            ;   in Loop: Header=BB1980_24 Depth=2
	global_load_ushort v11, v64, s[16:17]
	s_or_b64 exec, exec, s[18:19]
	v_cmp_gt_u32_e32 vcc, s20, v26
	s_and_saveexec_b64 s[18:19], vcc
	s_cbranch_execz .LBB1980_29
.LBB1980_54:                            ;   in Loop: Header=BB1980_24 Depth=2
	global_load_ushort v10, v64, s[16:17] offset:512
	s_or_b64 exec, exec, s[18:19]
	v_cmp_gt_u32_e32 vcc, s20, v27
	s_and_saveexec_b64 s[18:19], vcc
	s_cbranch_execz .LBB1980_30
.LBB1980_55:                            ;   in Loop: Header=BB1980_24 Depth=2
	global_load_ushort v9, v64, s[16:17] offset:1024
	s_or_b64 exec, exec, s[18:19]
	v_cmp_gt_u32_e32 vcc, s20, v28
	s_and_saveexec_b64 s[18:19], vcc
	s_cbranch_execz .LBB1980_31
.LBB1980_56:                            ;   in Loop: Header=BB1980_24 Depth=2
	global_load_ushort v8, v64, s[16:17] offset:1536
	s_or_b64 exec, exec, s[18:19]
	v_cmp_gt_u32_e32 vcc, s20, v31
	s_and_saveexec_b64 s[18:19], vcc
	s_cbranch_execz .LBB1980_32
.LBB1980_57:                            ;   in Loop: Header=BB1980_24 Depth=2
	global_load_ushort v7, v64, s[16:17] offset:2048
	s_or_b64 exec, exec, s[18:19]
	v_cmp_gt_u32_e32 vcc, s20, v32
	s_and_saveexec_b64 s[18:19], vcc
	s_cbranch_execz .LBB1980_33
.LBB1980_58:                            ;   in Loop: Header=BB1980_24 Depth=2
	global_load_ushort v6, v64, s[16:17] offset:2560
	s_or_b64 exec, exec, s[18:19]
	v_cmp_gt_u32_e32 vcc, s20, v33
	s_and_saveexec_b64 s[18:19], vcc
	s_cbranch_execz .LBB1980_34
.LBB1980_59:                            ;   in Loop: Header=BB1980_24 Depth=2
	global_load_ushort v5, v64, s[16:17] offset:3072
	s_or_b64 exec, exec, s[18:19]
	v_cmp_gt_u32_e32 vcc, s20, v34
	s_and_saveexec_b64 s[18:19], vcc
	s_cbranch_execnz .LBB1980_35
	s_branch .LBB1980_36
.LBB1980_60:                            ;   in Loop: Header=BB1980_20 Depth=1
	v_mov_b32_e32 v4, 0
	s_waitcnt lgkmcnt(0)
	s_barrier
	s_and_saveexec_b64 s[16:17], s[4:5]
	s_cbranch_execz .LBB1980_62
; %bb.61:                               ;   in Loop: Header=BB1980_20 Depth=1
	ds_read2_b64 v[4:7], v36 offset1:1
	s_waitcnt lgkmcnt(0)
	v_add_u32_e32 v4, v5, v4
	v_add3_u32 v4, v4, v6, v7
.LBB1980_62:                            ;   in Loop: Header=BB1980_20 Depth=1
	s_or_b64 exec, exec, s[16:17]
	s_nop 0
	v_mov_b32_dpp v5, v4 row_shr:1 row_mask:0xf bank_mask:0xf
	v_cmp_eq_u32_e64 s[16:17], 0, v67
	v_cndmask_b32_e64 v5, v5, 0, s[16:17]
	v_add_u32_e32 v4, v5, v4
	v_cmp_lt_u32_e64 s[18:19], 1, v67
	v_cmp_lt_u32_e64 s[20:21], 3, v67
	v_mov_b32_dpp v5, v4 row_shr:2 row_mask:0xf bank_mask:0xf
	v_cndmask_b32_e64 v5, 0, v5, s[18:19]
	v_add_u32_e32 v4, v4, v5
	v_cmp_lt_u32_e64 s[22:23], 7, v67
	v_cmp_lt_u32_e64 s[26:27], 31, v66
	v_mov_b32_dpp v5, v4 row_shr:4 row_mask:0xf bank_mask:0xf
	v_cndmask_b32_e64 v5, 0, v5, s[20:21]
	v_add_u32_e32 v4, v4, v5
	v_cmp_eq_u32_e64 s[24:25], 0, v69
	s_nop 0
	v_mov_b32_dpp v5, v4 row_shr:8 row_mask:0xf bank_mask:0xf
	v_cndmask_b32_e64 v5, 0, v5, s[22:23]
	v_add_u32_e32 v4, v4, v5
	s_nop 1
	v_mov_b32_dpp v5, v4 row_bcast:15 row_mask:0xf bank_mask:0xf
	v_and_b32_e32 v5, v68, v5
	v_add_u32_e32 v4, v4, v5
	s_nop 1
	v_mov_b32_dpp v5, v4 row_bcast:31 row_mask:0xf bank_mask:0xf
	v_cndmask_b32_e64 v5, 0, v5, s[26:27]
	v_add_u32_e32 v4, v4, v5
	s_and_saveexec_b64 s[28:29], s[6:7]
; %bb.63:                               ;   in Loop: Header=BB1980_20 Depth=1
	ds_write_b32 v38, v4
; %bb.64:                               ;   in Loop: Header=BB1980_20 Depth=1
	s_or_b64 exec, exec, s[28:29]
	s_waitcnt lgkmcnt(0)
	s_barrier
	s_and_saveexec_b64 s[28:29], s[8:9]
	s_cbranch_execz .LBB1980_66
; %bb.65:                               ;   in Loop: Header=BB1980_20 Depth=1
	ds_read_b32 v5, v39
	v_cmp_ne_u32_e32 vcc, 0, v70
	s_waitcnt lgkmcnt(0)
	v_mov_b32_dpp v6, v5 row_shr:1 row_mask:0xf bank_mask:0xf
	v_cndmask_b32_e32 v6, 0, v6, vcc
	v_add_u32_e32 v5, v6, v5
	v_cmp_lt_u32_e32 vcc, 1, v70
	s_nop 0
	v_mov_b32_dpp v6, v5 row_shr:2 row_mask:0xf bank_mask:0xf
	v_cndmask_b32_e32 v6, 0, v6, vcc
	v_add_u32_e32 v5, v5, v6
	ds_write_b32 v39, v5
.LBB1980_66:                            ;   in Loop: Header=BB1980_20 Depth=1
	s_or_b64 exec, exec, s[28:29]
	v_mov_b32_e32 v5, 0
	s_waitcnt lgkmcnt(0)
	s_barrier
	s_and_saveexec_b64 s[28:29], s[10:11]
; %bb.67:                               ;   in Loop: Header=BB1980_20 Depth=1
	ds_read_b32 v5, v40
; %bb.68:                               ;   in Loop: Header=BB1980_20 Depth=1
	s_or_b64 exec, exec, s[28:29]
	v_subrev_co_u32_e64 v6, s[28:29], 1, v66
	v_cmp_lt_i32_e32 vcc, v6, v71
	v_cndmask_b32_e32 v6, v6, v66, vcc
	s_waitcnt lgkmcnt(0)
	v_add_u32_e32 v4, v5, v4
	v_lshlrev_b32_e32 v82, 2, v6
	ds_bpermute_b32 v4, v82, v4
	s_waitcnt lgkmcnt(0)
	s_barrier
	s_and_saveexec_b64 s[30:31], s[4:5]
; %bb.69:                               ;   in Loop: Header=BB1980_20 Depth=1
	v_cndmask_b32_e64 v4, v4, v5, s[28:29]
	v_add_u32_e32 v4, s51, v4
	ds_write_b32 v25, v4
; %bb.70:                               ;   in Loop: Header=BB1980_20 Depth=1
	s_or_b64 exec, exec, s[30:31]
	s_load_dword s30, s[56:57], 0x4
	s_load_dword s36, s[56:57], 0xc
	v_add_co_u32_e32 v83, vcc, v43, v72
	v_addc_co_u32_e32 v84, vcc, 0, v44, vcc
	s_waitcnt lgkmcnt(0)
	s_cmp_lt_u32 s33, s30
	s_cselect_b32 s30, 14, 20
	s_add_u32 s30, s56, s30
	s_addc_u32 s31, s57, 0
	global_load_ushort v4, v3, s[30:31]
	s_and_b32 s36, s36, 0xffff
	v_add_co_u32_e32 v85, vcc, v45, v81
	v_cmp_eq_u32_e64 s[30:31], 0, v70
	v_cmp_lt_u32_e64 s[34:35], 1, v70
	v_addc_co_u32_e32 v86, vcc, 0, v46, vcc
	s_mov_b32 s71, s79
	s_mov_b32 s58, s51
                                        ; implicit-def: $vgpr7_vgpr8
                                        ; implicit-def: $vgpr9_vgpr10
                                        ; implicit-def: $vgpr11_vgpr12
                                        ; implicit-def: $vgpr13_vgpr14
                                        ; implicit-def: $vgpr15_vgpr16
                                        ; implicit-def: $vgpr17_vgpr18
                                        ; implicit-def: $vgpr19_vgpr20
                                        ; implicit-def: $vgpr87
                                        ; implicit-def: $vgpr88
                                        ; implicit-def: $vgpr89
                                        ; implicit-def: $vgpr90
                                        ; implicit-def: $vgpr92
                                        ; implicit-def: $vgpr93
                                        ; implicit-def: $vgpr94
                                        ; implicit-def: $vgpr95
	s_waitcnt vmcnt(0)
	v_mad_u32_u24 v4, v2, v4, v1
	v_mad_u64_u32 v[4:5], s[36:37], v4, s36, v[0:1]
                                        ; implicit-def: $vgpr5_vgpr6
	v_lshrrev_b32_e32 v4, 4, v4
	v_and_b32_e32 v91, 0xffffffc, v4
	s_branch .LBB1980_72
.LBB1980_71:                            ;   in Loop: Header=BB1980_72 Depth=2
	s_or_b64 exec, exec, s[36:37]
	s_addk_i32 s71, 0xf800
	s_cmp_lt_u32 s76, s80
	s_mov_b32 s58, s76
	s_cbranch_scc0 .LBB1980_184
.LBB1980_72:                            ;   Parent Loop BB1980_20 Depth=1
                                        ; =>  This Inner Loop Header: Depth=2
	s_add_i32 s76, s58, 0x800
	s_cmp_gt_u32 s76, s80
	s_cbranch_scc1 .LBB1980_74
; %bb.73:                               ;   in Loop: Header=BB1980_72 Depth=2
	s_lshl_b64 s[36:37], s[58:59], 1
	v_mov_b32_e32 v4, s37
	v_add_co_u32_e32 v21, vcc, s36, v85
	v_addc_co_u32_e32 v22, vcc, v86, v4, vcc
	global_load_ushort v4, v[21:22], off
	global_load_ushort v99, v[21:22], off offset:128
	global_load_ushort v103, v[21:22], off offset:256
	;; [unrolled: 1-line block ×6, first 2 shown]
	s_mov_b64 s[36:37], -1
	s_movk_i32 s40, 0x800
	s_cbranch_execz .LBB1980_75
	s_branch .LBB1980_90
.LBB1980_74:                            ;   in Loop: Header=BB1980_72 Depth=2
	s_mov_b64 s[36:37], 0
                                        ; implicit-def: $vgpr4
                                        ; implicit-def: $vgpr99
                                        ; implicit-def: $vgpr103
                                        ; implicit-def: $vgpr107
                                        ; implicit-def: $vgpr112
                                        ; implicit-def: $vgpr108
                                        ; implicit-def: $vgpr24
	s_movk_i32 s40, 0x800
.LBB1980_75:                            ;   in Loop: Header=BB1980_72 Depth=2
	s_lshl_b64 s[36:37], s[58:59], 1
	s_waitcnt vmcnt(6)
	v_mov_b32_e32 v4, s37
	v_add_co_u32_e32 v21, vcc, s36, v85
	v_addc_co_u32_e32 v22, vcc, v86, v4, vcc
	v_cmp_gt_u32_e32 vcc, s71, v73
	s_waitcnt vmcnt(5)
	v_mov_b32_e32 v99, -1
	v_mov_b32_e32 v4, -1
	s_and_saveexec_b64 s[36:37], vcc
	s_cbranch_execz .LBB1980_77
; %bb.76:                               ;   in Loop: Header=BB1980_72 Depth=2
	global_load_ushort v4, v[21:22], off
.LBB1980_77:                            ;   in Loop: Header=BB1980_72 Depth=2
	s_or_b64 exec, exec, s[36:37]
	v_cmp_gt_u32_e32 vcc, s71, v74
	s_and_saveexec_b64 s[36:37], vcc
	s_cbranch_execz .LBB1980_79
; %bb.78:                               ;   in Loop: Header=BB1980_72 Depth=2
	global_load_ushort v99, v[21:22], off offset:128
.LBB1980_79:                            ;   in Loop: Header=BB1980_72 Depth=2
	s_or_b64 exec, exec, s[36:37]
	v_cmp_gt_u32_e32 vcc, s71, v75
	s_waitcnt vmcnt(3)
	v_mov_b32_e32 v107, -1
	v_mov_b32_e32 v103, -1
	s_and_saveexec_b64 s[36:37], vcc
	s_cbranch_execz .LBB1980_81
; %bb.80:                               ;   in Loop: Header=BB1980_72 Depth=2
	global_load_ushort v103, v[21:22], off offset:256
.LBB1980_81:                            ;   in Loop: Header=BB1980_72 Depth=2
	s_or_b64 exec, exec, s[36:37]
	v_cmp_gt_u32_e32 vcc, s71, v76
	s_and_saveexec_b64 s[36:37], vcc
	s_cbranch_execz .LBB1980_83
; %bb.82:                               ;   in Loop: Header=BB1980_72 Depth=2
	global_load_ushort v107, v[21:22], off offset:384
.LBB1980_83:                            ;   in Loop: Header=BB1980_72 Depth=2
	s_or_b64 exec, exec, s[36:37]
	v_cmp_gt_u32_e32 vcc, s71, v77
	s_waitcnt vmcnt(1)
	v_mov_b32_e32 v108, -1
	v_mov_b32_e32 v112, -1
	s_and_saveexec_b64 s[36:37], vcc
	s_cbranch_execz .LBB1980_85
; %bb.84:                               ;   in Loop: Header=BB1980_72 Depth=2
	global_load_ushort v112, v[21:22], off offset:512
.LBB1980_85:                            ;   in Loop: Header=BB1980_72 Depth=2
	s_or_b64 exec, exec, s[36:37]
	v_cmp_gt_u32_e32 vcc, s71, v78
	s_and_saveexec_b64 s[36:37], vcc
	s_cbranch_execz .LBB1980_87
; %bb.86:                               ;   in Loop: Header=BB1980_72 Depth=2
	global_load_ushort v108, v[21:22], off offset:640
.LBB1980_87:                            ;   in Loop: Header=BB1980_72 Depth=2
	s_or_b64 exec, exec, s[36:37]
	v_cmp_gt_u32_e32 vcc, s71, v79
	s_waitcnt vmcnt(0)
	v_mov_b32_e32 v24, -1
	s_and_saveexec_b64 s[36:37], vcc
	s_cbranch_execz .LBB1980_89
; %bb.88:                               ;   in Loop: Header=BB1980_72 Depth=2
	global_load_ushort v24, v[21:22], off offset:768
.LBB1980_89:                            ;   in Loop: Header=BB1980_72 Depth=2
	s_or_b64 exec, exec, s[36:37]
	s_sub_i32 s40, s80, s58
	v_cmp_gt_u32_e64 s[36:37], s71, v80
.LBB1980_90:                            ;   in Loop: Header=BB1980_72 Depth=2
	v_mov_b32_e32 v23, -1
	v_mov_b32_e32 v96, s71
	s_and_saveexec_b64 s[38:39], s[36:37]
	s_cbranch_execz .LBB1980_92
; %bb.91:                               ;   in Loop: Header=BB1980_72 Depth=2
	s_lshl_b64 s[36:37], s[58:59], 1
	v_mov_b32_e32 v22, s37
	v_add_co_u32_e32 v21, vcc, s36, v85
	v_addc_co_u32_e32 v22, vcc, v86, v22, vcc
	global_load_ushort v23, v[21:22], off offset:896
	v_mov_b32_e32 v96, s40
.LBB1980_92:                            ;   in Loop: Header=BB1980_72 Depth=2
	s_or_b64 exec, exec, s[38:39]
	s_waitcnt vmcnt(6)
	v_cmp_gt_i16_e32 vcc, 0, v4
	v_cndmask_b32_e64 v21, v65, 0, vcc
	v_xor_b32_e32 v97, v21, v4
	v_cmp_ne_u16_e32 vcc, s62, v97
	v_cndmask_b32_e32 v4, v65, v97, vcc
	v_lshrrev_b32_sdwa v4, s63, v4 dst_sel:DWORD dst_unused:UNUSED_PAD src0_sel:DWORD src1_sel:WORD_0
	v_and_b32_e32 v21, s70, v4
	v_and_b32_e32 v4, 1, v21
	v_add_co_u32_e32 v22, vcc, -1, v4
	v_addc_co_u32_e64 v98, s[36:37], 0, -1, vcc
	v_cmp_ne_u32_e32 vcc, 0, v4
	v_xor_b32_e32 v4, vcc_hi, v98
	v_and_b32_e32 v98, exec_hi, v4
	v_lshlrev_b32_e32 v4, 30, v21
	v_xor_b32_e32 v22, vcc_lo, v22
	v_cmp_gt_i64_e32 vcc, 0, v[3:4]
	v_not_b32_e32 v4, v4
	v_ashrrev_i32_e32 v4, 31, v4
	v_and_b32_e32 v22, exec_lo, v22
	v_xor_b32_e32 v101, vcc_hi, v4
	v_xor_b32_e32 v4, vcc_lo, v4
	v_and_b32_e32 v22, v22, v4
	v_lshlrev_b32_e32 v4, 29, v21
	v_cmp_gt_i64_e32 vcc, 0, v[3:4]
	v_not_b32_e32 v4, v4
	v_ashrrev_i32_e32 v4, 31, v4
	v_and_b32_e32 v98, v98, v101
	v_xor_b32_e32 v101, vcc_hi, v4
	v_xor_b32_e32 v4, vcc_lo, v4
	v_and_b32_e32 v22, v22, v4
	v_lshlrev_b32_e32 v4, 28, v21
	v_cmp_gt_i64_e32 vcc, 0, v[3:4]
	v_not_b32_e32 v4, v4
	v_ashrrev_i32_e32 v4, 31, v4
	v_and_b32_e32 v98, v98, v101
	;; [unrolled: 8-line block ×5, first 2 shown]
	v_xor_b32_e32 v101, vcc_hi, v4
	v_xor_b32_e32 v4, vcc_lo, v4
	v_and_b32_e32 v98, v98, v101
	v_and_b32_e32 v101, v22, v4
	v_lshlrev_b32_e32 v4, 24, v21
	v_cmp_gt_i64_e32 vcc, 0, v[3:4]
	v_not_b32_e32 v4, v4
	v_ashrrev_i32_e32 v4, 31, v4
	v_mul_u32_u24_e32 v100, 20, v21
	v_xor_b32_e32 v21, vcc_hi, v4
	v_xor_b32_e32 v4, vcc_lo, v4
	v_and_b32_e32 v22, v98, v21
	v_and_b32_e32 v21, v101, v4
	v_mbcnt_lo_u32_b32 v4, v21, 0
	v_mbcnt_hi_u32_b32 v98, v22, v4
	v_cmp_ne_u64_e32 vcc, 0, v[21:22]
	v_cmp_eq_u32_e64 s[36:37], 0, v98
	s_and_b64 s[38:39], vcc, s[36:37]
	v_add_u32_e32 v101, v91, v100
	ds_write2_b32 v62, v3, v3 offset1:1
	ds_write2_b32 v63, v3, v3 offset1:1
	ds_write_b32 v41, v3 offset:1056
	s_waitcnt vmcnt(0) lgkmcnt(0)
	s_barrier
	; wave barrier
	s_and_saveexec_b64 s[36:37], s[38:39]
; %bb.93:                               ;   in Loop: Header=BB1980_72 Depth=2
	v_bcnt_u32_b32 v4, v21, 0
	v_bcnt_u32_b32 v4, v22, v4
	ds_write_b32 v101, v4 offset:1040
; %bb.94:                               ;   in Loop: Header=BB1980_72 Depth=2
	s_or_b64 exec, exec, s[36:37]
	v_cmp_gt_i16_e32 vcc, 0, v99
	v_cndmask_b32_e64 v4, v65, 0, vcc
	v_xor_b32_e32 v99, v4, v99
	v_cmp_ne_u16_e32 vcc, s62, v99
	v_cndmask_b32_e32 v4, v65, v99, vcc
	v_lshrrev_b32_sdwa v4, s63, v4 dst_sel:DWORD dst_unused:UNUSED_PAD src0_sel:DWORD src1_sel:WORD_0
	v_and_b32_e32 v21, s70, v4
	v_mad_u32_u24 v4, v21, 20, v91
	; wave barrier
	ds_read_b32 v100, v4 offset:1040
	v_and_b32_e32 v4, 1, v21
	v_add_co_u32_e32 v22, vcc, -1, v4
	v_addc_co_u32_e64 v102, s[36:37], 0, -1, vcc
	v_cmp_ne_u32_e32 vcc, 0, v4
	v_xor_b32_e32 v4, vcc_hi, v102
	v_and_b32_e32 v102, exec_hi, v4
	v_lshlrev_b32_e32 v4, 30, v21
	v_xor_b32_e32 v22, vcc_lo, v22
	v_cmp_gt_i64_e32 vcc, 0, v[3:4]
	v_not_b32_e32 v4, v4
	v_ashrrev_i32_e32 v4, 31, v4
	v_and_b32_e32 v22, exec_lo, v22
	v_xor_b32_e32 v105, vcc_hi, v4
	v_xor_b32_e32 v4, vcc_lo, v4
	v_and_b32_e32 v22, v22, v4
	v_lshlrev_b32_e32 v4, 29, v21
	v_cmp_gt_i64_e32 vcc, 0, v[3:4]
	v_not_b32_e32 v4, v4
	v_ashrrev_i32_e32 v4, 31, v4
	v_and_b32_e32 v102, v102, v105
	v_xor_b32_e32 v105, vcc_hi, v4
	v_xor_b32_e32 v4, vcc_lo, v4
	v_and_b32_e32 v22, v22, v4
	v_lshlrev_b32_e32 v4, 28, v21
	v_cmp_gt_i64_e32 vcc, 0, v[3:4]
	v_not_b32_e32 v4, v4
	v_ashrrev_i32_e32 v4, 31, v4
	v_and_b32_e32 v102, v102, v105
	;; [unrolled: 8-line block ×5, first 2 shown]
	v_xor_b32_e32 v105, vcc_hi, v4
	v_xor_b32_e32 v4, vcc_lo, v4
	v_and_b32_e32 v102, v102, v105
	v_and_b32_e32 v105, v22, v4
	v_lshlrev_b32_e32 v4, 24, v21
	v_cmp_gt_i64_e32 vcc, 0, v[3:4]
	v_not_b32_e32 v4, v4
	v_ashrrev_i32_e32 v4, 31, v4
	v_mul_u32_u24_e32 v104, 20, v21
	v_xor_b32_e32 v21, vcc_hi, v4
	v_xor_b32_e32 v4, vcc_lo, v4
	v_and_b32_e32 v22, v102, v21
	v_and_b32_e32 v21, v105, v4
	v_mbcnt_lo_u32_b32 v4, v21, 0
	v_mbcnt_hi_u32_b32 v102, v22, v4
	v_cmp_ne_u64_e32 vcc, 0, v[21:22]
	v_cmp_eq_u32_e64 s[36:37], 0, v102
	s_and_b64 s[38:39], vcc, s[36:37]
	v_add_u32_e32 v105, v91, v104
	; wave barrier
	s_and_saveexec_b64 s[36:37], s[38:39]
	s_cbranch_execz .LBB1980_96
; %bb.95:                               ;   in Loop: Header=BB1980_72 Depth=2
	v_bcnt_u32_b32 v4, v21, 0
	v_bcnt_u32_b32 v4, v22, v4
	s_waitcnt lgkmcnt(0)
	v_add_u32_e32 v4, v100, v4
	ds_write_b32 v105, v4 offset:1040
.LBB1980_96:                            ;   in Loop: Header=BB1980_72 Depth=2
	s_or_b64 exec, exec, s[36:37]
	v_cmp_gt_i16_e32 vcc, 0, v103
	v_cndmask_b32_e64 v4, v65, 0, vcc
	v_xor_b32_e32 v103, v4, v103
	v_cmp_ne_u16_e32 vcc, s62, v103
	v_cndmask_b32_e32 v4, v65, v103, vcc
	v_lshrrev_b32_sdwa v4, s63, v4 dst_sel:DWORD dst_unused:UNUSED_PAD src0_sel:DWORD src1_sel:WORD_0
	v_and_b32_e32 v21, s70, v4
	v_mad_u32_u24 v4, v21, 20, v91
	; wave barrier
	ds_read_b32 v104, v4 offset:1040
	v_and_b32_e32 v4, 1, v21
	v_add_co_u32_e32 v22, vcc, -1, v4
	v_addc_co_u32_e64 v106, s[36:37], 0, -1, vcc
	v_cmp_ne_u32_e32 vcc, 0, v4
	v_xor_b32_e32 v4, vcc_hi, v106
	v_and_b32_e32 v106, exec_hi, v4
	v_lshlrev_b32_e32 v4, 30, v21
	v_xor_b32_e32 v22, vcc_lo, v22
	v_cmp_gt_i64_e32 vcc, 0, v[3:4]
	v_not_b32_e32 v4, v4
	v_ashrrev_i32_e32 v4, 31, v4
	v_and_b32_e32 v22, exec_lo, v22
	v_xor_b32_e32 v110, vcc_hi, v4
	v_xor_b32_e32 v4, vcc_lo, v4
	v_and_b32_e32 v22, v22, v4
	v_lshlrev_b32_e32 v4, 29, v21
	v_cmp_gt_i64_e32 vcc, 0, v[3:4]
	v_not_b32_e32 v4, v4
	v_ashrrev_i32_e32 v4, 31, v4
	v_and_b32_e32 v106, v106, v110
	v_xor_b32_e32 v110, vcc_hi, v4
	v_xor_b32_e32 v4, vcc_lo, v4
	v_and_b32_e32 v22, v22, v4
	v_lshlrev_b32_e32 v4, 28, v21
	v_cmp_gt_i64_e32 vcc, 0, v[3:4]
	v_not_b32_e32 v4, v4
	v_ashrrev_i32_e32 v4, 31, v4
	v_and_b32_e32 v106, v106, v110
	;; [unrolled: 8-line block ×5, first 2 shown]
	v_xor_b32_e32 v110, vcc_hi, v4
	v_xor_b32_e32 v4, vcc_lo, v4
	v_and_b32_e32 v106, v106, v110
	v_and_b32_e32 v110, v22, v4
	v_lshlrev_b32_e32 v4, 24, v21
	v_cmp_gt_i64_e32 vcc, 0, v[3:4]
	v_not_b32_e32 v4, v4
	v_ashrrev_i32_e32 v4, 31, v4
	v_mul_u32_u24_e32 v109, 20, v21
	v_xor_b32_e32 v21, vcc_hi, v4
	v_xor_b32_e32 v4, vcc_lo, v4
	v_and_b32_e32 v22, v106, v21
	v_and_b32_e32 v21, v110, v4
	v_mbcnt_lo_u32_b32 v4, v21, 0
	v_mbcnt_hi_u32_b32 v106, v22, v4
	v_cmp_ne_u64_e32 vcc, 0, v[21:22]
	v_cmp_eq_u32_e64 s[36:37], 0, v106
	s_and_b64 s[38:39], vcc, s[36:37]
	v_add_u32_e32 v110, v91, v109
	; wave barrier
	s_and_saveexec_b64 s[36:37], s[38:39]
	s_cbranch_execz .LBB1980_98
; %bb.97:                               ;   in Loop: Header=BB1980_72 Depth=2
	v_bcnt_u32_b32 v4, v21, 0
	v_bcnt_u32_b32 v4, v22, v4
	s_waitcnt lgkmcnt(0)
	v_add_u32_e32 v4, v104, v4
	ds_write_b32 v110, v4 offset:1040
.LBB1980_98:                            ;   in Loop: Header=BB1980_72 Depth=2
	s_or_b64 exec, exec, s[36:37]
	v_cmp_gt_i16_e32 vcc, 0, v107
	v_cndmask_b32_e64 v4, v65, 0, vcc
	v_xor_b32_e32 v107, v4, v107
	v_cmp_ne_u16_e32 vcc, s62, v107
	v_cndmask_b32_e32 v4, v65, v107, vcc
	v_lshrrev_b32_sdwa v4, s63, v4 dst_sel:DWORD dst_unused:UNUSED_PAD src0_sel:DWORD src1_sel:WORD_0
	v_and_b32_e32 v21, s70, v4
	v_mad_u32_u24 v4, v21, 20, v91
	; wave barrier
	ds_read_b32 v109, v4 offset:1040
	v_and_b32_e32 v4, 1, v21
	v_add_co_u32_e32 v22, vcc, -1, v4
	v_addc_co_u32_e64 v111, s[36:37], 0, -1, vcc
	v_cmp_ne_u32_e32 vcc, 0, v4
	v_xor_b32_e32 v4, vcc_hi, v111
	v_and_b32_e32 v111, exec_hi, v4
	v_lshlrev_b32_e32 v4, 30, v21
	v_xor_b32_e32 v22, vcc_lo, v22
	v_cmp_gt_i64_e32 vcc, 0, v[3:4]
	v_not_b32_e32 v4, v4
	v_ashrrev_i32_e32 v4, 31, v4
	v_and_b32_e32 v22, exec_lo, v22
	v_xor_b32_e32 v114, vcc_hi, v4
	v_xor_b32_e32 v4, vcc_lo, v4
	v_and_b32_e32 v22, v22, v4
	v_lshlrev_b32_e32 v4, 29, v21
	v_cmp_gt_i64_e32 vcc, 0, v[3:4]
	v_not_b32_e32 v4, v4
	v_ashrrev_i32_e32 v4, 31, v4
	v_and_b32_e32 v111, v111, v114
	v_xor_b32_e32 v114, vcc_hi, v4
	v_xor_b32_e32 v4, vcc_lo, v4
	v_and_b32_e32 v22, v22, v4
	v_lshlrev_b32_e32 v4, 28, v21
	v_cmp_gt_i64_e32 vcc, 0, v[3:4]
	v_not_b32_e32 v4, v4
	v_ashrrev_i32_e32 v4, 31, v4
	v_and_b32_e32 v111, v111, v114
	;; [unrolled: 8-line block ×5, first 2 shown]
	v_xor_b32_e32 v114, vcc_hi, v4
	v_xor_b32_e32 v4, vcc_lo, v4
	v_and_b32_e32 v111, v111, v114
	v_and_b32_e32 v114, v22, v4
	v_lshlrev_b32_e32 v4, 24, v21
	v_cmp_gt_i64_e32 vcc, 0, v[3:4]
	v_not_b32_e32 v4, v4
	v_ashrrev_i32_e32 v4, 31, v4
	v_mul_u32_u24_e32 v113, 20, v21
	v_xor_b32_e32 v21, vcc_hi, v4
	v_xor_b32_e32 v4, vcc_lo, v4
	v_and_b32_e32 v22, v111, v21
	v_and_b32_e32 v21, v114, v4
	v_mbcnt_lo_u32_b32 v4, v21, 0
	v_mbcnt_hi_u32_b32 v111, v22, v4
	v_cmp_ne_u64_e32 vcc, 0, v[21:22]
	v_cmp_eq_u32_e64 s[36:37], 0, v111
	s_and_b64 s[38:39], vcc, s[36:37]
	v_add_u32_e32 v114, v91, v113
	; wave barrier
	s_and_saveexec_b64 s[36:37], s[38:39]
	s_cbranch_execz .LBB1980_100
; %bb.99:                               ;   in Loop: Header=BB1980_72 Depth=2
	v_bcnt_u32_b32 v4, v21, 0
	v_bcnt_u32_b32 v4, v22, v4
	s_waitcnt lgkmcnt(0)
	v_add_u32_e32 v4, v109, v4
	ds_write_b32 v114, v4 offset:1040
.LBB1980_100:                           ;   in Loop: Header=BB1980_72 Depth=2
	s_or_b64 exec, exec, s[36:37]
	v_cmp_gt_i16_e32 vcc, 0, v112
	v_cndmask_b32_e64 v4, v65, 0, vcc
	v_xor_b32_e32 v112, v4, v112
	v_cmp_ne_u16_e32 vcc, s62, v112
	v_cndmask_b32_e32 v4, v65, v112, vcc
	v_lshrrev_b32_sdwa v4, s63, v4 dst_sel:DWORD dst_unused:UNUSED_PAD src0_sel:DWORD src1_sel:WORD_0
	v_and_b32_e32 v21, s70, v4
	v_mad_u32_u24 v4, v21, 20, v91
	; wave barrier
	ds_read_b32 v113, v4 offset:1040
	v_and_b32_e32 v4, 1, v21
	v_add_co_u32_e32 v22, vcc, -1, v4
	v_addc_co_u32_e64 v115, s[36:37], 0, -1, vcc
	v_cmp_ne_u32_e32 vcc, 0, v4
	v_xor_b32_e32 v4, vcc_hi, v115
	v_and_b32_e32 v115, exec_hi, v4
	v_lshlrev_b32_e32 v4, 30, v21
	v_xor_b32_e32 v22, vcc_lo, v22
	v_cmp_gt_i64_e32 vcc, 0, v[3:4]
	v_not_b32_e32 v4, v4
	v_ashrrev_i32_e32 v4, 31, v4
	v_and_b32_e32 v22, exec_lo, v22
	v_xor_b32_e32 v117, vcc_hi, v4
	v_xor_b32_e32 v4, vcc_lo, v4
	v_and_b32_e32 v22, v22, v4
	v_lshlrev_b32_e32 v4, 29, v21
	v_cmp_gt_i64_e32 vcc, 0, v[3:4]
	v_not_b32_e32 v4, v4
	v_ashrrev_i32_e32 v4, 31, v4
	v_and_b32_e32 v115, v115, v117
	v_xor_b32_e32 v117, vcc_hi, v4
	v_xor_b32_e32 v4, vcc_lo, v4
	v_and_b32_e32 v22, v22, v4
	v_lshlrev_b32_e32 v4, 28, v21
	v_cmp_gt_i64_e32 vcc, 0, v[3:4]
	v_not_b32_e32 v4, v4
	v_ashrrev_i32_e32 v4, 31, v4
	v_and_b32_e32 v115, v115, v117
	;; [unrolled: 8-line block ×5, first 2 shown]
	v_xor_b32_e32 v117, vcc_hi, v4
	v_xor_b32_e32 v4, vcc_lo, v4
	v_and_b32_e32 v115, v115, v117
	v_and_b32_e32 v117, v22, v4
	v_lshlrev_b32_e32 v4, 24, v21
	v_cmp_gt_i64_e32 vcc, 0, v[3:4]
	v_not_b32_e32 v4, v4
	v_ashrrev_i32_e32 v4, 31, v4
	v_mul_u32_u24_e32 v116, 20, v21
	v_xor_b32_e32 v21, vcc_hi, v4
	v_xor_b32_e32 v4, vcc_lo, v4
	v_and_b32_e32 v22, v115, v21
	v_and_b32_e32 v21, v117, v4
	v_mbcnt_lo_u32_b32 v4, v21, 0
	v_mbcnt_hi_u32_b32 v115, v22, v4
	v_cmp_ne_u64_e32 vcc, 0, v[21:22]
	v_cmp_eq_u32_e64 s[36:37], 0, v115
	s_and_b64 s[38:39], vcc, s[36:37]
	v_add_u32_e32 v118, v91, v116
	; wave barrier
	s_and_saveexec_b64 s[36:37], s[38:39]
	s_cbranch_execz .LBB1980_102
; %bb.101:                              ;   in Loop: Header=BB1980_72 Depth=2
	v_bcnt_u32_b32 v4, v21, 0
	v_bcnt_u32_b32 v4, v22, v4
	s_waitcnt lgkmcnt(0)
	v_add_u32_e32 v4, v113, v4
	ds_write_b32 v118, v4 offset:1040
.LBB1980_102:                           ;   in Loop: Header=BB1980_72 Depth=2
	s_or_b64 exec, exec, s[36:37]
	v_cmp_gt_i16_e32 vcc, 0, v108
	v_cndmask_b32_e64 v4, v65, 0, vcc
	v_xor_b32_e32 v116, v4, v108
	v_cmp_ne_u16_e32 vcc, s62, v116
	v_cndmask_b32_e32 v4, v65, v116, vcc
	v_lshrrev_b32_sdwa v4, s63, v4 dst_sel:DWORD dst_unused:UNUSED_PAD src0_sel:DWORD src1_sel:WORD_0
	v_and_b32_e32 v21, s70, v4
	v_mad_u32_u24 v4, v21, 20, v91
	; wave barrier
	ds_read_b32 v117, v4 offset:1040
	v_and_b32_e32 v4, 1, v21
	v_add_co_u32_e32 v22, vcc, -1, v4
	v_addc_co_u32_e64 v119, s[36:37], 0, -1, vcc
	v_cmp_ne_u32_e32 vcc, 0, v4
	v_xor_b32_e32 v4, vcc_hi, v119
	v_and_b32_e32 v119, exec_hi, v4
	v_lshlrev_b32_e32 v4, 30, v21
	v_xor_b32_e32 v22, vcc_lo, v22
	v_cmp_gt_i64_e32 vcc, 0, v[3:4]
	v_not_b32_e32 v4, v4
	v_ashrrev_i32_e32 v4, 31, v4
	v_and_b32_e32 v22, exec_lo, v22
	v_xor_b32_e32 v120, vcc_hi, v4
	v_xor_b32_e32 v4, vcc_lo, v4
	v_and_b32_e32 v22, v22, v4
	v_lshlrev_b32_e32 v4, 29, v21
	v_cmp_gt_i64_e32 vcc, 0, v[3:4]
	v_not_b32_e32 v4, v4
	v_ashrrev_i32_e32 v4, 31, v4
	v_and_b32_e32 v119, v119, v120
	v_xor_b32_e32 v120, vcc_hi, v4
	v_xor_b32_e32 v4, vcc_lo, v4
	v_and_b32_e32 v22, v22, v4
	v_lshlrev_b32_e32 v4, 28, v21
	v_cmp_gt_i64_e32 vcc, 0, v[3:4]
	v_not_b32_e32 v4, v4
	v_ashrrev_i32_e32 v4, 31, v4
	v_and_b32_e32 v119, v119, v120
	;; [unrolled: 8-line block ×5, first 2 shown]
	v_xor_b32_e32 v120, vcc_hi, v4
	v_xor_b32_e32 v4, vcc_lo, v4
	v_and_b32_e32 v119, v119, v120
	v_and_b32_e32 v120, v22, v4
	v_lshlrev_b32_e32 v4, 24, v21
	v_cmp_gt_i64_e32 vcc, 0, v[3:4]
	v_not_b32_e32 v4, v4
	v_ashrrev_i32_e32 v4, 31, v4
	v_mul_u32_u24_e32 v108, 20, v21
	v_xor_b32_e32 v21, vcc_hi, v4
	v_xor_b32_e32 v4, vcc_lo, v4
	v_and_b32_e32 v22, v119, v21
	v_and_b32_e32 v21, v120, v4
	v_mbcnt_lo_u32_b32 v4, v21, 0
	v_mbcnt_hi_u32_b32 v119, v22, v4
	v_cmp_ne_u64_e32 vcc, 0, v[21:22]
	v_cmp_eq_u32_e64 s[36:37], 0, v119
	s_and_b64 s[38:39], vcc, s[36:37]
	v_add_u32_e32 v108, v91, v108
	; wave barrier
	s_and_saveexec_b64 s[36:37], s[38:39]
	s_cbranch_execz .LBB1980_104
; %bb.103:                              ;   in Loop: Header=BB1980_72 Depth=2
	v_bcnt_u32_b32 v4, v21, 0
	v_bcnt_u32_b32 v4, v22, v4
	s_waitcnt lgkmcnt(0)
	v_add_u32_e32 v4, v117, v4
	ds_write_b32 v108, v4 offset:1040
.LBB1980_104:                           ;   in Loop: Header=BB1980_72 Depth=2
	s_or_b64 exec, exec, s[36:37]
	v_cmp_gt_i16_e32 vcc, 0, v24
	v_cndmask_b32_e64 v4, v65, 0, vcc
	v_xor_b32_e32 v120, v4, v24
	v_cmp_ne_u16_e32 vcc, s62, v120
	v_cndmask_b32_e32 v4, v65, v120, vcc
	v_lshrrev_b32_sdwa v4, s63, v4 dst_sel:DWORD dst_unused:UNUSED_PAD src0_sel:DWORD src1_sel:WORD_0
	v_and_b32_e32 v21, s70, v4
	v_mad_u32_u24 v4, v21, 20, v91
	; wave barrier
	ds_read_b32 v121, v4 offset:1040
	v_and_b32_e32 v4, 1, v21
	v_add_co_u32_e32 v22, vcc, -1, v4
	v_addc_co_u32_e64 v122, s[36:37], 0, -1, vcc
	v_cmp_ne_u32_e32 vcc, 0, v4
	v_xor_b32_e32 v4, vcc_hi, v122
	v_and_b32_e32 v122, exec_hi, v4
	v_lshlrev_b32_e32 v4, 30, v21
	v_xor_b32_e32 v22, vcc_lo, v22
	v_cmp_gt_i64_e32 vcc, 0, v[3:4]
	v_not_b32_e32 v4, v4
	v_ashrrev_i32_e32 v4, 31, v4
	v_and_b32_e32 v22, exec_lo, v22
	v_xor_b32_e32 v123, vcc_hi, v4
	v_xor_b32_e32 v4, vcc_lo, v4
	v_and_b32_e32 v22, v22, v4
	v_lshlrev_b32_e32 v4, 29, v21
	v_cmp_gt_i64_e32 vcc, 0, v[3:4]
	v_not_b32_e32 v4, v4
	v_ashrrev_i32_e32 v4, 31, v4
	v_and_b32_e32 v122, v122, v123
	v_xor_b32_e32 v123, vcc_hi, v4
	v_xor_b32_e32 v4, vcc_lo, v4
	v_and_b32_e32 v22, v22, v4
	v_lshlrev_b32_e32 v4, 28, v21
	v_cmp_gt_i64_e32 vcc, 0, v[3:4]
	v_not_b32_e32 v4, v4
	v_ashrrev_i32_e32 v4, 31, v4
	v_and_b32_e32 v122, v122, v123
	;; [unrolled: 8-line block ×5, first 2 shown]
	v_xor_b32_e32 v123, vcc_hi, v4
	v_xor_b32_e32 v4, vcc_lo, v4
	v_and_b32_e32 v122, v122, v123
	v_and_b32_e32 v123, v22, v4
	v_lshlrev_b32_e32 v4, 24, v21
	v_cmp_gt_i64_e32 vcc, 0, v[3:4]
	v_not_b32_e32 v4, v4
	v_ashrrev_i32_e32 v4, 31, v4
	v_mul_u32_u24_e32 v24, 20, v21
	v_xor_b32_e32 v21, vcc_hi, v4
	v_xor_b32_e32 v4, vcc_lo, v4
	v_and_b32_e32 v22, v122, v21
	v_and_b32_e32 v21, v123, v4
	v_mbcnt_lo_u32_b32 v4, v21, 0
	v_mbcnt_hi_u32_b32 v122, v22, v4
	v_cmp_ne_u64_e32 vcc, 0, v[21:22]
	v_cmp_eq_u32_e64 s[36:37], 0, v122
	s_and_b64 s[38:39], vcc, s[36:37]
	v_add_u32_e32 v125, v91, v24
	; wave barrier
	s_and_saveexec_b64 s[36:37], s[38:39]
	s_cbranch_execz .LBB1980_106
; %bb.105:                              ;   in Loop: Header=BB1980_72 Depth=2
	v_bcnt_u32_b32 v4, v21, 0
	v_bcnt_u32_b32 v4, v22, v4
	s_waitcnt lgkmcnt(0)
	v_add_u32_e32 v4, v121, v4
	ds_write_b32 v125, v4 offset:1040
.LBB1980_106:                           ;   in Loop: Header=BB1980_72 Depth=2
	s_or_b64 exec, exec, s[36:37]
	v_cmp_gt_i16_e32 vcc, 0, v23
	v_cndmask_b32_e64 v4, v65, 0, vcc
	v_xor_b32_e32 v123, v4, v23
	v_cmp_ne_u16_e32 vcc, s62, v123
	v_cndmask_b32_e32 v4, v65, v123, vcc
	v_lshrrev_b32_sdwa v4, s63, v4 dst_sel:DWORD dst_unused:UNUSED_PAD src0_sel:DWORD src1_sel:WORD_0
	v_and_b32_e32 v21, s70, v4
	v_mad_u32_u24 v4, v21, 20, v91
	; wave barrier
	ds_read_b32 v124, v4 offset:1040
	v_and_b32_e32 v4, 1, v21
	v_add_co_u32_e32 v22, vcc, -1, v4
	v_addc_co_u32_e64 v24, s[36:37], 0, -1, vcc
	v_cmp_ne_u32_e32 vcc, 0, v4
	v_xor_b32_e32 v4, vcc_hi, v24
	v_and_b32_e32 v24, exec_hi, v4
	v_lshlrev_b32_e32 v4, 30, v21
	v_xor_b32_e32 v22, vcc_lo, v22
	v_cmp_gt_i64_e32 vcc, 0, v[3:4]
	v_not_b32_e32 v4, v4
	v_ashrrev_i32_e32 v4, 31, v4
	v_and_b32_e32 v22, exec_lo, v22
	v_xor_b32_e32 v126, vcc_hi, v4
	v_xor_b32_e32 v4, vcc_lo, v4
	v_and_b32_e32 v22, v22, v4
	v_lshlrev_b32_e32 v4, 29, v21
	v_cmp_gt_i64_e32 vcc, 0, v[3:4]
	v_not_b32_e32 v4, v4
	v_ashrrev_i32_e32 v4, 31, v4
	v_and_b32_e32 v24, v24, v126
	v_xor_b32_e32 v126, vcc_hi, v4
	v_xor_b32_e32 v4, vcc_lo, v4
	v_and_b32_e32 v22, v22, v4
	v_lshlrev_b32_e32 v4, 28, v21
	v_cmp_gt_i64_e32 vcc, 0, v[3:4]
	v_not_b32_e32 v4, v4
	v_ashrrev_i32_e32 v4, 31, v4
	v_and_b32_e32 v24, v24, v126
	;; [unrolled: 8-line block ×5, first 2 shown]
	v_xor_b32_e32 v126, vcc_hi, v4
	v_xor_b32_e32 v4, vcc_lo, v4
	v_and_b32_e32 v24, v24, v126
	v_and_b32_e32 v126, v22, v4
	v_lshlrev_b32_e32 v4, 24, v21
	v_cmp_gt_i64_e32 vcc, 0, v[3:4]
	v_not_b32_e32 v4, v4
	v_ashrrev_i32_e32 v4, 31, v4
	v_mul_u32_u24_e32 v23, 20, v21
	v_xor_b32_e32 v21, vcc_hi, v4
	v_xor_b32_e32 v4, vcc_lo, v4
	v_and_b32_e32 v22, v24, v21
	v_and_b32_e32 v21, v126, v4
	v_mbcnt_lo_u32_b32 v4, v21, 0
	v_mbcnt_hi_u32_b32 v126, v22, v4
	v_cmp_ne_u64_e32 vcc, 0, v[21:22]
	v_cmp_eq_u32_e64 s[36:37], 0, v126
	s_and_b64 s[38:39], vcc, s[36:37]
	v_add_u32_e32 v4, v91, v23
	; wave barrier
	s_and_saveexec_b64 s[36:37], s[38:39]
	s_cbranch_execz .LBB1980_108
; %bb.107:                              ;   in Loop: Header=BB1980_72 Depth=2
	v_bcnt_u32_b32 v21, v21, 0
	v_bcnt_u32_b32 v21, v22, v21
	s_waitcnt lgkmcnt(0)
	v_add_u32_e32 v21, v124, v21
	ds_write_b32 v4, v21 offset:1040
.LBB1980_108:                           ;   in Loop: Header=BB1980_72 Depth=2
	s_or_b64 exec, exec, s[36:37]
	; wave barrier
	s_waitcnt lgkmcnt(0)
	s_barrier
	ds_read2_b32 v[23:24], v62 offset1:1
	ds_read2_b32 v[21:22], v63 offset1:1
	ds_read_b32 v127, v41 offset:1056
	s_waitcnt lgkmcnt(1)
	v_add3_u32 v128, v24, v23, v21
	s_waitcnt lgkmcnt(0)
	v_add3_u32 v127, v128, v22, v127
	s_nop 1
	v_mov_b32_dpp v128, v127 row_shr:1 row_mask:0xf bank_mask:0xf
	v_cndmask_b32_e64 v128, v128, 0, s[16:17]
	v_add_u32_e32 v127, v128, v127
	s_nop 1
	v_mov_b32_dpp v128, v127 row_shr:2 row_mask:0xf bank_mask:0xf
	v_cndmask_b32_e64 v128, 0, v128, s[18:19]
	v_add_u32_e32 v127, v127, v128
	;; [unrolled: 4-line block ×4, first 2 shown]
	s_nop 1
	v_mov_b32_dpp v128, v127 row_bcast:15 row_mask:0xf bank_mask:0xf
	v_cndmask_b32_e64 v128, v128, 0, s[24:25]
	v_add_u32_e32 v127, v127, v128
	s_nop 1
	v_mov_b32_dpp v128, v127 row_bcast:31 row_mask:0xf bank_mask:0xf
	v_cndmask_b32_e64 v128, 0, v128, s[26:27]
	v_add_u32_e32 v127, v127, v128
	s_and_saveexec_b64 s[36:37], s[6:7]
; %bb.109:                              ;   in Loop: Header=BB1980_72 Depth=2
	ds_write_b32 v37, v127 offset:1024
; %bb.110:                              ;   in Loop: Header=BB1980_72 Depth=2
	s_or_b64 exec, exec, s[36:37]
	s_waitcnt lgkmcnt(0)
	s_barrier
	s_and_saveexec_b64 s[36:37], s[8:9]
	s_cbranch_execz .LBB1980_112
; %bb.111:                              ;   in Loop: Header=BB1980_72 Depth=2
	ds_read_b32 v128, v42 offset:1024
	s_waitcnt lgkmcnt(0)
	s_nop 0
	v_mov_b32_dpp v129, v128 row_shr:1 row_mask:0xf bank_mask:0xf
	v_cndmask_b32_e64 v129, v129, 0, s[30:31]
	v_add_u32_e32 v128, v129, v128
	s_nop 1
	v_mov_b32_dpp v129, v128 row_shr:2 row_mask:0xf bank_mask:0xf
	v_cndmask_b32_e64 v129, 0, v129, s[34:35]
	v_add_u32_e32 v128, v128, v129
	ds_write_b32 v42, v128 offset:1024
.LBB1980_112:                           ;   in Loop: Header=BB1980_72 Depth=2
	s_or_b64 exec, exec, s[36:37]
	v_mov_b32_e32 v128, 0
	s_waitcnt lgkmcnt(0)
	s_barrier
	s_and_saveexec_b64 s[36:37], s[10:11]
; %bb.113:                              ;   in Loop: Header=BB1980_72 Depth=2
	ds_read_b32 v128, v37 offset:1020
; %bb.114:                              ;   in Loop: Header=BB1980_72 Depth=2
	s_or_b64 exec, exec, s[36:37]
	s_waitcnt lgkmcnt(0)
	v_add_u32_e32 v127, v128, v127
	ds_bpermute_b32 v127, v82, v127
	s_waitcnt lgkmcnt(0)
	v_cndmask_b32_e64 v127, v127, v128, s[28:29]
	v_cndmask_b32_e64 v127, v127, 0, s[12:13]
	v_add_u32_e32 v23, v127, v23
	v_add_u32_e32 v24, v23, v24
	;; [unrolled: 1-line block ×4, first 2 shown]
	ds_write2_b32 v62, v127, v23 offset1:1
	ds_write2_b32 v63, v24, v21 offset1:1
	ds_write_b32 v41, v22 offset:1056
	s_waitcnt lgkmcnt(0)
	s_barrier
	ds_read_b32 v21, v101 offset:1040
	ds_read_b32 v22, v105 offset:1040
	;; [unrolled: 1-line block ×9, first 2 shown]
	v_mov_b32_e32 v4, 0x800
	s_and_saveexec_b64 s[36:37], s[14:15]
; %bb.115:                              ;   in Loop: Header=BB1980_72 Depth=2
	ds_read_b32 v4, v41 offset:1060
; %bb.116:                              ;   in Loop: Header=BB1980_72 Depth=2
	s_or_b64 exec, exec, s[36:37]
	s_waitcnt lgkmcnt(0)
	s_barrier
	s_and_saveexec_b64 s[36:37], s[4:5]
	s_cbranch_execz .LBB1980_118
; %bb.117:                              ;   in Loop: Header=BB1980_72 Depth=2
	ds_read_b32 v105, v25
	s_waitcnt lgkmcnt(0)
	v_sub_u32_e32 v101, v105, v101
	ds_write_b32 v25, v101
.LBB1980_118:                           ;   in Loop: Header=BB1980_72 Depth=2
	s_or_b64 exec, exec, s[36:37]
	v_add_u32_e32 v108, v21, v98
	v_add3_u32 v105, v102, v100, v22
	v_lshlrev_b32_e32 v21, 1, v108
	v_add3_u32 v102, v106, v104, v23
	ds_write_b16 v21, v97 offset:1024
	v_lshlrev_b32_e32 v21, 1, v105
	v_add3_u32 v101, v111, v109, v24
	ds_write_b16 v21, v99 offset:1024
	;; [unrolled: 3-line block ×6, first 2 shown]
	v_lshlrev_b32_e32 v21, 1, v24
	ds_write_b16 v21, v120 offset:1024
	v_lshlrev_b32_e32 v21, 1, v23
	v_cmp_lt_u32_e32 vcc, v0, v96
	ds_write_b16 v21, v123 offset:1024
	s_waitcnt lgkmcnt(0)
	s_barrier
	s_and_saveexec_b64 s[38:39], vcc
	s_cbranch_execnz .LBB1980_155
; %bb.119:                              ;   in Loop: Header=BB1980_72 Depth=2
	s_or_b64 exec, exec, s[38:39]
	v_cmp_lt_u32_e64 s[36:37], v26, v96
	s_and_saveexec_b64 s[40:41], s[36:37]
	s_cbranch_execnz .LBB1980_156
.LBB1980_120:                           ;   in Loop: Header=BB1980_72 Depth=2
	s_or_b64 exec, exec, s[40:41]
	v_cmp_lt_u32_e64 s[38:39], v27, v96
	s_and_saveexec_b64 s[42:43], s[38:39]
	s_cbranch_execnz .LBB1980_157
.LBB1980_121:                           ;   in Loop: Header=BB1980_72 Depth=2
	s_or_b64 exec, exec, s[42:43]
	v_cmp_lt_u32_e64 s[40:41], v28, v96
	s_and_saveexec_b64 s[44:45], s[40:41]
	s_cbranch_execnz .LBB1980_158
.LBB1980_122:                           ;   in Loop: Header=BB1980_72 Depth=2
	s_or_b64 exec, exec, s[44:45]
	v_cmp_lt_u32_e64 s[42:43], v31, v96
	s_and_saveexec_b64 s[46:47], s[42:43]
	s_cbranch_execnz .LBB1980_159
.LBB1980_123:                           ;   in Loop: Header=BB1980_72 Depth=2
	s_or_b64 exec, exec, s[46:47]
	v_cmp_lt_u32_e64 s[44:45], v32, v96
	s_and_saveexec_b64 s[48:49], s[44:45]
	s_cbranch_execnz .LBB1980_160
.LBB1980_124:                           ;   in Loop: Header=BB1980_72 Depth=2
	s_or_b64 exec, exec, s[48:49]
	v_cmp_lt_u32_e64 s[46:47], v33, v96
	s_and_saveexec_b64 s[52:53], s[46:47]
	s_cbranch_execnz .LBB1980_161
.LBB1980_125:                           ;   in Loop: Header=BB1980_72 Depth=2
	s_or_b64 exec, exec, s[52:53]
	v_cmp_lt_u32_e64 s[48:49], v34, v96
	s_and_saveexec_b64 s[60:61], s[48:49]
	s_cbranch_execz .LBB1980_127
.LBB1980_126:                           ;   in Loop: Header=BB1980_72 Depth=2
	ds_read_u16 v21, v47 offset:4608
	v_mov_b32_e32 v22, v3
	v_mov_b32_e32 v99, s67
	s_waitcnt lgkmcnt(0)
	v_cmp_ne_u16_e64 s[52:53], s62, v21
	v_cndmask_b32_e64 v97, v65, v21, s[52:53]
	v_lshrrev_b32_sdwa v97, s63, v97 dst_sel:DWORD dst_unused:UNUSED_PAD src0_sel:DWORD src1_sel:WORD_0
	v_and_b32_e32 v97, s70, v97
	v_lshlrev_b32_e32 v97, 2, v97
	ds_read_b32 v97, v97
	v_cmp_gt_i16_e64 s[52:53], 0, v21
	v_cndmask_b32_e64 v103, v65, 0, s[52:53]
	v_xor_b32_e32 v103, v103, v21
	s_waitcnt lgkmcnt(0)
	v_add_u32_e32 v21, v97, v34
	v_lshlrev_b64 v[21:22], 1, v[21:22]
	v_add_co_u32_e64 v21, s[52:53], s66, v21
	v_addc_co_u32_e64 v22, s[52:53], v99, v22, s[52:53]
	global_store_short v[21:22], v103, off
.LBB1980_127:                           ;   in Loop: Header=BB1980_72 Depth=2
	s_or_b64 exec, exec, s[60:61]
	s_lshl_b64 s[52:53], s[58:59], 3
	v_mov_b32_e32 v22, s53
	v_add_co_u32_e64 v21, s[52:53], s52, v83
	v_addc_co_u32_e64 v22, s[52:53], v84, v22, s[52:53]
	v_cmp_lt_u32_e64 s[52:53], v73, v96
	s_and_saveexec_b64 s[60:61], s[52:53]
	s_xor_b64 s[52:53], exec, s[60:61]
	s_cbranch_execnz .LBB1980_162
; %bb.128:                              ;   in Loop: Header=BB1980_72 Depth=2
	s_or_b64 exec, exec, s[52:53]
	v_cmp_lt_u32_e64 s[52:53], v74, v96
	s_and_saveexec_b64 s[60:61], s[52:53]
	s_cbranch_execnz .LBB1980_163
.LBB1980_129:                           ;   in Loop: Header=BB1980_72 Depth=2
	s_or_b64 exec, exec, s[60:61]
	v_cmp_lt_u32_e64 s[52:53], v75, v96
	s_and_saveexec_b64 s[60:61], s[52:53]
	s_cbranch_execnz .LBB1980_164
.LBB1980_130:                           ;   in Loop: Header=BB1980_72 Depth=2
	s_or_b64 exec, exec, s[60:61]
	v_cmp_lt_u32_e64 s[52:53], v76, v96
	s_and_saveexec_b64 s[60:61], s[52:53]
	s_cbranch_execnz .LBB1980_165
.LBB1980_131:                           ;   in Loop: Header=BB1980_72 Depth=2
	s_or_b64 exec, exec, s[60:61]
	v_cmp_lt_u32_e64 s[52:53], v77, v96
	s_and_saveexec_b64 s[60:61], s[52:53]
	s_cbranch_execnz .LBB1980_166
.LBB1980_132:                           ;   in Loop: Header=BB1980_72 Depth=2
	s_or_b64 exec, exec, s[60:61]
	v_cmp_lt_u32_e64 s[52:53], v78, v96
	s_and_saveexec_b64 s[60:61], s[52:53]
	s_cbranch_execnz .LBB1980_167
.LBB1980_133:                           ;   in Loop: Header=BB1980_72 Depth=2
	s_or_b64 exec, exec, s[60:61]
	v_cmp_lt_u32_e64 s[52:53], v79, v96
	s_and_saveexec_b64 s[60:61], s[52:53]
	s_cbranch_execnz .LBB1980_168
.LBB1980_134:                           ;   in Loop: Header=BB1980_72 Depth=2
	s_or_b64 exec, exec, s[60:61]
	v_cmp_lt_u32_e64 s[52:53], v80, v96
	s_and_saveexec_b64 s[60:61], s[52:53]
	s_cbranch_execnz .LBB1980_169
.LBB1980_135:                           ;   in Loop: Header=BB1980_72 Depth=2
	s_or_b64 exec, exec, s[60:61]
	s_and_saveexec_b64 s[60:61], vcc
	s_cbranch_execnz .LBB1980_170
.LBB1980_136:                           ;   in Loop: Header=BB1980_72 Depth=2
	s_or_b64 exec, exec, s[60:61]
	s_and_saveexec_b64 s[60:61], s[36:37]
	s_cbranch_execnz .LBB1980_171
.LBB1980_137:                           ;   in Loop: Header=BB1980_72 Depth=2
	s_or_b64 exec, exec, s[60:61]
	s_and_saveexec_b64 s[60:61], s[38:39]
	s_cbranch_execnz .LBB1980_172
.LBB1980_138:                           ;   in Loop: Header=BB1980_72 Depth=2
	s_or_b64 exec, exec, s[60:61]
	s_and_saveexec_b64 s[60:61], s[40:41]
	s_cbranch_execnz .LBB1980_173
.LBB1980_139:                           ;   in Loop: Header=BB1980_72 Depth=2
	s_or_b64 exec, exec, s[60:61]
	s_and_saveexec_b64 s[60:61], s[42:43]
	s_cbranch_execnz .LBB1980_174
.LBB1980_140:                           ;   in Loop: Header=BB1980_72 Depth=2
	s_or_b64 exec, exec, s[60:61]
	s_and_saveexec_b64 s[60:61], s[44:45]
	s_cbranch_execnz .LBB1980_175
.LBB1980_141:                           ;   in Loop: Header=BB1980_72 Depth=2
	s_or_b64 exec, exec, s[60:61]
	s_and_saveexec_b64 s[60:61], s[46:47]
	s_cbranch_execnz .LBB1980_176
.LBB1980_142:                           ;   in Loop: Header=BB1980_72 Depth=2
	s_or_b64 exec, exec, s[60:61]
	s_and_saveexec_b64 s[60:61], s[48:49]
	s_cbranch_execz .LBB1980_144
.LBB1980_143:                           ;   in Loop: Header=BB1980_72 Depth=2
	ds_read_u16 v21, v47 offset:4608
	s_waitcnt lgkmcnt(0)
	v_cmp_ne_u16_e64 s[52:53], s62, v21
	v_cndmask_b32_e64 v21, v65, v21, s[52:53]
	v_lshrrev_b32_sdwa v21, s63, v21 dst_sel:DWORD dst_unused:UNUSED_PAD src0_sel:DWORD src1_sel:WORD_0
	v_and_b32_e32 v87, s70, v21
.LBB1980_144:                           ;   in Loop: Header=BB1980_72 Depth=2
	s_or_b64 exec, exec, s[60:61]
	v_lshlrev_b32_e32 v21, 3, v108
	s_waitcnt vmcnt(0)
	s_barrier
	ds_write_b64 v21, v[19:20] offset:1024
	v_lshlrev_b32_e32 v21, 3, v105
	ds_write_b64 v21, v[17:18] offset:1024
	v_lshlrev_b32_e32 v21, 3, v102
	;; [unrolled: 2-line block ×7, first 2 shown]
	ds_write_b64 v21, v[5:6] offset:1024
	s_waitcnt lgkmcnt(0)
	s_barrier
	s_and_saveexec_b64 s[52:53], vcc
	s_cbranch_execnz .LBB1980_177
; %bb.145:                              ;   in Loop: Header=BB1980_72 Depth=2
	s_or_b64 exec, exec, s[52:53]
	s_and_saveexec_b64 s[52:53], s[36:37]
	s_cbranch_execnz .LBB1980_178
.LBB1980_146:                           ;   in Loop: Header=BB1980_72 Depth=2
	s_or_b64 exec, exec, s[52:53]
	s_and_saveexec_b64 s[36:37], s[38:39]
	s_cbranch_execnz .LBB1980_179
.LBB1980_147:                           ;   in Loop: Header=BB1980_72 Depth=2
	s_or_b64 exec, exec, s[36:37]
	s_and_saveexec_b64 s[36:37], s[40:41]
	s_cbranch_execnz .LBB1980_180
.LBB1980_148:                           ;   in Loop: Header=BB1980_72 Depth=2
	s_or_b64 exec, exec, s[36:37]
	s_and_saveexec_b64 s[36:37], s[42:43]
	s_cbranch_execnz .LBB1980_181
.LBB1980_149:                           ;   in Loop: Header=BB1980_72 Depth=2
	s_or_b64 exec, exec, s[36:37]
	s_and_saveexec_b64 s[36:37], s[44:45]
	s_cbranch_execnz .LBB1980_182
.LBB1980_150:                           ;   in Loop: Header=BB1980_72 Depth=2
	s_or_b64 exec, exec, s[36:37]
	s_and_saveexec_b64 s[36:37], s[46:47]
	s_cbranch_execnz .LBB1980_183
.LBB1980_151:                           ;   in Loop: Header=BB1980_72 Depth=2
	s_or_b64 exec, exec, s[36:37]
	s_and_saveexec_b64 s[36:37], s[48:49]
	s_cbranch_execz .LBB1980_153
.LBB1980_152:                           ;   in Loop: Header=BB1980_72 Depth=2
	v_lshlrev_b32_e32 v21, 2, v87
	ds_read_b32 v23, v21
	v_add_u32_e32 v21, v47, v48
	ds_read_b64 v[21:22], v21 offset:15360
	v_mov_b32_e32 v24, v3
	v_mov_b32_e32 v96, s73
	s_waitcnt lgkmcnt(1)
	v_add_u32_e32 v23, v23, v34
	v_lshlrev_b64 v[23:24], 3, v[23:24]
	v_add_co_u32_e32 v23, vcc, s72, v23
	v_addc_co_u32_e32 v24, vcc, v96, v24, vcc
	s_waitcnt lgkmcnt(0)
	global_store_dwordx2 v[23:24], v[21:22], off
.LBB1980_153:                           ;   in Loop: Header=BB1980_72 Depth=2
	s_or_b64 exec, exec, s[36:37]
	s_waitcnt vmcnt(0)
	s_barrier
	s_and_saveexec_b64 s[36:37], s[4:5]
	s_cbranch_execz .LBB1980_71
; %bb.154:                              ;   in Loop: Header=BB1980_72 Depth=2
	ds_read_b32 v21, v25
	s_waitcnt lgkmcnt(0)
	v_add_u32_e32 v4, v21, v4
	ds_write_b32 v25, v4
	s_branch .LBB1980_71
.LBB1980_155:                           ;   in Loop: Header=BB1980_72 Depth=2
	ds_read_u16 v21, v47 offset:1024
	v_mov_b32_e32 v22, v3
	v_mov_b32_e32 v99, s67
	s_waitcnt lgkmcnt(0)
	v_cmp_ne_u16_e64 s[36:37], s62, v21
	v_cndmask_b32_e64 v97, v65, v21, s[36:37]
	v_lshrrev_b32_sdwa v97, s63, v97 dst_sel:DWORD dst_unused:UNUSED_PAD src0_sel:DWORD src1_sel:WORD_0
	v_and_b32_e32 v97, s70, v97
	v_lshlrev_b32_e32 v97, 2, v97
	ds_read_b32 v97, v97
	v_cmp_gt_i16_e64 s[36:37], 0, v21
	v_cndmask_b32_e64 v103, v65, 0, s[36:37]
	v_xor_b32_e32 v103, v103, v21
	s_waitcnt lgkmcnt(0)
	v_add_u32_e32 v21, v97, v0
	v_lshlrev_b64 v[21:22], 1, v[21:22]
	v_add_co_u32_e64 v21, s[36:37], s66, v21
	v_addc_co_u32_e64 v22, s[36:37], v99, v22, s[36:37]
	global_store_short v[21:22], v103, off
	s_or_b64 exec, exec, s[38:39]
	v_cmp_lt_u32_e64 s[36:37], v26, v96
	s_and_saveexec_b64 s[40:41], s[36:37]
	s_cbranch_execz .LBB1980_120
.LBB1980_156:                           ;   in Loop: Header=BB1980_72 Depth=2
	ds_read_u16 v21, v47 offset:1536
	v_mov_b32_e32 v22, v3
	v_mov_b32_e32 v99, s67
	s_waitcnt lgkmcnt(0)
	v_cmp_ne_u16_e64 s[38:39], s62, v21
	v_cndmask_b32_e64 v97, v65, v21, s[38:39]
	v_lshrrev_b32_sdwa v97, s63, v97 dst_sel:DWORD dst_unused:UNUSED_PAD src0_sel:DWORD src1_sel:WORD_0
	v_and_b32_e32 v97, s70, v97
	v_lshlrev_b32_e32 v97, 2, v97
	ds_read_b32 v97, v97
	v_cmp_gt_i16_e64 s[38:39], 0, v21
	v_cndmask_b32_e64 v103, v65, 0, s[38:39]
	v_xor_b32_e32 v103, v103, v21
	s_waitcnt lgkmcnt(0)
	v_add_u32_e32 v21, v97, v26
	v_lshlrev_b64 v[21:22], 1, v[21:22]
	v_add_co_u32_e64 v21, s[38:39], s66, v21
	v_addc_co_u32_e64 v22, s[38:39], v99, v22, s[38:39]
	global_store_short v[21:22], v103, off
	s_or_b64 exec, exec, s[40:41]
	v_cmp_lt_u32_e64 s[38:39], v27, v96
	s_and_saveexec_b64 s[42:43], s[38:39]
	s_cbranch_execz .LBB1980_121
.LBB1980_157:                           ;   in Loop: Header=BB1980_72 Depth=2
	ds_read_u16 v21, v47 offset:2048
	v_mov_b32_e32 v22, v3
	v_mov_b32_e32 v99, s67
	s_waitcnt lgkmcnt(0)
	v_cmp_ne_u16_e64 s[40:41], s62, v21
	v_cndmask_b32_e64 v97, v65, v21, s[40:41]
	v_lshrrev_b32_sdwa v97, s63, v97 dst_sel:DWORD dst_unused:UNUSED_PAD src0_sel:DWORD src1_sel:WORD_0
	v_and_b32_e32 v97, s70, v97
	v_lshlrev_b32_e32 v97, 2, v97
	ds_read_b32 v97, v97
	v_cmp_gt_i16_e64 s[40:41], 0, v21
	v_cndmask_b32_e64 v103, v65, 0, s[40:41]
	v_xor_b32_e32 v103, v103, v21
	s_waitcnt lgkmcnt(0)
	v_add_u32_e32 v21, v97, v27
	v_lshlrev_b64 v[21:22], 1, v[21:22]
	v_add_co_u32_e64 v21, s[40:41], s66, v21
	v_addc_co_u32_e64 v22, s[40:41], v99, v22, s[40:41]
	global_store_short v[21:22], v103, off
	s_or_b64 exec, exec, s[42:43]
	v_cmp_lt_u32_e64 s[40:41], v28, v96
	s_and_saveexec_b64 s[44:45], s[40:41]
	s_cbranch_execz .LBB1980_122
.LBB1980_158:                           ;   in Loop: Header=BB1980_72 Depth=2
	ds_read_u16 v21, v47 offset:2560
	v_mov_b32_e32 v22, v3
	v_mov_b32_e32 v99, s67
	s_waitcnt lgkmcnt(0)
	v_cmp_ne_u16_e64 s[42:43], s62, v21
	v_cndmask_b32_e64 v97, v65, v21, s[42:43]
	v_lshrrev_b32_sdwa v97, s63, v97 dst_sel:DWORD dst_unused:UNUSED_PAD src0_sel:DWORD src1_sel:WORD_0
	v_and_b32_e32 v97, s70, v97
	v_lshlrev_b32_e32 v97, 2, v97
	ds_read_b32 v97, v97
	v_cmp_gt_i16_e64 s[42:43], 0, v21
	v_cndmask_b32_e64 v103, v65, 0, s[42:43]
	v_xor_b32_e32 v103, v103, v21
	s_waitcnt lgkmcnt(0)
	v_add_u32_e32 v21, v97, v28
	v_lshlrev_b64 v[21:22], 1, v[21:22]
	v_add_co_u32_e64 v21, s[42:43], s66, v21
	v_addc_co_u32_e64 v22, s[42:43], v99, v22, s[42:43]
	global_store_short v[21:22], v103, off
	s_or_b64 exec, exec, s[44:45]
	v_cmp_lt_u32_e64 s[42:43], v31, v96
	s_and_saveexec_b64 s[46:47], s[42:43]
	s_cbranch_execz .LBB1980_123
.LBB1980_159:                           ;   in Loop: Header=BB1980_72 Depth=2
	ds_read_u16 v21, v47 offset:3072
	v_mov_b32_e32 v22, v3
	v_mov_b32_e32 v99, s67
	s_waitcnt lgkmcnt(0)
	v_cmp_ne_u16_e64 s[44:45], s62, v21
	v_cndmask_b32_e64 v97, v65, v21, s[44:45]
	v_lshrrev_b32_sdwa v97, s63, v97 dst_sel:DWORD dst_unused:UNUSED_PAD src0_sel:DWORD src1_sel:WORD_0
	v_and_b32_e32 v97, s70, v97
	v_lshlrev_b32_e32 v97, 2, v97
	ds_read_b32 v97, v97
	v_cmp_gt_i16_e64 s[44:45], 0, v21
	v_cndmask_b32_e64 v103, v65, 0, s[44:45]
	v_xor_b32_e32 v103, v103, v21
	s_waitcnt lgkmcnt(0)
	v_add_u32_e32 v21, v97, v31
	v_lshlrev_b64 v[21:22], 1, v[21:22]
	v_add_co_u32_e64 v21, s[44:45], s66, v21
	v_addc_co_u32_e64 v22, s[44:45], v99, v22, s[44:45]
	global_store_short v[21:22], v103, off
	s_or_b64 exec, exec, s[46:47]
	v_cmp_lt_u32_e64 s[44:45], v32, v96
	s_and_saveexec_b64 s[48:49], s[44:45]
	s_cbranch_execz .LBB1980_124
.LBB1980_160:                           ;   in Loop: Header=BB1980_72 Depth=2
	ds_read_u16 v21, v47 offset:3584
	v_mov_b32_e32 v22, v3
	v_mov_b32_e32 v99, s67
	s_waitcnt lgkmcnt(0)
	v_cmp_ne_u16_e64 s[46:47], s62, v21
	v_cndmask_b32_e64 v97, v65, v21, s[46:47]
	v_lshrrev_b32_sdwa v97, s63, v97 dst_sel:DWORD dst_unused:UNUSED_PAD src0_sel:DWORD src1_sel:WORD_0
	v_and_b32_e32 v97, s70, v97
	v_lshlrev_b32_e32 v97, 2, v97
	ds_read_b32 v97, v97
	v_cmp_gt_i16_e64 s[46:47], 0, v21
	v_cndmask_b32_e64 v103, v65, 0, s[46:47]
	v_xor_b32_e32 v103, v103, v21
	s_waitcnt lgkmcnt(0)
	v_add_u32_e32 v21, v97, v32
	v_lshlrev_b64 v[21:22], 1, v[21:22]
	v_add_co_u32_e64 v21, s[46:47], s66, v21
	v_addc_co_u32_e64 v22, s[46:47], v99, v22, s[46:47]
	global_store_short v[21:22], v103, off
	s_or_b64 exec, exec, s[48:49]
	v_cmp_lt_u32_e64 s[46:47], v33, v96
	s_and_saveexec_b64 s[52:53], s[46:47]
	s_cbranch_execz .LBB1980_125
.LBB1980_161:                           ;   in Loop: Header=BB1980_72 Depth=2
	ds_read_u16 v21, v47 offset:4096
	v_mov_b32_e32 v22, v3
	v_mov_b32_e32 v99, s67
	s_waitcnt lgkmcnt(0)
	v_cmp_ne_u16_e64 s[48:49], s62, v21
	v_cndmask_b32_e64 v97, v65, v21, s[48:49]
	v_lshrrev_b32_sdwa v97, s63, v97 dst_sel:DWORD dst_unused:UNUSED_PAD src0_sel:DWORD src1_sel:WORD_0
	v_and_b32_e32 v97, s70, v97
	v_lshlrev_b32_e32 v97, 2, v97
	ds_read_b32 v97, v97
	v_cmp_gt_i16_e64 s[48:49], 0, v21
	v_cndmask_b32_e64 v103, v65, 0, s[48:49]
	v_xor_b32_e32 v103, v103, v21
	s_waitcnt lgkmcnt(0)
	v_add_u32_e32 v21, v97, v33
	v_lshlrev_b64 v[21:22], 1, v[21:22]
	v_add_co_u32_e64 v21, s[48:49], s66, v21
	v_addc_co_u32_e64 v22, s[48:49], v99, v22, s[48:49]
	global_store_short v[21:22], v103, off
	s_or_b64 exec, exec, s[52:53]
	v_cmp_lt_u32_e64 s[48:49], v34, v96
	s_and_saveexec_b64 s[60:61], s[48:49]
	s_cbranch_execnz .LBB1980_126
	s_branch .LBB1980_127
.LBB1980_162:                           ;   in Loop: Header=BB1980_72 Depth=2
	global_load_dwordx2 v[19:20], v[21:22], off
	s_or_b64 exec, exec, s[52:53]
	v_cmp_lt_u32_e64 s[52:53], v74, v96
	s_and_saveexec_b64 s[60:61], s[52:53]
	s_cbranch_execz .LBB1980_129
.LBB1980_163:                           ;   in Loop: Header=BB1980_72 Depth=2
	global_load_dwordx2 v[17:18], v[21:22], off offset:512
	s_or_b64 exec, exec, s[60:61]
	v_cmp_lt_u32_e64 s[52:53], v75, v96
	s_and_saveexec_b64 s[60:61], s[52:53]
	s_cbranch_execz .LBB1980_130
.LBB1980_164:                           ;   in Loop: Header=BB1980_72 Depth=2
	global_load_dwordx2 v[15:16], v[21:22], off offset:1024
	s_or_b64 exec, exec, s[60:61]
	v_cmp_lt_u32_e64 s[52:53], v76, v96
	s_and_saveexec_b64 s[60:61], s[52:53]
	s_cbranch_execz .LBB1980_131
.LBB1980_165:                           ;   in Loop: Header=BB1980_72 Depth=2
	global_load_dwordx2 v[13:14], v[21:22], off offset:1536
	s_or_b64 exec, exec, s[60:61]
	v_cmp_lt_u32_e64 s[52:53], v77, v96
	s_and_saveexec_b64 s[60:61], s[52:53]
	s_cbranch_execz .LBB1980_132
.LBB1980_166:                           ;   in Loop: Header=BB1980_72 Depth=2
	global_load_dwordx2 v[11:12], v[21:22], off offset:2048
	s_or_b64 exec, exec, s[60:61]
	v_cmp_lt_u32_e64 s[52:53], v78, v96
	s_and_saveexec_b64 s[60:61], s[52:53]
	s_cbranch_execz .LBB1980_133
.LBB1980_167:                           ;   in Loop: Header=BB1980_72 Depth=2
	global_load_dwordx2 v[9:10], v[21:22], off offset:2560
	s_or_b64 exec, exec, s[60:61]
	v_cmp_lt_u32_e64 s[52:53], v79, v96
	s_and_saveexec_b64 s[60:61], s[52:53]
	s_cbranch_execz .LBB1980_134
.LBB1980_168:                           ;   in Loop: Header=BB1980_72 Depth=2
	global_load_dwordx2 v[7:8], v[21:22], off offset:3072
	s_or_b64 exec, exec, s[60:61]
	v_cmp_lt_u32_e64 s[52:53], v80, v96
	s_and_saveexec_b64 s[60:61], s[52:53]
	s_cbranch_execz .LBB1980_135
.LBB1980_169:                           ;   in Loop: Header=BB1980_72 Depth=2
	global_load_dwordx2 v[5:6], v[21:22], off offset:3584
	s_or_b64 exec, exec, s[60:61]
	s_and_saveexec_b64 s[60:61], vcc
	s_cbranch_execz .LBB1980_136
.LBB1980_170:                           ;   in Loop: Header=BB1980_72 Depth=2
	ds_read_u16 v21, v47 offset:1024
	s_waitcnt lgkmcnt(0)
	v_cmp_ne_u16_e64 s[52:53], s62, v21
	v_cndmask_b32_e64 v21, v65, v21, s[52:53]
	v_lshrrev_b32_sdwa v21, s63, v21 dst_sel:DWORD dst_unused:UNUSED_PAD src0_sel:DWORD src1_sel:WORD_0
	v_and_b32_e32 v95, s70, v21
	s_or_b64 exec, exec, s[60:61]
	s_and_saveexec_b64 s[60:61], s[36:37]
	s_cbranch_execz .LBB1980_137
.LBB1980_171:                           ;   in Loop: Header=BB1980_72 Depth=2
	ds_read_u16 v21, v47 offset:1536
	s_waitcnt lgkmcnt(0)
	v_cmp_ne_u16_e64 s[52:53], s62, v21
	v_cndmask_b32_e64 v21, v65, v21, s[52:53]
	v_lshrrev_b32_sdwa v21, s63, v21 dst_sel:DWORD dst_unused:UNUSED_PAD src0_sel:DWORD src1_sel:WORD_0
	v_and_b32_e32 v94, s70, v21
	s_or_b64 exec, exec, s[60:61]
	s_and_saveexec_b64 s[60:61], s[38:39]
	s_cbranch_execz .LBB1980_138
.LBB1980_172:                           ;   in Loop: Header=BB1980_72 Depth=2
	ds_read_u16 v21, v47 offset:2048
	s_waitcnt lgkmcnt(0)
	v_cmp_ne_u16_e64 s[52:53], s62, v21
	v_cndmask_b32_e64 v21, v65, v21, s[52:53]
	v_lshrrev_b32_sdwa v21, s63, v21 dst_sel:DWORD dst_unused:UNUSED_PAD src0_sel:DWORD src1_sel:WORD_0
	v_and_b32_e32 v93, s70, v21
	s_or_b64 exec, exec, s[60:61]
	s_and_saveexec_b64 s[60:61], s[40:41]
	s_cbranch_execz .LBB1980_139
.LBB1980_173:                           ;   in Loop: Header=BB1980_72 Depth=2
	ds_read_u16 v21, v47 offset:2560
	s_waitcnt lgkmcnt(0)
	v_cmp_ne_u16_e64 s[52:53], s62, v21
	v_cndmask_b32_e64 v21, v65, v21, s[52:53]
	v_lshrrev_b32_sdwa v21, s63, v21 dst_sel:DWORD dst_unused:UNUSED_PAD src0_sel:DWORD src1_sel:WORD_0
	v_and_b32_e32 v92, s70, v21
	s_or_b64 exec, exec, s[60:61]
	s_and_saveexec_b64 s[60:61], s[42:43]
	s_cbranch_execz .LBB1980_140
.LBB1980_174:                           ;   in Loop: Header=BB1980_72 Depth=2
	ds_read_u16 v21, v47 offset:3072
	s_waitcnt lgkmcnt(0)
	v_cmp_ne_u16_e64 s[52:53], s62, v21
	v_cndmask_b32_e64 v21, v65, v21, s[52:53]
	v_lshrrev_b32_sdwa v21, s63, v21 dst_sel:DWORD dst_unused:UNUSED_PAD src0_sel:DWORD src1_sel:WORD_0
	v_and_b32_e32 v90, s70, v21
	s_or_b64 exec, exec, s[60:61]
	s_and_saveexec_b64 s[60:61], s[44:45]
	s_cbranch_execz .LBB1980_141
.LBB1980_175:                           ;   in Loop: Header=BB1980_72 Depth=2
	ds_read_u16 v21, v47 offset:3584
	s_waitcnt lgkmcnt(0)
	v_cmp_ne_u16_e64 s[52:53], s62, v21
	v_cndmask_b32_e64 v21, v65, v21, s[52:53]
	v_lshrrev_b32_sdwa v21, s63, v21 dst_sel:DWORD dst_unused:UNUSED_PAD src0_sel:DWORD src1_sel:WORD_0
	v_and_b32_e32 v89, s70, v21
	s_or_b64 exec, exec, s[60:61]
	s_and_saveexec_b64 s[60:61], s[46:47]
	s_cbranch_execz .LBB1980_142
.LBB1980_176:                           ;   in Loop: Header=BB1980_72 Depth=2
	ds_read_u16 v21, v47 offset:4096
	s_waitcnt lgkmcnt(0)
	v_cmp_ne_u16_e64 s[52:53], s62, v21
	v_cndmask_b32_e64 v21, v65, v21, s[52:53]
	v_lshrrev_b32_sdwa v21, s63, v21 dst_sel:DWORD dst_unused:UNUSED_PAD src0_sel:DWORD src1_sel:WORD_0
	v_and_b32_e32 v88, s70, v21
	s_or_b64 exec, exec, s[60:61]
	s_and_saveexec_b64 s[60:61], s[48:49]
	s_cbranch_execnz .LBB1980_143
	s_branch .LBB1980_144
.LBB1980_177:                           ;   in Loop: Header=BB1980_72 Depth=2
	v_lshlrev_b32_e32 v21, 2, v95
	ds_read_b32 v23, v21
	v_add_u32_e32 v21, v47, v48
	ds_read_b64 v[21:22], v21 offset:1024
	v_mov_b32_e32 v24, v3
	v_mov_b32_e32 v96, s73
	s_waitcnt lgkmcnt(1)
	v_add_u32_e32 v23, v23, v0
	v_lshlrev_b64 v[23:24], 3, v[23:24]
	v_add_co_u32_e32 v23, vcc, s72, v23
	v_addc_co_u32_e32 v24, vcc, v96, v24, vcc
	s_waitcnt lgkmcnt(0)
	global_store_dwordx2 v[23:24], v[21:22], off
	s_or_b64 exec, exec, s[52:53]
	s_and_saveexec_b64 s[52:53], s[36:37]
	s_cbranch_execz .LBB1980_146
.LBB1980_178:                           ;   in Loop: Header=BB1980_72 Depth=2
	v_lshlrev_b32_e32 v21, 2, v94
	ds_read_b32 v23, v21
	v_add_u32_e32 v21, v47, v48
	ds_read_b64 v[21:22], v21 offset:3072
	v_mov_b32_e32 v24, v3
	v_mov_b32_e32 v96, s73
	s_waitcnt lgkmcnt(1)
	v_add_u32_e32 v23, v23, v26
	v_lshlrev_b64 v[23:24], 3, v[23:24]
	v_add_co_u32_e32 v23, vcc, s72, v23
	v_addc_co_u32_e32 v24, vcc, v96, v24, vcc
	s_waitcnt lgkmcnt(0)
	global_store_dwordx2 v[23:24], v[21:22], off
	s_or_b64 exec, exec, s[52:53]
	s_and_saveexec_b64 s[36:37], s[38:39]
	s_cbranch_execz .LBB1980_147
.LBB1980_179:                           ;   in Loop: Header=BB1980_72 Depth=2
	v_lshlrev_b32_e32 v21, 2, v93
	ds_read_b32 v23, v21
	v_add_u32_e32 v21, v47, v48
	ds_read_b64 v[21:22], v21 offset:5120
	v_mov_b32_e32 v24, v3
	v_mov_b32_e32 v96, s73
	s_waitcnt lgkmcnt(1)
	v_add_u32_e32 v23, v23, v27
	v_lshlrev_b64 v[23:24], 3, v[23:24]
	v_add_co_u32_e32 v23, vcc, s72, v23
	v_addc_co_u32_e32 v24, vcc, v96, v24, vcc
	s_waitcnt lgkmcnt(0)
	global_store_dwordx2 v[23:24], v[21:22], off
	s_or_b64 exec, exec, s[36:37]
	s_and_saveexec_b64 s[36:37], s[40:41]
	s_cbranch_execz .LBB1980_148
.LBB1980_180:                           ;   in Loop: Header=BB1980_72 Depth=2
	v_lshlrev_b32_e32 v21, 2, v92
	ds_read_b32 v23, v21
	v_add_u32_e32 v21, v47, v48
	ds_read_b64 v[21:22], v21 offset:7168
	v_mov_b32_e32 v24, v3
	v_mov_b32_e32 v96, s73
	s_waitcnt lgkmcnt(1)
	v_add_u32_e32 v23, v23, v28
	v_lshlrev_b64 v[23:24], 3, v[23:24]
	v_add_co_u32_e32 v23, vcc, s72, v23
	v_addc_co_u32_e32 v24, vcc, v96, v24, vcc
	s_waitcnt lgkmcnt(0)
	global_store_dwordx2 v[23:24], v[21:22], off
	s_or_b64 exec, exec, s[36:37]
	s_and_saveexec_b64 s[36:37], s[42:43]
	s_cbranch_execz .LBB1980_149
.LBB1980_181:                           ;   in Loop: Header=BB1980_72 Depth=2
	v_lshlrev_b32_e32 v21, 2, v90
	ds_read_b32 v23, v21
	v_add_u32_e32 v21, v47, v48
	ds_read_b64 v[21:22], v21 offset:9216
	v_mov_b32_e32 v24, v3
	v_mov_b32_e32 v96, s73
	s_waitcnt lgkmcnt(1)
	v_add_u32_e32 v23, v23, v31
	v_lshlrev_b64 v[23:24], 3, v[23:24]
	v_add_co_u32_e32 v23, vcc, s72, v23
	v_addc_co_u32_e32 v24, vcc, v96, v24, vcc
	s_waitcnt lgkmcnt(0)
	global_store_dwordx2 v[23:24], v[21:22], off
	s_or_b64 exec, exec, s[36:37]
	s_and_saveexec_b64 s[36:37], s[44:45]
	s_cbranch_execz .LBB1980_150
.LBB1980_182:                           ;   in Loop: Header=BB1980_72 Depth=2
	v_lshlrev_b32_e32 v21, 2, v89
	ds_read_b32 v23, v21
	v_add_u32_e32 v21, v47, v48
	ds_read_b64 v[21:22], v21 offset:11264
	v_mov_b32_e32 v24, v3
	v_mov_b32_e32 v96, s73
	s_waitcnt lgkmcnt(1)
	v_add_u32_e32 v23, v23, v32
	v_lshlrev_b64 v[23:24], 3, v[23:24]
	v_add_co_u32_e32 v23, vcc, s72, v23
	v_addc_co_u32_e32 v24, vcc, v96, v24, vcc
	s_waitcnt lgkmcnt(0)
	global_store_dwordx2 v[23:24], v[21:22], off
	s_or_b64 exec, exec, s[36:37]
	s_and_saveexec_b64 s[36:37], s[46:47]
	s_cbranch_execz .LBB1980_151
.LBB1980_183:                           ;   in Loop: Header=BB1980_72 Depth=2
	v_lshlrev_b32_e32 v21, 2, v88
	ds_read_b32 v23, v21
	v_add_u32_e32 v21, v47, v48
	ds_read_b64 v[21:22], v21 offset:13312
	v_mov_b32_e32 v24, v3
	v_mov_b32_e32 v96, s73
	s_waitcnt lgkmcnt(1)
	v_add_u32_e32 v23, v23, v33
	v_lshlrev_b64 v[23:24], 3, v[23:24]
	v_add_co_u32_e32 v23, vcc, s72, v23
	v_addc_co_u32_e32 v24, vcc, v96, v24, vcc
	s_waitcnt lgkmcnt(0)
	global_store_dwordx2 v[23:24], v[21:22], off
	s_or_b64 exec, exec, s[36:37]
	s_and_saveexec_b64 s[36:37], s[48:49]
	s_cbranch_execnz .LBB1980_152
	s_branch .LBB1980_153
.LBB1980_184:                           ;   in Loop: Header=BB1980_20 Depth=1
	s_waitcnt lgkmcnt(0)
	s_barrier
	s_mov_b64 s[16:17], 0
.LBB1980_185:                           ;   in Loop: Header=BB1980_20 Depth=1
	s_and_b64 vcc, exec, s[16:17]
	s_cbranch_vccz .LBB1980_349
; %bb.186:                              ;   in Loop: Header=BB1980_20 Depth=1
	s_mov_b32 s20, s79
	s_mov_b32 s58, s51
	s_barrier
                                        ; implicit-def: $vgpr4
                                        ; implicit-def: $vgpr5
                                        ; implicit-def: $vgpr6
                                        ; implicit-def: $vgpr7
                                        ; implicit-def: $vgpr8
                                        ; implicit-def: $vgpr9
                                        ; implicit-def: $vgpr10
                                        ; implicit-def: $vgpr11
	s_branch .LBB1980_188
.LBB1980_187:                           ;   in Loop: Header=BB1980_188 Depth=2
	s_or_b64 exec, exec, s[16:17]
	s_addk_i32 s20, 0xf800
	s_cmp_ge_u32 s21, s80
	s_mov_b32 s58, s21
	s_cbranch_scc1 .LBB1980_224
.LBB1980_188:                           ;   Parent Loop BB1980_20 Depth=1
                                        ; =>  This Inner Loop Header: Depth=2
	s_add_i32 s21, s58, 0x800
	s_cmp_gt_u32 s21, s80
	s_mov_b64 s[16:17], -1
                                        ; implicit-def: $vgpr12
                                        ; implicit-def: $vgpr13
                                        ; implicit-def: $vgpr14
                                        ; implicit-def: $vgpr15
                                        ; implicit-def: $vgpr16
                                        ; implicit-def: $vgpr17
                                        ; implicit-def: $vgpr18
                                        ; implicit-def: $vgpr19
	s_cbranch_scc1 .LBB1980_190
; %bb.189:                              ;   in Loop: Header=BB1980_188 Depth=2
	s_lshl_b64 s[16:17], s[58:59], 1
	v_mov_b32_e32 v12, s17
	v_add_co_u32_e32 v20, vcc, s16, v49
	v_addc_co_u32_e32 v21, vcc, v50, v12, vcc
	global_load_ushort v12, v[20:21], off
	global_load_ushort v13, v[20:21], off offset:512
	global_load_ushort v14, v[20:21], off offset:1024
	;; [unrolled: 1-line block ×7, first 2 shown]
	s_mov_b64 s[16:17], 0
.LBB1980_190:                           ;   in Loop: Header=BB1980_188 Depth=2
	s_andn2_b64 vcc, exec, s[16:17]
	s_movk_i32 s18, 0x800
	s_cbranch_vccnz .LBB1980_201
; %bb.191:                              ;   in Loop: Header=BB1980_188 Depth=2
	s_lshl_b64 s[16:17], s[58:59], 1
	s_add_u32 s16, s66, s16
	s_addc_u32 s17, s67, s17
	v_cmp_gt_u32_e32 vcc, s20, v0
	s_and_saveexec_b64 s[18:19], vcc
	s_cbranch_execnz .LBB1980_217
; %bb.192:                              ;   in Loop: Header=BB1980_188 Depth=2
	s_or_b64 exec, exec, s[18:19]
	v_cmp_gt_u32_e32 vcc, s20, v26
	s_and_saveexec_b64 s[18:19], vcc
	s_cbranch_execnz .LBB1980_218
.LBB1980_193:                           ;   in Loop: Header=BB1980_188 Depth=2
	s_or_b64 exec, exec, s[18:19]
	v_cmp_gt_u32_e32 vcc, s20, v27
	s_and_saveexec_b64 s[18:19], vcc
	s_cbranch_execnz .LBB1980_219
.LBB1980_194:                           ;   in Loop: Header=BB1980_188 Depth=2
	s_or_b64 exec, exec, s[18:19]
	v_cmp_gt_u32_e32 vcc, s20, v28
	s_and_saveexec_b64 s[18:19], vcc
	s_cbranch_execnz .LBB1980_220
.LBB1980_195:                           ;   in Loop: Header=BB1980_188 Depth=2
	s_or_b64 exec, exec, s[18:19]
	v_cmp_gt_u32_e32 vcc, s20, v31
	s_and_saveexec_b64 s[18:19], vcc
	s_cbranch_execnz .LBB1980_221
.LBB1980_196:                           ;   in Loop: Header=BB1980_188 Depth=2
	s_or_b64 exec, exec, s[18:19]
	v_cmp_gt_u32_e32 vcc, s20, v32
	s_and_saveexec_b64 s[18:19], vcc
	s_cbranch_execnz .LBB1980_222
.LBB1980_197:                           ;   in Loop: Header=BB1980_188 Depth=2
	s_or_b64 exec, exec, s[18:19]
	v_cmp_gt_u32_e32 vcc, s20, v33
	s_and_saveexec_b64 s[18:19], vcc
	s_cbranch_execnz .LBB1980_223
.LBB1980_198:                           ;   in Loop: Header=BB1980_188 Depth=2
	s_or_b64 exec, exec, s[18:19]
	v_cmp_gt_u32_e32 vcc, s20, v34
	s_and_saveexec_b64 s[18:19], vcc
	s_cbranch_execz .LBB1980_200
.LBB1980_199:                           ;   in Loop: Header=BB1980_188 Depth=2
	global_load_ushort v4, v64, s[16:17] offset:3584
.LBB1980_200:                           ;   in Loop: Header=BB1980_188 Depth=2
	s_or_b64 exec, exec, s[18:19]
	s_mov_b32 s18, s20
	s_waitcnt vmcnt(0)
	v_mov_b32_e32 v12, v11
	v_mov_b32_e32 v13, v10
	;; [unrolled: 1-line block ×8, first 2 shown]
.LBB1980_201:                           ;   in Loop: Header=BB1980_188 Depth=2
	s_waitcnt vmcnt(0)
	v_mov_b32_e32 v4, v19
	v_mov_b32_e32 v5, v18
	;; [unrolled: 1-line block ×8, first 2 shown]
	v_cmp_gt_u32_e32 vcc, s18, v0
	s_and_saveexec_b64 s[16:17], vcc
	s_cbranch_execnz .LBB1980_209
; %bb.202:                              ;   in Loop: Header=BB1980_188 Depth=2
	s_or_b64 exec, exec, s[16:17]
	v_cmp_gt_u32_e32 vcc, s18, v26
	s_and_saveexec_b64 s[16:17], vcc
	s_cbranch_execnz .LBB1980_210
.LBB1980_203:                           ;   in Loop: Header=BB1980_188 Depth=2
	s_or_b64 exec, exec, s[16:17]
	v_cmp_gt_u32_e32 vcc, s18, v27
	s_and_saveexec_b64 s[16:17], vcc
	s_cbranch_execnz .LBB1980_211
.LBB1980_204:                           ;   in Loop: Header=BB1980_188 Depth=2
	s_or_b64 exec, exec, s[16:17]
	v_cmp_gt_u32_e32 vcc, s18, v28
	s_and_saveexec_b64 s[16:17], vcc
	s_cbranch_execnz .LBB1980_212
.LBB1980_205:                           ;   in Loop: Header=BB1980_188 Depth=2
	s_or_b64 exec, exec, s[16:17]
	v_cmp_gt_u32_e32 vcc, s18, v31
	s_and_saveexec_b64 s[16:17], vcc
	s_cbranch_execnz .LBB1980_213
.LBB1980_206:                           ;   in Loop: Header=BB1980_188 Depth=2
	s_or_b64 exec, exec, s[16:17]
	v_cmp_gt_u32_e32 vcc, s18, v32
	s_and_saveexec_b64 s[16:17], vcc
	s_cbranch_execnz .LBB1980_214
.LBB1980_207:                           ;   in Loop: Header=BB1980_188 Depth=2
	s_or_b64 exec, exec, s[16:17]
	v_cmp_gt_u32_e32 vcc, s18, v33
	s_and_saveexec_b64 s[16:17], vcc
	s_cbranch_execnz .LBB1980_215
.LBB1980_208:                           ;   in Loop: Header=BB1980_188 Depth=2
	s_or_b64 exec, exec, s[16:17]
	v_cmp_gt_u32_e32 vcc, s18, v34
	s_and_saveexec_b64 s[16:17], vcc
	s_cbranch_execz .LBB1980_187
	s_branch .LBB1980_216
.LBB1980_209:                           ;   in Loop: Header=BB1980_188 Depth=2
	v_cmp_gt_i16_e32 vcc, 0, v11
	v_cndmask_b32_e64 v12, v65, 0, vcc
	v_xor_b32_e32 v12, v12, v11
	v_cmp_ne_u16_e32 vcc, s62, v12
	v_cndmask_b32_e32 v12, v65, v12, vcc
	v_lshrrev_b32_sdwa v12, s63, v12 dst_sel:DWORD dst_unused:UNUSED_PAD src0_sel:DWORD src1_sel:WORD_0
	v_and_b32_e32 v12, s70, v12
	v_lshl_or_b32 v12, v12, 4, v35
	ds_add_u32 v12, v61
	s_or_b64 exec, exec, s[16:17]
	v_cmp_gt_u32_e32 vcc, s18, v26
	s_and_saveexec_b64 s[16:17], vcc
	s_cbranch_execz .LBB1980_203
.LBB1980_210:                           ;   in Loop: Header=BB1980_188 Depth=2
	v_cmp_gt_i16_e32 vcc, 0, v10
	v_cndmask_b32_e64 v12, v65, 0, vcc
	v_xor_b32_e32 v12, v12, v10
	v_cmp_ne_u16_e32 vcc, s62, v12
	v_cndmask_b32_e32 v12, v65, v12, vcc
	v_lshrrev_b32_sdwa v12, s63, v12 dst_sel:DWORD dst_unused:UNUSED_PAD src0_sel:DWORD src1_sel:WORD_0
	v_and_b32_e32 v12, s70, v12
	v_lshl_or_b32 v12, v12, 4, v35
	ds_add_u32 v12, v61
	s_or_b64 exec, exec, s[16:17]
	v_cmp_gt_u32_e32 vcc, s18, v27
	s_and_saveexec_b64 s[16:17], vcc
	s_cbranch_execz .LBB1980_204
.LBB1980_211:                           ;   in Loop: Header=BB1980_188 Depth=2
	v_cmp_gt_i16_e32 vcc, 0, v9
	v_cndmask_b32_e64 v12, v65, 0, vcc
	v_xor_b32_e32 v12, v12, v9
	v_cmp_ne_u16_e32 vcc, s62, v12
	v_cndmask_b32_e32 v12, v65, v12, vcc
	v_lshrrev_b32_sdwa v12, s63, v12 dst_sel:DWORD dst_unused:UNUSED_PAD src0_sel:DWORD src1_sel:WORD_0
	v_and_b32_e32 v12, s70, v12
	v_lshl_or_b32 v12, v12, 4, v35
	ds_add_u32 v12, v61
	s_or_b64 exec, exec, s[16:17]
	v_cmp_gt_u32_e32 vcc, s18, v28
	s_and_saveexec_b64 s[16:17], vcc
	s_cbranch_execz .LBB1980_205
.LBB1980_212:                           ;   in Loop: Header=BB1980_188 Depth=2
	v_cmp_gt_i16_e32 vcc, 0, v8
	v_cndmask_b32_e64 v12, v65, 0, vcc
	v_xor_b32_e32 v12, v12, v8
	v_cmp_ne_u16_e32 vcc, s62, v12
	v_cndmask_b32_e32 v12, v65, v12, vcc
	v_lshrrev_b32_sdwa v12, s63, v12 dst_sel:DWORD dst_unused:UNUSED_PAD src0_sel:DWORD src1_sel:WORD_0
	v_and_b32_e32 v12, s70, v12
	v_lshl_or_b32 v12, v12, 4, v35
	ds_add_u32 v12, v61
	s_or_b64 exec, exec, s[16:17]
	v_cmp_gt_u32_e32 vcc, s18, v31
	s_and_saveexec_b64 s[16:17], vcc
	s_cbranch_execz .LBB1980_206
.LBB1980_213:                           ;   in Loop: Header=BB1980_188 Depth=2
	v_cmp_gt_i16_e32 vcc, 0, v7
	v_cndmask_b32_e64 v12, v65, 0, vcc
	v_xor_b32_e32 v12, v12, v7
	v_cmp_ne_u16_e32 vcc, s62, v12
	v_cndmask_b32_e32 v12, v65, v12, vcc
	v_lshrrev_b32_sdwa v12, s63, v12 dst_sel:DWORD dst_unused:UNUSED_PAD src0_sel:DWORD src1_sel:WORD_0
	v_and_b32_e32 v12, s70, v12
	v_lshl_or_b32 v12, v12, 4, v35
	ds_add_u32 v12, v61
	s_or_b64 exec, exec, s[16:17]
	v_cmp_gt_u32_e32 vcc, s18, v32
	s_and_saveexec_b64 s[16:17], vcc
	s_cbranch_execz .LBB1980_207
.LBB1980_214:                           ;   in Loop: Header=BB1980_188 Depth=2
	v_cmp_gt_i16_e32 vcc, 0, v6
	v_cndmask_b32_e64 v12, v65, 0, vcc
	v_xor_b32_e32 v12, v12, v6
	v_cmp_ne_u16_e32 vcc, s62, v12
	v_cndmask_b32_e32 v12, v65, v12, vcc
	v_lshrrev_b32_sdwa v12, s63, v12 dst_sel:DWORD dst_unused:UNUSED_PAD src0_sel:DWORD src1_sel:WORD_0
	v_and_b32_e32 v12, s70, v12
	v_lshl_or_b32 v12, v12, 4, v35
	ds_add_u32 v12, v61
	s_or_b64 exec, exec, s[16:17]
	v_cmp_gt_u32_e32 vcc, s18, v33
	s_and_saveexec_b64 s[16:17], vcc
	s_cbranch_execz .LBB1980_208
.LBB1980_215:                           ;   in Loop: Header=BB1980_188 Depth=2
	v_cmp_gt_i16_e32 vcc, 0, v5
	v_cndmask_b32_e64 v12, v65, 0, vcc
	v_xor_b32_e32 v12, v12, v5
	v_cmp_ne_u16_e32 vcc, s62, v12
	v_cndmask_b32_e32 v12, v65, v12, vcc
	v_lshrrev_b32_sdwa v12, s63, v12 dst_sel:DWORD dst_unused:UNUSED_PAD src0_sel:DWORD src1_sel:WORD_0
	v_and_b32_e32 v12, s70, v12
	v_lshl_or_b32 v12, v12, 4, v35
	ds_add_u32 v12, v61
	s_or_b64 exec, exec, s[16:17]
	v_cmp_gt_u32_e32 vcc, s18, v34
	s_and_saveexec_b64 s[16:17], vcc
	s_cbranch_execz .LBB1980_187
.LBB1980_216:                           ;   in Loop: Header=BB1980_188 Depth=2
	v_cmp_gt_i16_e32 vcc, 0, v4
	v_cndmask_b32_e64 v12, v65, 0, vcc
	v_xor_b32_e32 v12, v12, v4
	v_cmp_ne_u16_e32 vcc, s62, v12
	v_cndmask_b32_e32 v12, v65, v12, vcc
	v_lshrrev_b32_sdwa v12, s63, v12 dst_sel:DWORD dst_unused:UNUSED_PAD src0_sel:DWORD src1_sel:WORD_0
	v_and_b32_e32 v12, s70, v12
	v_lshl_or_b32 v12, v12, 4, v35
	ds_add_u32 v12, v61
	s_branch .LBB1980_187
.LBB1980_217:                           ;   in Loop: Header=BB1980_188 Depth=2
	global_load_ushort v11, v64, s[16:17]
	s_or_b64 exec, exec, s[18:19]
	v_cmp_gt_u32_e32 vcc, s20, v26
	s_and_saveexec_b64 s[18:19], vcc
	s_cbranch_execz .LBB1980_193
.LBB1980_218:                           ;   in Loop: Header=BB1980_188 Depth=2
	global_load_ushort v10, v64, s[16:17] offset:512
	s_or_b64 exec, exec, s[18:19]
	v_cmp_gt_u32_e32 vcc, s20, v27
	s_and_saveexec_b64 s[18:19], vcc
	s_cbranch_execz .LBB1980_194
.LBB1980_219:                           ;   in Loop: Header=BB1980_188 Depth=2
	global_load_ushort v9, v64, s[16:17] offset:1024
	s_or_b64 exec, exec, s[18:19]
	v_cmp_gt_u32_e32 vcc, s20, v28
	s_and_saveexec_b64 s[18:19], vcc
	s_cbranch_execz .LBB1980_195
.LBB1980_220:                           ;   in Loop: Header=BB1980_188 Depth=2
	global_load_ushort v8, v64, s[16:17] offset:1536
	s_or_b64 exec, exec, s[18:19]
	v_cmp_gt_u32_e32 vcc, s20, v31
	s_and_saveexec_b64 s[18:19], vcc
	s_cbranch_execz .LBB1980_196
.LBB1980_221:                           ;   in Loop: Header=BB1980_188 Depth=2
	global_load_ushort v7, v64, s[16:17] offset:2048
	s_or_b64 exec, exec, s[18:19]
	v_cmp_gt_u32_e32 vcc, s20, v32
	s_and_saveexec_b64 s[18:19], vcc
	s_cbranch_execz .LBB1980_197
.LBB1980_222:                           ;   in Loop: Header=BB1980_188 Depth=2
	global_load_ushort v6, v64, s[16:17] offset:2560
	s_or_b64 exec, exec, s[18:19]
	v_cmp_gt_u32_e32 vcc, s20, v33
	s_and_saveexec_b64 s[18:19], vcc
	s_cbranch_execz .LBB1980_198
.LBB1980_223:                           ;   in Loop: Header=BB1980_188 Depth=2
	global_load_ushort v5, v64, s[16:17] offset:3072
	s_or_b64 exec, exec, s[18:19]
	v_cmp_gt_u32_e32 vcc, s20, v34
	s_and_saveexec_b64 s[18:19], vcc
	s_cbranch_execnz .LBB1980_199
	s_branch .LBB1980_200
.LBB1980_224:                           ;   in Loop: Header=BB1980_20 Depth=1
	v_mov_b32_e32 v4, 0
	s_waitcnt lgkmcnt(0)
	s_barrier
	s_and_saveexec_b64 s[16:17], s[4:5]
	s_cbranch_execz .LBB1980_226
; %bb.225:                              ;   in Loop: Header=BB1980_20 Depth=1
	ds_read2_b64 v[4:7], v36 offset1:1
	s_waitcnt lgkmcnt(0)
	v_add_u32_e32 v4, v5, v4
	v_add3_u32 v4, v4, v6, v7
.LBB1980_226:                           ;   in Loop: Header=BB1980_20 Depth=1
	s_or_b64 exec, exec, s[16:17]
	s_nop 0
	v_mov_b32_dpp v5, v4 row_shr:1 row_mask:0xf bank_mask:0xf
	v_cmp_eq_u32_e64 s[16:17], 0, v67
	v_cndmask_b32_e64 v5, v5, 0, s[16:17]
	v_add_u32_e32 v4, v5, v4
	v_cmp_lt_u32_e64 s[18:19], 1, v67
	v_cmp_lt_u32_e64 s[20:21], 3, v67
	v_mov_b32_dpp v5, v4 row_shr:2 row_mask:0xf bank_mask:0xf
	v_cndmask_b32_e64 v5, 0, v5, s[18:19]
	v_add_u32_e32 v4, v4, v5
	v_cmp_lt_u32_e64 s[22:23], 7, v67
	v_cmp_lt_u32_e64 s[26:27], 31, v66
	v_mov_b32_dpp v5, v4 row_shr:4 row_mask:0xf bank_mask:0xf
	v_cndmask_b32_e64 v5, 0, v5, s[20:21]
	v_add_u32_e32 v4, v4, v5
	v_cmp_eq_u32_e64 s[24:25], 0, v69
	s_nop 0
	v_mov_b32_dpp v5, v4 row_shr:8 row_mask:0xf bank_mask:0xf
	v_cndmask_b32_e64 v5, 0, v5, s[22:23]
	v_add_u32_e32 v4, v4, v5
	s_nop 1
	v_mov_b32_dpp v5, v4 row_bcast:15 row_mask:0xf bank_mask:0xf
	v_and_b32_e32 v5, v68, v5
	v_add_u32_e32 v4, v4, v5
	s_nop 1
	v_mov_b32_dpp v5, v4 row_bcast:31 row_mask:0xf bank_mask:0xf
	v_cndmask_b32_e64 v5, 0, v5, s[26:27]
	v_add_u32_e32 v4, v4, v5
	s_and_saveexec_b64 s[28:29], s[6:7]
; %bb.227:                              ;   in Loop: Header=BB1980_20 Depth=1
	ds_write_b32 v38, v4
; %bb.228:                              ;   in Loop: Header=BB1980_20 Depth=1
	s_or_b64 exec, exec, s[28:29]
	s_waitcnt lgkmcnt(0)
	s_barrier
	s_and_saveexec_b64 s[28:29], s[8:9]
	s_cbranch_execz .LBB1980_230
; %bb.229:                              ;   in Loop: Header=BB1980_20 Depth=1
	ds_read_b32 v5, v39
	v_cmp_ne_u32_e32 vcc, 0, v70
	s_waitcnt lgkmcnt(0)
	v_mov_b32_dpp v6, v5 row_shr:1 row_mask:0xf bank_mask:0xf
	v_cndmask_b32_e32 v6, 0, v6, vcc
	v_add_u32_e32 v5, v6, v5
	v_cmp_lt_u32_e32 vcc, 1, v70
	s_nop 0
	v_mov_b32_dpp v6, v5 row_shr:2 row_mask:0xf bank_mask:0xf
	v_cndmask_b32_e32 v6, 0, v6, vcc
	v_add_u32_e32 v5, v5, v6
	ds_write_b32 v39, v5
.LBB1980_230:                           ;   in Loop: Header=BB1980_20 Depth=1
	s_or_b64 exec, exec, s[28:29]
	v_mov_b32_e32 v5, 0
	s_waitcnt lgkmcnt(0)
	s_barrier
	s_and_saveexec_b64 s[28:29], s[10:11]
; %bb.231:                              ;   in Loop: Header=BB1980_20 Depth=1
	ds_read_b32 v5, v40
; %bb.232:                              ;   in Loop: Header=BB1980_20 Depth=1
	s_or_b64 exec, exec, s[28:29]
	v_subrev_co_u32_e64 v6, s[28:29], 1, v66
	v_cmp_lt_i32_e32 vcc, v6, v71
	v_cndmask_b32_e32 v6, v6, v66, vcc
	s_waitcnt lgkmcnt(0)
	v_add_u32_e32 v4, v5, v4
	v_lshlrev_b32_e32 v82, 2, v6
	ds_bpermute_b32 v4, v82, v4
	s_waitcnt lgkmcnt(0)
	s_barrier
	s_and_saveexec_b64 s[30:31], s[4:5]
; %bb.233:                              ;   in Loop: Header=BB1980_20 Depth=1
	v_cndmask_b32_e64 v4, v4, v5, s[28:29]
	v_add_u32_e32 v4, s51, v4
	ds_write_b32 v25, v4
; %bb.234:                              ;   in Loop: Header=BB1980_20 Depth=1
	s_or_b64 exec, exec, s[30:31]
	s_load_dwordx2 s[30:31], s[56:57], 0x0
	v_add_co_u32_e32 v83, vcc, v51, v72
	v_addc_co_u32_e32 v84, vcc, 0, v52, vcc
	s_waitcnt lgkmcnt(0)
	s_cmp_lt_u32 s33, s31
	s_cselect_b32 s31, 14, 20
	s_add_u32 s34, s56, s31
	s_addc_u32 s35, s57, 0
	s_cmp_lt_u32 s50, s30
	s_cselect_b32 s30, 12, 18
	s_add_u32 s30, s56, s30
	global_load_ushort v4, v3, s[34:35]
	s_addc_u32 s31, s57, 0
	global_load_ushort v5, v3, s[30:31]
	v_add_co_u32_e32 v85, vcc, v53, v81
	v_cmp_eq_u32_e64 s[30:31], 0, v70
	v_cmp_lt_u32_e64 s[34:35], 1, v70
	v_addc_co_u32_e32 v86, vcc, 0, v54, vcc
	s_mov_b32 s71, s79
	s_mov_b32 s58, s51
                                        ; implicit-def: $vgpr7_vgpr8
                                        ; implicit-def: $vgpr9_vgpr10
                                        ; implicit-def: $vgpr11_vgpr12
                                        ; implicit-def: $vgpr13_vgpr14
                                        ; implicit-def: $vgpr15_vgpr16
                                        ; implicit-def: $vgpr17_vgpr18
                                        ; implicit-def: $vgpr19_vgpr20
                                        ; implicit-def: $vgpr87
                                        ; implicit-def: $vgpr88
                                        ; implicit-def: $vgpr89
                                        ; implicit-def: $vgpr90
                                        ; implicit-def: $vgpr92
                                        ; implicit-def: $vgpr93
                                        ; implicit-def: $vgpr94
                                        ; implicit-def: $vgpr95
	s_waitcnt vmcnt(1)
	v_mad_u32_u24 v4, v2, v4, v1
	s_waitcnt vmcnt(0)
	v_mad_u64_u32 v[4:5], s[36:37], v4, v5, v[0:1]
                                        ; implicit-def: $vgpr5_vgpr6
	v_lshrrev_b32_e32 v4, 4, v4
	v_and_b32_e32 v91, 0xffffffc, v4
	s_branch .LBB1980_236
.LBB1980_235:                           ;   in Loop: Header=BB1980_236 Depth=2
	s_or_b64 exec, exec, s[36:37]
	s_addk_i32 s71, 0xf800
	s_cmp_lt_u32 s76, s80
	s_mov_b32 s58, s76
	s_cbranch_scc0 .LBB1980_348
.LBB1980_236:                           ;   Parent Loop BB1980_20 Depth=1
                                        ; =>  This Inner Loop Header: Depth=2
	s_add_i32 s76, s58, 0x800
	s_cmp_gt_u32 s76, s80
	s_cbranch_scc1 .LBB1980_238
; %bb.237:                              ;   in Loop: Header=BB1980_236 Depth=2
	s_lshl_b64 s[36:37], s[58:59], 1
	v_mov_b32_e32 v4, s37
	v_add_co_u32_e32 v21, vcc, s36, v85
	v_addc_co_u32_e32 v22, vcc, v86, v4, vcc
	global_load_ushort v4, v[21:22], off
	global_load_ushort v99, v[21:22], off offset:128
	global_load_ushort v103, v[21:22], off offset:256
	;; [unrolled: 1-line block ×6, first 2 shown]
	s_mov_b64 s[36:37], -1
	s_movk_i32 s40, 0x800
	s_cbranch_execz .LBB1980_239
	s_branch .LBB1980_254
.LBB1980_238:                           ;   in Loop: Header=BB1980_236 Depth=2
	s_mov_b64 s[36:37], 0
                                        ; implicit-def: $vgpr4
                                        ; implicit-def: $vgpr99
                                        ; implicit-def: $vgpr103
                                        ; implicit-def: $vgpr107
                                        ; implicit-def: $vgpr112
                                        ; implicit-def: $vgpr108
                                        ; implicit-def: $vgpr24
	s_movk_i32 s40, 0x800
.LBB1980_239:                           ;   in Loop: Header=BB1980_236 Depth=2
	s_lshl_b64 s[36:37], s[58:59], 1
	s_waitcnt vmcnt(6)
	v_mov_b32_e32 v4, s37
	v_add_co_u32_e32 v21, vcc, s36, v85
	v_addc_co_u32_e32 v22, vcc, v86, v4, vcc
	v_cmp_gt_u32_e32 vcc, s71, v73
	s_waitcnt vmcnt(5)
	v_mov_b32_e32 v99, -1
	v_mov_b32_e32 v4, -1
	s_and_saveexec_b64 s[36:37], vcc
	s_cbranch_execz .LBB1980_241
; %bb.240:                              ;   in Loop: Header=BB1980_236 Depth=2
	global_load_ushort v4, v[21:22], off
.LBB1980_241:                           ;   in Loop: Header=BB1980_236 Depth=2
	s_or_b64 exec, exec, s[36:37]
	v_cmp_gt_u32_e32 vcc, s71, v74
	s_and_saveexec_b64 s[36:37], vcc
	s_cbranch_execz .LBB1980_243
; %bb.242:                              ;   in Loop: Header=BB1980_236 Depth=2
	global_load_ushort v99, v[21:22], off offset:128
.LBB1980_243:                           ;   in Loop: Header=BB1980_236 Depth=2
	s_or_b64 exec, exec, s[36:37]
	v_cmp_gt_u32_e32 vcc, s71, v75
	s_waitcnt vmcnt(3)
	v_mov_b32_e32 v107, -1
	v_mov_b32_e32 v103, -1
	s_and_saveexec_b64 s[36:37], vcc
	s_cbranch_execz .LBB1980_245
; %bb.244:                              ;   in Loop: Header=BB1980_236 Depth=2
	global_load_ushort v103, v[21:22], off offset:256
.LBB1980_245:                           ;   in Loop: Header=BB1980_236 Depth=2
	s_or_b64 exec, exec, s[36:37]
	v_cmp_gt_u32_e32 vcc, s71, v76
	s_and_saveexec_b64 s[36:37], vcc
	s_cbranch_execz .LBB1980_247
; %bb.246:                              ;   in Loop: Header=BB1980_236 Depth=2
	global_load_ushort v107, v[21:22], off offset:384
.LBB1980_247:                           ;   in Loop: Header=BB1980_236 Depth=2
	s_or_b64 exec, exec, s[36:37]
	v_cmp_gt_u32_e32 vcc, s71, v77
	s_waitcnt vmcnt(1)
	v_mov_b32_e32 v108, -1
	v_mov_b32_e32 v112, -1
	s_and_saveexec_b64 s[36:37], vcc
	s_cbranch_execz .LBB1980_249
; %bb.248:                              ;   in Loop: Header=BB1980_236 Depth=2
	global_load_ushort v112, v[21:22], off offset:512
.LBB1980_249:                           ;   in Loop: Header=BB1980_236 Depth=2
	s_or_b64 exec, exec, s[36:37]
	v_cmp_gt_u32_e32 vcc, s71, v78
	s_and_saveexec_b64 s[36:37], vcc
	s_cbranch_execz .LBB1980_251
; %bb.250:                              ;   in Loop: Header=BB1980_236 Depth=2
	global_load_ushort v108, v[21:22], off offset:640
.LBB1980_251:                           ;   in Loop: Header=BB1980_236 Depth=2
	s_or_b64 exec, exec, s[36:37]
	v_cmp_gt_u32_e32 vcc, s71, v79
	s_waitcnt vmcnt(0)
	v_mov_b32_e32 v24, -1
	s_and_saveexec_b64 s[36:37], vcc
	s_cbranch_execz .LBB1980_253
; %bb.252:                              ;   in Loop: Header=BB1980_236 Depth=2
	global_load_ushort v24, v[21:22], off offset:768
.LBB1980_253:                           ;   in Loop: Header=BB1980_236 Depth=2
	s_or_b64 exec, exec, s[36:37]
	s_sub_i32 s40, s80, s58
	v_cmp_gt_u32_e64 s[36:37], s71, v80
.LBB1980_254:                           ;   in Loop: Header=BB1980_236 Depth=2
	v_mov_b32_e32 v23, -1
	v_mov_b32_e32 v96, s71
	s_and_saveexec_b64 s[38:39], s[36:37]
	s_cbranch_execz .LBB1980_256
; %bb.255:                              ;   in Loop: Header=BB1980_236 Depth=2
	s_lshl_b64 s[36:37], s[58:59], 1
	v_mov_b32_e32 v22, s37
	v_add_co_u32_e32 v21, vcc, s36, v85
	v_addc_co_u32_e32 v22, vcc, v86, v22, vcc
	global_load_ushort v23, v[21:22], off offset:896
	v_mov_b32_e32 v96, s40
.LBB1980_256:                           ;   in Loop: Header=BB1980_236 Depth=2
	s_or_b64 exec, exec, s[38:39]
	s_waitcnt vmcnt(6)
	v_cmp_gt_i16_e32 vcc, 0, v4
	v_cndmask_b32_e64 v21, v65, 0, vcc
	v_xor_b32_e32 v97, v21, v4
	v_cmp_ne_u16_e32 vcc, s62, v97
	v_cndmask_b32_e32 v4, v65, v97, vcc
	v_lshrrev_b32_sdwa v4, s63, v4 dst_sel:DWORD dst_unused:UNUSED_PAD src0_sel:DWORD src1_sel:WORD_0
	v_and_b32_e32 v21, s70, v4
	v_and_b32_e32 v4, 1, v21
	v_add_co_u32_e32 v22, vcc, -1, v4
	v_addc_co_u32_e64 v98, s[36:37], 0, -1, vcc
	v_cmp_ne_u32_e32 vcc, 0, v4
	v_xor_b32_e32 v4, vcc_hi, v98
	v_and_b32_e32 v98, exec_hi, v4
	v_lshlrev_b32_e32 v4, 30, v21
	v_xor_b32_e32 v22, vcc_lo, v22
	v_cmp_gt_i64_e32 vcc, 0, v[3:4]
	v_not_b32_e32 v4, v4
	v_ashrrev_i32_e32 v4, 31, v4
	v_and_b32_e32 v22, exec_lo, v22
	v_xor_b32_e32 v101, vcc_hi, v4
	v_xor_b32_e32 v4, vcc_lo, v4
	v_and_b32_e32 v22, v22, v4
	v_lshlrev_b32_e32 v4, 29, v21
	v_cmp_gt_i64_e32 vcc, 0, v[3:4]
	v_not_b32_e32 v4, v4
	v_ashrrev_i32_e32 v4, 31, v4
	v_and_b32_e32 v98, v98, v101
	v_xor_b32_e32 v101, vcc_hi, v4
	v_xor_b32_e32 v4, vcc_lo, v4
	v_and_b32_e32 v22, v22, v4
	v_lshlrev_b32_e32 v4, 28, v21
	v_cmp_gt_i64_e32 vcc, 0, v[3:4]
	v_not_b32_e32 v4, v4
	v_ashrrev_i32_e32 v4, 31, v4
	v_and_b32_e32 v98, v98, v101
	;; [unrolled: 8-line block ×5, first 2 shown]
	v_xor_b32_e32 v101, vcc_hi, v4
	v_xor_b32_e32 v4, vcc_lo, v4
	v_and_b32_e32 v98, v98, v101
	v_and_b32_e32 v101, v22, v4
	v_lshlrev_b32_e32 v4, 24, v21
	v_cmp_gt_i64_e32 vcc, 0, v[3:4]
	v_not_b32_e32 v4, v4
	v_ashrrev_i32_e32 v4, 31, v4
	v_mul_u32_u24_e32 v100, 20, v21
	v_xor_b32_e32 v21, vcc_hi, v4
	v_xor_b32_e32 v4, vcc_lo, v4
	v_and_b32_e32 v22, v98, v21
	v_and_b32_e32 v21, v101, v4
	v_mbcnt_lo_u32_b32 v4, v21, 0
	v_mbcnt_hi_u32_b32 v98, v22, v4
	v_cmp_ne_u64_e32 vcc, 0, v[21:22]
	v_cmp_eq_u32_e64 s[36:37], 0, v98
	s_and_b64 s[38:39], vcc, s[36:37]
	v_add_u32_e32 v101, v91, v100
	ds_write2_b32 v62, v3, v3 offset1:1
	ds_write2_b32 v63, v3, v3 offset1:1
	ds_write_b32 v41, v3 offset:1056
	s_waitcnt vmcnt(0) lgkmcnt(0)
	s_barrier
	; wave barrier
	s_and_saveexec_b64 s[36:37], s[38:39]
; %bb.257:                              ;   in Loop: Header=BB1980_236 Depth=2
	v_bcnt_u32_b32 v4, v21, 0
	v_bcnt_u32_b32 v4, v22, v4
	ds_write_b32 v101, v4 offset:1040
; %bb.258:                              ;   in Loop: Header=BB1980_236 Depth=2
	s_or_b64 exec, exec, s[36:37]
	v_cmp_gt_i16_e32 vcc, 0, v99
	v_cndmask_b32_e64 v4, v65, 0, vcc
	v_xor_b32_e32 v99, v4, v99
	v_cmp_ne_u16_e32 vcc, s62, v99
	v_cndmask_b32_e32 v4, v65, v99, vcc
	v_lshrrev_b32_sdwa v4, s63, v4 dst_sel:DWORD dst_unused:UNUSED_PAD src0_sel:DWORD src1_sel:WORD_0
	v_and_b32_e32 v21, s70, v4
	v_mad_u32_u24 v4, v21, 20, v91
	; wave barrier
	ds_read_b32 v100, v4 offset:1040
	v_and_b32_e32 v4, 1, v21
	v_add_co_u32_e32 v22, vcc, -1, v4
	v_addc_co_u32_e64 v102, s[36:37], 0, -1, vcc
	v_cmp_ne_u32_e32 vcc, 0, v4
	v_xor_b32_e32 v4, vcc_hi, v102
	v_and_b32_e32 v102, exec_hi, v4
	v_lshlrev_b32_e32 v4, 30, v21
	v_xor_b32_e32 v22, vcc_lo, v22
	v_cmp_gt_i64_e32 vcc, 0, v[3:4]
	v_not_b32_e32 v4, v4
	v_ashrrev_i32_e32 v4, 31, v4
	v_and_b32_e32 v22, exec_lo, v22
	v_xor_b32_e32 v105, vcc_hi, v4
	v_xor_b32_e32 v4, vcc_lo, v4
	v_and_b32_e32 v22, v22, v4
	v_lshlrev_b32_e32 v4, 29, v21
	v_cmp_gt_i64_e32 vcc, 0, v[3:4]
	v_not_b32_e32 v4, v4
	v_ashrrev_i32_e32 v4, 31, v4
	v_and_b32_e32 v102, v102, v105
	v_xor_b32_e32 v105, vcc_hi, v4
	v_xor_b32_e32 v4, vcc_lo, v4
	v_and_b32_e32 v22, v22, v4
	v_lshlrev_b32_e32 v4, 28, v21
	v_cmp_gt_i64_e32 vcc, 0, v[3:4]
	v_not_b32_e32 v4, v4
	v_ashrrev_i32_e32 v4, 31, v4
	v_and_b32_e32 v102, v102, v105
	;; [unrolled: 8-line block ×5, first 2 shown]
	v_xor_b32_e32 v105, vcc_hi, v4
	v_xor_b32_e32 v4, vcc_lo, v4
	v_and_b32_e32 v102, v102, v105
	v_and_b32_e32 v105, v22, v4
	v_lshlrev_b32_e32 v4, 24, v21
	v_cmp_gt_i64_e32 vcc, 0, v[3:4]
	v_not_b32_e32 v4, v4
	v_ashrrev_i32_e32 v4, 31, v4
	v_mul_u32_u24_e32 v104, 20, v21
	v_xor_b32_e32 v21, vcc_hi, v4
	v_xor_b32_e32 v4, vcc_lo, v4
	v_and_b32_e32 v22, v102, v21
	v_and_b32_e32 v21, v105, v4
	v_mbcnt_lo_u32_b32 v4, v21, 0
	v_mbcnt_hi_u32_b32 v102, v22, v4
	v_cmp_ne_u64_e32 vcc, 0, v[21:22]
	v_cmp_eq_u32_e64 s[36:37], 0, v102
	s_and_b64 s[38:39], vcc, s[36:37]
	v_add_u32_e32 v105, v91, v104
	; wave barrier
	s_and_saveexec_b64 s[36:37], s[38:39]
	s_cbranch_execz .LBB1980_260
; %bb.259:                              ;   in Loop: Header=BB1980_236 Depth=2
	v_bcnt_u32_b32 v4, v21, 0
	v_bcnt_u32_b32 v4, v22, v4
	s_waitcnt lgkmcnt(0)
	v_add_u32_e32 v4, v100, v4
	ds_write_b32 v105, v4 offset:1040
.LBB1980_260:                           ;   in Loop: Header=BB1980_236 Depth=2
	s_or_b64 exec, exec, s[36:37]
	v_cmp_gt_i16_e32 vcc, 0, v103
	v_cndmask_b32_e64 v4, v65, 0, vcc
	v_xor_b32_e32 v103, v4, v103
	v_cmp_ne_u16_e32 vcc, s62, v103
	v_cndmask_b32_e32 v4, v65, v103, vcc
	v_lshrrev_b32_sdwa v4, s63, v4 dst_sel:DWORD dst_unused:UNUSED_PAD src0_sel:DWORD src1_sel:WORD_0
	v_and_b32_e32 v21, s70, v4
	v_mad_u32_u24 v4, v21, 20, v91
	; wave barrier
	ds_read_b32 v104, v4 offset:1040
	v_and_b32_e32 v4, 1, v21
	v_add_co_u32_e32 v22, vcc, -1, v4
	v_addc_co_u32_e64 v106, s[36:37], 0, -1, vcc
	v_cmp_ne_u32_e32 vcc, 0, v4
	v_xor_b32_e32 v4, vcc_hi, v106
	v_and_b32_e32 v106, exec_hi, v4
	v_lshlrev_b32_e32 v4, 30, v21
	v_xor_b32_e32 v22, vcc_lo, v22
	v_cmp_gt_i64_e32 vcc, 0, v[3:4]
	v_not_b32_e32 v4, v4
	v_ashrrev_i32_e32 v4, 31, v4
	v_and_b32_e32 v22, exec_lo, v22
	v_xor_b32_e32 v110, vcc_hi, v4
	v_xor_b32_e32 v4, vcc_lo, v4
	v_and_b32_e32 v22, v22, v4
	v_lshlrev_b32_e32 v4, 29, v21
	v_cmp_gt_i64_e32 vcc, 0, v[3:4]
	v_not_b32_e32 v4, v4
	v_ashrrev_i32_e32 v4, 31, v4
	v_and_b32_e32 v106, v106, v110
	v_xor_b32_e32 v110, vcc_hi, v4
	v_xor_b32_e32 v4, vcc_lo, v4
	v_and_b32_e32 v22, v22, v4
	v_lshlrev_b32_e32 v4, 28, v21
	v_cmp_gt_i64_e32 vcc, 0, v[3:4]
	v_not_b32_e32 v4, v4
	v_ashrrev_i32_e32 v4, 31, v4
	v_and_b32_e32 v106, v106, v110
	;; [unrolled: 8-line block ×5, first 2 shown]
	v_xor_b32_e32 v110, vcc_hi, v4
	v_xor_b32_e32 v4, vcc_lo, v4
	v_and_b32_e32 v106, v106, v110
	v_and_b32_e32 v110, v22, v4
	v_lshlrev_b32_e32 v4, 24, v21
	v_cmp_gt_i64_e32 vcc, 0, v[3:4]
	v_not_b32_e32 v4, v4
	v_ashrrev_i32_e32 v4, 31, v4
	v_mul_u32_u24_e32 v109, 20, v21
	v_xor_b32_e32 v21, vcc_hi, v4
	v_xor_b32_e32 v4, vcc_lo, v4
	v_and_b32_e32 v22, v106, v21
	v_and_b32_e32 v21, v110, v4
	v_mbcnt_lo_u32_b32 v4, v21, 0
	v_mbcnt_hi_u32_b32 v106, v22, v4
	v_cmp_ne_u64_e32 vcc, 0, v[21:22]
	v_cmp_eq_u32_e64 s[36:37], 0, v106
	s_and_b64 s[38:39], vcc, s[36:37]
	v_add_u32_e32 v110, v91, v109
	; wave barrier
	s_and_saveexec_b64 s[36:37], s[38:39]
	s_cbranch_execz .LBB1980_262
; %bb.261:                              ;   in Loop: Header=BB1980_236 Depth=2
	v_bcnt_u32_b32 v4, v21, 0
	v_bcnt_u32_b32 v4, v22, v4
	s_waitcnt lgkmcnt(0)
	v_add_u32_e32 v4, v104, v4
	ds_write_b32 v110, v4 offset:1040
.LBB1980_262:                           ;   in Loop: Header=BB1980_236 Depth=2
	s_or_b64 exec, exec, s[36:37]
	v_cmp_gt_i16_e32 vcc, 0, v107
	v_cndmask_b32_e64 v4, v65, 0, vcc
	v_xor_b32_e32 v107, v4, v107
	v_cmp_ne_u16_e32 vcc, s62, v107
	v_cndmask_b32_e32 v4, v65, v107, vcc
	v_lshrrev_b32_sdwa v4, s63, v4 dst_sel:DWORD dst_unused:UNUSED_PAD src0_sel:DWORD src1_sel:WORD_0
	v_and_b32_e32 v21, s70, v4
	v_mad_u32_u24 v4, v21, 20, v91
	; wave barrier
	ds_read_b32 v109, v4 offset:1040
	v_and_b32_e32 v4, 1, v21
	v_add_co_u32_e32 v22, vcc, -1, v4
	v_addc_co_u32_e64 v111, s[36:37], 0, -1, vcc
	v_cmp_ne_u32_e32 vcc, 0, v4
	v_xor_b32_e32 v4, vcc_hi, v111
	v_and_b32_e32 v111, exec_hi, v4
	v_lshlrev_b32_e32 v4, 30, v21
	v_xor_b32_e32 v22, vcc_lo, v22
	v_cmp_gt_i64_e32 vcc, 0, v[3:4]
	v_not_b32_e32 v4, v4
	v_ashrrev_i32_e32 v4, 31, v4
	v_and_b32_e32 v22, exec_lo, v22
	v_xor_b32_e32 v114, vcc_hi, v4
	v_xor_b32_e32 v4, vcc_lo, v4
	v_and_b32_e32 v22, v22, v4
	v_lshlrev_b32_e32 v4, 29, v21
	v_cmp_gt_i64_e32 vcc, 0, v[3:4]
	v_not_b32_e32 v4, v4
	v_ashrrev_i32_e32 v4, 31, v4
	v_and_b32_e32 v111, v111, v114
	v_xor_b32_e32 v114, vcc_hi, v4
	v_xor_b32_e32 v4, vcc_lo, v4
	v_and_b32_e32 v22, v22, v4
	v_lshlrev_b32_e32 v4, 28, v21
	v_cmp_gt_i64_e32 vcc, 0, v[3:4]
	v_not_b32_e32 v4, v4
	v_ashrrev_i32_e32 v4, 31, v4
	v_and_b32_e32 v111, v111, v114
	v_xor_b32_e32 v114, vcc_hi, v4
	v_xor_b32_e32 v4, vcc_lo, v4
	v_and_b32_e32 v22, v22, v4
	v_lshlrev_b32_e32 v4, 27, v21
	v_cmp_gt_i64_e32 vcc, 0, v[3:4]
	v_not_b32_e32 v4, v4
	v_ashrrev_i32_e32 v4, 31, v4
	v_and_b32_e32 v111, v111, v114
	v_xor_b32_e32 v114, vcc_hi, v4
	v_xor_b32_e32 v4, vcc_lo, v4
	v_and_b32_e32 v22, v22, v4
	v_lshlrev_b32_e32 v4, 26, v21
	v_cmp_gt_i64_e32 vcc, 0, v[3:4]
	v_not_b32_e32 v4, v4
	v_ashrrev_i32_e32 v4, 31, v4
	v_and_b32_e32 v111, v111, v114
	v_xor_b32_e32 v114, vcc_hi, v4
	v_xor_b32_e32 v4, vcc_lo, v4
	v_and_b32_e32 v22, v22, v4
	v_lshlrev_b32_e32 v4, 25, v21
	v_cmp_gt_i64_e32 vcc, 0, v[3:4]
	v_not_b32_e32 v4, v4
	v_ashrrev_i32_e32 v4, 31, v4
	v_and_b32_e32 v111, v111, v114
	v_xor_b32_e32 v114, vcc_hi, v4
	v_xor_b32_e32 v4, vcc_lo, v4
	v_and_b32_e32 v111, v111, v114
	v_and_b32_e32 v114, v22, v4
	v_lshlrev_b32_e32 v4, 24, v21
	v_cmp_gt_i64_e32 vcc, 0, v[3:4]
	v_not_b32_e32 v4, v4
	v_ashrrev_i32_e32 v4, 31, v4
	v_mul_u32_u24_e32 v113, 20, v21
	v_xor_b32_e32 v21, vcc_hi, v4
	v_xor_b32_e32 v4, vcc_lo, v4
	v_and_b32_e32 v22, v111, v21
	v_and_b32_e32 v21, v114, v4
	v_mbcnt_lo_u32_b32 v4, v21, 0
	v_mbcnt_hi_u32_b32 v111, v22, v4
	v_cmp_ne_u64_e32 vcc, 0, v[21:22]
	v_cmp_eq_u32_e64 s[36:37], 0, v111
	s_and_b64 s[38:39], vcc, s[36:37]
	v_add_u32_e32 v114, v91, v113
	; wave barrier
	s_and_saveexec_b64 s[36:37], s[38:39]
	s_cbranch_execz .LBB1980_264
; %bb.263:                              ;   in Loop: Header=BB1980_236 Depth=2
	v_bcnt_u32_b32 v4, v21, 0
	v_bcnt_u32_b32 v4, v22, v4
	s_waitcnt lgkmcnt(0)
	v_add_u32_e32 v4, v109, v4
	ds_write_b32 v114, v4 offset:1040
.LBB1980_264:                           ;   in Loop: Header=BB1980_236 Depth=2
	s_or_b64 exec, exec, s[36:37]
	v_cmp_gt_i16_e32 vcc, 0, v112
	v_cndmask_b32_e64 v4, v65, 0, vcc
	v_xor_b32_e32 v112, v4, v112
	v_cmp_ne_u16_e32 vcc, s62, v112
	v_cndmask_b32_e32 v4, v65, v112, vcc
	v_lshrrev_b32_sdwa v4, s63, v4 dst_sel:DWORD dst_unused:UNUSED_PAD src0_sel:DWORD src1_sel:WORD_0
	v_and_b32_e32 v21, s70, v4
	v_mad_u32_u24 v4, v21, 20, v91
	; wave barrier
	ds_read_b32 v113, v4 offset:1040
	v_and_b32_e32 v4, 1, v21
	v_add_co_u32_e32 v22, vcc, -1, v4
	v_addc_co_u32_e64 v115, s[36:37], 0, -1, vcc
	v_cmp_ne_u32_e32 vcc, 0, v4
	v_xor_b32_e32 v4, vcc_hi, v115
	v_and_b32_e32 v115, exec_hi, v4
	v_lshlrev_b32_e32 v4, 30, v21
	v_xor_b32_e32 v22, vcc_lo, v22
	v_cmp_gt_i64_e32 vcc, 0, v[3:4]
	v_not_b32_e32 v4, v4
	v_ashrrev_i32_e32 v4, 31, v4
	v_and_b32_e32 v22, exec_lo, v22
	v_xor_b32_e32 v117, vcc_hi, v4
	v_xor_b32_e32 v4, vcc_lo, v4
	v_and_b32_e32 v22, v22, v4
	v_lshlrev_b32_e32 v4, 29, v21
	v_cmp_gt_i64_e32 vcc, 0, v[3:4]
	v_not_b32_e32 v4, v4
	v_ashrrev_i32_e32 v4, 31, v4
	v_and_b32_e32 v115, v115, v117
	v_xor_b32_e32 v117, vcc_hi, v4
	v_xor_b32_e32 v4, vcc_lo, v4
	v_and_b32_e32 v22, v22, v4
	v_lshlrev_b32_e32 v4, 28, v21
	v_cmp_gt_i64_e32 vcc, 0, v[3:4]
	v_not_b32_e32 v4, v4
	v_ashrrev_i32_e32 v4, 31, v4
	v_and_b32_e32 v115, v115, v117
	;; [unrolled: 8-line block ×5, first 2 shown]
	v_xor_b32_e32 v117, vcc_hi, v4
	v_xor_b32_e32 v4, vcc_lo, v4
	v_and_b32_e32 v115, v115, v117
	v_and_b32_e32 v117, v22, v4
	v_lshlrev_b32_e32 v4, 24, v21
	v_cmp_gt_i64_e32 vcc, 0, v[3:4]
	v_not_b32_e32 v4, v4
	v_ashrrev_i32_e32 v4, 31, v4
	v_mul_u32_u24_e32 v116, 20, v21
	v_xor_b32_e32 v21, vcc_hi, v4
	v_xor_b32_e32 v4, vcc_lo, v4
	v_and_b32_e32 v22, v115, v21
	v_and_b32_e32 v21, v117, v4
	v_mbcnt_lo_u32_b32 v4, v21, 0
	v_mbcnt_hi_u32_b32 v115, v22, v4
	v_cmp_ne_u64_e32 vcc, 0, v[21:22]
	v_cmp_eq_u32_e64 s[36:37], 0, v115
	s_and_b64 s[38:39], vcc, s[36:37]
	v_add_u32_e32 v118, v91, v116
	; wave barrier
	s_and_saveexec_b64 s[36:37], s[38:39]
	s_cbranch_execz .LBB1980_266
; %bb.265:                              ;   in Loop: Header=BB1980_236 Depth=2
	v_bcnt_u32_b32 v4, v21, 0
	v_bcnt_u32_b32 v4, v22, v4
	s_waitcnt lgkmcnt(0)
	v_add_u32_e32 v4, v113, v4
	ds_write_b32 v118, v4 offset:1040
.LBB1980_266:                           ;   in Loop: Header=BB1980_236 Depth=2
	s_or_b64 exec, exec, s[36:37]
	v_cmp_gt_i16_e32 vcc, 0, v108
	v_cndmask_b32_e64 v4, v65, 0, vcc
	v_xor_b32_e32 v116, v4, v108
	v_cmp_ne_u16_e32 vcc, s62, v116
	v_cndmask_b32_e32 v4, v65, v116, vcc
	v_lshrrev_b32_sdwa v4, s63, v4 dst_sel:DWORD dst_unused:UNUSED_PAD src0_sel:DWORD src1_sel:WORD_0
	v_and_b32_e32 v21, s70, v4
	v_mad_u32_u24 v4, v21, 20, v91
	; wave barrier
	ds_read_b32 v117, v4 offset:1040
	v_and_b32_e32 v4, 1, v21
	v_add_co_u32_e32 v22, vcc, -1, v4
	v_addc_co_u32_e64 v119, s[36:37], 0, -1, vcc
	v_cmp_ne_u32_e32 vcc, 0, v4
	v_xor_b32_e32 v4, vcc_hi, v119
	v_and_b32_e32 v119, exec_hi, v4
	v_lshlrev_b32_e32 v4, 30, v21
	v_xor_b32_e32 v22, vcc_lo, v22
	v_cmp_gt_i64_e32 vcc, 0, v[3:4]
	v_not_b32_e32 v4, v4
	v_ashrrev_i32_e32 v4, 31, v4
	v_and_b32_e32 v22, exec_lo, v22
	v_xor_b32_e32 v120, vcc_hi, v4
	v_xor_b32_e32 v4, vcc_lo, v4
	v_and_b32_e32 v22, v22, v4
	v_lshlrev_b32_e32 v4, 29, v21
	v_cmp_gt_i64_e32 vcc, 0, v[3:4]
	v_not_b32_e32 v4, v4
	v_ashrrev_i32_e32 v4, 31, v4
	v_and_b32_e32 v119, v119, v120
	v_xor_b32_e32 v120, vcc_hi, v4
	v_xor_b32_e32 v4, vcc_lo, v4
	v_and_b32_e32 v22, v22, v4
	v_lshlrev_b32_e32 v4, 28, v21
	v_cmp_gt_i64_e32 vcc, 0, v[3:4]
	v_not_b32_e32 v4, v4
	v_ashrrev_i32_e32 v4, 31, v4
	v_and_b32_e32 v119, v119, v120
	;; [unrolled: 8-line block ×5, first 2 shown]
	v_xor_b32_e32 v120, vcc_hi, v4
	v_xor_b32_e32 v4, vcc_lo, v4
	v_and_b32_e32 v119, v119, v120
	v_and_b32_e32 v120, v22, v4
	v_lshlrev_b32_e32 v4, 24, v21
	v_cmp_gt_i64_e32 vcc, 0, v[3:4]
	v_not_b32_e32 v4, v4
	v_ashrrev_i32_e32 v4, 31, v4
	v_mul_u32_u24_e32 v108, 20, v21
	v_xor_b32_e32 v21, vcc_hi, v4
	v_xor_b32_e32 v4, vcc_lo, v4
	v_and_b32_e32 v22, v119, v21
	v_and_b32_e32 v21, v120, v4
	v_mbcnt_lo_u32_b32 v4, v21, 0
	v_mbcnt_hi_u32_b32 v119, v22, v4
	v_cmp_ne_u64_e32 vcc, 0, v[21:22]
	v_cmp_eq_u32_e64 s[36:37], 0, v119
	s_and_b64 s[38:39], vcc, s[36:37]
	v_add_u32_e32 v108, v91, v108
	; wave barrier
	s_and_saveexec_b64 s[36:37], s[38:39]
	s_cbranch_execz .LBB1980_268
; %bb.267:                              ;   in Loop: Header=BB1980_236 Depth=2
	v_bcnt_u32_b32 v4, v21, 0
	v_bcnt_u32_b32 v4, v22, v4
	s_waitcnt lgkmcnt(0)
	v_add_u32_e32 v4, v117, v4
	ds_write_b32 v108, v4 offset:1040
.LBB1980_268:                           ;   in Loop: Header=BB1980_236 Depth=2
	s_or_b64 exec, exec, s[36:37]
	v_cmp_gt_i16_e32 vcc, 0, v24
	v_cndmask_b32_e64 v4, v65, 0, vcc
	v_xor_b32_e32 v120, v4, v24
	v_cmp_ne_u16_e32 vcc, s62, v120
	v_cndmask_b32_e32 v4, v65, v120, vcc
	v_lshrrev_b32_sdwa v4, s63, v4 dst_sel:DWORD dst_unused:UNUSED_PAD src0_sel:DWORD src1_sel:WORD_0
	v_and_b32_e32 v21, s70, v4
	v_mad_u32_u24 v4, v21, 20, v91
	; wave barrier
	ds_read_b32 v121, v4 offset:1040
	v_and_b32_e32 v4, 1, v21
	v_add_co_u32_e32 v22, vcc, -1, v4
	v_addc_co_u32_e64 v122, s[36:37], 0, -1, vcc
	v_cmp_ne_u32_e32 vcc, 0, v4
	v_xor_b32_e32 v4, vcc_hi, v122
	v_and_b32_e32 v122, exec_hi, v4
	v_lshlrev_b32_e32 v4, 30, v21
	v_xor_b32_e32 v22, vcc_lo, v22
	v_cmp_gt_i64_e32 vcc, 0, v[3:4]
	v_not_b32_e32 v4, v4
	v_ashrrev_i32_e32 v4, 31, v4
	v_and_b32_e32 v22, exec_lo, v22
	v_xor_b32_e32 v123, vcc_hi, v4
	v_xor_b32_e32 v4, vcc_lo, v4
	v_and_b32_e32 v22, v22, v4
	v_lshlrev_b32_e32 v4, 29, v21
	v_cmp_gt_i64_e32 vcc, 0, v[3:4]
	v_not_b32_e32 v4, v4
	v_ashrrev_i32_e32 v4, 31, v4
	v_and_b32_e32 v122, v122, v123
	v_xor_b32_e32 v123, vcc_hi, v4
	v_xor_b32_e32 v4, vcc_lo, v4
	v_and_b32_e32 v22, v22, v4
	v_lshlrev_b32_e32 v4, 28, v21
	v_cmp_gt_i64_e32 vcc, 0, v[3:4]
	v_not_b32_e32 v4, v4
	v_ashrrev_i32_e32 v4, 31, v4
	v_and_b32_e32 v122, v122, v123
	;; [unrolled: 8-line block ×5, first 2 shown]
	v_xor_b32_e32 v123, vcc_hi, v4
	v_xor_b32_e32 v4, vcc_lo, v4
	v_and_b32_e32 v122, v122, v123
	v_and_b32_e32 v123, v22, v4
	v_lshlrev_b32_e32 v4, 24, v21
	v_cmp_gt_i64_e32 vcc, 0, v[3:4]
	v_not_b32_e32 v4, v4
	v_ashrrev_i32_e32 v4, 31, v4
	v_mul_u32_u24_e32 v24, 20, v21
	v_xor_b32_e32 v21, vcc_hi, v4
	v_xor_b32_e32 v4, vcc_lo, v4
	v_and_b32_e32 v22, v122, v21
	v_and_b32_e32 v21, v123, v4
	v_mbcnt_lo_u32_b32 v4, v21, 0
	v_mbcnt_hi_u32_b32 v122, v22, v4
	v_cmp_ne_u64_e32 vcc, 0, v[21:22]
	v_cmp_eq_u32_e64 s[36:37], 0, v122
	s_and_b64 s[38:39], vcc, s[36:37]
	v_add_u32_e32 v125, v91, v24
	; wave barrier
	s_and_saveexec_b64 s[36:37], s[38:39]
	s_cbranch_execz .LBB1980_270
; %bb.269:                              ;   in Loop: Header=BB1980_236 Depth=2
	v_bcnt_u32_b32 v4, v21, 0
	v_bcnt_u32_b32 v4, v22, v4
	s_waitcnt lgkmcnt(0)
	v_add_u32_e32 v4, v121, v4
	ds_write_b32 v125, v4 offset:1040
.LBB1980_270:                           ;   in Loop: Header=BB1980_236 Depth=2
	s_or_b64 exec, exec, s[36:37]
	v_cmp_gt_i16_e32 vcc, 0, v23
	v_cndmask_b32_e64 v4, v65, 0, vcc
	v_xor_b32_e32 v123, v4, v23
	v_cmp_ne_u16_e32 vcc, s62, v123
	v_cndmask_b32_e32 v4, v65, v123, vcc
	v_lshrrev_b32_sdwa v4, s63, v4 dst_sel:DWORD dst_unused:UNUSED_PAD src0_sel:DWORD src1_sel:WORD_0
	v_and_b32_e32 v21, s70, v4
	v_mad_u32_u24 v4, v21, 20, v91
	; wave barrier
	ds_read_b32 v124, v4 offset:1040
	v_and_b32_e32 v4, 1, v21
	v_add_co_u32_e32 v22, vcc, -1, v4
	v_addc_co_u32_e64 v24, s[36:37], 0, -1, vcc
	v_cmp_ne_u32_e32 vcc, 0, v4
	v_xor_b32_e32 v4, vcc_hi, v24
	v_and_b32_e32 v24, exec_hi, v4
	v_lshlrev_b32_e32 v4, 30, v21
	v_xor_b32_e32 v22, vcc_lo, v22
	v_cmp_gt_i64_e32 vcc, 0, v[3:4]
	v_not_b32_e32 v4, v4
	v_ashrrev_i32_e32 v4, 31, v4
	v_and_b32_e32 v22, exec_lo, v22
	v_xor_b32_e32 v126, vcc_hi, v4
	v_xor_b32_e32 v4, vcc_lo, v4
	v_and_b32_e32 v22, v22, v4
	v_lshlrev_b32_e32 v4, 29, v21
	v_cmp_gt_i64_e32 vcc, 0, v[3:4]
	v_not_b32_e32 v4, v4
	v_ashrrev_i32_e32 v4, 31, v4
	v_and_b32_e32 v24, v24, v126
	v_xor_b32_e32 v126, vcc_hi, v4
	v_xor_b32_e32 v4, vcc_lo, v4
	v_and_b32_e32 v22, v22, v4
	v_lshlrev_b32_e32 v4, 28, v21
	v_cmp_gt_i64_e32 vcc, 0, v[3:4]
	v_not_b32_e32 v4, v4
	v_ashrrev_i32_e32 v4, 31, v4
	v_and_b32_e32 v24, v24, v126
	;; [unrolled: 8-line block ×5, first 2 shown]
	v_xor_b32_e32 v126, vcc_hi, v4
	v_xor_b32_e32 v4, vcc_lo, v4
	v_and_b32_e32 v24, v24, v126
	v_and_b32_e32 v126, v22, v4
	v_lshlrev_b32_e32 v4, 24, v21
	v_cmp_gt_i64_e32 vcc, 0, v[3:4]
	v_not_b32_e32 v4, v4
	v_ashrrev_i32_e32 v4, 31, v4
	v_mul_u32_u24_e32 v23, 20, v21
	v_xor_b32_e32 v21, vcc_hi, v4
	v_xor_b32_e32 v4, vcc_lo, v4
	v_and_b32_e32 v22, v24, v21
	v_and_b32_e32 v21, v126, v4
	v_mbcnt_lo_u32_b32 v4, v21, 0
	v_mbcnt_hi_u32_b32 v126, v22, v4
	v_cmp_ne_u64_e32 vcc, 0, v[21:22]
	v_cmp_eq_u32_e64 s[36:37], 0, v126
	s_and_b64 s[38:39], vcc, s[36:37]
	v_add_u32_e32 v4, v91, v23
	; wave barrier
	s_and_saveexec_b64 s[36:37], s[38:39]
	s_cbranch_execz .LBB1980_272
; %bb.271:                              ;   in Loop: Header=BB1980_236 Depth=2
	v_bcnt_u32_b32 v21, v21, 0
	v_bcnt_u32_b32 v21, v22, v21
	s_waitcnt lgkmcnt(0)
	v_add_u32_e32 v21, v124, v21
	ds_write_b32 v4, v21 offset:1040
.LBB1980_272:                           ;   in Loop: Header=BB1980_236 Depth=2
	s_or_b64 exec, exec, s[36:37]
	; wave barrier
	s_waitcnt lgkmcnt(0)
	s_barrier
	ds_read2_b32 v[23:24], v62 offset1:1
	ds_read2_b32 v[21:22], v63 offset1:1
	ds_read_b32 v127, v41 offset:1056
	s_waitcnt lgkmcnt(1)
	v_add3_u32 v128, v24, v23, v21
	s_waitcnt lgkmcnt(0)
	v_add3_u32 v127, v128, v22, v127
	s_nop 1
	v_mov_b32_dpp v128, v127 row_shr:1 row_mask:0xf bank_mask:0xf
	v_cndmask_b32_e64 v128, v128, 0, s[16:17]
	v_add_u32_e32 v127, v128, v127
	s_nop 1
	v_mov_b32_dpp v128, v127 row_shr:2 row_mask:0xf bank_mask:0xf
	v_cndmask_b32_e64 v128, 0, v128, s[18:19]
	v_add_u32_e32 v127, v127, v128
	;; [unrolled: 4-line block ×4, first 2 shown]
	s_nop 1
	v_mov_b32_dpp v128, v127 row_bcast:15 row_mask:0xf bank_mask:0xf
	v_cndmask_b32_e64 v128, v128, 0, s[24:25]
	v_add_u32_e32 v127, v127, v128
	s_nop 1
	v_mov_b32_dpp v128, v127 row_bcast:31 row_mask:0xf bank_mask:0xf
	v_cndmask_b32_e64 v128, 0, v128, s[26:27]
	v_add_u32_e32 v127, v127, v128
	s_and_saveexec_b64 s[36:37], s[6:7]
; %bb.273:                              ;   in Loop: Header=BB1980_236 Depth=2
	ds_write_b32 v37, v127 offset:1024
; %bb.274:                              ;   in Loop: Header=BB1980_236 Depth=2
	s_or_b64 exec, exec, s[36:37]
	s_waitcnt lgkmcnt(0)
	s_barrier
	s_and_saveexec_b64 s[36:37], s[8:9]
	s_cbranch_execz .LBB1980_276
; %bb.275:                              ;   in Loop: Header=BB1980_236 Depth=2
	ds_read_b32 v128, v42 offset:1024
	s_waitcnt lgkmcnt(0)
	s_nop 0
	v_mov_b32_dpp v129, v128 row_shr:1 row_mask:0xf bank_mask:0xf
	v_cndmask_b32_e64 v129, v129, 0, s[30:31]
	v_add_u32_e32 v128, v129, v128
	s_nop 1
	v_mov_b32_dpp v129, v128 row_shr:2 row_mask:0xf bank_mask:0xf
	v_cndmask_b32_e64 v129, 0, v129, s[34:35]
	v_add_u32_e32 v128, v128, v129
	ds_write_b32 v42, v128 offset:1024
.LBB1980_276:                           ;   in Loop: Header=BB1980_236 Depth=2
	s_or_b64 exec, exec, s[36:37]
	v_mov_b32_e32 v128, 0
	s_waitcnt lgkmcnt(0)
	s_barrier
	s_and_saveexec_b64 s[36:37], s[10:11]
; %bb.277:                              ;   in Loop: Header=BB1980_236 Depth=2
	ds_read_b32 v128, v37 offset:1020
; %bb.278:                              ;   in Loop: Header=BB1980_236 Depth=2
	s_or_b64 exec, exec, s[36:37]
	s_waitcnt lgkmcnt(0)
	v_add_u32_e32 v127, v128, v127
	ds_bpermute_b32 v127, v82, v127
	s_waitcnt lgkmcnt(0)
	v_cndmask_b32_e64 v127, v127, v128, s[28:29]
	v_cndmask_b32_e64 v127, v127, 0, s[12:13]
	v_add_u32_e32 v23, v127, v23
	v_add_u32_e32 v24, v23, v24
	;; [unrolled: 1-line block ×4, first 2 shown]
	ds_write2_b32 v62, v127, v23 offset1:1
	ds_write2_b32 v63, v24, v21 offset1:1
	ds_write_b32 v41, v22 offset:1056
	s_waitcnt lgkmcnt(0)
	s_barrier
	ds_read_b32 v21, v101 offset:1040
	ds_read_b32 v22, v105 offset:1040
	;; [unrolled: 1-line block ×9, first 2 shown]
	v_mov_b32_e32 v4, 0x800
	s_and_saveexec_b64 s[36:37], s[14:15]
; %bb.279:                              ;   in Loop: Header=BB1980_236 Depth=2
	ds_read_b32 v4, v41 offset:1060
; %bb.280:                              ;   in Loop: Header=BB1980_236 Depth=2
	s_or_b64 exec, exec, s[36:37]
	s_waitcnt lgkmcnt(0)
	s_barrier
	s_and_saveexec_b64 s[36:37], s[4:5]
	s_cbranch_execz .LBB1980_282
; %bb.281:                              ;   in Loop: Header=BB1980_236 Depth=2
	ds_read_b32 v105, v25
	s_waitcnt lgkmcnt(0)
	v_sub_u32_e32 v101, v105, v101
	ds_write_b32 v25, v101
.LBB1980_282:                           ;   in Loop: Header=BB1980_236 Depth=2
	s_or_b64 exec, exec, s[36:37]
	v_add_u32_e32 v108, v21, v98
	v_add3_u32 v105, v102, v100, v22
	v_lshlrev_b32_e32 v21, 1, v108
	v_add3_u32 v102, v106, v104, v23
	ds_write_b16 v21, v97 offset:1024
	v_lshlrev_b32_e32 v21, 1, v105
	v_add3_u32 v101, v111, v109, v24
	ds_write_b16 v21, v99 offset:1024
	;; [unrolled: 3-line block ×6, first 2 shown]
	v_lshlrev_b32_e32 v21, 1, v24
	ds_write_b16 v21, v120 offset:1024
	v_lshlrev_b32_e32 v21, 1, v23
	v_cmp_lt_u32_e32 vcc, v0, v96
	ds_write_b16 v21, v123 offset:1024
	s_waitcnt lgkmcnt(0)
	s_barrier
	s_and_saveexec_b64 s[38:39], vcc
	s_cbranch_execnz .LBB1980_319
; %bb.283:                              ;   in Loop: Header=BB1980_236 Depth=2
	s_or_b64 exec, exec, s[38:39]
	v_cmp_lt_u32_e64 s[36:37], v26, v96
	s_and_saveexec_b64 s[40:41], s[36:37]
	s_cbranch_execnz .LBB1980_320
.LBB1980_284:                           ;   in Loop: Header=BB1980_236 Depth=2
	s_or_b64 exec, exec, s[40:41]
	v_cmp_lt_u32_e64 s[38:39], v27, v96
	s_and_saveexec_b64 s[42:43], s[38:39]
	s_cbranch_execnz .LBB1980_321
.LBB1980_285:                           ;   in Loop: Header=BB1980_236 Depth=2
	s_or_b64 exec, exec, s[42:43]
	v_cmp_lt_u32_e64 s[40:41], v28, v96
	s_and_saveexec_b64 s[44:45], s[40:41]
	s_cbranch_execnz .LBB1980_322
.LBB1980_286:                           ;   in Loop: Header=BB1980_236 Depth=2
	s_or_b64 exec, exec, s[44:45]
	v_cmp_lt_u32_e64 s[42:43], v31, v96
	s_and_saveexec_b64 s[46:47], s[42:43]
	s_cbranch_execnz .LBB1980_323
.LBB1980_287:                           ;   in Loop: Header=BB1980_236 Depth=2
	s_or_b64 exec, exec, s[46:47]
	v_cmp_lt_u32_e64 s[44:45], v32, v96
	s_and_saveexec_b64 s[48:49], s[44:45]
	s_cbranch_execnz .LBB1980_324
.LBB1980_288:                           ;   in Loop: Header=BB1980_236 Depth=2
	s_or_b64 exec, exec, s[48:49]
	v_cmp_lt_u32_e64 s[46:47], v33, v96
	s_and_saveexec_b64 s[52:53], s[46:47]
	s_cbranch_execnz .LBB1980_325
.LBB1980_289:                           ;   in Loop: Header=BB1980_236 Depth=2
	s_or_b64 exec, exec, s[52:53]
	v_cmp_lt_u32_e64 s[48:49], v34, v96
	s_and_saveexec_b64 s[60:61], s[48:49]
	s_cbranch_execz .LBB1980_291
.LBB1980_290:                           ;   in Loop: Header=BB1980_236 Depth=2
	ds_read_u16 v21, v47 offset:4608
	v_mov_b32_e32 v22, v3
	v_mov_b32_e32 v99, s69
	s_waitcnt lgkmcnt(0)
	v_cmp_ne_u16_e64 s[52:53], s62, v21
	v_cndmask_b32_e64 v97, v65, v21, s[52:53]
	v_lshrrev_b32_sdwa v97, s63, v97 dst_sel:DWORD dst_unused:UNUSED_PAD src0_sel:DWORD src1_sel:WORD_0
	v_and_b32_e32 v97, s70, v97
	v_lshlrev_b32_e32 v97, 2, v97
	ds_read_b32 v97, v97
	v_cmp_gt_i16_e64 s[52:53], 0, v21
	v_cndmask_b32_e64 v103, v65, 0, s[52:53]
	v_xor_b32_e32 v103, v103, v21
	s_waitcnt lgkmcnt(0)
	v_add_u32_e32 v21, v97, v34
	v_lshlrev_b64 v[21:22], 1, v[21:22]
	v_add_co_u32_e64 v21, s[52:53], s68, v21
	v_addc_co_u32_e64 v22, s[52:53], v99, v22, s[52:53]
	global_store_short v[21:22], v103, off
.LBB1980_291:                           ;   in Loop: Header=BB1980_236 Depth=2
	s_or_b64 exec, exec, s[60:61]
	s_lshl_b64 s[52:53], s[58:59], 3
	v_mov_b32_e32 v22, s53
	v_add_co_u32_e64 v21, s[52:53], s52, v83
	v_addc_co_u32_e64 v22, s[52:53], v84, v22, s[52:53]
	v_cmp_lt_u32_e64 s[52:53], v73, v96
	s_and_saveexec_b64 s[60:61], s[52:53]
	s_xor_b64 s[52:53], exec, s[60:61]
	s_cbranch_execnz .LBB1980_326
; %bb.292:                              ;   in Loop: Header=BB1980_236 Depth=2
	s_or_b64 exec, exec, s[52:53]
	v_cmp_lt_u32_e64 s[52:53], v74, v96
	s_and_saveexec_b64 s[60:61], s[52:53]
	s_cbranch_execnz .LBB1980_327
.LBB1980_293:                           ;   in Loop: Header=BB1980_236 Depth=2
	s_or_b64 exec, exec, s[60:61]
	v_cmp_lt_u32_e64 s[52:53], v75, v96
	s_and_saveexec_b64 s[60:61], s[52:53]
	s_cbranch_execnz .LBB1980_328
.LBB1980_294:                           ;   in Loop: Header=BB1980_236 Depth=2
	s_or_b64 exec, exec, s[60:61]
	v_cmp_lt_u32_e64 s[52:53], v76, v96
	s_and_saveexec_b64 s[60:61], s[52:53]
	s_cbranch_execnz .LBB1980_329
.LBB1980_295:                           ;   in Loop: Header=BB1980_236 Depth=2
	s_or_b64 exec, exec, s[60:61]
	v_cmp_lt_u32_e64 s[52:53], v77, v96
	s_and_saveexec_b64 s[60:61], s[52:53]
	s_cbranch_execnz .LBB1980_330
.LBB1980_296:                           ;   in Loop: Header=BB1980_236 Depth=2
	s_or_b64 exec, exec, s[60:61]
	v_cmp_lt_u32_e64 s[52:53], v78, v96
	s_and_saveexec_b64 s[60:61], s[52:53]
	s_cbranch_execnz .LBB1980_331
.LBB1980_297:                           ;   in Loop: Header=BB1980_236 Depth=2
	s_or_b64 exec, exec, s[60:61]
	v_cmp_lt_u32_e64 s[52:53], v79, v96
	s_and_saveexec_b64 s[60:61], s[52:53]
	s_cbranch_execnz .LBB1980_332
.LBB1980_298:                           ;   in Loop: Header=BB1980_236 Depth=2
	s_or_b64 exec, exec, s[60:61]
	v_cmp_lt_u32_e64 s[52:53], v80, v96
	s_and_saveexec_b64 s[60:61], s[52:53]
	s_cbranch_execnz .LBB1980_333
.LBB1980_299:                           ;   in Loop: Header=BB1980_236 Depth=2
	s_or_b64 exec, exec, s[60:61]
	s_and_saveexec_b64 s[60:61], vcc
	s_cbranch_execnz .LBB1980_334
.LBB1980_300:                           ;   in Loop: Header=BB1980_236 Depth=2
	s_or_b64 exec, exec, s[60:61]
	s_and_saveexec_b64 s[60:61], s[36:37]
	s_cbranch_execnz .LBB1980_335
.LBB1980_301:                           ;   in Loop: Header=BB1980_236 Depth=2
	s_or_b64 exec, exec, s[60:61]
	s_and_saveexec_b64 s[60:61], s[38:39]
	s_cbranch_execnz .LBB1980_336
.LBB1980_302:                           ;   in Loop: Header=BB1980_236 Depth=2
	s_or_b64 exec, exec, s[60:61]
	s_and_saveexec_b64 s[60:61], s[40:41]
	s_cbranch_execnz .LBB1980_337
.LBB1980_303:                           ;   in Loop: Header=BB1980_236 Depth=2
	s_or_b64 exec, exec, s[60:61]
	s_and_saveexec_b64 s[60:61], s[42:43]
	s_cbranch_execnz .LBB1980_338
.LBB1980_304:                           ;   in Loop: Header=BB1980_236 Depth=2
	s_or_b64 exec, exec, s[60:61]
	s_and_saveexec_b64 s[60:61], s[44:45]
	s_cbranch_execnz .LBB1980_339
.LBB1980_305:                           ;   in Loop: Header=BB1980_236 Depth=2
	s_or_b64 exec, exec, s[60:61]
	s_and_saveexec_b64 s[60:61], s[46:47]
	s_cbranch_execnz .LBB1980_340
.LBB1980_306:                           ;   in Loop: Header=BB1980_236 Depth=2
	s_or_b64 exec, exec, s[60:61]
	s_and_saveexec_b64 s[60:61], s[48:49]
	s_cbranch_execz .LBB1980_308
.LBB1980_307:                           ;   in Loop: Header=BB1980_236 Depth=2
	ds_read_u16 v21, v47 offset:4608
	s_waitcnt lgkmcnt(0)
	v_cmp_ne_u16_e64 s[52:53], s62, v21
	v_cndmask_b32_e64 v21, v65, v21, s[52:53]
	v_lshrrev_b32_sdwa v21, s63, v21 dst_sel:DWORD dst_unused:UNUSED_PAD src0_sel:DWORD src1_sel:WORD_0
	v_and_b32_e32 v87, s70, v21
.LBB1980_308:                           ;   in Loop: Header=BB1980_236 Depth=2
	s_or_b64 exec, exec, s[60:61]
	v_lshlrev_b32_e32 v21, 3, v108
	s_waitcnt vmcnt(0)
	s_barrier
	ds_write_b64 v21, v[19:20] offset:1024
	v_lshlrev_b32_e32 v21, 3, v105
	ds_write_b64 v21, v[17:18] offset:1024
	v_lshlrev_b32_e32 v21, 3, v102
	;; [unrolled: 2-line block ×7, first 2 shown]
	ds_write_b64 v21, v[5:6] offset:1024
	s_waitcnt lgkmcnt(0)
	s_barrier
	s_and_saveexec_b64 s[52:53], vcc
	s_cbranch_execnz .LBB1980_341
; %bb.309:                              ;   in Loop: Header=BB1980_236 Depth=2
	s_or_b64 exec, exec, s[52:53]
	s_and_saveexec_b64 s[52:53], s[36:37]
	s_cbranch_execnz .LBB1980_342
.LBB1980_310:                           ;   in Loop: Header=BB1980_236 Depth=2
	s_or_b64 exec, exec, s[52:53]
	s_and_saveexec_b64 s[36:37], s[38:39]
	s_cbranch_execnz .LBB1980_343
.LBB1980_311:                           ;   in Loop: Header=BB1980_236 Depth=2
	s_or_b64 exec, exec, s[36:37]
	s_and_saveexec_b64 s[36:37], s[40:41]
	s_cbranch_execnz .LBB1980_344
.LBB1980_312:                           ;   in Loop: Header=BB1980_236 Depth=2
	s_or_b64 exec, exec, s[36:37]
	s_and_saveexec_b64 s[36:37], s[42:43]
	s_cbranch_execnz .LBB1980_345
.LBB1980_313:                           ;   in Loop: Header=BB1980_236 Depth=2
	s_or_b64 exec, exec, s[36:37]
	s_and_saveexec_b64 s[36:37], s[44:45]
	s_cbranch_execnz .LBB1980_346
.LBB1980_314:                           ;   in Loop: Header=BB1980_236 Depth=2
	s_or_b64 exec, exec, s[36:37]
	s_and_saveexec_b64 s[36:37], s[46:47]
	s_cbranch_execnz .LBB1980_347
.LBB1980_315:                           ;   in Loop: Header=BB1980_236 Depth=2
	s_or_b64 exec, exec, s[36:37]
	s_and_saveexec_b64 s[36:37], s[48:49]
	s_cbranch_execz .LBB1980_317
.LBB1980_316:                           ;   in Loop: Header=BB1980_236 Depth=2
	v_lshlrev_b32_e32 v21, 2, v87
	ds_read_b32 v23, v21
	v_add_u32_e32 v21, v47, v48
	ds_read_b64 v[21:22], v21 offset:15360
	v_mov_b32_e32 v24, v3
	v_mov_b32_e32 v96, s75
	s_waitcnt lgkmcnt(1)
	v_add_u32_e32 v23, v23, v34
	v_lshlrev_b64 v[23:24], 3, v[23:24]
	v_add_co_u32_e32 v23, vcc, s74, v23
	v_addc_co_u32_e32 v24, vcc, v96, v24, vcc
	s_waitcnt lgkmcnt(0)
	global_store_dwordx2 v[23:24], v[21:22], off
.LBB1980_317:                           ;   in Loop: Header=BB1980_236 Depth=2
	s_or_b64 exec, exec, s[36:37]
	s_waitcnt vmcnt(0)
	s_barrier
	s_and_saveexec_b64 s[36:37], s[4:5]
	s_cbranch_execz .LBB1980_235
; %bb.318:                              ;   in Loop: Header=BB1980_236 Depth=2
	ds_read_b32 v21, v25
	s_waitcnt lgkmcnt(0)
	v_add_u32_e32 v4, v21, v4
	ds_write_b32 v25, v4
	s_branch .LBB1980_235
.LBB1980_319:                           ;   in Loop: Header=BB1980_236 Depth=2
	ds_read_u16 v21, v47 offset:1024
	v_mov_b32_e32 v22, v3
	v_mov_b32_e32 v99, s69
	s_waitcnt lgkmcnt(0)
	v_cmp_ne_u16_e64 s[36:37], s62, v21
	v_cndmask_b32_e64 v97, v65, v21, s[36:37]
	v_lshrrev_b32_sdwa v97, s63, v97 dst_sel:DWORD dst_unused:UNUSED_PAD src0_sel:DWORD src1_sel:WORD_0
	v_and_b32_e32 v97, s70, v97
	v_lshlrev_b32_e32 v97, 2, v97
	ds_read_b32 v97, v97
	v_cmp_gt_i16_e64 s[36:37], 0, v21
	v_cndmask_b32_e64 v103, v65, 0, s[36:37]
	v_xor_b32_e32 v103, v103, v21
	s_waitcnt lgkmcnt(0)
	v_add_u32_e32 v21, v97, v0
	v_lshlrev_b64 v[21:22], 1, v[21:22]
	v_add_co_u32_e64 v21, s[36:37], s68, v21
	v_addc_co_u32_e64 v22, s[36:37], v99, v22, s[36:37]
	global_store_short v[21:22], v103, off
	s_or_b64 exec, exec, s[38:39]
	v_cmp_lt_u32_e64 s[36:37], v26, v96
	s_and_saveexec_b64 s[40:41], s[36:37]
	s_cbranch_execz .LBB1980_284
.LBB1980_320:                           ;   in Loop: Header=BB1980_236 Depth=2
	ds_read_u16 v21, v47 offset:1536
	v_mov_b32_e32 v22, v3
	v_mov_b32_e32 v99, s69
	s_waitcnt lgkmcnt(0)
	v_cmp_ne_u16_e64 s[38:39], s62, v21
	v_cndmask_b32_e64 v97, v65, v21, s[38:39]
	v_lshrrev_b32_sdwa v97, s63, v97 dst_sel:DWORD dst_unused:UNUSED_PAD src0_sel:DWORD src1_sel:WORD_0
	v_and_b32_e32 v97, s70, v97
	v_lshlrev_b32_e32 v97, 2, v97
	ds_read_b32 v97, v97
	v_cmp_gt_i16_e64 s[38:39], 0, v21
	v_cndmask_b32_e64 v103, v65, 0, s[38:39]
	v_xor_b32_e32 v103, v103, v21
	s_waitcnt lgkmcnt(0)
	v_add_u32_e32 v21, v97, v26
	v_lshlrev_b64 v[21:22], 1, v[21:22]
	v_add_co_u32_e64 v21, s[38:39], s68, v21
	v_addc_co_u32_e64 v22, s[38:39], v99, v22, s[38:39]
	global_store_short v[21:22], v103, off
	s_or_b64 exec, exec, s[40:41]
	v_cmp_lt_u32_e64 s[38:39], v27, v96
	s_and_saveexec_b64 s[42:43], s[38:39]
	s_cbranch_execz .LBB1980_285
.LBB1980_321:                           ;   in Loop: Header=BB1980_236 Depth=2
	ds_read_u16 v21, v47 offset:2048
	v_mov_b32_e32 v22, v3
	v_mov_b32_e32 v99, s69
	s_waitcnt lgkmcnt(0)
	v_cmp_ne_u16_e64 s[40:41], s62, v21
	v_cndmask_b32_e64 v97, v65, v21, s[40:41]
	v_lshrrev_b32_sdwa v97, s63, v97 dst_sel:DWORD dst_unused:UNUSED_PAD src0_sel:DWORD src1_sel:WORD_0
	v_and_b32_e32 v97, s70, v97
	v_lshlrev_b32_e32 v97, 2, v97
	ds_read_b32 v97, v97
	v_cmp_gt_i16_e64 s[40:41], 0, v21
	v_cndmask_b32_e64 v103, v65, 0, s[40:41]
	v_xor_b32_e32 v103, v103, v21
	s_waitcnt lgkmcnt(0)
	v_add_u32_e32 v21, v97, v27
	v_lshlrev_b64 v[21:22], 1, v[21:22]
	v_add_co_u32_e64 v21, s[40:41], s68, v21
	v_addc_co_u32_e64 v22, s[40:41], v99, v22, s[40:41]
	global_store_short v[21:22], v103, off
	s_or_b64 exec, exec, s[42:43]
	v_cmp_lt_u32_e64 s[40:41], v28, v96
	s_and_saveexec_b64 s[44:45], s[40:41]
	s_cbranch_execz .LBB1980_286
.LBB1980_322:                           ;   in Loop: Header=BB1980_236 Depth=2
	ds_read_u16 v21, v47 offset:2560
	v_mov_b32_e32 v22, v3
	v_mov_b32_e32 v99, s69
	s_waitcnt lgkmcnt(0)
	v_cmp_ne_u16_e64 s[42:43], s62, v21
	v_cndmask_b32_e64 v97, v65, v21, s[42:43]
	v_lshrrev_b32_sdwa v97, s63, v97 dst_sel:DWORD dst_unused:UNUSED_PAD src0_sel:DWORD src1_sel:WORD_0
	v_and_b32_e32 v97, s70, v97
	v_lshlrev_b32_e32 v97, 2, v97
	ds_read_b32 v97, v97
	v_cmp_gt_i16_e64 s[42:43], 0, v21
	v_cndmask_b32_e64 v103, v65, 0, s[42:43]
	v_xor_b32_e32 v103, v103, v21
	s_waitcnt lgkmcnt(0)
	v_add_u32_e32 v21, v97, v28
	v_lshlrev_b64 v[21:22], 1, v[21:22]
	v_add_co_u32_e64 v21, s[42:43], s68, v21
	v_addc_co_u32_e64 v22, s[42:43], v99, v22, s[42:43]
	global_store_short v[21:22], v103, off
	s_or_b64 exec, exec, s[44:45]
	v_cmp_lt_u32_e64 s[42:43], v31, v96
	s_and_saveexec_b64 s[46:47], s[42:43]
	s_cbranch_execz .LBB1980_287
.LBB1980_323:                           ;   in Loop: Header=BB1980_236 Depth=2
	ds_read_u16 v21, v47 offset:3072
	v_mov_b32_e32 v22, v3
	v_mov_b32_e32 v99, s69
	s_waitcnt lgkmcnt(0)
	v_cmp_ne_u16_e64 s[44:45], s62, v21
	v_cndmask_b32_e64 v97, v65, v21, s[44:45]
	v_lshrrev_b32_sdwa v97, s63, v97 dst_sel:DWORD dst_unused:UNUSED_PAD src0_sel:DWORD src1_sel:WORD_0
	v_and_b32_e32 v97, s70, v97
	v_lshlrev_b32_e32 v97, 2, v97
	ds_read_b32 v97, v97
	v_cmp_gt_i16_e64 s[44:45], 0, v21
	v_cndmask_b32_e64 v103, v65, 0, s[44:45]
	v_xor_b32_e32 v103, v103, v21
	s_waitcnt lgkmcnt(0)
	v_add_u32_e32 v21, v97, v31
	v_lshlrev_b64 v[21:22], 1, v[21:22]
	v_add_co_u32_e64 v21, s[44:45], s68, v21
	v_addc_co_u32_e64 v22, s[44:45], v99, v22, s[44:45]
	global_store_short v[21:22], v103, off
	s_or_b64 exec, exec, s[46:47]
	v_cmp_lt_u32_e64 s[44:45], v32, v96
	s_and_saveexec_b64 s[48:49], s[44:45]
	s_cbranch_execz .LBB1980_288
.LBB1980_324:                           ;   in Loop: Header=BB1980_236 Depth=2
	ds_read_u16 v21, v47 offset:3584
	v_mov_b32_e32 v22, v3
	v_mov_b32_e32 v99, s69
	s_waitcnt lgkmcnt(0)
	v_cmp_ne_u16_e64 s[46:47], s62, v21
	v_cndmask_b32_e64 v97, v65, v21, s[46:47]
	v_lshrrev_b32_sdwa v97, s63, v97 dst_sel:DWORD dst_unused:UNUSED_PAD src0_sel:DWORD src1_sel:WORD_0
	v_and_b32_e32 v97, s70, v97
	v_lshlrev_b32_e32 v97, 2, v97
	ds_read_b32 v97, v97
	v_cmp_gt_i16_e64 s[46:47], 0, v21
	v_cndmask_b32_e64 v103, v65, 0, s[46:47]
	v_xor_b32_e32 v103, v103, v21
	s_waitcnt lgkmcnt(0)
	v_add_u32_e32 v21, v97, v32
	v_lshlrev_b64 v[21:22], 1, v[21:22]
	v_add_co_u32_e64 v21, s[46:47], s68, v21
	v_addc_co_u32_e64 v22, s[46:47], v99, v22, s[46:47]
	global_store_short v[21:22], v103, off
	s_or_b64 exec, exec, s[48:49]
	v_cmp_lt_u32_e64 s[46:47], v33, v96
	s_and_saveexec_b64 s[52:53], s[46:47]
	s_cbranch_execz .LBB1980_289
.LBB1980_325:                           ;   in Loop: Header=BB1980_236 Depth=2
	ds_read_u16 v21, v47 offset:4096
	v_mov_b32_e32 v22, v3
	v_mov_b32_e32 v99, s69
	s_waitcnt lgkmcnt(0)
	v_cmp_ne_u16_e64 s[48:49], s62, v21
	v_cndmask_b32_e64 v97, v65, v21, s[48:49]
	v_lshrrev_b32_sdwa v97, s63, v97 dst_sel:DWORD dst_unused:UNUSED_PAD src0_sel:DWORD src1_sel:WORD_0
	v_and_b32_e32 v97, s70, v97
	v_lshlrev_b32_e32 v97, 2, v97
	ds_read_b32 v97, v97
	v_cmp_gt_i16_e64 s[48:49], 0, v21
	v_cndmask_b32_e64 v103, v65, 0, s[48:49]
	v_xor_b32_e32 v103, v103, v21
	s_waitcnt lgkmcnt(0)
	v_add_u32_e32 v21, v97, v33
	v_lshlrev_b64 v[21:22], 1, v[21:22]
	v_add_co_u32_e64 v21, s[48:49], s68, v21
	v_addc_co_u32_e64 v22, s[48:49], v99, v22, s[48:49]
	global_store_short v[21:22], v103, off
	s_or_b64 exec, exec, s[52:53]
	v_cmp_lt_u32_e64 s[48:49], v34, v96
	s_and_saveexec_b64 s[60:61], s[48:49]
	s_cbranch_execnz .LBB1980_290
	s_branch .LBB1980_291
.LBB1980_326:                           ;   in Loop: Header=BB1980_236 Depth=2
	global_load_dwordx2 v[19:20], v[21:22], off
	s_or_b64 exec, exec, s[52:53]
	v_cmp_lt_u32_e64 s[52:53], v74, v96
	s_and_saveexec_b64 s[60:61], s[52:53]
	s_cbranch_execz .LBB1980_293
.LBB1980_327:                           ;   in Loop: Header=BB1980_236 Depth=2
	global_load_dwordx2 v[17:18], v[21:22], off offset:512
	s_or_b64 exec, exec, s[60:61]
	v_cmp_lt_u32_e64 s[52:53], v75, v96
	s_and_saveexec_b64 s[60:61], s[52:53]
	s_cbranch_execz .LBB1980_294
.LBB1980_328:                           ;   in Loop: Header=BB1980_236 Depth=2
	global_load_dwordx2 v[15:16], v[21:22], off offset:1024
	s_or_b64 exec, exec, s[60:61]
	v_cmp_lt_u32_e64 s[52:53], v76, v96
	s_and_saveexec_b64 s[60:61], s[52:53]
	s_cbranch_execz .LBB1980_295
.LBB1980_329:                           ;   in Loop: Header=BB1980_236 Depth=2
	global_load_dwordx2 v[13:14], v[21:22], off offset:1536
	s_or_b64 exec, exec, s[60:61]
	v_cmp_lt_u32_e64 s[52:53], v77, v96
	s_and_saveexec_b64 s[60:61], s[52:53]
	s_cbranch_execz .LBB1980_296
.LBB1980_330:                           ;   in Loop: Header=BB1980_236 Depth=2
	global_load_dwordx2 v[11:12], v[21:22], off offset:2048
	s_or_b64 exec, exec, s[60:61]
	v_cmp_lt_u32_e64 s[52:53], v78, v96
	s_and_saveexec_b64 s[60:61], s[52:53]
	s_cbranch_execz .LBB1980_297
.LBB1980_331:                           ;   in Loop: Header=BB1980_236 Depth=2
	global_load_dwordx2 v[9:10], v[21:22], off offset:2560
	s_or_b64 exec, exec, s[60:61]
	v_cmp_lt_u32_e64 s[52:53], v79, v96
	s_and_saveexec_b64 s[60:61], s[52:53]
	s_cbranch_execz .LBB1980_298
.LBB1980_332:                           ;   in Loop: Header=BB1980_236 Depth=2
	global_load_dwordx2 v[7:8], v[21:22], off offset:3072
	s_or_b64 exec, exec, s[60:61]
	v_cmp_lt_u32_e64 s[52:53], v80, v96
	s_and_saveexec_b64 s[60:61], s[52:53]
	s_cbranch_execz .LBB1980_299
.LBB1980_333:                           ;   in Loop: Header=BB1980_236 Depth=2
	global_load_dwordx2 v[5:6], v[21:22], off offset:3584
	s_or_b64 exec, exec, s[60:61]
	s_and_saveexec_b64 s[60:61], vcc
	s_cbranch_execz .LBB1980_300
.LBB1980_334:                           ;   in Loop: Header=BB1980_236 Depth=2
	ds_read_u16 v21, v47 offset:1024
	s_waitcnt lgkmcnt(0)
	v_cmp_ne_u16_e64 s[52:53], s62, v21
	v_cndmask_b32_e64 v21, v65, v21, s[52:53]
	v_lshrrev_b32_sdwa v21, s63, v21 dst_sel:DWORD dst_unused:UNUSED_PAD src0_sel:DWORD src1_sel:WORD_0
	v_and_b32_e32 v95, s70, v21
	s_or_b64 exec, exec, s[60:61]
	s_and_saveexec_b64 s[60:61], s[36:37]
	s_cbranch_execz .LBB1980_301
.LBB1980_335:                           ;   in Loop: Header=BB1980_236 Depth=2
	ds_read_u16 v21, v47 offset:1536
	s_waitcnt lgkmcnt(0)
	v_cmp_ne_u16_e64 s[52:53], s62, v21
	v_cndmask_b32_e64 v21, v65, v21, s[52:53]
	v_lshrrev_b32_sdwa v21, s63, v21 dst_sel:DWORD dst_unused:UNUSED_PAD src0_sel:DWORD src1_sel:WORD_0
	v_and_b32_e32 v94, s70, v21
	s_or_b64 exec, exec, s[60:61]
	s_and_saveexec_b64 s[60:61], s[38:39]
	s_cbranch_execz .LBB1980_302
.LBB1980_336:                           ;   in Loop: Header=BB1980_236 Depth=2
	ds_read_u16 v21, v47 offset:2048
	s_waitcnt lgkmcnt(0)
	v_cmp_ne_u16_e64 s[52:53], s62, v21
	v_cndmask_b32_e64 v21, v65, v21, s[52:53]
	v_lshrrev_b32_sdwa v21, s63, v21 dst_sel:DWORD dst_unused:UNUSED_PAD src0_sel:DWORD src1_sel:WORD_0
	v_and_b32_e32 v93, s70, v21
	s_or_b64 exec, exec, s[60:61]
	s_and_saveexec_b64 s[60:61], s[40:41]
	s_cbranch_execz .LBB1980_303
.LBB1980_337:                           ;   in Loop: Header=BB1980_236 Depth=2
	ds_read_u16 v21, v47 offset:2560
	s_waitcnt lgkmcnt(0)
	v_cmp_ne_u16_e64 s[52:53], s62, v21
	v_cndmask_b32_e64 v21, v65, v21, s[52:53]
	v_lshrrev_b32_sdwa v21, s63, v21 dst_sel:DWORD dst_unused:UNUSED_PAD src0_sel:DWORD src1_sel:WORD_0
	v_and_b32_e32 v92, s70, v21
	s_or_b64 exec, exec, s[60:61]
	s_and_saveexec_b64 s[60:61], s[42:43]
	s_cbranch_execz .LBB1980_304
.LBB1980_338:                           ;   in Loop: Header=BB1980_236 Depth=2
	ds_read_u16 v21, v47 offset:3072
	s_waitcnt lgkmcnt(0)
	v_cmp_ne_u16_e64 s[52:53], s62, v21
	v_cndmask_b32_e64 v21, v65, v21, s[52:53]
	v_lshrrev_b32_sdwa v21, s63, v21 dst_sel:DWORD dst_unused:UNUSED_PAD src0_sel:DWORD src1_sel:WORD_0
	v_and_b32_e32 v90, s70, v21
	s_or_b64 exec, exec, s[60:61]
	s_and_saveexec_b64 s[60:61], s[44:45]
	s_cbranch_execz .LBB1980_305
.LBB1980_339:                           ;   in Loop: Header=BB1980_236 Depth=2
	ds_read_u16 v21, v47 offset:3584
	s_waitcnt lgkmcnt(0)
	v_cmp_ne_u16_e64 s[52:53], s62, v21
	v_cndmask_b32_e64 v21, v65, v21, s[52:53]
	v_lshrrev_b32_sdwa v21, s63, v21 dst_sel:DWORD dst_unused:UNUSED_PAD src0_sel:DWORD src1_sel:WORD_0
	v_and_b32_e32 v89, s70, v21
	s_or_b64 exec, exec, s[60:61]
	s_and_saveexec_b64 s[60:61], s[46:47]
	s_cbranch_execz .LBB1980_306
.LBB1980_340:                           ;   in Loop: Header=BB1980_236 Depth=2
	ds_read_u16 v21, v47 offset:4096
	s_waitcnt lgkmcnt(0)
	v_cmp_ne_u16_e64 s[52:53], s62, v21
	v_cndmask_b32_e64 v21, v65, v21, s[52:53]
	v_lshrrev_b32_sdwa v21, s63, v21 dst_sel:DWORD dst_unused:UNUSED_PAD src0_sel:DWORD src1_sel:WORD_0
	v_and_b32_e32 v88, s70, v21
	s_or_b64 exec, exec, s[60:61]
	s_and_saveexec_b64 s[60:61], s[48:49]
	s_cbranch_execnz .LBB1980_307
	s_branch .LBB1980_308
.LBB1980_341:                           ;   in Loop: Header=BB1980_236 Depth=2
	v_lshlrev_b32_e32 v21, 2, v95
	ds_read_b32 v23, v21
	v_add_u32_e32 v21, v47, v48
	ds_read_b64 v[21:22], v21 offset:1024
	v_mov_b32_e32 v24, v3
	v_mov_b32_e32 v96, s75
	s_waitcnt lgkmcnt(1)
	v_add_u32_e32 v23, v23, v0
	v_lshlrev_b64 v[23:24], 3, v[23:24]
	v_add_co_u32_e32 v23, vcc, s74, v23
	v_addc_co_u32_e32 v24, vcc, v96, v24, vcc
	s_waitcnt lgkmcnt(0)
	global_store_dwordx2 v[23:24], v[21:22], off
	s_or_b64 exec, exec, s[52:53]
	s_and_saveexec_b64 s[52:53], s[36:37]
	s_cbranch_execz .LBB1980_310
.LBB1980_342:                           ;   in Loop: Header=BB1980_236 Depth=2
	v_lshlrev_b32_e32 v21, 2, v94
	ds_read_b32 v23, v21
	v_add_u32_e32 v21, v47, v48
	ds_read_b64 v[21:22], v21 offset:3072
	v_mov_b32_e32 v24, v3
	v_mov_b32_e32 v96, s75
	s_waitcnt lgkmcnt(1)
	v_add_u32_e32 v23, v23, v26
	v_lshlrev_b64 v[23:24], 3, v[23:24]
	v_add_co_u32_e32 v23, vcc, s74, v23
	v_addc_co_u32_e32 v24, vcc, v96, v24, vcc
	s_waitcnt lgkmcnt(0)
	global_store_dwordx2 v[23:24], v[21:22], off
	s_or_b64 exec, exec, s[52:53]
	s_and_saveexec_b64 s[36:37], s[38:39]
	s_cbranch_execz .LBB1980_311
.LBB1980_343:                           ;   in Loop: Header=BB1980_236 Depth=2
	v_lshlrev_b32_e32 v21, 2, v93
	ds_read_b32 v23, v21
	v_add_u32_e32 v21, v47, v48
	ds_read_b64 v[21:22], v21 offset:5120
	v_mov_b32_e32 v24, v3
	v_mov_b32_e32 v96, s75
	s_waitcnt lgkmcnt(1)
	v_add_u32_e32 v23, v23, v27
	v_lshlrev_b64 v[23:24], 3, v[23:24]
	v_add_co_u32_e32 v23, vcc, s74, v23
	v_addc_co_u32_e32 v24, vcc, v96, v24, vcc
	s_waitcnt lgkmcnt(0)
	global_store_dwordx2 v[23:24], v[21:22], off
	s_or_b64 exec, exec, s[36:37]
	s_and_saveexec_b64 s[36:37], s[40:41]
	s_cbranch_execz .LBB1980_312
.LBB1980_344:                           ;   in Loop: Header=BB1980_236 Depth=2
	v_lshlrev_b32_e32 v21, 2, v92
	ds_read_b32 v23, v21
	v_add_u32_e32 v21, v47, v48
	ds_read_b64 v[21:22], v21 offset:7168
	v_mov_b32_e32 v24, v3
	v_mov_b32_e32 v96, s75
	s_waitcnt lgkmcnt(1)
	v_add_u32_e32 v23, v23, v28
	v_lshlrev_b64 v[23:24], 3, v[23:24]
	v_add_co_u32_e32 v23, vcc, s74, v23
	v_addc_co_u32_e32 v24, vcc, v96, v24, vcc
	s_waitcnt lgkmcnt(0)
	global_store_dwordx2 v[23:24], v[21:22], off
	s_or_b64 exec, exec, s[36:37]
	s_and_saveexec_b64 s[36:37], s[42:43]
	s_cbranch_execz .LBB1980_313
.LBB1980_345:                           ;   in Loop: Header=BB1980_236 Depth=2
	v_lshlrev_b32_e32 v21, 2, v90
	ds_read_b32 v23, v21
	v_add_u32_e32 v21, v47, v48
	ds_read_b64 v[21:22], v21 offset:9216
	v_mov_b32_e32 v24, v3
	v_mov_b32_e32 v96, s75
	s_waitcnt lgkmcnt(1)
	v_add_u32_e32 v23, v23, v31
	v_lshlrev_b64 v[23:24], 3, v[23:24]
	v_add_co_u32_e32 v23, vcc, s74, v23
	v_addc_co_u32_e32 v24, vcc, v96, v24, vcc
	s_waitcnt lgkmcnt(0)
	global_store_dwordx2 v[23:24], v[21:22], off
	s_or_b64 exec, exec, s[36:37]
	s_and_saveexec_b64 s[36:37], s[44:45]
	s_cbranch_execz .LBB1980_314
.LBB1980_346:                           ;   in Loop: Header=BB1980_236 Depth=2
	v_lshlrev_b32_e32 v21, 2, v89
	ds_read_b32 v23, v21
	v_add_u32_e32 v21, v47, v48
	ds_read_b64 v[21:22], v21 offset:11264
	v_mov_b32_e32 v24, v3
	v_mov_b32_e32 v96, s75
	s_waitcnt lgkmcnt(1)
	v_add_u32_e32 v23, v23, v32
	v_lshlrev_b64 v[23:24], 3, v[23:24]
	v_add_co_u32_e32 v23, vcc, s74, v23
	v_addc_co_u32_e32 v24, vcc, v96, v24, vcc
	s_waitcnt lgkmcnt(0)
	global_store_dwordx2 v[23:24], v[21:22], off
	s_or_b64 exec, exec, s[36:37]
	s_and_saveexec_b64 s[36:37], s[46:47]
	s_cbranch_execz .LBB1980_315
.LBB1980_347:                           ;   in Loop: Header=BB1980_236 Depth=2
	v_lshlrev_b32_e32 v21, 2, v88
	ds_read_b32 v23, v21
	v_add_u32_e32 v21, v47, v48
	ds_read_b64 v[21:22], v21 offset:13312
	v_mov_b32_e32 v24, v3
	v_mov_b32_e32 v96, s75
	s_waitcnt lgkmcnt(1)
	v_add_u32_e32 v23, v23, v33
	v_lshlrev_b64 v[23:24], 3, v[23:24]
	v_add_co_u32_e32 v23, vcc, s74, v23
	v_addc_co_u32_e32 v24, vcc, v96, v24, vcc
	s_waitcnt lgkmcnt(0)
	global_store_dwordx2 v[23:24], v[21:22], off
	s_or_b64 exec, exec, s[36:37]
	s_and_saveexec_b64 s[36:37], s[48:49]
	s_cbranch_execnz .LBB1980_316
	s_branch .LBB1980_317
.LBB1980_348:                           ;   in Loop: Header=BB1980_20 Depth=1
	s_waitcnt lgkmcnt(0)
	s_barrier
.LBB1980_349:                           ;   in Loop: Header=BB1980_20 Depth=1
	s_mov_b64 s[16:17], 0
.LBB1980_350:                           ;   in Loop: Header=BB1980_20 Depth=1
	s_andn2_b64 vcc, exec, s[16:17]
	s_cbranch_vccnz .LBB1980_19
; %bb.351:                              ;   in Loop: Header=BB1980_20 Depth=1
	s_mov_b64 s[16:17], -1
	s_and_b64 vcc, exec, s[54:55]
	s_cbranch_vccz .LBB1980_515
; %bb.352:                              ;   in Loop: Header=BB1980_20 Depth=1
	s_mov_b32 s20, s79
	s_mov_b32 s58, s51
	s_barrier
                                        ; implicit-def: $vgpr4
                                        ; implicit-def: $vgpr5
                                        ; implicit-def: $vgpr6
                                        ; implicit-def: $vgpr7
                                        ; implicit-def: $vgpr8
                                        ; implicit-def: $vgpr9
                                        ; implicit-def: $vgpr10
                                        ; implicit-def: $vgpr11
	s_branch .LBB1980_354
.LBB1980_353:                           ;   in Loop: Header=BB1980_354 Depth=2
	s_or_b64 exec, exec, s[16:17]
	s_addk_i32 s20, 0xf800
	s_cmp_ge_u32 s21, s80
	s_mov_b32 s58, s21
	s_cbranch_scc1 .LBB1980_390
.LBB1980_354:                           ;   Parent Loop BB1980_20 Depth=1
                                        ; =>  This Inner Loop Header: Depth=2
	s_add_i32 s21, s58, 0x800
	s_cmp_gt_u32 s21, s80
	s_mov_b64 s[16:17], -1
                                        ; implicit-def: $vgpr12
                                        ; implicit-def: $vgpr13
                                        ; implicit-def: $vgpr14
                                        ; implicit-def: $vgpr15
                                        ; implicit-def: $vgpr16
                                        ; implicit-def: $vgpr17
                                        ; implicit-def: $vgpr18
                                        ; implicit-def: $vgpr19
	s_cbranch_scc1 .LBB1980_356
; %bb.355:                              ;   in Loop: Header=BB1980_354 Depth=2
	s_lshl_b64 s[16:17], s[58:59], 1
	v_mov_b32_e32 v12, s17
	v_add_co_u32_e32 v20, vcc, s16, v55
	v_addc_co_u32_e32 v21, vcc, v56, v12, vcc
	global_load_ushort v12, v[20:21], off
	global_load_ushort v13, v[20:21], off offset:512
	global_load_ushort v14, v[20:21], off offset:1024
	;; [unrolled: 1-line block ×7, first 2 shown]
	s_mov_b64 s[16:17], 0
.LBB1980_356:                           ;   in Loop: Header=BB1980_354 Depth=2
	s_andn2_b64 vcc, exec, s[16:17]
	s_movk_i32 s18, 0x800
	s_cbranch_vccnz .LBB1980_367
; %bb.357:                              ;   in Loop: Header=BB1980_354 Depth=2
	s_lshl_b64 s[16:17], s[58:59], 1
	s_add_u32 s16, s64, s16
	s_addc_u32 s17, s65, s17
	v_cmp_gt_u32_e32 vcc, s20, v0
	s_and_saveexec_b64 s[18:19], vcc
	s_cbranch_execnz .LBB1980_383
; %bb.358:                              ;   in Loop: Header=BB1980_354 Depth=2
	s_or_b64 exec, exec, s[18:19]
	v_cmp_gt_u32_e32 vcc, s20, v26
	s_and_saveexec_b64 s[18:19], vcc
	s_cbranch_execnz .LBB1980_384
.LBB1980_359:                           ;   in Loop: Header=BB1980_354 Depth=2
	s_or_b64 exec, exec, s[18:19]
	v_cmp_gt_u32_e32 vcc, s20, v27
	s_and_saveexec_b64 s[18:19], vcc
	s_cbranch_execnz .LBB1980_385
.LBB1980_360:                           ;   in Loop: Header=BB1980_354 Depth=2
	s_or_b64 exec, exec, s[18:19]
	v_cmp_gt_u32_e32 vcc, s20, v28
	s_and_saveexec_b64 s[18:19], vcc
	s_cbranch_execnz .LBB1980_386
.LBB1980_361:                           ;   in Loop: Header=BB1980_354 Depth=2
	s_or_b64 exec, exec, s[18:19]
	v_cmp_gt_u32_e32 vcc, s20, v31
	s_and_saveexec_b64 s[18:19], vcc
	s_cbranch_execnz .LBB1980_387
.LBB1980_362:                           ;   in Loop: Header=BB1980_354 Depth=2
	s_or_b64 exec, exec, s[18:19]
	v_cmp_gt_u32_e32 vcc, s20, v32
	s_and_saveexec_b64 s[18:19], vcc
	s_cbranch_execnz .LBB1980_388
.LBB1980_363:                           ;   in Loop: Header=BB1980_354 Depth=2
	s_or_b64 exec, exec, s[18:19]
	v_cmp_gt_u32_e32 vcc, s20, v33
	s_and_saveexec_b64 s[18:19], vcc
	s_cbranch_execnz .LBB1980_389
.LBB1980_364:                           ;   in Loop: Header=BB1980_354 Depth=2
	s_or_b64 exec, exec, s[18:19]
	v_cmp_gt_u32_e32 vcc, s20, v34
	s_and_saveexec_b64 s[18:19], vcc
	s_cbranch_execz .LBB1980_366
.LBB1980_365:                           ;   in Loop: Header=BB1980_354 Depth=2
	global_load_ushort v4, v64, s[16:17] offset:3584
.LBB1980_366:                           ;   in Loop: Header=BB1980_354 Depth=2
	s_or_b64 exec, exec, s[18:19]
	s_mov_b32 s18, s20
	s_waitcnt vmcnt(0)
	v_mov_b32_e32 v12, v11
	v_mov_b32_e32 v13, v10
	;; [unrolled: 1-line block ×8, first 2 shown]
.LBB1980_367:                           ;   in Loop: Header=BB1980_354 Depth=2
	s_waitcnt vmcnt(0)
	v_mov_b32_e32 v4, v19
	v_mov_b32_e32 v5, v18
	;; [unrolled: 1-line block ×8, first 2 shown]
	v_cmp_gt_u32_e32 vcc, s18, v0
	s_and_saveexec_b64 s[16:17], vcc
	s_cbranch_execnz .LBB1980_375
; %bb.368:                              ;   in Loop: Header=BB1980_354 Depth=2
	s_or_b64 exec, exec, s[16:17]
	v_cmp_gt_u32_e32 vcc, s18, v26
	s_and_saveexec_b64 s[16:17], vcc
	s_cbranch_execnz .LBB1980_376
.LBB1980_369:                           ;   in Loop: Header=BB1980_354 Depth=2
	s_or_b64 exec, exec, s[16:17]
	v_cmp_gt_u32_e32 vcc, s18, v27
	s_and_saveexec_b64 s[16:17], vcc
	s_cbranch_execnz .LBB1980_377
.LBB1980_370:                           ;   in Loop: Header=BB1980_354 Depth=2
	s_or_b64 exec, exec, s[16:17]
	v_cmp_gt_u32_e32 vcc, s18, v28
	s_and_saveexec_b64 s[16:17], vcc
	s_cbranch_execnz .LBB1980_378
.LBB1980_371:                           ;   in Loop: Header=BB1980_354 Depth=2
	s_or_b64 exec, exec, s[16:17]
	v_cmp_gt_u32_e32 vcc, s18, v31
	s_and_saveexec_b64 s[16:17], vcc
	s_cbranch_execnz .LBB1980_379
.LBB1980_372:                           ;   in Loop: Header=BB1980_354 Depth=2
	s_or_b64 exec, exec, s[16:17]
	v_cmp_gt_u32_e32 vcc, s18, v32
	s_and_saveexec_b64 s[16:17], vcc
	s_cbranch_execnz .LBB1980_380
.LBB1980_373:                           ;   in Loop: Header=BB1980_354 Depth=2
	s_or_b64 exec, exec, s[16:17]
	v_cmp_gt_u32_e32 vcc, s18, v33
	s_and_saveexec_b64 s[16:17], vcc
	s_cbranch_execnz .LBB1980_381
.LBB1980_374:                           ;   in Loop: Header=BB1980_354 Depth=2
	s_or_b64 exec, exec, s[16:17]
	v_cmp_gt_u32_e32 vcc, s18, v34
	s_and_saveexec_b64 s[16:17], vcc
	s_cbranch_execz .LBB1980_353
	s_branch .LBB1980_382
.LBB1980_375:                           ;   in Loop: Header=BB1980_354 Depth=2
	v_cmp_gt_i16_e32 vcc, 0, v11
	v_cndmask_b32_e64 v12, v65, 0, vcc
	v_xor_b32_e32 v12, v12, v11
	v_cmp_ne_u16_e32 vcc, s62, v12
	v_cndmask_b32_e32 v12, v65, v12, vcc
	v_lshrrev_b32_sdwa v12, s77, v12 dst_sel:DWORD dst_unused:UNUSED_PAD src0_sel:DWORD src1_sel:WORD_0
	v_and_b32_e32 v12, s70, v12
	v_lshl_or_b32 v12, v12, 4, v35
	ds_add_u32 v12, v61
	s_or_b64 exec, exec, s[16:17]
	v_cmp_gt_u32_e32 vcc, s18, v26
	s_and_saveexec_b64 s[16:17], vcc
	s_cbranch_execz .LBB1980_369
.LBB1980_376:                           ;   in Loop: Header=BB1980_354 Depth=2
	v_cmp_gt_i16_e32 vcc, 0, v10
	v_cndmask_b32_e64 v12, v65, 0, vcc
	v_xor_b32_e32 v12, v12, v10
	v_cmp_ne_u16_e32 vcc, s62, v12
	v_cndmask_b32_e32 v12, v65, v12, vcc
	v_lshrrev_b32_sdwa v12, s77, v12 dst_sel:DWORD dst_unused:UNUSED_PAD src0_sel:DWORD src1_sel:WORD_0
	v_and_b32_e32 v12, s70, v12
	v_lshl_or_b32 v12, v12, 4, v35
	ds_add_u32 v12, v61
	s_or_b64 exec, exec, s[16:17]
	v_cmp_gt_u32_e32 vcc, s18, v27
	s_and_saveexec_b64 s[16:17], vcc
	s_cbranch_execz .LBB1980_370
.LBB1980_377:                           ;   in Loop: Header=BB1980_354 Depth=2
	v_cmp_gt_i16_e32 vcc, 0, v9
	v_cndmask_b32_e64 v12, v65, 0, vcc
	v_xor_b32_e32 v12, v12, v9
	v_cmp_ne_u16_e32 vcc, s62, v12
	v_cndmask_b32_e32 v12, v65, v12, vcc
	v_lshrrev_b32_sdwa v12, s77, v12 dst_sel:DWORD dst_unused:UNUSED_PAD src0_sel:DWORD src1_sel:WORD_0
	v_and_b32_e32 v12, s70, v12
	v_lshl_or_b32 v12, v12, 4, v35
	ds_add_u32 v12, v61
	s_or_b64 exec, exec, s[16:17]
	v_cmp_gt_u32_e32 vcc, s18, v28
	s_and_saveexec_b64 s[16:17], vcc
	s_cbranch_execz .LBB1980_371
.LBB1980_378:                           ;   in Loop: Header=BB1980_354 Depth=2
	v_cmp_gt_i16_e32 vcc, 0, v8
	v_cndmask_b32_e64 v12, v65, 0, vcc
	v_xor_b32_e32 v12, v12, v8
	v_cmp_ne_u16_e32 vcc, s62, v12
	v_cndmask_b32_e32 v12, v65, v12, vcc
	v_lshrrev_b32_sdwa v12, s77, v12 dst_sel:DWORD dst_unused:UNUSED_PAD src0_sel:DWORD src1_sel:WORD_0
	v_and_b32_e32 v12, s70, v12
	v_lshl_or_b32 v12, v12, 4, v35
	ds_add_u32 v12, v61
	s_or_b64 exec, exec, s[16:17]
	v_cmp_gt_u32_e32 vcc, s18, v31
	s_and_saveexec_b64 s[16:17], vcc
	s_cbranch_execz .LBB1980_372
.LBB1980_379:                           ;   in Loop: Header=BB1980_354 Depth=2
	v_cmp_gt_i16_e32 vcc, 0, v7
	v_cndmask_b32_e64 v12, v65, 0, vcc
	v_xor_b32_e32 v12, v12, v7
	v_cmp_ne_u16_e32 vcc, s62, v12
	v_cndmask_b32_e32 v12, v65, v12, vcc
	v_lshrrev_b32_sdwa v12, s77, v12 dst_sel:DWORD dst_unused:UNUSED_PAD src0_sel:DWORD src1_sel:WORD_0
	v_and_b32_e32 v12, s70, v12
	v_lshl_or_b32 v12, v12, 4, v35
	ds_add_u32 v12, v61
	s_or_b64 exec, exec, s[16:17]
	v_cmp_gt_u32_e32 vcc, s18, v32
	s_and_saveexec_b64 s[16:17], vcc
	s_cbranch_execz .LBB1980_373
.LBB1980_380:                           ;   in Loop: Header=BB1980_354 Depth=2
	v_cmp_gt_i16_e32 vcc, 0, v6
	v_cndmask_b32_e64 v12, v65, 0, vcc
	v_xor_b32_e32 v12, v12, v6
	v_cmp_ne_u16_e32 vcc, s62, v12
	v_cndmask_b32_e32 v12, v65, v12, vcc
	v_lshrrev_b32_sdwa v12, s77, v12 dst_sel:DWORD dst_unused:UNUSED_PAD src0_sel:DWORD src1_sel:WORD_0
	v_and_b32_e32 v12, s70, v12
	v_lshl_or_b32 v12, v12, 4, v35
	ds_add_u32 v12, v61
	s_or_b64 exec, exec, s[16:17]
	v_cmp_gt_u32_e32 vcc, s18, v33
	s_and_saveexec_b64 s[16:17], vcc
	s_cbranch_execz .LBB1980_374
.LBB1980_381:                           ;   in Loop: Header=BB1980_354 Depth=2
	v_cmp_gt_i16_e32 vcc, 0, v5
	v_cndmask_b32_e64 v12, v65, 0, vcc
	v_xor_b32_e32 v12, v12, v5
	v_cmp_ne_u16_e32 vcc, s62, v12
	v_cndmask_b32_e32 v12, v65, v12, vcc
	v_lshrrev_b32_sdwa v12, s77, v12 dst_sel:DWORD dst_unused:UNUSED_PAD src0_sel:DWORD src1_sel:WORD_0
	v_and_b32_e32 v12, s70, v12
	v_lshl_or_b32 v12, v12, 4, v35
	ds_add_u32 v12, v61
	s_or_b64 exec, exec, s[16:17]
	v_cmp_gt_u32_e32 vcc, s18, v34
	s_and_saveexec_b64 s[16:17], vcc
	s_cbranch_execz .LBB1980_353
.LBB1980_382:                           ;   in Loop: Header=BB1980_354 Depth=2
	v_cmp_gt_i16_e32 vcc, 0, v4
	v_cndmask_b32_e64 v12, v65, 0, vcc
	v_xor_b32_e32 v12, v12, v4
	v_cmp_ne_u16_e32 vcc, s62, v12
	v_cndmask_b32_e32 v12, v65, v12, vcc
	v_lshrrev_b32_sdwa v12, s77, v12 dst_sel:DWORD dst_unused:UNUSED_PAD src0_sel:DWORD src1_sel:WORD_0
	v_and_b32_e32 v12, s70, v12
	v_lshl_or_b32 v12, v12, 4, v35
	ds_add_u32 v12, v61
	s_branch .LBB1980_353
.LBB1980_383:                           ;   in Loop: Header=BB1980_354 Depth=2
	global_load_ushort v11, v64, s[16:17]
	s_or_b64 exec, exec, s[18:19]
	v_cmp_gt_u32_e32 vcc, s20, v26
	s_and_saveexec_b64 s[18:19], vcc
	s_cbranch_execz .LBB1980_359
.LBB1980_384:                           ;   in Loop: Header=BB1980_354 Depth=2
	global_load_ushort v10, v64, s[16:17] offset:512
	s_or_b64 exec, exec, s[18:19]
	v_cmp_gt_u32_e32 vcc, s20, v27
	s_and_saveexec_b64 s[18:19], vcc
	s_cbranch_execz .LBB1980_360
.LBB1980_385:                           ;   in Loop: Header=BB1980_354 Depth=2
	global_load_ushort v9, v64, s[16:17] offset:1024
	s_or_b64 exec, exec, s[18:19]
	v_cmp_gt_u32_e32 vcc, s20, v28
	s_and_saveexec_b64 s[18:19], vcc
	s_cbranch_execz .LBB1980_361
.LBB1980_386:                           ;   in Loop: Header=BB1980_354 Depth=2
	global_load_ushort v8, v64, s[16:17] offset:1536
	s_or_b64 exec, exec, s[18:19]
	v_cmp_gt_u32_e32 vcc, s20, v31
	s_and_saveexec_b64 s[18:19], vcc
	s_cbranch_execz .LBB1980_362
.LBB1980_387:                           ;   in Loop: Header=BB1980_354 Depth=2
	global_load_ushort v7, v64, s[16:17] offset:2048
	s_or_b64 exec, exec, s[18:19]
	v_cmp_gt_u32_e32 vcc, s20, v32
	s_and_saveexec_b64 s[18:19], vcc
	s_cbranch_execz .LBB1980_363
.LBB1980_388:                           ;   in Loop: Header=BB1980_354 Depth=2
	global_load_ushort v6, v64, s[16:17] offset:2560
	s_or_b64 exec, exec, s[18:19]
	v_cmp_gt_u32_e32 vcc, s20, v33
	s_and_saveexec_b64 s[18:19], vcc
	s_cbranch_execz .LBB1980_364
.LBB1980_389:                           ;   in Loop: Header=BB1980_354 Depth=2
	global_load_ushort v5, v64, s[16:17] offset:3072
	s_or_b64 exec, exec, s[18:19]
	v_cmp_gt_u32_e32 vcc, s20, v34
	s_and_saveexec_b64 s[18:19], vcc
	s_cbranch_execnz .LBB1980_365
	s_branch .LBB1980_366
.LBB1980_390:                           ;   in Loop: Header=BB1980_20 Depth=1
	v_mov_b32_e32 v4, 0
	s_waitcnt lgkmcnt(0)
	s_barrier
	s_and_saveexec_b64 s[16:17], s[4:5]
	s_cbranch_execz .LBB1980_392
; %bb.391:                              ;   in Loop: Header=BB1980_20 Depth=1
	ds_read2_b64 v[4:7], v36 offset1:1
	s_waitcnt lgkmcnt(0)
	v_add_u32_e32 v4, v5, v4
	v_add3_u32 v4, v4, v6, v7
.LBB1980_392:                           ;   in Loop: Header=BB1980_20 Depth=1
	s_or_b64 exec, exec, s[16:17]
	s_nop 0
	v_mov_b32_dpp v5, v4 row_shr:1 row_mask:0xf bank_mask:0xf
	v_cmp_eq_u32_e64 s[16:17], 0, v67
	v_cndmask_b32_e64 v5, v5, 0, s[16:17]
	v_add_u32_e32 v4, v5, v4
	v_cmp_lt_u32_e64 s[18:19], 1, v67
	v_cmp_lt_u32_e64 s[20:21], 3, v67
	v_mov_b32_dpp v5, v4 row_shr:2 row_mask:0xf bank_mask:0xf
	v_cndmask_b32_e64 v5, 0, v5, s[18:19]
	v_add_u32_e32 v4, v4, v5
	v_cmp_lt_u32_e64 s[22:23], 7, v67
	v_cmp_lt_u32_e64 s[26:27], 31, v66
	v_mov_b32_dpp v5, v4 row_shr:4 row_mask:0xf bank_mask:0xf
	v_cndmask_b32_e64 v5, 0, v5, s[20:21]
	v_add_u32_e32 v4, v4, v5
	v_cmp_eq_u32_e64 s[24:25], 0, v69
	s_nop 0
	v_mov_b32_dpp v5, v4 row_shr:8 row_mask:0xf bank_mask:0xf
	v_cndmask_b32_e64 v5, 0, v5, s[22:23]
	v_add_u32_e32 v4, v4, v5
	s_nop 1
	v_mov_b32_dpp v5, v4 row_bcast:15 row_mask:0xf bank_mask:0xf
	v_and_b32_e32 v5, v68, v5
	v_add_u32_e32 v4, v4, v5
	s_nop 1
	v_mov_b32_dpp v5, v4 row_bcast:31 row_mask:0xf bank_mask:0xf
	v_cndmask_b32_e64 v5, 0, v5, s[26:27]
	v_add_u32_e32 v4, v4, v5
	s_and_saveexec_b64 s[28:29], s[6:7]
; %bb.393:                              ;   in Loop: Header=BB1980_20 Depth=1
	ds_write_b32 v38, v4
; %bb.394:                              ;   in Loop: Header=BB1980_20 Depth=1
	s_or_b64 exec, exec, s[28:29]
	s_waitcnt lgkmcnt(0)
	s_barrier
	s_and_saveexec_b64 s[28:29], s[8:9]
	s_cbranch_execz .LBB1980_396
; %bb.395:                              ;   in Loop: Header=BB1980_20 Depth=1
	ds_read_b32 v5, v39
	v_cmp_ne_u32_e32 vcc, 0, v70
	s_waitcnt lgkmcnt(0)
	v_mov_b32_dpp v6, v5 row_shr:1 row_mask:0xf bank_mask:0xf
	v_cndmask_b32_e32 v6, 0, v6, vcc
	v_add_u32_e32 v5, v6, v5
	v_cmp_lt_u32_e32 vcc, 1, v70
	s_nop 0
	v_mov_b32_dpp v6, v5 row_shr:2 row_mask:0xf bank_mask:0xf
	v_cndmask_b32_e32 v6, 0, v6, vcc
	v_add_u32_e32 v5, v5, v6
	ds_write_b32 v39, v5
.LBB1980_396:                           ;   in Loop: Header=BB1980_20 Depth=1
	s_or_b64 exec, exec, s[28:29]
	v_mov_b32_e32 v5, 0
	s_waitcnt lgkmcnt(0)
	s_barrier
	s_and_saveexec_b64 s[28:29], s[10:11]
; %bb.397:                              ;   in Loop: Header=BB1980_20 Depth=1
	ds_read_b32 v5, v40
; %bb.398:                              ;   in Loop: Header=BB1980_20 Depth=1
	s_or_b64 exec, exec, s[28:29]
	v_subrev_co_u32_e64 v6, s[28:29], 1, v66
	v_cmp_lt_i32_e32 vcc, v6, v71
	v_cndmask_b32_e32 v6, v6, v66, vcc
	s_waitcnt lgkmcnt(0)
	v_add_u32_e32 v4, v5, v4
	v_lshlrev_b32_e32 v82, 2, v6
	ds_bpermute_b32 v4, v82, v4
	s_waitcnt lgkmcnt(0)
	s_barrier
	s_and_saveexec_b64 s[30:31], s[4:5]
; %bb.399:                              ;   in Loop: Header=BB1980_20 Depth=1
	v_cndmask_b32_e64 v4, v4, v5, s[28:29]
	v_add_u32_e32 v4, s51, v4
	ds_write_b32 v25, v4
; %bb.400:                              ;   in Loop: Header=BB1980_20 Depth=1
	s_or_b64 exec, exec, s[30:31]
	s_load_dwordx2 s[30:31], s[56:57], 0x0
	v_add_co_u32_e32 v83, vcc, v57, v72
	v_addc_co_u32_e32 v84, vcc, 0, v58, vcc
	s_waitcnt lgkmcnt(0)
	s_cmp_lt_u32 s33, s31
	s_cselect_b32 s31, 14, 20
	s_add_u32 s34, s56, s31
	s_addc_u32 s35, s57, 0
	s_cmp_lt_u32 s50, s30
	s_cselect_b32 s30, 12, 18
	s_add_u32 s30, s56, s30
	global_load_ushort v4, v3, s[34:35]
	s_addc_u32 s31, s57, 0
	global_load_ushort v5, v3, s[30:31]
	v_add_co_u32_e32 v85, vcc, v59, v81
	v_cmp_eq_u32_e64 s[30:31], 0, v70
	v_cmp_lt_u32_e64 s[34:35], 1, v70
	v_addc_co_u32_e32 v86, vcc, 0, v60, vcc
	s_mov_b32 s71, s79
	s_mov_b32 s58, s51
                                        ; implicit-def: $vgpr7_vgpr8
                                        ; implicit-def: $vgpr9_vgpr10
                                        ; implicit-def: $vgpr11_vgpr12
                                        ; implicit-def: $vgpr13_vgpr14
                                        ; implicit-def: $vgpr15_vgpr16
                                        ; implicit-def: $vgpr17_vgpr18
                                        ; implicit-def: $vgpr19_vgpr20
                                        ; implicit-def: $vgpr87
                                        ; implicit-def: $vgpr88
                                        ; implicit-def: $vgpr89
                                        ; implicit-def: $vgpr90
                                        ; implicit-def: $vgpr92
                                        ; implicit-def: $vgpr93
                                        ; implicit-def: $vgpr94
                                        ; implicit-def: $vgpr95
	s_waitcnt vmcnt(1)
	v_mad_u32_u24 v4, v2, v4, v1
	s_waitcnt vmcnt(0)
	v_mad_u64_u32 v[4:5], s[36:37], v4, v5, v[0:1]
                                        ; implicit-def: $vgpr5_vgpr6
	v_lshrrev_b32_e32 v4, 4, v4
	v_and_b32_e32 v91, 0xffffffc, v4
	s_branch .LBB1980_402
.LBB1980_401:                           ;   in Loop: Header=BB1980_402 Depth=2
	s_or_b64 exec, exec, s[36:37]
	s_addk_i32 s71, 0xf800
	s_cmp_lt_u32 s76, s80
	s_mov_b32 s58, s76
	s_cbranch_scc0 .LBB1980_514
.LBB1980_402:                           ;   Parent Loop BB1980_20 Depth=1
                                        ; =>  This Inner Loop Header: Depth=2
	s_add_i32 s76, s58, 0x800
	s_cmp_gt_u32 s76, s80
	s_cbranch_scc1 .LBB1980_404
; %bb.403:                              ;   in Loop: Header=BB1980_402 Depth=2
	s_lshl_b64 s[36:37], s[58:59], 1
	v_mov_b32_e32 v4, s37
	v_add_co_u32_e32 v21, vcc, s36, v85
	v_addc_co_u32_e32 v22, vcc, v86, v4, vcc
	global_load_ushort v4, v[21:22], off
	global_load_ushort v99, v[21:22], off offset:128
	global_load_ushort v103, v[21:22], off offset:256
	;; [unrolled: 1-line block ×6, first 2 shown]
	s_mov_b64 s[36:37], -1
	s_movk_i32 s40, 0x800
	s_cbranch_execz .LBB1980_405
	s_branch .LBB1980_420
.LBB1980_404:                           ;   in Loop: Header=BB1980_402 Depth=2
	s_mov_b64 s[36:37], 0
                                        ; implicit-def: $vgpr4
                                        ; implicit-def: $vgpr99
                                        ; implicit-def: $vgpr103
                                        ; implicit-def: $vgpr107
                                        ; implicit-def: $vgpr112
                                        ; implicit-def: $vgpr108
                                        ; implicit-def: $vgpr24
	s_movk_i32 s40, 0x800
.LBB1980_405:                           ;   in Loop: Header=BB1980_402 Depth=2
	s_lshl_b64 s[36:37], s[58:59], 1
	s_waitcnt vmcnt(6)
	v_mov_b32_e32 v4, s37
	v_add_co_u32_e32 v21, vcc, s36, v85
	v_addc_co_u32_e32 v22, vcc, v86, v4, vcc
	v_cmp_gt_u32_e32 vcc, s71, v73
	s_waitcnt vmcnt(5)
	v_mov_b32_e32 v99, -1
	v_mov_b32_e32 v4, -1
	s_and_saveexec_b64 s[36:37], vcc
	s_cbranch_execz .LBB1980_407
; %bb.406:                              ;   in Loop: Header=BB1980_402 Depth=2
	global_load_ushort v4, v[21:22], off
.LBB1980_407:                           ;   in Loop: Header=BB1980_402 Depth=2
	s_or_b64 exec, exec, s[36:37]
	v_cmp_gt_u32_e32 vcc, s71, v74
	s_and_saveexec_b64 s[36:37], vcc
	s_cbranch_execz .LBB1980_409
; %bb.408:                              ;   in Loop: Header=BB1980_402 Depth=2
	global_load_ushort v99, v[21:22], off offset:128
.LBB1980_409:                           ;   in Loop: Header=BB1980_402 Depth=2
	s_or_b64 exec, exec, s[36:37]
	v_cmp_gt_u32_e32 vcc, s71, v75
	s_waitcnt vmcnt(3)
	v_mov_b32_e32 v107, -1
	v_mov_b32_e32 v103, -1
	s_and_saveexec_b64 s[36:37], vcc
	s_cbranch_execz .LBB1980_411
; %bb.410:                              ;   in Loop: Header=BB1980_402 Depth=2
	global_load_ushort v103, v[21:22], off offset:256
.LBB1980_411:                           ;   in Loop: Header=BB1980_402 Depth=2
	s_or_b64 exec, exec, s[36:37]
	v_cmp_gt_u32_e32 vcc, s71, v76
	s_and_saveexec_b64 s[36:37], vcc
	s_cbranch_execz .LBB1980_413
; %bb.412:                              ;   in Loop: Header=BB1980_402 Depth=2
	global_load_ushort v107, v[21:22], off offset:384
.LBB1980_413:                           ;   in Loop: Header=BB1980_402 Depth=2
	s_or_b64 exec, exec, s[36:37]
	v_cmp_gt_u32_e32 vcc, s71, v77
	s_waitcnt vmcnt(1)
	v_mov_b32_e32 v108, -1
	v_mov_b32_e32 v112, -1
	s_and_saveexec_b64 s[36:37], vcc
	s_cbranch_execz .LBB1980_415
; %bb.414:                              ;   in Loop: Header=BB1980_402 Depth=2
	global_load_ushort v112, v[21:22], off offset:512
.LBB1980_415:                           ;   in Loop: Header=BB1980_402 Depth=2
	s_or_b64 exec, exec, s[36:37]
	v_cmp_gt_u32_e32 vcc, s71, v78
	s_and_saveexec_b64 s[36:37], vcc
	s_cbranch_execz .LBB1980_417
; %bb.416:                              ;   in Loop: Header=BB1980_402 Depth=2
	global_load_ushort v108, v[21:22], off offset:640
.LBB1980_417:                           ;   in Loop: Header=BB1980_402 Depth=2
	s_or_b64 exec, exec, s[36:37]
	v_cmp_gt_u32_e32 vcc, s71, v79
	s_waitcnt vmcnt(0)
	v_mov_b32_e32 v24, -1
	s_and_saveexec_b64 s[36:37], vcc
	s_cbranch_execz .LBB1980_419
; %bb.418:                              ;   in Loop: Header=BB1980_402 Depth=2
	global_load_ushort v24, v[21:22], off offset:768
.LBB1980_419:                           ;   in Loop: Header=BB1980_402 Depth=2
	s_or_b64 exec, exec, s[36:37]
	s_sub_i32 s40, s80, s58
	v_cmp_gt_u32_e64 s[36:37], s71, v80
.LBB1980_420:                           ;   in Loop: Header=BB1980_402 Depth=2
	v_mov_b32_e32 v23, -1
	v_mov_b32_e32 v96, s71
	s_and_saveexec_b64 s[38:39], s[36:37]
	s_cbranch_execz .LBB1980_422
; %bb.421:                              ;   in Loop: Header=BB1980_402 Depth=2
	s_lshl_b64 s[36:37], s[58:59], 1
	v_mov_b32_e32 v22, s37
	v_add_co_u32_e32 v21, vcc, s36, v85
	v_addc_co_u32_e32 v22, vcc, v86, v22, vcc
	global_load_ushort v23, v[21:22], off offset:896
	v_mov_b32_e32 v96, s40
.LBB1980_422:                           ;   in Loop: Header=BB1980_402 Depth=2
	s_or_b64 exec, exec, s[38:39]
	s_waitcnt vmcnt(6)
	v_cmp_gt_i16_e32 vcc, 0, v4
	v_cndmask_b32_e64 v21, v65, 0, vcc
	v_xor_b32_e32 v97, v21, v4
	v_cmp_ne_u16_e32 vcc, s62, v97
	v_cndmask_b32_e32 v4, v65, v97, vcc
	v_lshrrev_b32_sdwa v4, s77, v4 dst_sel:DWORD dst_unused:UNUSED_PAD src0_sel:DWORD src1_sel:WORD_0
	v_and_b32_e32 v21, s70, v4
	v_and_b32_e32 v4, 1, v21
	v_add_co_u32_e32 v22, vcc, -1, v4
	v_addc_co_u32_e64 v98, s[36:37], 0, -1, vcc
	v_cmp_ne_u32_e32 vcc, 0, v4
	v_xor_b32_e32 v4, vcc_hi, v98
	v_and_b32_e32 v98, exec_hi, v4
	v_lshlrev_b32_e32 v4, 30, v21
	v_xor_b32_e32 v22, vcc_lo, v22
	v_cmp_gt_i64_e32 vcc, 0, v[3:4]
	v_not_b32_e32 v4, v4
	v_ashrrev_i32_e32 v4, 31, v4
	v_and_b32_e32 v22, exec_lo, v22
	v_xor_b32_e32 v101, vcc_hi, v4
	v_xor_b32_e32 v4, vcc_lo, v4
	v_and_b32_e32 v22, v22, v4
	v_lshlrev_b32_e32 v4, 29, v21
	v_cmp_gt_i64_e32 vcc, 0, v[3:4]
	v_not_b32_e32 v4, v4
	v_ashrrev_i32_e32 v4, 31, v4
	v_and_b32_e32 v98, v98, v101
	v_xor_b32_e32 v101, vcc_hi, v4
	v_xor_b32_e32 v4, vcc_lo, v4
	v_and_b32_e32 v22, v22, v4
	v_lshlrev_b32_e32 v4, 28, v21
	v_cmp_gt_i64_e32 vcc, 0, v[3:4]
	v_not_b32_e32 v4, v4
	v_ashrrev_i32_e32 v4, 31, v4
	v_and_b32_e32 v98, v98, v101
	;; [unrolled: 8-line block ×5, first 2 shown]
	v_xor_b32_e32 v101, vcc_hi, v4
	v_xor_b32_e32 v4, vcc_lo, v4
	v_and_b32_e32 v98, v98, v101
	v_and_b32_e32 v101, v22, v4
	v_lshlrev_b32_e32 v4, 24, v21
	v_cmp_gt_i64_e32 vcc, 0, v[3:4]
	v_not_b32_e32 v4, v4
	v_ashrrev_i32_e32 v4, 31, v4
	v_mul_u32_u24_e32 v100, 20, v21
	v_xor_b32_e32 v21, vcc_hi, v4
	v_xor_b32_e32 v4, vcc_lo, v4
	v_and_b32_e32 v22, v98, v21
	v_and_b32_e32 v21, v101, v4
	v_mbcnt_lo_u32_b32 v4, v21, 0
	v_mbcnt_hi_u32_b32 v98, v22, v4
	v_cmp_ne_u64_e32 vcc, 0, v[21:22]
	v_cmp_eq_u32_e64 s[36:37], 0, v98
	s_and_b64 s[38:39], vcc, s[36:37]
	v_add_u32_e32 v101, v91, v100
	ds_write2_b32 v62, v3, v3 offset1:1
	ds_write2_b32 v63, v3, v3 offset1:1
	ds_write_b32 v41, v3 offset:1056
	s_waitcnt vmcnt(0) lgkmcnt(0)
	s_barrier
	; wave barrier
	s_and_saveexec_b64 s[36:37], s[38:39]
; %bb.423:                              ;   in Loop: Header=BB1980_402 Depth=2
	v_bcnt_u32_b32 v4, v21, 0
	v_bcnt_u32_b32 v4, v22, v4
	ds_write_b32 v101, v4 offset:1040
; %bb.424:                              ;   in Loop: Header=BB1980_402 Depth=2
	s_or_b64 exec, exec, s[36:37]
	v_cmp_gt_i16_e32 vcc, 0, v99
	v_cndmask_b32_e64 v4, v65, 0, vcc
	v_xor_b32_e32 v99, v4, v99
	v_cmp_ne_u16_e32 vcc, s62, v99
	v_cndmask_b32_e32 v4, v65, v99, vcc
	v_lshrrev_b32_sdwa v4, s77, v4 dst_sel:DWORD dst_unused:UNUSED_PAD src0_sel:DWORD src1_sel:WORD_0
	v_and_b32_e32 v21, s70, v4
	v_mad_u32_u24 v4, v21, 20, v91
	; wave barrier
	ds_read_b32 v100, v4 offset:1040
	v_and_b32_e32 v4, 1, v21
	v_add_co_u32_e32 v22, vcc, -1, v4
	v_addc_co_u32_e64 v102, s[36:37], 0, -1, vcc
	v_cmp_ne_u32_e32 vcc, 0, v4
	v_xor_b32_e32 v4, vcc_hi, v102
	v_and_b32_e32 v102, exec_hi, v4
	v_lshlrev_b32_e32 v4, 30, v21
	v_xor_b32_e32 v22, vcc_lo, v22
	v_cmp_gt_i64_e32 vcc, 0, v[3:4]
	v_not_b32_e32 v4, v4
	v_ashrrev_i32_e32 v4, 31, v4
	v_and_b32_e32 v22, exec_lo, v22
	v_xor_b32_e32 v105, vcc_hi, v4
	v_xor_b32_e32 v4, vcc_lo, v4
	v_and_b32_e32 v22, v22, v4
	v_lshlrev_b32_e32 v4, 29, v21
	v_cmp_gt_i64_e32 vcc, 0, v[3:4]
	v_not_b32_e32 v4, v4
	v_ashrrev_i32_e32 v4, 31, v4
	v_and_b32_e32 v102, v102, v105
	v_xor_b32_e32 v105, vcc_hi, v4
	v_xor_b32_e32 v4, vcc_lo, v4
	v_and_b32_e32 v22, v22, v4
	v_lshlrev_b32_e32 v4, 28, v21
	v_cmp_gt_i64_e32 vcc, 0, v[3:4]
	v_not_b32_e32 v4, v4
	v_ashrrev_i32_e32 v4, 31, v4
	v_and_b32_e32 v102, v102, v105
	;; [unrolled: 8-line block ×5, first 2 shown]
	v_xor_b32_e32 v105, vcc_hi, v4
	v_xor_b32_e32 v4, vcc_lo, v4
	v_and_b32_e32 v102, v102, v105
	v_and_b32_e32 v105, v22, v4
	v_lshlrev_b32_e32 v4, 24, v21
	v_cmp_gt_i64_e32 vcc, 0, v[3:4]
	v_not_b32_e32 v4, v4
	v_ashrrev_i32_e32 v4, 31, v4
	v_mul_u32_u24_e32 v104, 20, v21
	v_xor_b32_e32 v21, vcc_hi, v4
	v_xor_b32_e32 v4, vcc_lo, v4
	v_and_b32_e32 v22, v102, v21
	v_and_b32_e32 v21, v105, v4
	v_mbcnt_lo_u32_b32 v4, v21, 0
	v_mbcnt_hi_u32_b32 v102, v22, v4
	v_cmp_ne_u64_e32 vcc, 0, v[21:22]
	v_cmp_eq_u32_e64 s[36:37], 0, v102
	s_and_b64 s[38:39], vcc, s[36:37]
	v_add_u32_e32 v105, v91, v104
	; wave barrier
	s_and_saveexec_b64 s[36:37], s[38:39]
	s_cbranch_execz .LBB1980_426
; %bb.425:                              ;   in Loop: Header=BB1980_402 Depth=2
	v_bcnt_u32_b32 v4, v21, 0
	v_bcnt_u32_b32 v4, v22, v4
	s_waitcnt lgkmcnt(0)
	v_add_u32_e32 v4, v100, v4
	ds_write_b32 v105, v4 offset:1040
.LBB1980_426:                           ;   in Loop: Header=BB1980_402 Depth=2
	s_or_b64 exec, exec, s[36:37]
	v_cmp_gt_i16_e32 vcc, 0, v103
	v_cndmask_b32_e64 v4, v65, 0, vcc
	v_xor_b32_e32 v103, v4, v103
	v_cmp_ne_u16_e32 vcc, s62, v103
	v_cndmask_b32_e32 v4, v65, v103, vcc
	v_lshrrev_b32_sdwa v4, s77, v4 dst_sel:DWORD dst_unused:UNUSED_PAD src0_sel:DWORD src1_sel:WORD_0
	v_and_b32_e32 v21, s70, v4
	v_mad_u32_u24 v4, v21, 20, v91
	; wave barrier
	ds_read_b32 v104, v4 offset:1040
	v_and_b32_e32 v4, 1, v21
	v_add_co_u32_e32 v22, vcc, -1, v4
	v_addc_co_u32_e64 v106, s[36:37], 0, -1, vcc
	v_cmp_ne_u32_e32 vcc, 0, v4
	v_xor_b32_e32 v4, vcc_hi, v106
	v_and_b32_e32 v106, exec_hi, v4
	v_lshlrev_b32_e32 v4, 30, v21
	v_xor_b32_e32 v22, vcc_lo, v22
	v_cmp_gt_i64_e32 vcc, 0, v[3:4]
	v_not_b32_e32 v4, v4
	v_ashrrev_i32_e32 v4, 31, v4
	v_and_b32_e32 v22, exec_lo, v22
	v_xor_b32_e32 v110, vcc_hi, v4
	v_xor_b32_e32 v4, vcc_lo, v4
	v_and_b32_e32 v22, v22, v4
	v_lshlrev_b32_e32 v4, 29, v21
	v_cmp_gt_i64_e32 vcc, 0, v[3:4]
	v_not_b32_e32 v4, v4
	v_ashrrev_i32_e32 v4, 31, v4
	v_and_b32_e32 v106, v106, v110
	v_xor_b32_e32 v110, vcc_hi, v4
	v_xor_b32_e32 v4, vcc_lo, v4
	v_and_b32_e32 v22, v22, v4
	v_lshlrev_b32_e32 v4, 28, v21
	v_cmp_gt_i64_e32 vcc, 0, v[3:4]
	v_not_b32_e32 v4, v4
	v_ashrrev_i32_e32 v4, 31, v4
	v_and_b32_e32 v106, v106, v110
	;; [unrolled: 8-line block ×5, first 2 shown]
	v_xor_b32_e32 v110, vcc_hi, v4
	v_xor_b32_e32 v4, vcc_lo, v4
	v_and_b32_e32 v106, v106, v110
	v_and_b32_e32 v110, v22, v4
	v_lshlrev_b32_e32 v4, 24, v21
	v_cmp_gt_i64_e32 vcc, 0, v[3:4]
	v_not_b32_e32 v4, v4
	v_ashrrev_i32_e32 v4, 31, v4
	v_mul_u32_u24_e32 v109, 20, v21
	v_xor_b32_e32 v21, vcc_hi, v4
	v_xor_b32_e32 v4, vcc_lo, v4
	v_and_b32_e32 v22, v106, v21
	v_and_b32_e32 v21, v110, v4
	v_mbcnt_lo_u32_b32 v4, v21, 0
	v_mbcnt_hi_u32_b32 v106, v22, v4
	v_cmp_ne_u64_e32 vcc, 0, v[21:22]
	v_cmp_eq_u32_e64 s[36:37], 0, v106
	s_and_b64 s[38:39], vcc, s[36:37]
	v_add_u32_e32 v110, v91, v109
	; wave barrier
	s_and_saveexec_b64 s[36:37], s[38:39]
	s_cbranch_execz .LBB1980_428
; %bb.427:                              ;   in Loop: Header=BB1980_402 Depth=2
	v_bcnt_u32_b32 v4, v21, 0
	v_bcnt_u32_b32 v4, v22, v4
	s_waitcnt lgkmcnt(0)
	v_add_u32_e32 v4, v104, v4
	ds_write_b32 v110, v4 offset:1040
.LBB1980_428:                           ;   in Loop: Header=BB1980_402 Depth=2
	s_or_b64 exec, exec, s[36:37]
	v_cmp_gt_i16_e32 vcc, 0, v107
	v_cndmask_b32_e64 v4, v65, 0, vcc
	v_xor_b32_e32 v107, v4, v107
	v_cmp_ne_u16_e32 vcc, s62, v107
	v_cndmask_b32_e32 v4, v65, v107, vcc
	v_lshrrev_b32_sdwa v4, s77, v4 dst_sel:DWORD dst_unused:UNUSED_PAD src0_sel:DWORD src1_sel:WORD_0
	v_and_b32_e32 v21, s70, v4
	v_mad_u32_u24 v4, v21, 20, v91
	; wave barrier
	ds_read_b32 v109, v4 offset:1040
	v_and_b32_e32 v4, 1, v21
	v_add_co_u32_e32 v22, vcc, -1, v4
	v_addc_co_u32_e64 v111, s[36:37], 0, -1, vcc
	v_cmp_ne_u32_e32 vcc, 0, v4
	v_xor_b32_e32 v4, vcc_hi, v111
	v_and_b32_e32 v111, exec_hi, v4
	v_lshlrev_b32_e32 v4, 30, v21
	v_xor_b32_e32 v22, vcc_lo, v22
	v_cmp_gt_i64_e32 vcc, 0, v[3:4]
	v_not_b32_e32 v4, v4
	v_ashrrev_i32_e32 v4, 31, v4
	v_and_b32_e32 v22, exec_lo, v22
	v_xor_b32_e32 v114, vcc_hi, v4
	v_xor_b32_e32 v4, vcc_lo, v4
	v_and_b32_e32 v22, v22, v4
	v_lshlrev_b32_e32 v4, 29, v21
	v_cmp_gt_i64_e32 vcc, 0, v[3:4]
	v_not_b32_e32 v4, v4
	v_ashrrev_i32_e32 v4, 31, v4
	v_and_b32_e32 v111, v111, v114
	v_xor_b32_e32 v114, vcc_hi, v4
	v_xor_b32_e32 v4, vcc_lo, v4
	v_and_b32_e32 v22, v22, v4
	v_lshlrev_b32_e32 v4, 28, v21
	v_cmp_gt_i64_e32 vcc, 0, v[3:4]
	v_not_b32_e32 v4, v4
	v_ashrrev_i32_e32 v4, 31, v4
	v_and_b32_e32 v111, v111, v114
	;; [unrolled: 8-line block ×5, first 2 shown]
	v_xor_b32_e32 v114, vcc_hi, v4
	v_xor_b32_e32 v4, vcc_lo, v4
	v_and_b32_e32 v111, v111, v114
	v_and_b32_e32 v114, v22, v4
	v_lshlrev_b32_e32 v4, 24, v21
	v_cmp_gt_i64_e32 vcc, 0, v[3:4]
	v_not_b32_e32 v4, v4
	v_ashrrev_i32_e32 v4, 31, v4
	v_mul_u32_u24_e32 v113, 20, v21
	v_xor_b32_e32 v21, vcc_hi, v4
	v_xor_b32_e32 v4, vcc_lo, v4
	v_and_b32_e32 v22, v111, v21
	v_and_b32_e32 v21, v114, v4
	v_mbcnt_lo_u32_b32 v4, v21, 0
	v_mbcnt_hi_u32_b32 v111, v22, v4
	v_cmp_ne_u64_e32 vcc, 0, v[21:22]
	v_cmp_eq_u32_e64 s[36:37], 0, v111
	s_and_b64 s[38:39], vcc, s[36:37]
	v_add_u32_e32 v114, v91, v113
	; wave barrier
	s_and_saveexec_b64 s[36:37], s[38:39]
	s_cbranch_execz .LBB1980_430
; %bb.429:                              ;   in Loop: Header=BB1980_402 Depth=2
	v_bcnt_u32_b32 v4, v21, 0
	v_bcnt_u32_b32 v4, v22, v4
	s_waitcnt lgkmcnt(0)
	v_add_u32_e32 v4, v109, v4
	ds_write_b32 v114, v4 offset:1040
.LBB1980_430:                           ;   in Loop: Header=BB1980_402 Depth=2
	s_or_b64 exec, exec, s[36:37]
	v_cmp_gt_i16_e32 vcc, 0, v112
	v_cndmask_b32_e64 v4, v65, 0, vcc
	v_xor_b32_e32 v112, v4, v112
	v_cmp_ne_u16_e32 vcc, s62, v112
	v_cndmask_b32_e32 v4, v65, v112, vcc
	v_lshrrev_b32_sdwa v4, s77, v4 dst_sel:DWORD dst_unused:UNUSED_PAD src0_sel:DWORD src1_sel:WORD_0
	v_and_b32_e32 v21, s70, v4
	v_mad_u32_u24 v4, v21, 20, v91
	; wave barrier
	ds_read_b32 v113, v4 offset:1040
	v_and_b32_e32 v4, 1, v21
	v_add_co_u32_e32 v22, vcc, -1, v4
	v_addc_co_u32_e64 v115, s[36:37], 0, -1, vcc
	v_cmp_ne_u32_e32 vcc, 0, v4
	v_xor_b32_e32 v4, vcc_hi, v115
	v_and_b32_e32 v115, exec_hi, v4
	v_lshlrev_b32_e32 v4, 30, v21
	v_xor_b32_e32 v22, vcc_lo, v22
	v_cmp_gt_i64_e32 vcc, 0, v[3:4]
	v_not_b32_e32 v4, v4
	v_ashrrev_i32_e32 v4, 31, v4
	v_and_b32_e32 v22, exec_lo, v22
	v_xor_b32_e32 v117, vcc_hi, v4
	v_xor_b32_e32 v4, vcc_lo, v4
	v_and_b32_e32 v22, v22, v4
	v_lshlrev_b32_e32 v4, 29, v21
	v_cmp_gt_i64_e32 vcc, 0, v[3:4]
	v_not_b32_e32 v4, v4
	v_ashrrev_i32_e32 v4, 31, v4
	v_and_b32_e32 v115, v115, v117
	v_xor_b32_e32 v117, vcc_hi, v4
	v_xor_b32_e32 v4, vcc_lo, v4
	v_and_b32_e32 v22, v22, v4
	v_lshlrev_b32_e32 v4, 28, v21
	v_cmp_gt_i64_e32 vcc, 0, v[3:4]
	v_not_b32_e32 v4, v4
	v_ashrrev_i32_e32 v4, 31, v4
	v_and_b32_e32 v115, v115, v117
	;; [unrolled: 8-line block ×5, first 2 shown]
	v_xor_b32_e32 v117, vcc_hi, v4
	v_xor_b32_e32 v4, vcc_lo, v4
	v_and_b32_e32 v115, v115, v117
	v_and_b32_e32 v117, v22, v4
	v_lshlrev_b32_e32 v4, 24, v21
	v_cmp_gt_i64_e32 vcc, 0, v[3:4]
	v_not_b32_e32 v4, v4
	v_ashrrev_i32_e32 v4, 31, v4
	v_mul_u32_u24_e32 v116, 20, v21
	v_xor_b32_e32 v21, vcc_hi, v4
	v_xor_b32_e32 v4, vcc_lo, v4
	v_and_b32_e32 v22, v115, v21
	v_and_b32_e32 v21, v117, v4
	v_mbcnt_lo_u32_b32 v4, v21, 0
	v_mbcnt_hi_u32_b32 v115, v22, v4
	v_cmp_ne_u64_e32 vcc, 0, v[21:22]
	v_cmp_eq_u32_e64 s[36:37], 0, v115
	s_and_b64 s[38:39], vcc, s[36:37]
	v_add_u32_e32 v118, v91, v116
	; wave barrier
	s_and_saveexec_b64 s[36:37], s[38:39]
	s_cbranch_execz .LBB1980_432
; %bb.431:                              ;   in Loop: Header=BB1980_402 Depth=2
	v_bcnt_u32_b32 v4, v21, 0
	v_bcnt_u32_b32 v4, v22, v4
	s_waitcnt lgkmcnt(0)
	v_add_u32_e32 v4, v113, v4
	ds_write_b32 v118, v4 offset:1040
.LBB1980_432:                           ;   in Loop: Header=BB1980_402 Depth=2
	s_or_b64 exec, exec, s[36:37]
	v_cmp_gt_i16_e32 vcc, 0, v108
	v_cndmask_b32_e64 v4, v65, 0, vcc
	v_xor_b32_e32 v116, v4, v108
	v_cmp_ne_u16_e32 vcc, s62, v116
	v_cndmask_b32_e32 v4, v65, v116, vcc
	v_lshrrev_b32_sdwa v4, s77, v4 dst_sel:DWORD dst_unused:UNUSED_PAD src0_sel:DWORD src1_sel:WORD_0
	v_and_b32_e32 v21, s70, v4
	v_mad_u32_u24 v4, v21, 20, v91
	; wave barrier
	ds_read_b32 v117, v4 offset:1040
	v_and_b32_e32 v4, 1, v21
	v_add_co_u32_e32 v22, vcc, -1, v4
	v_addc_co_u32_e64 v119, s[36:37], 0, -1, vcc
	v_cmp_ne_u32_e32 vcc, 0, v4
	v_xor_b32_e32 v4, vcc_hi, v119
	v_and_b32_e32 v119, exec_hi, v4
	v_lshlrev_b32_e32 v4, 30, v21
	v_xor_b32_e32 v22, vcc_lo, v22
	v_cmp_gt_i64_e32 vcc, 0, v[3:4]
	v_not_b32_e32 v4, v4
	v_ashrrev_i32_e32 v4, 31, v4
	v_and_b32_e32 v22, exec_lo, v22
	v_xor_b32_e32 v120, vcc_hi, v4
	v_xor_b32_e32 v4, vcc_lo, v4
	v_and_b32_e32 v22, v22, v4
	v_lshlrev_b32_e32 v4, 29, v21
	v_cmp_gt_i64_e32 vcc, 0, v[3:4]
	v_not_b32_e32 v4, v4
	v_ashrrev_i32_e32 v4, 31, v4
	v_and_b32_e32 v119, v119, v120
	v_xor_b32_e32 v120, vcc_hi, v4
	v_xor_b32_e32 v4, vcc_lo, v4
	v_and_b32_e32 v22, v22, v4
	v_lshlrev_b32_e32 v4, 28, v21
	v_cmp_gt_i64_e32 vcc, 0, v[3:4]
	v_not_b32_e32 v4, v4
	v_ashrrev_i32_e32 v4, 31, v4
	v_and_b32_e32 v119, v119, v120
	;; [unrolled: 8-line block ×5, first 2 shown]
	v_xor_b32_e32 v120, vcc_hi, v4
	v_xor_b32_e32 v4, vcc_lo, v4
	v_and_b32_e32 v119, v119, v120
	v_and_b32_e32 v120, v22, v4
	v_lshlrev_b32_e32 v4, 24, v21
	v_cmp_gt_i64_e32 vcc, 0, v[3:4]
	v_not_b32_e32 v4, v4
	v_ashrrev_i32_e32 v4, 31, v4
	v_mul_u32_u24_e32 v108, 20, v21
	v_xor_b32_e32 v21, vcc_hi, v4
	v_xor_b32_e32 v4, vcc_lo, v4
	v_and_b32_e32 v22, v119, v21
	v_and_b32_e32 v21, v120, v4
	v_mbcnt_lo_u32_b32 v4, v21, 0
	v_mbcnt_hi_u32_b32 v119, v22, v4
	v_cmp_ne_u64_e32 vcc, 0, v[21:22]
	v_cmp_eq_u32_e64 s[36:37], 0, v119
	s_and_b64 s[38:39], vcc, s[36:37]
	v_add_u32_e32 v108, v91, v108
	; wave barrier
	s_and_saveexec_b64 s[36:37], s[38:39]
	s_cbranch_execz .LBB1980_434
; %bb.433:                              ;   in Loop: Header=BB1980_402 Depth=2
	v_bcnt_u32_b32 v4, v21, 0
	v_bcnt_u32_b32 v4, v22, v4
	s_waitcnt lgkmcnt(0)
	v_add_u32_e32 v4, v117, v4
	ds_write_b32 v108, v4 offset:1040
.LBB1980_434:                           ;   in Loop: Header=BB1980_402 Depth=2
	s_or_b64 exec, exec, s[36:37]
	v_cmp_gt_i16_e32 vcc, 0, v24
	v_cndmask_b32_e64 v4, v65, 0, vcc
	v_xor_b32_e32 v120, v4, v24
	v_cmp_ne_u16_e32 vcc, s62, v120
	v_cndmask_b32_e32 v4, v65, v120, vcc
	v_lshrrev_b32_sdwa v4, s77, v4 dst_sel:DWORD dst_unused:UNUSED_PAD src0_sel:DWORD src1_sel:WORD_0
	v_and_b32_e32 v21, s70, v4
	v_mad_u32_u24 v4, v21, 20, v91
	; wave barrier
	ds_read_b32 v121, v4 offset:1040
	v_and_b32_e32 v4, 1, v21
	v_add_co_u32_e32 v22, vcc, -1, v4
	v_addc_co_u32_e64 v122, s[36:37], 0, -1, vcc
	v_cmp_ne_u32_e32 vcc, 0, v4
	v_xor_b32_e32 v4, vcc_hi, v122
	v_and_b32_e32 v122, exec_hi, v4
	v_lshlrev_b32_e32 v4, 30, v21
	v_xor_b32_e32 v22, vcc_lo, v22
	v_cmp_gt_i64_e32 vcc, 0, v[3:4]
	v_not_b32_e32 v4, v4
	v_ashrrev_i32_e32 v4, 31, v4
	v_and_b32_e32 v22, exec_lo, v22
	v_xor_b32_e32 v123, vcc_hi, v4
	v_xor_b32_e32 v4, vcc_lo, v4
	v_and_b32_e32 v22, v22, v4
	v_lshlrev_b32_e32 v4, 29, v21
	v_cmp_gt_i64_e32 vcc, 0, v[3:4]
	v_not_b32_e32 v4, v4
	v_ashrrev_i32_e32 v4, 31, v4
	v_and_b32_e32 v122, v122, v123
	v_xor_b32_e32 v123, vcc_hi, v4
	v_xor_b32_e32 v4, vcc_lo, v4
	v_and_b32_e32 v22, v22, v4
	v_lshlrev_b32_e32 v4, 28, v21
	v_cmp_gt_i64_e32 vcc, 0, v[3:4]
	v_not_b32_e32 v4, v4
	v_ashrrev_i32_e32 v4, 31, v4
	v_and_b32_e32 v122, v122, v123
	;; [unrolled: 8-line block ×5, first 2 shown]
	v_xor_b32_e32 v123, vcc_hi, v4
	v_xor_b32_e32 v4, vcc_lo, v4
	v_and_b32_e32 v122, v122, v123
	v_and_b32_e32 v123, v22, v4
	v_lshlrev_b32_e32 v4, 24, v21
	v_cmp_gt_i64_e32 vcc, 0, v[3:4]
	v_not_b32_e32 v4, v4
	v_ashrrev_i32_e32 v4, 31, v4
	v_mul_u32_u24_e32 v24, 20, v21
	v_xor_b32_e32 v21, vcc_hi, v4
	v_xor_b32_e32 v4, vcc_lo, v4
	v_and_b32_e32 v22, v122, v21
	v_and_b32_e32 v21, v123, v4
	v_mbcnt_lo_u32_b32 v4, v21, 0
	v_mbcnt_hi_u32_b32 v122, v22, v4
	v_cmp_ne_u64_e32 vcc, 0, v[21:22]
	v_cmp_eq_u32_e64 s[36:37], 0, v122
	s_and_b64 s[38:39], vcc, s[36:37]
	v_add_u32_e32 v125, v91, v24
	; wave barrier
	s_and_saveexec_b64 s[36:37], s[38:39]
	s_cbranch_execz .LBB1980_436
; %bb.435:                              ;   in Loop: Header=BB1980_402 Depth=2
	v_bcnt_u32_b32 v4, v21, 0
	v_bcnt_u32_b32 v4, v22, v4
	s_waitcnt lgkmcnt(0)
	v_add_u32_e32 v4, v121, v4
	ds_write_b32 v125, v4 offset:1040
.LBB1980_436:                           ;   in Loop: Header=BB1980_402 Depth=2
	s_or_b64 exec, exec, s[36:37]
	v_cmp_gt_i16_e32 vcc, 0, v23
	v_cndmask_b32_e64 v4, v65, 0, vcc
	v_xor_b32_e32 v123, v4, v23
	v_cmp_ne_u16_e32 vcc, s62, v123
	v_cndmask_b32_e32 v4, v65, v123, vcc
	v_lshrrev_b32_sdwa v4, s77, v4 dst_sel:DWORD dst_unused:UNUSED_PAD src0_sel:DWORD src1_sel:WORD_0
	v_and_b32_e32 v21, s70, v4
	v_mad_u32_u24 v4, v21, 20, v91
	; wave barrier
	ds_read_b32 v124, v4 offset:1040
	v_and_b32_e32 v4, 1, v21
	v_add_co_u32_e32 v22, vcc, -1, v4
	v_addc_co_u32_e64 v24, s[36:37], 0, -1, vcc
	v_cmp_ne_u32_e32 vcc, 0, v4
	v_xor_b32_e32 v4, vcc_hi, v24
	v_and_b32_e32 v24, exec_hi, v4
	v_lshlrev_b32_e32 v4, 30, v21
	v_xor_b32_e32 v22, vcc_lo, v22
	v_cmp_gt_i64_e32 vcc, 0, v[3:4]
	v_not_b32_e32 v4, v4
	v_ashrrev_i32_e32 v4, 31, v4
	v_and_b32_e32 v22, exec_lo, v22
	v_xor_b32_e32 v126, vcc_hi, v4
	v_xor_b32_e32 v4, vcc_lo, v4
	v_and_b32_e32 v22, v22, v4
	v_lshlrev_b32_e32 v4, 29, v21
	v_cmp_gt_i64_e32 vcc, 0, v[3:4]
	v_not_b32_e32 v4, v4
	v_ashrrev_i32_e32 v4, 31, v4
	v_and_b32_e32 v24, v24, v126
	v_xor_b32_e32 v126, vcc_hi, v4
	v_xor_b32_e32 v4, vcc_lo, v4
	v_and_b32_e32 v22, v22, v4
	v_lshlrev_b32_e32 v4, 28, v21
	v_cmp_gt_i64_e32 vcc, 0, v[3:4]
	v_not_b32_e32 v4, v4
	v_ashrrev_i32_e32 v4, 31, v4
	v_and_b32_e32 v24, v24, v126
	v_xor_b32_e32 v126, vcc_hi, v4
	v_xor_b32_e32 v4, vcc_lo, v4
	v_and_b32_e32 v22, v22, v4
	v_lshlrev_b32_e32 v4, 27, v21
	v_cmp_gt_i64_e32 vcc, 0, v[3:4]
	v_not_b32_e32 v4, v4
	v_ashrrev_i32_e32 v4, 31, v4
	v_and_b32_e32 v24, v24, v126
	v_xor_b32_e32 v126, vcc_hi, v4
	v_xor_b32_e32 v4, vcc_lo, v4
	v_and_b32_e32 v22, v22, v4
	v_lshlrev_b32_e32 v4, 26, v21
	v_cmp_gt_i64_e32 vcc, 0, v[3:4]
	v_not_b32_e32 v4, v4
	v_ashrrev_i32_e32 v4, 31, v4
	v_and_b32_e32 v24, v24, v126
	v_xor_b32_e32 v126, vcc_hi, v4
	v_xor_b32_e32 v4, vcc_lo, v4
	v_and_b32_e32 v22, v22, v4
	v_lshlrev_b32_e32 v4, 25, v21
	v_cmp_gt_i64_e32 vcc, 0, v[3:4]
	v_not_b32_e32 v4, v4
	v_ashrrev_i32_e32 v4, 31, v4
	v_and_b32_e32 v24, v24, v126
	v_xor_b32_e32 v126, vcc_hi, v4
	v_xor_b32_e32 v4, vcc_lo, v4
	v_and_b32_e32 v24, v24, v126
	v_and_b32_e32 v126, v22, v4
	v_lshlrev_b32_e32 v4, 24, v21
	v_cmp_gt_i64_e32 vcc, 0, v[3:4]
	v_not_b32_e32 v4, v4
	v_ashrrev_i32_e32 v4, 31, v4
	v_mul_u32_u24_e32 v23, 20, v21
	v_xor_b32_e32 v21, vcc_hi, v4
	v_xor_b32_e32 v4, vcc_lo, v4
	v_and_b32_e32 v22, v24, v21
	v_and_b32_e32 v21, v126, v4
	v_mbcnt_lo_u32_b32 v4, v21, 0
	v_mbcnt_hi_u32_b32 v126, v22, v4
	v_cmp_ne_u64_e32 vcc, 0, v[21:22]
	v_cmp_eq_u32_e64 s[36:37], 0, v126
	s_and_b64 s[38:39], vcc, s[36:37]
	v_add_u32_e32 v4, v91, v23
	; wave barrier
	s_and_saveexec_b64 s[36:37], s[38:39]
	s_cbranch_execz .LBB1980_438
; %bb.437:                              ;   in Loop: Header=BB1980_402 Depth=2
	v_bcnt_u32_b32 v21, v21, 0
	v_bcnt_u32_b32 v21, v22, v21
	s_waitcnt lgkmcnt(0)
	v_add_u32_e32 v21, v124, v21
	ds_write_b32 v4, v21 offset:1040
.LBB1980_438:                           ;   in Loop: Header=BB1980_402 Depth=2
	s_or_b64 exec, exec, s[36:37]
	; wave barrier
	s_waitcnt lgkmcnt(0)
	s_barrier
	ds_read2_b32 v[23:24], v62 offset1:1
	ds_read2_b32 v[21:22], v63 offset1:1
	ds_read_b32 v127, v41 offset:1056
	s_waitcnt lgkmcnt(1)
	v_add3_u32 v128, v24, v23, v21
	s_waitcnt lgkmcnt(0)
	v_add3_u32 v127, v128, v22, v127
	s_nop 1
	v_mov_b32_dpp v128, v127 row_shr:1 row_mask:0xf bank_mask:0xf
	v_cndmask_b32_e64 v128, v128, 0, s[16:17]
	v_add_u32_e32 v127, v128, v127
	s_nop 1
	v_mov_b32_dpp v128, v127 row_shr:2 row_mask:0xf bank_mask:0xf
	v_cndmask_b32_e64 v128, 0, v128, s[18:19]
	v_add_u32_e32 v127, v127, v128
	;; [unrolled: 4-line block ×4, first 2 shown]
	s_nop 1
	v_mov_b32_dpp v128, v127 row_bcast:15 row_mask:0xf bank_mask:0xf
	v_cndmask_b32_e64 v128, v128, 0, s[24:25]
	v_add_u32_e32 v127, v127, v128
	s_nop 1
	v_mov_b32_dpp v128, v127 row_bcast:31 row_mask:0xf bank_mask:0xf
	v_cndmask_b32_e64 v128, 0, v128, s[26:27]
	v_add_u32_e32 v127, v127, v128
	s_and_saveexec_b64 s[36:37], s[6:7]
; %bb.439:                              ;   in Loop: Header=BB1980_402 Depth=2
	ds_write_b32 v37, v127 offset:1024
; %bb.440:                              ;   in Loop: Header=BB1980_402 Depth=2
	s_or_b64 exec, exec, s[36:37]
	s_waitcnt lgkmcnt(0)
	s_barrier
	s_and_saveexec_b64 s[36:37], s[8:9]
	s_cbranch_execz .LBB1980_442
; %bb.441:                              ;   in Loop: Header=BB1980_402 Depth=2
	ds_read_b32 v128, v42 offset:1024
	s_waitcnt lgkmcnt(0)
	s_nop 0
	v_mov_b32_dpp v129, v128 row_shr:1 row_mask:0xf bank_mask:0xf
	v_cndmask_b32_e64 v129, v129, 0, s[30:31]
	v_add_u32_e32 v128, v129, v128
	s_nop 1
	v_mov_b32_dpp v129, v128 row_shr:2 row_mask:0xf bank_mask:0xf
	v_cndmask_b32_e64 v129, 0, v129, s[34:35]
	v_add_u32_e32 v128, v128, v129
	ds_write_b32 v42, v128 offset:1024
.LBB1980_442:                           ;   in Loop: Header=BB1980_402 Depth=2
	s_or_b64 exec, exec, s[36:37]
	v_mov_b32_e32 v128, 0
	s_waitcnt lgkmcnt(0)
	s_barrier
	s_and_saveexec_b64 s[36:37], s[10:11]
; %bb.443:                              ;   in Loop: Header=BB1980_402 Depth=2
	ds_read_b32 v128, v37 offset:1020
; %bb.444:                              ;   in Loop: Header=BB1980_402 Depth=2
	s_or_b64 exec, exec, s[36:37]
	s_waitcnt lgkmcnt(0)
	v_add_u32_e32 v127, v128, v127
	ds_bpermute_b32 v127, v82, v127
	s_waitcnt lgkmcnt(0)
	v_cndmask_b32_e64 v127, v127, v128, s[28:29]
	v_cndmask_b32_e64 v127, v127, 0, s[12:13]
	v_add_u32_e32 v23, v127, v23
	v_add_u32_e32 v24, v23, v24
	;; [unrolled: 1-line block ×4, first 2 shown]
	ds_write2_b32 v62, v127, v23 offset1:1
	ds_write2_b32 v63, v24, v21 offset1:1
	ds_write_b32 v41, v22 offset:1056
	s_waitcnt lgkmcnt(0)
	s_barrier
	ds_read_b32 v21, v101 offset:1040
	ds_read_b32 v22, v105 offset:1040
	;; [unrolled: 1-line block ×9, first 2 shown]
	v_mov_b32_e32 v4, 0x800
	s_and_saveexec_b64 s[36:37], s[14:15]
; %bb.445:                              ;   in Loop: Header=BB1980_402 Depth=2
	ds_read_b32 v4, v41 offset:1060
; %bb.446:                              ;   in Loop: Header=BB1980_402 Depth=2
	s_or_b64 exec, exec, s[36:37]
	s_waitcnt lgkmcnt(0)
	s_barrier
	s_and_saveexec_b64 s[36:37], s[4:5]
	s_cbranch_execz .LBB1980_448
; %bb.447:                              ;   in Loop: Header=BB1980_402 Depth=2
	ds_read_b32 v105, v25
	s_waitcnt lgkmcnt(0)
	v_sub_u32_e32 v101, v105, v101
	ds_write_b32 v25, v101
.LBB1980_448:                           ;   in Loop: Header=BB1980_402 Depth=2
	s_or_b64 exec, exec, s[36:37]
	v_add_u32_e32 v108, v21, v98
	v_add3_u32 v105, v102, v100, v22
	v_lshlrev_b32_e32 v21, 1, v108
	v_add3_u32 v102, v106, v104, v23
	ds_write_b16 v21, v97 offset:1024
	v_lshlrev_b32_e32 v21, 1, v105
	v_add3_u32 v101, v111, v109, v24
	ds_write_b16 v21, v99 offset:1024
	;; [unrolled: 3-line block ×6, first 2 shown]
	v_lshlrev_b32_e32 v21, 1, v24
	ds_write_b16 v21, v120 offset:1024
	v_lshlrev_b32_e32 v21, 1, v23
	v_cmp_lt_u32_e32 vcc, v0, v96
	ds_write_b16 v21, v123 offset:1024
	s_waitcnt lgkmcnt(0)
	s_barrier
	s_and_saveexec_b64 s[38:39], vcc
	s_cbranch_execnz .LBB1980_485
; %bb.449:                              ;   in Loop: Header=BB1980_402 Depth=2
	s_or_b64 exec, exec, s[38:39]
	v_cmp_lt_u32_e64 s[36:37], v26, v96
	s_and_saveexec_b64 s[40:41], s[36:37]
	s_cbranch_execnz .LBB1980_486
.LBB1980_450:                           ;   in Loop: Header=BB1980_402 Depth=2
	s_or_b64 exec, exec, s[40:41]
	v_cmp_lt_u32_e64 s[38:39], v27, v96
	s_and_saveexec_b64 s[42:43], s[38:39]
	s_cbranch_execnz .LBB1980_487
.LBB1980_451:                           ;   in Loop: Header=BB1980_402 Depth=2
	s_or_b64 exec, exec, s[42:43]
	v_cmp_lt_u32_e64 s[40:41], v28, v96
	s_and_saveexec_b64 s[44:45], s[40:41]
	s_cbranch_execnz .LBB1980_488
.LBB1980_452:                           ;   in Loop: Header=BB1980_402 Depth=2
	s_or_b64 exec, exec, s[44:45]
	v_cmp_lt_u32_e64 s[42:43], v31, v96
	s_and_saveexec_b64 s[46:47], s[42:43]
	s_cbranch_execnz .LBB1980_489
.LBB1980_453:                           ;   in Loop: Header=BB1980_402 Depth=2
	s_or_b64 exec, exec, s[46:47]
	v_cmp_lt_u32_e64 s[44:45], v32, v96
	s_and_saveexec_b64 s[48:49], s[44:45]
	s_cbranch_execnz .LBB1980_490
.LBB1980_454:                           ;   in Loop: Header=BB1980_402 Depth=2
	s_or_b64 exec, exec, s[48:49]
	v_cmp_lt_u32_e64 s[46:47], v33, v96
	s_and_saveexec_b64 s[52:53], s[46:47]
	s_cbranch_execnz .LBB1980_491
.LBB1980_455:                           ;   in Loop: Header=BB1980_402 Depth=2
	s_or_b64 exec, exec, s[52:53]
	v_cmp_lt_u32_e64 s[48:49], v34, v96
	s_and_saveexec_b64 s[60:61], s[48:49]
	s_cbranch_execz .LBB1980_457
.LBB1980_456:                           ;   in Loop: Header=BB1980_402 Depth=2
	ds_read_u16 v21, v47 offset:4608
	v_mov_b32_e32 v22, v3
	v_mov_b32_e32 v99, s67
	s_waitcnt lgkmcnt(0)
	v_cmp_ne_u16_e64 s[52:53], s62, v21
	v_cndmask_b32_e64 v97, v65, v21, s[52:53]
	v_lshrrev_b32_sdwa v97, s77, v97 dst_sel:DWORD dst_unused:UNUSED_PAD src0_sel:DWORD src1_sel:WORD_0
	v_and_b32_e32 v97, s70, v97
	v_lshlrev_b32_e32 v97, 2, v97
	ds_read_b32 v97, v97
	v_cmp_gt_i16_e64 s[52:53], 0, v21
	v_cndmask_b32_e64 v103, v65, 0, s[52:53]
	v_xor_b32_e32 v103, v103, v21
	s_waitcnt lgkmcnt(0)
	v_add_u32_e32 v21, v97, v34
	v_lshlrev_b64 v[21:22], 1, v[21:22]
	v_add_co_u32_e64 v21, s[52:53], s66, v21
	v_addc_co_u32_e64 v22, s[52:53], v99, v22, s[52:53]
	global_store_short v[21:22], v103, off
.LBB1980_457:                           ;   in Loop: Header=BB1980_402 Depth=2
	s_or_b64 exec, exec, s[60:61]
	s_lshl_b64 s[52:53], s[58:59], 3
	v_mov_b32_e32 v22, s53
	v_add_co_u32_e64 v21, s[52:53], s52, v83
	v_addc_co_u32_e64 v22, s[52:53], v84, v22, s[52:53]
	v_cmp_lt_u32_e64 s[52:53], v73, v96
	s_and_saveexec_b64 s[60:61], s[52:53]
	s_xor_b64 s[52:53], exec, s[60:61]
	s_cbranch_execnz .LBB1980_492
; %bb.458:                              ;   in Loop: Header=BB1980_402 Depth=2
	s_or_b64 exec, exec, s[52:53]
	v_cmp_lt_u32_e64 s[52:53], v74, v96
	s_and_saveexec_b64 s[60:61], s[52:53]
	s_cbranch_execnz .LBB1980_493
.LBB1980_459:                           ;   in Loop: Header=BB1980_402 Depth=2
	s_or_b64 exec, exec, s[60:61]
	v_cmp_lt_u32_e64 s[52:53], v75, v96
	s_and_saveexec_b64 s[60:61], s[52:53]
	s_cbranch_execnz .LBB1980_494
.LBB1980_460:                           ;   in Loop: Header=BB1980_402 Depth=2
	s_or_b64 exec, exec, s[60:61]
	v_cmp_lt_u32_e64 s[52:53], v76, v96
	s_and_saveexec_b64 s[60:61], s[52:53]
	s_cbranch_execnz .LBB1980_495
.LBB1980_461:                           ;   in Loop: Header=BB1980_402 Depth=2
	s_or_b64 exec, exec, s[60:61]
	v_cmp_lt_u32_e64 s[52:53], v77, v96
	s_and_saveexec_b64 s[60:61], s[52:53]
	s_cbranch_execnz .LBB1980_496
.LBB1980_462:                           ;   in Loop: Header=BB1980_402 Depth=2
	s_or_b64 exec, exec, s[60:61]
	v_cmp_lt_u32_e64 s[52:53], v78, v96
	s_and_saveexec_b64 s[60:61], s[52:53]
	s_cbranch_execnz .LBB1980_497
.LBB1980_463:                           ;   in Loop: Header=BB1980_402 Depth=2
	s_or_b64 exec, exec, s[60:61]
	v_cmp_lt_u32_e64 s[52:53], v79, v96
	s_and_saveexec_b64 s[60:61], s[52:53]
	s_cbranch_execnz .LBB1980_498
.LBB1980_464:                           ;   in Loop: Header=BB1980_402 Depth=2
	s_or_b64 exec, exec, s[60:61]
	v_cmp_lt_u32_e64 s[52:53], v80, v96
	s_and_saveexec_b64 s[60:61], s[52:53]
	s_cbranch_execnz .LBB1980_499
.LBB1980_465:                           ;   in Loop: Header=BB1980_402 Depth=2
	s_or_b64 exec, exec, s[60:61]
	s_and_saveexec_b64 s[60:61], vcc
	s_cbranch_execnz .LBB1980_500
.LBB1980_466:                           ;   in Loop: Header=BB1980_402 Depth=2
	s_or_b64 exec, exec, s[60:61]
	s_and_saveexec_b64 s[60:61], s[36:37]
	s_cbranch_execnz .LBB1980_501
.LBB1980_467:                           ;   in Loop: Header=BB1980_402 Depth=2
	s_or_b64 exec, exec, s[60:61]
	s_and_saveexec_b64 s[60:61], s[38:39]
	s_cbranch_execnz .LBB1980_502
.LBB1980_468:                           ;   in Loop: Header=BB1980_402 Depth=2
	s_or_b64 exec, exec, s[60:61]
	s_and_saveexec_b64 s[60:61], s[40:41]
	s_cbranch_execnz .LBB1980_503
.LBB1980_469:                           ;   in Loop: Header=BB1980_402 Depth=2
	s_or_b64 exec, exec, s[60:61]
	s_and_saveexec_b64 s[60:61], s[42:43]
	s_cbranch_execnz .LBB1980_504
.LBB1980_470:                           ;   in Loop: Header=BB1980_402 Depth=2
	s_or_b64 exec, exec, s[60:61]
	s_and_saveexec_b64 s[60:61], s[44:45]
	s_cbranch_execnz .LBB1980_505
.LBB1980_471:                           ;   in Loop: Header=BB1980_402 Depth=2
	s_or_b64 exec, exec, s[60:61]
	s_and_saveexec_b64 s[60:61], s[46:47]
	s_cbranch_execnz .LBB1980_506
.LBB1980_472:                           ;   in Loop: Header=BB1980_402 Depth=2
	s_or_b64 exec, exec, s[60:61]
	s_and_saveexec_b64 s[60:61], s[48:49]
	s_cbranch_execz .LBB1980_474
.LBB1980_473:                           ;   in Loop: Header=BB1980_402 Depth=2
	ds_read_u16 v21, v47 offset:4608
	s_waitcnt lgkmcnt(0)
	v_cmp_ne_u16_e64 s[52:53], s62, v21
	v_cndmask_b32_e64 v21, v65, v21, s[52:53]
	v_lshrrev_b32_sdwa v21, s77, v21 dst_sel:DWORD dst_unused:UNUSED_PAD src0_sel:DWORD src1_sel:WORD_0
	v_and_b32_e32 v87, s70, v21
.LBB1980_474:                           ;   in Loop: Header=BB1980_402 Depth=2
	s_or_b64 exec, exec, s[60:61]
	v_lshlrev_b32_e32 v21, 3, v108
	s_waitcnt vmcnt(0)
	s_barrier
	ds_write_b64 v21, v[19:20] offset:1024
	v_lshlrev_b32_e32 v21, 3, v105
	ds_write_b64 v21, v[17:18] offset:1024
	v_lshlrev_b32_e32 v21, 3, v102
	ds_write_b64 v21, v[15:16] offset:1024
	v_lshlrev_b32_e32 v21, 3, v101
	ds_write_b64 v21, v[13:14] offset:1024
	v_lshlrev_b32_e32 v21, 3, v100
	ds_write_b64 v21, v[11:12] offset:1024
	v_lshlrev_b32_e32 v21, 3, v98
	ds_write_b64 v21, v[9:10] offset:1024
	v_lshlrev_b32_e32 v21, 3, v24
	ds_write_b64 v21, v[7:8] offset:1024
	v_lshlrev_b32_e32 v21, 3, v23
	ds_write_b64 v21, v[5:6] offset:1024
	s_waitcnt lgkmcnt(0)
	s_barrier
	s_and_saveexec_b64 s[52:53], vcc
	s_cbranch_execnz .LBB1980_507
; %bb.475:                              ;   in Loop: Header=BB1980_402 Depth=2
	s_or_b64 exec, exec, s[52:53]
	s_and_saveexec_b64 s[52:53], s[36:37]
	s_cbranch_execnz .LBB1980_508
.LBB1980_476:                           ;   in Loop: Header=BB1980_402 Depth=2
	s_or_b64 exec, exec, s[52:53]
	s_and_saveexec_b64 s[36:37], s[38:39]
	s_cbranch_execnz .LBB1980_509
.LBB1980_477:                           ;   in Loop: Header=BB1980_402 Depth=2
	s_or_b64 exec, exec, s[36:37]
	s_and_saveexec_b64 s[36:37], s[40:41]
	s_cbranch_execnz .LBB1980_510
.LBB1980_478:                           ;   in Loop: Header=BB1980_402 Depth=2
	s_or_b64 exec, exec, s[36:37]
	s_and_saveexec_b64 s[36:37], s[42:43]
	s_cbranch_execnz .LBB1980_511
.LBB1980_479:                           ;   in Loop: Header=BB1980_402 Depth=2
	s_or_b64 exec, exec, s[36:37]
	s_and_saveexec_b64 s[36:37], s[44:45]
	s_cbranch_execnz .LBB1980_512
.LBB1980_480:                           ;   in Loop: Header=BB1980_402 Depth=2
	s_or_b64 exec, exec, s[36:37]
	s_and_saveexec_b64 s[36:37], s[46:47]
	s_cbranch_execnz .LBB1980_513
.LBB1980_481:                           ;   in Loop: Header=BB1980_402 Depth=2
	s_or_b64 exec, exec, s[36:37]
	s_and_saveexec_b64 s[36:37], s[48:49]
	s_cbranch_execz .LBB1980_483
.LBB1980_482:                           ;   in Loop: Header=BB1980_402 Depth=2
	v_lshlrev_b32_e32 v21, 2, v87
	ds_read_b32 v23, v21
	v_add_u32_e32 v21, v47, v48
	ds_read_b64 v[21:22], v21 offset:15360
	v_mov_b32_e32 v24, v3
	v_mov_b32_e32 v96, s73
	s_waitcnt lgkmcnt(1)
	v_add_u32_e32 v23, v23, v34
	v_lshlrev_b64 v[23:24], 3, v[23:24]
	v_add_co_u32_e32 v23, vcc, s72, v23
	v_addc_co_u32_e32 v24, vcc, v96, v24, vcc
	s_waitcnt lgkmcnt(0)
	global_store_dwordx2 v[23:24], v[21:22], off
.LBB1980_483:                           ;   in Loop: Header=BB1980_402 Depth=2
	s_or_b64 exec, exec, s[36:37]
	s_waitcnt vmcnt(0)
	s_barrier
	s_and_saveexec_b64 s[36:37], s[4:5]
	s_cbranch_execz .LBB1980_401
; %bb.484:                              ;   in Loop: Header=BB1980_402 Depth=2
	ds_read_b32 v21, v25
	s_waitcnt lgkmcnt(0)
	v_add_u32_e32 v4, v21, v4
	ds_write_b32 v25, v4
	s_branch .LBB1980_401
.LBB1980_485:                           ;   in Loop: Header=BB1980_402 Depth=2
	ds_read_u16 v21, v47 offset:1024
	v_mov_b32_e32 v22, v3
	v_mov_b32_e32 v99, s67
	s_waitcnt lgkmcnt(0)
	v_cmp_ne_u16_e64 s[36:37], s62, v21
	v_cndmask_b32_e64 v97, v65, v21, s[36:37]
	v_lshrrev_b32_sdwa v97, s77, v97 dst_sel:DWORD dst_unused:UNUSED_PAD src0_sel:DWORD src1_sel:WORD_0
	v_and_b32_e32 v97, s70, v97
	v_lshlrev_b32_e32 v97, 2, v97
	ds_read_b32 v97, v97
	v_cmp_gt_i16_e64 s[36:37], 0, v21
	v_cndmask_b32_e64 v103, v65, 0, s[36:37]
	v_xor_b32_e32 v103, v103, v21
	s_waitcnt lgkmcnt(0)
	v_add_u32_e32 v21, v97, v0
	v_lshlrev_b64 v[21:22], 1, v[21:22]
	v_add_co_u32_e64 v21, s[36:37], s66, v21
	v_addc_co_u32_e64 v22, s[36:37], v99, v22, s[36:37]
	global_store_short v[21:22], v103, off
	s_or_b64 exec, exec, s[38:39]
	v_cmp_lt_u32_e64 s[36:37], v26, v96
	s_and_saveexec_b64 s[40:41], s[36:37]
	s_cbranch_execz .LBB1980_450
.LBB1980_486:                           ;   in Loop: Header=BB1980_402 Depth=2
	ds_read_u16 v21, v47 offset:1536
	v_mov_b32_e32 v22, v3
	v_mov_b32_e32 v99, s67
	s_waitcnt lgkmcnt(0)
	v_cmp_ne_u16_e64 s[38:39], s62, v21
	v_cndmask_b32_e64 v97, v65, v21, s[38:39]
	v_lshrrev_b32_sdwa v97, s77, v97 dst_sel:DWORD dst_unused:UNUSED_PAD src0_sel:DWORD src1_sel:WORD_0
	v_and_b32_e32 v97, s70, v97
	v_lshlrev_b32_e32 v97, 2, v97
	ds_read_b32 v97, v97
	v_cmp_gt_i16_e64 s[38:39], 0, v21
	v_cndmask_b32_e64 v103, v65, 0, s[38:39]
	v_xor_b32_e32 v103, v103, v21
	s_waitcnt lgkmcnt(0)
	v_add_u32_e32 v21, v97, v26
	v_lshlrev_b64 v[21:22], 1, v[21:22]
	v_add_co_u32_e64 v21, s[38:39], s66, v21
	v_addc_co_u32_e64 v22, s[38:39], v99, v22, s[38:39]
	global_store_short v[21:22], v103, off
	s_or_b64 exec, exec, s[40:41]
	v_cmp_lt_u32_e64 s[38:39], v27, v96
	s_and_saveexec_b64 s[42:43], s[38:39]
	s_cbranch_execz .LBB1980_451
.LBB1980_487:                           ;   in Loop: Header=BB1980_402 Depth=2
	ds_read_u16 v21, v47 offset:2048
	v_mov_b32_e32 v22, v3
	v_mov_b32_e32 v99, s67
	s_waitcnt lgkmcnt(0)
	v_cmp_ne_u16_e64 s[40:41], s62, v21
	v_cndmask_b32_e64 v97, v65, v21, s[40:41]
	v_lshrrev_b32_sdwa v97, s77, v97 dst_sel:DWORD dst_unused:UNUSED_PAD src0_sel:DWORD src1_sel:WORD_0
	v_and_b32_e32 v97, s70, v97
	v_lshlrev_b32_e32 v97, 2, v97
	ds_read_b32 v97, v97
	v_cmp_gt_i16_e64 s[40:41], 0, v21
	v_cndmask_b32_e64 v103, v65, 0, s[40:41]
	v_xor_b32_e32 v103, v103, v21
	s_waitcnt lgkmcnt(0)
	v_add_u32_e32 v21, v97, v27
	v_lshlrev_b64 v[21:22], 1, v[21:22]
	v_add_co_u32_e64 v21, s[40:41], s66, v21
	v_addc_co_u32_e64 v22, s[40:41], v99, v22, s[40:41]
	global_store_short v[21:22], v103, off
	s_or_b64 exec, exec, s[42:43]
	v_cmp_lt_u32_e64 s[40:41], v28, v96
	s_and_saveexec_b64 s[44:45], s[40:41]
	s_cbranch_execz .LBB1980_452
.LBB1980_488:                           ;   in Loop: Header=BB1980_402 Depth=2
	ds_read_u16 v21, v47 offset:2560
	v_mov_b32_e32 v22, v3
	v_mov_b32_e32 v99, s67
	s_waitcnt lgkmcnt(0)
	v_cmp_ne_u16_e64 s[42:43], s62, v21
	v_cndmask_b32_e64 v97, v65, v21, s[42:43]
	v_lshrrev_b32_sdwa v97, s77, v97 dst_sel:DWORD dst_unused:UNUSED_PAD src0_sel:DWORD src1_sel:WORD_0
	v_and_b32_e32 v97, s70, v97
	v_lshlrev_b32_e32 v97, 2, v97
	ds_read_b32 v97, v97
	v_cmp_gt_i16_e64 s[42:43], 0, v21
	v_cndmask_b32_e64 v103, v65, 0, s[42:43]
	v_xor_b32_e32 v103, v103, v21
	s_waitcnt lgkmcnt(0)
	v_add_u32_e32 v21, v97, v28
	v_lshlrev_b64 v[21:22], 1, v[21:22]
	v_add_co_u32_e64 v21, s[42:43], s66, v21
	v_addc_co_u32_e64 v22, s[42:43], v99, v22, s[42:43]
	global_store_short v[21:22], v103, off
	s_or_b64 exec, exec, s[44:45]
	v_cmp_lt_u32_e64 s[42:43], v31, v96
	s_and_saveexec_b64 s[46:47], s[42:43]
	s_cbranch_execz .LBB1980_453
.LBB1980_489:                           ;   in Loop: Header=BB1980_402 Depth=2
	ds_read_u16 v21, v47 offset:3072
	v_mov_b32_e32 v22, v3
	v_mov_b32_e32 v99, s67
	s_waitcnt lgkmcnt(0)
	v_cmp_ne_u16_e64 s[44:45], s62, v21
	v_cndmask_b32_e64 v97, v65, v21, s[44:45]
	v_lshrrev_b32_sdwa v97, s77, v97 dst_sel:DWORD dst_unused:UNUSED_PAD src0_sel:DWORD src1_sel:WORD_0
	v_and_b32_e32 v97, s70, v97
	v_lshlrev_b32_e32 v97, 2, v97
	ds_read_b32 v97, v97
	v_cmp_gt_i16_e64 s[44:45], 0, v21
	v_cndmask_b32_e64 v103, v65, 0, s[44:45]
	v_xor_b32_e32 v103, v103, v21
	s_waitcnt lgkmcnt(0)
	v_add_u32_e32 v21, v97, v31
	v_lshlrev_b64 v[21:22], 1, v[21:22]
	v_add_co_u32_e64 v21, s[44:45], s66, v21
	v_addc_co_u32_e64 v22, s[44:45], v99, v22, s[44:45]
	global_store_short v[21:22], v103, off
	s_or_b64 exec, exec, s[46:47]
	v_cmp_lt_u32_e64 s[44:45], v32, v96
	s_and_saveexec_b64 s[48:49], s[44:45]
	s_cbranch_execz .LBB1980_454
.LBB1980_490:                           ;   in Loop: Header=BB1980_402 Depth=2
	ds_read_u16 v21, v47 offset:3584
	v_mov_b32_e32 v22, v3
	v_mov_b32_e32 v99, s67
	s_waitcnt lgkmcnt(0)
	v_cmp_ne_u16_e64 s[46:47], s62, v21
	v_cndmask_b32_e64 v97, v65, v21, s[46:47]
	v_lshrrev_b32_sdwa v97, s77, v97 dst_sel:DWORD dst_unused:UNUSED_PAD src0_sel:DWORD src1_sel:WORD_0
	v_and_b32_e32 v97, s70, v97
	v_lshlrev_b32_e32 v97, 2, v97
	ds_read_b32 v97, v97
	v_cmp_gt_i16_e64 s[46:47], 0, v21
	v_cndmask_b32_e64 v103, v65, 0, s[46:47]
	v_xor_b32_e32 v103, v103, v21
	s_waitcnt lgkmcnt(0)
	v_add_u32_e32 v21, v97, v32
	v_lshlrev_b64 v[21:22], 1, v[21:22]
	v_add_co_u32_e64 v21, s[46:47], s66, v21
	v_addc_co_u32_e64 v22, s[46:47], v99, v22, s[46:47]
	global_store_short v[21:22], v103, off
	s_or_b64 exec, exec, s[48:49]
	v_cmp_lt_u32_e64 s[46:47], v33, v96
	s_and_saveexec_b64 s[52:53], s[46:47]
	s_cbranch_execz .LBB1980_455
.LBB1980_491:                           ;   in Loop: Header=BB1980_402 Depth=2
	ds_read_u16 v21, v47 offset:4096
	v_mov_b32_e32 v22, v3
	v_mov_b32_e32 v99, s67
	s_waitcnt lgkmcnt(0)
	v_cmp_ne_u16_e64 s[48:49], s62, v21
	v_cndmask_b32_e64 v97, v65, v21, s[48:49]
	v_lshrrev_b32_sdwa v97, s77, v97 dst_sel:DWORD dst_unused:UNUSED_PAD src0_sel:DWORD src1_sel:WORD_0
	v_and_b32_e32 v97, s70, v97
	v_lshlrev_b32_e32 v97, 2, v97
	ds_read_b32 v97, v97
	v_cmp_gt_i16_e64 s[48:49], 0, v21
	v_cndmask_b32_e64 v103, v65, 0, s[48:49]
	v_xor_b32_e32 v103, v103, v21
	s_waitcnt lgkmcnt(0)
	v_add_u32_e32 v21, v97, v33
	v_lshlrev_b64 v[21:22], 1, v[21:22]
	v_add_co_u32_e64 v21, s[48:49], s66, v21
	v_addc_co_u32_e64 v22, s[48:49], v99, v22, s[48:49]
	global_store_short v[21:22], v103, off
	s_or_b64 exec, exec, s[52:53]
	v_cmp_lt_u32_e64 s[48:49], v34, v96
	s_and_saveexec_b64 s[60:61], s[48:49]
	s_cbranch_execnz .LBB1980_456
	s_branch .LBB1980_457
.LBB1980_492:                           ;   in Loop: Header=BB1980_402 Depth=2
	global_load_dwordx2 v[19:20], v[21:22], off
	s_or_b64 exec, exec, s[52:53]
	v_cmp_lt_u32_e64 s[52:53], v74, v96
	s_and_saveexec_b64 s[60:61], s[52:53]
	s_cbranch_execz .LBB1980_459
.LBB1980_493:                           ;   in Loop: Header=BB1980_402 Depth=2
	global_load_dwordx2 v[17:18], v[21:22], off offset:512
	s_or_b64 exec, exec, s[60:61]
	v_cmp_lt_u32_e64 s[52:53], v75, v96
	s_and_saveexec_b64 s[60:61], s[52:53]
	s_cbranch_execz .LBB1980_460
.LBB1980_494:                           ;   in Loop: Header=BB1980_402 Depth=2
	global_load_dwordx2 v[15:16], v[21:22], off offset:1024
	s_or_b64 exec, exec, s[60:61]
	v_cmp_lt_u32_e64 s[52:53], v76, v96
	s_and_saveexec_b64 s[60:61], s[52:53]
	s_cbranch_execz .LBB1980_461
.LBB1980_495:                           ;   in Loop: Header=BB1980_402 Depth=2
	global_load_dwordx2 v[13:14], v[21:22], off offset:1536
	s_or_b64 exec, exec, s[60:61]
	v_cmp_lt_u32_e64 s[52:53], v77, v96
	s_and_saveexec_b64 s[60:61], s[52:53]
	s_cbranch_execz .LBB1980_462
.LBB1980_496:                           ;   in Loop: Header=BB1980_402 Depth=2
	global_load_dwordx2 v[11:12], v[21:22], off offset:2048
	s_or_b64 exec, exec, s[60:61]
	v_cmp_lt_u32_e64 s[52:53], v78, v96
	s_and_saveexec_b64 s[60:61], s[52:53]
	s_cbranch_execz .LBB1980_463
.LBB1980_497:                           ;   in Loop: Header=BB1980_402 Depth=2
	global_load_dwordx2 v[9:10], v[21:22], off offset:2560
	s_or_b64 exec, exec, s[60:61]
	v_cmp_lt_u32_e64 s[52:53], v79, v96
	s_and_saveexec_b64 s[60:61], s[52:53]
	s_cbranch_execz .LBB1980_464
.LBB1980_498:                           ;   in Loop: Header=BB1980_402 Depth=2
	global_load_dwordx2 v[7:8], v[21:22], off offset:3072
	s_or_b64 exec, exec, s[60:61]
	v_cmp_lt_u32_e64 s[52:53], v80, v96
	s_and_saveexec_b64 s[60:61], s[52:53]
	s_cbranch_execz .LBB1980_465
.LBB1980_499:                           ;   in Loop: Header=BB1980_402 Depth=2
	global_load_dwordx2 v[5:6], v[21:22], off offset:3584
	s_or_b64 exec, exec, s[60:61]
	s_and_saveexec_b64 s[60:61], vcc
	s_cbranch_execz .LBB1980_466
.LBB1980_500:                           ;   in Loop: Header=BB1980_402 Depth=2
	ds_read_u16 v21, v47 offset:1024
	s_waitcnt lgkmcnt(0)
	v_cmp_ne_u16_e64 s[52:53], s62, v21
	v_cndmask_b32_e64 v21, v65, v21, s[52:53]
	v_lshrrev_b32_sdwa v21, s77, v21 dst_sel:DWORD dst_unused:UNUSED_PAD src0_sel:DWORD src1_sel:WORD_0
	v_and_b32_e32 v95, s70, v21
	s_or_b64 exec, exec, s[60:61]
	s_and_saveexec_b64 s[60:61], s[36:37]
	s_cbranch_execz .LBB1980_467
.LBB1980_501:                           ;   in Loop: Header=BB1980_402 Depth=2
	ds_read_u16 v21, v47 offset:1536
	s_waitcnt lgkmcnt(0)
	v_cmp_ne_u16_e64 s[52:53], s62, v21
	v_cndmask_b32_e64 v21, v65, v21, s[52:53]
	v_lshrrev_b32_sdwa v21, s77, v21 dst_sel:DWORD dst_unused:UNUSED_PAD src0_sel:DWORD src1_sel:WORD_0
	v_and_b32_e32 v94, s70, v21
	s_or_b64 exec, exec, s[60:61]
	s_and_saveexec_b64 s[60:61], s[38:39]
	s_cbranch_execz .LBB1980_468
.LBB1980_502:                           ;   in Loop: Header=BB1980_402 Depth=2
	ds_read_u16 v21, v47 offset:2048
	s_waitcnt lgkmcnt(0)
	v_cmp_ne_u16_e64 s[52:53], s62, v21
	v_cndmask_b32_e64 v21, v65, v21, s[52:53]
	v_lshrrev_b32_sdwa v21, s77, v21 dst_sel:DWORD dst_unused:UNUSED_PAD src0_sel:DWORD src1_sel:WORD_0
	v_and_b32_e32 v93, s70, v21
	s_or_b64 exec, exec, s[60:61]
	s_and_saveexec_b64 s[60:61], s[40:41]
	s_cbranch_execz .LBB1980_469
.LBB1980_503:                           ;   in Loop: Header=BB1980_402 Depth=2
	ds_read_u16 v21, v47 offset:2560
	s_waitcnt lgkmcnt(0)
	v_cmp_ne_u16_e64 s[52:53], s62, v21
	v_cndmask_b32_e64 v21, v65, v21, s[52:53]
	v_lshrrev_b32_sdwa v21, s77, v21 dst_sel:DWORD dst_unused:UNUSED_PAD src0_sel:DWORD src1_sel:WORD_0
	v_and_b32_e32 v92, s70, v21
	s_or_b64 exec, exec, s[60:61]
	s_and_saveexec_b64 s[60:61], s[42:43]
	s_cbranch_execz .LBB1980_470
.LBB1980_504:                           ;   in Loop: Header=BB1980_402 Depth=2
	ds_read_u16 v21, v47 offset:3072
	s_waitcnt lgkmcnt(0)
	v_cmp_ne_u16_e64 s[52:53], s62, v21
	v_cndmask_b32_e64 v21, v65, v21, s[52:53]
	v_lshrrev_b32_sdwa v21, s77, v21 dst_sel:DWORD dst_unused:UNUSED_PAD src0_sel:DWORD src1_sel:WORD_0
	v_and_b32_e32 v90, s70, v21
	s_or_b64 exec, exec, s[60:61]
	s_and_saveexec_b64 s[60:61], s[44:45]
	s_cbranch_execz .LBB1980_471
.LBB1980_505:                           ;   in Loop: Header=BB1980_402 Depth=2
	ds_read_u16 v21, v47 offset:3584
	s_waitcnt lgkmcnt(0)
	v_cmp_ne_u16_e64 s[52:53], s62, v21
	v_cndmask_b32_e64 v21, v65, v21, s[52:53]
	v_lshrrev_b32_sdwa v21, s77, v21 dst_sel:DWORD dst_unused:UNUSED_PAD src0_sel:DWORD src1_sel:WORD_0
	v_and_b32_e32 v89, s70, v21
	s_or_b64 exec, exec, s[60:61]
	s_and_saveexec_b64 s[60:61], s[46:47]
	s_cbranch_execz .LBB1980_472
.LBB1980_506:                           ;   in Loop: Header=BB1980_402 Depth=2
	ds_read_u16 v21, v47 offset:4096
	s_waitcnt lgkmcnt(0)
	v_cmp_ne_u16_e64 s[52:53], s62, v21
	v_cndmask_b32_e64 v21, v65, v21, s[52:53]
	v_lshrrev_b32_sdwa v21, s77, v21 dst_sel:DWORD dst_unused:UNUSED_PAD src0_sel:DWORD src1_sel:WORD_0
	v_and_b32_e32 v88, s70, v21
	s_or_b64 exec, exec, s[60:61]
	s_and_saveexec_b64 s[60:61], s[48:49]
	s_cbranch_execnz .LBB1980_473
	s_branch .LBB1980_474
.LBB1980_507:                           ;   in Loop: Header=BB1980_402 Depth=2
	v_lshlrev_b32_e32 v21, 2, v95
	ds_read_b32 v23, v21
	v_add_u32_e32 v21, v47, v48
	ds_read_b64 v[21:22], v21 offset:1024
	v_mov_b32_e32 v24, v3
	v_mov_b32_e32 v96, s73
	s_waitcnt lgkmcnt(1)
	v_add_u32_e32 v23, v23, v0
	v_lshlrev_b64 v[23:24], 3, v[23:24]
	v_add_co_u32_e32 v23, vcc, s72, v23
	v_addc_co_u32_e32 v24, vcc, v96, v24, vcc
	s_waitcnt lgkmcnt(0)
	global_store_dwordx2 v[23:24], v[21:22], off
	s_or_b64 exec, exec, s[52:53]
	s_and_saveexec_b64 s[52:53], s[36:37]
	s_cbranch_execz .LBB1980_476
.LBB1980_508:                           ;   in Loop: Header=BB1980_402 Depth=2
	v_lshlrev_b32_e32 v21, 2, v94
	ds_read_b32 v23, v21
	v_add_u32_e32 v21, v47, v48
	ds_read_b64 v[21:22], v21 offset:3072
	v_mov_b32_e32 v24, v3
	v_mov_b32_e32 v96, s73
	s_waitcnt lgkmcnt(1)
	v_add_u32_e32 v23, v23, v26
	v_lshlrev_b64 v[23:24], 3, v[23:24]
	v_add_co_u32_e32 v23, vcc, s72, v23
	v_addc_co_u32_e32 v24, vcc, v96, v24, vcc
	s_waitcnt lgkmcnt(0)
	global_store_dwordx2 v[23:24], v[21:22], off
	s_or_b64 exec, exec, s[52:53]
	s_and_saveexec_b64 s[36:37], s[38:39]
	s_cbranch_execz .LBB1980_477
.LBB1980_509:                           ;   in Loop: Header=BB1980_402 Depth=2
	v_lshlrev_b32_e32 v21, 2, v93
	ds_read_b32 v23, v21
	v_add_u32_e32 v21, v47, v48
	ds_read_b64 v[21:22], v21 offset:5120
	v_mov_b32_e32 v24, v3
	v_mov_b32_e32 v96, s73
	s_waitcnt lgkmcnt(1)
	v_add_u32_e32 v23, v23, v27
	v_lshlrev_b64 v[23:24], 3, v[23:24]
	v_add_co_u32_e32 v23, vcc, s72, v23
	v_addc_co_u32_e32 v24, vcc, v96, v24, vcc
	s_waitcnt lgkmcnt(0)
	global_store_dwordx2 v[23:24], v[21:22], off
	s_or_b64 exec, exec, s[36:37]
	s_and_saveexec_b64 s[36:37], s[40:41]
	s_cbranch_execz .LBB1980_478
.LBB1980_510:                           ;   in Loop: Header=BB1980_402 Depth=2
	v_lshlrev_b32_e32 v21, 2, v92
	ds_read_b32 v23, v21
	v_add_u32_e32 v21, v47, v48
	ds_read_b64 v[21:22], v21 offset:7168
	v_mov_b32_e32 v24, v3
	v_mov_b32_e32 v96, s73
	s_waitcnt lgkmcnt(1)
	v_add_u32_e32 v23, v23, v28
	v_lshlrev_b64 v[23:24], 3, v[23:24]
	v_add_co_u32_e32 v23, vcc, s72, v23
	v_addc_co_u32_e32 v24, vcc, v96, v24, vcc
	s_waitcnt lgkmcnt(0)
	global_store_dwordx2 v[23:24], v[21:22], off
	s_or_b64 exec, exec, s[36:37]
	s_and_saveexec_b64 s[36:37], s[42:43]
	s_cbranch_execz .LBB1980_479
.LBB1980_511:                           ;   in Loop: Header=BB1980_402 Depth=2
	v_lshlrev_b32_e32 v21, 2, v90
	ds_read_b32 v23, v21
	v_add_u32_e32 v21, v47, v48
	ds_read_b64 v[21:22], v21 offset:9216
	v_mov_b32_e32 v24, v3
	v_mov_b32_e32 v96, s73
	s_waitcnt lgkmcnt(1)
	v_add_u32_e32 v23, v23, v31
	v_lshlrev_b64 v[23:24], 3, v[23:24]
	v_add_co_u32_e32 v23, vcc, s72, v23
	v_addc_co_u32_e32 v24, vcc, v96, v24, vcc
	s_waitcnt lgkmcnt(0)
	global_store_dwordx2 v[23:24], v[21:22], off
	s_or_b64 exec, exec, s[36:37]
	s_and_saveexec_b64 s[36:37], s[44:45]
	s_cbranch_execz .LBB1980_480
.LBB1980_512:                           ;   in Loop: Header=BB1980_402 Depth=2
	v_lshlrev_b32_e32 v21, 2, v89
	ds_read_b32 v23, v21
	v_add_u32_e32 v21, v47, v48
	ds_read_b64 v[21:22], v21 offset:11264
	v_mov_b32_e32 v24, v3
	v_mov_b32_e32 v96, s73
	s_waitcnt lgkmcnt(1)
	v_add_u32_e32 v23, v23, v32
	v_lshlrev_b64 v[23:24], 3, v[23:24]
	v_add_co_u32_e32 v23, vcc, s72, v23
	v_addc_co_u32_e32 v24, vcc, v96, v24, vcc
	s_waitcnt lgkmcnt(0)
	global_store_dwordx2 v[23:24], v[21:22], off
	s_or_b64 exec, exec, s[36:37]
	s_and_saveexec_b64 s[36:37], s[46:47]
	s_cbranch_execz .LBB1980_481
.LBB1980_513:                           ;   in Loop: Header=BB1980_402 Depth=2
	v_lshlrev_b32_e32 v21, 2, v88
	ds_read_b32 v23, v21
	v_add_u32_e32 v21, v47, v48
	ds_read_b64 v[21:22], v21 offset:13312
	v_mov_b32_e32 v24, v3
	v_mov_b32_e32 v96, s73
	s_waitcnt lgkmcnt(1)
	v_add_u32_e32 v23, v23, v33
	v_lshlrev_b64 v[23:24], 3, v[23:24]
	v_add_co_u32_e32 v23, vcc, s72, v23
	v_addc_co_u32_e32 v24, vcc, v96, v24, vcc
	s_waitcnt lgkmcnt(0)
	global_store_dwordx2 v[23:24], v[21:22], off
	s_or_b64 exec, exec, s[36:37]
	s_and_saveexec_b64 s[36:37], s[48:49]
	s_cbranch_execnz .LBB1980_482
	s_branch .LBB1980_483
.LBB1980_514:                           ;   in Loop: Header=BB1980_20 Depth=1
	s_waitcnt lgkmcnt(0)
	s_barrier
	s_mov_b64 s[16:17], 0
.LBB1980_515:                           ;   in Loop: Header=BB1980_20 Depth=1
	s_and_b64 vcc, exec, s[16:17]
	s_cbranch_vccz .LBB1980_19
; %bb.516:                              ;   in Loop: Header=BB1980_20 Depth=1
	s_mov_b32 s20, s79
	s_mov_b32 s58, s51
	s_barrier
                                        ; implicit-def: $vgpr4
                                        ; implicit-def: $vgpr5
                                        ; implicit-def: $vgpr6
                                        ; implicit-def: $vgpr7
                                        ; implicit-def: $vgpr8
                                        ; implicit-def: $vgpr9
                                        ; implicit-def: $vgpr10
                                        ; implicit-def: $vgpr11
	s_branch .LBB1980_518
.LBB1980_517:                           ;   in Loop: Header=BB1980_518 Depth=2
	s_or_b64 exec, exec, s[16:17]
	s_addk_i32 s20, 0xf800
	s_cmp_ge_u32 s21, s80
	s_mov_b32 s58, s21
	s_cbranch_scc1 .LBB1980_554
.LBB1980_518:                           ;   Parent Loop BB1980_20 Depth=1
                                        ; =>  This Inner Loop Header: Depth=2
	s_add_i32 s21, s58, 0x800
	s_cmp_gt_u32 s21, s80
	s_mov_b64 s[16:17], -1
                                        ; implicit-def: $vgpr12
                                        ; implicit-def: $vgpr13
                                        ; implicit-def: $vgpr14
                                        ; implicit-def: $vgpr15
                                        ; implicit-def: $vgpr16
                                        ; implicit-def: $vgpr17
                                        ; implicit-def: $vgpr18
                                        ; implicit-def: $vgpr19
	s_cbranch_scc1 .LBB1980_520
; %bb.519:                              ;   in Loop: Header=BB1980_518 Depth=2
	s_lshl_b64 s[16:17], s[58:59], 1
	v_mov_b32_e32 v12, s17
	v_add_co_u32_e32 v20, vcc, s16, v55
	v_addc_co_u32_e32 v21, vcc, v56, v12, vcc
	global_load_ushort v12, v[20:21], off
	global_load_ushort v13, v[20:21], off offset:512
	global_load_ushort v14, v[20:21], off offset:1024
	;; [unrolled: 1-line block ×7, first 2 shown]
	s_mov_b64 s[16:17], 0
.LBB1980_520:                           ;   in Loop: Header=BB1980_518 Depth=2
	s_andn2_b64 vcc, exec, s[16:17]
	s_movk_i32 s18, 0x800
	s_cbranch_vccnz .LBB1980_531
; %bb.521:                              ;   in Loop: Header=BB1980_518 Depth=2
	s_lshl_b64 s[16:17], s[58:59], 1
	s_add_u32 s16, s64, s16
	s_addc_u32 s17, s65, s17
	v_cmp_gt_u32_e32 vcc, s20, v0
	s_and_saveexec_b64 s[18:19], vcc
	s_cbranch_execnz .LBB1980_547
; %bb.522:                              ;   in Loop: Header=BB1980_518 Depth=2
	s_or_b64 exec, exec, s[18:19]
	v_cmp_gt_u32_e32 vcc, s20, v26
	s_and_saveexec_b64 s[18:19], vcc
	s_cbranch_execnz .LBB1980_548
.LBB1980_523:                           ;   in Loop: Header=BB1980_518 Depth=2
	s_or_b64 exec, exec, s[18:19]
	v_cmp_gt_u32_e32 vcc, s20, v27
	s_and_saveexec_b64 s[18:19], vcc
	s_cbranch_execnz .LBB1980_549
.LBB1980_524:                           ;   in Loop: Header=BB1980_518 Depth=2
	s_or_b64 exec, exec, s[18:19]
	v_cmp_gt_u32_e32 vcc, s20, v28
	s_and_saveexec_b64 s[18:19], vcc
	s_cbranch_execnz .LBB1980_550
.LBB1980_525:                           ;   in Loop: Header=BB1980_518 Depth=2
	s_or_b64 exec, exec, s[18:19]
	v_cmp_gt_u32_e32 vcc, s20, v31
	s_and_saveexec_b64 s[18:19], vcc
	s_cbranch_execnz .LBB1980_551
.LBB1980_526:                           ;   in Loop: Header=BB1980_518 Depth=2
	s_or_b64 exec, exec, s[18:19]
	v_cmp_gt_u32_e32 vcc, s20, v32
	s_and_saveexec_b64 s[18:19], vcc
	s_cbranch_execnz .LBB1980_552
.LBB1980_527:                           ;   in Loop: Header=BB1980_518 Depth=2
	s_or_b64 exec, exec, s[18:19]
	v_cmp_gt_u32_e32 vcc, s20, v33
	s_and_saveexec_b64 s[18:19], vcc
	s_cbranch_execnz .LBB1980_553
.LBB1980_528:                           ;   in Loop: Header=BB1980_518 Depth=2
	s_or_b64 exec, exec, s[18:19]
	v_cmp_gt_u32_e32 vcc, s20, v34
	s_and_saveexec_b64 s[18:19], vcc
	s_cbranch_execz .LBB1980_530
.LBB1980_529:                           ;   in Loop: Header=BB1980_518 Depth=2
	global_load_ushort v4, v64, s[16:17] offset:3584
.LBB1980_530:                           ;   in Loop: Header=BB1980_518 Depth=2
	s_or_b64 exec, exec, s[18:19]
	s_mov_b32 s18, s20
	s_waitcnt vmcnt(0)
	v_mov_b32_e32 v12, v11
	v_mov_b32_e32 v13, v10
	;; [unrolled: 1-line block ×8, first 2 shown]
.LBB1980_531:                           ;   in Loop: Header=BB1980_518 Depth=2
	s_waitcnt vmcnt(0)
	v_mov_b32_e32 v4, v19
	v_mov_b32_e32 v5, v18
	;; [unrolled: 1-line block ×8, first 2 shown]
	v_cmp_gt_u32_e32 vcc, s18, v0
	s_and_saveexec_b64 s[16:17], vcc
	s_cbranch_execnz .LBB1980_539
; %bb.532:                              ;   in Loop: Header=BB1980_518 Depth=2
	s_or_b64 exec, exec, s[16:17]
	v_cmp_gt_u32_e32 vcc, s18, v26
	s_and_saveexec_b64 s[16:17], vcc
	s_cbranch_execnz .LBB1980_540
.LBB1980_533:                           ;   in Loop: Header=BB1980_518 Depth=2
	s_or_b64 exec, exec, s[16:17]
	v_cmp_gt_u32_e32 vcc, s18, v27
	s_and_saveexec_b64 s[16:17], vcc
	s_cbranch_execnz .LBB1980_541
.LBB1980_534:                           ;   in Loop: Header=BB1980_518 Depth=2
	s_or_b64 exec, exec, s[16:17]
	v_cmp_gt_u32_e32 vcc, s18, v28
	s_and_saveexec_b64 s[16:17], vcc
	s_cbranch_execnz .LBB1980_542
.LBB1980_535:                           ;   in Loop: Header=BB1980_518 Depth=2
	s_or_b64 exec, exec, s[16:17]
	v_cmp_gt_u32_e32 vcc, s18, v31
	s_and_saveexec_b64 s[16:17], vcc
	s_cbranch_execnz .LBB1980_543
.LBB1980_536:                           ;   in Loop: Header=BB1980_518 Depth=2
	s_or_b64 exec, exec, s[16:17]
	v_cmp_gt_u32_e32 vcc, s18, v32
	s_and_saveexec_b64 s[16:17], vcc
	s_cbranch_execnz .LBB1980_544
.LBB1980_537:                           ;   in Loop: Header=BB1980_518 Depth=2
	s_or_b64 exec, exec, s[16:17]
	v_cmp_gt_u32_e32 vcc, s18, v33
	s_and_saveexec_b64 s[16:17], vcc
	s_cbranch_execnz .LBB1980_545
.LBB1980_538:                           ;   in Loop: Header=BB1980_518 Depth=2
	s_or_b64 exec, exec, s[16:17]
	v_cmp_gt_u32_e32 vcc, s18, v34
	s_and_saveexec_b64 s[16:17], vcc
	s_cbranch_execz .LBB1980_517
	s_branch .LBB1980_546
.LBB1980_539:                           ;   in Loop: Header=BB1980_518 Depth=2
	v_cmp_gt_i16_e32 vcc, 0, v11
	v_cndmask_b32_e64 v12, v65, 0, vcc
	v_xor_b32_e32 v12, v12, v11
	v_cmp_ne_u16_e32 vcc, s62, v12
	v_cndmask_b32_e32 v12, v65, v12, vcc
	v_lshrrev_b32_sdwa v12, s77, v12 dst_sel:DWORD dst_unused:UNUSED_PAD src0_sel:DWORD src1_sel:WORD_0
	v_and_b32_e32 v12, s70, v12
	v_lshl_or_b32 v12, v12, 4, v35
	ds_add_u32 v12, v61
	s_or_b64 exec, exec, s[16:17]
	v_cmp_gt_u32_e32 vcc, s18, v26
	s_and_saveexec_b64 s[16:17], vcc
	s_cbranch_execz .LBB1980_533
.LBB1980_540:                           ;   in Loop: Header=BB1980_518 Depth=2
	v_cmp_gt_i16_e32 vcc, 0, v10
	v_cndmask_b32_e64 v12, v65, 0, vcc
	v_xor_b32_e32 v12, v12, v10
	v_cmp_ne_u16_e32 vcc, s62, v12
	v_cndmask_b32_e32 v12, v65, v12, vcc
	v_lshrrev_b32_sdwa v12, s77, v12 dst_sel:DWORD dst_unused:UNUSED_PAD src0_sel:DWORD src1_sel:WORD_0
	v_and_b32_e32 v12, s70, v12
	v_lshl_or_b32 v12, v12, 4, v35
	ds_add_u32 v12, v61
	s_or_b64 exec, exec, s[16:17]
	v_cmp_gt_u32_e32 vcc, s18, v27
	s_and_saveexec_b64 s[16:17], vcc
	s_cbranch_execz .LBB1980_534
.LBB1980_541:                           ;   in Loop: Header=BB1980_518 Depth=2
	v_cmp_gt_i16_e32 vcc, 0, v9
	v_cndmask_b32_e64 v12, v65, 0, vcc
	v_xor_b32_e32 v12, v12, v9
	v_cmp_ne_u16_e32 vcc, s62, v12
	v_cndmask_b32_e32 v12, v65, v12, vcc
	v_lshrrev_b32_sdwa v12, s77, v12 dst_sel:DWORD dst_unused:UNUSED_PAD src0_sel:DWORD src1_sel:WORD_0
	v_and_b32_e32 v12, s70, v12
	v_lshl_or_b32 v12, v12, 4, v35
	ds_add_u32 v12, v61
	s_or_b64 exec, exec, s[16:17]
	v_cmp_gt_u32_e32 vcc, s18, v28
	s_and_saveexec_b64 s[16:17], vcc
	s_cbranch_execz .LBB1980_535
.LBB1980_542:                           ;   in Loop: Header=BB1980_518 Depth=2
	v_cmp_gt_i16_e32 vcc, 0, v8
	v_cndmask_b32_e64 v12, v65, 0, vcc
	v_xor_b32_e32 v12, v12, v8
	v_cmp_ne_u16_e32 vcc, s62, v12
	v_cndmask_b32_e32 v12, v65, v12, vcc
	v_lshrrev_b32_sdwa v12, s77, v12 dst_sel:DWORD dst_unused:UNUSED_PAD src0_sel:DWORD src1_sel:WORD_0
	v_and_b32_e32 v12, s70, v12
	v_lshl_or_b32 v12, v12, 4, v35
	ds_add_u32 v12, v61
	s_or_b64 exec, exec, s[16:17]
	v_cmp_gt_u32_e32 vcc, s18, v31
	s_and_saveexec_b64 s[16:17], vcc
	s_cbranch_execz .LBB1980_536
.LBB1980_543:                           ;   in Loop: Header=BB1980_518 Depth=2
	v_cmp_gt_i16_e32 vcc, 0, v7
	v_cndmask_b32_e64 v12, v65, 0, vcc
	v_xor_b32_e32 v12, v12, v7
	v_cmp_ne_u16_e32 vcc, s62, v12
	v_cndmask_b32_e32 v12, v65, v12, vcc
	v_lshrrev_b32_sdwa v12, s77, v12 dst_sel:DWORD dst_unused:UNUSED_PAD src0_sel:DWORD src1_sel:WORD_0
	v_and_b32_e32 v12, s70, v12
	v_lshl_or_b32 v12, v12, 4, v35
	ds_add_u32 v12, v61
	s_or_b64 exec, exec, s[16:17]
	v_cmp_gt_u32_e32 vcc, s18, v32
	s_and_saveexec_b64 s[16:17], vcc
	s_cbranch_execz .LBB1980_537
.LBB1980_544:                           ;   in Loop: Header=BB1980_518 Depth=2
	v_cmp_gt_i16_e32 vcc, 0, v6
	v_cndmask_b32_e64 v12, v65, 0, vcc
	v_xor_b32_e32 v12, v12, v6
	v_cmp_ne_u16_e32 vcc, s62, v12
	v_cndmask_b32_e32 v12, v65, v12, vcc
	v_lshrrev_b32_sdwa v12, s77, v12 dst_sel:DWORD dst_unused:UNUSED_PAD src0_sel:DWORD src1_sel:WORD_0
	v_and_b32_e32 v12, s70, v12
	v_lshl_or_b32 v12, v12, 4, v35
	ds_add_u32 v12, v61
	s_or_b64 exec, exec, s[16:17]
	v_cmp_gt_u32_e32 vcc, s18, v33
	s_and_saveexec_b64 s[16:17], vcc
	s_cbranch_execz .LBB1980_538
.LBB1980_545:                           ;   in Loop: Header=BB1980_518 Depth=2
	v_cmp_gt_i16_e32 vcc, 0, v5
	v_cndmask_b32_e64 v12, v65, 0, vcc
	v_xor_b32_e32 v12, v12, v5
	v_cmp_ne_u16_e32 vcc, s62, v12
	v_cndmask_b32_e32 v12, v65, v12, vcc
	v_lshrrev_b32_sdwa v12, s77, v12 dst_sel:DWORD dst_unused:UNUSED_PAD src0_sel:DWORD src1_sel:WORD_0
	v_and_b32_e32 v12, s70, v12
	v_lshl_or_b32 v12, v12, 4, v35
	ds_add_u32 v12, v61
	s_or_b64 exec, exec, s[16:17]
	v_cmp_gt_u32_e32 vcc, s18, v34
	s_and_saveexec_b64 s[16:17], vcc
	s_cbranch_execz .LBB1980_517
.LBB1980_546:                           ;   in Loop: Header=BB1980_518 Depth=2
	v_cmp_gt_i16_e32 vcc, 0, v4
	v_cndmask_b32_e64 v12, v65, 0, vcc
	v_xor_b32_e32 v12, v12, v4
	v_cmp_ne_u16_e32 vcc, s62, v12
	v_cndmask_b32_e32 v12, v65, v12, vcc
	v_lshrrev_b32_sdwa v12, s77, v12 dst_sel:DWORD dst_unused:UNUSED_PAD src0_sel:DWORD src1_sel:WORD_0
	v_and_b32_e32 v12, s70, v12
	v_lshl_or_b32 v12, v12, 4, v35
	ds_add_u32 v12, v61
	s_branch .LBB1980_517
.LBB1980_547:                           ;   in Loop: Header=BB1980_518 Depth=2
	global_load_ushort v11, v64, s[16:17]
	s_or_b64 exec, exec, s[18:19]
	v_cmp_gt_u32_e32 vcc, s20, v26
	s_and_saveexec_b64 s[18:19], vcc
	s_cbranch_execz .LBB1980_523
.LBB1980_548:                           ;   in Loop: Header=BB1980_518 Depth=2
	global_load_ushort v10, v64, s[16:17] offset:512
	s_or_b64 exec, exec, s[18:19]
	v_cmp_gt_u32_e32 vcc, s20, v27
	s_and_saveexec_b64 s[18:19], vcc
	s_cbranch_execz .LBB1980_524
.LBB1980_549:                           ;   in Loop: Header=BB1980_518 Depth=2
	global_load_ushort v9, v64, s[16:17] offset:1024
	s_or_b64 exec, exec, s[18:19]
	v_cmp_gt_u32_e32 vcc, s20, v28
	s_and_saveexec_b64 s[18:19], vcc
	s_cbranch_execz .LBB1980_525
.LBB1980_550:                           ;   in Loop: Header=BB1980_518 Depth=2
	global_load_ushort v8, v64, s[16:17] offset:1536
	s_or_b64 exec, exec, s[18:19]
	v_cmp_gt_u32_e32 vcc, s20, v31
	s_and_saveexec_b64 s[18:19], vcc
	s_cbranch_execz .LBB1980_526
.LBB1980_551:                           ;   in Loop: Header=BB1980_518 Depth=2
	global_load_ushort v7, v64, s[16:17] offset:2048
	s_or_b64 exec, exec, s[18:19]
	v_cmp_gt_u32_e32 vcc, s20, v32
	s_and_saveexec_b64 s[18:19], vcc
	s_cbranch_execz .LBB1980_527
.LBB1980_552:                           ;   in Loop: Header=BB1980_518 Depth=2
	global_load_ushort v6, v64, s[16:17] offset:2560
	s_or_b64 exec, exec, s[18:19]
	v_cmp_gt_u32_e32 vcc, s20, v33
	s_and_saveexec_b64 s[18:19], vcc
	s_cbranch_execz .LBB1980_528
.LBB1980_553:                           ;   in Loop: Header=BB1980_518 Depth=2
	global_load_ushort v5, v64, s[16:17] offset:3072
	s_or_b64 exec, exec, s[18:19]
	v_cmp_gt_u32_e32 vcc, s20, v34
	s_and_saveexec_b64 s[18:19], vcc
	s_cbranch_execnz .LBB1980_529
	s_branch .LBB1980_530
.LBB1980_554:                           ;   in Loop: Header=BB1980_20 Depth=1
	v_mov_b32_e32 v4, 0
	s_waitcnt lgkmcnt(0)
	s_barrier
	s_and_saveexec_b64 s[16:17], s[4:5]
	s_cbranch_execz .LBB1980_556
; %bb.555:                              ;   in Loop: Header=BB1980_20 Depth=1
	ds_read2_b64 v[4:7], v36 offset1:1
	s_waitcnt lgkmcnt(0)
	v_add_u32_e32 v4, v5, v4
	v_add3_u32 v4, v4, v6, v7
.LBB1980_556:                           ;   in Loop: Header=BB1980_20 Depth=1
	s_or_b64 exec, exec, s[16:17]
	s_nop 0
	v_mov_b32_dpp v5, v4 row_shr:1 row_mask:0xf bank_mask:0xf
	v_cmp_eq_u32_e64 s[16:17], 0, v67
	v_cndmask_b32_e64 v5, v5, 0, s[16:17]
	v_add_u32_e32 v4, v5, v4
	v_cmp_lt_u32_e64 s[18:19], 1, v67
	v_cmp_lt_u32_e64 s[20:21], 3, v67
	v_mov_b32_dpp v5, v4 row_shr:2 row_mask:0xf bank_mask:0xf
	v_cndmask_b32_e64 v5, 0, v5, s[18:19]
	v_add_u32_e32 v4, v4, v5
	v_cmp_lt_u32_e64 s[22:23], 7, v67
	v_cmp_lt_u32_e64 s[26:27], 31, v66
	v_mov_b32_dpp v5, v4 row_shr:4 row_mask:0xf bank_mask:0xf
	v_cndmask_b32_e64 v5, 0, v5, s[20:21]
	v_add_u32_e32 v4, v4, v5
	v_cmp_eq_u32_e64 s[24:25], 0, v69
	s_nop 0
	v_mov_b32_dpp v5, v4 row_shr:8 row_mask:0xf bank_mask:0xf
	v_cndmask_b32_e64 v5, 0, v5, s[22:23]
	v_add_u32_e32 v4, v4, v5
	s_nop 1
	v_mov_b32_dpp v5, v4 row_bcast:15 row_mask:0xf bank_mask:0xf
	v_and_b32_e32 v5, v68, v5
	v_add_u32_e32 v4, v4, v5
	s_nop 1
	v_mov_b32_dpp v5, v4 row_bcast:31 row_mask:0xf bank_mask:0xf
	v_cndmask_b32_e64 v5, 0, v5, s[26:27]
	v_add_u32_e32 v4, v4, v5
	s_and_saveexec_b64 s[28:29], s[6:7]
; %bb.557:                              ;   in Loop: Header=BB1980_20 Depth=1
	ds_write_b32 v38, v4
; %bb.558:                              ;   in Loop: Header=BB1980_20 Depth=1
	s_or_b64 exec, exec, s[28:29]
	s_waitcnt lgkmcnt(0)
	s_barrier
	s_and_saveexec_b64 s[28:29], s[8:9]
	s_cbranch_execz .LBB1980_560
; %bb.559:                              ;   in Loop: Header=BB1980_20 Depth=1
	ds_read_b32 v5, v39
	v_cmp_ne_u32_e32 vcc, 0, v70
	s_waitcnt lgkmcnt(0)
	v_mov_b32_dpp v6, v5 row_shr:1 row_mask:0xf bank_mask:0xf
	v_cndmask_b32_e32 v6, 0, v6, vcc
	v_add_u32_e32 v5, v6, v5
	v_cmp_lt_u32_e32 vcc, 1, v70
	s_nop 0
	v_mov_b32_dpp v6, v5 row_shr:2 row_mask:0xf bank_mask:0xf
	v_cndmask_b32_e32 v6, 0, v6, vcc
	v_add_u32_e32 v5, v5, v6
	ds_write_b32 v39, v5
.LBB1980_560:                           ;   in Loop: Header=BB1980_20 Depth=1
	s_or_b64 exec, exec, s[28:29]
	v_mov_b32_e32 v5, 0
	s_waitcnt lgkmcnt(0)
	s_barrier
	s_and_saveexec_b64 s[28:29], s[10:11]
; %bb.561:                              ;   in Loop: Header=BB1980_20 Depth=1
	ds_read_b32 v5, v40
; %bb.562:                              ;   in Loop: Header=BB1980_20 Depth=1
	s_or_b64 exec, exec, s[28:29]
	v_subrev_co_u32_e64 v6, s[28:29], 1, v66
	v_cmp_lt_i32_e32 vcc, v6, v71
	v_cndmask_b32_e32 v6, v6, v66, vcc
	s_waitcnt lgkmcnt(0)
	v_add_u32_e32 v4, v5, v4
	v_lshlrev_b32_e32 v82, 2, v6
	ds_bpermute_b32 v4, v82, v4
	s_waitcnt lgkmcnt(0)
	s_barrier
	s_and_saveexec_b64 s[30:31], s[4:5]
; %bb.563:                              ;   in Loop: Header=BB1980_20 Depth=1
	v_cndmask_b32_e64 v4, v4, v5, s[28:29]
	v_add_u32_e32 v4, s51, v4
	ds_write_b32 v25, v4
; %bb.564:                              ;   in Loop: Header=BB1980_20 Depth=1
	s_or_b64 exec, exec, s[30:31]
	s_load_dwordx2 s[30:31], s[56:57], 0x0
	v_add_co_u32_e32 v83, vcc, v57, v72
	v_addc_co_u32_e32 v84, vcc, 0, v58, vcc
	s_waitcnt lgkmcnt(0)
	s_cmp_lt_u32 s33, s31
	s_cselect_b32 s31, 14, 20
	s_add_u32 s34, s56, s31
	s_addc_u32 s35, s57, 0
	s_cmp_lt_u32 s50, s30
	s_cselect_b32 s30, 12, 18
	s_add_u32 s30, s56, s30
	global_load_ushort v4, v3, s[34:35]
	s_addc_u32 s31, s57, 0
	global_load_ushort v5, v3, s[30:31]
	v_add_co_u32_e32 v85, vcc, v59, v81
	v_cmp_eq_u32_e64 s[30:31], 0, v70
	v_cmp_lt_u32_e64 s[34:35], 1, v70
	v_addc_co_u32_e32 v86, vcc, 0, v60, vcc
	s_mov_b32 s71, s79
	s_mov_b32 s58, s51
                                        ; implicit-def: $vgpr7_vgpr8
                                        ; implicit-def: $vgpr9_vgpr10
                                        ; implicit-def: $vgpr11_vgpr12
                                        ; implicit-def: $vgpr13_vgpr14
                                        ; implicit-def: $vgpr15_vgpr16
                                        ; implicit-def: $vgpr17_vgpr18
                                        ; implicit-def: $vgpr19_vgpr20
                                        ; implicit-def: $vgpr87
                                        ; implicit-def: $vgpr88
                                        ; implicit-def: $vgpr89
                                        ; implicit-def: $vgpr90
                                        ; implicit-def: $vgpr92
                                        ; implicit-def: $vgpr93
                                        ; implicit-def: $vgpr94
                                        ; implicit-def: $vgpr95
	s_waitcnt vmcnt(1)
	v_mad_u32_u24 v4, v2, v4, v1
	s_waitcnt vmcnt(0)
	v_mad_u64_u32 v[4:5], s[36:37], v4, v5, v[0:1]
                                        ; implicit-def: $vgpr5_vgpr6
	v_lshrrev_b32_e32 v4, 4, v4
	v_and_b32_e32 v91, 0xffffffc, v4
	s_branch .LBB1980_566
.LBB1980_565:                           ;   in Loop: Header=BB1980_566 Depth=2
	s_or_b64 exec, exec, s[36:37]
	s_addk_i32 s71, 0xf800
	s_cmp_lt_u32 s76, s80
	s_mov_b32 s58, s76
	s_cbranch_scc0 .LBB1980_18
.LBB1980_566:                           ;   Parent Loop BB1980_20 Depth=1
                                        ; =>  This Inner Loop Header: Depth=2
	s_add_i32 s76, s58, 0x800
	s_cmp_gt_u32 s76, s80
	s_cbranch_scc1 .LBB1980_568
; %bb.567:                              ;   in Loop: Header=BB1980_566 Depth=2
	s_lshl_b64 s[36:37], s[58:59], 1
	v_mov_b32_e32 v4, s37
	v_add_co_u32_e32 v21, vcc, s36, v85
	v_addc_co_u32_e32 v22, vcc, v86, v4, vcc
	global_load_ushort v4, v[21:22], off
	global_load_ushort v99, v[21:22], off offset:128
	global_load_ushort v103, v[21:22], off offset:256
	;; [unrolled: 1-line block ×6, first 2 shown]
	s_mov_b64 s[36:37], -1
	s_movk_i32 s40, 0x800
	s_cbranch_execz .LBB1980_569
	s_branch .LBB1980_584
.LBB1980_568:                           ;   in Loop: Header=BB1980_566 Depth=2
	s_mov_b64 s[36:37], 0
                                        ; implicit-def: $vgpr4
                                        ; implicit-def: $vgpr99
                                        ; implicit-def: $vgpr103
                                        ; implicit-def: $vgpr107
                                        ; implicit-def: $vgpr112
                                        ; implicit-def: $vgpr108
                                        ; implicit-def: $vgpr24
	s_movk_i32 s40, 0x800
.LBB1980_569:                           ;   in Loop: Header=BB1980_566 Depth=2
	s_lshl_b64 s[36:37], s[58:59], 1
	s_waitcnt vmcnt(6)
	v_mov_b32_e32 v4, s37
	v_add_co_u32_e32 v21, vcc, s36, v85
	v_addc_co_u32_e32 v22, vcc, v86, v4, vcc
	v_cmp_gt_u32_e32 vcc, s71, v73
	s_waitcnt vmcnt(5)
	v_mov_b32_e32 v99, -1
	v_mov_b32_e32 v4, -1
	s_and_saveexec_b64 s[36:37], vcc
	s_cbranch_execz .LBB1980_571
; %bb.570:                              ;   in Loop: Header=BB1980_566 Depth=2
	global_load_ushort v4, v[21:22], off
.LBB1980_571:                           ;   in Loop: Header=BB1980_566 Depth=2
	s_or_b64 exec, exec, s[36:37]
	v_cmp_gt_u32_e32 vcc, s71, v74
	s_and_saveexec_b64 s[36:37], vcc
	s_cbranch_execz .LBB1980_573
; %bb.572:                              ;   in Loop: Header=BB1980_566 Depth=2
	global_load_ushort v99, v[21:22], off offset:128
.LBB1980_573:                           ;   in Loop: Header=BB1980_566 Depth=2
	s_or_b64 exec, exec, s[36:37]
	v_cmp_gt_u32_e32 vcc, s71, v75
	s_waitcnt vmcnt(3)
	v_mov_b32_e32 v107, -1
	v_mov_b32_e32 v103, -1
	s_and_saveexec_b64 s[36:37], vcc
	s_cbranch_execz .LBB1980_575
; %bb.574:                              ;   in Loop: Header=BB1980_566 Depth=2
	global_load_ushort v103, v[21:22], off offset:256
.LBB1980_575:                           ;   in Loop: Header=BB1980_566 Depth=2
	s_or_b64 exec, exec, s[36:37]
	v_cmp_gt_u32_e32 vcc, s71, v76
	s_and_saveexec_b64 s[36:37], vcc
	s_cbranch_execz .LBB1980_577
; %bb.576:                              ;   in Loop: Header=BB1980_566 Depth=2
	global_load_ushort v107, v[21:22], off offset:384
.LBB1980_577:                           ;   in Loop: Header=BB1980_566 Depth=2
	s_or_b64 exec, exec, s[36:37]
	v_cmp_gt_u32_e32 vcc, s71, v77
	s_waitcnt vmcnt(1)
	v_mov_b32_e32 v108, -1
	v_mov_b32_e32 v112, -1
	s_and_saveexec_b64 s[36:37], vcc
	s_cbranch_execz .LBB1980_579
; %bb.578:                              ;   in Loop: Header=BB1980_566 Depth=2
	global_load_ushort v112, v[21:22], off offset:512
.LBB1980_579:                           ;   in Loop: Header=BB1980_566 Depth=2
	s_or_b64 exec, exec, s[36:37]
	v_cmp_gt_u32_e32 vcc, s71, v78
	s_and_saveexec_b64 s[36:37], vcc
	s_cbranch_execz .LBB1980_581
; %bb.580:                              ;   in Loop: Header=BB1980_566 Depth=2
	global_load_ushort v108, v[21:22], off offset:640
.LBB1980_581:                           ;   in Loop: Header=BB1980_566 Depth=2
	s_or_b64 exec, exec, s[36:37]
	v_cmp_gt_u32_e32 vcc, s71, v79
	s_waitcnt vmcnt(0)
	v_mov_b32_e32 v24, -1
	s_and_saveexec_b64 s[36:37], vcc
	s_cbranch_execz .LBB1980_583
; %bb.582:                              ;   in Loop: Header=BB1980_566 Depth=2
	global_load_ushort v24, v[21:22], off offset:768
.LBB1980_583:                           ;   in Loop: Header=BB1980_566 Depth=2
	s_or_b64 exec, exec, s[36:37]
	s_sub_i32 s40, s80, s58
	v_cmp_gt_u32_e64 s[36:37], s71, v80
.LBB1980_584:                           ;   in Loop: Header=BB1980_566 Depth=2
	v_mov_b32_e32 v23, -1
	v_mov_b32_e32 v96, s71
	s_and_saveexec_b64 s[38:39], s[36:37]
	s_cbranch_execz .LBB1980_586
; %bb.585:                              ;   in Loop: Header=BB1980_566 Depth=2
	s_lshl_b64 s[36:37], s[58:59], 1
	v_mov_b32_e32 v22, s37
	v_add_co_u32_e32 v21, vcc, s36, v85
	v_addc_co_u32_e32 v22, vcc, v86, v22, vcc
	global_load_ushort v23, v[21:22], off offset:896
	v_mov_b32_e32 v96, s40
.LBB1980_586:                           ;   in Loop: Header=BB1980_566 Depth=2
	s_or_b64 exec, exec, s[38:39]
	s_waitcnt vmcnt(6)
	v_cmp_gt_i16_e32 vcc, 0, v4
	v_cndmask_b32_e64 v21, v65, 0, vcc
	v_xor_b32_e32 v97, v21, v4
	v_cmp_ne_u16_e32 vcc, s62, v97
	v_cndmask_b32_e32 v4, v65, v97, vcc
	v_lshrrev_b32_sdwa v4, s77, v4 dst_sel:DWORD dst_unused:UNUSED_PAD src0_sel:DWORD src1_sel:WORD_0
	v_and_b32_e32 v21, s70, v4
	v_and_b32_e32 v4, 1, v21
	v_add_co_u32_e32 v22, vcc, -1, v4
	v_addc_co_u32_e64 v98, s[36:37], 0, -1, vcc
	v_cmp_ne_u32_e32 vcc, 0, v4
	v_xor_b32_e32 v4, vcc_hi, v98
	v_and_b32_e32 v98, exec_hi, v4
	v_lshlrev_b32_e32 v4, 30, v21
	v_xor_b32_e32 v22, vcc_lo, v22
	v_cmp_gt_i64_e32 vcc, 0, v[3:4]
	v_not_b32_e32 v4, v4
	v_ashrrev_i32_e32 v4, 31, v4
	v_and_b32_e32 v22, exec_lo, v22
	v_xor_b32_e32 v101, vcc_hi, v4
	v_xor_b32_e32 v4, vcc_lo, v4
	v_and_b32_e32 v22, v22, v4
	v_lshlrev_b32_e32 v4, 29, v21
	v_cmp_gt_i64_e32 vcc, 0, v[3:4]
	v_not_b32_e32 v4, v4
	v_ashrrev_i32_e32 v4, 31, v4
	v_and_b32_e32 v98, v98, v101
	v_xor_b32_e32 v101, vcc_hi, v4
	v_xor_b32_e32 v4, vcc_lo, v4
	v_and_b32_e32 v22, v22, v4
	v_lshlrev_b32_e32 v4, 28, v21
	v_cmp_gt_i64_e32 vcc, 0, v[3:4]
	v_not_b32_e32 v4, v4
	v_ashrrev_i32_e32 v4, 31, v4
	v_and_b32_e32 v98, v98, v101
	;; [unrolled: 8-line block ×5, first 2 shown]
	v_xor_b32_e32 v101, vcc_hi, v4
	v_xor_b32_e32 v4, vcc_lo, v4
	v_and_b32_e32 v98, v98, v101
	v_and_b32_e32 v101, v22, v4
	v_lshlrev_b32_e32 v4, 24, v21
	v_cmp_gt_i64_e32 vcc, 0, v[3:4]
	v_not_b32_e32 v4, v4
	v_ashrrev_i32_e32 v4, 31, v4
	v_mul_u32_u24_e32 v100, 20, v21
	v_xor_b32_e32 v21, vcc_hi, v4
	v_xor_b32_e32 v4, vcc_lo, v4
	v_and_b32_e32 v22, v98, v21
	v_and_b32_e32 v21, v101, v4
	v_mbcnt_lo_u32_b32 v4, v21, 0
	v_mbcnt_hi_u32_b32 v98, v22, v4
	v_cmp_ne_u64_e32 vcc, 0, v[21:22]
	v_cmp_eq_u32_e64 s[36:37], 0, v98
	s_and_b64 s[38:39], vcc, s[36:37]
	v_add_u32_e32 v101, v91, v100
	ds_write2_b32 v62, v3, v3 offset1:1
	ds_write2_b32 v63, v3, v3 offset1:1
	ds_write_b32 v41, v3 offset:1056
	s_waitcnt vmcnt(0) lgkmcnt(0)
	s_barrier
	; wave barrier
	s_and_saveexec_b64 s[36:37], s[38:39]
; %bb.587:                              ;   in Loop: Header=BB1980_566 Depth=2
	v_bcnt_u32_b32 v4, v21, 0
	v_bcnt_u32_b32 v4, v22, v4
	ds_write_b32 v101, v4 offset:1040
; %bb.588:                              ;   in Loop: Header=BB1980_566 Depth=2
	s_or_b64 exec, exec, s[36:37]
	v_cmp_gt_i16_e32 vcc, 0, v99
	v_cndmask_b32_e64 v4, v65, 0, vcc
	v_xor_b32_e32 v99, v4, v99
	v_cmp_ne_u16_e32 vcc, s62, v99
	v_cndmask_b32_e32 v4, v65, v99, vcc
	v_lshrrev_b32_sdwa v4, s77, v4 dst_sel:DWORD dst_unused:UNUSED_PAD src0_sel:DWORD src1_sel:WORD_0
	v_and_b32_e32 v21, s70, v4
	v_mad_u32_u24 v4, v21, 20, v91
	; wave barrier
	ds_read_b32 v100, v4 offset:1040
	v_and_b32_e32 v4, 1, v21
	v_add_co_u32_e32 v22, vcc, -1, v4
	v_addc_co_u32_e64 v102, s[36:37], 0, -1, vcc
	v_cmp_ne_u32_e32 vcc, 0, v4
	v_xor_b32_e32 v4, vcc_hi, v102
	v_and_b32_e32 v102, exec_hi, v4
	v_lshlrev_b32_e32 v4, 30, v21
	v_xor_b32_e32 v22, vcc_lo, v22
	v_cmp_gt_i64_e32 vcc, 0, v[3:4]
	v_not_b32_e32 v4, v4
	v_ashrrev_i32_e32 v4, 31, v4
	v_and_b32_e32 v22, exec_lo, v22
	v_xor_b32_e32 v105, vcc_hi, v4
	v_xor_b32_e32 v4, vcc_lo, v4
	v_and_b32_e32 v22, v22, v4
	v_lshlrev_b32_e32 v4, 29, v21
	v_cmp_gt_i64_e32 vcc, 0, v[3:4]
	v_not_b32_e32 v4, v4
	v_ashrrev_i32_e32 v4, 31, v4
	v_and_b32_e32 v102, v102, v105
	v_xor_b32_e32 v105, vcc_hi, v4
	v_xor_b32_e32 v4, vcc_lo, v4
	v_and_b32_e32 v22, v22, v4
	v_lshlrev_b32_e32 v4, 28, v21
	v_cmp_gt_i64_e32 vcc, 0, v[3:4]
	v_not_b32_e32 v4, v4
	v_ashrrev_i32_e32 v4, 31, v4
	v_and_b32_e32 v102, v102, v105
	;; [unrolled: 8-line block ×5, first 2 shown]
	v_xor_b32_e32 v105, vcc_hi, v4
	v_xor_b32_e32 v4, vcc_lo, v4
	v_and_b32_e32 v102, v102, v105
	v_and_b32_e32 v105, v22, v4
	v_lshlrev_b32_e32 v4, 24, v21
	v_cmp_gt_i64_e32 vcc, 0, v[3:4]
	v_not_b32_e32 v4, v4
	v_ashrrev_i32_e32 v4, 31, v4
	v_mul_u32_u24_e32 v104, 20, v21
	v_xor_b32_e32 v21, vcc_hi, v4
	v_xor_b32_e32 v4, vcc_lo, v4
	v_and_b32_e32 v22, v102, v21
	v_and_b32_e32 v21, v105, v4
	v_mbcnt_lo_u32_b32 v4, v21, 0
	v_mbcnt_hi_u32_b32 v102, v22, v4
	v_cmp_ne_u64_e32 vcc, 0, v[21:22]
	v_cmp_eq_u32_e64 s[36:37], 0, v102
	s_and_b64 s[38:39], vcc, s[36:37]
	v_add_u32_e32 v105, v91, v104
	; wave barrier
	s_and_saveexec_b64 s[36:37], s[38:39]
	s_cbranch_execz .LBB1980_590
; %bb.589:                              ;   in Loop: Header=BB1980_566 Depth=2
	v_bcnt_u32_b32 v4, v21, 0
	v_bcnt_u32_b32 v4, v22, v4
	s_waitcnt lgkmcnt(0)
	v_add_u32_e32 v4, v100, v4
	ds_write_b32 v105, v4 offset:1040
.LBB1980_590:                           ;   in Loop: Header=BB1980_566 Depth=2
	s_or_b64 exec, exec, s[36:37]
	v_cmp_gt_i16_e32 vcc, 0, v103
	v_cndmask_b32_e64 v4, v65, 0, vcc
	v_xor_b32_e32 v103, v4, v103
	v_cmp_ne_u16_e32 vcc, s62, v103
	v_cndmask_b32_e32 v4, v65, v103, vcc
	v_lshrrev_b32_sdwa v4, s77, v4 dst_sel:DWORD dst_unused:UNUSED_PAD src0_sel:DWORD src1_sel:WORD_0
	v_and_b32_e32 v21, s70, v4
	v_mad_u32_u24 v4, v21, 20, v91
	; wave barrier
	ds_read_b32 v104, v4 offset:1040
	v_and_b32_e32 v4, 1, v21
	v_add_co_u32_e32 v22, vcc, -1, v4
	v_addc_co_u32_e64 v106, s[36:37], 0, -1, vcc
	v_cmp_ne_u32_e32 vcc, 0, v4
	v_xor_b32_e32 v4, vcc_hi, v106
	v_and_b32_e32 v106, exec_hi, v4
	v_lshlrev_b32_e32 v4, 30, v21
	v_xor_b32_e32 v22, vcc_lo, v22
	v_cmp_gt_i64_e32 vcc, 0, v[3:4]
	v_not_b32_e32 v4, v4
	v_ashrrev_i32_e32 v4, 31, v4
	v_and_b32_e32 v22, exec_lo, v22
	v_xor_b32_e32 v110, vcc_hi, v4
	v_xor_b32_e32 v4, vcc_lo, v4
	v_and_b32_e32 v22, v22, v4
	v_lshlrev_b32_e32 v4, 29, v21
	v_cmp_gt_i64_e32 vcc, 0, v[3:4]
	v_not_b32_e32 v4, v4
	v_ashrrev_i32_e32 v4, 31, v4
	v_and_b32_e32 v106, v106, v110
	v_xor_b32_e32 v110, vcc_hi, v4
	v_xor_b32_e32 v4, vcc_lo, v4
	v_and_b32_e32 v22, v22, v4
	v_lshlrev_b32_e32 v4, 28, v21
	v_cmp_gt_i64_e32 vcc, 0, v[3:4]
	v_not_b32_e32 v4, v4
	v_ashrrev_i32_e32 v4, 31, v4
	v_and_b32_e32 v106, v106, v110
	v_xor_b32_e32 v110, vcc_hi, v4
	v_xor_b32_e32 v4, vcc_lo, v4
	v_and_b32_e32 v22, v22, v4
	v_lshlrev_b32_e32 v4, 27, v21
	v_cmp_gt_i64_e32 vcc, 0, v[3:4]
	v_not_b32_e32 v4, v4
	v_ashrrev_i32_e32 v4, 31, v4
	v_and_b32_e32 v106, v106, v110
	v_xor_b32_e32 v110, vcc_hi, v4
	v_xor_b32_e32 v4, vcc_lo, v4
	v_and_b32_e32 v22, v22, v4
	v_lshlrev_b32_e32 v4, 26, v21
	v_cmp_gt_i64_e32 vcc, 0, v[3:4]
	v_not_b32_e32 v4, v4
	v_ashrrev_i32_e32 v4, 31, v4
	v_and_b32_e32 v106, v106, v110
	v_xor_b32_e32 v110, vcc_hi, v4
	v_xor_b32_e32 v4, vcc_lo, v4
	v_and_b32_e32 v22, v22, v4
	v_lshlrev_b32_e32 v4, 25, v21
	v_cmp_gt_i64_e32 vcc, 0, v[3:4]
	v_not_b32_e32 v4, v4
	v_ashrrev_i32_e32 v4, 31, v4
	v_and_b32_e32 v106, v106, v110
	v_xor_b32_e32 v110, vcc_hi, v4
	v_xor_b32_e32 v4, vcc_lo, v4
	v_and_b32_e32 v106, v106, v110
	v_and_b32_e32 v110, v22, v4
	v_lshlrev_b32_e32 v4, 24, v21
	v_cmp_gt_i64_e32 vcc, 0, v[3:4]
	v_not_b32_e32 v4, v4
	v_ashrrev_i32_e32 v4, 31, v4
	v_mul_u32_u24_e32 v109, 20, v21
	v_xor_b32_e32 v21, vcc_hi, v4
	v_xor_b32_e32 v4, vcc_lo, v4
	v_and_b32_e32 v22, v106, v21
	v_and_b32_e32 v21, v110, v4
	v_mbcnt_lo_u32_b32 v4, v21, 0
	v_mbcnt_hi_u32_b32 v106, v22, v4
	v_cmp_ne_u64_e32 vcc, 0, v[21:22]
	v_cmp_eq_u32_e64 s[36:37], 0, v106
	s_and_b64 s[38:39], vcc, s[36:37]
	v_add_u32_e32 v110, v91, v109
	; wave barrier
	s_and_saveexec_b64 s[36:37], s[38:39]
	s_cbranch_execz .LBB1980_592
; %bb.591:                              ;   in Loop: Header=BB1980_566 Depth=2
	v_bcnt_u32_b32 v4, v21, 0
	v_bcnt_u32_b32 v4, v22, v4
	s_waitcnt lgkmcnt(0)
	v_add_u32_e32 v4, v104, v4
	ds_write_b32 v110, v4 offset:1040
.LBB1980_592:                           ;   in Loop: Header=BB1980_566 Depth=2
	s_or_b64 exec, exec, s[36:37]
	v_cmp_gt_i16_e32 vcc, 0, v107
	v_cndmask_b32_e64 v4, v65, 0, vcc
	v_xor_b32_e32 v107, v4, v107
	v_cmp_ne_u16_e32 vcc, s62, v107
	v_cndmask_b32_e32 v4, v65, v107, vcc
	v_lshrrev_b32_sdwa v4, s77, v4 dst_sel:DWORD dst_unused:UNUSED_PAD src0_sel:DWORD src1_sel:WORD_0
	v_and_b32_e32 v21, s70, v4
	v_mad_u32_u24 v4, v21, 20, v91
	; wave barrier
	ds_read_b32 v109, v4 offset:1040
	v_and_b32_e32 v4, 1, v21
	v_add_co_u32_e32 v22, vcc, -1, v4
	v_addc_co_u32_e64 v111, s[36:37], 0, -1, vcc
	v_cmp_ne_u32_e32 vcc, 0, v4
	v_xor_b32_e32 v4, vcc_hi, v111
	v_and_b32_e32 v111, exec_hi, v4
	v_lshlrev_b32_e32 v4, 30, v21
	v_xor_b32_e32 v22, vcc_lo, v22
	v_cmp_gt_i64_e32 vcc, 0, v[3:4]
	v_not_b32_e32 v4, v4
	v_ashrrev_i32_e32 v4, 31, v4
	v_and_b32_e32 v22, exec_lo, v22
	v_xor_b32_e32 v114, vcc_hi, v4
	v_xor_b32_e32 v4, vcc_lo, v4
	v_and_b32_e32 v22, v22, v4
	v_lshlrev_b32_e32 v4, 29, v21
	v_cmp_gt_i64_e32 vcc, 0, v[3:4]
	v_not_b32_e32 v4, v4
	v_ashrrev_i32_e32 v4, 31, v4
	v_and_b32_e32 v111, v111, v114
	v_xor_b32_e32 v114, vcc_hi, v4
	v_xor_b32_e32 v4, vcc_lo, v4
	v_and_b32_e32 v22, v22, v4
	v_lshlrev_b32_e32 v4, 28, v21
	v_cmp_gt_i64_e32 vcc, 0, v[3:4]
	v_not_b32_e32 v4, v4
	v_ashrrev_i32_e32 v4, 31, v4
	v_and_b32_e32 v111, v111, v114
	;; [unrolled: 8-line block ×5, first 2 shown]
	v_xor_b32_e32 v114, vcc_hi, v4
	v_xor_b32_e32 v4, vcc_lo, v4
	v_and_b32_e32 v111, v111, v114
	v_and_b32_e32 v114, v22, v4
	v_lshlrev_b32_e32 v4, 24, v21
	v_cmp_gt_i64_e32 vcc, 0, v[3:4]
	v_not_b32_e32 v4, v4
	v_ashrrev_i32_e32 v4, 31, v4
	v_mul_u32_u24_e32 v113, 20, v21
	v_xor_b32_e32 v21, vcc_hi, v4
	v_xor_b32_e32 v4, vcc_lo, v4
	v_and_b32_e32 v22, v111, v21
	v_and_b32_e32 v21, v114, v4
	v_mbcnt_lo_u32_b32 v4, v21, 0
	v_mbcnt_hi_u32_b32 v111, v22, v4
	v_cmp_ne_u64_e32 vcc, 0, v[21:22]
	v_cmp_eq_u32_e64 s[36:37], 0, v111
	s_and_b64 s[38:39], vcc, s[36:37]
	v_add_u32_e32 v114, v91, v113
	; wave barrier
	s_and_saveexec_b64 s[36:37], s[38:39]
	s_cbranch_execz .LBB1980_594
; %bb.593:                              ;   in Loop: Header=BB1980_566 Depth=2
	v_bcnt_u32_b32 v4, v21, 0
	v_bcnt_u32_b32 v4, v22, v4
	s_waitcnt lgkmcnt(0)
	v_add_u32_e32 v4, v109, v4
	ds_write_b32 v114, v4 offset:1040
.LBB1980_594:                           ;   in Loop: Header=BB1980_566 Depth=2
	s_or_b64 exec, exec, s[36:37]
	v_cmp_gt_i16_e32 vcc, 0, v112
	v_cndmask_b32_e64 v4, v65, 0, vcc
	v_xor_b32_e32 v112, v4, v112
	v_cmp_ne_u16_e32 vcc, s62, v112
	v_cndmask_b32_e32 v4, v65, v112, vcc
	v_lshrrev_b32_sdwa v4, s77, v4 dst_sel:DWORD dst_unused:UNUSED_PAD src0_sel:DWORD src1_sel:WORD_0
	v_and_b32_e32 v21, s70, v4
	v_mad_u32_u24 v4, v21, 20, v91
	; wave barrier
	ds_read_b32 v113, v4 offset:1040
	v_and_b32_e32 v4, 1, v21
	v_add_co_u32_e32 v22, vcc, -1, v4
	v_addc_co_u32_e64 v115, s[36:37], 0, -1, vcc
	v_cmp_ne_u32_e32 vcc, 0, v4
	v_xor_b32_e32 v4, vcc_hi, v115
	v_and_b32_e32 v115, exec_hi, v4
	v_lshlrev_b32_e32 v4, 30, v21
	v_xor_b32_e32 v22, vcc_lo, v22
	v_cmp_gt_i64_e32 vcc, 0, v[3:4]
	v_not_b32_e32 v4, v4
	v_ashrrev_i32_e32 v4, 31, v4
	v_and_b32_e32 v22, exec_lo, v22
	v_xor_b32_e32 v117, vcc_hi, v4
	v_xor_b32_e32 v4, vcc_lo, v4
	v_and_b32_e32 v22, v22, v4
	v_lshlrev_b32_e32 v4, 29, v21
	v_cmp_gt_i64_e32 vcc, 0, v[3:4]
	v_not_b32_e32 v4, v4
	v_ashrrev_i32_e32 v4, 31, v4
	v_and_b32_e32 v115, v115, v117
	v_xor_b32_e32 v117, vcc_hi, v4
	v_xor_b32_e32 v4, vcc_lo, v4
	v_and_b32_e32 v22, v22, v4
	v_lshlrev_b32_e32 v4, 28, v21
	v_cmp_gt_i64_e32 vcc, 0, v[3:4]
	v_not_b32_e32 v4, v4
	v_ashrrev_i32_e32 v4, 31, v4
	v_and_b32_e32 v115, v115, v117
	v_xor_b32_e32 v117, vcc_hi, v4
	v_xor_b32_e32 v4, vcc_lo, v4
	v_and_b32_e32 v22, v22, v4
	v_lshlrev_b32_e32 v4, 27, v21
	v_cmp_gt_i64_e32 vcc, 0, v[3:4]
	v_not_b32_e32 v4, v4
	v_ashrrev_i32_e32 v4, 31, v4
	v_and_b32_e32 v115, v115, v117
	v_xor_b32_e32 v117, vcc_hi, v4
	v_xor_b32_e32 v4, vcc_lo, v4
	v_and_b32_e32 v22, v22, v4
	v_lshlrev_b32_e32 v4, 26, v21
	v_cmp_gt_i64_e32 vcc, 0, v[3:4]
	v_not_b32_e32 v4, v4
	v_ashrrev_i32_e32 v4, 31, v4
	v_and_b32_e32 v115, v115, v117
	v_xor_b32_e32 v117, vcc_hi, v4
	v_xor_b32_e32 v4, vcc_lo, v4
	v_and_b32_e32 v22, v22, v4
	v_lshlrev_b32_e32 v4, 25, v21
	v_cmp_gt_i64_e32 vcc, 0, v[3:4]
	v_not_b32_e32 v4, v4
	v_ashrrev_i32_e32 v4, 31, v4
	v_and_b32_e32 v115, v115, v117
	v_xor_b32_e32 v117, vcc_hi, v4
	v_xor_b32_e32 v4, vcc_lo, v4
	v_and_b32_e32 v115, v115, v117
	v_and_b32_e32 v117, v22, v4
	v_lshlrev_b32_e32 v4, 24, v21
	v_cmp_gt_i64_e32 vcc, 0, v[3:4]
	v_not_b32_e32 v4, v4
	v_ashrrev_i32_e32 v4, 31, v4
	v_mul_u32_u24_e32 v116, 20, v21
	v_xor_b32_e32 v21, vcc_hi, v4
	v_xor_b32_e32 v4, vcc_lo, v4
	v_and_b32_e32 v22, v115, v21
	v_and_b32_e32 v21, v117, v4
	v_mbcnt_lo_u32_b32 v4, v21, 0
	v_mbcnt_hi_u32_b32 v115, v22, v4
	v_cmp_ne_u64_e32 vcc, 0, v[21:22]
	v_cmp_eq_u32_e64 s[36:37], 0, v115
	s_and_b64 s[38:39], vcc, s[36:37]
	v_add_u32_e32 v118, v91, v116
	; wave barrier
	s_and_saveexec_b64 s[36:37], s[38:39]
	s_cbranch_execz .LBB1980_596
; %bb.595:                              ;   in Loop: Header=BB1980_566 Depth=2
	v_bcnt_u32_b32 v4, v21, 0
	v_bcnt_u32_b32 v4, v22, v4
	s_waitcnt lgkmcnt(0)
	v_add_u32_e32 v4, v113, v4
	ds_write_b32 v118, v4 offset:1040
.LBB1980_596:                           ;   in Loop: Header=BB1980_566 Depth=2
	s_or_b64 exec, exec, s[36:37]
	v_cmp_gt_i16_e32 vcc, 0, v108
	v_cndmask_b32_e64 v4, v65, 0, vcc
	v_xor_b32_e32 v116, v4, v108
	v_cmp_ne_u16_e32 vcc, s62, v116
	v_cndmask_b32_e32 v4, v65, v116, vcc
	v_lshrrev_b32_sdwa v4, s77, v4 dst_sel:DWORD dst_unused:UNUSED_PAD src0_sel:DWORD src1_sel:WORD_0
	v_and_b32_e32 v21, s70, v4
	v_mad_u32_u24 v4, v21, 20, v91
	; wave barrier
	ds_read_b32 v117, v4 offset:1040
	v_and_b32_e32 v4, 1, v21
	v_add_co_u32_e32 v22, vcc, -1, v4
	v_addc_co_u32_e64 v119, s[36:37], 0, -1, vcc
	v_cmp_ne_u32_e32 vcc, 0, v4
	v_xor_b32_e32 v4, vcc_hi, v119
	v_and_b32_e32 v119, exec_hi, v4
	v_lshlrev_b32_e32 v4, 30, v21
	v_xor_b32_e32 v22, vcc_lo, v22
	v_cmp_gt_i64_e32 vcc, 0, v[3:4]
	v_not_b32_e32 v4, v4
	v_ashrrev_i32_e32 v4, 31, v4
	v_and_b32_e32 v22, exec_lo, v22
	v_xor_b32_e32 v120, vcc_hi, v4
	v_xor_b32_e32 v4, vcc_lo, v4
	v_and_b32_e32 v22, v22, v4
	v_lshlrev_b32_e32 v4, 29, v21
	v_cmp_gt_i64_e32 vcc, 0, v[3:4]
	v_not_b32_e32 v4, v4
	v_ashrrev_i32_e32 v4, 31, v4
	v_and_b32_e32 v119, v119, v120
	v_xor_b32_e32 v120, vcc_hi, v4
	v_xor_b32_e32 v4, vcc_lo, v4
	v_and_b32_e32 v22, v22, v4
	v_lshlrev_b32_e32 v4, 28, v21
	v_cmp_gt_i64_e32 vcc, 0, v[3:4]
	v_not_b32_e32 v4, v4
	v_ashrrev_i32_e32 v4, 31, v4
	v_and_b32_e32 v119, v119, v120
	;; [unrolled: 8-line block ×5, first 2 shown]
	v_xor_b32_e32 v120, vcc_hi, v4
	v_xor_b32_e32 v4, vcc_lo, v4
	v_and_b32_e32 v119, v119, v120
	v_and_b32_e32 v120, v22, v4
	v_lshlrev_b32_e32 v4, 24, v21
	v_cmp_gt_i64_e32 vcc, 0, v[3:4]
	v_not_b32_e32 v4, v4
	v_ashrrev_i32_e32 v4, 31, v4
	v_mul_u32_u24_e32 v108, 20, v21
	v_xor_b32_e32 v21, vcc_hi, v4
	v_xor_b32_e32 v4, vcc_lo, v4
	v_and_b32_e32 v22, v119, v21
	v_and_b32_e32 v21, v120, v4
	v_mbcnt_lo_u32_b32 v4, v21, 0
	v_mbcnt_hi_u32_b32 v119, v22, v4
	v_cmp_ne_u64_e32 vcc, 0, v[21:22]
	v_cmp_eq_u32_e64 s[36:37], 0, v119
	s_and_b64 s[38:39], vcc, s[36:37]
	v_add_u32_e32 v108, v91, v108
	; wave barrier
	s_and_saveexec_b64 s[36:37], s[38:39]
	s_cbranch_execz .LBB1980_598
; %bb.597:                              ;   in Loop: Header=BB1980_566 Depth=2
	v_bcnt_u32_b32 v4, v21, 0
	v_bcnt_u32_b32 v4, v22, v4
	s_waitcnt lgkmcnt(0)
	v_add_u32_e32 v4, v117, v4
	ds_write_b32 v108, v4 offset:1040
.LBB1980_598:                           ;   in Loop: Header=BB1980_566 Depth=2
	s_or_b64 exec, exec, s[36:37]
	v_cmp_gt_i16_e32 vcc, 0, v24
	v_cndmask_b32_e64 v4, v65, 0, vcc
	v_xor_b32_e32 v120, v4, v24
	v_cmp_ne_u16_e32 vcc, s62, v120
	v_cndmask_b32_e32 v4, v65, v120, vcc
	v_lshrrev_b32_sdwa v4, s77, v4 dst_sel:DWORD dst_unused:UNUSED_PAD src0_sel:DWORD src1_sel:WORD_0
	v_and_b32_e32 v21, s70, v4
	v_mad_u32_u24 v4, v21, 20, v91
	; wave barrier
	ds_read_b32 v121, v4 offset:1040
	v_and_b32_e32 v4, 1, v21
	v_add_co_u32_e32 v22, vcc, -1, v4
	v_addc_co_u32_e64 v122, s[36:37], 0, -1, vcc
	v_cmp_ne_u32_e32 vcc, 0, v4
	v_xor_b32_e32 v4, vcc_hi, v122
	v_and_b32_e32 v122, exec_hi, v4
	v_lshlrev_b32_e32 v4, 30, v21
	v_xor_b32_e32 v22, vcc_lo, v22
	v_cmp_gt_i64_e32 vcc, 0, v[3:4]
	v_not_b32_e32 v4, v4
	v_ashrrev_i32_e32 v4, 31, v4
	v_and_b32_e32 v22, exec_lo, v22
	v_xor_b32_e32 v123, vcc_hi, v4
	v_xor_b32_e32 v4, vcc_lo, v4
	v_and_b32_e32 v22, v22, v4
	v_lshlrev_b32_e32 v4, 29, v21
	v_cmp_gt_i64_e32 vcc, 0, v[3:4]
	v_not_b32_e32 v4, v4
	v_ashrrev_i32_e32 v4, 31, v4
	v_and_b32_e32 v122, v122, v123
	v_xor_b32_e32 v123, vcc_hi, v4
	v_xor_b32_e32 v4, vcc_lo, v4
	v_and_b32_e32 v22, v22, v4
	v_lshlrev_b32_e32 v4, 28, v21
	v_cmp_gt_i64_e32 vcc, 0, v[3:4]
	v_not_b32_e32 v4, v4
	v_ashrrev_i32_e32 v4, 31, v4
	v_and_b32_e32 v122, v122, v123
	;; [unrolled: 8-line block ×5, first 2 shown]
	v_xor_b32_e32 v123, vcc_hi, v4
	v_xor_b32_e32 v4, vcc_lo, v4
	v_and_b32_e32 v122, v122, v123
	v_and_b32_e32 v123, v22, v4
	v_lshlrev_b32_e32 v4, 24, v21
	v_cmp_gt_i64_e32 vcc, 0, v[3:4]
	v_not_b32_e32 v4, v4
	v_ashrrev_i32_e32 v4, 31, v4
	v_mul_u32_u24_e32 v24, 20, v21
	v_xor_b32_e32 v21, vcc_hi, v4
	v_xor_b32_e32 v4, vcc_lo, v4
	v_and_b32_e32 v22, v122, v21
	v_and_b32_e32 v21, v123, v4
	v_mbcnt_lo_u32_b32 v4, v21, 0
	v_mbcnt_hi_u32_b32 v122, v22, v4
	v_cmp_ne_u64_e32 vcc, 0, v[21:22]
	v_cmp_eq_u32_e64 s[36:37], 0, v122
	s_and_b64 s[38:39], vcc, s[36:37]
	v_add_u32_e32 v125, v91, v24
	; wave barrier
	s_and_saveexec_b64 s[36:37], s[38:39]
	s_cbranch_execz .LBB1980_600
; %bb.599:                              ;   in Loop: Header=BB1980_566 Depth=2
	v_bcnt_u32_b32 v4, v21, 0
	v_bcnt_u32_b32 v4, v22, v4
	s_waitcnt lgkmcnt(0)
	v_add_u32_e32 v4, v121, v4
	ds_write_b32 v125, v4 offset:1040
.LBB1980_600:                           ;   in Loop: Header=BB1980_566 Depth=2
	s_or_b64 exec, exec, s[36:37]
	v_cmp_gt_i16_e32 vcc, 0, v23
	v_cndmask_b32_e64 v4, v65, 0, vcc
	v_xor_b32_e32 v123, v4, v23
	v_cmp_ne_u16_e32 vcc, s62, v123
	v_cndmask_b32_e32 v4, v65, v123, vcc
	v_lshrrev_b32_sdwa v4, s77, v4 dst_sel:DWORD dst_unused:UNUSED_PAD src0_sel:DWORD src1_sel:WORD_0
	v_and_b32_e32 v21, s70, v4
	v_mad_u32_u24 v4, v21, 20, v91
	; wave barrier
	ds_read_b32 v124, v4 offset:1040
	v_and_b32_e32 v4, 1, v21
	v_add_co_u32_e32 v22, vcc, -1, v4
	v_addc_co_u32_e64 v24, s[36:37], 0, -1, vcc
	v_cmp_ne_u32_e32 vcc, 0, v4
	v_xor_b32_e32 v4, vcc_hi, v24
	v_and_b32_e32 v24, exec_hi, v4
	v_lshlrev_b32_e32 v4, 30, v21
	v_xor_b32_e32 v22, vcc_lo, v22
	v_cmp_gt_i64_e32 vcc, 0, v[3:4]
	v_not_b32_e32 v4, v4
	v_ashrrev_i32_e32 v4, 31, v4
	v_and_b32_e32 v22, exec_lo, v22
	v_xor_b32_e32 v126, vcc_hi, v4
	v_xor_b32_e32 v4, vcc_lo, v4
	v_and_b32_e32 v22, v22, v4
	v_lshlrev_b32_e32 v4, 29, v21
	v_cmp_gt_i64_e32 vcc, 0, v[3:4]
	v_not_b32_e32 v4, v4
	v_ashrrev_i32_e32 v4, 31, v4
	v_and_b32_e32 v24, v24, v126
	v_xor_b32_e32 v126, vcc_hi, v4
	v_xor_b32_e32 v4, vcc_lo, v4
	v_and_b32_e32 v22, v22, v4
	v_lshlrev_b32_e32 v4, 28, v21
	v_cmp_gt_i64_e32 vcc, 0, v[3:4]
	v_not_b32_e32 v4, v4
	v_ashrrev_i32_e32 v4, 31, v4
	v_and_b32_e32 v24, v24, v126
	;; [unrolled: 8-line block ×5, first 2 shown]
	v_xor_b32_e32 v126, vcc_hi, v4
	v_xor_b32_e32 v4, vcc_lo, v4
	v_and_b32_e32 v24, v24, v126
	v_and_b32_e32 v126, v22, v4
	v_lshlrev_b32_e32 v4, 24, v21
	v_cmp_gt_i64_e32 vcc, 0, v[3:4]
	v_not_b32_e32 v4, v4
	v_ashrrev_i32_e32 v4, 31, v4
	v_mul_u32_u24_e32 v23, 20, v21
	v_xor_b32_e32 v21, vcc_hi, v4
	v_xor_b32_e32 v4, vcc_lo, v4
	v_and_b32_e32 v22, v24, v21
	v_and_b32_e32 v21, v126, v4
	v_mbcnt_lo_u32_b32 v4, v21, 0
	v_mbcnt_hi_u32_b32 v126, v22, v4
	v_cmp_ne_u64_e32 vcc, 0, v[21:22]
	v_cmp_eq_u32_e64 s[36:37], 0, v126
	s_and_b64 s[38:39], vcc, s[36:37]
	v_add_u32_e32 v4, v91, v23
	; wave barrier
	s_and_saveexec_b64 s[36:37], s[38:39]
	s_cbranch_execz .LBB1980_602
; %bb.601:                              ;   in Loop: Header=BB1980_566 Depth=2
	v_bcnt_u32_b32 v21, v21, 0
	v_bcnt_u32_b32 v21, v22, v21
	s_waitcnt lgkmcnt(0)
	v_add_u32_e32 v21, v124, v21
	ds_write_b32 v4, v21 offset:1040
.LBB1980_602:                           ;   in Loop: Header=BB1980_566 Depth=2
	s_or_b64 exec, exec, s[36:37]
	; wave barrier
	s_waitcnt lgkmcnt(0)
	s_barrier
	ds_read2_b32 v[23:24], v62 offset1:1
	ds_read2_b32 v[21:22], v63 offset1:1
	ds_read_b32 v127, v41 offset:1056
	s_waitcnt lgkmcnt(1)
	v_add3_u32 v128, v24, v23, v21
	s_waitcnt lgkmcnt(0)
	v_add3_u32 v127, v128, v22, v127
	s_nop 1
	v_mov_b32_dpp v128, v127 row_shr:1 row_mask:0xf bank_mask:0xf
	v_cndmask_b32_e64 v128, v128, 0, s[16:17]
	v_add_u32_e32 v127, v128, v127
	s_nop 1
	v_mov_b32_dpp v128, v127 row_shr:2 row_mask:0xf bank_mask:0xf
	v_cndmask_b32_e64 v128, 0, v128, s[18:19]
	v_add_u32_e32 v127, v127, v128
	s_nop 1
	v_mov_b32_dpp v128, v127 row_shr:4 row_mask:0xf bank_mask:0xf
	v_cndmask_b32_e64 v128, 0, v128, s[20:21]
	v_add_u32_e32 v127, v127, v128
	s_nop 1
	v_mov_b32_dpp v128, v127 row_shr:8 row_mask:0xf bank_mask:0xf
	v_cndmask_b32_e64 v128, 0, v128, s[22:23]
	v_add_u32_e32 v127, v127, v128
	s_nop 1
	v_mov_b32_dpp v128, v127 row_bcast:15 row_mask:0xf bank_mask:0xf
	v_cndmask_b32_e64 v128, v128, 0, s[24:25]
	v_add_u32_e32 v127, v127, v128
	s_nop 1
	v_mov_b32_dpp v128, v127 row_bcast:31 row_mask:0xf bank_mask:0xf
	v_cndmask_b32_e64 v128, 0, v128, s[26:27]
	v_add_u32_e32 v127, v127, v128
	s_and_saveexec_b64 s[36:37], s[6:7]
; %bb.603:                              ;   in Loop: Header=BB1980_566 Depth=2
	ds_write_b32 v37, v127 offset:1024
; %bb.604:                              ;   in Loop: Header=BB1980_566 Depth=2
	s_or_b64 exec, exec, s[36:37]
	s_waitcnt lgkmcnt(0)
	s_barrier
	s_and_saveexec_b64 s[36:37], s[8:9]
	s_cbranch_execz .LBB1980_606
; %bb.605:                              ;   in Loop: Header=BB1980_566 Depth=2
	ds_read_b32 v128, v42 offset:1024
	s_waitcnt lgkmcnt(0)
	s_nop 0
	v_mov_b32_dpp v129, v128 row_shr:1 row_mask:0xf bank_mask:0xf
	v_cndmask_b32_e64 v129, v129, 0, s[30:31]
	v_add_u32_e32 v128, v129, v128
	s_nop 1
	v_mov_b32_dpp v129, v128 row_shr:2 row_mask:0xf bank_mask:0xf
	v_cndmask_b32_e64 v129, 0, v129, s[34:35]
	v_add_u32_e32 v128, v128, v129
	ds_write_b32 v42, v128 offset:1024
.LBB1980_606:                           ;   in Loop: Header=BB1980_566 Depth=2
	s_or_b64 exec, exec, s[36:37]
	v_mov_b32_e32 v128, 0
	s_waitcnt lgkmcnt(0)
	s_barrier
	s_and_saveexec_b64 s[36:37], s[10:11]
; %bb.607:                              ;   in Loop: Header=BB1980_566 Depth=2
	ds_read_b32 v128, v37 offset:1020
; %bb.608:                              ;   in Loop: Header=BB1980_566 Depth=2
	s_or_b64 exec, exec, s[36:37]
	s_waitcnt lgkmcnt(0)
	v_add_u32_e32 v127, v128, v127
	ds_bpermute_b32 v127, v82, v127
	s_waitcnt lgkmcnt(0)
	v_cndmask_b32_e64 v127, v127, v128, s[28:29]
	v_cndmask_b32_e64 v127, v127, 0, s[12:13]
	v_add_u32_e32 v23, v127, v23
	v_add_u32_e32 v24, v23, v24
	;; [unrolled: 1-line block ×4, first 2 shown]
	ds_write2_b32 v62, v127, v23 offset1:1
	ds_write2_b32 v63, v24, v21 offset1:1
	ds_write_b32 v41, v22 offset:1056
	s_waitcnt lgkmcnt(0)
	s_barrier
	ds_read_b32 v21, v101 offset:1040
	ds_read_b32 v22, v105 offset:1040
	;; [unrolled: 1-line block ×9, first 2 shown]
	v_mov_b32_e32 v4, 0x800
	s_and_saveexec_b64 s[36:37], s[14:15]
; %bb.609:                              ;   in Loop: Header=BB1980_566 Depth=2
	ds_read_b32 v4, v41 offset:1060
; %bb.610:                              ;   in Loop: Header=BB1980_566 Depth=2
	s_or_b64 exec, exec, s[36:37]
	s_waitcnt lgkmcnt(0)
	s_barrier
	s_and_saveexec_b64 s[36:37], s[4:5]
	s_cbranch_execz .LBB1980_612
; %bb.611:                              ;   in Loop: Header=BB1980_566 Depth=2
	ds_read_b32 v105, v25
	s_waitcnt lgkmcnt(0)
	v_sub_u32_e32 v101, v105, v101
	ds_write_b32 v25, v101
.LBB1980_612:                           ;   in Loop: Header=BB1980_566 Depth=2
	s_or_b64 exec, exec, s[36:37]
	v_add_u32_e32 v108, v21, v98
	v_add3_u32 v105, v102, v100, v22
	v_lshlrev_b32_e32 v21, 1, v108
	v_add3_u32 v102, v106, v104, v23
	ds_write_b16 v21, v97 offset:1024
	v_lshlrev_b32_e32 v21, 1, v105
	v_add3_u32 v101, v111, v109, v24
	ds_write_b16 v21, v99 offset:1024
	;; [unrolled: 3-line block ×6, first 2 shown]
	v_lshlrev_b32_e32 v21, 1, v24
	ds_write_b16 v21, v120 offset:1024
	v_lshlrev_b32_e32 v21, 1, v23
	v_cmp_lt_u32_e32 vcc, v0, v96
	ds_write_b16 v21, v123 offset:1024
	s_waitcnt lgkmcnt(0)
	s_barrier
	s_and_saveexec_b64 s[38:39], vcc
	s_cbranch_execnz .LBB1980_649
; %bb.613:                              ;   in Loop: Header=BB1980_566 Depth=2
	s_or_b64 exec, exec, s[38:39]
	v_cmp_lt_u32_e64 s[36:37], v26, v96
	s_and_saveexec_b64 s[40:41], s[36:37]
	s_cbranch_execnz .LBB1980_650
.LBB1980_614:                           ;   in Loop: Header=BB1980_566 Depth=2
	s_or_b64 exec, exec, s[40:41]
	v_cmp_lt_u32_e64 s[38:39], v27, v96
	s_and_saveexec_b64 s[42:43], s[38:39]
	s_cbranch_execnz .LBB1980_651
.LBB1980_615:                           ;   in Loop: Header=BB1980_566 Depth=2
	s_or_b64 exec, exec, s[42:43]
	v_cmp_lt_u32_e64 s[40:41], v28, v96
	s_and_saveexec_b64 s[44:45], s[40:41]
	s_cbranch_execnz .LBB1980_652
.LBB1980_616:                           ;   in Loop: Header=BB1980_566 Depth=2
	s_or_b64 exec, exec, s[44:45]
	v_cmp_lt_u32_e64 s[42:43], v31, v96
	s_and_saveexec_b64 s[46:47], s[42:43]
	s_cbranch_execnz .LBB1980_653
.LBB1980_617:                           ;   in Loop: Header=BB1980_566 Depth=2
	s_or_b64 exec, exec, s[46:47]
	v_cmp_lt_u32_e64 s[44:45], v32, v96
	s_and_saveexec_b64 s[48:49], s[44:45]
	s_cbranch_execnz .LBB1980_654
.LBB1980_618:                           ;   in Loop: Header=BB1980_566 Depth=2
	s_or_b64 exec, exec, s[48:49]
	v_cmp_lt_u32_e64 s[46:47], v33, v96
	s_and_saveexec_b64 s[52:53], s[46:47]
	s_cbranch_execnz .LBB1980_655
.LBB1980_619:                           ;   in Loop: Header=BB1980_566 Depth=2
	s_or_b64 exec, exec, s[52:53]
	v_cmp_lt_u32_e64 s[48:49], v34, v96
	s_and_saveexec_b64 s[60:61], s[48:49]
	s_cbranch_execz .LBB1980_621
.LBB1980_620:                           ;   in Loop: Header=BB1980_566 Depth=2
	ds_read_u16 v21, v47 offset:4608
	v_mov_b32_e32 v22, v3
	v_mov_b32_e32 v99, s69
	s_waitcnt lgkmcnt(0)
	v_cmp_ne_u16_e64 s[52:53], s62, v21
	v_cndmask_b32_e64 v97, v65, v21, s[52:53]
	v_lshrrev_b32_sdwa v97, s77, v97 dst_sel:DWORD dst_unused:UNUSED_PAD src0_sel:DWORD src1_sel:WORD_0
	v_and_b32_e32 v97, s70, v97
	v_lshlrev_b32_e32 v97, 2, v97
	ds_read_b32 v97, v97
	v_cmp_gt_i16_e64 s[52:53], 0, v21
	v_cndmask_b32_e64 v103, v65, 0, s[52:53]
	v_xor_b32_e32 v103, v103, v21
	s_waitcnt lgkmcnt(0)
	v_add_u32_e32 v21, v97, v34
	v_lshlrev_b64 v[21:22], 1, v[21:22]
	v_add_co_u32_e64 v21, s[52:53], s68, v21
	v_addc_co_u32_e64 v22, s[52:53], v99, v22, s[52:53]
	global_store_short v[21:22], v103, off
.LBB1980_621:                           ;   in Loop: Header=BB1980_566 Depth=2
	s_or_b64 exec, exec, s[60:61]
	s_lshl_b64 s[52:53], s[58:59], 3
	v_mov_b32_e32 v22, s53
	v_add_co_u32_e64 v21, s[52:53], s52, v83
	v_addc_co_u32_e64 v22, s[52:53], v84, v22, s[52:53]
	v_cmp_lt_u32_e64 s[52:53], v73, v96
	s_and_saveexec_b64 s[60:61], s[52:53]
	s_xor_b64 s[52:53], exec, s[60:61]
	s_cbranch_execnz .LBB1980_656
; %bb.622:                              ;   in Loop: Header=BB1980_566 Depth=2
	s_or_b64 exec, exec, s[52:53]
	v_cmp_lt_u32_e64 s[52:53], v74, v96
	s_and_saveexec_b64 s[60:61], s[52:53]
	s_cbranch_execnz .LBB1980_657
.LBB1980_623:                           ;   in Loop: Header=BB1980_566 Depth=2
	s_or_b64 exec, exec, s[60:61]
	v_cmp_lt_u32_e64 s[52:53], v75, v96
	s_and_saveexec_b64 s[60:61], s[52:53]
	s_cbranch_execnz .LBB1980_658
.LBB1980_624:                           ;   in Loop: Header=BB1980_566 Depth=2
	s_or_b64 exec, exec, s[60:61]
	v_cmp_lt_u32_e64 s[52:53], v76, v96
	s_and_saveexec_b64 s[60:61], s[52:53]
	s_cbranch_execnz .LBB1980_659
.LBB1980_625:                           ;   in Loop: Header=BB1980_566 Depth=2
	s_or_b64 exec, exec, s[60:61]
	v_cmp_lt_u32_e64 s[52:53], v77, v96
	s_and_saveexec_b64 s[60:61], s[52:53]
	s_cbranch_execnz .LBB1980_660
.LBB1980_626:                           ;   in Loop: Header=BB1980_566 Depth=2
	s_or_b64 exec, exec, s[60:61]
	v_cmp_lt_u32_e64 s[52:53], v78, v96
	s_and_saveexec_b64 s[60:61], s[52:53]
	s_cbranch_execnz .LBB1980_661
.LBB1980_627:                           ;   in Loop: Header=BB1980_566 Depth=2
	s_or_b64 exec, exec, s[60:61]
	v_cmp_lt_u32_e64 s[52:53], v79, v96
	s_and_saveexec_b64 s[60:61], s[52:53]
	s_cbranch_execnz .LBB1980_662
.LBB1980_628:                           ;   in Loop: Header=BB1980_566 Depth=2
	s_or_b64 exec, exec, s[60:61]
	v_cmp_lt_u32_e64 s[52:53], v80, v96
	s_and_saveexec_b64 s[60:61], s[52:53]
	s_cbranch_execnz .LBB1980_663
.LBB1980_629:                           ;   in Loop: Header=BB1980_566 Depth=2
	s_or_b64 exec, exec, s[60:61]
	s_and_saveexec_b64 s[60:61], vcc
	s_cbranch_execnz .LBB1980_664
.LBB1980_630:                           ;   in Loop: Header=BB1980_566 Depth=2
	s_or_b64 exec, exec, s[60:61]
	s_and_saveexec_b64 s[60:61], s[36:37]
	s_cbranch_execnz .LBB1980_665
.LBB1980_631:                           ;   in Loop: Header=BB1980_566 Depth=2
	s_or_b64 exec, exec, s[60:61]
	s_and_saveexec_b64 s[60:61], s[38:39]
	s_cbranch_execnz .LBB1980_666
.LBB1980_632:                           ;   in Loop: Header=BB1980_566 Depth=2
	s_or_b64 exec, exec, s[60:61]
	s_and_saveexec_b64 s[60:61], s[40:41]
	s_cbranch_execnz .LBB1980_667
.LBB1980_633:                           ;   in Loop: Header=BB1980_566 Depth=2
	s_or_b64 exec, exec, s[60:61]
	s_and_saveexec_b64 s[60:61], s[42:43]
	s_cbranch_execnz .LBB1980_668
.LBB1980_634:                           ;   in Loop: Header=BB1980_566 Depth=2
	s_or_b64 exec, exec, s[60:61]
	s_and_saveexec_b64 s[60:61], s[44:45]
	s_cbranch_execnz .LBB1980_669
.LBB1980_635:                           ;   in Loop: Header=BB1980_566 Depth=2
	s_or_b64 exec, exec, s[60:61]
	s_and_saveexec_b64 s[60:61], s[46:47]
	s_cbranch_execnz .LBB1980_670
.LBB1980_636:                           ;   in Loop: Header=BB1980_566 Depth=2
	s_or_b64 exec, exec, s[60:61]
	s_and_saveexec_b64 s[60:61], s[48:49]
	s_cbranch_execz .LBB1980_638
.LBB1980_637:                           ;   in Loop: Header=BB1980_566 Depth=2
	ds_read_u16 v21, v47 offset:4608
	s_waitcnt lgkmcnt(0)
	v_cmp_ne_u16_e64 s[52:53], s62, v21
	v_cndmask_b32_e64 v21, v65, v21, s[52:53]
	v_lshrrev_b32_sdwa v21, s77, v21 dst_sel:DWORD dst_unused:UNUSED_PAD src0_sel:DWORD src1_sel:WORD_0
	v_and_b32_e32 v87, s70, v21
.LBB1980_638:                           ;   in Loop: Header=BB1980_566 Depth=2
	s_or_b64 exec, exec, s[60:61]
	v_lshlrev_b32_e32 v21, 3, v108
	s_waitcnt vmcnt(0)
	s_barrier
	ds_write_b64 v21, v[19:20] offset:1024
	v_lshlrev_b32_e32 v21, 3, v105
	ds_write_b64 v21, v[17:18] offset:1024
	v_lshlrev_b32_e32 v21, 3, v102
	;; [unrolled: 2-line block ×7, first 2 shown]
	ds_write_b64 v21, v[5:6] offset:1024
	v_add_u32_e32 v21, v47, v48
	s_waitcnt lgkmcnt(0)
	s_barrier
	s_and_saveexec_b64 s[52:53], vcc
	s_cbranch_execnz .LBB1980_671
; %bb.639:                              ;   in Loop: Header=BB1980_566 Depth=2
	s_or_b64 exec, exec, s[52:53]
	s_and_saveexec_b64 s[52:53], s[36:37]
	s_cbranch_execnz .LBB1980_672
.LBB1980_640:                           ;   in Loop: Header=BB1980_566 Depth=2
	s_or_b64 exec, exec, s[52:53]
	s_and_saveexec_b64 s[36:37], s[38:39]
	s_cbranch_execnz .LBB1980_673
.LBB1980_641:                           ;   in Loop: Header=BB1980_566 Depth=2
	s_or_b64 exec, exec, s[36:37]
	s_and_saveexec_b64 s[36:37], s[40:41]
	s_cbranch_execnz .LBB1980_674
.LBB1980_642:                           ;   in Loop: Header=BB1980_566 Depth=2
	s_or_b64 exec, exec, s[36:37]
	s_and_saveexec_b64 s[36:37], s[42:43]
	s_cbranch_execnz .LBB1980_675
.LBB1980_643:                           ;   in Loop: Header=BB1980_566 Depth=2
	s_or_b64 exec, exec, s[36:37]
	s_and_saveexec_b64 s[36:37], s[44:45]
	s_cbranch_execnz .LBB1980_676
.LBB1980_644:                           ;   in Loop: Header=BB1980_566 Depth=2
	s_or_b64 exec, exec, s[36:37]
	s_and_saveexec_b64 s[36:37], s[46:47]
	s_cbranch_execnz .LBB1980_677
.LBB1980_645:                           ;   in Loop: Header=BB1980_566 Depth=2
	s_or_b64 exec, exec, s[36:37]
	s_and_saveexec_b64 s[36:37], s[48:49]
	s_cbranch_execz .LBB1980_647
.LBB1980_646:                           ;   in Loop: Header=BB1980_566 Depth=2
	v_lshlrev_b32_e32 v22, 2, v87
	ds_read_b32 v23, v22
	ds_read_b64 v[21:22], v21 offset:15360
	v_mov_b32_e32 v24, v3
	v_mov_b32_e32 v96, s75
	s_waitcnt lgkmcnt(1)
	v_add_u32_e32 v23, v23, v34
	v_lshlrev_b64 v[23:24], 3, v[23:24]
	v_add_co_u32_e32 v23, vcc, s74, v23
	v_addc_co_u32_e32 v24, vcc, v96, v24, vcc
	s_waitcnt lgkmcnt(0)
	global_store_dwordx2 v[23:24], v[21:22], off
.LBB1980_647:                           ;   in Loop: Header=BB1980_566 Depth=2
	s_or_b64 exec, exec, s[36:37]
	s_waitcnt vmcnt(0)
	s_barrier
	s_and_saveexec_b64 s[36:37], s[4:5]
	s_cbranch_execz .LBB1980_565
; %bb.648:                              ;   in Loop: Header=BB1980_566 Depth=2
	ds_read_b32 v21, v25
	s_waitcnt lgkmcnt(0)
	v_add_u32_e32 v4, v21, v4
	ds_write_b32 v25, v4
	s_branch .LBB1980_565
.LBB1980_649:                           ;   in Loop: Header=BB1980_566 Depth=2
	ds_read_u16 v21, v47 offset:1024
	v_mov_b32_e32 v22, v3
	v_mov_b32_e32 v99, s69
	s_waitcnt lgkmcnt(0)
	v_cmp_ne_u16_e64 s[36:37], s62, v21
	v_cndmask_b32_e64 v97, v65, v21, s[36:37]
	v_lshrrev_b32_sdwa v97, s77, v97 dst_sel:DWORD dst_unused:UNUSED_PAD src0_sel:DWORD src1_sel:WORD_0
	v_and_b32_e32 v97, s70, v97
	v_lshlrev_b32_e32 v97, 2, v97
	ds_read_b32 v97, v97
	v_cmp_gt_i16_e64 s[36:37], 0, v21
	v_cndmask_b32_e64 v103, v65, 0, s[36:37]
	v_xor_b32_e32 v103, v103, v21
	s_waitcnt lgkmcnt(0)
	v_add_u32_e32 v21, v97, v0
	v_lshlrev_b64 v[21:22], 1, v[21:22]
	v_add_co_u32_e64 v21, s[36:37], s68, v21
	v_addc_co_u32_e64 v22, s[36:37], v99, v22, s[36:37]
	global_store_short v[21:22], v103, off
	s_or_b64 exec, exec, s[38:39]
	v_cmp_lt_u32_e64 s[36:37], v26, v96
	s_and_saveexec_b64 s[40:41], s[36:37]
	s_cbranch_execz .LBB1980_614
.LBB1980_650:                           ;   in Loop: Header=BB1980_566 Depth=2
	ds_read_u16 v21, v47 offset:1536
	v_mov_b32_e32 v22, v3
	v_mov_b32_e32 v99, s69
	s_waitcnt lgkmcnt(0)
	v_cmp_ne_u16_e64 s[38:39], s62, v21
	v_cndmask_b32_e64 v97, v65, v21, s[38:39]
	v_lshrrev_b32_sdwa v97, s77, v97 dst_sel:DWORD dst_unused:UNUSED_PAD src0_sel:DWORD src1_sel:WORD_0
	v_and_b32_e32 v97, s70, v97
	v_lshlrev_b32_e32 v97, 2, v97
	ds_read_b32 v97, v97
	v_cmp_gt_i16_e64 s[38:39], 0, v21
	v_cndmask_b32_e64 v103, v65, 0, s[38:39]
	v_xor_b32_e32 v103, v103, v21
	s_waitcnt lgkmcnt(0)
	v_add_u32_e32 v21, v97, v26
	v_lshlrev_b64 v[21:22], 1, v[21:22]
	v_add_co_u32_e64 v21, s[38:39], s68, v21
	v_addc_co_u32_e64 v22, s[38:39], v99, v22, s[38:39]
	global_store_short v[21:22], v103, off
	s_or_b64 exec, exec, s[40:41]
	v_cmp_lt_u32_e64 s[38:39], v27, v96
	s_and_saveexec_b64 s[42:43], s[38:39]
	s_cbranch_execz .LBB1980_615
.LBB1980_651:                           ;   in Loop: Header=BB1980_566 Depth=2
	ds_read_u16 v21, v47 offset:2048
	v_mov_b32_e32 v22, v3
	v_mov_b32_e32 v99, s69
	s_waitcnt lgkmcnt(0)
	v_cmp_ne_u16_e64 s[40:41], s62, v21
	v_cndmask_b32_e64 v97, v65, v21, s[40:41]
	v_lshrrev_b32_sdwa v97, s77, v97 dst_sel:DWORD dst_unused:UNUSED_PAD src0_sel:DWORD src1_sel:WORD_0
	v_and_b32_e32 v97, s70, v97
	v_lshlrev_b32_e32 v97, 2, v97
	ds_read_b32 v97, v97
	v_cmp_gt_i16_e64 s[40:41], 0, v21
	v_cndmask_b32_e64 v103, v65, 0, s[40:41]
	v_xor_b32_e32 v103, v103, v21
	s_waitcnt lgkmcnt(0)
	v_add_u32_e32 v21, v97, v27
	v_lshlrev_b64 v[21:22], 1, v[21:22]
	v_add_co_u32_e64 v21, s[40:41], s68, v21
	v_addc_co_u32_e64 v22, s[40:41], v99, v22, s[40:41]
	global_store_short v[21:22], v103, off
	s_or_b64 exec, exec, s[42:43]
	v_cmp_lt_u32_e64 s[40:41], v28, v96
	s_and_saveexec_b64 s[44:45], s[40:41]
	s_cbranch_execz .LBB1980_616
.LBB1980_652:                           ;   in Loop: Header=BB1980_566 Depth=2
	ds_read_u16 v21, v47 offset:2560
	v_mov_b32_e32 v22, v3
	v_mov_b32_e32 v99, s69
	s_waitcnt lgkmcnt(0)
	v_cmp_ne_u16_e64 s[42:43], s62, v21
	v_cndmask_b32_e64 v97, v65, v21, s[42:43]
	v_lshrrev_b32_sdwa v97, s77, v97 dst_sel:DWORD dst_unused:UNUSED_PAD src0_sel:DWORD src1_sel:WORD_0
	v_and_b32_e32 v97, s70, v97
	v_lshlrev_b32_e32 v97, 2, v97
	ds_read_b32 v97, v97
	v_cmp_gt_i16_e64 s[42:43], 0, v21
	v_cndmask_b32_e64 v103, v65, 0, s[42:43]
	v_xor_b32_e32 v103, v103, v21
	s_waitcnt lgkmcnt(0)
	v_add_u32_e32 v21, v97, v28
	v_lshlrev_b64 v[21:22], 1, v[21:22]
	v_add_co_u32_e64 v21, s[42:43], s68, v21
	v_addc_co_u32_e64 v22, s[42:43], v99, v22, s[42:43]
	global_store_short v[21:22], v103, off
	s_or_b64 exec, exec, s[44:45]
	v_cmp_lt_u32_e64 s[42:43], v31, v96
	s_and_saveexec_b64 s[46:47], s[42:43]
	s_cbranch_execz .LBB1980_617
.LBB1980_653:                           ;   in Loop: Header=BB1980_566 Depth=2
	ds_read_u16 v21, v47 offset:3072
	v_mov_b32_e32 v22, v3
	v_mov_b32_e32 v99, s69
	s_waitcnt lgkmcnt(0)
	v_cmp_ne_u16_e64 s[44:45], s62, v21
	v_cndmask_b32_e64 v97, v65, v21, s[44:45]
	v_lshrrev_b32_sdwa v97, s77, v97 dst_sel:DWORD dst_unused:UNUSED_PAD src0_sel:DWORD src1_sel:WORD_0
	v_and_b32_e32 v97, s70, v97
	v_lshlrev_b32_e32 v97, 2, v97
	ds_read_b32 v97, v97
	v_cmp_gt_i16_e64 s[44:45], 0, v21
	v_cndmask_b32_e64 v103, v65, 0, s[44:45]
	v_xor_b32_e32 v103, v103, v21
	s_waitcnt lgkmcnt(0)
	v_add_u32_e32 v21, v97, v31
	v_lshlrev_b64 v[21:22], 1, v[21:22]
	v_add_co_u32_e64 v21, s[44:45], s68, v21
	v_addc_co_u32_e64 v22, s[44:45], v99, v22, s[44:45]
	global_store_short v[21:22], v103, off
	s_or_b64 exec, exec, s[46:47]
	v_cmp_lt_u32_e64 s[44:45], v32, v96
	s_and_saveexec_b64 s[48:49], s[44:45]
	s_cbranch_execz .LBB1980_618
.LBB1980_654:                           ;   in Loop: Header=BB1980_566 Depth=2
	ds_read_u16 v21, v47 offset:3584
	v_mov_b32_e32 v22, v3
	v_mov_b32_e32 v99, s69
	s_waitcnt lgkmcnt(0)
	v_cmp_ne_u16_e64 s[46:47], s62, v21
	v_cndmask_b32_e64 v97, v65, v21, s[46:47]
	v_lshrrev_b32_sdwa v97, s77, v97 dst_sel:DWORD dst_unused:UNUSED_PAD src0_sel:DWORD src1_sel:WORD_0
	v_and_b32_e32 v97, s70, v97
	v_lshlrev_b32_e32 v97, 2, v97
	ds_read_b32 v97, v97
	v_cmp_gt_i16_e64 s[46:47], 0, v21
	v_cndmask_b32_e64 v103, v65, 0, s[46:47]
	v_xor_b32_e32 v103, v103, v21
	s_waitcnt lgkmcnt(0)
	v_add_u32_e32 v21, v97, v32
	v_lshlrev_b64 v[21:22], 1, v[21:22]
	v_add_co_u32_e64 v21, s[46:47], s68, v21
	v_addc_co_u32_e64 v22, s[46:47], v99, v22, s[46:47]
	global_store_short v[21:22], v103, off
	s_or_b64 exec, exec, s[48:49]
	v_cmp_lt_u32_e64 s[46:47], v33, v96
	s_and_saveexec_b64 s[52:53], s[46:47]
	s_cbranch_execz .LBB1980_619
.LBB1980_655:                           ;   in Loop: Header=BB1980_566 Depth=2
	ds_read_u16 v21, v47 offset:4096
	v_mov_b32_e32 v22, v3
	v_mov_b32_e32 v99, s69
	s_waitcnt lgkmcnt(0)
	v_cmp_ne_u16_e64 s[48:49], s62, v21
	v_cndmask_b32_e64 v97, v65, v21, s[48:49]
	v_lshrrev_b32_sdwa v97, s77, v97 dst_sel:DWORD dst_unused:UNUSED_PAD src0_sel:DWORD src1_sel:WORD_0
	v_and_b32_e32 v97, s70, v97
	v_lshlrev_b32_e32 v97, 2, v97
	ds_read_b32 v97, v97
	v_cmp_gt_i16_e64 s[48:49], 0, v21
	v_cndmask_b32_e64 v103, v65, 0, s[48:49]
	v_xor_b32_e32 v103, v103, v21
	s_waitcnt lgkmcnt(0)
	v_add_u32_e32 v21, v97, v33
	v_lshlrev_b64 v[21:22], 1, v[21:22]
	v_add_co_u32_e64 v21, s[48:49], s68, v21
	v_addc_co_u32_e64 v22, s[48:49], v99, v22, s[48:49]
	global_store_short v[21:22], v103, off
	s_or_b64 exec, exec, s[52:53]
	v_cmp_lt_u32_e64 s[48:49], v34, v96
	s_and_saveexec_b64 s[60:61], s[48:49]
	s_cbranch_execnz .LBB1980_620
	s_branch .LBB1980_621
.LBB1980_656:                           ;   in Loop: Header=BB1980_566 Depth=2
	global_load_dwordx2 v[19:20], v[21:22], off
	s_or_b64 exec, exec, s[52:53]
	v_cmp_lt_u32_e64 s[52:53], v74, v96
	s_and_saveexec_b64 s[60:61], s[52:53]
	s_cbranch_execz .LBB1980_623
.LBB1980_657:                           ;   in Loop: Header=BB1980_566 Depth=2
	global_load_dwordx2 v[17:18], v[21:22], off offset:512
	s_or_b64 exec, exec, s[60:61]
	v_cmp_lt_u32_e64 s[52:53], v75, v96
	s_and_saveexec_b64 s[60:61], s[52:53]
	s_cbranch_execz .LBB1980_624
.LBB1980_658:                           ;   in Loop: Header=BB1980_566 Depth=2
	global_load_dwordx2 v[15:16], v[21:22], off offset:1024
	s_or_b64 exec, exec, s[60:61]
	v_cmp_lt_u32_e64 s[52:53], v76, v96
	s_and_saveexec_b64 s[60:61], s[52:53]
	s_cbranch_execz .LBB1980_625
.LBB1980_659:                           ;   in Loop: Header=BB1980_566 Depth=2
	global_load_dwordx2 v[13:14], v[21:22], off offset:1536
	s_or_b64 exec, exec, s[60:61]
	v_cmp_lt_u32_e64 s[52:53], v77, v96
	s_and_saveexec_b64 s[60:61], s[52:53]
	s_cbranch_execz .LBB1980_626
.LBB1980_660:                           ;   in Loop: Header=BB1980_566 Depth=2
	global_load_dwordx2 v[11:12], v[21:22], off offset:2048
	s_or_b64 exec, exec, s[60:61]
	v_cmp_lt_u32_e64 s[52:53], v78, v96
	s_and_saveexec_b64 s[60:61], s[52:53]
	s_cbranch_execz .LBB1980_627
.LBB1980_661:                           ;   in Loop: Header=BB1980_566 Depth=2
	global_load_dwordx2 v[9:10], v[21:22], off offset:2560
	s_or_b64 exec, exec, s[60:61]
	v_cmp_lt_u32_e64 s[52:53], v79, v96
	s_and_saveexec_b64 s[60:61], s[52:53]
	s_cbranch_execz .LBB1980_628
.LBB1980_662:                           ;   in Loop: Header=BB1980_566 Depth=2
	global_load_dwordx2 v[7:8], v[21:22], off offset:3072
	s_or_b64 exec, exec, s[60:61]
	v_cmp_lt_u32_e64 s[52:53], v80, v96
	s_and_saveexec_b64 s[60:61], s[52:53]
	s_cbranch_execz .LBB1980_629
.LBB1980_663:                           ;   in Loop: Header=BB1980_566 Depth=2
	global_load_dwordx2 v[5:6], v[21:22], off offset:3584
	s_or_b64 exec, exec, s[60:61]
	s_and_saveexec_b64 s[60:61], vcc
	s_cbranch_execz .LBB1980_630
.LBB1980_664:                           ;   in Loop: Header=BB1980_566 Depth=2
	ds_read_u16 v21, v47 offset:1024
	s_waitcnt lgkmcnt(0)
	v_cmp_ne_u16_e64 s[52:53], s62, v21
	v_cndmask_b32_e64 v21, v65, v21, s[52:53]
	v_lshrrev_b32_sdwa v21, s77, v21 dst_sel:DWORD dst_unused:UNUSED_PAD src0_sel:DWORD src1_sel:WORD_0
	v_and_b32_e32 v95, s70, v21
	s_or_b64 exec, exec, s[60:61]
	s_and_saveexec_b64 s[60:61], s[36:37]
	s_cbranch_execz .LBB1980_631
.LBB1980_665:                           ;   in Loop: Header=BB1980_566 Depth=2
	ds_read_u16 v21, v47 offset:1536
	s_waitcnt lgkmcnt(0)
	v_cmp_ne_u16_e64 s[52:53], s62, v21
	v_cndmask_b32_e64 v21, v65, v21, s[52:53]
	v_lshrrev_b32_sdwa v21, s77, v21 dst_sel:DWORD dst_unused:UNUSED_PAD src0_sel:DWORD src1_sel:WORD_0
	v_and_b32_e32 v94, s70, v21
	s_or_b64 exec, exec, s[60:61]
	s_and_saveexec_b64 s[60:61], s[38:39]
	s_cbranch_execz .LBB1980_632
.LBB1980_666:                           ;   in Loop: Header=BB1980_566 Depth=2
	ds_read_u16 v21, v47 offset:2048
	s_waitcnt lgkmcnt(0)
	v_cmp_ne_u16_e64 s[52:53], s62, v21
	v_cndmask_b32_e64 v21, v65, v21, s[52:53]
	v_lshrrev_b32_sdwa v21, s77, v21 dst_sel:DWORD dst_unused:UNUSED_PAD src0_sel:DWORD src1_sel:WORD_0
	v_and_b32_e32 v93, s70, v21
	s_or_b64 exec, exec, s[60:61]
	s_and_saveexec_b64 s[60:61], s[40:41]
	s_cbranch_execz .LBB1980_633
.LBB1980_667:                           ;   in Loop: Header=BB1980_566 Depth=2
	ds_read_u16 v21, v47 offset:2560
	s_waitcnt lgkmcnt(0)
	v_cmp_ne_u16_e64 s[52:53], s62, v21
	v_cndmask_b32_e64 v21, v65, v21, s[52:53]
	v_lshrrev_b32_sdwa v21, s77, v21 dst_sel:DWORD dst_unused:UNUSED_PAD src0_sel:DWORD src1_sel:WORD_0
	v_and_b32_e32 v92, s70, v21
	s_or_b64 exec, exec, s[60:61]
	s_and_saveexec_b64 s[60:61], s[42:43]
	s_cbranch_execz .LBB1980_634
.LBB1980_668:                           ;   in Loop: Header=BB1980_566 Depth=2
	ds_read_u16 v21, v47 offset:3072
	s_waitcnt lgkmcnt(0)
	v_cmp_ne_u16_e64 s[52:53], s62, v21
	v_cndmask_b32_e64 v21, v65, v21, s[52:53]
	v_lshrrev_b32_sdwa v21, s77, v21 dst_sel:DWORD dst_unused:UNUSED_PAD src0_sel:DWORD src1_sel:WORD_0
	v_and_b32_e32 v90, s70, v21
	s_or_b64 exec, exec, s[60:61]
	s_and_saveexec_b64 s[60:61], s[44:45]
	s_cbranch_execz .LBB1980_635
.LBB1980_669:                           ;   in Loop: Header=BB1980_566 Depth=2
	ds_read_u16 v21, v47 offset:3584
	s_waitcnt lgkmcnt(0)
	v_cmp_ne_u16_e64 s[52:53], s62, v21
	v_cndmask_b32_e64 v21, v65, v21, s[52:53]
	v_lshrrev_b32_sdwa v21, s77, v21 dst_sel:DWORD dst_unused:UNUSED_PAD src0_sel:DWORD src1_sel:WORD_0
	v_and_b32_e32 v89, s70, v21
	s_or_b64 exec, exec, s[60:61]
	s_and_saveexec_b64 s[60:61], s[46:47]
	s_cbranch_execz .LBB1980_636
.LBB1980_670:                           ;   in Loop: Header=BB1980_566 Depth=2
	ds_read_u16 v21, v47 offset:4096
	s_waitcnt lgkmcnt(0)
	v_cmp_ne_u16_e64 s[52:53], s62, v21
	v_cndmask_b32_e64 v21, v65, v21, s[52:53]
	v_lshrrev_b32_sdwa v21, s77, v21 dst_sel:DWORD dst_unused:UNUSED_PAD src0_sel:DWORD src1_sel:WORD_0
	v_and_b32_e32 v88, s70, v21
	s_or_b64 exec, exec, s[60:61]
	s_and_saveexec_b64 s[60:61], s[48:49]
	s_cbranch_execnz .LBB1980_637
	s_branch .LBB1980_638
.LBB1980_671:                           ;   in Loop: Header=BB1980_566 Depth=2
	v_lshlrev_b32_e32 v22, 2, v95
	ds_read_b32 v24, v22
	ds_read_b64 v[22:23], v21 offset:1024
	v_mov_b32_e32 v97, v3
	v_mov_b32_e32 v98, s75
	s_waitcnt lgkmcnt(1)
	v_add_u32_e32 v96, v24, v0
	v_lshlrev_b64 v[96:97], 3, v[96:97]
	v_add_co_u32_e32 v96, vcc, s74, v96
	v_addc_co_u32_e32 v97, vcc, v98, v97, vcc
	s_waitcnt lgkmcnt(0)
	global_store_dwordx2 v[96:97], v[22:23], off
	s_or_b64 exec, exec, s[52:53]
	s_and_saveexec_b64 s[52:53], s[36:37]
	s_cbranch_execz .LBB1980_640
.LBB1980_672:                           ;   in Loop: Header=BB1980_566 Depth=2
	v_lshlrev_b32_e32 v22, 2, v94
	ds_read_b32 v24, v22
	ds_read_b64 v[22:23], v21 offset:3072
	v_mov_b32_e32 v97, v3
	v_mov_b32_e32 v98, s75
	s_waitcnt lgkmcnt(1)
	v_add_u32_e32 v96, v24, v26
	v_lshlrev_b64 v[96:97], 3, v[96:97]
	v_add_co_u32_e32 v96, vcc, s74, v96
	v_addc_co_u32_e32 v97, vcc, v98, v97, vcc
	s_waitcnt lgkmcnt(0)
	global_store_dwordx2 v[96:97], v[22:23], off
	s_or_b64 exec, exec, s[52:53]
	s_and_saveexec_b64 s[36:37], s[38:39]
	s_cbranch_execz .LBB1980_641
.LBB1980_673:                           ;   in Loop: Header=BB1980_566 Depth=2
	v_lshlrev_b32_e32 v22, 2, v93
	ds_read_b32 v24, v22
	ds_read_b64 v[22:23], v21 offset:5120
	v_mov_b32_e32 v97, v3
	v_mov_b32_e32 v98, s75
	s_waitcnt lgkmcnt(1)
	v_add_u32_e32 v96, v24, v27
	v_lshlrev_b64 v[96:97], 3, v[96:97]
	v_add_co_u32_e32 v96, vcc, s74, v96
	v_addc_co_u32_e32 v97, vcc, v98, v97, vcc
	s_waitcnt lgkmcnt(0)
	global_store_dwordx2 v[96:97], v[22:23], off
	s_or_b64 exec, exec, s[36:37]
	s_and_saveexec_b64 s[36:37], s[40:41]
	s_cbranch_execz .LBB1980_642
.LBB1980_674:                           ;   in Loop: Header=BB1980_566 Depth=2
	v_lshlrev_b32_e32 v22, 2, v92
	ds_read_b32 v24, v22
	ds_read_b64 v[22:23], v21 offset:7168
	v_mov_b32_e32 v97, v3
	v_mov_b32_e32 v98, s75
	s_waitcnt lgkmcnt(1)
	v_add_u32_e32 v96, v24, v28
	v_lshlrev_b64 v[96:97], 3, v[96:97]
	v_add_co_u32_e32 v96, vcc, s74, v96
	v_addc_co_u32_e32 v97, vcc, v98, v97, vcc
	s_waitcnt lgkmcnt(0)
	global_store_dwordx2 v[96:97], v[22:23], off
	s_or_b64 exec, exec, s[36:37]
	s_and_saveexec_b64 s[36:37], s[42:43]
	s_cbranch_execz .LBB1980_643
.LBB1980_675:                           ;   in Loop: Header=BB1980_566 Depth=2
	v_lshlrev_b32_e32 v22, 2, v90
	ds_read_b32 v24, v22
	ds_read_b64 v[22:23], v21 offset:9216
	v_mov_b32_e32 v97, v3
	v_mov_b32_e32 v98, s75
	s_waitcnt lgkmcnt(1)
	v_add_u32_e32 v96, v24, v31
	v_lshlrev_b64 v[96:97], 3, v[96:97]
	v_add_co_u32_e32 v96, vcc, s74, v96
	v_addc_co_u32_e32 v97, vcc, v98, v97, vcc
	s_waitcnt lgkmcnt(0)
	global_store_dwordx2 v[96:97], v[22:23], off
	s_or_b64 exec, exec, s[36:37]
	s_and_saveexec_b64 s[36:37], s[44:45]
	s_cbranch_execz .LBB1980_644
.LBB1980_676:                           ;   in Loop: Header=BB1980_566 Depth=2
	v_lshlrev_b32_e32 v22, 2, v89
	ds_read_b32 v24, v22
	ds_read_b64 v[22:23], v21 offset:11264
	v_mov_b32_e32 v97, v3
	v_mov_b32_e32 v98, s75
	s_waitcnt lgkmcnt(1)
	v_add_u32_e32 v96, v24, v32
	v_lshlrev_b64 v[96:97], 3, v[96:97]
	v_add_co_u32_e32 v96, vcc, s74, v96
	v_addc_co_u32_e32 v97, vcc, v98, v97, vcc
	s_waitcnt lgkmcnt(0)
	global_store_dwordx2 v[96:97], v[22:23], off
	s_or_b64 exec, exec, s[36:37]
	s_and_saveexec_b64 s[36:37], s[46:47]
	s_cbranch_execz .LBB1980_645
.LBB1980_677:                           ;   in Loop: Header=BB1980_566 Depth=2
	v_lshlrev_b32_e32 v22, 2, v88
	ds_read_b32 v24, v22
	ds_read_b64 v[22:23], v21 offset:13312
	v_mov_b32_e32 v97, v3
	v_mov_b32_e32 v98, s75
	s_waitcnt lgkmcnt(1)
	v_add_u32_e32 v96, v24, v33
	v_lshlrev_b64 v[96:97], 3, v[96:97]
	v_add_co_u32_e32 v96, vcc, s74, v96
	v_addc_co_u32_e32 v97, vcc, v98, v97, vcc
	s_waitcnt lgkmcnt(0)
	global_store_dwordx2 v[96:97], v[22:23], off
	s_or_b64 exec, exec, s[36:37]
	s_and_saveexec_b64 s[36:37], s[48:49]
	s_cbranch_execnz .LBB1980_646
	s_branch .LBB1980_647
.LBB1980_678:
	s_endpgm
	.section	.rodata,"a",@progbits
	.p2align	6, 0x0
	.amdhsa_kernel _ZN7rocprim17ROCPRIM_400000_NS6detail17trampoline_kernelINS0_14default_configENS1_36segmented_radix_sort_config_selectorI12hip_bfloat16lEEZNS1_25segmented_radix_sort_implIS3_Lb1EPKS5_PS5_PKlPlN2at6native12_GLOBAL__N_18offset_tEEE10hipError_tPvRmT1_PNSt15iterator_traitsISL_E10value_typeET2_T3_PNSM_ISR_E10value_typeET4_jRbjT5_SX_jjP12ihipStream_tbEUlT_E2_NS1_11comp_targetILNS1_3genE2ELNS1_11target_archE906ELNS1_3gpuE6ELNS1_3repE0EEENS1_30default_config_static_selectorELNS0_4arch9wavefront6targetE1EEEvSL_
		.amdhsa_group_segment_fixed_size 17424
		.amdhsa_private_segment_fixed_size 0
		.amdhsa_kernarg_size 336
		.amdhsa_user_sgpr_count 6
		.amdhsa_user_sgpr_private_segment_buffer 1
		.amdhsa_user_sgpr_dispatch_ptr 0
		.amdhsa_user_sgpr_queue_ptr 0
		.amdhsa_user_sgpr_kernarg_segment_ptr 1
		.amdhsa_user_sgpr_dispatch_id 0
		.amdhsa_user_sgpr_flat_scratch_init 0
		.amdhsa_user_sgpr_private_segment_size 0
		.amdhsa_uses_dynamic_stack 0
		.amdhsa_system_sgpr_private_segment_wavefront_offset 0
		.amdhsa_system_sgpr_workgroup_id_x 1
		.amdhsa_system_sgpr_workgroup_id_y 1
		.amdhsa_system_sgpr_workgroup_id_z 0
		.amdhsa_system_sgpr_workgroup_info 0
		.amdhsa_system_vgpr_workitem_id 2
		.amdhsa_next_free_vgpr 195
		.amdhsa_next_free_sgpr 98
		.amdhsa_reserve_vcc 1
		.amdhsa_reserve_flat_scratch 0
		.amdhsa_float_round_mode_32 0
		.amdhsa_float_round_mode_16_64 0
		.amdhsa_float_denorm_mode_32 3
		.amdhsa_float_denorm_mode_16_64 3
		.amdhsa_dx10_clamp 1
		.amdhsa_ieee_mode 1
		.amdhsa_fp16_overflow 0
		.amdhsa_exception_fp_ieee_invalid_op 0
		.amdhsa_exception_fp_denorm_src 0
		.amdhsa_exception_fp_ieee_div_zero 0
		.amdhsa_exception_fp_ieee_overflow 0
		.amdhsa_exception_fp_ieee_underflow 0
		.amdhsa_exception_fp_ieee_inexact 0
		.amdhsa_exception_int_div_zero 0
	.end_amdhsa_kernel
	.section	.text._ZN7rocprim17ROCPRIM_400000_NS6detail17trampoline_kernelINS0_14default_configENS1_36segmented_radix_sort_config_selectorI12hip_bfloat16lEEZNS1_25segmented_radix_sort_implIS3_Lb1EPKS5_PS5_PKlPlN2at6native12_GLOBAL__N_18offset_tEEE10hipError_tPvRmT1_PNSt15iterator_traitsISL_E10value_typeET2_T3_PNSM_ISR_E10value_typeET4_jRbjT5_SX_jjP12ihipStream_tbEUlT_E2_NS1_11comp_targetILNS1_3genE2ELNS1_11target_archE906ELNS1_3gpuE6ELNS1_3repE0EEENS1_30default_config_static_selectorELNS0_4arch9wavefront6targetE1EEEvSL_,"axG",@progbits,_ZN7rocprim17ROCPRIM_400000_NS6detail17trampoline_kernelINS0_14default_configENS1_36segmented_radix_sort_config_selectorI12hip_bfloat16lEEZNS1_25segmented_radix_sort_implIS3_Lb1EPKS5_PS5_PKlPlN2at6native12_GLOBAL__N_18offset_tEEE10hipError_tPvRmT1_PNSt15iterator_traitsISL_E10value_typeET2_T3_PNSM_ISR_E10value_typeET4_jRbjT5_SX_jjP12ihipStream_tbEUlT_E2_NS1_11comp_targetILNS1_3genE2ELNS1_11target_archE906ELNS1_3gpuE6ELNS1_3repE0EEENS1_30default_config_static_selectorELNS0_4arch9wavefront6targetE1EEEvSL_,comdat
.Lfunc_end1980:
	.size	_ZN7rocprim17ROCPRIM_400000_NS6detail17trampoline_kernelINS0_14default_configENS1_36segmented_radix_sort_config_selectorI12hip_bfloat16lEEZNS1_25segmented_radix_sort_implIS3_Lb1EPKS5_PS5_PKlPlN2at6native12_GLOBAL__N_18offset_tEEE10hipError_tPvRmT1_PNSt15iterator_traitsISL_E10value_typeET2_T3_PNSM_ISR_E10value_typeET4_jRbjT5_SX_jjP12ihipStream_tbEUlT_E2_NS1_11comp_targetILNS1_3genE2ELNS1_11target_archE906ELNS1_3gpuE6ELNS1_3repE0EEENS1_30default_config_static_selectorELNS0_4arch9wavefront6targetE1EEEvSL_, .Lfunc_end1980-_ZN7rocprim17ROCPRIM_400000_NS6detail17trampoline_kernelINS0_14default_configENS1_36segmented_radix_sort_config_selectorI12hip_bfloat16lEEZNS1_25segmented_radix_sort_implIS3_Lb1EPKS5_PS5_PKlPlN2at6native12_GLOBAL__N_18offset_tEEE10hipError_tPvRmT1_PNSt15iterator_traitsISL_E10value_typeET2_T3_PNSM_ISR_E10value_typeET4_jRbjT5_SX_jjP12ihipStream_tbEUlT_E2_NS1_11comp_targetILNS1_3genE2ELNS1_11target_archE906ELNS1_3gpuE6ELNS1_3repE0EEENS1_30default_config_static_selectorELNS0_4arch9wavefront6targetE1EEEvSL_
                                        ; -- End function
	.set _ZN7rocprim17ROCPRIM_400000_NS6detail17trampoline_kernelINS0_14default_configENS1_36segmented_radix_sort_config_selectorI12hip_bfloat16lEEZNS1_25segmented_radix_sort_implIS3_Lb1EPKS5_PS5_PKlPlN2at6native12_GLOBAL__N_18offset_tEEE10hipError_tPvRmT1_PNSt15iterator_traitsISL_E10value_typeET2_T3_PNSM_ISR_E10value_typeET4_jRbjT5_SX_jjP12ihipStream_tbEUlT_E2_NS1_11comp_targetILNS1_3genE2ELNS1_11target_archE906ELNS1_3gpuE6ELNS1_3repE0EEENS1_30default_config_static_selectorELNS0_4arch9wavefront6targetE1EEEvSL_.num_vgpr, max(130, .L_ZN7rocprim17ROCPRIM_400000_NS6detail26segmented_warp_sort_helperINS1_20WarpSortHelperConfigILj8ELj4ELj256EEE12hip_bfloat16lLi256ELb1EvE4sortIPKS5_PS5_PKlPlEEvT_T0_T1_T2_jjjjRNS6_12storage_typeE.num_vgpr, .L_ZN7rocprim17ROCPRIM_400000_NS6detail40segmented_radix_sort_single_block_helperI12hip_bfloat16lLj256ELj8ELb1EE4sortIPKS3_PS3_PKlPlEEbT_T0_T1_T2_jjjjRNS4_12storage_typeE.num_vgpr)
	.set _ZN7rocprim17ROCPRIM_400000_NS6detail17trampoline_kernelINS0_14default_configENS1_36segmented_radix_sort_config_selectorI12hip_bfloat16lEEZNS1_25segmented_radix_sort_implIS3_Lb1EPKS5_PS5_PKlPlN2at6native12_GLOBAL__N_18offset_tEEE10hipError_tPvRmT1_PNSt15iterator_traitsISL_E10value_typeET2_T3_PNSM_ISR_E10value_typeET4_jRbjT5_SX_jjP12ihipStream_tbEUlT_E2_NS1_11comp_targetILNS1_3genE2ELNS1_11target_archE906ELNS1_3gpuE6ELNS1_3repE0EEENS1_30default_config_static_selectorELNS0_4arch9wavefront6targetE1EEEvSL_.num_agpr, max(0, .L_ZN7rocprim17ROCPRIM_400000_NS6detail26segmented_warp_sort_helperINS1_20WarpSortHelperConfigILj8ELj4ELj256EEE12hip_bfloat16lLi256ELb1EvE4sortIPKS5_PS5_PKlPlEEvT_T0_T1_T2_jjjjRNS6_12storage_typeE.num_agpr, .L_ZN7rocprim17ROCPRIM_400000_NS6detail40segmented_radix_sort_single_block_helperI12hip_bfloat16lLj256ELj8ELb1EE4sortIPKS3_PS3_PKlPlEEbT_T0_T1_T2_jjjjRNS4_12storage_typeE.num_agpr)
	.set _ZN7rocprim17ROCPRIM_400000_NS6detail17trampoline_kernelINS0_14default_configENS1_36segmented_radix_sort_config_selectorI12hip_bfloat16lEEZNS1_25segmented_radix_sort_implIS3_Lb1EPKS5_PS5_PKlPlN2at6native12_GLOBAL__N_18offset_tEEE10hipError_tPvRmT1_PNSt15iterator_traitsISL_E10value_typeET2_T3_PNSM_ISR_E10value_typeET4_jRbjT5_SX_jjP12ihipStream_tbEUlT_E2_NS1_11comp_targetILNS1_3genE2ELNS1_11target_archE906ELNS1_3gpuE6ELNS1_3repE0EEENS1_30default_config_static_selectorELNS0_4arch9wavefront6targetE1EEEvSL_.numbered_sgpr, max(81, .L_ZN7rocprim17ROCPRIM_400000_NS6detail26segmented_warp_sort_helperINS1_20WarpSortHelperConfigILj8ELj4ELj256EEE12hip_bfloat16lLi256ELb1EvE4sortIPKS5_PS5_PKlPlEEvT_T0_T1_T2_jjjjRNS6_12storage_typeE.numbered_sgpr, .L_ZN7rocprim17ROCPRIM_400000_NS6detail40segmented_radix_sort_single_block_helperI12hip_bfloat16lLj256ELj8ELb1EE4sortIPKS3_PS3_PKlPlEEbT_T0_T1_T2_jjjjRNS4_12storage_typeE.numbered_sgpr)
	.set _ZN7rocprim17ROCPRIM_400000_NS6detail17trampoline_kernelINS0_14default_configENS1_36segmented_radix_sort_config_selectorI12hip_bfloat16lEEZNS1_25segmented_radix_sort_implIS3_Lb1EPKS5_PS5_PKlPlN2at6native12_GLOBAL__N_18offset_tEEE10hipError_tPvRmT1_PNSt15iterator_traitsISL_E10value_typeET2_T3_PNSM_ISR_E10value_typeET4_jRbjT5_SX_jjP12ihipStream_tbEUlT_E2_NS1_11comp_targetILNS1_3genE2ELNS1_11target_archE906ELNS1_3gpuE6ELNS1_3repE0EEENS1_30default_config_static_selectorELNS0_4arch9wavefront6targetE1EEEvSL_.num_named_barrier, max(0, .L_ZN7rocprim17ROCPRIM_400000_NS6detail26segmented_warp_sort_helperINS1_20WarpSortHelperConfigILj8ELj4ELj256EEE12hip_bfloat16lLi256ELb1EvE4sortIPKS5_PS5_PKlPlEEvT_T0_T1_T2_jjjjRNS6_12storage_typeE.num_named_barrier, .L_ZN7rocprim17ROCPRIM_400000_NS6detail40segmented_radix_sort_single_block_helperI12hip_bfloat16lLj256ELj8ELb1EE4sortIPKS3_PS3_PKlPlEEbT_T0_T1_T2_jjjjRNS4_12storage_typeE.num_named_barrier)
	.set _ZN7rocprim17ROCPRIM_400000_NS6detail17trampoline_kernelINS0_14default_configENS1_36segmented_radix_sort_config_selectorI12hip_bfloat16lEEZNS1_25segmented_radix_sort_implIS3_Lb1EPKS5_PS5_PKlPlN2at6native12_GLOBAL__N_18offset_tEEE10hipError_tPvRmT1_PNSt15iterator_traitsISL_E10value_typeET2_T3_PNSM_ISR_E10value_typeET4_jRbjT5_SX_jjP12ihipStream_tbEUlT_E2_NS1_11comp_targetILNS1_3genE2ELNS1_11target_archE906ELNS1_3gpuE6ELNS1_3repE0EEENS1_30default_config_static_selectorELNS0_4arch9wavefront6targetE1EEEvSL_.private_seg_size, 0+max(.L_ZN7rocprim17ROCPRIM_400000_NS6detail26segmented_warp_sort_helperINS1_20WarpSortHelperConfigILj8ELj4ELj256EEE12hip_bfloat16lLi256ELb1EvE4sortIPKS5_PS5_PKlPlEEvT_T0_T1_T2_jjjjRNS6_12storage_typeE.private_seg_size, .L_ZN7rocprim17ROCPRIM_400000_NS6detail40segmented_radix_sort_single_block_helperI12hip_bfloat16lLj256ELj8ELb1EE4sortIPKS3_PS3_PKlPlEEbT_T0_T1_T2_jjjjRNS4_12storage_typeE.private_seg_size)
	.set _ZN7rocprim17ROCPRIM_400000_NS6detail17trampoline_kernelINS0_14default_configENS1_36segmented_radix_sort_config_selectorI12hip_bfloat16lEEZNS1_25segmented_radix_sort_implIS3_Lb1EPKS5_PS5_PKlPlN2at6native12_GLOBAL__N_18offset_tEEE10hipError_tPvRmT1_PNSt15iterator_traitsISL_E10value_typeET2_T3_PNSM_ISR_E10value_typeET4_jRbjT5_SX_jjP12ihipStream_tbEUlT_E2_NS1_11comp_targetILNS1_3genE2ELNS1_11target_archE906ELNS1_3gpuE6ELNS1_3repE0EEENS1_30default_config_static_selectorELNS0_4arch9wavefront6targetE1EEEvSL_.uses_vcc, or(1, .L_ZN7rocprim17ROCPRIM_400000_NS6detail26segmented_warp_sort_helperINS1_20WarpSortHelperConfigILj8ELj4ELj256EEE12hip_bfloat16lLi256ELb1EvE4sortIPKS5_PS5_PKlPlEEvT_T0_T1_T2_jjjjRNS6_12storage_typeE.uses_vcc, .L_ZN7rocprim17ROCPRIM_400000_NS6detail40segmented_radix_sort_single_block_helperI12hip_bfloat16lLj256ELj8ELb1EE4sortIPKS3_PS3_PKlPlEEbT_T0_T1_T2_jjjjRNS4_12storage_typeE.uses_vcc)
	.set _ZN7rocprim17ROCPRIM_400000_NS6detail17trampoline_kernelINS0_14default_configENS1_36segmented_radix_sort_config_selectorI12hip_bfloat16lEEZNS1_25segmented_radix_sort_implIS3_Lb1EPKS5_PS5_PKlPlN2at6native12_GLOBAL__N_18offset_tEEE10hipError_tPvRmT1_PNSt15iterator_traitsISL_E10value_typeET2_T3_PNSM_ISR_E10value_typeET4_jRbjT5_SX_jjP12ihipStream_tbEUlT_E2_NS1_11comp_targetILNS1_3genE2ELNS1_11target_archE906ELNS1_3gpuE6ELNS1_3repE0EEENS1_30default_config_static_selectorELNS0_4arch9wavefront6targetE1EEEvSL_.uses_flat_scratch, or(0, .L_ZN7rocprim17ROCPRIM_400000_NS6detail26segmented_warp_sort_helperINS1_20WarpSortHelperConfigILj8ELj4ELj256EEE12hip_bfloat16lLi256ELb1EvE4sortIPKS5_PS5_PKlPlEEvT_T0_T1_T2_jjjjRNS6_12storage_typeE.uses_flat_scratch, .L_ZN7rocprim17ROCPRIM_400000_NS6detail40segmented_radix_sort_single_block_helperI12hip_bfloat16lLj256ELj8ELb1EE4sortIPKS3_PS3_PKlPlEEbT_T0_T1_T2_jjjjRNS4_12storage_typeE.uses_flat_scratch)
	.set _ZN7rocprim17ROCPRIM_400000_NS6detail17trampoline_kernelINS0_14default_configENS1_36segmented_radix_sort_config_selectorI12hip_bfloat16lEEZNS1_25segmented_radix_sort_implIS3_Lb1EPKS5_PS5_PKlPlN2at6native12_GLOBAL__N_18offset_tEEE10hipError_tPvRmT1_PNSt15iterator_traitsISL_E10value_typeET2_T3_PNSM_ISR_E10value_typeET4_jRbjT5_SX_jjP12ihipStream_tbEUlT_E2_NS1_11comp_targetILNS1_3genE2ELNS1_11target_archE906ELNS1_3gpuE6ELNS1_3repE0EEENS1_30default_config_static_selectorELNS0_4arch9wavefront6targetE1EEEvSL_.has_dyn_sized_stack, or(0, .L_ZN7rocprim17ROCPRIM_400000_NS6detail26segmented_warp_sort_helperINS1_20WarpSortHelperConfigILj8ELj4ELj256EEE12hip_bfloat16lLi256ELb1EvE4sortIPKS5_PS5_PKlPlEEvT_T0_T1_T2_jjjjRNS6_12storage_typeE.has_dyn_sized_stack, .L_ZN7rocprim17ROCPRIM_400000_NS6detail40segmented_radix_sort_single_block_helperI12hip_bfloat16lLj256ELj8ELb1EE4sortIPKS3_PS3_PKlPlEEbT_T0_T1_T2_jjjjRNS4_12storage_typeE.has_dyn_sized_stack)
	.set _ZN7rocprim17ROCPRIM_400000_NS6detail17trampoline_kernelINS0_14default_configENS1_36segmented_radix_sort_config_selectorI12hip_bfloat16lEEZNS1_25segmented_radix_sort_implIS3_Lb1EPKS5_PS5_PKlPlN2at6native12_GLOBAL__N_18offset_tEEE10hipError_tPvRmT1_PNSt15iterator_traitsISL_E10value_typeET2_T3_PNSM_ISR_E10value_typeET4_jRbjT5_SX_jjP12ihipStream_tbEUlT_E2_NS1_11comp_targetILNS1_3genE2ELNS1_11target_archE906ELNS1_3gpuE6ELNS1_3repE0EEENS1_30default_config_static_selectorELNS0_4arch9wavefront6targetE1EEEvSL_.has_recursion, or(0, .L_ZN7rocprim17ROCPRIM_400000_NS6detail26segmented_warp_sort_helperINS1_20WarpSortHelperConfigILj8ELj4ELj256EEE12hip_bfloat16lLi256ELb1EvE4sortIPKS5_PS5_PKlPlEEvT_T0_T1_T2_jjjjRNS6_12storage_typeE.has_recursion, .L_ZN7rocprim17ROCPRIM_400000_NS6detail40segmented_radix_sort_single_block_helperI12hip_bfloat16lLj256ELj8ELb1EE4sortIPKS3_PS3_PKlPlEEbT_T0_T1_T2_jjjjRNS4_12storage_typeE.has_recursion)
	.set _ZN7rocprim17ROCPRIM_400000_NS6detail17trampoline_kernelINS0_14default_configENS1_36segmented_radix_sort_config_selectorI12hip_bfloat16lEEZNS1_25segmented_radix_sort_implIS3_Lb1EPKS5_PS5_PKlPlN2at6native12_GLOBAL__N_18offset_tEEE10hipError_tPvRmT1_PNSt15iterator_traitsISL_E10value_typeET2_T3_PNSM_ISR_E10value_typeET4_jRbjT5_SX_jjP12ihipStream_tbEUlT_E2_NS1_11comp_targetILNS1_3genE2ELNS1_11target_archE906ELNS1_3gpuE6ELNS1_3repE0EEENS1_30default_config_static_selectorELNS0_4arch9wavefront6targetE1EEEvSL_.has_indirect_call, or(0, .L_ZN7rocprim17ROCPRIM_400000_NS6detail26segmented_warp_sort_helperINS1_20WarpSortHelperConfigILj8ELj4ELj256EEE12hip_bfloat16lLi256ELb1EvE4sortIPKS5_PS5_PKlPlEEvT_T0_T1_T2_jjjjRNS6_12storage_typeE.has_indirect_call, .L_ZN7rocprim17ROCPRIM_400000_NS6detail40segmented_radix_sort_single_block_helperI12hip_bfloat16lLj256ELj8ELb1EE4sortIPKS3_PS3_PKlPlEEbT_T0_T1_T2_jjjjRNS4_12storage_typeE.has_indirect_call)
	.section	.AMDGPU.csdata,"",@progbits
; Kernel info:
; codeLenInByte = 38072
; TotalNumSgprs: 85
; NumVgprs: 195
; ScratchSize: 0
; MemoryBound: 0
; FloatMode: 240
; IeeeMode: 1
; LDSByteSize: 17424 bytes/workgroup (compile time only)
; SGPRBlocks: 12
; VGPRBlocks: 48
; NumSGPRsForWavesPerEU: 102
; NumVGPRsForWavesPerEU: 195
; Occupancy: 1
; WaveLimiterHint : 1
; COMPUTE_PGM_RSRC2:SCRATCH_EN: 0
; COMPUTE_PGM_RSRC2:USER_SGPR: 6
; COMPUTE_PGM_RSRC2:TRAP_HANDLER: 0
; COMPUTE_PGM_RSRC2:TGID_X_EN: 1
; COMPUTE_PGM_RSRC2:TGID_Y_EN: 1
; COMPUTE_PGM_RSRC2:TGID_Z_EN: 0
; COMPUTE_PGM_RSRC2:TIDIG_COMP_CNT: 2
	.section	.text._ZN7rocprim17ROCPRIM_400000_NS6detail17trampoline_kernelINS0_14default_configENS1_36segmented_radix_sort_config_selectorI12hip_bfloat16lEEZNS1_25segmented_radix_sort_implIS3_Lb1EPKS5_PS5_PKlPlN2at6native12_GLOBAL__N_18offset_tEEE10hipError_tPvRmT1_PNSt15iterator_traitsISL_E10value_typeET2_T3_PNSM_ISR_E10value_typeET4_jRbjT5_SX_jjP12ihipStream_tbEUlT_E2_NS1_11comp_targetILNS1_3genE10ELNS1_11target_archE1201ELNS1_3gpuE5ELNS1_3repE0EEENS1_30default_config_static_selectorELNS0_4arch9wavefront6targetE1EEEvSL_,"axG",@progbits,_ZN7rocprim17ROCPRIM_400000_NS6detail17trampoline_kernelINS0_14default_configENS1_36segmented_radix_sort_config_selectorI12hip_bfloat16lEEZNS1_25segmented_radix_sort_implIS3_Lb1EPKS5_PS5_PKlPlN2at6native12_GLOBAL__N_18offset_tEEE10hipError_tPvRmT1_PNSt15iterator_traitsISL_E10value_typeET2_T3_PNSM_ISR_E10value_typeET4_jRbjT5_SX_jjP12ihipStream_tbEUlT_E2_NS1_11comp_targetILNS1_3genE10ELNS1_11target_archE1201ELNS1_3gpuE5ELNS1_3repE0EEENS1_30default_config_static_selectorELNS0_4arch9wavefront6targetE1EEEvSL_,comdat
	.globl	_ZN7rocprim17ROCPRIM_400000_NS6detail17trampoline_kernelINS0_14default_configENS1_36segmented_radix_sort_config_selectorI12hip_bfloat16lEEZNS1_25segmented_radix_sort_implIS3_Lb1EPKS5_PS5_PKlPlN2at6native12_GLOBAL__N_18offset_tEEE10hipError_tPvRmT1_PNSt15iterator_traitsISL_E10value_typeET2_T3_PNSM_ISR_E10value_typeET4_jRbjT5_SX_jjP12ihipStream_tbEUlT_E2_NS1_11comp_targetILNS1_3genE10ELNS1_11target_archE1201ELNS1_3gpuE5ELNS1_3repE0EEENS1_30default_config_static_selectorELNS0_4arch9wavefront6targetE1EEEvSL_ ; -- Begin function _ZN7rocprim17ROCPRIM_400000_NS6detail17trampoline_kernelINS0_14default_configENS1_36segmented_radix_sort_config_selectorI12hip_bfloat16lEEZNS1_25segmented_radix_sort_implIS3_Lb1EPKS5_PS5_PKlPlN2at6native12_GLOBAL__N_18offset_tEEE10hipError_tPvRmT1_PNSt15iterator_traitsISL_E10value_typeET2_T3_PNSM_ISR_E10value_typeET4_jRbjT5_SX_jjP12ihipStream_tbEUlT_E2_NS1_11comp_targetILNS1_3genE10ELNS1_11target_archE1201ELNS1_3gpuE5ELNS1_3repE0EEENS1_30default_config_static_selectorELNS0_4arch9wavefront6targetE1EEEvSL_
	.p2align	8
	.type	_ZN7rocprim17ROCPRIM_400000_NS6detail17trampoline_kernelINS0_14default_configENS1_36segmented_radix_sort_config_selectorI12hip_bfloat16lEEZNS1_25segmented_radix_sort_implIS3_Lb1EPKS5_PS5_PKlPlN2at6native12_GLOBAL__N_18offset_tEEE10hipError_tPvRmT1_PNSt15iterator_traitsISL_E10value_typeET2_T3_PNSM_ISR_E10value_typeET4_jRbjT5_SX_jjP12ihipStream_tbEUlT_E2_NS1_11comp_targetILNS1_3genE10ELNS1_11target_archE1201ELNS1_3gpuE5ELNS1_3repE0EEENS1_30default_config_static_selectorELNS0_4arch9wavefront6targetE1EEEvSL_,@function
_ZN7rocprim17ROCPRIM_400000_NS6detail17trampoline_kernelINS0_14default_configENS1_36segmented_radix_sort_config_selectorI12hip_bfloat16lEEZNS1_25segmented_radix_sort_implIS3_Lb1EPKS5_PS5_PKlPlN2at6native12_GLOBAL__N_18offset_tEEE10hipError_tPvRmT1_PNSt15iterator_traitsISL_E10value_typeET2_T3_PNSM_ISR_E10value_typeET4_jRbjT5_SX_jjP12ihipStream_tbEUlT_E2_NS1_11comp_targetILNS1_3genE10ELNS1_11target_archE1201ELNS1_3gpuE5ELNS1_3repE0EEENS1_30default_config_static_selectorELNS0_4arch9wavefront6targetE1EEEvSL_: ; @_ZN7rocprim17ROCPRIM_400000_NS6detail17trampoline_kernelINS0_14default_configENS1_36segmented_radix_sort_config_selectorI12hip_bfloat16lEEZNS1_25segmented_radix_sort_implIS3_Lb1EPKS5_PS5_PKlPlN2at6native12_GLOBAL__N_18offset_tEEE10hipError_tPvRmT1_PNSt15iterator_traitsISL_E10value_typeET2_T3_PNSM_ISR_E10value_typeET4_jRbjT5_SX_jjP12ihipStream_tbEUlT_E2_NS1_11comp_targetILNS1_3genE10ELNS1_11target_archE1201ELNS1_3gpuE5ELNS1_3repE0EEENS1_30default_config_static_selectorELNS0_4arch9wavefront6targetE1EEEvSL_
; %bb.0:
	.section	.rodata,"a",@progbits
	.p2align	6, 0x0
	.amdhsa_kernel _ZN7rocprim17ROCPRIM_400000_NS6detail17trampoline_kernelINS0_14default_configENS1_36segmented_radix_sort_config_selectorI12hip_bfloat16lEEZNS1_25segmented_radix_sort_implIS3_Lb1EPKS5_PS5_PKlPlN2at6native12_GLOBAL__N_18offset_tEEE10hipError_tPvRmT1_PNSt15iterator_traitsISL_E10value_typeET2_T3_PNSM_ISR_E10value_typeET4_jRbjT5_SX_jjP12ihipStream_tbEUlT_E2_NS1_11comp_targetILNS1_3genE10ELNS1_11target_archE1201ELNS1_3gpuE5ELNS1_3repE0EEENS1_30default_config_static_selectorELNS0_4arch9wavefront6targetE1EEEvSL_
		.amdhsa_group_segment_fixed_size 0
		.amdhsa_private_segment_fixed_size 0
		.amdhsa_kernarg_size 80
		.amdhsa_user_sgpr_count 6
		.amdhsa_user_sgpr_private_segment_buffer 1
		.amdhsa_user_sgpr_dispatch_ptr 0
		.amdhsa_user_sgpr_queue_ptr 0
		.amdhsa_user_sgpr_kernarg_segment_ptr 1
		.amdhsa_user_sgpr_dispatch_id 0
		.amdhsa_user_sgpr_flat_scratch_init 0
		.amdhsa_user_sgpr_private_segment_size 0
		.amdhsa_uses_dynamic_stack 0
		.amdhsa_system_sgpr_private_segment_wavefront_offset 0
		.amdhsa_system_sgpr_workgroup_id_x 1
		.amdhsa_system_sgpr_workgroup_id_y 0
		.amdhsa_system_sgpr_workgroup_id_z 0
		.amdhsa_system_sgpr_workgroup_info 0
		.amdhsa_system_vgpr_workitem_id 0
		.amdhsa_next_free_vgpr 1
		.amdhsa_next_free_sgpr 0
		.amdhsa_reserve_vcc 0
		.amdhsa_reserve_flat_scratch 0
		.amdhsa_float_round_mode_32 0
		.amdhsa_float_round_mode_16_64 0
		.amdhsa_float_denorm_mode_32 3
		.amdhsa_float_denorm_mode_16_64 3
		.amdhsa_dx10_clamp 1
		.amdhsa_ieee_mode 1
		.amdhsa_fp16_overflow 0
		.amdhsa_exception_fp_ieee_invalid_op 0
		.amdhsa_exception_fp_denorm_src 0
		.amdhsa_exception_fp_ieee_div_zero 0
		.amdhsa_exception_fp_ieee_overflow 0
		.amdhsa_exception_fp_ieee_underflow 0
		.amdhsa_exception_fp_ieee_inexact 0
		.amdhsa_exception_int_div_zero 0
	.end_amdhsa_kernel
	.section	.text._ZN7rocprim17ROCPRIM_400000_NS6detail17trampoline_kernelINS0_14default_configENS1_36segmented_radix_sort_config_selectorI12hip_bfloat16lEEZNS1_25segmented_radix_sort_implIS3_Lb1EPKS5_PS5_PKlPlN2at6native12_GLOBAL__N_18offset_tEEE10hipError_tPvRmT1_PNSt15iterator_traitsISL_E10value_typeET2_T3_PNSM_ISR_E10value_typeET4_jRbjT5_SX_jjP12ihipStream_tbEUlT_E2_NS1_11comp_targetILNS1_3genE10ELNS1_11target_archE1201ELNS1_3gpuE5ELNS1_3repE0EEENS1_30default_config_static_selectorELNS0_4arch9wavefront6targetE1EEEvSL_,"axG",@progbits,_ZN7rocprim17ROCPRIM_400000_NS6detail17trampoline_kernelINS0_14default_configENS1_36segmented_radix_sort_config_selectorI12hip_bfloat16lEEZNS1_25segmented_radix_sort_implIS3_Lb1EPKS5_PS5_PKlPlN2at6native12_GLOBAL__N_18offset_tEEE10hipError_tPvRmT1_PNSt15iterator_traitsISL_E10value_typeET2_T3_PNSM_ISR_E10value_typeET4_jRbjT5_SX_jjP12ihipStream_tbEUlT_E2_NS1_11comp_targetILNS1_3genE10ELNS1_11target_archE1201ELNS1_3gpuE5ELNS1_3repE0EEENS1_30default_config_static_selectorELNS0_4arch9wavefront6targetE1EEEvSL_,comdat
.Lfunc_end1981:
	.size	_ZN7rocprim17ROCPRIM_400000_NS6detail17trampoline_kernelINS0_14default_configENS1_36segmented_radix_sort_config_selectorI12hip_bfloat16lEEZNS1_25segmented_radix_sort_implIS3_Lb1EPKS5_PS5_PKlPlN2at6native12_GLOBAL__N_18offset_tEEE10hipError_tPvRmT1_PNSt15iterator_traitsISL_E10value_typeET2_T3_PNSM_ISR_E10value_typeET4_jRbjT5_SX_jjP12ihipStream_tbEUlT_E2_NS1_11comp_targetILNS1_3genE10ELNS1_11target_archE1201ELNS1_3gpuE5ELNS1_3repE0EEENS1_30default_config_static_selectorELNS0_4arch9wavefront6targetE1EEEvSL_, .Lfunc_end1981-_ZN7rocprim17ROCPRIM_400000_NS6detail17trampoline_kernelINS0_14default_configENS1_36segmented_radix_sort_config_selectorI12hip_bfloat16lEEZNS1_25segmented_radix_sort_implIS3_Lb1EPKS5_PS5_PKlPlN2at6native12_GLOBAL__N_18offset_tEEE10hipError_tPvRmT1_PNSt15iterator_traitsISL_E10value_typeET2_T3_PNSM_ISR_E10value_typeET4_jRbjT5_SX_jjP12ihipStream_tbEUlT_E2_NS1_11comp_targetILNS1_3genE10ELNS1_11target_archE1201ELNS1_3gpuE5ELNS1_3repE0EEENS1_30default_config_static_selectorELNS0_4arch9wavefront6targetE1EEEvSL_
                                        ; -- End function
	.set _ZN7rocprim17ROCPRIM_400000_NS6detail17trampoline_kernelINS0_14default_configENS1_36segmented_radix_sort_config_selectorI12hip_bfloat16lEEZNS1_25segmented_radix_sort_implIS3_Lb1EPKS5_PS5_PKlPlN2at6native12_GLOBAL__N_18offset_tEEE10hipError_tPvRmT1_PNSt15iterator_traitsISL_E10value_typeET2_T3_PNSM_ISR_E10value_typeET4_jRbjT5_SX_jjP12ihipStream_tbEUlT_E2_NS1_11comp_targetILNS1_3genE10ELNS1_11target_archE1201ELNS1_3gpuE5ELNS1_3repE0EEENS1_30default_config_static_selectorELNS0_4arch9wavefront6targetE1EEEvSL_.num_vgpr, 0
	.set _ZN7rocprim17ROCPRIM_400000_NS6detail17trampoline_kernelINS0_14default_configENS1_36segmented_radix_sort_config_selectorI12hip_bfloat16lEEZNS1_25segmented_radix_sort_implIS3_Lb1EPKS5_PS5_PKlPlN2at6native12_GLOBAL__N_18offset_tEEE10hipError_tPvRmT1_PNSt15iterator_traitsISL_E10value_typeET2_T3_PNSM_ISR_E10value_typeET4_jRbjT5_SX_jjP12ihipStream_tbEUlT_E2_NS1_11comp_targetILNS1_3genE10ELNS1_11target_archE1201ELNS1_3gpuE5ELNS1_3repE0EEENS1_30default_config_static_selectorELNS0_4arch9wavefront6targetE1EEEvSL_.num_agpr, 0
	.set _ZN7rocprim17ROCPRIM_400000_NS6detail17trampoline_kernelINS0_14default_configENS1_36segmented_radix_sort_config_selectorI12hip_bfloat16lEEZNS1_25segmented_radix_sort_implIS3_Lb1EPKS5_PS5_PKlPlN2at6native12_GLOBAL__N_18offset_tEEE10hipError_tPvRmT1_PNSt15iterator_traitsISL_E10value_typeET2_T3_PNSM_ISR_E10value_typeET4_jRbjT5_SX_jjP12ihipStream_tbEUlT_E2_NS1_11comp_targetILNS1_3genE10ELNS1_11target_archE1201ELNS1_3gpuE5ELNS1_3repE0EEENS1_30default_config_static_selectorELNS0_4arch9wavefront6targetE1EEEvSL_.numbered_sgpr, 0
	.set _ZN7rocprim17ROCPRIM_400000_NS6detail17trampoline_kernelINS0_14default_configENS1_36segmented_radix_sort_config_selectorI12hip_bfloat16lEEZNS1_25segmented_radix_sort_implIS3_Lb1EPKS5_PS5_PKlPlN2at6native12_GLOBAL__N_18offset_tEEE10hipError_tPvRmT1_PNSt15iterator_traitsISL_E10value_typeET2_T3_PNSM_ISR_E10value_typeET4_jRbjT5_SX_jjP12ihipStream_tbEUlT_E2_NS1_11comp_targetILNS1_3genE10ELNS1_11target_archE1201ELNS1_3gpuE5ELNS1_3repE0EEENS1_30default_config_static_selectorELNS0_4arch9wavefront6targetE1EEEvSL_.num_named_barrier, 0
	.set _ZN7rocprim17ROCPRIM_400000_NS6detail17trampoline_kernelINS0_14default_configENS1_36segmented_radix_sort_config_selectorI12hip_bfloat16lEEZNS1_25segmented_radix_sort_implIS3_Lb1EPKS5_PS5_PKlPlN2at6native12_GLOBAL__N_18offset_tEEE10hipError_tPvRmT1_PNSt15iterator_traitsISL_E10value_typeET2_T3_PNSM_ISR_E10value_typeET4_jRbjT5_SX_jjP12ihipStream_tbEUlT_E2_NS1_11comp_targetILNS1_3genE10ELNS1_11target_archE1201ELNS1_3gpuE5ELNS1_3repE0EEENS1_30default_config_static_selectorELNS0_4arch9wavefront6targetE1EEEvSL_.private_seg_size, 0
	.set _ZN7rocprim17ROCPRIM_400000_NS6detail17trampoline_kernelINS0_14default_configENS1_36segmented_radix_sort_config_selectorI12hip_bfloat16lEEZNS1_25segmented_radix_sort_implIS3_Lb1EPKS5_PS5_PKlPlN2at6native12_GLOBAL__N_18offset_tEEE10hipError_tPvRmT1_PNSt15iterator_traitsISL_E10value_typeET2_T3_PNSM_ISR_E10value_typeET4_jRbjT5_SX_jjP12ihipStream_tbEUlT_E2_NS1_11comp_targetILNS1_3genE10ELNS1_11target_archE1201ELNS1_3gpuE5ELNS1_3repE0EEENS1_30default_config_static_selectorELNS0_4arch9wavefront6targetE1EEEvSL_.uses_vcc, 0
	.set _ZN7rocprim17ROCPRIM_400000_NS6detail17trampoline_kernelINS0_14default_configENS1_36segmented_radix_sort_config_selectorI12hip_bfloat16lEEZNS1_25segmented_radix_sort_implIS3_Lb1EPKS5_PS5_PKlPlN2at6native12_GLOBAL__N_18offset_tEEE10hipError_tPvRmT1_PNSt15iterator_traitsISL_E10value_typeET2_T3_PNSM_ISR_E10value_typeET4_jRbjT5_SX_jjP12ihipStream_tbEUlT_E2_NS1_11comp_targetILNS1_3genE10ELNS1_11target_archE1201ELNS1_3gpuE5ELNS1_3repE0EEENS1_30default_config_static_selectorELNS0_4arch9wavefront6targetE1EEEvSL_.uses_flat_scratch, 0
	.set _ZN7rocprim17ROCPRIM_400000_NS6detail17trampoline_kernelINS0_14default_configENS1_36segmented_radix_sort_config_selectorI12hip_bfloat16lEEZNS1_25segmented_radix_sort_implIS3_Lb1EPKS5_PS5_PKlPlN2at6native12_GLOBAL__N_18offset_tEEE10hipError_tPvRmT1_PNSt15iterator_traitsISL_E10value_typeET2_T3_PNSM_ISR_E10value_typeET4_jRbjT5_SX_jjP12ihipStream_tbEUlT_E2_NS1_11comp_targetILNS1_3genE10ELNS1_11target_archE1201ELNS1_3gpuE5ELNS1_3repE0EEENS1_30default_config_static_selectorELNS0_4arch9wavefront6targetE1EEEvSL_.has_dyn_sized_stack, 0
	.set _ZN7rocprim17ROCPRIM_400000_NS6detail17trampoline_kernelINS0_14default_configENS1_36segmented_radix_sort_config_selectorI12hip_bfloat16lEEZNS1_25segmented_radix_sort_implIS3_Lb1EPKS5_PS5_PKlPlN2at6native12_GLOBAL__N_18offset_tEEE10hipError_tPvRmT1_PNSt15iterator_traitsISL_E10value_typeET2_T3_PNSM_ISR_E10value_typeET4_jRbjT5_SX_jjP12ihipStream_tbEUlT_E2_NS1_11comp_targetILNS1_3genE10ELNS1_11target_archE1201ELNS1_3gpuE5ELNS1_3repE0EEENS1_30default_config_static_selectorELNS0_4arch9wavefront6targetE1EEEvSL_.has_recursion, 0
	.set _ZN7rocprim17ROCPRIM_400000_NS6detail17trampoline_kernelINS0_14default_configENS1_36segmented_radix_sort_config_selectorI12hip_bfloat16lEEZNS1_25segmented_radix_sort_implIS3_Lb1EPKS5_PS5_PKlPlN2at6native12_GLOBAL__N_18offset_tEEE10hipError_tPvRmT1_PNSt15iterator_traitsISL_E10value_typeET2_T3_PNSM_ISR_E10value_typeET4_jRbjT5_SX_jjP12ihipStream_tbEUlT_E2_NS1_11comp_targetILNS1_3genE10ELNS1_11target_archE1201ELNS1_3gpuE5ELNS1_3repE0EEENS1_30default_config_static_selectorELNS0_4arch9wavefront6targetE1EEEvSL_.has_indirect_call, 0
	.section	.AMDGPU.csdata,"",@progbits
; Kernel info:
; codeLenInByte = 0
; TotalNumSgprs: 4
; NumVgprs: 0
; ScratchSize: 0
; MemoryBound: 0
; FloatMode: 240
; IeeeMode: 1
; LDSByteSize: 0 bytes/workgroup (compile time only)
; SGPRBlocks: 0
; VGPRBlocks: 0
; NumSGPRsForWavesPerEU: 4
; NumVGPRsForWavesPerEU: 1
; Occupancy: 10
; WaveLimiterHint : 0
; COMPUTE_PGM_RSRC2:SCRATCH_EN: 0
; COMPUTE_PGM_RSRC2:USER_SGPR: 6
; COMPUTE_PGM_RSRC2:TRAP_HANDLER: 0
; COMPUTE_PGM_RSRC2:TGID_X_EN: 1
; COMPUTE_PGM_RSRC2:TGID_Y_EN: 0
; COMPUTE_PGM_RSRC2:TGID_Z_EN: 0
; COMPUTE_PGM_RSRC2:TIDIG_COMP_CNT: 0
	.section	.text._ZN7rocprim17ROCPRIM_400000_NS6detail17trampoline_kernelINS0_14default_configENS1_36segmented_radix_sort_config_selectorI12hip_bfloat16lEEZNS1_25segmented_radix_sort_implIS3_Lb1EPKS5_PS5_PKlPlN2at6native12_GLOBAL__N_18offset_tEEE10hipError_tPvRmT1_PNSt15iterator_traitsISL_E10value_typeET2_T3_PNSM_ISR_E10value_typeET4_jRbjT5_SX_jjP12ihipStream_tbEUlT_E2_NS1_11comp_targetILNS1_3genE10ELNS1_11target_archE1200ELNS1_3gpuE4ELNS1_3repE0EEENS1_30default_config_static_selectorELNS0_4arch9wavefront6targetE1EEEvSL_,"axG",@progbits,_ZN7rocprim17ROCPRIM_400000_NS6detail17trampoline_kernelINS0_14default_configENS1_36segmented_radix_sort_config_selectorI12hip_bfloat16lEEZNS1_25segmented_radix_sort_implIS3_Lb1EPKS5_PS5_PKlPlN2at6native12_GLOBAL__N_18offset_tEEE10hipError_tPvRmT1_PNSt15iterator_traitsISL_E10value_typeET2_T3_PNSM_ISR_E10value_typeET4_jRbjT5_SX_jjP12ihipStream_tbEUlT_E2_NS1_11comp_targetILNS1_3genE10ELNS1_11target_archE1200ELNS1_3gpuE4ELNS1_3repE0EEENS1_30default_config_static_selectorELNS0_4arch9wavefront6targetE1EEEvSL_,comdat
	.globl	_ZN7rocprim17ROCPRIM_400000_NS6detail17trampoline_kernelINS0_14default_configENS1_36segmented_radix_sort_config_selectorI12hip_bfloat16lEEZNS1_25segmented_radix_sort_implIS3_Lb1EPKS5_PS5_PKlPlN2at6native12_GLOBAL__N_18offset_tEEE10hipError_tPvRmT1_PNSt15iterator_traitsISL_E10value_typeET2_T3_PNSM_ISR_E10value_typeET4_jRbjT5_SX_jjP12ihipStream_tbEUlT_E2_NS1_11comp_targetILNS1_3genE10ELNS1_11target_archE1200ELNS1_3gpuE4ELNS1_3repE0EEENS1_30default_config_static_selectorELNS0_4arch9wavefront6targetE1EEEvSL_ ; -- Begin function _ZN7rocprim17ROCPRIM_400000_NS6detail17trampoline_kernelINS0_14default_configENS1_36segmented_radix_sort_config_selectorI12hip_bfloat16lEEZNS1_25segmented_radix_sort_implIS3_Lb1EPKS5_PS5_PKlPlN2at6native12_GLOBAL__N_18offset_tEEE10hipError_tPvRmT1_PNSt15iterator_traitsISL_E10value_typeET2_T3_PNSM_ISR_E10value_typeET4_jRbjT5_SX_jjP12ihipStream_tbEUlT_E2_NS1_11comp_targetILNS1_3genE10ELNS1_11target_archE1200ELNS1_3gpuE4ELNS1_3repE0EEENS1_30default_config_static_selectorELNS0_4arch9wavefront6targetE1EEEvSL_
	.p2align	8
	.type	_ZN7rocprim17ROCPRIM_400000_NS6detail17trampoline_kernelINS0_14default_configENS1_36segmented_radix_sort_config_selectorI12hip_bfloat16lEEZNS1_25segmented_radix_sort_implIS3_Lb1EPKS5_PS5_PKlPlN2at6native12_GLOBAL__N_18offset_tEEE10hipError_tPvRmT1_PNSt15iterator_traitsISL_E10value_typeET2_T3_PNSM_ISR_E10value_typeET4_jRbjT5_SX_jjP12ihipStream_tbEUlT_E2_NS1_11comp_targetILNS1_3genE10ELNS1_11target_archE1200ELNS1_3gpuE4ELNS1_3repE0EEENS1_30default_config_static_selectorELNS0_4arch9wavefront6targetE1EEEvSL_,@function
_ZN7rocprim17ROCPRIM_400000_NS6detail17trampoline_kernelINS0_14default_configENS1_36segmented_radix_sort_config_selectorI12hip_bfloat16lEEZNS1_25segmented_radix_sort_implIS3_Lb1EPKS5_PS5_PKlPlN2at6native12_GLOBAL__N_18offset_tEEE10hipError_tPvRmT1_PNSt15iterator_traitsISL_E10value_typeET2_T3_PNSM_ISR_E10value_typeET4_jRbjT5_SX_jjP12ihipStream_tbEUlT_E2_NS1_11comp_targetILNS1_3genE10ELNS1_11target_archE1200ELNS1_3gpuE4ELNS1_3repE0EEENS1_30default_config_static_selectorELNS0_4arch9wavefront6targetE1EEEvSL_: ; @_ZN7rocprim17ROCPRIM_400000_NS6detail17trampoline_kernelINS0_14default_configENS1_36segmented_radix_sort_config_selectorI12hip_bfloat16lEEZNS1_25segmented_radix_sort_implIS3_Lb1EPKS5_PS5_PKlPlN2at6native12_GLOBAL__N_18offset_tEEE10hipError_tPvRmT1_PNSt15iterator_traitsISL_E10value_typeET2_T3_PNSM_ISR_E10value_typeET4_jRbjT5_SX_jjP12ihipStream_tbEUlT_E2_NS1_11comp_targetILNS1_3genE10ELNS1_11target_archE1200ELNS1_3gpuE4ELNS1_3repE0EEENS1_30default_config_static_selectorELNS0_4arch9wavefront6targetE1EEEvSL_
; %bb.0:
	.section	.rodata,"a",@progbits
	.p2align	6, 0x0
	.amdhsa_kernel _ZN7rocprim17ROCPRIM_400000_NS6detail17trampoline_kernelINS0_14default_configENS1_36segmented_radix_sort_config_selectorI12hip_bfloat16lEEZNS1_25segmented_radix_sort_implIS3_Lb1EPKS5_PS5_PKlPlN2at6native12_GLOBAL__N_18offset_tEEE10hipError_tPvRmT1_PNSt15iterator_traitsISL_E10value_typeET2_T3_PNSM_ISR_E10value_typeET4_jRbjT5_SX_jjP12ihipStream_tbEUlT_E2_NS1_11comp_targetILNS1_3genE10ELNS1_11target_archE1200ELNS1_3gpuE4ELNS1_3repE0EEENS1_30default_config_static_selectorELNS0_4arch9wavefront6targetE1EEEvSL_
		.amdhsa_group_segment_fixed_size 0
		.amdhsa_private_segment_fixed_size 0
		.amdhsa_kernarg_size 80
		.amdhsa_user_sgpr_count 6
		.amdhsa_user_sgpr_private_segment_buffer 1
		.amdhsa_user_sgpr_dispatch_ptr 0
		.amdhsa_user_sgpr_queue_ptr 0
		.amdhsa_user_sgpr_kernarg_segment_ptr 1
		.amdhsa_user_sgpr_dispatch_id 0
		.amdhsa_user_sgpr_flat_scratch_init 0
		.amdhsa_user_sgpr_private_segment_size 0
		.amdhsa_uses_dynamic_stack 0
		.amdhsa_system_sgpr_private_segment_wavefront_offset 0
		.amdhsa_system_sgpr_workgroup_id_x 1
		.amdhsa_system_sgpr_workgroup_id_y 0
		.amdhsa_system_sgpr_workgroup_id_z 0
		.amdhsa_system_sgpr_workgroup_info 0
		.amdhsa_system_vgpr_workitem_id 0
		.amdhsa_next_free_vgpr 1
		.amdhsa_next_free_sgpr 0
		.amdhsa_reserve_vcc 0
		.amdhsa_reserve_flat_scratch 0
		.amdhsa_float_round_mode_32 0
		.amdhsa_float_round_mode_16_64 0
		.amdhsa_float_denorm_mode_32 3
		.amdhsa_float_denorm_mode_16_64 3
		.amdhsa_dx10_clamp 1
		.amdhsa_ieee_mode 1
		.amdhsa_fp16_overflow 0
		.amdhsa_exception_fp_ieee_invalid_op 0
		.amdhsa_exception_fp_denorm_src 0
		.amdhsa_exception_fp_ieee_div_zero 0
		.amdhsa_exception_fp_ieee_overflow 0
		.amdhsa_exception_fp_ieee_underflow 0
		.amdhsa_exception_fp_ieee_inexact 0
		.amdhsa_exception_int_div_zero 0
	.end_amdhsa_kernel
	.section	.text._ZN7rocprim17ROCPRIM_400000_NS6detail17trampoline_kernelINS0_14default_configENS1_36segmented_radix_sort_config_selectorI12hip_bfloat16lEEZNS1_25segmented_radix_sort_implIS3_Lb1EPKS5_PS5_PKlPlN2at6native12_GLOBAL__N_18offset_tEEE10hipError_tPvRmT1_PNSt15iterator_traitsISL_E10value_typeET2_T3_PNSM_ISR_E10value_typeET4_jRbjT5_SX_jjP12ihipStream_tbEUlT_E2_NS1_11comp_targetILNS1_3genE10ELNS1_11target_archE1200ELNS1_3gpuE4ELNS1_3repE0EEENS1_30default_config_static_selectorELNS0_4arch9wavefront6targetE1EEEvSL_,"axG",@progbits,_ZN7rocprim17ROCPRIM_400000_NS6detail17trampoline_kernelINS0_14default_configENS1_36segmented_radix_sort_config_selectorI12hip_bfloat16lEEZNS1_25segmented_radix_sort_implIS3_Lb1EPKS5_PS5_PKlPlN2at6native12_GLOBAL__N_18offset_tEEE10hipError_tPvRmT1_PNSt15iterator_traitsISL_E10value_typeET2_T3_PNSM_ISR_E10value_typeET4_jRbjT5_SX_jjP12ihipStream_tbEUlT_E2_NS1_11comp_targetILNS1_3genE10ELNS1_11target_archE1200ELNS1_3gpuE4ELNS1_3repE0EEENS1_30default_config_static_selectorELNS0_4arch9wavefront6targetE1EEEvSL_,comdat
.Lfunc_end1982:
	.size	_ZN7rocprim17ROCPRIM_400000_NS6detail17trampoline_kernelINS0_14default_configENS1_36segmented_radix_sort_config_selectorI12hip_bfloat16lEEZNS1_25segmented_radix_sort_implIS3_Lb1EPKS5_PS5_PKlPlN2at6native12_GLOBAL__N_18offset_tEEE10hipError_tPvRmT1_PNSt15iterator_traitsISL_E10value_typeET2_T3_PNSM_ISR_E10value_typeET4_jRbjT5_SX_jjP12ihipStream_tbEUlT_E2_NS1_11comp_targetILNS1_3genE10ELNS1_11target_archE1200ELNS1_3gpuE4ELNS1_3repE0EEENS1_30default_config_static_selectorELNS0_4arch9wavefront6targetE1EEEvSL_, .Lfunc_end1982-_ZN7rocprim17ROCPRIM_400000_NS6detail17trampoline_kernelINS0_14default_configENS1_36segmented_radix_sort_config_selectorI12hip_bfloat16lEEZNS1_25segmented_radix_sort_implIS3_Lb1EPKS5_PS5_PKlPlN2at6native12_GLOBAL__N_18offset_tEEE10hipError_tPvRmT1_PNSt15iterator_traitsISL_E10value_typeET2_T3_PNSM_ISR_E10value_typeET4_jRbjT5_SX_jjP12ihipStream_tbEUlT_E2_NS1_11comp_targetILNS1_3genE10ELNS1_11target_archE1200ELNS1_3gpuE4ELNS1_3repE0EEENS1_30default_config_static_selectorELNS0_4arch9wavefront6targetE1EEEvSL_
                                        ; -- End function
	.set _ZN7rocprim17ROCPRIM_400000_NS6detail17trampoline_kernelINS0_14default_configENS1_36segmented_radix_sort_config_selectorI12hip_bfloat16lEEZNS1_25segmented_radix_sort_implIS3_Lb1EPKS5_PS5_PKlPlN2at6native12_GLOBAL__N_18offset_tEEE10hipError_tPvRmT1_PNSt15iterator_traitsISL_E10value_typeET2_T3_PNSM_ISR_E10value_typeET4_jRbjT5_SX_jjP12ihipStream_tbEUlT_E2_NS1_11comp_targetILNS1_3genE10ELNS1_11target_archE1200ELNS1_3gpuE4ELNS1_3repE0EEENS1_30default_config_static_selectorELNS0_4arch9wavefront6targetE1EEEvSL_.num_vgpr, 0
	.set _ZN7rocprim17ROCPRIM_400000_NS6detail17trampoline_kernelINS0_14default_configENS1_36segmented_radix_sort_config_selectorI12hip_bfloat16lEEZNS1_25segmented_radix_sort_implIS3_Lb1EPKS5_PS5_PKlPlN2at6native12_GLOBAL__N_18offset_tEEE10hipError_tPvRmT1_PNSt15iterator_traitsISL_E10value_typeET2_T3_PNSM_ISR_E10value_typeET4_jRbjT5_SX_jjP12ihipStream_tbEUlT_E2_NS1_11comp_targetILNS1_3genE10ELNS1_11target_archE1200ELNS1_3gpuE4ELNS1_3repE0EEENS1_30default_config_static_selectorELNS0_4arch9wavefront6targetE1EEEvSL_.num_agpr, 0
	.set _ZN7rocprim17ROCPRIM_400000_NS6detail17trampoline_kernelINS0_14default_configENS1_36segmented_radix_sort_config_selectorI12hip_bfloat16lEEZNS1_25segmented_radix_sort_implIS3_Lb1EPKS5_PS5_PKlPlN2at6native12_GLOBAL__N_18offset_tEEE10hipError_tPvRmT1_PNSt15iterator_traitsISL_E10value_typeET2_T3_PNSM_ISR_E10value_typeET4_jRbjT5_SX_jjP12ihipStream_tbEUlT_E2_NS1_11comp_targetILNS1_3genE10ELNS1_11target_archE1200ELNS1_3gpuE4ELNS1_3repE0EEENS1_30default_config_static_selectorELNS0_4arch9wavefront6targetE1EEEvSL_.numbered_sgpr, 0
	.set _ZN7rocprim17ROCPRIM_400000_NS6detail17trampoline_kernelINS0_14default_configENS1_36segmented_radix_sort_config_selectorI12hip_bfloat16lEEZNS1_25segmented_radix_sort_implIS3_Lb1EPKS5_PS5_PKlPlN2at6native12_GLOBAL__N_18offset_tEEE10hipError_tPvRmT1_PNSt15iterator_traitsISL_E10value_typeET2_T3_PNSM_ISR_E10value_typeET4_jRbjT5_SX_jjP12ihipStream_tbEUlT_E2_NS1_11comp_targetILNS1_3genE10ELNS1_11target_archE1200ELNS1_3gpuE4ELNS1_3repE0EEENS1_30default_config_static_selectorELNS0_4arch9wavefront6targetE1EEEvSL_.num_named_barrier, 0
	.set _ZN7rocprim17ROCPRIM_400000_NS6detail17trampoline_kernelINS0_14default_configENS1_36segmented_radix_sort_config_selectorI12hip_bfloat16lEEZNS1_25segmented_radix_sort_implIS3_Lb1EPKS5_PS5_PKlPlN2at6native12_GLOBAL__N_18offset_tEEE10hipError_tPvRmT1_PNSt15iterator_traitsISL_E10value_typeET2_T3_PNSM_ISR_E10value_typeET4_jRbjT5_SX_jjP12ihipStream_tbEUlT_E2_NS1_11comp_targetILNS1_3genE10ELNS1_11target_archE1200ELNS1_3gpuE4ELNS1_3repE0EEENS1_30default_config_static_selectorELNS0_4arch9wavefront6targetE1EEEvSL_.private_seg_size, 0
	.set _ZN7rocprim17ROCPRIM_400000_NS6detail17trampoline_kernelINS0_14default_configENS1_36segmented_radix_sort_config_selectorI12hip_bfloat16lEEZNS1_25segmented_radix_sort_implIS3_Lb1EPKS5_PS5_PKlPlN2at6native12_GLOBAL__N_18offset_tEEE10hipError_tPvRmT1_PNSt15iterator_traitsISL_E10value_typeET2_T3_PNSM_ISR_E10value_typeET4_jRbjT5_SX_jjP12ihipStream_tbEUlT_E2_NS1_11comp_targetILNS1_3genE10ELNS1_11target_archE1200ELNS1_3gpuE4ELNS1_3repE0EEENS1_30default_config_static_selectorELNS0_4arch9wavefront6targetE1EEEvSL_.uses_vcc, 0
	.set _ZN7rocprim17ROCPRIM_400000_NS6detail17trampoline_kernelINS0_14default_configENS1_36segmented_radix_sort_config_selectorI12hip_bfloat16lEEZNS1_25segmented_radix_sort_implIS3_Lb1EPKS5_PS5_PKlPlN2at6native12_GLOBAL__N_18offset_tEEE10hipError_tPvRmT1_PNSt15iterator_traitsISL_E10value_typeET2_T3_PNSM_ISR_E10value_typeET4_jRbjT5_SX_jjP12ihipStream_tbEUlT_E2_NS1_11comp_targetILNS1_3genE10ELNS1_11target_archE1200ELNS1_3gpuE4ELNS1_3repE0EEENS1_30default_config_static_selectorELNS0_4arch9wavefront6targetE1EEEvSL_.uses_flat_scratch, 0
	.set _ZN7rocprim17ROCPRIM_400000_NS6detail17trampoline_kernelINS0_14default_configENS1_36segmented_radix_sort_config_selectorI12hip_bfloat16lEEZNS1_25segmented_radix_sort_implIS3_Lb1EPKS5_PS5_PKlPlN2at6native12_GLOBAL__N_18offset_tEEE10hipError_tPvRmT1_PNSt15iterator_traitsISL_E10value_typeET2_T3_PNSM_ISR_E10value_typeET4_jRbjT5_SX_jjP12ihipStream_tbEUlT_E2_NS1_11comp_targetILNS1_3genE10ELNS1_11target_archE1200ELNS1_3gpuE4ELNS1_3repE0EEENS1_30default_config_static_selectorELNS0_4arch9wavefront6targetE1EEEvSL_.has_dyn_sized_stack, 0
	.set _ZN7rocprim17ROCPRIM_400000_NS6detail17trampoline_kernelINS0_14default_configENS1_36segmented_radix_sort_config_selectorI12hip_bfloat16lEEZNS1_25segmented_radix_sort_implIS3_Lb1EPKS5_PS5_PKlPlN2at6native12_GLOBAL__N_18offset_tEEE10hipError_tPvRmT1_PNSt15iterator_traitsISL_E10value_typeET2_T3_PNSM_ISR_E10value_typeET4_jRbjT5_SX_jjP12ihipStream_tbEUlT_E2_NS1_11comp_targetILNS1_3genE10ELNS1_11target_archE1200ELNS1_3gpuE4ELNS1_3repE0EEENS1_30default_config_static_selectorELNS0_4arch9wavefront6targetE1EEEvSL_.has_recursion, 0
	.set _ZN7rocprim17ROCPRIM_400000_NS6detail17trampoline_kernelINS0_14default_configENS1_36segmented_radix_sort_config_selectorI12hip_bfloat16lEEZNS1_25segmented_radix_sort_implIS3_Lb1EPKS5_PS5_PKlPlN2at6native12_GLOBAL__N_18offset_tEEE10hipError_tPvRmT1_PNSt15iterator_traitsISL_E10value_typeET2_T3_PNSM_ISR_E10value_typeET4_jRbjT5_SX_jjP12ihipStream_tbEUlT_E2_NS1_11comp_targetILNS1_3genE10ELNS1_11target_archE1200ELNS1_3gpuE4ELNS1_3repE0EEENS1_30default_config_static_selectorELNS0_4arch9wavefront6targetE1EEEvSL_.has_indirect_call, 0
	.section	.AMDGPU.csdata,"",@progbits
; Kernel info:
; codeLenInByte = 0
; TotalNumSgprs: 4
; NumVgprs: 0
; ScratchSize: 0
; MemoryBound: 0
; FloatMode: 240
; IeeeMode: 1
; LDSByteSize: 0 bytes/workgroup (compile time only)
; SGPRBlocks: 0
; VGPRBlocks: 0
; NumSGPRsForWavesPerEU: 4
; NumVGPRsForWavesPerEU: 1
; Occupancy: 10
; WaveLimiterHint : 0
; COMPUTE_PGM_RSRC2:SCRATCH_EN: 0
; COMPUTE_PGM_RSRC2:USER_SGPR: 6
; COMPUTE_PGM_RSRC2:TRAP_HANDLER: 0
; COMPUTE_PGM_RSRC2:TGID_X_EN: 1
; COMPUTE_PGM_RSRC2:TGID_Y_EN: 0
; COMPUTE_PGM_RSRC2:TGID_Z_EN: 0
; COMPUTE_PGM_RSRC2:TIDIG_COMP_CNT: 0
	.section	.text._ZN7rocprim17ROCPRIM_400000_NS6detail17trampoline_kernelINS0_14default_configENS1_36segmented_radix_sort_config_selectorI12hip_bfloat16lEEZNS1_25segmented_radix_sort_implIS3_Lb1EPKS5_PS5_PKlPlN2at6native12_GLOBAL__N_18offset_tEEE10hipError_tPvRmT1_PNSt15iterator_traitsISL_E10value_typeET2_T3_PNSM_ISR_E10value_typeET4_jRbjT5_SX_jjP12ihipStream_tbEUlT_E2_NS1_11comp_targetILNS1_3genE9ELNS1_11target_archE1100ELNS1_3gpuE3ELNS1_3repE0EEENS1_30default_config_static_selectorELNS0_4arch9wavefront6targetE1EEEvSL_,"axG",@progbits,_ZN7rocprim17ROCPRIM_400000_NS6detail17trampoline_kernelINS0_14default_configENS1_36segmented_radix_sort_config_selectorI12hip_bfloat16lEEZNS1_25segmented_radix_sort_implIS3_Lb1EPKS5_PS5_PKlPlN2at6native12_GLOBAL__N_18offset_tEEE10hipError_tPvRmT1_PNSt15iterator_traitsISL_E10value_typeET2_T3_PNSM_ISR_E10value_typeET4_jRbjT5_SX_jjP12ihipStream_tbEUlT_E2_NS1_11comp_targetILNS1_3genE9ELNS1_11target_archE1100ELNS1_3gpuE3ELNS1_3repE0EEENS1_30default_config_static_selectorELNS0_4arch9wavefront6targetE1EEEvSL_,comdat
	.globl	_ZN7rocprim17ROCPRIM_400000_NS6detail17trampoline_kernelINS0_14default_configENS1_36segmented_radix_sort_config_selectorI12hip_bfloat16lEEZNS1_25segmented_radix_sort_implIS3_Lb1EPKS5_PS5_PKlPlN2at6native12_GLOBAL__N_18offset_tEEE10hipError_tPvRmT1_PNSt15iterator_traitsISL_E10value_typeET2_T3_PNSM_ISR_E10value_typeET4_jRbjT5_SX_jjP12ihipStream_tbEUlT_E2_NS1_11comp_targetILNS1_3genE9ELNS1_11target_archE1100ELNS1_3gpuE3ELNS1_3repE0EEENS1_30default_config_static_selectorELNS0_4arch9wavefront6targetE1EEEvSL_ ; -- Begin function _ZN7rocprim17ROCPRIM_400000_NS6detail17trampoline_kernelINS0_14default_configENS1_36segmented_radix_sort_config_selectorI12hip_bfloat16lEEZNS1_25segmented_radix_sort_implIS3_Lb1EPKS5_PS5_PKlPlN2at6native12_GLOBAL__N_18offset_tEEE10hipError_tPvRmT1_PNSt15iterator_traitsISL_E10value_typeET2_T3_PNSM_ISR_E10value_typeET4_jRbjT5_SX_jjP12ihipStream_tbEUlT_E2_NS1_11comp_targetILNS1_3genE9ELNS1_11target_archE1100ELNS1_3gpuE3ELNS1_3repE0EEENS1_30default_config_static_selectorELNS0_4arch9wavefront6targetE1EEEvSL_
	.p2align	8
	.type	_ZN7rocprim17ROCPRIM_400000_NS6detail17trampoline_kernelINS0_14default_configENS1_36segmented_radix_sort_config_selectorI12hip_bfloat16lEEZNS1_25segmented_radix_sort_implIS3_Lb1EPKS5_PS5_PKlPlN2at6native12_GLOBAL__N_18offset_tEEE10hipError_tPvRmT1_PNSt15iterator_traitsISL_E10value_typeET2_T3_PNSM_ISR_E10value_typeET4_jRbjT5_SX_jjP12ihipStream_tbEUlT_E2_NS1_11comp_targetILNS1_3genE9ELNS1_11target_archE1100ELNS1_3gpuE3ELNS1_3repE0EEENS1_30default_config_static_selectorELNS0_4arch9wavefront6targetE1EEEvSL_,@function
_ZN7rocprim17ROCPRIM_400000_NS6detail17trampoline_kernelINS0_14default_configENS1_36segmented_radix_sort_config_selectorI12hip_bfloat16lEEZNS1_25segmented_radix_sort_implIS3_Lb1EPKS5_PS5_PKlPlN2at6native12_GLOBAL__N_18offset_tEEE10hipError_tPvRmT1_PNSt15iterator_traitsISL_E10value_typeET2_T3_PNSM_ISR_E10value_typeET4_jRbjT5_SX_jjP12ihipStream_tbEUlT_E2_NS1_11comp_targetILNS1_3genE9ELNS1_11target_archE1100ELNS1_3gpuE3ELNS1_3repE0EEENS1_30default_config_static_selectorELNS0_4arch9wavefront6targetE1EEEvSL_: ; @_ZN7rocprim17ROCPRIM_400000_NS6detail17trampoline_kernelINS0_14default_configENS1_36segmented_radix_sort_config_selectorI12hip_bfloat16lEEZNS1_25segmented_radix_sort_implIS3_Lb1EPKS5_PS5_PKlPlN2at6native12_GLOBAL__N_18offset_tEEE10hipError_tPvRmT1_PNSt15iterator_traitsISL_E10value_typeET2_T3_PNSM_ISR_E10value_typeET4_jRbjT5_SX_jjP12ihipStream_tbEUlT_E2_NS1_11comp_targetILNS1_3genE9ELNS1_11target_archE1100ELNS1_3gpuE3ELNS1_3repE0EEENS1_30default_config_static_selectorELNS0_4arch9wavefront6targetE1EEEvSL_
; %bb.0:
	.section	.rodata,"a",@progbits
	.p2align	6, 0x0
	.amdhsa_kernel _ZN7rocprim17ROCPRIM_400000_NS6detail17trampoline_kernelINS0_14default_configENS1_36segmented_radix_sort_config_selectorI12hip_bfloat16lEEZNS1_25segmented_radix_sort_implIS3_Lb1EPKS5_PS5_PKlPlN2at6native12_GLOBAL__N_18offset_tEEE10hipError_tPvRmT1_PNSt15iterator_traitsISL_E10value_typeET2_T3_PNSM_ISR_E10value_typeET4_jRbjT5_SX_jjP12ihipStream_tbEUlT_E2_NS1_11comp_targetILNS1_3genE9ELNS1_11target_archE1100ELNS1_3gpuE3ELNS1_3repE0EEENS1_30default_config_static_selectorELNS0_4arch9wavefront6targetE1EEEvSL_
		.amdhsa_group_segment_fixed_size 0
		.amdhsa_private_segment_fixed_size 0
		.amdhsa_kernarg_size 80
		.amdhsa_user_sgpr_count 6
		.amdhsa_user_sgpr_private_segment_buffer 1
		.amdhsa_user_sgpr_dispatch_ptr 0
		.amdhsa_user_sgpr_queue_ptr 0
		.amdhsa_user_sgpr_kernarg_segment_ptr 1
		.amdhsa_user_sgpr_dispatch_id 0
		.amdhsa_user_sgpr_flat_scratch_init 0
		.amdhsa_user_sgpr_private_segment_size 0
		.amdhsa_uses_dynamic_stack 0
		.amdhsa_system_sgpr_private_segment_wavefront_offset 0
		.amdhsa_system_sgpr_workgroup_id_x 1
		.amdhsa_system_sgpr_workgroup_id_y 0
		.amdhsa_system_sgpr_workgroup_id_z 0
		.amdhsa_system_sgpr_workgroup_info 0
		.amdhsa_system_vgpr_workitem_id 0
		.amdhsa_next_free_vgpr 1
		.amdhsa_next_free_sgpr 0
		.amdhsa_reserve_vcc 0
		.amdhsa_reserve_flat_scratch 0
		.amdhsa_float_round_mode_32 0
		.amdhsa_float_round_mode_16_64 0
		.amdhsa_float_denorm_mode_32 3
		.amdhsa_float_denorm_mode_16_64 3
		.amdhsa_dx10_clamp 1
		.amdhsa_ieee_mode 1
		.amdhsa_fp16_overflow 0
		.amdhsa_exception_fp_ieee_invalid_op 0
		.amdhsa_exception_fp_denorm_src 0
		.amdhsa_exception_fp_ieee_div_zero 0
		.amdhsa_exception_fp_ieee_overflow 0
		.amdhsa_exception_fp_ieee_underflow 0
		.amdhsa_exception_fp_ieee_inexact 0
		.amdhsa_exception_int_div_zero 0
	.end_amdhsa_kernel
	.section	.text._ZN7rocprim17ROCPRIM_400000_NS6detail17trampoline_kernelINS0_14default_configENS1_36segmented_radix_sort_config_selectorI12hip_bfloat16lEEZNS1_25segmented_radix_sort_implIS3_Lb1EPKS5_PS5_PKlPlN2at6native12_GLOBAL__N_18offset_tEEE10hipError_tPvRmT1_PNSt15iterator_traitsISL_E10value_typeET2_T3_PNSM_ISR_E10value_typeET4_jRbjT5_SX_jjP12ihipStream_tbEUlT_E2_NS1_11comp_targetILNS1_3genE9ELNS1_11target_archE1100ELNS1_3gpuE3ELNS1_3repE0EEENS1_30default_config_static_selectorELNS0_4arch9wavefront6targetE1EEEvSL_,"axG",@progbits,_ZN7rocprim17ROCPRIM_400000_NS6detail17trampoline_kernelINS0_14default_configENS1_36segmented_radix_sort_config_selectorI12hip_bfloat16lEEZNS1_25segmented_radix_sort_implIS3_Lb1EPKS5_PS5_PKlPlN2at6native12_GLOBAL__N_18offset_tEEE10hipError_tPvRmT1_PNSt15iterator_traitsISL_E10value_typeET2_T3_PNSM_ISR_E10value_typeET4_jRbjT5_SX_jjP12ihipStream_tbEUlT_E2_NS1_11comp_targetILNS1_3genE9ELNS1_11target_archE1100ELNS1_3gpuE3ELNS1_3repE0EEENS1_30default_config_static_selectorELNS0_4arch9wavefront6targetE1EEEvSL_,comdat
.Lfunc_end1983:
	.size	_ZN7rocprim17ROCPRIM_400000_NS6detail17trampoline_kernelINS0_14default_configENS1_36segmented_radix_sort_config_selectorI12hip_bfloat16lEEZNS1_25segmented_radix_sort_implIS3_Lb1EPKS5_PS5_PKlPlN2at6native12_GLOBAL__N_18offset_tEEE10hipError_tPvRmT1_PNSt15iterator_traitsISL_E10value_typeET2_T3_PNSM_ISR_E10value_typeET4_jRbjT5_SX_jjP12ihipStream_tbEUlT_E2_NS1_11comp_targetILNS1_3genE9ELNS1_11target_archE1100ELNS1_3gpuE3ELNS1_3repE0EEENS1_30default_config_static_selectorELNS0_4arch9wavefront6targetE1EEEvSL_, .Lfunc_end1983-_ZN7rocprim17ROCPRIM_400000_NS6detail17trampoline_kernelINS0_14default_configENS1_36segmented_radix_sort_config_selectorI12hip_bfloat16lEEZNS1_25segmented_radix_sort_implIS3_Lb1EPKS5_PS5_PKlPlN2at6native12_GLOBAL__N_18offset_tEEE10hipError_tPvRmT1_PNSt15iterator_traitsISL_E10value_typeET2_T3_PNSM_ISR_E10value_typeET4_jRbjT5_SX_jjP12ihipStream_tbEUlT_E2_NS1_11comp_targetILNS1_3genE9ELNS1_11target_archE1100ELNS1_3gpuE3ELNS1_3repE0EEENS1_30default_config_static_selectorELNS0_4arch9wavefront6targetE1EEEvSL_
                                        ; -- End function
	.set _ZN7rocprim17ROCPRIM_400000_NS6detail17trampoline_kernelINS0_14default_configENS1_36segmented_radix_sort_config_selectorI12hip_bfloat16lEEZNS1_25segmented_radix_sort_implIS3_Lb1EPKS5_PS5_PKlPlN2at6native12_GLOBAL__N_18offset_tEEE10hipError_tPvRmT1_PNSt15iterator_traitsISL_E10value_typeET2_T3_PNSM_ISR_E10value_typeET4_jRbjT5_SX_jjP12ihipStream_tbEUlT_E2_NS1_11comp_targetILNS1_3genE9ELNS1_11target_archE1100ELNS1_3gpuE3ELNS1_3repE0EEENS1_30default_config_static_selectorELNS0_4arch9wavefront6targetE1EEEvSL_.num_vgpr, 0
	.set _ZN7rocprim17ROCPRIM_400000_NS6detail17trampoline_kernelINS0_14default_configENS1_36segmented_radix_sort_config_selectorI12hip_bfloat16lEEZNS1_25segmented_radix_sort_implIS3_Lb1EPKS5_PS5_PKlPlN2at6native12_GLOBAL__N_18offset_tEEE10hipError_tPvRmT1_PNSt15iterator_traitsISL_E10value_typeET2_T3_PNSM_ISR_E10value_typeET4_jRbjT5_SX_jjP12ihipStream_tbEUlT_E2_NS1_11comp_targetILNS1_3genE9ELNS1_11target_archE1100ELNS1_3gpuE3ELNS1_3repE0EEENS1_30default_config_static_selectorELNS0_4arch9wavefront6targetE1EEEvSL_.num_agpr, 0
	.set _ZN7rocprim17ROCPRIM_400000_NS6detail17trampoline_kernelINS0_14default_configENS1_36segmented_radix_sort_config_selectorI12hip_bfloat16lEEZNS1_25segmented_radix_sort_implIS3_Lb1EPKS5_PS5_PKlPlN2at6native12_GLOBAL__N_18offset_tEEE10hipError_tPvRmT1_PNSt15iterator_traitsISL_E10value_typeET2_T3_PNSM_ISR_E10value_typeET4_jRbjT5_SX_jjP12ihipStream_tbEUlT_E2_NS1_11comp_targetILNS1_3genE9ELNS1_11target_archE1100ELNS1_3gpuE3ELNS1_3repE0EEENS1_30default_config_static_selectorELNS0_4arch9wavefront6targetE1EEEvSL_.numbered_sgpr, 0
	.set _ZN7rocprim17ROCPRIM_400000_NS6detail17trampoline_kernelINS0_14default_configENS1_36segmented_radix_sort_config_selectorI12hip_bfloat16lEEZNS1_25segmented_radix_sort_implIS3_Lb1EPKS5_PS5_PKlPlN2at6native12_GLOBAL__N_18offset_tEEE10hipError_tPvRmT1_PNSt15iterator_traitsISL_E10value_typeET2_T3_PNSM_ISR_E10value_typeET4_jRbjT5_SX_jjP12ihipStream_tbEUlT_E2_NS1_11comp_targetILNS1_3genE9ELNS1_11target_archE1100ELNS1_3gpuE3ELNS1_3repE0EEENS1_30default_config_static_selectorELNS0_4arch9wavefront6targetE1EEEvSL_.num_named_barrier, 0
	.set _ZN7rocprim17ROCPRIM_400000_NS6detail17trampoline_kernelINS0_14default_configENS1_36segmented_radix_sort_config_selectorI12hip_bfloat16lEEZNS1_25segmented_radix_sort_implIS3_Lb1EPKS5_PS5_PKlPlN2at6native12_GLOBAL__N_18offset_tEEE10hipError_tPvRmT1_PNSt15iterator_traitsISL_E10value_typeET2_T3_PNSM_ISR_E10value_typeET4_jRbjT5_SX_jjP12ihipStream_tbEUlT_E2_NS1_11comp_targetILNS1_3genE9ELNS1_11target_archE1100ELNS1_3gpuE3ELNS1_3repE0EEENS1_30default_config_static_selectorELNS0_4arch9wavefront6targetE1EEEvSL_.private_seg_size, 0
	.set _ZN7rocprim17ROCPRIM_400000_NS6detail17trampoline_kernelINS0_14default_configENS1_36segmented_radix_sort_config_selectorI12hip_bfloat16lEEZNS1_25segmented_radix_sort_implIS3_Lb1EPKS5_PS5_PKlPlN2at6native12_GLOBAL__N_18offset_tEEE10hipError_tPvRmT1_PNSt15iterator_traitsISL_E10value_typeET2_T3_PNSM_ISR_E10value_typeET4_jRbjT5_SX_jjP12ihipStream_tbEUlT_E2_NS1_11comp_targetILNS1_3genE9ELNS1_11target_archE1100ELNS1_3gpuE3ELNS1_3repE0EEENS1_30default_config_static_selectorELNS0_4arch9wavefront6targetE1EEEvSL_.uses_vcc, 0
	.set _ZN7rocprim17ROCPRIM_400000_NS6detail17trampoline_kernelINS0_14default_configENS1_36segmented_radix_sort_config_selectorI12hip_bfloat16lEEZNS1_25segmented_radix_sort_implIS3_Lb1EPKS5_PS5_PKlPlN2at6native12_GLOBAL__N_18offset_tEEE10hipError_tPvRmT1_PNSt15iterator_traitsISL_E10value_typeET2_T3_PNSM_ISR_E10value_typeET4_jRbjT5_SX_jjP12ihipStream_tbEUlT_E2_NS1_11comp_targetILNS1_3genE9ELNS1_11target_archE1100ELNS1_3gpuE3ELNS1_3repE0EEENS1_30default_config_static_selectorELNS0_4arch9wavefront6targetE1EEEvSL_.uses_flat_scratch, 0
	.set _ZN7rocprim17ROCPRIM_400000_NS6detail17trampoline_kernelINS0_14default_configENS1_36segmented_radix_sort_config_selectorI12hip_bfloat16lEEZNS1_25segmented_radix_sort_implIS3_Lb1EPKS5_PS5_PKlPlN2at6native12_GLOBAL__N_18offset_tEEE10hipError_tPvRmT1_PNSt15iterator_traitsISL_E10value_typeET2_T3_PNSM_ISR_E10value_typeET4_jRbjT5_SX_jjP12ihipStream_tbEUlT_E2_NS1_11comp_targetILNS1_3genE9ELNS1_11target_archE1100ELNS1_3gpuE3ELNS1_3repE0EEENS1_30default_config_static_selectorELNS0_4arch9wavefront6targetE1EEEvSL_.has_dyn_sized_stack, 0
	.set _ZN7rocprim17ROCPRIM_400000_NS6detail17trampoline_kernelINS0_14default_configENS1_36segmented_radix_sort_config_selectorI12hip_bfloat16lEEZNS1_25segmented_radix_sort_implIS3_Lb1EPKS5_PS5_PKlPlN2at6native12_GLOBAL__N_18offset_tEEE10hipError_tPvRmT1_PNSt15iterator_traitsISL_E10value_typeET2_T3_PNSM_ISR_E10value_typeET4_jRbjT5_SX_jjP12ihipStream_tbEUlT_E2_NS1_11comp_targetILNS1_3genE9ELNS1_11target_archE1100ELNS1_3gpuE3ELNS1_3repE0EEENS1_30default_config_static_selectorELNS0_4arch9wavefront6targetE1EEEvSL_.has_recursion, 0
	.set _ZN7rocprim17ROCPRIM_400000_NS6detail17trampoline_kernelINS0_14default_configENS1_36segmented_radix_sort_config_selectorI12hip_bfloat16lEEZNS1_25segmented_radix_sort_implIS3_Lb1EPKS5_PS5_PKlPlN2at6native12_GLOBAL__N_18offset_tEEE10hipError_tPvRmT1_PNSt15iterator_traitsISL_E10value_typeET2_T3_PNSM_ISR_E10value_typeET4_jRbjT5_SX_jjP12ihipStream_tbEUlT_E2_NS1_11comp_targetILNS1_3genE9ELNS1_11target_archE1100ELNS1_3gpuE3ELNS1_3repE0EEENS1_30default_config_static_selectorELNS0_4arch9wavefront6targetE1EEEvSL_.has_indirect_call, 0
	.section	.AMDGPU.csdata,"",@progbits
; Kernel info:
; codeLenInByte = 0
; TotalNumSgprs: 4
; NumVgprs: 0
; ScratchSize: 0
; MemoryBound: 0
; FloatMode: 240
; IeeeMode: 1
; LDSByteSize: 0 bytes/workgroup (compile time only)
; SGPRBlocks: 0
; VGPRBlocks: 0
; NumSGPRsForWavesPerEU: 4
; NumVGPRsForWavesPerEU: 1
; Occupancy: 10
; WaveLimiterHint : 0
; COMPUTE_PGM_RSRC2:SCRATCH_EN: 0
; COMPUTE_PGM_RSRC2:USER_SGPR: 6
; COMPUTE_PGM_RSRC2:TRAP_HANDLER: 0
; COMPUTE_PGM_RSRC2:TGID_X_EN: 1
; COMPUTE_PGM_RSRC2:TGID_Y_EN: 0
; COMPUTE_PGM_RSRC2:TGID_Z_EN: 0
; COMPUTE_PGM_RSRC2:TIDIG_COMP_CNT: 0
	.section	.text._ZN7rocprim17ROCPRIM_400000_NS6detail17trampoline_kernelINS0_14default_configENS1_36segmented_radix_sort_config_selectorI12hip_bfloat16lEEZNS1_25segmented_radix_sort_implIS3_Lb1EPKS5_PS5_PKlPlN2at6native12_GLOBAL__N_18offset_tEEE10hipError_tPvRmT1_PNSt15iterator_traitsISL_E10value_typeET2_T3_PNSM_ISR_E10value_typeET4_jRbjT5_SX_jjP12ihipStream_tbEUlT_E2_NS1_11comp_targetILNS1_3genE8ELNS1_11target_archE1030ELNS1_3gpuE2ELNS1_3repE0EEENS1_30default_config_static_selectorELNS0_4arch9wavefront6targetE1EEEvSL_,"axG",@progbits,_ZN7rocprim17ROCPRIM_400000_NS6detail17trampoline_kernelINS0_14default_configENS1_36segmented_radix_sort_config_selectorI12hip_bfloat16lEEZNS1_25segmented_radix_sort_implIS3_Lb1EPKS5_PS5_PKlPlN2at6native12_GLOBAL__N_18offset_tEEE10hipError_tPvRmT1_PNSt15iterator_traitsISL_E10value_typeET2_T3_PNSM_ISR_E10value_typeET4_jRbjT5_SX_jjP12ihipStream_tbEUlT_E2_NS1_11comp_targetILNS1_3genE8ELNS1_11target_archE1030ELNS1_3gpuE2ELNS1_3repE0EEENS1_30default_config_static_selectorELNS0_4arch9wavefront6targetE1EEEvSL_,comdat
	.globl	_ZN7rocprim17ROCPRIM_400000_NS6detail17trampoline_kernelINS0_14default_configENS1_36segmented_radix_sort_config_selectorI12hip_bfloat16lEEZNS1_25segmented_radix_sort_implIS3_Lb1EPKS5_PS5_PKlPlN2at6native12_GLOBAL__N_18offset_tEEE10hipError_tPvRmT1_PNSt15iterator_traitsISL_E10value_typeET2_T3_PNSM_ISR_E10value_typeET4_jRbjT5_SX_jjP12ihipStream_tbEUlT_E2_NS1_11comp_targetILNS1_3genE8ELNS1_11target_archE1030ELNS1_3gpuE2ELNS1_3repE0EEENS1_30default_config_static_selectorELNS0_4arch9wavefront6targetE1EEEvSL_ ; -- Begin function _ZN7rocprim17ROCPRIM_400000_NS6detail17trampoline_kernelINS0_14default_configENS1_36segmented_radix_sort_config_selectorI12hip_bfloat16lEEZNS1_25segmented_radix_sort_implIS3_Lb1EPKS5_PS5_PKlPlN2at6native12_GLOBAL__N_18offset_tEEE10hipError_tPvRmT1_PNSt15iterator_traitsISL_E10value_typeET2_T3_PNSM_ISR_E10value_typeET4_jRbjT5_SX_jjP12ihipStream_tbEUlT_E2_NS1_11comp_targetILNS1_3genE8ELNS1_11target_archE1030ELNS1_3gpuE2ELNS1_3repE0EEENS1_30default_config_static_selectorELNS0_4arch9wavefront6targetE1EEEvSL_
	.p2align	8
	.type	_ZN7rocprim17ROCPRIM_400000_NS6detail17trampoline_kernelINS0_14default_configENS1_36segmented_radix_sort_config_selectorI12hip_bfloat16lEEZNS1_25segmented_radix_sort_implIS3_Lb1EPKS5_PS5_PKlPlN2at6native12_GLOBAL__N_18offset_tEEE10hipError_tPvRmT1_PNSt15iterator_traitsISL_E10value_typeET2_T3_PNSM_ISR_E10value_typeET4_jRbjT5_SX_jjP12ihipStream_tbEUlT_E2_NS1_11comp_targetILNS1_3genE8ELNS1_11target_archE1030ELNS1_3gpuE2ELNS1_3repE0EEENS1_30default_config_static_selectorELNS0_4arch9wavefront6targetE1EEEvSL_,@function
_ZN7rocprim17ROCPRIM_400000_NS6detail17trampoline_kernelINS0_14default_configENS1_36segmented_radix_sort_config_selectorI12hip_bfloat16lEEZNS1_25segmented_radix_sort_implIS3_Lb1EPKS5_PS5_PKlPlN2at6native12_GLOBAL__N_18offset_tEEE10hipError_tPvRmT1_PNSt15iterator_traitsISL_E10value_typeET2_T3_PNSM_ISR_E10value_typeET4_jRbjT5_SX_jjP12ihipStream_tbEUlT_E2_NS1_11comp_targetILNS1_3genE8ELNS1_11target_archE1030ELNS1_3gpuE2ELNS1_3repE0EEENS1_30default_config_static_selectorELNS0_4arch9wavefront6targetE1EEEvSL_: ; @_ZN7rocprim17ROCPRIM_400000_NS6detail17trampoline_kernelINS0_14default_configENS1_36segmented_radix_sort_config_selectorI12hip_bfloat16lEEZNS1_25segmented_radix_sort_implIS3_Lb1EPKS5_PS5_PKlPlN2at6native12_GLOBAL__N_18offset_tEEE10hipError_tPvRmT1_PNSt15iterator_traitsISL_E10value_typeET2_T3_PNSM_ISR_E10value_typeET4_jRbjT5_SX_jjP12ihipStream_tbEUlT_E2_NS1_11comp_targetILNS1_3genE8ELNS1_11target_archE1030ELNS1_3gpuE2ELNS1_3repE0EEENS1_30default_config_static_selectorELNS0_4arch9wavefront6targetE1EEEvSL_
; %bb.0:
	.section	.rodata,"a",@progbits
	.p2align	6, 0x0
	.amdhsa_kernel _ZN7rocprim17ROCPRIM_400000_NS6detail17trampoline_kernelINS0_14default_configENS1_36segmented_radix_sort_config_selectorI12hip_bfloat16lEEZNS1_25segmented_radix_sort_implIS3_Lb1EPKS5_PS5_PKlPlN2at6native12_GLOBAL__N_18offset_tEEE10hipError_tPvRmT1_PNSt15iterator_traitsISL_E10value_typeET2_T3_PNSM_ISR_E10value_typeET4_jRbjT5_SX_jjP12ihipStream_tbEUlT_E2_NS1_11comp_targetILNS1_3genE8ELNS1_11target_archE1030ELNS1_3gpuE2ELNS1_3repE0EEENS1_30default_config_static_selectorELNS0_4arch9wavefront6targetE1EEEvSL_
		.amdhsa_group_segment_fixed_size 0
		.amdhsa_private_segment_fixed_size 0
		.amdhsa_kernarg_size 80
		.amdhsa_user_sgpr_count 6
		.amdhsa_user_sgpr_private_segment_buffer 1
		.amdhsa_user_sgpr_dispatch_ptr 0
		.amdhsa_user_sgpr_queue_ptr 0
		.amdhsa_user_sgpr_kernarg_segment_ptr 1
		.amdhsa_user_sgpr_dispatch_id 0
		.amdhsa_user_sgpr_flat_scratch_init 0
		.amdhsa_user_sgpr_private_segment_size 0
		.amdhsa_uses_dynamic_stack 0
		.amdhsa_system_sgpr_private_segment_wavefront_offset 0
		.amdhsa_system_sgpr_workgroup_id_x 1
		.amdhsa_system_sgpr_workgroup_id_y 0
		.amdhsa_system_sgpr_workgroup_id_z 0
		.amdhsa_system_sgpr_workgroup_info 0
		.amdhsa_system_vgpr_workitem_id 0
		.amdhsa_next_free_vgpr 1
		.amdhsa_next_free_sgpr 0
		.amdhsa_reserve_vcc 0
		.amdhsa_reserve_flat_scratch 0
		.amdhsa_float_round_mode_32 0
		.amdhsa_float_round_mode_16_64 0
		.amdhsa_float_denorm_mode_32 3
		.amdhsa_float_denorm_mode_16_64 3
		.amdhsa_dx10_clamp 1
		.amdhsa_ieee_mode 1
		.amdhsa_fp16_overflow 0
		.amdhsa_exception_fp_ieee_invalid_op 0
		.amdhsa_exception_fp_denorm_src 0
		.amdhsa_exception_fp_ieee_div_zero 0
		.amdhsa_exception_fp_ieee_overflow 0
		.amdhsa_exception_fp_ieee_underflow 0
		.amdhsa_exception_fp_ieee_inexact 0
		.amdhsa_exception_int_div_zero 0
	.end_amdhsa_kernel
	.section	.text._ZN7rocprim17ROCPRIM_400000_NS6detail17trampoline_kernelINS0_14default_configENS1_36segmented_radix_sort_config_selectorI12hip_bfloat16lEEZNS1_25segmented_radix_sort_implIS3_Lb1EPKS5_PS5_PKlPlN2at6native12_GLOBAL__N_18offset_tEEE10hipError_tPvRmT1_PNSt15iterator_traitsISL_E10value_typeET2_T3_PNSM_ISR_E10value_typeET4_jRbjT5_SX_jjP12ihipStream_tbEUlT_E2_NS1_11comp_targetILNS1_3genE8ELNS1_11target_archE1030ELNS1_3gpuE2ELNS1_3repE0EEENS1_30default_config_static_selectorELNS0_4arch9wavefront6targetE1EEEvSL_,"axG",@progbits,_ZN7rocprim17ROCPRIM_400000_NS6detail17trampoline_kernelINS0_14default_configENS1_36segmented_radix_sort_config_selectorI12hip_bfloat16lEEZNS1_25segmented_radix_sort_implIS3_Lb1EPKS5_PS5_PKlPlN2at6native12_GLOBAL__N_18offset_tEEE10hipError_tPvRmT1_PNSt15iterator_traitsISL_E10value_typeET2_T3_PNSM_ISR_E10value_typeET4_jRbjT5_SX_jjP12ihipStream_tbEUlT_E2_NS1_11comp_targetILNS1_3genE8ELNS1_11target_archE1030ELNS1_3gpuE2ELNS1_3repE0EEENS1_30default_config_static_selectorELNS0_4arch9wavefront6targetE1EEEvSL_,comdat
.Lfunc_end1984:
	.size	_ZN7rocprim17ROCPRIM_400000_NS6detail17trampoline_kernelINS0_14default_configENS1_36segmented_radix_sort_config_selectorI12hip_bfloat16lEEZNS1_25segmented_radix_sort_implIS3_Lb1EPKS5_PS5_PKlPlN2at6native12_GLOBAL__N_18offset_tEEE10hipError_tPvRmT1_PNSt15iterator_traitsISL_E10value_typeET2_T3_PNSM_ISR_E10value_typeET4_jRbjT5_SX_jjP12ihipStream_tbEUlT_E2_NS1_11comp_targetILNS1_3genE8ELNS1_11target_archE1030ELNS1_3gpuE2ELNS1_3repE0EEENS1_30default_config_static_selectorELNS0_4arch9wavefront6targetE1EEEvSL_, .Lfunc_end1984-_ZN7rocprim17ROCPRIM_400000_NS6detail17trampoline_kernelINS0_14default_configENS1_36segmented_radix_sort_config_selectorI12hip_bfloat16lEEZNS1_25segmented_radix_sort_implIS3_Lb1EPKS5_PS5_PKlPlN2at6native12_GLOBAL__N_18offset_tEEE10hipError_tPvRmT1_PNSt15iterator_traitsISL_E10value_typeET2_T3_PNSM_ISR_E10value_typeET4_jRbjT5_SX_jjP12ihipStream_tbEUlT_E2_NS1_11comp_targetILNS1_3genE8ELNS1_11target_archE1030ELNS1_3gpuE2ELNS1_3repE0EEENS1_30default_config_static_selectorELNS0_4arch9wavefront6targetE1EEEvSL_
                                        ; -- End function
	.set _ZN7rocprim17ROCPRIM_400000_NS6detail17trampoline_kernelINS0_14default_configENS1_36segmented_radix_sort_config_selectorI12hip_bfloat16lEEZNS1_25segmented_radix_sort_implIS3_Lb1EPKS5_PS5_PKlPlN2at6native12_GLOBAL__N_18offset_tEEE10hipError_tPvRmT1_PNSt15iterator_traitsISL_E10value_typeET2_T3_PNSM_ISR_E10value_typeET4_jRbjT5_SX_jjP12ihipStream_tbEUlT_E2_NS1_11comp_targetILNS1_3genE8ELNS1_11target_archE1030ELNS1_3gpuE2ELNS1_3repE0EEENS1_30default_config_static_selectorELNS0_4arch9wavefront6targetE1EEEvSL_.num_vgpr, 0
	.set _ZN7rocprim17ROCPRIM_400000_NS6detail17trampoline_kernelINS0_14default_configENS1_36segmented_radix_sort_config_selectorI12hip_bfloat16lEEZNS1_25segmented_radix_sort_implIS3_Lb1EPKS5_PS5_PKlPlN2at6native12_GLOBAL__N_18offset_tEEE10hipError_tPvRmT1_PNSt15iterator_traitsISL_E10value_typeET2_T3_PNSM_ISR_E10value_typeET4_jRbjT5_SX_jjP12ihipStream_tbEUlT_E2_NS1_11comp_targetILNS1_3genE8ELNS1_11target_archE1030ELNS1_3gpuE2ELNS1_3repE0EEENS1_30default_config_static_selectorELNS0_4arch9wavefront6targetE1EEEvSL_.num_agpr, 0
	.set _ZN7rocprim17ROCPRIM_400000_NS6detail17trampoline_kernelINS0_14default_configENS1_36segmented_radix_sort_config_selectorI12hip_bfloat16lEEZNS1_25segmented_radix_sort_implIS3_Lb1EPKS5_PS5_PKlPlN2at6native12_GLOBAL__N_18offset_tEEE10hipError_tPvRmT1_PNSt15iterator_traitsISL_E10value_typeET2_T3_PNSM_ISR_E10value_typeET4_jRbjT5_SX_jjP12ihipStream_tbEUlT_E2_NS1_11comp_targetILNS1_3genE8ELNS1_11target_archE1030ELNS1_3gpuE2ELNS1_3repE0EEENS1_30default_config_static_selectorELNS0_4arch9wavefront6targetE1EEEvSL_.numbered_sgpr, 0
	.set _ZN7rocprim17ROCPRIM_400000_NS6detail17trampoline_kernelINS0_14default_configENS1_36segmented_radix_sort_config_selectorI12hip_bfloat16lEEZNS1_25segmented_radix_sort_implIS3_Lb1EPKS5_PS5_PKlPlN2at6native12_GLOBAL__N_18offset_tEEE10hipError_tPvRmT1_PNSt15iterator_traitsISL_E10value_typeET2_T3_PNSM_ISR_E10value_typeET4_jRbjT5_SX_jjP12ihipStream_tbEUlT_E2_NS1_11comp_targetILNS1_3genE8ELNS1_11target_archE1030ELNS1_3gpuE2ELNS1_3repE0EEENS1_30default_config_static_selectorELNS0_4arch9wavefront6targetE1EEEvSL_.num_named_barrier, 0
	.set _ZN7rocprim17ROCPRIM_400000_NS6detail17trampoline_kernelINS0_14default_configENS1_36segmented_radix_sort_config_selectorI12hip_bfloat16lEEZNS1_25segmented_radix_sort_implIS3_Lb1EPKS5_PS5_PKlPlN2at6native12_GLOBAL__N_18offset_tEEE10hipError_tPvRmT1_PNSt15iterator_traitsISL_E10value_typeET2_T3_PNSM_ISR_E10value_typeET4_jRbjT5_SX_jjP12ihipStream_tbEUlT_E2_NS1_11comp_targetILNS1_3genE8ELNS1_11target_archE1030ELNS1_3gpuE2ELNS1_3repE0EEENS1_30default_config_static_selectorELNS0_4arch9wavefront6targetE1EEEvSL_.private_seg_size, 0
	.set _ZN7rocprim17ROCPRIM_400000_NS6detail17trampoline_kernelINS0_14default_configENS1_36segmented_radix_sort_config_selectorI12hip_bfloat16lEEZNS1_25segmented_radix_sort_implIS3_Lb1EPKS5_PS5_PKlPlN2at6native12_GLOBAL__N_18offset_tEEE10hipError_tPvRmT1_PNSt15iterator_traitsISL_E10value_typeET2_T3_PNSM_ISR_E10value_typeET4_jRbjT5_SX_jjP12ihipStream_tbEUlT_E2_NS1_11comp_targetILNS1_3genE8ELNS1_11target_archE1030ELNS1_3gpuE2ELNS1_3repE0EEENS1_30default_config_static_selectorELNS0_4arch9wavefront6targetE1EEEvSL_.uses_vcc, 0
	.set _ZN7rocprim17ROCPRIM_400000_NS6detail17trampoline_kernelINS0_14default_configENS1_36segmented_radix_sort_config_selectorI12hip_bfloat16lEEZNS1_25segmented_radix_sort_implIS3_Lb1EPKS5_PS5_PKlPlN2at6native12_GLOBAL__N_18offset_tEEE10hipError_tPvRmT1_PNSt15iterator_traitsISL_E10value_typeET2_T3_PNSM_ISR_E10value_typeET4_jRbjT5_SX_jjP12ihipStream_tbEUlT_E2_NS1_11comp_targetILNS1_3genE8ELNS1_11target_archE1030ELNS1_3gpuE2ELNS1_3repE0EEENS1_30default_config_static_selectorELNS0_4arch9wavefront6targetE1EEEvSL_.uses_flat_scratch, 0
	.set _ZN7rocprim17ROCPRIM_400000_NS6detail17trampoline_kernelINS0_14default_configENS1_36segmented_radix_sort_config_selectorI12hip_bfloat16lEEZNS1_25segmented_radix_sort_implIS3_Lb1EPKS5_PS5_PKlPlN2at6native12_GLOBAL__N_18offset_tEEE10hipError_tPvRmT1_PNSt15iterator_traitsISL_E10value_typeET2_T3_PNSM_ISR_E10value_typeET4_jRbjT5_SX_jjP12ihipStream_tbEUlT_E2_NS1_11comp_targetILNS1_3genE8ELNS1_11target_archE1030ELNS1_3gpuE2ELNS1_3repE0EEENS1_30default_config_static_selectorELNS0_4arch9wavefront6targetE1EEEvSL_.has_dyn_sized_stack, 0
	.set _ZN7rocprim17ROCPRIM_400000_NS6detail17trampoline_kernelINS0_14default_configENS1_36segmented_radix_sort_config_selectorI12hip_bfloat16lEEZNS1_25segmented_radix_sort_implIS3_Lb1EPKS5_PS5_PKlPlN2at6native12_GLOBAL__N_18offset_tEEE10hipError_tPvRmT1_PNSt15iterator_traitsISL_E10value_typeET2_T3_PNSM_ISR_E10value_typeET4_jRbjT5_SX_jjP12ihipStream_tbEUlT_E2_NS1_11comp_targetILNS1_3genE8ELNS1_11target_archE1030ELNS1_3gpuE2ELNS1_3repE0EEENS1_30default_config_static_selectorELNS0_4arch9wavefront6targetE1EEEvSL_.has_recursion, 0
	.set _ZN7rocprim17ROCPRIM_400000_NS6detail17trampoline_kernelINS0_14default_configENS1_36segmented_radix_sort_config_selectorI12hip_bfloat16lEEZNS1_25segmented_radix_sort_implIS3_Lb1EPKS5_PS5_PKlPlN2at6native12_GLOBAL__N_18offset_tEEE10hipError_tPvRmT1_PNSt15iterator_traitsISL_E10value_typeET2_T3_PNSM_ISR_E10value_typeET4_jRbjT5_SX_jjP12ihipStream_tbEUlT_E2_NS1_11comp_targetILNS1_3genE8ELNS1_11target_archE1030ELNS1_3gpuE2ELNS1_3repE0EEENS1_30default_config_static_selectorELNS0_4arch9wavefront6targetE1EEEvSL_.has_indirect_call, 0
	.section	.AMDGPU.csdata,"",@progbits
; Kernel info:
; codeLenInByte = 0
; TotalNumSgprs: 4
; NumVgprs: 0
; ScratchSize: 0
; MemoryBound: 0
; FloatMode: 240
; IeeeMode: 1
; LDSByteSize: 0 bytes/workgroup (compile time only)
; SGPRBlocks: 0
; VGPRBlocks: 0
; NumSGPRsForWavesPerEU: 4
; NumVGPRsForWavesPerEU: 1
; Occupancy: 10
; WaveLimiterHint : 0
; COMPUTE_PGM_RSRC2:SCRATCH_EN: 0
; COMPUTE_PGM_RSRC2:USER_SGPR: 6
; COMPUTE_PGM_RSRC2:TRAP_HANDLER: 0
; COMPUTE_PGM_RSRC2:TGID_X_EN: 1
; COMPUTE_PGM_RSRC2:TGID_Y_EN: 0
; COMPUTE_PGM_RSRC2:TGID_Z_EN: 0
; COMPUTE_PGM_RSRC2:TIDIG_COMP_CNT: 0
	.section	.text._ZN7rocprim17ROCPRIM_400000_NS6detail17trampoline_kernelINS0_13select_configILj256ELj13ELNS0_17block_load_methodE3ELS4_3ELS4_3ELNS0_20block_scan_algorithmE0ELj4294967295EEENS1_25partition_config_selectorILNS1_17partition_subalgoE4EjNS0_10empty_typeEbEEZZNS1_14partition_implILS8_4ELb0ES6_15HIP_vector_typeIjLj2EENS0_17counting_iteratorIjlEEPS9_SG_NS0_5tupleIJPjSI_NS0_16reverse_iteratorISI_EEEEENSH_IJSG_SG_SG_EEES9_SI_JZNS1_25segmented_radix_sort_implINS0_14default_configELb0EPK12hip_bfloat16PSP_PKlPlN2at6native12_GLOBAL__N_18offset_tEEE10hipError_tPvRmT1_PNSt15iterator_traitsIS13_E10value_typeET2_T3_PNS14_IS19_E10value_typeET4_jRbjT5_S1F_jjP12ihipStream_tbEUljE_ZNSN_ISO_Lb0ESR_SS_SU_SV_SZ_EES10_S11_S12_S13_S17_S18_S19_S1C_S1D_jS1E_jS1F_S1F_jjS1H_bEUljE0_EEES10_S11_S12_S19_S1D_S1F_T6_T7_T9_mT8_S1H_bDpT10_ENKUlT_T0_E_clISt17integral_constantIbLb0EES1V_EEDaS1Q_S1R_EUlS1Q_E_NS1_11comp_targetILNS1_3genE0ELNS1_11target_archE4294967295ELNS1_3gpuE0ELNS1_3repE0EEENS1_30default_config_static_selectorELNS0_4arch9wavefront6targetE1EEEvS13_,"axG",@progbits,_ZN7rocprim17ROCPRIM_400000_NS6detail17trampoline_kernelINS0_13select_configILj256ELj13ELNS0_17block_load_methodE3ELS4_3ELS4_3ELNS0_20block_scan_algorithmE0ELj4294967295EEENS1_25partition_config_selectorILNS1_17partition_subalgoE4EjNS0_10empty_typeEbEEZZNS1_14partition_implILS8_4ELb0ES6_15HIP_vector_typeIjLj2EENS0_17counting_iteratorIjlEEPS9_SG_NS0_5tupleIJPjSI_NS0_16reverse_iteratorISI_EEEEENSH_IJSG_SG_SG_EEES9_SI_JZNS1_25segmented_radix_sort_implINS0_14default_configELb0EPK12hip_bfloat16PSP_PKlPlN2at6native12_GLOBAL__N_18offset_tEEE10hipError_tPvRmT1_PNSt15iterator_traitsIS13_E10value_typeET2_T3_PNS14_IS19_E10value_typeET4_jRbjT5_S1F_jjP12ihipStream_tbEUljE_ZNSN_ISO_Lb0ESR_SS_SU_SV_SZ_EES10_S11_S12_S13_S17_S18_S19_S1C_S1D_jS1E_jS1F_S1F_jjS1H_bEUljE0_EEES10_S11_S12_S19_S1D_S1F_T6_T7_T9_mT8_S1H_bDpT10_ENKUlT_T0_E_clISt17integral_constantIbLb0EES1V_EEDaS1Q_S1R_EUlS1Q_E_NS1_11comp_targetILNS1_3genE0ELNS1_11target_archE4294967295ELNS1_3gpuE0ELNS1_3repE0EEENS1_30default_config_static_selectorELNS0_4arch9wavefront6targetE1EEEvS13_,comdat
	.globl	_ZN7rocprim17ROCPRIM_400000_NS6detail17trampoline_kernelINS0_13select_configILj256ELj13ELNS0_17block_load_methodE3ELS4_3ELS4_3ELNS0_20block_scan_algorithmE0ELj4294967295EEENS1_25partition_config_selectorILNS1_17partition_subalgoE4EjNS0_10empty_typeEbEEZZNS1_14partition_implILS8_4ELb0ES6_15HIP_vector_typeIjLj2EENS0_17counting_iteratorIjlEEPS9_SG_NS0_5tupleIJPjSI_NS0_16reverse_iteratorISI_EEEEENSH_IJSG_SG_SG_EEES9_SI_JZNS1_25segmented_radix_sort_implINS0_14default_configELb0EPK12hip_bfloat16PSP_PKlPlN2at6native12_GLOBAL__N_18offset_tEEE10hipError_tPvRmT1_PNSt15iterator_traitsIS13_E10value_typeET2_T3_PNS14_IS19_E10value_typeET4_jRbjT5_S1F_jjP12ihipStream_tbEUljE_ZNSN_ISO_Lb0ESR_SS_SU_SV_SZ_EES10_S11_S12_S13_S17_S18_S19_S1C_S1D_jS1E_jS1F_S1F_jjS1H_bEUljE0_EEES10_S11_S12_S19_S1D_S1F_T6_T7_T9_mT8_S1H_bDpT10_ENKUlT_T0_E_clISt17integral_constantIbLb0EES1V_EEDaS1Q_S1R_EUlS1Q_E_NS1_11comp_targetILNS1_3genE0ELNS1_11target_archE4294967295ELNS1_3gpuE0ELNS1_3repE0EEENS1_30default_config_static_selectorELNS0_4arch9wavefront6targetE1EEEvS13_ ; -- Begin function _ZN7rocprim17ROCPRIM_400000_NS6detail17trampoline_kernelINS0_13select_configILj256ELj13ELNS0_17block_load_methodE3ELS4_3ELS4_3ELNS0_20block_scan_algorithmE0ELj4294967295EEENS1_25partition_config_selectorILNS1_17partition_subalgoE4EjNS0_10empty_typeEbEEZZNS1_14partition_implILS8_4ELb0ES6_15HIP_vector_typeIjLj2EENS0_17counting_iteratorIjlEEPS9_SG_NS0_5tupleIJPjSI_NS0_16reverse_iteratorISI_EEEEENSH_IJSG_SG_SG_EEES9_SI_JZNS1_25segmented_radix_sort_implINS0_14default_configELb0EPK12hip_bfloat16PSP_PKlPlN2at6native12_GLOBAL__N_18offset_tEEE10hipError_tPvRmT1_PNSt15iterator_traitsIS13_E10value_typeET2_T3_PNS14_IS19_E10value_typeET4_jRbjT5_S1F_jjP12ihipStream_tbEUljE_ZNSN_ISO_Lb0ESR_SS_SU_SV_SZ_EES10_S11_S12_S13_S17_S18_S19_S1C_S1D_jS1E_jS1F_S1F_jjS1H_bEUljE0_EEES10_S11_S12_S19_S1D_S1F_T6_T7_T9_mT8_S1H_bDpT10_ENKUlT_T0_E_clISt17integral_constantIbLb0EES1V_EEDaS1Q_S1R_EUlS1Q_E_NS1_11comp_targetILNS1_3genE0ELNS1_11target_archE4294967295ELNS1_3gpuE0ELNS1_3repE0EEENS1_30default_config_static_selectorELNS0_4arch9wavefront6targetE1EEEvS13_
	.p2align	8
	.type	_ZN7rocprim17ROCPRIM_400000_NS6detail17trampoline_kernelINS0_13select_configILj256ELj13ELNS0_17block_load_methodE3ELS4_3ELS4_3ELNS0_20block_scan_algorithmE0ELj4294967295EEENS1_25partition_config_selectorILNS1_17partition_subalgoE4EjNS0_10empty_typeEbEEZZNS1_14partition_implILS8_4ELb0ES6_15HIP_vector_typeIjLj2EENS0_17counting_iteratorIjlEEPS9_SG_NS0_5tupleIJPjSI_NS0_16reverse_iteratorISI_EEEEENSH_IJSG_SG_SG_EEES9_SI_JZNS1_25segmented_radix_sort_implINS0_14default_configELb0EPK12hip_bfloat16PSP_PKlPlN2at6native12_GLOBAL__N_18offset_tEEE10hipError_tPvRmT1_PNSt15iterator_traitsIS13_E10value_typeET2_T3_PNS14_IS19_E10value_typeET4_jRbjT5_S1F_jjP12ihipStream_tbEUljE_ZNSN_ISO_Lb0ESR_SS_SU_SV_SZ_EES10_S11_S12_S13_S17_S18_S19_S1C_S1D_jS1E_jS1F_S1F_jjS1H_bEUljE0_EEES10_S11_S12_S19_S1D_S1F_T6_T7_T9_mT8_S1H_bDpT10_ENKUlT_T0_E_clISt17integral_constantIbLb0EES1V_EEDaS1Q_S1R_EUlS1Q_E_NS1_11comp_targetILNS1_3genE0ELNS1_11target_archE4294967295ELNS1_3gpuE0ELNS1_3repE0EEENS1_30default_config_static_selectorELNS0_4arch9wavefront6targetE1EEEvS13_,@function
_ZN7rocprim17ROCPRIM_400000_NS6detail17trampoline_kernelINS0_13select_configILj256ELj13ELNS0_17block_load_methodE3ELS4_3ELS4_3ELNS0_20block_scan_algorithmE0ELj4294967295EEENS1_25partition_config_selectorILNS1_17partition_subalgoE4EjNS0_10empty_typeEbEEZZNS1_14partition_implILS8_4ELb0ES6_15HIP_vector_typeIjLj2EENS0_17counting_iteratorIjlEEPS9_SG_NS0_5tupleIJPjSI_NS0_16reverse_iteratorISI_EEEEENSH_IJSG_SG_SG_EEES9_SI_JZNS1_25segmented_radix_sort_implINS0_14default_configELb0EPK12hip_bfloat16PSP_PKlPlN2at6native12_GLOBAL__N_18offset_tEEE10hipError_tPvRmT1_PNSt15iterator_traitsIS13_E10value_typeET2_T3_PNS14_IS19_E10value_typeET4_jRbjT5_S1F_jjP12ihipStream_tbEUljE_ZNSN_ISO_Lb0ESR_SS_SU_SV_SZ_EES10_S11_S12_S13_S17_S18_S19_S1C_S1D_jS1E_jS1F_S1F_jjS1H_bEUljE0_EEES10_S11_S12_S19_S1D_S1F_T6_T7_T9_mT8_S1H_bDpT10_ENKUlT_T0_E_clISt17integral_constantIbLb0EES1V_EEDaS1Q_S1R_EUlS1Q_E_NS1_11comp_targetILNS1_3genE0ELNS1_11target_archE4294967295ELNS1_3gpuE0ELNS1_3repE0EEENS1_30default_config_static_selectorELNS0_4arch9wavefront6targetE1EEEvS13_: ; @_ZN7rocprim17ROCPRIM_400000_NS6detail17trampoline_kernelINS0_13select_configILj256ELj13ELNS0_17block_load_methodE3ELS4_3ELS4_3ELNS0_20block_scan_algorithmE0ELj4294967295EEENS1_25partition_config_selectorILNS1_17partition_subalgoE4EjNS0_10empty_typeEbEEZZNS1_14partition_implILS8_4ELb0ES6_15HIP_vector_typeIjLj2EENS0_17counting_iteratorIjlEEPS9_SG_NS0_5tupleIJPjSI_NS0_16reverse_iteratorISI_EEEEENSH_IJSG_SG_SG_EEES9_SI_JZNS1_25segmented_radix_sort_implINS0_14default_configELb0EPK12hip_bfloat16PSP_PKlPlN2at6native12_GLOBAL__N_18offset_tEEE10hipError_tPvRmT1_PNSt15iterator_traitsIS13_E10value_typeET2_T3_PNS14_IS19_E10value_typeET4_jRbjT5_S1F_jjP12ihipStream_tbEUljE_ZNSN_ISO_Lb0ESR_SS_SU_SV_SZ_EES10_S11_S12_S13_S17_S18_S19_S1C_S1D_jS1E_jS1F_S1F_jjS1H_bEUljE0_EEES10_S11_S12_S19_S1D_S1F_T6_T7_T9_mT8_S1H_bDpT10_ENKUlT_T0_E_clISt17integral_constantIbLb0EES1V_EEDaS1Q_S1R_EUlS1Q_E_NS1_11comp_targetILNS1_3genE0ELNS1_11target_archE4294967295ELNS1_3gpuE0ELNS1_3repE0EEENS1_30default_config_static_selectorELNS0_4arch9wavefront6targetE1EEEvS13_
; %bb.0:
	.section	.rodata,"a",@progbits
	.p2align	6, 0x0
	.amdhsa_kernel _ZN7rocprim17ROCPRIM_400000_NS6detail17trampoline_kernelINS0_13select_configILj256ELj13ELNS0_17block_load_methodE3ELS4_3ELS4_3ELNS0_20block_scan_algorithmE0ELj4294967295EEENS1_25partition_config_selectorILNS1_17partition_subalgoE4EjNS0_10empty_typeEbEEZZNS1_14partition_implILS8_4ELb0ES6_15HIP_vector_typeIjLj2EENS0_17counting_iteratorIjlEEPS9_SG_NS0_5tupleIJPjSI_NS0_16reverse_iteratorISI_EEEEENSH_IJSG_SG_SG_EEES9_SI_JZNS1_25segmented_radix_sort_implINS0_14default_configELb0EPK12hip_bfloat16PSP_PKlPlN2at6native12_GLOBAL__N_18offset_tEEE10hipError_tPvRmT1_PNSt15iterator_traitsIS13_E10value_typeET2_T3_PNS14_IS19_E10value_typeET4_jRbjT5_S1F_jjP12ihipStream_tbEUljE_ZNSN_ISO_Lb0ESR_SS_SU_SV_SZ_EES10_S11_S12_S13_S17_S18_S19_S1C_S1D_jS1E_jS1F_S1F_jjS1H_bEUljE0_EEES10_S11_S12_S19_S1D_S1F_T6_T7_T9_mT8_S1H_bDpT10_ENKUlT_T0_E_clISt17integral_constantIbLb0EES1V_EEDaS1Q_S1R_EUlS1Q_E_NS1_11comp_targetILNS1_3genE0ELNS1_11target_archE4294967295ELNS1_3gpuE0ELNS1_3repE0EEENS1_30default_config_static_selectorELNS0_4arch9wavefront6targetE1EEEvS13_
		.amdhsa_group_segment_fixed_size 0
		.amdhsa_private_segment_fixed_size 0
		.amdhsa_kernarg_size 176
		.amdhsa_user_sgpr_count 6
		.amdhsa_user_sgpr_private_segment_buffer 1
		.amdhsa_user_sgpr_dispatch_ptr 0
		.amdhsa_user_sgpr_queue_ptr 0
		.amdhsa_user_sgpr_kernarg_segment_ptr 1
		.amdhsa_user_sgpr_dispatch_id 0
		.amdhsa_user_sgpr_flat_scratch_init 0
		.amdhsa_user_sgpr_private_segment_size 0
		.amdhsa_uses_dynamic_stack 0
		.amdhsa_system_sgpr_private_segment_wavefront_offset 0
		.amdhsa_system_sgpr_workgroup_id_x 1
		.amdhsa_system_sgpr_workgroup_id_y 0
		.amdhsa_system_sgpr_workgroup_id_z 0
		.amdhsa_system_sgpr_workgroup_info 0
		.amdhsa_system_vgpr_workitem_id 0
		.amdhsa_next_free_vgpr 1
		.amdhsa_next_free_sgpr 0
		.amdhsa_reserve_vcc 0
		.amdhsa_reserve_flat_scratch 0
		.amdhsa_float_round_mode_32 0
		.amdhsa_float_round_mode_16_64 0
		.amdhsa_float_denorm_mode_32 3
		.amdhsa_float_denorm_mode_16_64 3
		.amdhsa_dx10_clamp 1
		.amdhsa_ieee_mode 1
		.amdhsa_fp16_overflow 0
		.amdhsa_exception_fp_ieee_invalid_op 0
		.amdhsa_exception_fp_denorm_src 0
		.amdhsa_exception_fp_ieee_div_zero 0
		.amdhsa_exception_fp_ieee_overflow 0
		.amdhsa_exception_fp_ieee_underflow 0
		.amdhsa_exception_fp_ieee_inexact 0
		.amdhsa_exception_int_div_zero 0
	.end_amdhsa_kernel
	.section	.text._ZN7rocprim17ROCPRIM_400000_NS6detail17trampoline_kernelINS0_13select_configILj256ELj13ELNS0_17block_load_methodE3ELS4_3ELS4_3ELNS0_20block_scan_algorithmE0ELj4294967295EEENS1_25partition_config_selectorILNS1_17partition_subalgoE4EjNS0_10empty_typeEbEEZZNS1_14partition_implILS8_4ELb0ES6_15HIP_vector_typeIjLj2EENS0_17counting_iteratorIjlEEPS9_SG_NS0_5tupleIJPjSI_NS0_16reverse_iteratorISI_EEEEENSH_IJSG_SG_SG_EEES9_SI_JZNS1_25segmented_radix_sort_implINS0_14default_configELb0EPK12hip_bfloat16PSP_PKlPlN2at6native12_GLOBAL__N_18offset_tEEE10hipError_tPvRmT1_PNSt15iterator_traitsIS13_E10value_typeET2_T3_PNS14_IS19_E10value_typeET4_jRbjT5_S1F_jjP12ihipStream_tbEUljE_ZNSN_ISO_Lb0ESR_SS_SU_SV_SZ_EES10_S11_S12_S13_S17_S18_S19_S1C_S1D_jS1E_jS1F_S1F_jjS1H_bEUljE0_EEES10_S11_S12_S19_S1D_S1F_T6_T7_T9_mT8_S1H_bDpT10_ENKUlT_T0_E_clISt17integral_constantIbLb0EES1V_EEDaS1Q_S1R_EUlS1Q_E_NS1_11comp_targetILNS1_3genE0ELNS1_11target_archE4294967295ELNS1_3gpuE0ELNS1_3repE0EEENS1_30default_config_static_selectorELNS0_4arch9wavefront6targetE1EEEvS13_,"axG",@progbits,_ZN7rocprim17ROCPRIM_400000_NS6detail17trampoline_kernelINS0_13select_configILj256ELj13ELNS0_17block_load_methodE3ELS4_3ELS4_3ELNS0_20block_scan_algorithmE0ELj4294967295EEENS1_25partition_config_selectorILNS1_17partition_subalgoE4EjNS0_10empty_typeEbEEZZNS1_14partition_implILS8_4ELb0ES6_15HIP_vector_typeIjLj2EENS0_17counting_iteratorIjlEEPS9_SG_NS0_5tupleIJPjSI_NS0_16reverse_iteratorISI_EEEEENSH_IJSG_SG_SG_EEES9_SI_JZNS1_25segmented_radix_sort_implINS0_14default_configELb0EPK12hip_bfloat16PSP_PKlPlN2at6native12_GLOBAL__N_18offset_tEEE10hipError_tPvRmT1_PNSt15iterator_traitsIS13_E10value_typeET2_T3_PNS14_IS19_E10value_typeET4_jRbjT5_S1F_jjP12ihipStream_tbEUljE_ZNSN_ISO_Lb0ESR_SS_SU_SV_SZ_EES10_S11_S12_S13_S17_S18_S19_S1C_S1D_jS1E_jS1F_S1F_jjS1H_bEUljE0_EEES10_S11_S12_S19_S1D_S1F_T6_T7_T9_mT8_S1H_bDpT10_ENKUlT_T0_E_clISt17integral_constantIbLb0EES1V_EEDaS1Q_S1R_EUlS1Q_E_NS1_11comp_targetILNS1_3genE0ELNS1_11target_archE4294967295ELNS1_3gpuE0ELNS1_3repE0EEENS1_30default_config_static_selectorELNS0_4arch9wavefront6targetE1EEEvS13_,comdat
.Lfunc_end1985:
	.size	_ZN7rocprim17ROCPRIM_400000_NS6detail17trampoline_kernelINS0_13select_configILj256ELj13ELNS0_17block_load_methodE3ELS4_3ELS4_3ELNS0_20block_scan_algorithmE0ELj4294967295EEENS1_25partition_config_selectorILNS1_17partition_subalgoE4EjNS0_10empty_typeEbEEZZNS1_14partition_implILS8_4ELb0ES6_15HIP_vector_typeIjLj2EENS0_17counting_iteratorIjlEEPS9_SG_NS0_5tupleIJPjSI_NS0_16reverse_iteratorISI_EEEEENSH_IJSG_SG_SG_EEES9_SI_JZNS1_25segmented_radix_sort_implINS0_14default_configELb0EPK12hip_bfloat16PSP_PKlPlN2at6native12_GLOBAL__N_18offset_tEEE10hipError_tPvRmT1_PNSt15iterator_traitsIS13_E10value_typeET2_T3_PNS14_IS19_E10value_typeET4_jRbjT5_S1F_jjP12ihipStream_tbEUljE_ZNSN_ISO_Lb0ESR_SS_SU_SV_SZ_EES10_S11_S12_S13_S17_S18_S19_S1C_S1D_jS1E_jS1F_S1F_jjS1H_bEUljE0_EEES10_S11_S12_S19_S1D_S1F_T6_T7_T9_mT8_S1H_bDpT10_ENKUlT_T0_E_clISt17integral_constantIbLb0EES1V_EEDaS1Q_S1R_EUlS1Q_E_NS1_11comp_targetILNS1_3genE0ELNS1_11target_archE4294967295ELNS1_3gpuE0ELNS1_3repE0EEENS1_30default_config_static_selectorELNS0_4arch9wavefront6targetE1EEEvS13_, .Lfunc_end1985-_ZN7rocprim17ROCPRIM_400000_NS6detail17trampoline_kernelINS0_13select_configILj256ELj13ELNS0_17block_load_methodE3ELS4_3ELS4_3ELNS0_20block_scan_algorithmE0ELj4294967295EEENS1_25partition_config_selectorILNS1_17partition_subalgoE4EjNS0_10empty_typeEbEEZZNS1_14partition_implILS8_4ELb0ES6_15HIP_vector_typeIjLj2EENS0_17counting_iteratorIjlEEPS9_SG_NS0_5tupleIJPjSI_NS0_16reverse_iteratorISI_EEEEENSH_IJSG_SG_SG_EEES9_SI_JZNS1_25segmented_radix_sort_implINS0_14default_configELb0EPK12hip_bfloat16PSP_PKlPlN2at6native12_GLOBAL__N_18offset_tEEE10hipError_tPvRmT1_PNSt15iterator_traitsIS13_E10value_typeET2_T3_PNS14_IS19_E10value_typeET4_jRbjT5_S1F_jjP12ihipStream_tbEUljE_ZNSN_ISO_Lb0ESR_SS_SU_SV_SZ_EES10_S11_S12_S13_S17_S18_S19_S1C_S1D_jS1E_jS1F_S1F_jjS1H_bEUljE0_EEES10_S11_S12_S19_S1D_S1F_T6_T7_T9_mT8_S1H_bDpT10_ENKUlT_T0_E_clISt17integral_constantIbLb0EES1V_EEDaS1Q_S1R_EUlS1Q_E_NS1_11comp_targetILNS1_3genE0ELNS1_11target_archE4294967295ELNS1_3gpuE0ELNS1_3repE0EEENS1_30default_config_static_selectorELNS0_4arch9wavefront6targetE1EEEvS13_
                                        ; -- End function
	.set _ZN7rocprim17ROCPRIM_400000_NS6detail17trampoline_kernelINS0_13select_configILj256ELj13ELNS0_17block_load_methodE3ELS4_3ELS4_3ELNS0_20block_scan_algorithmE0ELj4294967295EEENS1_25partition_config_selectorILNS1_17partition_subalgoE4EjNS0_10empty_typeEbEEZZNS1_14partition_implILS8_4ELb0ES6_15HIP_vector_typeIjLj2EENS0_17counting_iteratorIjlEEPS9_SG_NS0_5tupleIJPjSI_NS0_16reverse_iteratorISI_EEEEENSH_IJSG_SG_SG_EEES9_SI_JZNS1_25segmented_radix_sort_implINS0_14default_configELb0EPK12hip_bfloat16PSP_PKlPlN2at6native12_GLOBAL__N_18offset_tEEE10hipError_tPvRmT1_PNSt15iterator_traitsIS13_E10value_typeET2_T3_PNS14_IS19_E10value_typeET4_jRbjT5_S1F_jjP12ihipStream_tbEUljE_ZNSN_ISO_Lb0ESR_SS_SU_SV_SZ_EES10_S11_S12_S13_S17_S18_S19_S1C_S1D_jS1E_jS1F_S1F_jjS1H_bEUljE0_EEES10_S11_S12_S19_S1D_S1F_T6_T7_T9_mT8_S1H_bDpT10_ENKUlT_T0_E_clISt17integral_constantIbLb0EES1V_EEDaS1Q_S1R_EUlS1Q_E_NS1_11comp_targetILNS1_3genE0ELNS1_11target_archE4294967295ELNS1_3gpuE0ELNS1_3repE0EEENS1_30default_config_static_selectorELNS0_4arch9wavefront6targetE1EEEvS13_.num_vgpr, 0
	.set _ZN7rocprim17ROCPRIM_400000_NS6detail17trampoline_kernelINS0_13select_configILj256ELj13ELNS0_17block_load_methodE3ELS4_3ELS4_3ELNS0_20block_scan_algorithmE0ELj4294967295EEENS1_25partition_config_selectorILNS1_17partition_subalgoE4EjNS0_10empty_typeEbEEZZNS1_14partition_implILS8_4ELb0ES6_15HIP_vector_typeIjLj2EENS0_17counting_iteratorIjlEEPS9_SG_NS0_5tupleIJPjSI_NS0_16reverse_iteratorISI_EEEEENSH_IJSG_SG_SG_EEES9_SI_JZNS1_25segmented_radix_sort_implINS0_14default_configELb0EPK12hip_bfloat16PSP_PKlPlN2at6native12_GLOBAL__N_18offset_tEEE10hipError_tPvRmT1_PNSt15iterator_traitsIS13_E10value_typeET2_T3_PNS14_IS19_E10value_typeET4_jRbjT5_S1F_jjP12ihipStream_tbEUljE_ZNSN_ISO_Lb0ESR_SS_SU_SV_SZ_EES10_S11_S12_S13_S17_S18_S19_S1C_S1D_jS1E_jS1F_S1F_jjS1H_bEUljE0_EEES10_S11_S12_S19_S1D_S1F_T6_T7_T9_mT8_S1H_bDpT10_ENKUlT_T0_E_clISt17integral_constantIbLb0EES1V_EEDaS1Q_S1R_EUlS1Q_E_NS1_11comp_targetILNS1_3genE0ELNS1_11target_archE4294967295ELNS1_3gpuE0ELNS1_3repE0EEENS1_30default_config_static_selectorELNS0_4arch9wavefront6targetE1EEEvS13_.num_agpr, 0
	.set _ZN7rocprim17ROCPRIM_400000_NS6detail17trampoline_kernelINS0_13select_configILj256ELj13ELNS0_17block_load_methodE3ELS4_3ELS4_3ELNS0_20block_scan_algorithmE0ELj4294967295EEENS1_25partition_config_selectorILNS1_17partition_subalgoE4EjNS0_10empty_typeEbEEZZNS1_14partition_implILS8_4ELb0ES6_15HIP_vector_typeIjLj2EENS0_17counting_iteratorIjlEEPS9_SG_NS0_5tupleIJPjSI_NS0_16reverse_iteratorISI_EEEEENSH_IJSG_SG_SG_EEES9_SI_JZNS1_25segmented_radix_sort_implINS0_14default_configELb0EPK12hip_bfloat16PSP_PKlPlN2at6native12_GLOBAL__N_18offset_tEEE10hipError_tPvRmT1_PNSt15iterator_traitsIS13_E10value_typeET2_T3_PNS14_IS19_E10value_typeET4_jRbjT5_S1F_jjP12ihipStream_tbEUljE_ZNSN_ISO_Lb0ESR_SS_SU_SV_SZ_EES10_S11_S12_S13_S17_S18_S19_S1C_S1D_jS1E_jS1F_S1F_jjS1H_bEUljE0_EEES10_S11_S12_S19_S1D_S1F_T6_T7_T9_mT8_S1H_bDpT10_ENKUlT_T0_E_clISt17integral_constantIbLb0EES1V_EEDaS1Q_S1R_EUlS1Q_E_NS1_11comp_targetILNS1_3genE0ELNS1_11target_archE4294967295ELNS1_3gpuE0ELNS1_3repE0EEENS1_30default_config_static_selectorELNS0_4arch9wavefront6targetE1EEEvS13_.numbered_sgpr, 0
	.set _ZN7rocprim17ROCPRIM_400000_NS6detail17trampoline_kernelINS0_13select_configILj256ELj13ELNS0_17block_load_methodE3ELS4_3ELS4_3ELNS0_20block_scan_algorithmE0ELj4294967295EEENS1_25partition_config_selectorILNS1_17partition_subalgoE4EjNS0_10empty_typeEbEEZZNS1_14partition_implILS8_4ELb0ES6_15HIP_vector_typeIjLj2EENS0_17counting_iteratorIjlEEPS9_SG_NS0_5tupleIJPjSI_NS0_16reverse_iteratorISI_EEEEENSH_IJSG_SG_SG_EEES9_SI_JZNS1_25segmented_radix_sort_implINS0_14default_configELb0EPK12hip_bfloat16PSP_PKlPlN2at6native12_GLOBAL__N_18offset_tEEE10hipError_tPvRmT1_PNSt15iterator_traitsIS13_E10value_typeET2_T3_PNS14_IS19_E10value_typeET4_jRbjT5_S1F_jjP12ihipStream_tbEUljE_ZNSN_ISO_Lb0ESR_SS_SU_SV_SZ_EES10_S11_S12_S13_S17_S18_S19_S1C_S1D_jS1E_jS1F_S1F_jjS1H_bEUljE0_EEES10_S11_S12_S19_S1D_S1F_T6_T7_T9_mT8_S1H_bDpT10_ENKUlT_T0_E_clISt17integral_constantIbLb0EES1V_EEDaS1Q_S1R_EUlS1Q_E_NS1_11comp_targetILNS1_3genE0ELNS1_11target_archE4294967295ELNS1_3gpuE0ELNS1_3repE0EEENS1_30default_config_static_selectorELNS0_4arch9wavefront6targetE1EEEvS13_.num_named_barrier, 0
	.set _ZN7rocprim17ROCPRIM_400000_NS6detail17trampoline_kernelINS0_13select_configILj256ELj13ELNS0_17block_load_methodE3ELS4_3ELS4_3ELNS0_20block_scan_algorithmE0ELj4294967295EEENS1_25partition_config_selectorILNS1_17partition_subalgoE4EjNS0_10empty_typeEbEEZZNS1_14partition_implILS8_4ELb0ES6_15HIP_vector_typeIjLj2EENS0_17counting_iteratorIjlEEPS9_SG_NS0_5tupleIJPjSI_NS0_16reverse_iteratorISI_EEEEENSH_IJSG_SG_SG_EEES9_SI_JZNS1_25segmented_radix_sort_implINS0_14default_configELb0EPK12hip_bfloat16PSP_PKlPlN2at6native12_GLOBAL__N_18offset_tEEE10hipError_tPvRmT1_PNSt15iterator_traitsIS13_E10value_typeET2_T3_PNS14_IS19_E10value_typeET4_jRbjT5_S1F_jjP12ihipStream_tbEUljE_ZNSN_ISO_Lb0ESR_SS_SU_SV_SZ_EES10_S11_S12_S13_S17_S18_S19_S1C_S1D_jS1E_jS1F_S1F_jjS1H_bEUljE0_EEES10_S11_S12_S19_S1D_S1F_T6_T7_T9_mT8_S1H_bDpT10_ENKUlT_T0_E_clISt17integral_constantIbLb0EES1V_EEDaS1Q_S1R_EUlS1Q_E_NS1_11comp_targetILNS1_3genE0ELNS1_11target_archE4294967295ELNS1_3gpuE0ELNS1_3repE0EEENS1_30default_config_static_selectorELNS0_4arch9wavefront6targetE1EEEvS13_.private_seg_size, 0
	.set _ZN7rocprim17ROCPRIM_400000_NS6detail17trampoline_kernelINS0_13select_configILj256ELj13ELNS0_17block_load_methodE3ELS4_3ELS4_3ELNS0_20block_scan_algorithmE0ELj4294967295EEENS1_25partition_config_selectorILNS1_17partition_subalgoE4EjNS0_10empty_typeEbEEZZNS1_14partition_implILS8_4ELb0ES6_15HIP_vector_typeIjLj2EENS0_17counting_iteratorIjlEEPS9_SG_NS0_5tupleIJPjSI_NS0_16reverse_iteratorISI_EEEEENSH_IJSG_SG_SG_EEES9_SI_JZNS1_25segmented_radix_sort_implINS0_14default_configELb0EPK12hip_bfloat16PSP_PKlPlN2at6native12_GLOBAL__N_18offset_tEEE10hipError_tPvRmT1_PNSt15iterator_traitsIS13_E10value_typeET2_T3_PNS14_IS19_E10value_typeET4_jRbjT5_S1F_jjP12ihipStream_tbEUljE_ZNSN_ISO_Lb0ESR_SS_SU_SV_SZ_EES10_S11_S12_S13_S17_S18_S19_S1C_S1D_jS1E_jS1F_S1F_jjS1H_bEUljE0_EEES10_S11_S12_S19_S1D_S1F_T6_T7_T9_mT8_S1H_bDpT10_ENKUlT_T0_E_clISt17integral_constantIbLb0EES1V_EEDaS1Q_S1R_EUlS1Q_E_NS1_11comp_targetILNS1_3genE0ELNS1_11target_archE4294967295ELNS1_3gpuE0ELNS1_3repE0EEENS1_30default_config_static_selectorELNS0_4arch9wavefront6targetE1EEEvS13_.uses_vcc, 0
	.set _ZN7rocprim17ROCPRIM_400000_NS6detail17trampoline_kernelINS0_13select_configILj256ELj13ELNS0_17block_load_methodE3ELS4_3ELS4_3ELNS0_20block_scan_algorithmE0ELj4294967295EEENS1_25partition_config_selectorILNS1_17partition_subalgoE4EjNS0_10empty_typeEbEEZZNS1_14partition_implILS8_4ELb0ES6_15HIP_vector_typeIjLj2EENS0_17counting_iteratorIjlEEPS9_SG_NS0_5tupleIJPjSI_NS0_16reverse_iteratorISI_EEEEENSH_IJSG_SG_SG_EEES9_SI_JZNS1_25segmented_radix_sort_implINS0_14default_configELb0EPK12hip_bfloat16PSP_PKlPlN2at6native12_GLOBAL__N_18offset_tEEE10hipError_tPvRmT1_PNSt15iterator_traitsIS13_E10value_typeET2_T3_PNS14_IS19_E10value_typeET4_jRbjT5_S1F_jjP12ihipStream_tbEUljE_ZNSN_ISO_Lb0ESR_SS_SU_SV_SZ_EES10_S11_S12_S13_S17_S18_S19_S1C_S1D_jS1E_jS1F_S1F_jjS1H_bEUljE0_EEES10_S11_S12_S19_S1D_S1F_T6_T7_T9_mT8_S1H_bDpT10_ENKUlT_T0_E_clISt17integral_constantIbLb0EES1V_EEDaS1Q_S1R_EUlS1Q_E_NS1_11comp_targetILNS1_3genE0ELNS1_11target_archE4294967295ELNS1_3gpuE0ELNS1_3repE0EEENS1_30default_config_static_selectorELNS0_4arch9wavefront6targetE1EEEvS13_.uses_flat_scratch, 0
	.set _ZN7rocprim17ROCPRIM_400000_NS6detail17trampoline_kernelINS0_13select_configILj256ELj13ELNS0_17block_load_methodE3ELS4_3ELS4_3ELNS0_20block_scan_algorithmE0ELj4294967295EEENS1_25partition_config_selectorILNS1_17partition_subalgoE4EjNS0_10empty_typeEbEEZZNS1_14partition_implILS8_4ELb0ES6_15HIP_vector_typeIjLj2EENS0_17counting_iteratorIjlEEPS9_SG_NS0_5tupleIJPjSI_NS0_16reverse_iteratorISI_EEEEENSH_IJSG_SG_SG_EEES9_SI_JZNS1_25segmented_radix_sort_implINS0_14default_configELb0EPK12hip_bfloat16PSP_PKlPlN2at6native12_GLOBAL__N_18offset_tEEE10hipError_tPvRmT1_PNSt15iterator_traitsIS13_E10value_typeET2_T3_PNS14_IS19_E10value_typeET4_jRbjT5_S1F_jjP12ihipStream_tbEUljE_ZNSN_ISO_Lb0ESR_SS_SU_SV_SZ_EES10_S11_S12_S13_S17_S18_S19_S1C_S1D_jS1E_jS1F_S1F_jjS1H_bEUljE0_EEES10_S11_S12_S19_S1D_S1F_T6_T7_T9_mT8_S1H_bDpT10_ENKUlT_T0_E_clISt17integral_constantIbLb0EES1V_EEDaS1Q_S1R_EUlS1Q_E_NS1_11comp_targetILNS1_3genE0ELNS1_11target_archE4294967295ELNS1_3gpuE0ELNS1_3repE0EEENS1_30default_config_static_selectorELNS0_4arch9wavefront6targetE1EEEvS13_.has_dyn_sized_stack, 0
	.set _ZN7rocprim17ROCPRIM_400000_NS6detail17trampoline_kernelINS0_13select_configILj256ELj13ELNS0_17block_load_methodE3ELS4_3ELS4_3ELNS0_20block_scan_algorithmE0ELj4294967295EEENS1_25partition_config_selectorILNS1_17partition_subalgoE4EjNS0_10empty_typeEbEEZZNS1_14partition_implILS8_4ELb0ES6_15HIP_vector_typeIjLj2EENS0_17counting_iteratorIjlEEPS9_SG_NS0_5tupleIJPjSI_NS0_16reverse_iteratorISI_EEEEENSH_IJSG_SG_SG_EEES9_SI_JZNS1_25segmented_radix_sort_implINS0_14default_configELb0EPK12hip_bfloat16PSP_PKlPlN2at6native12_GLOBAL__N_18offset_tEEE10hipError_tPvRmT1_PNSt15iterator_traitsIS13_E10value_typeET2_T3_PNS14_IS19_E10value_typeET4_jRbjT5_S1F_jjP12ihipStream_tbEUljE_ZNSN_ISO_Lb0ESR_SS_SU_SV_SZ_EES10_S11_S12_S13_S17_S18_S19_S1C_S1D_jS1E_jS1F_S1F_jjS1H_bEUljE0_EEES10_S11_S12_S19_S1D_S1F_T6_T7_T9_mT8_S1H_bDpT10_ENKUlT_T0_E_clISt17integral_constantIbLb0EES1V_EEDaS1Q_S1R_EUlS1Q_E_NS1_11comp_targetILNS1_3genE0ELNS1_11target_archE4294967295ELNS1_3gpuE0ELNS1_3repE0EEENS1_30default_config_static_selectorELNS0_4arch9wavefront6targetE1EEEvS13_.has_recursion, 0
	.set _ZN7rocprim17ROCPRIM_400000_NS6detail17trampoline_kernelINS0_13select_configILj256ELj13ELNS0_17block_load_methodE3ELS4_3ELS4_3ELNS0_20block_scan_algorithmE0ELj4294967295EEENS1_25partition_config_selectorILNS1_17partition_subalgoE4EjNS0_10empty_typeEbEEZZNS1_14partition_implILS8_4ELb0ES6_15HIP_vector_typeIjLj2EENS0_17counting_iteratorIjlEEPS9_SG_NS0_5tupleIJPjSI_NS0_16reverse_iteratorISI_EEEEENSH_IJSG_SG_SG_EEES9_SI_JZNS1_25segmented_radix_sort_implINS0_14default_configELb0EPK12hip_bfloat16PSP_PKlPlN2at6native12_GLOBAL__N_18offset_tEEE10hipError_tPvRmT1_PNSt15iterator_traitsIS13_E10value_typeET2_T3_PNS14_IS19_E10value_typeET4_jRbjT5_S1F_jjP12ihipStream_tbEUljE_ZNSN_ISO_Lb0ESR_SS_SU_SV_SZ_EES10_S11_S12_S13_S17_S18_S19_S1C_S1D_jS1E_jS1F_S1F_jjS1H_bEUljE0_EEES10_S11_S12_S19_S1D_S1F_T6_T7_T9_mT8_S1H_bDpT10_ENKUlT_T0_E_clISt17integral_constantIbLb0EES1V_EEDaS1Q_S1R_EUlS1Q_E_NS1_11comp_targetILNS1_3genE0ELNS1_11target_archE4294967295ELNS1_3gpuE0ELNS1_3repE0EEENS1_30default_config_static_selectorELNS0_4arch9wavefront6targetE1EEEvS13_.has_indirect_call, 0
	.section	.AMDGPU.csdata,"",@progbits
; Kernel info:
; codeLenInByte = 0
; TotalNumSgprs: 4
; NumVgprs: 0
; ScratchSize: 0
; MemoryBound: 0
; FloatMode: 240
; IeeeMode: 1
; LDSByteSize: 0 bytes/workgroup (compile time only)
; SGPRBlocks: 0
; VGPRBlocks: 0
; NumSGPRsForWavesPerEU: 4
; NumVGPRsForWavesPerEU: 1
; Occupancy: 10
; WaveLimiterHint : 0
; COMPUTE_PGM_RSRC2:SCRATCH_EN: 0
; COMPUTE_PGM_RSRC2:USER_SGPR: 6
; COMPUTE_PGM_RSRC2:TRAP_HANDLER: 0
; COMPUTE_PGM_RSRC2:TGID_X_EN: 1
; COMPUTE_PGM_RSRC2:TGID_Y_EN: 0
; COMPUTE_PGM_RSRC2:TGID_Z_EN: 0
; COMPUTE_PGM_RSRC2:TIDIG_COMP_CNT: 0
	.section	.text._ZN7rocprim17ROCPRIM_400000_NS6detail17trampoline_kernelINS0_13select_configILj256ELj13ELNS0_17block_load_methodE3ELS4_3ELS4_3ELNS0_20block_scan_algorithmE0ELj4294967295EEENS1_25partition_config_selectorILNS1_17partition_subalgoE4EjNS0_10empty_typeEbEEZZNS1_14partition_implILS8_4ELb0ES6_15HIP_vector_typeIjLj2EENS0_17counting_iteratorIjlEEPS9_SG_NS0_5tupleIJPjSI_NS0_16reverse_iteratorISI_EEEEENSH_IJSG_SG_SG_EEES9_SI_JZNS1_25segmented_radix_sort_implINS0_14default_configELb0EPK12hip_bfloat16PSP_PKlPlN2at6native12_GLOBAL__N_18offset_tEEE10hipError_tPvRmT1_PNSt15iterator_traitsIS13_E10value_typeET2_T3_PNS14_IS19_E10value_typeET4_jRbjT5_S1F_jjP12ihipStream_tbEUljE_ZNSN_ISO_Lb0ESR_SS_SU_SV_SZ_EES10_S11_S12_S13_S17_S18_S19_S1C_S1D_jS1E_jS1F_S1F_jjS1H_bEUljE0_EEES10_S11_S12_S19_S1D_S1F_T6_T7_T9_mT8_S1H_bDpT10_ENKUlT_T0_E_clISt17integral_constantIbLb0EES1V_EEDaS1Q_S1R_EUlS1Q_E_NS1_11comp_targetILNS1_3genE5ELNS1_11target_archE942ELNS1_3gpuE9ELNS1_3repE0EEENS1_30default_config_static_selectorELNS0_4arch9wavefront6targetE1EEEvS13_,"axG",@progbits,_ZN7rocprim17ROCPRIM_400000_NS6detail17trampoline_kernelINS0_13select_configILj256ELj13ELNS0_17block_load_methodE3ELS4_3ELS4_3ELNS0_20block_scan_algorithmE0ELj4294967295EEENS1_25partition_config_selectorILNS1_17partition_subalgoE4EjNS0_10empty_typeEbEEZZNS1_14partition_implILS8_4ELb0ES6_15HIP_vector_typeIjLj2EENS0_17counting_iteratorIjlEEPS9_SG_NS0_5tupleIJPjSI_NS0_16reverse_iteratorISI_EEEEENSH_IJSG_SG_SG_EEES9_SI_JZNS1_25segmented_radix_sort_implINS0_14default_configELb0EPK12hip_bfloat16PSP_PKlPlN2at6native12_GLOBAL__N_18offset_tEEE10hipError_tPvRmT1_PNSt15iterator_traitsIS13_E10value_typeET2_T3_PNS14_IS19_E10value_typeET4_jRbjT5_S1F_jjP12ihipStream_tbEUljE_ZNSN_ISO_Lb0ESR_SS_SU_SV_SZ_EES10_S11_S12_S13_S17_S18_S19_S1C_S1D_jS1E_jS1F_S1F_jjS1H_bEUljE0_EEES10_S11_S12_S19_S1D_S1F_T6_T7_T9_mT8_S1H_bDpT10_ENKUlT_T0_E_clISt17integral_constantIbLb0EES1V_EEDaS1Q_S1R_EUlS1Q_E_NS1_11comp_targetILNS1_3genE5ELNS1_11target_archE942ELNS1_3gpuE9ELNS1_3repE0EEENS1_30default_config_static_selectorELNS0_4arch9wavefront6targetE1EEEvS13_,comdat
	.globl	_ZN7rocprim17ROCPRIM_400000_NS6detail17trampoline_kernelINS0_13select_configILj256ELj13ELNS0_17block_load_methodE3ELS4_3ELS4_3ELNS0_20block_scan_algorithmE0ELj4294967295EEENS1_25partition_config_selectorILNS1_17partition_subalgoE4EjNS0_10empty_typeEbEEZZNS1_14partition_implILS8_4ELb0ES6_15HIP_vector_typeIjLj2EENS0_17counting_iteratorIjlEEPS9_SG_NS0_5tupleIJPjSI_NS0_16reverse_iteratorISI_EEEEENSH_IJSG_SG_SG_EEES9_SI_JZNS1_25segmented_radix_sort_implINS0_14default_configELb0EPK12hip_bfloat16PSP_PKlPlN2at6native12_GLOBAL__N_18offset_tEEE10hipError_tPvRmT1_PNSt15iterator_traitsIS13_E10value_typeET2_T3_PNS14_IS19_E10value_typeET4_jRbjT5_S1F_jjP12ihipStream_tbEUljE_ZNSN_ISO_Lb0ESR_SS_SU_SV_SZ_EES10_S11_S12_S13_S17_S18_S19_S1C_S1D_jS1E_jS1F_S1F_jjS1H_bEUljE0_EEES10_S11_S12_S19_S1D_S1F_T6_T7_T9_mT8_S1H_bDpT10_ENKUlT_T0_E_clISt17integral_constantIbLb0EES1V_EEDaS1Q_S1R_EUlS1Q_E_NS1_11comp_targetILNS1_3genE5ELNS1_11target_archE942ELNS1_3gpuE9ELNS1_3repE0EEENS1_30default_config_static_selectorELNS0_4arch9wavefront6targetE1EEEvS13_ ; -- Begin function _ZN7rocprim17ROCPRIM_400000_NS6detail17trampoline_kernelINS0_13select_configILj256ELj13ELNS0_17block_load_methodE3ELS4_3ELS4_3ELNS0_20block_scan_algorithmE0ELj4294967295EEENS1_25partition_config_selectorILNS1_17partition_subalgoE4EjNS0_10empty_typeEbEEZZNS1_14partition_implILS8_4ELb0ES6_15HIP_vector_typeIjLj2EENS0_17counting_iteratorIjlEEPS9_SG_NS0_5tupleIJPjSI_NS0_16reverse_iteratorISI_EEEEENSH_IJSG_SG_SG_EEES9_SI_JZNS1_25segmented_radix_sort_implINS0_14default_configELb0EPK12hip_bfloat16PSP_PKlPlN2at6native12_GLOBAL__N_18offset_tEEE10hipError_tPvRmT1_PNSt15iterator_traitsIS13_E10value_typeET2_T3_PNS14_IS19_E10value_typeET4_jRbjT5_S1F_jjP12ihipStream_tbEUljE_ZNSN_ISO_Lb0ESR_SS_SU_SV_SZ_EES10_S11_S12_S13_S17_S18_S19_S1C_S1D_jS1E_jS1F_S1F_jjS1H_bEUljE0_EEES10_S11_S12_S19_S1D_S1F_T6_T7_T9_mT8_S1H_bDpT10_ENKUlT_T0_E_clISt17integral_constantIbLb0EES1V_EEDaS1Q_S1R_EUlS1Q_E_NS1_11comp_targetILNS1_3genE5ELNS1_11target_archE942ELNS1_3gpuE9ELNS1_3repE0EEENS1_30default_config_static_selectorELNS0_4arch9wavefront6targetE1EEEvS13_
	.p2align	8
	.type	_ZN7rocprim17ROCPRIM_400000_NS6detail17trampoline_kernelINS0_13select_configILj256ELj13ELNS0_17block_load_methodE3ELS4_3ELS4_3ELNS0_20block_scan_algorithmE0ELj4294967295EEENS1_25partition_config_selectorILNS1_17partition_subalgoE4EjNS0_10empty_typeEbEEZZNS1_14partition_implILS8_4ELb0ES6_15HIP_vector_typeIjLj2EENS0_17counting_iteratorIjlEEPS9_SG_NS0_5tupleIJPjSI_NS0_16reverse_iteratorISI_EEEEENSH_IJSG_SG_SG_EEES9_SI_JZNS1_25segmented_radix_sort_implINS0_14default_configELb0EPK12hip_bfloat16PSP_PKlPlN2at6native12_GLOBAL__N_18offset_tEEE10hipError_tPvRmT1_PNSt15iterator_traitsIS13_E10value_typeET2_T3_PNS14_IS19_E10value_typeET4_jRbjT5_S1F_jjP12ihipStream_tbEUljE_ZNSN_ISO_Lb0ESR_SS_SU_SV_SZ_EES10_S11_S12_S13_S17_S18_S19_S1C_S1D_jS1E_jS1F_S1F_jjS1H_bEUljE0_EEES10_S11_S12_S19_S1D_S1F_T6_T7_T9_mT8_S1H_bDpT10_ENKUlT_T0_E_clISt17integral_constantIbLb0EES1V_EEDaS1Q_S1R_EUlS1Q_E_NS1_11comp_targetILNS1_3genE5ELNS1_11target_archE942ELNS1_3gpuE9ELNS1_3repE0EEENS1_30default_config_static_selectorELNS0_4arch9wavefront6targetE1EEEvS13_,@function
_ZN7rocprim17ROCPRIM_400000_NS6detail17trampoline_kernelINS0_13select_configILj256ELj13ELNS0_17block_load_methodE3ELS4_3ELS4_3ELNS0_20block_scan_algorithmE0ELj4294967295EEENS1_25partition_config_selectorILNS1_17partition_subalgoE4EjNS0_10empty_typeEbEEZZNS1_14partition_implILS8_4ELb0ES6_15HIP_vector_typeIjLj2EENS0_17counting_iteratorIjlEEPS9_SG_NS0_5tupleIJPjSI_NS0_16reverse_iteratorISI_EEEEENSH_IJSG_SG_SG_EEES9_SI_JZNS1_25segmented_radix_sort_implINS0_14default_configELb0EPK12hip_bfloat16PSP_PKlPlN2at6native12_GLOBAL__N_18offset_tEEE10hipError_tPvRmT1_PNSt15iterator_traitsIS13_E10value_typeET2_T3_PNS14_IS19_E10value_typeET4_jRbjT5_S1F_jjP12ihipStream_tbEUljE_ZNSN_ISO_Lb0ESR_SS_SU_SV_SZ_EES10_S11_S12_S13_S17_S18_S19_S1C_S1D_jS1E_jS1F_S1F_jjS1H_bEUljE0_EEES10_S11_S12_S19_S1D_S1F_T6_T7_T9_mT8_S1H_bDpT10_ENKUlT_T0_E_clISt17integral_constantIbLb0EES1V_EEDaS1Q_S1R_EUlS1Q_E_NS1_11comp_targetILNS1_3genE5ELNS1_11target_archE942ELNS1_3gpuE9ELNS1_3repE0EEENS1_30default_config_static_selectorELNS0_4arch9wavefront6targetE1EEEvS13_: ; @_ZN7rocprim17ROCPRIM_400000_NS6detail17trampoline_kernelINS0_13select_configILj256ELj13ELNS0_17block_load_methodE3ELS4_3ELS4_3ELNS0_20block_scan_algorithmE0ELj4294967295EEENS1_25partition_config_selectorILNS1_17partition_subalgoE4EjNS0_10empty_typeEbEEZZNS1_14partition_implILS8_4ELb0ES6_15HIP_vector_typeIjLj2EENS0_17counting_iteratorIjlEEPS9_SG_NS0_5tupleIJPjSI_NS0_16reverse_iteratorISI_EEEEENSH_IJSG_SG_SG_EEES9_SI_JZNS1_25segmented_radix_sort_implINS0_14default_configELb0EPK12hip_bfloat16PSP_PKlPlN2at6native12_GLOBAL__N_18offset_tEEE10hipError_tPvRmT1_PNSt15iterator_traitsIS13_E10value_typeET2_T3_PNS14_IS19_E10value_typeET4_jRbjT5_S1F_jjP12ihipStream_tbEUljE_ZNSN_ISO_Lb0ESR_SS_SU_SV_SZ_EES10_S11_S12_S13_S17_S18_S19_S1C_S1D_jS1E_jS1F_S1F_jjS1H_bEUljE0_EEES10_S11_S12_S19_S1D_S1F_T6_T7_T9_mT8_S1H_bDpT10_ENKUlT_T0_E_clISt17integral_constantIbLb0EES1V_EEDaS1Q_S1R_EUlS1Q_E_NS1_11comp_targetILNS1_3genE5ELNS1_11target_archE942ELNS1_3gpuE9ELNS1_3repE0EEENS1_30default_config_static_selectorELNS0_4arch9wavefront6targetE1EEEvS13_
; %bb.0:
	.section	.rodata,"a",@progbits
	.p2align	6, 0x0
	.amdhsa_kernel _ZN7rocprim17ROCPRIM_400000_NS6detail17trampoline_kernelINS0_13select_configILj256ELj13ELNS0_17block_load_methodE3ELS4_3ELS4_3ELNS0_20block_scan_algorithmE0ELj4294967295EEENS1_25partition_config_selectorILNS1_17partition_subalgoE4EjNS0_10empty_typeEbEEZZNS1_14partition_implILS8_4ELb0ES6_15HIP_vector_typeIjLj2EENS0_17counting_iteratorIjlEEPS9_SG_NS0_5tupleIJPjSI_NS0_16reverse_iteratorISI_EEEEENSH_IJSG_SG_SG_EEES9_SI_JZNS1_25segmented_radix_sort_implINS0_14default_configELb0EPK12hip_bfloat16PSP_PKlPlN2at6native12_GLOBAL__N_18offset_tEEE10hipError_tPvRmT1_PNSt15iterator_traitsIS13_E10value_typeET2_T3_PNS14_IS19_E10value_typeET4_jRbjT5_S1F_jjP12ihipStream_tbEUljE_ZNSN_ISO_Lb0ESR_SS_SU_SV_SZ_EES10_S11_S12_S13_S17_S18_S19_S1C_S1D_jS1E_jS1F_S1F_jjS1H_bEUljE0_EEES10_S11_S12_S19_S1D_S1F_T6_T7_T9_mT8_S1H_bDpT10_ENKUlT_T0_E_clISt17integral_constantIbLb0EES1V_EEDaS1Q_S1R_EUlS1Q_E_NS1_11comp_targetILNS1_3genE5ELNS1_11target_archE942ELNS1_3gpuE9ELNS1_3repE0EEENS1_30default_config_static_selectorELNS0_4arch9wavefront6targetE1EEEvS13_
		.amdhsa_group_segment_fixed_size 0
		.amdhsa_private_segment_fixed_size 0
		.amdhsa_kernarg_size 176
		.amdhsa_user_sgpr_count 6
		.amdhsa_user_sgpr_private_segment_buffer 1
		.amdhsa_user_sgpr_dispatch_ptr 0
		.amdhsa_user_sgpr_queue_ptr 0
		.amdhsa_user_sgpr_kernarg_segment_ptr 1
		.amdhsa_user_sgpr_dispatch_id 0
		.amdhsa_user_sgpr_flat_scratch_init 0
		.amdhsa_user_sgpr_private_segment_size 0
		.amdhsa_uses_dynamic_stack 0
		.amdhsa_system_sgpr_private_segment_wavefront_offset 0
		.amdhsa_system_sgpr_workgroup_id_x 1
		.amdhsa_system_sgpr_workgroup_id_y 0
		.amdhsa_system_sgpr_workgroup_id_z 0
		.amdhsa_system_sgpr_workgroup_info 0
		.amdhsa_system_vgpr_workitem_id 0
		.amdhsa_next_free_vgpr 1
		.amdhsa_next_free_sgpr 0
		.amdhsa_reserve_vcc 0
		.amdhsa_reserve_flat_scratch 0
		.amdhsa_float_round_mode_32 0
		.amdhsa_float_round_mode_16_64 0
		.amdhsa_float_denorm_mode_32 3
		.amdhsa_float_denorm_mode_16_64 3
		.amdhsa_dx10_clamp 1
		.amdhsa_ieee_mode 1
		.amdhsa_fp16_overflow 0
		.amdhsa_exception_fp_ieee_invalid_op 0
		.amdhsa_exception_fp_denorm_src 0
		.amdhsa_exception_fp_ieee_div_zero 0
		.amdhsa_exception_fp_ieee_overflow 0
		.amdhsa_exception_fp_ieee_underflow 0
		.amdhsa_exception_fp_ieee_inexact 0
		.amdhsa_exception_int_div_zero 0
	.end_amdhsa_kernel
	.section	.text._ZN7rocprim17ROCPRIM_400000_NS6detail17trampoline_kernelINS0_13select_configILj256ELj13ELNS0_17block_load_methodE3ELS4_3ELS4_3ELNS0_20block_scan_algorithmE0ELj4294967295EEENS1_25partition_config_selectorILNS1_17partition_subalgoE4EjNS0_10empty_typeEbEEZZNS1_14partition_implILS8_4ELb0ES6_15HIP_vector_typeIjLj2EENS0_17counting_iteratorIjlEEPS9_SG_NS0_5tupleIJPjSI_NS0_16reverse_iteratorISI_EEEEENSH_IJSG_SG_SG_EEES9_SI_JZNS1_25segmented_radix_sort_implINS0_14default_configELb0EPK12hip_bfloat16PSP_PKlPlN2at6native12_GLOBAL__N_18offset_tEEE10hipError_tPvRmT1_PNSt15iterator_traitsIS13_E10value_typeET2_T3_PNS14_IS19_E10value_typeET4_jRbjT5_S1F_jjP12ihipStream_tbEUljE_ZNSN_ISO_Lb0ESR_SS_SU_SV_SZ_EES10_S11_S12_S13_S17_S18_S19_S1C_S1D_jS1E_jS1F_S1F_jjS1H_bEUljE0_EEES10_S11_S12_S19_S1D_S1F_T6_T7_T9_mT8_S1H_bDpT10_ENKUlT_T0_E_clISt17integral_constantIbLb0EES1V_EEDaS1Q_S1R_EUlS1Q_E_NS1_11comp_targetILNS1_3genE5ELNS1_11target_archE942ELNS1_3gpuE9ELNS1_3repE0EEENS1_30default_config_static_selectorELNS0_4arch9wavefront6targetE1EEEvS13_,"axG",@progbits,_ZN7rocprim17ROCPRIM_400000_NS6detail17trampoline_kernelINS0_13select_configILj256ELj13ELNS0_17block_load_methodE3ELS4_3ELS4_3ELNS0_20block_scan_algorithmE0ELj4294967295EEENS1_25partition_config_selectorILNS1_17partition_subalgoE4EjNS0_10empty_typeEbEEZZNS1_14partition_implILS8_4ELb0ES6_15HIP_vector_typeIjLj2EENS0_17counting_iteratorIjlEEPS9_SG_NS0_5tupleIJPjSI_NS0_16reverse_iteratorISI_EEEEENSH_IJSG_SG_SG_EEES9_SI_JZNS1_25segmented_radix_sort_implINS0_14default_configELb0EPK12hip_bfloat16PSP_PKlPlN2at6native12_GLOBAL__N_18offset_tEEE10hipError_tPvRmT1_PNSt15iterator_traitsIS13_E10value_typeET2_T3_PNS14_IS19_E10value_typeET4_jRbjT5_S1F_jjP12ihipStream_tbEUljE_ZNSN_ISO_Lb0ESR_SS_SU_SV_SZ_EES10_S11_S12_S13_S17_S18_S19_S1C_S1D_jS1E_jS1F_S1F_jjS1H_bEUljE0_EEES10_S11_S12_S19_S1D_S1F_T6_T7_T9_mT8_S1H_bDpT10_ENKUlT_T0_E_clISt17integral_constantIbLb0EES1V_EEDaS1Q_S1R_EUlS1Q_E_NS1_11comp_targetILNS1_3genE5ELNS1_11target_archE942ELNS1_3gpuE9ELNS1_3repE0EEENS1_30default_config_static_selectorELNS0_4arch9wavefront6targetE1EEEvS13_,comdat
.Lfunc_end1986:
	.size	_ZN7rocprim17ROCPRIM_400000_NS6detail17trampoline_kernelINS0_13select_configILj256ELj13ELNS0_17block_load_methodE3ELS4_3ELS4_3ELNS0_20block_scan_algorithmE0ELj4294967295EEENS1_25partition_config_selectorILNS1_17partition_subalgoE4EjNS0_10empty_typeEbEEZZNS1_14partition_implILS8_4ELb0ES6_15HIP_vector_typeIjLj2EENS0_17counting_iteratorIjlEEPS9_SG_NS0_5tupleIJPjSI_NS0_16reverse_iteratorISI_EEEEENSH_IJSG_SG_SG_EEES9_SI_JZNS1_25segmented_radix_sort_implINS0_14default_configELb0EPK12hip_bfloat16PSP_PKlPlN2at6native12_GLOBAL__N_18offset_tEEE10hipError_tPvRmT1_PNSt15iterator_traitsIS13_E10value_typeET2_T3_PNS14_IS19_E10value_typeET4_jRbjT5_S1F_jjP12ihipStream_tbEUljE_ZNSN_ISO_Lb0ESR_SS_SU_SV_SZ_EES10_S11_S12_S13_S17_S18_S19_S1C_S1D_jS1E_jS1F_S1F_jjS1H_bEUljE0_EEES10_S11_S12_S19_S1D_S1F_T6_T7_T9_mT8_S1H_bDpT10_ENKUlT_T0_E_clISt17integral_constantIbLb0EES1V_EEDaS1Q_S1R_EUlS1Q_E_NS1_11comp_targetILNS1_3genE5ELNS1_11target_archE942ELNS1_3gpuE9ELNS1_3repE0EEENS1_30default_config_static_selectorELNS0_4arch9wavefront6targetE1EEEvS13_, .Lfunc_end1986-_ZN7rocprim17ROCPRIM_400000_NS6detail17trampoline_kernelINS0_13select_configILj256ELj13ELNS0_17block_load_methodE3ELS4_3ELS4_3ELNS0_20block_scan_algorithmE0ELj4294967295EEENS1_25partition_config_selectorILNS1_17partition_subalgoE4EjNS0_10empty_typeEbEEZZNS1_14partition_implILS8_4ELb0ES6_15HIP_vector_typeIjLj2EENS0_17counting_iteratorIjlEEPS9_SG_NS0_5tupleIJPjSI_NS0_16reverse_iteratorISI_EEEEENSH_IJSG_SG_SG_EEES9_SI_JZNS1_25segmented_radix_sort_implINS0_14default_configELb0EPK12hip_bfloat16PSP_PKlPlN2at6native12_GLOBAL__N_18offset_tEEE10hipError_tPvRmT1_PNSt15iterator_traitsIS13_E10value_typeET2_T3_PNS14_IS19_E10value_typeET4_jRbjT5_S1F_jjP12ihipStream_tbEUljE_ZNSN_ISO_Lb0ESR_SS_SU_SV_SZ_EES10_S11_S12_S13_S17_S18_S19_S1C_S1D_jS1E_jS1F_S1F_jjS1H_bEUljE0_EEES10_S11_S12_S19_S1D_S1F_T6_T7_T9_mT8_S1H_bDpT10_ENKUlT_T0_E_clISt17integral_constantIbLb0EES1V_EEDaS1Q_S1R_EUlS1Q_E_NS1_11comp_targetILNS1_3genE5ELNS1_11target_archE942ELNS1_3gpuE9ELNS1_3repE0EEENS1_30default_config_static_selectorELNS0_4arch9wavefront6targetE1EEEvS13_
                                        ; -- End function
	.set _ZN7rocprim17ROCPRIM_400000_NS6detail17trampoline_kernelINS0_13select_configILj256ELj13ELNS0_17block_load_methodE3ELS4_3ELS4_3ELNS0_20block_scan_algorithmE0ELj4294967295EEENS1_25partition_config_selectorILNS1_17partition_subalgoE4EjNS0_10empty_typeEbEEZZNS1_14partition_implILS8_4ELb0ES6_15HIP_vector_typeIjLj2EENS0_17counting_iteratorIjlEEPS9_SG_NS0_5tupleIJPjSI_NS0_16reverse_iteratorISI_EEEEENSH_IJSG_SG_SG_EEES9_SI_JZNS1_25segmented_radix_sort_implINS0_14default_configELb0EPK12hip_bfloat16PSP_PKlPlN2at6native12_GLOBAL__N_18offset_tEEE10hipError_tPvRmT1_PNSt15iterator_traitsIS13_E10value_typeET2_T3_PNS14_IS19_E10value_typeET4_jRbjT5_S1F_jjP12ihipStream_tbEUljE_ZNSN_ISO_Lb0ESR_SS_SU_SV_SZ_EES10_S11_S12_S13_S17_S18_S19_S1C_S1D_jS1E_jS1F_S1F_jjS1H_bEUljE0_EEES10_S11_S12_S19_S1D_S1F_T6_T7_T9_mT8_S1H_bDpT10_ENKUlT_T0_E_clISt17integral_constantIbLb0EES1V_EEDaS1Q_S1R_EUlS1Q_E_NS1_11comp_targetILNS1_3genE5ELNS1_11target_archE942ELNS1_3gpuE9ELNS1_3repE0EEENS1_30default_config_static_selectorELNS0_4arch9wavefront6targetE1EEEvS13_.num_vgpr, 0
	.set _ZN7rocprim17ROCPRIM_400000_NS6detail17trampoline_kernelINS0_13select_configILj256ELj13ELNS0_17block_load_methodE3ELS4_3ELS4_3ELNS0_20block_scan_algorithmE0ELj4294967295EEENS1_25partition_config_selectorILNS1_17partition_subalgoE4EjNS0_10empty_typeEbEEZZNS1_14partition_implILS8_4ELb0ES6_15HIP_vector_typeIjLj2EENS0_17counting_iteratorIjlEEPS9_SG_NS0_5tupleIJPjSI_NS0_16reverse_iteratorISI_EEEEENSH_IJSG_SG_SG_EEES9_SI_JZNS1_25segmented_radix_sort_implINS0_14default_configELb0EPK12hip_bfloat16PSP_PKlPlN2at6native12_GLOBAL__N_18offset_tEEE10hipError_tPvRmT1_PNSt15iterator_traitsIS13_E10value_typeET2_T3_PNS14_IS19_E10value_typeET4_jRbjT5_S1F_jjP12ihipStream_tbEUljE_ZNSN_ISO_Lb0ESR_SS_SU_SV_SZ_EES10_S11_S12_S13_S17_S18_S19_S1C_S1D_jS1E_jS1F_S1F_jjS1H_bEUljE0_EEES10_S11_S12_S19_S1D_S1F_T6_T7_T9_mT8_S1H_bDpT10_ENKUlT_T0_E_clISt17integral_constantIbLb0EES1V_EEDaS1Q_S1R_EUlS1Q_E_NS1_11comp_targetILNS1_3genE5ELNS1_11target_archE942ELNS1_3gpuE9ELNS1_3repE0EEENS1_30default_config_static_selectorELNS0_4arch9wavefront6targetE1EEEvS13_.num_agpr, 0
	.set _ZN7rocprim17ROCPRIM_400000_NS6detail17trampoline_kernelINS0_13select_configILj256ELj13ELNS0_17block_load_methodE3ELS4_3ELS4_3ELNS0_20block_scan_algorithmE0ELj4294967295EEENS1_25partition_config_selectorILNS1_17partition_subalgoE4EjNS0_10empty_typeEbEEZZNS1_14partition_implILS8_4ELb0ES6_15HIP_vector_typeIjLj2EENS0_17counting_iteratorIjlEEPS9_SG_NS0_5tupleIJPjSI_NS0_16reverse_iteratorISI_EEEEENSH_IJSG_SG_SG_EEES9_SI_JZNS1_25segmented_radix_sort_implINS0_14default_configELb0EPK12hip_bfloat16PSP_PKlPlN2at6native12_GLOBAL__N_18offset_tEEE10hipError_tPvRmT1_PNSt15iterator_traitsIS13_E10value_typeET2_T3_PNS14_IS19_E10value_typeET4_jRbjT5_S1F_jjP12ihipStream_tbEUljE_ZNSN_ISO_Lb0ESR_SS_SU_SV_SZ_EES10_S11_S12_S13_S17_S18_S19_S1C_S1D_jS1E_jS1F_S1F_jjS1H_bEUljE0_EEES10_S11_S12_S19_S1D_S1F_T6_T7_T9_mT8_S1H_bDpT10_ENKUlT_T0_E_clISt17integral_constantIbLb0EES1V_EEDaS1Q_S1R_EUlS1Q_E_NS1_11comp_targetILNS1_3genE5ELNS1_11target_archE942ELNS1_3gpuE9ELNS1_3repE0EEENS1_30default_config_static_selectorELNS0_4arch9wavefront6targetE1EEEvS13_.numbered_sgpr, 0
	.set _ZN7rocprim17ROCPRIM_400000_NS6detail17trampoline_kernelINS0_13select_configILj256ELj13ELNS0_17block_load_methodE3ELS4_3ELS4_3ELNS0_20block_scan_algorithmE0ELj4294967295EEENS1_25partition_config_selectorILNS1_17partition_subalgoE4EjNS0_10empty_typeEbEEZZNS1_14partition_implILS8_4ELb0ES6_15HIP_vector_typeIjLj2EENS0_17counting_iteratorIjlEEPS9_SG_NS0_5tupleIJPjSI_NS0_16reverse_iteratorISI_EEEEENSH_IJSG_SG_SG_EEES9_SI_JZNS1_25segmented_radix_sort_implINS0_14default_configELb0EPK12hip_bfloat16PSP_PKlPlN2at6native12_GLOBAL__N_18offset_tEEE10hipError_tPvRmT1_PNSt15iterator_traitsIS13_E10value_typeET2_T3_PNS14_IS19_E10value_typeET4_jRbjT5_S1F_jjP12ihipStream_tbEUljE_ZNSN_ISO_Lb0ESR_SS_SU_SV_SZ_EES10_S11_S12_S13_S17_S18_S19_S1C_S1D_jS1E_jS1F_S1F_jjS1H_bEUljE0_EEES10_S11_S12_S19_S1D_S1F_T6_T7_T9_mT8_S1H_bDpT10_ENKUlT_T0_E_clISt17integral_constantIbLb0EES1V_EEDaS1Q_S1R_EUlS1Q_E_NS1_11comp_targetILNS1_3genE5ELNS1_11target_archE942ELNS1_3gpuE9ELNS1_3repE0EEENS1_30default_config_static_selectorELNS0_4arch9wavefront6targetE1EEEvS13_.num_named_barrier, 0
	.set _ZN7rocprim17ROCPRIM_400000_NS6detail17trampoline_kernelINS0_13select_configILj256ELj13ELNS0_17block_load_methodE3ELS4_3ELS4_3ELNS0_20block_scan_algorithmE0ELj4294967295EEENS1_25partition_config_selectorILNS1_17partition_subalgoE4EjNS0_10empty_typeEbEEZZNS1_14partition_implILS8_4ELb0ES6_15HIP_vector_typeIjLj2EENS0_17counting_iteratorIjlEEPS9_SG_NS0_5tupleIJPjSI_NS0_16reverse_iteratorISI_EEEEENSH_IJSG_SG_SG_EEES9_SI_JZNS1_25segmented_radix_sort_implINS0_14default_configELb0EPK12hip_bfloat16PSP_PKlPlN2at6native12_GLOBAL__N_18offset_tEEE10hipError_tPvRmT1_PNSt15iterator_traitsIS13_E10value_typeET2_T3_PNS14_IS19_E10value_typeET4_jRbjT5_S1F_jjP12ihipStream_tbEUljE_ZNSN_ISO_Lb0ESR_SS_SU_SV_SZ_EES10_S11_S12_S13_S17_S18_S19_S1C_S1D_jS1E_jS1F_S1F_jjS1H_bEUljE0_EEES10_S11_S12_S19_S1D_S1F_T6_T7_T9_mT8_S1H_bDpT10_ENKUlT_T0_E_clISt17integral_constantIbLb0EES1V_EEDaS1Q_S1R_EUlS1Q_E_NS1_11comp_targetILNS1_3genE5ELNS1_11target_archE942ELNS1_3gpuE9ELNS1_3repE0EEENS1_30default_config_static_selectorELNS0_4arch9wavefront6targetE1EEEvS13_.private_seg_size, 0
	.set _ZN7rocprim17ROCPRIM_400000_NS6detail17trampoline_kernelINS0_13select_configILj256ELj13ELNS0_17block_load_methodE3ELS4_3ELS4_3ELNS0_20block_scan_algorithmE0ELj4294967295EEENS1_25partition_config_selectorILNS1_17partition_subalgoE4EjNS0_10empty_typeEbEEZZNS1_14partition_implILS8_4ELb0ES6_15HIP_vector_typeIjLj2EENS0_17counting_iteratorIjlEEPS9_SG_NS0_5tupleIJPjSI_NS0_16reverse_iteratorISI_EEEEENSH_IJSG_SG_SG_EEES9_SI_JZNS1_25segmented_radix_sort_implINS0_14default_configELb0EPK12hip_bfloat16PSP_PKlPlN2at6native12_GLOBAL__N_18offset_tEEE10hipError_tPvRmT1_PNSt15iterator_traitsIS13_E10value_typeET2_T3_PNS14_IS19_E10value_typeET4_jRbjT5_S1F_jjP12ihipStream_tbEUljE_ZNSN_ISO_Lb0ESR_SS_SU_SV_SZ_EES10_S11_S12_S13_S17_S18_S19_S1C_S1D_jS1E_jS1F_S1F_jjS1H_bEUljE0_EEES10_S11_S12_S19_S1D_S1F_T6_T7_T9_mT8_S1H_bDpT10_ENKUlT_T0_E_clISt17integral_constantIbLb0EES1V_EEDaS1Q_S1R_EUlS1Q_E_NS1_11comp_targetILNS1_3genE5ELNS1_11target_archE942ELNS1_3gpuE9ELNS1_3repE0EEENS1_30default_config_static_selectorELNS0_4arch9wavefront6targetE1EEEvS13_.uses_vcc, 0
	.set _ZN7rocprim17ROCPRIM_400000_NS6detail17trampoline_kernelINS0_13select_configILj256ELj13ELNS0_17block_load_methodE3ELS4_3ELS4_3ELNS0_20block_scan_algorithmE0ELj4294967295EEENS1_25partition_config_selectorILNS1_17partition_subalgoE4EjNS0_10empty_typeEbEEZZNS1_14partition_implILS8_4ELb0ES6_15HIP_vector_typeIjLj2EENS0_17counting_iteratorIjlEEPS9_SG_NS0_5tupleIJPjSI_NS0_16reverse_iteratorISI_EEEEENSH_IJSG_SG_SG_EEES9_SI_JZNS1_25segmented_radix_sort_implINS0_14default_configELb0EPK12hip_bfloat16PSP_PKlPlN2at6native12_GLOBAL__N_18offset_tEEE10hipError_tPvRmT1_PNSt15iterator_traitsIS13_E10value_typeET2_T3_PNS14_IS19_E10value_typeET4_jRbjT5_S1F_jjP12ihipStream_tbEUljE_ZNSN_ISO_Lb0ESR_SS_SU_SV_SZ_EES10_S11_S12_S13_S17_S18_S19_S1C_S1D_jS1E_jS1F_S1F_jjS1H_bEUljE0_EEES10_S11_S12_S19_S1D_S1F_T6_T7_T9_mT8_S1H_bDpT10_ENKUlT_T0_E_clISt17integral_constantIbLb0EES1V_EEDaS1Q_S1R_EUlS1Q_E_NS1_11comp_targetILNS1_3genE5ELNS1_11target_archE942ELNS1_3gpuE9ELNS1_3repE0EEENS1_30default_config_static_selectorELNS0_4arch9wavefront6targetE1EEEvS13_.uses_flat_scratch, 0
	.set _ZN7rocprim17ROCPRIM_400000_NS6detail17trampoline_kernelINS0_13select_configILj256ELj13ELNS0_17block_load_methodE3ELS4_3ELS4_3ELNS0_20block_scan_algorithmE0ELj4294967295EEENS1_25partition_config_selectorILNS1_17partition_subalgoE4EjNS0_10empty_typeEbEEZZNS1_14partition_implILS8_4ELb0ES6_15HIP_vector_typeIjLj2EENS0_17counting_iteratorIjlEEPS9_SG_NS0_5tupleIJPjSI_NS0_16reverse_iteratorISI_EEEEENSH_IJSG_SG_SG_EEES9_SI_JZNS1_25segmented_radix_sort_implINS0_14default_configELb0EPK12hip_bfloat16PSP_PKlPlN2at6native12_GLOBAL__N_18offset_tEEE10hipError_tPvRmT1_PNSt15iterator_traitsIS13_E10value_typeET2_T3_PNS14_IS19_E10value_typeET4_jRbjT5_S1F_jjP12ihipStream_tbEUljE_ZNSN_ISO_Lb0ESR_SS_SU_SV_SZ_EES10_S11_S12_S13_S17_S18_S19_S1C_S1D_jS1E_jS1F_S1F_jjS1H_bEUljE0_EEES10_S11_S12_S19_S1D_S1F_T6_T7_T9_mT8_S1H_bDpT10_ENKUlT_T0_E_clISt17integral_constantIbLb0EES1V_EEDaS1Q_S1R_EUlS1Q_E_NS1_11comp_targetILNS1_3genE5ELNS1_11target_archE942ELNS1_3gpuE9ELNS1_3repE0EEENS1_30default_config_static_selectorELNS0_4arch9wavefront6targetE1EEEvS13_.has_dyn_sized_stack, 0
	.set _ZN7rocprim17ROCPRIM_400000_NS6detail17trampoline_kernelINS0_13select_configILj256ELj13ELNS0_17block_load_methodE3ELS4_3ELS4_3ELNS0_20block_scan_algorithmE0ELj4294967295EEENS1_25partition_config_selectorILNS1_17partition_subalgoE4EjNS0_10empty_typeEbEEZZNS1_14partition_implILS8_4ELb0ES6_15HIP_vector_typeIjLj2EENS0_17counting_iteratorIjlEEPS9_SG_NS0_5tupleIJPjSI_NS0_16reverse_iteratorISI_EEEEENSH_IJSG_SG_SG_EEES9_SI_JZNS1_25segmented_radix_sort_implINS0_14default_configELb0EPK12hip_bfloat16PSP_PKlPlN2at6native12_GLOBAL__N_18offset_tEEE10hipError_tPvRmT1_PNSt15iterator_traitsIS13_E10value_typeET2_T3_PNS14_IS19_E10value_typeET4_jRbjT5_S1F_jjP12ihipStream_tbEUljE_ZNSN_ISO_Lb0ESR_SS_SU_SV_SZ_EES10_S11_S12_S13_S17_S18_S19_S1C_S1D_jS1E_jS1F_S1F_jjS1H_bEUljE0_EEES10_S11_S12_S19_S1D_S1F_T6_T7_T9_mT8_S1H_bDpT10_ENKUlT_T0_E_clISt17integral_constantIbLb0EES1V_EEDaS1Q_S1R_EUlS1Q_E_NS1_11comp_targetILNS1_3genE5ELNS1_11target_archE942ELNS1_3gpuE9ELNS1_3repE0EEENS1_30default_config_static_selectorELNS0_4arch9wavefront6targetE1EEEvS13_.has_recursion, 0
	.set _ZN7rocprim17ROCPRIM_400000_NS6detail17trampoline_kernelINS0_13select_configILj256ELj13ELNS0_17block_load_methodE3ELS4_3ELS4_3ELNS0_20block_scan_algorithmE0ELj4294967295EEENS1_25partition_config_selectorILNS1_17partition_subalgoE4EjNS0_10empty_typeEbEEZZNS1_14partition_implILS8_4ELb0ES6_15HIP_vector_typeIjLj2EENS0_17counting_iteratorIjlEEPS9_SG_NS0_5tupleIJPjSI_NS0_16reverse_iteratorISI_EEEEENSH_IJSG_SG_SG_EEES9_SI_JZNS1_25segmented_radix_sort_implINS0_14default_configELb0EPK12hip_bfloat16PSP_PKlPlN2at6native12_GLOBAL__N_18offset_tEEE10hipError_tPvRmT1_PNSt15iterator_traitsIS13_E10value_typeET2_T3_PNS14_IS19_E10value_typeET4_jRbjT5_S1F_jjP12ihipStream_tbEUljE_ZNSN_ISO_Lb0ESR_SS_SU_SV_SZ_EES10_S11_S12_S13_S17_S18_S19_S1C_S1D_jS1E_jS1F_S1F_jjS1H_bEUljE0_EEES10_S11_S12_S19_S1D_S1F_T6_T7_T9_mT8_S1H_bDpT10_ENKUlT_T0_E_clISt17integral_constantIbLb0EES1V_EEDaS1Q_S1R_EUlS1Q_E_NS1_11comp_targetILNS1_3genE5ELNS1_11target_archE942ELNS1_3gpuE9ELNS1_3repE0EEENS1_30default_config_static_selectorELNS0_4arch9wavefront6targetE1EEEvS13_.has_indirect_call, 0
	.section	.AMDGPU.csdata,"",@progbits
; Kernel info:
; codeLenInByte = 0
; TotalNumSgprs: 4
; NumVgprs: 0
; ScratchSize: 0
; MemoryBound: 0
; FloatMode: 240
; IeeeMode: 1
; LDSByteSize: 0 bytes/workgroup (compile time only)
; SGPRBlocks: 0
; VGPRBlocks: 0
; NumSGPRsForWavesPerEU: 4
; NumVGPRsForWavesPerEU: 1
; Occupancy: 10
; WaveLimiterHint : 0
; COMPUTE_PGM_RSRC2:SCRATCH_EN: 0
; COMPUTE_PGM_RSRC2:USER_SGPR: 6
; COMPUTE_PGM_RSRC2:TRAP_HANDLER: 0
; COMPUTE_PGM_RSRC2:TGID_X_EN: 1
; COMPUTE_PGM_RSRC2:TGID_Y_EN: 0
; COMPUTE_PGM_RSRC2:TGID_Z_EN: 0
; COMPUTE_PGM_RSRC2:TIDIG_COMP_CNT: 0
	.section	.text._ZN7rocprim17ROCPRIM_400000_NS6detail17trampoline_kernelINS0_13select_configILj256ELj13ELNS0_17block_load_methodE3ELS4_3ELS4_3ELNS0_20block_scan_algorithmE0ELj4294967295EEENS1_25partition_config_selectorILNS1_17partition_subalgoE4EjNS0_10empty_typeEbEEZZNS1_14partition_implILS8_4ELb0ES6_15HIP_vector_typeIjLj2EENS0_17counting_iteratorIjlEEPS9_SG_NS0_5tupleIJPjSI_NS0_16reverse_iteratorISI_EEEEENSH_IJSG_SG_SG_EEES9_SI_JZNS1_25segmented_radix_sort_implINS0_14default_configELb0EPK12hip_bfloat16PSP_PKlPlN2at6native12_GLOBAL__N_18offset_tEEE10hipError_tPvRmT1_PNSt15iterator_traitsIS13_E10value_typeET2_T3_PNS14_IS19_E10value_typeET4_jRbjT5_S1F_jjP12ihipStream_tbEUljE_ZNSN_ISO_Lb0ESR_SS_SU_SV_SZ_EES10_S11_S12_S13_S17_S18_S19_S1C_S1D_jS1E_jS1F_S1F_jjS1H_bEUljE0_EEES10_S11_S12_S19_S1D_S1F_T6_T7_T9_mT8_S1H_bDpT10_ENKUlT_T0_E_clISt17integral_constantIbLb0EES1V_EEDaS1Q_S1R_EUlS1Q_E_NS1_11comp_targetILNS1_3genE4ELNS1_11target_archE910ELNS1_3gpuE8ELNS1_3repE0EEENS1_30default_config_static_selectorELNS0_4arch9wavefront6targetE1EEEvS13_,"axG",@progbits,_ZN7rocprim17ROCPRIM_400000_NS6detail17trampoline_kernelINS0_13select_configILj256ELj13ELNS0_17block_load_methodE3ELS4_3ELS4_3ELNS0_20block_scan_algorithmE0ELj4294967295EEENS1_25partition_config_selectorILNS1_17partition_subalgoE4EjNS0_10empty_typeEbEEZZNS1_14partition_implILS8_4ELb0ES6_15HIP_vector_typeIjLj2EENS0_17counting_iteratorIjlEEPS9_SG_NS0_5tupleIJPjSI_NS0_16reverse_iteratorISI_EEEEENSH_IJSG_SG_SG_EEES9_SI_JZNS1_25segmented_radix_sort_implINS0_14default_configELb0EPK12hip_bfloat16PSP_PKlPlN2at6native12_GLOBAL__N_18offset_tEEE10hipError_tPvRmT1_PNSt15iterator_traitsIS13_E10value_typeET2_T3_PNS14_IS19_E10value_typeET4_jRbjT5_S1F_jjP12ihipStream_tbEUljE_ZNSN_ISO_Lb0ESR_SS_SU_SV_SZ_EES10_S11_S12_S13_S17_S18_S19_S1C_S1D_jS1E_jS1F_S1F_jjS1H_bEUljE0_EEES10_S11_S12_S19_S1D_S1F_T6_T7_T9_mT8_S1H_bDpT10_ENKUlT_T0_E_clISt17integral_constantIbLb0EES1V_EEDaS1Q_S1R_EUlS1Q_E_NS1_11comp_targetILNS1_3genE4ELNS1_11target_archE910ELNS1_3gpuE8ELNS1_3repE0EEENS1_30default_config_static_selectorELNS0_4arch9wavefront6targetE1EEEvS13_,comdat
	.globl	_ZN7rocprim17ROCPRIM_400000_NS6detail17trampoline_kernelINS0_13select_configILj256ELj13ELNS0_17block_load_methodE3ELS4_3ELS4_3ELNS0_20block_scan_algorithmE0ELj4294967295EEENS1_25partition_config_selectorILNS1_17partition_subalgoE4EjNS0_10empty_typeEbEEZZNS1_14partition_implILS8_4ELb0ES6_15HIP_vector_typeIjLj2EENS0_17counting_iteratorIjlEEPS9_SG_NS0_5tupleIJPjSI_NS0_16reverse_iteratorISI_EEEEENSH_IJSG_SG_SG_EEES9_SI_JZNS1_25segmented_radix_sort_implINS0_14default_configELb0EPK12hip_bfloat16PSP_PKlPlN2at6native12_GLOBAL__N_18offset_tEEE10hipError_tPvRmT1_PNSt15iterator_traitsIS13_E10value_typeET2_T3_PNS14_IS19_E10value_typeET4_jRbjT5_S1F_jjP12ihipStream_tbEUljE_ZNSN_ISO_Lb0ESR_SS_SU_SV_SZ_EES10_S11_S12_S13_S17_S18_S19_S1C_S1D_jS1E_jS1F_S1F_jjS1H_bEUljE0_EEES10_S11_S12_S19_S1D_S1F_T6_T7_T9_mT8_S1H_bDpT10_ENKUlT_T0_E_clISt17integral_constantIbLb0EES1V_EEDaS1Q_S1R_EUlS1Q_E_NS1_11comp_targetILNS1_3genE4ELNS1_11target_archE910ELNS1_3gpuE8ELNS1_3repE0EEENS1_30default_config_static_selectorELNS0_4arch9wavefront6targetE1EEEvS13_ ; -- Begin function _ZN7rocprim17ROCPRIM_400000_NS6detail17trampoline_kernelINS0_13select_configILj256ELj13ELNS0_17block_load_methodE3ELS4_3ELS4_3ELNS0_20block_scan_algorithmE0ELj4294967295EEENS1_25partition_config_selectorILNS1_17partition_subalgoE4EjNS0_10empty_typeEbEEZZNS1_14partition_implILS8_4ELb0ES6_15HIP_vector_typeIjLj2EENS0_17counting_iteratorIjlEEPS9_SG_NS0_5tupleIJPjSI_NS0_16reverse_iteratorISI_EEEEENSH_IJSG_SG_SG_EEES9_SI_JZNS1_25segmented_radix_sort_implINS0_14default_configELb0EPK12hip_bfloat16PSP_PKlPlN2at6native12_GLOBAL__N_18offset_tEEE10hipError_tPvRmT1_PNSt15iterator_traitsIS13_E10value_typeET2_T3_PNS14_IS19_E10value_typeET4_jRbjT5_S1F_jjP12ihipStream_tbEUljE_ZNSN_ISO_Lb0ESR_SS_SU_SV_SZ_EES10_S11_S12_S13_S17_S18_S19_S1C_S1D_jS1E_jS1F_S1F_jjS1H_bEUljE0_EEES10_S11_S12_S19_S1D_S1F_T6_T7_T9_mT8_S1H_bDpT10_ENKUlT_T0_E_clISt17integral_constantIbLb0EES1V_EEDaS1Q_S1R_EUlS1Q_E_NS1_11comp_targetILNS1_3genE4ELNS1_11target_archE910ELNS1_3gpuE8ELNS1_3repE0EEENS1_30default_config_static_selectorELNS0_4arch9wavefront6targetE1EEEvS13_
	.p2align	8
	.type	_ZN7rocprim17ROCPRIM_400000_NS6detail17trampoline_kernelINS0_13select_configILj256ELj13ELNS0_17block_load_methodE3ELS4_3ELS4_3ELNS0_20block_scan_algorithmE0ELj4294967295EEENS1_25partition_config_selectorILNS1_17partition_subalgoE4EjNS0_10empty_typeEbEEZZNS1_14partition_implILS8_4ELb0ES6_15HIP_vector_typeIjLj2EENS0_17counting_iteratorIjlEEPS9_SG_NS0_5tupleIJPjSI_NS0_16reverse_iteratorISI_EEEEENSH_IJSG_SG_SG_EEES9_SI_JZNS1_25segmented_radix_sort_implINS0_14default_configELb0EPK12hip_bfloat16PSP_PKlPlN2at6native12_GLOBAL__N_18offset_tEEE10hipError_tPvRmT1_PNSt15iterator_traitsIS13_E10value_typeET2_T3_PNS14_IS19_E10value_typeET4_jRbjT5_S1F_jjP12ihipStream_tbEUljE_ZNSN_ISO_Lb0ESR_SS_SU_SV_SZ_EES10_S11_S12_S13_S17_S18_S19_S1C_S1D_jS1E_jS1F_S1F_jjS1H_bEUljE0_EEES10_S11_S12_S19_S1D_S1F_T6_T7_T9_mT8_S1H_bDpT10_ENKUlT_T0_E_clISt17integral_constantIbLb0EES1V_EEDaS1Q_S1R_EUlS1Q_E_NS1_11comp_targetILNS1_3genE4ELNS1_11target_archE910ELNS1_3gpuE8ELNS1_3repE0EEENS1_30default_config_static_selectorELNS0_4arch9wavefront6targetE1EEEvS13_,@function
_ZN7rocprim17ROCPRIM_400000_NS6detail17trampoline_kernelINS0_13select_configILj256ELj13ELNS0_17block_load_methodE3ELS4_3ELS4_3ELNS0_20block_scan_algorithmE0ELj4294967295EEENS1_25partition_config_selectorILNS1_17partition_subalgoE4EjNS0_10empty_typeEbEEZZNS1_14partition_implILS8_4ELb0ES6_15HIP_vector_typeIjLj2EENS0_17counting_iteratorIjlEEPS9_SG_NS0_5tupleIJPjSI_NS0_16reverse_iteratorISI_EEEEENSH_IJSG_SG_SG_EEES9_SI_JZNS1_25segmented_radix_sort_implINS0_14default_configELb0EPK12hip_bfloat16PSP_PKlPlN2at6native12_GLOBAL__N_18offset_tEEE10hipError_tPvRmT1_PNSt15iterator_traitsIS13_E10value_typeET2_T3_PNS14_IS19_E10value_typeET4_jRbjT5_S1F_jjP12ihipStream_tbEUljE_ZNSN_ISO_Lb0ESR_SS_SU_SV_SZ_EES10_S11_S12_S13_S17_S18_S19_S1C_S1D_jS1E_jS1F_S1F_jjS1H_bEUljE0_EEES10_S11_S12_S19_S1D_S1F_T6_T7_T9_mT8_S1H_bDpT10_ENKUlT_T0_E_clISt17integral_constantIbLb0EES1V_EEDaS1Q_S1R_EUlS1Q_E_NS1_11comp_targetILNS1_3genE4ELNS1_11target_archE910ELNS1_3gpuE8ELNS1_3repE0EEENS1_30default_config_static_selectorELNS0_4arch9wavefront6targetE1EEEvS13_: ; @_ZN7rocprim17ROCPRIM_400000_NS6detail17trampoline_kernelINS0_13select_configILj256ELj13ELNS0_17block_load_methodE3ELS4_3ELS4_3ELNS0_20block_scan_algorithmE0ELj4294967295EEENS1_25partition_config_selectorILNS1_17partition_subalgoE4EjNS0_10empty_typeEbEEZZNS1_14partition_implILS8_4ELb0ES6_15HIP_vector_typeIjLj2EENS0_17counting_iteratorIjlEEPS9_SG_NS0_5tupleIJPjSI_NS0_16reverse_iteratorISI_EEEEENSH_IJSG_SG_SG_EEES9_SI_JZNS1_25segmented_radix_sort_implINS0_14default_configELb0EPK12hip_bfloat16PSP_PKlPlN2at6native12_GLOBAL__N_18offset_tEEE10hipError_tPvRmT1_PNSt15iterator_traitsIS13_E10value_typeET2_T3_PNS14_IS19_E10value_typeET4_jRbjT5_S1F_jjP12ihipStream_tbEUljE_ZNSN_ISO_Lb0ESR_SS_SU_SV_SZ_EES10_S11_S12_S13_S17_S18_S19_S1C_S1D_jS1E_jS1F_S1F_jjS1H_bEUljE0_EEES10_S11_S12_S19_S1D_S1F_T6_T7_T9_mT8_S1H_bDpT10_ENKUlT_T0_E_clISt17integral_constantIbLb0EES1V_EEDaS1Q_S1R_EUlS1Q_E_NS1_11comp_targetILNS1_3genE4ELNS1_11target_archE910ELNS1_3gpuE8ELNS1_3repE0EEENS1_30default_config_static_selectorELNS0_4arch9wavefront6targetE1EEEvS13_
; %bb.0:
	.section	.rodata,"a",@progbits
	.p2align	6, 0x0
	.amdhsa_kernel _ZN7rocprim17ROCPRIM_400000_NS6detail17trampoline_kernelINS0_13select_configILj256ELj13ELNS0_17block_load_methodE3ELS4_3ELS4_3ELNS0_20block_scan_algorithmE0ELj4294967295EEENS1_25partition_config_selectorILNS1_17partition_subalgoE4EjNS0_10empty_typeEbEEZZNS1_14partition_implILS8_4ELb0ES6_15HIP_vector_typeIjLj2EENS0_17counting_iteratorIjlEEPS9_SG_NS0_5tupleIJPjSI_NS0_16reverse_iteratorISI_EEEEENSH_IJSG_SG_SG_EEES9_SI_JZNS1_25segmented_radix_sort_implINS0_14default_configELb0EPK12hip_bfloat16PSP_PKlPlN2at6native12_GLOBAL__N_18offset_tEEE10hipError_tPvRmT1_PNSt15iterator_traitsIS13_E10value_typeET2_T3_PNS14_IS19_E10value_typeET4_jRbjT5_S1F_jjP12ihipStream_tbEUljE_ZNSN_ISO_Lb0ESR_SS_SU_SV_SZ_EES10_S11_S12_S13_S17_S18_S19_S1C_S1D_jS1E_jS1F_S1F_jjS1H_bEUljE0_EEES10_S11_S12_S19_S1D_S1F_T6_T7_T9_mT8_S1H_bDpT10_ENKUlT_T0_E_clISt17integral_constantIbLb0EES1V_EEDaS1Q_S1R_EUlS1Q_E_NS1_11comp_targetILNS1_3genE4ELNS1_11target_archE910ELNS1_3gpuE8ELNS1_3repE0EEENS1_30default_config_static_selectorELNS0_4arch9wavefront6targetE1EEEvS13_
		.amdhsa_group_segment_fixed_size 0
		.amdhsa_private_segment_fixed_size 0
		.amdhsa_kernarg_size 176
		.amdhsa_user_sgpr_count 6
		.amdhsa_user_sgpr_private_segment_buffer 1
		.amdhsa_user_sgpr_dispatch_ptr 0
		.amdhsa_user_sgpr_queue_ptr 0
		.amdhsa_user_sgpr_kernarg_segment_ptr 1
		.amdhsa_user_sgpr_dispatch_id 0
		.amdhsa_user_sgpr_flat_scratch_init 0
		.amdhsa_user_sgpr_private_segment_size 0
		.amdhsa_uses_dynamic_stack 0
		.amdhsa_system_sgpr_private_segment_wavefront_offset 0
		.amdhsa_system_sgpr_workgroup_id_x 1
		.amdhsa_system_sgpr_workgroup_id_y 0
		.amdhsa_system_sgpr_workgroup_id_z 0
		.amdhsa_system_sgpr_workgroup_info 0
		.amdhsa_system_vgpr_workitem_id 0
		.amdhsa_next_free_vgpr 1
		.amdhsa_next_free_sgpr 0
		.amdhsa_reserve_vcc 0
		.amdhsa_reserve_flat_scratch 0
		.amdhsa_float_round_mode_32 0
		.amdhsa_float_round_mode_16_64 0
		.amdhsa_float_denorm_mode_32 3
		.amdhsa_float_denorm_mode_16_64 3
		.amdhsa_dx10_clamp 1
		.amdhsa_ieee_mode 1
		.amdhsa_fp16_overflow 0
		.amdhsa_exception_fp_ieee_invalid_op 0
		.amdhsa_exception_fp_denorm_src 0
		.amdhsa_exception_fp_ieee_div_zero 0
		.amdhsa_exception_fp_ieee_overflow 0
		.amdhsa_exception_fp_ieee_underflow 0
		.amdhsa_exception_fp_ieee_inexact 0
		.amdhsa_exception_int_div_zero 0
	.end_amdhsa_kernel
	.section	.text._ZN7rocprim17ROCPRIM_400000_NS6detail17trampoline_kernelINS0_13select_configILj256ELj13ELNS0_17block_load_methodE3ELS4_3ELS4_3ELNS0_20block_scan_algorithmE0ELj4294967295EEENS1_25partition_config_selectorILNS1_17partition_subalgoE4EjNS0_10empty_typeEbEEZZNS1_14partition_implILS8_4ELb0ES6_15HIP_vector_typeIjLj2EENS0_17counting_iteratorIjlEEPS9_SG_NS0_5tupleIJPjSI_NS0_16reverse_iteratorISI_EEEEENSH_IJSG_SG_SG_EEES9_SI_JZNS1_25segmented_radix_sort_implINS0_14default_configELb0EPK12hip_bfloat16PSP_PKlPlN2at6native12_GLOBAL__N_18offset_tEEE10hipError_tPvRmT1_PNSt15iterator_traitsIS13_E10value_typeET2_T3_PNS14_IS19_E10value_typeET4_jRbjT5_S1F_jjP12ihipStream_tbEUljE_ZNSN_ISO_Lb0ESR_SS_SU_SV_SZ_EES10_S11_S12_S13_S17_S18_S19_S1C_S1D_jS1E_jS1F_S1F_jjS1H_bEUljE0_EEES10_S11_S12_S19_S1D_S1F_T6_T7_T9_mT8_S1H_bDpT10_ENKUlT_T0_E_clISt17integral_constantIbLb0EES1V_EEDaS1Q_S1R_EUlS1Q_E_NS1_11comp_targetILNS1_3genE4ELNS1_11target_archE910ELNS1_3gpuE8ELNS1_3repE0EEENS1_30default_config_static_selectorELNS0_4arch9wavefront6targetE1EEEvS13_,"axG",@progbits,_ZN7rocprim17ROCPRIM_400000_NS6detail17trampoline_kernelINS0_13select_configILj256ELj13ELNS0_17block_load_methodE3ELS4_3ELS4_3ELNS0_20block_scan_algorithmE0ELj4294967295EEENS1_25partition_config_selectorILNS1_17partition_subalgoE4EjNS0_10empty_typeEbEEZZNS1_14partition_implILS8_4ELb0ES6_15HIP_vector_typeIjLj2EENS0_17counting_iteratorIjlEEPS9_SG_NS0_5tupleIJPjSI_NS0_16reverse_iteratorISI_EEEEENSH_IJSG_SG_SG_EEES9_SI_JZNS1_25segmented_radix_sort_implINS0_14default_configELb0EPK12hip_bfloat16PSP_PKlPlN2at6native12_GLOBAL__N_18offset_tEEE10hipError_tPvRmT1_PNSt15iterator_traitsIS13_E10value_typeET2_T3_PNS14_IS19_E10value_typeET4_jRbjT5_S1F_jjP12ihipStream_tbEUljE_ZNSN_ISO_Lb0ESR_SS_SU_SV_SZ_EES10_S11_S12_S13_S17_S18_S19_S1C_S1D_jS1E_jS1F_S1F_jjS1H_bEUljE0_EEES10_S11_S12_S19_S1D_S1F_T6_T7_T9_mT8_S1H_bDpT10_ENKUlT_T0_E_clISt17integral_constantIbLb0EES1V_EEDaS1Q_S1R_EUlS1Q_E_NS1_11comp_targetILNS1_3genE4ELNS1_11target_archE910ELNS1_3gpuE8ELNS1_3repE0EEENS1_30default_config_static_selectorELNS0_4arch9wavefront6targetE1EEEvS13_,comdat
.Lfunc_end1987:
	.size	_ZN7rocprim17ROCPRIM_400000_NS6detail17trampoline_kernelINS0_13select_configILj256ELj13ELNS0_17block_load_methodE3ELS4_3ELS4_3ELNS0_20block_scan_algorithmE0ELj4294967295EEENS1_25partition_config_selectorILNS1_17partition_subalgoE4EjNS0_10empty_typeEbEEZZNS1_14partition_implILS8_4ELb0ES6_15HIP_vector_typeIjLj2EENS0_17counting_iteratorIjlEEPS9_SG_NS0_5tupleIJPjSI_NS0_16reverse_iteratorISI_EEEEENSH_IJSG_SG_SG_EEES9_SI_JZNS1_25segmented_radix_sort_implINS0_14default_configELb0EPK12hip_bfloat16PSP_PKlPlN2at6native12_GLOBAL__N_18offset_tEEE10hipError_tPvRmT1_PNSt15iterator_traitsIS13_E10value_typeET2_T3_PNS14_IS19_E10value_typeET4_jRbjT5_S1F_jjP12ihipStream_tbEUljE_ZNSN_ISO_Lb0ESR_SS_SU_SV_SZ_EES10_S11_S12_S13_S17_S18_S19_S1C_S1D_jS1E_jS1F_S1F_jjS1H_bEUljE0_EEES10_S11_S12_S19_S1D_S1F_T6_T7_T9_mT8_S1H_bDpT10_ENKUlT_T0_E_clISt17integral_constantIbLb0EES1V_EEDaS1Q_S1R_EUlS1Q_E_NS1_11comp_targetILNS1_3genE4ELNS1_11target_archE910ELNS1_3gpuE8ELNS1_3repE0EEENS1_30default_config_static_selectorELNS0_4arch9wavefront6targetE1EEEvS13_, .Lfunc_end1987-_ZN7rocprim17ROCPRIM_400000_NS6detail17trampoline_kernelINS0_13select_configILj256ELj13ELNS0_17block_load_methodE3ELS4_3ELS4_3ELNS0_20block_scan_algorithmE0ELj4294967295EEENS1_25partition_config_selectorILNS1_17partition_subalgoE4EjNS0_10empty_typeEbEEZZNS1_14partition_implILS8_4ELb0ES6_15HIP_vector_typeIjLj2EENS0_17counting_iteratorIjlEEPS9_SG_NS0_5tupleIJPjSI_NS0_16reverse_iteratorISI_EEEEENSH_IJSG_SG_SG_EEES9_SI_JZNS1_25segmented_radix_sort_implINS0_14default_configELb0EPK12hip_bfloat16PSP_PKlPlN2at6native12_GLOBAL__N_18offset_tEEE10hipError_tPvRmT1_PNSt15iterator_traitsIS13_E10value_typeET2_T3_PNS14_IS19_E10value_typeET4_jRbjT5_S1F_jjP12ihipStream_tbEUljE_ZNSN_ISO_Lb0ESR_SS_SU_SV_SZ_EES10_S11_S12_S13_S17_S18_S19_S1C_S1D_jS1E_jS1F_S1F_jjS1H_bEUljE0_EEES10_S11_S12_S19_S1D_S1F_T6_T7_T9_mT8_S1H_bDpT10_ENKUlT_T0_E_clISt17integral_constantIbLb0EES1V_EEDaS1Q_S1R_EUlS1Q_E_NS1_11comp_targetILNS1_3genE4ELNS1_11target_archE910ELNS1_3gpuE8ELNS1_3repE0EEENS1_30default_config_static_selectorELNS0_4arch9wavefront6targetE1EEEvS13_
                                        ; -- End function
	.set _ZN7rocprim17ROCPRIM_400000_NS6detail17trampoline_kernelINS0_13select_configILj256ELj13ELNS0_17block_load_methodE3ELS4_3ELS4_3ELNS0_20block_scan_algorithmE0ELj4294967295EEENS1_25partition_config_selectorILNS1_17partition_subalgoE4EjNS0_10empty_typeEbEEZZNS1_14partition_implILS8_4ELb0ES6_15HIP_vector_typeIjLj2EENS0_17counting_iteratorIjlEEPS9_SG_NS0_5tupleIJPjSI_NS0_16reverse_iteratorISI_EEEEENSH_IJSG_SG_SG_EEES9_SI_JZNS1_25segmented_radix_sort_implINS0_14default_configELb0EPK12hip_bfloat16PSP_PKlPlN2at6native12_GLOBAL__N_18offset_tEEE10hipError_tPvRmT1_PNSt15iterator_traitsIS13_E10value_typeET2_T3_PNS14_IS19_E10value_typeET4_jRbjT5_S1F_jjP12ihipStream_tbEUljE_ZNSN_ISO_Lb0ESR_SS_SU_SV_SZ_EES10_S11_S12_S13_S17_S18_S19_S1C_S1D_jS1E_jS1F_S1F_jjS1H_bEUljE0_EEES10_S11_S12_S19_S1D_S1F_T6_T7_T9_mT8_S1H_bDpT10_ENKUlT_T0_E_clISt17integral_constantIbLb0EES1V_EEDaS1Q_S1R_EUlS1Q_E_NS1_11comp_targetILNS1_3genE4ELNS1_11target_archE910ELNS1_3gpuE8ELNS1_3repE0EEENS1_30default_config_static_selectorELNS0_4arch9wavefront6targetE1EEEvS13_.num_vgpr, 0
	.set _ZN7rocprim17ROCPRIM_400000_NS6detail17trampoline_kernelINS0_13select_configILj256ELj13ELNS0_17block_load_methodE3ELS4_3ELS4_3ELNS0_20block_scan_algorithmE0ELj4294967295EEENS1_25partition_config_selectorILNS1_17partition_subalgoE4EjNS0_10empty_typeEbEEZZNS1_14partition_implILS8_4ELb0ES6_15HIP_vector_typeIjLj2EENS0_17counting_iteratorIjlEEPS9_SG_NS0_5tupleIJPjSI_NS0_16reverse_iteratorISI_EEEEENSH_IJSG_SG_SG_EEES9_SI_JZNS1_25segmented_radix_sort_implINS0_14default_configELb0EPK12hip_bfloat16PSP_PKlPlN2at6native12_GLOBAL__N_18offset_tEEE10hipError_tPvRmT1_PNSt15iterator_traitsIS13_E10value_typeET2_T3_PNS14_IS19_E10value_typeET4_jRbjT5_S1F_jjP12ihipStream_tbEUljE_ZNSN_ISO_Lb0ESR_SS_SU_SV_SZ_EES10_S11_S12_S13_S17_S18_S19_S1C_S1D_jS1E_jS1F_S1F_jjS1H_bEUljE0_EEES10_S11_S12_S19_S1D_S1F_T6_T7_T9_mT8_S1H_bDpT10_ENKUlT_T0_E_clISt17integral_constantIbLb0EES1V_EEDaS1Q_S1R_EUlS1Q_E_NS1_11comp_targetILNS1_3genE4ELNS1_11target_archE910ELNS1_3gpuE8ELNS1_3repE0EEENS1_30default_config_static_selectorELNS0_4arch9wavefront6targetE1EEEvS13_.num_agpr, 0
	.set _ZN7rocprim17ROCPRIM_400000_NS6detail17trampoline_kernelINS0_13select_configILj256ELj13ELNS0_17block_load_methodE3ELS4_3ELS4_3ELNS0_20block_scan_algorithmE0ELj4294967295EEENS1_25partition_config_selectorILNS1_17partition_subalgoE4EjNS0_10empty_typeEbEEZZNS1_14partition_implILS8_4ELb0ES6_15HIP_vector_typeIjLj2EENS0_17counting_iteratorIjlEEPS9_SG_NS0_5tupleIJPjSI_NS0_16reverse_iteratorISI_EEEEENSH_IJSG_SG_SG_EEES9_SI_JZNS1_25segmented_radix_sort_implINS0_14default_configELb0EPK12hip_bfloat16PSP_PKlPlN2at6native12_GLOBAL__N_18offset_tEEE10hipError_tPvRmT1_PNSt15iterator_traitsIS13_E10value_typeET2_T3_PNS14_IS19_E10value_typeET4_jRbjT5_S1F_jjP12ihipStream_tbEUljE_ZNSN_ISO_Lb0ESR_SS_SU_SV_SZ_EES10_S11_S12_S13_S17_S18_S19_S1C_S1D_jS1E_jS1F_S1F_jjS1H_bEUljE0_EEES10_S11_S12_S19_S1D_S1F_T6_T7_T9_mT8_S1H_bDpT10_ENKUlT_T0_E_clISt17integral_constantIbLb0EES1V_EEDaS1Q_S1R_EUlS1Q_E_NS1_11comp_targetILNS1_3genE4ELNS1_11target_archE910ELNS1_3gpuE8ELNS1_3repE0EEENS1_30default_config_static_selectorELNS0_4arch9wavefront6targetE1EEEvS13_.numbered_sgpr, 0
	.set _ZN7rocprim17ROCPRIM_400000_NS6detail17trampoline_kernelINS0_13select_configILj256ELj13ELNS0_17block_load_methodE3ELS4_3ELS4_3ELNS0_20block_scan_algorithmE0ELj4294967295EEENS1_25partition_config_selectorILNS1_17partition_subalgoE4EjNS0_10empty_typeEbEEZZNS1_14partition_implILS8_4ELb0ES6_15HIP_vector_typeIjLj2EENS0_17counting_iteratorIjlEEPS9_SG_NS0_5tupleIJPjSI_NS0_16reverse_iteratorISI_EEEEENSH_IJSG_SG_SG_EEES9_SI_JZNS1_25segmented_radix_sort_implINS0_14default_configELb0EPK12hip_bfloat16PSP_PKlPlN2at6native12_GLOBAL__N_18offset_tEEE10hipError_tPvRmT1_PNSt15iterator_traitsIS13_E10value_typeET2_T3_PNS14_IS19_E10value_typeET4_jRbjT5_S1F_jjP12ihipStream_tbEUljE_ZNSN_ISO_Lb0ESR_SS_SU_SV_SZ_EES10_S11_S12_S13_S17_S18_S19_S1C_S1D_jS1E_jS1F_S1F_jjS1H_bEUljE0_EEES10_S11_S12_S19_S1D_S1F_T6_T7_T9_mT8_S1H_bDpT10_ENKUlT_T0_E_clISt17integral_constantIbLb0EES1V_EEDaS1Q_S1R_EUlS1Q_E_NS1_11comp_targetILNS1_3genE4ELNS1_11target_archE910ELNS1_3gpuE8ELNS1_3repE0EEENS1_30default_config_static_selectorELNS0_4arch9wavefront6targetE1EEEvS13_.num_named_barrier, 0
	.set _ZN7rocprim17ROCPRIM_400000_NS6detail17trampoline_kernelINS0_13select_configILj256ELj13ELNS0_17block_load_methodE3ELS4_3ELS4_3ELNS0_20block_scan_algorithmE0ELj4294967295EEENS1_25partition_config_selectorILNS1_17partition_subalgoE4EjNS0_10empty_typeEbEEZZNS1_14partition_implILS8_4ELb0ES6_15HIP_vector_typeIjLj2EENS0_17counting_iteratorIjlEEPS9_SG_NS0_5tupleIJPjSI_NS0_16reverse_iteratorISI_EEEEENSH_IJSG_SG_SG_EEES9_SI_JZNS1_25segmented_radix_sort_implINS0_14default_configELb0EPK12hip_bfloat16PSP_PKlPlN2at6native12_GLOBAL__N_18offset_tEEE10hipError_tPvRmT1_PNSt15iterator_traitsIS13_E10value_typeET2_T3_PNS14_IS19_E10value_typeET4_jRbjT5_S1F_jjP12ihipStream_tbEUljE_ZNSN_ISO_Lb0ESR_SS_SU_SV_SZ_EES10_S11_S12_S13_S17_S18_S19_S1C_S1D_jS1E_jS1F_S1F_jjS1H_bEUljE0_EEES10_S11_S12_S19_S1D_S1F_T6_T7_T9_mT8_S1H_bDpT10_ENKUlT_T0_E_clISt17integral_constantIbLb0EES1V_EEDaS1Q_S1R_EUlS1Q_E_NS1_11comp_targetILNS1_3genE4ELNS1_11target_archE910ELNS1_3gpuE8ELNS1_3repE0EEENS1_30default_config_static_selectorELNS0_4arch9wavefront6targetE1EEEvS13_.private_seg_size, 0
	.set _ZN7rocprim17ROCPRIM_400000_NS6detail17trampoline_kernelINS0_13select_configILj256ELj13ELNS0_17block_load_methodE3ELS4_3ELS4_3ELNS0_20block_scan_algorithmE0ELj4294967295EEENS1_25partition_config_selectorILNS1_17partition_subalgoE4EjNS0_10empty_typeEbEEZZNS1_14partition_implILS8_4ELb0ES6_15HIP_vector_typeIjLj2EENS0_17counting_iteratorIjlEEPS9_SG_NS0_5tupleIJPjSI_NS0_16reverse_iteratorISI_EEEEENSH_IJSG_SG_SG_EEES9_SI_JZNS1_25segmented_radix_sort_implINS0_14default_configELb0EPK12hip_bfloat16PSP_PKlPlN2at6native12_GLOBAL__N_18offset_tEEE10hipError_tPvRmT1_PNSt15iterator_traitsIS13_E10value_typeET2_T3_PNS14_IS19_E10value_typeET4_jRbjT5_S1F_jjP12ihipStream_tbEUljE_ZNSN_ISO_Lb0ESR_SS_SU_SV_SZ_EES10_S11_S12_S13_S17_S18_S19_S1C_S1D_jS1E_jS1F_S1F_jjS1H_bEUljE0_EEES10_S11_S12_S19_S1D_S1F_T6_T7_T9_mT8_S1H_bDpT10_ENKUlT_T0_E_clISt17integral_constantIbLb0EES1V_EEDaS1Q_S1R_EUlS1Q_E_NS1_11comp_targetILNS1_3genE4ELNS1_11target_archE910ELNS1_3gpuE8ELNS1_3repE0EEENS1_30default_config_static_selectorELNS0_4arch9wavefront6targetE1EEEvS13_.uses_vcc, 0
	.set _ZN7rocprim17ROCPRIM_400000_NS6detail17trampoline_kernelINS0_13select_configILj256ELj13ELNS0_17block_load_methodE3ELS4_3ELS4_3ELNS0_20block_scan_algorithmE0ELj4294967295EEENS1_25partition_config_selectorILNS1_17partition_subalgoE4EjNS0_10empty_typeEbEEZZNS1_14partition_implILS8_4ELb0ES6_15HIP_vector_typeIjLj2EENS0_17counting_iteratorIjlEEPS9_SG_NS0_5tupleIJPjSI_NS0_16reverse_iteratorISI_EEEEENSH_IJSG_SG_SG_EEES9_SI_JZNS1_25segmented_radix_sort_implINS0_14default_configELb0EPK12hip_bfloat16PSP_PKlPlN2at6native12_GLOBAL__N_18offset_tEEE10hipError_tPvRmT1_PNSt15iterator_traitsIS13_E10value_typeET2_T3_PNS14_IS19_E10value_typeET4_jRbjT5_S1F_jjP12ihipStream_tbEUljE_ZNSN_ISO_Lb0ESR_SS_SU_SV_SZ_EES10_S11_S12_S13_S17_S18_S19_S1C_S1D_jS1E_jS1F_S1F_jjS1H_bEUljE0_EEES10_S11_S12_S19_S1D_S1F_T6_T7_T9_mT8_S1H_bDpT10_ENKUlT_T0_E_clISt17integral_constantIbLb0EES1V_EEDaS1Q_S1R_EUlS1Q_E_NS1_11comp_targetILNS1_3genE4ELNS1_11target_archE910ELNS1_3gpuE8ELNS1_3repE0EEENS1_30default_config_static_selectorELNS0_4arch9wavefront6targetE1EEEvS13_.uses_flat_scratch, 0
	.set _ZN7rocprim17ROCPRIM_400000_NS6detail17trampoline_kernelINS0_13select_configILj256ELj13ELNS0_17block_load_methodE3ELS4_3ELS4_3ELNS0_20block_scan_algorithmE0ELj4294967295EEENS1_25partition_config_selectorILNS1_17partition_subalgoE4EjNS0_10empty_typeEbEEZZNS1_14partition_implILS8_4ELb0ES6_15HIP_vector_typeIjLj2EENS0_17counting_iteratorIjlEEPS9_SG_NS0_5tupleIJPjSI_NS0_16reverse_iteratorISI_EEEEENSH_IJSG_SG_SG_EEES9_SI_JZNS1_25segmented_radix_sort_implINS0_14default_configELb0EPK12hip_bfloat16PSP_PKlPlN2at6native12_GLOBAL__N_18offset_tEEE10hipError_tPvRmT1_PNSt15iterator_traitsIS13_E10value_typeET2_T3_PNS14_IS19_E10value_typeET4_jRbjT5_S1F_jjP12ihipStream_tbEUljE_ZNSN_ISO_Lb0ESR_SS_SU_SV_SZ_EES10_S11_S12_S13_S17_S18_S19_S1C_S1D_jS1E_jS1F_S1F_jjS1H_bEUljE0_EEES10_S11_S12_S19_S1D_S1F_T6_T7_T9_mT8_S1H_bDpT10_ENKUlT_T0_E_clISt17integral_constantIbLb0EES1V_EEDaS1Q_S1R_EUlS1Q_E_NS1_11comp_targetILNS1_3genE4ELNS1_11target_archE910ELNS1_3gpuE8ELNS1_3repE0EEENS1_30default_config_static_selectorELNS0_4arch9wavefront6targetE1EEEvS13_.has_dyn_sized_stack, 0
	.set _ZN7rocprim17ROCPRIM_400000_NS6detail17trampoline_kernelINS0_13select_configILj256ELj13ELNS0_17block_load_methodE3ELS4_3ELS4_3ELNS0_20block_scan_algorithmE0ELj4294967295EEENS1_25partition_config_selectorILNS1_17partition_subalgoE4EjNS0_10empty_typeEbEEZZNS1_14partition_implILS8_4ELb0ES6_15HIP_vector_typeIjLj2EENS0_17counting_iteratorIjlEEPS9_SG_NS0_5tupleIJPjSI_NS0_16reverse_iteratorISI_EEEEENSH_IJSG_SG_SG_EEES9_SI_JZNS1_25segmented_radix_sort_implINS0_14default_configELb0EPK12hip_bfloat16PSP_PKlPlN2at6native12_GLOBAL__N_18offset_tEEE10hipError_tPvRmT1_PNSt15iterator_traitsIS13_E10value_typeET2_T3_PNS14_IS19_E10value_typeET4_jRbjT5_S1F_jjP12ihipStream_tbEUljE_ZNSN_ISO_Lb0ESR_SS_SU_SV_SZ_EES10_S11_S12_S13_S17_S18_S19_S1C_S1D_jS1E_jS1F_S1F_jjS1H_bEUljE0_EEES10_S11_S12_S19_S1D_S1F_T6_T7_T9_mT8_S1H_bDpT10_ENKUlT_T0_E_clISt17integral_constantIbLb0EES1V_EEDaS1Q_S1R_EUlS1Q_E_NS1_11comp_targetILNS1_3genE4ELNS1_11target_archE910ELNS1_3gpuE8ELNS1_3repE0EEENS1_30default_config_static_selectorELNS0_4arch9wavefront6targetE1EEEvS13_.has_recursion, 0
	.set _ZN7rocprim17ROCPRIM_400000_NS6detail17trampoline_kernelINS0_13select_configILj256ELj13ELNS0_17block_load_methodE3ELS4_3ELS4_3ELNS0_20block_scan_algorithmE0ELj4294967295EEENS1_25partition_config_selectorILNS1_17partition_subalgoE4EjNS0_10empty_typeEbEEZZNS1_14partition_implILS8_4ELb0ES6_15HIP_vector_typeIjLj2EENS0_17counting_iteratorIjlEEPS9_SG_NS0_5tupleIJPjSI_NS0_16reverse_iteratorISI_EEEEENSH_IJSG_SG_SG_EEES9_SI_JZNS1_25segmented_radix_sort_implINS0_14default_configELb0EPK12hip_bfloat16PSP_PKlPlN2at6native12_GLOBAL__N_18offset_tEEE10hipError_tPvRmT1_PNSt15iterator_traitsIS13_E10value_typeET2_T3_PNS14_IS19_E10value_typeET4_jRbjT5_S1F_jjP12ihipStream_tbEUljE_ZNSN_ISO_Lb0ESR_SS_SU_SV_SZ_EES10_S11_S12_S13_S17_S18_S19_S1C_S1D_jS1E_jS1F_S1F_jjS1H_bEUljE0_EEES10_S11_S12_S19_S1D_S1F_T6_T7_T9_mT8_S1H_bDpT10_ENKUlT_T0_E_clISt17integral_constantIbLb0EES1V_EEDaS1Q_S1R_EUlS1Q_E_NS1_11comp_targetILNS1_3genE4ELNS1_11target_archE910ELNS1_3gpuE8ELNS1_3repE0EEENS1_30default_config_static_selectorELNS0_4arch9wavefront6targetE1EEEvS13_.has_indirect_call, 0
	.section	.AMDGPU.csdata,"",@progbits
; Kernel info:
; codeLenInByte = 0
; TotalNumSgprs: 4
; NumVgprs: 0
; ScratchSize: 0
; MemoryBound: 0
; FloatMode: 240
; IeeeMode: 1
; LDSByteSize: 0 bytes/workgroup (compile time only)
; SGPRBlocks: 0
; VGPRBlocks: 0
; NumSGPRsForWavesPerEU: 4
; NumVGPRsForWavesPerEU: 1
; Occupancy: 10
; WaveLimiterHint : 0
; COMPUTE_PGM_RSRC2:SCRATCH_EN: 0
; COMPUTE_PGM_RSRC2:USER_SGPR: 6
; COMPUTE_PGM_RSRC2:TRAP_HANDLER: 0
; COMPUTE_PGM_RSRC2:TGID_X_EN: 1
; COMPUTE_PGM_RSRC2:TGID_Y_EN: 0
; COMPUTE_PGM_RSRC2:TGID_Z_EN: 0
; COMPUTE_PGM_RSRC2:TIDIG_COMP_CNT: 0
	.section	.text._ZN7rocprim17ROCPRIM_400000_NS6detail17trampoline_kernelINS0_13select_configILj256ELj13ELNS0_17block_load_methodE3ELS4_3ELS4_3ELNS0_20block_scan_algorithmE0ELj4294967295EEENS1_25partition_config_selectorILNS1_17partition_subalgoE4EjNS0_10empty_typeEbEEZZNS1_14partition_implILS8_4ELb0ES6_15HIP_vector_typeIjLj2EENS0_17counting_iteratorIjlEEPS9_SG_NS0_5tupleIJPjSI_NS0_16reverse_iteratorISI_EEEEENSH_IJSG_SG_SG_EEES9_SI_JZNS1_25segmented_radix_sort_implINS0_14default_configELb0EPK12hip_bfloat16PSP_PKlPlN2at6native12_GLOBAL__N_18offset_tEEE10hipError_tPvRmT1_PNSt15iterator_traitsIS13_E10value_typeET2_T3_PNS14_IS19_E10value_typeET4_jRbjT5_S1F_jjP12ihipStream_tbEUljE_ZNSN_ISO_Lb0ESR_SS_SU_SV_SZ_EES10_S11_S12_S13_S17_S18_S19_S1C_S1D_jS1E_jS1F_S1F_jjS1H_bEUljE0_EEES10_S11_S12_S19_S1D_S1F_T6_T7_T9_mT8_S1H_bDpT10_ENKUlT_T0_E_clISt17integral_constantIbLb0EES1V_EEDaS1Q_S1R_EUlS1Q_E_NS1_11comp_targetILNS1_3genE3ELNS1_11target_archE908ELNS1_3gpuE7ELNS1_3repE0EEENS1_30default_config_static_selectorELNS0_4arch9wavefront6targetE1EEEvS13_,"axG",@progbits,_ZN7rocprim17ROCPRIM_400000_NS6detail17trampoline_kernelINS0_13select_configILj256ELj13ELNS0_17block_load_methodE3ELS4_3ELS4_3ELNS0_20block_scan_algorithmE0ELj4294967295EEENS1_25partition_config_selectorILNS1_17partition_subalgoE4EjNS0_10empty_typeEbEEZZNS1_14partition_implILS8_4ELb0ES6_15HIP_vector_typeIjLj2EENS0_17counting_iteratorIjlEEPS9_SG_NS0_5tupleIJPjSI_NS0_16reverse_iteratorISI_EEEEENSH_IJSG_SG_SG_EEES9_SI_JZNS1_25segmented_radix_sort_implINS0_14default_configELb0EPK12hip_bfloat16PSP_PKlPlN2at6native12_GLOBAL__N_18offset_tEEE10hipError_tPvRmT1_PNSt15iterator_traitsIS13_E10value_typeET2_T3_PNS14_IS19_E10value_typeET4_jRbjT5_S1F_jjP12ihipStream_tbEUljE_ZNSN_ISO_Lb0ESR_SS_SU_SV_SZ_EES10_S11_S12_S13_S17_S18_S19_S1C_S1D_jS1E_jS1F_S1F_jjS1H_bEUljE0_EEES10_S11_S12_S19_S1D_S1F_T6_T7_T9_mT8_S1H_bDpT10_ENKUlT_T0_E_clISt17integral_constantIbLb0EES1V_EEDaS1Q_S1R_EUlS1Q_E_NS1_11comp_targetILNS1_3genE3ELNS1_11target_archE908ELNS1_3gpuE7ELNS1_3repE0EEENS1_30default_config_static_selectorELNS0_4arch9wavefront6targetE1EEEvS13_,comdat
	.globl	_ZN7rocprim17ROCPRIM_400000_NS6detail17trampoline_kernelINS0_13select_configILj256ELj13ELNS0_17block_load_methodE3ELS4_3ELS4_3ELNS0_20block_scan_algorithmE0ELj4294967295EEENS1_25partition_config_selectorILNS1_17partition_subalgoE4EjNS0_10empty_typeEbEEZZNS1_14partition_implILS8_4ELb0ES6_15HIP_vector_typeIjLj2EENS0_17counting_iteratorIjlEEPS9_SG_NS0_5tupleIJPjSI_NS0_16reverse_iteratorISI_EEEEENSH_IJSG_SG_SG_EEES9_SI_JZNS1_25segmented_radix_sort_implINS0_14default_configELb0EPK12hip_bfloat16PSP_PKlPlN2at6native12_GLOBAL__N_18offset_tEEE10hipError_tPvRmT1_PNSt15iterator_traitsIS13_E10value_typeET2_T3_PNS14_IS19_E10value_typeET4_jRbjT5_S1F_jjP12ihipStream_tbEUljE_ZNSN_ISO_Lb0ESR_SS_SU_SV_SZ_EES10_S11_S12_S13_S17_S18_S19_S1C_S1D_jS1E_jS1F_S1F_jjS1H_bEUljE0_EEES10_S11_S12_S19_S1D_S1F_T6_T7_T9_mT8_S1H_bDpT10_ENKUlT_T0_E_clISt17integral_constantIbLb0EES1V_EEDaS1Q_S1R_EUlS1Q_E_NS1_11comp_targetILNS1_3genE3ELNS1_11target_archE908ELNS1_3gpuE7ELNS1_3repE0EEENS1_30default_config_static_selectorELNS0_4arch9wavefront6targetE1EEEvS13_ ; -- Begin function _ZN7rocprim17ROCPRIM_400000_NS6detail17trampoline_kernelINS0_13select_configILj256ELj13ELNS0_17block_load_methodE3ELS4_3ELS4_3ELNS0_20block_scan_algorithmE0ELj4294967295EEENS1_25partition_config_selectorILNS1_17partition_subalgoE4EjNS0_10empty_typeEbEEZZNS1_14partition_implILS8_4ELb0ES6_15HIP_vector_typeIjLj2EENS0_17counting_iteratorIjlEEPS9_SG_NS0_5tupleIJPjSI_NS0_16reverse_iteratorISI_EEEEENSH_IJSG_SG_SG_EEES9_SI_JZNS1_25segmented_radix_sort_implINS0_14default_configELb0EPK12hip_bfloat16PSP_PKlPlN2at6native12_GLOBAL__N_18offset_tEEE10hipError_tPvRmT1_PNSt15iterator_traitsIS13_E10value_typeET2_T3_PNS14_IS19_E10value_typeET4_jRbjT5_S1F_jjP12ihipStream_tbEUljE_ZNSN_ISO_Lb0ESR_SS_SU_SV_SZ_EES10_S11_S12_S13_S17_S18_S19_S1C_S1D_jS1E_jS1F_S1F_jjS1H_bEUljE0_EEES10_S11_S12_S19_S1D_S1F_T6_T7_T9_mT8_S1H_bDpT10_ENKUlT_T0_E_clISt17integral_constantIbLb0EES1V_EEDaS1Q_S1R_EUlS1Q_E_NS1_11comp_targetILNS1_3genE3ELNS1_11target_archE908ELNS1_3gpuE7ELNS1_3repE0EEENS1_30default_config_static_selectorELNS0_4arch9wavefront6targetE1EEEvS13_
	.p2align	8
	.type	_ZN7rocprim17ROCPRIM_400000_NS6detail17trampoline_kernelINS0_13select_configILj256ELj13ELNS0_17block_load_methodE3ELS4_3ELS4_3ELNS0_20block_scan_algorithmE0ELj4294967295EEENS1_25partition_config_selectorILNS1_17partition_subalgoE4EjNS0_10empty_typeEbEEZZNS1_14partition_implILS8_4ELb0ES6_15HIP_vector_typeIjLj2EENS0_17counting_iteratorIjlEEPS9_SG_NS0_5tupleIJPjSI_NS0_16reverse_iteratorISI_EEEEENSH_IJSG_SG_SG_EEES9_SI_JZNS1_25segmented_radix_sort_implINS0_14default_configELb0EPK12hip_bfloat16PSP_PKlPlN2at6native12_GLOBAL__N_18offset_tEEE10hipError_tPvRmT1_PNSt15iterator_traitsIS13_E10value_typeET2_T3_PNS14_IS19_E10value_typeET4_jRbjT5_S1F_jjP12ihipStream_tbEUljE_ZNSN_ISO_Lb0ESR_SS_SU_SV_SZ_EES10_S11_S12_S13_S17_S18_S19_S1C_S1D_jS1E_jS1F_S1F_jjS1H_bEUljE0_EEES10_S11_S12_S19_S1D_S1F_T6_T7_T9_mT8_S1H_bDpT10_ENKUlT_T0_E_clISt17integral_constantIbLb0EES1V_EEDaS1Q_S1R_EUlS1Q_E_NS1_11comp_targetILNS1_3genE3ELNS1_11target_archE908ELNS1_3gpuE7ELNS1_3repE0EEENS1_30default_config_static_selectorELNS0_4arch9wavefront6targetE1EEEvS13_,@function
_ZN7rocprim17ROCPRIM_400000_NS6detail17trampoline_kernelINS0_13select_configILj256ELj13ELNS0_17block_load_methodE3ELS4_3ELS4_3ELNS0_20block_scan_algorithmE0ELj4294967295EEENS1_25partition_config_selectorILNS1_17partition_subalgoE4EjNS0_10empty_typeEbEEZZNS1_14partition_implILS8_4ELb0ES6_15HIP_vector_typeIjLj2EENS0_17counting_iteratorIjlEEPS9_SG_NS0_5tupleIJPjSI_NS0_16reverse_iteratorISI_EEEEENSH_IJSG_SG_SG_EEES9_SI_JZNS1_25segmented_radix_sort_implINS0_14default_configELb0EPK12hip_bfloat16PSP_PKlPlN2at6native12_GLOBAL__N_18offset_tEEE10hipError_tPvRmT1_PNSt15iterator_traitsIS13_E10value_typeET2_T3_PNS14_IS19_E10value_typeET4_jRbjT5_S1F_jjP12ihipStream_tbEUljE_ZNSN_ISO_Lb0ESR_SS_SU_SV_SZ_EES10_S11_S12_S13_S17_S18_S19_S1C_S1D_jS1E_jS1F_S1F_jjS1H_bEUljE0_EEES10_S11_S12_S19_S1D_S1F_T6_T7_T9_mT8_S1H_bDpT10_ENKUlT_T0_E_clISt17integral_constantIbLb0EES1V_EEDaS1Q_S1R_EUlS1Q_E_NS1_11comp_targetILNS1_3genE3ELNS1_11target_archE908ELNS1_3gpuE7ELNS1_3repE0EEENS1_30default_config_static_selectorELNS0_4arch9wavefront6targetE1EEEvS13_: ; @_ZN7rocprim17ROCPRIM_400000_NS6detail17trampoline_kernelINS0_13select_configILj256ELj13ELNS0_17block_load_methodE3ELS4_3ELS4_3ELNS0_20block_scan_algorithmE0ELj4294967295EEENS1_25partition_config_selectorILNS1_17partition_subalgoE4EjNS0_10empty_typeEbEEZZNS1_14partition_implILS8_4ELb0ES6_15HIP_vector_typeIjLj2EENS0_17counting_iteratorIjlEEPS9_SG_NS0_5tupleIJPjSI_NS0_16reverse_iteratorISI_EEEEENSH_IJSG_SG_SG_EEES9_SI_JZNS1_25segmented_radix_sort_implINS0_14default_configELb0EPK12hip_bfloat16PSP_PKlPlN2at6native12_GLOBAL__N_18offset_tEEE10hipError_tPvRmT1_PNSt15iterator_traitsIS13_E10value_typeET2_T3_PNS14_IS19_E10value_typeET4_jRbjT5_S1F_jjP12ihipStream_tbEUljE_ZNSN_ISO_Lb0ESR_SS_SU_SV_SZ_EES10_S11_S12_S13_S17_S18_S19_S1C_S1D_jS1E_jS1F_S1F_jjS1H_bEUljE0_EEES10_S11_S12_S19_S1D_S1F_T6_T7_T9_mT8_S1H_bDpT10_ENKUlT_T0_E_clISt17integral_constantIbLb0EES1V_EEDaS1Q_S1R_EUlS1Q_E_NS1_11comp_targetILNS1_3genE3ELNS1_11target_archE908ELNS1_3gpuE7ELNS1_3repE0EEENS1_30default_config_static_selectorELNS0_4arch9wavefront6targetE1EEEvS13_
; %bb.0:
	.section	.rodata,"a",@progbits
	.p2align	6, 0x0
	.amdhsa_kernel _ZN7rocprim17ROCPRIM_400000_NS6detail17trampoline_kernelINS0_13select_configILj256ELj13ELNS0_17block_load_methodE3ELS4_3ELS4_3ELNS0_20block_scan_algorithmE0ELj4294967295EEENS1_25partition_config_selectorILNS1_17partition_subalgoE4EjNS0_10empty_typeEbEEZZNS1_14partition_implILS8_4ELb0ES6_15HIP_vector_typeIjLj2EENS0_17counting_iteratorIjlEEPS9_SG_NS0_5tupleIJPjSI_NS0_16reverse_iteratorISI_EEEEENSH_IJSG_SG_SG_EEES9_SI_JZNS1_25segmented_radix_sort_implINS0_14default_configELb0EPK12hip_bfloat16PSP_PKlPlN2at6native12_GLOBAL__N_18offset_tEEE10hipError_tPvRmT1_PNSt15iterator_traitsIS13_E10value_typeET2_T3_PNS14_IS19_E10value_typeET4_jRbjT5_S1F_jjP12ihipStream_tbEUljE_ZNSN_ISO_Lb0ESR_SS_SU_SV_SZ_EES10_S11_S12_S13_S17_S18_S19_S1C_S1D_jS1E_jS1F_S1F_jjS1H_bEUljE0_EEES10_S11_S12_S19_S1D_S1F_T6_T7_T9_mT8_S1H_bDpT10_ENKUlT_T0_E_clISt17integral_constantIbLb0EES1V_EEDaS1Q_S1R_EUlS1Q_E_NS1_11comp_targetILNS1_3genE3ELNS1_11target_archE908ELNS1_3gpuE7ELNS1_3repE0EEENS1_30default_config_static_selectorELNS0_4arch9wavefront6targetE1EEEvS13_
		.amdhsa_group_segment_fixed_size 0
		.amdhsa_private_segment_fixed_size 0
		.amdhsa_kernarg_size 176
		.amdhsa_user_sgpr_count 6
		.amdhsa_user_sgpr_private_segment_buffer 1
		.amdhsa_user_sgpr_dispatch_ptr 0
		.amdhsa_user_sgpr_queue_ptr 0
		.amdhsa_user_sgpr_kernarg_segment_ptr 1
		.amdhsa_user_sgpr_dispatch_id 0
		.amdhsa_user_sgpr_flat_scratch_init 0
		.amdhsa_user_sgpr_private_segment_size 0
		.amdhsa_uses_dynamic_stack 0
		.amdhsa_system_sgpr_private_segment_wavefront_offset 0
		.amdhsa_system_sgpr_workgroup_id_x 1
		.amdhsa_system_sgpr_workgroup_id_y 0
		.amdhsa_system_sgpr_workgroup_id_z 0
		.amdhsa_system_sgpr_workgroup_info 0
		.amdhsa_system_vgpr_workitem_id 0
		.amdhsa_next_free_vgpr 1
		.amdhsa_next_free_sgpr 0
		.amdhsa_reserve_vcc 0
		.amdhsa_reserve_flat_scratch 0
		.amdhsa_float_round_mode_32 0
		.amdhsa_float_round_mode_16_64 0
		.amdhsa_float_denorm_mode_32 3
		.amdhsa_float_denorm_mode_16_64 3
		.amdhsa_dx10_clamp 1
		.amdhsa_ieee_mode 1
		.amdhsa_fp16_overflow 0
		.amdhsa_exception_fp_ieee_invalid_op 0
		.amdhsa_exception_fp_denorm_src 0
		.amdhsa_exception_fp_ieee_div_zero 0
		.amdhsa_exception_fp_ieee_overflow 0
		.amdhsa_exception_fp_ieee_underflow 0
		.amdhsa_exception_fp_ieee_inexact 0
		.amdhsa_exception_int_div_zero 0
	.end_amdhsa_kernel
	.section	.text._ZN7rocprim17ROCPRIM_400000_NS6detail17trampoline_kernelINS0_13select_configILj256ELj13ELNS0_17block_load_methodE3ELS4_3ELS4_3ELNS0_20block_scan_algorithmE0ELj4294967295EEENS1_25partition_config_selectorILNS1_17partition_subalgoE4EjNS0_10empty_typeEbEEZZNS1_14partition_implILS8_4ELb0ES6_15HIP_vector_typeIjLj2EENS0_17counting_iteratorIjlEEPS9_SG_NS0_5tupleIJPjSI_NS0_16reverse_iteratorISI_EEEEENSH_IJSG_SG_SG_EEES9_SI_JZNS1_25segmented_radix_sort_implINS0_14default_configELb0EPK12hip_bfloat16PSP_PKlPlN2at6native12_GLOBAL__N_18offset_tEEE10hipError_tPvRmT1_PNSt15iterator_traitsIS13_E10value_typeET2_T3_PNS14_IS19_E10value_typeET4_jRbjT5_S1F_jjP12ihipStream_tbEUljE_ZNSN_ISO_Lb0ESR_SS_SU_SV_SZ_EES10_S11_S12_S13_S17_S18_S19_S1C_S1D_jS1E_jS1F_S1F_jjS1H_bEUljE0_EEES10_S11_S12_S19_S1D_S1F_T6_T7_T9_mT8_S1H_bDpT10_ENKUlT_T0_E_clISt17integral_constantIbLb0EES1V_EEDaS1Q_S1R_EUlS1Q_E_NS1_11comp_targetILNS1_3genE3ELNS1_11target_archE908ELNS1_3gpuE7ELNS1_3repE0EEENS1_30default_config_static_selectorELNS0_4arch9wavefront6targetE1EEEvS13_,"axG",@progbits,_ZN7rocprim17ROCPRIM_400000_NS6detail17trampoline_kernelINS0_13select_configILj256ELj13ELNS0_17block_load_methodE3ELS4_3ELS4_3ELNS0_20block_scan_algorithmE0ELj4294967295EEENS1_25partition_config_selectorILNS1_17partition_subalgoE4EjNS0_10empty_typeEbEEZZNS1_14partition_implILS8_4ELb0ES6_15HIP_vector_typeIjLj2EENS0_17counting_iteratorIjlEEPS9_SG_NS0_5tupleIJPjSI_NS0_16reverse_iteratorISI_EEEEENSH_IJSG_SG_SG_EEES9_SI_JZNS1_25segmented_radix_sort_implINS0_14default_configELb0EPK12hip_bfloat16PSP_PKlPlN2at6native12_GLOBAL__N_18offset_tEEE10hipError_tPvRmT1_PNSt15iterator_traitsIS13_E10value_typeET2_T3_PNS14_IS19_E10value_typeET4_jRbjT5_S1F_jjP12ihipStream_tbEUljE_ZNSN_ISO_Lb0ESR_SS_SU_SV_SZ_EES10_S11_S12_S13_S17_S18_S19_S1C_S1D_jS1E_jS1F_S1F_jjS1H_bEUljE0_EEES10_S11_S12_S19_S1D_S1F_T6_T7_T9_mT8_S1H_bDpT10_ENKUlT_T0_E_clISt17integral_constantIbLb0EES1V_EEDaS1Q_S1R_EUlS1Q_E_NS1_11comp_targetILNS1_3genE3ELNS1_11target_archE908ELNS1_3gpuE7ELNS1_3repE0EEENS1_30default_config_static_selectorELNS0_4arch9wavefront6targetE1EEEvS13_,comdat
.Lfunc_end1988:
	.size	_ZN7rocprim17ROCPRIM_400000_NS6detail17trampoline_kernelINS0_13select_configILj256ELj13ELNS0_17block_load_methodE3ELS4_3ELS4_3ELNS0_20block_scan_algorithmE0ELj4294967295EEENS1_25partition_config_selectorILNS1_17partition_subalgoE4EjNS0_10empty_typeEbEEZZNS1_14partition_implILS8_4ELb0ES6_15HIP_vector_typeIjLj2EENS0_17counting_iteratorIjlEEPS9_SG_NS0_5tupleIJPjSI_NS0_16reverse_iteratorISI_EEEEENSH_IJSG_SG_SG_EEES9_SI_JZNS1_25segmented_radix_sort_implINS0_14default_configELb0EPK12hip_bfloat16PSP_PKlPlN2at6native12_GLOBAL__N_18offset_tEEE10hipError_tPvRmT1_PNSt15iterator_traitsIS13_E10value_typeET2_T3_PNS14_IS19_E10value_typeET4_jRbjT5_S1F_jjP12ihipStream_tbEUljE_ZNSN_ISO_Lb0ESR_SS_SU_SV_SZ_EES10_S11_S12_S13_S17_S18_S19_S1C_S1D_jS1E_jS1F_S1F_jjS1H_bEUljE0_EEES10_S11_S12_S19_S1D_S1F_T6_T7_T9_mT8_S1H_bDpT10_ENKUlT_T0_E_clISt17integral_constantIbLb0EES1V_EEDaS1Q_S1R_EUlS1Q_E_NS1_11comp_targetILNS1_3genE3ELNS1_11target_archE908ELNS1_3gpuE7ELNS1_3repE0EEENS1_30default_config_static_selectorELNS0_4arch9wavefront6targetE1EEEvS13_, .Lfunc_end1988-_ZN7rocprim17ROCPRIM_400000_NS6detail17trampoline_kernelINS0_13select_configILj256ELj13ELNS0_17block_load_methodE3ELS4_3ELS4_3ELNS0_20block_scan_algorithmE0ELj4294967295EEENS1_25partition_config_selectorILNS1_17partition_subalgoE4EjNS0_10empty_typeEbEEZZNS1_14partition_implILS8_4ELb0ES6_15HIP_vector_typeIjLj2EENS0_17counting_iteratorIjlEEPS9_SG_NS0_5tupleIJPjSI_NS0_16reverse_iteratorISI_EEEEENSH_IJSG_SG_SG_EEES9_SI_JZNS1_25segmented_radix_sort_implINS0_14default_configELb0EPK12hip_bfloat16PSP_PKlPlN2at6native12_GLOBAL__N_18offset_tEEE10hipError_tPvRmT1_PNSt15iterator_traitsIS13_E10value_typeET2_T3_PNS14_IS19_E10value_typeET4_jRbjT5_S1F_jjP12ihipStream_tbEUljE_ZNSN_ISO_Lb0ESR_SS_SU_SV_SZ_EES10_S11_S12_S13_S17_S18_S19_S1C_S1D_jS1E_jS1F_S1F_jjS1H_bEUljE0_EEES10_S11_S12_S19_S1D_S1F_T6_T7_T9_mT8_S1H_bDpT10_ENKUlT_T0_E_clISt17integral_constantIbLb0EES1V_EEDaS1Q_S1R_EUlS1Q_E_NS1_11comp_targetILNS1_3genE3ELNS1_11target_archE908ELNS1_3gpuE7ELNS1_3repE0EEENS1_30default_config_static_selectorELNS0_4arch9wavefront6targetE1EEEvS13_
                                        ; -- End function
	.set _ZN7rocprim17ROCPRIM_400000_NS6detail17trampoline_kernelINS0_13select_configILj256ELj13ELNS0_17block_load_methodE3ELS4_3ELS4_3ELNS0_20block_scan_algorithmE0ELj4294967295EEENS1_25partition_config_selectorILNS1_17partition_subalgoE4EjNS0_10empty_typeEbEEZZNS1_14partition_implILS8_4ELb0ES6_15HIP_vector_typeIjLj2EENS0_17counting_iteratorIjlEEPS9_SG_NS0_5tupleIJPjSI_NS0_16reverse_iteratorISI_EEEEENSH_IJSG_SG_SG_EEES9_SI_JZNS1_25segmented_radix_sort_implINS0_14default_configELb0EPK12hip_bfloat16PSP_PKlPlN2at6native12_GLOBAL__N_18offset_tEEE10hipError_tPvRmT1_PNSt15iterator_traitsIS13_E10value_typeET2_T3_PNS14_IS19_E10value_typeET4_jRbjT5_S1F_jjP12ihipStream_tbEUljE_ZNSN_ISO_Lb0ESR_SS_SU_SV_SZ_EES10_S11_S12_S13_S17_S18_S19_S1C_S1D_jS1E_jS1F_S1F_jjS1H_bEUljE0_EEES10_S11_S12_S19_S1D_S1F_T6_T7_T9_mT8_S1H_bDpT10_ENKUlT_T0_E_clISt17integral_constantIbLb0EES1V_EEDaS1Q_S1R_EUlS1Q_E_NS1_11comp_targetILNS1_3genE3ELNS1_11target_archE908ELNS1_3gpuE7ELNS1_3repE0EEENS1_30default_config_static_selectorELNS0_4arch9wavefront6targetE1EEEvS13_.num_vgpr, 0
	.set _ZN7rocprim17ROCPRIM_400000_NS6detail17trampoline_kernelINS0_13select_configILj256ELj13ELNS0_17block_load_methodE3ELS4_3ELS4_3ELNS0_20block_scan_algorithmE0ELj4294967295EEENS1_25partition_config_selectorILNS1_17partition_subalgoE4EjNS0_10empty_typeEbEEZZNS1_14partition_implILS8_4ELb0ES6_15HIP_vector_typeIjLj2EENS0_17counting_iteratorIjlEEPS9_SG_NS0_5tupleIJPjSI_NS0_16reverse_iteratorISI_EEEEENSH_IJSG_SG_SG_EEES9_SI_JZNS1_25segmented_radix_sort_implINS0_14default_configELb0EPK12hip_bfloat16PSP_PKlPlN2at6native12_GLOBAL__N_18offset_tEEE10hipError_tPvRmT1_PNSt15iterator_traitsIS13_E10value_typeET2_T3_PNS14_IS19_E10value_typeET4_jRbjT5_S1F_jjP12ihipStream_tbEUljE_ZNSN_ISO_Lb0ESR_SS_SU_SV_SZ_EES10_S11_S12_S13_S17_S18_S19_S1C_S1D_jS1E_jS1F_S1F_jjS1H_bEUljE0_EEES10_S11_S12_S19_S1D_S1F_T6_T7_T9_mT8_S1H_bDpT10_ENKUlT_T0_E_clISt17integral_constantIbLb0EES1V_EEDaS1Q_S1R_EUlS1Q_E_NS1_11comp_targetILNS1_3genE3ELNS1_11target_archE908ELNS1_3gpuE7ELNS1_3repE0EEENS1_30default_config_static_selectorELNS0_4arch9wavefront6targetE1EEEvS13_.num_agpr, 0
	.set _ZN7rocprim17ROCPRIM_400000_NS6detail17trampoline_kernelINS0_13select_configILj256ELj13ELNS0_17block_load_methodE3ELS4_3ELS4_3ELNS0_20block_scan_algorithmE0ELj4294967295EEENS1_25partition_config_selectorILNS1_17partition_subalgoE4EjNS0_10empty_typeEbEEZZNS1_14partition_implILS8_4ELb0ES6_15HIP_vector_typeIjLj2EENS0_17counting_iteratorIjlEEPS9_SG_NS0_5tupleIJPjSI_NS0_16reverse_iteratorISI_EEEEENSH_IJSG_SG_SG_EEES9_SI_JZNS1_25segmented_radix_sort_implINS0_14default_configELb0EPK12hip_bfloat16PSP_PKlPlN2at6native12_GLOBAL__N_18offset_tEEE10hipError_tPvRmT1_PNSt15iterator_traitsIS13_E10value_typeET2_T3_PNS14_IS19_E10value_typeET4_jRbjT5_S1F_jjP12ihipStream_tbEUljE_ZNSN_ISO_Lb0ESR_SS_SU_SV_SZ_EES10_S11_S12_S13_S17_S18_S19_S1C_S1D_jS1E_jS1F_S1F_jjS1H_bEUljE0_EEES10_S11_S12_S19_S1D_S1F_T6_T7_T9_mT8_S1H_bDpT10_ENKUlT_T0_E_clISt17integral_constantIbLb0EES1V_EEDaS1Q_S1R_EUlS1Q_E_NS1_11comp_targetILNS1_3genE3ELNS1_11target_archE908ELNS1_3gpuE7ELNS1_3repE0EEENS1_30default_config_static_selectorELNS0_4arch9wavefront6targetE1EEEvS13_.numbered_sgpr, 0
	.set _ZN7rocprim17ROCPRIM_400000_NS6detail17trampoline_kernelINS0_13select_configILj256ELj13ELNS0_17block_load_methodE3ELS4_3ELS4_3ELNS0_20block_scan_algorithmE0ELj4294967295EEENS1_25partition_config_selectorILNS1_17partition_subalgoE4EjNS0_10empty_typeEbEEZZNS1_14partition_implILS8_4ELb0ES6_15HIP_vector_typeIjLj2EENS0_17counting_iteratorIjlEEPS9_SG_NS0_5tupleIJPjSI_NS0_16reverse_iteratorISI_EEEEENSH_IJSG_SG_SG_EEES9_SI_JZNS1_25segmented_radix_sort_implINS0_14default_configELb0EPK12hip_bfloat16PSP_PKlPlN2at6native12_GLOBAL__N_18offset_tEEE10hipError_tPvRmT1_PNSt15iterator_traitsIS13_E10value_typeET2_T3_PNS14_IS19_E10value_typeET4_jRbjT5_S1F_jjP12ihipStream_tbEUljE_ZNSN_ISO_Lb0ESR_SS_SU_SV_SZ_EES10_S11_S12_S13_S17_S18_S19_S1C_S1D_jS1E_jS1F_S1F_jjS1H_bEUljE0_EEES10_S11_S12_S19_S1D_S1F_T6_T7_T9_mT8_S1H_bDpT10_ENKUlT_T0_E_clISt17integral_constantIbLb0EES1V_EEDaS1Q_S1R_EUlS1Q_E_NS1_11comp_targetILNS1_3genE3ELNS1_11target_archE908ELNS1_3gpuE7ELNS1_3repE0EEENS1_30default_config_static_selectorELNS0_4arch9wavefront6targetE1EEEvS13_.num_named_barrier, 0
	.set _ZN7rocprim17ROCPRIM_400000_NS6detail17trampoline_kernelINS0_13select_configILj256ELj13ELNS0_17block_load_methodE3ELS4_3ELS4_3ELNS0_20block_scan_algorithmE0ELj4294967295EEENS1_25partition_config_selectorILNS1_17partition_subalgoE4EjNS0_10empty_typeEbEEZZNS1_14partition_implILS8_4ELb0ES6_15HIP_vector_typeIjLj2EENS0_17counting_iteratorIjlEEPS9_SG_NS0_5tupleIJPjSI_NS0_16reverse_iteratorISI_EEEEENSH_IJSG_SG_SG_EEES9_SI_JZNS1_25segmented_radix_sort_implINS0_14default_configELb0EPK12hip_bfloat16PSP_PKlPlN2at6native12_GLOBAL__N_18offset_tEEE10hipError_tPvRmT1_PNSt15iterator_traitsIS13_E10value_typeET2_T3_PNS14_IS19_E10value_typeET4_jRbjT5_S1F_jjP12ihipStream_tbEUljE_ZNSN_ISO_Lb0ESR_SS_SU_SV_SZ_EES10_S11_S12_S13_S17_S18_S19_S1C_S1D_jS1E_jS1F_S1F_jjS1H_bEUljE0_EEES10_S11_S12_S19_S1D_S1F_T6_T7_T9_mT8_S1H_bDpT10_ENKUlT_T0_E_clISt17integral_constantIbLb0EES1V_EEDaS1Q_S1R_EUlS1Q_E_NS1_11comp_targetILNS1_3genE3ELNS1_11target_archE908ELNS1_3gpuE7ELNS1_3repE0EEENS1_30default_config_static_selectorELNS0_4arch9wavefront6targetE1EEEvS13_.private_seg_size, 0
	.set _ZN7rocprim17ROCPRIM_400000_NS6detail17trampoline_kernelINS0_13select_configILj256ELj13ELNS0_17block_load_methodE3ELS4_3ELS4_3ELNS0_20block_scan_algorithmE0ELj4294967295EEENS1_25partition_config_selectorILNS1_17partition_subalgoE4EjNS0_10empty_typeEbEEZZNS1_14partition_implILS8_4ELb0ES6_15HIP_vector_typeIjLj2EENS0_17counting_iteratorIjlEEPS9_SG_NS0_5tupleIJPjSI_NS0_16reverse_iteratorISI_EEEEENSH_IJSG_SG_SG_EEES9_SI_JZNS1_25segmented_radix_sort_implINS0_14default_configELb0EPK12hip_bfloat16PSP_PKlPlN2at6native12_GLOBAL__N_18offset_tEEE10hipError_tPvRmT1_PNSt15iterator_traitsIS13_E10value_typeET2_T3_PNS14_IS19_E10value_typeET4_jRbjT5_S1F_jjP12ihipStream_tbEUljE_ZNSN_ISO_Lb0ESR_SS_SU_SV_SZ_EES10_S11_S12_S13_S17_S18_S19_S1C_S1D_jS1E_jS1F_S1F_jjS1H_bEUljE0_EEES10_S11_S12_S19_S1D_S1F_T6_T7_T9_mT8_S1H_bDpT10_ENKUlT_T0_E_clISt17integral_constantIbLb0EES1V_EEDaS1Q_S1R_EUlS1Q_E_NS1_11comp_targetILNS1_3genE3ELNS1_11target_archE908ELNS1_3gpuE7ELNS1_3repE0EEENS1_30default_config_static_selectorELNS0_4arch9wavefront6targetE1EEEvS13_.uses_vcc, 0
	.set _ZN7rocprim17ROCPRIM_400000_NS6detail17trampoline_kernelINS0_13select_configILj256ELj13ELNS0_17block_load_methodE3ELS4_3ELS4_3ELNS0_20block_scan_algorithmE0ELj4294967295EEENS1_25partition_config_selectorILNS1_17partition_subalgoE4EjNS0_10empty_typeEbEEZZNS1_14partition_implILS8_4ELb0ES6_15HIP_vector_typeIjLj2EENS0_17counting_iteratorIjlEEPS9_SG_NS0_5tupleIJPjSI_NS0_16reverse_iteratorISI_EEEEENSH_IJSG_SG_SG_EEES9_SI_JZNS1_25segmented_radix_sort_implINS0_14default_configELb0EPK12hip_bfloat16PSP_PKlPlN2at6native12_GLOBAL__N_18offset_tEEE10hipError_tPvRmT1_PNSt15iterator_traitsIS13_E10value_typeET2_T3_PNS14_IS19_E10value_typeET4_jRbjT5_S1F_jjP12ihipStream_tbEUljE_ZNSN_ISO_Lb0ESR_SS_SU_SV_SZ_EES10_S11_S12_S13_S17_S18_S19_S1C_S1D_jS1E_jS1F_S1F_jjS1H_bEUljE0_EEES10_S11_S12_S19_S1D_S1F_T6_T7_T9_mT8_S1H_bDpT10_ENKUlT_T0_E_clISt17integral_constantIbLb0EES1V_EEDaS1Q_S1R_EUlS1Q_E_NS1_11comp_targetILNS1_3genE3ELNS1_11target_archE908ELNS1_3gpuE7ELNS1_3repE0EEENS1_30default_config_static_selectorELNS0_4arch9wavefront6targetE1EEEvS13_.uses_flat_scratch, 0
	.set _ZN7rocprim17ROCPRIM_400000_NS6detail17trampoline_kernelINS0_13select_configILj256ELj13ELNS0_17block_load_methodE3ELS4_3ELS4_3ELNS0_20block_scan_algorithmE0ELj4294967295EEENS1_25partition_config_selectorILNS1_17partition_subalgoE4EjNS0_10empty_typeEbEEZZNS1_14partition_implILS8_4ELb0ES6_15HIP_vector_typeIjLj2EENS0_17counting_iteratorIjlEEPS9_SG_NS0_5tupleIJPjSI_NS0_16reverse_iteratorISI_EEEEENSH_IJSG_SG_SG_EEES9_SI_JZNS1_25segmented_radix_sort_implINS0_14default_configELb0EPK12hip_bfloat16PSP_PKlPlN2at6native12_GLOBAL__N_18offset_tEEE10hipError_tPvRmT1_PNSt15iterator_traitsIS13_E10value_typeET2_T3_PNS14_IS19_E10value_typeET4_jRbjT5_S1F_jjP12ihipStream_tbEUljE_ZNSN_ISO_Lb0ESR_SS_SU_SV_SZ_EES10_S11_S12_S13_S17_S18_S19_S1C_S1D_jS1E_jS1F_S1F_jjS1H_bEUljE0_EEES10_S11_S12_S19_S1D_S1F_T6_T7_T9_mT8_S1H_bDpT10_ENKUlT_T0_E_clISt17integral_constantIbLb0EES1V_EEDaS1Q_S1R_EUlS1Q_E_NS1_11comp_targetILNS1_3genE3ELNS1_11target_archE908ELNS1_3gpuE7ELNS1_3repE0EEENS1_30default_config_static_selectorELNS0_4arch9wavefront6targetE1EEEvS13_.has_dyn_sized_stack, 0
	.set _ZN7rocprim17ROCPRIM_400000_NS6detail17trampoline_kernelINS0_13select_configILj256ELj13ELNS0_17block_load_methodE3ELS4_3ELS4_3ELNS0_20block_scan_algorithmE0ELj4294967295EEENS1_25partition_config_selectorILNS1_17partition_subalgoE4EjNS0_10empty_typeEbEEZZNS1_14partition_implILS8_4ELb0ES6_15HIP_vector_typeIjLj2EENS0_17counting_iteratorIjlEEPS9_SG_NS0_5tupleIJPjSI_NS0_16reverse_iteratorISI_EEEEENSH_IJSG_SG_SG_EEES9_SI_JZNS1_25segmented_radix_sort_implINS0_14default_configELb0EPK12hip_bfloat16PSP_PKlPlN2at6native12_GLOBAL__N_18offset_tEEE10hipError_tPvRmT1_PNSt15iterator_traitsIS13_E10value_typeET2_T3_PNS14_IS19_E10value_typeET4_jRbjT5_S1F_jjP12ihipStream_tbEUljE_ZNSN_ISO_Lb0ESR_SS_SU_SV_SZ_EES10_S11_S12_S13_S17_S18_S19_S1C_S1D_jS1E_jS1F_S1F_jjS1H_bEUljE0_EEES10_S11_S12_S19_S1D_S1F_T6_T7_T9_mT8_S1H_bDpT10_ENKUlT_T0_E_clISt17integral_constantIbLb0EES1V_EEDaS1Q_S1R_EUlS1Q_E_NS1_11comp_targetILNS1_3genE3ELNS1_11target_archE908ELNS1_3gpuE7ELNS1_3repE0EEENS1_30default_config_static_selectorELNS0_4arch9wavefront6targetE1EEEvS13_.has_recursion, 0
	.set _ZN7rocprim17ROCPRIM_400000_NS6detail17trampoline_kernelINS0_13select_configILj256ELj13ELNS0_17block_load_methodE3ELS4_3ELS4_3ELNS0_20block_scan_algorithmE0ELj4294967295EEENS1_25partition_config_selectorILNS1_17partition_subalgoE4EjNS0_10empty_typeEbEEZZNS1_14partition_implILS8_4ELb0ES6_15HIP_vector_typeIjLj2EENS0_17counting_iteratorIjlEEPS9_SG_NS0_5tupleIJPjSI_NS0_16reverse_iteratorISI_EEEEENSH_IJSG_SG_SG_EEES9_SI_JZNS1_25segmented_radix_sort_implINS0_14default_configELb0EPK12hip_bfloat16PSP_PKlPlN2at6native12_GLOBAL__N_18offset_tEEE10hipError_tPvRmT1_PNSt15iterator_traitsIS13_E10value_typeET2_T3_PNS14_IS19_E10value_typeET4_jRbjT5_S1F_jjP12ihipStream_tbEUljE_ZNSN_ISO_Lb0ESR_SS_SU_SV_SZ_EES10_S11_S12_S13_S17_S18_S19_S1C_S1D_jS1E_jS1F_S1F_jjS1H_bEUljE0_EEES10_S11_S12_S19_S1D_S1F_T6_T7_T9_mT8_S1H_bDpT10_ENKUlT_T0_E_clISt17integral_constantIbLb0EES1V_EEDaS1Q_S1R_EUlS1Q_E_NS1_11comp_targetILNS1_3genE3ELNS1_11target_archE908ELNS1_3gpuE7ELNS1_3repE0EEENS1_30default_config_static_selectorELNS0_4arch9wavefront6targetE1EEEvS13_.has_indirect_call, 0
	.section	.AMDGPU.csdata,"",@progbits
; Kernel info:
; codeLenInByte = 0
; TotalNumSgprs: 4
; NumVgprs: 0
; ScratchSize: 0
; MemoryBound: 0
; FloatMode: 240
; IeeeMode: 1
; LDSByteSize: 0 bytes/workgroup (compile time only)
; SGPRBlocks: 0
; VGPRBlocks: 0
; NumSGPRsForWavesPerEU: 4
; NumVGPRsForWavesPerEU: 1
; Occupancy: 10
; WaveLimiterHint : 0
; COMPUTE_PGM_RSRC2:SCRATCH_EN: 0
; COMPUTE_PGM_RSRC2:USER_SGPR: 6
; COMPUTE_PGM_RSRC2:TRAP_HANDLER: 0
; COMPUTE_PGM_RSRC2:TGID_X_EN: 1
; COMPUTE_PGM_RSRC2:TGID_Y_EN: 0
; COMPUTE_PGM_RSRC2:TGID_Z_EN: 0
; COMPUTE_PGM_RSRC2:TIDIG_COMP_CNT: 0
	.section	.text._ZN7rocprim17ROCPRIM_400000_NS6detail17trampoline_kernelINS0_13select_configILj256ELj13ELNS0_17block_load_methodE3ELS4_3ELS4_3ELNS0_20block_scan_algorithmE0ELj4294967295EEENS1_25partition_config_selectorILNS1_17partition_subalgoE4EjNS0_10empty_typeEbEEZZNS1_14partition_implILS8_4ELb0ES6_15HIP_vector_typeIjLj2EENS0_17counting_iteratorIjlEEPS9_SG_NS0_5tupleIJPjSI_NS0_16reverse_iteratorISI_EEEEENSH_IJSG_SG_SG_EEES9_SI_JZNS1_25segmented_radix_sort_implINS0_14default_configELb0EPK12hip_bfloat16PSP_PKlPlN2at6native12_GLOBAL__N_18offset_tEEE10hipError_tPvRmT1_PNSt15iterator_traitsIS13_E10value_typeET2_T3_PNS14_IS19_E10value_typeET4_jRbjT5_S1F_jjP12ihipStream_tbEUljE_ZNSN_ISO_Lb0ESR_SS_SU_SV_SZ_EES10_S11_S12_S13_S17_S18_S19_S1C_S1D_jS1E_jS1F_S1F_jjS1H_bEUljE0_EEES10_S11_S12_S19_S1D_S1F_T6_T7_T9_mT8_S1H_bDpT10_ENKUlT_T0_E_clISt17integral_constantIbLb0EES1V_EEDaS1Q_S1R_EUlS1Q_E_NS1_11comp_targetILNS1_3genE2ELNS1_11target_archE906ELNS1_3gpuE6ELNS1_3repE0EEENS1_30default_config_static_selectorELNS0_4arch9wavefront6targetE1EEEvS13_,"axG",@progbits,_ZN7rocprim17ROCPRIM_400000_NS6detail17trampoline_kernelINS0_13select_configILj256ELj13ELNS0_17block_load_methodE3ELS4_3ELS4_3ELNS0_20block_scan_algorithmE0ELj4294967295EEENS1_25partition_config_selectorILNS1_17partition_subalgoE4EjNS0_10empty_typeEbEEZZNS1_14partition_implILS8_4ELb0ES6_15HIP_vector_typeIjLj2EENS0_17counting_iteratorIjlEEPS9_SG_NS0_5tupleIJPjSI_NS0_16reverse_iteratorISI_EEEEENSH_IJSG_SG_SG_EEES9_SI_JZNS1_25segmented_radix_sort_implINS0_14default_configELb0EPK12hip_bfloat16PSP_PKlPlN2at6native12_GLOBAL__N_18offset_tEEE10hipError_tPvRmT1_PNSt15iterator_traitsIS13_E10value_typeET2_T3_PNS14_IS19_E10value_typeET4_jRbjT5_S1F_jjP12ihipStream_tbEUljE_ZNSN_ISO_Lb0ESR_SS_SU_SV_SZ_EES10_S11_S12_S13_S17_S18_S19_S1C_S1D_jS1E_jS1F_S1F_jjS1H_bEUljE0_EEES10_S11_S12_S19_S1D_S1F_T6_T7_T9_mT8_S1H_bDpT10_ENKUlT_T0_E_clISt17integral_constantIbLb0EES1V_EEDaS1Q_S1R_EUlS1Q_E_NS1_11comp_targetILNS1_3genE2ELNS1_11target_archE906ELNS1_3gpuE6ELNS1_3repE0EEENS1_30default_config_static_selectorELNS0_4arch9wavefront6targetE1EEEvS13_,comdat
	.globl	_ZN7rocprim17ROCPRIM_400000_NS6detail17trampoline_kernelINS0_13select_configILj256ELj13ELNS0_17block_load_methodE3ELS4_3ELS4_3ELNS0_20block_scan_algorithmE0ELj4294967295EEENS1_25partition_config_selectorILNS1_17partition_subalgoE4EjNS0_10empty_typeEbEEZZNS1_14partition_implILS8_4ELb0ES6_15HIP_vector_typeIjLj2EENS0_17counting_iteratorIjlEEPS9_SG_NS0_5tupleIJPjSI_NS0_16reverse_iteratorISI_EEEEENSH_IJSG_SG_SG_EEES9_SI_JZNS1_25segmented_radix_sort_implINS0_14default_configELb0EPK12hip_bfloat16PSP_PKlPlN2at6native12_GLOBAL__N_18offset_tEEE10hipError_tPvRmT1_PNSt15iterator_traitsIS13_E10value_typeET2_T3_PNS14_IS19_E10value_typeET4_jRbjT5_S1F_jjP12ihipStream_tbEUljE_ZNSN_ISO_Lb0ESR_SS_SU_SV_SZ_EES10_S11_S12_S13_S17_S18_S19_S1C_S1D_jS1E_jS1F_S1F_jjS1H_bEUljE0_EEES10_S11_S12_S19_S1D_S1F_T6_T7_T9_mT8_S1H_bDpT10_ENKUlT_T0_E_clISt17integral_constantIbLb0EES1V_EEDaS1Q_S1R_EUlS1Q_E_NS1_11comp_targetILNS1_3genE2ELNS1_11target_archE906ELNS1_3gpuE6ELNS1_3repE0EEENS1_30default_config_static_selectorELNS0_4arch9wavefront6targetE1EEEvS13_ ; -- Begin function _ZN7rocprim17ROCPRIM_400000_NS6detail17trampoline_kernelINS0_13select_configILj256ELj13ELNS0_17block_load_methodE3ELS4_3ELS4_3ELNS0_20block_scan_algorithmE0ELj4294967295EEENS1_25partition_config_selectorILNS1_17partition_subalgoE4EjNS0_10empty_typeEbEEZZNS1_14partition_implILS8_4ELb0ES6_15HIP_vector_typeIjLj2EENS0_17counting_iteratorIjlEEPS9_SG_NS0_5tupleIJPjSI_NS0_16reverse_iteratorISI_EEEEENSH_IJSG_SG_SG_EEES9_SI_JZNS1_25segmented_radix_sort_implINS0_14default_configELb0EPK12hip_bfloat16PSP_PKlPlN2at6native12_GLOBAL__N_18offset_tEEE10hipError_tPvRmT1_PNSt15iterator_traitsIS13_E10value_typeET2_T3_PNS14_IS19_E10value_typeET4_jRbjT5_S1F_jjP12ihipStream_tbEUljE_ZNSN_ISO_Lb0ESR_SS_SU_SV_SZ_EES10_S11_S12_S13_S17_S18_S19_S1C_S1D_jS1E_jS1F_S1F_jjS1H_bEUljE0_EEES10_S11_S12_S19_S1D_S1F_T6_T7_T9_mT8_S1H_bDpT10_ENKUlT_T0_E_clISt17integral_constantIbLb0EES1V_EEDaS1Q_S1R_EUlS1Q_E_NS1_11comp_targetILNS1_3genE2ELNS1_11target_archE906ELNS1_3gpuE6ELNS1_3repE0EEENS1_30default_config_static_selectorELNS0_4arch9wavefront6targetE1EEEvS13_
	.p2align	8
	.type	_ZN7rocprim17ROCPRIM_400000_NS6detail17trampoline_kernelINS0_13select_configILj256ELj13ELNS0_17block_load_methodE3ELS4_3ELS4_3ELNS0_20block_scan_algorithmE0ELj4294967295EEENS1_25partition_config_selectorILNS1_17partition_subalgoE4EjNS0_10empty_typeEbEEZZNS1_14partition_implILS8_4ELb0ES6_15HIP_vector_typeIjLj2EENS0_17counting_iteratorIjlEEPS9_SG_NS0_5tupleIJPjSI_NS0_16reverse_iteratorISI_EEEEENSH_IJSG_SG_SG_EEES9_SI_JZNS1_25segmented_radix_sort_implINS0_14default_configELb0EPK12hip_bfloat16PSP_PKlPlN2at6native12_GLOBAL__N_18offset_tEEE10hipError_tPvRmT1_PNSt15iterator_traitsIS13_E10value_typeET2_T3_PNS14_IS19_E10value_typeET4_jRbjT5_S1F_jjP12ihipStream_tbEUljE_ZNSN_ISO_Lb0ESR_SS_SU_SV_SZ_EES10_S11_S12_S13_S17_S18_S19_S1C_S1D_jS1E_jS1F_S1F_jjS1H_bEUljE0_EEES10_S11_S12_S19_S1D_S1F_T6_T7_T9_mT8_S1H_bDpT10_ENKUlT_T0_E_clISt17integral_constantIbLb0EES1V_EEDaS1Q_S1R_EUlS1Q_E_NS1_11comp_targetILNS1_3genE2ELNS1_11target_archE906ELNS1_3gpuE6ELNS1_3repE0EEENS1_30default_config_static_selectorELNS0_4arch9wavefront6targetE1EEEvS13_,@function
_ZN7rocprim17ROCPRIM_400000_NS6detail17trampoline_kernelINS0_13select_configILj256ELj13ELNS0_17block_load_methodE3ELS4_3ELS4_3ELNS0_20block_scan_algorithmE0ELj4294967295EEENS1_25partition_config_selectorILNS1_17partition_subalgoE4EjNS0_10empty_typeEbEEZZNS1_14partition_implILS8_4ELb0ES6_15HIP_vector_typeIjLj2EENS0_17counting_iteratorIjlEEPS9_SG_NS0_5tupleIJPjSI_NS0_16reverse_iteratorISI_EEEEENSH_IJSG_SG_SG_EEES9_SI_JZNS1_25segmented_radix_sort_implINS0_14default_configELb0EPK12hip_bfloat16PSP_PKlPlN2at6native12_GLOBAL__N_18offset_tEEE10hipError_tPvRmT1_PNSt15iterator_traitsIS13_E10value_typeET2_T3_PNS14_IS19_E10value_typeET4_jRbjT5_S1F_jjP12ihipStream_tbEUljE_ZNSN_ISO_Lb0ESR_SS_SU_SV_SZ_EES10_S11_S12_S13_S17_S18_S19_S1C_S1D_jS1E_jS1F_S1F_jjS1H_bEUljE0_EEES10_S11_S12_S19_S1D_S1F_T6_T7_T9_mT8_S1H_bDpT10_ENKUlT_T0_E_clISt17integral_constantIbLb0EES1V_EEDaS1Q_S1R_EUlS1Q_E_NS1_11comp_targetILNS1_3genE2ELNS1_11target_archE906ELNS1_3gpuE6ELNS1_3repE0EEENS1_30default_config_static_selectorELNS0_4arch9wavefront6targetE1EEEvS13_: ; @_ZN7rocprim17ROCPRIM_400000_NS6detail17trampoline_kernelINS0_13select_configILj256ELj13ELNS0_17block_load_methodE3ELS4_3ELS4_3ELNS0_20block_scan_algorithmE0ELj4294967295EEENS1_25partition_config_selectorILNS1_17partition_subalgoE4EjNS0_10empty_typeEbEEZZNS1_14partition_implILS8_4ELb0ES6_15HIP_vector_typeIjLj2EENS0_17counting_iteratorIjlEEPS9_SG_NS0_5tupleIJPjSI_NS0_16reverse_iteratorISI_EEEEENSH_IJSG_SG_SG_EEES9_SI_JZNS1_25segmented_radix_sort_implINS0_14default_configELb0EPK12hip_bfloat16PSP_PKlPlN2at6native12_GLOBAL__N_18offset_tEEE10hipError_tPvRmT1_PNSt15iterator_traitsIS13_E10value_typeET2_T3_PNS14_IS19_E10value_typeET4_jRbjT5_S1F_jjP12ihipStream_tbEUljE_ZNSN_ISO_Lb0ESR_SS_SU_SV_SZ_EES10_S11_S12_S13_S17_S18_S19_S1C_S1D_jS1E_jS1F_S1F_jjS1H_bEUljE0_EEES10_S11_S12_S19_S1D_S1F_T6_T7_T9_mT8_S1H_bDpT10_ENKUlT_T0_E_clISt17integral_constantIbLb0EES1V_EEDaS1Q_S1R_EUlS1Q_E_NS1_11comp_targetILNS1_3genE2ELNS1_11target_archE906ELNS1_3gpuE6ELNS1_3repE0EEENS1_30default_config_static_selectorELNS0_4arch9wavefront6targetE1EEEvS13_
; %bb.0:
	s_load_dwordx2 s[0:1], s[4:5], 0x68
	s_load_dwordx4 s[44:47], s[4:5], 0x58
	s_load_dword s8, s[4:5], 0x8
	s_load_dwordx2 s[56:57], s[4:5], 0x10
	s_load_dword s7, s[4:5], 0x80
	s_load_dwordx2 s[58:59], s[4:5], 0xa8
	s_load_dwordx8 s[36:43], s[4:5], 0x88
	s_waitcnt lgkmcnt(0)
	s_load_dwordx4 s[48:51], s[46:47], 0x0
	s_mul_i32 s33, s6, 0xd00
	s_add_i32 s9, s7, -1
	s_mulk_i32 s7, 0xd00
	s_add_u32 s2, s56, s7
	s_addc_u32 s3, s57, 0
	v_mov_b32_e32 v1, s2
	v_mov_b32_e32 v2, s3
	s_cmp_eq_u32 s6, s9
	v_cmp_gt_u64_e32 vcc, s[0:1], v[1:2]
	s_cselect_b64 s[34:35], -1, 0
	s_cmp_lg_u32 s6, s9
	s_cselect_b64 s[2:3], -1, 0
	s_add_i32 s1, s8, s33
	s_or_b64 s[2:3], s[2:3], vcc
	s_add_i32 s1, s1, s56
	s_mov_b64 s[8:9], -1
	s_and_b64 vcc, exec, s[2:3]
	v_add_u32_e32 v1, s1, v0
	s_cbranch_vccz .LBB1989_2
; %bb.1:
	v_add_u32_e32 v2, 0x100, v1
	v_lshlrev_b32_e32 v14, 2, v0
	v_add_u32_e32 v3, 0x200, v1
	v_add_u32_e32 v4, 0x300, v1
	;; [unrolled: 1-line block ×11, first 2 shown]
	ds_write2st64_b32 v14, v1, v2 offset1:4
	ds_write2st64_b32 v14, v3, v4 offset0:8 offset1:12
	ds_write2st64_b32 v14, v5, v6 offset0:16 offset1:20
	;; [unrolled: 1-line block ×5, first 2 shown]
	ds_write_b32 v14, v13 offset:12288
	s_waitcnt lgkmcnt(0)
	s_barrier
	s_mov_b64 s[8:9], 0
.LBB1989_2:
	s_andn2_b64 vcc, exec, s[8:9]
	s_add_i32 s7, s7, s56
	s_cbranch_vccnz .LBB1989_4
; %bb.3:
	v_add_u32_e32 v2, 0x100, v1
	v_lshlrev_b32_e32 v14, 2, v0
	v_add_u32_e32 v3, 0x200, v1
	v_add_u32_e32 v4, 0x300, v1
	;; [unrolled: 1-line block ×11, first 2 shown]
	ds_write2st64_b32 v14, v1, v2 offset1:4
	ds_write2st64_b32 v14, v3, v4 offset0:8 offset1:12
	ds_write2st64_b32 v14, v5, v6 offset0:16 offset1:20
	ds_write2st64_b32 v14, v7, v8 offset0:24 offset1:28
	ds_write2st64_b32 v14, v9, v10 offset0:32 offset1:36
	ds_write2st64_b32 v14, v11, v12 offset0:40 offset1:44
	ds_write_b32 v14, v13 offset:12288
	s_waitcnt lgkmcnt(0)
	s_barrier
.LBB1989_4:
	v_mul_u32_u24_e32 v30, 13, v0
	v_lshlrev_b32_e32 v1, 2, v30
	s_load_dwordx4 s[52:55], s[4:5], 0x28
	s_load_dwordx2 s[46:47], s[4:5], 0x38
	s_waitcnt lgkmcnt(0)
	ds_read_b32 v29, v1 offset:48
	ds_read2_b32 v[9:10], v1 offset0:10 offset1:11
	ds_read2_b32 v[11:12], v1 offset0:8 offset1:9
	;; [unrolled: 1-line block ×4, first 2 shown]
	ds_read2_b32 v[19:20], v1 offset1:1
	ds_read2_b32 v[17:18], v1 offset0:2 offset1:3
	v_cndmask_b32_e64 v1, 0, 1, s[2:3]
	s_sub_i32 s7, s0, s7
	v_cmp_ne_u32_e64 s[0:1], 1, v1
	s_andn2_b64 vcc, exec, s[2:3]
	s_waitcnt lgkmcnt(0)
	s_barrier
	s_cbranch_vccnz .LBB1989_32
; %bb.5:
	v_add_u32_e32 v1, s37, v19
	v_add_u32_e32 v2, s39, v19
	v_mul_lo_u32 v1, v1, s36
	v_mul_lo_u32 v2, v2, s38
	s_mov_b64 s[62:63], 0
	s_mov_b64 s[60:61], 0
	v_sub_u32_e32 v1, v1, v2
	v_cmp_lt_u32_e32 vcc, s40, v1
	v_cmp_ge_u32_e64 s[2:3], s40, v1
	s_and_saveexec_b64 s[8:9], s[2:3]
	s_cbranch_execz .LBB1989_7
; %bb.6:
	v_add_u32_e32 v1, s42, v19
	v_add_u32_e32 v2, s58, v19
	v_mul_lo_u32 v1, v1, s41
	v_mul_lo_u32 v2, v2, s43
	v_sub_u32_e32 v1, v1, v2
	v_cmp_lt_u32_e64 s[2:3], s59, v1
	s_and_b64 s[60:61], s[2:3], exec
.LBB1989_7:
	s_or_b64 exec, exec, s[8:9]
	v_add_u32_e32 v1, s37, v20
	v_add_u32_e32 v2, s39, v20
	v_mul_lo_u32 v1, v1, s36
	v_mul_lo_u32 v2, v2, s38
	v_sub_u32_e32 v1, v1, v2
	v_cmp_lt_u32_e64 s[2:3], s40, v1
	v_cmp_ge_u32_e64 s[8:9], s40, v1
	s_and_saveexec_b64 s[10:11], s[8:9]
	s_cbranch_execz .LBB1989_9
; %bb.8:
	v_add_u32_e32 v1, s42, v20
	v_add_u32_e32 v2, s58, v20
	v_mul_lo_u32 v1, v1, s41
	v_mul_lo_u32 v2, v2, s43
	v_sub_u32_e32 v1, v1, v2
	v_cmp_lt_u32_e64 s[8:9], s59, v1
	s_and_b64 s[62:63], s[8:9], exec
.LBB1989_9:
	s_or_b64 exec, exec, s[10:11]
	v_add_u32_e32 v1, s37, v17
	v_add_u32_e32 v2, s39, v17
	v_mul_lo_u32 v1, v1, s36
	v_mul_lo_u32 v2, v2, s38
	s_mov_b64 s[66:67], 0
	s_mov_b64 s[64:65], 0
	v_sub_u32_e32 v1, v1, v2
	v_cmp_lt_u32_e64 s[28:29], s40, v1
	v_cmp_ge_u32_e64 s[8:9], s40, v1
	s_and_saveexec_b64 s[10:11], s[8:9]
	s_cbranch_execz .LBB1989_11
; %bb.10:
	v_add_u32_e32 v1, s42, v17
	v_add_u32_e32 v2, s58, v17
	v_mul_lo_u32 v1, v1, s41
	v_mul_lo_u32 v2, v2, s43
	v_sub_u32_e32 v1, v1, v2
	v_cmp_lt_u32_e64 s[8:9], s59, v1
	s_and_b64 s[64:65], s[8:9], exec
.LBB1989_11:
	s_or_b64 exec, exec, s[10:11]
	v_add_u32_e32 v1, s37, v18
	v_add_u32_e32 v2, s39, v18
	v_mul_lo_u32 v1, v1, s36
	v_mul_lo_u32 v2, v2, s38
	v_sub_u32_e32 v1, v1, v2
	v_cmp_lt_u32_e64 s[8:9], s40, v1
	v_cmp_ge_u32_e64 s[10:11], s40, v1
	s_and_saveexec_b64 s[12:13], s[10:11]
	s_cbranch_execz .LBB1989_13
; %bb.12:
	v_add_u32_e32 v1, s42, v18
	v_add_u32_e32 v2, s58, v18
	v_mul_lo_u32 v1, v1, s41
	v_mul_lo_u32 v2, v2, s43
	v_sub_u32_e32 v1, v1, v2
	v_cmp_lt_u32_e64 s[10:11], s59, v1
	s_and_b64 s[66:67], s[10:11], exec
.LBB1989_13:
	s_or_b64 exec, exec, s[12:13]
	v_add_u32_e32 v1, s37, v15
	v_add_u32_e32 v2, s39, v15
	v_mul_lo_u32 v1, v1, s36
	v_mul_lo_u32 v2, v2, s38
	s_mov_b64 s[70:71], 0
	s_mov_b64 s[68:69], 0
	v_sub_u32_e32 v1, v1, v2
	v_cmp_lt_u32_e64 s[10:11], s40, v1
	;; [unrolled: 40-line block ×6, first 2 shown]
	v_cmp_ge_u32_e64 s[30:31], s40, v1
	s_and_saveexec_b64 s[88:89], s[30:31]
	s_cbranch_execz .LBB1989_31
; %bb.30:
	v_add_u32_e32 v1, s42, v29
	v_add_u32_e32 v2, s58, v29
	v_mul_lo_u32 v1, v1, s41
	v_mul_lo_u32 v2, v2, s43
	v_sub_u32_e32 v1, v1, v2
	v_cmp_lt_u32_e64 s[30:31], s59, v1
	s_and_b64 s[86:87], s[30:31], exec
.LBB1989_31:
	s_or_b64 exec, exec, s[88:89]
	v_cndmask_b32_e64 v2, 0, 1, s[2:3]
	v_cndmask_b32_e64 v1, 0, 1, vcc
	v_cndmask_b32_e64 v4, 0, 1, s[8:9]
	v_lshlrev_b16_e32 v2, 8, v2
	v_cndmask_b32_e64 v3, 0, 1, s[28:29]
	v_or_b32_e32 v1, v1, v2
	v_lshlrev_b16_e32 v2, 8, v4
	v_cndmask_b32_e64 v6, 0, 1, s[12:13]
	v_cndmask_b32_e64 v8, 0, 1, s[16:17]
	v_or_b32_sdwa v2, v3, v2 dst_sel:WORD_1 dst_unused:UNUSED_PAD src0_sel:DWORD src1_sel:DWORD
	v_cndmask_b32_e64 v5, 0, 1, s[10:11]
	v_cndmask_b32_e64 v7, 0, 1, s[14:15]
	v_or_b32_sdwa v31, v1, v2 dst_sel:DWORD dst_unused:UNUSED_PAD src0_sel:WORD_0 src1_sel:DWORD
	v_lshlrev_b16_e32 v1, 8, v6
	v_lshlrev_b16_e32 v2, 8, v8
	v_cndmask_b32_e64 v22, 0, 1, s[20:21]
	v_cndmask_b32_e64 v25, 0, 1, s[24:25]
	v_or_b32_e32 v1, v5, v1
	v_or_b32_sdwa v2, v7, v2 dst_sel:WORD_1 dst_unused:UNUSED_PAD src0_sel:DWORD src1_sel:DWORD
	v_cndmask_b32_e64 v21, 0, 1, s[18:19]
	v_cndmask_b32_e64 v23, 0, 1, s[22:23]
	v_or_b32_sdwa v33, v1, v2 dst_sel:DWORD dst_unused:UNUSED_PAD src0_sel:WORD_0 src1_sel:DWORD
	v_lshlrev_b16_e32 v1, 8, v22
	v_lshlrev_b16_e32 v2, 8, v25
	v_cndmask_b32_e64 v37, 0, 1, s[64:65]
	v_cndmask_b32_e64 v42, 0, 1, s[60:61]
	v_or_b32_e32 v1, v21, v1
	;; [unrolled: 9-line block ×4, first 2 shown]
	v_or_b32_sdwa v2, v34, v2 dst_sel:WORD_1 dst_unused:UNUSED_PAD src0_sel:DWORD src1_sel:DWORD
	v_cndmask_b32_e64 v26, 0, 1, s[78:79]
	v_cndmask_b32_e64 v28, 0, 1, s[74:75]
	v_or_b32_sdwa v32, v1, v2 dst_sel:DWORD dst_unused:UNUSED_PAD src0_sel:WORD_0 src1_sel:DWORD
	v_lshlrev_b16_e32 v1, 8, v27
	v_lshlrev_b16_e32 v2, 8, v24
	v_or_b32_e32 v1, v28, v1
	v_or_b32_sdwa v2, v26, v2 dst_sel:WORD_1 dst_unused:UNUSED_PAD src0_sel:DWORD src1_sel:DWORD
	v_cndmask_b32_e64 v35, 0, 1, s[82:83]
	v_cndmask_b32_e64 v38, 0, 1, s[86:87]
	v_or_b32_sdwa v34, v1, v2 dst_sel:DWORD dst_unused:UNUSED_PAD src0_sel:WORD_0 src1_sel:DWORD
	s_load_dwordx2 s[12:13], s[4:5], 0x78
	s_add_i32 s18, s7, 0xd00
	s_and_b64 vcc, exec, s[80:81]
	s_cbranch_vccnz .LBB1989_33
	s_branch .LBB1989_110
.LBB1989_32:
                                        ; implicit-def: $vgpr38
                                        ; implicit-def: $vgpr35
                                        ; implicit-def: $vgpr34
                                        ; implicit-def: $vgpr32
                                        ; implicit-def: $vgpr37
                                        ; implicit-def: $vgpr36
                                        ; implicit-def: $vgpr33
                                        ; implicit-def: $vgpr31
	s_load_dwordx2 s[12:13], s[4:5], 0x78
	s_add_i32 s18, s7, 0xd00
	s_cbranch_execz .LBB1989_110
.LBB1989_33:
	v_cmp_gt_u32_e32 vcc, s18, v30
	v_mov_b32_e32 v2, 0
	v_mov_b32_e32 v1, 0
	s_and_saveexec_b64 s[4:5], vcc
	s_cbranch_execz .LBB1989_37
; %bb.34:
	v_add_u32_e32 v1, s37, v19
	v_add_u32_e32 v2, s39, v19
	v_mul_lo_u32 v1, v1, s36
	v_mul_lo_u32 v2, v2, s38
	s_mov_b64 s[10:11], 0
	v_sub_u32_e32 v1, v1, v2
	v_cmp_lt_u32_e32 vcc, s40, v1
	v_cmp_ge_u32_e64 s[2:3], s40, v1
	s_and_saveexec_b64 s[8:9], s[2:3]
	s_cbranch_execz .LBB1989_36
; %bb.35:
	v_add_u32_e32 v1, s42, v19
	v_add_u32_e32 v2, s58, v19
	v_mul_lo_u32 v1, v1, s41
	v_mul_lo_u32 v2, v2, s43
	v_sub_u32_e32 v1, v1, v2
	v_cmp_lt_u32_e64 s[2:3], s59, v1
	s_and_b64 s[10:11], s[2:3], exec
.LBB1989_36:
	s_or_b64 exec, exec, s[8:9]
	v_cndmask_b32_e64 v2, 0, 1, s[10:11]
	v_cndmask_b32_e64 v1, 0, 1, vcc
.LBB1989_37:
	s_or_b64 exec, exec, s[4:5]
	v_lshlrev_b16_e32 v7, 8, v2
	v_add_u32_e32 v2, 1, v30
	v_cmp_le_u32_e32 vcc, s18, v2
	v_lshlrev_b16_e64 v4, 8, 0
                                        ; implicit-def: $vgpr3
                                        ; implicit-def: $vgpr5
                                        ; implicit-def: $vgpr6
                                        ; implicit-def: $vgpr2
                                        ; implicit-def: $vgpr8
	s_and_saveexec_b64 s[2:3], vcc
	s_xor_b64 s[2:3], exec, s[2:3]
; %bb.38:
	v_mov_b32_e32 v2, 8
	v_lshrrev_b32_sdwa v3, v2, v7 dst_sel:BYTE_1 dst_unused:UNUSED_PAD src0_sel:DWORD src1_sel:DWORD
	v_and_b32_e32 v8, 0xff, v1
	v_or_b32_sdwa v1, v7, v3 dst_sel:DWORD dst_unused:UNUSED_PAD src0_sel:BYTE_0 src1_sel:DWORD
	v_mov_b32_e32 v5, 0
	v_lshlrev_b16_e64 v4, 8, 0
	v_lshlrev_b16_e64 v2, 8, 0
	v_and_b32_e32 v6, 0xffff, v1
	v_lshlrev_b16_e64 v3, 8, 0
                                        ; implicit-def: $vgpr1
                                        ; implicit-def: $vgpr7
; %bb.39:
	s_andn2_saveexec_b64 s[4:5], s[2:3]
	s_cbranch_execz .LBB1989_43
; %bb.40:
	v_add_u32_e32 v2, s37, v20
	v_add_u32_e32 v3, s39, v20
	v_mul_lo_u32 v2, v2, s36
	v_mul_lo_u32 v3, v3, s38
	s_mov_b64 s[8:9], 0
	v_sub_u32_e32 v2, v2, v3
	v_cmp_lt_u32_e32 vcc, s40, v2
	v_cmp_ge_u32_e64 s[2:3], s40, v2
	s_and_saveexec_b64 s[10:11], s[2:3]
	s_cbranch_execz .LBB1989_42
; %bb.41:
	v_add_u32_e32 v2, s42, v20
	v_add_u32_e32 v3, s58, v20
	v_mul_lo_u32 v2, v2, s41
	v_mul_lo_u32 v3, v3, s43
	v_sub_u32_e32 v2, v2, v3
	v_cmp_lt_u32_e64 s[2:3], s59, v2
	s_and_b64 s[8:9], s[2:3], exec
.LBB1989_42:
	s_or_b64 exec, exec, s[10:11]
	v_cndmask_b32_e64 v3, 0, 1, vcc
	v_lshlrev_b16_e32 v3, 8, v3
	v_or_b32_sdwa v1, v1, v3 dst_sel:DWORD dst_unused:UNUSED_PAD src0_sel:BYTE_0 src1_sel:DWORD
	v_and_b32_e32 v8, 0xffff, v1
	v_mov_b32_e32 v1, 8
	v_lshrrev_b32_sdwa v1, v1, v7 dst_sel:BYTE_1 dst_unused:UNUSED_PAD src0_sel:DWORD src1_sel:DWORD
	v_or_b32_sdwa v1, v7, v1 dst_sel:DWORD dst_unused:UNUSED_PAD src0_sel:BYTE_0 src1_sel:DWORD
	v_and_b32_e32 v1, 0xffff, v1
	v_cndmask_b32_e64 v3, 0, 1, s[8:9]
	v_mov_b32_e32 v2, 0
	v_mov_b32_e32 v5, 0
	v_lshl_or_b32 v6, v3, 16, v1
	v_lshlrev_b16_e64 v3, 8, 0
.LBB1989_43:
	s_or_b64 exec, exec, s[4:5]
	v_add_u32_e32 v1, 2, v30
	v_cmp_le_u32_e32 vcc, s18, v1
	v_lshrrev_b32_e32 v21, 24, v8
                                        ; implicit-def: $vgpr1
                                        ; implicit-def: $vgpr7
	s_and_saveexec_b64 s[2:3], vcc
	s_xor_b64 s[2:3], exec, s[2:3]
	s_cbranch_execz .LBB1989_45
; %bb.44:
	s_mov_b32 s4, 0x40c0100
	v_perm_b32 v7, v21, v8, s4
	v_mov_b32_e32 v8, 8
	v_lshrrev_b32_sdwa v8, v8, v7 dst_sel:BYTE_1 dst_unused:UNUSED_PAD src0_sel:DWORD src1_sel:DWORD
	v_or_b32_sdwa v8, v7, v8 dst_sel:DWORD dst_unused:UNUSED_PAD src0_sel:BYTE_0 src1_sel:DWORD
	v_and_b32_e32 v8, 0xffff, v8
	s_mov_b32 s4, 0xff000000
	v_and_or_b32 v7, v7, s4, v8
	s_mov_b32 s4, 0x3060504
	v_and_b32_e32 v1, 0xff0000, v6
	v_perm_b32 v4, v4, v4, s4
	s_mov_b32 s4, 0x3020504
	v_perm_b32 v1, v6, v1, s4
                                        ; implicit-def: $vgpr8
                                        ; implicit-def: $vgpr21
                                        ; implicit-def: $vgpr6
.LBB1989_45:
	s_andn2_saveexec_b64 s[4:5], s[2:3]
	s_cbranch_execz .LBB1989_49
; %bb.46:
	v_add_u32_e32 v1, s37, v17
	v_add_u32_e32 v7, s39, v17
	v_mul_lo_u32 v1, v1, s36
	v_mul_lo_u32 v7, v7, s38
	s_mov_b64 s[8:9], 0
	v_sub_u32_e32 v1, v1, v7
	v_cmp_lt_u32_e32 vcc, s40, v1
	v_cmp_ge_u32_e64 s[2:3], s40, v1
	s_and_saveexec_b64 s[10:11], s[2:3]
	s_cbranch_execz .LBB1989_48
; %bb.47:
	v_add_u32_e32 v1, s42, v17
	v_add_u32_e32 v7, s58, v17
	v_mul_lo_u32 v1, v1, s41
	v_mul_lo_u32 v7, v7, s43
	v_sub_u32_e32 v1, v1, v7
	v_cmp_lt_u32_e64 s[2:3], s59, v1
	s_and_b64 s[8:9], s[2:3], exec
.LBB1989_48:
	s_or_b64 exec, exec, s[10:11]
	v_mov_b32_e32 v23, 8
	v_lshrrev_b32_sdwa v7, v23, v8 dst_sel:BYTE_1 dst_unused:UNUSED_PAD src0_sel:DWORD src1_sel:DWORD
	v_cndmask_b32_e64 v1, 0, 1, vcc
	v_or_b32_sdwa v7, v8, v7 dst_sel:DWORD dst_unused:UNUSED_PAD src0_sel:BYTE_0 src1_sel:DWORD
	v_lshlrev_b16_e32 v8, 8, v21
	v_or_b32_sdwa v1, v1, v8 dst_sel:WORD_1 dst_unused:UNUSED_PAD src0_sel:DWORD src1_sel:DWORD
	v_cndmask_b32_e64 v22, 0, 1, s[8:9]
	s_movk_i32 s2, 0xff
	v_or_b32_sdwa v7, v7, v1 dst_sel:DWORD dst_unused:UNUSED_PAD src0_sel:WORD_0 src1_sel:DWORD
	v_lshrrev_b32_sdwa v1, v23, v6 dst_sel:BYTE_1 dst_unused:UNUSED_PAD src0_sel:DWORD src1_sel:DWORD
	v_or_b32_sdwa v1, v6, v1 dst_sel:DWORD dst_unused:UNUSED_PAD src0_sel:BYTE_0 src1_sel:DWORD
	v_lshlrev_b16_e32 v8, 8, v22
	v_and_b32_sdwa v6, v6, s2 dst_sel:DWORD dst_unused:UNUSED_PAD src0_sel:WORD_1 src1_sel:DWORD
	v_or_b32_sdwa v6, v6, v8 dst_sel:WORD_1 dst_unused:UNUSED_PAD src0_sel:DWORD src1_sel:DWORD
	v_or_b32_sdwa v1, v1, v6 dst_sel:DWORD dst_unused:UNUSED_PAD src0_sel:WORD_0 src1_sel:DWORD
.LBB1989_49:
	s_or_b64 exec, exec, s[4:5]
	v_add_u32_e32 v6, 3, v30
	v_cmp_le_u32_e32 vcc, s18, v6
	v_lshrrev_b32_e32 v8, 24, v5
                                        ; implicit-def: $vgpr6
                                        ; implicit-def: $vgpr31
	s_and_saveexec_b64 s[2:3], vcc
	s_xor_b64 s[2:3], exec, s[2:3]
	s_cbranch_execz .LBB1989_51
; %bb.50:
	v_and_b32_e32 v6, 0xff0000, v7
	s_mov_b32 s4, 0x3020504
	s_movk_i32 s5, 0xff
	v_perm_b32 v31, v7, v6, s4
	v_lshlrev_b16_e32 v6, 8, v8
	v_and_b32_sdwa v7, v5, s5 dst_sel:DWORD dst_unused:UNUSED_PAD src0_sel:WORD_1 src1_sel:DWORD
	s_mov_b32 s4, 0x3060504
	v_or_b32_sdwa v6, v7, v6 dst_sel:WORD_1 dst_unused:UNUSED_PAD src0_sel:DWORD src1_sel:DWORD
	v_mov_b32_e32 v7, 8
	v_perm_b32 v4, v4, v4, s4
	v_lshrrev_b32_sdwa v6, v7, v5 dst_sel:BYTE_1 dst_unused:UNUSED_PRESERVE src0_sel:DWORD src1_sel:DWORD
	v_perm_b32 v3, v3, v3, s4
                                        ; implicit-def: $vgpr7
                                        ; implicit-def: $vgpr8
                                        ; implicit-def: $vgpr5
.LBB1989_51:
	s_andn2_saveexec_b64 s[4:5], s[2:3]
	s_cbranch_execz .LBB1989_55
; %bb.52:
	v_add_u32_e32 v6, s37, v18
	v_add_u32_e32 v21, s39, v18
	v_mul_lo_u32 v6, v6, s36
	v_mul_lo_u32 v21, v21, s38
	s_mov_b64 s[8:9], 0
	v_sub_u32_e32 v6, v6, v21
	v_cmp_lt_u32_e32 vcc, s40, v6
	v_cmp_ge_u32_e64 s[2:3], s40, v6
	s_and_saveexec_b64 s[10:11], s[2:3]
	s_cbranch_execz .LBB1989_54
; %bb.53:
	v_add_u32_e32 v6, s42, v18
	v_add_u32_e32 v21, s58, v18
	v_mul_lo_u32 v6, v6, s41
	v_mul_lo_u32 v21, v21, s43
	v_sub_u32_e32 v6, v6, v21
	v_cmp_lt_u32_e64 s[2:3], s59, v6
	s_and_b64 s[8:9], s[2:3], exec
.LBB1989_54:
	s_or_b64 exec, exec, s[10:11]
	v_mov_b32_e32 v22, 8
	v_cndmask_b32_e64 v6, 0, 1, vcc
	s_movk_i32 s2, 0xff
	v_lshrrev_b32_sdwa v23, v22, v7 dst_sel:BYTE_1 dst_unused:UNUSED_PAD src0_sel:DWORD src1_sel:DWORD
	v_or_b32_sdwa v23, v7, v23 dst_sel:DWORD dst_unused:UNUSED_PAD src0_sel:BYTE_0 src1_sel:DWORD
	v_lshlrev_b16_e32 v6, 8, v6
	v_and_b32_sdwa v7, v7, s2 dst_sel:DWORD dst_unused:UNUSED_PAD src0_sel:WORD_1 src1_sel:DWORD
	v_or_b32_sdwa v6, v7, v6 dst_sel:WORD_1 dst_unused:UNUSED_PAD src0_sel:DWORD src1_sel:DWORD
	v_cndmask_b32_e64 v21, 0, 1, s[8:9]
	v_or_b32_sdwa v31, v23, v6 dst_sel:DWORD dst_unused:UNUSED_PAD src0_sel:WORD_0 src1_sel:DWORD
	v_lshlrev_b16_e32 v6, 8, v8
	v_and_b32_sdwa v7, v5, s2 dst_sel:DWORD dst_unused:UNUSED_PAD src0_sel:WORD_1 src1_sel:DWORD
	v_lshrrev_b32_sdwa v5, v22, v5 dst_sel:BYTE_1 dst_unused:UNUSED_PAD src0_sel:DWORD src1_sel:DWORD
	v_or_b32_sdwa v6, v7, v6 dst_sel:WORD_1 dst_unused:UNUSED_PAD src0_sel:DWORD src1_sel:DWORD
	v_or_b32_e32 v5, v21, v5
	v_or_b32_sdwa v6, v5, v6 dst_sel:DWORD dst_unused:UNUSED_PAD src0_sel:WORD_0 src1_sel:DWORD
.LBB1989_55:
	s_or_b64 exec, exec, s[4:5]
	v_add_u32_e32 v5, 4, v30
	v_cmp_le_u32_e32 vcc, s18, v5
	v_lshrrev_b32_e32 v21, 24, v4
	v_lshrrev_b32_e32 v8, 24, v6
                                        ; implicit-def: $vgpr7
                                        ; implicit-def: $vgpr5
	s_and_saveexec_b64 s[2:3], vcc
	s_xor_b64 s[2:3], exec, s[2:3]
	s_cbranch_execz .LBB1989_57
; %bb.56:
	s_movk_i32 s4, 0xff
	v_lshlrev_b16_e32 v5, 8, v21
	v_and_b32_sdwa v21, v4, s4 dst_sel:DWORD dst_unused:UNUSED_PAD src0_sel:WORD_1 src1_sel:DWORD
	v_mov_b32_e32 v7, 8
	v_or_b32_sdwa v5, v21, v5 dst_sel:WORD_1 dst_unused:UNUSED_PAD src0_sel:DWORD src1_sel:DWORD
	v_lshrrev_b32_sdwa v5, v7, v4 dst_sel:BYTE_1 dst_unused:UNUSED_PRESERVE src0_sel:DWORD src1_sel:DWORD
	v_lshlrev_b16_e32 v4, 8, v8
	v_and_b32_sdwa v7, v6, s4 dst_sel:DWORD dst_unused:UNUSED_PAD src0_sel:WORD_1 src1_sel:DWORD
	v_or_b32_e32 v4, v7, v4
	s_mov_b32 s4, 0x5040c00
	v_perm_b32 v7, v4, v6, s4
	s_mov_b32 s4, 0x3060504
	v_perm_b32 v3, v3, v3, s4
                                        ; implicit-def: $vgpr21
                                        ; implicit-def: $vgpr4
                                        ; implicit-def: $vgpr6
                                        ; implicit-def: $vgpr8
.LBB1989_57:
	s_andn2_saveexec_b64 s[4:5], s[2:3]
	s_cbranch_execz .LBB1989_61
; %bb.58:
	v_add_u32_e32 v5, s37, v15
	v_add_u32_e32 v7, s39, v15
	v_mul_lo_u32 v5, v5, s36
	v_mul_lo_u32 v7, v7, s38
	s_mov_b64 s[8:9], 0
	v_sub_u32_e32 v5, v5, v7
	v_cmp_lt_u32_e32 vcc, s40, v5
	v_cmp_ge_u32_e64 s[2:3], s40, v5
	s_and_saveexec_b64 s[10:11], s[2:3]
	s_cbranch_execz .LBB1989_60
; %bb.59:
	v_add_u32_e32 v5, s42, v15
	v_add_u32_e32 v7, s58, v15
	v_mul_lo_u32 v5, v5, s41
	v_mul_lo_u32 v7, v7, s43
	v_sub_u32_e32 v5, v5, v7
	v_cmp_lt_u32_e64 s[2:3], s59, v5
	s_and_b64 s[8:9], s[2:3], exec
.LBB1989_60:
	s_or_b64 exec, exec, s[10:11]
	s_movk_i32 s2, 0xff
	v_lshlrev_b16_e32 v21, 8, v21
	v_and_b32_sdwa v22, v4, s2 dst_sel:DWORD dst_unused:UNUSED_PAD src0_sel:WORD_1 src1_sel:DWORD
	v_or_b32_sdwa v21, v22, v21 dst_sel:WORD_1 dst_unused:UNUSED_PAD src0_sel:DWORD src1_sel:DWORD
	v_mov_b32_e32 v22, 8
	v_cndmask_b32_e64 v5, 0, 1, vcc
	v_lshrrev_b32_sdwa v4, v22, v4 dst_sel:BYTE_1 dst_unused:UNUSED_PAD src0_sel:DWORD src1_sel:DWORD
	v_cndmask_b32_e64 v7, 0, 1, s[8:9]
	v_or_b32_e32 v4, v5, v4
	v_or_b32_sdwa v5, v4, v21 dst_sel:DWORD dst_unused:UNUSED_PAD src0_sel:WORD_0 src1_sel:DWORD
	v_lshlrev_b16_e32 v4, 8, v7
	v_or_b32_sdwa v4, v6, v4 dst_sel:DWORD dst_unused:UNUSED_PAD src0_sel:BYTE_0 src1_sel:DWORD
	v_lshlrev_b16_e32 v7, 8, v8
	v_and_b32_sdwa v6, v6, s2 dst_sel:DWORD dst_unused:UNUSED_PAD src0_sel:WORD_1 src1_sel:DWORD
	v_or_b32_sdwa v6, v6, v7 dst_sel:WORD_1 dst_unused:UNUSED_PAD src0_sel:DWORD src1_sel:DWORD
	v_or_b32_sdwa v7, v4, v6 dst_sel:DWORD dst_unused:UNUSED_PAD src0_sel:WORD_0 src1_sel:DWORD
.LBB1989_61:
	s_or_b64 exec, exec, s[4:5]
	v_add_u32_e32 v4, 5, v30
	v_cmp_le_u32_e32 vcc, s18, v4
	v_lshrrev_b32_e32 v8, 24, v7
	v_lshrrev_b32_e32 v21, 24, v5
                                        ; implicit-def: $vgpr4
                                        ; implicit-def: $vgpr6
	s_and_saveexec_b64 s[2:3], vcc
	s_xor_b64 s[2:3], exec, s[2:3]
	s_cbranch_execz .LBB1989_63
; %bb.62:
	s_mov_b32 s4, 0x40c0100
	v_perm_b32 v4, v8, v7, s4
	s_movk_i32 s4, 0xff
	v_lshlrev_b16_e32 v6, 8, v21
	v_and_b32_sdwa v7, v5, s4 dst_sel:DWORD dst_unused:UNUSED_PAD src0_sel:WORD_1 src1_sel:DWORD
	v_or_b32_e32 v6, v7, v6
	s_mov_b32 s4, 0x5040c00
	v_perm_b32 v6, v6, v5, s4
	v_mov_b32_e32 v5, 8
	v_lshrrev_b32_sdwa v5, v5, v4 dst_sel:BYTE_1 dst_unused:UNUSED_PAD src0_sel:DWORD src1_sel:DWORD
	v_or_b32_sdwa v5, v4, v5 dst_sel:DWORD dst_unused:UNUSED_PAD src0_sel:BYTE_0 src1_sel:DWORD
	v_and_b32_e32 v5, 0xffff, v5
	s_mov_b32 s4, 0xff000000
	v_and_or_b32 v4, v4, s4, v5
	s_mov_b32 s4, 0x3060504
	v_perm_b32 v3, v3, v3, s4
                                        ; implicit-def: $vgpr5
                                        ; implicit-def: $vgpr21
                                        ; implicit-def: $vgpr7
                                        ; implicit-def: $vgpr8
.LBB1989_63:
	s_andn2_saveexec_b64 s[4:5], s[2:3]
	s_cbranch_execz .LBB1989_67
; %bb.64:
	v_add_u32_e32 v4, s37, v16
	v_add_u32_e32 v6, s39, v16
	v_mul_lo_u32 v4, v4, s36
	v_mul_lo_u32 v6, v6, s38
	s_mov_b64 s[8:9], 0
	v_sub_u32_e32 v4, v4, v6
	v_cmp_lt_u32_e32 vcc, s40, v4
	v_cmp_ge_u32_e64 s[2:3], s40, v4
	s_and_saveexec_b64 s[10:11], s[2:3]
	s_cbranch_execz .LBB1989_66
; %bb.65:
	v_add_u32_e32 v4, s42, v16
	v_add_u32_e32 v6, s58, v16
	v_mul_lo_u32 v4, v4, s41
	v_mul_lo_u32 v6, v6, s43
	v_sub_u32_e32 v4, v4, v6
	v_cmp_lt_u32_e64 s[2:3], s59, v4
	s_and_b64 s[8:9], s[2:3], exec
.LBB1989_66:
	s_or_b64 exec, exec, s[10:11]
	v_cndmask_b32_e64 v4, 0, 1, vcc
	v_lshlrev_b16_e32 v4, 8, v4
	s_movk_i32 s2, 0xff
	v_or_b32_sdwa v4, v5, v4 dst_sel:DWORD dst_unused:UNUSED_PAD src0_sel:BYTE_0 src1_sel:DWORD
	v_lshlrev_b16_e32 v6, 8, v21
	v_and_b32_sdwa v5, v5, s2 dst_sel:DWORD dst_unused:UNUSED_PAD src0_sel:WORD_1 src1_sel:DWORD
	v_or_b32_sdwa v5, v5, v6 dst_sel:WORD_1 dst_unused:UNUSED_PAD src0_sel:DWORD src1_sel:DWORD
	v_or_b32_sdwa v6, v4, v5 dst_sel:DWORD dst_unused:UNUSED_PAD src0_sel:WORD_0 src1_sel:DWORD
	v_mov_b32_e32 v4, 8
	v_cndmask_b32_e64 v22, 0, 1, s[8:9]
	v_lshrrev_b32_sdwa v4, v4, v7 dst_sel:BYTE_1 dst_unused:UNUSED_PAD src0_sel:DWORD src1_sel:DWORD
	v_lshlrev_b16_e32 v5, 8, v8
	v_or_b32_sdwa v4, v7, v4 dst_sel:DWORD dst_unused:UNUSED_PAD src0_sel:BYTE_0 src1_sel:DWORD
	v_or_b32_sdwa v5, v22, v5 dst_sel:WORD_1 dst_unused:UNUSED_PAD src0_sel:DWORD src1_sel:DWORD
	v_or_b32_sdwa v4, v4, v5 dst_sel:DWORD dst_unused:UNUSED_PAD src0_sel:WORD_0 src1_sel:DWORD
.LBB1989_67:
	s_or_b64 exec, exec, s[4:5]
	v_add_u32_e32 v5, 6, v30
	v_cmp_le_u32_e32 vcc, s18, v5
	v_lshrrev_b32_e32 v7, 24, v6
                                        ; implicit-def: $vgpr32
                                        ; implicit-def: $vgpr5
	s_and_saveexec_b64 s[2:3], vcc
	s_xor_b64 s[2:3], exec, s[2:3]
	s_cbranch_execz .LBB1989_69
; %bb.68:
	s_mov_b32 s4, 0x40c0100
	v_perm_b32 v5, v7, v6, s4
	v_mov_b32_e32 v6, 8
	v_lshrrev_b32_sdwa v6, v6, v5 dst_sel:BYTE_1 dst_unused:UNUSED_PAD src0_sel:DWORD src1_sel:DWORD
	v_or_b32_sdwa v6, v5, v6 dst_sel:DWORD dst_unused:UNUSED_PAD src0_sel:BYTE_0 src1_sel:DWORD
	v_and_b32_e32 v6, 0xffff, v6
	s_mov_b32 s4, 0xff000000
	v_and_b32_e32 v8, 0xff0000, v4
	v_and_or_b32 v5, v5, s4, v6
	s_mov_b32 s4, 0x3020504
	v_perm_b32 v32, v4, v8, s4
	s_mov_b32 s4, 0x3060504
	v_perm_b32 v3, v3, v3, s4
                                        ; implicit-def: $vgpr6
                                        ; implicit-def: $vgpr7
                                        ; implicit-def: $vgpr4
.LBB1989_69:
	s_andn2_saveexec_b64 s[4:5], s[2:3]
	s_cbranch_execz .LBB1989_73
; %bb.70:
	v_add_u32_e32 v5, s37, v13
	v_add_u32_e32 v8, s39, v13
	v_mul_lo_u32 v5, v5, s36
	v_mul_lo_u32 v8, v8, s38
	s_mov_b64 s[8:9], 0
	v_sub_u32_e32 v5, v5, v8
	v_cmp_lt_u32_e32 vcc, s40, v5
	v_cmp_ge_u32_e64 s[2:3], s40, v5
	s_and_saveexec_b64 s[10:11], s[2:3]
	s_cbranch_execz .LBB1989_72
; %bb.71:
	v_add_u32_e32 v5, s42, v13
	v_add_u32_e32 v8, s58, v13
	v_mul_lo_u32 v5, v5, s41
	v_mul_lo_u32 v8, v8, s43
	v_sub_u32_e32 v5, v5, v8
	v_cmp_lt_u32_e64 s[2:3], s59, v5
	s_and_b64 s[8:9], s[2:3], exec
.LBB1989_72:
	s_or_b64 exec, exec, s[10:11]
	v_mov_b32_e32 v21, 8
	v_cndmask_b32_e64 v5, 0, 1, vcc
	v_lshrrev_b32_sdwa v22, v21, v6 dst_sel:BYTE_1 dst_unused:UNUSED_PAD src0_sel:DWORD src1_sel:DWORD
	v_lshlrev_b16_e32 v7, 8, v7
	v_or_b32_sdwa v6, v6, v22 dst_sel:DWORD dst_unused:UNUSED_PAD src0_sel:BYTE_0 src1_sel:DWORD
	v_or_b32_sdwa v5, v5, v7 dst_sel:WORD_1 dst_unused:UNUSED_PAD src0_sel:DWORD src1_sel:DWORD
	v_cndmask_b32_e64 v8, 0, 1, s[8:9]
	s_movk_i32 s2, 0xff
	v_or_b32_sdwa v5, v6, v5 dst_sel:DWORD dst_unused:UNUSED_PAD src0_sel:WORD_0 src1_sel:DWORD
	v_lshrrev_b32_sdwa v6, v21, v4 dst_sel:BYTE_1 dst_unused:UNUSED_PAD src0_sel:DWORD src1_sel:DWORD
	v_or_b32_sdwa v6, v4, v6 dst_sel:DWORD dst_unused:UNUSED_PAD src0_sel:BYTE_0 src1_sel:DWORD
	v_lshlrev_b16_e32 v7, 8, v8
	v_and_b32_sdwa v4, v4, s2 dst_sel:DWORD dst_unused:UNUSED_PAD src0_sel:WORD_1 src1_sel:DWORD
	v_or_b32_sdwa v4, v4, v7 dst_sel:WORD_1 dst_unused:UNUSED_PAD src0_sel:DWORD src1_sel:DWORD
	v_or_b32_sdwa v32, v6, v4 dst_sel:DWORD dst_unused:UNUSED_PAD src0_sel:WORD_0 src1_sel:DWORD
.LBB1989_73:
	s_or_b64 exec, exec, s[4:5]
	v_add_u32_e32 v4, 7, v30
	v_cmp_le_u32_e32 vcc, s18, v4
	v_lshrrev_b32_e32 v6, 24, v3
                                        ; implicit-def: $vgpr4
                                        ; implicit-def: $vgpr33
	s_and_saveexec_b64 s[2:3], vcc
	s_xor_b64 s[2:3], exec, s[2:3]
; %bb.74:
	v_and_b32_e32 v4, 0xff0000, v5
	s_mov_b32 s4, 0x3020504
	v_perm_b32 v33, v5, v4, s4
	s_movk_i32 s4, 0xff
	v_lshlrev_b16_e32 v4, 8, v6
	v_and_b32_sdwa v5, v3, s4 dst_sel:DWORD dst_unused:UNUSED_PAD src0_sel:WORD_1 src1_sel:DWORD
	v_mov_b32_e32 v7, 8
	v_or_b32_sdwa v4, v5, v4 dst_sel:WORD_1 dst_unused:UNUSED_PAD src0_sel:DWORD src1_sel:DWORD
	v_lshrrev_b32_sdwa v4, v7, v3 dst_sel:BYTE_1 dst_unused:UNUSED_PRESERVE src0_sel:DWORD src1_sel:DWORD
                                        ; implicit-def: $vgpr5
                                        ; implicit-def: $vgpr6
                                        ; implicit-def: $vgpr3
; %bb.75:
	s_andn2_saveexec_b64 s[4:5], s[2:3]
	s_cbranch_execz .LBB1989_79
; %bb.76:
	v_add_u32_e32 v4, s37, v14
	v_add_u32_e32 v7, s39, v14
	v_mul_lo_u32 v4, v4, s36
	v_mul_lo_u32 v7, v7, s38
	s_mov_b64 s[8:9], 0
	v_sub_u32_e32 v4, v4, v7
	v_cmp_lt_u32_e32 vcc, s40, v4
	v_cmp_ge_u32_e64 s[2:3], s40, v4
	s_and_saveexec_b64 s[10:11], s[2:3]
	s_cbranch_execz .LBB1989_78
; %bb.77:
	v_add_u32_e32 v4, s42, v14
	v_add_u32_e32 v7, s58, v14
	v_mul_lo_u32 v4, v4, s41
	v_mul_lo_u32 v7, v7, s43
	v_sub_u32_e32 v4, v4, v7
	v_cmp_lt_u32_e64 s[2:3], s59, v4
	s_and_b64 s[8:9], s[2:3], exec
.LBB1989_78:
	s_or_b64 exec, exec, s[10:11]
	v_mov_b32_e32 v8, 8
	v_cndmask_b32_e64 v4, 0, 1, vcc
	s_movk_i32 s2, 0xff
	v_lshrrev_b32_sdwa v21, v8, v5 dst_sel:BYTE_1 dst_unused:UNUSED_PAD src0_sel:DWORD src1_sel:DWORD
	v_or_b32_sdwa v21, v5, v21 dst_sel:DWORD dst_unused:UNUSED_PAD src0_sel:BYTE_0 src1_sel:DWORD
	v_lshlrev_b16_e32 v4, 8, v4
	v_and_b32_sdwa v5, v5, s2 dst_sel:DWORD dst_unused:UNUSED_PAD src0_sel:WORD_1 src1_sel:DWORD
	v_or_b32_sdwa v4, v5, v4 dst_sel:WORD_1 dst_unused:UNUSED_PAD src0_sel:DWORD src1_sel:DWORD
	v_cndmask_b32_e64 v7, 0, 1, s[8:9]
	v_or_b32_sdwa v33, v21, v4 dst_sel:DWORD dst_unused:UNUSED_PAD src0_sel:WORD_0 src1_sel:DWORD
	v_lshlrev_b16_e32 v4, 8, v6
	v_and_b32_sdwa v5, v3, s2 dst_sel:DWORD dst_unused:UNUSED_PAD src0_sel:WORD_1 src1_sel:DWORD
	v_lshrrev_b32_sdwa v3, v8, v3 dst_sel:BYTE_1 dst_unused:UNUSED_PAD src0_sel:DWORD src1_sel:DWORD
	v_or_b32_sdwa v4, v5, v4 dst_sel:WORD_1 dst_unused:UNUSED_PAD src0_sel:DWORD src1_sel:DWORD
	v_or_b32_e32 v3, v7, v3
	v_or_b32_sdwa v4, v3, v4 dst_sel:DWORD dst_unused:UNUSED_PAD src0_sel:WORD_0 src1_sel:DWORD
.LBB1989_79:
	s_or_b64 exec, exec, s[4:5]
	v_add_u32_e32 v3, 8, v30
	v_cmp_le_u32_e32 vcc, s18, v3
	v_lshrrev_b32_e32 v6, 24, v4
	v_lshrrev_b32_e32 v7, 24, v2
                                        ; implicit-def: $vgpr5
                                        ; implicit-def: $vgpr3
	s_and_saveexec_b64 s[2:3], vcc
	s_xor_b64 s[2:3], exec, s[2:3]
	s_cbranch_execz .LBB1989_81
; %bb.80:
	s_movk_i32 s4, 0xff
	v_lshlrev_b16_e32 v3, 8, v7
	v_and_b32_sdwa v5, v2, s4 dst_sel:DWORD dst_unused:UNUSED_PAD src0_sel:WORD_1 src1_sel:DWORD
	v_or_b32_sdwa v3, v5, v3 dst_sel:WORD_1 dst_unused:UNUSED_PAD src0_sel:DWORD src1_sel:DWORD
	v_mov_b32_e32 v5, 8
	v_lshrrev_b32_sdwa v3, v5, v2 dst_sel:BYTE_1 dst_unused:UNUSED_PRESERVE src0_sel:DWORD src1_sel:DWORD
	v_lshlrev_b16_e32 v2, 8, v6
	v_and_b32_sdwa v5, v4, s4 dst_sel:DWORD dst_unused:UNUSED_PAD src0_sel:WORD_1 src1_sel:DWORD
	s_mov_b32 s5, 0x3060504
	v_or_b32_e32 v2, v5, v2
	s_mov_b32 s4, 0x5040c00
	v_perm_b32 v1, v1, v1, s5
	v_perm_b32 v5, v2, v4, s4
                                        ; implicit-def: $vgpr7
                                        ; implicit-def: $vgpr2
                                        ; implicit-def: $vgpr4
                                        ; implicit-def: $vgpr6
.LBB1989_81:
	s_andn2_saveexec_b64 s[4:5], s[2:3]
	s_cbranch_execz .LBB1989_85
; %bb.82:
	v_add_u32_e32 v3, s37, v11
	v_add_u32_e32 v5, s39, v11
	v_mul_lo_u32 v3, v3, s36
	v_mul_lo_u32 v5, v5, s38
	s_mov_b64 s[8:9], 0
	v_sub_u32_e32 v3, v3, v5
	v_cmp_lt_u32_e32 vcc, s40, v3
	v_cmp_ge_u32_e64 s[2:3], s40, v3
	s_and_saveexec_b64 s[10:11], s[2:3]
	s_cbranch_execz .LBB1989_84
; %bb.83:
	v_add_u32_e32 v3, s42, v11
	v_add_u32_e32 v5, s58, v11
	v_mul_lo_u32 v3, v3, s41
	v_mul_lo_u32 v5, v5, s43
	v_sub_u32_e32 v3, v3, v5
	v_cmp_lt_u32_e64 s[2:3], s59, v3
	s_and_b64 s[8:9], s[2:3], exec
.LBB1989_84:
	s_or_b64 exec, exec, s[10:11]
	s_movk_i32 s2, 0xff
	v_lshlrev_b16_e32 v7, 8, v7
	v_and_b32_sdwa v8, v2, s2 dst_sel:DWORD dst_unused:UNUSED_PAD src0_sel:WORD_1 src1_sel:DWORD
	v_or_b32_sdwa v7, v8, v7 dst_sel:WORD_1 dst_unused:UNUSED_PAD src0_sel:DWORD src1_sel:DWORD
	v_mov_b32_e32 v8, 8
	v_cndmask_b32_e64 v3, 0, 1, vcc
	v_lshrrev_b32_sdwa v2, v8, v2 dst_sel:BYTE_1 dst_unused:UNUSED_PAD src0_sel:DWORD src1_sel:DWORD
	v_cndmask_b32_e64 v5, 0, 1, s[8:9]
	v_or_b32_e32 v2, v3, v2
	v_or_b32_sdwa v3, v2, v7 dst_sel:DWORD dst_unused:UNUSED_PAD src0_sel:WORD_0 src1_sel:DWORD
	v_lshlrev_b16_e32 v2, 8, v5
	v_or_b32_sdwa v2, v4, v2 dst_sel:DWORD dst_unused:UNUSED_PAD src0_sel:BYTE_0 src1_sel:DWORD
	v_lshlrev_b16_e32 v5, 8, v6
	v_and_b32_sdwa v4, v4, s2 dst_sel:DWORD dst_unused:UNUSED_PAD src0_sel:WORD_1 src1_sel:DWORD
	v_or_b32_sdwa v4, v4, v5 dst_sel:WORD_1 dst_unused:UNUSED_PAD src0_sel:DWORD src1_sel:DWORD
	v_or_b32_sdwa v5, v2, v4 dst_sel:DWORD dst_unused:UNUSED_PAD src0_sel:WORD_0 src1_sel:DWORD
.LBB1989_85:
	s_or_b64 exec, exec, s[4:5]
	v_add_u32_e32 v2, 9, v30
	v_cmp_le_u32_e32 vcc, s18, v2
	v_lshrrev_b32_e32 v6, 24, v5
	v_lshrrev_b32_e32 v7, 24, v3
                                        ; implicit-def: $vgpr2
                                        ; implicit-def: $vgpr4
	s_and_saveexec_b64 s[2:3], vcc
	s_xor_b64 s[2:3], exec, s[2:3]
	s_cbranch_execz .LBB1989_87
; %bb.86:
	s_mov_b32 s4, 0x40c0100
	v_perm_b32 v2, v6, v5, s4
	v_mov_b32_e32 v4, 8
	s_movk_i32 s4, 0xff
	v_lshrrev_b32_sdwa v5, v4, v2 dst_sel:BYTE_1 dst_unused:UNUSED_PAD src0_sel:DWORD src1_sel:DWORD
	v_lshlrev_b16_e32 v4, 8, v7
	v_and_b32_sdwa v6, v3, s4 dst_sel:DWORD dst_unused:UNUSED_PAD src0_sel:WORD_1 src1_sel:DWORD
	v_or_b32_e32 v4, v6, v4
	s_mov_b32 s4, 0x5040c00
	v_perm_b32 v4, v4, v3, s4
	s_mov_b32 s4, 0x3060504
	v_or_b32_sdwa v3, v2, v5 dst_sel:DWORD dst_unused:UNUSED_PAD src0_sel:BYTE_0 src1_sel:DWORD
	v_perm_b32 v1, v1, v1, s4
	v_and_b32_e32 v3, 0xffff, v3
	s_mov_b32 s4, 0xff000000
	v_and_or_b32 v2, v2, s4, v3
                                        ; implicit-def: $vgpr3
                                        ; implicit-def: $vgpr7
                                        ; implicit-def: $vgpr5
                                        ; implicit-def: $vgpr6
.LBB1989_87:
	s_andn2_saveexec_b64 s[4:5], s[2:3]
	s_cbranch_execz .LBB1989_91
; %bb.88:
	v_add_u32_e32 v2, s37, v12
	v_add_u32_e32 v4, s39, v12
	v_mul_lo_u32 v2, v2, s36
	v_mul_lo_u32 v4, v4, s38
	s_mov_b64 s[8:9], 0
	v_sub_u32_e32 v2, v2, v4
	v_cmp_lt_u32_e32 vcc, s40, v2
	v_cmp_ge_u32_e64 s[2:3], s40, v2
	s_and_saveexec_b64 s[10:11], s[2:3]
	s_cbranch_execz .LBB1989_90
; %bb.89:
	v_add_u32_e32 v2, s42, v12
	v_add_u32_e32 v4, s58, v12
	v_mul_lo_u32 v2, v2, s41
	v_mul_lo_u32 v4, v4, s43
	v_sub_u32_e32 v2, v2, v4
	v_cmp_lt_u32_e64 s[2:3], s59, v2
	s_and_b64 s[8:9], s[2:3], exec
.LBB1989_90:
	s_or_b64 exec, exec, s[10:11]
	v_cndmask_b32_e64 v2, 0, 1, vcc
	v_lshlrev_b16_e32 v2, 8, v2
	s_movk_i32 s2, 0xff
	v_or_b32_sdwa v2, v3, v2 dst_sel:DWORD dst_unused:UNUSED_PAD src0_sel:BYTE_0 src1_sel:DWORD
	v_lshlrev_b16_e32 v4, 8, v7
	v_and_b32_sdwa v3, v3, s2 dst_sel:DWORD dst_unused:UNUSED_PAD src0_sel:WORD_1 src1_sel:DWORD
	v_or_b32_sdwa v3, v3, v4 dst_sel:WORD_1 dst_unused:UNUSED_PAD src0_sel:DWORD src1_sel:DWORD
	v_or_b32_sdwa v4, v2, v3 dst_sel:DWORD dst_unused:UNUSED_PAD src0_sel:WORD_0 src1_sel:DWORD
	v_mov_b32_e32 v2, 8
	v_cndmask_b32_e64 v8, 0, 1, s[8:9]
	v_lshrrev_b32_sdwa v2, v2, v5 dst_sel:BYTE_1 dst_unused:UNUSED_PAD src0_sel:DWORD src1_sel:DWORD
	v_lshlrev_b16_e32 v3, 8, v6
	v_or_b32_sdwa v2, v5, v2 dst_sel:DWORD dst_unused:UNUSED_PAD src0_sel:BYTE_0 src1_sel:DWORD
	v_or_b32_sdwa v3, v8, v3 dst_sel:WORD_1 dst_unused:UNUSED_PAD src0_sel:DWORD src1_sel:DWORD
	v_or_b32_sdwa v2, v2, v3 dst_sel:DWORD dst_unused:UNUSED_PAD src0_sel:WORD_0 src1_sel:DWORD
.LBB1989_91:
	s_or_b64 exec, exec, s[4:5]
	v_add_u32_e32 v3, 10, v30
	v_cmp_le_u32_e32 vcc, s18, v3
	v_lshrrev_b32_e32 v5, 24, v4
                                        ; implicit-def: $vgpr34
                                        ; implicit-def: $vgpr3
	s_and_saveexec_b64 s[2:3], vcc
	s_xor_b64 s[2:3], exec, s[2:3]
	s_cbranch_execz .LBB1989_93
; %bb.92:
	s_mov_b32 s4, 0x40c0100
	v_perm_b32 v3, v5, v4, s4
	v_mov_b32_e32 v4, 8
	v_lshrrev_b32_sdwa v4, v4, v3 dst_sel:BYTE_1 dst_unused:UNUSED_PAD src0_sel:DWORD src1_sel:DWORD
	v_or_b32_sdwa v4, v3, v4 dst_sel:DWORD dst_unused:UNUSED_PAD src0_sel:BYTE_0 src1_sel:DWORD
	v_and_b32_e32 v4, 0xffff, v4
	s_mov_b32 s4, 0xff000000
	v_and_or_b32 v3, v3, s4, v4
	s_mov_b32 s4, 0x3060504
	v_and_b32_e32 v6, 0xff0000, v2
	v_perm_b32 v1, v1, v1, s4
	s_mov_b32 s4, 0x3020504
	v_perm_b32 v34, v2, v6, s4
                                        ; implicit-def: $vgpr4
                                        ; implicit-def: $vgpr5
                                        ; implicit-def: $vgpr2
.LBB1989_93:
	s_andn2_saveexec_b64 s[4:5], s[2:3]
	s_cbranch_execz .LBB1989_97
; %bb.94:
	v_add_u32_e32 v3, s37, v9
	v_add_u32_e32 v6, s39, v9
	v_mul_lo_u32 v3, v3, s36
	v_mul_lo_u32 v6, v6, s38
	s_mov_b64 s[8:9], 0
	v_sub_u32_e32 v3, v3, v6
	v_cmp_lt_u32_e32 vcc, s40, v3
	v_cmp_ge_u32_e64 s[2:3], s40, v3
	s_and_saveexec_b64 s[10:11], s[2:3]
	s_cbranch_execz .LBB1989_96
; %bb.95:
	v_add_u32_e32 v3, s42, v9
	v_add_u32_e32 v6, s58, v9
	v_mul_lo_u32 v3, v3, s41
	v_mul_lo_u32 v6, v6, s43
	v_sub_u32_e32 v3, v3, v6
	v_cmp_lt_u32_e64 s[2:3], s59, v3
	s_and_b64 s[8:9], s[2:3], exec
.LBB1989_96:
	s_or_b64 exec, exec, s[10:11]
	v_mov_b32_e32 v7, 8
	v_cndmask_b32_e64 v3, 0, 1, vcc
	v_lshrrev_b32_sdwa v8, v7, v4 dst_sel:BYTE_1 dst_unused:UNUSED_PAD src0_sel:DWORD src1_sel:DWORD
	v_lshlrev_b16_e32 v5, 8, v5
	v_or_b32_sdwa v4, v4, v8 dst_sel:DWORD dst_unused:UNUSED_PAD src0_sel:BYTE_0 src1_sel:DWORD
	v_or_b32_sdwa v3, v3, v5 dst_sel:WORD_1 dst_unused:UNUSED_PAD src0_sel:DWORD src1_sel:DWORD
	v_cndmask_b32_e64 v6, 0, 1, s[8:9]
	s_movk_i32 s2, 0xff
	v_or_b32_sdwa v3, v4, v3 dst_sel:DWORD dst_unused:UNUSED_PAD src0_sel:WORD_0 src1_sel:DWORD
	v_lshrrev_b32_sdwa v4, v7, v2 dst_sel:BYTE_1 dst_unused:UNUSED_PAD src0_sel:DWORD src1_sel:DWORD
	v_or_b32_sdwa v4, v2, v4 dst_sel:DWORD dst_unused:UNUSED_PAD src0_sel:BYTE_0 src1_sel:DWORD
	v_lshlrev_b16_e32 v5, 8, v6
	v_and_b32_sdwa v2, v2, s2 dst_sel:DWORD dst_unused:UNUSED_PAD src0_sel:WORD_1 src1_sel:DWORD
	v_or_b32_sdwa v2, v2, v5 dst_sel:WORD_1 dst_unused:UNUSED_PAD src0_sel:DWORD src1_sel:DWORD
	v_or_b32_sdwa v34, v4, v2 dst_sel:DWORD dst_unused:UNUSED_PAD src0_sel:WORD_0 src1_sel:DWORD
.LBB1989_97:
	s_or_b64 exec, exec, s[4:5]
	v_add_u32_e32 v2, 11, v30
	v_mov_b32_e32 v35, 0
	v_cmp_le_u32_e32 vcc, s18, v2
                                        ; implicit-def: $vgpr36
	s_and_saveexec_b64 s[2:3], vcc
	s_xor_b64 s[2:3], exec, s[2:3]
; %bb.98:
	v_and_b32_e32 v2, 0xff0000, v3
	s_mov_b32 s4, 0x3020504
	v_perm_b32 v36, v3, v2, s4
	s_mov_b32 s4, 0x3060504
	v_perm_b32 v1, v1, v1, s4
                                        ; implicit-def: $vgpr3
; %bb.99:
	s_andn2_saveexec_b64 s[4:5], s[2:3]
	s_cbranch_execz .LBB1989_103
; %bb.100:
	v_add_u32_e32 v2, s37, v10
	v_add_u32_e32 v4, s39, v10
	v_mul_lo_u32 v2, v2, s36
	v_mul_lo_u32 v4, v4, s38
	s_mov_b64 s[8:9], 0
	v_sub_u32_e32 v2, v2, v4
	v_cmp_lt_u32_e32 vcc, s40, v2
	v_cmp_ge_u32_e64 s[2:3], s40, v2
	s_and_saveexec_b64 s[10:11], s[2:3]
	s_cbranch_execz .LBB1989_102
; %bb.101:
	v_add_u32_e32 v2, s42, v10
	v_add_u32_e32 v4, s58, v10
	v_mul_lo_u32 v2, v2, s41
	v_mul_lo_u32 v4, v4, s43
	v_sub_u32_e32 v2, v2, v4
	v_cmp_lt_u32_e64 s[2:3], s59, v2
	s_and_b64 s[8:9], s[2:3], exec
.LBB1989_102:
	s_or_b64 exec, exec, s[10:11]
	v_mov_b32_e32 v4, 8
	v_cndmask_b32_e64 v2, 0, 1, vcc
	s_movk_i32 s2, 0xff
	v_lshrrev_b32_sdwa v4, v4, v3 dst_sel:BYTE_1 dst_unused:UNUSED_PAD src0_sel:DWORD src1_sel:DWORD
	v_or_b32_sdwa v4, v3, v4 dst_sel:DWORD dst_unused:UNUSED_PAD src0_sel:BYTE_0 src1_sel:DWORD
	v_lshlrev_b16_e32 v2, 8, v2
	v_and_b32_sdwa v3, v3, s2 dst_sel:DWORD dst_unused:UNUSED_PAD src0_sel:WORD_1 src1_sel:DWORD
	v_or_b32_sdwa v2, v3, v2 dst_sel:WORD_1 dst_unused:UNUSED_PAD src0_sel:DWORD src1_sel:DWORD
	v_cndmask_b32_e64 v35, 0, 1, s[8:9]
	v_or_b32_sdwa v36, v4, v2 dst_sel:DWORD dst_unused:UNUSED_PAD src0_sel:WORD_0 src1_sel:DWORD
.LBB1989_103:
	s_or_b64 exec, exec, s[4:5]
	v_add_u32_e32 v2, 12, v30
	v_cmp_le_u32_e32 vcc, s18, v2
	v_lshrrev_b32_e32 v2, 24, v1
                                        ; implicit-def: $vgpr37
	s_and_saveexec_b64 s[2:3], vcc
	s_xor_b64 s[2:3], exec, s[2:3]
; %bb.104:
	s_movk_i32 s4, 0xff
	v_lshlrev_b16_e32 v2, 8, v2
	v_and_b32_sdwa v4, v1, s4 dst_sel:DWORD dst_unused:UNUSED_PAD src0_sel:WORD_1 src1_sel:DWORD
	v_mov_b32_e32 v3, 8
	v_or_b32_sdwa v37, v4, v2 dst_sel:WORD_1 dst_unused:UNUSED_PAD src0_sel:DWORD src1_sel:DWORD
	v_lshrrev_b32_sdwa v37, v3, v1 dst_sel:BYTE_1 dst_unused:UNUSED_PRESERVE src0_sel:DWORD src1_sel:DWORD
                                        ; implicit-def: $vgpr2
                                        ; implicit-def: $vgpr1
; %bb.105:
	s_or_saveexec_b64 s[4:5], s[2:3]
	v_mov_b32_e32 v38, 0
	s_xor_b64 exec, exec, s[4:5]
	s_cbranch_execz .LBB1989_109
; %bb.106:
	v_add_u32_e32 v3, s37, v29
	v_add_u32_e32 v4, s39, v29
	v_mul_lo_u32 v3, v3, s36
	v_mul_lo_u32 v4, v4, s38
	s_mov_b64 s[8:9], 0
	v_sub_u32_e32 v3, v3, v4
	v_cmp_lt_u32_e32 vcc, s40, v3
	v_cmp_ge_u32_e64 s[2:3], s40, v3
	s_and_saveexec_b64 s[10:11], s[2:3]
	s_cbranch_execz .LBB1989_108
; %bb.107:
	v_add_u32_e32 v3, s42, v29
	v_add_u32_e32 v4, s58, v29
	v_mul_lo_u32 v3, v3, s41
	v_mul_lo_u32 v4, v4, s43
	v_sub_u32_e32 v3, v3, v4
	v_cmp_lt_u32_e64 s[2:3], s59, v3
	s_and_b64 s[8:9], s[2:3], exec
.LBB1989_108:
	s_or_b64 exec, exec, s[10:11]
	s_movk_i32 s2, 0xff
	v_lshlrev_b16_e32 v2, 8, v2
	v_and_b32_sdwa v4, v1, s2 dst_sel:DWORD dst_unused:UNUSED_PAD src0_sel:WORD_1 src1_sel:DWORD
	v_or_b32_sdwa v2, v4, v2 dst_sel:WORD_1 dst_unused:UNUSED_PAD src0_sel:DWORD src1_sel:DWORD
	v_mov_b32_e32 v4, 8
	v_cndmask_b32_e64 v3, 0, 1, vcc
	v_lshrrev_b32_sdwa v1, v4, v1 dst_sel:BYTE_1 dst_unused:UNUSED_PAD src0_sel:DWORD src1_sel:DWORD
	v_or_b32_e32 v1, v3, v1
	v_cndmask_b32_e64 v38, 0, 1, s[8:9]
	v_or_b32_sdwa v37, v1, v2 dst_sel:DWORD dst_unused:UNUSED_PAD src0_sel:WORD_0 src1_sel:DWORD
.LBB1989_109:
	s_or_b64 exec, exec, s[4:5]
.LBB1989_110:
	v_and_b32_e32 v48, 0xff, v31
	v_bfe_u32 v45, v31, 8, 8
	v_bfe_u32 v50, v31, 16, 8
	v_lshrrev_b32_e32 v43, 24, v31
	v_and_b32_e32 v51, 0xff, v33
	v_add3_u32 v4, v45, v48, v50
	v_bfe_u32 v46, v33, 8, 8
	v_bfe_u32 v53, v33, 16, 8
	v_add3_u32 v4, v4, v43, v51
	v_bfe_u32 v49, v37, 8, 8
	v_bfe_u32 v57, v37, 16, 8
	v_lshrrev_b32_e32 v44, 24, v37
	v_lshrrev_b32_e32 v41, 24, v33
	v_and_b32_e32 v54, 0xff, v36
	v_add3_u32 v4, v4, v46, v53
	v_and_b32_e32 v58, 0xff, v32
	v_bfe_u32 v52, v32, 8, 8
	v_bfe_u32 v47, v36, 8, 8
	;; [unrolled: 1-line block ×3, first 2 shown]
	v_add3_u32 v3, v57, v49, v44
	v_add3_u32 v4, v4, v41, v54
	v_bfe_u32 v59, v32, 16, 8
	v_lshrrev_b32_e32 v42, 24, v32
	v_lshrrev_b32_e32 v39, 24, v36
	v_and_b32_e32 v1, 0xff, v37
	v_add3_u32 v3, v3, v58, v52
	v_add3_u32 v4, v4, v47, v56
	v_and_b32_e32 v60, 0xff, v34
	v_bfe_u32 v55, v34, 8, 8
	v_add3_u32 v3, v3, v59, v42
	v_add3_u32 v68, v4, v39, v1
	v_mbcnt_lo_u32_b32 v1, -1, 0
	v_bfe_u32 v61, v34, 16, 8
	v_lshrrev_b32_e32 v40, 24, v34
	v_add3_u32 v3, v3, v60, v55
	v_mbcnt_hi_u32_b32 v63, -1, v1
	v_and_b32_e32 v62, 0xff, v35
	v_and_b32_e32 v2, 0xff, v38
	v_add3_u32 v3, v3, v61, v40
	v_and_b32_e32 v67, 15, v63
	s_cmp_lg_u32 s6, 0
	v_add3_u32 v69, v3, v62, v2
	v_cmp_eq_u32_e64 s[4:5], 0, v67
	v_cmp_lt_u32_e64 s[2:3], 1, v67
	v_cmp_lt_u32_e64 s[8:9], 3, v67
	v_cmp_lt_u32_e64 s[10:11], 7, v67
	v_and_b32_e32 v66, 16, v63
	v_cmp_lt_u32_e32 vcc, 31, v63
	v_lshrrev_b32_e32 v64, 6, v0
	v_or_b32_e32 v65, 63, v0
	s_cbranch_scc0 .LBB1989_132
; %bb.111:
	v_mov_b32_dpp v1, v68 row_shr:1 row_mask:0xf bank_mask:0xf
	v_mov_b32_dpp v2, v69 row_shr:1 row_mask:0xf bank_mask:0xf
	v_add_u32_e32 v1, v1, v68
	v_add_u32_e32 v2, v2, v69
	v_cndmask_b32_e64 v2, v2, v69, s[4:5]
	v_cndmask_b32_e64 v1, v1, v68, s[4:5]
	s_nop 0
	v_mov_b32_dpp v4, v2 row_shr:2 row_mask:0xf bank_mask:0xf
	v_mov_b32_dpp v3, v1 row_shr:2 row_mask:0xf bank_mask:0xf
	v_add_u32_e32 v3, v1, v3
	v_add_u32_e32 v4, v2, v4
	v_cndmask_b32_e64 v2, v2, v4, s[2:3]
	v_cndmask_b32_e64 v1, v1, v3, s[2:3]
	s_nop 0
	v_mov_b32_dpp v4, v2 row_shr:4 row_mask:0xf bank_mask:0xf
	v_mov_b32_dpp v3, v1 row_shr:4 row_mask:0xf bank_mask:0xf
	v_add_u32_e32 v3, v1, v3
	v_add_u32_e32 v4, v2, v4
	v_cndmask_b32_e64 v2, v2, v4, s[8:9]
	v_cndmask_b32_e64 v1, v1, v3, s[8:9]
	v_cmp_eq_u32_e64 s[8:9], 0, v66
	v_mov_b32_dpp v4, v2 row_shr:8 row_mask:0xf bank_mask:0xf
	v_mov_b32_dpp v3, v1 row_shr:8 row_mask:0xf bank_mask:0xf
	v_add_u32_e32 v3, v1, v3
	v_add_u32_e32 v4, v2, v4
	v_cndmask_b32_e64 v2, v2, v4, s[10:11]
	v_cndmask_b32_e64 v3, v1, v3, s[10:11]
	s_nop 0
	v_mov_b32_dpp v4, v2 row_bcast:15 row_mask:0xf bank_mask:0xf
	v_mov_b32_dpp v1, v3 row_bcast:15 row_mask:0xf bank_mask:0xf
	v_add_u32_e32 v5, v3, v1
	v_add_u32_e32 v1, v2, v4
	v_cndmask_b32_e64 v1, v1, v2, s[8:9]
	v_cndmask_b32_e64 v2, v5, v3, s[8:9]
	v_cmp_eq_u32_e64 s[8:9], v0, v65
	v_mov_b32_dpp v3, v1 row_bcast:31 row_mask:0xf bank_mask:0xf
	v_mov_b32_dpp v4, v2 row_bcast:31 row_mask:0xf bank_mask:0xf
	v_add_u32_e32 v3, v1, v3
	v_add_u32_e32 v4, v2, v4
	s_and_saveexec_b64 s[10:11], s[8:9]
; %bb.112:
	v_lshlrev_b32_e32 v7, 3, v64
	v_cndmask_b32_e32 v6, v1, v3, vcc
	v_cndmask_b32_e32 v5, v2, v4, vcc
	ds_write_b64 v7, v[5:6]
; %bb.113:
	s_or_b64 exec, exec, s[10:11]
	v_cmp_gt_u32_e64 s[8:9], 4, v0
	s_waitcnt lgkmcnt(0)
	s_barrier
	s_and_saveexec_b64 s[10:11], s[8:9]
	s_cbranch_execz .LBB1989_115
; %bb.114:
	v_lshlrev_b32_e32 v7, 3, v0
	ds_read_b64 v[5:6], v7
	v_and_b32_e32 v8, 3, v63
	v_cmp_eq_u32_e64 s[8:9], 0, v8
	s_waitcnt lgkmcnt(0)
	v_mov_b32_dpp v21, v5 row_shr:1 row_mask:0xf bank_mask:0xf
	v_mov_b32_dpp v22, v6 row_shr:1 row_mask:0xf bank_mask:0xf
	v_add_u32_e32 v21, v21, v5
	v_add_u32_e32 v22, v22, v6
	v_cndmask_b32_e64 v6, v22, v6, s[8:9]
	v_cndmask_b32_e64 v5, v21, v5, s[8:9]
	v_cmp_lt_u32_e64 s[8:9], 1, v8
	v_mov_b32_dpp v22, v6 row_shr:2 row_mask:0xf bank_mask:0xf
	v_mov_b32_dpp v21, v5 row_shr:2 row_mask:0xf bank_mask:0xf
	v_cndmask_b32_e64 v8, 0, v21, s[8:9]
	v_cndmask_b32_e64 v21, 0, v22, s[8:9]
	v_add_u32_e32 v6, v21, v6
	v_add_u32_e32 v5, v8, v5
	ds_write_b64 v7, v[5:6]
.LBB1989_115:
	s_or_b64 exec, exec, s[10:11]
	v_cndmask_b32_e32 v1, v1, v3, vcc
	v_cndmask_b32_e32 v2, v2, v4, vcc
	v_cmp_gt_u32_e32 vcc, 64, v0
	v_cmp_lt_u32_e64 s[8:9], 63, v0
	s_waitcnt lgkmcnt(0)
	s_barrier
                                        ; implicit-def: $vgpr21
	s_and_saveexec_b64 s[10:11], s[8:9]
	s_cbranch_execz .LBB1989_117
; %bb.116:
	v_lshl_add_u32 v3, v64, 3, -8
	ds_read_b64 v[21:22], v3
	s_waitcnt lgkmcnt(0)
	v_add_u32_e32 v1, v22, v1
	v_add_u32_e32 v2, v21, v2
.LBB1989_117:
	s_or_b64 exec, exec, s[10:11]
	v_subrev_co_u32_e64 v3, s[8:9], 1, v63
	v_and_b32_e32 v4, 64, v63
	v_cmp_lt_i32_e64 s[10:11], v3, v4
	v_cndmask_b32_e64 v3, v3, v63, s[10:11]
	v_lshlrev_b32_e32 v3, 2, v3
	ds_bpermute_b32 v70, v3, v2
	ds_bpermute_b32 v71, v3, v1
	s_and_saveexec_b64 s[10:11], vcc
	s_cbranch_execz .LBB1989_137
; %bb.118:
	v_mov_b32_e32 v4, 0
	ds_read_b64 v[1:2], v4 offset:24
	s_and_saveexec_b64 s[14:15], s[8:9]
	s_cbranch_execz .LBB1989_120
; %bb.119:
	s_add_i32 s16, s6, 64
	s_mov_b32 s17, 0
	s_lshl_b64 s[16:17], s[16:17], 4
	s_add_u32 s16, s12, s16
	s_addc_u32 s17, s13, s17
	v_mov_b32_e32 v5, s16
	v_mov_b32_e32 v3, 1
	;; [unrolled: 1-line block ×3, first 2 shown]
	s_waitcnt lgkmcnt(0)
	;;#ASMSTART
	global_store_dwordx4 v[5:6], v[1:4] off	
s_waitcnt vmcnt(0)
	;;#ASMEND
.LBB1989_120:
	s_or_b64 exec, exec, s[14:15]
	v_xad_u32 v23, v63, -1, s6
	v_add_u32_e32 v3, 64, v23
	v_lshlrev_b64 v[5:6], 4, v[3:4]
	v_mov_b32_e32 v3, s13
	v_add_co_u32_e32 v24, vcc, s12, v5
	v_addc_co_u32_e32 v25, vcc, v3, v6, vcc
	;;#ASMSTART
	global_load_dwordx4 v[5:8], v[24:25] off glc	
s_waitcnt vmcnt(0)
	;;#ASMEND
	v_cmp_eq_u16_sdwa s[16:17], v7, v4 src0_sel:BYTE_0 src1_sel:DWORD
	s_and_saveexec_b64 s[14:15], s[16:17]
	s_cbranch_execz .LBB1989_124
; %bb.121:
	s_mov_b64 s[16:17], 0
	v_mov_b32_e32 v3, 0
.LBB1989_122:                           ; =>This Inner Loop Header: Depth=1
	;;#ASMSTART
	global_load_dwordx4 v[5:8], v[24:25] off glc	
s_waitcnt vmcnt(0)
	;;#ASMEND
	v_cmp_ne_u16_sdwa s[20:21], v7, v3 src0_sel:BYTE_0 src1_sel:DWORD
	s_or_b64 s[16:17], s[20:21], s[16:17]
	s_andn2_b64 exec, exec, s[16:17]
	s_cbranch_execnz .LBB1989_122
; %bb.123:
	s_or_b64 exec, exec, s[16:17]
.LBB1989_124:
	s_or_b64 exec, exec, s[14:15]
	v_and_b32_e32 v73, 63, v63
	v_cmp_ne_u32_e32 vcc, 63, v73
	v_mov_b32_e32 v72, 2
	v_lshlrev_b64 v[25:26], v63, -1
	v_addc_co_u32_e32 v8, vcc, 0, v63, vcc
	v_cmp_eq_u16_sdwa s[14:15], v7, v72 src0_sel:BYTE_0 src1_sel:DWORD
	v_lshlrev_b32_e32 v74, 2, v8
	v_and_b32_e32 v3, s15, v26
	ds_bpermute_b32 v8, v74, v5
	ds_bpermute_b32 v24, v74, v6
	v_or_b32_e32 v3, 0x80000000, v3
	v_and_b32_e32 v4, s14, v25
	v_ffbl_b32_e32 v3, v3
	v_add_u32_e32 v3, 32, v3
	v_ffbl_b32_e32 v4, v4
	v_min_u32_e32 v3, v4, v3
	s_waitcnt lgkmcnt(1)
	v_add_u32_e32 v4, v8, v5
	s_waitcnt lgkmcnt(0)
	v_add_u32_e32 v8, v24, v6
	v_cmp_lt_u32_e32 vcc, v73, v3
	v_cndmask_b32_e32 v6, v6, v8, vcc
	v_cndmask_b32_e32 v4, v5, v4, vcc
	v_cmp_gt_u32_e32 vcc, 62, v73
	v_cndmask_b32_e64 v5, 0, 2, vcc
	v_add_lshl_u32 v75, v5, v63, 2
	ds_bpermute_b32 v5, v75, v4
	ds_bpermute_b32 v8, v75, v6
	v_add_u32_e32 v76, 2, v73
	v_cmp_gt_u32_e32 vcc, v76, v3
	v_add_u32_e32 v78, 4, v73
	s_waitcnt lgkmcnt(1)
	v_add_u32_e32 v5, v4, v5
	s_waitcnt lgkmcnt(0)
	v_add_u32_e32 v8, v6, v8
	v_cndmask_b32_e32 v6, v8, v6, vcc
	v_cndmask_b32_e32 v4, v5, v4, vcc
	v_cmp_gt_u32_e32 vcc, 60, v73
	v_cndmask_b32_e64 v5, 0, 4, vcc
	v_add_lshl_u32 v77, v5, v63, 2
	ds_bpermute_b32 v5, v77, v4
	ds_bpermute_b32 v8, v77, v6
	v_cmp_gt_u32_e32 vcc, v78, v3
	v_add_u32_e32 v80, 8, v73
	v_add_u32_e32 v82, 16, v73
	s_waitcnt lgkmcnt(1)
	v_add_u32_e32 v5, v4, v5
	s_waitcnt lgkmcnt(0)
	v_add_u32_e32 v8, v6, v8
	v_cndmask_b32_e32 v6, v8, v6, vcc
	v_cndmask_b32_e32 v4, v5, v4, vcc
	v_cmp_gt_u32_e32 vcc, 56, v73
	v_cndmask_b32_e64 v5, 0, 8, vcc
	v_add_lshl_u32 v79, v5, v63, 2
	ds_bpermute_b32 v5, v79, v4
	ds_bpermute_b32 v8, v79, v6
	v_cmp_gt_u32_e32 vcc, v80, v3
	v_add_u32_e32 v84, 32, v73
	v_mov_b32_e32 v24, 0
	s_waitcnt lgkmcnt(1)
	v_add_u32_e32 v5, v4, v5
	s_waitcnt lgkmcnt(0)
	v_add_u32_e32 v8, v6, v8
	v_cndmask_b32_e32 v6, v8, v6, vcc
	v_cndmask_b32_e32 v4, v5, v4, vcc
	v_cmp_gt_u32_e32 vcc, 48, v73
	v_cndmask_b32_e64 v5, 0, 16, vcc
	v_add_lshl_u32 v81, v5, v63, 2
	ds_bpermute_b32 v5, v81, v4
	ds_bpermute_b32 v8, v81, v6
	v_cmp_gt_u32_e32 vcc, v82, v3
	s_waitcnt lgkmcnt(1)
	v_add_u32_e32 v5, v4, v5
	s_waitcnt lgkmcnt(0)
	v_add_u32_e32 v8, v6, v8
	v_cndmask_b32_e32 v4, v5, v4, vcc
	v_mov_b32_e32 v5, 0x80
	v_cndmask_b32_e32 v6, v8, v6, vcc
	v_lshl_or_b32 v83, v63, 2, v5
	ds_bpermute_b32 v5, v83, v4
	ds_bpermute_b32 v8, v83, v6
	v_cmp_le_u32_e32 vcc, v84, v3
	s_waitcnt lgkmcnt(1)
	v_cndmask_b32_e32 v3, 0, v5, vcc
	s_waitcnt lgkmcnt(0)
	v_cndmask_b32_e32 v5, 0, v8, vcc
	v_add_u32_e32 v6, v6, v5
	v_add_u32_e32 v5, v4, v3
	s_branch .LBB1989_128
.LBB1989_125:                           ;   in Loop: Header=BB1989_128 Depth=1
	s_or_b64 exec, exec, s[16:17]
.LBB1989_126:                           ;   in Loop: Header=BB1989_128 Depth=1
	s_or_b64 exec, exec, s[14:15]
	v_cmp_eq_u16_sdwa s[14:15], v7, v72 src0_sel:BYTE_0 src1_sel:DWORD
	v_and_b32_e32 v8, s15, v26
	ds_bpermute_b32 v28, v74, v5
	ds_bpermute_b32 v85, v74, v6
	v_or_b32_e32 v8, 0x80000000, v8
	v_and_b32_e32 v27, s14, v25
	v_ffbl_b32_e32 v8, v8
	v_add_u32_e32 v8, 32, v8
	v_ffbl_b32_e32 v27, v27
	v_min_u32_e32 v8, v27, v8
	s_waitcnt lgkmcnt(1)
	v_add_u32_e32 v27, v28, v5
	s_waitcnt lgkmcnt(0)
	v_add_u32_e32 v28, v85, v6
	v_cmp_lt_u32_e32 vcc, v73, v8
	v_cndmask_b32_e32 v6, v6, v28, vcc
	v_cndmask_b32_e32 v5, v5, v27, vcc
	ds_bpermute_b32 v27, v75, v5
	ds_bpermute_b32 v28, v75, v6
	v_cmp_gt_u32_e32 vcc, v76, v8
	v_subrev_u32_e32 v23, 64, v23
	s_mov_b64 s[14:15], 0
	s_waitcnt lgkmcnt(1)
	v_add_u32_e32 v27, v5, v27
	s_waitcnt lgkmcnt(0)
	v_add_u32_e32 v28, v6, v28
	v_cndmask_b32_e32 v6, v28, v6, vcc
	v_cndmask_b32_e32 v5, v27, v5, vcc
	ds_bpermute_b32 v27, v77, v5
	ds_bpermute_b32 v28, v77, v6
	v_cmp_gt_u32_e32 vcc, v78, v8
	s_waitcnt lgkmcnt(1)
	v_add_u32_e32 v27, v5, v27
	s_waitcnt lgkmcnt(0)
	v_add_u32_e32 v28, v6, v28
	v_cndmask_b32_e32 v6, v28, v6, vcc
	v_cndmask_b32_e32 v5, v27, v5, vcc
	ds_bpermute_b32 v27, v79, v5
	ds_bpermute_b32 v28, v79, v6
	v_cmp_gt_u32_e32 vcc, v80, v8
	;; [unrolled: 9-line block ×3, first 2 shown]
	s_waitcnt lgkmcnt(1)
	v_add_u32_e32 v27, v5, v27
	s_waitcnt lgkmcnt(0)
	v_add_u32_e32 v28, v6, v28
	v_cndmask_b32_e32 v6, v28, v6, vcc
	v_cndmask_b32_e32 v5, v27, v5, vcc
	ds_bpermute_b32 v27, v83, v5
	ds_bpermute_b32 v28, v83, v6
	v_cmp_le_u32_e32 vcc, v84, v8
	s_waitcnt lgkmcnt(1)
	v_cndmask_b32_e32 v8, 0, v27, vcc
	s_waitcnt lgkmcnt(0)
	v_cndmask_b32_e32 v27, 0, v28, vcc
	v_add3_u32 v6, v27, v4, v6
	v_add3_u32 v5, v8, v3, v5
.LBB1989_127:                           ;   in Loop: Header=BB1989_128 Depth=1
	s_and_b64 vcc, exec, s[14:15]
	s_cbranch_vccnz .LBB1989_133
.LBB1989_128:                           ; =>This Loop Header: Depth=1
                                        ;     Child Loop BB1989_131 Depth 2
	v_mov_b32_e32 v3, v5
	v_cmp_ne_u16_sdwa s[14:15], v7, v72 src0_sel:BYTE_0 src1_sel:DWORD
	v_mov_b32_e32 v4, v6
	s_cmp_lg_u64 s[14:15], exec
	s_mov_b64 s[14:15], -1
                                        ; implicit-def: $vgpr7
                                        ; implicit-def: $vgpr5_vgpr6
	s_cbranch_scc1 .LBB1989_127
; %bb.129:                              ;   in Loop: Header=BB1989_128 Depth=1
	v_lshlrev_b64 v[5:6], 4, v[23:24]
	v_mov_b32_e32 v7, s13
	v_add_co_u32_e32 v27, vcc, s12, v5
	v_addc_co_u32_e32 v28, vcc, v7, v6, vcc
	;;#ASMSTART
	global_load_dwordx4 v[5:8], v[27:28] off glc	
s_waitcnt vmcnt(0)
	;;#ASMEND
	v_cmp_eq_u16_sdwa s[16:17], v7, v24 src0_sel:BYTE_0 src1_sel:DWORD
	s_and_saveexec_b64 s[14:15], s[16:17]
	s_cbranch_execz .LBB1989_126
; %bb.130:                              ;   in Loop: Header=BB1989_128 Depth=1
	s_mov_b64 s[16:17], 0
.LBB1989_131:                           ;   Parent Loop BB1989_128 Depth=1
                                        ; =>  This Inner Loop Header: Depth=2
	;;#ASMSTART
	global_load_dwordx4 v[5:8], v[27:28] off glc	
s_waitcnt vmcnt(0)
	;;#ASMEND
	v_cmp_ne_u16_sdwa s[20:21], v7, v24 src0_sel:BYTE_0 src1_sel:DWORD
	s_or_b64 s[16:17], s[20:21], s[16:17]
	s_andn2_b64 exec, exec, s[16:17]
	s_cbranch_execnz .LBB1989_131
	s_branch .LBB1989_125
.LBB1989_132:
                                        ; implicit-def: $vgpr22
                                        ; implicit-def: $vgpr3
                                        ; implicit-def: $vgpr23
	s_cbranch_execnz .LBB1989_138
	s_branch .LBB1989_147
.LBB1989_133:
	s_and_saveexec_b64 s[14:15], s[8:9]
	s_cbranch_execnz .LBB1989_375
; %bb.134:
	s_or_b64 exec, exec, s[14:15]
	s_and_saveexec_b64 s[6:7], s[8:9]
	s_cbranch_execnz .LBB1989_376
.LBB1989_135:
	s_or_b64 exec, exec, s[6:7]
	v_cmp_eq_u32_e32 vcc, 0, v0
	s_and_b64 exec, exec, vcc
.LBB1989_136:
	v_mov_b32_e32 v1, 0
	ds_write_b64 v1, v[3:4] offset:24
.LBB1989_137:
	s_or_b64 exec, exec, s[10:11]
	v_mov_b32_e32 v1, 0
	s_waitcnt lgkmcnt(0)
	s_barrier
	ds_read_b64 v[5:6], v1 offset:24
	v_cndmask_b32_e64 v2, v71, v22, s[8:9]
	v_cndmask_b32_e64 v3, v70, v21, s[8:9]
	s_waitcnt lgkmcnt(0)
	s_barrier
	v_add_u32_e32 v7, v5, v3
	v_add_u32_e32 v8, v6, v2
	ds_read_b128 v[1:4], v1 offset:13312
	v_cmp_eq_u32_e32 vcc, 0, v0
	v_cndmask_b32_e32 v22, v8, v6, vcc
	v_cndmask_b32_e32 v23, v7, v5, vcc
	s_branch .LBB1989_147
.LBB1989_138:
	s_waitcnt lgkmcnt(0)
	v_mov_b32_dpp v1, v68 row_shr:1 row_mask:0xf bank_mask:0xf
	v_mov_b32_dpp v2, v69 row_shr:1 row_mask:0xf bank_mask:0xf
	v_add_u32_e32 v1, v1, v68
	v_add_u32_e32 v2, v2, v69
	v_cndmask_b32_e64 v2, v2, v69, s[4:5]
	v_cndmask_b32_e64 v1, v1, v68, s[4:5]
	v_cmp_lt_u32_e32 vcc, 3, v67
	v_mov_b32_dpp v4, v2 row_shr:2 row_mask:0xf bank_mask:0xf
	v_mov_b32_dpp v3, v1 row_shr:2 row_mask:0xf bank_mask:0xf
	v_add_u32_e32 v3, v1, v3
	v_add_u32_e32 v4, v2, v4
	v_cndmask_b32_e64 v2, v2, v4, s[2:3]
	v_cndmask_b32_e64 v1, v1, v3, s[2:3]
	v_cmp_eq_u32_e64 s[2:3], v0, v65
	v_mov_b32_dpp v4, v2 row_shr:4 row_mask:0xf bank_mask:0xf
	v_mov_b32_dpp v3, v1 row_shr:4 row_mask:0xf bank_mask:0xf
	v_add_u32_e32 v3, v1, v3
	v_add_u32_e32 v4, v2, v4
	v_cndmask_b32_e32 v2, v2, v4, vcc
	v_cndmask_b32_e32 v1, v1, v3, vcc
	v_cmp_lt_u32_e32 vcc, 7, v67
	v_mov_b32_dpp v4, v2 row_shr:8 row_mask:0xf bank_mask:0xf
	v_mov_b32_dpp v3, v1 row_shr:8 row_mask:0xf bank_mask:0xf
	v_add_u32_e32 v3, v1, v3
	v_add_u32_e32 v4, v2, v4
	v_cndmask_b32_e32 v2, v2, v4, vcc
	v_cndmask_b32_e32 v3, v1, v3, vcc
	v_cmp_eq_u32_e32 vcc, 0, v66
	v_mov_b32_dpp v4, v2 row_bcast:15 row_mask:0xf bank_mask:0xf
	v_mov_b32_dpp v1, v3 row_bcast:15 row_mask:0xf bank_mask:0xf
	v_add_u32_e32 v5, v3, v1
	v_add_u32_e32 v1, v2, v4
	v_cndmask_b32_e32 v1, v1, v2, vcc
	v_cndmask_b32_e32 v2, v5, v3, vcc
	v_cmp_lt_u32_e32 vcc, 31, v63
	v_mov_b32_dpp v3, v1 row_bcast:31 row_mask:0xf bank_mask:0xf
	v_mov_b32_dpp v4, v2 row_bcast:31 row_mask:0xf bank_mask:0xf
	v_add_u32_e32 v3, v1, v3
	v_add_u32_e32 v4, v2, v4
	s_and_saveexec_b64 s[4:5], s[2:3]
; %bb.139:
	v_cndmask_b32_e32 v5, v2, v4, vcc
	v_cndmask_b32_e32 v6, v1, v3, vcc
	v_lshlrev_b32_e32 v7, 3, v64
	ds_write_b64 v7, v[5:6]
; %bb.140:
	s_or_b64 exec, exec, s[4:5]
	v_cmp_gt_u32_e64 s[2:3], 4, v0
	s_waitcnt lgkmcnt(0)
	s_barrier
	s_and_saveexec_b64 s[4:5], s[2:3]
	s_cbranch_execz .LBB1989_142
; %bb.141:
	v_lshlrev_b32_e32 v7, 3, v0
	ds_read_b64 v[5:6], v7
	v_and_b32_e32 v8, 3, v63
	v_cmp_eq_u32_e64 s[2:3], 0, v8
	s_waitcnt lgkmcnt(0)
	v_mov_b32_dpp v21, v5 row_shr:1 row_mask:0xf bank_mask:0xf
	v_mov_b32_dpp v22, v6 row_shr:1 row_mask:0xf bank_mask:0xf
	v_add_u32_e32 v21, v21, v5
	v_add_u32_e32 v22, v22, v6
	v_cndmask_b32_e64 v6, v22, v6, s[2:3]
	v_cndmask_b32_e64 v5, v21, v5, s[2:3]
	v_cmp_lt_u32_e64 s[2:3], 1, v8
	v_mov_b32_dpp v22, v6 row_shr:2 row_mask:0xf bank_mask:0xf
	v_mov_b32_dpp v21, v5 row_shr:2 row_mask:0xf bank_mask:0xf
	v_cndmask_b32_e64 v8, 0, v21, s[2:3]
	v_cndmask_b32_e64 v21, 0, v22, s[2:3]
	v_add_u32_e32 v6, v21, v6
	v_add_u32_e32 v5, v8, v5
	ds_write_b64 v7, v[5:6]
.LBB1989_142:
	s_or_b64 exec, exec, s[4:5]
	v_cmp_lt_u32_e64 s[2:3], 63, v0
	v_mov_b32_e32 v7, 0
	v_mov_b32_e32 v5, 0
	;; [unrolled: 1-line block ×3, first 2 shown]
	s_waitcnt lgkmcnt(0)
	s_barrier
	s_and_saveexec_b64 s[4:5], s[2:3]
; %bb.143:
	v_lshl_add_u32 v5, v64, 3, -8
	ds_read_b64 v[5:6], v5
; %bb.144:
	s_or_b64 exec, exec, s[4:5]
	v_cndmask_b32_e32 v2, v2, v4, vcc
	v_cndmask_b32_e32 v1, v1, v3, vcc
	v_subrev_co_u32_e32 v3, vcc, 1, v63
	v_and_b32_e32 v4, 64, v63
	v_cmp_lt_i32_e64 s[2:3], v3, v4
	v_cndmask_b32_e64 v3, v3, v63, s[2:3]
	s_waitcnt lgkmcnt(0)
	v_add_u32_e32 v1, v6, v1
	v_add_u32_e32 v2, v5, v2
	v_lshlrev_b32_e32 v3, 2, v3
	ds_bpermute_b32 v8, v3, v2
	ds_bpermute_b32 v21, v3, v1
	ds_read_b64 v[1:2], v7 offset:24
	v_cmp_eq_u32_e64 s[2:3], 0, v0
	s_and_saveexec_b64 s[4:5], s[2:3]
	s_cbranch_execz .LBB1989_146
; %bb.145:
	s_add_u32 s6, s12, 0x400
	s_addc_u32 s7, s13, 0
	v_mov_b32_e32 v23, s7
	v_mov_b32_e32 v3, 2
	;; [unrolled: 1-line block ×4, first 2 shown]
	s_waitcnt lgkmcnt(0)
	;;#ASMSTART
	global_store_dwordx4 v[22:23], v[1:4] off	
s_waitcnt vmcnt(0)
	;;#ASMEND
.LBB1989_146:
	s_or_b64 exec, exec, s[4:5]
	s_waitcnt lgkmcnt(2)
	v_cndmask_b32_e32 v3, v8, v5, vcc
	s_waitcnt lgkmcnt(1)
	v_cndmask_b32_e32 v4, v21, v6, vcc
	v_cndmask_b32_e64 v22, v4, 0, s[2:3]
	v_cndmask_b32_e64 v23, v3, 0, s[2:3]
	v_mov_b32_e32 v4, 0
	v_mov_b32_e32 v3, 0
	s_waitcnt lgkmcnt(0)
	s_barrier
.LBB1989_147:
	v_mov_b32_e32 v6, s49
	s_waitcnt lgkmcnt(0)
	v_add_co_u32_e32 v5, vcc, s48, v3
	v_addc_co_u32_e32 v6, vcc, 0, v6, vcc
	v_mov_b32_e32 v27, s51
	v_sub_co_u32_e32 v28, vcc, s50, v1
	v_subbrev_co_u32_e32 v69, vcc, 0, v27, vcc
	v_add_co_u32_e32 v27, vcc, v28, v4
	v_add_u32_e32 v49, v22, v49
	v_addc_co_u32_e32 v28, vcc, 0, v69, vcc
	v_lshlrev_b32_e32 v69, 1, v1
	v_sub_u32_e32 v22, v22, v4
	v_lshrrev_b32_e32 v26, 8, v37
	v_add_u32_e32 v48, v23, v48
	v_add_u32_e32 v70, v69, v2
	v_sub_u32_e32 v23, v23, v3
	v_add_u32_e32 v22, v22, v1
	v_add_u32_e32 v30, v70, v30
	v_and_b32_e32 v26, 1, v26
	v_add_u32_e32 v71, v23, v22
	v_and_b32_e32 v70, 1, v31
	v_sub_u32_e32 v71, v30, v71
	v_cmp_eq_u32_e32 vcc, 1, v26
	v_cndmask_b32_e32 v22, v71, v22, vcc
	v_cmp_eq_u32_e32 vcc, 1, v70
	v_cndmask_b32_e32 v22, v22, v23, vcc
	v_lshlrev_b32_e32 v22, 2, v22
	v_sub_u32_e32 v23, v49, v4
	v_lshrrev_b32_e32 v25, 8, v31
	ds_write_b32 v22, v19
	v_sub_u32_e32 v19, v48, v3
	v_add_u32_e32 v23, v23, v1
	v_add_u32_e32 v45, v48, v45
	v_and_b32_e32 v22, 1, v25
	v_mov_b32_e32 v25, 1
	v_add_u32_e32 v48, v23, v19
	v_and_b32_sdwa v26, v25, v37 dst_sel:DWORD dst_unused:UNUSED_PAD src0_sel:DWORD src1_sel:WORD_1
	v_sub_u32_e32 v48, v30, v48
	v_add_u32_e32 v48, 1, v48
	v_cmp_eq_u32_e32 vcc, 1, v26
	v_cndmask_b32_e32 v23, v48, v23, vcc
	v_cmp_eq_u32_e32 vcc, 1, v22
	v_add_u32_e32 v57, v49, v57
	v_cndmask_b32_e32 v19, v23, v19, vcc
	v_lshlrev_b32_e32 v19, 2, v19
	v_sub_u32_e32 v22, v57, v4
	ds_write_b32 v19, v20
	v_sub_u32_e32 v19, v45, v3
	v_add_u32_e32 v22, v22, v1
	v_add_u32_e32 v26, v22, v19
	v_and_b32_e32 v23, 1, v44
	v_sub_u32_e32 v26, v30, v26
	v_and_b32_sdwa v20, v25, v31 dst_sel:DWORD dst_unused:UNUSED_PAD src0_sel:DWORD src1_sel:WORD_1
	v_add_u32_e32 v26, 2, v26
	v_cmp_eq_u32_e32 vcc, 1, v23
	v_cndmask_b32_e32 v22, v26, v22, vcc
	v_cmp_eq_u32_e32 vcc, 1, v20
	v_add_u32_e32 v63, v57, v44
	v_cndmask_b32_e32 v19, v22, v19, vcc
	v_add_u32_e32 v50, v45, v50
	v_lshlrev_b32_e32 v19, 2, v19
	v_sub_u32_e32 v20, v63, v4
	ds_write_b32 v19, v17
	v_sub_u32_e32 v17, v50, v3
	v_add_u32_e32 v20, v20, v1
	v_add_u32_e32 v23, v17, v20
	v_and_b32_e32 v22, 1, v32
	v_sub_u32_e32 v23, v30, v23
	v_and_b32_e32 v19, 1, v43
	v_add_u32_e32 v23, 3, v23
	v_cmp_eq_u32_e32 vcc, 1, v22
	v_cndmask_b32_e32 v20, v23, v20, vcc
	v_cmp_eq_u32_e32 vcc, 1, v19
	v_add_u32_e32 v58, v63, v58
	v_cndmask_b32_e32 v17, v20, v17, vcc
	v_add_u32_e32 v64, v50, v43
	v_lshlrev_b32_e32 v17, 2, v17
	v_sub_u32_e32 v19, v58, v4
	ds_write_b32 v17, v18
	v_sub_u32_e32 v17, v64, v3
	v_add_u32_e32 v19, v19, v1
	v_lshrrev_b32_e32 v24, 8, v32
	v_add_u32_e32 v22, v17, v19
	v_and_b32_e32 v20, 1, v24
	v_sub_u32_e32 v22, v30, v22
	v_and_b32_e32 v18, 1, v33
	v_add_u32_e32 v22, 4, v22
	v_cmp_eq_u32_e32 vcc, 1, v20
	v_cndmask_b32_e32 v19, v22, v19, vcc
	v_cmp_eq_u32_e32 vcc, 1, v18
	v_add_u32_e32 v52, v58, v52
	v_cndmask_b32_e32 v17, v19, v17, vcc
	v_add_u32_e32 v51, v64, v51
	v_lshlrev_b32_e32 v17, 2, v17
	v_sub_u32_e32 v18, v52, v4
	ds_write_b32 v17, v15
	v_sub_u32_e32 v15, v51, v3
	v_add_u32_e32 v18, v18, v1
	v_add_u32_e32 v20, v15, v18
	v_lshrrev_b32_e32 v21, 8, v33
	v_and_b32_sdwa v19, v25, v32 dst_sel:DWORD dst_unused:UNUSED_PAD src0_sel:DWORD src1_sel:WORD_1
	v_sub_u32_e32 v20, v30, v20
	v_and_b32_e32 v17, 1, v21
	v_add_u32_e32 v20, 5, v20
	v_cmp_eq_u32_e32 vcc, 1, v19
	v_cndmask_b32_e32 v18, v20, v18, vcc
	v_cmp_eq_u32_e32 vcc, 1, v17
	v_add_u32_e32 v59, v52, v59
	v_cndmask_b32_e32 v15, v18, v15, vcc
	v_add_u32_e32 v46, v51, v46
	v_lshlrev_b32_e32 v15, 2, v15
	v_sub_u32_e32 v17, v59, v4
	ds_write_b32 v15, v16
	v_sub_u32_e32 v15, v46, v3
	v_add_u32_e32 v17, v17, v1
	v_add_u32_e32 v19, v15, v17
	v_and_b32_e32 v18, 1, v42
	v_sub_u32_e32 v19, v30, v19
	v_and_b32_sdwa v16, v25, v33 dst_sel:DWORD dst_unused:UNUSED_PAD src0_sel:DWORD src1_sel:WORD_1
	v_add_u32_e32 v19, 6, v19
	v_cmp_eq_u32_e32 vcc, 1, v18
	v_cndmask_b32_e32 v17, v19, v17, vcc
	v_cmp_eq_u32_e32 vcc, 1, v16
	v_add_u32_e32 v65, v59, v42
	v_cndmask_b32_e32 v15, v17, v15, vcc
	v_add_u32_e32 v53, v46, v53
	v_lshlrev_b32_e32 v15, 2, v15
	v_sub_u32_e32 v16, v65, v4
	ds_write_b32 v15, v13
	v_sub_u32_e32 v13, v53, v3
	v_add_u32_e32 v16, v16, v1
	v_add_u32_e32 v18, v13, v16
	v_and_b32_e32 v17, 1, v34
	v_sub_u32_e32 v18, v30, v18
	v_and_b32_e32 v15, 1, v41
	v_add_u32_e32 v18, 7, v18
	v_cmp_eq_u32_e32 vcc, 1, v17
	v_cndmask_b32_e32 v16, v18, v16, vcc
	v_cmp_eq_u32_e32 vcc, 1, v15
	v_add_u32_e32 v60, v65, v60
	v_cndmask_b32_e32 v13, v16, v13, vcc
	v_add_u32_e32 v66, v53, v41
	v_lshlrev_b32_e32 v13, 2, v13
	v_sub_u32_e32 v15, v60, v4
	ds_write_b32 v13, v14
	v_sub_u32_e32 v13, v66, v3
	v_add_u32_e32 v15, v15, v1
	v_lshrrev_b32_e32 v8, 8, v34
	v_add_u32_e32 v16, v13, v15
	v_and_b32_e32 v8, 1, v8
	v_sub_u32_e32 v16, v30, v16
	v_and_b32_e32 v14, 1, v36
	v_add_u32_e32 v16, 8, v16
	v_cmp_eq_u32_e32 vcc, 1, v8
	v_cndmask_b32_e32 v8, v16, v15, vcc
	v_cmp_eq_u32_e32 vcc, 1, v14
	v_cndmask_b32_e32 v8, v8, v13, vcc
	v_add_u32_e32 v55, v60, v55
	v_lshlrev_b32_e32 v8, 2, v8
	v_add_u32_e32 v54, v66, v54
	ds_write_b32 v8, v11
	v_sub_u32_e32 v11, v55, v4
	v_sub_u32_e32 v8, v54, v3
	v_add_u32_e32 v11, v11, v1
	v_add_u32_e32 v14, v8, v11
	v_lshrrev_b32_e32 v7, 8, v36
	v_and_b32_sdwa v13, v25, v34 dst_sel:DWORD dst_unused:UNUSED_PAD src0_sel:DWORD src1_sel:WORD_1
	v_sub_u32_e32 v14, v30, v14
	v_and_b32_e32 v7, 1, v7
	v_add_u32_e32 v14, 9, v14
	v_cmp_eq_u32_e32 vcc, 1, v13
	v_cndmask_b32_e32 v11, v14, v11, vcc
	v_cmp_eq_u32_e32 vcc, 1, v7
	v_add_u32_e32 v61, v55, v61
	v_cndmask_b32_e32 v7, v11, v8, vcc
	v_add_u32_e32 v47, v54, v47
	v_lshlrev_b32_e32 v7, 2, v7
	v_sub_u32_e32 v11, v61, v4
	ds_write_b32 v7, v12
	v_sub_u32_e32 v7, v47, v3
	v_add_u32_e32 v11, v11, v1
	v_add_u32_e32 v13, v7, v11
	v_and_b32_e32 v12, 1, v40
	v_sub_u32_e32 v13, v30, v13
	v_and_b32_sdwa v8, v25, v36 dst_sel:DWORD dst_unused:UNUSED_PAD src0_sel:DWORD src1_sel:WORD_1
	v_add_u32_e32 v13, 10, v13
	v_cmp_eq_u32_e32 vcc, 1, v12
	v_cndmask_b32_e32 v11, v13, v11, vcc
	v_cmp_eq_u32_e32 vcc, 1, v8
	v_cndmask_b32_e32 v7, v11, v7, vcc
	v_add_u32_e32 v67, v61, v40
	v_lshlrev_b32_e32 v7, 2, v7
	v_add_u32_e32 v56, v47, v56
	ds_write_b32 v7, v9
	v_sub_u32_e32 v9, v67, v4
	v_sub_u32_e32 v7, v56, v3
	v_add_u32_e32 v9, v9, v1
	v_add_u32_e32 v12, v7, v9
	v_and_b32_e32 v11, 1, v35
	v_sub_u32_e32 v12, v30, v12
	v_and_b32_e32 v8, 1, v39
	v_add_u32_e32 v12, 11, v12
	v_cmp_eq_u32_e32 vcc, 1, v11
	v_add_u32_e32 v62, v67, v62
	v_cndmask_b32_e32 v9, v12, v9, vcc
	v_cmp_eq_u32_e32 vcc, 1, v8
	v_add_u32_e32 v68, v56, v39
	v_cndmask_b32_e32 v7, v9, v7, vcc
	v_sub_u32_e32 v8, v62, v4
	v_lshlrev_b32_e32 v7, 2, v7
	v_sub_u32_e32 v3, v68, v3
	v_add_u32_e32 v8, v8, v1
	ds_write_b32 v7, v10
	v_add_u32_e32 v10, v3, v8
	v_and_b32_e32 v9, 1, v38
	v_sub_u32_e32 v10, v30, v10
	v_and_b32_e32 v7, 1, v37
	v_add_u32_e32 v10, 12, v10
	v_cmp_eq_u32_e32 vcc, 1, v9
	v_cndmask_b32_e32 v8, v10, v8, vcc
	v_cmp_eq_u32_e32 vcc, 1, v7
	v_cndmask_b32_e32 v3, v8, v3, vcc
	v_lshlrev_b32_e32 v3, 2, v3
	ds_write_b32 v3, v29
	v_add_co_u32_e32 v3, vcc, v2, v69
	v_addc_co_u32_e64 v7, s[2:3], 0, 0, vcc
	v_add_co_u32_e32 v3, vcc, v3, v27
	v_addc_co_u32_e32 v7, vcc, v7, v28, vcc
	s_add_u32 s4, s56, s33
	v_add_co_u32_e32 v3, vcc, v3, v5
	s_addc_u32 s5, s57, 0
	v_addc_co_u32_e32 v7, vcc, v7, v6, vcc
	v_mov_b32_e32 v8, s5
	v_sub_co_u32_e32 v3, vcc, s4, v3
	v_subb_co_u32_e32 v11, vcc, v8, v7, vcc
	v_lshlrev_b64 v[7:8], 2, v[27:28]
	v_mov_b32_e32 v9, s55
	v_add_co_u32_e32 v7, vcc, s54, v7
	v_addc_co_u32_e32 v8, vcc, v9, v8, vcc
	v_lshlrev_b64 v[9:10], 2, v[5:6]
	v_mov_b32_e32 v13, s53
	v_add_co_u32_e32 v9, vcc, s52, v9
	v_addc_co_u32_e32 v10, vcc, v13, v10, vcc
	v_add_u32_e32 v12, v1, v2
	s_and_b64 vcc, exec, s[0:1]
	s_mov_b64 s[0:1], -1
	s_waitcnt lgkmcnt(0)
	s_barrier
	s_cbranch_vccz .LBB1989_151
; %bb.148:
	s_and_b64 vcc, exec, s[0:1]
	s_cbranch_vccnz .LBB1989_256
.LBB1989_149:
	v_cmp_eq_u32_e32 vcc, 0, v0
	s_and_b64 s[0:1], vcc, s[34:35]
	s_and_saveexec_b64 s[2:3], s[0:1]
	s_cbranch_execnz .LBB1989_374
.LBB1989_150:
	s_endpgm
.LBB1989_151:
	v_cmp_ge_u32_e32 vcc, v0, v1
	s_and_saveexec_b64 s[0:1], vcc
	s_xor_b64 s[0:1], exec, s[0:1]
	s_cbranch_execz .LBB1989_157
; %bb.152:
	v_cmp_ge_u32_e32 vcc, v0, v12
	s_and_saveexec_b64 s[2:3], vcc
	s_xor_b64 s[2:3], exec, s[2:3]
	s_cbranch_execz .LBB1989_154
; %bb.153:
	v_add_co_u32_e32 v13, vcc, v3, v0
	v_lshlrev_b32_e32 v15, 2, v0
	v_addc_co_u32_e32 v14, vcc, 0, v11, vcc
	ds_read_b32 v15, v15
	v_lshlrev_b64 v[13:14], 2, v[13:14]
	v_mov_b32_e32 v16, s47
	v_sub_co_u32_e32 v13, vcc, s46, v13
	v_subb_co_u32_e32 v14, vcc, v16, v14, vcc
	s_waitcnt lgkmcnt(0)
	global_store_dword v[13:14], v15, off offset:-4
.LBB1989_154:
	s_andn2_saveexec_b64 s[2:3], s[2:3]
	s_cbranch_execz .LBB1989_156
; %bb.155:
	v_lshlrev_b32_e32 v13, 2, v0
	ds_read_b32 v14, v13
	v_readfirstlane_b32 s4, v7
	v_readfirstlane_b32 s5, v8
	s_waitcnt lgkmcnt(0)
	s_nop 3
	global_store_dword v13, v14, s[4:5]
.LBB1989_156:
	s_or_b64 exec, exec, s[2:3]
.LBB1989_157:
	s_andn2_saveexec_b64 s[0:1], s[0:1]
	s_cbranch_execz .LBB1989_159
; %bb.158:
	v_lshlrev_b32_e32 v13, 2, v0
	ds_read_b32 v14, v13
	v_readfirstlane_b32 s2, v9
	v_readfirstlane_b32 s3, v10
	s_waitcnt lgkmcnt(0)
	s_nop 3
	global_store_dword v13, v14, s[2:3]
.LBB1989_159:
	s_or_b64 exec, exec, s[0:1]
	v_or_b32_e32 v13, 0x100, v0
	v_cmp_ge_u32_e32 vcc, v13, v1
	s_and_saveexec_b64 s[0:1], vcc
	s_xor_b64 s[0:1], exec, s[0:1]
	s_cbranch_execz .LBB1989_165
; %bb.160:
	v_cmp_ge_u32_e32 vcc, v13, v12
	s_and_saveexec_b64 s[2:3], vcc
	s_xor_b64 s[2:3], exec, s[2:3]
	s_cbranch_execz .LBB1989_162
; %bb.161:
	v_lshlrev_b32_e32 v13, 2, v0
	ds_read_b32 v15, v13 offset:1024
	v_add_co_u32_e32 v13, vcc, v3, v0
	v_addc_co_u32_e32 v14, vcc, 0, v11, vcc
	v_lshlrev_b64 v[13:14], 2, v[13:14]
	v_mov_b32_e32 v16, s47
	v_sub_co_u32_e32 v13, vcc, s46, v13
	v_subb_co_u32_e32 v14, vcc, v16, v14, vcc
	s_waitcnt lgkmcnt(0)
	global_store_dword v[13:14], v15, off offset:-1028
.LBB1989_162:
	s_andn2_saveexec_b64 s[2:3], s[2:3]
	s_cbranch_execz .LBB1989_164
; %bb.163:
	v_lshlrev_b32_e32 v13, 2, v0
	ds_read_b32 v14, v13 offset:1024
	v_readfirstlane_b32 s4, v7
	v_readfirstlane_b32 s5, v8
	s_waitcnt lgkmcnt(0)
	s_nop 3
	global_store_dword v13, v14, s[4:5] offset:1024
.LBB1989_164:
	s_or_b64 exec, exec, s[2:3]
.LBB1989_165:
	s_andn2_saveexec_b64 s[0:1], s[0:1]
	s_cbranch_execz .LBB1989_167
; %bb.166:
	v_lshlrev_b32_e32 v13, 2, v0
	ds_read_b32 v14, v13 offset:1024
	v_readfirstlane_b32 s2, v9
	v_readfirstlane_b32 s3, v10
	s_waitcnt lgkmcnt(0)
	s_nop 3
	global_store_dword v13, v14, s[2:3] offset:1024
.LBB1989_167:
	s_or_b64 exec, exec, s[0:1]
	v_or_b32_e32 v13, 0x200, v0
	v_cmp_ge_u32_e32 vcc, v13, v1
	s_and_saveexec_b64 s[0:1], vcc
	s_xor_b64 s[0:1], exec, s[0:1]
	s_cbranch_execz .LBB1989_173
; %bb.168:
	v_cmp_ge_u32_e32 vcc, v13, v12
	s_and_saveexec_b64 s[2:3], vcc
	s_xor_b64 s[2:3], exec, s[2:3]
	s_cbranch_execz .LBB1989_170
; %bb.169:
	v_lshlrev_b32_e32 v13, 2, v0
	ds_read_b32 v15, v13 offset:2048
	v_add_co_u32_e32 v13, vcc, v3, v0
	v_addc_co_u32_e32 v14, vcc, 0, v11, vcc
	v_lshlrev_b64 v[13:14], 2, v[13:14]
	v_mov_b32_e32 v16, s47
	v_sub_co_u32_e32 v13, vcc, s46, v13
	v_subb_co_u32_e32 v14, vcc, v16, v14, vcc
	s_waitcnt lgkmcnt(0)
	global_store_dword v[13:14], v15, off offset:-2052
.LBB1989_170:
	s_andn2_saveexec_b64 s[2:3], s[2:3]
	s_cbranch_execz .LBB1989_172
; %bb.171:
	v_lshlrev_b32_e32 v13, 2, v0
	ds_read_b32 v14, v13 offset:2048
	v_readfirstlane_b32 s4, v7
	v_readfirstlane_b32 s5, v8
	s_waitcnt lgkmcnt(0)
	s_nop 3
	global_store_dword v13, v14, s[4:5] offset:2048
.LBB1989_172:
	s_or_b64 exec, exec, s[2:3]
.LBB1989_173:
	s_andn2_saveexec_b64 s[0:1], s[0:1]
	s_cbranch_execz .LBB1989_175
; %bb.174:
	v_lshlrev_b32_e32 v13, 2, v0
	ds_read_b32 v14, v13 offset:2048
	v_readfirstlane_b32 s2, v9
	v_readfirstlane_b32 s3, v10
	s_waitcnt lgkmcnt(0)
	s_nop 3
	global_store_dword v13, v14, s[2:3] offset:2048
.LBB1989_175:
	;; [unrolled: 47-line block ×3, first 2 shown]
	s_or_b64 exec, exec, s[0:1]
	v_or_b32_e32 v13, 0x400, v0
	v_cmp_ge_u32_e32 vcc, v13, v1
	s_and_saveexec_b64 s[0:1], vcc
	s_xor_b64 s[0:1], exec, s[0:1]
	s_cbranch_execz .LBB1989_189
; %bb.184:
	v_cmp_ge_u32_e32 vcc, v13, v12
	s_and_saveexec_b64 s[2:3], vcc
	s_xor_b64 s[2:3], exec, s[2:3]
	s_cbranch_execz .LBB1989_186
; %bb.185:
	v_lshlrev_b32_e32 v13, 2, v0
	ds_read_b32 v15, v13 offset:4096
	v_add_co_u32_e32 v13, vcc, v3, v0
	v_addc_co_u32_e32 v14, vcc, 0, v11, vcc
	v_lshlrev_b64 v[13:14], 2, v[13:14]
	v_mov_b32_e32 v16, s47
	v_sub_co_u32_e32 v13, vcc, s46, v13
	v_subb_co_u32_e32 v14, vcc, v16, v14, vcc
	v_add_co_u32_e32 v13, vcc, 0xfffff000, v13
	v_addc_co_u32_e32 v14, vcc, -1, v14, vcc
	s_waitcnt lgkmcnt(0)
	global_store_dword v[13:14], v15, off offset:-4
                                        ; implicit-def: $vgpr13
.LBB1989_186:
	s_andn2_saveexec_b64 s[2:3], s[2:3]
	s_cbranch_execz .LBB1989_188
; %bb.187:
	v_lshlrev_b32_e32 v14, 2, v0
	ds_read_b32 v14, v14 offset:4096
	v_lshlrev_b32_e32 v13, 2, v13
	v_readfirstlane_b32 s4, v7
	v_readfirstlane_b32 s5, v8
	s_waitcnt lgkmcnt(0)
	s_nop 3
	global_store_dword v13, v14, s[4:5]
.LBB1989_188:
	s_or_b64 exec, exec, s[2:3]
                                        ; implicit-def: $vgpr13
.LBB1989_189:
	s_andn2_saveexec_b64 s[0:1], s[0:1]
	s_cbranch_execz .LBB1989_191
; %bb.190:
	v_lshlrev_b32_e32 v14, 2, v0
	ds_read_b32 v14, v14 offset:4096
	v_lshlrev_b32_e32 v13, 2, v13
	v_readfirstlane_b32 s2, v9
	v_readfirstlane_b32 s3, v10
	s_waitcnt lgkmcnt(0)
	s_nop 3
	global_store_dword v13, v14, s[2:3]
.LBB1989_191:
	s_or_b64 exec, exec, s[0:1]
	v_or_b32_e32 v13, 0x500, v0
	v_cmp_ge_u32_e32 vcc, v13, v1
	s_and_saveexec_b64 s[0:1], vcc
	s_xor_b64 s[0:1], exec, s[0:1]
	s_cbranch_execz .LBB1989_197
; %bb.192:
	v_cmp_ge_u32_e32 vcc, v13, v12
	s_and_saveexec_b64 s[2:3], vcc
	s_xor_b64 s[2:3], exec, s[2:3]
	s_cbranch_execz .LBB1989_194
; %bb.193:
	v_add_co_u32_e32 v13, vcc, v3, v13
	v_lshlrev_b32_e32 v15, 2, v0
	v_addc_co_u32_e32 v14, vcc, 0, v11, vcc
	ds_read_b32 v15, v15 offset:5120
	v_lshlrev_b64 v[13:14], 2, v[13:14]
	v_mov_b32_e32 v16, s47
	v_sub_co_u32_e32 v13, vcc, s46, v13
	v_subb_co_u32_e32 v14, vcc, v16, v14, vcc
	s_waitcnt lgkmcnt(0)
	global_store_dword v[13:14], v15, off offset:-4
                                        ; implicit-def: $vgpr13
.LBB1989_194:
	s_andn2_saveexec_b64 s[2:3], s[2:3]
	s_cbranch_execz .LBB1989_196
; %bb.195:
	v_lshlrev_b32_e32 v14, 2, v0
	ds_read_b32 v14, v14 offset:5120
	v_lshlrev_b32_e32 v13, 2, v13
	v_readfirstlane_b32 s4, v7
	v_readfirstlane_b32 s5, v8
	s_waitcnt lgkmcnt(0)
	s_nop 3
	global_store_dword v13, v14, s[4:5]
.LBB1989_196:
	s_or_b64 exec, exec, s[2:3]
                                        ; implicit-def: $vgpr13
.LBB1989_197:
	s_andn2_saveexec_b64 s[0:1], s[0:1]
	s_cbranch_execz .LBB1989_199
; %bb.198:
	v_lshlrev_b32_e32 v14, 2, v0
	ds_read_b32 v14, v14 offset:5120
	v_lshlrev_b32_e32 v13, 2, v13
	v_readfirstlane_b32 s2, v9
	v_readfirstlane_b32 s3, v10
	s_waitcnt lgkmcnt(0)
	s_nop 3
	global_store_dword v13, v14, s[2:3]
.LBB1989_199:
	s_or_b64 exec, exec, s[0:1]
	v_or_b32_e32 v13, 0x600, v0
	v_cmp_ge_u32_e32 vcc, v13, v1
	s_and_saveexec_b64 s[0:1], vcc
	s_xor_b64 s[0:1], exec, s[0:1]
	s_cbranch_execz .LBB1989_205
; %bb.200:
	v_cmp_ge_u32_e32 vcc, v13, v12
	s_and_saveexec_b64 s[2:3], vcc
	s_xor_b64 s[2:3], exec, s[2:3]
	s_cbranch_execz .LBB1989_202
; %bb.201:
	v_add_co_u32_e32 v13, vcc, v3, v13
	v_lshlrev_b32_e32 v15, 2, v0
	v_addc_co_u32_e32 v14, vcc, 0, v11, vcc
	ds_read_b32 v15, v15 offset:6144
	v_lshlrev_b64 v[13:14], 2, v[13:14]
	v_mov_b32_e32 v16, s47
	v_sub_co_u32_e32 v13, vcc, s46, v13
	v_subb_co_u32_e32 v14, vcc, v16, v14, vcc
	s_waitcnt lgkmcnt(0)
	global_store_dword v[13:14], v15, off offset:-4
                                        ; implicit-def: $vgpr13
.LBB1989_202:
	s_andn2_saveexec_b64 s[2:3], s[2:3]
	s_cbranch_execz .LBB1989_204
; %bb.203:
	v_lshlrev_b32_e32 v14, 2, v0
	ds_read_b32 v14, v14 offset:6144
	v_lshlrev_b32_e32 v13, 2, v13
	v_readfirstlane_b32 s4, v7
	v_readfirstlane_b32 s5, v8
	s_waitcnt lgkmcnt(0)
	s_nop 3
	global_store_dword v13, v14, s[4:5]
.LBB1989_204:
	s_or_b64 exec, exec, s[2:3]
                                        ; implicit-def: $vgpr13
.LBB1989_205:
	;; [unrolled: 51-line block ×8, first 2 shown]
	s_andn2_saveexec_b64 s[0:1], s[0:1]
	s_cbranch_execz .LBB1989_255
; %bb.254:
	v_lshlrev_b32_e32 v14, 2, v0
	ds_read_b32 v14, v14 offset:12288
	v_lshlrev_b32_e32 v13, 2, v13
	v_readfirstlane_b32 s2, v9
	v_readfirstlane_b32 s3, v10
	s_waitcnt lgkmcnt(0)
	s_nop 3
	global_store_dword v13, v14, s[2:3]
.LBB1989_255:
	s_or_b64 exec, exec, s[0:1]
	s_branch .LBB1989_149
.LBB1989_256:
	v_cmp_gt_u32_e32 vcc, s18, v0
	s_and_saveexec_b64 s[0:1], vcc
	s_cbranch_execz .LBB1989_265
; %bb.257:
	v_cmp_ge_u32_e32 vcc, v0, v1
	s_and_saveexec_b64 s[2:3], vcc
	s_xor_b64 s[2:3], exec, s[2:3]
	s_cbranch_execz .LBB1989_263
; %bb.258:
	v_cmp_ge_u32_e32 vcc, v0, v12
	s_and_saveexec_b64 s[4:5], vcc
	s_xor_b64 s[4:5], exec, s[4:5]
	s_cbranch_execz .LBB1989_260
; %bb.259:
	v_add_co_u32_e32 v13, vcc, v3, v0
	v_lshlrev_b32_e32 v15, 2, v0
	v_addc_co_u32_e32 v14, vcc, 0, v11, vcc
	ds_read_b32 v15, v15
	v_lshlrev_b64 v[13:14], 2, v[13:14]
	v_mov_b32_e32 v16, s47
	v_sub_co_u32_e32 v13, vcc, s46, v13
	v_subb_co_u32_e32 v14, vcc, v16, v14, vcc
	s_waitcnt lgkmcnt(0)
	global_store_dword v[13:14], v15, off offset:-4
.LBB1989_260:
	s_andn2_saveexec_b64 s[4:5], s[4:5]
	s_cbranch_execz .LBB1989_262
; %bb.261:
	v_lshlrev_b32_e32 v13, 2, v0
	ds_read_b32 v14, v13
	v_readfirstlane_b32 s6, v7
	v_readfirstlane_b32 s7, v8
	s_waitcnt lgkmcnt(0)
	s_nop 3
	global_store_dword v13, v14, s[6:7]
.LBB1989_262:
	s_or_b64 exec, exec, s[4:5]
.LBB1989_263:
	s_andn2_saveexec_b64 s[2:3], s[2:3]
	s_cbranch_execz .LBB1989_265
; %bb.264:
	v_lshlrev_b32_e32 v13, 2, v0
	ds_read_b32 v14, v13
	v_readfirstlane_b32 s2, v9
	v_readfirstlane_b32 s3, v10
	s_waitcnt lgkmcnt(0)
	s_nop 3
	global_store_dword v13, v14, s[2:3]
.LBB1989_265:
	s_or_b64 exec, exec, s[0:1]
	v_or_b32_e32 v13, 0x100, v0
	v_cmp_gt_u32_e32 vcc, s18, v13
	s_and_saveexec_b64 s[0:1], vcc
	s_cbranch_execz .LBB1989_274
; %bb.266:
	v_cmp_ge_u32_e32 vcc, v13, v1
	s_and_saveexec_b64 s[2:3], vcc
	s_xor_b64 s[2:3], exec, s[2:3]
	s_cbranch_execz .LBB1989_272
; %bb.267:
	v_cmp_ge_u32_e32 vcc, v13, v12
	s_and_saveexec_b64 s[4:5], vcc
	s_xor_b64 s[4:5], exec, s[4:5]
	s_cbranch_execz .LBB1989_269
; %bb.268:
	v_lshlrev_b32_e32 v13, 2, v0
	ds_read_b32 v15, v13 offset:1024
	v_add_co_u32_e32 v13, vcc, v3, v0
	v_addc_co_u32_e32 v14, vcc, 0, v11, vcc
	v_lshlrev_b64 v[13:14], 2, v[13:14]
	v_mov_b32_e32 v16, s47
	v_sub_co_u32_e32 v13, vcc, s46, v13
	v_subb_co_u32_e32 v14, vcc, v16, v14, vcc
	s_waitcnt lgkmcnt(0)
	global_store_dword v[13:14], v15, off offset:-1028
.LBB1989_269:
	s_andn2_saveexec_b64 s[4:5], s[4:5]
	s_cbranch_execz .LBB1989_271
; %bb.270:
	v_lshlrev_b32_e32 v13, 2, v0
	ds_read_b32 v14, v13 offset:1024
	v_readfirstlane_b32 s6, v7
	v_readfirstlane_b32 s7, v8
	s_waitcnt lgkmcnt(0)
	s_nop 3
	global_store_dword v13, v14, s[6:7] offset:1024
.LBB1989_271:
	s_or_b64 exec, exec, s[4:5]
.LBB1989_272:
	s_andn2_saveexec_b64 s[2:3], s[2:3]
	s_cbranch_execz .LBB1989_274
; %bb.273:
	v_lshlrev_b32_e32 v13, 2, v0
	ds_read_b32 v14, v13 offset:1024
	v_readfirstlane_b32 s2, v9
	v_readfirstlane_b32 s3, v10
	s_waitcnt lgkmcnt(0)
	s_nop 3
	global_store_dword v13, v14, s[2:3] offset:1024
.LBB1989_274:
	s_or_b64 exec, exec, s[0:1]
	v_or_b32_e32 v13, 0x200, v0
	v_cmp_gt_u32_e32 vcc, s18, v13
	s_and_saveexec_b64 s[0:1], vcc
	s_cbranch_execz .LBB1989_283
; %bb.275:
	v_cmp_ge_u32_e32 vcc, v13, v1
	s_and_saveexec_b64 s[2:3], vcc
	s_xor_b64 s[2:3], exec, s[2:3]
	s_cbranch_execz .LBB1989_281
; %bb.276:
	v_cmp_ge_u32_e32 vcc, v13, v12
	s_and_saveexec_b64 s[4:5], vcc
	s_xor_b64 s[4:5], exec, s[4:5]
	s_cbranch_execz .LBB1989_278
; %bb.277:
	v_lshlrev_b32_e32 v13, 2, v0
	ds_read_b32 v15, v13 offset:2048
	v_add_co_u32_e32 v13, vcc, v3, v0
	v_addc_co_u32_e32 v14, vcc, 0, v11, vcc
	v_lshlrev_b64 v[13:14], 2, v[13:14]
	v_mov_b32_e32 v16, s47
	v_sub_co_u32_e32 v13, vcc, s46, v13
	v_subb_co_u32_e32 v14, vcc, v16, v14, vcc
	s_waitcnt lgkmcnt(0)
	global_store_dword v[13:14], v15, off offset:-2052
.LBB1989_278:
	s_andn2_saveexec_b64 s[4:5], s[4:5]
	s_cbranch_execz .LBB1989_280
; %bb.279:
	v_lshlrev_b32_e32 v13, 2, v0
	ds_read_b32 v14, v13 offset:2048
	v_readfirstlane_b32 s6, v7
	v_readfirstlane_b32 s7, v8
	s_waitcnt lgkmcnt(0)
	s_nop 3
	global_store_dword v13, v14, s[6:7] offset:2048
.LBB1989_280:
	s_or_b64 exec, exec, s[4:5]
.LBB1989_281:
	s_andn2_saveexec_b64 s[2:3], s[2:3]
	s_cbranch_execz .LBB1989_283
; %bb.282:
	v_lshlrev_b32_e32 v13, 2, v0
	ds_read_b32 v14, v13 offset:2048
	v_readfirstlane_b32 s2, v9
	v_readfirstlane_b32 s3, v10
	s_waitcnt lgkmcnt(0)
	s_nop 3
	global_store_dword v13, v14, s[2:3] offset:2048
.LBB1989_283:
	;; [unrolled: 51-line block ×3, first 2 shown]
	s_or_b64 exec, exec, s[0:1]
	v_or_b32_e32 v13, 0x400, v0
	v_cmp_gt_u32_e32 vcc, s18, v13
	s_and_saveexec_b64 s[0:1], vcc
	s_cbranch_execz .LBB1989_301
; %bb.293:
	v_cmp_ge_u32_e32 vcc, v13, v1
	s_and_saveexec_b64 s[2:3], vcc
	s_xor_b64 s[2:3], exec, s[2:3]
	s_cbranch_execz .LBB1989_299
; %bb.294:
	v_cmp_ge_u32_e32 vcc, v13, v12
	s_and_saveexec_b64 s[4:5], vcc
	s_xor_b64 s[4:5], exec, s[4:5]
	s_cbranch_execz .LBB1989_296
; %bb.295:
	v_lshlrev_b32_e32 v13, 2, v0
	ds_read_b32 v15, v13 offset:4096
	v_add_co_u32_e32 v13, vcc, v3, v0
	v_addc_co_u32_e32 v14, vcc, 0, v11, vcc
	v_lshlrev_b64 v[13:14], 2, v[13:14]
	v_mov_b32_e32 v16, s47
	v_sub_co_u32_e32 v13, vcc, s46, v13
	v_subb_co_u32_e32 v14, vcc, v16, v14, vcc
	v_add_co_u32_e32 v13, vcc, 0xfffff000, v13
	v_addc_co_u32_e32 v14, vcc, -1, v14, vcc
	s_waitcnt lgkmcnt(0)
	global_store_dword v[13:14], v15, off offset:-4
                                        ; implicit-def: $vgpr13
.LBB1989_296:
	s_andn2_saveexec_b64 s[4:5], s[4:5]
	s_cbranch_execz .LBB1989_298
; %bb.297:
	v_lshlrev_b32_e32 v14, 2, v0
	ds_read_b32 v14, v14 offset:4096
	v_lshlrev_b32_e32 v13, 2, v13
	v_readfirstlane_b32 s6, v7
	v_readfirstlane_b32 s7, v8
	s_waitcnt lgkmcnt(0)
	s_nop 3
	global_store_dword v13, v14, s[6:7]
.LBB1989_298:
	s_or_b64 exec, exec, s[4:5]
                                        ; implicit-def: $vgpr13
.LBB1989_299:
	s_andn2_saveexec_b64 s[2:3], s[2:3]
	s_cbranch_execz .LBB1989_301
; %bb.300:
	v_lshlrev_b32_e32 v14, 2, v0
	ds_read_b32 v14, v14 offset:4096
	v_lshlrev_b32_e32 v13, 2, v13
	v_readfirstlane_b32 s2, v9
	v_readfirstlane_b32 s3, v10
	s_waitcnt lgkmcnt(0)
	s_nop 3
	global_store_dword v13, v14, s[2:3]
.LBB1989_301:
	s_or_b64 exec, exec, s[0:1]
	v_or_b32_e32 v13, 0x500, v0
	v_cmp_gt_u32_e32 vcc, s18, v13
	s_and_saveexec_b64 s[0:1], vcc
	s_cbranch_execz .LBB1989_310
; %bb.302:
	v_cmp_ge_u32_e32 vcc, v13, v1
	s_and_saveexec_b64 s[2:3], vcc
	s_xor_b64 s[2:3], exec, s[2:3]
	s_cbranch_execz .LBB1989_308
; %bb.303:
	v_cmp_ge_u32_e32 vcc, v13, v12
	s_and_saveexec_b64 s[4:5], vcc
	s_xor_b64 s[4:5], exec, s[4:5]
	s_cbranch_execz .LBB1989_305
; %bb.304:
	v_add_co_u32_e32 v13, vcc, v3, v13
	v_lshlrev_b32_e32 v15, 2, v0
	v_addc_co_u32_e32 v14, vcc, 0, v11, vcc
	ds_read_b32 v15, v15 offset:5120
	v_lshlrev_b64 v[13:14], 2, v[13:14]
	v_mov_b32_e32 v16, s47
	v_sub_co_u32_e32 v13, vcc, s46, v13
	v_subb_co_u32_e32 v14, vcc, v16, v14, vcc
	s_waitcnt lgkmcnt(0)
	global_store_dword v[13:14], v15, off offset:-4
                                        ; implicit-def: $vgpr13
.LBB1989_305:
	s_andn2_saveexec_b64 s[4:5], s[4:5]
	s_cbranch_execz .LBB1989_307
; %bb.306:
	v_lshlrev_b32_e32 v14, 2, v0
	ds_read_b32 v14, v14 offset:5120
	v_lshlrev_b32_e32 v13, 2, v13
	v_readfirstlane_b32 s6, v7
	v_readfirstlane_b32 s7, v8
	s_waitcnt lgkmcnt(0)
	s_nop 3
	global_store_dword v13, v14, s[6:7]
.LBB1989_307:
	s_or_b64 exec, exec, s[4:5]
                                        ; implicit-def: $vgpr13
.LBB1989_308:
	s_andn2_saveexec_b64 s[2:3], s[2:3]
	s_cbranch_execz .LBB1989_310
; %bb.309:
	v_lshlrev_b32_e32 v14, 2, v0
	ds_read_b32 v14, v14 offset:5120
	v_lshlrev_b32_e32 v13, 2, v13
	v_readfirstlane_b32 s2, v9
	v_readfirstlane_b32 s3, v10
	s_waitcnt lgkmcnt(0)
	s_nop 3
	global_store_dword v13, v14, s[2:3]
.LBB1989_310:
	s_or_b64 exec, exec, s[0:1]
	v_or_b32_e32 v13, 0x600, v0
	v_cmp_gt_u32_e32 vcc, s18, v13
	s_and_saveexec_b64 s[0:1], vcc
	s_cbranch_execz .LBB1989_319
; %bb.311:
	v_cmp_ge_u32_e32 vcc, v13, v1
	s_and_saveexec_b64 s[2:3], vcc
	s_xor_b64 s[2:3], exec, s[2:3]
	s_cbranch_execz .LBB1989_317
; %bb.312:
	v_cmp_ge_u32_e32 vcc, v13, v12
	s_and_saveexec_b64 s[4:5], vcc
	s_xor_b64 s[4:5], exec, s[4:5]
	s_cbranch_execz .LBB1989_314
; %bb.313:
	v_add_co_u32_e32 v13, vcc, v3, v13
	v_lshlrev_b32_e32 v15, 2, v0
	v_addc_co_u32_e32 v14, vcc, 0, v11, vcc
	ds_read_b32 v15, v15 offset:6144
	v_lshlrev_b64 v[13:14], 2, v[13:14]
	v_mov_b32_e32 v16, s47
	v_sub_co_u32_e32 v13, vcc, s46, v13
	v_subb_co_u32_e32 v14, vcc, v16, v14, vcc
	s_waitcnt lgkmcnt(0)
	global_store_dword v[13:14], v15, off offset:-4
                                        ; implicit-def: $vgpr13
.LBB1989_314:
	s_andn2_saveexec_b64 s[4:5], s[4:5]
	s_cbranch_execz .LBB1989_316
; %bb.315:
	v_lshlrev_b32_e32 v14, 2, v0
	ds_read_b32 v14, v14 offset:6144
	v_lshlrev_b32_e32 v13, 2, v13
	v_readfirstlane_b32 s6, v7
	v_readfirstlane_b32 s7, v8
	s_waitcnt lgkmcnt(0)
	s_nop 3
	global_store_dword v13, v14, s[6:7]
.LBB1989_316:
	s_or_b64 exec, exec, s[4:5]
                                        ; implicit-def: $vgpr13
.LBB1989_317:
	s_andn2_saveexec_b64 s[2:3], s[2:3]
	s_cbranch_execz .LBB1989_319
; %bb.318:
	v_lshlrev_b32_e32 v14, 2, v0
	ds_read_b32 v14, v14 offset:6144
	v_lshlrev_b32_e32 v13, 2, v13
	v_readfirstlane_b32 s2, v9
	v_readfirstlane_b32 s3, v10
	s_waitcnt lgkmcnt(0)
	s_nop 3
	global_store_dword v13, v14, s[2:3]
.LBB1989_319:
	;; [unrolled: 55-line block ×7, first 2 shown]
	s_or_b64 exec, exec, s[0:1]
	v_or_b32_e32 v13, 0xc00, v0
	v_cmp_gt_u32_e32 vcc, s18, v13
	s_and_saveexec_b64 s[0:1], vcc
	s_cbranch_execz .LBB1989_373
; %bb.365:
	v_cmp_ge_u32_e32 vcc, v13, v1
	s_and_saveexec_b64 s[2:3], vcc
	s_xor_b64 s[2:3], exec, s[2:3]
	s_cbranch_execz .LBB1989_371
; %bb.366:
	v_cmp_ge_u32_e32 vcc, v13, v12
	s_and_saveexec_b64 s[4:5], vcc
	s_xor_b64 s[4:5], exec, s[4:5]
	s_cbranch_execz .LBB1989_368
; %bb.367:
	v_add_co_u32_e32 v7, vcc, v3, v13
	v_lshlrev_b32_e32 v3, 2, v0
	v_addc_co_u32_e32 v8, vcc, 0, v11, vcc
	ds_read_b32 v3, v3 offset:12288
	v_lshlrev_b64 v[7:8], 2, v[7:8]
	v_mov_b32_e32 v9, s47
	v_sub_co_u32_e32 v7, vcc, s46, v7
	v_subb_co_u32_e32 v8, vcc, v9, v8, vcc
	s_waitcnt lgkmcnt(0)
	global_store_dword v[7:8], v3, off offset:-4
                                        ; implicit-def: $vgpr13
                                        ; implicit-def: $vgpr7_vgpr8
.LBB1989_368:
	s_andn2_saveexec_b64 s[4:5], s[4:5]
	s_cbranch_execz .LBB1989_370
; %bb.369:
	v_lshlrev_b32_e32 v3, 2, v0
	ds_read_b32 v3, v3 offset:12288
	v_lshlrev_b32_e32 v9, 2, v13
	v_readfirstlane_b32 s6, v7
	v_readfirstlane_b32 s7, v8
	s_waitcnt lgkmcnt(0)
	s_nop 3
	global_store_dword v9, v3, s[6:7]
.LBB1989_370:
	s_or_b64 exec, exec, s[4:5]
                                        ; implicit-def: $vgpr13
                                        ; implicit-def: $vgpr9_vgpr10
.LBB1989_371:
	s_andn2_saveexec_b64 s[2:3], s[2:3]
	s_cbranch_execz .LBB1989_373
; %bb.372:
	v_lshlrev_b32_e32 v3, 2, v0
	ds_read_b32 v3, v3 offset:12288
	v_lshlrev_b32_e32 v7, 2, v13
	v_readfirstlane_b32 s2, v9
	v_readfirstlane_b32 s3, v10
	s_waitcnt lgkmcnt(0)
	s_nop 3
	global_store_dword v7, v3, s[2:3]
.LBB1989_373:
	s_or_b64 exec, exec, s[0:1]
	v_cmp_eq_u32_e32 vcc, 0, v0
	s_and_b64 s[0:1], vcc, s[34:35]
	s_and_saveexec_b64 s[2:3], s[0:1]
	s_cbranch_execz .LBB1989_150
.LBB1989_374:
	v_mov_b32_e32 v0, s51
	v_add_co_u32_e32 v2, vcc, s50, v2
	v_addc_co_u32_e32 v0, vcc, 0, v0, vcc
	v_add_co_u32_e32 v2, vcc, v2, v4
	v_addc_co_u32_e32 v3, vcc, 0, v0, vcc
	v_add_co_u32_e32 v0, vcc, v5, v1
	v_mov_b32_e32 v7, 0
	v_addc_co_u32_e32 v1, vcc, 0, v6, vcc
	global_store_dwordx4 v7, v[0:3], s[44:45]
	s_endpgm
.LBB1989_375:
	s_add_i32 s6, s6, 64
	s_mov_b32 s7, 0
	s_lshl_b64 s[6:7], s[6:7], 4
	s_add_u32 s6, s12, s6
	s_addc_u32 s7, s13, s7
	v_mov_b32_e32 v24, s7
	v_add_u32_e32 v6, v4, v2
	v_add_u32_e32 v5, v3, v1
	v_mov_b32_e32 v7, 2
	v_mov_b32_e32 v8, 0
	;; [unrolled: 1-line block ×3, first 2 shown]
	;;#ASMSTART
	global_store_dwordx4 v[23:24], v[5:8] off	
s_waitcnt vmcnt(0)
	;;#ASMEND
	s_or_b64 exec, exec, s[14:15]
	s_and_saveexec_b64 s[6:7], s[8:9]
	s_cbranch_execz .LBB1989_135
.LBB1989_376:
	v_mov_b32_e32 v5, 0
	ds_write_b128 v5, v[1:4] offset:13312
	s_or_b64 exec, exec, s[6:7]
	v_cmp_eq_u32_e32 vcc, 0, v0
	s_and_b64 exec, exec, vcc
	s_cbranch_execnz .LBB1989_136
	s_branch .LBB1989_137
	.section	.rodata,"a",@progbits
	.p2align	6, 0x0
	.amdhsa_kernel _ZN7rocprim17ROCPRIM_400000_NS6detail17trampoline_kernelINS0_13select_configILj256ELj13ELNS0_17block_load_methodE3ELS4_3ELS4_3ELNS0_20block_scan_algorithmE0ELj4294967295EEENS1_25partition_config_selectorILNS1_17partition_subalgoE4EjNS0_10empty_typeEbEEZZNS1_14partition_implILS8_4ELb0ES6_15HIP_vector_typeIjLj2EENS0_17counting_iteratorIjlEEPS9_SG_NS0_5tupleIJPjSI_NS0_16reverse_iteratorISI_EEEEENSH_IJSG_SG_SG_EEES9_SI_JZNS1_25segmented_radix_sort_implINS0_14default_configELb0EPK12hip_bfloat16PSP_PKlPlN2at6native12_GLOBAL__N_18offset_tEEE10hipError_tPvRmT1_PNSt15iterator_traitsIS13_E10value_typeET2_T3_PNS14_IS19_E10value_typeET4_jRbjT5_S1F_jjP12ihipStream_tbEUljE_ZNSN_ISO_Lb0ESR_SS_SU_SV_SZ_EES10_S11_S12_S13_S17_S18_S19_S1C_S1D_jS1E_jS1F_S1F_jjS1H_bEUljE0_EEES10_S11_S12_S19_S1D_S1F_T6_T7_T9_mT8_S1H_bDpT10_ENKUlT_T0_E_clISt17integral_constantIbLb0EES1V_EEDaS1Q_S1R_EUlS1Q_E_NS1_11comp_targetILNS1_3genE2ELNS1_11target_archE906ELNS1_3gpuE6ELNS1_3repE0EEENS1_30default_config_static_selectorELNS0_4arch9wavefront6targetE1EEEvS13_
		.amdhsa_group_segment_fixed_size 13328
		.amdhsa_private_segment_fixed_size 0
		.amdhsa_kernarg_size 176
		.amdhsa_user_sgpr_count 6
		.amdhsa_user_sgpr_private_segment_buffer 1
		.amdhsa_user_sgpr_dispatch_ptr 0
		.amdhsa_user_sgpr_queue_ptr 0
		.amdhsa_user_sgpr_kernarg_segment_ptr 1
		.amdhsa_user_sgpr_dispatch_id 0
		.amdhsa_user_sgpr_flat_scratch_init 0
		.amdhsa_user_sgpr_private_segment_size 0
		.amdhsa_uses_dynamic_stack 0
		.amdhsa_system_sgpr_private_segment_wavefront_offset 0
		.amdhsa_system_sgpr_workgroup_id_x 1
		.amdhsa_system_sgpr_workgroup_id_y 0
		.amdhsa_system_sgpr_workgroup_id_z 0
		.amdhsa_system_sgpr_workgroup_info 0
		.amdhsa_system_vgpr_workitem_id 0
		.amdhsa_next_free_vgpr 86
		.amdhsa_next_free_sgpr 98
		.amdhsa_reserve_vcc 1
		.amdhsa_reserve_flat_scratch 0
		.amdhsa_float_round_mode_32 0
		.amdhsa_float_round_mode_16_64 0
		.amdhsa_float_denorm_mode_32 3
		.amdhsa_float_denorm_mode_16_64 3
		.amdhsa_dx10_clamp 1
		.amdhsa_ieee_mode 1
		.amdhsa_fp16_overflow 0
		.amdhsa_exception_fp_ieee_invalid_op 0
		.amdhsa_exception_fp_denorm_src 0
		.amdhsa_exception_fp_ieee_div_zero 0
		.amdhsa_exception_fp_ieee_overflow 0
		.amdhsa_exception_fp_ieee_underflow 0
		.amdhsa_exception_fp_ieee_inexact 0
		.amdhsa_exception_int_div_zero 0
	.end_amdhsa_kernel
	.section	.text._ZN7rocprim17ROCPRIM_400000_NS6detail17trampoline_kernelINS0_13select_configILj256ELj13ELNS0_17block_load_methodE3ELS4_3ELS4_3ELNS0_20block_scan_algorithmE0ELj4294967295EEENS1_25partition_config_selectorILNS1_17partition_subalgoE4EjNS0_10empty_typeEbEEZZNS1_14partition_implILS8_4ELb0ES6_15HIP_vector_typeIjLj2EENS0_17counting_iteratorIjlEEPS9_SG_NS0_5tupleIJPjSI_NS0_16reverse_iteratorISI_EEEEENSH_IJSG_SG_SG_EEES9_SI_JZNS1_25segmented_radix_sort_implINS0_14default_configELb0EPK12hip_bfloat16PSP_PKlPlN2at6native12_GLOBAL__N_18offset_tEEE10hipError_tPvRmT1_PNSt15iterator_traitsIS13_E10value_typeET2_T3_PNS14_IS19_E10value_typeET4_jRbjT5_S1F_jjP12ihipStream_tbEUljE_ZNSN_ISO_Lb0ESR_SS_SU_SV_SZ_EES10_S11_S12_S13_S17_S18_S19_S1C_S1D_jS1E_jS1F_S1F_jjS1H_bEUljE0_EEES10_S11_S12_S19_S1D_S1F_T6_T7_T9_mT8_S1H_bDpT10_ENKUlT_T0_E_clISt17integral_constantIbLb0EES1V_EEDaS1Q_S1R_EUlS1Q_E_NS1_11comp_targetILNS1_3genE2ELNS1_11target_archE906ELNS1_3gpuE6ELNS1_3repE0EEENS1_30default_config_static_selectorELNS0_4arch9wavefront6targetE1EEEvS13_,"axG",@progbits,_ZN7rocprim17ROCPRIM_400000_NS6detail17trampoline_kernelINS0_13select_configILj256ELj13ELNS0_17block_load_methodE3ELS4_3ELS4_3ELNS0_20block_scan_algorithmE0ELj4294967295EEENS1_25partition_config_selectorILNS1_17partition_subalgoE4EjNS0_10empty_typeEbEEZZNS1_14partition_implILS8_4ELb0ES6_15HIP_vector_typeIjLj2EENS0_17counting_iteratorIjlEEPS9_SG_NS0_5tupleIJPjSI_NS0_16reverse_iteratorISI_EEEEENSH_IJSG_SG_SG_EEES9_SI_JZNS1_25segmented_radix_sort_implINS0_14default_configELb0EPK12hip_bfloat16PSP_PKlPlN2at6native12_GLOBAL__N_18offset_tEEE10hipError_tPvRmT1_PNSt15iterator_traitsIS13_E10value_typeET2_T3_PNS14_IS19_E10value_typeET4_jRbjT5_S1F_jjP12ihipStream_tbEUljE_ZNSN_ISO_Lb0ESR_SS_SU_SV_SZ_EES10_S11_S12_S13_S17_S18_S19_S1C_S1D_jS1E_jS1F_S1F_jjS1H_bEUljE0_EEES10_S11_S12_S19_S1D_S1F_T6_T7_T9_mT8_S1H_bDpT10_ENKUlT_T0_E_clISt17integral_constantIbLb0EES1V_EEDaS1Q_S1R_EUlS1Q_E_NS1_11comp_targetILNS1_3genE2ELNS1_11target_archE906ELNS1_3gpuE6ELNS1_3repE0EEENS1_30default_config_static_selectorELNS0_4arch9wavefront6targetE1EEEvS13_,comdat
.Lfunc_end1989:
	.size	_ZN7rocprim17ROCPRIM_400000_NS6detail17trampoline_kernelINS0_13select_configILj256ELj13ELNS0_17block_load_methodE3ELS4_3ELS4_3ELNS0_20block_scan_algorithmE0ELj4294967295EEENS1_25partition_config_selectorILNS1_17partition_subalgoE4EjNS0_10empty_typeEbEEZZNS1_14partition_implILS8_4ELb0ES6_15HIP_vector_typeIjLj2EENS0_17counting_iteratorIjlEEPS9_SG_NS0_5tupleIJPjSI_NS0_16reverse_iteratorISI_EEEEENSH_IJSG_SG_SG_EEES9_SI_JZNS1_25segmented_radix_sort_implINS0_14default_configELb0EPK12hip_bfloat16PSP_PKlPlN2at6native12_GLOBAL__N_18offset_tEEE10hipError_tPvRmT1_PNSt15iterator_traitsIS13_E10value_typeET2_T3_PNS14_IS19_E10value_typeET4_jRbjT5_S1F_jjP12ihipStream_tbEUljE_ZNSN_ISO_Lb0ESR_SS_SU_SV_SZ_EES10_S11_S12_S13_S17_S18_S19_S1C_S1D_jS1E_jS1F_S1F_jjS1H_bEUljE0_EEES10_S11_S12_S19_S1D_S1F_T6_T7_T9_mT8_S1H_bDpT10_ENKUlT_T0_E_clISt17integral_constantIbLb0EES1V_EEDaS1Q_S1R_EUlS1Q_E_NS1_11comp_targetILNS1_3genE2ELNS1_11target_archE906ELNS1_3gpuE6ELNS1_3repE0EEENS1_30default_config_static_selectorELNS0_4arch9wavefront6targetE1EEEvS13_, .Lfunc_end1989-_ZN7rocprim17ROCPRIM_400000_NS6detail17trampoline_kernelINS0_13select_configILj256ELj13ELNS0_17block_load_methodE3ELS4_3ELS4_3ELNS0_20block_scan_algorithmE0ELj4294967295EEENS1_25partition_config_selectorILNS1_17partition_subalgoE4EjNS0_10empty_typeEbEEZZNS1_14partition_implILS8_4ELb0ES6_15HIP_vector_typeIjLj2EENS0_17counting_iteratorIjlEEPS9_SG_NS0_5tupleIJPjSI_NS0_16reverse_iteratorISI_EEEEENSH_IJSG_SG_SG_EEES9_SI_JZNS1_25segmented_radix_sort_implINS0_14default_configELb0EPK12hip_bfloat16PSP_PKlPlN2at6native12_GLOBAL__N_18offset_tEEE10hipError_tPvRmT1_PNSt15iterator_traitsIS13_E10value_typeET2_T3_PNS14_IS19_E10value_typeET4_jRbjT5_S1F_jjP12ihipStream_tbEUljE_ZNSN_ISO_Lb0ESR_SS_SU_SV_SZ_EES10_S11_S12_S13_S17_S18_S19_S1C_S1D_jS1E_jS1F_S1F_jjS1H_bEUljE0_EEES10_S11_S12_S19_S1D_S1F_T6_T7_T9_mT8_S1H_bDpT10_ENKUlT_T0_E_clISt17integral_constantIbLb0EES1V_EEDaS1Q_S1R_EUlS1Q_E_NS1_11comp_targetILNS1_3genE2ELNS1_11target_archE906ELNS1_3gpuE6ELNS1_3repE0EEENS1_30default_config_static_selectorELNS0_4arch9wavefront6targetE1EEEvS13_
                                        ; -- End function
	.set _ZN7rocprim17ROCPRIM_400000_NS6detail17trampoline_kernelINS0_13select_configILj256ELj13ELNS0_17block_load_methodE3ELS4_3ELS4_3ELNS0_20block_scan_algorithmE0ELj4294967295EEENS1_25partition_config_selectorILNS1_17partition_subalgoE4EjNS0_10empty_typeEbEEZZNS1_14partition_implILS8_4ELb0ES6_15HIP_vector_typeIjLj2EENS0_17counting_iteratorIjlEEPS9_SG_NS0_5tupleIJPjSI_NS0_16reverse_iteratorISI_EEEEENSH_IJSG_SG_SG_EEES9_SI_JZNS1_25segmented_radix_sort_implINS0_14default_configELb0EPK12hip_bfloat16PSP_PKlPlN2at6native12_GLOBAL__N_18offset_tEEE10hipError_tPvRmT1_PNSt15iterator_traitsIS13_E10value_typeET2_T3_PNS14_IS19_E10value_typeET4_jRbjT5_S1F_jjP12ihipStream_tbEUljE_ZNSN_ISO_Lb0ESR_SS_SU_SV_SZ_EES10_S11_S12_S13_S17_S18_S19_S1C_S1D_jS1E_jS1F_S1F_jjS1H_bEUljE0_EEES10_S11_S12_S19_S1D_S1F_T6_T7_T9_mT8_S1H_bDpT10_ENKUlT_T0_E_clISt17integral_constantIbLb0EES1V_EEDaS1Q_S1R_EUlS1Q_E_NS1_11comp_targetILNS1_3genE2ELNS1_11target_archE906ELNS1_3gpuE6ELNS1_3repE0EEENS1_30default_config_static_selectorELNS0_4arch9wavefront6targetE1EEEvS13_.num_vgpr, 86
	.set _ZN7rocprim17ROCPRIM_400000_NS6detail17trampoline_kernelINS0_13select_configILj256ELj13ELNS0_17block_load_methodE3ELS4_3ELS4_3ELNS0_20block_scan_algorithmE0ELj4294967295EEENS1_25partition_config_selectorILNS1_17partition_subalgoE4EjNS0_10empty_typeEbEEZZNS1_14partition_implILS8_4ELb0ES6_15HIP_vector_typeIjLj2EENS0_17counting_iteratorIjlEEPS9_SG_NS0_5tupleIJPjSI_NS0_16reverse_iteratorISI_EEEEENSH_IJSG_SG_SG_EEES9_SI_JZNS1_25segmented_radix_sort_implINS0_14default_configELb0EPK12hip_bfloat16PSP_PKlPlN2at6native12_GLOBAL__N_18offset_tEEE10hipError_tPvRmT1_PNSt15iterator_traitsIS13_E10value_typeET2_T3_PNS14_IS19_E10value_typeET4_jRbjT5_S1F_jjP12ihipStream_tbEUljE_ZNSN_ISO_Lb0ESR_SS_SU_SV_SZ_EES10_S11_S12_S13_S17_S18_S19_S1C_S1D_jS1E_jS1F_S1F_jjS1H_bEUljE0_EEES10_S11_S12_S19_S1D_S1F_T6_T7_T9_mT8_S1H_bDpT10_ENKUlT_T0_E_clISt17integral_constantIbLb0EES1V_EEDaS1Q_S1R_EUlS1Q_E_NS1_11comp_targetILNS1_3genE2ELNS1_11target_archE906ELNS1_3gpuE6ELNS1_3repE0EEENS1_30default_config_static_selectorELNS0_4arch9wavefront6targetE1EEEvS13_.num_agpr, 0
	.set _ZN7rocprim17ROCPRIM_400000_NS6detail17trampoline_kernelINS0_13select_configILj256ELj13ELNS0_17block_load_methodE3ELS4_3ELS4_3ELNS0_20block_scan_algorithmE0ELj4294967295EEENS1_25partition_config_selectorILNS1_17partition_subalgoE4EjNS0_10empty_typeEbEEZZNS1_14partition_implILS8_4ELb0ES6_15HIP_vector_typeIjLj2EENS0_17counting_iteratorIjlEEPS9_SG_NS0_5tupleIJPjSI_NS0_16reverse_iteratorISI_EEEEENSH_IJSG_SG_SG_EEES9_SI_JZNS1_25segmented_radix_sort_implINS0_14default_configELb0EPK12hip_bfloat16PSP_PKlPlN2at6native12_GLOBAL__N_18offset_tEEE10hipError_tPvRmT1_PNSt15iterator_traitsIS13_E10value_typeET2_T3_PNS14_IS19_E10value_typeET4_jRbjT5_S1F_jjP12ihipStream_tbEUljE_ZNSN_ISO_Lb0ESR_SS_SU_SV_SZ_EES10_S11_S12_S13_S17_S18_S19_S1C_S1D_jS1E_jS1F_S1F_jjS1H_bEUljE0_EEES10_S11_S12_S19_S1D_S1F_T6_T7_T9_mT8_S1H_bDpT10_ENKUlT_T0_E_clISt17integral_constantIbLb0EES1V_EEDaS1Q_S1R_EUlS1Q_E_NS1_11comp_targetILNS1_3genE2ELNS1_11target_archE906ELNS1_3gpuE6ELNS1_3repE0EEENS1_30default_config_static_selectorELNS0_4arch9wavefront6targetE1EEEvS13_.numbered_sgpr, 90
	.set _ZN7rocprim17ROCPRIM_400000_NS6detail17trampoline_kernelINS0_13select_configILj256ELj13ELNS0_17block_load_methodE3ELS4_3ELS4_3ELNS0_20block_scan_algorithmE0ELj4294967295EEENS1_25partition_config_selectorILNS1_17partition_subalgoE4EjNS0_10empty_typeEbEEZZNS1_14partition_implILS8_4ELb0ES6_15HIP_vector_typeIjLj2EENS0_17counting_iteratorIjlEEPS9_SG_NS0_5tupleIJPjSI_NS0_16reverse_iteratorISI_EEEEENSH_IJSG_SG_SG_EEES9_SI_JZNS1_25segmented_radix_sort_implINS0_14default_configELb0EPK12hip_bfloat16PSP_PKlPlN2at6native12_GLOBAL__N_18offset_tEEE10hipError_tPvRmT1_PNSt15iterator_traitsIS13_E10value_typeET2_T3_PNS14_IS19_E10value_typeET4_jRbjT5_S1F_jjP12ihipStream_tbEUljE_ZNSN_ISO_Lb0ESR_SS_SU_SV_SZ_EES10_S11_S12_S13_S17_S18_S19_S1C_S1D_jS1E_jS1F_S1F_jjS1H_bEUljE0_EEES10_S11_S12_S19_S1D_S1F_T6_T7_T9_mT8_S1H_bDpT10_ENKUlT_T0_E_clISt17integral_constantIbLb0EES1V_EEDaS1Q_S1R_EUlS1Q_E_NS1_11comp_targetILNS1_3genE2ELNS1_11target_archE906ELNS1_3gpuE6ELNS1_3repE0EEENS1_30default_config_static_selectorELNS0_4arch9wavefront6targetE1EEEvS13_.num_named_barrier, 0
	.set _ZN7rocprim17ROCPRIM_400000_NS6detail17trampoline_kernelINS0_13select_configILj256ELj13ELNS0_17block_load_methodE3ELS4_3ELS4_3ELNS0_20block_scan_algorithmE0ELj4294967295EEENS1_25partition_config_selectorILNS1_17partition_subalgoE4EjNS0_10empty_typeEbEEZZNS1_14partition_implILS8_4ELb0ES6_15HIP_vector_typeIjLj2EENS0_17counting_iteratorIjlEEPS9_SG_NS0_5tupleIJPjSI_NS0_16reverse_iteratorISI_EEEEENSH_IJSG_SG_SG_EEES9_SI_JZNS1_25segmented_radix_sort_implINS0_14default_configELb0EPK12hip_bfloat16PSP_PKlPlN2at6native12_GLOBAL__N_18offset_tEEE10hipError_tPvRmT1_PNSt15iterator_traitsIS13_E10value_typeET2_T3_PNS14_IS19_E10value_typeET4_jRbjT5_S1F_jjP12ihipStream_tbEUljE_ZNSN_ISO_Lb0ESR_SS_SU_SV_SZ_EES10_S11_S12_S13_S17_S18_S19_S1C_S1D_jS1E_jS1F_S1F_jjS1H_bEUljE0_EEES10_S11_S12_S19_S1D_S1F_T6_T7_T9_mT8_S1H_bDpT10_ENKUlT_T0_E_clISt17integral_constantIbLb0EES1V_EEDaS1Q_S1R_EUlS1Q_E_NS1_11comp_targetILNS1_3genE2ELNS1_11target_archE906ELNS1_3gpuE6ELNS1_3repE0EEENS1_30default_config_static_selectorELNS0_4arch9wavefront6targetE1EEEvS13_.private_seg_size, 0
	.set _ZN7rocprim17ROCPRIM_400000_NS6detail17trampoline_kernelINS0_13select_configILj256ELj13ELNS0_17block_load_methodE3ELS4_3ELS4_3ELNS0_20block_scan_algorithmE0ELj4294967295EEENS1_25partition_config_selectorILNS1_17partition_subalgoE4EjNS0_10empty_typeEbEEZZNS1_14partition_implILS8_4ELb0ES6_15HIP_vector_typeIjLj2EENS0_17counting_iteratorIjlEEPS9_SG_NS0_5tupleIJPjSI_NS0_16reverse_iteratorISI_EEEEENSH_IJSG_SG_SG_EEES9_SI_JZNS1_25segmented_radix_sort_implINS0_14default_configELb0EPK12hip_bfloat16PSP_PKlPlN2at6native12_GLOBAL__N_18offset_tEEE10hipError_tPvRmT1_PNSt15iterator_traitsIS13_E10value_typeET2_T3_PNS14_IS19_E10value_typeET4_jRbjT5_S1F_jjP12ihipStream_tbEUljE_ZNSN_ISO_Lb0ESR_SS_SU_SV_SZ_EES10_S11_S12_S13_S17_S18_S19_S1C_S1D_jS1E_jS1F_S1F_jjS1H_bEUljE0_EEES10_S11_S12_S19_S1D_S1F_T6_T7_T9_mT8_S1H_bDpT10_ENKUlT_T0_E_clISt17integral_constantIbLb0EES1V_EEDaS1Q_S1R_EUlS1Q_E_NS1_11comp_targetILNS1_3genE2ELNS1_11target_archE906ELNS1_3gpuE6ELNS1_3repE0EEENS1_30default_config_static_selectorELNS0_4arch9wavefront6targetE1EEEvS13_.uses_vcc, 1
	.set _ZN7rocprim17ROCPRIM_400000_NS6detail17trampoline_kernelINS0_13select_configILj256ELj13ELNS0_17block_load_methodE3ELS4_3ELS4_3ELNS0_20block_scan_algorithmE0ELj4294967295EEENS1_25partition_config_selectorILNS1_17partition_subalgoE4EjNS0_10empty_typeEbEEZZNS1_14partition_implILS8_4ELb0ES6_15HIP_vector_typeIjLj2EENS0_17counting_iteratorIjlEEPS9_SG_NS0_5tupleIJPjSI_NS0_16reverse_iteratorISI_EEEEENSH_IJSG_SG_SG_EEES9_SI_JZNS1_25segmented_radix_sort_implINS0_14default_configELb0EPK12hip_bfloat16PSP_PKlPlN2at6native12_GLOBAL__N_18offset_tEEE10hipError_tPvRmT1_PNSt15iterator_traitsIS13_E10value_typeET2_T3_PNS14_IS19_E10value_typeET4_jRbjT5_S1F_jjP12ihipStream_tbEUljE_ZNSN_ISO_Lb0ESR_SS_SU_SV_SZ_EES10_S11_S12_S13_S17_S18_S19_S1C_S1D_jS1E_jS1F_S1F_jjS1H_bEUljE0_EEES10_S11_S12_S19_S1D_S1F_T6_T7_T9_mT8_S1H_bDpT10_ENKUlT_T0_E_clISt17integral_constantIbLb0EES1V_EEDaS1Q_S1R_EUlS1Q_E_NS1_11comp_targetILNS1_3genE2ELNS1_11target_archE906ELNS1_3gpuE6ELNS1_3repE0EEENS1_30default_config_static_selectorELNS0_4arch9wavefront6targetE1EEEvS13_.uses_flat_scratch, 0
	.set _ZN7rocprim17ROCPRIM_400000_NS6detail17trampoline_kernelINS0_13select_configILj256ELj13ELNS0_17block_load_methodE3ELS4_3ELS4_3ELNS0_20block_scan_algorithmE0ELj4294967295EEENS1_25partition_config_selectorILNS1_17partition_subalgoE4EjNS0_10empty_typeEbEEZZNS1_14partition_implILS8_4ELb0ES6_15HIP_vector_typeIjLj2EENS0_17counting_iteratorIjlEEPS9_SG_NS0_5tupleIJPjSI_NS0_16reverse_iteratorISI_EEEEENSH_IJSG_SG_SG_EEES9_SI_JZNS1_25segmented_radix_sort_implINS0_14default_configELb0EPK12hip_bfloat16PSP_PKlPlN2at6native12_GLOBAL__N_18offset_tEEE10hipError_tPvRmT1_PNSt15iterator_traitsIS13_E10value_typeET2_T3_PNS14_IS19_E10value_typeET4_jRbjT5_S1F_jjP12ihipStream_tbEUljE_ZNSN_ISO_Lb0ESR_SS_SU_SV_SZ_EES10_S11_S12_S13_S17_S18_S19_S1C_S1D_jS1E_jS1F_S1F_jjS1H_bEUljE0_EEES10_S11_S12_S19_S1D_S1F_T6_T7_T9_mT8_S1H_bDpT10_ENKUlT_T0_E_clISt17integral_constantIbLb0EES1V_EEDaS1Q_S1R_EUlS1Q_E_NS1_11comp_targetILNS1_3genE2ELNS1_11target_archE906ELNS1_3gpuE6ELNS1_3repE0EEENS1_30default_config_static_selectorELNS0_4arch9wavefront6targetE1EEEvS13_.has_dyn_sized_stack, 0
	.set _ZN7rocprim17ROCPRIM_400000_NS6detail17trampoline_kernelINS0_13select_configILj256ELj13ELNS0_17block_load_methodE3ELS4_3ELS4_3ELNS0_20block_scan_algorithmE0ELj4294967295EEENS1_25partition_config_selectorILNS1_17partition_subalgoE4EjNS0_10empty_typeEbEEZZNS1_14partition_implILS8_4ELb0ES6_15HIP_vector_typeIjLj2EENS0_17counting_iteratorIjlEEPS9_SG_NS0_5tupleIJPjSI_NS0_16reverse_iteratorISI_EEEEENSH_IJSG_SG_SG_EEES9_SI_JZNS1_25segmented_radix_sort_implINS0_14default_configELb0EPK12hip_bfloat16PSP_PKlPlN2at6native12_GLOBAL__N_18offset_tEEE10hipError_tPvRmT1_PNSt15iterator_traitsIS13_E10value_typeET2_T3_PNS14_IS19_E10value_typeET4_jRbjT5_S1F_jjP12ihipStream_tbEUljE_ZNSN_ISO_Lb0ESR_SS_SU_SV_SZ_EES10_S11_S12_S13_S17_S18_S19_S1C_S1D_jS1E_jS1F_S1F_jjS1H_bEUljE0_EEES10_S11_S12_S19_S1D_S1F_T6_T7_T9_mT8_S1H_bDpT10_ENKUlT_T0_E_clISt17integral_constantIbLb0EES1V_EEDaS1Q_S1R_EUlS1Q_E_NS1_11comp_targetILNS1_3genE2ELNS1_11target_archE906ELNS1_3gpuE6ELNS1_3repE0EEENS1_30default_config_static_selectorELNS0_4arch9wavefront6targetE1EEEvS13_.has_recursion, 0
	.set _ZN7rocprim17ROCPRIM_400000_NS6detail17trampoline_kernelINS0_13select_configILj256ELj13ELNS0_17block_load_methodE3ELS4_3ELS4_3ELNS0_20block_scan_algorithmE0ELj4294967295EEENS1_25partition_config_selectorILNS1_17partition_subalgoE4EjNS0_10empty_typeEbEEZZNS1_14partition_implILS8_4ELb0ES6_15HIP_vector_typeIjLj2EENS0_17counting_iteratorIjlEEPS9_SG_NS0_5tupleIJPjSI_NS0_16reverse_iteratorISI_EEEEENSH_IJSG_SG_SG_EEES9_SI_JZNS1_25segmented_radix_sort_implINS0_14default_configELb0EPK12hip_bfloat16PSP_PKlPlN2at6native12_GLOBAL__N_18offset_tEEE10hipError_tPvRmT1_PNSt15iterator_traitsIS13_E10value_typeET2_T3_PNS14_IS19_E10value_typeET4_jRbjT5_S1F_jjP12ihipStream_tbEUljE_ZNSN_ISO_Lb0ESR_SS_SU_SV_SZ_EES10_S11_S12_S13_S17_S18_S19_S1C_S1D_jS1E_jS1F_S1F_jjS1H_bEUljE0_EEES10_S11_S12_S19_S1D_S1F_T6_T7_T9_mT8_S1H_bDpT10_ENKUlT_T0_E_clISt17integral_constantIbLb0EES1V_EEDaS1Q_S1R_EUlS1Q_E_NS1_11comp_targetILNS1_3genE2ELNS1_11target_archE906ELNS1_3gpuE6ELNS1_3repE0EEENS1_30default_config_static_selectorELNS0_4arch9wavefront6targetE1EEEvS13_.has_indirect_call, 0
	.section	.AMDGPU.csdata,"",@progbits
; Kernel info:
; codeLenInByte = 15480
; TotalNumSgprs: 94
; NumVgprs: 86
; ScratchSize: 0
; MemoryBound: 0
; FloatMode: 240
; IeeeMode: 1
; LDSByteSize: 13328 bytes/workgroup (compile time only)
; SGPRBlocks: 12
; VGPRBlocks: 21
; NumSGPRsForWavesPerEU: 102
; NumVGPRsForWavesPerEU: 86
; Occupancy: 2
; WaveLimiterHint : 1
; COMPUTE_PGM_RSRC2:SCRATCH_EN: 0
; COMPUTE_PGM_RSRC2:USER_SGPR: 6
; COMPUTE_PGM_RSRC2:TRAP_HANDLER: 0
; COMPUTE_PGM_RSRC2:TGID_X_EN: 1
; COMPUTE_PGM_RSRC2:TGID_Y_EN: 0
; COMPUTE_PGM_RSRC2:TGID_Z_EN: 0
; COMPUTE_PGM_RSRC2:TIDIG_COMP_CNT: 0
	.section	.text._ZN7rocprim17ROCPRIM_400000_NS6detail17trampoline_kernelINS0_13select_configILj256ELj13ELNS0_17block_load_methodE3ELS4_3ELS4_3ELNS0_20block_scan_algorithmE0ELj4294967295EEENS1_25partition_config_selectorILNS1_17partition_subalgoE4EjNS0_10empty_typeEbEEZZNS1_14partition_implILS8_4ELb0ES6_15HIP_vector_typeIjLj2EENS0_17counting_iteratorIjlEEPS9_SG_NS0_5tupleIJPjSI_NS0_16reverse_iteratorISI_EEEEENSH_IJSG_SG_SG_EEES9_SI_JZNS1_25segmented_radix_sort_implINS0_14default_configELb0EPK12hip_bfloat16PSP_PKlPlN2at6native12_GLOBAL__N_18offset_tEEE10hipError_tPvRmT1_PNSt15iterator_traitsIS13_E10value_typeET2_T3_PNS14_IS19_E10value_typeET4_jRbjT5_S1F_jjP12ihipStream_tbEUljE_ZNSN_ISO_Lb0ESR_SS_SU_SV_SZ_EES10_S11_S12_S13_S17_S18_S19_S1C_S1D_jS1E_jS1F_S1F_jjS1H_bEUljE0_EEES10_S11_S12_S19_S1D_S1F_T6_T7_T9_mT8_S1H_bDpT10_ENKUlT_T0_E_clISt17integral_constantIbLb0EES1V_EEDaS1Q_S1R_EUlS1Q_E_NS1_11comp_targetILNS1_3genE10ELNS1_11target_archE1200ELNS1_3gpuE4ELNS1_3repE0EEENS1_30default_config_static_selectorELNS0_4arch9wavefront6targetE1EEEvS13_,"axG",@progbits,_ZN7rocprim17ROCPRIM_400000_NS6detail17trampoline_kernelINS0_13select_configILj256ELj13ELNS0_17block_load_methodE3ELS4_3ELS4_3ELNS0_20block_scan_algorithmE0ELj4294967295EEENS1_25partition_config_selectorILNS1_17partition_subalgoE4EjNS0_10empty_typeEbEEZZNS1_14partition_implILS8_4ELb0ES6_15HIP_vector_typeIjLj2EENS0_17counting_iteratorIjlEEPS9_SG_NS0_5tupleIJPjSI_NS0_16reverse_iteratorISI_EEEEENSH_IJSG_SG_SG_EEES9_SI_JZNS1_25segmented_radix_sort_implINS0_14default_configELb0EPK12hip_bfloat16PSP_PKlPlN2at6native12_GLOBAL__N_18offset_tEEE10hipError_tPvRmT1_PNSt15iterator_traitsIS13_E10value_typeET2_T3_PNS14_IS19_E10value_typeET4_jRbjT5_S1F_jjP12ihipStream_tbEUljE_ZNSN_ISO_Lb0ESR_SS_SU_SV_SZ_EES10_S11_S12_S13_S17_S18_S19_S1C_S1D_jS1E_jS1F_S1F_jjS1H_bEUljE0_EEES10_S11_S12_S19_S1D_S1F_T6_T7_T9_mT8_S1H_bDpT10_ENKUlT_T0_E_clISt17integral_constantIbLb0EES1V_EEDaS1Q_S1R_EUlS1Q_E_NS1_11comp_targetILNS1_3genE10ELNS1_11target_archE1200ELNS1_3gpuE4ELNS1_3repE0EEENS1_30default_config_static_selectorELNS0_4arch9wavefront6targetE1EEEvS13_,comdat
	.globl	_ZN7rocprim17ROCPRIM_400000_NS6detail17trampoline_kernelINS0_13select_configILj256ELj13ELNS0_17block_load_methodE3ELS4_3ELS4_3ELNS0_20block_scan_algorithmE0ELj4294967295EEENS1_25partition_config_selectorILNS1_17partition_subalgoE4EjNS0_10empty_typeEbEEZZNS1_14partition_implILS8_4ELb0ES6_15HIP_vector_typeIjLj2EENS0_17counting_iteratorIjlEEPS9_SG_NS0_5tupleIJPjSI_NS0_16reverse_iteratorISI_EEEEENSH_IJSG_SG_SG_EEES9_SI_JZNS1_25segmented_radix_sort_implINS0_14default_configELb0EPK12hip_bfloat16PSP_PKlPlN2at6native12_GLOBAL__N_18offset_tEEE10hipError_tPvRmT1_PNSt15iterator_traitsIS13_E10value_typeET2_T3_PNS14_IS19_E10value_typeET4_jRbjT5_S1F_jjP12ihipStream_tbEUljE_ZNSN_ISO_Lb0ESR_SS_SU_SV_SZ_EES10_S11_S12_S13_S17_S18_S19_S1C_S1D_jS1E_jS1F_S1F_jjS1H_bEUljE0_EEES10_S11_S12_S19_S1D_S1F_T6_T7_T9_mT8_S1H_bDpT10_ENKUlT_T0_E_clISt17integral_constantIbLb0EES1V_EEDaS1Q_S1R_EUlS1Q_E_NS1_11comp_targetILNS1_3genE10ELNS1_11target_archE1200ELNS1_3gpuE4ELNS1_3repE0EEENS1_30default_config_static_selectorELNS0_4arch9wavefront6targetE1EEEvS13_ ; -- Begin function _ZN7rocprim17ROCPRIM_400000_NS6detail17trampoline_kernelINS0_13select_configILj256ELj13ELNS0_17block_load_methodE3ELS4_3ELS4_3ELNS0_20block_scan_algorithmE0ELj4294967295EEENS1_25partition_config_selectorILNS1_17partition_subalgoE4EjNS0_10empty_typeEbEEZZNS1_14partition_implILS8_4ELb0ES6_15HIP_vector_typeIjLj2EENS0_17counting_iteratorIjlEEPS9_SG_NS0_5tupleIJPjSI_NS0_16reverse_iteratorISI_EEEEENSH_IJSG_SG_SG_EEES9_SI_JZNS1_25segmented_radix_sort_implINS0_14default_configELb0EPK12hip_bfloat16PSP_PKlPlN2at6native12_GLOBAL__N_18offset_tEEE10hipError_tPvRmT1_PNSt15iterator_traitsIS13_E10value_typeET2_T3_PNS14_IS19_E10value_typeET4_jRbjT5_S1F_jjP12ihipStream_tbEUljE_ZNSN_ISO_Lb0ESR_SS_SU_SV_SZ_EES10_S11_S12_S13_S17_S18_S19_S1C_S1D_jS1E_jS1F_S1F_jjS1H_bEUljE0_EEES10_S11_S12_S19_S1D_S1F_T6_T7_T9_mT8_S1H_bDpT10_ENKUlT_T0_E_clISt17integral_constantIbLb0EES1V_EEDaS1Q_S1R_EUlS1Q_E_NS1_11comp_targetILNS1_3genE10ELNS1_11target_archE1200ELNS1_3gpuE4ELNS1_3repE0EEENS1_30default_config_static_selectorELNS0_4arch9wavefront6targetE1EEEvS13_
	.p2align	8
	.type	_ZN7rocprim17ROCPRIM_400000_NS6detail17trampoline_kernelINS0_13select_configILj256ELj13ELNS0_17block_load_methodE3ELS4_3ELS4_3ELNS0_20block_scan_algorithmE0ELj4294967295EEENS1_25partition_config_selectorILNS1_17partition_subalgoE4EjNS0_10empty_typeEbEEZZNS1_14partition_implILS8_4ELb0ES6_15HIP_vector_typeIjLj2EENS0_17counting_iteratorIjlEEPS9_SG_NS0_5tupleIJPjSI_NS0_16reverse_iteratorISI_EEEEENSH_IJSG_SG_SG_EEES9_SI_JZNS1_25segmented_radix_sort_implINS0_14default_configELb0EPK12hip_bfloat16PSP_PKlPlN2at6native12_GLOBAL__N_18offset_tEEE10hipError_tPvRmT1_PNSt15iterator_traitsIS13_E10value_typeET2_T3_PNS14_IS19_E10value_typeET4_jRbjT5_S1F_jjP12ihipStream_tbEUljE_ZNSN_ISO_Lb0ESR_SS_SU_SV_SZ_EES10_S11_S12_S13_S17_S18_S19_S1C_S1D_jS1E_jS1F_S1F_jjS1H_bEUljE0_EEES10_S11_S12_S19_S1D_S1F_T6_T7_T9_mT8_S1H_bDpT10_ENKUlT_T0_E_clISt17integral_constantIbLb0EES1V_EEDaS1Q_S1R_EUlS1Q_E_NS1_11comp_targetILNS1_3genE10ELNS1_11target_archE1200ELNS1_3gpuE4ELNS1_3repE0EEENS1_30default_config_static_selectorELNS0_4arch9wavefront6targetE1EEEvS13_,@function
_ZN7rocprim17ROCPRIM_400000_NS6detail17trampoline_kernelINS0_13select_configILj256ELj13ELNS0_17block_load_methodE3ELS4_3ELS4_3ELNS0_20block_scan_algorithmE0ELj4294967295EEENS1_25partition_config_selectorILNS1_17partition_subalgoE4EjNS0_10empty_typeEbEEZZNS1_14partition_implILS8_4ELb0ES6_15HIP_vector_typeIjLj2EENS0_17counting_iteratorIjlEEPS9_SG_NS0_5tupleIJPjSI_NS0_16reverse_iteratorISI_EEEEENSH_IJSG_SG_SG_EEES9_SI_JZNS1_25segmented_radix_sort_implINS0_14default_configELb0EPK12hip_bfloat16PSP_PKlPlN2at6native12_GLOBAL__N_18offset_tEEE10hipError_tPvRmT1_PNSt15iterator_traitsIS13_E10value_typeET2_T3_PNS14_IS19_E10value_typeET4_jRbjT5_S1F_jjP12ihipStream_tbEUljE_ZNSN_ISO_Lb0ESR_SS_SU_SV_SZ_EES10_S11_S12_S13_S17_S18_S19_S1C_S1D_jS1E_jS1F_S1F_jjS1H_bEUljE0_EEES10_S11_S12_S19_S1D_S1F_T6_T7_T9_mT8_S1H_bDpT10_ENKUlT_T0_E_clISt17integral_constantIbLb0EES1V_EEDaS1Q_S1R_EUlS1Q_E_NS1_11comp_targetILNS1_3genE10ELNS1_11target_archE1200ELNS1_3gpuE4ELNS1_3repE0EEENS1_30default_config_static_selectorELNS0_4arch9wavefront6targetE1EEEvS13_: ; @_ZN7rocprim17ROCPRIM_400000_NS6detail17trampoline_kernelINS0_13select_configILj256ELj13ELNS0_17block_load_methodE3ELS4_3ELS4_3ELNS0_20block_scan_algorithmE0ELj4294967295EEENS1_25partition_config_selectorILNS1_17partition_subalgoE4EjNS0_10empty_typeEbEEZZNS1_14partition_implILS8_4ELb0ES6_15HIP_vector_typeIjLj2EENS0_17counting_iteratorIjlEEPS9_SG_NS0_5tupleIJPjSI_NS0_16reverse_iteratorISI_EEEEENSH_IJSG_SG_SG_EEES9_SI_JZNS1_25segmented_radix_sort_implINS0_14default_configELb0EPK12hip_bfloat16PSP_PKlPlN2at6native12_GLOBAL__N_18offset_tEEE10hipError_tPvRmT1_PNSt15iterator_traitsIS13_E10value_typeET2_T3_PNS14_IS19_E10value_typeET4_jRbjT5_S1F_jjP12ihipStream_tbEUljE_ZNSN_ISO_Lb0ESR_SS_SU_SV_SZ_EES10_S11_S12_S13_S17_S18_S19_S1C_S1D_jS1E_jS1F_S1F_jjS1H_bEUljE0_EEES10_S11_S12_S19_S1D_S1F_T6_T7_T9_mT8_S1H_bDpT10_ENKUlT_T0_E_clISt17integral_constantIbLb0EES1V_EEDaS1Q_S1R_EUlS1Q_E_NS1_11comp_targetILNS1_3genE10ELNS1_11target_archE1200ELNS1_3gpuE4ELNS1_3repE0EEENS1_30default_config_static_selectorELNS0_4arch9wavefront6targetE1EEEvS13_
; %bb.0:
	.section	.rodata,"a",@progbits
	.p2align	6, 0x0
	.amdhsa_kernel _ZN7rocprim17ROCPRIM_400000_NS6detail17trampoline_kernelINS0_13select_configILj256ELj13ELNS0_17block_load_methodE3ELS4_3ELS4_3ELNS0_20block_scan_algorithmE0ELj4294967295EEENS1_25partition_config_selectorILNS1_17partition_subalgoE4EjNS0_10empty_typeEbEEZZNS1_14partition_implILS8_4ELb0ES6_15HIP_vector_typeIjLj2EENS0_17counting_iteratorIjlEEPS9_SG_NS0_5tupleIJPjSI_NS0_16reverse_iteratorISI_EEEEENSH_IJSG_SG_SG_EEES9_SI_JZNS1_25segmented_radix_sort_implINS0_14default_configELb0EPK12hip_bfloat16PSP_PKlPlN2at6native12_GLOBAL__N_18offset_tEEE10hipError_tPvRmT1_PNSt15iterator_traitsIS13_E10value_typeET2_T3_PNS14_IS19_E10value_typeET4_jRbjT5_S1F_jjP12ihipStream_tbEUljE_ZNSN_ISO_Lb0ESR_SS_SU_SV_SZ_EES10_S11_S12_S13_S17_S18_S19_S1C_S1D_jS1E_jS1F_S1F_jjS1H_bEUljE0_EEES10_S11_S12_S19_S1D_S1F_T6_T7_T9_mT8_S1H_bDpT10_ENKUlT_T0_E_clISt17integral_constantIbLb0EES1V_EEDaS1Q_S1R_EUlS1Q_E_NS1_11comp_targetILNS1_3genE10ELNS1_11target_archE1200ELNS1_3gpuE4ELNS1_3repE0EEENS1_30default_config_static_selectorELNS0_4arch9wavefront6targetE1EEEvS13_
		.amdhsa_group_segment_fixed_size 0
		.amdhsa_private_segment_fixed_size 0
		.amdhsa_kernarg_size 176
		.amdhsa_user_sgpr_count 6
		.amdhsa_user_sgpr_private_segment_buffer 1
		.amdhsa_user_sgpr_dispatch_ptr 0
		.amdhsa_user_sgpr_queue_ptr 0
		.amdhsa_user_sgpr_kernarg_segment_ptr 1
		.amdhsa_user_sgpr_dispatch_id 0
		.amdhsa_user_sgpr_flat_scratch_init 0
		.amdhsa_user_sgpr_private_segment_size 0
		.amdhsa_uses_dynamic_stack 0
		.amdhsa_system_sgpr_private_segment_wavefront_offset 0
		.amdhsa_system_sgpr_workgroup_id_x 1
		.amdhsa_system_sgpr_workgroup_id_y 0
		.amdhsa_system_sgpr_workgroup_id_z 0
		.amdhsa_system_sgpr_workgroup_info 0
		.amdhsa_system_vgpr_workitem_id 0
		.amdhsa_next_free_vgpr 1
		.amdhsa_next_free_sgpr 0
		.amdhsa_reserve_vcc 0
		.amdhsa_reserve_flat_scratch 0
		.amdhsa_float_round_mode_32 0
		.amdhsa_float_round_mode_16_64 0
		.amdhsa_float_denorm_mode_32 3
		.amdhsa_float_denorm_mode_16_64 3
		.amdhsa_dx10_clamp 1
		.amdhsa_ieee_mode 1
		.amdhsa_fp16_overflow 0
		.amdhsa_exception_fp_ieee_invalid_op 0
		.amdhsa_exception_fp_denorm_src 0
		.amdhsa_exception_fp_ieee_div_zero 0
		.amdhsa_exception_fp_ieee_overflow 0
		.amdhsa_exception_fp_ieee_underflow 0
		.amdhsa_exception_fp_ieee_inexact 0
		.amdhsa_exception_int_div_zero 0
	.end_amdhsa_kernel
	.section	.text._ZN7rocprim17ROCPRIM_400000_NS6detail17trampoline_kernelINS0_13select_configILj256ELj13ELNS0_17block_load_methodE3ELS4_3ELS4_3ELNS0_20block_scan_algorithmE0ELj4294967295EEENS1_25partition_config_selectorILNS1_17partition_subalgoE4EjNS0_10empty_typeEbEEZZNS1_14partition_implILS8_4ELb0ES6_15HIP_vector_typeIjLj2EENS0_17counting_iteratorIjlEEPS9_SG_NS0_5tupleIJPjSI_NS0_16reverse_iteratorISI_EEEEENSH_IJSG_SG_SG_EEES9_SI_JZNS1_25segmented_radix_sort_implINS0_14default_configELb0EPK12hip_bfloat16PSP_PKlPlN2at6native12_GLOBAL__N_18offset_tEEE10hipError_tPvRmT1_PNSt15iterator_traitsIS13_E10value_typeET2_T3_PNS14_IS19_E10value_typeET4_jRbjT5_S1F_jjP12ihipStream_tbEUljE_ZNSN_ISO_Lb0ESR_SS_SU_SV_SZ_EES10_S11_S12_S13_S17_S18_S19_S1C_S1D_jS1E_jS1F_S1F_jjS1H_bEUljE0_EEES10_S11_S12_S19_S1D_S1F_T6_T7_T9_mT8_S1H_bDpT10_ENKUlT_T0_E_clISt17integral_constantIbLb0EES1V_EEDaS1Q_S1R_EUlS1Q_E_NS1_11comp_targetILNS1_3genE10ELNS1_11target_archE1200ELNS1_3gpuE4ELNS1_3repE0EEENS1_30default_config_static_selectorELNS0_4arch9wavefront6targetE1EEEvS13_,"axG",@progbits,_ZN7rocprim17ROCPRIM_400000_NS6detail17trampoline_kernelINS0_13select_configILj256ELj13ELNS0_17block_load_methodE3ELS4_3ELS4_3ELNS0_20block_scan_algorithmE0ELj4294967295EEENS1_25partition_config_selectorILNS1_17partition_subalgoE4EjNS0_10empty_typeEbEEZZNS1_14partition_implILS8_4ELb0ES6_15HIP_vector_typeIjLj2EENS0_17counting_iteratorIjlEEPS9_SG_NS0_5tupleIJPjSI_NS0_16reverse_iteratorISI_EEEEENSH_IJSG_SG_SG_EEES9_SI_JZNS1_25segmented_radix_sort_implINS0_14default_configELb0EPK12hip_bfloat16PSP_PKlPlN2at6native12_GLOBAL__N_18offset_tEEE10hipError_tPvRmT1_PNSt15iterator_traitsIS13_E10value_typeET2_T3_PNS14_IS19_E10value_typeET4_jRbjT5_S1F_jjP12ihipStream_tbEUljE_ZNSN_ISO_Lb0ESR_SS_SU_SV_SZ_EES10_S11_S12_S13_S17_S18_S19_S1C_S1D_jS1E_jS1F_S1F_jjS1H_bEUljE0_EEES10_S11_S12_S19_S1D_S1F_T6_T7_T9_mT8_S1H_bDpT10_ENKUlT_T0_E_clISt17integral_constantIbLb0EES1V_EEDaS1Q_S1R_EUlS1Q_E_NS1_11comp_targetILNS1_3genE10ELNS1_11target_archE1200ELNS1_3gpuE4ELNS1_3repE0EEENS1_30default_config_static_selectorELNS0_4arch9wavefront6targetE1EEEvS13_,comdat
.Lfunc_end1990:
	.size	_ZN7rocprim17ROCPRIM_400000_NS6detail17trampoline_kernelINS0_13select_configILj256ELj13ELNS0_17block_load_methodE3ELS4_3ELS4_3ELNS0_20block_scan_algorithmE0ELj4294967295EEENS1_25partition_config_selectorILNS1_17partition_subalgoE4EjNS0_10empty_typeEbEEZZNS1_14partition_implILS8_4ELb0ES6_15HIP_vector_typeIjLj2EENS0_17counting_iteratorIjlEEPS9_SG_NS0_5tupleIJPjSI_NS0_16reverse_iteratorISI_EEEEENSH_IJSG_SG_SG_EEES9_SI_JZNS1_25segmented_radix_sort_implINS0_14default_configELb0EPK12hip_bfloat16PSP_PKlPlN2at6native12_GLOBAL__N_18offset_tEEE10hipError_tPvRmT1_PNSt15iterator_traitsIS13_E10value_typeET2_T3_PNS14_IS19_E10value_typeET4_jRbjT5_S1F_jjP12ihipStream_tbEUljE_ZNSN_ISO_Lb0ESR_SS_SU_SV_SZ_EES10_S11_S12_S13_S17_S18_S19_S1C_S1D_jS1E_jS1F_S1F_jjS1H_bEUljE0_EEES10_S11_S12_S19_S1D_S1F_T6_T7_T9_mT8_S1H_bDpT10_ENKUlT_T0_E_clISt17integral_constantIbLb0EES1V_EEDaS1Q_S1R_EUlS1Q_E_NS1_11comp_targetILNS1_3genE10ELNS1_11target_archE1200ELNS1_3gpuE4ELNS1_3repE0EEENS1_30default_config_static_selectorELNS0_4arch9wavefront6targetE1EEEvS13_, .Lfunc_end1990-_ZN7rocprim17ROCPRIM_400000_NS6detail17trampoline_kernelINS0_13select_configILj256ELj13ELNS0_17block_load_methodE3ELS4_3ELS4_3ELNS0_20block_scan_algorithmE0ELj4294967295EEENS1_25partition_config_selectorILNS1_17partition_subalgoE4EjNS0_10empty_typeEbEEZZNS1_14partition_implILS8_4ELb0ES6_15HIP_vector_typeIjLj2EENS0_17counting_iteratorIjlEEPS9_SG_NS0_5tupleIJPjSI_NS0_16reverse_iteratorISI_EEEEENSH_IJSG_SG_SG_EEES9_SI_JZNS1_25segmented_radix_sort_implINS0_14default_configELb0EPK12hip_bfloat16PSP_PKlPlN2at6native12_GLOBAL__N_18offset_tEEE10hipError_tPvRmT1_PNSt15iterator_traitsIS13_E10value_typeET2_T3_PNS14_IS19_E10value_typeET4_jRbjT5_S1F_jjP12ihipStream_tbEUljE_ZNSN_ISO_Lb0ESR_SS_SU_SV_SZ_EES10_S11_S12_S13_S17_S18_S19_S1C_S1D_jS1E_jS1F_S1F_jjS1H_bEUljE0_EEES10_S11_S12_S19_S1D_S1F_T6_T7_T9_mT8_S1H_bDpT10_ENKUlT_T0_E_clISt17integral_constantIbLb0EES1V_EEDaS1Q_S1R_EUlS1Q_E_NS1_11comp_targetILNS1_3genE10ELNS1_11target_archE1200ELNS1_3gpuE4ELNS1_3repE0EEENS1_30default_config_static_selectorELNS0_4arch9wavefront6targetE1EEEvS13_
                                        ; -- End function
	.set _ZN7rocprim17ROCPRIM_400000_NS6detail17trampoline_kernelINS0_13select_configILj256ELj13ELNS0_17block_load_methodE3ELS4_3ELS4_3ELNS0_20block_scan_algorithmE0ELj4294967295EEENS1_25partition_config_selectorILNS1_17partition_subalgoE4EjNS0_10empty_typeEbEEZZNS1_14partition_implILS8_4ELb0ES6_15HIP_vector_typeIjLj2EENS0_17counting_iteratorIjlEEPS9_SG_NS0_5tupleIJPjSI_NS0_16reverse_iteratorISI_EEEEENSH_IJSG_SG_SG_EEES9_SI_JZNS1_25segmented_radix_sort_implINS0_14default_configELb0EPK12hip_bfloat16PSP_PKlPlN2at6native12_GLOBAL__N_18offset_tEEE10hipError_tPvRmT1_PNSt15iterator_traitsIS13_E10value_typeET2_T3_PNS14_IS19_E10value_typeET4_jRbjT5_S1F_jjP12ihipStream_tbEUljE_ZNSN_ISO_Lb0ESR_SS_SU_SV_SZ_EES10_S11_S12_S13_S17_S18_S19_S1C_S1D_jS1E_jS1F_S1F_jjS1H_bEUljE0_EEES10_S11_S12_S19_S1D_S1F_T6_T7_T9_mT8_S1H_bDpT10_ENKUlT_T0_E_clISt17integral_constantIbLb0EES1V_EEDaS1Q_S1R_EUlS1Q_E_NS1_11comp_targetILNS1_3genE10ELNS1_11target_archE1200ELNS1_3gpuE4ELNS1_3repE0EEENS1_30default_config_static_selectorELNS0_4arch9wavefront6targetE1EEEvS13_.num_vgpr, 0
	.set _ZN7rocprim17ROCPRIM_400000_NS6detail17trampoline_kernelINS0_13select_configILj256ELj13ELNS0_17block_load_methodE3ELS4_3ELS4_3ELNS0_20block_scan_algorithmE0ELj4294967295EEENS1_25partition_config_selectorILNS1_17partition_subalgoE4EjNS0_10empty_typeEbEEZZNS1_14partition_implILS8_4ELb0ES6_15HIP_vector_typeIjLj2EENS0_17counting_iteratorIjlEEPS9_SG_NS0_5tupleIJPjSI_NS0_16reverse_iteratorISI_EEEEENSH_IJSG_SG_SG_EEES9_SI_JZNS1_25segmented_radix_sort_implINS0_14default_configELb0EPK12hip_bfloat16PSP_PKlPlN2at6native12_GLOBAL__N_18offset_tEEE10hipError_tPvRmT1_PNSt15iterator_traitsIS13_E10value_typeET2_T3_PNS14_IS19_E10value_typeET4_jRbjT5_S1F_jjP12ihipStream_tbEUljE_ZNSN_ISO_Lb0ESR_SS_SU_SV_SZ_EES10_S11_S12_S13_S17_S18_S19_S1C_S1D_jS1E_jS1F_S1F_jjS1H_bEUljE0_EEES10_S11_S12_S19_S1D_S1F_T6_T7_T9_mT8_S1H_bDpT10_ENKUlT_T0_E_clISt17integral_constantIbLb0EES1V_EEDaS1Q_S1R_EUlS1Q_E_NS1_11comp_targetILNS1_3genE10ELNS1_11target_archE1200ELNS1_3gpuE4ELNS1_3repE0EEENS1_30default_config_static_selectorELNS0_4arch9wavefront6targetE1EEEvS13_.num_agpr, 0
	.set _ZN7rocprim17ROCPRIM_400000_NS6detail17trampoline_kernelINS0_13select_configILj256ELj13ELNS0_17block_load_methodE3ELS4_3ELS4_3ELNS0_20block_scan_algorithmE0ELj4294967295EEENS1_25partition_config_selectorILNS1_17partition_subalgoE4EjNS0_10empty_typeEbEEZZNS1_14partition_implILS8_4ELb0ES6_15HIP_vector_typeIjLj2EENS0_17counting_iteratorIjlEEPS9_SG_NS0_5tupleIJPjSI_NS0_16reverse_iteratorISI_EEEEENSH_IJSG_SG_SG_EEES9_SI_JZNS1_25segmented_radix_sort_implINS0_14default_configELb0EPK12hip_bfloat16PSP_PKlPlN2at6native12_GLOBAL__N_18offset_tEEE10hipError_tPvRmT1_PNSt15iterator_traitsIS13_E10value_typeET2_T3_PNS14_IS19_E10value_typeET4_jRbjT5_S1F_jjP12ihipStream_tbEUljE_ZNSN_ISO_Lb0ESR_SS_SU_SV_SZ_EES10_S11_S12_S13_S17_S18_S19_S1C_S1D_jS1E_jS1F_S1F_jjS1H_bEUljE0_EEES10_S11_S12_S19_S1D_S1F_T6_T7_T9_mT8_S1H_bDpT10_ENKUlT_T0_E_clISt17integral_constantIbLb0EES1V_EEDaS1Q_S1R_EUlS1Q_E_NS1_11comp_targetILNS1_3genE10ELNS1_11target_archE1200ELNS1_3gpuE4ELNS1_3repE0EEENS1_30default_config_static_selectorELNS0_4arch9wavefront6targetE1EEEvS13_.numbered_sgpr, 0
	.set _ZN7rocprim17ROCPRIM_400000_NS6detail17trampoline_kernelINS0_13select_configILj256ELj13ELNS0_17block_load_methodE3ELS4_3ELS4_3ELNS0_20block_scan_algorithmE0ELj4294967295EEENS1_25partition_config_selectorILNS1_17partition_subalgoE4EjNS0_10empty_typeEbEEZZNS1_14partition_implILS8_4ELb0ES6_15HIP_vector_typeIjLj2EENS0_17counting_iteratorIjlEEPS9_SG_NS0_5tupleIJPjSI_NS0_16reverse_iteratorISI_EEEEENSH_IJSG_SG_SG_EEES9_SI_JZNS1_25segmented_radix_sort_implINS0_14default_configELb0EPK12hip_bfloat16PSP_PKlPlN2at6native12_GLOBAL__N_18offset_tEEE10hipError_tPvRmT1_PNSt15iterator_traitsIS13_E10value_typeET2_T3_PNS14_IS19_E10value_typeET4_jRbjT5_S1F_jjP12ihipStream_tbEUljE_ZNSN_ISO_Lb0ESR_SS_SU_SV_SZ_EES10_S11_S12_S13_S17_S18_S19_S1C_S1D_jS1E_jS1F_S1F_jjS1H_bEUljE0_EEES10_S11_S12_S19_S1D_S1F_T6_T7_T9_mT8_S1H_bDpT10_ENKUlT_T0_E_clISt17integral_constantIbLb0EES1V_EEDaS1Q_S1R_EUlS1Q_E_NS1_11comp_targetILNS1_3genE10ELNS1_11target_archE1200ELNS1_3gpuE4ELNS1_3repE0EEENS1_30default_config_static_selectorELNS0_4arch9wavefront6targetE1EEEvS13_.num_named_barrier, 0
	.set _ZN7rocprim17ROCPRIM_400000_NS6detail17trampoline_kernelINS0_13select_configILj256ELj13ELNS0_17block_load_methodE3ELS4_3ELS4_3ELNS0_20block_scan_algorithmE0ELj4294967295EEENS1_25partition_config_selectorILNS1_17partition_subalgoE4EjNS0_10empty_typeEbEEZZNS1_14partition_implILS8_4ELb0ES6_15HIP_vector_typeIjLj2EENS0_17counting_iteratorIjlEEPS9_SG_NS0_5tupleIJPjSI_NS0_16reverse_iteratorISI_EEEEENSH_IJSG_SG_SG_EEES9_SI_JZNS1_25segmented_radix_sort_implINS0_14default_configELb0EPK12hip_bfloat16PSP_PKlPlN2at6native12_GLOBAL__N_18offset_tEEE10hipError_tPvRmT1_PNSt15iterator_traitsIS13_E10value_typeET2_T3_PNS14_IS19_E10value_typeET4_jRbjT5_S1F_jjP12ihipStream_tbEUljE_ZNSN_ISO_Lb0ESR_SS_SU_SV_SZ_EES10_S11_S12_S13_S17_S18_S19_S1C_S1D_jS1E_jS1F_S1F_jjS1H_bEUljE0_EEES10_S11_S12_S19_S1D_S1F_T6_T7_T9_mT8_S1H_bDpT10_ENKUlT_T0_E_clISt17integral_constantIbLb0EES1V_EEDaS1Q_S1R_EUlS1Q_E_NS1_11comp_targetILNS1_3genE10ELNS1_11target_archE1200ELNS1_3gpuE4ELNS1_3repE0EEENS1_30default_config_static_selectorELNS0_4arch9wavefront6targetE1EEEvS13_.private_seg_size, 0
	.set _ZN7rocprim17ROCPRIM_400000_NS6detail17trampoline_kernelINS0_13select_configILj256ELj13ELNS0_17block_load_methodE3ELS4_3ELS4_3ELNS0_20block_scan_algorithmE0ELj4294967295EEENS1_25partition_config_selectorILNS1_17partition_subalgoE4EjNS0_10empty_typeEbEEZZNS1_14partition_implILS8_4ELb0ES6_15HIP_vector_typeIjLj2EENS0_17counting_iteratorIjlEEPS9_SG_NS0_5tupleIJPjSI_NS0_16reverse_iteratorISI_EEEEENSH_IJSG_SG_SG_EEES9_SI_JZNS1_25segmented_radix_sort_implINS0_14default_configELb0EPK12hip_bfloat16PSP_PKlPlN2at6native12_GLOBAL__N_18offset_tEEE10hipError_tPvRmT1_PNSt15iterator_traitsIS13_E10value_typeET2_T3_PNS14_IS19_E10value_typeET4_jRbjT5_S1F_jjP12ihipStream_tbEUljE_ZNSN_ISO_Lb0ESR_SS_SU_SV_SZ_EES10_S11_S12_S13_S17_S18_S19_S1C_S1D_jS1E_jS1F_S1F_jjS1H_bEUljE0_EEES10_S11_S12_S19_S1D_S1F_T6_T7_T9_mT8_S1H_bDpT10_ENKUlT_T0_E_clISt17integral_constantIbLb0EES1V_EEDaS1Q_S1R_EUlS1Q_E_NS1_11comp_targetILNS1_3genE10ELNS1_11target_archE1200ELNS1_3gpuE4ELNS1_3repE0EEENS1_30default_config_static_selectorELNS0_4arch9wavefront6targetE1EEEvS13_.uses_vcc, 0
	.set _ZN7rocprim17ROCPRIM_400000_NS6detail17trampoline_kernelINS0_13select_configILj256ELj13ELNS0_17block_load_methodE3ELS4_3ELS4_3ELNS0_20block_scan_algorithmE0ELj4294967295EEENS1_25partition_config_selectorILNS1_17partition_subalgoE4EjNS0_10empty_typeEbEEZZNS1_14partition_implILS8_4ELb0ES6_15HIP_vector_typeIjLj2EENS0_17counting_iteratorIjlEEPS9_SG_NS0_5tupleIJPjSI_NS0_16reverse_iteratorISI_EEEEENSH_IJSG_SG_SG_EEES9_SI_JZNS1_25segmented_radix_sort_implINS0_14default_configELb0EPK12hip_bfloat16PSP_PKlPlN2at6native12_GLOBAL__N_18offset_tEEE10hipError_tPvRmT1_PNSt15iterator_traitsIS13_E10value_typeET2_T3_PNS14_IS19_E10value_typeET4_jRbjT5_S1F_jjP12ihipStream_tbEUljE_ZNSN_ISO_Lb0ESR_SS_SU_SV_SZ_EES10_S11_S12_S13_S17_S18_S19_S1C_S1D_jS1E_jS1F_S1F_jjS1H_bEUljE0_EEES10_S11_S12_S19_S1D_S1F_T6_T7_T9_mT8_S1H_bDpT10_ENKUlT_T0_E_clISt17integral_constantIbLb0EES1V_EEDaS1Q_S1R_EUlS1Q_E_NS1_11comp_targetILNS1_3genE10ELNS1_11target_archE1200ELNS1_3gpuE4ELNS1_3repE0EEENS1_30default_config_static_selectorELNS0_4arch9wavefront6targetE1EEEvS13_.uses_flat_scratch, 0
	.set _ZN7rocprim17ROCPRIM_400000_NS6detail17trampoline_kernelINS0_13select_configILj256ELj13ELNS0_17block_load_methodE3ELS4_3ELS4_3ELNS0_20block_scan_algorithmE0ELj4294967295EEENS1_25partition_config_selectorILNS1_17partition_subalgoE4EjNS0_10empty_typeEbEEZZNS1_14partition_implILS8_4ELb0ES6_15HIP_vector_typeIjLj2EENS0_17counting_iteratorIjlEEPS9_SG_NS0_5tupleIJPjSI_NS0_16reverse_iteratorISI_EEEEENSH_IJSG_SG_SG_EEES9_SI_JZNS1_25segmented_radix_sort_implINS0_14default_configELb0EPK12hip_bfloat16PSP_PKlPlN2at6native12_GLOBAL__N_18offset_tEEE10hipError_tPvRmT1_PNSt15iterator_traitsIS13_E10value_typeET2_T3_PNS14_IS19_E10value_typeET4_jRbjT5_S1F_jjP12ihipStream_tbEUljE_ZNSN_ISO_Lb0ESR_SS_SU_SV_SZ_EES10_S11_S12_S13_S17_S18_S19_S1C_S1D_jS1E_jS1F_S1F_jjS1H_bEUljE0_EEES10_S11_S12_S19_S1D_S1F_T6_T7_T9_mT8_S1H_bDpT10_ENKUlT_T0_E_clISt17integral_constantIbLb0EES1V_EEDaS1Q_S1R_EUlS1Q_E_NS1_11comp_targetILNS1_3genE10ELNS1_11target_archE1200ELNS1_3gpuE4ELNS1_3repE0EEENS1_30default_config_static_selectorELNS0_4arch9wavefront6targetE1EEEvS13_.has_dyn_sized_stack, 0
	.set _ZN7rocprim17ROCPRIM_400000_NS6detail17trampoline_kernelINS0_13select_configILj256ELj13ELNS0_17block_load_methodE3ELS4_3ELS4_3ELNS0_20block_scan_algorithmE0ELj4294967295EEENS1_25partition_config_selectorILNS1_17partition_subalgoE4EjNS0_10empty_typeEbEEZZNS1_14partition_implILS8_4ELb0ES6_15HIP_vector_typeIjLj2EENS0_17counting_iteratorIjlEEPS9_SG_NS0_5tupleIJPjSI_NS0_16reverse_iteratorISI_EEEEENSH_IJSG_SG_SG_EEES9_SI_JZNS1_25segmented_radix_sort_implINS0_14default_configELb0EPK12hip_bfloat16PSP_PKlPlN2at6native12_GLOBAL__N_18offset_tEEE10hipError_tPvRmT1_PNSt15iterator_traitsIS13_E10value_typeET2_T3_PNS14_IS19_E10value_typeET4_jRbjT5_S1F_jjP12ihipStream_tbEUljE_ZNSN_ISO_Lb0ESR_SS_SU_SV_SZ_EES10_S11_S12_S13_S17_S18_S19_S1C_S1D_jS1E_jS1F_S1F_jjS1H_bEUljE0_EEES10_S11_S12_S19_S1D_S1F_T6_T7_T9_mT8_S1H_bDpT10_ENKUlT_T0_E_clISt17integral_constantIbLb0EES1V_EEDaS1Q_S1R_EUlS1Q_E_NS1_11comp_targetILNS1_3genE10ELNS1_11target_archE1200ELNS1_3gpuE4ELNS1_3repE0EEENS1_30default_config_static_selectorELNS0_4arch9wavefront6targetE1EEEvS13_.has_recursion, 0
	.set _ZN7rocprim17ROCPRIM_400000_NS6detail17trampoline_kernelINS0_13select_configILj256ELj13ELNS0_17block_load_methodE3ELS4_3ELS4_3ELNS0_20block_scan_algorithmE0ELj4294967295EEENS1_25partition_config_selectorILNS1_17partition_subalgoE4EjNS0_10empty_typeEbEEZZNS1_14partition_implILS8_4ELb0ES6_15HIP_vector_typeIjLj2EENS0_17counting_iteratorIjlEEPS9_SG_NS0_5tupleIJPjSI_NS0_16reverse_iteratorISI_EEEEENSH_IJSG_SG_SG_EEES9_SI_JZNS1_25segmented_radix_sort_implINS0_14default_configELb0EPK12hip_bfloat16PSP_PKlPlN2at6native12_GLOBAL__N_18offset_tEEE10hipError_tPvRmT1_PNSt15iterator_traitsIS13_E10value_typeET2_T3_PNS14_IS19_E10value_typeET4_jRbjT5_S1F_jjP12ihipStream_tbEUljE_ZNSN_ISO_Lb0ESR_SS_SU_SV_SZ_EES10_S11_S12_S13_S17_S18_S19_S1C_S1D_jS1E_jS1F_S1F_jjS1H_bEUljE0_EEES10_S11_S12_S19_S1D_S1F_T6_T7_T9_mT8_S1H_bDpT10_ENKUlT_T0_E_clISt17integral_constantIbLb0EES1V_EEDaS1Q_S1R_EUlS1Q_E_NS1_11comp_targetILNS1_3genE10ELNS1_11target_archE1200ELNS1_3gpuE4ELNS1_3repE0EEENS1_30default_config_static_selectorELNS0_4arch9wavefront6targetE1EEEvS13_.has_indirect_call, 0
	.section	.AMDGPU.csdata,"",@progbits
; Kernel info:
; codeLenInByte = 0
; TotalNumSgprs: 4
; NumVgprs: 0
; ScratchSize: 0
; MemoryBound: 0
; FloatMode: 240
; IeeeMode: 1
; LDSByteSize: 0 bytes/workgroup (compile time only)
; SGPRBlocks: 0
; VGPRBlocks: 0
; NumSGPRsForWavesPerEU: 4
; NumVGPRsForWavesPerEU: 1
; Occupancy: 10
; WaveLimiterHint : 0
; COMPUTE_PGM_RSRC2:SCRATCH_EN: 0
; COMPUTE_PGM_RSRC2:USER_SGPR: 6
; COMPUTE_PGM_RSRC2:TRAP_HANDLER: 0
; COMPUTE_PGM_RSRC2:TGID_X_EN: 1
; COMPUTE_PGM_RSRC2:TGID_Y_EN: 0
; COMPUTE_PGM_RSRC2:TGID_Z_EN: 0
; COMPUTE_PGM_RSRC2:TIDIG_COMP_CNT: 0
	.section	.text._ZN7rocprim17ROCPRIM_400000_NS6detail17trampoline_kernelINS0_13select_configILj256ELj13ELNS0_17block_load_methodE3ELS4_3ELS4_3ELNS0_20block_scan_algorithmE0ELj4294967295EEENS1_25partition_config_selectorILNS1_17partition_subalgoE4EjNS0_10empty_typeEbEEZZNS1_14partition_implILS8_4ELb0ES6_15HIP_vector_typeIjLj2EENS0_17counting_iteratorIjlEEPS9_SG_NS0_5tupleIJPjSI_NS0_16reverse_iteratorISI_EEEEENSH_IJSG_SG_SG_EEES9_SI_JZNS1_25segmented_radix_sort_implINS0_14default_configELb0EPK12hip_bfloat16PSP_PKlPlN2at6native12_GLOBAL__N_18offset_tEEE10hipError_tPvRmT1_PNSt15iterator_traitsIS13_E10value_typeET2_T3_PNS14_IS19_E10value_typeET4_jRbjT5_S1F_jjP12ihipStream_tbEUljE_ZNSN_ISO_Lb0ESR_SS_SU_SV_SZ_EES10_S11_S12_S13_S17_S18_S19_S1C_S1D_jS1E_jS1F_S1F_jjS1H_bEUljE0_EEES10_S11_S12_S19_S1D_S1F_T6_T7_T9_mT8_S1H_bDpT10_ENKUlT_T0_E_clISt17integral_constantIbLb0EES1V_EEDaS1Q_S1R_EUlS1Q_E_NS1_11comp_targetILNS1_3genE9ELNS1_11target_archE1100ELNS1_3gpuE3ELNS1_3repE0EEENS1_30default_config_static_selectorELNS0_4arch9wavefront6targetE1EEEvS13_,"axG",@progbits,_ZN7rocprim17ROCPRIM_400000_NS6detail17trampoline_kernelINS0_13select_configILj256ELj13ELNS0_17block_load_methodE3ELS4_3ELS4_3ELNS0_20block_scan_algorithmE0ELj4294967295EEENS1_25partition_config_selectorILNS1_17partition_subalgoE4EjNS0_10empty_typeEbEEZZNS1_14partition_implILS8_4ELb0ES6_15HIP_vector_typeIjLj2EENS0_17counting_iteratorIjlEEPS9_SG_NS0_5tupleIJPjSI_NS0_16reverse_iteratorISI_EEEEENSH_IJSG_SG_SG_EEES9_SI_JZNS1_25segmented_radix_sort_implINS0_14default_configELb0EPK12hip_bfloat16PSP_PKlPlN2at6native12_GLOBAL__N_18offset_tEEE10hipError_tPvRmT1_PNSt15iterator_traitsIS13_E10value_typeET2_T3_PNS14_IS19_E10value_typeET4_jRbjT5_S1F_jjP12ihipStream_tbEUljE_ZNSN_ISO_Lb0ESR_SS_SU_SV_SZ_EES10_S11_S12_S13_S17_S18_S19_S1C_S1D_jS1E_jS1F_S1F_jjS1H_bEUljE0_EEES10_S11_S12_S19_S1D_S1F_T6_T7_T9_mT8_S1H_bDpT10_ENKUlT_T0_E_clISt17integral_constantIbLb0EES1V_EEDaS1Q_S1R_EUlS1Q_E_NS1_11comp_targetILNS1_3genE9ELNS1_11target_archE1100ELNS1_3gpuE3ELNS1_3repE0EEENS1_30default_config_static_selectorELNS0_4arch9wavefront6targetE1EEEvS13_,comdat
	.globl	_ZN7rocprim17ROCPRIM_400000_NS6detail17trampoline_kernelINS0_13select_configILj256ELj13ELNS0_17block_load_methodE3ELS4_3ELS4_3ELNS0_20block_scan_algorithmE0ELj4294967295EEENS1_25partition_config_selectorILNS1_17partition_subalgoE4EjNS0_10empty_typeEbEEZZNS1_14partition_implILS8_4ELb0ES6_15HIP_vector_typeIjLj2EENS0_17counting_iteratorIjlEEPS9_SG_NS0_5tupleIJPjSI_NS0_16reverse_iteratorISI_EEEEENSH_IJSG_SG_SG_EEES9_SI_JZNS1_25segmented_radix_sort_implINS0_14default_configELb0EPK12hip_bfloat16PSP_PKlPlN2at6native12_GLOBAL__N_18offset_tEEE10hipError_tPvRmT1_PNSt15iterator_traitsIS13_E10value_typeET2_T3_PNS14_IS19_E10value_typeET4_jRbjT5_S1F_jjP12ihipStream_tbEUljE_ZNSN_ISO_Lb0ESR_SS_SU_SV_SZ_EES10_S11_S12_S13_S17_S18_S19_S1C_S1D_jS1E_jS1F_S1F_jjS1H_bEUljE0_EEES10_S11_S12_S19_S1D_S1F_T6_T7_T9_mT8_S1H_bDpT10_ENKUlT_T0_E_clISt17integral_constantIbLb0EES1V_EEDaS1Q_S1R_EUlS1Q_E_NS1_11comp_targetILNS1_3genE9ELNS1_11target_archE1100ELNS1_3gpuE3ELNS1_3repE0EEENS1_30default_config_static_selectorELNS0_4arch9wavefront6targetE1EEEvS13_ ; -- Begin function _ZN7rocprim17ROCPRIM_400000_NS6detail17trampoline_kernelINS0_13select_configILj256ELj13ELNS0_17block_load_methodE3ELS4_3ELS4_3ELNS0_20block_scan_algorithmE0ELj4294967295EEENS1_25partition_config_selectorILNS1_17partition_subalgoE4EjNS0_10empty_typeEbEEZZNS1_14partition_implILS8_4ELb0ES6_15HIP_vector_typeIjLj2EENS0_17counting_iteratorIjlEEPS9_SG_NS0_5tupleIJPjSI_NS0_16reverse_iteratorISI_EEEEENSH_IJSG_SG_SG_EEES9_SI_JZNS1_25segmented_radix_sort_implINS0_14default_configELb0EPK12hip_bfloat16PSP_PKlPlN2at6native12_GLOBAL__N_18offset_tEEE10hipError_tPvRmT1_PNSt15iterator_traitsIS13_E10value_typeET2_T3_PNS14_IS19_E10value_typeET4_jRbjT5_S1F_jjP12ihipStream_tbEUljE_ZNSN_ISO_Lb0ESR_SS_SU_SV_SZ_EES10_S11_S12_S13_S17_S18_S19_S1C_S1D_jS1E_jS1F_S1F_jjS1H_bEUljE0_EEES10_S11_S12_S19_S1D_S1F_T6_T7_T9_mT8_S1H_bDpT10_ENKUlT_T0_E_clISt17integral_constantIbLb0EES1V_EEDaS1Q_S1R_EUlS1Q_E_NS1_11comp_targetILNS1_3genE9ELNS1_11target_archE1100ELNS1_3gpuE3ELNS1_3repE0EEENS1_30default_config_static_selectorELNS0_4arch9wavefront6targetE1EEEvS13_
	.p2align	8
	.type	_ZN7rocprim17ROCPRIM_400000_NS6detail17trampoline_kernelINS0_13select_configILj256ELj13ELNS0_17block_load_methodE3ELS4_3ELS4_3ELNS0_20block_scan_algorithmE0ELj4294967295EEENS1_25partition_config_selectorILNS1_17partition_subalgoE4EjNS0_10empty_typeEbEEZZNS1_14partition_implILS8_4ELb0ES6_15HIP_vector_typeIjLj2EENS0_17counting_iteratorIjlEEPS9_SG_NS0_5tupleIJPjSI_NS0_16reverse_iteratorISI_EEEEENSH_IJSG_SG_SG_EEES9_SI_JZNS1_25segmented_radix_sort_implINS0_14default_configELb0EPK12hip_bfloat16PSP_PKlPlN2at6native12_GLOBAL__N_18offset_tEEE10hipError_tPvRmT1_PNSt15iterator_traitsIS13_E10value_typeET2_T3_PNS14_IS19_E10value_typeET4_jRbjT5_S1F_jjP12ihipStream_tbEUljE_ZNSN_ISO_Lb0ESR_SS_SU_SV_SZ_EES10_S11_S12_S13_S17_S18_S19_S1C_S1D_jS1E_jS1F_S1F_jjS1H_bEUljE0_EEES10_S11_S12_S19_S1D_S1F_T6_T7_T9_mT8_S1H_bDpT10_ENKUlT_T0_E_clISt17integral_constantIbLb0EES1V_EEDaS1Q_S1R_EUlS1Q_E_NS1_11comp_targetILNS1_3genE9ELNS1_11target_archE1100ELNS1_3gpuE3ELNS1_3repE0EEENS1_30default_config_static_selectorELNS0_4arch9wavefront6targetE1EEEvS13_,@function
_ZN7rocprim17ROCPRIM_400000_NS6detail17trampoline_kernelINS0_13select_configILj256ELj13ELNS0_17block_load_methodE3ELS4_3ELS4_3ELNS0_20block_scan_algorithmE0ELj4294967295EEENS1_25partition_config_selectorILNS1_17partition_subalgoE4EjNS0_10empty_typeEbEEZZNS1_14partition_implILS8_4ELb0ES6_15HIP_vector_typeIjLj2EENS0_17counting_iteratorIjlEEPS9_SG_NS0_5tupleIJPjSI_NS0_16reverse_iteratorISI_EEEEENSH_IJSG_SG_SG_EEES9_SI_JZNS1_25segmented_radix_sort_implINS0_14default_configELb0EPK12hip_bfloat16PSP_PKlPlN2at6native12_GLOBAL__N_18offset_tEEE10hipError_tPvRmT1_PNSt15iterator_traitsIS13_E10value_typeET2_T3_PNS14_IS19_E10value_typeET4_jRbjT5_S1F_jjP12ihipStream_tbEUljE_ZNSN_ISO_Lb0ESR_SS_SU_SV_SZ_EES10_S11_S12_S13_S17_S18_S19_S1C_S1D_jS1E_jS1F_S1F_jjS1H_bEUljE0_EEES10_S11_S12_S19_S1D_S1F_T6_T7_T9_mT8_S1H_bDpT10_ENKUlT_T0_E_clISt17integral_constantIbLb0EES1V_EEDaS1Q_S1R_EUlS1Q_E_NS1_11comp_targetILNS1_3genE9ELNS1_11target_archE1100ELNS1_3gpuE3ELNS1_3repE0EEENS1_30default_config_static_selectorELNS0_4arch9wavefront6targetE1EEEvS13_: ; @_ZN7rocprim17ROCPRIM_400000_NS6detail17trampoline_kernelINS0_13select_configILj256ELj13ELNS0_17block_load_methodE3ELS4_3ELS4_3ELNS0_20block_scan_algorithmE0ELj4294967295EEENS1_25partition_config_selectorILNS1_17partition_subalgoE4EjNS0_10empty_typeEbEEZZNS1_14partition_implILS8_4ELb0ES6_15HIP_vector_typeIjLj2EENS0_17counting_iteratorIjlEEPS9_SG_NS0_5tupleIJPjSI_NS0_16reverse_iteratorISI_EEEEENSH_IJSG_SG_SG_EEES9_SI_JZNS1_25segmented_radix_sort_implINS0_14default_configELb0EPK12hip_bfloat16PSP_PKlPlN2at6native12_GLOBAL__N_18offset_tEEE10hipError_tPvRmT1_PNSt15iterator_traitsIS13_E10value_typeET2_T3_PNS14_IS19_E10value_typeET4_jRbjT5_S1F_jjP12ihipStream_tbEUljE_ZNSN_ISO_Lb0ESR_SS_SU_SV_SZ_EES10_S11_S12_S13_S17_S18_S19_S1C_S1D_jS1E_jS1F_S1F_jjS1H_bEUljE0_EEES10_S11_S12_S19_S1D_S1F_T6_T7_T9_mT8_S1H_bDpT10_ENKUlT_T0_E_clISt17integral_constantIbLb0EES1V_EEDaS1Q_S1R_EUlS1Q_E_NS1_11comp_targetILNS1_3genE9ELNS1_11target_archE1100ELNS1_3gpuE3ELNS1_3repE0EEENS1_30default_config_static_selectorELNS0_4arch9wavefront6targetE1EEEvS13_
; %bb.0:
	.section	.rodata,"a",@progbits
	.p2align	6, 0x0
	.amdhsa_kernel _ZN7rocprim17ROCPRIM_400000_NS6detail17trampoline_kernelINS0_13select_configILj256ELj13ELNS0_17block_load_methodE3ELS4_3ELS4_3ELNS0_20block_scan_algorithmE0ELj4294967295EEENS1_25partition_config_selectorILNS1_17partition_subalgoE4EjNS0_10empty_typeEbEEZZNS1_14partition_implILS8_4ELb0ES6_15HIP_vector_typeIjLj2EENS0_17counting_iteratorIjlEEPS9_SG_NS0_5tupleIJPjSI_NS0_16reverse_iteratorISI_EEEEENSH_IJSG_SG_SG_EEES9_SI_JZNS1_25segmented_radix_sort_implINS0_14default_configELb0EPK12hip_bfloat16PSP_PKlPlN2at6native12_GLOBAL__N_18offset_tEEE10hipError_tPvRmT1_PNSt15iterator_traitsIS13_E10value_typeET2_T3_PNS14_IS19_E10value_typeET4_jRbjT5_S1F_jjP12ihipStream_tbEUljE_ZNSN_ISO_Lb0ESR_SS_SU_SV_SZ_EES10_S11_S12_S13_S17_S18_S19_S1C_S1D_jS1E_jS1F_S1F_jjS1H_bEUljE0_EEES10_S11_S12_S19_S1D_S1F_T6_T7_T9_mT8_S1H_bDpT10_ENKUlT_T0_E_clISt17integral_constantIbLb0EES1V_EEDaS1Q_S1R_EUlS1Q_E_NS1_11comp_targetILNS1_3genE9ELNS1_11target_archE1100ELNS1_3gpuE3ELNS1_3repE0EEENS1_30default_config_static_selectorELNS0_4arch9wavefront6targetE1EEEvS13_
		.amdhsa_group_segment_fixed_size 0
		.amdhsa_private_segment_fixed_size 0
		.amdhsa_kernarg_size 176
		.amdhsa_user_sgpr_count 6
		.amdhsa_user_sgpr_private_segment_buffer 1
		.amdhsa_user_sgpr_dispatch_ptr 0
		.amdhsa_user_sgpr_queue_ptr 0
		.amdhsa_user_sgpr_kernarg_segment_ptr 1
		.amdhsa_user_sgpr_dispatch_id 0
		.amdhsa_user_sgpr_flat_scratch_init 0
		.amdhsa_user_sgpr_private_segment_size 0
		.amdhsa_uses_dynamic_stack 0
		.amdhsa_system_sgpr_private_segment_wavefront_offset 0
		.amdhsa_system_sgpr_workgroup_id_x 1
		.amdhsa_system_sgpr_workgroup_id_y 0
		.amdhsa_system_sgpr_workgroup_id_z 0
		.amdhsa_system_sgpr_workgroup_info 0
		.amdhsa_system_vgpr_workitem_id 0
		.amdhsa_next_free_vgpr 1
		.amdhsa_next_free_sgpr 0
		.amdhsa_reserve_vcc 0
		.amdhsa_reserve_flat_scratch 0
		.amdhsa_float_round_mode_32 0
		.amdhsa_float_round_mode_16_64 0
		.amdhsa_float_denorm_mode_32 3
		.amdhsa_float_denorm_mode_16_64 3
		.amdhsa_dx10_clamp 1
		.amdhsa_ieee_mode 1
		.amdhsa_fp16_overflow 0
		.amdhsa_exception_fp_ieee_invalid_op 0
		.amdhsa_exception_fp_denorm_src 0
		.amdhsa_exception_fp_ieee_div_zero 0
		.amdhsa_exception_fp_ieee_overflow 0
		.amdhsa_exception_fp_ieee_underflow 0
		.amdhsa_exception_fp_ieee_inexact 0
		.amdhsa_exception_int_div_zero 0
	.end_amdhsa_kernel
	.section	.text._ZN7rocprim17ROCPRIM_400000_NS6detail17trampoline_kernelINS0_13select_configILj256ELj13ELNS0_17block_load_methodE3ELS4_3ELS4_3ELNS0_20block_scan_algorithmE0ELj4294967295EEENS1_25partition_config_selectorILNS1_17partition_subalgoE4EjNS0_10empty_typeEbEEZZNS1_14partition_implILS8_4ELb0ES6_15HIP_vector_typeIjLj2EENS0_17counting_iteratorIjlEEPS9_SG_NS0_5tupleIJPjSI_NS0_16reverse_iteratorISI_EEEEENSH_IJSG_SG_SG_EEES9_SI_JZNS1_25segmented_radix_sort_implINS0_14default_configELb0EPK12hip_bfloat16PSP_PKlPlN2at6native12_GLOBAL__N_18offset_tEEE10hipError_tPvRmT1_PNSt15iterator_traitsIS13_E10value_typeET2_T3_PNS14_IS19_E10value_typeET4_jRbjT5_S1F_jjP12ihipStream_tbEUljE_ZNSN_ISO_Lb0ESR_SS_SU_SV_SZ_EES10_S11_S12_S13_S17_S18_S19_S1C_S1D_jS1E_jS1F_S1F_jjS1H_bEUljE0_EEES10_S11_S12_S19_S1D_S1F_T6_T7_T9_mT8_S1H_bDpT10_ENKUlT_T0_E_clISt17integral_constantIbLb0EES1V_EEDaS1Q_S1R_EUlS1Q_E_NS1_11comp_targetILNS1_3genE9ELNS1_11target_archE1100ELNS1_3gpuE3ELNS1_3repE0EEENS1_30default_config_static_selectorELNS0_4arch9wavefront6targetE1EEEvS13_,"axG",@progbits,_ZN7rocprim17ROCPRIM_400000_NS6detail17trampoline_kernelINS0_13select_configILj256ELj13ELNS0_17block_load_methodE3ELS4_3ELS4_3ELNS0_20block_scan_algorithmE0ELj4294967295EEENS1_25partition_config_selectorILNS1_17partition_subalgoE4EjNS0_10empty_typeEbEEZZNS1_14partition_implILS8_4ELb0ES6_15HIP_vector_typeIjLj2EENS0_17counting_iteratorIjlEEPS9_SG_NS0_5tupleIJPjSI_NS0_16reverse_iteratorISI_EEEEENSH_IJSG_SG_SG_EEES9_SI_JZNS1_25segmented_radix_sort_implINS0_14default_configELb0EPK12hip_bfloat16PSP_PKlPlN2at6native12_GLOBAL__N_18offset_tEEE10hipError_tPvRmT1_PNSt15iterator_traitsIS13_E10value_typeET2_T3_PNS14_IS19_E10value_typeET4_jRbjT5_S1F_jjP12ihipStream_tbEUljE_ZNSN_ISO_Lb0ESR_SS_SU_SV_SZ_EES10_S11_S12_S13_S17_S18_S19_S1C_S1D_jS1E_jS1F_S1F_jjS1H_bEUljE0_EEES10_S11_S12_S19_S1D_S1F_T6_T7_T9_mT8_S1H_bDpT10_ENKUlT_T0_E_clISt17integral_constantIbLb0EES1V_EEDaS1Q_S1R_EUlS1Q_E_NS1_11comp_targetILNS1_3genE9ELNS1_11target_archE1100ELNS1_3gpuE3ELNS1_3repE0EEENS1_30default_config_static_selectorELNS0_4arch9wavefront6targetE1EEEvS13_,comdat
.Lfunc_end1991:
	.size	_ZN7rocprim17ROCPRIM_400000_NS6detail17trampoline_kernelINS0_13select_configILj256ELj13ELNS0_17block_load_methodE3ELS4_3ELS4_3ELNS0_20block_scan_algorithmE0ELj4294967295EEENS1_25partition_config_selectorILNS1_17partition_subalgoE4EjNS0_10empty_typeEbEEZZNS1_14partition_implILS8_4ELb0ES6_15HIP_vector_typeIjLj2EENS0_17counting_iteratorIjlEEPS9_SG_NS0_5tupleIJPjSI_NS0_16reverse_iteratorISI_EEEEENSH_IJSG_SG_SG_EEES9_SI_JZNS1_25segmented_radix_sort_implINS0_14default_configELb0EPK12hip_bfloat16PSP_PKlPlN2at6native12_GLOBAL__N_18offset_tEEE10hipError_tPvRmT1_PNSt15iterator_traitsIS13_E10value_typeET2_T3_PNS14_IS19_E10value_typeET4_jRbjT5_S1F_jjP12ihipStream_tbEUljE_ZNSN_ISO_Lb0ESR_SS_SU_SV_SZ_EES10_S11_S12_S13_S17_S18_S19_S1C_S1D_jS1E_jS1F_S1F_jjS1H_bEUljE0_EEES10_S11_S12_S19_S1D_S1F_T6_T7_T9_mT8_S1H_bDpT10_ENKUlT_T0_E_clISt17integral_constantIbLb0EES1V_EEDaS1Q_S1R_EUlS1Q_E_NS1_11comp_targetILNS1_3genE9ELNS1_11target_archE1100ELNS1_3gpuE3ELNS1_3repE0EEENS1_30default_config_static_selectorELNS0_4arch9wavefront6targetE1EEEvS13_, .Lfunc_end1991-_ZN7rocprim17ROCPRIM_400000_NS6detail17trampoline_kernelINS0_13select_configILj256ELj13ELNS0_17block_load_methodE3ELS4_3ELS4_3ELNS0_20block_scan_algorithmE0ELj4294967295EEENS1_25partition_config_selectorILNS1_17partition_subalgoE4EjNS0_10empty_typeEbEEZZNS1_14partition_implILS8_4ELb0ES6_15HIP_vector_typeIjLj2EENS0_17counting_iteratorIjlEEPS9_SG_NS0_5tupleIJPjSI_NS0_16reverse_iteratorISI_EEEEENSH_IJSG_SG_SG_EEES9_SI_JZNS1_25segmented_radix_sort_implINS0_14default_configELb0EPK12hip_bfloat16PSP_PKlPlN2at6native12_GLOBAL__N_18offset_tEEE10hipError_tPvRmT1_PNSt15iterator_traitsIS13_E10value_typeET2_T3_PNS14_IS19_E10value_typeET4_jRbjT5_S1F_jjP12ihipStream_tbEUljE_ZNSN_ISO_Lb0ESR_SS_SU_SV_SZ_EES10_S11_S12_S13_S17_S18_S19_S1C_S1D_jS1E_jS1F_S1F_jjS1H_bEUljE0_EEES10_S11_S12_S19_S1D_S1F_T6_T7_T9_mT8_S1H_bDpT10_ENKUlT_T0_E_clISt17integral_constantIbLb0EES1V_EEDaS1Q_S1R_EUlS1Q_E_NS1_11comp_targetILNS1_3genE9ELNS1_11target_archE1100ELNS1_3gpuE3ELNS1_3repE0EEENS1_30default_config_static_selectorELNS0_4arch9wavefront6targetE1EEEvS13_
                                        ; -- End function
	.set _ZN7rocprim17ROCPRIM_400000_NS6detail17trampoline_kernelINS0_13select_configILj256ELj13ELNS0_17block_load_methodE3ELS4_3ELS4_3ELNS0_20block_scan_algorithmE0ELj4294967295EEENS1_25partition_config_selectorILNS1_17partition_subalgoE4EjNS0_10empty_typeEbEEZZNS1_14partition_implILS8_4ELb0ES6_15HIP_vector_typeIjLj2EENS0_17counting_iteratorIjlEEPS9_SG_NS0_5tupleIJPjSI_NS0_16reverse_iteratorISI_EEEEENSH_IJSG_SG_SG_EEES9_SI_JZNS1_25segmented_radix_sort_implINS0_14default_configELb0EPK12hip_bfloat16PSP_PKlPlN2at6native12_GLOBAL__N_18offset_tEEE10hipError_tPvRmT1_PNSt15iterator_traitsIS13_E10value_typeET2_T3_PNS14_IS19_E10value_typeET4_jRbjT5_S1F_jjP12ihipStream_tbEUljE_ZNSN_ISO_Lb0ESR_SS_SU_SV_SZ_EES10_S11_S12_S13_S17_S18_S19_S1C_S1D_jS1E_jS1F_S1F_jjS1H_bEUljE0_EEES10_S11_S12_S19_S1D_S1F_T6_T7_T9_mT8_S1H_bDpT10_ENKUlT_T0_E_clISt17integral_constantIbLb0EES1V_EEDaS1Q_S1R_EUlS1Q_E_NS1_11comp_targetILNS1_3genE9ELNS1_11target_archE1100ELNS1_3gpuE3ELNS1_3repE0EEENS1_30default_config_static_selectorELNS0_4arch9wavefront6targetE1EEEvS13_.num_vgpr, 0
	.set _ZN7rocprim17ROCPRIM_400000_NS6detail17trampoline_kernelINS0_13select_configILj256ELj13ELNS0_17block_load_methodE3ELS4_3ELS4_3ELNS0_20block_scan_algorithmE0ELj4294967295EEENS1_25partition_config_selectorILNS1_17partition_subalgoE4EjNS0_10empty_typeEbEEZZNS1_14partition_implILS8_4ELb0ES6_15HIP_vector_typeIjLj2EENS0_17counting_iteratorIjlEEPS9_SG_NS0_5tupleIJPjSI_NS0_16reverse_iteratorISI_EEEEENSH_IJSG_SG_SG_EEES9_SI_JZNS1_25segmented_radix_sort_implINS0_14default_configELb0EPK12hip_bfloat16PSP_PKlPlN2at6native12_GLOBAL__N_18offset_tEEE10hipError_tPvRmT1_PNSt15iterator_traitsIS13_E10value_typeET2_T3_PNS14_IS19_E10value_typeET4_jRbjT5_S1F_jjP12ihipStream_tbEUljE_ZNSN_ISO_Lb0ESR_SS_SU_SV_SZ_EES10_S11_S12_S13_S17_S18_S19_S1C_S1D_jS1E_jS1F_S1F_jjS1H_bEUljE0_EEES10_S11_S12_S19_S1D_S1F_T6_T7_T9_mT8_S1H_bDpT10_ENKUlT_T0_E_clISt17integral_constantIbLb0EES1V_EEDaS1Q_S1R_EUlS1Q_E_NS1_11comp_targetILNS1_3genE9ELNS1_11target_archE1100ELNS1_3gpuE3ELNS1_3repE0EEENS1_30default_config_static_selectorELNS0_4arch9wavefront6targetE1EEEvS13_.num_agpr, 0
	.set _ZN7rocprim17ROCPRIM_400000_NS6detail17trampoline_kernelINS0_13select_configILj256ELj13ELNS0_17block_load_methodE3ELS4_3ELS4_3ELNS0_20block_scan_algorithmE0ELj4294967295EEENS1_25partition_config_selectorILNS1_17partition_subalgoE4EjNS0_10empty_typeEbEEZZNS1_14partition_implILS8_4ELb0ES6_15HIP_vector_typeIjLj2EENS0_17counting_iteratorIjlEEPS9_SG_NS0_5tupleIJPjSI_NS0_16reverse_iteratorISI_EEEEENSH_IJSG_SG_SG_EEES9_SI_JZNS1_25segmented_radix_sort_implINS0_14default_configELb0EPK12hip_bfloat16PSP_PKlPlN2at6native12_GLOBAL__N_18offset_tEEE10hipError_tPvRmT1_PNSt15iterator_traitsIS13_E10value_typeET2_T3_PNS14_IS19_E10value_typeET4_jRbjT5_S1F_jjP12ihipStream_tbEUljE_ZNSN_ISO_Lb0ESR_SS_SU_SV_SZ_EES10_S11_S12_S13_S17_S18_S19_S1C_S1D_jS1E_jS1F_S1F_jjS1H_bEUljE0_EEES10_S11_S12_S19_S1D_S1F_T6_T7_T9_mT8_S1H_bDpT10_ENKUlT_T0_E_clISt17integral_constantIbLb0EES1V_EEDaS1Q_S1R_EUlS1Q_E_NS1_11comp_targetILNS1_3genE9ELNS1_11target_archE1100ELNS1_3gpuE3ELNS1_3repE0EEENS1_30default_config_static_selectorELNS0_4arch9wavefront6targetE1EEEvS13_.numbered_sgpr, 0
	.set _ZN7rocprim17ROCPRIM_400000_NS6detail17trampoline_kernelINS0_13select_configILj256ELj13ELNS0_17block_load_methodE3ELS4_3ELS4_3ELNS0_20block_scan_algorithmE0ELj4294967295EEENS1_25partition_config_selectorILNS1_17partition_subalgoE4EjNS0_10empty_typeEbEEZZNS1_14partition_implILS8_4ELb0ES6_15HIP_vector_typeIjLj2EENS0_17counting_iteratorIjlEEPS9_SG_NS0_5tupleIJPjSI_NS0_16reverse_iteratorISI_EEEEENSH_IJSG_SG_SG_EEES9_SI_JZNS1_25segmented_radix_sort_implINS0_14default_configELb0EPK12hip_bfloat16PSP_PKlPlN2at6native12_GLOBAL__N_18offset_tEEE10hipError_tPvRmT1_PNSt15iterator_traitsIS13_E10value_typeET2_T3_PNS14_IS19_E10value_typeET4_jRbjT5_S1F_jjP12ihipStream_tbEUljE_ZNSN_ISO_Lb0ESR_SS_SU_SV_SZ_EES10_S11_S12_S13_S17_S18_S19_S1C_S1D_jS1E_jS1F_S1F_jjS1H_bEUljE0_EEES10_S11_S12_S19_S1D_S1F_T6_T7_T9_mT8_S1H_bDpT10_ENKUlT_T0_E_clISt17integral_constantIbLb0EES1V_EEDaS1Q_S1R_EUlS1Q_E_NS1_11comp_targetILNS1_3genE9ELNS1_11target_archE1100ELNS1_3gpuE3ELNS1_3repE0EEENS1_30default_config_static_selectorELNS0_4arch9wavefront6targetE1EEEvS13_.num_named_barrier, 0
	.set _ZN7rocprim17ROCPRIM_400000_NS6detail17trampoline_kernelINS0_13select_configILj256ELj13ELNS0_17block_load_methodE3ELS4_3ELS4_3ELNS0_20block_scan_algorithmE0ELj4294967295EEENS1_25partition_config_selectorILNS1_17partition_subalgoE4EjNS0_10empty_typeEbEEZZNS1_14partition_implILS8_4ELb0ES6_15HIP_vector_typeIjLj2EENS0_17counting_iteratorIjlEEPS9_SG_NS0_5tupleIJPjSI_NS0_16reverse_iteratorISI_EEEEENSH_IJSG_SG_SG_EEES9_SI_JZNS1_25segmented_radix_sort_implINS0_14default_configELb0EPK12hip_bfloat16PSP_PKlPlN2at6native12_GLOBAL__N_18offset_tEEE10hipError_tPvRmT1_PNSt15iterator_traitsIS13_E10value_typeET2_T3_PNS14_IS19_E10value_typeET4_jRbjT5_S1F_jjP12ihipStream_tbEUljE_ZNSN_ISO_Lb0ESR_SS_SU_SV_SZ_EES10_S11_S12_S13_S17_S18_S19_S1C_S1D_jS1E_jS1F_S1F_jjS1H_bEUljE0_EEES10_S11_S12_S19_S1D_S1F_T6_T7_T9_mT8_S1H_bDpT10_ENKUlT_T0_E_clISt17integral_constantIbLb0EES1V_EEDaS1Q_S1R_EUlS1Q_E_NS1_11comp_targetILNS1_3genE9ELNS1_11target_archE1100ELNS1_3gpuE3ELNS1_3repE0EEENS1_30default_config_static_selectorELNS0_4arch9wavefront6targetE1EEEvS13_.private_seg_size, 0
	.set _ZN7rocprim17ROCPRIM_400000_NS6detail17trampoline_kernelINS0_13select_configILj256ELj13ELNS0_17block_load_methodE3ELS4_3ELS4_3ELNS0_20block_scan_algorithmE0ELj4294967295EEENS1_25partition_config_selectorILNS1_17partition_subalgoE4EjNS0_10empty_typeEbEEZZNS1_14partition_implILS8_4ELb0ES6_15HIP_vector_typeIjLj2EENS0_17counting_iteratorIjlEEPS9_SG_NS0_5tupleIJPjSI_NS0_16reverse_iteratorISI_EEEEENSH_IJSG_SG_SG_EEES9_SI_JZNS1_25segmented_radix_sort_implINS0_14default_configELb0EPK12hip_bfloat16PSP_PKlPlN2at6native12_GLOBAL__N_18offset_tEEE10hipError_tPvRmT1_PNSt15iterator_traitsIS13_E10value_typeET2_T3_PNS14_IS19_E10value_typeET4_jRbjT5_S1F_jjP12ihipStream_tbEUljE_ZNSN_ISO_Lb0ESR_SS_SU_SV_SZ_EES10_S11_S12_S13_S17_S18_S19_S1C_S1D_jS1E_jS1F_S1F_jjS1H_bEUljE0_EEES10_S11_S12_S19_S1D_S1F_T6_T7_T9_mT8_S1H_bDpT10_ENKUlT_T0_E_clISt17integral_constantIbLb0EES1V_EEDaS1Q_S1R_EUlS1Q_E_NS1_11comp_targetILNS1_3genE9ELNS1_11target_archE1100ELNS1_3gpuE3ELNS1_3repE0EEENS1_30default_config_static_selectorELNS0_4arch9wavefront6targetE1EEEvS13_.uses_vcc, 0
	.set _ZN7rocprim17ROCPRIM_400000_NS6detail17trampoline_kernelINS0_13select_configILj256ELj13ELNS0_17block_load_methodE3ELS4_3ELS4_3ELNS0_20block_scan_algorithmE0ELj4294967295EEENS1_25partition_config_selectorILNS1_17partition_subalgoE4EjNS0_10empty_typeEbEEZZNS1_14partition_implILS8_4ELb0ES6_15HIP_vector_typeIjLj2EENS0_17counting_iteratorIjlEEPS9_SG_NS0_5tupleIJPjSI_NS0_16reverse_iteratorISI_EEEEENSH_IJSG_SG_SG_EEES9_SI_JZNS1_25segmented_radix_sort_implINS0_14default_configELb0EPK12hip_bfloat16PSP_PKlPlN2at6native12_GLOBAL__N_18offset_tEEE10hipError_tPvRmT1_PNSt15iterator_traitsIS13_E10value_typeET2_T3_PNS14_IS19_E10value_typeET4_jRbjT5_S1F_jjP12ihipStream_tbEUljE_ZNSN_ISO_Lb0ESR_SS_SU_SV_SZ_EES10_S11_S12_S13_S17_S18_S19_S1C_S1D_jS1E_jS1F_S1F_jjS1H_bEUljE0_EEES10_S11_S12_S19_S1D_S1F_T6_T7_T9_mT8_S1H_bDpT10_ENKUlT_T0_E_clISt17integral_constantIbLb0EES1V_EEDaS1Q_S1R_EUlS1Q_E_NS1_11comp_targetILNS1_3genE9ELNS1_11target_archE1100ELNS1_3gpuE3ELNS1_3repE0EEENS1_30default_config_static_selectorELNS0_4arch9wavefront6targetE1EEEvS13_.uses_flat_scratch, 0
	.set _ZN7rocprim17ROCPRIM_400000_NS6detail17trampoline_kernelINS0_13select_configILj256ELj13ELNS0_17block_load_methodE3ELS4_3ELS4_3ELNS0_20block_scan_algorithmE0ELj4294967295EEENS1_25partition_config_selectorILNS1_17partition_subalgoE4EjNS0_10empty_typeEbEEZZNS1_14partition_implILS8_4ELb0ES6_15HIP_vector_typeIjLj2EENS0_17counting_iteratorIjlEEPS9_SG_NS0_5tupleIJPjSI_NS0_16reverse_iteratorISI_EEEEENSH_IJSG_SG_SG_EEES9_SI_JZNS1_25segmented_radix_sort_implINS0_14default_configELb0EPK12hip_bfloat16PSP_PKlPlN2at6native12_GLOBAL__N_18offset_tEEE10hipError_tPvRmT1_PNSt15iterator_traitsIS13_E10value_typeET2_T3_PNS14_IS19_E10value_typeET4_jRbjT5_S1F_jjP12ihipStream_tbEUljE_ZNSN_ISO_Lb0ESR_SS_SU_SV_SZ_EES10_S11_S12_S13_S17_S18_S19_S1C_S1D_jS1E_jS1F_S1F_jjS1H_bEUljE0_EEES10_S11_S12_S19_S1D_S1F_T6_T7_T9_mT8_S1H_bDpT10_ENKUlT_T0_E_clISt17integral_constantIbLb0EES1V_EEDaS1Q_S1R_EUlS1Q_E_NS1_11comp_targetILNS1_3genE9ELNS1_11target_archE1100ELNS1_3gpuE3ELNS1_3repE0EEENS1_30default_config_static_selectorELNS0_4arch9wavefront6targetE1EEEvS13_.has_dyn_sized_stack, 0
	.set _ZN7rocprim17ROCPRIM_400000_NS6detail17trampoline_kernelINS0_13select_configILj256ELj13ELNS0_17block_load_methodE3ELS4_3ELS4_3ELNS0_20block_scan_algorithmE0ELj4294967295EEENS1_25partition_config_selectorILNS1_17partition_subalgoE4EjNS0_10empty_typeEbEEZZNS1_14partition_implILS8_4ELb0ES6_15HIP_vector_typeIjLj2EENS0_17counting_iteratorIjlEEPS9_SG_NS0_5tupleIJPjSI_NS0_16reverse_iteratorISI_EEEEENSH_IJSG_SG_SG_EEES9_SI_JZNS1_25segmented_radix_sort_implINS0_14default_configELb0EPK12hip_bfloat16PSP_PKlPlN2at6native12_GLOBAL__N_18offset_tEEE10hipError_tPvRmT1_PNSt15iterator_traitsIS13_E10value_typeET2_T3_PNS14_IS19_E10value_typeET4_jRbjT5_S1F_jjP12ihipStream_tbEUljE_ZNSN_ISO_Lb0ESR_SS_SU_SV_SZ_EES10_S11_S12_S13_S17_S18_S19_S1C_S1D_jS1E_jS1F_S1F_jjS1H_bEUljE0_EEES10_S11_S12_S19_S1D_S1F_T6_T7_T9_mT8_S1H_bDpT10_ENKUlT_T0_E_clISt17integral_constantIbLb0EES1V_EEDaS1Q_S1R_EUlS1Q_E_NS1_11comp_targetILNS1_3genE9ELNS1_11target_archE1100ELNS1_3gpuE3ELNS1_3repE0EEENS1_30default_config_static_selectorELNS0_4arch9wavefront6targetE1EEEvS13_.has_recursion, 0
	.set _ZN7rocprim17ROCPRIM_400000_NS6detail17trampoline_kernelINS0_13select_configILj256ELj13ELNS0_17block_load_methodE3ELS4_3ELS4_3ELNS0_20block_scan_algorithmE0ELj4294967295EEENS1_25partition_config_selectorILNS1_17partition_subalgoE4EjNS0_10empty_typeEbEEZZNS1_14partition_implILS8_4ELb0ES6_15HIP_vector_typeIjLj2EENS0_17counting_iteratorIjlEEPS9_SG_NS0_5tupleIJPjSI_NS0_16reverse_iteratorISI_EEEEENSH_IJSG_SG_SG_EEES9_SI_JZNS1_25segmented_radix_sort_implINS0_14default_configELb0EPK12hip_bfloat16PSP_PKlPlN2at6native12_GLOBAL__N_18offset_tEEE10hipError_tPvRmT1_PNSt15iterator_traitsIS13_E10value_typeET2_T3_PNS14_IS19_E10value_typeET4_jRbjT5_S1F_jjP12ihipStream_tbEUljE_ZNSN_ISO_Lb0ESR_SS_SU_SV_SZ_EES10_S11_S12_S13_S17_S18_S19_S1C_S1D_jS1E_jS1F_S1F_jjS1H_bEUljE0_EEES10_S11_S12_S19_S1D_S1F_T6_T7_T9_mT8_S1H_bDpT10_ENKUlT_T0_E_clISt17integral_constantIbLb0EES1V_EEDaS1Q_S1R_EUlS1Q_E_NS1_11comp_targetILNS1_3genE9ELNS1_11target_archE1100ELNS1_3gpuE3ELNS1_3repE0EEENS1_30default_config_static_selectorELNS0_4arch9wavefront6targetE1EEEvS13_.has_indirect_call, 0
	.section	.AMDGPU.csdata,"",@progbits
; Kernel info:
; codeLenInByte = 0
; TotalNumSgprs: 4
; NumVgprs: 0
; ScratchSize: 0
; MemoryBound: 0
; FloatMode: 240
; IeeeMode: 1
; LDSByteSize: 0 bytes/workgroup (compile time only)
; SGPRBlocks: 0
; VGPRBlocks: 0
; NumSGPRsForWavesPerEU: 4
; NumVGPRsForWavesPerEU: 1
; Occupancy: 10
; WaveLimiterHint : 0
; COMPUTE_PGM_RSRC2:SCRATCH_EN: 0
; COMPUTE_PGM_RSRC2:USER_SGPR: 6
; COMPUTE_PGM_RSRC2:TRAP_HANDLER: 0
; COMPUTE_PGM_RSRC2:TGID_X_EN: 1
; COMPUTE_PGM_RSRC2:TGID_Y_EN: 0
; COMPUTE_PGM_RSRC2:TGID_Z_EN: 0
; COMPUTE_PGM_RSRC2:TIDIG_COMP_CNT: 0
	.section	.text._ZN7rocprim17ROCPRIM_400000_NS6detail17trampoline_kernelINS0_13select_configILj256ELj13ELNS0_17block_load_methodE3ELS4_3ELS4_3ELNS0_20block_scan_algorithmE0ELj4294967295EEENS1_25partition_config_selectorILNS1_17partition_subalgoE4EjNS0_10empty_typeEbEEZZNS1_14partition_implILS8_4ELb0ES6_15HIP_vector_typeIjLj2EENS0_17counting_iteratorIjlEEPS9_SG_NS0_5tupleIJPjSI_NS0_16reverse_iteratorISI_EEEEENSH_IJSG_SG_SG_EEES9_SI_JZNS1_25segmented_radix_sort_implINS0_14default_configELb0EPK12hip_bfloat16PSP_PKlPlN2at6native12_GLOBAL__N_18offset_tEEE10hipError_tPvRmT1_PNSt15iterator_traitsIS13_E10value_typeET2_T3_PNS14_IS19_E10value_typeET4_jRbjT5_S1F_jjP12ihipStream_tbEUljE_ZNSN_ISO_Lb0ESR_SS_SU_SV_SZ_EES10_S11_S12_S13_S17_S18_S19_S1C_S1D_jS1E_jS1F_S1F_jjS1H_bEUljE0_EEES10_S11_S12_S19_S1D_S1F_T6_T7_T9_mT8_S1H_bDpT10_ENKUlT_T0_E_clISt17integral_constantIbLb0EES1V_EEDaS1Q_S1R_EUlS1Q_E_NS1_11comp_targetILNS1_3genE8ELNS1_11target_archE1030ELNS1_3gpuE2ELNS1_3repE0EEENS1_30default_config_static_selectorELNS0_4arch9wavefront6targetE1EEEvS13_,"axG",@progbits,_ZN7rocprim17ROCPRIM_400000_NS6detail17trampoline_kernelINS0_13select_configILj256ELj13ELNS0_17block_load_methodE3ELS4_3ELS4_3ELNS0_20block_scan_algorithmE0ELj4294967295EEENS1_25partition_config_selectorILNS1_17partition_subalgoE4EjNS0_10empty_typeEbEEZZNS1_14partition_implILS8_4ELb0ES6_15HIP_vector_typeIjLj2EENS0_17counting_iteratorIjlEEPS9_SG_NS0_5tupleIJPjSI_NS0_16reverse_iteratorISI_EEEEENSH_IJSG_SG_SG_EEES9_SI_JZNS1_25segmented_radix_sort_implINS0_14default_configELb0EPK12hip_bfloat16PSP_PKlPlN2at6native12_GLOBAL__N_18offset_tEEE10hipError_tPvRmT1_PNSt15iterator_traitsIS13_E10value_typeET2_T3_PNS14_IS19_E10value_typeET4_jRbjT5_S1F_jjP12ihipStream_tbEUljE_ZNSN_ISO_Lb0ESR_SS_SU_SV_SZ_EES10_S11_S12_S13_S17_S18_S19_S1C_S1D_jS1E_jS1F_S1F_jjS1H_bEUljE0_EEES10_S11_S12_S19_S1D_S1F_T6_T7_T9_mT8_S1H_bDpT10_ENKUlT_T0_E_clISt17integral_constantIbLb0EES1V_EEDaS1Q_S1R_EUlS1Q_E_NS1_11comp_targetILNS1_3genE8ELNS1_11target_archE1030ELNS1_3gpuE2ELNS1_3repE0EEENS1_30default_config_static_selectorELNS0_4arch9wavefront6targetE1EEEvS13_,comdat
	.globl	_ZN7rocprim17ROCPRIM_400000_NS6detail17trampoline_kernelINS0_13select_configILj256ELj13ELNS0_17block_load_methodE3ELS4_3ELS4_3ELNS0_20block_scan_algorithmE0ELj4294967295EEENS1_25partition_config_selectorILNS1_17partition_subalgoE4EjNS0_10empty_typeEbEEZZNS1_14partition_implILS8_4ELb0ES6_15HIP_vector_typeIjLj2EENS0_17counting_iteratorIjlEEPS9_SG_NS0_5tupleIJPjSI_NS0_16reverse_iteratorISI_EEEEENSH_IJSG_SG_SG_EEES9_SI_JZNS1_25segmented_radix_sort_implINS0_14default_configELb0EPK12hip_bfloat16PSP_PKlPlN2at6native12_GLOBAL__N_18offset_tEEE10hipError_tPvRmT1_PNSt15iterator_traitsIS13_E10value_typeET2_T3_PNS14_IS19_E10value_typeET4_jRbjT5_S1F_jjP12ihipStream_tbEUljE_ZNSN_ISO_Lb0ESR_SS_SU_SV_SZ_EES10_S11_S12_S13_S17_S18_S19_S1C_S1D_jS1E_jS1F_S1F_jjS1H_bEUljE0_EEES10_S11_S12_S19_S1D_S1F_T6_T7_T9_mT8_S1H_bDpT10_ENKUlT_T0_E_clISt17integral_constantIbLb0EES1V_EEDaS1Q_S1R_EUlS1Q_E_NS1_11comp_targetILNS1_3genE8ELNS1_11target_archE1030ELNS1_3gpuE2ELNS1_3repE0EEENS1_30default_config_static_selectorELNS0_4arch9wavefront6targetE1EEEvS13_ ; -- Begin function _ZN7rocprim17ROCPRIM_400000_NS6detail17trampoline_kernelINS0_13select_configILj256ELj13ELNS0_17block_load_methodE3ELS4_3ELS4_3ELNS0_20block_scan_algorithmE0ELj4294967295EEENS1_25partition_config_selectorILNS1_17partition_subalgoE4EjNS0_10empty_typeEbEEZZNS1_14partition_implILS8_4ELb0ES6_15HIP_vector_typeIjLj2EENS0_17counting_iteratorIjlEEPS9_SG_NS0_5tupleIJPjSI_NS0_16reverse_iteratorISI_EEEEENSH_IJSG_SG_SG_EEES9_SI_JZNS1_25segmented_radix_sort_implINS0_14default_configELb0EPK12hip_bfloat16PSP_PKlPlN2at6native12_GLOBAL__N_18offset_tEEE10hipError_tPvRmT1_PNSt15iterator_traitsIS13_E10value_typeET2_T3_PNS14_IS19_E10value_typeET4_jRbjT5_S1F_jjP12ihipStream_tbEUljE_ZNSN_ISO_Lb0ESR_SS_SU_SV_SZ_EES10_S11_S12_S13_S17_S18_S19_S1C_S1D_jS1E_jS1F_S1F_jjS1H_bEUljE0_EEES10_S11_S12_S19_S1D_S1F_T6_T7_T9_mT8_S1H_bDpT10_ENKUlT_T0_E_clISt17integral_constantIbLb0EES1V_EEDaS1Q_S1R_EUlS1Q_E_NS1_11comp_targetILNS1_3genE8ELNS1_11target_archE1030ELNS1_3gpuE2ELNS1_3repE0EEENS1_30default_config_static_selectorELNS0_4arch9wavefront6targetE1EEEvS13_
	.p2align	8
	.type	_ZN7rocprim17ROCPRIM_400000_NS6detail17trampoline_kernelINS0_13select_configILj256ELj13ELNS0_17block_load_methodE3ELS4_3ELS4_3ELNS0_20block_scan_algorithmE0ELj4294967295EEENS1_25partition_config_selectorILNS1_17partition_subalgoE4EjNS0_10empty_typeEbEEZZNS1_14partition_implILS8_4ELb0ES6_15HIP_vector_typeIjLj2EENS0_17counting_iteratorIjlEEPS9_SG_NS0_5tupleIJPjSI_NS0_16reverse_iteratorISI_EEEEENSH_IJSG_SG_SG_EEES9_SI_JZNS1_25segmented_radix_sort_implINS0_14default_configELb0EPK12hip_bfloat16PSP_PKlPlN2at6native12_GLOBAL__N_18offset_tEEE10hipError_tPvRmT1_PNSt15iterator_traitsIS13_E10value_typeET2_T3_PNS14_IS19_E10value_typeET4_jRbjT5_S1F_jjP12ihipStream_tbEUljE_ZNSN_ISO_Lb0ESR_SS_SU_SV_SZ_EES10_S11_S12_S13_S17_S18_S19_S1C_S1D_jS1E_jS1F_S1F_jjS1H_bEUljE0_EEES10_S11_S12_S19_S1D_S1F_T6_T7_T9_mT8_S1H_bDpT10_ENKUlT_T0_E_clISt17integral_constantIbLb0EES1V_EEDaS1Q_S1R_EUlS1Q_E_NS1_11comp_targetILNS1_3genE8ELNS1_11target_archE1030ELNS1_3gpuE2ELNS1_3repE0EEENS1_30default_config_static_selectorELNS0_4arch9wavefront6targetE1EEEvS13_,@function
_ZN7rocprim17ROCPRIM_400000_NS6detail17trampoline_kernelINS0_13select_configILj256ELj13ELNS0_17block_load_methodE3ELS4_3ELS4_3ELNS0_20block_scan_algorithmE0ELj4294967295EEENS1_25partition_config_selectorILNS1_17partition_subalgoE4EjNS0_10empty_typeEbEEZZNS1_14partition_implILS8_4ELb0ES6_15HIP_vector_typeIjLj2EENS0_17counting_iteratorIjlEEPS9_SG_NS0_5tupleIJPjSI_NS0_16reverse_iteratorISI_EEEEENSH_IJSG_SG_SG_EEES9_SI_JZNS1_25segmented_radix_sort_implINS0_14default_configELb0EPK12hip_bfloat16PSP_PKlPlN2at6native12_GLOBAL__N_18offset_tEEE10hipError_tPvRmT1_PNSt15iterator_traitsIS13_E10value_typeET2_T3_PNS14_IS19_E10value_typeET4_jRbjT5_S1F_jjP12ihipStream_tbEUljE_ZNSN_ISO_Lb0ESR_SS_SU_SV_SZ_EES10_S11_S12_S13_S17_S18_S19_S1C_S1D_jS1E_jS1F_S1F_jjS1H_bEUljE0_EEES10_S11_S12_S19_S1D_S1F_T6_T7_T9_mT8_S1H_bDpT10_ENKUlT_T0_E_clISt17integral_constantIbLb0EES1V_EEDaS1Q_S1R_EUlS1Q_E_NS1_11comp_targetILNS1_3genE8ELNS1_11target_archE1030ELNS1_3gpuE2ELNS1_3repE0EEENS1_30default_config_static_selectorELNS0_4arch9wavefront6targetE1EEEvS13_: ; @_ZN7rocprim17ROCPRIM_400000_NS6detail17trampoline_kernelINS0_13select_configILj256ELj13ELNS0_17block_load_methodE3ELS4_3ELS4_3ELNS0_20block_scan_algorithmE0ELj4294967295EEENS1_25partition_config_selectorILNS1_17partition_subalgoE4EjNS0_10empty_typeEbEEZZNS1_14partition_implILS8_4ELb0ES6_15HIP_vector_typeIjLj2EENS0_17counting_iteratorIjlEEPS9_SG_NS0_5tupleIJPjSI_NS0_16reverse_iteratorISI_EEEEENSH_IJSG_SG_SG_EEES9_SI_JZNS1_25segmented_radix_sort_implINS0_14default_configELb0EPK12hip_bfloat16PSP_PKlPlN2at6native12_GLOBAL__N_18offset_tEEE10hipError_tPvRmT1_PNSt15iterator_traitsIS13_E10value_typeET2_T3_PNS14_IS19_E10value_typeET4_jRbjT5_S1F_jjP12ihipStream_tbEUljE_ZNSN_ISO_Lb0ESR_SS_SU_SV_SZ_EES10_S11_S12_S13_S17_S18_S19_S1C_S1D_jS1E_jS1F_S1F_jjS1H_bEUljE0_EEES10_S11_S12_S19_S1D_S1F_T6_T7_T9_mT8_S1H_bDpT10_ENKUlT_T0_E_clISt17integral_constantIbLb0EES1V_EEDaS1Q_S1R_EUlS1Q_E_NS1_11comp_targetILNS1_3genE8ELNS1_11target_archE1030ELNS1_3gpuE2ELNS1_3repE0EEENS1_30default_config_static_selectorELNS0_4arch9wavefront6targetE1EEEvS13_
; %bb.0:
	.section	.rodata,"a",@progbits
	.p2align	6, 0x0
	.amdhsa_kernel _ZN7rocprim17ROCPRIM_400000_NS6detail17trampoline_kernelINS0_13select_configILj256ELj13ELNS0_17block_load_methodE3ELS4_3ELS4_3ELNS0_20block_scan_algorithmE0ELj4294967295EEENS1_25partition_config_selectorILNS1_17partition_subalgoE4EjNS0_10empty_typeEbEEZZNS1_14partition_implILS8_4ELb0ES6_15HIP_vector_typeIjLj2EENS0_17counting_iteratorIjlEEPS9_SG_NS0_5tupleIJPjSI_NS0_16reverse_iteratorISI_EEEEENSH_IJSG_SG_SG_EEES9_SI_JZNS1_25segmented_radix_sort_implINS0_14default_configELb0EPK12hip_bfloat16PSP_PKlPlN2at6native12_GLOBAL__N_18offset_tEEE10hipError_tPvRmT1_PNSt15iterator_traitsIS13_E10value_typeET2_T3_PNS14_IS19_E10value_typeET4_jRbjT5_S1F_jjP12ihipStream_tbEUljE_ZNSN_ISO_Lb0ESR_SS_SU_SV_SZ_EES10_S11_S12_S13_S17_S18_S19_S1C_S1D_jS1E_jS1F_S1F_jjS1H_bEUljE0_EEES10_S11_S12_S19_S1D_S1F_T6_T7_T9_mT8_S1H_bDpT10_ENKUlT_T0_E_clISt17integral_constantIbLb0EES1V_EEDaS1Q_S1R_EUlS1Q_E_NS1_11comp_targetILNS1_3genE8ELNS1_11target_archE1030ELNS1_3gpuE2ELNS1_3repE0EEENS1_30default_config_static_selectorELNS0_4arch9wavefront6targetE1EEEvS13_
		.amdhsa_group_segment_fixed_size 0
		.amdhsa_private_segment_fixed_size 0
		.amdhsa_kernarg_size 176
		.amdhsa_user_sgpr_count 6
		.amdhsa_user_sgpr_private_segment_buffer 1
		.amdhsa_user_sgpr_dispatch_ptr 0
		.amdhsa_user_sgpr_queue_ptr 0
		.amdhsa_user_sgpr_kernarg_segment_ptr 1
		.amdhsa_user_sgpr_dispatch_id 0
		.amdhsa_user_sgpr_flat_scratch_init 0
		.amdhsa_user_sgpr_private_segment_size 0
		.amdhsa_uses_dynamic_stack 0
		.amdhsa_system_sgpr_private_segment_wavefront_offset 0
		.amdhsa_system_sgpr_workgroup_id_x 1
		.amdhsa_system_sgpr_workgroup_id_y 0
		.amdhsa_system_sgpr_workgroup_id_z 0
		.amdhsa_system_sgpr_workgroup_info 0
		.amdhsa_system_vgpr_workitem_id 0
		.amdhsa_next_free_vgpr 1
		.amdhsa_next_free_sgpr 0
		.amdhsa_reserve_vcc 0
		.amdhsa_reserve_flat_scratch 0
		.amdhsa_float_round_mode_32 0
		.amdhsa_float_round_mode_16_64 0
		.amdhsa_float_denorm_mode_32 3
		.amdhsa_float_denorm_mode_16_64 3
		.amdhsa_dx10_clamp 1
		.amdhsa_ieee_mode 1
		.amdhsa_fp16_overflow 0
		.amdhsa_exception_fp_ieee_invalid_op 0
		.amdhsa_exception_fp_denorm_src 0
		.amdhsa_exception_fp_ieee_div_zero 0
		.amdhsa_exception_fp_ieee_overflow 0
		.amdhsa_exception_fp_ieee_underflow 0
		.amdhsa_exception_fp_ieee_inexact 0
		.amdhsa_exception_int_div_zero 0
	.end_amdhsa_kernel
	.section	.text._ZN7rocprim17ROCPRIM_400000_NS6detail17trampoline_kernelINS0_13select_configILj256ELj13ELNS0_17block_load_methodE3ELS4_3ELS4_3ELNS0_20block_scan_algorithmE0ELj4294967295EEENS1_25partition_config_selectorILNS1_17partition_subalgoE4EjNS0_10empty_typeEbEEZZNS1_14partition_implILS8_4ELb0ES6_15HIP_vector_typeIjLj2EENS0_17counting_iteratorIjlEEPS9_SG_NS0_5tupleIJPjSI_NS0_16reverse_iteratorISI_EEEEENSH_IJSG_SG_SG_EEES9_SI_JZNS1_25segmented_radix_sort_implINS0_14default_configELb0EPK12hip_bfloat16PSP_PKlPlN2at6native12_GLOBAL__N_18offset_tEEE10hipError_tPvRmT1_PNSt15iterator_traitsIS13_E10value_typeET2_T3_PNS14_IS19_E10value_typeET4_jRbjT5_S1F_jjP12ihipStream_tbEUljE_ZNSN_ISO_Lb0ESR_SS_SU_SV_SZ_EES10_S11_S12_S13_S17_S18_S19_S1C_S1D_jS1E_jS1F_S1F_jjS1H_bEUljE0_EEES10_S11_S12_S19_S1D_S1F_T6_T7_T9_mT8_S1H_bDpT10_ENKUlT_T0_E_clISt17integral_constantIbLb0EES1V_EEDaS1Q_S1R_EUlS1Q_E_NS1_11comp_targetILNS1_3genE8ELNS1_11target_archE1030ELNS1_3gpuE2ELNS1_3repE0EEENS1_30default_config_static_selectorELNS0_4arch9wavefront6targetE1EEEvS13_,"axG",@progbits,_ZN7rocprim17ROCPRIM_400000_NS6detail17trampoline_kernelINS0_13select_configILj256ELj13ELNS0_17block_load_methodE3ELS4_3ELS4_3ELNS0_20block_scan_algorithmE0ELj4294967295EEENS1_25partition_config_selectorILNS1_17partition_subalgoE4EjNS0_10empty_typeEbEEZZNS1_14partition_implILS8_4ELb0ES6_15HIP_vector_typeIjLj2EENS0_17counting_iteratorIjlEEPS9_SG_NS0_5tupleIJPjSI_NS0_16reverse_iteratorISI_EEEEENSH_IJSG_SG_SG_EEES9_SI_JZNS1_25segmented_radix_sort_implINS0_14default_configELb0EPK12hip_bfloat16PSP_PKlPlN2at6native12_GLOBAL__N_18offset_tEEE10hipError_tPvRmT1_PNSt15iterator_traitsIS13_E10value_typeET2_T3_PNS14_IS19_E10value_typeET4_jRbjT5_S1F_jjP12ihipStream_tbEUljE_ZNSN_ISO_Lb0ESR_SS_SU_SV_SZ_EES10_S11_S12_S13_S17_S18_S19_S1C_S1D_jS1E_jS1F_S1F_jjS1H_bEUljE0_EEES10_S11_S12_S19_S1D_S1F_T6_T7_T9_mT8_S1H_bDpT10_ENKUlT_T0_E_clISt17integral_constantIbLb0EES1V_EEDaS1Q_S1R_EUlS1Q_E_NS1_11comp_targetILNS1_3genE8ELNS1_11target_archE1030ELNS1_3gpuE2ELNS1_3repE0EEENS1_30default_config_static_selectorELNS0_4arch9wavefront6targetE1EEEvS13_,comdat
.Lfunc_end1992:
	.size	_ZN7rocprim17ROCPRIM_400000_NS6detail17trampoline_kernelINS0_13select_configILj256ELj13ELNS0_17block_load_methodE3ELS4_3ELS4_3ELNS0_20block_scan_algorithmE0ELj4294967295EEENS1_25partition_config_selectorILNS1_17partition_subalgoE4EjNS0_10empty_typeEbEEZZNS1_14partition_implILS8_4ELb0ES6_15HIP_vector_typeIjLj2EENS0_17counting_iteratorIjlEEPS9_SG_NS0_5tupleIJPjSI_NS0_16reverse_iteratorISI_EEEEENSH_IJSG_SG_SG_EEES9_SI_JZNS1_25segmented_radix_sort_implINS0_14default_configELb0EPK12hip_bfloat16PSP_PKlPlN2at6native12_GLOBAL__N_18offset_tEEE10hipError_tPvRmT1_PNSt15iterator_traitsIS13_E10value_typeET2_T3_PNS14_IS19_E10value_typeET4_jRbjT5_S1F_jjP12ihipStream_tbEUljE_ZNSN_ISO_Lb0ESR_SS_SU_SV_SZ_EES10_S11_S12_S13_S17_S18_S19_S1C_S1D_jS1E_jS1F_S1F_jjS1H_bEUljE0_EEES10_S11_S12_S19_S1D_S1F_T6_T7_T9_mT8_S1H_bDpT10_ENKUlT_T0_E_clISt17integral_constantIbLb0EES1V_EEDaS1Q_S1R_EUlS1Q_E_NS1_11comp_targetILNS1_3genE8ELNS1_11target_archE1030ELNS1_3gpuE2ELNS1_3repE0EEENS1_30default_config_static_selectorELNS0_4arch9wavefront6targetE1EEEvS13_, .Lfunc_end1992-_ZN7rocprim17ROCPRIM_400000_NS6detail17trampoline_kernelINS0_13select_configILj256ELj13ELNS0_17block_load_methodE3ELS4_3ELS4_3ELNS0_20block_scan_algorithmE0ELj4294967295EEENS1_25partition_config_selectorILNS1_17partition_subalgoE4EjNS0_10empty_typeEbEEZZNS1_14partition_implILS8_4ELb0ES6_15HIP_vector_typeIjLj2EENS0_17counting_iteratorIjlEEPS9_SG_NS0_5tupleIJPjSI_NS0_16reverse_iteratorISI_EEEEENSH_IJSG_SG_SG_EEES9_SI_JZNS1_25segmented_radix_sort_implINS0_14default_configELb0EPK12hip_bfloat16PSP_PKlPlN2at6native12_GLOBAL__N_18offset_tEEE10hipError_tPvRmT1_PNSt15iterator_traitsIS13_E10value_typeET2_T3_PNS14_IS19_E10value_typeET4_jRbjT5_S1F_jjP12ihipStream_tbEUljE_ZNSN_ISO_Lb0ESR_SS_SU_SV_SZ_EES10_S11_S12_S13_S17_S18_S19_S1C_S1D_jS1E_jS1F_S1F_jjS1H_bEUljE0_EEES10_S11_S12_S19_S1D_S1F_T6_T7_T9_mT8_S1H_bDpT10_ENKUlT_T0_E_clISt17integral_constantIbLb0EES1V_EEDaS1Q_S1R_EUlS1Q_E_NS1_11comp_targetILNS1_3genE8ELNS1_11target_archE1030ELNS1_3gpuE2ELNS1_3repE0EEENS1_30default_config_static_selectorELNS0_4arch9wavefront6targetE1EEEvS13_
                                        ; -- End function
	.set _ZN7rocprim17ROCPRIM_400000_NS6detail17trampoline_kernelINS0_13select_configILj256ELj13ELNS0_17block_load_methodE3ELS4_3ELS4_3ELNS0_20block_scan_algorithmE0ELj4294967295EEENS1_25partition_config_selectorILNS1_17partition_subalgoE4EjNS0_10empty_typeEbEEZZNS1_14partition_implILS8_4ELb0ES6_15HIP_vector_typeIjLj2EENS0_17counting_iteratorIjlEEPS9_SG_NS0_5tupleIJPjSI_NS0_16reverse_iteratorISI_EEEEENSH_IJSG_SG_SG_EEES9_SI_JZNS1_25segmented_radix_sort_implINS0_14default_configELb0EPK12hip_bfloat16PSP_PKlPlN2at6native12_GLOBAL__N_18offset_tEEE10hipError_tPvRmT1_PNSt15iterator_traitsIS13_E10value_typeET2_T3_PNS14_IS19_E10value_typeET4_jRbjT5_S1F_jjP12ihipStream_tbEUljE_ZNSN_ISO_Lb0ESR_SS_SU_SV_SZ_EES10_S11_S12_S13_S17_S18_S19_S1C_S1D_jS1E_jS1F_S1F_jjS1H_bEUljE0_EEES10_S11_S12_S19_S1D_S1F_T6_T7_T9_mT8_S1H_bDpT10_ENKUlT_T0_E_clISt17integral_constantIbLb0EES1V_EEDaS1Q_S1R_EUlS1Q_E_NS1_11comp_targetILNS1_3genE8ELNS1_11target_archE1030ELNS1_3gpuE2ELNS1_3repE0EEENS1_30default_config_static_selectorELNS0_4arch9wavefront6targetE1EEEvS13_.num_vgpr, 0
	.set _ZN7rocprim17ROCPRIM_400000_NS6detail17trampoline_kernelINS0_13select_configILj256ELj13ELNS0_17block_load_methodE3ELS4_3ELS4_3ELNS0_20block_scan_algorithmE0ELj4294967295EEENS1_25partition_config_selectorILNS1_17partition_subalgoE4EjNS0_10empty_typeEbEEZZNS1_14partition_implILS8_4ELb0ES6_15HIP_vector_typeIjLj2EENS0_17counting_iteratorIjlEEPS9_SG_NS0_5tupleIJPjSI_NS0_16reverse_iteratorISI_EEEEENSH_IJSG_SG_SG_EEES9_SI_JZNS1_25segmented_radix_sort_implINS0_14default_configELb0EPK12hip_bfloat16PSP_PKlPlN2at6native12_GLOBAL__N_18offset_tEEE10hipError_tPvRmT1_PNSt15iterator_traitsIS13_E10value_typeET2_T3_PNS14_IS19_E10value_typeET4_jRbjT5_S1F_jjP12ihipStream_tbEUljE_ZNSN_ISO_Lb0ESR_SS_SU_SV_SZ_EES10_S11_S12_S13_S17_S18_S19_S1C_S1D_jS1E_jS1F_S1F_jjS1H_bEUljE0_EEES10_S11_S12_S19_S1D_S1F_T6_T7_T9_mT8_S1H_bDpT10_ENKUlT_T0_E_clISt17integral_constantIbLb0EES1V_EEDaS1Q_S1R_EUlS1Q_E_NS1_11comp_targetILNS1_3genE8ELNS1_11target_archE1030ELNS1_3gpuE2ELNS1_3repE0EEENS1_30default_config_static_selectorELNS0_4arch9wavefront6targetE1EEEvS13_.num_agpr, 0
	.set _ZN7rocprim17ROCPRIM_400000_NS6detail17trampoline_kernelINS0_13select_configILj256ELj13ELNS0_17block_load_methodE3ELS4_3ELS4_3ELNS0_20block_scan_algorithmE0ELj4294967295EEENS1_25partition_config_selectorILNS1_17partition_subalgoE4EjNS0_10empty_typeEbEEZZNS1_14partition_implILS8_4ELb0ES6_15HIP_vector_typeIjLj2EENS0_17counting_iteratorIjlEEPS9_SG_NS0_5tupleIJPjSI_NS0_16reverse_iteratorISI_EEEEENSH_IJSG_SG_SG_EEES9_SI_JZNS1_25segmented_radix_sort_implINS0_14default_configELb0EPK12hip_bfloat16PSP_PKlPlN2at6native12_GLOBAL__N_18offset_tEEE10hipError_tPvRmT1_PNSt15iterator_traitsIS13_E10value_typeET2_T3_PNS14_IS19_E10value_typeET4_jRbjT5_S1F_jjP12ihipStream_tbEUljE_ZNSN_ISO_Lb0ESR_SS_SU_SV_SZ_EES10_S11_S12_S13_S17_S18_S19_S1C_S1D_jS1E_jS1F_S1F_jjS1H_bEUljE0_EEES10_S11_S12_S19_S1D_S1F_T6_T7_T9_mT8_S1H_bDpT10_ENKUlT_T0_E_clISt17integral_constantIbLb0EES1V_EEDaS1Q_S1R_EUlS1Q_E_NS1_11comp_targetILNS1_3genE8ELNS1_11target_archE1030ELNS1_3gpuE2ELNS1_3repE0EEENS1_30default_config_static_selectorELNS0_4arch9wavefront6targetE1EEEvS13_.numbered_sgpr, 0
	.set _ZN7rocprim17ROCPRIM_400000_NS6detail17trampoline_kernelINS0_13select_configILj256ELj13ELNS0_17block_load_methodE3ELS4_3ELS4_3ELNS0_20block_scan_algorithmE0ELj4294967295EEENS1_25partition_config_selectorILNS1_17partition_subalgoE4EjNS0_10empty_typeEbEEZZNS1_14partition_implILS8_4ELb0ES6_15HIP_vector_typeIjLj2EENS0_17counting_iteratorIjlEEPS9_SG_NS0_5tupleIJPjSI_NS0_16reverse_iteratorISI_EEEEENSH_IJSG_SG_SG_EEES9_SI_JZNS1_25segmented_radix_sort_implINS0_14default_configELb0EPK12hip_bfloat16PSP_PKlPlN2at6native12_GLOBAL__N_18offset_tEEE10hipError_tPvRmT1_PNSt15iterator_traitsIS13_E10value_typeET2_T3_PNS14_IS19_E10value_typeET4_jRbjT5_S1F_jjP12ihipStream_tbEUljE_ZNSN_ISO_Lb0ESR_SS_SU_SV_SZ_EES10_S11_S12_S13_S17_S18_S19_S1C_S1D_jS1E_jS1F_S1F_jjS1H_bEUljE0_EEES10_S11_S12_S19_S1D_S1F_T6_T7_T9_mT8_S1H_bDpT10_ENKUlT_T0_E_clISt17integral_constantIbLb0EES1V_EEDaS1Q_S1R_EUlS1Q_E_NS1_11comp_targetILNS1_3genE8ELNS1_11target_archE1030ELNS1_3gpuE2ELNS1_3repE0EEENS1_30default_config_static_selectorELNS0_4arch9wavefront6targetE1EEEvS13_.num_named_barrier, 0
	.set _ZN7rocprim17ROCPRIM_400000_NS6detail17trampoline_kernelINS0_13select_configILj256ELj13ELNS0_17block_load_methodE3ELS4_3ELS4_3ELNS0_20block_scan_algorithmE0ELj4294967295EEENS1_25partition_config_selectorILNS1_17partition_subalgoE4EjNS0_10empty_typeEbEEZZNS1_14partition_implILS8_4ELb0ES6_15HIP_vector_typeIjLj2EENS0_17counting_iteratorIjlEEPS9_SG_NS0_5tupleIJPjSI_NS0_16reverse_iteratorISI_EEEEENSH_IJSG_SG_SG_EEES9_SI_JZNS1_25segmented_radix_sort_implINS0_14default_configELb0EPK12hip_bfloat16PSP_PKlPlN2at6native12_GLOBAL__N_18offset_tEEE10hipError_tPvRmT1_PNSt15iterator_traitsIS13_E10value_typeET2_T3_PNS14_IS19_E10value_typeET4_jRbjT5_S1F_jjP12ihipStream_tbEUljE_ZNSN_ISO_Lb0ESR_SS_SU_SV_SZ_EES10_S11_S12_S13_S17_S18_S19_S1C_S1D_jS1E_jS1F_S1F_jjS1H_bEUljE0_EEES10_S11_S12_S19_S1D_S1F_T6_T7_T9_mT8_S1H_bDpT10_ENKUlT_T0_E_clISt17integral_constantIbLb0EES1V_EEDaS1Q_S1R_EUlS1Q_E_NS1_11comp_targetILNS1_3genE8ELNS1_11target_archE1030ELNS1_3gpuE2ELNS1_3repE0EEENS1_30default_config_static_selectorELNS0_4arch9wavefront6targetE1EEEvS13_.private_seg_size, 0
	.set _ZN7rocprim17ROCPRIM_400000_NS6detail17trampoline_kernelINS0_13select_configILj256ELj13ELNS0_17block_load_methodE3ELS4_3ELS4_3ELNS0_20block_scan_algorithmE0ELj4294967295EEENS1_25partition_config_selectorILNS1_17partition_subalgoE4EjNS0_10empty_typeEbEEZZNS1_14partition_implILS8_4ELb0ES6_15HIP_vector_typeIjLj2EENS0_17counting_iteratorIjlEEPS9_SG_NS0_5tupleIJPjSI_NS0_16reverse_iteratorISI_EEEEENSH_IJSG_SG_SG_EEES9_SI_JZNS1_25segmented_radix_sort_implINS0_14default_configELb0EPK12hip_bfloat16PSP_PKlPlN2at6native12_GLOBAL__N_18offset_tEEE10hipError_tPvRmT1_PNSt15iterator_traitsIS13_E10value_typeET2_T3_PNS14_IS19_E10value_typeET4_jRbjT5_S1F_jjP12ihipStream_tbEUljE_ZNSN_ISO_Lb0ESR_SS_SU_SV_SZ_EES10_S11_S12_S13_S17_S18_S19_S1C_S1D_jS1E_jS1F_S1F_jjS1H_bEUljE0_EEES10_S11_S12_S19_S1D_S1F_T6_T7_T9_mT8_S1H_bDpT10_ENKUlT_T0_E_clISt17integral_constantIbLb0EES1V_EEDaS1Q_S1R_EUlS1Q_E_NS1_11comp_targetILNS1_3genE8ELNS1_11target_archE1030ELNS1_3gpuE2ELNS1_3repE0EEENS1_30default_config_static_selectorELNS0_4arch9wavefront6targetE1EEEvS13_.uses_vcc, 0
	.set _ZN7rocprim17ROCPRIM_400000_NS6detail17trampoline_kernelINS0_13select_configILj256ELj13ELNS0_17block_load_methodE3ELS4_3ELS4_3ELNS0_20block_scan_algorithmE0ELj4294967295EEENS1_25partition_config_selectorILNS1_17partition_subalgoE4EjNS0_10empty_typeEbEEZZNS1_14partition_implILS8_4ELb0ES6_15HIP_vector_typeIjLj2EENS0_17counting_iteratorIjlEEPS9_SG_NS0_5tupleIJPjSI_NS0_16reverse_iteratorISI_EEEEENSH_IJSG_SG_SG_EEES9_SI_JZNS1_25segmented_radix_sort_implINS0_14default_configELb0EPK12hip_bfloat16PSP_PKlPlN2at6native12_GLOBAL__N_18offset_tEEE10hipError_tPvRmT1_PNSt15iterator_traitsIS13_E10value_typeET2_T3_PNS14_IS19_E10value_typeET4_jRbjT5_S1F_jjP12ihipStream_tbEUljE_ZNSN_ISO_Lb0ESR_SS_SU_SV_SZ_EES10_S11_S12_S13_S17_S18_S19_S1C_S1D_jS1E_jS1F_S1F_jjS1H_bEUljE0_EEES10_S11_S12_S19_S1D_S1F_T6_T7_T9_mT8_S1H_bDpT10_ENKUlT_T0_E_clISt17integral_constantIbLb0EES1V_EEDaS1Q_S1R_EUlS1Q_E_NS1_11comp_targetILNS1_3genE8ELNS1_11target_archE1030ELNS1_3gpuE2ELNS1_3repE0EEENS1_30default_config_static_selectorELNS0_4arch9wavefront6targetE1EEEvS13_.uses_flat_scratch, 0
	.set _ZN7rocprim17ROCPRIM_400000_NS6detail17trampoline_kernelINS0_13select_configILj256ELj13ELNS0_17block_load_methodE3ELS4_3ELS4_3ELNS0_20block_scan_algorithmE0ELj4294967295EEENS1_25partition_config_selectorILNS1_17partition_subalgoE4EjNS0_10empty_typeEbEEZZNS1_14partition_implILS8_4ELb0ES6_15HIP_vector_typeIjLj2EENS0_17counting_iteratorIjlEEPS9_SG_NS0_5tupleIJPjSI_NS0_16reverse_iteratorISI_EEEEENSH_IJSG_SG_SG_EEES9_SI_JZNS1_25segmented_radix_sort_implINS0_14default_configELb0EPK12hip_bfloat16PSP_PKlPlN2at6native12_GLOBAL__N_18offset_tEEE10hipError_tPvRmT1_PNSt15iterator_traitsIS13_E10value_typeET2_T3_PNS14_IS19_E10value_typeET4_jRbjT5_S1F_jjP12ihipStream_tbEUljE_ZNSN_ISO_Lb0ESR_SS_SU_SV_SZ_EES10_S11_S12_S13_S17_S18_S19_S1C_S1D_jS1E_jS1F_S1F_jjS1H_bEUljE0_EEES10_S11_S12_S19_S1D_S1F_T6_T7_T9_mT8_S1H_bDpT10_ENKUlT_T0_E_clISt17integral_constantIbLb0EES1V_EEDaS1Q_S1R_EUlS1Q_E_NS1_11comp_targetILNS1_3genE8ELNS1_11target_archE1030ELNS1_3gpuE2ELNS1_3repE0EEENS1_30default_config_static_selectorELNS0_4arch9wavefront6targetE1EEEvS13_.has_dyn_sized_stack, 0
	.set _ZN7rocprim17ROCPRIM_400000_NS6detail17trampoline_kernelINS0_13select_configILj256ELj13ELNS0_17block_load_methodE3ELS4_3ELS4_3ELNS0_20block_scan_algorithmE0ELj4294967295EEENS1_25partition_config_selectorILNS1_17partition_subalgoE4EjNS0_10empty_typeEbEEZZNS1_14partition_implILS8_4ELb0ES6_15HIP_vector_typeIjLj2EENS0_17counting_iteratorIjlEEPS9_SG_NS0_5tupleIJPjSI_NS0_16reverse_iteratorISI_EEEEENSH_IJSG_SG_SG_EEES9_SI_JZNS1_25segmented_radix_sort_implINS0_14default_configELb0EPK12hip_bfloat16PSP_PKlPlN2at6native12_GLOBAL__N_18offset_tEEE10hipError_tPvRmT1_PNSt15iterator_traitsIS13_E10value_typeET2_T3_PNS14_IS19_E10value_typeET4_jRbjT5_S1F_jjP12ihipStream_tbEUljE_ZNSN_ISO_Lb0ESR_SS_SU_SV_SZ_EES10_S11_S12_S13_S17_S18_S19_S1C_S1D_jS1E_jS1F_S1F_jjS1H_bEUljE0_EEES10_S11_S12_S19_S1D_S1F_T6_T7_T9_mT8_S1H_bDpT10_ENKUlT_T0_E_clISt17integral_constantIbLb0EES1V_EEDaS1Q_S1R_EUlS1Q_E_NS1_11comp_targetILNS1_3genE8ELNS1_11target_archE1030ELNS1_3gpuE2ELNS1_3repE0EEENS1_30default_config_static_selectorELNS0_4arch9wavefront6targetE1EEEvS13_.has_recursion, 0
	.set _ZN7rocprim17ROCPRIM_400000_NS6detail17trampoline_kernelINS0_13select_configILj256ELj13ELNS0_17block_load_methodE3ELS4_3ELS4_3ELNS0_20block_scan_algorithmE0ELj4294967295EEENS1_25partition_config_selectorILNS1_17partition_subalgoE4EjNS0_10empty_typeEbEEZZNS1_14partition_implILS8_4ELb0ES6_15HIP_vector_typeIjLj2EENS0_17counting_iteratorIjlEEPS9_SG_NS0_5tupleIJPjSI_NS0_16reverse_iteratorISI_EEEEENSH_IJSG_SG_SG_EEES9_SI_JZNS1_25segmented_radix_sort_implINS0_14default_configELb0EPK12hip_bfloat16PSP_PKlPlN2at6native12_GLOBAL__N_18offset_tEEE10hipError_tPvRmT1_PNSt15iterator_traitsIS13_E10value_typeET2_T3_PNS14_IS19_E10value_typeET4_jRbjT5_S1F_jjP12ihipStream_tbEUljE_ZNSN_ISO_Lb0ESR_SS_SU_SV_SZ_EES10_S11_S12_S13_S17_S18_S19_S1C_S1D_jS1E_jS1F_S1F_jjS1H_bEUljE0_EEES10_S11_S12_S19_S1D_S1F_T6_T7_T9_mT8_S1H_bDpT10_ENKUlT_T0_E_clISt17integral_constantIbLb0EES1V_EEDaS1Q_S1R_EUlS1Q_E_NS1_11comp_targetILNS1_3genE8ELNS1_11target_archE1030ELNS1_3gpuE2ELNS1_3repE0EEENS1_30default_config_static_selectorELNS0_4arch9wavefront6targetE1EEEvS13_.has_indirect_call, 0
	.section	.AMDGPU.csdata,"",@progbits
; Kernel info:
; codeLenInByte = 0
; TotalNumSgprs: 4
; NumVgprs: 0
; ScratchSize: 0
; MemoryBound: 0
; FloatMode: 240
; IeeeMode: 1
; LDSByteSize: 0 bytes/workgroup (compile time only)
; SGPRBlocks: 0
; VGPRBlocks: 0
; NumSGPRsForWavesPerEU: 4
; NumVGPRsForWavesPerEU: 1
; Occupancy: 10
; WaveLimiterHint : 0
; COMPUTE_PGM_RSRC2:SCRATCH_EN: 0
; COMPUTE_PGM_RSRC2:USER_SGPR: 6
; COMPUTE_PGM_RSRC2:TRAP_HANDLER: 0
; COMPUTE_PGM_RSRC2:TGID_X_EN: 1
; COMPUTE_PGM_RSRC2:TGID_Y_EN: 0
; COMPUTE_PGM_RSRC2:TGID_Z_EN: 0
; COMPUTE_PGM_RSRC2:TIDIG_COMP_CNT: 0
	.section	.text._ZN7rocprim17ROCPRIM_400000_NS6detail17trampoline_kernelINS0_13select_configILj256ELj13ELNS0_17block_load_methodE3ELS4_3ELS4_3ELNS0_20block_scan_algorithmE0ELj4294967295EEENS1_25partition_config_selectorILNS1_17partition_subalgoE4EjNS0_10empty_typeEbEEZZNS1_14partition_implILS8_4ELb0ES6_15HIP_vector_typeIjLj2EENS0_17counting_iteratorIjlEEPS9_SG_NS0_5tupleIJPjSI_NS0_16reverse_iteratorISI_EEEEENSH_IJSG_SG_SG_EEES9_SI_JZNS1_25segmented_radix_sort_implINS0_14default_configELb0EPK12hip_bfloat16PSP_PKlPlN2at6native12_GLOBAL__N_18offset_tEEE10hipError_tPvRmT1_PNSt15iterator_traitsIS13_E10value_typeET2_T3_PNS14_IS19_E10value_typeET4_jRbjT5_S1F_jjP12ihipStream_tbEUljE_ZNSN_ISO_Lb0ESR_SS_SU_SV_SZ_EES10_S11_S12_S13_S17_S18_S19_S1C_S1D_jS1E_jS1F_S1F_jjS1H_bEUljE0_EEES10_S11_S12_S19_S1D_S1F_T6_T7_T9_mT8_S1H_bDpT10_ENKUlT_T0_E_clISt17integral_constantIbLb1EES1V_EEDaS1Q_S1R_EUlS1Q_E_NS1_11comp_targetILNS1_3genE0ELNS1_11target_archE4294967295ELNS1_3gpuE0ELNS1_3repE0EEENS1_30default_config_static_selectorELNS0_4arch9wavefront6targetE1EEEvS13_,"axG",@progbits,_ZN7rocprim17ROCPRIM_400000_NS6detail17trampoline_kernelINS0_13select_configILj256ELj13ELNS0_17block_load_methodE3ELS4_3ELS4_3ELNS0_20block_scan_algorithmE0ELj4294967295EEENS1_25partition_config_selectorILNS1_17partition_subalgoE4EjNS0_10empty_typeEbEEZZNS1_14partition_implILS8_4ELb0ES6_15HIP_vector_typeIjLj2EENS0_17counting_iteratorIjlEEPS9_SG_NS0_5tupleIJPjSI_NS0_16reverse_iteratorISI_EEEEENSH_IJSG_SG_SG_EEES9_SI_JZNS1_25segmented_radix_sort_implINS0_14default_configELb0EPK12hip_bfloat16PSP_PKlPlN2at6native12_GLOBAL__N_18offset_tEEE10hipError_tPvRmT1_PNSt15iterator_traitsIS13_E10value_typeET2_T3_PNS14_IS19_E10value_typeET4_jRbjT5_S1F_jjP12ihipStream_tbEUljE_ZNSN_ISO_Lb0ESR_SS_SU_SV_SZ_EES10_S11_S12_S13_S17_S18_S19_S1C_S1D_jS1E_jS1F_S1F_jjS1H_bEUljE0_EEES10_S11_S12_S19_S1D_S1F_T6_T7_T9_mT8_S1H_bDpT10_ENKUlT_T0_E_clISt17integral_constantIbLb1EES1V_EEDaS1Q_S1R_EUlS1Q_E_NS1_11comp_targetILNS1_3genE0ELNS1_11target_archE4294967295ELNS1_3gpuE0ELNS1_3repE0EEENS1_30default_config_static_selectorELNS0_4arch9wavefront6targetE1EEEvS13_,comdat
	.globl	_ZN7rocprim17ROCPRIM_400000_NS6detail17trampoline_kernelINS0_13select_configILj256ELj13ELNS0_17block_load_methodE3ELS4_3ELS4_3ELNS0_20block_scan_algorithmE0ELj4294967295EEENS1_25partition_config_selectorILNS1_17partition_subalgoE4EjNS0_10empty_typeEbEEZZNS1_14partition_implILS8_4ELb0ES6_15HIP_vector_typeIjLj2EENS0_17counting_iteratorIjlEEPS9_SG_NS0_5tupleIJPjSI_NS0_16reverse_iteratorISI_EEEEENSH_IJSG_SG_SG_EEES9_SI_JZNS1_25segmented_radix_sort_implINS0_14default_configELb0EPK12hip_bfloat16PSP_PKlPlN2at6native12_GLOBAL__N_18offset_tEEE10hipError_tPvRmT1_PNSt15iterator_traitsIS13_E10value_typeET2_T3_PNS14_IS19_E10value_typeET4_jRbjT5_S1F_jjP12ihipStream_tbEUljE_ZNSN_ISO_Lb0ESR_SS_SU_SV_SZ_EES10_S11_S12_S13_S17_S18_S19_S1C_S1D_jS1E_jS1F_S1F_jjS1H_bEUljE0_EEES10_S11_S12_S19_S1D_S1F_T6_T7_T9_mT8_S1H_bDpT10_ENKUlT_T0_E_clISt17integral_constantIbLb1EES1V_EEDaS1Q_S1R_EUlS1Q_E_NS1_11comp_targetILNS1_3genE0ELNS1_11target_archE4294967295ELNS1_3gpuE0ELNS1_3repE0EEENS1_30default_config_static_selectorELNS0_4arch9wavefront6targetE1EEEvS13_ ; -- Begin function _ZN7rocprim17ROCPRIM_400000_NS6detail17trampoline_kernelINS0_13select_configILj256ELj13ELNS0_17block_load_methodE3ELS4_3ELS4_3ELNS0_20block_scan_algorithmE0ELj4294967295EEENS1_25partition_config_selectorILNS1_17partition_subalgoE4EjNS0_10empty_typeEbEEZZNS1_14partition_implILS8_4ELb0ES6_15HIP_vector_typeIjLj2EENS0_17counting_iteratorIjlEEPS9_SG_NS0_5tupleIJPjSI_NS0_16reverse_iteratorISI_EEEEENSH_IJSG_SG_SG_EEES9_SI_JZNS1_25segmented_radix_sort_implINS0_14default_configELb0EPK12hip_bfloat16PSP_PKlPlN2at6native12_GLOBAL__N_18offset_tEEE10hipError_tPvRmT1_PNSt15iterator_traitsIS13_E10value_typeET2_T3_PNS14_IS19_E10value_typeET4_jRbjT5_S1F_jjP12ihipStream_tbEUljE_ZNSN_ISO_Lb0ESR_SS_SU_SV_SZ_EES10_S11_S12_S13_S17_S18_S19_S1C_S1D_jS1E_jS1F_S1F_jjS1H_bEUljE0_EEES10_S11_S12_S19_S1D_S1F_T6_T7_T9_mT8_S1H_bDpT10_ENKUlT_T0_E_clISt17integral_constantIbLb1EES1V_EEDaS1Q_S1R_EUlS1Q_E_NS1_11comp_targetILNS1_3genE0ELNS1_11target_archE4294967295ELNS1_3gpuE0ELNS1_3repE0EEENS1_30default_config_static_selectorELNS0_4arch9wavefront6targetE1EEEvS13_
	.p2align	8
	.type	_ZN7rocprim17ROCPRIM_400000_NS6detail17trampoline_kernelINS0_13select_configILj256ELj13ELNS0_17block_load_methodE3ELS4_3ELS4_3ELNS0_20block_scan_algorithmE0ELj4294967295EEENS1_25partition_config_selectorILNS1_17partition_subalgoE4EjNS0_10empty_typeEbEEZZNS1_14partition_implILS8_4ELb0ES6_15HIP_vector_typeIjLj2EENS0_17counting_iteratorIjlEEPS9_SG_NS0_5tupleIJPjSI_NS0_16reverse_iteratorISI_EEEEENSH_IJSG_SG_SG_EEES9_SI_JZNS1_25segmented_radix_sort_implINS0_14default_configELb0EPK12hip_bfloat16PSP_PKlPlN2at6native12_GLOBAL__N_18offset_tEEE10hipError_tPvRmT1_PNSt15iterator_traitsIS13_E10value_typeET2_T3_PNS14_IS19_E10value_typeET4_jRbjT5_S1F_jjP12ihipStream_tbEUljE_ZNSN_ISO_Lb0ESR_SS_SU_SV_SZ_EES10_S11_S12_S13_S17_S18_S19_S1C_S1D_jS1E_jS1F_S1F_jjS1H_bEUljE0_EEES10_S11_S12_S19_S1D_S1F_T6_T7_T9_mT8_S1H_bDpT10_ENKUlT_T0_E_clISt17integral_constantIbLb1EES1V_EEDaS1Q_S1R_EUlS1Q_E_NS1_11comp_targetILNS1_3genE0ELNS1_11target_archE4294967295ELNS1_3gpuE0ELNS1_3repE0EEENS1_30default_config_static_selectorELNS0_4arch9wavefront6targetE1EEEvS13_,@function
_ZN7rocprim17ROCPRIM_400000_NS6detail17trampoline_kernelINS0_13select_configILj256ELj13ELNS0_17block_load_methodE3ELS4_3ELS4_3ELNS0_20block_scan_algorithmE0ELj4294967295EEENS1_25partition_config_selectorILNS1_17partition_subalgoE4EjNS0_10empty_typeEbEEZZNS1_14partition_implILS8_4ELb0ES6_15HIP_vector_typeIjLj2EENS0_17counting_iteratorIjlEEPS9_SG_NS0_5tupleIJPjSI_NS0_16reverse_iteratorISI_EEEEENSH_IJSG_SG_SG_EEES9_SI_JZNS1_25segmented_radix_sort_implINS0_14default_configELb0EPK12hip_bfloat16PSP_PKlPlN2at6native12_GLOBAL__N_18offset_tEEE10hipError_tPvRmT1_PNSt15iterator_traitsIS13_E10value_typeET2_T3_PNS14_IS19_E10value_typeET4_jRbjT5_S1F_jjP12ihipStream_tbEUljE_ZNSN_ISO_Lb0ESR_SS_SU_SV_SZ_EES10_S11_S12_S13_S17_S18_S19_S1C_S1D_jS1E_jS1F_S1F_jjS1H_bEUljE0_EEES10_S11_S12_S19_S1D_S1F_T6_T7_T9_mT8_S1H_bDpT10_ENKUlT_T0_E_clISt17integral_constantIbLb1EES1V_EEDaS1Q_S1R_EUlS1Q_E_NS1_11comp_targetILNS1_3genE0ELNS1_11target_archE4294967295ELNS1_3gpuE0ELNS1_3repE0EEENS1_30default_config_static_selectorELNS0_4arch9wavefront6targetE1EEEvS13_: ; @_ZN7rocprim17ROCPRIM_400000_NS6detail17trampoline_kernelINS0_13select_configILj256ELj13ELNS0_17block_load_methodE3ELS4_3ELS4_3ELNS0_20block_scan_algorithmE0ELj4294967295EEENS1_25partition_config_selectorILNS1_17partition_subalgoE4EjNS0_10empty_typeEbEEZZNS1_14partition_implILS8_4ELb0ES6_15HIP_vector_typeIjLj2EENS0_17counting_iteratorIjlEEPS9_SG_NS0_5tupleIJPjSI_NS0_16reverse_iteratorISI_EEEEENSH_IJSG_SG_SG_EEES9_SI_JZNS1_25segmented_radix_sort_implINS0_14default_configELb0EPK12hip_bfloat16PSP_PKlPlN2at6native12_GLOBAL__N_18offset_tEEE10hipError_tPvRmT1_PNSt15iterator_traitsIS13_E10value_typeET2_T3_PNS14_IS19_E10value_typeET4_jRbjT5_S1F_jjP12ihipStream_tbEUljE_ZNSN_ISO_Lb0ESR_SS_SU_SV_SZ_EES10_S11_S12_S13_S17_S18_S19_S1C_S1D_jS1E_jS1F_S1F_jjS1H_bEUljE0_EEES10_S11_S12_S19_S1D_S1F_T6_T7_T9_mT8_S1H_bDpT10_ENKUlT_T0_E_clISt17integral_constantIbLb1EES1V_EEDaS1Q_S1R_EUlS1Q_E_NS1_11comp_targetILNS1_3genE0ELNS1_11target_archE4294967295ELNS1_3gpuE0ELNS1_3repE0EEENS1_30default_config_static_selectorELNS0_4arch9wavefront6targetE1EEEvS13_
; %bb.0:
	.section	.rodata,"a",@progbits
	.p2align	6, 0x0
	.amdhsa_kernel _ZN7rocprim17ROCPRIM_400000_NS6detail17trampoline_kernelINS0_13select_configILj256ELj13ELNS0_17block_load_methodE3ELS4_3ELS4_3ELNS0_20block_scan_algorithmE0ELj4294967295EEENS1_25partition_config_selectorILNS1_17partition_subalgoE4EjNS0_10empty_typeEbEEZZNS1_14partition_implILS8_4ELb0ES6_15HIP_vector_typeIjLj2EENS0_17counting_iteratorIjlEEPS9_SG_NS0_5tupleIJPjSI_NS0_16reverse_iteratorISI_EEEEENSH_IJSG_SG_SG_EEES9_SI_JZNS1_25segmented_radix_sort_implINS0_14default_configELb0EPK12hip_bfloat16PSP_PKlPlN2at6native12_GLOBAL__N_18offset_tEEE10hipError_tPvRmT1_PNSt15iterator_traitsIS13_E10value_typeET2_T3_PNS14_IS19_E10value_typeET4_jRbjT5_S1F_jjP12ihipStream_tbEUljE_ZNSN_ISO_Lb0ESR_SS_SU_SV_SZ_EES10_S11_S12_S13_S17_S18_S19_S1C_S1D_jS1E_jS1F_S1F_jjS1H_bEUljE0_EEES10_S11_S12_S19_S1D_S1F_T6_T7_T9_mT8_S1H_bDpT10_ENKUlT_T0_E_clISt17integral_constantIbLb1EES1V_EEDaS1Q_S1R_EUlS1Q_E_NS1_11comp_targetILNS1_3genE0ELNS1_11target_archE4294967295ELNS1_3gpuE0ELNS1_3repE0EEENS1_30default_config_static_selectorELNS0_4arch9wavefront6targetE1EEEvS13_
		.amdhsa_group_segment_fixed_size 0
		.amdhsa_private_segment_fixed_size 0
		.amdhsa_kernarg_size 184
		.amdhsa_user_sgpr_count 6
		.amdhsa_user_sgpr_private_segment_buffer 1
		.amdhsa_user_sgpr_dispatch_ptr 0
		.amdhsa_user_sgpr_queue_ptr 0
		.amdhsa_user_sgpr_kernarg_segment_ptr 1
		.amdhsa_user_sgpr_dispatch_id 0
		.amdhsa_user_sgpr_flat_scratch_init 0
		.amdhsa_user_sgpr_private_segment_size 0
		.amdhsa_uses_dynamic_stack 0
		.amdhsa_system_sgpr_private_segment_wavefront_offset 0
		.amdhsa_system_sgpr_workgroup_id_x 1
		.amdhsa_system_sgpr_workgroup_id_y 0
		.amdhsa_system_sgpr_workgroup_id_z 0
		.amdhsa_system_sgpr_workgroup_info 0
		.amdhsa_system_vgpr_workitem_id 0
		.amdhsa_next_free_vgpr 1
		.amdhsa_next_free_sgpr 0
		.amdhsa_reserve_vcc 0
		.amdhsa_reserve_flat_scratch 0
		.amdhsa_float_round_mode_32 0
		.amdhsa_float_round_mode_16_64 0
		.amdhsa_float_denorm_mode_32 3
		.amdhsa_float_denorm_mode_16_64 3
		.amdhsa_dx10_clamp 1
		.amdhsa_ieee_mode 1
		.amdhsa_fp16_overflow 0
		.amdhsa_exception_fp_ieee_invalid_op 0
		.amdhsa_exception_fp_denorm_src 0
		.amdhsa_exception_fp_ieee_div_zero 0
		.amdhsa_exception_fp_ieee_overflow 0
		.amdhsa_exception_fp_ieee_underflow 0
		.amdhsa_exception_fp_ieee_inexact 0
		.amdhsa_exception_int_div_zero 0
	.end_amdhsa_kernel
	.section	.text._ZN7rocprim17ROCPRIM_400000_NS6detail17trampoline_kernelINS0_13select_configILj256ELj13ELNS0_17block_load_methodE3ELS4_3ELS4_3ELNS0_20block_scan_algorithmE0ELj4294967295EEENS1_25partition_config_selectorILNS1_17partition_subalgoE4EjNS0_10empty_typeEbEEZZNS1_14partition_implILS8_4ELb0ES6_15HIP_vector_typeIjLj2EENS0_17counting_iteratorIjlEEPS9_SG_NS0_5tupleIJPjSI_NS0_16reverse_iteratorISI_EEEEENSH_IJSG_SG_SG_EEES9_SI_JZNS1_25segmented_radix_sort_implINS0_14default_configELb0EPK12hip_bfloat16PSP_PKlPlN2at6native12_GLOBAL__N_18offset_tEEE10hipError_tPvRmT1_PNSt15iterator_traitsIS13_E10value_typeET2_T3_PNS14_IS19_E10value_typeET4_jRbjT5_S1F_jjP12ihipStream_tbEUljE_ZNSN_ISO_Lb0ESR_SS_SU_SV_SZ_EES10_S11_S12_S13_S17_S18_S19_S1C_S1D_jS1E_jS1F_S1F_jjS1H_bEUljE0_EEES10_S11_S12_S19_S1D_S1F_T6_T7_T9_mT8_S1H_bDpT10_ENKUlT_T0_E_clISt17integral_constantIbLb1EES1V_EEDaS1Q_S1R_EUlS1Q_E_NS1_11comp_targetILNS1_3genE0ELNS1_11target_archE4294967295ELNS1_3gpuE0ELNS1_3repE0EEENS1_30default_config_static_selectorELNS0_4arch9wavefront6targetE1EEEvS13_,"axG",@progbits,_ZN7rocprim17ROCPRIM_400000_NS6detail17trampoline_kernelINS0_13select_configILj256ELj13ELNS0_17block_load_methodE3ELS4_3ELS4_3ELNS0_20block_scan_algorithmE0ELj4294967295EEENS1_25partition_config_selectorILNS1_17partition_subalgoE4EjNS0_10empty_typeEbEEZZNS1_14partition_implILS8_4ELb0ES6_15HIP_vector_typeIjLj2EENS0_17counting_iteratorIjlEEPS9_SG_NS0_5tupleIJPjSI_NS0_16reverse_iteratorISI_EEEEENSH_IJSG_SG_SG_EEES9_SI_JZNS1_25segmented_radix_sort_implINS0_14default_configELb0EPK12hip_bfloat16PSP_PKlPlN2at6native12_GLOBAL__N_18offset_tEEE10hipError_tPvRmT1_PNSt15iterator_traitsIS13_E10value_typeET2_T3_PNS14_IS19_E10value_typeET4_jRbjT5_S1F_jjP12ihipStream_tbEUljE_ZNSN_ISO_Lb0ESR_SS_SU_SV_SZ_EES10_S11_S12_S13_S17_S18_S19_S1C_S1D_jS1E_jS1F_S1F_jjS1H_bEUljE0_EEES10_S11_S12_S19_S1D_S1F_T6_T7_T9_mT8_S1H_bDpT10_ENKUlT_T0_E_clISt17integral_constantIbLb1EES1V_EEDaS1Q_S1R_EUlS1Q_E_NS1_11comp_targetILNS1_3genE0ELNS1_11target_archE4294967295ELNS1_3gpuE0ELNS1_3repE0EEENS1_30default_config_static_selectorELNS0_4arch9wavefront6targetE1EEEvS13_,comdat
.Lfunc_end1993:
	.size	_ZN7rocprim17ROCPRIM_400000_NS6detail17trampoline_kernelINS0_13select_configILj256ELj13ELNS0_17block_load_methodE3ELS4_3ELS4_3ELNS0_20block_scan_algorithmE0ELj4294967295EEENS1_25partition_config_selectorILNS1_17partition_subalgoE4EjNS0_10empty_typeEbEEZZNS1_14partition_implILS8_4ELb0ES6_15HIP_vector_typeIjLj2EENS0_17counting_iteratorIjlEEPS9_SG_NS0_5tupleIJPjSI_NS0_16reverse_iteratorISI_EEEEENSH_IJSG_SG_SG_EEES9_SI_JZNS1_25segmented_radix_sort_implINS0_14default_configELb0EPK12hip_bfloat16PSP_PKlPlN2at6native12_GLOBAL__N_18offset_tEEE10hipError_tPvRmT1_PNSt15iterator_traitsIS13_E10value_typeET2_T3_PNS14_IS19_E10value_typeET4_jRbjT5_S1F_jjP12ihipStream_tbEUljE_ZNSN_ISO_Lb0ESR_SS_SU_SV_SZ_EES10_S11_S12_S13_S17_S18_S19_S1C_S1D_jS1E_jS1F_S1F_jjS1H_bEUljE0_EEES10_S11_S12_S19_S1D_S1F_T6_T7_T9_mT8_S1H_bDpT10_ENKUlT_T0_E_clISt17integral_constantIbLb1EES1V_EEDaS1Q_S1R_EUlS1Q_E_NS1_11comp_targetILNS1_3genE0ELNS1_11target_archE4294967295ELNS1_3gpuE0ELNS1_3repE0EEENS1_30default_config_static_selectorELNS0_4arch9wavefront6targetE1EEEvS13_, .Lfunc_end1993-_ZN7rocprim17ROCPRIM_400000_NS6detail17trampoline_kernelINS0_13select_configILj256ELj13ELNS0_17block_load_methodE3ELS4_3ELS4_3ELNS0_20block_scan_algorithmE0ELj4294967295EEENS1_25partition_config_selectorILNS1_17partition_subalgoE4EjNS0_10empty_typeEbEEZZNS1_14partition_implILS8_4ELb0ES6_15HIP_vector_typeIjLj2EENS0_17counting_iteratorIjlEEPS9_SG_NS0_5tupleIJPjSI_NS0_16reverse_iteratorISI_EEEEENSH_IJSG_SG_SG_EEES9_SI_JZNS1_25segmented_radix_sort_implINS0_14default_configELb0EPK12hip_bfloat16PSP_PKlPlN2at6native12_GLOBAL__N_18offset_tEEE10hipError_tPvRmT1_PNSt15iterator_traitsIS13_E10value_typeET2_T3_PNS14_IS19_E10value_typeET4_jRbjT5_S1F_jjP12ihipStream_tbEUljE_ZNSN_ISO_Lb0ESR_SS_SU_SV_SZ_EES10_S11_S12_S13_S17_S18_S19_S1C_S1D_jS1E_jS1F_S1F_jjS1H_bEUljE0_EEES10_S11_S12_S19_S1D_S1F_T6_T7_T9_mT8_S1H_bDpT10_ENKUlT_T0_E_clISt17integral_constantIbLb1EES1V_EEDaS1Q_S1R_EUlS1Q_E_NS1_11comp_targetILNS1_3genE0ELNS1_11target_archE4294967295ELNS1_3gpuE0ELNS1_3repE0EEENS1_30default_config_static_selectorELNS0_4arch9wavefront6targetE1EEEvS13_
                                        ; -- End function
	.set _ZN7rocprim17ROCPRIM_400000_NS6detail17trampoline_kernelINS0_13select_configILj256ELj13ELNS0_17block_load_methodE3ELS4_3ELS4_3ELNS0_20block_scan_algorithmE0ELj4294967295EEENS1_25partition_config_selectorILNS1_17partition_subalgoE4EjNS0_10empty_typeEbEEZZNS1_14partition_implILS8_4ELb0ES6_15HIP_vector_typeIjLj2EENS0_17counting_iteratorIjlEEPS9_SG_NS0_5tupleIJPjSI_NS0_16reverse_iteratorISI_EEEEENSH_IJSG_SG_SG_EEES9_SI_JZNS1_25segmented_radix_sort_implINS0_14default_configELb0EPK12hip_bfloat16PSP_PKlPlN2at6native12_GLOBAL__N_18offset_tEEE10hipError_tPvRmT1_PNSt15iterator_traitsIS13_E10value_typeET2_T3_PNS14_IS19_E10value_typeET4_jRbjT5_S1F_jjP12ihipStream_tbEUljE_ZNSN_ISO_Lb0ESR_SS_SU_SV_SZ_EES10_S11_S12_S13_S17_S18_S19_S1C_S1D_jS1E_jS1F_S1F_jjS1H_bEUljE0_EEES10_S11_S12_S19_S1D_S1F_T6_T7_T9_mT8_S1H_bDpT10_ENKUlT_T0_E_clISt17integral_constantIbLb1EES1V_EEDaS1Q_S1R_EUlS1Q_E_NS1_11comp_targetILNS1_3genE0ELNS1_11target_archE4294967295ELNS1_3gpuE0ELNS1_3repE0EEENS1_30default_config_static_selectorELNS0_4arch9wavefront6targetE1EEEvS13_.num_vgpr, 0
	.set _ZN7rocprim17ROCPRIM_400000_NS6detail17trampoline_kernelINS0_13select_configILj256ELj13ELNS0_17block_load_methodE3ELS4_3ELS4_3ELNS0_20block_scan_algorithmE0ELj4294967295EEENS1_25partition_config_selectorILNS1_17partition_subalgoE4EjNS0_10empty_typeEbEEZZNS1_14partition_implILS8_4ELb0ES6_15HIP_vector_typeIjLj2EENS0_17counting_iteratorIjlEEPS9_SG_NS0_5tupleIJPjSI_NS0_16reverse_iteratorISI_EEEEENSH_IJSG_SG_SG_EEES9_SI_JZNS1_25segmented_radix_sort_implINS0_14default_configELb0EPK12hip_bfloat16PSP_PKlPlN2at6native12_GLOBAL__N_18offset_tEEE10hipError_tPvRmT1_PNSt15iterator_traitsIS13_E10value_typeET2_T3_PNS14_IS19_E10value_typeET4_jRbjT5_S1F_jjP12ihipStream_tbEUljE_ZNSN_ISO_Lb0ESR_SS_SU_SV_SZ_EES10_S11_S12_S13_S17_S18_S19_S1C_S1D_jS1E_jS1F_S1F_jjS1H_bEUljE0_EEES10_S11_S12_S19_S1D_S1F_T6_T7_T9_mT8_S1H_bDpT10_ENKUlT_T0_E_clISt17integral_constantIbLb1EES1V_EEDaS1Q_S1R_EUlS1Q_E_NS1_11comp_targetILNS1_3genE0ELNS1_11target_archE4294967295ELNS1_3gpuE0ELNS1_3repE0EEENS1_30default_config_static_selectorELNS0_4arch9wavefront6targetE1EEEvS13_.num_agpr, 0
	.set _ZN7rocprim17ROCPRIM_400000_NS6detail17trampoline_kernelINS0_13select_configILj256ELj13ELNS0_17block_load_methodE3ELS4_3ELS4_3ELNS0_20block_scan_algorithmE0ELj4294967295EEENS1_25partition_config_selectorILNS1_17partition_subalgoE4EjNS0_10empty_typeEbEEZZNS1_14partition_implILS8_4ELb0ES6_15HIP_vector_typeIjLj2EENS0_17counting_iteratorIjlEEPS9_SG_NS0_5tupleIJPjSI_NS0_16reverse_iteratorISI_EEEEENSH_IJSG_SG_SG_EEES9_SI_JZNS1_25segmented_radix_sort_implINS0_14default_configELb0EPK12hip_bfloat16PSP_PKlPlN2at6native12_GLOBAL__N_18offset_tEEE10hipError_tPvRmT1_PNSt15iterator_traitsIS13_E10value_typeET2_T3_PNS14_IS19_E10value_typeET4_jRbjT5_S1F_jjP12ihipStream_tbEUljE_ZNSN_ISO_Lb0ESR_SS_SU_SV_SZ_EES10_S11_S12_S13_S17_S18_S19_S1C_S1D_jS1E_jS1F_S1F_jjS1H_bEUljE0_EEES10_S11_S12_S19_S1D_S1F_T6_T7_T9_mT8_S1H_bDpT10_ENKUlT_T0_E_clISt17integral_constantIbLb1EES1V_EEDaS1Q_S1R_EUlS1Q_E_NS1_11comp_targetILNS1_3genE0ELNS1_11target_archE4294967295ELNS1_3gpuE0ELNS1_3repE0EEENS1_30default_config_static_selectorELNS0_4arch9wavefront6targetE1EEEvS13_.numbered_sgpr, 0
	.set _ZN7rocprim17ROCPRIM_400000_NS6detail17trampoline_kernelINS0_13select_configILj256ELj13ELNS0_17block_load_methodE3ELS4_3ELS4_3ELNS0_20block_scan_algorithmE0ELj4294967295EEENS1_25partition_config_selectorILNS1_17partition_subalgoE4EjNS0_10empty_typeEbEEZZNS1_14partition_implILS8_4ELb0ES6_15HIP_vector_typeIjLj2EENS0_17counting_iteratorIjlEEPS9_SG_NS0_5tupleIJPjSI_NS0_16reverse_iteratorISI_EEEEENSH_IJSG_SG_SG_EEES9_SI_JZNS1_25segmented_radix_sort_implINS0_14default_configELb0EPK12hip_bfloat16PSP_PKlPlN2at6native12_GLOBAL__N_18offset_tEEE10hipError_tPvRmT1_PNSt15iterator_traitsIS13_E10value_typeET2_T3_PNS14_IS19_E10value_typeET4_jRbjT5_S1F_jjP12ihipStream_tbEUljE_ZNSN_ISO_Lb0ESR_SS_SU_SV_SZ_EES10_S11_S12_S13_S17_S18_S19_S1C_S1D_jS1E_jS1F_S1F_jjS1H_bEUljE0_EEES10_S11_S12_S19_S1D_S1F_T6_T7_T9_mT8_S1H_bDpT10_ENKUlT_T0_E_clISt17integral_constantIbLb1EES1V_EEDaS1Q_S1R_EUlS1Q_E_NS1_11comp_targetILNS1_3genE0ELNS1_11target_archE4294967295ELNS1_3gpuE0ELNS1_3repE0EEENS1_30default_config_static_selectorELNS0_4arch9wavefront6targetE1EEEvS13_.num_named_barrier, 0
	.set _ZN7rocprim17ROCPRIM_400000_NS6detail17trampoline_kernelINS0_13select_configILj256ELj13ELNS0_17block_load_methodE3ELS4_3ELS4_3ELNS0_20block_scan_algorithmE0ELj4294967295EEENS1_25partition_config_selectorILNS1_17partition_subalgoE4EjNS0_10empty_typeEbEEZZNS1_14partition_implILS8_4ELb0ES6_15HIP_vector_typeIjLj2EENS0_17counting_iteratorIjlEEPS9_SG_NS0_5tupleIJPjSI_NS0_16reverse_iteratorISI_EEEEENSH_IJSG_SG_SG_EEES9_SI_JZNS1_25segmented_radix_sort_implINS0_14default_configELb0EPK12hip_bfloat16PSP_PKlPlN2at6native12_GLOBAL__N_18offset_tEEE10hipError_tPvRmT1_PNSt15iterator_traitsIS13_E10value_typeET2_T3_PNS14_IS19_E10value_typeET4_jRbjT5_S1F_jjP12ihipStream_tbEUljE_ZNSN_ISO_Lb0ESR_SS_SU_SV_SZ_EES10_S11_S12_S13_S17_S18_S19_S1C_S1D_jS1E_jS1F_S1F_jjS1H_bEUljE0_EEES10_S11_S12_S19_S1D_S1F_T6_T7_T9_mT8_S1H_bDpT10_ENKUlT_T0_E_clISt17integral_constantIbLb1EES1V_EEDaS1Q_S1R_EUlS1Q_E_NS1_11comp_targetILNS1_3genE0ELNS1_11target_archE4294967295ELNS1_3gpuE0ELNS1_3repE0EEENS1_30default_config_static_selectorELNS0_4arch9wavefront6targetE1EEEvS13_.private_seg_size, 0
	.set _ZN7rocprim17ROCPRIM_400000_NS6detail17trampoline_kernelINS0_13select_configILj256ELj13ELNS0_17block_load_methodE3ELS4_3ELS4_3ELNS0_20block_scan_algorithmE0ELj4294967295EEENS1_25partition_config_selectorILNS1_17partition_subalgoE4EjNS0_10empty_typeEbEEZZNS1_14partition_implILS8_4ELb0ES6_15HIP_vector_typeIjLj2EENS0_17counting_iteratorIjlEEPS9_SG_NS0_5tupleIJPjSI_NS0_16reverse_iteratorISI_EEEEENSH_IJSG_SG_SG_EEES9_SI_JZNS1_25segmented_radix_sort_implINS0_14default_configELb0EPK12hip_bfloat16PSP_PKlPlN2at6native12_GLOBAL__N_18offset_tEEE10hipError_tPvRmT1_PNSt15iterator_traitsIS13_E10value_typeET2_T3_PNS14_IS19_E10value_typeET4_jRbjT5_S1F_jjP12ihipStream_tbEUljE_ZNSN_ISO_Lb0ESR_SS_SU_SV_SZ_EES10_S11_S12_S13_S17_S18_S19_S1C_S1D_jS1E_jS1F_S1F_jjS1H_bEUljE0_EEES10_S11_S12_S19_S1D_S1F_T6_T7_T9_mT8_S1H_bDpT10_ENKUlT_T0_E_clISt17integral_constantIbLb1EES1V_EEDaS1Q_S1R_EUlS1Q_E_NS1_11comp_targetILNS1_3genE0ELNS1_11target_archE4294967295ELNS1_3gpuE0ELNS1_3repE0EEENS1_30default_config_static_selectorELNS0_4arch9wavefront6targetE1EEEvS13_.uses_vcc, 0
	.set _ZN7rocprim17ROCPRIM_400000_NS6detail17trampoline_kernelINS0_13select_configILj256ELj13ELNS0_17block_load_methodE3ELS4_3ELS4_3ELNS0_20block_scan_algorithmE0ELj4294967295EEENS1_25partition_config_selectorILNS1_17partition_subalgoE4EjNS0_10empty_typeEbEEZZNS1_14partition_implILS8_4ELb0ES6_15HIP_vector_typeIjLj2EENS0_17counting_iteratorIjlEEPS9_SG_NS0_5tupleIJPjSI_NS0_16reverse_iteratorISI_EEEEENSH_IJSG_SG_SG_EEES9_SI_JZNS1_25segmented_radix_sort_implINS0_14default_configELb0EPK12hip_bfloat16PSP_PKlPlN2at6native12_GLOBAL__N_18offset_tEEE10hipError_tPvRmT1_PNSt15iterator_traitsIS13_E10value_typeET2_T3_PNS14_IS19_E10value_typeET4_jRbjT5_S1F_jjP12ihipStream_tbEUljE_ZNSN_ISO_Lb0ESR_SS_SU_SV_SZ_EES10_S11_S12_S13_S17_S18_S19_S1C_S1D_jS1E_jS1F_S1F_jjS1H_bEUljE0_EEES10_S11_S12_S19_S1D_S1F_T6_T7_T9_mT8_S1H_bDpT10_ENKUlT_T0_E_clISt17integral_constantIbLb1EES1V_EEDaS1Q_S1R_EUlS1Q_E_NS1_11comp_targetILNS1_3genE0ELNS1_11target_archE4294967295ELNS1_3gpuE0ELNS1_3repE0EEENS1_30default_config_static_selectorELNS0_4arch9wavefront6targetE1EEEvS13_.uses_flat_scratch, 0
	.set _ZN7rocprim17ROCPRIM_400000_NS6detail17trampoline_kernelINS0_13select_configILj256ELj13ELNS0_17block_load_methodE3ELS4_3ELS4_3ELNS0_20block_scan_algorithmE0ELj4294967295EEENS1_25partition_config_selectorILNS1_17partition_subalgoE4EjNS0_10empty_typeEbEEZZNS1_14partition_implILS8_4ELb0ES6_15HIP_vector_typeIjLj2EENS0_17counting_iteratorIjlEEPS9_SG_NS0_5tupleIJPjSI_NS0_16reverse_iteratorISI_EEEEENSH_IJSG_SG_SG_EEES9_SI_JZNS1_25segmented_radix_sort_implINS0_14default_configELb0EPK12hip_bfloat16PSP_PKlPlN2at6native12_GLOBAL__N_18offset_tEEE10hipError_tPvRmT1_PNSt15iterator_traitsIS13_E10value_typeET2_T3_PNS14_IS19_E10value_typeET4_jRbjT5_S1F_jjP12ihipStream_tbEUljE_ZNSN_ISO_Lb0ESR_SS_SU_SV_SZ_EES10_S11_S12_S13_S17_S18_S19_S1C_S1D_jS1E_jS1F_S1F_jjS1H_bEUljE0_EEES10_S11_S12_S19_S1D_S1F_T6_T7_T9_mT8_S1H_bDpT10_ENKUlT_T0_E_clISt17integral_constantIbLb1EES1V_EEDaS1Q_S1R_EUlS1Q_E_NS1_11comp_targetILNS1_3genE0ELNS1_11target_archE4294967295ELNS1_3gpuE0ELNS1_3repE0EEENS1_30default_config_static_selectorELNS0_4arch9wavefront6targetE1EEEvS13_.has_dyn_sized_stack, 0
	.set _ZN7rocprim17ROCPRIM_400000_NS6detail17trampoline_kernelINS0_13select_configILj256ELj13ELNS0_17block_load_methodE3ELS4_3ELS4_3ELNS0_20block_scan_algorithmE0ELj4294967295EEENS1_25partition_config_selectorILNS1_17partition_subalgoE4EjNS0_10empty_typeEbEEZZNS1_14partition_implILS8_4ELb0ES6_15HIP_vector_typeIjLj2EENS0_17counting_iteratorIjlEEPS9_SG_NS0_5tupleIJPjSI_NS0_16reverse_iteratorISI_EEEEENSH_IJSG_SG_SG_EEES9_SI_JZNS1_25segmented_radix_sort_implINS0_14default_configELb0EPK12hip_bfloat16PSP_PKlPlN2at6native12_GLOBAL__N_18offset_tEEE10hipError_tPvRmT1_PNSt15iterator_traitsIS13_E10value_typeET2_T3_PNS14_IS19_E10value_typeET4_jRbjT5_S1F_jjP12ihipStream_tbEUljE_ZNSN_ISO_Lb0ESR_SS_SU_SV_SZ_EES10_S11_S12_S13_S17_S18_S19_S1C_S1D_jS1E_jS1F_S1F_jjS1H_bEUljE0_EEES10_S11_S12_S19_S1D_S1F_T6_T7_T9_mT8_S1H_bDpT10_ENKUlT_T0_E_clISt17integral_constantIbLb1EES1V_EEDaS1Q_S1R_EUlS1Q_E_NS1_11comp_targetILNS1_3genE0ELNS1_11target_archE4294967295ELNS1_3gpuE0ELNS1_3repE0EEENS1_30default_config_static_selectorELNS0_4arch9wavefront6targetE1EEEvS13_.has_recursion, 0
	.set _ZN7rocprim17ROCPRIM_400000_NS6detail17trampoline_kernelINS0_13select_configILj256ELj13ELNS0_17block_load_methodE3ELS4_3ELS4_3ELNS0_20block_scan_algorithmE0ELj4294967295EEENS1_25partition_config_selectorILNS1_17partition_subalgoE4EjNS0_10empty_typeEbEEZZNS1_14partition_implILS8_4ELb0ES6_15HIP_vector_typeIjLj2EENS0_17counting_iteratorIjlEEPS9_SG_NS0_5tupleIJPjSI_NS0_16reverse_iteratorISI_EEEEENSH_IJSG_SG_SG_EEES9_SI_JZNS1_25segmented_radix_sort_implINS0_14default_configELb0EPK12hip_bfloat16PSP_PKlPlN2at6native12_GLOBAL__N_18offset_tEEE10hipError_tPvRmT1_PNSt15iterator_traitsIS13_E10value_typeET2_T3_PNS14_IS19_E10value_typeET4_jRbjT5_S1F_jjP12ihipStream_tbEUljE_ZNSN_ISO_Lb0ESR_SS_SU_SV_SZ_EES10_S11_S12_S13_S17_S18_S19_S1C_S1D_jS1E_jS1F_S1F_jjS1H_bEUljE0_EEES10_S11_S12_S19_S1D_S1F_T6_T7_T9_mT8_S1H_bDpT10_ENKUlT_T0_E_clISt17integral_constantIbLb1EES1V_EEDaS1Q_S1R_EUlS1Q_E_NS1_11comp_targetILNS1_3genE0ELNS1_11target_archE4294967295ELNS1_3gpuE0ELNS1_3repE0EEENS1_30default_config_static_selectorELNS0_4arch9wavefront6targetE1EEEvS13_.has_indirect_call, 0
	.section	.AMDGPU.csdata,"",@progbits
; Kernel info:
; codeLenInByte = 0
; TotalNumSgprs: 4
; NumVgprs: 0
; ScratchSize: 0
; MemoryBound: 0
; FloatMode: 240
; IeeeMode: 1
; LDSByteSize: 0 bytes/workgroup (compile time only)
; SGPRBlocks: 0
; VGPRBlocks: 0
; NumSGPRsForWavesPerEU: 4
; NumVGPRsForWavesPerEU: 1
; Occupancy: 10
; WaveLimiterHint : 0
; COMPUTE_PGM_RSRC2:SCRATCH_EN: 0
; COMPUTE_PGM_RSRC2:USER_SGPR: 6
; COMPUTE_PGM_RSRC2:TRAP_HANDLER: 0
; COMPUTE_PGM_RSRC2:TGID_X_EN: 1
; COMPUTE_PGM_RSRC2:TGID_Y_EN: 0
; COMPUTE_PGM_RSRC2:TGID_Z_EN: 0
; COMPUTE_PGM_RSRC2:TIDIG_COMP_CNT: 0
	.section	.text._ZN7rocprim17ROCPRIM_400000_NS6detail17trampoline_kernelINS0_13select_configILj256ELj13ELNS0_17block_load_methodE3ELS4_3ELS4_3ELNS0_20block_scan_algorithmE0ELj4294967295EEENS1_25partition_config_selectorILNS1_17partition_subalgoE4EjNS0_10empty_typeEbEEZZNS1_14partition_implILS8_4ELb0ES6_15HIP_vector_typeIjLj2EENS0_17counting_iteratorIjlEEPS9_SG_NS0_5tupleIJPjSI_NS0_16reverse_iteratorISI_EEEEENSH_IJSG_SG_SG_EEES9_SI_JZNS1_25segmented_radix_sort_implINS0_14default_configELb0EPK12hip_bfloat16PSP_PKlPlN2at6native12_GLOBAL__N_18offset_tEEE10hipError_tPvRmT1_PNSt15iterator_traitsIS13_E10value_typeET2_T3_PNS14_IS19_E10value_typeET4_jRbjT5_S1F_jjP12ihipStream_tbEUljE_ZNSN_ISO_Lb0ESR_SS_SU_SV_SZ_EES10_S11_S12_S13_S17_S18_S19_S1C_S1D_jS1E_jS1F_S1F_jjS1H_bEUljE0_EEES10_S11_S12_S19_S1D_S1F_T6_T7_T9_mT8_S1H_bDpT10_ENKUlT_T0_E_clISt17integral_constantIbLb1EES1V_EEDaS1Q_S1R_EUlS1Q_E_NS1_11comp_targetILNS1_3genE5ELNS1_11target_archE942ELNS1_3gpuE9ELNS1_3repE0EEENS1_30default_config_static_selectorELNS0_4arch9wavefront6targetE1EEEvS13_,"axG",@progbits,_ZN7rocprim17ROCPRIM_400000_NS6detail17trampoline_kernelINS0_13select_configILj256ELj13ELNS0_17block_load_methodE3ELS4_3ELS4_3ELNS0_20block_scan_algorithmE0ELj4294967295EEENS1_25partition_config_selectorILNS1_17partition_subalgoE4EjNS0_10empty_typeEbEEZZNS1_14partition_implILS8_4ELb0ES6_15HIP_vector_typeIjLj2EENS0_17counting_iteratorIjlEEPS9_SG_NS0_5tupleIJPjSI_NS0_16reverse_iteratorISI_EEEEENSH_IJSG_SG_SG_EEES9_SI_JZNS1_25segmented_radix_sort_implINS0_14default_configELb0EPK12hip_bfloat16PSP_PKlPlN2at6native12_GLOBAL__N_18offset_tEEE10hipError_tPvRmT1_PNSt15iterator_traitsIS13_E10value_typeET2_T3_PNS14_IS19_E10value_typeET4_jRbjT5_S1F_jjP12ihipStream_tbEUljE_ZNSN_ISO_Lb0ESR_SS_SU_SV_SZ_EES10_S11_S12_S13_S17_S18_S19_S1C_S1D_jS1E_jS1F_S1F_jjS1H_bEUljE0_EEES10_S11_S12_S19_S1D_S1F_T6_T7_T9_mT8_S1H_bDpT10_ENKUlT_T0_E_clISt17integral_constantIbLb1EES1V_EEDaS1Q_S1R_EUlS1Q_E_NS1_11comp_targetILNS1_3genE5ELNS1_11target_archE942ELNS1_3gpuE9ELNS1_3repE0EEENS1_30default_config_static_selectorELNS0_4arch9wavefront6targetE1EEEvS13_,comdat
	.globl	_ZN7rocprim17ROCPRIM_400000_NS6detail17trampoline_kernelINS0_13select_configILj256ELj13ELNS0_17block_load_methodE3ELS4_3ELS4_3ELNS0_20block_scan_algorithmE0ELj4294967295EEENS1_25partition_config_selectorILNS1_17partition_subalgoE4EjNS0_10empty_typeEbEEZZNS1_14partition_implILS8_4ELb0ES6_15HIP_vector_typeIjLj2EENS0_17counting_iteratorIjlEEPS9_SG_NS0_5tupleIJPjSI_NS0_16reverse_iteratorISI_EEEEENSH_IJSG_SG_SG_EEES9_SI_JZNS1_25segmented_radix_sort_implINS0_14default_configELb0EPK12hip_bfloat16PSP_PKlPlN2at6native12_GLOBAL__N_18offset_tEEE10hipError_tPvRmT1_PNSt15iterator_traitsIS13_E10value_typeET2_T3_PNS14_IS19_E10value_typeET4_jRbjT5_S1F_jjP12ihipStream_tbEUljE_ZNSN_ISO_Lb0ESR_SS_SU_SV_SZ_EES10_S11_S12_S13_S17_S18_S19_S1C_S1D_jS1E_jS1F_S1F_jjS1H_bEUljE0_EEES10_S11_S12_S19_S1D_S1F_T6_T7_T9_mT8_S1H_bDpT10_ENKUlT_T0_E_clISt17integral_constantIbLb1EES1V_EEDaS1Q_S1R_EUlS1Q_E_NS1_11comp_targetILNS1_3genE5ELNS1_11target_archE942ELNS1_3gpuE9ELNS1_3repE0EEENS1_30default_config_static_selectorELNS0_4arch9wavefront6targetE1EEEvS13_ ; -- Begin function _ZN7rocprim17ROCPRIM_400000_NS6detail17trampoline_kernelINS0_13select_configILj256ELj13ELNS0_17block_load_methodE3ELS4_3ELS4_3ELNS0_20block_scan_algorithmE0ELj4294967295EEENS1_25partition_config_selectorILNS1_17partition_subalgoE4EjNS0_10empty_typeEbEEZZNS1_14partition_implILS8_4ELb0ES6_15HIP_vector_typeIjLj2EENS0_17counting_iteratorIjlEEPS9_SG_NS0_5tupleIJPjSI_NS0_16reverse_iteratorISI_EEEEENSH_IJSG_SG_SG_EEES9_SI_JZNS1_25segmented_radix_sort_implINS0_14default_configELb0EPK12hip_bfloat16PSP_PKlPlN2at6native12_GLOBAL__N_18offset_tEEE10hipError_tPvRmT1_PNSt15iterator_traitsIS13_E10value_typeET2_T3_PNS14_IS19_E10value_typeET4_jRbjT5_S1F_jjP12ihipStream_tbEUljE_ZNSN_ISO_Lb0ESR_SS_SU_SV_SZ_EES10_S11_S12_S13_S17_S18_S19_S1C_S1D_jS1E_jS1F_S1F_jjS1H_bEUljE0_EEES10_S11_S12_S19_S1D_S1F_T6_T7_T9_mT8_S1H_bDpT10_ENKUlT_T0_E_clISt17integral_constantIbLb1EES1V_EEDaS1Q_S1R_EUlS1Q_E_NS1_11comp_targetILNS1_3genE5ELNS1_11target_archE942ELNS1_3gpuE9ELNS1_3repE0EEENS1_30default_config_static_selectorELNS0_4arch9wavefront6targetE1EEEvS13_
	.p2align	8
	.type	_ZN7rocprim17ROCPRIM_400000_NS6detail17trampoline_kernelINS0_13select_configILj256ELj13ELNS0_17block_load_methodE3ELS4_3ELS4_3ELNS0_20block_scan_algorithmE0ELj4294967295EEENS1_25partition_config_selectorILNS1_17partition_subalgoE4EjNS0_10empty_typeEbEEZZNS1_14partition_implILS8_4ELb0ES6_15HIP_vector_typeIjLj2EENS0_17counting_iteratorIjlEEPS9_SG_NS0_5tupleIJPjSI_NS0_16reverse_iteratorISI_EEEEENSH_IJSG_SG_SG_EEES9_SI_JZNS1_25segmented_radix_sort_implINS0_14default_configELb0EPK12hip_bfloat16PSP_PKlPlN2at6native12_GLOBAL__N_18offset_tEEE10hipError_tPvRmT1_PNSt15iterator_traitsIS13_E10value_typeET2_T3_PNS14_IS19_E10value_typeET4_jRbjT5_S1F_jjP12ihipStream_tbEUljE_ZNSN_ISO_Lb0ESR_SS_SU_SV_SZ_EES10_S11_S12_S13_S17_S18_S19_S1C_S1D_jS1E_jS1F_S1F_jjS1H_bEUljE0_EEES10_S11_S12_S19_S1D_S1F_T6_T7_T9_mT8_S1H_bDpT10_ENKUlT_T0_E_clISt17integral_constantIbLb1EES1V_EEDaS1Q_S1R_EUlS1Q_E_NS1_11comp_targetILNS1_3genE5ELNS1_11target_archE942ELNS1_3gpuE9ELNS1_3repE0EEENS1_30default_config_static_selectorELNS0_4arch9wavefront6targetE1EEEvS13_,@function
_ZN7rocprim17ROCPRIM_400000_NS6detail17trampoline_kernelINS0_13select_configILj256ELj13ELNS0_17block_load_methodE3ELS4_3ELS4_3ELNS0_20block_scan_algorithmE0ELj4294967295EEENS1_25partition_config_selectorILNS1_17partition_subalgoE4EjNS0_10empty_typeEbEEZZNS1_14partition_implILS8_4ELb0ES6_15HIP_vector_typeIjLj2EENS0_17counting_iteratorIjlEEPS9_SG_NS0_5tupleIJPjSI_NS0_16reverse_iteratorISI_EEEEENSH_IJSG_SG_SG_EEES9_SI_JZNS1_25segmented_radix_sort_implINS0_14default_configELb0EPK12hip_bfloat16PSP_PKlPlN2at6native12_GLOBAL__N_18offset_tEEE10hipError_tPvRmT1_PNSt15iterator_traitsIS13_E10value_typeET2_T3_PNS14_IS19_E10value_typeET4_jRbjT5_S1F_jjP12ihipStream_tbEUljE_ZNSN_ISO_Lb0ESR_SS_SU_SV_SZ_EES10_S11_S12_S13_S17_S18_S19_S1C_S1D_jS1E_jS1F_S1F_jjS1H_bEUljE0_EEES10_S11_S12_S19_S1D_S1F_T6_T7_T9_mT8_S1H_bDpT10_ENKUlT_T0_E_clISt17integral_constantIbLb1EES1V_EEDaS1Q_S1R_EUlS1Q_E_NS1_11comp_targetILNS1_3genE5ELNS1_11target_archE942ELNS1_3gpuE9ELNS1_3repE0EEENS1_30default_config_static_selectorELNS0_4arch9wavefront6targetE1EEEvS13_: ; @_ZN7rocprim17ROCPRIM_400000_NS6detail17trampoline_kernelINS0_13select_configILj256ELj13ELNS0_17block_load_methodE3ELS4_3ELS4_3ELNS0_20block_scan_algorithmE0ELj4294967295EEENS1_25partition_config_selectorILNS1_17partition_subalgoE4EjNS0_10empty_typeEbEEZZNS1_14partition_implILS8_4ELb0ES6_15HIP_vector_typeIjLj2EENS0_17counting_iteratorIjlEEPS9_SG_NS0_5tupleIJPjSI_NS0_16reverse_iteratorISI_EEEEENSH_IJSG_SG_SG_EEES9_SI_JZNS1_25segmented_radix_sort_implINS0_14default_configELb0EPK12hip_bfloat16PSP_PKlPlN2at6native12_GLOBAL__N_18offset_tEEE10hipError_tPvRmT1_PNSt15iterator_traitsIS13_E10value_typeET2_T3_PNS14_IS19_E10value_typeET4_jRbjT5_S1F_jjP12ihipStream_tbEUljE_ZNSN_ISO_Lb0ESR_SS_SU_SV_SZ_EES10_S11_S12_S13_S17_S18_S19_S1C_S1D_jS1E_jS1F_S1F_jjS1H_bEUljE0_EEES10_S11_S12_S19_S1D_S1F_T6_T7_T9_mT8_S1H_bDpT10_ENKUlT_T0_E_clISt17integral_constantIbLb1EES1V_EEDaS1Q_S1R_EUlS1Q_E_NS1_11comp_targetILNS1_3genE5ELNS1_11target_archE942ELNS1_3gpuE9ELNS1_3repE0EEENS1_30default_config_static_selectorELNS0_4arch9wavefront6targetE1EEEvS13_
; %bb.0:
	.section	.rodata,"a",@progbits
	.p2align	6, 0x0
	.amdhsa_kernel _ZN7rocprim17ROCPRIM_400000_NS6detail17trampoline_kernelINS0_13select_configILj256ELj13ELNS0_17block_load_methodE3ELS4_3ELS4_3ELNS0_20block_scan_algorithmE0ELj4294967295EEENS1_25partition_config_selectorILNS1_17partition_subalgoE4EjNS0_10empty_typeEbEEZZNS1_14partition_implILS8_4ELb0ES6_15HIP_vector_typeIjLj2EENS0_17counting_iteratorIjlEEPS9_SG_NS0_5tupleIJPjSI_NS0_16reverse_iteratorISI_EEEEENSH_IJSG_SG_SG_EEES9_SI_JZNS1_25segmented_radix_sort_implINS0_14default_configELb0EPK12hip_bfloat16PSP_PKlPlN2at6native12_GLOBAL__N_18offset_tEEE10hipError_tPvRmT1_PNSt15iterator_traitsIS13_E10value_typeET2_T3_PNS14_IS19_E10value_typeET4_jRbjT5_S1F_jjP12ihipStream_tbEUljE_ZNSN_ISO_Lb0ESR_SS_SU_SV_SZ_EES10_S11_S12_S13_S17_S18_S19_S1C_S1D_jS1E_jS1F_S1F_jjS1H_bEUljE0_EEES10_S11_S12_S19_S1D_S1F_T6_T7_T9_mT8_S1H_bDpT10_ENKUlT_T0_E_clISt17integral_constantIbLb1EES1V_EEDaS1Q_S1R_EUlS1Q_E_NS1_11comp_targetILNS1_3genE5ELNS1_11target_archE942ELNS1_3gpuE9ELNS1_3repE0EEENS1_30default_config_static_selectorELNS0_4arch9wavefront6targetE1EEEvS13_
		.amdhsa_group_segment_fixed_size 0
		.amdhsa_private_segment_fixed_size 0
		.amdhsa_kernarg_size 184
		.amdhsa_user_sgpr_count 6
		.amdhsa_user_sgpr_private_segment_buffer 1
		.amdhsa_user_sgpr_dispatch_ptr 0
		.amdhsa_user_sgpr_queue_ptr 0
		.amdhsa_user_sgpr_kernarg_segment_ptr 1
		.amdhsa_user_sgpr_dispatch_id 0
		.amdhsa_user_sgpr_flat_scratch_init 0
		.amdhsa_user_sgpr_private_segment_size 0
		.amdhsa_uses_dynamic_stack 0
		.amdhsa_system_sgpr_private_segment_wavefront_offset 0
		.amdhsa_system_sgpr_workgroup_id_x 1
		.amdhsa_system_sgpr_workgroup_id_y 0
		.amdhsa_system_sgpr_workgroup_id_z 0
		.amdhsa_system_sgpr_workgroup_info 0
		.amdhsa_system_vgpr_workitem_id 0
		.amdhsa_next_free_vgpr 1
		.amdhsa_next_free_sgpr 0
		.amdhsa_reserve_vcc 0
		.amdhsa_reserve_flat_scratch 0
		.amdhsa_float_round_mode_32 0
		.amdhsa_float_round_mode_16_64 0
		.amdhsa_float_denorm_mode_32 3
		.amdhsa_float_denorm_mode_16_64 3
		.amdhsa_dx10_clamp 1
		.amdhsa_ieee_mode 1
		.amdhsa_fp16_overflow 0
		.amdhsa_exception_fp_ieee_invalid_op 0
		.amdhsa_exception_fp_denorm_src 0
		.amdhsa_exception_fp_ieee_div_zero 0
		.amdhsa_exception_fp_ieee_overflow 0
		.amdhsa_exception_fp_ieee_underflow 0
		.amdhsa_exception_fp_ieee_inexact 0
		.amdhsa_exception_int_div_zero 0
	.end_amdhsa_kernel
	.section	.text._ZN7rocprim17ROCPRIM_400000_NS6detail17trampoline_kernelINS0_13select_configILj256ELj13ELNS0_17block_load_methodE3ELS4_3ELS4_3ELNS0_20block_scan_algorithmE0ELj4294967295EEENS1_25partition_config_selectorILNS1_17partition_subalgoE4EjNS0_10empty_typeEbEEZZNS1_14partition_implILS8_4ELb0ES6_15HIP_vector_typeIjLj2EENS0_17counting_iteratorIjlEEPS9_SG_NS0_5tupleIJPjSI_NS0_16reverse_iteratorISI_EEEEENSH_IJSG_SG_SG_EEES9_SI_JZNS1_25segmented_radix_sort_implINS0_14default_configELb0EPK12hip_bfloat16PSP_PKlPlN2at6native12_GLOBAL__N_18offset_tEEE10hipError_tPvRmT1_PNSt15iterator_traitsIS13_E10value_typeET2_T3_PNS14_IS19_E10value_typeET4_jRbjT5_S1F_jjP12ihipStream_tbEUljE_ZNSN_ISO_Lb0ESR_SS_SU_SV_SZ_EES10_S11_S12_S13_S17_S18_S19_S1C_S1D_jS1E_jS1F_S1F_jjS1H_bEUljE0_EEES10_S11_S12_S19_S1D_S1F_T6_T7_T9_mT8_S1H_bDpT10_ENKUlT_T0_E_clISt17integral_constantIbLb1EES1V_EEDaS1Q_S1R_EUlS1Q_E_NS1_11comp_targetILNS1_3genE5ELNS1_11target_archE942ELNS1_3gpuE9ELNS1_3repE0EEENS1_30default_config_static_selectorELNS0_4arch9wavefront6targetE1EEEvS13_,"axG",@progbits,_ZN7rocprim17ROCPRIM_400000_NS6detail17trampoline_kernelINS0_13select_configILj256ELj13ELNS0_17block_load_methodE3ELS4_3ELS4_3ELNS0_20block_scan_algorithmE0ELj4294967295EEENS1_25partition_config_selectorILNS1_17partition_subalgoE4EjNS0_10empty_typeEbEEZZNS1_14partition_implILS8_4ELb0ES6_15HIP_vector_typeIjLj2EENS0_17counting_iteratorIjlEEPS9_SG_NS0_5tupleIJPjSI_NS0_16reverse_iteratorISI_EEEEENSH_IJSG_SG_SG_EEES9_SI_JZNS1_25segmented_radix_sort_implINS0_14default_configELb0EPK12hip_bfloat16PSP_PKlPlN2at6native12_GLOBAL__N_18offset_tEEE10hipError_tPvRmT1_PNSt15iterator_traitsIS13_E10value_typeET2_T3_PNS14_IS19_E10value_typeET4_jRbjT5_S1F_jjP12ihipStream_tbEUljE_ZNSN_ISO_Lb0ESR_SS_SU_SV_SZ_EES10_S11_S12_S13_S17_S18_S19_S1C_S1D_jS1E_jS1F_S1F_jjS1H_bEUljE0_EEES10_S11_S12_S19_S1D_S1F_T6_T7_T9_mT8_S1H_bDpT10_ENKUlT_T0_E_clISt17integral_constantIbLb1EES1V_EEDaS1Q_S1R_EUlS1Q_E_NS1_11comp_targetILNS1_3genE5ELNS1_11target_archE942ELNS1_3gpuE9ELNS1_3repE0EEENS1_30default_config_static_selectorELNS0_4arch9wavefront6targetE1EEEvS13_,comdat
.Lfunc_end1994:
	.size	_ZN7rocprim17ROCPRIM_400000_NS6detail17trampoline_kernelINS0_13select_configILj256ELj13ELNS0_17block_load_methodE3ELS4_3ELS4_3ELNS0_20block_scan_algorithmE0ELj4294967295EEENS1_25partition_config_selectorILNS1_17partition_subalgoE4EjNS0_10empty_typeEbEEZZNS1_14partition_implILS8_4ELb0ES6_15HIP_vector_typeIjLj2EENS0_17counting_iteratorIjlEEPS9_SG_NS0_5tupleIJPjSI_NS0_16reverse_iteratorISI_EEEEENSH_IJSG_SG_SG_EEES9_SI_JZNS1_25segmented_radix_sort_implINS0_14default_configELb0EPK12hip_bfloat16PSP_PKlPlN2at6native12_GLOBAL__N_18offset_tEEE10hipError_tPvRmT1_PNSt15iterator_traitsIS13_E10value_typeET2_T3_PNS14_IS19_E10value_typeET4_jRbjT5_S1F_jjP12ihipStream_tbEUljE_ZNSN_ISO_Lb0ESR_SS_SU_SV_SZ_EES10_S11_S12_S13_S17_S18_S19_S1C_S1D_jS1E_jS1F_S1F_jjS1H_bEUljE0_EEES10_S11_S12_S19_S1D_S1F_T6_T7_T9_mT8_S1H_bDpT10_ENKUlT_T0_E_clISt17integral_constantIbLb1EES1V_EEDaS1Q_S1R_EUlS1Q_E_NS1_11comp_targetILNS1_3genE5ELNS1_11target_archE942ELNS1_3gpuE9ELNS1_3repE0EEENS1_30default_config_static_selectorELNS0_4arch9wavefront6targetE1EEEvS13_, .Lfunc_end1994-_ZN7rocprim17ROCPRIM_400000_NS6detail17trampoline_kernelINS0_13select_configILj256ELj13ELNS0_17block_load_methodE3ELS4_3ELS4_3ELNS0_20block_scan_algorithmE0ELj4294967295EEENS1_25partition_config_selectorILNS1_17partition_subalgoE4EjNS0_10empty_typeEbEEZZNS1_14partition_implILS8_4ELb0ES6_15HIP_vector_typeIjLj2EENS0_17counting_iteratorIjlEEPS9_SG_NS0_5tupleIJPjSI_NS0_16reverse_iteratorISI_EEEEENSH_IJSG_SG_SG_EEES9_SI_JZNS1_25segmented_radix_sort_implINS0_14default_configELb0EPK12hip_bfloat16PSP_PKlPlN2at6native12_GLOBAL__N_18offset_tEEE10hipError_tPvRmT1_PNSt15iterator_traitsIS13_E10value_typeET2_T3_PNS14_IS19_E10value_typeET4_jRbjT5_S1F_jjP12ihipStream_tbEUljE_ZNSN_ISO_Lb0ESR_SS_SU_SV_SZ_EES10_S11_S12_S13_S17_S18_S19_S1C_S1D_jS1E_jS1F_S1F_jjS1H_bEUljE0_EEES10_S11_S12_S19_S1D_S1F_T6_T7_T9_mT8_S1H_bDpT10_ENKUlT_T0_E_clISt17integral_constantIbLb1EES1V_EEDaS1Q_S1R_EUlS1Q_E_NS1_11comp_targetILNS1_3genE5ELNS1_11target_archE942ELNS1_3gpuE9ELNS1_3repE0EEENS1_30default_config_static_selectorELNS0_4arch9wavefront6targetE1EEEvS13_
                                        ; -- End function
	.set _ZN7rocprim17ROCPRIM_400000_NS6detail17trampoline_kernelINS0_13select_configILj256ELj13ELNS0_17block_load_methodE3ELS4_3ELS4_3ELNS0_20block_scan_algorithmE0ELj4294967295EEENS1_25partition_config_selectorILNS1_17partition_subalgoE4EjNS0_10empty_typeEbEEZZNS1_14partition_implILS8_4ELb0ES6_15HIP_vector_typeIjLj2EENS0_17counting_iteratorIjlEEPS9_SG_NS0_5tupleIJPjSI_NS0_16reverse_iteratorISI_EEEEENSH_IJSG_SG_SG_EEES9_SI_JZNS1_25segmented_radix_sort_implINS0_14default_configELb0EPK12hip_bfloat16PSP_PKlPlN2at6native12_GLOBAL__N_18offset_tEEE10hipError_tPvRmT1_PNSt15iterator_traitsIS13_E10value_typeET2_T3_PNS14_IS19_E10value_typeET4_jRbjT5_S1F_jjP12ihipStream_tbEUljE_ZNSN_ISO_Lb0ESR_SS_SU_SV_SZ_EES10_S11_S12_S13_S17_S18_S19_S1C_S1D_jS1E_jS1F_S1F_jjS1H_bEUljE0_EEES10_S11_S12_S19_S1D_S1F_T6_T7_T9_mT8_S1H_bDpT10_ENKUlT_T0_E_clISt17integral_constantIbLb1EES1V_EEDaS1Q_S1R_EUlS1Q_E_NS1_11comp_targetILNS1_3genE5ELNS1_11target_archE942ELNS1_3gpuE9ELNS1_3repE0EEENS1_30default_config_static_selectorELNS0_4arch9wavefront6targetE1EEEvS13_.num_vgpr, 0
	.set _ZN7rocprim17ROCPRIM_400000_NS6detail17trampoline_kernelINS0_13select_configILj256ELj13ELNS0_17block_load_methodE3ELS4_3ELS4_3ELNS0_20block_scan_algorithmE0ELj4294967295EEENS1_25partition_config_selectorILNS1_17partition_subalgoE4EjNS0_10empty_typeEbEEZZNS1_14partition_implILS8_4ELb0ES6_15HIP_vector_typeIjLj2EENS0_17counting_iteratorIjlEEPS9_SG_NS0_5tupleIJPjSI_NS0_16reverse_iteratorISI_EEEEENSH_IJSG_SG_SG_EEES9_SI_JZNS1_25segmented_radix_sort_implINS0_14default_configELb0EPK12hip_bfloat16PSP_PKlPlN2at6native12_GLOBAL__N_18offset_tEEE10hipError_tPvRmT1_PNSt15iterator_traitsIS13_E10value_typeET2_T3_PNS14_IS19_E10value_typeET4_jRbjT5_S1F_jjP12ihipStream_tbEUljE_ZNSN_ISO_Lb0ESR_SS_SU_SV_SZ_EES10_S11_S12_S13_S17_S18_S19_S1C_S1D_jS1E_jS1F_S1F_jjS1H_bEUljE0_EEES10_S11_S12_S19_S1D_S1F_T6_T7_T9_mT8_S1H_bDpT10_ENKUlT_T0_E_clISt17integral_constantIbLb1EES1V_EEDaS1Q_S1R_EUlS1Q_E_NS1_11comp_targetILNS1_3genE5ELNS1_11target_archE942ELNS1_3gpuE9ELNS1_3repE0EEENS1_30default_config_static_selectorELNS0_4arch9wavefront6targetE1EEEvS13_.num_agpr, 0
	.set _ZN7rocprim17ROCPRIM_400000_NS6detail17trampoline_kernelINS0_13select_configILj256ELj13ELNS0_17block_load_methodE3ELS4_3ELS4_3ELNS0_20block_scan_algorithmE0ELj4294967295EEENS1_25partition_config_selectorILNS1_17partition_subalgoE4EjNS0_10empty_typeEbEEZZNS1_14partition_implILS8_4ELb0ES6_15HIP_vector_typeIjLj2EENS0_17counting_iteratorIjlEEPS9_SG_NS0_5tupleIJPjSI_NS0_16reverse_iteratorISI_EEEEENSH_IJSG_SG_SG_EEES9_SI_JZNS1_25segmented_radix_sort_implINS0_14default_configELb0EPK12hip_bfloat16PSP_PKlPlN2at6native12_GLOBAL__N_18offset_tEEE10hipError_tPvRmT1_PNSt15iterator_traitsIS13_E10value_typeET2_T3_PNS14_IS19_E10value_typeET4_jRbjT5_S1F_jjP12ihipStream_tbEUljE_ZNSN_ISO_Lb0ESR_SS_SU_SV_SZ_EES10_S11_S12_S13_S17_S18_S19_S1C_S1D_jS1E_jS1F_S1F_jjS1H_bEUljE0_EEES10_S11_S12_S19_S1D_S1F_T6_T7_T9_mT8_S1H_bDpT10_ENKUlT_T0_E_clISt17integral_constantIbLb1EES1V_EEDaS1Q_S1R_EUlS1Q_E_NS1_11comp_targetILNS1_3genE5ELNS1_11target_archE942ELNS1_3gpuE9ELNS1_3repE0EEENS1_30default_config_static_selectorELNS0_4arch9wavefront6targetE1EEEvS13_.numbered_sgpr, 0
	.set _ZN7rocprim17ROCPRIM_400000_NS6detail17trampoline_kernelINS0_13select_configILj256ELj13ELNS0_17block_load_methodE3ELS4_3ELS4_3ELNS0_20block_scan_algorithmE0ELj4294967295EEENS1_25partition_config_selectorILNS1_17partition_subalgoE4EjNS0_10empty_typeEbEEZZNS1_14partition_implILS8_4ELb0ES6_15HIP_vector_typeIjLj2EENS0_17counting_iteratorIjlEEPS9_SG_NS0_5tupleIJPjSI_NS0_16reverse_iteratorISI_EEEEENSH_IJSG_SG_SG_EEES9_SI_JZNS1_25segmented_radix_sort_implINS0_14default_configELb0EPK12hip_bfloat16PSP_PKlPlN2at6native12_GLOBAL__N_18offset_tEEE10hipError_tPvRmT1_PNSt15iterator_traitsIS13_E10value_typeET2_T3_PNS14_IS19_E10value_typeET4_jRbjT5_S1F_jjP12ihipStream_tbEUljE_ZNSN_ISO_Lb0ESR_SS_SU_SV_SZ_EES10_S11_S12_S13_S17_S18_S19_S1C_S1D_jS1E_jS1F_S1F_jjS1H_bEUljE0_EEES10_S11_S12_S19_S1D_S1F_T6_T7_T9_mT8_S1H_bDpT10_ENKUlT_T0_E_clISt17integral_constantIbLb1EES1V_EEDaS1Q_S1R_EUlS1Q_E_NS1_11comp_targetILNS1_3genE5ELNS1_11target_archE942ELNS1_3gpuE9ELNS1_3repE0EEENS1_30default_config_static_selectorELNS0_4arch9wavefront6targetE1EEEvS13_.num_named_barrier, 0
	.set _ZN7rocprim17ROCPRIM_400000_NS6detail17trampoline_kernelINS0_13select_configILj256ELj13ELNS0_17block_load_methodE3ELS4_3ELS4_3ELNS0_20block_scan_algorithmE0ELj4294967295EEENS1_25partition_config_selectorILNS1_17partition_subalgoE4EjNS0_10empty_typeEbEEZZNS1_14partition_implILS8_4ELb0ES6_15HIP_vector_typeIjLj2EENS0_17counting_iteratorIjlEEPS9_SG_NS0_5tupleIJPjSI_NS0_16reverse_iteratorISI_EEEEENSH_IJSG_SG_SG_EEES9_SI_JZNS1_25segmented_radix_sort_implINS0_14default_configELb0EPK12hip_bfloat16PSP_PKlPlN2at6native12_GLOBAL__N_18offset_tEEE10hipError_tPvRmT1_PNSt15iterator_traitsIS13_E10value_typeET2_T3_PNS14_IS19_E10value_typeET4_jRbjT5_S1F_jjP12ihipStream_tbEUljE_ZNSN_ISO_Lb0ESR_SS_SU_SV_SZ_EES10_S11_S12_S13_S17_S18_S19_S1C_S1D_jS1E_jS1F_S1F_jjS1H_bEUljE0_EEES10_S11_S12_S19_S1D_S1F_T6_T7_T9_mT8_S1H_bDpT10_ENKUlT_T0_E_clISt17integral_constantIbLb1EES1V_EEDaS1Q_S1R_EUlS1Q_E_NS1_11comp_targetILNS1_3genE5ELNS1_11target_archE942ELNS1_3gpuE9ELNS1_3repE0EEENS1_30default_config_static_selectorELNS0_4arch9wavefront6targetE1EEEvS13_.private_seg_size, 0
	.set _ZN7rocprim17ROCPRIM_400000_NS6detail17trampoline_kernelINS0_13select_configILj256ELj13ELNS0_17block_load_methodE3ELS4_3ELS4_3ELNS0_20block_scan_algorithmE0ELj4294967295EEENS1_25partition_config_selectorILNS1_17partition_subalgoE4EjNS0_10empty_typeEbEEZZNS1_14partition_implILS8_4ELb0ES6_15HIP_vector_typeIjLj2EENS0_17counting_iteratorIjlEEPS9_SG_NS0_5tupleIJPjSI_NS0_16reverse_iteratorISI_EEEEENSH_IJSG_SG_SG_EEES9_SI_JZNS1_25segmented_radix_sort_implINS0_14default_configELb0EPK12hip_bfloat16PSP_PKlPlN2at6native12_GLOBAL__N_18offset_tEEE10hipError_tPvRmT1_PNSt15iterator_traitsIS13_E10value_typeET2_T3_PNS14_IS19_E10value_typeET4_jRbjT5_S1F_jjP12ihipStream_tbEUljE_ZNSN_ISO_Lb0ESR_SS_SU_SV_SZ_EES10_S11_S12_S13_S17_S18_S19_S1C_S1D_jS1E_jS1F_S1F_jjS1H_bEUljE0_EEES10_S11_S12_S19_S1D_S1F_T6_T7_T9_mT8_S1H_bDpT10_ENKUlT_T0_E_clISt17integral_constantIbLb1EES1V_EEDaS1Q_S1R_EUlS1Q_E_NS1_11comp_targetILNS1_3genE5ELNS1_11target_archE942ELNS1_3gpuE9ELNS1_3repE0EEENS1_30default_config_static_selectorELNS0_4arch9wavefront6targetE1EEEvS13_.uses_vcc, 0
	.set _ZN7rocprim17ROCPRIM_400000_NS6detail17trampoline_kernelINS0_13select_configILj256ELj13ELNS0_17block_load_methodE3ELS4_3ELS4_3ELNS0_20block_scan_algorithmE0ELj4294967295EEENS1_25partition_config_selectorILNS1_17partition_subalgoE4EjNS0_10empty_typeEbEEZZNS1_14partition_implILS8_4ELb0ES6_15HIP_vector_typeIjLj2EENS0_17counting_iteratorIjlEEPS9_SG_NS0_5tupleIJPjSI_NS0_16reverse_iteratorISI_EEEEENSH_IJSG_SG_SG_EEES9_SI_JZNS1_25segmented_radix_sort_implINS0_14default_configELb0EPK12hip_bfloat16PSP_PKlPlN2at6native12_GLOBAL__N_18offset_tEEE10hipError_tPvRmT1_PNSt15iterator_traitsIS13_E10value_typeET2_T3_PNS14_IS19_E10value_typeET4_jRbjT5_S1F_jjP12ihipStream_tbEUljE_ZNSN_ISO_Lb0ESR_SS_SU_SV_SZ_EES10_S11_S12_S13_S17_S18_S19_S1C_S1D_jS1E_jS1F_S1F_jjS1H_bEUljE0_EEES10_S11_S12_S19_S1D_S1F_T6_T7_T9_mT8_S1H_bDpT10_ENKUlT_T0_E_clISt17integral_constantIbLb1EES1V_EEDaS1Q_S1R_EUlS1Q_E_NS1_11comp_targetILNS1_3genE5ELNS1_11target_archE942ELNS1_3gpuE9ELNS1_3repE0EEENS1_30default_config_static_selectorELNS0_4arch9wavefront6targetE1EEEvS13_.uses_flat_scratch, 0
	.set _ZN7rocprim17ROCPRIM_400000_NS6detail17trampoline_kernelINS0_13select_configILj256ELj13ELNS0_17block_load_methodE3ELS4_3ELS4_3ELNS0_20block_scan_algorithmE0ELj4294967295EEENS1_25partition_config_selectorILNS1_17partition_subalgoE4EjNS0_10empty_typeEbEEZZNS1_14partition_implILS8_4ELb0ES6_15HIP_vector_typeIjLj2EENS0_17counting_iteratorIjlEEPS9_SG_NS0_5tupleIJPjSI_NS0_16reverse_iteratorISI_EEEEENSH_IJSG_SG_SG_EEES9_SI_JZNS1_25segmented_radix_sort_implINS0_14default_configELb0EPK12hip_bfloat16PSP_PKlPlN2at6native12_GLOBAL__N_18offset_tEEE10hipError_tPvRmT1_PNSt15iterator_traitsIS13_E10value_typeET2_T3_PNS14_IS19_E10value_typeET4_jRbjT5_S1F_jjP12ihipStream_tbEUljE_ZNSN_ISO_Lb0ESR_SS_SU_SV_SZ_EES10_S11_S12_S13_S17_S18_S19_S1C_S1D_jS1E_jS1F_S1F_jjS1H_bEUljE0_EEES10_S11_S12_S19_S1D_S1F_T6_T7_T9_mT8_S1H_bDpT10_ENKUlT_T0_E_clISt17integral_constantIbLb1EES1V_EEDaS1Q_S1R_EUlS1Q_E_NS1_11comp_targetILNS1_3genE5ELNS1_11target_archE942ELNS1_3gpuE9ELNS1_3repE0EEENS1_30default_config_static_selectorELNS0_4arch9wavefront6targetE1EEEvS13_.has_dyn_sized_stack, 0
	.set _ZN7rocprim17ROCPRIM_400000_NS6detail17trampoline_kernelINS0_13select_configILj256ELj13ELNS0_17block_load_methodE3ELS4_3ELS4_3ELNS0_20block_scan_algorithmE0ELj4294967295EEENS1_25partition_config_selectorILNS1_17partition_subalgoE4EjNS0_10empty_typeEbEEZZNS1_14partition_implILS8_4ELb0ES6_15HIP_vector_typeIjLj2EENS0_17counting_iteratorIjlEEPS9_SG_NS0_5tupleIJPjSI_NS0_16reverse_iteratorISI_EEEEENSH_IJSG_SG_SG_EEES9_SI_JZNS1_25segmented_radix_sort_implINS0_14default_configELb0EPK12hip_bfloat16PSP_PKlPlN2at6native12_GLOBAL__N_18offset_tEEE10hipError_tPvRmT1_PNSt15iterator_traitsIS13_E10value_typeET2_T3_PNS14_IS19_E10value_typeET4_jRbjT5_S1F_jjP12ihipStream_tbEUljE_ZNSN_ISO_Lb0ESR_SS_SU_SV_SZ_EES10_S11_S12_S13_S17_S18_S19_S1C_S1D_jS1E_jS1F_S1F_jjS1H_bEUljE0_EEES10_S11_S12_S19_S1D_S1F_T6_T7_T9_mT8_S1H_bDpT10_ENKUlT_T0_E_clISt17integral_constantIbLb1EES1V_EEDaS1Q_S1R_EUlS1Q_E_NS1_11comp_targetILNS1_3genE5ELNS1_11target_archE942ELNS1_3gpuE9ELNS1_3repE0EEENS1_30default_config_static_selectorELNS0_4arch9wavefront6targetE1EEEvS13_.has_recursion, 0
	.set _ZN7rocprim17ROCPRIM_400000_NS6detail17trampoline_kernelINS0_13select_configILj256ELj13ELNS0_17block_load_methodE3ELS4_3ELS4_3ELNS0_20block_scan_algorithmE0ELj4294967295EEENS1_25partition_config_selectorILNS1_17partition_subalgoE4EjNS0_10empty_typeEbEEZZNS1_14partition_implILS8_4ELb0ES6_15HIP_vector_typeIjLj2EENS0_17counting_iteratorIjlEEPS9_SG_NS0_5tupleIJPjSI_NS0_16reverse_iteratorISI_EEEEENSH_IJSG_SG_SG_EEES9_SI_JZNS1_25segmented_radix_sort_implINS0_14default_configELb0EPK12hip_bfloat16PSP_PKlPlN2at6native12_GLOBAL__N_18offset_tEEE10hipError_tPvRmT1_PNSt15iterator_traitsIS13_E10value_typeET2_T3_PNS14_IS19_E10value_typeET4_jRbjT5_S1F_jjP12ihipStream_tbEUljE_ZNSN_ISO_Lb0ESR_SS_SU_SV_SZ_EES10_S11_S12_S13_S17_S18_S19_S1C_S1D_jS1E_jS1F_S1F_jjS1H_bEUljE0_EEES10_S11_S12_S19_S1D_S1F_T6_T7_T9_mT8_S1H_bDpT10_ENKUlT_T0_E_clISt17integral_constantIbLb1EES1V_EEDaS1Q_S1R_EUlS1Q_E_NS1_11comp_targetILNS1_3genE5ELNS1_11target_archE942ELNS1_3gpuE9ELNS1_3repE0EEENS1_30default_config_static_selectorELNS0_4arch9wavefront6targetE1EEEvS13_.has_indirect_call, 0
	.section	.AMDGPU.csdata,"",@progbits
; Kernel info:
; codeLenInByte = 0
; TotalNumSgprs: 4
; NumVgprs: 0
; ScratchSize: 0
; MemoryBound: 0
; FloatMode: 240
; IeeeMode: 1
; LDSByteSize: 0 bytes/workgroup (compile time only)
; SGPRBlocks: 0
; VGPRBlocks: 0
; NumSGPRsForWavesPerEU: 4
; NumVGPRsForWavesPerEU: 1
; Occupancy: 10
; WaveLimiterHint : 0
; COMPUTE_PGM_RSRC2:SCRATCH_EN: 0
; COMPUTE_PGM_RSRC2:USER_SGPR: 6
; COMPUTE_PGM_RSRC2:TRAP_HANDLER: 0
; COMPUTE_PGM_RSRC2:TGID_X_EN: 1
; COMPUTE_PGM_RSRC2:TGID_Y_EN: 0
; COMPUTE_PGM_RSRC2:TGID_Z_EN: 0
; COMPUTE_PGM_RSRC2:TIDIG_COMP_CNT: 0
	.section	.text._ZN7rocprim17ROCPRIM_400000_NS6detail17trampoline_kernelINS0_13select_configILj256ELj13ELNS0_17block_load_methodE3ELS4_3ELS4_3ELNS0_20block_scan_algorithmE0ELj4294967295EEENS1_25partition_config_selectorILNS1_17partition_subalgoE4EjNS0_10empty_typeEbEEZZNS1_14partition_implILS8_4ELb0ES6_15HIP_vector_typeIjLj2EENS0_17counting_iteratorIjlEEPS9_SG_NS0_5tupleIJPjSI_NS0_16reverse_iteratorISI_EEEEENSH_IJSG_SG_SG_EEES9_SI_JZNS1_25segmented_radix_sort_implINS0_14default_configELb0EPK12hip_bfloat16PSP_PKlPlN2at6native12_GLOBAL__N_18offset_tEEE10hipError_tPvRmT1_PNSt15iterator_traitsIS13_E10value_typeET2_T3_PNS14_IS19_E10value_typeET4_jRbjT5_S1F_jjP12ihipStream_tbEUljE_ZNSN_ISO_Lb0ESR_SS_SU_SV_SZ_EES10_S11_S12_S13_S17_S18_S19_S1C_S1D_jS1E_jS1F_S1F_jjS1H_bEUljE0_EEES10_S11_S12_S19_S1D_S1F_T6_T7_T9_mT8_S1H_bDpT10_ENKUlT_T0_E_clISt17integral_constantIbLb1EES1V_EEDaS1Q_S1R_EUlS1Q_E_NS1_11comp_targetILNS1_3genE4ELNS1_11target_archE910ELNS1_3gpuE8ELNS1_3repE0EEENS1_30default_config_static_selectorELNS0_4arch9wavefront6targetE1EEEvS13_,"axG",@progbits,_ZN7rocprim17ROCPRIM_400000_NS6detail17trampoline_kernelINS0_13select_configILj256ELj13ELNS0_17block_load_methodE3ELS4_3ELS4_3ELNS0_20block_scan_algorithmE0ELj4294967295EEENS1_25partition_config_selectorILNS1_17partition_subalgoE4EjNS0_10empty_typeEbEEZZNS1_14partition_implILS8_4ELb0ES6_15HIP_vector_typeIjLj2EENS0_17counting_iteratorIjlEEPS9_SG_NS0_5tupleIJPjSI_NS0_16reverse_iteratorISI_EEEEENSH_IJSG_SG_SG_EEES9_SI_JZNS1_25segmented_radix_sort_implINS0_14default_configELb0EPK12hip_bfloat16PSP_PKlPlN2at6native12_GLOBAL__N_18offset_tEEE10hipError_tPvRmT1_PNSt15iterator_traitsIS13_E10value_typeET2_T3_PNS14_IS19_E10value_typeET4_jRbjT5_S1F_jjP12ihipStream_tbEUljE_ZNSN_ISO_Lb0ESR_SS_SU_SV_SZ_EES10_S11_S12_S13_S17_S18_S19_S1C_S1D_jS1E_jS1F_S1F_jjS1H_bEUljE0_EEES10_S11_S12_S19_S1D_S1F_T6_T7_T9_mT8_S1H_bDpT10_ENKUlT_T0_E_clISt17integral_constantIbLb1EES1V_EEDaS1Q_S1R_EUlS1Q_E_NS1_11comp_targetILNS1_3genE4ELNS1_11target_archE910ELNS1_3gpuE8ELNS1_3repE0EEENS1_30default_config_static_selectorELNS0_4arch9wavefront6targetE1EEEvS13_,comdat
	.globl	_ZN7rocprim17ROCPRIM_400000_NS6detail17trampoline_kernelINS0_13select_configILj256ELj13ELNS0_17block_load_methodE3ELS4_3ELS4_3ELNS0_20block_scan_algorithmE0ELj4294967295EEENS1_25partition_config_selectorILNS1_17partition_subalgoE4EjNS0_10empty_typeEbEEZZNS1_14partition_implILS8_4ELb0ES6_15HIP_vector_typeIjLj2EENS0_17counting_iteratorIjlEEPS9_SG_NS0_5tupleIJPjSI_NS0_16reverse_iteratorISI_EEEEENSH_IJSG_SG_SG_EEES9_SI_JZNS1_25segmented_radix_sort_implINS0_14default_configELb0EPK12hip_bfloat16PSP_PKlPlN2at6native12_GLOBAL__N_18offset_tEEE10hipError_tPvRmT1_PNSt15iterator_traitsIS13_E10value_typeET2_T3_PNS14_IS19_E10value_typeET4_jRbjT5_S1F_jjP12ihipStream_tbEUljE_ZNSN_ISO_Lb0ESR_SS_SU_SV_SZ_EES10_S11_S12_S13_S17_S18_S19_S1C_S1D_jS1E_jS1F_S1F_jjS1H_bEUljE0_EEES10_S11_S12_S19_S1D_S1F_T6_T7_T9_mT8_S1H_bDpT10_ENKUlT_T0_E_clISt17integral_constantIbLb1EES1V_EEDaS1Q_S1R_EUlS1Q_E_NS1_11comp_targetILNS1_3genE4ELNS1_11target_archE910ELNS1_3gpuE8ELNS1_3repE0EEENS1_30default_config_static_selectorELNS0_4arch9wavefront6targetE1EEEvS13_ ; -- Begin function _ZN7rocprim17ROCPRIM_400000_NS6detail17trampoline_kernelINS0_13select_configILj256ELj13ELNS0_17block_load_methodE3ELS4_3ELS4_3ELNS0_20block_scan_algorithmE0ELj4294967295EEENS1_25partition_config_selectorILNS1_17partition_subalgoE4EjNS0_10empty_typeEbEEZZNS1_14partition_implILS8_4ELb0ES6_15HIP_vector_typeIjLj2EENS0_17counting_iteratorIjlEEPS9_SG_NS0_5tupleIJPjSI_NS0_16reverse_iteratorISI_EEEEENSH_IJSG_SG_SG_EEES9_SI_JZNS1_25segmented_radix_sort_implINS0_14default_configELb0EPK12hip_bfloat16PSP_PKlPlN2at6native12_GLOBAL__N_18offset_tEEE10hipError_tPvRmT1_PNSt15iterator_traitsIS13_E10value_typeET2_T3_PNS14_IS19_E10value_typeET4_jRbjT5_S1F_jjP12ihipStream_tbEUljE_ZNSN_ISO_Lb0ESR_SS_SU_SV_SZ_EES10_S11_S12_S13_S17_S18_S19_S1C_S1D_jS1E_jS1F_S1F_jjS1H_bEUljE0_EEES10_S11_S12_S19_S1D_S1F_T6_T7_T9_mT8_S1H_bDpT10_ENKUlT_T0_E_clISt17integral_constantIbLb1EES1V_EEDaS1Q_S1R_EUlS1Q_E_NS1_11comp_targetILNS1_3genE4ELNS1_11target_archE910ELNS1_3gpuE8ELNS1_3repE0EEENS1_30default_config_static_selectorELNS0_4arch9wavefront6targetE1EEEvS13_
	.p2align	8
	.type	_ZN7rocprim17ROCPRIM_400000_NS6detail17trampoline_kernelINS0_13select_configILj256ELj13ELNS0_17block_load_methodE3ELS4_3ELS4_3ELNS0_20block_scan_algorithmE0ELj4294967295EEENS1_25partition_config_selectorILNS1_17partition_subalgoE4EjNS0_10empty_typeEbEEZZNS1_14partition_implILS8_4ELb0ES6_15HIP_vector_typeIjLj2EENS0_17counting_iteratorIjlEEPS9_SG_NS0_5tupleIJPjSI_NS0_16reverse_iteratorISI_EEEEENSH_IJSG_SG_SG_EEES9_SI_JZNS1_25segmented_radix_sort_implINS0_14default_configELb0EPK12hip_bfloat16PSP_PKlPlN2at6native12_GLOBAL__N_18offset_tEEE10hipError_tPvRmT1_PNSt15iterator_traitsIS13_E10value_typeET2_T3_PNS14_IS19_E10value_typeET4_jRbjT5_S1F_jjP12ihipStream_tbEUljE_ZNSN_ISO_Lb0ESR_SS_SU_SV_SZ_EES10_S11_S12_S13_S17_S18_S19_S1C_S1D_jS1E_jS1F_S1F_jjS1H_bEUljE0_EEES10_S11_S12_S19_S1D_S1F_T6_T7_T9_mT8_S1H_bDpT10_ENKUlT_T0_E_clISt17integral_constantIbLb1EES1V_EEDaS1Q_S1R_EUlS1Q_E_NS1_11comp_targetILNS1_3genE4ELNS1_11target_archE910ELNS1_3gpuE8ELNS1_3repE0EEENS1_30default_config_static_selectorELNS0_4arch9wavefront6targetE1EEEvS13_,@function
_ZN7rocprim17ROCPRIM_400000_NS6detail17trampoline_kernelINS0_13select_configILj256ELj13ELNS0_17block_load_methodE3ELS4_3ELS4_3ELNS0_20block_scan_algorithmE0ELj4294967295EEENS1_25partition_config_selectorILNS1_17partition_subalgoE4EjNS0_10empty_typeEbEEZZNS1_14partition_implILS8_4ELb0ES6_15HIP_vector_typeIjLj2EENS0_17counting_iteratorIjlEEPS9_SG_NS0_5tupleIJPjSI_NS0_16reverse_iteratorISI_EEEEENSH_IJSG_SG_SG_EEES9_SI_JZNS1_25segmented_radix_sort_implINS0_14default_configELb0EPK12hip_bfloat16PSP_PKlPlN2at6native12_GLOBAL__N_18offset_tEEE10hipError_tPvRmT1_PNSt15iterator_traitsIS13_E10value_typeET2_T3_PNS14_IS19_E10value_typeET4_jRbjT5_S1F_jjP12ihipStream_tbEUljE_ZNSN_ISO_Lb0ESR_SS_SU_SV_SZ_EES10_S11_S12_S13_S17_S18_S19_S1C_S1D_jS1E_jS1F_S1F_jjS1H_bEUljE0_EEES10_S11_S12_S19_S1D_S1F_T6_T7_T9_mT8_S1H_bDpT10_ENKUlT_T0_E_clISt17integral_constantIbLb1EES1V_EEDaS1Q_S1R_EUlS1Q_E_NS1_11comp_targetILNS1_3genE4ELNS1_11target_archE910ELNS1_3gpuE8ELNS1_3repE0EEENS1_30default_config_static_selectorELNS0_4arch9wavefront6targetE1EEEvS13_: ; @_ZN7rocprim17ROCPRIM_400000_NS6detail17trampoline_kernelINS0_13select_configILj256ELj13ELNS0_17block_load_methodE3ELS4_3ELS4_3ELNS0_20block_scan_algorithmE0ELj4294967295EEENS1_25partition_config_selectorILNS1_17partition_subalgoE4EjNS0_10empty_typeEbEEZZNS1_14partition_implILS8_4ELb0ES6_15HIP_vector_typeIjLj2EENS0_17counting_iteratorIjlEEPS9_SG_NS0_5tupleIJPjSI_NS0_16reverse_iteratorISI_EEEEENSH_IJSG_SG_SG_EEES9_SI_JZNS1_25segmented_radix_sort_implINS0_14default_configELb0EPK12hip_bfloat16PSP_PKlPlN2at6native12_GLOBAL__N_18offset_tEEE10hipError_tPvRmT1_PNSt15iterator_traitsIS13_E10value_typeET2_T3_PNS14_IS19_E10value_typeET4_jRbjT5_S1F_jjP12ihipStream_tbEUljE_ZNSN_ISO_Lb0ESR_SS_SU_SV_SZ_EES10_S11_S12_S13_S17_S18_S19_S1C_S1D_jS1E_jS1F_S1F_jjS1H_bEUljE0_EEES10_S11_S12_S19_S1D_S1F_T6_T7_T9_mT8_S1H_bDpT10_ENKUlT_T0_E_clISt17integral_constantIbLb1EES1V_EEDaS1Q_S1R_EUlS1Q_E_NS1_11comp_targetILNS1_3genE4ELNS1_11target_archE910ELNS1_3gpuE8ELNS1_3repE0EEENS1_30default_config_static_selectorELNS0_4arch9wavefront6targetE1EEEvS13_
; %bb.0:
	.section	.rodata,"a",@progbits
	.p2align	6, 0x0
	.amdhsa_kernel _ZN7rocprim17ROCPRIM_400000_NS6detail17trampoline_kernelINS0_13select_configILj256ELj13ELNS0_17block_load_methodE3ELS4_3ELS4_3ELNS0_20block_scan_algorithmE0ELj4294967295EEENS1_25partition_config_selectorILNS1_17partition_subalgoE4EjNS0_10empty_typeEbEEZZNS1_14partition_implILS8_4ELb0ES6_15HIP_vector_typeIjLj2EENS0_17counting_iteratorIjlEEPS9_SG_NS0_5tupleIJPjSI_NS0_16reverse_iteratorISI_EEEEENSH_IJSG_SG_SG_EEES9_SI_JZNS1_25segmented_radix_sort_implINS0_14default_configELb0EPK12hip_bfloat16PSP_PKlPlN2at6native12_GLOBAL__N_18offset_tEEE10hipError_tPvRmT1_PNSt15iterator_traitsIS13_E10value_typeET2_T3_PNS14_IS19_E10value_typeET4_jRbjT5_S1F_jjP12ihipStream_tbEUljE_ZNSN_ISO_Lb0ESR_SS_SU_SV_SZ_EES10_S11_S12_S13_S17_S18_S19_S1C_S1D_jS1E_jS1F_S1F_jjS1H_bEUljE0_EEES10_S11_S12_S19_S1D_S1F_T6_T7_T9_mT8_S1H_bDpT10_ENKUlT_T0_E_clISt17integral_constantIbLb1EES1V_EEDaS1Q_S1R_EUlS1Q_E_NS1_11comp_targetILNS1_3genE4ELNS1_11target_archE910ELNS1_3gpuE8ELNS1_3repE0EEENS1_30default_config_static_selectorELNS0_4arch9wavefront6targetE1EEEvS13_
		.amdhsa_group_segment_fixed_size 0
		.amdhsa_private_segment_fixed_size 0
		.amdhsa_kernarg_size 184
		.amdhsa_user_sgpr_count 6
		.amdhsa_user_sgpr_private_segment_buffer 1
		.amdhsa_user_sgpr_dispatch_ptr 0
		.amdhsa_user_sgpr_queue_ptr 0
		.amdhsa_user_sgpr_kernarg_segment_ptr 1
		.amdhsa_user_sgpr_dispatch_id 0
		.amdhsa_user_sgpr_flat_scratch_init 0
		.amdhsa_user_sgpr_private_segment_size 0
		.amdhsa_uses_dynamic_stack 0
		.amdhsa_system_sgpr_private_segment_wavefront_offset 0
		.amdhsa_system_sgpr_workgroup_id_x 1
		.amdhsa_system_sgpr_workgroup_id_y 0
		.amdhsa_system_sgpr_workgroup_id_z 0
		.amdhsa_system_sgpr_workgroup_info 0
		.amdhsa_system_vgpr_workitem_id 0
		.amdhsa_next_free_vgpr 1
		.amdhsa_next_free_sgpr 0
		.amdhsa_reserve_vcc 0
		.amdhsa_reserve_flat_scratch 0
		.amdhsa_float_round_mode_32 0
		.amdhsa_float_round_mode_16_64 0
		.amdhsa_float_denorm_mode_32 3
		.amdhsa_float_denorm_mode_16_64 3
		.amdhsa_dx10_clamp 1
		.amdhsa_ieee_mode 1
		.amdhsa_fp16_overflow 0
		.amdhsa_exception_fp_ieee_invalid_op 0
		.amdhsa_exception_fp_denorm_src 0
		.amdhsa_exception_fp_ieee_div_zero 0
		.amdhsa_exception_fp_ieee_overflow 0
		.amdhsa_exception_fp_ieee_underflow 0
		.amdhsa_exception_fp_ieee_inexact 0
		.amdhsa_exception_int_div_zero 0
	.end_amdhsa_kernel
	.section	.text._ZN7rocprim17ROCPRIM_400000_NS6detail17trampoline_kernelINS0_13select_configILj256ELj13ELNS0_17block_load_methodE3ELS4_3ELS4_3ELNS0_20block_scan_algorithmE0ELj4294967295EEENS1_25partition_config_selectorILNS1_17partition_subalgoE4EjNS0_10empty_typeEbEEZZNS1_14partition_implILS8_4ELb0ES6_15HIP_vector_typeIjLj2EENS0_17counting_iteratorIjlEEPS9_SG_NS0_5tupleIJPjSI_NS0_16reverse_iteratorISI_EEEEENSH_IJSG_SG_SG_EEES9_SI_JZNS1_25segmented_radix_sort_implINS0_14default_configELb0EPK12hip_bfloat16PSP_PKlPlN2at6native12_GLOBAL__N_18offset_tEEE10hipError_tPvRmT1_PNSt15iterator_traitsIS13_E10value_typeET2_T3_PNS14_IS19_E10value_typeET4_jRbjT5_S1F_jjP12ihipStream_tbEUljE_ZNSN_ISO_Lb0ESR_SS_SU_SV_SZ_EES10_S11_S12_S13_S17_S18_S19_S1C_S1D_jS1E_jS1F_S1F_jjS1H_bEUljE0_EEES10_S11_S12_S19_S1D_S1F_T6_T7_T9_mT8_S1H_bDpT10_ENKUlT_T0_E_clISt17integral_constantIbLb1EES1V_EEDaS1Q_S1R_EUlS1Q_E_NS1_11comp_targetILNS1_3genE4ELNS1_11target_archE910ELNS1_3gpuE8ELNS1_3repE0EEENS1_30default_config_static_selectorELNS0_4arch9wavefront6targetE1EEEvS13_,"axG",@progbits,_ZN7rocprim17ROCPRIM_400000_NS6detail17trampoline_kernelINS0_13select_configILj256ELj13ELNS0_17block_load_methodE3ELS4_3ELS4_3ELNS0_20block_scan_algorithmE0ELj4294967295EEENS1_25partition_config_selectorILNS1_17partition_subalgoE4EjNS0_10empty_typeEbEEZZNS1_14partition_implILS8_4ELb0ES6_15HIP_vector_typeIjLj2EENS0_17counting_iteratorIjlEEPS9_SG_NS0_5tupleIJPjSI_NS0_16reverse_iteratorISI_EEEEENSH_IJSG_SG_SG_EEES9_SI_JZNS1_25segmented_radix_sort_implINS0_14default_configELb0EPK12hip_bfloat16PSP_PKlPlN2at6native12_GLOBAL__N_18offset_tEEE10hipError_tPvRmT1_PNSt15iterator_traitsIS13_E10value_typeET2_T3_PNS14_IS19_E10value_typeET4_jRbjT5_S1F_jjP12ihipStream_tbEUljE_ZNSN_ISO_Lb0ESR_SS_SU_SV_SZ_EES10_S11_S12_S13_S17_S18_S19_S1C_S1D_jS1E_jS1F_S1F_jjS1H_bEUljE0_EEES10_S11_S12_S19_S1D_S1F_T6_T7_T9_mT8_S1H_bDpT10_ENKUlT_T0_E_clISt17integral_constantIbLb1EES1V_EEDaS1Q_S1R_EUlS1Q_E_NS1_11comp_targetILNS1_3genE4ELNS1_11target_archE910ELNS1_3gpuE8ELNS1_3repE0EEENS1_30default_config_static_selectorELNS0_4arch9wavefront6targetE1EEEvS13_,comdat
.Lfunc_end1995:
	.size	_ZN7rocprim17ROCPRIM_400000_NS6detail17trampoline_kernelINS0_13select_configILj256ELj13ELNS0_17block_load_methodE3ELS4_3ELS4_3ELNS0_20block_scan_algorithmE0ELj4294967295EEENS1_25partition_config_selectorILNS1_17partition_subalgoE4EjNS0_10empty_typeEbEEZZNS1_14partition_implILS8_4ELb0ES6_15HIP_vector_typeIjLj2EENS0_17counting_iteratorIjlEEPS9_SG_NS0_5tupleIJPjSI_NS0_16reverse_iteratorISI_EEEEENSH_IJSG_SG_SG_EEES9_SI_JZNS1_25segmented_radix_sort_implINS0_14default_configELb0EPK12hip_bfloat16PSP_PKlPlN2at6native12_GLOBAL__N_18offset_tEEE10hipError_tPvRmT1_PNSt15iterator_traitsIS13_E10value_typeET2_T3_PNS14_IS19_E10value_typeET4_jRbjT5_S1F_jjP12ihipStream_tbEUljE_ZNSN_ISO_Lb0ESR_SS_SU_SV_SZ_EES10_S11_S12_S13_S17_S18_S19_S1C_S1D_jS1E_jS1F_S1F_jjS1H_bEUljE0_EEES10_S11_S12_S19_S1D_S1F_T6_T7_T9_mT8_S1H_bDpT10_ENKUlT_T0_E_clISt17integral_constantIbLb1EES1V_EEDaS1Q_S1R_EUlS1Q_E_NS1_11comp_targetILNS1_3genE4ELNS1_11target_archE910ELNS1_3gpuE8ELNS1_3repE0EEENS1_30default_config_static_selectorELNS0_4arch9wavefront6targetE1EEEvS13_, .Lfunc_end1995-_ZN7rocprim17ROCPRIM_400000_NS6detail17trampoline_kernelINS0_13select_configILj256ELj13ELNS0_17block_load_methodE3ELS4_3ELS4_3ELNS0_20block_scan_algorithmE0ELj4294967295EEENS1_25partition_config_selectorILNS1_17partition_subalgoE4EjNS0_10empty_typeEbEEZZNS1_14partition_implILS8_4ELb0ES6_15HIP_vector_typeIjLj2EENS0_17counting_iteratorIjlEEPS9_SG_NS0_5tupleIJPjSI_NS0_16reverse_iteratorISI_EEEEENSH_IJSG_SG_SG_EEES9_SI_JZNS1_25segmented_radix_sort_implINS0_14default_configELb0EPK12hip_bfloat16PSP_PKlPlN2at6native12_GLOBAL__N_18offset_tEEE10hipError_tPvRmT1_PNSt15iterator_traitsIS13_E10value_typeET2_T3_PNS14_IS19_E10value_typeET4_jRbjT5_S1F_jjP12ihipStream_tbEUljE_ZNSN_ISO_Lb0ESR_SS_SU_SV_SZ_EES10_S11_S12_S13_S17_S18_S19_S1C_S1D_jS1E_jS1F_S1F_jjS1H_bEUljE0_EEES10_S11_S12_S19_S1D_S1F_T6_T7_T9_mT8_S1H_bDpT10_ENKUlT_T0_E_clISt17integral_constantIbLb1EES1V_EEDaS1Q_S1R_EUlS1Q_E_NS1_11comp_targetILNS1_3genE4ELNS1_11target_archE910ELNS1_3gpuE8ELNS1_3repE0EEENS1_30default_config_static_selectorELNS0_4arch9wavefront6targetE1EEEvS13_
                                        ; -- End function
	.set _ZN7rocprim17ROCPRIM_400000_NS6detail17trampoline_kernelINS0_13select_configILj256ELj13ELNS0_17block_load_methodE3ELS4_3ELS4_3ELNS0_20block_scan_algorithmE0ELj4294967295EEENS1_25partition_config_selectorILNS1_17partition_subalgoE4EjNS0_10empty_typeEbEEZZNS1_14partition_implILS8_4ELb0ES6_15HIP_vector_typeIjLj2EENS0_17counting_iteratorIjlEEPS9_SG_NS0_5tupleIJPjSI_NS0_16reverse_iteratorISI_EEEEENSH_IJSG_SG_SG_EEES9_SI_JZNS1_25segmented_radix_sort_implINS0_14default_configELb0EPK12hip_bfloat16PSP_PKlPlN2at6native12_GLOBAL__N_18offset_tEEE10hipError_tPvRmT1_PNSt15iterator_traitsIS13_E10value_typeET2_T3_PNS14_IS19_E10value_typeET4_jRbjT5_S1F_jjP12ihipStream_tbEUljE_ZNSN_ISO_Lb0ESR_SS_SU_SV_SZ_EES10_S11_S12_S13_S17_S18_S19_S1C_S1D_jS1E_jS1F_S1F_jjS1H_bEUljE0_EEES10_S11_S12_S19_S1D_S1F_T6_T7_T9_mT8_S1H_bDpT10_ENKUlT_T0_E_clISt17integral_constantIbLb1EES1V_EEDaS1Q_S1R_EUlS1Q_E_NS1_11comp_targetILNS1_3genE4ELNS1_11target_archE910ELNS1_3gpuE8ELNS1_3repE0EEENS1_30default_config_static_selectorELNS0_4arch9wavefront6targetE1EEEvS13_.num_vgpr, 0
	.set _ZN7rocprim17ROCPRIM_400000_NS6detail17trampoline_kernelINS0_13select_configILj256ELj13ELNS0_17block_load_methodE3ELS4_3ELS4_3ELNS0_20block_scan_algorithmE0ELj4294967295EEENS1_25partition_config_selectorILNS1_17partition_subalgoE4EjNS0_10empty_typeEbEEZZNS1_14partition_implILS8_4ELb0ES6_15HIP_vector_typeIjLj2EENS0_17counting_iteratorIjlEEPS9_SG_NS0_5tupleIJPjSI_NS0_16reverse_iteratorISI_EEEEENSH_IJSG_SG_SG_EEES9_SI_JZNS1_25segmented_radix_sort_implINS0_14default_configELb0EPK12hip_bfloat16PSP_PKlPlN2at6native12_GLOBAL__N_18offset_tEEE10hipError_tPvRmT1_PNSt15iterator_traitsIS13_E10value_typeET2_T3_PNS14_IS19_E10value_typeET4_jRbjT5_S1F_jjP12ihipStream_tbEUljE_ZNSN_ISO_Lb0ESR_SS_SU_SV_SZ_EES10_S11_S12_S13_S17_S18_S19_S1C_S1D_jS1E_jS1F_S1F_jjS1H_bEUljE0_EEES10_S11_S12_S19_S1D_S1F_T6_T7_T9_mT8_S1H_bDpT10_ENKUlT_T0_E_clISt17integral_constantIbLb1EES1V_EEDaS1Q_S1R_EUlS1Q_E_NS1_11comp_targetILNS1_3genE4ELNS1_11target_archE910ELNS1_3gpuE8ELNS1_3repE0EEENS1_30default_config_static_selectorELNS0_4arch9wavefront6targetE1EEEvS13_.num_agpr, 0
	.set _ZN7rocprim17ROCPRIM_400000_NS6detail17trampoline_kernelINS0_13select_configILj256ELj13ELNS0_17block_load_methodE3ELS4_3ELS4_3ELNS0_20block_scan_algorithmE0ELj4294967295EEENS1_25partition_config_selectorILNS1_17partition_subalgoE4EjNS0_10empty_typeEbEEZZNS1_14partition_implILS8_4ELb0ES6_15HIP_vector_typeIjLj2EENS0_17counting_iteratorIjlEEPS9_SG_NS0_5tupleIJPjSI_NS0_16reverse_iteratorISI_EEEEENSH_IJSG_SG_SG_EEES9_SI_JZNS1_25segmented_radix_sort_implINS0_14default_configELb0EPK12hip_bfloat16PSP_PKlPlN2at6native12_GLOBAL__N_18offset_tEEE10hipError_tPvRmT1_PNSt15iterator_traitsIS13_E10value_typeET2_T3_PNS14_IS19_E10value_typeET4_jRbjT5_S1F_jjP12ihipStream_tbEUljE_ZNSN_ISO_Lb0ESR_SS_SU_SV_SZ_EES10_S11_S12_S13_S17_S18_S19_S1C_S1D_jS1E_jS1F_S1F_jjS1H_bEUljE0_EEES10_S11_S12_S19_S1D_S1F_T6_T7_T9_mT8_S1H_bDpT10_ENKUlT_T0_E_clISt17integral_constantIbLb1EES1V_EEDaS1Q_S1R_EUlS1Q_E_NS1_11comp_targetILNS1_3genE4ELNS1_11target_archE910ELNS1_3gpuE8ELNS1_3repE0EEENS1_30default_config_static_selectorELNS0_4arch9wavefront6targetE1EEEvS13_.numbered_sgpr, 0
	.set _ZN7rocprim17ROCPRIM_400000_NS6detail17trampoline_kernelINS0_13select_configILj256ELj13ELNS0_17block_load_methodE3ELS4_3ELS4_3ELNS0_20block_scan_algorithmE0ELj4294967295EEENS1_25partition_config_selectorILNS1_17partition_subalgoE4EjNS0_10empty_typeEbEEZZNS1_14partition_implILS8_4ELb0ES6_15HIP_vector_typeIjLj2EENS0_17counting_iteratorIjlEEPS9_SG_NS0_5tupleIJPjSI_NS0_16reverse_iteratorISI_EEEEENSH_IJSG_SG_SG_EEES9_SI_JZNS1_25segmented_radix_sort_implINS0_14default_configELb0EPK12hip_bfloat16PSP_PKlPlN2at6native12_GLOBAL__N_18offset_tEEE10hipError_tPvRmT1_PNSt15iterator_traitsIS13_E10value_typeET2_T3_PNS14_IS19_E10value_typeET4_jRbjT5_S1F_jjP12ihipStream_tbEUljE_ZNSN_ISO_Lb0ESR_SS_SU_SV_SZ_EES10_S11_S12_S13_S17_S18_S19_S1C_S1D_jS1E_jS1F_S1F_jjS1H_bEUljE0_EEES10_S11_S12_S19_S1D_S1F_T6_T7_T9_mT8_S1H_bDpT10_ENKUlT_T0_E_clISt17integral_constantIbLb1EES1V_EEDaS1Q_S1R_EUlS1Q_E_NS1_11comp_targetILNS1_3genE4ELNS1_11target_archE910ELNS1_3gpuE8ELNS1_3repE0EEENS1_30default_config_static_selectorELNS0_4arch9wavefront6targetE1EEEvS13_.num_named_barrier, 0
	.set _ZN7rocprim17ROCPRIM_400000_NS6detail17trampoline_kernelINS0_13select_configILj256ELj13ELNS0_17block_load_methodE3ELS4_3ELS4_3ELNS0_20block_scan_algorithmE0ELj4294967295EEENS1_25partition_config_selectorILNS1_17partition_subalgoE4EjNS0_10empty_typeEbEEZZNS1_14partition_implILS8_4ELb0ES6_15HIP_vector_typeIjLj2EENS0_17counting_iteratorIjlEEPS9_SG_NS0_5tupleIJPjSI_NS0_16reverse_iteratorISI_EEEEENSH_IJSG_SG_SG_EEES9_SI_JZNS1_25segmented_radix_sort_implINS0_14default_configELb0EPK12hip_bfloat16PSP_PKlPlN2at6native12_GLOBAL__N_18offset_tEEE10hipError_tPvRmT1_PNSt15iterator_traitsIS13_E10value_typeET2_T3_PNS14_IS19_E10value_typeET4_jRbjT5_S1F_jjP12ihipStream_tbEUljE_ZNSN_ISO_Lb0ESR_SS_SU_SV_SZ_EES10_S11_S12_S13_S17_S18_S19_S1C_S1D_jS1E_jS1F_S1F_jjS1H_bEUljE0_EEES10_S11_S12_S19_S1D_S1F_T6_T7_T9_mT8_S1H_bDpT10_ENKUlT_T0_E_clISt17integral_constantIbLb1EES1V_EEDaS1Q_S1R_EUlS1Q_E_NS1_11comp_targetILNS1_3genE4ELNS1_11target_archE910ELNS1_3gpuE8ELNS1_3repE0EEENS1_30default_config_static_selectorELNS0_4arch9wavefront6targetE1EEEvS13_.private_seg_size, 0
	.set _ZN7rocprim17ROCPRIM_400000_NS6detail17trampoline_kernelINS0_13select_configILj256ELj13ELNS0_17block_load_methodE3ELS4_3ELS4_3ELNS0_20block_scan_algorithmE0ELj4294967295EEENS1_25partition_config_selectorILNS1_17partition_subalgoE4EjNS0_10empty_typeEbEEZZNS1_14partition_implILS8_4ELb0ES6_15HIP_vector_typeIjLj2EENS0_17counting_iteratorIjlEEPS9_SG_NS0_5tupleIJPjSI_NS0_16reverse_iteratorISI_EEEEENSH_IJSG_SG_SG_EEES9_SI_JZNS1_25segmented_radix_sort_implINS0_14default_configELb0EPK12hip_bfloat16PSP_PKlPlN2at6native12_GLOBAL__N_18offset_tEEE10hipError_tPvRmT1_PNSt15iterator_traitsIS13_E10value_typeET2_T3_PNS14_IS19_E10value_typeET4_jRbjT5_S1F_jjP12ihipStream_tbEUljE_ZNSN_ISO_Lb0ESR_SS_SU_SV_SZ_EES10_S11_S12_S13_S17_S18_S19_S1C_S1D_jS1E_jS1F_S1F_jjS1H_bEUljE0_EEES10_S11_S12_S19_S1D_S1F_T6_T7_T9_mT8_S1H_bDpT10_ENKUlT_T0_E_clISt17integral_constantIbLb1EES1V_EEDaS1Q_S1R_EUlS1Q_E_NS1_11comp_targetILNS1_3genE4ELNS1_11target_archE910ELNS1_3gpuE8ELNS1_3repE0EEENS1_30default_config_static_selectorELNS0_4arch9wavefront6targetE1EEEvS13_.uses_vcc, 0
	.set _ZN7rocprim17ROCPRIM_400000_NS6detail17trampoline_kernelINS0_13select_configILj256ELj13ELNS0_17block_load_methodE3ELS4_3ELS4_3ELNS0_20block_scan_algorithmE0ELj4294967295EEENS1_25partition_config_selectorILNS1_17partition_subalgoE4EjNS0_10empty_typeEbEEZZNS1_14partition_implILS8_4ELb0ES6_15HIP_vector_typeIjLj2EENS0_17counting_iteratorIjlEEPS9_SG_NS0_5tupleIJPjSI_NS0_16reverse_iteratorISI_EEEEENSH_IJSG_SG_SG_EEES9_SI_JZNS1_25segmented_radix_sort_implINS0_14default_configELb0EPK12hip_bfloat16PSP_PKlPlN2at6native12_GLOBAL__N_18offset_tEEE10hipError_tPvRmT1_PNSt15iterator_traitsIS13_E10value_typeET2_T3_PNS14_IS19_E10value_typeET4_jRbjT5_S1F_jjP12ihipStream_tbEUljE_ZNSN_ISO_Lb0ESR_SS_SU_SV_SZ_EES10_S11_S12_S13_S17_S18_S19_S1C_S1D_jS1E_jS1F_S1F_jjS1H_bEUljE0_EEES10_S11_S12_S19_S1D_S1F_T6_T7_T9_mT8_S1H_bDpT10_ENKUlT_T0_E_clISt17integral_constantIbLb1EES1V_EEDaS1Q_S1R_EUlS1Q_E_NS1_11comp_targetILNS1_3genE4ELNS1_11target_archE910ELNS1_3gpuE8ELNS1_3repE0EEENS1_30default_config_static_selectorELNS0_4arch9wavefront6targetE1EEEvS13_.uses_flat_scratch, 0
	.set _ZN7rocprim17ROCPRIM_400000_NS6detail17trampoline_kernelINS0_13select_configILj256ELj13ELNS0_17block_load_methodE3ELS4_3ELS4_3ELNS0_20block_scan_algorithmE0ELj4294967295EEENS1_25partition_config_selectorILNS1_17partition_subalgoE4EjNS0_10empty_typeEbEEZZNS1_14partition_implILS8_4ELb0ES6_15HIP_vector_typeIjLj2EENS0_17counting_iteratorIjlEEPS9_SG_NS0_5tupleIJPjSI_NS0_16reverse_iteratorISI_EEEEENSH_IJSG_SG_SG_EEES9_SI_JZNS1_25segmented_radix_sort_implINS0_14default_configELb0EPK12hip_bfloat16PSP_PKlPlN2at6native12_GLOBAL__N_18offset_tEEE10hipError_tPvRmT1_PNSt15iterator_traitsIS13_E10value_typeET2_T3_PNS14_IS19_E10value_typeET4_jRbjT5_S1F_jjP12ihipStream_tbEUljE_ZNSN_ISO_Lb0ESR_SS_SU_SV_SZ_EES10_S11_S12_S13_S17_S18_S19_S1C_S1D_jS1E_jS1F_S1F_jjS1H_bEUljE0_EEES10_S11_S12_S19_S1D_S1F_T6_T7_T9_mT8_S1H_bDpT10_ENKUlT_T0_E_clISt17integral_constantIbLb1EES1V_EEDaS1Q_S1R_EUlS1Q_E_NS1_11comp_targetILNS1_3genE4ELNS1_11target_archE910ELNS1_3gpuE8ELNS1_3repE0EEENS1_30default_config_static_selectorELNS0_4arch9wavefront6targetE1EEEvS13_.has_dyn_sized_stack, 0
	.set _ZN7rocprim17ROCPRIM_400000_NS6detail17trampoline_kernelINS0_13select_configILj256ELj13ELNS0_17block_load_methodE3ELS4_3ELS4_3ELNS0_20block_scan_algorithmE0ELj4294967295EEENS1_25partition_config_selectorILNS1_17partition_subalgoE4EjNS0_10empty_typeEbEEZZNS1_14partition_implILS8_4ELb0ES6_15HIP_vector_typeIjLj2EENS0_17counting_iteratorIjlEEPS9_SG_NS0_5tupleIJPjSI_NS0_16reverse_iteratorISI_EEEEENSH_IJSG_SG_SG_EEES9_SI_JZNS1_25segmented_radix_sort_implINS0_14default_configELb0EPK12hip_bfloat16PSP_PKlPlN2at6native12_GLOBAL__N_18offset_tEEE10hipError_tPvRmT1_PNSt15iterator_traitsIS13_E10value_typeET2_T3_PNS14_IS19_E10value_typeET4_jRbjT5_S1F_jjP12ihipStream_tbEUljE_ZNSN_ISO_Lb0ESR_SS_SU_SV_SZ_EES10_S11_S12_S13_S17_S18_S19_S1C_S1D_jS1E_jS1F_S1F_jjS1H_bEUljE0_EEES10_S11_S12_S19_S1D_S1F_T6_T7_T9_mT8_S1H_bDpT10_ENKUlT_T0_E_clISt17integral_constantIbLb1EES1V_EEDaS1Q_S1R_EUlS1Q_E_NS1_11comp_targetILNS1_3genE4ELNS1_11target_archE910ELNS1_3gpuE8ELNS1_3repE0EEENS1_30default_config_static_selectorELNS0_4arch9wavefront6targetE1EEEvS13_.has_recursion, 0
	.set _ZN7rocprim17ROCPRIM_400000_NS6detail17trampoline_kernelINS0_13select_configILj256ELj13ELNS0_17block_load_methodE3ELS4_3ELS4_3ELNS0_20block_scan_algorithmE0ELj4294967295EEENS1_25partition_config_selectorILNS1_17partition_subalgoE4EjNS0_10empty_typeEbEEZZNS1_14partition_implILS8_4ELb0ES6_15HIP_vector_typeIjLj2EENS0_17counting_iteratorIjlEEPS9_SG_NS0_5tupleIJPjSI_NS0_16reverse_iteratorISI_EEEEENSH_IJSG_SG_SG_EEES9_SI_JZNS1_25segmented_radix_sort_implINS0_14default_configELb0EPK12hip_bfloat16PSP_PKlPlN2at6native12_GLOBAL__N_18offset_tEEE10hipError_tPvRmT1_PNSt15iterator_traitsIS13_E10value_typeET2_T3_PNS14_IS19_E10value_typeET4_jRbjT5_S1F_jjP12ihipStream_tbEUljE_ZNSN_ISO_Lb0ESR_SS_SU_SV_SZ_EES10_S11_S12_S13_S17_S18_S19_S1C_S1D_jS1E_jS1F_S1F_jjS1H_bEUljE0_EEES10_S11_S12_S19_S1D_S1F_T6_T7_T9_mT8_S1H_bDpT10_ENKUlT_T0_E_clISt17integral_constantIbLb1EES1V_EEDaS1Q_S1R_EUlS1Q_E_NS1_11comp_targetILNS1_3genE4ELNS1_11target_archE910ELNS1_3gpuE8ELNS1_3repE0EEENS1_30default_config_static_selectorELNS0_4arch9wavefront6targetE1EEEvS13_.has_indirect_call, 0
	.section	.AMDGPU.csdata,"",@progbits
; Kernel info:
; codeLenInByte = 0
; TotalNumSgprs: 4
; NumVgprs: 0
; ScratchSize: 0
; MemoryBound: 0
; FloatMode: 240
; IeeeMode: 1
; LDSByteSize: 0 bytes/workgroup (compile time only)
; SGPRBlocks: 0
; VGPRBlocks: 0
; NumSGPRsForWavesPerEU: 4
; NumVGPRsForWavesPerEU: 1
; Occupancy: 10
; WaveLimiterHint : 0
; COMPUTE_PGM_RSRC2:SCRATCH_EN: 0
; COMPUTE_PGM_RSRC2:USER_SGPR: 6
; COMPUTE_PGM_RSRC2:TRAP_HANDLER: 0
; COMPUTE_PGM_RSRC2:TGID_X_EN: 1
; COMPUTE_PGM_RSRC2:TGID_Y_EN: 0
; COMPUTE_PGM_RSRC2:TGID_Z_EN: 0
; COMPUTE_PGM_RSRC2:TIDIG_COMP_CNT: 0
	.section	.text._ZN7rocprim17ROCPRIM_400000_NS6detail17trampoline_kernelINS0_13select_configILj256ELj13ELNS0_17block_load_methodE3ELS4_3ELS4_3ELNS0_20block_scan_algorithmE0ELj4294967295EEENS1_25partition_config_selectorILNS1_17partition_subalgoE4EjNS0_10empty_typeEbEEZZNS1_14partition_implILS8_4ELb0ES6_15HIP_vector_typeIjLj2EENS0_17counting_iteratorIjlEEPS9_SG_NS0_5tupleIJPjSI_NS0_16reverse_iteratorISI_EEEEENSH_IJSG_SG_SG_EEES9_SI_JZNS1_25segmented_radix_sort_implINS0_14default_configELb0EPK12hip_bfloat16PSP_PKlPlN2at6native12_GLOBAL__N_18offset_tEEE10hipError_tPvRmT1_PNSt15iterator_traitsIS13_E10value_typeET2_T3_PNS14_IS19_E10value_typeET4_jRbjT5_S1F_jjP12ihipStream_tbEUljE_ZNSN_ISO_Lb0ESR_SS_SU_SV_SZ_EES10_S11_S12_S13_S17_S18_S19_S1C_S1D_jS1E_jS1F_S1F_jjS1H_bEUljE0_EEES10_S11_S12_S19_S1D_S1F_T6_T7_T9_mT8_S1H_bDpT10_ENKUlT_T0_E_clISt17integral_constantIbLb1EES1V_EEDaS1Q_S1R_EUlS1Q_E_NS1_11comp_targetILNS1_3genE3ELNS1_11target_archE908ELNS1_3gpuE7ELNS1_3repE0EEENS1_30default_config_static_selectorELNS0_4arch9wavefront6targetE1EEEvS13_,"axG",@progbits,_ZN7rocprim17ROCPRIM_400000_NS6detail17trampoline_kernelINS0_13select_configILj256ELj13ELNS0_17block_load_methodE3ELS4_3ELS4_3ELNS0_20block_scan_algorithmE0ELj4294967295EEENS1_25partition_config_selectorILNS1_17partition_subalgoE4EjNS0_10empty_typeEbEEZZNS1_14partition_implILS8_4ELb0ES6_15HIP_vector_typeIjLj2EENS0_17counting_iteratorIjlEEPS9_SG_NS0_5tupleIJPjSI_NS0_16reverse_iteratorISI_EEEEENSH_IJSG_SG_SG_EEES9_SI_JZNS1_25segmented_radix_sort_implINS0_14default_configELb0EPK12hip_bfloat16PSP_PKlPlN2at6native12_GLOBAL__N_18offset_tEEE10hipError_tPvRmT1_PNSt15iterator_traitsIS13_E10value_typeET2_T3_PNS14_IS19_E10value_typeET4_jRbjT5_S1F_jjP12ihipStream_tbEUljE_ZNSN_ISO_Lb0ESR_SS_SU_SV_SZ_EES10_S11_S12_S13_S17_S18_S19_S1C_S1D_jS1E_jS1F_S1F_jjS1H_bEUljE0_EEES10_S11_S12_S19_S1D_S1F_T6_T7_T9_mT8_S1H_bDpT10_ENKUlT_T0_E_clISt17integral_constantIbLb1EES1V_EEDaS1Q_S1R_EUlS1Q_E_NS1_11comp_targetILNS1_3genE3ELNS1_11target_archE908ELNS1_3gpuE7ELNS1_3repE0EEENS1_30default_config_static_selectorELNS0_4arch9wavefront6targetE1EEEvS13_,comdat
	.globl	_ZN7rocprim17ROCPRIM_400000_NS6detail17trampoline_kernelINS0_13select_configILj256ELj13ELNS0_17block_load_methodE3ELS4_3ELS4_3ELNS0_20block_scan_algorithmE0ELj4294967295EEENS1_25partition_config_selectorILNS1_17partition_subalgoE4EjNS0_10empty_typeEbEEZZNS1_14partition_implILS8_4ELb0ES6_15HIP_vector_typeIjLj2EENS0_17counting_iteratorIjlEEPS9_SG_NS0_5tupleIJPjSI_NS0_16reverse_iteratorISI_EEEEENSH_IJSG_SG_SG_EEES9_SI_JZNS1_25segmented_radix_sort_implINS0_14default_configELb0EPK12hip_bfloat16PSP_PKlPlN2at6native12_GLOBAL__N_18offset_tEEE10hipError_tPvRmT1_PNSt15iterator_traitsIS13_E10value_typeET2_T3_PNS14_IS19_E10value_typeET4_jRbjT5_S1F_jjP12ihipStream_tbEUljE_ZNSN_ISO_Lb0ESR_SS_SU_SV_SZ_EES10_S11_S12_S13_S17_S18_S19_S1C_S1D_jS1E_jS1F_S1F_jjS1H_bEUljE0_EEES10_S11_S12_S19_S1D_S1F_T6_T7_T9_mT8_S1H_bDpT10_ENKUlT_T0_E_clISt17integral_constantIbLb1EES1V_EEDaS1Q_S1R_EUlS1Q_E_NS1_11comp_targetILNS1_3genE3ELNS1_11target_archE908ELNS1_3gpuE7ELNS1_3repE0EEENS1_30default_config_static_selectorELNS0_4arch9wavefront6targetE1EEEvS13_ ; -- Begin function _ZN7rocprim17ROCPRIM_400000_NS6detail17trampoline_kernelINS0_13select_configILj256ELj13ELNS0_17block_load_methodE3ELS4_3ELS4_3ELNS0_20block_scan_algorithmE0ELj4294967295EEENS1_25partition_config_selectorILNS1_17partition_subalgoE4EjNS0_10empty_typeEbEEZZNS1_14partition_implILS8_4ELb0ES6_15HIP_vector_typeIjLj2EENS0_17counting_iteratorIjlEEPS9_SG_NS0_5tupleIJPjSI_NS0_16reverse_iteratorISI_EEEEENSH_IJSG_SG_SG_EEES9_SI_JZNS1_25segmented_radix_sort_implINS0_14default_configELb0EPK12hip_bfloat16PSP_PKlPlN2at6native12_GLOBAL__N_18offset_tEEE10hipError_tPvRmT1_PNSt15iterator_traitsIS13_E10value_typeET2_T3_PNS14_IS19_E10value_typeET4_jRbjT5_S1F_jjP12ihipStream_tbEUljE_ZNSN_ISO_Lb0ESR_SS_SU_SV_SZ_EES10_S11_S12_S13_S17_S18_S19_S1C_S1D_jS1E_jS1F_S1F_jjS1H_bEUljE0_EEES10_S11_S12_S19_S1D_S1F_T6_T7_T9_mT8_S1H_bDpT10_ENKUlT_T0_E_clISt17integral_constantIbLb1EES1V_EEDaS1Q_S1R_EUlS1Q_E_NS1_11comp_targetILNS1_3genE3ELNS1_11target_archE908ELNS1_3gpuE7ELNS1_3repE0EEENS1_30default_config_static_selectorELNS0_4arch9wavefront6targetE1EEEvS13_
	.p2align	8
	.type	_ZN7rocprim17ROCPRIM_400000_NS6detail17trampoline_kernelINS0_13select_configILj256ELj13ELNS0_17block_load_methodE3ELS4_3ELS4_3ELNS0_20block_scan_algorithmE0ELj4294967295EEENS1_25partition_config_selectorILNS1_17partition_subalgoE4EjNS0_10empty_typeEbEEZZNS1_14partition_implILS8_4ELb0ES6_15HIP_vector_typeIjLj2EENS0_17counting_iteratorIjlEEPS9_SG_NS0_5tupleIJPjSI_NS0_16reverse_iteratorISI_EEEEENSH_IJSG_SG_SG_EEES9_SI_JZNS1_25segmented_radix_sort_implINS0_14default_configELb0EPK12hip_bfloat16PSP_PKlPlN2at6native12_GLOBAL__N_18offset_tEEE10hipError_tPvRmT1_PNSt15iterator_traitsIS13_E10value_typeET2_T3_PNS14_IS19_E10value_typeET4_jRbjT5_S1F_jjP12ihipStream_tbEUljE_ZNSN_ISO_Lb0ESR_SS_SU_SV_SZ_EES10_S11_S12_S13_S17_S18_S19_S1C_S1D_jS1E_jS1F_S1F_jjS1H_bEUljE0_EEES10_S11_S12_S19_S1D_S1F_T6_T7_T9_mT8_S1H_bDpT10_ENKUlT_T0_E_clISt17integral_constantIbLb1EES1V_EEDaS1Q_S1R_EUlS1Q_E_NS1_11comp_targetILNS1_3genE3ELNS1_11target_archE908ELNS1_3gpuE7ELNS1_3repE0EEENS1_30default_config_static_selectorELNS0_4arch9wavefront6targetE1EEEvS13_,@function
_ZN7rocprim17ROCPRIM_400000_NS6detail17trampoline_kernelINS0_13select_configILj256ELj13ELNS0_17block_load_methodE3ELS4_3ELS4_3ELNS0_20block_scan_algorithmE0ELj4294967295EEENS1_25partition_config_selectorILNS1_17partition_subalgoE4EjNS0_10empty_typeEbEEZZNS1_14partition_implILS8_4ELb0ES6_15HIP_vector_typeIjLj2EENS0_17counting_iteratorIjlEEPS9_SG_NS0_5tupleIJPjSI_NS0_16reverse_iteratorISI_EEEEENSH_IJSG_SG_SG_EEES9_SI_JZNS1_25segmented_radix_sort_implINS0_14default_configELb0EPK12hip_bfloat16PSP_PKlPlN2at6native12_GLOBAL__N_18offset_tEEE10hipError_tPvRmT1_PNSt15iterator_traitsIS13_E10value_typeET2_T3_PNS14_IS19_E10value_typeET4_jRbjT5_S1F_jjP12ihipStream_tbEUljE_ZNSN_ISO_Lb0ESR_SS_SU_SV_SZ_EES10_S11_S12_S13_S17_S18_S19_S1C_S1D_jS1E_jS1F_S1F_jjS1H_bEUljE0_EEES10_S11_S12_S19_S1D_S1F_T6_T7_T9_mT8_S1H_bDpT10_ENKUlT_T0_E_clISt17integral_constantIbLb1EES1V_EEDaS1Q_S1R_EUlS1Q_E_NS1_11comp_targetILNS1_3genE3ELNS1_11target_archE908ELNS1_3gpuE7ELNS1_3repE0EEENS1_30default_config_static_selectorELNS0_4arch9wavefront6targetE1EEEvS13_: ; @_ZN7rocprim17ROCPRIM_400000_NS6detail17trampoline_kernelINS0_13select_configILj256ELj13ELNS0_17block_load_methodE3ELS4_3ELS4_3ELNS0_20block_scan_algorithmE0ELj4294967295EEENS1_25partition_config_selectorILNS1_17partition_subalgoE4EjNS0_10empty_typeEbEEZZNS1_14partition_implILS8_4ELb0ES6_15HIP_vector_typeIjLj2EENS0_17counting_iteratorIjlEEPS9_SG_NS0_5tupleIJPjSI_NS0_16reverse_iteratorISI_EEEEENSH_IJSG_SG_SG_EEES9_SI_JZNS1_25segmented_radix_sort_implINS0_14default_configELb0EPK12hip_bfloat16PSP_PKlPlN2at6native12_GLOBAL__N_18offset_tEEE10hipError_tPvRmT1_PNSt15iterator_traitsIS13_E10value_typeET2_T3_PNS14_IS19_E10value_typeET4_jRbjT5_S1F_jjP12ihipStream_tbEUljE_ZNSN_ISO_Lb0ESR_SS_SU_SV_SZ_EES10_S11_S12_S13_S17_S18_S19_S1C_S1D_jS1E_jS1F_S1F_jjS1H_bEUljE0_EEES10_S11_S12_S19_S1D_S1F_T6_T7_T9_mT8_S1H_bDpT10_ENKUlT_T0_E_clISt17integral_constantIbLb1EES1V_EEDaS1Q_S1R_EUlS1Q_E_NS1_11comp_targetILNS1_3genE3ELNS1_11target_archE908ELNS1_3gpuE7ELNS1_3repE0EEENS1_30default_config_static_selectorELNS0_4arch9wavefront6targetE1EEEvS13_
; %bb.0:
	.section	.rodata,"a",@progbits
	.p2align	6, 0x0
	.amdhsa_kernel _ZN7rocprim17ROCPRIM_400000_NS6detail17trampoline_kernelINS0_13select_configILj256ELj13ELNS0_17block_load_methodE3ELS4_3ELS4_3ELNS0_20block_scan_algorithmE0ELj4294967295EEENS1_25partition_config_selectorILNS1_17partition_subalgoE4EjNS0_10empty_typeEbEEZZNS1_14partition_implILS8_4ELb0ES6_15HIP_vector_typeIjLj2EENS0_17counting_iteratorIjlEEPS9_SG_NS0_5tupleIJPjSI_NS0_16reverse_iteratorISI_EEEEENSH_IJSG_SG_SG_EEES9_SI_JZNS1_25segmented_radix_sort_implINS0_14default_configELb0EPK12hip_bfloat16PSP_PKlPlN2at6native12_GLOBAL__N_18offset_tEEE10hipError_tPvRmT1_PNSt15iterator_traitsIS13_E10value_typeET2_T3_PNS14_IS19_E10value_typeET4_jRbjT5_S1F_jjP12ihipStream_tbEUljE_ZNSN_ISO_Lb0ESR_SS_SU_SV_SZ_EES10_S11_S12_S13_S17_S18_S19_S1C_S1D_jS1E_jS1F_S1F_jjS1H_bEUljE0_EEES10_S11_S12_S19_S1D_S1F_T6_T7_T9_mT8_S1H_bDpT10_ENKUlT_T0_E_clISt17integral_constantIbLb1EES1V_EEDaS1Q_S1R_EUlS1Q_E_NS1_11comp_targetILNS1_3genE3ELNS1_11target_archE908ELNS1_3gpuE7ELNS1_3repE0EEENS1_30default_config_static_selectorELNS0_4arch9wavefront6targetE1EEEvS13_
		.amdhsa_group_segment_fixed_size 0
		.amdhsa_private_segment_fixed_size 0
		.amdhsa_kernarg_size 184
		.amdhsa_user_sgpr_count 6
		.amdhsa_user_sgpr_private_segment_buffer 1
		.amdhsa_user_sgpr_dispatch_ptr 0
		.amdhsa_user_sgpr_queue_ptr 0
		.amdhsa_user_sgpr_kernarg_segment_ptr 1
		.amdhsa_user_sgpr_dispatch_id 0
		.amdhsa_user_sgpr_flat_scratch_init 0
		.amdhsa_user_sgpr_private_segment_size 0
		.amdhsa_uses_dynamic_stack 0
		.amdhsa_system_sgpr_private_segment_wavefront_offset 0
		.amdhsa_system_sgpr_workgroup_id_x 1
		.amdhsa_system_sgpr_workgroup_id_y 0
		.amdhsa_system_sgpr_workgroup_id_z 0
		.amdhsa_system_sgpr_workgroup_info 0
		.amdhsa_system_vgpr_workitem_id 0
		.amdhsa_next_free_vgpr 1
		.amdhsa_next_free_sgpr 0
		.amdhsa_reserve_vcc 0
		.amdhsa_reserve_flat_scratch 0
		.amdhsa_float_round_mode_32 0
		.amdhsa_float_round_mode_16_64 0
		.amdhsa_float_denorm_mode_32 3
		.amdhsa_float_denorm_mode_16_64 3
		.amdhsa_dx10_clamp 1
		.amdhsa_ieee_mode 1
		.amdhsa_fp16_overflow 0
		.amdhsa_exception_fp_ieee_invalid_op 0
		.amdhsa_exception_fp_denorm_src 0
		.amdhsa_exception_fp_ieee_div_zero 0
		.amdhsa_exception_fp_ieee_overflow 0
		.amdhsa_exception_fp_ieee_underflow 0
		.amdhsa_exception_fp_ieee_inexact 0
		.amdhsa_exception_int_div_zero 0
	.end_amdhsa_kernel
	.section	.text._ZN7rocprim17ROCPRIM_400000_NS6detail17trampoline_kernelINS0_13select_configILj256ELj13ELNS0_17block_load_methodE3ELS4_3ELS4_3ELNS0_20block_scan_algorithmE0ELj4294967295EEENS1_25partition_config_selectorILNS1_17partition_subalgoE4EjNS0_10empty_typeEbEEZZNS1_14partition_implILS8_4ELb0ES6_15HIP_vector_typeIjLj2EENS0_17counting_iteratorIjlEEPS9_SG_NS0_5tupleIJPjSI_NS0_16reverse_iteratorISI_EEEEENSH_IJSG_SG_SG_EEES9_SI_JZNS1_25segmented_radix_sort_implINS0_14default_configELb0EPK12hip_bfloat16PSP_PKlPlN2at6native12_GLOBAL__N_18offset_tEEE10hipError_tPvRmT1_PNSt15iterator_traitsIS13_E10value_typeET2_T3_PNS14_IS19_E10value_typeET4_jRbjT5_S1F_jjP12ihipStream_tbEUljE_ZNSN_ISO_Lb0ESR_SS_SU_SV_SZ_EES10_S11_S12_S13_S17_S18_S19_S1C_S1D_jS1E_jS1F_S1F_jjS1H_bEUljE0_EEES10_S11_S12_S19_S1D_S1F_T6_T7_T9_mT8_S1H_bDpT10_ENKUlT_T0_E_clISt17integral_constantIbLb1EES1V_EEDaS1Q_S1R_EUlS1Q_E_NS1_11comp_targetILNS1_3genE3ELNS1_11target_archE908ELNS1_3gpuE7ELNS1_3repE0EEENS1_30default_config_static_selectorELNS0_4arch9wavefront6targetE1EEEvS13_,"axG",@progbits,_ZN7rocprim17ROCPRIM_400000_NS6detail17trampoline_kernelINS0_13select_configILj256ELj13ELNS0_17block_load_methodE3ELS4_3ELS4_3ELNS0_20block_scan_algorithmE0ELj4294967295EEENS1_25partition_config_selectorILNS1_17partition_subalgoE4EjNS0_10empty_typeEbEEZZNS1_14partition_implILS8_4ELb0ES6_15HIP_vector_typeIjLj2EENS0_17counting_iteratorIjlEEPS9_SG_NS0_5tupleIJPjSI_NS0_16reverse_iteratorISI_EEEEENSH_IJSG_SG_SG_EEES9_SI_JZNS1_25segmented_radix_sort_implINS0_14default_configELb0EPK12hip_bfloat16PSP_PKlPlN2at6native12_GLOBAL__N_18offset_tEEE10hipError_tPvRmT1_PNSt15iterator_traitsIS13_E10value_typeET2_T3_PNS14_IS19_E10value_typeET4_jRbjT5_S1F_jjP12ihipStream_tbEUljE_ZNSN_ISO_Lb0ESR_SS_SU_SV_SZ_EES10_S11_S12_S13_S17_S18_S19_S1C_S1D_jS1E_jS1F_S1F_jjS1H_bEUljE0_EEES10_S11_S12_S19_S1D_S1F_T6_T7_T9_mT8_S1H_bDpT10_ENKUlT_T0_E_clISt17integral_constantIbLb1EES1V_EEDaS1Q_S1R_EUlS1Q_E_NS1_11comp_targetILNS1_3genE3ELNS1_11target_archE908ELNS1_3gpuE7ELNS1_3repE0EEENS1_30default_config_static_selectorELNS0_4arch9wavefront6targetE1EEEvS13_,comdat
.Lfunc_end1996:
	.size	_ZN7rocprim17ROCPRIM_400000_NS6detail17trampoline_kernelINS0_13select_configILj256ELj13ELNS0_17block_load_methodE3ELS4_3ELS4_3ELNS0_20block_scan_algorithmE0ELj4294967295EEENS1_25partition_config_selectorILNS1_17partition_subalgoE4EjNS0_10empty_typeEbEEZZNS1_14partition_implILS8_4ELb0ES6_15HIP_vector_typeIjLj2EENS0_17counting_iteratorIjlEEPS9_SG_NS0_5tupleIJPjSI_NS0_16reverse_iteratorISI_EEEEENSH_IJSG_SG_SG_EEES9_SI_JZNS1_25segmented_radix_sort_implINS0_14default_configELb0EPK12hip_bfloat16PSP_PKlPlN2at6native12_GLOBAL__N_18offset_tEEE10hipError_tPvRmT1_PNSt15iterator_traitsIS13_E10value_typeET2_T3_PNS14_IS19_E10value_typeET4_jRbjT5_S1F_jjP12ihipStream_tbEUljE_ZNSN_ISO_Lb0ESR_SS_SU_SV_SZ_EES10_S11_S12_S13_S17_S18_S19_S1C_S1D_jS1E_jS1F_S1F_jjS1H_bEUljE0_EEES10_S11_S12_S19_S1D_S1F_T6_T7_T9_mT8_S1H_bDpT10_ENKUlT_T0_E_clISt17integral_constantIbLb1EES1V_EEDaS1Q_S1R_EUlS1Q_E_NS1_11comp_targetILNS1_3genE3ELNS1_11target_archE908ELNS1_3gpuE7ELNS1_3repE0EEENS1_30default_config_static_selectorELNS0_4arch9wavefront6targetE1EEEvS13_, .Lfunc_end1996-_ZN7rocprim17ROCPRIM_400000_NS6detail17trampoline_kernelINS0_13select_configILj256ELj13ELNS0_17block_load_methodE3ELS4_3ELS4_3ELNS0_20block_scan_algorithmE0ELj4294967295EEENS1_25partition_config_selectorILNS1_17partition_subalgoE4EjNS0_10empty_typeEbEEZZNS1_14partition_implILS8_4ELb0ES6_15HIP_vector_typeIjLj2EENS0_17counting_iteratorIjlEEPS9_SG_NS0_5tupleIJPjSI_NS0_16reverse_iteratorISI_EEEEENSH_IJSG_SG_SG_EEES9_SI_JZNS1_25segmented_radix_sort_implINS0_14default_configELb0EPK12hip_bfloat16PSP_PKlPlN2at6native12_GLOBAL__N_18offset_tEEE10hipError_tPvRmT1_PNSt15iterator_traitsIS13_E10value_typeET2_T3_PNS14_IS19_E10value_typeET4_jRbjT5_S1F_jjP12ihipStream_tbEUljE_ZNSN_ISO_Lb0ESR_SS_SU_SV_SZ_EES10_S11_S12_S13_S17_S18_S19_S1C_S1D_jS1E_jS1F_S1F_jjS1H_bEUljE0_EEES10_S11_S12_S19_S1D_S1F_T6_T7_T9_mT8_S1H_bDpT10_ENKUlT_T0_E_clISt17integral_constantIbLb1EES1V_EEDaS1Q_S1R_EUlS1Q_E_NS1_11comp_targetILNS1_3genE3ELNS1_11target_archE908ELNS1_3gpuE7ELNS1_3repE0EEENS1_30default_config_static_selectorELNS0_4arch9wavefront6targetE1EEEvS13_
                                        ; -- End function
	.set _ZN7rocprim17ROCPRIM_400000_NS6detail17trampoline_kernelINS0_13select_configILj256ELj13ELNS0_17block_load_methodE3ELS4_3ELS4_3ELNS0_20block_scan_algorithmE0ELj4294967295EEENS1_25partition_config_selectorILNS1_17partition_subalgoE4EjNS0_10empty_typeEbEEZZNS1_14partition_implILS8_4ELb0ES6_15HIP_vector_typeIjLj2EENS0_17counting_iteratorIjlEEPS9_SG_NS0_5tupleIJPjSI_NS0_16reverse_iteratorISI_EEEEENSH_IJSG_SG_SG_EEES9_SI_JZNS1_25segmented_radix_sort_implINS0_14default_configELb0EPK12hip_bfloat16PSP_PKlPlN2at6native12_GLOBAL__N_18offset_tEEE10hipError_tPvRmT1_PNSt15iterator_traitsIS13_E10value_typeET2_T3_PNS14_IS19_E10value_typeET4_jRbjT5_S1F_jjP12ihipStream_tbEUljE_ZNSN_ISO_Lb0ESR_SS_SU_SV_SZ_EES10_S11_S12_S13_S17_S18_S19_S1C_S1D_jS1E_jS1F_S1F_jjS1H_bEUljE0_EEES10_S11_S12_S19_S1D_S1F_T6_T7_T9_mT8_S1H_bDpT10_ENKUlT_T0_E_clISt17integral_constantIbLb1EES1V_EEDaS1Q_S1R_EUlS1Q_E_NS1_11comp_targetILNS1_3genE3ELNS1_11target_archE908ELNS1_3gpuE7ELNS1_3repE0EEENS1_30default_config_static_selectorELNS0_4arch9wavefront6targetE1EEEvS13_.num_vgpr, 0
	.set _ZN7rocprim17ROCPRIM_400000_NS6detail17trampoline_kernelINS0_13select_configILj256ELj13ELNS0_17block_load_methodE3ELS4_3ELS4_3ELNS0_20block_scan_algorithmE0ELj4294967295EEENS1_25partition_config_selectorILNS1_17partition_subalgoE4EjNS0_10empty_typeEbEEZZNS1_14partition_implILS8_4ELb0ES6_15HIP_vector_typeIjLj2EENS0_17counting_iteratorIjlEEPS9_SG_NS0_5tupleIJPjSI_NS0_16reverse_iteratorISI_EEEEENSH_IJSG_SG_SG_EEES9_SI_JZNS1_25segmented_radix_sort_implINS0_14default_configELb0EPK12hip_bfloat16PSP_PKlPlN2at6native12_GLOBAL__N_18offset_tEEE10hipError_tPvRmT1_PNSt15iterator_traitsIS13_E10value_typeET2_T3_PNS14_IS19_E10value_typeET4_jRbjT5_S1F_jjP12ihipStream_tbEUljE_ZNSN_ISO_Lb0ESR_SS_SU_SV_SZ_EES10_S11_S12_S13_S17_S18_S19_S1C_S1D_jS1E_jS1F_S1F_jjS1H_bEUljE0_EEES10_S11_S12_S19_S1D_S1F_T6_T7_T9_mT8_S1H_bDpT10_ENKUlT_T0_E_clISt17integral_constantIbLb1EES1V_EEDaS1Q_S1R_EUlS1Q_E_NS1_11comp_targetILNS1_3genE3ELNS1_11target_archE908ELNS1_3gpuE7ELNS1_3repE0EEENS1_30default_config_static_selectorELNS0_4arch9wavefront6targetE1EEEvS13_.num_agpr, 0
	.set _ZN7rocprim17ROCPRIM_400000_NS6detail17trampoline_kernelINS0_13select_configILj256ELj13ELNS0_17block_load_methodE3ELS4_3ELS4_3ELNS0_20block_scan_algorithmE0ELj4294967295EEENS1_25partition_config_selectorILNS1_17partition_subalgoE4EjNS0_10empty_typeEbEEZZNS1_14partition_implILS8_4ELb0ES6_15HIP_vector_typeIjLj2EENS0_17counting_iteratorIjlEEPS9_SG_NS0_5tupleIJPjSI_NS0_16reverse_iteratorISI_EEEEENSH_IJSG_SG_SG_EEES9_SI_JZNS1_25segmented_radix_sort_implINS0_14default_configELb0EPK12hip_bfloat16PSP_PKlPlN2at6native12_GLOBAL__N_18offset_tEEE10hipError_tPvRmT1_PNSt15iterator_traitsIS13_E10value_typeET2_T3_PNS14_IS19_E10value_typeET4_jRbjT5_S1F_jjP12ihipStream_tbEUljE_ZNSN_ISO_Lb0ESR_SS_SU_SV_SZ_EES10_S11_S12_S13_S17_S18_S19_S1C_S1D_jS1E_jS1F_S1F_jjS1H_bEUljE0_EEES10_S11_S12_S19_S1D_S1F_T6_T7_T9_mT8_S1H_bDpT10_ENKUlT_T0_E_clISt17integral_constantIbLb1EES1V_EEDaS1Q_S1R_EUlS1Q_E_NS1_11comp_targetILNS1_3genE3ELNS1_11target_archE908ELNS1_3gpuE7ELNS1_3repE0EEENS1_30default_config_static_selectorELNS0_4arch9wavefront6targetE1EEEvS13_.numbered_sgpr, 0
	.set _ZN7rocprim17ROCPRIM_400000_NS6detail17trampoline_kernelINS0_13select_configILj256ELj13ELNS0_17block_load_methodE3ELS4_3ELS4_3ELNS0_20block_scan_algorithmE0ELj4294967295EEENS1_25partition_config_selectorILNS1_17partition_subalgoE4EjNS0_10empty_typeEbEEZZNS1_14partition_implILS8_4ELb0ES6_15HIP_vector_typeIjLj2EENS0_17counting_iteratorIjlEEPS9_SG_NS0_5tupleIJPjSI_NS0_16reverse_iteratorISI_EEEEENSH_IJSG_SG_SG_EEES9_SI_JZNS1_25segmented_radix_sort_implINS0_14default_configELb0EPK12hip_bfloat16PSP_PKlPlN2at6native12_GLOBAL__N_18offset_tEEE10hipError_tPvRmT1_PNSt15iterator_traitsIS13_E10value_typeET2_T3_PNS14_IS19_E10value_typeET4_jRbjT5_S1F_jjP12ihipStream_tbEUljE_ZNSN_ISO_Lb0ESR_SS_SU_SV_SZ_EES10_S11_S12_S13_S17_S18_S19_S1C_S1D_jS1E_jS1F_S1F_jjS1H_bEUljE0_EEES10_S11_S12_S19_S1D_S1F_T6_T7_T9_mT8_S1H_bDpT10_ENKUlT_T0_E_clISt17integral_constantIbLb1EES1V_EEDaS1Q_S1R_EUlS1Q_E_NS1_11comp_targetILNS1_3genE3ELNS1_11target_archE908ELNS1_3gpuE7ELNS1_3repE0EEENS1_30default_config_static_selectorELNS0_4arch9wavefront6targetE1EEEvS13_.num_named_barrier, 0
	.set _ZN7rocprim17ROCPRIM_400000_NS6detail17trampoline_kernelINS0_13select_configILj256ELj13ELNS0_17block_load_methodE3ELS4_3ELS4_3ELNS0_20block_scan_algorithmE0ELj4294967295EEENS1_25partition_config_selectorILNS1_17partition_subalgoE4EjNS0_10empty_typeEbEEZZNS1_14partition_implILS8_4ELb0ES6_15HIP_vector_typeIjLj2EENS0_17counting_iteratorIjlEEPS9_SG_NS0_5tupleIJPjSI_NS0_16reverse_iteratorISI_EEEEENSH_IJSG_SG_SG_EEES9_SI_JZNS1_25segmented_radix_sort_implINS0_14default_configELb0EPK12hip_bfloat16PSP_PKlPlN2at6native12_GLOBAL__N_18offset_tEEE10hipError_tPvRmT1_PNSt15iterator_traitsIS13_E10value_typeET2_T3_PNS14_IS19_E10value_typeET4_jRbjT5_S1F_jjP12ihipStream_tbEUljE_ZNSN_ISO_Lb0ESR_SS_SU_SV_SZ_EES10_S11_S12_S13_S17_S18_S19_S1C_S1D_jS1E_jS1F_S1F_jjS1H_bEUljE0_EEES10_S11_S12_S19_S1D_S1F_T6_T7_T9_mT8_S1H_bDpT10_ENKUlT_T0_E_clISt17integral_constantIbLb1EES1V_EEDaS1Q_S1R_EUlS1Q_E_NS1_11comp_targetILNS1_3genE3ELNS1_11target_archE908ELNS1_3gpuE7ELNS1_3repE0EEENS1_30default_config_static_selectorELNS0_4arch9wavefront6targetE1EEEvS13_.private_seg_size, 0
	.set _ZN7rocprim17ROCPRIM_400000_NS6detail17trampoline_kernelINS0_13select_configILj256ELj13ELNS0_17block_load_methodE3ELS4_3ELS4_3ELNS0_20block_scan_algorithmE0ELj4294967295EEENS1_25partition_config_selectorILNS1_17partition_subalgoE4EjNS0_10empty_typeEbEEZZNS1_14partition_implILS8_4ELb0ES6_15HIP_vector_typeIjLj2EENS0_17counting_iteratorIjlEEPS9_SG_NS0_5tupleIJPjSI_NS0_16reverse_iteratorISI_EEEEENSH_IJSG_SG_SG_EEES9_SI_JZNS1_25segmented_radix_sort_implINS0_14default_configELb0EPK12hip_bfloat16PSP_PKlPlN2at6native12_GLOBAL__N_18offset_tEEE10hipError_tPvRmT1_PNSt15iterator_traitsIS13_E10value_typeET2_T3_PNS14_IS19_E10value_typeET4_jRbjT5_S1F_jjP12ihipStream_tbEUljE_ZNSN_ISO_Lb0ESR_SS_SU_SV_SZ_EES10_S11_S12_S13_S17_S18_S19_S1C_S1D_jS1E_jS1F_S1F_jjS1H_bEUljE0_EEES10_S11_S12_S19_S1D_S1F_T6_T7_T9_mT8_S1H_bDpT10_ENKUlT_T0_E_clISt17integral_constantIbLb1EES1V_EEDaS1Q_S1R_EUlS1Q_E_NS1_11comp_targetILNS1_3genE3ELNS1_11target_archE908ELNS1_3gpuE7ELNS1_3repE0EEENS1_30default_config_static_selectorELNS0_4arch9wavefront6targetE1EEEvS13_.uses_vcc, 0
	.set _ZN7rocprim17ROCPRIM_400000_NS6detail17trampoline_kernelINS0_13select_configILj256ELj13ELNS0_17block_load_methodE3ELS4_3ELS4_3ELNS0_20block_scan_algorithmE0ELj4294967295EEENS1_25partition_config_selectorILNS1_17partition_subalgoE4EjNS0_10empty_typeEbEEZZNS1_14partition_implILS8_4ELb0ES6_15HIP_vector_typeIjLj2EENS0_17counting_iteratorIjlEEPS9_SG_NS0_5tupleIJPjSI_NS0_16reverse_iteratorISI_EEEEENSH_IJSG_SG_SG_EEES9_SI_JZNS1_25segmented_radix_sort_implINS0_14default_configELb0EPK12hip_bfloat16PSP_PKlPlN2at6native12_GLOBAL__N_18offset_tEEE10hipError_tPvRmT1_PNSt15iterator_traitsIS13_E10value_typeET2_T3_PNS14_IS19_E10value_typeET4_jRbjT5_S1F_jjP12ihipStream_tbEUljE_ZNSN_ISO_Lb0ESR_SS_SU_SV_SZ_EES10_S11_S12_S13_S17_S18_S19_S1C_S1D_jS1E_jS1F_S1F_jjS1H_bEUljE0_EEES10_S11_S12_S19_S1D_S1F_T6_T7_T9_mT8_S1H_bDpT10_ENKUlT_T0_E_clISt17integral_constantIbLb1EES1V_EEDaS1Q_S1R_EUlS1Q_E_NS1_11comp_targetILNS1_3genE3ELNS1_11target_archE908ELNS1_3gpuE7ELNS1_3repE0EEENS1_30default_config_static_selectorELNS0_4arch9wavefront6targetE1EEEvS13_.uses_flat_scratch, 0
	.set _ZN7rocprim17ROCPRIM_400000_NS6detail17trampoline_kernelINS0_13select_configILj256ELj13ELNS0_17block_load_methodE3ELS4_3ELS4_3ELNS0_20block_scan_algorithmE0ELj4294967295EEENS1_25partition_config_selectorILNS1_17partition_subalgoE4EjNS0_10empty_typeEbEEZZNS1_14partition_implILS8_4ELb0ES6_15HIP_vector_typeIjLj2EENS0_17counting_iteratorIjlEEPS9_SG_NS0_5tupleIJPjSI_NS0_16reverse_iteratorISI_EEEEENSH_IJSG_SG_SG_EEES9_SI_JZNS1_25segmented_radix_sort_implINS0_14default_configELb0EPK12hip_bfloat16PSP_PKlPlN2at6native12_GLOBAL__N_18offset_tEEE10hipError_tPvRmT1_PNSt15iterator_traitsIS13_E10value_typeET2_T3_PNS14_IS19_E10value_typeET4_jRbjT5_S1F_jjP12ihipStream_tbEUljE_ZNSN_ISO_Lb0ESR_SS_SU_SV_SZ_EES10_S11_S12_S13_S17_S18_S19_S1C_S1D_jS1E_jS1F_S1F_jjS1H_bEUljE0_EEES10_S11_S12_S19_S1D_S1F_T6_T7_T9_mT8_S1H_bDpT10_ENKUlT_T0_E_clISt17integral_constantIbLb1EES1V_EEDaS1Q_S1R_EUlS1Q_E_NS1_11comp_targetILNS1_3genE3ELNS1_11target_archE908ELNS1_3gpuE7ELNS1_3repE0EEENS1_30default_config_static_selectorELNS0_4arch9wavefront6targetE1EEEvS13_.has_dyn_sized_stack, 0
	.set _ZN7rocprim17ROCPRIM_400000_NS6detail17trampoline_kernelINS0_13select_configILj256ELj13ELNS0_17block_load_methodE3ELS4_3ELS4_3ELNS0_20block_scan_algorithmE0ELj4294967295EEENS1_25partition_config_selectorILNS1_17partition_subalgoE4EjNS0_10empty_typeEbEEZZNS1_14partition_implILS8_4ELb0ES6_15HIP_vector_typeIjLj2EENS0_17counting_iteratorIjlEEPS9_SG_NS0_5tupleIJPjSI_NS0_16reverse_iteratorISI_EEEEENSH_IJSG_SG_SG_EEES9_SI_JZNS1_25segmented_radix_sort_implINS0_14default_configELb0EPK12hip_bfloat16PSP_PKlPlN2at6native12_GLOBAL__N_18offset_tEEE10hipError_tPvRmT1_PNSt15iterator_traitsIS13_E10value_typeET2_T3_PNS14_IS19_E10value_typeET4_jRbjT5_S1F_jjP12ihipStream_tbEUljE_ZNSN_ISO_Lb0ESR_SS_SU_SV_SZ_EES10_S11_S12_S13_S17_S18_S19_S1C_S1D_jS1E_jS1F_S1F_jjS1H_bEUljE0_EEES10_S11_S12_S19_S1D_S1F_T6_T7_T9_mT8_S1H_bDpT10_ENKUlT_T0_E_clISt17integral_constantIbLb1EES1V_EEDaS1Q_S1R_EUlS1Q_E_NS1_11comp_targetILNS1_3genE3ELNS1_11target_archE908ELNS1_3gpuE7ELNS1_3repE0EEENS1_30default_config_static_selectorELNS0_4arch9wavefront6targetE1EEEvS13_.has_recursion, 0
	.set _ZN7rocprim17ROCPRIM_400000_NS6detail17trampoline_kernelINS0_13select_configILj256ELj13ELNS0_17block_load_methodE3ELS4_3ELS4_3ELNS0_20block_scan_algorithmE0ELj4294967295EEENS1_25partition_config_selectorILNS1_17partition_subalgoE4EjNS0_10empty_typeEbEEZZNS1_14partition_implILS8_4ELb0ES6_15HIP_vector_typeIjLj2EENS0_17counting_iteratorIjlEEPS9_SG_NS0_5tupleIJPjSI_NS0_16reverse_iteratorISI_EEEEENSH_IJSG_SG_SG_EEES9_SI_JZNS1_25segmented_radix_sort_implINS0_14default_configELb0EPK12hip_bfloat16PSP_PKlPlN2at6native12_GLOBAL__N_18offset_tEEE10hipError_tPvRmT1_PNSt15iterator_traitsIS13_E10value_typeET2_T3_PNS14_IS19_E10value_typeET4_jRbjT5_S1F_jjP12ihipStream_tbEUljE_ZNSN_ISO_Lb0ESR_SS_SU_SV_SZ_EES10_S11_S12_S13_S17_S18_S19_S1C_S1D_jS1E_jS1F_S1F_jjS1H_bEUljE0_EEES10_S11_S12_S19_S1D_S1F_T6_T7_T9_mT8_S1H_bDpT10_ENKUlT_T0_E_clISt17integral_constantIbLb1EES1V_EEDaS1Q_S1R_EUlS1Q_E_NS1_11comp_targetILNS1_3genE3ELNS1_11target_archE908ELNS1_3gpuE7ELNS1_3repE0EEENS1_30default_config_static_selectorELNS0_4arch9wavefront6targetE1EEEvS13_.has_indirect_call, 0
	.section	.AMDGPU.csdata,"",@progbits
; Kernel info:
; codeLenInByte = 0
; TotalNumSgprs: 4
; NumVgprs: 0
; ScratchSize: 0
; MemoryBound: 0
; FloatMode: 240
; IeeeMode: 1
; LDSByteSize: 0 bytes/workgroup (compile time only)
; SGPRBlocks: 0
; VGPRBlocks: 0
; NumSGPRsForWavesPerEU: 4
; NumVGPRsForWavesPerEU: 1
; Occupancy: 10
; WaveLimiterHint : 0
; COMPUTE_PGM_RSRC2:SCRATCH_EN: 0
; COMPUTE_PGM_RSRC2:USER_SGPR: 6
; COMPUTE_PGM_RSRC2:TRAP_HANDLER: 0
; COMPUTE_PGM_RSRC2:TGID_X_EN: 1
; COMPUTE_PGM_RSRC2:TGID_Y_EN: 0
; COMPUTE_PGM_RSRC2:TGID_Z_EN: 0
; COMPUTE_PGM_RSRC2:TIDIG_COMP_CNT: 0
	.section	.text._ZN7rocprim17ROCPRIM_400000_NS6detail17trampoline_kernelINS0_13select_configILj256ELj13ELNS0_17block_load_methodE3ELS4_3ELS4_3ELNS0_20block_scan_algorithmE0ELj4294967295EEENS1_25partition_config_selectorILNS1_17partition_subalgoE4EjNS0_10empty_typeEbEEZZNS1_14partition_implILS8_4ELb0ES6_15HIP_vector_typeIjLj2EENS0_17counting_iteratorIjlEEPS9_SG_NS0_5tupleIJPjSI_NS0_16reverse_iteratorISI_EEEEENSH_IJSG_SG_SG_EEES9_SI_JZNS1_25segmented_radix_sort_implINS0_14default_configELb0EPK12hip_bfloat16PSP_PKlPlN2at6native12_GLOBAL__N_18offset_tEEE10hipError_tPvRmT1_PNSt15iterator_traitsIS13_E10value_typeET2_T3_PNS14_IS19_E10value_typeET4_jRbjT5_S1F_jjP12ihipStream_tbEUljE_ZNSN_ISO_Lb0ESR_SS_SU_SV_SZ_EES10_S11_S12_S13_S17_S18_S19_S1C_S1D_jS1E_jS1F_S1F_jjS1H_bEUljE0_EEES10_S11_S12_S19_S1D_S1F_T6_T7_T9_mT8_S1H_bDpT10_ENKUlT_T0_E_clISt17integral_constantIbLb1EES1V_EEDaS1Q_S1R_EUlS1Q_E_NS1_11comp_targetILNS1_3genE2ELNS1_11target_archE906ELNS1_3gpuE6ELNS1_3repE0EEENS1_30default_config_static_selectorELNS0_4arch9wavefront6targetE1EEEvS13_,"axG",@progbits,_ZN7rocprim17ROCPRIM_400000_NS6detail17trampoline_kernelINS0_13select_configILj256ELj13ELNS0_17block_load_methodE3ELS4_3ELS4_3ELNS0_20block_scan_algorithmE0ELj4294967295EEENS1_25partition_config_selectorILNS1_17partition_subalgoE4EjNS0_10empty_typeEbEEZZNS1_14partition_implILS8_4ELb0ES6_15HIP_vector_typeIjLj2EENS0_17counting_iteratorIjlEEPS9_SG_NS0_5tupleIJPjSI_NS0_16reverse_iteratorISI_EEEEENSH_IJSG_SG_SG_EEES9_SI_JZNS1_25segmented_radix_sort_implINS0_14default_configELb0EPK12hip_bfloat16PSP_PKlPlN2at6native12_GLOBAL__N_18offset_tEEE10hipError_tPvRmT1_PNSt15iterator_traitsIS13_E10value_typeET2_T3_PNS14_IS19_E10value_typeET4_jRbjT5_S1F_jjP12ihipStream_tbEUljE_ZNSN_ISO_Lb0ESR_SS_SU_SV_SZ_EES10_S11_S12_S13_S17_S18_S19_S1C_S1D_jS1E_jS1F_S1F_jjS1H_bEUljE0_EEES10_S11_S12_S19_S1D_S1F_T6_T7_T9_mT8_S1H_bDpT10_ENKUlT_T0_E_clISt17integral_constantIbLb1EES1V_EEDaS1Q_S1R_EUlS1Q_E_NS1_11comp_targetILNS1_3genE2ELNS1_11target_archE906ELNS1_3gpuE6ELNS1_3repE0EEENS1_30default_config_static_selectorELNS0_4arch9wavefront6targetE1EEEvS13_,comdat
	.globl	_ZN7rocprim17ROCPRIM_400000_NS6detail17trampoline_kernelINS0_13select_configILj256ELj13ELNS0_17block_load_methodE3ELS4_3ELS4_3ELNS0_20block_scan_algorithmE0ELj4294967295EEENS1_25partition_config_selectorILNS1_17partition_subalgoE4EjNS0_10empty_typeEbEEZZNS1_14partition_implILS8_4ELb0ES6_15HIP_vector_typeIjLj2EENS0_17counting_iteratorIjlEEPS9_SG_NS0_5tupleIJPjSI_NS0_16reverse_iteratorISI_EEEEENSH_IJSG_SG_SG_EEES9_SI_JZNS1_25segmented_radix_sort_implINS0_14default_configELb0EPK12hip_bfloat16PSP_PKlPlN2at6native12_GLOBAL__N_18offset_tEEE10hipError_tPvRmT1_PNSt15iterator_traitsIS13_E10value_typeET2_T3_PNS14_IS19_E10value_typeET4_jRbjT5_S1F_jjP12ihipStream_tbEUljE_ZNSN_ISO_Lb0ESR_SS_SU_SV_SZ_EES10_S11_S12_S13_S17_S18_S19_S1C_S1D_jS1E_jS1F_S1F_jjS1H_bEUljE0_EEES10_S11_S12_S19_S1D_S1F_T6_T7_T9_mT8_S1H_bDpT10_ENKUlT_T0_E_clISt17integral_constantIbLb1EES1V_EEDaS1Q_S1R_EUlS1Q_E_NS1_11comp_targetILNS1_3genE2ELNS1_11target_archE906ELNS1_3gpuE6ELNS1_3repE0EEENS1_30default_config_static_selectorELNS0_4arch9wavefront6targetE1EEEvS13_ ; -- Begin function _ZN7rocprim17ROCPRIM_400000_NS6detail17trampoline_kernelINS0_13select_configILj256ELj13ELNS0_17block_load_methodE3ELS4_3ELS4_3ELNS0_20block_scan_algorithmE0ELj4294967295EEENS1_25partition_config_selectorILNS1_17partition_subalgoE4EjNS0_10empty_typeEbEEZZNS1_14partition_implILS8_4ELb0ES6_15HIP_vector_typeIjLj2EENS0_17counting_iteratorIjlEEPS9_SG_NS0_5tupleIJPjSI_NS0_16reverse_iteratorISI_EEEEENSH_IJSG_SG_SG_EEES9_SI_JZNS1_25segmented_radix_sort_implINS0_14default_configELb0EPK12hip_bfloat16PSP_PKlPlN2at6native12_GLOBAL__N_18offset_tEEE10hipError_tPvRmT1_PNSt15iterator_traitsIS13_E10value_typeET2_T3_PNS14_IS19_E10value_typeET4_jRbjT5_S1F_jjP12ihipStream_tbEUljE_ZNSN_ISO_Lb0ESR_SS_SU_SV_SZ_EES10_S11_S12_S13_S17_S18_S19_S1C_S1D_jS1E_jS1F_S1F_jjS1H_bEUljE0_EEES10_S11_S12_S19_S1D_S1F_T6_T7_T9_mT8_S1H_bDpT10_ENKUlT_T0_E_clISt17integral_constantIbLb1EES1V_EEDaS1Q_S1R_EUlS1Q_E_NS1_11comp_targetILNS1_3genE2ELNS1_11target_archE906ELNS1_3gpuE6ELNS1_3repE0EEENS1_30default_config_static_selectorELNS0_4arch9wavefront6targetE1EEEvS13_
	.p2align	8
	.type	_ZN7rocprim17ROCPRIM_400000_NS6detail17trampoline_kernelINS0_13select_configILj256ELj13ELNS0_17block_load_methodE3ELS4_3ELS4_3ELNS0_20block_scan_algorithmE0ELj4294967295EEENS1_25partition_config_selectorILNS1_17partition_subalgoE4EjNS0_10empty_typeEbEEZZNS1_14partition_implILS8_4ELb0ES6_15HIP_vector_typeIjLj2EENS0_17counting_iteratorIjlEEPS9_SG_NS0_5tupleIJPjSI_NS0_16reverse_iteratorISI_EEEEENSH_IJSG_SG_SG_EEES9_SI_JZNS1_25segmented_radix_sort_implINS0_14default_configELb0EPK12hip_bfloat16PSP_PKlPlN2at6native12_GLOBAL__N_18offset_tEEE10hipError_tPvRmT1_PNSt15iterator_traitsIS13_E10value_typeET2_T3_PNS14_IS19_E10value_typeET4_jRbjT5_S1F_jjP12ihipStream_tbEUljE_ZNSN_ISO_Lb0ESR_SS_SU_SV_SZ_EES10_S11_S12_S13_S17_S18_S19_S1C_S1D_jS1E_jS1F_S1F_jjS1H_bEUljE0_EEES10_S11_S12_S19_S1D_S1F_T6_T7_T9_mT8_S1H_bDpT10_ENKUlT_T0_E_clISt17integral_constantIbLb1EES1V_EEDaS1Q_S1R_EUlS1Q_E_NS1_11comp_targetILNS1_3genE2ELNS1_11target_archE906ELNS1_3gpuE6ELNS1_3repE0EEENS1_30default_config_static_selectorELNS0_4arch9wavefront6targetE1EEEvS13_,@function
_ZN7rocprim17ROCPRIM_400000_NS6detail17trampoline_kernelINS0_13select_configILj256ELj13ELNS0_17block_load_methodE3ELS4_3ELS4_3ELNS0_20block_scan_algorithmE0ELj4294967295EEENS1_25partition_config_selectorILNS1_17partition_subalgoE4EjNS0_10empty_typeEbEEZZNS1_14partition_implILS8_4ELb0ES6_15HIP_vector_typeIjLj2EENS0_17counting_iteratorIjlEEPS9_SG_NS0_5tupleIJPjSI_NS0_16reverse_iteratorISI_EEEEENSH_IJSG_SG_SG_EEES9_SI_JZNS1_25segmented_radix_sort_implINS0_14default_configELb0EPK12hip_bfloat16PSP_PKlPlN2at6native12_GLOBAL__N_18offset_tEEE10hipError_tPvRmT1_PNSt15iterator_traitsIS13_E10value_typeET2_T3_PNS14_IS19_E10value_typeET4_jRbjT5_S1F_jjP12ihipStream_tbEUljE_ZNSN_ISO_Lb0ESR_SS_SU_SV_SZ_EES10_S11_S12_S13_S17_S18_S19_S1C_S1D_jS1E_jS1F_S1F_jjS1H_bEUljE0_EEES10_S11_S12_S19_S1D_S1F_T6_T7_T9_mT8_S1H_bDpT10_ENKUlT_T0_E_clISt17integral_constantIbLb1EES1V_EEDaS1Q_S1R_EUlS1Q_E_NS1_11comp_targetILNS1_3genE2ELNS1_11target_archE906ELNS1_3gpuE6ELNS1_3repE0EEENS1_30default_config_static_selectorELNS0_4arch9wavefront6targetE1EEEvS13_: ; @_ZN7rocprim17ROCPRIM_400000_NS6detail17trampoline_kernelINS0_13select_configILj256ELj13ELNS0_17block_load_methodE3ELS4_3ELS4_3ELNS0_20block_scan_algorithmE0ELj4294967295EEENS1_25partition_config_selectorILNS1_17partition_subalgoE4EjNS0_10empty_typeEbEEZZNS1_14partition_implILS8_4ELb0ES6_15HIP_vector_typeIjLj2EENS0_17counting_iteratorIjlEEPS9_SG_NS0_5tupleIJPjSI_NS0_16reverse_iteratorISI_EEEEENSH_IJSG_SG_SG_EEES9_SI_JZNS1_25segmented_radix_sort_implINS0_14default_configELb0EPK12hip_bfloat16PSP_PKlPlN2at6native12_GLOBAL__N_18offset_tEEE10hipError_tPvRmT1_PNSt15iterator_traitsIS13_E10value_typeET2_T3_PNS14_IS19_E10value_typeET4_jRbjT5_S1F_jjP12ihipStream_tbEUljE_ZNSN_ISO_Lb0ESR_SS_SU_SV_SZ_EES10_S11_S12_S13_S17_S18_S19_S1C_S1D_jS1E_jS1F_S1F_jjS1H_bEUljE0_EEES10_S11_S12_S19_S1D_S1F_T6_T7_T9_mT8_S1H_bDpT10_ENKUlT_T0_E_clISt17integral_constantIbLb1EES1V_EEDaS1Q_S1R_EUlS1Q_E_NS1_11comp_targetILNS1_3genE2ELNS1_11target_archE906ELNS1_3gpuE6ELNS1_3repE0EEENS1_30default_config_static_selectorELNS0_4arch9wavefront6targetE1EEEvS13_
; %bb.0:
	s_endpgm
	.section	.rodata,"a",@progbits
	.p2align	6, 0x0
	.amdhsa_kernel _ZN7rocprim17ROCPRIM_400000_NS6detail17trampoline_kernelINS0_13select_configILj256ELj13ELNS0_17block_load_methodE3ELS4_3ELS4_3ELNS0_20block_scan_algorithmE0ELj4294967295EEENS1_25partition_config_selectorILNS1_17partition_subalgoE4EjNS0_10empty_typeEbEEZZNS1_14partition_implILS8_4ELb0ES6_15HIP_vector_typeIjLj2EENS0_17counting_iteratorIjlEEPS9_SG_NS0_5tupleIJPjSI_NS0_16reverse_iteratorISI_EEEEENSH_IJSG_SG_SG_EEES9_SI_JZNS1_25segmented_radix_sort_implINS0_14default_configELb0EPK12hip_bfloat16PSP_PKlPlN2at6native12_GLOBAL__N_18offset_tEEE10hipError_tPvRmT1_PNSt15iterator_traitsIS13_E10value_typeET2_T3_PNS14_IS19_E10value_typeET4_jRbjT5_S1F_jjP12ihipStream_tbEUljE_ZNSN_ISO_Lb0ESR_SS_SU_SV_SZ_EES10_S11_S12_S13_S17_S18_S19_S1C_S1D_jS1E_jS1F_S1F_jjS1H_bEUljE0_EEES10_S11_S12_S19_S1D_S1F_T6_T7_T9_mT8_S1H_bDpT10_ENKUlT_T0_E_clISt17integral_constantIbLb1EES1V_EEDaS1Q_S1R_EUlS1Q_E_NS1_11comp_targetILNS1_3genE2ELNS1_11target_archE906ELNS1_3gpuE6ELNS1_3repE0EEENS1_30default_config_static_selectorELNS0_4arch9wavefront6targetE1EEEvS13_
		.amdhsa_group_segment_fixed_size 0
		.amdhsa_private_segment_fixed_size 0
		.amdhsa_kernarg_size 184
		.amdhsa_user_sgpr_count 6
		.amdhsa_user_sgpr_private_segment_buffer 1
		.amdhsa_user_sgpr_dispatch_ptr 0
		.amdhsa_user_sgpr_queue_ptr 0
		.amdhsa_user_sgpr_kernarg_segment_ptr 1
		.amdhsa_user_sgpr_dispatch_id 0
		.amdhsa_user_sgpr_flat_scratch_init 0
		.amdhsa_user_sgpr_private_segment_size 0
		.amdhsa_uses_dynamic_stack 0
		.amdhsa_system_sgpr_private_segment_wavefront_offset 0
		.amdhsa_system_sgpr_workgroup_id_x 1
		.amdhsa_system_sgpr_workgroup_id_y 0
		.amdhsa_system_sgpr_workgroup_id_z 0
		.amdhsa_system_sgpr_workgroup_info 0
		.amdhsa_system_vgpr_workitem_id 0
		.amdhsa_next_free_vgpr 1
		.amdhsa_next_free_sgpr 0
		.amdhsa_reserve_vcc 0
		.amdhsa_reserve_flat_scratch 0
		.amdhsa_float_round_mode_32 0
		.amdhsa_float_round_mode_16_64 0
		.amdhsa_float_denorm_mode_32 3
		.amdhsa_float_denorm_mode_16_64 3
		.amdhsa_dx10_clamp 1
		.amdhsa_ieee_mode 1
		.amdhsa_fp16_overflow 0
		.amdhsa_exception_fp_ieee_invalid_op 0
		.amdhsa_exception_fp_denorm_src 0
		.amdhsa_exception_fp_ieee_div_zero 0
		.amdhsa_exception_fp_ieee_overflow 0
		.amdhsa_exception_fp_ieee_underflow 0
		.amdhsa_exception_fp_ieee_inexact 0
		.amdhsa_exception_int_div_zero 0
	.end_amdhsa_kernel
	.section	.text._ZN7rocprim17ROCPRIM_400000_NS6detail17trampoline_kernelINS0_13select_configILj256ELj13ELNS0_17block_load_methodE3ELS4_3ELS4_3ELNS0_20block_scan_algorithmE0ELj4294967295EEENS1_25partition_config_selectorILNS1_17partition_subalgoE4EjNS0_10empty_typeEbEEZZNS1_14partition_implILS8_4ELb0ES6_15HIP_vector_typeIjLj2EENS0_17counting_iteratorIjlEEPS9_SG_NS0_5tupleIJPjSI_NS0_16reverse_iteratorISI_EEEEENSH_IJSG_SG_SG_EEES9_SI_JZNS1_25segmented_radix_sort_implINS0_14default_configELb0EPK12hip_bfloat16PSP_PKlPlN2at6native12_GLOBAL__N_18offset_tEEE10hipError_tPvRmT1_PNSt15iterator_traitsIS13_E10value_typeET2_T3_PNS14_IS19_E10value_typeET4_jRbjT5_S1F_jjP12ihipStream_tbEUljE_ZNSN_ISO_Lb0ESR_SS_SU_SV_SZ_EES10_S11_S12_S13_S17_S18_S19_S1C_S1D_jS1E_jS1F_S1F_jjS1H_bEUljE0_EEES10_S11_S12_S19_S1D_S1F_T6_T7_T9_mT8_S1H_bDpT10_ENKUlT_T0_E_clISt17integral_constantIbLb1EES1V_EEDaS1Q_S1R_EUlS1Q_E_NS1_11comp_targetILNS1_3genE2ELNS1_11target_archE906ELNS1_3gpuE6ELNS1_3repE0EEENS1_30default_config_static_selectorELNS0_4arch9wavefront6targetE1EEEvS13_,"axG",@progbits,_ZN7rocprim17ROCPRIM_400000_NS6detail17trampoline_kernelINS0_13select_configILj256ELj13ELNS0_17block_load_methodE3ELS4_3ELS4_3ELNS0_20block_scan_algorithmE0ELj4294967295EEENS1_25partition_config_selectorILNS1_17partition_subalgoE4EjNS0_10empty_typeEbEEZZNS1_14partition_implILS8_4ELb0ES6_15HIP_vector_typeIjLj2EENS0_17counting_iteratorIjlEEPS9_SG_NS0_5tupleIJPjSI_NS0_16reverse_iteratorISI_EEEEENSH_IJSG_SG_SG_EEES9_SI_JZNS1_25segmented_radix_sort_implINS0_14default_configELb0EPK12hip_bfloat16PSP_PKlPlN2at6native12_GLOBAL__N_18offset_tEEE10hipError_tPvRmT1_PNSt15iterator_traitsIS13_E10value_typeET2_T3_PNS14_IS19_E10value_typeET4_jRbjT5_S1F_jjP12ihipStream_tbEUljE_ZNSN_ISO_Lb0ESR_SS_SU_SV_SZ_EES10_S11_S12_S13_S17_S18_S19_S1C_S1D_jS1E_jS1F_S1F_jjS1H_bEUljE0_EEES10_S11_S12_S19_S1D_S1F_T6_T7_T9_mT8_S1H_bDpT10_ENKUlT_T0_E_clISt17integral_constantIbLb1EES1V_EEDaS1Q_S1R_EUlS1Q_E_NS1_11comp_targetILNS1_3genE2ELNS1_11target_archE906ELNS1_3gpuE6ELNS1_3repE0EEENS1_30default_config_static_selectorELNS0_4arch9wavefront6targetE1EEEvS13_,comdat
.Lfunc_end1997:
	.size	_ZN7rocprim17ROCPRIM_400000_NS6detail17trampoline_kernelINS0_13select_configILj256ELj13ELNS0_17block_load_methodE3ELS4_3ELS4_3ELNS0_20block_scan_algorithmE0ELj4294967295EEENS1_25partition_config_selectorILNS1_17partition_subalgoE4EjNS0_10empty_typeEbEEZZNS1_14partition_implILS8_4ELb0ES6_15HIP_vector_typeIjLj2EENS0_17counting_iteratorIjlEEPS9_SG_NS0_5tupleIJPjSI_NS0_16reverse_iteratorISI_EEEEENSH_IJSG_SG_SG_EEES9_SI_JZNS1_25segmented_radix_sort_implINS0_14default_configELb0EPK12hip_bfloat16PSP_PKlPlN2at6native12_GLOBAL__N_18offset_tEEE10hipError_tPvRmT1_PNSt15iterator_traitsIS13_E10value_typeET2_T3_PNS14_IS19_E10value_typeET4_jRbjT5_S1F_jjP12ihipStream_tbEUljE_ZNSN_ISO_Lb0ESR_SS_SU_SV_SZ_EES10_S11_S12_S13_S17_S18_S19_S1C_S1D_jS1E_jS1F_S1F_jjS1H_bEUljE0_EEES10_S11_S12_S19_S1D_S1F_T6_T7_T9_mT8_S1H_bDpT10_ENKUlT_T0_E_clISt17integral_constantIbLb1EES1V_EEDaS1Q_S1R_EUlS1Q_E_NS1_11comp_targetILNS1_3genE2ELNS1_11target_archE906ELNS1_3gpuE6ELNS1_3repE0EEENS1_30default_config_static_selectorELNS0_4arch9wavefront6targetE1EEEvS13_, .Lfunc_end1997-_ZN7rocprim17ROCPRIM_400000_NS6detail17trampoline_kernelINS0_13select_configILj256ELj13ELNS0_17block_load_methodE3ELS4_3ELS4_3ELNS0_20block_scan_algorithmE0ELj4294967295EEENS1_25partition_config_selectorILNS1_17partition_subalgoE4EjNS0_10empty_typeEbEEZZNS1_14partition_implILS8_4ELb0ES6_15HIP_vector_typeIjLj2EENS0_17counting_iteratorIjlEEPS9_SG_NS0_5tupleIJPjSI_NS0_16reverse_iteratorISI_EEEEENSH_IJSG_SG_SG_EEES9_SI_JZNS1_25segmented_radix_sort_implINS0_14default_configELb0EPK12hip_bfloat16PSP_PKlPlN2at6native12_GLOBAL__N_18offset_tEEE10hipError_tPvRmT1_PNSt15iterator_traitsIS13_E10value_typeET2_T3_PNS14_IS19_E10value_typeET4_jRbjT5_S1F_jjP12ihipStream_tbEUljE_ZNSN_ISO_Lb0ESR_SS_SU_SV_SZ_EES10_S11_S12_S13_S17_S18_S19_S1C_S1D_jS1E_jS1F_S1F_jjS1H_bEUljE0_EEES10_S11_S12_S19_S1D_S1F_T6_T7_T9_mT8_S1H_bDpT10_ENKUlT_T0_E_clISt17integral_constantIbLb1EES1V_EEDaS1Q_S1R_EUlS1Q_E_NS1_11comp_targetILNS1_3genE2ELNS1_11target_archE906ELNS1_3gpuE6ELNS1_3repE0EEENS1_30default_config_static_selectorELNS0_4arch9wavefront6targetE1EEEvS13_
                                        ; -- End function
	.set _ZN7rocprim17ROCPRIM_400000_NS6detail17trampoline_kernelINS0_13select_configILj256ELj13ELNS0_17block_load_methodE3ELS4_3ELS4_3ELNS0_20block_scan_algorithmE0ELj4294967295EEENS1_25partition_config_selectorILNS1_17partition_subalgoE4EjNS0_10empty_typeEbEEZZNS1_14partition_implILS8_4ELb0ES6_15HIP_vector_typeIjLj2EENS0_17counting_iteratorIjlEEPS9_SG_NS0_5tupleIJPjSI_NS0_16reverse_iteratorISI_EEEEENSH_IJSG_SG_SG_EEES9_SI_JZNS1_25segmented_radix_sort_implINS0_14default_configELb0EPK12hip_bfloat16PSP_PKlPlN2at6native12_GLOBAL__N_18offset_tEEE10hipError_tPvRmT1_PNSt15iterator_traitsIS13_E10value_typeET2_T3_PNS14_IS19_E10value_typeET4_jRbjT5_S1F_jjP12ihipStream_tbEUljE_ZNSN_ISO_Lb0ESR_SS_SU_SV_SZ_EES10_S11_S12_S13_S17_S18_S19_S1C_S1D_jS1E_jS1F_S1F_jjS1H_bEUljE0_EEES10_S11_S12_S19_S1D_S1F_T6_T7_T9_mT8_S1H_bDpT10_ENKUlT_T0_E_clISt17integral_constantIbLb1EES1V_EEDaS1Q_S1R_EUlS1Q_E_NS1_11comp_targetILNS1_3genE2ELNS1_11target_archE906ELNS1_3gpuE6ELNS1_3repE0EEENS1_30default_config_static_selectorELNS0_4arch9wavefront6targetE1EEEvS13_.num_vgpr, 0
	.set _ZN7rocprim17ROCPRIM_400000_NS6detail17trampoline_kernelINS0_13select_configILj256ELj13ELNS0_17block_load_methodE3ELS4_3ELS4_3ELNS0_20block_scan_algorithmE0ELj4294967295EEENS1_25partition_config_selectorILNS1_17partition_subalgoE4EjNS0_10empty_typeEbEEZZNS1_14partition_implILS8_4ELb0ES6_15HIP_vector_typeIjLj2EENS0_17counting_iteratorIjlEEPS9_SG_NS0_5tupleIJPjSI_NS0_16reverse_iteratorISI_EEEEENSH_IJSG_SG_SG_EEES9_SI_JZNS1_25segmented_radix_sort_implINS0_14default_configELb0EPK12hip_bfloat16PSP_PKlPlN2at6native12_GLOBAL__N_18offset_tEEE10hipError_tPvRmT1_PNSt15iterator_traitsIS13_E10value_typeET2_T3_PNS14_IS19_E10value_typeET4_jRbjT5_S1F_jjP12ihipStream_tbEUljE_ZNSN_ISO_Lb0ESR_SS_SU_SV_SZ_EES10_S11_S12_S13_S17_S18_S19_S1C_S1D_jS1E_jS1F_S1F_jjS1H_bEUljE0_EEES10_S11_S12_S19_S1D_S1F_T6_T7_T9_mT8_S1H_bDpT10_ENKUlT_T0_E_clISt17integral_constantIbLb1EES1V_EEDaS1Q_S1R_EUlS1Q_E_NS1_11comp_targetILNS1_3genE2ELNS1_11target_archE906ELNS1_3gpuE6ELNS1_3repE0EEENS1_30default_config_static_selectorELNS0_4arch9wavefront6targetE1EEEvS13_.num_agpr, 0
	.set _ZN7rocprim17ROCPRIM_400000_NS6detail17trampoline_kernelINS0_13select_configILj256ELj13ELNS0_17block_load_methodE3ELS4_3ELS4_3ELNS0_20block_scan_algorithmE0ELj4294967295EEENS1_25partition_config_selectorILNS1_17partition_subalgoE4EjNS0_10empty_typeEbEEZZNS1_14partition_implILS8_4ELb0ES6_15HIP_vector_typeIjLj2EENS0_17counting_iteratorIjlEEPS9_SG_NS0_5tupleIJPjSI_NS0_16reverse_iteratorISI_EEEEENSH_IJSG_SG_SG_EEES9_SI_JZNS1_25segmented_radix_sort_implINS0_14default_configELb0EPK12hip_bfloat16PSP_PKlPlN2at6native12_GLOBAL__N_18offset_tEEE10hipError_tPvRmT1_PNSt15iterator_traitsIS13_E10value_typeET2_T3_PNS14_IS19_E10value_typeET4_jRbjT5_S1F_jjP12ihipStream_tbEUljE_ZNSN_ISO_Lb0ESR_SS_SU_SV_SZ_EES10_S11_S12_S13_S17_S18_S19_S1C_S1D_jS1E_jS1F_S1F_jjS1H_bEUljE0_EEES10_S11_S12_S19_S1D_S1F_T6_T7_T9_mT8_S1H_bDpT10_ENKUlT_T0_E_clISt17integral_constantIbLb1EES1V_EEDaS1Q_S1R_EUlS1Q_E_NS1_11comp_targetILNS1_3genE2ELNS1_11target_archE906ELNS1_3gpuE6ELNS1_3repE0EEENS1_30default_config_static_selectorELNS0_4arch9wavefront6targetE1EEEvS13_.numbered_sgpr, 0
	.set _ZN7rocprim17ROCPRIM_400000_NS6detail17trampoline_kernelINS0_13select_configILj256ELj13ELNS0_17block_load_methodE3ELS4_3ELS4_3ELNS0_20block_scan_algorithmE0ELj4294967295EEENS1_25partition_config_selectorILNS1_17partition_subalgoE4EjNS0_10empty_typeEbEEZZNS1_14partition_implILS8_4ELb0ES6_15HIP_vector_typeIjLj2EENS0_17counting_iteratorIjlEEPS9_SG_NS0_5tupleIJPjSI_NS0_16reverse_iteratorISI_EEEEENSH_IJSG_SG_SG_EEES9_SI_JZNS1_25segmented_radix_sort_implINS0_14default_configELb0EPK12hip_bfloat16PSP_PKlPlN2at6native12_GLOBAL__N_18offset_tEEE10hipError_tPvRmT1_PNSt15iterator_traitsIS13_E10value_typeET2_T3_PNS14_IS19_E10value_typeET4_jRbjT5_S1F_jjP12ihipStream_tbEUljE_ZNSN_ISO_Lb0ESR_SS_SU_SV_SZ_EES10_S11_S12_S13_S17_S18_S19_S1C_S1D_jS1E_jS1F_S1F_jjS1H_bEUljE0_EEES10_S11_S12_S19_S1D_S1F_T6_T7_T9_mT8_S1H_bDpT10_ENKUlT_T0_E_clISt17integral_constantIbLb1EES1V_EEDaS1Q_S1R_EUlS1Q_E_NS1_11comp_targetILNS1_3genE2ELNS1_11target_archE906ELNS1_3gpuE6ELNS1_3repE0EEENS1_30default_config_static_selectorELNS0_4arch9wavefront6targetE1EEEvS13_.num_named_barrier, 0
	.set _ZN7rocprim17ROCPRIM_400000_NS6detail17trampoline_kernelINS0_13select_configILj256ELj13ELNS0_17block_load_methodE3ELS4_3ELS4_3ELNS0_20block_scan_algorithmE0ELj4294967295EEENS1_25partition_config_selectorILNS1_17partition_subalgoE4EjNS0_10empty_typeEbEEZZNS1_14partition_implILS8_4ELb0ES6_15HIP_vector_typeIjLj2EENS0_17counting_iteratorIjlEEPS9_SG_NS0_5tupleIJPjSI_NS0_16reverse_iteratorISI_EEEEENSH_IJSG_SG_SG_EEES9_SI_JZNS1_25segmented_radix_sort_implINS0_14default_configELb0EPK12hip_bfloat16PSP_PKlPlN2at6native12_GLOBAL__N_18offset_tEEE10hipError_tPvRmT1_PNSt15iterator_traitsIS13_E10value_typeET2_T3_PNS14_IS19_E10value_typeET4_jRbjT5_S1F_jjP12ihipStream_tbEUljE_ZNSN_ISO_Lb0ESR_SS_SU_SV_SZ_EES10_S11_S12_S13_S17_S18_S19_S1C_S1D_jS1E_jS1F_S1F_jjS1H_bEUljE0_EEES10_S11_S12_S19_S1D_S1F_T6_T7_T9_mT8_S1H_bDpT10_ENKUlT_T0_E_clISt17integral_constantIbLb1EES1V_EEDaS1Q_S1R_EUlS1Q_E_NS1_11comp_targetILNS1_3genE2ELNS1_11target_archE906ELNS1_3gpuE6ELNS1_3repE0EEENS1_30default_config_static_selectorELNS0_4arch9wavefront6targetE1EEEvS13_.private_seg_size, 0
	.set _ZN7rocprim17ROCPRIM_400000_NS6detail17trampoline_kernelINS0_13select_configILj256ELj13ELNS0_17block_load_methodE3ELS4_3ELS4_3ELNS0_20block_scan_algorithmE0ELj4294967295EEENS1_25partition_config_selectorILNS1_17partition_subalgoE4EjNS0_10empty_typeEbEEZZNS1_14partition_implILS8_4ELb0ES6_15HIP_vector_typeIjLj2EENS0_17counting_iteratorIjlEEPS9_SG_NS0_5tupleIJPjSI_NS0_16reverse_iteratorISI_EEEEENSH_IJSG_SG_SG_EEES9_SI_JZNS1_25segmented_radix_sort_implINS0_14default_configELb0EPK12hip_bfloat16PSP_PKlPlN2at6native12_GLOBAL__N_18offset_tEEE10hipError_tPvRmT1_PNSt15iterator_traitsIS13_E10value_typeET2_T3_PNS14_IS19_E10value_typeET4_jRbjT5_S1F_jjP12ihipStream_tbEUljE_ZNSN_ISO_Lb0ESR_SS_SU_SV_SZ_EES10_S11_S12_S13_S17_S18_S19_S1C_S1D_jS1E_jS1F_S1F_jjS1H_bEUljE0_EEES10_S11_S12_S19_S1D_S1F_T6_T7_T9_mT8_S1H_bDpT10_ENKUlT_T0_E_clISt17integral_constantIbLb1EES1V_EEDaS1Q_S1R_EUlS1Q_E_NS1_11comp_targetILNS1_3genE2ELNS1_11target_archE906ELNS1_3gpuE6ELNS1_3repE0EEENS1_30default_config_static_selectorELNS0_4arch9wavefront6targetE1EEEvS13_.uses_vcc, 0
	.set _ZN7rocprim17ROCPRIM_400000_NS6detail17trampoline_kernelINS0_13select_configILj256ELj13ELNS0_17block_load_methodE3ELS4_3ELS4_3ELNS0_20block_scan_algorithmE0ELj4294967295EEENS1_25partition_config_selectorILNS1_17partition_subalgoE4EjNS0_10empty_typeEbEEZZNS1_14partition_implILS8_4ELb0ES6_15HIP_vector_typeIjLj2EENS0_17counting_iteratorIjlEEPS9_SG_NS0_5tupleIJPjSI_NS0_16reverse_iteratorISI_EEEEENSH_IJSG_SG_SG_EEES9_SI_JZNS1_25segmented_radix_sort_implINS0_14default_configELb0EPK12hip_bfloat16PSP_PKlPlN2at6native12_GLOBAL__N_18offset_tEEE10hipError_tPvRmT1_PNSt15iterator_traitsIS13_E10value_typeET2_T3_PNS14_IS19_E10value_typeET4_jRbjT5_S1F_jjP12ihipStream_tbEUljE_ZNSN_ISO_Lb0ESR_SS_SU_SV_SZ_EES10_S11_S12_S13_S17_S18_S19_S1C_S1D_jS1E_jS1F_S1F_jjS1H_bEUljE0_EEES10_S11_S12_S19_S1D_S1F_T6_T7_T9_mT8_S1H_bDpT10_ENKUlT_T0_E_clISt17integral_constantIbLb1EES1V_EEDaS1Q_S1R_EUlS1Q_E_NS1_11comp_targetILNS1_3genE2ELNS1_11target_archE906ELNS1_3gpuE6ELNS1_3repE0EEENS1_30default_config_static_selectorELNS0_4arch9wavefront6targetE1EEEvS13_.uses_flat_scratch, 0
	.set _ZN7rocprim17ROCPRIM_400000_NS6detail17trampoline_kernelINS0_13select_configILj256ELj13ELNS0_17block_load_methodE3ELS4_3ELS4_3ELNS0_20block_scan_algorithmE0ELj4294967295EEENS1_25partition_config_selectorILNS1_17partition_subalgoE4EjNS0_10empty_typeEbEEZZNS1_14partition_implILS8_4ELb0ES6_15HIP_vector_typeIjLj2EENS0_17counting_iteratorIjlEEPS9_SG_NS0_5tupleIJPjSI_NS0_16reverse_iteratorISI_EEEEENSH_IJSG_SG_SG_EEES9_SI_JZNS1_25segmented_radix_sort_implINS0_14default_configELb0EPK12hip_bfloat16PSP_PKlPlN2at6native12_GLOBAL__N_18offset_tEEE10hipError_tPvRmT1_PNSt15iterator_traitsIS13_E10value_typeET2_T3_PNS14_IS19_E10value_typeET4_jRbjT5_S1F_jjP12ihipStream_tbEUljE_ZNSN_ISO_Lb0ESR_SS_SU_SV_SZ_EES10_S11_S12_S13_S17_S18_S19_S1C_S1D_jS1E_jS1F_S1F_jjS1H_bEUljE0_EEES10_S11_S12_S19_S1D_S1F_T6_T7_T9_mT8_S1H_bDpT10_ENKUlT_T0_E_clISt17integral_constantIbLb1EES1V_EEDaS1Q_S1R_EUlS1Q_E_NS1_11comp_targetILNS1_3genE2ELNS1_11target_archE906ELNS1_3gpuE6ELNS1_3repE0EEENS1_30default_config_static_selectorELNS0_4arch9wavefront6targetE1EEEvS13_.has_dyn_sized_stack, 0
	.set _ZN7rocprim17ROCPRIM_400000_NS6detail17trampoline_kernelINS0_13select_configILj256ELj13ELNS0_17block_load_methodE3ELS4_3ELS4_3ELNS0_20block_scan_algorithmE0ELj4294967295EEENS1_25partition_config_selectorILNS1_17partition_subalgoE4EjNS0_10empty_typeEbEEZZNS1_14partition_implILS8_4ELb0ES6_15HIP_vector_typeIjLj2EENS0_17counting_iteratorIjlEEPS9_SG_NS0_5tupleIJPjSI_NS0_16reverse_iteratorISI_EEEEENSH_IJSG_SG_SG_EEES9_SI_JZNS1_25segmented_radix_sort_implINS0_14default_configELb0EPK12hip_bfloat16PSP_PKlPlN2at6native12_GLOBAL__N_18offset_tEEE10hipError_tPvRmT1_PNSt15iterator_traitsIS13_E10value_typeET2_T3_PNS14_IS19_E10value_typeET4_jRbjT5_S1F_jjP12ihipStream_tbEUljE_ZNSN_ISO_Lb0ESR_SS_SU_SV_SZ_EES10_S11_S12_S13_S17_S18_S19_S1C_S1D_jS1E_jS1F_S1F_jjS1H_bEUljE0_EEES10_S11_S12_S19_S1D_S1F_T6_T7_T9_mT8_S1H_bDpT10_ENKUlT_T0_E_clISt17integral_constantIbLb1EES1V_EEDaS1Q_S1R_EUlS1Q_E_NS1_11comp_targetILNS1_3genE2ELNS1_11target_archE906ELNS1_3gpuE6ELNS1_3repE0EEENS1_30default_config_static_selectorELNS0_4arch9wavefront6targetE1EEEvS13_.has_recursion, 0
	.set _ZN7rocprim17ROCPRIM_400000_NS6detail17trampoline_kernelINS0_13select_configILj256ELj13ELNS0_17block_load_methodE3ELS4_3ELS4_3ELNS0_20block_scan_algorithmE0ELj4294967295EEENS1_25partition_config_selectorILNS1_17partition_subalgoE4EjNS0_10empty_typeEbEEZZNS1_14partition_implILS8_4ELb0ES6_15HIP_vector_typeIjLj2EENS0_17counting_iteratorIjlEEPS9_SG_NS0_5tupleIJPjSI_NS0_16reverse_iteratorISI_EEEEENSH_IJSG_SG_SG_EEES9_SI_JZNS1_25segmented_radix_sort_implINS0_14default_configELb0EPK12hip_bfloat16PSP_PKlPlN2at6native12_GLOBAL__N_18offset_tEEE10hipError_tPvRmT1_PNSt15iterator_traitsIS13_E10value_typeET2_T3_PNS14_IS19_E10value_typeET4_jRbjT5_S1F_jjP12ihipStream_tbEUljE_ZNSN_ISO_Lb0ESR_SS_SU_SV_SZ_EES10_S11_S12_S13_S17_S18_S19_S1C_S1D_jS1E_jS1F_S1F_jjS1H_bEUljE0_EEES10_S11_S12_S19_S1D_S1F_T6_T7_T9_mT8_S1H_bDpT10_ENKUlT_T0_E_clISt17integral_constantIbLb1EES1V_EEDaS1Q_S1R_EUlS1Q_E_NS1_11comp_targetILNS1_3genE2ELNS1_11target_archE906ELNS1_3gpuE6ELNS1_3repE0EEENS1_30default_config_static_selectorELNS0_4arch9wavefront6targetE1EEEvS13_.has_indirect_call, 0
	.section	.AMDGPU.csdata,"",@progbits
; Kernel info:
; codeLenInByte = 4
; TotalNumSgprs: 4
; NumVgprs: 0
; ScratchSize: 0
; MemoryBound: 0
; FloatMode: 240
; IeeeMode: 1
; LDSByteSize: 0 bytes/workgroup (compile time only)
; SGPRBlocks: 0
; VGPRBlocks: 0
; NumSGPRsForWavesPerEU: 4
; NumVGPRsForWavesPerEU: 1
; Occupancy: 10
; WaveLimiterHint : 0
; COMPUTE_PGM_RSRC2:SCRATCH_EN: 0
; COMPUTE_PGM_RSRC2:USER_SGPR: 6
; COMPUTE_PGM_RSRC2:TRAP_HANDLER: 0
; COMPUTE_PGM_RSRC2:TGID_X_EN: 1
; COMPUTE_PGM_RSRC2:TGID_Y_EN: 0
; COMPUTE_PGM_RSRC2:TGID_Z_EN: 0
; COMPUTE_PGM_RSRC2:TIDIG_COMP_CNT: 0
	.section	.text._ZN7rocprim17ROCPRIM_400000_NS6detail17trampoline_kernelINS0_13select_configILj256ELj13ELNS0_17block_load_methodE3ELS4_3ELS4_3ELNS0_20block_scan_algorithmE0ELj4294967295EEENS1_25partition_config_selectorILNS1_17partition_subalgoE4EjNS0_10empty_typeEbEEZZNS1_14partition_implILS8_4ELb0ES6_15HIP_vector_typeIjLj2EENS0_17counting_iteratorIjlEEPS9_SG_NS0_5tupleIJPjSI_NS0_16reverse_iteratorISI_EEEEENSH_IJSG_SG_SG_EEES9_SI_JZNS1_25segmented_radix_sort_implINS0_14default_configELb0EPK12hip_bfloat16PSP_PKlPlN2at6native12_GLOBAL__N_18offset_tEEE10hipError_tPvRmT1_PNSt15iterator_traitsIS13_E10value_typeET2_T3_PNS14_IS19_E10value_typeET4_jRbjT5_S1F_jjP12ihipStream_tbEUljE_ZNSN_ISO_Lb0ESR_SS_SU_SV_SZ_EES10_S11_S12_S13_S17_S18_S19_S1C_S1D_jS1E_jS1F_S1F_jjS1H_bEUljE0_EEES10_S11_S12_S19_S1D_S1F_T6_T7_T9_mT8_S1H_bDpT10_ENKUlT_T0_E_clISt17integral_constantIbLb1EES1V_EEDaS1Q_S1R_EUlS1Q_E_NS1_11comp_targetILNS1_3genE10ELNS1_11target_archE1200ELNS1_3gpuE4ELNS1_3repE0EEENS1_30default_config_static_selectorELNS0_4arch9wavefront6targetE1EEEvS13_,"axG",@progbits,_ZN7rocprim17ROCPRIM_400000_NS6detail17trampoline_kernelINS0_13select_configILj256ELj13ELNS0_17block_load_methodE3ELS4_3ELS4_3ELNS0_20block_scan_algorithmE0ELj4294967295EEENS1_25partition_config_selectorILNS1_17partition_subalgoE4EjNS0_10empty_typeEbEEZZNS1_14partition_implILS8_4ELb0ES6_15HIP_vector_typeIjLj2EENS0_17counting_iteratorIjlEEPS9_SG_NS0_5tupleIJPjSI_NS0_16reverse_iteratorISI_EEEEENSH_IJSG_SG_SG_EEES9_SI_JZNS1_25segmented_radix_sort_implINS0_14default_configELb0EPK12hip_bfloat16PSP_PKlPlN2at6native12_GLOBAL__N_18offset_tEEE10hipError_tPvRmT1_PNSt15iterator_traitsIS13_E10value_typeET2_T3_PNS14_IS19_E10value_typeET4_jRbjT5_S1F_jjP12ihipStream_tbEUljE_ZNSN_ISO_Lb0ESR_SS_SU_SV_SZ_EES10_S11_S12_S13_S17_S18_S19_S1C_S1D_jS1E_jS1F_S1F_jjS1H_bEUljE0_EEES10_S11_S12_S19_S1D_S1F_T6_T7_T9_mT8_S1H_bDpT10_ENKUlT_T0_E_clISt17integral_constantIbLb1EES1V_EEDaS1Q_S1R_EUlS1Q_E_NS1_11comp_targetILNS1_3genE10ELNS1_11target_archE1200ELNS1_3gpuE4ELNS1_3repE0EEENS1_30default_config_static_selectorELNS0_4arch9wavefront6targetE1EEEvS13_,comdat
	.globl	_ZN7rocprim17ROCPRIM_400000_NS6detail17trampoline_kernelINS0_13select_configILj256ELj13ELNS0_17block_load_methodE3ELS4_3ELS4_3ELNS0_20block_scan_algorithmE0ELj4294967295EEENS1_25partition_config_selectorILNS1_17partition_subalgoE4EjNS0_10empty_typeEbEEZZNS1_14partition_implILS8_4ELb0ES6_15HIP_vector_typeIjLj2EENS0_17counting_iteratorIjlEEPS9_SG_NS0_5tupleIJPjSI_NS0_16reverse_iteratorISI_EEEEENSH_IJSG_SG_SG_EEES9_SI_JZNS1_25segmented_radix_sort_implINS0_14default_configELb0EPK12hip_bfloat16PSP_PKlPlN2at6native12_GLOBAL__N_18offset_tEEE10hipError_tPvRmT1_PNSt15iterator_traitsIS13_E10value_typeET2_T3_PNS14_IS19_E10value_typeET4_jRbjT5_S1F_jjP12ihipStream_tbEUljE_ZNSN_ISO_Lb0ESR_SS_SU_SV_SZ_EES10_S11_S12_S13_S17_S18_S19_S1C_S1D_jS1E_jS1F_S1F_jjS1H_bEUljE0_EEES10_S11_S12_S19_S1D_S1F_T6_T7_T9_mT8_S1H_bDpT10_ENKUlT_T0_E_clISt17integral_constantIbLb1EES1V_EEDaS1Q_S1R_EUlS1Q_E_NS1_11comp_targetILNS1_3genE10ELNS1_11target_archE1200ELNS1_3gpuE4ELNS1_3repE0EEENS1_30default_config_static_selectorELNS0_4arch9wavefront6targetE1EEEvS13_ ; -- Begin function _ZN7rocprim17ROCPRIM_400000_NS6detail17trampoline_kernelINS0_13select_configILj256ELj13ELNS0_17block_load_methodE3ELS4_3ELS4_3ELNS0_20block_scan_algorithmE0ELj4294967295EEENS1_25partition_config_selectorILNS1_17partition_subalgoE4EjNS0_10empty_typeEbEEZZNS1_14partition_implILS8_4ELb0ES6_15HIP_vector_typeIjLj2EENS0_17counting_iteratorIjlEEPS9_SG_NS0_5tupleIJPjSI_NS0_16reverse_iteratorISI_EEEEENSH_IJSG_SG_SG_EEES9_SI_JZNS1_25segmented_radix_sort_implINS0_14default_configELb0EPK12hip_bfloat16PSP_PKlPlN2at6native12_GLOBAL__N_18offset_tEEE10hipError_tPvRmT1_PNSt15iterator_traitsIS13_E10value_typeET2_T3_PNS14_IS19_E10value_typeET4_jRbjT5_S1F_jjP12ihipStream_tbEUljE_ZNSN_ISO_Lb0ESR_SS_SU_SV_SZ_EES10_S11_S12_S13_S17_S18_S19_S1C_S1D_jS1E_jS1F_S1F_jjS1H_bEUljE0_EEES10_S11_S12_S19_S1D_S1F_T6_T7_T9_mT8_S1H_bDpT10_ENKUlT_T0_E_clISt17integral_constantIbLb1EES1V_EEDaS1Q_S1R_EUlS1Q_E_NS1_11comp_targetILNS1_3genE10ELNS1_11target_archE1200ELNS1_3gpuE4ELNS1_3repE0EEENS1_30default_config_static_selectorELNS0_4arch9wavefront6targetE1EEEvS13_
	.p2align	8
	.type	_ZN7rocprim17ROCPRIM_400000_NS6detail17trampoline_kernelINS0_13select_configILj256ELj13ELNS0_17block_load_methodE3ELS4_3ELS4_3ELNS0_20block_scan_algorithmE0ELj4294967295EEENS1_25partition_config_selectorILNS1_17partition_subalgoE4EjNS0_10empty_typeEbEEZZNS1_14partition_implILS8_4ELb0ES6_15HIP_vector_typeIjLj2EENS0_17counting_iteratorIjlEEPS9_SG_NS0_5tupleIJPjSI_NS0_16reverse_iteratorISI_EEEEENSH_IJSG_SG_SG_EEES9_SI_JZNS1_25segmented_radix_sort_implINS0_14default_configELb0EPK12hip_bfloat16PSP_PKlPlN2at6native12_GLOBAL__N_18offset_tEEE10hipError_tPvRmT1_PNSt15iterator_traitsIS13_E10value_typeET2_T3_PNS14_IS19_E10value_typeET4_jRbjT5_S1F_jjP12ihipStream_tbEUljE_ZNSN_ISO_Lb0ESR_SS_SU_SV_SZ_EES10_S11_S12_S13_S17_S18_S19_S1C_S1D_jS1E_jS1F_S1F_jjS1H_bEUljE0_EEES10_S11_S12_S19_S1D_S1F_T6_T7_T9_mT8_S1H_bDpT10_ENKUlT_T0_E_clISt17integral_constantIbLb1EES1V_EEDaS1Q_S1R_EUlS1Q_E_NS1_11comp_targetILNS1_3genE10ELNS1_11target_archE1200ELNS1_3gpuE4ELNS1_3repE0EEENS1_30default_config_static_selectorELNS0_4arch9wavefront6targetE1EEEvS13_,@function
_ZN7rocprim17ROCPRIM_400000_NS6detail17trampoline_kernelINS0_13select_configILj256ELj13ELNS0_17block_load_methodE3ELS4_3ELS4_3ELNS0_20block_scan_algorithmE0ELj4294967295EEENS1_25partition_config_selectorILNS1_17partition_subalgoE4EjNS0_10empty_typeEbEEZZNS1_14partition_implILS8_4ELb0ES6_15HIP_vector_typeIjLj2EENS0_17counting_iteratorIjlEEPS9_SG_NS0_5tupleIJPjSI_NS0_16reverse_iteratorISI_EEEEENSH_IJSG_SG_SG_EEES9_SI_JZNS1_25segmented_radix_sort_implINS0_14default_configELb0EPK12hip_bfloat16PSP_PKlPlN2at6native12_GLOBAL__N_18offset_tEEE10hipError_tPvRmT1_PNSt15iterator_traitsIS13_E10value_typeET2_T3_PNS14_IS19_E10value_typeET4_jRbjT5_S1F_jjP12ihipStream_tbEUljE_ZNSN_ISO_Lb0ESR_SS_SU_SV_SZ_EES10_S11_S12_S13_S17_S18_S19_S1C_S1D_jS1E_jS1F_S1F_jjS1H_bEUljE0_EEES10_S11_S12_S19_S1D_S1F_T6_T7_T9_mT8_S1H_bDpT10_ENKUlT_T0_E_clISt17integral_constantIbLb1EES1V_EEDaS1Q_S1R_EUlS1Q_E_NS1_11comp_targetILNS1_3genE10ELNS1_11target_archE1200ELNS1_3gpuE4ELNS1_3repE0EEENS1_30default_config_static_selectorELNS0_4arch9wavefront6targetE1EEEvS13_: ; @_ZN7rocprim17ROCPRIM_400000_NS6detail17trampoline_kernelINS0_13select_configILj256ELj13ELNS0_17block_load_methodE3ELS4_3ELS4_3ELNS0_20block_scan_algorithmE0ELj4294967295EEENS1_25partition_config_selectorILNS1_17partition_subalgoE4EjNS0_10empty_typeEbEEZZNS1_14partition_implILS8_4ELb0ES6_15HIP_vector_typeIjLj2EENS0_17counting_iteratorIjlEEPS9_SG_NS0_5tupleIJPjSI_NS0_16reverse_iteratorISI_EEEEENSH_IJSG_SG_SG_EEES9_SI_JZNS1_25segmented_radix_sort_implINS0_14default_configELb0EPK12hip_bfloat16PSP_PKlPlN2at6native12_GLOBAL__N_18offset_tEEE10hipError_tPvRmT1_PNSt15iterator_traitsIS13_E10value_typeET2_T3_PNS14_IS19_E10value_typeET4_jRbjT5_S1F_jjP12ihipStream_tbEUljE_ZNSN_ISO_Lb0ESR_SS_SU_SV_SZ_EES10_S11_S12_S13_S17_S18_S19_S1C_S1D_jS1E_jS1F_S1F_jjS1H_bEUljE0_EEES10_S11_S12_S19_S1D_S1F_T6_T7_T9_mT8_S1H_bDpT10_ENKUlT_T0_E_clISt17integral_constantIbLb1EES1V_EEDaS1Q_S1R_EUlS1Q_E_NS1_11comp_targetILNS1_3genE10ELNS1_11target_archE1200ELNS1_3gpuE4ELNS1_3repE0EEENS1_30default_config_static_selectorELNS0_4arch9wavefront6targetE1EEEvS13_
; %bb.0:
	.section	.rodata,"a",@progbits
	.p2align	6, 0x0
	.amdhsa_kernel _ZN7rocprim17ROCPRIM_400000_NS6detail17trampoline_kernelINS0_13select_configILj256ELj13ELNS0_17block_load_methodE3ELS4_3ELS4_3ELNS0_20block_scan_algorithmE0ELj4294967295EEENS1_25partition_config_selectorILNS1_17partition_subalgoE4EjNS0_10empty_typeEbEEZZNS1_14partition_implILS8_4ELb0ES6_15HIP_vector_typeIjLj2EENS0_17counting_iteratorIjlEEPS9_SG_NS0_5tupleIJPjSI_NS0_16reverse_iteratorISI_EEEEENSH_IJSG_SG_SG_EEES9_SI_JZNS1_25segmented_radix_sort_implINS0_14default_configELb0EPK12hip_bfloat16PSP_PKlPlN2at6native12_GLOBAL__N_18offset_tEEE10hipError_tPvRmT1_PNSt15iterator_traitsIS13_E10value_typeET2_T3_PNS14_IS19_E10value_typeET4_jRbjT5_S1F_jjP12ihipStream_tbEUljE_ZNSN_ISO_Lb0ESR_SS_SU_SV_SZ_EES10_S11_S12_S13_S17_S18_S19_S1C_S1D_jS1E_jS1F_S1F_jjS1H_bEUljE0_EEES10_S11_S12_S19_S1D_S1F_T6_T7_T9_mT8_S1H_bDpT10_ENKUlT_T0_E_clISt17integral_constantIbLb1EES1V_EEDaS1Q_S1R_EUlS1Q_E_NS1_11comp_targetILNS1_3genE10ELNS1_11target_archE1200ELNS1_3gpuE4ELNS1_3repE0EEENS1_30default_config_static_selectorELNS0_4arch9wavefront6targetE1EEEvS13_
		.amdhsa_group_segment_fixed_size 0
		.amdhsa_private_segment_fixed_size 0
		.amdhsa_kernarg_size 184
		.amdhsa_user_sgpr_count 6
		.amdhsa_user_sgpr_private_segment_buffer 1
		.amdhsa_user_sgpr_dispatch_ptr 0
		.amdhsa_user_sgpr_queue_ptr 0
		.amdhsa_user_sgpr_kernarg_segment_ptr 1
		.amdhsa_user_sgpr_dispatch_id 0
		.amdhsa_user_sgpr_flat_scratch_init 0
		.amdhsa_user_sgpr_private_segment_size 0
		.amdhsa_uses_dynamic_stack 0
		.amdhsa_system_sgpr_private_segment_wavefront_offset 0
		.amdhsa_system_sgpr_workgroup_id_x 1
		.amdhsa_system_sgpr_workgroup_id_y 0
		.amdhsa_system_sgpr_workgroup_id_z 0
		.amdhsa_system_sgpr_workgroup_info 0
		.amdhsa_system_vgpr_workitem_id 0
		.amdhsa_next_free_vgpr 1
		.amdhsa_next_free_sgpr 0
		.amdhsa_reserve_vcc 0
		.amdhsa_reserve_flat_scratch 0
		.amdhsa_float_round_mode_32 0
		.amdhsa_float_round_mode_16_64 0
		.amdhsa_float_denorm_mode_32 3
		.amdhsa_float_denorm_mode_16_64 3
		.amdhsa_dx10_clamp 1
		.amdhsa_ieee_mode 1
		.amdhsa_fp16_overflow 0
		.amdhsa_exception_fp_ieee_invalid_op 0
		.amdhsa_exception_fp_denorm_src 0
		.amdhsa_exception_fp_ieee_div_zero 0
		.amdhsa_exception_fp_ieee_overflow 0
		.amdhsa_exception_fp_ieee_underflow 0
		.amdhsa_exception_fp_ieee_inexact 0
		.amdhsa_exception_int_div_zero 0
	.end_amdhsa_kernel
	.section	.text._ZN7rocprim17ROCPRIM_400000_NS6detail17trampoline_kernelINS0_13select_configILj256ELj13ELNS0_17block_load_methodE3ELS4_3ELS4_3ELNS0_20block_scan_algorithmE0ELj4294967295EEENS1_25partition_config_selectorILNS1_17partition_subalgoE4EjNS0_10empty_typeEbEEZZNS1_14partition_implILS8_4ELb0ES6_15HIP_vector_typeIjLj2EENS0_17counting_iteratorIjlEEPS9_SG_NS0_5tupleIJPjSI_NS0_16reverse_iteratorISI_EEEEENSH_IJSG_SG_SG_EEES9_SI_JZNS1_25segmented_radix_sort_implINS0_14default_configELb0EPK12hip_bfloat16PSP_PKlPlN2at6native12_GLOBAL__N_18offset_tEEE10hipError_tPvRmT1_PNSt15iterator_traitsIS13_E10value_typeET2_T3_PNS14_IS19_E10value_typeET4_jRbjT5_S1F_jjP12ihipStream_tbEUljE_ZNSN_ISO_Lb0ESR_SS_SU_SV_SZ_EES10_S11_S12_S13_S17_S18_S19_S1C_S1D_jS1E_jS1F_S1F_jjS1H_bEUljE0_EEES10_S11_S12_S19_S1D_S1F_T6_T7_T9_mT8_S1H_bDpT10_ENKUlT_T0_E_clISt17integral_constantIbLb1EES1V_EEDaS1Q_S1R_EUlS1Q_E_NS1_11comp_targetILNS1_3genE10ELNS1_11target_archE1200ELNS1_3gpuE4ELNS1_3repE0EEENS1_30default_config_static_selectorELNS0_4arch9wavefront6targetE1EEEvS13_,"axG",@progbits,_ZN7rocprim17ROCPRIM_400000_NS6detail17trampoline_kernelINS0_13select_configILj256ELj13ELNS0_17block_load_methodE3ELS4_3ELS4_3ELNS0_20block_scan_algorithmE0ELj4294967295EEENS1_25partition_config_selectorILNS1_17partition_subalgoE4EjNS0_10empty_typeEbEEZZNS1_14partition_implILS8_4ELb0ES6_15HIP_vector_typeIjLj2EENS0_17counting_iteratorIjlEEPS9_SG_NS0_5tupleIJPjSI_NS0_16reverse_iteratorISI_EEEEENSH_IJSG_SG_SG_EEES9_SI_JZNS1_25segmented_radix_sort_implINS0_14default_configELb0EPK12hip_bfloat16PSP_PKlPlN2at6native12_GLOBAL__N_18offset_tEEE10hipError_tPvRmT1_PNSt15iterator_traitsIS13_E10value_typeET2_T3_PNS14_IS19_E10value_typeET4_jRbjT5_S1F_jjP12ihipStream_tbEUljE_ZNSN_ISO_Lb0ESR_SS_SU_SV_SZ_EES10_S11_S12_S13_S17_S18_S19_S1C_S1D_jS1E_jS1F_S1F_jjS1H_bEUljE0_EEES10_S11_S12_S19_S1D_S1F_T6_T7_T9_mT8_S1H_bDpT10_ENKUlT_T0_E_clISt17integral_constantIbLb1EES1V_EEDaS1Q_S1R_EUlS1Q_E_NS1_11comp_targetILNS1_3genE10ELNS1_11target_archE1200ELNS1_3gpuE4ELNS1_3repE0EEENS1_30default_config_static_selectorELNS0_4arch9wavefront6targetE1EEEvS13_,comdat
.Lfunc_end1998:
	.size	_ZN7rocprim17ROCPRIM_400000_NS6detail17trampoline_kernelINS0_13select_configILj256ELj13ELNS0_17block_load_methodE3ELS4_3ELS4_3ELNS0_20block_scan_algorithmE0ELj4294967295EEENS1_25partition_config_selectorILNS1_17partition_subalgoE4EjNS0_10empty_typeEbEEZZNS1_14partition_implILS8_4ELb0ES6_15HIP_vector_typeIjLj2EENS0_17counting_iteratorIjlEEPS9_SG_NS0_5tupleIJPjSI_NS0_16reverse_iteratorISI_EEEEENSH_IJSG_SG_SG_EEES9_SI_JZNS1_25segmented_radix_sort_implINS0_14default_configELb0EPK12hip_bfloat16PSP_PKlPlN2at6native12_GLOBAL__N_18offset_tEEE10hipError_tPvRmT1_PNSt15iterator_traitsIS13_E10value_typeET2_T3_PNS14_IS19_E10value_typeET4_jRbjT5_S1F_jjP12ihipStream_tbEUljE_ZNSN_ISO_Lb0ESR_SS_SU_SV_SZ_EES10_S11_S12_S13_S17_S18_S19_S1C_S1D_jS1E_jS1F_S1F_jjS1H_bEUljE0_EEES10_S11_S12_S19_S1D_S1F_T6_T7_T9_mT8_S1H_bDpT10_ENKUlT_T0_E_clISt17integral_constantIbLb1EES1V_EEDaS1Q_S1R_EUlS1Q_E_NS1_11comp_targetILNS1_3genE10ELNS1_11target_archE1200ELNS1_3gpuE4ELNS1_3repE0EEENS1_30default_config_static_selectorELNS0_4arch9wavefront6targetE1EEEvS13_, .Lfunc_end1998-_ZN7rocprim17ROCPRIM_400000_NS6detail17trampoline_kernelINS0_13select_configILj256ELj13ELNS0_17block_load_methodE3ELS4_3ELS4_3ELNS0_20block_scan_algorithmE0ELj4294967295EEENS1_25partition_config_selectorILNS1_17partition_subalgoE4EjNS0_10empty_typeEbEEZZNS1_14partition_implILS8_4ELb0ES6_15HIP_vector_typeIjLj2EENS0_17counting_iteratorIjlEEPS9_SG_NS0_5tupleIJPjSI_NS0_16reverse_iteratorISI_EEEEENSH_IJSG_SG_SG_EEES9_SI_JZNS1_25segmented_radix_sort_implINS0_14default_configELb0EPK12hip_bfloat16PSP_PKlPlN2at6native12_GLOBAL__N_18offset_tEEE10hipError_tPvRmT1_PNSt15iterator_traitsIS13_E10value_typeET2_T3_PNS14_IS19_E10value_typeET4_jRbjT5_S1F_jjP12ihipStream_tbEUljE_ZNSN_ISO_Lb0ESR_SS_SU_SV_SZ_EES10_S11_S12_S13_S17_S18_S19_S1C_S1D_jS1E_jS1F_S1F_jjS1H_bEUljE0_EEES10_S11_S12_S19_S1D_S1F_T6_T7_T9_mT8_S1H_bDpT10_ENKUlT_T0_E_clISt17integral_constantIbLb1EES1V_EEDaS1Q_S1R_EUlS1Q_E_NS1_11comp_targetILNS1_3genE10ELNS1_11target_archE1200ELNS1_3gpuE4ELNS1_3repE0EEENS1_30default_config_static_selectorELNS0_4arch9wavefront6targetE1EEEvS13_
                                        ; -- End function
	.set _ZN7rocprim17ROCPRIM_400000_NS6detail17trampoline_kernelINS0_13select_configILj256ELj13ELNS0_17block_load_methodE3ELS4_3ELS4_3ELNS0_20block_scan_algorithmE0ELj4294967295EEENS1_25partition_config_selectorILNS1_17partition_subalgoE4EjNS0_10empty_typeEbEEZZNS1_14partition_implILS8_4ELb0ES6_15HIP_vector_typeIjLj2EENS0_17counting_iteratorIjlEEPS9_SG_NS0_5tupleIJPjSI_NS0_16reverse_iteratorISI_EEEEENSH_IJSG_SG_SG_EEES9_SI_JZNS1_25segmented_radix_sort_implINS0_14default_configELb0EPK12hip_bfloat16PSP_PKlPlN2at6native12_GLOBAL__N_18offset_tEEE10hipError_tPvRmT1_PNSt15iterator_traitsIS13_E10value_typeET2_T3_PNS14_IS19_E10value_typeET4_jRbjT5_S1F_jjP12ihipStream_tbEUljE_ZNSN_ISO_Lb0ESR_SS_SU_SV_SZ_EES10_S11_S12_S13_S17_S18_S19_S1C_S1D_jS1E_jS1F_S1F_jjS1H_bEUljE0_EEES10_S11_S12_S19_S1D_S1F_T6_T7_T9_mT8_S1H_bDpT10_ENKUlT_T0_E_clISt17integral_constantIbLb1EES1V_EEDaS1Q_S1R_EUlS1Q_E_NS1_11comp_targetILNS1_3genE10ELNS1_11target_archE1200ELNS1_3gpuE4ELNS1_3repE0EEENS1_30default_config_static_selectorELNS0_4arch9wavefront6targetE1EEEvS13_.num_vgpr, 0
	.set _ZN7rocprim17ROCPRIM_400000_NS6detail17trampoline_kernelINS0_13select_configILj256ELj13ELNS0_17block_load_methodE3ELS4_3ELS4_3ELNS0_20block_scan_algorithmE0ELj4294967295EEENS1_25partition_config_selectorILNS1_17partition_subalgoE4EjNS0_10empty_typeEbEEZZNS1_14partition_implILS8_4ELb0ES6_15HIP_vector_typeIjLj2EENS0_17counting_iteratorIjlEEPS9_SG_NS0_5tupleIJPjSI_NS0_16reverse_iteratorISI_EEEEENSH_IJSG_SG_SG_EEES9_SI_JZNS1_25segmented_radix_sort_implINS0_14default_configELb0EPK12hip_bfloat16PSP_PKlPlN2at6native12_GLOBAL__N_18offset_tEEE10hipError_tPvRmT1_PNSt15iterator_traitsIS13_E10value_typeET2_T3_PNS14_IS19_E10value_typeET4_jRbjT5_S1F_jjP12ihipStream_tbEUljE_ZNSN_ISO_Lb0ESR_SS_SU_SV_SZ_EES10_S11_S12_S13_S17_S18_S19_S1C_S1D_jS1E_jS1F_S1F_jjS1H_bEUljE0_EEES10_S11_S12_S19_S1D_S1F_T6_T7_T9_mT8_S1H_bDpT10_ENKUlT_T0_E_clISt17integral_constantIbLb1EES1V_EEDaS1Q_S1R_EUlS1Q_E_NS1_11comp_targetILNS1_3genE10ELNS1_11target_archE1200ELNS1_3gpuE4ELNS1_3repE0EEENS1_30default_config_static_selectorELNS0_4arch9wavefront6targetE1EEEvS13_.num_agpr, 0
	.set _ZN7rocprim17ROCPRIM_400000_NS6detail17trampoline_kernelINS0_13select_configILj256ELj13ELNS0_17block_load_methodE3ELS4_3ELS4_3ELNS0_20block_scan_algorithmE0ELj4294967295EEENS1_25partition_config_selectorILNS1_17partition_subalgoE4EjNS0_10empty_typeEbEEZZNS1_14partition_implILS8_4ELb0ES6_15HIP_vector_typeIjLj2EENS0_17counting_iteratorIjlEEPS9_SG_NS0_5tupleIJPjSI_NS0_16reverse_iteratorISI_EEEEENSH_IJSG_SG_SG_EEES9_SI_JZNS1_25segmented_radix_sort_implINS0_14default_configELb0EPK12hip_bfloat16PSP_PKlPlN2at6native12_GLOBAL__N_18offset_tEEE10hipError_tPvRmT1_PNSt15iterator_traitsIS13_E10value_typeET2_T3_PNS14_IS19_E10value_typeET4_jRbjT5_S1F_jjP12ihipStream_tbEUljE_ZNSN_ISO_Lb0ESR_SS_SU_SV_SZ_EES10_S11_S12_S13_S17_S18_S19_S1C_S1D_jS1E_jS1F_S1F_jjS1H_bEUljE0_EEES10_S11_S12_S19_S1D_S1F_T6_T7_T9_mT8_S1H_bDpT10_ENKUlT_T0_E_clISt17integral_constantIbLb1EES1V_EEDaS1Q_S1R_EUlS1Q_E_NS1_11comp_targetILNS1_3genE10ELNS1_11target_archE1200ELNS1_3gpuE4ELNS1_3repE0EEENS1_30default_config_static_selectorELNS0_4arch9wavefront6targetE1EEEvS13_.numbered_sgpr, 0
	.set _ZN7rocprim17ROCPRIM_400000_NS6detail17trampoline_kernelINS0_13select_configILj256ELj13ELNS0_17block_load_methodE3ELS4_3ELS4_3ELNS0_20block_scan_algorithmE0ELj4294967295EEENS1_25partition_config_selectorILNS1_17partition_subalgoE4EjNS0_10empty_typeEbEEZZNS1_14partition_implILS8_4ELb0ES6_15HIP_vector_typeIjLj2EENS0_17counting_iteratorIjlEEPS9_SG_NS0_5tupleIJPjSI_NS0_16reverse_iteratorISI_EEEEENSH_IJSG_SG_SG_EEES9_SI_JZNS1_25segmented_radix_sort_implINS0_14default_configELb0EPK12hip_bfloat16PSP_PKlPlN2at6native12_GLOBAL__N_18offset_tEEE10hipError_tPvRmT1_PNSt15iterator_traitsIS13_E10value_typeET2_T3_PNS14_IS19_E10value_typeET4_jRbjT5_S1F_jjP12ihipStream_tbEUljE_ZNSN_ISO_Lb0ESR_SS_SU_SV_SZ_EES10_S11_S12_S13_S17_S18_S19_S1C_S1D_jS1E_jS1F_S1F_jjS1H_bEUljE0_EEES10_S11_S12_S19_S1D_S1F_T6_T7_T9_mT8_S1H_bDpT10_ENKUlT_T0_E_clISt17integral_constantIbLb1EES1V_EEDaS1Q_S1R_EUlS1Q_E_NS1_11comp_targetILNS1_3genE10ELNS1_11target_archE1200ELNS1_3gpuE4ELNS1_3repE0EEENS1_30default_config_static_selectorELNS0_4arch9wavefront6targetE1EEEvS13_.num_named_barrier, 0
	.set _ZN7rocprim17ROCPRIM_400000_NS6detail17trampoline_kernelINS0_13select_configILj256ELj13ELNS0_17block_load_methodE3ELS4_3ELS4_3ELNS0_20block_scan_algorithmE0ELj4294967295EEENS1_25partition_config_selectorILNS1_17partition_subalgoE4EjNS0_10empty_typeEbEEZZNS1_14partition_implILS8_4ELb0ES6_15HIP_vector_typeIjLj2EENS0_17counting_iteratorIjlEEPS9_SG_NS0_5tupleIJPjSI_NS0_16reverse_iteratorISI_EEEEENSH_IJSG_SG_SG_EEES9_SI_JZNS1_25segmented_radix_sort_implINS0_14default_configELb0EPK12hip_bfloat16PSP_PKlPlN2at6native12_GLOBAL__N_18offset_tEEE10hipError_tPvRmT1_PNSt15iterator_traitsIS13_E10value_typeET2_T3_PNS14_IS19_E10value_typeET4_jRbjT5_S1F_jjP12ihipStream_tbEUljE_ZNSN_ISO_Lb0ESR_SS_SU_SV_SZ_EES10_S11_S12_S13_S17_S18_S19_S1C_S1D_jS1E_jS1F_S1F_jjS1H_bEUljE0_EEES10_S11_S12_S19_S1D_S1F_T6_T7_T9_mT8_S1H_bDpT10_ENKUlT_T0_E_clISt17integral_constantIbLb1EES1V_EEDaS1Q_S1R_EUlS1Q_E_NS1_11comp_targetILNS1_3genE10ELNS1_11target_archE1200ELNS1_3gpuE4ELNS1_3repE0EEENS1_30default_config_static_selectorELNS0_4arch9wavefront6targetE1EEEvS13_.private_seg_size, 0
	.set _ZN7rocprim17ROCPRIM_400000_NS6detail17trampoline_kernelINS0_13select_configILj256ELj13ELNS0_17block_load_methodE3ELS4_3ELS4_3ELNS0_20block_scan_algorithmE0ELj4294967295EEENS1_25partition_config_selectorILNS1_17partition_subalgoE4EjNS0_10empty_typeEbEEZZNS1_14partition_implILS8_4ELb0ES6_15HIP_vector_typeIjLj2EENS0_17counting_iteratorIjlEEPS9_SG_NS0_5tupleIJPjSI_NS0_16reverse_iteratorISI_EEEEENSH_IJSG_SG_SG_EEES9_SI_JZNS1_25segmented_radix_sort_implINS0_14default_configELb0EPK12hip_bfloat16PSP_PKlPlN2at6native12_GLOBAL__N_18offset_tEEE10hipError_tPvRmT1_PNSt15iterator_traitsIS13_E10value_typeET2_T3_PNS14_IS19_E10value_typeET4_jRbjT5_S1F_jjP12ihipStream_tbEUljE_ZNSN_ISO_Lb0ESR_SS_SU_SV_SZ_EES10_S11_S12_S13_S17_S18_S19_S1C_S1D_jS1E_jS1F_S1F_jjS1H_bEUljE0_EEES10_S11_S12_S19_S1D_S1F_T6_T7_T9_mT8_S1H_bDpT10_ENKUlT_T0_E_clISt17integral_constantIbLb1EES1V_EEDaS1Q_S1R_EUlS1Q_E_NS1_11comp_targetILNS1_3genE10ELNS1_11target_archE1200ELNS1_3gpuE4ELNS1_3repE0EEENS1_30default_config_static_selectorELNS0_4arch9wavefront6targetE1EEEvS13_.uses_vcc, 0
	.set _ZN7rocprim17ROCPRIM_400000_NS6detail17trampoline_kernelINS0_13select_configILj256ELj13ELNS0_17block_load_methodE3ELS4_3ELS4_3ELNS0_20block_scan_algorithmE0ELj4294967295EEENS1_25partition_config_selectorILNS1_17partition_subalgoE4EjNS0_10empty_typeEbEEZZNS1_14partition_implILS8_4ELb0ES6_15HIP_vector_typeIjLj2EENS0_17counting_iteratorIjlEEPS9_SG_NS0_5tupleIJPjSI_NS0_16reverse_iteratorISI_EEEEENSH_IJSG_SG_SG_EEES9_SI_JZNS1_25segmented_radix_sort_implINS0_14default_configELb0EPK12hip_bfloat16PSP_PKlPlN2at6native12_GLOBAL__N_18offset_tEEE10hipError_tPvRmT1_PNSt15iterator_traitsIS13_E10value_typeET2_T3_PNS14_IS19_E10value_typeET4_jRbjT5_S1F_jjP12ihipStream_tbEUljE_ZNSN_ISO_Lb0ESR_SS_SU_SV_SZ_EES10_S11_S12_S13_S17_S18_S19_S1C_S1D_jS1E_jS1F_S1F_jjS1H_bEUljE0_EEES10_S11_S12_S19_S1D_S1F_T6_T7_T9_mT8_S1H_bDpT10_ENKUlT_T0_E_clISt17integral_constantIbLb1EES1V_EEDaS1Q_S1R_EUlS1Q_E_NS1_11comp_targetILNS1_3genE10ELNS1_11target_archE1200ELNS1_3gpuE4ELNS1_3repE0EEENS1_30default_config_static_selectorELNS0_4arch9wavefront6targetE1EEEvS13_.uses_flat_scratch, 0
	.set _ZN7rocprim17ROCPRIM_400000_NS6detail17trampoline_kernelINS0_13select_configILj256ELj13ELNS0_17block_load_methodE3ELS4_3ELS4_3ELNS0_20block_scan_algorithmE0ELj4294967295EEENS1_25partition_config_selectorILNS1_17partition_subalgoE4EjNS0_10empty_typeEbEEZZNS1_14partition_implILS8_4ELb0ES6_15HIP_vector_typeIjLj2EENS0_17counting_iteratorIjlEEPS9_SG_NS0_5tupleIJPjSI_NS0_16reverse_iteratorISI_EEEEENSH_IJSG_SG_SG_EEES9_SI_JZNS1_25segmented_radix_sort_implINS0_14default_configELb0EPK12hip_bfloat16PSP_PKlPlN2at6native12_GLOBAL__N_18offset_tEEE10hipError_tPvRmT1_PNSt15iterator_traitsIS13_E10value_typeET2_T3_PNS14_IS19_E10value_typeET4_jRbjT5_S1F_jjP12ihipStream_tbEUljE_ZNSN_ISO_Lb0ESR_SS_SU_SV_SZ_EES10_S11_S12_S13_S17_S18_S19_S1C_S1D_jS1E_jS1F_S1F_jjS1H_bEUljE0_EEES10_S11_S12_S19_S1D_S1F_T6_T7_T9_mT8_S1H_bDpT10_ENKUlT_T0_E_clISt17integral_constantIbLb1EES1V_EEDaS1Q_S1R_EUlS1Q_E_NS1_11comp_targetILNS1_3genE10ELNS1_11target_archE1200ELNS1_3gpuE4ELNS1_3repE0EEENS1_30default_config_static_selectorELNS0_4arch9wavefront6targetE1EEEvS13_.has_dyn_sized_stack, 0
	.set _ZN7rocprim17ROCPRIM_400000_NS6detail17trampoline_kernelINS0_13select_configILj256ELj13ELNS0_17block_load_methodE3ELS4_3ELS4_3ELNS0_20block_scan_algorithmE0ELj4294967295EEENS1_25partition_config_selectorILNS1_17partition_subalgoE4EjNS0_10empty_typeEbEEZZNS1_14partition_implILS8_4ELb0ES6_15HIP_vector_typeIjLj2EENS0_17counting_iteratorIjlEEPS9_SG_NS0_5tupleIJPjSI_NS0_16reverse_iteratorISI_EEEEENSH_IJSG_SG_SG_EEES9_SI_JZNS1_25segmented_radix_sort_implINS0_14default_configELb0EPK12hip_bfloat16PSP_PKlPlN2at6native12_GLOBAL__N_18offset_tEEE10hipError_tPvRmT1_PNSt15iterator_traitsIS13_E10value_typeET2_T3_PNS14_IS19_E10value_typeET4_jRbjT5_S1F_jjP12ihipStream_tbEUljE_ZNSN_ISO_Lb0ESR_SS_SU_SV_SZ_EES10_S11_S12_S13_S17_S18_S19_S1C_S1D_jS1E_jS1F_S1F_jjS1H_bEUljE0_EEES10_S11_S12_S19_S1D_S1F_T6_T7_T9_mT8_S1H_bDpT10_ENKUlT_T0_E_clISt17integral_constantIbLb1EES1V_EEDaS1Q_S1R_EUlS1Q_E_NS1_11comp_targetILNS1_3genE10ELNS1_11target_archE1200ELNS1_3gpuE4ELNS1_3repE0EEENS1_30default_config_static_selectorELNS0_4arch9wavefront6targetE1EEEvS13_.has_recursion, 0
	.set _ZN7rocprim17ROCPRIM_400000_NS6detail17trampoline_kernelINS0_13select_configILj256ELj13ELNS0_17block_load_methodE3ELS4_3ELS4_3ELNS0_20block_scan_algorithmE0ELj4294967295EEENS1_25partition_config_selectorILNS1_17partition_subalgoE4EjNS0_10empty_typeEbEEZZNS1_14partition_implILS8_4ELb0ES6_15HIP_vector_typeIjLj2EENS0_17counting_iteratorIjlEEPS9_SG_NS0_5tupleIJPjSI_NS0_16reverse_iteratorISI_EEEEENSH_IJSG_SG_SG_EEES9_SI_JZNS1_25segmented_radix_sort_implINS0_14default_configELb0EPK12hip_bfloat16PSP_PKlPlN2at6native12_GLOBAL__N_18offset_tEEE10hipError_tPvRmT1_PNSt15iterator_traitsIS13_E10value_typeET2_T3_PNS14_IS19_E10value_typeET4_jRbjT5_S1F_jjP12ihipStream_tbEUljE_ZNSN_ISO_Lb0ESR_SS_SU_SV_SZ_EES10_S11_S12_S13_S17_S18_S19_S1C_S1D_jS1E_jS1F_S1F_jjS1H_bEUljE0_EEES10_S11_S12_S19_S1D_S1F_T6_T7_T9_mT8_S1H_bDpT10_ENKUlT_T0_E_clISt17integral_constantIbLb1EES1V_EEDaS1Q_S1R_EUlS1Q_E_NS1_11comp_targetILNS1_3genE10ELNS1_11target_archE1200ELNS1_3gpuE4ELNS1_3repE0EEENS1_30default_config_static_selectorELNS0_4arch9wavefront6targetE1EEEvS13_.has_indirect_call, 0
	.section	.AMDGPU.csdata,"",@progbits
; Kernel info:
; codeLenInByte = 0
; TotalNumSgprs: 4
; NumVgprs: 0
; ScratchSize: 0
; MemoryBound: 0
; FloatMode: 240
; IeeeMode: 1
; LDSByteSize: 0 bytes/workgroup (compile time only)
; SGPRBlocks: 0
; VGPRBlocks: 0
; NumSGPRsForWavesPerEU: 4
; NumVGPRsForWavesPerEU: 1
; Occupancy: 10
; WaveLimiterHint : 0
; COMPUTE_PGM_RSRC2:SCRATCH_EN: 0
; COMPUTE_PGM_RSRC2:USER_SGPR: 6
; COMPUTE_PGM_RSRC2:TRAP_HANDLER: 0
; COMPUTE_PGM_RSRC2:TGID_X_EN: 1
; COMPUTE_PGM_RSRC2:TGID_Y_EN: 0
; COMPUTE_PGM_RSRC2:TGID_Z_EN: 0
; COMPUTE_PGM_RSRC2:TIDIG_COMP_CNT: 0
	.section	.text._ZN7rocprim17ROCPRIM_400000_NS6detail17trampoline_kernelINS0_13select_configILj256ELj13ELNS0_17block_load_methodE3ELS4_3ELS4_3ELNS0_20block_scan_algorithmE0ELj4294967295EEENS1_25partition_config_selectorILNS1_17partition_subalgoE4EjNS0_10empty_typeEbEEZZNS1_14partition_implILS8_4ELb0ES6_15HIP_vector_typeIjLj2EENS0_17counting_iteratorIjlEEPS9_SG_NS0_5tupleIJPjSI_NS0_16reverse_iteratorISI_EEEEENSH_IJSG_SG_SG_EEES9_SI_JZNS1_25segmented_radix_sort_implINS0_14default_configELb0EPK12hip_bfloat16PSP_PKlPlN2at6native12_GLOBAL__N_18offset_tEEE10hipError_tPvRmT1_PNSt15iterator_traitsIS13_E10value_typeET2_T3_PNS14_IS19_E10value_typeET4_jRbjT5_S1F_jjP12ihipStream_tbEUljE_ZNSN_ISO_Lb0ESR_SS_SU_SV_SZ_EES10_S11_S12_S13_S17_S18_S19_S1C_S1D_jS1E_jS1F_S1F_jjS1H_bEUljE0_EEES10_S11_S12_S19_S1D_S1F_T6_T7_T9_mT8_S1H_bDpT10_ENKUlT_T0_E_clISt17integral_constantIbLb1EES1V_EEDaS1Q_S1R_EUlS1Q_E_NS1_11comp_targetILNS1_3genE9ELNS1_11target_archE1100ELNS1_3gpuE3ELNS1_3repE0EEENS1_30default_config_static_selectorELNS0_4arch9wavefront6targetE1EEEvS13_,"axG",@progbits,_ZN7rocprim17ROCPRIM_400000_NS6detail17trampoline_kernelINS0_13select_configILj256ELj13ELNS0_17block_load_methodE3ELS4_3ELS4_3ELNS0_20block_scan_algorithmE0ELj4294967295EEENS1_25partition_config_selectorILNS1_17partition_subalgoE4EjNS0_10empty_typeEbEEZZNS1_14partition_implILS8_4ELb0ES6_15HIP_vector_typeIjLj2EENS0_17counting_iteratorIjlEEPS9_SG_NS0_5tupleIJPjSI_NS0_16reverse_iteratorISI_EEEEENSH_IJSG_SG_SG_EEES9_SI_JZNS1_25segmented_radix_sort_implINS0_14default_configELb0EPK12hip_bfloat16PSP_PKlPlN2at6native12_GLOBAL__N_18offset_tEEE10hipError_tPvRmT1_PNSt15iterator_traitsIS13_E10value_typeET2_T3_PNS14_IS19_E10value_typeET4_jRbjT5_S1F_jjP12ihipStream_tbEUljE_ZNSN_ISO_Lb0ESR_SS_SU_SV_SZ_EES10_S11_S12_S13_S17_S18_S19_S1C_S1D_jS1E_jS1F_S1F_jjS1H_bEUljE0_EEES10_S11_S12_S19_S1D_S1F_T6_T7_T9_mT8_S1H_bDpT10_ENKUlT_T0_E_clISt17integral_constantIbLb1EES1V_EEDaS1Q_S1R_EUlS1Q_E_NS1_11comp_targetILNS1_3genE9ELNS1_11target_archE1100ELNS1_3gpuE3ELNS1_3repE0EEENS1_30default_config_static_selectorELNS0_4arch9wavefront6targetE1EEEvS13_,comdat
	.globl	_ZN7rocprim17ROCPRIM_400000_NS6detail17trampoline_kernelINS0_13select_configILj256ELj13ELNS0_17block_load_methodE3ELS4_3ELS4_3ELNS0_20block_scan_algorithmE0ELj4294967295EEENS1_25partition_config_selectorILNS1_17partition_subalgoE4EjNS0_10empty_typeEbEEZZNS1_14partition_implILS8_4ELb0ES6_15HIP_vector_typeIjLj2EENS0_17counting_iteratorIjlEEPS9_SG_NS0_5tupleIJPjSI_NS0_16reverse_iteratorISI_EEEEENSH_IJSG_SG_SG_EEES9_SI_JZNS1_25segmented_radix_sort_implINS0_14default_configELb0EPK12hip_bfloat16PSP_PKlPlN2at6native12_GLOBAL__N_18offset_tEEE10hipError_tPvRmT1_PNSt15iterator_traitsIS13_E10value_typeET2_T3_PNS14_IS19_E10value_typeET4_jRbjT5_S1F_jjP12ihipStream_tbEUljE_ZNSN_ISO_Lb0ESR_SS_SU_SV_SZ_EES10_S11_S12_S13_S17_S18_S19_S1C_S1D_jS1E_jS1F_S1F_jjS1H_bEUljE0_EEES10_S11_S12_S19_S1D_S1F_T6_T7_T9_mT8_S1H_bDpT10_ENKUlT_T0_E_clISt17integral_constantIbLb1EES1V_EEDaS1Q_S1R_EUlS1Q_E_NS1_11comp_targetILNS1_3genE9ELNS1_11target_archE1100ELNS1_3gpuE3ELNS1_3repE0EEENS1_30default_config_static_selectorELNS0_4arch9wavefront6targetE1EEEvS13_ ; -- Begin function _ZN7rocprim17ROCPRIM_400000_NS6detail17trampoline_kernelINS0_13select_configILj256ELj13ELNS0_17block_load_methodE3ELS4_3ELS4_3ELNS0_20block_scan_algorithmE0ELj4294967295EEENS1_25partition_config_selectorILNS1_17partition_subalgoE4EjNS0_10empty_typeEbEEZZNS1_14partition_implILS8_4ELb0ES6_15HIP_vector_typeIjLj2EENS0_17counting_iteratorIjlEEPS9_SG_NS0_5tupleIJPjSI_NS0_16reverse_iteratorISI_EEEEENSH_IJSG_SG_SG_EEES9_SI_JZNS1_25segmented_radix_sort_implINS0_14default_configELb0EPK12hip_bfloat16PSP_PKlPlN2at6native12_GLOBAL__N_18offset_tEEE10hipError_tPvRmT1_PNSt15iterator_traitsIS13_E10value_typeET2_T3_PNS14_IS19_E10value_typeET4_jRbjT5_S1F_jjP12ihipStream_tbEUljE_ZNSN_ISO_Lb0ESR_SS_SU_SV_SZ_EES10_S11_S12_S13_S17_S18_S19_S1C_S1D_jS1E_jS1F_S1F_jjS1H_bEUljE0_EEES10_S11_S12_S19_S1D_S1F_T6_T7_T9_mT8_S1H_bDpT10_ENKUlT_T0_E_clISt17integral_constantIbLb1EES1V_EEDaS1Q_S1R_EUlS1Q_E_NS1_11comp_targetILNS1_3genE9ELNS1_11target_archE1100ELNS1_3gpuE3ELNS1_3repE0EEENS1_30default_config_static_selectorELNS0_4arch9wavefront6targetE1EEEvS13_
	.p2align	8
	.type	_ZN7rocprim17ROCPRIM_400000_NS6detail17trampoline_kernelINS0_13select_configILj256ELj13ELNS0_17block_load_methodE3ELS4_3ELS4_3ELNS0_20block_scan_algorithmE0ELj4294967295EEENS1_25partition_config_selectorILNS1_17partition_subalgoE4EjNS0_10empty_typeEbEEZZNS1_14partition_implILS8_4ELb0ES6_15HIP_vector_typeIjLj2EENS0_17counting_iteratorIjlEEPS9_SG_NS0_5tupleIJPjSI_NS0_16reverse_iteratorISI_EEEEENSH_IJSG_SG_SG_EEES9_SI_JZNS1_25segmented_radix_sort_implINS0_14default_configELb0EPK12hip_bfloat16PSP_PKlPlN2at6native12_GLOBAL__N_18offset_tEEE10hipError_tPvRmT1_PNSt15iterator_traitsIS13_E10value_typeET2_T3_PNS14_IS19_E10value_typeET4_jRbjT5_S1F_jjP12ihipStream_tbEUljE_ZNSN_ISO_Lb0ESR_SS_SU_SV_SZ_EES10_S11_S12_S13_S17_S18_S19_S1C_S1D_jS1E_jS1F_S1F_jjS1H_bEUljE0_EEES10_S11_S12_S19_S1D_S1F_T6_T7_T9_mT8_S1H_bDpT10_ENKUlT_T0_E_clISt17integral_constantIbLb1EES1V_EEDaS1Q_S1R_EUlS1Q_E_NS1_11comp_targetILNS1_3genE9ELNS1_11target_archE1100ELNS1_3gpuE3ELNS1_3repE0EEENS1_30default_config_static_selectorELNS0_4arch9wavefront6targetE1EEEvS13_,@function
_ZN7rocprim17ROCPRIM_400000_NS6detail17trampoline_kernelINS0_13select_configILj256ELj13ELNS0_17block_load_methodE3ELS4_3ELS4_3ELNS0_20block_scan_algorithmE0ELj4294967295EEENS1_25partition_config_selectorILNS1_17partition_subalgoE4EjNS0_10empty_typeEbEEZZNS1_14partition_implILS8_4ELb0ES6_15HIP_vector_typeIjLj2EENS0_17counting_iteratorIjlEEPS9_SG_NS0_5tupleIJPjSI_NS0_16reverse_iteratorISI_EEEEENSH_IJSG_SG_SG_EEES9_SI_JZNS1_25segmented_radix_sort_implINS0_14default_configELb0EPK12hip_bfloat16PSP_PKlPlN2at6native12_GLOBAL__N_18offset_tEEE10hipError_tPvRmT1_PNSt15iterator_traitsIS13_E10value_typeET2_T3_PNS14_IS19_E10value_typeET4_jRbjT5_S1F_jjP12ihipStream_tbEUljE_ZNSN_ISO_Lb0ESR_SS_SU_SV_SZ_EES10_S11_S12_S13_S17_S18_S19_S1C_S1D_jS1E_jS1F_S1F_jjS1H_bEUljE0_EEES10_S11_S12_S19_S1D_S1F_T6_T7_T9_mT8_S1H_bDpT10_ENKUlT_T0_E_clISt17integral_constantIbLb1EES1V_EEDaS1Q_S1R_EUlS1Q_E_NS1_11comp_targetILNS1_3genE9ELNS1_11target_archE1100ELNS1_3gpuE3ELNS1_3repE0EEENS1_30default_config_static_selectorELNS0_4arch9wavefront6targetE1EEEvS13_: ; @_ZN7rocprim17ROCPRIM_400000_NS6detail17trampoline_kernelINS0_13select_configILj256ELj13ELNS0_17block_load_methodE3ELS4_3ELS4_3ELNS0_20block_scan_algorithmE0ELj4294967295EEENS1_25partition_config_selectorILNS1_17partition_subalgoE4EjNS0_10empty_typeEbEEZZNS1_14partition_implILS8_4ELb0ES6_15HIP_vector_typeIjLj2EENS0_17counting_iteratorIjlEEPS9_SG_NS0_5tupleIJPjSI_NS0_16reverse_iteratorISI_EEEEENSH_IJSG_SG_SG_EEES9_SI_JZNS1_25segmented_radix_sort_implINS0_14default_configELb0EPK12hip_bfloat16PSP_PKlPlN2at6native12_GLOBAL__N_18offset_tEEE10hipError_tPvRmT1_PNSt15iterator_traitsIS13_E10value_typeET2_T3_PNS14_IS19_E10value_typeET4_jRbjT5_S1F_jjP12ihipStream_tbEUljE_ZNSN_ISO_Lb0ESR_SS_SU_SV_SZ_EES10_S11_S12_S13_S17_S18_S19_S1C_S1D_jS1E_jS1F_S1F_jjS1H_bEUljE0_EEES10_S11_S12_S19_S1D_S1F_T6_T7_T9_mT8_S1H_bDpT10_ENKUlT_T0_E_clISt17integral_constantIbLb1EES1V_EEDaS1Q_S1R_EUlS1Q_E_NS1_11comp_targetILNS1_3genE9ELNS1_11target_archE1100ELNS1_3gpuE3ELNS1_3repE0EEENS1_30default_config_static_selectorELNS0_4arch9wavefront6targetE1EEEvS13_
; %bb.0:
	.section	.rodata,"a",@progbits
	.p2align	6, 0x0
	.amdhsa_kernel _ZN7rocprim17ROCPRIM_400000_NS6detail17trampoline_kernelINS0_13select_configILj256ELj13ELNS0_17block_load_methodE3ELS4_3ELS4_3ELNS0_20block_scan_algorithmE0ELj4294967295EEENS1_25partition_config_selectorILNS1_17partition_subalgoE4EjNS0_10empty_typeEbEEZZNS1_14partition_implILS8_4ELb0ES6_15HIP_vector_typeIjLj2EENS0_17counting_iteratorIjlEEPS9_SG_NS0_5tupleIJPjSI_NS0_16reverse_iteratorISI_EEEEENSH_IJSG_SG_SG_EEES9_SI_JZNS1_25segmented_radix_sort_implINS0_14default_configELb0EPK12hip_bfloat16PSP_PKlPlN2at6native12_GLOBAL__N_18offset_tEEE10hipError_tPvRmT1_PNSt15iterator_traitsIS13_E10value_typeET2_T3_PNS14_IS19_E10value_typeET4_jRbjT5_S1F_jjP12ihipStream_tbEUljE_ZNSN_ISO_Lb0ESR_SS_SU_SV_SZ_EES10_S11_S12_S13_S17_S18_S19_S1C_S1D_jS1E_jS1F_S1F_jjS1H_bEUljE0_EEES10_S11_S12_S19_S1D_S1F_T6_T7_T9_mT8_S1H_bDpT10_ENKUlT_T0_E_clISt17integral_constantIbLb1EES1V_EEDaS1Q_S1R_EUlS1Q_E_NS1_11comp_targetILNS1_3genE9ELNS1_11target_archE1100ELNS1_3gpuE3ELNS1_3repE0EEENS1_30default_config_static_selectorELNS0_4arch9wavefront6targetE1EEEvS13_
		.amdhsa_group_segment_fixed_size 0
		.amdhsa_private_segment_fixed_size 0
		.amdhsa_kernarg_size 184
		.amdhsa_user_sgpr_count 6
		.amdhsa_user_sgpr_private_segment_buffer 1
		.amdhsa_user_sgpr_dispatch_ptr 0
		.amdhsa_user_sgpr_queue_ptr 0
		.amdhsa_user_sgpr_kernarg_segment_ptr 1
		.amdhsa_user_sgpr_dispatch_id 0
		.amdhsa_user_sgpr_flat_scratch_init 0
		.amdhsa_user_sgpr_private_segment_size 0
		.amdhsa_uses_dynamic_stack 0
		.amdhsa_system_sgpr_private_segment_wavefront_offset 0
		.amdhsa_system_sgpr_workgroup_id_x 1
		.amdhsa_system_sgpr_workgroup_id_y 0
		.amdhsa_system_sgpr_workgroup_id_z 0
		.amdhsa_system_sgpr_workgroup_info 0
		.amdhsa_system_vgpr_workitem_id 0
		.amdhsa_next_free_vgpr 1
		.amdhsa_next_free_sgpr 0
		.amdhsa_reserve_vcc 0
		.amdhsa_reserve_flat_scratch 0
		.amdhsa_float_round_mode_32 0
		.amdhsa_float_round_mode_16_64 0
		.amdhsa_float_denorm_mode_32 3
		.amdhsa_float_denorm_mode_16_64 3
		.amdhsa_dx10_clamp 1
		.amdhsa_ieee_mode 1
		.amdhsa_fp16_overflow 0
		.amdhsa_exception_fp_ieee_invalid_op 0
		.amdhsa_exception_fp_denorm_src 0
		.amdhsa_exception_fp_ieee_div_zero 0
		.amdhsa_exception_fp_ieee_overflow 0
		.amdhsa_exception_fp_ieee_underflow 0
		.amdhsa_exception_fp_ieee_inexact 0
		.amdhsa_exception_int_div_zero 0
	.end_amdhsa_kernel
	.section	.text._ZN7rocprim17ROCPRIM_400000_NS6detail17trampoline_kernelINS0_13select_configILj256ELj13ELNS0_17block_load_methodE3ELS4_3ELS4_3ELNS0_20block_scan_algorithmE0ELj4294967295EEENS1_25partition_config_selectorILNS1_17partition_subalgoE4EjNS0_10empty_typeEbEEZZNS1_14partition_implILS8_4ELb0ES6_15HIP_vector_typeIjLj2EENS0_17counting_iteratorIjlEEPS9_SG_NS0_5tupleIJPjSI_NS0_16reverse_iteratorISI_EEEEENSH_IJSG_SG_SG_EEES9_SI_JZNS1_25segmented_radix_sort_implINS0_14default_configELb0EPK12hip_bfloat16PSP_PKlPlN2at6native12_GLOBAL__N_18offset_tEEE10hipError_tPvRmT1_PNSt15iterator_traitsIS13_E10value_typeET2_T3_PNS14_IS19_E10value_typeET4_jRbjT5_S1F_jjP12ihipStream_tbEUljE_ZNSN_ISO_Lb0ESR_SS_SU_SV_SZ_EES10_S11_S12_S13_S17_S18_S19_S1C_S1D_jS1E_jS1F_S1F_jjS1H_bEUljE0_EEES10_S11_S12_S19_S1D_S1F_T6_T7_T9_mT8_S1H_bDpT10_ENKUlT_T0_E_clISt17integral_constantIbLb1EES1V_EEDaS1Q_S1R_EUlS1Q_E_NS1_11comp_targetILNS1_3genE9ELNS1_11target_archE1100ELNS1_3gpuE3ELNS1_3repE0EEENS1_30default_config_static_selectorELNS0_4arch9wavefront6targetE1EEEvS13_,"axG",@progbits,_ZN7rocprim17ROCPRIM_400000_NS6detail17trampoline_kernelINS0_13select_configILj256ELj13ELNS0_17block_load_methodE3ELS4_3ELS4_3ELNS0_20block_scan_algorithmE0ELj4294967295EEENS1_25partition_config_selectorILNS1_17partition_subalgoE4EjNS0_10empty_typeEbEEZZNS1_14partition_implILS8_4ELb0ES6_15HIP_vector_typeIjLj2EENS0_17counting_iteratorIjlEEPS9_SG_NS0_5tupleIJPjSI_NS0_16reverse_iteratorISI_EEEEENSH_IJSG_SG_SG_EEES9_SI_JZNS1_25segmented_radix_sort_implINS0_14default_configELb0EPK12hip_bfloat16PSP_PKlPlN2at6native12_GLOBAL__N_18offset_tEEE10hipError_tPvRmT1_PNSt15iterator_traitsIS13_E10value_typeET2_T3_PNS14_IS19_E10value_typeET4_jRbjT5_S1F_jjP12ihipStream_tbEUljE_ZNSN_ISO_Lb0ESR_SS_SU_SV_SZ_EES10_S11_S12_S13_S17_S18_S19_S1C_S1D_jS1E_jS1F_S1F_jjS1H_bEUljE0_EEES10_S11_S12_S19_S1D_S1F_T6_T7_T9_mT8_S1H_bDpT10_ENKUlT_T0_E_clISt17integral_constantIbLb1EES1V_EEDaS1Q_S1R_EUlS1Q_E_NS1_11comp_targetILNS1_3genE9ELNS1_11target_archE1100ELNS1_3gpuE3ELNS1_3repE0EEENS1_30default_config_static_selectorELNS0_4arch9wavefront6targetE1EEEvS13_,comdat
.Lfunc_end1999:
	.size	_ZN7rocprim17ROCPRIM_400000_NS6detail17trampoline_kernelINS0_13select_configILj256ELj13ELNS0_17block_load_methodE3ELS4_3ELS4_3ELNS0_20block_scan_algorithmE0ELj4294967295EEENS1_25partition_config_selectorILNS1_17partition_subalgoE4EjNS0_10empty_typeEbEEZZNS1_14partition_implILS8_4ELb0ES6_15HIP_vector_typeIjLj2EENS0_17counting_iteratorIjlEEPS9_SG_NS0_5tupleIJPjSI_NS0_16reverse_iteratorISI_EEEEENSH_IJSG_SG_SG_EEES9_SI_JZNS1_25segmented_radix_sort_implINS0_14default_configELb0EPK12hip_bfloat16PSP_PKlPlN2at6native12_GLOBAL__N_18offset_tEEE10hipError_tPvRmT1_PNSt15iterator_traitsIS13_E10value_typeET2_T3_PNS14_IS19_E10value_typeET4_jRbjT5_S1F_jjP12ihipStream_tbEUljE_ZNSN_ISO_Lb0ESR_SS_SU_SV_SZ_EES10_S11_S12_S13_S17_S18_S19_S1C_S1D_jS1E_jS1F_S1F_jjS1H_bEUljE0_EEES10_S11_S12_S19_S1D_S1F_T6_T7_T9_mT8_S1H_bDpT10_ENKUlT_T0_E_clISt17integral_constantIbLb1EES1V_EEDaS1Q_S1R_EUlS1Q_E_NS1_11comp_targetILNS1_3genE9ELNS1_11target_archE1100ELNS1_3gpuE3ELNS1_3repE0EEENS1_30default_config_static_selectorELNS0_4arch9wavefront6targetE1EEEvS13_, .Lfunc_end1999-_ZN7rocprim17ROCPRIM_400000_NS6detail17trampoline_kernelINS0_13select_configILj256ELj13ELNS0_17block_load_methodE3ELS4_3ELS4_3ELNS0_20block_scan_algorithmE0ELj4294967295EEENS1_25partition_config_selectorILNS1_17partition_subalgoE4EjNS0_10empty_typeEbEEZZNS1_14partition_implILS8_4ELb0ES6_15HIP_vector_typeIjLj2EENS0_17counting_iteratorIjlEEPS9_SG_NS0_5tupleIJPjSI_NS0_16reverse_iteratorISI_EEEEENSH_IJSG_SG_SG_EEES9_SI_JZNS1_25segmented_radix_sort_implINS0_14default_configELb0EPK12hip_bfloat16PSP_PKlPlN2at6native12_GLOBAL__N_18offset_tEEE10hipError_tPvRmT1_PNSt15iterator_traitsIS13_E10value_typeET2_T3_PNS14_IS19_E10value_typeET4_jRbjT5_S1F_jjP12ihipStream_tbEUljE_ZNSN_ISO_Lb0ESR_SS_SU_SV_SZ_EES10_S11_S12_S13_S17_S18_S19_S1C_S1D_jS1E_jS1F_S1F_jjS1H_bEUljE0_EEES10_S11_S12_S19_S1D_S1F_T6_T7_T9_mT8_S1H_bDpT10_ENKUlT_T0_E_clISt17integral_constantIbLb1EES1V_EEDaS1Q_S1R_EUlS1Q_E_NS1_11comp_targetILNS1_3genE9ELNS1_11target_archE1100ELNS1_3gpuE3ELNS1_3repE0EEENS1_30default_config_static_selectorELNS0_4arch9wavefront6targetE1EEEvS13_
                                        ; -- End function
	.set _ZN7rocprim17ROCPRIM_400000_NS6detail17trampoline_kernelINS0_13select_configILj256ELj13ELNS0_17block_load_methodE3ELS4_3ELS4_3ELNS0_20block_scan_algorithmE0ELj4294967295EEENS1_25partition_config_selectorILNS1_17partition_subalgoE4EjNS0_10empty_typeEbEEZZNS1_14partition_implILS8_4ELb0ES6_15HIP_vector_typeIjLj2EENS0_17counting_iteratorIjlEEPS9_SG_NS0_5tupleIJPjSI_NS0_16reverse_iteratorISI_EEEEENSH_IJSG_SG_SG_EEES9_SI_JZNS1_25segmented_radix_sort_implINS0_14default_configELb0EPK12hip_bfloat16PSP_PKlPlN2at6native12_GLOBAL__N_18offset_tEEE10hipError_tPvRmT1_PNSt15iterator_traitsIS13_E10value_typeET2_T3_PNS14_IS19_E10value_typeET4_jRbjT5_S1F_jjP12ihipStream_tbEUljE_ZNSN_ISO_Lb0ESR_SS_SU_SV_SZ_EES10_S11_S12_S13_S17_S18_S19_S1C_S1D_jS1E_jS1F_S1F_jjS1H_bEUljE0_EEES10_S11_S12_S19_S1D_S1F_T6_T7_T9_mT8_S1H_bDpT10_ENKUlT_T0_E_clISt17integral_constantIbLb1EES1V_EEDaS1Q_S1R_EUlS1Q_E_NS1_11comp_targetILNS1_3genE9ELNS1_11target_archE1100ELNS1_3gpuE3ELNS1_3repE0EEENS1_30default_config_static_selectorELNS0_4arch9wavefront6targetE1EEEvS13_.num_vgpr, 0
	.set _ZN7rocprim17ROCPRIM_400000_NS6detail17trampoline_kernelINS0_13select_configILj256ELj13ELNS0_17block_load_methodE3ELS4_3ELS4_3ELNS0_20block_scan_algorithmE0ELj4294967295EEENS1_25partition_config_selectorILNS1_17partition_subalgoE4EjNS0_10empty_typeEbEEZZNS1_14partition_implILS8_4ELb0ES6_15HIP_vector_typeIjLj2EENS0_17counting_iteratorIjlEEPS9_SG_NS0_5tupleIJPjSI_NS0_16reverse_iteratorISI_EEEEENSH_IJSG_SG_SG_EEES9_SI_JZNS1_25segmented_radix_sort_implINS0_14default_configELb0EPK12hip_bfloat16PSP_PKlPlN2at6native12_GLOBAL__N_18offset_tEEE10hipError_tPvRmT1_PNSt15iterator_traitsIS13_E10value_typeET2_T3_PNS14_IS19_E10value_typeET4_jRbjT5_S1F_jjP12ihipStream_tbEUljE_ZNSN_ISO_Lb0ESR_SS_SU_SV_SZ_EES10_S11_S12_S13_S17_S18_S19_S1C_S1D_jS1E_jS1F_S1F_jjS1H_bEUljE0_EEES10_S11_S12_S19_S1D_S1F_T6_T7_T9_mT8_S1H_bDpT10_ENKUlT_T0_E_clISt17integral_constantIbLb1EES1V_EEDaS1Q_S1R_EUlS1Q_E_NS1_11comp_targetILNS1_3genE9ELNS1_11target_archE1100ELNS1_3gpuE3ELNS1_3repE0EEENS1_30default_config_static_selectorELNS0_4arch9wavefront6targetE1EEEvS13_.num_agpr, 0
	.set _ZN7rocprim17ROCPRIM_400000_NS6detail17trampoline_kernelINS0_13select_configILj256ELj13ELNS0_17block_load_methodE3ELS4_3ELS4_3ELNS0_20block_scan_algorithmE0ELj4294967295EEENS1_25partition_config_selectorILNS1_17partition_subalgoE4EjNS0_10empty_typeEbEEZZNS1_14partition_implILS8_4ELb0ES6_15HIP_vector_typeIjLj2EENS0_17counting_iteratorIjlEEPS9_SG_NS0_5tupleIJPjSI_NS0_16reverse_iteratorISI_EEEEENSH_IJSG_SG_SG_EEES9_SI_JZNS1_25segmented_radix_sort_implINS0_14default_configELb0EPK12hip_bfloat16PSP_PKlPlN2at6native12_GLOBAL__N_18offset_tEEE10hipError_tPvRmT1_PNSt15iterator_traitsIS13_E10value_typeET2_T3_PNS14_IS19_E10value_typeET4_jRbjT5_S1F_jjP12ihipStream_tbEUljE_ZNSN_ISO_Lb0ESR_SS_SU_SV_SZ_EES10_S11_S12_S13_S17_S18_S19_S1C_S1D_jS1E_jS1F_S1F_jjS1H_bEUljE0_EEES10_S11_S12_S19_S1D_S1F_T6_T7_T9_mT8_S1H_bDpT10_ENKUlT_T0_E_clISt17integral_constantIbLb1EES1V_EEDaS1Q_S1R_EUlS1Q_E_NS1_11comp_targetILNS1_3genE9ELNS1_11target_archE1100ELNS1_3gpuE3ELNS1_3repE0EEENS1_30default_config_static_selectorELNS0_4arch9wavefront6targetE1EEEvS13_.numbered_sgpr, 0
	.set _ZN7rocprim17ROCPRIM_400000_NS6detail17trampoline_kernelINS0_13select_configILj256ELj13ELNS0_17block_load_methodE3ELS4_3ELS4_3ELNS0_20block_scan_algorithmE0ELj4294967295EEENS1_25partition_config_selectorILNS1_17partition_subalgoE4EjNS0_10empty_typeEbEEZZNS1_14partition_implILS8_4ELb0ES6_15HIP_vector_typeIjLj2EENS0_17counting_iteratorIjlEEPS9_SG_NS0_5tupleIJPjSI_NS0_16reverse_iteratorISI_EEEEENSH_IJSG_SG_SG_EEES9_SI_JZNS1_25segmented_radix_sort_implINS0_14default_configELb0EPK12hip_bfloat16PSP_PKlPlN2at6native12_GLOBAL__N_18offset_tEEE10hipError_tPvRmT1_PNSt15iterator_traitsIS13_E10value_typeET2_T3_PNS14_IS19_E10value_typeET4_jRbjT5_S1F_jjP12ihipStream_tbEUljE_ZNSN_ISO_Lb0ESR_SS_SU_SV_SZ_EES10_S11_S12_S13_S17_S18_S19_S1C_S1D_jS1E_jS1F_S1F_jjS1H_bEUljE0_EEES10_S11_S12_S19_S1D_S1F_T6_T7_T9_mT8_S1H_bDpT10_ENKUlT_T0_E_clISt17integral_constantIbLb1EES1V_EEDaS1Q_S1R_EUlS1Q_E_NS1_11comp_targetILNS1_3genE9ELNS1_11target_archE1100ELNS1_3gpuE3ELNS1_3repE0EEENS1_30default_config_static_selectorELNS0_4arch9wavefront6targetE1EEEvS13_.num_named_barrier, 0
	.set _ZN7rocprim17ROCPRIM_400000_NS6detail17trampoline_kernelINS0_13select_configILj256ELj13ELNS0_17block_load_methodE3ELS4_3ELS4_3ELNS0_20block_scan_algorithmE0ELj4294967295EEENS1_25partition_config_selectorILNS1_17partition_subalgoE4EjNS0_10empty_typeEbEEZZNS1_14partition_implILS8_4ELb0ES6_15HIP_vector_typeIjLj2EENS0_17counting_iteratorIjlEEPS9_SG_NS0_5tupleIJPjSI_NS0_16reverse_iteratorISI_EEEEENSH_IJSG_SG_SG_EEES9_SI_JZNS1_25segmented_radix_sort_implINS0_14default_configELb0EPK12hip_bfloat16PSP_PKlPlN2at6native12_GLOBAL__N_18offset_tEEE10hipError_tPvRmT1_PNSt15iterator_traitsIS13_E10value_typeET2_T3_PNS14_IS19_E10value_typeET4_jRbjT5_S1F_jjP12ihipStream_tbEUljE_ZNSN_ISO_Lb0ESR_SS_SU_SV_SZ_EES10_S11_S12_S13_S17_S18_S19_S1C_S1D_jS1E_jS1F_S1F_jjS1H_bEUljE0_EEES10_S11_S12_S19_S1D_S1F_T6_T7_T9_mT8_S1H_bDpT10_ENKUlT_T0_E_clISt17integral_constantIbLb1EES1V_EEDaS1Q_S1R_EUlS1Q_E_NS1_11comp_targetILNS1_3genE9ELNS1_11target_archE1100ELNS1_3gpuE3ELNS1_3repE0EEENS1_30default_config_static_selectorELNS0_4arch9wavefront6targetE1EEEvS13_.private_seg_size, 0
	.set _ZN7rocprim17ROCPRIM_400000_NS6detail17trampoline_kernelINS0_13select_configILj256ELj13ELNS0_17block_load_methodE3ELS4_3ELS4_3ELNS0_20block_scan_algorithmE0ELj4294967295EEENS1_25partition_config_selectorILNS1_17partition_subalgoE4EjNS0_10empty_typeEbEEZZNS1_14partition_implILS8_4ELb0ES6_15HIP_vector_typeIjLj2EENS0_17counting_iteratorIjlEEPS9_SG_NS0_5tupleIJPjSI_NS0_16reverse_iteratorISI_EEEEENSH_IJSG_SG_SG_EEES9_SI_JZNS1_25segmented_radix_sort_implINS0_14default_configELb0EPK12hip_bfloat16PSP_PKlPlN2at6native12_GLOBAL__N_18offset_tEEE10hipError_tPvRmT1_PNSt15iterator_traitsIS13_E10value_typeET2_T3_PNS14_IS19_E10value_typeET4_jRbjT5_S1F_jjP12ihipStream_tbEUljE_ZNSN_ISO_Lb0ESR_SS_SU_SV_SZ_EES10_S11_S12_S13_S17_S18_S19_S1C_S1D_jS1E_jS1F_S1F_jjS1H_bEUljE0_EEES10_S11_S12_S19_S1D_S1F_T6_T7_T9_mT8_S1H_bDpT10_ENKUlT_T0_E_clISt17integral_constantIbLb1EES1V_EEDaS1Q_S1R_EUlS1Q_E_NS1_11comp_targetILNS1_3genE9ELNS1_11target_archE1100ELNS1_3gpuE3ELNS1_3repE0EEENS1_30default_config_static_selectorELNS0_4arch9wavefront6targetE1EEEvS13_.uses_vcc, 0
	.set _ZN7rocprim17ROCPRIM_400000_NS6detail17trampoline_kernelINS0_13select_configILj256ELj13ELNS0_17block_load_methodE3ELS4_3ELS4_3ELNS0_20block_scan_algorithmE0ELj4294967295EEENS1_25partition_config_selectorILNS1_17partition_subalgoE4EjNS0_10empty_typeEbEEZZNS1_14partition_implILS8_4ELb0ES6_15HIP_vector_typeIjLj2EENS0_17counting_iteratorIjlEEPS9_SG_NS0_5tupleIJPjSI_NS0_16reverse_iteratorISI_EEEEENSH_IJSG_SG_SG_EEES9_SI_JZNS1_25segmented_radix_sort_implINS0_14default_configELb0EPK12hip_bfloat16PSP_PKlPlN2at6native12_GLOBAL__N_18offset_tEEE10hipError_tPvRmT1_PNSt15iterator_traitsIS13_E10value_typeET2_T3_PNS14_IS19_E10value_typeET4_jRbjT5_S1F_jjP12ihipStream_tbEUljE_ZNSN_ISO_Lb0ESR_SS_SU_SV_SZ_EES10_S11_S12_S13_S17_S18_S19_S1C_S1D_jS1E_jS1F_S1F_jjS1H_bEUljE0_EEES10_S11_S12_S19_S1D_S1F_T6_T7_T9_mT8_S1H_bDpT10_ENKUlT_T0_E_clISt17integral_constantIbLb1EES1V_EEDaS1Q_S1R_EUlS1Q_E_NS1_11comp_targetILNS1_3genE9ELNS1_11target_archE1100ELNS1_3gpuE3ELNS1_3repE0EEENS1_30default_config_static_selectorELNS0_4arch9wavefront6targetE1EEEvS13_.uses_flat_scratch, 0
	.set _ZN7rocprim17ROCPRIM_400000_NS6detail17trampoline_kernelINS0_13select_configILj256ELj13ELNS0_17block_load_methodE3ELS4_3ELS4_3ELNS0_20block_scan_algorithmE0ELj4294967295EEENS1_25partition_config_selectorILNS1_17partition_subalgoE4EjNS0_10empty_typeEbEEZZNS1_14partition_implILS8_4ELb0ES6_15HIP_vector_typeIjLj2EENS0_17counting_iteratorIjlEEPS9_SG_NS0_5tupleIJPjSI_NS0_16reverse_iteratorISI_EEEEENSH_IJSG_SG_SG_EEES9_SI_JZNS1_25segmented_radix_sort_implINS0_14default_configELb0EPK12hip_bfloat16PSP_PKlPlN2at6native12_GLOBAL__N_18offset_tEEE10hipError_tPvRmT1_PNSt15iterator_traitsIS13_E10value_typeET2_T3_PNS14_IS19_E10value_typeET4_jRbjT5_S1F_jjP12ihipStream_tbEUljE_ZNSN_ISO_Lb0ESR_SS_SU_SV_SZ_EES10_S11_S12_S13_S17_S18_S19_S1C_S1D_jS1E_jS1F_S1F_jjS1H_bEUljE0_EEES10_S11_S12_S19_S1D_S1F_T6_T7_T9_mT8_S1H_bDpT10_ENKUlT_T0_E_clISt17integral_constantIbLb1EES1V_EEDaS1Q_S1R_EUlS1Q_E_NS1_11comp_targetILNS1_3genE9ELNS1_11target_archE1100ELNS1_3gpuE3ELNS1_3repE0EEENS1_30default_config_static_selectorELNS0_4arch9wavefront6targetE1EEEvS13_.has_dyn_sized_stack, 0
	.set _ZN7rocprim17ROCPRIM_400000_NS6detail17trampoline_kernelINS0_13select_configILj256ELj13ELNS0_17block_load_methodE3ELS4_3ELS4_3ELNS0_20block_scan_algorithmE0ELj4294967295EEENS1_25partition_config_selectorILNS1_17partition_subalgoE4EjNS0_10empty_typeEbEEZZNS1_14partition_implILS8_4ELb0ES6_15HIP_vector_typeIjLj2EENS0_17counting_iteratorIjlEEPS9_SG_NS0_5tupleIJPjSI_NS0_16reverse_iteratorISI_EEEEENSH_IJSG_SG_SG_EEES9_SI_JZNS1_25segmented_radix_sort_implINS0_14default_configELb0EPK12hip_bfloat16PSP_PKlPlN2at6native12_GLOBAL__N_18offset_tEEE10hipError_tPvRmT1_PNSt15iterator_traitsIS13_E10value_typeET2_T3_PNS14_IS19_E10value_typeET4_jRbjT5_S1F_jjP12ihipStream_tbEUljE_ZNSN_ISO_Lb0ESR_SS_SU_SV_SZ_EES10_S11_S12_S13_S17_S18_S19_S1C_S1D_jS1E_jS1F_S1F_jjS1H_bEUljE0_EEES10_S11_S12_S19_S1D_S1F_T6_T7_T9_mT8_S1H_bDpT10_ENKUlT_T0_E_clISt17integral_constantIbLb1EES1V_EEDaS1Q_S1R_EUlS1Q_E_NS1_11comp_targetILNS1_3genE9ELNS1_11target_archE1100ELNS1_3gpuE3ELNS1_3repE0EEENS1_30default_config_static_selectorELNS0_4arch9wavefront6targetE1EEEvS13_.has_recursion, 0
	.set _ZN7rocprim17ROCPRIM_400000_NS6detail17trampoline_kernelINS0_13select_configILj256ELj13ELNS0_17block_load_methodE3ELS4_3ELS4_3ELNS0_20block_scan_algorithmE0ELj4294967295EEENS1_25partition_config_selectorILNS1_17partition_subalgoE4EjNS0_10empty_typeEbEEZZNS1_14partition_implILS8_4ELb0ES6_15HIP_vector_typeIjLj2EENS0_17counting_iteratorIjlEEPS9_SG_NS0_5tupleIJPjSI_NS0_16reverse_iteratorISI_EEEEENSH_IJSG_SG_SG_EEES9_SI_JZNS1_25segmented_radix_sort_implINS0_14default_configELb0EPK12hip_bfloat16PSP_PKlPlN2at6native12_GLOBAL__N_18offset_tEEE10hipError_tPvRmT1_PNSt15iterator_traitsIS13_E10value_typeET2_T3_PNS14_IS19_E10value_typeET4_jRbjT5_S1F_jjP12ihipStream_tbEUljE_ZNSN_ISO_Lb0ESR_SS_SU_SV_SZ_EES10_S11_S12_S13_S17_S18_S19_S1C_S1D_jS1E_jS1F_S1F_jjS1H_bEUljE0_EEES10_S11_S12_S19_S1D_S1F_T6_T7_T9_mT8_S1H_bDpT10_ENKUlT_T0_E_clISt17integral_constantIbLb1EES1V_EEDaS1Q_S1R_EUlS1Q_E_NS1_11comp_targetILNS1_3genE9ELNS1_11target_archE1100ELNS1_3gpuE3ELNS1_3repE0EEENS1_30default_config_static_selectorELNS0_4arch9wavefront6targetE1EEEvS13_.has_indirect_call, 0
	.section	.AMDGPU.csdata,"",@progbits
; Kernel info:
; codeLenInByte = 0
; TotalNumSgprs: 4
; NumVgprs: 0
; ScratchSize: 0
; MemoryBound: 0
; FloatMode: 240
; IeeeMode: 1
; LDSByteSize: 0 bytes/workgroup (compile time only)
; SGPRBlocks: 0
; VGPRBlocks: 0
; NumSGPRsForWavesPerEU: 4
; NumVGPRsForWavesPerEU: 1
; Occupancy: 10
; WaveLimiterHint : 0
; COMPUTE_PGM_RSRC2:SCRATCH_EN: 0
; COMPUTE_PGM_RSRC2:USER_SGPR: 6
; COMPUTE_PGM_RSRC2:TRAP_HANDLER: 0
; COMPUTE_PGM_RSRC2:TGID_X_EN: 1
; COMPUTE_PGM_RSRC2:TGID_Y_EN: 0
; COMPUTE_PGM_RSRC2:TGID_Z_EN: 0
; COMPUTE_PGM_RSRC2:TIDIG_COMP_CNT: 0
	.section	.text._ZN7rocprim17ROCPRIM_400000_NS6detail17trampoline_kernelINS0_13select_configILj256ELj13ELNS0_17block_load_methodE3ELS4_3ELS4_3ELNS0_20block_scan_algorithmE0ELj4294967295EEENS1_25partition_config_selectorILNS1_17partition_subalgoE4EjNS0_10empty_typeEbEEZZNS1_14partition_implILS8_4ELb0ES6_15HIP_vector_typeIjLj2EENS0_17counting_iteratorIjlEEPS9_SG_NS0_5tupleIJPjSI_NS0_16reverse_iteratorISI_EEEEENSH_IJSG_SG_SG_EEES9_SI_JZNS1_25segmented_radix_sort_implINS0_14default_configELb0EPK12hip_bfloat16PSP_PKlPlN2at6native12_GLOBAL__N_18offset_tEEE10hipError_tPvRmT1_PNSt15iterator_traitsIS13_E10value_typeET2_T3_PNS14_IS19_E10value_typeET4_jRbjT5_S1F_jjP12ihipStream_tbEUljE_ZNSN_ISO_Lb0ESR_SS_SU_SV_SZ_EES10_S11_S12_S13_S17_S18_S19_S1C_S1D_jS1E_jS1F_S1F_jjS1H_bEUljE0_EEES10_S11_S12_S19_S1D_S1F_T6_T7_T9_mT8_S1H_bDpT10_ENKUlT_T0_E_clISt17integral_constantIbLb1EES1V_EEDaS1Q_S1R_EUlS1Q_E_NS1_11comp_targetILNS1_3genE8ELNS1_11target_archE1030ELNS1_3gpuE2ELNS1_3repE0EEENS1_30default_config_static_selectorELNS0_4arch9wavefront6targetE1EEEvS13_,"axG",@progbits,_ZN7rocprim17ROCPRIM_400000_NS6detail17trampoline_kernelINS0_13select_configILj256ELj13ELNS0_17block_load_methodE3ELS4_3ELS4_3ELNS0_20block_scan_algorithmE0ELj4294967295EEENS1_25partition_config_selectorILNS1_17partition_subalgoE4EjNS0_10empty_typeEbEEZZNS1_14partition_implILS8_4ELb0ES6_15HIP_vector_typeIjLj2EENS0_17counting_iteratorIjlEEPS9_SG_NS0_5tupleIJPjSI_NS0_16reverse_iteratorISI_EEEEENSH_IJSG_SG_SG_EEES9_SI_JZNS1_25segmented_radix_sort_implINS0_14default_configELb0EPK12hip_bfloat16PSP_PKlPlN2at6native12_GLOBAL__N_18offset_tEEE10hipError_tPvRmT1_PNSt15iterator_traitsIS13_E10value_typeET2_T3_PNS14_IS19_E10value_typeET4_jRbjT5_S1F_jjP12ihipStream_tbEUljE_ZNSN_ISO_Lb0ESR_SS_SU_SV_SZ_EES10_S11_S12_S13_S17_S18_S19_S1C_S1D_jS1E_jS1F_S1F_jjS1H_bEUljE0_EEES10_S11_S12_S19_S1D_S1F_T6_T7_T9_mT8_S1H_bDpT10_ENKUlT_T0_E_clISt17integral_constantIbLb1EES1V_EEDaS1Q_S1R_EUlS1Q_E_NS1_11comp_targetILNS1_3genE8ELNS1_11target_archE1030ELNS1_3gpuE2ELNS1_3repE0EEENS1_30default_config_static_selectorELNS0_4arch9wavefront6targetE1EEEvS13_,comdat
	.globl	_ZN7rocprim17ROCPRIM_400000_NS6detail17trampoline_kernelINS0_13select_configILj256ELj13ELNS0_17block_load_methodE3ELS4_3ELS4_3ELNS0_20block_scan_algorithmE0ELj4294967295EEENS1_25partition_config_selectorILNS1_17partition_subalgoE4EjNS0_10empty_typeEbEEZZNS1_14partition_implILS8_4ELb0ES6_15HIP_vector_typeIjLj2EENS0_17counting_iteratorIjlEEPS9_SG_NS0_5tupleIJPjSI_NS0_16reverse_iteratorISI_EEEEENSH_IJSG_SG_SG_EEES9_SI_JZNS1_25segmented_radix_sort_implINS0_14default_configELb0EPK12hip_bfloat16PSP_PKlPlN2at6native12_GLOBAL__N_18offset_tEEE10hipError_tPvRmT1_PNSt15iterator_traitsIS13_E10value_typeET2_T3_PNS14_IS19_E10value_typeET4_jRbjT5_S1F_jjP12ihipStream_tbEUljE_ZNSN_ISO_Lb0ESR_SS_SU_SV_SZ_EES10_S11_S12_S13_S17_S18_S19_S1C_S1D_jS1E_jS1F_S1F_jjS1H_bEUljE0_EEES10_S11_S12_S19_S1D_S1F_T6_T7_T9_mT8_S1H_bDpT10_ENKUlT_T0_E_clISt17integral_constantIbLb1EES1V_EEDaS1Q_S1R_EUlS1Q_E_NS1_11comp_targetILNS1_3genE8ELNS1_11target_archE1030ELNS1_3gpuE2ELNS1_3repE0EEENS1_30default_config_static_selectorELNS0_4arch9wavefront6targetE1EEEvS13_ ; -- Begin function _ZN7rocprim17ROCPRIM_400000_NS6detail17trampoline_kernelINS0_13select_configILj256ELj13ELNS0_17block_load_methodE3ELS4_3ELS4_3ELNS0_20block_scan_algorithmE0ELj4294967295EEENS1_25partition_config_selectorILNS1_17partition_subalgoE4EjNS0_10empty_typeEbEEZZNS1_14partition_implILS8_4ELb0ES6_15HIP_vector_typeIjLj2EENS0_17counting_iteratorIjlEEPS9_SG_NS0_5tupleIJPjSI_NS0_16reverse_iteratorISI_EEEEENSH_IJSG_SG_SG_EEES9_SI_JZNS1_25segmented_radix_sort_implINS0_14default_configELb0EPK12hip_bfloat16PSP_PKlPlN2at6native12_GLOBAL__N_18offset_tEEE10hipError_tPvRmT1_PNSt15iterator_traitsIS13_E10value_typeET2_T3_PNS14_IS19_E10value_typeET4_jRbjT5_S1F_jjP12ihipStream_tbEUljE_ZNSN_ISO_Lb0ESR_SS_SU_SV_SZ_EES10_S11_S12_S13_S17_S18_S19_S1C_S1D_jS1E_jS1F_S1F_jjS1H_bEUljE0_EEES10_S11_S12_S19_S1D_S1F_T6_T7_T9_mT8_S1H_bDpT10_ENKUlT_T0_E_clISt17integral_constantIbLb1EES1V_EEDaS1Q_S1R_EUlS1Q_E_NS1_11comp_targetILNS1_3genE8ELNS1_11target_archE1030ELNS1_3gpuE2ELNS1_3repE0EEENS1_30default_config_static_selectorELNS0_4arch9wavefront6targetE1EEEvS13_
	.p2align	8
	.type	_ZN7rocprim17ROCPRIM_400000_NS6detail17trampoline_kernelINS0_13select_configILj256ELj13ELNS0_17block_load_methodE3ELS4_3ELS4_3ELNS0_20block_scan_algorithmE0ELj4294967295EEENS1_25partition_config_selectorILNS1_17partition_subalgoE4EjNS0_10empty_typeEbEEZZNS1_14partition_implILS8_4ELb0ES6_15HIP_vector_typeIjLj2EENS0_17counting_iteratorIjlEEPS9_SG_NS0_5tupleIJPjSI_NS0_16reverse_iteratorISI_EEEEENSH_IJSG_SG_SG_EEES9_SI_JZNS1_25segmented_radix_sort_implINS0_14default_configELb0EPK12hip_bfloat16PSP_PKlPlN2at6native12_GLOBAL__N_18offset_tEEE10hipError_tPvRmT1_PNSt15iterator_traitsIS13_E10value_typeET2_T3_PNS14_IS19_E10value_typeET4_jRbjT5_S1F_jjP12ihipStream_tbEUljE_ZNSN_ISO_Lb0ESR_SS_SU_SV_SZ_EES10_S11_S12_S13_S17_S18_S19_S1C_S1D_jS1E_jS1F_S1F_jjS1H_bEUljE0_EEES10_S11_S12_S19_S1D_S1F_T6_T7_T9_mT8_S1H_bDpT10_ENKUlT_T0_E_clISt17integral_constantIbLb1EES1V_EEDaS1Q_S1R_EUlS1Q_E_NS1_11comp_targetILNS1_3genE8ELNS1_11target_archE1030ELNS1_3gpuE2ELNS1_3repE0EEENS1_30default_config_static_selectorELNS0_4arch9wavefront6targetE1EEEvS13_,@function
_ZN7rocprim17ROCPRIM_400000_NS6detail17trampoline_kernelINS0_13select_configILj256ELj13ELNS0_17block_load_methodE3ELS4_3ELS4_3ELNS0_20block_scan_algorithmE0ELj4294967295EEENS1_25partition_config_selectorILNS1_17partition_subalgoE4EjNS0_10empty_typeEbEEZZNS1_14partition_implILS8_4ELb0ES6_15HIP_vector_typeIjLj2EENS0_17counting_iteratorIjlEEPS9_SG_NS0_5tupleIJPjSI_NS0_16reverse_iteratorISI_EEEEENSH_IJSG_SG_SG_EEES9_SI_JZNS1_25segmented_radix_sort_implINS0_14default_configELb0EPK12hip_bfloat16PSP_PKlPlN2at6native12_GLOBAL__N_18offset_tEEE10hipError_tPvRmT1_PNSt15iterator_traitsIS13_E10value_typeET2_T3_PNS14_IS19_E10value_typeET4_jRbjT5_S1F_jjP12ihipStream_tbEUljE_ZNSN_ISO_Lb0ESR_SS_SU_SV_SZ_EES10_S11_S12_S13_S17_S18_S19_S1C_S1D_jS1E_jS1F_S1F_jjS1H_bEUljE0_EEES10_S11_S12_S19_S1D_S1F_T6_T7_T9_mT8_S1H_bDpT10_ENKUlT_T0_E_clISt17integral_constantIbLb1EES1V_EEDaS1Q_S1R_EUlS1Q_E_NS1_11comp_targetILNS1_3genE8ELNS1_11target_archE1030ELNS1_3gpuE2ELNS1_3repE0EEENS1_30default_config_static_selectorELNS0_4arch9wavefront6targetE1EEEvS13_: ; @_ZN7rocprim17ROCPRIM_400000_NS6detail17trampoline_kernelINS0_13select_configILj256ELj13ELNS0_17block_load_methodE3ELS4_3ELS4_3ELNS0_20block_scan_algorithmE0ELj4294967295EEENS1_25partition_config_selectorILNS1_17partition_subalgoE4EjNS0_10empty_typeEbEEZZNS1_14partition_implILS8_4ELb0ES6_15HIP_vector_typeIjLj2EENS0_17counting_iteratorIjlEEPS9_SG_NS0_5tupleIJPjSI_NS0_16reverse_iteratorISI_EEEEENSH_IJSG_SG_SG_EEES9_SI_JZNS1_25segmented_radix_sort_implINS0_14default_configELb0EPK12hip_bfloat16PSP_PKlPlN2at6native12_GLOBAL__N_18offset_tEEE10hipError_tPvRmT1_PNSt15iterator_traitsIS13_E10value_typeET2_T3_PNS14_IS19_E10value_typeET4_jRbjT5_S1F_jjP12ihipStream_tbEUljE_ZNSN_ISO_Lb0ESR_SS_SU_SV_SZ_EES10_S11_S12_S13_S17_S18_S19_S1C_S1D_jS1E_jS1F_S1F_jjS1H_bEUljE0_EEES10_S11_S12_S19_S1D_S1F_T6_T7_T9_mT8_S1H_bDpT10_ENKUlT_T0_E_clISt17integral_constantIbLb1EES1V_EEDaS1Q_S1R_EUlS1Q_E_NS1_11comp_targetILNS1_3genE8ELNS1_11target_archE1030ELNS1_3gpuE2ELNS1_3repE0EEENS1_30default_config_static_selectorELNS0_4arch9wavefront6targetE1EEEvS13_
; %bb.0:
	.section	.rodata,"a",@progbits
	.p2align	6, 0x0
	.amdhsa_kernel _ZN7rocprim17ROCPRIM_400000_NS6detail17trampoline_kernelINS0_13select_configILj256ELj13ELNS0_17block_load_methodE3ELS4_3ELS4_3ELNS0_20block_scan_algorithmE0ELj4294967295EEENS1_25partition_config_selectorILNS1_17partition_subalgoE4EjNS0_10empty_typeEbEEZZNS1_14partition_implILS8_4ELb0ES6_15HIP_vector_typeIjLj2EENS0_17counting_iteratorIjlEEPS9_SG_NS0_5tupleIJPjSI_NS0_16reverse_iteratorISI_EEEEENSH_IJSG_SG_SG_EEES9_SI_JZNS1_25segmented_radix_sort_implINS0_14default_configELb0EPK12hip_bfloat16PSP_PKlPlN2at6native12_GLOBAL__N_18offset_tEEE10hipError_tPvRmT1_PNSt15iterator_traitsIS13_E10value_typeET2_T3_PNS14_IS19_E10value_typeET4_jRbjT5_S1F_jjP12ihipStream_tbEUljE_ZNSN_ISO_Lb0ESR_SS_SU_SV_SZ_EES10_S11_S12_S13_S17_S18_S19_S1C_S1D_jS1E_jS1F_S1F_jjS1H_bEUljE0_EEES10_S11_S12_S19_S1D_S1F_T6_T7_T9_mT8_S1H_bDpT10_ENKUlT_T0_E_clISt17integral_constantIbLb1EES1V_EEDaS1Q_S1R_EUlS1Q_E_NS1_11comp_targetILNS1_3genE8ELNS1_11target_archE1030ELNS1_3gpuE2ELNS1_3repE0EEENS1_30default_config_static_selectorELNS0_4arch9wavefront6targetE1EEEvS13_
		.amdhsa_group_segment_fixed_size 0
		.amdhsa_private_segment_fixed_size 0
		.amdhsa_kernarg_size 184
		.amdhsa_user_sgpr_count 6
		.amdhsa_user_sgpr_private_segment_buffer 1
		.amdhsa_user_sgpr_dispatch_ptr 0
		.amdhsa_user_sgpr_queue_ptr 0
		.amdhsa_user_sgpr_kernarg_segment_ptr 1
		.amdhsa_user_sgpr_dispatch_id 0
		.amdhsa_user_sgpr_flat_scratch_init 0
		.amdhsa_user_sgpr_private_segment_size 0
		.amdhsa_uses_dynamic_stack 0
		.amdhsa_system_sgpr_private_segment_wavefront_offset 0
		.amdhsa_system_sgpr_workgroup_id_x 1
		.amdhsa_system_sgpr_workgroup_id_y 0
		.amdhsa_system_sgpr_workgroup_id_z 0
		.amdhsa_system_sgpr_workgroup_info 0
		.amdhsa_system_vgpr_workitem_id 0
		.amdhsa_next_free_vgpr 1
		.amdhsa_next_free_sgpr 0
		.amdhsa_reserve_vcc 0
		.amdhsa_reserve_flat_scratch 0
		.amdhsa_float_round_mode_32 0
		.amdhsa_float_round_mode_16_64 0
		.amdhsa_float_denorm_mode_32 3
		.amdhsa_float_denorm_mode_16_64 3
		.amdhsa_dx10_clamp 1
		.amdhsa_ieee_mode 1
		.amdhsa_fp16_overflow 0
		.amdhsa_exception_fp_ieee_invalid_op 0
		.amdhsa_exception_fp_denorm_src 0
		.amdhsa_exception_fp_ieee_div_zero 0
		.amdhsa_exception_fp_ieee_overflow 0
		.amdhsa_exception_fp_ieee_underflow 0
		.amdhsa_exception_fp_ieee_inexact 0
		.amdhsa_exception_int_div_zero 0
	.end_amdhsa_kernel
	.section	.text._ZN7rocprim17ROCPRIM_400000_NS6detail17trampoline_kernelINS0_13select_configILj256ELj13ELNS0_17block_load_methodE3ELS4_3ELS4_3ELNS0_20block_scan_algorithmE0ELj4294967295EEENS1_25partition_config_selectorILNS1_17partition_subalgoE4EjNS0_10empty_typeEbEEZZNS1_14partition_implILS8_4ELb0ES6_15HIP_vector_typeIjLj2EENS0_17counting_iteratorIjlEEPS9_SG_NS0_5tupleIJPjSI_NS0_16reverse_iteratorISI_EEEEENSH_IJSG_SG_SG_EEES9_SI_JZNS1_25segmented_radix_sort_implINS0_14default_configELb0EPK12hip_bfloat16PSP_PKlPlN2at6native12_GLOBAL__N_18offset_tEEE10hipError_tPvRmT1_PNSt15iterator_traitsIS13_E10value_typeET2_T3_PNS14_IS19_E10value_typeET4_jRbjT5_S1F_jjP12ihipStream_tbEUljE_ZNSN_ISO_Lb0ESR_SS_SU_SV_SZ_EES10_S11_S12_S13_S17_S18_S19_S1C_S1D_jS1E_jS1F_S1F_jjS1H_bEUljE0_EEES10_S11_S12_S19_S1D_S1F_T6_T7_T9_mT8_S1H_bDpT10_ENKUlT_T0_E_clISt17integral_constantIbLb1EES1V_EEDaS1Q_S1R_EUlS1Q_E_NS1_11comp_targetILNS1_3genE8ELNS1_11target_archE1030ELNS1_3gpuE2ELNS1_3repE0EEENS1_30default_config_static_selectorELNS0_4arch9wavefront6targetE1EEEvS13_,"axG",@progbits,_ZN7rocprim17ROCPRIM_400000_NS6detail17trampoline_kernelINS0_13select_configILj256ELj13ELNS0_17block_load_methodE3ELS4_3ELS4_3ELNS0_20block_scan_algorithmE0ELj4294967295EEENS1_25partition_config_selectorILNS1_17partition_subalgoE4EjNS0_10empty_typeEbEEZZNS1_14partition_implILS8_4ELb0ES6_15HIP_vector_typeIjLj2EENS0_17counting_iteratorIjlEEPS9_SG_NS0_5tupleIJPjSI_NS0_16reverse_iteratorISI_EEEEENSH_IJSG_SG_SG_EEES9_SI_JZNS1_25segmented_radix_sort_implINS0_14default_configELb0EPK12hip_bfloat16PSP_PKlPlN2at6native12_GLOBAL__N_18offset_tEEE10hipError_tPvRmT1_PNSt15iterator_traitsIS13_E10value_typeET2_T3_PNS14_IS19_E10value_typeET4_jRbjT5_S1F_jjP12ihipStream_tbEUljE_ZNSN_ISO_Lb0ESR_SS_SU_SV_SZ_EES10_S11_S12_S13_S17_S18_S19_S1C_S1D_jS1E_jS1F_S1F_jjS1H_bEUljE0_EEES10_S11_S12_S19_S1D_S1F_T6_T7_T9_mT8_S1H_bDpT10_ENKUlT_T0_E_clISt17integral_constantIbLb1EES1V_EEDaS1Q_S1R_EUlS1Q_E_NS1_11comp_targetILNS1_3genE8ELNS1_11target_archE1030ELNS1_3gpuE2ELNS1_3repE0EEENS1_30default_config_static_selectorELNS0_4arch9wavefront6targetE1EEEvS13_,comdat
.Lfunc_end2000:
	.size	_ZN7rocprim17ROCPRIM_400000_NS6detail17trampoline_kernelINS0_13select_configILj256ELj13ELNS0_17block_load_methodE3ELS4_3ELS4_3ELNS0_20block_scan_algorithmE0ELj4294967295EEENS1_25partition_config_selectorILNS1_17partition_subalgoE4EjNS0_10empty_typeEbEEZZNS1_14partition_implILS8_4ELb0ES6_15HIP_vector_typeIjLj2EENS0_17counting_iteratorIjlEEPS9_SG_NS0_5tupleIJPjSI_NS0_16reverse_iteratorISI_EEEEENSH_IJSG_SG_SG_EEES9_SI_JZNS1_25segmented_radix_sort_implINS0_14default_configELb0EPK12hip_bfloat16PSP_PKlPlN2at6native12_GLOBAL__N_18offset_tEEE10hipError_tPvRmT1_PNSt15iterator_traitsIS13_E10value_typeET2_T3_PNS14_IS19_E10value_typeET4_jRbjT5_S1F_jjP12ihipStream_tbEUljE_ZNSN_ISO_Lb0ESR_SS_SU_SV_SZ_EES10_S11_S12_S13_S17_S18_S19_S1C_S1D_jS1E_jS1F_S1F_jjS1H_bEUljE0_EEES10_S11_S12_S19_S1D_S1F_T6_T7_T9_mT8_S1H_bDpT10_ENKUlT_T0_E_clISt17integral_constantIbLb1EES1V_EEDaS1Q_S1R_EUlS1Q_E_NS1_11comp_targetILNS1_3genE8ELNS1_11target_archE1030ELNS1_3gpuE2ELNS1_3repE0EEENS1_30default_config_static_selectorELNS0_4arch9wavefront6targetE1EEEvS13_, .Lfunc_end2000-_ZN7rocprim17ROCPRIM_400000_NS6detail17trampoline_kernelINS0_13select_configILj256ELj13ELNS0_17block_load_methodE3ELS4_3ELS4_3ELNS0_20block_scan_algorithmE0ELj4294967295EEENS1_25partition_config_selectorILNS1_17partition_subalgoE4EjNS0_10empty_typeEbEEZZNS1_14partition_implILS8_4ELb0ES6_15HIP_vector_typeIjLj2EENS0_17counting_iteratorIjlEEPS9_SG_NS0_5tupleIJPjSI_NS0_16reverse_iteratorISI_EEEEENSH_IJSG_SG_SG_EEES9_SI_JZNS1_25segmented_radix_sort_implINS0_14default_configELb0EPK12hip_bfloat16PSP_PKlPlN2at6native12_GLOBAL__N_18offset_tEEE10hipError_tPvRmT1_PNSt15iterator_traitsIS13_E10value_typeET2_T3_PNS14_IS19_E10value_typeET4_jRbjT5_S1F_jjP12ihipStream_tbEUljE_ZNSN_ISO_Lb0ESR_SS_SU_SV_SZ_EES10_S11_S12_S13_S17_S18_S19_S1C_S1D_jS1E_jS1F_S1F_jjS1H_bEUljE0_EEES10_S11_S12_S19_S1D_S1F_T6_T7_T9_mT8_S1H_bDpT10_ENKUlT_T0_E_clISt17integral_constantIbLb1EES1V_EEDaS1Q_S1R_EUlS1Q_E_NS1_11comp_targetILNS1_3genE8ELNS1_11target_archE1030ELNS1_3gpuE2ELNS1_3repE0EEENS1_30default_config_static_selectorELNS0_4arch9wavefront6targetE1EEEvS13_
                                        ; -- End function
	.set _ZN7rocprim17ROCPRIM_400000_NS6detail17trampoline_kernelINS0_13select_configILj256ELj13ELNS0_17block_load_methodE3ELS4_3ELS4_3ELNS0_20block_scan_algorithmE0ELj4294967295EEENS1_25partition_config_selectorILNS1_17partition_subalgoE4EjNS0_10empty_typeEbEEZZNS1_14partition_implILS8_4ELb0ES6_15HIP_vector_typeIjLj2EENS0_17counting_iteratorIjlEEPS9_SG_NS0_5tupleIJPjSI_NS0_16reverse_iteratorISI_EEEEENSH_IJSG_SG_SG_EEES9_SI_JZNS1_25segmented_radix_sort_implINS0_14default_configELb0EPK12hip_bfloat16PSP_PKlPlN2at6native12_GLOBAL__N_18offset_tEEE10hipError_tPvRmT1_PNSt15iterator_traitsIS13_E10value_typeET2_T3_PNS14_IS19_E10value_typeET4_jRbjT5_S1F_jjP12ihipStream_tbEUljE_ZNSN_ISO_Lb0ESR_SS_SU_SV_SZ_EES10_S11_S12_S13_S17_S18_S19_S1C_S1D_jS1E_jS1F_S1F_jjS1H_bEUljE0_EEES10_S11_S12_S19_S1D_S1F_T6_T7_T9_mT8_S1H_bDpT10_ENKUlT_T0_E_clISt17integral_constantIbLb1EES1V_EEDaS1Q_S1R_EUlS1Q_E_NS1_11comp_targetILNS1_3genE8ELNS1_11target_archE1030ELNS1_3gpuE2ELNS1_3repE0EEENS1_30default_config_static_selectorELNS0_4arch9wavefront6targetE1EEEvS13_.num_vgpr, 0
	.set _ZN7rocprim17ROCPRIM_400000_NS6detail17trampoline_kernelINS0_13select_configILj256ELj13ELNS0_17block_load_methodE3ELS4_3ELS4_3ELNS0_20block_scan_algorithmE0ELj4294967295EEENS1_25partition_config_selectorILNS1_17partition_subalgoE4EjNS0_10empty_typeEbEEZZNS1_14partition_implILS8_4ELb0ES6_15HIP_vector_typeIjLj2EENS0_17counting_iteratorIjlEEPS9_SG_NS0_5tupleIJPjSI_NS0_16reverse_iteratorISI_EEEEENSH_IJSG_SG_SG_EEES9_SI_JZNS1_25segmented_radix_sort_implINS0_14default_configELb0EPK12hip_bfloat16PSP_PKlPlN2at6native12_GLOBAL__N_18offset_tEEE10hipError_tPvRmT1_PNSt15iterator_traitsIS13_E10value_typeET2_T3_PNS14_IS19_E10value_typeET4_jRbjT5_S1F_jjP12ihipStream_tbEUljE_ZNSN_ISO_Lb0ESR_SS_SU_SV_SZ_EES10_S11_S12_S13_S17_S18_S19_S1C_S1D_jS1E_jS1F_S1F_jjS1H_bEUljE0_EEES10_S11_S12_S19_S1D_S1F_T6_T7_T9_mT8_S1H_bDpT10_ENKUlT_T0_E_clISt17integral_constantIbLb1EES1V_EEDaS1Q_S1R_EUlS1Q_E_NS1_11comp_targetILNS1_3genE8ELNS1_11target_archE1030ELNS1_3gpuE2ELNS1_3repE0EEENS1_30default_config_static_selectorELNS0_4arch9wavefront6targetE1EEEvS13_.num_agpr, 0
	.set _ZN7rocprim17ROCPRIM_400000_NS6detail17trampoline_kernelINS0_13select_configILj256ELj13ELNS0_17block_load_methodE3ELS4_3ELS4_3ELNS0_20block_scan_algorithmE0ELj4294967295EEENS1_25partition_config_selectorILNS1_17partition_subalgoE4EjNS0_10empty_typeEbEEZZNS1_14partition_implILS8_4ELb0ES6_15HIP_vector_typeIjLj2EENS0_17counting_iteratorIjlEEPS9_SG_NS0_5tupleIJPjSI_NS0_16reverse_iteratorISI_EEEEENSH_IJSG_SG_SG_EEES9_SI_JZNS1_25segmented_radix_sort_implINS0_14default_configELb0EPK12hip_bfloat16PSP_PKlPlN2at6native12_GLOBAL__N_18offset_tEEE10hipError_tPvRmT1_PNSt15iterator_traitsIS13_E10value_typeET2_T3_PNS14_IS19_E10value_typeET4_jRbjT5_S1F_jjP12ihipStream_tbEUljE_ZNSN_ISO_Lb0ESR_SS_SU_SV_SZ_EES10_S11_S12_S13_S17_S18_S19_S1C_S1D_jS1E_jS1F_S1F_jjS1H_bEUljE0_EEES10_S11_S12_S19_S1D_S1F_T6_T7_T9_mT8_S1H_bDpT10_ENKUlT_T0_E_clISt17integral_constantIbLb1EES1V_EEDaS1Q_S1R_EUlS1Q_E_NS1_11comp_targetILNS1_3genE8ELNS1_11target_archE1030ELNS1_3gpuE2ELNS1_3repE0EEENS1_30default_config_static_selectorELNS0_4arch9wavefront6targetE1EEEvS13_.numbered_sgpr, 0
	.set _ZN7rocprim17ROCPRIM_400000_NS6detail17trampoline_kernelINS0_13select_configILj256ELj13ELNS0_17block_load_methodE3ELS4_3ELS4_3ELNS0_20block_scan_algorithmE0ELj4294967295EEENS1_25partition_config_selectorILNS1_17partition_subalgoE4EjNS0_10empty_typeEbEEZZNS1_14partition_implILS8_4ELb0ES6_15HIP_vector_typeIjLj2EENS0_17counting_iteratorIjlEEPS9_SG_NS0_5tupleIJPjSI_NS0_16reverse_iteratorISI_EEEEENSH_IJSG_SG_SG_EEES9_SI_JZNS1_25segmented_radix_sort_implINS0_14default_configELb0EPK12hip_bfloat16PSP_PKlPlN2at6native12_GLOBAL__N_18offset_tEEE10hipError_tPvRmT1_PNSt15iterator_traitsIS13_E10value_typeET2_T3_PNS14_IS19_E10value_typeET4_jRbjT5_S1F_jjP12ihipStream_tbEUljE_ZNSN_ISO_Lb0ESR_SS_SU_SV_SZ_EES10_S11_S12_S13_S17_S18_S19_S1C_S1D_jS1E_jS1F_S1F_jjS1H_bEUljE0_EEES10_S11_S12_S19_S1D_S1F_T6_T7_T9_mT8_S1H_bDpT10_ENKUlT_T0_E_clISt17integral_constantIbLb1EES1V_EEDaS1Q_S1R_EUlS1Q_E_NS1_11comp_targetILNS1_3genE8ELNS1_11target_archE1030ELNS1_3gpuE2ELNS1_3repE0EEENS1_30default_config_static_selectorELNS0_4arch9wavefront6targetE1EEEvS13_.num_named_barrier, 0
	.set _ZN7rocprim17ROCPRIM_400000_NS6detail17trampoline_kernelINS0_13select_configILj256ELj13ELNS0_17block_load_methodE3ELS4_3ELS4_3ELNS0_20block_scan_algorithmE0ELj4294967295EEENS1_25partition_config_selectorILNS1_17partition_subalgoE4EjNS0_10empty_typeEbEEZZNS1_14partition_implILS8_4ELb0ES6_15HIP_vector_typeIjLj2EENS0_17counting_iteratorIjlEEPS9_SG_NS0_5tupleIJPjSI_NS0_16reverse_iteratorISI_EEEEENSH_IJSG_SG_SG_EEES9_SI_JZNS1_25segmented_radix_sort_implINS0_14default_configELb0EPK12hip_bfloat16PSP_PKlPlN2at6native12_GLOBAL__N_18offset_tEEE10hipError_tPvRmT1_PNSt15iterator_traitsIS13_E10value_typeET2_T3_PNS14_IS19_E10value_typeET4_jRbjT5_S1F_jjP12ihipStream_tbEUljE_ZNSN_ISO_Lb0ESR_SS_SU_SV_SZ_EES10_S11_S12_S13_S17_S18_S19_S1C_S1D_jS1E_jS1F_S1F_jjS1H_bEUljE0_EEES10_S11_S12_S19_S1D_S1F_T6_T7_T9_mT8_S1H_bDpT10_ENKUlT_T0_E_clISt17integral_constantIbLb1EES1V_EEDaS1Q_S1R_EUlS1Q_E_NS1_11comp_targetILNS1_3genE8ELNS1_11target_archE1030ELNS1_3gpuE2ELNS1_3repE0EEENS1_30default_config_static_selectorELNS0_4arch9wavefront6targetE1EEEvS13_.private_seg_size, 0
	.set _ZN7rocprim17ROCPRIM_400000_NS6detail17trampoline_kernelINS0_13select_configILj256ELj13ELNS0_17block_load_methodE3ELS4_3ELS4_3ELNS0_20block_scan_algorithmE0ELj4294967295EEENS1_25partition_config_selectorILNS1_17partition_subalgoE4EjNS0_10empty_typeEbEEZZNS1_14partition_implILS8_4ELb0ES6_15HIP_vector_typeIjLj2EENS0_17counting_iteratorIjlEEPS9_SG_NS0_5tupleIJPjSI_NS0_16reverse_iteratorISI_EEEEENSH_IJSG_SG_SG_EEES9_SI_JZNS1_25segmented_radix_sort_implINS0_14default_configELb0EPK12hip_bfloat16PSP_PKlPlN2at6native12_GLOBAL__N_18offset_tEEE10hipError_tPvRmT1_PNSt15iterator_traitsIS13_E10value_typeET2_T3_PNS14_IS19_E10value_typeET4_jRbjT5_S1F_jjP12ihipStream_tbEUljE_ZNSN_ISO_Lb0ESR_SS_SU_SV_SZ_EES10_S11_S12_S13_S17_S18_S19_S1C_S1D_jS1E_jS1F_S1F_jjS1H_bEUljE0_EEES10_S11_S12_S19_S1D_S1F_T6_T7_T9_mT8_S1H_bDpT10_ENKUlT_T0_E_clISt17integral_constantIbLb1EES1V_EEDaS1Q_S1R_EUlS1Q_E_NS1_11comp_targetILNS1_3genE8ELNS1_11target_archE1030ELNS1_3gpuE2ELNS1_3repE0EEENS1_30default_config_static_selectorELNS0_4arch9wavefront6targetE1EEEvS13_.uses_vcc, 0
	.set _ZN7rocprim17ROCPRIM_400000_NS6detail17trampoline_kernelINS0_13select_configILj256ELj13ELNS0_17block_load_methodE3ELS4_3ELS4_3ELNS0_20block_scan_algorithmE0ELj4294967295EEENS1_25partition_config_selectorILNS1_17partition_subalgoE4EjNS0_10empty_typeEbEEZZNS1_14partition_implILS8_4ELb0ES6_15HIP_vector_typeIjLj2EENS0_17counting_iteratorIjlEEPS9_SG_NS0_5tupleIJPjSI_NS0_16reverse_iteratorISI_EEEEENSH_IJSG_SG_SG_EEES9_SI_JZNS1_25segmented_radix_sort_implINS0_14default_configELb0EPK12hip_bfloat16PSP_PKlPlN2at6native12_GLOBAL__N_18offset_tEEE10hipError_tPvRmT1_PNSt15iterator_traitsIS13_E10value_typeET2_T3_PNS14_IS19_E10value_typeET4_jRbjT5_S1F_jjP12ihipStream_tbEUljE_ZNSN_ISO_Lb0ESR_SS_SU_SV_SZ_EES10_S11_S12_S13_S17_S18_S19_S1C_S1D_jS1E_jS1F_S1F_jjS1H_bEUljE0_EEES10_S11_S12_S19_S1D_S1F_T6_T7_T9_mT8_S1H_bDpT10_ENKUlT_T0_E_clISt17integral_constantIbLb1EES1V_EEDaS1Q_S1R_EUlS1Q_E_NS1_11comp_targetILNS1_3genE8ELNS1_11target_archE1030ELNS1_3gpuE2ELNS1_3repE0EEENS1_30default_config_static_selectorELNS0_4arch9wavefront6targetE1EEEvS13_.uses_flat_scratch, 0
	.set _ZN7rocprim17ROCPRIM_400000_NS6detail17trampoline_kernelINS0_13select_configILj256ELj13ELNS0_17block_load_methodE3ELS4_3ELS4_3ELNS0_20block_scan_algorithmE0ELj4294967295EEENS1_25partition_config_selectorILNS1_17partition_subalgoE4EjNS0_10empty_typeEbEEZZNS1_14partition_implILS8_4ELb0ES6_15HIP_vector_typeIjLj2EENS0_17counting_iteratorIjlEEPS9_SG_NS0_5tupleIJPjSI_NS0_16reverse_iteratorISI_EEEEENSH_IJSG_SG_SG_EEES9_SI_JZNS1_25segmented_radix_sort_implINS0_14default_configELb0EPK12hip_bfloat16PSP_PKlPlN2at6native12_GLOBAL__N_18offset_tEEE10hipError_tPvRmT1_PNSt15iterator_traitsIS13_E10value_typeET2_T3_PNS14_IS19_E10value_typeET4_jRbjT5_S1F_jjP12ihipStream_tbEUljE_ZNSN_ISO_Lb0ESR_SS_SU_SV_SZ_EES10_S11_S12_S13_S17_S18_S19_S1C_S1D_jS1E_jS1F_S1F_jjS1H_bEUljE0_EEES10_S11_S12_S19_S1D_S1F_T6_T7_T9_mT8_S1H_bDpT10_ENKUlT_T0_E_clISt17integral_constantIbLb1EES1V_EEDaS1Q_S1R_EUlS1Q_E_NS1_11comp_targetILNS1_3genE8ELNS1_11target_archE1030ELNS1_3gpuE2ELNS1_3repE0EEENS1_30default_config_static_selectorELNS0_4arch9wavefront6targetE1EEEvS13_.has_dyn_sized_stack, 0
	.set _ZN7rocprim17ROCPRIM_400000_NS6detail17trampoline_kernelINS0_13select_configILj256ELj13ELNS0_17block_load_methodE3ELS4_3ELS4_3ELNS0_20block_scan_algorithmE0ELj4294967295EEENS1_25partition_config_selectorILNS1_17partition_subalgoE4EjNS0_10empty_typeEbEEZZNS1_14partition_implILS8_4ELb0ES6_15HIP_vector_typeIjLj2EENS0_17counting_iteratorIjlEEPS9_SG_NS0_5tupleIJPjSI_NS0_16reverse_iteratorISI_EEEEENSH_IJSG_SG_SG_EEES9_SI_JZNS1_25segmented_radix_sort_implINS0_14default_configELb0EPK12hip_bfloat16PSP_PKlPlN2at6native12_GLOBAL__N_18offset_tEEE10hipError_tPvRmT1_PNSt15iterator_traitsIS13_E10value_typeET2_T3_PNS14_IS19_E10value_typeET4_jRbjT5_S1F_jjP12ihipStream_tbEUljE_ZNSN_ISO_Lb0ESR_SS_SU_SV_SZ_EES10_S11_S12_S13_S17_S18_S19_S1C_S1D_jS1E_jS1F_S1F_jjS1H_bEUljE0_EEES10_S11_S12_S19_S1D_S1F_T6_T7_T9_mT8_S1H_bDpT10_ENKUlT_T0_E_clISt17integral_constantIbLb1EES1V_EEDaS1Q_S1R_EUlS1Q_E_NS1_11comp_targetILNS1_3genE8ELNS1_11target_archE1030ELNS1_3gpuE2ELNS1_3repE0EEENS1_30default_config_static_selectorELNS0_4arch9wavefront6targetE1EEEvS13_.has_recursion, 0
	.set _ZN7rocprim17ROCPRIM_400000_NS6detail17trampoline_kernelINS0_13select_configILj256ELj13ELNS0_17block_load_methodE3ELS4_3ELS4_3ELNS0_20block_scan_algorithmE0ELj4294967295EEENS1_25partition_config_selectorILNS1_17partition_subalgoE4EjNS0_10empty_typeEbEEZZNS1_14partition_implILS8_4ELb0ES6_15HIP_vector_typeIjLj2EENS0_17counting_iteratorIjlEEPS9_SG_NS0_5tupleIJPjSI_NS0_16reverse_iteratorISI_EEEEENSH_IJSG_SG_SG_EEES9_SI_JZNS1_25segmented_radix_sort_implINS0_14default_configELb0EPK12hip_bfloat16PSP_PKlPlN2at6native12_GLOBAL__N_18offset_tEEE10hipError_tPvRmT1_PNSt15iterator_traitsIS13_E10value_typeET2_T3_PNS14_IS19_E10value_typeET4_jRbjT5_S1F_jjP12ihipStream_tbEUljE_ZNSN_ISO_Lb0ESR_SS_SU_SV_SZ_EES10_S11_S12_S13_S17_S18_S19_S1C_S1D_jS1E_jS1F_S1F_jjS1H_bEUljE0_EEES10_S11_S12_S19_S1D_S1F_T6_T7_T9_mT8_S1H_bDpT10_ENKUlT_T0_E_clISt17integral_constantIbLb1EES1V_EEDaS1Q_S1R_EUlS1Q_E_NS1_11comp_targetILNS1_3genE8ELNS1_11target_archE1030ELNS1_3gpuE2ELNS1_3repE0EEENS1_30default_config_static_selectorELNS0_4arch9wavefront6targetE1EEEvS13_.has_indirect_call, 0
	.section	.AMDGPU.csdata,"",@progbits
; Kernel info:
; codeLenInByte = 0
; TotalNumSgprs: 4
; NumVgprs: 0
; ScratchSize: 0
; MemoryBound: 0
; FloatMode: 240
; IeeeMode: 1
; LDSByteSize: 0 bytes/workgroup (compile time only)
; SGPRBlocks: 0
; VGPRBlocks: 0
; NumSGPRsForWavesPerEU: 4
; NumVGPRsForWavesPerEU: 1
; Occupancy: 10
; WaveLimiterHint : 0
; COMPUTE_PGM_RSRC2:SCRATCH_EN: 0
; COMPUTE_PGM_RSRC2:USER_SGPR: 6
; COMPUTE_PGM_RSRC2:TRAP_HANDLER: 0
; COMPUTE_PGM_RSRC2:TGID_X_EN: 1
; COMPUTE_PGM_RSRC2:TGID_Y_EN: 0
; COMPUTE_PGM_RSRC2:TGID_Z_EN: 0
; COMPUTE_PGM_RSRC2:TIDIG_COMP_CNT: 0
	.section	.text._ZN7rocprim17ROCPRIM_400000_NS6detail17trampoline_kernelINS0_13select_configILj256ELj13ELNS0_17block_load_methodE3ELS4_3ELS4_3ELNS0_20block_scan_algorithmE0ELj4294967295EEENS1_25partition_config_selectorILNS1_17partition_subalgoE4EjNS0_10empty_typeEbEEZZNS1_14partition_implILS8_4ELb0ES6_15HIP_vector_typeIjLj2EENS0_17counting_iteratorIjlEEPS9_SG_NS0_5tupleIJPjSI_NS0_16reverse_iteratorISI_EEEEENSH_IJSG_SG_SG_EEES9_SI_JZNS1_25segmented_radix_sort_implINS0_14default_configELb0EPK12hip_bfloat16PSP_PKlPlN2at6native12_GLOBAL__N_18offset_tEEE10hipError_tPvRmT1_PNSt15iterator_traitsIS13_E10value_typeET2_T3_PNS14_IS19_E10value_typeET4_jRbjT5_S1F_jjP12ihipStream_tbEUljE_ZNSN_ISO_Lb0ESR_SS_SU_SV_SZ_EES10_S11_S12_S13_S17_S18_S19_S1C_S1D_jS1E_jS1F_S1F_jjS1H_bEUljE0_EEES10_S11_S12_S19_S1D_S1F_T6_T7_T9_mT8_S1H_bDpT10_ENKUlT_T0_E_clISt17integral_constantIbLb1EES1U_IbLb0EEEEDaS1Q_S1R_EUlS1Q_E_NS1_11comp_targetILNS1_3genE0ELNS1_11target_archE4294967295ELNS1_3gpuE0ELNS1_3repE0EEENS1_30default_config_static_selectorELNS0_4arch9wavefront6targetE1EEEvS13_,"axG",@progbits,_ZN7rocprim17ROCPRIM_400000_NS6detail17trampoline_kernelINS0_13select_configILj256ELj13ELNS0_17block_load_methodE3ELS4_3ELS4_3ELNS0_20block_scan_algorithmE0ELj4294967295EEENS1_25partition_config_selectorILNS1_17partition_subalgoE4EjNS0_10empty_typeEbEEZZNS1_14partition_implILS8_4ELb0ES6_15HIP_vector_typeIjLj2EENS0_17counting_iteratorIjlEEPS9_SG_NS0_5tupleIJPjSI_NS0_16reverse_iteratorISI_EEEEENSH_IJSG_SG_SG_EEES9_SI_JZNS1_25segmented_radix_sort_implINS0_14default_configELb0EPK12hip_bfloat16PSP_PKlPlN2at6native12_GLOBAL__N_18offset_tEEE10hipError_tPvRmT1_PNSt15iterator_traitsIS13_E10value_typeET2_T3_PNS14_IS19_E10value_typeET4_jRbjT5_S1F_jjP12ihipStream_tbEUljE_ZNSN_ISO_Lb0ESR_SS_SU_SV_SZ_EES10_S11_S12_S13_S17_S18_S19_S1C_S1D_jS1E_jS1F_S1F_jjS1H_bEUljE0_EEES10_S11_S12_S19_S1D_S1F_T6_T7_T9_mT8_S1H_bDpT10_ENKUlT_T0_E_clISt17integral_constantIbLb1EES1U_IbLb0EEEEDaS1Q_S1R_EUlS1Q_E_NS1_11comp_targetILNS1_3genE0ELNS1_11target_archE4294967295ELNS1_3gpuE0ELNS1_3repE0EEENS1_30default_config_static_selectorELNS0_4arch9wavefront6targetE1EEEvS13_,comdat
	.globl	_ZN7rocprim17ROCPRIM_400000_NS6detail17trampoline_kernelINS0_13select_configILj256ELj13ELNS0_17block_load_methodE3ELS4_3ELS4_3ELNS0_20block_scan_algorithmE0ELj4294967295EEENS1_25partition_config_selectorILNS1_17partition_subalgoE4EjNS0_10empty_typeEbEEZZNS1_14partition_implILS8_4ELb0ES6_15HIP_vector_typeIjLj2EENS0_17counting_iteratorIjlEEPS9_SG_NS0_5tupleIJPjSI_NS0_16reverse_iteratorISI_EEEEENSH_IJSG_SG_SG_EEES9_SI_JZNS1_25segmented_radix_sort_implINS0_14default_configELb0EPK12hip_bfloat16PSP_PKlPlN2at6native12_GLOBAL__N_18offset_tEEE10hipError_tPvRmT1_PNSt15iterator_traitsIS13_E10value_typeET2_T3_PNS14_IS19_E10value_typeET4_jRbjT5_S1F_jjP12ihipStream_tbEUljE_ZNSN_ISO_Lb0ESR_SS_SU_SV_SZ_EES10_S11_S12_S13_S17_S18_S19_S1C_S1D_jS1E_jS1F_S1F_jjS1H_bEUljE0_EEES10_S11_S12_S19_S1D_S1F_T6_T7_T9_mT8_S1H_bDpT10_ENKUlT_T0_E_clISt17integral_constantIbLb1EES1U_IbLb0EEEEDaS1Q_S1R_EUlS1Q_E_NS1_11comp_targetILNS1_3genE0ELNS1_11target_archE4294967295ELNS1_3gpuE0ELNS1_3repE0EEENS1_30default_config_static_selectorELNS0_4arch9wavefront6targetE1EEEvS13_ ; -- Begin function _ZN7rocprim17ROCPRIM_400000_NS6detail17trampoline_kernelINS0_13select_configILj256ELj13ELNS0_17block_load_methodE3ELS4_3ELS4_3ELNS0_20block_scan_algorithmE0ELj4294967295EEENS1_25partition_config_selectorILNS1_17partition_subalgoE4EjNS0_10empty_typeEbEEZZNS1_14partition_implILS8_4ELb0ES6_15HIP_vector_typeIjLj2EENS0_17counting_iteratorIjlEEPS9_SG_NS0_5tupleIJPjSI_NS0_16reverse_iteratorISI_EEEEENSH_IJSG_SG_SG_EEES9_SI_JZNS1_25segmented_radix_sort_implINS0_14default_configELb0EPK12hip_bfloat16PSP_PKlPlN2at6native12_GLOBAL__N_18offset_tEEE10hipError_tPvRmT1_PNSt15iterator_traitsIS13_E10value_typeET2_T3_PNS14_IS19_E10value_typeET4_jRbjT5_S1F_jjP12ihipStream_tbEUljE_ZNSN_ISO_Lb0ESR_SS_SU_SV_SZ_EES10_S11_S12_S13_S17_S18_S19_S1C_S1D_jS1E_jS1F_S1F_jjS1H_bEUljE0_EEES10_S11_S12_S19_S1D_S1F_T6_T7_T9_mT8_S1H_bDpT10_ENKUlT_T0_E_clISt17integral_constantIbLb1EES1U_IbLb0EEEEDaS1Q_S1R_EUlS1Q_E_NS1_11comp_targetILNS1_3genE0ELNS1_11target_archE4294967295ELNS1_3gpuE0ELNS1_3repE0EEENS1_30default_config_static_selectorELNS0_4arch9wavefront6targetE1EEEvS13_
	.p2align	8
	.type	_ZN7rocprim17ROCPRIM_400000_NS6detail17trampoline_kernelINS0_13select_configILj256ELj13ELNS0_17block_load_methodE3ELS4_3ELS4_3ELNS0_20block_scan_algorithmE0ELj4294967295EEENS1_25partition_config_selectorILNS1_17partition_subalgoE4EjNS0_10empty_typeEbEEZZNS1_14partition_implILS8_4ELb0ES6_15HIP_vector_typeIjLj2EENS0_17counting_iteratorIjlEEPS9_SG_NS0_5tupleIJPjSI_NS0_16reverse_iteratorISI_EEEEENSH_IJSG_SG_SG_EEES9_SI_JZNS1_25segmented_radix_sort_implINS0_14default_configELb0EPK12hip_bfloat16PSP_PKlPlN2at6native12_GLOBAL__N_18offset_tEEE10hipError_tPvRmT1_PNSt15iterator_traitsIS13_E10value_typeET2_T3_PNS14_IS19_E10value_typeET4_jRbjT5_S1F_jjP12ihipStream_tbEUljE_ZNSN_ISO_Lb0ESR_SS_SU_SV_SZ_EES10_S11_S12_S13_S17_S18_S19_S1C_S1D_jS1E_jS1F_S1F_jjS1H_bEUljE0_EEES10_S11_S12_S19_S1D_S1F_T6_T7_T9_mT8_S1H_bDpT10_ENKUlT_T0_E_clISt17integral_constantIbLb1EES1U_IbLb0EEEEDaS1Q_S1R_EUlS1Q_E_NS1_11comp_targetILNS1_3genE0ELNS1_11target_archE4294967295ELNS1_3gpuE0ELNS1_3repE0EEENS1_30default_config_static_selectorELNS0_4arch9wavefront6targetE1EEEvS13_,@function
_ZN7rocprim17ROCPRIM_400000_NS6detail17trampoline_kernelINS0_13select_configILj256ELj13ELNS0_17block_load_methodE3ELS4_3ELS4_3ELNS0_20block_scan_algorithmE0ELj4294967295EEENS1_25partition_config_selectorILNS1_17partition_subalgoE4EjNS0_10empty_typeEbEEZZNS1_14partition_implILS8_4ELb0ES6_15HIP_vector_typeIjLj2EENS0_17counting_iteratorIjlEEPS9_SG_NS0_5tupleIJPjSI_NS0_16reverse_iteratorISI_EEEEENSH_IJSG_SG_SG_EEES9_SI_JZNS1_25segmented_radix_sort_implINS0_14default_configELb0EPK12hip_bfloat16PSP_PKlPlN2at6native12_GLOBAL__N_18offset_tEEE10hipError_tPvRmT1_PNSt15iterator_traitsIS13_E10value_typeET2_T3_PNS14_IS19_E10value_typeET4_jRbjT5_S1F_jjP12ihipStream_tbEUljE_ZNSN_ISO_Lb0ESR_SS_SU_SV_SZ_EES10_S11_S12_S13_S17_S18_S19_S1C_S1D_jS1E_jS1F_S1F_jjS1H_bEUljE0_EEES10_S11_S12_S19_S1D_S1F_T6_T7_T9_mT8_S1H_bDpT10_ENKUlT_T0_E_clISt17integral_constantIbLb1EES1U_IbLb0EEEEDaS1Q_S1R_EUlS1Q_E_NS1_11comp_targetILNS1_3genE0ELNS1_11target_archE4294967295ELNS1_3gpuE0ELNS1_3repE0EEENS1_30default_config_static_selectorELNS0_4arch9wavefront6targetE1EEEvS13_: ; @_ZN7rocprim17ROCPRIM_400000_NS6detail17trampoline_kernelINS0_13select_configILj256ELj13ELNS0_17block_load_methodE3ELS4_3ELS4_3ELNS0_20block_scan_algorithmE0ELj4294967295EEENS1_25partition_config_selectorILNS1_17partition_subalgoE4EjNS0_10empty_typeEbEEZZNS1_14partition_implILS8_4ELb0ES6_15HIP_vector_typeIjLj2EENS0_17counting_iteratorIjlEEPS9_SG_NS0_5tupleIJPjSI_NS0_16reverse_iteratorISI_EEEEENSH_IJSG_SG_SG_EEES9_SI_JZNS1_25segmented_radix_sort_implINS0_14default_configELb0EPK12hip_bfloat16PSP_PKlPlN2at6native12_GLOBAL__N_18offset_tEEE10hipError_tPvRmT1_PNSt15iterator_traitsIS13_E10value_typeET2_T3_PNS14_IS19_E10value_typeET4_jRbjT5_S1F_jjP12ihipStream_tbEUljE_ZNSN_ISO_Lb0ESR_SS_SU_SV_SZ_EES10_S11_S12_S13_S17_S18_S19_S1C_S1D_jS1E_jS1F_S1F_jjS1H_bEUljE0_EEES10_S11_S12_S19_S1D_S1F_T6_T7_T9_mT8_S1H_bDpT10_ENKUlT_T0_E_clISt17integral_constantIbLb1EES1U_IbLb0EEEEDaS1Q_S1R_EUlS1Q_E_NS1_11comp_targetILNS1_3genE0ELNS1_11target_archE4294967295ELNS1_3gpuE0ELNS1_3repE0EEENS1_30default_config_static_selectorELNS0_4arch9wavefront6targetE1EEEvS13_
; %bb.0:
	.section	.rodata,"a",@progbits
	.p2align	6, 0x0
	.amdhsa_kernel _ZN7rocprim17ROCPRIM_400000_NS6detail17trampoline_kernelINS0_13select_configILj256ELj13ELNS0_17block_load_methodE3ELS4_3ELS4_3ELNS0_20block_scan_algorithmE0ELj4294967295EEENS1_25partition_config_selectorILNS1_17partition_subalgoE4EjNS0_10empty_typeEbEEZZNS1_14partition_implILS8_4ELb0ES6_15HIP_vector_typeIjLj2EENS0_17counting_iteratorIjlEEPS9_SG_NS0_5tupleIJPjSI_NS0_16reverse_iteratorISI_EEEEENSH_IJSG_SG_SG_EEES9_SI_JZNS1_25segmented_radix_sort_implINS0_14default_configELb0EPK12hip_bfloat16PSP_PKlPlN2at6native12_GLOBAL__N_18offset_tEEE10hipError_tPvRmT1_PNSt15iterator_traitsIS13_E10value_typeET2_T3_PNS14_IS19_E10value_typeET4_jRbjT5_S1F_jjP12ihipStream_tbEUljE_ZNSN_ISO_Lb0ESR_SS_SU_SV_SZ_EES10_S11_S12_S13_S17_S18_S19_S1C_S1D_jS1E_jS1F_S1F_jjS1H_bEUljE0_EEES10_S11_S12_S19_S1D_S1F_T6_T7_T9_mT8_S1H_bDpT10_ENKUlT_T0_E_clISt17integral_constantIbLb1EES1U_IbLb0EEEEDaS1Q_S1R_EUlS1Q_E_NS1_11comp_targetILNS1_3genE0ELNS1_11target_archE4294967295ELNS1_3gpuE0ELNS1_3repE0EEENS1_30default_config_static_selectorELNS0_4arch9wavefront6targetE1EEEvS13_
		.amdhsa_group_segment_fixed_size 0
		.amdhsa_private_segment_fixed_size 0
		.amdhsa_kernarg_size 176
		.amdhsa_user_sgpr_count 6
		.amdhsa_user_sgpr_private_segment_buffer 1
		.amdhsa_user_sgpr_dispatch_ptr 0
		.amdhsa_user_sgpr_queue_ptr 0
		.amdhsa_user_sgpr_kernarg_segment_ptr 1
		.amdhsa_user_sgpr_dispatch_id 0
		.amdhsa_user_sgpr_flat_scratch_init 0
		.amdhsa_user_sgpr_private_segment_size 0
		.amdhsa_uses_dynamic_stack 0
		.amdhsa_system_sgpr_private_segment_wavefront_offset 0
		.amdhsa_system_sgpr_workgroup_id_x 1
		.amdhsa_system_sgpr_workgroup_id_y 0
		.amdhsa_system_sgpr_workgroup_id_z 0
		.amdhsa_system_sgpr_workgroup_info 0
		.amdhsa_system_vgpr_workitem_id 0
		.amdhsa_next_free_vgpr 1
		.amdhsa_next_free_sgpr 0
		.amdhsa_reserve_vcc 0
		.amdhsa_reserve_flat_scratch 0
		.amdhsa_float_round_mode_32 0
		.amdhsa_float_round_mode_16_64 0
		.amdhsa_float_denorm_mode_32 3
		.amdhsa_float_denorm_mode_16_64 3
		.amdhsa_dx10_clamp 1
		.amdhsa_ieee_mode 1
		.amdhsa_fp16_overflow 0
		.amdhsa_exception_fp_ieee_invalid_op 0
		.amdhsa_exception_fp_denorm_src 0
		.amdhsa_exception_fp_ieee_div_zero 0
		.amdhsa_exception_fp_ieee_overflow 0
		.amdhsa_exception_fp_ieee_underflow 0
		.amdhsa_exception_fp_ieee_inexact 0
		.amdhsa_exception_int_div_zero 0
	.end_amdhsa_kernel
	.section	.text._ZN7rocprim17ROCPRIM_400000_NS6detail17trampoline_kernelINS0_13select_configILj256ELj13ELNS0_17block_load_methodE3ELS4_3ELS4_3ELNS0_20block_scan_algorithmE0ELj4294967295EEENS1_25partition_config_selectorILNS1_17partition_subalgoE4EjNS0_10empty_typeEbEEZZNS1_14partition_implILS8_4ELb0ES6_15HIP_vector_typeIjLj2EENS0_17counting_iteratorIjlEEPS9_SG_NS0_5tupleIJPjSI_NS0_16reverse_iteratorISI_EEEEENSH_IJSG_SG_SG_EEES9_SI_JZNS1_25segmented_radix_sort_implINS0_14default_configELb0EPK12hip_bfloat16PSP_PKlPlN2at6native12_GLOBAL__N_18offset_tEEE10hipError_tPvRmT1_PNSt15iterator_traitsIS13_E10value_typeET2_T3_PNS14_IS19_E10value_typeET4_jRbjT5_S1F_jjP12ihipStream_tbEUljE_ZNSN_ISO_Lb0ESR_SS_SU_SV_SZ_EES10_S11_S12_S13_S17_S18_S19_S1C_S1D_jS1E_jS1F_S1F_jjS1H_bEUljE0_EEES10_S11_S12_S19_S1D_S1F_T6_T7_T9_mT8_S1H_bDpT10_ENKUlT_T0_E_clISt17integral_constantIbLb1EES1U_IbLb0EEEEDaS1Q_S1R_EUlS1Q_E_NS1_11comp_targetILNS1_3genE0ELNS1_11target_archE4294967295ELNS1_3gpuE0ELNS1_3repE0EEENS1_30default_config_static_selectorELNS0_4arch9wavefront6targetE1EEEvS13_,"axG",@progbits,_ZN7rocprim17ROCPRIM_400000_NS6detail17trampoline_kernelINS0_13select_configILj256ELj13ELNS0_17block_load_methodE3ELS4_3ELS4_3ELNS0_20block_scan_algorithmE0ELj4294967295EEENS1_25partition_config_selectorILNS1_17partition_subalgoE4EjNS0_10empty_typeEbEEZZNS1_14partition_implILS8_4ELb0ES6_15HIP_vector_typeIjLj2EENS0_17counting_iteratorIjlEEPS9_SG_NS0_5tupleIJPjSI_NS0_16reverse_iteratorISI_EEEEENSH_IJSG_SG_SG_EEES9_SI_JZNS1_25segmented_radix_sort_implINS0_14default_configELb0EPK12hip_bfloat16PSP_PKlPlN2at6native12_GLOBAL__N_18offset_tEEE10hipError_tPvRmT1_PNSt15iterator_traitsIS13_E10value_typeET2_T3_PNS14_IS19_E10value_typeET4_jRbjT5_S1F_jjP12ihipStream_tbEUljE_ZNSN_ISO_Lb0ESR_SS_SU_SV_SZ_EES10_S11_S12_S13_S17_S18_S19_S1C_S1D_jS1E_jS1F_S1F_jjS1H_bEUljE0_EEES10_S11_S12_S19_S1D_S1F_T6_T7_T9_mT8_S1H_bDpT10_ENKUlT_T0_E_clISt17integral_constantIbLb1EES1U_IbLb0EEEEDaS1Q_S1R_EUlS1Q_E_NS1_11comp_targetILNS1_3genE0ELNS1_11target_archE4294967295ELNS1_3gpuE0ELNS1_3repE0EEENS1_30default_config_static_selectorELNS0_4arch9wavefront6targetE1EEEvS13_,comdat
.Lfunc_end2001:
	.size	_ZN7rocprim17ROCPRIM_400000_NS6detail17trampoline_kernelINS0_13select_configILj256ELj13ELNS0_17block_load_methodE3ELS4_3ELS4_3ELNS0_20block_scan_algorithmE0ELj4294967295EEENS1_25partition_config_selectorILNS1_17partition_subalgoE4EjNS0_10empty_typeEbEEZZNS1_14partition_implILS8_4ELb0ES6_15HIP_vector_typeIjLj2EENS0_17counting_iteratorIjlEEPS9_SG_NS0_5tupleIJPjSI_NS0_16reverse_iteratorISI_EEEEENSH_IJSG_SG_SG_EEES9_SI_JZNS1_25segmented_radix_sort_implINS0_14default_configELb0EPK12hip_bfloat16PSP_PKlPlN2at6native12_GLOBAL__N_18offset_tEEE10hipError_tPvRmT1_PNSt15iterator_traitsIS13_E10value_typeET2_T3_PNS14_IS19_E10value_typeET4_jRbjT5_S1F_jjP12ihipStream_tbEUljE_ZNSN_ISO_Lb0ESR_SS_SU_SV_SZ_EES10_S11_S12_S13_S17_S18_S19_S1C_S1D_jS1E_jS1F_S1F_jjS1H_bEUljE0_EEES10_S11_S12_S19_S1D_S1F_T6_T7_T9_mT8_S1H_bDpT10_ENKUlT_T0_E_clISt17integral_constantIbLb1EES1U_IbLb0EEEEDaS1Q_S1R_EUlS1Q_E_NS1_11comp_targetILNS1_3genE0ELNS1_11target_archE4294967295ELNS1_3gpuE0ELNS1_3repE0EEENS1_30default_config_static_selectorELNS0_4arch9wavefront6targetE1EEEvS13_, .Lfunc_end2001-_ZN7rocprim17ROCPRIM_400000_NS6detail17trampoline_kernelINS0_13select_configILj256ELj13ELNS0_17block_load_methodE3ELS4_3ELS4_3ELNS0_20block_scan_algorithmE0ELj4294967295EEENS1_25partition_config_selectorILNS1_17partition_subalgoE4EjNS0_10empty_typeEbEEZZNS1_14partition_implILS8_4ELb0ES6_15HIP_vector_typeIjLj2EENS0_17counting_iteratorIjlEEPS9_SG_NS0_5tupleIJPjSI_NS0_16reverse_iteratorISI_EEEEENSH_IJSG_SG_SG_EEES9_SI_JZNS1_25segmented_radix_sort_implINS0_14default_configELb0EPK12hip_bfloat16PSP_PKlPlN2at6native12_GLOBAL__N_18offset_tEEE10hipError_tPvRmT1_PNSt15iterator_traitsIS13_E10value_typeET2_T3_PNS14_IS19_E10value_typeET4_jRbjT5_S1F_jjP12ihipStream_tbEUljE_ZNSN_ISO_Lb0ESR_SS_SU_SV_SZ_EES10_S11_S12_S13_S17_S18_S19_S1C_S1D_jS1E_jS1F_S1F_jjS1H_bEUljE0_EEES10_S11_S12_S19_S1D_S1F_T6_T7_T9_mT8_S1H_bDpT10_ENKUlT_T0_E_clISt17integral_constantIbLb1EES1U_IbLb0EEEEDaS1Q_S1R_EUlS1Q_E_NS1_11comp_targetILNS1_3genE0ELNS1_11target_archE4294967295ELNS1_3gpuE0ELNS1_3repE0EEENS1_30default_config_static_selectorELNS0_4arch9wavefront6targetE1EEEvS13_
                                        ; -- End function
	.set _ZN7rocprim17ROCPRIM_400000_NS6detail17trampoline_kernelINS0_13select_configILj256ELj13ELNS0_17block_load_methodE3ELS4_3ELS4_3ELNS0_20block_scan_algorithmE0ELj4294967295EEENS1_25partition_config_selectorILNS1_17partition_subalgoE4EjNS0_10empty_typeEbEEZZNS1_14partition_implILS8_4ELb0ES6_15HIP_vector_typeIjLj2EENS0_17counting_iteratorIjlEEPS9_SG_NS0_5tupleIJPjSI_NS0_16reverse_iteratorISI_EEEEENSH_IJSG_SG_SG_EEES9_SI_JZNS1_25segmented_radix_sort_implINS0_14default_configELb0EPK12hip_bfloat16PSP_PKlPlN2at6native12_GLOBAL__N_18offset_tEEE10hipError_tPvRmT1_PNSt15iterator_traitsIS13_E10value_typeET2_T3_PNS14_IS19_E10value_typeET4_jRbjT5_S1F_jjP12ihipStream_tbEUljE_ZNSN_ISO_Lb0ESR_SS_SU_SV_SZ_EES10_S11_S12_S13_S17_S18_S19_S1C_S1D_jS1E_jS1F_S1F_jjS1H_bEUljE0_EEES10_S11_S12_S19_S1D_S1F_T6_T7_T9_mT8_S1H_bDpT10_ENKUlT_T0_E_clISt17integral_constantIbLb1EES1U_IbLb0EEEEDaS1Q_S1R_EUlS1Q_E_NS1_11comp_targetILNS1_3genE0ELNS1_11target_archE4294967295ELNS1_3gpuE0ELNS1_3repE0EEENS1_30default_config_static_selectorELNS0_4arch9wavefront6targetE1EEEvS13_.num_vgpr, 0
	.set _ZN7rocprim17ROCPRIM_400000_NS6detail17trampoline_kernelINS0_13select_configILj256ELj13ELNS0_17block_load_methodE3ELS4_3ELS4_3ELNS0_20block_scan_algorithmE0ELj4294967295EEENS1_25partition_config_selectorILNS1_17partition_subalgoE4EjNS0_10empty_typeEbEEZZNS1_14partition_implILS8_4ELb0ES6_15HIP_vector_typeIjLj2EENS0_17counting_iteratorIjlEEPS9_SG_NS0_5tupleIJPjSI_NS0_16reverse_iteratorISI_EEEEENSH_IJSG_SG_SG_EEES9_SI_JZNS1_25segmented_radix_sort_implINS0_14default_configELb0EPK12hip_bfloat16PSP_PKlPlN2at6native12_GLOBAL__N_18offset_tEEE10hipError_tPvRmT1_PNSt15iterator_traitsIS13_E10value_typeET2_T3_PNS14_IS19_E10value_typeET4_jRbjT5_S1F_jjP12ihipStream_tbEUljE_ZNSN_ISO_Lb0ESR_SS_SU_SV_SZ_EES10_S11_S12_S13_S17_S18_S19_S1C_S1D_jS1E_jS1F_S1F_jjS1H_bEUljE0_EEES10_S11_S12_S19_S1D_S1F_T6_T7_T9_mT8_S1H_bDpT10_ENKUlT_T0_E_clISt17integral_constantIbLb1EES1U_IbLb0EEEEDaS1Q_S1R_EUlS1Q_E_NS1_11comp_targetILNS1_3genE0ELNS1_11target_archE4294967295ELNS1_3gpuE0ELNS1_3repE0EEENS1_30default_config_static_selectorELNS0_4arch9wavefront6targetE1EEEvS13_.num_agpr, 0
	.set _ZN7rocprim17ROCPRIM_400000_NS6detail17trampoline_kernelINS0_13select_configILj256ELj13ELNS0_17block_load_methodE3ELS4_3ELS4_3ELNS0_20block_scan_algorithmE0ELj4294967295EEENS1_25partition_config_selectorILNS1_17partition_subalgoE4EjNS0_10empty_typeEbEEZZNS1_14partition_implILS8_4ELb0ES6_15HIP_vector_typeIjLj2EENS0_17counting_iteratorIjlEEPS9_SG_NS0_5tupleIJPjSI_NS0_16reverse_iteratorISI_EEEEENSH_IJSG_SG_SG_EEES9_SI_JZNS1_25segmented_radix_sort_implINS0_14default_configELb0EPK12hip_bfloat16PSP_PKlPlN2at6native12_GLOBAL__N_18offset_tEEE10hipError_tPvRmT1_PNSt15iterator_traitsIS13_E10value_typeET2_T3_PNS14_IS19_E10value_typeET4_jRbjT5_S1F_jjP12ihipStream_tbEUljE_ZNSN_ISO_Lb0ESR_SS_SU_SV_SZ_EES10_S11_S12_S13_S17_S18_S19_S1C_S1D_jS1E_jS1F_S1F_jjS1H_bEUljE0_EEES10_S11_S12_S19_S1D_S1F_T6_T7_T9_mT8_S1H_bDpT10_ENKUlT_T0_E_clISt17integral_constantIbLb1EES1U_IbLb0EEEEDaS1Q_S1R_EUlS1Q_E_NS1_11comp_targetILNS1_3genE0ELNS1_11target_archE4294967295ELNS1_3gpuE0ELNS1_3repE0EEENS1_30default_config_static_selectorELNS0_4arch9wavefront6targetE1EEEvS13_.numbered_sgpr, 0
	.set _ZN7rocprim17ROCPRIM_400000_NS6detail17trampoline_kernelINS0_13select_configILj256ELj13ELNS0_17block_load_methodE3ELS4_3ELS4_3ELNS0_20block_scan_algorithmE0ELj4294967295EEENS1_25partition_config_selectorILNS1_17partition_subalgoE4EjNS0_10empty_typeEbEEZZNS1_14partition_implILS8_4ELb0ES6_15HIP_vector_typeIjLj2EENS0_17counting_iteratorIjlEEPS9_SG_NS0_5tupleIJPjSI_NS0_16reverse_iteratorISI_EEEEENSH_IJSG_SG_SG_EEES9_SI_JZNS1_25segmented_radix_sort_implINS0_14default_configELb0EPK12hip_bfloat16PSP_PKlPlN2at6native12_GLOBAL__N_18offset_tEEE10hipError_tPvRmT1_PNSt15iterator_traitsIS13_E10value_typeET2_T3_PNS14_IS19_E10value_typeET4_jRbjT5_S1F_jjP12ihipStream_tbEUljE_ZNSN_ISO_Lb0ESR_SS_SU_SV_SZ_EES10_S11_S12_S13_S17_S18_S19_S1C_S1D_jS1E_jS1F_S1F_jjS1H_bEUljE0_EEES10_S11_S12_S19_S1D_S1F_T6_T7_T9_mT8_S1H_bDpT10_ENKUlT_T0_E_clISt17integral_constantIbLb1EES1U_IbLb0EEEEDaS1Q_S1R_EUlS1Q_E_NS1_11comp_targetILNS1_3genE0ELNS1_11target_archE4294967295ELNS1_3gpuE0ELNS1_3repE0EEENS1_30default_config_static_selectorELNS0_4arch9wavefront6targetE1EEEvS13_.num_named_barrier, 0
	.set _ZN7rocprim17ROCPRIM_400000_NS6detail17trampoline_kernelINS0_13select_configILj256ELj13ELNS0_17block_load_methodE3ELS4_3ELS4_3ELNS0_20block_scan_algorithmE0ELj4294967295EEENS1_25partition_config_selectorILNS1_17partition_subalgoE4EjNS0_10empty_typeEbEEZZNS1_14partition_implILS8_4ELb0ES6_15HIP_vector_typeIjLj2EENS0_17counting_iteratorIjlEEPS9_SG_NS0_5tupleIJPjSI_NS0_16reverse_iteratorISI_EEEEENSH_IJSG_SG_SG_EEES9_SI_JZNS1_25segmented_radix_sort_implINS0_14default_configELb0EPK12hip_bfloat16PSP_PKlPlN2at6native12_GLOBAL__N_18offset_tEEE10hipError_tPvRmT1_PNSt15iterator_traitsIS13_E10value_typeET2_T3_PNS14_IS19_E10value_typeET4_jRbjT5_S1F_jjP12ihipStream_tbEUljE_ZNSN_ISO_Lb0ESR_SS_SU_SV_SZ_EES10_S11_S12_S13_S17_S18_S19_S1C_S1D_jS1E_jS1F_S1F_jjS1H_bEUljE0_EEES10_S11_S12_S19_S1D_S1F_T6_T7_T9_mT8_S1H_bDpT10_ENKUlT_T0_E_clISt17integral_constantIbLb1EES1U_IbLb0EEEEDaS1Q_S1R_EUlS1Q_E_NS1_11comp_targetILNS1_3genE0ELNS1_11target_archE4294967295ELNS1_3gpuE0ELNS1_3repE0EEENS1_30default_config_static_selectorELNS0_4arch9wavefront6targetE1EEEvS13_.private_seg_size, 0
	.set _ZN7rocprim17ROCPRIM_400000_NS6detail17trampoline_kernelINS0_13select_configILj256ELj13ELNS0_17block_load_methodE3ELS4_3ELS4_3ELNS0_20block_scan_algorithmE0ELj4294967295EEENS1_25partition_config_selectorILNS1_17partition_subalgoE4EjNS0_10empty_typeEbEEZZNS1_14partition_implILS8_4ELb0ES6_15HIP_vector_typeIjLj2EENS0_17counting_iteratorIjlEEPS9_SG_NS0_5tupleIJPjSI_NS0_16reverse_iteratorISI_EEEEENSH_IJSG_SG_SG_EEES9_SI_JZNS1_25segmented_radix_sort_implINS0_14default_configELb0EPK12hip_bfloat16PSP_PKlPlN2at6native12_GLOBAL__N_18offset_tEEE10hipError_tPvRmT1_PNSt15iterator_traitsIS13_E10value_typeET2_T3_PNS14_IS19_E10value_typeET4_jRbjT5_S1F_jjP12ihipStream_tbEUljE_ZNSN_ISO_Lb0ESR_SS_SU_SV_SZ_EES10_S11_S12_S13_S17_S18_S19_S1C_S1D_jS1E_jS1F_S1F_jjS1H_bEUljE0_EEES10_S11_S12_S19_S1D_S1F_T6_T7_T9_mT8_S1H_bDpT10_ENKUlT_T0_E_clISt17integral_constantIbLb1EES1U_IbLb0EEEEDaS1Q_S1R_EUlS1Q_E_NS1_11comp_targetILNS1_3genE0ELNS1_11target_archE4294967295ELNS1_3gpuE0ELNS1_3repE0EEENS1_30default_config_static_selectorELNS0_4arch9wavefront6targetE1EEEvS13_.uses_vcc, 0
	.set _ZN7rocprim17ROCPRIM_400000_NS6detail17trampoline_kernelINS0_13select_configILj256ELj13ELNS0_17block_load_methodE3ELS4_3ELS4_3ELNS0_20block_scan_algorithmE0ELj4294967295EEENS1_25partition_config_selectorILNS1_17partition_subalgoE4EjNS0_10empty_typeEbEEZZNS1_14partition_implILS8_4ELb0ES6_15HIP_vector_typeIjLj2EENS0_17counting_iteratorIjlEEPS9_SG_NS0_5tupleIJPjSI_NS0_16reverse_iteratorISI_EEEEENSH_IJSG_SG_SG_EEES9_SI_JZNS1_25segmented_radix_sort_implINS0_14default_configELb0EPK12hip_bfloat16PSP_PKlPlN2at6native12_GLOBAL__N_18offset_tEEE10hipError_tPvRmT1_PNSt15iterator_traitsIS13_E10value_typeET2_T3_PNS14_IS19_E10value_typeET4_jRbjT5_S1F_jjP12ihipStream_tbEUljE_ZNSN_ISO_Lb0ESR_SS_SU_SV_SZ_EES10_S11_S12_S13_S17_S18_S19_S1C_S1D_jS1E_jS1F_S1F_jjS1H_bEUljE0_EEES10_S11_S12_S19_S1D_S1F_T6_T7_T9_mT8_S1H_bDpT10_ENKUlT_T0_E_clISt17integral_constantIbLb1EES1U_IbLb0EEEEDaS1Q_S1R_EUlS1Q_E_NS1_11comp_targetILNS1_3genE0ELNS1_11target_archE4294967295ELNS1_3gpuE0ELNS1_3repE0EEENS1_30default_config_static_selectorELNS0_4arch9wavefront6targetE1EEEvS13_.uses_flat_scratch, 0
	.set _ZN7rocprim17ROCPRIM_400000_NS6detail17trampoline_kernelINS0_13select_configILj256ELj13ELNS0_17block_load_methodE3ELS4_3ELS4_3ELNS0_20block_scan_algorithmE0ELj4294967295EEENS1_25partition_config_selectorILNS1_17partition_subalgoE4EjNS0_10empty_typeEbEEZZNS1_14partition_implILS8_4ELb0ES6_15HIP_vector_typeIjLj2EENS0_17counting_iteratorIjlEEPS9_SG_NS0_5tupleIJPjSI_NS0_16reverse_iteratorISI_EEEEENSH_IJSG_SG_SG_EEES9_SI_JZNS1_25segmented_radix_sort_implINS0_14default_configELb0EPK12hip_bfloat16PSP_PKlPlN2at6native12_GLOBAL__N_18offset_tEEE10hipError_tPvRmT1_PNSt15iterator_traitsIS13_E10value_typeET2_T3_PNS14_IS19_E10value_typeET4_jRbjT5_S1F_jjP12ihipStream_tbEUljE_ZNSN_ISO_Lb0ESR_SS_SU_SV_SZ_EES10_S11_S12_S13_S17_S18_S19_S1C_S1D_jS1E_jS1F_S1F_jjS1H_bEUljE0_EEES10_S11_S12_S19_S1D_S1F_T6_T7_T9_mT8_S1H_bDpT10_ENKUlT_T0_E_clISt17integral_constantIbLb1EES1U_IbLb0EEEEDaS1Q_S1R_EUlS1Q_E_NS1_11comp_targetILNS1_3genE0ELNS1_11target_archE4294967295ELNS1_3gpuE0ELNS1_3repE0EEENS1_30default_config_static_selectorELNS0_4arch9wavefront6targetE1EEEvS13_.has_dyn_sized_stack, 0
	.set _ZN7rocprim17ROCPRIM_400000_NS6detail17trampoline_kernelINS0_13select_configILj256ELj13ELNS0_17block_load_methodE3ELS4_3ELS4_3ELNS0_20block_scan_algorithmE0ELj4294967295EEENS1_25partition_config_selectorILNS1_17partition_subalgoE4EjNS0_10empty_typeEbEEZZNS1_14partition_implILS8_4ELb0ES6_15HIP_vector_typeIjLj2EENS0_17counting_iteratorIjlEEPS9_SG_NS0_5tupleIJPjSI_NS0_16reverse_iteratorISI_EEEEENSH_IJSG_SG_SG_EEES9_SI_JZNS1_25segmented_radix_sort_implINS0_14default_configELb0EPK12hip_bfloat16PSP_PKlPlN2at6native12_GLOBAL__N_18offset_tEEE10hipError_tPvRmT1_PNSt15iterator_traitsIS13_E10value_typeET2_T3_PNS14_IS19_E10value_typeET4_jRbjT5_S1F_jjP12ihipStream_tbEUljE_ZNSN_ISO_Lb0ESR_SS_SU_SV_SZ_EES10_S11_S12_S13_S17_S18_S19_S1C_S1D_jS1E_jS1F_S1F_jjS1H_bEUljE0_EEES10_S11_S12_S19_S1D_S1F_T6_T7_T9_mT8_S1H_bDpT10_ENKUlT_T0_E_clISt17integral_constantIbLb1EES1U_IbLb0EEEEDaS1Q_S1R_EUlS1Q_E_NS1_11comp_targetILNS1_3genE0ELNS1_11target_archE4294967295ELNS1_3gpuE0ELNS1_3repE0EEENS1_30default_config_static_selectorELNS0_4arch9wavefront6targetE1EEEvS13_.has_recursion, 0
	.set _ZN7rocprim17ROCPRIM_400000_NS6detail17trampoline_kernelINS0_13select_configILj256ELj13ELNS0_17block_load_methodE3ELS4_3ELS4_3ELNS0_20block_scan_algorithmE0ELj4294967295EEENS1_25partition_config_selectorILNS1_17partition_subalgoE4EjNS0_10empty_typeEbEEZZNS1_14partition_implILS8_4ELb0ES6_15HIP_vector_typeIjLj2EENS0_17counting_iteratorIjlEEPS9_SG_NS0_5tupleIJPjSI_NS0_16reverse_iteratorISI_EEEEENSH_IJSG_SG_SG_EEES9_SI_JZNS1_25segmented_radix_sort_implINS0_14default_configELb0EPK12hip_bfloat16PSP_PKlPlN2at6native12_GLOBAL__N_18offset_tEEE10hipError_tPvRmT1_PNSt15iterator_traitsIS13_E10value_typeET2_T3_PNS14_IS19_E10value_typeET4_jRbjT5_S1F_jjP12ihipStream_tbEUljE_ZNSN_ISO_Lb0ESR_SS_SU_SV_SZ_EES10_S11_S12_S13_S17_S18_S19_S1C_S1D_jS1E_jS1F_S1F_jjS1H_bEUljE0_EEES10_S11_S12_S19_S1D_S1F_T6_T7_T9_mT8_S1H_bDpT10_ENKUlT_T0_E_clISt17integral_constantIbLb1EES1U_IbLb0EEEEDaS1Q_S1R_EUlS1Q_E_NS1_11comp_targetILNS1_3genE0ELNS1_11target_archE4294967295ELNS1_3gpuE0ELNS1_3repE0EEENS1_30default_config_static_selectorELNS0_4arch9wavefront6targetE1EEEvS13_.has_indirect_call, 0
	.section	.AMDGPU.csdata,"",@progbits
; Kernel info:
; codeLenInByte = 0
; TotalNumSgprs: 4
; NumVgprs: 0
; ScratchSize: 0
; MemoryBound: 0
; FloatMode: 240
; IeeeMode: 1
; LDSByteSize: 0 bytes/workgroup (compile time only)
; SGPRBlocks: 0
; VGPRBlocks: 0
; NumSGPRsForWavesPerEU: 4
; NumVGPRsForWavesPerEU: 1
; Occupancy: 10
; WaveLimiterHint : 0
; COMPUTE_PGM_RSRC2:SCRATCH_EN: 0
; COMPUTE_PGM_RSRC2:USER_SGPR: 6
; COMPUTE_PGM_RSRC2:TRAP_HANDLER: 0
; COMPUTE_PGM_RSRC2:TGID_X_EN: 1
; COMPUTE_PGM_RSRC2:TGID_Y_EN: 0
; COMPUTE_PGM_RSRC2:TGID_Z_EN: 0
; COMPUTE_PGM_RSRC2:TIDIG_COMP_CNT: 0
	.section	.text._ZN7rocprim17ROCPRIM_400000_NS6detail17trampoline_kernelINS0_13select_configILj256ELj13ELNS0_17block_load_methodE3ELS4_3ELS4_3ELNS0_20block_scan_algorithmE0ELj4294967295EEENS1_25partition_config_selectorILNS1_17partition_subalgoE4EjNS0_10empty_typeEbEEZZNS1_14partition_implILS8_4ELb0ES6_15HIP_vector_typeIjLj2EENS0_17counting_iteratorIjlEEPS9_SG_NS0_5tupleIJPjSI_NS0_16reverse_iteratorISI_EEEEENSH_IJSG_SG_SG_EEES9_SI_JZNS1_25segmented_radix_sort_implINS0_14default_configELb0EPK12hip_bfloat16PSP_PKlPlN2at6native12_GLOBAL__N_18offset_tEEE10hipError_tPvRmT1_PNSt15iterator_traitsIS13_E10value_typeET2_T3_PNS14_IS19_E10value_typeET4_jRbjT5_S1F_jjP12ihipStream_tbEUljE_ZNSN_ISO_Lb0ESR_SS_SU_SV_SZ_EES10_S11_S12_S13_S17_S18_S19_S1C_S1D_jS1E_jS1F_S1F_jjS1H_bEUljE0_EEES10_S11_S12_S19_S1D_S1F_T6_T7_T9_mT8_S1H_bDpT10_ENKUlT_T0_E_clISt17integral_constantIbLb1EES1U_IbLb0EEEEDaS1Q_S1R_EUlS1Q_E_NS1_11comp_targetILNS1_3genE5ELNS1_11target_archE942ELNS1_3gpuE9ELNS1_3repE0EEENS1_30default_config_static_selectorELNS0_4arch9wavefront6targetE1EEEvS13_,"axG",@progbits,_ZN7rocprim17ROCPRIM_400000_NS6detail17trampoline_kernelINS0_13select_configILj256ELj13ELNS0_17block_load_methodE3ELS4_3ELS4_3ELNS0_20block_scan_algorithmE0ELj4294967295EEENS1_25partition_config_selectorILNS1_17partition_subalgoE4EjNS0_10empty_typeEbEEZZNS1_14partition_implILS8_4ELb0ES6_15HIP_vector_typeIjLj2EENS0_17counting_iteratorIjlEEPS9_SG_NS0_5tupleIJPjSI_NS0_16reverse_iteratorISI_EEEEENSH_IJSG_SG_SG_EEES9_SI_JZNS1_25segmented_radix_sort_implINS0_14default_configELb0EPK12hip_bfloat16PSP_PKlPlN2at6native12_GLOBAL__N_18offset_tEEE10hipError_tPvRmT1_PNSt15iterator_traitsIS13_E10value_typeET2_T3_PNS14_IS19_E10value_typeET4_jRbjT5_S1F_jjP12ihipStream_tbEUljE_ZNSN_ISO_Lb0ESR_SS_SU_SV_SZ_EES10_S11_S12_S13_S17_S18_S19_S1C_S1D_jS1E_jS1F_S1F_jjS1H_bEUljE0_EEES10_S11_S12_S19_S1D_S1F_T6_T7_T9_mT8_S1H_bDpT10_ENKUlT_T0_E_clISt17integral_constantIbLb1EES1U_IbLb0EEEEDaS1Q_S1R_EUlS1Q_E_NS1_11comp_targetILNS1_3genE5ELNS1_11target_archE942ELNS1_3gpuE9ELNS1_3repE0EEENS1_30default_config_static_selectorELNS0_4arch9wavefront6targetE1EEEvS13_,comdat
	.globl	_ZN7rocprim17ROCPRIM_400000_NS6detail17trampoline_kernelINS0_13select_configILj256ELj13ELNS0_17block_load_methodE3ELS4_3ELS4_3ELNS0_20block_scan_algorithmE0ELj4294967295EEENS1_25partition_config_selectorILNS1_17partition_subalgoE4EjNS0_10empty_typeEbEEZZNS1_14partition_implILS8_4ELb0ES6_15HIP_vector_typeIjLj2EENS0_17counting_iteratorIjlEEPS9_SG_NS0_5tupleIJPjSI_NS0_16reverse_iteratorISI_EEEEENSH_IJSG_SG_SG_EEES9_SI_JZNS1_25segmented_radix_sort_implINS0_14default_configELb0EPK12hip_bfloat16PSP_PKlPlN2at6native12_GLOBAL__N_18offset_tEEE10hipError_tPvRmT1_PNSt15iterator_traitsIS13_E10value_typeET2_T3_PNS14_IS19_E10value_typeET4_jRbjT5_S1F_jjP12ihipStream_tbEUljE_ZNSN_ISO_Lb0ESR_SS_SU_SV_SZ_EES10_S11_S12_S13_S17_S18_S19_S1C_S1D_jS1E_jS1F_S1F_jjS1H_bEUljE0_EEES10_S11_S12_S19_S1D_S1F_T6_T7_T9_mT8_S1H_bDpT10_ENKUlT_T0_E_clISt17integral_constantIbLb1EES1U_IbLb0EEEEDaS1Q_S1R_EUlS1Q_E_NS1_11comp_targetILNS1_3genE5ELNS1_11target_archE942ELNS1_3gpuE9ELNS1_3repE0EEENS1_30default_config_static_selectorELNS0_4arch9wavefront6targetE1EEEvS13_ ; -- Begin function _ZN7rocprim17ROCPRIM_400000_NS6detail17trampoline_kernelINS0_13select_configILj256ELj13ELNS0_17block_load_methodE3ELS4_3ELS4_3ELNS0_20block_scan_algorithmE0ELj4294967295EEENS1_25partition_config_selectorILNS1_17partition_subalgoE4EjNS0_10empty_typeEbEEZZNS1_14partition_implILS8_4ELb0ES6_15HIP_vector_typeIjLj2EENS0_17counting_iteratorIjlEEPS9_SG_NS0_5tupleIJPjSI_NS0_16reverse_iteratorISI_EEEEENSH_IJSG_SG_SG_EEES9_SI_JZNS1_25segmented_radix_sort_implINS0_14default_configELb0EPK12hip_bfloat16PSP_PKlPlN2at6native12_GLOBAL__N_18offset_tEEE10hipError_tPvRmT1_PNSt15iterator_traitsIS13_E10value_typeET2_T3_PNS14_IS19_E10value_typeET4_jRbjT5_S1F_jjP12ihipStream_tbEUljE_ZNSN_ISO_Lb0ESR_SS_SU_SV_SZ_EES10_S11_S12_S13_S17_S18_S19_S1C_S1D_jS1E_jS1F_S1F_jjS1H_bEUljE0_EEES10_S11_S12_S19_S1D_S1F_T6_T7_T9_mT8_S1H_bDpT10_ENKUlT_T0_E_clISt17integral_constantIbLb1EES1U_IbLb0EEEEDaS1Q_S1R_EUlS1Q_E_NS1_11comp_targetILNS1_3genE5ELNS1_11target_archE942ELNS1_3gpuE9ELNS1_3repE0EEENS1_30default_config_static_selectorELNS0_4arch9wavefront6targetE1EEEvS13_
	.p2align	8
	.type	_ZN7rocprim17ROCPRIM_400000_NS6detail17trampoline_kernelINS0_13select_configILj256ELj13ELNS0_17block_load_methodE3ELS4_3ELS4_3ELNS0_20block_scan_algorithmE0ELj4294967295EEENS1_25partition_config_selectorILNS1_17partition_subalgoE4EjNS0_10empty_typeEbEEZZNS1_14partition_implILS8_4ELb0ES6_15HIP_vector_typeIjLj2EENS0_17counting_iteratorIjlEEPS9_SG_NS0_5tupleIJPjSI_NS0_16reverse_iteratorISI_EEEEENSH_IJSG_SG_SG_EEES9_SI_JZNS1_25segmented_radix_sort_implINS0_14default_configELb0EPK12hip_bfloat16PSP_PKlPlN2at6native12_GLOBAL__N_18offset_tEEE10hipError_tPvRmT1_PNSt15iterator_traitsIS13_E10value_typeET2_T3_PNS14_IS19_E10value_typeET4_jRbjT5_S1F_jjP12ihipStream_tbEUljE_ZNSN_ISO_Lb0ESR_SS_SU_SV_SZ_EES10_S11_S12_S13_S17_S18_S19_S1C_S1D_jS1E_jS1F_S1F_jjS1H_bEUljE0_EEES10_S11_S12_S19_S1D_S1F_T6_T7_T9_mT8_S1H_bDpT10_ENKUlT_T0_E_clISt17integral_constantIbLb1EES1U_IbLb0EEEEDaS1Q_S1R_EUlS1Q_E_NS1_11comp_targetILNS1_3genE5ELNS1_11target_archE942ELNS1_3gpuE9ELNS1_3repE0EEENS1_30default_config_static_selectorELNS0_4arch9wavefront6targetE1EEEvS13_,@function
_ZN7rocprim17ROCPRIM_400000_NS6detail17trampoline_kernelINS0_13select_configILj256ELj13ELNS0_17block_load_methodE3ELS4_3ELS4_3ELNS0_20block_scan_algorithmE0ELj4294967295EEENS1_25partition_config_selectorILNS1_17partition_subalgoE4EjNS0_10empty_typeEbEEZZNS1_14partition_implILS8_4ELb0ES6_15HIP_vector_typeIjLj2EENS0_17counting_iteratorIjlEEPS9_SG_NS0_5tupleIJPjSI_NS0_16reverse_iteratorISI_EEEEENSH_IJSG_SG_SG_EEES9_SI_JZNS1_25segmented_radix_sort_implINS0_14default_configELb0EPK12hip_bfloat16PSP_PKlPlN2at6native12_GLOBAL__N_18offset_tEEE10hipError_tPvRmT1_PNSt15iterator_traitsIS13_E10value_typeET2_T3_PNS14_IS19_E10value_typeET4_jRbjT5_S1F_jjP12ihipStream_tbEUljE_ZNSN_ISO_Lb0ESR_SS_SU_SV_SZ_EES10_S11_S12_S13_S17_S18_S19_S1C_S1D_jS1E_jS1F_S1F_jjS1H_bEUljE0_EEES10_S11_S12_S19_S1D_S1F_T6_T7_T9_mT8_S1H_bDpT10_ENKUlT_T0_E_clISt17integral_constantIbLb1EES1U_IbLb0EEEEDaS1Q_S1R_EUlS1Q_E_NS1_11comp_targetILNS1_3genE5ELNS1_11target_archE942ELNS1_3gpuE9ELNS1_3repE0EEENS1_30default_config_static_selectorELNS0_4arch9wavefront6targetE1EEEvS13_: ; @_ZN7rocprim17ROCPRIM_400000_NS6detail17trampoline_kernelINS0_13select_configILj256ELj13ELNS0_17block_load_methodE3ELS4_3ELS4_3ELNS0_20block_scan_algorithmE0ELj4294967295EEENS1_25partition_config_selectorILNS1_17partition_subalgoE4EjNS0_10empty_typeEbEEZZNS1_14partition_implILS8_4ELb0ES6_15HIP_vector_typeIjLj2EENS0_17counting_iteratorIjlEEPS9_SG_NS0_5tupleIJPjSI_NS0_16reverse_iteratorISI_EEEEENSH_IJSG_SG_SG_EEES9_SI_JZNS1_25segmented_radix_sort_implINS0_14default_configELb0EPK12hip_bfloat16PSP_PKlPlN2at6native12_GLOBAL__N_18offset_tEEE10hipError_tPvRmT1_PNSt15iterator_traitsIS13_E10value_typeET2_T3_PNS14_IS19_E10value_typeET4_jRbjT5_S1F_jjP12ihipStream_tbEUljE_ZNSN_ISO_Lb0ESR_SS_SU_SV_SZ_EES10_S11_S12_S13_S17_S18_S19_S1C_S1D_jS1E_jS1F_S1F_jjS1H_bEUljE0_EEES10_S11_S12_S19_S1D_S1F_T6_T7_T9_mT8_S1H_bDpT10_ENKUlT_T0_E_clISt17integral_constantIbLb1EES1U_IbLb0EEEEDaS1Q_S1R_EUlS1Q_E_NS1_11comp_targetILNS1_3genE5ELNS1_11target_archE942ELNS1_3gpuE9ELNS1_3repE0EEENS1_30default_config_static_selectorELNS0_4arch9wavefront6targetE1EEEvS13_
; %bb.0:
	.section	.rodata,"a",@progbits
	.p2align	6, 0x0
	.amdhsa_kernel _ZN7rocprim17ROCPRIM_400000_NS6detail17trampoline_kernelINS0_13select_configILj256ELj13ELNS0_17block_load_methodE3ELS4_3ELS4_3ELNS0_20block_scan_algorithmE0ELj4294967295EEENS1_25partition_config_selectorILNS1_17partition_subalgoE4EjNS0_10empty_typeEbEEZZNS1_14partition_implILS8_4ELb0ES6_15HIP_vector_typeIjLj2EENS0_17counting_iteratorIjlEEPS9_SG_NS0_5tupleIJPjSI_NS0_16reverse_iteratorISI_EEEEENSH_IJSG_SG_SG_EEES9_SI_JZNS1_25segmented_radix_sort_implINS0_14default_configELb0EPK12hip_bfloat16PSP_PKlPlN2at6native12_GLOBAL__N_18offset_tEEE10hipError_tPvRmT1_PNSt15iterator_traitsIS13_E10value_typeET2_T3_PNS14_IS19_E10value_typeET4_jRbjT5_S1F_jjP12ihipStream_tbEUljE_ZNSN_ISO_Lb0ESR_SS_SU_SV_SZ_EES10_S11_S12_S13_S17_S18_S19_S1C_S1D_jS1E_jS1F_S1F_jjS1H_bEUljE0_EEES10_S11_S12_S19_S1D_S1F_T6_T7_T9_mT8_S1H_bDpT10_ENKUlT_T0_E_clISt17integral_constantIbLb1EES1U_IbLb0EEEEDaS1Q_S1R_EUlS1Q_E_NS1_11comp_targetILNS1_3genE5ELNS1_11target_archE942ELNS1_3gpuE9ELNS1_3repE0EEENS1_30default_config_static_selectorELNS0_4arch9wavefront6targetE1EEEvS13_
		.amdhsa_group_segment_fixed_size 0
		.amdhsa_private_segment_fixed_size 0
		.amdhsa_kernarg_size 176
		.amdhsa_user_sgpr_count 6
		.amdhsa_user_sgpr_private_segment_buffer 1
		.amdhsa_user_sgpr_dispatch_ptr 0
		.amdhsa_user_sgpr_queue_ptr 0
		.amdhsa_user_sgpr_kernarg_segment_ptr 1
		.amdhsa_user_sgpr_dispatch_id 0
		.amdhsa_user_sgpr_flat_scratch_init 0
		.amdhsa_user_sgpr_private_segment_size 0
		.amdhsa_uses_dynamic_stack 0
		.amdhsa_system_sgpr_private_segment_wavefront_offset 0
		.amdhsa_system_sgpr_workgroup_id_x 1
		.amdhsa_system_sgpr_workgroup_id_y 0
		.amdhsa_system_sgpr_workgroup_id_z 0
		.amdhsa_system_sgpr_workgroup_info 0
		.amdhsa_system_vgpr_workitem_id 0
		.amdhsa_next_free_vgpr 1
		.amdhsa_next_free_sgpr 0
		.amdhsa_reserve_vcc 0
		.amdhsa_reserve_flat_scratch 0
		.amdhsa_float_round_mode_32 0
		.amdhsa_float_round_mode_16_64 0
		.amdhsa_float_denorm_mode_32 3
		.amdhsa_float_denorm_mode_16_64 3
		.amdhsa_dx10_clamp 1
		.amdhsa_ieee_mode 1
		.amdhsa_fp16_overflow 0
		.amdhsa_exception_fp_ieee_invalid_op 0
		.amdhsa_exception_fp_denorm_src 0
		.amdhsa_exception_fp_ieee_div_zero 0
		.amdhsa_exception_fp_ieee_overflow 0
		.amdhsa_exception_fp_ieee_underflow 0
		.amdhsa_exception_fp_ieee_inexact 0
		.amdhsa_exception_int_div_zero 0
	.end_amdhsa_kernel
	.section	.text._ZN7rocprim17ROCPRIM_400000_NS6detail17trampoline_kernelINS0_13select_configILj256ELj13ELNS0_17block_load_methodE3ELS4_3ELS4_3ELNS0_20block_scan_algorithmE0ELj4294967295EEENS1_25partition_config_selectorILNS1_17partition_subalgoE4EjNS0_10empty_typeEbEEZZNS1_14partition_implILS8_4ELb0ES6_15HIP_vector_typeIjLj2EENS0_17counting_iteratorIjlEEPS9_SG_NS0_5tupleIJPjSI_NS0_16reverse_iteratorISI_EEEEENSH_IJSG_SG_SG_EEES9_SI_JZNS1_25segmented_radix_sort_implINS0_14default_configELb0EPK12hip_bfloat16PSP_PKlPlN2at6native12_GLOBAL__N_18offset_tEEE10hipError_tPvRmT1_PNSt15iterator_traitsIS13_E10value_typeET2_T3_PNS14_IS19_E10value_typeET4_jRbjT5_S1F_jjP12ihipStream_tbEUljE_ZNSN_ISO_Lb0ESR_SS_SU_SV_SZ_EES10_S11_S12_S13_S17_S18_S19_S1C_S1D_jS1E_jS1F_S1F_jjS1H_bEUljE0_EEES10_S11_S12_S19_S1D_S1F_T6_T7_T9_mT8_S1H_bDpT10_ENKUlT_T0_E_clISt17integral_constantIbLb1EES1U_IbLb0EEEEDaS1Q_S1R_EUlS1Q_E_NS1_11comp_targetILNS1_3genE5ELNS1_11target_archE942ELNS1_3gpuE9ELNS1_3repE0EEENS1_30default_config_static_selectorELNS0_4arch9wavefront6targetE1EEEvS13_,"axG",@progbits,_ZN7rocprim17ROCPRIM_400000_NS6detail17trampoline_kernelINS0_13select_configILj256ELj13ELNS0_17block_load_methodE3ELS4_3ELS4_3ELNS0_20block_scan_algorithmE0ELj4294967295EEENS1_25partition_config_selectorILNS1_17partition_subalgoE4EjNS0_10empty_typeEbEEZZNS1_14partition_implILS8_4ELb0ES6_15HIP_vector_typeIjLj2EENS0_17counting_iteratorIjlEEPS9_SG_NS0_5tupleIJPjSI_NS0_16reverse_iteratorISI_EEEEENSH_IJSG_SG_SG_EEES9_SI_JZNS1_25segmented_radix_sort_implINS0_14default_configELb0EPK12hip_bfloat16PSP_PKlPlN2at6native12_GLOBAL__N_18offset_tEEE10hipError_tPvRmT1_PNSt15iterator_traitsIS13_E10value_typeET2_T3_PNS14_IS19_E10value_typeET4_jRbjT5_S1F_jjP12ihipStream_tbEUljE_ZNSN_ISO_Lb0ESR_SS_SU_SV_SZ_EES10_S11_S12_S13_S17_S18_S19_S1C_S1D_jS1E_jS1F_S1F_jjS1H_bEUljE0_EEES10_S11_S12_S19_S1D_S1F_T6_T7_T9_mT8_S1H_bDpT10_ENKUlT_T0_E_clISt17integral_constantIbLb1EES1U_IbLb0EEEEDaS1Q_S1R_EUlS1Q_E_NS1_11comp_targetILNS1_3genE5ELNS1_11target_archE942ELNS1_3gpuE9ELNS1_3repE0EEENS1_30default_config_static_selectorELNS0_4arch9wavefront6targetE1EEEvS13_,comdat
.Lfunc_end2002:
	.size	_ZN7rocprim17ROCPRIM_400000_NS6detail17trampoline_kernelINS0_13select_configILj256ELj13ELNS0_17block_load_methodE3ELS4_3ELS4_3ELNS0_20block_scan_algorithmE0ELj4294967295EEENS1_25partition_config_selectorILNS1_17partition_subalgoE4EjNS0_10empty_typeEbEEZZNS1_14partition_implILS8_4ELb0ES6_15HIP_vector_typeIjLj2EENS0_17counting_iteratorIjlEEPS9_SG_NS0_5tupleIJPjSI_NS0_16reverse_iteratorISI_EEEEENSH_IJSG_SG_SG_EEES9_SI_JZNS1_25segmented_radix_sort_implINS0_14default_configELb0EPK12hip_bfloat16PSP_PKlPlN2at6native12_GLOBAL__N_18offset_tEEE10hipError_tPvRmT1_PNSt15iterator_traitsIS13_E10value_typeET2_T3_PNS14_IS19_E10value_typeET4_jRbjT5_S1F_jjP12ihipStream_tbEUljE_ZNSN_ISO_Lb0ESR_SS_SU_SV_SZ_EES10_S11_S12_S13_S17_S18_S19_S1C_S1D_jS1E_jS1F_S1F_jjS1H_bEUljE0_EEES10_S11_S12_S19_S1D_S1F_T6_T7_T9_mT8_S1H_bDpT10_ENKUlT_T0_E_clISt17integral_constantIbLb1EES1U_IbLb0EEEEDaS1Q_S1R_EUlS1Q_E_NS1_11comp_targetILNS1_3genE5ELNS1_11target_archE942ELNS1_3gpuE9ELNS1_3repE0EEENS1_30default_config_static_selectorELNS0_4arch9wavefront6targetE1EEEvS13_, .Lfunc_end2002-_ZN7rocprim17ROCPRIM_400000_NS6detail17trampoline_kernelINS0_13select_configILj256ELj13ELNS0_17block_load_methodE3ELS4_3ELS4_3ELNS0_20block_scan_algorithmE0ELj4294967295EEENS1_25partition_config_selectorILNS1_17partition_subalgoE4EjNS0_10empty_typeEbEEZZNS1_14partition_implILS8_4ELb0ES6_15HIP_vector_typeIjLj2EENS0_17counting_iteratorIjlEEPS9_SG_NS0_5tupleIJPjSI_NS0_16reverse_iteratorISI_EEEEENSH_IJSG_SG_SG_EEES9_SI_JZNS1_25segmented_radix_sort_implINS0_14default_configELb0EPK12hip_bfloat16PSP_PKlPlN2at6native12_GLOBAL__N_18offset_tEEE10hipError_tPvRmT1_PNSt15iterator_traitsIS13_E10value_typeET2_T3_PNS14_IS19_E10value_typeET4_jRbjT5_S1F_jjP12ihipStream_tbEUljE_ZNSN_ISO_Lb0ESR_SS_SU_SV_SZ_EES10_S11_S12_S13_S17_S18_S19_S1C_S1D_jS1E_jS1F_S1F_jjS1H_bEUljE0_EEES10_S11_S12_S19_S1D_S1F_T6_T7_T9_mT8_S1H_bDpT10_ENKUlT_T0_E_clISt17integral_constantIbLb1EES1U_IbLb0EEEEDaS1Q_S1R_EUlS1Q_E_NS1_11comp_targetILNS1_3genE5ELNS1_11target_archE942ELNS1_3gpuE9ELNS1_3repE0EEENS1_30default_config_static_selectorELNS0_4arch9wavefront6targetE1EEEvS13_
                                        ; -- End function
	.set _ZN7rocprim17ROCPRIM_400000_NS6detail17trampoline_kernelINS0_13select_configILj256ELj13ELNS0_17block_load_methodE3ELS4_3ELS4_3ELNS0_20block_scan_algorithmE0ELj4294967295EEENS1_25partition_config_selectorILNS1_17partition_subalgoE4EjNS0_10empty_typeEbEEZZNS1_14partition_implILS8_4ELb0ES6_15HIP_vector_typeIjLj2EENS0_17counting_iteratorIjlEEPS9_SG_NS0_5tupleIJPjSI_NS0_16reverse_iteratorISI_EEEEENSH_IJSG_SG_SG_EEES9_SI_JZNS1_25segmented_radix_sort_implINS0_14default_configELb0EPK12hip_bfloat16PSP_PKlPlN2at6native12_GLOBAL__N_18offset_tEEE10hipError_tPvRmT1_PNSt15iterator_traitsIS13_E10value_typeET2_T3_PNS14_IS19_E10value_typeET4_jRbjT5_S1F_jjP12ihipStream_tbEUljE_ZNSN_ISO_Lb0ESR_SS_SU_SV_SZ_EES10_S11_S12_S13_S17_S18_S19_S1C_S1D_jS1E_jS1F_S1F_jjS1H_bEUljE0_EEES10_S11_S12_S19_S1D_S1F_T6_T7_T9_mT8_S1H_bDpT10_ENKUlT_T0_E_clISt17integral_constantIbLb1EES1U_IbLb0EEEEDaS1Q_S1R_EUlS1Q_E_NS1_11comp_targetILNS1_3genE5ELNS1_11target_archE942ELNS1_3gpuE9ELNS1_3repE0EEENS1_30default_config_static_selectorELNS0_4arch9wavefront6targetE1EEEvS13_.num_vgpr, 0
	.set _ZN7rocprim17ROCPRIM_400000_NS6detail17trampoline_kernelINS0_13select_configILj256ELj13ELNS0_17block_load_methodE3ELS4_3ELS4_3ELNS0_20block_scan_algorithmE0ELj4294967295EEENS1_25partition_config_selectorILNS1_17partition_subalgoE4EjNS0_10empty_typeEbEEZZNS1_14partition_implILS8_4ELb0ES6_15HIP_vector_typeIjLj2EENS0_17counting_iteratorIjlEEPS9_SG_NS0_5tupleIJPjSI_NS0_16reverse_iteratorISI_EEEEENSH_IJSG_SG_SG_EEES9_SI_JZNS1_25segmented_radix_sort_implINS0_14default_configELb0EPK12hip_bfloat16PSP_PKlPlN2at6native12_GLOBAL__N_18offset_tEEE10hipError_tPvRmT1_PNSt15iterator_traitsIS13_E10value_typeET2_T3_PNS14_IS19_E10value_typeET4_jRbjT5_S1F_jjP12ihipStream_tbEUljE_ZNSN_ISO_Lb0ESR_SS_SU_SV_SZ_EES10_S11_S12_S13_S17_S18_S19_S1C_S1D_jS1E_jS1F_S1F_jjS1H_bEUljE0_EEES10_S11_S12_S19_S1D_S1F_T6_T7_T9_mT8_S1H_bDpT10_ENKUlT_T0_E_clISt17integral_constantIbLb1EES1U_IbLb0EEEEDaS1Q_S1R_EUlS1Q_E_NS1_11comp_targetILNS1_3genE5ELNS1_11target_archE942ELNS1_3gpuE9ELNS1_3repE0EEENS1_30default_config_static_selectorELNS0_4arch9wavefront6targetE1EEEvS13_.num_agpr, 0
	.set _ZN7rocprim17ROCPRIM_400000_NS6detail17trampoline_kernelINS0_13select_configILj256ELj13ELNS0_17block_load_methodE3ELS4_3ELS4_3ELNS0_20block_scan_algorithmE0ELj4294967295EEENS1_25partition_config_selectorILNS1_17partition_subalgoE4EjNS0_10empty_typeEbEEZZNS1_14partition_implILS8_4ELb0ES6_15HIP_vector_typeIjLj2EENS0_17counting_iteratorIjlEEPS9_SG_NS0_5tupleIJPjSI_NS0_16reverse_iteratorISI_EEEEENSH_IJSG_SG_SG_EEES9_SI_JZNS1_25segmented_radix_sort_implINS0_14default_configELb0EPK12hip_bfloat16PSP_PKlPlN2at6native12_GLOBAL__N_18offset_tEEE10hipError_tPvRmT1_PNSt15iterator_traitsIS13_E10value_typeET2_T3_PNS14_IS19_E10value_typeET4_jRbjT5_S1F_jjP12ihipStream_tbEUljE_ZNSN_ISO_Lb0ESR_SS_SU_SV_SZ_EES10_S11_S12_S13_S17_S18_S19_S1C_S1D_jS1E_jS1F_S1F_jjS1H_bEUljE0_EEES10_S11_S12_S19_S1D_S1F_T6_T7_T9_mT8_S1H_bDpT10_ENKUlT_T0_E_clISt17integral_constantIbLb1EES1U_IbLb0EEEEDaS1Q_S1R_EUlS1Q_E_NS1_11comp_targetILNS1_3genE5ELNS1_11target_archE942ELNS1_3gpuE9ELNS1_3repE0EEENS1_30default_config_static_selectorELNS0_4arch9wavefront6targetE1EEEvS13_.numbered_sgpr, 0
	.set _ZN7rocprim17ROCPRIM_400000_NS6detail17trampoline_kernelINS0_13select_configILj256ELj13ELNS0_17block_load_methodE3ELS4_3ELS4_3ELNS0_20block_scan_algorithmE0ELj4294967295EEENS1_25partition_config_selectorILNS1_17partition_subalgoE4EjNS0_10empty_typeEbEEZZNS1_14partition_implILS8_4ELb0ES6_15HIP_vector_typeIjLj2EENS0_17counting_iteratorIjlEEPS9_SG_NS0_5tupleIJPjSI_NS0_16reverse_iteratorISI_EEEEENSH_IJSG_SG_SG_EEES9_SI_JZNS1_25segmented_radix_sort_implINS0_14default_configELb0EPK12hip_bfloat16PSP_PKlPlN2at6native12_GLOBAL__N_18offset_tEEE10hipError_tPvRmT1_PNSt15iterator_traitsIS13_E10value_typeET2_T3_PNS14_IS19_E10value_typeET4_jRbjT5_S1F_jjP12ihipStream_tbEUljE_ZNSN_ISO_Lb0ESR_SS_SU_SV_SZ_EES10_S11_S12_S13_S17_S18_S19_S1C_S1D_jS1E_jS1F_S1F_jjS1H_bEUljE0_EEES10_S11_S12_S19_S1D_S1F_T6_T7_T9_mT8_S1H_bDpT10_ENKUlT_T0_E_clISt17integral_constantIbLb1EES1U_IbLb0EEEEDaS1Q_S1R_EUlS1Q_E_NS1_11comp_targetILNS1_3genE5ELNS1_11target_archE942ELNS1_3gpuE9ELNS1_3repE0EEENS1_30default_config_static_selectorELNS0_4arch9wavefront6targetE1EEEvS13_.num_named_barrier, 0
	.set _ZN7rocprim17ROCPRIM_400000_NS6detail17trampoline_kernelINS0_13select_configILj256ELj13ELNS0_17block_load_methodE3ELS4_3ELS4_3ELNS0_20block_scan_algorithmE0ELj4294967295EEENS1_25partition_config_selectorILNS1_17partition_subalgoE4EjNS0_10empty_typeEbEEZZNS1_14partition_implILS8_4ELb0ES6_15HIP_vector_typeIjLj2EENS0_17counting_iteratorIjlEEPS9_SG_NS0_5tupleIJPjSI_NS0_16reverse_iteratorISI_EEEEENSH_IJSG_SG_SG_EEES9_SI_JZNS1_25segmented_radix_sort_implINS0_14default_configELb0EPK12hip_bfloat16PSP_PKlPlN2at6native12_GLOBAL__N_18offset_tEEE10hipError_tPvRmT1_PNSt15iterator_traitsIS13_E10value_typeET2_T3_PNS14_IS19_E10value_typeET4_jRbjT5_S1F_jjP12ihipStream_tbEUljE_ZNSN_ISO_Lb0ESR_SS_SU_SV_SZ_EES10_S11_S12_S13_S17_S18_S19_S1C_S1D_jS1E_jS1F_S1F_jjS1H_bEUljE0_EEES10_S11_S12_S19_S1D_S1F_T6_T7_T9_mT8_S1H_bDpT10_ENKUlT_T0_E_clISt17integral_constantIbLb1EES1U_IbLb0EEEEDaS1Q_S1R_EUlS1Q_E_NS1_11comp_targetILNS1_3genE5ELNS1_11target_archE942ELNS1_3gpuE9ELNS1_3repE0EEENS1_30default_config_static_selectorELNS0_4arch9wavefront6targetE1EEEvS13_.private_seg_size, 0
	.set _ZN7rocprim17ROCPRIM_400000_NS6detail17trampoline_kernelINS0_13select_configILj256ELj13ELNS0_17block_load_methodE3ELS4_3ELS4_3ELNS0_20block_scan_algorithmE0ELj4294967295EEENS1_25partition_config_selectorILNS1_17partition_subalgoE4EjNS0_10empty_typeEbEEZZNS1_14partition_implILS8_4ELb0ES6_15HIP_vector_typeIjLj2EENS0_17counting_iteratorIjlEEPS9_SG_NS0_5tupleIJPjSI_NS0_16reverse_iteratorISI_EEEEENSH_IJSG_SG_SG_EEES9_SI_JZNS1_25segmented_radix_sort_implINS0_14default_configELb0EPK12hip_bfloat16PSP_PKlPlN2at6native12_GLOBAL__N_18offset_tEEE10hipError_tPvRmT1_PNSt15iterator_traitsIS13_E10value_typeET2_T3_PNS14_IS19_E10value_typeET4_jRbjT5_S1F_jjP12ihipStream_tbEUljE_ZNSN_ISO_Lb0ESR_SS_SU_SV_SZ_EES10_S11_S12_S13_S17_S18_S19_S1C_S1D_jS1E_jS1F_S1F_jjS1H_bEUljE0_EEES10_S11_S12_S19_S1D_S1F_T6_T7_T9_mT8_S1H_bDpT10_ENKUlT_T0_E_clISt17integral_constantIbLb1EES1U_IbLb0EEEEDaS1Q_S1R_EUlS1Q_E_NS1_11comp_targetILNS1_3genE5ELNS1_11target_archE942ELNS1_3gpuE9ELNS1_3repE0EEENS1_30default_config_static_selectorELNS0_4arch9wavefront6targetE1EEEvS13_.uses_vcc, 0
	.set _ZN7rocprim17ROCPRIM_400000_NS6detail17trampoline_kernelINS0_13select_configILj256ELj13ELNS0_17block_load_methodE3ELS4_3ELS4_3ELNS0_20block_scan_algorithmE0ELj4294967295EEENS1_25partition_config_selectorILNS1_17partition_subalgoE4EjNS0_10empty_typeEbEEZZNS1_14partition_implILS8_4ELb0ES6_15HIP_vector_typeIjLj2EENS0_17counting_iteratorIjlEEPS9_SG_NS0_5tupleIJPjSI_NS0_16reverse_iteratorISI_EEEEENSH_IJSG_SG_SG_EEES9_SI_JZNS1_25segmented_radix_sort_implINS0_14default_configELb0EPK12hip_bfloat16PSP_PKlPlN2at6native12_GLOBAL__N_18offset_tEEE10hipError_tPvRmT1_PNSt15iterator_traitsIS13_E10value_typeET2_T3_PNS14_IS19_E10value_typeET4_jRbjT5_S1F_jjP12ihipStream_tbEUljE_ZNSN_ISO_Lb0ESR_SS_SU_SV_SZ_EES10_S11_S12_S13_S17_S18_S19_S1C_S1D_jS1E_jS1F_S1F_jjS1H_bEUljE0_EEES10_S11_S12_S19_S1D_S1F_T6_T7_T9_mT8_S1H_bDpT10_ENKUlT_T0_E_clISt17integral_constantIbLb1EES1U_IbLb0EEEEDaS1Q_S1R_EUlS1Q_E_NS1_11comp_targetILNS1_3genE5ELNS1_11target_archE942ELNS1_3gpuE9ELNS1_3repE0EEENS1_30default_config_static_selectorELNS0_4arch9wavefront6targetE1EEEvS13_.uses_flat_scratch, 0
	.set _ZN7rocprim17ROCPRIM_400000_NS6detail17trampoline_kernelINS0_13select_configILj256ELj13ELNS0_17block_load_methodE3ELS4_3ELS4_3ELNS0_20block_scan_algorithmE0ELj4294967295EEENS1_25partition_config_selectorILNS1_17partition_subalgoE4EjNS0_10empty_typeEbEEZZNS1_14partition_implILS8_4ELb0ES6_15HIP_vector_typeIjLj2EENS0_17counting_iteratorIjlEEPS9_SG_NS0_5tupleIJPjSI_NS0_16reverse_iteratorISI_EEEEENSH_IJSG_SG_SG_EEES9_SI_JZNS1_25segmented_radix_sort_implINS0_14default_configELb0EPK12hip_bfloat16PSP_PKlPlN2at6native12_GLOBAL__N_18offset_tEEE10hipError_tPvRmT1_PNSt15iterator_traitsIS13_E10value_typeET2_T3_PNS14_IS19_E10value_typeET4_jRbjT5_S1F_jjP12ihipStream_tbEUljE_ZNSN_ISO_Lb0ESR_SS_SU_SV_SZ_EES10_S11_S12_S13_S17_S18_S19_S1C_S1D_jS1E_jS1F_S1F_jjS1H_bEUljE0_EEES10_S11_S12_S19_S1D_S1F_T6_T7_T9_mT8_S1H_bDpT10_ENKUlT_T0_E_clISt17integral_constantIbLb1EES1U_IbLb0EEEEDaS1Q_S1R_EUlS1Q_E_NS1_11comp_targetILNS1_3genE5ELNS1_11target_archE942ELNS1_3gpuE9ELNS1_3repE0EEENS1_30default_config_static_selectorELNS0_4arch9wavefront6targetE1EEEvS13_.has_dyn_sized_stack, 0
	.set _ZN7rocprim17ROCPRIM_400000_NS6detail17trampoline_kernelINS0_13select_configILj256ELj13ELNS0_17block_load_methodE3ELS4_3ELS4_3ELNS0_20block_scan_algorithmE0ELj4294967295EEENS1_25partition_config_selectorILNS1_17partition_subalgoE4EjNS0_10empty_typeEbEEZZNS1_14partition_implILS8_4ELb0ES6_15HIP_vector_typeIjLj2EENS0_17counting_iteratorIjlEEPS9_SG_NS0_5tupleIJPjSI_NS0_16reverse_iteratorISI_EEEEENSH_IJSG_SG_SG_EEES9_SI_JZNS1_25segmented_radix_sort_implINS0_14default_configELb0EPK12hip_bfloat16PSP_PKlPlN2at6native12_GLOBAL__N_18offset_tEEE10hipError_tPvRmT1_PNSt15iterator_traitsIS13_E10value_typeET2_T3_PNS14_IS19_E10value_typeET4_jRbjT5_S1F_jjP12ihipStream_tbEUljE_ZNSN_ISO_Lb0ESR_SS_SU_SV_SZ_EES10_S11_S12_S13_S17_S18_S19_S1C_S1D_jS1E_jS1F_S1F_jjS1H_bEUljE0_EEES10_S11_S12_S19_S1D_S1F_T6_T7_T9_mT8_S1H_bDpT10_ENKUlT_T0_E_clISt17integral_constantIbLb1EES1U_IbLb0EEEEDaS1Q_S1R_EUlS1Q_E_NS1_11comp_targetILNS1_3genE5ELNS1_11target_archE942ELNS1_3gpuE9ELNS1_3repE0EEENS1_30default_config_static_selectorELNS0_4arch9wavefront6targetE1EEEvS13_.has_recursion, 0
	.set _ZN7rocprim17ROCPRIM_400000_NS6detail17trampoline_kernelINS0_13select_configILj256ELj13ELNS0_17block_load_methodE3ELS4_3ELS4_3ELNS0_20block_scan_algorithmE0ELj4294967295EEENS1_25partition_config_selectorILNS1_17partition_subalgoE4EjNS0_10empty_typeEbEEZZNS1_14partition_implILS8_4ELb0ES6_15HIP_vector_typeIjLj2EENS0_17counting_iteratorIjlEEPS9_SG_NS0_5tupleIJPjSI_NS0_16reverse_iteratorISI_EEEEENSH_IJSG_SG_SG_EEES9_SI_JZNS1_25segmented_radix_sort_implINS0_14default_configELb0EPK12hip_bfloat16PSP_PKlPlN2at6native12_GLOBAL__N_18offset_tEEE10hipError_tPvRmT1_PNSt15iterator_traitsIS13_E10value_typeET2_T3_PNS14_IS19_E10value_typeET4_jRbjT5_S1F_jjP12ihipStream_tbEUljE_ZNSN_ISO_Lb0ESR_SS_SU_SV_SZ_EES10_S11_S12_S13_S17_S18_S19_S1C_S1D_jS1E_jS1F_S1F_jjS1H_bEUljE0_EEES10_S11_S12_S19_S1D_S1F_T6_T7_T9_mT8_S1H_bDpT10_ENKUlT_T0_E_clISt17integral_constantIbLb1EES1U_IbLb0EEEEDaS1Q_S1R_EUlS1Q_E_NS1_11comp_targetILNS1_3genE5ELNS1_11target_archE942ELNS1_3gpuE9ELNS1_3repE0EEENS1_30default_config_static_selectorELNS0_4arch9wavefront6targetE1EEEvS13_.has_indirect_call, 0
	.section	.AMDGPU.csdata,"",@progbits
; Kernel info:
; codeLenInByte = 0
; TotalNumSgprs: 4
; NumVgprs: 0
; ScratchSize: 0
; MemoryBound: 0
; FloatMode: 240
; IeeeMode: 1
; LDSByteSize: 0 bytes/workgroup (compile time only)
; SGPRBlocks: 0
; VGPRBlocks: 0
; NumSGPRsForWavesPerEU: 4
; NumVGPRsForWavesPerEU: 1
; Occupancy: 10
; WaveLimiterHint : 0
; COMPUTE_PGM_RSRC2:SCRATCH_EN: 0
; COMPUTE_PGM_RSRC2:USER_SGPR: 6
; COMPUTE_PGM_RSRC2:TRAP_HANDLER: 0
; COMPUTE_PGM_RSRC2:TGID_X_EN: 1
; COMPUTE_PGM_RSRC2:TGID_Y_EN: 0
; COMPUTE_PGM_RSRC2:TGID_Z_EN: 0
; COMPUTE_PGM_RSRC2:TIDIG_COMP_CNT: 0
	.section	.text._ZN7rocprim17ROCPRIM_400000_NS6detail17trampoline_kernelINS0_13select_configILj256ELj13ELNS0_17block_load_methodE3ELS4_3ELS4_3ELNS0_20block_scan_algorithmE0ELj4294967295EEENS1_25partition_config_selectorILNS1_17partition_subalgoE4EjNS0_10empty_typeEbEEZZNS1_14partition_implILS8_4ELb0ES6_15HIP_vector_typeIjLj2EENS0_17counting_iteratorIjlEEPS9_SG_NS0_5tupleIJPjSI_NS0_16reverse_iteratorISI_EEEEENSH_IJSG_SG_SG_EEES9_SI_JZNS1_25segmented_radix_sort_implINS0_14default_configELb0EPK12hip_bfloat16PSP_PKlPlN2at6native12_GLOBAL__N_18offset_tEEE10hipError_tPvRmT1_PNSt15iterator_traitsIS13_E10value_typeET2_T3_PNS14_IS19_E10value_typeET4_jRbjT5_S1F_jjP12ihipStream_tbEUljE_ZNSN_ISO_Lb0ESR_SS_SU_SV_SZ_EES10_S11_S12_S13_S17_S18_S19_S1C_S1D_jS1E_jS1F_S1F_jjS1H_bEUljE0_EEES10_S11_S12_S19_S1D_S1F_T6_T7_T9_mT8_S1H_bDpT10_ENKUlT_T0_E_clISt17integral_constantIbLb1EES1U_IbLb0EEEEDaS1Q_S1R_EUlS1Q_E_NS1_11comp_targetILNS1_3genE4ELNS1_11target_archE910ELNS1_3gpuE8ELNS1_3repE0EEENS1_30default_config_static_selectorELNS0_4arch9wavefront6targetE1EEEvS13_,"axG",@progbits,_ZN7rocprim17ROCPRIM_400000_NS6detail17trampoline_kernelINS0_13select_configILj256ELj13ELNS0_17block_load_methodE3ELS4_3ELS4_3ELNS0_20block_scan_algorithmE0ELj4294967295EEENS1_25partition_config_selectorILNS1_17partition_subalgoE4EjNS0_10empty_typeEbEEZZNS1_14partition_implILS8_4ELb0ES6_15HIP_vector_typeIjLj2EENS0_17counting_iteratorIjlEEPS9_SG_NS0_5tupleIJPjSI_NS0_16reverse_iteratorISI_EEEEENSH_IJSG_SG_SG_EEES9_SI_JZNS1_25segmented_radix_sort_implINS0_14default_configELb0EPK12hip_bfloat16PSP_PKlPlN2at6native12_GLOBAL__N_18offset_tEEE10hipError_tPvRmT1_PNSt15iterator_traitsIS13_E10value_typeET2_T3_PNS14_IS19_E10value_typeET4_jRbjT5_S1F_jjP12ihipStream_tbEUljE_ZNSN_ISO_Lb0ESR_SS_SU_SV_SZ_EES10_S11_S12_S13_S17_S18_S19_S1C_S1D_jS1E_jS1F_S1F_jjS1H_bEUljE0_EEES10_S11_S12_S19_S1D_S1F_T6_T7_T9_mT8_S1H_bDpT10_ENKUlT_T0_E_clISt17integral_constantIbLb1EES1U_IbLb0EEEEDaS1Q_S1R_EUlS1Q_E_NS1_11comp_targetILNS1_3genE4ELNS1_11target_archE910ELNS1_3gpuE8ELNS1_3repE0EEENS1_30default_config_static_selectorELNS0_4arch9wavefront6targetE1EEEvS13_,comdat
	.globl	_ZN7rocprim17ROCPRIM_400000_NS6detail17trampoline_kernelINS0_13select_configILj256ELj13ELNS0_17block_load_methodE3ELS4_3ELS4_3ELNS0_20block_scan_algorithmE0ELj4294967295EEENS1_25partition_config_selectorILNS1_17partition_subalgoE4EjNS0_10empty_typeEbEEZZNS1_14partition_implILS8_4ELb0ES6_15HIP_vector_typeIjLj2EENS0_17counting_iteratorIjlEEPS9_SG_NS0_5tupleIJPjSI_NS0_16reverse_iteratorISI_EEEEENSH_IJSG_SG_SG_EEES9_SI_JZNS1_25segmented_radix_sort_implINS0_14default_configELb0EPK12hip_bfloat16PSP_PKlPlN2at6native12_GLOBAL__N_18offset_tEEE10hipError_tPvRmT1_PNSt15iterator_traitsIS13_E10value_typeET2_T3_PNS14_IS19_E10value_typeET4_jRbjT5_S1F_jjP12ihipStream_tbEUljE_ZNSN_ISO_Lb0ESR_SS_SU_SV_SZ_EES10_S11_S12_S13_S17_S18_S19_S1C_S1D_jS1E_jS1F_S1F_jjS1H_bEUljE0_EEES10_S11_S12_S19_S1D_S1F_T6_T7_T9_mT8_S1H_bDpT10_ENKUlT_T0_E_clISt17integral_constantIbLb1EES1U_IbLb0EEEEDaS1Q_S1R_EUlS1Q_E_NS1_11comp_targetILNS1_3genE4ELNS1_11target_archE910ELNS1_3gpuE8ELNS1_3repE0EEENS1_30default_config_static_selectorELNS0_4arch9wavefront6targetE1EEEvS13_ ; -- Begin function _ZN7rocprim17ROCPRIM_400000_NS6detail17trampoline_kernelINS0_13select_configILj256ELj13ELNS0_17block_load_methodE3ELS4_3ELS4_3ELNS0_20block_scan_algorithmE0ELj4294967295EEENS1_25partition_config_selectorILNS1_17partition_subalgoE4EjNS0_10empty_typeEbEEZZNS1_14partition_implILS8_4ELb0ES6_15HIP_vector_typeIjLj2EENS0_17counting_iteratorIjlEEPS9_SG_NS0_5tupleIJPjSI_NS0_16reverse_iteratorISI_EEEEENSH_IJSG_SG_SG_EEES9_SI_JZNS1_25segmented_radix_sort_implINS0_14default_configELb0EPK12hip_bfloat16PSP_PKlPlN2at6native12_GLOBAL__N_18offset_tEEE10hipError_tPvRmT1_PNSt15iterator_traitsIS13_E10value_typeET2_T3_PNS14_IS19_E10value_typeET4_jRbjT5_S1F_jjP12ihipStream_tbEUljE_ZNSN_ISO_Lb0ESR_SS_SU_SV_SZ_EES10_S11_S12_S13_S17_S18_S19_S1C_S1D_jS1E_jS1F_S1F_jjS1H_bEUljE0_EEES10_S11_S12_S19_S1D_S1F_T6_T7_T9_mT8_S1H_bDpT10_ENKUlT_T0_E_clISt17integral_constantIbLb1EES1U_IbLb0EEEEDaS1Q_S1R_EUlS1Q_E_NS1_11comp_targetILNS1_3genE4ELNS1_11target_archE910ELNS1_3gpuE8ELNS1_3repE0EEENS1_30default_config_static_selectorELNS0_4arch9wavefront6targetE1EEEvS13_
	.p2align	8
	.type	_ZN7rocprim17ROCPRIM_400000_NS6detail17trampoline_kernelINS0_13select_configILj256ELj13ELNS0_17block_load_methodE3ELS4_3ELS4_3ELNS0_20block_scan_algorithmE0ELj4294967295EEENS1_25partition_config_selectorILNS1_17partition_subalgoE4EjNS0_10empty_typeEbEEZZNS1_14partition_implILS8_4ELb0ES6_15HIP_vector_typeIjLj2EENS0_17counting_iteratorIjlEEPS9_SG_NS0_5tupleIJPjSI_NS0_16reverse_iteratorISI_EEEEENSH_IJSG_SG_SG_EEES9_SI_JZNS1_25segmented_radix_sort_implINS0_14default_configELb0EPK12hip_bfloat16PSP_PKlPlN2at6native12_GLOBAL__N_18offset_tEEE10hipError_tPvRmT1_PNSt15iterator_traitsIS13_E10value_typeET2_T3_PNS14_IS19_E10value_typeET4_jRbjT5_S1F_jjP12ihipStream_tbEUljE_ZNSN_ISO_Lb0ESR_SS_SU_SV_SZ_EES10_S11_S12_S13_S17_S18_S19_S1C_S1D_jS1E_jS1F_S1F_jjS1H_bEUljE0_EEES10_S11_S12_S19_S1D_S1F_T6_T7_T9_mT8_S1H_bDpT10_ENKUlT_T0_E_clISt17integral_constantIbLb1EES1U_IbLb0EEEEDaS1Q_S1R_EUlS1Q_E_NS1_11comp_targetILNS1_3genE4ELNS1_11target_archE910ELNS1_3gpuE8ELNS1_3repE0EEENS1_30default_config_static_selectorELNS0_4arch9wavefront6targetE1EEEvS13_,@function
_ZN7rocprim17ROCPRIM_400000_NS6detail17trampoline_kernelINS0_13select_configILj256ELj13ELNS0_17block_load_methodE3ELS4_3ELS4_3ELNS0_20block_scan_algorithmE0ELj4294967295EEENS1_25partition_config_selectorILNS1_17partition_subalgoE4EjNS0_10empty_typeEbEEZZNS1_14partition_implILS8_4ELb0ES6_15HIP_vector_typeIjLj2EENS0_17counting_iteratorIjlEEPS9_SG_NS0_5tupleIJPjSI_NS0_16reverse_iteratorISI_EEEEENSH_IJSG_SG_SG_EEES9_SI_JZNS1_25segmented_radix_sort_implINS0_14default_configELb0EPK12hip_bfloat16PSP_PKlPlN2at6native12_GLOBAL__N_18offset_tEEE10hipError_tPvRmT1_PNSt15iterator_traitsIS13_E10value_typeET2_T3_PNS14_IS19_E10value_typeET4_jRbjT5_S1F_jjP12ihipStream_tbEUljE_ZNSN_ISO_Lb0ESR_SS_SU_SV_SZ_EES10_S11_S12_S13_S17_S18_S19_S1C_S1D_jS1E_jS1F_S1F_jjS1H_bEUljE0_EEES10_S11_S12_S19_S1D_S1F_T6_T7_T9_mT8_S1H_bDpT10_ENKUlT_T0_E_clISt17integral_constantIbLb1EES1U_IbLb0EEEEDaS1Q_S1R_EUlS1Q_E_NS1_11comp_targetILNS1_3genE4ELNS1_11target_archE910ELNS1_3gpuE8ELNS1_3repE0EEENS1_30default_config_static_selectorELNS0_4arch9wavefront6targetE1EEEvS13_: ; @_ZN7rocprim17ROCPRIM_400000_NS6detail17trampoline_kernelINS0_13select_configILj256ELj13ELNS0_17block_load_methodE3ELS4_3ELS4_3ELNS0_20block_scan_algorithmE0ELj4294967295EEENS1_25partition_config_selectorILNS1_17partition_subalgoE4EjNS0_10empty_typeEbEEZZNS1_14partition_implILS8_4ELb0ES6_15HIP_vector_typeIjLj2EENS0_17counting_iteratorIjlEEPS9_SG_NS0_5tupleIJPjSI_NS0_16reverse_iteratorISI_EEEEENSH_IJSG_SG_SG_EEES9_SI_JZNS1_25segmented_radix_sort_implINS0_14default_configELb0EPK12hip_bfloat16PSP_PKlPlN2at6native12_GLOBAL__N_18offset_tEEE10hipError_tPvRmT1_PNSt15iterator_traitsIS13_E10value_typeET2_T3_PNS14_IS19_E10value_typeET4_jRbjT5_S1F_jjP12ihipStream_tbEUljE_ZNSN_ISO_Lb0ESR_SS_SU_SV_SZ_EES10_S11_S12_S13_S17_S18_S19_S1C_S1D_jS1E_jS1F_S1F_jjS1H_bEUljE0_EEES10_S11_S12_S19_S1D_S1F_T6_T7_T9_mT8_S1H_bDpT10_ENKUlT_T0_E_clISt17integral_constantIbLb1EES1U_IbLb0EEEEDaS1Q_S1R_EUlS1Q_E_NS1_11comp_targetILNS1_3genE4ELNS1_11target_archE910ELNS1_3gpuE8ELNS1_3repE0EEENS1_30default_config_static_selectorELNS0_4arch9wavefront6targetE1EEEvS13_
; %bb.0:
	.section	.rodata,"a",@progbits
	.p2align	6, 0x0
	.amdhsa_kernel _ZN7rocprim17ROCPRIM_400000_NS6detail17trampoline_kernelINS0_13select_configILj256ELj13ELNS0_17block_load_methodE3ELS4_3ELS4_3ELNS0_20block_scan_algorithmE0ELj4294967295EEENS1_25partition_config_selectorILNS1_17partition_subalgoE4EjNS0_10empty_typeEbEEZZNS1_14partition_implILS8_4ELb0ES6_15HIP_vector_typeIjLj2EENS0_17counting_iteratorIjlEEPS9_SG_NS0_5tupleIJPjSI_NS0_16reverse_iteratorISI_EEEEENSH_IJSG_SG_SG_EEES9_SI_JZNS1_25segmented_radix_sort_implINS0_14default_configELb0EPK12hip_bfloat16PSP_PKlPlN2at6native12_GLOBAL__N_18offset_tEEE10hipError_tPvRmT1_PNSt15iterator_traitsIS13_E10value_typeET2_T3_PNS14_IS19_E10value_typeET4_jRbjT5_S1F_jjP12ihipStream_tbEUljE_ZNSN_ISO_Lb0ESR_SS_SU_SV_SZ_EES10_S11_S12_S13_S17_S18_S19_S1C_S1D_jS1E_jS1F_S1F_jjS1H_bEUljE0_EEES10_S11_S12_S19_S1D_S1F_T6_T7_T9_mT8_S1H_bDpT10_ENKUlT_T0_E_clISt17integral_constantIbLb1EES1U_IbLb0EEEEDaS1Q_S1R_EUlS1Q_E_NS1_11comp_targetILNS1_3genE4ELNS1_11target_archE910ELNS1_3gpuE8ELNS1_3repE0EEENS1_30default_config_static_selectorELNS0_4arch9wavefront6targetE1EEEvS13_
		.amdhsa_group_segment_fixed_size 0
		.amdhsa_private_segment_fixed_size 0
		.amdhsa_kernarg_size 176
		.amdhsa_user_sgpr_count 6
		.amdhsa_user_sgpr_private_segment_buffer 1
		.amdhsa_user_sgpr_dispatch_ptr 0
		.amdhsa_user_sgpr_queue_ptr 0
		.amdhsa_user_sgpr_kernarg_segment_ptr 1
		.amdhsa_user_sgpr_dispatch_id 0
		.amdhsa_user_sgpr_flat_scratch_init 0
		.amdhsa_user_sgpr_private_segment_size 0
		.amdhsa_uses_dynamic_stack 0
		.amdhsa_system_sgpr_private_segment_wavefront_offset 0
		.amdhsa_system_sgpr_workgroup_id_x 1
		.amdhsa_system_sgpr_workgroup_id_y 0
		.amdhsa_system_sgpr_workgroup_id_z 0
		.amdhsa_system_sgpr_workgroup_info 0
		.amdhsa_system_vgpr_workitem_id 0
		.amdhsa_next_free_vgpr 1
		.amdhsa_next_free_sgpr 0
		.amdhsa_reserve_vcc 0
		.amdhsa_reserve_flat_scratch 0
		.amdhsa_float_round_mode_32 0
		.amdhsa_float_round_mode_16_64 0
		.amdhsa_float_denorm_mode_32 3
		.amdhsa_float_denorm_mode_16_64 3
		.amdhsa_dx10_clamp 1
		.amdhsa_ieee_mode 1
		.amdhsa_fp16_overflow 0
		.amdhsa_exception_fp_ieee_invalid_op 0
		.amdhsa_exception_fp_denorm_src 0
		.amdhsa_exception_fp_ieee_div_zero 0
		.amdhsa_exception_fp_ieee_overflow 0
		.amdhsa_exception_fp_ieee_underflow 0
		.amdhsa_exception_fp_ieee_inexact 0
		.amdhsa_exception_int_div_zero 0
	.end_amdhsa_kernel
	.section	.text._ZN7rocprim17ROCPRIM_400000_NS6detail17trampoline_kernelINS0_13select_configILj256ELj13ELNS0_17block_load_methodE3ELS4_3ELS4_3ELNS0_20block_scan_algorithmE0ELj4294967295EEENS1_25partition_config_selectorILNS1_17partition_subalgoE4EjNS0_10empty_typeEbEEZZNS1_14partition_implILS8_4ELb0ES6_15HIP_vector_typeIjLj2EENS0_17counting_iteratorIjlEEPS9_SG_NS0_5tupleIJPjSI_NS0_16reverse_iteratorISI_EEEEENSH_IJSG_SG_SG_EEES9_SI_JZNS1_25segmented_radix_sort_implINS0_14default_configELb0EPK12hip_bfloat16PSP_PKlPlN2at6native12_GLOBAL__N_18offset_tEEE10hipError_tPvRmT1_PNSt15iterator_traitsIS13_E10value_typeET2_T3_PNS14_IS19_E10value_typeET4_jRbjT5_S1F_jjP12ihipStream_tbEUljE_ZNSN_ISO_Lb0ESR_SS_SU_SV_SZ_EES10_S11_S12_S13_S17_S18_S19_S1C_S1D_jS1E_jS1F_S1F_jjS1H_bEUljE0_EEES10_S11_S12_S19_S1D_S1F_T6_T7_T9_mT8_S1H_bDpT10_ENKUlT_T0_E_clISt17integral_constantIbLb1EES1U_IbLb0EEEEDaS1Q_S1R_EUlS1Q_E_NS1_11comp_targetILNS1_3genE4ELNS1_11target_archE910ELNS1_3gpuE8ELNS1_3repE0EEENS1_30default_config_static_selectorELNS0_4arch9wavefront6targetE1EEEvS13_,"axG",@progbits,_ZN7rocprim17ROCPRIM_400000_NS6detail17trampoline_kernelINS0_13select_configILj256ELj13ELNS0_17block_load_methodE3ELS4_3ELS4_3ELNS0_20block_scan_algorithmE0ELj4294967295EEENS1_25partition_config_selectorILNS1_17partition_subalgoE4EjNS0_10empty_typeEbEEZZNS1_14partition_implILS8_4ELb0ES6_15HIP_vector_typeIjLj2EENS0_17counting_iteratorIjlEEPS9_SG_NS0_5tupleIJPjSI_NS0_16reverse_iteratorISI_EEEEENSH_IJSG_SG_SG_EEES9_SI_JZNS1_25segmented_radix_sort_implINS0_14default_configELb0EPK12hip_bfloat16PSP_PKlPlN2at6native12_GLOBAL__N_18offset_tEEE10hipError_tPvRmT1_PNSt15iterator_traitsIS13_E10value_typeET2_T3_PNS14_IS19_E10value_typeET4_jRbjT5_S1F_jjP12ihipStream_tbEUljE_ZNSN_ISO_Lb0ESR_SS_SU_SV_SZ_EES10_S11_S12_S13_S17_S18_S19_S1C_S1D_jS1E_jS1F_S1F_jjS1H_bEUljE0_EEES10_S11_S12_S19_S1D_S1F_T6_T7_T9_mT8_S1H_bDpT10_ENKUlT_T0_E_clISt17integral_constantIbLb1EES1U_IbLb0EEEEDaS1Q_S1R_EUlS1Q_E_NS1_11comp_targetILNS1_3genE4ELNS1_11target_archE910ELNS1_3gpuE8ELNS1_3repE0EEENS1_30default_config_static_selectorELNS0_4arch9wavefront6targetE1EEEvS13_,comdat
.Lfunc_end2003:
	.size	_ZN7rocprim17ROCPRIM_400000_NS6detail17trampoline_kernelINS0_13select_configILj256ELj13ELNS0_17block_load_methodE3ELS4_3ELS4_3ELNS0_20block_scan_algorithmE0ELj4294967295EEENS1_25partition_config_selectorILNS1_17partition_subalgoE4EjNS0_10empty_typeEbEEZZNS1_14partition_implILS8_4ELb0ES6_15HIP_vector_typeIjLj2EENS0_17counting_iteratorIjlEEPS9_SG_NS0_5tupleIJPjSI_NS0_16reverse_iteratorISI_EEEEENSH_IJSG_SG_SG_EEES9_SI_JZNS1_25segmented_radix_sort_implINS0_14default_configELb0EPK12hip_bfloat16PSP_PKlPlN2at6native12_GLOBAL__N_18offset_tEEE10hipError_tPvRmT1_PNSt15iterator_traitsIS13_E10value_typeET2_T3_PNS14_IS19_E10value_typeET4_jRbjT5_S1F_jjP12ihipStream_tbEUljE_ZNSN_ISO_Lb0ESR_SS_SU_SV_SZ_EES10_S11_S12_S13_S17_S18_S19_S1C_S1D_jS1E_jS1F_S1F_jjS1H_bEUljE0_EEES10_S11_S12_S19_S1D_S1F_T6_T7_T9_mT8_S1H_bDpT10_ENKUlT_T0_E_clISt17integral_constantIbLb1EES1U_IbLb0EEEEDaS1Q_S1R_EUlS1Q_E_NS1_11comp_targetILNS1_3genE4ELNS1_11target_archE910ELNS1_3gpuE8ELNS1_3repE0EEENS1_30default_config_static_selectorELNS0_4arch9wavefront6targetE1EEEvS13_, .Lfunc_end2003-_ZN7rocprim17ROCPRIM_400000_NS6detail17trampoline_kernelINS0_13select_configILj256ELj13ELNS0_17block_load_methodE3ELS4_3ELS4_3ELNS0_20block_scan_algorithmE0ELj4294967295EEENS1_25partition_config_selectorILNS1_17partition_subalgoE4EjNS0_10empty_typeEbEEZZNS1_14partition_implILS8_4ELb0ES6_15HIP_vector_typeIjLj2EENS0_17counting_iteratorIjlEEPS9_SG_NS0_5tupleIJPjSI_NS0_16reverse_iteratorISI_EEEEENSH_IJSG_SG_SG_EEES9_SI_JZNS1_25segmented_radix_sort_implINS0_14default_configELb0EPK12hip_bfloat16PSP_PKlPlN2at6native12_GLOBAL__N_18offset_tEEE10hipError_tPvRmT1_PNSt15iterator_traitsIS13_E10value_typeET2_T3_PNS14_IS19_E10value_typeET4_jRbjT5_S1F_jjP12ihipStream_tbEUljE_ZNSN_ISO_Lb0ESR_SS_SU_SV_SZ_EES10_S11_S12_S13_S17_S18_S19_S1C_S1D_jS1E_jS1F_S1F_jjS1H_bEUljE0_EEES10_S11_S12_S19_S1D_S1F_T6_T7_T9_mT8_S1H_bDpT10_ENKUlT_T0_E_clISt17integral_constantIbLb1EES1U_IbLb0EEEEDaS1Q_S1R_EUlS1Q_E_NS1_11comp_targetILNS1_3genE4ELNS1_11target_archE910ELNS1_3gpuE8ELNS1_3repE0EEENS1_30default_config_static_selectorELNS0_4arch9wavefront6targetE1EEEvS13_
                                        ; -- End function
	.set _ZN7rocprim17ROCPRIM_400000_NS6detail17trampoline_kernelINS0_13select_configILj256ELj13ELNS0_17block_load_methodE3ELS4_3ELS4_3ELNS0_20block_scan_algorithmE0ELj4294967295EEENS1_25partition_config_selectorILNS1_17partition_subalgoE4EjNS0_10empty_typeEbEEZZNS1_14partition_implILS8_4ELb0ES6_15HIP_vector_typeIjLj2EENS0_17counting_iteratorIjlEEPS9_SG_NS0_5tupleIJPjSI_NS0_16reverse_iteratorISI_EEEEENSH_IJSG_SG_SG_EEES9_SI_JZNS1_25segmented_radix_sort_implINS0_14default_configELb0EPK12hip_bfloat16PSP_PKlPlN2at6native12_GLOBAL__N_18offset_tEEE10hipError_tPvRmT1_PNSt15iterator_traitsIS13_E10value_typeET2_T3_PNS14_IS19_E10value_typeET4_jRbjT5_S1F_jjP12ihipStream_tbEUljE_ZNSN_ISO_Lb0ESR_SS_SU_SV_SZ_EES10_S11_S12_S13_S17_S18_S19_S1C_S1D_jS1E_jS1F_S1F_jjS1H_bEUljE0_EEES10_S11_S12_S19_S1D_S1F_T6_T7_T9_mT8_S1H_bDpT10_ENKUlT_T0_E_clISt17integral_constantIbLb1EES1U_IbLb0EEEEDaS1Q_S1R_EUlS1Q_E_NS1_11comp_targetILNS1_3genE4ELNS1_11target_archE910ELNS1_3gpuE8ELNS1_3repE0EEENS1_30default_config_static_selectorELNS0_4arch9wavefront6targetE1EEEvS13_.num_vgpr, 0
	.set _ZN7rocprim17ROCPRIM_400000_NS6detail17trampoline_kernelINS0_13select_configILj256ELj13ELNS0_17block_load_methodE3ELS4_3ELS4_3ELNS0_20block_scan_algorithmE0ELj4294967295EEENS1_25partition_config_selectorILNS1_17partition_subalgoE4EjNS0_10empty_typeEbEEZZNS1_14partition_implILS8_4ELb0ES6_15HIP_vector_typeIjLj2EENS0_17counting_iteratorIjlEEPS9_SG_NS0_5tupleIJPjSI_NS0_16reverse_iteratorISI_EEEEENSH_IJSG_SG_SG_EEES9_SI_JZNS1_25segmented_radix_sort_implINS0_14default_configELb0EPK12hip_bfloat16PSP_PKlPlN2at6native12_GLOBAL__N_18offset_tEEE10hipError_tPvRmT1_PNSt15iterator_traitsIS13_E10value_typeET2_T3_PNS14_IS19_E10value_typeET4_jRbjT5_S1F_jjP12ihipStream_tbEUljE_ZNSN_ISO_Lb0ESR_SS_SU_SV_SZ_EES10_S11_S12_S13_S17_S18_S19_S1C_S1D_jS1E_jS1F_S1F_jjS1H_bEUljE0_EEES10_S11_S12_S19_S1D_S1F_T6_T7_T9_mT8_S1H_bDpT10_ENKUlT_T0_E_clISt17integral_constantIbLb1EES1U_IbLb0EEEEDaS1Q_S1R_EUlS1Q_E_NS1_11comp_targetILNS1_3genE4ELNS1_11target_archE910ELNS1_3gpuE8ELNS1_3repE0EEENS1_30default_config_static_selectorELNS0_4arch9wavefront6targetE1EEEvS13_.num_agpr, 0
	.set _ZN7rocprim17ROCPRIM_400000_NS6detail17trampoline_kernelINS0_13select_configILj256ELj13ELNS0_17block_load_methodE3ELS4_3ELS4_3ELNS0_20block_scan_algorithmE0ELj4294967295EEENS1_25partition_config_selectorILNS1_17partition_subalgoE4EjNS0_10empty_typeEbEEZZNS1_14partition_implILS8_4ELb0ES6_15HIP_vector_typeIjLj2EENS0_17counting_iteratorIjlEEPS9_SG_NS0_5tupleIJPjSI_NS0_16reverse_iteratorISI_EEEEENSH_IJSG_SG_SG_EEES9_SI_JZNS1_25segmented_radix_sort_implINS0_14default_configELb0EPK12hip_bfloat16PSP_PKlPlN2at6native12_GLOBAL__N_18offset_tEEE10hipError_tPvRmT1_PNSt15iterator_traitsIS13_E10value_typeET2_T3_PNS14_IS19_E10value_typeET4_jRbjT5_S1F_jjP12ihipStream_tbEUljE_ZNSN_ISO_Lb0ESR_SS_SU_SV_SZ_EES10_S11_S12_S13_S17_S18_S19_S1C_S1D_jS1E_jS1F_S1F_jjS1H_bEUljE0_EEES10_S11_S12_S19_S1D_S1F_T6_T7_T9_mT8_S1H_bDpT10_ENKUlT_T0_E_clISt17integral_constantIbLb1EES1U_IbLb0EEEEDaS1Q_S1R_EUlS1Q_E_NS1_11comp_targetILNS1_3genE4ELNS1_11target_archE910ELNS1_3gpuE8ELNS1_3repE0EEENS1_30default_config_static_selectorELNS0_4arch9wavefront6targetE1EEEvS13_.numbered_sgpr, 0
	.set _ZN7rocprim17ROCPRIM_400000_NS6detail17trampoline_kernelINS0_13select_configILj256ELj13ELNS0_17block_load_methodE3ELS4_3ELS4_3ELNS0_20block_scan_algorithmE0ELj4294967295EEENS1_25partition_config_selectorILNS1_17partition_subalgoE4EjNS0_10empty_typeEbEEZZNS1_14partition_implILS8_4ELb0ES6_15HIP_vector_typeIjLj2EENS0_17counting_iteratorIjlEEPS9_SG_NS0_5tupleIJPjSI_NS0_16reverse_iteratorISI_EEEEENSH_IJSG_SG_SG_EEES9_SI_JZNS1_25segmented_radix_sort_implINS0_14default_configELb0EPK12hip_bfloat16PSP_PKlPlN2at6native12_GLOBAL__N_18offset_tEEE10hipError_tPvRmT1_PNSt15iterator_traitsIS13_E10value_typeET2_T3_PNS14_IS19_E10value_typeET4_jRbjT5_S1F_jjP12ihipStream_tbEUljE_ZNSN_ISO_Lb0ESR_SS_SU_SV_SZ_EES10_S11_S12_S13_S17_S18_S19_S1C_S1D_jS1E_jS1F_S1F_jjS1H_bEUljE0_EEES10_S11_S12_S19_S1D_S1F_T6_T7_T9_mT8_S1H_bDpT10_ENKUlT_T0_E_clISt17integral_constantIbLb1EES1U_IbLb0EEEEDaS1Q_S1R_EUlS1Q_E_NS1_11comp_targetILNS1_3genE4ELNS1_11target_archE910ELNS1_3gpuE8ELNS1_3repE0EEENS1_30default_config_static_selectorELNS0_4arch9wavefront6targetE1EEEvS13_.num_named_barrier, 0
	.set _ZN7rocprim17ROCPRIM_400000_NS6detail17trampoline_kernelINS0_13select_configILj256ELj13ELNS0_17block_load_methodE3ELS4_3ELS4_3ELNS0_20block_scan_algorithmE0ELj4294967295EEENS1_25partition_config_selectorILNS1_17partition_subalgoE4EjNS0_10empty_typeEbEEZZNS1_14partition_implILS8_4ELb0ES6_15HIP_vector_typeIjLj2EENS0_17counting_iteratorIjlEEPS9_SG_NS0_5tupleIJPjSI_NS0_16reverse_iteratorISI_EEEEENSH_IJSG_SG_SG_EEES9_SI_JZNS1_25segmented_radix_sort_implINS0_14default_configELb0EPK12hip_bfloat16PSP_PKlPlN2at6native12_GLOBAL__N_18offset_tEEE10hipError_tPvRmT1_PNSt15iterator_traitsIS13_E10value_typeET2_T3_PNS14_IS19_E10value_typeET4_jRbjT5_S1F_jjP12ihipStream_tbEUljE_ZNSN_ISO_Lb0ESR_SS_SU_SV_SZ_EES10_S11_S12_S13_S17_S18_S19_S1C_S1D_jS1E_jS1F_S1F_jjS1H_bEUljE0_EEES10_S11_S12_S19_S1D_S1F_T6_T7_T9_mT8_S1H_bDpT10_ENKUlT_T0_E_clISt17integral_constantIbLb1EES1U_IbLb0EEEEDaS1Q_S1R_EUlS1Q_E_NS1_11comp_targetILNS1_3genE4ELNS1_11target_archE910ELNS1_3gpuE8ELNS1_3repE0EEENS1_30default_config_static_selectorELNS0_4arch9wavefront6targetE1EEEvS13_.private_seg_size, 0
	.set _ZN7rocprim17ROCPRIM_400000_NS6detail17trampoline_kernelINS0_13select_configILj256ELj13ELNS0_17block_load_methodE3ELS4_3ELS4_3ELNS0_20block_scan_algorithmE0ELj4294967295EEENS1_25partition_config_selectorILNS1_17partition_subalgoE4EjNS0_10empty_typeEbEEZZNS1_14partition_implILS8_4ELb0ES6_15HIP_vector_typeIjLj2EENS0_17counting_iteratorIjlEEPS9_SG_NS0_5tupleIJPjSI_NS0_16reverse_iteratorISI_EEEEENSH_IJSG_SG_SG_EEES9_SI_JZNS1_25segmented_radix_sort_implINS0_14default_configELb0EPK12hip_bfloat16PSP_PKlPlN2at6native12_GLOBAL__N_18offset_tEEE10hipError_tPvRmT1_PNSt15iterator_traitsIS13_E10value_typeET2_T3_PNS14_IS19_E10value_typeET4_jRbjT5_S1F_jjP12ihipStream_tbEUljE_ZNSN_ISO_Lb0ESR_SS_SU_SV_SZ_EES10_S11_S12_S13_S17_S18_S19_S1C_S1D_jS1E_jS1F_S1F_jjS1H_bEUljE0_EEES10_S11_S12_S19_S1D_S1F_T6_T7_T9_mT8_S1H_bDpT10_ENKUlT_T0_E_clISt17integral_constantIbLb1EES1U_IbLb0EEEEDaS1Q_S1R_EUlS1Q_E_NS1_11comp_targetILNS1_3genE4ELNS1_11target_archE910ELNS1_3gpuE8ELNS1_3repE0EEENS1_30default_config_static_selectorELNS0_4arch9wavefront6targetE1EEEvS13_.uses_vcc, 0
	.set _ZN7rocprim17ROCPRIM_400000_NS6detail17trampoline_kernelINS0_13select_configILj256ELj13ELNS0_17block_load_methodE3ELS4_3ELS4_3ELNS0_20block_scan_algorithmE0ELj4294967295EEENS1_25partition_config_selectorILNS1_17partition_subalgoE4EjNS0_10empty_typeEbEEZZNS1_14partition_implILS8_4ELb0ES6_15HIP_vector_typeIjLj2EENS0_17counting_iteratorIjlEEPS9_SG_NS0_5tupleIJPjSI_NS0_16reverse_iteratorISI_EEEEENSH_IJSG_SG_SG_EEES9_SI_JZNS1_25segmented_radix_sort_implINS0_14default_configELb0EPK12hip_bfloat16PSP_PKlPlN2at6native12_GLOBAL__N_18offset_tEEE10hipError_tPvRmT1_PNSt15iterator_traitsIS13_E10value_typeET2_T3_PNS14_IS19_E10value_typeET4_jRbjT5_S1F_jjP12ihipStream_tbEUljE_ZNSN_ISO_Lb0ESR_SS_SU_SV_SZ_EES10_S11_S12_S13_S17_S18_S19_S1C_S1D_jS1E_jS1F_S1F_jjS1H_bEUljE0_EEES10_S11_S12_S19_S1D_S1F_T6_T7_T9_mT8_S1H_bDpT10_ENKUlT_T0_E_clISt17integral_constantIbLb1EES1U_IbLb0EEEEDaS1Q_S1R_EUlS1Q_E_NS1_11comp_targetILNS1_3genE4ELNS1_11target_archE910ELNS1_3gpuE8ELNS1_3repE0EEENS1_30default_config_static_selectorELNS0_4arch9wavefront6targetE1EEEvS13_.uses_flat_scratch, 0
	.set _ZN7rocprim17ROCPRIM_400000_NS6detail17trampoline_kernelINS0_13select_configILj256ELj13ELNS0_17block_load_methodE3ELS4_3ELS4_3ELNS0_20block_scan_algorithmE0ELj4294967295EEENS1_25partition_config_selectorILNS1_17partition_subalgoE4EjNS0_10empty_typeEbEEZZNS1_14partition_implILS8_4ELb0ES6_15HIP_vector_typeIjLj2EENS0_17counting_iteratorIjlEEPS9_SG_NS0_5tupleIJPjSI_NS0_16reverse_iteratorISI_EEEEENSH_IJSG_SG_SG_EEES9_SI_JZNS1_25segmented_radix_sort_implINS0_14default_configELb0EPK12hip_bfloat16PSP_PKlPlN2at6native12_GLOBAL__N_18offset_tEEE10hipError_tPvRmT1_PNSt15iterator_traitsIS13_E10value_typeET2_T3_PNS14_IS19_E10value_typeET4_jRbjT5_S1F_jjP12ihipStream_tbEUljE_ZNSN_ISO_Lb0ESR_SS_SU_SV_SZ_EES10_S11_S12_S13_S17_S18_S19_S1C_S1D_jS1E_jS1F_S1F_jjS1H_bEUljE0_EEES10_S11_S12_S19_S1D_S1F_T6_T7_T9_mT8_S1H_bDpT10_ENKUlT_T0_E_clISt17integral_constantIbLb1EES1U_IbLb0EEEEDaS1Q_S1R_EUlS1Q_E_NS1_11comp_targetILNS1_3genE4ELNS1_11target_archE910ELNS1_3gpuE8ELNS1_3repE0EEENS1_30default_config_static_selectorELNS0_4arch9wavefront6targetE1EEEvS13_.has_dyn_sized_stack, 0
	.set _ZN7rocprim17ROCPRIM_400000_NS6detail17trampoline_kernelINS0_13select_configILj256ELj13ELNS0_17block_load_methodE3ELS4_3ELS4_3ELNS0_20block_scan_algorithmE0ELj4294967295EEENS1_25partition_config_selectorILNS1_17partition_subalgoE4EjNS0_10empty_typeEbEEZZNS1_14partition_implILS8_4ELb0ES6_15HIP_vector_typeIjLj2EENS0_17counting_iteratorIjlEEPS9_SG_NS0_5tupleIJPjSI_NS0_16reverse_iteratorISI_EEEEENSH_IJSG_SG_SG_EEES9_SI_JZNS1_25segmented_radix_sort_implINS0_14default_configELb0EPK12hip_bfloat16PSP_PKlPlN2at6native12_GLOBAL__N_18offset_tEEE10hipError_tPvRmT1_PNSt15iterator_traitsIS13_E10value_typeET2_T3_PNS14_IS19_E10value_typeET4_jRbjT5_S1F_jjP12ihipStream_tbEUljE_ZNSN_ISO_Lb0ESR_SS_SU_SV_SZ_EES10_S11_S12_S13_S17_S18_S19_S1C_S1D_jS1E_jS1F_S1F_jjS1H_bEUljE0_EEES10_S11_S12_S19_S1D_S1F_T6_T7_T9_mT8_S1H_bDpT10_ENKUlT_T0_E_clISt17integral_constantIbLb1EES1U_IbLb0EEEEDaS1Q_S1R_EUlS1Q_E_NS1_11comp_targetILNS1_3genE4ELNS1_11target_archE910ELNS1_3gpuE8ELNS1_3repE0EEENS1_30default_config_static_selectorELNS0_4arch9wavefront6targetE1EEEvS13_.has_recursion, 0
	.set _ZN7rocprim17ROCPRIM_400000_NS6detail17trampoline_kernelINS0_13select_configILj256ELj13ELNS0_17block_load_methodE3ELS4_3ELS4_3ELNS0_20block_scan_algorithmE0ELj4294967295EEENS1_25partition_config_selectorILNS1_17partition_subalgoE4EjNS0_10empty_typeEbEEZZNS1_14partition_implILS8_4ELb0ES6_15HIP_vector_typeIjLj2EENS0_17counting_iteratorIjlEEPS9_SG_NS0_5tupleIJPjSI_NS0_16reverse_iteratorISI_EEEEENSH_IJSG_SG_SG_EEES9_SI_JZNS1_25segmented_radix_sort_implINS0_14default_configELb0EPK12hip_bfloat16PSP_PKlPlN2at6native12_GLOBAL__N_18offset_tEEE10hipError_tPvRmT1_PNSt15iterator_traitsIS13_E10value_typeET2_T3_PNS14_IS19_E10value_typeET4_jRbjT5_S1F_jjP12ihipStream_tbEUljE_ZNSN_ISO_Lb0ESR_SS_SU_SV_SZ_EES10_S11_S12_S13_S17_S18_S19_S1C_S1D_jS1E_jS1F_S1F_jjS1H_bEUljE0_EEES10_S11_S12_S19_S1D_S1F_T6_T7_T9_mT8_S1H_bDpT10_ENKUlT_T0_E_clISt17integral_constantIbLb1EES1U_IbLb0EEEEDaS1Q_S1R_EUlS1Q_E_NS1_11comp_targetILNS1_3genE4ELNS1_11target_archE910ELNS1_3gpuE8ELNS1_3repE0EEENS1_30default_config_static_selectorELNS0_4arch9wavefront6targetE1EEEvS13_.has_indirect_call, 0
	.section	.AMDGPU.csdata,"",@progbits
; Kernel info:
; codeLenInByte = 0
; TotalNumSgprs: 4
; NumVgprs: 0
; ScratchSize: 0
; MemoryBound: 0
; FloatMode: 240
; IeeeMode: 1
; LDSByteSize: 0 bytes/workgroup (compile time only)
; SGPRBlocks: 0
; VGPRBlocks: 0
; NumSGPRsForWavesPerEU: 4
; NumVGPRsForWavesPerEU: 1
; Occupancy: 10
; WaveLimiterHint : 0
; COMPUTE_PGM_RSRC2:SCRATCH_EN: 0
; COMPUTE_PGM_RSRC2:USER_SGPR: 6
; COMPUTE_PGM_RSRC2:TRAP_HANDLER: 0
; COMPUTE_PGM_RSRC2:TGID_X_EN: 1
; COMPUTE_PGM_RSRC2:TGID_Y_EN: 0
; COMPUTE_PGM_RSRC2:TGID_Z_EN: 0
; COMPUTE_PGM_RSRC2:TIDIG_COMP_CNT: 0
	.section	.text._ZN7rocprim17ROCPRIM_400000_NS6detail17trampoline_kernelINS0_13select_configILj256ELj13ELNS0_17block_load_methodE3ELS4_3ELS4_3ELNS0_20block_scan_algorithmE0ELj4294967295EEENS1_25partition_config_selectorILNS1_17partition_subalgoE4EjNS0_10empty_typeEbEEZZNS1_14partition_implILS8_4ELb0ES6_15HIP_vector_typeIjLj2EENS0_17counting_iteratorIjlEEPS9_SG_NS0_5tupleIJPjSI_NS0_16reverse_iteratorISI_EEEEENSH_IJSG_SG_SG_EEES9_SI_JZNS1_25segmented_radix_sort_implINS0_14default_configELb0EPK12hip_bfloat16PSP_PKlPlN2at6native12_GLOBAL__N_18offset_tEEE10hipError_tPvRmT1_PNSt15iterator_traitsIS13_E10value_typeET2_T3_PNS14_IS19_E10value_typeET4_jRbjT5_S1F_jjP12ihipStream_tbEUljE_ZNSN_ISO_Lb0ESR_SS_SU_SV_SZ_EES10_S11_S12_S13_S17_S18_S19_S1C_S1D_jS1E_jS1F_S1F_jjS1H_bEUljE0_EEES10_S11_S12_S19_S1D_S1F_T6_T7_T9_mT8_S1H_bDpT10_ENKUlT_T0_E_clISt17integral_constantIbLb1EES1U_IbLb0EEEEDaS1Q_S1R_EUlS1Q_E_NS1_11comp_targetILNS1_3genE3ELNS1_11target_archE908ELNS1_3gpuE7ELNS1_3repE0EEENS1_30default_config_static_selectorELNS0_4arch9wavefront6targetE1EEEvS13_,"axG",@progbits,_ZN7rocprim17ROCPRIM_400000_NS6detail17trampoline_kernelINS0_13select_configILj256ELj13ELNS0_17block_load_methodE3ELS4_3ELS4_3ELNS0_20block_scan_algorithmE0ELj4294967295EEENS1_25partition_config_selectorILNS1_17partition_subalgoE4EjNS0_10empty_typeEbEEZZNS1_14partition_implILS8_4ELb0ES6_15HIP_vector_typeIjLj2EENS0_17counting_iteratorIjlEEPS9_SG_NS0_5tupleIJPjSI_NS0_16reverse_iteratorISI_EEEEENSH_IJSG_SG_SG_EEES9_SI_JZNS1_25segmented_radix_sort_implINS0_14default_configELb0EPK12hip_bfloat16PSP_PKlPlN2at6native12_GLOBAL__N_18offset_tEEE10hipError_tPvRmT1_PNSt15iterator_traitsIS13_E10value_typeET2_T3_PNS14_IS19_E10value_typeET4_jRbjT5_S1F_jjP12ihipStream_tbEUljE_ZNSN_ISO_Lb0ESR_SS_SU_SV_SZ_EES10_S11_S12_S13_S17_S18_S19_S1C_S1D_jS1E_jS1F_S1F_jjS1H_bEUljE0_EEES10_S11_S12_S19_S1D_S1F_T6_T7_T9_mT8_S1H_bDpT10_ENKUlT_T0_E_clISt17integral_constantIbLb1EES1U_IbLb0EEEEDaS1Q_S1R_EUlS1Q_E_NS1_11comp_targetILNS1_3genE3ELNS1_11target_archE908ELNS1_3gpuE7ELNS1_3repE0EEENS1_30default_config_static_selectorELNS0_4arch9wavefront6targetE1EEEvS13_,comdat
	.globl	_ZN7rocprim17ROCPRIM_400000_NS6detail17trampoline_kernelINS0_13select_configILj256ELj13ELNS0_17block_load_methodE3ELS4_3ELS4_3ELNS0_20block_scan_algorithmE0ELj4294967295EEENS1_25partition_config_selectorILNS1_17partition_subalgoE4EjNS0_10empty_typeEbEEZZNS1_14partition_implILS8_4ELb0ES6_15HIP_vector_typeIjLj2EENS0_17counting_iteratorIjlEEPS9_SG_NS0_5tupleIJPjSI_NS0_16reverse_iteratorISI_EEEEENSH_IJSG_SG_SG_EEES9_SI_JZNS1_25segmented_radix_sort_implINS0_14default_configELb0EPK12hip_bfloat16PSP_PKlPlN2at6native12_GLOBAL__N_18offset_tEEE10hipError_tPvRmT1_PNSt15iterator_traitsIS13_E10value_typeET2_T3_PNS14_IS19_E10value_typeET4_jRbjT5_S1F_jjP12ihipStream_tbEUljE_ZNSN_ISO_Lb0ESR_SS_SU_SV_SZ_EES10_S11_S12_S13_S17_S18_S19_S1C_S1D_jS1E_jS1F_S1F_jjS1H_bEUljE0_EEES10_S11_S12_S19_S1D_S1F_T6_T7_T9_mT8_S1H_bDpT10_ENKUlT_T0_E_clISt17integral_constantIbLb1EES1U_IbLb0EEEEDaS1Q_S1R_EUlS1Q_E_NS1_11comp_targetILNS1_3genE3ELNS1_11target_archE908ELNS1_3gpuE7ELNS1_3repE0EEENS1_30default_config_static_selectorELNS0_4arch9wavefront6targetE1EEEvS13_ ; -- Begin function _ZN7rocprim17ROCPRIM_400000_NS6detail17trampoline_kernelINS0_13select_configILj256ELj13ELNS0_17block_load_methodE3ELS4_3ELS4_3ELNS0_20block_scan_algorithmE0ELj4294967295EEENS1_25partition_config_selectorILNS1_17partition_subalgoE4EjNS0_10empty_typeEbEEZZNS1_14partition_implILS8_4ELb0ES6_15HIP_vector_typeIjLj2EENS0_17counting_iteratorIjlEEPS9_SG_NS0_5tupleIJPjSI_NS0_16reverse_iteratorISI_EEEEENSH_IJSG_SG_SG_EEES9_SI_JZNS1_25segmented_radix_sort_implINS0_14default_configELb0EPK12hip_bfloat16PSP_PKlPlN2at6native12_GLOBAL__N_18offset_tEEE10hipError_tPvRmT1_PNSt15iterator_traitsIS13_E10value_typeET2_T3_PNS14_IS19_E10value_typeET4_jRbjT5_S1F_jjP12ihipStream_tbEUljE_ZNSN_ISO_Lb0ESR_SS_SU_SV_SZ_EES10_S11_S12_S13_S17_S18_S19_S1C_S1D_jS1E_jS1F_S1F_jjS1H_bEUljE0_EEES10_S11_S12_S19_S1D_S1F_T6_T7_T9_mT8_S1H_bDpT10_ENKUlT_T0_E_clISt17integral_constantIbLb1EES1U_IbLb0EEEEDaS1Q_S1R_EUlS1Q_E_NS1_11comp_targetILNS1_3genE3ELNS1_11target_archE908ELNS1_3gpuE7ELNS1_3repE0EEENS1_30default_config_static_selectorELNS0_4arch9wavefront6targetE1EEEvS13_
	.p2align	8
	.type	_ZN7rocprim17ROCPRIM_400000_NS6detail17trampoline_kernelINS0_13select_configILj256ELj13ELNS0_17block_load_methodE3ELS4_3ELS4_3ELNS0_20block_scan_algorithmE0ELj4294967295EEENS1_25partition_config_selectorILNS1_17partition_subalgoE4EjNS0_10empty_typeEbEEZZNS1_14partition_implILS8_4ELb0ES6_15HIP_vector_typeIjLj2EENS0_17counting_iteratorIjlEEPS9_SG_NS0_5tupleIJPjSI_NS0_16reverse_iteratorISI_EEEEENSH_IJSG_SG_SG_EEES9_SI_JZNS1_25segmented_radix_sort_implINS0_14default_configELb0EPK12hip_bfloat16PSP_PKlPlN2at6native12_GLOBAL__N_18offset_tEEE10hipError_tPvRmT1_PNSt15iterator_traitsIS13_E10value_typeET2_T3_PNS14_IS19_E10value_typeET4_jRbjT5_S1F_jjP12ihipStream_tbEUljE_ZNSN_ISO_Lb0ESR_SS_SU_SV_SZ_EES10_S11_S12_S13_S17_S18_S19_S1C_S1D_jS1E_jS1F_S1F_jjS1H_bEUljE0_EEES10_S11_S12_S19_S1D_S1F_T6_T7_T9_mT8_S1H_bDpT10_ENKUlT_T0_E_clISt17integral_constantIbLb1EES1U_IbLb0EEEEDaS1Q_S1R_EUlS1Q_E_NS1_11comp_targetILNS1_3genE3ELNS1_11target_archE908ELNS1_3gpuE7ELNS1_3repE0EEENS1_30default_config_static_selectorELNS0_4arch9wavefront6targetE1EEEvS13_,@function
_ZN7rocprim17ROCPRIM_400000_NS6detail17trampoline_kernelINS0_13select_configILj256ELj13ELNS0_17block_load_methodE3ELS4_3ELS4_3ELNS0_20block_scan_algorithmE0ELj4294967295EEENS1_25partition_config_selectorILNS1_17partition_subalgoE4EjNS0_10empty_typeEbEEZZNS1_14partition_implILS8_4ELb0ES6_15HIP_vector_typeIjLj2EENS0_17counting_iteratorIjlEEPS9_SG_NS0_5tupleIJPjSI_NS0_16reverse_iteratorISI_EEEEENSH_IJSG_SG_SG_EEES9_SI_JZNS1_25segmented_radix_sort_implINS0_14default_configELb0EPK12hip_bfloat16PSP_PKlPlN2at6native12_GLOBAL__N_18offset_tEEE10hipError_tPvRmT1_PNSt15iterator_traitsIS13_E10value_typeET2_T3_PNS14_IS19_E10value_typeET4_jRbjT5_S1F_jjP12ihipStream_tbEUljE_ZNSN_ISO_Lb0ESR_SS_SU_SV_SZ_EES10_S11_S12_S13_S17_S18_S19_S1C_S1D_jS1E_jS1F_S1F_jjS1H_bEUljE0_EEES10_S11_S12_S19_S1D_S1F_T6_T7_T9_mT8_S1H_bDpT10_ENKUlT_T0_E_clISt17integral_constantIbLb1EES1U_IbLb0EEEEDaS1Q_S1R_EUlS1Q_E_NS1_11comp_targetILNS1_3genE3ELNS1_11target_archE908ELNS1_3gpuE7ELNS1_3repE0EEENS1_30default_config_static_selectorELNS0_4arch9wavefront6targetE1EEEvS13_: ; @_ZN7rocprim17ROCPRIM_400000_NS6detail17trampoline_kernelINS0_13select_configILj256ELj13ELNS0_17block_load_methodE3ELS4_3ELS4_3ELNS0_20block_scan_algorithmE0ELj4294967295EEENS1_25partition_config_selectorILNS1_17partition_subalgoE4EjNS0_10empty_typeEbEEZZNS1_14partition_implILS8_4ELb0ES6_15HIP_vector_typeIjLj2EENS0_17counting_iteratorIjlEEPS9_SG_NS0_5tupleIJPjSI_NS0_16reverse_iteratorISI_EEEEENSH_IJSG_SG_SG_EEES9_SI_JZNS1_25segmented_radix_sort_implINS0_14default_configELb0EPK12hip_bfloat16PSP_PKlPlN2at6native12_GLOBAL__N_18offset_tEEE10hipError_tPvRmT1_PNSt15iterator_traitsIS13_E10value_typeET2_T3_PNS14_IS19_E10value_typeET4_jRbjT5_S1F_jjP12ihipStream_tbEUljE_ZNSN_ISO_Lb0ESR_SS_SU_SV_SZ_EES10_S11_S12_S13_S17_S18_S19_S1C_S1D_jS1E_jS1F_S1F_jjS1H_bEUljE0_EEES10_S11_S12_S19_S1D_S1F_T6_T7_T9_mT8_S1H_bDpT10_ENKUlT_T0_E_clISt17integral_constantIbLb1EES1U_IbLb0EEEEDaS1Q_S1R_EUlS1Q_E_NS1_11comp_targetILNS1_3genE3ELNS1_11target_archE908ELNS1_3gpuE7ELNS1_3repE0EEENS1_30default_config_static_selectorELNS0_4arch9wavefront6targetE1EEEvS13_
; %bb.0:
	.section	.rodata,"a",@progbits
	.p2align	6, 0x0
	.amdhsa_kernel _ZN7rocprim17ROCPRIM_400000_NS6detail17trampoline_kernelINS0_13select_configILj256ELj13ELNS0_17block_load_methodE3ELS4_3ELS4_3ELNS0_20block_scan_algorithmE0ELj4294967295EEENS1_25partition_config_selectorILNS1_17partition_subalgoE4EjNS0_10empty_typeEbEEZZNS1_14partition_implILS8_4ELb0ES6_15HIP_vector_typeIjLj2EENS0_17counting_iteratorIjlEEPS9_SG_NS0_5tupleIJPjSI_NS0_16reverse_iteratorISI_EEEEENSH_IJSG_SG_SG_EEES9_SI_JZNS1_25segmented_radix_sort_implINS0_14default_configELb0EPK12hip_bfloat16PSP_PKlPlN2at6native12_GLOBAL__N_18offset_tEEE10hipError_tPvRmT1_PNSt15iterator_traitsIS13_E10value_typeET2_T3_PNS14_IS19_E10value_typeET4_jRbjT5_S1F_jjP12ihipStream_tbEUljE_ZNSN_ISO_Lb0ESR_SS_SU_SV_SZ_EES10_S11_S12_S13_S17_S18_S19_S1C_S1D_jS1E_jS1F_S1F_jjS1H_bEUljE0_EEES10_S11_S12_S19_S1D_S1F_T6_T7_T9_mT8_S1H_bDpT10_ENKUlT_T0_E_clISt17integral_constantIbLb1EES1U_IbLb0EEEEDaS1Q_S1R_EUlS1Q_E_NS1_11comp_targetILNS1_3genE3ELNS1_11target_archE908ELNS1_3gpuE7ELNS1_3repE0EEENS1_30default_config_static_selectorELNS0_4arch9wavefront6targetE1EEEvS13_
		.amdhsa_group_segment_fixed_size 0
		.amdhsa_private_segment_fixed_size 0
		.amdhsa_kernarg_size 176
		.amdhsa_user_sgpr_count 6
		.amdhsa_user_sgpr_private_segment_buffer 1
		.amdhsa_user_sgpr_dispatch_ptr 0
		.amdhsa_user_sgpr_queue_ptr 0
		.amdhsa_user_sgpr_kernarg_segment_ptr 1
		.amdhsa_user_sgpr_dispatch_id 0
		.amdhsa_user_sgpr_flat_scratch_init 0
		.amdhsa_user_sgpr_private_segment_size 0
		.amdhsa_uses_dynamic_stack 0
		.amdhsa_system_sgpr_private_segment_wavefront_offset 0
		.amdhsa_system_sgpr_workgroup_id_x 1
		.amdhsa_system_sgpr_workgroup_id_y 0
		.amdhsa_system_sgpr_workgroup_id_z 0
		.amdhsa_system_sgpr_workgroup_info 0
		.amdhsa_system_vgpr_workitem_id 0
		.amdhsa_next_free_vgpr 1
		.amdhsa_next_free_sgpr 0
		.amdhsa_reserve_vcc 0
		.amdhsa_reserve_flat_scratch 0
		.amdhsa_float_round_mode_32 0
		.amdhsa_float_round_mode_16_64 0
		.amdhsa_float_denorm_mode_32 3
		.amdhsa_float_denorm_mode_16_64 3
		.amdhsa_dx10_clamp 1
		.amdhsa_ieee_mode 1
		.amdhsa_fp16_overflow 0
		.amdhsa_exception_fp_ieee_invalid_op 0
		.amdhsa_exception_fp_denorm_src 0
		.amdhsa_exception_fp_ieee_div_zero 0
		.amdhsa_exception_fp_ieee_overflow 0
		.amdhsa_exception_fp_ieee_underflow 0
		.amdhsa_exception_fp_ieee_inexact 0
		.amdhsa_exception_int_div_zero 0
	.end_amdhsa_kernel
	.section	.text._ZN7rocprim17ROCPRIM_400000_NS6detail17trampoline_kernelINS0_13select_configILj256ELj13ELNS0_17block_load_methodE3ELS4_3ELS4_3ELNS0_20block_scan_algorithmE0ELj4294967295EEENS1_25partition_config_selectorILNS1_17partition_subalgoE4EjNS0_10empty_typeEbEEZZNS1_14partition_implILS8_4ELb0ES6_15HIP_vector_typeIjLj2EENS0_17counting_iteratorIjlEEPS9_SG_NS0_5tupleIJPjSI_NS0_16reverse_iteratorISI_EEEEENSH_IJSG_SG_SG_EEES9_SI_JZNS1_25segmented_radix_sort_implINS0_14default_configELb0EPK12hip_bfloat16PSP_PKlPlN2at6native12_GLOBAL__N_18offset_tEEE10hipError_tPvRmT1_PNSt15iterator_traitsIS13_E10value_typeET2_T3_PNS14_IS19_E10value_typeET4_jRbjT5_S1F_jjP12ihipStream_tbEUljE_ZNSN_ISO_Lb0ESR_SS_SU_SV_SZ_EES10_S11_S12_S13_S17_S18_S19_S1C_S1D_jS1E_jS1F_S1F_jjS1H_bEUljE0_EEES10_S11_S12_S19_S1D_S1F_T6_T7_T9_mT8_S1H_bDpT10_ENKUlT_T0_E_clISt17integral_constantIbLb1EES1U_IbLb0EEEEDaS1Q_S1R_EUlS1Q_E_NS1_11comp_targetILNS1_3genE3ELNS1_11target_archE908ELNS1_3gpuE7ELNS1_3repE0EEENS1_30default_config_static_selectorELNS0_4arch9wavefront6targetE1EEEvS13_,"axG",@progbits,_ZN7rocprim17ROCPRIM_400000_NS6detail17trampoline_kernelINS0_13select_configILj256ELj13ELNS0_17block_load_methodE3ELS4_3ELS4_3ELNS0_20block_scan_algorithmE0ELj4294967295EEENS1_25partition_config_selectorILNS1_17partition_subalgoE4EjNS0_10empty_typeEbEEZZNS1_14partition_implILS8_4ELb0ES6_15HIP_vector_typeIjLj2EENS0_17counting_iteratorIjlEEPS9_SG_NS0_5tupleIJPjSI_NS0_16reverse_iteratorISI_EEEEENSH_IJSG_SG_SG_EEES9_SI_JZNS1_25segmented_radix_sort_implINS0_14default_configELb0EPK12hip_bfloat16PSP_PKlPlN2at6native12_GLOBAL__N_18offset_tEEE10hipError_tPvRmT1_PNSt15iterator_traitsIS13_E10value_typeET2_T3_PNS14_IS19_E10value_typeET4_jRbjT5_S1F_jjP12ihipStream_tbEUljE_ZNSN_ISO_Lb0ESR_SS_SU_SV_SZ_EES10_S11_S12_S13_S17_S18_S19_S1C_S1D_jS1E_jS1F_S1F_jjS1H_bEUljE0_EEES10_S11_S12_S19_S1D_S1F_T6_T7_T9_mT8_S1H_bDpT10_ENKUlT_T0_E_clISt17integral_constantIbLb1EES1U_IbLb0EEEEDaS1Q_S1R_EUlS1Q_E_NS1_11comp_targetILNS1_3genE3ELNS1_11target_archE908ELNS1_3gpuE7ELNS1_3repE0EEENS1_30default_config_static_selectorELNS0_4arch9wavefront6targetE1EEEvS13_,comdat
.Lfunc_end2004:
	.size	_ZN7rocprim17ROCPRIM_400000_NS6detail17trampoline_kernelINS0_13select_configILj256ELj13ELNS0_17block_load_methodE3ELS4_3ELS4_3ELNS0_20block_scan_algorithmE0ELj4294967295EEENS1_25partition_config_selectorILNS1_17partition_subalgoE4EjNS0_10empty_typeEbEEZZNS1_14partition_implILS8_4ELb0ES6_15HIP_vector_typeIjLj2EENS0_17counting_iteratorIjlEEPS9_SG_NS0_5tupleIJPjSI_NS0_16reverse_iteratorISI_EEEEENSH_IJSG_SG_SG_EEES9_SI_JZNS1_25segmented_radix_sort_implINS0_14default_configELb0EPK12hip_bfloat16PSP_PKlPlN2at6native12_GLOBAL__N_18offset_tEEE10hipError_tPvRmT1_PNSt15iterator_traitsIS13_E10value_typeET2_T3_PNS14_IS19_E10value_typeET4_jRbjT5_S1F_jjP12ihipStream_tbEUljE_ZNSN_ISO_Lb0ESR_SS_SU_SV_SZ_EES10_S11_S12_S13_S17_S18_S19_S1C_S1D_jS1E_jS1F_S1F_jjS1H_bEUljE0_EEES10_S11_S12_S19_S1D_S1F_T6_T7_T9_mT8_S1H_bDpT10_ENKUlT_T0_E_clISt17integral_constantIbLb1EES1U_IbLb0EEEEDaS1Q_S1R_EUlS1Q_E_NS1_11comp_targetILNS1_3genE3ELNS1_11target_archE908ELNS1_3gpuE7ELNS1_3repE0EEENS1_30default_config_static_selectorELNS0_4arch9wavefront6targetE1EEEvS13_, .Lfunc_end2004-_ZN7rocprim17ROCPRIM_400000_NS6detail17trampoline_kernelINS0_13select_configILj256ELj13ELNS0_17block_load_methodE3ELS4_3ELS4_3ELNS0_20block_scan_algorithmE0ELj4294967295EEENS1_25partition_config_selectorILNS1_17partition_subalgoE4EjNS0_10empty_typeEbEEZZNS1_14partition_implILS8_4ELb0ES6_15HIP_vector_typeIjLj2EENS0_17counting_iteratorIjlEEPS9_SG_NS0_5tupleIJPjSI_NS0_16reverse_iteratorISI_EEEEENSH_IJSG_SG_SG_EEES9_SI_JZNS1_25segmented_radix_sort_implINS0_14default_configELb0EPK12hip_bfloat16PSP_PKlPlN2at6native12_GLOBAL__N_18offset_tEEE10hipError_tPvRmT1_PNSt15iterator_traitsIS13_E10value_typeET2_T3_PNS14_IS19_E10value_typeET4_jRbjT5_S1F_jjP12ihipStream_tbEUljE_ZNSN_ISO_Lb0ESR_SS_SU_SV_SZ_EES10_S11_S12_S13_S17_S18_S19_S1C_S1D_jS1E_jS1F_S1F_jjS1H_bEUljE0_EEES10_S11_S12_S19_S1D_S1F_T6_T7_T9_mT8_S1H_bDpT10_ENKUlT_T0_E_clISt17integral_constantIbLb1EES1U_IbLb0EEEEDaS1Q_S1R_EUlS1Q_E_NS1_11comp_targetILNS1_3genE3ELNS1_11target_archE908ELNS1_3gpuE7ELNS1_3repE0EEENS1_30default_config_static_selectorELNS0_4arch9wavefront6targetE1EEEvS13_
                                        ; -- End function
	.set _ZN7rocprim17ROCPRIM_400000_NS6detail17trampoline_kernelINS0_13select_configILj256ELj13ELNS0_17block_load_methodE3ELS4_3ELS4_3ELNS0_20block_scan_algorithmE0ELj4294967295EEENS1_25partition_config_selectorILNS1_17partition_subalgoE4EjNS0_10empty_typeEbEEZZNS1_14partition_implILS8_4ELb0ES6_15HIP_vector_typeIjLj2EENS0_17counting_iteratorIjlEEPS9_SG_NS0_5tupleIJPjSI_NS0_16reverse_iteratorISI_EEEEENSH_IJSG_SG_SG_EEES9_SI_JZNS1_25segmented_radix_sort_implINS0_14default_configELb0EPK12hip_bfloat16PSP_PKlPlN2at6native12_GLOBAL__N_18offset_tEEE10hipError_tPvRmT1_PNSt15iterator_traitsIS13_E10value_typeET2_T3_PNS14_IS19_E10value_typeET4_jRbjT5_S1F_jjP12ihipStream_tbEUljE_ZNSN_ISO_Lb0ESR_SS_SU_SV_SZ_EES10_S11_S12_S13_S17_S18_S19_S1C_S1D_jS1E_jS1F_S1F_jjS1H_bEUljE0_EEES10_S11_S12_S19_S1D_S1F_T6_T7_T9_mT8_S1H_bDpT10_ENKUlT_T0_E_clISt17integral_constantIbLb1EES1U_IbLb0EEEEDaS1Q_S1R_EUlS1Q_E_NS1_11comp_targetILNS1_3genE3ELNS1_11target_archE908ELNS1_3gpuE7ELNS1_3repE0EEENS1_30default_config_static_selectorELNS0_4arch9wavefront6targetE1EEEvS13_.num_vgpr, 0
	.set _ZN7rocprim17ROCPRIM_400000_NS6detail17trampoline_kernelINS0_13select_configILj256ELj13ELNS0_17block_load_methodE3ELS4_3ELS4_3ELNS0_20block_scan_algorithmE0ELj4294967295EEENS1_25partition_config_selectorILNS1_17partition_subalgoE4EjNS0_10empty_typeEbEEZZNS1_14partition_implILS8_4ELb0ES6_15HIP_vector_typeIjLj2EENS0_17counting_iteratorIjlEEPS9_SG_NS0_5tupleIJPjSI_NS0_16reverse_iteratorISI_EEEEENSH_IJSG_SG_SG_EEES9_SI_JZNS1_25segmented_radix_sort_implINS0_14default_configELb0EPK12hip_bfloat16PSP_PKlPlN2at6native12_GLOBAL__N_18offset_tEEE10hipError_tPvRmT1_PNSt15iterator_traitsIS13_E10value_typeET2_T3_PNS14_IS19_E10value_typeET4_jRbjT5_S1F_jjP12ihipStream_tbEUljE_ZNSN_ISO_Lb0ESR_SS_SU_SV_SZ_EES10_S11_S12_S13_S17_S18_S19_S1C_S1D_jS1E_jS1F_S1F_jjS1H_bEUljE0_EEES10_S11_S12_S19_S1D_S1F_T6_T7_T9_mT8_S1H_bDpT10_ENKUlT_T0_E_clISt17integral_constantIbLb1EES1U_IbLb0EEEEDaS1Q_S1R_EUlS1Q_E_NS1_11comp_targetILNS1_3genE3ELNS1_11target_archE908ELNS1_3gpuE7ELNS1_3repE0EEENS1_30default_config_static_selectorELNS0_4arch9wavefront6targetE1EEEvS13_.num_agpr, 0
	.set _ZN7rocprim17ROCPRIM_400000_NS6detail17trampoline_kernelINS0_13select_configILj256ELj13ELNS0_17block_load_methodE3ELS4_3ELS4_3ELNS0_20block_scan_algorithmE0ELj4294967295EEENS1_25partition_config_selectorILNS1_17partition_subalgoE4EjNS0_10empty_typeEbEEZZNS1_14partition_implILS8_4ELb0ES6_15HIP_vector_typeIjLj2EENS0_17counting_iteratorIjlEEPS9_SG_NS0_5tupleIJPjSI_NS0_16reverse_iteratorISI_EEEEENSH_IJSG_SG_SG_EEES9_SI_JZNS1_25segmented_radix_sort_implINS0_14default_configELb0EPK12hip_bfloat16PSP_PKlPlN2at6native12_GLOBAL__N_18offset_tEEE10hipError_tPvRmT1_PNSt15iterator_traitsIS13_E10value_typeET2_T3_PNS14_IS19_E10value_typeET4_jRbjT5_S1F_jjP12ihipStream_tbEUljE_ZNSN_ISO_Lb0ESR_SS_SU_SV_SZ_EES10_S11_S12_S13_S17_S18_S19_S1C_S1D_jS1E_jS1F_S1F_jjS1H_bEUljE0_EEES10_S11_S12_S19_S1D_S1F_T6_T7_T9_mT8_S1H_bDpT10_ENKUlT_T0_E_clISt17integral_constantIbLb1EES1U_IbLb0EEEEDaS1Q_S1R_EUlS1Q_E_NS1_11comp_targetILNS1_3genE3ELNS1_11target_archE908ELNS1_3gpuE7ELNS1_3repE0EEENS1_30default_config_static_selectorELNS0_4arch9wavefront6targetE1EEEvS13_.numbered_sgpr, 0
	.set _ZN7rocprim17ROCPRIM_400000_NS6detail17trampoline_kernelINS0_13select_configILj256ELj13ELNS0_17block_load_methodE3ELS4_3ELS4_3ELNS0_20block_scan_algorithmE0ELj4294967295EEENS1_25partition_config_selectorILNS1_17partition_subalgoE4EjNS0_10empty_typeEbEEZZNS1_14partition_implILS8_4ELb0ES6_15HIP_vector_typeIjLj2EENS0_17counting_iteratorIjlEEPS9_SG_NS0_5tupleIJPjSI_NS0_16reverse_iteratorISI_EEEEENSH_IJSG_SG_SG_EEES9_SI_JZNS1_25segmented_radix_sort_implINS0_14default_configELb0EPK12hip_bfloat16PSP_PKlPlN2at6native12_GLOBAL__N_18offset_tEEE10hipError_tPvRmT1_PNSt15iterator_traitsIS13_E10value_typeET2_T3_PNS14_IS19_E10value_typeET4_jRbjT5_S1F_jjP12ihipStream_tbEUljE_ZNSN_ISO_Lb0ESR_SS_SU_SV_SZ_EES10_S11_S12_S13_S17_S18_S19_S1C_S1D_jS1E_jS1F_S1F_jjS1H_bEUljE0_EEES10_S11_S12_S19_S1D_S1F_T6_T7_T9_mT8_S1H_bDpT10_ENKUlT_T0_E_clISt17integral_constantIbLb1EES1U_IbLb0EEEEDaS1Q_S1R_EUlS1Q_E_NS1_11comp_targetILNS1_3genE3ELNS1_11target_archE908ELNS1_3gpuE7ELNS1_3repE0EEENS1_30default_config_static_selectorELNS0_4arch9wavefront6targetE1EEEvS13_.num_named_barrier, 0
	.set _ZN7rocprim17ROCPRIM_400000_NS6detail17trampoline_kernelINS0_13select_configILj256ELj13ELNS0_17block_load_methodE3ELS4_3ELS4_3ELNS0_20block_scan_algorithmE0ELj4294967295EEENS1_25partition_config_selectorILNS1_17partition_subalgoE4EjNS0_10empty_typeEbEEZZNS1_14partition_implILS8_4ELb0ES6_15HIP_vector_typeIjLj2EENS0_17counting_iteratorIjlEEPS9_SG_NS0_5tupleIJPjSI_NS0_16reverse_iteratorISI_EEEEENSH_IJSG_SG_SG_EEES9_SI_JZNS1_25segmented_radix_sort_implINS0_14default_configELb0EPK12hip_bfloat16PSP_PKlPlN2at6native12_GLOBAL__N_18offset_tEEE10hipError_tPvRmT1_PNSt15iterator_traitsIS13_E10value_typeET2_T3_PNS14_IS19_E10value_typeET4_jRbjT5_S1F_jjP12ihipStream_tbEUljE_ZNSN_ISO_Lb0ESR_SS_SU_SV_SZ_EES10_S11_S12_S13_S17_S18_S19_S1C_S1D_jS1E_jS1F_S1F_jjS1H_bEUljE0_EEES10_S11_S12_S19_S1D_S1F_T6_T7_T9_mT8_S1H_bDpT10_ENKUlT_T0_E_clISt17integral_constantIbLb1EES1U_IbLb0EEEEDaS1Q_S1R_EUlS1Q_E_NS1_11comp_targetILNS1_3genE3ELNS1_11target_archE908ELNS1_3gpuE7ELNS1_3repE0EEENS1_30default_config_static_selectorELNS0_4arch9wavefront6targetE1EEEvS13_.private_seg_size, 0
	.set _ZN7rocprim17ROCPRIM_400000_NS6detail17trampoline_kernelINS0_13select_configILj256ELj13ELNS0_17block_load_methodE3ELS4_3ELS4_3ELNS0_20block_scan_algorithmE0ELj4294967295EEENS1_25partition_config_selectorILNS1_17partition_subalgoE4EjNS0_10empty_typeEbEEZZNS1_14partition_implILS8_4ELb0ES6_15HIP_vector_typeIjLj2EENS0_17counting_iteratorIjlEEPS9_SG_NS0_5tupleIJPjSI_NS0_16reverse_iteratorISI_EEEEENSH_IJSG_SG_SG_EEES9_SI_JZNS1_25segmented_radix_sort_implINS0_14default_configELb0EPK12hip_bfloat16PSP_PKlPlN2at6native12_GLOBAL__N_18offset_tEEE10hipError_tPvRmT1_PNSt15iterator_traitsIS13_E10value_typeET2_T3_PNS14_IS19_E10value_typeET4_jRbjT5_S1F_jjP12ihipStream_tbEUljE_ZNSN_ISO_Lb0ESR_SS_SU_SV_SZ_EES10_S11_S12_S13_S17_S18_S19_S1C_S1D_jS1E_jS1F_S1F_jjS1H_bEUljE0_EEES10_S11_S12_S19_S1D_S1F_T6_T7_T9_mT8_S1H_bDpT10_ENKUlT_T0_E_clISt17integral_constantIbLb1EES1U_IbLb0EEEEDaS1Q_S1R_EUlS1Q_E_NS1_11comp_targetILNS1_3genE3ELNS1_11target_archE908ELNS1_3gpuE7ELNS1_3repE0EEENS1_30default_config_static_selectorELNS0_4arch9wavefront6targetE1EEEvS13_.uses_vcc, 0
	.set _ZN7rocprim17ROCPRIM_400000_NS6detail17trampoline_kernelINS0_13select_configILj256ELj13ELNS0_17block_load_methodE3ELS4_3ELS4_3ELNS0_20block_scan_algorithmE0ELj4294967295EEENS1_25partition_config_selectorILNS1_17partition_subalgoE4EjNS0_10empty_typeEbEEZZNS1_14partition_implILS8_4ELb0ES6_15HIP_vector_typeIjLj2EENS0_17counting_iteratorIjlEEPS9_SG_NS0_5tupleIJPjSI_NS0_16reverse_iteratorISI_EEEEENSH_IJSG_SG_SG_EEES9_SI_JZNS1_25segmented_radix_sort_implINS0_14default_configELb0EPK12hip_bfloat16PSP_PKlPlN2at6native12_GLOBAL__N_18offset_tEEE10hipError_tPvRmT1_PNSt15iterator_traitsIS13_E10value_typeET2_T3_PNS14_IS19_E10value_typeET4_jRbjT5_S1F_jjP12ihipStream_tbEUljE_ZNSN_ISO_Lb0ESR_SS_SU_SV_SZ_EES10_S11_S12_S13_S17_S18_S19_S1C_S1D_jS1E_jS1F_S1F_jjS1H_bEUljE0_EEES10_S11_S12_S19_S1D_S1F_T6_T7_T9_mT8_S1H_bDpT10_ENKUlT_T0_E_clISt17integral_constantIbLb1EES1U_IbLb0EEEEDaS1Q_S1R_EUlS1Q_E_NS1_11comp_targetILNS1_3genE3ELNS1_11target_archE908ELNS1_3gpuE7ELNS1_3repE0EEENS1_30default_config_static_selectorELNS0_4arch9wavefront6targetE1EEEvS13_.uses_flat_scratch, 0
	.set _ZN7rocprim17ROCPRIM_400000_NS6detail17trampoline_kernelINS0_13select_configILj256ELj13ELNS0_17block_load_methodE3ELS4_3ELS4_3ELNS0_20block_scan_algorithmE0ELj4294967295EEENS1_25partition_config_selectorILNS1_17partition_subalgoE4EjNS0_10empty_typeEbEEZZNS1_14partition_implILS8_4ELb0ES6_15HIP_vector_typeIjLj2EENS0_17counting_iteratorIjlEEPS9_SG_NS0_5tupleIJPjSI_NS0_16reverse_iteratorISI_EEEEENSH_IJSG_SG_SG_EEES9_SI_JZNS1_25segmented_radix_sort_implINS0_14default_configELb0EPK12hip_bfloat16PSP_PKlPlN2at6native12_GLOBAL__N_18offset_tEEE10hipError_tPvRmT1_PNSt15iterator_traitsIS13_E10value_typeET2_T3_PNS14_IS19_E10value_typeET4_jRbjT5_S1F_jjP12ihipStream_tbEUljE_ZNSN_ISO_Lb0ESR_SS_SU_SV_SZ_EES10_S11_S12_S13_S17_S18_S19_S1C_S1D_jS1E_jS1F_S1F_jjS1H_bEUljE0_EEES10_S11_S12_S19_S1D_S1F_T6_T7_T9_mT8_S1H_bDpT10_ENKUlT_T0_E_clISt17integral_constantIbLb1EES1U_IbLb0EEEEDaS1Q_S1R_EUlS1Q_E_NS1_11comp_targetILNS1_3genE3ELNS1_11target_archE908ELNS1_3gpuE7ELNS1_3repE0EEENS1_30default_config_static_selectorELNS0_4arch9wavefront6targetE1EEEvS13_.has_dyn_sized_stack, 0
	.set _ZN7rocprim17ROCPRIM_400000_NS6detail17trampoline_kernelINS0_13select_configILj256ELj13ELNS0_17block_load_methodE3ELS4_3ELS4_3ELNS0_20block_scan_algorithmE0ELj4294967295EEENS1_25partition_config_selectorILNS1_17partition_subalgoE4EjNS0_10empty_typeEbEEZZNS1_14partition_implILS8_4ELb0ES6_15HIP_vector_typeIjLj2EENS0_17counting_iteratorIjlEEPS9_SG_NS0_5tupleIJPjSI_NS0_16reverse_iteratorISI_EEEEENSH_IJSG_SG_SG_EEES9_SI_JZNS1_25segmented_radix_sort_implINS0_14default_configELb0EPK12hip_bfloat16PSP_PKlPlN2at6native12_GLOBAL__N_18offset_tEEE10hipError_tPvRmT1_PNSt15iterator_traitsIS13_E10value_typeET2_T3_PNS14_IS19_E10value_typeET4_jRbjT5_S1F_jjP12ihipStream_tbEUljE_ZNSN_ISO_Lb0ESR_SS_SU_SV_SZ_EES10_S11_S12_S13_S17_S18_S19_S1C_S1D_jS1E_jS1F_S1F_jjS1H_bEUljE0_EEES10_S11_S12_S19_S1D_S1F_T6_T7_T9_mT8_S1H_bDpT10_ENKUlT_T0_E_clISt17integral_constantIbLb1EES1U_IbLb0EEEEDaS1Q_S1R_EUlS1Q_E_NS1_11comp_targetILNS1_3genE3ELNS1_11target_archE908ELNS1_3gpuE7ELNS1_3repE0EEENS1_30default_config_static_selectorELNS0_4arch9wavefront6targetE1EEEvS13_.has_recursion, 0
	.set _ZN7rocprim17ROCPRIM_400000_NS6detail17trampoline_kernelINS0_13select_configILj256ELj13ELNS0_17block_load_methodE3ELS4_3ELS4_3ELNS0_20block_scan_algorithmE0ELj4294967295EEENS1_25partition_config_selectorILNS1_17partition_subalgoE4EjNS0_10empty_typeEbEEZZNS1_14partition_implILS8_4ELb0ES6_15HIP_vector_typeIjLj2EENS0_17counting_iteratorIjlEEPS9_SG_NS0_5tupleIJPjSI_NS0_16reverse_iteratorISI_EEEEENSH_IJSG_SG_SG_EEES9_SI_JZNS1_25segmented_radix_sort_implINS0_14default_configELb0EPK12hip_bfloat16PSP_PKlPlN2at6native12_GLOBAL__N_18offset_tEEE10hipError_tPvRmT1_PNSt15iterator_traitsIS13_E10value_typeET2_T3_PNS14_IS19_E10value_typeET4_jRbjT5_S1F_jjP12ihipStream_tbEUljE_ZNSN_ISO_Lb0ESR_SS_SU_SV_SZ_EES10_S11_S12_S13_S17_S18_S19_S1C_S1D_jS1E_jS1F_S1F_jjS1H_bEUljE0_EEES10_S11_S12_S19_S1D_S1F_T6_T7_T9_mT8_S1H_bDpT10_ENKUlT_T0_E_clISt17integral_constantIbLb1EES1U_IbLb0EEEEDaS1Q_S1R_EUlS1Q_E_NS1_11comp_targetILNS1_3genE3ELNS1_11target_archE908ELNS1_3gpuE7ELNS1_3repE0EEENS1_30default_config_static_selectorELNS0_4arch9wavefront6targetE1EEEvS13_.has_indirect_call, 0
	.section	.AMDGPU.csdata,"",@progbits
; Kernel info:
; codeLenInByte = 0
; TotalNumSgprs: 4
; NumVgprs: 0
; ScratchSize: 0
; MemoryBound: 0
; FloatMode: 240
; IeeeMode: 1
; LDSByteSize: 0 bytes/workgroup (compile time only)
; SGPRBlocks: 0
; VGPRBlocks: 0
; NumSGPRsForWavesPerEU: 4
; NumVGPRsForWavesPerEU: 1
; Occupancy: 10
; WaveLimiterHint : 0
; COMPUTE_PGM_RSRC2:SCRATCH_EN: 0
; COMPUTE_PGM_RSRC2:USER_SGPR: 6
; COMPUTE_PGM_RSRC2:TRAP_HANDLER: 0
; COMPUTE_PGM_RSRC2:TGID_X_EN: 1
; COMPUTE_PGM_RSRC2:TGID_Y_EN: 0
; COMPUTE_PGM_RSRC2:TGID_Z_EN: 0
; COMPUTE_PGM_RSRC2:TIDIG_COMP_CNT: 0
	.section	.text._ZN7rocprim17ROCPRIM_400000_NS6detail17trampoline_kernelINS0_13select_configILj256ELj13ELNS0_17block_load_methodE3ELS4_3ELS4_3ELNS0_20block_scan_algorithmE0ELj4294967295EEENS1_25partition_config_selectorILNS1_17partition_subalgoE4EjNS0_10empty_typeEbEEZZNS1_14partition_implILS8_4ELb0ES6_15HIP_vector_typeIjLj2EENS0_17counting_iteratorIjlEEPS9_SG_NS0_5tupleIJPjSI_NS0_16reverse_iteratorISI_EEEEENSH_IJSG_SG_SG_EEES9_SI_JZNS1_25segmented_radix_sort_implINS0_14default_configELb0EPK12hip_bfloat16PSP_PKlPlN2at6native12_GLOBAL__N_18offset_tEEE10hipError_tPvRmT1_PNSt15iterator_traitsIS13_E10value_typeET2_T3_PNS14_IS19_E10value_typeET4_jRbjT5_S1F_jjP12ihipStream_tbEUljE_ZNSN_ISO_Lb0ESR_SS_SU_SV_SZ_EES10_S11_S12_S13_S17_S18_S19_S1C_S1D_jS1E_jS1F_S1F_jjS1H_bEUljE0_EEES10_S11_S12_S19_S1D_S1F_T6_T7_T9_mT8_S1H_bDpT10_ENKUlT_T0_E_clISt17integral_constantIbLb1EES1U_IbLb0EEEEDaS1Q_S1R_EUlS1Q_E_NS1_11comp_targetILNS1_3genE2ELNS1_11target_archE906ELNS1_3gpuE6ELNS1_3repE0EEENS1_30default_config_static_selectorELNS0_4arch9wavefront6targetE1EEEvS13_,"axG",@progbits,_ZN7rocprim17ROCPRIM_400000_NS6detail17trampoline_kernelINS0_13select_configILj256ELj13ELNS0_17block_load_methodE3ELS4_3ELS4_3ELNS0_20block_scan_algorithmE0ELj4294967295EEENS1_25partition_config_selectorILNS1_17partition_subalgoE4EjNS0_10empty_typeEbEEZZNS1_14partition_implILS8_4ELb0ES6_15HIP_vector_typeIjLj2EENS0_17counting_iteratorIjlEEPS9_SG_NS0_5tupleIJPjSI_NS0_16reverse_iteratorISI_EEEEENSH_IJSG_SG_SG_EEES9_SI_JZNS1_25segmented_radix_sort_implINS0_14default_configELb0EPK12hip_bfloat16PSP_PKlPlN2at6native12_GLOBAL__N_18offset_tEEE10hipError_tPvRmT1_PNSt15iterator_traitsIS13_E10value_typeET2_T3_PNS14_IS19_E10value_typeET4_jRbjT5_S1F_jjP12ihipStream_tbEUljE_ZNSN_ISO_Lb0ESR_SS_SU_SV_SZ_EES10_S11_S12_S13_S17_S18_S19_S1C_S1D_jS1E_jS1F_S1F_jjS1H_bEUljE0_EEES10_S11_S12_S19_S1D_S1F_T6_T7_T9_mT8_S1H_bDpT10_ENKUlT_T0_E_clISt17integral_constantIbLb1EES1U_IbLb0EEEEDaS1Q_S1R_EUlS1Q_E_NS1_11comp_targetILNS1_3genE2ELNS1_11target_archE906ELNS1_3gpuE6ELNS1_3repE0EEENS1_30default_config_static_selectorELNS0_4arch9wavefront6targetE1EEEvS13_,comdat
	.globl	_ZN7rocprim17ROCPRIM_400000_NS6detail17trampoline_kernelINS0_13select_configILj256ELj13ELNS0_17block_load_methodE3ELS4_3ELS4_3ELNS0_20block_scan_algorithmE0ELj4294967295EEENS1_25partition_config_selectorILNS1_17partition_subalgoE4EjNS0_10empty_typeEbEEZZNS1_14partition_implILS8_4ELb0ES6_15HIP_vector_typeIjLj2EENS0_17counting_iteratorIjlEEPS9_SG_NS0_5tupleIJPjSI_NS0_16reverse_iteratorISI_EEEEENSH_IJSG_SG_SG_EEES9_SI_JZNS1_25segmented_radix_sort_implINS0_14default_configELb0EPK12hip_bfloat16PSP_PKlPlN2at6native12_GLOBAL__N_18offset_tEEE10hipError_tPvRmT1_PNSt15iterator_traitsIS13_E10value_typeET2_T3_PNS14_IS19_E10value_typeET4_jRbjT5_S1F_jjP12ihipStream_tbEUljE_ZNSN_ISO_Lb0ESR_SS_SU_SV_SZ_EES10_S11_S12_S13_S17_S18_S19_S1C_S1D_jS1E_jS1F_S1F_jjS1H_bEUljE0_EEES10_S11_S12_S19_S1D_S1F_T6_T7_T9_mT8_S1H_bDpT10_ENKUlT_T0_E_clISt17integral_constantIbLb1EES1U_IbLb0EEEEDaS1Q_S1R_EUlS1Q_E_NS1_11comp_targetILNS1_3genE2ELNS1_11target_archE906ELNS1_3gpuE6ELNS1_3repE0EEENS1_30default_config_static_selectorELNS0_4arch9wavefront6targetE1EEEvS13_ ; -- Begin function _ZN7rocprim17ROCPRIM_400000_NS6detail17trampoline_kernelINS0_13select_configILj256ELj13ELNS0_17block_load_methodE3ELS4_3ELS4_3ELNS0_20block_scan_algorithmE0ELj4294967295EEENS1_25partition_config_selectorILNS1_17partition_subalgoE4EjNS0_10empty_typeEbEEZZNS1_14partition_implILS8_4ELb0ES6_15HIP_vector_typeIjLj2EENS0_17counting_iteratorIjlEEPS9_SG_NS0_5tupleIJPjSI_NS0_16reverse_iteratorISI_EEEEENSH_IJSG_SG_SG_EEES9_SI_JZNS1_25segmented_radix_sort_implINS0_14default_configELb0EPK12hip_bfloat16PSP_PKlPlN2at6native12_GLOBAL__N_18offset_tEEE10hipError_tPvRmT1_PNSt15iterator_traitsIS13_E10value_typeET2_T3_PNS14_IS19_E10value_typeET4_jRbjT5_S1F_jjP12ihipStream_tbEUljE_ZNSN_ISO_Lb0ESR_SS_SU_SV_SZ_EES10_S11_S12_S13_S17_S18_S19_S1C_S1D_jS1E_jS1F_S1F_jjS1H_bEUljE0_EEES10_S11_S12_S19_S1D_S1F_T6_T7_T9_mT8_S1H_bDpT10_ENKUlT_T0_E_clISt17integral_constantIbLb1EES1U_IbLb0EEEEDaS1Q_S1R_EUlS1Q_E_NS1_11comp_targetILNS1_3genE2ELNS1_11target_archE906ELNS1_3gpuE6ELNS1_3repE0EEENS1_30default_config_static_selectorELNS0_4arch9wavefront6targetE1EEEvS13_
	.p2align	8
	.type	_ZN7rocprim17ROCPRIM_400000_NS6detail17trampoline_kernelINS0_13select_configILj256ELj13ELNS0_17block_load_methodE3ELS4_3ELS4_3ELNS0_20block_scan_algorithmE0ELj4294967295EEENS1_25partition_config_selectorILNS1_17partition_subalgoE4EjNS0_10empty_typeEbEEZZNS1_14partition_implILS8_4ELb0ES6_15HIP_vector_typeIjLj2EENS0_17counting_iteratorIjlEEPS9_SG_NS0_5tupleIJPjSI_NS0_16reverse_iteratorISI_EEEEENSH_IJSG_SG_SG_EEES9_SI_JZNS1_25segmented_radix_sort_implINS0_14default_configELb0EPK12hip_bfloat16PSP_PKlPlN2at6native12_GLOBAL__N_18offset_tEEE10hipError_tPvRmT1_PNSt15iterator_traitsIS13_E10value_typeET2_T3_PNS14_IS19_E10value_typeET4_jRbjT5_S1F_jjP12ihipStream_tbEUljE_ZNSN_ISO_Lb0ESR_SS_SU_SV_SZ_EES10_S11_S12_S13_S17_S18_S19_S1C_S1D_jS1E_jS1F_S1F_jjS1H_bEUljE0_EEES10_S11_S12_S19_S1D_S1F_T6_T7_T9_mT8_S1H_bDpT10_ENKUlT_T0_E_clISt17integral_constantIbLb1EES1U_IbLb0EEEEDaS1Q_S1R_EUlS1Q_E_NS1_11comp_targetILNS1_3genE2ELNS1_11target_archE906ELNS1_3gpuE6ELNS1_3repE0EEENS1_30default_config_static_selectorELNS0_4arch9wavefront6targetE1EEEvS13_,@function
_ZN7rocprim17ROCPRIM_400000_NS6detail17trampoline_kernelINS0_13select_configILj256ELj13ELNS0_17block_load_methodE3ELS4_3ELS4_3ELNS0_20block_scan_algorithmE0ELj4294967295EEENS1_25partition_config_selectorILNS1_17partition_subalgoE4EjNS0_10empty_typeEbEEZZNS1_14partition_implILS8_4ELb0ES6_15HIP_vector_typeIjLj2EENS0_17counting_iteratorIjlEEPS9_SG_NS0_5tupleIJPjSI_NS0_16reverse_iteratorISI_EEEEENSH_IJSG_SG_SG_EEES9_SI_JZNS1_25segmented_radix_sort_implINS0_14default_configELb0EPK12hip_bfloat16PSP_PKlPlN2at6native12_GLOBAL__N_18offset_tEEE10hipError_tPvRmT1_PNSt15iterator_traitsIS13_E10value_typeET2_T3_PNS14_IS19_E10value_typeET4_jRbjT5_S1F_jjP12ihipStream_tbEUljE_ZNSN_ISO_Lb0ESR_SS_SU_SV_SZ_EES10_S11_S12_S13_S17_S18_S19_S1C_S1D_jS1E_jS1F_S1F_jjS1H_bEUljE0_EEES10_S11_S12_S19_S1D_S1F_T6_T7_T9_mT8_S1H_bDpT10_ENKUlT_T0_E_clISt17integral_constantIbLb1EES1U_IbLb0EEEEDaS1Q_S1R_EUlS1Q_E_NS1_11comp_targetILNS1_3genE2ELNS1_11target_archE906ELNS1_3gpuE6ELNS1_3repE0EEENS1_30default_config_static_selectorELNS0_4arch9wavefront6targetE1EEEvS13_: ; @_ZN7rocprim17ROCPRIM_400000_NS6detail17trampoline_kernelINS0_13select_configILj256ELj13ELNS0_17block_load_methodE3ELS4_3ELS4_3ELNS0_20block_scan_algorithmE0ELj4294967295EEENS1_25partition_config_selectorILNS1_17partition_subalgoE4EjNS0_10empty_typeEbEEZZNS1_14partition_implILS8_4ELb0ES6_15HIP_vector_typeIjLj2EENS0_17counting_iteratorIjlEEPS9_SG_NS0_5tupleIJPjSI_NS0_16reverse_iteratorISI_EEEEENSH_IJSG_SG_SG_EEES9_SI_JZNS1_25segmented_radix_sort_implINS0_14default_configELb0EPK12hip_bfloat16PSP_PKlPlN2at6native12_GLOBAL__N_18offset_tEEE10hipError_tPvRmT1_PNSt15iterator_traitsIS13_E10value_typeET2_T3_PNS14_IS19_E10value_typeET4_jRbjT5_S1F_jjP12ihipStream_tbEUljE_ZNSN_ISO_Lb0ESR_SS_SU_SV_SZ_EES10_S11_S12_S13_S17_S18_S19_S1C_S1D_jS1E_jS1F_S1F_jjS1H_bEUljE0_EEES10_S11_S12_S19_S1D_S1F_T6_T7_T9_mT8_S1H_bDpT10_ENKUlT_T0_E_clISt17integral_constantIbLb1EES1U_IbLb0EEEEDaS1Q_S1R_EUlS1Q_E_NS1_11comp_targetILNS1_3genE2ELNS1_11target_archE906ELNS1_3gpuE6ELNS1_3repE0EEENS1_30default_config_static_selectorELNS0_4arch9wavefront6targetE1EEEvS13_
; %bb.0:
	s_endpgm
	.section	.rodata,"a",@progbits
	.p2align	6, 0x0
	.amdhsa_kernel _ZN7rocprim17ROCPRIM_400000_NS6detail17trampoline_kernelINS0_13select_configILj256ELj13ELNS0_17block_load_methodE3ELS4_3ELS4_3ELNS0_20block_scan_algorithmE0ELj4294967295EEENS1_25partition_config_selectorILNS1_17partition_subalgoE4EjNS0_10empty_typeEbEEZZNS1_14partition_implILS8_4ELb0ES6_15HIP_vector_typeIjLj2EENS0_17counting_iteratorIjlEEPS9_SG_NS0_5tupleIJPjSI_NS0_16reverse_iteratorISI_EEEEENSH_IJSG_SG_SG_EEES9_SI_JZNS1_25segmented_radix_sort_implINS0_14default_configELb0EPK12hip_bfloat16PSP_PKlPlN2at6native12_GLOBAL__N_18offset_tEEE10hipError_tPvRmT1_PNSt15iterator_traitsIS13_E10value_typeET2_T3_PNS14_IS19_E10value_typeET4_jRbjT5_S1F_jjP12ihipStream_tbEUljE_ZNSN_ISO_Lb0ESR_SS_SU_SV_SZ_EES10_S11_S12_S13_S17_S18_S19_S1C_S1D_jS1E_jS1F_S1F_jjS1H_bEUljE0_EEES10_S11_S12_S19_S1D_S1F_T6_T7_T9_mT8_S1H_bDpT10_ENKUlT_T0_E_clISt17integral_constantIbLb1EES1U_IbLb0EEEEDaS1Q_S1R_EUlS1Q_E_NS1_11comp_targetILNS1_3genE2ELNS1_11target_archE906ELNS1_3gpuE6ELNS1_3repE0EEENS1_30default_config_static_selectorELNS0_4arch9wavefront6targetE1EEEvS13_
		.amdhsa_group_segment_fixed_size 0
		.amdhsa_private_segment_fixed_size 0
		.amdhsa_kernarg_size 176
		.amdhsa_user_sgpr_count 6
		.amdhsa_user_sgpr_private_segment_buffer 1
		.amdhsa_user_sgpr_dispatch_ptr 0
		.amdhsa_user_sgpr_queue_ptr 0
		.amdhsa_user_sgpr_kernarg_segment_ptr 1
		.amdhsa_user_sgpr_dispatch_id 0
		.amdhsa_user_sgpr_flat_scratch_init 0
		.amdhsa_user_sgpr_private_segment_size 0
		.amdhsa_uses_dynamic_stack 0
		.amdhsa_system_sgpr_private_segment_wavefront_offset 0
		.amdhsa_system_sgpr_workgroup_id_x 1
		.amdhsa_system_sgpr_workgroup_id_y 0
		.amdhsa_system_sgpr_workgroup_id_z 0
		.amdhsa_system_sgpr_workgroup_info 0
		.amdhsa_system_vgpr_workitem_id 0
		.amdhsa_next_free_vgpr 1
		.amdhsa_next_free_sgpr 0
		.amdhsa_reserve_vcc 0
		.amdhsa_reserve_flat_scratch 0
		.amdhsa_float_round_mode_32 0
		.amdhsa_float_round_mode_16_64 0
		.amdhsa_float_denorm_mode_32 3
		.amdhsa_float_denorm_mode_16_64 3
		.amdhsa_dx10_clamp 1
		.amdhsa_ieee_mode 1
		.amdhsa_fp16_overflow 0
		.amdhsa_exception_fp_ieee_invalid_op 0
		.amdhsa_exception_fp_denorm_src 0
		.amdhsa_exception_fp_ieee_div_zero 0
		.amdhsa_exception_fp_ieee_overflow 0
		.amdhsa_exception_fp_ieee_underflow 0
		.amdhsa_exception_fp_ieee_inexact 0
		.amdhsa_exception_int_div_zero 0
	.end_amdhsa_kernel
	.section	.text._ZN7rocprim17ROCPRIM_400000_NS6detail17trampoline_kernelINS0_13select_configILj256ELj13ELNS0_17block_load_methodE3ELS4_3ELS4_3ELNS0_20block_scan_algorithmE0ELj4294967295EEENS1_25partition_config_selectorILNS1_17partition_subalgoE4EjNS0_10empty_typeEbEEZZNS1_14partition_implILS8_4ELb0ES6_15HIP_vector_typeIjLj2EENS0_17counting_iteratorIjlEEPS9_SG_NS0_5tupleIJPjSI_NS0_16reverse_iteratorISI_EEEEENSH_IJSG_SG_SG_EEES9_SI_JZNS1_25segmented_radix_sort_implINS0_14default_configELb0EPK12hip_bfloat16PSP_PKlPlN2at6native12_GLOBAL__N_18offset_tEEE10hipError_tPvRmT1_PNSt15iterator_traitsIS13_E10value_typeET2_T3_PNS14_IS19_E10value_typeET4_jRbjT5_S1F_jjP12ihipStream_tbEUljE_ZNSN_ISO_Lb0ESR_SS_SU_SV_SZ_EES10_S11_S12_S13_S17_S18_S19_S1C_S1D_jS1E_jS1F_S1F_jjS1H_bEUljE0_EEES10_S11_S12_S19_S1D_S1F_T6_T7_T9_mT8_S1H_bDpT10_ENKUlT_T0_E_clISt17integral_constantIbLb1EES1U_IbLb0EEEEDaS1Q_S1R_EUlS1Q_E_NS1_11comp_targetILNS1_3genE2ELNS1_11target_archE906ELNS1_3gpuE6ELNS1_3repE0EEENS1_30default_config_static_selectorELNS0_4arch9wavefront6targetE1EEEvS13_,"axG",@progbits,_ZN7rocprim17ROCPRIM_400000_NS6detail17trampoline_kernelINS0_13select_configILj256ELj13ELNS0_17block_load_methodE3ELS4_3ELS4_3ELNS0_20block_scan_algorithmE0ELj4294967295EEENS1_25partition_config_selectorILNS1_17partition_subalgoE4EjNS0_10empty_typeEbEEZZNS1_14partition_implILS8_4ELb0ES6_15HIP_vector_typeIjLj2EENS0_17counting_iteratorIjlEEPS9_SG_NS0_5tupleIJPjSI_NS0_16reverse_iteratorISI_EEEEENSH_IJSG_SG_SG_EEES9_SI_JZNS1_25segmented_radix_sort_implINS0_14default_configELb0EPK12hip_bfloat16PSP_PKlPlN2at6native12_GLOBAL__N_18offset_tEEE10hipError_tPvRmT1_PNSt15iterator_traitsIS13_E10value_typeET2_T3_PNS14_IS19_E10value_typeET4_jRbjT5_S1F_jjP12ihipStream_tbEUljE_ZNSN_ISO_Lb0ESR_SS_SU_SV_SZ_EES10_S11_S12_S13_S17_S18_S19_S1C_S1D_jS1E_jS1F_S1F_jjS1H_bEUljE0_EEES10_S11_S12_S19_S1D_S1F_T6_T7_T9_mT8_S1H_bDpT10_ENKUlT_T0_E_clISt17integral_constantIbLb1EES1U_IbLb0EEEEDaS1Q_S1R_EUlS1Q_E_NS1_11comp_targetILNS1_3genE2ELNS1_11target_archE906ELNS1_3gpuE6ELNS1_3repE0EEENS1_30default_config_static_selectorELNS0_4arch9wavefront6targetE1EEEvS13_,comdat
.Lfunc_end2005:
	.size	_ZN7rocprim17ROCPRIM_400000_NS6detail17trampoline_kernelINS0_13select_configILj256ELj13ELNS0_17block_load_methodE3ELS4_3ELS4_3ELNS0_20block_scan_algorithmE0ELj4294967295EEENS1_25partition_config_selectorILNS1_17partition_subalgoE4EjNS0_10empty_typeEbEEZZNS1_14partition_implILS8_4ELb0ES6_15HIP_vector_typeIjLj2EENS0_17counting_iteratorIjlEEPS9_SG_NS0_5tupleIJPjSI_NS0_16reverse_iteratorISI_EEEEENSH_IJSG_SG_SG_EEES9_SI_JZNS1_25segmented_radix_sort_implINS0_14default_configELb0EPK12hip_bfloat16PSP_PKlPlN2at6native12_GLOBAL__N_18offset_tEEE10hipError_tPvRmT1_PNSt15iterator_traitsIS13_E10value_typeET2_T3_PNS14_IS19_E10value_typeET4_jRbjT5_S1F_jjP12ihipStream_tbEUljE_ZNSN_ISO_Lb0ESR_SS_SU_SV_SZ_EES10_S11_S12_S13_S17_S18_S19_S1C_S1D_jS1E_jS1F_S1F_jjS1H_bEUljE0_EEES10_S11_S12_S19_S1D_S1F_T6_T7_T9_mT8_S1H_bDpT10_ENKUlT_T0_E_clISt17integral_constantIbLb1EES1U_IbLb0EEEEDaS1Q_S1R_EUlS1Q_E_NS1_11comp_targetILNS1_3genE2ELNS1_11target_archE906ELNS1_3gpuE6ELNS1_3repE0EEENS1_30default_config_static_selectorELNS0_4arch9wavefront6targetE1EEEvS13_, .Lfunc_end2005-_ZN7rocprim17ROCPRIM_400000_NS6detail17trampoline_kernelINS0_13select_configILj256ELj13ELNS0_17block_load_methodE3ELS4_3ELS4_3ELNS0_20block_scan_algorithmE0ELj4294967295EEENS1_25partition_config_selectorILNS1_17partition_subalgoE4EjNS0_10empty_typeEbEEZZNS1_14partition_implILS8_4ELb0ES6_15HIP_vector_typeIjLj2EENS0_17counting_iteratorIjlEEPS9_SG_NS0_5tupleIJPjSI_NS0_16reverse_iteratorISI_EEEEENSH_IJSG_SG_SG_EEES9_SI_JZNS1_25segmented_radix_sort_implINS0_14default_configELb0EPK12hip_bfloat16PSP_PKlPlN2at6native12_GLOBAL__N_18offset_tEEE10hipError_tPvRmT1_PNSt15iterator_traitsIS13_E10value_typeET2_T3_PNS14_IS19_E10value_typeET4_jRbjT5_S1F_jjP12ihipStream_tbEUljE_ZNSN_ISO_Lb0ESR_SS_SU_SV_SZ_EES10_S11_S12_S13_S17_S18_S19_S1C_S1D_jS1E_jS1F_S1F_jjS1H_bEUljE0_EEES10_S11_S12_S19_S1D_S1F_T6_T7_T9_mT8_S1H_bDpT10_ENKUlT_T0_E_clISt17integral_constantIbLb1EES1U_IbLb0EEEEDaS1Q_S1R_EUlS1Q_E_NS1_11comp_targetILNS1_3genE2ELNS1_11target_archE906ELNS1_3gpuE6ELNS1_3repE0EEENS1_30default_config_static_selectorELNS0_4arch9wavefront6targetE1EEEvS13_
                                        ; -- End function
	.set _ZN7rocprim17ROCPRIM_400000_NS6detail17trampoline_kernelINS0_13select_configILj256ELj13ELNS0_17block_load_methodE3ELS4_3ELS4_3ELNS0_20block_scan_algorithmE0ELj4294967295EEENS1_25partition_config_selectorILNS1_17partition_subalgoE4EjNS0_10empty_typeEbEEZZNS1_14partition_implILS8_4ELb0ES6_15HIP_vector_typeIjLj2EENS0_17counting_iteratorIjlEEPS9_SG_NS0_5tupleIJPjSI_NS0_16reverse_iteratorISI_EEEEENSH_IJSG_SG_SG_EEES9_SI_JZNS1_25segmented_radix_sort_implINS0_14default_configELb0EPK12hip_bfloat16PSP_PKlPlN2at6native12_GLOBAL__N_18offset_tEEE10hipError_tPvRmT1_PNSt15iterator_traitsIS13_E10value_typeET2_T3_PNS14_IS19_E10value_typeET4_jRbjT5_S1F_jjP12ihipStream_tbEUljE_ZNSN_ISO_Lb0ESR_SS_SU_SV_SZ_EES10_S11_S12_S13_S17_S18_S19_S1C_S1D_jS1E_jS1F_S1F_jjS1H_bEUljE0_EEES10_S11_S12_S19_S1D_S1F_T6_T7_T9_mT8_S1H_bDpT10_ENKUlT_T0_E_clISt17integral_constantIbLb1EES1U_IbLb0EEEEDaS1Q_S1R_EUlS1Q_E_NS1_11comp_targetILNS1_3genE2ELNS1_11target_archE906ELNS1_3gpuE6ELNS1_3repE0EEENS1_30default_config_static_selectorELNS0_4arch9wavefront6targetE1EEEvS13_.num_vgpr, 0
	.set _ZN7rocprim17ROCPRIM_400000_NS6detail17trampoline_kernelINS0_13select_configILj256ELj13ELNS0_17block_load_methodE3ELS4_3ELS4_3ELNS0_20block_scan_algorithmE0ELj4294967295EEENS1_25partition_config_selectorILNS1_17partition_subalgoE4EjNS0_10empty_typeEbEEZZNS1_14partition_implILS8_4ELb0ES6_15HIP_vector_typeIjLj2EENS0_17counting_iteratorIjlEEPS9_SG_NS0_5tupleIJPjSI_NS0_16reverse_iteratorISI_EEEEENSH_IJSG_SG_SG_EEES9_SI_JZNS1_25segmented_radix_sort_implINS0_14default_configELb0EPK12hip_bfloat16PSP_PKlPlN2at6native12_GLOBAL__N_18offset_tEEE10hipError_tPvRmT1_PNSt15iterator_traitsIS13_E10value_typeET2_T3_PNS14_IS19_E10value_typeET4_jRbjT5_S1F_jjP12ihipStream_tbEUljE_ZNSN_ISO_Lb0ESR_SS_SU_SV_SZ_EES10_S11_S12_S13_S17_S18_S19_S1C_S1D_jS1E_jS1F_S1F_jjS1H_bEUljE0_EEES10_S11_S12_S19_S1D_S1F_T6_T7_T9_mT8_S1H_bDpT10_ENKUlT_T0_E_clISt17integral_constantIbLb1EES1U_IbLb0EEEEDaS1Q_S1R_EUlS1Q_E_NS1_11comp_targetILNS1_3genE2ELNS1_11target_archE906ELNS1_3gpuE6ELNS1_3repE0EEENS1_30default_config_static_selectorELNS0_4arch9wavefront6targetE1EEEvS13_.num_agpr, 0
	.set _ZN7rocprim17ROCPRIM_400000_NS6detail17trampoline_kernelINS0_13select_configILj256ELj13ELNS0_17block_load_methodE3ELS4_3ELS4_3ELNS0_20block_scan_algorithmE0ELj4294967295EEENS1_25partition_config_selectorILNS1_17partition_subalgoE4EjNS0_10empty_typeEbEEZZNS1_14partition_implILS8_4ELb0ES6_15HIP_vector_typeIjLj2EENS0_17counting_iteratorIjlEEPS9_SG_NS0_5tupleIJPjSI_NS0_16reverse_iteratorISI_EEEEENSH_IJSG_SG_SG_EEES9_SI_JZNS1_25segmented_radix_sort_implINS0_14default_configELb0EPK12hip_bfloat16PSP_PKlPlN2at6native12_GLOBAL__N_18offset_tEEE10hipError_tPvRmT1_PNSt15iterator_traitsIS13_E10value_typeET2_T3_PNS14_IS19_E10value_typeET4_jRbjT5_S1F_jjP12ihipStream_tbEUljE_ZNSN_ISO_Lb0ESR_SS_SU_SV_SZ_EES10_S11_S12_S13_S17_S18_S19_S1C_S1D_jS1E_jS1F_S1F_jjS1H_bEUljE0_EEES10_S11_S12_S19_S1D_S1F_T6_T7_T9_mT8_S1H_bDpT10_ENKUlT_T0_E_clISt17integral_constantIbLb1EES1U_IbLb0EEEEDaS1Q_S1R_EUlS1Q_E_NS1_11comp_targetILNS1_3genE2ELNS1_11target_archE906ELNS1_3gpuE6ELNS1_3repE0EEENS1_30default_config_static_selectorELNS0_4arch9wavefront6targetE1EEEvS13_.numbered_sgpr, 0
	.set _ZN7rocprim17ROCPRIM_400000_NS6detail17trampoline_kernelINS0_13select_configILj256ELj13ELNS0_17block_load_methodE3ELS4_3ELS4_3ELNS0_20block_scan_algorithmE0ELj4294967295EEENS1_25partition_config_selectorILNS1_17partition_subalgoE4EjNS0_10empty_typeEbEEZZNS1_14partition_implILS8_4ELb0ES6_15HIP_vector_typeIjLj2EENS0_17counting_iteratorIjlEEPS9_SG_NS0_5tupleIJPjSI_NS0_16reverse_iteratorISI_EEEEENSH_IJSG_SG_SG_EEES9_SI_JZNS1_25segmented_radix_sort_implINS0_14default_configELb0EPK12hip_bfloat16PSP_PKlPlN2at6native12_GLOBAL__N_18offset_tEEE10hipError_tPvRmT1_PNSt15iterator_traitsIS13_E10value_typeET2_T3_PNS14_IS19_E10value_typeET4_jRbjT5_S1F_jjP12ihipStream_tbEUljE_ZNSN_ISO_Lb0ESR_SS_SU_SV_SZ_EES10_S11_S12_S13_S17_S18_S19_S1C_S1D_jS1E_jS1F_S1F_jjS1H_bEUljE0_EEES10_S11_S12_S19_S1D_S1F_T6_T7_T9_mT8_S1H_bDpT10_ENKUlT_T0_E_clISt17integral_constantIbLb1EES1U_IbLb0EEEEDaS1Q_S1R_EUlS1Q_E_NS1_11comp_targetILNS1_3genE2ELNS1_11target_archE906ELNS1_3gpuE6ELNS1_3repE0EEENS1_30default_config_static_selectorELNS0_4arch9wavefront6targetE1EEEvS13_.num_named_barrier, 0
	.set _ZN7rocprim17ROCPRIM_400000_NS6detail17trampoline_kernelINS0_13select_configILj256ELj13ELNS0_17block_load_methodE3ELS4_3ELS4_3ELNS0_20block_scan_algorithmE0ELj4294967295EEENS1_25partition_config_selectorILNS1_17partition_subalgoE4EjNS0_10empty_typeEbEEZZNS1_14partition_implILS8_4ELb0ES6_15HIP_vector_typeIjLj2EENS0_17counting_iteratorIjlEEPS9_SG_NS0_5tupleIJPjSI_NS0_16reverse_iteratorISI_EEEEENSH_IJSG_SG_SG_EEES9_SI_JZNS1_25segmented_radix_sort_implINS0_14default_configELb0EPK12hip_bfloat16PSP_PKlPlN2at6native12_GLOBAL__N_18offset_tEEE10hipError_tPvRmT1_PNSt15iterator_traitsIS13_E10value_typeET2_T3_PNS14_IS19_E10value_typeET4_jRbjT5_S1F_jjP12ihipStream_tbEUljE_ZNSN_ISO_Lb0ESR_SS_SU_SV_SZ_EES10_S11_S12_S13_S17_S18_S19_S1C_S1D_jS1E_jS1F_S1F_jjS1H_bEUljE0_EEES10_S11_S12_S19_S1D_S1F_T6_T7_T9_mT8_S1H_bDpT10_ENKUlT_T0_E_clISt17integral_constantIbLb1EES1U_IbLb0EEEEDaS1Q_S1R_EUlS1Q_E_NS1_11comp_targetILNS1_3genE2ELNS1_11target_archE906ELNS1_3gpuE6ELNS1_3repE0EEENS1_30default_config_static_selectorELNS0_4arch9wavefront6targetE1EEEvS13_.private_seg_size, 0
	.set _ZN7rocprim17ROCPRIM_400000_NS6detail17trampoline_kernelINS0_13select_configILj256ELj13ELNS0_17block_load_methodE3ELS4_3ELS4_3ELNS0_20block_scan_algorithmE0ELj4294967295EEENS1_25partition_config_selectorILNS1_17partition_subalgoE4EjNS0_10empty_typeEbEEZZNS1_14partition_implILS8_4ELb0ES6_15HIP_vector_typeIjLj2EENS0_17counting_iteratorIjlEEPS9_SG_NS0_5tupleIJPjSI_NS0_16reverse_iteratorISI_EEEEENSH_IJSG_SG_SG_EEES9_SI_JZNS1_25segmented_radix_sort_implINS0_14default_configELb0EPK12hip_bfloat16PSP_PKlPlN2at6native12_GLOBAL__N_18offset_tEEE10hipError_tPvRmT1_PNSt15iterator_traitsIS13_E10value_typeET2_T3_PNS14_IS19_E10value_typeET4_jRbjT5_S1F_jjP12ihipStream_tbEUljE_ZNSN_ISO_Lb0ESR_SS_SU_SV_SZ_EES10_S11_S12_S13_S17_S18_S19_S1C_S1D_jS1E_jS1F_S1F_jjS1H_bEUljE0_EEES10_S11_S12_S19_S1D_S1F_T6_T7_T9_mT8_S1H_bDpT10_ENKUlT_T0_E_clISt17integral_constantIbLb1EES1U_IbLb0EEEEDaS1Q_S1R_EUlS1Q_E_NS1_11comp_targetILNS1_3genE2ELNS1_11target_archE906ELNS1_3gpuE6ELNS1_3repE0EEENS1_30default_config_static_selectorELNS0_4arch9wavefront6targetE1EEEvS13_.uses_vcc, 0
	.set _ZN7rocprim17ROCPRIM_400000_NS6detail17trampoline_kernelINS0_13select_configILj256ELj13ELNS0_17block_load_methodE3ELS4_3ELS4_3ELNS0_20block_scan_algorithmE0ELj4294967295EEENS1_25partition_config_selectorILNS1_17partition_subalgoE4EjNS0_10empty_typeEbEEZZNS1_14partition_implILS8_4ELb0ES6_15HIP_vector_typeIjLj2EENS0_17counting_iteratorIjlEEPS9_SG_NS0_5tupleIJPjSI_NS0_16reverse_iteratorISI_EEEEENSH_IJSG_SG_SG_EEES9_SI_JZNS1_25segmented_radix_sort_implINS0_14default_configELb0EPK12hip_bfloat16PSP_PKlPlN2at6native12_GLOBAL__N_18offset_tEEE10hipError_tPvRmT1_PNSt15iterator_traitsIS13_E10value_typeET2_T3_PNS14_IS19_E10value_typeET4_jRbjT5_S1F_jjP12ihipStream_tbEUljE_ZNSN_ISO_Lb0ESR_SS_SU_SV_SZ_EES10_S11_S12_S13_S17_S18_S19_S1C_S1D_jS1E_jS1F_S1F_jjS1H_bEUljE0_EEES10_S11_S12_S19_S1D_S1F_T6_T7_T9_mT8_S1H_bDpT10_ENKUlT_T0_E_clISt17integral_constantIbLb1EES1U_IbLb0EEEEDaS1Q_S1R_EUlS1Q_E_NS1_11comp_targetILNS1_3genE2ELNS1_11target_archE906ELNS1_3gpuE6ELNS1_3repE0EEENS1_30default_config_static_selectorELNS0_4arch9wavefront6targetE1EEEvS13_.uses_flat_scratch, 0
	.set _ZN7rocprim17ROCPRIM_400000_NS6detail17trampoline_kernelINS0_13select_configILj256ELj13ELNS0_17block_load_methodE3ELS4_3ELS4_3ELNS0_20block_scan_algorithmE0ELj4294967295EEENS1_25partition_config_selectorILNS1_17partition_subalgoE4EjNS0_10empty_typeEbEEZZNS1_14partition_implILS8_4ELb0ES6_15HIP_vector_typeIjLj2EENS0_17counting_iteratorIjlEEPS9_SG_NS0_5tupleIJPjSI_NS0_16reverse_iteratorISI_EEEEENSH_IJSG_SG_SG_EEES9_SI_JZNS1_25segmented_radix_sort_implINS0_14default_configELb0EPK12hip_bfloat16PSP_PKlPlN2at6native12_GLOBAL__N_18offset_tEEE10hipError_tPvRmT1_PNSt15iterator_traitsIS13_E10value_typeET2_T3_PNS14_IS19_E10value_typeET4_jRbjT5_S1F_jjP12ihipStream_tbEUljE_ZNSN_ISO_Lb0ESR_SS_SU_SV_SZ_EES10_S11_S12_S13_S17_S18_S19_S1C_S1D_jS1E_jS1F_S1F_jjS1H_bEUljE0_EEES10_S11_S12_S19_S1D_S1F_T6_T7_T9_mT8_S1H_bDpT10_ENKUlT_T0_E_clISt17integral_constantIbLb1EES1U_IbLb0EEEEDaS1Q_S1R_EUlS1Q_E_NS1_11comp_targetILNS1_3genE2ELNS1_11target_archE906ELNS1_3gpuE6ELNS1_3repE0EEENS1_30default_config_static_selectorELNS0_4arch9wavefront6targetE1EEEvS13_.has_dyn_sized_stack, 0
	.set _ZN7rocprim17ROCPRIM_400000_NS6detail17trampoline_kernelINS0_13select_configILj256ELj13ELNS0_17block_load_methodE3ELS4_3ELS4_3ELNS0_20block_scan_algorithmE0ELj4294967295EEENS1_25partition_config_selectorILNS1_17partition_subalgoE4EjNS0_10empty_typeEbEEZZNS1_14partition_implILS8_4ELb0ES6_15HIP_vector_typeIjLj2EENS0_17counting_iteratorIjlEEPS9_SG_NS0_5tupleIJPjSI_NS0_16reverse_iteratorISI_EEEEENSH_IJSG_SG_SG_EEES9_SI_JZNS1_25segmented_radix_sort_implINS0_14default_configELb0EPK12hip_bfloat16PSP_PKlPlN2at6native12_GLOBAL__N_18offset_tEEE10hipError_tPvRmT1_PNSt15iterator_traitsIS13_E10value_typeET2_T3_PNS14_IS19_E10value_typeET4_jRbjT5_S1F_jjP12ihipStream_tbEUljE_ZNSN_ISO_Lb0ESR_SS_SU_SV_SZ_EES10_S11_S12_S13_S17_S18_S19_S1C_S1D_jS1E_jS1F_S1F_jjS1H_bEUljE0_EEES10_S11_S12_S19_S1D_S1F_T6_T7_T9_mT8_S1H_bDpT10_ENKUlT_T0_E_clISt17integral_constantIbLb1EES1U_IbLb0EEEEDaS1Q_S1R_EUlS1Q_E_NS1_11comp_targetILNS1_3genE2ELNS1_11target_archE906ELNS1_3gpuE6ELNS1_3repE0EEENS1_30default_config_static_selectorELNS0_4arch9wavefront6targetE1EEEvS13_.has_recursion, 0
	.set _ZN7rocprim17ROCPRIM_400000_NS6detail17trampoline_kernelINS0_13select_configILj256ELj13ELNS0_17block_load_methodE3ELS4_3ELS4_3ELNS0_20block_scan_algorithmE0ELj4294967295EEENS1_25partition_config_selectorILNS1_17partition_subalgoE4EjNS0_10empty_typeEbEEZZNS1_14partition_implILS8_4ELb0ES6_15HIP_vector_typeIjLj2EENS0_17counting_iteratorIjlEEPS9_SG_NS0_5tupleIJPjSI_NS0_16reverse_iteratorISI_EEEEENSH_IJSG_SG_SG_EEES9_SI_JZNS1_25segmented_radix_sort_implINS0_14default_configELb0EPK12hip_bfloat16PSP_PKlPlN2at6native12_GLOBAL__N_18offset_tEEE10hipError_tPvRmT1_PNSt15iterator_traitsIS13_E10value_typeET2_T3_PNS14_IS19_E10value_typeET4_jRbjT5_S1F_jjP12ihipStream_tbEUljE_ZNSN_ISO_Lb0ESR_SS_SU_SV_SZ_EES10_S11_S12_S13_S17_S18_S19_S1C_S1D_jS1E_jS1F_S1F_jjS1H_bEUljE0_EEES10_S11_S12_S19_S1D_S1F_T6_T7_T9_mT8_S1H_bDpT10_ENKUlT_T0_E_clISt17integral_constantIbLb1EES1U_IbLb0EEEEDaS1Q_S1R_EUlS1Q_E_NS1_11comp_targetILNS1_3genE2ELNS1_11target_archE906ELNS1_3gpuE6ELNS1_3repE0EEENS1_30default_config_static_selectorELNS0_4arch9wavefront6targetE1EEEvS13_.has_indirect_call, 0
	.section	.AMDGPU.csdata,"",@progbits
; Kernel info:
; codeLenInByte = 4
; TotalNumSgprs: 4
; NumVgprs: 0
; ScratchSize: 0
; MemoryBound: 0
; FloatMode: 240
; IeeeMode: 1
; LDSByteSize: 0 bytes/workgroup (compile time only)
; SGPRBlocks: 0
; VGPRBlocks: 0
; NumSGPRsForWavesPerEU: 4
; NumVGPRsForWavesPerEU: 1
; Occupancy: 10
; WaveLimiterHint : 0
; COMPUTE_PGM_RSRC2:SCRATCH_EN: 0
; COMPUTE_PGM_RSRC2:USER_SGPR: 6
; COMPUTE_PGM_RSRC2:TRAP_HANDLER: 0
; COMPUTE_PGM_RSRC2:TGID_X_EN: 1
; COMPUTE_PGM_RSRC2:TGID_Y_EN: 0
; COMPUTE_PGM_RSRC2:TGID_Z_EN: 0
; COMPUTE_PGM_RSRC2:TIDIG_COMP_CNT: 0
	.section	.text._ZN7rocprim17ROCPRIM_400000_NS6detail17trampoline_kernelINS0_13select_configILj256ELj13ELNS0_17block_load_methodE3ELS4_3ELS4_3ELNS0_20block_scan_algorithmE0ELj4294967295EEENS1_25partition_config_selectorILNS1_17partition_subalgoE4EjNS0_10empty_typeEbEEZZNS1_14partition_implILS8_4ELb0ES6_15HIP_vector_typeIjLj2EENS0_17counting_iteratorIjlEEPS9_SG_NS0_5tupleIJPjSI_NS0_16reverse_iteratorISI_EEEEENSH_IJSG_SG_SG_EEES9_SI_JZNS1_25segmented_radix_sort_implINS0_14default_configELb0EPK12hip_bfloat16PSP_PKlPlN2at6native12_GLOBAL__N_18offset_tEEE10hipError_tPvRmT1_PNSt15iterator_traitsIS13_E10value_typeET2_T3_PNS14_IS19_E10value_typeET4_jRbjT5_S1F_jjP12ihipStream_tbEUljE_ZNSN_ISO_Lb0ESR_SS_SU_SV_SZ_EES10_S11_S12_S13_S17_S18_S19_S1C_S1D_jS1E_jS1F_S1F_jjS1H_bEUljE0_EEES10_S11_S12_S19_S1D_S1F_T6_T7_T9_mT8_S1H_bDpT10_ENKUlT_T0_E_clISt17integral_constantIbLb1EES1U_IbLb0EEEEDaS1Q_S1R_EUlS1Q_E_NS1_11comp_targetILNS1_3genE10ELNS1_11target_archE1200ELNS1_3gpuE4ELNS1_3repE0EEENS1_30default_config_static_selectorELNS0_4arch9wavefront6targetE1EEEvS13_,"axG",@progbits,_ZN7rocprim17ROCPRIM_400000_NS6detail17trampoline_kernelINS0_13select_configILj256ELj13ELNS0_17block_load_methodE3ELS4_3ELS4_3ELNS0_20block_scan_algorithmE0ELj4294967295EEENS1_25partition_config_selectorILNS1_17partition_subalgoE4EjNS0_10empty_typeEbEEZZNS1_14partition_implILS8_4ELb0ES6_15HIP_vector_typeIjLj2EENS0_17counting_iteratorIjlEEPS9_SG_NS0_5tupleIJPjSI_NS0_16reverse_iteratorISI_EEEEENSH_IJSG_SG_SG_EEES9_SI_JZNS1_25segmented_radix_sort_implINS0_14default_configELb0EPK12hip_bfloat16PSP_PKlPlN2at6native12_GLOBAL__N_18offset_tEEE10hipError_tPvRmT1_PNSt15iterator_traitsIS13_E10value_typeET2_T3_PNS14_IS19_E10value_typeET4_jRbjT5_S1F_jjP12ihipStream_tbEUljE_ZNSN_ISO_Lb0ESR_SS_SU_SV_SZ_EES10_S11_S12_S13_S17_S18_S19_S1C_S1D_jS1E_jS1F_S1F_jjS1H_bEUljE0_EEES10_S11_S12_S19_S1D_S1F_T6_T7_T9_mT8_S1H_bDpT10_ENKUlT_T0_E_clISt17integral_constantIbLb1EES1U_IbLb0EEEEDaS1Q_S1R_EUlS1Q_E_NS1_11comp_targetILNS1_3genE10ELNS1_11target_archE1200ELNS1_3gpuE4ELNS1_3repE0EEENS1_30default_config_static_selectorELNS0_4arch9wavefront6targetE1EEEvS13_,comdat
	.globl	_ZN7rocprim17ROCPRIM_400000_NS6detail17trampoline_kernelINS0_13select_configILj256ELj13ELNS0_17block_load_methodE3ELS4_3ELS4_3ELNS0_20block_scan_algorithmE0ELj4294967295EEENS1_25partition_config_selectorILNS1_17partition_subalgoE4EjNS0_10empty_typeEbEEZZNS1_14partition_implILS8_4ELb0ES6_15HIP_vector_typeIjLj2EENS0_17counting_iteratorIjlEEPS9_SG_NS0_5tupleIJPjSI_NS0_16reverse_iteratorISI_EEEEENSH_IJSG_SG_SG_EEES9_SI_JZNS1_25segmented_radix_sort_implINS0_14default_configELb0EPK12hip_bfloat16PSP_PKlPlN2at6native12_GLOBAL__N_18offset_tEEE10hipError_tPvRmT1_PNSt15iterator_traitsIS13_E10value_typeET2_T3_PNS14_IS19_E10value_typeET4_jRbjT5_S1F_jjP12ihipStream_tbEUljE_ZNSN_ISO_Lb0ESR_SS_SU_SV_SZ_EES10_S11_S12_S13_S17_S18_S19_S1C_S1D_jS1E_jS1F_S1F_jjS1H_bEUljE0_EEES10_S11_S12_S19_S1D_S1F_T6_T7_T9_mT8_S1H_bDpT10_ENKUlT_T0_E_clISt17integral_constantIbLb1EES1U_IbLb0EEEEDaS1Q_S1R_EUlS1Q_E_NS1_11comp_targetILNS1_3genE10ELNS1_11target_archE1200ELNS1_3gpuE4ELNS1_3repE0EEENS1_30default_config_static_selectorELNS0_4arch9wavefront6targetE1EEEvS13_ ; -- Begin function _ZN7rocprim17ROCPRIM_400000_NS6detail17trampoline_kernelINS0_13select_configILj256ELj13ELNS0_17block_load_methodE3ELS4_3ELS4_3ELNS0_20block_scan_algorithmE0ELj4294967295EEENS1_25partition_config_selectorILNS1_17partition_subalgoE4EjNS0_10empty_typeEbEEZZNS1_14partition_implILS8_4ELb0ES6_15HIP_vector_typeIjLj2EENS0_17counting_iteratorIjlEEPS9_SG_NS0_5tupleIJPjSI_NS0_16reverse_iteratorISI_EEEEENSH_IJSG_SG_SG_EEES9_SI_JZNS1_25segmented_radix_sort_implINS0_14default_configELb0EPK12hip_bfloat16PSP_PKlPlN2at6native12_GLOBAL__N_18offset_tEEE10hipError_tPvRmT1_PNSt15iterator_traitsIS13_E10value_typeET2_T3_PNS14_IS19_E10value_typeET4_jRbjT5_S1F_jjP12ihipStream_tbEUljE_ZNSN_ISO_Lb0ESR_SS_SU_SV_SZ_EES10_S11_S12_S13_S17_S18_S19_S1C_S1D_jS1E_jS1F_S1F_jjS1H_bEUljE0_EEES10_S11_S12_S19_S1D_S1F_T6_T7_T9_mT8_S1H_bDpT10_ENKUlT_T0_E_clISt17integral_constantIbLb1EES1U_IbLb0EEEEDaS1Q_S1R_EUlS1Q_E_NS1_11comp_targetILNS1_3genE10ELNS1_11target_archE1200ELNS1_3gpuE4ELNS1_3repE0EEENS1_30default_config_static_selectorELNS0_4arch9wavefront6targetE1EEEvS13_
	.p2align	8
	.type	_ZN7rocprim17ROCPRIM_400000_NS6detail17trampoline_kernelINS0_13select_configILj256ELj13ELNS0_17block_load_methodE3ELS4_3ELS4_3ELNS0_20block_scan_algorithmE0ELj4294967295EEENS1_25partition_config_selectorILNS1_17partition_subalgoE4EjNS0_10empty_typeEbEEZZNS1_14partition_implILS8_4ELb0ES6_15HIP_vector_typeIjLj2EENS0_17counting_iteratorIjlEEPS9_SG_NS0_5tupleIJPjSI_NS0_16reverse_iteratorISI_EEEEENSH_IJSG_SG_SG_EEES9_SI_JZNS1_25segmented_radix_sort_implINS0_14default_configELb0EPK12hip_bfloat16PSP_PKlPlN2at6native12_GLOBAL__N_18offset_tEEE10hipError_tPvRmT1_PNSt15iterator_traitsIS13_E10value_typeET2_T3_PNS14_IS19_E10value_typeET4_jRbjT5_S1F_jjP12ihipStream_tbEUljE_ZNSN_ISO_Lb0ESR_SS_SU_SV_SZ_EES10_S11_S12_S13_S17_S18_S19_S1C_S1D_jS1E_jS1F_S1F_jjS1H_bEUljE0_EEES10_S11_S12_S19_S1D_S1F_T6_T7_T9_mT8_S1H_bDpT10_ENKUlT_T0_E_clISt17integral_constantIbLb1EES1U_IbLb0EEEEDaS1Q_S1R_EUlS1Q_E_NS1_11comp_targetILNS1_3genE10ELNS1_11target_archE1200ELNS1_3gpuE4ELNS1_3repE0EEENS1_30default_config_static_selectorELNS0_4arch9wavefront6targetE1EEEvS13_,@function
_ZN7rocprim17ROCPRIM_400000_NS6detail17trampoline_kernelINS0_13select_configILj256ELj13ELNS0_17block_load_methodE3ELS4_3ELS4_3ELNS0_20block_scan_algorithmE0ELj4294967295EEENS1_25partition_config_selectorILNS1_17partition_subalgoE4EjNS0_10empty_typeEbEEZZNS1_14partition_implILS8_4ELb0ES6_15HIP_vector_typeIjLj2EENS0_17counting_iteratorIjlEEPS9_SG_NS0_5tupleIJPjSI_NS0_16reverse_iteratorISI_EEEEENSH_IJSG_SG_SG_EEES9_SI_JZNS1_25segmented_radix_sort_implINS0_14default_configELb0EPK12hip_bfloat16PSP_PKlPlN2at6native12_GLOBAL__N_18offset_tEEE10hipError_tPvRmT1_PNSt15iterator_traitsIS13_E10value_typeET2_T3_PNS14_IS19_E10value_typeET4_jRbjT5_S1F_jjP12ihipStream_tbEUljE_ZNSN_ISO_Lb0ESR_SS_SU_SV_SZ_EES10_S11_S12_S13_S17_S18_S19_S1C_S1D_jS1E_jS1F_S1F_jjS1H_bEUljE0_EEES10_S11_S12_S19_S1D_S1F_T6_T7_T9_mT8_S1H_bDpT10_ENKUlT_T0_E_clISt17integral_constantIbLb1EES1U_IbLb0EEEEDaS1Q_S1R_EUlS1Q_E_NS1_11comp_targetILNS1_3genE10ELNS1_11target_archE1200ELNS1_3gpuE4ELNS1_3repE0EEENS1_30default_config_static_selectorELNS0_4arch9wavefront6targetE1EEEvS13_: ; @_ZN7rocprim17ROCPRIM_400000_NS6detail17trampoline_kernelINS0_13select_configILj256ELj13ELNS0_17block_load_methodE3ELS4_3ELS4_3ELNS0_20block_scan_algorithmE0ELj4294967295EEENS1_25partition_config_selectorILNS1_17partition_subalgoE4EjNS0_10empty_typeEbEEZZNS1_14partition_implILS8_4ELb0ES6_15HIP_vector_typeIjLj2EENS0_17counting_iteratorIjlEEPS9_SG_NS0_5tupleIJPjSI_NS0_16reverse_iteratorISI_EEEEENSH_IJSG_SG_SG_EEES9_SI_JZNS1_25segmented_radix_sort_implINS0_14default_configELb0EPK12hip_bfloat16PSP_PKlPlN2at6native12_GLOBAL__N_18offset_tEEE10hipError_tPvRmT1_PNSt15iterator_traitsIS13_E10value_typeET2_T3_PNS14_IS19_E10value_typeET4_jRbjT5_S1F_jjP12ihipStream_tbEUljE_ZNSN_ISO_Lb0ESR_SS_SU_SV_SZ_EES10_S11_S12_S13_S17_S18_S19_S1C_S1D_jS1E_jS1F_S1F_jjS1H_bEUljE0_EEES10_S11_S12_S19_S1D_S1F_T6_T7_T9_mT8_S1H_bDpT10_ENKUlT_T0_E_clISt17integral_constantIbLb1EES1U_IbLb0EEEEDaS1Q_S1R_EUlS1Q_E_NS1_11comp_targetILNS1_3genE10ELNS1_11target_archE1200ELNS1_3gpuE4ELNS1_3repE0EEENS1_30default_config_static_selectorELNS0_4arch9wavefront6targetE1EEEvS13_
; %bb.0:
	.section	.rodata,"a",@progbits
	.p2align	6, 0x0
	.amdhsa_kernel _ZN7rocprim17ROCPRIM_400000_NS6detail17trampoline_kernelINS0_13select_configILj256ELj13ELNS0_17block_load_methodE3ELS4_3ELS4_3ELNS0_20block_scan_algorithmE0ELj4294967295EEENS1_25partition_config_selectorILNS1_17partition_subalgoE4EjNS0_10empty_typeEbEEZZNS1_14partition_implILS8_4ELb0ES6_15HIP_vector_typeIjLj2EENS0_17counting_iteratorIjlEEPS9_SG_NS0_5tupleIJPjSI_NS0_16reverse_iteratorISI_EEEEENSH_IJSG_SG_SG_EEES9_SI_JZNS1_25segmented_radix_sort_implINS0_14default_configELb0EPK12hip_bfloat16PSP_PKlPlN2at6native12_GLOBAL__N_18offset_tEEE10hipError_tPvRmT1_PNSt15iterator_traitsIS13_E10value_typeET2_T3_PNS14_IS19_E10value_typeET4_jRbjT5_S1F_jjP12ihipStream_tbEUljE_ZNSN_ISO_Lb0ESR_SS_SU_SV_SZ_EES10_S11_S12_S13_S17_S18_S19_S1C_S1D_jS1E_jS1F_S1F_jjS1H_bEUljE0_EEES10_S11_S12_S19_S1D_S1F_T6_T7_T9_mT8_S1H_bDpT10_ENKUlT_T0_E_clISt17integral_constantIbLb1EES1U_IbLb0EEEEDaS1Q_S1R_EUlS1Q_E_NS1_11comp_targetILNS1_3genE10ELNS1_11target_archE1200ELNS1_3gpuE4ELNS1_3repE0EEENS1_30default_config_static_selectorELNS0_4arch9wavefront6targetE1EEEvS13_
		.amdhsa_group_segment_fixed_size 0
		.amdhsa_private_segment_fixed_size 0
		.amdhsa_kernarg_size 176
		.amdhsa_user_sgpr_count 6
		.amdhsa_user_sgpr_private_segment_buffer 1
		.amdhsa_user_sgpr_dispatch_ptr 0
		.amdhsa_user_sgpr_queue_ptr 0
		.amdhsa_user_sgpr_kernarg_segment_ptr 1
		.amdhsa_user_sgpr_dispatch_id 0
		.amdhsa_user_sgpr_flat_scratch_init 0
		.amdhsa_user_sgpr_private_segment_size 0
		.amdhsa_uses_dynamic_stack 0
		.amdhsa_system_sgpr_private_segment_wavefront_offset 0
		.amdhsa_system_sgpr_workgroup_id_x 1
		.amdhsa_system_sgpr_workgroup_id_y 0
		.amdhsa_system_sgpr_workgroup_id_z 0
		.amdhsa_system_sgpr_workgroup_info 0
		.amdhsa_system_vgpr_workitem_id 0
		.amdhsa_next_free_vgpr 1
		.amdhsa_next_free_sgpr 0
		.amdhsa_reserve_vcc 0
		.amdhsa_reserve_flat_scratch 0
		.amdhsa_float_round_mode_32 0
		.amdhsa_float_round_mode_16_64 0
		.amdhsa_float_denorm_mode_32 3
		.amdhsa_float_denorm_mode_16_64 3
		.amdhsa_dx10_clamp 1
		.amdhsa_ieee_mode 1
		.amdhsa_fp16_overflow 0
		.amdhsa_exception_fp_ieee_invalid_op 0
		.amdhsa_exception_fp_denorm_src 0
		.amdhsa_exception_fp_ieee_div_zero 0
		.amdhsa_exception_fp_ieee_overflow 0
		.amdhsa_exception_fp_ieee_underflow 0
		.amdhsa_exception_fp_ieee_inexact 0
		.amdhsa_exception_int_div_zero 0
	.end_amdhsa_kernel
	.section	.text._ZN7rocprim17ROCPRIM_400000_NS6detail17trampoline_kernelINS0_13select_configILj256ELj13ELNS0_17block_load_methodE3ELS4_3ELS4_3ELNS0_20block_scan_algorithmE0ELj4294967295EEENS1_25partition_config_selectorILNS1_17partition_subalgoE4EjNS0_10empty_typeEbEEZZNS1_14partition_implILS8_4ELb0ES6_15HIP_vector_typeIjLj2EENS0_17counting_iteratorIjlEEPS9_SG_NS0_5tupleIJPjSI_NS0_16reverse_iteratorISI_EEEEENSH_IJSG_SG_SG_EEES9_SI_JZNS1_25segmented_radix_sort_implINS0_14default_configELb0EPK12hip_bfloat16PSP_PKlPlN2at6native12_GLOBAL__N_18offset_tEEE10hipError_tPvRmT1_PNSt15iterator_traitsIS13_E10value_typeET2_T3_PNS14_IS19_E10value_typeET4_jRbjT5_S1F_jjP12ihipStream_tbEUljE_ZNSN_ISO_Lb0ESR_SS_SU_SV_SZ_EES10_S11_S12_S13_S17_S18_S19_S1C_S1D_jS1E_jS1F_S1F_jjS1H_bEUljE0_EEES10_S11_S12_S19_S1D_S1F_T6_T7_T9_mT8_S1H_bDpT10_ENKUlT_T0_E_clISt17integral_constantIbLb1EES1U_IbLb0EEEEDaS1Q_S1R_EUlS1Q_E_NS1_11comp_targetILNS1_3genE10ELNS1_11target_archE1200ELNS1_3gpuE4ELNS1_3repE0EEENS1_30default_config_static_selectorELNS0_4arch9wavefront6targetE1EEEvS13_,"axG",@progbits,_ZN7rocprim17ROCPRIM_400000_NS6detail17trampoline_kernelINS0_13select_configILj256ELj13ELNS0_17block_load_methodE3ELS4_3ELS4_3ELNS0_20block_scan_algorithmE0ELj4294967295EEENS1_25partition_config_selectorILNS1_17partition_subalgoE4EjNS0_10empty_typeEbEEZZNS1_14partition_implILS8_4ELb0ES6_15HIP_vector_typeIjLj2EENS0_17counting_iteratorIjlEEPS9_SG_NS0_5tupleIJPjSI_NS0_16reverse_iteratorISI_EEEEENSH_IJSG_SG_SG_EEES9_SI_JZNS1_25segmented_radix_sort_implINS0_14default_configELb0EPK12hip_bfloat16PSP_PKlPlN2at6native12_GLOBAL__N_18offset_tEEE10hipError_tPvRmT1_PNSt15iterator_traitsIS13_E10value_typeET2_T3_PNS14_IS19_E10value_typeET4_jRbjT5_S1F_jjP12ihipStream_tbEUljE_ZNSN_ISO_Lb0ESR_SS_SU_SV_SZ_EES10_S11_S12_S13_S17_S18_S19_S1C_S1D_jS1E_jS1F_S1F_jjS1H_bEUljE0_EEES10_S11_S12_S19_S1D_S1F_T6_T7_T9_mT8_S1H_bDpT10_ENKUlT_T0_E_clISt17integral_constantIbLb1EES1U_IbLb0EEEEDaS1Q_S1R_EUlS1Q_E_NS1_11comp_targetILNS1_3genE10ELNS1_11target_archE1200ELNS1_3gpuE4ELNS1_3repE0EEENS1_30default_config_static_selectorELNS0_4arch9wavefront6targetE1EEEvS13_,comdat
.Lfunc_end2006:
	.size	_ZN7rocprim17ROCPRIM_400000_NS6detail17trampoline_kernelINS0_13select_configILj256ELj13ELNS0_17block_load_methodE3ELS4_3ELS4_3ELNS0_20block_scan_algorithmE0ELj4294967295EEENS1_25partition_config_selectorILNS1_17partition_subalgoE4EjNS0_10empty_typeEbEEZZNS1_14partition_implILS8_4ELb0ES6_15HIP_vector_typeIjLj2EENS0_17counting_iteratorIjlEEPS9_SG_NS0_5tupleIJPjSI_NS0_16reverse_iteratorISI_EEEEENSH_IJSG_SG_SG_EEES9_SI_JZNS1_25segmented_radix_sort_implINS0_14default_configELb0EPK12hip_bfloat16PSP_PKlPlN2at6native12_GLOBAL__N_18offset_tEEE10hipError_tPvRmT1_PNSt15iterator_traitsIS13_E10value_typeET2_T3_PNS14_IS19_E10value_typeET4_jRbjT5_S1F_jjP12ihipStream_tbEUljE_ZNSN_ISO_Lb0ESR_SS_SU_SV_SZ_EES10_S11_S12_S13_S17_S18_S19_S1C_S1D_jS1E_jS1F_S1F_jjS1H_bEUljE0_EEES10_S11_S12_S19_S1D_S1F_T6_T7_T9_mT8_S1H_bDpT10_ENKUlT_T0_E_clISt17integral_constantIbLb1EES1U_IbLb0EEEEDaS1Q_S1R_EUlS1Q_E_NS1_11comp_targetILNS1_3genE10ELNS1_11target_archE1200ELNS1_3gpuE4ELNS1_3repE0EEENS1_30default_config_static_selectorELNS0_4arch9wavefront6targetE1EEEvS13_, .Lfunc_end2006-_ZN7rocprim17ROCPRIM_400000_NS6detail17trampoline_kernelINS0_13select_configILj256ELj13ELNS0_17block_load_methodE3ELS4_3ELS4_3ELNS0_20block_scan_algorithmE0ELj4294967295EEENS1_25partition_config_selectorILNS1_17partition_subalgoE4EjNS0_10empty_typeEbEEZZNS1_14partition_implILS8_4ELb0ES6_15HIP_vector_typeIjLj2EENS0_17counting_iteratorIjlEEPS9_SG_NS0_5tupleIJPjSI_NS0_16reverse_iteratorISI_EEEEENSH_IJSG_SG_SG_EEES9_SI_JZNS1_25segmented_radix_sort_implINS0_14default_configELb0EPK12hip_bfloat16PSP_PKlPlN2at6native12_GLOBAL__N_18offset_tEEE10hipError_tPvRmT1_PNSt15iterator_traitsIS13_E10value_typeET2_T3_PNS14_IS19_E10value_typeET4_jRbjT5_S1F_jjP12ihipStream_tbEUljE_ZNSN_ISO_Lb0ESR_SS_SU_SV_SZ_EES10_S11_S12_S13_S17_S18_S19_S1C_S1D_jS1E_jS1F_S1F_jjS1H_bEUljE0_EEES10_S11_S12_S19_S1D_S1F_T6_T7_T9_mT8_S1H_bDpT10_ENKUlT_T0_E_clISt17integral_constantIbLb1EES1U_IbLb0EEEEDaS1Q_S1R_EUlS1Q_E_NS1_11comp_targetILNS1_3genE10ELNS1_11target_archE1200ELNS1_3gpuE4ELNS1_3repE0EEENS1_30default_config_static_selectorELNS0_4arch9wavefront6targetE1EEEvS13_
                                        ; -- End function
	.set _ZN7rocprim17ROCPRIM_400000_NS6detail17trampoline_kernelINS0_13select_configILj256ELj13ELNS0_17block_load_methodE3ELS4_3ELS4_3ELNS0_20block_scan_algorithmE0ELj4294967295EEENS1_25partition_config_selectorILNS1_17partition_subalgoE4EjNS0_10empty_typeEbEEZZNS1_14partition_implILS8_4ELb0ES6_15HIP_vector_typeIjLj2EENS0_17counting_iteratorIjlEEPS9_SG_NS0_5tupleIJPjSI_NS0_16reverse_iteratorISI_EEEEENSH_IJSG_SG_SG_EEES9_SI_JZNS1_25segmented_radix_sort_implINS0_14default_configELb0EPK12hip_bfloat16PSP_PKlPlN2at6native12_GLOBAL__N_18offset_tEEE10hipError_tPvRmT1_PNSt15iterator_traitsIS13_E10value_typeET2_T3_PNS14_IS19_E10value_typeET4_jRbjT5_S1F_jjP12ihipStream_tbEUljE_ZNSN_ISO_Lb0ESR_SS_SU_SV_SZ_EES10_S11_S12_S13_S17_S18_S19_S1C_S1D_jS1E_jS1F_S1F_jjS1H_bEUljE0_EEES10_S11_S12_S19_S1D_S1F_T6_T7_T9_mT8_S1H_bDpT10_ENKUlT_T0_E_clISt17integral_constantIbLb1EES1U_IbLb0EEEEDaS1Q_S1R_EUlS1Q_E_NS1_11comp_targetILNS1_3genE10ELNS1_11target_archE1200ELNS1_3gpuE4ELNS1_3repE0EEENS1_30default_config_static_selectorELNS0_4arch9wavefront6targetE1EEEvS13_.num_vgpr, 0
	.set _ZN7rocprim17ROCPRIM_400000_NS6detail17trampoline_kernelINS0_13select_configILj256ELj13ELNS0_17block_load_methodE3ELS4_3ELS4_3ELNS0_20block_scan_algorithmE0ELj4294967295EEENS1_25partition_config_selectorILNS1_17partition_subalgoE4EjNS0_10empty_typeEbEEZZNS1_14partition_implILS8_4ELb0ES6_15HIP_vector_typeIjLj2EENS0_17counting_iteratorIjlEEPS9_SG_NS0_5tupleIJPjSI_NS0_16reverse_iteratorISI_EEEEENSH_IJSG_SG_SG_EEES9_SI_JZNS1_25segmented_radix_sort_implINS0_14default_configELb0EPK12hip_bfloat16PSP_PKlPlN2at6native12_GLOBAL__N_18offset_tEEE10hipError_tPvRmT1_PNSt15iterator_traitsIS13_E10value_typeET2_T3_PNS14_IS19_E10value_typeET4_jRbjT5_S1F_jjP12ihipStream_tbEUljE_ZNSN_ISO_Lb0ESR_SS_SU_SV_SZ_EES10_S11_S12_S13_S17_S18_S19_S1C_S1D_jS1E_jS1F_S1F_jjS1H_bEUljE0_EEES10_S11_S12_S19_S1D_S1F_T6_T7_T9_mT8_S1H_bDpT10_ENKUlT_T0_E_clISt17integral_constantIbLb1EES1U_IbLb0EEEEDaS1Q_S1R_EUlS1Q_E_NS1_11comp_targetILNS1_3genE10ELNS1_11target_archE1200ELNS1_3gpuE4ELNS1_3repE0EEENS1_30default_config_static_selectorELNS0_4arch9wavefront6targetE1EEEvS13_.num_agpr, 0
	.set _ZN7rocprim17ROCPRIM_400000_NS6detail17trampoline_kernelINS0_13select_configILj256ELj13ELNS0_17block_load_methodE3ELS4_3ELS4_3ELNS0_20block_scan_algorithmE0ELj4294967295EEENS1_25partition_config_selectorILNS1_17partition_subalgoE4EjNS0_10empty_typeEbEEZZNS1_14partition_implILS8_4ELb0ES6_15HIP_vector_typeIjLj2EENS0_17counting_iteratorIjlEEPS9_SG_NS0_5tupleIJPjSI_NS0_16reverse_iteratorISI_EEEEENSH_IJSG_SG_SG_EEES9_SI_JZNS1_25segmented_radix_sort_implINS0_14default_configELb0EPK12hip_bfloat16PSP_PKlPlN2at6native12_GLOBAL__N_18offset_tEEE10hipError_tPvRmT1_PNSt15iterator_traitsIS13_E10value_typeET2_T3_PNS14_IS19_E10value_typeET4_jRbjT5_S1F_jjP12ihipStream_tbEUljE_ZNSN_ISO_Lb0ESR_SS_SU_SV_SZ_EES10_S11_S12_S13_S17_S18_S19_S1C_S1D_jS1E_jS1F_S1F_jjS1H_bEUljE0_EEES10_S11_S12_S19_S1D_S1F_T6_T7_T9_mT8_S1H_bDpT10_ENKUlT_T0_E_clISt17integral_constantIbLb1EES1U_IbLb0EEEEDaS1Q_S1R_EUlS1Q_E_NS1_11comp_targetILNS1_3genE10ELNS1_11target_archE1200ELNS1_3gpuE4ELNS1_3repE0EEENS1_30default_config_static_selectorELNS0_4arch9wavefront6targetE1EEEvS13_.numbered_sgpr, 0
	.set _ZN7rocprim17ROCPRIM_400000_NS6detail17trampoline_kernelINS0_13select_configILj256ELj13ELNS0_17block_load_methodE3ELS4_3ELS4_3ELNS0_20block_scan_algorithmE0ELj4294967295EEENS1_25partition_config_selectorILNS1_17partition_subalgoE4EjNS0_10empty_typeEbEEZZNS1_14partition_implILS8_4ELb0ES6_15HIP_vector_typeIjLj2EENS0_17counting_iteratorIjlEEPS9_SG_NS0_5tupleIJPjSI_NS0_16reverse_iteratorISI_EEEEENSH_IJSG_SG_SG_EEES9_SI_JZNS1_25segmented_radix_sort_implINS0_14default_configELb0EPK12hip_bfloat16PSP_PKlPlN2at6native12_GLOBAL__N_18offset_tEEE10hipError_tPvRmT1_PNSt15iterator_traitsIS13_E10value_typeET2_T3_PNS14_IS19_E10value_typeET4_jRbjT5_S1F_jjP12ihipStream_tbEUljE_ZNSN_ISO_Lb0ESR_SS_SU_SV_SZ_EES10_S11_S12_S13_S17_S18_S19_S1C_S1D_jS1E_jS1F_S1F_jjS1H_bEUljE0_EEES10_S11_S12_S19_S1D_S1F_T6_T7_T9_mT8_S1H_bDpT10_ENKUlT_T0_E_clISt17integral_constantIbLb1EES1U_IbLb0EEEEDaS1Q_S1R_EUlS1Q_E_NS1_11comp_targetILNS1_3genE10ELNS1_11target_archE1200ELNS1_3gpuE4ELNS1_3repE0EEENS1_30default_config_static_selectorELNS0_4arch9wavefront6targetE1EEEvS13_.num_named_barrier, 0
	.set _ZN7rocprim17ROCPRIM_400000_NS6detail17trampoline_kernelINS0_13select_configILj256ELj13ELNS0_17block_load_methodE3ELS4_3ELS4_3ELNS0_20block_scan_algorithmE0ELj4294967295EEENS1_25partition_config_selectorILNS1_17partition_subalgoE4EjNS0_10empty_typeEbEEZZNS1_14partition_implILS8_4ELb0ES6_15HIP_vector_typeIjLj2EENS0_17counting_iteratorIjlEEPS9_SG_NS0_5tupleIJPjSI_NS0_16reverse_iteratorISI_EEEEENSH_IJSG_SG_SG_EEES9_SI_JZNS1_25segmented_radix_sort_implINS0_14default_configELb0EPK12hip_bfloat16PSP_PKlPlN2at6native12_GLOBAL__N_18offset_tEEE10hipError_tPvRmT1_PNSt15iterator_traitsIS13_E10value_typeET2_T3_PNS14_IS19_E10value_typeET4_jRbjT5_S1F_jjP12ihipStream_tbEUljE_ZNSN_ISO_Lb0ESR_SS_SU_SV_SZ_EES10_S11_S12_S13_S17_S18_S19_S1C_S1D_jS1E_jS1F_S1F_jjS1H_bEUljE0_EEES10_S11_S12_S19_S1D_S1F_T6_T7_T9_mT8_S1H_bDpT10_ENKUlT_T0_E_clISt17integral_constantIbLb1EES1U_IbLb0EEEEDaS1Q_S1R_EUlS1Q_E_NS1_11comp_targetILNS1_3genE10ELNS1_11target_archE1200ELNS1_3gpuE4ELNS1_3repE0EEENS1_30default_config_static_selectorELNS0_4arch9wavefront6targetE1EEEvS13_.private_seg_size, 0
	.set _ZN7rocprim17ROCPRIM_400000_NS6detail17trampoline_kernelINS0_13select_configILj256ELj13ELNS0_17block_load_methodE3ELS4_3ELS4_3ELNS0_20block_scan_algorithmE0ELj4294967295EEENS1_25partition_config_selectorILNS1_17partition_subalgoE4EjNS0_10empty_typeEbEEZZNS1_14partition_implILS8_4ELb0ES6_15HIP_vector_typeIjLj2EENS0_17counting_iteratorIjlEEPS9_SG_NS0_5tupleIJPjSI_NS0_16reverse_iteratorISI_EEEEENSH_IJSG_SG_SG_EEES9_SI_JZNS1_25segmented_radix_sort_implINS0_14default_configELb0EPK12hip_bfloat16PSP_PKlPlN2at6native12_GLOBAL__N_18offset_tEEE10hipError_tPvRmT1_PNSt15iterator_traitsIS13_E10value_typeET2_T3_PNS14_IS19_E10value_typeET4_jRbjT5_S1F_jjP12ihipStream_tbEUljE_ZNSN_ISO_Lb0ESR_SS_SU_SV_SZ_EES10_S11_S12_S13_S17_S18_S19_S1C_S1D_jS1E_jS1F_S1F_jjS1H_bEUljE0_EEES10_S11_S12_S19_S1D_S1F_T6_T7_T9_mT8_S1H_bDpT10_ENKUlT_T0_E_clISt17integral_constantIbLb1EES1U_IbLb0EEEEDaS1Q_S1R_EUlS1Q_E_NS1_11comp_targetILNS1_3genE10ELNS1_11target_archE1200ELNS1_3gpuE4ELNS1_3repE0EEENS1_30default_config_static_selectorELNS0_4arch9wavefront6targetE1EEEvS13_.uses_vcc, 0
	.set _ZN7rocprim17ROCPRIM_400000_NS6detail17trampoline_kernelINS0_13select_configILj256ELj13ELNS0_17block_load_methodE3ELS4_3ELS4_3ELNS0_20block_scan_algorithmE0ELj4294967295EEENS1_25partition_config_selectorILNS1_17partition_subalgoE4EjNS0_10empty_typeEbEEZZNS1_14partition_implILS8_4ELb0ES6_15HIP_vector_typeIjLj2EENS0_17counting_iteratorIjlEEPS9_SG_NS0_5tupleIJPjSI_NS0_16reverse_iteratorISI_EEEEENSH_IJSG_SG_SG_EEES9_SI_JZNS1_25segmented_radix_sort_implINS0_14default_configELb0EPK12hip_bfloat16PSP_PKlPlN2at6native12_GLOBAL__N_18offset_tEEE10hipError_tPvRmT1_PNSt15iterator_traitsIS13_E10value_typeET2_T3_PNS14_IS19_E10value_typeET4_jRbjT5_S1F_jjP12ihipStream_tbEUljE_ZNSN_ISO_Lb0ESR_SS_SU_SV_SZ_EES10_S11_S12_S13_S17_S18_S19_S1C_S1D_jS1E_jS1F_S1F_jjS1H_bEUljE0_EEES10_S11_S12_S19_S1D_S1F_T6_T7_T9_mT8_S1H_bDpT10_ENKUlT_T0_E_clISt17integral_constantIbLb1EES1U_IbLb0EEEEDaS1Q_S1R_EUlS1Q_E_NS1_11comp_targetILNS1_3genE10ELNS1_11target_archE1200ELNS1_3gpuE4ELNS1_3repE0EEENS1_30default_config_static_selectorELNS0_4arch9wavefront6targetE1EEEvS13_.uses_flat_scratch, 0
	.set _ZN7rocprim17ROCPRIM_400000_NS6detail17trampoline_kernelINS0_13select_configILj256ELj13ELNS0_17block_load_methodE3ELS4_3ELS4_3ELNS0_20block_scan_algorithmE0ELj4294967295EEENS1_25partition_config_selectorILNS1_17partition_subalgoE4EjNS0_10empty_typeEbEEZZNS1_14partition_implILS8_4ELb0ES6_15HIP_vector_typeIjLj2EENS0_17counting_iteratorIjlEEPS9_SG_NS0_5tupleIJPjSI_NS0_16reverse_iteratorISI_EEEEENSH_IJSG_SG_SG_EEES9_SI_JZNS1_25segmented_radix_sort_implINS0_14default_configELb0EPK12hip_bfloat16PSP_PKlPlN2at6native12_GLOBAL__N_18offset_tEEE10hipError_tPvRmT1_PNSt15iterator_traitsIS13_E10value_typeET2_T3_PNS14_IS19_E10value_typeET4_jRbjT5_S1F_jjP12ihipStream_tbEUljE_ZNSN_ISO_Lb0ESR_SS_SU_SV_SZ_EES10_S11_S12_S13_S17_S18_S19_S1C_S1D_jS1E_jS1F_S1F_jjS1H_bEUljE0_EEES10_S11_S12_S19_S1D_S1F_T6_T7_T9_mT8_S1H_bDpT10_ENKUlT_T0_E_clISt17integral_constantIbLb1EES1U_IbLb0EEEEDaS1Q_S1R_EUlS1Q_E_NS1_11comp_targetILNS1_3genE10ELNS1_11target_archE1200ELNS1_3gpuE4ELNS1_3repE0EEENS1_30default_config_static_selectorELNS0_4arch9wavefront6targetE1EEEvS13_.has_dyn_sized_stack, 0
	.set _ZN7rocprim17ROCPRIM_400000_NS6detail17trampoline_kernelINS0_13select_configILj256ELj13ELNS0_17block_load_methodE3ELS4_3ELS4_3ELNS0_20block_scan_algorithmE0ELj4294967295EEENS1_25partition_config_selectorILNS1_17partition_subalgoE4EjNS0_10empty_typeEbEEZZNS1_14partition_implILS8_4ELb0ES6_15HIP_vector_typeIjLj2EENS0_17counting_iteratorIjlEEPS9_SG_NS0_5tupleIJPjSI_NS0_16reverse_iteratorISI_EEEEENSH_IJSG_SG_SG_EEES9_SI_JZNS1_25segmented_radix_sort_implINS0_14default_configELb0EPK12hip_bfloat16PSP_PKlPlN2at6native12_GLOBAL__N_18offset_tEEE10hipError_tPvRmT1_PNSt15iterator_traitsIS13_E10value_typeET2_T3_PNS14_IS19_E10value_typeET4_jRbjT5_S1F_jjP12ihipStream_tbEUljE_ZNSN_ISO_Lb0ESR_SS_SU_SV_SZ_EES10_S11_S12_S13_S17_S18_S19_S1C_S1D_jS1E_jS1F_S1F_jjS1H_bEUljE0_EEES10_S11_S12_S19_S1D_S1F_T6_T7_T9_mT8_S1H_bDpT10_ENKUlT_T0_E_clISt17integral_constantIbLb1EES1U_IbLb0EEEEDaS1Q_S1R_EUlS1Q_E_NS1_11comp_targetILNS1_3genE10ELNS1_11target_archE1200ELNS1_3gpuE4ELNS1_3repE0EEENS1_30default_config_static_selectorELNS0_4arch9wavefront6targetE1EEEvS13_.has_recursion, 0
	.set _ZN7rocprim17ROCPRIM_400000_NS6detail17trampoline_kernelINS0_13select_configILj256ELj13ELNS0_17block_load_methodE3ELS4_3ELS4_3ELNS0_20block_scan_algorithmE0ELj4294967295EEENS1_25partition_config_selectorILNS1_17partition_subalgoE4EjNS0_10empty_typeEbEEZZNS1_14partition_implILS8_4ELb0ES6_15HIP_vector_typeIjLj2EENS0_17counting_iteratorIjlEEPS9_SG_NS0_5tupleIJPjSI_NS0_16reverse_iteratorISI_EEEEENSH_IJSG_SG_SG_EEES9_SI_JZNS1_25segmented_radix_sort_implINS0_14default_configELb0EPK12hip_bfloat16PSP_PKlPlN2at6native12_GLOBAL__N_18offset_tEEE10hipError_tPvRmT1_PNSt15iterator_traitsIS13_E10value_typeET2_T3_PNS14_IS19_E10value_typeET4_jRbjT5_S1F_jjP12ihipStream_tbEUljE_ZNSN_ISO_Lb0ESR_SS_SU_SV_SZ_EES10_S11_S12_S13_S17_S18_S19_S1C_S1D_jS1E_jS1F_S1F_jjS1H_bEUljE0_EEES10_S11_S12_S19_S1D_S1F_T6_T7_T9_mT8_S1H_bDpT10_ENKUlT_T0_E_clISt17integral_constantIbLb1EES1U_IbLb0EEEEDaS1Q_S1R_EUlS1Q_E_NS1_11comp_targetILNS1_3genE10ELNS1_11target_archE1200ELNS1_3gpuE4ELNS1_3repE0EEENS1_30default_config_static_selectorELNS0_4arch9wavefront6targetE1EEEvS13_.has_indirect_call, 0
	.section	.AMDGPU.csdata,"",@progbits
; Kernel info:
; codeLenInByte = 0
; TotalNumSgprs: 4
; NumVgprs: 0
; ScratchSize: 0
; MemoryBound: 0
; FloatMode: 240
; IeeeMode: 1
; LDSByteSize: 0 bytes/workgroup (compile time only)
; SGPRBlocks: 0
; VGPRBlocks: 0
; NumSGPRsForWavesPerEU: 4
; NumVGPRsForWavesPerEU: 1
; Occupancy: 10
; WaveLimiterHint : 0
; COMPUTE_PGM_RSRC2:SCRATCH_EN: 0
; COMPUTE_PGM_RSRC2:USER_SGPR: 6
; COMPUTE_PGM_RSRC2:TRAP_HANDLER: 0
; COMPUTE_PGM_RSRC2:TGID_X_EN: 1
; COMPUTE_PGM_RSRC2:TGID_Y_EN: 0
; COMPUTE_PGM_RSRC2:TGID_Z_EN: 0
; COMPUTE_PGM_RSRC2:TIDIG_COMP_CNT: 0
	.section	.text._ZN7rocprim17ROCPRIM_400000_NS6detail17trampoline_kernelINS0_13select_configILj256ELj13ELNS0_17block_load_methodE3ELS4_3ELS4_3ELNS0_20block_scan_algorithmE0ELj4294967295EEENS1_25partition_config_selectorILNS1_17partition_subalgoE4EjNS0_10empty_typeEbEEZZNS1_14partition_implILS8_4ELb0ES6_15HIP_vector_typeIjLj2EENS0_17counting_iteratorIjlEEPS9_SG_NS0_5tupleIJPjSI_NS0_16reverse_iteratorISI_EEEEENSH_IJSG_SG_SG_EEES9_SI_JZNS1_25segmented_radix_sort_implINS0_14default_configELb0EPK12hip_bfloat16PSP_PKlPlN2at6native12_GLOBAL__N_18offset_tEEE10hipError_tPvRmT1_PNSt15iterator_traitsIS13_E10value_typeET2_T3_PNS14_IS19_E10value_typeET4_jRbjT5_S1F_jjP12ihipStream_tbEUljE_ZNSN_ISO_Lb0ESR_SS_SU_SV_SZ_EES10_S11_S12_S13_S17_S18_S19_S1C_S1D_jS1E_jS1F_S1F_jjS1H_bEUljE0_EEES10_S11_S12_S19_S1D_S1F_T6_T7_T9_mT8_S1H_bDpT10_ENKUlT_T0_E_clISt17integral_constantIbLb1EES1U_IbLb0EEEEDaS1Q_S1R_EUlS1Q_E_NS1_11comp_targetILNS1_3genE9ELNS1_11target_archE1100ELNS1_3gpuE3ELNS1_3repE0EEENS1_30default_config_static_selectorELNS0_4arch9wavefront6targetE1EEEvS13_,"axG",@progbits,_ZN7rocprim17ROCPRIM_400000_NS6detail17trampoline_kernelINS0_13select_configILj256ELj13ELNS0_17block_load_methodE3ELS4_3ELS4_3ELNS0_20block_scan_algorithmE0ELj4294967295EEENS1_25partition_config_selectorILNS1_17partition_subalgoE4EjNS0_10empty_typeEbEEZZNS1_14partition_implILS8_4ELb0ES6_15HIP_vector_typeIjLj2EENS0_17counting_iteratorIjlEEPS9_SG_NS0_5tupleIJPjSI_NS0_16reverse_iteratorISI_EEEEENSH_IJSG_SG_SG_EEES9_SI_JZNS1_25segmented_radix_sort_implINS0_14default_configELb0EPK12hip_bfloat16PSP_PKlPlN2at6native12_GLOBAL__N_18offset_tEEE10hipError_tPvRmT1_PNSt15iterator_traitsIS13_E10value_typeET2_T3_PNS14_IS19_E10value_typeET4_jRbjT5_S1F_jjP12ihipStream_tbEUljE_ZNSN_ISO_Lb0ESR_SS_SU_SV_SZ_EES10_S11_S12_S13_S17_S18_S19_S1C_S1D_jS1E_jS1F_S1F_jjS1H_bEUljE0_EEES10_S11_S12_S19_S1D_S1F_T6_T7_T9_mT8_S1H_bDpT10_ENKUlT_T0_E_clISt17integral_constantIbLb1EES1U_IbLb0EEEEDaS1Q_S1R_EUlS1Q_E_NS1_11comp_targetILNS1_3genE9ELNS1_11target_archE1100ELNS1_3gpuE3ELNS1_3repE0EEENS1_30default_config_static_selectorELNS0_4arch9wavefront6targetE1EEEvS13_,comdat
	.globl	_ZN7rocprim17ROCPRIM_400000_NS6detail17trampoline_kernelINS0_13select_configILj256ELj13ELNS0_17block_load_methodE3ELS4_3ELS4_3ELNS0_20block_scan_algorithmE0ELj4294967295EEENS1_25partition_config_selectorILNS1_17partition_subalgoE4EjNS0_10empty_typeEbEEZZNS1_14partition_implILS8_4ELb0ES6_15HIP_vector_typeIjLj2EENS0_17counting_iteratorIjlEEPS9_SG_NS0_5tupleIJPjSI_NS0_16reverse_iteratorISI_EEEEENSH_IJSG_SG_SG_EEES9_SI_JZNS1_25segmented_radix_sort_implINS0_14default_configELb0EPK12hip_bfloat16PSP_PKlPlN2at6native12_GLOBAL__N_18offset_tEEE10hipError_tPvRmT1_PNSt15iterator_traitsIS13_E10value_typeET2_T3_PNS14_IS19_E10value_typeET4_jRbjT5_S1F_jjP12ihipStream_tbEUljE_ZNSN_ISO_Lb0ESR_SS_SU_SV_SZ_EES10_S11_S12_S13_S17_S18_S19_S1C_S1D_jS1E_jS1F_S1F_jjS1H_bEUljE0_EEES10_S11_S12_S19_S1D_S1F_T6_T7_T9_mT8_S1H_bDpT10_ENKUlT_T0_E_clISt17integral_constantIbLb1EES1U_IbLb0EEEEDaS1Q_S1R_EUlS1Q_E_NS1_11comp_targetILNS1_3genE9ELNS1_11target_archE1100ELNS1_3gpuE3ELNS1_3repE0EEENS1_30default_config_static_selectorELNS0_4arch9wavefront6targetE1EEEvS13_ ; -- Begin function _ZN7rocprim17ROCPRIM_400000_NS6detail17trampoline_kernelINS0_13select_configILj256ELj13ELNS0_17block_load_methodE3ELS4_3ELS4_3ELNS0_20block_scan_algorithmE0ELj4294967295EEENS1_25partition_config_selectorILNS1_17partition_subalgoE4EjNS0_10empty_typeEbEEZZNS1_14partition_implILS8_4ELb0ES6_15HIP_vector_typeIjLj2EENS0_17counting_iteratorIjlEEPS9_SG_NS0_5tupleIJPjSI_NS0_16reverse_iteratorISI_EEEEENSH_IJSG_SG_SG_EEES9_SI_JZNS1_25segmented_radix_sort_implINS0_14default_configELb0EPK12hip_bfloat16PSP_PKlPlN2at6native12_GLOBAL__N_18offset_tEEE10hipError_tPvRmT1_PNSt15iterator_traitsIS13_E10value_typeET2_T3_PNS14_IS19_E10value_typeET4_jRbjT5_S1F_jjP12ihipStream_tbEUljE_ZNSN_ISO_Lb0ESR_SS_SU_SV_SZ_EES10_S11_S12_S13_S17_S18_S19_S1C_S1D_jS1E_jS1F_S1F_jjS1H_bEUljE0_EEES10_S11_S12_S19_S1D_S1F_T6_T7_T9_mT8_S1H_bDpT10_ENKUlT_T0_E_clISt17integral_constantIbLb1EES1U_IbLb0EEEEDaS1Q_S1R_EUlS1Q_E_NS1_11comp_targetILNS1_3genE9ELNS1_11target_archE1100ELNS1_3gpuE3ELNS1_3repE0EEENS1_30default_config_static_selectorELNS0_4arch9wavefront6targetE1EEEvS13_
	.p2align	8
	.type	_ZN7rocprim17ROCPRIM_400000_NS6detail17trampoline_kernelINS0_13select_configILj256ELj13ELNS0_17block_load_methodE3ELS4_3ELS4_3ELNS0_20block_scan_algorithmE0ELj4294967295EEENS1_25partition_config_selectorILNS1_17partition_subalgoE4EjNS0_10empty_typeEbEEZZNS1_14partition_implILS8_4ELb0ES6_15HIP_vector_typeIjLj2EENS0_17counting_iteratorIjlEEPS9_SG_NS0_5tupleIJPjSI_NS0_16reverse_iteratorISI_EEEEENSH_IJSG_SG_SG_EEES9_SI_JZNS1_25segmented_radix_sort_implINS0_14default_configELb0EPK12hip_bfloat16PSP_PKlPlN2at6native12_GLOBAL__N_18offset_tEEE10hipError_tPvRmT1_PNSt15iterator_traitsIS13_E10value_typeET2_T3_PNS14_IS19_E10value_typeET4_jRbjT5_S1F_jjP12ihipStream_tbEUljE_ZNSN_ISO_Lb0ESR_SS_SU_SV_SZ_EES10_S11_S12_S13_S17_S18_S19_S1C_S1D_jS1E_jS1F_S1F_jjS1H_bEUljE0_EEES10_S11_S12_S19_S1D_S1F_T6_T7_T9_mT8_S1H_bDpT10_ENKUlT_T0_E_clISt17integral_constantIbLb1EES1U_IbLb0EEEEDaS1Q_S1R_EUlS1Q_E_NS1_11comp_targetILNS1_3genE9ELNS1_11target_archE1100ELNS1_3gpuE3ELNS1_3repE0EEENS1_30default_config_static_selectorELNS0_4arch9wavefront6targetE1EEEvS13_,@function
_ZN7rocprim17ROCPRIM_400000_NS6detail17trampoline_kernelINS0_13select_configILj256ELj13ELNS0_17block_load_methodE3ELS4_3ELS4_3ELNS0_20block_scan_algorithmE0ELj4294967295EEENS1_25partition_config_selectorILNS1_17partition_subalgoE4EjNS0_10empty_typeEbEEZZNS1_14partition_implILS8_4ELb0ES6_15HIP_vector_typeIjLj2EENS0_17counting_iteratorIjlEEPS9_SG_NS0_5tupleIJPjSI_NS0_16reverse_iteratorISI_EEEEENSH_IJSG_SG_SG_EEES9_SI_JZNS1_25segmented_radix_sort_implINS0_14default_configELb0EPK12hip_bfloat16PSP_PKlPlN2at6native12_GLOBAL__N_18offset_tEEE10hipError_tPvRmT1_PNSt15iterator_traitsIS13_E10value_typeET2_T3_PNS14_IS19_E10value_typeET4_jRbjT5_S1F_jjP12ihipStream_tbEUljE_ZNSN_ISO_Lb0ESR_SS_SU_SV_SZ_EES10_S11_S12_S13_S17_S18_S19_S1C_S1D_jS1E_jS1F_S1F_jjS1H_bEUljE0_EEES10_S11_S12_S19_S1D_S1F_T6_T7_T9_mT8_S1H_bDpT10_ENKUlT_T0_E_clISt17integral_constantIbLb1EES1U_IbLb0EEEEDaS1Q_S1R_EUlS1Q_E_NS1_11comp_targetILNS1_3genE9ELNS1_11target_archE1100ELNS1_3gpuE3ELNS1_3repE0EEENS1_30default_config_static_selectorELNS0_4arch9wavefront6targetE1EEEvS13_: ; @_ZN7rocprim17ROCPRIM_400000_NS6detail17trampoline_kernelINS0_13select_configILj256ELj13ELNS0_17block_load_methodE3ELS4_3ELS4_3ELNS0_20block_scan_algorithmE0ELj4294967295EEENS1_25partition_config_selectorILNS1_17partition_subalgoE4EjNS0_10empty_typeEbEEZZNS1_14partition_implILS8_4ELb0ES6_15HIP_vector_typeIjLj2EENS0_17counting_iteratorIjlEEPS9_SG_NS0_5tupleIJPjSI_NS0_16reverse_iteratorISI_EEEEENSH_IJSG_SG_SG_EEES9_SI_JZNS1_25segmented_radix_sort_implINS0_14default_configELb0EPK12hip_bfloat16PSP_PKlPlN2at6native12_GLOBAL__N_18offset_tEEE10hipError_tPvRmT1_PNSt15iterator_traitsIS13_E10value_typeET2_T3_PNS14_IS19_E10value_typeET4_jRbjT5_S1F_jjP12ihipStream_tbEUljE_ZNSN_ISO_Lb0ESR_SS_SU_SV_SZ_EES10_S11_S12_S13_S17_S18_S19_S1C_S1D_jS1E_jS1F_S1F_jjS1H_bEUljE0_EEES10_S11_S12_S19_S1D_S1F_T6_T7_T9_mT8_S1H_bDpT10_ENKUlT_T0_E_clISt17integral_constantIbLb1EES1U_IbLb0EEEEDaS1Q_S1R_EUlS1Q_E_NS1_11comp_targetILNS1_3genE9ELNS1_11target_archE1100ELNS1_3gpuE3ELNS1_3repE0EEENS1_30default_config_static_selectorELNS0_4arch9wavefront6targetE1EEEvS13_
; %bb.0:
	.section	.rodata,"a",@progbits
	.p2align	6, 0x0
	.amdhsa_kernel _ZN7rocprim17ROCPRIM_400000_NS6detail17trampoline_kernelINS0_13select_configILj256ELj13ELNS0_17block_load_methodE3ELS4_3ELS4_3ELNS0_20block_scan_algorithmE0ELj4294967295EEENS1_25partition_config_selectorILNS1_17partition_subalgoE4EjNS0_10empty_typeEbEEZZNS1_14partition_implILS8_4ELb0ES6_15HIP_vector_typeIjLj2EENS0_17counting_iteratorIjlEEPS9_SG_NS0_5tupleIJPjSI_NS0_16reverse_iteratorISI_EEEEENSH_IJSG_SG_SG_EEES9_SI_JZNS1_25segmented_radix_sort_implINS0_14default_configELb0EPK12hip_bfloat16PSP_PKlPlN2at6native12_GLOBAL__N_18offset_tEEE10hipError_tPvRmT1_PNSt15iterator_traitsIS13_E10value_typeET2_T3_PNS14_IS19_E10value_typeET4_jRbjT5_S1F_jjP12ihipStream_tbEUljE_ZNSN_ISO_Lb0ESR_SS_SU_SV_SZ_EES10_S11_S12_S13_S17_S18_S19_S1C_S1D_jS1E_jS1F_S1F_jjS1H_bEUljE0_EEES10_S11_S12_S19_S1D_S1F_T6_T7_T9_mT8_S1H_bDpT10_ENKUlT_T0_E_clISt17integral_constantIbLb1EES1U_IbLb0EEEEDaS1Q_S1R_EUlS1Q_E_NS1_11comp_targetILNS1_3genE9ELNS1_11target_archE1100ELNS1_3gpuE3ELNS1_3repE0EEENS1_30default_config_static_selectorELNS0_4arch9wavefront6targetE1EEEvS13_
		.amdhsa_group_segment_fixed_size 0
		.amdhsa_private_segment_fixed_size 0
		.amdhsa_kernarg_size 176
		.amdhsa_user_sgpr_count 6
		.amdhsa_user_sgpr_private_segment_buffer 1
		.amdhsa_user_sgpr_dispatch_ptr 0
		.amdhsa_user_sgpr_queue_ptr 0
		.amdhsa_user_sgpr_kernarg_segment_ptr 1
		.amdhsa_user_sgpr_dispatch_id 0
		.amdhsa_user_sgpr_flat_scratch_init 0
		.amdhsa_user_sgpr_private_segment_size 0
		.amdhsa_uses_dynamic_stack 0
		.amdhsa_system_sgpr_private_segment_wavefront_offset 0
		.amdhsa_system_sgpr_workgroup_id_x 1
		.amdhsa_system_sgpr_workgroup_id_y 0
		.amdhsa_system_sgpr_workgroup_id_z 0
		.amdhsa_system_sgpr_workgroup_info 0
		.amdhsa_system_vgpr_workitem_id 0
		.amdhsa_next_free_vgpr 1
		.amdhsa_next_free_sgpr 0
		.amdhsa_reserve_vcc 0
		.amdhsa_reserve_flat_scratch 0
		.amdhsa_float_round_mode_32 0
		.amdhsa_float_round_mode_16_64 0
		.amdhsa_float_denorm_mode_32 3
		.amdhsa_float_denorm_mode_16_64 3
		.amdhsa_dx10_clamp 1
		.amdhsa_ieee_mode 1
		.amdhsa_fp16_overflow 0
		.amdhsa_exception_fp_ieee_invalid_op 0
		.amdhsa_exception_fp_denorm_src 0
		.amdhsa_exception_fp_ieee_div_zero 0
		.amdhsa_exception_fp_ieee_overflow 0
		.amdhsa_exception_fp_ieee_underflow 0
		.amdhsa_exception_fp_ieee_inexact 0
		.amdhsa_exception_int_div_zero 0
	.end_amdhsa_kernel
	.section	.text._ZN7rocprim17ROCPRIM_400000_NS6detail17trampoline_kernelINS0_13select_configILj256ELj13ELNS0_17block_load_methodE3ELS4_3ELS4_3ELNS0_20block_scan_algorithmE0ELj4294967295EEENS1_25partition_config_selectorILNS1_17partition_subalgoE4EjNS0_10empty_typeEbEEZZNS1_14partition_implILS8_4ELb0ES6_15HIP_vector_typeIjLj2EENS0_17counting_iteratorIjlEEPS9_SG_NS0_5tupleIJPjSI_NS0_16reverse_iteratorISI_EEEEENSH_IJSG_SG_SG_EEES9_SI_JZNS1_25segmented_radix_sort_implINS0_14default_configELb0EPK12hip_bfloat16PSP_PKlPlN2at6native12_GLOBAL__N_18offset_tEEE10hipError_tPvRmT1_PNSt15iterator_traitsIS13_E10value_typeET2_T3_PNS14_IS19_E10value_typeET4_jRbjT5_S1F_jjP12ihipStream_tbEUljE_ZNSN_ISO_Lb0ESR_SS_SU_SV_SZ_EES10_S11_S12_S13_S17_S18_S19_S1C_S1D_jS1E_jS1F_S1F_jjS1H_bEUljE0_EEES10_S11_S12_S19_S1D_S1F_T6_T7_T9_mT8_S1H_bDpT10_ENKUlT_T0_E_clISt17integral_constantIbLb1EES1U_IbLb0EEEEDaS1Q_S1R_EUlS1Q_E_NS1_11comp_targetILNS1_3genE9ELNS1_11target_archE1100ELNS1_3gpuE3ELNS1_3repE0EEENS1_30default_config_static_selectorELNS0_4arch9wavefront6targetE1EEEvS13_,"axG",@progbits,_ZN7rocprim17ROCPRIM_400000_NS6detail17trampoline_kernelINS0_13select_configILj256ELj13ELNS0_17block_load_methodE3ELS4_3ELS4_3ELNS0_20block_scan_algorithmE0ELj4294967295EEENS1_25partition_config_selectorILNS1_17partition_subalgoE4EjNS0_10empty_typeEbEEZZNS1_14partition_implILS8_4ELb0ES6_15HIP_vector_typeIjLj2EENS0_17counting_iteratorIjlEEPS9_SG_NS0_5tupleIJPjSI_NS0_16reverse_iteratorISI_EEEEENSH_IJSG_SG_SG_EEES9_SI_JZNS1_25segmented_radix_sort_implINS0_14default_configELb0EPK12hip_bfloat16PSP_PKlPlN2at6native12_GLOBAL__N_18offset_tEEE10hipError_tPvRmT1_PNSt15iterator_traitsIS13_E10value_typeET2_T3_PNS14_IS19_E10value_typeET4_jRbjT5_S1F_jjP12ihipStream_tbEUljE_ZNSN_ISO_Lb0ESR_SS_SU_SV_SZ_EES10_S11_S12_S13_S17_S18_S19_S1C_S1D_jS1E_jS1F_S1F_jjS1H_bEUljE0_EEES10_S11_S12_S19_S1D_S1F_T6_T7_T9_mT8_S1H_bDpT10_ENKUlT_T0_E_clISt17integral_constantIbLb1EES1U_IbLb0EEEEDaS1Q_S1R_EUlS1Q_E_NS1_11comp_targetILNS1_3genE9ELNS1_11target_archE1100ELNS1_3gpuE3ELNS1_3repE0EEENS1_30default_config_static_selectorELNS0_4arch9wavefront6targetE1EEEvS13_,comdat
.Lfunc_end2007:
	.size	_ZN7rocprim17ROCPRIM_400000_NS6detail17trampoline_kernelINS0_13select_configILj256ELj13ELNS0_17block_load_methodE3ELS4_3ELS4_3ELNS0_20block_scan_algorithmE0ELj4294967295EEENS1_25partition_config_selectorILNS1_17partition_subalgoE4EjNS0_10empty_typeEbEEZZNS1_14partition_implILS8_4ELb0ES6_15HIP_vector_typeIjLj2EENS0_17counting_iteratorIjlEEPS9_SG_NS0_5tupleIJPjSI_NS0_16reverse_iteratorISI_EEEEENSH_IJSG_SG_SG_EEES9_SI_JZNS1_25segmented_radix_sort_implINS0_14default_configELb0EPK12hip_bfloat16PSP_PKlPlN2at6native12_GLOBAL__N_18offset_tEEE10hipError_tPvRmT1_PNSt15iterator_traitsIS13_E10value_typeET2_T3_PNS14_IS19_E10value_typeET4_jRbjT5_S1F_jjP12ihipStream_tbEUljE_ZNSN_ISO_Lb0ESR_SS_SU_SV_SZ_EES10_S11_S12_S13_S17_S18_S19_S1C_S1D_jS1E_jS1F_S1F_jjS1H_bEUljE0_EEES10_S11_S12_S19_S1D_S1F_T6_T7_T9_mT8_S1H_bDpT10_ENKUlT_T0_E_clISt17integral_constantIbLb1EES1U_IbLb0EEEEDaS1Q_S1R_EUlS1Q_E_NS1_11comp_targetILNS1_3genE9ELNS1_11target_archE1100ELNS1_3gpuE3ELNS1_3repE0EEENS1_30default_config_static_selectorELNS0_4arch9wavefront6targetE1EEEvS13_, .Lfunc_end2007-_ZN7rocprim17ROCPRIM_400000_NS6detail17trampoline_kernelINS0_13select_configILj256ELj13ELNS0_17block_load_methodE3ELS4_3ELS4_3ELNS0_20block_scan_algorithmE0ELj4294967295EEENS1_25partition_config_selectorILNS1_17partition_subalgoE4EjNS0_10empty_typeEbEEZZNS1_14partition_implILS8_4ELb0ES6_15HIP_vector_typeIjLj2EENS0_17counting_iteratorIjlEEPS9_SG_NS0_5tupleIJPjSI_NS0_16reverse_iteratorISI_EEEEENSH_IJSG_SG_SG_EEES9_SI_JZNS1_25segmented_radix_sort_implINS0_14default_configELb0EPK12hip_bfloat16PSP_PKlPlN2at6native12_GLOBAL__N_18offset_tEEE10hipError_tPvRmT1_PNSt15iterator_traitsIS13_E10value_typeET2_T3_PNS14_IS19_E10value_typeET4_jRbjT5_S1F_jjP12ihipStream_tbEUljE_ZNSN_ISO_Lb0ESR_SS_SU_SV_SZ_EES10_S11_S12_S13_S17_S18_S19_S1C_S1D_jS1E_jS1F_S1F_jjS1H_bEUljE0_EEES10_S11_S12_S19_S1D_S1F_T6_T7_T9_mT8_S1H_bDpT10_ENKUlT_T0_E_clISt17integral_constantIbLb1EES1U_IbLb0EEEEDaS1Q_S1R_EUlS1Q_E_NS1_11comp_targetILNS1_3genE9ELNS1_11target_archE1100ELNS1_3gpuE3ELNS1_3repE0EEENS1_30default_config_static_selectorELNS0_4arch9wavefront6targetE1EEEvS13_
                                        ; -- End function
	.set _ZN7rocprim17ROCPRIM_400000_NS6detail17trampoline_kernelINS0_13select_configILj256ELj13ELNS0_17block_load_methodE3ELS4_3ELS4_3ELNS0_20block_scan_algorithmE0ELj4294967295EEENS1_25partition_config_selectorILNS1_17partition_subalgoE4EjNS0_10empty_typeEbEEZZNS1_14partition_implILS8_4ELb0ES6_15HIP_vector_typeIjLj2EENS0_17counting_iteratorIjlEEPS9_SG_NS0_5tupleIJPjSI_NS0_16reverse_iteratorISI_EEEEENSH_IJSG_SG_SG_EEES9_SI_JZNS1_25segmented_radix_sort_implINS0_14default_configELb0EPK12hip_bfloat16PSP_PKlPlN2at6native12_GLOBAL__N_18offset_tEEE10hipError_tPvRmT1_PNSt15iterator_traitsIS13_E10value_typeET2_T3_PNS14_IS19_E10value_typeET4_jRbjT5_S1F_jjP12ihipStream_tbEUljE_ZNSN_ISO_Lb0ESR_SS_SU_SV_SZ_EES10_S11_S12_S13_S17_S18_S19_S1C_S1D_jS1E_jS1F_S1F_jjS1H_bEUljE0_EEES10_S11_S12_S19_S1D_S1F_T6_T7_T9_mT8_S1H_bDpT10_ENKUlT_T0_E_clISt17integral_constantIbLb1EES1U_IbLb0EEEEDaS1Q_S1R_EUlS1Q_E_NS1_11comp_targetILNS1_3genE9ELNS1_11target_archE1100ELNS1_3gpuE3ELNS1_3repE0EEENS1_30default_config_static_selectorELNS0_4arch9wavefront6targetE1EEEvS13_.num_vgpr, 0
	.set _ZN7rocprim17ROCPRIM_400000_NS6detail17trampoline_kernelINS0_13select_configILj256ELj13ELNS0_17block_load_methodE3ELS4_3ELS4_3ELNS0_20block_scan_algorithmE0ELj4294967295EEENS1_25partition_config_selectorILNS1_17partition_subalgoE4EjNS0_10empty_typeEbEEZZNS1_14partition_implILS8_4ELb0ES6_15HIP_vector_typeIjLj2EENS0_17counting_iteratorIjlEEPS9_SG_NS0_5tupleIJPjSI_NS0_16reverse_iteratorISI_EEEEENSH_IJSG_SG_SG_EEES9_SI_JZNS1_25segmented_radix_sort_implINS0_14default_configELb0EPK12hip_bfloat16PSP_PKlPlN2at6native12_GLOBAL__N_18offset_tEEE10hipError_tPvRmT1_PNSt15iterator_traitsIS13_E10value_typeET2_T3_PNS14_IS19_E10value_typeET4_jRbjT5_S1F_jjP12ihipStream_tbEUljE_ZNSN_ISO_Lb0ESR_SS_SU_SV_SZ_EES10_S11_S12_S13_S17_S18_S19_S1C_S1D_jS1E_jS1F_S1F_jjS1H_bEUljE0_EEES10_S11_S12_S19_S1D_S1F_T6_T7_T9_mT8_S1H_bDpT10_ENKUlT_T0_E_clISt17integral_constantIbLb1EES1U_IbLb0EEEEDaS1Q_S1R_EUlS1Q_E_NS1_11comp_targetILNS1_3genE9ELNS1_11target_archE1100ELNS1_3gpuE3ELNS1_3repE0EEENS1_30default_config_static_selectorELNS0_4arch9wavefront6targetE1EEEvS13_.num_agpr, 0
	.set _ZN7rocprim17ROCPRIM_400000_NS6detail17trampoline_kernelINS0_13select_configILj256ELj13ELNS0_17block_load_methodE3ELS4_3ELS4_3ELNS0_20block_scan_algorithmE0ELj4294967295EEENS1_25partition_config_selectorILNS1_17partition_subalgoE4EjNS0_10empty_typeEbEEZZNS1_14partition_implILS8_4ELb0ES6_15HIP_vector_typeIjLj2EENS0_17counting_iteratorIjlEEPS9_SG_NS0_5tupleIJPjSI_NS0_16reverse_iteratorISI_EEEEENSH_IJSG_SG_SG_EEES9_SI_JZNS1_25segmented_radix_sort_implINS0_14default_configELb0EPK12hip_bfloat16PSP_PKlPlN2at6native12_GLOBAL__N_18offset_tEEE10hipError_tPvRmT1_PNSt15iterator_traitsIS13_E10value_typeET2_T3_PNS14_IS19_E10value_typeET4_jRbjT5_S1F_jjP12ihipStream_tbEUljE_ZNSN_ISO_Lb0ESR_SS_SU_SV_SZ_EES10_S11_S12_S13_S17_S18_S19_S1C_S1D_jS1E_jS1F_S1F_jjS1H_bEUljE0_EEES10_S11_S12_S19_S1D_S1F_T6_T7_T9_mT8_S1H_bDpT10_ENKUlT_T0_E_clISt17integral_constantIbLb1EES1U_IbLb0EEEEDaS1Q_S1R_EUlS1Q_E_NS1_11comp_targetILNS1_3genE9ELNS1_11target_archE1100ELNS1_3gpuE3ELNS1_3repE0EEENS1_30default_config_static_selectorELNS0_4arch9wavefront6targetE1EEEvS13_.numbered_sgpr, 0
	.set _ZN7rocprim17ROCPRIM_400000_NS6detail17trampoline_kernelINS0_13select_configILj256ELj13ELNS0_17block_load_methodE3ELS4_3ELS4_3ELNS0_20block_scan_algorithmE0ELj4294967295EEENS1_25partition_config_selectorILNS1_17partition_subalgoE4EjNS0_10empty_typeEbEEZZNS1_14partition_implILS8_4ELb0ES6_15HIP_vector_typeIjLj2EENS0_17counting_iteratorIjlEEPS9_SG_NS0_5tupleIJPjSI_NS0_16reverse_iteratorISI_EEEEENSH_IJSG_SG_SG_EEES9_SI_JZNS1_25segmented_radix_sort_implINS0_14default_configELb0EPK12hip_bfloat16PSP_PKlPlN2at6native12_GLOBAL__N_18offset_tEEE10hipError_tPvRmT1_PNSt15iterator_traitsIS13_E10value_typeET2_T3_PNS14_IS19_E10value_typeET4_jRbjT5_S1F_jjP12ihipStream_tbEUljE_ZNSN_ISO_Lb0ESR_SS_SU_SV_SZ_EES10_S11_S12_S13_S17_S18_S19_S1C_S1D_jS1E_jS1F_S1F_jjS1H_bEUljE0_EEES10_S11_S12_S19_S1D_S1F_T6_T7_T9_mT8_S1H_bDpT10_ENKUlT_T0_E_clISt17integral_constantIbLb1EES1U_IbLb0EEEEDaS1Q_S1R_EUlS1Q_E_NS1_11comp_targetILNS1_3genE9ELNS1_11target_archE1100ELNS1_3gpuE3ELNS1_3repE0EEENS1_30default_config_static_selectorELNS0_4arch9wavefront6targetE1EEEvS13_.num_named_barrier, 0
	.set _ZN7rocprim17ROCPRIM_400000_NS6detail17trampoline_kernelINS0_13select_configILj256ELj13ELNS0_17block_load_methodE3ELS4_3ELS4_3ELNS0_20block_scan_algorithmE0ELj4294967295EEENS1_25partition_config_selectorILNS1_17partition_subalgoE4EjNS0_10empty_typeEbEEZZNS1_14partition_implILS8_4ELb0ES6_15HIP_vector_typeIjLj2EENS0_17counting_iteratorIjlEEPS9_SG_NS0_5tupleIJPjSI_NS0_16reverse_iteratorISI_EEEEENSH_IJSG_SG_SG_EEES9_SI_JZNS1_25segmented_radix_sort_implINS0_14default_configELb0EPK12hip_bfloat16PSP_PKlPlN2at6native12_GLOBAL__N_18offset_tEEE10hipError_tPvRmT1_PNSt15iterator_traitsIS13_E10value_typeET2_T3_PNS14_IS19_E10value_typeET4_jRbjT5_S1F_jjP12ihipStream_tbEUljE_ZNSN_ISO_Lb0ESR_SS_SU_SV_SZ_EES10_S11_S12_S13_S17_S18_S19_S1C_S1D_jS1E_jS1F_S1F_jjS1H_bEUljE0_EEES10_S11_S12_S19_S1D_S1F_T6_T7_T9_mT8_S1H_bDpT10_ENKUlT_T0_E_clISt17integral_constantIbLb1EES1U_IbLb0EEEEDaS1Q_S1R_EUlS1Q_E_NS1_11comp_targetILNS1_3genE9ELNS1_11target_archE1100ELNS1_3gpuE3ELNS1_3repE0EEENS1_30default_config_static_selectorELNS0_4arch9wavefront6targetE1EEEvS13_.private_seg_size, 0
	.set _ZN7rocprim17ROCPRIM_400000_NS6detail17trampoline_kernelINS0_13select_configILj256ELj13ELNS0_17block_load_methodE3ELS4_3ELS4_3ELNS0_20block_scan_algorithmE0ELj4294967295EEENS1_25partition_config_selectorILNS1_17partition_subalgoE4EjNS0_10empty_typeEbEEZZNS1_14partition_implILS8_4ELb0ES6_15HIP_vector_typeIjLj2EENS0_17counting_iteratorIjlEEPS9_SG_NS0_5tupleIJPjSI_NS0_16reverse_iteratorISI_EEEEENSH_IJSG_SG_SG_EEES9_SI_JZNS1_25segmented_radix_sort_implINS0_14default_configELb0EPK12hip_bfloat16PSP_PKlPlN2at6native12_GLOBAL__N_18offset_tEEE10hipError_tPvRmT1_PNSt15iterator_traitsIS13_E10value_typeET2_T3_PNS14_IS19_E10value_typeET4_jRbjT5_S1F_jjP12ihipStream_tbEUljE_ZNSN_ISO_Lb0ESR_SS_SU_SV_SZ_EES10_S11_S12_S13_S17_S18_S19_S1C_S1D_jS1E_jS1F_S1F_jjS1H_bEUljE0_EEES10_S11_S12_S19_S1D_S1F_T6_T7_T9_mT8_S1H_bDpT10_ENKUlT_T0_E_clISt17integral_constantIbLb1EES1U_IbLb0EEEEDaS1Q_S1R_EUlS1Q_E_NS1_11comp_targetILNS1_3genE9ELNS1_11target_archE1100ELNS1_3gpuE3ELNS1_3repE0EEENS1_30default_config_static_selectorELNS0_4arch9wavefront6targetE1EEEvS13_.uses_vcc, 0
	.set _ZN7rocprim17ROCPRIM_400000_NS6detail17trampoline_kernelINS0_13select_configILj256ELj13ELNS0_17block_load_methodE3ELS4_3ELS4_3ELNS0_20block_scan_algorithmE0ELj4294967295EEENS1_25partition_config_selectorILNS1_17partition_subalgoE4EjNS0_10empty_typeEbEEZZNS1_14partition_implILS8_4ELb0ES6_15HIP_vector_typeIjLj2EENS0_17counting_iteratorIjlEEPS9_SG_NS0_5tupleIJPjSI_NS0_16reverse_iteratorISI_EEEEENSH_IJSG_SG_SG_EEES9_SI_JZNS1_25segmented_radix_sort_implINS0_14default_configELb0EPK12hip_bfloat16PSP_PKlPlN2at6native12_GLOBAL__N_18offset_tEEE10hipError_tPvRmT1_PNSt15iterator_traitsIS13_E10value_typeET2_T3_PNS14_IS19_E10value_typeET4_jRbjT5_S1F_jjP12ihipStream_tbEUljE_ZNSN_ISO_Lb0ESR_SS_SU_SV_SZ_EES10_S11_S12_S13_S17_S18_S19_S1C_S1D_jS1E_jS1F_S1F_jjS1H_bEUljE0_EEES10_S11_S12_S19_S1D_S1F_T6_T7_T9_mT8_S1H_bDpT10_ENKUlT_T0_E_clISt17integral_constantIbLb1EES1U_IbLb0EEEEDaS1Q_S1R_EUlS1Q_E_NS1_11comp_targetILNS1_3genE9ELNS1_11target_archE1100ELNS1_3gpuE3ELNS1_3repE0EEENS1_30default_config_static_selectorELNS0_4arch9wavefront6targetE1EEEvS13_.uses_flat_scratch, 0
	.set _ZN7rocprim17ROCPRIM_400000_NS6detail17trampoline_kernelINS0_13select_configILj256ELj13ELNS0_17block_load_methodE3ELS4_3ELS4_3ELNS0_20block_scan_algorithmE0ELj4294967295EEENS1_25partition_config_selectorILNS1_17partition_subalgoE4EjNS0_10empty_typeEbEEZZNS1_14partition_implILS8_4ELb0ES6_15HIP_vector_typeIjLj2EENS0_17counting_iteratorIjlEEPS9_SG_NS0_5tupleIJPjSI_NS0_16reverse_iteratorISI_EEEEENSH_IJSG_SG_SG_EEES9_SI_JZNS1_25segmented_radix_sort_implINS0_14default_configELb0EPK12hip_bfloat16PSP_PKlPlN2at6native12_GLOBAL__N_18offset_tEEE10hipError_tPvRmT1_PNSt15iterator_traitsIS13_E10value_typeET2_T3_PNS14_IS19_E10value_typeET4_jRbjT5_S1F_jjP12ihipStream_tbEUljE_ZNSN_ISO_Lb0ESR_SS_SU_SV_SZ_EES10_S11_S12_S13_S17_S18_S19_S1C_S1D_jS1E_jS1F_S1F_jjS1H_bEUljE0_EEES10_S11_S12_S19_S1D_S1F_T6_T7_T9_mT8_S1H_bDpT10_ENKUlT_T0_E_clISt17integral_constantIbLb1EES1U_IbLb0EEEEDaS1Q_S1R_EUlS1Q_E_NS1_11comp_targetILNS1_3genE9ELNS1_11target_archE1100ELNS1_3gpuE3ELNS1_3repE0EEENS1_30default_config_static_selectorELNS0_4arch9wavefront6targetE1EEEvS13_.has_dyn_sized_stack, 0
	.set _ZN7rocprim17ROCPRIM_400000_NS6detail17trampoline_kernelINS0_13select_configILj256ELj13ELNS0_17block_load_methodE3ELS4_3ELS4_3ELNS0_20block_scan_algorithmE0ELj4294967295EEENS1_25partition_config_selectorILNS1_17partition_subalgoE4EjNS0_10empty_typeEbEEZZNS1_14partition_implILS8_4ELb0ES6_15HIP_vector_typeIjLj2EENS0_17counting_iteratorIjlEEPS9_SG_NS0_5tupleIJPjSI_NS0_16reverse_iteratorISI_EEEEENSH_IJSG_SG_SG_EEES9_SI_JZNS1_25segmented_radix_sort_implINS0_14default_configELb0EPK12hip_bfloat16PSP_PKlPlN2at6native12_GLOBAL__N_18offset_tEEE10hipError_tPvRmT1_PNSt15iterator_traitsIS13_E10value_typeET2_T3_PNS14_IS19_E10value_typeET4_jRbjT5_S1F_jjP12ihipStream_tbEUljE_ZNSN_ISO_Lb0ESR_SS_SU_SV_SZ_EES10_S11_S12_S13_S17_S18_S19_S1C_S1D_jS1E_jS1F_S1F_jjS1H_bEUljE0_EEES10_S11_S12_S19_S1D_S1F_T6_T7_T9_mT8_S1H_bDpT10_ENKUlT_T0_E_clISt17integral_constantIbLb1EES1U_IbLb0EEEEDaS1Q_S1R_EUlS1Q_E_NS1_11comp_targetILNS1_3genE9ELNS1_11target_archE1100ELNS1_3gpuE3ELNS1_3repE0EEENS1_30default_config_static_selectorELNS0_4arch9wavefront6targetE1EEEvS13_.has_recursion, 0
	.set _ZN7rocprim17ROCPRIM_400000_NS6detail17trampoline_kernelINS0_13select_configILj256ELj13ELNS0_17block_load_methodE3ELS4_3ELS4_3ELNS0_20block_scan_algorithmE0ELj4294967295EEENS1_25partition_config_selectorILNS1_17partition_subalgoE4EjNS0_10empty_typeEbEEZZNS1_14partition_implILS8_4ELb0ES6_15HIP_vector_typeIjLj2EENS0_17counting_iteratorIjlEEPS9_SG_NS0_5tupleIJPjSI_NS0_16reverse_iteratorISI_EEEEENSH_IJSG_SG_SG_EEES9_SI_JZNS1_25segmented_radix_sort_implINS0_14default_configELb0EPK12hip_bfloat16PSP_PKlPlN2at6native12_GLOBAL__N_18offset_tEEE10hipError_tPvRmT1_PNSt15iterator_traitsIS13_E10value_typeET2_T3_PNS14_IS19_E10value_typeET4_jRbjT5_S1F_jjP12ihipStream_tbEUljE_ZNSN_ISO_Lb0ESR_SS_SU_SV_SZ_EES10_S11_S12_S13_S17_S18_S19_S1C_S1D_jS1E_jS1F_S1F_jjS1H_bEUljE0_EEES10_S11_S12_S19_S1D_S1F_T6_T7_T9_mT8_S1H_bDpT10_ENKUlT_T0_E_clISt17integral_constantIbLb1EES1U_IbLb0EEEEDaS1Q_S1R_EUlS1Q_E_NS1_11comp_targetILNS1_3genE9ELNS1_11target_archE1100ELNS1_3gpuE3ELNS1_3repE0EEENS1_30default_config_static_selectorELNS0_4arch9wavefront6targetE1EEEvS13_.has_indirect_call, 0
	.section	.AMDGPU.csdata,"",@progbits
; Kernel info:
; codeLenInByte = 0
; TotalNumSgprs: 4
; NumVgprs: 0
; ScratchSize: 0
; MemoryBound: 0
; FloatMode: 240
; IeeeMode: 1
; LDSByteSize: 0 bytes/workgroup (compile time only)
; SGPRBlocks: 0
; VGPRBlocks: 0
; NumSGPRsForWavesPerEU: 4
; NumVGPRsForWavesPerEU: 1
; Occupancy: 10
; WaveLimiterHint : 0
; COMPUTE_PGM_RSRC2:SCRATCH_EN: 0
; COMPUTE_PGM_RSRC2:USER_SGPR: 6
; COMPUTE_PGM_RSRC2:TRAP_HANDLER: 0
; COMPUTE_PGM_RSRC2:TGID_X_EN: 1
; COMPUTE_PGM_RSRC2:TGID_Y_EN: 0
; COMPUTE_PGM_RSRC2:TGID_Z_EN: 0
; COMPUTE_PGM_RSRC2:TIDIG_COMP_CNT: 0
	.section	.text._ZN7rocprim17ROCPRIM_400000_NS6detail17trampoline_kernelINS0_13select_configILj256ELj13ELNS0_17block_load_methodE3ELS4_3ELS4_3ELNS0_20block_scan_algorithmE0ELj4294967295EEENS1_25partition_config_selectorILNS1_17partition_subalgoE4EjNS0_10empty_typeEbEEZZNS1_14partition_implILS8_4ELb0ES6_15HIP_vector_typeIjLj2EENS0_17counting_iteratorIjlEEPS9_SG_NS0_5tupleIJPjSI_NS0_16reverse_iteratorISI_EEEEENSH_IJSG_SG_SG_EEES9_SI_JZNS1_25segmented_radix_sort_implINS0_14default_configELb0EPK12hip_bfloat16PSP_PKlPlN2at6native12_GLOBAL__N_18offset_tEEE10hipError_tPvRmT1_PNSt15iterator_traitsIS13_E10value_typeET2_T3_PNS14_IS19_E10value_typeET4_jRbjT5_S1F_jjP12ihipStream_tbEUljE_ZNSN_ISO_Lb0ESR_SS_SU_SV_SZ_EES10_S11_S12_S13_S17_S18_S19_S1C_S1D_jS1E_jS1F_S1F_jjS1H_bEUljE0_EEES10_S11_S12_S19_S1D_S1F_T6_T7_T9_mT8_S1H_bDpT10_ENKUlT_T0_E_clISt17integral_constantIbLb1EES1U_IbLb0EEEEDaS1Q_S1R_EUlS1Q_E_NS1_11comp_targetILNS1_3genE8ELNS1_11target_archE1030ELNS1_3gpuE2ELNS1_3repE0EEENS1_30default_config_static_selectorELNS0_4arch9wavefront6targetE1EEEvS13_,"axG",@progbits,_ZN7rocprim17ROCPRIM_400000_NS6detail17trampoline_kernelINS0_13select_configILj256ELj13ELNS0_17block_load_methodE3ELS4_3ELS4_3ELNS0_20block_scan_algorithmE0ELj4294967295EEENS1_25partition_config_selectorILNS1_17partition_subalgoE4EjNS0_10empty_typeEbEEZZNS1_14partition_implILS8_4ELb0ES6_15HIP_vector_typeIjLj2EENS0_17counting_iteratorIjlEEPS9_SG_NS0_5tupleIJPjSI_NS0_16reverse_iteratorISI_EEEEENSH_IJSG_SG_SG_EEES9_SI_JZNS1_25segmented_radix_sort_implINS0_14default_configELb0EPK12hip_bfloat16PSP_PKlPlN2at6native12_GLOBAL__N_18offset_tEEE10hipError_tPvRmT1_PNSt15iterator_traitsIS13_E10value_typeET2_T3_PNS14_IS19_E10value_typeET4_jRbjT5_S1F_jjP12ihipStream_tbEUljE_ZNSN_ISO_Lb0ESR_SS_SU_SV_SZ_EES10_S11_S12_S13_S17_S18_S19_S1C_S1D_jS1E_jS1F_S1F_jjS1H_bEUljE0_EEES10_S11_S12_S19_S1D_S1F_T6_T7_T9_mT8_S1H_bDpT10_ENKUlT_T0_E_clISt17integral_constantIbLb1EES1U_IbLb0EEEEDaS1Q_S1R_EUlS1Q_E_NS1_11comp_targetILNS1_3genE8ELNS1_11target_archE1030ELNS1_3gpuE2ELNS1_3repE0EEENS1_30default_config_static_selectorELNS0_4arch9wavefront6targetE1EEEvS13_,comdat
	.globl	_ZN7rocprim17ROCPRIM_400000_NS6detail17trampoline_kernelINS0_13select_configILj256ELj13ELNS0_17block_load_methodE3ELS4_3ELS4_3ELNS0_20block_scan_algorithmE0ELj4294967295EEENS1_25partition_config_selectorILNS1_17partition_subalgoE4EjNS0_10empty_typeEbEEZZNS1_14partition_implILS8_4ELb0ES6_15HIP_vector_typeIjLj2EENS0_17counting_iteratorIjlEEPS9_SG_NS0_5tupleIJPjSI_NS0_16reverse_iteratorISI_EEEEENSH_IJSG_SG_SG_EEES9_SI_JZNS1_25segmented_radix_sort_implINS0_14default_configELb0EPK12hip_bfloat16PSP_PKlPlN2at6native12_GLOBAL__N_18offset_tEEE10hipError_tPvRmT1_PNSt15iterator_traitsIS13_E10value_typeET2_T3_PNS14_IS19_E10value_typeET4_jRbjT5_S1F_jjP12ihipStream_tbEUljE_ZNSN_ISO_Lb0ESR_SS_SU_SV_SZ_EES10_S11_S12_S13_S17_S18_S19_S1C_S1D_jS1E_jS1F_S1F_jjS1H_bEUljE0_EEES10_S11_S12_S19_S1D_S1F_T6_T7_T9_mT8_S1H_bDpT10_ENKUlT_T0_E_clISt17integral_constantIbLb1EES1U_IbLb0EEEEDaS1Q_S1R_EUlS1Q_E_NS1_11comp_targetILNS1_3genE8ELNS1_11target_archE1030ELNS1_3gpuE2ELNS1_3repE0EEENS1_30default_config_static_selectorELNS0_4arch9wavefront6targetE1EEEvS13_ ; -- Begin function _ZN7rocprim17ROCPRIM_400000_NS6detail17trampoline_kernelINS0_13select_configILj256ELj13ELNS0_17block_load_methodE3ELS4_3ELS4_3ELNS0_20block_scan_algorithmE0ELj4294967295EEENS1_25partition_config_selectorILNS1_17partition_subalgoE4EjNS0_10empty_typeEbEEZZNS1_14partition_implILS8_4ELb0ES6_15HIP_vector_typeIjLj2EENS0_17counting_iteratorIjlEEPS9_SG_NS0_5tupleIJPjSI_NS0_16reverse_iteratorISI_EEEEENSH_IJSG_SG_SG_EEES9_SI_JZNS1_25segmented_radix_sort_implINS0_14default_configELb0EPK12hip_bfloat16PSP_PKlPlN2at6native12_GLOBAL__N_18offset_tEEE10hipError_tPvRmT1_PNSt15iterator_traitsIS13_E10value_typeET2_T3_PNS14_IS19_E10value_typeET4_jRbjT5_S1F_jjP12ihipStream_tbEUljE_ZNSN_ISO_Lb0ESR_SS_SU_SV_SZ_EES10_S11_S12_S13_S17_S18_S19_S1C_S1D_jS1E_jS1F_S1F_jjS1H_bEUljE0_EEES10_S11_S12_S19_S1D_S1F_T6_T7_T9_mT8_S1H_bDpT10_ENKUlT_T0_E_clISt17integral_constantIbLb1EES1U_IbLb0EEEEDaS1Q_S1R_EUlS1Q_E_NS1_11comp_targetILNS1_3genE8ELNS1_11target_archE1030ELNS1_3gpuE2ELNS1_3repE0EEENS1_30default_config_static_selectorELNS0_4arch9wavefront6targetE1EEEvS13_
	.p2align	8
	.type	_ZN7rocprim17ROCPRIM_400000_NS6detail17trampoline_kernelINS0_13select_configILj256ELj13ELNS0_17block_load_methodE3ELS4_3ELS4_3ELNS0_20block_scan_algorithmE0ELj4294967295EEENS1_25partition_config_selectorILNS1_17partition_subalgoE4EjNS0_10empty_typeEbEEZZNS1_14partition_implILS8_4ELb0ES6_15HIP_vector_typeIjLj2EENS0_17counting_iteratorIjlEEPS9_SG_NS0_5tupleIJPjSI_NS0_16reverse_iteratorISI_EEEEENSH_IJSG_SG_SG_EEES9_SI_JZNS1_25segmented_radix_sort_implINS0_14default_configELb0EPK12hip_bfloat16PSP_PKlPlN2at6native12_GLOBAL__N_18offset_tEEE10hipError_tPvRmT1_PNSt15iterator_traitsIS13_E10value_typeET2_T3_PNS14_IS19_E10value_typeET4_jRbjT5_S1F_jjP12ihipStream_tbEUljE_ZNSN_ISO_Lb0ESR_SS_SU_SV_SZ_EES10_S11_S12_S13_S17_S18_S19_S1C_S1D_jS1E_jS1F_S1F_jjS1H_bEUljE0_EEES10_S11_S12_S19_S1D_S1F_T6_T7_T9_mT8_S1H_bDpT10_ENKUlT_T0_E_clISt17integral_constantIbLb1EES1U_IbLb0EEEEDaS1Q_S1R_EUlS1Q_E_NS1_11comp_targetILNS1_3genE8ELNS1_11target_archE1030ELNS1_3gpuE2ELNS1_3repE0EEENS1_30default_config_static_selectorELNS0_4arch9wavefront6targetE1EEEvS13_,@function
_ZN7rocprim17ROCPRIM_400000_NS6detail17trampoline_kernelINS0_13select_configILj256ELj13ELNS0_17block_load_methodE3ELS4_3ELS4_3ELNS0_20block_scan_algorithmE0ELj4294967295EEENS1_25partition_config_selectorILNS1_17partition_subalgoE4EjNS0_10empty_typeEbEEZZNS1_14partition_implILS8_4ELb0ES6_15HIP_vector_typeIjLj2EENS0_17counting_iteratorIjlEEPS9_SG_NS0_5tupleIJPjSI_NS0_16reverse_iteratorISI_EEEEENSH_IJSG_SG_SG_EEES9_SI_JZNS1_25segmented_radix_sort_implINS0_14default_configELb0EPK12hip_bfloat16PSP_PKlPlN2at6native12_GLOBAL__N_18offset_tEEE10hipError_tPvRmT1_PNSt15iterator_traitsIS13_E10value_typeET2_T3_PNS14_IS19_E10value_typeET4_jRbjT5_S1F_jjP12ihipStream_tbEUljE_ZNSN_ISO_Lb0ESR_SS_SU_SV_SZ_EES10_S11_S12_S13_S17_S18_S19_S1C_S1D_jS1E_jS1F_S1F_jjS1H_bEUljE0_EEES10_S11_S12_S19_S1D_S1F_T6_T7_T9_mT8_S1H_bDpT10_ENKUlT_T0_E_clISt17integral_constantIbLb1EES1U_IbLb0EEEEDaS1Q_S1R_EUlS1Q_E_NS1_11comp_targetILNS1_3genE8ELNS1_11target_archE1030ELNS1_3gpuE2ELNS1_3repE0EEENS1_30default_config_static_selectorELNS0_4arch9wavefront6targetE1EEEvS13_: ; @_ZN7rocprim17ROCPRIM_400000_NS6detail17trampoline_kernelINS0_13select_configILj256ELj13ELNS0_17block_load_methodE3ELS4_3ELS4_3ELNS0_20block_scan_algorithmE0ELj4294967295EEENS1_25partition_config_selectorILNS1_17partition_subalgoE4EjNS0_10empty_typeEbEEZZNS1_14partition_implILS8_4ELb0ES6_15HIP_vector_typeIjLj2EENS0_17counting_iteratorIjlEEPS9_SG_NS0_5tupleIJPjSI_NS0_16reverse_iteratorISI_EEEEENSH_IJSG_SG_SG_EEES9_SI_JZNS1_25segmented_radix_sort_implINS0_14default_configELb0EPK12hip_bfloat16PSP_PKlPlN2at6native12_GLOBAL__N_18offset_tEEE10hipError_tPvRmT1_PNSt15iterator_traitsIS13_E10value_typeET2_T3_PNS14_IS19_E10value_typeET4_jRbjT5_S1F_jjP12ihipStream_tbEUljE_ZNSN_ISO_Lb0ESR_SS_SU_SV_SZ_EES10_S11_S12_S13_S17_S18_S19_S1C_S1D_jS1E_jS1F_S1F_jjS1H_bEUljE0_EEES10_S11_S12_S19_S1D_S1F_T6_T7_T9_mT8_S1H_bDpT10_ENKUlT_T0_E_clISt17integral_constantIbLb1EES1U_IbLb0EEEEDaS1Q_S1R_EUlS1Q_E_NS1_11comp_targetILNS1_3genE8ELNS1_11target_archE1030ELNS1_3gpuE2ELNS1_3repE0EEENS1_30default_config_static_selectorELNS0_4arch9wavefront6targetE1EEEvS13_
; %bb.0:
	.section	.rodata,"a",@progbits
	.p2align	6, 0x0
	.amdhsa_kernel _ZN7rocprim17ROCPRIM_400000_NS6detail17trampoline_kernelINS0_13select_configILj256ELj13ELNS0_17block_load_methodE3ELS4_3ELS4_3ELNS0_20block_scan_algorithmE0ELj4294967295EEENS1_25partition_config_selectorILNS1_17partition_subalgoE4EjNS0_10empty_typeEbEEZZNS1_14partition_implILS8_4ELb0ES6_15HIP_vector_typeIjLj2EENS0_17counting_iteratorIjlEEPS9_SG_NS0_5tupleIJPjSI_NS0_16reverse_iteratorISI_EEEEENSH_IJSG_SG_SG_EEES9_SI_JZNS1_25segmented_radix_sort_implINS0_14default_configELb0EPK12hip_bfloat16PSP_PKlPlN2at6native12_GLOBAL__N_18offset_tEEE10hipError_tPvRmT1_PNSt15iterator_traitsIS13_E10value_typeET2_T3_PNS14_IS19_E10value_typeET4_jRbjT5_S1F_jjP12ihipStream_tbEUljE_ZNSN_ISO_Lb0ESR_SS_SU_SV_SZ_EES10_S11_S12_S13_S17_S18_S19_S1C_S1D_jS1E_jS1F_S1F_jjS1H_bEUljE0_EEES10_S11_S12_S19_S1D_S1F_T6_T7_T9_mT8_S1H_bDpT10_ENKUlT_T0_E_clISt17integral_constantIbLb1EES1U_IbLb0EEEEDaS1Q_S1R_EUlS1Q_E_NS1_11comp_targetILNS1_3genE8ELNS1_11target_archE1030ELNS1_3gpuE2ELNS1_3repE0EEENS1_30default_config_static_selectorELNS0_4arch9wavefront6targetE1EEEvS13_
		.amdhsa_group_segment_fixed_size 0
		.amdhsa_private_segment_fixed_size 0
		.amdhsa_kernarg_size 176
		.amdhsa_user_sgpr_count 6
		.amdhsa_user_sgpr_private_segment_buffer 1
		.amdhsa_user_sgpr_dispatch_ptr 0
		.amdhsa_user_sgpr_queue_ptr 0
		.amdhsa_user_sgpr_kernarg_segment_ptr 1
		.amdhsa_user_sgpr_dispatch_id 0
		.amdhsa_user_sgpr_flat_scratch_init 0
		.amdhsa_user_sgpr_private_segment_size 0
		.amdhsa_uses_dynamic_stack 0
		.amdhsa_system_sgpr_private_segment_wavefront_offset 0
		.amdhsa_system_sgpr_workgroup_id_x 1
		.amdhsa_system_sgpr_workgroup_id_y 0
		.amdhsa_system_sgpr_workgroup_id_z 0
		.amdhsa_system_sgpr_workgroup_info 0
		.amdhsa_system_vgpr_workitem_id 0
		.amdhsa_next_free_vgpr 1
		.amdhsa_next_free_sgpr 0
		.amdhsa_reserve_vcc 0
		.amdhsa_reserve_flat_scratch 0
		.amdhsa_float_round_mode_32 0
		.amdhsa_float_round_mode_16_64 0
		.amdhsa_float_denorm_mode_32 3
		.amdhsa_float_denorm_mode_16_64 3
		.amdhsa_dx10_clamp 1
		.amdhsa_ieee_mode 1
		.amdhsa_fp16_overflow 0
		.amdhsa_exception_fp_ieee_invalid_op 0
		.amdhsa_exception_fp_denorm_src 0
		.amdhsa_exception_fp_ieee_div_zero 0
		.amdhsa_exception_fp_ieee_overflow 0
		.amdhsa_exception_fp_ieee_underflow 0
		.amdhsa_exception_fp_ieee_inexact 0
		.amdhsa_exception_int_div_zero 0
	.end_amdhsa_kernel
	.section	.text._ZN7rocprim17ROCPRIM_400000_NS6detail17trampoline_kernelINS0_13select_configILj256ELj13ELNS0_17block_load_methodE3ELS4_3ELS4_3ELNS0_20block_scan_algorithmE0ELj4294967295EEENS1_25partition_config_selectorILNS1_17partition_subalgoE4EjNS0_10empty_typeEbEEZZNS1_14partition_implILS8_4ELb0ES6_15HIP_vector_typeIjLj2EENS0_17counting_iteratorIjlEEPS9_SG_NS0_5tupleIJPjSI_NS0_16reverse_iteratorISI_EEEEENSH_IJSG_SG_SG_EEES9_SI_JZNS1_25segmented_radix_sort_implINS0_14default_configELb0EPK12hip_bfloat16PSP_PKlPlN2at6native12_GLOBAL__N_18offset_tEEE10hipError_tPvRmT1_PNSt15iterator_traitsIS13_E10value_typeET2_T3_PNS14_IS19_E10value_typeET4_jRbjT5_S1F_jjP12ihipStream_tbEUljE_ZNSN_ISO_Lb0ESR_SS_SU_SV_SZ_EES10_S11_S12_S13_S17_S18_S19_S1C_S1D_jS1E_jS1F_S1F_jjS1H_bEUljE0_EEES10_S11_S12_S19_S1D_S1F_T6_T7_T9_mT8_S1H_bDpT10_ENKUlT_T0_E_clISt17integral_constantIbLb1EES1U_IbLb0EEEEDaS1Q_S1R_EUlS1Q_E_NS1_11comp_targetILNS1_3genE8ELNS1_11target_archE1030ELNS1_3gpuE2ELNS1_3repE0EEENS1_30default_config_static_selectorELNS0_4arch9wavefront6targetE1EEEvS13_,"axG",@progbits,_ZN7rocprim17ROCPRIM_400000_NS6detail17trampoline_kernelINS0_13select_configILj256ELj13ELNS0_17block_load_methodE3ELS4_3ELS4_3ELNS0_20block_scan_algorithmE0ELj4294967295EEENS1_25partition_config_selectorILNS1_17partition_subalgoE4EjNS0_10empty_typeEbEEZZNS1_14partition_implILS8_4ELb0ES6_15HIP_vector_typeIjLj2EENS0_17counting_iteratorIjlEEPS9_SG_NS0_5tupleIJPjSI_NS0_16reverse_iteratorISI_EEEEENSH_IJSG_SG_SG_EEES9_SI_JZNS1_25segmented_radix_sort_implINS0_14default_configELb0EPK12hip_bfloat16PSP_PKlPlN2at6native12_GLOBAL__N_18offset_tEEE10hipError_tPvRmT1_PNSt15iterator_traitsIS13_E10value_typeET2_T3_PNS14_IS19_E10value_typeET4_jRbjT5_S1F_jjP12ihipStream_tbEUljE_ZNSN_ISO_Lb0ESR_SS_SU_SV_SZ_EES10_S11_S12_S13_S17_S18_S19_S1C_S1D_jS1E_jS1F_S1F_jjS1H_bEUljE0_EEES10_S11_S12_S19_S1D_S1F_T6_T7_T9_mT8_S1H_bDpT10_ENKUlT_T0_E_clISt17integral_constantIbLb1EES1U_IbLb0EEEEDaS1Q_S1R_EUlS1Q_E_NS1_11comp_targetILNS1_3genE8ELNS1_11target_archE1030ELNS1_3gpuE2ELNS1_3repE0EEENS1_30default_config_static_selectorELNS0_4arch9wavefront6targetE1EEEvS13_,comdat
.Lfunc_end2008:
	.size	_ZN7rocprim17ROCPRIM_400000_NS6detail17trampoline_kernelINS0_13select_configILj256ELj13ELNS0_17block_load_methodE3ELS4_3ELS4_3ELNS0_20block_scan_algorithmE0ELj4294967295EEENS1_25partition_config_selectorILNS1_17partition_subalgoE4EjNS0_10empty_typeEbEEZZNS1_14partition_implILS8_4ELb0ES6_15HIP_vector_typeIjLj2EENS0_17counting_iteratorIjlEEPS9_SG_NS0_5tupleIJPjSI_NS0_16reverse_iteratorISI_EEEEENSH_IJSG_SG_SG_EEES9_SI_JZNS1_25segmented_radix_sort_implINS0_14default_configELb0EPK12hip_bfloat16PSP_PKlPlN2at6native12_GLOBAL__N_18offset_tEEE10hipError_tPvRmT1_PNSt15iterator_traitsIS13_E10value_typeET2_T3_PNS14_IS19_E10value_typeET4_jRbjT5_S1F_jjP12ihipStream_tbEUljE_ZNSN_ISO_Lb0ESR_SS_SU_SV_SZ_EES10_S11_S12_S13_S17_S18_S19_S1C_S1D_jS1E_jS1F_S1F_jjS1H_bEUljE0_EEES10_S11_S12_S19_S1D_S1F_T6_T7_T9_mT8_S1H_bDpT10_ENKUlT_T0_E_clISt17integral_constantIbLb1EES1U_IbLb0EEEEDaS1Q_S1R_EUlS1Q_E_NS1_11comp_targetILNS1_3genE8ELNS1_11target_archE1030ELNS1_3gpuE2ELNS1_3repE0EEENS1_30default_config_static_selectorELNS0_4arch9wavefront6targetE1EEEvS13_, .Lfunc_end2008-_ZN7rocprim17ROCPRIM_400000_NS6detail17trampoline_kernelINS0_13select_configILj256ELj13ELNS0_17block_load_methodE3ELS4_3ELS4_3ELNS0_20block_scan_algorithmE0ELj4294967295EEENS1_25partition_config_selectorILNS1_17partition_subalgoE4EjNS0_10empty_typeEbEEZZNS1_14partition_implILS8_4ELb0ES6_15HIP_vector_typeIjLj2EENS0_17counting_iteratorIjlEEPS9_SG_NS0_5tupleIJPjSI_NS0_16reverse_iteratorISI_EEEEENSH_IJSG_SG_SG_EEES9_SI_JZNS1_25segmented_radix_sort_implINS0_14default_configELb0EPK12hip_bfloat16PSP_PKlPlN2at6native12_GLOBAL__N_18offset_tEEE10hipError_tPvRmT1_PNSt15iterator_traitsIS13_E10value_typeET2_T3_PNS14_IS19_E10value_typeET4_jRbjT5_S1F_jjP12ihipStream_tbEUljE_ZNSN_ISO_Lb0ESR_SS_SU_SV_SZ_EES10_S11_S12_S13_S17_S18_S19_S1C_S1D_jS1E_jS1F_S1F_jjS1H_bEUljE0_EEES10_S11_S12_S19_S1D_S1F_T6_T7_T9_mT8_S1H_bDpT10_ENKUlT_T0_E_clISt17integral_constantIbLb1EES1U_IbLb0EEEEDaS1Q_S1R_EUlS1Q_E_NS1_11comp_targetILNS1_3genE8ELNS1_11target_archE1030ELNS1_3gpuE2ELNS1_3repE0EEENS1_30default_config_static_selectorELNS0_4arch9wavefront6targetE1EEEvS13_
                                        ; -- End function
	.set _ZN7rocprim17ROCPRIM_400000_NS6detail17trampoline_kernelINS0_13select_configILj256ELj13ELNS0_17block_load_methodE3ELS4_3ELS4_3ELNS0_20block_scan_algorithmE0ELj4294967295EEENS1_25partition_config_selectorILNS1_17partition_subalgoE4EjNS0_10empty_typeEbEEZZNS1_14partition_implILS8_4ELb0ES6_15HIP_vector_typeIjLj2EENS0_17counting_iteratorIjlEEPS9_SG_NS0_5tupleIJPjSI_NS0_16reverse_iteratorISI_EEEEENSH_IJSG_SG_SG_EEES9_SI_JZNS1_25segmented_radix_sort_implINS0_14default_configELb0EPK12hip_bfloat16PSP_PKlPlN2at6native12_GLOBAL__N_18offset_tEEE10hipError_tPvRmT1_PNSt15iterator_traitsIS13_E10value_typeET2_T3_PNS14_IS19_E10value_typeET4_jRbjT5_S1F_jjP12ihipStream_tbEUljE_ZNSN_ISO_Lb0ESR_SS_SU_SV_SZ_EES10_S11_S12_S13_S17_S18_S19_S1C_S1D_jS1E_jS1F_S1F_jjS1H_bEUljE0_EEES10_S11_S12_S19_S1D_S1F_T6_T7_T9_mT8_S1H_bDpT10_ENKUlT_T0_E_clISt17integral_constantIbLb1EES1U_IbLb0EEEEDaS1Q_S1R_EUlS1Q_E_NS1_11comp_targetILNS1_3genE8ELNS1_11target_archE1030ELNS1_3gpuE2ELNS1_3repE0EEENS1_30default_config_static_selectorELNS0_4arch9wavefront6targetE1EEEvS13_.num_vgpr, 0
	.set _ZN7rocprim17ROCPRIM_400000_NS6detail17trampoline_kernelINS0_13select_configILj256ELj13ELNS0_17block_load_methodE3ELS4_3ELS4_3ELNS0_20block_scan_algorithmE0ELj4294967295EEENS1_25partition_config_selectorILNS1_17partition_subalgoE4EjNS0_10empty_typeEbEEZZNS1_14partition_implILS8_4ELb0ES6_15HIP_vector_typeIjLj2EENS0_17counting_iteratorIjlEEPS9_SG_NS0_5tupleIJPjSI_NS0_16reverse_iteratorISI_EEEEENSH_IJSG_SG_SG_EEES9_SI_JZNS1_25segmented_radix_sort_implINS0_14default_configELb0EPK12hip_bfloat16PSP_PKlPlN2at6native12_GLOBAL__N_18offset_tEEE10hipError_tPvRmT1_PNSt15iterator_traitsIS13_E10value_typeET2_T3_PNS14_IS19_E10value_typeET4_jRbjT5_S1F_jjP12ihipStream_tbEUljE_ZNSN_ISO_Lb0ESR_SS_SU_SV_SZ_EES10_S11_S12_S13_S17_S18_S19_S1C_S1D_jS1E_jS1F_S1F_jjS1H_bEUljE0_EEES10_S11_S12_S19_S1D_S1F_T6_T7_T9_mT8_S1H_bDpT10_ENKUlT_T0_E_clISt17integral_constantIbLb1EES1U_IbLb0EEEEDaS1Q_S1R_EUlS1Q_E_NS1_11comp_targetILNS1_3genE8ELNS1_11target_archE1030ELNS1_3gpuE2ELNS1_3repE0EEENS1_30default_config_static_selectorELNS0_4arch9wavefront6targetE1EEEvS13_.num_agpr, 0
	.set _ZN7rocprim17ROCPRIM_400000_NS6detail17trampoline_kernelINS0_13select_configILj256ELj13ELNS0_17block_load_methodE3ELS4_3ELS4_3ELNS0_20block_scan_algorithmE0ELj4294967295EEENS1_25partition_config_selectorILNS1_17partition_subalgoE4EjNS0_10empty_typeEbEEZZNS1_14partition_implILS8_4ELb0ES6_15HIP_vector_typeIjLj2EENS0_17counting_iteratorIjlEEPS9_SG_NS0_5tupleIJPjSI_NS0_16reverse_iteratorISI_EEEEENSH_IJSG_SG_SG_EEES9_SI_JZNS1_25segmented_radix_sort_implINS0_14default_configELb0EPK12hip_bfloat16PSP_PKlPlN2at6native12_GLOBAL__N_18offset_tEEE10hipError_tPvRmT1_PNSt15iterator_traitsIS13_E10value_typeET2_T3_PNS14_IS19_E10value_typeET4_jRbjT5_S1F_jjP12ihipStream_tbEUljE_ZNSN_ISO_Lb0ESR_SS_SU_SV_SZ_EES10_S11_S12_S13_S17_S18_S19_S1C_S1D_jS1E_jS1F_S1F_jjS1H_bEUljE0_EEES10_S11_S12_S19_S1D_S1F_T6_T7_T9_mT8_S1H_bDpT10_ENKUlT_T0_E_clISt17integral_constantIbLb1EES1U_IbLb0EEEEDaS1Q_S1R_EUlS1Q_E_NS1_11comp_targetILNS1_3genE8ELNS1_11target_archE1030ELNS1_3gpuE2ELNS1_3repE0EEENS1_30default_config_static_selectorELNS0_4arch9wavefront6targetE1EEEvS13_.numbered_sgpr, 0
	.set _ZN7rocprim17ROCPRIM_400000_NS6detail17trampoline_kernelINS0_13select_configILj256ELj13ELNS0_17block_load_methodE3ELS4_3ELS4_3ELNS0_20block_scan_algorithmE0ELj4294967295EEENS1_25partition_config_selectorILNS1_17partition_subalgoE4EjNS0_10empty_typeEbEEZZNS1_14partition_implILS8_4ELb0ES6_15HIP_vector_typeIjLj2EENS0_17counting_iteratorIjlEEPS9_SG_NS0_5tupleIJPjSI_NS0_16reverse_iteratorISI_EEEEENSH_IJSG_SG_SG_EEES9_SI_JZNS1_25segmented_radix_sort_implINS0_14default_configELb0EPK12hip_bfloat16PSP_PKlPlN2at6native12_GLOBAL__N_18offset_tEEE10hipError_tPvRmT1_PNSt15iterator_traitsIS13_E10value_typeET2_T3_PNS14_IS19_E10value_typeET4_jRbjT5_S1F_jjP12ihipStream_tbEUljE_ZNSN_ISO_Lb0ESR_SS_SU_SV_SZ_EES10_S11_S12_S13_S17_S18_S19_S1C_S1D_jS1E_jS1F_S1F_jjS1H_bEUljE0_EEES10_S11_S12_S19_S1D_S1F_T6_T7_T9_mT8_S1H_bDpT10_ENKUlT_T0_E_clISt17integral_constantIbLb1EES1U_IbLb0EEEEDaS1Q_S1R_EUlS1Q_E_NS1_11comp_targetILNS1_3genE8ELNS1_11target_archE1030ELNS1_3gpuE2ELNS1_3repE0EEENS1_30default_config_static_selectorELNS0_4arch9wavefront6targetE1EEEvS13_.num_named_barrier, 0
	.set _ZN7rocprim17ROCPRIM_400000_NS6detail17trampoline_kernelINS0_13select_configILj256ELj13ELNS0_17block_load_methodE3ELS4_3ELS4_3ELNS0_20block_scan_algorithmE0ELj4294967295EEENS1_25partition_config_selectorILNS1_17partition_subalgoE4EjNS0_10empty_typeEbEEZZNS1_14partition_implILS8_4ELb0ES6_15HIP_vector_typeIjLj2EENS0_17counting_iteratorIjlEEPS9_SG_NS0_5tupleIJPjSI_NS0_16reverse_iteratorISI_EEEEENSH_IJSG_SG_SG_EEES9_SI_JZNS1_25segmented_radix_sort_implINS0_14default_configELb0EPK12hip_bfloat16PSP_PKlPlN2at6native12_GLOBAL__N_18offset_tEEE10hipError_tPvRmT1_PNSt15iterator_traitsIS13_E10value_typeET2_T3_PNS14_IS19_E10value_typeET4_jRbjT5_S1F_jjP12ihipStream_tbEUljE_ZNSN_ISO_Lb0ESR_SS_SU_SV_SZ_EES10_S11_S12_S13_S17_S18_S19_S1C_S1D_jS1E_jS1F_S1F_jjS1H_bEUljE0_EEES10_S11_S12_S19_S1D_S1F_T6_T7_T9_mT8_S1H_bDpT10_ENKUlT_T0_E_clISt17integral_constantIbLb1EES1U_IbLb0EEEEDaS1Q_S1R_EUlS1Q_E_NS1_11comp_targetILNS1_3genE8ELNS1_11target_archE1030ELNS1_3gpuE2ELNS1_3repE0EEENS1_30default_config_static_selectorELNS0_4arch9wavefront6targetE1EEEvS13_.private_seg_size, 0
	.set _ZN7rocprim17ROCPRIM_400000_NS6detail17trampoline_kernelINS0_13select_configILj256ELj13ELNS0_17block_load_methodE3ELS4_3ELS4_3ELNS0_20block_scan_algorithmE0ELj4294967295EEENS1_25partition_config_selectorILNS1_17partition_subalgoE4EjNS0_10empty_typeEbEEZZNS1_14partition_implILS8_4ELb0ES6_15HIP_vector_typeIjLj2EENS0_17counting_iteratorIjlEEPS9_SG_NS0_5tupleIJPjSI_NS0_16reverse_iteratorISI_EEEEENSH_IJSG_SG_SG_EEES9_SI_JZNS1_25segmented_radix_sort_implINS0_14default_configELb0EPK12hip_bfloat16PSP_PKlPlN2at6native12_GLOBAL__N_18offset_tEEE10hipError_tPvRmT1_PNSt15iterator_traitsIS13_E10value_typeET2_T3_PNS14_IS19_E10value_typeET4_jRbjT5_S1F_jjP12ihipStream_tbEUljE_ZNSN_ISO_Lb0ESR_SS_SU_SV_SZ_EES10_S11_S12_S13_S17_S18_S19_S1C_S1D_jS1E_jS1F_S1F_jjS1H_bEUljE0_EEES10_S11_S12_S19_S1D_S1F_T6_T7_T9_mT8_S1H_bDpT10_ENKUlT_T0_E_clISt17integral_constantIbLb1EES1U_IbLb0EEEEDaS1Q_S1R_EUlS1Q_E_NS1_11comp_targetILNS1_3genE8ELNS1_11target_archE1030ELNS1_3gpuE2ELNS1_3repE0EEENS1_30default_config_static_selectorELNS0_4arch9wavefront6targetE1EEEvS13_.uses_vcc, 0
	.set _ZN7rocprim17ROCPRIM_400000_NS6detail17trampoline_kernelINS0_13select_configILj256ELj13ELNS0_17block_load_methodE3ELS4_3ELS4_3ELNS0_20block_scan_algorithmE0ELj4294967295EEENS1_25partition_config_selectorILNS1_17partition_subalgoE4EjNS0_10empty_typeEbEEZZNS1_14partition_implILS8_4ELb0ES6_15HIP_vector_typeIjLj2EENS0_17counting_iteratorIjlEEPS9_SG_NS0_5tupleIJPjSI_NS0_16reverse_iteratorISI_EEEEENSH_IJSG_SG_SG_EEES9_SI_JZNS1_25segmented_radix_sort_implINS0_14default_configELb0EPK12hip_bfloat16PSP_PKlPlN2at6native12_GLOBAL__N_18offset_tEEE10hipError_tPvRmT1_PNSt15iterator_traitsIS13_E10value_typeET2_T3_PNS14_IS19_E10value_typeET4_jRbjT5_S1F_jjP12ihipStream_tbEUljE_ZNSN_ISO_Lb0ESR_SS_SU_SV_SZ_EES10_S11_S12_S13_S17_S18_S19_S1C_S1D_jS1E_jS1F_S1F_jjS1H_bEUljE0_EEES10_S11_S12_S19_S1D_S1F_T6_T7_T9_mT8_S1H_bDpT10_ENKUlT_T0_E_clISt17integral_constantIbLb1EES1U_IbLb0EEEEDaS1Q_S1R_EUlS1Q_E_NS1_11comp_targetILNS1_3genE8ELNS1_11target_archE1030ELNS1_3gpuE2ELNS1_3repE0EEENS1_30default_config_static_selectorELNS0_4arch9wavefront6targetE1EEEvS13_.uses_flat_scratch, 0
	.set _ZN7rocprim17ROCPRIM_400000_NS6detail17trampoline_kernelINS0_13select_configILj256ELj13ELNS0_17block_load_methodE3ELS4_3ELS4_3ELNS0_20block_scan_algorithmE0ELj4294967295EEENS1_25partition_config_selectorILNS1_17partition_subalgoE4EjNS0_10empty_typeEbEEZZNS1_14partition_implILS8_4ELb0ES6_15HIP_vector_typeIjLj2EENS0_17counting_iteratorIjlEEPS9_SG_NS0_5tupleIJPjSI_NS0_16reverse_iteratorISI_EEEEENSH_IJSG_SG_SG_EEES9_SI_JZNS1_25segmented_radix_sort_implINS0_14default_configELb0EPK12hip_bfloat16PSP_PKlPlN2at6native12_GLOBAL__N_18offset_tEEE10hipError_tPvRmT1_PNSt15iterator_traitsIS13_E10value_typeET2_T3_PNS14_IS19_E10value_typeET4_jRbjT5_S1F_jjP12ihipStream_tbEUljE_ZNSN_ISO_Lb0ESR_SS_SU_SV_SZ_EES10_S11_S12_S13_S17_S18_S19_S1C_S1D_jS1E_jS1F_S1F_jjS1H_bEUljE0_EEES10_S11_S12_S19_S1D_S1F_T6_T7_T9_mT8_S1H_bDpT10_ENKUlT_T0_E_clISt17integral_constantIbLb1EES1U_IbLb0EEEEDaS1Q_S1R_EUlS1Q_E_NS1_11comp_targetILNS1_3genE8ELNS1_11target_archE1030ELNS1_3gpuE2ELNS1_3repE0EEENS1_30default_config_static_selectorELNS0_4arch9wavefront6targetE1EEEvS13_.has_dyn_sized_stack, 0
	.set _ZN7rocprim17ROCPRIM_400000_NS6detail17trampoline_kernelINS0_13select_configILj256ELj13ELNS0_17block_load_methodE3ELS4_3ELS4_3ELNS0_20block_scan_algorithmE0ELj4294967295EEENS1_25partition_config_selectorILNS1_17partition_subalgoE4EjNS0_10empty_typeEbEEZZNS1_14partition_implILS8_4ELb0ES6_15HIP_vector_typeIjLj2EENS0_17counting_iteratorIjlEEPS9_SG_NS0_5tupleIJPjSI_NS0_16reverse_iteratorISI_EEEEENSH_IJSG_SG_SG_EEES9_SI_JZNS1_25segmented_radix_sort_implINS0_14default_configELb0EPK12hip_bfloat16PSP_PKlPlN2at6native12_GLOBAL__N_18offset_tEEE10hipError_tPvRmT1_PNSt15iterator_traitsIS13_E10value_typeET2_T3_PNS14_IS19_E10value_typeET4_jRbjT5_S1F_jjP12ihipStream_tbEUljE_ZNSN_ISO_Lb0ESR_SS_SU_SV_SZ_EES10_S11_S12_S13_S17_S18_S19_S1C_S1D_jS1E_jS1F_S1F_jjS1H_bEUljE0_EEES10_S11_S12_S19_S1D_S1F_T6_T7_T9_mT8_S1H_bDpT10_ENKUlT_T0_E_clISt17integral_constantIbLb1EES1U_IbLb0EEEEDaS1Q_S1R_EUlS1Q_E_NS1_11comp_targetILNS1_3genE8ELNS1_11target_archE1030ELNS1_3gpuE2ELNS1_3repE0EEENS1_30default_config_static_selectorELNS0_4arch9wavefront6targetE1EEEvS13_.has_recursion, 0
	.set _ZN7rocprim17ROCPRIM_400000_NS6detail17trampoline_kernelINS0_13select_configILj256ELj13ELNS0_17block_load_methodE3ELS4_3ELS4_3ELNS0_20block_scan_algorithmE0ELj4294967295EEENS1_25partition_config_selectorILNS1_17partition_subalgoE4EjNS0_10empty_typeEbEEZZNS1_14partition_implILS8_4ELb0ES6_15HIP_vector_typeIjLj2EENS0_17counting_iteratorIjlEEPS9_SG_NS0_5tupleIJPjSI_NS0_16reverse_iteratorISI_EEEEENSH_IJSG_SG_SG_EEES9_SI_JZNS1_25segmented_radix_sort_implINS0_14default_configELb0EPK12hip_bfloat16PSP_PKlPlN2at6native12_GLOBAL__N_18offset_tEEE10hipError_tPvRmT1_PNSt15iterator_traitsIS13_E10value_typeET2_T3_PNS14_IS19_E10value_typeET4_jRbjT5_S1F_jjP12ihipStream_tbEUljE_ZNSN_ISO_Lb0ESR_SS_SU_SV_SZ_EES10_S11_S12_S13_S17_S18_S19_S1C_S1D_jS1E_jS1F_S1F_jjS1H_bEUljE0_EEES10_S11_S12_S19_S1D_S1F_T6_T7_T9_mT8_S1H_bDpT10_ENKUlT_T0_E_clISt17integral_constantIbLb1EES1U_IbLb0EEEEDaS1Q_S1R_EUlS1Q_E_NS1_11comp_targetILNS1_3genE8ELNS1_11target_archE1030ELNS1_3gpuE2ELNS1_3repE0EEENS1_30default_config_static_selectorELNS0_4arch9wavefront6targetE1EEEvS13_.has_indirect_call, 0
	.section	.AMDGPU.csdata,"",@progbits
; Kernel info:
; codeLenInByte = 0
; TotalNumSgprs: 4
; NumVgprs: 0
; ScratchSize: 0
; MemoryBound: 0
; FloatMode: 240
; IeeeMode: 1
; LDSByteSize: 0 bytes/workgroup (compile time only)
; SGPRBlocks: 0
; VGPRBlocks: 0
; NumSGPRsForWavesPerEU: 4
; NumVGPRsForWavesPerEU: 1
; Occupancy: 10
; WaveLimiterHint : 0
; COMPUTE_PGM_RSRC2:SCRATCH_EN: 0
; COMPUTE_PGM_RSRC2:USER_SGPR: 6
; COMPUTE_PGM_RSRC2:TRAP_HANDLER: 0
; COMPUTE_PGM_RSRC2:TGID_X_EN: 1
; COMPUTE_PGM_RSRC2:TGID_Y_EN: 0
; COMPUTE_PGM_RSRC2:TGID_Z_EN: 0
; COMPUTE_PGM_RSRC2:TIDIG_COMP_CNT: 0
	.section	.text._ZN7rocprim17ROCPRIM_400000_NS6detail17trampoline_kernelINS0_13select_configILj256ELj13ELNS0_17block_load_methodE3ELS4_3ELS4_3ELNS0_20block_scan_algorithmE0ELj4294967295EEENS1_25partition_config_selectorILNS1_17partition_subalgoE4EjNS0_10empty_typeEbEEZZNS1_14partition_implILS8_4ELb0ES6_15HIP_vector_typeIjLj2EENS0_17counting_iteratorIjlEEPS9_SG_NS0_5tupleIJPjSI_NS0_16reverse_iteratorISI_EEEEENSH_IJSG_SG_SG_EEES9_SI_JZNS1_25segmented_radix_sort_implINS0_14default_configELb0EPK12hip_bfloat16PSP_PKlPlN2at6native12_GLOBAL__N_18offset_tEEE10hipError_tPvRmT1_PNSt15iterator_traitsIS13_E10value_typeET2_T3_PNS14_IS19_E10value_typeET4_jRbjT5_S1F_jjP12ihipStream_tbEUljE_ZNSN_ISO_Lb0ESR_SS_SU_SV_SZ_EES10_S11_S12_S13_S17_S18_S19_S1C_S1D_jS1E_jS1F_S1F_jjS1H_bEUljE0_EEES10_S11_S12_S19_S1D_S1F_T6_T7_T9_mT8_S1H_bDpT10_ENKUlT_T0_E_clISt17integral_constantIbLb0EES1U_IbLb1EEEEDaS1Q_S1R_EUlS1Q_E_NS1_11comp_targetILNS1_3genE0ELNS1_11target_archE4294967295ELNS1_3gpuE0ELNS1_3repE0EEENS1_30default_config_static_selectorELNS0_4arch9wavefront6targetE1EEEvS13_,"axG",@progbits,_ZN7rocprim17ROCPRIM_400000_NS6detail17trampoline_kernelINS0_13select_configILj256ELj13ELNS0_17block_load_methodE3ELS4_3ELS4_3ELNS0_20block_scan_algorithmE0ELj4294967295EEENS1_25partition_config_selectorILNS1_17partition_subalgoE4EjNS0_10empty_typeEbEEZZNS1_14partition_implILS8_4ELb0ES6_15HIP_vector_typeIjLj2EENS0_17counting_iteratorIjlEEPS9_SG_NS0_5tupleIJPjSI_NS0_16reverse_iteratorISI_EEEEENSH_IJSG_SG_SG_EEES9_SI_JZNS1_25segmented_radix_sort_implINS0_14default_configELb0EPK12hip_bfloat16PSP_PKlPlN2at6native12_GLOBAL__N_18offset_tEEE10hipError_tPvRmT1_PNSt15iterator_traitsIS13_E10value_typeET2_T3_PNS14_IS19_E10value_typeET4_jRbjT5_S1F_jjP12ihipStream_tbEUljE_ZNSN_ISO_Lb0ESR_SS_SU_SV_SZ_EES10_S11_S12_S13_S17_S18_S19_S1C_S1D_jS1E_jS1F_S1F_jjS1H_bEUljE0_EEES10_S11_S12_S19_S1D_S1F_T6_T7_T9_mT8_S1H_bDpT10_ENKUlT_T0_E_clISt17integral_constantIbLb0EES1U_IbLb1EEEEDaS1Q_S1R_EUlS1Q_E_NS1_11comp_targetILNS1_3genE0ELNS1_11target_archE4294967295ELNS1_3gpuE0ELNS1_3repE0EEENS1_30default_config_static_selectorELNS0_4arch9wavefront6targetE1EEEvS13_,comdat
	.globl	_ZN7rocprim17ROCPRIM_400000_NS6detail17trampoline_kernelINS0_13select_configILj256ELj13ELNS0_17block_load_methodE3ELS4_3ELS4_3ELNS0_20block_scan_algorithmE0ELj4294967295EEENS1_25partition_config_selectorILNS1_17partition_subalgoE4EjNS0_10empty_typeEbEEZZNS1_14partition_implILS8_4ELb0ES6_15HIP_vector_typeIjLj2EENS0_17counting_iteratorIjlEEPS9_SG_NS0_5tupleIJPjSI_NS0_16reverse_iteratorISI_EEEEENSH_IJSG_SG_SG_EEES9_SI_JZNS1_25segmented_radix_sort_implINS0_14default_configELb0EPK12hip_bfloat16PSP_PKlPlN2at6native12_GLOBAL__N_18offset_tEEE10hipError_tPvRmT1_PNSt15iterator_traitsIS13_E10value_typeET2_T3_PNS14_IS19_E10value_typeET4_jRbjT5_S1F_jjP12ihipStream_tbEUljE_ZNSN_ISO_Lb0ESR_SS_SU_SV_SZ_EES10_S11_S12_S13_S17_S18_S19_S1C_S1D_jS1E_jS1F_S1F_jjS1H_bEUljE0_EEES10_S11_S12_S19_S1D_S1F_T6_T7_T9_mT8_S1H_bDpT10_ENKUlT_T0_E_clISt17integral_constantIbLb0EES1U_IbLb1EEEEDaS1Q_S1R_EUlS1Q_E_NS1_11comp_targetILNS1_3genE0ELNS1_11target_archE4294967295ELNS1_3gpuE0ELNS1_3repE0EEENS1_30default_config_static_selectorELNS0_4arch9wavefront6targetE1EEEvS13_ ; -- Begin function _ZN7rocprim17ROCPRIM_400000_NS6detail17trampoline_kernelINS0_13select_configILj256ELj13ELNS0_17block_load_methodE3ELS4_3ELS4_3ELNS0_20block_scan_algorithmE0ELj4294967295EEENS1_25partition_config_selectorILNS1_17partition_subalgoE4EjNS0_10empty_typeEbEEZZNS1_14partition_implILS8_4ELb0ES6_15HIP_vector_typeIjLj2EENS0_17counting_iteratorIjlEEPS9_SG_NS0_5tupleIJPjSI_NS0_16reverse_iteratorISI_EEEEENSH_IJSG_SG_SG_EEES9_SI_JZNS1_25segmented_radix_sort_implINS0_14default_configELb0EPK12hip_bfloat16PSP_PKlPlN2at6native12_GLOBAL__N_18offset_tEEE10hipError_tPvRmT1_PNSt15iterator_traitsIS13_E10value_typeET2_T3_PNS14_IS19_E10value_typeET4_jRbjT5_S1F_jjP12ihipStream_tbEUljE_ZNSN_ISO_Lb0ESR_SS_SU_SV_SZ_EES10_S11_S12_S13_S17_S18_S19_S1C_S1D_jS1E_jS1F_S1F_jjS1H_bEUljE0_EEES10_S11_S12_S19_S1D_S1F_T6_T7_T9_mT8_S1H_bDpT10_ENKUlT_T0_E_clISt17integral_constantIbLb0EES1U_IbLb1EEEEDaS1Q_S1R_EUlS1Q_E_NS1_11comp_targetILNS1_3genE0ELNS1_11target_archE4294967295ELNS1_3gpuE0ELNS1_3repE0EEENS1_30default_config_static_selectorELNS0_4arch9wavefront6targetE1EEEvS13_
	.p2align	8
	.type	_ZN7rocprim17ROCPRIM_400000_NS6detail17trampoline_kernelINS0_13select_configILj256ELj13ELNS0_17block_load_methodE3ELS4_3ELS4_3ELNS0_20block_scan_algorithmE0ELj4294967295EEENS1_25partition_config_selectorILNS1_17partition_subalgoE4EjNS0_10empty_typeEbEEZZNS1_14partition_implILS8_4ELb0ES6_15HIP_vector_typeIjLj2EENS0_17counting_iteratorIjlEEPS9_SG_NS0_5tupleIJPjSI_NS0_16reverse_iteratorISI_EEEEENSH_IJSG_SG_SG_EEES9_SI_JZNS1_25segmented_radix_sort_implINS0_14default_configELb0EPK12hip_bfloat16PSP_PKlPlN2at6native12_GLOBAL__N_18offset_tEEE10hipError_tPvRmT1_PNSt15iterator_traitsIS13_E10value_typeET2_T3_PNS14_IS19_E10value_typeET4_jRbjT5_S1F_jjP12ihipStream_tbEUljE_ZNSN_ISO_Lb0ESR_SS_SU_SV_SZ_EES10_S11_S12_S13_S17_S18_S19_S1C_S1D_jS1E_jS1F_S1F_jjS1H_bEUljE0_EEES10_S11_S12_S19_S1D_S1F_T6_T7_T9_mT8_S1H_bDpT10_ENKUlT_T0_E_clISt17integral_constantIbLb0EES1U_IbLb1EEEEDaS1Q_S1R_EUlS1Q_E_NS1_11comp_targetILNS1_3genE0ELNS1_11target_archE4294967295ELNS1_3gpuE0ELNS1_3repE0EEENS1_30default_config_static_selectorELNS0_4arch9wavefront6targetE1EEEvS13_,@function
_ZN7rocprim17ROCPRIM_400000_NS6detail17trampoline_kernelINS0_13select_configILj256ELj13ELNS0_17block_load_methodE3ELS4_3ELS4_3ELNS0_20block_scan_algorithmE0ELj4294967295EEENS1_25partition_config_selectorILNS1_17partition_subalgoE4EjNS0_10empty_typeEbEEZZNS1_14partition_implILS8_4ELb0ES6_15HIP_vector_typeIjLj2EENS0_17counting_iteratorIjlEEPS9_SG_NS0_5tupleIJPjSI_NS0_16reverse_iteratorISI_EEEEENSH_IJSG_SG_SG_EEES9_SI_JZNS1_25segmented_radix_sort_implINS0_14default_configELb0EPK12hip_bfloat16PSP_PKlPlN2at6native12_GLOBAL__N_18offset_tEEE10hipError_tPvRmT1_PNSt15iterator_traitsIS13_E10value_typeET2_T3_PNS14_IS19_E10value_typeET4_jRbjT5_S1F_jjP12ihipStream_tbEUljE_ZNSN_ISO_Lb0ESR_SS_SU_SV_SZ_EES10_S11_S12_S13_S17_S18_S19_S1C_S1D_jS1E_jS1F_S1F_jjS1H_bEUljE0_EEES10_S11_S12_S19_S1D_S1F_T6_T7_T9_mT8_S1H_bDpT10_ENKUlT_T0_E_clISt17integral_constantIbLb0EES1U_IbLb1EEEEDaS1Q_S1R_EUlS1Q_E_NS1_11comp_targetILNS1_3genE0ELNS1_11target_archE4294967295ELNS1_3gpuE0ELNS1_3repE0EEENS1_30default_config_static_selectorELNS0_4arch9wavefront6targetE1EEEvS13_: ; @_ZN7rocprim17ROCPRIM_400000_NS6detail17trampoline_kernelINS0_13select_configILj256ELj13ELNS0_17block_load_methodE3ELS4_3ELS4_3ELNS0_20block_scan_algorithmE0ELj4294967295EEENS1_25partition_config_selectorILNS1_17partition_subalgoE4EjNS0_10empty_typeEbEEZZNS1_14partition_implILS8_4ELb0ES6_15HIP_vector_typeIjLj2EENS0_17counting_iteratorIjlEEPS9_SG_NS0_5tupleIJPjSI_NS0_16reverse_iteratorISI_EEEEENSH_IJSG_SG_SG_EEES9_SI_JZNS1_25segmented_radix_sort_implINS0_14default_configELb0EPK12hip_bfloat16PSP_PKlPlN2at6native12_GLOBAL__N_18offset_tEEE10hipError_tPvRmT1_PNSt15iterator_traitsIS13_E10value_typeET2_T3_PNS14_IS19_E10value_typeET4_jRbjT5_S1F_jjP12ihipStream_tbEUljE_ZNSN_ISO_Lb0ESR_SS_SU_SV_SZ_EES10_S11_S12_S13_S17_S18_S19_S1C_S1D_jS1E_jS1F_S1F_jjS1H_bEUljE0_EEES10_S11_S12_S19_S1D_S1F_T6_T7_T9_mT8_S1H_bDpT10_ENKUlT_T0_E_clISt17integral_constantIbLb0EES1U_IbLb1EEEEDaS1Q_S1R_EUlS1Q_E_NS1_11comp_targetILNS1_3genE0ELNS1_11target_archE4294967295ELNS1_3gpuE0ELNS1_3repE0EEENS1_30default_config_static_selectorELNS0_4arch9wavefront6targetE1EEEvS13_
; %bb.0:
	.section	.rodata,"a",@progbits
	.p2align	6, 0x0
	.amdhsa_kernel _ZN7rocprim17ROCPRIM_400000_NS6detail17trampoline_kernelINS0_13select_configILj256ELj13ELNS0_17block_load_methodE3ELS4_3ELS4_3ELNS0_20block_scan_algorithmE0ELj4294967295EEENS1_25partition_config_selectorILNS1_17partition_subalgoE4EjNS0_10empty_typeEbEEZZNS1_14partition_implILS8_4ELb0ES6_15HIP_vector_typeIjLj2EENS0_17counting_iteratorIjlEEPS9_SG_NS0_5tupleIJPjSI_NS0_16reverse_iteratorISI_EEEEENSH_IJSG_SG_SG_EEES9_SI_JZNS1_25segmented_radix_sort_implINS0_14default_configELb0EPK12hip_bfloat16PSP_PKlPlN2at6native12_GLOBAL__N_18offset_tEEE10hipError_tPvRmT1_PNSt15iterator_traitsIS13_E10value_typeET2_T3_PNS14_IS19_E10value_typeET4_jRbjT5_S1F_jjP12ihipStream_tbEUljE_ZNSN_ISO_Lb0ESR_SS_SU_SV_SZ_EES10_S11_S12_S13_S17_S18_S19_S1C_S1D_jS1E_jS1F_S1F_jjS1H_bEUljE0_EEES10_S11_S12_S19_S1D_S1F_T6_T7_T9_mT8_S1H_bDpT10_ENKUlT_T0_E_clISt17integral_constantIbLb0EES1U_IbLb1EEEEDaS1Q_S1R_EUlS1Q_E_NS1_11comp_targetILNS1_3genE0ELNS1_11target_archE4294967295ELNS1_3gpuE0ELNS1_3repE0EEENS1_30default_config_static_selectorELNS0_4arch9wavefront6targetE1EEEvS13_
		.amdhsa_group_segment_fixed_size 0
		.amdhsa_private_segment_fixed_size 0
		.amdhsa_kernarg_size 184
		.amdhsa_user_sgpr_count 6
		.amdhsa_user_sgpr_private_segment_buffer 1
		.amdhsa_user_sgpr_dispatch_ptr 0
		.amdhsa_user_sgpr_queue_ptr 0
		.amdhsa_user_sgpr_kernarg_segment_ptr 1
		.amdhsa_user_sgpr_dispatch_id 0
		.amdhsa_user_sgpr_flat_scratch_init 0
		.amdhsa_user_sgpr_private_segment_size 0
		.amdhsa_uses_dynamic_stack 0
		.amdhsa_system_sgpr_private_segment_wavefront_offset 0
		.amdhsa_system_sgpr_workgroup_id_x 1
		.amdhsa_system_sgpr_workgroup_id_y 0
		.amdhsa_system_sgpr_workgroup_id_z 0
		.amdhsa_system_sgpr_workgroup_info 0
		.amdhsa_system_vgpr_workitem_id 0
		.amdhsa_next_free_vgpr 1
		.amdhsa_next_free_sgpr 0
		.amdhsa_reserve_vcc 0
		.amdhsa_reserve_flat_scratch 0
		.amdhsa_float_round_mode_32 0
		.amdhsa_float_round_mode_16_64 0
		.amdhsa_float_denorm_mode_32 3
		.amdhsa_float_denorm_mode_16_64 3
		.amdhsa_dx10_clamp 1
		.amdhsa_ieee_mode 1
		.amdhsa_fp16_overflow 0
		.amdhsa_exception_fp_ieee_invalid_op 0
		.amdhsa_exception_fp_denorm_src 0
		.amdhsa_exception_fp_ieee_div_zero 0
		.amdhsa_exception_fp_ieee_overflow 0
		.amdhsa_exception_fp_ieee_underflow 0
		.amdhsa_exception_fp_ieee_inexact 0
		.amdhsa_exception_int_div_zero 0
	.end_amdhsa_kernel
	.section	.text._ZN7rocprim17ROCPRIM_400000_NS6detail17trampoline_kernelINS0_13select_configILj256ELj13ELNS0_17block_load_methodE3ELS4_3ELS4_3ELNS0_20block_scan_algorithmE0ELj4294967295EEENS1_25partition_config_selectorILNS1_17partition_subalgoE4EjNS0_10empty_typeEbEEZZNS1_14partition_implILS8_4ELb0ES6_15HIP_vector_typeIjLj2EENS0_17counting_iteratorIjlEEPS9_SG_NS0_5tupleIJPjSI_NS0_16reverse_iteratorISI_EEEEENSH_IJSG_SG_SG_EEES9_SI_JZNS1_25segmented_radix_sort_implINS0_14default_configELb0EPK12hip_bfloat16PSP_PKlPlN2at6native12_GLOBAL__N_18offset_tEEE10hipError_tPvRmT1_PNSt15iterator_traitsIS13_E10value_typeET2_T3_PNS14_IS19_E10value_typeET4_jRbjT5_S1F_jjP12ihipStream_tbEUljE_ZNSN_ISO_Lb0ESR_SS_SU_SV_SZ_EES10_S11_S12_S13_S17_S18_S19_S1C_S1D_jS1E_jS1F_S1F_jjS1H_bEUljE0_EEES10_S11_S12_S19_S1D_S1F_T6_T7_T9_mT8_S1H_bDpT10_ENKUlT_T0_E_clISt17integral_constantIbLb0EES1U_IbLb1EEEEDaS1Q_S1R_EUlS1Q_E_NS1_11comp_targetILNS1_3genE0ELNS1_11target_archE4294967295ELNS1_3gpuE0ELNS1_3repE0EEENS1_30default_config_static_selectorELNS0_4arch9wavefront6targetE1EEEvS13_,"axG",@progbits,_ZN7rocprim17ROCPRIM_400000_NS6detail17trampoline_kernelINS0_13select_configILj256ELj13ELNS0_17block_load_methodE3ELS4_3ELS4_3ELNS0_20block_scan_algorithmE0ELj4294967295EEENS1_25partition_config_selectorILNS1_17partition_subalgoE4EjNS0_10empty_typeEbEEZZNS1_14partition_implILS8_4ELb0ES6_15HIP_vector_typeIjLj2EENS0_17counting_iteratorIjlEEPS9_SG_NS0_5tupleIJPjSI_NS0_16reverse_iteratorISI_EEEEENSH_IJSG_SG_SG_EEES9_SI_JZNS1_25segmented_radix_sort_implINS0_14default_configELb0EPK12hip_bfloat16PSP_PKlPlN2at6native12_GLOBAL__N_18offset_tEEE10hipError_tPvRmT1_PNSt15iterator_traitsIS13_E10value_typeET2_T3_PNS14_IS19_E10value_typeET4_jRbjT5_S1F_jjP12ihipStream_tbEUljE_ZNSN_ISO_Lb0ESR_SS_SU_SV_SZ_EES10_S11_S12_S13_S17_S18_S19_S1C_S1D_jS1E_jS1F_S1F_jjS1H_bEUljE0_EEES10_S11_S12_S19_S1D_S1F_T6_T7_T9_mT8_S1H_bDpT10_ENKUlT_T0_E_clISt17integral_constantIbLb0EES1U_IbLb1EEEEDaS1Q_S1R_EUlS1Q_E_NS1_11comp_targetILNS1_3genE0ELNS1_11target_archE4294967295ELNS1_3gpuE0ELNS1_3repE0EEENS1_30default_config_static_selectorELNS0_4arch9wavefront6targetE1EEEvS13_,comdat
.Lfunc_end2009:
	.size	_ZN7rocprim17ROCPRIM_400000_NS6detail17trampoline_kernelINS0_13select_configILj256ELj13ELNS0_17block_load_methodE3ELS4_3ELS4_3ELNS0_20block_scan_algorithmE0ELj4294967295EEENS1_25partition_config_selectorILNS1_17partition_subalgoE4EjNS0_10empty_typeEbEEZZNS1_14partition_implILS8_4ELb0ES6_15HIP_vector_typeIjLj2EENS0_17counting_iteratorIjlEEPS9_SG_NS0_5tupleIJPjSI_NS0_16reverse_iteratorISI_EEEEENSH_IJSG_SG_SG_EEES9_SI_JZNS1_25segmented_radix_sort_implINS0_14default_configELb0EPK12hip_bfloat16PSP_PKlPlN2at6native12_GLOBAL__N_18offset_tEEE10hipError_tPvRmT1_PNSt15iterator_traitsIS13_E10value_typeET2_T3_PNS14_IS19_E10value_typeET4_jRbjT5_S1F_jjP12ihipStream_tbEUljE_ZNSN_ISO_Lb0ESR_SS_SU_SV_SZ_EES10_S11_S12_S13_S17_S18_S19_S1C_S1D_jS1E_jS1F_S1F_jjS1H_bEUljE0_EEES10_S11_S12_S19_S1D_S1F_T6_T7_T9_mT8_S1H_bDpT10_ENKUlT_T0_E_clISt17integral_constantIbLb0EES1U_IbLb1EEEEDaS1Q_S1R_EUlS1Q_E_NS1_11comp_targetILNS1_3genE0ELNS1_11target_archE4294967295ELNS1_3gpuE0ELNS1_3repE0EEENS1_30default_config_static_selectorELNS0_4arch9wavefront6targetE1EEEvS13_, .Lfunc_end2009-_ZN7rocprim17ROCPRIM_400000_NS6detail17trampoline_kernelINS0_13select_configILj256ELj13ELNS0_17block_load_methodE3ELS4_3ELS4_3ELNS0_20block_scan_algorithmE0ELj4294967295EEENS1_25partition_config_selectorILNS1_17partition_subalgoE4EjNS0_10empty_typeEbEEZZNS1_14partition_implILS8_4ELb0ES6_15HIP_vector_typeIjLj2EENS0_17counting_iteratorIjlEEPS9_SG_NS0_5tupleIJPjSI_NS0_16reverse_iteratorISI_EEEEENSH_IJSG_SG_SG_EEES9_SI_JZNS1_25segmented_radix_sort_implINS0_14default_configELb0EPK12hip_bfloat16PSP_PKlPlN2at6native12_GLOBAL__N_18offset_tEEE10hipError_tPvRmT1_PNSt15iterator_traitsIS13_E10value_typeET2_T3_PNS14_IS19_E10value_typeET4_jRbjT5_S1F_jjP12ihipStream_tbEUljE_ZNSN_ISO_Lb0ESR_SS_SU_SV_SZ_EES10_S11_S12_S13_S17_S18_S19_S1C_S1D_jS1E_jS1F_S1F_jjS1H_bEUljE0_EEES10_S11_S12_S19_S1D_S1F_T6_T7_T9_mT8_S1H_bDpT10_ENKUlT_T0_E_clISt17integral_constantIbLb0EES1U_IbLb1EEEEDaS1Q_S1R_EUlS1Q_E_NS1_11comp_targetILNS1_3genE0ELNS1_11target_archE4294967295ELNS1_3gpuE0ELNS1_3repE0EEENS1_30default_config_static_selectorELNS0_4arch9wavefront6targetE1EEEvS13_
                                        ; -- End function
	.set _ZN7rocprim17ROCPRIM_400000_NS6detail17trampoline_kernelINS0_13select_configILj256ELj13ELNS0_17block_load_methodE3ELS4_3ELS4_3ELNS0_20block_scan_algorithmE0ELj4294967295EEENS1_25partition_config_selectorILNS1_17partition_subalgoE4EjNS0_10empty_typeEbEEZZNS1_14partition_implILS8_4ELb0ES6_15HIP_vector_typeIjLj2EENS0_17counting_iteratorIjlEEPS9_SG_NS0_5tupleIJPjSI_NS0_16reverse_iteratorISI_EEEEENSH_IJSG_SG_SG_EEES9_SI_JZNS1_25segmented_radix_sort_implINS0_14default_configELb0EPK12hip_bfloat16PSP_PKlPlN2at6native12_GLOBAL__N_18offset_tEEE10hipError_tPvRmT1_PNSt15iterator_traitsIS13_E10value_typeET2_T3_PNS14_IS19_E10value_typeET4_jRbjT5_S1F_jjP12ihipStream_tbEUljE_ZNSN_ISO_Lb0ESR_SS_SU_SV_SZ_EES10_S11_S12_S13_S17_S18_S19_S1C_S1D_jS1E_jS1F_S1F_jjS1H_bEUljE0_EEES10_S11_S12_S19_S1D_S1F_T6_T7_T9_mT8_S1H_bDpT10_ENKUlT_T0_E_clISt17integral_constantIbLb0EES1U_IbLb1EEEEDaS1Q_S1R_EUlS1Q_E_NS1_11comp_targetILNS1_3genE0ELNS1_11target_archE4294967295ELNS1_3gpuE0ELNS1_3repE0EEENS1_30default_config_static_selectorELNS0_4arch9wavefront6targetE1EEEvS13_.num_vgpr, 0
	.set _ZN7rocprim17ROCPRIM_400000_NS6detail17trampoline_kernelINS0_13select_configILj256ELj13ELNS0_17block_load_methodE3ELS4_3ELS4_3ELNS0_20block_scan_algorithmE0ELj4294967295EEENS1_25partition_config_selectorILNS1_17partition_subalgoE4EjNS0_10empty_typeEbEEZZNS1_14partition_implILS8_4ELb0ES6_15HIP_vector_typeIjLj2EENS0_17counting_iteratorIjlEEPS9_SG_NS0_5tupleIJPjSI_NS0_16reverse_iteratorISI_EEEEENSH_IJSG_SG_SG_EEES9_SI_JZNS1_25segmented_radix_sort_implINS0_14default_configELb0EPK12hip_bfloat16PSP_PKlPlN2at6native12_GLOBAL__N_18offset_tEEE10hipError_tPvRmT1_PNSt15iterator_traitsIS13_E10value_typeET2_T3_PNS14_IS19_E10value_typeET4_jRbjT5_S1F_jjP12ihipStream_tbEUljE_ZNSN_ISO_Lb0ESR_SS_SU_SV_SZ_EES10_S11_S12_S13_S17_S18_S19_S1C_S1D_jS1E_jS1F_S1F_jjS1H_bEUljE0_EEES10_S11_S12_S19_S1D_S1F_T6_T7_T9_mT8_S1H_bDpT10_ENKUlT_T0_E_clISt17integral_constantIbLb0EES1U_IbLb1EEEEDaS1Q_S1R_EUlS1Q_E_NS1_11comp_targetILNS1_3genE0ELNS1_11target_archE4294967295ELNS1_3gpuE0ELNS1_3repE0EEENS1_30default_config_static_selectorELNS0_4arch9wavefront6targetE1EEEvS13_.num_agpr, 0
	.set _ZN7rocprim17ROCPRIM_400000_NS6detail17trampoline_kernelINS0_13select_configILj256ELj13ELNS0_17block_load_methodE3ELS4_3ELS4_3ELNS0_20block_scan_algorithmE0ELj4294967295EEENS1_25partition_config_selectorILNS1_17partition_subalgoE4EjNS0_10empty_typeEbEEZZNS1_14partition_implILS8_4ELb0ES6_15HIP_vector_typeIjLj2EENS0_17counting_iteratorIjlEEPS9_SG_NS0_5tupleIJPjSI_NS0_16reverse_iteratorISI_EEEEENSH_IJSG_SG_SG_EEES9_SI_JZNS1_25segmented_radix_sort_implINS0_14default_configELb0EPK12hip_bfloat16PSP_PKlPlN2at6native12_GLOBAL__N_18offset_tEEE10hipError_tPvRmT1_PNSt15iterator_traitsIS13_E10value_typeET2_T3_PNS14_IS19_E10value_typeET4_jRbjT5_S1F_jjP12ihipStream_tbEUljE_ZNSN_ISO_Lb0ESR_SS_SU_SV_SZ_EES10_S11_S12_S13_S17_S18_S19_S1C_S1D_jS1E_jS1F_S1F_jjS1H_bEUljE0_EEES10_S11_S12_S19_S1D_S1F_T6_T7_T9_mT8_S1H_bDpT10_ENKUlT_T0_E_clISt17integral_constantIbLb0EES1U_IbLb1EEEEDaS1Q_S1R_EUlS1Q_E_NS1_11comp_targetILNS1_3genE0ELNS1_11target_archE4294967295ELNS1_3gpuE0ELNS1_3repE0EEENS1_30default_config_static_selectorELNS0_4arch9wavefront6targetE1EEEvS13_.numbered_sgpr, 0
	.set _ZN7rocprim17ROCPRIM_400000_NS6detail17trampoline_kernelINS0_13select_configILj256ELj13ELNS0_17block_load_methodE3ELS4_3ELS4_3ELNS0_20block_scan_algorithmE0ELj4294967295EEENS1_25partition_config_selectorILNS1_17partition_subalgoE4EjNS0_10empty_typeEbEEZZNS1_14partition_implILS8_4ELb0ES6_15HIP_vector_typeIjLj2EENS0_17counting_iteratorIjlEEPS9_SG_NS0_5tupleIJPjSI_NS0_16reverse_iteratorISI_EEEEENSH_IJSG_SG_SG_EEES9_SI_JZNS1_25segmented_radix_sort_implINS0_14default_configELb0EPK12hip_bfloat16PSP_PKlPlN2at6native12_GLOBAL__N_18offset_tEEE10hipError_tPvRmT1_PNSt15iterator_traitsIS13_E10value_typeET2_T3_PNS14_IS19_E10value_typeET4_jRbjT5_S1F_jjP12ihipStream_tbEUljE_ZNSN_ISO_Lb0ESR_SS_SU_SV_SZ_EES10_S11_S12_S13_S17_S18_S19_S1C_S1D_jS1E_jS1F_S1F_jjS1H_bEUljE0_EEES10_S11_S12_S19_S1D_S1F_T6_T7_T9_mT8_S1H_bDpT10_ENKUlT_T0_E_clISt17integral_constantIbLb0EES1U_IbLb1EEEEDaS1Q_S1R_EUlS1Q_E_NS1_11comp_targetILNS1_3genE0ELNS1_11target_archE4294967295ELNS1_3gpuE0ELNS1_3repE0EEENS1_30default_config_static_selectorELNS0_4arch9wavefront6targetE1EEEvS13_.num_named_barrier, 0
	.set _ZN7rocprim17ROCPRIM_400000_NS6detail17trampoline_kernelINS0_13select_configILj256ELj13ELNS0_17block_load_methodE3ELS4_3ELS4_3ELNS0_20block_scan_algorithmE0ELj4294967295EEENS1_25partition_config_selectorILNS1_17partition_subalgoE4EjNS0_10empty_typeEbEEZZNS1_14partition_implILS8_4ELb0ES6_15HIP_vector_typeIjLj2EENS0_17counting_iteratorIjlEEPS9_SG_NS0_5tupleIJPjSI_NS0_16reverse_iteratorISI_EEEEENSH_IJSG_SG_SG_EEES9_SI_JZNS1_25segmented_radix_sort_implINS0_14default_configELb0EPK12hip_bfloat16PSP_PKlPlN2at6native12_GLOBAL__N_18offset_tEEE10hipError_tPvRmT1_PNSt15iterator_traitsIS13_E10value_typeET2_T3_PNS14_IS19_E10value_typeET4_jRbjT5_S1F_jjP12ihipStream_tbEUljE_ZNSN_ISO_Lb0ESR_SS_SU_SV_SZ_EES10_S11_S12_S13_S17_S18_S19_S1C_S1D_jS1E_jS1F_S1F_jjS1H_bEUljE0_EEES10_S11_S12_S19_S1D_S1F_T6_T7_T9_mT8_S1H_bDpT10_ENKUlT_T0_E_clISt17integral_constantIbLb0EES1U_IbLb1EEEEDaS1Q_S1R_EUlS1Q_E_NS1_11comp_targetILNS1_3genE0ELNS1_11target_archE4294967295ELNS1_3gpuE0ELNS1_3repE0EEENS1_30default_config_static_selectorELNS0_4arch9wavefront6targetE1EEEvS13_.private_seg_size, 0
	.set _ZN7rocprim17ROCPRIM_400000_NS6detail17trampoline_kernelINS0_13select_configILj256ELj13ELNS0_17block_load_methodE3ELS4_3ELS4_3ELNS0_20block_scan_algorithmE0ELj4294967295EEENS1_25partition_config_selectorILNS1_17partition_subalgoE4EjNS0_10empty_typeEbEEZZNS1_14partition_implILS8_4ELb0ES6_15HIP_vector_typeIjLj2EENS0_17counting_iteratorIjlEEPS9_SG_NS0_5tupleIJPjSI_NS0_16reverse_iteratorISI_EEEEENSH_IJSG_SG_SG_EEES9_SI_JZNS1_25segmented_radix_sort_implINS0_14default_configELb0EPK12hip_bfloat16PSP_PKlPlN2at6native12_GLOBAL__N_18offset_tEEE10hipError_tPvRmT1_PNSt15iterator_traitsIS13_E10value_typeET2_T3_PNS14_IS19_E10value_typeET4_jRbjT5_S1F_jjP12ihipStream_tbEUljE_ZNSN_ISO_Lb0ESR_SS_SU_SV_SZ_EES10_S11_S12_S13_S17_S18_S19_S1C_S1D_jS1E_jS1F_S1F_jjS1H_bEUljE0_EEES10_S11_S12_S19_S1D_S1F_T6_T7_T9_mT8_S1H_bDpT10_ENKUlT_T0_E_clISt17integral_constantIbLb0EES1U_IbLb1EEEEDaS1Q_S1R_EUlS1Q_E_NS1_11comp_targetILNS1_3genE0ELNS1_11target_archE4294967295ELNS1_3gpuE0ELNS1_3repE0EEENS1_30default_config_static_selectorELNS0_4arch9wavefront6targetE1EEEvS13_.uses_vcc, 0
	.set _ZN7rocprim17ROCPRIM_400000_NS6detail17trampoline_kernelINS0_13select_configILj256ELj13ELNS0_17block_load_methodE3ELS4_3ELS4_3ELNS0_20block_scan_algorithmE0ELj4294967295EEENS1_25partition_config_selectorILNS1_17partition_subalgoE4EjNS0_10empty_typeEbEEZZNS1_14partition_implILS8_4ELb0ES6_15HIP_vector_typeIjLj2EENS0_17counting_iteratorIjlEEPS9_SG_NS0_5tupleIJPjSI_NS0_16reverse_iteratorISI_EEEEENSH_IJSG_SG_SG_EEES9_SI_JZNS1_25segmented_radix_sort_implINS0_14default_configELb0EPK12hip_bfloat16PSP_PKlPlN2at6native12_GLOBAL__N_18offset_tEEE10hipError_tPvRmT1_PNSt15iterator_traitsIS13_E10value_typeET2_T3_PNS14_IS19_E10value_typeET4_jRbjT5_S1F_jjP12ihipStream_tbEUljE_ZNSN_ISO_Lb0ESR_SS_SU_SV_SZ_EES10_S11_S12_S13_S17_S18_S19_S1C_S1D_jS1E_jS1F_S1F_jjS1H_bEUljE0_EEES10_S11_S12_S19_S1D_S1F_T6_T7_T9_mT8_S1H_bDpT10_ENKUlT_T0_E_clISt17integral_constantIbLb0EES1U_IbLb1EEEEDaS1Q_S1R_EUlS1Q_E_NS1_11comp_targetILNS1_3genE0ELNS1_11target_archE4294967295ELNS1_3gpuE0ELNS1_3repE0EEENS1_30default_config_static_selectorELNS0_4arch9wavefront6targetE1EEEvS13_.uses_flat_scratch, 0
	.set _ZN7rocprim17ROCPRIM_400000_NS6detail17trampoline_kernelINS0_13select_configILj256ELj13ELNS0_17block_load_methodE3ELS4_3ELS4_3ELNS0_20block_scan_algorithmE0ELj4294967295EEENS1_25partition_config_selectorILNS1_17partition_subalgoE4EjNS0_10empty_typeEbEEZZNS1_14partition_implILS8_4ELb0ES6_15HIP_vector_typeIjLj2EENS0_17counting_iteratorIjlEEPS9_SG_NS0_5tupleIJPjSI_NS0_16reverse_iteratorISI_EEEEENSH_IJSG_SG_SG_EEES9_SI_JZNS1_25segmented_radix_sort_implINS0_14default_configELb0EPK12hip_bfloat16PSP_PKlPlN2at6native12_GLOBAL__N_18offset_tEEE10hipError_tPvRmT1_PNSt15iterator_traitsIS13_E10value_typeET2_T3_PNS14_IS19_E10value_typeET4_jRbjT5_S1F_jjP12ihipStream_tbEUljE_ZNSN_ISO_Lb0ESR_SS_SU_SV_SZ_EES10_S11_S12_S13_S17_S18_S19_S1C_S1D_jS1E_jS1F_S1F_jjS1H_bEUljE0_EEES10_S11_S12_S19_S1D_S1F_T6_T7_T9_mT8_S1H_bDpT10_ENKUlT_T0_E_clISt17integral_constantIbLb0EES1U_IbLb1EEEEDaS1Q_S1R_EUlS1Q_E_NS1_11comp_targetILNS1_3genE0ELNS1_11target_archE4294967295ELNS1_3gpuE0ELNS1_3repE0EEENS1_30default_config_static_selectorELNS0_4arch9wavefront6targetE1EEEvS13_.has_dyn_sized_stack, 0
	.set _ZN7rocprim17ROCPRIM_400000_NS6detail17trampoline_kernelINS0_13select_configILj256ELj13ELNS0_17block_load_methodE3ELS4_3ELS4_3ELNS0_20block_scan_algorithmE0ELj4294967295EEENS1_25partition_config_selectorILNS1_17partition_subalgoE4EjNS0_10empty_typeEbEEZZNS1_14partition_implILS8_4ELb0ES6_15HIP_vector_typeIjLj2EENS0_17counting_iteratorIjlEEPS9_SG_NS0_5tupleIJPjSI_NS0_16reverse_iteratorISI_EEEEENSH_IJSG_SG_SG_EEES9_SI_JZNS1_25segmented_radix_sort_implINS0_14default_configELb0EPK12hip_bfloat16PSP_PKlPlN2at6native12_GLOBAL__N_18offset_tEEE10hipError_tPvRmT1_PNSt15iterator_traitsIS13_E10value_typeET2_T3_PNS14_IS19_E10value_typeET4_jRbjT5_S1F_jjP12ihipStream_tbEUljE_ZNSN_ISO_Lb0ESR_SS_SU_SV_SZ_EES10_S11_S12_S13_S17_S18_S19_S1C_S1D_jS1E_jS1F_S1F_jjS1H_bEUljE0_EEES10_S11_S12_S19_S1D_S1F_T6_T7_T9_mT8_S1H_bDpT10_ENKUlT_T0_E_clISt17integral_constantIbLb0EES1U_IbLb1EEEEDaS1Q_S1R_EUlS1Q_E_NS1_11comp_targetILNS1_3genE0ELNS1_11target_archE4294967295ELNS1_3gpuE0ELNS1_3repE0EEENS1_30default_config_static_selectorELNS0_4arch9wavefront6targetE1EEEvS13_.has_recursion, 0
	.set _ZN7rocprim17ROCPRIM_400000_NS6detail17trampoline_kernelINS0_13select_configILj256ELj13ELNS0_17block_load_methodE3ELS4_3ELS4_3ELNS0_20block_scan_algorithmE0ELj4294967295EEENS1_25partition_config_selectorILNS1_17partition_subalgoE4EjNS0_10empty_typeEbEEZZNS1_14partition_implILS8_4ELb0ES6_15HIP_vector_typeIjLj2EENS0_17counting_iteratorIjlEEPS9_SG_NS0_5tupleIJPjSI_NS0_16reverse_iteratorISI_EEEEENSH_IJSG_SG_SG_EEES9_SI_JZNS1_25segmented_radix_sort_implINS0_14default_configELb0EPK12hip_bfloat16PSP_PKlPlN2at6native12_GLOBAL__N_18offset_tEEE10hipError_tPvRmT1_PNSt15iterator_traitsIS13_E10value_typeET2_T3_PNS14_IS19_E10value_typeET4_jRbjT5_S1F_jjP12ihipStream_tbEUljE_ZNSN_ISO_Lb0ESR_SS_SU_SV_SZ_EES10_S11_S12_S13_S17_S18_S19_S1C_S1D_jS1E_jS1F_S1F_jjS1H_bEUljE0_EEES10_S11_S12_S19_S1D_S1F_T6_T7_T9_mT8_S1H_bDpT10_ENKUlT_T0_E_clISt17integral_constantIbLb0EES1U_IbLb1EEEEDaS1Q_S1R_EUlS1Q_E_NS1_11comp_targetILNS1_3genE0ELNS1_11target_archE4294967295ELNS1_3gpuE0ELNS1_3repE0EEENS1_30default_config_static_selectorELNS0_4arch9wavefront6targetE1EEEvS13_.has_indirect_call, 0
	.section	.AMDGPU.csdata,"",@progbits
; Kernel info:
; codeLenInByte = 0
; TotalNumSgprs: 4
; NumVgprs: 0
; ScratchSize: 0
; MemoryBound: 0
; FloatMode: 240
; IeeeMode: 1
; LDSByteSize: 0 bytes/workgroup (compile time only)
; SGPRBlocks: 0
; VGPRBlocks: 0
; NumSGPRsForWavesPerEU: 4
; NumVGPRsForWavesPerEU: 1
; Occupancy: 10
; WaveLimiterHint : 0
; COMPUTE_PGM_RSRC2:SCRATCH_EN: 0
; COMPUTE_PGM_RSRC2:USER_SGPR: 6
; COMPUTE_PGM_RSRC2:TRAP_HANDLER: 0
; COMPUTE_PGM_RSRC2:TGID_X_EN: 1
; COMPUTE_PGM_RSRC2:TGID_Y_EN: 0
; COMPUTE_PGM_RSRC2:TGID_Z_EN: 0
; COMPUTE_PGM_RSRC2:TIDIG_COMP_CNT: 0
	.section	.text._ZN7rocprim17ROCPRIM_400000_NS6detail17trampoline_kernelINS0_13select_configILj256ELj13ELNS0_17block_load_methodE3ELS4_3ELS4_3ELNS0_20block_scan_algorithmE0ELj4294967295EEENS1_25partition_config_selectorILNS1_17partition_subalgoE4EjNS0_10empty_typeEbEEZZNS1_14partition_implILS8_4ELb0ES6_15HIP_vector_typeIjLj2EENS0_17counting_iteratorIjlEEPS9_SG_NS0_5tupleIJPjSI_NS0_16reverse_iteratorISI_EEEEENSH_IJSG_SG_SG_EEES9_SI_JZNS1_25segmented_radix_sort_implINS0_14default_configELb0EPK12hip_bfloat16PSP_PKlPlN2at6native12_GLOBAL__N_18offset_tEEE10hipError_tPvRmT1_PNSt15iterator_traitsIS13_E10value_typeET2_T3_PNS14_IS19_E10value_typeET4_jRbjT5_S1F_jjP12ihipStream_tbEUljE_ZNSN_ISO_Lb0ESR_SS_SU_SV_SZ_EES10_S11_S12_S13_S17_S18_S19_S1C_S1D_jS1E_jS1F_S1F_jjS1H_bEUljE0_EEES10_S11_S12_S19_S1D_S1F_T6_T7_T9_mT8_S1H_bDpT10_ENKUlT_T0_E_clISt17integral_constantIbLb0EES1U_IbLb1EEEEDaS1Q_S1R_EUlS1Q_E_NS1_11comp_targetILNS1_3genE5ELNS1_11target_archE942ELNS1_3gpuE9ELNS1_3repE0EEENS1_30default_config_static_selectorELNS0_4arch9wavefront6targetE1EEEvS13_,"axG",@progbits,_ZN7rocprim17ROCPRIM_400000_NS6detail17trampoline_kernelINS0_13select_configILj256ELj13ELNS0_17block_load_methodE3ELS4_3ELS4_3ELNS0_20block_scan_algorithmE0ELj4294967295EEENS1_25partition_config_selectorILNS1_17partition_subalgoE4EjNS0_10empty_typeEbEEZZNS1_14partition_implILS8_4ELb0ES6_15HIP_vector_typeIjLj2EENS0_17counting_iteratorIjlEEPS9_SG_NS0_5tupleIJPjSI_NS0_16reverse_iteratorISI_EEEEENSH_IJSG_SG_SG_EEES9_SI_JZNS1_25segmented_radix_sort_implINS0_14default_configELb0EPK12hip_bfloat16PSP_PKlPlN2at6native12_GLOBAL__N_18offset_tEEE10hipError_tPvRmT1_PNSt15iterator_traitsIS13_E10value_typeET2_T3_PNS14_IS19_E10value_typeET4_jRbjT5_S1F_jjP12ihipStream_tbEUljE_ZNSN_ISO_Lb0ESR_SS_SU_SV_SZ_EES10_S11_S12_S13_S17_S18_S19_S1C_S1D_jS1E_jS1F_S1F_jjS1H_bEUljE0_EEES10_S11_S12_S19_S1D_S1F_T6_T7_T9_mT8_S1H_bDpT10_ENKUlT_T0_E_clISt17integral_constantIbLb0EES1U_IbLb1EEEEDaS1Q_S1R_EUlS1Q_E_NS1_11comp_targetILNS1_3genE5ELNS1_11target_archE942ELNS1_3gpuE9ELNS1_3repE0EEENS1_30default_config_static_selectorELNS0_4arch9wavefront6targetE1EEEvS13_,comdat
	.globl	_ZN7rocprim17ROCPRIM_400000_NS6detail17trampoline_kernelINS0_13select_configILj256ELj13ELNS0_17block_load_methodE3ELS4_3ELS4_3ELNS0_20block_scan_algorithmE0ELj4294967295EEENS1_25partition_config_selectorILNS1_17partition_subalgoE4EjNS0_10empty_typeEbEEZZNS1_14partition_implILS8_4ELb0ES6_15HIP_vector_typeIjLj2EENS0_17counting_iteratorIjlEEPS9_SG_NS0_5tupleIJPjSI_NS0_16reverse_iteratorISI_EEEEENSH_IJSG_SG_SG_EEES9_SI_JZNS1_25segmented_radix_sort_implINS0_14default_configELb0EPK12hip_bfloat16PSP_PKlPlN2at6native12_GLOBAL__N_18offset_tEEE10hipError_tPvRmT1_PNSt15iterator_traitsIS13_E10value_typeET2_T3_PNS14_IS19_E10value_typeET4_jRbjT5_S1F_jjP12ihipStream_tbEUljE_ZNSN_ISO_Lb0ESR_SS_SU_SV_SZ_EES10_S11_S12_S13_S17_S18_S19_S1C_S1D_jS1E_jS1F_S1F_jjS1H_bEUljE0_EEES10_S11_S12_S19_S1D_S1F_T6_T7_T9_mT8_S1H_bDpT10_ENKUlT_T0_E_clISt17integral_constantIbLb0EES1U_IbLb1EEEEDaS1Q_S1R_EUlS1Q_E_NS1_11comp_targetILNS1_3genE5ELNS1_11target_archE942ELNS1_3gpuE9ELNS1_3repE0EEENS1_30default_config_static_selectorELNS0_4arch9wavefront6targetE1EEEvS13_ ; -- Begin function _ZN7rocprim17ROCPRIM_400000_NS6detail17trampoline_kernelINS0_13select_configILj256ELj13ELNS0_17block_load_methodE3ELS4_3ELS4_3ELNS0_20block_scan_algorithmE0ELj4294967295EEENS1_25partition_config_selectorILNS1_17partition_subalgoE4EjNS0_10empty_typeEbEEZZNS1_14partition_implILS8_4ELb0ES6_15HIP_vector_typeIjLj2EENS0_17counting_iteratorIjlEEPS9_SG_NS0_5tupleIJPjSI_NS0_16reverse_iteratorISI_EEEEENSH_IJSG_SG_SG_EEES9_SI_JZNS1_25segmented_radix_sort_implINS0_14default_configELb0EPK12hip_bfloat16PSP_PKlPlN2at6native12_GLOBAL__N_18offset_tEEE10hipError_tPvRmT1_PNSt15iterator_traitsIS13_E10value_typeET2_T3_PNS14_IS19_E10value_typeET4_jRbjT5_S1F_jjP12ihipStream_tbEUljE_ZNSN_ISO_Lb0ESR_SS_SU_SV_SZ_EES10_S11_S12_S13_S17_S18_S19_S1C_S1D_jS1E_jS1F_S1F_jjS1H_bEUljE0_EEES10_S11_S12_S19_S1D_S1F_T6_T7_T9_mT8_S1H_bDpT10_ENKUlT_T0_E_clISt17integral_constantIbLb0EES1U_IbLb1EEEEDaS1Q_S1R_EUlS1Q_E_NS1_11comp_targetILNS1_3genE5ELNS1_11target_archE942ELNS1_3gpuE9ELNS1_3repE0EEENS1_30default_config_static_selectorELNS0_4arch9wavefront6targetE1EEEvS13_
	.p2align	8
	.type	_ZN7rocprim17ROCPRIM_400000_NS6detail17trampoline_kernelINS0_13select_configILj256ELj13ELNS0_17block_load_methodE3ELS4_3ELS4_3ELNS0_20block_scan_algorithmE0ELj4294967295EEENS1_25partition_config_selectorILNS1_17partition_subalgoE4EjNS0_10empty_typeEbEEZZNS1_14partition_implILS8_4ELb0ES6_15HIP_vector_typeIjLj2EENS0_17counting_iteratorIjlEEPS9_SG_NS0_5tupleIJPjSI_NS0_16reverse_iteratorISI_EEEEENSH_IJSG_SG_SG_EEES9_SI_JZNS1_25segmented_radix_sort_implINS0_14default_configELb0EPK12hip_bfloat16PSP_PKlPlN2at6native12_GLOBAL__N_18offset_tEEE10hipError_tPvRmT1_PNSt15iterator_traitsIS13_E10value_typeET2_T3_PNS14_IS19_E10value_typeET4_jRbjT5_S1F_jjP12ihipStream_tbEUljE_ZNSN_ISO_Lb0ESR_SS_SU_SV_SZ_EES10_S11_S12_S13_S17_S18_S19_S1C_S1D_jS1E_jS1F_S1F_jjS1H_bEUljE0_EEES10_S11_S12_S19_S1D_S1F_T6_T7_T9_mT8_S1H_bDpT10_ENKUlT_T0_E_clISt17integral_constantIbLb0EES1U_IbLb1EEEEDaS1Q_S1R_EUlS1Q_E_NS1_11comp_targetILNS1_3genE5ELNS1_11target_archE942ELNS1_3gpuE9ELNS1_3repE0EEENS1_30default_config_static_selectorELNS0_4arch9wavefront6targetE1EEEvS13_,@function
_ZN7rocprim17ROCPRIM_400000_NS6detail17trampoline_kernelINS0_13select_configILj256ELj13ELNS0_17block_load_methodE3ELS4_3ELS4_3ELNS0_20block_scan_algorithmE0ELj4294967295EEENS1_25partition_config_selectorILNS1_17partition_subalgoE4EjNS0_10empty_typeEbEEZZNS1_14partition_implILS8_4ELb0ES6_15HIP_vector_typeIjLj2EENS0_17counting_iteratorIjlEEPS9_SG_NS0_5tupleIJPjSI_NS0_16reverse_iteratorISI_EEEEENSH_IJSG_SG_SG_EEES9_SI_JZNS1_25segmented_radix_sort_implINS0_14default_configELb0EPK12hip_bfloat16PSP_PKlPlN2at6native12_GLOBAL__N_18offset_tEEE10hipError_tPvRmT1_PNSt15iterator_traitsIS13_E10value_typeET2_T3_PNS14_IS19_E10value_typeET4_jRbjT5_S1F_jjP12ihipStream_tbEUljE_ZNSN_ISO_Lb0ESR_SS_SU_SV_SZ_EES10_S11_S12_S13_S17_S18_S19_S1C_S1D_jS1E_jS1F_S1F_jjS1H_bEUljE0_EEES10_S11_S12_S19_S1D_S1F_T6_T7_T9_mT8_S1H_bDpT10_ENKUlT_T0_E_clISt17integral_constantIbLb0EES1U_IbLb1EEEEDaS1Q_S1R_EUlS1Q_E_NS1_11comp_targetILNS1_3genE5ELNS1_11target_archE942ELNS1_3gpuE9ELNS1_3repE0EEENS1_30default_config_static_selectorELNS0_4arch9wavefront6targetE1EEEvS13_: ; @_ZN7rocprim17ROCPRIM_400000_NS6detail17trampoline_kernelINS0_13select_configILj256ELj13ELNS0_17block_load_methodE3ELS4_3ELS4_3ELNS0_20block_scan_algorithmE0ELj4294967295EEENS1_25partition_config_selectorILNS1_17partition_subalgoE4EjNS0_10empty_typeEbEEZZNS1_14partition_implILS8_4ELb0ES6_15HIP_vector_typeIjLj2EENS0_17counting_iteratorIjlEEPS9_SG_NS0_5tupleIJPjSI_NS0_16reverse_iteratorISI_EEEEENSH_IJSG_SG_SG_EEES9_SI_JZNS1_25segmented_radix_sort_implINS0_14default_configELb0EPK12hip_bfloat16PSP_PKlPlN2at6native12_GLOBAL__N_18offset_tEEE10hipError_tPvRmT1_PNSt15iterator_traitsIS13_E10value_typeET2_T3_PNS14_IS19_E10value_typeET4_jRbjT5_S1F_jjP12ihipStream_tbEUljE_ZNSN_ISO_Lb0ESR_SS_SU_SV_SZ_EES10_S11_S12_S13_S17_S18_S19_S1C_S1D_jS1E_jS1F_S1F_jjS1H_bEUljE0_EEES10_S11_S12_S19_S1D_S1F_T6_T7_T9_mT8_S1H_bDpT10_ENKUlT_T0_E_clISt17integral_constantIbLb0EES1U_IbLb1EEEEDaS1Q_S1R_EUlS1Q_E_NS1_11comp_targetILNS1_3genE5ELNS1_11target_archE942ELNS1_3gpuE9ELNS1_3repE0EEENS1_30default_config_static_selectorELNS0_4arch9wavefront6targetE1EEEvS13_
; %bb.0:
	.section	.rodata,"a",@progbits
	.p2align	6, 0x0
	.amdhsa_kernel _ZN7rocprim17ROCPRIM_400000_NS6detail17trampoline_kernelINS0_13select_configILj256ELj13ELNS0_17block_load_methodE3ELS4_3ELS4_3ELNS0_20block_scan_algorithmE0ELj4294967295EEENS1_25partition_config_selectorILNS1_17partition_subalgoE4EjNS0_10empty_typeEbEEZZNS1_14partition_implILS8_4ELb0ES6_15HIP_vector_typeIjLj2EENS0_17counting_iteratorIjlEEPS9_SG_NS0_5tupleIJPjSI_NS0_16reverse_iteratorISI_EEEEENSH_IJSG_SG_SG_EEES9_SI_JZNS1_25segmented_radix_sort_implINS0_14default_configELb0EPK12hip_bfloat16PSP_PKlPlN2at6native12_GLOBAL__N_18offset_tEEE10hipError_tPvRmT1_PNSt15iterator_traitsIS13_E10value_typeET2_T3_PNS14_IS19_E10value_typeET4_jRbjT5_S1F_jjP12ihipStream_tbEUljE_ZNSN_ISO_Lb0ESR_SS_SU_SV_SZ_EES10_S11_S12_S13_S17_S18_S19_S1C_S1D_jS1E_jS1F_S1F_jjS1H_bEUljE0_EEES10_S11_S12_S19_S1D_S1F_T6_T7_T9_mT8_S1H_bDpT10_ENKUlT_T0_E_clISt17integral_constantIbLb0EES1U_IbLb1EEEEDaS1Q_S1R_EUlS1Q_E_NS1_11comp_targetILNS1_3genE5ELNS1_11target_archE942ELNS1_3gpuE9ELNS1_3repE0EEENS1_30default_config_static_selectorELNS0_4arch9wavefront6targetE1EEEvS13_
		.amdhsa_group_segment_fixed_size 0
		.amdhsa_private_segment_fixed_size 0
		.amdhsa_kernarg_size 184
		.amdhsa_user_sgpr_count 6
		.amdhsa_user_sgpr_private_segment_buffer 1
		.amdhsa_user_sgpr_dispatch_ptr 0
		.amdhsa_user_sgpr_queue_ptr 0
		.amdhsa_user_sgpr_kernarg_segment_ptr 1
		.amdhsa_user_sgpr_dispatch_id 0
		.amdhsa_user_sgpr_flat_scratch_init 0
		.amdhsa_user_sgpr_private_segment_size 0
		.amdhsa_uses_dynamic_stack 0
		.amdhsa_system_sgpr_private_segment_wavefront_offset 0
		.amdhsa_system_sgpr_workgroup_id_x 1
		.amdhsa_system_sgpr_workgroup_id_y 0
		.amdhsa_system_sgpr_workgroup_id_z 0
		.amdhsa_system_sgpr_workgroup_info 0
		.amdhsa_system_vgpr_workitem_id 0
		.amdhsa_next_free_vgpr 1
		.amdhsa_next_free_sgpr 0
		.amdhsa_reserve_vcc 0
		.amdhsa_reserve_flat_scratch 0
		.amdhsa_float_round_mode_32 0
		.amdhsa_float_round_mode_16_64 0
		.amdhsa_float_denorm_mode_32 3
		.amdhsa_float_denorm_mode_16_64 3
		.amdhsa_dx10_clamp 1
		.amdhsa_ieee_mode 1
		.amdhsa_fp16_overflow 0
		.amdhsa_exception_fp_ieee_invalid_op 0
		.amdhsa_exception_fp_denorm_src 0
		.amdhsa_exception_fp_ieee_div_zero 0
		.amdhsa_exception_fp_ieee_overflow 0
		.amdhsa_exception_fp_ieee_underflow 0
		.amdhsa_exception_fp_ieee_inexact 0
		.amdhsa_exception_int_div_zero 0
	.end_amdhsa_kernel
	.section	.text._ZN7rocprim17ROCPRIM_400000_NS6detail17trampoline_kernelINS0_13select_configILj256ELj13ELNS0_17block_load_methodE3ELS4_3ELS4_3ELNS0_20block_scan_algorithmE0ELj4294967295EEENS1_25partition_config_selectorILNS1_17partition_subalgoE4EjNS0_10empty_typeEbEEZZNS1_14partition_implILS8_4ELb0ES6_15HIP_vector_typeIjLj2EENS0_17counting_iteratorIjlEEPS9_SG_NS0_5tupleIJPjSI_NS0_16reverse_iteratorISI_EEEEENSH_IJSG_SG_SG_EEES9_SI_JZNS1_25segmented_radix_sort_implINS0_14default_configELb0EPK12hip_bfloat16PSP_PKlPlN2at6native12_GLOBAL__N_18offset_tEEE10hipError_tPvRmT1_PNSt15iterator_traitsIS13_E10value_typeET2_T3_PNS14_IS19_E10value_typeET4_jRbjT5_S1F_jjP12ihipStream_tbEUljE_ZNSN_ISO_Lb0ESR_SS_SU_SV_SZ_EES10_S11_S12_S13_S17_S18_S19_S1C_S1D_jS1E_jS1F_S1F_jjS1H_bEUljE0_EEES10_S11_S12_S19_S1D_S1F_T6_T7_T9_mT8_S1H_bDpT10_ENKUlT_T0_E_clISt17integral_constantIbLb0EES1U_IbLb1EEEEDaS1Q_S1R_EUlS1Q_E_NS1_11comp_targetILNS1_3genE5ELNS1_11target_archE942ELNS1_3gpuE9ELNS1_3repE0EEENS1_30default_config_static_selectorELNS0_4arch9wavefront6targetE1EEEvS13_,"axG",@progbits,_ZN7rocprim17ROCPRIM_400000_NS6detail17trampoline_kernelINS0_13select_configILj256ELj13ELNS0_17block_load_methodE3ELS4_3ELS4_3ELNS0_20block_scan_algorithmE0ELj4294967295EEENS1_25partition_config_selectorILNS1_17partition_subalgoE4EjNS0_10empty_typeEbEEZZNS1_14partition_implILS8_4ELb0ES6_15HIP_vector_typeIjLj2EENS0_17counting_iteratorIjlEEPS9_SG_NS0_5tupleIJPjSI_NS0_16reverse_iteratorISI_EEEEENSH_IJSG_SG_SG_EEES9_SI_JZNS1_25segmented_radix_sort_implINS0_14default_configELb0EPK12hip_bfloat16PSP_PKlPlN2at6native12_GLOBAL__N_18offset_tEEE10hipError_tPvRmT1_PNSt15iterator_traitsIS13_E10value_typeET2_T3_PNS14_IS19_E10value_typeET4_jRbjT5_S1F_jjP12ihipStream_tbEUljE_ZNSN_ISO_Lb0ESR_SS_SU_SV_SZ_EES10_S11_S12_S13_S17_S18_S19_S1C_S1D_jS1E_jS1F_S1F_jjS1H_bEUljE0_EEES10_S11_S12_S19_S1D_S1F_T6_T7_T9_mT8_S1H_bDpT10_ENKUlT_T0_E_clISt17integral_constantIbLb0EES1U_IbLb1EEEEDaS1Q_S1R_EUlS1Q_E_NS1_11comp_targetILNS1_3genE5ELNS1_11target_archE942ELNS1_3gpuE9ELNS1_3repE0EEENS1_30default_config_static_selectorELNS0_4arch9wavefront6targetE1EEEvS13_,comdat
.Lfunc_end2010:
	.size	_ZN7rocprim17ROCPRIM_400000_NS6detail17trampoline_kernelINS0_13select_configILj256ELj13ELNS0_17block_load_methodE3ELS4_3ELS4_3ELNS0_20block_scan_algorithmE0ELj4294967295EEENS1_25partition_config_selectorILNS1_17partition_subalgoE4EjNS0_10empty_typeEbEEZZNS1_14partition_implILS8_4ELb0ES6_15HIP_vector_typeIjLj2EENS0_17counting_iteratorIjlEEPS9_SG_NS0_5tupleIJPjSI_NS0_16reverse_iteratorISI_EEEEENSH_IJSG_SG_SG_EEES9_SI_JZNS1_25segmented_radix_sort_implINS0_14default_configELb0EPK12hip_bfloat16PSP_PKlPlN2at6native12_GLOBAL__N_18offset_tEEE10hipError_tPvRmT1_PNSt15iterator_traitsIS13_E10value_typeET2_T3_PNS14_IS19_E10value_typeET4_jRbjT5_S1F_jjP12ihipStream_tbEUljE_ZNSN_ISO_Lb0ESR_SS_SU_SV_SZ_EES10_S11_S12_S13_S17_S18_S19_S1C_S1D_jS1E_jS1F_S1F_jjS1H_bEUljE0_EEES10_S11_S12_S19_S1D_S1F_T6_T7_T9_mT8_S1H_bDpT10_ENKUlT_T0_E_clISt17integral_constantIbLb0EES1U_IbLb1EEEEDaS1Q_S1R_EUlS1Q_E_NS1_11comp_targetILNS1_3genE5ELNS1_11target_archE942ELNS1_3gpuE9ELNS1_3repE0EEENS1_30default_config_static_selectorELNS0_4arch9wavefront6targetE1EEEvS13_, .Lfunc_end2010-_ZN7rocprim17ROCPRIM_400000_NS6detail17trampoline_kernelINS0_13select_configILj256ELj13ELNS0_17block_load_methodE3ELS4_3ELS4_3ELNS0_20block_scan_algorithmE0ELj4294967295EEENS1_25partition_config_selectorILNS1_17partition_subalgoE4EjNS0_10empty_typeEbEEZZNS1_14partition_implILS8_4ELb0ES6_15HIP_vector_typeIjLj2EENS0_17counting_iteratorIjlEEPS9_SG_NS0_5tupleIJPjSI_NS0_16reverse_iteratorISI_EEEEENSH_IJSG_SG_SG_EEES9_SI_JZNS1_25segmented_radix_sort_implINS0_14default_configELb0EPK12hip_bfloat16PSP_PKlPlN2at6native12_GLOBAL__N_18offset_tEEE10hipError_tPvRmT1_PNSt15iterator_traitsIS13_E10value_typeET2_T3_PNS14_IS19_E10value_typeET4_jRbjT5_S1F_jjP12ihipStream_tbEUljE_ZNSN_ISO_Lb0ESR_SS_SU_SV_SZ_EES10_S11_S12_S13_S17_S18_S19_S1C_S1D_jS1E_jS1F_S1F_jjS1H_bEUljE0_EEES10_S11_S12_S19_S1D_S1F_T6_T7_T9_mT8_S1H_bDpT10_ENKUlT_T0_E_clISt17integral_constantIbLb0EES1U_IbLb1EEEEDaS1Q_S1R_EUlS1Q_E_NS1_11comp_targetILNS1_3genE5ELNS1_11target_archE942ELNS1_3gpuE9ELNS1_3repE0EEENS1_30default_config_static_selectorELNS0_4arch9wavefront6targetE1EEEvS13_
                                        ; -- End function
	.set _ZN7rocprim17ROCPRIM_400000_NS6detail17trampoline_kernelINS0_13select_configILj256ELj13ELNS0_17block_load_methodE3ELS4_3ELS4_3ELNS0_20block_scan_algorithmE0ELj4294967295EEENS1_25partition_config_selectorILNS1_17partition_subalgoE4EjNS0_10empty_typeEbEEZZNS1_14partition_implILS8_4ELb0ES6_15HIP_vector_typeIjLj2EENS0_17counting_iteratorIjlEEPS9_SG_NS0_5tupleIJPjSI_NS0_16reverse_iteratorISI_EEEEENSH_IJSG_SG_SG_EEES9_SI_JZNS1_25segmented_radix_sort_implINS0_14default_configELb0EPK12hip_bfloat16PSP_PKlPlN2at6native12_GLOBAL__N_18offset_tEEE10hipError_tPvRmT1_PNSt15iterator_traitsIS13_E10value_typeET2_T3_PNS14_IS19_E10value_typeET4_jRbjT5_S1F_jjP12ihipStream_tbEUljE_ZNSN_ISO_Lb0ESR_SS_SU_SV_SZ_EES10_S11_S12_S13_S17_S18_S19_S1C_S1D_jS1E_jS1F_S1F_jjS1H_bEUljE0_EEES10_S11_S12_S19_S1D_S1F_T6_T7_T9_mT8_S1H_bDpT10_ENKUlT_T0_E_clISt17integral_constantIbLb0EES1U_IbLb1EEEEDaS1Q_S1R_EUlS1Q_E_NS1_11comp_targetILNS1_3genE5ELNS1_11target_archE942ELNS1_3gpuE9ELNS1_3repE0EEENS1_30default_config_static_selectorELNS0_4arch9wavefront6targetE1EEEvS13_.num_vgpr, 0
	.set _ZN7rocprim17ROCPRIM_400000_NS6detail17trampoline_kernelINS0_13select_configILj256ELj13ELNS0_17block_load_methodE3ELS4_3ELS4_3ELNS0_20block_scan_algorithmE0ELj4294967295EEENS1_25partition_config_selectorILNS1_17partition_subalgoE4EjNS0_10empty_typeEbEEZZNS1_14partition_implILS8_4ELb0ES6_15HIP_vector_typeIjLj2EENS0_17counting_iteratorIjlEEPS9_SG_NS0_5tupleIJPjSI_NS0_16reverse_iteratorISI_EEEEENSH_IJSG_SG_SG_EEES9_SI_JZNS1_25segmented_radix_sort_implINS0_14default_configELb0EPK12hip_bfloat16PSP_PKlPlN2at6native12_GLOBAL__N_18offset_tEEE10hipError_tPvRmT1_PNSt15iterator_traitsIS13_E10value_typeET2_T3_PNS14_IS19_E10value_typeET4_jRbjT5_S1F_jjP12ihipStream_tbEUljE_ZNSN_ISO_Lb0ESR_SS_SU_SV_SZ_EES10_S11_S12_S13_S17_S18_S19_S1C_S1D_jS1E_jS1F_S1F_jjS1H_bEUljE0_EEES10_S11_S12_S19_S1D_S1F_T6_T7_T9_mT8_S1H_bDpT10_ENKUlT_T0_E_clISt17integral_constantIbLb0EES1U_IbLb1EEEEDaS1Q_S1R_EUlS1Q_E_NS1_11comp_targetILNS1_3genE5ELNS1_11target_archE942ELNS1_3gpuE9ELNS1_3repE0EEENS1_30default_config_static_selectorELNS0_4arch9wavefront6targetE1EEEvS13_.num_agpr, 0
	.set _ZN7rocprim17ROCPRIM_400000_NS6detail17trampoline_kernelINS0_13select_configILj256ELj13ELNS0_17block_load_methodE3ELS4_3ELS4_3ELNS0_20block_scan_algorithmE0ELj4294967295EEENS1_25partition_config_selectorILNS1_17partition_subalgoE4EjNS0_10empty_typeEbEEZZNS1_14partition_implILS8_4ELb0ES6_15HIP_vector_typeIjLj2EENS0_17counting_iteratorIjlEEPS9_SG_NS0_5tupleIJPjSI_NS0_16reverse_iteratorISI_EEEEENSH_IJSG_SG_SG_EEES9_SI_JZNS1_25segmented_radix_sort_implINS0_14default_configELb0EPK12hip_bfloat16PSP_PKlPlN2at6native12_GLOBAL__N_18offset_tEEE10hipError_tPvRmT1_PNSt15iterator_traitsIS13_E10value_typeET2_T3_PNS14_IS19_E10value_typeET4_jRbjT5_S1F_jjP12ihipStream_tbEUljE_ZNSN_ISO_Lb0ESR_SS_SU_SV_SZ_EES10_S11_S12_S13_S17_S18_S19_S1C_S1D_jS1E_jS1F_S1F_jjS1H_bEUljE0_EEES10_S11_S12_S19_S1D_S1F_T6_T7_T9_mT8_S1H_bDpT10_ENKUlT_T0_E_clISt17integral_constantIbLb0EES1U_IbLb1EEEEDaS1Q_S1R_EUlS1Q_E_NS1_11comp_targetILNS1_3genE5ELNS1_11target_archE942ELNS1_3gpuE9ELNS1_3repE0EEENS1_30default_config_static_selectorELNS0_4arch9wavefront6targetE1EEEvS13_.numbered_sgpr, 0
	.set _ZN7rocprim17ROCPRIM_400000_NS6detail17trampoline_kernelINS0_13select_configILj256ELj13ELNS0_17block_load_methodE3ELS4_3ELS4_3ELNS0_20block_scan_algorithmE0ELj4294967295EEENS1_25partition_config_selectorILNS1_17partition_subalgoE4EjNS0_10empty_typeEbEEZZNS1_14partition_implILS8_4ELb0ES6_15HIP_vector_typeIjLj2EENS0_17counting_iteratorIjlEEPS9_SG_NS0_5tupleIJPjSI_NS0_16reverse_iteratorISI_EEEEENSH_IJSG_SG_SG_EEES9_SI_JZNS1_25segmented_radix_sort_implINS0_14default_configELb0EPK12hip_bfloat16PSP_PKlPlN2at6native12_GLOBAL__N_18offset_tEEE10hipError_tPvRmT1_PNSt15iterator_traitsIS13_E10value_typeET2_T3_PNS14_IS19_E10value_typeET4_jRbjT5_S1F_jjP12ihipStream_tbEUljE_ZNSN_ISO_Lb0ESR_SS_SU_SV_SZ_EES10_S11_S12_S13_S17_S18_S19_S1C_S1D_jS1E_jS1F_S1F_jjS1H_bEUljE0_EEES10_S11_S12_S19_S1D_S1F_T6_T7_T9_mT8_S1H_bDpT10_ENKUlT_T0_E_clISt17integral_constantIbLb0EES1U_IbLb1EEEEDaS1Q_S1R_EUlS1Q_E_NS1_11comp_targetILNS1_3genE5ELNS1_11target_archE942ELNS1_3gpuE9ELNS1_3repE0EEENS1_30default_config_static_selectorELNS0_4arch9wavefront6targetE1EEEvS13_.num_named_barrier, 0
	.set _ZN7rocprim17ROCPRIM_400000_NS6detail17trampoline_kernelINS0_13select_configILj256ELj13ELNS0_17block_load_methodE3ELS4_3ELS4_3ELNS0_20block_scan_algorithmE0ELj4294967295EEENS1_25partition_config_selectorILNS1_17partition_subalgoE4EjNS0_10empty_typeEbEEZZNS1_14partition_implILS8_4ELb0ES6_15HIP_vector_typeIjLj2EENS0_17counting_iteratorIjlEEPS9_SG_NS0_5tupleIJPjSI_NS0_16reverse_iteratorISI_EEEEENSH_IJSG_SG_SG_EEES9_SI_JZNS1_25segmented_radix_sort_implINS0_14default_configELb0EPK12hip_bfloat16PSP_PKlPlN2at6native12_GLOBAL__N_18offset_tEEE10hipError_tPvRmT1_PNSt15iterator_traitsIS13_E10value_typeET2_T3_PNS14_IS19_E10value_typeET4_jRbjT5_S1F_jjP12ihipStream_tbEUljE_ZNSN_ISO_Lb0ESR_SS_SU_SV_SZ_EES10_S11_S12_S13_S17_S18_S19_S1C_S1D_jS1E_jS1F_S1F_jjS1H_bEUljE0_EEES10_S11_S12_S19_S1D_S1F_T6_T7_T9_mT8_S1H_bDpT10_ENKUlT_T0_E_clISt17integral_constantIbLb0EES1U_IbLb1EEEEDaS1Q_S1R_EUlS1Q_E_NS1_11comp_targetILNS1_3genE5ELNS1_11target_archE942ELNS1_3gpuE9ELNS1_3repE0EEENS1_30default_config_static_selectorELNS0_4arch9wavefront6targetE1EEEvS13_.private_seg_size, 0
	.set _ZN7rocprim17ROCPRIM_400000_NS6detail17trampoline_kernelINS0_13select_configILj256ELj13ELNS0_17block_load_methodE3ELS4_3ELS4_3ELNS0_20block_scan_algorithmE0ELj4294967295EEENS1_25partition_config_selectorILNS1_17partition_subalgoE4EjNS0_10empty_typeEbEEZZNS1_14partition_implILS8_4ELb0ES6_15HIP_vector_typeIjLj2EENS0_17counting_iteratorIjlEEPS9_SG_NS0_5tupleIJPjSI_NS0_16reverse_iteratorISI_EEEEENSH_IJSG_SG_SG_EEES9_SI_JZNS1_25segmented_radix_sort_implINS0_14default_configELb0EPK12hip_bfloat16PSP_PKlPlN2at6native12_GLOBAL__N_18offset_tEEE10hipError_tPvRmT1_PNSt15iterator_traitsIS13_E10value_typeET2_T3_PNS14_IS19_E10value_typeET4_jRbjT5_S1F_jjP12ihipStream_tbEUljE_ZNSN_ISO_Lb0ESR_SS_SU_SV_SZ_EES10_S11_S12_S13_S17_S18_S19_S1C_S1D_jS1E_jS1F_S1F_jjS1H_bEUljE0_EEES10_S11_S12_S19_S1D_S1F_T6_T7_T9_mT8_S1H_bDpT10_ENKUlT_T0_E_clISt17integral_constantIbLb0EES1U_IbLb1EEEEDaS1Q_S1R_EUlS1Q_E_NS1_11comp_targetILNS1_3genE5ELNS1_11target_archE942ELNS1_3gpuE9ELNS1_3repE0EEENS1_30default_config_static_selectorELNS0_4arch9wavefront6targetE1EEEvS13_.uses_vcc, 0
	.set _ZN7rocprim17ROCPRIM_400000_NS6detail17trampoline_kernelINS0_13select_configILj256ELj13ELNS0_17block_load_methodE3ELS4_3ELS4_3ELNS0_20block_scan_algorithmE0ELj4294967295EEENS1_25partition_config_selectorILNS1_17partition_subalgoE4EjNS0_10empty_typeEbEEZZNS1_14partition_implILS8_4ELb0ES6_15HIP_vector_typeIjLj2EENS0_17counting_iteratorIjlEEPS9_SG_NS0_5tupleIJPjSI_NS0_16reverse_iteratorISI_EEEEENSH_IJSG_SG_SG_EEES9_SI_JZNS1_25segmented_radix_sort_implINS0_14default_configELb0EPK12hip_bfloat16PSP_PKlPlN2at6native12_GLOBAL__N_18offset_tEEE10hipError_tPvRmT1_PNSt15iterator_traitsIS13_E10value_typeET2_T3_PNS14_IS19_E10value_typeET4_jRbjT5_S1F_jjP12ihipStream_tbEUljE_ZNSN_ISO_Lb0ESR_SS_SU_SV_SZ_EES10_S11_S12_S13_S17_S18_S19_S1C_S1D_jS1E_jS1F_S1F_jjS1H_bEUljE0_EEES10_S11_S12_S19_S1D_S1F_T6_T7_T9_mT8_S1H_bDpT10_ENKUlT_T0_E_clISt17integral_constantIbLb0EES1U_IbLb1EEEEDaS1Q_S1R_EUlS1Q_E_NS1_11comp_targetILNS1_3genE5ELNS1_11target_archE942ELNS1_3gpuE9ELNS1_3repE0EEENS1_30default_config_static_selectorELNS0_4arch9wavefront6targetE1EEEvS13_.uses_flat_scratch, 0
	.set _ZN7rocprim17ROCPRIM_400000_NS6detail17trampoline_kernelINS0_13select_configILj256ELj13ELNS0_17block_load_methodE3ELS4_3ELS4_3ELNS0_20block_scan_algorithmE0ELj4294967295EEENS1_25partition_config_selectorILNS1_17partition_subalgoE4EjNS0_10empty_typeEbEEZZNS1_14partition_implILS8_4ELb0ES6_15HIP_vector_typeIjLj2EENS0_17counting_iteratorIjlEEPS9_SG_NS0_5tupleIJPjSI_NS0_16reverse_iteratorISI_EEEEENSH_IJSG_SG_SG_EEES9_SI_JZNS1_25segmented_radix_sort_implINS0_14default_configELb0EPK12hip_bfloat16PSP_PKlPlN2at6native12_GLOBAL__N_18offset_tEEE10hipError_tPvRmT1_PNSt15iterator_traitsIS13_E10value_typeET2_T3_PNS14_IS19_E10value_typeET4_jRbjT5_S1F_jjP12ihipStream_tbEUljE_ZNSN_ISO_Lb0ESR_SS_SU_SV_SZ_EES10_S11_S12_S13_S17_S18_S19_S1C_S1D_jS1E_jS1F_S1F_jjS1H_bEUljE0_EEES10_S11_S12_S19_S1D_S1F_T6_T7_T9_mT8_S1H_bDpT10_ENKUlT_T0_E_clISt17integral_constantIbLb0EES1U_IbLb1EEEEDaS1Q_S1R_EUlS1Q_E_NS1_11comp_targetILNS1_3genE5ELNS1_11target_archE942ELNS1_3gpuE9ELNS1_3repE0EEENS1_30default_config_static_selectorELNS0_4arch9wavefront6targetE1EEEvS13_.has_dyn_sized_stack, 0
	.set _ZN7rocprim17ROCPRIM_400000_NS6detail17trampoline_kernelINS0_13select_configILj256ELj13ELNS0_17block_load_methodE3ELS4_3ELS4_3ELNS0_20block_scan_algorithmE0ELj4294967295EEENS1_25partition_config_selectorILNS1_17partition_subalgoE4EjNS0_10empty_typeEbEEZZNS1_14partition_implILS8_4ELb0ES6_15HIP_vector_typeIjLj2EENS0_17counting_iteratorIjlEEPS9_SG_NS0_5tupleIJPjSI_NS0_16reverse_iteratorISI_EEEEENSH_IJSG_SG_SG_EEES9_SI_JZNS1_25segmented_radix_sort_implINS0_14default_configELb0EPK12hip_bfloat16PSP_PKlPlN2at6native12_GLOBAL__N_18offset_tEEE10hipError_tPvRmT1_PNSt15iterator_traitsIS13_E10value_typeET2_T3_PNS14_IS19_E10value_typeET4_jRbjT5_S1F_jjP12ihipStream_tbEUljE_ZNSN_ISO_Lb0ESR_SS_SU_SV_SZ_EES10_S11_S12_S13_S17_S18_S19_S1C_S1D_jS1E_jS1F_S1F_jjS1H_bEUljE0_EEES10_S11_S12_S19_S1D_S1F_T6_T7_T9_mT8_S1H_bDpT10_ENKUlT_T0_E_clISt17integral_constantIbLb0EES1U_IbLb1EEEEDaS1Q_S1R_EUlS1Q_E_NS1_11comp_targetILNS1_3genE5ELNS1_11target_archE942ELNS1_3gpuE9ELNS1_3repE0EEENS1_30default_config_static_selectorELNS0_4arch9wavefront6targetE1EEEvS13_.has_recursion, 0
	.set _ZN7rocprim17ROCPRIM_400000_NS6detail17trampoline_kernelINS0_13select_configILj256ELj13ELNS0_17block_load_methodE3ELS4_3ELS4_3ELNS0_20block_scan_algorithmE0ELj4294967295EEENS1_25partition_config_selectorILNS1_17partition_subalgoE4EjNS0_10empty_typeEbEEZZNS1_14partition_implILS8_4ELb0ES6_15HIP_vector_typeIjLj2EENS0_17counting_iteratorIjlEEPS9_SG_NS0_5tupleIJPjSI_NS0_16reverse_iteratorISI_EEEEENSH_IJSG_SG_SG_EEES9_SI_JZNS1_25segmented_radix_sort_implINS0_14default_configELb0EPK12hip_bfloat16PSP_PKlPlN2at6native12_GLOBAL__N_18offset_tEEE10hipError_tPvRmT1_PNSt15iterator_traitsIS13_E10value_typeET2_T3_PNS14_IS19_E10value_typeET4_jRbjT5_S1F_jjP12ihipStream_tbEUljE_ZNSN_ISO_Lb0ESR_SS_SU_SV_SZ_EES10_S11_S12_S13_S17_S18_S19_S1C_S1D_jS1E_jS1F_S1F_jjS1H_bEUljE0_EEES10_S11_S12_S19_S1D_S1F_T6_T7_T9_mT8_S1H_bDpT10_ENKUlT_T0_E_clISt17integral_constantIbLb0EES1U_IbLb1EEEEDaS1Q_S1R_EUlS1Q_E_NS1_11comp_targetILNS1_3genE5ELNS1_11target_archE942ELNS1_3gpuE9ELNS1_3repE0EEENS1_30default_config_static_selectorELNS0_4arch9wavefront6targetE1EEEvS13_.has_indirect_call, 0
	.section	.AMDGPU.csdata,"",@progbits
; Kernel info:
; codeLenInByte = 0
; TotalNumSgprs: 4
; NumVgprs: 0
; ScratchSize: 0
; MemoryBound: 0
; FloatMode: 240
; IeeeMode: 1
; LDSByteSize: 0 bytes/workgroup (compile time only)
; SGPRBlocks: 0
; VGPRBlocks: 0
; NumSGPRsForWavesPerEU: 4
; NumVGPRsForWavesPerEU: 1
; Occupancy: 10
; WaveLimiterHint : 0
; COMPUTE_PGM_RSRC2:SCRATCH_EN: 0
; COMPUTE_PGM_RSRC2:USER_SGPR: 6
; COMPUTE_PGM_RSRC2:TRAP_HANDLER: 0
; COMPUTE_PGM_RSRC2:TGID_X_EN: 1
; COMPUTE_PGM_RSRC2:TGID_Y_EN: 0
; COMPUTE_PGM_RSRC2:TGID_Z_EN: 0
; COMPUTE_PGM_RSRC2:TIDIG_COMP_CNT: 0
	.section	.text._ZN7rocprim17ROCPRIM_400000_NS6detail17trampoline_kernelINS0_13select_configILj256ELj13ELNS0_17block_load_methodE3ELS4_3ELS4_3ELNS0_20block_scan_algorithmE0ELj4294967295EEENS1_25partition_config_selectorILNS1_17partition_subalgoE4EjNS0_10empty_typeEbEEZZNS1_14partition_implILS8_4ELb0ES6_15HIP_vector_typeIjLj2EENS0_17counting_iteratorIjlEEPS9_SG_NS0_5tupleIJPjSI_NS0_16reverse_iteratorISI_EEEEENSH_IJSG_SG_SG_EEES9_SI_JZNS1_25segmented_radix_sort_implINS0_14default_configELb0EPK12hip_bfloat16PSP_PKlPlN2at6native12_GLOBAL__N_18offset_tEEE10hipError_tPvRmT1_PNSt15iterator_traitsIS13_E10value_typeET2_T3_PNS14_IS19_E10value_typeET4_jRbjT5_S1F_jjP12ihipStream_tbEUljE_ZNSN_ISO_Lb0ESR_SS_SU_SV_SZ_EES10_S11_S12_S13_S17_S18_S19_S1C_S1D_jS1E_jS1F_S1F_jjS1H_bEUljE0_EEES10_S11_S12_S19_S1D_S1F_T6_T7_T9_mT8_S1H_bDpT10_ENKUlT_T0_E_clISt17integral_constantIbLb0EES1U_IbLb1EEEEDaS1Q_S1R_EUlS1Q_E_NS1_11comp_targetILNS1_3genE4ELNS1_11target_archE910ELNS1_3gpuE8ELNS1_3repE0EEENS1_30default_config_static_selectorELNS0_4arch9wavefront6targetE1EEEvS13_,"axG",@progbits,_ZN7rocprim17ROCPRIM_400000_NS6detail17trampoline_kernelINS0_13select_configILj256ELj13ELNS0_17block_load_methodE3ELS4_3ELS4_3ELNS0_20block_scan_algorithmE0ELj4294967295EEENS1_25partition_config_selectorILNS1_17partition_subalgoE4EjNS0_10empty_typeEbEEZZNS1_14partition_implILS8_4ELb0ES6_15HIP_vector_typeIjLj2EENS0_17counting_iteratorIjlEEPS9_SG_NS0_5tupleIJPjSI_NS0_16reverse_iteratorISI_EEEEENSH_IJSG_SG_SG_EEES9_SI_JZNS1_25segmented_radix_sort_implINS0_14default_configELb0EPK12hip_bfloat16PSP_PKlPlN2at6native12_GLOBAL__N_18offset_tEEE10hipError_tPvRmT1_PNSt15iterator_traitsIS13_E10value_typeET2_T3_PNS14_IS19_E10value_typeET4_jRbjT5_S1F_jjP12ihipStream_tbEUljE_ZNSN_ISO_Lb0ESR_SS_SU_SV_SZ_EES10_S11_S12_S13_S17_S18_S19_S1C_S1D_jS1E_jS1F_S1F_jjS1H_bEUljE0_EEES10_S11_S12_S19_S1D_S1F_T6_T7_T9_mT8_S1H_bDpT10_ENKUlT_T0_E_clISt17integral_constantIbLb0EES1U_IbLb1EEEEDaS1Q_S1R_EUlS1Q_E_NS1_11comp_targetILNS1_3genE4ELNS1_11target_archE910ELNS1_3gpuE8ELNS1_3repE0EEENS1_30default_config_static_selectorELNS0_4arch9wavefront6targetE1EEEvS13_,comdat
	.globl	_ZN7rocprim17ROCPRIM_400000_NS6detail17trampoline_kernelINS0_13select_configILj256ELj13ELNS0_17block_load_methodE3ELS4_3ELS4_3ELNS0_20block_scan_algorithmE0ELj4294967295EEENS1_25partition_config_selectorILNS1_17partition_subalgoE4EjNS0_10empty_typeEbEEZZNS1_14partition_implILS8_4ELb0ES6_15HIP_vector_typeIjLj2EENS0_17counting_iteratorIjlEEPS9_SG_NS0_5tupleIJPjSI_NS0_16reverse_iteratorISI_EEEEENSH_IJSG_SG_SG_EEES9_SI_JZNS1_25segmented_radix_sort_implINS0_14default_configELb0EPK12hip_bfloat16PSP_PKlPlN2at6native12_GLOBAL__N_18offset_tEEE10hipError_tPvRmT1_PNSt15iterator_traitsIS13_E10value_typeET2_T3_PNS14_IS19_E10value_typeET4_jRbjT5_S1F_jjP12ihipStream_tbEUljE_ZNSN_ISO_Lb0ESR_SS_SU_SV_SZ_EES10_S11_S12_S13_S17_S18_S19_S1C_S1D_jS1E_jS1F_S1F_jjS1H_bEUljE0_EEES10_S11_S12_S19_S1D_S1F_T6_T7_T9_mT8_S1H_bDpT10_ENKUlT_T0_E_clISt17integral_constantIbLb0EES1U_IbLb1EEEEDaS1Q_S1R_EUlS1Q_E_NS1_11comp_targetILNS1_3genE4ELNS1_11target_archE910ELNS1_3gpuE8ELNS1_3repE0EEENS1_30default_config_static_selectorELNS0_4arch9wavefront6targetE1EEEvS13_ ; -- Begin function _ZN7rocprim17ROCPRIM_400000_NS6detail17trampoline_kernelINS0_13select_configILj256ELj13ELNS0_17block_load_methodE3ELS4_3ELS4_3ELNS0_20block_scan_algorithmE0ELj4294967295EEENS1_25partition_config_selectorILNS1_17partition_subalgoE4EjNS0_10empty_typeEbEEZZNS1_14partition_implILS8_4ELb0ES6_15HIP_vector_typeIjLj2EENS0_17counting_iteratorIjlEEPS9_SG_NS0_5tupleIJPjSI_NS0_16reverse_iteratorISI_EEEEENSH_IJSG_SG_SG_EEES9_SI_JZNS1_25segmented_radix_sort_implINS0_14default_configELb0EPK12hip_bfloat16PSP_PKlPlN2at6native12_GLOBAL__N_18offset_tEEE10hipError_tPvRmT1_PNSt15iterator_traitsIS13_E10value_typeET2_T3_PNS14_IS19_E10value_typeET4_jRbjT5_S1F_jjP12ihipStream_tbEUljE_ZNSN_ISO_Lb0ESR_SS_SU_SV_SZ_EES10_S11_S12_S13_S17_S18_S19_S1C_S1D_jS1E_jS1F_S1F_jjS1H_bEUljE0_EEES10_S11_S12_S19_S1D_S1F_T6_T7_T9_mT8_S1H_bDpT10_ENKUlT_T0_E_clISt17integral_constantIbLb0EES1U_IbLb1EEEEDaS1Q_S1R_EUlS1Q_E_NS1_11comp_targetILNS1_3genE4ELNS1_11target_archE910ELNS1_3gpuE8ELNS1_3repE0EEENS1_30default_config_static_selectorELNS0_4arch9wavefront6targetE1EEEvS13_
	.p2align	8
	.type	_ZN7rocprim17ROCPRIM_400000_NS6detail17trampoline_kernelINS0_13select_configILj256ELj13ELNS0_17block_load_methodE3ELS4_3ELS4_3ELNS0_20block_scan_algorithmE0ELj4294967295EEENS1_25partition_config_selectorILNS1_17partition_subalgoE4EjNS0_10empty_typeEbEEZZNS1_14partition_implILS8_4ELb0ES6_15HIP_vector_typeIjLj2EENS0_17counting_iteratorIjlEEPS9_SG_NS0_5tupleIJPjSI_NS0_16reverse_iteratorISI_EEEEENSH_IJSG_SG_SG_EEES9_SI_JZNS1_25segmented_radix_sort_implINS0_14default_configELb0EPK12hip_bfloat16PSP_PKlPlN2at6native12_GLOBAL__N_18offset_tEEE10hipError_tPvRmT1_PNSt15iterator_traitsIS13_E10value_typeET2_T3_PNS14_IS19_E10value_typeET4_jRbjT5_S1F_jjP12ihipStream_tbEUljE_ZNSN_ISO_Lb0ESR_SS_SU_SV_SZ_EES10_S11_S12_S13_S17_S18_S19_S1C_S1D_jS1E_jS1F_S1F_jjS1H_bEUljE0_EEES10_S11_S12_S19_S1D_S1F_T6_T7_T9_mT8_S1H_bDpT10_ENKUlT_T0_E_clISt17integral_constantIbLb0EES1U_IbLb1EEEEDaS1Q_S1R_EUlS1Q_E_NS1_11comp_targetILNS1_3genE4ELNS1_11target_archE910ELNS1_3gpuE8ELNS1_3repE0EEENS1_30default_config_static_selectorELNS0_4arch9wavefront6targetE1EEEvS13_,@function
_ZN7rocprim17ROCPRIM_400000_NS6detail17trampoline_kernelINS0_13select_configILj256ELj13ELNS0_17block_load_methodE3ELS4_3ELS4_3ELNS0_20block_scan_algorithmE0ELj4294967295EEENS1_25partition_config_selectorILNS1_17partition_subalgoE4EjNS0_10empty_typeEbEEZZNS1_14partition_implILS8_4ELb0ES6_15HIP_vector_typeIjLj2EENS0_17counting_iteratorIjlEEPS9_SG_NS0_5tupleIJPjSI_NS0_16reverse_iteratorISI_EEEEENSH_IJSG_SG_SG_EEES9_SI_JZNS1_25segmented_radix_sort_implINS0_14default_configELb0EPK12hip_bfloat16PSP_PKlPlN2at6native12_GLOBAL__N_18offset_tEEE10hipError_tPvRmT1_PNSt15iterator_traitsIS13_E10value_typeET2_T3_PNS14_IS19_E10value_typeET4_jRbjT5_S1F_jjP12ihipStream_tbEUljE_ZNSN_ISO_Lb0ESR_SS_SU_SV_SZ_EES10_S11_S12_S13_S17_S18_S19_S1C_S1D_jS1E_jS1F_S1F_jjS1H_bEUljE0_EEES10_S11_S12_S19_S1D_S1F_T6_T7_T9_mT8_S1H_bDpT10_ENKUlT_T0_E_clISt17integral_constantIbLb0EES1U_IbLb1EEEEDaS1Q_S1R_EUlS1Q_E_NS1_11comp_targetILNS1_3genE4ELNS1_11target_archE910ELNS1_3gpuE8ELNS1_3repE0EEENS1_30default_config_static_selectorELNS0_4arch9wavefront6targetE1EEEvS13_: ; @_ZN7rocprim17ROCPRIM_400000_NS6detail17trampoline_kernelINS0_13select_configILj256ELj13ELNS0_17block_load_methodE3ELS4_3ELS4_3ELNS0_20block_scan_algorithmE0ELj4294967295EEENS1_25partition_config_selectorILNS1_17partition_subalgoE4EjNS0_10empty_typeEbEEZZNS1_14partition_implILS8_4ELb0ES6_15HIP_vector_typeIjLj2EENS0_17counting_iteratorIjlEEPS9_SG_NS0_5tupleIJPjSI_NS0_16reverse_iteratorISI_EEEEENSH_IJSG_SG_SG_EEES9_SI_JZNS1_25segmented_radix_sort_implINS0_14default_configELb0EPK12hip_bfloat16PSP_PKlPlN2at6native12_GLOBAL__N_18offset_tEEE10hipError_tPvRmT1_PNSt15iterator_traitsIS13_E10value_typeET2_T3_PNS14_IS19_E10value_typeET4_jRbjT5_S1F_jjP12ihipStream_tbEUljE_ZNSN_ISO_Lb0ESR_SS_SU_SV_SZ_EES10_S11_S12_S13_S17_S18_S19_S1C_S1D_jS1E_jS1F_S1F_jjS1H_bEUljE0_EEES10_S11_S12_S19_S1D_S1F_T6_T7_T9_mT8_S1H_bDpT10_ENKUlT_T0_E_clISt17integral_constantIbLb0EES1U_IbLb1EEEEDaS1Q_S1R_EUlS1Q_E_NS1_11comp_targetILNS1_3genE4ELNS1_11target_archE910ELNS1_3gpuE8ELNS1_3repE0EEENS1_30default_config_static_selectorELNS0_4arch9wavefront6targetE1EEEvS13_
; %bb.0:
	.section	.rodata,"a",@progbits
	.p2align	6, 0x0
	.amdhsa_kernel _ZN7rocprim17ROCPRIM_400000_NS6detail17trampoline_kernelINS0_13select_configILj256ELj13ELNS0_17block_load_methodE3ELS4_3ELS4_3ELNS0_20block_scan_algorithmE0ELj4294967295EEENS1_25partition_config_selectorILNS1_17partition_subalgoE4EjNS0_10empty_typeEbEEZZNS1_14partition_implILS8_4ELb0ES6_15HIP_vector_typeIjLj2EENS0_17counting_iteratorIjlEEPS9_SG_NS0_5tupleIJPjSI_NS0_16reverse_iteratorISI_EEEEENSH_IJSG_SG_SG_EEES9_SI_JZNS1_25segmented_radix_sort_implINS0_14default_configELb0EPK12hip_bfloat16PSP_PKlPlN2at6native12_GLOBAL__N_18offset_tEEE10hipError_tPvRmT1_PNSt15iterator_traitsIS13_E10value_typeET2_T3_PNS14_IS19_E10value_typeET4_jRbjT5_S1F_jjP12ihipStream_tbEUljE_ZNSN_ISO_Lb0ESR_SS_SU_SV_SZ_EES10_S11_S12_S13_S17_S18_S19_S1C_S1D_jS1E_jS1F_S1F_jjS1H_bEUljE0_EEES10_S11_S12_S19_S1D_S1F_T6_T7_T9_mT8_S1H_bDpT10_ENKUlT_T0_E_clISt17integral_constantIbLb0EES1U_IbLb1EEEEDaS1Q_S1R_EUlS1Q_E_NS1_11comp_targetILNS1_3genE4ELNS1_11target_archE910ELNS1_3gpuE8ELNS1_3repE0EEENS1_30default_config_static_selectorELNS0_4arch9wavefront6targetE1EEEvS13_
		.amdhsa_group_segment_fixed_size 0
		.amdhsa_private_segment_fixed_size 0
		.amdhsa_kernarg_size 184
		.amdhsa_user_sgpr_count 6
		.amdhsa_user_sgpr_private_segment_buffer 1
		.amdhsa_user_sgpr_dispatch_ptr 0
		.amdhsa_user_sgpr_queue_ptr 0
		.amdhsa_user_sgpr_kernarg_segment_ptr 1
		.amdhsa_user_sgpr_dispatch_id 0
		.amdhsa_user_sgpr_flat_scratch_init 0
		.amdhsa_user_sgpr_private_segment_size 0
		.amdhsa_uses_dynamic_stack 0
		.amdhsa_system_sgpr_private_segment_wavefront_offset 0
		.amdhsa_system_sgpr_workgroup_id_x 1
		.amdhsa_system_sgpr_workgroup_id_y 0
		.amdhsa_system_sgpr_workgroup_id_z 0
		.amdhsa_system_sgpr_workgroup_info 0
		.amdhsa_system_vgpr_workitem_id 0
		.amdhsa_next_free_vgpr 1
		.amdhsa_next_free_sgpr 0
		.amdhsa_reserve_vcc 0
		.amdhsa_reserve_flat_scratch 0
		.amdhsa_float_round_mode_32 0
		.amdhsa_float_round_mode_16_64 0
		.amdhsa_float_denorm_mode_32 3
		.amdhsa_float_denorm_mode_16_64 3
		.amdhsa_dx10_clamp 1
		.amdhsa_ieee_mode 1
		.amdhsa_fp16_overflow 0
		.amdhsa_exception_fp_ieee_invalid_op 0
		.amdhsa_exception_fp_denorm_src 0
		.amdhsa_exception_fp_ieee_div_zero 0
		.amdhsa_exception_fp_ieee_overflow 0
		.amdhsa_exception_fp_ieee_underflow 0
		.amdhsa_exception_fp_ieee_inexact 0
		.amdhsa_exception_int_div_zero 0
	.end_amdhsa_kernel
	.section	.text._ZN7rocprim17ROCPRIM_400000_NS6detail17trampoline_kernelINS0_13select_configILj256ELj13ELNS0_17block_load_methodE3ELS4_3ELS4_3ELNS0_20block_scan_algorithmE0ELj4294967295EEENS1_25partition_config_selectorILNS1_17partition_subalgoE4EjNS0_10empty_typeEbEEZZNS1_14partition_implILS8_4ELb0ES6_15HIP_vector_typeIjLj2EENS0_17counting_iteratorIjlEEPS9_SG_NS0_5tupleIJPjSI_NS0_16reverse_iteratorISI_EEEEENSH_IJSG_SG_SG_EEES9_SI_JZNS1_25segmented_radix_sort_implINS0_14default_configELb0EPK12hip_bfloat16PSP_PKlPlN2at6native12_GLOBAL__N_18offset_tEEE10hipError_tPvRmT1_PNSt15iterator_traitsIS13_E10value_typeET2_T3_PNS14_IS19_E10value_typeET4_jRbjT5_S1F_jjP12ihipStream_tbEUljE_ZNSN_ISO_Lb0ESR_SS_SU_SV_SZ_EES10_S11_S12_S13_S17_S18_S19_S1C_S1D_jS1E_jS1F_S1F_jjS1H_bEUljE0_EEES10_S11_S12_S19_S1D_S1F_T6_T7_T9_mT8_S1H_bDpT10_ENKUlT_T0_E_clISt17integral_constantIbLb0EES1U_IbLb1EEEEDaS1Q_S1R_EUlS1Q_E_NS1_11comp_targetILNS1_3genE4ELNS1_11target_archE910ELNS1_3gpuE8ELNS1_3repE0EEENS1_30default_config_static_selectorELNS0_4arch9wavefront6targetE1EEEvS13_,"axG",@progbits,_ZN7rocprim17ROCPRIM_400000_NS6detail17trampoline_kernelINS0_13select_configILj256ELj13ELNS0_17block_load_methodE3ELS4_3ELS4_3ELNS0_20block_scan_algorithmE0ELj4294967295EEENS1_25partition_config_selectorILNS1_17partition_subalgoE4EjNS0_10empty_typeEbEEZZNS1_14partition_implILS8_4ELb0ES6_15HIP_vector_typeIjLj2EENS0_17counting_iteratorIjlEEPS9_SG_NS0_5tupleIJPjSI_NS0_16reverse_iteratorISI_EEEEENSH_IJSG_SG_SG_EEES9_SI_JZNS1_25segmented_radix_sort_implINS0_14default_configELb0EPK12hip_bfloat16PSP_PKlPlN2at6native12_GLOBAL__N_18offset_tEEE10hipError_tPvRmT1_PNSt15iterator_traitsIS13_E10value_typeET2_T3_PNS14_IS19_E10value_typeET4_jRbjT5_S1F_jjP12ihipStream_tbEUljE_ZNSN_ISO_Lb0ESR_SS_SU_SV_SZ_EES10_S11_S12_S13_S17_S18_S19_S1C_S1D_jS1E_jS1F_S1F_jjS1H_bEUljE0_EEES10_S11_S12_S19_S1D_S1F_T6_T7_T9_mT8_S1H_bDpT10_ENKUlT_T0_E_clISt17integral_constantIbLb0EES1U_IbLb1EEEEDaS1Q_S1R_EUlS1Q_E_NS1_11comp_targetILNS1_3genE4ELNS1_11target_archE910ELNS1_3gpuE8ELNS1_3repE0EEENS1_30default_config_static_selectorELNS0_4arch9wavefront6targetE1EEEvS13_,comdat
.Lfunc_end2011:
	.size	_ZN7rocprim17ROCPRIM_400000_NS6detail17trampoline_kernelINS0_13select_configILj256ELj13ELNS0_17block_load_methodE3ELS4_3ELS4_3ELNS0_20block_scan_algorithmE0ELj4294967295EEENS1_25partition_config_selectorILNS1_17partition_subalgoE4EjNS0_10empty_typeEbEEZZNS1_14partition_implILS8_4ELb0ES6_15HIP_vector_typeIjLj2EENS0_17counting_iteratorIjlEEPS9_SG_NS0_5tupleIJPjSI_NS0_16reverse_iteratorISI_EEEEENSH_IJSG_SG_SG_EEES9_SI_JZNS1_25segmented_radix_sort_implINS0_14default_configELb0EPK12hip_bfloat16PSP_PKlPlN2at6native12_GLOBAL__N_18offset_tEEE10hipError_tPvRmT1_PNSt15iterator_traitsIS13_E10value_typeET2_T3_PNS14_IS19_E10value_typeET4_jRbjT5_S1F_jjP12ihipStream_tbEUljE_ZNSN_ISO_Lb0ESR_SS_SU_SV_SZ_EES10_S11_S12_S13_S17_S18_S19_S1C_S1D_jS1E_jS1F_S1F_jjS1H_bEUljE0_EEES10_S11_S12_S19_S1D_S1F_T6_T7_T9_mT8_S1H_bDpT10_ENKUlT_T0_E_clISt17integral_constantIbLb0EES1U_IbLb1EEEEDaS1Q_S1R_EUlS1Q_E_NS1_11comp_targetILNS1_3genE4ELNS1_11target_archE910ELNS1_3gpuE8ELNS1_3repE0EEENS1_30default_config_static_selectorELNS0_4arch9wavefront6targetE1EEEvS13_, .Lfunc_end2011-_ZN7rocprim17ROCPRIM_400000_NS6detail17trampoline_kernelINS0_13select_configILj256ELj13ELNS0_17block_load_methodE3ELS4_3ELS4_3ELNS0_20block_scan_algorithmE0ELj4294967295EEENS1_25partition_config_selectorILNS1_17partition_subalgoE4EjNS0_10empty_typeEbEEZZNS1_14partition_implILS8_4ELb0ES6_15HIP_vector_typeIjLj2EENS0_17counting_iteratorIjlEEPS9_SG_NS0_5tupleIJPjSI_NS0_16reverse_iteratorISI_EEEEENSH_IJSG_SG_SG_EEES9_SI_JZNS1_25segmented_radix_sort_implINS0_14default_configELb0EPK12hip_bfloat16PSP_PKlPlN2at6native12_GLOBAL__N_18offset_tEEE10hipError_tPvRmT1_PNSt15iterator_traitsIS13_E10value_typeET2_T3_PNS14_IS19_E10value_typeET4_jRbjT5_S1F_jjP12ihipStream_tbEUljE_ZNSN_ISO_Lb0ESR_SS_SU_SV_SZ_EES10_S11_S12_S13_S17_S18_S19_S1C_S1D_jS1E_jS1F_S1F_jjS1H_bEUljE0_EEES10_S11_S12_S19_S1D_S1F_T6_T7_T9_mT8_S1H_bDpT10_ENKUlT_T0_E_clISt17integral_constantIbLb0EES1U_IbLb1EEEEDaS1Q_S1R_EUlS1Q_E_NS1_11comp_targetILNS1_3genE4ELNS1_11target_archE910ELNS1_3gpuE8ELNS1_3repE0EEENS1_30default_config_static_selectorELNS0_4arch9wavefront6targetE1EEEvS13_
                                        ; -- End function
	.set _ZN7rocprim17ROCPRIM_400000_NS6detail17trampoline_kernelINS0_13select_configILj256ELj13ELNS0_17block_load_methodE3ELS4_3ELS4_3ELNS0_20block_scan_algorithmE0ELj4294967295EEENS1_25partition_config_selectorILNS1_17partition_subalgoE4EjNS0_10empty_typeEbEEZZNS1_14partition_implILS8_4ELb0ES6_15HIP_vector_typeIjLj2EENS0_17counting_iteratorIjlEEPS9_SG_NS0_5tupleIJPjSI_NS0_16reverse_iteratorISI_EEEEENSH_IJSG_SG_SG_EEES9_SI_JZNS1_25segmented_radix_sort_implINS0_14default_configELb0EPK12hip_bfloat16PSP_PKlPlN2at6native12_GLOBAL__N_18offset_tEEE10hipError_tPvRmT1_PNSt15iterator_traitsIS13_E10value_typeET2_T3_PNS14_IS19_E10value_typeET4_jRbjT5_S1F_jjP12ihipStream_tbEUljE_ZNSN_ISO_Lb0ESR_SS_SU_SV_SZ_EES10_S11_S12_S13_S17_S18_S19_S1C_S1D_jS1E_jS1F_S1F_jjS1H_bEUljE0_EEES10_S11_S12_S19_S1D_S1F_T6_T7_T9_mT8_S1H_bDpT10_ENKUlT_T0_E_clISt17integral_constantIbLb0EES1U_IbLb1EEEEDaS1Q_S1R_EUlS1Q_E_NS1_11comp_targetILNS1_3genE4ELNS1_11target_archE910ELNS1_3gpuE8ELNS1_3repE0EEENS1_30default_config_static_selectorELNS0_4arch9wavefront6targetE1EEEvS13_.num_vgpr, 0
	.set _ZN7rocprim17ROCPRIM_400000_NS6detail17trampoline_kernelINS0_13select_configILj256ELj13ELNS0_17block_load_methodE3ELS4_3ELS4_3ELNS0_20block_scan_algorithmE0ELj4294967295EEENS1_25partition_config_selectorILNS1_17partition_subalgoE4EjNS0_10empty_typeEbEEZZNS1_14partition_implILS8_4ELb0ES6_15HIP_vector_typeIjLj2EENS0_17counting_iteratorIjlEEPS9_SG_NS0_5tupleIJPjSI_NS0_16reverse_iteratorISI_EEEEENSH_IJSG_SG_SG_EEES9_SI_JZNS1_25segmented_radix_sort_implINS0_14default_configELb0EPK12hip_bfloat16PSP_PKlPlN2at6native12_GLOBAL__N_18offset_tEEE10hipError_tPvRmT1_PNSt15iterator_traitsIS13_E10value_typeET2_T3_PNS14_IS19_E10value_typeET4_jRbjT5_S1F_jjP12ihipStream_tbEUljE_ZNSN_ISO_Lb0ESR_SS_SU_SV_SZ_EES10_S11_S12_S13_S17_S18_S19_S1C_S1D_jS1E_jS1F_S1F_jjS1H_bEUljE0_EEES10_S11_S12_S19_S1D_S1F_T6_T7_T9_mT8_S1H_bDpT10_ENKUlT_T0_E_clISt17integral_constantIbLb0EES1U_IbLb1EEEEDaS1Q_S1R_EUlS1Q_E_NS1_11comp_targetILNS1_3genE4ELNS1_11target_archE910ELNS1_3gpuE8ELNS1_3repE0EEENS1_30default_config_static_selectorELNS0_4arch9wavefront6targetE1EEEvS13_.num_agpr, 0
	.set _ZN7rocprim17ROCPRIM_400000_NS6detail17trampoline_kernelINS0_13select_configILj256ELj13ELNS0_17block_load_methodE3ELS4_3ELS4_3ELNS0_20block_scan_algorithmE0ELj4294967295EEENS1_25partition_config_selectorILNS1_17partition_subalgoE4EjNS0_10empty_typeEbEEZZNS1_14partition_implILS8_4ELb0ES6_15HIP_vector_typeIjLj2EENS0_17counting_iteratorIjlEEPS9_SG_NS0_5tupleIJPjSI_NS0_16reverse_iteratorISI_EEEEENSH_IJSG_SG_SG_EEES9_SI_JZNS1_25segmented_radix_sort_implINS0_14default_configELb0EPK12hip_bfloat16PSP_PKlPlN2at6native12_GLOBAL__N_18offset_tEEE10hipError_tPvRmT1_PNSt15iterator_traitsIS13_E10value_typeET2_T3_PNS14_IS19_E10value_typeET4_jRbjT5_S1F_jjP12ihipStream_tbEUljE_ZNSN_ISO_Lb0ESR_SS_SU_SV_SZ_EES10_S11_S12_S13_S17_S18_S19_S1C_S1D_jS1E_jS1F_S1F_jjS1H_bEUljE0_EEES10_S11_S12_S19_S1D_S1F_T6_T7_T9_mT8_S1H_bDpT10_ENKUlT_T0_E_clISt17integral_constantIbLb0EES1U_IbLb1EEEEDaS1Q_S1R_EUlS1Q_E_NS1_11comp_targetILNS1_3genE4ELNS1_11target_archE910ELNS1_3gpuE8ELNS1_3repE0EEENS1_30default_config_static_selectorELNS0_4arch9wavefront6targetE1EEEvS13_.numbered_sgpr, 0
	.set _ZN7rocprim17ROCPRIM_400000_NS6detail17trampoline_kernelINS0_13select_configILj256ELj13ELNS0_17block_load_methodE3ELS4_3ELS4_3ELNS0_20block_scan_algorithmE0ELj4294967295EEENS1_25partition_config_selectorILNS1_17partition_subalgoE4EjNS0_10empty_typeEbEEZZNS1_14partition_implILS8_4ELb0ES6_15HIP_vector_typeIjLj2EENS0_17counting_iteratorIjlEEPS9_SG_NS0_5tupleIJPjSI_NS0_16reverse_iteratorISI_EEEEENSH_IJSG_SG_SG_EEES9_SI_JZNS1_25segmented_radix_sort_implINS0_14default_configELb0EPK12hip_bfloat16PSP_PKlPlN2at6native12_GLOBAL__N_18offset_tEEE10hipError_tPvRmT1_PNSt15iterator_traitsIS13_E10value_typeET2_T3_PNS14_IS19_E10value_typeET4_jRbjT5_S1F_jjP12ihipStream_tbEUljE_ZNSN_ISO_Lb0ESR_SS_SU_SV_SZ_EES10_S11_S12_S13_S17_S18_S19_S1C_S1D_jS1E_jS1F_S1F_jjS1H_bEUljE0_EEES10_S11_S12_S19_S1D_S1F_T6_T7_T9_mT8_S1H_bDpT10_ENKUlT_T0_E_clISt17integral_constantIbLb0EES1U_IbLb1EEEEDaS1Q_S1R_EUlS1Q_E_NS1_11comp_targetILNS1_3genE4ELNS1_11target_archE910ELNS1_3gpuE8ELNS1_3repE0EEENS1_30default_config_static_selectorELNS0_4arch9wavefront6targetE1EEEvS13_.num_named_barrier, 0
	.set _ZN7rocprim17ROCPRIM_400000_NS6detail17trampoline_kernelINS0_13select_configILj256ELj13ELNS0_17block_load_methodE3ELS4_3ELS4_3ELNS0_20block_scan_algorithmE0ELj4294967295EEENS1_25partition_config_selectorILNS1_17partition_subalgoE4EjNS0_10empty_typeEbEEZZNS1_14partition_implILS8_4ELb0ES6_15HIP_vector_typeIjLj2EENS0_17counting_iteratorIjlEEPS9_SG_NS0_5tupleIJPjSI_NS0_16reverse_iteratorISI_EEEEENSH_IJSG_SG_SG_EEES9_SI_JZNS1_25segmented_radix_sort_implINS0_14default_configELb0EPK12hip_bfloat16PSP_PKlPlN2at6native12_GLOBAL__N_18offset_tEEE10hipError_tPvRmT1_PNSt15iterator_traitsIS13_E10value_typeET2_T3_PNS14_IS19_E10value_typeET4_jRbjT5_S1F_jjP12ihipStream_tbEUljE_ZNSN_ISO_Lb0ESR_SS_SU_SV_SZ_EES10_S11_S12_S13_S17_S18_S19_S1C_S1D_jS1E_jS1F_S1F_jjS1H_bEUljE0_EEES10_S11_S12_S19_S1D_S1F_T6_T7_T9_mT8_S1H_bDpT10_ENKUlT_T0_E_clISt17integral_constantIbLb0EES1U_IbLb1EEEEDaS1Q_S1R_EUlS1Q_E_NS1_11comp_targetILNS1_3genE4ELNS1_11target_archE910ELNS1_3gpuE8ELNS1_3repE0EEENS1_30default_config_static_selectorELNS0_4arch9wavefront6targetE1EEEvS13_.private_seg_size, 0
	.set _ZN7rocprim17ROCPRIM_400000_NS6detail17trampoline_kernelINS0_13select_configILj256ELj13ELNS0_17block_load_methodE3ELS4_3ELS4_3ELNS0_20block_scan_algorithmE0ELj4294967295EEENS1_25partition_config_selectorILNS1_17partition_subalgoE4EjNS0_10empty_typeEbEEZZNS1_14partition_implILS8_4ELb0ES6_15HIP_vector_typeIjLj2EENS0_17counting_iteratorIjlEEPS9_SG_NS0_5tupleIJPjSI_NS0_16reverse_iteratorISI_EEEEENSH_IJSG_SG_SG_EEES9_SI_JZNS1_25segmented_radix_sort_implINS0_14default_configELb0EPK12hip_bfloat16PSP_PKlPlN2at6native12_GLOBAL__N_18offset_tEEE10hipError_tPvRmT1_PNSt15iterator_traitsIS13_E10value_typeET2_T3_PNS14_IS19_E10value_typeET4_jRbjT5_S1F_jjP12ihipStream_tbEUljE_ZNSN_ISO_Lb0ESR_SS_SU_SV_SZ_EES10_S11_S12_S13_S17_S18_S19_S1C_S1D_jS1E_jS1F_S1F_jjS1H_bEUljE0_EEES10_S11_S12_S19_S1D_S1F_T6_T7_T9_mT8_S1H_bDpT10_ENKUlT_T0_E_clISt17integral_constantIbLb0EES1U_IbLb1EEEEDaS1Q_S1R_EUlS1Q_E_NS1_11comp_targetILNS1_3genE4ELNS1_11target_archE910ELNS1_3gpuE8ELNS1_3repE0EEENS1_30default_config_static_selectorELNS0_4arch9wavefront6targetE1EEEvS13_.uses_vcc, 0
	.set _ZN7rocprim17ROCPRIM_400000_NS6detail17trampoline_kernelINS0_13select_configILj256ELj13ELNS0_17block_load_methodE3ELS4_3ELS4_3ELNS0_20block_scan_algorithmE0ELj4294967295EEENS1_25partition_config_selectorILNS1_17partition_subalgoE4EjNS0_10empty_typeEbEEZZNS1_14partition_implILS8_4ELb0ES6_15HIP_vector_typeIjLj2EENS0_17counting_iteratorIjlEEPS9_SG_NS0_5tupleIJPjSI_NS0_16reverse_iteratorISI_EEEEENSH_IJSG_SG_SG_EEES9_SI_JZNS1_25segmented_radix_sort_implINS0_14default_configELb0EPK12hip_bfloat16PSP_PKlPlN2at6native12_GLOBAL__N_18offset_tEEE10hipError_tPvRmT1_PNSt15iterator_traitsIS13_E10value_typeET2_T3_PNS14_IS19_E10value_typeET4_jRbjT5_S1F_jjP12ihipStream_tbEUljE_ZNSN_ISO_Lb0ESR_SS_SU_SV_SZ_EES10_S11_S12_S13_S17_S18_S19_S1C_S1D_jS1E_jS1F_S1F_jjS1H_bEUljE0_EEES10_S11_S12_S19_S1D_S1F_T6_T7_T9_mT8_S1H_bDpT10_ENKUlT_T0_E_clISt17integral_constantIbLb0EES1U_IbLb1EEEEDaS1Q_S1R_EUlS1Q_E_NS1_11comp_targetILNS1_3genE4ELNS1_11target_archE910ELNS1_3gpuE8ELNS1_3repE0EEENS1_30default_config_static_selectorELNS0_4arch9wavefront6targetE1EEEvS13_.uses_flat_scratch, 0
	.set _ZN7rocprim17ROCPRIM_400000_NS6detail17trampoline_kernelINS0_13select_configILj256ELj13ELNS0_17block_load_methodE3ELS4_3ELS4_3ELNS0_20block_scan_algorithmE0ELj4294967295EEENS1_25partition_config_selectorILNS1_17partition_subalgoE4EjNS0_10empty_typeEbEEZZNS1_14partition_implILS8_4ELb0ES6_15HIP_vector_typeIjLj2EENS0_17counting_iteratorIjlEEPS9_SG_NS0_5tupleIJPjSI_NS0_16reverse_iteratorISI_EEEEENSH_IJSG_SG_SG_EEES9_SI_JZNS1_25segmented_radix_sort_implINS0_14default_configELb0EPK12hip_bfloat16PSP_PKlPlN2at6native12_GLOBAL__N_18offset_tEEE10hipError_tPvRmT1_PNSt15iterator_traitsIS13_E10value_typeET2_T3_PNS14_IS19_E10value_typeET4_jRbjT5_S1F_jjP12ihipStream_tbEUljE_ZNSN_ISO_Lb0ESR_SS_SU_SV_SZ_EES10_S11_S12_S13_S17_S18_S19_S1C_S1D_jS1E_jS1F_S1F_jjS1H_bEUljE0_EEES10_S11_S12_S19_S1D_S1F_T6_T7_T9_mT8_S1H_bDpT10_ENKUlT_T0_E_clISt17integral_constantIbLb0EES1U_IbLb1EEEEDaS1Q_S1R_EUlS1Q_E_NS1_11comp_targetILNS1_3genE4ELNS1_11target_archE910ELNS1_3gpuE8ELNS1_3repE0EEENS1_30default_config_static_selectorELNS0_4arch9wavefront6targetE1EEEvS13_.has_dyn_sized_stack, 0
	.set _ZN7rocprim17ROCPRIM_400000_NS6detail17trampoline_kernelINS0_13select_configILj256ELj13ELNS0_17block_load_methodE3ELS4_3ELS4_3ELNS0_20block_scan_algorithmE0ELj4294967295EEENS1_25partition_config_selectorILNS1_17partition_subalgoE4EjNS0_10empty_typeEbEEZZNS1_14partition_implILS8_4ELb0ES6_15HIP_vector_typeIjLj2EENS0_17counting_iteratorIjlEEPS9_SG_NS0_5tupleIJPjSI_NS0_16reverse_iteratorISI_EEEEENSH_IJSG_SG_SG_EEES9_SI_JZNS1_25segmented_radix_sort_implINS0_14default_configELb0EPK12hip_bfloat16PSP_PKlPlN2at6native12_GLOBAL__N_18offset_tEEE10hipError_tPvRmT1_PNSt15iterator_traitsIS13_E10value_typeET2_T3_PNS14_IS19_E10value_typeET4_jRbjT5_S1F_jjP12ihipStream_tbEUljE_ZNSN_ISO_Lb0ESR_SS_SU_SV_SZ_EES10_S11_S12_S13_S17_S18_S19_S1C_S1D_jS1E_jS1F_S1F_jjS1H_bEUljE0_EEES10_S11_S12_S19_S1D_S1F_T6_T7_T9_mT8_S1H_bDpT10_ENKUlT_T0_E_clISt17integral_constantIbLb0EES1U_IbLb1EEEEDaS1Q_S1R_EUlS1Q_E_NS1_11comp_targetILNS1_3genE4ELNS1_11target_archE910ELNS1_3gpuE8ELNS1_3repE0EEENS1_30default_config_static_selectorELNS0_4arch9wavefront6targetE1EEEvS13_.has_recursion, 0
	.set _ZN7rocprim17ROCPRIM_400000_NS6detail17trampoline_kernelINS0_13select_configILj256ELj13ELNS0_17block_load_methodE3ELS4_3ELS4_3ELNS0_20block_scan_algorithmE0ELj4294967295EEENS1_25partition_config_selectorILNS1_17partition_subalgoE4EjNS0_10empty_typeEbEEZZNS1_14partition_implILS8_4ELb0ES6_15HIP_vector_typeIjLj2EENS0_17counting_iteratorIjlEEPS9_SG_NS0_5tupleIJPjSI_NS0_16reverse_iteratorISI_EEEEENSH_IJSG_SG_SG_EEES9_SI_JZNS1_25segmented_radix_sort_implINS0_14default_configELb0EPK12hip_bfloat16PSP_PKlPlN2at6native12_GLOBAL__N_18offset_tEEE10hipError_tPvRmT1_PNSt15iterator_traitsIS13_E10value_typeET2_T3_PNS14_IS19_E10value_typeET4_jRbjT5_S1F_jjP12ihipStream_tbEUljE_ZNSN_ISO_Lb0ESR_SS_SU_SV_SZ_EES10_S11_S12_S13_S17_S18_S19_S1C_S1D_jS1E_jS1F_S1F_jjS1H_bEUljE0_EEES10_S11_S12_S19_S1D_S1F_T6_T7_T9_mT8_S1H_bDpT10_ENKUlT_T0_E_clISt17integral_constantIbLb0EES1U_IbLb1EEEEDaS1Q_S1R_EUlS1Q_E_NS1_11comp_targetILNS1_3genE4ELNS1_11target_archE910ELNS1_3gpuE8ELNS1_3repE0EEENS1_30default_config_static_selectorELNS0_4arch9wavefront6targetE1EEEvS13_.has_indirect_call, 0
	.section	.AMDGPU.csdata,"",@progbits
; Kernel info:
; codeLenInByte = 0
; TotalNumSgprs: 4
; NumVgprs: 0
; ScratchSize: 0
; MemoryBound: 0
; FloatMode: 240
; IeeeMode: 1
; LDSByteSize: 0 bytes/workgroup (compile time only)
; SGPRBlocks: 0
; VGPRBlocks: 0
; NumSGPRsForWavesPerEU: 4
; NumVGPRsForWavesPerEU: 1
; Occupancy: 10
; WaveLimiterHint : 0
; COMPUTE_PGM_RSRC2:SCRATCH_EN: 0
; COMPUTE_PGM_RSRC2:USER_SGPR: 6
; COMPUTE_PGM_RSRC2:TRAP_HANDLER: 0
; COMPUTE_PGM_RSRC2:TGID_X_EN: 1
; COMPUTE_PGM_RSRC2:TGID_Y_EN: 0
; COMPUTE_PGM_RSRC2:TGID_Z_EN: 0
; COMPUTE_PGM_RSRC2:TIDIG_COMP_CNT: 0
	.section	.text._ZN7rocprim17ROCPRIM_400000_NS6detail17trampoline_kernelINS0_13select_configILj256ELj13ELNS0_17block_load_methodE3ELS4_3ELS4_3ELNS0_20block_scan_algorithmE0ELj4294967295EEENS1_25partition_config_selectorILNS1_17partition_subalgoE4EjNS0_10empty_typeEbEEZZNS1_14partition_implILS8_4ELb0ES6_15HIP_vector_typeIjLj2EENS0_17counting_iteratorIjlEEPS9_SG_NS0_5tupleIJPjSI_NS0_16reverse_iteratorISI_EEEEENSH_IJSG_SG_SG_EEES9_SI_JZNS1_25segmented_radix_sort_implINS0_14default_configELb0EPK12hip_bfloat16PSP_PKlPlN2at6native12_GLOBAL__N_18offset_tEEE10hipError_tPvRmT1_PNSt15iterator_traitsIS13_E10value_typeET2_T3_PNS14_IS19_E10value_typeET4_jRbjT5_S1F_jjP12ihipStream_tbEUljE_ZNSN_ISO_Lb0ESR_SS_SU_SV_SZ_EES10_S11_S12_S13_S17_S18_S19_S1C_S1D_jS1E_jS1F_S1F_jjS1H_bEUljE0_EEES10_S11_S12_S19_S1D_S1F_T6_T7_T9_mT8_S1H_bDpT10_ENKUlT_T0_E_clISt17integral_constantIbLb0EES1U_IbLb1EEEEDaS1Q_S1R_EUlS1Q_E_NS1_11comp_targetILNS1_3genE3ELNS1_11target_archE908ELNS1_3gpuE7ELNS1_3repE0EEENS1_30default_config_static_selectorELNS0_4arch9wavefront6targetE1EEEvS13_,"axG",@progbits,_ZN7rocprim17ROCPRIM_400000_NS6detail17trampoline_kernelINS0_13select_configILj256ELj13ELNS0_17block_load_methodE3ELS4_3ELS4_3ELNS0_20block_scan_algorithmE0ELj4294967295EEENS1_25partition_config_selectorILNS1_17partition_subalgoE4EjNS0_10empty_typeEbEEZZNS1_14partition_implILS8_4ELb0ES6_15HIP_vector_typeIjLj2EENS0_17counting_iteratorIjlEEPS9_SG_NS0_5tupleIJPjSI_NS0_16reverse_iteratorISI_EEEEENSH_IJSG_SG_SG_EEES9_SI_JZNS1_25segmented_radix_sort_implINS0_14default_configELb0EPK12hip_bfloat16PSP_PKlPlN2at6native12_GLOBAL__N_18offset_tEEE10hipError_tPvRmT1_PNSt15iterator_traitsIS13_E10value_typeET2_T3_PNS14_IS19_E10value_typeET4_jRbjT5_S1F_jjP12ihipStream_tbEUljE_ZNSN_ISO_Lb0ESR_SS_SU_SV_SZ_EES10_S11_S12_S13_S17_S18_S19_S1C_S1D_jS1E_jS1F_S1F_jjS1H_bEUljE0_EEES10_S11_S12_S19_S1D_S1F_T6_T7_T9_mT8_S1H_bDpT10_ENKUlT_T0_E_clISt17integral_constantIbLb0EES1U_IbLb1EEEEDaS1Q_S1R_EUlS1Q_E_NS1_11comp_targetILNS1_3genE3ELNS1_11target_archE908ELNS1_3gpuE7ELNS1_3repE0EEENS1_30default_config_static_selectorELNS0_4arch9wavefront6targetE1EEEvS13_,comdat
	.globl	_ZN7rocprim17ROCPRIM_400000_NS6detail17trampoline_kernelINS0_13select_configILj256ELj13ELNS0_17block_load_methodE3ELS4_3ELS4_3ELNS0_20block_scan_algorithmE0ELj4294967295EEENS1_25partition_config_selectorILNS1_17partition_subalgoE4EjNS0_10empty_typeEbEEZZNS1_14partition_implILS8_4ELb0ES6_15HIP_vector_typeIjLj2EENS0_17counting_iteratorIjlEEPS9_SG_NS0_5tupleIJPjSI_NS0_16reverse_iteratorISI_EEEEENSH_IJSG_SG_SG_EEES9_SI_JZNS1_25segmented_radix_sort_implINS0_14default_configELb0EPK12hip_bfloat16PSP_PKlPlN2at6native12_GLOBAL__N_18offset_tEEE10hipError_tPvRmT1_PNSt15iterator_traitsIS13_E10value_typeET2_T3_PNS14_IS19_E10value_typeET4_jRbjT5_S1F_jjP12ihipStream_tbEUljE_ZNSN_ISO_Lb0ESR_SS_SU_SV_SZ_EES10_S11_S12_S13_S17_S18_S19_S1C_S1D_jS1E_jS1F_S1F_jjS1H_bEUljE0_EEES10_S11_S12_S19_S1D_S1F_T6_T7_T9_mT8_S1H_bDpT10_ENKUlT_T0_E_clISt17integral_constantIbLb0EES1U_IbLb1EEEEDaS1Q_S1R_EUlS1Q_E_NS1_11comp_targetILNS1_3genE3ELNS1_11target_archE908ELNS1_3gpuE7ELNS1_3repE0EEENS1_30default_config_static_selectorELNS0_4arch9wavefront6targetE1EEEvS13_ ; -- Begin function _ZN7rocprim17ROCPRIM_400000_NS6detail17trampoline_kernelINS0_13select_configILj256ELj13ELNS0_17block_load_methodE3ELS4_3ELS4_3ELNS0_20block_scan_algorithmE0ELj4294967295EEENS1_25partition_config_selectorILNS1_17partition_subalgoE4EjNS0_10empty_typeEbEEZZNS1_14partition_implILS8_4ELb0ES6_15HIP_vector_typeIjLj2EENS0_17counting_iteratorIjlEEPS9_SG_NS0_5tupleIJPjSI_NS0_16reverse_iteratorISI_EEEEENSH_IJSG_SG_SG_EEES9_SI_JZNS1_25segmented_radix_sort_implINS0_14default_configELb0EPK12hip_bfloat16PSP_PKlPlN2at6native12_GLOBAL__N_18offset_tEEE10hipError_tPvRmT1_PNSt15iterator_traitsIS13_E10value_typeET2_T3_PNS14_IS19_E10value_typeET4_jRbjT5_S1F_jjP12ihipStream_tbEUljE_ZNSN_ISO_Lb0ESR_SS_SU_SV_SZ_EES10_S11_S12_S13_S17_S18_S19_S1C_S1D_jS1E_jS1F_S1F_jjS1H_bEUljE0_EEES10_S11_S12_S19_S1D_S1F_T6_T7_T9_mT8_S1H_bDpT10_ENKUlT_T0_E_clISt17integral_constantIbLb0EES1U_IbLb1EEEEDaS1Q_S1R_EUlS1Q_E_NS1_11comp_targetILNS1_3genE3ELNS1_11target_archE908ELNS1_3gpuE7ELNS1_3repE0EEENS1_30default_config_static_selectorELNS0_4arch9wavefront6targetE1EEEvS13_
	.p2align	8
	.type	_ZN7rocprim17ROCPRIM_400000_NS6detail17trampoline_kernelINS0_13select_configILj256ELj13ELNS0_17block_load_methodE3ELS4_3ELS4_3ELNS0_20block_scan_algorithmE0ELj4294967295EEENS1_25partition_config_selectorILNS1_17partition_subalgoE4EjNS0_10empty_typeEbEEZZNS1_14partition_implILS8_4ELb0ES6_15HIP_vector_typeIjLj2EENS0_17counting_iteratorIjlEEPS9_SG_NS0_5tupleIJPjSI_NS0_16reverse_iteratorISI_EEEEENSH_IJSG_SG_SG_EEES9_SI_JZNS1_25segmented_radix_sort_implINS0_14default_configELb0EPK12hip_bfloat16PSP_PKlPlN2at6native12_GLOBAL__N_18offset_tEEE10hipError_tPvRmT1_PNSt15iterator_traitsIS13_E10value_typeET2_T3_PNS14_IS19_E10value_typeET4_jRbjT5_S1F_jjP12ihipStream_tbEUljE_ZNSN_ISO_Lb0ESR_SS_SU_SV_SZ_EES10_S11_S12_S13_S17_S18_S19_S1C_S1D_jS1E_jS1F_S1F_jjS1H_bEUljE0_EEES10_S11_S12_S19_S1D_S1F_T6_T7_T9_mT8_S1H_bDpT10_ENKUlT_T0_E_clISt17integral_constantIbLb0EES1U_IbLb1EEEEDaS1Q_S1R_EUlS1Q_E_NS1_11comp_targetILNS1_3genE3ELNS1_11target_archE908ELNS1_3gpuE7ELNS1_3repE0EEENS1_30default_config_static_selectorELNS0_4arch9wavefront6targetE1EEEvS13_,@function
_ZN7rocprim17ROCPRIM_400000_NS6detail17trampoline_kernelINS0_13select_configILj256ELj13ELNS0_17block_load_methodE3ELS4_3ELS4_3ELNS0_20block_scan_algorithmE0ELj4294967295EEENS1_25partition_config_selectorILNS1_17partition_subalgoE4EjNS0_10empty_typeEbEEZZNS1_14partition_implILS8_4ELb0ES6_15HIP_vector_typeIjLj2EENS0_17counting_iteratorIjlEEPS9_SG_NS0_5tupleIJPjSI_NS0_16reverse_iteratorISI_EEEEENSH_IJSG_SG_SG_EEES9_SI_JZNS1_25segmented_radix_sort_implINS0_14default_configELb0EPK12hip_bfloat16PSP_PKlPlN2at6native12_GLOBAL__N_18offset_tEEE10hipError_tPvRmT1_PNSt15iterator_traitsIS13_E10value_typeET2_T3_PNS14_IS19_E10value_typeET4_jRbjT5_S1F_jjP12ihipStream_tbEUljE_ZNSN_ISO_Lb0ESR_SS_SU_SV_SZ_EES10_S11_S12_S13_S17_S18_S19_S1C_S1D_jS1E_jS1F_S1F_jjS1H_bEUljE0_EEES10_S11_S12_S19_S1D_S1F_T6_T7_T9_mT8_S1H_bDpT10_ENKUlT_T0_E_clISt17integral_constantIbLb0EES1U_IbLb1EEEEDaS1Q_S1R_EUlS1Q_E_NS1_11comp_targetILNS1_3genE3ELNS1_11target_archE908ELNS1_3gpuE7ELNS1_3repE0EEENS1_30default_config_static_selectorELNS0_4arch9wavefront6targetE1EEEvS13_: ; @_ZN7rocprim17ROCPRIM_400000_NS6detail17trampoline_kernelINS0_13select_configILj256ELj13ELNS0_17block_load_methodE3ELS4_3ELS4_3ELNS0_20block_scan_algorithmE0ELj4294967295EEENS1_25partition_config_selectorILNS1_17partition_subalgoE4EjNS0_10empty_typeEbEEZZNS1_14partition_implILS8_4ELb0ES6_15HIP_vector_typeIjLj2EENS0_17counting_iteratorIjlEEPS9_SG_NS0_5tupleIJPjSI_NS0_16reverse_iteratorISI_EEEEENSH_IJSG_SG_SG_EEES9_SI_JZNS1_25segmented_radix_sort_implINS0_14default_configELb0EPK12hip_bfloat16PSP_PKlPlN2at6native12_GLOBAL__N_18offset_tEEE10hipError_tPvRmT1_PNSt15iterator_traitsIS13_E10value_typeET2_T3_PNS14_IS19_E10value_typeET4_jRbjT5_S1F_jjP12ihipStream_tbEUljE_ZNSN_ISO_Lb0ESR_SS_SU_SV_SZ_EES10_S11_S12_S13_S17_S18_S19_S1C_S1D_jS1E_jS1F_S1F_jjS1H_bEUljE0_EEES10_S11_S12_S19_S1D_S1F_T6_T7_T9_mT8_S1H_bDpT10_ENKUlT_T0_E_clISt17integral_constantIbLb0EES1U_IbLb1EEEEDaS1Q_S1R_EUlS1Q_E_NS1_11comp_targetILNS1_3genE3ELNS1_11target_archE908ELNS1_3gpuE7ELNS1_3repE0EEENS1_30default_config_static_selectorELNS0_4arch9wavefront6targetE1EEEvS13_
; %bb.0:
	.section	.rodata,"a",@progbits
	.p2align	6, 0x0
	.amdhsa_kernel _ZN7rocprim17ROCPRIM_400000_NS6detail17trampoline_kernelINS0_13select_configILj256ELj13ELNS0_17block_load_methodE3ELS4_3ELS4_3ELNS0_20block_scan_algorithmE0ELj4294967295EEENS1_25partition_config_selectorILNS1_17partition_subalgoE4EjNS0_10empty_typeEbEEZZNS1_14partition_implILS8_4ELb0ES6_15HIP_vector_typeIjLj2EENS0_17counting_iteratorIjlEEPS9_SG_NS0_5tupleIJPjSI_NS0_16reverse_iteratorISI_EEEEENSH_IJSG_SG_SG_EEES9_SI_JZNS1_25segmented_radix_sort_implINS0_14default_configELb0EPK12hip_bfloat16PSP_PKlPlN2at6native12_GLOBAL__N_18offset_tEEE10hipError_tPvRmT1_PNSt15iterator_traitsIS13_E10value_typeET2_T3_PNS14_IS19_E10value_typeET4_jRbjT5_S1F_jjP12ihipStream_tbEUljE_ZNSN_ISO_Lb0ESR_SS_SU_SV_SZ_EES10_S11_S12_S13_S17_S18_S19_S1C_S1D_jS1E_jS1F_S1F_jjS1H_bEUljE0_EEES10_S11_S12_S19_S1D_S1F_T6_T7_T9_mT8_S1H_bDpT10_ENKUlT_T0_E_clISt17integral_constantIbLb0EES1U_IbLb1EEEEDaS1Q_S1R_EUlS1Q_E_NS1_11comp_targetILNS1_3genE3ELNS1_11target_archE908ELNS1_3gpuE7ELNS1_3repE0EEENS1_30default_config_static_selectorELNS0_4arch9wavefront6targetE1EEEvS13_
		.amdhsa_group_segment_fixed_size 0
		.amdhsa_private_segment_fixed_size 0
		.amdhsa_kernarg_size 184
		.amdhsa_user_sgpr_count 6
		.amdhsa_user_sgpr_private_segment_buffer 1
		.amdhsa_user_sgpr_dispatch_ptr 0
		.amdhsa_user_sgpr_queue_ptr 0
		.amdhsa_user_sgpr_kernarg_segment_ptr 1
		.amdhsa_user_sgpr_dispatch_id 0
		.amdhsa_user_sgpr_flat_scratch_init 0
		.amdhsa_user_sgpr_private_segment_size 0
		.amdhsa_uses_dynamic_stack 0
		.amdhsa_system_sgpr_private_segment_wavefront_offset 0
		.amdhsa_system_sgpr_workgroup_id_x 1
		.amdhsa_system_sgpr_workgroup_id_y 0
		.amdhsa_system_sgpr_workgroup_id_z 0
		.amdhsa_system_sgpr_workgroup_info 0
		.amdhsa_system_vgpr_workitem_id 0
		.amdhsa_next_free_vgpr 1
		.amdhsa_next_free_sgpr 0
		.amdhsa_reserve_vcc 0
		.amdhsa_reserve_flat_scratch 0
		.amdhsa_float_round_mode_32 0
		.amdhsa_float_round_mode_16_64 0
		.amdhsa_float_denorm_mode_32 3
		.amdhsa_float_denorm_mode_16_64 3
		.amdhsa_dx10_clamp 1
		.amdhsa_ieee_mode 1
		.amdhsa_fp16_overflow 0
		.amdhsa_exception_fp_ieee_invalid_op 0
		.amdhsa_exception_fp_denorm_src 0
		.amdhsa_exception_fp_ieee_div_zero 0
		.amdhsa_exception_fp_ieee_overflow 0
		.amdhsa_exception_fp_ieee_underflow 0
		.amdhsa_exception_fp_ieee_inexact 0
		.amdhsa_exception_int_div_zero 0
	.end_amdhsa_kernel
	.section	.text._ZN7rocprim17ROCPRIM_400000_NS6detail17trampoline_kernelINS0_13select_configILj256ELj13ELNS0_17block_load_methodE3ELS4_3ELS4_3ELNS0_20block_scan_algorithmE0ELj4294967295EEENS1_25partition_config_selectorILNS1_17partition_subalgoE4EjNS0_10empty_typeEbEEZZNS1_14partition_implILS8_4ELb0ES6_15HIP_vector_typeIjLj2EENS0_17counting_iteratorIjlEEPS9_SG_NS0_5tupleIJPjSI_NS0_16reverse_iteratorISI_EEEEENSH_IJSG_SG_SG_EEES9_SI_JZNS1_25segmented_radix_sort_implINS0_14default_configELb0EPK12hip_bfloat16PSP_PKlPlN2at6native12_GLOBAL__N_18offset_tEEE10hipError_tPvRmT1_PNSt15iterator_traitsIS13_E10value_typeET2_T3_PNS14_IS19_E10value_typeET4_jRbjT5_S1F_jjP12ihipStream_tbEUljE_ZNSN_ISO_Lb0ESR_SS_SU_SV_SZ_EES10_S11_S12_S13_S17_S18_S19_S1C_S1D_jS1E_jS1F_S1F_jjS1H_bEUljE0_EEES10_S11_S12_S19_S1D_S1F_T6_T7_T9_mT8_S1H_bDpT10_ENKUlT_T0_E_clISt17integral_constantIbLb0EES1U_IbLb1EEEEDaS1Q_S1R_EUlS1Q_E_NS1_11comp_targetILNS1_3genE3ELNS1_11target_archE908ELNS1_3gpuE7ELNS1_3repE0EEENS1_30default_config_static_selectorELNS0_4arch9wavefront6targetE1EEEvS13_,"axG",@progbits,_ZN7rocprim17ROCPRIM_400000_NS6detail17trampoline_kernelINS0_13select_configILj256ELj13ELNS0_17block_load_methodE3ELS4_3ELS4_3ELNS0_20block_scan_algorithmE0ELj4294967295EEENS1_25partition_config_selectorILNS1_17partition_subalgoE4EjNS0_10empty_typeEbEEZZNS1_14partition_implILS8_4ELb0ES6_15HIP_vector_typeIjLj2EENS0_17counting_iteratorIjlEEPS9_SG_NS0_5tupleIJPjSI_NS0_16reverse_iteratorISI_EEEEENSH_IJSG_SG_SG_EEES9_SI_JZNS1_25segmented_radix_sort_implINS0_14default_configELb0EPK12hip_bfloat16PSP_PKlPlN2at6native12_GLOBAL__N_18offset_tEEE10hipError_tPvRmT1_PNSt15iterator_traitsIS13_E10value_typeET2_T3_PNS14_IS19_E10value_typeET4_jRbjT5_S1F_jjP12ihipStream_tbEUljE_ZNSN_ISO_Lb0ESR_SS_SU_SV_SZ_EES10_S11_S12_S13_S17_S18_S19_S1C_S1D_jS1E_jS1F_S1F_jjS1H_bEUljE0_EEES10_S11_S12_S19_S1D_S1F_T6_T7_T9_mT8_S1H_bDpT10_ENKUlT_T0_E_clISt17integral_constantIbLb0EES1U_IbLb1EEEEDaS1Q_S1R_EUlS1Q_E_NS1_11comp_targetILNS1_3genE3ELNS1_11target_archE908ELNS1_3gpuE7ELNS1_3repE0EEENS1_30default_config_static_selectorELNS0_4arch9wavefront6targetE1EEEvS13_,comdat
.Lfunc_end2012:
	.size	_ZN7rocprim17ROCPRIM_400000_NS6detail17trampoline_kernelINS0_13select_configILj256ELj13ELNS0_17block_load_methodE3ELS4_3ELS4_3ELNS0_20block_scan_algorithmE0ELj4294967295EEENS1_25partition_config_selectorILNS1_17partition_subalgoE4EjNS0_10empty_typeEbEEZZNS1_14partition_implILS8_4ELb0ES6_15HIP_vector_typeIjLj2EENS0_17counting_iteratorIjlEEPS9_SG_NS0_5tupleIJPjSI_NS0_16reverse_iteratorISI_EEEEENSH_IJSG_SG_SG_EEES9_SI_JZNS1_25segmented_radix_sort_implINS0_14default_configELb0EPK12hip_bfloat16PSP_PKlPlN2at6native12_GLOBAL__N_18offset_tEEE10hipError_tPvRmT1_PNSt15iterator_traitsIS13_E10value_typeET2_T3_PNS14_IS19_E10value_typeET4_jRbjT5_S1F_jjP12ihipStream_tbEUljE_ZNSN_ISO_Lb0ESR_SS_SU_SV_SZ_EES10_S11_S12_S13_S17_S18_S19_S1C_S1D_jS1E_jS1F_S1F_jjS1H_bEUljE0_EEES10_S11_S12_S19_S1D_S1F_T6_T7_T9_mT8_S1H_bDpT10_ENKUlT_T0_E_clISt17integral_constantIbLb0EES1U_IbLb1EEEEDaS1Q_S1R_EUlS1Q_E_NS1_11comp_targetILNS1_3genE3ELNS1_11target_archE908ELNS1_3gpuE7ELNS1_3repE0EEENS1_30default_config_static_selectorELNS0_4arch9wavefront6targetE1EEEvS13_, .Lfunc_end2012-_ZN7rocprim17ROCPRIM_400000_NS6detail17trampoline_kernelINS0_13select_configILj256ELj13ELNS0_17block_load_methodE3ELS4_3ELS4_3ELNS0_20block_scan_algorithmE0ELj4294967295EEENS1_25partition_config_selectorILNS1_17partition_subalgoE4EjNS0_10empty_typeEbEEZZNS1_14partition_implILS8_4ELb0ES6_15HIP_vector_typeIjLj2EENS0_17counting_iteratorIjlEEPS9_SG_NS0_5tupleIJPjSI_NS0_16reverse_iteratorISI_EEEEENSH_IJSG_SG_SG_EEES9_SI_JZNS1_25segmented_radix_sort_implINS0_14default_configELb0EPK12hip_bfloat16PSP_PKlPlN2at6native12_GLOBAL__N_18offset_tEEE10hipError_tPvRmT1_PNSt15iterator_traitsIS13_E10value_typeET2_T3_PNS14_IS19_E10value_typeET4_jRbjT5_S1F_jjP12ihipStream_tbEUljE_ZNSN_ISO_Lb0ESR_SS_SU_SV_SZ_EES10_S11_S12_S13_S17_S18_S19_S1C_S1D_jS1E_jS1F_S1F_jjS1H_bEUljE0_EEES10_S11_S12_S19_S1D_S1F_T6_T7_T9_mT8_S1H_bDpT10_ENKUlT_T0_E_clISt17integral_constantIbLb0EES1U_IbLb1EEEEDaS1Q_S1R_EUlS1Q_E_NS1_11comp_targetILNS1_3genE3ELNS1_11target_archE908ELNS1_3gpuE7ELNS1_3repE0EEENS1_30default_config_static_selectorELNS0_4arch9wavefront6targetE1EEEvS13_
                                        ; -- End function
	.set _ZN7rocprim17ROCPRIM_400000_NS6detail17trampoline_kernelINS0_13select_configILj256ELj13ELNS0_17block_load_methodE3ELS4_3ELS4_3ELNS0_20block_scan_algorithmE0ELj4294967295EEENS1_25partition_config_selectorILNS1_17partition_subalgoE4EjNS0_10empty_typeEbEEZZNS1_14partition_implILS8_4ELb0ES6_15HIP_vector_typeIjLj2EENS0_17counting_iteratorIjlEEPS9_SG_NS0_5tupleIJPjSI_NS0_16reverse_iteratorISI_EEEEENSH_IJSG_SG_SG_EEES9_SI_JZNS1_25segmented_radix_sort_implINS0_14default_configELb0EPK12hip_bfloat16PSP_PKlPlN2at6native12_GLOBAL__N_18offset_tEEE10hipError_tPvRmT1_PNSt15iterator_traitsIS13_E10value_typeET2_T3_PNS14_IS19_E10value_typeET4_jRbjT5_S1F_jjP12ihipStream_tbEUljE_ZNSN_ISO_Lb0ESR_SS_SU_SV_SZ_EES10_S11_S12_S13_S17_S18_S19_S1C_S1D_jS1E_jS1F_S1F_jjS1H_bEUljE0_EEES10_S11_S12_S19_S1D_S1F_T6_T7_T9_mT8_S1H_bDpT10_ENKUlT_T0_E_clISt17integral_constantIbLb0EES1U_IbLb1EEEEDaS1Q_S1R_EUlS1Q_E_NS1_11comp_targetILNS1_3genE3ELNS1_11target_archE908ELNS1_3gpuE7ELNS1_3repE0EEENS1_30default_config_static_selectorELNS0_4arch9wavefront6targetE1EEEvS13_.num_vgpr, 0
	.set _ZN7rocprim17ROCPRIM_400000_NS6detail17trampoline_kernelINS0_13select_configILj256ELj13ELNS0_17block_load_methodE3ELS4_3ELS4_3ELNS0_20block_scan_algorithmE0ELj4294967295EEENS1_25partition_config_selectorILNS1_17partition_subalgoE4EjNS0_10empty_typeEbEEZZNS1_14partition_implILS8_4ELb0ES6_15HIP_vector_typeIjLj2EENS0_17counting_iteratorIjlEEPS9_SG_NS0_5tupleIJPjSI_NS0_16reverse_iteratorISI_EEEEENSH_IJSG_SG_SG_EEES9_SI_JZNS1_25segmented_radix_sort_implINS0_14default_configELb0EPK12hip_bfloat16PSP_PKlPlN2at6native12_GLOBAL__N_18offset_tEEE10hipError_tPvRmT1_PNSt15iterator_traitsIS13_E10value_typeET2_T3_PNS14_IS19_E10value_typeET4_jRbjT5_S1F_jjP12ihipStream_tbEUljE_ZNSN_ISO_Lb0ESR_SS_SU_SV_SZ_EES10_S11_S12_S13_S17_S18_S19_S1C_S1D_jS1E_jS1F_S1F_jjS1H_bEUljE0_EEES10_S11_S12_S19_S1D_S1F_T6_T7_T9_mT8_S1H_bDpT10_ENKUlT_T0_E_clISt17integral_constantIbLb0EES1U_IbLb1EEEEDaS1Q_S1R_EUlS1Q_E_NS1_11comp_targetILNS1_3genE3ELNS1_11target_archE908ELNS1_3gpuE7ELNS1_3repE0EEENS1_30default_config_static_selectorELNS0_4arch9wavefront6targetE1EEEvS13_.num_agpr, 0
	.set _ZN7rocprim17ROCPRIM_400000_NS6detail17trampoline_kernelINS0_13select_configILj256ELj13ELNS0_17block_load_methodE3ELS4_3ELS4_3ELNS0_20block_scan_algorithmE0ELj4294967295EEENS1_25partition_config_selectorILNS1_17partition_subalgoE4EjNS0_10empty_typeEbEEZZNS1_14partition_implILS8_4ELb0ES6_15HIP_vector_typeIjLj2EENS0_17counting_iteratorIjlEEPS9_SG_NS0_5tupleIJPjSI_NS0_16reverse_iteratorISI_EEEEENSH_IJSG_SG_SG_EEES9_SI_JZNS1_25segmented_radix_sort_implINS0_14default_configELb0EPK12hip_bfloat16PSP_PKlPlN2at6native12_GLOBAL__N_18offset_tEEE10hipError_tPvRmT1_PNSt15iterator_traitsIS13_E10value_typeET2_T3_PNS14_IS19_E10value_typeET4_jRbjT5_S1F_jjP12ihipStream_tbEUljE_ZNSN_ISO_Lb0ESR_SS_SU_SV_SZ_EES10_S11_S12_S13_S17_S18_S19_S1C_S1D_jS1E_jS1F_S1F_jjS1H_bEUljE0_EEES10_S11_S12_S19_S1D_S1F_T6_T7_T9_mT8_S1H_bDpT10_ENKUlT_T0_E_clISt17integral_constantIbLb0EES1U_IbLb1EEEEDaS1Q_S1R_EUlS1Q_E_NS1_11comp_targetILNS1_3genE3ELNS1_11target_archE908ELNS1_3gpuE7ELNS1_3repE0EEENS1_30default_config_static_selectorELNS0_4arch9wavefront6targetE1EEEvS13_.numbered_sgpr, 0
	.set _ZN7rocprim17ROCPRIM_400000_NS6detail17trampoline_kernelINS0_13select_configILj256ELj13ELNS0_17block_load_methodE3ELS4_3ELS4_3ELNS0_20block_scan_algorithmE0ELj4294967295EEENS1_25partition_config_selectorILNS1_17partition_subalgoE4EjNS0_10empty_typeEbEEZZNS1_14partition_implILS8_4ELb0ES6_15HIP_vector_typeIjLj2EENS0_17counting_iteratorIjlEEPS9_SG_NS0_5tupleIJPjSI_NS0_16reverse_iteratorISI_EEEEENSH_IJSG_SG_SG_EEES9_SI_JZNS1_25segmented_radix_sort_implINS0_14default_configELb0EPK12hip_bfloat16PSP_PKlPlN2at6native12_GLOBAL__N_18offset_tEEE10hipError_tPvRmT1_PNSt15iterator_traitsIS13_E10value_typeET2_T3_PNS14_IS19_E10value_typeET4_jRbjT5_S1F_jjP12ihipStream_tbEUljE_ZNSN_ISO_Lb0ESR_SS_SU_SV_SZ_EES10_S11_S12_S13_S17_S18_S19_S1C_S1D_jS1E_jS1F_S1F_jjS1H_bEUljE0_EEES10_S11_S12_S19_S1D_S1F_T6_T7_T9_mT8_S1H_bDpT10_ENKUlT_T0_E_clISt17integral_constantIbLb0EES1U_IbLb1EEEEDaS1Q_S1R_EUlS1Q_E_NS1_11comp_targetILNS1_3genE3ELNS1_11target_archE908ELNS1_3gpuE7ELNS1_3repE0EEENS1_30default_config_static_selectorELNS0_4arch9wavefront6targetE1EEEvS13_.num_named_barrier, 0
	.set _ZN7rocprim17ROCPRIM_400000_NS6detail17trampoline_kernelINS0_13select_configILj256ELj13ELNS0_17block_load_methodE3ELS4_3ELS4_3ELNS0_20block_scan_algorithmE0ELj4294967295EEENS1_25partition_config_selectorILNS1_17partition_subalgoE4EjNS0_10empty_typeEbEEZZNS1_14partition_implILS8_4ELb0ES6_15HIP_vector_typeIjLj2EENS0_17counting_iteratorIjlEEPS9_SG_NS0_5tupleIJPjSI_NS0_16reverse_iteratorISI_EEEEENSH_IJSG_SG_SG_EEES9_SI_JZNS1_25segmented_radix_sort_implINS0_14default_configELb0EPK12hip_bfloat16PSP_PKlPlN2at6native12_GLOBAL__N_18offset_tEEE10hipError_tPvRmT1_PNSt15iterator_traitsIS13_E10value_typeET2_T3_PNS14_IS19_E10value_typeET4_jRbjT5_S1F_jjP12ihipStream_tbEUljE_ZNSN_ISO_Lb0ESR_SS_SU_SV_SZ_EES10_S11_S12_S13_S17_S18_S19_S1C_S1D_jS1E_jS1F_S1F_jjS1H_bEUljE0_EEES10_S11_S12_S19_S1D_S1F_T6_T7_T9_mT8_S1H_bDpT10_ENKUlT_T0_E_clISt17integral_constantIbLb0EES1U_IbLb1EEEEDaS1Q_S1R_EUlS1Q_E_NS1_11comp_targetILNS1_3genE3ELNS1_11target_archE908ELNS1_3gpuE7ELNS1_3repE0EEENS1_30default_config_static_selectorELNS0_4arch9wavefront6targetE1EEEvS13_.private_seg_size, 0
	.set _ZN7rocprim17ROCPRIM_400000_NS6detail17trampoline_kernelINS0_13select_configILj256ELj13ELNS0_17block_load_methodE3ELS4_3ELS4_3ELNS0_20block_scan_algorithmE0ELj4294967295EEENS1_25partition_config_selectorILNS1_17partition_subalgoE4EjNS0_10empty_typeEbEEZZNS1_14partition_implILS8_4ELb0ES6_15HIP_vector_typeIjLj2EENS0_17counting_iteratorIjlEEPS9_SG_NS0_5tupleIJPjSI_NS0_16reverse_iteratorISI_EEEEENSH_IJSG_SG_SG_EEES9_SI_JZNS1_25segmented_radix_sort_implINS0_14default_configELb0EPK12hip_bfloat16PSP_PKlPlN2at6native12_GLOBAL__N_18offset_tEEE10hipError_tPvRmT1_PNSt15iterator_traitsIS13_E10value_typeET2_T3_PNS14_IS19_E10value_typeET4_jRbjT5_S1F_jjP12ihipStream_tbEUljE_ZNSN_ISO_Lb0ESR_SS_SU_SV_SZ_EES10_S11_S12_S13_S17_S18_S19_S1C_S1D_jS1E_jS1F_S1F_jjS1H_bEUljE0_EEES10_S11_S12_S19_S1D_S1F_T6_T7_T9_mT8_S1H_bDpT10_ENKUlT_T0_E_clISt17integral_constantIbLb0EES1U_IbLb1EEEEDaS1Q_S1R_EUlS1Q_E_NS1_11comp_targetILNS1_3genE3ELNS1_11target_archE908ELNS1_3gpuE7ELNS1_3repE0EEENS1_30default_config_static_selectorELNS0_4arch9wavefront6targetE1EEEvS13_.uses_vcc, 0
	.set _ZN7rocprim17ROCPRIM_400000_NS6detail17trampoline_kernelINS0_13select_configILj256ELj13ELNS0_17block_load_methodE3ELS4_3ELS4_3ELNS0_20block_scan_algorithmE0ELj4294967295EEENS1_25partition_config_selectorILNS1_17partition_subalgoE4EjNS0_10empty_typeEbEEZZNS1_14partition_implILS8_4ELb0ES6_15HIP_vector_typeIjLj2EENS0_17counting_iteratorIjlEEPS9_SG_NS0_5tupleIJPjSI_NS0_16reverse_iteratorISI_EEEEENSH_IJSG_SG_SG_EEES9_SI_JZNS1_25segmented_radix_sort_implINS0_14default_configELb0EPK12hip_bfloat16PSP_PKlPlN2at6native12_GLOBAL__N_18offset_tEEE10hipError_tPvRmT1_PNSt15iterator_traitsIS13_E10value_typeET2_T3_PNS14_IS19_E10value_typeET4_jRbjT5_S1F_jjP12ihipStream_tbEUljE_ZNSN_ISO_Lb0ESR_SS_SU_SV_SZ_EES10_S11_S12_S13_S17_S18_S19_S1C_S1D_jS1E_jS1F_S1F_jjS1H_bEUljE0_EEES10_S11_S12_S19_S1D_S1F_T6_T7_T9_mT8_S1H_bDpT10_ENKUlT_T0_E_clISt17integral_constantIbLb0EES1U_IbLb1EEEEDaS1Q_S1R_EUlS1Q_E_NS1_11comp_targetILNS1_3genE3ELNS1_11target_archE908ELNS1_3gpuE7ELNS1_3repE0EEENS1_30default_config_static_selectorELNS0_4arch9wavefront6targetE1EEEvS13_.uses_flat_scratch, 0
	.set _ZN7rocprim17ROCPRIM_400000_NS6detail17trampoline_kernelINS0_13select_configILj256ELj13ELNS0_17block_load_methodE3ELS4_3ELS4_3ELNS0_20block_scan_algorithmE0ELj4294967295EEENS1_25partition_config_selectorILNS1_17partition_subalgoE4EjNS0_10empty_typeEbEEZZNS1_14partition_implILS8_4ELb0ES6_15HIP_vector_typeIjLj2EENS0_17counting_iteratorIjlEEPS9_SG_NS0_5tupleIJPjSI_NS0_16reverse_iteratorISI_EEEEENSH_IJSG_SG_SG_EEES9_SI_JZNS1_25segmented_radix_sort_implINS0_14default_configELb0EPK12hip_bfloat16PSP_PKlPlN2at6native12_GLOBAL__N_18offset_tEEE10hipError_tPvRmT1_PNSt15iterator_traitsIS13_E10value_typeET2_T3_PNS14_IS19_E10value_typeET4_jRbjT5_S1F_jjP12ihipStream_tbEUljE_ZNSN_ISO_Lb0ESR_SS_SU_SV_SZ_EES10_S11_S12_S13_S17_S18_S19_S1C_S1D_jS1E_jS1F_S1F_jjS1H_bEUljE0_EEES10_S11_S12_S19_S1D_S1F_T6_T7_T9_mT8_S1H_bDpT10_ENKUlT_T0_E_clISt17integral_constantIbLb0EES1U_IbLb1EEEEDaS1Q_S1R_EUlS1Q_E_NS1_11comp_targetILNS1_3genE3ELNS1_11target_archE908ELNS1_3gpuE7ELNS1_3repE0EEENS1_30default_config_static_selectorELNS0_4arch9wavefront6targetE1EEEvS13_.has_dyn_sized_stack, 0
	.set _ZN7rocprim17ROCPRIM_400000_NS6detail17trampoline_kernelINS0_13select_configILj256ELj13ELNS0_17block_load_methodE3ELS4_3ELS4_3ELNS0_20block_scan_algorithmE0ELj4294967295EEENS1_25partition_config_selectorILNS1_17partition_subalgoE4EjNS0_10empty_typeEbEEZZNS1_14partition_implILS8_4ELb0ES6_15HIP_vector_typeIjLj2EENS0_17counting_iteratorIjlEEPS9_SG_NS0_5tupleIJPjSI_NS0_16reverse_iteratorISI_EEEEENSH_IJSG_SG_SG_EEES9_SI_JZNS1_25segmented_radix_sort_implINS0_14default_configELb0EPK12hip_bfloat16PSP_PKlPlN2at6native12_GLOBAL__N_18offset_tEEE10hipError_tPvRmT1_PNSt15iterator_traitsIS13_E10value_typeET2_T3_PNS14_IS19_E10value_typeET4_jRbjT5_S1F_jjP12ihipStream_tbEUljE_ZNSN_ISO_Lb0ESR_SS_SU_SV_SZ_EES10_S11_S12_S13_S17_S18_S19_S1C_S1D_jS1E_jS1F_S1F_jjS1H_bEUljE0_EEES10_S11_S12_S19_S1D_S1F_T6_T7_T9_mT8_S1H_bDpT10_ENKUlT_T0_E_clISt17integral_constantIbLb0EES1U_IbLb1EEEEDaS1Q_S1R_EUlS1Q_E_NS1_11comp_targetILNS1_3genE3ELNS1_11target_archE908ELNS1_3gpuE7ELNS1_3repE0EEENS1_30default_config_static_selectorELNS0_4arch9wavefront6targetE1EEEvS13_.has_recursion, 0
	.set _ZN7rocprim17ROCPRIM_400000_NS6detail17trampoline_kernelINS0_13select_configILj256ELj13ELNS0_17block_load_methodE3ELS4_3ELS4_3ELNS0_20block_scan_algorithmE0ELj4294967295EEENS1_25partition_config_selectorILNS1_17partition_subalgoE4EjNS0_10empty_typeEbEEZZNS1_14partition_implILS8_4ELb0ES6_15HIP_vector_typeIjLj2EENS0_17counting_iteratorIjlEEPS9_SG_NS0_5tupleIJPjSI_NS0_16reverse_iteratorISI_EEEEENSH_IJSG_SG_SG_EEES9_SI_JZNS1_25segmented_radix_sort_implINS0_14default_configELb0EPK12hip_bfloat16PSP_PKlPlN2at6native12_GLOBAL__N_18offset_tEEE10hipError_tPvRmT1_PNSt15iterator_traitsIS13_E10value_typeET2_T3_PNS14_IS19_E10value_typeET4_jRbjT5_S1F_jjP12ihipStream_tbEUljE_ZNSN_ISO_Lb0ESR_SS_SU_SV_SZ_EES10_S11_S12_S13_S17_S18_S19_S1C_S1D_jS1E_jS1F_S1F_jjS1H_bEUljE0_EEES10_S11_S12_S19_S1D_S1F_T6_T7_T9_mT8_S1H_bDpT10_ENKUlT_T0_E_clISt17integral_constantIbLb0EES1U_IbLb1EEEEDaS1Q_S1R_EUlS1Q_E_NS1_11comp_targetILNS1_3genE3ELNS1_11target_archE908ELNS1_3gpuE7ELNS1_3repE0EEENS1_30default_config_static_selectorELNS0_4arch9wavefront6targetE1EEEvS13_.has_indirect_call, 0
	.section	.AMDGPU.csdata,"",@progbits
; Kernel info:
; codeLenInByte = 0
; TotalNumSgprs: 4
; NumVgprs: 0
; ScratchSize: 0
; MemoryBound: 0
; FloatMode: 240
; IeeeMode: 1
; LDSByteSize: 0 bytes/workgroup (compile time only)
; SGPRBlocks: 0
; VGPRBlocks: 0
; NumSGPRsForWavesPerEU: 4
; NumVGPRsForWavesPerEU: 1
; Occupancy: 10
; WaveLimiterHint : 0
; COMPUTE_PGM_RSRC2:SCRATCH_EN: 0
; COMPUTE_PGM_RSRC2:USER_SGPR: 6
; COMPUTE_PGM_RSRC2:TRAP_HANDLER: 0
; COMPUTE_PGM_RSRC2:TGID_X_EN: 1
; COMPUTE_PGM_RSRC2:TGID_Y_EN: 0
; COMPUTE_PGM_RSRC2:TGID_Z_EN: 0
; COMPUTE_PGM_RSRC2:TIDIG_COMP_CNT: 0
	.section	.text._ZN7rocprim17ROCPRIM_400000_NS6detail17trampoline_kernelINS0_13select_configILj256ELj13ELNS0_17block_load_methodE3ELS4_3ELS4_3ELNS0_20block_scan_algorithmE0ELj4294967295EEENS1_25partition_config_selectorILNS1_17partition_subalgoE4EjNS0_10empty_typeEbEEZZNS1_14partition_implILS8_4ELb0ES6_15HIP_vector_typeIjLj2EENS0_17counting_iteratorIjlEEPS9_SG_NS0_5tupleIJPjSI_NS0_16reverse_iteratorISI_EEEEENSH_IJSG_SG_SG_EEES9_SI_JZNS1_25segmented_radix_sort_implINS0_14default_configELb0EPK12hip_bfloat16PSP_PKlPlN2at6native12_GLOBAL__N_18offset_tEEE10hipError_tPvRmT1_PNSt15iterator_traitsIS13_E10value_typeET2_T3_PNS14_IS19_E10value_typeET4_jRbjT5_S1F_jjP12ihipStream_tbEUljE_ZNSN_ISO_Lb0ESR_SS_SU_SV_SZ_EES10_S11_S12_S13_S17_S18_S19_S1C_S1D_jS1E_jS1F_S1F_jjS1H_bEUljE0_EEES10_S11_S12_S19_S1D_S1F_T6_T7_T9_mT8_S1H_bDpT10_ENKUlT_T0_E_clISt17integral_constantIbLb0EES1U_IbLb1EEEEDaS1Q_S1R_EUlS1Q_E_NS1_11comp_targetILNS1_3genE2ELNS1_11target_archE906ELNS1_3gpuE6ELNS1_3repE0EEENS1_30default_config_static_selectorELNS0_4arch9wavefront6targetE1EEEvS13_,"axG",@progbits,_ZN7rocprim17ROCPRIM_400000_NS6detail17trampoline_kernelINS0_13select_configILj256ELj13ELNS0_17block_load_methodE3ELS4_3ELS4_3ELNS0_20block_scan_algorithmE0ELj4294967295EEENS1_25partition_config_selectorILNS1_17partition_subalgoE4EjNS0_10empty_typeEbEEZZNS1_14partition_implILS8_4ELb0ES6_15HIP_vector_typeIjLj2EENS0_17counting_iteratorIjlEEPS9_SG_NS0_5tupleIJPjSI_NS0_16reverse_iteratorISI_EEEEENSH_IJSG_SG_SG_EEES9_SI_JZNS1_25segmented_radix_sort_implINS0_14default_configELb0EPK12hip_bfloat16PSP_PKlPlN2at6native12_GLOBAL__N_18offset_tEEE10hipError_tPvRmT1_PNSt15iterator_traitsIS13_E10value_typeET2_T3_PNS14_IS19_E10value_typeET4_jRbjT5_S1F_jjP12ihipStream_tbEUljE_ZNSN_ISO_Lb0ESR_SS_SU_SV_SZ_EES10_S11_S12_S13_S17_S18_S19_S1C_S1D_jS1E_jS1F_S1F_jjS1H_bEUljE0_EEES10_S11_S12_S19_S1D_S1F_T6_T7_T9_mT8_S1H_bDpT10_ENKUlT_T0_E_clISt17integral_constantIbLb0EES1U_IbLb1EEEEDaS1Q_S1R_EUlS1Q_E_NS1_11comp_targetILNS1_3genE2ELNS1_11target_archE906ELNS1_3gpuE6ELNS1_3repE0EEENS1_30default_config_static_selectorELNS0_4arch9wavefront6targetE1EEEvS13_,comdat
	.globl	_ZN7rocprim17ROCPRIM_400000_NS6detail17trampoline_kernelINS0_13select_configILj256ELj13ELNS0_17block_load_methodE3ELS4_3ELS4_3ELNS0_20block_scan_algorithmE0ELj4294967295EEENS1_25partition_config_selectorILNS1_17partition_subalgoE4EjNS0_10empty_typeEbEEZZNS1_14partition_implILS8_4ELb0ES6_15HIP_vector_typeIjLj2EENS0_17counting_iteratorIjlEEPS9_SG_NS0_5tupleIJPjSI_NS0_16reverse_iteratorISI_EEEEENSH_IJSG_SG_SG_EEES9_SI_JZNS1_25segmented_radix_sort_implINS0_14default_configELb0EPK12hip_bfloat16PSP_PKlPlN2at6native12_GLOBAL__N_18offset_tEEE10hipError_tPvRmT1_PNSt15iterator_traitsIS13_E10value_typeET2_T3_PNS14_IS19_E10value_typeET4_jRbjT5_S1F_jjP12ihipStream_tbEUljE_ZNSN_ISO_Lb0ESR_SS_SU_SV_SZ_EES10_S11_S12_S13_S17_S18_S19_S1C_S1D_jS1E_jS1F_S1F_jjS1H_bEUljE0_EEES10_S11_S12_S19_S1D_S1F_T6_T7_T9_mT8_S1H_bDpT10_ENKUlT_T0_E_clISt17integral_constantIbLb0EES1U_IbLb1EEEEDaS1Q_S1R_EUlS1Q_E_NS1_11comp_targetILNS1_3genE2ELNS1_11target_archE906ELNS1_3gpuE6ELNS1_3repE0EEENS1_30default_config_static_selectorELNS0_4arch9wavefront6targetE1EEEvS13_ ; -- Begin function _ZN7rocprim17ROCPRIM_400000_NS6detail17trampoline_kernelINS0_13select_configILj256ELj13ELNS0_17block_load_methodE3ELS4_3ELS4_3ELNS0_20block_scan_algorithmE0ELj4294967295EEENS1_25partition_config_selectorILNS1_17partition_subalgoE4EjNS0_10empty_typeEbEEZZNS1_14partition_implILS8_4ELb0ES6_15HIP_vector_typeIjLj2EENS0_17counting_iteratorIjlEEPS9_SG_NS0_5tupleIJPjSI_NS0_16reverse_iteratorISI_EEEEENSH_IJSG_SG_SG_EEES9_SI_JZNS1_25segmented_radix_sort_implINS0_14default_configELb0EPK12hip_bfloat16PSP_PKlPlN2at6native12_GLOBAL__N_18offset_tEEE10hipError_tPvRmT1_PNSt15iterator_traitsIS13_E10value_typeET2_T3_PNS14_IS19_E10value_typeET4_jRbjT5_S1F_jjP12ihipStream_tbEUljE_ZNSN_ISO_Lb0ESR_SS_SU_SV_SZ_EES10_S11_S12_S13_S17_S18_S19_S1C_S1D_jS1E_jS1F_S1F_jjS1H_bEUljE0_EEES10_S11_S12_S19_S1D_S1F_T6_T7_T9_mT8_S1H_bDpT10_ENKUlT_T0_E_clISt17integral_constantIbLb0EES1U_IbLb1EEEEDaS1Q_S1R_EUlS1Q_E_NS1_11comp_targetILNS1_3genE2ELNS1_11target_archE906ELNS1_3gpuE6ELNS1_3repE0EEENS1_30default_config_static_selectorELNS0_4arch9wavefront6targetE1EEEvS13_
	.p2align	8
	.type	_ZN7rocprim17ROCPRIM_400000_NS6detail17trampoline_kernelINS0_13select_configILj256ELj13ELNS0_17block_load_methodE3ELS4_3ELS4_3ELNS0_20block_scan_algorithmE0ELj4294967295EEENS1_25partition_config_selectorILNS1_17partition_subalgoE4EjNS0_10empty_typeEbEEZZNS1_14partition_implILS8_4ELb0ES6_15HIP_vector_typeIjLj2EENS0_17counting_iteratorIjlEEPS9_SG_NS0_5tupleIJPjSI_NS0_16reverse_iteratorISI_EEEEENSH_IJSG_SG_SG_EEES9_SI_JZNS1_25segmented_radix_sort_implINS0_14default_configELb0EPK12hip_bfloat16PSP_PKlPlN2at6native12_GLOBAL__N_18offset_tEEE10hipError_tPvRmT1_PNSt15iterator_traitsIS13_E10value_typeET2_T3_PNS14_IS19_E10value_typeET4_jRbjT5_S1F_jjP12ihipStream_tbEUljE_ZNSN_ISO_Lb0ESR_SS_SU_SV_SZ_EES10_S11_S12_S13_S17_S18_S19_S1C_S1D_jS1E_jS1F_S1F_jjS1H_bEUljE0_EEES10_S11_S12_S19_S1D_S1F_T6_T7_T9_mT8_S1H_bDpT10_ENKUlT_T0_E_clISt17integral_constantIbLb0EES1U_IbLb1EEEEDaS1Q_S1R_EUlS1Q_E_NS1_11comp_targetILNS1_3genE2ELNS1_11target_archE906ELNS1_3gpuE6ELNS1_3repE0EEENS1_30default_config_static_selectorELNS0_4arch9wavefront6targetE1EEEvS13_,@function
_ZN7rocprim17ROCPRIM_400000_NS6detail17trampoline_kernelINS0_13select_configILj256ELj13ELNS0_17block_load_methodE3ELS4_3ELS4_3ELNS0_20block_scan_algorithmE0ELj4294967295EEENS1_25partition_config_selectorILNS1_17partition_subalgoE4EjNS0_10empty_typeEbEEZZNS1_14partition_implILS8_4ELb0ES6_15HIP_vector_typeIjLj2EENS0_17counting_iteratorIjlEEPS9_SG_NS0_5tupleIJPjSI_NS0_16reverse_iteratorISI_EEEEENSH_IJSG_SG_SG_EEES9_SI_JZNS1_25segmented_radix_sort_implINS0_14default_configELb0EPK12hip_bfloat16PSP_PKlPlN2at6native12_GLOBAL__N_18offset_tEEE10hipError_tPvRmT1_PNSt15iterator_traitsIS13_E10value_typeET2_T3_PNS14_IS19_E10value_typeET4_jRbjT5_S1F_jjP12ihipStream_tbEUljE_ZNSN_ISO_Lb0ESR_SS_SU_SV_SZ_EES10_S11_S12_S13_S17_S18_S19_S1C_S1D_jS1E_jS1F_S1F_jjS1H_bEUljE0_EEES10_S11_S12_S19_S1D_S1F_T6_T7_T9_mT8_S1H_bDpT10_ENKUlT_T0_E_clISt17integral_constantIbLb0EES1U_IbLb1EEEEDaS1Q_S1R_EUlS1Q_E_NS1_11comp_targetILNS1_3genE2ELNS1_11target_archE906ELNS1_3gpuE6ELNS1_3repE0EEENS1_30default_config_static_selectorELNS0_4arch9wavefront6targetE1EEEvS13_: ; @_ZN7rocprim17ROCPRIM_400000_NS6detail17trampoline_kernelINS0_13select_configILj256ELj13ELNS0_17block_load_methodE3ELS4_3ELS4_3ELNS0_20block_scan_algorithmE0ELj4294967295EEENS1_25partition_config_selectorILNS1_17partition_subalgoE4EjNS0_10empty_typeEbEEZZNS1_14partition_implILS8_4ELb0ES6_15HIP_vector_typeIjLj2EENS0_17counting_iteratorIjlEEPS9_SG_NS0_5tupleIJPjSI_NS0_16reverse_iteratorISI_EEEEENSH_IJSG_SG_SG_EEES9_SI_JZNS1_25segmented_radix_sort_implINS0_14default_configELb0EPK12hip_bfloat16PSP_PKlPlN2at6native12_GLOBAL__N_18offset_tEEE10hipError_tPvRmT1_PNSt15iterator_traitsIS13_E10value_typeET2_T3_PNS14_IS19_E10value_typeET4_jRbjT5_S1F_jjP12ihipStream_tbEUljE_ZNSN_ISO_Lb0ESR_SS_SU_SV_SZ_EES10_S11_S12_S13_S17_S18_S19_S1C_S1D_jS1E_jS1F_S1F_jjS1H_bEUljE0_EEES10_S11_S12_S19_S1D_S1F_T6_T7_T9_mT8_S1H_bDpT10_ENKUlT_T0_E_clISt17integral_constantIbLb0EES1U_IbLb1EEEEDaS1Q_S1R_EUlS1Q_E_NS1_11comp_targetILNS1_3genE2ELNS1_11target_archE906ELNS1_3gpuE6ELNS1_3repE0EEENS1_30default_config_static_selectorELNS0_4arch9wavefront6targetE1EEEvS13_
; %bb.0:
	s_load_dwordx2 s[52:53], s[4:5], 0x10
	s_load_dwordx4 s[48:51], s[4:5], 0x28
	s_load_dwordx2 s[30:31], s[4:5], 0x38
	s_load_dwordx4 s[44:47], s[4:5], 0x58
	s_load_dwordx2 s[6:7], s[4:5], 0x68
	s_load_dwordx2 s[54:55], s[4:5], 0x78
	;; [unrolled: 1-line block ×3, first 2 shown]
	s_load_dwordx8 s[36:43], s[4:5], 0x90
	v_cmp_eq_u32_e64 s[0:1], 0, v0
	s_and_saveexec_b64 s[2:3], s[0:1]
	s_cbranch_execz .LBB2013_4
; %bb.1:
	s_mov_b64 s[10:11], exec
	v_mbcnt_lo_u32_b32 v1, s10, 0
	v_mbcnt_hi_u32_b32 v1, s11, v1
	v_cmp_eq_u32_e32 vcc, 0, v1
                                        ; implicit-def: $vgpr2
	s_and_saveexec_b64 s[8:9], vcc
	s_cbranch_execz .LBB2013_3
; %bb.2:
	s_load_dwordx2 s[12:13], s[4:5], 0x88
	s_bcnt1_i32_b64 s10, s[10:11]
	v_mov_b32_e32 v2, 0
	v_mov_b32_e32 v3, s10
	s_waitcnt lgkmcnt(0)
	global_atomic_add v2, v2, v3, s[12:13] glc
.LBB2013_3:
	s_or_b64 exec, exec, s[8:9]
	s_waitcnt vmcnt(0)
	v_readfirstlane_b32 s8, v2
	v_add_u32_e32 v1, s8, v1
	v_mov_b32_e32 v2, 0
	ds_write_b32 v2, v1
.LBB2013_4:
	s_or_b64 exec, exec, s[2:3]
	v_mov_b32_e32 v1, 0
	s_load_dword s2, s[4:5], 0x8
	s_load_dword s8, s[4:5], 0x80
	s_waitcnt lgkmcnt(0)
	s_barrier
	ds_read_b32 v7, v1
	s_waitcnt lgkmcnt(0)
	s_barrier
	global_load_dwordx4 v[1:4], v1, s[46:47]
	s_add_i32 s9, s2, s52
	s_movk_i32 s2, 0xd00
	s_add_i32 s4, s8, -1
	s_mulk_i32 s8, 0xd00
	v_mul_lo_u32 v33, v7, s2
	s_add_u32 s2, s52, s8
	s_addc_u32 s3, s53, 0
	v_mov_b32_e32 v6, s3
	v_mov_b32_e32 v5, s2
	v_readfirstlane_b32 s33, v7
	v_cmp_gt_u64_e32 vcc, s[6:7], v[5:6]
	s_cmp_eq_u32 s33, s4
	v_cmp_ne_u32_e64 s[2:3], s4, v7
	s_cselect_b64 s[34:35], -1, 0
	s_or_b64 s[4:5], vcc, s[2:3]
	v_add_u32_e32 v5, s9, v33
	s_mov_b64 s[2:3], -1
	s_and_b64 vcc, exec, s[4:5]
	v_add_u32_e32 v5, v5, v0
	s_cbranch_vccz .LBB2013_6
; %bb.5:
	v_add_u32_e32 v6, 0x100, v5
	v_lshlrev_b32_e32 v18, 2, v0
	v_add_u32_e32 v7, 0x200, v5
	v_add_u32_e32 v8, 0x300, v5
	;; [unrolled: 1-line block ×11, first 2 shown]
	ds_write2st64_b32 v18, v5, v6 offset1:4
	ds_write2st64_b32 v18, v7, v8 offset0:8 offset1:12
	ds_write2st64_b32 v18, v9, v10 offset0:16 offset1:20
	;; [unrolled: 1-line block ×5, first 2 shown]
	ds_write_b32 v18, v17 offset:12288
	s_waitcnt vmcnt(0) lgkmcnt(0)
	s_barrier
	s_mov_b64 s[2:3], 0
.LBB2013_6:
	s_andn2_b64 vcc, exec, s[2:3]
	s_add_i32 s8, s8, s52
	s_cbranch_vccnz .LBB2013_8
; %bb.7:
	v_add_u32_e32 v6, 0x100, v5
	v_lshlrev_b32_e32 v18, 2, v0
	v_add_u32_e32 v7, 0x200, v5
	v_add_u32_e32 v8, 0x300, v5
	v_add_u32_e32 v9, 0x400, v5
	v_add_u32_e32 v10, 0x500, v5
	v_add_u32_e32 v11, 0x600, v5
	v_add_u32_e32 v12, 0x700, v5
	v_add_u32_e32 v13, 0x800, v5
	v_add_u32_e32 v14, 0x900, v5
	v_add_u32_e32 v15, 0xa00, v5
	v_add_u32_e32 v16, 0xb00, v5
	v_add_u32_e32 v17, 0xc00, v5
	ds_write2st64_b32 v18, v5, v6 offset1:4
	ds_write2st64_b32 v18, v7, v8 offset0:8 offset1:12
	ds_write2st64_b32 v18, v9, v10 offset0:16 offset1:20
	;; [unrolled: 1-line block ×5, first 2 shown]
	ds_write_b32 v18, v17 offset:12288
	s_waitcnt vmcnt(0) lgkmcnt(0)
	s_barrier
.LBB2013_8:
	v_mul_u32_u24_e32 v35, 13, v0
	v_lshlrev_b32_e32 v5, 2, v35
	ds_read_b32 v34, v5 offset:48
	ds_read2_b32 v[13:14], v5 offset0:10 offset1:11
	ds_read2_b32 v[15:16], v5 offset0:8 offset1:9
	;; [unrolled: 1-line block ×4, first 2 shown]
	ds_read2_b32 v[23:24], v5 offset1:1
	ds_read2_b32 v[21:22], v5 offset0:2 offset1:3
	v_cndmask_b32_e64 v5, 0, 1, s[4:5]
	s_sub_i32 s86, s6, s8
	v_cmp_ne_u32_e64 s[2:3], 1, v5
	s_andn2_b64 vcc, exec, s[4:5]
	s_waitcnt vmcnt(0) lgkmcnt(0)
	s_barrier
	s_cbranch_vccnz .LBB2013_36
; %bb.9:
	v_add_u32_e32 v5, s37, v23
	v_add_u32_e32 v6, s39, v23
	v_mul_lo_u32 v5, v5, s36
	v_mul_lo_u32 v6, v6, s38
	s_mov_b64 s[58:59], 0
	s_mov_b64 s[46:47], 0
	v_sub_u32_e32 v5, v5, v6
	v_cmp_lt_u32_e32 vcc, s40, v5
	v_cmp_ge_u32_e64 s[4:5], s40, v5
	s_and_saveexec_b64 s[6:7], s[4:5]
	s_cbranch_execz .LBB2013_11
; %bb.10:
	v_add_u32_e32 v5, s42, v23
	v_add_u32_e32 v6, s56, v23
	v_mul_lo_u32 v5, v5, s41
	v_mul_lo_u32 v6, v6, s43
	v_sub_u32_e32 v5, v5, v6
	v_cmp_lt_u32_e64 s[4:5], s57, v5
	s_and_b64 s[46:47], s[4:5], exec
.LBB2013_11:
	s_or_b64 exec, exec, s[6:7]
	v_add_u32_e32 v5, s37, v24
	v_add_u32_e32 v6, s39, v24
	v_mul_lo_u32 v5, v5, s36
	v_mul_lo_u32 v6, v6, s38
	v_sub_u32_e32 v5, v5, v6
	v_cmp_lt_u32_e64 s[4:5], s40, v5
	v_cmp_ge_u32_e64 s[6:7], s40, v5
	s_and_saveexec_b64 s[8:9], s[6:7]
	s_cbranch_execz .LBB2013_13
; %bb.12:
	v_add_u32_e32 v5, s42, v24
	v_add_u32_e32 v6, s56, v24
	v_mul_lo_u32 v5, v5, s41
	v_mul_lo_u32 v6, v6, s43
	v_sub_u32_e32 v5, v5, v6
	v_cmp_lt_u32_e64 s[6:7], s57, v5
	s_and_b64 s[58:59], s[6:7], exec
.LBB2013_13:
	s_or_b64 exec, exec, s[8:9]
	v_add_u32_e32 v5, s37, v21
	v_add_u32_e32 v6, s39, v21
	v_mul_lo_u32 v5, v5, s36
	v_mul_lo_u32 v6, v6, s38
	s_mov_b64 s[62:63], 0
	s_mov_b64 s[60:61], 0
	v_sub_u32_e32 v5, v5, v6
	v_cmp_lt_u32_e64 s[6:7], s40, v5
	v_cmp_ge_u32_e64 s[8:9], s40, v5
	s_and_saveexec_b64 s[10:11], s[8:9]
	s_cbranch_execz .LBB2013_15
; %bb.14:
	v_add_u32_e32 v5, s42, v21
	v_add_u32_e32 v6, s56, v21
	v_mul_lo_u32 v5, v5, s41
	v_mul_lo_u32 v6, v6, s43
	v_sub_u32_e32 v5, v5, v6
	v_cmp_lt_u32_e64 s[8:9], s57, v5
	s_and_b64 s[60:61], s[8:9], exec
.LBB2013_15:
	s_or_b64 exec, exec, s[10:11]
	v_add_u32_e32 v5, s37, v22
	v_add_u32_e32 v6, s39, v22
	v_mul_lo_u32 v5, v5, s36
	v_mul_lo_u32 v6, v6, s38
	v_sub_u32_e32 v5, v5, v6
	v_cmp_lt_u32_e64 s[8:9], s40, v5
	v_cmp_ge_u32_e64 s[10:11], s40, v5
	s_and_saveexec_b64 s[12:13], s[10:11]
	s_cbranch_execz .LBB2013_17
; %bb.16:
	v_add_u32_e32 v5, s42, v22
	v_add_u32_e32 v6, s56, v22
	v_mul_lo_u32 v5, v5, s41
	v_mul_lo_u32 v6, v6, s43
	v_sub_u32_e32 v5, v5, v6
	v_cmp_lt_u32_e64 s[10:11], s57, v5
	s_and_b64 s[62:63], s[10:11], exec
.LBB2013_17:
	s_or_b64 exec, exec, s[12:13]
	v_add_u32_e32 v5, s37, v19
	v_add_u32_e32 v6, s39, v19
	v_mul_lo_u32 v5, v5, s36
	v_mul_lo_u32 v6, v6, s38
	s_mov_b64 s[66:67], 0
	s_mov_b64 s[64:65], 0
	v_sub_u32_e32 v5, v5, v6
	v_cmp_lt_u32_e64 s[10:11], s40, v5
	;; [unrolled: 40-line block ×6, first 2 shown]
	v_cmp_ge_u32_e64 s[28:29], s40, v5
	s_and_saveexec_b64 s[84:85], s[28:29]
	s_cbranch_execz .LBB2013_35
; %bb.34:
	v_add_u32_e32 v5, s42, v34
	v_add_u32_e32 v6, s56, v34
	v_mul_lo_u32 v5, v5, s41
	v_mul_lo_u32 v6, v6, s43
	v_sub_u32_e32 v5, v5, v6
	v_cmp_lt_u32_e64 s[28:29], s57, v5
	s_and_b64 s[82:83], s[28:29], exec
.LBB2013_35:
	s_or_b64 exec, exec, s[84:85]
	v_cndmask_b32_e64 v6, 0, 1, s[4:5]
	v_cndmask_b32_e64 v5, 0, 1, vcc
	v_cndmask_b32_e64 v8, 0, 1, s[8:9]
	v_lshlrev_b16_e32 v6, 8, v6
	v_cndmask_b32_e64 v7, 0, 1, s[6:7]
	v_or_b32_e32 v5, v5, v6
	v_lshlrev_b16_e32 v6, 8, v8
	v_cndmask_b32_e64 v10, 0, 1, s[12:13]
	v_cndmask_b32_e64 v12, 0, 1, s[16:17]
	v_or_b32_sdwa v6, v7, v6 dst_sel:WORD_1 dst_unused:UNUSED_PAD src0_sel:DWORD src1_sel:DWORD
	v_cndmask_b32_e64 v9, 0, 1, s[10:11]
	v_cndmask_b32_e64 v11, 0, 1, s[14:15]
	v_or_b32_sdwa v36, v5, v6 dst_sel:DWORD dst_unused:UNUSED_PAD src0_sel:WORD_0 src1_sel:DWORD
	v_lshlrev_b16_e32 v5, 8, v10
	v_lshlrev_b16_e32 v6, 8, v12
	v_cndmask_b32_e64 v26, 0, 1, s[20:21]
	v_cndmask_b32_e64 v29, 0, 1, s[24:25]
	v_or_b32_e32 v5, v9, v5
	v_or_b32_sdwa v6, v11, v6 dst_sel:WORD_1 dst_unused:UNUSED_PAD src0_sel:DWORD src1_sel:DWORD
	v_cndmask_b32_e64 v25, 0, 1, s[18:19]
	v_cndmask_b32_e64 v27, 0, 1, s[22:23]
	v_or_b32_sdwa v38, v5, v6 dst_sel:DWORD dst_unused:UNUSED_PAD src0_sel:WORD_0 src1_sel:DWORD
	v_lshlrev_b16_e32 v5, 8, v26
	v_lshlrev_b16_e32 v6, 8, v29
	v_cndmask_b32_e64 v42, 0, 1, s[60:61]
	v_cndmask_b32_e64 v47, 0, 1, s[46:47]
	v_or_b32_e32 v5, v25, v5
	;; [unrolled: 9-line block ×4, first 2 shown]
	v_or_b32_sdwa v6, v39, v6 dst_sel:WORD_1 dst_unused:UNUSED_PAD src0_sel:DWORD src1_sel:DWORD
	v_cndmask_b32_e64 v30, 0, 1, s[74:75]
	v_cndmask_b32_e64 v32, 0, 1, s[70:71]
	v_or_b32_sdwa v37, v5, v6 dst_sel:DWORD dst_unused:UNUSED_PAD src0_sel:WORD_0 src1_sel:DWORD
	v_lshlrev_b16_e32 v5, 8, v31
	v_lshlrev_b16_e32 v6, 8, v28
	v_or_b32_e32 v5, v32, v5
	v_or_b32_sdwa v6, v30, v6 dst_sel:WORD_1 dst_unused:UNUSED_PAD src0_sel:DWORD src1_sel:DWORD
	v_cndmask_b32_e64 v40, 0, 1, s[78:79]
	v_cndmask_b32_e64 v43, 0, 1, s[82:83]
	v_or_b32_sdwa v39, v5, v6 dst_sel:DWORD dst_unused:UNUSED_PAD src0_sel:WORD_0 src1_sel:DWORD
	s_add_i32 s16, s86, 0xd00
	s_and_b64 vcc, exec, s[76:77]
	s_cbranch_vccnz .LBB2013_37
	s_branch .LBB2013_114
.LBB2013_36:
                                        ; implicit-def: $vgpr43
                                        ; implicit-def: $vgpr40
                                        ; implicit-def: $vgpr39
                                        ; implicit-def: $vgpr37
                                        ; implicit-def: $vgpr42
                                        ; implicit-def: $vgpr41
                                        ; implicit-def: $vgpr38
                                        ; implicit-def: $vgpr36
	s_add_i32 s16, s86, 0xd00
	s_cbranch_execz .LBB2013_114
.LBB2013_37:
	v_cmp_gt_u32_e32 vcc, s16, v35
	v_mov_b32_e32 v6, 0
	v_mov_b32_e32 v5, 0
	s_and_saveexec_b64 s[6:7], vcc
	s_cbranch_execz .LBB2013_41
; %bb.38:
	v_add_u32_e32 v5, s37, v23
	v_add_u32_e32 v6, s39, v23
	v_mul_lo_u32 v5, v5, s36
	v_mul_lo_u32 v6, v6, s38
	s_mov_b64 s[10:11], 0
	v_sub_u32_e32 v5, v5, v6
	v_cmp_lt_u32_e32 vcc, s40, v5
	v_cmp_ge_u32_e64 s[4:5], s40, v5
	s_and_saveexec_b64 s[8:9], s[4:5]
	s_cbranch_execz .LBB2013_40
; %bb.39:
	v_add_u32_e32 v5, s42, v23
	v_add_u32_e32 v6, s56, v23
	v_mul_lo_u32 v5, v5, s41
	v_mul_lo_u32 v6, v6, s43
	v_sub_u32_e32 v5, v5, v6
	v_cmp_lt_u32_e64 s[4:5], s57, v5
	s_and_b64 s[10:11], s[4:5], exec
.LBB2013_40:
	s_or_b64 exec, exec, s[8:9]
	v_cndmask_b32_e64 v6, 0, 1, s[10:11]
	v_cndmask_b32_e64 v5, 0, 1, vcc
.LBB2013_41:
	s_or_b64 exec, exec, s[6:7]
	v_lshlrev_b16_e32 v11, 8, v6
	v_add_u32_e32 v6, 1, v35
	v_cmp_le_u32_e32 vcc, s16, v6
	v_lshlrev_b16_e64 v8, 8, 0
                                        ; implicit-def: $vgpr7
                                        ; implicit-def: $vgpr9
                                        ; implicit-def: $vgpr10
                                        ; implicit-def: $vgpr6
                                        ; implicit-def: $vgpr12
	s_and_saveexec_b64 s[4:5], vcc
	s_xor_b64 s[4:5], exec, s[4:5]
; %bb.42:
	v_mov_b32_e32 v6, 8
	v_lshrrev_b32_sdwa v7, v6, v11 dst_sel:BYTE_1 dst_unused:UNUSED_PAD src0_sel:DWORD src1_sel:DWORD
	v_and_b32_e32 v12, 0xff, v5
	v_or_b32_sdwa v5, v11, v7 dst_sel:DWORD dst_unused:UNUSED_PAD src0_sel:BYTE_0 src1_sel:DWORD
	v_mov_b32_e32 v9, 0
	v_lshlrev_b16_e64 v8, 8, 0
	v_lshlrev_b16_e64 v6, 8, 0
	v_and_b32_e32 v10, 0xffff, v5
	v_lshlrev_b16_e64 v7, 8, 0
                                        ; implicit-def: $vgpr5
                                        ; implicit-def: $vgpr11
; %bb.43:
	s_andn2_saveexec_b64 s[6:7], s[4:5]
	s_cbranch_execz .LBB2013_47
; %bb.44:
	v_add_u32_e32 v6, s37, v24
	v_add_u32_e32 v7, s39, v24
	v_mul_lo_u32 v6, v6, s36
	v_mul_lo_u32 v7, v7, s38
	s_mov_b64 s[8:9], 0
	v_sub_u32_e32 v6, v6, v7
	v_cmp_lt_u32_e32 vcc, s40, v6
	v_cmp_ge_u32_e64 s[4:5], s40, v6
	s_and_saveexec_b64 s[10:11], s[4:5]
	s_cbranch_execz .LBB2013_46
; %bb.45:
	v_add_u32_e32 v6, s42, v24
	v_add_u32_e32 v7, s56, v24
	v_mul_lo_u32 v6, v6, s41
	v_mul_lo_u32 v7, v7, s43
	v_sub_u32_e32 v6, v6, v7
	v_cmp_lt_u32_e64 s[4:5], s57, v6
	s_and_b64 s[8:9], s[4:5], exec
.LBB2013_46:
	s_or_b64 exec, exec, s[10:11]
	v_cndmask_b32_e64 v7, 0, 1, vcc
	v_lshlrev_b16_e32 v7, 8, v7
	v_or_b32_sdwa v5, v5, v7 dst_sel:DWORD dst_unused:UNUSED_PAD src0_sel:BYTE_0 src1_sel:DWORD
	v_and_b32_e32 v12, 0xffff, v5
	v_mov_b32_e32 v5, 8
	v_lshrrev_b32_sdwa v5, v5, v11 dst_sel:BYTE_1 dst_unused:UNUSED_PAD src0_sel:DWORD src1_sel:DWORD
	v_or_b32_sdwa v5, v11, v5 dst_sel:DWORD dst_unused:UNUSED_PAD src0_sel:BYTE_0 src1_sel:DWORD
	v_and_b32_e32 v5, 0xffff, v5
	v_cndmask_b32_e64 v7, 0, 1, s[8:9]
	v_mov_b32_e32 v6, 0
	v_mov_b32_e32 v9, 0
	v_lshl_or_b32 v10, v7, 16, v5
	v_lshlrev_b16_e64 v7, 8, 0
.LBB2013_47:
	s_or_b64 exec, exec, s[6:7]
	v_add_u32_e32 v5, 2, v35
	v_cmp_le_u32_e32 vcc, s16, v5
	v_lshrrev_b32_e32 v25, 24, v12
                                        ; implicit-def: $vgpr5
                                        ; implicit-def: $vgpr11
	s_and_saveexec_b64 s[4:5], vcc
	s_xor_b64 s[4:5], exec, s[4:5]
	s_cbranch_execz .LBB2013_49
; %bb.48:
	s_mov_b32 s6, 0x40c0100
	v_perm_b32 v11, v25, v12, s6
	v_mov_b32_e32 v12, 8
	v_lshrrev_b32_sdwa v12, v12, v11 dst_sel:BYTE_1 dst_unused:UNUSED_PAD src0_sel:DWORD src1_sel:DWORD
	v_or_b32_sdwa v12, v11, v12 dst_sel:DWORD dst_unused:UNUSED_PAD src0_sel:BYTE_0 src1_sel:DWORD
	v_and_b32_e32 v12, 0xffff, v12
	s_mov_b32 s6, 0xff000000
	v_and_or_b32 v11, v11, s6, v12
	s_mov_b32 s6, 0x3060504
	v_and_b32_e32 v5, 0xff0000, v10
	v_perm_b32 v8, v8, v8, s6
	s_mov_b32 s6, 0x3020504
	v_perm_b32 v5, v10, v5, s6
                                        ; implicit-def: $vgpr12
                                        ; implicit-def: $vgpr25
                                        ; implicit-def: $vgpr10
.LBB2013_49:
	s_andn2_saveexec_b64 s[6:7], s[4:5]
	s_cbranch_execz .LBB2013_53
; %bb.50:
	v_add_u32_e32 v5, s37, v21
	v_add_u32_e32 v11, s39, v21
	v_mul_lo_u32 v5, v5, s36
	v_mul_lo_u32 v11, v11, s38
	s_mov_b64 s[8:9], 0
	v_sub_u32_e32 v5, v5, v11
	v_cmp_lt_u32_e32 vcc, s40, v5
	v_cmp_ge_u32_e64 s[4:5], s40, v5
	s_and_saveexec_b64 s[10:11], s[4:5]
	s_cbranch_execz .LBB2013_52
; %bb.51:
	v_add_u32_e32 v5, s42, v21
	v_add_u32_e32 v11, s56, v21
	v_mul_lo_u32 v5, v5, s41
	v_mul_lo_u32 v11, v11, s43
	v_sub_u32_e32 v5, v5, v11
	v_cmp_lt_u32_e64 s[4:5], s57, v5
	s_and_b64 s[8:9], s[4:5], exec
.LBB2013_52:
	s_or_b64 exec, exec, s[10:11]
	v_mov_b32_e32 v27, 8
	v_lshrrev_b32_sdwa v11, v27, v12 dst_sel:BYTE_1 dst_unused:UNUSED_PAD src0_sel:DWORD src1_sel:DWORD
	v_cndmask_b32_e64 v5, 0, 1, vcc
	v_or_b32_sdwa v11, v12, v11 dst_sel:DWORD dst_unused:UNUSED_PAD src0_sel:BYTE_0 src1_sel:DWORD
	v_lshlrev_b16_e32 v12, 8, v25
	v_or_b32_sdwa v5, v5, v12 dst_sel:WORD_1 dst_unused:UNUSED_PAD src0_sel:DWORD src1_sel:DWORD
	v_cndmask_b32_e64 v26, 0, 1, s[8:9]
	s_movk_i32 s4, 0xff
	v_or_b32_sdwa v11, v11, v5 dst_sel:DWORD dst_unused:UNUSED_PAD src0_sel:WORD_0 src1_sel:DWORD
	v_lshrrev_b32_sdwa v5, v27, v10 dst_sel:BYTE_1 dst_unused:UNUSED_PAD src0_sel:DWORD src1_sel:DWORD
	v_or_b32_sdwa v5, v10, v5 dst_sel:DWORD dst_unused:UNUSED_PAD src0_sel:BYTE_0 src1_sel:DWORD
	v_lshlrev_b16_e32 v12, 8, v26
	v_and_b32_sdwa v10, v10, s4 dst_sel:DWORD dst_unused:UNUSED_PAD src0_sel:WORD_1 src1_sel:DWORD
	v_or_b32_sdwa v10, v10, v12 dst_sel:WORD_1 dst_unused:UNUSED_PAD src0_sel:DWORD src1_sel:DWORD
	v_or_b32_sdwa v5, v5, v10 dst_sel:DWORD dst_unused:UNUSED_PAD src0_sel:WORD_0 src1_sel:DWORD
.LBB2013_53:
	s_or_b64 exec, exec, s[6:7]
	v_add_u32_e32 v10, 3, v35
	v_cmp_le_u32_e32 vcc, s16, v10
	v_lshrrev_b32_e32 v12, 24, v9
                                        ; implicit-def: $vgpr10
                                        ; implicit-def: $vgpr36
	s_and_saveexec_b64 s[4:5], vcc
	s_xor_b64 s[4:5], exec, s[4:5]
	s_cbranch_execz .LBB2013_55
; %bb.54:
	v_and_b32_e32 v10, 0xff0000, v11
	s_mov_b32 s6, 0x3020504
	s_movk_i32 s7, 0xff
	v_perm_b32 v36, v11, v10, s6
	v_lshlrev_b16_e32 v10, 8, v12
	v_and_b32_sdwa v11, v9, s7 dst_sel:DWORD dst_unused:UNUSED_PAD src0_sel:WORD_1 src1_sel:DWORD
	s_mov_b32 s6, 0x3060504
	v_or_b32_sdwa v10, v11, v10 dst_sel:WORD_1 dst_unused:UNUSED_PAD src0_sel:DWORD src1_sel:DWORD
	v_mov_b32_e32 v11, 8
	v_perm_b32 v8, v8, v8, s6
	v_lshrrev_b32_sdwa v10, v11, v9 dst_sel:BYTE_1 dst_unused:UNUSED_PRESERVE src0_sel:DWORD src1_sel:DWORD
	v_perm_b32 v7, v7, v7, s6
                                        ; implicit-def: $vgpr11
                                        ; implicit-def: $vgpr12
                                        ; implicit-def: $vgpr9
.LBB2013_55:
	s_andn2_saveexec_b64 s[6:7], s[4:5]
	s_cbranch_execz .LBB2013_59
; %bb.56:
	v_add_u32_e32 v10, s37, v22
	v_add_u32_e32 v25, s39, v22
	v_mul_lo_u32 v10, v10, s36
	v_mul_lo_u32 v25, v25, s38
	s_mov_b64 s[8:9], 0
	v_sub_u32_e32 v10, v10, v25
	v_cmp_lt_u32_e32 vcc, s40, v10
	v_cmp_ge_u32_e64 s[4:5], s40, v10
	s_and_saveexec_b64 s[10:11], s[4:5]
	s_cbranch_execz .LBB2013_58
; %bb.57:
	v_add_u32_e32 v10, s42, v22
	v_add_u32_e32 v25, s56, v22
	v_mul_lo_u32 v10, v10, s41
	v_mul_lo_u32 v25, v25, s43
	v_sub_u32_e32 v10, v10, v25
	v_cmp_lt_u32_e64 s[4:5], s57, v10
	s_and_b64 s[8:9], s[4:5], exec
.LBB2013_58:
	s_or_b64 exec, exec, s[10:11]
	v_mov_b32_e32 v26, 8
	v_cndmask_b32_e64 v10, 0, 1, vcc
	s_movk_i32 s4, 0xff
	v_lshrrev_b32_sdwa v27, v26, v11 dst_sel:BYTE_1 dst_unused:UNUSED_PAD src0_sel:DWORD src1_sel:DWORD
	v_or_b32_sdwa v27, v11, v27 dst_sel:DWORD dst_unused:UNUSED_PAD src0_sel:BYTE_0 src1_sel:DWORD
	v_lshlrev_b16_e32 v10, 8, v10
	v_and_b32_sdwa v11, v11, s4 dst_sel:DWORD dst_unused:UNUSED_PAD src0_sel:WORD_1 src1_sel:DWORD
	v_or_b32_sdwa v10, v11, v10 dst_sel:WORD_1 dst_unused:UNUSED_PAD src0_sel:DWORD src1_sel:DWORD
	v_cndmask_b32_e64 v25, 0, 1, s[8:9]
	v_or_b32_sdwa v36, v27, v10 dst_sel:DWORD dst_unused:UNUSED_PAD src0_sel:WORD_0 src1_sel:DWORD
	v_lshlrev_b16_e32 v10, 8, v12
	v_and_b32_sdwa v11, v9, s4 dst_sel:DWORD dst_unused:UNUSED_PAD src0_sel:WORD_1 src1_sel:DWORD
	v_lshrrev_b32_sdwa v9, v26, v9 dst_sel:BYTE_1 dst_unused:UNUSED_PAD src0_sel:DWORD src1_sel:DWORD
	v_or_b32_sdwa v10, v11, v10 dst_sel:WORD_1 dst_unused:UNUSED_PAD src0_sel:DWORD src1_sel:DWORD
	v_or_b32_e32 v9, v25, v9
	v_or_b32_sdwa v10, v9, v10 dst_sel:DWORD dst_unused:UNUSED_PAD src0_sel:WORD_0 src1_sel:DWORD
.LBB2013_59:
	s_or_b64 exec, exec, s[6:7]
	v_add_u32_e32 v9, 4, v35
	v_cmp_le_u32_e32 vcc, s16, v9
	v_lshrrev_b32_e32 v25, 24, v8
	v_lshrrev_b32_e32 v12, 24, v10
                                        ; implicit-def: $vgpr11
                                        ; implicit-def: $vgpr9
	s_and_saveexec_b64 s[4:5], vcc
	s_xor_b64 s[4:5], exec, s[4:5]
	s_cbranch_execz .LBB2013_61
; %bb.60:
	s_movk_i32 s6, 0xff
	v_lshlrev_b16_e32 v9, 8, v25
	v_and_b32_sdwa v25, v8, s6 dst_sel:DWORD dst_unused:UNUSED_PAD src0_sel:WORD_1 src1_sel:DWORD
	v_mov_b32_e32 v11, 8
	v_or_b32_sdwa v9, v25, v9 dst_sel:WORD_1 dst_unused:UNUSED_PAD src0_sel:DWORD src1_sel:DWORD
	v_lshrrev_b32_sdwa v9, v11, v8 dst_sel:BYTE_1 dst_unused:UNUSED_PRESERVE src0_sel:DWORD src1_sel:DWORD
	v_lshlrev_b16_e32 v8, 8, v12
	v_and_b32_sdwa v11, v10, s6 dst_sel:DWORD dst_unused:UNUSED_PAD src0_sel:WORD_1 src1_sel:DWORD
	v_or_b32_e32 v8, v11, v8
	s_mov_b32 s6, 0x5040c00
	v_perm_b32 v11, v8, v10, s6
	s_mov_b32 s6, 0x3060504
	v_perm_b32 v7, v7, v7, s6
                                        ; implicit-def: $vgpr25
                                        ; implicit-def: $vgpr8
                                        ; implicit-def: $vgpr10
                                        ; implicit-def: $vgpr12
.LBB2013_61:
	s_andn2_saveexec_b64 s[6:7], s[4:5]
	s_cbranch_execz .LBB2013_65
; %bb.62:
	v_add_u32_e32 v9, s37, v19
	v_add_u32_e32 v11, s39, v19
	v_mul_lo_u32 v9, v9, s36
	v_mul_lo_u32 v11, v11, s38
	s_mov_b64 s[8:9], 0
	v_sub_u32_e32 v9, v9, v11
	v_cmp_lt_u32_e32 vcc, s40, v9
	v_cmp_ge_u32_e64 s[4:5], s40, v9
	s_and_saveexec_b64 s[10:11], s[4:5]
	s_cbranch_execz .LBB2013_64
; %bb.63:
	v_add_u32_e32 v9, s42, v19
	v_add_u32_e32 v11, s56, v19
	v_mul_lo_u32 v9, v9, s41
	v_mul_lo_u32 v11, v11, s43
	v_sub_u32_e32 v9, v9, v11
	v_cmp_lt_u32_e64 s[4:5], s57, v9
	s_and_b64 s[8:9], s[4:5], exec
.LBB2013_64:
	s_or_b64 exec, exec, s[10:11]
	s_movk_i32 s4, 0xff
	v_lshlrev_b16_e32 v25, 8, v25
	v_and_b32_sdwa v26, v8, s4 dst_sel:DWORD dst_unused:UNUSED_PAD src0_sel:WORD_1 src1_sel:DWORD
	v_or_b32_sdwa v25, v26, v25 dst_sel:WORD_1 dst_unused:UNUSED_PAD src0_sel:DWORD src1_sel:DWORD
	v_mov_b32_e32 v26, 8
	v_cndmask_b32_e64 v9, 0, 1, vcc
	v_lshrrev_b32_sdwa v8, v26, v8 dst_sel:BYTE_1 dst_unused:UNUSED_PAD src0_sel:DWORD src1_sel:DWORD
	v_cndmask_b32_e64 v11, 0, 1, s[8:9]
	v_or_b32_e32 v8, v9, v8
	v_or_b32_sdwa v9, v8, v25 dst_sel:DWORD dst_unused:UNUSED_PAD src0_sel:WORD_0 src1_sel:DWORD
	v_lshlrev_b16_e32 v8, 8, v11
	v_or_b32_sdwa v8, v10, v8 dst_sel:DWORD dst_unused:UNUSED_PAD src0_sel:BYTE_0 src1_sel:DWORD
	v_lshlrev_b16_e32 v11, 8, v12
	v_and_b32_sdwa v10, v10, s4 dst_sel:DWORD dst_unused:UNUSED_PAD src0_sel:WORD_1 src1_sel:DWORD
	v_or_b32_sdwa v10, v10, v11 dst_sel:WORD_1 dst_unused:UNUSED_PAD src0_sel:DWORD src1_sel:DWORD
	v_or_b32_sdwa v11, v8, v10 dst_sel:DWORD dst_unused:UNUSED_PAD src0_sel:WORD_0 src1_sel:DWORD
.LBB2013_65:
	s_or_b64 exec, exec, s[6:7]
	v_add_u32_e32 v8, 5, v35
	v_cmp_le_u32_e32 vcc, s16, v8
	v_lshrrev_b32_e32 v12, 24, v11
	v_lshrrev_b32_e32 v25, 24, v9
                                        ; implicit-def: $vgpr8
                                        ; implicit-def: $vgpr10
	s_and_saveexec_b64 s[4:5], vcc
	s_xor_b64 s[4:5], exec, s[4:5]
	s_cbranch_execz .LBB2013_67
; %bb.66:
	s_mov_b32 s6, 0x40c0100
	v_perm_b32 v8, v12, v11, s6
	s_movk_i32 s6, 0xff
	v_lshlrev_b16_e32 v10, 8, v25
	v_and_b32_sdwa v11, v9, s6 dst_sel:DWORD dst_unused:UNUSED_PAD src0_sel:WORD_1 src1_sel:DWORD
	v_or_b32_e32 v10, v11, v10
	s_mov_b32 s6, 0x5040c00
	v_perm_b32 v10, v10, v9, s6
	v_mov_b32_e32 v9, 8
	v_lshrrev_b32_sdwa v9, v9, v8 dst_sel:BYTE_1 dst_unused:UNUSED_PAD src0_sel:DWORD src1_sel:DWORD
	v_or_b32_sdwa v9, v8, v9 dst_sel:DWORD dst_unused:UNUSED_PAD src0_sel:BYTE_0 src1_sel:DWORD
	v_and_b32_e32 v9, 0xffff, v9
	s_mov_b32 s6, 0xff000000
	v_and_or_b32 v8, v8, s6, v9
	s_mov_b32 s6, 0x3060504
	v_perm_b32 v7, v7, v7, s6
                                        ; implicit-def: $vgpr9
                                        ; implicit-def: $vgpr25
                                        ; implicit-def: $vgpr11
                                        ; implicit-def: $vgpr12
.LBB2013_67:
	s_andn2_saveexec_b64 s[6:7], s[4:5]
	s_cbranch_execz .LBB2013_71
; %bb.68:
	v_add_u32_e32 v8, s37, v20
	v_add_u32_e32 v10, s39, v20
	v_mul_lo_u32 v8, v8, s36
	v_mul_lo_u32 v10, v10, s38
	s_mov_b64 s[8:9], 0
	v_sub_u32_e32 v8, v8, v10
	v_cmp_lt_u32_e32 vcc, s40, v8
	v_cmp_ge_u32_e64 s[4:5], s40, v8
	s_and_saveexec_b64 s[10:11], s[4:5]
	s_cbranch_execz .LBB2013_70
; %bb.69:
	v_add_u32_e32 v8, s42, v20
	v_add_u32_e32 v10, s56, v20
	v_mul_lo_u32 v8, v8, s41
	v_mul_lo_u32 v10, v10, s43
	v_sub_u32_e32 v8, v8, v10
	v_cmp_lt_u32_e64 s[4:5], s57, v8
	s_and_b64 s[8:9], s[4:5], exec
.LBB2013_70:
	s_or_b64 exec, exec, s[10:11]
	v_cndmask_b32_e64 v8, 0, 1, vcc
	v_lshlrev_b16_e32 v8, 8, v8
	s_movk_i32 s4, 0xff
	v_or_b32_sdwa v8, v9, v8 dst_sel:DWORD dst_unused:UNUSED_PAD src0_sel:BYTE_0 src1_sel:DWORD
	v_lshlrev_b16_e32 v10, 8, v25
	v_and_b32_sdwa v9, v9, s4 dst_sel:DWORD dst_unused:UNUSED_PAD src0_sel:WORD_1 src1_sel:DWORD
	v_or_b32_sdwa v9, v9, v10 dst_sel:WORD_1 dst_unused:UNUSED_PAD src0_sel:DWORD src1_sel:DWORD
	v_or_b32_sdwa v10, v8, v9 dst_sel:DWORD dst_unused:UNUSED_PAD src0_sel:WORD_0 src1_sel:DWORD
	v_mov_b32_e32 v8, 8
	v_cndmask_b32_e64 v26, 0, 1, s[8:9]
	v_lshrrev_b32_sdwa v8, v8, v11 dst_sel:BYTE_1 dst_unused:UNUSED_PAD src0_sel:DWORD src1_sel:DWORD
	v_lshlrev_b16_e32 v9, 8, v12
	v_or_b32_sdwa v8, v11, v8 dst_sel:DWORD dst_unused:UNUSED_PAD src0_sel:BYTE_0 src1_sel:DWORD
	v_or_b32_sdwa v9, v26, v9 dst_sel:WORD_1 dst_unused:UNUSED_PAD src0_sel:DWORD src1_sel:DWORD
	v_or_b32_sdwa v8, v8, v9 dst_sel:DWORD dst_unused:UNUSED_PAD src0_sel:WORD_0 src1_sel:DWORD
.LBB2013_71:
	s_or_b64 exec, exec, s[6:7]
	v_add_u32_e32 v9, 6, v35
	v_cmp_le_u32_e32 vcc, s16, v9
	v_lshrrev_b32_e32 v11, 24, v10
                                        ; implicit-def: $vgpr37
                                        ; implicit-def: $vgpr9
	s_and_saveexec_b64 s[4:5], vcc
	s_xor_b64 s[4:5], exec, s[4:5]
	s_cbranch_execz .LBB2013_73
; %bb.72:
	s_mov_b32 s6, 0x40c0100
	v_perm_b32 v9, v11, v10, s6
	v_mov_b32_e32 v10, 8
	v_lshrrev_b32_sdwa v10, v10, v9 dst_sel:BYTE_1 dst_unused:UNUSED_PAD src0_sel:DWORD src1_sel:DWORD
	v_or_b32_sdwa v10, v9, v10 dst_sel:DWORD dst_unused:UNUSED_PAD src0_sel:BYTE_0 src1_sel:DWORD
	v_and_b32_e32 v10, 0xffff, v10
	s_mov_b32 s6, 0xff000000
	v_and_b32_e32 v12, 0xff0000, v8
	v_and_or_b32 v9, v9, s6, v10
	s_mov_b32 s6, 0x3020504
	v_perm_b32 v37, v8, v12, s6
	s_mov_b32 s6, 0x3060504
	v_perm_b32 v7, v7, v7, s6
                                        ; implicit-def: $vgpr10
                                        ; implicit-def: $vgpr11
                                        ; implicit-def: $vgpr8
.LBB2013_73:
	s_andn2_saveexec_b64 s[6:7], s[4:5]
	s_cbranch_execz .LBB2013_77
; %bb.74:
	v_add_u32_e32 v9, s37, v17
	v_add_u32_e32 v12, s39, v17
	v_mul_lo_u32 v9, v9, s36
	v_mul_lo_u32 v12, v12, s38
	s_mov_b64 s[8:9], 0
	v_sub_u32_e32 v9, v9, v12
	v_cmp_lt_u32_e32 vcc, s40, v9
	v_cmp_ge_u32_e64 s[4:5], s40, v9
	s_and_saveexec_b64 s[10:11], s[4:5]
	s_cbranch_execz .LBB2013_76
; %bb.75:
	v_add_u32_e32 v9, s42, v17
	v_add_u32_e32 v12, s56, v17
	v_mul_lo_u32 v9, v9, s41
	v_mul_lo_u32 v12, v12, s43
	v_sub_u32_e32 v9, v9, v12
	v_cmp_lt_u32_e64 s[4:5], s57, v9
	s_and_b64 s[8:9], s[4:5], exec
.LBB2013_76:
	s_or_b64 exec, exec, s[10:11]
	v_mov_b32_e32 v25, 8
	v_cndmask_b32_e64 v9, 0, 1, vcc
	v_lshrrev_b32_sdwa v26, v25, v10 dst_sel:BYTE_1 dst_unused:UNUSED_PAD src0_sel:DWORD src1_sel:DWORD
	v_lshlrev_b16_e32 v11, 8, v11
	v_or_b32_sdwa v10, v10, v26 dst_sel:DWORD dst_unused:UNUSED_PAD src0_sel:BYTE_0 src1_sel:DWORD
	v_or_b32_sdwa v9, v9, v11 dst_sel:WORD_1 dst_unused:UNUSED_PAD src0_sel:DWORD src1_sel:DWORD
	v_cndmask_b32_e64 v12, 0, 1, s[8:9]
	s_movk_i32 s4, 0xff
	v_or_b32_sdwa v9, v10, v9 dst_sel:DWORD dst_unused:UNUSED_PAD src0_sel:WORD_0 src1_sel:DWORD
	v_lshrrev_b32_sdwa v10, v25, v8 dst_sel:BYTE_1 dst_unused:UNUSED_PAD src0_sel:DWORD src1_sel:DWORD
	v_or_b32_sdwa v10, v8, v10 dst_sel:DWORD dst_unused:UNUSED_PAD src0_sel:BYTE_0 src1_sel:DWORD
	v_lshlrev_b16_e32 v11, 8, v12
	v_and_b32_sdwa v8, v8, s4 dst_sel:DWORD dst_unused:UNUSED_PAD src0_sel:WORD_1 src1_sel:DWORD
	v_or_b32_sdwa v8, v8, v11 dst_sel:WORD_1 dst_unused:UNUSED_PAD src0_sel:DWORD src1_sel:DWORD
	v_or_b32_sdwa v37, v10, v8 dst_sel:DWORD dst_unused:UNUSED_PAD src0_sel:WORD_0 src1_sel:DWORD
.LBB2013_77:
	s_or_b64 exec, exec, s[6:7]
	v_add_u32_e32 v8, 7, v35
	v_cmp_le_u32_e32 vcc, s16, v8
	v_lshrrev_b32_e32 v10, 24, v7
                                        ; implicit-def: $vgpr8
                                        ; implicit-def: $vgpr38
	s_and_saveexec_b64 s[4:5], vcc
	s_xor_b64 s[4:5], exec, s[4:5]
; %bb.78:
	v_and_b32_e32 v8, 0xff0000, v9
	s_mov_b32 s6, 0x3020504
	v_perm_b32 v38, v9, v8, s6
	s_movk_i32 s6, 0xff
	v_lshlrev_b16_e32 v8, 8, v10
	v_and_b32_sdwa v9, v7, s6 dst_sel:DWORD dst_unused:UNUSED_PAD src0_sel:WORD_1 src1_sel:DWORD
	v_mov_b32_e32 v11, 8
	v_or_b32_sdwa v8, v9, v8 dst_sel:WORD_1 dst_unused:UNUSED_PAD src0_sel:DWORD src1_sel:DWORD
	v_lshrrev_b32_sdwa v8, v11, v7 dst_sel:BYTE_1 dst_unused:UNUSED_PRESERVE src0_sel:DWORD src1_sel:DWORD
                                        ; implicit-def: $vgpr9
                                        ; implicit-def: $vgpr10
                                        ; implicit-def: $vgpr7
; %bb.79:
	s_andn2_saveexec_b64 s[6:7], s[4:5]
	s_cbranch_execz .LBB2013_83
; %bb.80:
	v_add_u32_e32 v8, s37, v18
	v_add_u32_e32 v11, s39, v18
	v_mul_lo_u32 v8, v8, s36
	v_mul_lo_u32 v11, v11, s38
	s_mov_b64 s[8:9], 0
	v_sub_u32_e32 v8, v8, v11
	v_cmp_lt_u32_e32 vcc, s40, v8
	v_cmp_ge_u32_e64 s[4:5], s40, v8
	s_and_saveexec_b64 s[10:11], s[4:5]
	s_cbranch_execz .LBB2013_82
; %bb.81:
	v_add_u32_e32 v8, s42, v18
	v_add_u32_e32 v11, s56, v18
	v_mul_lo_u32 v8, v8, s41
	v_mul_lo_u32 v11, v11, s43
	v_sub_u32_e32 v8, v8, v11
	v_cmp_lt_u32_e64 s[4:5], s57, v8
	s_and_b64 s[8:9], s[4:5], exec
.LBB2013_82:
	s_or_b64 exec, exec, s[10:11]
	v_mov_b32_e32 v12, 8
	v_cndmask_b32_e64 v8, 0, 1, vcc
	s_movk_i32 s4, 0xff
	v_lshrrev_b32_sdwa v25, v12, v9 dst_sel:BYTE_1 dst_unused:UNUSED_PAD src0_sel:DWORD src1_sel:DWORD
	v_or_b32_sdwa v25, v9, v25 dst_sel:DWORD dst_unused:UNUSED_PAD src0_sel:BYTE_0 src1_sel:DWORD
	v_lshlrev_b16_e32 v8, 8, v8
	v_and_b32_sdwa v9, v9, s4 dst_sel:DWORD dst_unused:UNUSED_PAD src0_sel:WORD_1 src1_sel:DWORD
	v_or_b32_sdwa v8, v9, v8 dst_sel:WORD_1 dst_unused:UNUSED_PAD src0_sel:DWORD src1_sel:DWORD
	v_cndmask_b32_e64 v11, 0, 1, s[8:9]
	v_or_b32_sdwa v38, v25, v8 dst_sel:DWORD dst_unused:UNUSED_PAD src0_sel:WORD_0 src1_sel:DWORD
	v_lshlrev_b16_e32 v8, 8, v10
	v_and_b32_sdwa v9, v7, s4 dst_sel:DWORD dst_unused:UNUSED_PAD src0_sel:WORD_1 src1_sel:DWORD
	v_lshrrev_b32_sdwa v7, v12, v7 dst_sel:BYTE_1 dst_unused:UNUSED_PAD src0_sel:DWORD src1_sel:DWORD
	v_or_b32_sdwa v8, v9, v8 dst_sel:WORD_1 dst_unused:UNUSED_PAD src0_sel:DWORD src1_sel:DWORD
	v_or_b32_e32 v7, v11, v7
	v_or_b32_sdwa v8, v7, v8 dst_sel:DWORD dst_unused:UNUSED_PAD src0_sel:WORD_0 src1_sel:DWORD
.LBB2013_83:
	s_or_b64 exec, exec, s[6:7]
	v_add_u32_e32 v7, 8, v35
	v_cmp_le_u32_e32 vcc, s16, v7
	v_lshrrev_b32_e32 v10, 24, v8
	v_lshrrev_b32_e32 v11, 24, v6
                                        ; implicit-def: $vgpr9
                                        ; implicit-def: $vgpr7
	s_and_saveexec_b64 s[4:5], vcc
	s_xor_b64 s[4:5], exec, s[4:5]
	s_cbranch_execz .LBB2013_85
; %bb.84:
	s_movk_i32 s6, 0xff
	v_lshlrev_b16_e32 v7, 8, v11
	v_and_b32_sdwa v9, v6, s6 dst_sel:DWORD dst_unused:UNUSED_PAD src0_sel:WORD_1 src1_sel:DWORD
	v_or_b32_sdwa v7, v9, v7 dst_sel:WORD_1 dst_unused:UNUSED_PAD src0_sel:DWORD src1_sel:DWORD
	v_mov_b32_e32 v9, 8
	v_lshrrev_b32_sdwa v7, v9, v6 dst_sel:BYTE_1 dst_unused:UNUSED_PRESERVE src0_sel:DWORD src1_sel:DWORD
	v_lshlrev_b16_e32 v6, 8, v10
	v_and_b32_sdwa v9, v8, s6 dst_sel:DWORD dst_unused:UNUSED_PAD src0_sel:WORD_1 src1_sel:DWORD
	s_mov_b32 s7, 0x3060504
	v_or_b32_e32 v6, v9, v6
	s_mov_b32 s6, 0x5040c00
	v_perm_b32 v5, v5, v5, s7
	v_perm_b32 v9, v6, v8, s6
                                        ; implicit-def: $vgpr11
                                        ; implicit-def: $vgpr6
                                        ; implicit-def: $vgpr8
                                        ; implicit-def: $vgpr10
.LBB2013_85:
	s_andn2_saveexec_b64 s[6:7], s[4:5]
	s_cbranch_execz .LBB2013_89
; %bb.86:
	v_add_u32_e32 v7, s37, v15
	v_add_u32_e32 v9, s39, v15
	v_mul_lo_u32 v7, v7, s36
	v_mul_lo_u32 v9, v9, s38
	s_mov_b64 s[8:9], 0
	v_sub_u32_e32 v7, v7, v9
	v_cmp_lt_u32_e32 vcc, s40, v7
	v_cmp_ge_u32_e64 s[4:5], s40, v7
	s_and_saveexec_b64 s[10:11], s[4:5]
	s_cbranch_execz .LBB2013_88
; %bb.87:
	v_add_u32_e32 v7, s42, v15
	v_add_u32_e32 v9, s56, v15
	v_mul_lo_u32 v7, v7, s41
	v_mul_lo_u32 v9, v9, s43
	v_sub_u32_e32 v7, v7, v9
	v_cmp_lt_u32_e64 s[4:5], s57, v7
	s_and_b64 s[8:9], s[4:5], exec
.LBB2013_88:
	s_or_b64 exec, exec, s[10:11]
	s_movk_i32 s4, 0xff
	v_lshlrev_b16_e32 v11, 8, v11
	v_and_b32_sdwa v12, v6, s4 dst_sel:DWORD dst_unused:UNUSED_PAD src0_sel:WORD_1 src1_sel:DWORD
	v_or_b32_sdwa v11, v12, v11 dst_sel:WORD_1 dst_unused:UNUSED_PAD src0_sel:DWORD src1_sel:DWORD
	v_mov_b32_e32 v12, 8
	v_cndmask_b32_e64 v7, 0, 1, vcc
	v_lshrrev_b32_sdwa v6, v12, v6 dst_sel:BYTE_1 dst_unused:UNUSED_PAD src0_sel:DWORD src1_sel:DWORD
	v_cndmask_b32_e64 v9, 0, 1, s[8:9]
	v_or_b32_e32 v6, v7, v6
	v_or_b32_sdwa v7, v6, v11 dst_sel:DWORD dst_unused:UNUSED_PAD src0_sel:WORD_0 src1_sel:DWORD
	v_lshlrev_b16_e32 v6, 8, v9
	v_or_b32_sdwa v6, v8, v6 dst_sel:DWORD dst_unused:UNUSED_PAD src0_sel:BYTE_0 src1_sel:DWORD
	v_lshlrev_b16_e32 v9, 8, v10
	v_and_b32_sdwa v8, v8, s4 dst_sel:DWORD dst_unused:UNUSED_PAD src0_sel:WORD_1 src1_sel:DWORD
	v_or_b32_sdwa v8, v8, v9 dst_sel:WORD_1 dst_unused:UNUSED_PAD src0_sel:DWORD src1_sel:DWORD
	v_or_b32_sdwa v9, v6, v8 dst_sel:DWORD dst_unused:UNUSED_PAD src0_sel:WORD_0 src1_sel:DWORD
.LBB2013_89:
	s_or_b64 exec, exec, s[6:7]
	v_add_u32_e32 v6, 9, v35
	v_cmp_le_u32_e32 vcc, s16, v6
	v_lshrrev_b32_e32 v10, 24, v9
	v_lshrrev_b32_e32 v11, 24, v7
                                        ; implicit-def: $vgpr6
                                        ; implicit-def: $vgpr8
	s_and_saveexec_b64 s[4:5], vcc
	s_xor_b64 s[4:5], exec, s[4:5]
	s_cbranch_execz .LBB2013_91
; %bb.90:
	s_mov_b32 s6, 0x40c0100
	v_perm_b32 v6, v10, v9, s6
	v_mov_b32_e32 v8, 8
	s_movk_i32 s6, 0xff
	v_lshrrev_b32_sdwa v9, v8, v6 dst_sel:BYTE_1 dst_unused:UNUSED_PAD src0_sel:DWORD src1_sel:DWORD
	v_lshlrev_b16_e32 v8, 8, v11
	v_and_b32_sdwa v10, v7, s6 dst_sel:DWORD dst_unused:UNUSED_PAD src0_sel:WORD_1 src1_sel:DWORD
	v_or_b32_e32 v8, v10, v8
	s_mov_b32 s6, 0x5040c00
	v_perm_b32 v8, v8, v7, s6
	s_mov_b32 s6, 0x3060504
	v_or_b32_sdwa v7, v6, v9 dst_sel:DWORD dst_unused:UNUSED_PAD src0_sel:BYTE_0 src1_sel:DWORD
	v_perm_b32 v5, v5, v5, s6
	v_and_b32_e32 v7, 0xffff, v7
	s_mov_b32 s6, 0xff000000
	v_and_or_b32 v6, v6, s6, v7
                                        ; implicit-def: $vgpr7
                                        ; implicit-def: $vgpr11
                                        ; implicit-def: $vgpr9
                                        ; implicit-def: $vgpr10
.LBB2013_91:
	s_andn2_saveexec_b64 s[6:7], s[4:5]
	s_cbranch_execz .LBB2013_95
; %bb.92:
	v_add_u32_e32 v6, s37, v16
	v_add_u32_e32 v8, s39, v16
	v_mul_lo_u32 v6, v6, s36
	v_mul_lo_u32 v8, v8, s38
	s_mov_b64 s[8:9], 0
	v_sub_u32_e32 v6, v6, v8
	v_cmp_lt_u32_e32 vcc, s40, v6
	v_cmp_ge_u32_e64 s[4:5], s40, v6
	s_and_saveexec_b64 s[10:11], s[4:5]
	s_cbranch_execz .LBB2013_94
; %bb.93:
	v_add_u32_e32 v6, s42, v16
	v_add_u32_e32 v8, s56, v16
	v_mul_lo_u32 v6, v6, s41
	v_mul_lo_u32 v8, v8, s43
	v_sub_u32_e32 v6, v6, v8
	v_cmp_lt_u32_e64 s[4:5], s57, v6
	s_and_b64 s[8:9], s[4:5], exec
.LBB2013_94:
	s_or_b64 exec, exec, s[10:11]
	v_cndmask_b32_e64 v6, 0, 1, vcc
	v_lshlrev_b16_e32 v6, 8, v6
	s_movk_i32 s4, 0xff
	v_or_b32_sdwa v6, v7, v6 dst_sel:DWORD dst_unused:UNUSED_PAD src0_sel:BYTE_0 src1_sel:DWORD
	v_lshlrev_b16_e32 v8, 8, v11
	v_and_b32_sdwa v7, v7, s4 dst_sel:DWORD dst_unused:UNUSED_PAD src0_sel:WORD_1 src1_sel:DWORD
	v_or_b32_sdwa v7, v7, v8 dst_sel:WORD_1 dst_unused:UNUSED_PAD src0_sel:DWORD src1_sel:DWORD
	v_or_b32_sdwa v8, v6, v7 dst_sel:DWORD dst_unused:UNUSED_PAD src0_sel:WORD_0 src1_sel:DWORD
	v_mov_b32_e32 v6, 8
	v_cndmask_b32_e64 v12, 0, 1, s[8:9]
	v_lshrrev_b32_sdwa v6, v6, v9 dst_sel:BYTE_1 dst_unused:UNUSED_PAD src0_sel:DWORD src1_sel:DWORD
	v_lshlrev_b16_e32 v7, 8, v10
	v_or_b32_sdwa v6, v9, v6 dst_sel:DWORD dst_unused:UNUSED_PAD src0_sel:BYTE_0 src1_sel:DWORD
	v_or_b32_sdwa v7, v12, v7 dst_sel:WORD_1 dst_unused:UNUSED_PAD src0_sel:DWORD src1_sel:DWORD
	v_or_b32_sdwa v6, v6, v7 dst_sel:DWORD dst_unused:UNUSED_PAD src0_sel:WORD_0 src1_sel:DWORD
.LBB2013_95:
	s_or_b64 exec, exec, s[6:7]
	v_add_u32_e32 v7, 10, v35
	v_cmp_le_u32_e32 vcc, s16, v7
	v_lshrrev_b32_e32 v9, 24, v8
                                        ; implicit-def: $vgpr39
                                        ; implicit-def: $vgpr7
	s_and_saveexec_b64 s[4:5], vcc
	s_xor_b64 s[4:5], exec, s[4:5]
	s_cbranch_execz .LBB2013_97
; %bb.96:
	s_mov_b32 s6, 0x40c0100
	v_perm_b32 v7, v9, v8, s6
	v_mov_b32_e32 v8, 8
	v_lshrrev_b32_sdwa v8, v8, v7 dst_sel:BYTE_1 dst_unused:UNUSED_PAD src0_sel:DWORD src1_sel:DWORD
	v_or_b32_sdwa v8, v7, v8 dst_sel:DWORD dst_unused:UNUSED_PAD src0_sel:BYTE_0 src1_sel:DWORD
	v_and_b32_e32 v8, 0xffff, v8
	s_mov_b32 s6, 0xff000000
	v_and_or_b32 v7, v7, s6, v8
	s_mov_b32 s6, 0x3060504
	v_and_b32_e32 v10, 0xff0000, v6
	v_perm_b32 v5, v5, v5, s6
	s_mov_b32 s6, 0x3020504
	v_perm_b32 v39, v6, v10, s6
                                        ; implicit-def: $vgpr8
                                        ; implicit-def: $vgpr9
                                        ; implicit-def: $vgpr6
.LBB2013_97:
	s_andn2_saveexec_b64 s[6:7], s[4:5]
	s_cbranch_execz .LBB2013_101
; %bb.98:
	v_add_u32_e32 v7, s37, v13
	v_add_u32_e32 v10, s39, v13
	v_mul_lo_u32 v7, v7, s36
	v_mul_lo_u32 v10, v10, s38
	s_mov_b64 s[8:9], 0
	v_sub_u32_e32 v7, v7, v10
	v_cmp_lt_u32_e32 vcc, s40, v7
	v_cmp_ge_u32_e64 s[4:5], s40, v7
	s_and_saveexec_b64 s[10:11], s[4:5]
	s_cbranch_execz .LBB2013_100
; %bb.99:
	v_add_u32_e32 v7, s42, v13
	v_add_u32_e32 v10, s56, v13
	v_mul_lo_u32 v7, v7, s41
	v_mul_lo_u32 v10, v10, s43
	v_sub_u32_e32 v7, v7, v10
	v_cmp_lt_u32_e64 s[4:5], s57, v7
	s_and_b64 s[8:9], s[4:5], exec
.LBB2013_100:
	s_or_b64 exec, exec, s[10:11]
	v_mov_b32_e32 v11, 8
	v_cndmask_b32_e64 v7, 0, 1, vcc
	v_lshrrev_b32_sdwa v12, v11, v8 dst_sel:BYTE_1 dst_unused:UNUSED_PAD src0_sel:DWORD src1_sel:DWORD
	v_lshlrev_b16_e32 v9, 8, v9
	v_or_b32_sdwa v8, v8, v12 dst_sel:DWORD dst_unused:UNUSED_PAD src0_sel:BYTE_0 src1_sel:DWORD
	v_or_b32_sdwa v7, v7, v9 dst_sel:WORD_1 dst_unused:UNUSED_PAD src0_sel:DWORD src1_sel:DWORD
	v_cndmask_b32_e64 v10, 0, 1, s[8:9]
	s_movk_i32 s4, 0xff
	v_or_b32_sdwa v7, v8, v7 dst_sel:DWORD dst_unused:UNUSED_PAD src0_sel:WORD_0 src1_sel:DWORD
	v_lshrrev_b32_sdwa v8, v11, v6 dst_sel:BYTE_1 dst_unused:UNUSED_PAD src0_sel:DWORD src1_sel:DWORD
	v_or_b32_sdwa v8, v6, v8 dst_sel:DWORD dst_unused:UNUSED_PAD src0_sel:BYTE_0 src1_sel:DWORD
	v_lshlrev_b16_e32 v9, 8, v10
	v_and_b32_sdwa v6, v6, s4 dst_sel:DWORD dst_unused:UNUSED_PAD src0_sel:WORD_1 src1_sel:DWORD
	v_or_b32_sdwa v6, v6, v9 dst_sel:WORD_1 dst_unused:UNUSED_PAD src0_sel:DWORD src1_sel:DWORD
	v_or_b32_sdwa v39, v8, v6 dst_sel:DWORD dst_unused:UNUSED_PAD src0_sel:WORD_0 src1_sel:DWORD
.LBB2013_101:
	s_or_b64 exec, exec, s[6:7]
	v_add_u32_e32 v6, 11, v35
	v_mov_b32_e32 v40, 0
	v_cmp_le_u32_e32 vcc, s16, v6
                                        ; implicit-def: $vgpr41
	s_and_saveexec_b64 s[4:5], vcc
	s_xor_b64 s[4:5], exec, s[4:5]
; %bb.102:
	v_and_b32_e32 v6, 0xff0000, v7
	s_mov_b32 s6, 0x3020504
	v_perm_b32 v41, v7, v6, s6
	s_mov_b32 s6, 0x3060504
	v_perm_b32 v5, v5, v5, s6
                                        ; implicit-def: $vgpr7
; %bb.103:
	s_andn2_saveexec_b64 s[6:7], s[4:5]
	s_cbranch_execz .LBB2013_107
; %bb.104:
	v_add_u32_e32 v6, s37, v14
	v_add_u32_e32 v8, s39, v14
	v_mul_lo_u32 v6, v6, s36
	v_mul_lo_u32 v8, v8, s38
	s_mov_b64 s[8:9], 0
	v_sub_u32_e32 v6, v6, v8
	v_cmp_lt_u32_e32 vcc, s40, v6
	v_cmp_ge_u32_e64 s[4:5], s40, v6
	s_and_saveexec_b64 s[10:11], s[4:5]
	s_cbranch_execz .LBB2013_106
; %bb.105:
	v_add_u32_e32 v6, s42, v14
	v_add_u32_e32 v8, s56, v14
	v_mul_lo_u32 v6, v6, s41
	v_mul_lo_u32 v8, v8, s43
	v_sub_u32_e32 v6, v6, v8
	v_cmp_lt_u32_e64 s[4:5], s57, v6
	s_and_b64 s[8:9], s[4:5], exec
.LBB2013_106:
	s_or_b64 exec, exec, s[10:11]
	v_mov_b32_e32 v8, 8
	v_cndmask_b32_e64 v6, 0, 1, vcc
	s_movk_i32 s4, 0xff
	v_lshrrev_b32_sdwa v8, v8, v7 dst_sel:BYTE_1 dst_unused:UNUSED_PAD src0_sel:DWORD src1_sel:DWORD
	v_or_b32_sdwa v8, v7, v8 dst_sel:DWORD dst_unused:UNUSED_PAD src0_sel:BYTE_0 src1_sel:DWORD
	v_lshlrev_b16_e32 v6, 8, v6
	v_and_b32_sdwa v7, v7, s4 dst_sel:DWORD dst_unused:UNUSED_PAD src0_sel:WORD_1 src1_sel:DWORD
	v_or_b32_sdwa v6, v7, v6 dst_sel:WORD_1 dst_unused:UNUSED_PAD src0_sel:DWORD src1_sel:DWORD
	v_cndmask_b32_e64 v40, 0, 1, s[8:9]
	v_or_b32_sdwa v41, v8, v6 dst_sel:DWORD dst_unused:UNUSED_PAD src0_sel:WORD_0 src1_sel:DWORD
.LBB2013_107:
	s_or_b64 exec, exec, s[6:7]
	v_add_u32_e32 v6, 12, v35
	v_cmp_le_u32_e32 vcc, s16, v6
	v_lshrrev_b32_e32 v6, 24, v5
                                        ; implicit-def: $vgpr42
	s_and_saveexec_b64 s[4:5], vcc
	s_xor_b64 s[4:5], exec, s[4:5]
; %bb.108:
	s_movk_i32 s6, 0xff
	v_lshlrev_b16_e32 v6, 8, v6
	v_and_b32_sdwa v8, v5, s6 dst_sel:DWORD dst_unused:UNUSED_PAD src0_sel:WORD_1 src1_sel:DWORD
	v_mov_b32_e32 v7, 8
	v_or_b32_sdwa v42, v8, v6 dst_sel:WORD_1 dst_unused:UNUSED_PAD src0_sel:DWORD src1_sel:DWORD
	v_lshrrev_b32_sdwa v42, v7, v5 dst_sel:BYTE_1 dst_unused:UNUSED_PRESERVE src0_sel:DWORD src1_sel:DWORD
                                        ; implicit-def: $vgpr6
                                        ; implicit-def: $vgpr5
; %bb.109:
	s_or_saveexec_b64 s[6:7], s[4:5]
	v_mov_b32_e32 v43, 0
	s_xor_b64 exec, exec, s[6:7]
	s_cbranch_execz .LBB2013_113
; %bb.110:
	v_add_u32_e32 v7, s37, v34
	v_add_u32_e32 v8, s39, v34
	v_mul_lo_u32 v7, v7, s36
	v_mul_lo_u32 v8, v8, s38
	s_mov_b64 s[8:9], 0
	v_sub_u32_e32 v7, v7, v8
	v_cmp_lt_u32_e32 vcc, s40, v7
	v_cmp_ge_u32_e64 s[4:5], s40, v7
	s_and_saveexec_b64 s[10:11], s[4:5]
	s_cbranch_execz .LBB2013_112
; %bb.111:
	v_add_u32_e32 v7, s42, v34
	v_add_u32_e32 v8, s56, v34
	v_mul_lo_u32 v7, v7, s41
	v_mul_lo_u32 v8, v8, s43
	v_sub_u32_e32 v7, v7, v8
	v_cmp_lt_u32_e64 s[4:5], s57, v7
	s_and_b64 s[8:9], s[4:5], exec
.LBB2013_112:
	s_or_b64 exec, exec, s[10:11]
	s_movk_i32 s4, 0xff
	v_lshlrev_b16_e32 v6, 8, v6
	v_and_b32_sdwa v8, v5, s4 dst_sel:DWORD dst_unused:UNUSED_PAD src0_sel:WORD_1 src1_sel:DWORD
	v_or_b32_sdwa v6, v8, v6 dst_sel:WORD_1 dst_unused:UNUSED_PAD src0_sel:DWORD src1_sel:DWORD
	v_mov_b32_e32 v8, 8
	v_cndmask_b32_e64 v7, 0, 1, vcc
	v_lshrrev_b32_sdwa v5, v8, v5 dst_sel:BYTE_1 dst_unused:UNUSED_PAD src0_sel:DWORD src1_sel:DWORD
	v_or_b32_e32 v5, v7, v5
	v_cndmask_b32_e64 v43, 0, 1, s[8:9]
	v_or_b32_sdwa v42, v5, v6 dst_sel:DWORD dst_unused:UNUSED_PAD src0_sel:WORD_0 src1_sel:DWORD
.LBB2013_113:
	s_or_b64 exec, exec, s[6:7]
.LBB2013_114:
	v_and_b32_e32 v53, 0xff, v36
	v_bfe_u32 v50, v36, 8, 8
	v_bfe_u32 v55, v36, 16, 8
	v_lshrrev_b32_e32 v48, 24, v36
	v_and_b32_e32 v56, 0xff, v38
	v_add3_u32 v8, v50, v53, v55
	v_bfe_u32 v51, v38, 8, 8
	v_bfe_u32 v58, v38, 16, 8
	v_add3_u32 v8, v8, v48, v56
	v_bfe_u32 v54, v42, 8, 8
	v_bfe_u32 v62, v42, 16, 8
	v_lshrrev_b32_e32 v49, 24, v42
	v_lshrrev_b32_e32 v46, 24, v38
	v_and_b32_e32 v59, 0xff, v41
	v_add3_u32 v8, v8, v51, v58
	v_and_b32_e32 v63, 0xff, v37
	v_bfe_u32 v57, v37, 8, 8
	v_bfe_u32 v52, v41, 8, 8
	v_bfe_u32 v61, v41, 16, 8
	v_add3_u32 v7, v62, v54, v49
	v_add3_u32 v8, v8, v46, v59
	v_bfe_u32 v64, v37, 16, 8
	v_lshrrev_b32_e32 v47, 24, v37
	v_lshrrev_b32_e32 v44, 24, v41
	v_and_b32_e32 v5, 0xff, v42
	v_add3_u32 v7, v7, v63, v57
	v_add3_u32 v8, v8, v52, v61
	v_and_b32_e32 v65, 0xff, v39
	v_bfe_u32 v60, v39, 8, 8
	v_add3_u32 v7, v7, v64, v47
	v_add3_u32 v73, v8, v44, v5
	v_mbcnt_lo_u32_b32 v5, -1, 0
	v_bfe_u32 v66, v39, 16, 8
	v_lshrrev_b32_e32 v45, 24, v39
	v_add3_u32 v7, v7, v65, v60
	v_mbcnt_hi_u32_b32 v68, -1, v5
	v_and_b32_e32 v67, 0xff, v40
	v_and_b32_e32 v6, 0xff, v43
	v_add3_u32 v7, v7, v66, v45
	v_and_b32_e32 v72, 15, v68
	s_cmp_lg_u32 s33, 0
	v_add3_u32 v74, v7, v67, v6
	v_cmp_eq_u32_e64 s[6:7], 0, v72
	v_cmp_lt_u32_e64 s[4:5], 1, v72
	v_cmp_lt_u32_e64 s[10:11], 3, v72
	;; [unrolled: 1-line block ×3, first 2 shown]
	v_and_b32_e32 v71, 16, v68
	v_cmp_lt_u32_e32 vcc, 31, v68
	v_lshrrev_b32_e32 v69, 6, v0
	v_or_b32_e32 v70, 63, v0
	s_cbranch_scc0 .LBB2013_136
; %bb.115:
	v_mov_b32_dpp v5, v73 row_shr:1 row_mask:0xf bank_mask:0xf
	v_mov_b32_dpp v6, v74 row_shr:1 row_mask:0xf bank_mask:0xf
	v_add_u32_e32 v5, v5, v73
	v_add_u32_e32 v6, v6, v74
	v_cndmask_b32_e64 v6, v6, v74, s[6:7]
	v_cndmask_b32_e64 v5, v5, v73, s[6:7]
	s_nop 0
	v_mov_b32_dpp v8, v6 row_shr:2 row_mask:0xf bank_mask:0xf
	v_mov_b32_dpp v7, v5 row_shr:2 row_mask:0xf bank_mask:0xf
	v_add_u32_e32 v7, v5, v7
	v_add_u32_e32 v8, v6, v8
	v_cndmask_b32_e64 v6, v6, v8, s[4:5]
	v_cndmask_b32_e64 v5, v5, v7, s[4:5]
	s_nop 0
	;; [unrolled: 7-line block ×3, first 2 shown]
	v_mov_b32_dpp v8, v6 row_shr:8 row_mask:0xf bank_mask:0xf
	v_mov_b32_dpp v7, v5 row_shr:8 row_mask:0xf bank_mask:0xf
	v_add_u32_e32 v7, v5, v7
	v_add_u32_e32 v8, v6, v8
	v_cndmask_b32_e64 v6, v6, v8, s[8:9]
	v_cndmask_b32_e64 v7, v5, v7, s[8:9]
	v_cmp_eq_u32_e64 s[8:9], 0, v71
	v_mov_b32_dpp v8, v6 row_bcast:15 row_mask:0xf bank_mask:0xf
	v_mov_b32_dpp v5, v7 row_bcast:15 row_mask:0xf bank_mask:0xf
	v_add_u32_e32 v9, v7, v5
	v_add_u32_e32 v5, v6, v8
	v_cndmask_b32_e64 v5, v5, v6, s[8:9]
	v_cndmask_b32_e64 v6, v9, v7, s[8:9]
	v_cmp_eq_u32_e64 s[8:9], v0, v70
	v_mov_b32_dpp v7, v5 row_bcast:31 row_mask:0xf bank_mask:0xf
	v_mov_b32_dpp v8, v6 row_bcast:31 row_mask:0xf bank_mask:0xf
	v_add_u32_e32 v7, v5, v7
	v_add_u32_e32 v8, v6, v8
	s_and_saveexec_b64 s[10:11], s[8:9]
; %bb.116:
	v_lshlrev_b32_e32 v11, 3, v69
	v_cndmask_b32_e32 v10, v5, v7, vcc
	v_cndmask_b32_e32 v9, v6, v8, vcc
	ds_write_b64 v11, v[9:10]
; %bb.117:
	s_or_b64 exec, exec, s[10:11]
	v_cmp_gt_u32_e64 s[8:9], 4, v0
	s_waitcnt lgkmcnt(0)
	s_barrier
	s_and_saveexec_b64 s[10:11], s[8:9]
	s_cbranch_execz .LBB2013_119
; %bb.118:
	v_lshlrev_b32_e32 v11, 3, v0
	ds_read_b64 v[9:10], v11
	v_and_b32_e32 v12, 3, v68
	v_cmp_eq_u32_e64 s[8:9], 0, v12
	s_waitcnt lgkmcnt(0)
	v_mov_b32_dpp v25, v9 row_shr:1 row_mask:0xf bank_mask:0xf
	v_mov_b32_dpp v26, v10 row_shr:1 row_mask:0xf bank_mask:0xf
	v_add_u32_e32 v25, v25, v9
	v_add_u32_e32 v26, v26, v10
	v_cndmask_b32_e64 v10, v26, v10, s[8:9]
	v_cndmask_b32_e64 v9, v25, v9, s[8:9]
	v_cmp_lt_u32_e64 s[8:9], 1, v12
	v_mov_b32_dpp v26, v10 row_shr:2 row_mask:0xf bank_mask:0xf
	v_mov_b32_dpp v25, v9 row_shr:2 row_mask:0xf bank_mask:0xf
	v_cndmask_b32_e64 v12, 0, v25, s[8:9]
	v_cndmask_b32_e64 v25, 0, v26, s[8:9]
	v_add_u32_e32 v10, v25, v10
	v_add_u32_e32 v9, v12, v9
	ds_write_b64 v11, v[9:10]
.LBB2013_119:
	s_or_b64 exec, exec, s[10:11]
	v_cndmask_b32_e32 v5, v5, v7, vcc
	v_cndmask_b32_e32 v6, v6, v8, vcc
	v_cmp_gt_u32_e32 vcc, 64, v0
	v_cmp_lt_u32_e64 s[8:9], 63, v0
	s_waitcnt lgkmcnt(0)
	s_barrier
                                        ; implicit-def: $vgpr25
	s_and_saveexec_b64 s[10:11], s[8:9]
	s_cbranch_execz .LBB2013_121
; %bb.120:
	v_lshl_add_u32 v7, v69, 3, -8
	ds_read_b64 v[25:26], v7
	s_waitcnt lgkmcnt(0)
	v_add_u32_e32 v5, v26, v5
	v_add_u32_e32 v6, v25, v6
.LBB2013_121:
	s_or_b64 exec, exec, s[10:11]
	v_subrev_co_u32_e64 v7, s[8:9], 1, v68
	v_and_b32_e32 v8, 64, v68
	v_cmp_lt_i32_e64 s[10:11], v7, v8
	v_cndmask_b32_e64 v7, v7, v68, s[10:11]
	v_lshlrev_b32_e32 v7, 2, v7
	ds_bpermute_b32 v75, v7, v6
	ds_bpermute_b32 v76, v7, v5
	s_and_saveexec_b64 s[10:11], vcc
	s_cbranch_execz .LBB2013_141
; %bb.122:
	v_mov_b32_e32 v8, 0
	ds_read_b64 v[5:6], v8 offset:24
	s_and_saveexec_b64 s[12:13], s[8:9]
	s_cbranch_execz .LBB2013_124
; %bb.123:
	s_add_i32 s14, s33, 64
	s_mov_b32 s15, 0
	s_lshl_b64 s[14:15], s[14:15], 4
	s_add_u32 s14, s54, s14
	s_addc_u32 s15, s55, s15
	v_mov_b32_e32 v9, s14
	v_mov_b32_e32 v7, 1
	;; [unrolled: 1-line block ×3, first 2 shown]
	s_waitcnt lgkmcnt(0)
	;;#ASMSTART
	global_store_dwordx4 v[9:10], v[5:8] off	
s_waitcnt vmcnt(0)
	;;#ASMEND
.LBB2013_124:
	s_or_b64 exec, exec, s[12:13]
	v_xad_u32 v27, v68, -1, s33
	v_add_u32_e32 v7, 64, v27
	v_lshlrev_b64 v[9:10], 4, v[7:8]
	v_mov_b32_e32 v7, s55
	v_add_co_u32_e32 v28, vcc, s54, v9
	v_addc_co_u32_e32 v29, vcc, v7, v10, vcc
	;;#ASMSTART
	global_load_dwordx4 v[9:12], v[28:29] off glc	
s_waitcnt vmcnt(0)
	;;#ASMEND
	v_cmp_eq_u16_sdwa s[14:15], v11, v8 src0_sel:BYTE_0 src1_sel:DWORD
	s_and_saveexec_b64 s[12:13], s[14:15]
	s_cbranch_execz .LBB2013_128
; %bb.125:
	s_mov_b64 s[14:15], 0
	v_mov_b32_e32 v7, 0
.LBB2013_126:                           ; =>This Inner Loop Header: Depth=1
	;;#ASMSTART
	global_load_dwordx4 v[9:12], v[28:29] off glc	
s_waitcnt vmcnt(0)
	;;#ASMEND
	v_cmp_ne_u16_sdwa s[18:19], v11, v7 src0_sel:BYTE_0 src1_sel:DWORD
	s_or_b64 s[14:15], s[18:19], s[14:15]
	s_andn2_b64 exec, exec, s[14:15]
	s_cbranch_execnz .LBB2013_126
; %bb.127:
	s_or_b64 exec, exec, s[14:15]
.LBB2013_128:
	s_or_b64 exec, exec, s[12:13]
	v_and_b32_e32 v78, 63, v68
	v_cmp_ne_u32_e32 vcc, 63, v78
	v_mov_b32_e32 v77, 2
	v_lshlrev_b64 v[29:30], v68, -1
	v_addc_co_u32_e32 v12, vcc, 0, v68, vcc
	v_cmp_eq_u16_sdwa s[12:13], v11, v77 src0_sel:BYTE_0 src1_sel:DWORD
	v_lshlrev_b32_e32 v79, 2, v12
	v_and_b32_e32 v7, s13, v30
	ds_bpermute_b32 v12, v79, v9
	ds_bpermute_b32 v28, v79, v10
	v_or_b32_e32 v7, 0x80000000, v7
	v_and_b32_e32 v8, s12, v29
	v_ffbl_b32_e32 v7, v7
	v_add_u32_e32 v7, 32, v7
	v_ffbl_b32_e32 v8, v8
	v_min_u32_e32 v7, v8, v7
	s_waitcnt lgkmcnt(1)
	v_add_u32_e32 v8, v12, v9
	s_waitcnt lgkmcnt(0)
	v_add_u32_e32 v12, v28, v10
	v_cmp_lt_u32_e32 vcc, v78, v7
	v_cndmask_b32_e32 v10, v10, v12, vcc
	v_cndmask_b32_e32 v8, v9, v8, vcc
	v_cmp_gt_u32_e32 vcc, 62, v78
	v_cndmask_b32_e64 v9, 0, 2, vcc
	v_add_lshl_u32 v80, v9, v68, 2
	ds_bpermute_b32 v9, v80, v8
	ds_bpermute_b32 v12, v80, v10
	v_add_u32_e32 v81, 2, v78
	v_cmp_gt_u32_e32 vcc, v81, v7
	v_add_u32_e32 v83, 4, v78
	s_waitcnt lgkmcnt(1)
	v_add_u32_e32 v9, v8, v9
	s_waitcnt lgkmcnt(0)
	v_add_u32_e32 v12, v10, v12
	v_cndmask_b32_e32 v10, v12, v10, vcc
	v_cndmask_b32_e32 v8, v9, v8, vcc
	v_cmp_gt_u32_e32 vcc, 60, v78
	v_cndmask_b32_e64 v9, 0, 4, vcc
	v_add_lshl_u32 v82, v9, v68, 2
	ds_bpermute_b32 v9, v82, v8
	ds_bpermute_b32 v12, v82, v10
	v_cmp_gt_u32_e32 vcc, v83, v7
	v_add_u32_e32 v85, 8, v78
	v_add_u32_e32 v87, 16, v78
	s_waitcnt lgkmcnt(1)
	v_add_u32_e32 v9, v8, v9
	s_waitcnt lgkmcnt(0)
	v_add_u32_e32 v12, v10, v12
	v_cndmask_b32_e32 v10, v12, v10, vcc
	v_cndmask_b32_e32 v8, v9, v8, vcc
	v_cmp_gt_u32_e32 vcc, 56, v78
	v_cndmask_b32_e64 v9, 0, 8, vcc
	v_add_lshl_u32 v84, v9, v68, 2
	ds_bpermute_b32 v9, v84, v8
	ds_bpermute_b32 v12, v84, v10
	v_cmp_gt_u32_e32 vcc, v85, v7
	v_add_u32_e32 v89, 32, v78
	v_mov_b32_e32 v28, 0
	s_waitcnt lgkmcnt(1)
	v_add_u32_e32 v9, v8, v9
	s_waitcnt lgkmcnt(0)
	v_add_u32_e32 v12, v10, v12
	v_cndmask_b32_e32 v10, v12, v10, vcc
	v_cndmask_b32_e32 v8, v9, v8, vcc
	v_cmp_gt_u32_e32 vcc, 48, v78
	v_cndmask_b32_e64 v9, 0, 16, vcc
	v_add_lshl_u32 v86, v9, v68, 2
	ds_bpermute_b32 v9, v86, v8
	ds_bpermute_b32 v12, v86, v10
	v_cmp_gt_u32_e32 vcc, v87, v7
	s_waitcnt lgkmcnt(1)
	v_add_u32_e32 v9, v8, v9
	s_waitcnt lgkmcnt(0)
	v_add_u32_e32 v12, v10, v12
	v_cndmask_b32_e32 v8, v9, v8, vcc
	v_mov_b32_e32 v9, 0x80
	v_cndmask_b32_e32 v10, v12, v10, vcc
	v_lshl_or_b32 v88, v68, 2, v9
	ds_bpermute_b32 v9, v88, v8
	ds_bpermute_b32 v12, v88, v10
	v_cmp_le_u32_e32 vcc, v89, v7
	s_waitcnt lgkmcnt(1)
	v_cndmask_b32_e32 v7, 0, v9, vcc
	s_waitcnt lgkmcnt(0)
	v_cndmask_b32_e32 v9, 0, v12, vcc
	v_add_u32_e32 v10, v10, v9
	v_add_u32_e32 v9, v8, v7
	s_branch .LBB2013_132
.LBB2013_129:                           ;   in Loop: Header=BB2013_132 Depth=1
	s_or_b64 exec, exec, s[14:15]
.LBB2013_130:                           ;   in Loop: Header=BB2013_132 Depth=1
	s_or_b64 exec, exec, s[12:13]
	v_cmp_eq_u16_sdwa s[12:13], v11, v77 src0_sel:BYTE_0 src1_sel:DWORD
	v_and_b32_e32 v12, s13, v30
	ds_bpermute_b32 v32, v79, v9
	ds_bpermute_b32 v90, v79, v10
	v_or_b32_e32 v12, 0x80000000, v12
	v_and_b32_e32 v31, s12, v29
	v_ffbl_b32_e32 v12, v12
	v_add_u32_e32 v12, 32, v12
	v_ffbl_b32_e32 v31, v31
	v_min_u32_e32 v12, v31, v12
	s_waitcnt lgkmcnt(1)
	v_add_u32_e32 v31, v32, v9
	s_waitcnt lgkmcnt(0)
	v_add_u32_e32 v32, v90, v10
	v_cmp_lt_u32_e32 vcc, v78, v12
	v_cndmask_b32_e32 v10, v10, v32, vcc
	v_cndmask_b32_e32 v9, v9, v31, vcc
	ds_bpermute_b32 v31, v80, v9
	ds_bpermute_b32 v32, v80, v10
	v_cmp_gt_u32_e32 vcc, v81, v12
	v_subrev_u32_e32 v27, 64, v27
	s_mov_b64 s[12:13], 0
	s_waitcnt lgkmcnt(1)
	v_add_u32_e32 v31, v9, v31
	s_waitcnt lgkmcnt(0)
	v_add_u32_e32 v32, v10, v32
	v_cndmask_b32_e32 v10, v32, v10, vcc
	v_cndmask_b32_e32 v9, v31, v9, vcc
	ds_bpermute_b32 v31, v82, v9
	ds_bpermute_b32 v32, v82, v10
	v_cmp_gt_u32_e32 vcc, v83, v12
	s_waitcnt lgkmcnt(1)
	v_add_u32_e32 v31, v9, v31
	s_waitcnt lgkmcnt(0)
	v_add_u32_e32 v32, v10, v32
	v_cndmask_b32_e32 v10, v32, v10, vcc
	v_cndmask_b32_e32 v9, v31, v9, vcc
	ds_bpermute_b32 v31, v84, v9
	ds_bpermute_b32 v32, v84, v10
	v_cmp_gt_u32_e32 vcc, v85, v12
	;; [unrolled: 9-line block ×3, first 2 shown]
	s_waitcnt lgkmcnt(1)
	v_add_u32_e32 v31, v9, v31
	s_waitcnt lgkmcnt(0)
	v_add_u32_e32 v32, v10, v32
	v_cndmask_b32_e32 v10, v32, v10, vcc
	v_cndmask_b32_e32 v9, v31, v9, vcc
	ds_bpermute_b32 v31, v88, v9
	ds_bpermute_b32 v32, v88, v10
	v_cmp_le_u32_e32 vcc, v89, v12
	s_waitcnt lgkmcnt(1)
	v_cndmask_b32_e32 v12, 0, v31, vcc
	s_waitcnt lgkmcnt(0)
	v_cndmask_b32_e32 v31, 0, v32, vcc
	v_add3_u32 v10, v31, v8, v10
	v_add3_u32 v9, v12, v7, v9
.LBB2013_131:                           ;   in Loop: Header=BB2013_132 Depth=1
	s_and_b64 vcc, exec, s[12:13]
	s_cbranch_vccnz .LBB2013_137
.LBB2013_132:                           ; =>This Loop Header: Depth=1
                                        ;     Child Loop BB2013_135 Depth 2
	v_mov_b32_e32 v7, v9
	v_cmp_ne_u16_sdwa s[12:13], v11, v77 src0_sel:BYTE_0 src1_sel:DWORD
	v_mov_b32_e32 v8, v10
	s_cmp_lg_u64 s[12:13], exec
	s_mov_b64 s[12:13], -1
                                        ; implicit-def: $vgpr11
                                        ; implicit-def: $vgpr9_vgpr10
	s_cbranch_scc1 .LBB2013_131
; %bb.133:                              ;   in Loop: Header=BB2013_132 Depth=1
	v_lshlrev_b64 v[9:10], 4, v[27:28]
	v_mov_b32_e32 v11, s55
	v_add_co_u32_e32 v31, vcc, s54, v9
	v_addc_co_u32_e32 v32, vcc, v11, v10, vcc
	;;#ASMSTART
	global_load_dwordx4 v[9:12], v[31:32] off glc	
s_waitcnt vmcnt(0)
	;;#ASMEND
	v_cmp_eq_u16_sdwa s[14:15], v11, v28 src0_sel:BYTE_0 src1_sel:DWORD
	s_and_saveexec_b64 s[12:13], s[14:15]
	s_cbranch_execz .LBB2013_130
; %bb.134:                              ;   in Loop: Header=BB2013_132 Depth=1
	s_mov_b64 s[14:15], 0
.LBB2013_135:                           ;   Parent Loop BB2013_132 Depth=1
                                        ; =>  This Inner Loop Header: Depth=2
	;;#ASMSTART
	global_load_dwordx4 v[9:12], v[31:32] off glc	
s_waitcnt vmcnt(0)
	;;#ASMEND
	v_cmp_ne_u16_sdwa s[18:19], v11, v28 src0_sel:BYTE_0 src1_sel:DWORD
	s_or_b64 s[14:15], s[18:19], s[14:15]
	s_andn2_b64 exec, exec, s[14:15]
	s_cbranch_execnz .LBB2013_135
	s_branch .LBB2013_129
.LBB2013_136:
                                        ; implicit-def: $vgpr12
                                        ; implicit-def: $vgpr7
                                        ; implicit-def: $vgpr25
	s_cbranch_execnz .LBB2013_142
	s_branch .LBB2013_151
.LBB2013_137:
	s_and_saveexec_b64 s[12:13], s[8:9]
	s_cbranch_execnz .LBB2013_379
; %bb.138:
	s_or_b64 exec, exec, s[12:13]
	s_and_saveexec_b64 s[12:13], s[8:9]
	s_cbranch_execnz .LBB2013_380
.LBB2013_139:
	s_or_b64 exec, exec, s[12:13]
	s_and_b64 exec, exec, s[0:1]
.LBB2013_140:
	v_mov_b32_e32 v5, 0
	ds_write_b64 v5, v[7:8] offset:24
.LBB2013_141:
	s_or_b64 exec, exec, s[10:11]
	v_mov_b32_e32 v5, 0
	s_waitcnt lgkmcnt(0)
	s_barrier
	ds_read_b64 v[9:10], v5 offset:24
	v_cndmask_b32_e64 v6, v75, v25, s[8:9]
	s_waitcnt lgkmcnt(0)
	s_barrier
	v_add_u32_e32 v25, v9, v6
	ds_read_b128 v[5:8], v5 offset:13312
	v_cndmask_b32_e64 v11, v76, v26, s[8:9]
	v_add_u32_e32 v11, v10, v11
	v_cndmask_b32_e64 v12, v11, v10, s[0:1]
	v_cndmask_b32_e64 v25, v25, v9, s[0:1]
	s_branch .LBB2013_151
.LBB2013_142:
	s_waitcnt lgkmcnt(0)
	v_mov_b32_dpp v5, v73 row_shr:1 row_mask:0xf bank_mask:0xf
	v_mov_b32_dpp v6, v74 row_shr:1 row_mask:0xf bank_mask:0xf
	v_add_u32_e32 v5, v5, v73
	v_add_u32_e32 v6, v6, v74
	v_cndmask_b32_e64 v6, v6, v74, s[6:7]
	v_cndmask_b32_e64 v5, v5, v73, s[6:7]
	v_cmp_lt_u32_e32 vcc, 3, v72
	v_mov_b32_dpp v8, v6 row_shr:2 row_mask:0xf bank_mask:0xf
	v_mov_b32_dpp v7, v5 row_shr:2 row_mask:0xf bank_mask:0xf
	v_add_u32_e32 v7, v5, v7
	v_add_u32_e32 v8, v6, v8
	v_cndmask_b32_e64 v6, v6, v8, s[4:5]
	v_cndmask_b32_e64 v5, v5, v7, s[4:5]
	v_cmp_eq_u32_e64 s[4:5], v0, v70
	v_mov_b32_dpp v8, v6 row_shr:4 row_mask:0xf bank_mask:0xf
	v_mov_b32_dpp v7, v5 row_shr:4 row_mask:0xf bank_mask:0xf
	v_add_u32_e32 v7, v5, v7
	v_add_u32_e32 v8, v6, v8
	v_cndmask_b32_e32 v6, v6, v8, vcc
	v_cndmask_b32_e32 v5, v5, v7, vcc
	v_cmp_lt_u32_e32 vcc, 7, v72
	v_mov_b32_dpp v8, v6 row_shr:8 row_mask:0xf bank_mask:0xf
	v_mov_b32_dpp v7, v5 row_shr:8 row_mask:0xf bank_mask:0xf
	v_add_u32_e32 v7, v5, v7
	v_add_u32_e32 v8, v6, v8
	v_cndmask_b32_e32 v6, v6, v8, vcc
	v_cndmask_b32_e32 v7, v5, v7, vcc
	v_cmp_eq_u32_e32 vcc, 0, v71
	v_mov_b32_dpp v8, v6 row_bcast:15 row_mask:0xf bank_mask:0xf
	v_mov_b32_dpp v5, v7 row_bcast:15 row_mask:0xf bank_mask:0xf
	v_add_u32_e32 v9, v7, v5
	v_add_u32_e32 v5, v6, v8
	v_cndmask_b32_e32 v5, v5, v6, vcc
	v_cndmask_b32_e32 v6, v9, v7, vcc
	v_cmp_lt_u32_e32 vcc, 31, v68
	v_mov_b32_dpp v7, v5 row_bcast:31 row_mask:0xf bank_mask:0xf
	v_mov_b32_dpp v8, v6 row_bcast:31 row_mask:0xf bank_mask:0xf
	v_add_u32_e32 v7, v5, v7
	v_add_u32_e32 v8, v6, v8
	s_and_saveexec_b64 s[6:7], s[4:5]
; %bb.143:
	v_cndmask_b32_e32 v9, v6, v8, vcc
	v_cndmask_b32_e32 v10, v5, v7, vcc
	v_lshlrev_b32_e32 v11, 3, v69
	ds_write_b64 v11, v[9:10]
; %bb.144:
	s_or_b64 exec, exec, s[6:7]
	v_cmp_gt_u32_e64 s[4:5], 4, v0
	s_waitcnt lgkmcnt(0)
	s_barrier
	s_and_saveexec_b64 s[6:7], s[4:5]
	s_cbranch_execz .LBB2013_146
; %bb.145:
	v_lshlrev_b32_e32 v11, 3, v0
	ds_read_b64 v[9:10], v11
	v_and_b32_e32 v12, 3, v68
	v_cmp_eq_u32_e64 s[4:5], 0, v12
	s_waitcnt lgkmcnt(0)
	v_mov_b32_dpp v25, v9 row_shr:1 row_mask:0xf bank_mask:0xf
	v_mov_b32_dpp v26, v10 row_shr:1 row_mask:0xf bank_mask:0xf
	v_add_u32_e32 v25, v25, v9
	v_add_u32_e32 v26, v26, v10
	v_cndmask_b32_e64 v10, v26, v10, s[4:5]
	v_cndmask_b32_e64 v9, v25, v9, s[4:5]
	v_cmp_lt_u32_e64 s[4:5], 1, v12
	v_mov_b32_dpp v26, v10 row_shr:2 row_mask:0xf bank_mask:0xf
	v_mov_b32_dpp v25, v9 row_shr:2 row_mask:0xf bank_mask:0xf
	v_cndmask_b32_e64 v12, 0, v25, s[4:5]
	v_cndmask_b32_e64 v25, 0, v26, s[4:5]
	v_add_u32_e32 v10, v25, v10
	v_add_u32_e32 v9, v12, v9
	ds_write_b64 v11, v[9:10]
.LBB2013_146:
	s_or_b64 exec, exec, s[6:7]
	v_cmp_lt_u32_e64 s[4:5], 63, v0
	v_mov_b32_e32 v11, 0
	v_mov_b32_e32 v9, 0
	;; [unrolled: 1-line block ×3, first 2 shown]
	s_waitcnt lgkmcnt(0)
	s_barrier
	s_and_saveexec_b64 s[6:7], s[4:5]
; %bb.147:
	v_lshl_add_u32 v9, v69, 3, -8
	ds_read_b64 v[9:10], v9
; %bb.148:
	s_or_b64 exec, exec, s[6:7]
	v_cndmask_b32_e32 v6, v6, v8, vcc
	v_cndmask_b32_e32 v5, v5, v7, vcc
	v_subrev_co_u32_e32 v7, vcc, 1, v68
	v_and_b32_e32 v8, 64, v68
	v_cmp_lt_i32_e64 s[4:5], v7, v8
	v_cndmask_b32_e64 v7, v7, v68, s[4:5]
	s_waitcnt lgkmcnt(0)
	v_add_u32_e32 v5, v10, v5
	v_add_u32_e32 v6, v9, v6
	v_lshlrev_b32_e32 v7, 2, v7
	ds_bpermute_b32 v12, v7, v6
	ds_bpermute_b32 v25, v7, v5
	ds_read_b64 v[5:6], v11 offset:24
	s_and_saveexec_b64 s[4:5], s[0:1]
	s_cbranch_execz .LBB2013_150
; %bb.149:
	s_add_u32 s6, s54, 0x400
	s_addc_u32 s7, s55, 0
	v_mov_b32_e32 v27, s7
	v_mov_b32_e32 v7, 2
	;; [unrolled: 1-line block ×4, first 2 shown]
	s_waitcnt lgkmcnt(0)
	;;#ASMSTART
	global_store_dwordx4 v[26:27], v[5:8] off	
s_waitcnt vmcnt(0)
	;;#ASMEND
.LBB2013_150:
	s_or_b64 exec, exec, s[4:5]
	s_waitcnt lgkmcnt(2)
	v_cndmask_b32_e32 v7, v12, v9, vcc
	s_waitcnt lgkmcnt(1)
	v_cndmask_b32_e32 v8, v25, v10, vcc
	v_cndmask_b32_e64 v12, v8, 0, s[0:1]
	v_cndmask_b32_e64 v25, v7, 0, s[0:1]
	v_mov_b32_e32 v8, 0
	v_mov_b32_e32 v7, 0
	s_waitcnt lgkmcnt(0)
	s_barrier
.LBB2013_151:
	s_waitcnt lgkmcnt(0)
	v_add_co_u32_e32 v1, vcc, v1, v7
	v_addc_co_u32_e32 v2, vcc, 0, v2, vcc
	v_sub_co_u32_e32 v29, vcc, v3, v5
	v_add_u32_e32 v32, v12, v54
	v_subbrev_co_u32_e32 v30, vcc, 0, v4, vcc
	v_lshlrev_b32_e32 v72, 1, v5
	v_sub_u32_e32 v12, v12, v8
	v_lshrrev_b32_e32 v28, 8, v42
	v_add_u32_e32 v31, v25, v53
	v_add_co_u32_e32 v29, vcc, v29, v8
	v_add_u32_e32 v73, v72, v6
	v_sub_u32_e32 v25, v25, v7
	v_add_u32_e32 v12, v12, v5
	v_addc_co_u32_e32 v30, vcc, 0, v30, vcc
	v_add_u32_e32 v35, v73, v35
	v_and_b32_e32 v28, 1, v28
	v_add_u32_e32 v74, v25, v12
	v_and_b32_e32 v73, 1, v36
	v_sub_u32_e32 v74, v35, v74
	v_cmp_eq_u32_e32 vcc, 1, v28
	v_cndmask_b32_e32 v12, v74, v12, vcc
	v_cmp_eq_u32_e32 vcc, 1, v73
	v_cndmask_b32_e32 v12, v12, v25, vcc
	v_lshlrev_b32_e32 v12, 2, v12
	v_sub_u32_e32 v25, v32, v8
	v_lshrrev_b32_e32 v27, 8, v36
	ds_write_b32 v12, v23
	v_sub_u32_e32 v12, v31, v7
	v_add_u32_e32 v25, v25, v5
	v_add_u32_e32 v50, v31, v50
	v_and_b32_e32 v23, 1, v27
	v_mov_b32_e32 v27, 1
	v_add_u32_e32 v31, v25, v12
	v_and_b32_sdwa v28, v27, v42 dst_sel:DWORD dst_unused:UNUSED_PAD src0_sel:DWORD src1_sel:WORD_1
	v_sub_u32_e32 v31, v35, v31
	v_add_u32_e32 v31, 1, v31
	v_cmp_eq_u32_e32 vcc, 1, v28
	v_cndmask_b32_e32 v25, v31, v25, vcc
	v_cmp_eq_u32_e32 vcc, 1, v23
	v_cndmask_b32_e32 v12, v25, v12, vcc
	v_add_u32_e32 v53, v32, v62
	v_lshlrev_b32_e32 v12, 2, v12
	ds_write_b32 v12, v24
	v_sub_u32_e32 v24, v53, v8
	v_sub_u32_e32 v12, v50, v7
	v_add_u32_e32 v24, v24, v5
	v_add_u32_e32 v28, v24, v12
	v_and_b32_e32 v25, 1, v49
	v_sub_u32_e32 v28, v35, v28
	v_and_b32_sdwa v23, v27, v36 dst_sel:DWORD dst_unused:UNUSED_PAD src0_sel:DWORD src1_sel:WORD_1
	v_add_u32_e32 v28, 2, v28
	v_cmp_eq_u32_e32 vcc, 1, v25
	v_cndmask_b32_e32 v24, v28, v24, vcc
	v_cmp_eq_u32_e32 vcc, 1, v23
	v_add_u32_e32 v54, v50, v55
	v_add_u32_e32 v55, v53, v49
	v_cndmask_b32_e32 v12, v24, v12, vcc
	v_lshlrev_b32_e32 v12, 2, v12
	v_sub_u32_e32 v23, v55, v8
	ds_write_b32 v12, v21
	v_sub_u32_e32 v12, v54, v7
	v_add_u32_e32 v23, v23, v5
	v_add_u32_e32 v25, v12, v23
	v_and_b32_e32 v24, 1, v37
	v_sub_u32_e32 v25, v35, v25
	v_and_b32_e32 v21, 1, v48
	v_add_u32_e32 v25, 3, v25
	v_cmp_eq_u32_e32 vcc, 1, v24
	v_cndmask_b32_e32 v23, v25, v23, vcc
	v_cmp_eq_u32_e32 vcc, 1, v21
	v_cndmask_b32_e32 v12, v23, v12, vcc
	v_add_u32_e32 v62, v55, v63
	v_lshlrev_b32_e32 v12, 2, v12
	v_add_u32_e32 v63, v54, v48
	ds_write_b32 v12, v22
	v_sub_u32_e32 v22, v62, v8
	v_sub_u32_e32 v12, v63, v7
	v_add_u32_e32 v22, v22, v5
	v_lshrrev_b32_e32 v26, 8, v37
	v_add_u32_e32 v24, v12, v22
	v_and_b32_e32 v23, 1, v26
	v_sub_u32_e32 v24, v35, v24
	v_and_b32_e32 v21, 1, v38
	v_add_u32_e32 v24, 4, v24
	v_cmp_eq_u32_e32 vcc, 1, v23
	v_cndmask_b32_e32 v22, v24, v22, vcc
	v_cmp_eq_u32_e32 vcc, 1, v21
	v_cndmask_b32_e32 v12, v22, v12, vcc
	v_add_u32_e32 v57, v62, v57
	v_lshlrev_b32_e32 v12, 2, v12
	v_add_u32_e32 v56, v63, v56
	ds_write_b32 v12, v19
	v_sub_u32_e32 v19, v57, v8
	v_sub_u32_e32 v12, v56, v7
	v_add_u32_e32 v19, v19, v5
	v_add_u32_e32 v22, v12, v19
	v_lshrrev_b32_e32 v11, 8, v38
	v_and_b32_sdwa v21, v27, v37 dst_sel:DWORD dst_unused:UNUSED_PAD src0_sel:DWORD src1_sel:WORD_1
	v_sub_u32_e32 v22, v35, v22
	v_and_b32_e32 v11, 1, v11
	v_add_u32_e32 v22, 5, v22
	v_cmp_eq_u32_e32 vcc, 1, v21
	v_cndmask_b32_e32 v19, v22, v19, vcc
	v_cmp_eq_u32_e32 vcc, 1, v11
	v_add_u32_e32 v64, v57, v64
	v_cndmask_b32_e32 v11, v19, v12, vcc
	v_add_u32_e32 v51, v56, v51
	v_lshlrev_b32_e32 v11, 2, v11
	v_sub_u32_e32 v19, v64, v8
	ds_write_b32 v11, v20
	v_sub_u32_e32 v11, v51, v7
	v_add_u32_e32 v19, v19, v5
	v_add_u32_e32 v21, v11, v19
	v_and_b32_e32 v20, 1, v47
	v_sub_u32_e32 v21, v35, v21
	v_and_b32_sdwa v12, v27, v38 dst_sel:DWORD dst_unused:UNUSED_PAD src0_sel:DWORD src1_sel:WORD_1
	v_add_u32_e32 v21, 6, v21
	v_cmp_eq_u32_e32 vcc, 1, v20
	v_cndmask_b32_e32 v19, v21, v19, vcc
	v_cmp_eq_u32_e32 vcc, 1, v12
	v_cndmask_b32_e32 v11, v19, v11, vcc
	v_add_u32_e32 v68, v64, v47
	v_lshlrev_b32_e32 v11, 2, v11
	v_add_u32_e32 v58, v51, v58
	ds_write_b32 v11, v17
	v_sub_u32_e32 v17, v68, v8
	v_sub_u32_e32 v11, v58, v7
	v_add_u32_e32 v17, v17, v5
	v_add_u32_e32 v20, v11, v17
	v_and_b32_e32 v19, 1, v39
	v_sub_u32_e32 v20, v35, v20
	v_and_b32_e32 v12, 1, v46
	v_add_u32_e32 v20, 7, v20
	v_cmp_eq_u32_e32 vcc, 1, v19
	v_cndmask_b32_e32 v17, v20, v17, vcc
	v_cmp_eq_u32_e32 vcc, 1, v12
	v_add_u32_e32 v65, v68, v65
	v_cndmask_b32_e32 v11, v17, v11, vcc
	v_add_u32_e32 v69, v58, v46
	v_lshlrev_b32_e32 v11, 2, v11
	v_sub_u32_e32 v17, v65, v8
	ds_write_b32 v11, v18
	v_sub_u32_e32 v11, v69, v7
	v_add_u32_e32 v17, v17, v5
	v_lshrrev_b32_e32 v10, 8, v39
	v_add_u32_e32 v18, v11, v17
	v_and_b32_e32 v10, 1, v10
	v_sub_u32_e32 v18, v35, v18
	v_and_b32_e32 v12, 1, v41
	v_add_u32_e32 v18, 8, v18
	v_cmp_eq_u32_e32 vcc, 1, v10
	v_cndmask_b32_e32 v10, v18, v17, vcc
	v_cmp_eq_u32_e32 vcc, 1, v12
	v_add_u32_e32 v60, v65, v60
	v_cndmask_b32_e32 v10, v10, v11, vcc
	v_add_u32_e32 v59, v69, v59
	v_lshlrev_b32_e32 v10, 2, v10
	v_sub_u32_e32 v11, v60, v8
	ds_write_b32 v10, v15
	v_sub_u32_e32 v10, v59, v7
	v_add_u32_e32 v11, v11, v5
	v_add_u32_e32 v15, v10, v11
	v_lshrrev_b32_e32 v9, 8, v41
	v_and_b32_sdwa v12, v27, v39 dst_sel:DWORD dst_unused:UNUSED_PAD src0_sel:DWORD src1_sel:WORD_1
	v_sub_u32_e32 v15, v35, v15
	v_and_b32_e32 v9, 1, v9
	v_add_u32_e32 v15, 9, v15
	v_cmp_eq_u32_e32 vcc, 1, v12
	v_cndmask_b32_e32 v11, v15, v11, vcc
	v_cmp_eq_u32_e32 vcc, 1, v9
	v_add_u32_e32 v66, v60, v66
	v_cndmask_b32_e32 v9, v11, v10, vcc
	v_add_u32_e32 v52, v59, v52
	v_lshlrev_b32_e32 v9, 2, v9
	v_sub_u32_e32 v11, v66, v8
	ds_write_b32 v9, v16
	v_sub_u32_e32 v9, v52, v7
	v_add_u32_e32 v11, v11, v5
	v_add_u32_e32 v15, v9, v11
	v_and_b32_e32 v12, 1, v45
	v_sub_u32_e32 v15, v35, v15
	v_and_b32_sdwa v10, v27, v41 dst_sel:DWORD dst_unused:UNUSED_PAD src0_sel:DWORD src1_sel:WORD_1
	v_add_u32_e32 v15, 10, v15
	v_cmp_eq_u32_e32 vcc, 1, v12
	v_cndmask_b32_e32 v11, v15, v11, vcc
	v_cmp_eq_u32_e32 vcc, 1, v10
	v_add_u32_e32 v70, v66, v45
	v_cndmask_b32_e32 v9, v11, v9, vcc
	v_add_u32_e32 v61, v52, v61
	v_lshlrev_b32_e32 v9, 2, v9
	v_sub_u32_e32 v11, v70, v8
	ds_write_b32 v9, v13
	v_sub_u32_e32 v9, v61, v7
	v_add_u32_e32 v11, v11, v5
	v_add_u32_e32 v13, v9, v11
	v_and_b32_e32 v12, 1, v40
	v_sub_u32_e32 v13, v35, v13
	v_add_u32_e32 v67, v70, v67
	v_and_b32_e32 v10, 1, v44
	v_add_u32_e32 v13, 11, v13
	v_cmp_eq_u32_e32 vcc, 1, v12
	v_add_u32_e32 v71, v61, v44
	v_cndmask_b32_e32 v11, v13, v11, vcc
	v_cmp_eq_u32_e32 vcc, 1, v10
	v_sub_u32_e32 v10, v67, v8
	v_sub_u32_e32 v7, v71, v7
	v_add_u32_e32 v10, v10, v5
	v_cndmask_b32_e32 v9, v11, v9, vcc
	v_add_u32_e32 v12, v7, v10
	v_lshlrev_b32_e32 v9, 2, v9
	v_and_b32_e32 v11, 1, v43
	v_sub_u32_e32 v12, v35, v12
	ds_write_b32 v9, v14
	v_and_b32_e32 v9, 1, v42
	v_add_u32_e32 v12, 12, v12
	v_cmp_eq_u32_e32 vcc, 1, v11
	v_cndmask_b32_e32 v10, v12, v10, vcc
	v_cmp_eq_u32_e32 vcc, 1, v9
	v_cndmask_b32_e32 v7, v10, v7, vcc
	v_lshlrev_b32_e32 v7, 2, v7
	ds_write_b32 v7, v34
	v_mov_b32_e32 v7, s53
	v_add_co_u32_e32 v9, vcc, s52, v33
	v_addc_co_u32_e32 v10, vcc, 0, v7, vcc
	v_add_co_u32_e32 v7, vcc, v6, v72
	v_addc_co_u32_e64 v11, s[4:5], 0, 0, vcc
	v_add_co_u32_e32 v7, vcc, v7, v29
	v_addc_co_u32_e32 v11, vcc, v11, v30, vcc
	v_add_co_u32_e32 v7, vcc, v7, v1
	v_addc_co_u32_e32 v11, vcc, v11, v2, vcc
	v_sub_co_u32_e32 v7, vcc, v9, v7
	v_subb_co_u32_e32 v13, vcc, v10, v11, vcc
	v_lshlrev_b64 v[9:10], 2, v[29:30]
	v_mov_b32_e32 v11, s51
	v_add_co_u32_e32 v9, vcc, s50, v9
	v_addc_co_u32_e32 v10, vcc, v11, v10, vcc
	v_lshlrev_b64 v[11:12], 2, v[1:2]
	v_mov_b32_e32 v15, s49
	v_add_co_u32_e32 v11, vcc, s48, v11
	v_addc_co_u32_e32 v12, vcc, v15, v12, vcc
	v_add_u32_e32 v14, v5, v6
	s_and_b64 vcc, exec, s[2:3]
	s_mov_b64 s[2:3], -1
	s_waitcnt lgkmcnt(0)
	s_barrier
	s_cbranch_vccz .LBB2013_155
; %bb.152:
	s_and_b64 vcc, exec, s[2:3]
	s_cbranch_vccnz .LBB2013_260
.LBB2013_153:
	s_and_b64 s[0:1], s[0:1], s[34:35]
	s_and_saveexec_b64 s[2:3], s[0:1]
	s_cbranch_execnz .LBB2013_378
.LBB2013_154:
	s_endpgm
.LBB2013_155:
	v_cmp_ge_u32_e32 vcc, v0, v5
	s_and_saveexec_b64 s[2:3], vcc
	s_xor_b64 s[2:3], exec, s[2:3]
	s_cbranch_execz .LBB2013_161
; %bb.156:
	v_cmp_ge_u32_e32 vcc, v0, v14
	s_and_saveexec_b64 s[4:5], vcc
	s_xor_b64 s[4:5], exec, s[4:5]
	s_cbranch_execz .LBB2013_158
; %bb.157:
	v_add_co_u32_e32 v15, vcc, v7, v0
	v_lshlrev_b32_e32 v17, 2, v0
	v_addc_co_u32_e32 v16, vcc, 0, v13, vcc
	ds_read_b32 v17, v17
	v_lshlrev_b64 v[15:16], 2, v[15:16]
	v_mov_b32_e32 v18, s31
	v_sub_co_u32_e32 v15, vcc, s30, v15
	v_subb_co_u32_e32 v16, vcc, v18, v16, vcc
	s_waitcnt lgkmcnt(0)
	global_store_dword v[15:16], v17, off offset:-4
.LBB2013_158:
	s_andn2_saveexec_b64 s[4:5], s[4:5]
	s_cbranch_execz .LBB2013_160
; %bb.159:
	v_lshlrev_b32_e32 v15, 2, v0
	ds_read_b32 v16, v15
	v_readfirstlane_b32 s6, v9
	v_readfirstlane_b32 s7, v10
	s_waitcnt lgkmcnt(0)
	s_nop 3
	global_store_dword v15, v16, s[6:7]
.LBB2013_160:
	s_or_b64 exec, exec, s[4:5]
.LBB2013_161:
	s_andn2_saveexec_b64 s[2:3], s[2:3]
	s_cbranch_execz .LBB2013_163
; %bb.162:
	v_lshlrev_b32_e32 v15, 2, v0
	ds_read_b32 v16, v15
	v_readfirstlane_b32 s4, v11
	v_readfirstlane_b32 s5, v12
	s_waitcnt lgkmcnt(0)
	s_nop 3
	global_store_dword v15, v16, s[4:5]
.LBB2013_163:
	s_or_b64 exec, exec, s[2:3]
	v_or_b32_e32 v15, 0x100, v0
	v_cmp_ge_u32_e32 vcc, v15, v5
	s_and_saveexec_b64 s[2:3], vcc
	s_xor_b64 s[2:3], exec, s[2:3]
	s_cbranch_execz .LBB2013_169
; %bb.164:
	v_cmp_ge_u32_e32 vcc, v15, v14
	s_and_saveexec_b64 s[4:5], vcc
	s_xor_b64 s[4:5], exec, s[4:5]
	s_cbranch_execz .LBB2013_166
; %bb.165:
	v_lshlrev_b32_e32 v15, 2, v0
	ds_read_b32 v17, v15 offset:1024
	v_add_co_u32_e32 v15, vcc, v7, v0
	v_addc_co_u32_e32 v16, vcc, 0, v13, vcc
	v_lshlrev_b64 v[15:16], 2, v[15:16]
	v_mov_b32_e32 v18, s31
	v_sub_co_u32_e32 v15, vcc, s30, v15
	v_subb_co_u32_e32 v16, vcc, v18, v16, vcc
	s_waitcnt lgkmcnt(0)
	global_store_dword v[15:16], v17, off offset:-1028
.LBB2013_166:
	s_andn2_saveexec_b64 s[4:5], s[4:5]
	s_cbranch_execz .LBB2013_168
; %bb.167:
	v_lshlrev_b32_e32 v15, 2, v0
	ds_read_b32 v16, v15 offset:1024
	v_readfirstlane_b32 s6, v9
	v_readfirstlane_b32 s7, v10
	s_waitcnt lgkmcnt(0)
	s_nop 3
	global_store_dword v15, v16, s[6:7] offset:1024
.LBB2013_168:
	s_or_b64 exec, exec, s[4:5]
.LBB2013_169:
	s_andn2_saveexec_b64 s[2:3], s[2:3]
	s_cbranch_execz .LBB2013_171
; %bb.170:
	v_lshlrev_b32_e32 v15, 2, v0
	ds_read_b32 v16, v15 offset:1024
	v_readfirstlane_b32 s4, v11
	v_readfirstlane_b32 s5, v12
	s_waitcnt lgkmcnt(0)
	s_nop 3
	global_store_dword v15, v16, s[4:5] offset:1024
.LBB2013_171:
	s_or_b64 exec, exec, s[2:3]
	v_or_b32_e32 v15, 0x200, v0
	v_cmp_ge_u32_e32 vcc, v15, v5
	s_and_saveexec_b64 s[2:3], vcc
	s_xor_b64 s[2:3], exec, s[2:3]
	s_cbranch_execz .LBB2013_177
; %bb.172:
	v_cmp_ge_u32_e32 vcc, v15, v14
	s_and_saveexec_b64 s[4:5], vcc
	s_xor_b64 s[4:5], exec, s[4:5]
	s_cbranch_execz .LBB2013_174
; %bb.173:
	v_lshlrev_b32_e32 v15, 2, v0
	ds_read_b32 v17, v15 offset:2048
	v_add_co_u32_e32 v15, vcc, v7, v0
	v_addc_co_u32_e32 v16, vcc, 0, v13, vcc
	v_lshlrev_b64 v[15:16], 2, v[15:16]
	v_mov_b32_e32 v18, s31
	v_sub_co_u32_e32 v15, vcc, s30, v15
	v_subb_co_u32_e32 v16, vcc, v18, v16, vcc
	s_waitcnt lgkmcnt(0)
	global_store_dword v[15:16], v17, off offset:-2052
.LBB2013_174:
	s_andn2_saveexec_b64 s[4:5], s[4:5]
	s_cbranch_execz .LBB2013_176
; %bb.175:
	v_lshlrev_b32_e32 v15, 2, v0
	ds_read_b32 v16, v15 offset:2048
	v_readfirstlane_b32 s6, v9
	v_readfirstlane_b32 s7, v10
	s_waitcnt lgkmcnt(0)
	s_nop 3
	global_store_dword v15, v16, s[6:7] offset:2048
.LBB2013_176:
	s_or_b64 exec, exec, s[4:5]
.LBB2013_177:
	s_andn2_saveexec_b64 s[2:3], s[2:3]
	s_cbranch_execz .LBB2013_179
; %bb.178:
	v_lshlrev_b32_e32 v15, 2, v0
	ds_read_b32 v16, v15 offset:2048
	v_readfirstlane_b32 s4, v11
	v_readfirstlane_b32 s5, v12
	s_waitcnt lgkmcnt(0)
	s_nop 3
	global_store_dword v15, v16, s[4:5] offset:2048
.LBB2013_179:
	;; [unrolled: 47-line block ×3, first 2 shown]
	s_or_b64 exec, exec, s[2:3]
	v_or_b32_e32 v15, 0x400, v0
	v_cmp_ge_u32_e32 vcc, v15, v5
	s_and_saveexec_b64 s[2:3], vcc
	s_xor_b64 s[2:3], exec, s[2:3]
	s_cbranch_execz .LBB2013_193
; %bb.188:
	v_cmp_ge_u32_e32 vcc, v15, v14
	s_and_saveexec_b64 s[4:5], vcc
	s_xor_b64 s[4:5], exec, s[4:5]
	s_cbranch_execz .LBB2013_190
; %bb.189:
	v_lshlrev_b32_e32 v15, 2, v0
	ds_read_b32 v17, v15 offset:4096
	v_add_co_u32_e32 v15, vcc, v7, v0
	v_addc_co_u32_e32 v16, vcc, 0, v13, vcc
	v_lshlrev_b64 v[15:16], 2, v[15:16]
	v_mov_b32_e32 v18, s31
	v_sub_co_u32_e32 v15, vcc, s30, v15
	v_subb_co_u32_e32 v16, vcc, v18, v16, vcc
	v_add_co_u32_e32 v15, vcc, 0xfffff000, v15
	v_addc_co_u32_e32 v16, vcc, -1, v16, vcc
	s_waitcnt lgkmcnt(0)
	global_store_dword v[15:16], v17, off offset:-4
                                        ; implicit-def: $vgpr15
.LBB2013_190:
	s_andn2_saveexec_b64 s[4:5], s[4:5]
	s_cbranch_execz .LBB2013_192
; %bb.191:
	v_lshlrev_b32_e32 v16, 2, v0
	ds_read_b32 v16, v16 offset:4096
	v_lshlrev_b32_e32 v15, 2, v15
	v_readfirstlane_b32 s6, v9
	v_readfirstlane_b32 s7, v10
	s_waitcnt lgkmcnt(0)
	s_nop 3
	global_store_dword v15, v16, s[6:7]
.LBB2013_192:
	s_or_b64 exec, exec, s[4:5]
                                        ; implicit-def: $vgpr15
.LBB2013_193:
	s_andn2_saveexec_b64 s[2:3], s[2:3]
	s_cbranch_execz .LBB2013_195
; %bb.194:
	v_lshlrev_b32_e32 v16, 2, v0
	ds_read_b32 v16, v16 offset:4096
	v_lshlrev_b32_e32 v15, 2, v15
	v_readfirstlane_b32 s4, v11
	v_readfirstlane_b32 s5, v12
	s_waitcnt lgkmcnt(0)
	s_nop 3
	global_store_dword v15, v16, s[4:5]
.LBB2013_195:
	s_or_b64 exec, exec, s[2:3]
	v_or_b32_e32 v15, 0x500, v0
	v_cmp_ge_u32_e32 vcc, v15, v5
	s_and_saveexec_b64 s[2:3], vcc
	s_xor_b64 s[2:3], exec, s[2:3]
	s_cbranch_execz .LBB2013_201
; %bb.196:
	v_cmp_ge_u32_e32 vcc, v15, v14
	s_and_saveexec_b64 s[4:5], vcc
	s_xor_b64 s[4:5], exec, s[4:5]
	s_cbranch_execz .LBB2013_198
; %bb.197:
	v_add_co_u32_e32 v15, vcc, v7, v15
	v_lshlrev_b32_e32 v17, 2, v0
	v_addc_co_u32_e32 v16, vcc, 0, v13, vcc
	ds_read_b32 v17, v17 offset:5120
	v_lshlrev_b64 v[15:16], 2, v[15:16]
	v_mov_b32_e32 v18, s31
	v_sub_co_u32_e32 v15, vcc, s30, v15
	v_subb_co_u32_e32 v16, vcc, v18, v16, vcc
	s_waitcnt lgkmcnt(0)
	global_store_dword v[15:16], v17, off offset:-4
                                        ; implicit-def: $vgpr15
.LBB2013_198:
	s_andn2_saveexec_b64 s[4:5], s[4:5]
	s_cbranch_execz .LBB2013_200
; %bb.199:
	v_lshlrev_b32_e32 v16, 2, v0
	ds_read_b32 v16, v16 offset:5120
	v_lshlrev_b32_e32 v15, 2, v15
	v_readfirstlane_b32 s6, v9
	v_readfirstlane_b32 s7, v10
	s_waitcnt lgkmcnt(0)
	s_nop 3
	global_store_dword v15, v16, s[6:7]
.LBB2013_200:
	s_or_b64 exec, exec, s[4:5]
                                        ; implicit-def: $vgpr15
.LBB2013_201:
	s_andn2_saveexec_b64 s[2:3], s[2:3]
	s_cbranch_execz .LBB2013_203
; %bb.202:
	v_lshlrev_b32_e32 v16, 2, v0
	ds_read_b32 v16, v16 offset:5120
	v_lshlrev_b32_e32 v15, 2, v15
	v_readfirstlane_b32 s4, v11
	v_readfirstlane_b32 s5, v12
	s_waitcnt lgkmcnt(0)
	s_nop 3
	global_store_dword v15, v16, s[4:5]
.LBB2013_203:
	s_or_b64 exec, exec, s[2:3]
	v_or_b32_e32 v15, 0x600, v0
	v_cmp_ge_u32_e32 vcc, v15, v5
	s_and_saveexec_b64 s[2:3], vcc
	s_xor_b64 s[2:3], exec, s[2:3]
	s_cbranch_execz .LBB2013_209
; %bb.204:
	v_cmp_ge_u32_e32 vcc, v15, v14
	s_and_saveexec_b64 s[4:5], vcc
	s_xor_b64 s[4:5], exec, s[4:5]
	s_cbranch_execz .LBB2013_206
; %bb.205:
	v_add_co_u32_e32 v15, vcc, v7, v15
	v_lshlrev_b32_e32 v17, 2, v0
	v_addc_co_u32_e32 v16, vcc, 0, v13, vcc
	ds_read_b32 v17, v17 offset:6144
	v_lshlrev_b64 v[15:16], 2, v[15:16]
	v_mov_b32_e32 v18, s31
	v_sub_co_u32_e32 v15, vcc, s30, v15
	v_subb_co_u32_e32 v16, vcc, v18, v16, vcc
	s_waitcnt lgkmcnt(0)
	global_store_dword v[15:16], v17, off offset:-4
                                        ; implicit-def: $vgpr15
.LBB2013_206:
	s_andn2_saveexec_b64 s[4:5], s[4:5]
	s_cbranch_execz .LBB2013_208
; %bb.207:
	v_lshlrev_b32_e32 v16, 2, v0
	ds_read_b32 v16, v16 offset:6144
	v_lshlrev_b32_e32 v15, 2, v15
	v_readfirstlane_b32 s6, v9
	v_readfirstlane_b32 s7, v10
	s_waitcnt lgkmcnt(0)
	s_nop 3
	global_store_dword v15, v16, s[6:7]
.LBB2013_208:
	s_or_b64 exec, exec, s[4:5]
                                        ; implicit-def: $vgpr15
.LBB2013_209:
	;; [unrolled: 51-line block ×8, first 2 shown]
	s_andn2_saveexec_b64 s[2:3], s[2:3]
	s_cbranch_execz .LBB2013_259
; %bb.258:
	v_lshlrev_b32_e32 v16, 2, v0
	ds_read_b32 v16, v16 offset:12288
	v_lshlrev_b32_e32 v15, 2, v15
	v_readfirstlane_b32 s4, v11
	v_readfirstlane_b32 s5, v12
	s_waitcnt lgkmcnt(0)
	s_nop 3
	global_store_dword v15, v16, s[4:5]
.LBB2013_259:
	s_or_b64 exec, exec, s[2:3]
	s_branch .LBB2013_153
.LBB2013_260:
	v_cmp_gt_u32_e32 vcc, s16, v0
	s_and_saveexec_b64 s[2:3], vcc
	s_cbranch_execz .LBB2013_269
; %bb.261:
	v_cmp_ge_u32_e32 vcc, v0, v5
	s_and_saveexec_b64 s[4:5], vcc
	s_xor_b64 s[4:5], exec, s[4:5]
	s_cbranch_execz .LBB2013_267
; %bb.262:
	v_cmp_ge_u32_e32 vcc, v0, v14
	s_and_saveexec_b64 s[6:7], vcc
	s_xor_b64 s[6:7], exec, s[6:7]
	s_cbranch_execz .LBB2013_264
; %bb.263:
	v_add_co_u32_e32 v15, vcc, v7, v0
	v_lshlrev_b32_e32 v17, 2, v0
	v_addc_co_u32_e32 v16, vcc, 0, v13, vcc
	ds_read_b32 v17, v17
	v_lshlrev_b64 v[15:16], 2, v[15:16]
	v_mov_b32_e32 v18, s31
	v_sub_co_u32_e32 v15, vcc, s30, v15
	v_subb_co_u32_e32 v16, vcc, v18, v16, vcc
	s_waitcnt lgkmcnt(0)
	global_store_dword v[15:16], v17, off offset:-4
.LBB2013_264:
	s_andn2_saveexec_b64 s[6:7], s[6:7]
	s_cbranch_execz .LBB2013_266
; %bb.265:
	v_lshlrev_b32_e32 v15, 2, v0
	ds_read_b32 v16, v15
	v_readfirstlane_b32 s8, v9
	v_readfirstlane_b32 s9, v10
	s_waitcnt lgkmcnt(0)
	s_nop 3
	global_store_dword v15, v16, s[8:9]
.LBB2013_266:
	s_or_b64 exec, exec, s[6:7]
.LBB2013_267:
	s_andn2_saveexec_b64 s[4:5], s[4:5]
	s_cbranch_execz .LBB2013_269
; %bb.268:
	v_lshlrev_b32_e32 v15, 2, v0
	ds_read_b32 v16, v15
	v_readfirstlane_b32 s4, v11
	v_readfirstlane_b32 s5, v12
	s_waitcnt lgkmcnt(0)
	s_nop 3
	global_store_dword v15, v16, s[4:5]
.LBB2013_269:
	s_or_b64 exec, exec, s[2:3]
	v_or_b32_e32 v15, 0x100, v0
	v_cmp_gt_u32_e32 vcc, s16, v15
	s_and_saveexec_b64 s[2:3], vcc
	s_cbranch_execz .LBB2013_278
; %bb.270:
	v_cmp_ge_u32_e32 vcc, v15, v5
	s_and_saveexec_b64 s[4:5], vcc
	s_xor_b64 s[4:5], exec, s[4:5]
	s_cbranch_execz .LBB2013_276
; %bb.271:
	v_cmp_ge_u32_e32 vcc, v15, v14
	s_and_saveexec_b64 s[6:7], vcc
	s_xor_b64 s[6:7], exec, s[6:7]
	s_cbranch_execz .LBB2013_273
; %bb.272:
	v_lshlrev_b32_e32 v15, 2, v0
	ds_read_b32 v17, v15 offset:1024
	v_add_co_u32_e32 v15, vcc, v7, v0
	v_addc_co_u32_e32 v16, vcc, 0, v13, vcc
	v_lshlrev_b64 v[15:16], 2, v[15:16]
	v_mov_b32_e32 v18, s31
	v_sub_co_u32_e32 v15, vcc, s30, v15
	v_subb_co_u32_e32 v16, vcc, v18, v16, vcc
	s_waitcnt lgkmcnt(0)
	global_store_dword v[15:16], v17, off offset:-1028
.LBB2013_273:
	s_andn2_saveexec_b64 s[6:7], s[6:7]
	s_cbranch_execz .LBB2013_275
; %bb.274:
	v_lshlrev_b32_e32 v15, 2, v0
	ds_read_b32 v16, v15 offset:1024
	v_readfirstlane_b32 s8, v9
	v_readfirstlane_b32 s9, v10
	s_waitcnt lgkmcnt(0)
	s_nop 3
	global_store_dword v15, v16, s[8:9] offset:1024
.LBB2013_275:
	s_or_b64 exec, exec, s[6:7]
.LBB2013_276:
	s_andn2_saveexec_b64 s[4:5], s[4:5]
	s_cbranch_execz .LBB2013_278
; %bb.277:
	v_lshlrev_b32_e32 v15, 2, v0
	ds_read_b32 v16, v15 offset:1024
	v_readfirstlane_b32 s4, v11
	v_readfirstlane_b32 s5, v12
	s_waitcnt lgkmcnt(0)
	s_nop 3
	global_store_dword v15, v16, s[4:5] offset:1024
.LBB2013_278:
	s_or_b64 exec, exec, s[2:3]
	v_or_b32_e32 v15, 0x200, v0
	v_cmp_gt_u32_e32 vcc, s16, v15
	s_and_saveexec_b64 s[2:3], vcc
	s_cbranch_execz .LBB2013_287
; %bb.279:
	v_cmp_ge_u32_e32 vcc, v15, v5
	s_and_saveexec_b64 s[4:5], vcc
	s_xor_b64 s[4:5], exec, s[4:5]
	s_cbranch_execz .LBB2013_285
; %bb.280:
	v_cmp_ge_u32_e32 vcc, v15, v14
	s_and_saveexec_b64 s[6:7], vcc
	s_xor_b64 s[6:7], exec, s[6:7]
	s_cbranch_execz .LBB2013_282
; %bb.281:
	v_lshlrev_b32_e32 v15, 2, v0
	ds_read_b32 v17, v15 offset:2048
	v_add_co_u32_e32 v15, vcc, v7, v0
	v_addc_co_u32_e32 v16, vcc, 0, v13, vcc
	v_lshlrev_b64 v[15:16], 2, v[15:16]
	v_mov_b32_e32 v18, s31
	v_sub_co_u32_e32 v15, vcc, s30, v15
	v_subb_co_u32_e32 v16, vcc, v18, v16, vcc
	s_waitcnt lgkmcnt(0)
	global_store_dword v[15:16], v17, off offset:-2052
.LBB2013_282:
	s_andn2_saveexec_b64 s[6:7], s[6:7]
	s_cbranch_execz .LBB2013_284
; %bb.283:
	v_lshlrev_b32_e32 v15, 2, v0
	ds_read_b32 v16, v15 offset:2048
	v_readfirstlane_b32 s8, v9
	v_readfirstlane_b32 s9, v10
	s_waitcnt lgkmcnt(0)
	s_nop 3
	global_store_dword v15, v16, s[8:9] offset:2048
.LBB2013_284:
	s_or_b64 exec, exec, s[6:7]
.LBB2013_285:
	s_andn2_saveexec_b64 s[4:5], s[4:5]
	s_cbranch_execz .LBB2013_287
; %bb.286:
	v_lshlrev_b32_e32 v15, 2, v0
	ds_read_b32 v16, v15 offset:2048
	v_readfirstlane_b32 s4, v11
	v_readfirstlane_b32 s5, v12
	s_waitcnt lgkmcnt(0)
	s_nop 3
	global_store_dword v15, v16, s[4:5] offset:2048
.LBB2013_287:
	;; [unrolled: 51-line block ×3, first 2 shown]
	s_or_b64 exec, exec, s[2:3]
	v_or_b32_e32 v15, 0x400, v0
	v_cmp_gt_u32_e32 vcc, s16, v15
	s_and_saveexec_b64 s[2:3], vcc
	s_cbranch_execz .LBB2013_305
; %bb.297:
	v_cmp_ge_u32_e32 vcc, v15, v5
	s_and_saveexec_b64 s[4:5], vcc
	s_xor_b64 s[4:5], exec, s[4:5]
	s_cbranch_execz .LBB2013_303
; %bb.298:
	v_cmp_ge_u32_e32 vcc, v15, v14
	s_and_saveexec_b64 s[6:7], vcc
	s_xor_b64 s[6:7], exec, s[6:7]
	s_cbranch_execz .LBB2013_300
; %bb.299:
	v_lshlrev_b32_e32 v15, 2, v0
	ds_read_b32 v17, v15 offset:4096
	v_add_co_u32_e32 v15, vcc, v7, v0
	v_addc_co_u32_e32 v16, vcc, 0, v13, vcc
	v_lshlrev_b64 v[15:16], 2, v[15:16]
	v_mov_b32_e32 v18, s31
	v_sub_co_u32_e32 v15, vcc, s30, v15
	v_subb_co_u32_e32 v16, vcc, v18, v16, vcc
	v_add_co_u32_e32 v15, vcc, 0xfffff000, v15
	v_addc_co_u32_e32 v16, vcc, -1, v16, vcc
	s_waitcnt lgkmcnt(0)
	global_store_dword v[15:16], v17, off offset:-4
                                        ; implicit-def: $vgpr15
.LBB2013_300:
	s_andn2_saveexec_b64 s[6:7], s[6:7]
	s_cbranch_execz .LBB2013_302
; %bb.301:
	v_lshlrev_b32_e32 v16, 2, v0
	ds_read_b32 v16, v16 offset:4096
	v_lshlrev_b32_e32 v15, 2, v15
	v_readfirstlane_b32 s8, v9
	v_readfirstlane_b32 s9, v10
	s_waitcnt lgkmcnt(0)
	s_nop 3
	global_store_dword v15, v16, s[8:9]
.LBB2013_302:
	s_or_b64 exec, exec, s[6:7]
                                        ; implicit-def: $vgpr15
.LBB2013_303:
	s_andn2_saveexec_b64 s[4:5], s[4:5]
	s_cbranch_execz .LBB2013_305
; %bb.304:
	v_lshlrev_b32_e32 v16, 2, v0
	ds_read_b32 v16, v16 offset:4096
	v_lshlrev_b32_e32 v15, 2, v15
	v_readfirstlane_b32 s4, v11
	v_readfirstlane_b32 s5, v12
	s_waitcnt lgkmcnt(0)
	s_nop 3
	global_store_dword v15, v16, s[4:5]
.LBB2013_305:
	s_or_b64 exec, exec, s[2:3]
	v_or_b32_e32 v15, 0x500, v0
	v_cmp_gt_u32_e32 vcc, s16, v15
	s_and_saveexec_b64 s[2:3], vcc
	s_cbranch_execz .LBB2013_314
; %bb.306:
	v_cmp_ge_u32_e32 vcc, v15, v5
	s_and_saveexec_b64 s[4:5], vcc
	s_xor_b64 s[4:5], exec, s[4:5]
	s_cbranch_execz .LBB2013_312
; %bb.307:
	v_cmp_ge_u32_e32 vcc, v15, v14
	s_and_saveexec_b64 s[6:7], vcc
	s_xor_b64 s[6:7], exec, s[6:7]
	s_cbranch_execz .LBB2013_309
; %bb.308:
	v_add_co_u32_e32 v15, vcc, v7, v15
	v_lshlrev_b32_e32 v17, 2, v0
	v_addc_co_u32_e32 v16, vcc, 0, v13, vcc
	ds_read_b32 v17, v17 offset:5120
	v_lshlrev_b64 v[15:16], 2, v[15:16]
	v_mov_b32_e32 v18, s31
	v_sub_co_u32_e32 v15, vcc, s30, v15
	v_subb_co_u32_e32 v16, vcc, v18, v16, vcc
	s_waitcnt lgkmcnt(0)
	global_store_dword v[15:16], v17, off offset:-4
                                        ; implicit-def: $vgpr15
.LBB2013_309:
	s_andn2_saveexec_b64 s[6:7], s[6:7]
	s_cbranch_execz .LBB2013_311
; %bb.310:
	v_lshlrev_b32_e32 v16, 2, v0
	ds_read_b32 v16, v16 offset:5120
	v_lshlrev_b32_e32 v15, 2, v15
	v_readfirstlane_b32 s8, v9
	v_readfirstlane_b32 s9, v10
	s_waitcnt lgkmcnt(0)
	s_nop 3
	global_store_dword v15, v16, s[8:9]
.LBB2013_311:
	s_or_b64 exec, exec, s[6:7]
                                        ; implicit-def: $vgpr15
.LBB2013_312:
	s_andn2_saveexec_b64 s[4:5], s[4:5]
	s_cbranch_execz .LBB2013_314
; %bb.313:
	v_lshlrev_b32_e32 v16, 2, v0
	ds_read_b32 v16, v16 offset:5120
	v_lshlrev_b32_e32 v15, 2, v15
	v_readfirstlane_b32 s4, v11
	v_readfirstlane_b32 s5, v12
	s_waitcnt lgkmcnt(0)
	s_nop 3
	global_store_dword v15, v16, s[4:5]
.LBB2013_314:
	s_or_b64 exec, exec, s[2:3]
	v_or_b32_e32 v15, 0x600, v0
	v_cmp_gt_u32_e32 vcc, s16, v15
	s_and_saveexec_b64 s[2:3], vcc
	s_cbranch_execz .LBB2013_323
; %bb.315:
	v_cmp_ge_u32_e32 vcc, v15, v5
	s_and_saveexec_b64 s[4:5], vcc
	s_xor_b64 s[4:5], exec, s[4:5]
	s_cbranch_execz .LBB2013_321
; %bb.316:
	v_cmp_ge_u32_e32 vcc, v15, v14
	s_and_saveexec_b64 s[6:7], vcc
	s_xor_b64 s[6:7], exec, s[6:7]
	s_cbranch_execz .LBB2013_318
; %bb.317:
	v_add_co_u32_e32 v15, vcc, v7, v15
	v_lshlrev_b32_e32 v17, 2, v0
	v_addc_co_u32_e32 v16, vcc, 0, v13, vcc
	ds_read_b32 v17, v17 offset:6144
	v_lshlrev_b64 v[15:16], 2, v[15:16]
	v_mov_b32_e32 v18, s31
	v_sub_co_u32_e32 v15, vcc, s30, v15
	v_subb_co_u32_e32 v16, vcc, v18, v16, vcc
	s_waitcnt lgkmcnt(0)
	global_store_dword v[15:16], v17, off offset:-4
                                        ; implicit-def: $vgpr15
.LBB2013_318:
	s_andn2_saveexec_b64 s[6:7], s[6:7]
	s_cbranch_execz .LBB2013_320
; %bb.319:
	v_lshlrev_b32_e32 v16, 2, v0
	ds_read_b32 v16, v16 offset:6144
	v_lshlrev_b32_e32 v15, 2, v15
	v_readfirstlane_b32 s8, v9
	v_readfirstlane_b32 s9, v10
	s_waitcnt lgkmcnt(0)
	s_nop 3
	global_store_dword v15, v16, s[8:9]
.LBB2013_320:
	s_or_b64 exec, exec, s[6:7]
                                        ; implicit-def: $vgpr15
.LBB2013_321:
	s_andn2_saveexec_b64 s[4:5], s[4:5]
	s_cbranch_execz .LBB2013_323
; %bb.322:
	v_lshlrev_b32_e32 v16, 2, v0
	ds_read_b32 v16, v16 offset:6144
	v_lshlrev_b32_e32 v15, 2, v15
	v_readfirstlane_b32 s4, v11
	v_readfirstlane_b32 s5, v12
	s_waitcnt lgkmcnt(0)
	s_nop 3
	global_store_dword v15, v16, s[4:5]
.LBB2013_323:
	;; [unrolled: 55-line block ×7, first 2 shown]
	s_or_b64 exec, exec, s[2:3]
	v_or_b32_e32 v15, 0xc00, v0
	v_cmp_gt_u32_e32 vcc, s16, v15
	s_and_saveexec_b64 s[2:3], vcc
	s_cbranch_execz .LBB2013_377
; %bb.369:
	v_cmp_ge_u32_e32 vcc, v15, v5
	s_and_saveexec_b64 s[4:5], vcc
	s_xor_b64 s[4:5], exec, s[4:5]
	s_cbranch_execz .LBB2013_375
; %bb.370:
	v_cmp_ge_u32_e32 vcc, v15, v14
	s_and_saveexec_b64 s[6:7], vcc
	s_xor_b64 s[6:7], exec, s[6:7]
	s_cbranch_execz .LBB2013_372
; %bb.371:
	v_add_co_u32_e32 v9, vcc, v7, v15
	v_lshlrev_b32_e32 v0, 2, v0
	v_addc_co_u32_e32 v10, vcc, 0, v13, vcc
	ds_read_b32 v0, v0 offset:12288
	v_lshlrev_b64 v[9:10], 2, v[9:10]
	v_mov_b32_e32 v7, s31
	v_sub_co_u32_e32 v9, vcc, s30, v9
	v_subb_co_u32_e32 v10, vcc, v7, v10, vcc
	s_waitcnt lgkmcnt(0)
	global_store_dword v[9:10], v0, off offset:-4
                                        ; implicit-def: $vgpr0
                                        ; implicit-def: $vgpr15
                                        ; implicit-def: $vgpr9_vgpr10
.LBB2013_372:
	s_andn2_saveexec_b64 s[6:7], s[6:7]
	s_cbranch_execz .LBB2013_374
; %bb.373:
	v_lshlrev_b32_e32 v0, 2, v0
	ds_read_b32 v0, v0 offset:12288
	v_lshlrev_b32_e32 v7, 2, v15
	v_readfirstlane_b32 s8, v9
	v_readfirstlane_b32 s9, v10
	s_waitcnt lgkmcnt(0)
	s_nop 3
	global_store_dword v7, v0, s[8:9]
.LBB2013_374:
	s_or_b64 exec, exec, s[6:7]
                                        ; implicit-def: $vgpr0
                                        ; implicit-def: $vgpr15
                                        ; implicit-def: $vgpr11_vgpr12
.LBB2013_375:
	s_andn2_saveexec_b64 s[4:5], s[4:5]
	s_cbranch_execz .LBB2013_377
; %bb.376:
	v_lshlrev_b32_e32 v0, 2, v0
	ds_read_b32 v0, v0 offset:12288
	v_lshlrev_b32_e32 v7, 2, v15
	v_readfirstlane_b32 s4, v11
	v_readfirstlane_b32 s5, v12
	s_waitcnt lgkmcnt(0)
	s_nop 3
	global_store_dword v7, v0, s[4:5]
.LBB2013_377:
	s_or_b64 exec, exec, s[2:3]
	s_and_b64 s[0:1], s[0:1], s[34:35]
	s_and_saveexec_b64 s[2:3], s[0:1]
	s_cbranch_execz .LBB2013_154
.LBB2013_378:
	v_add_co_u32_e32 v3, vcc, v3, v6
	v_addc_co_u32_e32 v4, vcc, 0, v4, vcc
	v_add_co_u32_e32 v3, vcc, v3, v8
	v_addc_co_u32_e32 v4, vcc, 0, v4, vcc
	v_add_co_u32_e32 v1, vcc, v1, v5
	v_mov_b32_e32 v0, 0
	v_addc_co_u32_e32 v2, vcc, 0, v2, vcc
	global_store_dwordx4 v0, v[1:4], s[44:45]
	s_endpgm
.LBB2013_379:
	s_add_i32 s14, s33, 64
	s_mov_b32 s15, 0
	s_lshl_b64 s[14:15], s[14:15], 4
	s_add_u32 s14, s54, s14
	s_addc_u32 s15, s55, s15
	v_mov_b32_e32 v28, s15
	v_add_u32_e32 v10, v8, v6
	v_add_u32_e32 v9, v7, v5
	v_mov_b32_e32 v11, 2
	v_mov_b32_e32 v12, 0
	v_mov_b32_e32 v27, s14
	;;#ASMSTART
	global_store_dwordx4 v[27:28], v[9:12] off	
s_waitcnt vmcnt(0)
	;;#ASMEND
	s_or_b64 exec, exec, s[12:13]
	s_and_saveexec_b64 s[12:13], s[8:9]
	s_cbranch_execz .LBB2013_139
.LBB2013_380:
	v_mov_b32_e32 v9, 0
	ds_write_b128 v9, v[5:8] offset:13312
	s_or_b64 exec, exec, s[12:13]
	s_and_b64 exec, exec, s[0:1]
	s_cbranch_execnz .LBB2013_140
	s_branch .LBB2013_141
	.section	.rodata,"a",@progbits
	.p2align	6, 0x0
	.amdhsa_kernel _ZN7rocprim17ROCPRIM_400000_NS6detail17trampoline_kernelINS0_13select_configILj256ELj13ELNS0_17block_load_methodE3ELS4_3ELS4_3ELNS0_20block_scan_algorithmE0ELj4294967295EEENS1_25partition_config_selectorILNS1_17partition_subalgoE4EjNS0_10empty_typeEbEEZZNS1_14partition_implILS8_4ELb0ES6_15HIP_vector_typeIjLj2EENS0_17counting_iteratorIjlEEPS9_SG_NS0_5tupleIJPjSI_NS0_16reverse_iteratorISI_EEEEENSH_IJSG_SG_SG_EEES9_SI_JZNS1_25segmented_radix_sort_implINS0_14default_configELb0EPK12hip_bfloat16PSP_PKlPlN2at6native12_GLOBAL__N_18offset_tEEE10hipError_tPvRmT1_PNSt15iterator_traitsIS13_E10value_typeET2_T3_PNS14_IS19_E10value_typeET4_jRbjT5_S1F_jjP12ihipStream_tbEUljE_ZNSN_ISO_Lb0ESR_SS_SU_SV_SZ_EES10_S11_S12_S13_S17_S18_S19_S1C_S1D_jS1E_jS1F_S1F_jjS1H_bEUljE0_EEES10_S11_S12_S19_S1D_S1F_T6_T7_T9_mT8_S1H_bDpT10_ENKUlT_T0_E_clISt17integral_constantIbLb0EES1U_IbLb1EEEEDaS1Q_S1R_EUlS1Q_E_NS1_11comp_targetILNS1_3genE2ELNS1_11target_archE906ELNS1_3gpuE6ELNS1_3repE0EEENS1_30default_config_static_selectorELNS0_4arch9wavefront6targetE1EEEvS13_
		.amdhsa_group_segment_fixed_size 13328
		.amdhsa_private_segment_fixed_size 0
		.amdhsa_kernarg_size 184
		.amdhsa_user_sgpr_count 6
		.amdhsa_user_sgpr_private_segment_buffer 1
		.amdhsa_user_sgpr_dispatch_ptr 0
		.amdhsa_user_sgpr_queue_ptr 0
		.amdhsa_user_sgpr_kernarg_segment_ptr 1
		.amdhsa_user_sgpr_dispatch_id 0
		.amdhsa_user_sgpr_flat_scratch_init 0
		.amdhsa_user_sgpr_private_segment_size 0
		.amdhsa_uses_dynamic_stack 0
		.amdhsa_system_sgpr_private_segment_wavefront_offset 0
		.amdhsa_system_sgpr_workgroup_id_x 1
		.amdhsa_system_sgpr_workgroup_id_y 0
		.amdhsa_system_sgpr_workgroup_id_z 0
		.amdhsa_system_sgpr_workgroup_info 0
		.amdhsa_system_vgpr_workitem_id 0
		.amdhsa_next_free_vgpr 91
		.amdhsa_next_free_sgpr 98
		.amdhsa_reserve_vcc 1
		.amdhsa_reserve_flat_scratch 0
		.amdhsa_float_round_mode_32 0
		.amdhsa_float_round_mode_16_64 0
		.amdhsa_float_denorm_mode_32 3
		.amdhsa_float_denorm_mode_16_64 3
		.amdhsa_dx10_clamp 1
		.amdhsa_ieee_mode 1
		.amdhsa_fp16_overflow 0
		.amdhsa_exception_fp_ieee_invalid_op 0
		.amdhsa_exception_fp_denorm_src 0
		.amdhsa_exception_fp_ieee_div_zero 0
		.amdhsa_exception_fp_ieee_overflow 0
		.amdhsa_exception_fp_ieee_underflow 0
		.amdhsa_exception_fp_ieee_inexact 0
		.amdhsa_exception_int_div_zero 0
	.end_amdhsa_kernel
	.section	.text._ZN7rocprim17ROCPRIM_400000_NS6detail17trampoline_kernelINS0_13select_configILj256ELj13ELNS0_17block_load_methodE3ELS4_3ELS4_3ELNS0_20block_scan_algorithmE0ELj4294967295EEENS1_25partition_config_selectorILNS1_17partition_subalgoE4EjNS0_10empty_typeEbEEZZNS1_14partition_implILS8_4ELb0ES6_15HIP_vector_typeIjLj2EENS0_17counting_iteratorIjlEEPS9_SG_NS0_5tupleIJPjSI_NS0_16reverse_iteratorISI_EEEEENSH_IJSG_SG_SG_EEES9_SI_JZNS1_25segmented_radix_sort_implINS0_14default_configELb0EPK12hip_bfloat16PSP_PKlPlN2at6native12_GLOBAL__N_18offset_tEEE10hipError_tPvRmT1_PNSt15iterator_traitsIS13_E10value_typeET2_T3_PNS14_IS19_E10value_typeET4_jRbjT5_S1F_jjP12ihipStream_tbEUljE_ZNSN_ISO_Lb0ESR_SS_SU_SV_SZ_EES10_S11_S12_S13_S17_S18_S19_S1C_S1D_jS1E_jS1F_S1F_jjS1H_bEUljE0_EEES10_S11_S12_S19_S1D_S1F_T6_T7_T9_mT8_S1H_bDpT10_ENKUlT_T0_E_clISt17integral_constantIbLb0EES1U_IbLb1EEEEDaS1Q_S1R_EUlS1Q_E_NS1_11comp_targetILNS1_3genE2ELNS1_11target_archE906ELNS1_3gpuE6ELNS1_3repE0EEENS1_30default_config_static_selectorELNS0_4arch9wavefront6targetE1EEEvS13_,"axG",@progbits,_ZN7rocprim17ROCPRIM_400000_NS6detail17trampoline_kernelINS0_13select_configILj256ELj13ELNS0_17block_load_methodE3ELS4_3ELS4_3ELNS0_20block_scan_algorithmE0ELj4294967295EEENS1_25partition_config_selectorILNS1_17partition_subalgoE4EjNS0_10empty_typeEbEEZZNS1_14partition_implILS8_4ELb0ES6_15HIP_vector_typeIjLj2EENS0_17counting_iteratorIjlEEPS9_SG_NS0_5tupleIJPjSI_NS0_16reverse_iteratorISI_EEEEENSH_IJSG_SG_SG_EEES9_SI_JZNS1_25segmented_radix_sort_implINS0_14default_configELb0EPK12hip_bfloat16PSP_PKlPlN2at6native12_GLOBAL__N_18offset_tEEE10hipError_tPvRmT1_PNSt15iterator_traitsIS13_E10value_typeET2_T3_PNS14_IS19_E10value_typeET4_jRbjT5_S1F_jjP12ihipStream_tbEUljE_ZNSN_ISO_Lb0ESR_SS_SU_SV_SZ_EES10_S11_S12_S13_S17_S18_S19_S1C_S1D_jS1E_jS1F_S1F_jjS1H_bEUljE0_EEES10_S11_S12_S19_S1D_S1F_T6_T7_T9_mT8_S1H_bDpT10_ENKUlT_T0_E_clISt17integral_constantIbLb0EES1U_IbLb1EEEEDaS1Q_S1R_EUlS1Q_E_NS1_11comp_targetILNS1_3genE2ELNS1_11target_archE906ELNS1_3gpuE6ELNS1_3repE0EEENS1_30default_config_static_selectorELNS0_4arch9wavefront6targetE1EEEvS13_,comdat
.Lfunc_end2013:
	.size	_ZN7rocprim17ROCPRIM_400000_NS6detail17trampoline_kernelINS0_13select_configILj256ELj13ELNS0_17block_load_methodE3ELS4_3ELS4_3ELNS0_20block_scan_algorithmE0ELj4294967295EEENS1_25partition_config_selectorILNS1_17partition_subalgoE4EjNS0_10empty_typeEbEEZZNS1_14partition_implILS8_4ELb0ES6_15HIP_vector_typeIjLj2EENS0_17counting_iteratorIjlEEPS9_SG_NS0_5tupleIJPjSI_NS0_16reverse_iteratorISI_EEEEENSH_IJSG_SG_SG_EEES9_SI_JZNS1_25segmented_radix_sort_implINS0_14default_configELb0EPK12hip_bfloat16PSP_PKlPlN2at6native12_GLOBAL__N_18offset_tEEE10hipError_tPvRmT1_PNSt15iterator_traitsIS13_E10value_typeET2_T3_PNS14_IS19_E10value_typeET4_jRbjT5_S1F_jjP12ihipStream_tbEUljE_ZNSN_ISO_Lb0ESR_SS_SU_SV_SZ_EES10_S11_S12_S13_S17_S18_S19_S1C_S1D_jS1E_jS1F_S1F_jjS1H_bEUljE0_EEES10_S11_S12_S19_S1D_S1F_T6_T7_T9_mT8_S1H_bDpT10_ENKUlT_T0_E_clISt17integral_constantIbLb0EES1U_IbLb1EEEEDaS1Q_S1R_EUlS1Q_E_NS1_11comp_targetILNS1_3genE2ELNS1_11target_archE906ELNS1_3gpuE6ELNS1_3repE0EEENS1_30default_config_static_selectorELNS0_4arch9wavefront6targetE1EEEvS13_, .Lfunc_end2013-_ZN7rocprim17ROCPRIM_400000_NS6detail17trampoline_kernelINS0_13select_configILj256ELj13ELNS0_17block_load_methodE3ELS4_3ELS4_3ELNS0_20block_scan_algorithmE0ELj4294967295EEENS1_25partition_config_selectorILNS1_17partition_subalgoE4EjNS0_10empty_typeEbEEZZNS1_14partition_implILS8_4ELb0ES6_15HIP_vector_typeIjLj2EENS0_17counting_iteratorIjlEEPS9_SG_NS0_5tupleIJPjSI_NS0_16reverse_iteratorISI_EEEEENSH_IJSG_SG_SG_EEES9_SI_JZNS1_25segmented_radix_sort_implINS0_14default_configELb0EPK12hip_bfloat16PSP_PKlPlN2at6native12_GLOBAL__N_18offset_tEEE10hipError_tPvRmT1_PNSt15iterator_traitsIS13_E10value_typeET2_T3_PNS14_IS19_E10value_typeET4_jRbjT5_S1F_jjP12ihipStream_tbEUljE_ZNSN_ISO_Lb0ESR_SS_SU_SV_SZ_EES10_S11_S12_S13_S17_S18_S19_S1C_S1D_jS1E_jS1F_S1F_jjS1H_bEUljE0_EEES10_S11_S12_S19_S1D_S1F_T6_T7_T9_mT8_S1H_bDpT10_ENKUlT_T0_E_clISt17integral_constantIbLb0EES1U_IbLb1EEEEDaS1Q_S1R_EUlS1Q_E_NS1_11comp_targetILNS1_3genE2ELNS1_11target_archE906ELNS1_3gpuE6ELNS1_3repE0EEENS1_30default_config_static_selectorELNS0_4arch9wavefront6targetE1EEEvS13_
                                        ; -- End function
	.set _ZN7rocprim17ROCPRIM_400000_NS6detail17trampoline_kernelINS0_13select_configILj256ELj13ELNS0_17block_load_methodE3ELS4_3ELS4_3ELNS0_20block_scan_algorithmE0ELj4294967295EEENS1_25partition_config_selectorILNS1_17partition_subalgoE4EjNS0_10empty_typeEbEEZZNS1_14partition_implILS8_4ELb0ES6_15HIP_vector_typeIjLj2EENS0_17counting_iteratorIjlEEPS9_SG_NS0_5tupleIJPjSI_NS0_16reverse_iteratorISI_EEEEENSH_IJSG_SG_SG_EEES9_SI_JZNS1_25segmented_radix_sort_implINS0_14default_configELb0EPK12hip_bfloat16PSP_PKlPlN2at6native12_GLOBAL__N_18offset_tEEE10hipError_tPvRmT1_PNSt15iterator_traitsIS13_E10value_typeET2_T3_PNS14_IS19_E10value_typeET4_jRbjT5_S1F_jjP12ihipStream_tbEUljE_ZNSN_ISO_Lb0ESR_SS_SU_SV_SZ_EES10_S11_S12_S13_S17_S18_S19_S1C_S1D_jS1E_jS1F_S1F_jjS1H_bEUljE0_EEES10_S11_S12_S19_S1D_S1F_T6_T7_T9_mT8_S1H_bDpT10_ENKUlT_T0_E_clISt17integral_constantIbLb0EES1U_IbLb1EEEEDaS1Q_S1R_EUlS1Q_E_NS1_11comp_targetILNS1_3genE2ELNS1_11target_archE906ELNS1_3gpuE6ELNS1_3repE0EEENS1_30default_config_static_selectorELNS0_4arch9wavefront6targetE1EEEvS13_.num_vgpr, 91
	.set _ZN7rocprim17ROCPRIM_400000_NS6detail17trampoline_kernelINS0_13select_configILj256ELj13ELNS0_17block_load_methodE3ELS4_3ELS4_3ELNS0_20block_scan_algorithmE0ELj4294967295EEENS1_25partition_config_selectorILNS1_17partition_subalgoE4EjNS0_10empty_typeEbEEZZNS1_14partition_implILS8_4ELb0ES6_15HIP_vector_typeIjLj2EENS0_17counting_iteratorIjlEEPS9_SG_NS0_5tupleIJPjSI_NS0_16reverse_iteratorISI_EEEEENSH_IJSG_SG_SG_EEES9_SI_JZNS1_25segmented_radix_sort_implINS0_14default_configELb0EPK12hip_bfloat16PSP_PKlPlN2at6native12_GLOBAL__N_18offset_tEEE10hipError_tPvRmT1_PNSt15iterator_traitsIS13_E10value_typeET2_T3_PNS14_IS19_E10value_typeET4_jRbjT5_S1F_jjP12ihipStream_tbEUljE_ZNSN_ISO_Lb0ESR_SS_SU_SV_SZ_EES10_S11_S12_S13_S17_S18_S19_S1C_S1D_jS1E_jS1F_S1F_jjS1H_bEUljE0_EEES10_S11_S12_S19_S1D_S1F_T6_T7_T9_mT8_S1H_bDpT10_ENKUlT_T0_E_clISt17integral_constantIbLb0EES1U_IbLb1EEEEDaS1Q_S1R_EUlS1Q_E_NS1_11comp_targetILNS1_3genE2ELNS1_11target_archE906ELNS1_3gpuE6ELNS1_3repE0EEENS1_30default_config_static_selectorELNS0_4arch9wavefront6targetE1EEEvS13_.num_agpr, 0
	.set _ZN7rocprim17ROCPRIM_400000_NS6detail17trampoline_kernelINS0_13select_configILj256ELj13ELNS0_17block_load_methodE3ELS4_3ELS4_3ELNS0_20block_scan_algorithmE0ELj4294967295EEENS1_25partition_config_selectorILNS1_17partition_subalgoE4EjNS0_10empty_typeEbEEZZNS1_14partition_implILS8_4ELb0ES6_15HIP_vector_typeIjLj2EENS0_17counting_iteratorIjlEEPS9_SG_NS0_5tupleIJPjSI_NS0_16reverse_iteratorISI_EEEEENSH_IJSG_SG_SG_EEES9_SI_JZNS1_25segmented_radix_sort_implINS0_14default_configELb0EPK12hip_bfloat16PSP_PKlPlN2at6native12_GLOBAL__N_18offset_tEEE10hipError_tPvRmT1_PNSt15iterator_traitsIS13_E10value_typeET2_T3_PNS14_IS19_E10value_typeET4_jRbjT5_S1F_jjP12ihipStream_tbEUljE_ZNSN_ISO_Lb0ESR_SS_SU_SV_SZ_EES10_S11_S12_S13_S17_S18_S19_S1C_S1D_jS1E_jS1F_S1F_jjS1H_bEUljE0_EEES10_S11_S12_S19_S1D_S1F_T6_T7_T9_mT8_S1H_bDpT10_ENKUlT_T0_E_clISt17integral_constantIbLb0EES1U_IbLb1EEEEDaS1Q_S1R_EUlS1Q_E_NS1_11comp_targetILNS1_3genE2ELNS1_11target_archE906ELNS1_3gpuE6ELNS1_3repE0EEENS1_30default_config_static_selectorELNS0_4arch9wavefront6targetE1EEEvS13_.numbered_sgpr, 87
	.set _ZN7rocprim17ROCPRIM_400000_NS6detail17trampoline_kernelINS0_13select_configILj256ELj13ELNS0_17block_load_methodE3ELS4_3ELS4_3ELNS0_20block_scan_algorithmE0ELj4294967295EEENS1_25partition_config_selectorILNS1_17partition_subalgoE4EjNS0_10empty_typeEbEEZZNS1_14partition_implILS8_4ELb0ES6_15HIP_vector_typeIjLj2EENS0_17counting_iteratorIjlEEPS9_SG_NS0_5tupleIJPjSI_NS0_16reverse_iteratorISI_EEEEENSH_IJSG_SG_SG_EEES9_SI_JZNS1_25segmented_radix_sort_implINS0_14default_configELb0EPK12hip_bfloat16PSP_PKlPlN2at6native12_GLOBAL__N_18offset_tEEE10hipError_tPvRmT1_PNSt15iterator_traitsIS13_E10value_typeET2_T3_PNS14_IS19_E10value_typeET4_jRbjT5_S1F_jjP12ihipStream_tbEUljE_ZNSN_ISO_Lb0ESR_SS_SU_SV_SZ_EES10_S11_S12_S13_S17_S18_S19_S1C_S1D_jS1E_jS1F_S1F_jjS1H_bEUljE0_EEES10_S11_S12_S19_S1D_S1F_T6_T7_T9_mT8_S1H_bDpT10_ENKUlT_T0_E_clISt17integral_constantIbLb0EES1U_IbLb1EEEEDaS1Q_S1R_EUlS1Q_E_NS1_11comp_targetILNS1_3genE2ELNS1_11target_archE906ELNS1_3gpuE6ELNS1_3repE0EEENS1_30default_config_static_selectorELNS0_4arch9wavefront6targetE1EEEvS13_.num_named_barrier, 0
	.set _ZN7rocprim17ROCPRIM_400000_NS6detail17trampoline_kernelINS0_13select_configILj256ELj13ELNS0_17block_load_methodE3ELS4_3ELS4_3ELNS0_20block_scan_algorithmE0ELj4294967295EEENS1_25partition_config_selectorILNS1_17partition_subalgoE4EjNS0_10empty_typeEbEEZZNS1_14partition_implILS8_4ELb0ES6_15HIP_vector_typeIjLj2EENS0_17counting_iteratorIjlEEPS9_SG_NS0_5tupleIJPjSI_NS0_16reverse_iteratorISI_EEEEENSH_IJSG_SG_SG_EEES9_SI_JZNS1_25segmented_radix_sort_implINS0_14default_configELb0EPK12hip_bfloat16PSP_PKlPlN2at6native12_GLOBAL__N_18offset_tEEE10hipError_tPvRmT1_PNSt15iterator_traitsIS13_E10value_typeET2_T3_PNS14_IS19_E10value_typeET4_jRbjT5_S1F_jjP12ihipStream_tbEUljE_ZNSN_ISO_Lb0ESR_SS_SU_SV_SZ_EES10_S11_S12_S13_S17_S18_S19_S1C_S1D_jS1E_jS1F_S1F_jjS1H_bEUljE0_EEES10_S11_S12_S19_S1D_S1F_T6_T7_T9_mT8_S1H_bDpT10_ENKUlT_T0_E_clISt17integral_constantIbLb0EES1U_IbLb1EEEEDaS1Q_S1R_EUlS1Q_E_NS1_11comp_targetILNS1_3genE2ELNS1_11target_archE906ELNS1_3gpuE6ELNS1_3repE0EEENS1_30default_config_static_selectorELNS0_4arch9wavefront6targetE1EEEvS13_.private_seg_size, 0
	.set _ZN7rocprim17ROCPRIM_400000_NS6detail17trampoline_kernelINS0_13select_configILj256ELj13ELNS0_17block_load_methodE3ELS4_3ELS4_3ELNS0_20block_scan_algorithmE0ELj4294967295EEENS1_25partition_config_selectorILNS1_17partition_subalgoE4EjNS0_10empty_typeEbEEZZNS1_14partition_implILS8_4ELb0ES6_15HIP_vector_typeIjLj2EENS0_17counting_iteratorIjlEEPS9_SG_NS0_5tupleIJPjSI_NS0_16reverse_iteratorISI_EEEEENSH_IJSG_SG_SG_EEES9_SI_JZNS1_25segmented_radix_sort_implINS0_14default_configELb0EPK12hip_bfloat16PSP_PKlPlN2at6native12_GLOBAL__N_18offset_tEEE10hipError_tPvRmT1_PNSt15iterator_traitsIS13_E10value_typeET2_T3_PNS14_IS19_E10value_typeET4_jRbjT5_S1F_jjP12ihipStream_tbEUljE_ZNSN_ISO_Lb0ESR_SS_SU_SV_SZ_EES10_S11_S12_S13_S17_S18_S19_S1C_S1D_jS1E_jS1F_S1F_jjS1H_bEUljE0_EEES10_S11_S12_S19_S1D_S1F_T6_T7_T9_mT8_S1H_bDpT10_ENKUlT_T0_E_clISt17integral_constantIbLb0EES1U_IbLb1EEEEDaS1Q_S1R_EUlS1Q_E_NS1_11comp_targetILNS1_3genE2ELNS1_11target_archE906ELNS1_3gpuE6ELNS1_3repE0EEENS1_30default_config_static_selectorELNS0_4arch9wavefront6targetE1EEEvS13_.uses_vcc, 1
	.set _ZN7rocprim17ROCPRIM_400000_NS6detail17trampoline_kernelINS0_13select_configILj256ELj13ELNS0_17block_load_methodE3ELS4_3ELS4_3ELNS0_20block_scan_algorithmE0ELj4294967295EEENS1_25partition_config_selectorILNS1_17partition_subalgoE4EjNS0_10empty_typeEbEEZZNS1_14partition_implILS8_4ELb0ES6_15HIP_vector_typeIjLj2EENS0_17counting_iteratorIjlEEPS9_SG_NS0_5tupleIJPjSI_NS0_16reverse_iteratorISI_EEEEENSH_IJSG_SG_SG_EEES9_SI_JZNS1_25segmented_radix_sort_implINS0_14default_configELb0EPK12hip_bfloat16PSP_PKlPlN2at6native12_GLOBAL__N_18offset_tEEE10hipError_tPvRmT1_PNSt15iterator_traitsIS13_E10value_typeET2_T3_PNS14_IS19_E10value_typeET4_jRbjT5_S1F_jjP12ihipStream_tbEUljE_ZNSN_ISO_Lb0ESR_SS_SU_SV_SZ_EES10_S11_S12_S13_S17_S18_S19_S1C_S1D_jS1E_jS1F_S1F_jjS1H_bEUljE0_EEES10_S11_S12_S19_S1D_S1F_T6_T7_T9_mT8_S1H_bDpT10_ENKUlT_T0_E_clISt17integral_constantIbLb0EES1U_IbLb1EEEEDaS1Q_S1R_EUlS1Q_E_NS1_11comp_targetILNS1_3genE2ELNS1_11target_archE906ELNS1_3gpuE6ELNS1_3repE0EEENS1_30default_config_static_selectorELNS0_4arch9wavefront6targetE1EEEvS13_.uses_flat_scratch, 0
	.set _ZN7rocprim17ROCPRIM_400000_NS6detail17trampoline_kernelINS0_13select_configILj256ELj13ELNS0_17block_load_methodE3ELS4_3ELS4_3ELNS0_20block_scan_algorithmE0ELj4294967295EEENS1_25partition_config_selectorILNS1_17partition_subalgoE4EjNS0_10empty_typeEbEEZZNS1_14partition_implILS8_4ELb0ES6_15HIP_vector_typeIjLj2EENS0_17counting_iteratorIjlEEPS9_SG_NS0_5tupleIJPjSI_NS0_16reverse_iteratorISI_EEEEENSH_IJSG_SG_SG_EEES9_SI_JZNS1_25segmented_radix_sort_implINS0_14default_configELb0EPK12hip_bfloat16PSP_PKlPlN2at6native12_GLOBAL__N_18offset_tEEE10hipError_tPvRmT1_PNSt15iterator_traitsIS13_E10value_typeET2_T3_PNS14_IS19_E10value_typeET4_jRbjT5_S1F_jjP12ihipStream_tbEUljE_ZNSN_ISO_Lb0ESR_SS_SU_SV_SZ_EES10_S11_S12_S13_S17_S18_S19_S1C_S1D_jS1E_jS1F_S1F_jjS1H_bEUljE0_EEES10_S11_S12_S19_S1D_S1F_T6_T7_T9_mT8_S1H_bDpT10_ENKUlT_T0_E_clISt17integral_constantIbLb0EES1U_IbLb1EEEEDaS1Q_S1R_EUlS1Q_E_NS1_11comp_targetILNS1_3genE2ELNS1_11target_archE906ELNS1_3gpuE6ELNS1_3repE0EEENS1_30default_config_static_selectorELNS0_4arch9wavefront6targetE1EEEvS13_.has_dyn_sized_stack, 0
	.set _ZN7rocprim17ROCPRIM_400000_NS6detail17trampoline_kernelINS0_13select_configILj256ELj13ELNS0_17block_load_methodE3ELS4_3ELS4_3ELNS0_20block_scan_algorithmE0ELj4294967295EEENS1_25partition_config_selectorILNS1_17partition_subalgoE4EjNS0_10empty_typeEbEEZZNS1_14partition_implILS8_4ELb0ES6_15HIP_vector_typeIjLj2EENS0_17counting_iteratorIjlEEPS9_SG_NS0_5tupleIJPjSI_NS0_16reverse_iteratorISI_EEEEENSH_IJSG_SG_SG_EEES9_SI_JZNS1_25segmented_radix_sort_implINS0_14default_configELb0EPK12hip_bfloat16PSP_PKlPlN2at6native12_GLOBAL__N_18offset_tEEE10hipError_tPvRmT1_PNSt15iterator_traitsIS13_E10value_typeET2_T3_PNS14_IS19_E10value_typeET4_jRbjT5_S1F_jjP12ihipStream_tbEUljE_ZNSN_ISO_Lb0ESR_SS_SU_SV_SZ_EES10_S11_S12_S13_S17_S18_S19_S1C_S1D_jS1E_jS1F_S1F_jjS1H_bEUljE0_EEES10_S11_S12_S19_S1D_S1F_T6_T7_T9_mT8_S1H_bDpT10_ENKUlT_T0_E_clISt17integral_constantIbLb0EES1U_IbLb1EEEEDaS1Q_S1R_EUlS1Q_E_NS1_11comp_targetILNS1_3genE2ELNS1_11target_archE906ELNS1_3gpuE6ELNS1_3repE0EEENS1_30default_config_static_selectorELNS0_4arch9wavefront6targetE1EEEvS13_.has_recursion, 0
	.set _ZN7rocprim17ROCPRIM_400000_NS6detail17trampoline_kernelINS0_13select_configILj256ELj13ELNS0_17block_load_methodE3ELS4_3ELS4_3ELNS0_20block_scan_algorithmE0ELj4294967295EEENS1_25partition_config_selectorILNS1_17partition_subalgoE4EjNS0_10empty_typeEbEEZZNS1_14partition_implILS8_4ELb0ES6_15HIP_vector_typeIjLj2EENS0_17counting_iteratorIjlEEPS9_SG_NS0_5tupleIJPjSI_NS0_16reverse_iteratorISI_EEEEENSH_IJSG_SG_SG_EEES9_SI_JZNS1_25segmented_radix_sort_implINS0_14default_configELb0EPK12hip_bfloat16PSP_PKlPlN2at6native12_GLOBAL__N_18offset_tEEE10hipError_tPvRmT1_PNSt15iterator_traitsIS13_E10value_typeET2_T3_PNS14_IS19_E10value_typeET4_jRbjT5_S1F_jjP12ihipStream_tbEUljE_ZNSN_ISO_Lb0ESR_SS_SU_SV_SZ_EES10_S11_S12_S13_S17_S18_S19_S1C_S1D_jS1E_jS1F_S1F_jjS1H_bEUljE0_EEES10_S11_S12_S19_S1D_S1F_T6_T7_T9_mT8_S1H_bDpT10_ENKUlT_T0_E_clISt17integral_constantIbLb0EES1U_IbLb1EEEEDaS1Q_S1R_EUlS1Q_E_NS1_11comp_targetILNS1_3genE2ELNS1_11target_archE906ELNS1_3gpuE6ELNS1_3repE0EEENS1_30default_config_static_selectorELNS0_4arch9wavefront6targetE1EEEvS13_.has_indirect_call, 0
	.section	.AMDGPU.csdata,"",@progbits
; Kernel info:
; codeLenInByte = 15580
; TotalNumSgprs: 91
; NumVgprs: 91
; ScratchSize: 0
; MemoryBound: 0
; FloatMode: 240
; IeeeMode: 1
; LDSByteSize: 13328 bytes/workgroup (compile time only)
; SGPRBlocks: 12
; VGPRBlocks: 22
; NumSGPRsForWavesPerEU: 102
; NumVGPRsForWavesPerEU: 91
; Occupancy: 2
; WaveLimiterHint : 1
; COMPUTE_PGM_RSRC2:SCRATCH_EN: 0
; COMPUTE_PGM_RSRC2:USER_SGPR: 6
; COMPUTE_PGM_RSRC2:TRAP_HANDLER: 0
; COMPUTE_PGM_RSRC2:TGID_X_EN: 1
; COMPUTE_PGM_RSRC2:TGID_Y_EN: 0
; COMPUTE_PGM_RSRC2:TGID_Z_EN: 0
; COMPUTE_PGM_RSRC2:TIDIG_COMP_CNT: 0
	.section	.text._ZN7rocprim17ROCPRIM_400000_NS6detail17trampoline_kernelINS0_13select_configILj256ELj13ELNS0_17block_load_methodE3ELS4_3ELS4_3ELNS0_20block_scan_algorithmE0ELj4294967295EEENS1_25partition_config_selectorILNS1_17partition_subalgoE4EjNS0_10empty_typeEbEEZZNS1_14partition_implILS8_4ELb0ES6_15HIP_vector_typeIjLj2EENS0_17counting_iteratorIjlEEPS9_SG_NS0_5tupleIJPjSI_NS0_16reverse_iteratorISI_EEEEENSH_IJSG_SG_SG_EEES9_SI_JZNS1_25segmented_radix_sort_implINS0_14default_configELb0EPK12hip_bfloat16PSP_PKlPlN2at6native12_GLOBAL__N_18offset_tEEE10hipError_tPvRmT1_PNSt15iterator_traitsIS13_E10value_typeET2_T3_PNS14_IS19_E10value_typeET4_jRbjT5_S1F_jjP12ihipStream_tbEUljE_ZNSN_ISO_Lb0ESR_SS_SU_SV_SZ_EES10_S11_S12_S13_S17_S18_S19_S1C_S1D_jS1E_jS1F_S1F_jjS1H_bEUljE0_EEES10_S11_S12_S19_S1D_S1F_T6_T7_T9_mT8_S1H_bDpT10_ENKUlT_T0_E_clISt17integral_constantIbLb0EES1U_IbLb1EEEEDaS1Q_S1R_EUlS1Q_E_NS1_11comp_targetILNS1_3genE10ELNS1_11target_archE1200ELNS1_3gpuE4ELNS1_3repE0EEENS1_30default_config_static_selectorELNS0_4arch9wavefront6targetE1EEEvS13_,"axG",@progbits,_ZN7rocprim17ROCPRIM_400000_NS6detail17trampoline_kernelINS0_13select_configILj256ELj13ELNS0_17block_load_methodE3ELS4_3ELS4_3ELNS0_20block_scan_algorithmE0ELj4294967295EEENS1_25partition_config_selectorILNS1_17partition_subalgoE4EjNS0_10empty_typeEbEEZZNS1_14partition_implILS8_4ELb0ES6_15HIP_vector_typeIjLj2EENS0_17counting_iteratorIjlEEPS9_SG_NS0_5tupleIJPjSI_NS0_16reverse_iteratorISI_EEEEENSH_IJSG_SG_SG_EEES9_SI_JZNS1_25segmented_radix_sort_implINS0_14default_configELb0EPK12hip_bfloat16PSP_PKlPlN2at6native12_GLOBAL__N_18offset_tEEE10hipError_tPvRmT1_PNSt15iterator_traitsIS13_E10value_typeET2_T3_PNS14_IS19_E10value_typeET4_jRbjT5_S1F_jjP12ihipStream_tbEUljE_ZNSN_ISO_Lb0ESR_SS_SU_SV_SZ_EES10_S11_S12_S13_S17_S18_S19_S1C_S1D_jS1E_jS1F_S1F_jjS1H_bEUljE0_EEES10_S11_S12_S19_S1D_S1F_T6_T7_T9_mT8_S1H_bDpT10_ENKUlT_T0_E_clISt17integral_constantIbLb0EES1U_IbLb1EEEEDaS1Q_S1R_EUlS1Q_E_NS1_11comp_targetILNS1_3genE10ELNS1_11target_archE1200ELNS1_3gpuE4ELNS1_3repE0EEENS1_30default_config_static_selectorELNS0_4arch9wavefront6targetE1EEEvS13_,comdat
	.globl	_ZN7rocprim17ROCPRIM_400000_NS6detail17trampoline_kernelINS0_13select_configILj256ELj13ELNS0_17block_load_methodE3ELS4_3ELS4_3ELNS0_20block_scan_algorithmE0ELj4294967295EEENS1_25partition_config_selectorILNS1_17partition_subalgoE4EjNS0_10empty_typeEbEEZZNS1_14partition_implILS8_4ELb0ES6_15HIP_vector_typeIjLj2EENS0_17counting_iteratorIjlEEPS9_SG_NS0_5tupleIJPjSI_NS0_16reverse_iteratorISI_EEEEENSH_IJSG_SG_SG_EEES9_SI_JZNS1_25segmented_radix_sort_implINS0_14default_configELb0EPK12hip_bfloat16PSP_PKlPlN2at6native12_GLOBAL__N_18offset_tEEE10hipError_tPvRmT1_PNSt15iterator_traitsIS13_E10value_typeET2_T3_PNS14_IS19_E10value_typeET4_jRbjT5_S1F_jjP12ihipStream_tbEUljE_ZNSN_ISO_Lb0ESR_SS_SU_SV_SZ_EES10_S11_S12_S13_S17_S18_S19_S1C_S1D_jS1E_jS1F_S1F_jjS1H_bEUljE0_EEES10_S11_S12_S19_S1D_S1F_T6_T7_T9_mT8_S1H_bDpT10_ENKUlT_T0_E_clISt17integral_constantIbLb0EES1U_IbLb1EEEEDaS1Q_S1R_EUlS1Q_E_NS1_11comp_targetILNS1_3genE10ELNS1_11target_archE1200ELNS1_3gpuE4ELNS1_3repE0EEENS1_30default_config_static_selectorELNS0_4arch9wavefront6targetE1EEEvS13_ ; -- Begin function _ZN7rocprim17ROCPRIM_400000_NS6detail17trampoline_kernelINS0_13select_configILj256ELj13ELNS0_17block_load_methodE3ELS4_3ELS4_3ELNS0_20block_scan_algorithmE0ELj4294967295EEENS1_25partition_config_selectorILNS1_17partition_subalgoE4EjNS0_10empty_typeEbEEZZNS1_14partition_implILS8_4ELb0ES6_15HIP_vector_typeIjLj2EENS0_17counting_iteratorIjlEEPS9_SG_NS0_5tupleIJPjSI_NS0_16reverse_iteratorISI_EEEEENSH_IJSG_SG_SG_EEES9_SI_JZNS1_25segmented_radix_sort_implINS0_14default_configELb0EPK12hip_bfloat16PSP_PKlPlN2at6native12_GLOBAL__N_18offset_tEEE10hipError_tPvRmT1_PNSt15iterator_traitsIS13_E10value_typeET2_T3_PNS14_IS19_E10value_typeET4_jRbjT5_S1F_jjP12ihipStream_tbEUljE_ZNSN_ISO_Lb0ESR_SS_SU_SV_SZ_EES10_S11_S12_S13_S17_S18_S19_S1C_S1D_jS1E_jS1F_S1F_jjS1H_bEUljE0_EEES10_S11_S12_S19_S1D_S1F_T6_T7_T9_mT8_S1H_bDpT10_ENKUlT_T0_E_clISt17integral_constantIbLb0EES1U_IbLb1EEEEDaS1Q_S1R_EUlS1Q_E_NS1_11comp_targetILNS1_3genE10ELNS1_11target_archE1200ELNS1_3gpuE4ELNS1_3repE0EEENS1_30default_config_static_selectorELNS0_4arch9wavefront6targetE1EEEvS13_
	.p2align	8
	.type	_ZN7rocprim17ROCPRIM_400000_NS6detail17trampoline_kernelINS0_13select_configILj256ELj13ELNS0_17block_load_methodE3ELS4_3ELS4_3ELNS0_20block_scan_algorithmE0ELj4294967295EEENS1_25partition_config_selectorILNS1_17partition_subalgoE4EjNS0_10empty_typeEbEEZZNS1_14partition_implILS8_4ELb0ES6_15HIP_vector_typeIjLj2EENS0_17counting_iteratorIjlEEPS9_SG_NS0_5tupleIJPjSI_NS0_16reverse_iteratorISI_EEEEENSH_IJSG_SG_SG_EEES9_SI_JZNS1_25segmented_radix_sort_implINS0_14default_configELb0EPK12hip_bfloat16PSP_PKlPlN2at6native12_GLOBAL__N_18offset_tEEE10hipError_tPvRmT1_PNSt15iterator_traitsIS13_E10value_typeET2_T3_PNS14_IS19_E10value_typeET4_jRbjT5_S1F_jjP12ihipStream_tbEUljE_ZNSN_ISO_Lb0ESR_SS_SU_SV_SZ_EES10_S11_S12_S13_S17_S18_S19_S1C_S1D_jS1E_jS1F_S1F_jjS1H_bEUljE0_EEES10_S11_S12_S19_S1D_S1F_T6_T7_T9_mT8_S1H_bDpT10_ENKUlT_T0_E_clISt17integral_constantIbLb0EES1U_IbLb1EEEEDaS1Q_S1R_EUlS1Q_E_NS1_11comp_targetILNS1_3genE10ELNS1_11target_archE1200ELNS1_3gpuE4ELNS1_3repE0EEENS1_30default_config_static_selectorELNS0_4arch9wavefront6targetE1EEEvS13_,@function
_ZN7rocprim17ROCPRIM_400000_NS6detail17trampoline_kernelINS0_13select_configILj256ELj13ELNS0_17block_load_methodE3ELS4_3ELS4_3ELNS0_20block_scan_algorithmE0ELj4294967295EEENS1_25partition_config_selectorILNS1_17partition_subalgoE4EjNS0_10empty_typeEbEEZZNS1_14partition_implILS8_4ELb0ES6_15HIP_vector_typeIjLj2EENS0_17counting_iteratorIjlEEPS9_SG_NS0_5tupleIJPjSI_NS0_16reverse_iteratorISI_EEEEENSH_IJSG_SG_SG_EEES9_SI_JZNS1_25segmented_radix_sort_implINS0_14default_configELb0EPK12hip_bfloat16PSP_PKlPlN2at6native12_GLOBAL__N_18offset_tEEE10hipError_tPvRmT1_PNSt15iterator_traitsIS13_E10value_typeET2_T3_PNS14_IS19_E10value_typeET4_jRbjT5_S1F_jjP12ihipStream_tbEUljE_ZNSN_ISO_Lb0ESR_SS_SU_SV_SZ_EES10_S11_S12_S13_S17_S18_S19_S1C_S1D_jS1E_jS1F_S1F_jjS1H_bEUljE0_EEES10_S11_S12_S19_S1D_S1F_T6_T7_T9_mT8_S1H_bDpT10_ENKUlT_T0_E_clISt17integral_constantIbLb0EES1U_IbLb1EEEEDaS1Q_S1R_EUlS1Q_E_NS1_11comp_targetILNS1_3genE10ELNS1_11target_archE1200ELNS1_3gpuE4ELNS1_3repE0EEENS1_30default_config_static_selectorELNS0_4arch9wavefront6targetE1EEEvS13_: ; @_ZN7rocprim17ROCPRIM_400000_NS6detail17trampoline_kernelINS0_13select_configILj256ELj13ELNS0_17block_load_methodE3ELS4_3ELS4_3ELNS0_20block_scan_algorithmE0ELj4294967295EEENS1_25partition_config_selectorILNS1_17partition_subalgoE4EjNS0_10empty_typeEbEEZZNS1_14partition_implILS8_4ELb0ES6_15HIP_vector_typeIjLj2EENS0_17counting_iteratorIjlEEPS9_SG_NS0_5tupleIJPjSI_NS0_16reverse_iteratorISI_EEEEENSH_IJSG_SG_SG_EEES9_SI_JZNS1_25segmented_radix_sort_implINS0_14default_configELb0EPK12hip_bfloat16PSP_PKlPlN2at6native12_GLOBAL__N_18offset_tEEE10hipError_tPvRmT1_PNSt15iterator_traitsIS13_E10value_typeET2_T3_PNS14_IS19_E10value_typeET4_jRbjT5_S1F_jjP12ihipStream_tbEUljE_ZNSN_ISO_Lb0ESR_SS_SU_SV_SZ_EES10_S11_S12_S13_S17_S18_S19_S1C_S1D_jS1E_jS1F_S1F_jjS1H_bEUljE0_EEES10_S11_S12_S19_S1D_S1F_T6_T7_T9_mT8_S1H_bDpT10_ENKUlT_T0_E_clISt17integral_constantIbLb0EES1U_IbLb1EEEEDaS1Q_S1R_EUlS1Q_E_NS1_11comp_targetILNS1_3genE10ELNS1_11target_archE1200ELNS1_3gpuE4ELNS1_3repE0EEENS1_30default_config_static_selectorELNS0_4arch9wavefront6targetE1EEEvS13_
; %bb.0:
	.section	.rodata,"a",@progbits
	.p2align	6, 0x0
	.amdhsa_kernel _ZN7rocprim17ROCPRIM_400000_NS6detail17trampoline_kernelINS0_13select_configILj256ELj13ELNS0_17block_load_methodE3ELS4_3ELS4_3ELNS0_20block_scan_algorithmE0ELj4294967295EEENS1_25partition_config_selectorILNS1_17partition_subalgoE4EjNS0_10empty_typeEbEEZZNS1_14partition_implILS8_4ELb0ES6_15HIP_vector_typeIjLj2EENS0_17counting_iteratorIjlEEPS9_SG_NS0_5tupleIJPjSI_NS0_16reverse_iteratorISI_EEEEENSH_IJSG_SG_SG_EEES9_SI_JZNS1_25segmented_radix_sort_implINS0_14default_configELb0EPK12hip_bfloat16PSP_PKlPlN2at6native12_GLOBAL__N_18offset_tEEE10hipError_tPvRmT1_PNSt15iterator_traitsIS13_E10value_typeET2_T3_PNS14_IS19_E10value_typeET4_jRbjT5_S1F_jjP12ihipStream_tbEUljE_ZNSN_ISO_Lb0ESR_SS_SU_SV_SZ_EES10_S11_S12_S13_S17_S18_S19_S1C_S1D_jS1E_jS1F_S1F_jjS1H_bEUljE0_EEES10_S11_S12_S19_S1D_S1F_T6_T7_T9_mT8_S1H_bDpT10_ENKUlT_T0_E_clISt17integral_constantIbLb0EES1U_IbLb1EEEEDaS1Q_S1R_EUlS1Q_E_NS1_11comp_targetILNS1_3genE10ELNS1_11target_archE1200ELNS1_3gpuE4ELNS1_3repE0EEENS1_30default_config_static_selectorELNS0_4arch9wavefront6targetE1EEEvS13_
		.amdhsa_group_segment_fixed_size 0
		.amdhsa_private_segment_fixed_size 0
		.amdhsa_kernarg_size 184
		.amdhsa_user_sgpr_count 6
		.amdhsa_user_sgpr_private_segment_buffer 1
		.amdhsa_user_sgpr_dispatch_ptr 0
		.amdhsa_user_sgpr_queue_ptr 0
		.amdhsa_user_sgpr_kernarg_segment_ptr 1
		.amdhsa_user_sgpr_dispatch_id 0
		.amdhsa_user_sgpr_flat_scratch_init 0
		.amdhsa_user_sgpr_private_segment_size 0
		.amdhsa_uses_dynamic_stack 0
		.amdhsa_system_sgpr_private_segment_wavefront_offset 0
		.amdhsa_system_sgpr_workgroup_id_x 1
		.amdhsa_system_sgpr_workgroup_id_y 0
		.amdhsa_system_sgpr_workgroup_id_z 0
		.amdhsa_system_sgpr_workgroup_info 0
		.amdhsa_system_vgpr_workitem_id 0
		.amdhsa_next_free_vgpr 1
		.amdhsa_next_free_sgpr 0
		.amdhsa_reserve_vcc 0
		.amdhsa_reserve_flat_scratch 0
		.amdhsa_float_round_mode_32 0
		.amdhsa_float_round_mode_16_64 0
		.amdhsa_float_denorm_mode_32 3
		.amdhsa_float_denorm_mode_16_64 3
		.amdhsa_dx10_clamp 1
		.amdhsa_ieee_mode 1
		.amdhsa_fp16_overflow 0
		.amdhsa_exception_fp_ieee_invalid_op 0
		.amdhsa_exception_fp_denorm_src 0
		.amdhsa_exception_fp_ieee_div_zero 0
		.amdhsa_exception_fp_ieee_overflow 0
		.amdhsa_exception_fp_ieee_underflow 0
		.amdhsa_exception_fp_ieee_inexact 0
		.amdhsa_exception_int_div_zero 0
	.end_amdhsa_kernel
	.section	.text._ZN7rocprim17ROCPRIM_400000_NS6detail17trampoline_kernelINS0_13select_configILj256ELj13ELNS0_17block_load_methodE3ELS4_3ELS4_3ELNS0_20block_scan_algorithmE0ELj4294967295EEENS1_25partition_config_selectorILNS1_17partition_subalgoE4EjNS0_10empty_typeEbEEZZNS1_14partition_implILS8_4ELb0ES6_15HIP_vector_typeIjLj2EENS0_17counting_iteratorIjlEEPS9_SG_NS0_5tupleIJPjSI_NS0_16reverse_iteratorISI_EEEEENSH_IJSG_SG_SG_EEES9_SI_JZNS1_25segmented_radix_sort_implINS0_14default_configELb0EPK12hip_bfloat16PSP_PKlPlN2at6native12_GLOBAL__N_18offset_tEEE10hipError_tPvRmT1_PNSt15iterator_traitsIS13_E10value_typeET2_T3_PNS14_IS19_E10value_typeET4_jRbjT5_S1F_jjP12ihipStream_tbEUljE_ZNSN_ISO_Lb0ESR_SS_SU_SV_SZ_EES10_S11_S12_S13_S17_S18_S19_S1C_S1D_jS1E_jS1F_S1F_jjS1H_bEUljE0_EEES10_S11_S12_S19_S1D_S1F_T6_T7_T9_mT8_S1H_bDpT10_ENKUlT_T0_E_clISt17integral_constantIbLb0EES1U_IbLb1EEEEDaS1Q_S1R_EUlS1Q_E_NS1_11comp_targetILNS1_3genE10ELNS1_11target_archE1200ELNS1_3gpuE4ELNS1_3repE0EEENS1_30default_config_static_selectorELNS0_4arch9wavefront6targetE1EEEvS13_,"axG",@progbits,_ZN7rocprim17ROCPRIM_400000_NS6detail17trampoline_kernelINS0_13select_configILj256ELj13ELNS0_17block_load_methodE3ELS4_3ELS4_3ELNS0_20block_scan_algorithmE0ELj4294967295EEENS1_25partition_config_selectorILNS1_17partition_subalgoE4EjNS0_10empty_typeEbEEZZNS1_14partition_implILS8_4ELb0ES6_15HIP_vector_typeIjLj2EENS0_17counting_iteratorIjlEEPS9_SG_NS0_5tupleIJPjSI_NS0_16reverse_iteratorISI_EEEEENSH_IJSG_SG_SG_EEES9_SI_JZNS1_25segmented_radix_sort_implINS0_14default_configELb0EPK12hip_bfloat16PSP_PKlPlN2at6native12_GLOBAL__N_18offset_tEEE10hipError_tPvRmT1_PNSt15iterator_traitsIS13_E10value_typeET2_T3_PNS14_IS19_E10value_typeET4_jRbjT5_S1F_jjP12ihipStream_tbEUljE_ZNSN_ISO_Lb0ESR_SS_SU_SV_SZ_EES10_S11_S12_S13_S17_S18_S19_S1C_S1D_jS1E_jS1F_S1F_jjS1H_bEUljE0_EEES10_S11_S12_S19_S1D_S1F_T6_T7_T9_mT8_S1H_bDpT10_ENKUlT_T0_E_clISt17integral_constantIbLb0EES1U_IbLb1EEEEDaS1Q_S1R_EUlS1Q_E_NS1_11comp_targetILNS1_3genE10ELNS1_11target_archE1200ELNS1_3gpuE4ELNS1_3repE0EEENS1_30default_config_static_selectorELNS0_4arch9wavefront6targetE1EEEvS13_,comdat
.Lfunc_end2014:
	.size	_ZN7rocprim17ROCPRIM_400000_NS6detail17trampoline_kernelINS0_13select_configILj256ELj13ELNS0_17block_load_methodE3ELS4_3ELS4_3ELNS0_20block_scan_algorithmE0ELj4294967295EEENS1_25partition_config_selectorILNS1_17partition_subalgoE4EjNS0_10empty_typeEbEEZZNS1_14partition_implILS8_4ELb0ES6_15HIP_vector_typeIjLj2EENS0_17counting_iteratorIjlEEPS9_SG_NS0_5tupleIJPjSI_NS0_16reverse_iteratorISI_EEEEENSH_IJSG_SG_SG_EEES9_SI_JZNS1_25segmented_radix_sort_implINS0_14default_configELb0EPK12hip_bfloat16PSP_PKlPlN2at6native12_GLOBAL__N_18offset_tEEE10hipError_tPvRmT1_PNSt15iterator_traitsIS13_E10value_typeET2_T3_PNS14_IS19_E10value_typeET4_jRbjT5_S1F_jjP12ihipStream_tbEUljE_ZNSN_ISO_Lb0ESR_SS_SU_SV_SZ_EES10_S11_S12_S13_S17_S18_S19_S1C_S1D_jS1E_jS1F_S1F_jjS1H_bEUljE0_EEES10_S11_S12_S19_S1D_S1F_T6_T7_T9_mT8_S1H_bDpT10_ENKUlT_T0_E_clISt17integral_constantIbLb0EES1U_IbLb1EEEEDaS1Q_S1R_EUlS1Q_E_NS1_11comp_targetILNS1_3genE10ELNS1_11target_archE1200ELNS1_3gpuE4ELNS1_3repE0EEENS1_30default_config_static_selectorELNS0_4arch9wavefront6targetE1EEEvS13_, .Lfunc_end2014-_ZN7rocprim17ROCPRIM_400000_NS6detail17trampoline_kernelINS0_13select_configILj256ELj13ELNS0_17block_load_methodE3ELS4_3ELS4_3ELNS0_20block_scan_algorithmE0ELj4294967295EEENS1_25partition_config_selectorILNS1_17partition_subalgoE4EjNS0_10empty_typeEbEEZZNS1_14partition_implILS8_4ELb0ES6_15HIP_vector_typeIjLj2EENS0_17counting_iteratorIjlEEPS9_SG_NS0_5tupleIJPjSI_NS0_16reverse_iteratorISI_EEEEENSH_IJSG_SG_SG_EEES9_SI_JZNS1_25segmented_radix_sort_implINS0_14default_configELb0EPK12hip_bfloat16PSP_PKlPlN2at6native12_GLOBAL__N_18offset_tEEE10hipError_tPvRmT1_PNSt15iterator_traitsIS13_E10value_typeET2_T3_PNS14_IS19_E10value_typeET4_jRbjT5_S1F_jjP12ihipStream_tbEUljE_ZNSN_ISO_Lb0ESR_SS_SU_SV_SZ_EES10_S11_S12_S13_S17_S18_S19_S1C_S1D_jS1E_jS1F_S1F_jjS1H_bEUljE0_EEES10_S11_S12_S19_S1D_S1F_T6_T7_T9_mT8_S1H_bDpT10_ENKUlT_T0_E_clISt17integral_constantIbLb0EES1U_IbLb1EEEEDaS1Q_S1R_EUlS1Q_E_NS1_11comp_targetILNS1_3genE10ELNS1_11target_archE1200ELNS1_3gpuE4ELNS1_3repE0EEENS1_30default_config_static_selectorELNS0_4arch9wavefront6targetE1EEEvS13_
                                        ; -- End function
	.set _ZN7rocprim17ROCPRIM_400000_NS6detail17trampoline_kernelINS0_13select_configILj256ELj13ELNS0_17block_load_methodE3ELS4_3ELS4_3ELNS0_20block_scan_algorithmE0ELj4294967295EEENS1_25partition_config_selectorILNS1_17partition_subalgoE4EjNS0_10empty_typeEbEEZZNS1_14partition_implILS8_4ELb0ES6_15HIP_vector_typeIjLj2EENS0_17counting_iteratorIjlEEPS9_SG_NS0_5tupleIJPjSI_NS0_16reverse_iteratorISI_EEEEENSH_IJSG_SG_SG_EEES9_SI_JZNS1_25segmented_radix_sort_implINS0_14default_configELb0EPK12hip_bfloat16PSP_PKlPlN2at6native12_GLOBAL__N_18offset_tEEE10hipError_tPvRmT1_PNSt15iterator_traitsIS13_E10value_typeET2_T3_PNS14_IS19_E10value_typeET4_jRbjT5_S1F_jjP12ihipStream_tbEUljE_ZNSN_ISO_Lb0ESR_SS_SU_SV_SZ_EES10_S11_S12_S13_S17_S18_S19_S1C_S1D_jS1E_jS1F_S1F_jjS1H_bEUljE0_EEES10_S11_S12_S19_S1D_S1F_T6_T7_T9_mT8_S1H_bDpT10_ENKUlT_T0_E_clISt17integral_constantIbLb0EES1U_IbLb1EEEEDaS1Q_S1R_EUlS1Q_E_NS1_11comp_targetILNS1_3genE10ELNS1_11target_archE1200ELNS1_3gpuE4ELNS1_3repE0EEENS1_30default_config_static_selectorELNS0_4arch9wavefront6targetE1EEEvS13_.num_vgpr, 0
	.set _ZN7rocprim17ROCPRIM_400000_NS6detail17trampoline_kernelINS0_13select_configILj256ELj13ELNS0_17block_load_methodE3ELS4_3ELS4_3ELNS0_20block_scan_algorithmE0ELj4294967295EEENS1_25partition_config_selectorILNS1_17partition_subalgoE4EjNS0_10empty_typeEbEEZZNS1_14partition_implILS8_4ELb0ES6_15HIP_vector_typeIjLj2EENS0_17counting_iteratorIjlEEPS9_SG_NS0_5tupleIJPjSI_NS0_16reverse_iteratorISI_EEEEENSH_IJSG_SG_SG_EEES9_SI_JZNS1_25segmented_radix_sort_implINS0_14default_configELb0EPK12hip_bfloat16PSP_PKlPlN2at6native12_GLOBAL__N_18offset_tEEE10hipError_tPvRmT1_PNSt15iterator_traitsIS13_E10value_typeET2_T3_PNS14_IS19_E10value_typeET4_jRbjT5_S1F_jjP12ihipStream_tbEUljE_ZNSN_ISO_Lb0ESR_SS_SU_SV_SZ_EES10_S11_S12_S13_S17_S18_S19_S1C_S1D_jS1E_jS1F_S1F_jjS1H_bEUljE0_EEES10_S11_S12_S19_S1D_S1F_T6_T7_T9_mT8_S1H_bDpT10_ENKUlT_T0_E_clISt17integral_constantIbLb0EES1U_IbLb1EEEEDaS1Q_S1R_EUlS1Q_E_NS1_11comp_targetILNS1_3genE10ELNS1_11target_archE1200ELNS1_3gpuE4ELNS1_3repE0EEENS1_30default_config_static_selectorELNS0_4arch9wavefront6targetE1EEEvS13_.num_agpr, 0
	.set _ZN7rocprim17ROCPRIM_400000_NS6detail17trampoline_kernelINS0_13select_configILj256ELj13ELNS0_17block_load_methodE3ELS4_3ELS4_3ELNS0_20block_scan_algorithmE0ELj4294967295EEENS1_25partition_config_selectorILNS1_17partition_subalgoE4EjNS0_10empty_typeEbEEZZNS1_14partition_implILS8_4ELb0ES6_15HIP_vector_typeIjLj2EENS0_17counting_iteratorIjlEEPS9_SG_NS0_5tupleIJPjSI_NS0_16reverse_iteratorISI_EEEEENSH_IJSG_SG_SG_EEES9_SI_JZNS1_25segmented_radix_sort_implINS0_14default_configELb0EPK12hip_bfloat16PSP_PKlPlN2at6native12_GLOBAL__N_18offset_tEEE10hipError_tPvRmT1_PNSt15iterator_traitsIS13_E10value_typeET2_T3_PNS14_IS19_E10value_typeET4_jRbjT5_S1F_jjP12ihipStream_tbEUljE_ZNSN_ISO_Lb0ESR_SS_SU_SV_SZ_EES10_S11_S12_S13_S17_S18_S19_S1C_S1D_jS1E_jS1F_S1F_jjS1H_bEUljE0_EEES10_S11_S12_S19_S1D_S1F_T6_T7_T9_mT8_S1H_bDpT10_ENKUlT_T0_E_clISt17integral_constantIbLb0EES1U_IbLb1EEEEDaS1Q_S1R_EUlS1Q_E_NS1_11comp_targetILNS1_3genE10ELNS1_11target_archE1200ELNS1_3gpuE4ELNS1_3repE0EEENS1_30default_config_static_selectorELNS0_4arch9wavefront6targetE1EEEvS13_.numbered_sgpr, 0
	.set _ZN7rocprim17ROCPRIM_400000_NS6detail17trampoline_kernelINS0_13select_configILj256ELj13ELNS0_17block_load_methodE3ELS4_3ELS4_3ELNS0_20block_scan_algorithmE0ELj4294967295EEENS1_25partition_config_selectorILNS1_17partition_subalgoE4EjNS0_10empty_typeEbEEZZNS1_14partition_implILS8_4ELb0ES6_15HIP_vector_typeIjLj2EENS0_17counting_iteratorIjlEEPS9_SG_NS0_5tupleIJPjSI_NS0_16reverse_iteratorISI_EEEEENSH_IJSG_SG_SG_EEES9_SI_JZNS1_25segmented_radix_sort_implINS0_14default_configELb0EPK12hip_bfloat16PSP_PKlPlN2at6native12_GLOBAL__N_18offset_tEEE10hipError_tPvRmT1_PNSt15iterator_traitsIS13_E10value_typeET2_T3_PNS14_IS19_E10value_typeET4_jRbjT5_S1F_jjP12ihipStream_tbEUljE_ZNSN_ISO_Lb0ESR_SS_SU_SV_SZ_EES10_S11_S12_S13_S17_S18_S19_S1C_S1D_jS1E_jS1F_S1F_jjS1H_bEUljE0_EEES10_S11_S12_S19_S1D_S1F_T6_T7_T9_mT8_S1H_bDpT10_ENKUlT_T0_E_clISt17integral_constantIbLb0EES1U_IbLb1EEEEDaS1Q_S1R_EUlS1Q_E_NS1_11comp_targetILNS1_3genE10ELNS1_11target_archE1200ELNS1_3gpuE4ELNS1_3repE0EEENS1_30default_config_static_selectorELNS0_4arch9wavefront6targetE1EEEvS13_.num_named_barrier, 0
	.set _ZN7rocprim17ROCPRIM_400000_NS6detail17trampoline_kernelINS0_13select_configILj256ELj13ELNS0_17block_load_methodE3ELS4_3ELS4_3ELNS0_20block_scan_algorithmE0ELj4294967295EEENS1_25partition_config_selectorILNS1_17partition_subalgoE4EjNS0_10empty_typeEbEEZZNS1_14partition_implILS8_4ELb0ES6_15HIP_vector_typeIjLj2EENS0_17counting_iteratorIjlEEPS9_SG_NS0_5tupleIJPjSI_NS0_16reverse_iteratorISI_EEEEENSH_IJSG_SG_SG_EEES9_SI_JZNS1_25segmented_radix_sort_implINS0_14default_configELb0EPK12hip_bfloat16PSP_PKlPlN2at6native12_GLOBAL__N_18offset_tEEE10hipError_tPvRmT1_PNSt15iterator_traitsIS13_E10value_typeET2_T3_PNS14_IS19_E10value_typeET4_jRbjT5_S1F_jjP12ihipStream_tbEUljE_ZNSN_ISO_Lb0ESR_SS_SU_SV_SZ_EES10_S11_S12_S13_S17_S18_S19_S1C_S1D_jS1E_jS1F_S1F_jjS1H_bEUljE0_EEES10_S11_S12_S19_S1D_S1F_T6_T7_T9_mT8_S1H_bDpT10_ENKUlT_T0_E_clISt17integral_constantIbLb0EES1U_IbLb1EEEEDaS1Q_S1R_EUlS1Q_E_NS1_11comp_targetILNS1_3genE10ELNS1_11target_archE1200ELNS1_3gpuE4ELNS1_3repE0EEENS1_30default_config_static_selectorELNS0_4arch9wavefront6targetE1EEEvS13_.private_seg_size, 0
	.set _ZN7rocprim17ROCPRIM_400000_NS6detail17trampoline_kernelINS0_13select_configILj256ELj13ELNS0_17block_load_methodE3ELS4_3ELS4_3ELNS0_20block_scan_algorithmE0ELj4294967295EEENS1_25partition_config_selectorILNS1_17partition_subalgoE4EjNS0_10empty_typeEbEEZZNS1_14partition_implILS8_4ELb0ES6_15HIP_vector_typeIjLj2EENS0_17counting_iteratorIjlEEPS9_SG_NS0_5tupleIJPjSI_NS0_16reverse_iteratorISI_EEEEENSH_IJSG_SG_SG_EEES9_SI_JZNS1_25segmented_radix_sort_implINS0_14default_configELb0EPK12hip_bfloat16PSP_PKlPlN2at6native12_GLOBAL__N_18offset_tEEE10hipError_tPvRmT1_PNSt15iterator_traitsIS13_E10value_typeET2_T3_PNS14_IS19_E10value_typeET4_jRbjT5_S1F_jjP12ihipStream_tbEUljE_ZNSN_ISO_Lb0ESR_SS_SU_SV_SZ_EES10_S11_S12_S13_S17_S18_S19_S1C_S1D_jS1E_jS1F_S1F_jjS1H_bEUljE0_EEES10_S11_S12_S19_S1D_S1F_T6_T7_T9_mT8_S1H_bDpT10_ENKUlT_T0_E_clISt17integral_constantIbLb0EES1U_IbLb1EEEEDaS1Q_S1R_EUlS1Q_E_NS1_11comp_targetILNS1_3genE10ELNS1_11target_archE1200ELNS1_3gpuE4ELNS1_3repE0EEENS1_30default_config_static_selectorELNS0_4arch9wavefront6targetE1EEEvS13_.uses_vcc, 0
	.set _ZN7rocprim17ROCPRIM_400000_NS6detail17trampoline_kernelINS0_13select_configILj256ELj13ELNS0_17block_load_methodE3ELS4_3ELS4_3ELNS0_20block_scan_algorithmE0ELj4294967295EEENS1_25partition_config_selectorILNS1_17partition_subalgoE4EjNS0_10empty_typeEbEEZZNS1_14partition_implILS8_4ELb0ES6_15HIP_vector_typeIjLj2EENS0_17counting_iteratorIjlEEPS9_SG_NS0_5tupleIJPjSI_NS0_16reverse_iteratorISI_EEEEENSH_IJSG_SG_SG_EEES9_SI_JZNS1_25segmented_radix_sort_implINS0_14default_configELb0EPK12hip_bfloat16PSP_PKlPlN2at6native12_GLOBAL__N_18offset_tEEE10hipError_tPvRmT1_PNSt15iterator_traitsIS13_E10value_typeET2_T3_PNS14_IS19_E10value_typeET4_jRbjT5_S1F_jjP12ihipStream_tbEUljE_ZNSN_ISO_Lb0ESR_SS_SU_SV_SZ_EES10_S11_S12_S13_S17_S18_S19_S1C_S1D_jS1E_jS1F_S1F_jjS1H_bEUljE0_EEES10_S11_S12_S19_S1D_S1F_T6_T7_T9_mT8_S1H_bDpT10_ENKUlT_T0_E_clISt17integral_constantIbLb0EES1U_IbLb1EEEEDaS1Q_S1R_EUlS1Q_E_NS1_11comp_targetILNS1_3genE10ELNS1_11target_archE1200ELNS1_3gpuE4ELNS1_3repE0EEENS1_30default_config_static_selectorELNS0_4arch9wavefront6targetE1EEEvS13_.uses_flat_scratch, 0
	.set _ZN7rocprim17ROCPRIM_400000_NS6detail17trampoline_kernelINS0_13select_configILj256ELj13ELNS0_17block_load_methodE3ELS4_3ELS4_3ELNS0_20block_scan_algorithmE0ELj4294967295EEENS1_25partition_config_selectorILNS1_17partition_subalgoE4EjNS0_10empty_typeEbEEZZNS1_14partition_implILS8_4ELb0ES6_15HIP_vector_typeIjLj2EENS0_17counting_iteratorIjlEEPS9_SG_NS0_5tupleIJPjSI_NS0_16reverse_iteratorISI_EEEEENSH_IJSG_SG_SG_EEES9_SI_JZNS1_25segmented_radix_sort_implINS0_14default_configELb0EPK12hip_bfloat16PSP_PKlPlN2at6native12_GLOBAL__N_18offset_tEEE10hipError_tPvRmT1_PNSt15iterator_traitsIS13_E10value_typeET2_T3_PNS14_IS19_E10value_typeET4_jRbjT5_S1F_jjP12ihipStream_tbEUljE_ZNSN_ISO_Lb0ESR_SS_SU_SV_SZ_EES10_S11_S12_S13_S17_S18_S19_S1C_S1D_jS1E_jS1F_S1F_jjS1H_bEUljE0_EEES10_S11_S12_S19_S1D_S1F_T6_T7_T9_mT8_S1H_bDpT10_ENKUlT_T0_E_clISt17integral_constantIbLb0EES1U_IbLb1EEEEDaS1Q_S1R_EUlS1Q_E_NS1_11comp_targetILNS1_3genE10ELNS1_11target_archE1200ELNS1_3gpuE4ELNS1_3repE0EEENS1_30default_config_static_selectorELNS0_4arch9wavefront6targetE1EEEvS13_.has_dyn_sized_stack, 0
	.set _ZN7rocprim17ROCPRIM_400000_NS6detail17trampoline_kernelINS0_13select_configILj256ELj13ELNS0_17block_load_methodE3ELS4_3ELS4_3ELNS0_20block_scan_algorithmE0ELj4294967295EEENS1_25partition_config_selectorILNS1_17partition_subalgoE4EjNS0_10empty_typeEbEEZZNS1_14partition_implILS8_4ELb0ES6_15HIP_vector_typeIjLj2EENS0_17counting_iteratorIjlEEPS9_SG_NS0_5tupleIJPjSI_NS0_16reverse_iteratorISI_EEEEENSH_IJSG_SG_SG_EEES9_SI_JZNS1_25segmented_radix_sort_implINS0_14default_configELb0EPK12hip_bfloat16PSP_PKlPlN2at6native12_GLOBAL__N_18offset_tEEE10hipError_tPvRmT1_PNSt15iterator_traitsIS13_E10value_typeET2_T3_PNS14_IS19_E10value_typeET4_jRbjT5_S1F_jjP12ihipStream_tbEUljE_ZNSN_ISO_Lb0ESR_SS_SU_SV_SZ_EES10_S11_S12_S13_S17_S18_S19_S1C_S1D_jS1E_jS1F_S1F_jjS1H_bEUljE0_EEES10_S11_S12_S19_S1D_S1F_T6_T7_T9_mT8_S1H_bDpT10_ENKUlT_T0_E_clISt17integral_constantIbLb0EES1U_IbLb1EEEEDaS1Q_S1R_EUlS1Q_E_NS1_11comp_targetILNS1_3genE10ELNS1_11target_archE1200ELNS1_3gpuE4ELNS1_3repE0EEENS1_30default_config_static_selectorELNS0_4arch9wavefront6targetE1EEEvS13_.has_recursion, 0
	.set _ZN7rocprim17ROCPRIM_400000_NS6detail17trampoline_kernelINS0_13select_configILj256ELj13ELNS0_17block_load_methodE3ELS4_3ELS4_3ELNS0_20block_scan_algorithmE0ELj4294967295EEENS1_25partition_config_selectorILNS1_17partition_subalgoE4EjNS0_10empty_typeEbEEZZNS1_14partition_implILS8_4ELb0ES6_15HIP_vector_typeIjLj2EENS0_17counting_iteratorIjlEEPS9_SG_NS0_5tupleIJPjSI_NS0_16reverse_iteratorISI_EEEEENSH_IJSG_SG_SG_EEES9_SI_JZNS1_25segmented_radix_sort_implINS0_14default_configELb0EPK12hip_bfloat16PSP_PKlPlN2at6native12_GLOBAL__N_18offset_tEEE10hipError_tPvRmT1_PNSt15iterator_traitsIS13_E10value_typeET2_T3_PNS14_IS19_E10value_typeET4_jRbjT5_S1F_jjP12ihipStream_tbEUljE_ZNSN_ISO_Lb0ESR_SS_SU_SV_SZ_EES10_S11_S12_S13_S17_S18_S19_S1C_S1D_jS1E_jS1F_S1F_jjS1H_bEUljE0_EEES10_S11_S12_S19_S1D_S1F_T6_T7_T9_mT8_S1H_bDpT10_ENKUlT_T0_E_clISt17integral_constantIbLb0EES1U_IbLb1EEEEDaS1Q_S1R_EUlS1Q_E_NS1_11comp_targetILNS1_3genE10ELNS1_11target_archE1200ELNS1_3gpuE4ELNS1_3repE0EEENS1_30default_config_static_selectorELNS0_4arch9wavefront6targetE1EEEvS13_.has_indirect_call, 0
	.section	.AMDGPU.csdata,"",@progbits
; Kernel info:
; codeLenInByte = 0
; TotalNumSgprs: 4
; NumVgprs: 0
; ScratchSize: 0
; MemoryBound: 0
; FloatMode: 240
; IeeeMode: 1
; LDSByteSize: 0 bytes/workgroup (compile time only)
; SGPRBlocks: 0
; VGPRBlocks: 0
; NumSGPRsForWavesPerEU: 4
; NumVGPRsForWavesPerEU: 1
; Occupancy: 10
; WaveLimiterHint : 0
; COMPUTE_PGM_RSRC2:SCRATCH_EN: 0
; COMPUTE_PGM_RSRC2:USER_SGPR: 6
; COMPUTE_PGM_RSRC2:TRAP_HANDLER: 0
; COMPUTE_PGM_RSRC2:TGID_X_EN: 1
; COMPUTE_PGM_RSRC2:TGID_Y_EN: 0
; COMPUTE_PGM_RSRC2:TGID_Z_EN: 0
; COMPUTE_PGM_RSRC2:TIDIG_COMP_CNT: 0
	.section	.text._ZN7rocprim17ROCPRIM_400000_NS6detail17trampoline_kernelINS0_13select_configILj256ELj13ELNS0_17block_load_methodE3ELS4_3ELS4_3ELNS0_20block_scan_algorithmE0ELj4294967295EEENS1_25partition_config_selectorILNS1_17partition_subalgoE4EjNS0_10empty_typeEbEEZZNS1_14partition_implILS8_4ELb0ES6_15HIP_vector_typeIjLj2EENS0_17counting_iteratorIjlEEPS9_SG_NS0_5tupleIJPjSI_NS0_16reverse_iteratorISI_EEEEENSH_IJSG_SG_SG_EEES9_SI_JZNS1_25segmented_radix_sort_implINS0_14default_configELb0EPK12hip_bfloat16PSP_PKlPlN2at6native12_GLOBAL__N_18offset_tEEE10hipError_tPvRmT1_PNSt15iterator_traitsIS13_E10value_typeET2_T3_PNS14_IS19_E10value_typeET4_jRbjT5_S1F_jjP12ihipStream_tbEUljE_ZNSN_ISO_Lb0ESR_SS_SU_SV_SZ_EES10_S11_S12_S13_S17_S18_S19_S1C_S1D_jS1E_jS1F_S1F_jjS1H_bEUljE0_EEES10_S11_S12_S19_S1D_S1F_T6_T7_T9_mT8_S1H_bDpT10_ENKUlT_T0_E_clISt17integral_constantIbLb0EES1U_IbLb1EEEEDaS1Q_S1R_EUlS1Q_E_NS1_11comp_targetILNS1_3genE9ELNS1_11target_archE1100ELNS1_3gpuE3ELNS1_3repE0EEENS1_30default_config_static_selectorELNS0_4arch9wavefront6targetE1EEEvS13_,"axG",@progbits,_ZN7rocprim17ROCPRIM_400000_NS6detail17trampoline_kernelINS0_13select_configILj256ELj13ELNS0_17block_load_methodE3ELS4_3ELS4_3ELNS0_20block_scan_algorithmE0ELj4294967295EEENS1_25partition_config_selectorILNS1_17partition_subalgoE4EjNS0_10empty_typeEbEEZZNS1_14partition_implILS8_4ELb0ES6_15HIP_vector_typeIjLj2EENS0_17counting_iteratorIjlEEPS9_SG_NS0_5tupleIJPjSI_NS0_16reverse_iteratorISI_EEEEENSH_IJSG_SG_SG_EEES9_SI_JZNS1_25segmented_radix_sort_implINS0_14default_configELb0EPK12hip_bfloat16PSP_PKlPlN2at6native12_GLOBAL__N_18offset_tEEE10hipError_tPvRmT1_PNSt15iterator_traitsIS13_E10value_typeET2_T3_PNS14_IS19_E10value_typeET4_jRbjT5_S1F_jjP12ihipStream_tbEUljE_ZNSN_ISO_Lb0ESR_SS_SU_SV_SZ_EES10_S11_S12_S13_S17_S18_S19_S1C_S1D_jS1E_jS1F_S1F_jjS1H_bEUljE0_EEES10_S11_S12_S19_S1D_S1F_T6_T7_T9_mT8_S1H_bDpT10_ENKUlT_T0_E_clISt17integral_constantIbLb0EES1U_IbLb1EEEEDaS1Q_S1R_EUlS1Q_E_NS1_11comp_targetILNS1_3genE9ELNS1_11target_archE1100ELNS1_3gpuE3ELNS1_3repE0EEENS1_30default_config_static_selectorELNS0_4arch9wavefront6targetE1EEEvS13_,comdat
	.globl	_ZN7rocprim17ROCPRIM_400000_NS6detail17trampoline_kernelINS0_13select_configILj256ELj13ELNS0_17block_load_methodE3ELS4_3ELS4_3ELNS0_20block_scan_algorithmE0ELj4294967295EEENS1_25partition_config_selectorILNS1_17partition_subalgoE4EjNS0_10empty_typeEbEEZZNS1_14partition_implILS8_4ELb0ES6_15HIP_vector_typeIjLj2EENS0_17counting_iteratorIjlEEPS9_SG_NS0_5tupleIJPjSI_NS0_16reverse_iteratorISI_EEEEENSH_IJSG_SG_SG_EEES9_SI_JZNS1_25segmented_radix_sort_implINS0_14default_configELb0EPK12hip_bfloat16PSP_PKlPlN2at6native12_GLOBAL__N_18offset_tEEE10hipError_tPvRmT1_PNSt15iterator_traitsIS13_E10value_typeET2_T3_PNS14_IS19_E10value_typeET4_jRbjT5_S1F_jjP12ihipStream_tbEUljE_ZNSN_ISO_Lb0ESR_SS_SU_SV_SZ_EES10_S11_S12_S13_S17_S18_S19_S1C_S1D_jS1E_jS1F_S1F_jjS1H_bEUljE0_EEES10_S11_S12_S19_S1D_S1F_T6_T7_T9_mT8_S1H_bDpT10_ENKUlT_T0_E_clISt17integral_constantIbLb0EES1U_IbLb1EEEEDaS1Q_S1R_EUlS1Q_E_NS1_11comp_targetILNS1_3genE9ELNS1_11target_archE1100ELNS1_3gpuE3ELNS1_3repE0EEENS1_30default_config_static_selectorELNS0_4arch9wavefront6targetE1EEEvS13_ ; -- Begin function _ZN7rocprim17ROCPRIM_400000_NS6detail17trampoline_kernelINS0_13select_configILj256ELj13ELNS0_17block_load_methodE3ELS4_3ELS4_3ELNS0_20block_scan_algorithmE0ELj4294967295EEENS1_25partition_config_selectorILNS1_17partition_subalgoE4EjNS0_10empty_typeEbEEZZNS1_14partition_implILS8_4ELb0ES6_15HIP_vector_typeIjLj2EENS0_17counting_iteratorIjlEEPS9_SG_NS0_5tupleIJPjSI_NS0_16reverse_iteratorISI_EEEEENSH_IJSG_SG_SG_EEES9_SI_JZNS1_25segmented_radix_sort_implINS0_14default_configELb0EPK12hip_bfloat16PSP_PKlPlN2at6native12_GLOBAL__N_18offset_tEEE10hipError_tPvRmT1_PNSt15iterator_traitsIS13_E10value_typeET2_T3_PNS14_IS19_E10value_typeET4_jRbjT5_S1F_jjP12ihipStream_tbEUljE_ZNSN_ISO_Lb0ESR_SS_SU_SV_SZ_EES10_S11_S12_S13_S17_S18_S19_S1C_S1D_jS1E_jS1F_S1F_jjS1H_bEUljE0_EEES10_S11_S12_S19_S1D_S1F_T6_T7_T9_mT8_S1H_bDpT10_ENKUlT_T0_E_clISt17integral_constantIbLb0EES1U_IbLb1EEEEDaS1Q_S1R_EUlS1Q_E_NS1_11comp_targetILNS1_3genE9ELNS1_11target_archE1100ELNS1_3gpuE3ELNS1_3repE0EEENS1_30default_config_static_selectorELNS0_4arch9wavefront6targetE1EEEvS13_
	.p2align	8
	.type	_ZN7rocprim17ROCPRIM_400000_NS6detail17trampoline_kernelINS0_13select_configILj256ELj13ELNS0_17block_load_methodE3ELS4_3ELS4_3ELNS0_20block_scan_algorithmE0ELj4294967295EEENS1_25partition_config_selectorILNS1_17partition_subalgoE4EjNS0_10empty_typeEbEEZZNS1_14partition_implILS8_4ELb0ES6_15HIP_vector_typeIjLj2EENS0_17counting_iteratorIjlEEPS9_SG_NS0_5tupleIJPjSI_NS0_16reverse_iteratorISI_EEEEENSH_IJSG_SG_SG_EEES9_SI_JZNS1_25segmented_radix_sort_implINS0_14default_configELb0EPK12hip_bfloat16PSP_PKlPlN2at6native12_GLOBAL__N_18offset_tEEE10hipError_tPvRmT1_PNSt15iterator_traitsIS13_E10value_typeET2_T3_PNS14_IS19_E10value_typeET4_jRbjT5_S1F_jjP12ihipStream_tbEUljE_ZNSN_ISO_Lb0ESR_SS_SU_SV_SZ_EES10_S11_S12_S13_S17_S18_S19_S1C_S1D_jS1E_jS1F_S1F_jjS1H_bEUljE0_EEES10_S11_S12_S19_S1D_S1F_T6_T7_T9_mT8_S1H_bDpT10_ENKUlT_T0_E_clISt17integral_constantIbLb0EES1U_IbLb1EEEEDaS1Q_S1R_EUlS1Q_E_NS1_11comp_targetILNS1_3genE9ELNS1_11target_archE1100ELNS1_3gpuE3ELNS1_3repE0EEENS1_30default_config_static_selectorELNS0_4arch9wavefront6targetE1EEEvS13_,@function
_ZN7rocprim17ROCPRIM_400000_NS6detail17trampoline_kernelINS0_13select_configILj256ELj13ELNS0_17block_load_methodE3ELS4_3ELS4_3ELNS0_20block_scan_algorithmE0ELj4294967295EEENS1_25partition_config_selectorILNS1_17partition_subalgoE4EjNS0_10empty_typeEbEEZZNS1_14partition_implILS8_4ELb0ES6_15HIP_vector_typeIjLj2EENS0_17counting_iteratorIjlEEPS9_SG_NS0_5tupleIJPjSI_NS0_16reverse_iteratorISI_EEEEENSH_IJSG_SG_SG_EEES9_SI_JZNS1_25segmented_radix_sort_implINS0_14default_configELb0EPK12hip_bfloat16PSP_PKlPlN2at6native12_GLOBAL__N_18offset_tEEE10hipError_tPvRmT1_PNSt15iterator_traitsIS13_E10value_typeET2_T3_PNS14_IS19_E10value_typeET4_jRbjT5_S1F_jjP12ihipStream_tbEUljE_ZNSN_ISO_Lb0ESR_SS_SU_SV_SZ_EES10_S11_S12_S13_S17_S18_S19_S1C_S1D_jS1E_jS1F_S1F_jjS1H_bEUljE0_EEES10_S11_S12_S19_S1D_S1F_T6_T7_T9_mT8_S1H_bDpT10_ENKUlT_T0_E_clISt17integral_constantIbLb0EES1U_IbLb1EEEEDaS1Q_S1R_EUlS1Q_E_NS1_11comp_targetILNS1_3genE9ELNS1_11target_archE1100ELNS1_3gpuE3ELNS1_3repE0EEENS1_30default_config_static_selectorELNS0_4arch9wavefront6targetE1EEEvS13_: ; @_ZN7rocprim17ROCPRIM_400000_NS6detail17trampoline_kernelINS0_13select_configILj256ELj13ELNS0_17block_load_methodE3ELS4_3ELS4_3ELNS0_20block_scan_algorithmE0ELj4294967295EEENS1_25partition_config_selectorILNS1_17partition_subalgoE4EjNS0_10empty_typeEbEEZZNS1_14partition_implILS8_4ELb0ES6_15HIP_vector_typeIjLj2EENS0_17counting_iteratorIjlEEPS9_SG_NS0_5tupleIJPjSI_NS0_16reverse_iteratorISI_EEEEENSH_IJSG_SG_SG_EEES9_SI_JZNS1_25segmented_radix_sort_implINS0_14default_configELb0EPK12hip_bfloat16PSP_PKlPlN2at6native12_GLOBAL__N_18offset_tEEE10hipError_tPvRmT1_PNSt15iterator_traitsIS13_E10value_typeET2_T3_PNS14_IS19_E10value_typeET4_jRbjT5_S1F_jjP12ihipStream_tbEUljE_ZNSN_ISO_Lb0ESR_SS_SU_SV_SZ_EES10_S11_S12_S13_S17_S18_S19_S1C_S1D_jS1E_jS1F_S1F_jjS1H_bEUljE0_EEES10_S11_S12_S19_S1D_S1F_T6_T7_T9_mT8_S1H_bDpT10_ENKUlT_T0_E_clISt17integral_constantIbLb0EES1U_IbLb1EEEEDaS1Q_S1R_EUlS1Q_E_NS1_11comp_targetILNS1_3genE9ELNS1_11target_archE1100ELNS1_3gpuE3ELNS1_3repE0EEENS1_30default_config_static_selectorELNS0_4arch9wavefront6targetE1EEEvS13_
; %bb.0:
	.section	.rodata,"a",@progbits
	.p2align	6, 0x0
	.amdhsa_kernel _ZN7rocprim17ROCPRIM_400000_NS6detail17trampoline_kernelINS0_13select_configILj256ELj13ELNS0_17block_load_methodE3ELS4_3ELS4_3ELNS0_20block_scan_algorithmE0ELj4294967295EEENS1_25partition_config_selectorILNS1_17partition_subalgoE4EjNS0_10empty_typeEbEEZZNS1_14partition_implILS8_4ELb0ES6_15HIP_vector_typeIjLj2EENS0_17counting_iteratorIjlEEPS9_SG_NS0_5tupleIJPjSI_NS0_16reverse_iteratorISI_EEEEENSH_IJSG_SG_SG_EEES9_SI_JZNS1_25segmented_radix_sort_implINS0_14default_configELb0EPK12hip_bfloat16PSP_PKlPlN2at6native12_GLOBAL__N_18offset_tEEE10hipError_tPvRmT1_PNSt15iterator_traitsIS13_E10value_typeET2_T3_PNS14_IS19_E10value_typeET4_jRbjT5_S1F_jjP12ihipStream_tbEUljE_ZNSN_ISO_Lb0ESR_SS_SU_SV_SZ_EES10_S11_S12_S13_S17_S18_S19_S1C_S1D_jS1E_jS1F_S1F_jjS1H_bEUljE0_EEES10_S11_S12_S19_S1D_S1F_T6_T7_T9_mT8_S1H_bDpT10_ENKUlT_T0_E_clISt17integral_constantIbLb0EES1U_IbLb1EEEEDaS1Q_S1R_EUlS1Q_E_NS1_11comp_targetILNS1_3genE9ELNS1_11target_archE1100ELNS1_3gpuE3ELNS1_3repE0EEENS1_30default_config_static_selectorELNS0_4arch9wavefront6targetE1EEEvS13_
		.amdhsa_group_segment_fixed_size 0
		.amdhsa_private_segment_fixed_size 0
		.amdhsa_kernarg_size 184
		.amdhsa_user_sgpr_count 6
		.amdhsa_user_sgpr_private_segment_buffer 1
		.amdhsa_user_sgpr_dispatch_ptr 0
		.amdhsa_user_sgpr_queue_ptr 0
		.amdhsa_user_sgpr_kernarg_segment_ptr 1
		.amdhsa_user_sgpr_dispatch_id 0
		.amdhsa_user_sgpr_flat_scratch_init 0
		.amdhsa_user_sgpr_private_segment_size 0
		.amdhsa_uses_dynamic_stack 0
		.amdhsa_system_sgpr_private_segment_wavefront_offset 0
		.amdhsa_system_sgpr_workgroup_id_x 1
		.amdhsa_system_sgpr_workgroup_id_y 0
		.amdhsa_system_sgpr_workgroup_id_z 0
		.amdhsa_system_sgpr_workgroup_info 0
		.amdhsa_system_vgpr_workitem_id 0
		.amdhsa_next_free_vgpr 1
		.amdhsa_next_free_sgpr 0
		.amdhsa_reserve_vcc 0
		.amdhsa_reserve_flat_scratch 0
		.amdhsa_float_round_mode_32 0
		.amdhsa_float_round_mode_16_64 0
		.amdhsa_float_denorm_mode_32 3
		.amdhsa_float_denorm_mode_16_64 3
		.amdhsa_dx10_clamp 1
		.amdhsa_ieee_mode 1
		.amdhsa_fp16_overflow 0
		.amdhsa_exception_fp_ieee_invalid_op 0
		.amdhsa_exception_fp_denorm_src 0
		.amdhsa_exception_fp_ieee_div_zero 0
		.amdhsa_exception_fp_ieee_overflow 0
		.amdhsa_exception_fp_ieee_underflow 0
		.amdhsa_exception_fp_ieee_inexact 0
		.amdhsa_exception_int_div_zero 0
	.end_amdhsa_kernel
	.section	.text._ZN7rocprim17ROCPRIM_400000_NS6detail17trampoline_kernelINS0_13select_configILj256ELj13ELNS0_17block_load_methodE3ELS4_3ELS4_3ELNS0_20block_scan_algorithmE0ELj4294967295EEENS1_25partition_config_selectorILNS1_17partition_subalgoE4EjNS0_10empty_typeEbEEZZNS1_14partition_implILS8_4ELb0ES6_15HIP_vector_typeIjLj2EENS0_17counting_iteratorIjlEEPS9_SG_NS0_5tupleIJPjSI_NS0_16reverse_iteratorISI_EEEEENSH_IJSG_SG_SG_EEES9_SI_JZNS1_25segmented_radix_sort_implINS0_14default_configELb0EPK12hip_bfloat16PSP_PKlPlN2at6native12_GLOBAL__N_18offset_tEEE10hipError_tPvRmT1_PNSt15iterator_traitsIS13_E10value_typeET2_T3_PNS14_IS19_E10value_typeET4_jRbjT5_S1F_jjP12ihipStream_tbEUljE_ZNSN_ISO_Lb0ESR_SS_SU_SV_SZ_EES10_S11_S12_S13_S17_S18_S19_S1C_S1D_jS1E_jS1F_S1F_jjS1H_bEUljE0_EEES10_S11_S12_S19_S1D_S1F_T6_T7_T9_mT8_S1H_bDpT10_ENKUlT_T0_E_clISt17integral_constantIbLb0EES1U_IbLb1EEEEDaS1Q_S1R_EUlS1Q_E_NS1_11comp_targetILNS1_3genE9ELNS1_11target_archE1100ELNS1_3gpuE3ELNS1_3repE0EEENS1_30default_config_static_selectorELNS0_4arch9wavefront6targetE1EEEvS13_,"axG",@progbits,_ZN7rocprim17ROCPRIM_400000_NS6detail17trampoline_kernelINS0_13select_configILj256ELj13ELNS0_17block_load_methodE3ELS4_3ELS4_3ELNS0_20block_scan_algorithmE0ELj4294967295EEENS1_25partition_config_selectorILNS1_17partition_subalgoE4EjNS0_10empty_typeEbEEZZNS1_14partition_implILS8_4ELb0ES6_15HIP_vector_typeIjLj2EENS0_17counting_iteratorIjlEEPS9_SG_NS0_5tupleIJPjSI_NS0_16reverse_iteratorISI_EEEEENSH_IJSG_SG_SG_EEES9_SI_JZNS1_25segmented_radix_sort_implINS0_14default_configELb0EPK12hip_bfloat16PSP_PKlPlN2at6native12_GLOBAL__N_18offset_tEEE10hipError_tPvRmT1_PNSt15iterator_traitsIS13_E10value_typeET2_T3_PNS14_IS19_E10value_typeET4_jRbjT5_S1F_jjP12ihipStream_tbEUljE_ZNSN_ISO_Lb0ESR_SS_SU_SV_SZ_EES10_S11_S12_S13_S17_S18_S19_S1C_S1D_jS1E_jS1F_S1F_jjS1H_bEUljE0_EEES10_S11_S12_S19_S1D_S1F_T6_T7_T9_mT8_S1H_bDpT10_ENKUlT_T0_E_clISt17integral_constantIbLb0EES1U_IbLb1EEEEDaS1Q_S1R_EUlS1Q_E_NS1_11comp_targetILNS1_3genE9ELNS1_11target_archE1100ELNS1_3gpuE3ELNS1_3repE0EEENS1_30default_config_static_selectorELNS0_4arch9wavefront6targetE1EEEvS13_,comdat
.Lfunc_end2015:
	.size	_ZN7rocprim17ROCPRIM_400000_NS6detail17trampoline_kernelINS0_13select_configILj256ELj13ELNS0_17block_load_methodE3ELS4_3ELS4_3ELNS0_20block_scan_algorithmE0ELj4294967295EEENS1_25partition_config_selectorILNS1_17partition_subalgoE4EjNS0_10empty_typeEbEEZZNS1_14partition_implILS8_4ELb0ES6_15HIP_vector_typeIjLj2EENS0_17counting_iteratorIjlEEPS9_SG_NS0_5tupleIJPjSI_NS0_16reverse_iteratorISI_EEEEENSH_IJSG_SG_SG_EEES9_SI_JZNS1_25segmented_radix_sort_implINS0_14default_configELb0EPK12hip_bfloat16PSP_PKlPlN2at6native12_GLOBAL__N_18offset_tEEE10hipError_tPvRmT1_PNSt15iterator_traitsIS13_E10value_typeET2_T3_PNS14_IS19_E10value_typeET4_jRbjT5_S1F_jjP12ihipStream_tbEUljE_ZNSN_ISO_Lb0ESR_SS_SU_SV_SZ_EES10_S11_S12_S13_S17_S18_S19_S1C_S1D_jS1E_jS1F_S1F_jjS1H_bEUljE0_EEES10_S11_S12_S19_S1D_S1F_T6_T7_T9_mT8_S1H_bDpT10_ENKUlT_T0_E_clISt17integral_constantIbLb0EES1U_IbLb1EEEEDaS1Q_S1R_EUlS1Q_E_NS1_11comp_targetILNS1_3genE9ELNS1_11target_archE1100ELNS1_3gpuE3ELNS1_3repE0EEENS1_30default_config_static_selectorELNS0_4arch9wavefront6targetE1EEEvS13_, .Lfunc_end2015-_ZN7rocprim17ROCPRIM_400000_NS6detail17trampoline_kernelINS0_13select_configILj256ELj13ELNS0_17block_load_methodE3ELS4_3ELS4_3ELNS0_20block_scan_algorithmE0ELj4294967295EEENS1_25partition_config_selectorILNS1_17partition_subalgoE4EjNS0_10empty_typeEbEEZZNS1_14partition_implILS8_4ELb0ES6_15HIP_vector_typeIjLj2EENS0_17counting_iteratorIjlEEPS9_SG_NS0_5tupleIJPjSI_NS0_16reverse_iteratorISI_EEEEENSH_IJSG_SG_SG_EEES9_SI_JZNS1_25segmented_radix_sort_implINS0_14default_configELb0EPK12hip_bfloat16PSP_PKlPlN2at6native12_GLOBAL__N_18offset_tEEE10hipError_tPvRmT1_PNSt15iterator_traitsIS13_E10value_typeET2_T3_PNS14_IS19_E10value_typeET4_jRbjT5_S1F_jjP12ihipStream_tbEUljE_ZNSN_ISO_Lb0ESR_SS_SU_SV_SZ_EES10_S11_S12_S13_S17_S18_S19_S1C_S1D_jS1E_jS1F_S1F_jjS1H_bEUljE0_EEES10_S11_S12_S19_S1D_S1F_T6_T7_T9_mT8_S1H_bDpT10_ENKUlT_T0_E_clISt17integral_constantIbLb0EES1U_IbLb1EEEEDaS1Q_S1R_EUlS1Q_E_NS1_11comp_targetILNS1_3genE9ELNS1_11target_archE1100ELNS1_3gpuE3ELNS1_3repE0EEENS1_30default_config_static_selectorELNS0_4arch9wavefront6targetE1EEEvS13_
                                        ; -- End function
	.set _ZN7rocprim17ROCPRIM_400000_NS6detail17trampoline_kernelINS0_13select_configILj256ELj13ELNS0_17block_load_methodE3ELS4_3ELS4_3ELNS0_20block_scan_algorithmE0ELj4294967295EEENS1_25partition_config_selectorILNS1_17partition_subalgoE4EjNS0_10empty_typeEbEEZZNS1_14partition_implILS8_4ELb0ES6_15HIP_vector_typeIjLj2EENS0_17counting_iteratorIjlEEPS9_SG_NS0_5tupleIJPjSI_NS0_16reverse_iteratorISI_EEEEENSH_IJSG_SG_SG_EEES9_SI_JZNS1_25segmented_radix_sort_implINS0_14default_configELb0EPK12hip_bfloat16PSP_PKlPlN2at6native12_GLOBAL__N_18offset_tEEE10hipError_tPvRmT1_PNSt15iterator_traitsIS13_E10value_typeET2_T3_PNS14_IS19_E10value_typeET4_jRbjT5_S1F_jjP12ihipStream_tbEUljE_ZNSN_ISO_Lb0ESR_SS_SU_SV_SZ_EES10_S11_S12_S13_S17_S18_S19_S1C_S1D_jS1E_jS1F_S1F_jjS1H_bEUljE0_EEES10_S11_S12_S19_S1D_S1F_T6_T7_T9_mT8_S1H_bDpT10_ENKUlT_T0_E_clISt17integral_constantIbLb0EES1U_IbLb1EEEEDaS1Q_S1R_EUlS1Q_E_NS1_11comp_targetILNS1_3genE9ELNS1_11target_archE1100ELNS1_3gpuE3ELNS1_3repE0EEENS1_30default_config_static_selectorELNS0_4arch9wavefront6targetE1EEEvS13_.num_vgpr, 0
	.set _ZN7rocprim17ROCPRIM_400000_NS6detail17trampoline_kernelINS0_13select_configILj256ELj13ELNS0_17block_load_methodE3ELS4_3ELS4_3ELNS0_20block_scan_algorithmE0ELj4294967295EEENS1_25partition_config_selectorILNS1_17partition_subalgoE4EjNS0_10empty_typeEbEEZZNS1_14partition_implILS8_4ELb0ES6_15HIP_vector_typeIjLj2EENS0_17counting_iteratorIjlEEPS9_SG_NS0_5tupleIJPjSI_NS0_16reverse_iteratorISI_EEEEENSH_IJSG_SG_SG_EEES9_SI_JZNS1_25segmented_radix_sort_implINS0_14default_configELb0EPK12hip_bfloat16PSP_PKlPlN2at6native12_GLOBAL__N_18offset_tEEE10hipError_tPvRmT1_PNSt15iterator_traitsIS13_E10value_typeET2_T3_PNS14_IS19_E10value_typeET4_jRbjT5_S1F_jjP12ihipStream_tbEUljE_ZNSN_ISO_Lb0ESR_SS_SU_SV_SZ_EES10_S11_S12_S13_S17_S18_S19_S1C_S1D_jS1E_jS1F_S1F_jjS1H_bEUljE0_EEES10_S11_S12_S19_S1D_S1F_T6_T7_T9_mT8_S1H_bDpT10_ENKUlT_T0_E_clISt17integral_constantIbLb0EES1U_IbLb1EEEEDaS1Q_S1R_EUlS1Q_E_NS1_11comp_targetILNS1_3genE9ELNS1_11target_archE1100ELNS1_3gpuE3ELNS1_3repE0EEENS1_30default_config_static_selectorELNS0_4arch9wavefront6targetE1EEEvS13_.num_agpr, 0
	.set _ZN7rocprim17ROCPRIM_400000_NS6detail17trampoline_kernelINS0_13select_configILj256ELj13ELNS0_17block_load_methodE3ELS4_3ELS4_3ELNS0_20block_scan_algorithmE0ELj4294967295EEENS1_25partition_config_selectorILNS1_17partition_subalgoE4EjNS0_10empty_typeEbEEZZNS1_14partition_implILS8_4ELb0ES6_15HIP_vector_typeIjLj2EENS0_17counting_iteratorIjlEEPS9_SG_NS0_5tupleIJPjSI_NS0_16reverse_iteratorISI_EEEEENSH_IJSG_SG_SG_EEES9_SI_JZNS1_25segmented_radix_sort_implINS0_14default_configELb0EPK12hip_bfloat16PSP_PKlPlN2at6native12_GLOBAL__N_18offset_tEEE10hipError_tPvRmT1_PNSt15iterator_traitsIS13_E10value_typeET2_T3_PNS14_IS19_E10value_typeET4_jRbjT5_S1F_jjP12ihipStream_tbEUljE_ZNSN_ISO_Lb0ESR_SS_SU_SV_SZ_EES10_S11_S12_S13_S17_S18_S19_S1C_S1D_jS1E_jS1F_S1F_jjS1H_bEUljE0_EEES10_S11_S12_S19_S1D_S1F_T6_T7_T9_mT8_S1H_bDpT10_ENKUlT_T0_E_clISt17integral_constantIbLb0EES1U_IbLb1EEEEDaS1Q_S1R_EUlS1Q_E_NS1_11comp_targetILNS1_3genE9ELNS1_11target_archE1100ELNS1_3gpuE3ELNS1_3repE0EEENS1_30default_config_static_selectorELNS0_4arch9wavefront6targetE1EEEvS13_.numbered_sgpr, 0
	.set _ZN7rocprim17ROCPRIM_400000_NS6detail17trampoline_kernelINS0_13select_configILj256ELj13ELNS0_17block_load_methodE3ELS4_3ELS4_3ELNS0_20block_scan_algorithmE0ELj4294967295EEENS1_25partition_config_selectorILNS1_17partition_subalgoE4EjNS0_10empty_typeEbEEZZNS1_14partition_implILS8_4ELb0ES6_15HIP_vector_typeIjLj2EENS0_17counting_iteratorIjlEEPS9_SG_NS0_5tupleIJPjSI_NS0_16reverse_iteratorISI_EEEEENSH_IJSG_SG_SG_EEES9_SI_JZNS1_25segmented_radix_sort_implINS0_14default_configELb0EPK12hip_bfloat16PSP_PKlPlN2at6native12_GLOBAL__N_18offset_tEEE10hipError_tPvRmT1_PNSt15iterator_traitsIS13_E10value_typeET2_T3_PNS14_IS19_E10value_typeET4_jRbjT5_S1F_jjP12ihipStream_tbEUljE_ZNSN_ISO_Lb0ESR_SS_SU_SV_SZ_EES10_S11_S12_S13_S17_S18_S19_S1C_S1D_jS1E_jS1F_S1F_jjS1H_bEUljE0_EEES10_S11_S12_S19_S1D_S1F_T6_T7_T9_mT8_S1H_bDpT10_ENKUlT_T0_E_clISt17integral_constantIbLb0EES1U_IbLb1EEEEDaS1Q_S1R_EUlS1Q_E_NS1_11comp_targetILNS1_3genE9ELNS1_11target_archE1100ELNS1_3gpuE3ELNS1_3repE0EEENS1_30default_config_static_selectorELNS0_4arch9wavefront6targetE1EEEvS13_.num_named_barrier, 0
	.set _ZN7rocprim17ROCPRIM_400000_NS6detail17trampoline_kernelINS0_13select_configILj256ELj13ELNS0_17block_load_methodE3ELS4_3ELS4_3ELNS0_20block_scan_algorithmE0ELj4294967295EEENS1_25partition_config_selectorILNS1_17partition_subalgoE4EjNS0_10empty_typeEbEEZZNS1_14partition_implILS8_4ELb0ES6_15HIP_vector_typeIjLj2EENS0_17counting_iteratorIjlEEPS9_SG_NS0_5tupleIJPjSI_NS0_16reverse_iteratorISI_EEEEENSH_IJSG_SG_SG_EEES9_SI_JZNS1_25segmented_radix_sort_implINS0_14default_configELb0EPK12hip_bfloat16PSP_PKlPlN2at6native12_GLOBAL__N_18offset_tEEE10hipError_tPvRmT1_PNSt15iterator_traitsIS13_E10value_typeET2_T3_PNS14_IS19_E10value_typeET4_jRbjT5_S1F_jjP12ihipStream_tbEUljE_ZNSN_ISO_Lb0ESR_SS_SU_SV_SZ_EES10_S11_S12_S13_S17_S18_S19_S1C_S1D_jS1E_jS1F_S1F_jjS1H_bEUljE0_EEES10_S11_S12_S19_S1D_S1F_T6_T7_T9_mT8_S1H_bDpT10_ENKUlT_T0_E_clISt17integral_constantIbLb0EES1U_IbLb1EEEEDaS1Q_S1R_EUlS1Q_E_NS1_11comp_targetILNS1_3genE9ELNS1_11target_archE1100ELNS1_3gpuE3ELNS1_3repE0EEENS1_30default_config_static_selectorELNS0_4arch9wavefront6targetE1EEEvS13_.private_seg_size, 0
	.set _ZN7rocprim17ROCPRIM_400000_NS6detail17trampoline_kernelINS0_13select_configILj256ELj13ELNS0_17block_load_methodE3ELS4_3ELS4_3ELNS0_20block_scan_algorithmE0ELj4294967295EEENS1_25partition_config_selectorILNS1_17partition_subalgoE4EjNS0_10empty_typeEbEEZZNS1_14partition_implILS8_4ELb0ES6_15HIP_vector_typeIjLj2EENS0_17counting_iteratorIjlEEPS9_SG_NS0_5tupleIJPjSI_NS0_16reverse_iteratorISI_EEEEENSH_IJSG_SG_SG_EEES9_SI_JZNS1_25segmented_radix_sort_implINS0_14default_configELb0EPK12hip_bfloat16PSP_PKlPlN2at6native12_GLOBAL__N_18offset_tEEE10hipError_tPvRmT1_PNSt15iterator_traitsIS13_E10value_typeET2_T3_PNS14_IS19_E10value_typeET4_jRbjT5_S1F_jjP12ihipStream_tbEUljE_ZNSN_ISO_Lb0ESR_SS_SU_SV_SZ_EES10_S11_S12_S13_S17_S18_S19_S1C_S1D_jS1E_jS1F_S1F_jjS1H_bEUljE0_EEES10_S11_S12_S19_S1D_S1F_T6_T7_T9_mT8_S1H_bDpT10_ENKUlT_T0_E_clISt17integral_constantIbLb0EES1U_IbLb1EEEEDaS1Q_S1R_EUlS1Q_E_NS1_11comp_targetILNS1_3genE9ELNS1_11target_archE1100ELNS1_3gpuE3ELNS1_3repE0EEENS1_30default_config_static_selectorELNS0_4arch9wavefront6targetE1EEEvS13_.uses_vcc, 0
	.set _ZN7rocprim17ROCPRIM_400000_NS6detail17trampoline_kernelINS0_13select_configILj256ELj13ELNS0_17block_load_methodE3ELS4_3ELS4_3ELNS0_20block_scan_algorithmE0ELj4294967295EEENS1_25partition_config_selectorILNS1_17partition_subalgoE4EjNS0_10empty_typeEbEEZZNS1_14partition_implILS8_4ELb0ES6_15HIP_vector_typeIjLj2EENS0_17counting_iteratorIjlEEPS9_SG_NS0_5tupleIJPjSI_NS0_16reverse_iteratorISI_EEEEENSH_IJSG_SG_SG_EEES9_SI_JZNS1_25segmented_radix_sort_implINS0_14default_configELb0EPK12hip_bfloat16PSP_PKlPlN2at6native12_GLOBAL__N_18offset_tEEE10hipError_tPvRmT1_PNSt15iterator_traitsIS13_E10value_typeET2_T3_PNS14_IS19_E10value_typeET4_jRbjT5_S1F_jjP12ihipStream_tbEUljE_ZNSN_ISO_Lb0ESR_SS_SU_SV_SZ_EES10_S11_S12_S13_S17_S18_S19_S1C_S1D_jS1E_jS1F_S1F_jjS1H_bEUljE0_EEES10_S11_S12_S19_S1D_S1F_T6_T7_T9_mT8_S1H_bDpT10_ENKUlT_T0_E_clISt17integral_constantIbLb0EES1U_IbLb1EEEEDaS1Q_S1R_EUlS1Q_E_NS1_11comp_targetILNS1_3genE9ELNS1_11target_archE1100ELNS1_3gpuE3ELNS1_3repE0EEENS1_30default_config_static_selectorELNS0_4arch9wavefront6targetE1EEEvS13_.uses_flat_scratch, 0
	.set _ZN7rocprim17ROCPRIM_400000_NS6detail17trampoline_kernelINS0_13select_configILj256ELj13ELNS0_17block_load_methodE3ELS4_3ELS4_3ELNS0_20block_scan_algorithmE0ELj4294967295EEENS1_25partition_config_selectorILNS1_17partition_subalgoE4EjNS0_10empty_typeEbEEZZNS1_14partition_implILS8_4ELb0ES6_15HIP_vector_typeIjLj2EENS0_17counting_iteratorIjlEEPS9_SG_NS0_5tupleIJPjSI_NS0_16reverse_iteratorISI_EEEEENSH_IJSG_SG_SG_EEES9_SI_JZNS1_25segmented_radix_sort_implINS0_14default_configELb0EPK12hip_bfloat16PSP_PKlPlN2at6native12_GLOBAL__N_18offset_tEEE10hipError_tPvRmT1_PNSt15iterator_traitsIS13_E10value_typeET2_T3_PNS14_IS19_E10value_typeET4_jRbjT5_S1F_jjP12ihipStream_tbEUljE_ZNSN_ISO_Lb0ESR_SS_SU_SV_SZ_EES10_S11_S12_S13_S17_S18_S19_S1C_S1D_jS1E_jS1F_S1F_jjS1H_bEUljE0_EEES10_S11_S12_S19_S1D_S1F_T6_T7_T9_mT8_S1H_bDpT10_ENKUlT_T0_E_clISt17integral_constantIbLb0EES1U_IbLb1EEEEDaS1Q_S1R_EUlS1Q_E_NS1_11comp_targetILNS1_3genE9ELNS1_11target_archE1100ELNS1_3gpuE3ELNS1_3repE0EEENS1_30default_config_static_selectorELNS0_4arch9wavefront6targetE1EEEvS13_.has_dyn_sized_stack, 0
	.set _ZN7rocprim17ROCPRIM_400000_NS6detail17trampoline_kernelINS0_13select_configILj256ELj13ELNS0_17block_load_methodE3ELS4_3ELS4_3ELNS0_20block_scan_algorithmE0ELj4294967295EEENS1_25partition_config_selectorILNS1_17partition_subalgoE4EjNS0_10empty_typeEbEEZZNS1_14partition_implILS8_4ELb0ES6_15HIP_vector_typeIjLj2EENS0_17counting_iteratorIjlEEPS9_SG_NS0_5tupleIJPjSI_NS0_16reverse_iteratorISI_EEEEENSH_IJSG_SG_SG_EEES9_SI_JZNS1_25segmented_radix_sort_implINS0_14default_configELb0EPK12hip_bfloat16PSP_PKlPlN2at6native12_GLOBAL__N_18offset_tEEE10hipError_tPvRmT1_PNSt15iterator_traitsIS13_E10value_typeET2_T3_PNS14_IS19_E10value_typeET4_jRbjT5_S1F_jjP12ihipStream_tbEUljE_ZNSN_ISO_Lb0ESR_SS_SU_SV_SZ_EES10_S11_S12_S13_S17_S18_S19_S1C_S1D_jS1E_jS1F_S1F_jjS1H_bEUljE0_EEES10_S11_S12_S19_S1D_S1F_T6_T7_T9_mT8_S1H_bDpT10_ENKUlT_T0_E_clISt17integral_constantIbLb0EES1U_IbLb1EEEEDaS1Q_S1R_EUlS1Q_E_NS1_11comp_targetILNS1_3genE9ELNS1_11target_archE1100ELNS1_3gpuE3ELNS1_3repE0EEENS1_30default_config_static_selectorELNS0_4arch9wavefront6targetE1EEEvS13_.has_recursion, 0
	.set _ZN7rocprim17ROCPRIM_400000_NS6detail17trampoline_kernelINS0_13select_configILj256ELj13ELNS0_17block_load_methodE3ELS4_3ELS4_3ELNS0_20block_scan_algorithmE0ELj4294967295EEENS1_25partition_config_selectorILNS1_17partition_subalgoE4EjNS0_10empty_typeEbEEZZNS1_14partition_implILS8_4ELb0ES6_15HIP_vector_typeIjLj2EENS0_17counting_iteratorIjlEEPS9_SG_NS0_5tupleIJPjSI_NS0_16reverse_iteratorISI_EEEEENSH_IJSG_SG_SG_EEES9_SI_JZNS1_25segmented_radix_sort_implINS0_14default_configELb0EPK12hip_bfloat16PSP_PKlPlN2at6native12_GLOBAL__N_18offset_tEEE10hipError_tPvRmT1_PNSt15iterator_traitsIS13_E10value_typeET2_T3_PNS14_IS19_E10value_typeET4_jRbjT5_S1F_jjP12ihipStream_tbEUljE_ZNSN_ISO_Lb0ESR_SS_SU_SV_SZ_EES10_S11_S12_S13_S17_S18_S19_S1C_S1D_jS1E_jS1F_S1F_jjS1H_bEUljE0_EEES10_S11_S12_S19_S1D_S1F_T6_T7_T9_mT8_S1H_bDpT10_ENKUlT_T0_E_clISt17integral_constantIbLb0EES1U_IbLb1EEEEDaS1Q_S1R_EUlS1Q_E_NS1_11comp_targetILNS1_3genE9ELNS1_11target_archE1100ELNS1_3gpuE3ELNS1_3repE0EEENS1_30default_config_static_selectorELNS0_4arch9wavefront6targetE1EEEvS13_.has_indirect_call, 0
	.section	.AMDGPU.csdata,"",@progbits
; Kernel info:
; codeLenInByte = 0
; TotalNumSgprs: 4
; NumVgprs: 0
; ScratchSize: 0
; MemoryBound: 0
; FloatMode: 240
; IeeeMode: 1
; LDSByteSize: 0 bytes/workgroup (compile time only)
; SGPRBlocks: 0
; VGPRBlocks: 0
; NumSGPRsForWavesPerEU: 4
; NumVGPRsForWavesPerEU: 1
; Occupancy: 10
; WaveLimiterHint : 0
; COMPUTE_PGM_RSRC2:SCRATCH_EN: 0
; COMPUTE_PGM_RSRC2:USER_SGPR: 6
; COMPUTE_PGM_RSRC2:TRAP_HANDLER: 0
; COMPUTE_PGM_RSRC2:TGID_X_EN: 1
; COMPUTE_PGM_RSRC2:TGID_Y_EN: 0
; COMPUTE_PGM_RSRC2:TGID_Z_EN: 0
; COMPUTE_PGM_RSRC2:TIDIG_COMP_CNT: 0
	.section	.text._ZN7rocprim17ROCPRIM_400000_NS6detail17trampoline_kernelINS0_13select_configILj256ELj13ELNS0_17block_load_methodE3ELS4_3ELS4_3ELNS0_20block_scan_algorithmE0ELj4294967295EEENS1_25partition_config_selectorILNS1_17partition_subalgoE4EjNS0_10empty_typeEbEEZZNS1_14partition_implILS8_4ELb0ES6_15HIP_vector_typeIjLj2EENS0_17counting_iteratorIjlEEPS9_SG_NS0_5tupleIJPjSI_NS0_16reverse_iteratorISI_EEEEENSH_IJSG_SG_SG_EEES9_SI_JZNS1_25segmented_radix_sort_implINS0_14default_configELb0EPK12hip_bfloat16PSP_PKlPlN2at6native12_GLOBAL__N_18offset_tEEE10hipError_tPvRmT1_PNSt15iterator_traitsIS13_E10value_typeET2_T3_PNS14_IS19_E10value_typeET4_jRbjT5_S1F_jjP12ihipStream_tbEUljE_ZNSN_ISO_Lb0ESR_SS_SU_SV_SZ_EES10_S11_S12_S13_S17_S18_S19_S1C_S1D_jS1E_jS1F_S1F_jjS1H_bEUljE0_EEES10_S11_S12_S19_S1D_S1F_T6_T7_T9_mT8_S1H_bDpT10_ENKUlT_T0_E_clISt17integral_constantIbLb0EES1U_IbLb1EEEEDaS1Q_S1R_EUlS1Q_E_NS1_11comp_targetILNS1_3genE8ELNS1_11target_archE1030ELNS1_3gpuE2ELNS1_3repE0EEENS1_30default_config_static_selectorELNS0_4arch9wavefront6targetE1EEEvS13_,"axG",@progbits,_ZN7rocprim17ROCPRIM_400000_NS6detail17trampoline_kernelINS0_13select_configILj256ELj13ELNS0_17block_load_methodE3ELS4_3ELS4_3ELNS0_20block_scan_algorithmE0ELj4294967295EEENS1_25partition_config_selectorILNS1_17partition_subalgoE4EjNS0_10empty_typeEbEEZZNS1_14partition_implILS8_4ELb0ES6_15HIP_vector_typeIjLj2EENS0_17counting_iteratorIjlEEPS9_SG_NS0_5tupleIJPjSI_NS0_16reverse_iteratorISI_EEEEENSH_IJSG_SG_SG_EEES9_SI_JZNS1_25segmented_radix_sort_implINS0_14default_configELb0EPK12hip_bfloat16PSP_PKlPlN2at6native12_GLOBAL__N_18offset_tEEE10hipError_tPvRmT1_PNSt15iterator_traitsIS13_E10value_typeET2_T3_PNS14_IS19_E10value_typeET4_jRbjT5_S1F_jjP12ihipStream_tbEUljE_ZNSN_ISO_Lb0ESR_SS_SU_SV_SZ_EES10_S11_S12_S13_S17_S18_S19_S1C_S1D_jS1E_jS1F_S1F_jjS1H_bEUljE0_EEES10_S11_S12_S19_S1D_S1F_T6_T7_T9_mT8_S1H_bDpT10_ENKUlT_T0_E_clISt17integral_constantIbLb0EES1U_IbLb1EEEEDaS1Q_S1R_EUlS1Q_E_NS1_11comp_targetILNS1_3genE8ELNS1_11target_archE1030ELNS1_3gpuE2ELNS1_3repE0EEENS1_30default_config_static_selectorELNS0_4arch9wavefront6targetE1EEEvS13_,comdat
	.globl	_ZN7rocprim17ROCPRIM_400000_NS6detail17trampoline_kernelINS0_13select_configILj256ELj13ELNS0_17block_load_methodE3ELS4_3ELS4_3ELNS0_20block_scan_algorithmE0ELj4294967295EEENS1_25partition_config_selectorILNS1_17partition_subalgoE4EjNS0_10empty_typeEbEEZZNS1_14partition_implILS8_4ELb0ES6_15HIP_vector_typeIjLj2EENS0_17counting_iteratorIjlEEPS9_SG_NS0_5tupleIJPjSI_NS0_16reverse_iteratorISI_EEEEENSH_IJSG_SG_SG_EEES9_SI_JZNS1_25segmented_radix_sort_implINS0_14default_configELb0EPK12hip_bfloat16PSP_PKlPlN2at6native12_GLOBAL__N_18offset_tEEE10hipError_tPvRmT1_PNSt15iterator_traitsIS13_E10value_typeET2_T3_PNS14_IS19_E10value_typeET4_jRbjT5_S1F_jjP12ihipStream_tbEUljE_ZNSN_ISO_Lb0ESR_SS_SU_SV_SZ_EES10_S11_S12_S13_S17_S18_S19_S1C_S1D_jS1E_jS1F_S1F_jjS1H_bEUljE0_EEES10_S11_S12_S19_S1D_S1F_T6_T7_T9_mT8_S1H_bDpT10_ENKUlT_T0_E_clISt17integral_constantIbLb0EES1U_IbLb1EEEEDaS1Q_S1R_EUlS1Q_E_NS1_11comp_targetILNS1_3genE8ELNS1_11target_archE1030ELNS1_3gpuE2ELNS1_3repE0EEENS1_30default_config_static_selectorELNS0_4arch9wavefront6targetE1EEEvS13_ ; -- Begin function _ZN7rocprim17ROCPRIM_400000_NS6detail17trampoline_kernelINS0_13select_configILj256ELj13ELNS0_17block_load_methodE3ELS4_3ELS4_3ELNS0_20block_scan_algorithmE0ELj4294967295EEENS1_25partition_config_selectorILNS1_17partition_subalgoE4EjNS0_10empty_typeEbEEZZNS1_14partition_implILS8_4ELb0ES6_15HIP_vector_typeIjLj2EENS0_17counting_iteratorIjlEEPS9_SG_NS0_5tupleIJPjSI_NS0_16reverse_iteratorISI_EEEEENSH_IJSG_SG_SG_EEES9_SI_JZNS1_25segmented_radix_sort_implINS0_14default_configELb0EPK12hip_bfloat16PSP_PKlPlN2at6native12_GLOBAL__N_18offset_tEEE10hipError_tPvRmT1_PNSt15iterator_traitsIS13_E10value_typeET2_T3_PNS14_IS19_E10value_typeET4_jRbjT5_S1F_jjP12ihipStream_tbEUljE_ZNSN_ISO_Lb0ESR_SS_SU_SV_SZ_EES10_S11_S12_S13_S17_S18_S19_S1C_S1D_jS1E_jS1F_S1F_jjS1H_bEUljE0_EEES10_S11_S12_S19_S1D_S1F_T6_T7_T9_mT8_S1H_bDpT10_ENKUlT_T0_E_clISt17integral_constantIbLb0EES1U_IbLb1EEEEDaS1Q_S1R_EUlS1Q_E_NS1_11comp_targetILNS1_3genE8ELNS1_11target_archE1030ELNS1_3gpuE2ELNS1_3repE0EEENS1_30default_config_static_selectorELNS0_4arch9wavefront6targetE1EEEvS13_
	.p2align	8
	.type	_ZN7rocprim17ROCPRIM_400000_NS6detail17trampoline_kernelINS0_13select_configILj256ELj13ELNS0_17block_load_methodE3ELS4_3ELS4_3ELNS0_20block_scan_algorithmE0ELj4294967295EEENS1_25partition_config_selectorILNS1_17partition_subalgoE4EjNS0_10empty_typeEbEEZZNS1_14partition_implILS8_4ELb0ES6_15HIP_vector_typeIjLj2EENS0_17counting_iteratorIjlEEPS9_SG_NS0_5tupleIJPjSI_NS0_16reverse_iteratorISI_EEEEENSH_IJSG_SG_SG_EEES9_SI_JZNS1_25segmented_radix_sort_implINS0_14default_configELb0EPK12hip_bfloat16PSP_PKlPlN2at6native12_GLOBAL__N_18offset_tEEE10hipError_tPvRmT1_PNSt15iterator_traitsIS13_E10value_typeET2_T3_PNS14_IS19_E10value_typeET4_jRbjT5_S1F_jjP12ihipStream_tbEUljE_ZNSN_ISO_Lb0ESR_SS_SU_SV_SZ_EES10_S11_S12_S13_S17_S18_S19_S1C_S1D_jS1E_jS1F_S1F_jjS1H_bEUljE0_EEES10_S11_S12_S19_S1D_S1F_T6_T7_T9_mT8_S1H_bDpT10_ENKUlT_T0_E_clISt17integral_constantIbLb0EES1U_IbLb1EEEEDaS1Q_S1R_EUlS1Q_E_NS1_11comp_targetILNS1_3genE8ELNS1_11target_archE1030ELNS1_3gpuE2ELNS1_3repE0EEENS1_30default_config_static_selectorELNS0_4arch9wavefront6targetE1EEEvS13_,@function
_ZN7rocprim17ROCPRIM_400000_NS6detail17trampoline_kernelINS0_13select_configILj256ELj13ELNS0_17block_load_methodE3ELS4_3ELS4_3ELNS0_20block_scan_algorithmE0ELj4294967295EEENS1_25partition_config_selectorILNS1_17partition_subalgoE4EjNS0_10empty_typeEbEEZZNS1_14partition_implILS8_4ELb0ES6_15HIP_vector_typeIjLj2EENS0_17counting_iteratorIjlEEPS9_SG_NS0_5tupleIJPjSI_NS0_16reverse_iteratorISI_EEEEENSH_IJSG_SG_SG_EEES9_SI_JZNS1_25segmented_radix_sort_implINS0_14default_configELb0EPK12hip_bfloat16PSP_PKlPlN2at6native12_GLOBAL__N_18offset_tEEE10hipError_tPvRmT1_PNSt15iterator_traitsIS13_E10value_typeET2_T3_PNS14_IS19_E10value_typeET4_jRbjT5_S1F_jjP12ihipStream_tbEUljE_ZNSN_ISO_Lb0ESR_SS_SU_SV_SZ_EES10_S11_S12_S13_S17_S18_S19_S1C_S1D_jS1E_jS1F_S1F_jjS1H_bEUljE0_EEES10_S11_S12_S19_S1D_S1F_T6_T7_T9_mT8_S1H_bDpT10_ENKUlT_T0_E_clISt17integral_constantIbLb0EES1U_IbLb1EEEEDaS1Q_S1R_EUlS1Q_E_NS1_11comp_targetILNS1_3genE8ELNS1_11target_archE1030ELNS1_3gpuE2ELNS1_3repE0EEENS1_30default_config_static_selectorELNS0_4arch9wavefront6targetE1EEEvS13_: ; @_ZN7rocprim17ROCPRIM_400000_NS6detail17trampoline_kernelINS0_13select_configILj256ELj13ELNS0_17block_load_methodE3ELS4_3ELS4_3ELNS0_20block_scan_algorithmE0ELj4294967295EEENS1_25partition_config_selectorILNS1_17partition_subalgoE4EjNS0_10empty_typeEbEEZZNS1_14partition_implILS8_4ELb0ES6_15HIP_vector_typeIjLj2EENS0_17counting_iteratorIjlEEPS9_SG_NS0_5tupleIJPjSI_NS0_16reverse_iteratorISI_EEEEENSH_IJSG_SG_SG_EEES9_SI_JZNS1_25segmented_radix_sort_implINS0_14default_configELb0EPK12hip_bfloat16PSP_PKlPlN2at6native12_GLOBAL__N_18offset_tEEE10hipError_tPvRmT1_PNSt15iterator_traitsIS13_E10value_typeET2_T3_PNS14_IS19_E10value_typeET4_jRbjT5_S1F_jjP12ihipStream_tbEUljE_ZNSN_ISO_Lb0ESR_SS_SU_SV_SZ_EES10_S11_S12_S13_S17_S18_S19_S1C_S1D_jS1E_jS1F_S1F_jjS1H_bEUljE0_EEES10_S11_S12_S19_S1D_S1F_T6_T7_T9_mT8_S1H_bDpT10_ENKUlT_T0_E_clISt17integral_constantIbLb0EES1U_IbLb1EEEEDaS1Q_S1R_EUlS1Q_E_NS1_11comp_targetILNS1_3genE8ELNS1_11target_archE1030ELNS1_3gpuE2ELNS1_3repE0EEENS1_30default_config_static_selectorELNS0_4arch9wavefront6targetE1EEEvS13_
; %bb.0:
	.section	.rodata,"a",@progbits
	.p2align	6, 0x0
	.amdhsa_kernel _ZN7rocprim17ROCPRIM_400000_NS6detail17trampoline_kernelINS0_13select_configILj256ELj13ELNS0_17block_load_methodE3ELS4_3ELS4_3ELNS0_20block_scan_algorithmE0ELj4294967295EEENS1_25partition_config_selectorILNS1_17partition_subalgoE4EjNS0_10empty_typeEbEEZZNS1_14partition_implILS8_4ELb0ES6_15HIP_vector_typeIjLj2EENS0_17counting_iteratorIjlEEPS9_SG_NS0_5tupleIJPjSI_NS0_16reverse_iteratorISI_EEEEENSH_IJSG_SG_SG_EEES9_SI_JZNS1_25segmented_radix_sort_implINS0_14default_configELb0EPK12hip_bfloat16PSP_PKlPlN2at6native12_GLOBAL__N_18offset_tEEE10hipError_tPvRmT1_PNSt15iterator_traitsIS13_E10value_typeET2_T3_PNS14_IS19_E10value_typeET4_jRbjT5_S1F_jjP12ihipStream_tbEUljE_ZNSN_ISO_Lb0ESR_SS_SU_SV_SZ_EES10_S11_S12_S13_S17_S18_S19_S1C_S1D_jS1E_jS1F_S1F_jjS1H_bEUljE0_EEES10_S11_S12_S19_S1D_S1F_T6_T7_T9_mT8_S1H_bDpT10_ENKUlT_T0_E_clISt17integral_constantIbLb0EES1U_IbLb1EEEEDaS1Q_S1R_EUlS1Q_E_NS1_11comp_targetILNS1_3genE8ELNS1_11target_archE1030ELNS1_3gpuE2ELNS1_3repE0EEENS1_30default_config_static_selectorELNS0_4arch9wavefront6targetE1EEEvS13_
		.amdhsa_group_segment_fixed_size 0
		.amdhsa_private_segment_fixed_size 0
		.amdhsa_kernarg_size 184
		.amdhsa_user_sgpr_count 6
		.amdhsa_user_sgpr_private_segment_buffer 1
		.amdhsa_user_sgpr_dispatch_ptr 0
		.amdhsa_user_sgpr_queue_ptr 0
		.amdhsa_user_sgpr_kernarg_segment_ptr 1
		.amdhsa_user_sgpr_dispatch_id 0
		.amdhsa_user_sgpr_flat_scratch_init 0
		.amdhsa_user_sgpr_private_segment_size 0
		.amdhsa_uses_dynamic_stack 0
		.amdhsa_system_sgpr_private_segment_wavefront_offset 0
		.amdhsa_system_sgpr_workgroup_id_x 1
		.amdhsa_system_sgpr_workgroup_id_y 0
		.amdhsa_system_sgpr_workgroup_id_z 0
		.amdhsa_system_sgpr_workgroup_info 0
		.amdhsa_system_vgpr_workitem_id 0
		.amdhsa_next_free_vgpr 1
		.amdhsa_next_free_sgpr 0
		.amdhsa_reserve_vcc 0
		.amdhsa_reserve_flat_scratch 0
		.amdhsa_float_round_mode_32 0
		.amdhsa_float_round_mode_16_64 0
		.amdhsa_float_denorm_mode_32 3
		.amdhsa_float_denorm_mode_16_64 3
		.amdhsa_dx10_clamp 1
		.amdhsa_ieee_mode 1
		.amdhsa_fp16_overflow 0
		.amdhsa_exception_fp_ieee_invalid_op 0
		.amdhsa_exception_fp_denorm_src 0
		.amdhsa_exception_fp_ieee_div_zero 0
		.amdhsa_exception_fp_ieee_overflow 0
		.amdhsa_exception_fp_ieee_underflow 0
		.amdhsa_exception_fp_ieee_inexact 0
		.amdhsa_exception_int_div_zero 0
	.end_amdhsa_kernel
	.section	.text._ZN7rocprim17ROCPRIM_400000_NS6detail17trampoline_kernelINS0_13select_configILj256ELj13ELNS0_17block_load_methodE3ELS4_3ELS4_3ELNS0_20block_scan_algorithmE0ELj4294967295EEENS1_25partition_config_selectorILNS1_17partition_subalgoE4EjNS0_10empty_typeEbEEZZNS1_14partition_implILS8_4ELb0ES6_15HIP_vector_typeIjLj2EENS0_17counting_iteratorIjlEEPS9_SG_NS0_5tupleIJPjSI_NS0_16reverse_iteratorISI_EEEEENSH_IJSG_SG_SG_EEES9_SI_JZNS1_25segmented_radix_sort_implINS0_14default_configELb0EPK12hip_bfloat16PSP_PKlPlN2at6native12_GLOBAL__N_18offset_tEEE10hipError_tPvRmT1_PNSt15iterator_traitsIS13_E10value_typeET2_T3_PNS14_IS19_E10value_typeET4_jRbjT5_S1F_jjP12ihipStream_tbEUljE_ZNSN_ISO_Lb0ESR_SS_SU_SV_SZ_EES10_S11_S12_S13_S17_S18_S19_S1C_S1D_jS1E_jS1F_S1F_jjS1H_bEUljE0_EEES10_S11_S12_S19_S1D_S1F_T6_T7_T9_mT8_S1H_bDpT10_ENKUlT_T0_E_clISt17integral_constantIbLb0EES1U_IbLb1EEEEDaS1Q_S1R_EUlS1Q_E_NS1_11comp_targetILNS1_3genE8ELNS1_11target_archE1030ELNS1_3gpuE2ELNS1_3repE0EEENS1_30default_config_static_selectorELNS0_4arch9wavefront6targetE1EEEvS13_,"axG",@progbits,_ZN7rocprim17ROCPRIM_400000_NS6detail17trampoline_kernelINS0_13select_configILj256ELj13ELNS0_17block_load_methodE3ELS4_3ELS4_3ELNS0_20block_scan_algorithmE0ELj4294967295EEENS1_25partition_config_selectorILNS1_17partition_subalgoE4EjNS0_10empty_typeEbEEZZNS1_14partition_implILS8_4ELb0ES6_15HIP_vector_typeIjLj2EENS0_17counting_iteratorIjlEEPS9_SG_NS0_5tupleIJPjSI_NS0_16reverse_iteratorISI_EEEEENSH_IJSG_SG_SG_EEES9_SI_JZNS1_25segmented_radix_sort_implINS0_14default_configELb0EPK12hip_bfloat16PSP_PKlPlN2at6native12_GLOBAL__N_18offset_tEEE10hipError_tPvRmT1_PNSt15iterator_traitsIS13_E10value_typeET2_T3_PNS14_IS19_E10value_typeET4_jRbjT5_S1F_jjP12ihipStream_tbEUljE_ZNSN_ISO_Lb0ESR_SS_SU_SV_SZ_EES10_S11_S12_S13_S17_S18_S19_S1C_S1D_jS1E_jS1F_S1F_jjS1H_bEUljE0_EEES10_S11_S12_S19_S1D_S1F_T6_T7_T9_mT8_S1H_bDpT10_ENKUlT_T0_E_clISt17integral_constantIbLb0EES1U_IbLb1EEEEDaS1Q_S1R_EUlS1Q_E_NS1_11comp_targetILNS1_3genE8ELNS1_11target_archE1030ELNS1_3gpuE2ELNS1_3repE0EEENS1_30default_config_static_selectorELNS0_4arch9wavefront6targetE1EEEvS13_,comdat
.Lfunc_end2016:
	.size	_ZN7rocprim17ROCPRIM_400000_NS6detail17trampoline_kernelINS0_13select_configILj256ELj13ELNS0_17block_load_methodE3ELS4_3ELS4_3ELNS0_20block_scan_algorithmE0ELj4294967295EEENS1_25partition_config_selectorILNS1_17partition_subalgoE4EjNS0_10empty_typeEbEEZZNS1_14partition_implILS8_4ELb0ES6_15HIP_vector_typeIjLj2EENS0_17counting_iteratorIjlEEPS9_SG_NS0_5tupleIJPjSI_NS0_16reverse_iteratorISI_EEEEENSH_IJSG_SG_SG_EEES9_SI_JZNS1_25segmented_radix_sort_implINS0_14default_configELb0EPK12hip_bfloat16PSP_PKlPlN2at6native12_GLOBAL__N_18offset_tEEE10hipError_tPvRmT1_PNSt15iterator_traitsIS13_E10value_typeET2_T3_PNS14_IS19_E10value_typeET4_jRbjT5_S1F_jjP12ihipStream_tbEUljE_ZNSN_ISO_Lb0ESR_SS_SU_SV_SZ_EES10_S11_S12_S13_S17_S18_S19_S1C_S1D_jS1E_jS1F_S1F_jjS1H_bEUljE0_EEES10_S11_S12_S19_S1D_S1F_T6_T7_T9_mT8_S1H_bDpT10_ENKUlT_T0_E_clISt17integral_constantIbLb0EES1U_IbLb1EEEEDaS1Q_S1R_EUlS1Q_E_NS1_11comp_targetILNS1_3genE8ELNS1_11target_archE1030ELNS1_3gpuE2ELNS1_3repE0EEENS1_30default_config_static_selectorELNS0_4arch9wavefront6targetE1EEEvS13_, .Lfunc_end2016-_ZN7rocprim17ROCPRIM_400000_NS6detail17trampoline_kernelINS0_13select_configILj256ELj13ELNS0_17block_load_methodE3ELS4_3ELS4_3ELNS0_20block_scan_algorithmE0ELj4294967295EEENS1_25partition_config_selectorILNS1_17partition_subalgoE4EjNS0_10empty_typeEbEEZZNS1_14partition_implILS8_4ELb0ES6_15HIP_vector_typeIjLj2EENS0_17counting_iteratorIjlEEPS9_SG_NS0_5tupleIJPjSI_NS0_16reverse_iteratorISI_EEEEENSH_IJSG_SG_SG_EEES9_SI_JZNS1_25segmented_radix_sort_implINS0_14default_configELb0EPK12hip_bfloat16PSP_PKlPlN2at6native12_GLOBAL__N_18offset_tEEE10hipError_tPvRmT1_PNSt15iterator_traitsIS13_E10value_typeET2_T3_PNS14_IS19_E10value_typeET4_jRbjT5_S1F_jjP12ihipStream_tbEUljE_ZNSN_ISO_Lb0ESR_SS_SU_SV_SZ_EES10_S11_S12_S13_S17_S18_S19_S1C_S1D_jS1E_jS1F_S1F_jjS1H_bEUljE0_EEES10_S11_S12_S19_S1D_S1F_T6_T7_T9_mT8_S1H_bDpT10_ENKUlT_T0_E_clISt17integral_constantIbLb0EES1U_IbLb1EEEEDaS1Q_S1R_EUlS1Q_E_NS1_11comp_targetILNS1_3genE8ELNS1_11target_archE1030ELNS1_3gpuE2ELNS1_3repE0EEENS1_30default_config_static_selectorELNS0_4arch9wavefront6targetE1EEEvS13_
                                        ; -- End function
	.set _ZN7rocprim17ROCPRIM_400000_NS6detail17trampoline_kernelINS0_13select_configILj256ELj13ELNS0_17block_load_methodE3ELS4_3ELS4_3ELNS0_20block_scan_algorithmE0ELj4294967295EEENS1_25partition_config_selectorILNS1_17partition_subalgoE4EjNS0_10empty_typeEbEEZZNS1_14partition_implILS8_4ELb0ES6_15HIP_vector_typeIjLj2EENS0_17counting_iteratorIjlEEPS9_SG_NS0_5tupleIJPjSI_NS0_16reverse_iteratorISI_EEEEENSH_IJSG_SG_SG_EEES9_SI_JZNS1_25segmented_radix_sort_implINS0_14default_configELb0EPK12hip_bfloat16PSP_PKlPlN2at6native12_GLOBAL__N_18offset_tEEE10hipError_tPvRmT1_PNSt15iterator_traitsIS13_E10value_typeET2_T3_PNS14_IS19_E10value_typeET4_jRbjT5_S1F_jjP12ihipStream_tbEUljE_ZNSN_ISO_Lb0ESR_SS_SU_SV_SZ_EES10_S11_S12_S13_S17_S18_S19_S1C_S1D_jS1E_jS1F_S1F_jjS1H_bEUljE0_EEES10_S11_S12_S19_S1D_S1F_T6_T7_T9_mT8_S1H_bDpT10_ENKUlT_T0_E_clISt17integral_constantIbLb0EES1U_IbLb1EEEEDaS1Q_S1R_EUlS1Q_E_NS1_11comp_targetILNS1_3genE8ELNS1_11target_archE1030ELNS1_3gpuE2ELNS1_3repE0EEENS1_30default_config_static_selectorELNS0_4arch9wavefront6targetE1EEEvS13_.num_vgpr, 0
	.set _ZN7rocprim17ROCPRIM_400000_NS6detail17trampoline_kernelINS0_13select_configILj256ELj13ELNS0_17block_load_methodE3ELS4_3ELS4_3ELNS0_20block_scan_algorithmE0ELj4294967295EEENS1_25partition_config_selectorILNS1_17partition_subalgoE4EjNS0_10empty_typeEbEEZZNS1_14partition_implILS8_4ELb0ES6_15HIP_vector_typeIjLj2EENS0_17counting_iteratorIjlEEPS9_SG_NS0_5tupleIJPjSI_NS0_16reverse_iteratorISI_EEEEENSH_IJSG_SG_SG_EEES9_SI_JZNS1_25segmented_radix_sort_implINS0_14default_configELb0EPK12hip_bfloat16PSP_PKlPlN2at6native12_GLOBAL__N_18offset_tEEE10hipError_tPvRmT1_PNSt15iterator_traitsIS13_E10value_typeET2_T3_PNS14_IS19_E10value_typeET4_jRbjT5_S1F_jjP12ihipStream_tbEUljE_ZNSN_ISO_Lb0ESR_SS_SU_SV_SZ_EES10_S11_S12_S13_S17_S18_S19_S1C_S1D_jS1E_jS1F_S1F_jjS1H_bEUljE0_EEES10_S11_S12_S19_S1D_S1F_T6_T7_T9_mT8_S1H_bDpT10_ENKUlT_T0_E_clISt17integral_constantIbLb0EES1U_IbLb1EEEEDaS1Q_S1R_EUlS1Q_E_NS1_11comp_targetILNS1_3genE8ELNS1_11target_archE1030ELNS1_3gpuE2ELNS1_3repE0EEENS1_30default_config_static_selectorELNS0_4arch9wavefront6targetE1EEEvS13_.num_agpr, 0
	.set _ZN7rocprim17ROCPRIM_400000_NS6detail17trampoline_kernelINS0_13select_configILj256ELj13ELNS0_17block_load_methodE3ELS4_3ELS4_3ELNS0_20block_scan_algorithmE0ELj4294967295EEENS1_25partition_config_selectorILNS1_17partition_subalgoE4EjNS0_10empty_typeEbEEZZNS1_14partition_implILS8_4ELb0ES6_15HIP_vector_typeIjLj2EENS0_17counting_iteratorIjlEEPS9_SG_NS0_5tupleIJPjSI_NS0_16reverse_iteratorISI_EEEEENSH_IJSG_SG_SG_EEES9_SI_JZNS1_25segmented_radix_sort_implINS0_14default_configELb0EPK12hip_bfloat16PSP_PKlPlN2at6native12_GLOBAL__N_18offset_tEEE10hipError_tPvRmT1_PNSt15iterator_traitsIS13_E10value_typeET2_T3_PNS14_IS19_E10value_typeET4_jRbjT5_S1F_jjP12ihipStream_tbEUljE_ZNSN_ISO_Lb0ESR_SS_SU_SV_SZ_EES10_S11_S12_S13_S17_S18_S19_S1C_S1D_jS1E_jS1F_S1F_jjS1H_bEUljE0_EEES10_S11_S12_S19_S1D_S1F_T6_T7_T9_mT8_S1H_bDpT10_ENKUlT_T0_E_clISt17integral_constantIbLb0EES1U_IbLb1EEEEDaS1Q_S1R_EUlS1Q_E_NS1_11comp_targetILNS1_3genE8ELNS1_11target_archE1030ELNS1_3gpuE2ELNS1_3repE0EEENS1_30default_config_static_selectorELNS0_4arch9wavefront6targetE1EEEvS13_.numbered_sgpr, 0
	.set _ZN7rocprim17ROCPRIM_400000_NS6detail17trampoline_kernelINS0_13select_configILj256ELj13ELNS0_17block_load_methodE3ELS4_3ELS4_3ELNS0_20block_scan_algorithmE0ELj4294967295EEENS1_25partition_config_selectorILNS1_17partition_subalgoE4EjNS0_10empty_typeEbEEZZNS1_14partition_implILS8_4ELb0ES6_15HIP_vector_typeIjLj2EENS0_17counting_iteratorIjlEEPS9_SG_NS0_5tupleIJPjSI_NS0_16reverse_iteratorISI_EEEEENSH_IJSG_SG_SG_EEES9_SI_JZNS1_25segmented_radix_sort_implINS0_14default_configELb0EPK12hip_bfloat16PSP_PKlPlN2at6native12_GLOBAL__N_18offset_tEEE10hipError_tPvRmT1_PNSt15iterator_traitsIS13_E10value_typeET2_T3_PNS14_IS19_E10value_typeET4_jRbjT5_S1F_jjP12ihipStream_tbEUljE_ZNSN_ISO_Lb0ESR_SS_SU_SV_SZ_EES10_S11_S12_S13_S17_S18_S19_S1C_S1D_jS1E_jS1F_S1F_jjS1H_bEUljE0_EEES10_S11_S12_S19_S1D_S1F_T6_T7_T9_mT8_S1H_bDpT10_ENKUlT_T0_E_clISt17integral_constantIbLb0EES1U_IbLb1EEEEDaS1Q_S1R_EUlS1Q_E_NS1_11comp_targetILNS1_3genE8ELNS1_11target_archE1030ELNS1_3gpuE2ELNS1_3repE0EEENS1_30default_config_static_selectorELNS0_4arch9wavefront6targetE1EEEvS13_.num_named_barrier, 0
	.set _ZN7rocprim17ROCPRIM_400000_NS6detail17trampoline_kernelINS0_13select_configILj256ELj13ELNS0_17block_load_methodE3ELS4_3ELS4_3ELNS0_20block_scan_algorithmE0ELj4294967295EEENS1_25partition_config_selectorILNS1_17partition_subalgoE4EjNS0_10empty_typeEbEEZZNS1_14partition_implILS8_4ELb0ES6_15HIP_vector_typeIjLj2EENS0_17counting_iteratorIjlEEPS9_SG_NS0_5tupleIJPjSI_NS0_16reverse_iteratorISI_EEEEENSH_IJSG_SG_SG_EEES9_SI_JZNS1_25segmented_radix_sort_implINS0_14default_configELb0EPK12hip_bfloat16PSP_PKlPlN2at6native12_GLOBAL__N_18offset_tEEE10hipError_tPvRmT1_PNSt15iterator_traitsIS13_E10value_typeET2_T3_PNS14_IS19_E10value_typeET4_jRbjT5_S1F_jjP12ihipStream_tbEUljE_ZNSN_ISO_Lb0ESR_SS_SU_SV_SZ_EES10_S11_S12_S13_S17_S18_S19_S1C_S1D_jS1E_jS1F_S1F_jjS1H_bEUljE0_EEES10_S11_S12_S19_S1D_S1F_T6_T7_T9_mT8_S1H_bDpT10_ENKUlT_T0_E_clISt17integral_constantIbLb0EES1U_IbLb1EEEEDaS1Q_S1R_EUlS1Q_E_NS1_11comp_targetILNS1_3genE8ELNS1_11target_archE1030ELNS1_3gpuE2ELNS1_3repE0EEENS1_30default_config_static_selectorELNS0_4arch9wavefront6targetE1EEEvS13_.private_seg_size, 0
	.set _ZN7rocprim17ROCPRIM_400000_NS6detail17trampoline_kernelINS0_13select_configILj256ELj13ELNS0_17block_load_methodE3ELS4_3ELS4_3ELNS0_20block_scan_algorithmE0ELj4294967295EEENS1_25partition_config_selectorILNS1_17partition_subalgoE4EjNS0_10empty_typeEbEEZZNS1_14partition_implILS8_4ELb0ES6_15HIP_vector_typeIjLj2EENS0_17counting_iteratorIjlEEPS9_SG_NS0_5tupleIJPjSI_NS0_16reverse_iteratorISI_EEEEENSH_IJSG_SG_SG_EEES9_SI_JZNS1_25segmented_radix_sort_implINS0_14default_configELb0EPK12hip_bfloat16PSP_PKlPlN2at6native12_GLOBAL__N_18offset_tEEE10hipError_tPvRmT1_PNSt15iterator_traitsIS13_E10value_typeET2_T3_PNS14_IS19_E10value_typeET4_jRbjT5_S1F_jjP12ihipStream_tbEUljE_ZNSN_ISO_Lb0ESR_SS_SU_SV_SZ_EES10_S11_S12_S13_S17_S18_S19_S1C_S1D_jS1E_jS1F_S1F_jjS1H_bEUljE0_EEES10_S11_S12_S19_S1D_S1F_T6_T7_T9_mT8_S1H_bDpT10_ENKUlT_T0_E_clISt17integral_constantIbLb0EES1U_IbLb1EEEEDaS1Q_S1R_EUlS1Q_E_NS1_11comp_targetILNS1_3genE8ELNS1_11target_archE1030ELNS1_3gpuE2ELNS1_3repE0EEENS1_30default_config_static_selectorELNS0_4arch9wavefront6targetE1EEEvS13_.uses_vcc, 0
	.set _ZN7rocprim17ROCPRIM_400000_NS6detail17trampoline_kernelINS0_13select_configILj256ELj13ELNS0_17block_load_methodE3ELS4_3ELS4_3ELNS0_20block_scan_algorithmE0ELj4294967295EEENS1_25partition_config_selectorILNS1_17partition_subalgoE4EjNS0_10empty_typeEbEEZZNS1_14partition_implILS8_4ELb0ES6_15HIP_vector_typeIjLj2EENS0_17counting_iteratorIjlEEPS9_SG_NS0_5tupleIJPjSI_NS0_16reverse_iteratorISI_EEEEENSH_IJSG_SG_SG_EEES9_SI_JZNS1_25segmented_radix_sort_implINS0_14default_configELb0EPK12hip_bfloat16PSP_PKlPlN2at6native12_GLOBAL__N_18offset_tEEE10hipError_tPvRmT1_PNSt15iterator_traitsIS13_E10value_typeET2_T3_PNS14_IS19_E10value_typeET4_jRbjT5_S1F_jjP12ihipStream_tbEUljE_ZNSN_ISO_Lb0ESR_SS_SU_SV_SZ_EES10_S11_S12_S13_S17_S18_S19_S1C_S1D_jS1E_jS1F_S1F_jjS1H_bEUljE0_EEES10_S11_S12_S19_S1D_S1F_T6_T7_T9_mT8_S1H_bDpT10_ENKUlT_T0_E_clISt17integral_constantIbLb0EES1U_IbLb1EEEEDaS1Q_S1R_EUlS1Q_E_NS1_11comp_targetILNS1_3genE8ELNS1_11target_archE1030ELNS1_3gpuE2ELNS1_3repE0EEENS1_30default_config_static_selectorELNS0_4arch9wavefront6targetE1EEEvS13_.uses_flat_scratch, 0
	.set _ZN7rocprim17ROCPRIM_400000_NS6detail17trampoline_kernelINS0_13select_configILj256ELj13ELNS0_17block_load_methodE3ELS4_3ELS4_3ELNS0_20block_scan_algorithmE0ELj4294967295EEENS1_25partition_config_selectorILNS1_17partition_subalgoE4EjNS0_10empty_typeEbEEZZNS1_14partition_implILS8_4ELb0ES6_15HIP_vector_typeIjLj2EENS0_17counting_iteratorIjlEEPS9_SG_NS0_5tupleIJPjSI_NS0_16reverse_iteratorISI_EEEEENSH_IJSG_SG_SG_EEES9_SI_JZNS1_25segmented_radix_sort_implINS0_14default_configELb0EPK12hip_bfloat16PSP_PKlPlN2at6native12_GLOBAL__N_18offset_tEEE10hipError_tPvRmT1_PNSt15iterator_traitsIS13_E10value_typeET2_T3_PNS14_IS19_E10value_typeET4_jRbjT5_S1F_jjP12ihipStream_tbEUljE_ZNSN_ISO_Lb0ESR_SS_SU_SV_SZ_EES10_S11_S12_S13_S17_S18_S19_S1C_S1D_jS1E_jS1F_S1F_jjS1H_bEUljE0_EEES10_S11_S12_S19_S1D_S1F_T6_T7_T9_mT8_S1H_bDpT10_ENKUlT_T0_E_clISt17integral_constantIbLb0EES1U_IbLb1EEEEDaS1Q_S1R_EUlS1Q_E_NS1_11comp_targetILNS1_3genE8ELNS1_11target_archE1030ELNS1_3gpuE2ELNS1_3repE0EEENS1_30default_config_static_selectorELNS0_4arch9wavefront6targetE1EEEvS13_.has_dyn_sized_stack, 0
	.set _ZN7rocprim17ROCPRIM_400000_NS6detail17trampoline_kernelINS0_13select_configILj256ELj13ELNS0_17block_load_methodE3ELS4_3ELS4_3ELNS0_20block_scan_algorithmE0ELj4294967295EEENS1_25partition_config_selectorILNS1_17partition_subalgoE4EjNS0_10empty_typeEbEEZZNS1_14partition_implILS8_4ELb0ES6_15HIP_vector_typeIjLj2EENS0_17counting_iteratorIjlEEPS9_SG_NS0_5tupleIJPjSI_NS0_16reverse_iteratorISI_EEEEENSH_IJSG_SG_SG_EEES9_SI_JZNS1_25segmented_radix_sort_implINS0_14default_configELb0EPK12hip_bfloat16PSP_PKlPlN2at6native12_GLOBAL__N_18offset_tEEE10hipError_tPvRmT1_PNSt15iterator_traitsIS13_E10value_typeET2_T3_PNS14_IS19_E10value_typeET4_jRbjT5_S1F_jjP12ihipStream_tbEUljE_ZNSN_ISO_Lb0ESR_SS_SU_SV_SZ_EES10_S11_S12_S13_S17_S18_S19_S1C_S1D_jS1E_jS1F_S1F_jjS1H_bEUljE0_EEES10_S11_S12_S19_S1D_S1F_T6_T7_T9_mT8_S1H_bDpT10_ENKUlT_T0_E_clISt17integral_constantIbLb0EES1U_IbLb1EEEEDaS1Q_S1R_EUlS1Q_E_NS1_11comp_targetILNS1_3genE8ELNS1_11target_archE1030ELNS1_3gpuE2ELNS1_3repE0EEENS1_30default_config_static_selectorELNS0_4arch9wavefront6targetE1EEEvS13_.has_recursion, 0
	.set _ZN7rocprim17ROCPRIM_400000_NS6detail17trampoline_kernelINS0_13select_configILj256ELj13ELNS0_17block_load_methodE3ELS4_3ELS4_3ELNS0_20block_scan_algorithmE0ELj4294967295EEENS1_25partition_config_selectorILNS1_17partition_subalgoE4EjNS0_10empty_typeEbEEZZNS1_14partition_implILS8_4ELb0ES6_15HIP_vector_typeIjLj2EENS0_17counting_iteratorIjlEEPS9_SG_NS0_5tupleIJPjSI_NS0_16reverse_iteratorISI_EEEEENSH_IJSG_SG_SG_EEES9_SI_JZNS1_25segmented_radix_sort_implINS0_14default_configELb0EPK12hip_bfloat16PSP_PKlPlN2at6native12_GLOBAL__N_18offset_tEEE10hipError_tPvRmT1_PNSt15iterator_traitsIS13_E10value_typeET2_T3_PNS14_IS19_E10value_typeET4_jRbjT5_S1F_jjP12ihipStream_tbEUljE_ZNSN_ISO_Lb0ESR_SS_SU_SV_SZ_EES10_S11_S12_S13_S17_S18_S19_S1C_S1D_jS1E_jS1F_S1F_jjS1H_bEUljE0_EEES10_S11_S12_S19_S1D_S1F_T6_T7_T9_mT8_S1H_bDpT10_ENKUlT_T0_E_clISt17integral_constantIbLb0EES1U_IbLb1EEEEDaS1Q_S1R_EUlS1Q_E_NS1_11comp_targetILNS1_3genE8ELNS1_11target_archE1030ELNS1_3gpuE2ELNS1_3repE0EEENS1_30default_config_static_selectorELNS0_4arch9wavefront6targetE1EEEvS13_.has_indirect_call, 0
	.section	.AMDGPU.csdata,"",@progbits
; Kernel info:
; codeLenInByte = 0
; TotalNumSgprs: 4
; NumVgprs: 0
; ScratchSize: 0
; MemoryBound: 0
; FloatMode: 240
; IeeeMode: 1
; LDSByteSize: 0 bytes/workgroup (compile time only)
; SGPRBlocks: 0
; VGPRBlocks: 0
; NumSGPRsForWavesPerEU: 4
; NumVGPRsForWavesPerEU: 1
; Occupancy: 10
; WaveLimiterHint : 0
; COMPUTE_PGM_RSRC2:SCRATCH_EN: 0
; COMPUTE_PGM_RSRC2:USER_SGPR: 6
; COMPUTE_PGM_RSRC2:TRAP_HANDLER: 0
; COMPUTE_PGM_RSRC2:TGID_X_EN: 1
; COMPUTE_PGM_RSRC2:TGID_Y_EN: 0
; COMPUTE_PGM_RSRC2:TGID_Z_EN: 0
; COMPUTE_PGM_RSRC2:TIDIG_COMP_CNT: 0
	.section	.text._ZN7rocprim17ROCPRIM_400000_NS6detail17trampoline_kernelINS0_13select_configILj256ELj13ELNS0_17block_load_methodE3ELS4_3ELS4_3ELNS0_20block_scan_algorithmE0ELj4294967295EEENS1_25partition_config_selectorILNS1_17partition_subalgoE3EjNS0_10empty_typeEbEEZZNS1_14partition_implILS8_3ELb0ES6_jNS0_17counting_iteratorIjlEEPS9_SE_NS0_5tupleIJPjSE_EEENSF_IJSE_SE_EEES9_SG_JZNS1_25segmented_radix_sort_implINS0_14default_configELb0EPK12hip_bfloat16PSL_PKlPlN2at6native12_GLOBAL__N_18offset_tEEE10hipError_tPvRmT1_PNSt15iterator_traitsISZ_E10value_typeET2_T3_PNS10_IS15_E10value_typeET4_jRbjT5_S1B_jjP12ihipStream_tbEUljE_EEESW_SX_SY_S15_S19_S1B_T6_T7_T9_mT8_S1D_bDpT10_ENKUlT_T0_E_clISt17integral_constantIbLb0EES1Q_EEDaS1L_S1M_EUlS1L_E_NS1_11comp_targetILNS1_3genE0ELNS1_11target_archE4294967295ELNS1_3gpuE0ELNS1_3repE0EEENS1_30default_config_static_selectorELNS0_4arch9wavefront6targetE1EEEvSZ_,"axG",@progbits,_ZN7rocprim17ROCPRIM_400000_NS6detail17trampoline_kernelINS0_13select_configILj256ELj13ELNS0_17block_load_methodE3ELS4_3ELS4_3ELNS0_20block_scan_algorithmE0ELj4294967295EEENS1_25partition_config_selectorILNS1_17partition_subalgoE3EjNS0_10empty_typeEbEEZZNS1_14partition_implILS8_3ELb0ES6_jNS0_17counting_iteratorIjlEEPS9_SE_NS0_5tupleIJPjSE_EEENSF_IJSE_SE_EEES9_SG_JZNS1_25segmented_radix_sort_implINS0_14default_configELb0EPK12hip_bfloat16PSL_PKlPlN2at6native12_GLOBAL__N_18offset_tEEE10hipError_tPvRmT1_PNSt15iterator_traitsISZ_E10value_typeET2_T3_PNS10_IS15_E10value_typeET4_jRbjT5_S1B_jjP12ihipStream_tbEUljE_EEESW_SX_SY_S15_S19_S1B_T6_T7_T9_mT8_S1D_bDpT10_ENKUlT_T0_E_clISt17integral_constantIbLb0EES1Q_EEDaS1L_S1M_EUlS1L_E_NS1_11comp_targetILNS1_3genE0ELNS1_11target_archE4294967295ELNS1_3gpuE0ELNS1_3repE0EEENS1_30default_config_static_selectorELNS0_4arch9wavefront6targetE1EEEvSZ_,comdat
	.globl	_ZN7rocprim17ROCPRIM_400000_NS6detail17trampoline_kernelINS0_13select_configILj256ELj13ELNS0_17block_load_methodE3ELS4_3ELS4_3ELNS0_20block_scan_algorithmE0ELj4294967295EEENS1_25partition_config_selectorILNS1_17partition_subalgoE3EjNS0_10empty_typeEbEEZZNS1_14partition_implILS8_3ELb0ES6_jNS0_17counting_iteratorIjlEEPS9_SE_NS0_5tupleIJPjSE_EEENSF_IJSE_SE_EEES9_SG_JZNS1_25segmented_radix_sort_implINS0_14default_configELb0EPK12hip_bfloat16PSL_PKlPlN2at6native12_GLOBAL__N_18offset_tEEE10hipError_tPvRmT1_PNSt15iterator_traitsISZ_E10value_typeET2_T3_PNS10_IS15_E10value_typeET4_jRbjT5_S1B_jjP12ihipStream_tbEUljE_EEESW_SX_SY_S15_S19_S1B_T6_T7_T9_mT8_S1D_bDpT10_ENKUlT_T0_E_clISt17integral_constantIbLb0EES1Q_EEDaS1L_S1M_EUlS1L_E_NS1_11comp_targetILNS1_3genE0ELNS1_11target_archE4294967295ELNS1_3gpuE0ELNS1_3repE0EEENS1_30default_config_static_selectorELNS0_4arch9wavefront6targetE1EEEvSZ_ ; -- Begin function _ZN7rocprim17ROCPRIM_400000_NS6detail17trampoline_kernelINS0_13select_configILj256ELj13ELNS0_17block_load_methodE3ELS4_3ELS4_3ELNS0_20block_scan_algorithmE0ELj4294967295EEENS1_25partition_config_selectorILNS1_17partition_subalgoE3EjNS0_10empty_typeEbEEZZNS1_14partition_implILS8_3ELb0ES6_jNS0_17counting_iteratorIjlEEPS9_SE_NS0_5tupleIJPjSE_EEENSF_IJSE_SE_EEES9_SG_JZNS1_25segmented_radix_sort_implINS0_14default_configELb0EPK12hip_bfloat16PSL_PKlPlN2at6native12_GLOBAL__N_18offset_tEEE10hipError_tPvRmT1_PNSt15iterator_traitsISZ_E10value_typeET2_T3_PNS10_IS15_E10value_typeET4_jRbjT5_S1B_jjP12ihipStream_tbEUljE_EEESW_SX_SY_S15_S19_S1B_T6_T7_T9_mT8_S1D_bDpT10_ENKUlT_T0_E_clISt17integral_constantIbLb0EES1Q_EEDaS1L_S1M_EUlS1L_E_NS1_11comp_targetILNS1_3genE0ELNS1_11target_archE4294967295ELNS1_3gpuE0ELNS1_3repE0EEENS1_30default_config_static_selectorELNS0_4arch9wavefront6targetE1EEEvSZ_
	.p2align	8
	.type	_ZN7rocprim17ROCPRIM_400000_NS6detail17trampoline_kernelINS0_13select_configILj256ELj13ELNS0_17block_load_methodE3ELS4_3ELS4_3ELNS0_20block_scan_algorithmE0ELj4294967295EEENS1_25partition_config_selectorILNS1_17partition_subalgoE3EjNS0_10empty_typeEbEEZZNS1_14partition_implILS8_3ELb0ES6_jNS0_17counting_iteratorIjlEEPS9_SE_NS0_5tupleIJPjSE_EEENSF_IJSE_SE_EEES9_SG_JZNS1_25segmented_radix_sort_implINS0_14default_configELb0EPK12hip_bfloat16PSL_PKlPlN2at6native12_GLOBAL__N_18offset_tEEE10hipError_tPvRmT1_PNSt15iterator_traitsISZ_E10value_typeET2_T3_PNS10_IS15_E10value_typeET4_jRbjT5_S1B_jjP12ihipStream_tbEUljE_EEESW_SX_SY_S15_S19_S1B_T6_T7_T9_mT8_S1D_bDpT10_ENKUlT_T0_E_clISt17integral_constantIbLb0EES1Q_EEDaS1L_S1M_EUlS1L_E_NS1_11comp_targetILNS1_3genE0ELNS1_11target_archE4294967295ELNS1_3gpuE0ELNS1_3repE0EEENS1_30default_config_static_selectorELNS0_4arch9wavefront6targetE1EEEvSZ_,@function
_ZN7rocprim17ROCPRIM_400000_NS6detail17trampoline_kernelINS0_13select_configILj256ELj13ELNS0_17block_load_methodE3ELS4_3ELS4_3ELNS0_20block_scan_algorithmE0ELj4294967295EEENS1_25partition_config_selectorILNS1_17partition_subalgoE3EjNS0_10empty_typeEbEEZZNS1_14partition_implILS8_3ELb0ES6_jNS0_17counting_iteratorIjlEEPS9_SE_NS0_5tupleIJPjSE_EEENSF_IJSE_SE_EEES9_SG_JZNS1_25segmented_radix_sort_implINS0_14default_configELb0EPK12hip_bfloat16PSL_PKlPlN2at6native12_GLOBAL__N_18offset_tEEE10hipError_tPvRmT1_PNSt15iterator_traitsISZ_E10value_typeET2_T3_PNS10_IS15_E10value_typeET4_jRbjT5_S1B_jjP12ihipStream_tbEUljE_EEESW_SX_SY_S15_S19_S1B_T6_T7_T9_mT8_S1D_bDpT10_ENKUlT_T0_E_clISt17integral_constantIbLb0EES1Q_EEDaS1L_S1M_EUlS1L_E_NS1_11comp_targetILNS1_3genE0ELNS1_11target_archE4294967295ELNS1_3gpuE0ELNS1_3repE0EEENS1_30default_config_static_selectorELNS0_4arch9wavefront6targetE1EEEvSZ_: ; @_ZN7rocprim17ROCPRIM_400000_NS6detail17trampoline_kernelINS0_13select_configILj256ELj13ELNS0_17block_load_methodE3ELS4_3ELS4_3ELNS0_20block_scan_algorithmE0ELj4294967295EEENS1_25partition_config_selectorILNS1_17partition_subalgoE3EjNS0_10empty_typeEbEEZZNS1_14partition_implILS8_3ELb0ES6_jNS0_17counting_iteratorIjlEEPS9_SE_NS0_5tupleIJPjSE_EEENSF_IJSE_SE_EEES9_SG_JZNS1_25segmented_radix_sort_implINS0_14default_configELb0EPK12hip_bfloat16PSL_PKlPlN2at6native12_GLOBAL__N_18offset_tEEE10hipError_tPvRmT1_PNSt15iterator_traitsISZ_E10value_typeET2_T3_PNS10_IS15_E10value_typeET4_jRbjT5_S1B_jjP12ihipStream_tbEUljE_EEESW_SX_SY_S15_S19_S1B_T6_T7_T9_mT8_S1D_bDpT10_ENKUlT_T0_E_clISt17integral_constantIbLb0EES1Q_EEDaS1L_S1M_EUlS1L_E_NS1_11comp_targetILNS1_3genE0ELNS1_11target_archE4294967295ELNS1_3gpuE0ELNS1_3repE0EEENS1_30default_config_static_selectorELNS0_4arch9wavefront6targetE1EEEvSZ_
; %bb.0:
	.section	.rodata,"a",@progbits
	.p2align	6, 0x0
	.amdhsa_kernel _ZN7rocprim17ROCPRIM_400000_NS6detail17trampoline_kernelINS0_13select_configILj256ELj13ELNS0_17block_load_methodE3ELS4_3ELS4_3ELNS0_20block_scan_algorithmE0ELj4294967295EEENS1_25partition_config_selectorILNS1_17partition_subalgoE3EjNS0_10empty_typeEbEEZZNS1_14partition_implILS8_3ELb0ES6_jNS0_17counting_iteratorIjlEEPS9_SE_NS0_5tupleIJPjSE_EEENSF_IJSE_SE_EEES9_SG_JZNS1_25segmented_radix_sort_implINS0_14default_configELb0EPK12hip_bfloat16PSL_PKlPlN2at6native12_GLOBAL__N_18offset_tEEE10hipError_tPvRmT1_PNSt15iterator_traitsISZ_E10value_typeET2_T3_PNS10_IS15_E10value_typeET4_jRbjT5_S1B_jjP12ihipStream_tbEUljE_EEESW_SX_SY_S15_S19_S1B_T6_T7_T9_mT8_S1D_bDpT10_ENKUlT_T0_E_clISt17integral_constantIbLb0EES1Q_EEDaS1L_S1M_EUlS1L_E_NS1_11comp_targetILNS1_3genE0ELNS1_11target_archE4294967295ELNS1_3gpuE0ELNS1_3repE0EEENS1_30default_config_static_selectorELNS0_4arch9wavefront6targetE1EEEvSZ_
		.amdhsa_group_segment_fixed_size 0
		.amdhsa_private_segment_fixed_size 0
		.amdhsa_kernarg_size 144
		.amdhsa_user_sgpr_count 6
		.amdhsa_user_sgpr_private_segment_buffer 1
		.amdhsa_user_sgpr_dispatch_ptr 0
		.amdhsa_user_sgpr_queue_ptr 0
		.amdhsa_user_sgpr_kernarg_segment_ptr 1
		.amdhsa_user_sgpr_dispatch_id 0
		.amdhsa_user_sgpr_flat_scratch_init 0
		.amdhsa_user_sgpr_private_segment_size 0
		.amdhsa_uses_dynamic_stack 0
		.amdhsa_system_sgpr_private_segment_wavefront_offset 0
		.amdhsa_system_sgpr_workgroup_id_x 1
		.amdhsa_system_sgpr_workgroup_id_y 0
		.amdhsa_system_sgpr_workgroup_id_z 0
		.amdhsa_system_sgpr_workgroup_info 0
		.amdhsa_system_vgpr_workitem_id 0
		.amdhsa_next_free_vgpr 1
		.amdhsa_next_free_sgpr 0
		.amdhsa_reserve_vcc 0
		.amdhsa_reserve_flat_scratch 0
		.amdhsa_float_round_mode_32 0
		.amdhsa_float_round_mode_16_64 0
		.amdhsa_float_denorm_mode_32 3
		.amdhsa_float_denorm_mode_16_64 3
		.amdhsa_dx10_clamp 1
		.amdhsa_ieee_mode 1
		.amdhsa_fp16_overflow 0
		.amdhsa_exception_fp_ieee_invalid_op 0
		.amdhsa_exception_fp_denorm_src 0
		.amdhsa_exception_fp_ieee_div_zero 0
		.amdhsa_exception_fp_ieee_overflow 0
		.amdhsa_exception_fp_ieee_underflow 0
		.amdhsa_exception_fp_ieee_inexact 0
		.amdhsa_exception_int_div_zero 0
	.end_amdhsa_kernel
	.section	.text._ZN7rocprim17ROCPRIM_400000_NS6detail17trampoline_kernelINS0_13select_configILj256ELj13ELNS0_17block_load_methodE3ELS4_3ELS4_3ELNS0_20block_scan_algorithmE0ELj4294967295EEENS1_25partition_config_selectorILNS1_17partition_subalgoE3EjNS0_10empty_typeEbEEZZNS1_14partition_implILS8_3ELb0ES6_jNS0_17counting_iteratorIjlEEPS9_SE_NS0_5tupleIJPjSE_EEENSF_IJSE_SE_EEES9_SG_JZNS1_25segmented_radix_sort_implINS0_14default_configELb0EPK12hip_bfloat16PSL_PKlPlN2at6native12_GLOBAL__N_18offset_tEEE10hipError_tPvRmT1_PNSt15iterator_traitsISZ_E10value_typeET2_T3_PNS10_IS15_E10value_typeET4_jRbjT5_S1B_jjP12ihipStream_tbEUljE_EEESW_SX_SY_S15_S19_S1B_T6_T7_T9_mT8_S1D_bDpT10_ENKUlT_T0_E_clISt17integral_constantIbLb0EES1Q_EEDaS1L_S1M_EUlS1L_E_NS1_11comp_targetILNS1_3genE0ELNS1_11target_archE4294967295ELNS1_3gpuE0ELNS1_3repE0EEENS1_30default_config_static_selectorELNS0_4arch9wavefront6targetE1EEEvSZ_,"axG",@progbits,_ZN7rocprim17ROCPRIM_400000_NS6detail17trampoline_kernelINS0_13select_configILj256ELj13ELNS0_17block_load_methodE3ELS4_3ELS4_3ELNS0_20block_scan_algorithmE0ELj4294967295EEENS1_25partition_config_selectorILNS1_17partition_subalgoE3EjNS0_10empty_typeEbEEZZNS1_14partition_implILS8_3ELb0ES6_jNS0_17counting_iteratorIjlEEPS9_SE_NS0_5tupleIJPjSE_EEENSF_IJSE_SE_EEES9_SG_JZNS1_25segmented_radix_sort_implINS0_14default_configELb0EPK12hip_bfloat16PSL_PKlPlN2at6native12_GLOBAL__N_18offset_tEEE10hipError_tPvRmT1_PNSt15iterator_traitsISZ_E10value_typeET2_T3_PNS10_IS15_E10value_typeET4_jRbjT5_S1B_jjP12ihipStream_tbEUljE_EEESW_SX_SY_S15_S19_S1B_T6_T7_T9_mT8_S1D_bDpT10_ENKUlT_T0_E_clISt17integral_constantIbLb0EES1Q_EEDaS1L_S1M_EUlS1L_E_NS1_11comp_targetILNS1_3genE0ELNS1_11target_archE4294967295ELNS1_3gpuE0ELNS1_3repE0EEENS1_30default_config_static_selectorELNS0_4arch9wavefront6targetE1EEEvSZ_,comdat
.Lfunc_end2017:
	.size	_ZN7rocprim17ROCPRIM_400000_NS6detail17trampoline_kernelINS0_13select_configILj256ELj13ELNS0_17block_load_methodE3ELS4_3ELS4_3ELNS0_20block_scan_algorithmE0ELj4294967295EEENS1_25partition_config_selectorILNS1_17partition_subalgoE3EjNS0_10empty_typeEbEEZZNS1_14partition_implILS8_3ELb0ES6_jNS0_17counting_iteratorIjlEEPS9_SE_NS0_5tupleIJPjSE_EEENSF_IJSE_SE_EEES9_SG_JZNS1_25segmented_radix_sort_implINS0_14default_configELb0EPK12hip_bfloat16PSL_PKlPlN2at6native12_GLOBAL__N_18offset_tEEE10hipError_tPvRmT1_PNSt15iterator_traitsISZ_E10value_typeET2_T3_PNS10_IS15_E10value_typeET4_jRbjT5_S1B_jjP12ihipStream_tbEUljE_EEESW_SX_SY_S15_S19_S1B_T6_T7_T9_mT8_S1D_bDpT10_ENKUlT_T0_E_clISt17integral_constantIbLb0EES1Q_EEDaS1L_S1M_EUlS1L_E_NS1_11comp_targetILNS1_3genE0ELNS1_11target_archE4294967295ELNS1_3gpuE0ELNS1_3repE0EEENS1_30default_config_static_selectorELNS0_4arch9wavefront6targetE1EEEvSZ_, .Lfunc_end2017-_ZN7rocprim17ROCPRIM_400000_NS6detail17trampoline_kernelINS0_13select_configILj256ELj13ELNS0_17block_load_methodE3ELS4_3ELS4_3ELNS0_20block_scan_algorithmE0ELj4294967295EEENS1_25partition_config_selectorILNS1_17partition_subalgoE3EjNS0_10empty_typeEbEEZZNS1_14partition_implILS8_3ELb0ES6_jNS0_17counting_iteratorIjlEEPS9_SE_NS0_5tupleIJPjSE_EEENSF_IJSE_SE_EEES9_SG_JZNS1_25segmented_radix_sort_implINS0_14default_configELb0EPK12hip_bfloat16PSL_PKlPlN2at6native12_GLOBAL__N_18offset_tEEE10hipError_tPvRmT1_PNSt15iterator_traitsISZ_E10value_typeET2_T3_PNS10_IS15_E10value_typeET4_jRbjT5_S1B_jjP12ihipStream_tbEUljE_EEESW_SX_SY_S15_S19_S1B_T6_T7_T9_mT8_S1D_bDpT10_ENKUlT_T0_E_clISt17integral_constantIbLb0EES1Q_EEDaS1L_S1M_EUlS1L_E_NS1_11comp_targetILNS1_3genE0ELNS1_11target_archE4294967295ELNS1_3gpuE0ELNS1_3repE0EEENS1_30default_config_static_selectorELNS0_4arch9wavefront6targetE1EEEvSZ_
                                        ; -- End function
	.set _ZN7rocprim17ROCPRIM_400000_NS6detail17trampoline_kernelINS0_13select_configILj256ELj13ELNS0_17block_load_methodE3ELS4_3ELS4_3ELNS0_20block_scan_algorithmE0ELj4294967295EEENS1_25partition_config_selectorILNS1_17partition_subalgoE3EjNS0_10empty_typeEbEEZZNS1_14partition_implILS8_3ELb0ES6_jNS0_17counting_iteratorIjlEEPS9_SE_NS0_5tupleIJPjSE_EEENSF_IJSE_SE_EEES9_SG_JZNS1_25segmented_radix_sort_implINS0_14default_configELb0EPK12hip_bfloat16PSL_PKlPlN2at6native12_GLOBAL__N_18offset_tEEE10hipError_tPvRmT1_PNSt15iterator_traitsISZ_E10value_typeET2_T3_PNS10_IS15_E10value_typeET4_jRbjT5_S1B_jjP12ihipStream_tbEUljE_EEESW_SX_SY_S15_S19_S1B_T6_T7_T9_mT8_S1D_bDpT10_ENKUlT_T0_E_clISt17integral_constantIbLb0EES1Q_EEDaS1L_S1M_EUlS1L_E_NS1_11comp_targetILNS1_3genE0ELNS1_11target_archE4294967295ELNS1_3gpuE0ELNS1_3repE0EEENS1_30default_config_static_selectorELNS0_4arch9wavefront6targetE1EEEvSZ_.num_vgpr, 0
	.set _ZN7rocprim17ROCPRIM_400000_NS6detail17trampoline_kernelINS0_13select_configILj256ELj13ELNS0_17block_load_methodE3ELS4_3ELS4_3ELNS0_20block_scan_algorithmE0ELj4294967295EEENS1_25partition_config_selectorILNS1_17partition_subalgoE3EjNS0_10empty_typeEbEEZZNS1_14partition_implILS8_3ELb0ES6_jNS0_17counting_iteratorIjlEEPS9_SE_NS0_5tupleIJPjSE_EEENSF_IJSE_SE_EEES9_SG_JZNS1_25segmented_radix_sort_implINS0_14default_configELb0EPK12hip_bfloat16PSL_PKlPlN2at6native12_GLOBAL__N_18offset_tEEE10hipError_tPvRmT1_PNSt15iterator_traitsISZ_E10value_typeET2_T3_PNS10_IS15_E10value_typeET4_jRbjT5_S1B_jjP12ihipStream_tbEUljE_EEESW_SX_SY_S15_S19_S1B_T6_T7_T9_mT8_S1D_bDpT10_ENKUlT_T0_E_clISt17integral_constantIbLb0EES1Q_EEDaS1L_S1M_EUlS1L_E_NS1_11comp_targetILNS1_3genE0ELNS1_11target_archE4294967295ELNS1_3gpuE0ELNS1_3repE0EEENS1_30default_config_static_selectorELNS0_4arch9wavefront6targetE1EEEvSZ_.num_agpr, 0
	.set _ZN7rocprim17ROCPRIM_400000_NS6detail17trampoline_kernelINS0_13select_configILj256ELj13ELNS0_17block_load_methodE3ELS4_3ELS4_3ELNS0_20block_scan_algorithmE0ELj4294967295EEENS1_25partition_config_selectorILNS1_17partition_subalgoE3EjNS0_10empty_typeEbEEZZNS1_14partition_implILS8_3ELb0ES6_jNS0_17counting_iteratorIjlEEPS9_SE_NS0_5tupleIJPjSE_EEENSF_IJSE_SE_EEES9_SG_JZNS1_25segmented_radix_sort_implINS0_14default_configELb0EPK12hip_bfloat16PSL_PKlPlN2at6native12_GLOBAL__N_18offset_tEEE10hipError_tPvRmT1_PNSt15iterator_traitsISZ_E10value_typeET2_T3_PNS10_IS15_E10value_typeET4_jRbjT5_S1B_jjP12ihipStream_tbEUljE_EEESW_SX_SY_S15_S19_S1B_T6_T7_T9_mT8_S1D_bDpT10_ENKUlT_T0_E_clISt17integral_constantIbLb0EES1Q_EEDaS1L_S1M_EUlS1L_E_NS1_11comp_targetILNS1_3genE0ELNS1_11target_archE4294967295ELNS1_3gpuE0ELNS1_3repE0EEENS1_30default_config_static_selectorELNS0_4arch9wavefront6targetE1EEEvSZ_.numbered_sgpr, 0
	.set _ZN7rocprim17ROCPRIM_400000_NS6detail17trampoline_kernelINS0_13select_configILj256ELj13ELNS0_17block_load_methodE3ELS4_3ELS4_3ELNS0_20block_scan_algorithmE0ELj4294967295EEENS1_25partition_config_selectorILNS1_17partition_subalgoE3EjNS0_10empty_typeEbEEZZNS1_14partition_implILS8_3ELb0ES6_jNS0_17counting_iteratorIjlEEPS9_SE_NS0_5tupleIJPjSE_EEENSF_IJSE_SE_EEES9_SG_JZNS1_25segmented_radix_sort_implINS0_14default_configELb0EPK12hip_bfloat16PSL_PKlPlN2at6native12_GLOBAL__N_18offset_tEEE10hipError_tPvRmT1_PNSt15iterator_traitsISZ_E10value_typeET2_T3_PNS10_IS15_E10value_typeET4_jRbjT5_S1B_jjP12ihipStream_tbEUljE_EEESW_SX_SY_S15_S19_S1B_T6_T7_T9_mT8_S1D_bDpT10_ENKUlT_T0_E_clISt17integral_constantIbLb0EES1Q_EEDaS1L_S1M_EUlS1L_E_NS1_11comp_targetILNS1_3genE0ELNS1_11target_archE4294967295ELNS1_3gpuE0ELNS1_3repE0EEENS1_30default_config_static_selectorELNS0_4arch9wavefront6targetE1EEEvSZ_.num_named_barrier, 0
	.set _ZN7rocprim17ROCPRIM_400000_NS6detail17trampoline_kernelINS0_13select_configILj256ELj13ELNS0_17block_load_methodE3ELS4_3ELS4_3ELNS0_20block_scan_algorithmE0ELj4294967295EEENS1_25partition_config_selectorILNS1_17partition_subalgoE3EjNS0_10empty_typeEbEEZZNS1_14partition_implILS8_3ELb0ES6_jNS0_17counting_iteratorIjlEEPS9_SE_NS0_5tupleIJPjSE_EEENSF_IJSE_SE_EEES9_SG_JZNS1_25segmented_radix_sort_implINS0_14default_configELb0EPK12hip_bfloat16PSL_PKlPlN2at6native12_GLOBAL__N_18offset_tEEE10hipError_tPvRmT1_PNSt15iterator_traitsISZ_E10value_typeET2_T3_PNS10_IS15_E10value_typeET4_jRbjT5_S1B_jjP12ihipStream_tbEUljE_EEESW_SX_SY_S15_S19_S1B_T6_T7_T9_mT8_S1D_bDpT10_ENKUlT_T0_E_clISt17integral_constantIbLb0EES1Q_EEDaS1L_S1M_EUlS1L_E_NS1_11comp_targetILNS1_3genE0ELNS1_11target_archE4294967295ELNS1_3gpuE0ELNS1_3repE0EEENS1_30default_config_static_selectorELNS0_4arch9wavefront6targetE1EEEvSZ_.private_seg_size, 0
	.set _ZN7rocprim17ROCPRIM_400000_NS6detail17trampoline_kernelINS0_13select_configILj256ELj13ELNS0_17block_load_methodE3ELS4_3ELS4_3ELNS0_20block_scan_algorithmE0ELj4294967295EEENS1_25partition_config_selectorILNS1_17partition_subalgoE3EjNS0_10empty_typeEbEEZZNS1_14partition_implILS8_3ELb0ES6_jNS0_17counting_iteratorIjlEEPS9_SE_NS0_5tupleIJPjSE_EEENSF_IJSE_SE_EEES9_SG_JZNS1_25segmented_radix_sort_implINS0_14default_configELb0EPK12hip_bfloat16PSL_PKlPlN2at6native12_GLOBAL__N_18offset_tEEE10hipError_tPvRmT1_PNSt15iterator_traitsISZ_E10value_typeET2_T3_PNS10_IS15_E10value_typeET4_jRbjT5_S1B_jjP12ihipStream_tbEUljE_EEESW_SX_SY_S15_S19_S1B_T6_T7_T9_mT8_S1D_bDpT10_ENKUlT_T0_E_clISt17integral_constantIbLb0EES1Q_EEDaS1L_S1M_EUlS1L_E_NS1_11comp_targetILNS1_3genE0ELNS1_11target_archE4294967295ELNS1_3gpuE0ELNS1_3repE0EEENS1_30default_config_static_selectorELNS0_4arch9wavefront6targetE1EEEvSZ_.uses_vcc, 0
	.set _ZN7rocprim17ROCPRIM_400000_NS6detail17trampoline_kernelINS0_13select_configILj256ELj13ELNS0_17block_load_methodE3ELS4_3ELS4_3ELNS0_20block_scan_algorithmE0ELj4294967295EEENS1_25partition_config_selectorILNS1_17partition_subalgoE3EjNS0_10empty_typeEbEEZZNS1_14partition_implILS8_3ELb0ES6_jNS0_17counting_iteratorIjlEEPS9_SE_NS0_5tupleIJPjSE_EEENSF_IJSE_SE_EEES9_SG_JZNS1_25segmented_radix_sort_implINS0_14default_configELb0EPK12hip_bfloat16PSL_PKlPlN2at6native12_GLOBAL__N_18offset_tEEE10hipError_tPvRmT1_PNSt15iterator_traitsISZ_E10value_typeET2_T3_PNS10_IS15_E10value_typeET4_jRbjT5_S1B_jjP12ihipStream_tbEUljE_EEESW_SX_SY_S15_S19_S1B_T6_T7_T9_mT8_S1D_bDpT10_ENKUlT_T0_E_clISt17integral_constantIbLb0EES1Q_EEDaS1L_S1M_EUlS1L_E_NS1_11comp_targetILNS1_3genE0ELNS1_11target_archE4294967295ELNS1_3gpuE0ELNS1_3repE0EEENS1_30default_config_static_selectorELNS0_4arch9wavefront6targetE1EEEvSZ_.uses_flat_scratch, 0
	.set _ZN7rocprim17ROCPRIM_400000_NS6detail17trampoline_kernelINS0_13select_configILj256ELj13ELNS0_17block_load_methodE3ELS4_3ELS4_3ELNS0_20block_scan_algorithmE0ELj4294967295EEENS1_25partition_config_selectorILNS1_17partition_subalgoE3EjNS0_10empty_typeEbEEZZNS1_14partition_implILS8_3ELb0ES6_jNS0_17counting_iteratorIjlEEPS9_SE_NS0_5tupleIJPjSE_EEENSF_IJSE_SE_EEES9_SG_JZNS1_25segmented_radix_sort_implINS0_14default_configELb0EPK12hip_bfloat16PSL_PKlPlN2at6native12_GLOBAL__N_18offset_tEEE10hipError_tPvRmT1_PNSt15iterator_traitsISZ_E10value_typeET2_T3_PNS10_IS15_E10value_typeET4_jRbjT5_S1B_jjP12ihipStream_tbEUljE_EEESW_SX_SY_S15_S19_S1B_T6_T7_T9_mT8_S1D_bDpT10_ENKUlT_T0_E_clISt17integral_constantIbLb0EES1Q_EEDaS1L_S1M_EUlS1L_E_NS1_11comp_targetILNS1_3genE0ELNS1_11target_archE4294967295ELNS1_3gpuE0ELNS1_3repE0EEENS1_30default_config_static_selectorELNS0_4arch9wavefront6targetE1EEEvSZ_.has_dyn_sized_stack, 0
	.set _ZN7rocprim17ROCPRIM_400000_NS6detail17trampoline_kernelINS0_13select_configILj256ELj13ELNS0_17block_load_methodE3ELS4_3ELS4_3ELNS0_20block_scan_algorithmE0ELj4294967295EEENS1_25partition_config_selectorILNS1_17partition_subalgoE3EjNS0_10empty_typeEbEEZZNS1_14partition_implILS8_3ELb0ES6_jNS0_17counting_iteratorIjlEEPS9_SE_NS0_5tupleIJPjSE_EEENSF_IJSE_SE_EEES9_SG_JZNS1_25segmented_radix_sort_implINS0_14default_configELb0EPK12hip_bfloat16PSL_PKlPlN2at6native12_GLOBAL__N_18offset_tEEE10hipError_tPvRmT1_PNSt15iterator_traitsISZ_E10value_typeET2_T3_PNS10_IS15_E10value_typeET4_jRbjT5_S1B_jjP12ihipStream_tbEUljE_EEESW_SX_SY_S15_S19_S1B_T6_T7_T9_mT8_S1D_bDpT10_ENKUlT_T0_E_clISt17integral_constantIbLb0EES1Q_EEDaS1L_S1M_EUlS1L_E_NS1_11comp_targetILNS1_3genE0ELNS1_11target_archE4294967295ELNS1_3gpuE0ELNS1_3repE0EEENS1_30default_config_static_selectorELNS0_4arch9wavefront6targetE1EEEvSZ_.has_recursion, 0
	.set _ZN7rocprim17ROCPRIM_400000_NS6detail17trampoline_kernelINS0_13select_configILj256ELj13ELNS0_17block_load_methodE3ELS4_3ELS4_3ELNS0_20block_scan_algorithmE0ELj4294967295EEENS1_25partition_config_selectorILNS1_17partition_subalgoE3EjNS0_10empty_typeEbEEZZNS1_14partition_implILS8_3ELb0ES6_jNS0_17counting_iteratorIjlEEPS9_SE_NS0_5tupleIJPjSE_EEENSF_IJSE_SE_EEES9_SG_JZNS1_25segmented_radix_sort_implINS0_14default_configELb0EPK12hip_bfloat16PSL_PKlPlN2at6native12_GLOBAL__N_18offset_tEEE10hipError_tPvRmT1_PNSt15iterator_traitsISZ_E10value_typeET2_T3_PNS10_IS15_E10value_typeET4_jRbjT5_S1B_jjP12ihipStream_tbEUljE_EEESW_SX_SY_S15_S19_S1B_T6_T7_T9_mT8_S1D_bDpT10_ENKUlT_T0_E_clISt17integral_constantIbLb0EES1Q_EEDaS1L_S1M_EUlS1L_E_NS1_11comp_targetILNS1_3genE0ELNS1_11target_archE4294967295ELNS1_3gpuE0ELNS1_3repE0EEENS1_30default_config_static_selectorELNS0_4arch9wavefront6targetE1EEEvSZ_.has_indirect_call, 0
	.section	.AMDGPU.csdata,"",@progbits
; Kernel info:
; codeLenInByte = 0
; TotalNumSgprs: 4
; NumVgprs: 0
; ScratchSize: 0
; MemoryBound: 0
; FloatMode: 240
; IeeeMode: 1
; LDSByteSize: 0 bytes/workgroup (compile time only)
; SGPRBlocks: 0
; VGPRBlocks: 0
; NumSGPRsForWavesPerEU: 4
; NumVGPRsForWavesPerEU: 1
; Occupancy: 10
; WaveLimiterHint : 0
; COMPUTE_PGM_RSRC2:SCRATCH_EN: 0
; COMPUTE_PGM_RSRC2:USER_SGPR: 6
; COMPUTE_PGM_RSRC2:TRAP_HANDLER: 0
; COMPUTE_PGM_RSRC2:TGID_X_EN: 1
; COMPUTE_PGM_RSRC2:TGID_Y_EN: 0
; COMPUTE_PGM_RSRC2:TGID_Z_EN: 0
; COMPUTE_PGM_RSRC2:TIDIG_COMP_CNT: 0
	.section	.text._ZN7rocprim17ROCPRIM_400000_NS6detail17trampoline_kernelINS0_13select_configILj256ELj13ELNS0_17block_load_methodE3ELS4_3ELS4_3ELNS0_20block_scan_algorithmE0ELj4294967295EEENS1_25partition_config_selectorILNS1_17partition_subalgoE3EjNS0_10empty_typeEbEEZZNS1_14partition_implILS8_3ELb0ES6_jNS0_17counting_iteratorIjlEEPS9_SE_NS0_5tupleIJPjSE_EEENSF_IJSE_SE_EEES9_SG_JZNS1_25segmented_radix_sort_implINS0_14default_configELb0EPK12hip_bfloat16PSL_PKlPlN2at6native12_GLOBAL__N_18offset_tEEE10hipError_tPvRmT1_PNSt15iterator_traitsISZ_E10value_typeET2_T3_PNS10_IS15_E10value_typeET4_jRbjT5_S1B_jjP12ihipStream_tbEUljE_EEESW_SX_SY_S15_S19_S1B_T6_T7_T9_mT8_S1D_bDpT10_ENKUlT_T0_E_clISt17integral_constantIbLb0EES1Q_EEDaS1L_S1M_EUlS1L_E_NS1_11comp_targetILNS1_3genE5ELNS1_11target_archE942ELNS1_3gpuE9ELNS1_3repE0EEENS1_30default_config_static_selectorELNS0_4arch9wavefront6targetE1EEEvSZ_,"axG",@progbits,_ZN7rocprim17ROCPRIM_400000_NS6detail17trampoline_kernelINS0_13select_configILj256ELj13ELNS0_17block_load_methodE3ELS4_3ELS4_3ELNS0_20block_scan_algorithmE0ELj4294967295EEENS1_25partition_config_selectorILNS1_17partition_subalgoE3EjNS0_10empty_typeEbEEZZNS1_14partition_implILS8_3ELb0ES6_jNS0_17counting_iteratorIjlEEPS9_SE_NS0_5tupleIJPjSE_EEENSF_IJSE_SE_EEES9_SG_JZNS1_25segmented_radix_sort_implINS0_14default_configELb0EPK12hip_bfloat16PSL_PKlPlN2at6native12_GLOBAL__N_18offset_tEEE10hipError_tPvRmT1_PNSt15iterator_traitsISZ_E10value_typeET2_T3_PNS10_IS15_E10value_typeET4_jRbjT5_S1B_jjP12ihipStream_tbEUljE_EEESW_SX_SY_S15_S19_S1B_T6_T7_T9_mT8_S1D_bDpT10_ENKUlT_T0_E_clISt17integral_constantIbLb0EES1Q_EEDaS1L_S1M_EUlS1L_E_NS1_11comp_targetILNS1_3genE5ELNS1_11target_archE942ELNS1_3gpuE9ELNS1_3repE0EEENS1_30default_config_static_selectorELNS0_4arch9wavefront6targetE1EEEvSZ_,comdat
	.globl	_ZN7rocprim17ROCPRIM_400000_NS6detail17trampoline_kernelINS0_13select_configILj256ELj13ELNS0_17block_load_methodE3ELS4_3ELS4_3ELNS0_20block_scan_algorithmE0ELj4294967295EEENS1_25partition_config_selectorILNS1_17partition_subalgoE3EjNS0_10empty_typeEbEEZZNS1_14partition_implILS8_3ELb0ES6_jNS0_17counting_iteratorIjlEEPS9_SE_NS0_5tupleIJPjSE_EEENSF_IJSE_SE_EEES9_SG_JZNS1_25segmented_radix_sort_implINS0_14default_configELb0EPK12hip_bfloat16PSL_PKlPlN2at6native12_GLOBAL__N_18offset_tEEE10hipError_tPvRmT1_PNSt15iterator_traitsISZ_E10value_typeET2_T3_PNS10_IS15_E10value_typeET4_jRbjT5_S1B_jjP12ihipStream_tbEUljE_EEESW_SX_SY_S15_S19_S1B_T6_T7_T9_mT8_S1D_bDpT10_ENKUlT_T0_E_clISt17integral_constantIbLb0EES1Q_EEDaS1L_S1M_EUlS1L_E_NS1_11comp_targetILNS1_3genE5ELNS1_11target_archE942ELNS1_3gpuE9ELNS1_3repE0EEENS1_30default_config_static_selectorELNS0_4arch9wavefront6targetE1EEEvSZ_ ; -- Begin function _ZN7rocprim17ROCPRIM_400000_NS6detail17trampoline_kernelINS0_13select_configILj256ELj13ELNS0_17block_load_methodE3ELS4_3ELS4_3ELNS0_20block_scan_algorithmE0ELj4294967295EEENS1_25partition_config_selectorILNS1_17partition_subalgoE3EjNS0_10empty_typeEbEEZZNS1_14partition_implILS8_3ELb0ES6_jNS0_17counting_iteratorIjlEEPS9_SE_NS0_5tupleIJPjSE_EEENSF_IJSE_SE_EEES9_SG_JZNS1_25segmented_radix_sort_implINS0_14default_configELb0EPK12hip_bfloat16PSL_PKlPlN2at6native12_GLOBAL__N_18offset_tEEE10hipError_tPvRmT1_PNSt15iterator_traitsISZ_E10value_typeET2_T3_PNS10_IS15_E10value_typeET4_jRbjT5_S1B_jjP12ihipStream_tbEUljE_EEESW_SX_SY_S15_S19_S1B_T6_T7_T9_mT8_S1D_bDpT10_ENKUlT_T0_E_clISt17integral_constantIbLb0EES1Q_EEDaS1L_S1M_EUlS1L_E_NS1_11comp_targetILNS1_3genE5ELNS1_11target_archE942ELNS1_3gpuE9ELNS1_3repE0EEENS1_30default_config_static_selectorELNS0_4arch9wavefront6targetE1EEEvSZ_
	.p2align	8
	.type	_ZN7rocprim17ROCPRIM_400000_NS6detail17trampoline_kernelINS0_13select_configILj256ELj13ELNS0_17block_load_methodE3ELS4_3ELS4_3ELNS0_20block_scan_algorithmE0ELj4294967295EEENS1_25partition_config_selectorILNS1_17partition_subalgoE3EjNS0_10empty_typeEbEEZZNS1_14partition_implILS8_3ELb0ES6_jNS0_17counting_iteratorIjlEEPS9_SE_NS0_5tupleIJPjSE_EEENSF_IJSE_SE_EEES9_SG_JZNS1_25segmented_radix_sort_implINS0_14default_configELb0EPK12hip_bfloat16PSL_PKlPlN2at6native12_GLOBAL__N_18offset_tEEE10hipError_tPvRmT1_PNSt15iterator_traitsISZ_E10value_typeET2_T3_PNS10_IS15_E10value_typeET4_jRbjT5_S1B_jjP12ihipStream_tbEUljE_EEESW_SX_SY_S15_S19_S1B_T6_T7_T9_mT8_S1D_bDpT10_ENKUlT_T0_E_clISt17integral_constantIbLb0EES1Q_EEDaS1L_S1M_EUlS1L_E_NS1_11comp_targetILNS1_3genE5ELNS1_11target_archE942ELNS1_3gpuE9ELNS1_3repE0EEENS1_30default_config_static_selectorELNS0_4arch9wavefront6targetE1EEEvSZ_,@function
_ZN7rocprim17ROCPRIM_400000_NS6detail17trampoline_kernelINS0_13select_configILj256ELj13ELNS0_17block_load_methodE3ELS4_3ELS4_3ELNS0_20block_scan_algorithmE0ELj4294967295EEENS1_25partition_config_selectorILNS1_17partition_subalgoE3EjNS0_10empty_typeEbEEZZNS1_14partition_implILS8_3ELb0ES6_jNS0_17counting_iteratorIjlEEPS9_SE_NS0_5tupleIJPjSE_EEENSF_IJSE_SE_EEES9_SG_JZNS1_25segmented_radix_sort_implINS0_14default_configELb0EPK12hip_bfloat16PSL_PKlPlN2at6native12_GLOBAL__N_18offset_tEEE10hipError_tPvRmT1_PNSt15iterator_traitsISZ_E10value_typeET2_T3_PNS10_IS15_E10value_typeET4_jRbjT5_S1B_jjP12ihipStream_tbEUljE_EEESW_SX_SY_S15_S19_S1B_T6_T7_T9_mT8_S1D_bDpT10_ENKUlT_T0_E_clISt17integral_constantIbLb0EES1Q_EEDaS1L_S1M_EUlS1L_E_NS1_11comp_targetILNS1_3genE5ELNS1_11target_archE942ELNS1_3gpuE9ELNS1_3repE0EEENS1_30default_config_static_selectorELNS0_4arch9wavefront6targetE1EEEvSZ_: ; @_ZN7rocprim17ROCPRIM_400000_NS6detail17trampoline_kernelINS0_13select_configILj256ELj13ELNS0_17block_load_methodE3ELS4_3ELS4_3ELNS0_20block_scan_algorithmE0ELj4294967295EEENS1_25partition_config_selectorILNS1_17partition_subalgoE3EjNS0_10empty_typeEbEEZZNS1_14partition_implILS8_3ELb0ES6_jNS0_17counting_iteratorIjlEEPS9_SE_NS0_5tupleIJPjSE_EEENSF_IJSE_SE_EEES9_SG_JZNS1_25segmented_radix_sort_implINS0_14default_configELb0EPK12hip_bfloat16PSL_PKlPlN2at6native12_GLOBAL__N_18offset_tEEE10hipError_tPvRmT1_PNSt15iterator_traitsISZ_E10value_typeET2_T3_PNS10_IS15_E10value_typeET4_jRbjT5_S1B_jjP12ihipStream_tbEUljE_EEESW_SX_SY_S15_S19_S1B_T6_T7_T9_mT8_S1D_bDpT10_ENKUlT_T0_E_clISt17integral_constantIbLb0EES1Q_EEDaS1L_S1M_EUlS1L_E_NS1_11comp_targetILNS1_3genE5ELNS1_11target_archE942ELNS1_3gpuE9ELNS1_3repE0EEENS1_30default_config_static_selectorELNS0_4arch9wavefront6targetE1EEEvSZ_
; %bb.0:
	.section	.rodata,"a",@progbits
	.p2align	6, 0x0
	.amdhsa_kernel _ZN7rocprim17ROCPRIM_400000_NS6detail17trampoline_kernelINS0_13select_configILj256ELj13ELNS0_17block_load_methodE3ELS4_3ELS4_3ELNS0_20block_scan_algorithmE0ELj4294967295EEENS1_25partition_config_selectorILNS1_17partition_subalgoE3EjNS0_10empty_typeEbEEZZNS1_14partition_implILS8_3ELb0ES6_jNS0_17counting_iteratorIjlEEPS9_SE_NS0_5tupleIJPjSE_EEENSF_IJSE_SE_EEES9_SG_JZNS1_25segmented_radix_sort_implINS0_14default_configELb0EPK12hip_bfloat16PSL_PKlPlN2at6native12_GLOBAL__N_18offset_tEEE10hipError_tPvRmT1_PNSt15iterator_traitsISZ_E10value_typeET2_T3_PNS10_IS15_E10value_typeET4_jRbjT5_S1B_jjP12ihipStream_tbEUljE_EEESW_SX_SY_S15_S19_S1B_T6_T7_T9_mT8_S1D_bDpT10_ENKUlT_T0_E_clISt17integral_constantIbLb0EES1Q_EEDaS1L_S1M_EUlS1L_E_NS1_11comp_targetILNS1_3genE5ELNS1_11target_archE942ELNS1_3gpuE9ELNS1_3repE0EEENS1_30default_config_static_selectorELNS0_4arch9wavefront6targetE1EEEvSZ_
		.amdhsa_group_segment_fixed_size 0
		.amdhsa_private_segment_fixed_size 0
		.amdhsa_kernarg_size 144
		.amdhsa_user_sgpr_count 6
		.amdhsa_user_sgpr_private_segment_buffer 1
		.amdhsa_user_sgpr_dispatch_ptr 0
		.amdhsa_user_sgpr_queue_ptr 0
		.amdhsa_user_sgpr_kernarg_segment_ptr 1
		.amdhsa_user_sgpr_dispatch_id 0
		.amdhsa_user_sgpr_flat_scratch_init 0
		.amdhsa_user_sgpr_private_segment_size 0
		.amdhsa_uses_dynamic_stack 0
		.amdhsa_system_sgpr_private_segment_wavefront_offset 0
		.amdhsa_system_sgpr_workgroup_id_x 1
		.amdhsa_system_sgpr_workgroup_id_y 0
		.amdhsa_system_sgpr_workgroup_id_z 0
		.amdhsa_system_sgpr_workgroup_info 0
		.amdhsa_system_vgpr_workitem_id 0
		.amdhsa_next_free_vgpr 1
		.amdhsa_next_free_sgpr 0
		.amdhsa_reserve_vcc 0
		.amdhsa_reserve_flat_scratch 0
		.amdhsa_float_round_mode_32 0
		.amdhsa_float_round_mode_16_64 0
		.amdhsa_float_denorm_mode_32 3
		.amdhsa_float_denorm_mode_16_64 3
		.amdhsa_dx10_clamp 1
		.amdhsa_ieee_mode 1
		.amdhsa_fp16_overflow 0
		.amdhsa_exception_fp_ieee_invalid_op 0
		.amdhsa_exception_fp_denorm_src 0
		.amdhsa_exception_fp_ieee_div_zero 0
		.amdhsa_exception_fp_ieee_overflow 0
		.amdhsa_exception_fp_ieee_underflow 0
		.amdhsa_exception_fp_ieee_inexact 0
		.amdhsa_exception_int_div_zero 0
	.end_amdhsa_kernel
	.section	.text._ZN7rocprim17ROCPRIM_400000_NS6detail17trampoline_kernelINS0_13select_configILj256ELj13ELNS0_17block_load_methodE3ELS4_3ELS4_3ELNS0_20block_scan_algorithmE0ELj4294967295EEENS1_25partition_config_selectorILNS1_17partition_subalgoE3EjNS0_10empty_typeEbEEZZNS1_14partition_implILS8_3ELb0ES6_jNS0_17counting_iteratorIjlEEPS9_SE_NS0_5tupleIJPjSE_EEENSF_IJSE_SE_EEES9_SG_JZNS1_25segmented_radix_sort_implINS0_14default_configELb0EPK12hip_bfloat16PSL_PKlPlN2at6native12_GLOBAL__N_18offset_tEEE10hipError_tPvRmT1_PNSt15iterator_traitsISZ_E10value_typeET2_T3_PNS10_IS15_E10value_typeET4_jRbjT5_S1B_jjP12ihipStream_tbEUljE_EEESW_SX_SY_S15_S19_S1B_T6_T7_T9_mT8_S1D_bDpT10_ENKUlT_T0_E_clISt17integral_constantIbLb0EES1Q_EEDaS1L_S1M_EUlS1L_E_NS1_11comp_targetILNS1_3genE5ELNS1_11target_archE942ELNS1_3gpuE9ELNS1_3repE0EEENS1_30default_config_static_selectorELNS0_4arch9wavefront6targetE1EEEvSZ_,"axG",@progbits,_ZN7rocprim17ROCPRIM_400000_NS6detail17trampoline_kernelINS0_13select_configILj256ELj13ELNS0_17block_load_methodE3ELS4_3ELS4_3ELNS0_20block_scan_algorithmE0ELj4294967295EEENS1_25partition_config_selectorILNS1_17partition_subalgoE3EjNS0_10empty_typeEbEEZZNS1_14partition_implILS8_3ELb0ES6_jNS0_17counting_iteratorIjlEEPS9_SE_NS0_5tupleIJPjSE_EEENSF_IJSE_SE_EEES9_SG_JZNS1_25segmented_radix_sort_implINS0_14default_configELb0EPK12hip_bfloat16PSL_PKlPlN2at6native12_GLOBAL__N_18offset_tEEE10hipError_tPvRmT1_PNSt15iterator_traitsISZ_E10value_typeET2_T3_PNS10_IS15_E10value_typeET4_jRbjT5_S1B_jjP12ihipStream_tbEUljE_EEESW_SX_SY_S15_S19_S1B_T6_T7_T9_mT8_S1D_bDpT10_ENKUlT_T0_E_clISt17integral_constantIbLb0EES1Q_EEDaS1L_S1M_EUlS1L_E_NS1_11comp_targetILNS1_3genE5ELNS1_11target_archE942ELNS1_3gpuE9ELNS1_3repE0EEENS1_30default_config_static_selectorELNS0_4arch9wavefront6targetE1EEEvSZ_,comdat
.Lfunc_end2018:
	.size	_ZN7rocprim17ROCPRIM_400000_NS6detail17trampoline_kernelINS0_13select_configILj256ELj13ELNS0_17block_load_methodE3ELS4_3ELS4_3ELNS0_20block_scan_algorithmE0ELj4294967295EEENS1_25partition_config_selectorILNS1_17partition_subalgoE3EjNS0_10empty_typeEbEEZZNS1_14partition_implILS8_3ELb0ES6_jNS0_17counting_iteratorIjlEEPS9_SE_NS0_5tupleIJPjSE_EEENSF_IJSE_SE_EEES9_SG_JZNS1_25segmented_radix_sort_implINS0_14default_configELb0EPK12hip_bfloat16PSL_PKlPlN2at6native12_GLOBAL__N_18offset_tEEE10hipError_tPvRmT1_PNSt15iterator_traitsISZ_E10value_typeET2_T3_PNS10_IS15_E10value_typeET4_jRbjT5_S1B_jjP12ihipStream_tbEUljE_EEESW_SX_SY_S15_S19_S1B_T6_T7_T9_mT8_S1D_bDpT10_ENKUlT_T0_E_clISt17integral_constantIbLb0EES1Q_EEDaS1L_S1M_EUlS1L_E_NS1_11comp_targetILNS1_3genE5ELNS1_11target_archE942ELNS1_3gpuE9ELNS1_3repE0EEENS1_30default_config_static_selectorELNS0_4arch9wavefront6targetE1EEEvSZ_, .Lfunc_end2018-_ZN7rocprim17ROCPRIM_400000_NS6detail17trampoline_kernelINS0_13select_configILj256ELj13ELNS0_17block_load_methodE3ELS4_3ELS4_3ELNS0_20block_scan_algorithmE0ELj4294967295EEENS1_25partition_config_selectorILNS1_17partition_subalgoE3EjNS0_10empty_typeEbEEZZNS1_14partition_implILS8_3ELb0ES6_jNS0_17counting_iteratorIjlEEPS9_SE_NS0_5tupleIJPjSE_EEENSF_IJSE_SE_EEES9_SG_JZNS1_25segmented_radix_sort_implINS0_14default_configELb0EPK12hip_bfloat16PSL_PKlPlN2at6native12_GLOBAL__N_18offset_tEEE10hipError_tPvRmT1_PNSt15iterator_traitsISZ_E10value_typeET2_T3_PNS10_IS15_E10value_typeET4_jRbjT5_S1B_jjP12ihipStream_tbEUljE_EEESW_SX_SY_S15_S19_S1B_T6_T7_T9_mT8_S1D_bDpT10_ENKUlT_T0_E_clISt17integral_constantIbLb0EES1Q_EEDaS1L_S1M_EUlS1L_E_NS1_11comp_targetILNS1_3genE5ELNS1_11target_archE942ELNS1_3gpuE9ELNS1_3repE0EEENS1_30default_config_static_selectorELNS0_4arch9wavefront6targetE1EEEvSZ_
                                        ; -- End function
	.set _ZN7rocprim17ROCPRIM_400000_NS6detail17trampoline_kernelINS0_13select_configILj256ELj13ELNS0_17block_load_methodE3ELS4_3ELS4_3ELNS0_20block_scan_algorithmE0ELj4294967295EEENS1_25partition_config_selectorILNS1_17partition_subalgoE3EjNS0_10empty_typeEbEEZZNS1_14partition_implILS8_3ELb0ES6_jNS0_17counting_iteratorIjlEEPS9_SE_NS0_5tupleIJPjSE_EEENSF_IJSE_SE_EEES9_SG_JZNS1_25segmented_radix_sort_implINS0_14default_configELb0EPK12hip_bfloat16PSL_PKlPlN2at6native12_GLOBAL__N_18offset_tEEE10hipError_tPvRmT1_PNSt15iterator_traitsISZ_E10value_typeET2_T3_PNS10_IS15_E10value_typeET4_jRbjT5_S1B_jjP12ihipStream_tbEUljE_EEESW_SX_SY_S15_S19_S1B_T6_T7_T9_mT8_S1D_bDpT10_ENKUlT_T0_E_clISt17integral_constantIbLb0EES1Q_EEDaS1L_S1M_EUlS1L_E_NS1_11comp_targetILNS1_3genE5ELNS1_11target_archE942ELNS1_3gpuE9ELNS1_3repE0EEENS1_30default_config_static_selectorELNS0_4arch9wavefront6targetE1EEEvSZ_.num_vgpr, 0
	.set _ZN7rocprim17ROCPRIM_400000_NS6detail17trampoline_kernelINS0_13select_configILj256ELj13ELNS0_17block_load_methodE3ELS4_3ELS4_3ELNS0_20block_scan_algorithmE0ELj4294967295EEENS1_25partition_config_selectorILNS1_17partition_subalgoE3EjNS0_10empty_typeEbEEZZNS1_14partition_implILS8_3ELb0ES6_jNS0_17counting_iteratorIjlEEPS9_SE_NS0_5tupleIJPjSE_EEENSF_IJSE_SE_EEES9_SG_JZNS1_25segmented_radix_sort_implINS0_14default_configELb0EPK12hip_bfloat16PSL_PKlPlN2at6native12_GLOBAL__N_18offset_tEEE10hipError_tPvRmT1_PNSt15iterator_traitsISZ_E10value_typeET2_T3_PNS10_IS15_E10value_typeET4_jRbjT5_S1B_jjP12ihipStream_tbEUljE_EEESW_SX_SY_S15_S19_S1B_T6_T7_T9_mT8_S1D_bDpT10_ENKUlT_T0_E_clISt17integral_constantIbLb0EES1Q_EEDaS1L_S1M_EUlS1L_E_NS1_11comp_targetILNS1_3genE5ELNS1_11target_archE942ELNS1_3gpuE9ELNS1_3repE0EEENS1_30default_config_static_selectorELNS0_4arch9wavefront6targetE1EEEvSZ_.num_agpr, 0
	.set _ZN7rocprim17ROCPRIM_400000_NS6detail17trampoline_kernelINS0_13select_configILj256ELj13ELNS0_17block_load_methodE3ELS4_3ELS4_3ELNS0_20block_scan_algorithmE0ELj4294967295EEENS1_25partition_config_selectorILNS1_17partition_subalgoE3EjNS0_10empty_typeEbEEZZNS1_14partition_implILS8_3ELb0ES6_jNS0_17counting_iteratorIjlEEPS9_SE_NS0_5tupleIJPjSE_EEENSF_IJSE_SE_EEES9_SG_JZNS1_25segmented_radix_sort_implINS0_14default_configELb0EPK12hip_bfloat16PSL_PKlPlN2at6native12_GLOBAL__N_18offset_tEEE10hipError_tPvRmT1_PNSt15iterator_traitsISZ_E10value_typeET2_T3_PNS10_IS15_E10value_typeET4_jRbjT5_S1B_jjP12ihipStream_tbEUljE_EEESW_SX_SY_S15_S19_S1B_T6_T7_T9_mT8_S1D_bDpT10_ENKUlT_T0_E_clISt17integral_constantIbLb0EES1Q_EEDaS1L_S1M_EUlS1L_E_NS1_11comp_targetILNS1_3genE5ELNS1_11target_archE942ELNS1_3gpuE9ELNS1_3repE0EEENS1_30default_config_static_selectorELNS0_4arch9wavefront6targetE1EEEvSZ_.numbered_sgpr, 0
	.set _ZN7rocprim17ROCPRIM_400000_NS6detail17trampoline_kernelINS0_13select_configILj256ELj13ELNS0_17block_load_methodE3ELS4_3ELS4_3ELNS0_20block_scan_algorithmE0ELj4294967295EEENS1_25partition_config_selectorILNS1_17partition_subalgoE3EjNS0_10empty_typeEbEEZZNS1_14partition_implILS8_3ELb0ES6_jNS0_17counting_iteratorIjlEEPS9_SE_NS0_5tupleIJPjSE_EEENSF_IJSE_SE_EEES9_SG_JZNS1_25segmented_radix_sort_implINS0_14default_configELb0EPK12hip_bfloat16PSL_PKlPlN2at6native12_GLOBAL__N_18offset_tEEE10hipError_tPvRmT1_PNSt15iterator_traitsISZ_E10value_typeET2_T3_PNS10_IS15_E10value_typeET4_jRbjT5_S1B_jjP12ihipStream_tbEUljE_EEESW_SX_SY_S15_S19_S1B_T6_T7_T9_mT8_S1D_bDpT10_ENKUlT_T0_E_clISt17integral_constantIbLb0EES1Q_EEDaS1L_S1M_EUlS1L_E_NS1_11comp_targetILNS1_3genE5ELNS1_11target_archE942ELNS1_3gpuE9ELNS1_3repE0EEENS1_30default_config_static_selectorELNS0_4arch9wavefront6targetE1EEEvSZ_.num_named_barrier, 0
	.set _ZN7rocprim17ROCPRIM_400000_NS6detail17trampoline_kernelINS0_13select_configILj256ELj13ELNS0_17block_load_methodE3ELS4_3ELS4_3ELNS0_20block_scan_algorithmE0ELj4294967295EEENS1_25partition_config_selectorILNS1_17partition_subalgoE3EjNS0_10empty_typeEbEEZZNS1_14partition_implILS8_3ELb0ES6_jNS0_17counting_iteratorIjlEEPS9_SE_NS0_5tupleIJPjSE_EEENSF_IJSE_SE_EEES9_SG_JZNS1_25segmented_radix_sort_implINS0_14default_configELb0EPK12hip_bfloat16PSL_PKlPlN2at6native12_GLOBAL__N_18offset_tEEE10hipError_tPvRmT1_PNSt15iterator_traitsISZ_E10value_typeET2_T3_PNS10_IS15_E10value_typeET4_jRbjT5_S1B_jjP12ihipStream_tbEUljE_EEESW_SX_SY_S15_S19_S1B_T6_T7_T9_mT8_S1D_bDpT10_ENKUlT_T0_E_clISt17integral_constantIbLb0EES1Q_EEDaS1L_S1M_EUlS1L_E_NS1_11comp_targetILNS1_3genE5ELNS1_11target_archE942ELNS1_3gpuE9ELNS1_3repE0EEENS1_30default_config_static_selectorELNS0_4arch9wavefront6targetE1EEEvSZ_.private_seg_size, 0
	.set _ZN7rocprim17ROCPRIM_400000_NS6detail17trampoline_kernelINS0_13select_configILj256ELj13ELNS0_17block_load_methodE3ELS4_3ELS4_3ELNS0_20block_scan_algorithmE0ELj4294967295EEENS1_25partition_config_selectorILNS1_17partition_subalgoE3EjNS0_10empty_typeEbEEZZNS1_14partition_implILS8_3ELb0ES6_jNS0_17counting_iteratorIjlEEPS9_SE_NS0_5tupleIJPjSE_EEENSF_IJSE_SE_EEES9_SG_JZNS1_25segmented_radix_sort_implINS0_14default_configELb0EPK12hip_bfloat16PSL_PKlPlN2at6native12_GLOBAL__N_18offset_tEEE10hipError_tPvRmT1_PNSt15iterator_traitsISZ_E10value_typeET2_T3_PNS10_IS15_E10value_typeET4_jRbjT5_S1B_jjP12ihipStream_tbEUljE_EEESW_SX_SY_S15_S19_S1B_T6_T7_T9_mT8_S1D_bDpT10_ENKUlT_T0_E_clISt17integral_constantIbLb0EES1Q_EEDaS1L_S1M_EUlS1L_E_NS1_11comp_targetILNS1_3genE5ELNS1_11target_archE942ELNS1_3gpuE9ELNS1_3repE0EEENS1_30default_config_static_selectorELNS0_4arch9wavefront6targetE1EEEvSZ_.uses_vcc, 0
	.set _ZN7rocprim17ROCPRIM_400000_NS6detail17trampoline_kernelINS0_13select_configILj256ELj13ELNS0_17block_load_methodE3ELS4_3ELS4_3ELNS0_20block_scan_algorithmE0ELj4294967295EEENS1_25partition_config_selectorILNS1_17partition_subalgoE3EjNS0_10empty_typeEbEEZZNS1_14partition_implILS8_3ELb0ES6_jNS0_17counting_iteratorIjlEEPS9_SE_NS0_5tupleIJPjSE_EEENSF_IJSE_SE_EEES9_SG_JZNS1_25segmented_radix_sort_implINS0_14default_configELb0EPK12hip_bfloat16PSL_PKlPlN2at6native12_GLOBAL__N_18offset_tEEE10hipError_tPvRmT1_PNSt15iterator_traitsISZ_E10value_typeET2_T3_PNS10_IS15_E10value_typeET4_jRbjT5_S1B_jjP12ihipStream_tbEUljE_EEESW_SX_SY_S15_S19_S1B_T6_T7_T9_mT8_S1D_bDpT10_ENKUlT_T0_E_clISt17integral_constantIbLb0EES1Q_EEDaS1L_S1M_EUlS1L_E_NS1_11comp_targetILNS1_3genE5ELNS1_11target_archE942ELNS1_3gpuE9ELNS1_3repE0EEENS1_30default_config_static_selectorELNS0_4arch9wavefront6targetE1EEEvSZ_.uses_flat_scratch, 0
	.set _ZN7rocprim17ROCPRIM_400000_NS6detail17trampoline_kernelINS0_13select_configILj256ELj13ELNS0_17block_load_methodE3ELS4_3ELS4_3ELNS0_20block_scan_algorithmE0ELj4294967295EEENS1_25partition_config_selectorILNS1_17partition_subalgoE3EjNS0_10empty_typeEbEEZZNS1_14partition_implILS8_3ELb0ES6_jNS0_17counting_iteratorIjlEEPS9_SE_NS0_5tupleIJPjSE_EEENSF_IJSE_SE_EEES9_SG_JZNS1_25segmented_radix_sort_implINS0_14default_configELb0EPK12hip_bfloat16PSL_PKlPlN2at6native12_GLOBAL__N_18offset_tEEE10hipError_tPvRmT1_PNSt15iterator_traitsISZ_E10value_typeET2_T3_PNS10_IS15_E10value_typeET4_jRbjT5_S1B_jjP12ihipStream_tbEUljE_EEESW_SX_SY_S15_S19_S1B_T6_T7_T9_mT8_S1D_bDpT10_ENKUlT_T0_E_clISt17integral_constantIbLb0EES1Q_EEDaS1L_S1M_EUlS1L_E_NS1_11comp_targetILNS1_3genE5ELNS1_11target_archE942ELNS1_3gpuE9ELNS1_3repE0EEENS1_30default_config_static_selectorELNS0_4arch9wavefront6targetE1EEEvSZ_.has_dyn_sized_stack, 0
	.set _ZN7rocprim17ROCPRIM_400000_NS6detail17trampoline_kernelINS0_13select_configILj256ELj13ELNS0_17block_load_methodE3ELS4_3ELS4_3ELNS0_20block_scan_algorithmE0ELj4294967295EEENS1_25partition_config_selectorILNS1_17partition_subalgoE3EjNS0_10empty_typeEbEEZZNS1_14partition_implILS8_3ELb0ES6_jNS0_17counting_iteratorIjlEEPS9_SE_NS0_5tupleIJPjSE_EEENSF_IJSE_SE_EEES9_SG_JZNS1_25segmented_radix_sort_implINS0_14default_configELb0EPK12hip_bfloat16PSL_PKlPlN2at6native12_GLOBAL__N_18offset_tEEE10hipError_tPvRmT1_PNSt15iterator_traitsISZ_E10value_typeET2_T3_PNS10_IS15_E10value_typeET4_jRbjT5_S1B_jjP12ihipStream_tbEUljE_EEESW_SX_SY_S15_S19_S1B_T6_T7_T9_mT8_S1D_bDpT10_ENKUlT_T0_E_clISt17integral_constantIbLb0EES1Q_EEDaS1L_S1M_EUlS1L_E_NS1_11comp_targetILNS1_3genE5ELNS1_11target_archE942ELNS1_3gpuE9ELNS1_3repE0EEENS1_30default_config_static_selectorELNS0_4arch9wavefront6targetE1EEEvSZ_.has_recursion, 0
	.set _ZN7rocprim17ROCPRIM_400000_NS6detail17trampoline_kernelINS0_13select_configILj256ELj13ELNS0_17block_load_methodE3ELS4_3ELS4_3ELNS0_20block_scan_algorithmE0ELj4294967295EEENS1_25partition_config_selectorILNS1_17partition_subalgoE3EjNS0_10empty_typeEbEEZZNS1_14partition_implILS8_3ELb0ES6_jNS0_17counting_iteratorIjlEEPS9_SE_NS0_5tupleIJPjSE_EEENSF_IJSE_SE_EEES9_SG_JZNS1_25segmented_radix_sort_implINS0_14default_configELb0EPK12hip_bfloat16PSL_PKlPlN2at6native12_GLOBAL__N_18offset_tEEE10hipError_tPvRmT1_PNSt15iterator_traitsISZ_E10value_typeET2_T3_PNS10_IS15_E10value_typeET4_jRbjT5_S1B_jjP12ihipStream_tbEUljE_EEESW_SX_SY_S15_S19_S1B_T6_T7_T9_mT8_S1D_bDpT10_ENKUlT_T0_E_clISt17integral_constantIbLb0EES1Q_EEDaS1L_S1M_EUlS1L_E_NS1_11comp_targetILNS1_3genE5ELNS1_11target_archE942ELNS1_3gpuE9ELNS1_3repE0EEENS1_30default_config_static_selectorELNS0_4arch9wavefront6targetE1EEEvSZ_.has_indirect_call, 0
	.section	.AMDGPU.csdata,"",@progbits
; Kernel info:
; codeLenInByte = 0
; TotalNumSgprs: 4
; NumVgprs: 0
; ScratchSize: 0
; MemoryBound: 0
; FloatMode: 240
; IeeeMode: 1
; LDSByteSize: 0 bytes/workgroup (compile time only)
; SGPRBlocks: 0
; VGPRBlocks: 0
; NumSGPRsForWavesPerEU: 4
; NumVGPRsForWavesPerEU: 1
; Occupancy: 10
; WaveLimiterHint : 0
; COMPUTE_PGM_RSRC2:SCRATCH_EN: 0
; COMPUTE_PGM_RSRC2:USER_SGPR: 6
; COMPUTE_PGM_RSRC2:TRAP_HANDLER: 0
; COMPUTE_PGM_RSRC2:TGID_X_EN: 1
; COMPUTE_PGM_RSRC2:TGID_Y_EN: 0
; COMPUTE_PGM_RSRC2:TGID_Z_EN: 0
; COMPUTE_PGM_RSRC2:TIDIG_COMP_CNT: 0
	.section	.text._ZN7rocprim17ROCPRIM_400000_NS6detail17trampoline_kernelINS0_13select_configILj256ELj13ELNS0_17block_load_methodE3ELS4_3ELS4_3ELNS0_20block_scan_algorithmE0ELj4294967295EEENS1_25partition_config_selectorILNS1_17partition_subalgoE3EjNS0_10empty_typeEbEEZZNS1_14partition_implILS8_3ELb0ES6_jNS0_17counting_iteratorIjlEEPS9_SE_NS0_5tupleIJPjSE_EEENSF_IJSE_SE_EEES9_SG_JZNS1_25segmented_radix_sort_implINS0_14default_configELb0EPK12hip_bfloat16PSL_PKlPlN2at6native12_GLOBAL__N_18offset_tEEE10hipError_tPvRmT1_PNSt15iterator_traitsISZ_E10value_typeET2_T3_PNS10_IS15_E10value_typeET4_jRbjT5_S1B_jjP12ihipStream_tbEUljE_EEESW_SX_SY_S15_S19_S1B_T6_T7_T9_mT8_S1D_bDpT10_ENKUlT_T0_E_clISt17integral_constantIbLb0EES1Q_EEDaS1L_S1M_EUlS1L_E_NS1_11comp_targetILNS1_3genE4ELNS1_11target_archE910ELNS1_3gpuE8ELNS1_3repE0EEENS1_30default_config_static_selectorELNS0_4arch9wavefront6targetE1EEEvSZ_,"axG",@progbits,_ZN7rocprim17ROCPRIM_400000_NS6detail17trampoline_kernelINS0_13select_configILj256ELj13ELNS0_17block_load_methodE3ELS4_3ELS4_3ELNS0_20block_scan_algorithmE0ELj4294967295EEENS1_25partition_config_selectorILNS1_17partition_subalgoE3EjNS0_10empty_typeEbEEZZNS1_14partition_implILS8_3ELb0ES6_jNS0_17counting_iteratorIjlEEPS9_SE_NS0_5tupleIJPjSE_EEENSF_IJSE_SE_EEES9_SG_JZNS1_25segmented_radix_sort_implINS0_14default_configELb0EPK12hip_bfloat16PSL_PKlPlN2at6native12_GLOBAL__N_18offset_tEEE10hipError_tPvRmT1_PNSt15iterator_traitsISZ_E10value_typeET2_T3_PNS10_IS15_E10value_typeET4_jRbjT5_S1B_jjP12ihipStream_tbEUljE_EEESW_SX_SY_S15_S19_S1B_T6_T7_T9_mT8_S1D_bDpT10_ENKUlT_T0_E_clISt17integral_constantIbLb0EES1Q_EEDaS1L_S1M_EUlS1L_E_NS1_11comp_targetILNS1_3genE4ELNS1_11target_archE910ELNS1_3gpuE8ELNS1_3repE0EEENS1_30default_config_static_selectorELNS0_4arch9wavefront6targetE1EEEvSZ_,comdat
	.globl	_ZN7rocprim17ROCPRIM_400000_NS6detail17trampoline_kernelINS0_13select_configILj256ELj13ELNS0_17block_load_methodE3ELS4_3ELS4_3ELNS0_20block_scan_algorithmE0ELj4294967295EEENS1_25partition_config_selectorILNS1_17partition_subalgoE3EjNS0_10empty_typeEbEEZZNS1_14partition_implILS8_3ELb0ES6_jNS0_17counting_iteratorIjlEEPS9_SE_NS0_5tupleIJPjSE_EEENSF_IJSE_SE_EEES9_SG_JZNS1_25segmented_radix_sort_implINS0_14default_configELb0EPK12hip_bfloat16PSL_PKlPlN2at6native12_GLOBAL__N_18offset_tEEE10hipError_tPvRmT1_PNSt15iterator_traitsISZ_E10value_typeET2_T3_PNS10_IS15_E10value_typeET4_jRbjT5_S1B_jjP12ihipStream_tbEUljE_EEESW_SX_SY_S15_S19_S1B_T6_T7_T9_mT8_S1D_bDpT10_ENKUlT_T0_E_clISt17integral_constantIbLb0EES1Q_EEDaS1L_S1M_EUlS1L_E_NS1_11comp_targetILNS1_3genE4ELNS1_11target_archE910ELNS1_3gpuE8ELNS1_3repE0EEENS1_30default_config_static_selectorELNS0_4arch9wavefront6targetE1EEEvSZ_ ; -- Begin function _ZN7rocprim17ROCPRIM_400000_NS6detail17trampoline_kernelINS0_13select_configILj256ELj13ELNS0_17block_load_methodE3ELS4_3ELS4_3ELNS0_20block_scan_algorithmE0ELj4294967295EEENS1_25partition_config_selectorILNS1_17partition_subalgoE3EjNS0_10empty_typeEbEEZZNS1_14partition_implILS8_3ELb0ES6_jNS0_17counting_iteratorIjlEEPS9_SE_NS0_5tupleIJPjSE_EEENSF_IJSE_SE_EEES9_SG_JZNS1_25segmented_radix_sort_implINS0_14default_configELb0EPK12hip_bfloat16PSL_PKlPlN2at6native12_GLOBAL__N_18offset_tEEE10hipError_tPvRmT1_PNSt15iterator_traitsISZ_E10value_typeET2_T3_PNS10_IS15_E10value_typeET4_jRbjT5_S1B_jjP12ihipStream_tbEUljE_EEESW_SX_SY_S15_S19_S1B_T6_T7_T9_mT8_S1D_bDpT10_ENKUlT_T0_E_clISt17integral_constantIbLb0EES1Q_EEDaS1L_S1M_EUlS1L_E_NS1_11comp_targetILNS1_3genE4ELNS1_11target_archE910ELNS1_3gpuE8ELNS1_3repE0EEENS1_30default_config_static_selectorELNS0_4arch9wavefront6targetE1EEEvSZ_
	.p2align	8
	.type	_ZN7rocprim17ROCPRIM_400000_NS6detail17trampoline_kernelINS0_13select_configILj256ELj13ELNS0_17block_load_methodE3ELS4_3ELS4_3ELNS0_20block_scan_algorithmE0ELj4294967295EEENS1_25partition_config_selectorILNS1_17partition_subalgoE3EjNS0_10empty_typeEbEEZZNS1_14partition_implILS8_3ELb0ES6_jNS0_17counting_iteratorIjlEEPS9_SE_NS0_5tupleIJPjSE_EEENSF_IJSE_SE_EEES9_SG_JZNS1_25segmented_radix_sort_implINS0_14default_configELb0EPK12hip_bfloat16PSL_PKlPlN2at6native12_GLOBAL__N_18offset_tEEE10hipError_tPvRmT1_PNSt15iterator_traitsISZ_E10value_typeET2_T3_PNS10_IS15_E10value_typeET4_jRbjT5_S1B_jjP12ihipStream_tbEUljE_EEESW_SX_SY_S15_S19_S1B_T6_T7_T9_mT8_S1D_bDpT10_ENKUlT_T0_E_clISt17integral_constantIbLb0EES1Q_EEDaS1L_S1M_EUlS1L_E_NS1_11comp_targetILNS1_3genE4ELNS1_11target_archE910ELNS1_3gpuE8ELNS1_3repE0EEENS1_30default_config_static_selectorELNS0_4arch9wavefront6targetE1EEEvSZ_,@function
_ZN7rocprim17ROCPRIM_400000_NS6detail17trampoline_kernelINS0_13select_configILj256ELj13ELNS0_17block_load_methodE3ELS4_3ELS4_3ELNS0_20block_scan_algorithmE0ELj4294967295EEENS1_25partition_config_selectorILNS1_17partition_subalgoE3EjNS0_10empty_typeEbEEZZNS1_14partition_implILS8_3ELb0ES6_jNS0_17counting_iteratorIjlEEPS9_SE_NS0_5tupleIJPjSE_EEENSF_IJSE_SE_EEES9_SG_JZNS1_25segmented_radix_sort_implINS0_14default_configELb0EPK12hip_bfloat16PSL_PKlPlN2at6native12_GLOBAL__N_18offset_tEEE10hipError_tPvRmT1_PNSt15iterator_traitsISZ_E10value_typeET2_T3_PNS10_IS15_E10value_typeET4_jRbjT5_S1B_jjP12ihipStream_tbEUljE_EEESW_SX_SY_S15_S19_S1B_T6_T7_T9_mT8_S1D_bDpT10_ENKUlT_T0_E_clISt17integral_constantIbLb0EES1Q_EEDaS1L_S1M_EUlS1L_E_NS1_11comp_targetILNS1_3genE4ELNS1_11target_archE910ELNS1_3gpuE8ELNS1_3repE0EEENS1_30default_config_static_selectorELNS0_4arch9wavefront6targetE1EEEvSZ_: ; @_ZN7rocprim17ROCPRIM_400000_NS6detail17trampoline_kernelINS0_13select_configILj256ELj13ELNS0_17block_load_methodE3ELS4_3ELS4_3ELNS0_20block_scan_algorithmE0ELj4294967295EEENS1_25partition_config_selectorILNS1_17partition_subalgoE3EjNS0_10empty_typeEbEEZZNS1_14partition_implILS8_3ELb0ES6_jNS0_17counting_iteratorIjlEEPS9_SE_NS0_5tupleIJPjSE_EEENSF_IJSE_SE_EEES9_SG_JZNS1_25segmented_radix_sort_implINS0_14default_configELb0EPK12hip_bfloat16PSL_PKlPlN2at6native12_GLOBAL__N_18offset_tEEE10hipError_tPvRmT1_PNSt15iterator_traitsISZ_E10value_typeET2_T3_PNS10_IS15_E10value_typeET4_jRbjT5_S1B_jjP12ihipStream_tbEUljE_EEESW_SX_SY_S15_S19_S1B_T6_T7_T9_mT8_S1D_bDpT10_ENKUlT_T0_E_clISt17integral_constantIbLb0EES1Q_EEDaS1L_S1M_EUlS1L_E_NS1_11comp_targetILNS1_3genE4ELNS1_11target_archE910ELNS1_3gpuE8ELNS1_3repE0EEENS1_30default_config_static_selectorELNS0_4arch9wavefront6targetE1EEEvSZ_
; %bb.0:
	.section	.rodata,"a",@progbits
	.p2align	6, 0x0
	.amdhsa_kernel _ZN7rocprim17ROCPRIM_400000_NS6detail17trampoline_kernelINS0_13select_configILj256ELj13ELNS0_17block_load_methodE3ELS4_3ELS4_3ELNS0_20block_scan_algorithmE0ELj4294967295EEENS1_25partition_config_selectorILNS1_17partition_subalgoE3EjNS0_10empty_typeEbEEZZNS1_14partition_implILS8_3ELb0ES6_jNS0_17counting_iteratorIjlEEPS9_SE_NS0_5tupleIJPjSE_EEENSF_IJSE_SE_EEES9_SG_JZNS1_25segmented_radix_sort_implINS0_14default_configELb0EPK12hip_bfloat16PSL_PKlPlN2at6native12_GLOBAL__N_18offset_tEEE10hipError_tPvRmT1_PNSt15iterator_traitsISZ_E10value_typeET2_T3_PNS10_IS15_E10value_typeET4_jRbjT5_S1B_jjP12ihipStream_tbEUljE_EEESW_SX_SY_S15_S19_S1B_T6_T7_T9_mT8_S1D_bDpT10_ENKUlT_T0_E_clISt17integral_constantIbLb0EES1Q_EEDaS1L_S1M_EUlS1L_E_NS1_11comp_targetILNS1_3genE4ELNS1_11target_archE910ELNS1_3gpuE8ELNS1_3repE0EEENS1_30default_config_static_selectorELNS0_4arch9wavefront6targetE1EEEvSZ_
		.amdhsa_group_segment_fixed_size 0
		.amdhsa_private_segment_fixed_size 0
		.amdhsa_kernarg_size 144
		.amdhsa_user_sgpr_count 6
		.amdhsa_user_sgpr_private_segment_buffer 1
		.amdhsa_user_sgpr_dispatch_ptr 0
		.amdhsa_user_sgpr_queue_ptr 0
		.amdhsa_user_sgpr_kernarg_segment_ptr 1
		.amdhsa_user_sgpr_dispatch_id 0
		.amdhsa_user_sgpr_flat_scratch_init 0
		.amdhsa_user_sgpr_private_segment_size 0
		.amdhsa_uses_dynamic_stack 0
		.amdhsa_system_sgpr_private_segment_wavefront_offset 0
		.amdhsa_system_sgpr_workgroup_id_x 1
		.amdhsa_system_sgpr_workgroup_id_y 0
		.amdhsa_system_sgpr_workgroup_id_z 0
		.amdhsa_system_sgpr_workgroup_info 0
		.amdhsa_system_vgpr_workitem_id 0
		.amdhsa_next_free_vgpr 1
		.amdhsa_next_free_sgpr 0
		.amdhsa_reserve_vcc 0
		.amdhsa_reserve_flat_scratch 0
		.amdhsa_float_round_mode_32 0
		.amdhsa_float_round_mode_16_64 0
		.amdhsa_float_denorm_mode_32 3
		.amdhsa_float_denorm_mode_16_64 3
		.amdhsa_dx10_clamp 1
		.amdhsa_ieee_mode 1
		.amdhsa_fp16_overflow 0
		.amdhsa_exception_fp_ieee_invalid_op 0
		.amdhsa_exception_fp_denorm_src 0
		.amdhsa_exception_fp_ieee_div_zero 0
		.amdhsa_exception_fp_ieee_overflow 0
		.amdhsa_exception_fp_ieee_underflow 0
		.amdhsa_exception_fp_ieee_inexact 0
		.amdhsa_exception_int_div_zero 0
	.end_amdhsa_kernel
	.section	.text._ZN7rocprim17ROCPRIM_400000_NS6detail17trampoline_kernelINS0_13select_configILj256ELj13ELNS0_17block_load_methodE3ELS4_3ELS4_3ELNS0_20block_scan_algorithmE0ELj4294967295EEENS1_25partition_config_selectorILNS1_17partition_subalgoE3EjNS0_10empty_typeEbEEZZNS1_14partition_implILS8_3ELb0ES6_jNS0_17counting_iteratorIjlEEPS9_SE_NS0_5tupleIJPjSE_EEENSF_IJSE_SE_EEES9_SG_JZNS1_25segmented_radix_sort_implINS0_14default_configELb0EPK12hip_bfloat16PSL_PKlPlN2at6native12_GLOBAL__N_18offset_tEEE10hipError_tPvRmT1_PNSt15iterator_traitsISZ_E10value_typeET2_T3_PNS10_IS15_E10value_typeET4_jRbjT5_S1B_jjP12ihipStream_tbEUljE_EEESW_SX_SY_S15_S19_S1B_T6_T7_T9_mT8_S1D_bDpT10_ENKUlT_T0_E_clISt17integral_constantIbLb0EES1Q_EEDaS1L_S1M_EUlS1L_E_NS1_11comp_targetILNS1_3genE4ELNS1_11target_archE910ELNS1_3gpuE8ELNS1_3repE0EEENS1_30default_config_static_selectorELNS0_4arch9wavefront6targetE1EEEvSZ_,"axG",@progbits,_ZN7rocprim17ROCPRIM_400000_NS6detail17trampoline_kernelINS0_13select_configILj256ELj13ELNS0_17block_load_methodE3ELS4_3ELS4_3ELNS0_20block_scan_algorithmE0ELj4294967295EEENS1_25partition_config_selectorILNS1_17partition_subalgoE3EjNS0_10empty_typeEbEEZZNS1_14partition_implILS8_3ELb0ES6_jNS0_17counting_iteratorIjlEEPS9_SE_NS0_5tupleIJPjSE_EEENSF_IJSE_SE_EEES9_SG_JZNS1_25segmented_radix_sort_implINS0_14default_configELb0EPK12hip_bfloat16PSL_PKlPlN2at6native12_GLOBAL__N_18offset_tEEE10hipError_tPvRmT1_PNSt15iterator_traitsISZ_E10value_typeET2_T3_PNS10_IS15_E10value_typeET4_jRbjT5_S1B_jjP12ihipStream_tbEUljE_EEESW_SX_SY_S15_S19_S1B_T6_T7_T9_mT8_S1D_bDpT10_ENKUlT_T0_E_clISt17integral_constantIbLb0EES1Q_EEDaS1L_S1M_EUlS1L_E_NS1_11comp_targetILNS1_3genE4ELNS1_11target_archE910ELNS1_3gpuE8ELNS1_3repE0EEENS1_30default_config_static_selectorELNS0_4arch9wavefront6targetE1EEEvSZ_,comdat
.Lfunc_end2019:
	.size	_ZN7rocprim17ROCPRIM_400000_NS6detail17trampoline_kernelINS0_13select_configILj256ELj13ELNS0_17block_load_methodE3ELS4_3ELS4_3ELNS0_20block_scan_algorithmE0ELj4294967295EEENS1_25partition_config_selectorILNS1_17partition_subalgoE3EjNS0_10empty_typeEbEEZZNS1_14partition_implILS8_3ELb0ES6_jNS0_17counting_iteratorIjlEEPS9_SE_NS0_5tupleIJPjSE_EEENSF_IJSE_SE_EEES9_SG_JZNS1_25segmented_radix_sort_implINS0_14default_configELb0EPK12hip_bfloat16PSL_PKlPlN2at6native12_GLOBAL__N_18offset_tEEE10hipError_tPvRmT1_PNSt15iterator_traitsISZ_E10value_typeET2_T3_PNS10_IS15_E10value_typeET4_jRbjT5_S1B_jjP12ihipStream_tbEUljE_EEESW_SX_SY_S15_S19_S1B_T6_T7_T9_mT8_S1D_bDpT10_ENKUlT_T0_E_clISt17integral_constantIbLb0EES1Q_EEDaS1L_S1M_EUlS1L_E_NS1_11comp_targetILNS1_3genE4ELNS1_11target_archE910ELNS1_3gpuE8ELNS1_3repE0EEENS1_30default_config_static_selectorELNS0_4arch9wavefront6targetE1EEEvSZ_, .Lfunc_end2019-_ZN7rocprim17ROCPRIM_400000_NS6detail17trampoline_kernelINS0_13select_configILj256ELj13ELNS0_17block_load_methodE3ELS4_3ELS4_3ELNS0_20block_scan_algorithmE0ELj4294967295EEENS1_25partition_config_selectorILNS1_17partition_subalgoE3EjNS0_10empty_typeEbEEZZNS1_14partition_implILS8_3ELb0ES6_jNS0_17counting_iteratorIjlEEPS9_SE_NS0_5tupleIJPjSE_EEENSF_IJSE_SE_EEES9_SG_JZNS1_25segmented_radix_sort_implINS0_14default_configELb0EPK12hip_bfloat16PSL_PKlPlN2at6native12_GLOBAL__N_18offset_tEEE10hipError_tPvRmT1_PNSt15iterator_traitsISZ_E10value_typeET2_T3_PNS10_IS15_E10value_typeET4_jRbjT5_S1B_jjP12ihipStream_tbEUljE_EEESW_SX_SY_S15_S19_S1B_T6_T7_T9_mT8_S1D_bDpT10_ENKUlT_T0_E_clISt17integral_constantIbLb0EES1Q_EEDaS1L_S1M_EUlS1L_E_NS1_11comp_targetILNS1_3genE4ELNS1_11target_archE910ELNS1_3gpuE8ELNS1_3repE0EEENS1_30default_config_static_selectorELNS0_4arch9wavefront6targetE1EEEvSZ_
                                        ; -- End function
	.set _ZN7rocprim17ROCPRIM_400000_NS6detail17trampoline_kernelINS0_13select_configILj256ELj13ELNS0_17block_load_methodE3ELS4_3ELS4_3ELNS0_20block_scan_algorithmE0ELj4294967295EEENS1_25partition_config_selectorILNS1_17partition_subalgoE3EjNS0_10empty_typeEbEEZZNS1_14partition_implILS8_3ELb0ES6_jNS0_17counting_iteratorIjlEEPS9_SE_NS0_5tupleIJPjSE_EEENSF_IJSE_SE_EEES9_SG_JZNS1_25segmented_radix_sort_implINS0_14default_configELb0EPK12hip_bfloat16PSL_PKlPlN2at6native12_GLOBAL__N_18offset_tEEE10hipError_tPvRmT1_PNSt15iterator_traitsISZ_E10value_typeET2_T3_PNS10_IS15_E10value_typeET4_jRbjT5_S1B_jjP12ihipStream_tbEUljE_EEESW_SX_SY_S15_S19_S1B_T6_T7_T9_mT8_S1D_bDpT10_ENKUlT_T0_E_clISt17integral_constantIbLb0EES1Q_EEDaS1L_S1M_EUlS1L_E_NS1_11comp_targetILNS1_3genE4ELNS1_11target_archE910ELNS1_3gpuE8ELNS1_3repE0EEENS1_30default_config_static_selectorELNS0_4arch9wavefront6targetE1EEEvSZ_.num_vgpr, 0
	.set _ZN7rocprim17ROCPRIM_400000_NS6detail17trampoline_kernelINS0_13select_configILj256ELj13ELNS0_17block_load_methodE3ELS4_3ELS4_3ELNS0_20block_scan_algorithmE0ELj4294967295EEENS1_25partition_config_selectorILNS1_17partition_subalgoE3EjNS0_10empty_typeEbEEZZNS1_14partition_implILS8_3ELb0ES6_jNS0_17counting_iteratorIjlEEPS9_SE_NS0_5tupleIJPjSE_EEENSF_IJSE_SE_EEES9_SG_JZNS1_25segmented_radix_sort_implINS0_14default_configELb0EPK12hip_bfloat16PSL_PKlPlN2at6native12_GLOBAL__N_18offset_tEEE10hipError_tPvRmT1_PNSt15iterator_traitsISZ_E10value_typeET2_T3_PNS10_IS15_E10value_typeET4_jRbjT5_S1B_jjP12ihipStream_tbEUljE_EEESW_SX_SY_S15_S19_S1B_T6_T7_T9_mT8_S1D_bDpT10_ENKUlT_T0_E_clISt17integral_constantIbLb0EES1Q_EEDaS1L_S1M_EUlS1L_E_NS1_11comp_targetILNS1_3genE4ELNS1_11target_archE910ELNS1_3gpuE8ELNS1_3repE0EEENS1_30default_config_static_selectorELNS0_4arch9wavefront6targetE1EEEvSZ_.num_agpr, 0
	.set _ZN7rocprim17ROCPRIM_400000_NS6detail17trampoline_kernelINS0_13select_configILj256ELj13ELNS0_17block_load_methodE3ELS4_3ELS4_3ELNS0_20block_scan_algorithmE0ELj4294967295EEENS1_25partition_config_selectorILNS1_17partition_subalgoE3EjNS0_10empty_typeEbEEZZNS1_14partition_implILS8_3ELb0ES6_jNS0_17counting_iteratorIjlEEPS9_SE_NS0_5tupleIJPjSE_EEENSF_IJSE_SE_EEES9_SG_JZNS1_25segmented_radix_sort_implINS0_14default_configELb0EPK12hip_bfloat16PSL_PKlPlN2at6native12_GLOBAL__N_18offset_tEEE10hipError_tPvRmT1_PNSt15iterator_traitsISZ_E10value_typeET2_T3_PNS10_IS15_E10value_typeET4_jRbjT5_S1B_jjP12ihipStream_tbEUljE_EEESW_SX_SY_S15_S19_S1B_T6_T7_T9_mT8_S1D_bDpT10_ENKUlT_T0_E_clISt17integral_constantIbLb0EES1Q_EEDaS1L_S1M_EUlS1L_E_NS1_11comp_targetILNS1_3genE4ELNS1_11target_archE910ELNS1_3gpuE8ELNS1_3repE0EEENS1_30default_config_static_selectorELNS0_4arch9wavefront6targetE1EEEvSZ_.numbered_sgpr, 0
	.set _ZN7rocprim17ROCPRIM_400000_NS6detail17trampoline_kernelINS0_13select_configILj256ELj13ELNS0_17block_load_methodE3ELS4_3ELS4_3ELNS0_20block_scan_algorithmE0ELj4294967295EEENS1_25partition_config_selectorILNS1_17partition_subalgoE3EjNS0_10empty_typeEbEEZZNS1_14partition_implILS8_3ELb0ES6_jNS0_17counting_iteratorIjlEEPS9_SE_NS0_5tupleIJPjSE_EEENSF_IJSE_SE_EEES9_SG_JZNS1_25segmented_radix_sort_implINS0_14default_configELb0EPK12hip_bfloat16PSL_PKlPlN2at6native12_GLOBAL__N_18offset_tEEE10hipError_tPvRmT1_PNSt15iterator_traitsISZ_E10value_typeET2_T3_PNS10_IS15_E10value_typeET4_jRbjT5_S1B_jjP12ihipStream_tbEUljE_EEESW_SX_SY_S15_S19_S1B_T6_T7_T9_mT8_S1D_bDpT10_ENKUlT_T0_E_clISt17integral_constantIbLb0EES1Q_EEDaS1L_S1M_EUlS1L_E_NS1_11comp_targetILNS1_3genE4ELNS1_11target_archE910ELNS1_3gpuE8ELNS1_3repE0EEENS1_30default_config_static_selectorELNS0_4arch9wavefront6targetE1EEEvSZ_.num_named_barrier, 0
	.set _ZN7rocprim17ROCPRIM_400000_NS6detail17trampoline_kernelINS0_13select_configILj256ELj13ELNS0_17block_load_methodE3ELS4_3ELS4_3ELNS0_20block_scan_algorithmE0ELj4294967295EEENS1_25partition_config_selectorILNS1_17partition_subalgoE3EjNS0_10empty_typeEbEEZZNS1_14partition_implILS8_3ELb0ES6_jNS0_17counting_iteratorIjlEEPS9_SE_NS0_5tupleIJPjSE_EEENSF_IJSE_SE_EEES9_SG_JZNS1_25segmented_radix_sort_implINS0_14default_configELb0EPK12hip_bfloat16PSL_PKlPlN2at6native12_GLOBAL__N_18offset_tEEE10hipError_tPvRmT1_PNSt15iterator_traitsISZ_E10value_typeET2_T3_PNS10_IS15_E10value_typeET4_jRbjT5_S1B_jjP12ihipStream_tbEUljE_EEESW_SX_SY_S15_S19_S1B_T6_T7_T9_mT8_S1D_bDpT10_ENKUlT_T0_E_clISt17integral_constantIbLb0EES1Q_EEDaS1L_S1M_EUlS1L_E_NS1_11comp_targetILNS1_3genE4ELNS1_11target_archE910ELNS1_3gpuE8ELNS1_3repE0EEENS1_30default_config_static_selectorELNS0_4arch9wavefront6targetE1EEEvSZ_.private_seg_size, 0
	.set _ZN7rocprim17ROCPRIM_400000_NS6detail17trampoline_kernelINS0_13select_configILj256ELj13ELNS0_17block_load_methodE3ELS4_3ELS4_3ELNS0_20block_scan_algorithmE0ELj4294967295EEENS1_25partition_config_selectorILNS1_17partition_subalgoE3EjNS0_10empty_typeEbEEZZNS1_14partition_implILS8_3ELb0ES6_jNS0_17counting_iteratorIjlEEPS9_SE_NS0_5tupleIJPjSE_EEENSF_IJSE_SE_EEES9_SG_JZNS1_25segmented_radix_sort_implINS0_14default_configELb0EPK12hip_bfloat16PSL_PKlPlN2at6native12_GLOBAL__N_18offset_tEEE10hipError_tPvRmT1_PNSt15iterator_traitsISZ_E10value_typeET2_T3_PNS10_IS15_E10value_typeET4_jRbjT5_S1B_jjP12ihipStream_tbEUljE_EEESW_SX_SY_S15_S19_S1B_T6_T7_T9_mT8_S1D_bDpT10_ENKUlT_T0_E_clISt17integral_constantIbLb0EES1Q_EEDaS1L_S1M_EUlS1L_E_NS1_11comp_targetILNS1_3genE4ELNS1_11target_archE910ELNS1_3gpuE8ELNS1_3repE0EEENS1_30default_config_static_selectorELNS0_4arch9wavefront6targetE1EEEvSZ_.uses_vcc, 0
	.set _ZN7rocprim17ROCPRIM_400000_NS6detail17trampoline_kernelINS0_13select_configILj256ELj13ELNS0_17block_load_methodE3ELS4_3ELS4_3ELNS0_20block_scan_algorithmE0ELj4294967295EEENS1_25partition_config_selectorILNS1_17partition_subalgoE3EjNS0_10empty_typeEbEEZZNS1_14partition_implILS8_3ELb0ES6_jNS0_17counting_iteratorIjlEEPS9_SE_NS0_5tupleIJPjSE_EEENSF_IJSE_SE_EEES9_SG_JZNS1_25segmented_radix_sort_implINS0_14default_configELb0EPK12hip_bfloat16PSL_PKlPlN2at6native12_GLOBAL__N_18offset_tEEE10hipError_tPvRmT1_PNSt15iterator_traitsISZ_E10value_typeET2_T3_PNS10_IS15_E10value_typeET4_jRbjT5_S1B_jjP12ihipStream_tbEUljE_EEESW_SX_SY_S15_S19_S1B_T6_T7_T9_mT8_S1D_bDpT10_ENKUlT_T0_E_clISt17integral_constantIbLb0EES1Q_EEDaS1L_S1M_EUlS1L_E_NS1_11comp_targetILNS1_3genE4ELNS1_11target_archE910ELNS1_3gpuE8ELNS1_3repE0EEENS1_30default_config_static_selectorELNS0_4arch9wavefront6targetE1EEEvSZ_.uses_flat_scratch, 0
	.set _ZN7rocprim17ROCPRIM_400000_NS6detail17trampoline_kernelINS0_13select_configILj256ELj13ELNS0_17block_load_methodE3ELS4_3ELS4_3ELNS0_20block_scan_algorithmE0ELj4294967295EEENS1_25partition_config_selectorILNS1_17partition_subalgoE3EjNS0_10empty_typeEbEEZZNS1_14partition_implILS8_3ELb0ES6_jNS0_17counting_iteratorIjlEEPS9_SE_NS0_5tupleIJPjSE_EEENSF_IJSE_SE_EEES9_SG_JZNS1_25segmented_radix_sort_implINS0_14default_configELb0EPK12hip_bfloat16PSL_PKlPlN2at6native12_GLOBAL__N_18offset_tEEE10hipError_tPvRmT1_PNSt15iterator_traitsISZ_E10value_typeET2_T3_PNS10_IS15_E10value_typeET4_jRbjT5_S1B_jjP12ihipStream_tbEUljE_EEESW_SX_SY_S15_S19_S1B_T6_T7_T9_mT8_S1D_bDpT10_ENKUlT_T0_E_clISt17integral_constantIbLb0EES1Q_EEDaS1L_S1M_EUlS1L_E_NS1_11comp_targetILNS1_3genE4ELNS1_11target_archE910ELNS1_3gpuE8ELNS1_3repE0EEENS1_30default_config_static_selectorELNS0_4arch9wavefront6targetE1EEEvSZ_.has_dyn_sized_stack, 0
	.set _ZN7rocprim17ROCPRIM_400000_NS6detail17trampoline_kernelINS0_13select_configILj256ELj13ELNS0_17block_load_methodE3ELS4_3ELS4_3ELNS0_20block_scan_algorithmE0ELj4294967295EEENS1_25partition_config_selectorILNS1_17partition_subalgoE3EjNS0_10empty_typeEbEEZZNS1_14partition_implILS8_3ELb0ES6_jNS0_17counting_iteratorIjlEEPS9_SE_NS0_5tupleIJPjSE_EEENSF_IJSE_SE_EEES9_SG_JZNS1_25segmented_radix_sort_implINS0_14default_configELb0EPK12hip_bfloat16PSL_PKlPlN2at6native12_GLOBAL__N_18offset_tEEE10hipError_tPvRmT1_PNSt15iterator_traitsISZ_E10value_typeET2_T3_PNS10_IS15_E10value_typeET4_jRbjT5_S1B_jjP12ihipStream_tbEUljE_EEESW_SX_SY_S15_S19_S1B_T6_T7_T9_mT8_S1D_bDpT10_ENKUlT_T0_E_clISt17integral_constantIbLb0EES1Q_EEDaS1L_S1M_EUlS1L_E_NS1_11comp_targetILNS1_3genE4ELNS1_11target_archE910ELNS1_3gpuE8ELNS1_3repE0EEENS1_30default_config_static_selectorELNS0_4arch9wavefront6targetE1EEEvSZ_.has_recursion, 0
	.set _ZN7rocprim17ROCPRIM_400000_NS6detail17trampoline_kernelINS0_13select_configILj256ELj13ELNS0_17block_load_methodE3ELS4_3ELS4_3ELNS0_20block_scan_algorithmE0ELj4294967295EEENS1_25partition_config_selectorILNS1_17partition_subalgoE3EjNS0_10empty_typeEbEEZZNS1_14partition_implILS8_3ELb0ES6_jNS0_17counting_iteratorIjlEEPS9_SE_NS0_5tupleIJPjSE_EEENSF_IJSE_SE_EEES9_SG_JZNS1_25segmented_radix_sort_implINS0_14default_configELb0EPK12hip_bfloat16PSL_PKlPlN2at6native12_GLOBAL__N_18offset_tEEE10hipError_tPvRmT1_PNSt15iterator_traitsISZ_E10value_typeET2_T3_PNS10_IS15_E10value_typeET4_jRbjT5_S1B_jjP12ihipStream_tbEUljE_EEESW_SX_SY_S15_S19_S1B_T6_T7_T9_mT8_S1D_bDpT10_ENKUlT_T0_E_clISt17integral_constantIbLb0EES1Q_EEDaS1L_S1M_EUlS1L_E_NS1_11comp_targetILNS1_3genE4ELNS1_11target_archE910ELNS1_3gpuE8ELNS1_3repE0EEENS1_30default_config_static_selectorELNS0_4arch9wavefront6targetE1EEEvSZ_.has_indirect_call, 0
	.section	.AMDGPU.csdata,"",@progbits
; Kernel info:
; codeLenInByte = 0
; TotalNumSgprs: 4
; NumVgprs: 0
; ScratchSize: 0
; MemoryBound: 0
; FloatMode: 240
; IeeeMode: 1
; LDSByteSize: 0 bytes/workgroup (compile time only)
; SGPRBlocks: 0
; VGPRBlocks: 0
; NumSGPRsForWavesPerEU: 4
; NumVGPRsForWavesPerEU: 1
; Occupancy: 10
; WaveLimiterHint : 0
; COMPUTE_PGM_RSRC2:SCRATCH_EN: 0
; COMPUTE_PGM_RSRC2:USER_SGPR: 6
; COMPUTE_PGM_RSRC2:TRAP_HANDLER: 0
; COMPUTE_PGM_RSRC2:TGID_X_EN: 1
; COMPUTE_PGM_RSRC2:TGID_Y_EN: 0
; COMPUTE_PGM_RSRC2:TGID_Z_EN: 0
; COMPUTE_PGM_RSRC2:TIDIG_COMP_CNT: 0
	.section	.text._ZN7rocprim17ROCPRIM_400000_NS6detail17trampoline_kernelINS0_13select_configILj256ELj13ELNS0_17block_load_methodE3ELS4_3ELS4_3ELNS0_20block_scan_algorithmE0ELj4294967295EEENS1_25partition_config_selectorILNS1_17partition_subalgoE3EjNS0_10empty_typeEbEEZZNS1_14partition_implILS8_3ELb0ES6_jNS0_17counting_iteratorIjlEEPS9_SE_NS0_5tupleIJPjSE_EEENSF_IJSE_SE_EEES9_SG_JZNS1_25segmented_radix_sort_implINS0_14default_configELb0EPK12hip_bfloat16PSL_PKlPlN2at6native12_GLOBAL__N_18offset_tEEE10hipError_tPvRmT1_PNSt15iterator_traitsISZ_E10value_typeET2_T3_PNS10_IS15_E10value_typeET4_jRbjT5_S1B_jjP12ihipStream_tbEUljE_EEESW_SX_SY_S15_S19_S1B_T6_T7_T9_mT8_S1D_bDpT10_ENKUlT_T0_E_clISt17integral_constantIbLb0EES1Q_EEDaS1L_S1M_EUlS1L_E_NS1_11comp_targetILNS1_3genE3ELNS1_11target_archE908ELNS1_3gpuE7ELNS1_3repE0EEENS1_30default_config_static_selectorELNS0_4arch9wavefront6targetE1EEEvSZ_,"axG",@progbits,_ZN7rocprim17ROCPRIM_400000_NS6detail17trampoline_kernelINS0_13select_configILj256ELj13ELNS0_17block_load_methodE3ELS4_3ELS4_3ELNS0_20block_scan_algorithmE0ELj4294967295EEENS1_25partition_config_selectorILNS1_17partition_subalgoE3EjNS0_10empty_typeEbEEZZNS1_14partition_implILS8_3ELb0ES6_jNS0_17counting_iteratorIjlEEPS9_SE_NS0_5tupleIJPjSE_EEENSF_IJSE_SE_EEES9_SG_JZNS1_25segmented_radix_sort_implINS0_14default_configELb0EPK12hip_bfloat16PSL_PKlPlN2at6native12_GLOBAL__N_18offset_tEEE10hipError_tPvRmT1_PNSt15iterator_traitsISZ_E10value_typeET2_T3_PNS10_IS15_E10value_typeET4_jRbjT5_S1B_jjP12ihipStream_tbEUljE_EEESW_SX_SY_S15_S19_S1B_T6_T7_T9_mT8_S1D_bDpT10_ENKUlT_T0_E_clISt17integral_constantIbLb0EES1Q_EEDaS1L_S1M_EUlS1L_E_NS1_11comp_targetILNS1_3genE3ELNS1_11target_archE908ELNS1_3gpuE7ELNS1_3repE0EEENS1_30default_config_static_selectorELNS0_4arch9wavefront6targetE1EEEvSZ_,comdat
	.globl	_ZN7rocprim17ROCPRIM_400000_NS6detail17trampoline_kernelINS0_13select_configILj256ELj13ELNS0_17block_load_methodE3ELS4_3ELS4_3ELNS0_20block_scan_algorithmE0ELj4294967295EEENS1_25partition_config_selectorILNS1_17partition_subalgoE3EjNS0_10empty_typeEbEEZZNS1_14partition_implILS8_3ELb0ES6_jNS0_17counting_iteratorIjlEEPS9_SE_NS0_5tupleIJPjSE_EEENSF_IJSE_SE_EEES9_SG_JZNS1_25segmented_radix_sort_implINS0_14default_configELb0EPK12hip_bfloat16PSL_PKlPlN2at6native12_GLOBAL__N_18offset_tEEE10hipError_tPvRmT1_PNSt15iterator_traitsISZ_E10value_typeET2_T3_PNS10_IS15_E10value_typeET4_jRbjT5_S1B_jjP12ihipStream_tbEUljE_EEESW_SX_SY_S15_S19_S1B_T6_T7_T9_mT8_S1D_bDpT10_ENKUlT_T0_E_clISt17integral_constantIbLb0EES1Q_EEDaS1L_S1M_EUlS1L_E_NS1_11comp_targetILNS1_3genE3ELNS1_11target_archE908ELNS1_3gpuE7ELNS1_3repE0EEENS1_30default_config_static_selectorELNS0_4arch9wavefront6targetE1EEEvSZ_ ; -- Begin function _ZN7rocprim17ROCPRIM_400000_NS6detail17trampoline_kernelINS0_13select_configILj256ELj13ELNS0_17block_load_methodE3ELS4_3ELS4_3ELNS0_20block_scan_algorithmE0ELj4294967295EEENS1_25partition_config_selectorILNS1_17partition_subalgoE3EjNS0_10empty_typeEbEEZZNS1_14partition_implILS8_3ELb0ES6_jNS0_17counting_iteratorIjlEEPS9_SE_NS0_5tupleIJPjSE_EEENSF_IJSE_SE_EEES9_SG_JZNS1_25segmented_radix_sort_implINS0_14default_configELb0EPK12hip_bfloat16PSL_PKlPlN2at6native12_GLOBAL__N_18offset_tEEE10hipError_tPvRmT1_PNSt15iterator_traitsISZ_E10value_typeET2_T3_PNS10_IS15_E10value_typeET4_jRbjT5_S1B_jjP12ihipStream_tbEUljE_EEESW_SX_SY_S15_S19_S1B_T6_T7_T9_mT8_S1D_bDpT10_ENKUlT_T0_E_clISt17integral_constantIbLb0EES1Q_EEDaS1L_S1M_EUlS1L_E_NS1_11comp_targetILNS1_3genE3ELNS1_11target_archE908ELNS1_3gpuE7ELNS1_3repE0EEENS1_30default_config_static_selectorELNS0_4arch9wavefront6targetE1EEEvSZ_
	.p2align	8
	.type	_ZN7rocprim17ROCPRIM_400000_NS6detail17trampoline_kernelINS0_13select_configILj256ELj13ELNS0_17block_load_methodE3ELS4_3ELS4_3ELNS0_20block_scan_algorithmE0ELj4294967295EEENS1_25partition_config_selectorILNS1_17partition_subalgoE3EjNS0_10empty_typeEbEEZZNS1_14partition_implILS8_3ELb0ES6_jNS0_17counting_iteratorIjlEEPS9_SE_NS0_5tupleIJPjSE_EEENSF_IJSE_SE_EEES9_SG_JZNS1_25segmented_radix_sort_implINS0_14default_configELb0EPK12hip_bfloat16PSL_PKlPlN2at6native12_GLOBAL__N_18offset_tEEE10hipError_tPvRmT1_PNSt15iterator_traitsISZ_E10value_typeET2_T3_PNS10_IS15_E10value_typeET4_jRbjT5_S1B_jjP12ihipStream_tbEUljE_EEESW_SX_SY_S15_S19_S1B_T6_T7_T9_mT8_S1D_bDpT10_ENKUlT_T0_E_clISt17integral_constantIbLb0EES1Q_EEDaS1L_S1M_EUlS1L_E_NS1_11comp_targetILNS1_3genE3ELNS1_11target_archE908ELNS1_3gpuE7ELNS1_3repE0EEENS1_30default_config_static_selectorELNS0_4arch9wavefront6targetE1EEEvSZ_,@function
_ZN7rocprim17ROCPRIM_400000_NS6detail17trampoline_kernelINS0_13select_configILj256ELj13ELNS0_17block_load_methodE3ELS4_3ELS4_3ELNS0_20block_scan_algorithmE0ELj4294967295EEENS1_25partition_config_selectorILNS1_17partition_subalgoE3EjNS0_10empty_typeEbEEZZNS1_14partition_implILS8_3ELb0ES6_jNS0_17counting_iteratorIjlEEPS9_SE_NS0_5tupleIJPjSE_EEENSF_IJSE_SE_EEES9_SG_JZNS1_25segmented_radix_sort_implINS0_14default_configELb0EPK12hip_bfloat16PSL_PKlPlN2at6native12_GLOBAL__N_18offset_tEEE10hipError_tPvRmT1_PNSt15iterator_traitsISZ_E10value_typeET2_T3_PNS10_IS15_E10value_typeET4_jRbjT5_S1B_jjP12ihipStream_tbEUljE_EEESW_SX_SY_S15_S19_S1B_T6_T7_T9_mT8_S1D_bDpT10_ENKUlT_T0_E_clISt17integral_constantIbLb0EES1Q_EEDaS1L_S1M_EUlS1L_E_NS1_11comp_targetILNS1_3genE3ELNS1_11target_archE908ELNS1_3gpuE7ELNS1_3repE0EEENS1_30default_config_static_selectorELNS0_4arch9wavefront6targetE1EEEvSZ_: ; @_ZN7rocprim17ROCPRIM_400000_NS6detail17trampoline_kernelINS0_13select_configILj256ELj13ELNS0_17block_load_methodE3ELS4_3ELS4_3ELNS0_20block_scan_algorithmE0ELj4294967295EEENS1_25partition_config_selectorILNS1_17partition_subalgoE3EjNS0_10empty_typeEbEEZZNS1_14partition_implILS8_3ELb0ES6_jNS0_17counting_iteratorIjlEEPS9_SE_NS0_5tupleIJPjSE_EEENSF_IJSE_SE_EEES9_SG_JZNS1_25segmented_radix_sort_implINS0_14default_configELb0EPK12hip_bfloat16PSL_PKlPlN2at6native12_GLOBAL__N_18offset_tEEE10hipError_tPvRmT1_PNSt15iterator_traitsISZ_E10value_typeET2_T3_PNS10_IS15_E10value_typeET4_jRbjT5_S1B_jjP12ihipStream_tbEUljE_EEESW_SX_SY_S15_S19_S1B_T6_T7_T9_mT8_S1D_bDpT10_ENKUlT_T0_E_clISt17integral_constantIbLb0EES1Q_EEDaS1L_S1M_EUlS1L_E_NS1_11comp_targetILNS1_3genE3ELNS1_11target_archE908ELNS1_3gpuE7ELNS1_3repE0EEENS1_30default_config_static_selectorELNS0_4arch9wavefront6targetE1EEEvSZ_
; %bb.0:
	.section	.rodata,"a",@progbits
	.p2align	6, 0x0
	.amdhsa_kernel _ZN7rocprim17ROCPRIM_400000_NS6detail17trampoline_kernelINS0_13select_configILj256ELj13ELNS0_17block_load_methodE3ELS4_3ELS4_3ELNS0_20block_scan_algorithmE0ELj4294967295EEENS1_25partition_config_selectorILNS1_17partition_subalgoE3EjNS0_10empty_typeEbEEZZNS1_14partition_implILS8_3ELb0ES6_jNS0_17counting_iteratorIjlEEPS9_SE_NS0_5tupleIJPjSE_EEENSF_IJSE_SE_EEES9_SG_JZNS1_25segmented_radix_sort_implINS0_14default_configELb0EPK12hip_bfloat16PSL_PKlPlN2at6native12_GLOBAL__N_18offset_tEEE10hipError_tPvRmT1_PNSt15iterator_traitsISZ_E10value_typeET2_T3_PNS10_IS15_E10value_typeET4_jRbjT5_S1B_jjP12ihipStream_tbEUljE_EEESW_SX_SY_S15_S19_S1B_T6_T7_T9_mT8_S1D_bDpT10_ENKUlT_T0_E_clISt17integral_constantIbLb0EES1Q_EEDaS1L_S1M_EUlS1L_E_NS1_11comp_targetILNS1_3genE3ELNS1_11target_archE908ELNS1_3gpuE7ELNS1_3repE0EEENS1_30default_config_static_selectorELNS0_4arch9wavefront6targetE1EEEvSZ_
		.amdhsa_group_segment_fixed_size 0
		.amdhsa_private_segment_fixed_size 0
		.amdhsa_kernarg_size 144
		.amdhsa_user_sgpr_count 6
		.amdhsa_user_sgpr_private_segment_buffer 1
		.amdhsa_user_sgpr_dispatch_ptr 0
		.amdhsa_user_sgpr_queue_ptr 0
		.amdhsa_user_sgpr_kernarg_segment_ptr 1
		.amdhsa_user_sgpr_dispatch_id 0
		.amdhsa_user_sgpr_flat_scratch_init 0
		.amdhsa_user_sgpr_private_segment_size 0
		.amdhsa_uses_dynamic_stack 0
		.amdhsa_system_sgpr_private_segment_wavefront_offset 0
		.amdhsa_system_sgpr_workgroup_id_x 1
		.amdhsa_system_sgpr_workgroup_id_y 0
		.amdhsa_system_sgpr_workgroup_id_z 0
		.amdhsa_system_sgpr_workgroup_info 0
		.amdhsa_system_vgpr_workitem_id 0
		.amdhsa_next_free_vgpr 1
		.amdhsa_next_free_sgpr 0
		.amdhsa_reserve_vcc 0
		.amdhsa_reserve_flat_scratch 0
		.amdhsa_float_round_mode_32 0
		.amdhsa_float_round_mode_16_64 0
		.amdhsa_float_denorm_mode_32 3
		.amdhsa_float_denorm_mode_16_64 3
		.amdhsa_dx10_clamp 1
		.amdhsa_ieee_mode 1
		.amdhsa_fp16_overflow 0
		.amdhsa_exception_fp_ieee_invalid_op 0
		.amdhsa_exception_fp_denorm_src 0
		.amdhsa_exception_fp_ieee_div_zero 0
		.amdhsa_exception_fp_ieee_overflow 0
		.amdhsa_exception_fp_ieee_underflow 0
		.amdhsa_exception_fp_ieee_inexact 0
		.amdhsa_exception_int_div_zero 0
	.end_amdhsa_kernel
	.section	.text._ZN7rocprim17ROCPRIM_400000_NS6detail17trampoline_kernelINS0_13select_configILj256ELj13ELNS0_17block_load_methodE3ELS4_3ELS4_3ELNS0_20block_scan_algorithmE0ELj4294967295EEENS1_25partition_config_selectorILNS1_17partition_subalgoE3EjNS0_10empty_typeEbEEZZNS1_14partition_implILS8_3ELb0ES6_jNS0_17counting_iteratorIjlEEPS9_SE_NS0_5tupleIJPjSE_EEENSF_IJSE_SE_EEES9_SG_JZNS1_25segmented_radix_sort_implINS0_14default_configELb0EPK12hip_bfloat16PSL_PKlPlN2at6native12_GLOBAL__N_18offset_tEEE10hipError_tPvRmT1_PNSt15iterator_traitsISZ_E10value_typeET2_T3_PNS10_IS15_E10value_typeET4_jRbjT5_S1B_jjP12ihipStream_tbEUljE_EEESW_SX_SY_S15_S19_S1B_T6_T7_T9_mT8_S1D_bDpT10_ENKUlT_T0_E_clISt17integral_constantIbLb0EES1Q_EEDaS1L_S1M_EUlS1L_E_NS1_11comp_targetILNS1_3genE3ELNS1_11target_archE908ELNS1_3gpuE7ELNS1_3repE0EEENS1_30default_config_static_selectorELNS0_4arch9wavefront6targetE1EEEvSZ_,"axG",@progbits,_ZN7rocprim17ROCPRIM_400000_NS6detail17trampoline_kernelINS0_13select_configILj256ELj13ELNS0_17block_load_methodE3ELS4_3ELS4_3ELNS0_20block_scan_algorithmE0ELj4294967295EEENS1_25partition_config_selectorILNS1_17partition_subalgoE3EjNS0_10empty_typeEbEEZZNS1_14partition_implILS8_3ELb0ES6_jNS0_17counting_iteratorIjlEEPS9_SE_NS0_5tupleIJPjSE_EEENSF_IJSE_SE_EEES9_SG_JZNS1_25segmented_radix_sort_implINS0_14default_configELb0EPK12hip_bfloat16PSL_PKlPlN2at6native12_GLOBAL__N_18offset_tEEE10hipError_tPvRmT1_PNSt15iterator_traitsISZ_E10value_typeET2_T3_PNS10_IS15_E10value_typeET4_jRbjT5_S1B_jjP12ihipStream_tbEUljE_EEESW_SX_SY_S15_S19_S1B_T6_T7_T9_mT8_S1D_bDpT10_ENKUlT_T0_E_clISt17integral_constantIbLb0EES1Q_EEDaS1L_S1M_EUlS1L_E_NS1_11comp_targetILNS1_3genE3ELNS1_11target_archE908ELNS1_3gpuE7ELNS1_3repE0EEENS1_30default_config_static_selectorELNS0_4arch9wavefront6targetE1EEEvSZ_,comdat
.Lfunc_end2020:
	.size	_ZN7rocprim17ROCPRIM_400000_NS6detail17trampoline_kernelINS0_13select_configILj256ELj13ELNS0_17block_load_methodE3ELS4_3ELS4_3ELNS0_20block_scan_algorithmE0ELj4294967295EEENS1_25partition_config_selectorILNS1_17partition_subalgoE3EjNS0_10empty_typeEbEEZZNS1_14partition_implILS8_3ELb0ES6_jNS0_17counting_iteratorIjlEEPS9_SE_NS0_5tupleIJPjSE_EEENSF_IJSE_SE_EEES9_SG_JZNS1_25segmented_radix_sort_implINS0_14default_configELb0EPK12hip_bfloat16PSL_PKlPlN2at6native12_GLOBAL__N_18offset_tEEE10hipError_tPvRmT1_PNSt15iterator_traitsISZ_E10value_typeET2_T3_PNS10_IS15_E10value_typeET4_jRbjT5_S1B_jjP12ihipStream_tbEUljE_EEESW_SX_SY_S15_S19_S1B_T6_T7_T9_mT8_S1D_bDpT10_ENKUlT_T0_E_clISt17integral_constantIbLb0EES1Q_EEDaS1L_S1M_EUlS1L_E_NS1_11comp_targetILNS1_3genE3ELNS1_11target_archE908ELNS1_3gpuE7ELNS1_3repE0EEENS1_30default_config_static_selectorELNS0_4arch9wavefront6targetE1EEEvSZ_, .Lfunc_end2020-_ZN7rocprim17ROCPRIM_400000_NS6detail17trampoline_kernelINS0_13select_configILj256ELj13ELNS0_17block_load_methodE3ELS4_3ELS4_3ELNS0_20block_scan_algorithmE0ELj4294967295EEENS1_25partition_config_selectorILNS1_17partition_subalgoE3EjNS0_10empty_typeEbEEZZNS1_14partition_implILS8_3ELb0ES6_jNS0_17counting_iteratorIjlEEPS9_SE_NS0_5tupleIJPjSE_EEENSF_IJSE_SE_EEES9_SG_JZNS1_25segmented_radix_sort_implINS0_14default_configELb0EPK12hip_bfloat16PSL_PKlPlN2at6native12_GLOBAL__N_18offset_tEEE10hipError_tPvRmT1_PNSt15iterator_traitsISZ_E10value_typeET2_T3_PNS10_IS15_E10value_typeET4_jRbjT5_S1B_jjP12ihipStream_tbEUljE_EEESW_SX_SY_S15_S19_S1B_T6_T7_T9_mT8_S1D_bDpT10_ENKUlT_T0_E_clISt17integral_constantIbLb0EES1Q_EEDaS1L_S1M_EUlS1L_E_NS1_11comp_targetILNS1_3genE3ELNS1_11target_archE908ELNS1_3gpuE7ELNS1_3repE0EEENS1_30default_config_static_selectorELNS0_4arch9wavefront6targetE1EEEvSZ_
                                        ; -- End function
	.set _ZN7rocprim17ROCPRIM_400000_NS6detail17trampoline_kernelINS0_13select_configILj256ELj13ELNS0_17block_load_methodE3ELS4_3ELS4_3ELNS0_20block_scan_algorithmE0ELj4294967295EEENS1_25partition_config_selectorILNS1_17partition_subalgoE3EjNS0_10empty_typeEbEEZZNS1_14partition_implILS8_3ELb0ES6_jNS0_17counting_iteratorIjlEEPS9_SE_NS0_5tupleIJPjSE_EEENSF_IJSE_SE_EEES9_SG_JZNS1_25segmented_radix_sort_implINS0_14default_configELb0EPK12hip_bfloat16PSL_PKlPlN2at6native12_GLOBAL__N_18offset_tEEE10hipError_tPvRmT1_PNSt15iterator_traitsISZ_E10value_typeET2_T3_PNS10_IS15_E10value_typeET4_jRbjT5_S1B_jjP12ihipStream_tbEUljE_EEESW_SX_SY_S15_S19_S1B_T6_T7_T9_mT8_S1D_bDpT10_ENKUlT_T0_E_clISt17integral_constantIbLb0EES1Q_EEDaS1L_S1M_EUlS1L_E_NS1_11comp_targetILNS1_3genE3ELNS1_11target_archE908ELNS1_3gpuE7ELNS1_3repE0EEENS1_30default_config_static_selectorELNS0_4arch9wavefront6targetE1EEEvSZ_.num_vgpr, 0
	.set _ZN7rocprim17ROCPRIM_400000_NS6detail17trampoline_kernelINS0_13select_configILj256ELj13ELNS0_17block_load_methodE3ELS4_3ELS4_3ELNS0_20block_scan_algorithmE0ELj4294967295EEENS1_25partition_config_selectorILNS1_17partition_subalgoE3EjNS0_10empty_typeEbEEZZNS1_14partition_implILS8_3ELb0ES6_jNS0_17counting_iteratorIjlEEPS9_SE_NS0_5tupleIJPjSE_EEENSF_IJSE_SE_EEES9_SG_JZNS1_25segmented_radix_sort_implINS0_14default_configELb0EPK12hip_bfloat16PSL_PKlPlN2at6native12_GLOBAL__N_18offset_tEEE10hipError_tPvRmT1_PNSt15iterator_traitsISZ_E10value_typeET2_T3_PNS10_IS15_E10value_typeET4_jRbjT5_S1B_jjP12ihipStream_tbEUljE_EEESW_SX_SY_S15_S19_S1B_T6_T7_T9_mT8_S1D_bDpT10_ENKUlT_T0_E_clISt17integral_constantIbLb0EES1Q_EEDaS1L_S1M_EUlS1L_E_NS1_11comp_targetILNS1_3genE3ELNS1_11target_archE908ELNS1_3gpuE7ELNS1_3repE0EEENS1_30default_config_static_selectorELNS0_4arch9wavefront6targetE1EEEvSZ_.num_agpr, 0
	.set _ZN7rocprim17ROCPRIM_400000_NS6detail17trampoline_kernelINS0_13select_configILj256ELj13ELNS0_17block_load_methodE3ELS4_3ELS4_3ELNS0_20block_scan_algorithmE0ELj4294967295EEENS1_25partition_config_selectorILNS1_17partition_subalgoE3EjNS0_10empty_typeEbEEZZNS1_14partition_implILS8_3ELb0ES6_jNS0_17counting_iteratorIjlEEPS9_SE_NS0_5tupleIJPjSE_EEENSF_IJSE_SE_EEES9_SG_JZNS1_25segmented_radix_sort_implINS0_14default_configELb0EPK12hip_bfloat16PSL_PKlPlN2at6native12_GLOBAL__N_18offset_tEEE10hipError_tPvRmT1_PNSt15iterator_traitsISZ_E10value_typeET2_T3_PNS10_IS15_E10value_typeET4_jRbjT5_S1B_jjP12ihipStream_tbEUljE_EEESW_SX_SY_S15_S19_S1B_T6_T7_T9_mT8_S1D_bDpT10_ENKUlT_T0_E_clISt17integral_constantIbLb0EES1Q_EEDaS1L_S1M_EUlS1L_E_NS1_11comp_targetILNS1_3genE3ELNS1_11target_archE908ELNS1_3gpuE7ELNS1_3repE0EEENS1_30default_config_static_selectorELNS0_4arch9wavefront6targetE1EEEvSZ_.numbered_sgpr, 0
	.set _ZN7rocprim17ROCPRIM_400000_NS6detail17trampoline_kernelINS0_13select_configILj256ELj13ELNS0_17block_load_methodE3ELS4_3ELS4_3ELNS0_20block_scan_algorithmE0ELj4294967295EEENS1_25partition_config_selectorILNS1_17partition_subalgoE3EjNS0_10empty_typeEbEEZZNS1_14partition_implILS8_3ELb0ES6_jNS0_17counting_iteratorIjlEEPS9_SE_NS0_5tupleIJPjSE_EEENSF_IJSE_SE_EEES9_SG_JZNS1_25segmented_radix_sort_implINS0_14default_configELb0EPK12hip_bfloat16PSL_PKlPlN2at6native12_GLOBAL__N_18offset_tEEE10hipError_tPvRmT1_PNSt15iterator_traitsISZ_E10value_typeET2_T3_PNS10_IS15_E10value_typeET4_jRbjT5_S1B_jjP12ihipStream_tbEUljE_EEESW_SX_SY_S15_S19_S1B_T6_T7_T9_mT8_S1D_bDpT10_ENKUlT_T0_E_clISt17integral_constantIbLb0EES1Q_EEDaS1L_S1M_EUlS1L_E_NS1_11comp_targetILNS1_3genE3ELNS1_11target_archE908ELNS1_3gpuE7ELNS1_3repE0EEENS1_30default_config_static_selectorELNS0_4arch9wavefront6targetE1EEEvSZ_.num_named_barrier, 0
	.set _ZN7rocprim17ROCPRIM_400000_NS6detail17trampoline_kernelINS0_13select_configILj256ELj13ELNS0_17block_load_methodE3ELS4_3ELS4_3ELNS0_20block_scan_algorithmE0ELj4294967295EEENS1_25partition_config_selectorILNS1_17partition_subalgoE3EjNS0_10empty_typeEbEEZZNS1_14partition_implILS8_3ELb0ES6_jNS0_17counting_iteratorIjlEEPS9_SE_NS0_5tupleIJPjSE_EEENSF_IJSE_SE_EEES9_SG_JZNS1_25segmented_radix_sort_implINS0_14default_configELb0EPK12hip_bfloat16PSL_PKlPlN2at6native12_GLOBAL__N_18offset_tEEE10hipError_tPvRmT1_PNSt15iterator_traitsISZ_E10value_typeET2_T3_PNS10_IS15_E10value_typeET4_jRbjT5_S1B_jjP12ihipStream_tbEUljE_EEESW_SX_SY_S15_S19_S1B_T6_T7_T9_mT8_S1D_bDpT10_ENKUlT_T0_E_clISt17integral_constantIbLb0EES1Q_EEDaS1L_S1M_EUlS1L_E_NS1_11comp_targetILNS1_3genE3ELNS1_11target_archE908ELNS1_3gpuE7ELNS1_3repE0EEENS1_30default_config_static_selectorELNS0_4arch9wavefront6targetE1EEEvSZ_.private_seg_size, 0
	.set _ZN7rocprim17ROCPRIM_400000_NS6detail17trampoline_kernelINS0_13select_configILj256ELj13ELNS0_17block_load_methodE3ELS4_3ELS4_3ELNS0_20block_scan_algorithmE0ELj4294967295EEENS1_25partition_config_selectorILNS1_17partition_subalgoE3EjNS0_10empty_typeEbEEZZNS1_14partition_implILS8_3ELb0ES6_jNS0_17counting_iteratorIjlEEPS9_SE_NS0_5tupleIJPjSE_EEENSF_IJSE_SE_EEES9_SG_JZNS1_25segmented_radix_sort_implINS0_14default_configELb0EPK12hip_bfloat16PSL_PKlPlN2at6native12_GLOBAL__N_18offset_tEEE10hipError_tPvRmT1_PNSt15iterator_traitsISZ_E10value_typeET2_T3_PNS10_IS15_E10value_typeET4_jRbjT5_S1B_jjP12ihipStream_tbEUljE_EEESW_SX_SY_S15_S19_S1B_T6_T7_T9_mT8_S1D_bDpT10_ENKUlT_T0_E_clISt17integral_constantIbLb0EES1Q_EEDaS1L_S1M_EUlS1L_E_NS1_11comp_targetILNS1_3genE3ELNS1_11target_archE908ELNS1_3gpuE7ELNS1_3repE0EEENS1_30default_config_static_selectorELNS0_4arch9wavefront6targetE1EEEvSZ_.uses_vcc, 0
	.set _ZN7rocprim17ROCPRIM_400000_NS6detail17trampoline_kernelINS0_13select_configILj256ELj13ELNS0_17block_load_methodE3ELS4_3ELS4_3ELNS0_20block_scan_algorithmE0ELj4294967295EEENS1_25partition_config_selectorILNS1_17partition_subalgoE3EjNS0_10empty_typeEbEEZZNS1_14partition_implILS8_3ELb0ES6_jNS0_17counting_iteratorIjlEEPS9_SE_NS0_5tupleIJPjSE_EEENSF_IJSE_SE_EEES9_SG_JZNS1_25segmented_radix_sort_implINS0_14default_configELb0EPK12hip_bfloat16PSL_PKlPlN2at6native12_GLOBAL__N_18offset_tEEE10hipError_tPvRmT1_PNSt15iterator_traitsISZ_E10value_typeET2_T3_PNS10_IS15_E10value_typeET4_jRbjT5_S1B_jjP12ihipStream_tbEUljE_EEESW_SX_SY_S15_S19_S1B_T6_T7_T9_mT8_S1D_bDpT10_ENKUlT_T0_E_clISt17integral_constantIbLb0EES1Q_EEDaS1L_S1M_EUlS1L_E_NS1_11comp_targetILNS1_3genE3ELNS1_11target_archE908ELNS1_3gpuE7ELNS1_3repE0EEENS1_30default_config_static_selectorELNS0_4arch9wavefront6targetE1EEEvSZ_.uses_flat_scratch, 0
	.set _ZN7rocprim17ROCPRIM_400000_NS6detail17trampoline_kernelINS0_13select_configILj256ELj13ELNS0_17block_load_methodE3ELS4_3ELS4_3ELNS0_20block_scan_algorithmE0ELj4294967295EEENS1_25partition_config_selectorILNS1_17partition_subalgoE3EjNS0_10empty_typeEbEEZZNS1_14partition_implILS8_3ELb0ES6_jNS0_17counting_iteratorIjlEEPS9_SE_NS0_5tupleIJPjSE_EEENSF_IJSE_SE_EEES9_SG_JZNS1_25segmented_radix_sort_implINS0_14default_configELb0EPK12hip_bfloat16PSL_PKlPlN2at6native12_GLOBAL__N_18offset_tEEE10hipError_tPvRmT1_PNSt15iterator_traitsISZ_E10value_typeET2_T3_PNS10_IS15_E10value_typeET4_jRbjT5_S1B_jjP12ihipStream_tbEUljE_EEESW_SX_SY_S15_S19_S1B_T6_T7_T9_mT8_S1D_bDpT10_ENKUlT_T0_E_clISt17integral_constantIbLb0EES1Q_EEDaS1L_S1M_EUlS1L_E_NS1_11comp_targetILNS1_3genE3ELNS1_11target_archE908ELNS1_3gpuE7ELNS1_3repE0EEENS1_30default_config_static_selectorELNS0_4arch9wavefront6targetE1EEEvSZ_.has_dyn_sized_stack, 0
	.set _ZN7rocprim17ROCPRIM_400000_NS6detail17trampoline_kernelINS0_13select_configILj256ELj13ELNS0_17block_load_methodE3ELS4_3ELS4_3ELNS0_20block_scan_algorithmE0ELj4294967295EEENS1_25partition_config_selectorILNS1_17partition_subalgoE3EjNS0_10empty_typeEbEEZZNS1_14partition_implILS8_3ELb0ES6_jNS0_17counting_iteratorIjlEEPS9_SE_NS0_5tupleIJPjSE_EEENSF_IJSE_SE_EEES9_SG_JZNS1_25segmented_radix_sort_implINS0_14default_configELb0EPK12hip_bfloat16PSL_PKlPlN2at6native12_GLOBAL__N_18offset_tEEE10hipError_tPvRmT1_PNSt15iterator_traitsISZ_E10value_typeET2_T3_PNS10_IS15_E10value_typeET4_jRbjT5_S1B_jjP12ihipStream_tbEUljE_EEESW_SX_SY_S15_S19_S1B_T6_T7_T9_mT8_S1D_bDpT10_ENKUlT_T0_E_clISt17integral_constantIbLb0EES1Q_EEDaS1L_S1M_EUlS1L_E_NS1_11comp_targetILNS1_3genE3ELNS1_11target_archE908ELNS1_3gpuE7ELNS1_3repE0EEENS1_30default_config_static_selectorELNS0_4arch9wavefront6targetE1EEEvSZ_.has_recursion, 0
	.set _ZN7rocprim17ROCPRIM_400000_NS6detail17trampoline_kernelINS0_13select_configILj256ELj13ELNS0_17block_load_methodE3ELS4_3ELS4_3ELNS0_20block_scan_algorithmE0ELj4294967295EEENS1_25partition_config_selectorILNS1_17partition_subalgoE3EjNS0_10empty_typeEbEEZZNS1_14partition_implILS8_3ELb0ES6_jNS0_17counting_iteratorIjlEEPS9_SE_NS0_5tupleIJPjSE_EEENSF_IJSE_SE_EEES9_SG_JZNS1_25segmented_radix_sort_implINS0_14default_configELb0EPK12hip_bfloat16PSL_PKlPlN2at6native12_GLOBAL__N_18offset_tEEE10hipError_tPvRmT1_PNSt15iterator_traitsISZ_E10value_typeET2_T3_PNS10_IS15_E10value_typeET4_jRbjT5_S1B_jjP12ihipStream_tbEUljE_EEESW_SX_SY_S15_S19_S1B_T6_T7_T9_mT8_S1D_bDpT10_ENKUlT_T0_E_clISt17integral_constantIbLb0EES1Q_EEDaS1L_S1M_EUlS1L_E_NS1_11comp_targetILNS1_3genE3ELNS1_11target_archE908ELNS1_3gpuE7ELNS1_3repE0EEENS1_30default_config_static_selectorELNS0_4arch9wavefront6targetE1EEEvSZ_.has_indirect_call, 0
	.section	.AMDGPU.csdata,"",@progbits
; Kernel info:
; codeLenInByte = 0
; TotalNumSgprs: 4
; NumVgprs: 0
; ScratchSize: 0
; MemoryBound: 0
; FloatMode: 240
; IeeeMode: 1
; LDSByteSize: 0 bytes/workgroup (compile time only)
; SGPRBlocks: 0
; VGPRBlocks: 0
; NumSGPRsForWavesPerEU: 4
; NumVGPRsForWavesPerEU: 1
; Occupancy: 10
; WaveLimiterHint : 0
; COMPUTE_PGM_RSRC2:SCRATCH_EN: 0
; COMPUTE_PGM_RSRC2:USER_SGPR: 6
; COMPUTE_PGM_RSRC2:TRAP_HANDLER: 0
; COMPUTE_PGM_RSRC2:TGID_X_EN: 1
; COMPUTE_PGM_RSRC2:TGID_Y_EN: 0
; COMPUTE_PGM_RSRC2:TGID_Z_EN: 0
; COMPUTE_PGM_RSRC2:TIDIG_COMP_CNT: 0
	.section	.text._ZN7rocprim17ROCPRIM_400000_NS6detail17trampoline_kernelINS0_13select_configILj256ELj13ELNS0_17block_load_methodE3ELS4_3ELS4_3ELNS0_20block_scan_algorithmE0ELj4294967295EEENS1_25partition_config_selectorILNS1_17partition_subalgoE3EjNS0_10empty_typeEbEEZZNS1_14partition_implILS8_3ELb0ES6_jNS0_17counting_iteratorIjlEEPS9_SE_NS0_5tupleIJPjSE_EEENSF_IJSE_SE_EEES9_SG_JZNS1_25segmented_radix_sort_implINS0_14default_configELb0EPK12hip_bfloat16PSL_PKlPlN2at6native12_GLOBAL__N_18offset_tEEE10hipError_tPvRmT1_PNSt15iterator_traitsISZ_E10value_typeET2_T3_PNS10_IS15_E10value_typeET4_jRbjT5_S1B_jjP12ihipStream_tbEUljE_EEESW_SX_SY_S15_S19_S1B_T6_T7_T9_mT8_S1D_bDpT10_ENKUlT_T0_E_clISt17integral_constantIbLb0EES1Q_EEDaS1L_S1M_EUlS1L_E_NS1_11comp_targetILNS1_3genE2ELNS1_11target_archE906ELNS1_3gpuE6ELNS1_3repE0EEENS1_30default_config_static_selectorELNS0_4arch9wavefront6targetE1EEEvSZ_,"axG",@progbits,_ZN7rocprim17ROCPRIM_400000_NS6detail17trampoline_kernelINS0_13select_configILj256ELj13ELNS0_17block_load_methodE3ELS4_3ELS4_3ELNS0_20block_scan_algorithmE0ELj4294967295EEENS1_25partition_config_selectorILNS1_17partition_subalgoE3EjNS0_10empty_typeEbEEZZNS1_14partition_implILS8_3ELb0ES6_jNS0_17counting_iteratorIjlEEPS9_SE_NS0_5tupleIJPjSE_EEENSF_IJSE_SE_EEES9_SG_JZNS1_25segmented_radix_sort_implINS0_14default_configELb0EPK12hip_bfloat16PSL_PKlPlN2at6native12_GLOBAL__N_18offset_tEEE10hipError_tPvRmT1_PNSt15iterator_traitsISZ_E10value_typeET2_T3_PNS10_IS15_E10value_typeET4_jRbjT5_S1B_jjP12ihipStream_tbEUljE_EEESW_SX_SY_S15_S19_S1B_T6_T7_T9_mT8_S1D_bDpT10_ENKUlT_T0_E_clISt17integral_constantIbLb0EES1Q_EEDaS1L_S1M_EUlS1L_E_NS1_11comp_targetILNS1_3genE2ELNS1_11target_archE906ELNS1_3gpuE6ELNS1_3repE0EEENS1_30default_config_static_selectorELNS0_4arch9wavefront6targetE1EEEvSZ_,comdat
	.globl	_ZN7rocprim17ROCPRIM_400000_NS6detail17trampoline_kernelINS0_13select_configILj256ELj13ELNS0_17block_load_methodE3ELS4_3ELS4_3ELNS0_20block_scan_algorithmE0ELj4294967295EEENS1_25partition_config_selectorILNS1_17partition_subalgoE3EjNS0_10empty_typeEbEEZZNS1_14partition_implILS8_3ELb0ES6_jNS0_17counting_iteratorIjlEEPS9_SE_NS0_5tupleIJPjSE_EEENSF_IJSE_SE_EEES9_SG_JZNS1_25segmented_radix_sort_implINS0_14default_configELb0EPK12hip_bfloat16PSL_PKlPlN2at6native12_GLOBAL__N_18offset_tEEE10hipError_tPvRmT1_PNSt15iterator_traitsISZ_E10value_typeET2_T3_PNS10_IS15_E10value_typeET4_jRbjT5_S1B_jjP12ihipStream_tbEUljE_EEESW_SX_SY_S15_S19_S1B_T6_T7_T9_mT8_S1D_bDpT10_ENKUlT_T0_E_clISt17integral_constantIbLb0EES1Q_EEDaS1L_S1M_EUlS1L_E_NS1_11comp_targetILNS1_3genE2ELNS1_11target_archE906ELNS1_3gpuE6ELNS1_3repE0EEENS1_30default_config_static_selectorELNS0_4arch9wavefront6targetE1EEEvSZ_ ; -- Begin function _ZN7rocprim17ROCPRIM_400000_NS6detail17trampoline_kernelINS0_13select_configILj256ELj13ELNS0_17block_load_methodE3ELS4_3ELS4_3ELNS0_20block_scan_algorithmE0ELj4294967295EEENS1_25partition_config_selectorILNS1_17partition_subalgoE3EjNS0_10empty_typeEbEEZZNS1_14partition_implILS8_3ELb0ES6_jNS0_17counting_iteratorIjlEEPS9_SE_NS0_5tupleIJPjSE_EEENSF_IJSE_SE_EEES9_SG_JZNS1_25segmented_radix_sort_implINS0_14default_configELb0EPK12hip_bfloat16PSL_PKlPlN2at6native12_GLOBAL__N_18offset_tEEE10hipError_tPvRmT1_PNSt15iterator_traitsISZ_E10value_typeET2_T3_PNS10_IS15_E10value_typeET4_jRbjT5_S1B_jjP12ihipStream_tbEUljE_EEESW_SX_SY_S15_S19_S1B_T6_T7_T9_mT8_S1D_bDpT10_ENKUlT_T0_E_clISt17integral_constantIbLb0EES1Q_EEDaS1L_S1M_EUlS1L_E_NS1_11comp_targetILNS1_3genE2ELNS1_11target_archE906ELNS1_3gpuE6ELNS1_3repE0EEENS1_30default_config_static_selectorELNS0_4arch9wavefront6targetE1EEEvSZ_
	.p2align	8
	.type	_ZN7rocprim17ROCPRIM_400000_NS6detail17trampoline_kernelINS0_13select_configILj256ELj13ELNS0_17block_load_methodE3ELS4_3ELS4_3ELNS0_20block_scan_algorithmE0ELj4294967295EEENS1_25partition_config_selectorILNS1_17partition_subalgoE3EjNS0_10empty_typeEbEEZZNS1_14partition_implILS8_3ELb0ES6_jNS0_17counting_iteratorIjlEEPS9_SE_NS0_5tupleIJPjSE_EEENSF_IJSE_SE_EEES9_SG_JZNS1_25segmented_radix_sort_implINS0_14default_configELb0EPK12hip_bfloat16PSL_PKlPlN2at6native12_GLOBAL__N_18offset_tEEE10hipError_tPvRmT1_PNSt15iterator_traitsISZ_E10value_typeET2_T3_PNS10_IS15_E10value_typeET4_jRbjT5_S1B_jjP12ihipStream_tbEUljE_EEESW_SX_SY_S15_S19_S1B_T6_T7_T9_mT8_S1D_bDpT10_ENKUlT_T0_E_clISt17integral_constantIbLb0EES1Q_EEDaS1L_S1M_EUlS1L_E_NS1_11comp_targetILNS1_3genE2ELNS1_11target_archE906ELNS1_3gpuE6ELNS1_3repE0EEENS1_30default_config_static_selectorELNS0_4arch9wavefront6targetE1EEEvSZ_,@function
_ZN7rocprim17ROCPRIM_400000_NS6detail17trampoline_kernelINS0_13select_configILj256ELj13ELNS0_17block_load_methodE3ELS4_3ELS4_3ELNS0_20block_scan_algorithmE0ELj4294967295EEENS1_25partition_config_selectorILNS1_17partition_subalgoE3EjNS0_10empty_typeEbEEZZNS1_14partition_implILS8_3ELb0ES6_jNS0_17counting_iteratorIjlEEPS9_SE_NS0_5tupleIJPjSE_EEENSF_IJSE_SE_EEES9_SG_JZNS1_25segmented_radix_sort_implINS0_14default_configELb0EPK12hip_bfloat16PSL_PKlPlN2at6native12_GLOBAL__N_18offset_tEEE10hipError_tPvRmT1_PNSt15iterator_traitsISZ_E10value_typeET2_T3_PNS10_IS15_E10value_typeET4_jRbjT5_S1B_jjP12ihipStream_tbEUljE_EEESW_SX_SY_S15_S19_S1B_T6_T7_T9_mT8_S1D_bDpT10_ENKUlT_T0_E_clISt17integral_constantIbLb0EES1Q_EEDaS1L_S1M_EUlS1L_E_NS1_11comp_targetILNS1_3genE2ELNS1_11target_archE906ELNS1_3gpuE6ELNS1_3repE0EEENS1_30default_config_static_selectorELNS0_4arch9wavefront6targetE1EEEvSZ_: ; @_ZN7rocprim17ROCPRIM_400000_NS6detail17trampoline_kernelINS0_13select_configILj256ELj13ELNS0_17block_load_methodE3ELS4_3ELS4_3ELNS0_20block_scan_algorithmE0ELj4294967295EEENS1_25partition_config_selectorILNS1_17partition_subalgoE3EjNS0_10empty_typeEbEEZZNS1_14partition_implILS8_3ELb0ES6_jNS0_17counting_iteratorIjlEEPS9_SE_NS0_5tupleIJPjSE_EEENSF_IJSE_SE_EEES9_SG_JZNS1_25segmented_radix_sort_implINS0_14default_configELb0EPK12hip_bfloat16PSL_PKlPlN2at6native12_GLOBAL__N_18offset_tEEE10hipError_tPvRmT1_PNSt15iterator_traitsISZ_E10value_typeET2_T3_PNS10_IS15_E10value_typeET4_jRbjT5_S1B_jjP12ihipStream_tbEUljE_EEESW_SX_SY_S15_S19_S1B_T6_T7_T9_mT8_S1D_bDpT10_ENKUlT_T0_E_clISt17integral_constantIbLb0EES1Q_EEDaS1L_S1M_EUlS1L_E_NS1_11comp_targetILNS1_3genE2ELNS1_11target_archE906ELNS1_3gpuE6ELNS1_3repE0EEENS1_30default_config_static_selectorELNS0_4arch9wavefront6targetE1EEEvSZ_
; %bb.0:
	s_load_dwordx2 s[28:29], s[4:5], 0x58
	s_load_dwordx4 s[24:27], s[4:5], 0x48
	s_load_dword s12, s[4:5], 0x8
	s_load_dwordx2 s[30:31], s[4:5], 0x10
	s_load_dword s0, s[4:5], 0x70
	s_load_dword s7, s[4:5], 0x88
	s_load_dwordx4 s[8:11], s[4:5], 0x78
	s_waitcnt lgkmcnt(0)
	s_load_dwordx2 s[34:35], s[26:27], 0x0
	s_mul_i32 s44, s6, 0xd00
	s_add_i32 s2, s0, -1
	s_mulk_i32 s0, 0xd00
	s_add_i32 s1, s0, s30
	s_sub_i32 s33, s28, s1
	s_addk_i32 s33, 0xd00
	s_add_u32 s0, s30, s0
	s_addc_u32 s1, s31, 0
	v_mov_b32_e32 v2, s1
	v_mov_b32_e32 v1, s0
	s_cmp_eq_u32 s6, s2
	v_cmp_gt_u64_e32 vcc, s[28:29], v[1:2]
	s_cselect_b64 s[22:23], -1, 0
	s_cmp_lg_u32 s6, s2
	s_cselect_b64 s[0:1], -1, 0
	s_add_i32 s12, s12, s44
	s_or_b64 s[2:3], s[0:1], vcc
	s_add_i32 s12, s12, s30
	s_mov_b64 s[0:1], -1
	s_and_b64 vcc, exec, s[2:3]
	v_add_u32_e32 v1, s12, v0
	v_lshlrev_b32_e32 v23, 2, v0
	s_cbranch_vccz .LBB2021_2
; %bb.1:
	v_add_u32_e32 v2, 0x100, v1
	v_add_u32_e32 v3, 0x200, v1
	;; [unrolled: 1-line block ×12, first 2 shown]
	ds_write2st64_b32 v23, v1, v2 offset1:4
	ds_write2st64_b32 v23, v3, v4 offset0:8 offset1:12
	ds_write2st64_b32 v23, v5, v6 offset0:16 offset1:20
	ds_write2st64_b32 v23, v7, v8 offset0:24 offset1:28
	ds_write2st64_b32 v23, v9, v10 offset0:32 offset1:36
	ds_write2st64_b32 v23, v11, v12 offset0:40 offset1:44
	ds_write_b32 v23, v13 offset:12288
	s_waitcnt lgkmcnt(0)
	s_barrier
	s_mov_b64 s[0:1], 0
.LBB2021_2:
	s_andn2_b64 vcc, exec, s[0:1]
	v_cmp_gt_u32_e64 s[0:1], s33, v0
	s_cbranch_vccnz .LBB2021_4
; %bb.3:
	v_or_b32_e32 v2, 0x100, v0
	v_add_u32_e32 v3, s12, v2
	v_cmp_gt_u32_e32 vcc, s33, v2
	v_cndmask_b32_e32 v2, 0, v3, vcc
	v_or_b32_e32 v3, 0x200, v0
	v_add_u32_e32 v4, s12, v3
	v_cmp_gt_u32_e32 vcc, s33, v3
	v_cndmask_b32_e32 v3, 0, v4, vcc
	;; [unrolled: 4-line block ×11, first 2 shown]
	v_or_b32_e32 v13, 0xc00, v0
	v_cndmask_b32_e64 v1, 0, v1, s[0:1]
	v_add_u32_e32 v14, s12, v13
	v_cmp_gt_u32_e32 vcc, s33, v13
	v_cndmask_b32_e32 v13, 0, v14, vcc
	ds_write2st64_b32 v23, v1, v2 offset1:4
	ds_write2st64_b32 v23, v3, v4 offset0:8 offset1:12
	ds_write2st64_b32 v23, v5, v6 offset0:16 offset1:20
	;; [unrolled: 1-line block ×5, first 2 shown]
	ds_write_b32 v23, v13 offset:12288
	s_waitcnt lgkmcnt(0)
	s_barrier
.LBB2021_4:
	v_mul_u32_u24_e32 v25, 13, v0
	v_lshlrev_b32_e32 v1, 2, v25
	s_waitcnt lgkmcnt(0)
	ds_read2_b32 v[13:14], v1 offset1:1
	ds_read2_b32 v[11:12], v1 offset0:2 offset1:3
	ds_read2_b32 v[9:10], v1 offset0:4 offset1:5
	;; [unrolled: 1-line block ×5, first 2 shown]
	ds_read_b32 v24, v1 offset:48
	v_cndmask_b32_e64 v1, 0, 1, s[2:3]
	v_cmp_ne_u32_e64 s[0:1], 1, v1
	s_andn2_b64 vcc, exec, s[2:3]
	s_waitcnt lgkmcnt(0)
	s_barrier
	s_cbranch_vccnz .LBB2021_6
; %bb.5:
	v_add_u32_e32 v1, s9, v13
	v_add_u32_e32 v2, s11, v13
	v_mul_lo_u32 v1, v1, s8
	v_mul_lo_u32 v2, v2, s10
	v_add_u32_e32 v15, s9, v11
	v_add_u32_e32 v16, s11, v11
	v_mul_lo_u32 v15, v15, s8
	v_sub_u32_e32 v1, v1, v2
	v_cmp_lt_u32_e32 vcc, s7, v1
	v_add_u32_e32 v1, s9, v14
	v_add_u32_e32 v2, s11, v14
	v_mul_lo_u32 v1, v1, s8
	v_mul_lo_u32 v2, v2, s10
	;; [unrolled: 1-line block ×3, first 2 shown]
	v_cndmask_b32_e64 v26, 0, 1, vcc
	v_sub_u32_e32 v1, v1, v2
	v_cmp_lt_u32_e32 vcc, s7, v1
	v_sub_u32_e32 v1, v15, v16
	v_cndmask_b32_e64 v27, 0, 1, vcc
	v_cmp_lt_u32_e32 vcc, s7, v1
	v_add_u32_e32 v1, s9, v12
	v_add_u32_e32 v2, s11, v12
	v_mul_lo_u32 v1, v1, s8
	v_mul_lo_u32 v2, v2, s10
	v_add_u32_e32 v15, s9, v9
	v_add_u32_e32 v16, s11, v9
	v_mul_lo_u32 v15, v15, s8
	v_mul_lo_u32 v16, v16, s10
	v_sub_u32_e32 v1, v1, v2
	v_cndmask_b32_e64 v28, 0, 1, vcc
	v_cmp_lt_u32_e32 vcc, s7, v1
	v_sub_u32_e32 v1, v15, v16
	v_cndmask_b32_e64 v29, 0, 1, vcc
	v_cmp_lt_u32_e32 vcc, s7, v1
	v_add_u32_e32 v1, s9, v10
	v_add_u32_e32 v2, s11, v10
	v_mul_lo_u32 v1, v1, s8
	v_mul_lo_u32 v2, v2, s10
	v_add_u32_e32 v15, s9, v7
	v_add_u32_e32 v16, s11, v7
	v_mul_lo_u32 v15, v15, s8
	v_mul_lo_u32 v16, v16, s10
	v_sub_u32_e32 v1, v1, v2
	v_cndmask_b32_e64 v30, 0, 1, vcc
	;; [unrolled: 14-line block ×5, first 2 shown]
	v_cmp_lt_u32_e32 vcc, s7, v1
	v_sub_u32_e32 v1, v15, v16
	v_cndmask_b32_e64 v37, 0, 1, vcc
	v_cmp_lt_u32_e64 s[38:39], s7, v1
	s_load_dwordx2 s[26:27], s[4:5], 0x28
	s_load_dwordx2 s[36:37], s[4:5], 0x68
	s_cbranch_execz .LBB2021_7
	s_branch .LBB2021_34
.LBB2021_6:
                                        ; implicit-def: $sgpr38_sgpr39
                                        ; implicit-def: $vgpr37
                                        ; implicit-def: $vgpr36
                                        ; implicit-def: $vgpr35
                                        ; implicit-def: $vgpr34
                                        ; implicit-def: $vgpr33
                                        ; implicit-def: $vgpr32
                                        ; implicit-def: $vgpr31
                                        ; implicit-def: $vgpr30
                                        ; implicit-def: $vgpr26
                                        ; implicit-def: $vgpr27
                                        ; implicit-def: $vgpr28
                                        ; implicit-def: $vgpr29
	s_load_dwordx2 s[26:27], s[4:5], 0x28
	s_load_dwordx2 s[36:37], s[4:5], 0x68
.LBB2021_7:
	v_cmp_gt_u32_e32 vcc, s33, v25
	v_mov_b32_e32 v27, 0
	v_mov_b32_e32 v26, 0
	s_and_saveexec_b64 s[2:3], vcc
	s_cbranch_execz .LBB2021_9
; %bb.8:
	v_add_u32_e32 v1, s9, v13
	v_add_u32_e32 v2, s11, v13
	v_mul_lo_u32 v1, v1, s8
	v_mul_lo_u32 v2, v2, s10
	v_sub_u32_e32 v1, v1, v2
	v_cmp_lt_u32_e32 vcc, s7, v1
	v_cndmask_b32_e64 v26, 0, 1, vcc
.LBB2021_9:
	s_or_b64 exec, exec, s[2:3]
	v_add_u32_e32 v1, 1, v25
	v_cmp_gt_u32_e32 vcc, s33, v1
	s_and_saveexec_b64 s[2:3], vcc
	s_cbranch_execz .LBB2021_11
; %bb.10:
	v_add_u32_e32 v1, s9, v14
	v_add_u32_e32 v2, s11, v14
	v_mul_lo_u32 v1, v1, s8
	v_mul_lo_u32 v2, v2, s10
	v_sub_u32_e32 v1, v1, v2
	v_cmp_lt_u32_e32 vcc, s7, v1
	v_cndmask_b32_e64 v27, 0, 1, vcc
.LBB2021_11:
	s_or_b64 exec, exec, s[2:3]
	v_add_u32_e32 v1, 2, v25
	v_cmp_gt_u32_e32 vcc, s33, v1
	v_mov_b32_e32 v29, 0
	v_mov_b32_e32 v28, 0
	s_and_saveexec_b64 s[2:3], vcc
	s_cbranch_execz .LBB2021_13
; %bb.12:
	v_add_u32_e32 v1, s9, v11
	v_add_u32_e32 v2, s11, v11
	v_mul_lo_u32 v1, v1, s8
	v_mul_lo_u32 v2, v2, s10
	v_sub_u32_e32 v1, v1, v2
	v_cmp_lt_u32_e32 vcc, s7, v1
	v_cndmask_b32_e64 v28, 0, 1, vcc
.LBB2021_13:
	s_or_b64 exec, exec, s[2:3]
	v_add_u32_e32 v1, 3, v25
	v_cmp_gt_u32_e32 vcc, s33, v1
	s_and_saveexec_b64 s[2:3], vcc
	s_cbranch_execz .LBB2021_15
; %bb.14:
	v_add_u32_e32 v1, s9, v12
	v_add_u32_e32 v2, s11, v12
	v_mul_lo_u32 v1, v1, s8
	v_mul_lo_u32 v2, v2, s10
	v_sub_u32_e32 v1, v1, v2
	v_cmp_lt_u32_e32 vcc, s7, v1
	v_cndmask_b32_e64 v29, 0, 1, vcc
.LBB2021_15:
	s_or_b64 exec, exec, s[2:3]
	v_add_u32_e32 v1, 4, v25
	;; [unrolled: 30-line block ×6, first 2 shown]
	v_cmp_gt_u32_e32 vcc, s33, v1
	s_mov_b64 s[38:39], 0
	s_and_saveexec_b64 s[2:3], vcc
	s_cbranch_execz .LBB2021_33
; %bb.32:
	v_add_u32_e32 v1, s9, v24
	v_add_u32_e32 v2, s11, v24
	v_mul_lo_u32 v1, v1, s8
	v_mul_lo_u32 v2, v2, s10
	v_sub_u32_e32 v1, v1, v2
	v_cmp_lt_u32_e32 vcc, s7, v1
	s_and_b64 s[38:39], vcc, exec
.LBB2021_33:
	s_or_b64 exec, exec, s[2:3]
.LBB2021_34:
	v_and_b32_e32 v40, 0xff, v27
	v_and_b32_e32 v41, 0xff, v28
	;; [unrolled: 1-line block ×5, first 2 shown]
	v_add3_u32 v2, v41, v42, v40
	v_and_b32_e32 v44, 0xff, v31
	v_and_b32_e32 v45, 0xff, v32
	v_add3_u32 v2, v2, v39, v43
	v_and_b32_e32 v46, 0xff, v33
	v_and_b32_e32 v47, 0xff, v34
	;; [unrolled: 3-line block ×3, first 2 shown]
	v_add3_u32 v2, v2, v46, v47
	v_and_b32_e32 v38, 0xff, v37
	v_cndmask_b32_e64 v1, 0, 1, s[38:39]
	v_add3_u32 v2, v2, v48, v49
	v_add3_u32 v52, v2, v38, v1
	v_mbcnt_lo_u32_b32 v1, -1, 0
	v_mbcnt_hi_u32_b32 v50, -1, v1
	v_and_b32_e32 v1, 15, v50
	v_cmp_eq_u32_e64 s[14:15], 0, v1
	v_cmp_lt_u32_e64 s[12:13], 1, v1
	v_cmp_lt_u32_e64 s[10:11], 3, v1
	;; [unrolled: 1-line block ×3, first 2 shown]
	v_and_b32_e32 v1, 16, v50
	v_cmp_eq_u32_e64 s[18:19], 0, v1
	v_or_b32_e32 v1, 63, v0
	s_cmp_lg_u32 s6, 0
	v_cmp_lt_u32_e64 s[2:3], 31, v50
	v_lshrrev_b32_e32 v51, 6, v0
	v_cmp_eq_u32_e64 s[4:5], v0, v1
	s_cbranch_scc0 .LBB2021_56
; %bb.35:
	v_mov_b32_dpp v1, v52 row_shr:1 row_mask:0xf bank_mask:0xf
	v_cndmask_b32_e64 v1, v1, 0, s[14:15]
	v_add_u32_e32 v1, v1, v52
	s_nop 1
	v_mov_b32_dpp v2, v1 row_shr:2 row_mask:0xf bank_mask:0xf
	v_cndmask_b32_e64 v2, 0, v2, s[12:13]
	v_add_u32_e32 v1, v1, v2
	s_nop 1
	;; [unrolled: 4-line block ×4, first 2 shown]
	v_mov_b32_dpp v2, v1 row_bcast:15 row_mask:0xf bank_mask:0xf
	v_cndmask_b32_e64 v2, v2, 0, s[18:19]
	v_add_u32_e32 v1, v1, v2
	s_nop 1
	v_mov_b32_dpp v2, v1 row_bcast:31 row_mask:0xf bank_mask:0xf
	v_cndmask_b32_e64 v2, 0, v2, s[2:3]
	v_add_u32_e32 v1, v1, v2
	s_and_saveexec_b64 s[16:17], s[4:5]
; %bb.36:
	v_lshlrev_b32_e32 v2, 2, v51
	ds_write_b32 v2, v1
; %bb.37:
	s_or_b64 exec, exec, s[16:17]
	v_cmp_gt_u32_e32 vcc, 4, v0
	s_waitcnt lgkmcnt(0)
	s_barrier
	s_and_saveexec_b64 s[16:17], vcc
	s_cbranch_execz .LBB2021_39
; %bb.38:
	ds_read_b32 v2, v23
	v_and_b32_e32 v15, 3, v50
	v_cmp_ne_u32_e32 vcc, 0, v15
	s_waitcnt lgkmcnt(0)
	v_mov_b32_dpp v16, v2 row_shr:1 row_mask:0xf bank_mask:0xf
	v_cndmask_b32_e32 v16, 0, v16, vcc
	v_add_u32_e32 v2, v16, v2
	v_cmp_lt_u32_e32 vcc, 1, v15
	s_nop 0
	v_mov_b32_dpp v16, v2 row_shr:2 row_mask:0xf bank_mask:0xf
	v_cndmask_b32_e32 v15, 0, v16, vcc
	v_add_u32_e32 v2, v2, v15
	ds_write_b32 v23, v2
.LBB2021_39:
	s_or_b64 exec, exec, s[16:17]
	v_cmp_gt_u32_e32 vcc, 64, v0
	v_cmp_lt_u32_e64 s[16:17], 63, v0
	s_waitcnt lgkmcnt(0)
	s_barrier
                                        ; implicit-def: $vgpr53
	s_and_saveexec_b64 s[20:21], s[16:17]
	s_cbranch_execz .LBB2021_41
; %bb.40:
	v_lshl_add_u32 v2, v51, 2, -4
	ds_read_b32 v53, v2
	s_waitcnt lgkmcnt(0)
	v_add_u32_e32 v1, v53, v1
.LBB2021_41:
	s_or_b64 exec, exec, s[20:21]
	v_subrev_co_u32_e64 v2, s[16:17], 1, v50
	v_and_b32_e32 v15, 64, v50
	v_cmp_lt_i32_e64 s[20:21], v2, v15
	v_cndmask_b32_e64 v2, v2, v50, s[20:21]
	v_lshlrev_b32_e32 v2, 2, v2
	ds_bpermute_b32 v54, v2, v1
	s_and_saveexec_b64 s[20:21], vcc
	s_cbranch_execz .LBB2021_61
; %bb.42:
	v_mov_b32_e32 v19, 0
	ds_read_b32 v1, v19 offset:12
	s_and_saveexec_b64 s[40:41], s[16:17]
	s_cbranch_execz .LBB2021_44
; %bb.43:
	s_add_i32 s42, s6, 64
	s_mov_b32 s43, 0
	s_lshl_b64 s[42:43], s[42:43], 3
	s_add_u32 s42, s36, s42
	v_mov_b32_e32 v2, 1
	s_addc_u32 s43, s37, s43
	s_waitcnt lgkmcnt(0)
	global_store_dwordx2 v19, v[1:2], s[42:43]
.LBB2021_44:
	s_or_b64 exec, exec, s[40:41]
	v_xad_u32 v15, v50, -1, s6
	v_add_u32_e32 v18, 64, v15
	v_lshlrev_b64 v[16:17], 3, v[18:19]
	v_mov_b32_e32 v2, s37
	v_add_co_u32_e32 v20, vcc, s36, v16
	v_addc_co_u32_e32 v21, vcc, v2, v17, vcc
	global_load_dwordx2 v[17:18], v[20:21], off glc
	s_waitcnt vmcnt(0)
	v_cmp_eq_u16_sdwa s[42:43], v18, v19 src0_sel:BYTE_0 src1_sel:DWORD
	s_and_saveexec_b64 s[40:41], s[42:43]
	s_cbranch_execz .LBB2021_48
; %bb.45:
	s_mov_b64 s[42:43], 0
	v_mov_b32_e32 v2, 0
.LBB2021_46:                            ; =>This Inner Loop Header: Depth=1
	global_load_dwordx2 v[17:18], v[20:21], off glc
	s_waitcnt vmcnt(0)
	v_cmp_ne_u16_sdwa s[46:47], v18, v2 src0_sel:BYTE_0 src1_sel:DWORD
	s_or_b64 s[42:43], s[46:47], s[42:43]
	s_andn2_b64 exec, exec, s[42:43]
	s_cbranch_execnz .LBB2021_46
; %bb.47:
	s_or_b64 exec, exec, s[42:43]
.LBB2021_48:
	s_or_b64 exec, exec, s[40:41]
	v_and_b32_e32 v56, 63, v50
	v_mov_b32_e32 v55, 2
	v_lshlrev_b64 v[19:20], v50, -1
	v_cmp_ne_u32_e32 vcc, 63, v56
	v_cmp_eq_u16_sdwa s[40:41], v18, v55 src0_sel:BYTE_0 src1_sel:DWORD
	v_addc_co_u32_e32 v21, vcc, 0, v50, vcc
	v_and_b32_e32 v2, s41, v20
	v_lshlrev_b32_e32 v57, 2, v21
	v_or_b32_e32 v2, 0x80000000, v2
	ds_bpermute_b32 v21, v57, v17
	v_and_b32_e32 v16, s40, v19
	v_ffbl_b32_e32 v2, v2
	v_add_u32_e32 v2, 32, v2
	v_ffbl_b32_e32 v16, v16
	v_min_u32_e32 v2, v16, v2
	v_cmp_lt_u32_e32 vcc, v56, v2
	s_waitcnt lgkmcnt(0)
	v_cndmask_b32_e32 v16, 0, v21, vcc
	v_cmp_gt_u32_e32 vcc, 62, v56
	v_add_u32_e32 v16, v16, v17
	v_cndmask_b32_e64 v17, 0, 2, vcc
	v_add_lshl_u32 v58, v17, v50, 2
	ds_bpermute_b32 v17, v58, v16
	v_add_u32_e32 v59, 2, v56
	v_cmp_le_u32_e32 vcc, v59, v2
	v_add_u32_e32 v61, 4, v56
	v_add_u32_e32 v63, 8, v56
	s_waitcnt lgkmcnt(0)
	v_cndmask_b32_e32 v17, 0, v17, vcc
	v_cmp_gt_u32_e32 vcc, 60, v56
	v_add_u32_e32 v16, v16, v17
	v_cndmask_b32_e64 v17, 0, 4, vcc
	v_add_lshl_u32 v60, v17, v50, 2
	ds_bpermute_b32 v17, v60, v16
	v_cmp_le_u32_e32 vcc, v61, v2
	v_add_u32_e32 v65, 16, v56
	v_add_u32_e32 v67, 32, v56
	s_waitcnt lgkmcnt(0)
	v_cndmask_b32_e32 v17, 0, v17, vcc
	v_cmp_gt_u32_e32 vcc, 56, v56
	v_add_u32_e32 v16, v16, v17
	v_cndmask_b32_e64 v17, 0, 8, vcc
	v_add_lshl_u32 v62, v17, v50, 2
	ds_bpermute_b32 v17, v62, v16
	v_cmp_le_u32_e32 vcc, v63, v2
	s_waitcnt lgkmcnt(0)
	v_cndmask_b32_e32 v17, 0, v17, vcc
	v_cmp_gt_u32_e32 vcc, 48, v56
	v_add_u32_e32 v16, v16, v17
	v_cndmask_b32_e64 v17, 0, 16, vcc
	v_add_lshl_u32 v64, v17, v50, 2
	ds_bpermute_b32 v17, v64, v16
	v_cmp_le_u32_e32 vcc, v65, v2
	s_waitcnt lgkmcnt(0)
	v_cndmask_b32_e32 v17, 0, v17, vcc
	v_add_u32_e32 v16, v16, v17
	v_mov_b32_e32 v17, 0x80
	v_lshl_or_b32 v66, v50, 2, v17
	ds_bpermute_b32 v17, v66, v16
	v_cmp_le_u32_e32 vcc, v67, v2
	s_waitcnt lgkmcnt(0)
	v_cndmask_b32_e32 v2, 0, v17, vcc
	v_add_u32_e32 v17, v16, v2
	v_mov_b32_e32 v16, 0
	s_branch .LBB2021_52
.LBB2021_49:                            ;   in Loop: Header=BB2021_52 Depth=1
	s_or_b64 exec, exec, s[42:43]
.LBB2021_50:                            ;   in Loop: Header=BB2021_52 Depth=1
	s_or_b64 exec, exec, s[40:41]
	v_cmp_eq_u16_sdwa s[40:41], v18, v55 src0_sel:BYTE_0 src1_sel:DWORD
	v_and_b32_e32 v21, s41, v20
	v_or_b32_e32 v21, 0x80000000, v21
	ds_bpermute_b32 v68, v57, v17
	v_and_b32_e32 v22, s40, v19
	v_ffbl_b32_e32 v21, v21
	v_add_u32_e32 v21, 32, v21
	v_ffbl_b32_e32 v22, v22
	v_min_u32_e32 v21, v22, v21
	v_cmp_lt_u32_e32 vcc, v56, v21
	s_waitcnt lgkmcnt(0)
	v_cndmask_b32_e32 v22, 0, v68, vcc
	v_add_u32_e32 v17, v22, v17
	ds_bpermute_b32 v22, v58, v17
	v_cmp_le_u32_e32 vcc, v59, v21
	v_subrev_u32_e32 v15, 64, v15
	s_mov_b64 s[40:41], 0
	s_waitcnt lgkmcnt(0)
	v_cndmask_b32_e32 v22, 0, v22, vcc
	v_add_u32_e32 v17, v17, v22
	ds_bpermute_b32 v22, v60, v17
	v_cmp_le_u32_e32 vcc, v61, v21
	s_waitcnt lgkmcnt(0)
	v_cndmask_b32_e32 v22, 0, v22, vcc
	v_add_u32_e32 v17, v17, v22
	ds_bpermute_b32 v22, v62, v17
	v_cmp_le_u32_e32 vcc, v63, v21
	;; [unrolled: 5-line block ×4, first 2 shown]
	s_waitcnt lgkmcnt(0)
	v_cndmask_b32_e32 v21, 0, v22, vcc
	v_add3_u32 v17, v21, v2, v17
.LBB2021_51:                            ;   in Loop: Header=BB2021_52 Depth=1
	s_and_b64 vcc, exec, s[40:41]
	s_cbranch_vccnz .LBB2021_57
.LBB2021_52:                            ; =>This Loop Header: Depth=1
                                        ;     Child Loop BB2021_55 Depth 2
	v_cmp_ne_u16_sdwa s[40:41], v18, v55 src0_sel:BYTE_0 src1_sel:DWORD
	v_mov_b32_e32 v2, v17
	s_cmp_lg_u64 s[40:41], exec
	s_mov_b64 s[40:41], -1
                                        ; implicit-def: $vgpr17
                                        ; implicit-def: $vgpr18
	s_cbranch_scc1 .LBB2021_51
; %bb.53:                               ;   in Loop: Header=BB2021_52 Depth=1
	v_lshlrev_b64 v[17:18], 3, v[15:16]
	v_mov_b32_e32 v22, s37
	v_add_co_u32_e32 v21, vcc, s36, v17
	v_addc_co_u32_e32 v22, vcc, v22, v18, vcc
	global_load_dwordx2 v[17:18], v[21:22], off glc
	s_waitcnt vmcnt(0)
	v_cmp_eq_u16_sdwa s[42:43], v18, v16 src0_sel:BYTE_0 src1_sel:DWORD
	s_and_saveexec_b64 s[40:41], s[42:43]
	s_cbranch_execz .LBB2021_50
; %bb.54:                               ;   in Loop: Header=BB2021_52 Depth=1
	s_mov_b64 s[42:43], 0
.LBB2021_55:                            ;   Parent Loop BB2021_52 Depth=1
                                        ; =>  This Inner Loop Header: Depth=2
	global_load_dwordx2 v[17:18], v[21:22], off glc
	s_waitcnt vmcnt(0)
	v_cmp_ne_u16_sdwa s[46:47], v18, v16 src0_sel:BYTE_0 src1_sel:DWORD
	s_or_b64 s[42:43], s[46:47], s[42:43]
	s_andn2_b64 exec, exec, s[42:43]
	s_cbranch_execnz .LBB2021_55
	s_branch .LBB2021_49
.LBB2021_56:
                                        ; implicit-def: $vgpr2
                                        ; implicit-def: $vgpr15
	s_cbranch_execnz .LBB2021_62
	s_branch .LBB2021_71
.LBB2021_57:
	s_and_saveexec_b64 s[40:41], s[16:17]
	s_cbranch_execz .LBB2021_59
; %bb.58:
	s_add_i32 s6, s6, 64
	s_mov_b32 s7, 0
	s_lshl_b64 s[6:7], s[6:7], 3
	s_add_u32 s6, s36, s6
	v_add_u32_e32 v15, v2, v1
	v_mov_b32_e32 v16, 2
	s_addc_u32 s7, s37, s7
	v_mov_b32_e32 v17, 0
	global_store_dwordx2 v17, v[15:16], s[6:7]
	ds_write_b64 v17, v[1:2] offset:13312
.LBB2021_59:
	s_or_b64 exec, exec, s[40:41]
	v_cmp_eq_u32_e32 vcc, 0, v0
	s_and_b64 exec, exec, vcc
; %bb.60:
	v_mov_b32_e32 v1, 0
	ds_write_b32 v1, v2 offset:12
.LBB2021_61:
	s_or_b64 exec, exec, s[20:21]
	v_mov_b32_e32 v1, 0
	s_waitcnt vmcnt(0) lgkmcnt(0)
	s_barrier
	ds_read_b32 v16, v1 offset:12
	s_waitcnt lgkmcnt(0)
	s_barrier
	ds_read_b64 v[1:2], v1 offset:13312
	v_cndmask_b32_e64 v15, v54, v53, s[16:17]
	v_cmp_ne_u32_e32 vcc, 0, v0
	v_cndmask_b32_e32 v15, 0, v15, vcc
	v_add_u32_e32 v15, v16, v15
	s_branch .LBB2021_71
.LBB2021_62:
	s_waitcnt lgkmcnt(0)
	v_mov_b32_dpp v1, v52 row_shr:1 row_mask:0xf bank_mask:0xf
	v_cndmask_b32_e64 v1, v1, 0, s[14:15]
	v_add_u32_e32 v1, v1, v52
	s_nop 1
	v_mov_b32_dpp v2, v1 row_shr:2 row_mask:0xf bank_mask:0xf
	v_cndmask_b32_e64 v2, 0, v2, s[12:13]
	v_add_u32_e32 v1, v1, v2
	s_nop 1
	;; [unrolled: 4-line block ×4, first 2 shown]
	v_mov_b32_dpp v2, v1 row_bcast:15 row_mask:0xf bank_mask:0xf
	v_cndmask_b32_e64 v2, v2, 0, s[18:19]
	v_add_u32_e32 v1, v1, v2
	s_nop 1
	v_mov_b32_dpp v2, v1 row_bcast:31 row_mask:0xf bank_mask:0xf
	v_cndmask_b32_e64 v2, 0, v2, s[2:3]
	v_add_u32_e32 v1, v1, v2
	s_and_saveexec_b64 s[2:3], s[4:5]
; %bb.63:
	v_lshlrev_b32_e32 v2, 2, v51
	ds_write_b32 v2, v1
; %bb.64:
	s_or_b64 exec, exec, s[2:3]
	v_cmp_gt_u32_e32 vcc, 4, v0
	s_waitcnt lgkmcnt(0)
	s_barrier
	s_and_saveexec_b64 s[2:3], vcc
	s_cbranch_execz .LBB2021_66
; %bb.65:
	ds_read_b32 v2, v23
	v_and_b32_e32 v15, 3, v50
	v_cmp_ne_u32_e32 vcc, 0, v15
	s_waitcnt lgkmcnt(0)
	v_mov_b32_dpp v16, v2 row_shr:1 row_mask:0xf bank_mask:0xf
	v_cndmask_b32_e32 v16, 0, v16, vcc
	v_add_u32_e32 v2, v16, v2
	v_cmp_lt_u32_e32 vcc, 1, v15
	s_nop 0
	v_mov_b32_dpp v16, v2 row_shr:2 row_mask:0xf bank_mask:0xf
	v_cndmask_b32_e32 v15, 0, v16, vcc
	v_add_u32_e32 v2, v2, v15
	ds_write_b32 v23, v2
.LBB2021_66:
	s_or_b64 exec, exec, s[2:3]
	v_cmp_lt_u32_e32 vcc, 63, v0
	v_mov_b32_e32 v2, 0
	v_mov_b32_e32 v15, 0
	s_waitcnt lgkmcnt(0)
	s_barrier
	s_and_saveexec_b64 s[2:3], vcc
; %bb.67:
	v_lshl_add_u32 v15, v51, 2, -4
	ds_read_b32 v15, v15
; %bb.68:
	s_or_b64 exec, exec, s[2:3]
	v_subrev_co_u32_e32 v16, vcc, 1, v50
	v_and_b32_e32 v17, 64, v50
	v_cmp_lt_i32_e64 s[2:3], v16, v17
	v_cndmask_b32_e64 v16, v16, v50, s[2:3]
	s_waitcnt lgkmcnt(0)
	v_add_u32_e32 v1, v15, v1
	v_lshlrev_b32_e32 v16, 2, v16
	ds_bpermute_b32 v16, v16, v1
	ds_read_b32 v1, v2 offset:12
	v_cmp_eq_u32_e64 s[2:3], 0, v0
	s_and_saveexec_b64 s[4:5], s[2:3]
	s_cbranch_execz .LBB2021_70
; %bb.69:
	v_mov_b32_e32 v17, 0
	v_mov_b32_e32 v2, 2
	s_waitcnt lgkmcnt(0)
	global_store_dwordx2 v17, v[1:2], s[36:37] offset:512
.LBB2021_70:
	s_or_b64 exec, exec, s[4:5]
	s_waitcnt lgkmcnt(1)
	v_cndmask_b32_e32 v2, v16, v15, vcc
	v_cndmask_b32_e64 v15, v2, 0, s[2:3]
	s_waitcnt vmcnt(0) lgkmcnt(0)
	s_barrier
	v_mov_b32_e32 v2, 0
.LBB2021_71:
	v_add_u32_e32 v16, v15, v39
	v_add_u32_e32 v17, v16, v40
	;; [unrolled: 1-line block ×4, first 2 shown]
	s_waitcnt lgkmcnt(0)
	v_add_u32_e32 v25, v1, v25
	v_sub_u32_e32 v15, v15, v2
	v_and_b32_e32 v26, 1, v26
	v_add_u32_e32 v20, v19, v43
	v_sub_u32_e32 v43, v25, v15
	v_cmp_eq_u32_e32 vcc, 1, v26
	v_cndmask_b32_e32 v15, v43, v15, vcc
	v_lshlrev_b32_e32 v15, 2, v15
	ds_write_b32 v15, v13
	v_sub_u32_e32 v13, v16, v2
	v_sub_u32_e32 v15, v25, v13
	v_and_b32_e32 v16, 1, v27
	v_add_u32_e32 v15, 1, v15
	v_cmp_eq_u32_e32 vcc, 1, v16
	v_cndmask_b32_e32 v13, v15, v13, vcc
	v_lshlrev_b32_e32 v13, 2, v13
	ds_write_b32 v13, v14
	v_sub_u32_e32 v13, v17, v2
	v_sub_u32_e32 v14, v25, v13
	v_and_b32_e32 v15, 1, v28
	v_add_u32_e32 v14, 2, v14
	;; [unrolled: 8-line block ×5, first 2 shown]
	v_cmp_eq_u32_e32 vcc, 1, v12
	v_cndmask_b32_e32 v9, v11, v9, vcc
	v_add_u32_e32 v21, v20, v44
	v_lshlrev_b32_e32 v9, 2, v9
	ds_write_b32 v9, v10
	v_sub_u32_e32 v9, v21, v2
	v_sub_u32_e32 v10, v25, v9
	v_and_b32_e32 v11, 1, v32
	v_add_u32_e32 v10, 6, v10
	v_cmp_eq_u32_e32 vcc, 1, v11
	v_cndmask_b32_e32 v9, v10, v9, vcc
	v_add_u32_e32 v22, v21, v45
	v_lshlrev_b32_e32 v9, 2, v9
	ds_write_b32 v9, v7
	v_sub_u32_e32 v7, v22, v2
	v_sub_u32_e32 v9, v25, v7
	v_and_b32_e32 v10, 1, v33
	v_add_u32_e32 v9, 7, v9
	;; [unrolled: 9-line block ×6, first 2 shown]
	v_cmp_eq_u32_e32 vcc, 1, v6
	v_cndmask_b32_e32 v3, v5, v3, vcc
	v_lshlrev_b32_e32 v3, 2, v3
	ds_write_b32 v3, v4
	v_sub_u32_e32 v3, v38, v2
	v_add_u32_e32 v3, v42, v3
	v_sub_u32_e32 v4, v25, v3
	v_add_u32_e32 v4, 12, v4
	v_cndmask_b32_e64 v3, v4, v3, s[38:39]
	v_lshlrev_b32_e32 v3, 2, v3
	ds_write_b32 v3, v24
	s_waitcnt lgkmcnt(0)
	s_barrier
	ds_read2st64_b32 v[13:14], v23 offset1:4
	ds_read2st64_b32 v[11:12], v23 offset0:8 offset1:12
	ds_read2st64_b32 v[9:10], v23 offset0:16 offset1:20
	;; [unrolled: 1-line block ×5, first 2 shown]
	ds_read_b32 v19, v23 offset:12288
	v_mov_b32_e32 v15, s35
	s_and_b64 vcc, exec, s[0:1]
	v_add_co_u32_e64 v17, s[0:1], s34, v2
	v_or_b32_e32 v33, 0x100, v0
	v_or_b32_e32 v31, 0x200, v0
	;; [unrolled: 1-line block ×12, first 2 shown]
	v_addc_co_u32_e64 v18, s[0:1], 0, v15, s[0:1]
	s_cbranch_vccnz .LBB2021_125
; %bb.72:
	v_mov_b32_e32 v2, s31
	v_subrev_co_u32_e32 v15, vcc, s30, v17
	s_sub_u32 s0, s28, s44
	v_subb_co_u32_e32 v16, vcc, v18, v2, vcc
	s_subb_u32 s1, s29, 0
	v_mov_b32_e32 v2, s1
	v_add_co_u32_e32 v23, vcc, s0, v1
	v_addc_co_u32_e32 v32, vcc, 0, v2, vcc
	v_add_co_u32_e32 v2, vcc, v23, v15
	v_addc_co_u32_e32 v23, vcc, v32, v16, vcc
	v_cmp_ge_u32_e32 vcc, v0, v1
                                        ; implicit-def: $vgpr15_vgpr16
	s_and_saveexec_b64 s[0:1], vcc
	s_xor_b64 s[0:1], exec, s[0:1]
; %bb.73:
	v_not_b32_e32 v15, v0
	v_ashrrev_i32_e32 v16, 31, v15
	v_add_co_u32_e32 v15, vcc, v2, v15
	v_addc_co_u32_e32 v16, vcc, v23, v16, vcc
; %bb.74:
	s_andn2_saveexec_b64 s[0:1], s[0:1]
; %bb.75:
	v_add_co_u32_e32 v15, vcc, v17, v0
	v_addc_co_u32_e32 v16, vcc, 0, v18, vcc
; %bb.76:
	s_or_b64 exec, exec, s[0:1]
	v_lshlrev_b64 v[15:16], 2, v[15:16]
	v_mov_b32_e32 v32, s27
	v_add_co_u32_e32 v15, vcc, s26, v15
	v_addc_co_u32_e32 v16, vcc, v32, v16, vcc
	v_cmp_ge_u32_e32 vcc, v33, v1
	s_waitcnt lgkmcnt(6)
	global_store_dword v[15:16], v13, off
                                        ; implicit-def: $vgpr15_vgpr16
	s_and_saveexec_b64 s[0:1], vcc
	s_xor_b64 s[0:1], exec, s[0:1]
; %bb.77:
	v_xor_b32_e32 v15, 0xfffffeff, v0
	v_ashrrev_i32_e32 v16, 31, v15
	v_add_co_u32_e32 v15, vcc, v2, v15
	v_addc_co_u32_e32 v16, vcc, v23, v16, vcc
; %bb.78:
	s_andn2_saveexec_b64 s[0:1], s[0:1]
; %bb.79:
	v_add_co_u32_e32 v15, vcc, v17, v33
	v_addc_co_u32_e32 v16, vcc, 0, v18, vcc
; %bb.80:
	s_or_b64 exec, exec, s[0:1]
	v_lshlrev_b64 v[15:16], 2, v[15:16]
	v_mov_b32_e32 v32, s27
	v_add_co_u32_e32 v15, vcc, s26, v15
	v_addc_co_u32_e32 v16, vcc, v32, v16, vcc
	v_cmp_ge_u32_e32 vcc, v31, v1
	global_store_dword v[15:16], v14, off
                                        ; implicit-def: $vgpr15_vgpr16
	s_and_saveexec_b64 s[0:1], vcc
	s_xor_b64 s[0:1], exec, s[0:1]
; %bb.81:
	v_xor_b32_e32 v15, 0xfffffdff, v0
	v_ashrrev_i32_e32 v16, 31, v15
	v_add_co_u32_e32 v15, vcc, v2, v15
	v_addc_co_u32_e32 v16, vcc, v23, v16, vcc
; %bb.82:
	s_andn2_saveexec_b64 s[0:1], s[0:1]
; %bb.83:
	v_add_co_u32_e32 v15, vcc, v17, v31
	v_addc_co_u32_e32 v16, vcc, 0, v18, vcc
; %bb.84:
	s_or_b64 exec, exec, s[0:1]
	v_lshlrev_b64 v[15:16], 2, v[15:16]
	v_mov_b32_e32 v32, s27
	v_add_co_u32_e32 v15, vcc, s26, v15
	v_addc_co_u32_e32 v16, vcc, v32, v16, vcc
	v_cmp_ge_u32_e32 vcc, v30, v1
	s_waitcnt lgkmcnt(5)
	global_store_dword v[15:16], v11, off
                                        ; implicit-def: $vgpr15_vgpr16
	s_and_saveexec_b64 s[0:1], vcc
	s_xor_b64 s[0:1], exec, s[0:1]
; %bb.85:
	v_xor_b32_e32 v15, 0xfffffcff, v0
	v_ashrrev_i32_e32 v16, 31, v15
	v_add_co_u32_e32 v15, vcc, v2, v15
	v_addc_co_u32_e32 v16, vcc, v23, v16, vcc
; %bb.86:
	s_andn2_saveexec_b64 s[0:1], s[0:1]
; %bb.87:
	v_add_co_u32_e32 v15, vcc, v17, v30
	v_addc_co_u32_e32 v16, vcc, 0, v18, vcc
; %bb.88:
	s_or_b64 exec, exec, s[0:1]
	v_lshlrev_b64 v[15:16], 2, v[15:16]
	v_mov_b32_e32 v32, s27
	v_add_co_u32_e32 v15, vcc, s26, v15
	v_addc_co_u32_e32 v16, vcc, v32, v16, vcc
	v_cmp_ge_u32_e32 vcc, v29, v1
	global_store_dword v[15:16], v12, off
                                        ; implicit-def: $vgpr15_vgpr16
	s_and_saveexec_b64 s[0:1], vcc
	s_xor_b64 s[0:1], exec, s[0:1]
; %bb.89:
	v_xor_b32_e32 v15, 0xfffffbff, v0
	v_ashrrev_i32_e32 v16, 31, v15
	v_add_co_u32_e32 v15, vcc, v2, v15
	v_addc_co_u32_e32 v16, vcc, v23, v16, vcc
; %bb.90:
	s_andn2_saveexec_b64 s[0:1], s[0:1]
; %bb.91:
	v_add_co_u32_e32 v15, vcc, v17, v29
	v_addc_co_u32_e32 v16, vcc, 0, v18, vcc
; %bb.92:
	s_or_b64 exec, exec, s[0:1]
	v_lshlrev_b64 v[15:16], 2, v[15:16]
	v_mov_b32_e32 v32, s27
	v_add_co_u32_e32 v15, vcc, s26, v15
	v_addc_co_u32_e32 v16, vcc, v32, v16, vcc
	v_cmp_ge_u32_e32 vcc, v28, v1
	s_waitcnt lgkmcnt(4)
	global_store_dword v[15:16], v9, off
                                        ; implicit-def: $vgpr15_vgpr16
	s_and_saveexec_b64 s[0:1], vcc
	s_xor_b64 s[0:1], exec, s[0:1]
; %bb.93:
	v_xor_b32_e32 v15, 0xfffffaff, v0
	v_ashrrev_i32_e32 v16, 31, v15
	v_add_co_u32_e32 v15, vcc, v2, v15
	v_addc_co_u32_e32 v16, vcc, v23, v16, vcc
; %bb.94:
	s_andn2_saveexec_b64 s[0:1], s[0:1]
; %bb.95:
	v_add_co_u32_e32 v15, vcc, v17, v28
	v_addc_co_u32_e32 v16, vcc, 0, v18, vcc
; %bb.96:
	s_or_b64 exec, exec, s[0:1]
	v_lshlrev_b64 v[15:16], 2, v[15:16]
	v_mov_b32_e32 v32, s27
	v_add_co_u32_e32 v15, vcc, s26, v15
	v_addc_co_u32_e32 v16, vcc, v32, v16, vcc
	v_cmp_ge_u32_e32 vcc, v27, v1
	global_store_dword v[15:16], v10, off
                                        ; implicit-def: $vgpr15_vgpr16
	s_and_saveexec_b64 s[0:1], vcc
	s_xor_b64 s[0:1], exec, s[0:1]
; %bb.97:
	v_xor_b32_e32 v15, 0xfffff9ff, v0
	v_ashrrev_i32_e32 v16, 31, v15
	v_add_co_u32_e32 v15, vcc, v2, v15
	v_addc_co_u32_e32 v16, vcc, v23, v16, vcc
; %bb.98:
	s_andn2_saveexec_b64 s[0:1], s[0:1]
; %bb.99:
	v_add_co_u32_e32 v15, vcc, v17, v27
	v_addc_co_u32_e32 v16, vcc, 0, v18, vcc
; %bb.100:
	s_or_b64 exec, exec, s[0:1]
	v_lshlrev_b64 v[15:16], 2, v[15:16]
	v_mov_b32_e32 v32, s27
	v_add_co_u32_e32 v15, vcc, s26, v15
	v_addc_co_u32_e32 v16, vcc, v32, v16, vcc
	v_cmp_ge_u32_e32 vcc, v26, v1
	s_waitcnt lgkmcnt(3)
	global_store_dword v[15:16], v7, off
                                        ; implicit-def: $vgpr15_vgpr16
	s_and_saveexec_b64 s[0:1], vcc
	s_xor_b64 s[0:1], exec, s[0:1]
; %bb.101:
	v_xor_b32_e32 v15, 0xfffff8ff, v0
	v_ashrrev_i32_e32 v16, 31, v15
	v_add_co_u32_e32 v15, vcc, v2, v15
	v_addc_co_u32_e32 v16, vcc, v23, v16, vcc
; %bb.102:
	s_andn2_saveexec_b64 s[0:1], s[0:1]
; %bb.103:
	v_add_co_u32_e32 v15, vcc, v17, v26
	v_addc_co_u32_e32 v16, vcc, 0, v18, vcc
; %bb.104:
	s_or_b64 exec, exec, s[0:1]
	v_lshlrev_b64 v[15:16], 2, v[15:16]
	v_mov_b32_e32 v32, s27
	v_add_co_u32_e32 v15, vcc, s26, v15
	v_addc_co_u32_e32 v16, vcc, v32, v16, vcc
	v_cmp_ge_u32_e32 vcc, v25, v1
	global_store_dword v[15:16], v8, off
                                        ; implicit-def: $vgpr15_vgpr16
	s_and_saveexec_b64 s[0:1], vcc
	s_xor_b64 s[0:1], exec, s[0:1]
; %bb.105:
	v_xor_b32_e32 v15, 0xfffff7ff, v0
	v_ashrrev_i32_e32 v16, 31, v15
	v_add_co_u32_e32 v15, vcc, v2, v15
	v_addc_co_u32_e32 v16, vcc, v23, v16, vcc
; %bb.106:
	s_andn2_saveexec_b64 s[0:1], s[0:1]
; %bb.107:
	v_add_co_u32_e32 v15, vcc, v17, v25
	v_addc_co_u32_e32 v16, vcc, 0, v18, vcc
; %bb.108:
	s_or_b64 exec, exec, s[0:1]
	v_lshlrev_b64 v[15:16], 2, v[15:16]
	v_mov_b32_e32 v32, s27
	v_add_co_u32_e32 v15, vcc, s26, v15
	v_addc_co_u32_e32 v16, vcc, v32, v16, vcc
	v_cmp_ge_u32_e32 vcc, v24, v1
	s_waitcnt lgkmcnt(2)
	global_store_dword v[15:16], v5, off
                                        ; implicit-def: $vgpr15_vgpr16
	s_and_saveexec_b64 s[0:1], vcc
	s_xor_b64 s[0:1], exec, s[0:1]
; %bb.109:
	v_xor_b32_e32 v15, 0xfffff6ff, v0
	v_ashrrev_i32_e32 v16, 31, v15
	v_add_co_u32_e32 v15, vcc, v2, v15
	v_addc_co_u32_e32 v16, vcc, v23, v16, vcc
; %bb.110:
	s_andn2_saveexec_b64 s[0:1], s[0:1]
; %bb.111:
	v_add_co_u32_e32 v15, vcc, v17, v24
	v_addc_co_u32_e32 v16, vcc, 0, v18, vcc
; %bb.112:
	s_or_b64 exec, exec, s[0:1]
	v_lshlrev_b64 v[15:16], 2, v[15:16]
	v_mov_b32_e32 v32, s27
	v_add_co_u32_e32 v15, vcc, s26, v15
	v_addc_co_u32_e32 v16, vcc, v32, v16, vcc
	v_cmp_ge_u32_e32 vcc, v22, v1
	global_store_dword v[15:16], v6, off
                                        ; implicit-def: $vgpr15_vgpr16
	s_and_saveexec_b64 s[0:1], vcc
	s_xor_b64 s[0:1], exec, s[0:1]
; %bb.113:
	v_xor_b32_e32 v15, 0xfffff5ff, v0
	v_ashrrev_i32_e32 v16, 31, v15
	v_add_co_u32_e32 v15, vcc, v2, v15
	v_addc_co_u32_e32 v16, vcc, v23, v16, vcc
; %bb.114:
	s_andn2_saveexec_b64 s[0:1], s[0:1]
; %bb.115:
	v_add_co_u32_e32 v15, vcc, v17, v22
	v_addc_co_u32_e32 v16, vcc, 0, v18, vcc
; %bb.116:
	s_or_b64 exec, exec, s[0:1]
	v_lshlrev_b64 v[15:16], 2, v[15:16]
	v_mov_b32_e32 v32, s27
	v_add_co_u32_e32 v15, vcc, s26, v15
	v_addc_co_u32_e32 v16, vcc, v32, v16, vcc
	v_cmp_ge_u32_e32 vcc, v21, v1
	s_waitcnt lgkmcnt(1)
	global_store_dword v[15:16], v3, off
                                        ; implicit-def: $vgpr15_vgpr16
	s_and_saveexec_b64 s[0:1], vcc
	s_xor_b64 s[0:1], exec, s[0:1]
; %bb.117:
	v_xor_b32_e32 v15, 0xfffff4ff, v0
	v_ashrrev_i32_e32 v16, 31, v15
	v_add_co_u32_e32 v15, vcc, v2, v15
	v_addc_co_u32_e32 v16, vcc, v23, v16, vcc
; %bb.118:
	s_andn2_saveexec_b64 s[0:1], s[0:1]
; %bb.119:
	v_add_co_u32_e32 v15, vcc, v17, v21
	v_addc_co_u32_e32 v16, vcc, 0, v18, vcc
; %bb.120:
	s_or_b64 exec, exec, s[0:1]
	v_lshlrev_b64 v[15:16], 2, v[15:16]
	v_mov_b32_e32 v32, s27
	v_add_co_u32_e32 v15, vcc, s26, v15
	v_addc_co_u32_e32 v16, vcc, v32, v16, vcc
	v_cmp_ge_u32_e32 vcc, v20, v1
	global_store_dword v[15:16], v4, off
                                        ; implicit-def: $vgpr15_vgpr16
	s_and_saveexec_b64 s[0:1], vcc
	s_xor_b64 s[0:1], exec, s[0:1]
; %bb.121:
	v_xor_b32_e32 v15, 0xfffff3ff, v0
	v_ashrrev_i32_e32 v16, 31, v15
	v_add_co_u32_e32 v15, vcc, v2, v15
	v_addc_co_u32_e32 v16, vcc, v23, v16, vcc
; %bb.122:
	s_andn2_saveexec_b64 s[0:1], s[0:1]
; %bb.123:
	v_add_co_u32_e32 v15, vcc, v17, v20
	v_addc_co_u32_e32 v16, vcc, 0, v18, vcc
; %bb.124:
	s_or_b64 exec, exec, s[0:1]
	s_mov_b64 s[0:1], -1
	s_branch .LBB2021_205
.LBB2021_125:
	s_mov_b64 s[0:1], 0
                                        ; implicit-def: $vgpr15_vgpr16
	s_cbranch_execz .LBB2021_205
; %bb.126:
	s_add_u32 s2, s30, s44
	s_addc_u32 s3, s31, 0
	s_sub_u32 s2, s28, s2
	s_subb_u32 s3, s29, s3
	v_mov_b32_e32 v2, s3
	v_add_co_u32_e32 v15, vcc, s2, v1
	v_addc_co_u32_e32 v2, vcc, 0, v2, vcc
	v_add_co_u32_e32 v23, vcc, v15, v17
	v_addc_co_u32_e32 v32, vcc, v2, v18, vcc
	v_cmp_gt_u32_e32 vcc, s33, v0
	s_and_saveexec_b64 s[2:3], vcc
	s_cbranch_execz .LBB2021_162
; %bb.127:
	v_cmp_ge_u32_e32 vcc, v0, v1
                                        ; implicit-def: $vgpr15_vgpr16
	s_and_saveexec_b64 s[4:5], vcc
	s_xor_b64 s[4:5], exec, s[4:5]
; %bb.128:
	v_not_b32_e32 v2, v0
	v_ashrrev_i32_e32 v16, 31, v2
	v_add_co_u32_e32 v15, vcc, v23, v2
	v_addc_co_u32_e32 v16, vcc, v32, v16, vcc
; %bb.129:
	s_andn2_saveexec_b64 s[4:5], s[4:5]
; %bb.130:
	v_add_co_u32_e32 v15, vcc, v17, v0
	v_addc_co_u32_e32 v16, vcc, 0, v18, vcc
; %bb.131:
	s_or_b64 exec, exec, s[4:5]
	v_lshlrev_b64 v[15:16], 2, v[15:16]
	v_mov_b32_e32 v2, s27
	v_add_co_u32_e32 v15, vcc, s26, v15
	v_addc_co_u32_e32 v16, vcc, v2, v16, vcc
	s_waitcnt lgkmcnt(6)
	global_store_dword v[15:16], v13, off
	s_or_b64 exec, exec, s[2:3]
	v_cmp_gt_u32_e32 vcc, s33, v33
	s_and_saveexec_b64 s[2:3], vcc
	s_cbranch_execnz .LBB2021_163
.LBB2021_132:
	s_or_b64 exec, exec, s[2:3]
	v_cmp_gt_u32_e32 vcc, s33, v31
	s_and_saveexec_b64 s[2:3], vcc
	s_cbranch_execz .LBB2021_168
.LBB2021_133:
	v_cmp_ge_u32_e32 vcc, v31, v1
                                        ; implicit-def: $vgpr13_vgpr14
	s_and_saveexec_b64 s[4:5], vcc
	s_xor_b64 s[4:5], exec, s[4:5]
	s_cbranch_execz .LBB2021_135
; %bb.134:
	v_xor_b32_e32 v2, 0xfffffdff, v0
	s_waitcnt lgkmcnt(6)
	v_ashrrev_i32_e32 v14, 31, v2
	v_add_co_u32_e32 v13, vcc, v23, v2
	v_addc_co_u32_e32 v14, vcc, v32, v14, vcc
                                        ; implicit-def: $vgpr31
.LBB2021_135:
	s_andn2_saveexec_b64 s[4:5], s[4:5]
	s_cbranch_execz .LBB2021_137
; %bb.136:
	s_waitcnt lgkmcnt(6)
	v_add_co_u32_e32 v13, vcc, v17, v31
	v_addc_co_u32_e32 v14, vcc, 0, v18, vcc
.LBB2021_137:
	s_or_b64 exec, exec, s[4:5]
	s_waitcnt lgkmcnt(6)
	v_lshlrev_b64 v[13:14], 2, v[13:14]
	v_mov_b32_e32 v2, s27
	v_add_co_u32_e32 v13, vcc, s26, v13
	v_addc_co_u32_e32 v14, vcc, v2, v14, vcc
	s_waitcnt lgkmcnt(5)
	global_store_dword v[13:14], v11, off
	s_or_b64 exec, exec, s[2:3]
	v_cmp_gt_u32_e32 vcc, s33, v30
	s_and_saveexec_b64 s[2:3], vcc
	s_cbranch_execnz .LBB2021_169
.LBB2021_138:
	s_or_b64 exec, exec, s[2:3]
	v_cmp_gt_u32_e32 vcc, s33, v29
	s_and_saveexec_b64 s[2:3], vcc
	s_cbranch_execz .LBB2021_174
.LBB2021_139:
	v_cmp_ge_u32_e32 vcc, v29, v1
                                        ; implicit-def: $vgpr11_vgpr12
	s_and_saveexec_b64 s[4:5], vcc
	s_xor_b64 s[4:5], exec, s[4:5]
	s_cbranch_execz .LBB2021_141
; %bb.140:
	v_xor_b32_e32 v2, 0xfffffbff, v0
	s_waitcnt lgkmcnt(5)
	v_ashrrev_i32_e32 v12, 31, v2
	v_add_co_u32_e32 v11, vcc, v23, v2
	v_addc_co_u32_e32 v12, vcc, v32, v12, vcc
                                        ; implicit-def: $vgpr29
.LBB2021_141:
	s_andn2_saveexec_b64 s[4:5], s[4:5]
	s_cbranch_execz .LBB2021_143
; %bb.142:
	s_waitcnt lgkmcnt(5)
	v_add_co_u32_e32 v11, vcc, v17, v29
	v_addc_co_u32_e32 v12, vcc, 0, v18, vcc
.LBB2021_143:
	s_or_b64 exec, exec, s[4:5]
	s_waitcnt lgkmcnt(5)
	v_lshlrev_b64 v[11:12], 2, v[11:12]
	v_mov_b32_e32 v2, s27
	v_add_co_u32_e32 v11, vcc, s26, v11
	v_addc_co_u32_e32 v12, vcc, v2, v12, vcc
	s_waitcnt lgkmcnt(4)
	global_store_dword v[11:12], v9, off
	s_or_b64 exec, exec, s[2:3]
	v_cmp_gt_u32_e32 vcc, s33, v28
	s_and_saveexec_b64 s[2:3], vcc
	s_cbranch_execnz .LBB2021_175
.LBB2021_144:
	s_or_b64 exec, exec, s[2:3]
	v_cmp_gt_u32_e32 vcc, s33, v27
	s_and_saveexec_b64 s[2:3], vcc
	s_cbranch_execz .LBB2021_180
.LBB2021_145:
	v_cmp_ge_u32_e32 vcc, v27, v1
                                        ; implicit-def: $vgpr9_vgpr10
	s_and_saveexec_b64 s[4:5], vcc
	s_xor_b64 s[4:5], exec, s[4:5]
	s_cbranch_execz .LBB2021_147
; %bb.146:
	v_xor_b32_e32 v2, 0xfffff9ff, v0
	s_waitcnt lgkmcnt(4)
	v_ashrrev_i32_e32 v10, 31, v2
	v_add_co_u32_e32 v9, vcc, v23, v2
	v_addc_co_u32_e32 v10, vcc, v32, v10, vcc
                                        ; implicit-def: $vgpr27
.LBB2021_147:
	s_andn2_saveexec_b64 s[4:5], s[4:5]
	s_cbranch_execz .LBB2021_149
; %bb.148:
	s_waitcnt lgkmcnt(4)
	v_add_co_u32_e32 v9, vcc, v17, v27
	v_addc_co_u32_e32 v10, vcc, 0, v18, vcc
.LBB2021_149:
	s_or_b64 exec, exec, s[4:5]
	s_waitcnt lgkmcnt(4)
	v_lshlrev_b64 v[9:10], 2, v[9:10]
	v_mov_b32_e32 v2, s27
	v_add_co_u32_e32 v9, vcc, s26, v9
	v_addc_co_u32_e32 v10, vcc, v2, v10, vcc
	s_waitcnt lgkmcnt(3)
	global_store_dword v[9:10], v7, off
	s_or_b64 exec, exec, s[2:3]
	v_cmp_gt_u32_e32 vcc, s33, v26
	s_and_saveexec_b64 s[2:3], vcc
	s_cbranch_execnz .LBB2021_181
.LBB2021_150:
	s_or_b64 exec, exec, s[2:3]
	v_cmp_gt_u32_e32 vcc, s33, v25
	s_and_saveexec_b64 s[2:3], vcc
	s_cbranch_execz .LBB2021_186
.LBB2021_151:
	v_cmp_ge_u32_e32 vcc, v25, v1
                                        ; implicit-def: $vgpr7_vgpr8
	s_and_saveexec_b64 s[4:5], vcc
	s_xor_b64 s[4:5], exec, s[4:5]
	s_cbranch_execz .LBB2021_153
; %bb.152:
	v_xor_b32_e32 v2, 0xfffff7ff, v0
	s_waitcnt lgkmcnt(3)
	v_ashrrev_i32_e32 v8, 31, v2
	v_add_co_u32_e32 v7, vcc, v23, v2
	v_addc_co_u32_e32 v8, vcc, v32, v8, vcc
                                        ; implicit-def: $vgpr25
.LBB2021_153:
	s_andn2_saveexec_b64 s[4:5], s[4:5]
	s_cbranch_execz .LBB2021_155
; %bb.154:
	s_waitcnt lgkmcnt(3)
	v_add_co_u32_e32 v7, vcc, v17, v25
	v_addc_co_u32_e32 v8, vcc, 0, v18, vcc
.LBB2021_155:
	s_or_b64 exec, exec, s[4:5]
	s_waitcnt lgkmcnt(3)
	v_lshlrev_b64 v[7:8], 2, v[7:8]
	v_mov_b32_e32 v2, s27
	v_add_co_u32_e32 v7, vcc, s26, v7
	v_addc_co_u32_e32 v8, vcc, v2, v8, vcc
	s_waitcnt lgkmcnt(2)
	global_store_dword v[7:8], v5, off
	s_or_b64 exec, exec, s[2:3]
	v_cmp_gt_u32_e32 vcc, s33, v24
	s_and_saveexec_b64 s[2:3], vcc
	s_cbranch_execnz .LBB2021_187
.LBB2021_156:
	s_or_b64 exec, exec, s[2:3]
	v_cmp_gt_u32_e32 vcc, s33, v22
	s_and_saveexec_b64 s[2:3], vcc
	s_cbranch_execz .LBB2021_192
.LBB2021_157:
	v_cmp_ge_u32_e32 vcc, v22, v1
                                        ; implicit-def: $vgpr5_vgpr6
	s_and_saveexec_b64 s[4:5], vcc
	s_xor_b64 s[4:5], exec, s[4:5]
	s_cbranch_execz .LBB2021_159
; %bb.158:
	v_xor_b32_e32 v2, 0xfffff5ff, v0
	s_waitcnt lgkmcnt(2)
	v_ashrrev_i32_e32 v6, 31, v2
	v_add_co_u32_e32 v5, vcc, v23, v2
	v_addc_co_u32_e32 v6, vcc, v32, v6, vcc
                                        ; implicit-def: $vgpr22
.LBB2021_159:
	s_andn2_saveexec_b64 s[4:5], s[4:5]
	s_cbranch_execz .LBB2021_161
; %bb.160:
	s_waitcnt lgkmcnt(2)
	v_add_co_u32_e32 v5, vcc, v17, v22
	v_addc_co_u32_e32 v6, vcc, 0, v18, vcc
.LBB2021_161:
	s_or_b64 exec, exec, s[4:5]
	s_waitcnt lgkmcnt(2)
	v_lshlrev_b64 v[5:6], 2, v[5:6]
	v_mov_b32_e32 v2, s27
	v_add_co_u32_e32 v5, vcc, s26, v5
	v_addc_co_u32_e32 v6, vcc, v2, v6, vcc
	s_waitcnt lgkmcnt(1)
	global_store_dword v[5:6], v3, off
	s_or_b64 exec, exec, s[2:3]
	v_cmp_gt_u32_e32 vcc, s33, v21
	s_and_saveexec_b64 s[2:3], vcc
	s_cbranch_execz .LBB2021_198
	s_branch .LBB2021_193
.LBB2021_162:
	s_or_b64 exec, exec, s[2:3]
	v_cmp_gt_u32_e32 vcc, s33, v33
	s_and_saveexec_b64 s[2:3], vcc
	s_cbranch_execz .LBB2021_132
.LBB2021_163:
	v_cmp_ge_u32_e32 vcc, v33, v1
                                        ; implicit-def: $vgpr15_vgpr16
	s_and_saveexec_b64 s[4:5], vcc
	s_xor_b64 s[4:5], exec, s[4:5]
	s_cbranch_execz .LBB2021_165
; %bb.164:
	v_xor_b32_e32 v2, 0xfffffeff, v0
	s_waitcnt lgkmcnt(6)
	v_ashrrev_i32_e32 v13, 31, v2
	v_add_co_u32_e32 v15, vcc, v23, v2
	v_addc_co_u32_e32 v16, vcc, v32, v13, vcc
                                        ; implicit-def: $vgpr33
.LBB2021_165:
	s_andn2_saveexec_b64 s[4:5], s[4:5]
; %bb.166:
	v_add_co_u32_e32 v15, vcc, v17, v33
	v_addc_co_u32_e32 v16, vcc, 0, v18, vcc
; %bb.167:
	s_or_b64 exec, exec, s[4:5]
	v_lshlrev_b64 v[15:16], 2, v[15:16]
	v_mov_b32_e32 v2, s27
	v_add_co_u32_e32 v15, vcc, s26, v15
	v_addc_co_u32_e32 v16, vcc, v2, v16, vcc
	s_waitcnt lgkmcnt(6)
	global_store_dword v[15:16], v14, off
	s_or_b64 exec, exec, s[2:3]
	v_cmp_gt_u32_e32 vcc, s33, v31
	s_and_saveexec_b64 s[2:3], vcc
	s_cbranch_execnz .LBB2021_133
.LBB2021_168:
	s_or_b64 exec, exec, s[2:3]
	v_cmp_gt_u32_e32 vcc, s33, v30
	s_and_saveexec_b64 s[2:3], vcc
	s_cbranch_execz .LBB2021_138
.LBB2021_169:
	v_cmp_ge_u32_e32 vcc, v30, v1
                                        ; implicit-def: $vgpr13_vgpr14
	s_and_saveexec_b64 s[4:5], vcc
	s_xor_b64 s[4:5], exec, s[4:5]
	s_cbranch_execz .LBB2021_171
; %bb.170:
	v_xor_b32_e32 v2, 0xfffffcff, v0
	s_waitcnt lgkmcnt(5)
	v_ashrrev_i32_e32 v11, 31, v2
	v_add_co_u32_e32 v13, vcc, v23, v2
	v_addc_co_u32_e32 v14, vcc, v32, v11, vcc
                                        ; implicit-def: $vgpr30
.LBB2021_171:
	s_andn2_saveexec_b64 s[4:5], s[4:5]
	s_cbranch_execz .LBB2021_173
; %bb.172:
	s_waitcnt lgkmcnt(6)
	v_add_co_u32_e32 v13, vcc, v17, v30
	v_addc_co_u32_e32 v14, vcc, 0, v18, vcc
.LBB2021_173:
	s_or_b64 exec, exec, s[4:5]
	s_waitcnt lgkmcnt(6)
	v_lshlrev_b64 v[13:14], 2, v[13:14]
	v_mov_b32_e32 v2, s27
	v_add_co_u32_e32 v13, vcc, s26, v13
	v_addc_co_u32_e32 v14, vcc, v2, v14, vcc
	s_waitcnt lgkmcnt(5)
	global_store_dword v[13:14], v12, off
	s_or_b64 exec, exec, s[2:3]
	v_cmp_gt_u32_e32 vcc, s33, v29
	s_and_saveexec_b64 s[2:3], vcc
	s_cbranch_execnz .LBB2021_139
.LBB2021_174:
	s_or_b64 exec, exec, s[2:3]
	v_cmp_gt_u32_e32 vcc, s33, v28
	s_and_saveexec_b64 s[2:3], vcc
	s_cbranch_execz .LBB2021_144
.LBB2021_175:
	v_cmp_ge_u32_e32 vcc, v28, v1
                                        ; implicit-def: $vgpr11_vgpr12
	s_and_saveexec_b64 s[4:5], vcc
	s_xor_b64 s[4:5], exec, s[4:5]
	s_cbranch_execz .LBB2021_177
; %bb.176:
	v_xor_b32_e32 v2, 0xfffffaff, v0
	s_waitcnt lgkmcnt(4)
	v_ashrrev_i32_e32 v9, 31, v2
	v_add_co_u32_e32 v11, vcc, v23, v2
	v_addc_co_u32_e32 v12, vcc, v32, v9, vcc
                                        ; implicit-def: $vgpr28
.LBB2021_177:
	s_andn2_saveexec_b64 s[4:5], s[4:5]
	s_cbranch_execz .LBB2021_179
; %bb.178:
	s_waitcnt lgkmcnt(5)
	v_add_co_u32_e32 v11, vcc, v17, v28
	v_addc_co_u32_e32 v12, vcc, 0, v18, vcc
.LBB2021_179:
	s_or_b64 exec, exec, s[4:5]
	s_waitcnt lgkmcnt(5)
	v_lshlrev_b64 v[11:12], 2, v[11:12]
	v_mov_b32_e32 v2, s27
	v_add_co_u32_e32 v11, vcc, s26, v11
	v_addc_co_u32_e32 v12, vcc, v2, v12, vcc
	s_waitcnt lgkmcnt(4)
	global_store_dword v[11:12], v10, off
	s_or_b64 exec, exec, s[2:3]
	v_cmp_gt_u32_e32 vcc, s33, v27
	s_and_saveexec_b64 s[2:3], vcc
	s_cbranch_execnz .LBB2021_145
.LBB2021_180:
	s_or_b64 exec, exec, s[2:3]
	v_cmp_gt_u32_e32 vcc, s33, v26
	s_and_saveexec_b64 s[2:3], vcc
	s_cbranch_execz .LBB2021_150
.LBB2021_181:
	v_cmp_ge_u32_e32 vcc, v26, v1
                                        ; implicit-def: $vgpr9_vgpr10
	s_and_saveexec_b64 s[4:5], vcc
	s_xor_b64 s[4:5], exec, s[4:5]
	s_cbranch_execz .LBB2021_183
; %bb.182:
	v_xor_b32_e32 v2, 0xfffff8ff, v0
	s_waitcnt lgkmcnt(3)
	v_ashrrev_i32_e32 v7, 31, v2
	v_add_co_u32_e32 v9, vcc, v23, v2
	v_addc_co_u32_e32 v10, vcc, v32, v7, vcc
                                        ; implicit-def: $vgpr26
.LBB2021_183:
	s_andn2_saveexec_b64 s[4:5], s[4:5]
	s_cbranch_execz .LBB2021_185
; %bb.184:
	s_waitcnt lgkmcnt(4)
	v_add_co_u32_e32 v9, vcc, v17, v26
	v_addc_co_u32_e32 v10, vcc, 0, v18, vcc
.LBB2021_185:
	s_or_b64 exec, exec, s[4:5]
	s_waitcnt lgkmcnt(4)
	v_lshlrev_b64 v[9:10], 2, v[9:10]
	v_mov_b32_e32 v2, s27
	v_add_co_u32_e32 v9, vcc, s26, v9
	v_addc_co_u32_e32 v10, vcc, v2, v10, vcc
	s_waitcnt lgkmcnt(3)
	global_store_dword v[9:10], v8, off
	s_or_b64 exec, exec, s[2:3]
	v_cmp_gt_u32_e32 vcc, s33, v25
	s_and_saveexec_b64 s[2:3], vcc
	s_cbranch_execnz .LBB2021_151
.LBB2021_186:
	s_or_b64 exec, exec, s[2:3]
	v_cmp_gt_u32_e32 vcc, s33, v24
	s_and_saveexec_b64 s[2:3], vcc
	s_cbranch_execz .LBB2021_156
.LBB2021_187:
	v_cmp_ge_u32_e32 vcc, v24, v1
                                        ; implicit-def: $vgpr7_vgpr8
	s_and_saveexec_b64 s[4:5], vcc
	s_xor_b64 s[4:5], exec, s[4:5]
	s_cbranch_execz .LBB2021_189
; %bb.188:
	v_xor_b32_e32 v2, 0xfffff6ff, v0
	s_waitcnt lgkmcnt(2)
	v_ashrrev_i32_e32 v5, 31, v2
	v_add_co_u32_e32 v7, vcc, v23, v2
	v_addc_co_u32_e32 v8, vcc, v32, v5, vcc
                                        ; implicit-def: $vgpr24
.LBB2021_189:
	s_andn2_saveexec_b64 s[4:5], s[4:5]
	s_cbranch_execz .LBB2021_191
; %bb.190:
	s_waitcnt lgkmcnt(3)
	v_add_co_u32_e32 v7, vcc, v17, v24
	v_addc_co_u32_e32 v8, vcc, 0, v18, vcc
.LBB2021_191:
	s_or_b64 exec, exec, s[4:5]
	s_waitcnt lgkmcnt(3)
	v_lshlrev_b64 v[7:8], 2, v[7:8]
	v_mov_b32_e32 v2, s27
	v_add_co_u32_e32 v7, vcc, s26, v7
	v_addc_co_u32_e32 v8, vcc, v2, v8, vcc
	s_waitcnt lgkmcnt(2)
	global_store_dword v[7:8], v6, off
	s_or_b64 exec, exec, s[2:3]
	v_cmp_gt_u32_e32 vcc, s33, v22
	s_and_saveexec_b64 s[2:3], vcc
	s_cbranch_execnz .LBB2021_157
.LBB2021_192:
	s_or_b64 exec, exec, s[2:3]
	v_cmp_gt_u32_e32 vcc, s33, v21
	s_and_saveexec_b64 s[2:3], vcc
	s_cbranch_execz .LBB2021_198
.LBB2021_193:
	v_cmp_ge_u32_e32 vcc, v21, v1
                                        ; implicit-def: $vgpr2_vgpr3
	s_and_saveexec_b64 s[4:5], vcc
	s_xor_b64 s[4:5], exec, s[4:5]
	s_cbranch_execz .LBB2021_195
; %bb.194:
	v_xor_b32_e32 v2, 0xfffff4ff, v0
	s_waitcnt lgkmcnt(1)
	v_ashrrev_i32_e32 v3, 31, v2
	v_add_co_u32_e32 v2, vcc, v23, v2
	v_addc_co_u32_e32 v3, vcc, v32, v3, vcc
                                        ; implicit-def: $vgpr21
.LBB2021_195:
	s_andn2_saveexec_b64 s[4:5], s[4:5]
	s_cbranch_execz .LBB2021_197
; %bb.196:
	v_add_co_u32_e32 v2, vcc, v17, v21
	s_waitcnt lgkmcnt(1)
	v_addc_co_u32_e32 v3, vcc, 0, v18, vcc
.LBB2021_197:
	s_or_b64 exec, exec, s[4:5]
	s_waitcnt lgkmcnt(1)
	v_lshlrev_b64 v[2:3], 2, v[2:3]
	v_mov_b32_e32 v5, s27
	v_add_co_u32_e32 v2, vcc, s26, v2
	v_addc_co_u32_e32 v3, vcc, v5, v3, vcc
	global_store_dword v[2:3], v4, off
.LBB2021_198:
	s_or_b64 exec, exec, s[2:3]
	v_cmp_gt_u32_e32 vcc, s33, v20
                                        ; implicit-def: $vgpr15_vgpr16
	s_and_saveexec_b64 s[2:3], vcc
	s_cbranch_execz .LBB2021_204
; %bb.199:
	v_cmp_ge_u32_e32 vcc, v20, v1
                                        ; implicit-def: $vgpr15_vgpr16
	s_and_saveexec_b64 s[4:5], vcc
	s_xor_b64 s[4:5], exec, s[4:5]
	s_cbranch_execz .LBB2021_201
; %bb.200:
	v_xor_b32_e32 v2, 0xfffff3ff, v0
	s_waitcnt lgkmcnt(1)
	v_ashrrev_i32_e32 v3, 31, v2
	v_add_co_u32_e32 v15, vcc, v23, v2
	v_addc_co_u32_e32 v16, vcc, v32, v3, vcc
                                        ; implicit-def: $vgpr20
.LBB2021_201:
	s_andn2_saveexec_b64 s[4:5], s[4:5]
; %bb.202:
	v_add_co_u32_e32 v15, vcc, v17, v20
	v_addc_co_u32_e32 v16, vcc, 0, v18, vcc
; %bb.203:
	s_or_b64 exec, exec, s[4:5]
	s_or_b64 s[0:1], s[0:1], exec
.LBB2021_204:
	s_or_b64 exec, exec, s[2:3]
.LBB2021_205:
	s_and_saveexec_b64 s[2:3], s[0:1]
	s_cbranch_execz .LBB2021_207
; %bb.206:
	s_waitcnt lgkmcnt(1)
	v_lshlrev_b64 v[2:3], 2, v[15:16]
	v_mov_b32_e32 v4, s27
	v_add_co_u32_e32 v2, vcc, s26, v2
	v_addc_co_u32_e32 v3, vcc, v4, v3, vcc
	s_waitcnt lgkmcnt(0)
	global_store_dword v[2:3], v19, off
.LBB2021_207:
	s_or_b64 exec, exec, s[2:3]
	v_cmp_eq_u32_e32 vcc, 0, v0
	s_and_b64 s[0:1], vcc, s[22:23]
	s_and_saveexec_b64 s[2:3], s[0:1]
	s_cbranch_execz .LBB2021_209
; %bb.208:
	v_add_co_u32_e32 v0, vcc, v17, v1
	v_mov_b32_e32 v2, 0
	v_addc_co_u32_e32 v1, vcc, 0, v18, vcc
	global_store_dwordx2 v2, v[0:1], s[24:25]
.LBB2021_209:
	s_endpgm
	.section	.rodata,"a",@progbits
	.p2align	6, 0x0
	.amdhsa_kernel _ZN7rocprim17ROCPRIM_400000_NS6detail17trampoline_kernelINS0_13select_configILj256ELj13ELNS0_17block_load_methodE3ELS4_3ELS4_3ELNS0_20block_scan_algorithmE0ELj4294967295EEENS1_25partition_config_selectorILNS1_17partition_subalgoE3EjNS0_10empty_typeEbEEZZNS1_14partition_implILS8_3ELb0ES6_jNS0_17counting_iteratorIjlEEPS9_SE_NS0_5tupleIJPjSE_EEENSF_IJSE_SE_EEES9_SG_JZNS1_25segmented_radix_sort_implINS0_14default_configELb0EPK12hip_bfloat16PSL_PKlPlN2at6native12_GLOBAL__N_18offset_tEEE10hipError_tPvRmT1_PNSt15iterator_traitsISZ_E10value_typeET2_T3_PNS10_IS15_E10value_typeET4_jRbjT5_S1B_jjP12ihipStream_tbEUljE_EEESW_SX_SY_S15_S19_S1B_T6_T7_T9_mT8_S1D_bDpT10_ENKUlT_T0_E_clISt17integral_constantIbLb0EES1Q_EEDaS1L_S1M_EUlS1L_E_NS1_11comp_targetILNS1_3genE2ELNS1_11target_archE906ELNS1_3gpuE6ELNS1_3repE0EEENS1_30default_config_static_selectorELNS0_4arch9wavefront6targetE1EEEvSZ_
		.amdhsa_group_segment_fixed_size 13320
		.amdhsa_private_segment_fixed_size 0
		.amdhsa_kernarg_size 144
		.amdhsa_user_sgpr_count 6
		.amdhsa_user_sgpr_private_segment_buffer 1
		.amdhsa_user_sgpr_dispatch_ptr 0
		.amdhsa_user_sgpr_queue_ptr 0
		.amdhsa_user_sgpr_kernarg_segment_ptr 1
		.amdhsa_user_sgpr_dispatch_id 0
		.amdhsa_user_sgpr_flat_scratch_init 0
		.amdhsa_user_sgpr_private_segment_size 0
		.amdhsa_uses_dynamic_stack 0
		.amdhsa_system_sgpr_private_segment_wavefront_offset 0
		.amdhsa_system_sgpr_workgroup_id_x 1
		.amdhsa_system_sgpr_workgroup_id_y 0
		.amdhsa_system_sgpr_workgroup_id_z 0
		.amdhsa_system_sgpr_workgroup_info 0
		.amdhsa_system_vgpr_workitem_id 0
		.amdhsa_next_free_vgpr 69
		.amdhsa_next_free_sgpr 98
		.amdhsa_reserve_vcc 1
		.amdhsa_reserve_flat_scratch 0
		.amdhsa_float_round_mode_32 0
		.amdhsa_float_round_mode_16_64 0
		.amdhsa_float_denorm_mode_32 3
		.amdhsa_float_denorm_mode_16_64 3
		.amdhsa_dx10_clamp 1
		.amdhsa_ieee_mode 1
		.amdhsa_fp16_overflow 0
		.amdhsa_exception_fp_ieee_invalid_op 0
		.amdhsa_exception_fp_denorm_src 0
		.amdhsa_exception_fp_ieee_div_zero 0
		.amdhsa_exception_fp_ieee_overflow 0
		.amdhsa_exception_fp_ieee_underflow 0
		.amdhsa_exception_fp_ieee_inexact 0
		.amdhsa_exception_int_div_zero 0
	.end_amdhsa_kernel
	.section	.text._ZN7rocprim17ROCPRIM_400000_NS6detail17trampoline_kernelINS0_13select_configILj256ELj13ELNS0_17block_load_methodE3ELS4_3ELS4_3ELNS0_20block_scan_algorithmE0ELj4294967295EEENS1_25partition_config_selectorILNS1_17partition_subalgoE3EjNS0_10empty_typeEbEEZZNS1_14partition_implILS8_3ELb0ES6_jNS0_17counting_iteratorIjlEEPS9_SE_NS0_5tupleIJPjSE_EEENSF_IJSE_SE_EEES9_SG_JZNS1_25segmented_radix_sort_implINS0_14default_configELb0EPK12hip_bfloat16PSL_PKlPlN2at6native12_GLOBAL__N_18offset_tEEE10hipError_tPvRmT1_PNSt15iterator_traitsISZ_E10value_typeET2_T3_PNS10_IS15_E10value_typeET4_jRbjT5_S1B_jjP12ihipStream_tbEUljE_EEESW_SX_SY_S15_S19_S1B_T6_T7_T9_mT8_S1D_bDpT10_ENKUlT_T0_E_clISt17integral_constantIbLb0EES1Q_EEDaS1L_S1M_EUlS1L_E_NS1_11comp_targetILNS1_3genE2ELNS1_11target_archE906ELNS1_3gpuE6ELNS1_3repE0EEENS1_30default_config_static_selectorELNS0_4arch9wavefront6targetE1EEEvSZ_,"axG",@progbits,_ZN7rocprim17ROCPRIM_400000_NS6detail17trampoline_kernelINS0_13select_configILj256ELj13ELNS0_17block_load_methodE3ELS4_3ELS4_3ELNS0_20block_scan_algorithmE0ELj4294967295EEENS1_25partition_config_selectorILNS1_17partition_subalgoE3EjNS0_10empty_typeEbEEZZNS1_14partition_implILS8_3ELb0ES6_jNS0_17counting_iteratorIjlEEPS9_SE_NS0_5tupleIJPjSE_EEENSF_IJSE_SE_EEES9_SG_JZNS1_25segmented_radix_sort_implINS0_14default_configELb0EPK12hip_bfloat16PSL_PKlPlN2at6native12_GLOBAL__N_18offset_tEEE10hipError_tPvRmT1_PNSt15iterator_traitsISZ_E10value_typeET2_T3_PNS10_IS15_E10value_typeET4_jRbjT5_S1B_jjP12ihipStream_tbEUljE_EEESW_SX_SY_S15_S19_S1B_T6_T7_T9_mT8_S1D_bDpT10_ENKUlT_T0_E_clISt17integral_constantIbLb0EES1Q_EEDaS1L_S1M_EUlS1L_E_NS1_11comp_targetILNS1_3genE2ELNS1_11target_archE906ELNS1_3gpuE6ELNS1_3repE0EEENS1_30default_config_static_selectorELNS0_4arch9wavefront6targetE1EEEvSZ_,comdat
.Lfunc_end2021:
	.size	_ZN7rocprim17ROCPRIM_400000_NS6detail17trampoline_kernelINS0_13select_configILj256ELj13ELNS0_17block_load_methodE3ELS4_3ELS4_3ELNS0_20block_scan_algorithmE0ELj4294967295EEENS1_25partition_config_selectorILNS1_17partition_subalgoE3EjNS0_10empty_typeEbEEZZNS1_14partition_implILS8_3ELb0ES6_jNS0_17counting_iteratorIjlEEPS9_SE_NS0_5tupleIJPjSE_EEENSF_IJSE_SE_EEES9_SG_JZNS1_25segmented_radix_sort_implINS0_14default_configELb0EPK12hip_bfloat16PSL_PKlPlN2at6native12_GLOBAL__N_18offset_tEEE10hipError_tPvRmT1_PNSt15iterator_traitsISZ_E10value_typeET2_T3_PNS10_IS15_E10value_typeET4_jRbjT5_S1B_jjP12ihipStream_tbEUljE_EEESW_SX_SY_S15_S19_S1B_T6_T7_T9_mT8_S1D_bDpT10_ENKUlT_T0_E_clISt17integral_constantIbLb0EES1Q_EEDaS1L_S1M_EUlS1L_E_NS1_11comp_targetILNS1_3genE2ELNS1_11target_archE906ELNS1_3gpuE6ELNS1_3repE0EEENS1_30default_config_static_selectorELNS0_4arch9wavefront6targetE1EEEvSZ_, .Lfunc_end2021-_ZN7rocprim17ROCPRIM_400000_NS6detail17trampoline_kernelINS0_13select_configILj256ELj13ELNS0_17block_load_methodE3ELS4_3ELS4_3ELNS0_20block_scan_algorithmE0ELj4294967295EEENS1_25partition_config_selectorILNS1_17partition_subalgoE3EjNS0_10empty_typeEbEEZZNS1_14partition_implILS8_3ELb0ES6_jNS0_17counting_iteratorIjlEEPS9_SE_NS0_5tupleIJPjSE_EEENSF_IJSE_SE_EEES9_SG_JZNS1_25segmented_radix_sort_implINS0_14default_configELb0EPK12hip_bfloat16PSL_PKlPlN2at6native12_GLOBAL__N_18offset_tEEE10hipError_tPvRmT1_PNSt15iterator_traitsISZ_E10value_typeET2_T3_PNS10_IS15_E10value_typeET4_jRbjT5_S1B_jjP12ihipStream_tbEUljE_EEESW_SX_SY_S15_S19_S1B_T6_T7_T9_mT8_S1D_bDpT10_ENKUlT_T0_E_clISt17integral_constantIbLb0EES1Q_EEDaS1L_S1M_EUlS1L_E_NS1_11comp_targetILNS1_3genE2ELNS1_11target_archE906ELNS1_3gpuE6ELNS1_3repE0EEENS1_30default_config_static_selectorELNS0_4arch9wavefront6targetE1EEEvSZ_
                                        ; -- End function
	.set _ZN7rocprim17ROCPRIM_400000_NS6detail17trampoline_kernelINS0_13select_configILj256ELj13ELNS0_17block_load_methodE3ELS4_3ELS4_3ELNS0_20block_scan_algorithmE0ELj4294967295EEENS1_25partition_config_selectorILNS1_17partition_subalgoE3EjNS0_10empty_typeEbEEZZNS1_14partition_implILS8_3ELb0ES6_jNS0_17counting_iteratorIjlEEPS9_SE_NS0_5tupleIJPjSE_EEENSF_IJSE_SE_EEES9_SG_JZNS1_25segmented_radix_sort_implINS0_14default_configELb0EPK12hip_bfloat16PSL_PKlPlN2at6native12_GLOBAL__N_18offset_tEEE10hipError_tPvRmT1_PNSt15iterator_traitsISZ_E10value_typeET2_T3_PNS10_IS15_E10value_typeET4_jRbjT5_S1B_jjP12ihipStream_tbEUljE_EEESW_SX_SY_S15_S19_S1B_T6_T7_T9_mT8_S1D_bDpT10_ENKUlT_T0_E_clISt17integral_constantIbLb0EES1Q_EEDaS1L_S1M_EUlS1L_E_NS1_11comp_targetILNS1_3genE2ELNS1_11target_archE906ELNS1_3gpuE6ELNS1_3repE0EEENS1_30default_config_static_selectorELNS0_4arch9wavefront6targetE1EEEvSZ_.num_vgpr, 69
	.set _ZN7rocprim17ROCPRIM_400000_NS6detail17trampoline_kernelINS0_13select_configILj256ELj13ELNS0_17block_load_methodE3ELS4_3ELS4_3ELNS0_20block_scan_algorithmE0ELj4294967295EEENS1_25partition_config_selectorILNS1_17partition_subalgoE3EjNS0_10empty_typeEbEEZZNS1_14partition_implILS8_3ELb0ES6_jNS0_17counting_iteratorIjlEEPS9_SE_NS0_5tupleIJPjSE_EEENSF_IJSE_SE_EEES9_SG_JZNS1_25segmented_radix_sort_implINS0_14default_configELb0EPK12hip_bfloat16PSL_PKlPlN2at6native12_GLOBAL__N_18offset_tEEE10hipError_tPvRmT1_PNSt15iterator_traitsISZ_E10value_typeET2_T3_PNS10_IS15_E10value_typeET4_jRbjT5_S1B_jjP12ihipStream_tbEUljE_EEESW_SX_SY_S15_S19_S1B_T6_T7_T9_mT8_S1D_bDpT10_ENKUlT_T0_E_clISt17integral_constantIbLb0EES1Q_EEDaS1L_S1M_EUlS1L_E_NS1_11comp_targetILNS1_3genE2ELNS1_11target_archE906ELNS1_3gpuE6ELNS1_3repE0EEENS1_30default_config_static_selectorELNS0_4arch9wavefront6targetE1EEEvSZ_.num_agpr, 0
	.set _ZN7rocprim17ROCPRIM_400000_NS6detail17trampoline_kernelINS0_13select_configILj256ELj13ELNS0_17block_load_methodE3ELS4_3ELS4_3ELNS0_20block_scan_algorithmE0ELj4294967295EEENS1_25partition_config_selectorILNS1_17partition_subalgoE3EjNS0_10empty_typeEbEEZZNS1_14partition_implILS8_3ELb0ES6_jNS0_17counting_iteratorIjlEEPS9_SE_NS0_5tupleIJPjSE_EEENSF_IJSE_SE_EEES9_SG_JZNS1_25segmented_radix_sort_implINS0_14default_configELb0EPK12hip_bfloat16PSL_PKlPlN2at6native12_GLOBAL__N_18offset_tEEE10hipError_tPvRmT1_PNSt15iterator_traitsISZ_E10value_typeET2_T3_PNS10_IS15_E10value_typeET4_jRbjT5_S1B_jjP12ihipStream_tbEUljE_EEESW_SX_SY_S15_S19_S1B_T6_T7_T9_mT8_S1D_bDpT10_ENKUlT_T0_E_clISt17integral_constantIbLb0EES1Q_EEDaS1L_S1M_EUlS1L_E_NS1_11comp_targetILNS1_3genE2ELNS1_11target_archE906ELNS1_3gpuE6ELNS1_3repE0EEENS1_30default_config_static_selectorELNS0_4arch9wavefront6targetE1EEEvSZ_.numbered_sgpr, 48
	.set _ZN7rocprim17ROCPRIM_400000_NS6detail17trampoline_kernelINS0_13select_configILj256ELj13ELNS0_17block_load_methodE3ELS4_3ELS4_3ELNS0_20block_scan_algorithmE0ELj4294967295EEENS1_25partition_config_selectorILNS1_17partition_subalgoE3EjNS0_10empty_typeEbEEZZNS1_14partition_implILS8_3ELb0ES6_jNS0_17counting_iteratorIjlEEPS9_SE_NS0_5tupleIJPjSE_EEENSF_IJSE_SE_EEES9_SG_JZNS1_25segmented_radix_sort_implINS0_14default_configELb0EPK12hip_bfloat16PSL_PKlPlN2at6native12_GLOBAL__N_18offset_tEEE10hipError_tPvRmT1_PNSt15iterator_traitsISZ_E10value_typeET2_T3_PNS10_IS15_E10value_typeET4_jRbjT5_S1B_jjP12ihipStream_tbEUljE_EEESW_SX_SY_S15_S19_S1B_T6_T7_T9_mT8_S1D_bDpT10_ENKUlT_T0_E_clISt17integral_constantIbLb0EES1Q_EEDaS1L_S1M_EUlS1L_E_NS1_11comp_targetILNS1_3genE2ELNS1_11target_archE906ELNS1_3gpuE6ELNS1_3repE0EEENS1_30default_config_static_selectorELNS0_4arch9wavefront6targetE1EEEvSZ_.num_named_barrier, 0
	.set _ZN7rocprim17ROCPRIM_400000_NS6detail17trampoline_kernelINS0_13select_configILj256ELj13ELNS0_17block_load_methodE3ELS4_3ELS4_3ELNS0_20block_scan_algorithmE0ELj4294967295EEENS1_25partition_config_selectorILNS1_17partition_subalgoE3EjNS0_10empty_typeEbEEZZNS1_14partition_implILS8_3ELb0ES6_jNS0_17counting_iteratorIjlEEPS9_SE_NS0_5tupleIJPjSE_EEENSF_IJSE_SE_EEES9_SG_JZNS1_25segmented_radix_sort_implINS0_14default_configELb0EPK12hip_bfloat16PSL_PKlPlN2at6native12_GLOBAL__N_18offset_tEEE10hipError_tPvRmT1_PNSt15iterator_traitsISZ_E10value_typeET2_T3_PNS10_IS15_E10value_typeET4_jRbjT5_S1B_jjP12ihipStream_tbEUljE_EEESW_SX_SY_S15_S19_S1B_T6_T7_T9_mT8_S1D_bDpT10_ENKUlT_T0_E_clISt17integral_constantIbLb0EES1Q_EEDaS1L_S1M_EUlS1L_E_NS1_11comp_targetILNS1_3genE2ELNS1_11target_archE906ELNS1_3gpuE6ELNS1_3repE0EEENS1_30default_config_static_selectorELNS0_4arch9wavefront6targetE1EEEvSZ_.private_seg_size, 0
	.set _ZN7rocprim17ROCPRIM_400000_NS6detail17trampoline_kernelINS0_13select_configILj256ELj13ELNS0_17block_load_methodE3ELS4_3ELS4_3ELNS0_20block_scan_algorithmE0ELj4294967295EEENS1_25partition_config_selectorILNS1_17partition_subalgoE3EjNS0_10empty_typeEbEEZZNS1_14partition_implILS8_3ELb0ES6_jNS0_17counting_iteratorIjlEEPS9_SE_NS0_5tupleIJPjSE_EEENSF_IJSE_SE_EEES9_SG_JZNS1_25segmented_radix_sort_implINS0_14default_configELb0EPK12hip_bfloat16PSL_PKlPlN2at6native12_GLOBAL__N_18offset_tEEE10hipError_tPvRmT1_PNSt15iterator_traitsISZ_E10value_typeET2_T3_PNS10_IS15_E10value_typeET4_jRbjT5_S1B_jjP12ihipStream_tbEUljE_EEESW_SX_SY_S15_S19_S1B_T6_T7_T9_mT8_S1D_bDpT10_ENKUlT_T0_E_clISt17integral_constantIbLb0EES1Q_EEDaS1L_S1M_EUlS1L_E_NS1_11comp_targetILNS1_3genE2ELNS1_11target_archE906ELNS1_3gpuE6ELNS1_3repE0EEENS1_30default_config_static_selectorELNS0_4arch9wavefront6targetE1EEEvSZ_.uses_vcc, 1
	.set _ZN7rocprim17ROCPRIM_400000_NS6detail17trampoline_kernelINS0_13select_configILj256ELj13ELNS0_17block_load_methodE3ELS4_3ELS4_3ELNS0_20block_scan_algorithmE0ELj4294967295EEENS1_25partition_config_selectorILNS1_17partition_subalgoE3EjNS0_10empty_typeEbEEZZNS1_14partition_implILS8_3ELb0ES6_jNS0_17counting_iteratorIjlEEPS9_SE_NS0_5tupleIJPjSE_EEENSF_IJSE_SE_EEES9_SG_JZNS1_25segmented_radix_sort_implINS0_14default_configELb0EPK12hip_bfloat16PSL_PKlPlN2at6native12_GLOBAL__N_18offset_tEEE10hipError_tPvRmT1_PNSt15iterator_traitsISZ_E10value_typeET2_T3_PNS10_IS15_E10value_typeET4_jRbjT5_S1B_jjP12ihipStream_tbEUljE_EEESW_SX_SY_S15_S19_S1B_T6_T7_T9_mT8_S1D_bDpT10_ENKUlT_T0_E_clISt17integral_constantIbLb0EES1Q_EEDaS1L_S1M_EUlS1L_E_NS1_11comp_targetILNS1_3genE2ELNS1_11target_archE906ELNS1_3gpuE6ELNS1_3repE0EEENS1_30default_config_static_selectorELNS0_4arch9wavefront6targetE1EEEvSZ_.uses_flat_scratch, 0
	.set _ZN7rocprim17ROCPRIM_400000_NS6detail17trampoline_kernelINS0_13select_configILj256ELj13ELNS0_17block_load_methodE3ELS4_3ELS4_3ELNS0_20block_scan_algorithmE0ELj4294967295EEENS1_25partition_config_selectorILNS1_17partition_subalgoE3EjNS0_10empty_typeEbEEZZNS1_14partition_implILS8_3ELb0ES6_jNS0_17counting_iteratorIjlEEPS9_SE_NS0_5tupleIJPjSE_EEENSF_IJSE_SE_EEES9_SG_JZNS1_25segmented_radix_sort_implINS0_14default_configELb0EPK12hip_bfloat16PSL_PKlPlN2at6native12_GLOBAL__N_18offset_tEEE10hipError_tPvRmT1_PNSt15iterator_traitsISZ_E10value_typeET2_T3_PNS10_IS15_E10value_typeET4_jRbjT5_S1B_jjP12ihipStream_tbEUljE_EEESW_SX_SY_S15_S19_S1B_T6_T7_T9_mT8_S1D_bDpT10_ENKUlT_T0_E_clISt17integral_constantIbLb0EES1Q_EEDaS1L_S1M_EUlS1L_E_NS1_11comp_targetILNS1_3genE2ELNS1_11target_archE906ELNS1_3gpuE6ELNS1_3repE0EEENS1_30default_config_static_selectorELNS0_4arch9wavefront6targetE1EEEvSZ_.has_dyn_sized_stack, 0
	.set _ZN7rocprim17ROCPRIM_400000_NS6detail17trampoline_kernelINS0_13select_configILj256ELj13ELNS0_17block_load_methodE3ELS4_3ELS4_3ELNS0_20block_scan_algorithmE0ELj4294967295EEENS1_25partition_config_selectorILNS1_17partition_subalgoE3EjNS0_10empty_typeEbEEZZNS1_14partition_implILS8_3ELb0ES6_jNS0_17counting_iteratorIjlEEPS9_SE_NS0_5tupleIJPjSE_EEENSF_IJSE_SE_EEES9_SG_JZNS1_25segmented_radix_sort_implINS0_14default_configELb0EPK12hip_bfloat16PSL_PKlPlN2at6native12_GLOBAL__N_18offset_tEEE10hipError_tPvRmT1_PNSt15iterator_traitsISZ_E10value_typeET2_T3_PNS10_IS15_E10value_typeET4_jRbjT5_S1B_jjP12ihipStream_tbEUljE_EEESW_SX_SY_S15_S19_S1B_T6_T7_T9_mT8_S1D_bDpT10_ENKUlT_T0_E_clISt17integral_constantIbLb0EES1Q_EEDaS1L_S1M_EUlS1L_E_NS1_11comp_targetILNS1_3genE2ELNS1_11target_archE906ELNS1_3gpuE6ELNS1_3repE0EEENS1_30default_config_static_selectorELNS0_4arch9wavefront6targetE1EEEvSZ_.has_recursion, 0
	.set _ZN7rocprim17ROCPRIM_400000_NS6detail17trampoline_kernelINS0_13select_configILj256ELj13ELNS0_17block_load_methodE3ELS4_3ELS4_3ELNS0_20block_scan_algorithmE0ELj4294967295EEENS1_25partition_config_selectorILNS1_17partition_subalgoE3EjNS0_10empty_typeEbEEZZNS1_14partition_implILS8_3ELb0ES6_jNS0_17counting_iteratorIjlEEPS9_SE_NS0_5tupleIJPjSE_EEENSF_IJSE_SE_EEES9_SG_JZNS1_25segmented_radix_sort_implINS0_14default_configELb0EPK12hip_bfloat16PSL_PKlPlN2at6native12_GLOBAL__N_18offset_tEEE10hipError_tPvRmT1_PNSt15iterator_traitsISZ_E10value_typeET2_T3_PNS10_IS15_E10value_typeET4_jRbjT5_S1B_jjP12ihipStream_tbEUljE_EEESW_SX_SY_S15_S19_S1B_T6_T7_T9_mT8_S1D_bDpT10_ENKUlT_T0_E_clISt17integral_constantIbLb0EES1Q_EEDaS1L_S1M_EUlS1L_E_NS1_11comp_targetILNS1_3genE2ELNS1_11target_archE906ELNS1_3gpuE6ELNS1_3repE0EEENS1_30default_config_static_selectorELNS0_4arch9wavefront6targetE1EEEvSZ_.has_indirect_call, 0
	.section	.AMDGPU.csdata,"",@progbits
; Kernel info:
; codeLenInByte = 7612
; TotalNumSgprs: 52
; NumVgprs: 69
; ScratchSize: 0
; MemoryBound: 0
; FloatMode: 240
; IeeeMode: 1
; LDSByteSize: 13320 bytes/workgroup (compile time only)
; SGPRBlocks: 12
; VGPRBlocks: 17
; NumSGPRsForWavesPerEU: 102
; NumVGPRsForWavesPerEU: 69
; Occupancy: 3
; WaveLimiterHint : 0
; COMPUTE_PGM_RSRC2:SCRATCH_EN: 0
; COMPUTE_PGM_RSRC2:USER_SGPR: 6
; COMPUTE_PGM_RSRC2:TRAP_HANDLER: 0
; COMPUTE_PGM_RSRC2:TGID_X_EN: 1
; COMPUTE_PGM_RSRC2:TGID_Y_EN: 0
; COMPUTE_PGM_RSRC2:TGID_Z_EN: 0
; COMPUTE_PGM_RSRC2:TIDIG_COMP_CNT: 0
	.section	.text._ZN7rocprim17ROCPRIM_400000_NS6detail17trampoline_kernelINS0_13select_configILj256ELj13ELNS0_17block_load_methodE3ELS4_3ELS4_3ELNS0_20block_scan_algorithmE0ELj4294967295EEENS1_25partition_config_selectorILNS1_17partition_subalgoE3EjNS0_10empty_typeEbEEZZNS1_14partition_implILS8_3ELb0ES6_jNS0_17counting_iteratorIjlEEPS9_SE_NS0_5tupleIJPjSE_EEENSF_IJSE_SE_EEES9_SG_JZNS1_25segmented_radix_sort_implINS0_14default_configELb0EPK12hip_bfloat16PSL_PKlPlN2at6native12_GLOBAL__N_18offset_tEEE10hipError_tPvRmT1_PNSt15iterator_traitsISZ_E10value_typeET2_T3_PNS10_IS15_E10value_typeET4_jRbjT5_S1B_jjP12ihipStream_tbEUljE_EEESW_SX_SY_S15_S19_S1B_T6_T7_T9_mT8_S1D_bDpT10_ENKUlT_T0_E_clISt17integral_constantIbLb0EES1Q_EEDaS1L_S1M_EUlS1L_E_NS1_11comp_targetILNS1_3genE10ELNS1_11target_archE1200ELNS1_3gpuE4ELNS1_3repE0EEENS1_30default_config_static_selectorELNS0_4arch9wavefront6targetE1EEEvSZ_,"axG",@progbits,_ZN7rocprim17ROCPRIM_400000_NS6detail17trampoline_kernelINS0_13select_configILj256ELj13ELNS0_17block_load_methodE3ELS4_3ELS4_3ELNS0_20block_scan_algorithmE0ELj4294967295EEENS1_25partition_config_selectorILNS1_17partition_subalgoE3EjNS0_10empty_typeEbEEZZNS1_14partition_implILS8_3ELb0ES6_jNS0_17counting_iteratorIjlEEPS9_SE_NS0_5tupleIJPjSE_EEENSF_IJSE_SE_EEES9_SG_JZNS1_25segmented_radix_sort_implINS0_14default_configELb0EPK12hip_bfloat16PSL_PKlPlN2at6native12_GLOBAL__N_18offset_tEEE10hipError_tPvRmT1_PNSt15iterator_traitsISZ_E10value_typeET2_T3_PNS10_IS15_E10value_typeET4_jRbjT5_S1B_jjP12ihipStream_tbEUljE_EEESW_SX_SY_S15_S19_S1B_T6_T7_T9_mT8_S1D_bDpT10_ENKUlT_T0_E_clISt17integral_constantIbLb0EES1Q_EEDaS1L_S1M_EUlS1L_E_NS1_11comp_targetILNS1_3genE10ELNS1_11target_archE1200ELNS1_3gpuE4ELNS1_3repE0EEENS1_30default_config_static_selectorELNS0_4arch9wavefront6targetE1EEEvSZ_,comdat
	.globl	_ZN7rocprim17ROCPRIM_400000_NS6detail17trampoline_kernelINS0_13select_configILj256ELj13ELNS0_17block_load_methodE3ELS4_3ELS4_3ELNS0_20block_scan_algorithmE0ELj4294967295EEENS1_25partition_config_selectorILNS1_17partition_subalgoE3EjNS0_10empty_typeEbEEZZNS1_14partition_implILS8_3ELb0ES6_jNS0_17counting_iteratorIjlEEPS9_SE_NS0_5tupleIJPjSE_EEENSF_IJSE_SE_EEES9_SG_JZNS1_25segmented_radix_sort_implINS0_14default_configELb0EPK12hip_bfloat16PSL_PKlPlN2at6native12_GLOBAL__N_18offset_tEEE10hipError_tPvRmT1_PNSt15iterator_traitsISZ_E10value_typeET2_T3_PNS10_IS15_E10value_typeET4_jRbjT5_S1B_jjP12ihipStream_tbEUljE_EEESW_SX_SY_S15_S19_S1B_T6_T7_T9_mT8_S1D_bDpT10_ENKUlT_T0_E_clISt17integral_constantIbLb0EES1Q_EEDaS1L_S1M_EUlS1L_E_NS1_11comp_targetILNS1_3genE10ELNS1_11target_archE1200ELNS1_3gpuE4ELNS1_3repE0EEENS1_30default_config_static_selectorELNS0_4arch9wavefront6targetE1EEEvSZ_ ; -- Begin function _ZN7rocprim17ROCPRIM_400000_NS6detail17trampoline_kernelINS0_13select_configILj256ELj13ELNS0_17block_load_methodE3ELS4_3ELS4_3ELNS0_20block_scan_algorithmE0ELj4294967295EEENS1_25partition_config_selectorILNS1_17partition_subalgoE3EjNS0_10empty_typeEbEEZZNS1_14partition_implILS8_3ELb0ES6_jNS0_17counting_iteratorIjlEEPS9_SE_NS0_5tupleIJPjSE_EEENSF_IJSE_SE_EEES9_SG_JZNS1_25segmented_radix_sort_implINS0_14default_configELb0EPK12hip_bfloat16PSL_PKlPlN2at6native12_GLOBAL__N_18offset_tEEE10hipError_tPvRmT1_PNSt15iterator_traitsISZ_E10value_typeET2_T3_PNS10_IS15_E10value_typeET4_jRbjT5_S1B_jjP12ihipStream_tbEUljE_EEESW_SX_SY_S15_S19_S1B_T6_T7_T9_mT8_S1D_bDpT10_ENKUlT_T0_E_clISt17integral_constantIbLb0EES1Q_EEDaS1L_S1M_EUlS1L_E_NS1_11comp_targetILNS1_3genE10ELNS1_11target_archE1200ELNS1_3gpuE4ELNS1_3repE0EEENS1_30default_config_static_selectorELNS0_4arch9wavefront6targetE1EEEvSZ_
	.p2align	8
	.type	_ZN7rocprim17ROCPRIM_400000_NS6detail17trampoline_kernelINS0_13select_configILj256ELj13ELNS0_17block_load_methodE3ELS4_3ELS4_3ELNS0_20block_scan_algorithmE0ELj4294967295EEENS1_25partition_config_selectorILNS1_17partition_subalgoE3EjNS0_10empty_typeEbEEZZNS1_14partition_implILS8_3ELb0ES6_jNS0_17counting_iteratorIjlEEPS9_SE_NS0_5tupleIJPjSE_EEENSF_IJSE_SE_EEES9_SG_JZNS1_25segmented_radix_sort_implINS0_14default_configELb0EPK12hip_bfloat16PSL_PKlPlN2at6native12_GLOBAL__N_18offset_tEEE10hipError_tPvRmT1_PNSt15iterator_traitsISZ_E10value_typeET2_T3_PNS10_IS15_E10value_typeET4_jRbjT5_S1B_jjP12ihipStream_tbEUljE_EEESW_SX_SY_S15_S19_S1B_T6_T7_T9_mT8_S1D_bDpT10_ENKUlT_T0_E_clISt17integral_constantIbLb0EES1Q_EEDaS1L_S1M_EUlS1L_E_NS1_11comp_targetILNS1_3genE10ELNS1_11target_archE1200ELNS1_3gpuE4ELNS1_3repE0EEENS1_30default_config_static_selectorELNS0_4arch9wavefront6targetE1EEEvSZ_,@function
_ZN7rocprim17ROCPRIM_400000_NS6detail17trampoline_kernelINS0_13select_configILj256ELj13ELNS0_17block_load_methodE3ELS4_3ELS4_3ELNS0_20block_scan_algorithmE0ELj4294967295EEENS1_25partition_config_selectorILNS1_17partition_subalgoE3EjNS0_10empty_typeEbEEZZNS1_14partition_implILS8_3ELb0ES6_jNS0_17counting_iteratorIjlEEPS9_SE_NS0_5tupleIJPjSE_EEENSF_IJSE_SE_EEES9_SG_JZNS1_25segmented_radix_sort_implINS0_14default_configELb0EPK12hip_bfloat16PSL_PKlPlN2at6native12_GLOBAL__N_18offset_tEEE10hipError_tPvRmT1_PNSt15iterator_traitsISZ_E10value_typeET2_T3_PNS10_IS15_E10value_typeET4_jRbjT5_S1B_jjP12ihipStream_tbEUljE_EEESW_SX_SY_S15_S19_S1B_T6_T7_T9_mT8_S1D_bDpT10_ENKUlT_T0_E_clISt17integral_constantIbLb0EES1Q_EEDaS1L_S1M_EUlS1L_E_NS1_11comp_targetILNS1_3genE10ELNS1_11target_archE1200ELNS1_3gpuE4ELNS1_3repE0EEENS1_30default_config_static_selectorELNS0_4arch9wavefront6targetE1EEEvSZ_: ; @_ZN7rocprim17ROCPRIM_400000_NS6detail17trampoline_kernelINS0_13select_configILj256ELj13ELNS0_17block_load_methodE3ELS4_3ELS4_3ELNS0_20block_scan_algorithmE0ELj4294967295EEENS1_25partition_config_selectorILNS1_17partition_subalgoE3EjNS0_10empty_typeEbEEZZNS1_14partition_implILS8_3ELb0ES6_jNS0_17counting_iteratorIjlEEPS9_SE_NS0_5tupleIJPjSE_EEENSF_IJSE_SE_EEES9_SG_JZNS1_25segmented_radix_sort_implINS0_14default_configELb0EPK12hip_bfloat16PSL_PKlPlN2at6native12_GLOBAL__N_18offset_tEEE10hipError_tPvRmT1_PNSt15iterator_traitsISZ_E10value_typeET2_T3_PNS10_IS15_E10value_typeET4_jRbjT5_S1B_jjP12ihipStream_tbEUljE_EEESW_SX_SY_S15_S19_S1B_T6_T7_T9_mT8_S1D_bDpT10_ENKUlT_T0_E_clISt17integral_constantIbLb0EES1Q_EEDaS1L_S1M_EUlS1L_E_NS1_11comp_targetILNS1_3genE10ELNS1_11target_archE1200ELNS1_3gpuE4ELNS1_3repE0EEENS1_30default_config_static_selectorELNS0_4arch9wavefront6targetE1EEEvSZ_
; %bb.0:
	.section	.rodata,"a",@progbits
	.p2align	6, 0x0
	.amdhsa_kernel _ZN7rocprim17ROCPRIM_400000_NS6detail17trampoline_kernelINS0_13select_configILj256ELj13ELNS0_17block_load_methodE3ELS4_3ELS4_3ELNS0_20block_scan_algorithmE0ELj4294967295EEENS1_25partition_config_selectorILNS1_17partition_subalgoE3EjNS0_10empty_typeEbEEZZNS1_14partition_implILS8_3ELb0ES6_jNS0_17counting_iteratorIjlEEPS9_SE_NS0_5tupleIJPjSE_EEENSF_IJSE_SE_EEES9_SG_JZNS1_25segmented_radix_sort_implINS0_14default_configELb0EPK12hip_bfloat16PSL_PKlPlN2at6native12_GLOBAL__N_18offset_tEEE10hipError_tPvRmT1_PNSt15iterator_traitsISZ_E10value_typeET2_T3_PNS10_IS15_E10value_typeET4_jRbjT5_S1B_jjP12ihipStream_tbEUljE_EEESW_SX_SY_S15_S19_S1B_T6_T7_T9_mT8_S1D_bDpT10_ENKUlT_T0_E_clISt17integral_constantIbLb0EES1Q_EEDaS1L_S1M_EUlS1L_E_NS1_11comp_targetILNS1_3genE10ELNS1_11target_archE1200ELNS1_3gpuE4ELNS1_3repE0EEENS1_30default_config_static_selectorELNS0_4arch9wavefront6targetE1EEEvSZ_
		.amdhsa_group_segment_fixed_size 0
		.amdhsa_private_segment_fixed_size 0
		.amdhsa_kernarg_size 144
		.amdhsa_user_sgpr_count 6
		.amdhsa_user_sgpr_private_segment_buffer 1
		.amdhsa_user_sgpr_dispatch_ptr 0
		.amdhsa_user_sgpr_queue_ptr 0
		.amdhsa_user_sgpr_kernarg_segment_ptr 1
		.amdhsa_user_sgpr_dispatch_id 0
		.amdhsa_user_sgpr_flat_scratch_init 0
		.amdhsa_user_sgpr_private_segment_size 0
		.amdhsa_uses_dynamic_stack 0
		.amdhsa_system_sgpr_private_segment_wavefront_offset 0
		.amdhsa_system_sgpr_workgroup_id_x 1
		.amdhsa_system_sgpr_workgroup_id_y 0
		.amdhsa_system_sgpr_workgroup_id_z 0
		.amdhsa_system_sgpr_workgroup_info 0
		.amdhsa_system_vgpr_workitem_id 0
		.amdhsa_next_free_vgpr 1
		.amdhsa_next_free_sgpr 0
		.amdhsa_reserve_vcc 0
		.amdhsa_reserve_flat_scratch 0
		.amdhsa_float_round_mode_32 0
		.amdhsa_float_round_mode_16_64 0
		.amdhsa_float_denorm_mode_32 3
		.amdhsa_float_denorm_mode_16_64 3
		.amdhsa_dx10_clamp 1
		.amdhsa_ieee_mode 1
		.amdhsa_fp16_overflow 0
		.amdhsa_exception_fp_ieee_invalid_op 0
		.amdhsa_exception_fp_denorm_src 0
		.amdhsa_exception_fp_ieee_div_zero 0
		.amdhsa_exception_fp_ieee_overflow 0
		.amdhsa_exception_fp_ieee_underflow 0
		.amdhsa_exception_fp_ieee_inexact 0
		.amdhsa_exception_int_div_zero 0
	.end_amdhsa_kernel
	.section	.text._ZN7rocprim17ROCPRIM_400000_NS6detail17trampoline_kernelINS0_13select_configILj256ELj13ELNS0_17block_load_methodE3ELS4_3ELS4_3ELNS0_20block_scan_algorithmE0ELj4294967295EEENS1_25partition_config_selectorILNS1_17partition_subalgoE3EjNS0_10empty_typeEbEEZZNS1_14partition_implILS8_3ELb0ES6_jNS0_17counting_iteratorIjlEEPS9_SE_NS0_5tupleIJPjSE_EEENSF_IJSE_SE_EEES9_SG_JZNS1_25segmented_radix_sort_implINS0_14default_configELb0EPK12hip_bfloat16PSL_PKlPlN2at6native12_GLOBAL__N_18offset_tEEE10hipError_tPvRmT1_PNSt15iterator_traitsISZ_E10value_typeET2_T3_PNS10_IS15_E10value_typeET4_jRbjT5_S1B_jjP12ihipStream_tbEUljE_EEESW_SX_SY_S15_S19_S1B_T6_T7_T9_mT8_S1D_bDpT10_ENKUlT_T0_E_clISt17integral_constantIbLb0EES1Q_EEDaS1L_S1M_EUlS1L_E_NS1_11comp_targetILNS1_3genE10ELNS1_11target_archE1200ELNS1_3gpuE4ELNS1_3repE0EEENS1_30default_config_static_selectorELNS0_4arch9wavefront6targetE1EEEvSZ_,"axG",@progbits,_ZN7rocprim17ROCPRIM_400000_NS6detail17trampoline_kernelINS0_13select_configILj256ELj13ELNS0_17block_load_methodE3ELS4_3ELS4_3ELNS0_20block_scan_algorithmE0ELj4294967295EEENS1_25partition_config_selectorILNS1_17partition_subalgoE3EjNS0_10empty_typeEbEEZZNS1_14partition_implILS8_3ELb0ES6_jNS0_17counting_iteratorIjlEEPS9_SE_NS0_5tupleIJPjSE_EEENSF_IJSE_SE_EEES9_SG_JZNS1_25segmented_radix_sort_implINS0_14default_configELb0EPK12hip_bfloat16PSL_PKlPlN2at6native12_GLOBAL__N_18offset_tEEE10hipError_tPvRmT1_PNSt15iterator_traitsISZ_E10value_typeET2_T3_PNS10_IS15_E10value_typeET4_jRbjT5_S1B_jjP12ihipStream_tbEUljE_EEESW_SX_SY_S15_S19_S1B_T6_T7_T9_mT8_S1D_bDpT10_ENKUlT_T0_E_clISt17integral_constantIbLb0EES1Q_EEDaS1L_S1M_EUlS1L_E_NS1_11comp_targetILNS1_3genE10ELNS1_11target_archE1200ELNS1_3gpuE4ELNS1_3repE0EEENS1_30default_config_static_selectorELNS0_4arch9wavefront6targetE1EEEvSZ_,comdat
.Lfunc_end2022:
	.size	_ZN7rocprim17ROCPRIM_400000_NS6detail17trampoline_kernelINS0_13select_configILj256ELj13ELNS0_17block_load_methodE3ELS4_3ELS4_3ELNS0_20block_scan_algorithmE0ELj4294967295EEENS1_25partition_config_selectorILNS1_17partition_subalgoE3EjNS0_10empty_typeEbEEZZNS1_14partition_implILS8_3ELb0ES6_jNS0_17counting_iteratorIjlEEPS9_SE_NS0_5tupleIJPjSE_EEENSF_IJSE_SE_EEES9_SG_JZNS1_25segmented_radix_sort_implINS0_14default_configELb0EPK12hip_bfloat16PSL_PKlPlN2at6native12_GLOBAL__N_18offset_tEEE10hipError_tPvRmT1_PNSt15iterator_traitsISZ_E10value_typeET2_T3_PNS10_IS15_E10value_typeET4_jRbjT5_S1B_jjP12ihipStream_tbEUljE_EEESW_SX_SY_S15_S19_S1B_T6_T7_T9_mT8_S1D_bDpT10_ENKUlT_T0_E_clISt17integral_constantIbLb0EES1Q_EEDaS1L_S1M_EUlS1L_E_NS1_11comp_targetILNS1_3genE10ELNS1_11target_archE1200ELNS1_3gpuE4ELNS1_3repE0EEENS1_30default_config_static_selectorELNS0_4arch9wavefront6targetE1EEEvSZ_, .Lfunc_end2022-_ZN7rocprim17ROCPRIM_400000_NS6detail17trampoline_kernelINS0_13select_configILj256ELj13ELNS0_17block_load_methodE3ELS4_3ELS4_3ELNS0_20block_scan_algorithmE0ELj4294967295EEENS1_25partition_config_selectorILNS1_17partition_subalgoE3EjNS0_10empty_typeEbEEZZNS1_14partition_implILS8_3ELb0ES6_jNS0_17counting_iteratorIjlEEPS9_SE_NS0_5tupleIJPjSE_EEENSF_IJSE_SE_EEES9_SG_JZNS1_25segmented_radix_sort_implINS0_14default_configELb0EPK12hip_bfloat16PSL_PKlPlN2at6native12_GLOBAL__N_18offset_tEEE10hipError_tPvRmT1_PNSt15iterator_traitsISZ_E10value_typeET2_T3_PNS10_IS15_E10value_typeET4_jRbjT5_S1B_jjP12ihipStream_tbEUljE_EEESW_SX_SY_S15_S19_S1B_T6_T7_T9_mT8_S1D_bDpT10_ENKUlT_T0_E_clISt17integral_constantIbLb0EES1Q_EEDaS1L_S1M_EUlS1L_E_NS1_11comp_targetILNS1_3genE10ELNS1_11target_archE1200ELNS1_3gpuE4ELNS1_3repE0EEENS1_30default_config_static_selectorELNS0_4arch9wavefront6targetE1EEEvSZ_
                                        ; -- End function
	.set _ZN7rocprim17ROCPRIM_400000_NS6detail17trampoline_kernelINS0_13select_configILj256ELj13ELNS0_17block_load_methodE3ELS4_3ELS4_3ELNS0_20block_scan_algorithmE0ELj4294967295EEENS1_25partition_config_selectorILNS1_17partition_subalgoE3EjNS0_10empty_typeEbEEZZNS1_14partition_implILS8_3ELb0ES6_jNS0_17counting_iteratorIjlEEPS9_SE_NS0_5tupleIJPjSE_EEENSF_IJSE_SE_EEES9_SG_JZNS1_25segmented_radix_sort_implINS0_14default_configELb0EPK12hip_bfloat16PSL_PKlPlN2at6native12_GLOBAL__N_18offset_tEEE10hipError_tPvRmT1_PNSt15iterator_traitsISZ_E10value_typeET2_T3_PNS10_IS15_E10value_typeET4_jRbjT5_S1B_jjP12ihipStream_tbEUljE_EEESW_SX_SY_S15_S19_S1B_T6_T7_T9_mT8_S1D_bDpT10_ENKUlT_T0_E_clISt17integral_constantIbLb0EES1Q_EEDaS1L_S1M_EUlS1L_E_NS1_11comp_targetILNS1_3genE10ELNS1_11target_archE1200ELNS1_3gpuE4ELNS1_3repE0EEENS1_30default_config_static_selectorELNS0_4arch9wavefront6targetE1EEEvSZ_.num_vgpr, 0
	.set _ZN7rocprim17ROCPRIM_400000_NS6detail17trampoline_kernelINS0_13select_configILj256ELj13ELNS0_17block_load_methodE3ELS4_3ELS4_3ELNS0_20block_scan_algorithmE0ELj4294967295EEENS1_25partition_config_selectorILNS1_17partition_subalgoE3EjNS0_10empty_typeEbEEZZNS1_14partition_implILS8_3ELb0ES6_jNS0_17counting_iteratorIjlEEPS9_SE_NS0_5tupleIJPjSE_EEENSF_IJSE_SE_EEES9_SG_JZNS1_25segmented_radix_sort_implINS0_14default_configELb0EPK12hip_bfloat16PSL_PKlPlN2at6native12_GLOBAL__N_18offset_tEEE10hipError_tPvRmT1_PNSt15iterator_traitsISZ_E10value_typeET2_T3_PNS10_IS15_E10value_typeET4_jRbjT5_S1B_jjP12ihipStream_tbEUljE_EEESW_SX_SY_S15_S19_S1B_T6_T7_T9_mT8_S1D_bDpT10_ENKUlT_T0_E_clISt17integral_constantIbLb0EES1Q_EEDaS1L_S1M_EUlS1L_E_NS1_11comp_targetILNS1_3genE10ELNS1_11target_archE1200ELNS1_3gpuE4ELNS1_3repE0EEENS1_30default_config_static_selectorELNS0_4arch9wavefront6targetE1EEEvSZ_.num_agpr, 0
	.set _ZN7rocprim17ROCPRIM_400000_NS6detail17trampoline_kernelINS0_13select_configILj256ELj13ELNS0_17block_load_methodE3ELS4_3ELS4_3ELNS0_20block_scan_algorithmE0ELj4294967295EEENS1_25partition_config_selectorILNS1_17partition_subalgoE3EjNS0_10empty_typeEbEEZZNS1_14partition_implILS8_3ELb0ES6_jNS0_17counting_iteratorIjlEEPS9_SE_NS0_5tupleIJPjSE_EEENSF_IJSE_SE_EEES9_SG_JZNS1_25segmented_radix_sort_implINS0_14default_configELb0EPK12hip_bfloat16PSL_PKlPlN2at6native12_GLOBAL__N_18offset_tEEE10hipError_tPvRmT1_PNSt15iterator_traitsISZ_E10value_typeET2_T3_PNS10_IS15_E10value_typeET4_jRbjT5_S1B_jjP12ihipStream_tbEUljE_EEESW_SX_SY_S15_S19_S1B_T6_T7_T9_mT8_S1D_bDpT10_ENKUlT_T0_E_clISt17integral_constantIbLb0EES1Q_EEDaS1L_S1M_EUlS1L_E_NS1_11comp_targetILNS1_3genE10ELNS1_11target_archE1200ELNS1_3gpuE4ELNS1_3repE0EEENS1_30default_config_static_selectorELNS0_4arch9wavefront6targetE1EEEvSZ_.numbered_sgpr, 0
	.set _ZN7rocprim17ROCPRIM_400000_NS6detail17trampoline_kernelINS0_13select_configILj256ELj13ELNS0_17block_load_methodE3ELS4_3ELS4_3ELNS0_20block_scan_algorithmE0ELj4294967295EEENS1_25partition_config_selectorILNS1_17partition_subalgoE3EjNS0_10empty_typeEbEEZZNS1_14partition_implILS8_3ELb0ES6_jNS0_17counting_iteratorIjlEEPS9_SE_NS0_5tupleIJPjSE_EEENSF_IJSE_SE_EEES9_SG_JZNS1_25segmented_radix_sort_implINS0_14default_configELb0EPK12hip_bfloat16PSL_PKlPlN2at6native12_GLOBAL__N_18offset_tEEE10hipError_tPvRmT1_PNSt15iterator_traitsISZ_E10value_typeET2_T3_PNS10_IS15_E10value_typeET4_jRbjT5_S1B_jjP12ihipStream_tbEUljE_EEESW_SX_SY_S15_S19_S1B_T6_T7_T9_mT8_S1D_bDpT10_ENKUlT_T0_E_clISt17integral_constantIbLb0EES1Q_EEDaS1L_S1M_EUlS1L_E_NS1_11comp_targetILNS1_3genE10ELNS1_11target_archE1200ELNS1_3gpuE4ELNS1_3repE0EEENS1_30default_config_static_selectorELNS0_4arch9wavefront6targetE1EEEvSZ_.num_named_barrier, 0
	.set _ZN7rocprim17ROCPRIM_400000_NS6detail17trampoline_kernelINS0_13select_configILj256ELj13ELNS0_17block_load_methodE3ELS4_3ELS4_3ELNS0_20block_scan_algorithmE0ELj4294967295EEENS1_25partition_config_selectorILNS1_17partition_subalgoE3EjNS0_10empty_typeEbEEZZNS1_14partition_implILS8_3ELb0ES6_jNS0_17counting_iteratorIjlEEPS9_SE_NS0_5tupleIJPjSE_EEENSF_IJSE_SE_EEES9_SG_JZNS1_25segmented_radix_sort_implINS0_14default_configELb0EPK12hip_bfloat16PSL_PKlPlN2at6native12_GLOBAL__N_18offset_tEEE10hipError_tPvRmT1_PNSt15iterator_traitsISZ_E10value_typeET2_T3_PNS10_IS15_E10value_typeET4_jRbjT5_S1B_jjP12ihipStream_tbEUljE_EEESW_SX_SY_S15_S19_S1B_T6_T7_T9_mT8_S1D_bDpT10_ENKUlT_T0_E_clISt17integral_constantIbLb0EES1Q_EEDaS1L_S1M_EUlS1L_E_NS1_11comp_targetILNS1_3genE10ELNS1_11target_archE1200ELNS1_3gpuE4ELNS1_3repE0EEENS1_30default_config_static_selectorELNS0_4arch9wavefront6targetE1EEEvSZ_.private_seg_size, 0
	.set _ZN7rocprim17ROCPRIM_400000_NS6detail17trampoline_kernelINS0_13select_configILj256ELj13ELNS0_17block_load_methodE3ELS4_3ELS4_3ELNS0_20block_scan_algorithmE0ELj4294967295EEENS1_25partition_config_selectorILNS1_17partition_subalgoE3EjNS0_10empty_typeEbEEZZNS1_14partition_implILS8_3ELb0ES6_jNS0_17counting_iteratorIjlEEPS9_SE_NS0_5tupleIJPjSE_EEENSF_IJSE_SE_EEES9_SG_JZNS1_25segmented_radix_sort_implINS0_14default_configELb0EPK12hip_bfloat16PSL_PKlPlN2at6native12_GLOBAL__N_18offset_tEEE10hipError_tPvRmT1_PNSt15iterator_traitsISZ_E10value_typeET2_T3_PNS10_IS15_E10value_typeET4_jRbjT5_S1B_jjP12ihipStream_tbEUljE_EEESW_SX_SY_S15_S19_S1B_T6_T7_T9_mT8_S1D_bDpT10_ENKUlT_T0_E_clISt17integral_constantIbLb0EES1Q_EEDaS1L_S1M_EUlS1L_E_NS1_11comp_targetILNS1_3genE10ELNS1_11target_archE1200ELNS1_3gpuE4ELNS1_3repE0EEENS1_30default_config_static_selectorELNS0_4arch9wavefront6targetE1EEEvSZ_.uses_vcc, 0
	.set _ZN7rocprim17ROCPRIM_400000_NS6detail17trampoline_kernelINS0_13select_configILj256ELj13ELNS0_17block_load_methodE3ELS4_3ELS4_3ELNS0_20block_scan_algorithmE0ELj4294967295EEENS1_25partition_config_selectorILNS1_17partition_subalgoE3EjNS0_10empty_typeEbEEZZNS1_14partition_implILS8_3ELb0ES6_jNS0_17counting_iteratorIjlEEPS9_SE_NS0_5tupleIJPjSE_EEENSF_IJSE_SE_EEES9_SG_JZNS1_25segmented_radix_sort_implINS0_14default_configELb0EPK12hip_bfloat16PSL_PKlPlN2at6native12_GLOBAL__N_18offset_tEEE10hipError_tPvRmT1_PNSt15iterator_traitsISZ_E10value_typeET2_T3_PNS10_IS15_E10value_typeET4_jRbjT5_S1B_jjP12ihipStream_tbEUljE_EEESW_SX_SY_S15_S19_S1B_T6_T7_T9_mT8_S1D_bDpT10_ENKUlT_T0_E_clISt17integral_constantIbLb0EES1Q_EEDaS1L_S1M_EUlS1L_E_NS1_11comp_targetILNS1_3genE10ELNS1_11target_archE1200ELNS1_3gpuE4ELNS1_3repE0EEENS1_30default_config_static_selectorELNS0_4arch9wavefront6targetE1EEEvSZ_.uses_flat_scratch, 0
	.set _ZN7rocprim17ROCPRIM_400000_NS6detail17trampoline_kernelINS0_13select_configILj256ELj13ELNS0_17block_load_methodE3ELS4_3ELS4_3ELNS0_20block_scan_algorithmE0ELj4294967295EEENS1_25partition_config_selectorILNS1_17partition_subalgoE3EjNS0_10empty_typeEbEEZZNS1_14partition_implILS8_3ELb0ES6_jNS0_17counting_iteratorIjlEEPS9_SE_NS0_5tupleIJPjSE_EEENSF_IJSE_SE_EEES9_SG_JZNS1_25segmented_radix_sort_implINS0_14default_configELb0EPK12hip_bfloat16PSL_PKlPlN2at6native12_GLOBAL__N_18offset_tEEE10hipError_tPvRmT1_PNSt15iterator_traitsISZ_E10value_typeET2_T3_PNS10_IS15_E10value_typeET4_jRbjT5_S1B_jjP12ihipStream_tbEUljE_EEESW_SX_SY_S15_S19_S1B_T6_T7_T9_mT8_S1D_bDpT10_ENKUlT_T0_E_clISt17integral_constantIbLb0EES1Q_EEDaS1L_S1M_EUlS1L_E_NS1_11comp_targetILNS1_3genE10ELNS1_11target_archE1200ELNS1_3gpuE4ELNS1_3repE0EEENS1_30default_config_static_selectorELNS0_4arch9wavefront6targetE1EEEvSZ_.has_dyn_sized_stack, 0
	.set _ZN7rocprim17ROCPRIM_400000_NS6detail17trampoline_kernelINS0_13select_configILj256ELj13ELNS0_17block_load_methodE3ELS4_3ELS4_3ELNS0_20block_scan_algorithmE0ELj4294967295EEENS1_25partition_config_selectorILNS1_17partition_subalgoE3EjNS0_10empty_typeEbEEZZNS1_14partition_implILS8_3ELb0ES6_jNS0_17counting_iteratorIjlEEPS9_SE_NS0_5tupleIJPjSE_EEENSF_IJSE_SE_EEES9_SG_JZNS1_25segmented_radix_sort_implINS0_14default_configELb0EPK12hip_bfloat16PSL_PKlPlN2at6native12_GLOBAL__N_18offset_tEEE10hipError_tPvRmT1_PNSt15iterator_traitsISZ_E10value_typeET2_T3_PNS10_IS15_E10value_typeET4_jRbjT5_S1B_jjP12ihipStream_tbEUljE_EEESW_SX_SY_S15_S19_S1B_T6_T7_T9_mT8_S1D_bDpT10_ENKUlT_T0_E_clISt17integral_constantIbLb0EES1Q_EEDaS1L_S1M_EUlS1L_E_NS1_11comp_targetILNS1_3genE10ELNS1_11target_archE1200ELNS1_3gpuE4ELNS1_3repE0EEENS1_30default_config_static_selectorELNS0_4arch9wavefront6targetE1EEEvSZ_.has_recursion, 0
	.set _ZN7rocprim17ROCPRIM_400000_NS6detail17trampoline_kernelINS0_13select_configILj256ELj13ELNS0_17block_load_methodE3ELS4_3ELS4_3ELNS0_20block_scan_algorithmE0ELj4294967295EEENS1_25partition_config_selectorILNS1_17partition_subalgoE3EjNS0_10empty_typeEbEEZZNS1_14partition_implILS8_3ELb0ES6_jNS0_17counting_iteratorIjlEEPS9_SE_NS0_5tupleIJPjSE_EEENSF_IJSE_SE_EEES9_SG_JZNS1_25segmented_radix_sort_implINS0_14default_configELb0EPK12hip_bfloat16PSL_PKlPlN2at6native12_GLOBAL__N_18offset_tEEE10hipError_tPvRmT1_PNSt15iterator_traitsISZ_E10value_typeET2_T3_PNS10_IS15_E10value_typeET4_jRbjT5_S1B_jjP12ihipStream_tbEUljE_EEESW_SX_SY_S15_S19_S1B_T6_T7_T9_mT8_S1D_bDpT10_ENKUlT_T0_E_clISt17integral_constantIbLb0EES1Q_EEDaS1L_S1M_EUlS1L_E_NS1_11comp_targetILNS1_3genE10ELNS1_11target_archE1200ELNS1_3gpuE4ELNS1_3repE0EEENS1_30default_config_static_selectorELNS0_4arch9wavefront6targetE1EEEvSZ_.has_indirect_call, 0
	.section	.AMDGPU.csdata,"",@progbits
; Kernel info:
; codeLenInByte = 0
; TotalNumSgprs: 4
; NumVgprs: 0
; ScratchSize: 0
; MemoryBound: 0
; FloatMode: 240
; IeeeMode: 1
; LDSByteSize: 0 bytes/workgroup (compile time only)
; SGPRBlocks: 0
; VGPRBlocks: 0
; NumSGPRsForWavesPerEU: 4
; NumVGPRsForWavesPerEU: 1
; Occupancy: 10
; WaveLimiterHint : 0
; COMPUTE_PGM_RSRC2:SCRATCH_EN: 0
; COMPUTE_PGM_RSRC2:USER_SGPR: 6
; COMPUTE_PGM_RSRC2:TRAP_HANDLER: 0
; COMPUTE_PGM_RSRC2:TGID_X_EN: 1
; COMPUTE_PGM_RSRC2:TGID_Y_EN: 0
; COMPUTE_PGM_RSRC2:TGID_Z_EN: 0
; COMPUTE_PGM_RSRC2:TIDIG_COMP_CNT: 0
	.section	.text._ZN7rocprim17ROCPRIM_400000_NS6detail17trampoline_kernelINS0_13select_configILj256ELj13ELNS0_17block_load_methodE3ELS4_3ELS4_3ELNS0_20block_scan_algorithmE0ELj4294967295EEENS1_25partition_config_selectorILNS1_17partition_subalgoE3EjNS0_10empty_typeEbEEZZNS1_14partition_implILS8_3ELb0ES6_jNS0_17counting_iteratorIjlEEPS9_SE_NS0_5tupleIJPjSE_EEENSF_IJSE_SE_EEES9_SG_JZNS1_25segmented_radix_sort_implINS0_14default_configELb0EPK12hip_bfloat16PSL_PKlPlN2at6native12_GLOBAL__N_18offset_tEEE10hipError_tPvRmT1_PNSt15iterator_traitsISZ_E10value_typeET2_T3_PNS10_IS15_E10value_typeET4_jRbjT5_S1B_jjP12ihipStream_tbEUljE_EEESW_SX_SY_S15_S19_S1B_T6_T7_T9_mT8_S1D_bDpT10_ENKUlT_T0_E_clISt17integral_constantIbLb0EES1Q_EEDaS1L_S1M_EUlS1L_E_NS1_11comp_targetILNS1_3genE9ELNS1_11target_archE1100ELNS1_3gpuE3ELNS1_3repE0EEENS1_30default_config_static_selectorELNS0_4arch9wavefront6targetE1EEEvSZ_,"axG",@progbits,_ZN7rocprim17ROCPRIM_400000_NS6detail17trampoline_kernelINS0_13select_configILj256ELj13ELNS0_17block_load_methodE3ELS4_3ELS4_3ELNS0_20block_scan_algorithmE0ELj4294967295EEENS1_25partition_config_selectorILNS1_17partition_subalgoE3EjNS0_10empty_typeEbEEZZNS1_14partition_implILS8_3ELb0ES6_jNS0_17counting_iteratorIjlEEPS9_SE_NS0_5tupleIJPjSE_EEENSF_IJSE_SE_EEES9_SG_JZNS1_25segmented_radix_sort_implINS0_14default_configELb0EPK12hip_bfloat16PSL_PKlPlN2at6native12_GLOBAL__N_18offset_tEEE10hipError_tPvRmT1_PNSt15iterator_traitsISZ_E10value_typeET2_T3_PNS10_IS15_E10value_typeET4_jRbjT5_S1B_jjP12ihipStream_tbEUljE_EEESW_SX_SY_S15_S19_S1B_T6_T7_T9_mT8_S1D_bDpT10_ENKUlT_T0_E_clISt17integral_constantIbLb0EES1Q_EEDaS1L_S1M_EUlS1L_E_NS1_11comp_targetILNS1_3genE9ELNS1_11target_archE1100ELNS1_3gpuE3ELNS1_3repE0EEENS1_30default_config_static_selectorELNS0_4arch9wavefront6targetE1EEEvSZ_,comdat
	.globl	_ZN7rocprim17ROCPRIM_400000_NS6detail17trampoline_kernelINS0_13select_configILj256ELj13ELNS0_17block_load_methodE3ELS4_3ELS4_3ELNS0_20block_scan_algorithmE0ELj4294967295EEENS1_25partition_config_selectorILNS1_17partition_subalgoE3EjNS0_10empty_typeEbEEZZNS1_14partition_implILS8_3ELb0ES6_jNS0_17counting_iteratorIjlEEPS9_SE_NS0_5tupleIJPjSE_EEENSF_IJSE_SE_EEES9_SG_JZNS1_25segmented_radix_sort_implINS0_14default_configELb0EPK12hip_bfloat16PSL_PKlPlN2at6native12_GLOBAL__N_18offset_tEEE10hipError_tPvRmT1_PNSt15iterator_traitsISZ_E10value_typeET2_T3_PNS10_IS15_E10value_typeET4_jRbjT5_S1B_jjP12ihipStream_tbEUljE_EEESW_SX_SY_S15_S19_S1B_T6_T7_T9_mT8_S1D_bDpT10_ENKUlT_T0_E_clISt17integral_constantIbLb0EES1Q_EEDaS1L_S1M_EUlS1L_E_NS1_11comp_targetILNS1_3genE9ELNS1_11target_archE1100ELNS1_3gpuE3ELNS1_3repE0EEENS1_30default_config_static_selectorELNS0_4arch9wavefront6targetE1EEEvSZ_ ; -- Begin function _ZN7rocprim17ROCPRIM_400000_NS6detail17trampoline_kernelINS0_13select_configILj256ELj13ELNS0_17block_load_methodE3ELS4_3ELS4_3ELNS0_20block_scan_algorithmE0ELj4294967295EEENS1_25partition_config_selectorILNS1_17partition_subalgoE3EjNS0_10empty_typeEbEEZZNS1_14partition_implILS8_3ELb0ES6_jNS0_17counting_iteratorIjlEEPS9_SE_NS0_5tupleIJPjSE_EEENSF_IJSE_SE_EEES9_SG_JZNS1_25segmented_radix_sort_implINS0_14default_configELb0EPK12hip_bfloat16PSL_PKlPlN2at6native12_GLOBAL__N_18offset_tEEE10hipError_tPvRmT1_PNSt15iterator_traitsISZ_E10value_typeET2_T3_PNS10_IS15_E10value_typeET4_jRbjT5_S1B_jjP12ihipStream_tbEUljE_EEESW_SX_SY_S15_S19_S1B_T6_T7_T9_mT8_S1D_bDpT10_ENKUlT_T0_E_clISt17integral_constantIbLb0EES1Q_EEDaS1L_S1M_EUlS1L_E_NS1_11comp_targetILNS1_3genE9ELNS1_11target_archE1100ELNS1_3gpuE3ELNS1_3repE0EEENS1_30default_config_static_selectorELNS0_4arch9wavefront6targetE1EEEvSZ_
	.p2align	8
	.type	_ZN7rocprim17ROCPRIM_400000_NS6detail17trampoline_kernelINS0_13select_configILj256ELj13ELNS0_17block_load_methodE3ELS4_3ELS4_3ELNS0_20block_scan_algorithmE0ELj4294967295EEENS1_25partition_config_selectorILNS1_17partition_subalgoE3EjNS0_10empty_typeEbEEZZNS1_14partition_implILS8_3ELb0ES6_jNS0_17counting_iteratorIjlEEPS9_SE_NS0_5tupleIJPjSE_EEENSF_IJSE_SE_EEES9_SG_JZNS1_25segmented_radix_sort_implINS0_14default_configELb0EPK12hip_bfloat16PSL_PKlPlN2at6native12_GLOBAL__N_18offset_tEEE10hipError_tPvRmT1_PNSt15iterator_traitsISZ_E10value_typeET2_T3_PNS10_IS15_E10value_typeET4_jRbjT5_S1B_jjP12ihipStream_tbEUljE_EEESW_SX_SY_S15_S19_S1B_T6_T7_T9_mT8_S1D_bDpT10_ENKUlT_T0_E_clISt17integral_constantIbLb0EES1Q_EEDaS1L_S1M_EUlS1L_E_NS1_11comp_targetILNS1_3genE9ELNS1_11target_archE1100ELNS1_3gpuE3ELNS1_3repE0EEENS1_30default_config_static_selectorELNS0_4arch9wavefront6targetE1EEEvSZ_,@function
_ZN7rocprim17ROCPRIM_400000_NS6detail17trampoline_kernelINS0_13select_configILj256ELj13ELNS0_17block_load_methodE3ELS4_3ELS4_3ELNS0_20block_scan_algorithmE0ELj4294967295EEENS1_25partition_config_selectorILNS1_17partition_subalgoE3EjNS0_10empty_typeEbEEZZNS1_14partition_implILS8_3ELb0ES6_jNS0_17counting_iteratorIjlEEPS9_SE_NS0_5tupleIJPjSE_EEENSF_IJSE_SE_EEES9_SG_JZNS1_25segmented_radix_sort_implINS0_14default_configELb0EPK12hip_bfloat16PSL_PKlPlN2at6native12_GLOBAL__N_18offset_tEEE10hipError_tPvRmT1_PNSt15iterator_traitsISZ_E10value_typeET2_T3_PNS10_IS15_E10value_typeET4_jRbjT5_S1B_jjP12ihipStream_tbEUljE_EEESW_SX_SY_S15_S19_S1B_T6_T7_T9_mT8_S1D_bDpT10_ENKUlT_T0_E_clISt17integral_constantIbLb0EES1Q_EEDaS1L_S1M_EUlS1L_E_NS1_11comp_targetILNS1_3genE9ELNS1_11target_archE1100ELNS1_3gpuE3ELNS1_3repE0EEENS1_30default_config_static_selectorELNS0_4arch9wavefront6targetE1EEEvSZ_: ; @_ZN7rocprim17ROCPRIM_400000_NS6detail17trampoline_kernelINS0_13select_configILj256ELj13ELNS0_17block_load_methodE3ELS4_3ELS4_3ELNS0_20block_scan_algorithmE0ELj4294967295EEENS1_25partition_config_selectorILNS1_17partition_subalgoE3EjNS0_10empty_typeEbEEZZNS1_14partition_implILS8_3ELb0ES6_jNS0_17counting_iteratorIjlEEPS9_SE_NS0_5tupleIJPjSE_EEENSF_IJSE_SE_EEES9_SG_JZNS1_25segmented_radix_sort_implINS0_14default_configELb0EPK12hip_bfloat16PSL_PKlPlN2at6native12_GLOBAL__N_18offset_tEEE10hipError_tPvRmT1_PNSt15iterator_traitsISZ_E10value_typeET2_T3_PNS10_IS15_E10value_typeET4_jRbjT5_S1B_jjP12ihipStream_tbEUljE_EEESW_SX_SY_S15_S19_S1B_T6_T7_T9_mT8_S1D_bDpT10_ENKUlT_T0_E_clISt17integral_constantIbLb0EES1Q_EEDaS1L_S1M_EUlS1L_E_NS1_11comp_targetILNS1_3genE9ELNS1_11target_archE1100ELNS1_3gpuE3ELNS1_3repE0EEENS1_30default_config_static_selectorELNS0_4arch9wavefront6targetE1EEEvSZ_
; %bb.0:
	.section	.rodata,"a",@progbits
	.p2align	6, 0x0
	.amdhsa_kernel _ZN7rocprim17ROCPRIM_400000_NS6detail17trampoline_kernelINS0_13select_configILj256ELj13ELNS0_17block_load_methodE3ELS4_3ELS4_3ELNS0_20block_scan_algorithmE0ELj4294967295EEENS1_25partition_config_selectorILNS1_17partition_subalgoE3EjNS0_10empty_typeEbEEZZNS1_14partition_implILS8_3ELb0ES6_jNS0_17counting_iteratorIjlEEPS9_SE_NS0_5tupleIJPjSE_EEENSF_IJSE_SE_EEES9_SG_JZNS1_25segmented_radix_sort_implINS0_14default_configELb0EPK12hip_bfloat16PSL_PKlPlN2at6native12_GLOBAL__N_18offset_tEEE10hipError_tPvRmT1_PNSt15iterator_traitsISZ_E10value_typeET2_T3_PNS10_IS15_E10value_typeET4_jRbjT5_S1B_jjP12ihipStream_tbEUljE_EEESW_SX_SY_S15_S19_S1B_T6_T7_T9_mT8_S1D_bDpT10_ENKUlT_T0_E_clISt17integral_constantIbLb0EES1Q_EEDaS1L_S1M_EUlS1L_E_NS1_11comp_targetILNS1_3genE9ELNS1_11target_archE1100ELNS1_3gpuE3ELNS1_3repE0EEENS1_30default_config_static_selectorELNS0_4arch9wavefront6targetE1EEEvSZ_
		.amdhsa_group_segment_fixed_size 0
		.amdhsa_private_segment_fixed_size 0
		.amdhsa_kernarg_size 144
		.amdhsa_user_sgpr_count 6
		.amdhsa_user_sgpr_private_segment_buffer 1
		.amdhsa_user_sgpr_dispatch_ptr 0
		.amdhsa_user_sgpr_queue_ptr 0
		.amdhsa_user_sgpr_kernarg_segment_ptr 1
		.amdhsa_user_sgpr_dispatch_id 0
		.amdhsa_user_sgpr_flat_scratch_init 0
		.amdhsa_user_sgpr_private_segment_size 0
		.amdhsa_uses_dynamic_stack 0
		.amdhsa_system_sgpr_private_segment_wavefront_offset 0
		.amdhsa_system_sgpr_workgroup_id_x 1
		.amdhsa_system_sgpr_workgroup_id_y 0
		.amdhsa_system_sgpr_workgroup_id_z 0
		.amdhsa_system_sgpr_workgroup_info 0
		.amdhsa_system_vgpr_workitem_id 0
		.amdhsa_next_free_vgpr 1
		.amdhsa_next_free_sgpr 0
		.amdhsa_reserve_vcc 0
		.amdhsa_reserve_flat_scratch 0
		.amdhsa_float_round_mode_32 0
		.amdhsa_float_round_mode_16_64 0
		.amdhsa_float_denorm_mode_32 3
		.amdhsa_float_denorm_mode_16_64 3
		.amdhsa_dx10_clamp 1
		.amdhsa_ieee_mode 1
		.amdhsa_fp16_overflow 0
		.amdhsa_exception_fp_ieee_invalid_op 0
		.amdhsa_exception_fp_denorm_src 0
		.amdhsa_exception_fp_ieee_div_zero 0
		.amdhsa_exception_fp_ieee_overflow 0
		.amdhsa_exception_fp_ieee_underflow 0
		.amdhsa_exception_fp_ieee_inexact 0
		.amdhsa_exception_int_div_zero 0
	.end_amdhsa_kernel
	.section	.text._ZN7rocprim17ROCPRIM_400000_NS6detail17trampoline_kernelINS0_13select_configILj256ELj13ELNS0_17block_load_methodE3ELS4_3ELS4_3ELNS0_20block_scan_algorithmE0ELj4294967295EEENS1_25partition_config_selectorILNS1_17partition_subalgoE3EjNS0_10empty_typeEbEEZZNS1_14partition_implILS8_3ELb0ES6_jNS0_17counting_iteratorIjlEEPS9_SE_NS0_5tupleIJPjSE_EEENSF_IJSE_SE_EEES9_SG_JZNS1_25segmented_radix_sort_implINS0_14default_configELb0EPK12hip_bfloat16PSL_PKlPlN2at6native12_GLOBAL__N_18offset_tEEE10hipError_tPvRmT1_PNSt15iterator_traitsISZ_E10value_typeET2_T3_PNS10_IS15_E10value_typeET4_jRbjT5_S1B_jjP12ihipStream_tbEUljE_EEESW_SX_SY_S15_S19_S1B_T6_T7_T9_mT8_S1D_bDpT10_ENKUlT_T0_E_clISt17integral_constantIbLb0EES1Q_EEDaS1L_S1M_EUlS1L_E_NS1_11comp_targetILNS1_3genE9ELNS1_11target_archE1100ELNS1_3gpuE3ELNS1_3repE0EEENS1_30default_config_static_selectorELNS0_4arch9wavefront6targetE1EEEvSZ_,"axG",@progbits,_ZN7rocprim17ROCPRIM_400000_NS6detail17trampoline_kernelINS0_13select_configILj256ELj13ELNS0_17block_load_methodE3ELS4_3ELS4_3ELNS0_20block_scan_algorithmE0ELj4294967295EEENS1_25partition_config_selectorILNS1_17partition_subalgoE3EjNS0_10empty_typeEbEEZZNS1_14partition_implILS8_3ELb0ES6_jNS0_17counting_iteratorIjlEEPS9_SE_NS0_5tupleIJPjSE_EEENSF_IJSE_SE_EEES9_SG_JZNS1_25segmented_radix_sort_implINS0_14default_configELb0EPK12hip_bfloat16PSL_PKlPlN2at6native12_GLOBAL__N_18offset_tEEE10hipError_tPvRmT1_PNSt15iterator_traitsISZ_E10value_typeET2_T3_PNS10_IS15_E10value_typeET4_jRbjT5_S1B_jjP12ihipStream_tbEUljE_EEESW_SX_SY_S15_S19_S1B_T6_T7_T9_mT8_S1D_bDpT10_ENKUlT_T0_E_clISt17integral_constantIbLb0EES1Q_EEDaS1L_S1M_EUlS1L_E_NS1_11comp_targetILNS1_3genE9ELNS1_11target_archE1100ELNS1_3gpuE3ELNS1_3repE0EEENS1_30default_config_static_selectorELNS0_4arch9wavefront6targetE1EEEvSZ_,comdat
.Lfunc_end2023:
	.size	_ZN7rocprim17ROCPRIM_400000_NS6detail17trampoline_kernelINS0_13select_configILj256ELj13ELNS0_17block_load_methodE3ELS4_3ELS4_3ELNS0_20block_scan_algorithmE0ELj4294967295EEENS1_25partition_config_selectorILNS1_17partition_subalgoE3EjNS0_10empty_typeEbEEZZNS1_14partition_implILS8_3ELb0ES6_jNS0_17counting_iteratorIjlEEPS9_SE_NS0_5tupleIJPjSE_EEENSF_IJSE_SE_EEES9_SG_JZNS1_25segmented_radix_sort_implINS0_14default_configELb0EPK12hip_bfloat16PSL_PKlPlN2at6native12_GLOBAL__N_18offset_tEEE10hipError_tPvRmT1_PNSt15iterator_traitsISZ_E10value_typeET2_T3_PNS10_IS15_E10value_typeET4_jRbjT5_S1B_jjP12ihipStream_tbEUljE_EEESW_SX_SY_S15_S19_S1B_T6_T7_T9_mT8_S1D_bDpT10_ENKUlT_T0_E_clISt17integral_constantIbLb0EES1Q_EEDaS1L_S1M_EUlS1L_E_NS1_11comp_targetILNS1_3genE9ELNS1_11target_archE1100ELNS1_3gpuE3ELNS1_3repE0EEENS1_30default_config_static_selectorELNS0_4arch9wavefront6targetE1EEEvSZ_, .Lfunc_end2023-_ZN7rocprim17ROCPRIM_400000_NS6detail17trampoline_kernelINS0_13select_configILj256ELj13ELNS0_17block_load_methodE3ELS4_3ELS4_3ELNS0_20block_scan_algorithmE0ELj4294967295EEENS1_25partition_config_selectorILNS1_17partition_subalgoE3EjNS0_10empty_typeEbEEZZNS1_14partition_implILS8_3ELb0ES6_jNS0_17counting_iteratorIjlEEPS9_SE_NS0_5tupleIJPjSE_EEENSF_IJSE_SE_EEES9_SG_JZNS1_25segmented_radix_sort_implINS0_14default_configELb0EPK12hip_bfloat16PSL_PKlPlN2at6native12_GLOBAL__N_18offset_tEEE10hipError_tPvRmT1_PNSt15iterator_traitsISZ_E10value_typeET2_T3_PNS10_IS15_E10value_typeET4_jRbjT5_S1B_jjP12ihipStream_tbEUljE_EEESW_SX_SY_S15_S19_S1B_T6_T7_T9_mT8_S1D_bDpT10_ENKUlT_T0_E_clISt17integral_constantIbLb0EES1Q_EEDaS1L_S1M_EUlS1L_E_NS1_11comp_targetILNS1_3genE9ELNS1_11target_archE1100ELNS1_3gpuE3ELNS1_3repE0EEENS1_30default_config_static_selectorELNS0_4arch9wavefront6targetE1EEEvSZ_
                                        ; -- End function
	.set _ZN7rocprim17ROCPRIM_400000_NS6detail17trampoline_kernelINS0_13select_configILj256ELj13ELNS0_17block_load_methodE3ELS4_3ELS4_3ELNS0_20block_scan_algorithmE0ELj4294967295EEENS1_25partition_config_selectorILNS1_17partition_subalgoE3EjNS0_10empty_typeEbEEZZNS1_14partition_implILS8_3ELb0ES6_jNS0_17counting_iteratorIjlEEPS9_SE_NS0_5tupleIJPjSE_EEENSF_IJSE_SE_EEES9_SG_JZNS1_25segmented_radix_sort_implINS0_14default_configELb0EPK12hip_bfloat16PSL_PKlPlN2at6native12_GLOBAL__N_18offset_tEEE10hipError_tPvRmT1_PNSt15iterator_traitsISZ_E10value_typeET2_T3_PNS10_IS15_E10value_typeET4_jRbjT5_S1B_jjP12ihipStream_tbEUljE_EEESW_SX_SY_S15_S19_S1B_T6_T7_T9_mT8_S1D_bDpT10_ENKUlT_T0_E_clISt17integral_constantIbLb0EES1Q_EEDaS1L_S1M_EUlS1L_E_NS1_11comp_targetILNS1_3genE9ELNS1_11target_archE1100ELNS1_3gpuE3ELNS1_3repE0EEENS1_30default_config_static_selectorELNS0_4arch9wavefront6targetE1EEEvSZ_.num_vgpr, 0
	.set _ZN7rocprim17ROCPRIM_400000_NS6detail17trampoline_kernelINS0_13select_configILj256ELj13ELNS0_17block_load_methodE3ELS4_3ELS4_3ELNS0_20block_scan_algorithmE0ELj4294967295EEENS1_25partition_config_selectorILNS1_17partition_subalgoE3EjNS0_10empty_typeEbEEZZNS1_14partition_implILS8_3ELb0ES6_jNS0_17counting_iteratorIjlEEPS9_SE_NS0_5tupleIJPjSE_EEENSF_IJSE_SE_EEES9_SG_JZNS1_25segmented_radix_sort_implINS0_14default_configELb0EPK12hip_bfloat16PSL_PKlPlN2at6native12_GLOBAL__N_18offset_tEEE10hipError_tPvRmT1_PNSt15iterator_traitsISZ_E10value_typeET2_T3_PNS10_IS15_E10value_typeET4_jRbjT5_S1B_jjP12ihipStream_tbEUljE_EEESW_SX_SY_S15_S19_S1B_T6_T7_T9_mT8_S1D_bDpT10_ENKUlT_T0_E_clISt17integral_constantIbLb0EES1Q_EEDaS1L_S1M_EUlS1L_E_NS1_11comp_targetILNS1_3genE9ELNS1_11target_archE1100ELNS1_3gpuE3ELNS1_3repE0EEENS1_30default_config_static_selectorELNS0_4arch9wavefront6targetE1EEEvSZ_.num_agpr, 0
	.set _ZN7rocprim17ROCPRIM_400000_NS6detail17trampoline_kernelINS0_13select_configILj256ELj13ELNS0_17block_load_methodE3ELS4_3ELS4_3ELNS0_20block_scan_algorithmE0ELj4294967295EEENS1_25partition_config_selectorILNS1_17partition_subalgoE3EjNS0_10empty_typeEbEEZZNS1_14partition_implILS8_3ELb0ES6_jNS0_17counting_iteratorIjlEEPS9_SE_NS0_5tupleIJPjSE_EEENSF_IJSE_SE_EEES9_SG_JZNS1_25segmented_radix_sort_implINS0_14default_configELb0EPK12hip_bfloat16PSL_PKlPlN2at6native12_GLOBAL__N_18offset_tEEE10hipError_tPvRmT1_PNSt15iterator_traitsISZ_E10value_typeET2_T3_PNS10_IS15_E10value_typeET4_jRbjT5_S1B_jjP12ihipStream_tbEUljE_EEESW_SX_SY_S15_S19_S1B_T6_T7_T9_mT8_S1D_bDpT10_ENKUlT_T0_E_clISt17integral_constantIbLb0EES1Q_EEDaS1L_S1M_EUlS1L_E_NS1_11comp_targetILNS1_3genE9ELNS1_11target_archE1100ELNS1_3gpuE3ELNS1_3repE0EEENS1_30default_config_static_selectorELNS0_4arch9wavefront6targetE1EEEvSZ_.numbered_sgpr, 0
	.set _ZN7rocprim17ROCPRIM_400000_NS6detail17trampoline_kernelINS0_13select_configILj256ELj13ELNS0_17block_load_methodE3ELS4_3ELS4_3ELNS0_20block_scan_algorithmE0ELj4294967295EEENS1_25partition_config_selectorILNS1_17partition_subalgoE3EjNS0_10empty_typeEbEEZZNS1_14partition_implILS8_3ELb0ES6_jNS0_17counting_iteratorIjlEEPS9_SE_NS0_5tupleIJPjSE_EEENSF_IJSE_SE_EEES9_SG_JZNS1_25segmented_radix_sort_implINS0_14default_configELb0EPK12hip_bfloat16PSL_PKlPlN2at6native12_GLOBAL__N_18offset_tEEE10hipError_tPvRmT1_PNSt15iterator_traitsISZ_E10value_typeET2_T3_PNS10_IS15_E10value_typeET4_jRbjT5_S1B_jjP12ihipStream_tbEUljE_EEESW_SX_SY_S15_S19_S1B_T6_T7_T9_mT8_S1D_bDpT10_ENKUlT_T0_E_clISt17integral_constantIbLb0EES1Q_EEDaS1L_S1M_EUlS1L_E_NS1_11comp_targetILNS1_3genE9ELNS1_11target_archE1100ELNS1_3gpuE3ELNS1_3repE0EEENS1_30default_config_static_selectorELNS0_4arch9wavefront6targetE1EEEvSZ_.num_named_barrier, 0
	.set _ZN7rocprim17ROCPRIM_400000_NS6detail17trampoline_kernelINS0_13select_configILj256ELj13ELNS0_17block_load_methodE3ELS4_3ELS4_3ELNS0_20block_scan_algorithmE0ELj4294967295EEENS1_25partition_config_selectorILNS1_17partition_subalgoE3EjNS0_10empty_typeEbEEZZNS1_14partition_implILS8_3ELb0ES6_jNS0_17counting_iteratorIjlEEPS9_SE_NS0_5tupleIJPjSE_EEENSF_IJSE_SE_EEES9_SG_JZNS1_25segmented_radix_sort_implINS0_14default_configELb0EPK12hip_bfloat16PSL_PKlPlN2at6native12_GLOBAL__N_18offset_tEEE10hipError_tPvRmT1_PNSt15iterator_traitsISZ_E10value_typeET2_T3_PNS10_IS15_E10value_typeET4_jRbjT5_S1B_jjP12ihipStream_tbEUljE_EEESW_SX_SY_S15_S19_S1B_T6_T7_T9_mT8_S1D_bDpT10_ENKUlT_T0_E_clISt17integral_constantIbLb0EES1Q_EEDaS1L_S1M_EUlS1L_E_NS1_11comp_targetILNS1_3genE9ELNS1_11target_archE1100ELNS1_3gpuE3ELNS1_3repE0EEENS1_30default_config_static_selectorELNS0_4arch9wavefront6targetE1EEEvSZ_.private_seg_size, 0
	.set _ZN7rocprim17ROCPRIM_400000_NS6detail17trampoline_kernelINS0_13select_configILj256ELj13ELNS0_17block_load_methodE3ELS4_3ELS4_3ELNS0_20block_scan_algorithmE0ELj4294967295EEENS1_25partition_config_selectorILNS1_17partition_subalgoE3EjNS0_10empty_typeEbEEZZNS1_14partition_implILS8_3ELb0ES6_jNS0_17counting_iteratorIjlEEPS9_SE_NS0_5tupleIJPjSE_EEENSF_IJSE_SE_EEES9_SG_JZNS1_25segmented_radix_sort_implINS0_14default_configELb0EPK12hip_bfloat16PSL_PKlPlN2at6native12_GLOBAL__N_18offset_tEEE10hipError_tPvRmT1_PNSt15iterator_traitsISZ_E10value_typeET2_T3_PNS10_IS15_E10value_typeET4_jRbjT5_S1B_jjP12ihipStream_tbEUljE_EEESW_SX_SY_S15_S19_S1B_T6_T7_T9_mT8_S1D_bDpT10_ENKUlT_T0_E_clISt17integral_constantIbLb0EES1Q_EEDaS1L_S1M_EUlS1L_E_NS1_11comp_targetILNS1_3genE9ELNS1_11target_archE1100ELNS1_3gpuE3ELNS1_3repE0EEENS1_30default_config_static_selectorELNS0_4arch9wavefront6targetE1EEEvSZ_.uses_vcc, 0
	.set _ZN7rocprim17ROCPRIM_400000_NS6detail17trampoline_kernelINS0_13select_configILj256ELj13ELNS0_17block_load_methodE3ELS4_3ELS4_3ELNS0_20block_scan_algorithmE0ELj4294967295EEENS1_25partition_config_selectorILNS1_17partition_subalgoE3EjNS0_10empty_typeEbEEZZNS1_14partition_implILS8_3ELb0ES6_jNS0_17counting_iteratorIjlEEPS9_SE_NS0_5tupleIJPjSE_EEENSF_IJSE_SE_EEES9_SG_JZNS1_25segmented_radix_sort_implINS0_14default_configELb0EPK12hip_bfloat16PSL_PKlPlN2at6native12_GLOBAL__N_18offset_tEEE10hipError_tPvRmT1_PNSt15iterator_traitsISZ_E10value_typeET2_T3_PNS10_IS15_E10value_typeET4_jRbjT5_S1B_jjP12ihipStream_tbEUljE_EEESW_SX_SY_S15_S19_S1B_T6_T7_T9_mT8_S1D_bDpT10_ENKUlT_T0_E_clISt17integral_constantIbLb0EES1Q_EEDaS1L_S1M_EUlS1L_E_NS1_11comp_targetILNS1_3genE9ELNS1_11target_archE1100ELNS1_3gpuE3ELNS1_3repE0EEENS1_30default_config_static_selectorELNS0_4arch9wavefront6targetE1EEEvSZ_.uses_flat_scratch, 0
	.set _ZN7rocprim17ROCPRIM_400000_NS6detail17trampoline_kernelINS0_13select_configILj256ELj13ELNS0_17block_load_methodE3ELS4_3ELS4_3ELNS0_20block_scan_algorithmE0ELj4294967295EEENS1_25partition_config_selectorILNS1_17partition_subalgoE3EjNS0_10empty_typeEbEEZZNS1_14partition_implILS8_3ELb0ES6_jNS0_17counting_iteratorIjlEEPS9_SE_NS0_5tupleIJPjSE_EEENSF_IJSE_SE_EEES9_SG_JZNS1_25segmented_radix_sort_implINS0_14default_configELb0EPK12hip_bfloat16PSL_PKlPlN2at6native12_GLOBAL__N_18offset_tEEE10hipError_tPvRmT1_PNSt15iterator_traitsISZ_E10value_typeET2_T3_PNS10_IS15_E10value_typeET4_jRbjT5_S1B_jjP12ihipStream_tbEUljE_EEESW_SX_SY_S15_S19_S1B_T6_T7_T9_mT8_S1D_bDpT10_ENKUlT_T0_E_clISt17integral_constantIbLb0EES1Q_EEDaS1L_S1M_EUlS1L_E_NS1_11comp_targetILNS1_3genE9ELNS1_11target_archE1100ELNS1_3gpuE3ELNS1_3repE0EEENS1_30default_config_static_selectorELNS0_4arch9wavefront6targetE1EEEvSZ_.has_dyn_sized_stack, 0
	.set _ZN7rocprim17ROCPRIM_400000_NS6detail17trampoline_kernelINS0_13select_configILj256ELj13ELNS0_17block_load_methodE3ELS4_3ELS4_3ELNS0_20block_scan_algorithmE0ELj4294967295EEENS1_25partition_config_selectorILNS1_17partition_subalgoE3EjNS0_10empty_typeEbEEZZNS1_14partition_implILS8_3ELb0ES6_jNS0_17counting_iteratorIjlEEPS9_SE_NS0_5tupleIJPjSE_EEENSF_IJSE_SE_EEES9_SG_JZNS1_25segmented_radix_sort_implINS0_14default_configELb0EPK12hip_bfloat16PSL_PKlPlN2at6native12_GLOBAL__N_18offset_tEEE10hipError_tPvRmT1_PNSt15iterator_traitsISZ_E10value_typeET2_T3_PNS10_IS15_E10value_typeET4_jRbjT5_S1B_jjP12ihipStream_tbEUljE_EEESW_SX_SY_S15_S19_S1B_T6_T7_T9_mT8_S1D_bDpT10_ENKUlT_T0_E_clISt17integral_constantIbLb0EES1Q_EEDaS1L_S1M_EUlS1L_E_NS1_11comp_targetILNS1_3genE9ELNS1_11target_archE1100ELNS1_3gpuE3ELNS1_3repE0EEENS1_30default_config_static_selectorELNS0_4arch9wavefront6targetE1EEEvSZ_.has_recursion, 0
	.set _ZN7rocprim17ROCPRIM_400000_NS6detail17trampoline_kernelINS0_13select_configILj256ELj13ELNS0_17block_load_methodE3ELS4_3ELS4_3ELNS0_20block_scan_algorithmE0ELj4294967295EEENS1_25partition_config_selectorILNS1_17partition_subalgoE3EjNS0_10empty_typeEbEEZZNS1_14partition_implILS8_3ELb0ES6_jNS0_17counting_iteratorIjlEEPS9_SE_NS0_5tupleIJPjSE_EEENSF_IJSE_SE_EEES9_SG_JZNS1_25segmented_radix_sort_implINS0_14default_configELb0EPK12hip_bfloat16PSL_PKlPlN2at6native12_GLOBAL__N_18offset_tEEE10hipError_tPvRmT1_PNSt15iterator_traitsISZ_E10value_typeET2_T3_PNS10_IS15_E10value_typeET4_jRbjT5_S1B_jjP12ihipStream_tbEUljE_EEESW_SX_SY_S15_S19_S1B_T6_T7_T9_mT8_S1D_bDpT10_ENKUlT_T0_E_clISt17integral_constantIbLb0EES1Q_EEDaS1L_S1M_EUlS1L_E_NS1_11comp_targetILNS1_3genE9ELNS1_11target_archE1100ELNS1_3gpuE3ELNS1_3repE0EEENS1_30default_config_static_selectorELNS0_4arch9wavefront6targetE1EEEvSZ_.has_indirect_call, 0
	.section	.AMDGPU.csdata,"",@progbits
; Kernel info:
; codeLenInByte = 0
; TotalNumSgprs: 4
; NumVgprs: 0
; ScratchSize: 0
; MemoryBound: 0
; FloatMode: 240
; IeeeMode: 1
; LDSByteSize: 0 bytes/workgroup (compile time only)
; SGPRBlocks: 0
; VGPRBlocks: 0
; NumSGPRsForWavesPerEU: 4
; NumVGPRsForWavesPerEU: 1
; Occupancy: 10
; WaveLimiterHint : 0
; COMPUTE_PGM_RSRC2:SCRATCH_EN: 0
; COMPUTE_PGM_RSRC2:USER_SGPR: 6
; COMPUTE_PGM_RSRC2:TRAP_HANDLER: 0
; COMPUTE_PGM_RSRC2:TGID_X_EN: 1
; COMPUTE_PGM_RSRC2:TGID_Y_EN: 0
; COMPUTE_PGM_RSRC2:TGID_Z_EN: 0
; COMPUTE_PGM_RSRC2:TIDIG_COMP_CNT: 0
	.section	.text._ZN7rocprim17ROCPRIM_400000_NS6detail17trampoline_kernelINS0_13select_configILj256ELj13ELNS0_17block_load_methodE3ELS4_3ELS4_3ELNS0_20block_scan_algorithmE0ELj4294967295EEENS1_25partition_config_selectorILNS1_17partition_subalgoE3EjNS0_10empty_typeEbEEZZNS1_14partition_implILS8_3ELb0ES6_jNS0_17counting_iteratorIjlEEPS9_SE_NS0_5tupleIJPjSE_EEENSF_IJSE_SE_EEES9_SG_JZNS1_25segmented_radix_sort_implINS0_14default_configELb0EPK12hip_bfloat16PSL_PKlPlN2at6native12_GLOBAL__N_18offset_tEEE10hipError_tPvRmT1_PNSt15iterator_traitsISZ_E10value_typeET2_T3_PNS10_IS15_E10value_typeET4_jRbjT5_S1B_jjP12ihipStream_tbEUljE_EEESW_SX_SY_S15_S19_S1B_T6_T7_T9_mT8_S1D_bDpT10_ENKUlT_T0_E_clISt17integral_constantIbLb0EES1Q_EEDaS1L_S1M_EUlS1L_E_NS1_11comp_targetILNS1_3genE8ELNS1_11target_archE1030ELNS1_3gpuE2ELNS1_3repE0EEENS1_30default_config_static_selectorELNS0_4arch9wavefront6targetE1EEEvSZ_,"axG",@progbits,_ZN7rocprim17ROCPRIM_400000_NS6detail17trampoline_kernelINS0_13select_configILj256ELj13ELNS0_17block_load_methodE3ELS4_3ELS4_3ELNS0_20block_scan_algorithmE0ELj4294967295EEENS1_25partition_config_selectorILNS1_17partition_subalgoE3EjNS0_10empty_typeEbEEZZNS1_14partition_implILS8_3ELb0ES6_jNS0_17counting_iteratorIjlEEPS9_SE_NS0_5tupleIJPjSE_EEENSF_IJSE_SE_EEES9_SG_JZNS1_25segmented_radix_sort_implINS0_14default_configELb0EPK12hip_bfloat16PSL_PKlPlN2at6native12_GLOBAL__N_18offset_tEEE10hipError_tPvRmT1_PNSt15iterator_traitsISZ_E10value_typeET2_T3_PNS10_IS15_E10value_typeET4_jRbjT5_S1B_jjP12ihipStream_tbEUljE_EEESW_SX_SY_S15_S19_S1B_T6_T7_T9_mT8_S1D_bDpT10_ENKUlT_T0_E_clISt17integral_constantIbLb0EES1Q_EEDaS1L_S1M_EUlS1L_E_NS1_11comp_targetILNS1_3genE8ELNS1_11target_archE1030ELNS1_3gpuE2ELNS1_3repE0EEENS1_30default_config_static_selectorELNS0_4arch9wavefront6targetE1EEEvSZ_,comdat
	.globl	_ZN7rocprim17ROCPRIM_400000_NS6detail17trampoline_kernelINS0_13select_configILj256ELj13ELNS0_17block_load_methodE3ELS4_3ELS4_3ELNS0_20block_scan_algorithmE0ELj4294967295EEENS1_25partition_config_selectorILNS1_17partition_subalgoE3EjNS0_10empty_typeEbEEZZNS1_14partition_implILS8_3ELb0ES6_jNS0_17counting_iteratorIjlEEPS9_SE_NS0_5tupleIJPjSE_EEENSF_IJSE_SE_EEES9_SG_JZNS1_25segmented_radix_sort_implINS0_14default_configELb0EPK12hip_bfloat16PSL_PKlPlN2at6native12_GLOBAL__N_18offset_tEEE10hipError_tPvRmT1_PNSt15iterator_traitsISZ_E10value_typeET2_T3_PNS10_IS15_E10value_typeET4_jRbjT5_S1B_jjP12ihipStream_tbEUljE_EEESW_SX_SY_S15_S19_S1B_T6_T7_T9_mT8_S1D_bDpT10_ENKUlT_T0_E_clISt17integral_constantIbLb0EES1Q_EEDaS1L_S1M_EUlS1L_E_NS1_11comp_targetILNS1_3genE8ELNS1_11target_archE1030ELNS1_3gpuE2ELNS1_3repE0EEENS1_30default_config_static_selectorELNS0_4arch9wavefront6targetE1EEEvSZ_ ; -- Begin function _ZN7rocprim17ROCPRIM_400000_NS6detail17trampoline_kernelINS0_13select_configILj256ELj13ELNS0_17block_load_methodE3ELS4_3ELS4_3ELNS0_20block_scan_algorithmE0ELj4294967295EEENS1_25partition_config_selectorILNS1_17partition_subalgoE3EjNS0_10empty_typeEbEEZZNS1_14partition_implILS8_3ELb0ES6_jNS0_17counting_iteratorIjlEEPS9_SE_NS0_5tupleIJPjSE_EEENSF_IJSE_SE_EEES9_SG_JZNS1_25segmented_radix_sort_implINS0_14default_configELb0EPK12hip_bfloat16PSL_PKlPlN2at6native12_GLOBAL__N_18offset_tEEE10hipError_tPvRmT1_PNSt15iterator_traitsISZ_E10value_typeET2_T3_PNS10_IS15_E10value_typeET4_jRbjT5_S1B_jjP12ihipStream_tbEUljE_EEESW_SX_SY_S15_S19_S1B_T6_T7_T9_mT8_S1D_bDpT10_ENKUlT_T0_E_clISt17integral_constantIbLb0EES1Q_EEDaS1L_S1M_EUlS1L_E_NS1_11comp_targetILNS1_3genE8ELNS1_11target_archE1030ELNS1_3gpuE2ELNS1_3repE0EEENS1_30default_config_static_selectorELNS0_4arch9wavefront6targetE1EEEvSZ_
	.p2align	8
	.type	_ZN7rocprim17ROCPRIM_400000_NS6detail17trampoline_kernelINS0_13select_configILj256ELj13ELNS0_17block_load_methodE3ELS4_3ELS4_3ELNS0_20block_scan_algorithmE0ELj4294967295EEENS1_25partition_config_selectorILNS1_17partition_subalgoE3EjNS0_10empty_typeEbEEZZNS1_14partition_implILS8_3ELb0ES6_jNS0_17counting_iteratorIjlEEPS9_SE_NS0_5tupleIJPjSE_EEENSF_IJSE_SE_EEES9_SG_JZNS1_25segmented_radix_sort_implINS0_14default_configELb0EPK12hip_bfloat16PSL_PKlPlN2at6native12_GLOBAL__N_18offset_tEEE10hipError_tPvRmT1_PNSt15iterator_traitsISZ_E10value_typeET2_T3_PNS10_IS15_E10value_typeET4_jRbjT5_S1B_jjP12ihipStream_tbEUljE_EEESW_SX_SY_S15_S19_S1B_T6_T7_T9_mT8_S1D_bDpT10_ENKUlT_T0_E_clISt17integral_constantIbLb0EES1Q_EEDaS1L_S1M_EUlS1L_E_NS1_11comp_targetILNS1_3genE8ELNS1_11target_archE1030ELNS1_3gpuE2ELNS1_3repE0EEENS1_30default_config_static_selectorELNS0_4arch9wavefront6targetE1EEEvSZ_,@function
_ZN7rocprim17ROCPRIM_400000_NS6detail17trampoline_kernelINS0_13select_configILj256ELj13ELNS0_17block_load_methodE3ELS4_3ELS4_3ELNS0_20block_scan_algorithmE0ELj4294967295EEENS1_25partition_config_selectorILNS1_17partition_subalgoE3EjNS0_10empty_typeEbEEZZNS1_14partition_implILS8_3ELb0ES6_jNS0_17counting_iteratorIjlEEPS9_SE_NS0_5tupleIJPjSE_EEENSF_IJSE_SE_EEES9_SG_JZNS1_25segmented_radix_sort_implINS0_14default_configELb0EPK12hip_bfloat16PSL_PKlPlN2at6native12_GLOBAL__N_18offset_tEEE10hipError_tPvRmT1_PNSt15iterator_traitsISZ_E10value_typeET2_T3_PNS10_IS15_E10value_typeET4_jRbjT5_S1B_jjP12ihipStream_tbEUljE_EEESW_SX_SY_S15_S19_S1B_T6_T7_T9_mT8_S1D_bDpT10_ENKUlT_T0_E_clISt17integral_constantIbLb0EES1Q_EEDaS1L_S1M_EUlS1L_E_NS1_11comp_targetILNS1_3genE8ELNS1_11target_archE1030ELNS1_3gpuE2ELNS1_3repE0EEENS1_30default_config_static_selectorELNS0_4arch9wavefront6targetE1EEEvSZ_: ; @_ZN7rocprim17ROCPRIM_400000_NS6detail17trampoline_kernelINS0_13select_configILj256ELj13ELNS0_17block_load_methodE3ELS4_3ELS4_3ELNS0_20block_scan_algorithmE0ELj4294967295EEENS1_25partition_config_selectorILNS1_17partition_subalgoE3EjNS0_10empty_typeEbEEZZNS1_14partition_implILS8_3ELb0ES6_jNS0_17counting_iteratorIjlEEPS9_SE_NS0_5tupleIJPjSE_EEENSF_IJSE_SE_EEES9_SG_JZNS1_25segmented_radix_sort_implINS0_14default_configELb0EPK12hip_bfloat16PSL_PKlPlN2at6native12_GLOBAL__N_18offset_tEEE10hipError_tPvRmT1_PNSt15iterator_traitsISZ_E10value_typeET2_T3_PNS10_IS15_E10value_typeET4_jRbjT5_S1B_jjP12ihipStream_tbEUljE_EEESW_SX_SY_S15_S19_S1B_T6_T7_T9_mT8_S1D_bDpT10_ENKUlT_T0_E_clISt17integral_constantIbLb0EES1Q_EEDaS1L_S1M_EUlS1L_E_NS1_11comp_targetILNS1_3genE8ELNS1_11target_archE1030ELNS1_3gpuE2ELNS1_3repE0EEENS1_30default_config_static_selectorELNS0_4arch9wavefront6targetE1EEEvSZ_
; %bb.0:
	.section	.rodata,"a",@progbits
	.p2align	6, 0x0
	.amdhsa_kernel _ZN7rocprim17ROCPRIM_400000_NS6detail17trampoline_kernelINS0_13select_configILj256ELj13ELNS0_17block_load_methodE3ELS4_3ELS4_3ELNS0_20block_scan_algorithmE0ELj4294967295EEENS1_25partition_config_selectorILNS1_17partition_subalgoE3EjNS0_10empty_typeEbEEZZNS1_14partition_implILS8_3ELb0ES6_jNS0_17counting_iteratorIjlEEPS9_SE_NS0_5tupleIJPjSE_EEENSF_IJSE_SE_EEES9_SG_JZNS1_25segmented_radix_sort_implINS0_14default_configELb0EPK12hip_bfloat16PSL_PKlPlN2at6native12_GLOBAL__N_18offset_tEEE10hipError_tPvRmT1_PNSt15iterator_traitsISZ_E10value_typeET2_T3_PNS10_IS15_E10value_typeET4_jRbjT5_S1B_jjP12ihipStream_tbEUljE_EEESW_SX_SY_S15_S19_S1B_T6_T7_T9_mT8_S1D_bDpT10_ENKUlT_T0_E_clISt17integral_constantIbLb0EES1Q_EEDaS1L_S1M_EUlS1L_E_NS1_11comp_targetILNS1_3genE8ELNS1_11target_archE1030ELNS1_3gpuE2ELNS1_3repE0EEENS1_30default_config_static_selectorELNS0_4arch9wavefront6targetE1EEEvSZ_
		.amdhsa_group_segment_fixed_size 0
		.amdhsa_private_segment_fixed_size 0
		.amdhsa_kernarg_size 144
		.amdhsa_user_sgpr_count 6
		.amdhsa_user_sgpr_private_segment_buffer 1
		.amdhsa_user_sgpr_dispatch_ptr 0
		.amdhsa_user_sgpr_queue_ptr 0
		.amdhsa_user_sgpr_kernarg_segment_ptr 1
		.amdhsa_user_sgpr_dispatch_id 0
		.amdhsa_user_sgpr_flat_scratch_init 0
		.amdhsa_user_sgpr_private_segment_size 0
		.amdhsa_uses_dynamic_stack 0
		.amdhsa_system_sgpr_private_segment_wavefront_offset 0
		.amdhsa_system_sgpr_workgroup_id_x 1
		.amdhsa_system_sgpr_workgroup_id_y 0
		.amdhsa_system_sgpr_workgroup_id_z 0
		.amdhsa_system_sgpr_workgroup_info 0
		.amdhsa_system_vgpr_workitem_id 0
		.amdhsa_next_free_vgpr 1
		.amdhsa_next_free_sgpr 0
		.amdhsa_reserve_vcc 0
		.amdhsa_reserve_flat_scratch 0
		.amdhsa_float_round_mode_32 0
		.amdhsa_float_round_mode_16_64 0
		.amdhsa_float_denorm_mode_32 3
		.amdhsa_float_denorm_mode_16_64 3
		.amdhsa_dx10_clamp 1
		.amdhsa_ieee_mode 1
		.amdhsa_fp16_overflow 0
		.amdhsa_exception_fp_ieee_invalid_op 0
		.amdhsa_exception_fp_denorm_src 0
		.amdhsa_exception_fp_ieee_div_zero 0
		.amdhsa_exception_fp_ieee_overflow 0
		.amdhsa_exception_fp_ieee_underflow 0
		.amdhsa_exception_fp_ieee_inexact 0
		.amdhsa_exception_int_div_zero 0
	.end_amdhsa_kernel
	.section	.text._ZN7rocprim17ROCPRIM_400000_NS6detail17trampoline_kernelINS0_13select_configILj256ELj13ELNS0_17block_load_methodE3ELS4_3ELS4_3ELNS0_20block_scan_algorithmE0ELj4294967295EEENS1_25partition_config_selectorILNS1_17partition_subalgoE3EjNS0_10empty_typeEbEEZZNS1_14partition_implILS8_3ELb0ES6_jNS0_17counting_iteratorIjlEEPS9_SE_NS0_5tupleIJPjSE_EEENSF_IJSE_SE_EEES9_SG_JZNS1_25segmented_radix_sort_implINS0_14default_configELb0EPK12hip_bfloat16PSL_PKlPlN2at6native12_GLOBAL__N_18offset_tEEE10hipError_tPvRmT1_PNSt15iterator_traitsISZ_E10value_typeET2_T3_PNS10_IS15_E10value_typeET4_jRbjT5_S1B_jjP12ihipStream_tbEUljE_EEESW_SX_SY_S15_S19_S1B_T6_T7_T9_mT8_S1D_bDpT10_ENKUlT_T0_E_clISt17integral_constantIbLb0EES1Q_EEDaS1L_S1M_EUlS1L_E_NS1_11comp_targetILNS1_3genE8ELNS1_11target_archE1030ELNS1_3gpuE2ELNS1_3repE0EEENS1_30default_config_static_selectorELNS0_4arch9wavefront6targetE1EEEvSZ_,"axG",@progbits,_ZN7rocprim17ROCPRIM_400000_NS6detail17trampoline_kernelINS0_13select_configILj256ELj13ELNS0_17block_load_methodE3ELS4_3ELS4_3ELNS0_20block_scan_algorithmE0ELj4294967295EEENS1_25partition_config_selectorILNS1_17partition_subalgoE3EjNS0_10empty_typeEbEEZZNS1_14partition_implILS8_3ELb0ES6_jNS0_17counting_iteratorIjlEEPS9_SE_NS0_5tupleIJPjSE_EEENSF_IJSE_SE_EEES9_SG_JZNS1_25segmented_radix_sort_implINS0_14default_configELb0EPK12hip_bfloat16PSL_PKlPlN2at6native12_GLOBAL__N_18offset_tEEE10hipError_tPvRmT1_PNSt15iterator_traitsISZ_E10value_typeET2_T3_PNS10_IS15_E10value_typeET4_jRbjT5_S1B_jjP12ihipStream_tbEUljE_EEESW_SX_SY_S15_S19_S1B_T6_T7_T9_mT8_S1D_bDpT10_ENKUlT_T0_E_clISt17integral_constantIbLb0EES1Q_EEDaS1L_S1M_EUlS1L_E_NS1_11comp_targetILNS1_3genE8ELNS1_11target_archE1030ELNS1_3gpuE2ELNS1_3repE0EEENS1_30default_config_static_selectorELNS0_4arch9wavefront6targetE1EEEvSZ_,comdat
.Lfunc_end2024:
	.size	_ZN7rocprim17ROCPRIM_400000_NS6detail17trampoline_kernelINS0_13select_configILj256ELj13ELNS0_17block_load_methodE3ELS4_3ELS4_3ELNS0_20block_scan_algorithmE0ELj4294967295EEENS1_25partition_config_selectorILNS1_17partition_subalgoE3EjNS0_10empty_typeEbEEZZNS1_14partition_implILS8_3ELb0ES6_jNS0_17counting_iteratorIjlEEPS9_SE_NS0_5tupleIJPjSE_EEENSF_IJSE_SE_EEES9_SG_JZNS1_25segmented_radix_sort_implINS0_14default_configELb0EPK12hip_bfloat16PSL_PKlPlN2at6native12_GLOBAL__N_18offset_tEEE10hipError_tPvRmT1_PNSt15iterator_traitsISZ_E10value_typeET2_T3_PNS10_IS15_E10value_typeET4_jRbjT5_S1B_jjP12ihipStream_tbEUljE_EEESW_SX_SY_S15_S19_S1B_T6_T7_T9_mT8_S1D_bDpT10_ENKUlT_T0_E_clISt17integral_constantIbLb0EES1Q_EEDaS1L_S1M_EUlS1L_E_NS1_11comp_targetILNS1_3genE8ELNS1_11target_archE1030ELNS1_3gpuE2ELNS1_3repE0EEENS1_30default_config_static_selectorELNS0_4arch9wavefront6targetE1EEEvSZ_, .Lfunc_end2024-_ZN7rocprim17ROCPRIM_400000_NS6detail17trampoline_kernelINS0_13select_configILj256ELj13ELNS0_17block_load_methodE3ELS4_3ELS4_3ELNS0_20block_scan_algorithmE0ELj4294967295EEENS1_25partition_config_selectorILNS1_17partition_subalgoE3EjNS0_10empty_typeEbEEZZNS1_14partition_implILS8_3ELb0ES6_jNS0_17counting_iteratorIjlEEPS9_SE_NS0_5tupleIJPjSE_EEENSF_IJSE_SE_EEES9_SG_JZNS1_25segmented_radix_sort_implINS0_14default_configELb0EPK12hip_bfloat16PSL_PKlPlN2at6native12_GLOBAL__N_18offset_tEEE10hipError_tPvRmT1_PNSt15iterator_traitsISZ_E10value_typeET2_T3_PNS10_IS15_E10value_typeET4_jRbjT5_S1B_jjP12ihipStream_tbEUljE_EEESW_SX_SY_S15_S19_S1B_T6_T7_T9_mT8_S1D_bDpT10_ENKUlT_T0_E_clISt17integral_constantIbLb0EES1Q_EEDaS1L_S1M_EUlS1L_E_NS1_11comp_targetILNS1_3genE8ELNS1_11target_archE1030ELNS1_3gpuE2ELNS1_3repE0EEENS1_30default_config_static_selectorELNS0_4arch9wavefront6targetE1EEEvSZ_
                                        ; -- End function
	.set _ZN7rocprim17ROCPRIM_400000_NS6detail17trampoline_kernelINS0_13select_configILj256ELj13ELNS0_17block_load_methodE3ELS4_3ELS4_3ELNS0_20block_scan_algorithmE0ELj4294967295EEENS1_25partition_config_selectorILNS1_17partition_subalgoE3EjNS0_10empty_typeEbEEZZNS1_14partition_implILS8_3ELb0ES6_jNS0_17counting_iteratorIjlEEPS9_SE_NS0_5tupleIJPjSE_EEENSF_IJSE_SE_EEES9_SG_JZNS1_25segmented_radix_sort_implINS0_14default_configELb0EPK12hip_bfloat16PSL_PKlPlN2at6native12_GLOBAL__N_18offset_tEEE10hipError_tPvRmT1_PNSt15iterator_traitsISZ_E10value_typeET2_T3_PNS10_IS15_E10value_typeET4_jRbjT5_S1B_jjP12ihipStream_tbEUljE_EEESW_SX_SY_S15_S19_S1B_T6_T7_T9_mT8_S1D_bDpT10_ENKUlT_T0_E_clISt17integral_constantIbLb0EES1Q_EEDaS1L_S1M_EUlS1L_E_NS1_11comp_targetILNS1_3genE8ELNS1_11target_archE1030ELNS1_3gpuE2ELNS1_3repE0EEENS1_30default_config_static_selectorELNS0_4arch9wavefront6targetE1EEEvSZ_.num_vgpr, 0
	.set _ZN7rocprim17ROCPRIM_400000_NS6detail17trampoline_kernelINS0_13select_configILj256ELj13ELNS0_17block_load_methodE3ELS4_3ELS4_3ELNS0_20block_scan_algorithmE0ELj4294967295EEENS1_25partition_config_selectorILNS1_17partition_subalgoE3EjNS0_10empty_typeEbEEZZNS1_14partition_implILS8_3ELb0ES6_jNS0_17counting_iteratorIjlEEPS9_SE_NS0_5tupleIJPjSE_EEENSF_IJSE_SE_EEES9_SG_JZNS1_25segmented_radix_sort_implINS0_14default_configELb0EPK12hip_bfloat16PSL_PKlPlN2at6native12_GLOBAL__N_18offset_tEEE10hipError_tPvRmT1_PNSt15iterator_traitsISZ_E10value_typeET2_T3_PNS10_IS15_E10value_typeET4_jRbjT5_S1B_jjP12ihipStream_tbEUljE_EEESW_SX_SY_S15_S19_S1B_T6_T7_T9_mT8_S1D_bDpT10_ENKUlT_T0_E_clISt17integral_constantIbLb0EES1Q_EEDaS1L_S1M_EUlS1L_E_NS1_11comp_targetILNS1_3genE8ELNS1_11target_archE1030ELNS1_3gpuE2ELNS1_3repE0EEENS1_30default_config_static_selectorELNS0_4arch9wavefront6targetE1EEEvSZ_.num_agpr, 0
	.set _ZN7rocprim17ROCPRIM_400000_NS6detail17trampoline_kernelINS0_13select_configILj256ELj13ELNS0_17block_load_methodE3ELS4_3ELS4_3ELNS0_20block_scan_algorithmE0ELj4294967295EEENS1_25partition_config_selectorILNS1_17partition_subalgoE3EjNS0_10empty_typeEbEEZZNS1_14partition_implILS8_3ELb0ES6_jNS0_17counting_iteratorIjlEEPS9_SE_NS0_5tupleIJPjSE_EEENSF_IJSE_SE_EEES9_SG_JZNS1_25segmented_radix_sort_implINS0_14default_configELb0EPK12hip_bfloat16PSL_PKlPlN2at6native12_GLOBAL__N_18offset_tEEE10hipError_tPvRmT1_PNSt15iterator_traitsISZ_E10value_typeET2_T3_PNS10_IS15_E10value_typeET4_jRbjT5_S1B_jjP12ihipStream_tbEUljE_EEESW_SX_SY_S15_S19_S1B_T6_T7_T9_mT8_S1D_bDpT10_ENKUlT_T0_E_clISt17integral_constantIbLb0EES1Q_EEDaS1L_S1M_EUlS1L_E_NS1_11comp_targetILNS1_3genE8ELNS1_11target_archE1030ELNS1_3gpuE2ELNS1_3repE0EEENS1_30default_config_static_selectorELNS0_4arch9wavefront6targetE1EEEvSZ_.numbered_sgpr, 0
	.set _ZN7rocprim17ROCPRIM_400000_NS6detail17trampoline_kernelINS0_13select_configILj256ELj13ELNS0_17block_load_methodE3ELS4_3ELS4_3ELNS0_20block_scan_algorithmE0ELj4294967295EEENS1_25partition_config_selectorILNS1_17partition_subalgoE3EjNS0_10empty_typeEbEEZZNS1_14partition_implILS8_3ELb0ES6_jNS0_17counting_iteratorIjlEEPS9_SE_NS0_5tupleIJPjSE_EEENSF_IJSE_SE_EEES9_SG_JZNS1_25segmented_radix_sort_implINS0_14default_configELb0EPK12hip_bfloat16PSL_PKlPlN2at6native12_GLOBAL__N_18offset_tEEE10hipError_tPvRmT1_PNSt15iterator_traitsISZ_E10value_typeET2_T3_PNS10_IS15_E10value_typeET4_jRbjT5_S1B_jjP12ihipStream_tbEUljE_EEESW_SX_SY_S15_S19_S1B_T6_T7_T9_mT8_S1D_bDpT10_ENKUlT_T0_E_clISt17integral_constantIbLb0EES1Q_EEDaS1L_S1M_EUlS1L_E_NS1_11comp_targetILNS1_3genE8ELNS1_11target_archE1030ELNS1_3gpuE2ELNS1_3repE0EEENS1_30default_config_static_selectorELNS0_4arch9wavefront6targetE1EEEvSZ_.num_named_barrier, 0
	.set _ZN7rocprim17ROCPRIM_400000_NS6detail17trampoline_kernelINS0_13select_configILj256ELj13ELNS0_17block_load_methodE3ELS4_3ELS4_3ELNS0_20block_scan_algorithmE0ELj4294967295EEENS1_25partition_config_selectorILNS1_17partition_subalgoE3EjNS0_10empty_typeEbEEZZNS1_14partition_implILS8_3ELb0ES6_jNS0_17counting_iteratorIjlEEPS9_SE_NS0_5tupleIJPjSE_EEENSF_IJSE_SE_EEES9_SG_JZNS1_25segmented_radix_sort_implINS0_14default_configELb0EPK12hip_bfloat16PSL_PKlPlN2at6native12_GLOBAL__N_18offset_tEEE10hipError_tPvRmT1_PNSt15iterator_traitsISZ_E10value_typeET2_T3_PNS10_IS15_E10value_typeET4_jRbjT5_S1B_jjP12ihipStream_tbEUljE_EEESW_SX_SY_S15_S19_S1B_T6_T7_T9_mT8_S1D_bDpT10_ENKUlT_T0_E_clISt17integral_constantIbLb0EES1Q_EEDaS1L_S1M_EUlS1L_E_NS1_11comp_targetILNS1_3genE8ELNS1_11target_archE1030ELNS1_3gpuE2ELNS1_3repE0EEENS1_30default_config_static_selectorELNS0_4arch9wavefront6targetE1EEEvSZ_.private_seg_size, 0
	.set _ZN7rocprim17ROCPRIM_400000_NS6detail17trampoline_kernelINS0_13select_configILj256ELj13ELNS0_17block_load_methodE3ELS4_3ELS4_3ELNS0_20block_scan_algorithmE0ELj4294967295EEENS1_25partition_config_selectorILNS1_17partition_subalgoE3EjNS0_10empty_typeEbEEZZNS1_14partition_implILS8_3ELb0ES6_jNS0_17counting_iteratorIjlEEPS9_SE_NS0_5tupleIJPjSE_EEENSF_IJSE_SE_EEES9_SG_JZNS1_25segmented_radix_sort_implINS0_14default_configELb0EPK12hip_bfloat16PSL_PKlPlN2at6native12_GLOBAL__N_18offset_tEEE10hipError_tPvRmT1_PNSt15iterator_traitsISZ_E10value_typeET2_T3_PNS10_IS15_E10value_typeET4_jRbjT5_S1B_jjP12ihipStream_tbEUljE_EEESW_SX_SY_S15_S19_S1B_T6_T7_T9_mT8_S1D_bDpT10_ENKUlT_T0_E_clISt17integral_constantIbLb0EES1Q_EEDaS1L_S1M_EUlS1L_E_NS1_11comp_targetILNS1_3genE8ELNS1_11target_archE1030ELNS1_3gpuE2ELNS1_3repE0EEENS1_30default_config_static_selectorELNS0_4arch9wavefront6targetE1EEEvSZ_.uses_vcc, 0
	.set _ZN7rocprim17ROCPRIM_400000_NS6detail17trampoline_kernelINS0_13select_configILj256ELj13ELNS0_17block_load_methodE3ELS4_3ELS4_3ELNS0_20block_scan_algorithmE0ELj4294967295EEENS1_25partition_config_selectorILNS1_17partition_subalgoE3EjNS0_10empty_typeEbEEZZNS1_14partition_implILS8_3ELb0ES6_jNS0_17counting_iteratorIjlEEPS9_SE_NS0_5tupleIJPjSE_EEENSF_IJSE_SE_EEES9_SG_JZNS1_25segmented_radix_sort_implINS0_14default_configELb0EPK12hip_bfloat16PSL_PKlPlN2at6native12_GLOBAL__N_18offset_tEEE10hipError_tPvRmT1_PNSt15iterator_traitsISZ_E10value_typeET2_T3_PNS10_IS15_E10value_typeET4_jRbjT5_S1B_jjP12ihipStream_tbEUljE_EEESW_SX_SY_S15_S19_S1B_T6_T7_T9_mT8_S1D_bDpT10_ENKUlT_T0_E_clISt17integral_constantIbLb0EES1Q_EEDaS1L_S1M_EUlS1L_E_NS1_11comp_targetILNS1_3genE8ELNS1_11target_archE1030ELNS1_3gpuE2ELNS1_3repE0EEENS1_30default_config_static_selectorELNS0_4arch9wavefront6targetE1EEEvSZ_.uses_flat_scratch, 0
	.set _ZN7rocprim17ROCPRIM_400000_NS6detail17trampoline_kernelINS0_13select_configILj256ELj13ELNS0_17block_load_methodE3ELS4_3ELS4_3ELNS0_20block_scan_algorithmE0ELj4294967295EEENS1_25partition_config_selectorILNS1_17partition_subalgoE3EjNS0_10empty_typeEbEEZZNS1_14partition_implILS8_3ELb0ES6_jNS0_17counting_iteratorIjlEEPS9_SE_NS0_5tupleIJPjSE_EEENSF_IJSE_SE_EEES9_SG_JZNS1_25segmented_radix_sort_implINS0_14default_configELb0EPK12hip_bfloat16PSL_PKlPlN2at6native12_GLOBAL__N_18offset_tEEE10hipError_tPvRmT1_PNSt15iterator_traitsISZ_E10value_typeET2_T3_PNS10_IS15_E10value_typeET4_jRbjT5_S1B_jjP12ihipStream_tbEUljE_EEESW_SX_SY_S15_S19_S1B_T6_T7_T9_mT8_S1D_bDpT10_ENKUlT_T0_E_clISt17integral_constantIbLb0EES1Q_EEDaS1L_S1M_EUlS1L_E_NS1_11comp_targetILNS1_3genE8ELNS1_11target_archE1030ELNS1_3gpuE2ELNS1_3repE0EEENS1_30default_config_static_selectorELNS0_4arch9wavefront6targetE1EEEvSZ_.has_dyn_sized_stack, 0
	.set _ZN7rocprim17ROCPRIM_400000_NS6detail17trampoline_kernelINS0_13select_configILj256ELj13ELNS0_17block_load_methodE3ELS4_3ELS4_3ELNS0_20block_scan_algorithmE0ELj4294967295EEENS1_25partition_config_selectorILNS1_17partition_subalgoE3EjNS0_10empty_typeEbEEZZNS1_14partition_implILS8_3ELb0ES6_jNS0_17counting_iteratorIjlEEPS9_SE_NS0_5tupleIJPjSE_EEENSF_IJSE_SE_EEES9_SG_JZNS1_25segmented_radix_sort_implINS0_14default_configELb0EPK12hip_bfloat16PSL_PKlPlN2at6native12_GLOBAL__N_18offset_tEEE10hipError_tPvRmT1_PNSt15iterator_traitsISZ_E10value_typeET2_T3_PNS10_IS15_E10value_typeET4_jRbjT5_S1B_jjP12ihipStream_tbEUljE_EEESW_SX_SY_S15_S19_S1B_T6_T7_T9_mT8_S1D_bDpT10_ENKUlT_T0_E_clISt17integral_constantIbLb0EES1Q_EEDaS1L_S1M_EUlS1L_E_NS1_11comp_targetILNS1_3genE8ELNS1_11target_archE1030ELNS1_3gpuE2ELNS1_3repE0EEENS1_30default_config_static_selectorELNS0_4arch9wavefront6targetE1EEEvSZ_.has_recursion, 0
	.set _ZN7rocprim17ROCPRIM_400000_NS6detail17trampoline_kernelINS0_13select_configILj256ELj13ELNS0_17block_load_methodE3ELS4_3ELS4_3ELNS0_20block_scan_algorithmE0ELj4294967295EEENS1_25partition_config_selectorILNS1_17partition_subalgoE3EjNS0_10empty_typeEbEEZZNS1_14partition_implILS8_3ELb0ES6_jNS0_17counting_iteratorIjlEEPS9_SE_NS0_5tupleIJPjSE_EEENSF_IJSE_SE_EEES9_SG_JZNS1_25segmented_radix_sort_implINS0_14default_configELb0EPK12hip_bfloat16PSL_PKlPlN2at6native12_GLOBAL__N_18offset_tEEE10hipError_tPvRmT1_PNSt15iterator_traitsISZ_E10value_typeET2_T3_PNS10_IS15_E10value_typeET4_jRbjT5_S1B_jjP12ihipStream_tbEUljE_EEESW_SX_SY_S15_S19_S1B_T6_T7_T9_mT8_S1D_bDpT10_ENKUlT_T0_E_clISt17integral_constantIbLb0EES1Q_EEDaS1L_S1M_EUlS1L_E_NS1_11comp_targetILNS1_3genE8ELNS1_11target_archE1030ELNS1_3gpuE2ELNS1_3repE0EEENS1_30default_config_static_selectorELNS0_4arch9wavefront6targetE1EEEvSZ_.has_indirect_call, 0
	.section	.AMDGPU.csdata,"",@progbits
; Kernel info:
; codeLenInByte = 0
; TotalNumSgprs: 4
; NumVgprs: 0
; ScratchSize: 0
; MemoryBound: 0
; FloatMode: 240
; IeeeMode: 1
; LDSByteSize: 0 bytes/workgroup (compile time only)
; SGPRBlocks: 0
; VGPRBlocks: 0
; NumSGPRsForWavesPerEU: 4
; NumVGPRsForWavesPerEU: 1
; Occupancy: 10
; WaveLimiterHint : 0
; COMPUTE_PGM_RSRC2:SCRATCH_EN: 0
; COMPUTE_PGM_RSRC2:USER_SGPR: 6
; COMPUTE_PGM_RSRC2:TRAP_HANDLER: 0
; COMPUTE_PGM_RSRC2:TGID_X_EN: 1
; COMPUTE_PGM_RSRC2:TGID_Y_EN: 0
; COMPUTE_PGM_RSRC2:TGID_Z_EN: 0
; COMPUTE_PGM_RSRC2:TIDIG_COMP_CNT: 0
	.section	.text._ZN7rocprim17ROCPRIM_400000_NS6detail17trampoline_kernelINS0_13select_configILj256ELj13ELNS0_17block_load_methodE3ELS4_3ELS4_3ELNS0_20block_scan_algorithmE0ELj4294967295EEENS1_25partition_config_selectorILNS1_17partition_subalgoE3EjNS0_10empty_typeEbEEZZNS1_14partition_implILS8_3ELb0ES6_jNS0_17counting_iteratorIjlEEPS9_SE_NS0_5tupleIJPjSE_EEENSF_IJSE_SE_EEES9_SG_JZNS1_25segmented_radix_sort_implINS0_14default_configELb0EPK12hip_bfloat16PSL_PKlPlN2at6native12_GLOBAL__N_18offset_tEEE10hipError_tPvRmT1_PNSt15iterator_traitsISZ_E10value_typeET2_T3_PNS10_IS15_E10value_typeET4_jRbjT5_S1B_jjP12ihipStream_tbEUljE_EEESW_SX_SY_S15_S19_S1B_T6_T7_T9_mT8_S1D_bDpT10_ENKUlT_T0_E_clISt17integral_constantIbLb1EES1Q_EEDaS1L_S1M_EUlS1L_E_NS1_11comp_targetILNS1_3genE0ELNS1_11target_archE4294967295ELNS1_3gpuE0ELNS1_3repE0EEENS1_30default_config_static_selectorELNS0_4arch9wavefront6targetE1EEEvSZ_,"axG",@progbits,_ZN7rocprim17ROCPRIM_400000_NS6detail17trampoline_kernelINS0_13select_configILj256ELj13ELNS0_17block_load_methodE3ELS4_3ELS4_3ELNS0_20block_scan_algorithmE0ELj4294967295EEENS1_25partition_config_selectorILNS1_17partition_subalgoE3EjNS0_10empty_typeEbEEZZNS1_14partition_implILS8_3ELb0ES6_jNS0_17counting_iteratorIjlEEPS9_SE_NS0_5tupleIJPjSE_EEENSF_IJSE_SE_EEES9_SG_JZNS1_25segmented_radix_sort_implINS0_14default_configELb0EPK12hip_bfloat16PSL_PKlPlN2at6native12_GLOBAL__N_18offset_tEEE10hipError_tPvRmT1_PNSt15iterator_traitsISZ_E10value_typeET2_T3_PNS10_IS15_E10value_typeET4_jRbjT5_S1B_jjP12ihipStream_tbEUljE_EEESW_SX_SY_S15_S19_S1B_T6_T7_T9_mT8_S1D_bDpT10_ENKUlT_T0_E_clISt17integral_constantIbLb1EES1Q_EEDaS1L_S1M_EUlS1L_E_NS1_11comp_targetILNS1_3genE0ELNS1_11target_archE4294967295ELNS1_3gpuE0ELNS1_3repE0EEENS1_30default_config_static_selectorELNS0_4arch9wavefront6targetE1EEEvSZ_,comdat
	.globl	_ZN7rocprim17ROCPRIM_400000_NS6detail17trampoline_kernelINS0_13select_configILj256ELj13ELNS0_17block_load_methodE3ELS4_3ELS4_3ELNS0_20block_scan_algorithmE0ELj4294967295EEENS1_25partition_config_selectorILNS1_17partition_subalgoE3EjNS0_10empty_typeEbEEZZNS1_14partition_implILS8_3ELb0ES6_jNS0_17counting_iteratorIjlEEPS9_SE_NS0_5tupleIJPjSE_EEENSF_IJSE_SE_EEES9_SG_JZNS1_25segmented_radix_sort_implINS0_14default_configELb0EPK12hip_bfloat16PSL_PKlPlN2at6native12_GLOBAL__N_18offset_tEEE10hipError_tPvRmT1_PNSt15iterator_traitsISZ_E10value_typeET2_T3_PNS10_IS15_E10value_typeET4_jRbjT5_S1B_jjP12ihipStream_tbEUljE_EEESW_SX_SY_S15_S19_S1B_T6_T7_T9_mT8_S1D_bDpT10_ENKUlT_T0_E_clISt17integral_constantIbLb1EES1Q_EEDaS1L_S1M_EUlS1L_E_NS1_11comp_targetILNS1_3genE0ELNS1_11target_archE4294967295ELNS1_3gpuE0ELNS1_3repE0EEENS1_30default_config_static_selectorELNS0_4arch9wavefront6targetE1EEEvSZ_ ; -- Begin function _ZN7rocprim17ROCPRIM_400000_NS6detail17trampoline_kernelINS0_13select_configILj256ELj13ELNS0_17block_load_methodE3ELS4_3ELS4_3ELNS0_20block_scan_algorithmE0ELj4294967295EEENS1_25partition_config_selectorILNS1_17partition_subalgoE3EjNS0_10empty_typeEbEEZZNS1_14partition_implILS8_3ELb0ES6_jNS0_17counting_iteratorIjlEEPS9_SE_NS0_5tupleIJPjSE_EEENSF_IJSE_SE_EEES9_SG_JZNS1_25segmented_radix_sort_implINS0_14default_configELb0EPK12hip_bfloat16PSL_PKlPlN2at6native12_GLOBAL__N_18offset_tEEE10hipError_tPvRmT1_PNSt15iterator_traitsISZ_E10value_typeET2_T3_PNS10_IS15_E10value_typeET4_jRbjT5_S1B_jjP12ihipStream_tbEUljE_EEESW_SX_SY_S15_S19_S1B_T6_T7_T9_mT8_S1D_bDpT10_ENKUlT_T0_E_clISt17integral_constantIbLb1EES1Q_EEDaS1L_S1M_EUlS1L_E_NS1_11comp_targetILNS1_3genE0ELNS1_11target_archE4294967295ELNS1_3gpuE0ELNS1_3repE0EEENS1_30default_config_static_selectorELNS0_4arch9wavefront6targetE1EEEvSZ_
	.p2align	8
	.type	_ZN7rocprim17ROCPRIM_400000_NS6detail17trampoline_kernelINS0_13select_configILj256ELj13ELNS0_17block_load_methodE3ELS4_3ELS4_3ELNS0_20block_scan_algorithmE0ELj4294967295EEENS1_25partition_config_selectorILNS1_17partition_subalgoE3EjNS0_10empty_typeEbEEZZNS1_14partition_implILS8_3ELb0ES6_jNS0_17counting_iteratorIjlEEPS9_SE_NS0_5tupleIJPjSE_EEENSF_IJSE_SE_EEES9_SG_JZNS1_25segmented_radix_sort_implINS0_14default_configELb0EPK12hip_bfloat16PSL_PKlPlN2at6native12_GLOBAL__N_18offset_tEEE10hipError_tPvRmT1_PNSt15iterator_traitsISZ_E10value_typeET2_T3_PNS10_IS15_E10value_typeET4_jRbjT5_S1B_jjP12ihipStream_tbEUljE_EEESW_SX_SY_S15_S19_S1B_T6_T7_T9_mT8_S1D_bDpT10_ENKUlT_T0_E_clISt17integral_constantIbLb1EES1Q_EEDaS1L_S1M_EUlS1L_E_NS1_11comp_targetILNS1_3genE0ELNS1_11target_archE4294967295ELNS1_3gpuE0ELNS1_3repE0EEENS1_30default_config_static_selectorELNS0_4arch9wavefront6targetE1EEEvSZ_,@function
_ZN7rocprim17ROCPRIM_400000_NS6detail17trampoline_kernelINS0_13select_configILj256ELj13ELNS0_17block_load_methodE3ELS4_3ELS4_3ELNS0_20block_scan_algorithmE0ELj4294967295EEENS1_25partition_config_selectorILNS1_17partition_subalgoE3EjNS0_10empty_typeEbEEZZNS1_14partition_implILS8_3ELb0ES6_jNS0_17counting_iteratorIjlEEPS9_SE_NS0_5tupleIJPjSE_EEENSF_IJSE_SE_EEES9_SG_JZNS1_25segmented_radix_sort_implINS0_14default_configELb0EPK12hip_bfloat16PSL_PKlPlN2at6native12_GLOBAL__N_18offset_tEEE10hipError_tPvRmT1_PNSt15iterator_traitsISZ_E10value_typeET2_T3_PNS10_IS15_E10value_typeET4_jRbjT5_S1B_jjP12ihipStream_tbEUljE_EEESW_SX_SY_S15_S19_S1B_T6_T7_T9_mT8_S1D_bDpT10_ENKUlT_T0_E_clISt17integral_constantIbLb1EES1Q_EEDaS1L_S1M_EUlS1L_E_NS1_11comp_targetILNS1_3genE0ELNS1_11target_archE4294967295ELNS1_3gpuE0ELNS1_3repE0EEENS1_30default_config_static_selectorELNS0_4arch9wavefront6targetE1EEEvSZ_: ; @_ZN7rocprim17ROCPRIM_400000_NS6detail17trampoline_kernelINS0_13select_configILj256ELj13ELNS0_17block_load_methodE3ELS4_3ELS4_3ELNS0_20block_scan_algorithmE0ELj4294967295EEENS1_25partition_config_selectorILNS1_17partition_subalgoE3EjNS0_10empty_typeEbEEZZNS1_14partition_implILS8_3ELb0ES6_jNS0_17counting_iteratorIjlEEPS9_SE_NS0_5tupleIJPjSE_EEENSF_IJSE_SE_EEES9_SG_JZNS1_25segmented_radix_sort_implINS0_14default_configELb0EPK12hip_bfloat16PSL_PKlPlN2at6native12_GLOBAL__N_18offset_tEEE10hipError_tPvRmT1_PNSt15iterator_traitsISZ_E10value_typeET2_T3_PNS10_IS15_E10value_typeET4_jRbjT5_S1B_jjP12ihipStream_tbEUljE_EEESW_SX_SY_S15_S19_S1B_T6_T7_T9_mT8_S1D_bDpT10_ENKUlT_T0_E_clISt17integral_constantIbLb1EES1Q_EEDaS1L_S1M_EUlS1L_E_NS1_11comp_targetILNS1_3genE0ELNS1_11target_archE4294967295ELNS1_3gpuE0ELNS1_3repE0EEENS1_30default_config_static_selectorELNS0_4arch9wavefront6targetE1EEEvSZ_
; %bb.0:
	.section	.rodata,"a",@progbits
	.p2align	6, 0x0
	.amdhsa_kernel _ZN7rocprim17ROCPRIM_400000_NS6detail17trampoline_kernelINS0_13select_configILj256ELj13ELNS0_17block_load_methodE3ELS4_3ELS4_3ELNS0_20block_scan_algorithmE0ELj4294967295EEENS1_25partition_config_selectorILNS1_17partition_subalgoE3EjNS0_10empty_typeEbEEZZNS1_14partition_implILS8_3ELb0ES6_jNS0_17counting_iteratorIjlEEPS9_SE_NS0_5tupleIJPjSE_EEENSF_IJSE_SE_EEES9_SG_JZNS1_25segmented_radix_sort_implINS0_14default_configELb0EPK12hip_bfloat16PSL_PKlPlN2at6native12_GLOBAL__N_18offset_tEEE10hipError_tPvRmT1_PNSt15iterator_traitsISZ_E10value_typeET2_T3_PNS10_IS15_E10value_typeET4_jRbjT5_S1B_jjP12ihipStream_tbEUljE_EEESW_SX_SY_S15_S19_S1B_T6_T7_T9_mT8_S1D_bDpT10_ENKUlT_T0_E_clISt17integral_constantIbLb1EES1Q_EEDaS1L_S1M_EUlS1L_E_NS1_11comp_targetILNS1_3genE0ELNS1_11target_archE4294967295ELNS1_3gpuE0ELNS1_3repE0EEENS1_30default_config_static_selectorELNS0_4arch9wavefront6targetE1EEEvSZ_
		.amdhsa_group_segment_fixed_size 0
		.amdhsa_private_segment_fixed_size 0
		.amdhsa_kernarg_size 152
		.amdhsa_user_sgpr_count 6
		.amdhsa_user_sgpr_private_segment_buffer 1
		.amdhsa_user_sgpr_dispatch_ptr 0
		.amdhsa_user_sgpr_queue_ptr 0
		.amdhsa_user_sgpr_kernarg_segment_ptr 1
		.amdhsa_user_sgpr_dispatch_id 0
		.amdhsa_user_sgpr_flat_scratch_init 0
		.amdhsa_user_sgpr_private_segment_size 0
		.amdhsa_uses_dynamic_stack 0
		.amdhsa_system_sgpr_private_segment_wavefront_offset 0
		.amdhsa_system_sgpr_workgroup_id_x 1
		.amdhsa_system_sgpr_workgroup_id_y 0
		.amdhsa_system_sgpr_workgroup_id_z 0
		.amdhsa_system_sgpr_workgroup_info 0
		.amdhsa_system_vgpr_workitem_id 0
		.amdhsa_next_free_vgpr 1
		.amdhsa_next_free_sgpr 0
		.amdhsa_reserve_vcc 0
		.amdhsa_reserve_flat_scratch 0
		.amdhsa_float_round_mode_32 0
		.amdhsa_float_round_mode_16_64 0
		.amdhsa_float_denorm_mode_32 3
		.amdhsa_float_denorm_mode_16_64 3
		.amdhsa_dx10_clamp 1
		.amdhsa_ieee_mode 1
		.amdhsa_fp16_overflow 0
		.amdhsa_exception_fp_ieee_invalid_op 0
		.amdhsa_exception_fp_denorm_src 0
		.amdhsa_exception_fp_ieee_div_zero 0
		.amdhsa_exception_fp_ieee_overflow 0
		.amdhsa_exception_fp_ieee_underflow 0
		.amdhsa_exception_fp_ieee_inexact 0
		.amdhsa_exception_int_div_zero 0
	.end_amdhsa_kernel
	.section	.text._ZN7rocprim17ROCPRIM_400000_NS6detail17trampoline_kernelINS0_13select_configILj256ELj13ELNS0_17block_load_methodE3ELS4_3ELS4_3ELNS0_20block_scan_algorithmE0ELj4294967295EEENS1_25partition_config_selectorILNS1_17partition_subalgoE3EjNS0_10empty_typeEbEEZZNS1_14partition_implILS8_3ELb0ES6_jNS0_17counting_iteratorIjlEEPS9_SE_NS0_5tupleIJPjSE_EEENSF_IJSE_SE_EEES9_SG_JZNS1_25segmented_radix_sort_implINS0_14default_configELb0EPK12hip_bfloat16PSL_PKlPlN2at6native12_GLOBAL__N_18offset_tEEE10hipError_tPvRmT1_PNSt15iterator_traitsISZ_E10value_typeET2_T3_PNS10_IS15_E10value_typeET4_jRbjT5_S1B_jjP12ihipStream_tbEUljE_EEESW_SX_SY_S15_S19_S1B_T6_T7_T9_mT8_S1D_bDpT10_ENKUlT_T0_E_clISt17integral_constantIbLb1EES1Q_EEDaS1L_S1M_EUlS1L_E_NS1_11comp_targetILNS1_3genE0ELNS1_11target_archE4294967295ELNS1_3gpuE0ELNS1_3repE0EEENS1_30default_config_static_selectorELNS0_4arch9wavefront6targetE1EEEvSZ_,"axG",@progbits,_ZN7rocprim17ROCPRIM_400000_NS6detail17trampoline_kernelINS0_13select_configILj256ELj13ELNS0_17block_load_methodE3ELS4_3ELS4_3ELNS0_20block_scan_algorithmE0ELj4294967295EEENS1_25partition_config_selectorILNS1_17partition_subalgoE3EjNS0_10empty_typeEbEEZZNS1_14partition_implILS8_3ELb0ES6_jNS0_17counting_iteratorIjlEEPS9_SE_NS0_5tupleIJPjSE_EEENSF_IJSE_SE_EEES9_SG_JZNS1_25segmented_radix_sort_implINS0_14default_configELb0EPK12hip_bfloat16PSL_PKlPlN2at6native12_GLOBAL__N_18offset_tEEE10hipError_tPvRmT1_PNSt15iterator_traitsISZ_E10value_typeET2_T3_PNS10_IS15_E10value_typeET4_jRbjT5_S1B_jjP12ihipStream_tbEUljE_EEESW_SX_SY_S15_S19_S1B_T6_T7_T9_mT8_S1D_bDpT10_ENKUlT_T0_E_clISt17integral_constantIbLb1EES1Q_EEDaS1L_S1M_EUlS1L_E_NS1_11comp_targetILNS1_3genE0ELNS1_11target_archE4294967295ELNS1_3gpuE0ELNS1_3repE0EEENS1_30default_config_static_selectorELNS0_4arch9wavefront6targetE1EEEvSZ_,comdat
.Lfunc_end2025:
	.size	_ZN7rocprim17ROCPRIM_400000_NS6detail17trampoline_kernelINS0_13select_configILj256ELj13ELNS0_17block_load_methodE3ELS4_3ELS4_3ELNS0_20block_scan_algorithmE0ELj4294967295EEENS1_25partition_config_selectorILNS1_17partition_subalgoE3EjNS0_10empty_typeEbEEZZNS1_14partition_implILS8_3ELb0ES6_jNS0_17counting_iteratorIjlEEPS9_SE_NS0_5tupleIJPjSE_EEENSF_IJSE_SE_EEES9_SG_JZNS1_25segmented_radix_sort_implINS0_14default_configELb0EPK12hip_bfloat16PSL_PKlPlN2at6native12_GLOBAL__N_18offset_tEEE10hipError_tPvRmT1_PNSt15iterator_traitsISZ_E10value_typeET2_T3_PNS10_IS15_E10value_typeET4_jRbjT5_S1B_jjP12ihipStream_tbEUljE_EEESW_SX_SY_S15_S19_S1B_T6_T7_T9_mT8_S1D_bDpT10_ENKUlT_T0_E_clISt17integral_constantIbLb1EES1Q_EEDaS1L_S1M_EUlS1L_E_NS1_11comp_targetILNS1_3genE0ELNS1_11target_archE4294967295ELNS1_3gpuE0ELNS1_3repE0EEENS1_30default_config_static_selectorELNS0_4arch9wavefront6targetE1EEEvSZ_, .Lfunc_end2025-_ZN7rocprim17ROCPRIM_400000_NS6detail17trampoline_kernelINS0_13select_configILj256ELj13ELNS0_17block_load_methodE3ELS4_3ELS4_3ELNS0_20block_scan_algorithmE0ELj4294967295EEENS1_25partition_config_selectorILNS1_17partition_subalgoE3EjNS0_10empty_typeEbEEZZNS1_14partition_implILS8_3ELb0ES6_jNS0_17counting_iteratorIjlEEPS9_SE_NS0_5tupleIJPjSE_EEENSF_IJSE_SE_EEES9_SG_JZNS1_25segmented_radix_sort_implINS0_14default_configELb0EPK12hip_bfloat16PSL_PKlPlN2at6native12_GLOBAL__N_18offset_tEEE10hipError_tPvRmT1_PNSt15iterator_traitsISZ_E10value_typeET2_T3_PNS10_IS15_E10value_typeET4_jRbjT5_S1B_jjP12ihipStream_tbEUljE_EEESW_SX_SY_S15_S19_S1B_T6_T7_T9_mT8_S1D_bDpT10_ENKUlT_T0_E_clISt17integral_constantIbLb1EES1Q_EEDaS1L_S1M_EUlS1L_E_NS1_11comp_targetILNS1_3genE0ELNS1_11target_archE4294967295ELNS1_3gpuE0ELNS1_3repE0EEENS1_30default_config_static_selectorELNS0_4arch9wavefront6targetE1EEEvSZ_
                                        ; -- End function
	.set _ZN7rocprim17ROCPRIM_400000_NS6detail17trampoline_kernelINS0_13select_configILj256ELj13ELNS0_17block_load_methodE3ELS4_3ELS4_3ELNS0_20block_scan_algorithmE0ELj4294967295EEENS1_25partition_config_selectorILNS1_17partition_subalgoE3EjNS0_10empty_typeEbEEZZNS1_14partition_implILS8_3ELb0ES6_jNS0_17counting_iteratorIjlEEPS9_SE_NS0_5tupleIJPjSE_EEENSF_IJSE_SE_EEES9_SG_JZNS1_25segmented_radix_sort_implINS0_14default_configELb0EPK12hip_bfloat16PSL_PKlPlN2at6native12_GLOBAL__N_18offset_tEEE10hipError_tPvRmT1_PNSt15iterator_traitsISZ_E10value_typeET2_T3_PNS10_IS15_E10value_typeET4_jRbjT5_S1B_jjP12ihipStream_tbEUljE_EEESW_SX_SY_S15_S19_S1B_T6_T7_T9_mT8_S1D_bDpT10_ENKUlT_T0_E_clISt17integral_constantIbLb1EES1Q_EEDaS1L_S1M_EUlS1L_E_NS1_11comp_targetILNS1_3genE0ELNS1_11target_archE4294967295ELNS1_3gpuE0ELNS1_3repE0EEENS1_30default_config_static_selectorELNS0_4arch9wavefront6targetE1EEEvSZ_.num_vgpr, 0
	.set _ZN7rocprim17ROCPRIM_400000_NS6detail17trampoline_kernelINS0_13select_configILj256ELj13ELNS0_17block_load_methodE3ELS4_3ELS4_3ELNS0_20block_scan_algorithmE0ELj4294967295EEENS1_25partition_config_selectorILNS1_17partition_subalgoE3EjNS0_10empty_typeEbEEZZNS1_14partition_implILS8_3ELb0ES6_jNS0_17counting_iteratorIjlEEPS9_SE_NS0_5tupleIJPjSE_EEENSF_IJSE_SE_EEES9_SG_JZNS1_25segmented_radix_sort_implINS0_14default_configELb0EPK12hip_bfloat16PSL_PKlPlN2at6native12_GLOBAL__N_18offset_tEEE10hipError_tPvRmT1_PNSt15iterator_traitsISZ_E10value_typeET2_T3_PNS10_IS15_E10value_typeET4_jRbjT5_S1B_jjP12ihipStream_tbEUljE_EEESW_SX_SY_S15_S19_S1B_T6_T7_T9_mT8_S1D_bDpT10_ENKUlT_T0_E_clISt17integral_constantIbLb1EES1Q_EEDaS1L_S1M_EUlS1L_E_NS1_11comp_targetILNS1_3genE0ELNS1_11target_archE4294967295ELNS1_3gpuE0ELNS1_3repE0EEENS1_30default_config_static_selectorELNS0_4arch9wavefront6targetE1EEEvSZ_.num_agpr, 0
	.set _ZN7rocprim17ROCPRIM_400000_NS6detail17trampoline_kernelINS0_13select_configILj256ELj13ELNS0_17block_load_methodE3ELS4_3ELS4_3ELNS0_20block_scan_algorithmE0ELj4294967295EEENS1_25partition_config_selectorILNS1_17partition_subalgoE3EjNS0_10empty_typeEbEEZZNS1_14partition_implILS8_3ELb0ES6_jNS0_17counting_iteratorIjlEEPS9_SE_NS0_5tupleIJPjSE_EEENSF_IJSE_SE_EEES9_SG_JZNS1_25segmented_radix_sort_implINS0_14default_configELb0EPK12hip_bfloat16PSL_PKlPlN2at6native12_GLOBAL__N_18offset_tEEE10hipError_tPvRmT1_PNSt15iterator_traitsISZ_E10value_typeET2_T3_PNS10_IS15_E10value_typeET4_jRbjT5_S1B_jjP12ihipStream_tbEUljE_EEESW_SX_SY_S15_S19_S1B_T6_T7_T9_mT8_S1D_bDpT10_ENKUlT_T0_E_clISt17integral_constantIbLb1EES1Q_EEDaS1L_S1M_EUlS1L_E_NS1_11comp_targetILNS1_3genE0ELNS1_11target_archE4294967295ELNS1_3gpuE0ELNS1_3repE0EEENS1_30default_config_static_selectorELNS0_4arch9wavefront6targetE1EEEvSZ_.numbered_sgpr, 0
	.set _ZN7rocprim17ROCPRIM_400000_NS6detail17trampoline_kernelINS0_13select_configILj256ELj13ELNS0_17block_load_methodE3ELS4_3ELS4_3ELNS0_20block_scan_algorithmE0ELj4294967295EEENS1_25partition_config_selectorILNS1_17partition_subalgoE3EjNS0_10empty_typeEbEEZZNS1_14partition_implILS8_3ELb0ES6_jNS0_17counting_iteratorIjlEEPS9_SE_NS0_5tupleIJPjSE_EEENSF_IJSE_SE_EEES9_SG_JZNS1_25segmented_radix_sort_implINS0_14default_configELb0EPK12hip_bfloat16PSL_PKlPlN2at6native12_GLOBAL__N_18offset_tEEE10hipError_tPvRmT1_PNSt15iterator_traitsISZ_E10value_typeET2_T3_PNS10_IS15_E10value_typeET4_jRbjT5_S1B_jjP12ihipStream_tbEUljE_EEESW_SX_SY_S15_S19_S1B_T6_T7_T9_mT8_S1D_bDpT10_ENKUlT_T0_E_clISt17integral_constantIbLb1EES1Q_EEDaS1L_S1M_EUlS1L_E_NS1_11comp_targetILNS1_3genE0ELNS1_11target_archE4294967295ELNS1_3gpuE0ELNS1_3repE0EEENS1_30default_config_static_selectorELNS0_4arch9wavefront6targetE1EEEvSZ_.num_named_barrier, 0
	.set _ZN7rocprim17ROCPRIM_400000_NS6detail17trampoline_kernelINS0_13select_configILj256ELj13ELNS0_17block_load_methodE3ELS4_3ELS4_3ELNS0_20block_scan_algorithmE0ELj4294967295EEENS1_25partition_config_selectorILNS1_17partition_subalgoE3EjNS0_10empty_typeEbEEZZNS1_14partition_implILS8_3ELb0ES6_jNS0_17counting_iteratorIjlEEPS9_SE_NS0_5tupleIJPjSE_EEENSF_IJSE_SE_EEES9_SG_JZNS1_25segmented_radix_sort_implINS0_14default_configELb0EPK12hip_bfloat16PSL_PKlPlN2at6native12_GLOBAL__N_18offset_tEEE10hipError_tPvRmT1_PNSt15iterator_traitsISZ_E10value_typeET2_T3_PNS10_IS15_E10value_typeET4_jRbjT5_S1B_jjP12ihipStream_tbEUljE_EEESW_SX_SY_S15_S19_S1B_T6_T7_T9_mT8_S1D_bDpT10_ENKUlT_T0_E_clISt17integral_constantIbLb1EES1Q_EEDaS1L_S1M_EUlS1L_E_NS1_11comp_targetILNS1_3genE0ELNS1_11target_archE4294967295ELNS1_3gpuE0ELNS1_3repE0EEENS1_30default_config_static_selectorELNS0_4arch9wavefront6targetE1EEEvSZ_.private_seg_size, 0
	.set _ZN7rocprim17ROCPRIM_400000_NS6detail17trampoline_kernelINS0_13select_configILj256ELj13ELNS0_17block_load_methodE3ELS4_3ELS4_3ELNS0_20block_scan_algorithmE0ELj4294967295EEENS1_25partition_config_selectorILNS1_17partition_subalgoE3EjNS0_10empty_typeEbEEZZNS1_14partition_implILS8_3ELb0ES6_jNS0_17counting_iteratorIjlEEPS9_SE_NS0_5tupleIJPjSE_EEENSF_IJSE_SE_EEES9_SG_JZNS1_25segmented_radix_sort_implINS0_14default_configELb0EPK12hip_bfloat16PSL_PKlPlN2at6native12_GLOBAL__N_18offset_tEEE10hipError_tPvRmT1_PNSt15iterator_traitsISZ_E10value_typeET2_T3_PNS10_IS15_E10value_typeET4_jRbjT5_S1B_jjP12ihipStream_tbEUljE_EEESW_SX_SY_S15_S19_S1B_T6_T7_T9_mT8_S1D_bDpT10_ENKUlT_T0_E_clISt17integral_constantIbLb1EES1Q_EEDaS1L_S1M_EUlS1L_E_NS1_11comp_targetILNS1_3genE0ELNS1_11target_archE4294967295ELNS1_3gpuE0ELNS1_3repE0EEENS1_30default_config_static_selectorELNS0_4arch9wavefront6targetE1EEEvSZ_.uses_vcc, 0
	.set _ZN7rocprim17ROCPRIM_400000_NS6detail17trampoline_kernelINS0_13select_configILj256ELj13ELNS0_17block_load_methodE3ELS4_3ELS4_3ELNS0_20block_scan_algorithmE0ELj4294967295EEENS1_25partition_config_selectorILNS1_17partition_subalgoE3EjNS0_10empty_typeEbEEZZNS1_14partition_implILS8_3ELb0ES6_jNS0_17counting_iteratorIjlEEPS9_SE_NS0_5tupleIJPjSE_EEENSF_IJSE_SE_EEES9_SG_JZNS1_25segmented_radix_sort_implINS0_14default_configELb0EPK12hip_bfloat16PSL_PKlPlN2at6native12_GLOBAL__N_18offset_tEEE10hipError_tPvRmT1_PNSt15iterator_traitsISZ_E10value_typeET2_T3_PNS10_IS15_E10value_typeET4_jRbjT5_S1B_jjP12ihipStream_tbEUljE_EEESW_SX_SY_S15_S19_S1B_T6_T7_T9_mT8_S1D_bDpT10_ENKUlT_T0_E_clISt17integral_constantIbLb1EES1Q_EEDaS1L_S1M_EUlS1L_E_NS1_11comp_targetILNS1_3genE0ELNS1_11target_archE4294967295ELNS1_3gpuE0ELNS1_3repE0EEENS1_30default_config_static_selectorELNS0_4arch9wavefront6targetE1EEEvSZ_.uses_flat_scratch, 0
	.set _ZN7rocprim17ROCPRIM_400000_NS6detail17trampoline_kernelINS0_13select_configILj256ELj13ELNS0_17block_load_methodE3ELS4_3ELS4_3ELNS0_20block_scan_algorithmE0ELj4294967295EEENS1_25partition_config_selectorILNS1_17partition_subalgoE3EjNS0_10empty_typeEbEEZZNS1_14partition_implILS8_3ELb0ES6_jNS0_17counting_iteratorIjlEEPS9_SE_NS0_5tupleIJPjSE_EEENSF_IJSE_SE_EEES9_SG_JZNS1_25segmented_radix_sort_implINS0_14default_configELb0EPK12hip_bfloat16PSL_PKlPlN2at6native12_GLOBAL__N_18offset_tEEE10hipError_tPvRmT1_PNSt15iterator_traitsISZ_E10value_typeET2_T3_PNS10_IS15_E10value_typeET4_jRbjT5_S1B_jjP12ihipStream_tbEUljE_EEESW_SX_SY_S15_S19_S1B_T6_T7_T9_mT8_S1D_bDpT10_ENKUlT_T0_E_clISt17integral_constantIbLb1EES1Q_EEDaS1L_S1M_EUlS1L_E_NS1_11comp_targetILNS1_3genE0ELNS1_11target_archE4294967295ELNS1_3gpuE0ELNS1_3repE0EEENS1_30default_config_static_selectorELNS0_4arch9wavefront6targetE1EEEvSZ_.has_dyn_sized_stack, 0
	.set _ZN7rocprim17ROCPRIM_400000_NS6detail17trampoline_kernelINS0_13select_configILj256ELj13ELNS0_17block_load_methodE3ELS4_3ELS4_3ELNS0_20block_scan_algorithmE0ELj4294967295EEENS1_25partition_config_selectorILNS1_17partition_subalgoE3EjNS0_10empty_typeEbEEZZNS1_14partition_implILS8_3ELb0ES6_jNS0_17counting_iteratorIjlEEPS9_SE_NS0_5tupleIJPjSE_EEENSF_IJSE_SE_EEES9_SG_JZNS1_25segmented_radix_sort_implINS0_14default_configELb0EPK12hip_bfloat16PSL_PKlPlN2at6native12_GLOBAL__N_18offset_tEEE10hipError_tPvRmT1_PNSt15iterator_traitsISZ_E10value_typeET2_T3_PNS10_IS15_E10value_typeET4_jRbjT5_S1B_jjP12ihipStream_tbEUljE_EEESW_SX_SY_S15_S19_S1B_T6_T7_T9_mT8_S1D_bDpT10_ENKUlT_T0_E_clISt17integral_constantIbLb1EES1Q_EEDaS1L_S1M_EUlS1L_E_NS1_11comp_targetILNS1_3genE0ELNS1_11target_archE4294967295ELNS1_3gpuE0ELNS1_3repE0EEENS1_30default_config_static_selectorELNS0_4arch9wavefront6targetE1EEEvSZ_.has_recursion, 0
	.set _ZN7rocprim17ROCPRIM_400000_NS6detail17trampoline_kernelINS0_13select_configILj256ELj13ELNS0_17block_load_methodE3ELS4_3ELS4_3ELNS0_20block_scan_algorithmE0ELj4294967295EEENS1_25partition_config_selectorILNS1_17partition_subalgoE3EjNS0_10empty_typeEbEEZZNS1_14partition_implILS8_3ELb0ES6_jNS0_17counting_iteratorIjlEEPS9_SE_NS0_5tupleIJPjSE_EEENSF_IJSE_SE_EEES9_SG_JZNS1_25segmented_radix_sort_implINS0_14default_configELb0EPK12hip_bfloat16PSL_PKlPlN2at6native12_GLOBAL__N_18offset_tEEE10hipError_tPvRmT1_PNSt15iterator_traitsISZ_E10value_typeET2_T3_PNS10_IS15_E10value_typeET4_jRbjT5_S1B_jjP12ihipStream_tbEUljE_EEESW_SX_SY_S15_S19_S1B_T6_T7_T9_mT8_S1D_bDpT10_ENKUlT_T0_E_clISt17integral_constantIbLb1EES1Q_EEDaS1L_S1M_EUlS1L_E_NS1_11comp_targetILNS1_3genE0ELNS1_11target_archE4294967295ELNS1_3gpuE0ELNS1_3repE0EEENS1_30default_config_static_selectorELNS0_4arch9wavefront6targetE1EEEvSZ_.has_indirect_call, 0
	.section	.AMDGPU.csdata,"",@progbits
; Kernel info:
; codeLenInByte = 0
; TotalNumSgprs: 4
; NumVgprs: 0
; ScratchSize: 0
; MemoryBound: 0
; FloatMode: 240
; IeeeMode: 1
; LDSByteSize: 0 bytes/workgroup (compile time only)
; SGPRBlocks: 0
; VGPRBlocks: 0
; NumSGPRsForWavesPerEU: 4
; NumVGPRsForWavesPerEU: 1
; Occupancy: 10
; WaveLimiterHint : 0
; COMPUTE_PGM_RSRC2:SCRATCH_EN: 0
; COMPUTE_PGM_RSRC2:USER_SGPR: 6
; COMPUTE_PGM_RSRC2:TRAP_HANDLER: 0
; COMPUTE_PGM_RSRC2:TGID_X_EN: 1
; COMPUTE_PGM_RSRC2:TGID_Y_EN: 0
; COMPUTE_PGM_RSRC2:TGID_Z_EN: 0
; COMPUTE_PGM_RSRC2:TIDIG_COMP_CNT: 0
	.section	.text._ZN7rocprim17ROCPRIM_400000_NS6detail17trampoline_kernelINS0_13select_configILj256ELj13ELNS0_17block_load_methodE3ELS4_3ELS4_3ELNS0_20block_scan_algorithmE0ELj4294967295EEENS1_25partition_config_selectorILNS1_17partition_subalgoE3EjNS0_10empty_typeEbEEZZNS1_14partition_implILS8_3ELb0ES6_jNS0_17counting_iteratorIjlEEPS9_SE_NS0_5tupleIJPjSE_EEENSF_IJSE_SE_EEES9_SG_JZNS1_25segmented_radix_sort_implINS0_14default_configELb0EPK12hip_bfloat16PSL_PKlPlN2at6native12_GLOBAL__N_18offset_tEEE10hipError_tPvRmT1_PNSt15iterator_traitsISZ_E10value_typeET2_T3_PNS10_IS15_E10value_typeET4_jRbjT5_S1B_jjP12ihipStream_tbEUljE_EEESW_SX_SY_S15_S19_S1B_T6_T7_T9_mT8_S1D_bDpT10_ENKUlT_T0_E_clISt17integral_constantIbLb1EES1Q_EEDaS1L_S1M_EUlS1L_E_NS1_11comp_targetILNS1_3genE5ELNS1_11target_archE942ELNS1_3gpuE9ELNS1_3repE0EEENS1_30default_config_static_selectorELNS0_4arch9wavefront6targetE1EEEvSZ_,"axG",@progbits,_ZN7rocprim17ROCPRIM_400000_NS6detail17trampoline_kernelINS0_13select_configILj256ELj13ELNS0_17block_load_methodE3ELS4_3ELS4_3ELNS0_20block_scan_algorithmE0ELj4294967295EEENS1_25partition_config_selectorILNS1_17partition_subalgoE3EjNS0_10empty_typeEbEEZZNS1_14partition_implILS8_3ELb0ES6_jNS0_17counting_iteratorIjlEEPS9_SE_NS0_5tupleIJPjSE_EEENSF_IJSE_SE_EEES9_SG_JZNS1_25segmented_radix_sort_implINS0_14default_configELb0EPK12hip_bfloat16PSL_PKlPlN2at6native12_GLOBAL__N_18offset_tEEE10hipError_tPvRmT1_PNSt15iterator_traitsISZ_E10value_typeET2_T3_PNS10_IS15_E10value_typeET4_jRbjT5_S1B_jjP12ihipStream_tbEUljE_EEESW_SX_SY_S15_S19_S1B_T6_T7_T9_mT8_S1D_bDpT10_ENKUlT_T0_E_clISt17integral_constantIbLb1EES1Q_EEDaS1L_S1M_EUlS1L_E_NS1_11comp_targetILNS1_3genE5ELNS1_11target_archE942ELNS1_3gpuE9ELNS1_3repE0EEENS1_30default_config_static_selectorELNS0_4arch9wavefront6targetE1EEEvSZ_,comdat
	.globl	_ZN7rocprim17ROCPRIM_400000_NS6detail17trampoline_kernelINS0_13select_configILj256ELj13ELNS0_17block_load_methodE3ELS4_3ELS4_3ELNS0_20block_scan_algorithmE0ELj4294967295EEENS1_25partition_config_selectorILNS1_17partition_subalgoE3EjNS0_10empty_typeEbEEZZNS1_14partition_implILS8_3ELb0ES6_jNS0_17counting_iteratorIjlEEPS9_SE_NS0_5tupleIJPjSE_EEENSF_IJSE_SE_EEES9_SG_JZNS1_25segmented_radix_sort_implINS0_14default_configELb0EPK12hip_bfloat16PSL_PKlPlN2at6native12_GLOBAL__N_18offset_tEEE10hipError_tPvRmT1_PNSt15iterator_traitsISZ_E10value_typeET2_T3_PNS10_IS15_E10value_typeET4_jRbjT5_S1B_jjP12ihipStream_tbEUljE_EEESW_SX_SY_S15_S19_S1B_T6_T7_T9_mT8_S1D_bDpT10_ENKUlT_T0_E_clISt17integral_constantIbLb1EES1Q_EEDaS1L_S1M_EUlS1L_E_NS1_11comp_targetILNS1_3genE5ELNS1_11target_archE942ELNS1_3gpuE9ELNS1_3repE0EEENS1_30default_config_static_selectorELNS0_4arch9wavefront6targetE1EEEvSZ_ ; -- Begin function _ZN7rocprim17ROCPRIM_400000_NS6detail17trampoline_kernelINS0_13select_configILj256ELj13ELNS0_17block_load_methodE3ELS4_3ELS4_3ELNS0_20block_scan_algorithmE0ELj4294967295EEENS1_25partition_config_selectorILNS1_17partition_subalgoE3EjNS0_10empty_typeEbEEZZNS1_14partition_implILS8_3ELb0ES6_jNS0_17counting_iteratorIjlEEPS9_SE_NS0_5tupleIJPjSE_EEENSF_IJSE_SE_EEES9_SG_JZNS1_25segmented_radix_sort_implINS0_14default_configELb0EPK12hip_bfloat16PSL_PKlPlN2at6native12_GLOBAL__N_18offset_tEEE10hipError_tPvRmT1_PNSt15iterator_traitsISZ_E10value_typeET2_T3_PNS10_IS15_E10value_typeET4_jRbjT5_S1B_jjP12ihipStream_tbEUljE_EEESW_SX_SY_S15_S19_S1B_T6_T7_T9_mT8_S1D_bDpT10_ENKUlT_T0_E_clISt17integral_constantIbLb1EES1Q_EEDaS1L_S1M_EUlS1L_E_NS1_11comp_targetILNS1_3genE5ELNS1_11target_archE942ELNS1_3gpuE9ELNS1_3repE0EEENS1_30default_config_static_selectorELNS0_4arch9wavefront6targetE1EEEvSZ_
	.p2align	8
	.type	_ZN7rocprim17ROCPRIM_400000_NS6detail17trampoline_kernelINS0_13select_configILj256ELj13ELNS0_17block_load_methodE3ELS4_3ELS4_3ELNS0_20block_scan_algorithmE0ELj4294967295EEENS1_25partition_config_selectorILNS1_17partition_subalgoE3EjNS0_10empty_typeEbEEZZNS1_14partition_implILS8_3ELb0ES6_jNS0_17counting_iteratorIjlEEPS9_SE_NS0_5tupleIJPjSE_EEENSF_IJSE_SE_EEES9_SG_JZNS1_25segmented_radix_sort_implINS0_14default_configELb0EPK12hip_bfloat16PSL_PKlPlN2at6native12_GLOBAL__N_18offset_tEEE10hipError_tPvRmT1_PNSt15iterator_traitsISZ_E10value_typeET2_T3_PNS10_IS15_E10value_typeET4_jRbjT5_S1B_jjP12ihipStream_tbEUljE_EEESW_SX_SY_S15_S19_S1B_T6_T7_T9_mT8_S1D_bDpT10_ENKUlT_T0_E_clISt17integral_constantIbLb1EES1Q_EEDaS1L_S1M_EUlS1L_E_NS1_11comp_targetILNS1_3genE5ELNS1_11target_archE942ELNS1_3gpuE9ELNS1_3repE0EEENS1_30default_config_static_selectorELNS0_4arch9wavefront6targetE1EEEvSZ_,@function
_ZN7rocprim17ROCPRIM_400000_NS6detail17trampoline_kernelINS0_13select_configILj256ELj13ELNS0_17block_load_methodE3ELS4_3ELS4_3ELNS0_20block_scan_algorithmE0ELj4294967295EEENS1_25partition_config_selectorILNS1_17partition_subalgoE3EjNS0_10empty_typeEbEEZZNS1_14partition_implILS8_3ELb0ES6_jNS0_17counting_iteratorIjlEEPS9_SE_NS0_5tupleIJPjSE_EEENSF_IJSE_SE_EEES9_SG_JZNS1_25segmented_radix_sort_implINS0_14default_configELb0EPK12hip_bfloat16PSL_PKlPlN2at6native12_GLOBAL__N_18offset_tEEE10hipError_tPvRmT1_PNSt15iterator_traitsISZ_E10value_typeET2_T3_PNS10_IS15_E10value_typeET4_jRbjT5_S1B_jjP12ihipStream_tbEUljE_EEESW_SX_SY_S15_S19_S1B_T6_T7_T9_mT8_S1D_bDpT10_ENKUlT_T0_E_clISt17integral_constantIbLb1EES1Q_EEDaS1L_S1M_EUlS1L_E_NS1_11comp_targetILNS1_3genE5ELNS1_11target_archE942ELNS1_3gpuE9ELNS1_3repE0EEENS1_30default_config_static_selectorELNS0_4arch9wavefront6targetE1EEEvSZ_: ; @_ZN7rocprim17ROCPRIM_400000_NS6detail17trampoline_kernelINS0_13select_configILj256ELj13ELNS0_17block_load_methodE3ELS4_3ELS4_3ELNS0_20block_scan_algorithmE0ELj4294967295EEENS1_25partition_config_selectorILNS1_17partition_subalgoE3EjNS0_10empty_typeEbEEZZNS1_14partition_implILS8_3ELb0ES6_jNS0_17counting_iteratorIjlEEPS9_SE_NS0_5tupleIJPjSE_EEENSF_IJSE_SE_EEES9_SG_JZNS1_25segmented_radix_sort_implINS0_14default_configELb0EPK12hip_bfloat16PSL_PKlPlN2at6native12_GLOBAL__N_18offset_tEEE10hipError_tPvRmT1_PNSt15iterator_traitsISZ_E10value_typeET2_T3_PNS10_IS15_E10value_typeET4_jRbjT5_S1B_jjP12ihipStream_tbEUljE_EEESW_SX_SY_S15_S19_S1B_T6_T7_T9_mT8_S1D_bDpT10_ENKUlT_T0_E_clISt17integral_constantIbLb1EES1Q_EEDaS1L_S1M_EUlS1L_E_NS1_11comp_targetILNS1_3genE5ELNS1_11target_archE942ELNS1_3gpuE9ELNS1_3repE0EEENS1_30default_config_static_selectorELNS0_4arch9wavefront6targetE1EEEvSZ_
; %bb.0:
	.section	.rodata,"a",@progbits
	.p2align	6, 0x0
	.amdhsa_kernel _ZN7rocprim17ROCPRIM_400000_NS6detail17trampoline_kernelINS0_13select_configILj256ELj13ELNS0_17block_load_methodE3ELS4_3ELS4_3ELNS0_20block_scan_algorithmE0ELj4294967295EEENS1_25partition_config_selectorILNS1_17partition_subalgoE3EjNS0_10empty_typeEbEEZZNS1_14partition_implILS8_3ELb0ES6_jNS0_17counting_iteratorIjlEEPS9_SE_NS0_5tupleIJPjSE_EEENSF_IJSE_SE_EEES9_SG_JZNS1_25segmented_radix_sort_implINS0_14default_configELb0EPK12hip_bfloat16PSL_PKlPlN2at6native12_GLOBAL__N_18offset_tEEE10hipError_tPvRmT1_PNSt15iterator_traitsISZ_E10value_typeET2_T3_PNS10_IS15_E10value_typeET4_jRbjT5_S1B_jjP12ihipStream_tbEUljE_EEESW_SX_SY_S15_S19_S1B_T6_T7_T9_mT8_S1D_bDpT10_ENKUlT_T0_E_clISt17integral_constantIbLb1EES1Q_EEDaS1L_S1M_EUlS1L_E_NS1_11comp_targetILNS1_3genE5ELNS1_11target_archE942ELNS1_3gpuE9ELNS1_3repE0EEENS1_30default_config_static_selectorELNS0_4arch9wavefront6targetE1EEEvSZ_
		.amdhsa_group_segment_fixed_size 0
		.amdhsa_private_segment_fixed_size 0
		.amdhsa_kernarg_size 152
		.amdhsa_user_sgpr_count 6
		.amdhsa_user_sgpr_private_segment_buffer 1
		.amdhsa_user_sgpr_dispatch_ptr 0
		.amdhsa_user_sgpr_queue_ptr 0
		.amdhsa_user_sgpr_kernarg_segment_ptr 1
		.amdhsa_user_sgpr_dispatch_id 0
		.amdhsa_user_sgpr_flat_scratch_init 0
		.amdhsa_user_sgpr_private_segment_size 0
		.amdhsa_uses_dynamic_stack 0
		.amdhsa_system_sgpr_private_segment_wavefront_offset 0
		.amdhsa_system_sgpr_workgroup_id_x 1
		.amdhsa_system_sgpr_workgroup_id_y 0
		.amdhsa_system_sgpr_workgroup_id_z 0
		.amdhsa_system_sgpr_workgroup_info 0
		.amdhsa_system_vgpr_workitem_id 0
		.amdhsa_next_free_vgpr 1
		.amdhsa_next_free_sgpr 0
		.amdhsa_reserve_vcc 0
		.amdhsa_reserve_flat_scratch 0
		.amdhsa_float_round_mode_32 0
		.amdhsa_float_round_mode_16_64 0
		.amdhsa_float_denorm_mode_32 3
		.amdhsa_float_denorm_mode_16_64 3
		.amdhsa_dx10_clamp 1
		.amdhsa_ieee_mode 1
		.amdhsa_fp16_overflow 0
		.amdhsa_exception_fp_ieee_invalid_op 0
		.amdhsa_exception_fp_denorm_src 0
		.amdhsa_exception_fp_ieee_div_zero 0
		.amdhsa_exception_fp_ieee_overflow 0
		.amdhsa_exception_fp_ieee_underflow 0
		.amdhsa_exception_fp_ieee_inexact 0
		.amdhsa_exception_int_div_zero 0
	.end_amdhsa_kernel
	.section	.text._ZN7rocprim17ROCPRIM_400000_NS6detail17trampoline_kernelINS0_13select_configILj256ELj13ELNS0_17block_load_methodE3ELS4_3ELS4_3ELNS0_20block_scan_algorithmE0ELj4294967295EEENS1_25partition_config_selectorILNS1_17partition_subalgoE3EjNS0_10empty_typeEbEEZZNS1_14partition_implILS8_3ELb0ES6_jNS0_17counting_iteratorIjlEEPS9_SE_NS0_5tupleIJPjSE_EEENSF_IJSE_SE_EEES9_SG_JZNS1_25segmented_radix_sort_implINS0_14default_configELb0EPK12hip_bfloat16PSL_PKlPlN2at6native12_GLOBAL__N_18offset_tEEE10hipError_tPvRmT1_PNSt15iterator_traitsISZ_E10value_typeET2_T3_PNS10_IS15_E10value_typeET4_jRbjT5_S1B_jjP12ihipStream_tbEUljE_EEESW_SX_SY_S15_S19_S1B_T6_T7_T9_mT8_S1D_bDpT10_ENKUlT_T0_E_clISt17integral_constantIbLb1EES1Q_EEDaS1L_S1M_EUlS1L_E_NS1_11comp_targetILNS1_3genE5ELNS1_11target_archE942ELNS1_3gpuE9ELNS1_3repE0EEENS1_30default_config_static_selectorELNS0_4arch9wavefront6targetE1EEEvSZ_,"axG",@progbits,_ZN7rocprim17ROCPRIM_400000_NS6detail17trampoline_kernelINS0_13select_configILj256ELj13ELNS0_17block_load_methodE3ELS4_3ELS4_3ELNS0_20block_scan_algorithmE0ELj4294967295EEENS1_25partition_config_selectorILNS1_17partition_subalgoE3EjNS0_10empty_typeEbEEZZNS1_14partition_implILS8_3ELb0ES6_jNS0_17counting_iteratorIjlEEPS9_SE_NS0_5tupleIJPjSE_EEENSF_IJSE_SE_EEES9_SG_JZNS1_25segmented_radix_sort_implINS0_14default_configELb0EPK12hip_bfloat16PSL_PKlPlN2at6native12_GLOBAL__N_18offset_tEEE10hipError_tPvRmT1_PNSt15iterator_traitsISZ_E10value_typeET2_T3_PNS10_IS15_E10value_typeET4_jRbjT5_S1B_jjP12ihipStream_tbEUljE_EEESW_SX_SY_S15_S19_S1B_T6_T7_T9_mT8_S1D_bDpT10_ENKUlT_T0_E_clISt17integral_constantIbLb1EES1Q_EEDaS1L_S1M_EUlS1L_E_NS1_11comp_targetILNS1_3genE5ELNS1_11target_archE942ELNS1_3gpuE9ELNS1_3repE0EEENS1_30default_config_static_selectorELNS0_4arch9wavefront6targetE1EEEvSZ_,comdat
.Lfunc_end2026:
	.size	_ZN7rocprim17ROCPRIM_400000_NS6detail17trampoline_kernelINS0_13select_configILj256ELj13ELNS0_17block_load_methodE3ELS4_3ELS4_3ELNS0_20block_scan_algorithmE0ELj4294967295EEENS1_25partition_config_selectorILNS1_17partition_subalgoE3EjNS0_10empty_typeEbEEZZNS1_14partition_implILS8_3ELb0ES6_jNS0_17counting_iteratorIjlEEPS9_SE_NS0_5tupleIJPjSE_EEENSF_IJSE_SE_EEES9_SG_JZNS1_25segmented_radix_sort_implINS0_14default_configELb0EPK12hip_bfloat16PSL_PKlPlN2at6native12_GLOBAL__N_18offset_tEEE10hipError_tPvRmT1_PNSt15iterator_traitsISZ_E10value_typeET2_T3_PNS10_IS15_E10value_typeET4_jRbjT5_S1B_jjP12ihipStream_tbEUljE_EEESW_SX_SY_S15_S19_S1B_T6_T7_T9_mT8_S1D_bDpT10_ENKUlT_T0_E_clISt17integral_constantIbLb1EES1Q_EEDaS1L_S1M_EUlS1L_E_NS1_11comp_targetILNS1_3genE5ELNS1_11target_archE942ELNS1_3gpuE9ELNS1_3repE0EEENS1_30default_config_static_selectorELNS0_4arch9wavefront6targetE1EEEvSZ_, .Lfunc_end2026-_ZN7rocprim17ROCPRIM_400000_NS6detail17trampoline_kernelINS0_13select_configILj256ELj13ELNS0_17block_load_methodE3ELS4_3ELS4_3ELNS0_20block_scan_algorithmE0ELj4294967295EEENS1_25partition_config_selectorILNS1_17partition_subalgoE3EjNS0_10empty_typeEbEEZZNS1_14partition_implILS8_3ELb0ES6_jNS0_17counting_iteratorIjlEEPS9_SE_NS0_5tupleIJPjSE_EEENSF_IJSE_SE_EEES9_SG_JZNS1_25segmented_radix_sort_implINS0_14default_configELb0EPK12hip_bfloat16PSL_PKlPlN2at6native12_GLOBAL__N_18offset_tEEE10hipError_tPvRmT1_PNSt15iterator_traitsISZ_E10value_typeET2_T3_PNS10_IS15_E10value_typeET4_jRbjT5_S1B_jjP12ihipStream_tbEUljE_EEESW_SX_SY_S15_S19_S1B_T6_T7_T9_mT8_S1D_bDpT10_ENKUlT_T0_E_clISt17integral_constantIbLb1EES1Q_EEDaS1L_S1M_EUlS1L_E_NS1_11comp_targetILNS1_3genE5ELNS1_11target_archE942ELNS1_3gpuE9ELNS1_3repE0EEENS1_30default_config_static_selectorELNS0_4arch9wavefront6targetE1EEEvSZ_
                                        ; -- End function
	.set _ZN7rocprim17ROCPRIM_400000_NS6detail17trampoline_kernelINS0_13select_configILj256ELj13ELNS0_17block_load_methodE3ELS4_3ELS4_3ELNS0_20block_scan_algorithmE0ELj4294967295EEENS1_25partition_config_selectorILNS1_17partition_subalgoE3EjNS0_10empty_typeEbEEZZNS1_14partition_implILS8_3ELb0ES6_jNS0_17counting_iteratorIjlEEPS9_SE_NS0_5tupleIJPjSE_EEENSF_IJSE_SE_EEES9_SG_JZNS1_25segmented_radix_sort_implINS0_14default_configELb0EPK12hip_bfloat16PSL_PKlPlN2at6native12_GLOBAL__N_18offset_tEEE10hipError_tPvRmT1_PNSt15iterator_traitsISZ_E10value_typeET2_T3_PNS10_IS15_E10value_typeET4_jRbjT5_S1B_jjP12ihipStream_tbEUljE_EEESW_SX_SY_S15_S19_S1B_T6_T7_T9_mT8_S1D_bDpT10_ENKUlT_T0_E_clISt17integral_constantIbLb1EES1Q_EEDaS1L_S1M_EUlS1L_E_NS1_11comp_targetILNS1_3genE5ELNS1_11target_archE942ELNS1_3gpuE9ELNS1_3repE0EEENS1_30default_config_static_selectorELNS0_4arch9wavefront6targetE1EEEvSZ_.num_vgpr, 0
	.set _ZN7rocprim17ROCPRIM_400000_NS6detail17trampoline_kernelINS0_13select_configILj256ELj13ELNS0_17block_load_methodE3ELS4_3ELS4_3ELNS0_20block_scan_algorithmE0ELj4294967295EEENS1_25partition_config_selectorILNS1_17partition_subalgoE3EjNS0_10empty_typeEbEEZZNS1_14partition_implILS8_3ELb0ES6_jNS0_17counting_iteratorIjlEEPS9_SE_NS0_5tupleIJPjSE_EEENSF_IJSE_SE_EEES9_SG_JZNS1_25segmented_radix_sort_implINS0_14default_configELb0EPK12hip_bfloat16PSL_PKlPlN2at6native12_GLOBAL__N_18offset_tEEE10hipError_tPvRmT1_PNSt15iterator_traitsISZ_E10value_typeET2_T3_PNS10_IS15_E10value_typeET4_jRbjT5_S1B_jjP12ihipStream_tbEUljE_EEESW_SX_SY_S15_S19_S1B_T6_T7_T9_mT8_S1D_bDpT10_ENKUlT_T0_E_clISt17integral_constantIbLb1EES1Q_EEDaS1L_S1M_EUlS1L_E_NS1_11comp_targetILNS1_3genE5ELNS1_11target_archE942ELNS1_3gpuE9ELNS1_3repE0EEENS1_30default_config_static_selectorELNS0_4arch9wavefront6targetE1EEEvSZ_.num_agpr, 0
	.set _ZN7rocprim17ROCPRIM_400000_NS6detail17trampoline_kernelINS0_13select_configILj256ELj13ELNS0_17block_load_methodE3ELS4_3ELS4_3ELNS0_20block_scan_algorithmE0ELj4294967295EEENS1_25partition_config_selectorILNS1_17partition_subalgoE3EjNS0_10empty_typeEbEEZZNS1_14partition_implILS8_3ELb0ES6_jNS0_17counting_iteratorIjlEEPS9_SE_NS0_5tupleIJPjSE_EEENSF_IJSE_SE_EEES9_SG_JZNS1_25segmented_radix_sort_implINS0_14default_configELb0EPK12hip_bfloat16PSL_PKlPlN2at6native12_GLOBAL__N_18offset_tEEE10hipError_tPvRmT1_PNSt15iterator_traitsISZ_E10value_typeET2_T3_PNS10_IS15_E10value_typeET4_jRbjT5_S1B_jjP12ihipStream_tbEUljE_EEESW_SX_SY_S15_S19_S1B_T6_T7_T9_mT8_S1D_bDpT10_ENKUlT_T0_E_clISt17integral_constantIbLb1EES1Q_EEDaS1L_S1M_EUlS1L_E_NS1_11comp_targetILNS1_3genE5ELNS1_11target_archE942ELNS1_3gpuE9ELNS1_3repE0EEENS1_30default_config_static_selectorELNS0_4arch9wavefront6targetE1EEEvSZ_.numbered_sgpr, 0
	.set _ZN7rocprim17ROCPRIM_400000_NS6detail17trampoline_kernelINS0_13select_configILj256ELj13ELNS0_17block_load_methodE3ELS4_3ELS4_3ELNS0_20block_scan_algorithmE0ELj4294967295EEENS1_25partition_config_selectorILNS1_17partition_subalgoE3EjNS0_10empty_typeEbEEZZNS1_14partition_implILS8_3ELb0ES6_jNS0_17counting_iteratorIjlEEPS9_SE_NS0_5tupleIJPjSE_EEENSF_IJSE_SE_EEES9_SG_JZNS1_25segmented_radix_sort_implINS0_14default_configELb0EPK12hip_bfloat16PSL_PKlPlN2at6native12_GLOBAL__N_18offset_tEEE10hipError_tPvRmT1_PNSt15iterator_traitsISZ_E10value_typeET2_T3_PNS10_IS15_E10value_typeET4_jRbjT5_S1B_jjP12ihipStream_tbEUljE_EEESW_SX_SY_S15_S19_S1B_T6_T7_T9_mT8_S1D_bDpT10_ENKUlT_T0_E_clISt17integral_constantIbLb1EES1Q_EEDaS1L_S1M_EUlS1L_E_NS1_11comp_targetILNS1_3genE5ELNS1_11target_archE942ELNS1_3gpuE9ELNS1_3repE0EEENS1_30default_config_static_selectorELNS0_4arch9wavefront6targetE1EEEvSZ_.num_named_barrier, 0
	.set _ZN7rocprim17ROCPRIM_400000_NS6detail17trampoline_kernelINS0_13select_configILj256ELj13ELNS0_17block_load_methodE3ELS4_3ELS4_3ELNS0_20block_scan_algorithmE0ELj4294967295EEENS1_25partition_config_selectorILNS1_17partition_subalgoE3EjNS0_10empty_typeEbEEZZNS1_14partition_implILS8_3ELb0ES6_jNS0_17counting_iteratorIjlEEPS9_SE_NS0_5tupleIJPjSE_EEENSF_IJSE_SE_EEES9_SG_JZNS1_25segmented_radix_sort_implINS0_14default_configELb0EPK12hip_bfloat16PSL_PKlPlN2at6native12_GLOBAL__N_18offset_tEEE10hipError_tPvRmT1_PNSt15iterator_traitsISZ_E10value_typeET2_T3_PNS10_IS15_E10value_typeET4_jRbjT5_S1B_jjP12ihipStream_tbEUljE_EEESW_SX_SY_S15_S19_S1B_T6_T7_T9_mT8_S1D_bDpT10_ENKUlT_T0_E_clISt17integral_constantIbLb1EES1Q_EEDaS1L_S1M_EUlS1L_E_NS1_11comp_targetILNS1_3genE5ELNS1_11target_archE942ELNS1_3gpuE9ELNS1_3repE0EEENS1_30default_config_static_selectorELNS0_4arch9wavefront6targetE1EEEvSZ_.private_seg_size, 0
	.set _ZN7rocprim17ROCPRIM_400000_NS6detail17trampoline_kernelINS0_13select_configILj256ELj13ELNS0_17block_load_methodE3ELS4_3ELS4_3ELNS0_20block_scan_algorithmE0ELj4294967295EEENS1_25partition_config_selectorILNS1_17partition_subalgoE3EjNS0_10empty_typeEbEEZZNS1_14partition_implILS8_3ELb0ES6_jNS0_17counting_iteratorIjlEEPS9_SE_NS0_5tupleIJPjSE_EEENSF_IJSE_SE_EEES9_SG_JZNS1_25segmented_radix_sort_implINS0_14default_configELb0EPK12hip_bfloat16PSL_PKlPlN2at6native12_GLOBAL__N_18offset_tEEE10hipError_tPvRmT1_PNSt15iterator_traitsISZ_E10value_typeET2_T3_PNS10_IS15_E10value_typeET4_jRbjT5_S1B_jjP12ihipStream_tbEUljE_EEESW_SX_SY_S15_S19_S1B_T6_T7_T9_mT8_S1D_bDpT10_ENKUlT_T0_E_clISt17integral_constantIbLb1EES1Q_EEDaS1L_S1M_EUlS1L_E_NS1_11comp_targetILNS1_3genE5ELNS1_11target_archE942ELNS1_3gpuE9ELNS1_3repE0EEENS1_30default_config_static_selectorELNS0_4arch9wavefront6targetE1EEEvSZ_.uses_vcc, 0
	.set _ZN7rocprim17ROCPRIM_400000_NS6detail17trampoline_kernelINS0_13select_configILj256ELj13ELNS0_17block_load_methodE3ELS4_3ELS4_3ELNS0_20block_scan_algorithmE0ELj4294967295EEENS1_25partition_config_selectorILNS1_17partition_subalgoE3EjNS0_10empty_typeEbEEZZNS1_14partition_implILS8_3ELb0ES6_jNS0_17counting_iteratorIjlEEPS9_SE_NS0_5tupleIJPjSE_EEENSF_IJSE_SE_EEES9_SG_JZNS1_25segmented_radix_sort_implINS0_14default_configELb0EPK12hip_bfloat16PSL_PKlPlN2at6native12_GLOBAL__N_18offset_tEEE10hipError_tPvRmT1_PNSt15iterator_traitsISZ_E10value_typeET2_T3_PNS10_IS15_E10value_typeET4_jRbjT5_S1B_jjP12ihipStream_tbEUljE_EEESW_SX_SY_S15_S19_S1B_T6_T7_T9_mT8_S1D_bDpT10_ENKUlT_T0_E_clISt17integral_constantIbLb1EES1Q_EEDaS1L_S1M_EUlS1L_E_NS1_11comp_targetILNS1_3genE5ELNS1_11target_archE942ELNS1_3gpuE9ELNS1_3repE0EEENS1_30default_config_static_selectorELNS0_4arch9wavefront6targetE1EEEvSZ_.uses_flat_scratch, 0
	.set _ZN7rocprim17ROCPRIM_400000_NS6detail17trampoline_kernelINS0_13select_configILj256ELj13ELNS0_17block_load_methodE3ELS4_3ELS4_3ELNS0_20block_scan_algorithmE0ELj4294967295EEENS1_25partition_config_selectorILNS1_17partition_subalgoE3EjNS0_10empty_typeEbEEZZNS1_14partition_implILS8_3ELb0ES6_jNS0_17counting_iteratorIjlEEPS9_SE_NS0_5tupleIJPjSE_EEENSF_IJSE_SE_EEES9_SG_JZNS1_25segmented_radix_sort_implINS0_14default_configELb0EPK12hip_bfloat16PSL_PKlPlN2at6native12_GLOBAL__N_18offset_tEEE10hipError_tPvRmT1_PNSt15iterator_traitsISZ_E10value_typeET2_T3_PNS10_IS15_E10value_typeET4_jRbjT5_S1B_jjP12ihipStream_tbEUljE_EEESW_SX_SY_S15_S19_S1B_T6_T7_T9_mT8_S1D_bDpT10_ENKUlT_T0_E_clISt17integral_constantIbLb1EES1Q_EEDaS1L_S1M_EUlS1L_E_NS1_11comp_targetILNS1_3genE5ELNS1_11target_archE942ELNS1_3gpuE9ELNS1_3repE0EEENS1_30default_config_static_selectorELNS0_4arch9wavefront6targetE1EEEvSZ_.has_dyn_sized_stack, 0
	.set _ZN7rocprim17ROCPRIM_400000_NS6detail17trampoline_kernelINS0_13select_configILj256ELj13ELNS0_17block_load_methodE3ELS4_3ELS4_3ELNS0_20block_scan_algorithmE0ELj4294967295EEENS1_25partition_config_selectorILNS1_17partition_subalgoE3EjNS0_10empty_typeEbEEZZNS1_14partition_implILS8_3ELb0ES6_jNS0_17counting_iteratorIjlEEPS9_SE_NS0_5tupleIJPjSE_EEENSF_IJSE_SE_EEES9_SG_JZNS1_25segmented_radix_sort_implINS0_14default_configELb0EPK12hip_bfloat16PSL_PKlPlN2at6native12_GLOBAL__N_18offset_tEEE10hipError_tPvRmT1_PNSt15iterator_traitsISZ_E10value_typeET2_T3_PNS10_IS15_E10value_typeET4_jRbjT5_S1B_jjP12ihipStream_tbEUljE_EEESW_SX_SY_S15_S19_S1B_T6_T7_T9_mT8_S1D_bDpT10_ENKUlT_T0_E_clISt17integral_constantIbLb1EES1Q_EEDaS1L_S1M_EUlS1L_E_NS1_11comp_targetILNS1_3genE5ELNS1_11target_archE942ELNS1_3gpuE9ELNS1_3repE0EEENS1_30default_config_static_selectorELNS0_4arch9wavefront6targetE1EEEvSZ_.has_recursion, 0
	.set _ZN7rocprim17ROCPRIM_400000_NS6detail17trampoline_kernelINS0_13select_configILj256ELj13ELNS0_17block_load_methodE3ELS4_3ELS4_3ELNS0_20block_scan_algorithmE0ELj4294967295EEENS1_25partition_config_selectorILNS1_17partition_subalgoE3EjNS0_10empty_typeEbEEZZNS1_14partition_implILS8_3ELb0ES6_jNS0_17counting_iteratorIjlEEPS9_SE_NS0_5tupleIJPjSE_EEENSF_IJSE_SE_EEES9_SG_JZNS1_25segmented_radix_sort_implINS0_14default_configELb0EPK12hip_bfloat16PSL_PKlPlN2at6native12_GLOBAL__N_18offset_tEEE10hipError_tPvRmT1_PNSt15iterator_traitsISZ_E10value_typeET2_T3_PNS10_IS15_E10value_typeET4_jRbjT5_S1B_jjP12ihipStream_tbEUljE_EEESW_SX_SY_S15_S19_S1B_T6_T7_T9_mT8_S1D_bDpT10_ENKUlT_T0_E_clISt17integral_constantIbLb1EES1Q_EEDaS1L_S1M_EUlS1L_E_NS1_11comp_targetILNS1_3genE5ELNS1_11target_archE942ELNS1_3gpuE9ELNS1_3repE0EEENS1_30default_config_static_selectorELNS0_4arch9wavefront6targetE1EEEvSZ_.has_indirect_call, 0
	.section	.AMDGPU.csdata,"",@progbits
; Kernel info:
; codeLenInByte = 0
; TotalNumSgprs: 4
; NumVgprs: 0
; ScratchSize: 0
; MemoryBound: 0
; FloatMode: 240
; IeeeMode: 1
; LDSByteSize: 0 bytes/workgroup (compile time only)
; SGPRBlocks: 0
; VGPRBlocks: 0
; NumSGPRsForWavesPerEU: 4
; NumVGPRsForWavesPerEU: 1
; Occupancy: 10
; WaveLimiterHint : 0
; COMPUTE_PGM_RSRC2:SCRATCH_EN: 0
; COMPUTE_PGM_RSRC2:USER_SGPR: 6
; COMPUTE_PGM_RSRC2:TRAP_HANDLER: 0
; COMPUTE_PGM_RSRC2:TGID_X_EN: 1
; COMPUTE_PGM_RSRC2:TGID_Y_EN: 0
; COMPUTE_PGM_RSRC2:TGID_Z_EN: 0
; COMPUTE_PGM_RSRC2:TIDIG_COMP_CNT: 0
	.section	.text._ZN7rocprim17ROCPRIM_400000_NS6detail17trampoline_kernelINS0_13select_configILj256ELj13ELNS0_17block_load_methodE3ELS4_3ELS4_3ELNS0_20block_scan_algorithmE0ELj4294967295EEENS1_25partition_config_selectorILNS1_17partition_subalgoE3EjNS0_10empty_typeEbEEZZNS1_14partition_implILS8_3ELb0ES6_jNS0_17counting_iteratorIjlEEPS9_SE_NS0_5tupleIJPjSE_EEENSF_IJSE_SE_EEES9_SG_JZNS1_25segmented_radix_sort_implINS0_14default_configELb0EPK12hip_bfloat16PSL_PKlPlN2at6native12_GLOBAL__N_18offset_tEEE10hipError_tPvRmT1_PNSt15iterator_traitsISZ_E10value_typeET2_T3_PNS10_IS15_E10value_typeET4_jRbjT5_S1B_jjP12ihipStream_tbEUljE_EEESW_SX_SY_S15_S19_S1B_T6_T7_T9_mT8_S1D_bDpT10_ENKUlT_T0_E_clISt17integral_constantIbLb1EES1Q_EEDaS1L_S1M_EUlS1L_E_NS1_11comp_targetILNS1_3genE4ELNS1_11target_archE910ELNS1_3gpuE8ELNS1_3repE0EEENS1_30default_config_static_selectorELNS0_4arch9wavefront6targetE1EEEvSZ_,"axG",@progbits,_ZN7rocprim17ROCPRIM_400000_NS6detail17trampoline_kernelINS0_13select_configILj256ELj13ELNS0_17block_load_methodE3ELS4_3ELS4_3ELNS0_20block_scan_algorithmE0ELj4294967295EEENS1_25partition_config_selectorILNS1_17partition_subalgoE3EjNS0_10empty_typeEbEEZZNS1_14partition_implILS8_3ELb0ES6_jNS0_17counting_iteratorIjlEEPS9_SE_NS0_5tupleIJPjSE_EEENSF_IJSE_SE_EEES9_SG_JZNS1_25segmented_radix_sort_implINS0_14default_configELb0EPK12hip_bfloat16PSL_PKlPlN2at6native12_GLOBAL__N_18offset_tEEE10hipError_tPvRmT1_PNSt15iterator_traitsISZ_E10value_typeET2_T3_PNS10_IS15_E10value_typeET4_jRbjT5_S1B_jjP12ihipStream_tbEUljE_EEESW_SX_SY_S15_S19_S1B_T6_T7_T9_mT8_S1D_bDpT10_ENKUlT_T0_E_clISt17integral_constantIbLb1EES1Q_EEDaS1L_S1M_EUlS1L_E_NS1_11comp_targetILNS1_3genE4ELNS1_11target_archE910ELNS1_3gpuE8ELNS1_3repE0EEENS1_30default_config_static_selectorELNS0_4arch9wavefront6targetE1EEEvSZ_,comdat
	.globl	_ZN7rocprim17ROCPRIM_400000_NS6detail17trampoline_kernelINS0_13select_configILj256ELj13ELNS0_17block_load_methodE3ELS4_3ELS4_3ELNS0_20block_scan_algorithmE0ELj4294967295EEENS1_25partition_config_selectorILNS1_17partition_subalgoE3EjNS0_10empty_typeEbEEZZNS1_14partition_implILS8_3ELb0ES6_jNS0_17counting_iteratorIjlEEPS9_SE_NS0_5tupleIJPjSE_EEENSF_IJSE_SE_EEES9_SG_JZNS1_25segmented_radix_sort_implINS0_14default_configELb0EPK12hip_bfloat16PSL_PKlPlN2at6native12_GLOBAL__N_18offset_tEEE10hipError_tPvRmT1_PNSt15iterator_traitsISZ_E10value_typeET2_T3_PNS10_IS15_E10value_typeET4_jRbjT5_S1B_jjP12ihipStream_tbEUljE_EEESW_SX_SY_S15_S19_S1B_T6_T7_T9_mT8_S1D_bDpT10_ENKUlT_T0_E_clISt17integral_constantIbLb1EES1Q_EEDaS1L_S1M_EUlS1L_E_NS1_11comp_targetILNS1_3genE4ELNS1_11target_archE910ELNS1_3gpuE8ELNS1_3repE0EEENS1_30default_config_static_selectorELNS0_4arch9wavefront6targetE1EEEvSZ_ ; -- Begin function _ZN7rocprim17ROCPRIM_400000_NS6detail17trampoline_kernelINS0_13select_configILj256ELj13ELNS0_17block_load_methodE3ELS4_3ELS4_3ELNS0_20block_scan_algorithmE0ELj4294967295EEENS1_25partition_config_selectorILNS1_17partition_subalgoE3EjNS0_10empty_typeEbEEZZNS1_14partition_implILS8_3ELb0ES6_jNS0_17counting_iteratorIjlEEPS9_SE_NS0_5tupleIJPjSE_EEENSF_IJSE_SE_EEES9_SG_JZNS1_25segmented_radix_sort_implINS0_14default_configELb0EPK12hip_bfloat16PSL_PKlPlN2at6native12_GLOBAL__N_18offset_tEEE10hipError_tPvRmT1_PNSt15iterator_traitsISZ_E10value_typeET2_T3_PNS10_IS15_E10value_typeET4_jRbjT5_S1B_jjP12ihipStream_tbEUljE_EEESW_SX_SY_S15_S19_S1B_T6_T7_T9_mT8_S1D_bDpT10_ENKUlT_T0_E_clISt17integral_constantIbLb1EES1Q_EEDaS1L_S1M_EUlS1L_E_NS1_11comp_targetILNS1_3genE4ELNS1_11target_archE910ELNS1_3gpuE8ELNS1_3repE0EEENS1_30default_config_static_selectorELNS0_4arch9wavefront6targetE1EEEvSZ_
	.p2align	8
	.type	_ZN7rocprim17ROCPRIM_400000_NS6detail17trampoline_kernelINS0_13select_configILj256ELj13ELNS0_17block_load_methodE3ELS4_3ELS4_3ELNS0_20block_scan_algorithmE0ELj4294967295EEENS1_25partition_config_selectorILNS1_17partition_subalgoE3EjNS0_10empty_typeEbEEZZNS1_14partition_implILS8_3ELb0ES6_jNS0_17counting_iteratorIjlEEPS9_SE_NS0_5tupleIJPjSE_EEENSF_IJSE_SE_EEES9_SG_JZNS1_25segmented_radix_sort_implINS0_14default_configELb0EPK12hip_bfloat16PSL_PKlPlN2at6native12_GLOBAL__N_18offset_tEEE10hipError_tPvRmT1_PNSt15iterator_traitsISZ_E10value_typeET2_T3_PNS10_IS15_E10value_typeET4_jRbjT5_S1B_jjP12ihipStream_tbEUljE_EEESW_SX_SY_S15_S19_S1B_T6_T7_T9_mT8_S1D_bDpT10_ENKUlT_T0_E_clISt17integral_constantIbLb1EES1Q_EEDaS1L_S1M_EUlS1L_E_NS1_11comp_targetILNS1_3genE4ELNS1_11target_archE910ELNS1_3gpuE8ELNS1_3repE0EEENS1_30default_config_static_selectorELNS0_4arch9wavefront6targetE1EEEvSZ_,@function
_ZN7rocprim17ROCPRIM_400000_NS6detail17trampoline_kernelINS0_13select_configILj256ELj13ELNS0_17block_load_methodE3ELS4_3ELS4_3ELNS0_20block_scan_algorithmE0ELj4294967295EEENS1_25partition_config_selectorILNS1_17partition_subalgoE3EjNS0_10empty_typeEbEEZZNS1_14partition_implILS8_3ELb0ES6_jNS0_17counting_iteratorIjlEEPS9_SE_NS0_5tupleIJPjSE_EEENSF_IJSE_SE_EEES9_SG_JZNS1_25segmented_radix_sort_implINS0_14default_configELb0EPK12hip_bfloat16PSL_PKlPlN2at6native12_GLOBAL__N_18offset_tEEE10hipError_tPvRmT1_PNSt15iterator_traitsISZ_E10value_typeET2_T3_PNS10_IS15_E10value_typeET4_jRbjT5_S1B_jjP12ihipStream_tbEUljE_EEESW_SX_SY_S15_S19_S1B_T6_T7_T9_mT8_S1D_bDpT10_ENKUlT_T0_E_clISt17integral_constantIbLb1EES1Q_EEDaS1L_S1M_EUlS1L_E_NS1_11comp_targetILNS1_3genE4ELNS1_11target_archE910ELNS1_3gpuE8ELNS1_3repE0EEENS1_30default_config_static_selectorELNS0_4arch9wavefront6targetE1EEEvSZ_: ; @_ZN7rocprim17ROCPRIM_400000_NS6detail17trampoline_kernelINS0_13select_configILj256ELj13ELNS0_17block_load_methodE3ELS4_3ELS4_3ELNS0_20block_scan_algorithmE0ELj4294967295EEENS1_25partition_config_selectorILNS1_17partition_subalgoE3EjNS0_10empty_typeEbEEZZNS1_14partition_implILS8_3ELb0ES6_jNS0_17counting_iteratorIjlEEPS9_SE_NS0_5tupleIJPjSE_EEENSF_IJSE_SE_EEES9_SG_JZNS1_25segmented_radix_sort_implINS0_14default_configELb0EPK12hip_bfloat16PSL_PKlPlN2at6native12_GLOBAL__N_18offset_tEEE10hipError_tPvRmT1_PNSt15iterator_traitsISZ_E10value_typeET2_T3_PNS10_IS15_E10value_typeET4_jRbjT5_S1B_jjP12ihipStream_tbEUljE_EEESW_SX_SY_S15_S19_S1B_T6_T7_T9_mT8_S1D_bDpT10_ENKUlT_T0_E_clISt17integral_constantIbLb1EES1Q_EEDaS1L_S1M_EUlS1L_E_NS1_11comp_targetILNS1_3genE4ELNS1_11target_archE910ELNS1_3gpuE8ELNS1_3repE0EEENS1_30default_config_static_selectorELNS0_4arch9wavefront6targetE1EEEvSZ_
; %bb.0:
	.section	.rodata,"a",@progbits
	.p2align	6, 0x0
	.amdhsa_kernel _ZN7rocprim17ROCPRIM_400000_NS6detail17trampoline_kernelINS0_13select_configILj256ELj13ELNS0_17block_load_methodE3ELS4_3ELS4_3ELNS0_20block_scan_algorithmE0ELj4294967295EEENS1_25partition_config_selectorILNS1_17partition_subalgoE3EjNS0_10empty_typeEbEEZZNS1_14partition_implILS8_3ELb0ES6_jNS0_17counting_iteratorIjlEEPS9_SE_NS0_5tupleIJPjSE_EEENSF_IJSE_SE_EEES9_SG_JZNS1_25segmented_radix_sort_implINS0_14default_configELb0EPK12hip_bfloat16PSL_PKlPlN2at6native12_GLOBAL__N_18offset_tEEE10hipError_tPvRmT1_PNSt15iterator_traitsISZ_E10value_typeET2_T3_PNS10_IS15_E10value_typeET4_jRbjT5_S1B_jjP12ihipStream_tbEUljE_EEESW_SX_SY_S15_S19_S1B_T6_T7_T9_mT8_S1D_bDpT10_ENKUlT_T0_E_clISt17integral_constantIbLb1EES1Q_EEDaS1L_S1M_EUlS1L_E_NS1_11comp_targetILNS1_3genE4ELNS1_11target_archE910ELNS1_3gpuE8ELNS1_3repE0EEENS1_30default_config_static_selectorELNS0_4arch9wavefront6targetE1EEEvSZ_
		.amdhsa_group_segment_fixed_size 0
		.amdhsa_private_segment_fixed_size 0
		.amdhsa_kernarg_size 152
		.amdhsa_user_sgpr_count 6
		.amdhsa_user_sgpr_private_segment_buffer 1
		.amdhsa_user_sgpr_dispatch_ptr 0
		.amdhsa_user_sgpr_queue_ptr 0
		.amdhsa_user_sgpr_kernarg_segment_ptr 1
		.amdhsa_user_sgpr_dispatch_id 0
		.amdhsa_user_sgpr_flat_scratch_init 0
		.amdhsa_user_sgpr_private_segment_size 0
		.amdhsa_uses_dynamic_stack 0
		.amdhsa_system_sgpr_private_segment_wavefront_offset 0
		.amdhsa_system_sgpr_workgroup_id_x 1
		.amdhsa_system_sgpr_workgroup_id_y 0
		.amdhsa_system_sgpr_workgroup_id_z 0
		.amdhsa_system_sgpr_workgroup_info 0
		.amdhsa_system_vgpr_workitem_id 0
		.amdhsa_next_free_vgpr 1
		.amdhsa_next_free_sgpr 0
		.amdhsa_reserve_vcc 0
		.amdhsa_reserve_flat_scratch 0
		.amdhsa_float_round_mode_32 0
		.amdhsa_float_round_mode_16_64 0
		.amdhsa_float_denorm_mode_32 3
		.amdhsa_float_denorm_mode_16_64 3
		.amdhsa_dx10_clamp 1
		.amdhsa_ieee_mode 1
		.amdhsa_fp16_overflow 0
		.amdhsa_exception_fp_ieee_invalid_op 0
		.amdhsa_exception_fp_denorm_src 0
		.amdhsa_exception_fp_ieee_div_zero 0
		.amdhsa_exception_fp_ieee_overflow 0
		.amdhsa_exception_fp_ieee_underflow 0
		.amdhsa_exception_fp_ieee_inexact 0
		.amdhsa_exception_int_div_zero 0
	.end_amdhsa_kernel
	.section	.text._ZN7rocprim17ROCPRIM_400000_NS6detail17trampoline_kernelINS0_13select_configILj256ELj13ELNS0_17block_load_methodE3ELS4_3ELS4_3ELNS0_20block_scan_algorithmE0ELj4294967295EEENS1_25partition_config_selectorILNS1_17partition_subalgoE3EjNS0_10empty_typeEbEEZZNS1_14partition_implILS8_3ELb0ES6_jNS0_17counting_iteratorIjlEEPS9_SE_NS0_5tupleIJPjSE_EEENSF_IJSE_SE_EEES9_SG_JZNS1_25segmented_radix_sort_implINS0_14default_configELb0EPK12hip_bfloat16PSL_PKlPlN2at6native12_GLOBAL__N_18offset_tEEE10hipError_tPvRmT1_PNSt15iterator_traitsISZ_E10value_typeET2_T3_PNS10_IS15_E10value_typeET4_jRbjT5_S1B_jjP12ihipStream_tbEUljE_EEESW_SX_SY_S15_S19_S1B_T6_T7_T9_mT8_S1D_bDpT10_ENKUlT_T0_E_clISt17integral_constantIbLb1EES1Q_EEDaS1L_S1M_EUlS1L_E_NS1_11comp_targetILNS1_3genE4ELNS1_11target_archE910ELNS1_3gpuE8ELNS1_3repE0EEENS1_30default_config_static_selectorELNS0_4arch9wavefront6targetE1EEEvSZ_,"axG",@progbits,_ZN7rocprim17ROCPRIM_400000_NS6detail17trampoline_kernelINS0_13select_configILj256ELj13ELNS0_17block_load_methodE3ELS4_3ELS4_3ELNS0_20block_scan_algorithmE0ELj4294967295EEENS1_25partition_config_selectorILNS1_17partition_subalgoE3EjNS0_10empty_typeEbEEZZNS1_14partition_implILS8_3ELb0ES6_jNS0_17counting_iteratorIjlEEPS9_SE_NS0_5tupleIJPjSE_EEENSF_IJSE_SE_EEES9_SG_JZNS1_25segmented_radix_sort_implINS0_14default_configELb0EPK12hip_bfloat16PSL_PKlPlN2at6native12_GLOBAL__N_18offset_tEEE10hipError_tPvRmT1_PNSt15iterator_traitsISZ_E10value_typeET2_T3_PNS10_IS15_E10value_typeET4_jRbjT5_S1B_jjP12ihipStream_tbEUljE_EEESW_SX_SY_S15_S19_S1B_T6_T7_T9_mT8_S1D_bDpT10_ENKUlT_T0_E_clISt17integral_constantIbLb1EES1Q_EEDaS1L_S1M_EUlS1L_E_NS1_11comp_targetILNS1_3genE4ELNS1_11target_archE910ELNS1_3gpuE8ELNS1_3repE0EEENS1_30default_config_static_selectorELNS0_4arch9wavefront6targetE1EEEvSZ_,comdat
.Lfunc_end2027:
	.size	_ZN7rocprim17ROCPRIM_400000_NS6detail17trampoline_kernelINS0_13select_configILj256ELj13ELNS0_17block_load_methodE3ELS4_3ELS4_3ELNS0_20block_scan_algorithmE0ELj4294967295EEENS1_25partition_config_selectorILNS1_17partition_subalgoE3EjNS0_10empty_typeEbEEZZNS1_14partition_implILS8_3ELb0ES6_jNS0_17counting_iteratorIjlEEPS9_SE_NS0_5tupleIJPjSE_EEENSF_IJSE_SE_EEES9_SG_JZNS1_25segmented_radix_sort_implINS0_14default_configELb0EPK12hip_bfloat16PSL_PKlPlN2at6native12_GLOBAL__N_18offset_tEEE10hipError_tPvRmT1_PNSt15iterator_traitsISZ_E10value_typeET2_T3_PNS10_IS15_E10value_typeET4_jRbjT5_S1B_jjP12ihipStream_tbEUljE_EEESW_SX_SY_S15_S19_S1B_T6_T7_T9_mT8_S1D_bDpT10_ENKUlT_T0_E_clISt17integral_constantIbLb1EES1Q_EEDaS1L_S1M_EUlS1L_E_NS1_11comp_targetILNS1_3genE4ELNS1_11target_archE910ELNS1_3gpuE8ELNS1_3repE0EEENS1_30default_config_static_selectorELNS0_4arch9wavefront6targetE1EEEvSZ_, .Lfunc_end2027-_ZN7rocprim17ROCPRIM_400000_NS6detail17trampoline_kernelINS0_13select_configILj256ELj13ELNS0_17block_load_methodE3ELS4_3ELS4_3ELNS0_20block_scan_algorithmE0ELj4294967295EEENS1_25partition_config_selectorILNS1_17partition_subalgoE3EjNS0_10empty_typeEbEEZZNS1_14partition_implILS8_3ELb0ES6_jNS0_17counting_iteratorIjlEEPS9_SE_NS0_5tupleIJPjSE_EEENSF_IJSE_SE_EEES9_SG_JZNS1_25segmented_radix_sort_implINS0_14default_configELb0EPK12hip_bfloat16PSL_PKlPlN2at6native12_GLOBAL__N_18offset_tEEE10hipError_tPvRmT1_PNSt15iterator_traitsISZ_E10value_typeET2_T3_PNS10_IS15_E10value_typeET4_jRbjT5_S1B_jjP12ihipStream_tbEUljE_EEESW_SX_SY_S15_S19_S1B_T6_T7_T9_mT8_S1D_bDpT10_ENKUlT_T0_E_clISt17integral_constantIbLb1EES1Q_EEDaS1L_S1M_EUlS1L_E_NS1_11comp_targetILNS1_3genE4ELNS1_11target_archE910ELNS1_3gpuE8ELNS1_3repE0EEENS1_30default_config_static_selectorELNS0_4arch9wavefront6targetE1EEEvSZ_
                                        ; -- End function
	.set _ZN7rocprim17ROCPRIM_400000_NS6detail17trampoline_kernelINS0_13select_configILj256ELj13ELNS0_17block_load_methodE3ELS4_3ELS4_3ELNS0_20block_scan_algorithmE0ELj4294967295EEENS1_25partition_config_selectorILNS1_17partition_subalgoE3EjNS0_10empty_typeEbEEZZNS1_14partition_implILS8_3ELb0ES6_jNS0_17counting_iteratorIjlEEPS9_SE_NS0_5tupleIJPjSE_EEENSF_IJSE_SE_EEES9_SG_JZNS1_25segmented_radix_sort_implINS0_14default_configELb0EPK12hip_bfloat16PSL_PKlPlN2at6native12_GLOBAL__N_18offset_tEEE10hipError_tPvRmT1_PNSt15iterator_traitsISZ_E10value_typeET2_T3_PNS10_IS15_E10value_typeET4_jRbjT5_S1B_jjP12ihipStream_tbEUljE_EEESW_SX_SY_S15_S19_S1B_T6_T7_T9_mT8_S1D_bDpT10_ENKUlT_T0_E_clISt17integral_constantIbLb1EES1Q_EEDaS1L_S1M_EUlS1L_E_NS1_11comp_targetILNS1_3genE4ELNS1_11target_archE910ELNS1_3gpuE8ELNS1_3repE0EEENS1_30default_config_static_selectorELNS0_4arch9wavefront6targetE1EEEvSZ_.num_vgpr, 0
	.set _ZN7rocprim17ROCPRIM_400000_NS6detail17trampoline_kernelINS0_13select_configILj256ELj13ELNS0_17block_load_methodE3ELS4_3ELS4_3ELNS0_20block_scan_algorithmE0ELj4294967295EEENS1_25partition_config_selectorILNS1_17partition_subalgoE3EjNS0_10empty_typeEbEEZZNS1_14partition_implILS8_3ELb0ES6_jNS0_17counting_iteratorIjlEEPS9_SE_NS0_5tupleIJPjSE_EEENSF_IJSE_SE_EEES9_SG_JZNS1_25segmented_radix_sort_implINS0_14default_configELb0EPK12hip_bfloat16PSL_PKlPlN2at6native12_GLOBAL__N_18offset_tEEE10hipError_tPvRmT1_PNSt15iterator_traitsISZ_E10value_typeET2_T3_PNS10_IS15_E10value_typeET4_jRbjT5_S1B_jjP12ihipStream_tbEUljE_EEESW_SX_SY_S15_S19_S1B_T6_T7_T9_mT8_S1D_bDpT10_ENKUlT_T0_E_clISt17integral_constantIbLb1EES1Q_EEDaS1L_S1M_EUlS1L_E_NS1_11comp_targetILNS1_3genE4ELNS1_11target_archE910ELNS1_3gpuE8ELNS1_3repE0EEENS1_30default_config_static_selectorELNS0_4arch9wavefront6targetE1EEEvSZ_.num_agpr, 0
	.set _ZN7rocprim17ROCPRIM_400000_NS6detail17trampoline_kernelINS0_13select_configILj256ELj13ELNS0_17block_load_methodE3ELS4_3ELS4_3ELNS0_20block_scan_algorithmE0ELj4294967295EEENS1_25partition_config_selectorILNS1_17partition_subalgoE3EjNS0_10empty_typeEbEEZZNS1_14partition_implILS8_3ELb0ES6_jNS0_17counting_iteratorIjlEEPS9_SE_NS0_5tupleIJPjSE_EEENSF_IJSE_SE_EEES9_SG_JZNS1_25segmented_radix_sort_implINS0_14default_configELb0EPK12hip_bfloat16PSL_PKlPlN2at6native12_GLOBAL__N_18offset_tEEE10hipError_tPvRmT1_PNSt15iterator_traitsISZ_E10value_typeET2_T3_PNS10_IS15_E10value_typeET4_jRbjT5_S1B_jjP12ihipStream_tbEUljE_EEESW_SX_SY_S15_S19_S1B_T6_T7_T9_mT8_S1D_bDpT10_ENKUlT_T0_E_clISt17integral_constantIbLb1EES1Q_EEDaS1L_S1M_EUlS1L_E_NS1_11comp_targetILNS1_3genE4ELNS1_11target_archE910ELNS1_3gpuE8ELNS1_3repE0EEENS1_30default_config_static_selectorELNS0_4arch9wavefront6targetE1EEEvSZ_.numbered_sgpr, 0
	.set _ZN7rocprim17ROCPRIM_400000_NS6detail17trampoline_kernelINS0_13select_configILj256ELj13ELNS0_17block_load_methodE3ELS4_3ELS4_3ELNS0_20block_scan_algorithmE0ELj4294967295EEENS1_25partition_config_selectorILNS1_17partition_subalgoE3EjNS0_10empty_typeEbEEZZNS1_14partition_implILS8_3ELb0ES6_jNS0_17counting_iteratorIjlEEPS9_SE_NS0_5tupleIJPjSE_EEENSF_IJSE_SE_EEES9_SG_JZNS1_25segmented_radix_sort_implINS0_14default_configELb0EPK12hip_bfloat16PSL_PKlPlN2at6native12_GLOBAL__N_18offset_tEEE10hipError_tPvRmT1_PNSt15iterator_traitsISZ_E10value_typeET2_T3_PNS10_IS15_E10value_typeET4_jRbjT5_S1B_jjP12ihipStream_tbEUljE_EEESW_SX_SY_S15_S19_S1B_T6_T7_T9_mT8_S1D_bDpT10_ENKUlT_T0_E_clISt17integral_constantIbLb1EES1Q_EEDaS1L_S1M_EUlS1L_E_NS1_11comp_targetILNS1_3genE4ELNS1_11target_archE910ELNS1_3gpuE8ELNS1_3repE0EEENS1_30default_config_static_selectorELNS0_4arch9wavefront6targetE1EEEvSZ_.num_named_barrier, 0
	.set _ZN7rocprim17ROCPRIM_400000_NS6detail17trampoline_kernelINS0_13select_configILj256ELj13ELNS0_17block_load_methodE3ELS4_3ELS4_3ELNS0_20block_scan_algorithmE0ELj4294967295EEENS1_25partition_config_selectorILNS1_17partition_subalgoE3EjNS0_10empty_typeEbEEZZNS1_14partition_implILS8_3ELb0ES6_jNS0_17counting_iteratorIjlEEPS9_SE_NS0_5tupleIJPjSE_EEENSF_IJSE_SE_EEES9_SG_JZNS1_25segmented_radix_sort_implINS0_14default_configELb0EPK12hip_bfloat16PSL_PKlPlN2at6native12_GLOBAL__N_18offset_tEEE10hipError_tPvRmT1_PNSt15iterator_traitsISZ_E10value_typeET2_T3_PNS10_IS15_E10value_typeET4_jRbjT5_S1B_jjP12ihipStream_tbEUljE_EEESW_SX_SY_S15_S19_S1B_T6_T7_T9_mT8_S1D_bDpT10_ENKUlT_T0_E_clISt17integral_constantIbLb1EES1Q_EEDaS1L_S1M_EUlS1L_E_NS1_11comp_targetILNS1_3genE4ELNS1_11target_archE910ELNS1_3gpuE8ELNS1_3repE0EEENS1_30default_config_static_selectorELNS0_4arch9wavefront6targetE1EEEvSZ_.private_seg_size, 0
	.set _ZN7rocprim17ROCPRIM_400000_NS6detail17trampoline_kernelINS0_13select_configILj256ELj13ELNS0_17block_load_methodE3ELS4_3ELS4_3ELNS0_20block_scan_algorithmE0ELj4294967295EEENS1_25partition_config_selectorILNS1_17partition_subalgoE3EjNS0_10empty_typeEbEEZZNS1_14partition_implILS8_3ELb0ES6_jNS0_17counting_iteratorIjlEEPS9_SE_NS0_5tupleIJPjSE_EEENSF_IJSE_SE_EEES9_SG_JZNS1_25segmented_radix_sort_implINS0_14default_configELb0EPK12hip_bfloat16PSL_PKlPlN2at6native12_GLOBAL__N_18offset_tEEE10hipError_tPvRmT1_PNSt15iterator_traitsISZ_E10value_typeET2_T3_PNS10_IS15_E10value_typeET4_jRbjT5_S1B_jjP12ihipStream_tbEUljE_EEESW_SX_SY_S15_S19_S1B_T6_T7_T9_mT8_S1D_bDpT10_ENKUlT_T0_E_clISt17integral_constantIbLb1EES1Q_EEDaS1L_S1M_EUlS1L_E_NS1_11comp_targetILNS1_3genE4ELNS1_11target_archE910ELNS1_3gpuE8ELNS1_3repE0EEENS1_30default_config_static_selectorELNS0_4arch9wavefront6targetE1EEEvSZ_.uses_vcc, 0
	.set _ZN7rocprim17ROCPRIM_400000_NS6detail17trampoline_kernelINS0_13select_configILj256ELj13ELNS0_17block_load_methodE3ELS4_3ELS4_3ELNS0_20block_scan_algorithmE0ELj4294967295EEENS1_25partition_config_selectorILNS1_17partition_subalgoE3EjNS0_10empty_typeEbEEZZNS1_14partition_implILS8_3ELb0ES6_jNS0_17counting_iteratorIjlEEPS9_SE_NS0_5tupleIJPjSE_EEENSF_IJSE_SE_EEES9_SG_JZNS1_25segmented_radix_sort_implINS0_14default_configELb0EPK12hip_bfloat16PSL_PKlPlN2at6native12_GLOBAL__N_18offset_tEEE10hipError_tPvRmT1_PNSt15iterator_traitsISZ_E10value_typeET2_T3_PNS10_IS15_E10value_typeET4_jRbjT5_S1B_jjP12ihipStream_tbEUljE_EEESW_SX_SY_S15_S19_S1B_T6_T7_T9_mT8_S1D_bDpT10_ENKUlT_T0_E_clISt17integral_constantIbLb1EES1Q_EEDaS1L_S1M_EUlS1L_E_NS1_11comp_targetILNS1_3genE4ELNS1_11target_archE910ELNS1_3gpuE8ELNS1_3repE0EEENS1_30default_config_static_selectorELNS0_4arch9wavefront6targetE1EEEvSZ_.uses_flat_scratch, 0
	.set _ZN7rocprim17ROCPRIM_400000_NS6detail17trampoline_kernelINS0_13select_configILj256ELj13ELNS0_17block_load_methodE3ELS4_3ELS4_3ELNS0_20block_scan_algorithmE0ELj4294967295EEENS1_25partition_config_selectorILNS1_17partition_subalgoE3EjNS0_10empty_typeEbEEZZNS1_14partition_implILS8_3ELb0ES6_jNS0_17counting_iteratorIjlEEPS9_SE_NS0_5tupleIJPjSE_EEENSF_IJSE_SE_EEES9_SG_JZNS1_25segmented_radix_sort_implINS0_14default_configELb0EPK12hip_bfloat16PSL_PKlPlN2at6native12_GLOBAL__N_18offset_tEEE10hipError_tPvRmT1_PNSt15iterator_traitsISZ_E10value_typeET2_T3_PNS10_IS15_E10value_typeET4_jRbjT5_S1B_jjP12ihipStream_tbEUljE_EEESW_SX_SY_S15_S19_S1B_T6_T7_T9_mT8_S1D_bDpT10_ENKUlT_T0_E_clISt17integral_constantIbLb1EES1Q_EEDaS1L_S1M_EUlS1L_E_NS1_11comp_targetILNS1_3genE4ELNS1_11target_archE910ELNS1_3gpuE8ELNS1_3repE0EEENS1_30default_config_static_selectorELNS0_4arch9wavefront6targetE1EEEvSZ_.has_dyn_sized_stack, 0
	.set _ZN7rocprim17ROCPRIM_400000_NS6detail17trampoline_kernelINS0_13select_configILj256ELj13ELNS0_17block_load_methodE3ELS4_3ELS4_3ELNS0_20block_scan_algorithmE0ELj4294967295EEENS1_25partition_config_selectorILNS1_17partition_subalgoE3EjNS0_10empty_typeEbEEZZNS1_14partition_implILS8_3ELb0ES6_jNS0_17counting_iteratorIjlEEPS9_SE_NS0_5tupleIJPjSE_EEENSF_IJSE_SE_EEES9_SG_JZNS1_25segmented_radix_sort_implINS0_14default_configELb0EPK12hip_bfloat16PSL_PKlPlN2at6native12_GLOBAL__N_18offset_tEEE10hipError_tPvRmT1_PNSt15iterator_traitsISZ_E10value_typeET2_T3_PNS10_IS15_E10value_typeET4_jRbjT5_S1B_jjP12ihipStream_tbEUljE_EEESW_SX_SY_S15_S19_S1B_T6_T7_T9_mT8_S1D_bDpT10_ENKUlT_T0_E_clISt17integral_constantIbLb1EES1Q_EEDaS1L_S1M_EUlS1L_E_NS1_11comp_targetILNS1_3genE4ELNS1_11target_archE910ELNS1_3gpuE8ELNS1_3repE0EEENS1_30default_config_static_selectorELNS0_4arch9wavefront6targetE1EEEvSZ_.has_recursion, 0
	.set _ZN7rocprim17ROCPRIM_400000_NS6detail17trampoline_kernelINS0_13select_configILj256ELj13ELNS0_17block_load_methodE3ELS4_3ELS4_3ELNS0_20block_scan_algorithmE0ELj4294967295EEENS1_25partition_config_selectorILNS1_17partition_subalgoE3EjNS0_10empty_typeEbEEZZNS1_14partition_implILS8_3ELb0ES6_jNS0_17counting_iteratorIjlEEPS9_SE_NS0_5tupleIJPjSE_EEENSF_IJSE_SE_EEES9_SG_JZNS1_25segmented_radix_sort_implINS0_14default_configELb0EPK12hip_bfloat16PSL_PKlPlN2at6native12_GLOBAL__N_18offset_tEEE10hipError_tPvRmT1_PNSt15iterator_traitsISZ_E10value_typeET2_T3_PNS10_IS15_E10value_typeET4_jRbjT5_S1B_jjP12ihipStream_tbEUljE_EEESW_SX_SY_S15_S19_S1B_T6_T7_T9_mT8_S1D_bDpT10_ENKUlT_T0_E_clISt17integral_constantIbLb1EES1Q_EEDaS1L_S1M_EUlS1L_E_NS1_11comp_targetILNS1_3genE4ELNS1_11target_archE910ELNS1_3gpuE8ELNS1_3repE0EEENS1_30default_config_static_selectorELNS0_4arch9wavefront6targetE1EEEvSZ_.has_indirect_call, 0
	.section	.AMDGPU.csdata,"",@progbits
; Kernel info:
; codeLenInByte = 0
; TotalNumSgprs: 4
; NumVgprs: 0
; ScratchSize: 0
; MemoryBound: 0
; FloatMode: 240
; IeeeMode: 1
; LDSByteSize: 0 bytes/workgroup (compile time only)
; SGPRBlocks: 0
; VGPRBlocks: 0
; NumSGPRsForWavesPerEU: 4
; NumVGPRsForWavesPerEU: 1
; Occupancy: 10
; WaveLimiterHint : 0
; COMPUTE_PGM_RSRC2:SCRATCH_EN: 0
; COMPUTE_PGM_RSRC2:USER_SGPR: 6
; COMPUTE_PGM_RSRC2:TRAP_HANDLER: 0
; COMPUTE_PGM_RSRC2:TGID_X_EN: 1
; COMPUTE_PGM_RSRC2:TGID_Y_EN: 0
; COMPUTE_PGM_RSRC2:TGID_Z_EN: 0
; COMPUTE_PGM_RSRC2:TIDIG_COMP_CNT: 0
	.section	.text._ZN7rocprim17ROCPRIM_400000_NS6detail17trampoline_kernelINS0_13select_configILj256ELj13ELNS0_17block_load_methodE3ELS4_3ELS4_3ELNS0_20block_scan_algorithmE0ELj4294967295EEENS1_25partition_config_selectorILNS1_17partition_subalgoE3EjNS0_10empty_typeEbEEZZNS1_14partition_implILS8_3ELb0ES6_jNS0_17counting_iteratorIjlEEPS9_SE_NS0_5tupleIJPjSE_EEENSF_IJSE_SE_EEES9_SG_JZNS1_25segmented_radix_sort_implINS0_14default_configELb0EPK12hip_bfloat16PSL_PKlPlN2at6native12_GLOBAL__N_18offset_tEEE10hipError_tPvRmT1_PNSt15iterator_traitsISZ_E10value_typeET2_T3_PNS10_IS15_E10value_typeET4_jRbjT5_S1B_jjP12ihipStream_tbEUljE_EEESW_SX_SY_S15_S19_S1B_T6_T7_T9_mT8_S1D_bDpT10_ENKUlT_T0_E_clISt17integral_constantIbLb1EES1Q_EEDaS1L_S1M_EUlS1L_E_NS1_11comp_targetILNS1_3genE3ELNS1_11target_archE908ELNS1_3gpuE7ELNS1_3repE0EEENS1_30default_config_static_selectorELNS0_4arch9wavefront6targetE1EEEvSZ_,"axG",@progbits,_ZN7rocprim17ROCPRIM_400000_NS6detail17trampoline_kernelINS0_13select_configILj256ELj13ELNS0_17block_load_methodE3ELS4_3ELS4_3ELNS0_20block_scan_algorithmE0ELj4294967295EEENS1_25partition_config_selectorILNS1_17partition_subalgoE3EjNS0_10empty_typeEbEEZZNS1_14partition_implILS8_3ELb0ES6_jNS0_17counting_iteratorIjlEEPS9_SE_NS0_5tupleIJPjSE_EEENSF_IJSE_SE_EEES9_SG_JZNS1_25segmented_radix_sort_implINS0_14default_configELb0EPK12hip_bfloat16PSL_PKlPlN2at6native12_GLOBAL__N_18offset_tEEE10hipError_tPvRmT1_PNSt15iterator_traitsISZ_E10value_typeET2_T3_PNS10_IS15_E10value_typeET4_jRbjT5_S1B_jjP12ihipStream_tbEUljE_EEESW_SX_SY_S15_S19_S1B_T6_T7_T9_mT8_S1D_bDpT10_ENKUlT_T0_E_clISt17integral_constantIbLb1EES1Q_EEDaS1L_S1M_EUlS1L_E_NS1_11comp_targetILNS1_3genE3ELNS1_11target_archE908ELNS1_3gpuE7ELNS1_3repE0EEENS1_30default_config_static_selectorELNS0_4arch9wavefront6targetE1EEEvSZ_,comdat
	.globl	_ZN7rocprim17ROCPRIM_400000_NS6detail17trampoline_kernelINS0_13select_configILj256ELj13ELNS0_17block_load_methodE3ELS4_3ELS4_3ELNS0_20block_scan_algorithmE0ELj4294967295EEENS1_25partition_config_selectorILNS1_17partition_subalgoE3EjNS0_10empty_typeEbEEZZNS1_14partition_implILS8_3ELb0ES6_jNS0_17counting_iteratorIjlEEPS9_SE_NS0_5tupleIJPjSE_EEENSF_IJSE_SE_EEES9_SG_JZNS1_25segmented_radix_sort_implINS0_14default_configELb0EPK12hip_bfloat16PSL_PKlPlN2at6native12_GLOBAL__N_18offset_tEEE10hipError_tPvRmT1_PNSt15iterator_traitsISZ_E10value_typeET2_T3_PNS10_IS15_E10value_typeET4_jRbjT5_S1B_jjP12ihipStream_tbEUljE_EEESW_SX_SY_S15_S19_S1B_T6_T7_T9_mT8_S1D_bDpT10_ENKUlT_T0_E_clISt17integral_constantIbLb1EES1Q_EEDaS1L_S1M_EUlS1L_E_NS1_11comp_targetILNS1_3genE3ELNS1_11target_archE908ELNS1_3gpuE7ELNS1_3repE0EEENS1_30default_config_static_selectorELNS0_4arch9wavefront6targetE1EEEvSZ_ ; -- Begin function _ZN7rocprim17ROCPRIM_400000_NS6detail17trampoline_kernelINS0_13select_configILj256ELj13ELNS0_17block_load_methodE3ELS4_3ELS4_3ELNS0_20block_scan_algorithmE0ELj4294967295EEENS1_25partition_config_selectorILNS1_17partition_subalgoE3EjNS0_10empty_typeEbEEZZNS1_14partition_implILS8_3ELb0ES6_jNS0_17counting_iteratorIjlEEPS9_SE_NS0_5tupleIJPjSE_EEENSF_IJSE_SE_EEES9_SG_JZNS1_25segmented_radix_sort_implINS0_14default_configELb0EPK12hip_bfloat16PSL_PKlPlN2at6native12_GLOBAL__N_18offset_tEEE10hipError_tPvRmT1_PNSt15iterator_traitsISZ_E10value_typeET2_T3_PNS10_IS15_E10value_typeET4_jRbjT5_S1B_jjP12ihipStream_tbEUljE_EEESW_SX_SY_S15_S19_S1B_T6_T7_T9_mT8_S1D_bDpT10_ENKUlT_T0_E_clISt17integral_constantIbLb1EES1Q_EEDaS1L_S1M_EUlS1L_E_NS1_11comp_targetILNS1_3genE3ELNS1_11target_archE908ELNS1_3gpuE7ELNS1_3repE0EEENS1_30default_config_static_selectorELNS0_4arch9wavefront6targetE1EEEvSZ_
	.p2align	8
	.type	_ZN7rocprim17ROCPRIM_400000_NS6detail17trampoline_kernelINS0_13select_configILj256ELj13ELNS0_17block_load_methodE3ELS4_3ELS4_3ELNS0_20block_scan_algorithmE0ELj4294967295EEENS1_25partition_config_selectorILNS1_17partition_subalgoE3EjNS0_10empty_typeEbEEZZNS1_14partition_implILS8_3ELb0ES6_jNS0_17counting_iteratorIjlEEPS9_SE_NS0_5tupleIJPjSE_EEENSF_IJSE_SE_EEES9_SG_JZNS1_25segmented_radix_sort_implINS0_14default_configELb0EPK12hip_bfloat16PSL_PKlPlN2at6native12_GLOBAL__N_18offset_tEEE10hipError_tPvRmT1_PNSt15iterator_traitsISZ_E10value_typeET2_T3_PNS10_IS15_E10value_typeET4_jRbjT5_S1B_jjP12ihipStream_tbEUljE_EEESW_SX_SY_S15_S19_S1B_T6_T7_T9_mT8_S1D_bDpT10_ENKUlT_T0_E_clISt17integral_constantIbLb1EES1Q_EEDaS1L_S1M_EUlS1L_E_NS1_11comp_targetILNS1_3genE3ELNS1_11target_archE908ELNS1_3gpuE7ELNS1_3repE0EEENS1_30default_config_static_selectorELNS0_4arch9wavefront6targetE1EEEvSZ_,@function
_ZN7rocprim17ROCPRIM_400000_NS6detail17trampoline_kernelINS0_13select_configILj256ELj13ELNS0_17block_load_methodE3ELS4_3ELS4_3ELNS0_20block_scan_algorithmE0ELj4294967295EEENS1_25partition_config_selectorILNS1_17partition_subalgoE3EjNS0_10empty_typeEbEEZZNS1_14partition_implILS8_3ELb0ES6_jNS0_17counting_iteratorIjlEEPS9_SE_NS0_5tupleIJPjSE_EEENSF_IJSE_SE_EEES9_SG_JZNS1_25segmented_radix_sort_implINS0_14default_configELb0EPK12hip_bfloat16PSL_PKlPlN2at6native12_GLOBAL__N_18offset_tEEE10hipError_tPvRmT1_PNSt15iterator_traitsISZ_E10value_typeET2_T3_PNS10_IS15_E10value_typeET4_jRbjT5_S1B_jjP12ihipStream_tbEUljE_EEESW_SX_SY_S15_S19_S1B_T6_T7_T9_mT8_S1D_bDpT10_ENKUlT_T0_E_clISt17integral_constantIbLb1EES1Q_EEDaS1L_S1M_EUlS1L_E_NS1_11comp_targetILNS1_3genE3ELNS1_11target_archE908ELNS1_3gpuE7ELNS1_3repE0EEENS1_30default_config_static_selectorELNS0_4arch9wavefront6targetE1EEEvSZ_: ; @_ZN7rocprim17ROCPRIM_400000_NS6detail17trampoline_kernelINS0_13select_configILj256ELj13ELNS0_17block_load_methodE3ELS4_3ELS4_3ELNS0_20block_scan_algorithmE0ELj4294967295EEENS1_25partition_config_selectorILNS1_17partition_subalgoE3EjNS0_10empty_typeEbEEZZNS1_14partition_implILS8_3ELb0ES6_jNS0_17counting_iteratorIjlEEPS9_SE_NS0_5tupleIJPjSE_EEENSF_IJSE_SE_EEES9_SG_JZNS1_25segmented_radix_sort_implINS0_14default_configELb0EPK12hip_bfloat16PSL_PKlPlN2at6native12_GLOBAL__N_18offset_tEEE10hipError_tPvRmT1_PNSt15iterator_traitsISZ_E10value_typeET2_T3_PNS10_IS15_E10value_typeET4_jRbjT5_S1B_jjP12ihipStream_tbEUljE_EEESW_SX_SY_S15_S19_S1B_T6_T7_T9_mT8_S1D_bDpT10_ENKUlT_T0_E_clISt17integral_constantIbLb1EES1Q_EEDaS1L_S1M_EUlS1L_E_NS1_11comp_targetILNS1_3genE3ELNS1_11target_archE908ELNS1_3gpuE7ELNS1_3repE0EEENS1_30default_config_static_selectorELNS0_4arch9wavefront6targetE1EEEvSZ_
; %bb.0:
	.section	.rodata,"a",@progbits
	.p2align	6, 0x0
	.amdhsa_kernel _ZN7rocprim17ROCPRIM_400000_NS6detail17trampoline_kernelINS0_13select_configILj256ELj13ELNS0_17block_load_methodE3ELS4_3ELS4_3ELNS0_20block_scan_algorithmE0ELj4294967295EEENS1_25partition_config_selectorILNS1_17partition_subalgoE3EjNS0_10empty_typeEbEEZZNS1_14partition_implILS8_3ELb0ES6_jNS0_17counting_iteratorIjlEEPS9_SE_NS0_5tupleIJPjSE_EEENSF_IJSE_SE_EEES9_SG_JZNS1_25segmented_radix_sort_implINS0_14default_configELb0EPK12hip_bfloat16PSL_PKlPlN2at6native12_GLOBAL__N_18offset_tEEE10hipError_tPvRmT1_PNSt15iterator_traitsISZ_E10value_typeET2_T3_PNS10_IS15_E10value_typeET4_jRbjT5_S1B_jjP12ihipStream_tbEUljE_EEESW_SX_SY_S15_S19_S1B_T6_T7_T9_mT8_S1D_bDpT10_ENKUlT_T0_E_clISt17integral_constantIbLb1EES1Q_EEDaS1L_S1M_EUlS1L_E_NS1_11comp_targetILNS1_3genE3ELNS1_11target_archE908ELNS1_3gpuE7ELNS1_3repE0EEENS1_30default_config_static_selectorELNS0_4arch9wavefront6targetE1EEEvSZ_
		.amdhsa_group_segment_fixed_size 0
		.amdhsa_private_segment_fixed_size 0
		.amdhsa_kernarg_size 152
		.amdhsa_user_sgpr_count 6
		.amdhsa_user_sgpr_private_segment_buffer 1
		.amdhsa_user_sgpr_dispatch_ptr 0
		.amdhsa_user_sgpr_queue_ptr 0
		.amdhsa_user_sgpr_kernarg_segment_ptr 1
		.amdhsa_user_sgpr_dispatch_id 0
		.amdhsa_user_sgpr_flat_scratch_init 0
		.amdhsa_user_sgpr_private_segment_size 0
		.amdhsa_uses_dynamic_stack 0
		.amdhsa_system_sgpr_private_segment_wavefront_offset 0
		.amdhsa_system_sgpr_workgroup_id_x 1
		.amdhsa_system_sgpr_workgroup_id_y 0
		.amdhsa_system_sgpr_workgroup_id_z 0
		.amdhsa_system_sgpr_workgroup_info 0
		.amdhsa_system_vgpr_workitem_id 0
		.amdhsa_next_free_vgpr 1
		.amdhsa_next_free_sgpr 0
		.amdhsa_reserve_vcc 0
		.amdhsa_reserve_flat_scratch 0
		.amdhsa_float_round_mode_32 0
		.amdhsa_float_round_mode_16_64 0
		.amdhsa_float_denorm_mode_32 3
		.amdhsa_float_denorm_mode_16_64 3
		.amdhsa_dx10_clamp 1
		.amdhsa_ieee_mode 1
		.amdhsa_fp16_overflow 0
		.amdhsa_exception_fp_ieee_invalid_op 0
		.amdhsa_exception_fp_denorm_src 0
		.amdhsa_exception_fp_ieee_div_zero 0
		.amdhsa_exception_fp_ieee_overflow 0
		.amdhsa_exception_fp_ieee_underflow 0
		.amdhsa_exception_fp_ieee_inexact 0
		.amdhsa_exception_int_div_zero 0
	.end_amdhsa_kernel
	.section	.text._ZN7rocprim17ROCPRIM_400000_NS6detail17trampoline_kernelINS0_13select_configILj256ELj13ELNS0_17block_load_methodE3ELS4_3ELS4_3ELNS0_20block_scan_algorithmE0ELj4294967295EEENS1_25partition_config_selectorILNS1_17partition_subalgoE3EjNS0_10empty_typeEbEEZZNS1_14partition_implILS8_3ELb0ES6_jNS0_17counting_iteratorIjlEEPS9_SE_NS0_5tupleIJPjSE_EEENSF_IJSE_SE_EEES9_SG_JZNS1_25segmented_radix_sort_implINS0_14default_configELb0EPK12hip_bfloat16PSL_PKlPlN2at6native12_GLOBAL__N_18offset_tEEE10hipError_tPvRmT1_PNSt15iterator_traitsISZ_E10value_typeET2_T3_PNS10_IS15_E10value_typeET4_jRbjT5_S1B_jjP12ihipStream_tbEUljE_EEESW_SX_SY_S15_S19_S1B_T6_T7_T9_mT8_S1D_bDpT10_ENKUlT_T0_E_clISt17integral_constantIbLb1EES1Q_EEDaS1L_S1M_EUlS1L_E_NS1_11comp_targetILNS1_3genE3ELNS1_11target_archE908ELNS1_3gpuE7ELNS1_3repE0EEENS1_30default_config_static_selectorELNS0_4arch9wavefront6targetE1EEEvSZ_,"axG",@progbits,_ZN7rocprim17ROCPRIM_400000_NS6detail17trampoline_kernelINS0_13select_configILj256ELj13ELNS0_17block_load_methodE3ELS4_3ELS4_3ELNS0_20block_scan_algorithmE0ELj4294967295EEENS1_25partition_config_selectorILNS1_17partition_subalgoE3EjNS0_10empty_typeEbEEZZNS1_14partition_implILS8_3ELb0ES6_jNS0_17counting_iteratorIjlEEPS9_SE_NS0_5tupleIJPjSE_EEENSF_IJSE_SE_EEES9_SG_JZNS1_25segmented_radix_sort_implINS0_14default_configELb0EPK12hip_bfloat16PSL_PKlPlN2at6native12_GLOBAL__N_18offset_tEEE10hipError_tPvRmT1_PNSt15iterator_traitsISZ_E10value_typeET2_T3_PNS10_IS15_E10value_typeET4_jRbjT5_S1B_jjP12ihipStream_tbEUljE_EEESW_SX_SY_S15_S19_S1B_T6_T7_T9_mT8_S1D_bDpT10_ENKUlT_T0_E_clISt17integral_constantIbLb1EES1Q_EEDaS1L_S1M_EUlS1L_E_NS1_11comp_targetILNS1_3genE3ELNS1_11target_archE908ELNS1_3gpuE7ELNS1_3repE0EEENS1_30default_config_static_selectorELNS0_4arch9wavefront6targetE1EEEvSZ_,comdat
.Lfunc_end2028:
	.size	_ZN7rocprim17ROCPRIM_400000_NS6detail17trampoline_kernelINS0_13select_configILj256ELj13ELNS0_17block_load_methodE3ELS4_3ELS4_3ELNS0_20block_scan_algorithmE0ELj4294967295EEENS1_25partition_config_selectorILNS1_17partition_subalgoE3EjNS0_10empty_typeEbEEZZNS1_14partition_implILS8_3ELb0ES6_jNS0_17counting_iteratorIjlEEPS9_SE_NS0_5tupleIJPjSE_EEENSF_IJSE_SE_EEES9_SG_JZNS1_25segmented_radix_sort_implINS0_14default_configELb0EPK12hip_bfloat16PSL_PKlPlN2at6native12_GLOBAL__N_18offset_tEEE10hipError_tPvRmT1_PNSt15iterator_traitsISZ_E10value_typeET2_T3_PNS10_IS15_E10value_typeET4_jRbjT5_S1B_jjP12ihipStream_tbEUljE_EEESW_SX_SY_S15_S19_S1B_T6_T7_T9_mT8_S1D_bDpT10_ENKUlT_T0_E_clISt17integral_constantIbLb1EES1Q_EEDaS1L_S1M_EUlS1L_E_NS1_11comp_targetILNS1_3genE3ELNS1_11target_archE908ELNS1_3gpuE7ELNS1_3repE0EEENS1_30default_config_static_selectorELNS0_4arch9wavefront6targetE1EEEvSZ_, .Lfunc_end2028-_ZN7rocprim17ROCPRIM_400000_NS6detail17trampoline_kernelINS0_13select_configILj256ELj13ELNS0_17block_load_methodE3ELS4_3ELS4_3ELNS0_20block_scan_algorithmE0ELj4294967295EEENS1_25partition_config_selectorILNS1_17partition_subalgoE3EjNS0_10empty_typeEbEEZZNS1_14partition_implILS8_3ELb0ES6_jNS0_17counting_iteratorIjlEEPS9_SE_NS0_5tupleIJPjSE_EEENSF_IJSE_SE_EEES9_SG_JZNS1_25segmented_radix_sort_implINS0_14default_configELb0EPK12hip_bfloat16PSL_PKlPlN2at6native12_GLOBAL__N_18offset_tEEE10hipError_tPvRmT1_PNSt15iterator_traitsISZ_E10value_typeET2_T3_PNS10_IS15_E10value_typeET4_jRbjT5_S1B_jjP12ihipStream_tbEUljE_EEESW_SX_SY_S15_S19_S1B_T6_T7_T9_mT8_S1D_bDpT10_ENKUlT_T0_E_clISt17integral_constantIbLb1EES1Q_EEDaS1L_S1M_EUlS1L_E_NS1_11comp_targetILNS1_3genE3ELNS1_11target_archE908ELNS1_3gpuE7ELNS1_3repE0EEENS1_30default_config_static_selectorELNS0_4arch9wavefront6targetE1EEEvSZ_
                                        ; -- End function
	.set _ZN7rocprim17ROCPRIM_400000_NS6detail17trampoline_kernelINS0_13select_configILj256ELj13ELNS0_17block_load_methodE3ELS4_3ELS4_3ELNS0_20block_scan_algorithmE0ELj4294967295EEENS1_25partition_config_selectorILNS1_17partition_subalgoE3EjNS0_10empty_typeEbEEZZNS1_14partition_implILS8_3ELb0ES6_jNS0_17counting_iteratorIjlEEPS9_SE_NS0_5tupleIJPjSE_EEENSF_IJSE_SE_EEES9_SG_JZNS1_25segmented_radix_sort_implINS0_14default_configELb0EPK12hip_bfloat16PSL_PKlPlN2at6native12_GLOBAL__N_18offset_tEEE10hipError_tPvRmT1_PNSt15iterator_traitsISZ_E10value_typeET2_T3_PNS10_IS15_E10value_typeET4_jRbjT5_S1B_jjP12ihipStream_tbEUljE_EEESW_SX_SY_S15_S19_S1B_T6_T7_T9_mT8_S1D_bDpT10_ENKUlT_T0_E_clISt17integral_constantIbLb1EES1Q_EEDaS1L_S1M_EUlS1L_E_NS1_11comp_targetILNS1_3genE3ELNS1_11target_archE908ELNS1_3gpuE7ELNS1_3repE0EEENS1_30default_config_static_selectorELNS0_4arch9wavefront6targetE1EEEvSZ_.num_vgpr, 0
	.set _ZN7rocprim17ROCPRIM_400000_NS6detail17trampoline_kernelINS0_13select_configILj256ELj13ELNS0_17block_load_methodE3ELS4_3ELS4_3ELNS0_20block_scan_algorithmE0ELj4294967295EEENS1_25partition_config_selectorILNS1_17partition_subalgoE3EjNS0_10empty_typeEbEEZZNS1_14partition_implILS8_3ELb0ES6_jNS0_17counting_iteratorIjlEEPS9_SE_NS0_5tupleIJPjSE_EEENSF_IJSE_SE_EEES9_SG_JZNS1_25segmented_radix_sort_implINS0_14default_configELb0EPK12hip_bfloat16PSL_PKlPlN2at6native12_GLOBAL__N_18offset_tEEE10hipError_tPvRmT1_PNSt15iterator_traitsISZ_E10value_typeET2_T3_PNS10_IS15_E10value_typeET4_jRbjT5_S1B_jjP12ihipStream_tbEUljE_EEESW_SX_SY_S15_S19_S1B_T6_T7_T9_mT8_S1D_bDpT10_ENKUlT_T0_E_clISt17integral_constantIbLb1EES1Q_EEDaS1L_S1M_EUlS1L_E_NS1_11comp_targetILNS1_3genE3ELNS1_11target_archE908ELNS1_3gpuE7ELNS1_3repE0EEENS1_30default_config_static_selectorELNS0_4arch9wavefront6targetE1EEEvSZ_.num_agpr, 0
	.set _ZN7rocprim17ROCPRIM_400000_NS6detail17trampoline_kernelINS0_13select_configILj256ELj13ELNS0_17block_load_methodE3ELS4_3ELS4_3ELNS0_20block_scan_algorithmE0ELj4294967295EEENS1_25partition_config_selectorILNS1_17partition_subalgoE3EjNS0_10empty_typeEbEEZZNS1_14partition_implILS8_3ELb0ES6_jNS0_17counting_iteratorIjlEEPS9_SE_NS0_5tupleIJPjSE_EEENSF_IJSE_SE_EEES9_SG_JZNS1_25segmented_radix_sort_implINS0_14default_configELb0EPK12hip_bfloat16PSL_PKlPlN2at6native12_GLOBAL__N_18offset_tEEE10hipError_tPvRmT1_PNSt15iterator_traitsISZ_E10value_typeET2_T3_PNS10_IS15_E10value_typeET4_jRbjT5_S1B_jjP12ihipStream_tbEUljE_EEESW_SX_SY_S15_S19_S1B_T6_T7_T9_mT8_S1D_bDpT10_ENKUlT_T0_E_clISt17integral_constantIbLb1EES1Q_EEDaS1L_S1M_EUlS1L_E_NS1_11comp_targetILNS1_3genE3ELNS1_11target_archE908ELNS1_3gpuE7ELNS1_3repE0EEENS1_30default_config_static_selectorELNS0_4arch9wavefront6targetE1EEEvSZ_.numbered_sgpr, 0
	.set _ZN7rocprim17ROCPRIM_400000_NS6detail17trampoline_kernelINS0_13select_configILj256ELj13ELNS0_17block_load_methodE3ELS4_3ELS4_3ELNS0_20block_scan_algorithmE0ELj4294967295EEENS1_25partition_config_selectorILNS1_17partition_subalgoE3EjNS0_10empty_typeEbEEZZNS1_14partition_implILS8_3ELb0ES6_jNS0_17counting_iteratorIjlEEPS9_SE_NS0_5tupleIJPjSE_EEENSF_IJSE_SE_EEES9_SG_JZNS1_25segmented_radix_sort_implINS0_14default_configELb0EPK12hip_bfloat16PSL_PKlPlN2at6native12_GLOBAL__N_18offset_tEEE10hipError_tPvRmT1_PNSt15iterator_traitsISZ_E10value_typeET2_T3_PNS10_IS15_E10value_typeET4_jRbjT5_S1B_jjP12ihipStream_tbEUljE_EEESW_SX_SY_S15_S19_S1B_T6_T7_T9_mT8_S1D_bDpT10_ENKUlT_T0_E_clISt17integral_constantIbLb1EES1Q_EEDaS1L_S1M_EUlS1L_E_NS1_11comp_targetILNS1_3genE3ELNS1_11target_archE908ELNS1_3gpuE7ELNS1_3repE0EEENS1_30default_config_static_selectorELNS0_4arch9wavefront6targetE1EEEvSZ_.num_named_barrier, 0
	.set _ZN7rocprim17ROCPRIM_400000_NS6detail17trampoline_kernelINS0_13select_configILj256ELj13ELNS0_17block_load_methodE3ELS4_3ELS4_3ELNS0_20block_scan_algorithmE0ELj4294967295EEENS1_25partition_config_selectorILNS1_17partition_subalgoE3EjNS0_10empty_typeEbEEZZNS1_14partition_implILS8_3ELb0ES6_jNS0_17counting_iteratorIjlEEPS9_SE_NS0_5tupleIJPjSE_EEENSF_IJSE_SE_EEES9_SG_JZNS1_25segmented_radix_sort_implINS0_14default_configELb0EPK12hip_bfloat16PSL_PKlPlN2at6native12_GLOBAL__N_18offset_tEEE10hipError_tPvRmT1_PNSt15iterator_traitsISZ_E10value_typeET2_T3_PNS10_IS15_E10value_typeET4_jRbjT5_S1B_jjP12ihipStream_tbEUljE_EEESW_SX_SY_S15_S19_S1B_T6_T7_T9_mT8_S1D_bDpT10_ENKUlT_T0_E_clISt17integral_constantIbLb1EES1Q_EEDaS1L_S1M_EUlS1L_E_NS1_11comp_targetILNS1_3genE3ELNS1_11target_archE908ELNS1_3gpuE7ELNS1_3repE0EEENS1_30default_config_static_selectorELNS0_4arch9wavefront6targetE1EEEvSZ_.private_seg_size, 0
	.set _ZN7rocprim17ROCPRIM_400000_NS6detail17trampoline_kernelINS0_13select_configILj256ELj13ELNS0_17block_load_methodE3ELS4_3ELS4_3ELNS0_20block_scan_algorithmE0ELj4294967295EEENS1_25partition_config_selectorILNS1_17partition_subalgoE3EjNS0_10empty_typeEbEEZZNS1_14partition_implILS8_3ELb0ES6_jNS0_17counting_iteratorIjlEEPS9_SE_NS0_5tupleIJPjSE_EEENSF_IJSE_SE_EEES9_SG_JZNS1_25segmented_radix_sort_implINS0_14default_configELb0EPK12hip_bfloat16PSL_PKlPlN2at6native12_GLOBAL__N_18offset_tEEE10hipError_tPvRmT1_PNSt15iterator_traitsISZ_E10value_typeET2_T3_PNS10_IS15_E10value_typeET4_jRbjT5_S1B_jjP12ihipStream_tbEUljE_EEESW_SX_SY_S15_S19_S1B_T6_T7_T9_mT8_S1D_bDpT10_ENKUlT_T0_E_clISt17integral_constantIbLb1EES1Q_EEDaS1L_S1M_EUlS1L_E_NS1_11comp_targetILNS1_3genE3ELNS1_11target_archE908ELNS1_3gpuE7ELNS1_3repE0EEENS1_30default_config_static_selectorELNS0_4arch9wavefront6targetE1EEEvSZ_.uses_vcc, 0
	.set _ZN7rocprim17ROCPRIM_400000_NS6detail17trampoline_kernelINS0_13select_configILj256ELj13ELNS0_17block_load_methodE3ELS4_3ELS4_3ELNS0_20block_scan_algorithmE0ELj4294967295EEENS1_25partition_config_selectorILNS1_17partition_subalgoE3EjNS0_10empty_typeEbEEZZNS1_14partition_implILS8_3ELb0ES6_jNS0_17counting_iteratorIjlEEPS9_SE_NS0_5tupleIJPjSE_EEENSF_IJSE_SE_EEES9_SG_JZNS1_25segmented_radix_sort_implINS0_14default_configELb0EPK12hip_bfloat16PSL_PKlPlN2at6native12_GLOBAL__N_18offset_tEEE10hipError_tPvRmT1_PNSt15iterator_traitsISZ_E10value_typeET2_T3_PNS10_IS15_E10value_typeET4_jRbjT5_S1B_jjP12ihipStream_tbEUljE_EEESW_SX_SY_S15_S19_S1B_T6_T7_T9_mT8_S1D_bDpT10_ENKUlT_T0_E_clISt17integral_constantIbLb1EES1Q_EEDaS1L_S1M_EUlS1L_E_NS1_11comp_targetILNS1_3genE3ELNS1_11target_archE908ELNS1_3gpuE7ELNS1_3repE0EEENS1_30default_config_static_selectorELNS0_4arch9wavefront6targetE1EEEvSZ_.uses_flat_scratch, 0
	.set _ZN7rocprim17ROCPRIM_400000_NS6detail17trampoline_kernelINS0_13select_configILj256ELj13ELNS0_17block_load_methodE3ELS4_3ELS4_3ELNS0_20block_scan_algorithmE0ELj4294967295EEENS1_25partition_config_selectorILNS1_17partition_subalgoE3EjNS0_10empty_typeEbEEZZNS1_14partition_implILS8_3ELb0ES6_jNS0_17counting_iteratorIjlEEPS9_SE_NS0_5tupleIJPjSE_EEENSF_IJSE_SE_EEES9_SG_JZNS1_25segmented_radix_sort_implINS0_14default_configELb0EPK12hip_bfloat16PSL_PKlPlN2at6native12_GLOBAL__N_18offset_tEEE10hipError_tPvRmT1_PNSt15iterator_traitsISZ_E10value_typeET2_T3_PNS10_IS15_E10value_typeET4_jRbjT5_S1B_jjP12ihipStream_tbEUljE_EEESW_SX_SY_S15_S19_S1B_T6_T7_T9_mT8_S1D_bDpT10_ENKUlT_T0_E_clISt17integral_constantIbLb1EES1Q_EEDaS1L_S1M_EUlS1L_E_NS1_11comp_targetILNS1_3genE3ELNS1_11target_archE908ELNS1_3gpuE7ELNS1_3repE0EEENS1_30default_config_static_selectorELNS0_4arch9wavefront6targetE1EEEvSZ_.has_dyn_sized_stack, 0
	.set _ZN7rocprim17ROCPRIM_400000_NS6detail17trampoline_kernelINS0_13select_configILj256ELj13ELNS0_17block_load_methodE3ELS4_3ELS4_3ELNS0_20block_scan_algorithmE0ELj4294967295EEENS1_25partition_config_selectorILNS1_17partition_subalgoE3EjNS0_10empty_typeEbEEZZNS1_14partition_implILS8_3ELb0ES6_jNS0_17counting_iteratorIjlEEPS9_SE_NS0_5tupleIJPjSE_EEENSF_IJSE_SE_EEES9_SG_JZNS1_25segmented_radix_sort_implINS0_14default_configELb0EPK12hip_bfloat16PSL_PKlPlN2at6native12_GLOBAL__N_18offset_tEEE10hipError_tPvRmT1_PNSt15iterator_traitsISZ_E10value_typeET2_T3_PNS10_IS15_E10value_typeET4_jRbjT5_S1B_jjP12ihipStream_tbEUljE_EEESW_SX_SY_S15_S19_S1B_T6_T7_T9_mT8_S1D_bDpT10_ENKUlT_T0_E_clISt17integral_constantIbLb1EES1Q_EEDaS1L_S1M_EUlS1L_E_NS1_11comp_targetILNS1_3genE3ELNS1_11target_archE908ELNS1_3gpuE7ELNS1_3repE0EEENS1_30default_config_static_selectorELNS0_4arch9wavefront6targetE1EEEvSZ_.has_recursion, 0
	.set _ZN7rocprim17ROCPRIM_400000_NS6detail17trampoline_kernelINS0_13select_configILj256ELj13ELNS0_17block_load_methodE3ELS4_3ELS4_3ELNS0_20block_scan_algorithmE0ELj4294967295EEENS1_25partition_config_selectorILNS1_17partition_subalgoE3EjNS0_10empty_typeEbEEZZNS1_14partition_implILS8_3ELb0ES6_jNS0_17counting_iteratorIjlEEPS9_SE_NS0_5tupleIJPjSE_EEENSF_IJSE_SE_EEES9_SG_JZNS1_25segmented_radix_sort_implINS0_14default_configELb0EPK12hip_bfloat16PSL_PKlPlN2at6native12_GLOBAL__N_18offset_tEEE10hipError_tPvRmT1_PNSt15iterator_traitsISZ_E10value_typeET2_T3_PNS10_IS15_E10value_typeET4_jRbjT5_S1B_jjP12ihipStream_tbEUljE_EEESW_SX_SY_S15_S19_S1B_T6_T7_T9_mT8_S1D_bDpT10_ENKUlT_T0_E_clISt17integral_constantIbLb1EES1Q_EEDaS1L_S1M_EUlS1L_E_NS1_11comp_targetILNS1_3genE3ELNS1_11target_archE908ELNS1_3gpuE7ELNS1_3repE0EEENS1_30default_config_static_selectorELNS0_4arch9wavefront6targetE1EEEvSZ_.has_indirect_call, 0
	.section	.AMDGPU.csdata,"",@progbits
; Kernel info:
; codeLenInByte = 0
; TotalNumSgprs: 4
; NumVgprs: 0
; ScratchSize: 0
; MemoryBound: 0
; FloatMode: 240
; IeeeMode: 1
; LDSByteSize: 0 bytes/workgroup (compile time only)
; SGPRBlocks: 0
; VGPRBlocks: 0
; NumSGPRsForWavesPerEU: 4
; NumVGPRsForWavesPerEU: 1
; Occupancy: 10
; WaveLimiterHint : 0
; COMPUTE_PGM_RSRC2:SCRATCH_EN: 0
; COMPUTE_PGM_RSRC2:USER_SGPR: 6
; COMPUTE_PGM_RSRC2:TRAP_HANDLER: 0
; COMPUTE_PGM_RSRC2:TGID_X_EN: 1
; COMPUTE_PGM_RSRC2:TGID_Y_EN: 0
; COMPUTE_PGM_RSRC2:TGID_Z_EN: 0
; COMPUTE_PGM_RSRC2:TIDIG_COMP_CNT: 0
	.section	.text._ZN7rocprim17ROCPRIM_400000_NS6detail17trampoline_kernelINS0_13select_configILj256ELj13ELNS0_17block_load_methodE3ELS4_3ELS4_3ELNS0_20block_scan_algorithmE0ELj4294967295EEENS1_25partition_config_selectorILNS1_17partition_subalgoE3EjNS0_10empty_typeEbEEZZNS1_14partition_implILS8_3ELb0ES6_jNS0_17counting_iteratorIjlEEPS9_SE_NS0_5tupleIJPjSE_EEENSF_IJSE_SE_EEES9_SG_JZNS1_25segmented_radix_sort_implINS0_14default_configELb0EPK12hip_bfloat16PSL_PKlPlN2at6native12_GLOBAL__N_18offset_tEEE10hipError_tPvRmT1_PNSt15iterator_traitsISZ_E10value_typeET2_T3_PNS10_IS15_E10value_typeET4_jRbjT5_S1B_jjP12ihipStream_tbEUljE_EEESW_SX_SY_S15_S19_S1B_T6_T7_T9_mT8_S1D_bDpT10_ENKUlT_T0_E_clISt17integral_constantIbLb1EES1Q_EEDaS1L_S1M_EUlS1L_E_NS1_11comp_targetILNS1_3genE2ELNS1_11target_archE906ELNS1_3gpuE6ELNS1_3repE0EEENS1_30default_config_static_selectorELNS0_4arch9wavefront6targetE1EEEvSZ_,"axG",@progbits,_ZN7rocprim17ROCPRIM_400000_NS6detail17trampoline_kernelINS0_13select_configILj256ELj13ELNS0_17block_load_methodE3ELS4_3ELS4_3ELNS0_20block_scan_algorithmE0ELj4294967295EEENS1_25partition_config_selectorILNS1_17partition_subalgoE3EjNS0_10empty_typeEbEEZZNS1_14partition_implILS8_3ELb0ES6_jNS0_17counting_iteratorIjlEEPS9_SE_NS0_5tupleIJPjSE_EEENSF_IJSE_SE_EEES9_SG_JZNS1_25segmented_radix_sort_implINS0_14default_configELb0EPK12hip_bfloat16PSL_PKlPlN2at6native12_GLOBAL__N_18offset_tEEE10hipError_tPvRmT1_PNSt15iterator_traitsISZ_E10value_typeET2_T3_PNS10_IS15_E10value_typeET4_jRbjT5_S1B_jjP12ihipStream_tbEUljE_EEESW_SX_SY_S15_S19_S1B_T6_T7_T9_mT8_S1D_bDpT10_ENKUlT_T0_E_clISt17integral_constantIbLb1EES1Q_EEDaS1L_S1M_EUlS1L_E_NS1_11comp_targetILNS1_3genE2ELNS1_11target_archE906ELNS1_3gpuE6ELNS1_3repE0EEENS1_30default_config_static_selectorELNS0_4arch9wavefront6targetE1EEEvSZ_,comdat
	.globl	_ZN7rocprim17ROCPRIM_400000_NS6detail17trampoline_kernelINS0_13select_configILj256ELj13ELNS0_17block_load_methodE3ELS4_3ELS4_3ELNS0_20block_scan_algorithmE0ELj4294967295EEENS1_25partition_config_selectorILNS1_17partition_subalgoE3EjNS0_10empty_typeEbEEZZNS1_14partition_implILS8_3ELb0ES6_jNS0_17counting_iteratorIjlEEPS9_SE_NS0_5tupleIJPjSE_EEENSF_IJSE_SE_EEES9_SG_JZNS1_25segmented_radix_sort_implINS0_14default_configELb0EPK12hip_bfloat16PSL_PKlPlN2at6native12_GLOBAL__N_18offset_tEEE10hipError_tPvRmT1_PNSt15iterator_traitsISZ_E10value_typeET2_T3_PNS10_IS15_E10value_typeET4_jRbjT5_S1B_jjP12ihipStream_tbEUljE_EEESW_SX_SY_S15_S19_S1B_T6_T7_T9_mT8_S1D_bDpT10_ENKUlT_T0_E_clISt17integral_constantIbLb1EES1Q_EEDaS1L_S1M_EUlS1L_E_NS1_11comp_targetILNS1_3genE2ELNS1_11target_archE906ELNS1_3gpuE6ELNS1_3repE0EEENS1_30default_config_static_selectorELNS0_4arch9wavefront6targetE1EEEvSZ_ ; -- Begin function _ZN7rocprim17ROCPRIM_400000_NS6detail17trampoline_kernelINS0_13select_configILj256ELj13ELNS0_17block_load_methodE3ELS4_3ELS4_3ELNS0_20block_scan_algorithmE0ELj4294967295EEENS1_25partition_config_selectorILNS1_17partition_subalgoE3EjNS0_10empty_typeEbEEZZNS1_14partition_implILS8_3ELb0ES6_jNS0_17counting_iteratorIjlEEPS9_SE_NS0_5tupleIJPjSE_EEENSF_IJSE_SE_EEES9_SG_JZNS1_25segmented_radix_sort_implINS0_14default_configELb0EPK12hip_bfloat16PSL_PKlPlN2at6native12_GLOBAL__N_18offset_tEEE10hipError_tPvRmT1_PNSt15iterator_traitsISZ_E10value_typeET2_T3_PNS10_IS15_E10value_typeET4_jRbjT5_S1B_jjP12ihipStream_tbEUljE_EEESW_SX_SY_S15_S19_S1B_T6_T7_T9_mT8_S1D_bDpT10_ENKUlT_T0_E_clISt17integral_constantIbLb1EES1Q_EEDaS1L_S1M_EUlS1L_E_NS1_11comp_targetILNS1_3genE2ELNS1_11target_archE906ELNS1_3gpuE6ELNS1_3repE0EEENS1_30default_config_static_selectorELNS0_4arch9wavefront6targetE1EEEvSZ_
	.p2align	8
	.type	_ZN7rocprim17ROCPRIM_400000_NS6detail17trampoline_kernelINS0_13select_configILj256ELj13ELNS0_17block_load_methodE3ELS4_3ELS4_3ELNS0_20block_scan_algorithmE0ELj4294967295EEENS1_25partition_config_selectorILNS1_17partition_subalgoE3EjNS0_10empty_typeEbEEZZNS1_14partition_implILS8_3ELb0ES6_jNS0_17counting_iteratorIjlEEPS9_SE_NS0_5tupleIJPjSE_EEENSF_IJSE_SE_EEES9_SG_JZNS1_25segmented_radix_sort_implINS0_14default_configELb0EPK12hip_bfloat16PSL_PKlPlN2at6native12_GLOBAL__N_18offset_tEEE10hipError_tPvRmT1_PNSt15iterator_traitsISZ_E10value_typeET2_T3_PNS10_IS15_E10value_typeET4_jRbjT5_S1B_jjP12ihipStream_tbEUljE_EEESW_SX_SY_S15_S19_S1B_T6_T7_T9_mT8_S1D_bDpT10_ENKUlT_T0_E_clISt17integral_constantIbLb1EES1Q_EEDaS1L_S1M_EUlS1L_E_NS1_11comp_targetILNS1_3genE2ELNS1_11target_archE906ELNS1_3gpuE6ELNS1_3repE0EEENS1_30default_config_static_selectorELNS0_4arch9wavefront6targetE1EEEvSZ_,@function
_ZN7rocprim17ROCPRIM_400000_NS6detail17trampoline_kernelINS0_13select_configILj256ELj13ELNS0_17block_load_methodE3ELS4_3ELS4_3ELNS0_20block_scan_algorithmE0ELj4294967295EEENS1_25partition_config_selectorILNS1_17partition_subalgoE3EjNS0_10empty_typeEbEEZZNS1_14partition_implILS8_3ELb0ES6_jNS0_17counting_iteratorIjlEEPS9_SE_NS0_5tupleIJPjSE_EEENSF_IJSE_SE_EEES9_SG_JZNS1_25segmented_radix_sort_implINS0_14default_configELb0EPK12hip_bfloat16PSL_PKlPlN2at6native12_GLOBAL__N_18offset_tEEE10hipError_tPvRmT1_PNSt15iterator_traitsISZ_E10value_typeET2_T3_PNS10_IS15_E10value_typeET4_jRbjT5_S1B_jjP12ihipStream_tbEUljE_EEESW_SX_SY_S15_S19_S1B_T6_T7_T9_mT8_S1D_bDpT10_ENKUlT_T0_E_clISt17integral_constantIbLb1EES1Q_EEDaS1L_S1M_EUlS1L_E_NS1_11comp_targetILNS1_3genE2ELNS1_11target_archE906ELNS1_3gpuE6ELNS1_3repE0EEENS1_30default_config_static_selectorELNS0_4arch9wavefront6targetE1EEEvSZ_: ; @_ZN7rocprim17ROCPRIM_400000_NS6detail17trampoline_kernelINS0_13select_configILj256ELj13ELNS0_17block_load_methodE3ELS4_3ELS4_3ELNS0_20block_scan_algorithmE0ELj4294967295EEENS1_25partition_config_selectorILNS1_17partition_subalgoE3EjNS0_10empty_typeEbEEZZNS1_14partition_implILS8_3ELb0ES6_jNS0_17counting_iteratorIjlEEPS9_SE_NS0_5tupleIJPjSE_EEENSF_IJSE_SE_EEES9_SG_JZNS1_25segmented_radix_sort_implINS0_14default_configELb0EPK12hip_bfloat16PSL_PKlPlN2at6native12_GLOBAL__N_18offset_tEEE10hipError_tPvRmT1_PNSt15iterator_traitsISZ_E10value_typeET2_T3_PNS10_IS15_E10value_typeET4_jRbjT5_S1B_jjP12ihipStream_tbEUljE_EEESW_SX_SY_S15_S19_S1B_T6_T7_T9_mT8_S1D_bDpT10_ENKUlT_T0_E_clISt17integral_constantIbLb1EES1Q_EEDaS1L_S1M_EUlS1L_E_NS1_11comp_targetILNS1_3genE2ELNS1_11target_archE906ELNS1_3gpuE6ELNS1_3repE0EEENS1_30default_config_static_selectorELNS0_4arch9wavefront6targetE1EEEvSZ_
; %bb.0:
	s_endpgm
	.section	.rodata,"a",@progbits
	.p2align	6, 0x0
	.amdhsa_kernel _ZN7rocprim17ROCPRIM_400000_NS6detail17trampoline_kernelINS0_13select_configILj256ELj13ELNS0_17block_load_methodE3ELS4_3ELS4_3ELNS0_20block_scan_algorithmE0ELj4294967295EEENS1_25partition_config_selectorILNS1_17partition_subalgoE3EjNS0_10empty_typeEbEEZZNS1_14partition_implILS8_3ELb0ES6_jNS0_17counting_iteratorIjlEEPS9_SE_NS0_5tupleIJPjSE_EEENSF_IJSE_SE_EEES9_SG_JZNS1_25segmented_radix_sort_implINS0_14default_configELb0EPK12hip_bfloat16PSL_PKlPlN2at6native12_GLOBAL__N_18offset_tEEE10hipError_tPvRmT1_PNSt15iterator_traitsISZ_E10value_typeET2_T3_PNS10_IS15_E10value_typeET4_jRbjT5_S1B_jjP12ihipStream_tbEUljE_EEESW_SX_SY_S15_S19_S1B_T6_T7_T9_mT8_S1D_bDpT10_ENKUlT_T0_E_clISt17integral_constantIbLb1EES1Q_EEDaS1L_S1M_EUlS1L_E_NS1_11comp_targetILNS1_3genE2ELNS1_11target_archE906ELNS1_3gpuE6ELNS1_3repE0EEENS1_30default_config_static_selectorELNS0_4arch9wavefront6targetE1EEEvSZ_
		.amdhsa_group_segment_fixed_size 0
		.amdhsa_private_segment_fixed_size 0
		.amdhsa_kernarg_size 152
		.amdhsa_user_sgpr_count 6
		.amdhsa_user_sgpr_private_segment_buffer 1
		.amdhsa_user_sgpr_dispatch_ptr 0
		.amdhsa_user_sgpr_queue_ptr 0
		.amdhsa_user_sgpr_kernarg_segment_ptr 1
		.amdhsa_user_sgpr_dispatch_id 0
		.amdhsa_user_sgpr_flat_scratch_init 0
		.amdhsa_user_sgpr_private_segment_size 0
		.amdhsa_uses_dynamic_stack 0
		.amdhsa_system_sgpr_private_segment_wavefront_offset 0
		.amdhsa_system_sgpr_workgroup_id_x 1
		.amdhsa_system_sgpr_workgroup_id_y 0
		.amdhsa_system_sgpr_workgroup_id_z 0
		.amdhsa_system_sgpr_workgroup_info 0
		.amdhsa_system_vgpr_workitem_id 0
		.amdhsa_next_free_vgpr 1
		.amdhsa_next_free_sgpr 0
		.amdhsa_reserve_vcc 0
		.amdhsa_reserve_flat_scratch 0
		.amdhsa_float_round_mode_32 0
		.amdhsa_float_round_mode_16_64 0
		.amdhsa_float_denorm_mode_32 3
		.amdhsa_float_denorm_mode_16_64 3
		.amdhsa_dx10_clamp 1
		.amdhsa_ieee_mode 1
		.amdhsa_fp16_overflow 0
		.amdhsa_exception_fp_ieee_invalid_op 0
		.amdhsa_exception_fp_denorm_src 0
		.amdhsa_exception_fp_ieee_div_zero 0
		.amdhsa_exception_fp_ieee_overflow 0
		.amdhsa_exception_fp_ieee_underflow 0
		.amdhsa_exception_fp_ieee_inexact 0
		.amdhsa_exception_int_div_zero 0
	.end_amdhsa_kernel
	.section	.text._ZN7rocprim17ROCPRIM_400000_NS6detail17trampoline_kernelINS0_13select_configILj256ELj13ELNS0_17block_load_methodE3ELS4_3ELS4_3ELNS0_20block_scan_algorithmE0ELj4294967295EEENS1_25partition_config_selectorILNS1_17partition_subalgoE3EjNS0_10empty_typeEbEEZZNS1_14partition_implILS8_3ELb0ES6_jNS0_17counting_iteratorIjlEEPS9_SE_NS0_5tupleIJPjSE_EEENSF_IJSE_SE_EEES9_SG_JZNS1_25segmented_radix_sort_implINS0_14default_configELb0EPK12hip_bfloat16PSL_PKlPlN2at6native12_GLOBAL__N_18offset_tEEE10hipError_tPvRmT1_PNSt15iterator_traitsISZ_E10value_typeET2_T3_PNS10_IS15_E10value_typeET4_jRbjT5_S1B_jjP12ihipStream_tbEUljE_EEESW_SX_SY_S15_S19_S1B_T6_T7_T9_mT8_S1D_bDpT10_ENKUlT_T0_E_clISt17integral_constantIbLb1EES1Q_EEDaS1L_S1M_EUlS1L_E_NS1_11comp_targetILNS1_3genE2ELNS1_11target_archE906ELNS1_3gpuE6ELNS1_3repE0EEENS1_30default_config_static_selectorELNS0_4arch9wavefront6targetE1EEEvSZ_,"axG",@progbits,_ZN7rocprim17ROCPRIM_400000_NS6detail17trampoline_kernelINS0_13select_configILj256ELj13ELNS0_17block_load_methodE3ELS4_3ELS4_3ELNS0_20block_scan_algorithmE0ELj4294967295EEENS1_25partition_config_selectorILNS1_17partition_subalgoE3EjNS0_10empty_typeEbEEZZNS1_14partition_implILS8_3ELb0ES6_jNS0_17counting_iteratorIjlEEPS9_SE_NS0_5tupleIJPjSE_EEENSF_IJSE_SE_EEES9_SG_JZNS1_25segmented_radix_sort_implINS0_14default_configELb0EPK12hip_bfloat16PSL_PKlPlN2at6native12_GLOBAL__N_18offset_tEEE10hipError_tPvRmT1_PNSt15iterator_traitsISZ_E10value_typeET2_T3_PNS10_IS15_E10value_typeET4_jRbjT5_S1B_jjP12ihipStream_tbEUljE_EEESW_SX_SY_S15_S19_S1B_T6_T7_T9_mT8_S1D_bDpT10_ENKUlT_T0_E_clISt17integral_constantIbLb1EES1Q_EEDaS1L_S1M_EUlS1L_E_NS1_11comp_targetILNS1_3genE2ELNS1_11target_archE906ELNS1_3gpuE6ELNS1_3repE0EEENS1_30default_config_static_selectorELNS0_4arch9wavefront6targetE1EEEvSZ_,comdat
.Lfunc_end2029:
	.size	_ZN7rocprim17ROCPRIM_400000_NS6detail17trampoline_kernelINS0_13select_configILj256ELj13ELNS0_17block_load_methodE3ELS4_3ELS4_3ELNS0_20block_scan_algorithmE0ELj4294967295EEENS1_25partition_config_selectorILNS1_17partition_subalgoE3EjNS0_10empty_typeEbEEZZNS1_14partition_implILS8_3ELb0ES6_jNS0_17counting_iteratorIjlEEPS9_SE_NS0_5tupleIJPjSE_EEENSF_IJSE_SE_EEES9_SG_JZNS1_25segmented_radix_sort_implINS0_14default_configELb0EPK12hip_bfloat16PSL_PKlPlN2at6native12_GLOBAL__N_18offset_tEEE10hipError_tPvRmT1_PNSt15iterator_traitsISZ_E10value_typeET2_T3_PNS10_IS15_E10value_typeET4_jRbjT5_S1B_jjP12ihipStream_tbEUljE_EEESW_SX_SY_S15_S19_S1B_T6_T7_T9_mT8_S1D_bDpT10_ENKUlT_T0_E_clISt17integral_constantIbLb1EES1Q_EEDaS1L_S1M_EUlS1L_E_NS1_11comp_targetILNS1_3genE2ELNS1_11target_archE906ELNS1_3gpuE6ELNS1_3repE0EEENS1_30default_config_static_selectorELNS0_4arch9wavefront6targetE1EEEvSZ_, .Lfunc_end2029-_ZN7rocprim17ROCPRIM_400000_NS6detail17trampoline_kernelINS0_13select_configILj256ELj13ELNS0_17block_load_methodE3ELS4_3ELS4_3ELNS0_20block_scan_algorithmE0ELj4294967295EEENS1_25partition_config_selectorILNS1_17partition_subalgoE3EjNS0_10empty_typeEbEEZZNS1_14partition_implILS8_3ELb0ES6_jNS0_17counting_iteratorIjlEEPS9_SE_NS0_5tupleIJPjSE_EEENSF_IJSE_SE_EEES9_SG_JZNS1_25segmented_radix_sort_implINS0_14default_configELb0EPK12hip_bfloat16PSL_PKlPlN2at6native12_GLOBAL__N_18offset_tEEE10hipError_tPvRmT1_PNSt15iterator_traitsISZ_E10value_typeET2_T3_PNS10_IS15_E10value_typeET4_jRbjT5_S1B_jjP12ihipStream_tbEUljE_EEESW_SX_SY_S15_S19_S1B_T6_T7_T9_mT8_S1D_bDpT10_ENKUlT_T0_E_clISt17integral_constantIbLb1EES1Q_EEDaS1L_S1M_EUlS1L_E_NS1_11comp_targetILNS1_3genE2ELNS1_11target_archE906ELNS1_3gpuE6ELNS1_3repE0EEENS1_30default_config_static_selectorELNS0_4arch9wavefront6targetE1EEEvSZ_
                                        ; -- End function
	.set _ZN7rocprim17ROCPRIM_400000_NS6detail17trampoline_kernelINS0_13select_configILj256ELj13ELNS0_17block_load_methodE3ELS4_3ELS4_3ELNS0_20block_scan_algorithmE0ELj4294967295EEENS1_25partition_config_selectorILNS1_17partition_subalgoE3EjNS0_10empty_typeEbEEZZNS1_14partition_implILS8_3ELb0ES6_jNS0_17counting_iteratorIjlEEPS9_SE_NS0_5tupleIJPjSE_EEENSF_IJSE_SE_EEES9_SG_JZNS1_25segmented_radix_sort_implINS0_14default_configELb0EPK12hip_bfloat16PSL_PKlPlN2at6native12_GLOBAL__N_18offset_tEEE10hipError_tPvRmT1_PNSt15iterator_traitsISZ_E10value_typeET2_T3_PNS10_IS15_E10value_typeET4_jRbjT5_S1B_jjP12ihipStream_tbEUljE_EEESW_SX_SY_S15_S19_S1B_T6_T7_T9_mT8_S1D_bDpT10_ENKUlT_T0_E_clISt17integral_constantIbLb1EES1Q_EEDaS1L_S1M_EUlS1L_E_NS1_11comp_targetILNS1_3genE2ELNS1_11target_archE906ELNS1_3gpuE6ELNS1_3repE0EEENS1_30default_config_static_selectorELNS0_4arch9wavefront6targetE1EEEvSZ_.num_vgpr, 0
	.set _ZN7rocprim17ROCPRIM_400000_NS6detail17trampoline_kernelINS0_13select_configILj256ELj13ELNS0_17block_load_methodE3ELS4_3ELS4_3ELNS0_20block_scan_algorithmE0ELj4294967295EEENS1_25partition_config_selectorILNS1_17partition_subalgoE3EjNS0_10empty_typeEbEEZZNS1_14partition_implILS8_3ELb0ES6_jNS0_17counting_iteratorIjlEEPS9_SE_NS0_5tupleIJPjSE_EEENSF_IJSE_SE_EEES9_SG_JZNS1_25segmented_radix_sort_implINS0_14default_configELb0EPK12hip_bfloat16PSL_PKlPlN2at6native12_GLOBAL__N_18offset_tEEE10hipError_tPvRmT1_PNSt15iterator_traitsISZ_E10value_typeET2_T3_PNS10_IS15_E10value_typeET4_jRbjT5_S1B_jjP12ihipStream_tbEUljE_EEESW_SX_SY_S15_S19_S1B_T6_T7_T9_mT8_S1D_bDpT10_ENKUlT_T0_E_clISt17integral_constantIbLb1EES1Q_EEDaS1L_S1M_EUlS1L_E_NS1_11comp_targetILNS1_3genE2ELNS1_11target_archE906ELNS1_3gpuE6ELNS1_3repE0EEENS1_30default_config_static_selectorELNS0_4arch9wavefront6targetE1EEEvSZ_.num_agpr, 0
	.set _ZN7rocprim17ROCPRIM_400000_NS6detail17trampoline_kernelINS0_13select_configILj256ELj13ELNS0_17block_load_methodE3ELS4_3ELS4_3ELNS0_20block_scan_algorithmE0ELj4294967295EEENS1_25partition_config_selectorILNS1_17partition_subalgoE3EjNS0_10empty_typeEbEEZZNS1_14partition_implILS8_3ELb0ES6_jNS0_17counting_iteratorIjlEEPS9_SE_NS0_5tupleIJPjSE_EEENSF_IJSE_SE_EEES9_SG_JZNS1_25segmented_radix_sort_implINS0_14default_configELb0EPK12hip_bfloat16PSL_PKlPlN2at6native12_GLOBAL__N_18offset_tEEE10hipError_tPvRmT1_PNSt15iterator_traitsISZ_E10value_typeET2_T3_PNS10_IS15_E10value_typeET4_jRbjT5_S1B_jjP12ihipStream_tbEUljE_EEESW_SX_SY_S15_S19_S1B_T6_T7_T9_mT8_S1D_bDpT10_ENKUlT_T0_E_clISt17integral_constantIbLb1EES1Q_EEDaS1L_S1M_EUlS1L_E_NS1_11comp_targetILNS1_3genE2ELNS1_11target_archE906ELNS1_3gpuE6ELNS1_3repE0EEENS1_30default_config_static_selectorELNS0_4arch9wavefront6targetE1EEEvSZ_.numbered_sgpr, 0
	.set _ZN7rocprim17ROCPRIM_400000_NS6detail17trampoline_kernelINS0_13select_configILj256ELj13ELNS0_17block_load_methodE3ELS4_3ELS4_3ELNS0_20block_scan_algorithmE0ELj4294967295EEENS1_25partition_config_selectorILNS1_17partition_subalgoE3EjNS0_10empty_typeEbEEZZNS1_14partition_implILS8_3ELb0ES6_jNS0_17counting_iteratorIjlEEPS9_SE_NS0_5tupleIJPjSE_EEENSF_IJSE_SE_EEES9_SG_JZNS1_25segmented_radix_sort_implINS0_14default_configELb0EPK12hip_bfloat16PSL_PKlPlN2at6native12_GLOBAL__N_18offset_tEEE10hipError_tPvRmT1_PNSt15iterator_traitsISZ_E10value_typeET2_T3_PNS10_IS15_E10value_typeET4_jRbjT5_S1B_jjP12ihipStream_tbEUljE_EEESW_SX_SY_S15_S19_S1B_T6_T7_T9_mT8_S1D_bDpT10_ENKUlT_T0_E_clISt17integral_constantIbLb1EES1Q_EEDaS1L_S1M_EUlS1L_E_NS1_11comp_targetILNS1_3genE2ELNS1_11target_archE906ELNS1_3gpuE6ELNS1_3repE0EEENS1_30default_config_static_selectorELNS0_4arch9wavefront6targetE1EEEvSZ_.num_named_barrier, 0
	.set _ZN7rocprim17ROCPRIM_400000_NS6detail17trampoline_kernelINS0_13select_configILj256ELj13ELNS0_17block_load_methodE3ELS4_3ELS4_3ELNS0_20block_scan_algorithmE0ELj4294967295EEENS1_25partition_config_selectorILNS1_17partition_subalgoE3EjNS0_10empty_typeEbEEZZNS1_14partition_implILS8_3ELb0ES6_jNS0_17counting_iteratorIjlEEPS9_SE_NS0_5tupleIJPjSE_EEENSF_IJSE_SE_EEES9_SG_JZNS1_25segmented_radix_sort_implINS0_14default_configELb0EPK12hip_bfloat16PSL_PKlPlN2at6native12_GLOBAL__N_18offset_tEEE10hipError_tPvRmT1_PNSt15iterator_traitsISZ_E10value_typeET2_T3_PNS10_IS15_E10value_typeET4_jRbjT5_S1B_jjP12ihipStream_tbEUljE_EEESW_SX_SY_S15_S19_S1B_T6_T7_T9_mT8_S1D_bDpT10_ENKUlT_T0_E_clISt17integral_constantIbLb1EES1Q_EEDaS1L_S1M_EUlS1L_E_NS1_11comp_targetILNS1_3genE2ELNS1_11target_archE906ELNS1_3gpuE6ELNS1_3repE0EEENS1_30default_config_static_selectorELNS0_4arch9wavefront6targetE1EEEvSZ_.private_seg_size, 0
	.set _ZN7rocprim17ROCPRIM_400000_NS6detail17trampoline_kernelINS0_13select_configILj256ELj13ELNS0_17block_load_methodE3ELS4_3ELS4_3ELNS0_20block_scan_algorithmE0ELj4294967295EEENS1_25partition_config_selectorILNS1_17partition_subalgoE3EjNS0_10empty_typeEbEEZZNS1_14partition_implILS8_3ELb0ES6_jNS0_17counting_iteratorIjlEEPS9_SE_NS0_5tupleIJPjSE_EEENSF_IJSE_SE_EEES9_SG_JZNS1_25segmented_radix_sort_implINS0_14default_configELb0EPK12hip_bfloat16PSL_PKlPlN2at6native12_GLOBAL__N_18offset_tEEE10hipError_tPvRmT1_PNSt15iterator_traitsISZ_E10value_typeET2_T3_PNS10_IS15_E10value_typeET4_jRbjT5_S1B_jjP12ihipStream_tbEUljE_EEESW_SX_SY_S15_S19_S1B_T6_T7_T9_mT8_S1D_bDpT10_ENKUlT_T0_E_clISt17integral_constantIbLb1EES1Q_EEDaS1L_S1M_EUlS1L_E_NS1_11comp_targetILNS1_3genE2ELNS1_11target_archE906ELNS1_3gpuE6ELNS1_3repE0EEENS1_30default_config_static_selectorELNS0_4arch9wavefront6targetE1EEEvSZ_.uses_vcc, 0
	.set _ZN7rocprim17ROCPRIM_400000_NS6detail17trampoline_kernelINS0_13select_configILj256ELj13ELNS0_17block_load_methodE3ELS4_3ELS4_3ELNS0_20block_scan_algorithmE0ELj4294967295EEENS1_25partition_config_selectorILNS1_17partition_subalgoE3EjNS0_10empty_typeEbEEZZNS1_14partition_implILS8_3ELb0ES6_jNS0_17counting_iteratorIjlEEPS9_SE_NS0_5tupleIJPjSE_EEENSF_IJSE_SE_EEES9_SG_JZNS1_25segmented_radix_sort_implINS0_14default_configELb0EPK12hip_bfloat16PSL_PKlPlN2at6native12_GLOBAL__N_18offset_tEEE10hipError_tPvRmT1_PNSt15iterator_traitsISZ_E10value_typeET2_T3_PNS10_IS15_E10value_typeET4_jRbjT5_S1B_jjP12ihipStream_tbEUljE_EEESW_SX_SY_S15_S19_S1B_T6_T7_T9_mT8_S1D_bDpT10_ENKUlT_T0_E_clISt17integral_constantIbLb1EES1Q_EEDaS1L_S1M_EUlS1L_E_NS1_11comp_targetILNS1_3genE2ELNS1_11target_archE906ELNS1_3gpuE6ELNS1_3repE0EEENS1_30default_config_static_selectorELNS0_4arch9wavefront6targetE1EEEvSZ_.uses_flat_scratch, 0
	.set _ZN7rocprim17ROCPRIM_400000_NS6detail17trampoline_kernelINS0_13select_configILj256ELj13ELNS0_17block_load_methodE3ELS4_3ELS4_3ELNS0_20block_scan_algorithmE0ELj4294967295EEENS1_25partition_config_selectorILNS1_17partition_subalgoE3EjNS0_10empty_typeEbEEZZNS1_14partition_implILS8_3ELb0ES6_jNS0_17counting_iteratorIjlEEPS9_SE_NS0_5tupleIJPjSE_EEENSF_IJSE_SE_EEES9_SG_JZNS1_25segmented_radix_sort_implINS0_14default_configELb0EPK12hip_bfloat16PSL_PKlPlN2at6native12_GLOBAL__N_18offset_tEEE10hipError_tPvRmT1_PNSt15iterator_traitsISZ_E10value_typeET2_T3_PNS10_IS15_E10value_typeET4_jRbjT5_S1B_jjP12ihipStream_tbEUljE_EEESW_SX_SY_S15_S19_S1B_T6_T7_T9_mT8_S1D_bDpT10_ENKUlT_T0_E_clISt17integral_constantIbLb1EES1Q_EEDaS1L_S1M_EUlS1L_E_NS1_11comp_targetILNS1_3genE2ELNS1_11target_archE906ELNS1_3gpuE6ELNS1_3repE0EEENS1_30default_config_static_selectorELNS0_4arch9wavefront6targetE1EEEvSZ_.has_dyn_sized_stack, 0
	.set _ZN7rocprim17ROCPRIM_400000_NS6detail17trampoline_kernelINS0_13select_configILj256ELj13ELNS0_17block_load_methodE3ELS4_3ELS4_3ELNS0_20block_scan_algorithmE0ELj4294967295EEENS1_25partition_config_selectorILNS1_17partition_subalgoE3EjNS0_10empty_typeEbEEZZNS1_14partition_implILS8_3ELb0ES6_jNS0_17counting_iteratorIjlEEPS9_SE_NS0_5tupleIJPjSE_EEENSF_IJSE_SE_EEES9_SG_JZNS1_25segmented_radix_sort_implINS0_14default_configELb0EPK12hip_bfloat16PSL_PKlPlN2at6native12_GLOBAL__N_18offset_tEEE10hipError_tPvRmT1_PNSt15iterator_traitsISZ_E10value_typeET2_T3_PNS10_IS15_E10value_typeET4_jRbjT5_S1B_jjP12ihipStream_tbEUljE_EEESW_SX_SY_S15_S19_S1B_T6_T7_T9_mT8_S1D_bDpT10_ENKUlT_T0_E_clISt17integral_constantIbLb1EES1Q_EEDaS1L_S1M_EUlS1L_E_NS1_11comp_targetILNS1_3genE2ELNS1_11target_archE906ELNS1_3gpuE6ELNS1_3repE0EEENS1_30default_config_static_selectorELNS0_4arch9wavefront6targetE1EEEvSZ_.has_recursion, 0
	.set _ZN7rocprim17ROCPRIM_400000_NS6detail17trampoline_kernelINS0_13select_configILj256ELj13ELNS0_17block_load_methodE3ELS4_3ELS4_3ELNS0_20block_scan_algorithmE0ELj4294967295EEENS1_25partition_config_selectorILNS1_17partition_subalgoE3EjNS0_10empty_typeEbEEZZNS1_14partition_implILS8_3ELb0ES6_jNS0_17counting_iteratorIjlEEPS9_SE_NS0_5tupleIJPjSE_EEENSF_IJSE_SE_EEES9_SG_JZNS1_25segmented_radix_sort_implINS0_14default_configELb0EPK12hip_bfloat16PSL_PKlPlN2at6native12_GLOBAL__N_18offset_tEEE10hipError_tPvRmT1_PNSt15iterator_traitsISZ_E10value_typeET2_T3_PNS10_IS15_E10value_typeET4_jRbjT5_S1B_jjP12ihipStream_tbEUljE_EEESW_SX_SY_S15_S19_S1B_T6_T7_T9_mT8_S1D_bDpT10_ENKUlT_T0_E_clISt17integral_constantIbLb1EES1Q_EEDaS1L_S1M_EUlS1L_E_NS1_11comp_targetILNS1_3genE2ELNS1_11target_archE906ELNS1_3gpuE6ELNS1_3repE0EEENS1_30default_config_static_selectorELNS0_4arch9wavefront6targetE1EEEvSZ_.has_indirect_call, 0
	.section	.AMDGPU.csdata,"",@progbits
; Kernel info:
; codeLenInByte = 4
; TotalNumSgprs: 4
; NumVgprs: 0
; ScratchSize: 0
; MemoryBound: 0
; FloatMode: 240
; IeeeMode: 1
; LDSByteSize: 0 bytes/workgroup (compile time only)
; SGPRBlocks: 0
; VGPRBlocks: 0
; NumSGPRsForWavesPerEU: 4
; NumVGPRsForWavesPerEU: 1
; Occupancy: 10
; WaveLimiterHint : 0
; COMPUTE_PGM_RSRC2:SCRATCH_EN: 0
; COMPUTE_PGM_RSRC2:USER_SGPR: 6
; COMPUTE_PGM_RSRC2:TRAP_HANDLER: 0
; COMPUTE_PGM_RSRC2:TGID_X_EN: 1
; COMPUTE_PGM_RSRC2:TGID_Y_EN: 0
; COMPUTE_PGM_RSRC2:TGID_Z_EN: 0
; COMPUTE_PGM_RSRC2:TIDIG_COMP_CNT: 0
	.section	.text._ZN7rocprim17ROCPRIM_400000_NS6detail17trampoline_kernelINS0_13select_configILj256ELj13ELNS0_17block_load_methodE3ELS4_3ELS4_3ELNS0_20block_scan_algorithmE0ELj4294967295EEENS1_25partition_config_selectorILNS1_17partition_subalgoE3EjNS0_10empty_typeEbEEZZNS1_14partition_implILS8_3ELb0ES6_jNS0_17counting_iteratorIjlEEPS9_SE_NS0_5tupleIJPjSE_EEENSF_IJSE_SE_EEES9_SG_JZNS1_25segmented_radix_sort_implINS0_14default_configELb0EPK12hip_bfloat16PSL_PKlPlN2at6native12_GLOBAL__N_18offset_tEEE10hipError_tPvRmT1_PNSt15iterator_traitsISZ_E10value_typeET2_T3_PNS10_IS15_E10value_typeET4_jRbjT5_S1B_jjP12ihipStream_tbEUljE_EEESW_SX_SY_S15_S19_S1B_T6_T7_T9_mT8_S1D_bDpT10_ENKUlT_T0_E_clISt17integral_constantIbLb1EES1Q_EEDaS1L_S1M_EUlS1L_E_NS1_11comp_targetILNS1_3genE10ELNS1_11target_archE1200ELNS1_3gpuE4ELNS1_3repE0EEENS1_30default_config_static_selectorELNS0_4arch9wavefront6targetE1EEEvSZ_,"axG",@progbits,_ZN7rocprim17ROCPRIM_400000_NS6detail17trampoline_kernelINS0_13select_configILj256ELj13ELNS0_17block_load_methodE3ELS4_3ELS4_3ELNS0_20block_scan_algorithmE0ELj4294967295EEENS1_25partition_config_selectorILNS1_17partition_subalgoE3EjNS0_10empty_typeEbEEZZNS1_14partition_implILS8_3ELb0ES6_jNS0_17counting_iteratorIjlEEPS9_SE_NS0_5tupleIJPjSE_EEENSF_IJSE_SE_EEES9_SG_JZNS1_25segmented_radix_sort_implINS0_14default_configELb0EPK12hip_bfloat16PSL_PKlPlN2at6native12_GLOBAL__N_18offset_tEEE10hipError_tPvRmT1_PNSt15iterator_traitsISZ_E10value_typeET2_T3_PNS10_IS15_E10value_typeET4_jRbjT5_S1B_jjP12ihipStream_tbEUljE_EEESW_SX_SY_S15_S19_S1B_T6_T7_T9_mT8_S1D_bDpT10_ENKUlT_T0_E_clISt17integral_constantIbLb1EES1Q_EEDaS1L_S1M_EUlS1L_E_NS1_11comp_targetILNS1_3genE10ELNS1_11target_archE1200ELNS1_3gpuE4ELNS1_3repE0EEENS1_30default_config_static_selectorELNS0_4arch9wavefront6targetE1EEEvSZ_,comdat
	.globl	_ZN7rocprim17ROCPRIM_400000_NS6detail17trampoline_kernelINS0_13select_configILj256ELj13ELNS0_17block_load_methodE3ELS4_3ELS4_3ELNS0_20block_scan_algorithmE0ELj4294967295EEENS1_25partition_config_selectorILNS1_17partition_subalgoE3EjNS0_10empty_typeEbEEZZNS1_14partition_implILS8_3ELb0ES6_jNS0_17counting_iteratorIjlEEPS9_SE_NS0_5tupleIJPjSE_EEENSF_IJSE_SE_EEES9_SG_JZNS1_25segmented_radix_sort_implINS0_14default_configELb0EPK12hip_bfloat16PSL_PKlPlN2at6native12_GLOBAL__N_18offset_tEEE10hipError_tPvRmT1_PNSt15iterator_traitsISZ_E10value_typeET2_T3_PNS10_IS15_E10value_typeET4_jRbjT5_S1B_jjP12ihipStream_tbEUljE_EEESW_SX_SY_S15_S19_S1B_T6_T7_T9_mT8_S1D_bDpT10_ENKUlT_T0_E_clISt17integral_constantIbLb1EES1Q_EEDaS1L_S1M_EUlS1L_E_NS1_11comp_targetILNS1_3genE10ELNS1_11target_archE1200ELNS1_3gpuE4ELNS1_3repE0EEENS1_30default_config_static_selectorELNS0_4arch9wavefront6targetE1EEEvSZ_ ; -- Begin function _ZN7rocprim17ROCPRIM_400000_NS6detail17trampoline_kernelINS0_13select_configILj256ELj13ELNS0_17block_load_methodE3ELS4_3ELS4_3ELNS0_20block_scan_algorithmE0ELj4294967295EEENS1_25partition_config_selectorILNS1_17partition_subalgoE3EjNS0_10empty_typeEbEEZZNS1_14partition_implILS8_3ELb0ES6_jNS0_17counting_iteratorIjlEEPS9_SE_NS0_5tupleIJPjSE_EEENSF_IJSE_SE_EEES9_SG_JZNS1_25segmented_radix_sort_implINS0_14default_configELb0EPK12hip_bfloat16PSL_PKlPlN2at6native12_GLOBAL__N_18offset_tEEE10hipError_tPvRmT1_PNSt15iterator_traitsISZ_E10value_typeET2_T3_PNS10_IS15_E10value_typeET4_jRbjT5_S1B_jjP12ihipStream_tbEUljE_EEESW_SX_SY_S15_S19_S1B_T6_T7_T9_mT8_S1D_bDpT10_ENKUlT_T0_E_clISt17integral_constantIbLb1EES1Q_EEDaS1L_S1M_EUlS1L_E_NS1_11comp_targetILNS1_3genE10ELNS1_11target_archE1200ELNS1_3gpuE4ELNS1_3repE0EEENS1_30default_config_static_selectorELNS0_4arch9wavefront6targetE1EEEvSZ_
	.p2align	8
	.type	_ZN7rocprim17ROCPRIM_400000_NS6detail17trampoline_kernelINS0_13select_configILj256ELj13ELNS0_17block_load_methodE3ELS4_3ELS4_3ELNS0_20block_scan_algorithmE0ELj4294967295EEENS1_25partition_config_selectorILNS1_17partition_subalgoE3EjNS0_10empty_typeEbEEZZNS1_14partition_implILS8_3ELb0ES6_jNS0_17counting_iteratorIjlEEPS9_SE_NS0_5tupleIJPjSE_EEENSF_IJSE_SE_EEES9_SG_JZNS1_25segmented_radix_sort_implINS0_14default_configELb0EPK12hip_bfloat16PSL_PKlPlN2at6native12_GLOBAL__N_18offset_tEEE10hipError_tPvRmT1_PNSt15iterator_traitsISZ_E10value_typeET2_T3_PNS10_IS15_E10value_typeET4_jRbjT5_S1B_jjP12ihipStream_tbEUljE_EEESW_SX_SY_S15_S19_S1B_T6_T7_T9_mT8_S1D_bDpT10_ENKUlT_T0_E_clISt17integral_constantIbLb1EES1Q_EEDaS1L_S1M_EUlS1L_E_NS1_11comp_targetILNS1_3genE10ELNS1_11target_archE1200ELNS1_3gpuE4ELNS1_3repE0EEENS1_30default_config_static_selectorELNS0_4arch9wavefront6targetE1EEEvSZ_,@function
_ZN7rocprim17ROCPRIM_400000_NS6detail17trampoline_kernelINS0_13select_configILj256ELj13ELNS0_17block_load_methodE3ELS4_3ELS4_3ELNS0_20block_scan_algorithmE0ELj4294967295EEENS1_25partition_config_selectorILNS1_17partition_subalgoE3EjNS0_10empty_typeEbEEZZNS1_14partition_implILS8_3ELb0ES6_jNS0_17counting_iteratorIjlEEPS9_SE_NS0_5tupleIJPjSE_EEENSF_IJSE_SE_EEES9_SG_JZNS1_25segmented_radix_sort_implINS0_14default_configELb0EPK12hip_bfloat16PSL_PKlPlN2at6native12_GLOBAL__N_18offset_tEEE10hipError_tPvRmT1_PNSt15iterator_traitsISZ_E10value_typeET2_T3_PNS10_IS15_E10value_typeET4_jRbjT5_S1B_jjP12ihipStream_tbEUljE_EEESW_SX_SY_S15_S19_S1B_T6_T7_T9_mT8_S1D_bDpT10_ENKUlT_T0_E_clISt17integral_constantIbLb1EES1Q_EEDaS1L_S1M_EUlS1L_E_NS1_11comp_targetILNS1_3genE10ELNS1_11target_archE1200ELNS1_3gpuE4ELNS1_3repE0EEENS1_30default_config_static_selectorELNS0_4arch9wavefront6targetE1EEEvSZ_: ; @_ZN7rocprim17ROCPRIM_400000_NS6detail17trampoline_kernelINS0_13select_configILj256ELj13ELNS0_17block_load_methodE3ELS4_3ELS4_3ELNS0_20block_scan_algorithmE0ELj4294967295EEENS1_25partition_config_selectorILNS1_17partition_subalgoE3EjNS0_10empty_typeEbEEZZNS1_14partition_implILS8_3ELb0ES6_jNS0_17counting_iteratorIjlEEPS9_SE_NS0_5tupleIJPjSE_EEENSF_IJSE_SE_EEES9_SG_JZNS1_25segmented_radix_sort_implINS0_14default_configELb0EPK12hip_bfloat16PSL_PKlPlN2at6native12_GLOBAL__N_18offset_tEEE10hipError_tPvRmT1_PNSt15iterator_traitsISZ_E10value_typeET2_T3_PNS10_IS15_E10value_typeET4_jRbjT5_S1B_jjP12ihipStream_tbEUljE_EEESW_SX_SY_S15_S19_S1B_T6_T7_T9_mT8_S1D_bDpT10_ENKUlT_T0_E_clISt17integral_constantIbLb1EES1Q_EEDaS1L_S1M_EUlS1L_E_NS1_11comp_targetILNS1_3genE10ELNS1_11target_archE1200ELNS1_3gpuE4ELNS1_3repE0EEENS1_30default_config_static_selectorELNS0_4arch9wavefront6targetE1EEEvSZ_
; %bb.0:
	.section	.rodata,"a",@progbits
	.p2align	6, 0x0
	.amdhsa_kernel _ZN7rocprim17ROCPRIM_400000_NS6detail17trampoline_kernelINS0_13select_configILj256ELj13ELNS0_17block_load_methodE3ELS4_3ELS4_3ELNS0_20block_scan_algorithmE0ELj4294967295EEENS1_25partition_config_selectorILNS1_17partition_subalgoE3EjNS0_10empty_typeEbEEZZNS1_14partition_implILS8_3ELb0ES6_jNS0_17counting_iteratorIjlEEPS9_SE_NS0_5tupleIJPjSE_EEENSF_IJSE_SE_EEES9_SG_JZNS1_25segmented_radix_sort_implINS0_14default_configELb0EPK12hip_bfloat16PSL_PKlPlN2at6native12_GLOBAL__N_18offset_tEEE10hipError_tPvRmT1_PNSt15iterator_traitsISZ_E10value_typeET2_T3_PNS10_IS15_E10value_typeET4_jRbjT5_S1B_jjP12ihipStream_tbEUljE_EEESW_SX_SY_S15_S19_S1B_T6_T7_T9_mT8_S1D_bDpT10_ENKUlT_T0_E_clISt17integral_constantIbLb1EES1Q_EEDaS1L_S1M_EUlS1L_E_NS1_11comp_targetILNS1_3genE10ELNS1_11target_archE1200ELNS1_3gpuE4ELNS1_3repE0EEENS1_30default_config_static_selectorELNS0_4arch9wavefront6targetE1EEEvSZ_
		.amdhsa_group_segment_fixed_size 0
		.amdhsa_private_segment_fixed_size 0
		.amdhsa_kernarg_size 152
		.amdhsa_user_sgpr_count 6
		.amdhsa_user_sgpr_private_segment_buffer 1
		.amdhsa_user_sgpr_dispatch_ptr 0
		.amdhsa_user_sgpr_queue_ptr 0
		.amdhsa_user_sgpr_kernarg_segment_ptr 1
		.amdhsa_user_sgpr_dispatch_id 0
		.amdhsa_user_sgpr_flat_scratch_init 0
		.amdhsa_user_sgpr_private_segment_size 0
		.amdhsa_uses_dynamic_stack 0
		.amdhsa_system_sgpr_private_segment_wavefront_offset 0
		.amdhsa_system_sgpr_workgroup_id_x 1
		.amdhsa_system_sgpr_workgroup_id_y 0
		.amdhsa_system_sgpr_workgroup_id_z 0
		.amdhsa_system_sgpr_workgroup_info 0
		.amdhsa_system_vgpr_workitem_id 0
		.amdhsa_next_free_vgpr 1
		.amdhsa_next_free_sgpr 0
		.amdhsa_reserve_vcc 0
		.amdhsa_reserve_flat_scratch 0
		.amdhsa_float_round_mode_32 0
		.amdhsa_float_round_mode_16_64 0
		.amdhsa_float_denorm_mode_32 3
		.amdhsa_float_denorm_mode_16_64 3
		.amdhsa_dx10_clamp 1
		.amdhsa_ieee_mode 1
		.amdhsa_fp16_overflow 0
		.amdhsa_exception_fp_ieee_invalid_op 0
		.amdhsa_exception_fp_denorm_src 0
		.amdhsa_exception_fp_ieee_div_zero 0
		.amdhsa_exception_fp_ieee_overflow 0
		.amdhsa_exception_fp_ieee_underflow 0
		.amdhsa_exception_fp_ieee_inexact 0
		.amdhsa_exception_int_div_zero 0
	.end_amdhsa_kernel
	.section	.text._ZN7rocprim17ROCPRIM_400000_NS6detail17trampoline_kernelINS0_13select_configILj256ELj13ELNS0_17block_load_methodE3ELS4_3ELS4_3ELNS0_20block_scan_algorithmE0ELj4294967295EEENS1_25partition_config_selectorILNS1_17partition_subalgoE3EjNS0_10empty_typeEbEEZZNS1_14partition_implILS8_3ELb0ES6_jNS0_17counting_iteratorIjlEEPS9_SE_NS0_5tupleIJPjSE_EEENSF_IJSE_SE_EEES9_SG_JZNS1_25segmented_radix_sort_implINS0_14default_configELb0EPK12hip_bfloat16PSL_PKlPlN2at6native12_GLOBAL__N_18offset_tEEE10hipError_tPvRmT1_PNSt15iterator_traitsISZ_E10value_typeET2_T3_PNS10_IS15_E10value_typeET4_jRbjT5_S1B_jjP12ihipStream_tbEUljE_EEESW_SX_SY_S15_S19_S1B_T6_T7_T9_mT8_S1D_bDpT10_ENKUlT_T0_E_clISt17integral_constantIbLb1EES1Q_EEDaS1L_S1M_EUlS1L_E_NS1_11comp_targetILNS1_3genE10ELNS1_11target_archE1200ELNS1_3gpuE4ELNS1_3repE0EEENS1_30default_config_static_selectorELNS0_4arch9wavefront6targetE1EEEvSZ_,"axG",@progbits,_ZN7rocprim17ROCPRIM_400000_NS6detail17trampoline_kernelINS0_13select_configILj256ELj13ELNS0_17block_load_methodE3ELS4_3ELS4_3ELNS0_20block_scan_algorithmE0ELj4294967295EEENS1_25partition_config_selectorILNS1_17partition_subalgoE3EjNS0_10empty_typeEbEEZZNS1_14partition_implILS8_3ELb0ES6_jNS0_17counting_iteratorIjlEEPS9_SE_NS0_5tupleIJPjSE_EEENSF_IJSE_SE_EEES9_SG_JZNS1_25segmented_radix_sort_implINS0_14default_configELb0EPK12hip_bfloat16PSL_PKlPlN2at6native12_GLOBAL__N_18offset_tEEE10hipError_tPvRmT1_PNSt15iterator_traitsISZ_E10value_typeET2_T3_PNS10_IS15_E10value_typeET4_jRbjT5_S1B_jjP12ihipStream_tbEUljE_EEESW_SX_SY_S15_S19_S1B_T6_T7_T9_mT8_S1D_bDpT10_ENKUlT_T0_E_clISt17integral_constantIbLb1EES1Q_EEDaS1L_S1M_EUlS1L_E_NS1_11comp_targetILNS1_3genE10ELNS1_11target_archE1200ELNS1_3gpuE4ELNS1_3repE0EEENS1_30default_config_static_selectorELNS0_4arch9wavefront6targetE1EEEvSZ_,comdat
.Lfunc_end2030:
	.size	_ZN7rocprim17ROCPRIM_400000_NS6detail17trampoline_kernelINS0_13select_configILj256ELj13ELNS0_17block_load_methodE3ELS4_3ELS4_3ELNS0_20block_scan_algorithmE0ELj4294967295EEENS1_25partition_config_selectorILNS1_17partition_subalgoE3EjNS0_10empty_typeEbEEZZNS1_14partition_implILS8_3ELb0ES6_jNS0_17counting_iteratorIjlEEPS9_SE_NS0_5tupleIJPjSE_EEENSF_IJSE_SE_EEES9_SG_JZNS1_25segmented_radix_sort_implINS0_14default_configELb0EPK12hip_bfloat16PSL_PKlPlN2at6native12_GLOBAL__N_18offset_tEEE10hipError_tPvRmT1_PNSt15iterator_traitsISZ_E10value_typeET2_T3_PNS10_IS15_E10value_typeET4_jRbjT5_S1B_jjP12ihipStream_tbEUljE_EEESW_SX_SY_S15_S19_S1B_T6_T7_T9_mT8_S1D_bDpT10_ENKUlT_T0_E_clISt17integral_constantIbLb1EES1Q_EEDaS1L_S1M_EUlS1L_E_NS1_11comp_targetILNS1_3genE10ELNS1_11target_archE1200ELNS1_3gpuE4ELNS1_3repE0EEENS1_30default_config_static_selectorELNS0_4arch9wavefront6targetE1EEEvSZ_, .Lfunc_end2030-_ZN7rocprim17ROCPRIM_400000_NS6detail17trampoline_kernelINS0_13select_configILj256ELj13ELNS0_17block_load_methodE3ELS4_3ELS4_3ELNS0_20block_scan_algorithmE0ELj4294967295EEENS1_25partition_config_selectorILNS1_17partition_subalgoE3EjNS0_10empty_typeEbEEZZNS1_14partition_implILS8_3ELb0ES6_jNS0_17counting_iteratorIjlEEPS9_SE_NS0_5tupleIJPjSE_EEENSF_IJSE_SE_EEES9_SG_JZNS1_25segmented_radix_sort_implINS0_14default_configELb0EPK12hip_bfloat16PSL_PKlPlN2at6native12_GLOBAL__N_18offset_tEEE10hipError_tPvRmT1_PNSt15iterator_traitsISZ_E10value_typeET2_T3_PNS10_IS15_E10value_typeET4_jRbjT5_S1B_jjP12ihipStream_tbEUljE_EEESW_SX_SY_S15_S19_S1B_T6_T7_T9_mT8_S1D_bDpT10_ENKUlT_T0_E_clISt17integral_constantIbLb1EES1Q_EEDaS1L_S1M_EUlS1L_E_NS1_11comp_targetILNS1_3genE10ELNS1_11target_archE1200ELNS1_3gpuE4ELNS1_3repE0EEENS1_30default_config_static_selectorELNS0_4arch9wavefront6targetE1EEEvSZ_
                                        ; -- End function
	.set _ZN7rocprim17ROCPRIM_400000_NS6detail17trampoline_kernelINS0_13select_configILj256ELj13ELNS0_17block_load_methodE3ELS4_3ELS4_3ELNS0_20block_scan_algorithmE0ELj4294967295EEENS1_25partition_config_selectorILNS1_17partition_subalgoE3EjNS0_10empty_typeEbEEZZNS1_14partition_implILS8_3ELb0ES6_jNS0_17counting_iteratorIjlEEPS9_SE_NS0_5tupleIJPjSE_EEENSF_IJSE_SE_EEES9_SG_JZNS1_25segmented_radix_sort_implINS0_14default_configELb0EPK12hip_bfloat16PSL_PKlPlN2at6native12_GLOBAL__N_18offset_tEEE10hipError_tPvRmT1_PNSt15iterator_traitsISZ_E10value_typeET2_T3_PNS10_IS15_E10value_typeET4_jRbjT5_S1B_jjP12ihipStream_tbEUljE_EEESW_SX_SY_S15_S19_S1B_T6_T7_T9_mT8_S1D_bDpT10_ENKUlT_T0_E_clISt17integral_constantIbLb1EES1Q_EEDaS1L_S1M_EUlS1L_E_NS1_11comp_targetILNS1_3genE10ELNS1_11target_archE1200ELNS1_3gpuE4ELNS1_3repE0EEENS1_30default_config_static_selectorELNS0_4arch9wavefront6targetE1EEEvSZ_.num_vgpr, 0
	.set _ZN7rocprim17ROCPRIM_400000_NS6detail17trampoline_kernelINS0_13select_configILj256ELj13ELNS0_17block_load_methodE3ELS4_3ELS4_3ELNS0_20block_scan_algorithmE0ELj4294967295EEENS1_25partition_config_selectorILNS1_17partition_subalgoE3EjNS0_10empty_typeEbEEZZNS1_14partition_implILS8_3ELb0ES6_jNS0_17counting_iteratorIjlEEPS9_SE_NS0_5tupleIJPjSE_EEENSF_IJSE_SE_EEES9_SG_JZNS1_25segmented_radix_sort_implINS0_14default_configELb0EPK12hip_bfloat16PSL_PKlPlN2at6native12_GLOBAL__N_18offset_tEEE10hipError_tPvRmT1_PNSt15iterator_traitsISZ_E10value_typeET2_T3_PNS10_IS15_E10value_typeET4_jRbjT5_S1B_jjP12ihipStream_tbEUljE_EEESW_SX_SY_S15_S19_S1B_T6_T7_T9_mT8_S1D_bDpT10_ENKUlT_T0_E_clISt17integral_constantIbLb1EES1Q_EEDaS1L_S1M_EUlS1L_E_NS1_11comp_targetILNS1_3genE10ELNS1_11target_archE1200ELNS1_3gpuE4ELNS1_3repE0EEENS1_30default_config_static_selectorELNS0_4arch9wavefront6targetE1EEEvSZ_.num_agpr, 0
	.set _ZN7rocprim17ROCPRIM_400000_NS6detail17trampoline_kernelINS0_13select_configILj256ELj13ELNS0_17block_load_methodE3ELS4_3ELS4_3ELNS0_20block_scan_algorithmE0ELj4294967295EEENS1_25partition_config_selectorILNS1_17partition_subalgoE3EjNS0_10empty_typeEbEEZZNS1_14partition_implILS8_3ELb0ES6_jNS0_17counting_iteratorIjlEEPS9_SE_NS0_5tupleIJPjSE_EEENSF_IJSE_SE_EEES9_SG_JZNS1_25segmented_radix_sort_implINS0_14default_configELb0EPK12hip_bfloat16PSL_PKlPlN2at6native12_GLOBAL__N_18offset_tEEE10hipError_tPvRmT1_PNSt15iterator_traitsISZ_E10value_typeET2_T3_PNS10_IS15_E10value_typeET4_jRbjT5_S1B_jjP12ihipStream_tbEUljE_EEESW_SX_SY_S15_S19_S1B_T6_T7_T9_mT8_S1D_bDpT10_ENKUlT_T0_E_clISt17integral_constantIbLb1EES1Q_EEDaS1L_S1M_EUlS1L_E_NS1_11comp_targetILNS1_3genE10ELNS1_11target_archE1200ELNS1_3gpuE4ELNS1_3repE0EEENS1_30default_config_static_selectorELNS0_4arch9wavefront6targetE1EEEvSZ_.numbered_sgpr, 0
	.set _ZN7rocprim17ROCPRIM_400000_NS6detail17trampoline_kernelINS0_13select_configILj256ELj13ELNS0_17block_load_methodE3ELS4_3ELS4_3ELNS0_20block_scan_algorithmE0ELj4294967295EEENS1_25partition_config_selectorILNS1_17partition_subalgoE3EjNS0_10empty_typeEbEEZZNS1_14partition_implILS8_3ELb0ES6_jNS0_17counting_iteratorIjlEEPS9_SE_NS0_5tupleIJPjSE_EEENSF_IJSE_SE_EEES9_SG_JZNS1_25segmented_radix_sort_implINS0_14default_configELb0EPK12hip_bfloat16PSL_PKlPlN2at6native12_GLOBAL__N_18offset_tEEE10hipError_tPvRmT1_PNSt15iterator_traitsISZ_E10value_typeET2_T3_PNS10_IS15_E10value_typeET4_jRbjT5_S1B_jjP12ihipStream_tbEUljE_EEESW_SX_SY_S15_S19_S1B_T6_T7_T9_mT8_S1D_bDpT10_ENKUlT_T0_E_clISt17integral_constantIbLb1EES1Q_EEDaS1L_S1M_EUlS1L_E_NS1_11comp_targetILNS1_3genE10ELNS1_11target_archE1200ELNS1_3gpuE4ELNS1_3repE0EEENS1_30default_config_static_selectorELNS0_4arch9wavefront6targetE1EEEvSZ_.num_named_barrier, 0
	.set _ZN7rocprim17ROCPRIM_400000_NS6detail17trampoline_kernelINS0_13select_configILj256ELj13ELNS0_17block_load_methodE3ELS4_3ELS4_3ELNS0_20block_scan_algorithmE0ELj4294967295EEENS1_25partition_config_selectorILNS1_17partition_subalgoE3EjNS0_10empty_typeEbEEZZNS1_14partition_implILS8_3ELb0ES6_jNS0_17counting_iteratorIjlEEPS9_SE_NS0_5tupleIJPjSE_EEENSF_IJSE_SE_EEES9_SG_JZNS1_25segmented_radix_sort_implINS0_14default_configELb0EPK12hip_bfloat16PSL_PKlPlN2at6native12_GLOBAL__N_18offset_tEEE10hipError_tPvRmT1_PNSt15iterator_traitsISZ_E10value_typeET2_T3_PNS10_IS15_E10value_typeET4_jRbjT5_S1B_jjP12ihipStream_tbEUljE_EEESW_SX_SY_S15_S19_S1B_T6_T7_T9_mT8_S1D_bDpT10_ENKUlT_T0_E_clISt17integral_constantIbLb1EES1Q_EEDaS1L_S1M_EUlS1L_E_NS1_11comp_targetILNS1_3genE10ELNS1_11target_archE1200ELNS1_3gpuE4ELNS1_3repE0EEENS1_30default_config_static_selectorELNS0_4arch9wavefront6targetE1EEEvSZ_.private_seg_size, 0
	.set _ZN7rocprim17ROCPRIM_400000_NS6detail17trampoline_kernelINS0_13select_configILj256ELj13ELNS0_17block_load_methodE3ELS4_3ELS4_3ELNS0_20block_scan_algorithmE0ELj4294967295EEENS1_25partition_config_selectorILNS1_17partition_subalgoE3EjNS0_10empty_typeEbEEZZNS1_14partition_implILS8_3ELb0ES6_jNS0_17counting_iteratorIjlEEPS9_SE_NS0_5tupleIJPjSE_EEENSF_IJSE_SE_EEES9_SG_JZNS1_25segmented_radix_sort_implINS0_14default_configELb0EPK12hip_bfloat16PSL_PKlPlN2at6native12_GLOBAL__N_18offset_tEEE10hipError_tPvRmT1_PNSt15iterator_traitsISZ_E10value_typeET2_T3_PNS10_IS15_E10value_typeET4_jRbjT5_S1B_jjP12ihipStream_tbEUljE_EEESW_SX_SY_S15_S19_S1B_T6_T7_T9_mT8_S1D_bDpT10_ENKUlT_T0_E_clISt17integral_constantIbLb1EES1Q_EEDaS1L_S1M_EUlS1L_E_NS1_11comp_targetILNS1_3genE10ELNS1_11target_archE1200ELNS1_3gpuE4ELNS1_3repE0EEENS1_30default_config_static_selectorELNS0_4arch9wavefront6targetE1EEEvSZ_.uses_vcc, 0
	.set _ZN7rocprim17ROCPRIM_400000_NS6detail17trampoline_kernelINS0_13select_configILj256ELj13ELNS0_17block_load_methodE3ELS4_3ELS4_3ELNS0_20block_scan_algorithmE0ELj4294967295EEENS1_25partition_config_selectorILNS1_17partition_subalgoE3EjNS0_10empty_typeEbEEZZNS1_14partition_implILS8_3ELb0ES6_jNS0_17counting_iteratorIjlEEPS9_SE_NS0_5tupleIJPjSE_EEENSF_IJSE_SE_EEES9_SG_JZNS1_25segmented_radix_sort_implINS0_14default_configELb0EPK12hip_bfloat16PSL_PKlPlN2at6native12_GLOBAL__N_18offset_tEEE10hipError_tPvRmT1_PNSt15iterator_traitsISZ_E10value_typeET2_T3_PNS10_IS15_E10value_typeET4_jRbjT5_S1B_jjP12ihipStream_tbEUljE_EEESW_SX_SY_S15_S19_S1B_T6_T7_T9_mT8_S1D_bDpT10_ENKUlT_T0_E_clISt17integral_constantIbLb1EES1Q_EEDaS1L_S1M_EUlS1L_E_NS1_11comp_targetILNS1_3genE10ELNS1_11target_archE1200ELNS1_3gpuE4ELNS1_3repE0EEENS1_30default_config_static_selectorELNS0_4arch9wavefront6targetE1EEEvSZ_.uses_flat_scratch, 0
	.set _ZN7rocprim17ROCPRIM_400000_NS6detail17trampoline_kernelINS0_13select_configILj256ELj13ELNS0_17block_load_methodE3ELS4_3ELS4_3ELNS0_20block_scan_algorithmE0ELj4294967295EEENS1_25partition_config_selectorILNS1_17partition_subalgoE3EjNS0_10empty_typeEbEEZZNS1_14partition_implILS8_3ELb0ES6_jNS0_17counting_iteratorIjlEEPS9_SE_NS0_5tupleIJPjSE_EEENSF_IJSE_SE_EEES9_SG_JZNS1_25segmented_radix_sort_implINS0_14default_configELb0EPK12hip_bfloat16PSL_PKlPlN2at6native12_GLOBAL__N_18offset_tEEE10hipError_tPvRmT1_PNSt15iterator_traitsISZ_E10value_typeET2_T3_PNS10_IS15_E10value_typeET4_jRbjT5_S1B_jjP12ihipStream_tbEUljE_EEESW_SX_SY_S15_S19_S1B_T6_T7_T9_mT8_S1D_bDpT10_ENKUlT_T0_E_clISt17integral_constantIbLb1EES1Q_EEDaS1L_S1M_EUlS1L_E_NS1_11comp_targetILNS1_3genE10ELNS1_11target_archE1200ELNS1_3gpuE4ELNS1_3repE0EEENS1_30default_config_static_selectorELNS0_4arch9wavefront6targetE1EEEvSZ_.has_dyn_sized_stack, 0
	.set _ZN7rocprim17ROCPRIM_400000_NS6detail17trampoline_kernelINS0_13select_configILj256ELj13ELNS0_17block_load_methodE3ELS4_3ELS4_3ELNS0_20block_scan_algorithmE0ELj4294967295EEENS1_25partition_config_selectorILNS1_17partition_subalgoE3EjNS0_10empty_typeEbEEZZNS1_14partition_implILS8_3ELb0ES6_jNS0_17counting_iteratorIjlEEPS9_SE_NS0_5tupleIJPjSE_EEENSF_IJSE_SE_EEES9_SG_JZNS1_25segmented_radix_sort_implINS0_14default_configELb0EPK12hip_bfloat16PSL_PKlPlN2at6native12_GLOBAL__N_18offset_tEEE10hipError_tPvRmT1_PNSt15iterator_traitsISZ_E10value_typeET2_T3_PNS10_IS15_E10value_typeET4_jRbjT5_S1B_jjP12ihipStream_tbEUljE_EEESW_SX_SY_S15_S19_S1B_T6_T7_T9_mT8_S1D_bDpT10_ENKUlT_T0_E_clISt17integral_constantIbLb1EES1Q_EEDaS1L_S1M_EUlS1L_E_NS1_11comp_targetILNS1_3genE10ELNS1_11target_archE1200ELNS1_3gpuE4ELNS1_3repE0EEENS1_30default_config_static_selectorELNS0_4arch9wavefront6targetE1EEEvSZ_.has_recursion, 0
	.set _ZN7rocprim17ROCPRIM_400000_NS6detail17trampoline_kernelINS0_13select_configILj256ELj13ELNS0_17block_load_methodE3ELS4_3ELS4_3ELNS0_20block_scan_algorithmE0ELj4294967295EEENS1_25partition_config_selectorILNS1_17partition_subalgoE3EjNS0_10empty_typeEbEEZZNS1_14partition_implILS8_3ELb0ES6_jNS0_17counting_iteratorIjlEEPS9_SE_NS0_5tupleIJPjSE_EEENSF_IJSE_SE_EEES9_SG_JZNS1_25segmented_radix_sort_implINS0_14default_configELb0EPK12hip_bfloat16PSL_PKlPlN2at6native12_GLOBAL__N_18offset_tEEE10hipError_tPvRmT1_PNSt15iterator_traitsISZ_E10value_typeET2_T3_PNS10_IS15_E10value_typeET4_jRbjT5_S1B_jjP12ihipStream_tbEUljE_EEESW_SX_SY_S15_S19_S1B_T6_T7_T9_mT8_S1D_bDpT10_ENKUlT_T0_E_clISt17integral_constantIbLb1EES1Q_EEDaS1L_S1M_EUlS1L_E_NS1_11comp_targetILNS1_3genE10ELNS1_11target_archE1200ELNS1_3gpuE4ELNS1_3repE0EEENS1_30default_config_static_selectorELNS0_4arch9wavefront6targetE1EEEvSZ_.has_indirect_call, 0
	.section	.AMDGPU.csdata,"",@progbits
; Kernel info:
; codeLenInByte = 0
; TotalNumSgprs: 4
; NumVgprs: 0
; ScratchSize: 0
; MemoryBound: 0
; FloatMode: 240
; IeeeMode: 1
; LDSByteSize: 0 bytes/workgroup (compile time only)
; SGPRBlocks: 0
; VGPRBlocks: 0
; NumSGPRsForWavesPerEU: 4
; NumVGPRsForWavesPerEU: 1
; Occupancy: 10
; WaveLimiterHint : 0
; COMPUTE_PGM_RSRC2:SCRATCH_EN: 0
; COMPUTE_PGM_RSRC2:USER_SGPR: 6
; COMPUTE_PGM_RSRC2:TRAP_HANDLER: 0
; COMPUTE_PGM_RSRC2:TGID_X_EN: 1
; COMPUTE_PGM_RSRC2:TGID_Y_EN: 0
; COMPUTE_PGM_RSRC2:TGID_Z_EN: 0
; COMPUTE_PGM_RSRC2:TIDIG_COMP_CNT: 0
	.section	.text._ZN7rocprim17ROCPRIM_400000_NS6detail17trampoline_kernelINS0_13select_configILj256ELj13ELNS0_17block_load_methodE3ELS4_3ELS4_3ELNS0_20block_scan_algorithmE0ELj4294967295EEENS1_25partition_config_selectorILNS1_17partition_subalgoE3EjNS0_10empty_typeEbEEZZNS1_14partition_implILS8_3ELb0ES6_jNS0_17counting_iteratorIjlEEPS9_SE_NS0_5tupleIJPjSE_EEENSF_IJSE_SE_EEES9_SG_JZNS1_25segmented_radix_sort_implINS0_14default_configELb0EPK12hip_bfloat16PSL_PKlPlN2at6native12_GLOBAL__N_18offset_tEEE10hipError_tPvRmT1_PNSt15iterator_traitsISZ_E10value_typeET2_T3_PNS10_IS15_E10value_typeET4_jRbjT5_S1B_jjP12ihipStream_tbEUljE_EEESW_SX_SY_S15_S19_S1B_T6_T7_T9_mT8_S1D_bDpT10_ENKUlT_T0_E_clISt17integral_constantIbLb1EES1Q_EEDaS1L_S1M_EUlS1L_E_NS1_11comp_targetILNS1_3genE9ELNS1_11target_archE1100ELNS1_3gpuE3ELNS1_3repE0EEENS1_30default_config_static_selectorELNS0_4arch9wavefront6targetE1EEEvSZ_,"axG",@progbits,_ZN7rocprim17ROCPRIM_400000_NS6detail17trampoline_kernelINS0_13select_configILj256ELj13ELNS0_17block_load_methodE3ELS4_3ELS4_3ELNS0_20block_scan_algorithmE0ELj4294967295EEENS1_25partition_config_selectorILNS1_17partition_subalgoE3EjNS0_10empty_typeEbEEZZNS1_14partition_implILS8_3ELb0ES6_jNS0_17counting_iteratorIjlEEPS9_SE_NS0_5tupleIJPjSE_EEENSF_IJSE_SE_EEES9_SG_JZNS1_25segmented_radix_sort_implINS0_14default_configELb0EPK12hip_bfloat16PSL_PKlPlN2at6native12_GLOBAL__N_18offset_tEEE10hipError_tPvRmT1_PNSt15iterator_traitsISZ_E10value_typeET2_T3_PNS10_IS15_E10value_typeET4_jRbjT5_S1B_jjP12ihipStream_tbEUljE_EEESW_SX_SY_S15_S19_S1B_T6_T7_T9_mT8_S1D_bDpT10_ENKUlT_T0_E_clISt17integral_constantIbLb1EES1Q_EEDaS1L_S1M_EUlS1L_E_NS1_11comp_targetILNS1_3genE9ELNS1_11target_archE1100ELNS1_3gpuE3ELNS1_3repE0EEENS1_30default_config_static_selectorELNS0_4arch9wavefront6targetE1EEEvSZ_,comdat
	.globl	_ZN7rocprim17ROCPRIM_400000_NS6detail17trampoline_kernelINS0_13select_configILj256ELj13ELNS0_17block_load_methodE3ELS4_3ELS4_3ELNS0_20block_scan_algorithmE0ELj4294967295EEENS1_25partition_config_selectorILNS1_17partition_subalgoE3EjNS0_10empty_typeEbEEZZNS1_14partition_implILS8_3ELb0ES6_jNS0_17counting_iteratorIjlEEPS9_SE_NS0_5tupleIJPjSE_EEENSF_IJSE_SE_EEES9_SG_JZNS1_25segmented_radix_sort_implINS0_14default_configELb0EPK12hip_bfloat16PSL_PKlPlN2at6native12_GLOBAL__N_18offset_tEEE10hipError_tPvRmT1_PNSt15iterator_traitsISZ_E10value_typeET2_T3_PNS10_IS15_E10value_typeET4_jRbjT5_S1B_jjP12ihipStream_tbEUljE_EEESW_SX_SY_S15_S19_S1B_T6_T7_T9_mT8_S1D_bDpT10_ENKUlT_T0_E_clISt17integral_constantIbLb1EES1Q_EEDaS1L_S1M_EUlS1L_E_NS1_11comp_targetILNS1_3genE9ELNS1_11target_archE1100ELNS1_3gpuE3ELNS1_3repE0EEENS1_30default_config_static_selectorELNS0_4arch9wavefront6targetE1EEEvSZ_ ; -- Begin function _ZN7rocprim17ROCPRIM_400000_NS6detail17trampoline_kernelINS0_13select_configILj256ELj13ELNS0_17block_load_methodE3ELS4_3ELS4_3ELNS0_20block_scan_algorithmE0ELj4294967295EEENS1_25partition_config_selectorILNS1_17partition_subalgoE3EjNS0_10empty_typeEbEEZZNS1_14partition_implILS8_3ELb0ES6_jNS0_17counting_iteratorIjlEEPS9_SE_NS0_5tupleIJPjSE_EEENSF_IJSE_SE_EEES9_SG_JZNS1_25segmented_radix_sort_implINS0_14default_configELb0EPK12hip_bfloat16PSL_PKlPlN2at6native12_GLOBAL__N_18offset_tEEE10hipError_tPvRmT1_PNSt15iterator_traitsISZ_E10value_typeET2_T3_PNS10_IS15_E10value_typeET4_jRbjT5_S1B_jjP12ihipStream_tbEUljE_EEESW_SX_SY_S15_S19_S1B_T6_T7_T9_mT8_S1D_bDpT10_ENKUlT_T0_E_clISt17integral_constantIbLb1EES1Q_EEDaS1L_S1M_EUlS1L_E_NS1_11comp_targetILNS1_3genE9ELNS1_11target_archE1100ELNS1_3gpuE3ELNS1_3repE0EEENS1_30default_config_static_selectorELNS0_4arch9wavefront6targetE1EEEvSZ_
	.p2align	8
	.type	_ZN7rocprim17ROCPRIM_400000_NS6detail17trampoline_kernelINS0_13select_configILj256ELj13ELNS0_17block_load_methodE3ELS4_3ELS4_3ELNS0_20block_scan_algorithmE0ELj4294967295EEENS1_25partition_config_selectorILNS1_17partition_subalgoE3EjNS0_10empty_typeEbEEZZNS1_14partition_implILS8_3ELb0ES6_jNS0_17counting_iteratorIjlEEPS9_SE_NS0_5tupleIJPjSE_EEENSF_IJSE_SE_EEES9_SG_JZNS1_25segmented_radix_sort_implINS0_14default_configELb0EPK12hip_bfloat16PSL_PKlPlN2at6native12_GLOBAL__N_18offset_tEEE10hipError_tPvRmT1_PNSt15iterator_traitsISZ_E10value_typeET2_T3_PNS10_IS15_E10value_typeET4_jRbjT5_S1B_jjP12ihipStream_tbEUljE_EEESW_SX_SY_S15_S19_S1B_T6_T7_T9_mT8_S1D_bDpT10_ENKUlT_T0_E_clISt17integral_constantIbLb1EES1Q_EEDaS1L_S1M_EUlS1L_E_NS1_11comp_targetILNS1_3genE9ELNS1_11target_archE1100ELNS1_3gpuE3ELNS1_3repE0EEENS1_30default_config_static_selectorELNS0_4arch9wavefront6targetE1EEEvSZ_,@function
_ZN7rocprim17ROCPRIM_400000_NS6detail17trampoline_kernelINS0_13select_configILj256ELj13ELNS0_17block_load_methodE3ELS4_3ELS4_3ELNS0_20block_scan_algorithmE0ELj4294967295EEENS1_25partition_config_selectorILNS1_17partition_subalgoE3EjNS0_10empty_typeEbEEZZNS1_14partition_implILS8_3ELb0ES6_jNS0_17counting_iteratorIjlEEPS9_SE_NS0_5tupleIJPjSE_EEENSF_IJSE_SE_EEES9_SG_JZNS1_25segmented_radix_sort_implINS0_14default_configELb0EPK12hip_bfloat16PSL_PKlPlN2at6native12_GLOBAL__N_18offset_tEEE10hipError_tPvRmT1_PNSt15iterator_traitsISZ_E10value_typeET2_T3_PNS10_IS15_E10value_typeET4_jRbjT5_S1B_jjP12ihipStream_tbEUljE_EEESW_SX_SY_S15_S19_S1B_T6_T7_T9_mT8_S1D_bDpT10_ENKUlT_T0_E_clISt17integral_constantIbLb1EES1Q_EEDaS1L_S1M_EUlS1L_E_NS1_11comp_targetILNS1_3genE9ELNS1_11target_archE1100ELNS1_3gpuE3ELNS1_3repE0EEENS1_30default_config_static_selectorELNS0_4arch9wavefront6targetE1EEEvSZ_: ; @_ZN7rocprim17ROCPRIM_400000_NS6detail17trampoline_kernelINS0_13select_configILj256ELj13ELNS0_17block_load_methodE3ELS4_3ELS4_3ELNS0_20block_scan_algorithmE0ELj4294967295EEENS1_25partition_config_selectorILNS1_17partition_subalgoE3EjNS0_10empty_typeEbEEZZNS1_14partition_implILS8_3ELb0ES6_jNS0_17counting_iteratorIjlEEPS9_SE_NS0_5tupleIJPjSE_EEENSF_IJSE_SE_EEES9_SG_JZNS1_25segmented_radix_sort_implINS0_14default_configELb0EPK12hip_bfloat16PSL_PKlPlN2at6native12_GLOBAL__N_18offset_tEEE10hipError_tPvRmT1_PNSt15iterator_traitsISZ_E10value_typeET2_T3_PNS10_IS15_E10value_typeET4_jRbjT5_S1B_jjP12ihipStream_tbEUljE_EEESW_SX_SY_S15_S19_S1B_T6_T7_T9_mT8_S1D_bDpT10_ENKUlT_T0_E_clISt17integral_constantIbLb1EES1Q_EEDaS1L_S1M_EUlS1L_E_NS1_11comp_targetILNS1_3genE9ELNS1_11target_archE1100ELNS1_3gpuE3ELNS1_3repE0EEENS1_30default_config_static_selectorELNS0_4arch9wavefront6targetE1EEEvSZ_
; %bb.0:
	.section	.rodata,"a",@progbits
	.p2align	6, 0x0
	.amdhsa_kernel _ZN7rocprim17ROCPRIM_400000_NS6detail17trampoline_kernelINS0_13select_configILj256ELj13ELNS0_17block_load_methodE3ELS4_3ELS4_3ELNS0_20block_scan_algorithmE0ELj4294967295EEENS1_25partition_config_selectorILNS1_17partition_subalgoE3EjNS0_10empty_typeEbEEZZNS1_14partition_implILS8_3ELb0ES6_jNS0_17counting_iteratorIjlEEPS9_SE_NS0_5tupleIJPjSE_EEENSF_IJSE_SE_EEES9_SG_JZNS1_25segmented_radix_sort_implINS0_14default_configELb0EPK12hip_bfloat16PSL_PKlPlN2at6native12_GLOBAL__N_18offset_tEEE10hipError_tPvRmT1_PNSt15iterator_traitsISZ_E10value_typeET2_T3_PNS10_IS15_E10value_typeET4_jRbjT5_S1B_jjP12ihipStream_tbEUljE_EEESW_SX_SY_S15_S19_S1B_T6_T7_T9_mT8_S1D_bDpT10_ENKUlT_T0_E_clISt17integral_constantIbLb1EES1Q_EEDaS1L_S1M_EUlS1L_E_NS1_11comp_targetILNS1_3genE9ELNS1_11target_archE1100ELNS1_3gpuE3ELNS1_3repE0EEENS1_30default_config_static_selectorELNS0_4arch9wavefront6targetE1EEEvSZ_
		.amdhsa_group_segment_fixed_size 0
		.amdhsa_private_segment_fixed_size 0
		.amdhsa_kernarg_size 152
		.amdhsa_user_sgpr_count 6
		.amdhsa_user_sgpr_private_segment_buffer 1
		.amdhsa_user_sgpr_dispatch_ptr 0
		.amdhsa_user_sgpr_queue_ptr 0
		.amdhsa_user_sgpr_kernarg_segment_ptr 1
		.amdhsa_user_sgpr_dispatch_id 0
		.amdhsa_user_sgpr_flat_scratch_init 0
		.amdhsa_user_sgpr_private_segment_size 0
		.amdhsa_uses_dynamic_stack 0
		.amdhsa_system_sgpr_private_segment_wavefront_offset 0
		.amdhsa_system_sgpr_workgroup_id_x 1
		.amdhsa_system_sgpr_workgroup_id_y 0
		.amdhsa_system_sgpr_workgroup_id_z 0
		.amdhsa_system_sgpr_workgroup_info 0
		.amdhsa_system_vgpr_workitem_id 0
		.amdhsa_next_free_vgpr 1
		.amdhsa_next_free_sgpr 0
		.amdhsa_reserve_vcc 0
		.amdhsa_reserve_flat_scratch 0
		.amdhsa_float_round_mode_32 0
		.amdhsa_float_round_mode_16_64 0
		.amdhsa_float_denorm_mode_32 3
		.amdhsa_float_denorm_mode_16_64 3
		.amdhsa_dx10_clamp 1
		.amdhsa_ieee_mode 1
		.amdhsa_fp16_overflow 0
		.amdhsa_exception_fp_ieee_invalid_op 0
		.amdhsa_exception_fp_denorm_src 0
		.amdhsa_exception_fp_ieee_div_zero 0
		.amdhsa_exception_fp_ieee_overflow 0
		.amdhsa_exception_fp_ieee_underflow 0
		.amdhsa_exception_fp_ieee_inexact 0
		.amdhsa_exception_int_div_zero 0
	.end_amdhsa_kernel
	.section	.text._ZN7rocprim17ROCPRIM_400000_NS6detail17trampoline_kernelINS0_13select_configILj256ELj13ELNS0_17block_load_methodE3ELS4_3ELS4_3ELNS0_20block_scan_algorithmE0ELj4294967295EEENS1_25partition_config_selectorILNS1_17partition_subalgoE3EjNS0_10empty_typeEbEEZZNS1_14partition_implILS8_3ELb0ES6_jNS0_17counting_iteratorIjlEEPS9_SE_NS0_5tupleIJPjSE_EEENSF_IJSE_SE_EEES9_SG_JZNS1_25segmented_radix_sort_implINS0_14default_configELb0EPK12hip_bfloat16PSL_PKlPlN2at6native12_GLOBAL__N_18offset_tEEE10hipError_tPvRmT1_PNSt15iterator_traitsISZ_E10value_typeET2_T3_PNS10_IS15_E10value_typeET4_jRbjT5_S1B_jjP12ihipStream_tbEUljE_EEESW_SX_SY_S15_S19_S1B_T6_T7_T9_mT8_S1D_bDpT10_ENKUlT_T0_E_clISt17integral_constantIbLb1EES1Q_EEDaS1L_S1M_EUlS1L_E_NS1_11comp_targetILNS1_3genE9ELNS1_11target_archE1100ELNS1_3gpuE3ELNS1_3repE0EEENS1_30default_config_static_selectorELNS0_4arch9wavefront6targetE1EEEvSZ_,"axG",@progbits,_ZN7rocprim17ROCPRIM_400000_NS6detail17trampoline_kernelINS0_13select_configILj256ELj13ELNS0_17block_load_methodE3ELS4_3ELS4_3ELNS0_20block_scan_algorithmE0ELj4294967295EEENS1_25partition_config_selectorILNS1_17partition_subalgoE3EjNS0_10empty_typeEbEEZZNS1_14partition_implILS8_3ELb0ES6_jNS0_17counting_iteratorIjlEEPS9_SE_NS0_5tupleIJPjSE_EEENSF_IJSE_SE_EEES9_SG_JZNS1_25segmented_radix_sort_implINS0_14default_configELb0EPK12hip_bfloat16PSL_PKlPlN2at6native12_GLOBAL__N_18offset_tEEE10hipError_tPvRmT1_PNSt15iterator_traitsISZ_E10value_typeET2_T3_PNS10_IS15_E10value_typeET4_jRbjT5_S1B_jjP12ihipStream_tbEUljE_EEESW_SX_SY_S15_S19_S1B_T6_T7_T9_mT8_S1D_bDpT10_ENKUlT_T0_E_clISt17integral_constantIbLb1EES1Q_EEDaS1L_S1M_EUlS1L_E_NS1_11comp_targetILNS1_3genE9ELNS1_11target_archE1100ELNS1_3gpuE3ELNS1_3repE0EEENS1_30default_config_static_selectorELNS0_4arch9wavefront6targetE1EEEvSZ_,comdat
.Lfunc_end2031:
	.size	_ZN7rocprim17ROCPRIM_400000_NS6detail17trampoline_kernelINS0_13select_configILj256ELj13ELNS0_17block_load_methodE3ELS4_3ELS4_3ELNS0_20block_scan_algorithmE0ELj4294967295EEENS1_25partition_config_selectorILNS1_17partition_subalgoE3EjNS0_10empty_typeEbEEZZNS1_14partition_implILS8_3ELb0ES6_jNS0_17counting_iteratorIjlEEPS9_SE_NS0_5tupleIJPjSE_EEENSF_IJSE_SE_EEES9_SG_JZNS1_25segmented_radix_sort_implINS0_14default_configELb0EPK12hip_bfloat16PSL_PKlPlN2at6native12_GLOBAL__N_18offset_tEEE10hipError_tPvRmT1_PNSt15iterator_traitsISZ_E10value_typeET2_T3_PNS10_IS15_E10value_typeET4_jRbjT5_S1B_jjP12ihipStream_tbEUljE_EEESW_SX_SY_S15_S19_S1B_T6_T7_T9_mT8_S1D_bDpT10_ENKUlT_T0_E_clISt17integral_constantIbLb1EES1Q_EEDaS1L_S1M_EUlS1L_E_NS1_11comp_targetILNS1_3genE9ELNS1_11target_archE1100ELNS1_3gpuE3ELNS1_3repE0EEENS1_30default_config_static_selectorELNS0_4arch9wavefront6targetE1EEEvSZ_, .Lfunc_end2031-_ZN7rocprim17ROCPRIM_400000_NS6detail17trampoline_kernelINS0_13select_configILj256ELj13ELNS0_17block_load_methodE3ELS4_3ELS4_3ELNS0_20block_scan_algorithmE0ELj4294967295EEENS1_25partition_config_selectorILNS1_17partition_subalgoE3EjNS0_10empty_typeEbEEZZNS1_14partition_implILS8_3ELb0ES6_jNS0_17counting_iteratorIjlEEPS9_SE_NS0_5tupleIJPjSE_EEENSF_IJSE_SE_EEES9_SG_JZNS1_25segmented_radix_sort_implINS0_14default_configELb0EPK12hip_bfloat16PSL_PKlPlN2at6native12_GLOBAL__N_18offset_tEEE10hipError_tPvRmT1_PNSt15iterator_traitsISZ_E10value_typeET2_T3_PNS10_IS15_E10value_typeET4_jRbjT5_S1B_jjP12ihipStream_tbEUljE_EEESW_SX_SY_S15_S19_S1B_T6_T7_T9_mT8_S1D_bDpT10_ENKUlT_T0_E_clISt17integral_constantIbLb1EES1Q_EEDaS1L_S1M_EUlS1L_E_NS1_11comp_targetILNS1_3genE9ELNS1_11target_archE1100ELNS1_3gpuE3ELNS1_3repE0EEENS1_30default_config_static_selectorELNS0_4arch9wavefront6targetE1EEEvSZ_
                                        ; -- End function
	.set _ZN7rocprim17ROCPRIM_400000_NS6detail17trampoline_kernelINS0_13select_configILj256ELj13ELNS0_17block_load_methodE3ELS4_3ELS4_3ELNS0_20block_scan_algorithmE0ELj4294967295EEENS1_25partition_config_selectorILNS1_17partition_subalgoE3EjNS0_10empty_typeEbEEZZNS1_14partition_implILS8_3ELb0ES6_jNS0_17counting_iteratorIjlEEPS9_SE_NS0_5tupleIJPjSE_EEENSF_IJSE_SE_EEES9_SG_JZNS1_25segmented_radix_sort_implINS0_14default_configELb0EPK12hip_bfloat16PSL_PKlPlN2at6native12_GLOBAL__N_18offset_tEEE10hipError_tPvRmT1_PNSt15iterator_traitsISZ_E10value_typeET2_T3_PNS10_IS15_E10value_typeET4_jRbjT5_S1B_jjP12ihipStream_tbEUljE_EEESW_SX_SY_S15_S19_S1B_T6_T7_T9_mT8_S1D_bDpT10_ENKUlT_T0_E_clISt17integral_constantIbLb1EES1Q_EEDaS1L_S1M_EUlS1L_E_NS1_11comp_targetILNS1_3genE9ELNS1_11target_archE1100ELNS1_3gpuE3ELNS1_3repE0EEENS1_30default_config_static_selectorELNS0_4arch9wavefront6targetE1EEEvSZ_.num_vgpr, 0
	.set _ZN7rocprim17ROCPRIM_400000_NS6detail17trampoline_kernelINS0_13select_configILj256ELj13ELNS0_17block_load_methodE3ELS4_3ELS4_3ELNS0_20block_scan_algorithmE0ELj4294967295EEENS1_25partition_config_selectorILNS1_17partition_subalgoE3EjNS0_10empty_typeEbEEZZNS1_14partition_implILS8_3ELb0ES6_jNS0_17counting_iteratorIjlEEPS9_SE_NS0_5tupleIJPjSE_EEENSF_IJSE_SE_EEES9_SG_JZNS1_25segmented_radix_sort_implINS0_14default_configELb0EPK12hip_bfloat16PSL_PKlPlN2at6native12_GLOBAL__N_18offset_tEEE10hipError_tPvRmT1_PNSt15iterator_traitsISZ_E10value_typeET2_T3_PNS10_IS15_E10value_typeET4_jRbjT5_S1B_jjP12ihipStream_tbEUljE_EEESW_SX_SY_S15_S19_S1B_T6_T7_T9_mT8_S1D_bDpT10_ENKUlT_T0_E_clISt17integral_constantIbLb1EES1Q_EEDaS1L_S1M_EUlS1L_E_NS1_11comp_targetILNS1_3genE9ELNS1_11target_archE1100ELNS1_3gpuE3ELNS1_3repE0EEENS1_30default_config_static_selectorELNS0_4arch9wavefront6targetE1EEEvSZ_.num_agpr, 0
	.set _ZN7rocprim17ROCPRIM_400000_NS6detail17trampoline_kernelINS0_13select_configILj256ELj13ELNS0_17block_load_methodE3ELS4_3ELS4_3ELNS0_20block_scan_algorithmE0ELj4294967295EEENS1_25partition_config_selectorILNS1_17partition_subalgoE3EjNS0_10empty_typeEbEEZZNS1_14partition_implILS8_3ELb0ES6_jNS0_17counting_iteratorIjlEEPS9_SE_NS0_5tupleIJPjSE_EEENSF_IJSE_SE_EEES9_SG_JZNS1_25segmented_radix_sort_implINS0_14default_configELb0EPK12hip_bfloat16PSL_PKlPlN2at6native12_GLOBAL__N_18offset_tEEE10hipError_tPvRmT1_PNSt15iterator_traitsISZ_E10value_typeET2_T3_PNS10_IS15_E10value_typeET4_jRbjT5_S1B_jjP12ihipStream_tbEUljE_EEESW_SX_SY_S15_S19_S1B_T6_T7_T9_mT8_S1D_bDpT10_ENKUlT_T0_E_clISt17integral_constantIbLb1EES1Q_EEDaS1L_S1M_EUlS1L_E_NS1_11comp_targetILNS1_3genE9ELNS1_11target_archE1100ELNS1_3gpuE3ELNS1_3repE0EEENS1_30default_config_static_selectorELNS0_4arch9wavefront6targetE1EEEvSZ_.numbered_sgpr, 0
	.set _ZN7rocprim17ROCPRIM_400000_NS6detail17trampoline_kernelINS0_13select_configILj256ELj13ELNS0_17block_load_methodE3ELS4_3ELS4_3ELNS0_20block_scan_algorithmE0ELj4294967295EEENS1_25partition_config_selectorILNS1_17partition_subalgoE3EjNS0_10empty_typeEbEEZZNS1_14partition_implILS8_3ELb0ES6_jNS0_17counting_iteratorIjlEEPS9_SE_NS0_5tupleIJPjSE_EEENSF_IJSE_SE_EEES9_SG_JZNS1_25segmented_radix_sort_implINS0_14default_configELb0EPK12hip_bfloat16PSL_PKlPlN2at6native12_GLOBAL__N_18offset_tEEE10hipError_tPvRmT1_PNSt15iterator_traitsISZ_E10value_typeET2_T3_PNS10_IS15_E10value_typeET4_jRbjT5_S1B_jjP12ihipStream_tbEUljE_EEESW_SX_SY_S15_S19_S1B_T6_T7_T9_mT8_S1D_bDpT10_ENKUlT_T0_E_clISt17integral_constantIbLb1EES1Q_EEDaS1L_S1M_EUlS1L_E_NS1_11comp_targetILNS1_3genE9ELNS1_11target_archE1100ELNS1_3gpuE3ELNS1_3repE0EEENS1_30default_config_static_selectorELNS0_4arch9wavefront6targetE1EEEvSZ_.num_named_barrier, 0
	.set _ZN7rocprim17ROCPRIM_400000_NS6detail17trampoline_kernelINS0_13select_configILj256ELj13ELNS0_17block_load_methodE3ELS4_3ELS4_3ELNS0_20block_scan_algorithmE0ELj4294967295EEENS1_25partition_config_selectorILNS1_17partition_subalgoE3EjNS0_10empty_typeEbEEZZNS1_14partition_implILS8_3ELb0ES6_jNS0_17counting_iteratorIjlEEPS9_SE_NS0_5tupleIJPjSE_EEENSF_IJSE_SE_EEES9_SG_JZNS1_25segmented_radix_sort_implINS0_14default_configELb0EPK12hip_bfloat16PSL_PKlPlN2at6native12_GLOBAL__N_18offset_tEEE10hipError_tPvRmT1_PNSt15iterator_traitsISZ_E10value_typeET2_T3_PNS10_IS15_E10value_typeET4_jRbjT5_S1B_jjP12ihipStream_tbEUljE_EEESW_SX_SY_S15_S19_S1B_T6_T7_T9_mT8_S1D_bDpT10_ENKUlT_T0_E_clISt17integral_constantIbLb1EES1Q_EEDaS1L_S1M_EUlS1L_E_NS1_11comp_targetILNS1_3genE9ELNS1_11target_archE1100ELNS1_3gpuE3ELNS1_3repE0EEENS1_30default_config_static_selectorELNS0_4arch9wavefront6targetE1EEEvSZ_.private_seg_size, 0
	.set _ZN7rocprim17ROCPRIM_400000_NS6detail17trampoline_kernelINS0_13select_configILj256ELj13ELNS0_17block_load_methodE3ELS4_3ELS4_3ELNS0_20block_scan_algorithmE0ELj4294967295EEENS1_25partition_config_selectorILNS1_17partition_subalgoE3EjNS0_10empty_typeEbEEZZNS1_14partition_implILS8_3ELb0ES6_jNS0_17counting_iteratorIjlEEPS9_SE_NS0_5tupleIJPjSE_EEENSF_IJSE_SE_EEES9_SG_JZNS1_25segmented_radix_sort_implINS0_14default_configELb0EPK12hip_bfloat16PSL_PKlPlN2at6native12_GLOBAL__N_18offset_tEEE10hipError_tPvRmT1_PNSt15iterator_traitsISZ_E10value_typeET2_T3_PNS10_IS15_E10value_typeET4_jRbjT5_S1B_jjP12ihipStream_tbEUljE_EEESW_SX_SY_S15_S19_S1B_T6_T7_T9_mT8_S1D_bDpT10_ENKUlT_T0_E_clISt17integral_constantIbLb1EES1Q_EEDaS1L_S1M_EUlS1L_E_NS1_11comp_targetILNS1_3genE9ELNS1_11target_archE1100ELNS1_3gpuE3ELNS1_3repE0EEENS1_30default_config_static_selectorELNS0_4arch9wavefront6targetE1EEEvSZ_.uses_vcc, 0
	.set _ZN7rocprim17ROCPRIM_400000_NS6detail17trampoline_kernelINS0_13select_configILj256ELj13ELNS0_17block_load_methodE3ELS4_3ELS4_3ELNS0_20block_scan_algorithmE0ELj4294967295EEENS1_25partition_config_selectorILNS1_17partition_subalgoE3EjNS0_10empty_typeEbEEZZNS1_14partition_implILS8_3ELb0ES6_jNS0_17counting_iteratorIjlEEPS9_SE_NS0_5tupleIJPjSE_EEENSF_IJSE_SE_EEES9_SG_JZNS1_25segmented_radix_sort_implINS0_14default_configELb0EPK12hip_bfloat16PSL_PKlPlN2at6native12_GLOBAL__N_18offset_tEEE10hipError_tPvRmT1_PNSt15iterator_traitsISZ_E10value_typeET2_T3_PNS10_IS15_E10value_typeET4_jRbjT5_S1B_jjP12ihipStream_tbEUljE_EEESW_SX_SY_S15_S19_S1B_T6_T7_T9_mT8_S1D_bDpT10_ENKUlT_T0_E_clISt17integral_constantIbLb1EES1Q_EEDaS1L_S1M_EUlS1L_E_NS1_11comp_targetILNS1_3genE9ELNS1_11target_archE1100ELNS1_3gpuE3ELNS1_3repE0EEENS1_30default_config_static_selectorELNS0_4arch9wavefront6targetE1EEEvSZ_.uses_flat_scratch, 0
	.set _ZN7rocprim17ROCPRIM_400000_NS6detail17trampoline_kernelINS0_13select_configILj256ELj13ELNS0_17block_load_methodE3ELS4_3ELS4_3ELNS0_20block_scan_algorithmE0ELj4294967295EEENS1_25partition_config_selectorILNS1_17partition_subalgoE3EjNS0_10empty_typeEbEEZZNS1_14partition_implILS8_3ELb0ES6_jNS0_17counting_iteratorIjlEEPS9_SE_NS0_5tupleIJPjSE_EEENSF_IJSE_SE_EEES9_SG_JZNS1_25segmented_radix_sort_implINS0_14default_configELb0EPK12hip_bfloat16PSL_PKlPlN2at6native12_GLOBAL__N_18offset_tEEE10hipError_tPvRmT1_PNSt15iterator_traitsISZ_E10value_typeET2_T3_PNS10_IS15_E10value_typeET4_jRbjT5_S1B_jjP12ihipStream_tbEUljE_EEESW_SX_SY_S15_S19_S1B_T6_T7_T9_mT8_S1D_bDpT10_ENKUlT_T0_E_clISt17integral_constantIbLb1EES1Q_EEDaS1L_S1M_EUlS1L_E_NS1_11comp_targetILNS1_3genE9ELNS1_11target_archE1100ELNS1_3gpuE3ELNS1_3repE0EEENS1_30default_config_static_selectorELNS0_4arch9wavefront6targetE1EEEvSZ_.has_dyn_sized_stack, 0
	.set _ZN7rocprim17ROCPRIM_400000_NS6detail17trampoline_kernelINS0_13select_configILj256ELj13ELNS0_17block_load_methodE3ELS4_3ELS4_3ELNS0_20block_scan_algorithmE0ELj4294967295EEENS1_25partition_config_selectorILNS1_17partition_subalgoE3EjNS0_10empty_typeEbEEZZNS1_14partition_implILS8_3ELb0ES6_jNS0_17counting_iteratorIjlEEPS9_SE_NS0_5tupleIJPjSE_EEENSF_IJSE_SE_EEES9_SG_JZNS1_25segmented_radix_sort_implINS0_14default_configELb0EPK12hip_bfloat16PSL_PKlPlN2at6native12_GLOBAL__N_18offset_tEEE10hipError_tPvRmT1_PNSt15iterator_traitsISZ_E10value_typeET2_T3_PNS10_IS15_E10value_typeET4_jRbjT5_S1B_jjP12ihipStream_tbEUljE_EEESW_SX_SY_S15_S19_S1B_T6_T7_T9_mT8_S1D_bDpT10_ENKUlT_T0_E_clISt17integral_constantIbLb1EES1Q_EEDaS1L_S1M_EUlS1L_E_NS1_11comp_targetILNS1_3genE9ELNS1_11target_archE1100ELNS1_3gpuE3ELNS1_3repE0EEENS1_30default_config_static_selectorELNS0_4arch9wavefront6targetE1EEEvSZ_.has_recursion, 0
	.set _ZN7rocprim17ROCPRIM_400000_NS6detail17trampoline_kernelINS0_13select_configILj256ELj13ELNS0_17block_load_methodE3ELS4_3ELS4_3ELNS0_20block_scan_algorithmE0ELj4294967295EEENS1_25partition_config_selectorILNS1_17partition_subalgoE3EjNS0_10empty_typeEbEEZZNS1_14partition_implILS8_3ELb0ES6_jNS0_17counting_iteratorIjlEEPS9_SE_NS0_5tupleIJPjSE_EEENSF_IJSE_SE_EEES9_SG_JZNS1_25segmented_radix_sort_implINS0_14default_configELb0EPK12hip_bfloat16PSL_PKlPlN2at6native12_GLOBAL__N_18offset_tEEE10hipError_tPvRmT1_PNSt15iterator_traitsISZ_E10value_typeET2_T3_PNS10_IS15_E10value_typeET4_jRbjT5_S1B_jjP12ihipStream_tbEUljE_EEESW_SX_SY_S15_S19_S1B_T6_T7_T9_mT8_S1D_bDpT10_ENKUlT_T0_E_clISt17integral_constantIbLb1EES1Q_EEDaS1L_S1M_EUlS1L_E_NS1_11comp_targetILNS1_3genE9ELNS1_11target_archE1100ELNS1_3gpuE3ELNS1_3repE0EEENS1_30default_config_static_selectorELNS0_4arch9wavefront6targetE1EEEvSZ_.has_indirect_call, 0
	.section	.AMDGPU.csdata,"",@progbits
; Kernel info:
; codeLenInByte = 0
; TotalNumSgprs: 4
; NumVgprs: 0
; ScratchSize: 0
; MemoryBound: 0
; FloatMode: 240
; IeeeMode: 1
; LDSByteSize: 0 bytes/workgroup (compile time only)
; SGPRBlocks: 0
; VGPRBlocks: 0
; NumSGPRsForWavesPerEU: 4
; NumVGPRsForWavesPerEU: 1
; Occupancy: 10
; WaveLimiterHint : 0
; COMPUTE_PGM_RSRC2:SCRATCH_EN: 0
; COMPUTE_PGM_RSRC2:USER_SGPR: 6
; COMPUTE_PGM_RSRC2:TRAP_HANDLER: 0
; COMPUTE_PGM_RSRC2:TGID_X_EN: 1
; COMPUTE_PGM_RSRC2:TGID_Y_EN: 0
; COMPUTE_PGM_RSRC2:TGID_Z_EN: 0
; COMPUTE_PGM_RSRC2:TIDIG_COMP_CNT: 0
	.section	.text._ZN7rocprim17ROCPRIM_400000_NS6detail17trampoline_kernelINS0_13select_configILj256ELj13ELNS0_17block_load_methodE3ELS4_3ELS4_3ELNS0_20block_scan_algorithmE0ELj4294967295EEENS1_25partition_config_selectorILNS1_17partition_subalgoE3EjNS0_10empty_typeEbEEZZNS1_14partition_implILS8_3ELb0ES6_jNS0_17counting_iteratorIjlEEPS9_SE_NS0_5tupleIJPjSE_EEENSF_IJSE_SE_EEES9_SG_JZNS1_25segmented_radix_sort_implINS0_14default_configELb0EPK12hip_bfloat16PSL_PKlPlN2at6native12_GLOBAL__N_18offset_tEEE10hipError_tPvRmT1_PNSt15iterator_traitsISZ_E10value_typeET2_T3_PNS10_IS15_E10value_typeET4_jRbjT5_S1B_jjP12ihipStream_tbEUljE_EEESW_SX_SY_S15_S19_S1B_T6_T7_T9_mT8_S1D_bDpT10_ENKUlT_T0_E_clISt17integral_constantIbLb1EES1Q_EEDaS1L_S1M_EUlS1L_E_NS1_11comp_targetILNS1_3genE8ELNS1_11target_archE1030ELNS1_3gpuE2ELNS1_3repE0EEENS1_30default_config_static_selectorELNS0_4arch9wavefront6targetE1EEEvSZ_,"axG",@progbits,_ZN7rocprim17ROCPRIM_400000_NS6detail17trampoline_kernelINS0_13select_configILj256ELj13ELNS0_17block_load_methodE3ELS4_3ELS4_3ELNS0_20block_scan_algorithmE0ELj4294967295EEENS1_25partition_config_selectorILNS1_17partition_subalgoE3EjNS0_10empty_typeEbEEZZNS1_14partition_implILS8_3ELb0ES6_jNS0_17counting_iteratorIjlEEPS9_SE_NS0_5tupleIJPjSE_EEENSF_IJSE_SE_EEES9_SG_JZNS1_25segmented_radix_sort_implINS0_14default_configELb0EPK12hip_bfloat16PSL_PKlPlN2at6native12_GLOBAL__N_18offset_tEEE10hipError_tPvRmT1_PNSt15iterator_traitsISZ_E10value_typeET2_T3_PNS10_IS15_E10value_typeET4_jRbjT5_S1B_jjP12ihipStream_tbEUljE_EEESW_SX_SY_S15_S19_S1B_T6_T7_T9_mT8_S1D_bDpT10_ENKUlT_T0_E_clISt17integral_constantIbLb1EES1Q_EEDaS1L_S1M_EUlS1L_E_NS1_11comp_targetILNS1_3genE8ELNS1_11target_archE1030ELNS1_3gpuE2ELNS1_3repE0EEENS1_30default_config_static_selectorELNS0_4arch9wavefront6targetE1EEEvSZ_,comdat
	.globl	_ZN7rocprim17ROCPRIM_400000_NS6detail17trampoline_kernelINS0_13select_configILj256ELj13ELNS0_17block_load_methodE3ELS4_3ELS4_3ELNS0_20block_scan_algorithmE0ELj4294967295EEENS1_25partition_config_selectorILNS1_17partition_subalgoE3EjNS0_10empty_typeEbEEZZNS1_14partition_implILS8_3ELb0ES6_jNS0_17counting_iteratorIjlEEPS9_SE_NS0_5tupleIJPjSE_EEENSF_IJSE_SE_EEES9_SG_JZNS1_25segmented_radix_sort_implINS0_14default_configELb0EPK12hip_bfloat16PSL_PKlPlN2at6native12_GLOBAL__N_18offset_tEEE10hipError_tPvRmT1_PNSt15iterator_traitsISZ_E10value_typeET2_T3_PNS10_IS15_E10value_typeET4_jRbjT5_S1B_jjP12ihipStream_tbEUljE_EEESW_SX_SY_S15_S19_S1B_T6_T7_T9_mT8_S1D_bDpT10_ENKUlT_T0_E_clISt17integral_constantIbLb1EES1Q_EEDaS1L_S1M_EUlS1L_E_NS1_11comp_targetILNS1_3genE8ELNS1_11target_archE1030ELNS1_3gpuE2ELNS1_3repE0EEENS1_30default_config_static_selectorELNS0_4arch9wavefront6targetE1EEEvSZ_ ; -- Begin function _ZN7rocprim17ROCPRIM_400000_NS6detail17trampoline_kernelINS0_13select_configILj256ELj13ELNS0_17block_load_methodE3ELS4_3ELS4_3ELNS0_20block_scan_algorithmE0ELj4294967295EEENS1_25partition_config_selectorILNS1_17partition_subalgoE3EjNS0_10empty_typeEbEEZZNS1_14partition_implILS8_3ELb0ES6_jNS0_17counting_iteratorIjlEEPS9_SE_NS0_5tupleIJPjSE_EEENSF_IJSE_SE_EEES9_SG_JZNS1_25segmented_radix_sort_implINS0_14default_configELb0EPK12hip_bfloat16PSL_PKlPlN2at6native12_GLOBAL__N_18offset_tEEE10hipError_tPvRmT1_PNSt15iterator_traitsISZ_E10value_typeET2_T3_PNS10_IS15_E10value_typeET4_jRbjT5_S1B_jjP12ihipStream_tbEUljE_EEESW_SX_SY_S15_S19_S1B_T6_T7_T9_mT8_S1D_bDpT10_ENKUlT_T0_E_clISt17integral_constantIbLb1EES1Q_EEDaS1L_S1M_EUlS1L_E_NS1_11comp_targetILNS1_3genE8ELNS1_11target_archE1030ELNS1_3gpuE2ELNS1_3repE0EEENS1_30default_config_static_selectorELNS0_4arch9wavefront6targetE1EEEvSZ_
	.p2align	8
	.type	_ZN7rocprim17ROCPRIM_400000_NS6detail17trampoline_kernelINS0_13select_configILj256ELj13ELNS0_17block_load_methodE3ELS4_3ELS4_3ELNS0_20block_scan_algorithmE0ELj4294967295EEENS1_25partition_config_selectorILNS1_17partition_subalgoE3EjNS0_10empty_typeEbEEZZNS1_14partition_implILS8_3ELb0ES6_jNS0_17counting_iteratorIjlEEPS9_SE_NS0_5tupleIJPjSE_EEENSF_IJSE_SE_EEES9_SG_JZNS1_25segmented_radix_sort_implINS0_14default_configELb0EPK12hip_bfloat16PSL_PKlPlN2at6native12_GLOBAL__N_18offset_tEEE10hipError_tPvRmT1_PNSt15iterator_traitsISZ_E10value_typeET2_T3_PNS10_IS15_E10value_typeET4_jRbjT5_S1B_jjP12ihipStream_tbEUljE_EEESW_SX_SY_S15_S19_S1B_T6_T7_T9_mT8_S1D_bDpT10_ENKUlT_T0_E_clISt17integral_constantIbLb1EES1Q_EEDaS1L_S1M_EUlS1L_E_NS1_11comp_targetILNS1_3genE8ELNS1_11target_archE1030ELNS1_3gpuE2ELNS1_3repE0EEENS1_30default_config_static_selectorELNS0_4arch9wavefront6targetE1EEEvSZ_,@function
_ZN7rocprim17ROCPRIM_400000_NS6detail17trampoline_kernelINS0_13select_configILj256ELj13ELNS0_17block_load_methodE3ELS4_3ELS4_3ELNS0_20block_scan_algorithmE0ELj4294967295EEENS1_25partition_config_selectorILNS1_17partition_subalgoE3EjNS0_10empty_typeEbEEZZNS1_14partition_implILS8_3ELb0ES6_jNS0_17counting_iteratorIjlEEPS9_SE_NS0_5tupleIJPjSE_EEENSF_IJSE_SE_EEES9_SG_JZNS1_25segmented_radix_sort_implINS0_14default_configELb0EPK12hip_bfloat16PSL_PKlPlN2at6native12_GLOBAL__N_18offset_tEEE10hipError_tPvRmT1_PNSt15iterator_traitsISZ_E10value_typeET2_T3_PNS10_IS15_E10value_typeET4_jRbjT5_S1B_jjP12ihipStream_tbEUljE_EEESW_SX_SY_S15_S19_S1B_T6_T7_T9_mT8_S1D_bDpT10_ENKUlT_T0_E_clISt17integral_constantIbLb1EES1Q_EEDaS1L_S1M_EUlS1L_E_NS1_11comp_targetILNS1_3genE8ELNS1_11target_archE1030ELNS1_3gpuE2ELNS1_3repE0EEENS1_30default_config_static_selectorELNS0_4arch9wavefront6targetE1EEEvSZ_: ; @_ZN7rocprim17ROCPRIM_400000_NS6detail17trampoline_kernelINS0_13select_configILj256ELj13ELNS0_17block_load_methodE3ELS4_3ELS4_3ELNS0_20block_scan_algorithmE0ELj4294967295EEENS1_25partition_config_selectorILNS1_17partition_subalgoE3EjNS0_10empty_typeEbEEZZNS1_14partition_implILS8_3ELb0ES6_jNS0_17counting_iteratorIjlEEPS9_SE_NS0_5tupleIJPjSE_EEENSF_IJSE_SE_EEES9_SG_JZNS1_25segmented_radix_sort_implINS0_14default_configELb0EPK12hip_bfloat16PSL_PKlPlN2at6native12_GLOBAL__N_18offset_tEEE10hipError_tPvRmT1_PNSt15iterator_traitsISZ_E10value_typeET2_T3_PNS10_IS15_E10value_typeET4_jRbjT5_S1B_jjP12ihipStream_tbEUljE_EEESW_SX_SY_S15_S19_S1B_T6_T7_T9_mT8_S1D_bDpT10_ENKUlT_T0_E_clISt17integral_constantIbLb1EES1Q_EEDaS1L_S1M_EUlS1L_E_NS1_11comp_targetILNS1_3genE8ELNS1_11target_archE1030ELNS1_3gpuE2ELNS1_3repE0EEENS1_30default_config_static_selectorELNS0_4arch9wavefront6targetE1EEEvSZ_
; %bb.0:
	.section	.rodata,"a",@progbits
	.p2align	6, 0x0
	.amdhsa_kernel _ZN7rocprim17ROCPRIM_400000_NS6detail17trampoline_kernelINS0_13select_configILj256ELj13ELNS0_17block_load_methodE3ELS4_3ELS4_3ELNS0_20block_scan_algorithmE0ELj4294967295EEENS1_25partition_config_selectorILNS1_17partition_subalgoE3EjNS0_10empty_typeEbEEZZNS1_14partition_implILS8_3ELb0ES6_jNS0_17counting_iteratorIjlEEPS9_SE_NS0_5tupleIJPjSE_EEENSF_IJSE_SE_EEES9_SG_JZNS1_25segmented_radix_sort_implINS0_14default_configELb0EPK12hip_bfloat16PSL_PKlPlN2at6native12_GLOBAL__N_18offset_tEEE10hipError_tPvRmT1_PNSt15iterator_traitsISZ_E10value_typeET2_T3_PNS10_IS15_E10value_typeET4_jRbjT5_S1B_jjP12ihipStream_tbEUljE_EEESW_SX_SY_S15_S19_S1B_T6_T7_T9_mT8_S1D_bDpT10_ENKUlT_T0_E_clISt17integral_constantIbLb1EES1Q_EEDaS1L_S1M_EUlS1L_E_NS1_11comp_targetILNS1_3genE8ELNS1_11target_archE1030ELNS1_3gpuE2ELNS1_3repE0EEENS1_30default_config_static_selectorELNS0_4arch9wavefront6targetE1EEEvSZ_
		.amdhsa_group_segment_fixed_size 0
		.amdhsa_private_segment_fixed_size 0
		.amdhsa_kernarg_size 152
		.amdhsa_user_sgpr_count 6
		.amdhsa_user_sgpr_private_segment_buffer 1
		.amdhsa_user_sgpr_dispatch_ptr 0
		.amdhsa_user_sgpr_queue_ptr 0
		.amdhsa_user_sgpr_kernarg_segment_ptr 1
		.amdhsa_user_sgpr_dispatch_id 0
		.amdhsa_user_sgpr_flat_scratch_init 0
		.amdhsa_user_sgpr_private_segment_size 0
		.amdhsa_uses_dynamic_stack 0
		.amdhsa_system_sgpr_private_segment_wavefront_offset 0
		.amdhsa_system_sgpr_workgroup_id_x 1
		.amdhsa_system_sgpr_workgroup_id_y 0
		.amdhsa_system_sgpr_workgroup_id_z 0
		.amdhsa_system_sgpr_workgroup_info 0
		.amdhsa_system_vgpr_workitem_id 0
		.amdhsa_next_free_vgpr 1
		.amdhsa_next_free_sgpr 0
		.amdhsa_reserve_vcc 0
		.amdhsa_reserve_flat_scratch 0
		.amdhsa_float_round_mode_32 0
		.amdhsa_float_round_mode_16_64 0
		.amdhsa_float_denorm_mode_32 3
		.amdhsa_float_denorm_mode_16_64 3
		.amdhsa_dx10_clamp 1
		.amdhsa_ieee_mode 1
		.amdhsa_fp16_overflow 0
		.amdhsa_exception_fp_ieee_invalid_op 0
		.amdhsa_exception_fp_denorm_src 0
		.amdhsa_exception_fp_ieee_div_zero 0
		.amdhsa_exception_fp_ieee_overflow 0
		.amdhsa_exception_fp_ieee_underflow 0
		.amdhsa_exception_fp_ieee_inexact 0
		.amdhsa_exception_int_div_zero 0
	.end_amdhsa_kernel
	.section	.text._ZN7rocprim17ROCPRIM_400000_NS6detail17trampoline_kernelINS0_13select_configILj256ELj13ELNS0_17block_load_methodE3ELS4_3ELS4_3ELNS0_20block_scan_algorithmE0ELj4294967295EEENS1_25partition_config_selectorILNS1_17partition_subalgoE3EjNS0_10empty_typeEbEEZZNS1_14partition_implILS8_3ELb0ES6_jNS0_17counting_iteratorIjlEEPS9_SE_NS0_5tupleIJPjSE_EEENSF_IJSE_SE_EEES9_SG_JZNS1_25segmented_radix_sort_implINS0_14default_configELb0EPK12hip_bfloat16PSL_PKlPlN2at6native12_GLOBAL__N_18offset_tEEE10hipError_tPvRmT1_PNSt15iterator_traitsISZ_E10value_typeET2_T3_PNS10_IS15_E10value_typeET4_jRbjT5_S1B_jjP12ihipStream_tbEUljE_EEESW_SX_SY_S15_S19_S1B_T6_T7_T9_mT8_S1D_bDpT10_ENKUlT_T0_E_clISt17integral_constantIbLb1EES1Q_EEDaS1L_S1M_EUlS1L_E_NS1_11comp_targetILNS1_3genE8ELNS1_11target_archE1030ELNS1_3gpuE2ELNS1_3repE0EEENS1_30default_config_static_selectorELNS0_4arch9wavefront6targetE1EEEvSZ_,"axG",@progbits,_ZN7rocprim17ROCPRIM_400000_NS6detail17trampoline_kernelINS0_13select_configILj256ELj13ELNS0_17block_load_methodE3ELS4_3ELS4_3ELNS0_20block_scan_algorithmE0ELj4294967295EEENS1_25partition_config_selectorILNS1_17partition_subalgoE3EjNS0_10empty_typeEbEEZZNS1_14partition_implILS8_3ELb0ES6_jNS0_17counting_iteratorIjlEEPS9_SE_NS0_5tupleIJPjSE_EEENSF_IJSE_SE_EEES9_SG_JZNS1_25segmented_radix_sort_implINS0_14default_configELb0EPK12hip_bfloat16PSL_PKlPlN2at6native12_GLOBAL__N_18offset_tEEE10hipError_tPvRmT1_PNSt15iterator_traitsISZ_E10value_typeET2_T3_PNS10_IS15_E10value_typeET4_jRbjT5_S1B_jjP12ihipStream_tbEUljE_EEESW_SX_SY_S15_S19_S1B_T6_T7_T9_mT8_S1D_bDpT10_ENKUlT_T0_E_clISt17integral_constantIbLb1EES1Q_EEDaS1L_S1M_EUlS1L_E_NS1_11comp_targetILNS1_3genE8ELNS1_11target_archE1030ELNS1_3gpuE2ELNS1_3repE0EEENS1_30default_config_static_selectorELNS0_4arch9wavefront6targetE1EEEvSZ_,comdat
.Lfunc_end2032:
	.size	_ZN7rocprim17ROCPRIM_400000_NS6detail17trampoline_kernelINS0_13select_configILj256ELj13ELNS0_17block_load_methodE3ELS4_3ELS4_3ELNS0_20block_scan_algorithmE0ELj4294967295EEENS1_25partition_config_selectorILNS1_17partition_subalgoE3EjNS0_10empty_typeEbEEZZNS1_14partition_implILS8_3ELb0ES6_jNS0_17counting_iteratorIjlEEPS9_SE_NS0_5tupleIJPjSE_EEENSF_IJSE_SE_EEES9_SG_JZNS1_25segmented_radix_sort_implINS0_14default_configELb0EPK12hip_bfloat16PSL_PKlPlN2at6native12_GLOBAL__N_18offset_tEEE10hipError_tPvRmT1_PNSt15iterator_traitsISZ_E10value_typeET2_T3_PNS10_IS15_E10value_typeET4_jRbjT5_S1B_jjP12ihipStream_tbEUljE_EEESW_SX_SY_S15_S19_S1B_T6_T7_T9_mT8_S1D_bDpT10_ENKUlT_T0_E_clISt17integral_constantIbLb1EES1Q_EEDaS1L_S1M_EUlS1L_E_NS1_11comp_targetILNS1_3genE8ELNS1_11target_archE1030ELNS1_3gpuE2ELNS1_3repE0EEENS1_30default_config_static_selectorELNS0_4arch9wavefront6targetE1EEEvSZ_, .Lfunc_end2032-_ZN7rocprim17ROCPRIM_400000_NS6detail17trampoline_kernelINS0_13select_configILj256ELj13ELNS0_17block_load_methodE3ELS4_3ELS4_3ELNS0_20block_scan_algorithmE0ELj4294967295EEENS1_25partition_config_selectorILNS1_17partition_subalgoE3EjNS0_10empty_typeEbEEZZNS1_14partition_implILS8_3ELb0ES6_jNS0_17counting_iteratorIjlEEPS9_SE_NS0_5tupleIJPjSE_EEENSF_IJSE_SE_EEES9_SG_JZNS1_25segmented_radix_sort_implINS0_14default_configELb0EPK12hip_bfloat16PSL_PKlPlN2at6native12_GLOBAL__N_18offset_tEEE10hipError_tPvRmT1_PNSt15iterator_traitsISZ_E10value_typeET2_T3_PNS10_IS15_E10value_typeET4_jRbjT5_S1B_jjP12ihipStream_tbEUljE_EEESW_SX_SY_S15_S19_S1B_T6_T7_T9_mT8_S1D_bDpT10_ENKUlT_T0_E_clISt17integral_constantIbLb1EES1Q_EEDaS1L_S1M_EUlS1L_E_NS1_11comp_targetILNS1_3genE8ELNS1_11target_archE1030ELNS1_3gpuE2ELNS1_3repE0EEENS1_30default_config_static_selectorELNS0_4arch9wavefront6targetE1EEEvSZ_
                                        ; -- End function
	.set _ZN7rocprim17ROCPRIM_400000_NS6detail17trampoline_kernelINS0_13select_configILj256ELj13ELNS0_17block_load_methodE3ELS4_3ELS4_3ELNS0_20block_scan_algorithmE0ELj4294967295EEENS1_25partition_config_selectorILNS1_17partition_subalgoE3EjNS0_10empty_typeEbEEZZNS1_14partition_implILS8_3ELb0ES6_jNS0_17counting_iteratorIjlEEPS9_SE_NS0_5tupleIJPjSE_EEENSF_IJSE_SE_EEES9_SG_JZNS1_25segmented_radix_sort_implINS0_14default_configELb0EPK12hip_bfloat16PSL_PKlPlN2at6native12_GLOBAL__N_18offset_tEEE10hipError_tPvRmT1_PNSt15iterator_traitsISZ_E10value_typeET2_T3_PNS10_IS15_E10value_typeET4_jRbjT5_S1B_jjP12ihipStream_tbEUljE_EEESW_SX_SY_S15_S19_S1B_T6_T7_T9_mT8_S1D_bDpT10_ENKUlT_T0_E_clISt17integral_constantIbLb1EES1Q_EEDaS1L_S1M_EUlS1L_E_NS1_11comp_targetILNS1_3genE8ELNS1_11target_archE1030ELNS1_3gpuE2ELNS1_3repE0EEENS1_30default_config_static_selectorELNS0_4arch9wavefront6targetE1EEEvSZ_.num_vgpr, 0
	.set _ZN7rocprim17ROCPRIM_400000_NS6detail17trampoline_kernelINS0_13select_configILj256ELj13ELNS0_17block_load_methodE3ELS4_3ELS4_3ELNS0_20block_scan_algorithmE0ELj4294967295EEENS1_25partition_config_selectorILNS1_17partition_subalgoE3EjNS0_10empty_typeEbEEZZNS1_14partition_implILS8_3ELb0ES6_jNS0_17counting_iteratorIjlEEPS9_SE_NS0_5tupleIJPjSE_EEENSF_IJSE_SE_EEES9_SG_JZNS1_25segmented_radix_sort_implINS0_14default_configELb0EPK12hip_bfloat16PSL_PKlPlN2at6native12_GLOBAL__N_18offset_tEEE10hipError_tPvRmT1_PNSt15iterator_traitsISZ_E10value_typeET2_T3_PNS10_IS15_E10value_typeET4_jRbjT5_S1B_jjP12ihipStream_tbEUljE_EEESW_SX_SY_S15_S19_S1B_T6_T7_T9_mT8_S1D_bDpT10_ENKUlT_T0_E_clISt17integral_constantIbLb1EES1Q_EEDaS1L_S1M_EUlS1L_E_NS1_11comp_targetILNS1_3genE8ELNS1_11target_archE1030ELNS1_3gpuE2ELNS1_3repE0EEENS1_30default_config_static_selectorELNS0_4arch9wavefront6targetE1EEEvSZ_.num_agpr, 0
	.set _ZN7rocprim17ROCPRIM_400000_NS6detail17trampoline_kernelINS0_13select_configILj256ELj13ELNS0_17block_load_methodE3ELS4_3ELS4_3ELNS0_20block_scan_algorithmE0ELj4294967295EEENS1_25partition_config_selectorILNS1_17partition_subalgoE3EjNS0_10empty_typeEbEEZZNS1_14partition_implILS8_3ELb0ES6_jNS0_17counting_iteratorIjlEEPS9_SE_NS0_5tupleIJPjSE_EEENSF_IJSE_SE_EEES9_SG_JZNS1_25segmented_radix_sort_implINS0_14default_configELb0EPK12hip_bfloat16PSL_PKlPlN2at6native12_GLOBAL__N_18offset_tEEE10hipError_tPvRmT1_PNSt15iterator_traitsISZ_E10value_typeET2_T3_PNS10_IS15_E10value_typeET4_jRbjT5_S1B_jjP12ihipStream_tbEUljE_EEESW_SX_SY_S15_S19_S1B_T6_T7_T9_mT8_S1D_bDpT10_ENKUlT_T0_E_clISt17integral_constantIbLb1EES1Q_EEDaS1L_S1M_EUlS1L_E_NS1_11comp_targetILNS1_3genE8ELNS1_11target_archE1030ELNS1_3gpuE2ELNS1_3repE0EEENS1_30default_config_static_selectorELNS0_4arch9wavefront6targetE1EEEvSZ_.numbered_sgpr, 0
	.set _ZN7rocprim17ROCPRIM_400000_NS6detail17trampoline_kernelINS0_13select_configILj256ELj13ELNS0_17block_load_methodE3ELS4_3ELS4_3ELNS0_20block_scan_algorithmE0ELj4294967295EEENS1_25partition_config_selectorILNS1_17partition_subalgoE3EjNS0_10empty_typeEbEEZZNS1_14partition_implILS8_3ELb0ES6_jNS0_17counting_iteratorIjlEEPS9_SE_NS0_5tupleIJPjSE_EEENSF_IJSE_SE_EEES9_SG_JZNS1_25segmented_radix_sort_implINS0_14default_configELb0EPK12hip_bfloat16PSL_PKlPlN2at6native12_GLOBAL__N_18offset_tEEE10hipError_tPvRmT1_PNSt15iterator_traitsISZ_E10value_typeET2_T3_PNS10_IS15_E10value_typeET4_jRbjT5_S1B_jjP12ihipStream_tbEUljE_EEESW_SX_SY_S15_S19_S1B_T6_T7_T9_mT8_S1D_bDpT10_ENKUlT_T0_E_clISt17integral_constantIbLb1EES1Q_EEDaS1L_S1M_EUlS1L_E_NS1_11comp_targetILNS1_3genE8ELNS1_11target_archE1030ELNS1_3gpuE2ELNS1_3repE0EEENS1_30default_config_static_selectorELNS0_4arch9wavefront6targetE1EEEvSZ_.num_named_barrier, 0
	.set _ZN7rocprim17ROCPRIM_400000_NS6detail17trampoline_kernelINS0_13select_configILj256ELj13ELNS0_17block_load_methodE3ELS4_3ELS4_3ELNS0_20block_scan_algorithmE0ELj4294967295EEENS1_25partition_config_selectorILNS1_17partition_subalgoE3EjNS0_10empty_typeEbEEZZNS1_14partition_implILS8_3ELb0ES6_jNS0_17counting_iteratorIjlEEPS9_SE_NS0_5tupleIJPjSE_EEENSF_IJSE_SE_EEES9_SG_JZNS1_25segmented_radix_sort_implINS0_14default_configELb0EPK12hip_bfloat16PSL_PKlPlN2at6native12_GLOBAL__N_18offset_tEEE10hipError_tPvRmT1_PNSt15iterator_traitsISZ_E10value_typeET2_T3_PNS10_IS15_E10value_typeET4_jRbjT5_S1B_jjP12ihipStream_tbEUljE_EEESW_SX_SY_S15_S19_S1B_T6_T7_T9_mT8_S1D_bDpT10_ENKUlT_T0_E_clISt17integral_constantIbLb1EES1Q_EEDaS1L_S1M_EUlS1L_E_NS1_11comp_targetILNS1_3genE8ELNS1_11target_archE1030ELNS1_3gpuE2ELNS1_3repE0EEENS1_30default_config_static_selectorELNS0_4arch9wavefront6targetE1EEEvSZ_.private_seg_size, 0
	.set _ZN7rocprim17ROCPRIM_400000_NS6detail17trampoline_kernelINS0_13select_configILj256ELj13ELNS0_17block_load_methodE3ELS4_3ELS4_3ELNS0_20block_scan_algorithmE0ELj4294967295EEENS1_25partition_config_selectorILNS1_17partition_subalgoE3EjNS0_10empty_typeEbEEZZNS1_14partition_implILS8_3ELb0ES6_jNS0_17counting_iteratorIjlEEPS9_SE_NS0_5tupleIJPjSE_EEENSF_IJSE_SE_EEES9_SG_JZNS1_25segmented_radix_sort_implINS0_14default_configELb0EPK12hip_bfloat16PSL_PKlPlN2at6native12_GLOBAL__N_18offset_tEEE10hipError_tPvRmT1_PNSt15iterator_traitsISZ_E10value_typeET2_T3_PNS10_IS15_E10value_typeET4_jRbjT5_S1B_jjP12ihipStream_tbEUljE_EEESW_SX_SY_S15_S19_S1B_T6_T7_T9_mT8_S1D_bDpT10_ENKUlT_T0_E_clISt17integral_constantIbLb1EES1Q_EEDaS1L_S1M_EUlS1L_E_NS1_11comp_targetILNS1_3genE8ELNS1_11target_archE1030ELNS1_3gpuE2ELNS1_3repE0EEENS1_30default_config_static_selectorELNS0_4arch9wavefront6targetE1EEEvSZ_.uses_vcc, 0
	.set _ZN7rocprim17ROCPRIM_400000_NS6detail17trampoline_kernelINS0_13select_configILj256ELj13ELNS0_17block_load_methodE3ELS4_3ELS4_3ELNS0_20block_scan_algorithmE0ELj4294967295EEENS1_25partition_config_selectorILNS1_17partition_subalgoE3EjNS0_10empty_typeEbEEZZNS1_14partition_implILS8_3ELb0ES6_jNS0_17counting_iteratorIjlEEPS9_SE_NS0_5tupleIJPjSE_EEENSF_IJSE_SE_EEES9_SG_JZNS1_25segmented_radix_sort_implINS0_14default_configELb0EPK12hip_bfloat16PSL_PKlPlN2at6native12_GLOBAL__N_18offset_tEEE10hipError_tPvRmT1_PNSt15iterator_traitsISZ_E10value_typeET2_T3_PNS10_IS15_E10value_typeET4_jRbjT5_S1B_jjP12ihipStream_tbEUljE_EEESW_SX_SY_S15_S19_S1B_T6_T7_T9_mT8_S1D_bDpT10_ENKUlT_T0_E_clISt17integral_constantIbLb1EES1Q_EEDaS1L_S1M_EUlS1L_E_NS1_11comp_targetILNS1_3genE8ELNS1_11target_archE1030ELNS1_3gpuE2ELNS1_3repE0EEENS1_30default_config_static_selectorELNS0_4arch9wavefront6targetE1EEEvSZ_.uses_flat_scratch, 0
	.set _ZN7rocprim17ROCPRIM_400000_NS6detail17trampoline_kernelINS0_13select_configILj256ELj13ELNS0_17block_load_methodE3ELS4_3ELS4_3ELNS0_20block_scan_algorithmE0ELj4294967295EEENS1_25partition_config_selectorILNS1_17partition_subalgoE3EjNS0_10empty_typeEbEEZZNS1_14partition_implILS8_3ELb0ES6_jNS0_17counting_iteratorIjlEEPS9_SE_NS0_5tupleIJPjSE_EEENSF_IJSE_SE_EEES9_SG_JZNS1_25segmented_radix_sort_implINS0_14default_configELb0EPK12hip_bfloat16PSL_PKlPlN2at6native12_GLOBAL__N_18offset_tEEE10hipError_tPvRmT1_PNSt15iterator_traitsISZ_E10value_typeET2_T3_PNS10_IS15_E10value_typeET4_jRbjT5_S1B_jjP12ihipStream_tbEUljE_EEESW_SX_SY_S15_S19_S1B_T6_T7_T9_mT8_S1D_bDpT10_ENKUlT_T0_E_clISt17integral_constantIbLb1EES1Q_EEDaS1L_S1M_EUlS1L_E_NS1_11comp_targetILNS1_3genE8ELNS1_11target_archE1030ELNS1_3gpuE2ELNS1_3repE0EEENS1_30default_config_static_selectorELNS0_4arch9wavefront6targetE1EEEvSZ_.has_dyn_sized_stack, 0
	.set _ZN7rocprim17ROCPRIM_400000_NS6detail17trampoline_kernelINS0_13select_configILj256ELj13ELNS0_17block_load_methodE3ELS4_3ELS4_3ELNS0_20block_scan_algorithmE0ELj4294967295EEENS1_25partition_config_selectorILNS1_17partition_subalgoE3EjNS0_10empty_typeEbEEZZNS1_14partition_implILS8_3ELb0ES6_jNS0_17counting_iteratorIjlEEPS9_SE_NS0_5tupleIJPjSE_EEENSF_IJSE_SE_EEES9_SG_JZNS1_25segmented_radix_sort_implINS0_14default_configELb0EPK12hip_bfloat16PSL_PKlPlN2at6native12_GLOBAL__N_18offset_tEEE10hipError_tPvRmT1_PNSt15iterator_traitsISZ_E10value_typeET2_T3_PNS10_IS15_E10value_typeET4_jRbjT5_S1B_jjP12ihipStream_tbEUljE_EEESW_SX_SY_S15_S19_S1B_T6_T7_T9_mT8_S1D_bDpT10_ENKUlT_T0_E_clISt17integral_constantIbLb1EES1Q_EEDaS1L_S1M_EUlS1L_E_NS1_11comp_targetILNS1_3genE8ELNS1_11target_archE1030ELNS1_3gpuE2ELNS1_3repE0EEENS1_30default_config_static_selectorELNS0_4arch9wavefront6targetE1EEEvSZ_.has_recursion, 0
	.set _ZN7rocprim17ROCPRIM_400000_NS6detail17trampoline_kernelINS0_13select_configILj256ELj13ELNS0_17block_load_methodE3ELS4_3ELS4_3ELNS0_20block_scan_algorithmE0ELj4294967295EEENS1_25partition_config_selectorILNS1_17partition_subalgoE3EjNS0_10empty_typeEbEEZZNS1_14partition_implILS8_3ELb0ES6_jNS0_17counting_iteratorIjlEEPS9_SE_NS0_5tupleIJPjSE_EEENSF_IJSE_SE_EEES9_SG_JZNS1_25segmented_radix_sort_implINS0_14default_configELb0EPK12hip_bfloat16PSL_PKlPlN2at6native12_GLOBAL__N_18offset_tEEE10hipError_tPvRmT1_PNSt15iterator_traitsISZ_E10value_typeET2_T3_PNS10_IS15_E10value_typeET4_jRbjT5_S1B_jjP12ihipStream_tbEUljE_EEESW_SX_SY_S15_S19_S1B_T6_T7_T9_mT8_S1D_bDpT10_ENKUlT_T0_E_clISt17integral_constantIbLb1EES1Q_EEDaS1L_S1M_EUlS1L_E_NS1_11comp_targetILNS1_3genE8ELNS1_11target_archE1030ELNS1_3gpuE2ELNS1_3repE0EEENS1_30default_config_static_selectorELNS0_4arch9wavefront6targetE1EEEvSZ_.has_indirect_call, 0
	.section	.AMDGPU.csdata,"",@progbits
; Kernel info:
; codeLenInByte = 0
; TotalNumSgprs: 4
; NumVgprs: 0
; ScratchSize: 0
; MemoryBound: 0
; FloatMode: 240
; IeeeMode: 1
; LDSByteSize: 0 bytes/workgroup (compile time only)
; SGPRBlocks: 0
; VGPRBlocks: 0
; NumSGPRsForWavesPerEU: 4
; NumVGPRsForWavesPerEU: 1
; Occupancy: 10
; WaveLimiterHint : 0
; COMPUTE_PGM_RSRC2:SCRATCH_EN: 0
; COMPUTE_PGM_RSRC2:USER_SGPR: 6
; COMPUTE_PGM_RSRC2:TRAP_HANDLER: 0
; COMPUTE_PGM_RSRC2:TGID_X_EN: 1
; COMPUTE_PGM_RSRC2:TGID_Y_EN: 0
; COMPUTE_PGM_RSRC2:TGID_Z_EN: 0
; COMPUTE_PGM_RSRC2:TIDIG_COMP_CNT: 0
	.section	.text._ZN7rocprim17ROCPRIM_400000_NS6detail17trampoline_kernelINS0_13select_configILj256ELj13ELNS0_17block_load_methodE3ELS4_3ELS4_3ELNS0_20block_scan_algorithmE0ELj4294967295EEENS1_25partition_config_selectorILNS1_17partition_subalgoE3EjNS0_10empty_typeEbEEZZNS1_14partition_implILS8_3ELb0ES6_jNS0_17counting_iteratorIjlEEPS9_SE_NS0_5tupleIJPjSE_EEENSF_IJSE_SE_EEES9_SG_JZNS1_25segmented_radix_sort_implINS0_14default_configELb0EPK12hip_bfloat16PSL_PKlPlN2at6native12_GLOBAL__N_18offset_tEEE10hipError_tPvRmT1_PNSt15iterator_traitsISZ_E10value_typeET2_T3_PNS10_IS15_E10value_typeET4_jRbjT5_S1B_jjP12ihipStream_tbEUljE_EEESW_SX_SY_S15_S19_S1B_T6_T7_T9_mT8_S1D_bDpT10_ENKUlT_T0_E_clISt17integral_constantIbLb1EES1P_IbLb0EEEEDaS1L_S1M_EUlS1L_E_NS1_11comp_targetILNS1_3genE0ELNS1_11target_archE4294967295ELNS1_3gpuE0ELNS1_3repE0EEENS1_30default_config_static_selectorELNS0_4arch9wavefront6targetE1EEEvSZ_,"axG",@progbits,_ZN7rocprim17ROCPRIM_400000_NS6detail17trampoline_kernelINS0_13select_configILj256ELj13ELNS0_17block_load_methodE3ELS4_3ELS4_3ELNS0_20block_scan_algorithmE0ELj4294967295EEENS1_25partition_config_selectorILNS1_17partition_subalgoE3EjNS0_10empty_typeEbEEZZNS1_14partition_implILS8_3ELb0ES6_jNS0_17counting_iteratorIjlEEPS9_SE_NS0_5tupleIJPjSE_EEENSF_IJSE_SE_EEES9_SG_JZNS1_25segmented_radix_sort_implINS0_14default_configELb0EPK12hip_bfloat16PSL_PKlPlN2at6native12_GLOBAL__N_18offset_tEEE10hipError_tPvRmT1_PNSt15iterator_traitsISZ_E10value_typeET2_T3_PNS10_IS15_E10value_typeET4_jRbjT5_S1B_jjP12ihipStream_tbEUljE_EEESW_SX_SY_S15_S19_S1B_T6_T7_T9_mT8_S1D_bDpT10_ENKUlT_T0_E_clISt17integral_constantIbLb1EES1P_IbLb0EEEEDaS1L_S1M_EUlS1L_E_NS1_11comp_targetILNS1_3genE0ELNS1_11target_archE4294967295ELNS1_3gpuE0ELNS1_3repE0EEENS1_30default_config_static_selectorELNS0_4arch9wavefront6targetE1EEEvSZ_,comdat
	.globl	_ZN7rocprim17ROCPRIM_400000_NS6detail17trampoline_kernelINS0_13select_configILj256ELj13ELNS0_17block_load_methodE3ELS4_3ELS4_3ELNS0_20block_scan_algorithmE0ELj4294967295EEENS1_25partition_config_selectorILNS1_17partition_subalgoE3EjNS0_10empty_typeEbEEZZNS1_14partition_implILS8_3ELb0ES6_jNS0_17counting_iteratorIjlEEPS9_SE_NS0_5tupleIJPjSE_EEENSF_IJSE_SE_EEES9_SG_JZNS1_25segmented_radix_sort_implINS0_14default_configELb0EPK12hip_bfloat16PSL_PKlPlN2at6native12_GLOBAL__N_18offset_tEEE10hipError_tPvRmT1_PNSt15iterator_traitsISZ_E10value_typeET2_T3_PNS10_IS15_E10value_typeET4_jRbjT5_S1B_jjP12ihipStream_tbEUljE_EEESW_SX_SY_S15_S19_S1B_T6_T7_T9_mT8_S1D_bDpT10_ENKUlT_T0_E_clISt17integral_constantIbLb1EES1P_IbLb0EEEEDaS1L_S1M_EUlS1L_E_NS1_11comp_targetILNS1_3genE0ELNS1_11target_archE4294967295ELNS1_3gpuE0ELNS1_3repE0EEENS1_30default_config_static_selectorELNS0_4arch9wavefront6targetE1EEEvSZ_ ; -- Begin function _ZN7rocprim17ROCPRIM_400000_NS6detail17trampoline_kernelINS0_13select_configILj256ELj13ELNS0_17block_load_methodE3ELS4_3ELS4_3ELNS0_20block_scan_algorithmE0ELj4294967295EEENS1_25partition_config_selectorILNS1_17partition_subalgoE3EjNS0_10empty_typeEbEEZZNS1_14partition_implILS8_3ELb0ES6_jNS0_17counting_iteratorIjlEEPS9_SE_NS0_5tupleIJPjSE_EEENSF_IJSE_SE_EEES9_SG_JZNS1_25segmented_radix_sort_implINS0_14default_configELb0EPK12hip_bfloat16PSL_PKlPlN2at6native12_GLOBAL__N_18offset_tEEE10hipError_tPvRmT1_PNSt15iterator_traitsISZ_E10value_typeET2_T3_PNS10_IS15_E10value_typeET4_jRbjT5_S1B_jjP12ihipStream_tbEUljE_EEESW_SX_SY_S15_S19_S1B_T6_T7_T9_mT8_S1D_bDpT10_ENKUlT_T0_E_clISt17integral_constantIbLb1EES1P_IbLb0EEEEDaS1L_S1M_EUlS1L_E_NS1_11comp_targetILNS1_3genE0ELNS1_11target_archE4294967295ELNS1_3gpuE0ELNS1_3repE0EEENS1_30default_config_static_selectorELNS0_4arch9wavefront6targetE1EEEvSZ_
	.p2align	8
	.type	_ZN7rocprim17ROCPRIM_400000_NS6detail17trampoline_kernelINS0_13select_configILj256ELj13ELNS0_17block_load_methodE3ELS4_3ELS4_3ELNS0_20block_scan_algorithmE0ELj4294967295EEENS1_25partition_config_selectorILNS1_17partition_subalgoE3EjNS0_10empty_typeEbEEZZNS1_14partition_implILS8_3ELb0ES6_jNS0_17counting_iteratorIjlEEPS9_SE_NS0_5tupleIJPjSE_EEENSF_IJSE_SE_EEES9_SG_JZNS1_25segmented_radix_sort_implINS0_14default_configELb0EPK12hip_bfloat16PSL_PKlPlN2at6native12_GLOBAL__N_18offset_tEEE10hipError_tPvRmT1_PNSt15iterator_traitsISZ_E10value_typeET2_T3_PNS10_IS15_E10value_typeET4_jRbjT5_S1B_jjP12ihipStream_tbEUljE_EEESW_SX_SY_S15_S19_S1B_T6_T7_T9_mT8_S1D_bDpT10_ENKUlT_T0_E_clISt17integral_constantIbLb1EES1P_IbLb0EEEEDaS1L_S1M_EUlS1L_E_NS1_11comp_targetILNS1_3genE0ELNS1_11target_archE4294967295ELNS1_3gpuE0ELNS1_3repE0EEENS1_30default_config_static_selectorELNS0_4arch9wavefront6targetE1EEEvSZ_,@function
_ZN7rocprim17ROCPRIM_400000_NS6detail17trampoline_kernelINS0_13select_configILj256ELj13ELNS0_17block_load_methodE3ELS4_3ELS4_3ELNS0_20block_scan_algorithmE0ELj4294967295EEENS1_25partition_config_selectorILNS1_17partition_subalgoE3EjNS0_10empty_typeEbEEZZNS1_14partition_implILS8_3ELb0ES6_jNS0_17counting_iteratorIjlEEPS9_SE_NS0_5tupleIJPjSE_EEENSF_IJSE_SE_EEES9_SG_JZNS1_25segmented_radix_sort_implINS0_14default_configELb0EPK12hip_bfloat16PSL_PKlPlN2at6native12_GLOBAL__N_18offset_tEEE10hipError_tPvRmT1_PNSt15iterator_traitsISZ_E10value_typeET2_T3_PNS10_IS15_E10value_typeET4_jRbjT5_S1B_jjP12ihipStream_tbEUljE_EEESW_SX_SY_S15_S19_S1B_T6_T7_T9_mT8_S1D_bDpT10_ENKUlT_T0_E_clISt17integral_constantIbLb1EES1P_IbLb0EEEEDaS1L_S1M_EUlS1L_E_NS1_11comp_targetILNS1_3genE0ELNS1_11target_archE4294967295ELNS1_3gpuE0ELNS1_3repE0EEENS1_30default_config_static_selectorELNS0_4arch9wavefront6targetE1EEEvSZ_: ; @_ZN7rocprim17ROCPRIM_400000_NS6detail17trampoline_kernelINS0_13select_configILj256ELj13ELNS0_17block_load_methodE3ELS4_3ELS4_3ELNS0_20block_scan_algorithmE0ELj4294967295EEENS1_25partition_config_selectorILNS1_17partition_subalgoE3EjNS0_10empty_typeEbEEZZNS1_14partition_implILS8_3ELb0ES6_jNS0_17counting_iteratorIjlEEPS9_SE_NS0_5tupleIJPjSE_EEENSF_IJSE_SE_EEES9_SG_JZNS1_25segmented_radix_sort_implINS0_14default_configELb0EPK12hip_bfloat16PSL_PKlPlN2at6native12_GLOBAL__N_18offset_tEEE10hipError_tPvRmT1_PNSt15iterator_traitsISZ_E10value_typeET2_T3_PNS10_IS15_E10value_typeET4_jRbjT5_S1B_jjP12ihipStream_tbEUljE_EEESW_SX_SY_S15_S19_S1B_T6_T7_T9_mT8_S1D_bDpT10_ENKUlT_T0_E_clISt17integral_constantIbLb1EES1P_IbLb0EEEEDaS1L_S1M_EUlS1L_E_NS1_11comp_targetILNS1_3genE0ELNS1_11target_archE4294967295ELNS1_3gpuE0ELNS1_3repE0EEENS1_30default_config_static_selectorELNS0_4arch9wavefront6targetE1EEEvSZ_
; %bb.0:
	.section	.rodata,"a",@progbits
	.p2align	6, 0x0
	.amdhsa_kernel _ZN7rocprim17ROCPRIM_400000_NS6detail17trampoline_kernelINS0_13select_configILj256ELj13ELNS0_17block_load_methodE3ELS4_3ELS4_3ELNS0_20block_scan_algorithmE0ELj4294967295EEENS1_25partition_config_selectorILNS1_17partition_subalgoE3EjNS0_10empty_typeEbEEZZNS1_14partition_implILS8_3ELb0ES6_jNS0_17counting_iteratorIjlEEPS9_SE_NS0_5tupleIJPjSE_EEENSF_IJSE_SE_EEES9_SG_JZNS1_25segmented_radix_sort_implINS0_14default_configELb0EPK12hip_bfloat16PSL_PKlPlN2at6native12_GLOBAL__N_18offset_tEEE10hipError_tPvRmT1_PNSt15iterator_traitsISZ_E10value_typeET2_T3_PNS10_IS15_E10value_typeET4_jRbjT5_S1B_jjP12ihipStream_tbEUljE_EEESW_SX_SY_S15_S19_S1B_T6_T7_T9_mT8_S1D_bDpT10_ENKUlT_T0_E_clISt17integral_constantIbLb1EES1P_IbLb0EEEEDaS1L_S1M_EUlS1L_E_NS1_11comp_targetILNS1_3genE0ELNS1_11target_archE4294967295ELNS1_3gpuE0ELNS1_3repE0EEENS1_30default_config_static_selectorELNS0_4arch9wavefront6targetE1EEEvSZ_
		.amdhsa_group_segment_fixed_size 0
		.amdhsa_private_segment_fixed_size 0
		.amdhsa_kernarg_size 144
		.amdhsa_user_sgpr_count 6
		.amdhsa_user_sgpr_private_segment_buffer 1
		.amdhsa_user_sgpr_dispatch_ptr 0
		.amdhsa_user_sgpr_queue_ptr 0
		.amdhsa_user_sgpr_kernarg_segment_ptr 1
		.amdhsa_user_sgpr_dispatch_id 0
		.amdhsa_user_sgpr_flat_scratch_init 0
		.amdhsa_user_sgpr_private_segment_size 0
		.amdhsa_uses_dynamic_stack 0
		.amdhsa_system_sgpr_private_segment_wavefront_offset 0
		.amdhsa_system_sgpr_workgroup_id_x 1
		.amdhsa_system_sgpr_workgroup_id_y 0
		.amdhsa_system_sgpr_workgroup_id_z 0
		.amdhsa_system_sgpr_workgroup_info 0
		.amdhsa_system_vgpr_workitem_id 0
		.amdhsa_next_free_vgpr 1
		.amdhsa_next_free_sgpr 0
		.amdhsa_reserve_vcc 0
		.amdhsa_reserve_flat_scratch 0
		.amdhsa_float_round_mode_32 0
		.amdhsa_float_round_mode_16_64 0
		.amdhsa_float_denorm_mode_32 3
		.amdhsa_float_denorm_mode_16_64 3
		.amdhsa_dx10_clamp 1
		.amdhsa_ieee_mode 1
		.amdhsa_fp16_overflow 0
		.amdhsa_exception_fp_ieee_invalid_op 0
		.amdhsa_exception_fp_denorm_src 0
		.amdhsa_exception_fp_ieee_div_zero 0
		.amdhsa_exception_fp_ieee_overflow 0
		.amdhsa_exception_fp_ieee_underflow 0
		.amdhsa_exception_fp_ieee_inexact 0
		.amdhsa_exception_int_div_zero 0
	.end_amdhsa_kernel
	.section	.text._ZN7rocprim17ROCPRIM_400000_NS6detail17trampoline_kernelINS0_13select_configILj256ELj13ELNS0_17block_load_methodE3ELS4_3ELS4_3ELNS0_20block_scan_algorithmE0ELj4294967295EEENS1_25partition_config_selectorILNS1_17partition_subalgoE3EjNS0_10empty_typeEbEEZZNS1_14partition_implILS8_3ELb0ES6_jNS0_17counting_iteratorIjlEEPS9_SE_NS0_5tupleIJPjSE_EEENSF_IJSE_SE_EEES9_SG_JZNS1_25segmented_radix_sort_implINS0_14default_configELb0EPK12hip_bfloat16PSL_PKlPlN2at6native12_GLOBAL__N_18offset_tEEE10hipError_tPvRmT1_PNSt15iterator_traitsISZ_E10value_typeET2_T3_PNS10_IS15_E10value_typeET4_jRbjT5_S1B_jjP12ihipStream_tbEUljE_EEESW_SX_SY_S15_S19_S1B_T6_T7_T9_mT8_S1D_bDpT10_ENKUlT_T0_E_clISt17integral_constantIbLb1EES1P_IbLb0EEEEDaS1L_S1M_EUlS1L_E_NS1_11comp_targetILNS1_3genE0ELNS1_11target_archE4294967295ELNS1_3gpuE0ELNS1_3repE0EEENS1_30default_config_static_selectorELNS0_4arch9wavefront6targetE1EEEvSZ_,"axG",@progbits,_ZN7rocprim17ROCPRIM_400000_NS6detail17trampoline_kernelINS0_13select_configILj256ELj13ELNS0_17block_load_methodE3ELS4_3ELS4_3ELNS0_20block_scan_algorithmE0ELj4294967295EEENS1_25partition_config_selectorILNS1_17partition_subalgoE3EjNS0_10empty_typeEbEEZZNS1_14partition_implILS8_3ELb0ES6_jNS0_17counting_iteratorIjlEEPS9_SE_NS0_5tupleIJPjSE_EEENSF_IJSE_SE_EEES9_SG_JZNS1_25segmented_radix_sort_implINS0_14default_configELb0EPK12hip_bfloat16PSL_PKlPlN2at6native12_GLOBAL__N_18offset_tEEE10hipError_tPvRmT1_PNSt15iterator_traitsISZ_E10value_typeET2_T3_PNS10_IS15_E10value_typeET4_jRbjT5_S1B_jjP12ihipStream_tbEUljE_EEESW_SX_SY_S15_S19_S1B_T6_T7_T9_mT8_S1D_bDpT10_ENKUlT_T0_E_clISt17integral_constantIbLb1EES1P_IbLb0EEEEDaS1L_S1M_EUlS1L_E_NS1_11comp_targetILNS1_3genE0ELNS1_11target_archE4294967295ELNS1_3gpuE0ELNS1_3repE0EEENS1_30default_config_static_selectorELNS0_4arch9wavefront6targetE1EEEvSZ_,comdat
.Lfunc_end2033:
	.size	_ZN7rocprim17ROCPRIM_400000_NS6detail17trampoline_kernelINS0_13select_configILj256ELj13ELNS0_17block_load_methodE3ELS4_3ELS4_3ELNS0_20block_scan_algorithmE0ELj4294967295EEENS1_25partition_config_selectorILNS1_17partition_subalgoE3EjNS0_10empty_typeEbEEZZNS1_14partition_implILS8_3ELb0ES6_jNS0_17counting_iteratorIjlEEPS9_SE_NS0_5tupleIJPjSE_EEENSF_IJSE_SE_EEES9_SG_JZNS1_25segmented_radix_sort_implINS0_14default_configELb0EPK12hip_bfloat16PSL_PKlPlN2at6native12_GLOBAL__N_18offset_tEEE10hipError_tPvRmT1_PNSt15iterator_traitsISZ_E10value_typeET2_T3_PNS10_IS15_E10value_typeET4_jRbjT5_S1B_jjP12ihipStream_tbEUljE_EEESW_SX_SY_S15_S19_S1B_T6_T7_T9_mT8_S1D_bDpT10_ENKUlT_T0_E_clISt17integral_constantIbLb1EES1P_IbLb0EEEEDaS1L_S1M_EUlS1L_E_NS1_11comp_targetILNS1_3genE0ELNS1_11target_archE4294967295ELNS1_3gpuE0ELNS1_3repE0EEENS1_30default_config_static_selectorELNS0_4arch9wavefront6targetE1EEEvSZ_, .Lfunc_end2033-_ZN7rocprim17ROCPRIM_400000_NS6detail17trampoline_kernelINS0_13select_configILj256ELj13ELNS0_17block_load_methodE3ELS4_3ELS4_3ELNS0_20block_scan_algorithmE0ELj4294967295EEENS1_25partition_config_selectorILNS1_17partition_subalgoE3EjNS0_10empty_typeEbEEZZNS1_14partition_implILS8_3ELb0ES6_jNS0_17counting_iteratorIjlEEPS9_SE_NS0_5tupleIJPjSE_EEENSF_IJSE_SE_EEES9_SG_JZNS1_25segmented_radix_sort_implINS0_14default_configELb0EPK12hip_bfloat16PSL_PKlPlN2at6native12_GLOBAL__N_18offset_tEEE10hipError_tPvRmT1_PNSt15iterator_traitsISZ_E10value_typeET2_T3_PNS10_IS15_E10value_typeET4_jRbjT5_S1B_jjP12ihipStream_tbEUljE_EEESW_SX_SY_S15_S19_S1B_T6_T7_T9_mT8_S1D_bDpT10_ENKUlT_T0_E_clISt17integral_constantIbLb1EES1P_IbLb0EEEEDaS1L_S1M_EUlS1L_E_NS1_11comp_targetILNS1_3genE0ELNS1_11target_archE4294967295ELNS1_3gpuE0ELNS1_3repE0EEENS1_30default_config_static_selectorELNS0_4arch9wavefront6targetE1EEEvSZ_
                                        ; -- End function
	.set _ZN7rocprim17ROCPRIM_400000_NS6detail17trampoline_kernelINS0_13select_configILj256ELj13ELNS0_17block_load_methodE3ELS4_3ELS4_3ELNS0_20block_scan_algorithmE0ELj4294967295EEENS1_25partition_config_selectorILNS1_17partition_subalgoE3EjNS0_10empty_typeEbEEZZNS1_14partition_implILS8_3ELb0ES6_jNS0_17counting_iteratorIjlEEPS9_SE_NS0_5tupleIJPjSE_EEENSF_IJSE_SE_EEES9_SG_JZNS1_25segmented_radix_sort_implINS0_14default_configELb0EPK12hip_bfloat16PSL_PKlPlN2at6native12_GLOBAL__N_18offset_tEEE10hipError_tPvRmT1_PNSt15iterator_traitsISZ_E10value_typeET2_T3_PNS10_IS15_E10value_typeET4_jRbjT5_S1B_jjP12ihipStream_tbEUljE_EEESW_SX_SY_S15_S19_S1B_T6_T7_T9_mT8_S1D_bDpT10_ENKUlT_T0_E_clISt17integral_constantIbLb1EES1P_IbLb0EEEEDaS1L_S1M_EUlS1L_E_NS1_11comp_targetILNS1_3genE0ELNS1_11target_archE4294967295ELNS1_3gpuE0ELNS1_3repE0EEENS1_30default_config_static_selectorELNS0_4arch9wavefront6targetE1EEEvSZ_.num_vgpr, 0
	.set _ZN7rocprim17ROCPRIM_400000_NS6detail17trampoline_kernelINS0_13select_configILj256ELj13ELNS0_17block_load_methodE3ELS4_3ELS4_3ELNS0_20block_scan_algorithmE0ELj4294967295EEENS1_25partition_config_selectorILNS1_17partition_subalgoE3EjNS0_10empty_typeEbEEZZNS1_14partition_implILS8_3ELb0ES6_jNS0_17counting_iteratorIjlEEPS9_SE_NS0_5tupleIJPjSE_EEENSF_IJSE_SE_EEES9_SG_JZNS1_25segmented_radix_sort_implINS0_14default_configELb0EPK12hip_bfloat16PSL_PKlPlN2at6native12_GLOBAL__N_18offset_tEEE10hipError_tPvRmT1_PNSt15iterator_traitsISZ_E10value_typeET2_T3_PNS10_IS15_E10value_typeET4_jRbjT5_S1B_jjP12ihipStream_tbEUljE_EEESW_SX_SY_S15_S19_S1B_T6_T7_T9_mT8_S1D_bDpT10_ENKUlT_T0_E_clISt17integral_constantIbLb1EES1P_IbLb0EEEEDaS1L_S1M_EUlS1L_E_NS1_11comp_targetILNS1_3genE0ELNS1_11target_archE4294967295ELNS1_3gpuE0ELNS1_3repE0EEENS1_30default_config_static_selectorELNS0_4arch9wavefront6targetE1EEEvSZ_.num_agpr, 0
	.set _ZN7rocprim17ROCPRIM_400000_NS6detail17trampoline_kernelINS0_13select_configILj256ELj13ELNS0_17block_load_methodE3ELS4_3ELS4_3ELNS0_20block_scan_algorithmE0ELj4294967295EEENS1_25partition_config_selectorILNS1_17partition_subalgoE3EjNS0_10empty_typeEbEEZZNS1_14partition_implILS8_3ELb0ES6_jNS0_17counting_iteratorIjlEEPS9_SE_NS0_5tupleIJPjSE_EEENSF_IJSE_SE_EEES9_SG_JZNS1_25segmented_radix_sort_implINS0_14default_configELb0EPK12hip_bfloat16PSL_PKlPlN2at6native12_GLOBAL__N_18offset_tEEE10hipError_tPvRmT1_PNSt15iterator_traitsISZ_E10value_typeET2_T3_PNS10_IS15_E10value_typeET4_jRbjT5_S1B_jjP12ihipStream_tbEUljE_EEESW_SX_SY_S15_S19_S1B_T6_T7_T9_mT8_S1D_bDpT10_ENKUlT_T0_E_clISt17integral_constantIbLb1EES1P_IbLb0EEEEDaS1L_S1M_EUlS1L_E_NS1_11comp_targetILNS1_3genE0ELNS1_11target_archE4294967295ELNS1_3gpuE0ELNS1_3repE0EEENS1_30default_config_static_selectorELNS0_4arch9wavefront6targetE1EEEvSZ_.numbered_sgpr, 0
	.set _ZN7rocprim17ROCPRIM_400000_NS6detail17trampoline_kernelINS0_13select_configILj256ELj13ELNS0_17block_load_methodE3ELS4_3ELS4_3ELNS0_20block_scan_algorithmE0ELj4294967295EEENS1_25partition_config_selectorILNS1_17partition_subalgoE3EjNS0_10empty_typeEbEEZZNS1_14partition_implILS8_3ELb0ES6_jNS0_17counting_iteratorIjlEEPS9_SE_NS0_5tupleIJPjSE_EEENSF_IJSE_SE_EEES9_SG_JZNS1_25segmented_radix_sort_implINS0_14default_configELb0EPK12hip_bfloat16PSL_PKlPlN2at6native12_GLOBAL__N_18offset_tEEE10hipError_tPvRmT1_PNSt15iterator_traitsISZ_E10value_typeET2_T3_PNS10_IS15_E10value_typeET4_jRbjT5_S1B_jjP12ihipStream_tbEUljE_EEESW_SX_SY_S15_S19_S1B_T6_T7_T9_mT8_S1D_bDpT10_ENKUlT_T0_E_clISt17integral_constantIbLb1EES1P_IbLb0EEEEDaS1L_S1M_EUlS1L_E_NS1_11comp_targetILNS1_3genE0ELNS1_11target_archE4294967295ELNS1_3gpuE0ELNS1_3repE0EEENS1_30default_config_static_selectorELNS0_4arch9wavefront6targetE1EEEvSZ_.num_named_barrier, 0
	.set _ZN7rocprim17ROCPRIM_400000_NS6detail17trampoline_kernelINS0_13select_configILj256ELj13ELNS0_17block_load_methodE3ELS4_3ELS4_3ELNS0_20block_scan_algorithmE0ELj4294967295EEENS1_25partition_config_selectorILNS1_17partition_subalgoE3EjNS0_10empty_typeEbEEZZNS1_14partition_implILS8_3ELb0ES6_jNS0_17counting_iteratorIjlEEPS9_SE_NS0_5tupleIJPjSE_EEENSF_IJSE_SE_EEES9_SG_JZNS1_25segmented_radix_sort_implINS0_14default_configELb0EPK12hip_bfloat16PSL_PKlPlN2at6native12_GLOBAL__N_18offset_tEEE10hipError_tPvRmT1_PNSt15iterator_traitsISZ_E10value_typeET2_T3_PNS10_IS15_E10value_typeET4_jRbjT5_S1B_jjP12ihipStream_tbEUljE_EEESW_SX_SY_S15_S19_S1B_T6_T7_T9_mT8_S1D_bDpT10_ENKUlT_T0_E_clISt17integral_constantIbLb1EES1P_IbLb0EEEEDaS1L_S1M_EUlS1L_E_NS1_11comp_targetILNS1_3genE0ELNS1_11target_archE4294967295ELNS1_3gpuE0ELNS1_3repE0EEENS1_30default_config_static_selectorELNS0_4arch9wavefront6targetE1EEEvSZ_.private_seg_size, 0
	.set _ZN7rocprim17ROCPRIM_400000_NS6detail17trampoline_kernelINS0_13select_configILj256ELj13ELNS0_17block_load_methodE3ELS4_3ELS4_3ELNS0_20block_scan_algorithmE0ELj4294967295EEENS1_25partition_config_selectorILNS1_17partition_subalgoE3EjNS0_10empty_typeEbEEZZNS1_14partition_implILS8_3ELb0ES6_jNS0_17counting_iteratorIjlEEPS9_SE_NS0_5tupleIJPjSE_EEENSF_IJSE_SE_EEES9_SG_JZNS1_25segmented_radix_sort_implINS0_14default_configELb0EPK12hip_bfloat16PSL_PKlPlN2at6native12_GLOBAL__N_18offset_tEEE10hipError_tPvRmT1_PNSt15iterator_traitsISZ_E10value_typeET2_T3_PNS10_IS15_E10value_typeET4_jRbjT5_S1B_jjP12ihipStream_tbEUljE_EEESW_SX_SY_S15_S19_S1B_T6_T7_T9_mT8_S1D_bDpT10_ENKUlT_T0_E_clISt17integral_constantIbLb1EES1P_IbLb0EEEEDaS1L_S1M_EUlS1L_E_NS1_11comp_targetILNS1_3genE0ELNS1_11target_archE4294967295ELNS1_3gpuE0ELNS1_3repE0EEENS1_30default_config_static_selectorELNS0_4arch9wavefront6targetE1EEEvSZ_.uses_vcc, 0
	.set _ZN7rocprim17ROCPRIM_400000_NS6detail17trampoline_kernelINS0_13select_configILj256ELj13ELNS0_17block_load_methodE3ELS4_3ELS4_3ELNS0_20block_scan_algorithmE0ELj4294967295EEENS1_25partition_config_selectorILNS1_17partition_subalgoE3EjNS0_10empty_typeEbEEZZNS1_14partition_implILS8_3ELb0ES6_jNS0_17counting_iteratorIjlEEPS9_SE_NS0_5tupleIJPjSE_EEENSF_IJSE_SE_EEES9_SG_JZNS1_25segmented_radix_sort_implINS0_14default_configELb0EPK12hip_bfloat16PSL_PKlPlN2at6native12_GLOBAL__N_18offset_tEEE10hipError_tPvRmT1_PNSt15iterator_traitsISZ_E10value_typeET2_T3_PNS10_IS15_E10value_typeET4_jRbjT5_S1B_jjP12ihipStream_tbEUljE_EEESW_SX_SY_S15_S19_S1B_T6_T7_T9_mT8_S1D_bDpT10_ENKUlT_T0_E_clISt17integral_constantIbLb1EES1P_IbLb0EEEEDaS1L_S1M_EUlS1L_E_NS1_11comp_targetILNS1_3genE0ELNS1_11target_archE4294967295ELNS1_3gpuE0ELNS1_3repE0EEENS1_30default_config_static_selectorELNS0_4arch9wavefront6targetE1EEEvSZ_.uses_flat_scratch, 0
	.set _ZN7rocprim17ROCPRIM_400000_NS6detail17trampoline_kernelINS0_13select_configILj256ELj13ELNS0_17block_load_methodE3ELS4_3ELS4_3ELNS0_20block_scan_algorithmE0ELj4294967295EEENS1_25partition_config_selectorILNS1_17partition_subalgoE3EjNS0_10empty_typeEbEEZZNS1_14partition_implILS8_3ELb0ES6_jNS0_17counting_iteratorIjlEEPS9_SE_NS0_5tupleIJPjSE_EEENSF_IJSE_SE_EEES9_SG_JZNS1_25segmented_radix_sort_implINS0_14default_configELb0EPK12hip_bfloat16PSL_PKlPlN2at6native12_GLOBAL__N_18offset_tEEE10hipError_tPvRmT1_PNSt15iterator_traitsISZ_E10value_typeET2_T3_PNS10_IS15_E10value_typeET4_jRbjT5_S1B_jjP12ihipStream_tbEUljE_EEESW_SX_SY_S15_S19_S1B_T6_T7_T9_mT8_S1D_bDpT10_ENKUlT_T0_E_clISt17integral_constantIbLb1EES1P_IbLb0EEEEDaS1L_S1M_EUlS1L_E_NS1_11comp_targetILNS1_3genE0ELNS1_11target_archE4294967295ELNS1_3gpuE0ELNS1_3repE0EEENS1_30default_config_static_selectorELNS0_4arch9wavefront6targetE1EEEvSZ_.has_dyn_sized_stack, 0
	.set _ZN7rocprim17ROCPRIM_400000_NS6detail17trampoline_kernelINS0_13select_configILj256ELj13ELNS0_17block_load_methodE3ELS4_3ELS4_3ELNS0_20block_scan_algorithmE0ELj4294967295EEENS1_25partition_config_selectorILNS1_17partition_subalgoE3EjNS0_10empty_typeEbEEZZNS1_14partition_implILS8_3ELb0ES6_jNS0_17counting_iteratorIjlEEPS9_SE_NS0_5tupleIJPjSE_EEENSF_IJSE_SE_EEES9_SG_JZNS1_25segmented_radix_sort_implINS0_14default_configELb0EPK12hip_bfloat16PSL_PKlPlN2at6native12_GLOBAL__N_18offset_tEEE10hipError_tPvRmT1_PNSt15iterator_traitsISZ_E10value_typeET2_T3_PNS10_IS15_E10value_typeET4_jRbjT5_S1B_jjP12ihipStream_tbEUljE_EEESW_SX_SY_S15_S19_S1B_T6_T7_T9_mT8_S1D_bDpT10_ENKUlT_T0_E_clISt17integral_constantIbLb1EES1P_IbLb0EEEEDaS1L_S1M_EUlS1L_E_NS1_11comp_targetILNS1_3genE0ELNS1_11target_archE4294967295ELNS1_3gpuE0ELNS1_3repE0EEENS1_30default_config_static_selectorELNS0_4arch9wavefront6targetE1EEEvSZ_.has_recursion, 0
	.set _ZN7rocprim17ROCPRIM_400000_NS6detail17trampoline_kernelINS0_13select_configILj256ELj13ELNS0_17block_load_methodE3ELS4_3ELS4_3ELNS0_20block_scan_algorithmE0ELj4294967295EEENS1_25partition_config_selectorILNS1_17partition_subalgoE3EjNS0_10empty_typeEbEEZZNS1_14partition_implILS8_3ELb0ES6_jNS0_17counting_iteratorIjlEEPS9_SE_NS0_5tupleIJPjSE_EEENSF_IJSE_SE_EEES9_SG_JZNS1_25segmented_radix_sort_implINS0_14default_configELb0EPK12hip_bfloat16PSL_PKlPlN2at6native12_GLOBAL__N_18offset_tEEE10hipError_tPvRmT1_PNSt15iterator_traitsISZ_E10value_typeET2_T3_PNS10_IS15_E10value_typeET4_jRbjT5_S1B_jjP12ihipStream_tbEUljE_EEESW_SX_SY_S15_S19_S1B_T6_T7_T9_mT8_S1D_bDpT10_ENKUlT_T0_E_clISt17integral_constantIbLb1EES1P_IbLb0EEEEDaS1L_S1M_EUlS1L_E_NS1_11comp_targetILNS1_3genE0ELNS1_11target_archE4294967295ELNS1_3gpuE0ELNS1_3repE0EEENS1_30default_config_static_selectorELNS0_4arch9wavefront6targetE1EEEvSZ_.has_indirect_call, 0
	.section	.AMDGPU.csdata,"",@progbits
; Kernel info:
; codeLenInByte = 0
; TotalNumSgprs: 4
; NumVgprs: 0
; ScratchSize: 0
; MemoryBound: 0
; FloatMode: 240
; IeeeMode: 1
; LDSByteSize: 0 bytes/workgroup (compile time only)
; SGPRBlocks: 0
; VGPRBlocks: 0
; NumSGPRsForWavesPerEU: 4
; NumVGPRsForWavesPerEU: 1
; Occupancy: 10
; WaveLimiterHint : 0
; COMPUTE_PGM_RSRC2:SCRATCH_EN: 0
; COMPUTE_PGM_RSRC2:USER_SGPR: 6
; COMPUTE_PGM_RSRC2:TRAP_HANDLER: 0
; COMPUTE_PGM_RSRC2:TGID_X_EN: 1
; COMPUTE_PGM_RSRC2:TGID_Y_EN: 0
; COMPUTE_PGM_RSRC2:TGID_Z_EN: 0
; COMPUTE_PGM_RSRC2:TIDIG_COMP_CNT: 0
	.section	.text._ZN7rocprim17ROCPRIM_400000_NS6detail17trampoline_kernelINS0_13select_configILj256ELj13ELNS0_17block_load_methodE3ELS4_3ELS4_3ELNS0_20block_scan_algorithmE0ELj4294967295EEENS1_25partition_config_selectorILNS1_17partition_subalgoE3EjNS0_10empty_typeEbEEZZNS1_14partition_implILS8_3ELb0ES6_jNS0_17counting_iteratorIjlEEPS9_SE_NS0_5tupleIJPjSE_EEENSF_IJSE_SE_EEES9_SG_JZNS1_25segmented_radix_sort_implINS0_14default_configELb0EPK12hip_bfloat16PSL_PKlPlN2at6native12_GLOBAL__N_18offset_tEEE10hipError_tPvRmT1_PNSt15iterator_traitsISZ_E10value_typeET2_T3_PNS10_IS15_E10value_typeET4_jRbjT5_S1B_jjP12ihipStream_tbEUljE_EEESW_SX_SY_S15_S19_S1B_T6_T7_T9_mT8_S1D_bDpT10_ENKUlT_T0_E_clISt17integral_constantIbLb1EES1P_IbLb0EEEEDaS1L_S1M_EUlS1L_E_NS1_11comp_targetILNS1_3genE5ELNS1_11target_archE942ELNS1_3gpuE9ELNS1_3repE0EEENS1_30default_config_static_selectorELNS0_4arch9wavefront6targetE1EEEvSZ_,"axG",@progbits,_ZN7rocprim17ROCPRIM_400000_NS6detail17trampoline_kernelINS0_13select_configILj256ELj13ELNS0_17block_load_methodE3ELS4_3ELS4_3ELNS0_20block_scan_algorithmE0ELj4294967295EEENS1_25partition_config_selectorILNS1_17partition_subalgoE3EjNS0_10empty_typeEbEEZZNS1_14partition_implILS8_3ELb0ES6_jNS0_17counting_iteratorIjlEEPS9_SE_NS0_5tupleIJPjSE_EEENSF_IJSE_SE_EEES9_SG_JZNS1_25segmented_radix_sort_implINS0_14default_configELb0EPK12hip_bfloat16PSL_PKlPlN2at6native12_GLOBAL__N_18offset_tEEE10hipError_tPvRmT1_PNSt15iterator_traitsISZ_E10value_typeET2_T3_PNS10_IS15_E10value_typeET4_jRbjT5_S1B_jjP12ihipStream_tbEUljE_EEESW_SX_SY_S15_S19_S1B_T6_T7_T9_mT8_S1D_bDpT10_ENKUlT_T0_E_clISt17integral_constantIbLb1EES1P_IbLb0EEEEDaS1L_S1M_EUlS1L_E_NS1_11comp_targetILNS1_3genE5ELNS1_11target_archE942ELNS1_3gpuE9ELNS1_3repE0EEENS1_30default_config_static_selectorELNS0_4arch9wavefront6targetE1EEEvSZ_,comdat
	.globl	_ZN7rocprim17ROCPRIM_400000_NS6detail17trampoline_kernelINS0_13select_configILj256ELj13ELNS0_17block_load_methodE3ELS4_3ELS4_3ELNS0_20block_scan_algorithmE0ELj4294967295EEENS1_25partition_config_selectorILNS1_17partition_subalgoE3EjNS0_10empty_typeEbEEZZNS1_14partition_implILS8_3ELb0ES6_jNS0_17counting_iteratorIjlEEPS9_SE_NS0_5tupleIJPjSE_EEENSF_IJSE_SE_EEES9_SG_JZNS1_25segmented_radix_sort_implINS0_14default_configELb0EPK12hip_bfloat16PSL_PKlPlN2at6native12_GLOBAL__N_18offset_tEEE10hipError_tPvRmT1_PNSt15iterator_traitsISZ_E10value_typeET2_T3_PNS10_IS15_E10value_typeET4_jRbjT5_S1B_jjP12ihipStream_tbEUljE_EEESW_SX_SY_S15_S19_S1B_T6_T7_T9_mT8_S1D_bDpT10_ENKUlT_T0_E_clISt17integral_constantIbLb1EES1P_IbLb0EEEEDaS1L_S1M_EUlS1L_E_NS1_11comp_targetILNS1_3genE5ELNS1_11target_archE942ELNS1_3gpuE9ELNS1_3repE0EEENS1_30default_config_static_selectorELNS0_4arch9wavefront6targetE1EEEvSZ_ ; -- Begin function _ZN7rocprim17ROCPRIM_400000_NS6detail17trampoline_kernelINS0_13select_configILj256ELj13ELNS0_17block_load_methodE3ELS4_3ELS4_3ELNS0_20block_scan_algorithmE0ELj4294967295EEENS1_25partition_config_selectorILNS1_17partition_subalgoE3EjNS0_10empty_typeEbEEZZNS1_14partition_implILS8_3ELb0ES6_jNS0_17counting_iteratorIjlEEPS9_SE_NS0_5tupleIJPjSE_EEENSF_IJSE_SE_EEES9_SG_JZNS1_25segmented_radix_sort_implINS0_14default_configELb0EPK12hip_bfloat16PSL_PKlPlN2at6native12_GLOBAL__N_18offset_tEEE10hipError_tPvRmT1_PNSt15iterator_traitsISZ_E10value_typeET2_T3_PNS10_IS15_E10value_typeET4_jRbjT5_S1B_jjP12ihipStream_tbEUljE_EEESW_SX_SY_S15_S19_S1B_T6_T7_T9_mT8_S1D_bDpT10_ENKUlT_T0_E_clISt17integral_constantIbLb1EES1P_IbLb0EEEEDaS1L_S1M_EUlS1L_E_NS1_11comp_targetILNS1_3genE5ELNS1_11target_archE942ELNS1_3gpuE9ELNS1_3repE0EEENS1_30default_config_static_selectorELNS0_4arch9wavefront6targetE1EEEvSZ_
	.p2align	8
	.type	_ZN7rocprim17ROCPRIM_400000_NS6detail17trampoline_kernelINS0_13select_configILj256ELj13ELNS0_17block_load_methodE3ELS4_3ELS4_3ELNS0_20block_scan_algorithmE0ELj4294967295EEENS1_25partition_config_selectorILNS1_17partition_subalgoE3EjNS0_10empty_typeEbEEZZNS1_14partition_implILS8_3ELb0ES6_jNS0_17counting_iteratorIjlEEPS9_SE_NS0_5tupleIJPjSE_EEENSF_IJSE_SE_EEES9_SG_JZNS1_25segmented_radix_sort_implINS0_14default_configELb0EPK12hip_bfloat16PSL_PKlPlN2at6native12_GLOBAL__N_18offset_tEEE10hipError_tPvRmT1_PNSt15iterator_traitsISZ_E10value_typeET2_T3_PNS10_IS15_E10value_typeET4_jRbjT5_S1B_jjP12ihipStream_tbEUljE_EEESW_SX_SY_S15_S19_S1B_T6_T7_T9_mT8_S1D_bDpT10_ENKUlT_T0_E_clISt17integral_constantIbLb1EES1P_IbLb0EEEEDaS1L_S1M_EUlS1L_E_NS1_11comp_targetILNS1_3genE5ELNS1_11target_archE942ELNS1_3gpuE9ELNS1_3repE0EEENS1_30default_config_static_selectorELNS0_4arch9wavefront6targetE1EEEvSZ_,@function
_ZN7rocprim17ROCPRIM_400000_NS6detail17trampoline_kernelINS0_13select_configILj256ELj13ELNS0_17block_load_methodE3ELS4_3ELS4_3ELNS0_20block_scan_algorithmE0ELj4294967295EEENS1_25partition_config_selectorILNS1_17partition_subalgoE3EjNS0_10empty_typeEbEEZZNS1_14partition_implILS8_3ELb0ES6_jNS0_17counting_iteratorIjlEEPS9_SE_NS0_5tupleIJPjSE_EEENSF_IJSE_SE_EEES9_SG_JZNS1_25segmented_radix_sort_implINS0_14default_configELb0EPK12hip_bfloat16PSL_PKlPlN2at6native12_GLOBAL__N_18offset_tEEE10hipError_tPvRmT1_PNSt15iterator_traitsISZ_E10value_typeET2_T3_PNS10_IS15_E10value_typeET4_jRbjT5_S1B_jjP12ihipStream_tbEUljE_EEESW_SX_SY_S15_S19_S1B_T6_T7_T9_mT8_S1D_bDpT10_ENKUlT_T0_E_clISt17integral_constantIbLb1EES1P_IbLb0EEEEDaS1L_S1M_EUlS1L_E_NS1_11comp_targetILNS1_3genE5ELNS1_11target_archE942ELNS1_3gpuE9ELNS1_3repE0EEENS1_30default_config_static_selectorELNS0_4arch9wavefront6targetE1EEEvSZ_: ; @_ZN7rocprim17ROCPRIM_400000_NS6detail17trampoline_kernelINS0_13select_configILj256ELj13ELNS0_17block_load_methodE3ELS4_3ELS4_3ELNS0_20block_scan_algorithmE0ELj4294967295EEENS1_25partition_config_selectorILNS1_17partition_subalgoE3EjNS0_10empty_typeEbEEZZNS1_14partition_implILS8_3ELb0ES6_jNS0_17counting_iteratorIjlEEPS9_SE_NS0_5tupleIJPjSE_EEENSF_IJSE_SE_EEES9_SG_JZNS1_25segmented_radix_sort_implINS0_14default_configELb0EPK12hip_bfloat16PSL_PKlPlN2at6native12_GLOBAL__N_18offset_tEEE10hipError_tPvRmT1_PNSt15iterator_traitsISZ_E10value_typeET2_T3_PNS10_IS15_E10value_typeET4_jRbjT5_S1B_jjP12ihipStream_tbEUljE_EEESW_SX_SY_S15_S19_S1B_T6_T7_T9_mT8_S1D_bDpT10_ENKUlT_T0_E_clISt17integral_constantIbLb1EES1P_IbLb0EEEEDaS1L_S1M_EUlS1L_E_NS1_11comp_targetILNS1_3genE5ELNS1_11target_archE942ELNS1_3gpuE9ELNS1_3repE0EEENS1_30default_config_static_selectorELNS0_4arch9wavefront6targetE1EEEvSZ_
; %bb.0:
	.section	.rodata,"a",@progbits
	.p2align	6, 0x0
	.amdhsa_kernel _ZN7rocprim17ROCPRIM_400000_NS6detail17trampoline_kernelINS0_13select_configILj256ELj13ELNS0_17block_load_methodE3ELS4_3ELS4_3ELNS0_20block_scan_algorithmE0ELj4294967295EEENS1_25partition_config_selectorILNS1_17partition_subalgoE3EjNS0_10empty_typeEbEEZZNS1_14partition_implILS8_3ELb0ES6_jNS0_17counting_iteratorIjlEEPS9_SE_NS0_5tupleIJPjSE_EEENSF_IJSE_SE_EEES9_SG_JZNS1_25segmented_radix_sort_implINS0_14default_configELb0EPK12hip_bfloat16PSL_PKlPlN2at6native12_GLOBAL__N_18offset_tEEE10hipError_tPvRmT1_PNSt15iterator_traitsISZ_E10value_typeET2_T3_PNS10_IS15_E10value_typeET4_jRbjT5_S1B_jjP12ihipStream_tbEUljE_EEESW_SX_SY_S15_S19_S1B_T6_T7_T9_mT8_S1D_bDpT10_ENKUlT_T0_E_clISt17integral_constantIbLb1EES1P_IbLb0EEEEDaS1L_S1M_EUlS1L_E_NS1_11comp_targetILNS1_3genE5ELNS1_11target_archE942ELNS1_3gpuE9ELNS1_3repE0EEENS1_30default_config_static_selectorELNS0_4arch9wavefront6targetE1EEEvSZ_
		.amdhsa_group_segment_fixed_size 0
		.amdhsa_private_segment_fixed_size 0
		.amdhsa_kernarg_size 144
		.amdhsa_user_sgpr_count 6
		.amdhsa_user_sgpr_private_segment_buffer 1
		.amdhsa_user_sgpr_dispatch_ptr 0
		.amdhsa_user_sgpr_queue_ptr 0
		.amdhsa_user_sgpr_kernarg_segment_ptr 1
		.amdhsa_user_sgpr_dispatch_id 0
		.amdhsa_user_sgpr_flat_scratch_init 0
		.amdhsa_user_sgpr_private_segment_size 0
		.amdhsa_uses_dynamic_stack 0
		.amdhsa_system_sgpr_private_segment_wavefront_offset 0
		.amdhsa_system_sgpr_workgroup_id_x 1
		.amdhsa_system_sgpr_workgroup_id_y 0
		.amdhsa_system_sgpr_workgroup_id_z 0
		.amdhsa_system_sgpr_workgroup_info 0
		.amdhsa_system_vgpr_workitem_id 0
		.amdhsa_next_free_vgpr 1
		.amdhsa_next_free_sgpr 0
		.amdhsa_reserve_vcc 0
		.amdhsa_reserve_flat_scratch 0
		.amdhsa_float_round_mode_32 0
		.amdhsa_float_round_mode_16_64 0
		.amdhsa_float_denorm_mode_32 3
		.amdhsa_float_denorm_mode_16_64 3
		.amdhsa_dx10_clamp 1
		.amdhsa_ieee_mode 1
		.amdhsa_fp16_overflow 0
		.amdhsa_exception_fp_ieee_invalid_op 0
		.amdhsa_exception_fp_denorm_src 0
		.amdhsa_exception_fp_ieee_div_zero 0
		.amdhsa_exception_fp_ieee_overflow 0
		.amdhsa_exception_fp_ieee_underflow 0
		.amdhsa_exception_fp_ieee_inexact 0
		.amdhsa_exception_int_div_zero 0
	.end_amdhsa_kernel
	.section	.text._ZN7rocprim17ROCPRIM_400000_NS6detail17trampoline_kernelINS0_13select_configILj256ELj13ELNS0_17block_load_methodE3ELS4_3ELS4_3ELNS0_20block_scan_algorithmE0ELj4294967295EEENS1_25partition_config_selectorILNS1_17partition_subalgoE3EjNS0_10empty_typeEbEEZZNS1_14partition_implILS8_3ELb0ES6_jNS0_17counting_iteratorIjlEEPS9_SE_NS0_5tupleIJPjSE_EEENSF_IJSE_SE_EEES9_SG_JZNS1_25segmented_radix_sort_implINS0_14default_configELb0EPK12hip_bfloat16PSL_PKlPlN2at6native12_GLOBAL__N_18offset_tEEE10hipError_tPvRmT1_PNSt15iterator_traitsISZ_E10value_typeET2_T3_PNS10_IS15_E10value_typeET4_jRbjT5_S1B_jjP12ihipStream_tbEUljE_EEESW_SX_SY_S15_S19_S1B_T6_T7_T9_mT8_S1D_bDpT10_ENKUlT_T0_E_clISt17integral_constantIbLb1EES1P_IbLb0EEEEDaS1L_S1M_EUlS1L_E_NS1_11comp_targetILNS1_3genE5ELNS1_11target_archE942ELNS1_3gpuE9ELNS1_3repE0EEENS1_30default_config_static_selectorELNS0_4arch9wavefront6targetE1EEEvSZ_,"axG",@progbits,_ZN7rocprim17ROCPRIM_400000_NS6detail17trampoline_kernelINS0_13select_configILj256ELj13ELNS0_17block_load_methodE3ELS4_3ELS4_3ELNS0_20block_scan_algorithmE0ELj4294967295EEENS1_25partition_config_selectorILNS1_17partition_subalgoE3EjNS0_10empty_typeEbEEZZNS1_14partition_implILS8_3ELb0ES6_jNS0_17counting_iteratorIjlEEPS9_SE_NS0_5tupleIJPjSE_EEENSF_IJSE_SE_EEES9_SG_JZNS1_25segmented_radix_sort_implINS0_14default_configELb0EPK12hip_bfloat16PSL_PKlPlN2at6native12_GLOBAL__N_18offset_tEEE10hipError_tPvRmT1_PNSt15iterator_traitsISZ_E10value_typeET2_T3_PNS10_IS15_E10value_typeET4_jRbjT5_S1B_jjP12ihipStream_tbEUljE_EEESW_SX_SY_S15_S19_S1B_T6_T7_T9_mT8_S1D_bDpT10_ENKUlT_T0_E_clISt17integral_constantIbLb1EES1P_IbLb0EEEEDaS1L_S1M_EUlS1L_E_NS1_11comp_targetILNS1_3genE5ELNS1_11target_archE942ELNS1_3gpuE9ELNS1_3repE0EEENS1_30default_config_static_selectorELNS0_4arch9wavefront6targetE1EEEvSZ_,comdat
.Lfunc_end2034:
	.size	_ZN7rocprim17ROCPRIM_400000_NS6detail17trampoline_kernelINS0_13select_configILj256ELj13ELNS0_17block_load_methodE3ELS4_3ELS4_3ELNS0_20block_scan_algorithmE0ELj4294967295EEENS1_25partition_config_selectorILNS1_17partition_subalgoE3EjNS0_10empty_typeEbEEZZNS1_14partition_implILS8_3ELb0ES6_jNS0_17counting_iteratorIjlEEPS9_SE_NS0_5tupleIJPjSE_EEENSF_IJSE_SE_EEES9_SG_JZNS1_25segmented_radix_sort_implINS0_14default_configELb0EPK12hip_bfloat16PSL_PKlPlN2at6native12_GLOBAL__N_18offset_tEEE10hipError_tPvRmT1_PNSt15iterator_traitsISZ_E10value_typeET2_T3_PNS10_IS15_E10value_typeET4_jRbjT5_S1B_jjP12ihipStream_tbEUljE_EEESW_SX_SY_S15_S19_S1B_T6_T7_T9_mT8_S1D_bDpT10_ENKUlT_T0_E_clISt17integral_constantIbLb1EES1P_IbLb0EEEEDaS1L_S1M_EUlS1L_E_NS1_11comp_targetILNS1_3genE5ELNS1_11target_archE942ELNS1_3gpuE9ELNS1_3repE0EEENS1_30default_config_static_selectorELNS0_4arch9wavefront6targetE1EEEvSZ_, .Lfunc_end2034-_ZN7rocprim17ROCPRIM_400000_NS6detail17trampoline_kernelINS0_13select_configILj256ELj13ELNS0_17block_load_methodE3ELS4_3ELS4_3ELNS0_20block_scan_algorithmE0ELj4294967295EEENS1_25partition_config_selectorILNS1_17partition_subalgoE3EjNS0_10empty_typeEbEEZZNS1_14partition_implILS8_3ELb0ES6_jNS0_17counting_iteratorIjlEEPS9_SE_NS0_5tupleIJPjSE_EEENSF_IJSE_SE_EEES9_SG_JZNS1_25segmented_radix_sort_implINS0_14default_configELb0EPK12hip_bfloat16PSL_PKlPlN2at6native12_GLOBAL__N_18offset_tEEE10hipError_tPvRmT1_PNSt15iterator_traitsISZ_E10value_typeET2_T3_PNS10_IS15_E10value_typeET4_jRbjT5_S1B_jjP12ihipStream_tbEUljE_EEESW_SX_SY_S15_S19_S1B_T6_T7_T9_mT8_S1D_bDpT10_ENKUlT_T0_E_clISt17integral_constantIbLb1EES1P_IbLb0EEEEDaS1L_S1M_EUlS1L_E_NS1_11comp_targetILNS1_3genE5ELNS1_11target_archE942ELNS1_3gpuE9ELNS1_3repE0EEENS1_30default_config_static_selectorELNS0_4arch9wavefront6targetE1EEEvSZ_
                                        ; -- End function
	.set _ZN7rocprim17ROCPRIM_400000_NS6detail17trampoline_kernelINS0_13select_configILj256ELj13ELNS0_17block_load_methodE3ELS4_3ELS4_3ELNS0_20block_scan_algorithmE0ELj4294967295EEENS1_25partition_config_selectorILNS1_17partition_subalgoE3EjNS0_10empty_typeEbEEZZNS1_14partition_implILS8_3ELb0ES6_jNS0_17counting_iteratorIjlEEPS9_SE_NS0_5tupleIJPjSE_EEENSF_IJSE_SE_EEES9_SG_JZNS1_25segmented_radix_sort_implINS0_14default_configELb0EPK12hip_bfloat16PSL_PKlPlN2at6native12_GLOBAL__N_18offset_tEEE10hipError_tPvRmT1_PNSt15iterator_traitsISZ_E10value_typeET2_T3_PNS10_IS15_E10value_typeET4_jRbjT5_S1B_jjP12ihipStream_tbEUljE_EEESW_SX_SY_S15_S19_S1B_T6_T7_T9_mT8_S1D_bDpT10_ENKUlT_T0_E_clISt17integral_constantIbLb1EES1P_IbLb0EEEEDaS1L_S1M_EUlS1L_E_NS1_11comp_targetILNS1_3genE5ELNS1_11target_archE942ELNS1_3gpuE9ELNS1_3repE0EEENS1_30default_config_static_selectorELNS0_4arch9wavefront6targetE1EEEvSZ_.num_vgpr, 0
	.set _ZN7rocprim17ROCPRIM_400000_NS6detail17trampoline_kernelINS0_13select_configILj256ELj13ELNS0_17block_load_methodE3ELS4_3ELS4_3ELNS0_20block_scan_algorithmE0ELj4294967295EEENS1_25partition_config_selectorILNS1_17partition_subalgoE3EjNS0_10empty_typeEbEEZZNS1_14partition_implILS8_3ELb0ES6_jNS0_17counting_iteratorIjlEEPS9_SE_NS0_5tupleIJPjSE_EEENSF_IJSE_SE_EEES9_SG_JZNS1_25segmented_radix_sort_implINS0_14default_configELb0EPK12hip_bfloat16PSL_PKlPlN2at6native12_GLOBAL__N_18offset_tEEE10hipError_tPvRmT1_PNSt15iterator_traitsISZ_E10value_typeET2_T3_PNS10_IS15_E10value_typeET4_jRbjT5_S1B_jjP12ihipStream_tbEUljE_EEESW_SX_SY_S15_S19_S1B_T6_T7_T9_mT8_S1D_bDpT10_ENKUlT_T0_E_clISt17integral_constantIbLb1EES1P_IbLb0EEEEDaS1L_S1M_EUlS1L_E_NS1_11comp_targetILNS1_3genE5ELNS1_11target_archE942ELNS1_3gpuE9ELNS1_3repE0EEENS1_30default_config_static_selectorELNS0_4arch9wavefront6targetE1EEEvSZ_.num_agpr, 0
	.set _ZN7rocprim17ROCPRIM_400000_NS6detail17trampoline_kernelINS0_13select_configILj256ELj13ELNS0_17block_load_methodE3ELS4_3ELS4_3ELNS0_20block_scan_algorithmE0ELj4294967295EEENS1_25partition_config_selectorILNS1_17partition_subalgoE3EjNS0_10empty_typeEbEEZZNS1_14partition_implILS8_3ELb0ES6_jNS0_17counting_iteratorIjlEEPS9_SE_NS0_5tupleIJPjSE_EEENSF_IJSE_SE_EEES9_SG_JZNS1_25segmented_radix_sort_implINS0_14default_configELb0EPK12hip_bfloat16PSL_PKlPlN2at6native12_GLOBAL__N_18offset_tEEE10hipError_tPvRmT1_PNSt15iterator_traitsISZ_E10value_typeET2_T3_PNS10_IS15_E10value_typeET4_jRbjT5_S1B_jjP12ihipStream_tbEUljE_EEESW_SX_SY_S15_S19_S1B_T6_T7_T9_mT8_S1D_bDpT10_ENKUlT_T0_E_clISt17integral_constantIbLb1EES1P_IbLb0EEEEDaS1L_S1M_EUlS1L_E_NS1_11comp_targetILNS1_3genE5ELNS1_11target_archE942ELNS1_3gpuE9ELNS1_3repE0EEENS1_30default_config_static_selectorELNS0_4arch9wavefront6targetE1EEEvSZ_.numbered_sgpr, 0
	.set _ZN7rocprim17ROCPRIM_400000_NS6detail17trampoline_kernelINS0_13select_configILj256ELj13ELNS0_17block_load_methodE3ELS4_3ELS4_3ELNS0_20block_scan_algorithmE0ELj4294967295EEENS1_25partition_config_selectorILNS1_17partition_subalgoE3EjNS0_10empty_typeEbEEZZNS1_14partition_implILS8_3ELb0ES6_jNS0_17counting_iteratorIjlEEPS9_SE_NS0_5tupleIJPjSE_EEENSF_IJSE_SE_EEES9_SG_JZNS1_25segmented_radix_sort_implINS0_14default_configELb0EPK12hip_bfloat16PSL_PKlPlN2at6native12_GLOBAL__N_18offset_tEEE10hipError_tPvRmT1_PNSt15iterator_traitsISZ_E10value_typeET2_T3_PNS10_IS15_E10value_typeET4_jRbjT5_S1B_jjP12ihipStream_tbEUljE_EEESW_SX_SY_S15_S19_S1B_T6_T7_T9_mT8_S1D_bDpT10_ENKUlT_T0_E_clISt17integral_constantIbLb1EES1P_IbLb0EEEEDaS1L_S1M_EUlS1L_E_NS1_11comp_targetILNS1_3genE5ELNS1_11target_archE942ELNS1_3gpuE9ELNS1_3repE0EEENS1_30default_config_static_selectorELNS0_4arch9wavefront6targetE1EEEvSZ_.num_named_barrier, 0
	.set _ZN7rocprim17ROCPRIM_400000_NS6detail17trampoline_kernelINS0_13select_configILj256ELj13ELNS0_17block_load_methodE3ELS4_3ELS4_3ELNS0_20block_scan_algorithmE0ELj4294967295EEENS1_25partition_config_selectorILNS1_17partition_subalgoE3EjNS0_10empty_typeEbEEZZNS1_14partition_implILS8_3ELb0ES6_jNS0_17counting_iteratorIjlEEPS9_SE_NS0_5tupleIJPjSE_EEENSF_IJSE_SE_EEES9_SG_JZNS1_25segmented_radix_sort_implINS0_14default_configELb0EPK12hip_bfloat16PSL_PKlPlN2at6native12_GLOBAL__N_18offset_tEEE10hipError_tPvRmT1_PNSt15iterator_traitsISZ_E10value_typeET2_T3_PNS10_IS15_E10value_typeET4_jRbjT5_S1B_jjP12ihipStream_tbEUljE_EEESW_SX_SY_S15_S19_S1B_T6_T7_T9_mT8_S1D_bDpT10_ENKUlT_T0_E_clISt17integral_constantIbLb1EES1P_IbLb0EEEEDaS1L_S1M_EUlS1L_E_NS1_11comp_targetILNS1_3genE5ELNS1_11target_archE942ELNS1_3gpuE9ELNS1_3repE0EEENS1_30default_config_static_selectorELNS0_4arch9wavefront6targetE1EEEvSZ_.private_seg_size, 0
	.set _ZN7rocprim17ROCPRIM_400000_NS6detail17trampoline_kernelINS0_13select_configILj256ELj13ELNS0_17block_load_methodE3ELS4_3ELS4_3ELNS0_20block_scan_algorithmE0ELj4294967295EEENS1_25partition_config_selectorILNS1_17partition_subalgoE3EjNS0_10empty_typeEbEEZZNS1_14partition_implILS8_3ELb0ES6_jNS0_17counting_iteratorIjlEEPS9_SE_NS0_5tupleIJPjSE_EEENSF_IJSE_SE_EEES9_SG_JZNS1_25segmented_radix_sort_implINS0_14default_configELb0EPK12hip_bfloat16PSL_PKlPlN2at6native12_GLOBAL__N_18offset_tEEE10hipError_tPvRmT1_PNSt15iterator_traitsISZ_E10value_typeET2_T3_PNS10_IS15_E10value_typeET4_jRbjT5_S1B_jjP12ihipStream_tbEUljE_EEESW_SX_SY_S15_S19_S1B_T6_T7_T9_mT8_S1D_bDpT10_ENKUlT_T0_E_clISt17integral_constantIbLb1EES1P_IbLb0EEEEDaS1L_S1M_EUlS1L_E_NS1_11comp_targetILNS1_3genE5ELNS1_11target_archE942ELNS1_3gpuE9ELNS1_3repE0EEENS1_30default_config_static_selectorELNS0_4arch9wavefront6targetE1EEEvSZ_.uses_vcc, 0
	.set _ZN7rocprim17ROCPRIM_400000_NS6detail17trampoline_kernelINS0_13select_configILj256ELj13ELNS0_17block_load_methodE3ELS4_3ELS4_3ELNS0_20block_scan_algorithmE0ELj4294967295EEENS1_25partition_config_selectorILNS1_17partition_subalgoE3EjNS0_10empty_typeEbEEZZNS1_14partition_implILS8_3ELb0ES6_jNS0_17counting_iteratorIjlEEPS9_SE_NS0_5tupleIJPjSE_EEENSF_IJSE_SE_EEES9_SG_JZNS1_25segmented_radix_sort_implINS0_14default_configELb0EPK12hip_bfloat16PSL_PKlPlN2at6native12_GLOBAL__N_18offset_tEEE10hipError_tPvRmT1_PNSt15iterator_traitsISZ_E10value_typeET2_T3_PNS10_IS15_E10value_typeET4_jRbjT5_S1B_jjP12ihipStream_tbEUljE_EEESW_SX_SY_S15_S19_S1B_T6_T7_T9_mT8_S1D_bDpT10_ENKUlT_T0_E_clISt17integral_constantIbLb1EES1P_IbLb0EEEEDaS1L_S1M_EUlS1L_E_NS1_11comp_targetILNS1_3genE5ELNS1_11target_archE942ELNS1_3gpuE9ELNS1_3repE0EEENS1_30default_config_static_selectorELNS0_4arch9wavefront6targetE1EEEvSZ_.uses_flat_scratch, 0
	.set _ZN7rocprim17ROCPRIM_400000_NS6detail17trampoline_kernelINS0_13select_configILj256ELj13ELNS0_17block_load_methodE3ELS4_3ELS4_3ELNS0_20block_scan_algorithmE0ELj4294967295EEENS1_25partition_config_selectorILNS1_17partition_subalgoE3EjNS0_10empty_typeEbEEZZNS1_14partition_implILS8_3ELb0ES6_jNS0_17counting_iteratorIjlEEPS9_SE_NS0_5tupleIJPjSE_EEENSF_IJSE_SE_EEES9_SG_JZNS1_25segmented_radix_sort_implINS0_14default_configELb0EPK12hip_bfloat16PSL_PKlPlN2at6native12_GLOBAL__N_18offset_tEEE10hipError_tPvRmT1_PNSt15iterator_traitsISZ_E10value_typeET2_T3_PNS10_IS15_E10value_typeET4_jRbjT5_S1B_jjP12ihipStream_tbEUljE_EEESW_SX_SY_S15_S19_S1B_T6_T7_T9_mT8_S1D_bDpT10_ENKUlT_T0_E_clISt17integral_constantIbLb1EES1P_IbLb0EEEEDaS1L_S1M_EUlS1L_E_NS1_11comp_targetILNS1_3genE5ELNS1_11target_archE942ELNS1_3gpuE9ELNS1_3repE0EEENS1_30default_config_static_selectorELNS0_4arch9wavefront6targetE1EEEvSZ_.has_dyn_sized_stack, 0
	.set _ZN7rocprim17ROCPRIM_400000_NS6detail17trampoline_kernelINS0_13select_configILj256ELj13ELNS0_17block_load_methodE3ELS4_3ELS4_3ELNS0_20block_scan_algorithmE0ELj4294967295EEENS1_25partition_config_selectorILNS1_17partition_subalgoE3EjNS0_10empty_typeEbEEZZNS1_14partition_implILS8_3ELb0ES6_jNS0_17counting_iteratorIjlEEPS9_SE_NS0_5tupleIJPjSE_EEENSF_IJSE_SE_EEES9_SG_JZNS1_25segmented_radix_sort_implINS0_14default_configELb0EPK12hip_bfloat16PSL_PKlPlN2at6native12_GLOBAL__N_18offset_tEEE10hipError_tPvRmT1_PNSt15iterator_traitsISZ_E10value_typeET2_T3_PNS10_IS15_E10value_typeET4_jRbjT5_S1B_jjP12ihipStream_tbEUljE_EEESW_SX_SY_S15_S19_S1B_T6_T7_T9_mT8_S1D_bDpT10_ENKUlT_T0_E_clISt17integral_constantIbLb1EES1P_IbLb0EEEEDaS1L_S1M_EUlS1L_E_NS1_11comp_targetILNS1_3genE5ELNS1_11target_archE942ELNS1_3gpuE9ELNS1_3repE0EEENS1_30default_config_static_selectorELNS0_4arch9wavefront6targetE1EEEvSZ_.has_recursion, 0
	.set _ZN7rocprim17ROCPRIM_400000_NS6detail17trampoline_kernelINS0_13select_configILj256ELj13ELNS0_17block_load_methodE3ELS4_3ELS4_3ELNS0_20block_scan_algorithmE0ELj4294967295EEENS1_25partition_config_selectorILNS1_17partition_subalgoE3EjNS0_10empty_typeEbEEZZNS1_14partition_implILS8_3ELb0ES6_jNS0_17counting_iteratorIjlEEPS9_SE_NS0_5tupleIJPjSE_EEENSF_IJSE_SE_EEES9_SG_JZNS1_25segmented_radix_sort_implINS0_14default_configELb0EPK12hip_bfloat16PSL_PKlPlN2at6native12_GLOBAL__N_18offset_tEEE10hipError_tPvRmT1_PNSt15iterator_traitsISZ_E10value_typeET2_T3_PNS10_IS15_E10value_typeET4_jRbjT5_S1B_jjP12ihipStream_tbEUljE_EEESW_SX_SY_S15_S19_S1B_T6_T7_T9_mT8_S1D_bDpT10_ENKUlT_T0_E_clISt17integral_constantIbLb1EES1P_IbLb0EEEEDaS1L_S1M_EUlS1L_E_NS1_11comp_targetILNS1_3genE5ELNS1_11target_archE942ELNS1_3gpuE9ELNS1_3repE0EEENS1_30default_config_static_selectorELNS0_4arch9wavefront6targetE1EEEvSZ_.has_indirect_call, 0
	.section	.AMDGPU.csdata,"",@progbits
; Kernel info:
; codeLenInByte = 0
; TotalNumSgprs: 4
; NumVgprs: 0
; ScratchSize: 0
; MemoryBound: 0
; FloatMode: 240
; IeeeMode: 1
; LDSByteSize: 0 bytes/workgroup (compile time only)
; SGPRBlocks: 0
; VGPRBlocks: 0
; NumSGPRsForWavesPerEU: 4
; NumVGPRsForWavesPerEU: 1
; Occupancy: 10
; WaveLimiterHint : 0
; COMPUTE_PGM_RSRC2:SCRATCH_EN: 0
; COMPUTE_PGM_RSRC2:USER_SGPR: 6
; COMPUTE_PGM_RSRC2:TRAP_HANDLER: 0
; COMPUTE_PGM_RSRC2:TGID_X_EN: 1
; COMPUTE_PGM_RSRC2:TGID_Y_EN: 0
; COMPUTE_PGM_RSRC2:TGID_Z_EN: 0
; COMPUTE_PGM_RSRC2:TIDIG_COMP_CNT: 0
	.section	.text._ZN7rocprim17ROCPRIM_400000_NS6detail17trampoline_kernelINS0_13select_configILj256ELj13ELNS0_17block_load_methodE3ELS4_3ELS4_3ELNS0_20block_scan_algorithmE0ELj4294967295EEENS1_25partition_config_selectorILNS1_17partition_subalgoE3EjNS0_10empty_typeEbEEZZNS1_14partition_implILS8_3ELb0ES6_jNS0_17counting_iteratorIjlEEPS9_SE_NS0_5tupleIJPjSE_EEENSF_IJSE_SE_EEES9_SG_JZNS1_25segmented_radix_sort_implINS0_14default_configELb0EPK12hip_bfloat16PSL_PKlPlN2at6native12_GLOBAL__N_18offset_tEEE10hipError_tPvRmT1_PNSt15iterator_traitsISZ_E10value_typeET2_T3_PNS10_IS15_E10value_typeET4_jRbjT5_S1B_jjP12ihipStream_tbEUljE_EEESW_SX_SY_S15_S19_S1B_T6_T7_T9_mT8_S1D_bDpT10_ENKUlT_T0_E_clISt17integral_constantIbLb1EES1P_IbLb0EEEEDaS1L_S1M_EUlS1L_E_NS1_11comp_targetILNS1_3genE4ELNS1_11target_archE910ELNS1_3gpuE8ELNS1_3repE0EEENS1_30default_config_static_selectorELNS0_4arch9wavefront6targetE1EEEvSZ_,"axG",@progbits,_ZN7rocprim17ROCPRIM_400000_NS6detail17trampoline_kernelINS0_13select_configILj256ELj13ELNS0_17block_load_methodE3ELS4_3ELS4_3ELNS0_20block_scan_algorithmE0ELj4294967295EEENS1_25partition_config_selectorILNS1_17partition_subalgoE3EjNS0_10empty_typeEbEEZZNS1_14partition_implILS8_3ELb0ES6_jNS0_17counting_iteratorIjlEEPS9_SE_NS0_5tupleIJPjSE_EEENSF_IJSE_SE_EEES9_SG_JZNS1_25segmented_radix_sort_implINS0_14default_configELb0EPK12hip_bfloat16PSL_PKlPlN2at6native12_GLOBAL__N_18offset_tEEE10hipError_tPvRmT1_PNSt15iterator_traitsISZ_E10value_typeET2_T3_PNS10_IS15_E10value_typeET4_jRbjT5_S1B_jjP12ihipStream_tbEUljE_EEESW_SX_SY_S15_S19_S1B_T6_T7_T9_mT8_S1D_bDpT10_ENKUlT_T0_E_clISt17integral_constantIbLb1EES1P_IbLb0EEEEDaS1L_S1M_EUlS1L_E_NS1_11comp_targetILNS1_3genE4ELNS1_11target_archE910ELNS1_3gpuE8ELNS1_3repE0EEENS1_30default_config_static_selectorELNS0_4arch9wavefront6targetE1EEEvSZ_,comdat
	.globl	_ZN7rocprim17ROCPRIM_400000_NS6detail17trampoline_kernelINS0_13select_configILj256ELj13ELNS0_17block_load_methodE3ELS4_3ELS4_3ELNS0_20block_scan_algorithmE0ELj4294967295EEENS1_25partition_config_selectorILNS1_17partition_subalgoE3EjNS0_10empty_typeEbEEZZNS1_14partition_implILS8_3ELb0ES6_jNS0_17counting_iteratorIjlEEPS9_SE_NS0_5tupleIJPjSE_EEENSF_IJSE_SE_EEES9_SG_JZNS1_25segmented_radix_sort_implINS0_14default_configELb0EPK12hip_bfloat16PSL_PKlPlN2at6native12_GLOBAL__N_18offset_tEEE10hipError_tPvRmT1_PNSt15iterator_traitsISZ_E10value_typeET2_T3_PNS10_IS15_E10value_typeET4_jRbjT5_S1B_jjP12ihipStream_tbEUljE_EEESW_SX_SY_S15_S19_S1B_T6_T7_T9_mT8_S1D_bDpT10_ENKUlT_T0_E_clISt17integral_constantIbLb1EES1P_IbLb0EEEEDaS1L_S1M_EUlS1L_E_NS1_11comp_targetILNS1_3genE4ELNS1_11target_archE910ELNS1_3gpuE8ELNS1_3repE0EEENS1_30default_config_static_selectorELNS0_4arch9wavefront6targetE1EEEvSZ_ ; -- Begin function _ZN7rocprim17ROCPRIM_400000_NS6detail17trampoline_kernelINS0_13select_configILj256ELj13ELNS0_17block_load_methodE3ELS4_3ELS4_3ELNS0_20block_scan_algorithmE0ELj4294967295EEENS1_25partition_config_selectorILNS1_17partition_subalgoE3EjNS0_10empty_typeEbEEZZNS1_14partition_implILS8_3ELb0ES6_jNS0_17counting_iteratorIjlEEPS9_SE_NS0_5tupleIJPjSE_EEENSF_IJSE_SE_EEES9_SG_JZNS1_25segmented_radix_sort_implINS0_14default_configELb0EPK12hip_bfloat16PSL_PKlPlN2at6native12_GLOBAL__N_18offset_tEEE10hipError_tPvRmT1_PNSt15iterator_traitsISZ_E10value_typeET2_T3_PNS10_IS15_E10value_typeET4_jRbjT5_S1B_jjP12ihipStream_tbEUljE_EEESW_SX_SY_S15_S19_S1B_T6_T7_T9_mT8_S1D_bDpT10_ENKUlT_T0_E_clISt17integral_constantIbLb1EES1P_IbLb0EEEEDaS1L_S1M_EUlS1L_E_NS1_11comp_targetILNS1_3genE4ELNS1_11target_archE910ELNS1_3gpuE8ELNS1_3repE0EEENS1_30default_config_static_selectorELNS0_4arch9wavefront6targetE1EEEvSZ_
	.p2align	8
	.type	_ZN7rocprim17ROCPRIM_400000_NS6detail17trampoline_kernelINS0_13select_configILj256ELj13ELNS0_17block_load_methodE3ELS4_3ELS4_3ELNS0_20block_scan_algorithmE0ELj4294967295EEENS1_25partition_config_selectorILNS1_17partition_subalgoE3EjNS0_10empty_typeEbEEZZNS1_14partition_implILS8_3ELb0ES6_jNS0_17counting_iteratorIjlEEPS9_SE_NS0_5tupleIJPjSE_EEENSF_IJSE_SE_EEES9_SG_JZNS1_25segmented_radix_sort_implINS0_14default_configELb0EPK12hip_bfloat16PSL_PKlPlN2at6native12_GLOBAL__N_18offset_tEEE10hipError_tPvRmT1_PNSt15iterator_traitsISZ_E10value_typeET2_T3_PNS10_IS15_E10value_typeET4_jRbjT5_S1B_jjP12ihipStream_tbEUljE_EEESW_SX_SY_S15_S19_S1B_T6_T7_T9_mT8_S1D_bDpT10_ENKUlT_T0_E_clISt17integral_constantIbLb1EES1P_IbLb0EEEEDaS1L_S1M_EUlS1L_E_NS1_11comp_targetILNS1_3genE4ELNS1_11target_archE910ELNS1_3gpuE8ELNS1_3repE0EEENS1_30default_config_static_selectorELNS0_4arch9wavefront6targetE1EEEvSZ_,@function
_ZN7rocprim17ROCPRIM_400000_NS6detail17trampoline_kernelINS0_13select_configILj256ELj13ELNS0_17block_load_methodE3ELS4_3ELS4_3ELNS0_20block_scan_algorithmE0ELj4294967295EEENS1_25partition_config_selectorILNS1_17partition_subalgoE3EjNS0_10empty_typeEbEEZZNS1_14partition_implILS8_3ELb0ES6_jNS0_17counting_iteratorIjlEEPS9_SE_NS0_5tupleIJPjSE_EEENSF_IJSE_SE_EEES9_SG_JZNS1_25segmented_radix_sort_implINS0_14default_configELb0EPK12hip_bfloat16PSL_PKlPlN2at6native12_GLOBAL__N_18offset_tEEE10hipError_tPvRmT1_PNSt15iterator_traitsISZ_E10value_typeET2_T3_PNS10_IS15_E10value_typeET4_jRbjT5_S1B_jjP12ihipStream_tbEUljE_EEESW_SX_SY_S15_S19_S1B_T6_T7_T9_mT8_S1D_bDpT10_ENKUlT_T0_E_clISt17integral_constantIbLb1EES1P_IbLb0EEEEDaS1L_S1M_EUlS1L_E_NS1_11comp_targetILNS1_3genE4ELNS1_11target_archE910ELNS1_3gpuE8ELNS1_3repE0EEENS1_30default_config_static_selectorELNS0_4arch9wavefront6targetE1EEEvSZ_: ; @_ZN7rocprim17ROCPRIM_400000_NS6detail17trampoline_kernelINS0_13select_configILj256ELj13ELNS0_17block_load_methodE3ELS4_3ELS4_3ELNS0_20block_scan_algorithmE0ELj4294967295EEENS1_25partition_config_selectorILNS1_17partition_subalgoE3EjNS0_10empty_typeEbEEZZNS1_14partition_implILS8_3ELb0ES6_jNS0_17counting_iteratorIjlEEPS9_SE_NS0_5tupleIJPjSE_EEENSF_IJSE_SE_EEES9_SG_JZNS1_25segmented_radix_sort_implINS0_14default_configELb0EPK12hip_bfloat16PSL_PKlPlN2at6native12_GLOBAL__N_18offset_tEEE10hipError_tPvRmT1_PNSt15iterator_traitsISZ_E10value_typeET2_T3_PNS10_IS15_E10value_typeET4_jRbjT5_S1B_jjP12ihipStream_tbEUljE_EEESW_SX_SY_S15_S19_S1B_T6_T7_T9_mT8_S1D_bDpT10_ENKUlT_T0_E_clISt17integral_constantIbLb1EES1P_IbLb0EEEEDaS1L_S1M_EUlS1L_E_NS1_11comp_targetILNS1_3genE4ELNS1_11target_archE910ELNS1_3gpuE8ELNS1_3repE0EEENS1_30default_config_static_selectorELNS0_4arch9wavefront6targetE1EEEvSZ_
; %bb.0:
	.section	.rodata,"a",@progbits
	.p2align	6, 0x0
	.amdhsa_kernel _ZN7rocprim17ROCPRIM_400000_NS6detail17trampoline_kernelINS0_13select_configILj256ELj13ELNS0_17block_load_methodE3ELS4_3ELS4_3ELNS0_20block_scan_algorithmE0ELj4294967295EEENS1_25partition_config_selectorILNS1_17partition_subalgoE3EjNS0_10empty_typeEbEEZZNS1_14partition_implILS8_3ELb0ES6_jNS0_17counting_iteratorIjlEEPS9_SE_NS0_5tupleIJPjSE_EEENSF_IJSE_SE_EEES9_SG_JZNS1_25segmented_radix_sort_implINS0_14default_configELb0EPK12hip_bfloat16PSL_PKlPlN2at6native12_GLOBAL__N_18offset_tEEE10hipError_tPvRmT1_PNSt15iterator_traitsISZ_E10value_typeET2_T3_PNS10_IS15_E10value_typeET4_jRbjT5_S1B_jjP12ihipStream_tbEUljE_EEESW_SX_SY_S15_S19_S1B_T6_T7_T9_mT8_S1D_bDpT10_ENKUlT_T0_E_clISt17integral_constantIbLb1EES1P_IbLb0EEEEDaS1L_S1M_EUlS1L_E_NS1_11comp_targetILNS1_3genE4ELNS1_11target_archE910ELNS1_3gpuE8ELNS1_3repE0EEENS1_30default_config_static_selectorELNS0_4arch9wavefront6targetE1EEEvSZ_
		.amdhsa_group_segment_fixed_size 0
		.amdhsa_private_segment_fixed_size 0
		.amdhsa_kernarg_size 144
		.amdhsa_user_sgpr_count 6
		.amdhsa_user_sgpr_private_segment_buffer 1
		.amdhsa_user_sgpr_dispatch_ptr 0
		.amdhsa_user_sgpr_queue_ptr 0
		.amdhsa_user_sgpr_kernarg_segment_ptr 1
		.amdhsa_user_sgpr_dispatch_id 0
		.amdhsa_user_sgpr_flat_scratch_init 0
		.amdhsa_user_sgpr_private_segment_size 0
		.amdhsa_uses_dynamic_stack 0
		.amdhsa_system_sgpr_private_segment_wavefront_offset 0
		.amdhsa_system_sgpr_workgroup_id_x 1
		.amdhsa_system_sgpr_workgroup_id_y 0
		.amdhsa_system_sgpr_workgroup_id_z 0
		.amdhsa_system_sgpr_workgroup_info 0
		.amdhsa_system_vgpr_workitem_id 0
		.amdhsa_next_free_vgpr 1
		.amdhsa_next_free_sgpr 0
		.amdhsa_reserve_vcc 0
		.amdhsa_reserve_flat_scratch 0
		.amdhsa_float_round_mode_32 0
		.amdhsa_float_round_mode_16_64 0
		.amdhsa_float_denorm_mode_32 3
		.amdhsa_float_denorm_mode_16_64 3
		.amdhsa_dx10_clamp 1
		.amdhsa_ieee_mode 1
		.amdhsa_fp16_overflow 0
		.amdhsa_exception_fp_ieee_invalid_op 0
		.amdhsa_exception_fp_denorm_src 0
		.amdhsa_exception_fp_ieee_div_zero 0
		.amdhsa_exception_fp_ieee_overflow 0
		.amdhsa_exception_fp_ieee_underflow 0
		.amdhsa_exception_fp_ieee_inexact 0
		.amdhsa_exception_int_div_zero 0
	.end_amdhsa_kernel
	.section	.text._ZN7rocprim17ROCPRIM_400000_NS6detail17trampoline_kernelINS0_13select_configILj256ELj13ELNS0_17block_load_methodE3ELS4_3ELS4_3ELNS0_20block_scan_algorithmE0ELj4294967295EEENS1_25partition_config_selectorILNS1_17partition_subalgoE3EjNS0_10empty_typeEbEEZZNS1_14partition_implILS8_3ELb0ES6_jNS0_17counting_iteratorIjlEEPS9_SE_NS0_5tupleIJPjSE_EEENSF_IJSE_SE_EEES9_SG_JZNS1_25segmented_radix_sort_implINS0_14default_configELb0EPK12hip_bfloat16PSL_PKlPlN2at6native12_GLOBAL__N_18offset_tEEE10hipError_tPvRmT1_PNSt15iterator_traitsISZ_E10value_typeET2_T3_PNS10_IS15_E10value_typeET4_jRbjT5_S1B_jjP12ihipStream_tbEUljE_EEESW_SX_SY_S15_S19_S1B_T6_T7_T9_mT8_S1D_bDpT10_ENKUlT_T0_E_clISt17integral_constantIbLb1EES1P_IbLb0EEEEDaS1L_S1M_EUlS1L_E_NS1_11comp_targetILNS1_3genE4ELNS1_11target_archE910ELNS1_3gpuE8ELNS1_3repE0EEENS1_30default_config_static_selectorELNS0_4arch9wavefront6targetE1EEEvSZ_,"axG",@progbits,_ZN7rocprim17ROCPRIM_400000_NS6detail17trampoline_kernelINS0_13select_configILj256ELj13ELNS0_17block_load_methodE3ELS4_3ELS4_3ELNS0_20block_scan_algorithmE0ELj4294967295EEENS1_25partition_config_selectorILNS1_17partition_subalgoE3EjNS0_10empty_typeEbEEZZNS1_14partition_implILS8_3ELb0ES6_jNS0_17counting_iteratorIjlEEPS9_SE_NS0_5tupleIJPjSE_EEENSF_IJSE_SE_EEES9_SG_JZNS1_25segmented_radix_sort_implINS0_14default_configELb0EPK12hip_bfloat16PSL_PKlPlN2at6native12_GLOBAL__N_18offset_tEEE10hipError_tPvRmT1_PNSt15iterator_traitsISZ_E10value_typeET2_T3_PNS10_IS15_E10value_typeET4_jRbjT5_S1B_jjP12ihipStream_tbEUljE_EEESW_SX_SY_S15_S19_S1B_T6_T7_T9_mT8_S1D_bDpT10_ENKUlT_T0_E_clISt17integral_constantIbLb1EES1P_IbLb0EEEEDaS1L_S1M_EUlS1L_E_NS1_11comp_targetILNS1_3genE4ELNS1_11target_archE910ELNS1_3gpuE8ELNS1_3repE0EEENS1_30default_config_static_selectorELNS0_4arch9wavefront6targetE1EEEvSZ_,comdat
.Lfunc_end2035:
	.size	_ZN7rocprim17ROCPRIM_400000_NS6detail17trampoline_kernelINS0_13select_configILj256ELj13ELNS0_17block_load_methodE3ELS4_3ELS4_3ELNS0_20block_scan_algorithmE0ELj4294967295EEENS1_25partition_config_selectorILNS1_17partition_subalgoE3EjNS0_10empty_typeEbEEZZNS1_14partition_implILS8_3ELb0ES6_jNS0_17counting_iteratorIjlEEPS9_SE_NS0_5tupleIJPjSE_EEENSF_IJSE_SE_EEES9_SG_JZNS1_25segmented_radix_sort_implINS0_14default_configELb0EPK12hip_bfloat16PSL_PKlPlN2at6native12_GLOBAL__N_18offset_tEEE10hipError_tPvRmT1_PNSt15iterator_traitsISZ_E10value_typeET2_T3_PNS10_IS15_E10value_typeET4_jRbjT5_S1B_jjP12ihipStream_tbEUljE_EEESW_SX_SY_S15_S19_S1B_T6_T7_T9_mT8_S1D_bDpT10_ENKUlT_T0_E_clISt17integral_constantIbLb1EES1P_IbLb0EEEEDaS1L_S1M_EUlS1L_E_NS1_11comp_targetILNS1_3genE4ELNS1_11target_archE910ELNS1_3gpuE8ELNS1_3repE0EEENS1_30default_config_static_selectorELNS0_4arch9wavefront6targetE1EEEvSZ_, .Lfunc_end2035-_ZN7rocprim17ROCPRIM_400000_NS6detail17trampoline_kernelINS0_13select_configILj256ELj13ELNS0_17block_load_methodE3ELS4_3ELS4_3ELNS0_20block_scan_algorithmE0ELj4294967295EEENS1_25partition_config_selectorILNS1_17partition_subalgoE3EjNS0_10empty_typeEbEEZZNS1_14partition_implILS8_3ELb0ES6_jNS0_17counting_iteratorIjlEEPS9_SE_NS0_5tupleIJPjSE_EEENSF_IJSE_SE_EEES9_SG_JZNS1_25segmented_radix_sort_implINS0_14default_configELb0EPK12hip_bfloat16PSL_PKlPlN2at6native12_GLOBAL__N_18offset_tEEE10hipError_tPvRmT1_PNSt15iterator_traitsISZ_E10value_typeET2_T3_PNS10_IS15_E10value_typeET4_jRbjT5_S1B_jjP12ihipStream_tbEUljE_EEESW_SX_SY_S15_S19_S1B_T6_T7_T9_mT8_S1D_bDpT10_ENKUlT_T0_E_clISt17integral_constantIbLb1EES1P_IbLb0EEEEDaS1L_S1M_EUlS1L_E_NS1_11comp_targetILNS1_3genE4ELNS1_11target_archE910ELNS1_3gpuE8ELNS1_3repE0EEENS1_30default_config_static_selectorELNS0_4arch9wavefront6targetE1EEEvSZ_
                                        ; -- End function
	.set _ZN7rocprim17ROCPRIM_400000_NS6detail17trampoline_kernelINS0_13select_configILj256ELj13ELNS0_17block_load_methodE3ELS4_3ELS4_3ELNS0_20block_scan_algorithmE0ELj4294967295EEENS1_25partition_config_selectorILNS1_17partition_subalgoE3EjNS0_10empty_typeEbEEZZNS1_14partition_implILS8_3ELb0ES6_jNS0_17counting_iteratorIjlEEPS9_SE_NS0_5tupleIJPjSE_EEENSF_IJSE_SE_EEES9_SG_JZNS1_25segmented_radix_sort_implINS0_14default_configELb0EPK12hip_bfloat16PSL_PKlPlN2at6native12_GLOBAL__N_18offset_tEEE10hipError_tPvRmT1_PNSt15iterator_traitsISZ_E10value_typeET2_T3_PNS10_IS15_E10value_typeET4_jRbjT5_S1B_jjP12ihipStream_tbEUljE_EEESW_SX_SY_S15_S19_S1B_T6_T7_T9_mT8_S1D_bDpT10_ENKUlT_T0_E_clISt17integral_constantIbLb1EES1P_IbLb0EEEEDaS1L_S1M_EUlS1L_E_NS1_11comp_targetILNS1_3genE4ELNS1_11target_archE910ELNS1_3gpuE8ELNS1_3repE0EEENS1_30default_config_static_selectorELNS0_4arch9wavefront6targetE1EEEvSZ_.num_vgpr, 0
	.set _ZN7rocprim17ROCPRIM_400000_NS6detail17trampoline_kernelINS0_13select_configILj256ELj13ELNS0_17block_load_methodE3ELS4_3ELS4_3ELNS0_20block_scan_algorithmE0ELj4294967295EEENS1_25partition_config_selectorILNS1_17partition_subalgoE3EjNS0_10empty_typeEbEEZZNS1_14partition_implILS8_3ELb0ES6_jNS0_17counting_iteratorIjlEEPS9_SE_NS0_5tupleIJPjSE_EEENSF_IJSE_SE_EEES9_SG_JZNS1_25segmented_radix_sort_implINS0_14default_configELb0EPK12hip_bfloat16PSL_PKlPlN2at6native12_GLOBAL__N_18offset_tEEE10hipError_tPvRmT1_PNSt15iterator_traitsISZ_E10value_typeET2_T3_PNS10_IS15_E10value_typeET4_jRbjT5_S1B_jjP12ihipStream_tbEUljE_EEESW_SX_SY_S15_S19_S1B_T6_T7_T9_mT8_S1D_bDpT10_ENKUlT_T0_E_clISt17integral_constantIbLb1EES1P_IbLb0EEEEDaS1L_S1M_EUlS1L_E_NS1_11comp_targetILNS1_3genE4ELNS1_11target_archE910ELNS1_3gpuE8ELNS1_3repE0EEENS1_30default_config_static_selectorELNS0_4arch9wavefront6targetE1EEEvSZ_.num_agpr, 0
	.set _ZN7rocprim17ROCPRIM_400000_NS6detail17trampoline_kernelINS0_13select_configILj256ELj13ELNS0_17block_load_methodE3ELS4_3ELS4_3ELNS0_20block_scan_algorithmE0ELj4294967295EEENS1_25partition_config_selectorILNS1_17partition_subalgoE3EjNS0_10empty_typeEbEEZZNS1_14partition_implILS8_3ELb0ES6_jNS0_17counting_iteratorIjlEEPS9_SE_NS0_5tupleIJPjSE_EEENSF_IJSE_SE_EEES9_SG_JZNS1_25segmented_radix_sort_implINS0_14default_configELb0EPK12hip_bfloat16PSL_PKlPlN2at6native12_GLOBAL__N_18offset_tEEE10hipError_tPvRmT1_PNSt15iterator_traitsISZ_E10value_typeET2_T3_PNS10_IS15_E10value_typeET4_jRbjT5_S1B_jjP12ihipStream_tbEUljE_EEESW_SX_SY_S15_S19_S1B_T6_T7_T9_mT8_S1D_bDpT10_ENKUlT_T0_E_clISt17integral_constantIbLb1EES1P_IbLb0EEEEDaS1L_S1M_EUlS1L_E_NS1_11comp_targetILNS1_3genE4ELNS1_11target_archE910ELNS1_3gpuE8ELNS1_3repE0EEENS1_30default_config_static_selectorELNS0_4arch9wavefront6targetE1EEEvSZ_.numbered_sgpr, 0
	.set _ZN7rocprim17ROCPRIM_400000_NS6detail17trampoline_kernelINS0_13select_configILj256ELj13ELNS0_17block_load_methodE3ELS4_3ELS4_3ELNS0_20block_scan_algorithmE0ELj4294967295EEENS1_25partition_config_selectorILNS1_17partition_subalgoE3EjNS0_10empty_typeEbEEZZNS1_14partition_implILS8_3ELb0ES6_jNS0_17counting_iteratorIjlEEPS9_SE_NS0_5tupleIJPjSE_EEENSF_IJSE_SE_EEES9_SG_JZNS1_25segmented_radix_sort_implINS0_14default_configELb0EPK12hip_bfloat16PSL_PKlPlN2at6native12_GLOBAL__N_18offset_tEEE10hipError_tPvRmT1_PNSt15iterator_traitsISZ_E10value_typeET2_T3_PNS10_IS15_E10value_typeET4_jRbjT5_S1B_jjP12ihipStream_tbEUljE_EEESW_SX_SY_S15_S19_S1B_T6_T7_T9_mT8_S1D_bDpT10_ENKUlT_T0_E_clISt17integral_constantIbLb1EES1P_IbLb0EEEEDaS1L_S1M_EUlS1L_E_NS1_11comp_targetILNS1_3genE4ELNS1_11target_archE910ELNS1_3gpuE8ELNS1_3repE0EEENS1_30default_config_static_selectorELNS0_4arch9wavefront6targetE1EEEvSZ_.num_named_barrier, 0
	.set _ZN7rocprim17ROCPRIM_400000_NS6detail17trampoline_kernelINS0_13select_configILj256ELj13ELNS0_17block_load_methodE3ELS4_3ELS4_3ELNS0_20block_scan_algorithmE0ELj4294967295EEENS1_25partition_config_selectorILNS1_17partition_subalgoE3EjNS0_10empty_typeEbEEZZNS1_14partition_implILS8_3ELb0ES6_jNS0_17counting_iteratorIjlEEPS9_SE_NS0_5tupleIJPjSE_EEENSF_IJSE_SE_EEES9_SG_JZNS1_25segmented_radix_sort_implINS0_14default_configELb0EPK12hip_bfloat16PSL_PKlPlN2at6native12_GLOBAL__N_18offset_tEEE10hipError_tPvRmT1_PNSt15iterator_traitsISZ_E10value_typeET2_T3_PNS10_IS15_E10value_typeET4_jRbjT5_S1B_jjP12ihipStream_tbEUljE_EEESW_SX_SY_S15_S19_S1B_T6_T7_T9_mT8_S1D_bDpT10_ENKUlT_T0_E_clISt17integral_constantIbLb1EES1P_IbLb0EEEEDaS1L_S1M_EUlS1L_E_NS1_11comp_targetILNS1_3genE4ELNS1_11target_archE910ELNS1_3gpuE8ELNS1_3repE0EEENS1_30default_config_static_selectorELNS0_4arch9wavefront6targetE1EEEvSZ_.private_seg_size, 0
	.set _ZN7rocprim17ROCPRIM_400000_NS6detail17trampoline_kernelINS0_13select_configILj256ELj13ELNS0_17block_load_methodE3ELS4_3ELS4_3ELNS0_20block_scan_algorithmE0ELj4294967295EEENS1_25partition_config_selectorILNS1_17partition_subalgoE3EjNS0_10empty_typeEbEEZZNS1_14partition_implILS8_3ELb0ES6_jNS0_17counting_iteratorIjlEEPS9_SE_NS0_5tupleIJPjSE_EEENSF_IJSE_SE_EEES9_SG_JZNS1_25segmented_radix_sort_implINS0_14default_configELb0EPK12hip_bfloat16PSL_PKlPlN2at6native12_GLOBAL__N_18offset_tEEE10hipError_tPvRmT1_PNSt15iterator_traitsISZ_E10value_typeET2_T3_PNS10_IS15_E10value_typeET4_jRbjT5_S1B_jjP12ihipStream_tbEUljE_EEESW_SX_SY_S15_S19_S1B_T6_T7_T9_mT8_S1D_bDpT10_ENKUlT_T0_E_clISt17integral_constantIbLb1EES1P_IbLb0EEEEDaS1L_S1M_EUlS1L_E_NS1_11comp_targetILNS1_3genE4ELNS1_11target_archE910ELNS1_3gpuE8ELNS1_3repE0EEENS1_30default_config_static_selectorELNS0_4arch9wavefront6targetE1EEEvSZ_.uses_vcc, 0
	.set _ZN7rocprim17ROCPRIM_400000_NS6detail17trampoline_kernelINS0_13select_configILj256ELj13ELNS0_17block_load_methodE3ELS4_3ELS4_3ELNS0_20block_scan_algorithmE0ELj4294967295EEENS1_25partition_config_selectorILNS1_17partition_subalgoE3EjNS0_10empty_typeEbEEZZNS1_14partition_implILS8_3ELb0ES6_jNS0_17counting_iteratorIjlEEPS9_SE_NS0_5tupleIJPjSE_EEENSF_IJSE_SE_EEES9_SG_JZNS1_25segmented_radix_sort_implINS0_14default_configELb0EPK12hip_bfloat16PSL_PKlPlN2at6native12_GLOBAL__N_18offset_tEEE10hipError_tPvRmT1_PNSt15iterator_traitsISZ_E10value_typeET2_T3_PNS10_IS15_E10value_typeET4_jRbjT5_S1B_jjP12ihipStream_tbEUljE_EEESW_SX_SY_S15_S19_S1B_T6_T7_T9_mT8_S1D_bDpT10_ENKUlT_T0_E_clISt17integral_constantIbLb1EES1P_IbLb0EEEEDaS1L_S1M_EUlS1L_E_NS1_11comp_targetILNS1_3genE4ELNS1_11target_archE910ELNS1_3gpuE8ELNS1_3repE0EEENS1_30default_config_static_selectorELNS0_4arch9wavefront6targetE1EEEvSZ_.uses_flat_scratch, 0
	.set _ZN7rocprim17ROCPRIM_400000_NS6detail17trampoline_kernelINS0_13select_configILj256ELj13ELNS0_17block_load_methodE3ELS4_3ELS4_3ELNS0_20block_scan_algorithmE0ELj4294967295EEENS1_25partition_config_selectorILNS1_17partition_subalgoE3EjNS0_10empty_typeEbEEZZNS1_14partition_implILS8_3ELb0ES6_jNS0_17counting_iteratorIjlEEPS9_SE_NS0_5tupleIJPjSE_EEENSF_IJSE_SE_EEES9_SG_JZNS1_25segmented_radix_sort_implINS0_14default_configELb0EPK12hip_bfloat16PSL_PKlPlN2at6native12_GLOBAL__N_18offset_tEEE10hipError_tPvRmT1_PNSt15iterator_traitsISZ_E10value_typeET2_T3_PNS10_IS15_E10value_typeET4_jRbjT5_S1B_jjP12ihipStream_tbEUljE_EEESW_SX_SY_S15_S19_S1B_T6_T7_T9_mT8_S1D_bDpT10_ENKUlT_T0_E_clISt17integral_constantIbLb1EES1P_IbLb0EEEEDaS1L_S1M_EUlS1L_E_NS1_11comp_targetILNS1_3genE4ELNS1_11target_archE910ELNS1_3gpuE8ELNS1_3repE0EEENS1_30default_config_static_selectorELNS0_4arch9wavefront6targetE1EEEvSZ_.has_dyn_sized_stack, 0
	.set _ZN7rocprim17ROCPRIM_400000_NS6detail17trampoline_kernelINS0_13select_configILj256ELj13ELNS0_17block_load_methodE3ELS4_3ELS4_3ELNS0_20block_scan_algorithmE0ELj4294967295EEENS1_25partition_config_selectorILNS1_17partition_subalgoE3EjNS0_10empty_typeEbEEZZNS1_14partition_implILS8_3ELb0ES6_jNS0_17counting_iteratorIjlEEPS9_SE_NS0_5tupleIJPjSE_EEENSF_IJSE_SE_EEES9_SG_JZNS1_25segmented_radix_sort_implINS0_14default_configELb0EPK12hip_bfloat16PSL_PKlPlN2at6native12_GLOBAL__N_18offset_tEEE10hipError_tPvRmT1_PNSt15iterator_traitsISZ_E10value_typeET2_T3_PNS10_IS15_E10value_typeET4_jRbjT5_S1B_jjP12ihipStream_tbEUljE_EEESW_SX_SY_S15_S19_S1B_T6_T7_T9_mT8_S1D_bDpT10_ENKUlT_T0_E_clISt17integral_constantIbLb1EES1P_IbLb0EEEEDaS1L_S1M_EUlS1L_E_NS1_11comp_targetILNS1_3genE4ELNS1_11target_archE910ELNS1_3gpuE8ELNS1_3repE0EEENS1_30default_config_static_selectorELNS0_4arch9wavefront6targetE1EEEvSZ_.has_recursion, 0
	.set _ZN7rocprim17ROCPRIM_400000_NS6detail17trampoline_kernelINS0_13select_configILj256ELj13ELNS0_17block_load_methodE3ELS4_3ELS4_3ELNS0_20block_scan_algorithmE0ELj4294967295EEENS1_25partition_config_selectorILNS1_17partition_subalgoE3EjNS0_10empty_typeEbEEZZNS1_14partition_implILS8_3ELb0ES6_jNS0_17counting_iteratorIjlEEPS9_SE_NS0_5tupleIJPjSE_EEENSF_IJSE_SE_EEES9_SG_JZNS1_25segmented_radix_sort_implINS0_14default_configELb0EPK12hip_bfloat16PSL_PKlPlN2at6native12_GLOBAL__N_18offset_tEEE10hipError_tPvRmT1_PNSt15iterator_traitsISZ_E10value_typeET2_T3_PNS10_IS15_E10value_typeET4_jRbjT5_S1B_jjP12ihipStream_tbEUljE_EEESW_SX_SY_S15_S19_S1B_T6_T7_T9_mT8_S1D_bDpT10_ENKUlT_T0_E_clISt17integral_constantIbLb1EES1P_IbLb0EEEEDaS1L_S1M_EUlS1L_E_NS1_11comp_targetILNS1_3genE4ELNS1_11target_archE910ELNS1_3gpuE8ELNS1_3repE0EEENS1_30default_config_static_selectorELNS0_4arch9wavefront6targetE1EEEvSZ_.has_indirect_call, 0
	.section	.AMDGPU.csdata,"",@progbits
; Kernel info:
; codeLenInByte = 0
; TotalNumSgprs: 4
; NumVgprs: 0
; ScratchSize: 0
; MemoryBound: 0
; FloatMode: 240
; IeeeMode: 1
; LDSByteSize: 0 bytes/workgroup (compile time only)
; SGPRBlocks: 0
; VGPRBlocks: 0
; NumSGPRsForWavesPerEU: 4
; NumVGPRsForWavesPerEU: 1
; Occupancy: 10
; WaveLimiterHint : 0
; COMPUTE_PGM_RSRC2:SCRATCH_EN: 0
; COMPUTE_PGM_RSRC2:USER_SGPR: 6
; COMPUTE_PGM_RSRC2:TRAP_HANDLER: 0
; COMPUTE_PGM_RSRC2:TGID_X_EN: 1
; COMPUTE_PGM_RSRC2:TGID_Y_EN: 0
; COMPUTE_PGM_RSRC2:TGID_Z_EN: 0
; COMPUTE_PGM_RSRC2:TIDIG_COMP_CNT: 0
	.section	.text._ZN7rocprim17ROCPRIM_400000_NS6detail17trampoline_kernelINS0_13select_configILj256ELj13ELNS0_17block_load_methodE3ELS4_3ELS4_3ELNS0_20block_scan_algorithmE0ELj4294967295EEENS1_25partition_config_selectorILNS1_17partition_subalgoE3EjNS0_10empty_typeEbEEZZNS1_14partition_implILS8_3ELb0ES6_jNS0_17counting_iteratorIjlEEPS9_SE_NS0_5tupleIJPjSE_EEENSF_IJSE_SE_EEES9_SG_JZNS1_25segmented_radix_sort_implINS0_14default_configELb0EPK12hip_bfloat16PSL_PKlPlN2at6native12_GLOBAL__N_18offset_tEEE10hipError_tPvRmT1_PNSt15iterator_traitsISZ_E10value_typeET2_T3_PNS10_IS15_E10value_typeET4_jRbjT5_S1B_jjP12ihipStream_tbEUljE_EEESW_SX_SY_S15_S19_S1B_T6_T7_T9_mT8_S1D_bDpT10_ENKUlT_T0_E_clISt17integral_constantIbLb1EES1P_IbLb0EEEEDaS1L_S1M_EUlS1L_E_NS1_11comp_targetILNS1_3genE3ELNS1_11target_archE908ELNS1_3gpuE7ELNS1_3repE0EEENS1_30default_config_static_selectorELNS0_4arch9wavefront6targetE1EEEvSZ_,"axG",@progbits,_ZN7rocprim17ROCPRIM_400000_NS6detail17trampoline_kernelINS0_13select_configILj256ELj13ELNS0_17block_load_methodE3ELS4_3ELS4_3ELNS0_20block_scan_algorithmE0ELj4294967295EEENS1_25partition_config_selectorILNS1_17partition_subalgoE3EjNS0_10empty_typeEbEEZZNS1_14partition_implILS8_3ELb0ES6_jNS0_17counting_iteratorIjlEEPS9_SE_NS0_5tupleIJPjSE_EEENSF_IJSE_SE_EEES9_SG_JZNS1_25segmented_radix_sort_implINS0_14default_configELb0EPK12hip_bfloat16PSL_PKlPlN2at6native12_GLOBAL__N_18offset_tEEE10hipError_tPvRmT1_PNSt15iterator_traitsISZ_E10value_typeET2_T3_PNS10_IS15_E10value_typeET4_jRbjT5_S1B_jjP12ihipStream_tbEUljE_EEESW_SX_SY_S15_S19_S1B_T6_T7_T9_mT8_S1D_bDpT10_ENKUlT_T0_E_clISt17integral_constantIbLb1EES1P_IbLb0EEEEDaS1L_S1M_EUlS1L_E_NS1_11comp_targetILNS1_3genE3ELNS1_11target_archE908ELNS1_3gpuE7ELNS1_3repE0EEENS1_30default_config_static_selectorELNS0_4arch9wavefront6targetE1EEEvSZ_,comdat
	.globl	_ZN7rocprim17ROCPRIM_400000_NS6detail17trampoline_kernelINS0_13select_configILj256ELj13ELNS0_17block_load_methodE3ELS4_3ELS4_3ELNS0_20block_scan_algorithmE0ELj4294967295EEENS1_25partition_config_selectorILNS1_17partition_subalgoE3EjNS0_10empty_typeEbEEZZNS1_14partition_implILS8_3ELb0ES6_jNS0_17counting_iteratorIjlEEPS9_SE_NS0_5tupleIJPjSE_EEENSF_IJSE_SE_EEES9_SG_JZNS1_25segmented_radix_sort_implINS0_14default_configELb0EPK12hip_bfloat16PSL_PKlPlN2at6native12_GLOBAL__N_18offset_tEEE10hipError_tPvRmT1_PNSt15iterator_traitsISZ_E10value_typeET2_T3_PNS10_IS15_E10value_typeET4_jRbjT5_S1B_jjP12ihipStream_tbEUljE_EEESW_SX_SY_S15_S19_S1B_T6_T7_T9_mT8_S1D_bDpT10_ENKUlT_T0_E_clISt17integral_constantIbLb1EES1P_IbLb0EEEEDaS1L_S1M_EUlS1L_E_NS1_11comp_targetILNS1_3genE3ELNS1_11target_archE908ELNS1_3gpuE7ELNS1_3repE0EEENS1_30default_config_static_selectorELNS0_4arch9wavefront6targetE1EEEvSZ_ ; -- Begin function _ZN7rocprim17ROCPRIM_400000_NS6detail17trampoline_kernelINS0_13select_configILj256ELj13ELNS0_17block_load_methodE3ELS4_3ELS4_3ELNS0_20block_scan_algorithmE0ELj4294967295EEENS1_25partition_config_selectorILNS1_17partition_subalgoE3EjNS0_10empty_typeEbEEZZNS1_14partition_implILS8_3ELb0ES6_jNS0_17counting_iteratorIjlEEPS9_SE_NS0_5tupleIJPjSE_EEENSF_IJSE_SE_EEES9_SG_JZNS1_25segmented_radix_sort_implINS0_14default_configELb0EPK12hip_bfloat16PSL_PKlPlN2at6native12_GLOBAL__N_18offset_tEEE10hipError_tPvRmT1_PNSt15iterator_traitsISZ_E10value_typeET2_T3_PNS10_IS15_E10value_typeET4_jRbjT5_S1B_jjP12ihipStream_tbEUljE_EEESW_SX_SY_S15_S19_S1B_T6_T7_T9_mT8_S1D_bDpT10_ENKUlT_T0_E_clISt17integral_constantIbLb1EES1P_IbLb0EEEEDaS1L_S1M_EUlS1L_E_NS1_11comp_targetILNS1_3genE3ELNS1_11target_archE908ELNS1_3gpuE7ELNS1_3repE0EEENS1_30default_config_static_selectorELNS0_4arch9wavefront6targetE1EEEvSZ_
	.p2align	8
	.type	_ZN7rocprim17ROCPRIM_400000_NS6detail17trampoline_kernelINS0_13select_configILj256ELj13ELNS0_17block_load_methodE3ELS4_3ELS4_3ELNS0_20block_scan_algorithmE0ELj4294967295EEENS1_25partition_config_selectorILNS1_17partition_subalgoE3EjNS0_10empty_typeEbEEZZNS1_14partition_implILS8_3ELb0ES6_jNS0_17counting_iteratorIjlEEPS9_SE_NS0_5tupleIJPjSE_EEENSF_IJSE_SE_EEES9_SG_JZNS1_25segmented_radix_sort_implINS0_14default_configELb0EPK12hip_bfloat16PSL_PKlPlN2at6native12_GLOBAL__N_18offset_tEEE10hipError_tPvRmT1_PNSt15iterator_traitsISZ_E10value_typeET2_T3_PNS10_IS15_E10value_typeET4_jRbjT5_S1B_jjP12ihipStream_tbEUljE_EEESW_SX_SY_S15_S19_S1B_T6_T7_T9_mT8_S1D_bDpT10_ENKUlT_T0_E_clISt17integral_constantIbLb1EES1P_IbLb0EEEEDaS1L_S1M_EUlS1L_E_NS1_11comp_targetILNS1_3genE3ELNS1_11target_archE908ELNS1_3gpuE7ELNS1_3repE0EEENS1_30default_config_static_selectorELNS0_4arch9wavefront6targetE1EEEvSZ_,@function
_ZN7rocprim17ROCPRIM_400000_NS6detail17trampoline_kernelINS0_13select_configILj256ELj13ELNS0_17block_load_methodE3ELS4_3ELS4_3ELNS0_20block_scan_algorithmE0ELj4294967295EEENS1_25partition_config_selectorILNS1_17partition_subalgoE3EjNS0_10empty_typeEbEEZZNS1_14partition_implILS8_3ELb0ES6_jNS0_17counting_iteratorIjlEEPS9_SE_NS0_5tupleIJPjSE_EEENSF_IJSE_SE_EEES9_SG_JZNS1_25segmented_radix_sort_implINS0_14default_configELb0EPK12hip_bfloat16PSL_PKlPlN2at6native12_GLOBAL__N_18offset_tEEE10hipError_tPvRmT1_PNSt15iterator_traitsISZ_E10value_typeET2_T3_PNS10_IS15_E10value_typeET4_jRbjT5_S1B_jjP12ihipStream_tbEUljE_EEESW_SX_SY_S15_S19_S1B_T6_T7_T9_mT8_S1D_bDpT10_ENKUlT_T0_E_clISt17integral_constantIbLb1EES1P_IbLb0EEEEDaS1L_S1M_EUlS1L_E_NS1_11comp_targetILNS1_3genE3ELNS1_11target_archE908ELNS1_3gpuE7ELNS1_3repE0EEENS1_30default_config_static_selectorELNS0_4arch9wavefront6targetE1EEEvSZ_: ; @_ZN7rocprim17ROCPRIM_400000_NS6detail17trampoline_kernelINS0_13select_configILj256ELj13ELNS0_17block_load_methodE3ELS4_3ELS4_3ELNS0_20block_scan_algorithmE0ELj4294967295EEENS1_25partition_config_selectorILNS1_17partition_subalgoE3EjNS0_10empty_typeEbEEZZNS1_14partition_implILS8_3ELb0ES6_jNS0_17counting_iteratorIjlEEPS9_SE_NS0_5tupleIJPjSE_EEENSF_IJSE_SE_EEES9_SG_JZNS1_25segmented_radix_sort_implINS0_14default_configELb0EPK12hip_bfloat16PSL_PKlPlN2at6native12_GLOBAL__N_18offset_tEEE10hipError_tPvRmT1_PNSt15iterator_traitsISZ_E10value_typeET2_T3_PNS10_IS15_E10value_typeET4_jRbjT5_S1B_jjP12ihipStream_tbEUljE_EEESW_SX_SY_S15_S19_S1B_T6_T7_T9_mT8_S1D_bDpT10_ENKUlT_T0_E_clISt17integral_constantIbLb1EES1P_IbLb0EEEEDaS1L_S1M_EUlS1L_E_NS1_11comp_targetILNS1_3genE3ELNS1_11target_archE908ELNS1_3gpuE7ELNS1_3repE0EEENS1_30default_config_static_selectorELNS0_4arch9wavefront6targetE1EEEvSZ_
; %bb.0:
	.section	.rodata,"a",@progbits
	.p2align	6, 0x0
	.amdhsa_kernel _ZN7rocprim17ROCPRIM_400000_NS6detail17trampoline_kernelINS0_13select_configILj256ELj13ELNS0_17block_load_methodE3ELS4_3ELS4_3ELNS0_20block_scan_algorithmE0ELj4294967295EEENS1_25partition_config_selectorILNS1_17partition_subalgoE3EjNS0_10empty_typeEbEEZZNS1_14partition_implILS8_3ELb0ES6_jNS0_17counting_iteratorIjlEEPS9_SE_NS0_5tupleIJPjSE_EEENSF_IJSE_SE_EEES9_SG_JZNS1_25segmented_radix_sort_implINS0_14default_configELb0EPK12hip_bfloat16PSL_PKlPlN2at6native12_GLOBAL__N_18offset_tEEE10hipError_tPvRmT1_PNSt15iterator_traitsISZ_E10value_typeET2_T3_PNS10_IS15_E10value_typeET4_jRbjT5_S1B_jjP12ihipStream_tbEUljE_EEESW_SX_SY_S15_S19_S1B_T6_T7_T9_mT8_S1D_bDpT10_ENKUlT_T0_E_clISt17integral_constantIbLb1EES1P_IbLb0EEEEDaS1L_S1M_EUlS1L_E_NS1_11comp_targetILNS1_3genE3ELNS1_11target_archE908ELNS1_3gpuE7ELNS1_3repE0EEENS1_30default_config_static_selectorELNS0_4arch9wavefront6targetE1EEEvSZ_
		.amdhsa_group_segment_fixed_size 0
		.amdhsa_private_segment_fixed_size 0
		.amdhsa_kernarg_size 144
		.amdhsa_user_sgpr_count 6
		.amdhsa_user_sgpr_private_segment_buffer 1
		.amdhsa_user_sgpr_dispatch_ptr 0
		.amdhsa_user_sgpr_queue_ptr 0
		.amdhsa_user_sgpr_kernarg_segment_ptr 1
		.amdhsa_user_sgpr_dispatch_id 0
		.amdhsa_user_sgpr_flat_scratch_init 0
		.amdhsa_user_sgpr_private_segment_size 0
		.amdhsa_uses_dynamic_stack 0
		.amdhsa_system_sgpr_private_segment_wavefront_offset 0
		.amdhsa_system_sgpr_workgroup_id_x 1
		.amdhsa_system_sgpr_workgroup_id_y 0
		.amdhsa_system_sgpr_workgroup_id_z 0
		.amdhsa_system_sgpr_workgroup_info 0
		.amdhsa_system_vgpr_workitem_id 0
		.amdhsa_next_free_vgpr 1
		.amdhsa_next_free_sgpr 0
		.amdhsa_reserve_vcc 0
		.amdhsa_reserve_flat_scratch 0
		.amdhsa_float_round_mode_32 0
		.amdhsa_float_round_mode_16_64 0
		.amdhsa_float_denorm_mode_32 3
		.amdhsa_float_denorm_mode_16_64 3
		.amdhsa_dx10_clamp 1
		.amdhsa_ieee_mode 1
		.amdhsa_fp16_overflow 0
		.amdhsa_exception_fp_ieee_invalid_op 0
		.amdhsa_exception_fp_denorm_src 0
		.amdhsa_exception_fp_ieee_div_zero 0
		.amdhsa_exception_fp_ieee_overflow 0
		.amdhsa_exception_fp_ieee_underflow 0
		.amdhsa_exception_fp_ieee_inexact 0
		.amdhsa_exception_int_div_zero 0
	.end_amdhsa_kernel
	.section	.text._ZN7rocprim17ROCPRIM_400000_NS6detail17trampoline_kernelINS0_13select_configILj256ELj13ELNS0_17block_load_methodE3ELS4_3ELS4_3ELNS0_20block_scan_algorithmE0ELj4294967295EEENS1_25partition_config_selectorILNS1_17partition_subalgoE3EjNS0_10empty_typeEbEEZZNS1_14partition_implILS8_3ELb0ES6_jNS0_17counting_iteratorIjlEEPS9_SE_NS0_5tupleIJPjSE_EEENSF_IJSE_SE_EEES9_SG_JZNS1_25segmented_radix_sort_implINS0_14default_configELb0EPK12hip_bfloat16PSL_PKlPlN2at6native12_GLOBAL__N_18offset_tEEE10hipError_tPvRmT1_PNSt15iterator_traitsISZ_E10value_typeET2_T3_PNS10_IS15_E10value_typeET4_jRbjT5_S1B_jjP12ihipStream_tbEUljE_EEESW_SX_SY_S15_S19_S1B_T6_T7_T9_mT8_S1D_bDpT10_ENKUlT_T0_E_clISt17integral_constantIbLb1EES1P_IbLb0EEEEDaS1L_S1M_EUlS1L_E_NS1_11comp_targetILNS1_3genE3ELNS1_11target_archE908ELNS1_3gpuE7ELNS1_3repE0EEENS1_30default_config_static_selectorELNS0_4arch9wavefront6targetE1EEEvSZ_,"axG",@progbits,_ZN7rocprim17ROCPRIM_400000_NS6detail17trampoline_kernelINS0_13select_configILj256ELj13ELNS0_17block_load_methodE3ELS4_3ELS4_3ELNS0_20block_scan_algorithmE0ELj4294967295EEENS1_25partition_config_selectorILNS1_17partition_subalgoE3EjNS0_10empty_typeEbEEZZNS1_14partition_implILS8_3ELb0ES6_jNS0_17counting_iteratorIjlEEPS9_SE_NS0_5tupleIJPjSE_EEENSF_IJSE_SE_EEES9_SG_JZNS1_25segmented_radix_sort_implINS0_14default_configELb0EPK12hip_bfloat16PSL_PKlPlN2at6native12_GLOBAL__N_18offset_tEEE10hipError_tPvRmT1_PNSt15iterator_traitsISZ_E10value_typeET2_T3_PNS10_IS15_E10value_typeET4_jRbjT5_S1B_jjP12ihipStream_tbEUljE_EEESW_SX_SY_S15_S19_S1B_T6_T7_T9_mT8_S1D_bDpT10_ENKUlT_T0_E_clISt17integral_constantIbLb1EES1P_IbLb0EEEEDaS1L_S1M_EUlS1L_E_NS1_11comp_targetILNS1_3genE3ELNS1_11target_archE908ELNS1_3gpuE7ELNS1_3repE0EEENS1_30default_config_static_selectorELNS0_4arch9wavefront6targetE1EEEvSZ_,comdat
.Lfunc_end2036:
	.size	_ZN7rocprim17ROCPRIM_400000_NS6detail17trampoline_kernelINS0_13select_configILj256ELj13ELNS0_17block_load_methodE3ELS4_3ELS4_3ELNS0_20block_scan_algorithmE0ELj4294967295EEENS1_25partition_config_selectorILNS1_17partition_subalgoE3EjNS0_10empty_typeEbEEZZNS1_14partition_implILS8_3ELb0ES6_jNS0_17counting_iteratorIjlEEPS9_SE_NS0_5tupleIJPjSE_EEENSF_IJSE_SE_EEES9_SG_JZNS1_25segmented_radix_sort_implINS0_14default_configELb0EPK12hip_bfloat16PSL_PKlPlN2at6native12_GLOBAL__N_18offset_tEEE10hipError_tPvRmT1_PNSt15iterator_traitsISZ_E10value_typeET2_T3_PNS10_IS15_E10value_typeET4_jRbjT5_S1B_jjP12ihipStream_tbEUljE_EEESW_SX_SY_S15_S19_S1B_T6_T7_T9_mT8_S1D_bDpT10_ENKUlT_T0_E_clISt17integral_constantIbLb1EES1P_IbLb0EEEEDaS1L_S1M_EUlS1L_E_NS1_11comp_targetILNS1_3genE3ELNS1_11target_archE908ELNS1_3gpuE7ELNS1_3repE0EEENS1_30default_config_static_selectorELNS0_4arch9wavefront6targetE1EEEvSZ_, .Lfunc_end2036-_ZN7rocprim17ROCPRIM_400000_NS6detail17trampoline_kernelINS0_13select_configILj256ELj13ELNS0_17block_load_methodE3ELS4_3ELS4_3ELNS0_20block_scan_algorithmE0ELj4294967295EEENS1_25partition_config_selectorILNS1_17partition_subalgoE3EjNS0_10empty_typeEbEEZZNS1_14partition_implILS8_3ELb0ES6_jNS0_17counting_iteratorIjlEEPS9_SE_NS0_5tupleIJPjSE_EEENSF_IJSE_SE_EEES9_SG_JZNS1_25segmented_radix_sort_implINS0_14default_configELb0EPK12hip_bfloat16PSL_PKlPlN2at6native12_GLOBAL__N_18offset_tEEE10hipError_tPvRmT1_PNSt15iterator_traitsISZ_E10value_typeET2_T3_PNS10_IS15_E10value_typeET4_jRbjT5_S1B_jjP12ihipStream_tbEUljE_EEESW_SX_SY_S15_S19_S1B_T6_T7_T9_mT8_S1D_bDpT10_ENKUlT_T0_E_clISt17integral_constantIbLb1EES1P_IbLb0EEEEDaS1L_S1M_EUlS1L_E_NS1_11comp_targetILNS1_3genE3ELNS1_11target_archE908ELNS1_3gpuE7ELNS1_3repE0EEENS1_30default_config_static_selectorELNS0_4arch9wavefront6targetE1EEEvSZ_
                                        ; -- End function
	.set _ZN7rocprim17ROCPRIM_400000_NS6detail17trampoline_kernelINS0_13select_configILj256ELj13ELNS0_17block_load_methodE3ELS4_3ELS4_3ELNS0_20block_scan_algorithmE0ELj4294967295EEENS1_25partition_config_selectorILNS1_17partition_subalgoE3EjNS0_10empty_typeEbEEZZNS1_14partition_implILS8_3ELb0ES6_jNS0_17counting_iteratorIjlEEPS9_SE_NS0_5tupleIJPjSE_EEENSF_IJSE_SE_EEES9_SG_JZNS1_25segmented_radix_sort_implINS0_14default_configELb0EPK12hip_bfloat16PSL_PKlPlN2at6native12_GLOBAL__N_18offset_tEEE10hipError_tPvRmT1_PNSt15iterator_traitsISZ_E10value_typeET2_T3_PNS10_IS15_E10value_typeET4_jRbjT5_S1B_jjP12ihipStream_tbEUljE_EEESW_SX_SY_S15_S19_S1B_T6_T7_T9_mT8_S1D_bDpT10_ENKUlT_T0_E_clISt17integral_constantIbLb1EES1P_IbLb0EEEEDaS1L_S1M_EUlS1L_E_NS1_11comp_targetILNS1_3genE3ELNS1_11target_archE908ELNS1_3gpuE7ELNS1_3repE0EEENS1_30default_config_static_selectorELNS0_4arch9wavefront6targetE1EEEvSZ_.num_vgpr, 0
	.set _ZN7rocprim17ROCPRIM_400000_NS6detail17trampoline_kernelINS0_13select_configILj256ELj13ELNS0_17block_load_methodE3ELS4_3ELS4_3ELNS0_20block_scan_algorithmE0ELj4294967295EEENS1_25partition_config_selectorILNS1_17partition_subalgoE3EjNS0_10empty_typeEbEEZZNS1_14partition_implILS8_3ELb0ES6_jNS0_17counting_iteratorIjlEEPS9_SE_NS0_5tupleIJPjSE_EEENSF_IJSE_SE_EEES9_SG_JZNS1_25segmented_radix_sort_implINS0_14default_configELb0EPK12hip_bfloat16PSL_PKlPlN2at6native12_GLOBAL__N_18offset_tEEE10hipError_tPvRmT1_PNSt15iterator_traitsISZ_E10value_typeET2_T3_PNS10_IS15_E10value_typeET4_jRbjT5_S1B_jjP12ihipStream_tbEUljE_EEESW_SX_SY_S15_S19_S1B_T6_T7_T9_mT8_S1D_bDpT10_ENKUlT_T0_E_clISt17integral_constantIbLb1EES1P_IbLb0EEEEDaS1L_S1M_EUlS1L_E_NS1_11comp_targetILNS1_3genE3ELNS1_11target_archE908ELNS1_3gpuE7ELNS1_3repE0EEENS1_30default_config_static_selectorELNS0_4arch9wavefront6targetE1EEEvSZ_.num_agpr, 0
	.set _ZN7rocprim17ROCPRIM_400000_NS6detail17trampoline_kernelINS0_13select_configILj256ELj13ELNS0_17block_load_methodE3ELS4_3ELS4_3ELNS0_20block_scan_algorithmE0ELj4294967295EEENS1_25partition_config_selectorILNS1_17partition_subalgoE3EjNS0_10empty_typeEbEEZZNS1_14partition_implILS8_3ELb0ES6_jNS0_17counting_iteratorIjlEEPS9_SE_NS0_5tupleIJPjSE_EEENSF_IJSE_SE_EEES9_SG_JZNS1_25segmented_radix_sort_implINS0_14default_configELb0EPK12hip_bfloat16PSL_PKlPlN2at6native12_GLOBAL__N_18offset_tEEE10hipError_tPvRmT1_PNSt15iterator_traitsISZ_E10value_typeET2_T3_PNS10_IS15_E10value_typeET4_jRbjT5_S1B_jjP12ihipStream_tbEUljE_EEESW_SX_SY_S15_S19_S1B_T6_T7_T9_mT8_S1D_bDpT10_ENKUlT_T0_E_clISt17integral_constantIbLb1EES1P_IbLb0EEEEDaS1L_S1M_EUlS1L_E_NS1_11comp_targetILNS1_3genE3ELNS1_11target_archE908ELNS1_3gpuE7ELNS1_3repE0EEENS1_30default_config_static_selectorELNS0_4arch9wavefront6targetE1EEEvSZ_.numbered_sgpr, 0
	.set _ZN7rocprim17ROCPRIM_400000_NS6detail17trampoline_kernelINS0_13select_configILj256ELj13ELNS0_17block_load_methodE3ELS4_3ELS4_3ELNS0_20block_scan_algorithmE0ELj4294967295EEENS1_25partition_config_selectorILNS1_17partition_subalgoE3EjNS0_10empty_typeEbEEZZNS1_14partition_implILS8_3ELb0ES6_jNS0_17counting_iteratorIjlEEPS9_SE_NS0_5tupleIJPjSE_EEENSF_IJSE_SE_EEES9_SG_JZNS1_25segmented_radix_sort_implINS0_14default_configELb0EPK12hip_bfloat16PSL_PKlPlN2at6native12_GLOBAL__N_18offset_tEEE10hipError_tPvRmT1_PNSt15iterator_traitsISZ_E10value_typeET2_T3_PNS10_IS15_E10value_typeET4_jRbjT5_S1B_jjP12ihipStream_tbEUljE_EEESW_SX_SY_S15_S19_S1B_T6_T7_T9_mT8_S1D_bDpT10_ENKUlT_T0_E_clISt17integral_constantIbLb1EES1P_IbLb0EEEEDaS1L_S1M_EUlS1L_E_NS1_11comp_targetILNS1_3genE3ELNS1_11target_archE908ELNS1_3gpuE7ELNS1_3repE0EEENS1_30default_config_static_selectorELNS0_4arch9wavefront6targetE1EEEvSZ_.num_named_barrier, 0
	.set _ZN7rocprim17ROCPRIM_400000_NS6detail17trampoline_kernelINS0_13select_configILj256ELj13ELNS0_17block_load_methodE3ELS4_3ELS4_3ELNS0_20block_scan_algorithmE0ELj4294967295EEENS1_25partition_config_selectorILNS1_17partition_subalgoE3EjNS0_10empty_typeEbEEZZNS1_14partition_implILS8_3ELb0ES6_jNS0_17counting_iteratorIjlEEPS9_SE_NS0_5tupleIJPjSE_EEENSF_IJSE_SE_EEES9_SG_JZNS1_25segmented_radix_sort_implINS0_14default_configELb0EPK12hip_bfloat16PSL_PKlPlN2at6native12_GLOBAL__N_18offset_tEEE10hipError_tPvRmT1_PNSt15iterator_traitsISZ_E10value_typeET2_T3_PNS10_IS15_E10value_typeET4_jRbjT5_S1B_jjP12ihipStream_tbEUljE_EEESW_SX_SY_S15_S19_S1B_T6_T7_T9_mT8_S1D_bDpT10_ENKUlT_T0_E_clISt17integral_constantIbLb1EES1P_IbLb0EEEEDaS1L_S1M_EUlS1L_E_NS1_11comp_targetILNS1_3genE3ELNS1_11target_archE908ELNS1_3gpuE7ELNS1_3repE0EEENS1_30default_config_static_selectorELNS0_4arch9wavefront6targetE1EEEvSZ_.private_seg_size, 0
	.set _ZN7rocprim17ROCPRIM_400000_NS6detail17trampoline_kernelINS0_13select_configILj256ELj13ELNS0_17block_load_methodE3ELS4_3ELS4_3ELNS0_20block_scan_algorithmE0ELj4294967295EEENS1_25partition_config_selectorILNS1_17partition_subalgoE3EjNS0_10empty_typeEbEEZZNS1_14partition_implILS8_3ELb0ES6_jNS0_17counting_iteratorIjlEEPS9_SE_NS0_5tupleIJPjSE_EEENSF_IJSE_SE_EEES9_SG_JZNS1_25segmented_radix_sort_implINS0_14default_configELb0EPK12hip_bfloat16PSL_PKlPlN2at6native12_GLOBAL__N_18offset_tEEE10hipError_tPvRmT1_PNSt15iterator_traitsISZ_E10value_typeET2_T3_PNS10_IS15_E10value_typeET4_jRbjT5_S1B_jjP12ihipStream_tbEUljE_EEESW_SX_SY_S15_S19_S1B_T6_T7_T9_mT8_S1D_bDpT10_ENKUlT_T0_E_clISt17integral_constantIbLb1EES1P_IbLb0EEEEDaS1L_S1M_EUlS1L_E_NS1_11comp_targetILNS1_3genE3ELNS1_11target_archE908ELNS1_3gpuE7ELNS1_3repE0EEENS1_30default_config_static_selectorELNS0_4arch9wavefront6targetE1EEEvSZ_.uses_vcc, 0
	.set _ZN7rocprim17ROCPRIM_400000_NS6detail17trampoline_kernelINS0_13select_configILj256ELj13ELNS0_17block_load_methodE3ELS4_3ELS4_3ELNS0_20block_scan_algorithmE0ELj4294967295EEENS1_25partition_config_selectorILNS1_17partition_subalgoE3EjNS0_10empty_typeEbEEZZNS1_14partition_implILS8_3ELb0ES6_jNS0_17counting_iteratorIjlEEPS9_SE_NS0_5tupleIJPjSE_EEENSF_IJSE_SE_EEES9_SG_JZNS1_25segmented_radix_sort_implINS0_14default_configELb0EPK12hip_bfloat16PSL_PKlPlN2at6native12_GLOBAL__N_18offset_tEEE10hipError_tPvRmT1_PNSt15iterator_traitsISZ_E10value_typeET2_T3_PNS10_IS15_E10value_typeET4_jRbjT5_S1B_jjP12ihipStream_tbEUljE_EEESW_SX_SY_S15_S19_S1B_T6_T7_T9_mT8_S1D_bDpT10_ENKUlT_T0_E_clISt17integral_constantIbLb1EES1P_IbLb0EEEEDaS1L_S1M_EUlS1L_E_NS1_11comp_targetILNS1_3genE3ELNS1_11target_archE908ELNS1_3gpuE7ELNS1_3repE0EEENS1_30default_config_static_selectorELNS0_4arch9wavefront6targetE1EEEvSZ_.uses_flat_scratch, 0
	.set _ZN7rocprim17ROCPRIM_400000_NS6detail17trampoline_kernelINS0_13select_configILj256ELj13ELNS0_17block_load_methodE3ELS4_3ELS4_3ELNS0_20block_scan_algorithmE0ELj4294967295EEENS1_25partition_config_selectorILNS1_17partition_subalgoE3EjNS0_10empty_typeEbEEZZNS1_14partition_implILS8_3ELb0ES6_jNS0_17counting_iteratorIjlEEPS9_SE_NS0_5tupleIJPjSE_EEENSF_IJSE_SE_EEES9_SG_JZNS1_25segmented_radix_sort_implINS0_14default_configELb0EPK12hip_bfloat16PSL_PKlPlN2at6native12_GLOBAL__N_18offset_tEEE10hipError_tPvRmT1_PNSt15iterator_traitsISZ_E10value_typeET2_T3_PNS10_IS15_E10value_typeET4_jRbjT5_S1B_jjP12ihipStream_tbEUljE_EEESW_SX_SY_S15_S19_S1B_T6_T7_T9_mT8_S1D_bDpT10_ENKUlT_T0_E_clISt17integral_constantIbLb1EES1P_IbLb0EEEEDaS1L_S1M_EUlS1L_E_NS1_11comp_targetILNS1_3genE3ELNS1_11target_archE908ELNS1_3gpuE7ELNS1_3repE0EEENS1_30default_config_static_selectorELNS0_4arch9wavefront6targetE1EEEvSZ_.has_dyn_sized_stack, 0
	.set _ZN7rocprim17ROCPRIM_400000_NS6detail17trampoline_kernelINS0_13select_configILj256ELj13ELNS0_17block_load_methodE3ELS4_3ELS4_3ELNS0_20block_scan_algorithmE0ELj4294967295EEENS1_25partition_config_selectorILNS1_17partition_subalgoE3EjNS0_10empty_typeEbEEZZNS1_14partition_implILS8_3ELb0ES6_jNS0_17counting_iteratorIjlEEPS9_SE_NS0_5tupleIJPjSE_EEENSF_IJSE_SE_EEES9_SG_JZNS1_25segmented_radix_sort_implINS0_14default_configELb0EPK12hip_bfloat16PSL_PKlPlN2at6native12_GLOBAL__N_18offset_tEEE10hipError_tPvRmT1_PNSt15iterator_traitsISZ_E10value_typeET2_T3_PNS10_IS15_E10value_typeET4_jRbjT5_S1B_jjP12ihipStream_tbEUljE_EEESW_SX_SY_S15_S19_S1B_T6_T7_T9_mT8_S1D_bDpT10_ENKUlT_T0_E_clISt17integral_constantIbLb1EES1P_IbLb0EEEEDaS1L_S1M_EUlS1L_E_NS1_11comp_targetILNS1_3genE3ELNS1_11target_archE908ELNS1_3gpuE7ELNS1_3repE0EEENS1_30default_config_static_selectorELNS0_4arch9wavefront6targetE1EEEvSZ_.has_recursion, 0
	.set _ZN7rocprim17ROCPRIM_400000_NS6detail17trampoline_kernelINS0_13select_configILj256ELj13ELNS0_17block_load_methodE3ELS4_3ELS4_3ELNS0_20block_scan_algorithmE0ELj4294967295EEENS1_25partition_config_selectorILNS1_17partition_subalgoE3EjNS0_10empty_typeEbEEZZNS1_14partition_implILS8_3ELb0ES6_jNS0_17counting_iteratorIjlEEPS9_SE_NS0_5tupleIJPjSE_EEENSF_IJSE_SE_EEES9_SG_JZNS1_25segmented_radix_sort_implINS0_14default_configELb0EPK12hip_bfloat16PSL_PKlPlN2at6native12_GLOBAL__N_18offset_tEEE10hipError_tPvRmT1_PNSt15iterator_traitsISZ_E10value_typeET2_T3_PNS10_IS15_E10value_typeET4_jRbjT5_S1B_jjP12ihipStream_tbEUljE_EEESW_SX_SY_S15_S19_S1B_T6_T7_T9_mT8_S1D_bDpT10_ENKUlT_T0_E_clISt17integral_constantIbLb1EES1P_IbLb0EEEEDaS1L_S1M_EUlS1L_E_NS1_11comp_targetILNS1_3genE3ELNS1_11target_archE908ELNS1_3gpuE7ELNS1_3repE0EEENS1_30default_config_static_selectorELNS0_4arch9wavefront6targetE1EEEvSZ_.has_indirect_call, 0
	.section	.AMDGPU.csdata,"",@progbits
; Kernel info:
; codeLenInByte = 0
; TotalNumSgprs: 4
; NumVgprs: 0
; ScratchSize: 0
; MemoryBound: 0
; FloatMode: 240
; IeeeMode: 1
; LDSByteSize: 0 bytes/workgroup (compile time only)
; SGPRBlocks: 0
; VGPRBlocks: 0
; NumSGPRsForWavesPerEU: 4
; NumVGPRsForWavesPerEU: 1
; Occupancy: 10
; WaveLimiterHint : 0
; COMPUTE_PGM_RSRC2:SCRATCH_EN: 0
; COMPUTE_PGM_RSRC2:USER_SGPR: 6
; COMPUTE_PGM_RSRC2:TRAP_HANDLER: 0
; COMPUTE_PGM_RSRC2:TGID_X_EN: 1
; COMPUTE_PGM_RSRC2:TGID_Y_EN: 0
; COMPUTE_PGM_RSRC2:TGID_Z_EN: 0
; COMPUTE_PGM_RSRC2:TIDIG_COMP_CNT: 0
	.section	.text._ZN7rocprim17ROCPRIM_400000_NS6detail17trampoline_kernelINS0_13select_configILj256ELj13ELNS0_17block_load_methodE3ELS4_3ELS4_3ELNS0_20block_scan_algorithmE0ELj4294967295EEENS1_25partition_config_selectorILNS1_17partition_subalgoE3EjNS0_10empty_typeEbEEZZNS1_14partition_implILS8_3ELb0ES6_jNS0_17counting_iteratorIjlEEPS9_SE_NS0_5tupleIJPjSE_EEENSF_IJSE_SE_EEES9_SG_JZNS1_25segmented_radix_sort_implINS0_14default_configELb0EPK12hip_bfloat16PSL_PKlPlN2at6native12_GLOBAL__N_18offset_tEEE10hipError_tPvRmT1_PNSt15iterator_traitsISZ_E10value_typeET2_T3_PNS10_IS15_E10value_typeET4_jRbjT5_S1B_jjP12ihipStream_tbEUljE_EEESW_SX_SY_S15_S19_S1B_T6_T7_T9_mT8_S1D_bDpT10_ENKUlT_T0_E_clISt17integral_constantIbLb1EES1P_IbLb0EEEEDaS1L_S1M_EUlS1L_E_NS1_11comp_targetILNS1_3genE2ELNS1_11target_archE906ELNS1_3gpuE6ELNS1_3repE0EEENS1_30default_config_static_selectorELNS0_4arch9wavefront6targetE1EEEvSZ_,"axG",@progbits,_ZN7rocprim17ROCPRIM_400000_NS6detail17trampoline_kernelINS0_13select_configILj256ELj13ELNS0_17block_load_methodE3ELS4_3ELS4_3ELNS0_20block_scan_algorithmE0ELj4294967295EEENS1_25partition_config_selectorILNS1_17partition_subalgoE3EjNS0_10empty_typeEbEEZZNS1_14partition_implILS8_3ELb0ES6_jNS0_17counting_iteratorIjlEEPS9_SE_NS0_5tupleIJPjSE_EEENSF_IJSE_SE_EEES9_SG_JZNS1_25segmented_radix_sort_implINS0_14default_configELb0EPK12hip_bfloat16PSL_PKlPlN2at6native12_GLOBAL__N_18offset_tEEE10hipError_tPvRmT1_PNSt15iterator_traitsISZ_E10value_typeET2_T3_PNS10_IS15_E10value_typeET4_jRbjT5_S1B_jjP12ihipStream_tbEUljE_EEESW_SX_SY_S15_S19_S1B_T6_T7_T9_mT8_S1D_bDpT10_ENKUlT_T0_E_clISt17integral_constantIbLb1EES1P_IbLb0EEEEDaS1L_S1M_EUlS1L_E_NS1_11comp_targetILNS1_3genE2ELNS1_11target_archE906ELNS1_3gpuE6ELNS1_3repE0EEENS1_30default_config_static_selectorELNS0_4arch9wavefront6targetE1EEEvSZ_,comdat
	.globl	_ZN7rocprim17ROCPRIM_400000_NS6detail17trampoline_kernelINS0_13select_configILj256ELj13ELNS0_17block_load_methodE3ELS4_3ELS4_3ELNS0_20block_scan_algorithmE0ELj4294967295EEENS1_25partition_config_selectorILNS1_17partition_subalgoE3EjNS0_10empty_typeEbEEZZNS1_14partition_implILS8_3ELb0ES6_jNS0_17counting_iteratorIjlEEPS9_SE_NS0_5tupleIJPjSE_EEENSF_IJSE_SE_EEES9_SG_JZNS1_25segmented_radix_sort_implINS0_14default_configELb0EPK12hip_bfloat16PSL_PKlPlN2at6native12_GLOBAL__N_18offset_tEEE10hipError_tPvRmT1_PNSt15iterator_traitsISZ_E10value_typeET2_T3_PNS10_IS15_E10value_typeET4_jRbjT5_S1B_jjP12ihipStream_tbEUljE_EEESW_SX_SY_S15_S19_S1B_T6_T7_T9_mT8_S1D_bDpT10_ENKUlT_T0_E_clISt17integral_constantIbLb1EES1P_IbLb0EEEEDaS1L_S1M_EUlS1L_E_NS1_11comp_targetILNS1_3genE2ELNS1_11target_archE906ELNS1_3gpuE6ELNS1_3repE0EEENS1_30default_config_static_selectorELNS0_4arch9wavefront6targetE1EEEvSZ_ ; -- Begin function _ZN7rocprim17ROCPRIM_400000_NS6detail17trampoline_kernelINS0_13select_configILj256ELj13ELNS0_17block_load_methodE3ELS4_3ELS4_3ELNS0_20block_scan_algorithmE0ELj4294967295EEENS1_25partition_config_selectorILNS1_17partition_subalgoE3EjNS0_10empty_typeEbEEZZNS1_14partition_implILS8_3ELb0ES6_jNS0_17counting_iteratorIjlEEPS9_SE_NS0_5tupleIJPjSE_EEENSF_IJSE_SE_EEES9_SG_JZNS1_25segmented_radix_sort_implINS0_14default_configELb0EPK12hip_bfloat16PSL_PKlPlN2at6native12_GLOBAL__N_18offset_tEEE10hipError_tPvRmT1_PNSt15iterator_traitsISZ_E10value_typeET2_T3_PNS10_IS15_E10value_typeET4_jRbjT5_S1B_jjP12ihipStream_tbEUljE_EEESW_SX_SY_S15_S19_S1B_T6_T7_T9_mT8_S1D_bDpT10_ENKUlT_T0_E_clISt17integral_constantIbLb1EES1P_IbLb0EEEEDaS1L_S1M_EUlS1L_E_NS1_11comp_targetILNS1_3genE2ELNS1_11target_archE906ELNS1_3gpuE6ELNS1_3repE0EEENS1_30default_config_static_selectorELNS0_4arch9wavefront6targetE1EEEvSZ_
	.p2align	8
	.type	_ZN7rocprim17ROCPRIM_400000_NS6detail17trampoline_kernelINS0_13select_configILj256ELj13ELNS0_17block_load_methodE3ELS4_3ELS4_3ELNS0_20block_scan_algorithmE0ELj4294967295EEENS1_25partition_config_selectorILNS1_17partition_subalgoE3EjNS0_10empty_typeEbEEZZNS1_14partition_implILS8_3ELb0ES6_jNS0_17counting_iteratorIjlEEPS9_SE_NS0_5tupleIJPjSE_EEENSF_IJSE_SE_EEES9_SG_JZNS1_25segmented_radix_sort_implINS0_14default_configELb0EPK12hip_bfloat16PSL_PKlPlN2at6native12_GLOBAL__N_18offset_tEEE10hipError_tPvRmT1_PNSt15iterator_traitsISZ_E10value_typeET2_T3_PNS10_IS15_E10value_typeET4_jRbjT5_S1B_jjP12ihipStream_tbEUljE_EEESW_SX_SY_S15_S19_S1B_T6_T7_T9_mT8_S1D_bDpT10_ENKUlT_T0_E_clISt17integral_constantIbLb1EES1P_IbLb0EEEEDaS1L_S1M_EUlS1L_E_NS1_11comp_targetILNS1_3genE2ELNS1_11target_archE906ELNS1_3gpuE6ELNS1_3repE0EEENS1_30default_config_static_selectorELNS0_4arch9wavefront6targetE1EEEvSZ_,@function
_ZN7rocprim17ROCPRIM_400000_NS6detail17trampoline_kernelINS0_13select_configILj256ELj13ELNS0_17block_load_methodE3ELS4_3ELS4_3ELNS0_20block_scan_algorithmE0ELj4294967295EEENS1_25partition_config_selectorILNS1_17partition_subalgoE3EjNS0_10empty_typeEbEEZZNS1_14partition_implILS8_3ELb0ES6_jNS0_17counting_iteratorIjlEEPS9_SE_NS0_5tupleIJPjSE_EEENSF_IJSE_SE_EEES9_SG_JZNS1_25segmented_radix_sort_implINS0_14default_configELb0EPK12hip_bfloat16PSL_PKlPlN2at6native12_GLOBAL__N_18offset_tEEE10hipError_tPvRmT1_PNSt15iterator_traitsISZ_E10value_typeET2_T3_PNS10_IS15_E10value_typeET4_jRbjT5_S1B_jjP12ihipStream_tbEUljE_EEESW_SX_SY_S15_S19_S1B_T6_T7_T9_mT8_S1D_bDpT10_ENKUlT_T0_E_clISt17integral_constantIbLb1EES1P_IbLb0EEEEDaS1L_S1M_EUlS1L_E_NS1_11comp_targetILNS1_3genE2ELNS1_11target_archE906ELNS1_3gpuE6ELNS1_3repE0EEENS1_30default_config_static_selectorELNS0_4arch9wavefront6targetE1EEEvSZ_: ; @_ZN7rocprim17ROCPRIM_400000_NS6detail17trampoline_kernelINS0_13select_configILj256ELj13ELNS0_17block_load_methodE3ELS4_3ELS4_3ELNS0_20block_scan_algorithmE0ELj4294967295EEENS1_25partition_config_selectorILNS1_17partition_subalgoE3EjNS0_10empty_typeEbEEZZNS1_14partition_implILS8_3ELb0ES6_jNS0_17counting_iteratorIjlEEPS9_SE_NS0_5tupleIJPjSE_EEENSF_IJSE_SE_EEES9_SG_JZNS1_25segmented_radix_sort_implINS0_14default_configELb0EPK12hip_bfloat16PSL_PKlPlN2at6native12_GLOBAL__N_18offset_tEEE10hipError_tPvRmT1_PNSt15iterator_traitsISZ_E10value_typeET2_T3_PNS10_IS15_E10value_typeET4_jRbjT5_S1B_jjP12ihipStream_tbEUljE_EEESW_SX_SY_S15_S19_S1B_T6_T7_T9_mT8_S1D_bDpT10_ENKUlT_T0_E_clISt17integral_constantIbLb1EES1P_IbLb0EEEEDaS1L_S1M_EUlS1L_E_NS1_11comp_targetILNS1_3genE2ELNS1_11target_archE906ELNS1_3gpuE6ELNS1_3repE0EEENS1_30default_config_static_selectorELNS0_4arch9wavefront6targetE1EEEvSZ_
; %bb.0:
	s_endpgm
	.section	.rodata,"a",@progbits
	.p2align	6, 0x0
	.amdhsa_kernel _ZN7rocprim17ROCPRIM_400000_NS6detail17trampoline_kernelINS0_13select_configILj256ELj13ELNS0_17block_load_methodE3ELS4_3ELS4_3ELNS0_20block_scan_algorithmE0ELj4294967295EEENS1_25partition_config_selectorILNS1_17partition_subalgoE3EjNS0_10empty_typeEbEEZZNS1_14partition_implILS8_3ELb0ES6_jNS0_17counting_iteratorIjlEEPS9_SE_NS0_5tupleIJPjSE_EEENSF_IJSE_SE_EEES9_SG_JZNS1_25segmented_radix_sort_implINS0_14default_configELb0EPK12hip_bfloat16PSL_PKlPlN2at6native12_GLOBAL__N_18offset_tEEE10hipError_tPvRmT1_PNSt15iterator_traitsISZ_E10value_typeET2_T3_PNS10_IS15_E10value_typeET4_jRbjT5_S1B_jjP12ihipStream_tbEUljE_EEESW_SX_SY_S15_S19_S1B_T6_T7_T9_mT8_S1D_bDpT10_ENKUlT_T0_E_clISt17integral_constantIbLb1EES1P_IbLb0EEEEDaS1L_S1M_EUlS1L_E_NS1_11comp_targetILNS1_3genE2ELNS1_11target_archE906ELNS1_3gpuE6ELNS1_3repE0EEENS1_30default_config_static_selectorELNS0_4arch9wavefront6targetE1EEEvSZ_
		.amdhsa_group_segment_fixed_size 0
		.amdhsa_private_segment_fixed_size 0
		.amdhsa_kernarg_size 144
		.amdhsa_user_sgpr_count 6
		.amdhsa_user_sgpr_private_segment_buffer 1
		.amdhsa_user_sgpr_dispatch_ptr 0
		.amdhsa_user_sgpr_queue_ptr 0
		.amdhsa_user_sgpr_kernarg_segment_ptr 1
		.amdhsa_user_sgpr_dispatch_id 0
		.amdhsa_user_sgpr_flat_scratch_init 0
		.amdhsa_user_sgpr_private_segment_size 0
		.amdhsa_uses_dynamic_stack 0
		.amdhsa_system_sgpr_private_segment_wavefront_offset 0
		.amdhsa_system_sgpr_workgroup_id_x 1
		.amdhsa_system_sgpr_workgroup_id_y 0
		.amdhsa_system_sgpr_workgroup_id_z 0
		.amdhsa_system_sgpr_workgroup_info 0
		.amdhsa_system_vgpr_workitem_id 0
		.amdhsa_next_free_vgpr 1
		.amdhsa_next_free_sgpr 0
		.amdhsa_reserve_vcc 0
		.amdhsa_reserve_flat_scratch 0
		.amdhsa_float_round_mode_32 0
		.amdhsa_float_round_mode_16_64 0
		.amdhsa_float_denorm_mode_32 3
		.amdhsa_float_denorm_mode_16_64 3
		.amdhsa_dx10_clamp 1
		.amdhsa_ieee_mode 1
		.amdhsa_fp16_overflow 0
		.amdhsa_exception_fp_ieee_invalid_op 0
		.amdhsa_exception_fp_denorm_src 0
		.amdhsa_exception_fp_ieee_div_zero 0
		.amdhsa_exception_fp_ieee_overflow 0
		.amdhsa_exception_fp_ieee_underflow 0
		.amdhsa_exception_fp_ieee_inexact 0
		.amdhsa_exception_int_div_zero 0
	.end_amdhsa_kernel
	.section	.text._ZN7rocprim17ROCPRIM_400000_NS6detail17trampoline_kernelINS0_13select_configILj256ELj13ELNS0_17block_load_methodE3ELS4_3ELS4_3ELNS0_20block_scan_algorithmE0ELj4294967295EEENS1_25partition_config_selectorILNS1_17partition_subalgoE3EjNS0_10empty_typeEbEEZZNS1_14partition_implILS8_3ELb0ES6_jNS0_17counting_iteratorIjlEEPS9_SE_NS0_5tupleIJPjSE_EEENSF_IJSE_SE_EEES9_SG_JZNS1_25segmented_radix_sort_implINS0_14default_configELb0EPK12hip_bfloat16PSL_PKlPlN2at6native12_GLOBAL__N_18offset_tEEE10hipError_tPvRmT1_PNSt15iterator_traitsISZ_E10value_typeET2_T3_PNS10_IS15_E10value_typeET4_jRbjT5_S1B_jjP12ihipStream_tbEUljE_EEESW_SX_SY_S15_S19_S1B_T6_T7_T9_mT8_S1D_bDpT10_ENKUlT_T0_E_clISt17integral_constantIbLb1EES1P_IbLb0EEEEDaS1L_S1M_EUlS1L_E_NS1_11comp_targetILNS1_3genE2ELNS1_11target_archE906ELNS1_3gpuE6ELNS1_3repE0EEENS1_30default_config_static_selectorELNS0_4arch9wavefront6targetE1EEEvSZ_,"axG",@progbits,_ZN7rocprim17ROCPRIM_400000_NS6detail17trampoline_kernelINS0_13select_configILj256ELj13ELNS0_17block_load_methodE3ELS4_3ELS4_3ELNS0_20block_scan_algorithmE0ELj4294967295EEENS1_25partition_config_selectorILNS1_17partition_subalgoE3EjNS0_10empty_typeEbEEZZNS1_14partition_implILS8_3ELb0ES6_jNS0_17counting_iteratorIjlEEPS9_SE_NS0_5tupleIJPjSE_EEENSF_IJSE_SE_EEES9_SG_JZNS1_25segmented_radix_sort_implINS0_14default_configELb0EPK12hip_bfloat16PSL_PKlPlN2at6native12_GLOBAL__N_18offset_tEEE10hipError_tPvRmT1_PNSt15iterator_traitsISZ_E10value_typeET2_T3_PNS10_IS15_E10value_typeET4_jRbjT5_S1B_jjP12ihipStream_tbEUljE_EEESW_SX_SY_S15_S19_S1B_T6_T7_T9_mT8_S1D_bDpT10_ENKUlT_T0_E_clISt17integral_constantIbLb1EES1P_IbLb0EEEEDaS1L_S1M_EUlS1L_E_NS1_11comp_targetILNS1_3genE2ELNS1_11target_archE906ELNS1_3gpuE6ELNS1_3repE0EEENS1_30default_config_static_selectorELNS0_4arch9wavefront6targetE1EEEvSZ_,comdat
.Lfunc_end2037:
	.size	_ZN7rocprim17ROCPRIM_400000_NS6detail17trampoline_kernelINS0_13select_configILj256ELj13ELNS0_17block_load_methodE3ELS4_3ELS4_3ELNS0_20block_scan_algorithmE0ELj4294967295EEENS1_25partition_config_selectorILNS1_17partition_subalgoE3EjNS0_10empty_typeEbEEZZNS1_14partition_implILS8_3ELb0ES6_jNS0_17counting_iteratorIjlEEPS9_SE_NS0_5tupleIJPjSE_EEENSF_IJSE_SE_EEES9_SG_JZNS1_25segmented_radix_sort_implINS0_14default_configELb0EPK12hip_bfloat16PSL_PKlPlN2at6native12_GLOBAL__N_18offset_tEEE10hipError_tPvRmT1_PNSt15iterator_traitsISZ_E10value_typeET2_T3_PNS10_IS15_E10value_typeET4_jRbjT5_S1B_jjP12ihipStream_tbEUljE_EEESW_SX_SY_S15_S19_S1B_T6_T7_T9_mT8_S1D_bDpT10_ENKUlT_T0_E_clISt17integral_constantIbLb1EES1P_IbLb0EEEEDaS1L_S1M_EUlS1L_E_NS1_11comp_targetILNS1_3genE2ELNS1_11target_archE906ELNS1_3gpuE6ELNS1_3repE0EEENS1_30default_config_static_selectorELNS0_4arch9wavefront6targetE1EEEvSZ_, .Lfunc_end2037-_ZN7rocprim17ROCPRIM_400000_NS6detail17trampoline_kernelINS0_13select_configILj256ELj13ELNS0_17block_load_methodE3ELS4_3ELS4_3ELNS0_20block_scan_algorithmE0ELj4294967295EEENS1_25partition_config_selectorILNS1_17partition_subalgoE3EjNS0_10empty_typeEbEEZZNS1_14partition_implILS8_3ELb0ES6_jNS0_17counting_iteratorIjlEEPS9_SE_NS0_5tupleIJPjSE_EEENSF_IJSE_SE_EEES9_SG_JZNS1_25segmented_radix_sort_implINS0_14default_configELb0EPK12hip_bfloat16PSL_PKlPlN2at6native12_GLOBAL__N_18offset_tEEE10hipError_tPvRmT1_PNSt15iterator_traitsISZ_E10value_typeET2_T3_PNS10_IS15_E10value_typeET4_jRbjT5_S1B_jjP12ihipStream_tbEUljE_EEESW_SX_SY_S15_S19_S1B_T6_T7_T9_mT8_S1D_bDpT10_ENKUlT_T0_E_clISt17integral_constantIbLb1EES1P_IbLb0EEEEDaS1L_S1M_EUlS1L_E_NS1_11comp_targetILNS1_3genE2ELNS1_11target_archE906ELNS1_3gpuE6ELNS1_3repE0EEENS1_30default_config_static_selectorELNS0_4arch9wavefront6targetE1EEEvSZ_
                                        ; -- End function
	.set _ZN7rocprim17ROCPRIM_400000_NS6detail17trampoline_kernelINS0_13select_configILj256ELj13ELNS0_17block_load_methodE3ELS4_3ELS4_3ELNS0_20block_scan_algorithmE0ELj4294967295EEENS1_25partition_config_selectorILNS1_17partition_subalgoE3EjNS0_10empty_typeEbEEZZNS1_14partition_implILS8_3ELb0ES6_jNS0_17counting_iteratorIjlEEPS9_SE_NS0_5tupleIJPjSE_EEENSF_IJSE_SE_EEES9_SG_JZNS1_25segmented_radix_sort_implINS0_14default_configELb0EPK12hip_bfloat16PSL_PKlPlN2at6native12_GLOBAL__N_18offset_tEEE10hipError_tPvRmT1_PNSt15iterator_traitsISZ_E10value_typeET2_T3_PNS10_IS15_E10value_typeET4_jRbjT5_S1B_jjP12ihipStream_tbEUljE_EEESW_SX_SY_S15_S19_S1B_T6_T7_T9_mT8_S1D_bDpT10_ENKUlT_T0_E_clISt17integral_constantIbLb1EES1P_IbLb0EEEEDaS1L_S1M_EUlS1L_E_NS1_11comp_targetILNS1_3genE2ELNS1_11target_archE906ELNS1_3gpuE6ELNS1_3repE0EEENS1_30default_config_static_selectorELNS0_4arch9wavefront6targetE1EEEvSZ_.num_vgpr, 0
	.set _ZN7rocprim17ROCPRIM_400000_NS6detail17trampoline_kernelINS0_13select_configILj256ELj13ELNS0_17block_load_methodE3ELS4_3ELS4_3ELNS0_20block_scan_algorithmE0ELj4294967295EEENS1_25partition_config_selectorILNS1_17partition_subalgoE3EjNS0_10empty_typeEbEEZZNS1_14partition_implILS8_3ELb0ES6_jNS0_17counting_iteratorIjlEEPS9_SE_NS0_5tupleIJPjSE_EEENSF_IJSE_SE_EEES9_SG_JZNS1_25segmented_radix_sort_implINS0_14default_configELb0EPK12hip_bfloat16PSL_PKlPlN2at6native12_GLOBAL__N_18offset_tEEE10hipError_tPvRmT1_PNSt15iterator_traitsISZ_E10value_typeET2_T3_PNS10_IS15_E10value_typeET4_jRbjT5_S1B_jjP12ihipStream_tbEUljE_EEESW_SX_SY_S15_S19_S1B_T6_T7_T9_mT8_S1D_bDpT10_ENKUlT_T0_E_clISt17integral_constantIbLb1EES1P_IbLb0EEEEDaS1L_S1M_EUlS1L_E_NS1_11comp_targetILNS1_3genE2ELNS1_11target_archE906ELNS1_3gpuE6ELNS1_3repE0EEENS1_30default_config_static_selectorELNS0_4arch9wavefront6targetE1EEEvSZ_.num_agpr, 0
	.set _ZN7rocprim17ROCPRIM_400000_NS6detail17trampoline_kernelINS0_13select_configILj256ELj13ELNS0_17block_load_methodE3ELS4_3ELS4_3ELNS0_20block_scan_algorithmE0ELj4294967295EEENS1_25partition_config_selectorILNS1_17partition_subalgoE3EjNS0_10empty_typeEbEEZZNS1_14partition_implILS8_3ELb0ES6_jNS0_17counting_iteratorIjlEEPS9_SE_NS0_5tupleIJPjSE_EEENSF_IJSE_SE_EEES9_SG_JZNS1_25segmented_radix_sort_implINS0_14default_configELb0EPK12hip_bfloat16PSL_PKlPlN2at6native12_GLOBAL__N_18offset_tEEE10hipError_tPvRmT1_PNSt15iterator_traitsISZ_E10value_typeET2_T3_PNS10_IS15_E10value_typeET4_jRbjT5_S1B_jjP12ihipStream_tbEUljE_EEESW_SX_SY_S15_S19_S1B_T6_T7_T9_mT8_S1D_bDpT10_ENKUlT_T0_E_clISt17integral_constantIbLb1EES1P_IbLb0EEEEDaS1L_S1M_EUlS1L_E_NS1_11comp_targetILNS1_3genE2ELNS1_11target_archE906ELNS1_3gpuE6ELNS1_3repE0EEENS1_30default_config_static_selectorELNS0_4arch9wavefront6targetE1EEEvSZ_.numbered_sgpr, 0
	.set _ZN7rocprim17ROCPRIM_400000_NS6detail17trampoline_kernelINS0_13select_configILj256ELj13ELNS0_17block_load_methodE3ELS4_3ELS4_3ELNS0_20block_scan_algorithmE0ELj4294967295EEENS1_25partition_config_selectorILNS1_17partition_subalgoE3EjNS0_10empty_typeEbEEZZNS1_14partition_implILS8_3ELb0ES6_jNS0_17counting_iteratorIjlEEPS9_SE_NS0_5tupleIJPjSE_EEENSF_IJSE_SE_EEES9_SG_JZNS1_25segmented_radix_sort_implINS0_14default_configELb0EPK12hip_bfloat16PSL_PKlPlN2at6native12_GLOBAL__N_18offset_tEEE10hipError_tPvRmT1_PNSt15iterator_traitsISZ_E10value_typeET2_T3_PNS10_IS15_E10value_typeET4_jRbjT5_S1B_jjP12ihipStream_tbEUljE_EEESW_SX_SY_S15_S19_S1B_T6_T7_T9_mT8_S1D_bDpT10_ENKUlT_T0_E_clISt17integral_constantIbLb1EES1P_IbLb0EEEEDaS1L_S1M_EUlS1L_E_NS1_11comp_targetILNS1_3genE2ELNS1_11target_archE906ELNS1_3gpuE6ELNS1_3repE0EEENS1_30default_config_static_selectorELNS0_4arch9wavefront6targetE1EEEvSZ_.num_named_barrier, 0
	.set _ZN7rocprim17ROCPRIM_400000_NS6detail17trampoline_kernelINS0_13select_configILj256ELj13ELNS0_17block_load_methodE3ELS4_3ELS4_3ELNS0_20block_scan_algorithmE0ELj4294967295EEENS1_25partition_config_selectorILNS1_17partition_subalgoE3EjNS0_10empty_typeEbEEZZNS1_14partition_implILS8_3ELb0ES6_jNS0_17counting_iteratorIjlEEPS9_SE_NS0_5tupleIJPjSE_EEENSF_IJSE_SE_EEES9_SG_JZNS1_25segmented_radix_sort_implINS0_14default_configELb0EPK12hip_bfloat16PSL_PKlPlN2at6native12_GLOBAL__N_18offset_tEEE10hipError_tPvRmT1_PNSt15iterator_traitsISZ_E10value_typeET2_T3_PNS10_IS15_E10value_typeET4_jRbjT5_S1B_jjP12ihipStream_tbEUljE_EEESW_SX_SY_S15_S19_S1B_T6_T7_T9_mT8_S1D_bDpT10_ENKUlT_T0_E_clISt17integral_constantIbLb1EES1P_IbLb0EEEEDaS1L_S1M_EUlS1L_E_NS1_11comp_targetILNS1_3genE2ELNS1_11target_archE906ELNS1_3gpuE6ELNS1_3repE0EEENS1_30default_config_static_selectorELNS0_4arch9wavefront6targetE1EEEvSZ_.private_seg_size, 0
	.set _ZN7rocprim17ROCPRIM_400000_NS6detail17trampoline_kernelINS0_13select_configILj256ELj13ELNS0_17block_load_methodE3ELS4_3ELS4_3ELNS0_20block_scan_algorithmE0ELj4294967295EEENS1_25partition_config_selectorILNS1_17partition_subalgoE3EjNS0_10empty_typeEbEEZZNS1_14partition_implILS8_3ELb0ES6_jNS0_17counting_iteratorIjlEEPS9_SE_NS0_5tupleIJPjSE_EEENSF_IJSE_SE_EEES9_SG_JZNS1_25segmented_radix_sort_implINS0_14default_configELb0EPK12hip_bfloat16PSL_PKlPlN2at6native12_GLOBAL__N_18offset_tEEE10hipError_tPvRmT1_PNSt15iterator_traitsISZ_E10value_typeET2_T3_PNS10_IS15_E10value_typeET4_jRbjT5_S1B_jjP12ihipStream_tbEUljE_EEESW_SX_SY_S15_S19_S1B_T6_T7_T9_mT8_S1D_bDpT10_ENKUlT_T0_E_clISt17integral_constantIbLb1EES1P_IbLb0EEEEDaS1L_S1M_EUlS1L_E_NS1_11comp_targetILNS1_3genE2ELNS1_11target_archE906ELNS1_3gpuE6ELNS1_3repE0EEENS1_30default_config_static_selectorELNS0_4arch9wavefront6targetE1EEEvSZ_.uses_vcc, 0
	.set _ZN7rocprim17ROCPRIM_400000_NS6detail17trampoline_kernelINS0_13select_configILj256ELj13ELNS0_17block_load_methodE3ELS4_3ELS4_3ELNS0_20block_scan_algorithmE0ELj4294967295EEENS1_25partition_config_selectorILNS1_17partition_subalgoE3EjNS0_10empty_typeEbEEZZNS1_14partition_implILS8_3ELb0ES6_jNS0_17counting_iteratorIjlEEPS9_SE_NS0_5tupleIJPjSE_EEENSF_IJSE_SE_EEES9_SG_JZNS1_25segmented_radix_sort_implINS0_14default_configELb0EPK12hip_bfloat16PSL_PKlPlN2at6native12_GLOBAL__N_18offset_tEEE10hipError_tPvRmT1_PNSt15iterator_traitsISZ_E10value_typeET2_T3_PNS10_IS15_E10value_typeET4_jRbjT5_S1B_jjP12ihipStream_tbEUljE_EEESW_SX_SY_S15_S19_S1B_T6_T7_T9_mT8_S1D_bDpT10_ENKUlT_T0_E_clISt17integral_constantIbLb1EES1P_IbLb0EEEEDaS1L_S1M_EUlS1L_E_NS1_11comp_targetILNS1_3genE2ELNS1_11target_archE906ELNS1_3gpuE6ELNS1_3repE0EEENS1_30default_config_static_selectorELNS0_4arch9wavefront6targetE1EEEvSZ_.uses_flat_scratch, 0
	.set _ZN7rocprim17ROCPRIM_400000_NS6detail17trampoline_kernelINS0_13select_configILj256ELj13ELNS0_17block_load_methodE3ELS4_3ELS4_3ELNS0_20block_scan_algorithmE0ELj4294967295EEENS1_25partition_config_selectorILNS1_17partition_subalgoE3EjNS0_10empty_typeEbEEZZNS1_14partition_implILS8_3ELb0ES6_jNS0_17counting_iteratorIjlEEPS9_SE_NS0_5tupleIJPjSE_EEENSF_IJSE_SE_EEES9_SG_JZNS1_25segmented_radix_sort_implINS0_14default_configELb0EPK12hip_bfloat16PSL_PKlPlN2at6native12_GLOBAL__N_18offset_tEEE10hipError_tPvRmT1_PNSt15iterator_traitsISZ_E10value_typeET2_T3_PNS10_IS15_E10value_typeET4_jRbjT5_S1B_jjP12ihipStream_tbEUljE_EEESW_SX_SY_S15_S19_S1B_T6_T7_T9_mT8_S1D_bDpT10_ENKUlT_T0_E_clISt17integral_constantIbLb1EES1P_IbLb0EEEEDaS1L_S1M_EUlS1L_E_NS1_11comp_targetILNS1_3genE2ELNS1_11target_archE906ELNS1_3gpuE6ELNS1_3repE0EEENS1_30default_config_static_selectorELNS0_4arch9wavefront6targetE1EEEvSZ_.has_dyn_sized_stack, 0
	.set _ZN7rocprim17ROCPRIM_400000_NS6detail17trampoline_kernelINS0_13select_configILj256ELj13ELNS0_17block_load_methodE3ELS4_3ELS4_3ELNS0_20block_scan_algorithmE0ELj4294967295EEENS1_25partition_config_selectorILNS1_17partition_subalgoE3EjNS0_10empty_typeEbEEZZNS1_14partition_implILS8_3ELb0ES6_jNS0_17counting_iteratorIjlEEPS9_SE_NS0_5tupleIJPjSE_EEENSF_IJSE_SE_EEES9_SG_JZNS1_25segmented_radix_sort_implINS0_14default_configELb0EPK12hip_bfloat16PSL_PKlPlN2at6native12_GLOBAL__N_18offset_tEEE10hipError_tPvRmT1_PNSt15iterator_traitsISZ_E10value_typeET2_T3_PNS10_IS15_E10value_typeET4_jRbjT5_S1B_jjP12ihipStream_tbEUljE_EEESW_SX_SY_S15_S19_S1B_T6_T7_T9_mT8_S1D_bDpT10_ENKUlT_T0_E_clISt17integral_constantIbLb1EES1P_IbLb0EEEEDaS1L_S1M_EUlS1L_E_NS1_11comp_targetILNS1_3genE2ELNS1_11target_archE906ELNS1_3gpuE6ELNS1_3repE0EEENS1_30default_config_static_selectorELNS0_4arch9wavefront6targetE1EEEvSZ_.has_recursion, 0
	.set _ZN7rocprim17ROCPRIM_400000_NS6detail17trampoline_kernelINS0_13select_configILj256ELj13ELNS0_17block_load_methodE3ELS4_3ELS4_3ELNS0_20block_scan_algorithmE0ELj4294967295EEENS1_25partition_config_selectorILNS1_17partition_subalgoE3EjNS0_10empty_typeEbEEZZNS1_14partition_implILS8_3ELb0ES6_jNS0_17counting_iteratorIjlEEPS9_SE_NS0_5tupleIJPjSE_EEENSF_IJSE_SE_EEES9_SG_JZNS1_25segmented_radix_sort_implINS0_14default_configELb0EPK12hip_bfloat16PSL_PKlPlN2at6native12_GLOBAL__N_18offset_tEEE10hipError_tPvRmT1_PNSt15iterator_traitsISZ_E10value_typeET2_T3_PNS10_IS15_E10value_typeET4_jRbjT5_S1B_jjP12ihipStream_tbEUljE_EEESW_SX_SY_S15_S19_S1B_T6_T7_T9_mT8_S1D_bDpT10_ENKUlT_T0_E_clISt17integral_constantIbLb1EES1P_IbLb0EEEEDaS1L_S1M_EUlS1L_E_NS1_11comp_targetILNS1_3genE2ELNS1_11target_archE906ELNS1_3gpuE6ELNS1_3repE0EEENS1_30default_config_static_selectorELNS0_4arch9wavefront6targetE1EEEvSZ_.has_indirect_call, 0
	.section	.AMDGPU.csdata,"",@progbits
; Kernel info:
; codeLenInByte = 4
; TotalNumSgprs: 4
; NumVgprs: 0
; ScratchSize: 0
; MemoryBound: 0
; FloatMode: 240
; IeeeMode: 1
; LDSByteSize: 0 bytes/workgroup (compile time only)
; SGPRBlocks: 0
; VGPRBlocks: 0
; NumSGPRsForWavesPerEU: 4
; NumVGPRsForWavesPerEU: 1
; Occupancy: 10
; WaveLimiterHint : 0
; COMPUTE_PGM_RSRC2:SCRATCH_EN: 0
; COMPUTE_PGM_RSRC2:USER_SGPR: 6
; COMPUTE_PGM_RSRC2:TRAP_HANDLER: 0
; COMPUTE_PGM_RSRC2:TGID_X_EN: 1
; COMPUTE_PGM_RSRC2:TGID_Y_EN: 0
; COMPUTE_PGM_RSRC2:TGID_Z_EN: 0
; COMPUTE_PGM_RSRC2:TIDIG_COMP_CNT: 0
	.section	.text._ZN7rocprim17ROCPRIM_400000_NS6detail17trampoline_kernelINS0_13select_configILj256ELj13ELNS0_17block_load_methodE3ELS4_3ELS4_3ELNS0_20block_scan_algorithmE0ELj4294967295EEENS1_25partition_config_selectorILNS1_17partition_subalgoE3EjNS0_10empty_typeEbEEZZNS1_14partition_implILS8_3ELb0ES6_jNS0_17counting_iteratorIjlEEPS9_SE_NS0_5tupleIJPjSE_EEENSF_IJSE_SE_EEES9_SG_JZNS1_25segmented_radix_sort_implINS0_14default_configELb0EPK12hip_bfloat16PSL_PKlPlN2at6native12_GLOBAL__N_18offset_tEEE10hipError_tPvRmT1_PNSt15iterator_traitsISZ_E10value_typeET2_T3_PNS10_IS15_E10value_typeET4_jRbjT5_S1B_jjP12ihipStream_tbEUljE_EEESW_SX_SY_S15_S19_S1B_T6_T7_T9_mT8_S1D_bDpT10_ENKUlT_T0_E_clISt17integral_constantIbLb1EES1P_IbLb0EEEEDaS1L_S1M_EUlS1L_E_NS1_11comp_targetILNS1_3genE10ELNS1_11target_archE1200ELNS1_3gpuE4ELNS1_3repE0EEENS1_30default_config_static_selectorELNS0_4arch9wavefront6targetE1EEEvSZ_,"axG",@progbits,_ZN7rocprim17ROCPRIM_400000_NS6detail17trampoline_kernelINS0_13select_configILj256ELj13ELNS0_17block_load_methodE3ELS4_3ELS4_3ELNS0_20block_scan_algorithmE0ELj4294967295EEENS1_25partition_config_selectorILNS1_17partition_subalgoE3EjNS0_10empty_typeEbEEZZNS1_14partition_implILS8_3ELb0ES6_jNS0_17counting_iteratorIjlEEPS9_SE_NS0_5tupleIJPjSE_EEENSF_IJSE_SE_EEES9_SG_JZNS1_25segmented_radix_sort_implINS0_14default_configELb0EPK12hip_bfloat16PSL_PKlPlN2at6native12_GLOBAL__N_18offset_tEEE10hipError_tPvRmT1_PNSt15iterator_traitsISZ_E10value_typeET2_T3_PNS10_IS15_E10value_typeET4_jRbjT5_S1B_jjP12ihipStream_tbEUljE_EEESW_SX_SY_S15_S19_S1B_T6_T7_T9_mT8_S1D_bDpT10_ENKUlT_T0_E_clISt17integral_constantIbLb1EES1P_IbLb0EEEEDaS1L_S1M_EUlS1L_E_NS1_11comp_targetILNS1_3genE10ELNS1_11target_archE1200ELNS1_3gpuE4ELNS1_3repE0EEENS1_30default_config_static_selectorELNS0_4arch9wavefront6targetE1EEEvSZ_,comdat
	.globl	_ZN7rocprim17ROCPRIM_400000_NS6detail17trampoline_kernelINS0_13select_configILj256ELj13ELNS0_17block_load_methodE3ELS4_3ELS4_3ELNS0_20block_scan_algorithmE0ELj4294967295EEENS1_25partition_config_selectorILNS1_17partition_subalgoE3EjNS0_10empty_typeEbEEZZNS1_14partition_implILS8_3ELb0ES6_jNS0_17counting_iteratorIjlEEPS9_SE_NS0_5tupleIJPjSE_EEENSF_IJSE_SE_EEES9_SG_JZNS1_25segmented_radix_sort_implINS0_14default_configELb0EPK12hip_bfloat16PSL_PKlPlN2at6native12_GLOBAL__N_18offset_tEEE10hipError_tPvRmT1_PNSt15iterator_traitsISZ_E10value_typeET2_T3_PNS10_IS15_E10value_typeET4_jRbjT5_S1B_jjP12ihipStream_tbEUljE_EEESW_SX_SY_S15_S19_S1B_T6_T7_T9_mT8_S1D_bDpT10_ENKUlT_T0_E_clISt17integral_constantIbLb1EES1P_IbLb0EEEEDaS1L_S1M_EUlS1L_E_NS1_11comp_targetILNS1_3genE10ELNS1_11target_archE1200ELNS1_3gpuE4ELNS1_3repE0EEENS1_30default_config_static_selectorELNS0_4arch9wavefront6targetE1EEEvSZ_ ; -- Begin function _ZN7rocprim17ROCPRIM_400000_NS6detail17trampoline_kernelINS0_13select_configILj256ELj13ELNS0_17block_load_methodE3ELS4_3ELS4_3ELNS0_20block_scan_algorithmE0ELj4294967295EEENS1_25partition_config_selectorILNS1_17partition_subalgoE3EjNS0_10empty_typeEbEEZZNS1_14partition_implILS8_3ELb0ES6_jNS0_17counting_iteratorIjlEEPS9_SE_NS0_5tupleIJPjSE_EEENSF_IJSE_SE_EEES9_SG_JZNS1_25segmented_radix_sort_implINS0_14default_configELb0EPK12hip_bfloat16PSL_PKlPlN2at6native12_GLOBAL__N_18offset_tEEE10hipError_tPvRmT1_PNSt15iterator_traitsISZ_E10value_typeET2_T3_PNS10_IS15_E10value_typeET4_jRbjT5_S1B_jjP12ihipStream_tbEUljE_EEESW_SX_SY_S15_S19_S1B_T6_T7_T9_mT8_S1D_bDpT10_ENKUlT_T0_E_clISt17integral_constantIbLb1EES1P_IbLb0EEEEDaS1L_S1M_EUlS1L_E_NS1_11comp_targetILNS1_3genE10ELNS1_11target_archE1200ELNS1_3gpuE4ELNS1_3repE0EEENS1_30default_config_static_selectorELNS0_4arch9wavefront6targetE1EEEvSZ_
	.p2align	8
	.type	_ZN7rocprim17ROCPRIM_400000_NS6detail17trampoline_kernelINS0_13select_configILj256ELj13ELNS0_17block_load_methodE3ELS4_3ELS4_3ELNS0_20block_scan_algorithmE0ELj4294967295EEENS1_25partition_config_selectorILNS1_17partition_subalgoE3EjNS0_10empty_typeEbEEZZNS1_14partition_implILS8_3ELb0ES6_jNS0_17counting_iteratorIjlEEPS9_SE_NS0_5tupleIJPjSE_EEENSF_IJSE_SE_EEES9_SG_JZNS1_25segmented_radix_sort_implINS0_14default_configELb0EPK12hip_bfloat16PSL_PKlPlN2at6native12_GLOBAL__N_18offset_tEEE10hipError_tPvRmT1_PNSt15iterator_traitsISZ_E10value_typeET2_T3_PNS10_IS15_E10value_typeET4_jRbjT5_S1B_jjP12ihipStream_tbEUljE_EEESW_SX_SY_S15_S19_S1B_T6_T7_T9_mT8_S1D_bDpT10_ENKUlT_T0_E_clISt17integral_constantIbLb1EES1P_IbLb0EEEEDaS1L_S1M_EUlS1L_E_NS1_11comp_targetILNS1_3genE10ELNS1_11target_archE1200ELNS1_3gpuE4ELNS1_3repE0EEENS1_30default_config_static_selectorELNS0_4arch9wavefront6targetE1EEEvSZ_,@function
_ZN7rocprim17ROCPRIM_400000_NS6detail17trampoline_kernelINS0_13select_configILj256ELj13ELNS0_17block_load_methodE3ELS4_3ELS4_3ELNS0_20block_scan_algorithmE0ELj4294967295EEENS1_25partition_config_selectorILNS1_17partition_subalgoE3EjNS0_10empty_typeEbEEZZNS1_14partition_implILS8_3ELb0ES6_jNS0_17counting_iteratorIjlEEPS9_SE_NS0_5tupleIJPjSE_EEENSF_IJSE_SE_EEES9_SG_JZNS1_25segmented_radix_sort_implINS0_14default_configELb0EPK12hip_bfloat16PSL_PKlPlN2at6native12_GLOBAL__N_18offset_tEEE10hipError_tPvRmT1_PNSt15iterator_traitsISZ_E10value_typeET2_T3_PNS10_IS15_E10value_typeET4_jRbjT5_S1B_jjP12ihipStream_tbEUljE_EEESW_SX_SY_S15_S19_S1B_T6_T7_T9_mT8_S1D_bDpT10_ENKUlT_T0_E_clISt17integral_constantIbLb1EES1P_IbLb0EEEEDaS1L_S1M_EUlS1L_E_NS1_11comp_targetILNS1_3genE10ELNS1_11target_archE1200ELNS1_3gpuE4ELNS1_3repE0EEENS1_30default_config_static_selectorELNS0_4arch9wavefront6targetE1EEEvSZ_: ; @_ZN7rocprim17ROCPRIM_400000_NS6detail17trampoline_kernelINS0_13select_configILj256ELj13ELNS0_17block_load_methodE3ELS4_3ELS4_3ELNS0_20block_scan_algorithmE0ELj4294967295EEENS1_25partition_config_selectorILNS1_17partition_subalgoE3EjNS0_10empty_typeEbEEZZNS1_14partition_implILS8_3ELb0ES6_jNS0_17counting_iteratorIjlEEPS9_SE_NS0_5tupleIJPjSE_EEENSF_IJSE_SE_EEES9_SG_JZNS1_25segmented_radix_sort_implINS0_14default_configELb0EPK12hip_bfloat16PSL_PKlPlN2at6native12_GLOBAL__N_18offset_tEEE10hipError_tPvRmT1_PNSt15iterator_traitsISZ_E10value_typeET2_T3_PNS10_IS15_E10value_typeET4_jRbjT5_S1B_jjP12ihipStream_tbEUljE_EEESW_SX_SY_S15_S19_S1B_T6_T7_T9_mT8_S1D_bDpT10_ENKUlT_T0_E_clISt17integral_constantIbLb1EES1P_IbLb0EEEEDaS1L_S1M_EUlS1L_E_NS1_11comp_targetILNS1_3genE10ELNS1_11target_archE1200ELNS1_3gpuE4ELNS1_3repE0EEENS1_30default_config_static_selectorELNS0_4arch9wavefront6targetE1EEEvSZ_
; %bb.0:
	.section	.rodata,"a",@progbits
	.p2align	6, 0x0
	.amdhsa_kernel _ZN7rocprim17ROCPRIM_400000_NS6detail17trampoline_kernelINS0_13select_configILj256ELj13ELNS0_17block_load_methodE3ELS4_3ELS4_3ELNS0_20block_scan_algorithmE0ELj4294967295EEENS1_25partition_config_selectorILNS1_17partition_subalgoE3EjNS0_10empty_typeEbEEZZNS1_14partition_implILS8_3ELb0ES6_jNS0_17counting_iteratorIjlEEPS9_SE_NS0_5tupleIJPjSE_EEENSF_IJSE_SE_EEES9_SG_JZNS1_25segmented_radix_sort_implINS0_14default_configELb0EPK12hip_bfloat16PSL_PKlPlN2at6native12_GLOBAL__N_18offset_tEEE10hipError_tPvRmT1_PNSt15iterator_traitsISZ_E10value_typeET2_T3_PNS10_IS15_E10value_typeET4_jRbjT5_S1B_jjP12ihipStream_tbEUljE_EEESW_SX_SY_S15_S19_S1B_T6_T7_T9_mT8_S1D_bDpT10_ENKUlT_T0_E_clISt17integral_constantIbLb1EES1P_IbLb0EEEEDaS1L_S1M_EUlS1L_E_NS1_11comp_targetILNS1_3genE10ELNS1_11target_archE1200ELNS1_3gpuE4ELNS1_3repE0EEENS1_30default_config_static_selectorELNS0_4arch9wavefront6targetE1EEEvSZ_
		.amdhsa_group_segment_fixed_size 0
		.amdhsa_private_segment_fixed_size 0
		.amdhsa_kernarg_size 144
		.amdhsa_user_sgpr_count 6
		.amdhsa_user_sgpr_private_segment_buffer 1
		.amdhsa_user_sgpr_dispatch_ptr 0
		.amdhsa_user_sgpr_queue_ptr 0
		.amdhsa_user_sgpr_kernarg_segment_ptr 1
		.amdhsa_user_sgpr_dispatch_id 0
		.amdhsa_user_sgpr_flat_scratch_init 0
		.amdhsa_user_sgpr_private_segment_size 0
		.amdhsa_uses_dynamic_stack 0
		.amdhsa_system_sgpr_private_segment_wavefront_offset 0
		.amdhsa_system_sgpr_workgroup_id_x 1
		.amdhsa_system_sgpr_workgroup_id_y 0
		.amdhsa_system_sgpr_workgroup_id_z 0
		.amdhsa_system_sgpr_workgroup_info 0
		.amdhsa_system_vgpr_workitem_id 0
		.amdhsa_next_free_vgpr 1
		.amdhsa_next_free_sgpr 0
		.amdhsa_reserve_vcc 0
		.amdhsa_reserve_flat_scratch 0
		.amdhsa_float_round_mode_32 0
		.amdhsa_float_round_mode_16_64 0
		.amdhsa_float_denorm_mode_32 3
		.amdhsa_float_denorm_mode_16_64 3
		.amdhsa_dx10_clamp 1
		.amdhsa_ieee_mode 1
		.amdhsa_fp16_overflow 0
		.amdhsa_exception_fp_ieee_invalid_op 0
		.amdhsa_exception_fp_denorm_src 0
		.amdhsa_exception_fp_ieee_div_zero 0
		.amdhsa_exception_fp_ieee_overflow 0
		.amdhsa_exception_fp_ieee_underflow 0
		.amdhsa_exception_fp_ieee_inexact 0
		.amdhsa_exception_int_div_zero 0
	.end_amdhsa_kernel
	.section	.text._ZN7rocprim17ROCPRIM_400000_NS6detail17trampoline_kernelINS0_13select_configILj256ELj13ELNS0_17block_load_methodE3ELS4_3ELS4_3ELNS0_20block_scan_algorithmE0ELj4294967295EEENS1_25partition_config_selectorILNS1_17partition_subalgoE3EjNS0_10empty_typeEbEEZZNS1_14partition_implILS8_3ELb0ES6_jNS0_17counting_iteratorIjlEEPS9_SE_NS0_5tupleIJPjSE_EEENSF_IJSE_SE_EEES9_SG_JZNS1_25segmented_radix_sort_implINS0_14default_configELb0EPK12hip_bfloat16PSL_PKlPlN2at6native12_GLOBAL__N_18offset_tEEE10hipError_tPvRmT1_PNSt15iterator_traitsISZ_E10value_typeET2_T3_PNS10_IS15_E10value_typeET4_jRbjT5_S1B_jjP12ihipStream_tbEUljE_EEESW_SX_SY_S15_S19_S1B_T6_T7_T9_mT8_S1D_bDpT10_ENKUlT_T0_E_clISt17integral_constantIbLb1EES1P_IbLb0EEEEDaS1L_S1M_EUlS1L_E_NS1_11comp_targetILNS1_3genE10ELNS1_11target_archE1200ELNS1_3gpuE4ELNS1_3repE0EEENS1_30default_config_static_selectorELNS0_4arch9wavefront6targetE1EEEvSZ_,"axG",@progbits,_ZN7rocprim17ROCPRIM_400000_NS6detail17trampoline_kernelINS0_13select_configILj256ELj13ELNS0_17block_load_methodE3ELS4_3ELS4_3ELNS0_20block_scan_algorithmE0ELj4294967295EEENS1_25partition_config_selectorILNS1_17partition_subalgoE3EjNS0_10empty_typeEbEEZZNS1_14partition_implILS8_3ELb0ES6_jNS0_17counting_iteratorIjlEEPS9_SE_NS0_5tupleIJPjSE_EEENSF_IJSE_SE_EEES9_SG_JZNS1_25segmented_radix_sort_implINS0_14default_configELb0EPK12hip_bfloat16PSL_PKlPlN2at6native12_GLOBAL__N_18offset_tEEE10hipError_tPvRmT1_PNSt15iterator_traitsISZ_E10value_typeET2_T3_PNS10_IS15_E10value_typeET4_jRbjT5_S1B_jjP12ihipStream_tbEUljE_EEESW_SX_SY_S15_S19_S1B_T6_T7_T9_mT8_S1D_bDpT10_ENKUlT_T0_E_clISt17integral_constantIbLb1EES1P_IbLb0EEEEDaS1L_S1M_EUlS1L_E_NS1_11comp_targetILNS1_3genE10ELNS1_11target_archE1200ELNS1_3gpuE4ELNS1_3repE0EEENS1_30default_config_static_selectorELNS0_4arch9wavefront6targetE1EEEvSZ_,comdat
.Lfunc_end2038:
	.size	_ZN7rocprim17ROCPRIM_400000_NS6detail17trampoline_kernelINS0_13select_configILj256ELj13ELNS0_17block_load_methodE3ELS4_3ELS4_3ELNS0_20block_scan_algorithmE0ELj4294967295EEENS1_25partition_config_selectorILNS1_17partition_subalgoE3EjNS0_10empty_typeEbEEZZNS1_14partition_implILS8_3ELb0ES6_jNS0_17counting_iteratorIjlEEPS9_SE_NS0_5tupleIJPjSE_EEENSF_IJSE_SE_EEES9_SG_JZNS1_25segmented_radix_sort_implINS0_14default_configELb0EPK12hip_bfloat16PSL_PKlPlN2at6native12_GLOBAL__N_18offset_tEEE10hipError_tPvRmT1_PNSt15iterator_traitsISZ_E10value_typeET2_T3_PNS10_IS15_E10value_typeET4_jRbjT5_S1B_jjP12ihipStream_tbEUljE_EEESW_SX_SY_S15_S19_S1B_T6_T7_T9_mT8_S1D_bDpT10_ENKUlT_T0_E_clISt17integral_constantIbLb1EES1P_IbLb0EEEEDaS1L_S1M_EUlS1L_E_NS1_11comp_targetILNS1_3genE10ELNS1_11target_archE1200ELNS1_3gpuE4ELNS1_3repE0EEENS1_30default_config_static_selectorELNS0_4arch9wavefront6targetE1EEEvSZ_, .Lfunc_end2038-_ZN7rocprim17ROCPRIM_400000_NS6detail17trampoline_kernelINS0_13select_configILj256ELj13ELNS0_17block_load_methodE3ELS4_3ELS4_3ELNS0_20block_scan_algorithmE0ELj4294967295EEENS1_25partition_config_selectorILNS1_17partition_subalgoE3EjNS0_10empty_typeEbEEZZNS1_14partition_implILS8_3ELb0ES6_jNS0_17counting_iteratorIjlEEPS9_SE_NS0_5tupleIJPjSE_EEENSF_IJSE_SE_EEES9_SG_JZNS1_25segmented_radix_sort_implINS0_14default_configELb0EPK12hip_bfloat16PSL_PKlPlN2at6native12_GLOBAL__N_18offset_tEEE10hipError_tPvRmT1_PNSt15iterator_traitsISZ_E10value_typeET2_T3_PNS10_IS15_E10value_typeET4_jRbjT5_S1B_jjP12ihipStream_tbEUljE_EEESW_SX_SY_S15_S19_S1B_T6_T7_T9_mT8_S1D_bDpT10_ENKUlT_T0_E_clISt17integral_constantIbLb1EES1P_IbLb0EEEEDaS1L_S1M_EUlS1L_E_NS1_11comp_targetILNS1_3genE10ELNS1_11target_archE1200ELNS1_3gpuE4ELNS1_3repE0EEENS1_30default_config_static_selectorELNS0_4arch9wavefront6targetE1EEEvSZ_
                                        ; -- End function
	.set _ZN7rocprim17ROCPRIM_400000_NS6detail17trampoline_kernelINS0_13select_configILj256ELj13ELNS0_17block_load_methodE3ELS4_3ELS4_3ELNS0_20block_scan_algorithmE0ELj4294967295EEENS1_25partition_config_selectorILNS1_17partition_subalgoE3EjNS0_10empty_typeEbEEZZNS1_14partition_implILS8_3ELb0ES6_jNS0_17counting_iteratorIjlEEPS9_SE_NS0_5tupleIJPjSE_EEENSF_IJSE_SE_EEES9_SG_JZNS1_25segmented_radix_sort_implINS0_14default_configELb0EPK12hip_bfloat16PSL_PKlPlN2at6native12_GLOBAL__N_18offset_tEEE10hipError_tPvRmT1_PNSt15iterator_traitsISZ_E10value_typeET2_T3_PNS10_IS15_E10value_typeET4_jRbjT5_S1B_jjP12ihipStream_tbEUljE_EEESW_SX_SY_S15_S19_S1B_T6_T7_T9_mT8_S1D_bDpT10_ENKUlT_T0_E_clISt17integral_constantIbLb1EES1P_IbLb0EEEEDaS1L_S1M_EUlS1L_E_NS1_11comp_targetILNS1_3genE10ELNS1_11target_archE1200ELNS1_3gpuE4ELNS1_3repE0EEENS1_30default_config_static_selectorELNS0_4arch9wavefront6targetE1EEEvSZ_.num_vgpr, 0
	.set _ZN7rocprim17ROCPRIM_400000_NS6detail17trampoline_kernelINS0_13select_configILj256ELj13ELNS0_17block_load_methodE3ELS4_3ELS4_3ELNS0_20block_scan_algorithmE0ELj4294967295EEENS1_25partition_config_selectorILNS1_17partition_subalgoE3EjNS0_10empty_typeEbEEZZNS1_14partition_implILS8_3ELb0ES6_jNS0_17counting_iteratorIjlEEPS9_SE_NS0_5tupleIJPjSE_EEENSF_IJSE_SE_EEES9_SG_JZNS1_25segmented_radix_sort_implINS0_14default_configELb0EPK12hip_bfloat16PSL_PKlPlN2at6native12_GLOBAL__N_18offset_tEEE10hipError_tPvRmT1_PNSt15iterator_traitsISZ_E10value_typeET2_T3_PNS10_IS15_E10value_typeET4_jRbjT5_S1B_jjP12ihipStream_tbEUljE_EEESW_SX_SY_S15_S19_S1B_T6_T7_T9_mT8_S1D_bDpT10_ENKUlT_T0_E_clISt17integral_constantIbLb1EES1P_IbLb0EEEEDaS1L_S1M_EUlS1L_E_NS1_11comp_targetILNS1_3genE10ELNS1_11target_archE1200ELNS1_3gpuE4ELNS1_3repE0EEENS1_30default_config_static_selectorELNS0_4arch9wavefront6targetE1EEEvSZ_.num_agpr, 0
	.set _ZN7rocprim17ROCPRIM_400000_NS6detail17trampoline_kernelINS0_13select_configILj256ELj13ELNS0_17block_load_methodE3ELS4_3ELS4_3ELNS0_20block_scan_algorithmE0ELj4294967295EEENS1_25partition_config_selectorILNS1_17partition_subalgoE3EjNS0_10empty_typeEbEEZZNS1_14partition_implILS8_3ELb0ES6_jNS0_17counting_iteratorIjlEEPS9_SE_NS0_5tupleIJPjSE_EEENSF_IJSE_SE_EEES9_SG_JZNS1_25segmented_radix_sort_implINS0_14default_configELb0EPK12hip_bfloat16PSL_PKlPlN2at6native12_GLOBAL__N_18offset_tEEE10hipError_tPvRmT1_PNSt15iterator_traitsISZ_E10value_typeET2_T3_PNS10_IS15_E10value_typeET4_jRbjT5_S1B_jjP12ihipStream_tbEUljE_EEESW_SX_SY_S15_S19_S1B_T6_T7_T9_mT8_S1D_bDpT10_ENKUlT_T0_E_clISt17integral_constantIbLb1EES1P_IbLb0EEEEDaS1L_S1M_EUlS1L_E_NS1_11comp_targetILNS1_3genE10ELNS1_11target_archE1200ELNS1_3gpuE4ELNS1_3repE0EEENS1_30default_config_static_selectorELNS0_4arch9wavefront6targetE1EEEvSZ_.numbered_sgpr, 0
	.set _ZN7rocprim17ROCPRIM_400000_NS6detail17trampoline_kernelINS0_13select_configILj256ELj13ELNS0_17block_load_methodE3ELS4_3ELS4_3ELNS0_20block_scan_algorithmE0ELj4294967295EEENS1_25partition_config_selectorILNS1_17partition_subalgoE3EjNS0_10empty_typeEbEEZZNS1_14partition_implILS8_3ELb0ES6_jNS0_17counting_iteratorIjlEEPS9_SE_NS0_5tupleIJPjSE_EEENSF_IJSE_SE_EEES9_SG_JZNS1_25segmented_radix_sort_implINS0_14default_configELb0EPK12hip_bfloat16PSL_PKlPlN2at6native12_GLOBAL__N_18offset_tEEE10hipError_tPvRmT1_PNSt15iterator_traitsISZ_E10value_typeET2_T3_PNS10_IS15_E10value_typeET4_jRbjT5_S1B_jjP12ihipStream_tbEUljE_EEESW_SX_SY_S15_S19_S1B_T6_T7_T9_mT8_S1D_bDpT10_ENKUlT_T0_E_clISt17integral_constantIbLb1EES1P_IbLb0EEEEDaS1L_S1M_EUlS1L_E_NS1_11comp_targetILNS1_3genE10ELNS1_11target_archE1200ELNS1_3gpuE4ELNS1_3repE0EEENS1_30default_config_static_selectorELNS0_4arch9wavefront6targetE1EEEvSZ_.num_named_barrier, 0
	.set _ZN7rocprim17ROCPRIM_400000_NS6detail17trampoline_kernelINS0_13select_configILj256ELj13ELNS0_17block_load_methodE3ELS4_3ELS4_3ELNS0_20block_scan_algorithmE0ELj4294967295EEENS1_25partition_config_selectorILNS1_17partition_subalgoE3EjNS0_10empty_typeEbEEZZNS1_14partition_implILS8_3ELb0ES6_jNS0_17counting_iteratorIjlEEPS9_SE_NS0_5tupleIJPjSE_EEENSF_IJSE_SE_EEES9_SG_JZNS1_25segmented_radix_sort_implINS0_14default_configELb0EPK12hip_bfloat16PSL_PKlPlN2at6native12_GLOBAL__N_18offset_tEEE10hipError_tPvRmT1_PNSt15iterator_traitsISZ_E10value_typeET2_T3_PNS10_IS15_E10value_typeET4_jRbjT5_S1B_jjP12ihipStream_tbEUljE_EEESW_SX_SY_S15_S19_S1B_T6_T7_T9_mT8_S1D_bDpT10_ENKUlT_T0_E_clISt17integral_constantIbLb1EES1P_IbLb0EEEEDaS1L_S1M_EUlS1L_E_NS1_11comp_targetILNS1_3genE10ELNS1_11target_archE1200ELNS1_3gpuE4ELNS1_3repE0EEENS1_30default_config_static_selectorELNS0_4arch9wavefront6targetE1EEEvSZ_.private_seg_size, 0
	.set _ZN7rocprim17ROCPRIM_400000_NS6detail17trampoline_kernelINS0_13select_configILj256ELj13ELNS0_17block_load_methodE3ELS4_3ELS4_3ELNS0_20block_scan_algorithmE0ELj4294967295EEENS1_25partition_config_selectorILNS1_17partition_subalgoE3EjNS0_10empty_typeEbEEZZNS1_14partition_implILS8_3ELb0ES6_jNS0_17counting_iteratorIjlEEPS9_SE_NS0_5tupleIJPjSE_EEENSF_IJSE_SE_EEES9_SG_JZNS1_25segmented_radix_sort_implINS0_14default_configELb0EPK12hip_bfloat16PSL_PKlPlN2at6native12_GLOBAL__N_18offset_tEEE10hipError_tPvRmT1_PNSt15iterator_traitsISZ_E10value_typeET2_T3_PNS10_IS15_E10value_typeET4_jRbjT5_S1B_jjP12ihipStream_tbEUljE_EEESW_SX_SY_S15_S19_S1B_T6_T7_T9_mT8_S1D_bDpT10_ENKUlT_T0_E_clISt17integral_constantIbLb1EES1P_IbLb0EEEEDaS1L_S1M_EUlS1L_E_NS1_11comp_targetILNS1_3genE10ELNS1_11target_archE1200ELNS1_3gpuE4ELNS1_3repE0EEENS1_30default_config_static_selectorELNS0_4arch9wavefront6targetE1EEEvSZ_.uses_vcc, 0
	.set _ZN7rocprim17ROCPRIM_400000_NS6detail17trampoline_kernelINS0_13select_configILj256ELj13ELNS0_17block_load_methodE3ELS4_3ELS4_3ELNS0_20block_scan_algorithmE0ELj4294967295EEENS1_25partition_config_selectorILNS1_17partition_subalgoE3EjNS0_10empty_typeEbEEZZNS1_14partition_implILS8_3ELb0ES6_jNS0_17counting_iteratorIjlEEPS9_SE_NS0_5tupleIJPjSE_EEENSF_IJSE_SE_EEES9_SG_JZNS1_25segmented_radix_sort_implINS0_14default_configELb0EPK12hip_bfloat16PSL_PKlPlN2at6native12_GLOBAL__N_18offset_tEEE10hipError_tPvRmT1_PNSt15iterator_traitsISZ_E10value_typeET2_T3_PNS10_IS15_E10value_typeET4_jRbjT5_S1B_jjP12ihipStream_tbEUljE_EEESW_SX_SY_S15_S19_S1B_T6_T7_T9_mT8_S1D_bDpT10_ENKUlT_T0_E_clISt17integral_constantIbLb1EES1P_IbLb0EEEEDaS1L_S1M_EUlS1L_E_NS1_11comp_targetILNS1_3genE10ELNS1_11target_archE1200ELNS1_3gpuE4ELNS1_3repE0EEENS1_30default_config_static_selectorELNS0_4arch9wavefront6targetE1EEEvSZ_.uses_flat_scratch, 0
	.set _ZN7rocprim17ROCPRIM_400000_NS6detail17trampoline_kernelINS0_13select_configILj256ELj13ELNS0_17block_load_methodE3ELS4_3ELS4_3ELNS0_20block_scan_algorithmE0ELj4294967295EEENS1_25partition_config_selectorILNS1_17partition_subalgoE3EjNS0_10empty_typeEbEEZZNS1_14partition_implILS8_3ELb0ES6_jNS0_17counting_iteratorIjlEEPS9_SE_NS0_5tupleIJPjSE_EEENSF_IJSE_SE_EEES9_SG_JZNS1_25segmented_radix_sort_implINS0_14default_configELb0EPK12hip_bfloat16PSL_PKlPlN2at6native12_GLOBAL__N_18offset_tEEE10hipError_tPvRmT1_PNSt15iterator_traitsISZ_E10value_typeET2_T3_PNS10_IS15_E10value_typeET4_jRbjT5_S1B_jjP12ihipStream_tbEUljE_EEESW_SX_SY_S15_S19_S1B_T6_T7_T9_mT8_S1D_bDpT10_ENKUlT_T0_E_clISt17integral_constantIbLb1EES1P_IbLb0EEEEDaS1L_S1M_EUlS1L_E_NS1_11comp_targetILNS1_3genE10ELNS1_11target_archE1200ELNS1_3gpuE4ELNS1_3repE0EEENS1_30default_config_static_selectorELNS0_4arch9wavefront6targetE1EEEvSZ_.has_dyn_sized_stack, 0
	.set _ZN7rocprim17ROCPRIM_400000_NS6detail17trampoline_kernelINS0_13select_configILj256ELj13ELNS0_17block_load_methodE3ELS4_3ELS4_3ELNS0_20block_scan_algorithmE0ELj4294967295EEENS1_25partition_config_selectorILNS1_17partition_subalgoE3EjNS0_10empty_typeEbEEZZNS1_14partition_implILS8_3ELb0ES6_jNS0_17counting_iteratorIjlEEPS9_SE_NS0_5tupleIJPjSE_EEENSF_IJSE_SE_EEES9_SG_JZNS1_25segmented_radix_sort_implINS0_14default_configELb0EPK12hip_bfloat16PSL_PKlPlN2at6native12_GLOBAL__N_18offset_tEEE10hipError_tPvRmT1_PNSt15iterator_traitsISZ_E10value_typeET2_T3_PNS10_IS15_E10value_typeET4_jRbjT5_S1B_jjP12ihipStream_tbEUljE_EEESW_SX_SY_S15_S19_S1B_T6_T7_T9_mT8_S1D_bDpT10_ENKUlT_T0_E_clISt17integral_constantIbLb1EES1P_IbLb0EEEEDaS1L_S1M_EUlS1L_E_NS1_11comp_targetILNS1_3genE10ELNS1_11target_archE1200ELNS1_3gpuE4ELNS1_3repE0EEENS1_30default_config_static_selectorELNS0_4arch9wavefront6targetE1EEEvSZ_.has_recursion, 0
	.set _ZN7rocprim17ROCPRIM_400000_NS6detail17trampoline_kernelINS0_13select_configILj256ELj13ELNS0_17block_load_methodE3ELS4_3ELS4_3ELNS0_20block_scan_algorithmE0ELj4294967295EEENS1_25partition_config_selectorILNS1_17partition_subalgoE3EjNS0_10empty_typeEbEEZZNS1_14partition_implILS8_3ELb0ES6_jNS0_17counting_iteratorIjlEEPS9_SE_NS0_5tupleIJPjSE_EEENSF_IJSE_SE_EEES9_SG_JZNS1_25segmented_radix_sort_implINS0_14default_configELb0EPK12hip_bfloat16PSL_PKlPlN2at6native12_GLOBAL__N_18offset_tEEE10hipError_tPvRmT1_PNSt15iterator_traitsISZ_E10value_typeET2_T3_PNS10_IS15_E10value_typeET4_jRbjT5_S1B_jjP12ihipStream_tbEUljE_EEESW_SX_SY_S15_S19_S1B_T6_T7_T9_mT8_S1D_bDpT10_ENKUlT_T0_E_clISt17integral_constantIbLb1EES1P_IbLb0EEEEDaS1L_S1M_EUlS1L_E_NS1_11comp_targetILNS1_3genE10ELNS1_11target_archE1200ELNS1_3gpuE4ELNS1_3repE0EEENS1_30default_config_static_selectorELNS0_4arch9wavefront6targetE1EEEvSZ_.has_indirect_call, 0
	.section	.AMDGPU.csdata,"",@progbits
; Kernel info:
; codeLenInByte = 0
; TotalNumSgprs: 4
; NumVgprs: 0
; ScratchSize: 0
; MemoryBound: 0
; FloatMode: 240
; IeeeMode: 1
; LDSByteSize: 0 bytes/workgroup (compile time only)
; SGPRBlocks: 0
; VGPRBlocks: 0
; NumSGPRsForWavesPerEU: 4
; NumVGPRsForWavesPerEU: 1
; Occupancy: 10
; WaveLimiterHint : 0
; COMPUTE_PGM_RSRC2:SCRATCH_EN: 0
; COMPUTE_PGM_RSRC2:USER_SGPR: 6
; COMPUTE_PGM_RSRC2:TRAP_HANDLER: 0
; COMPUTE_PGM_RSRC2:TGID_X_EN: 1
; COMPUTE_PGM_RSRC2:TGID_Y_EN: 0
; COMPUTE_PGM_RSRC2:TGID_Z_EN: 0
; COMPUTE_PGM_RSRC2:TIDIG_COMP_CNT: 0
	.section	.text._ZN7rocprim17ROCPRIM_400000_NS6detail17trampoline_kernelINS0_13select_configILj256ELj13ELNS0_17block_load_methodE3ELS4_3ELS4_3ELNS0_20block_scan_algorithmE0ELj4294967295EEENS1_25partition_config_selectorILNS1_17partition_subalgoE3EjNS0_10empty_typeEbEEZZNS1_14partition_implILS8_3ELb0ES6_jNS0_17counting_iteratorIjlEEPS9_SE_NS0_5tupleIJPjSE_EEENSF_IJSE_SE_EEES9_SG_JZNS1_25segmented_radix_sort_implINS0_14default_configELb0EPK12hip_bfloat16PSL_PKlPlN2at6native12_GLOBAL__N_18offset_tEEE10hipError_tPvRmT1_PNSt15iterator_traitsISZ_E10value_typeET2_T3_PNS10_IS15_E10value_typeET4_jRbjT5_S1B_jjP12ihipStream_tbEUljE_EEESW_SX_SY_S15_S19_S1B_T6_T7_T9_mT8_S1D_bDpT10_ENKUlT_T0_E_clISt17integral_constantIbLb1EES1P_IbLb0EEEEDaS1L_S1M_EUlS1L_E_NS1_11comp_targetILNS1_3genE9ELNS1_11target_archE1100ELNS1_3gpuE3ELNS1_3repE0EEENS1_30default_config_static_selectorELNS0_4arch9wavefront6targetE1EEEvSZ_,"axG",@progbits,_ZN7rocprim17ROCPRIM_400000_NS6detail17trampoline_kernelINS0_13select_configILj256ELj13ELNS0_17block_load_methodE3ELS4_3ELS4_3ELNS0_20block_scan_algorithmE0ELj4294967295EEENS1_25partition_config_selectorILNS1_17partition_subalgoE3EjNS0_10empty_typeEbEEZZNS1_14partition_implILS8_3ELb0ES6_jNS0_17counting_iteratorIjlEEPS9_SE_NS0_5tupleIJPjSE_EEENSF_IJSE_SE_EEES9_SG_JZNS1_25segmented_radix_sort_implINS0_14default_configELb0EPK12hip_bfloat16PSL_PKlPlN2at6native12_GLOBAL__N_18offset_tEEE10hipError_tPvRmT1_PNSt15iterator_traitsISZ_E10value_typeET2_T3_PNS10_IS15_E10value_typeET4_jRbjT5_S1B_jjP12ihipStream_tbEUljE_EEESW_SX_SY_S15_S19_S1B_T6_T7_T9_mT8_S1D_bDpT10_ENKUlT_T0_E_clISt17integral_constantIbLb1EES1P_IbLb0EEEEDaS1L_S1M_EUlS1L_E_NS1_11comp_targetILNS1_3genE9ELNS1_11target_archE1100ELNS1_3gpuE3ELNS1_3repE0EEENS1_30default_config_static_selectorELNS0_4arch9wavefront6targetE1EEEvSZ_,comdat
	.globl	_ZN7rocprim17ROCPRIM_400000_NS6detail17trampoline_kernelINS0_13select_configILj256ELj13ELNS0_17block_load_methodE3ELS4_3ELS4_3ELNS0_20block_scan_algorithmE0ELj4294967295EEENS1_25partition_config_selectorILNS1_17partition_subalgoE3EjNS0_10empty_typeEbEEZZNS1_14partition_implILS8_3ELb0ES6_jNS0_17counting_iteratorIjlEEPS9_SE_NS0_5tupleIJPjSE_EEENSF_IJSE_SE_EEES9_SG_JZNS1_25segmented_radix_sort_implINS0_14default_configELb0EPK12hip_bfloat16PSL_PKlPlN2at6native12_GLOBAL__N_18offset_tEEE10hipError_tPvRmT1_PNSt15iterator_traitsISZ_E10value_typeET2_T3_PNS10_IS15_E10value_typeET4_jRbjT5_S1B_jjP12ihipStream_tbEUljE_EEESW_SX_SY_S15_S19_S1B_T6_T7_T9_mT8_S1D_bDpT10_ENKUlT_T0_E_clISt17integral_constantIbLb1EES1P_IbLb0EEEEDaS1L_S1M_EUlS1L_E_NS1_11comp_targetILNS1_3genE9ELNS1_11target_archE1100ELNS1_3gpuE3ELNS1_3repE0EEENS1_30default_config_static_selectorELNS0_4arch9wavefront6targetE1EEEvSZ_ ; -- Begin function _ZN7rocprim17ROCPRIM_400000_NS6detail17trampoline_kernelINS0_13select_configILj256ELj13ELNS0_17block_load_methodE3ELS4_3ELS4_3ELNS0_20block_scan_algorithmE0ELj4294967295EEENS1_25partition_config_selectorILNS1_17partition_subalgoE3EjNS0_10empty_typeEbEEZZNS1_14partition_implILS8_3ELb0ES6_jNS0_17counting_iteratorIjlEEPS9_SE_NS0_5tupleIJPjSE_EEENSF_IJSE_SE_EEES9_SG_JZNS1_25segmented_radix_sort_implINS0_14default_configELb0EPK12hip_bfloat16PSL_PKlPlN2at6native12_GLOBAL__N_18offset_tEEE10hipError_tPvRmT1_PNSt15iterator_traitsISZ_E10value_typeET2_T3_PNS10_IS15_E10value_typeET4_jRbjT5_S1B_jjP12ihipStream_tbEUljE_EEESW_SX_SY_S15_S19_S1B_T6_T7_T9_mT8_S1D_bDpT10_ENKUlT_T0_E_clISt17integral_constantIbLb1EES1P_IbLb0EEEEDaS1L_S1M_EUlS1L_E_NS1_11comp_targetILNS1_3genE9ELNS1_11target_archE1100ELNS1_3gpuE3ELNS1_3repE0EEENS1_30default_config_static_selectorELNS0_4arch9wavefront6targetE1EEEvSZ_
	.p2align	8
	.type	_ZN7rocprim17ROCPRIM_400000_NS6detail17trampoline_kernelINS0_13select_configILj256ELj13ELNS0_17block_load_methodE3ELS4_3ELS4_3ELNS0_20block_scan_algorithmE0ELj4294967295EEENS1_25partition_config_selectorILNS1_17partition_subalgoE3EjNS0_10empty_typeEbEEZZNS1_14partition_implILS8_3ELb0ES6_jNS0_17counting_iteratorIjlEEPS9_SE_NS0_5tupleIJPjSE_EEENSF_IJSE_SE_EEES9_SG_JZNS1_25segmented_radix_sort_implINS0_14default_configELb0EPK12hip_bfloat16PSL_PKlPlN2at6native12_GLOBAL__N_18offset_tEEE10hipError_tPvRmT1_PNSt15iterator_traitsISZ_E10value_typeET2_T3_PNS10_IS15_E10value_typeET4_jRbjT5_S1B_jjP12ihipStream_tbEUljE_EEESW_SX_SY_S15_S19_S1B_T6_T7_T9_mT8_S1D_bDpT10_ENKUlT_T0_E_clISt17integral_constantIbLb1EES1P_IbLb0EEEEDaS1L_S1M_EUlS1L_E_NS1_11comp_targetILNS1_3genE9ELNS1_11target_archE1100ELNS1_3gpuE3ELNS1_3repE0EEENS1_30default_config_static_selectorELNS0_4arch9wavefront6targetE1EEEvSZ_,@function
_ZN7rocprim17ROCPRIM_400000_NS6detail17trampoline_kernelINS0_13select_configILj256ELj13ELNS0_17block_load_methodE3ELS4_3ELS4_3ELNS0_20block_scan_algorithmE0ELj4294967295EEENS1_25partition_config_selectorILNS1_17partition_subalgoE3EjNS0_10empty_typeEbEEZZNS1_14partition_implILS8_3ELb0ES6_jNS0_17counting_iteratorIjlEEPS9_SE_NS0_5tupleIJPjSE_EEENSF_IJSE_SE_EEES9_SG_JZNS1_25segmented_radix_sort_implINS0_14default_configELb0EPK12hip_bfloat16PSL_PKlPlN2at6native12_GLOBAL__N_18offset_tEEE10hipError_tPvRmT1_PNSt15iterator_traitsISZ_E10value_typeET2_T3_PNS10_IS15_E10value_typeET4_jRbjT5_S1B_jjP12ihipStream_tbEUljE_EEESW_SX_SY_S15_S19_S1B_T6_T7_T9_mT8_S1D_bDpT10_ENKUlT_T0_E_clISt17integral_constantIbLb1EES1P_IbLb0EEEEDaS1L_S1M_EUlS1L_E_NS1_11comp_targetILNS1_3genE9ELNS1_11target_archE1100ELNS1_3gpuE3ELNS1_3repE0EEENS1_30default_config_static_selectorELNS0_4arch9wavefront6targetE1EEEvSZ_: ; @_ZN7rocprim17ROCPRIM_400000_NS6detail17trampoline_kernelINS0_13select_configILj256ELj13ELNS0_17block_load_methodE3ELS4_3ELS4_3ELNS0_20block_scan_algorithmE0ELj4294967295EEENS1_25partition_config_selectorILNS1_17partition_subalgoE3EjNS0_10empty_typeEbEEZZNS1_14partition_implILS8_3ELb0ES6_jNS0_17counting_iteratorIjlEEPS9_SE_NS0_5tupleIJPjSE_EEENSF_IJSE_SE_EEES9_SG_JZNS1_25segmented_radix_sort_implINS0_14default_configELb0EPK12hip_bfloat16PSL_PKlPlN2at6native12_GLOBAL__N_18offset_tEEE10hipError_tPvRmT1_PNSt15iterator_traitsISZ_E10value_typeET2_T3_PNS10_IS15_E10value_typeET4_jRbjT5_S1B_jjP12ihipStream_tbEUljE_EEESW_SX_SY_S15_S19_S1B_T6_T7_T9_mT8_S1D_bDpT10_ENKUlT_T0_E_clISt17integral_constantIbLb1EES1P_IbLb0EEEEDaS1L_S1M_EUlS1L_E_NS1_11comp_targetILNS1_3genE9ELNS1_11target_archE1100ELNS1_3gpuE3ELNS1_3repE0EEENS1_30default_config_static_selectorELNS0_4arch9wavefront6targetE1EEEvSZ_
; %bb.0:
	.section	.rodata,"a",@progbits
	.p2align	6, 0x0
	.amdhsa_kernel _ZN7rocprim17ROCPRIM_400000_NS6detail17trampoline_kernelINS0_13select_configILj256ELj13ELNS0_17block_load_methodE3ELS4_3ELS4_3ELNS0_20block_scan_algorithmE0ELj4294967295EEENS1_25partition_config_selectorILNS1_17partition_subalgoE3EjNS0_10empty_typeEbEEZZNS1_14partition_implILS8_3ELb0ES6_jNS0_17counting_iteratorIjlEEPS9_SE_NS0_5tupleIJPjSE_EEENSF_IJSE_SE_EEES9_SG_JZNS1_25segmented_radix_sort_implINS0_14default_configELb0EPK12hip_bfloat16PSL_PKlPlN2at6native12_GLOBAL__N_18offset_tEEE10hipError_tPvRmT1_PNSt15iterator_traitsISZ_E10value_typeET2_T3_PNS10_IS15_E10value_typeET4_jRbjT5_S1B_jjP12ihipStream_tbEUljE_EEESW_SX_SY_S15_S19_S1B_T6_T7_T9_mT8_S1D_bDpT10_ENKUlT_T0_E_clISt17integral_constantIbLb1EES1P_IbLb0EEEEDaS1L_S1M_EUlS1L_E_NS1_11comp_targetILNS1_3genE9ELNS1_11target_archE1100ELNS1_3gpuE3ELNS1_3repE0EEENS1_30default_config_static_selectorELNS0_4arch9wavefront6targetE1EEEvSZ_
		.amdhsa_group_segment_fixed_size 0
		.amdhsa_private_segment_fixed_size 0
		.amdhsa_kernarg_size 144
		.amdhsa_user_sgpr_count 6
		.amdhsa_user_sgpr_private_segment_buffer 1
		.amdhsa_user_sgpr_dispatch_ptr 0
		.amdhsa_user_sgpr_queue_ptr 0
		.amdhsa_user_sgpr_kernarg_segment_ptr 1
		.amdhsa_user_sgpr_dispatch_id 0
		.amdhsa_user_sgpr_flat_scratch_init 0
		.amdhsa_user_sgpr_private_segment_size 0
		.amdhsa_uses_dynamic_stack 0
		.amdhsa_system_sgpr_private_segment_wavefront_offset 0
		.amdhsa_system_sgpr_workgroup_id_x 1
		.amdhsa_system_sgpr_workgroup_id_y 0
		.amdhsa_system_sgpr_workgroup_id_z 0
		.amdhsa_system_sgpr_workgroup_info 0
		.amdhsa_system_vgpr_workitem_id 0
		.amdhsa_next_free_vgpr 1
		.amdhsa_next_free_sgpr 0
		.amdhsa_reserve_vcc 0
		.amdhsa_reserve_flat_scratch 0
		.amdhsa_float_round_mode_32 0
		.amdhsa_float_round_mode_16_64 0
		.amdhsa_float_denorm_mode_32 3
		.amdhsa_float_denorm_mode_16_64 3
		.amdhsa_dx10_clamp 1
		.amdhsa_ieee_mode 1
		.amdhsa_fp16_overflow 0
		.amdhsa_exception_fp_ieee_invalid_op 0
		.amdhsa_exception_fp_denorm_src 0
		.amdhsa_exception_fp_ieee_div_zero 0
		.amdhsa_exception_fp_ieee_overflow 0
		.amdhsa_exception_fp_ieee_underflow 0
		.amdhsa_exception_fp_ieee_inexact 0
		.amdhsa_exception_int_div_zero 0
	.end_amdhsa_kernel
	.section	.text._ZN7rocprim17ROCPRIM_400000_NS6detail17trampoline_kernelINS0_13select_configILj256ELj13ELNS0_17block_load_methodE3ELS4_3ELS4_3ELNS0_20block_scan_algorithmE0ELj4294967295EEENS1_25partition_config_selectorILNS1_17partition_subalgoE3EjNS0_10empty_typeEbEEZZNS1_14partition_implILS8_3ELb0ES6_jNS0_17counting_iteratorIjlEEPS9_SE_NS0_5tupleIJPjSE_EEENSF_IJSE_SE_EEES9_SG_JZNS1_25segmented_radix_sort_implINS0_14default_configELb0EPK12hip_bfloat16PSL_PKlPlN2at6native12_GLOBAL__N_18offset_tEEE10hipError_tPvRmT1_PNSt15iterator_traitsISZ_E10value_typeET2_T3_PNS10_IS15_E10value_typeET4_jRbjT5_S1B_jjP12ihipStream_tbEUljE_EEESW_SX_SY_S15_S19_S1B_T6_T7_T9_mT8_S1D_bDpT10_ENKUlT_T0_E_clISt17integral_constantIbLb1EES1P_IbLb0EEEEDaS1L_S1M_EUlS1L_E_NS1_11comp_targetILNS1_3genE9ELNS1_11target_archE1100ELNS1_3gpuE3ELNS1_3repE0EEENS1_30default_config_static_selectorELNS0_4arch9wavefront6targetE1EEEvSZ_,"axG",@progbits,_ZN7rocprim17ROCPRIM_400000_NS6detail17trampoline_kernelINS0_13select_configILj256ELj13ELNS0_17block_load_methodE3ELS4_3ELS4_3ELNS0_20block_scan_algorithmE0ELj4294967295EEENS1_25partition_config_selectorILNS1_17partition_subalgoE3EjNS0_10empty_typeEbEEZZNS1_14partition_implILS8_3ELb0ES6_jNS0_17counting_iteratorIjlEEPS9_SE_NS0_5tupleIJPjSE_EEENSF_IJSE_SE_EEES9_SG_JZNS1_25segmented_radix_sort_implINS0_14default_configELb0EPK12hip_bfloat16PSL_PKlPlN2at6native12_GLOBAL__N_18offset_tEEE10hipError_tPvRmT1_PNSt15iterator_traitsISZ_E10value_typeET2_T3_PNS10_IS15_E10value_typeET4_jRbjT5_S1B_jjP12ihipStream_tbEUljE_EEESW_SX_SY_S15_S19_S1B_T6_T7_T9_mT8_S1D_bDpT10_ENKUlT_T0_E_clISt17integral_constantIbLb1EES1P_IbLb0EEEEDaS1L_S1M_EUlS1L_E_NS1_11comp_targetILNS1_3genE9ELNS1_11target_archE1100ELNS1_3gpuE3ELNS1_3repE0EEENS1_30default_config_static_selectorELNS0_4arch9wavefront6targetE1EEEvSZ_,comdat
.Lfunc_end2039:
	.size	_ZN7rocprim17ROCPRIM_400000_NS6detail17trampoline_kernelINS0_13select_configILj256ELj13ELNS0_17block_load_methodE3ELS4_3ELS4_3ELNS0_20block_scan_algorithmE0ELj4294967295EEENS1_25partition_config_selectorILNS1_17partition_subalgoE3EjNS0_10empty_typeEbEEZZNS1_14partition_implILS8_3ELb0ES6_jNS0_17counting_iteratorIjlEEPS9_SE_NS0_5tupleIJPjSE_EEENSF_IJSE_SE_EEES9_SG_JZNS1_25segmented_radix_sort_implINS0_14default_configELb0EPK12hip_bfloat16PSL_PKlPlN2at6native12_GLOBAL__N_18offset_tEEE10hipError_tPvRmT1_PNSt15iterator_traitsISZ_E10value_typeET2_T3_PNS10_IS15_E10value_typeET4_jRbjT5_S1B_jjP12ihipStream_tbEUljE_EEESW_SX_SY_S15_S19_S1B_T6_T7_T9_mT8_S1D_bDpT10_ENKUlT_T0_E_clISt17integral_constantIbLb1EES1P_IbLb0EEEEDaS1L_S1M_EUlS1L_E_NS1_11comp_targetILNS1_3genE9ELNS1_11target_archE1100ELNS1_3gpuE3ELNS1_3repE0EEENS1_30default_config_static_selectorELNS0_4arch9wavefront6targetE1EEEvSZ_, .Lfunc_end2039-_ZN7rocprim17ROCPRIM_400000_NS6detail17trampoline_kernelINS0_13select_configILj256ELj13ELNS0_17block_load_methodE3ELS4_3ELS4_3ELNS0_20block_scan_algorithmE0ELj4294967295EEENS1_25partition_config_selectorILNS1_17partition_subalgoE3EjNS0_10empty_typeEbEEZZNS1_14partition_implILS8_3ELb0ES6_jNS0_17counting_iteratorIjlEEPS9_SE_NS0_5tupleIJPjSE_EEENSF_IJSE_SE_EEES9_SG_JZNS1_25segmented_radix_sort_implINS0_14default_configELb0EPK12hip_bfloat16PSL_PKlPlN2at6native12_GLOBAL__N_18offset_tEEE10hipError_tPvRmT1_PNSt15iterator_traitsISZ_E10value_typeET2_T3_PNS10_IS15_E10value_typeET4_jRbjT5_S1B_jjP12ihipStream_tbEUljE_EEESW_SX_SY_S15_S19_S1B_T6_T7_T9_mT8_S1D_bDpT10_ENKUlT_T0_E_clISt17integral_constantIbLb1EES1P_IbLb0EEEEDaS1L_S1M_EUlS1L_E_NS1_11comp_targetILNS1_3genE9ELNS1_11target_archE1100ELNS1_3gpuE3ELNS1_3repE0EEENS1_30default_config_static_selectorELNS0_4arch9wavefront6targetE1EEEvSZ_
                                        ; -- End function
	.set _ZN7rocprim17ROCPRIM_400000_NS6detail17trampoline_kernelINS0_13select_configILj256ELj13ELNS0_17block_load_methodE3ELS4_3ELS4_3ELNS0_20block_scan_algorithmE0ELj4294967295EEENS1_25partition_config_selectorILNS1_17partition_subalgoE3EjNS0_10empty_typeEbEEZZNS1_14partition_implILS8_3ELb0ES6_jNS0_17counting_iteratorIjlEEPS9_SE_NS0_5tupleIJPjSE_EEENSF_IJSE_SE_EEES9_SG_JZNS1_25segmented_radix_sort_implINS0_14default_configELb0EPK12hip_bfloat16PSL_PKlPlN2at6native12_GLOBAL__N_18offset_tEEE10hipError_tPvRmT1_PNSt15iterator_traitsISZ_E10value_typeET2_T3_PNS10_IS15_E10value_typeET4_jRbjT5_S1B_jjP12ihipStream_tbEUljE_EEESW_SX_SY_S15_S19_S1B_T6_T7_T9_mT8_S1D_bDpT10_ENKUlT_T0_E_clISt17integral_constantIbLb1EES1P_IbLb0EEEEDaS1L_S1M_EUlS1L_E_NS1_11comp_targetILNS1_3genE9ELNS1_11target_archE1100ELNS1_3gpuE3ELNS1_3repE0EEENS1_30default_config_static_selectorELNS0_4arch9wavefront6targetE1EEEvSZ_.num_vgpr, 0
	.set _ZN7rocprim17ROCPRIM_400000_NS6detail17trampoline_kernelINS0_13select_configILj256ELj13ELNS0_17block_load_methodE3ELS4_3ELS4_3ELNS0_20block_scan_algorithmE0ELj4294967295EEENS1_25partition_config_selectorILNS1_17partition_subalgoE3EjNS0_10empty_typeEbEEZZNS1_14partition_implILS8_3ELb0ES6_jNS0_17counting_iteratorIjlEEPS9_SE_NS0_5tupleIJPjSE_EEENSF_IJSE_SE_EEES9_SG_JZNS1_25segmented_radix_sort_implINS0_14default_configELb0EPK12hip_bfloat16PSL_PKlPlN2at6native12_GLOBAL__N_18offset_tEEE10hipError_tPvRmT1_PNSt15iterator_traitsISZ_E10value_typeET2_T3_PNS10_IS15_E10value_typeET4_jRbjT5_S1B_jjP12ihipStream_tbEUljE_EEESW_SX_SY_S15_S19_S1B_T6_T7_T9_mT8_S1D_bDpT10_ENKUlT_T0_E_clISt17integral_constantIbLb1EES1P_IbLb0EEEEDaS1L_S1M_EUlS1L_E_NS1_11comp_targetILNS1_3genE9ELNS1_11target_archE1100ELNS1_3gpuE3ELNS1_3repE0EEENS1_30default_config_static_selectorELNS0_4arch9wavefront6targetE1EEEvSZ_.num_agpr, 0
	.set _ZN7rocprim17ROCPRIM_400000_NS6detail17trampoline_kernelINS0_13select_configILj256ELj13ELNS0_17block_load_methodE3ELS4_3ELS4_3ELNS0_20block_scan_algorithmE0ELj4294967295EEENS1_25partition_config_selectorILNS1_17partition_subalgoE3EjNS0_10empty_typeEbEEZZNS1_14partition_implILS8_3ELb0ES6_jNS0_17counting_iteratorIjlEEPS9_SE_NS0_5tupleIJPjSE_EEENSF_IJSE_SE_EEES9_SG_JZNS1_25segmented_radix_sort_implINS0_14default_configELb0EPK12hip_bfloat16PSL_PKlPlN2at6native12_GLOBAL__N_18offset_tEEE10hipError_tPvRmT1_PNSt15iterator_traitsISZ_E10value_typeET2_T3_PNS10_IS15_E10value_typeET4_jRbjT5_S1B_jjP12ihipStream_tbEUljE_EEESW_SX_SY_S15_S19_S1B_T6_T7_T9_mT8_S1D_bDpT10_ENKUlT_T0_E_clISt17integral_constantIbLb1EES1P_IbLb0EEEEDaS1L_S1M_EUlS1L_E_NS1_11comp_targetILNS1_3genE9ELNS1_11target_archE1100ELNS1_3gpuE3ELNS1_3repE0EEENS1_30default_config_static_selectorELNS0_4arch9wavefront6targetE1EEEvSZ_.numbered_sgpr, 0
	.set _ZN7rocprim17ROCPRIM_400000_NS6detail17trampoline_kernelINS0_13select_configILj256ELj13ELNS0_17block_load_methodE3ELS4_3ELS4_3ELNS0_20block_scan_algorithmE0ELj4294967295EEENS1_25partition_config_selectorILNS1_17partition_subalgoE3EjNS0_10empty_typeEbEEZZNS1_14partition_implILS8_3ELb0ES6_jNS0_17counting_iteratorIjlEEPS9_SE_NS0_5tupleIJPjSE_EEENSF_IJSE_SE_EEES9_SG_JZNS1_25segmented_radix_sort_implINS0_14default_configELb0EPK12hip_bfloat16PSL_PKlPlN2at6native12_GLOBAL__N_18offset_tEEE10hipError_tPvRmT1_PNSt15iterator_traitsISZ_E10value_typeET2_T3_PNS10_IS15_E10value_typeET4_jRbjT5_S1B_jjP12ihipStream_tbEUljE_EEESW_SX_SY_S15_S19_S1B_T6_T7_T9_mT8_S1D_bDpT10_ENKUlT_T0_E_clISt17integral_constantIbLb1EES1P_IbLb0EEEEDaS1L_S1M_EUlS1L_E_NS1_11comp_targetILNS1_3genE9ELNS1_11target_archE1100ELNS1_3gpuE3ELNS1_3repE0EEENS1_30default_config_static_selectorELNS0_4arch9wavefront6targetE1EEEvSZ_.num_named_barrier, 0
	.set _ZN7rocprim17ROCPRIM_400000_NS6detail17trampoline_kernelINS0_13select_configILj256ELj13ELNS0_17block_load_methodE3ELS4_3ELS4_3ELNS0_20block_scan_algorithmE0ELj4294967295EEENS1_25partition_config_selectorILNS1_17partition_subalgoE3EjNS0_10empty_typeEbEEZZNS1_14partition_implILS8_3ELb0ES6_jNS0_17counting_iteratorIjlEEPS9_SE_NS0_5tupleIJPjSE_EEENSF_IJSE_SE_EEES9_SG_JZNS1_25segmented_radix_sort_implINS0_14default_configELb0EPK12hip_bfloat16PSL_PKlPlN2at6native12_GLOBAL__N_18offset_tEEE10hipError_tPvRmT1_PNSt15iterator_traitsISZ_E10value_typeET2_T3_PNS10_IS15_E10value_typeET4_jRbjT5_S1B_jjP12ihipStream_tbEUljE_EEESW_SX_SY_S15_S19_S1B_T6_T7_T9_mT8_S1D_bDpT10_ENKUlT_T0_E_clISt17integral_constantIbLb1EES1P_IbLb0EEEEDaS1L_S1M_EUlS1L_E_NS1_11comp_targetILNS1_3genE9ELNS1_11target_archE1100ELNS1_3gpuE3ELNS1_3repE0EEENS1_30default_config_static_selectorELNS0_4arch9wavefront6targetE1EEEvSZ_.private_seg_size, 0
	.set _ZN7rocprim17ROCPRIM_400000_NS6detail17trampoline_kernelINS0_13select_configILj256ELj13ELNS0_17block_load_methodE3ELS4_3ELS4_3ELNS0_20block_scan_algorithmE0ELj4294967295EEENS1_25partition_config_selectorILNS1_17partition_subalgoE3EjNS0_10empty_typeEbEEZZNS1_14partition_implILS8_3ELb0ES6_jNS0_17counting_iteratorIjlEEPS9_SE_NS0_5tupleIJPjSE_EEENSF_IJSE_SE_EEES9_SG_JZNS1_25segmented_radix_sort_implINS0_14default_configELb0EPK12hip_bfloat16PSL_PKlPlN2at6native12_GLOBAL__N_18offset_tEEE10hipError_tPvRmT1_PNSt15iterator_traitsISZ_E10value_typeET2_T3_PNS10_IS15_E10value_typeET4_jRbjT5_S1B_jjP12ihipStream_tbEUljE_EEESW_SX_SY_S15_S19_S1B_T6_T7_T9_mT8_S1D_bDpT10_ENKUlT_T0_E_clISt17integral_constantIbLb1EES1P_IbLb0EEEEDaS1L_S1M_EUlS1L_E_NS1_11comp_targetILNS1_3genE9ELNS1_11target_archE1100ELNS1_3gpuE3ELNS1_3repE0EEENS1_30default_config_static_selectorELNS0_4arch9wavefront6targetE1EEEvSZ_.uses_vcc, 0
	.set _ZN7rocprim17ROCPRIM_400000_NS6detail17trampoline_kernelINS0_13select_configILj256ELj13ELNS0_17block_load_methodE3ELS4_3ELS4_3ELNS0_20block_scan_algorithmE0ELj4294967295EEENS1_25partition_config_selectorILNS1_17partition_subalgoE3EjNS0_10empty_typeEbEEZZNS1_14partition_implILS8_3ELb0ES6_jNS0_17counting_iteratorIjlEEPS9_SE_NS0_5tupleIJPjSE_EEENSF_IJSE_SE_EEES9_SG_JZNS1_25segmented_radix_sort_implINS0_14default_configELb0EPK12hip_bfloat16PSL_PKlPlN2at6native12_GLOBAL__N_18offset_tEEE10hipError_tPvRmT1_PNSt15iterator_traitsISZ_E10value_typeET2_T3_PNS10_IS15_E10value_typeET4_jRbjT5_S1B_jjP12ihipStream_tbEUljE_EEESW_SX_SY_S15_S19_S1B_T6_T7_T9_mT8_S1D_bDpT10_ENKUlT_T0_E_clISt17integral_constantIbLb1EES1P_IbLb0EEEEDaS1L_S1M_EUlS1L_E_NS1_11comp_targetILNS1_3genE9ELNS1_11target_archE1100ELNS1_3gpuE3ELNS1_3repE0EEENS1_30default_config_static_selectorELNS0_4arch9wavefront6targetE1EEEvSZ_.uses_flat_scratch, 0
	.set _ZN7rocprim17ROCPRIM_400000_NS6detail17trampoline_kernelINS0_13select_configILj256ELj13ELNS0_17block_load_methodE3ELS4_3ELS4_3ELNS0_20block_scan_algorithmE0ELj4294967295EEENS1_25partition_config_selectorILNS1_17partition_subalgoE3EjNS0_10empty_typeEbEEZZNS1_14partition_implILS8_3ELb0ES6_jNS0_17counting_iteratorIjlEEPS9_SE_NS0_5tupleIJPjSE_EEENSF_IJSE_SE_EEES9_SG_JZNS1_25segmented_radix_sort_implINS0_14default_configELb0EPK12hip_bfloat16PSL_PKlPlN2at6native12_GLOBAL__N_18offset_tEEE10hipError_tPvRmT1_PNSt15iterator_traitsISZ_E10value_typeET2_T3_PNS10_IS15_E10value_typeET4_jRbjT5_S1B_jjP12ihipStream_tbEUljE_EEESW_SX_SY_S15_S19_S1B_T6_T7_T9_mT8_S1D_bDpT10_ENKUlT_T0_E_clISt17integral_constantIbLb1EES1P_IbLb0EEEEDaS1L_S1M_EUlS1L_E_NS1_11comp_targetILNS1_3genE9ELNS1_11target_archE1100ELNS1_3gpuE3ELNS1_3repE0EEENS1_30default_config_static_selectorELNS0_4arch9wavefront6targetE1EEEvSZ_.has_dyn_sized_stack, 0
	.set _ZN7rocprim17ROCPRIM_400000_NS6detail17trampoline_kernelINS0_13select_configILj256ELj13ELNS0_17block_load_methodE3ELS4_3ELS4_3ELNS0_20block_scan_algorithmE0ELj4294967295EEENS1_25partition_config_selectorILNS1_17partition_subalgoE3EjNS0_10empty_typeEbEEZZNS1_14partition_implILS8_3ELb0ES6_jNS0_17counting_iteratorIjlEEPS9_SE_NS0_5tupleIJPjSE_EEENSF_IJSE_SE_EEES9_SG_JZNS1_25segmented_radix_sort_implINS0_14default_configELb0EPK12hip_bfloat16PSL_PKlPlN2at6native12_GLOBAL__N_18offset_tEEE10hipError_tPvRmT1_PNSt15iterator_traitsISZ_E10value_typeET2_T3_PNS10_IS15_E10value_typeET4_jRbjT5_S1B_jjP12ihipStream_tbEUljE_EEESW_SX_SY_S15_S19_S1B_T6_T7_T9_mT8_S1D_bDpT10_ENKUlT_T0_E_clISt17integral_constantIbLb1EES1P_IbLb0EEEEDaS1L_S1M_EUlS1L_E_NS1_11comp_targetILNS1_3genE9ELNS1_11target_archE1100ELNS1_3gpuE3ELNS1_3repE0EEENS1_30default_config_static_selectorELNS0_4arch9wavefront6targetE1EEEvSZ_.has_recursion, 0
	.set _ZN7rocprim17ROCPRIM_400000_NS6detail17trampoline_kernelINS0_13select_configILj256ELj13ELNS0_17block_load_methodE3ELS4_3ELS4_3ELNS0_20block_scan_algorithmE0ELj4294967295EEENS1_25partition_config_selectorILNS1_17partition_subalgoE3EjNS0_10empty_typeEbEEZZNS1_14partition_implILS8_3ELb0ES6_jNS0_17counting_iteratorIjlEEPS9_SE_NS0_5tupleIJPjSE_EEENSF_IJSE_SE_EEES9_SG_JZNS1_25segmented_radix_sort_implINS0_14default_configELb0EPK12hip_bfloat16PSL_PKlPlN2at6native12_GLOBAL__N_18offset_tEEE10hipError_tPvRmT1_PNSt15iterator_traitsISZ_E10value_typeET2_T3_PNS10_IS15_E10value_typeET4_jRbjT5_S1B_jjP12ihipStream_tbEUljE_EEESW_SX_SY_S15_S19_S1B_T6_T7_T9_mT8_S1D_bDpT10_ENKUlT_T0_E_clISt17integral_constantIbLb1EES1P_IbLb0EEEEDaS1L_S1M_EUlS1L_E_NS1_11comp_targetILNS1_3genE9ELNS1_11target_archE1100ELNS1_3gpuE3ELNS1_3repE0EEENS1_30default_config_static_selectorELNS0_4arch9wavefront6targetE1EEEvSZ_.has_indirect_call, 0
	.section	.AMDGPU.csdata,"",@progbits
; Kernel info:
; codeLenInByte = 0
; TotalNumSgprs: 4
; NumVgprs: 0
; ScratchSize: 0
; MemoryBound: 0
; FloatMode: 240
; IeeeMode: 1
; LDSByteSize: 0 bytes/workgroup (compile time only)
; SGPRBlocks: 0
; VGPRBlocks: 0
; NumSGPRsForWavesPerEU: 4
; NumVGPRsForWavesPerEU: 1
; Occupancy: 10
; WaveLimiterHint : 0
; COMPUTE_PGM_RSRC2:SCRATCH_EN: 0
; COMPUTE_PGM_RSRC2:USER_SGPR: 6
; COMPUTE_PGM_RSRC2:TRAP_HANDLER: 0
; COMPUTE_PGM_RSRC2:TGID_X_EN: 1
; COMPUTE_PGM_RSRC2:TGID_Y_EN: 0
; COMPUTE_PGM_RSRC2:TGID_Z_EN: 0
; COMPUTE_PGM_RSRC2:TIDIG_COMP_CNT: 0
	.section	.text._ZN7rocprim17ROCPRIM_400000_NS6detail17trampoline_kernelINS0_13select_configILj256ELj13ELNS0_17block_load_methodE3ELS4_3ELS4_3ELNS0_20block_scan_algorithmE0ELj4294967295EEENS1_25partition_config_selectorILNS1_17partition_subalgoE3EjNS0_10empty_typeEbEEZZNS1_14partition_implILS8_3ELb0ES6_jNS0_17counting_iteratorIjlEEPS9_SE_NS0_5tupleIJPjSE_EEENSF_IJSE_SE_EEES9_SG_JZNS1_25segmented_radix_sort_implINS0_14default_configELb0EPK12hip_bfloat16PSL_PKlPlN2at6native12_GLOBAL__N_18offset_tEEE10hipError_tPvRmT1_PNSt15iterator_traitsISZ_E10value_typeET2_T3_PNS10_IS15_E10value_typeET4_jRbjT5_S1B_jjP12ihipStream_tbEUljE_EEESW_SX_SY_S15_S19_S1B_T6_T7_T9_mT8_S1D_bDpT10_ENKUlT_T0_E_clISt17integral_constantIbLb1EES1P_IbLb0EEEEDaS1L_S1M_EUlS1L_E_NS1_11comp_targetILNS1_3genE8ELNS1_11target_archE1030ELNS1_3gpuE2ELNS1_3repE0EEENS1_30default_config_static_selectorELNS0_4arch9wavefront6targetE1EEEvSZ_,"axG",@progbits,_ZN7rocprim17ROCPRIM_400000_NS6detail17trampoline_kernelINS0_13select_configILj256ELj13ELNS0_17block_load_methodE3ELS4_3ELS4_3ELNS0_20block_scan_algorithmE0ELj4294967295EEENS1_25partition_config_selectorILNS1_17partition_subalgoE3EjNS0_10empty_typeEbEEZZNS1_14partition_implILS8_3ELb0ES6_jNS0_17counting_iteratorIjlEEPS9_SE_NS0_5tupleIJPjSE_EEENSF_IJSE_SE_EEES9_SG_JZNS1_25segmented_radix_sort_implINS0_14default_configELb0EPK12hip_bfloat16PSL_PKlPlN2at6native12_GLOBAL__N_18offset_tEEE10hipError_tPvRmT1_PNSt15iterator_traitsISZ_E10value_typeET2_T3_PNS10_IS15_E10value_typeET4_jRbjT5_S1B_jjP12ihipStream_tbEUljE_EEESW_SX_SY_S15_S19_S1B_T6_T7_T9_mT8_S1D_bDpT10_ENKUlT_T0_E_clISt17integral_constantIbLb1EES1P_IbLb0EEEEDaS1L_S1M_EUlS1L_E_NS1_11comp_targetILNS1_3genE8ELNS1_11target_archE1030ELNS1_3gpuE2ELNS1_3repE0EEENS1_30default_config_static_selectorELNS0_4arch9wavefront6targetE1EEEvSZ_,comdat
	.globl	_ZN7rocprim17ROCPRIM_400000_NS6detail17trampoline_kernelINS0_13select_configILj256ELj13ELNS0_17block_load_methodE3ELS4_3ELS4_3ELNS0_20block_scan_algorithmE0ELj4294967295EEENS1_25partition_config_selectorILNS1_17partition_subalgoE3EjNS0_10empty_typeEbEEZZNS1_14partition_implILS8_3ELb0ES6_jNS0_17counting_iteratorIjlEEPS9_SE_NS0_5tupleIJPjSE_EEENSF_IJSE_SE_EEES9_SG_JZNS1_25segmented_radix_sort_implINS0_14default_configELb0EPK12hip_bfloat16PSL_PKlPlN2at6native12_GLOBAL__N_18offset_tEEE10hipError_tPvRmT1_PNSt15iterator_traitsISZ_E10value_typeET2_T3_PNS10_IS15_E10value_typeET4_jRbjT5_S1B_jjP12ihipStream_tbEUljE_EEESW_SX_SY_S15_S19_S1B_T6_T7_T9_mT8_S1D_bDpT10_ENKUlT_T0_E_clISt17integral_constantIbLb1EES1P_IbLb0EEEEDaS1L_S1M_EUlS1L_E_NS1_11comp_targetILNS1_3genE8ELNS1_11target_archE1030ELNS1_3gpuE2ELNS1_3repE0EEENS1_30default_config_static_selectorELNS0_4arch9wavefront6targetE1EEEvSZ_ ; -- Begin function _ZN7rocprim17ROCPRIM_400000_NS6detail17trampoline_kernelINS0_13select_configILj256ELj13ELNS0_17block_load_methodE3ELS4_3ELS4_3ELNS0_20block_scan_algorithmE0ELj4294967295EEENS1_25partition_config_selectorILNS1_17partition_subalgoE3EjNS0_10empty_typeEbEEZZNS1_14partition_implILS8_3ELb0ES6_jNS0_17counting_iteratorIjlEEPS9_SE_NS0_5tupleIJPjSE_EEENSF_IJSE_SE_EEES9_SG_JZNS1_25segmented_radix_sort_implINS0_14default_configELb0EPK12hip_bfloat16PSL_PKlPlN2at6native12_GLOBAL__N_18offset_tEEE10hipError_tPvRmT1_PNSt15iterator_traitsISZ_E10value_typeET2_T3_PNS10_IS15_E10value_typeET4_jRbjT5_S1B_jjP12ihipStream_tbEUljE_EEESW_SX_SY_S15_S19_S1B_T6_T7_T9_mT8_S1D_bDpT10_ENKUlT_T0_E_clISt17integral_constantIbLb1EES1P_IbLb0EEEEDaS1L_S1M_EUlS1L_E_NS1_11comp_targetILNS1_3genE8ELNS1_11target_archE1030ELNS1_3gpuE2ELNS1_3repE0EEENS1_30default_config_static_selectorELNS0_4arch9wavefront6targetE1EEEvSZ_
	.p2align	8
	.type	_ZN7rocprim17ROCPRIM_400000_NS6detail17trampoline_kernelINS0_13select_configILj256ELj13ELNS0_17block_load_methodE3ELS4_3ELS4_3ELNS0_20block_scan_algorithmE0ELj4294967295EEENS1_25partition_config_selectorILNS1_17partition_subalgoE3EjNS0_10empty_typeEbEEZZNS1_14partition_implILS8_3ELb0ES6_jNS0_17counting_iteratorIjlEEPS9_SE_NS0_5tupleIJPjSE_EEENSF_IJSE_SE_EEES9_SG_JZNS1_25segmented_radix_sort_implINS0_14default_configELb0EPK12hip_bfloat16PSL_PKlPlN2at6native12_GLOBAL__N_18offset_tEEE10hipError_tPvRmT1_PNSt15iterator_traitsISZ_E10value_typeET2_T3_PNS10_IS15_E10value_typeET4_jRbjT5_S1B_jjP12ihipStream_tbEUljE_EEESW_SX_SY_S15_S19_S1B_T6_T7_T9_mT8_S1D_bDpT10_ENKUlT_T0_E_clISt17integral_constantIbLb1EES1P_IbLb0EEEEDaS1L_S1M_EUlS1L_E_NS1_11comp_targetILNS1_3genE8ELNS1_11target_archE1030ELNS1_3gpuE2ELNS1_3repE0EEENS1_30default_config_static_selectorELNS0_4arch9wavefront6targetE1EEEvSZ_,@function
_ZN7rocprim17ROCPRIM_400000_NS6detail17trampoline_kernelINS0_13select_configILj256ELj13ELNS0_17block_load_methodE3ELS4_3ELS4_3ELNS0_20block_scan_algorithmE0ELj4294967295EEENS1_25partition_config_selectorILNS1_17partition_subalgoE3EjNS0_10empty_typeEbEEZZNS1_14partition_implILS8_3ELb0ES6_jNS0_17counting_iteratorIjlEEPS9_SE_NS0_5tupleIJPjSE_EEENSF_IJSE_SE_EEES9_SG_JZNS1_25segmented_radix_sort_implINS0_14default_configELb0EPK12hip_bfloat16PSL_PKlPlN2at6native12_GLOBAL__N_18offset_tEEE10hipError_tPvRmT1_PNSt15iterator_traitsISZ_E10value_typeET2_T3_PNS10_IS15_E10value_typeET4_jRbjT5_S1B_jjP12ihipStream_tbEUljE_EEESW_SX_SY_S15_S19_S1B_T6_T7_T9_mT8_S1D_bDpT10_ENKUlT_T0_E_clISt17integral_constantIbLb1EES1P_IbLb0EEEEDaS1L_S1M_EUlS1L_E_NS1_11comp_targetILNS1_3genE8ELNS1_11target_archE1030ELNS1_3gpuE2ELNS1_3repE0EEENS1_30default_config_static_selectorELNS0_4arch9wavefront6targetE1EEEvSZ_: ; @_ZN7rocprim17ROCPRIM_400000_NS6detail17trampoline_kernelINS0_13select_configILj256ELj13ELNS0_17block_load_methodE3ELS4_3ELS4_3ELNS0_20block_scan_algorithmE0ELj4294967295EEENS1_25partition_config_selectorILNS1_17partition_subalgoE3EjNS0_10empty_typeEbEEZZNS1_14partition_implILS8_3ELb0ES6_jNS0_17counting_iteratorIjlEEPS9_SE_NS0_5tupleIJPjSE_EEENSF_IJSE_SE_EEES9_SG_JZNS1_25segmented_radix_sort_implINS0_14default_configELb0EPK12hip_bfloat16PSL_PKlPlN2at6native12_GLOBAL__N_18offset_tEEE10hipError_tPvRmT1_PNSt15iterator_traitsISZ_E10value_typeET2_T3_PNS10_IS15_E10value_typeET4_jRbjT5_S1B_jjP12ihipStream_tbEUljE_EEESW_SX_SY_S15_S19_S1B_T6_T7_T9_mT8_S1D_bDpT10_ENKUlT_T0_E_clISt17integral_constantIbLb1EES1P_IbLb0EEEEDaS1L_S1M_EUlS1L_E_NS1_11comp_targetILNS1_3genE8ELNS1_11target_archE1030ELNS1_3gpuE2ELNS1_3repE0EEENS1_30default_config_static_selectorELNS0_4arch9wavefront6targetE1EEEvSZ_
; %bb.0:
	.section	.rodata,"a",@progbits
	.p2align	6, 0x0
	.amdhsa_kernel _ZN7rocprim17ROCPRIM_400000_NS6detail17trampoline_kernelINS0_13select_configILj256ELj13ELNS0_17block_load_methodE3ELS4_3ELS4_3ELNS0_20block_scan_algorithmE0ELj4294967295EEENS1_25partition_config_selectorILNS1_17partition_subalgoE3EjNS0_10empty_typeEbEEZZNS1_14partition_implILS8_3ELb0ES6_jNS0_17counting_iteratorIjlEEPS9_SE_NS0_5tupleIJPjSE_EEENSF_IJSE_SE_EEES9_SG_JZNS1_25segmented_radix_sort_implINS0_14default_configELb0EPK12hip_bfloat16PSL_PKlPlN2at6native12_GLOBAL__N_18offset_tEEE10hipError_tPvRmT1_PNSt15iterator_traitsISZ_E10value_typeET2_T3_PNS10_IS15_E10value_typeET4_jRbjT5_S1B_jjP12ihipStream_tbEUljE_EEESW_SX_SY_S15_S19_S1B_T6_T7_T9_mT8_S1D_bDpT10_ENKUlT_T0_E_clISt17integral_constantIbLb1EES1P_IbLb0EEEEDaS1L_S1M_EUlS1L_E_NS1_11comp_targetILNS1_3genE8ELNS1_11target_archE1030ELNS1_3gpuE2ELNS1_3repE0EEENS1_30default_config_static_selectorELNS0_4arch9wavefront6targetE1EEEvSZ_
		.amdhsa_group_segment_fixed_size 0
		.amdhsa_private_segment_fixed_size 0
		.amdhsa_kernarg_size 144
		.amdhsa_user_sgpr_count 6
		.amdhsa_user_sgpr_private_segment_buffer 1
		.amdhsa_user_sgpr_dispatch_ptr 0
		.amdhsa_user_sgpr_queue_ptr 0
		.amdhsa_user_sgpr_kernarg_segment_ptr 1
		.amdhsa_user_sgpr_dispatch_id 0
		.amdhsa_user_sgpr_flat_scratch_init 0
		.amdhsa_user_sgpr_private_segment_size 0
		.amdhsa_uses_dynamic_stack 0
		.amdhsa_system_sgpr_private_segment_wavefront_offset 0
		.amdhsa_system_sgpr_workgroup_id_x 1
		.amdhsa_system_sgpr_workgroup_id_y 0
		.amdhsa_system_sgpr_workgroup_id_z 0
		.amdhsa_system_sgpr_workgroup_info 0
		.amdhsa_system_vgpr_workitem_id 0
		.amdhsa_next_free_vgpr 1
		.amdhsa_next_free_sgpr 0
		.amdhsa_reserve_vcc 0
		.amdhsa_reserve_flat_scratch 0
		.amdhsa_float_round_mode_32 0
		.amdhsa_float_round_mode_16_64 0
		.amdhsa_float_denorm_mode_32 3
		.amdhsa_float_denorm_mode_16_64 3
		.amdhsa_dx10_clamp 1
		.amdhsa_ieee_mode 1
		.amdhsa_fp16_overflow 0
		.amdhsa_exception_fp_ieee_invalid_op 0
		.amdhsa_exception_fp_denorm_src 0
		.amdhsa_exception_fp_ieee_div_zero 0
		.amdhsa_exception_fp_ieee_overflow 0
		.amdhsa_exception_fp_ieee_underflow 0
		.amdhsa_exception_fp_ieee_inexact 0
		.amdhsa_exception_int_div_zero 0
	.end_amdhsa_kernel
	.section	.text._ZN7rocprim17ROCPRIM_400000_NS6detail17trampoline_kernelINS0_13select_configILj256ELj13ELNS0_17block_load_methodE3ELS4_3ELS4_3ELNS0_20block_scan_algorithmE0ELj4294967295EEENS1_25partition_config_selectorILNS1_17partition_subalgoE3EjNS0_10empty_typeEbEEZZNS1_14partition_implILS8_3ELb0ES6_jNS0_17counting_iteratorIjlEEPS9_SE_NS0_5tupleIJPjSE_EEENSF_IJSE_SE_EEES9_SG_JZNS1_25segmented_radix_sort_implINS0_14default_configELb0EPK12hip_bfloat16PSL_PKlPlN2at6native12_GLOBAL__N_18offset_tEEE10hipError_tPvRmT1_PNSt15iterator_traitsISZ_E10value_typeET2_T3_PNS10_IS15_E10value_typeET4_jRbjT5_S1B_jjP12ihipStream_tbEUljE_EEESW_SX_SY_S15_S19_S1B_T6_T7_T9_mT8_S1D_bDpT10_ENKUlT_T0_E_clISt17integral_constantIbLb1EES1P_IbLb0EEEEDaS1L_S1M_EUlS1L_E_NS1_11comp_targetILNS1_3genE8ELNS1_11target_archE1030ELNS1_3gpuE2ELNS1_3repE0EEENS1_30default_config_static_selectorELNS0_4arch9wavefront6targetE1EEEvSZ_,"axG",@progbits,_ZN7rocprim17ROCPRIM_400000_NS6detail17trampoline_kernelINS0_13select_configILj256ELj13ELNS0_17block_load_methodE3ELS4_3ELS4_3ELNS0_20block_scan_algorithmE0ELj4294967295EEENS1_25partition_config_selectorILNS1_17partition_subalgoE3EjNS0_10empty_typeEbEEZZNS1_14partition_implILS8_3ELb0ES6_jNS0_17counting_iteratorIjlEEPS9_SE_NS0_5tupleIJPjSE_EEENSF_IJSE_SE_EEES9_SG_JZNS1_25segmented_radix_sort_implINS0_14default_configELb0EPK12hip_bfloat16PSL_PKlPlN2at6native12_GLOBAL__N_18offset_tEEE10hipError_tPvRmT1_PNSt15iterator_traitsISZ_E10value_typeET2_T3_PNS10_IS15_E10value_typeET4_jRbjT5_S1B_jjP12ihipStream_tbEUljE_EEESW_SX_SY_S15_S19_S1B_T6_T7_T9_mT8_S1D_bDpT10_ENKUlT_T0_E_clISt17integral_constantIbLb1EES1P_IbLb0EEEEDaS1L_S1M_EUlS1L_E_NS1_11comp_targetILNS1_3genE8ELNS1_11target_archE1030ELNS1_3gpuE2ELNS1_3repE0EEENS1_30default_config_static_selectorELNS0_4arch9wavefront6targetE1EEEvSZ_,comdat
.Lfunc_end2040:
	.size	_ZN7rocprim17ROCPRIM_400000_NS6detail17trampoline_kernelINS0_13select_configILj256ELj13ELNS0_17block_load_methodE3ELS4_3ELS4_3ELNS0_20block_scan_algorithmE0ELj4294967295EEENS1_25partition_config_selectorILNS1_17partition_subalgoE3EjNS0_10empty_typeEbEEZZNS1_14partition_implILS8_3ELb0ES6_jNS0_17counting_iteratorIjlEEPS9_SE_NS0_5tupleIJPjSE_EEENSF_IJSE_SE_EEES9_SG_JZNS1_25segmented_radix_sort_implINS0_14default_configELb0EPK12hip_bfloat16PSL_PKlPlN2at6native12_GLOBAL__N_18offset_tEEE10hipError_tPvRmT1_PNSt15iterator_traitsISZ_E10value_typeET2_T3_PNS10_IS15_E10value_typeET4_jRbjT5_S1B_jjP12ihipStream_tbEUljE_EEESW_SX_SY_S15_S19_S1B_T6_T7_T9_mT8_S1D_bDpT10_ENKUlT_T0_E_clISt17integral_constantIbLb1EES1P_IbLb0EEEEDaS1L_S1M_EUlS1L_E_NS1_11comp_targetILNS1_3genE8ELNS1_11target_archE1030ELNS1_3gpuE2ELNS1_3repE0EEENS1_30default_config_static_selectorELNS0_4arch9wavefront6targetE1EEEvSZ_, .Lfunc_end2040-_ZN7rocprim17ROCPRIM_400000_NS6detail17trampoline_kernelINS0_13select_configILj256ELj13ELNS0_17block_load_methodE3ELS4_3ELS4_3ELNS0_20block_scan_algorithmE0ELj4294967295EEENS1_25partition_config_selectorILNS1_17partition_subalgoE3EjNS0_10empty_typeEbEEZZNS1_14partition_implILS8_3ELb0ES6_jNS0_17counting_iteratorIjlEEPS9_SE_NS0_5tupleIJPjSE_EEENSF_IJSE_SE_EEES9_SG_JZNS1_25segmented_radix_sort_implINS0_14default_configELb0EPK12hip_bfloat16PSL_PKlPlN2at6native12_GLOBAL__N_18offset_tEEE10hipError_tPvRmT1_PNSt15iterator_traitsISZ_E10value_typeET2_T3_PNS10_IS15_E10value_typeET4_jRbjT5_S1B_jjP12ihipStream_tbEUljE_EEESW_SX_SY_S15_S19_S1B_T6_T7_T9_mT8_S1D_bDpT10_ENKUlT_T0_E_clISt17integral_constantIbLb1EES1P_IbLb0EEEEDaS1L_S1M_EUlS1L_E_NS1_11comp_targetILNS1_3genE8ELNS1_11target_archE1030ELNS1_3gpuE2ELNS1_3repE0EEENS1_30default_config_static_selectorELNS0_4arch9wavefront6targetE1EEEvSZ_
                                        ; -- End function
	.set _ZN7rocprim17ROCPRIM_400000_NS6detail17trampoline_kernelINS0_13select_configILj256ELj13ELNS0_17block_load_methodE3ELS4_3ELS4_3ELNS0_20block_scan_algorithmE0ELj4294967295EEENS1_25partition_config_selectorILNS1_17partition_subalgoE3EjNS0_10empty_typeEbEEZZNS1_14partition_implILS8_3ELb0ES6_jNS0_17counting_iteratorIjlEEPS9_SE_NS0_5tupleIJPjSE_EEENSF_IJSE_SE_EEES9_SG_JZNS1_25segmented_radix_sort_implINS0_14default_configELb0EPK12hip_bfloat16PSL_PKlPlN2at6native12_GLOBAL__N_18offset_tEEE10hipError_tPvRmT1_PNSt15iterator_traitsISZ_E10value_typeET2_T3_PNS10_IS15_E10value_typeET4_jRbjT5_S1B_jjP12ihipStream_tbEUljE_EEESW_SX_SY_S15_S19_S1B_T6_T7_T9_mT8_S1D_bDpT10_ENKUlT_T0_E_clISt17integral_constantIbLb1EES1P_IbLb0EEEEDaS1L_S1M_EUlS1L_E_NS1_11comp_targetILNS1_3genE8ELNS1_11target_archE1030ELNS1_3gpuE2ELNS1_3repE0EEENS1_30default_config_static_selectorELNS0_4arch9wavefront6targetE1EEEvSZ_.num_vgpr, 0
	.set _ZN7rocprim17ROCPRIM_400000_NS6detail17trampoline_kernelINS0_13select_configILj256ELj13ELNS0_17block_load_methodE3ELS4_3ELS4_3ELNS0_20block_scan_algorithmE0ELj4294967295EEENS1_25partition_config_selectorILNS1_17partition_subalgoE3EjNS0_10empty_typeEbEEZZNS1_14partition_implILS8_3ELb0ES6_jNS0_17counting_iteratorIjlEEPS9_SE_NS0_5tupleIJPjSE_EEENSF_IJSE_SE_EEES9_SG_JZNS1_25segmented_radix_sort_implINS0_14default_configELb0EPK12hip_bfloat16PSL_PKlPlN2at6native12_GLOBAL__N_18offset_tEEE10hipError_tPvRmT1_PNSt15iterator_traitsISZ_E10value_typeET2_T3_PNS10_IS15_E10value_typeET4_jRbjT5_S1B_jjP12ihipStream_tbEUljE_EEESW_SX_SY_S15_S19_S1B_T6_T7_T9_mT8_S1D_bDpT10_ENKUlT_T0_E_clISt17integral_constantIbLb1EES1P_IbLb0EEEEDaS1L_S1M_EUlS1L_E_NS1_11comp_targetILNS1_3genE8ELNS1_11target_archE1030ELNS1_3gpuE2ELNS1_3repE0EEENS1_30default_config_static_selectorELNS0_4arch9wavefront6targetE1EEEvSZ_.num_agpr, 0
	.set _ZN7rocprim17ROCPRIM_400000_NS6detail17trampoline_kernelINS0_13select_configILj256ELj13ELNS0_17block_load_methodE3ELS4_3ELS4_3ELNS0_20block_scan_algorithmE0ELj4294967295EEENS1_25partition_config_selectorILNS1_17partition_subalgoE3EjNS0_10empty_typeEbEEZZNS1_14partition_implILS8_3ELb0ES6_jNS0_17counting_iteratorIjlEEPS9_SE_NS0_5tupleIJPjSE_EEENSF_IJSE_SE_EEES9_SG_JZNS1_25segmented_radix_sort_implINS0_14default_configELb0EPK12hip_bfloat16PSL_PKlPlN2at6native12_GLOBAL__N_18offset_tEEE10hipError_tPvRmT1_PNSt15iterator_traitsISZ_E10value_typeET2_T3_PNS10_IS15_E10value_typeET4_jRbjT5_S1B_jjP12ihipStream_tbEUljE_EEESW_SX_SY_S15_S19_S1B_T6_T7_T9_mT8_S1D_bDpT10_ENKUlT_T0_E_clISt17integral_constantIbLb1EES1P_IbLb0EEEEDaS1L_S1M_EUlS1L_E_NS1_11comp_targetILNS1_3genE8ELNS1_11target_archE1030ELNS1_3gpuE2ELNS1_3repE0EEENS1_30default_config_static_selectorELNS0_4arch9wavefront6targetE1EEEvSZ_.numbered_sgpr, 0
	.set _ZN7rocprim17ROCPRIM_400000_NS6detail17trampoline_kernelINS0_13select_configILj256ELj13ELNS0_17block_load_methodE3ELS4_3ELS4_3ELNS0_20block_scan_algorithmE0ELj4294967295EEENS1_25partition_config_selectorILNS1_17partition_subalgoE3EjNS0_10empty_typeEbEEZZNS1_14partition_implILS8_3ELb0ES6_jNS0_17counting_iteratorIjlEEPS9_SE_NS0_5tupleIJPjSE_EEENSF_IJSE_SE_EEES9_SG_JZNS1_25segmented_radix_sort_implINS0_14default_configELb0EPK12hip_bfloat16PSL_PKlPlN2at6native12_GLOBAL__N_18offset_tEEE10hipError_tPvRmT1_PNSt15iterator_traitsISZ_E10value_typeET2_T3_PNS10_IS15_E10value_typeET4_jRbjT5_S1B_jjP12ihipStream_tbEUljE_EEESW_SX_SY_S15_S19_S1B_T6_T7_T9_mT8_S1D_bDpT10_ENKUlT_T0_E_clISt17integral_constantIbLb1EES1P_IbLb0EEEEDaS1L_S1M_EUlS1L_E_NS1_11comp_targetILNS1_3genE8ELNS1_11target_archE1030ELNS1_3gpuE2ELNS1_3repE0EEENS1_30default_config_static_selectorELNS0_4arch9wavefront6targetE1EEEvSZ_.num_named_barrier, 0
	.set _ZN7rocprim17ROCPRIM_400000_NS6detail17trampoline_kernelINS0_13select_configILj256ELj13ELNS0_17block_load_methodE3ELS4_3ELS4_3ELNS0_20block_scan_algorithmE0ELj4294967295EEENS1_25partition_config_selectorILNS1_17partition_subalgoE3EjNS0_10empty_typeEbEEZZNS1_14partition_implILS8_3ELb0ES6_jNS0_17counting_iteratorIjlEEPS9_SE_NS0_5tupleIJPjSE_EEENSF_IJSE_SE_EEES9_SG_JZNS1_25segmented_radix_sort_implINS0_14default_configELb0EPK12hip_bfloat16PSL_PKlPlN2at6native12_GLOBAL__N_18offset_tEEE10hipError_tPvRmT1_PNSt15iterator_traitsISZ_E10value_typeET2_T3_PNS10_IS15_E10value_typeET4_jRbjT5_S1B_jjP12ihipStream_tbEUljE_EEESW_SX_SY_S15_S19_S1B_T6_T7_T9_mT8_S1D_bDpT10_ENKUlT_T0_E_clISt17integral_constantIbLb1EES1P_IbLb0EEEEDaS1L_S1M_EUlS1L_E_NS1_11comp_targetILNS1_3genE8ELNS1_11target_archE1030ELNS1_3gpuE2ELNS1_3repE0EEENS1_30default_config_static_selectorELNS0_4arch9wavefront6targetE1EEEvSZ_.private_seg_size, 0
	.set _ZN7rocprim17ROCPRIM_400000_NS6detail17trampoline_kernelINS0_13select_configILj256ELj13ELNS0_17block_load_methodE3ELS4_3ELS4_3ELNS0_20block_scan_algorithmE0ELj4294967295EEENS1_25partition_config_selectorILNS1_17partition_subalgoE3EjNS0_10empty_typeEbEEZZNS1_14partition_implILS8_3ELb0ES6_jNS0_17counting_iteratorIjlEEPS9_SE_NS0_5tupleIJPjSE_EEENSF_IJSE_SE_EEES9_SG_JZNS1_25segmented_radix_sort_implINS0_14default_configELb0EPK12hip_bfloat16PSL_PKlPlN2at6native12_GLOBAL__N_18offset_tEEE10hipError_tPvRmT1_PNSt15iterator_traitsISZ_E10value_typeET2_T3_PNS10_IS15_E10value_typeET4_jRbjT5_S1B_jjP12ihipStream_tbEUljE_EEESW_SX_SY_S15_S19_S1B_T6_T7_T9_mT8_S1D_bDpT10_ENKUlT_T0_E_clISt17integral_constantIbLb1EES1P_IbLb0EEEEDaS1L_S1M_EUlS1L_E_NS1_11comp_targetILNS1_3genE8ELNS1_11target_archE1030ELNS1_3gpuE2ELNS1_3repE0EEENS1_30default_config_static_selectorELNS0_4arch9wavefront6targetE1EEEvSZ_.uses_vcc, 0
	.set _ZN7rocprim17ROCPRIM_400000_NS6detail17trampoline_kernelINS0_13select_configILj256ELj13ELNS0_17block_load_methodE3ELS4_3ELS4_3ELNS0_20block_scan_algorithmE0ELj4294967295EEENS1_25partition_config_selectorILNS1_17partition_subalgoE3EjNS0_10empty_typeEbEEZZNS1_14partition_implILS8_3ELb0ES6_jNS0_17counting_iteratorIjlEEPS9_SE_NS0_5tupleIJPjSE_EEENSF_IJSE_SE_EEES9_SG_JZNS1_25segmented_radix_sort_implINS0_14default_configELb0EPK12hip_bfloat16PSL_PKlPlN2at6native12_GLOBAL__N_18offset_tEEE10hipError_tPvRmT1_PNSt15iterator_traitsISZ_E10value_typeET2_T3_PNS10_IS15_E10value_typeET4_jRbjT5_S1B_jjP12ihipStream_tbEUljE_EEESW_SX_SY_S15_S19_S1B_T6_T7_T9_mT8_S1D_bDpT10_ENKUlT_T0_E_clISt17integral_constantIbLb1EES1P_IbLb0EEEEDaS1L_S1M_EUlS1L_E_NS1_11comp_targetILNS1_3genE8ELNS1_11target_archE1030ELNS1_3gpuE2ELNS1_3repE0EEENS1_30default_config_static_selectorELNS0_4arch9wavefront6targetE1EEEvSZ_.uses_flat_scratch, 0
	.set _ZN7rocprim17ROCPRIM_400000_NS6detail17trampoline_kernelINS0_13select_configILj256ELj13ELNS0_17block_load_methodE3ELS4_3ELS4_3ELNS0_20block_scan_algorithmE0ELj4294967295EEENS1_25partition_config_selectorILNS1_17partition_subalgoE3EjNS0_10empty_typeEbEEZZNS1_14partition_implILS8_3ELb0ES6_jNS0_17counting_iteratorIjlEEPS9_SE_NS0_5tupleIJPjSE_EEENSF_IJSE_SE_EEES9_SG_JZNS1_25segmented_radix_sort_implINS0_14default_configELb0EPK12hip_bfloat16PSL_PKlPlN2at6native12_GLOBAL__N_18offset_tEEE10hipError_tPvRmT1_PNSt15iterator_traitsISZ_E10value_typeET2_T3_PNS10_IS15_E10value_typeET4_jRbjT5_S1B_jjP12ihipStream_tbEUljE_EEESW_SX_SY_S15_S19_S1B_T6_T7_T9_mT8_S1D_bDpT10_ENKUlT_T0_E_clISt17integral_constantIbLb1EES1P_IbLb0EEEEDaS1L_S1M_EUlS1L_E_NS1_11comp_targetILNS1_3genE8ELNS1_11target_archE1030ELNS1_3gpuE2ELNS1_3repE0EEENS1_30default_config_static_selectorELNS0_4arch9wavefront6targetE1EEEvSZ_.has_dyn_sized_stack, 0
	.set _ZN7rocprim17ROCPRIM_400000_NS6detail17trampoline_kernelINS0_13select_configILj256ELj13ELNS0_17block_load_methodE3ELS4_3ELS4_3ELNS0_20block_scan_algorithmE0ELj4294967295EEENS1_25partition_config_selectorILNS1_17partition_subalgoE3EjNS0_10empty_typeEbEEZZNS1_14partition_implILS8_3ELb0ES6_jNS0_17counting_iteratorIjlEEPS9_SE_NS0_5tupleIJPjSE_EEENSF_IJSE_SE_EEES9_SG_JZNS1_25segmented_radix_sort_implINS0_14default_configELb0EPK12hip_bfloat16PSL_PKlPlN2at6native12_GLOBAL__N_18offset_tEEE10hipError_tPvRmT1_PNSt15iterator_traitsISZ_E10value_typeET2_T3_PNS10_IS15_E10value_typeET4_jRbjT5_S1B_jjP12ihipStream_tbEUljE_EEESW_SX_SY_S15_S19_S1B_T6_T7_T9_mT8_S1D_bDpT10_ENKUlT_T0_E_clISt17integral_constantIbLb1EES1P_IbLb0EEEEDaS1L_S1M_EUlS1L_E_NS1_11comp_targetILNS1_3genE8ELNS1_11target_archE1030ELNS1_3gpuE2ELNS1_3repE0EEENS1_30default_config_static_selectorELNS0_4arch9wavefront6targetE1EEEvSZ_.has_recursion, 0
	.set _ZN7rocprim17ROCPRIM_400000_NS6detail17trampoline_kernelINS0_13select_configILj256ELj13ELNS0_17block_load_methodE3ELS4_3ELS4_3ELNS0_20block_scan_algorithmE0ELj4294967295EEENS1_25partition_config_selectorILNS1_17partition_subalgoE3EjNS0_10empty_typeEbEEZZNS1_14partition_implILS8_3ELb0ES6_jNS0_17counting_iteratorIjlEEPS9_SE_NS0_5tupleIJPjSE_EEENSF_IJSE_SE_EEES9_SG_JZNS1_25segmented_radix_sort_implINS0_14default_configELb0EPK12hip_bfloat16PSL_PKlPlN2at6native12_GLOBAL__N_18offset_tEEE10hipError_tPvRmT1_PNSt15iterator_traitsISZ_E10value_typeET2_T3_PNS10_IS15_E10value_typeET4_jRbjT5_S1B_jjP12ihipStream_tbEUljE_EEESW_SX_SY_S15_S19_S1B_T6_T7_T9_mT8_S1D_bDpT10_ENKUlT_T0_E_clISt17integral_constantIbLb1EES1P_IbLb0EEEEDaS1L_S1M_EUlS1L_E_NS1_11comp_targetILNS1_3genE8ELNS1_11target_archE1030ELNS1_3gpuE2ELNS1_3repE0EEENS1_30default_config_static_selectorELNS0_4arch9wavefront6targetE1EEEvSZ_.has_indirect_call, 0
	.section	.AMDGPU.csdata,"",@progbits
; Kernel info:
; codeLenInByte = 0
; TotalNumSgprs: 4
; NumVgprs: 0
; ScratchSize: 0
; MemoryBound: 0
; FloatMode: 240
; IeeeMode: 1
; LDSByteSize: 0 bytes/workgroup (compile time only)
; SGPRBlocks: 0
; VGPRBlocks: 0
; NumSGPRsForWavesPerEU: 4
; NumVGPRsForWavesPerEU: 1
; Occupancy: 10
; WaveLimiterHint : 0
; COMPUTE_PGM_RSRC2:SCRATCH_EN: 0
; COMPUTE_PGM_RSRC2:USER_SGPR: 6
; COMPUTE_PGM_RSRC2:TRAP_HANDLER: 0
; COMPUTE_PGM_RSRC2:TGID_X_EN: 1
; COMPUTE_PGM_RSRC2:TGID_Y_EN: 0
; COMPUTE_PGM_RSRC2:TGID_Z_EN: 0
; COMPUTE_PGM_RSRC2:TIDIG_COMP_CNT: 0
	.section	.text._ZN7rocprim17ROCPRIM_400000_NS6detail17trampoline_kernelINS0_13select_configILj256ELj13ELNS0_17block_load_methodE3ELS4_3ELS4_3ELNS0_20block_scan_algorithmE0ELj4294967295EEENS1_25partition_config_selectorILNS1_17partition_subalgoE3EjNS0_10empty_typeEbEEZZNS1_14partition_implILS8_3ELb0ES6_jNS0_17counting_iteratorIjlEEPS9_SE_NS0_5tupleIJPjSE_EEENSF_IJSE_SE_EEES9_SG_JZNS1_25segmented_radix_sort_implINS0_14default_configELb0EPK12hip_bfloat16PSL_PKlPlN2at6native12_GLOBAL__N_18offset_tEEE10hipError_tPvRmT1_PNSt15iterator_traitsISZ_E10value_typeET2_T3_PNS10_IS15_E10value_typeET4_jRbjT5_S1B_jjP12ihipStream_tbEUljE_EEESW_SX_SY_S15_S19_S1B_T6_T7_T9_mT8_S1D_bDpT10_ENKUlT_T0_E_clISt17integral_constantIbLb0EES1P_IbLb1EEEEDaS1L_S1M_EUlS1L_E_NS1_11comp_targetILNS1_3genE0ELNS1_11target_archE4294967295ELNS1_3gpuE0ELNS1_3repE0EEENS1_30default_config_static_selectorELNS0_4arch9wavefront6targetE1EEEvSZ_,"axG",@progbits,_ZN7rocprim17ROCPRIM_400000_NS6detail17trampoline_kernelINS0_13select_configILj256ELj13ELNS0_17block_load_methodE3ELS4_3ELS4_3ELNS0_20block_scan_algorithmE0ELj4294967295EEENS1_25partition_config_selectorILNS1_17partition_subalgoE3EjNS0_10empty_typeEbEEZZNS1_14partition_implILS8_3ELb0ES6_jNS0_17counting_iteratorIjlEEPS9_SE_NS0_5tupleIJPjSE_EEENSF_IJSE_SE_EEES9_SG_JZNS1_25segmented_radix_sort_implINS0_14default_configELb0EPK12hip_bfloat16PSL_PKlPlN2at6native12_GLOBAL__N_18offset_tEEE10hipError_tPvRmT1_PNSt15iterator_traitsISZ_E10value_typeET2_T3_PNS10_IS15_E10value_typeET4_jRbjT5_S1B_jjP12ihipStream_tbEUljE_EEESW_SX_SY_S15_S19_S1B_T6_T7_T9_mT8_S1D_bDpT10_ENKUlT_T0_E_clISt17integral_constantIbLb0EES1P_IbLb1EEEEDaS1L_S1M_EUlS1L_E_NS1_11comp_targetILNS1_3genE0ELNS1_11target_archE4294967295ELNS1_3gpuE0ELNS1_3repE0EEENS1_30default_config_static_selectorELNS0_4arch9wavefront6targetE1EEEvSZ_,comdat
	.globl	_ZN7rocprim17ROCPRIM_400000_NS6detail17trampoline_kernelINS0_13select_configILj256ELj13ELNS0_17block_load_methodE3ELS4_3ELS4_3ELNS0_20block_scan_algorithmE0ELj4294967295EEENS1_25partition_config_selectorILNS1_17partition_subalgoE3EjNS0_10empty_typeEbEEZZNS1_14partition_implILS8_3ELb0ES6_jNS0_17counting_iteratorIjlEEPS9_SE_NS0_5tupleIJPjSE_EEENSF_IJSE_SE_EEES9_SG_JZNS1_25segmented_radix_sort_implINS0_14default_configELb0EPK12hip_bfloat16PSL_PKlPlN2at6native12_GLOBAL__N_18offset_tEEE10hipError_tPvRmT1_PNSt15iterator_traitsISZ_E10value_typeET2_T3_PNS10_IS15_E10value_typeET4_jRbjT5_S1B_jjP12ihipStream_tbEUljE_EEESW_SX_SY_S15_S19_S1B_T6_T7_T9_mT8_S1D_bDpT10_ENKUlT_T0_E_clISt17integral_constantIbLb0EES1P_IbLb1EEEEDaS1L_S1M_EUlS1L_E_NS1_11comp_targetILNS1_3genE0ELNS1_11target_archE4294967295ELNS1_3gpuE0ELNS1_3repE0EEENS1_30default_config_static_selectorELNS0_4arch9wavefront6targetE1EEEvSZ_ ; -- Begin function _ZN7rocprim17ROCPRIM_400000_NS6detail17trampoline_kernelINS0_13select_configILj256ELj13ELNS0_17block_load_methodE3ELS4_3ELS4_3ELNS0_20block_scan_algorithmE0ELj4294967295EEENS1_25partition_config_selectorILNS1_17partition_subalgoE3EjNS0_10empty_typeEbEEZZNS1_14partition_implILS8_3ELb0ES6_jNS0_17counting_iteratorIjlEEPS9_SE_NS0_5tupleIJPjSE_EEENSF_IJSE_SE_EEES9_SG_JZNS1_25segmented_radix_sort_implINS0_14default_configELb0EPK12hip_bfloat16PSL_PKlPlN2at6native12_GLOBAL__N_18offset_tEEE10hipError_tPvRmT1_PNSt15iterator_traitsISZ_E10value_typeET2_T3_PNS10_IS15_E10value_typeET4_jRbjT5_S1B_jjP12ihipStream_tbEUljE_EEESW_SX_SY_S15_S19_S1B_T6_T7_T9_mT8_S1D_bDpT10_ENKUlT_T0_E_clISt17integral_constantIbLb0EES1P_IbLb1EEEEDaS1L_S1M_EUlS1L_E_NS1_11comp_targetILNS1_3genE0ELNS1_11target_archE4294967295ELNS1_3gpuE0ELNS1_3repE0EEENS1_30default_config_static_selectorELNS0_4arch9wavefront6targetE1EEEvSZ_
	.p2align	8
	.type	_ZN7rocprim17ROCPRIM_400000_NS6detail17trampoline_kernelINS0_13select_configILj256ELj13ELNS0_17block_load_methodE3ELS4_3ELS4_3ELNS0_20block_scan_algorithmE0ELj4294967295EEENS1_25partition_config_selectorILNS1_17partition_subalgoE3EjNS0_10empty_typeEbEEZZNS1_14partition_implILS8_3ELb0ES6_jNS0_17counting_iteratorIjlEEPS9_SE_NS0_5tupleIJPjSE_EEENSF_IJSE_SE_EEES9_SG_JZNS1_25segmented_radix_sort_implINS0_14default_configELb0EPK12hip_bfloat16PSL_PKlPlN2at6native12_GLOBAL__N_18offset_tEEE10hipError_tPvRmT1_PNSt15iterator_traitsISZ_E10value_typeET2_T3_PNS10_IS15_E10value_typeET4_jRbjT5_S1B_jjP12ihipStream_tbEUljE_EEESW_SX_SY_S15_S19_S1B_T6_T7_T9_mT8_S1D_bDpT10_ENKUlT_T0_E_clISt17integral_constantIbLb0EES1P_IbLb1EEEEDaS1L_S1M_EUlS1L_E_NS1_11comp_targetILNS1_3genE0ELNS1_11target_archE4294967295ELNS1_3gpuE0ELNS1_3repE0EEENS1_30default_config_static_selectorELNS0_4arch9wavefront6targetE1EEEvSZ_,@function
_ZN7rocprim17ROCPRIM_400000_NS6detail17trampoline_kernelINS0_13select_configILj256ELj13ELNS0_17block_load_methodE3ELS4_3ELS4_3ELNS0_20block_scan_algorithmE0ELj4294967295EEENS1_25partition_config_selectorILNS1_17partition_subalgoE3EjNS0_10empty_typeEbEEZZNS1_14partition_implILS8_3ELb0ES6_jNS0_17counting_iteratorIjlEEPS9_SE_NS0_5tupleIJPjSE_EEENSF_IJSE_SE_EEES9_SG_JZNS1_25segmented_radix_sort_implINS0_14default_configELb0EPK12hip_bfloat16PSL_PKlPlN2at6native12_GLOBAL__N_18offset_tEEE10hipError_tPvRmT1_PNSt15iterator_traitsISZ_E10value_typeET2_T3_PNS10_IS15_E10value_typeET4_jRbjT5_S1B_jjP12ihipStream_tbEUljE_EEESW_SX_SY_S15_S19_S1B_T6_T7_T9_mT8_S1D_bDpT10_ENKUlT_T0_E_clISt17integral_constantIbLb0EES1P_IbLb1EEEEDaS1L_S1M_EUlS1L_E_NS1_11comp_targetILNS1_3genE0ELNS1_11target_archE4294967295ELNS1_3gpuE0ELNS1_3repE0EEENS1_30default_config_static_selectorELNS0_4arch9wavefront6targetE1EEEvSZ_: ; @_ZN7rocprim17ROCPRIM_400000_NS6detail17trampoline_kernelINS0_13select_configILj256ELj13ELNS0_17block_load_methodE3ELS4_3ELS4_3ELNS0_20block_scan_algorithmE0ELj4294967295EEENS1_25partition_config_selectorILNS1_17partition_subalgoE3EjNS0_10empty_typeEbEEZZNS1_14partition_implILS8_3ELb0ES6_jNS0_17counting_iteratorIjlEEPS9_SE_NS0_5tupleIJPjSE_EEENSF_IJSE_SE_EEES9_SG_JZNS1_25segmented_radix_sort_implINS0_14default_configELb0EPK12hip_bfloat16PSL_PKlPlN2at6native12_GLOBAL__N_18offset_tEEE10hipError_tPvRmT1_PNSt15iterator_traitsISZ_E10value_typeET2_T3_PNS10_IS15_E10value_typeET4_jRbjT5_S1B_jjP12ihipStream_tbEUljE_EEESW_SX_SY_S15_S19_S1B_T6_T7_T9_mT8_S1D_bDpT10_ENKUlT_T0_E_clISt17integral_constantIbLb0EES1P_IbLb1EEEEDaS1L_S1M_EUlS1L_E_NS1_11comp_targetILNS1_3genE0ELNS1_11target_archE4294967295ELNS1_3gpuE0ELNS1_3repE0EEENS1_30default_config_static_selectorELNS0_4arch9wavefront6targetE1EEEvSZ_
; %bb.0:
	.section	.rodata,"a",@progbits
	.p2align	6, 0x0
	.amdhsa_kernel _ZN7rocprim17ROCPRIM_400000_NS6detail17trampoline_kernelINS0_13select_configILj256ELj13ELNS0_17block_load_methodE3ELS4_3ELS4_3ELNS0_20block_scan_algorithmE0ELj4294967295EEENS1_25partition_config_selectorILNS1_17partition_subalgoE3EjNS0_10empty_typeEbEEZZNS1_14partition_implILS8_3ELb0ES6_jNS0_17counting_iteratorIjlEEPS9_SE_NS0_5tupleIJPjSE_EEENSF_IJSE_SE_EEES9_SG_JZNS1_25segmented_radix_sort_implINS0_14default_configELb0EPK12hip_bfloat16PSL_PKlPlN2at6native12_GLOBAL__N_18offset_tEEE10hipError_tPvRmT1_PNSt15iterator_traitsISZ_E10value_typeET2_T3_PNS10_IS15_E10value_typeET4_jRbjT5_S1B_jjP12ihipStream_tbEUljE_EEESW_SX_SY_S15_S19_S1B_T6_T7_T9_mT8_S1D_bDpT10_ENKUlT_T0_E_clISt17integral_constantIbLb0EES1P_IbLb1EEEEDaS1L_S1M_EUlS1L_E_NS1_11comp_targetILNS1_3genE0ELNS1_11target_archE4294967295ELNS1_3gpuE0ELNS1_3repE0EEENS1_30default_config_static_selectorELNS0_4arch9wavefront6targetE1EEEvSZ_
		.amdhsa_group_segment_fixed_size 0
		.amdhsa_private_segment_fixed_size 0
		.amdhsa_kernarg_size 152
		.amdhsa_user_sgpr_count 6
		.amdhsa_user_sgpr_private_segment_buffer 1
		.amdhsa_user_sgpr_dispatch_ptr 0
		.amdhsa_user_sgpr_queue_ptr 0
		.amdhsa_user_sgpr_kernarg_segment_ptr 1
		.amdhsa_user_sgpr_dispatch_id 0
		.amdhsa_user_sgpr_flat_scratch_init 0
		.amdhsa_user_sgpr_private_segment_size 0
		.amdhsa_uses_dynamic_stack 0
		.amdhsa_system_sgpr_private_segment_wavefront_offset 0
		.amdhsa_system_sgpr_workgroup_id_x 1
		.amdhsa_system_sgpr_workgroup_id_y 0
		.amdhsa_system_sgpr_workgroup_id_z 0
		.amdhsa_system_sgpr_workgroup_info 0
		.amdhsa_system_vgpr_workitem_id 0
		.amdhsa_next_free_vgpr 1
		.amdhsa_next_free_sgpr 0
		.amdhsa_reserve_vcc 0
		.amdhsa_reserve_flat_scratch 0
		.amdhsa_float_round_mode_32 0
		.amdhsa_float_round_mode_16_64 0
		.amdhsa_float_denorm_mode_32 3
		.amdhsa_float_denorm_mode_16_64 3
		.amdhsa_dx10_clamp 1
		.amdhsa_ieee_mode 1
		.amdhsa_fp16_overflow 0
		.amdhsa_exception_fp_ieee_invalid_op 0
		.amdhsa_exception_fp_denorm_src 0
		.amdhsa_exception_fp_ieee_div_zero 0
		.amdhsa_exception_fp_ieee_overflow 0
		.amdhsa_exception_fp_ieee_underflow 0
		.amdhsa_exception_fp_ieee_inexact 0
		.amdhsa_exception_int_div_zero 0
	.end_amdhsa_kernel
	.section	.text._ZN7rocprim17ROCPRIM_400000_NS6detail17trampoline_kernelINS0_13select_configILj256ELj13ELNS0_17block_load_methodE3ELS4_3ELS4_3ELNS0_20block_scan_algorithmE0ELj4294967295EEENS1_25partition_config_selectorILNS1_17partition_subalgoE3EjNS0_10empty_typeEbEEZZNS1_14partition_implILS8_3ELb0ES6_jNS0_17counting_iteratorIjlEEPS9_SE_NS0_5tupleIJPjSE_EEENSF_IJSE_SE_EEES9_SG_JZNS1_25segmented_radix_sort_implINS0_14default_configELb0EPK12hip_bfloat16PSL_PKlPlN2at6native12_GLOBAL__N_18offset_tEEE10hipError_tPvRmT1_PNSt15iterator_traitsISZ_E10value_typeET2_T3_PNS10_IS15_E10value_typeET4_jRbjT5_S1B_jjP12ihipStream_tbEUljE_EEESW_SX_SY_S15_S19_S1B_T6_T7_T9_mT8_S1D_bDpT10_ENKUlT_T0_E_clISt17integral_constantIbLb0EES1P_IbLb1EEEEDaS1L_S1M_EUlS1L_E_NS1_11comp_targetILNS1_3genE0ELNS1_11target_archE4294967295ELNS1_3gpuE0ELNS1_3repE0EEENS1_30default_config_static_selectorELNS0_4arch9wavefront6targetE1EEEvSZ_,"axG",@progbits,_ZN7rocprim17ROCPRIM_400000_NS6detail17trampoline_kernelINS0_13select_configILj256ELj13ELNS0_17block_load_methodE3ELS4_3ELS4_3ELNS0_20block_scan_algorithmE0ELj4294967295EEENS1_25partition_config_selectorILNS1_17partition_subalgoE3EjNS0_10empty_typeEbEEZZNS1_14partition_implILS8_3ELb0ES6_jNS0_17counting_iteratorIjlEEPS9_SE_NS0_5tupleIJPjSE_EEENSF_IJSE_SE_EEES9_SG_JZNS1_25segmented_radix_sort_implINS0_14default_configELb0EPK12hip_bfloat16PSL_PKlPlN2at6native12_GLOBAL__N_18offset_tEEE10hipError_tPvRmT1_PNSt15iterator_traitsISZ_E10value_typeET2_T3_PNS10_IS15_E10value_typeET4_jRbjT5_S1B_jjP12ihipStream_tbEUljE_EEESW_SX_SY_S15_S19_S1B_T6_T7_T9_mT8_S1D_bDpT10_ENKUlT_T0_E_clISt17integral_constantIbLb0EES1P_IbLb1EEEEDaS1L_S1M_EUlS1L_E_NS1_11comp_targetILNS1_3genE0ELNS1_11target_archE4294967295ELNS1_3gpuE0ELNS1_3repE0EEENS1_30default_config_static_selectorELNS0_4arch9wavefront6targetE1EEEvSZ_,comdat
.Lfunc_end2041:
	.size	_ZN7rocprim17ROCPRIM_400000_NS6detail17trampoline_kernelINS0_13select_configILj256ELj13ELNS0_17block_load_methodE3ELS4_3ELS4_3ELNS0_20block_scan_algorithmE0ELj4294967295EEENS1_25partition_config_selectorILNS1_17partition_subalgoE3EjNS0_10empty_typeEbEEZZNS1_14partition_implILS8_3ELb0ES6_jNS0_17counting_iteratorIjlEEPS9_SE_NS0_5tupleIJPjSE_EEENSF_IJSE_SE_EEES9_SG_JZNS1_25segmented_radix_sort_implINS0_14default_configELb0EPK12hip_bfloat16PSL_PKlPlN2at6native12_GLOBAL__N_18offset_tEEE10hipError_tPvRmT1_PNSt15iterator_traitsISZ_E10value_typeET2_T3_PNS10_IS15_E10value_typeET4_jRbjT5_S1B_jjP12ihipStream_tbEUljE_EEESW_SX_SY_S15_S19_S1B_T6_T7_T9_mT8_S1D_bDpT10_ENKUlT_T0_E_clISt17integral_constantIbLb0EES1P_IbLb1EEEEDaS1L_S1M_EUlS1L_E_NS1_11comp_targetILNS1_3genE0ELNS1_11target_archE4294967295ELNS1_3gpuE0ELNS1_3repE0EEENS1_30default_config_static_selectorELNS0_4arch9wavefront6targetE1EEEvSZ_, .Lfunc_end2041-_ZN7rocprim17ROCPRIM_400000_NS6detail17trampoline_kernelINS0_13select_configILj256ELj13ELNS0_17block_load_methodE3ELS4_3ELS4_3ELNS0_20block_scan_algorithmE0ELj4294967295EEENS1_25partition_config_selectorILNS1_17partition_subalgoE3EjNS0_10empty_typeEbEEZZNS1_14partition_implILS8_3ELb0ES6_jNS0_17counting_iteratorIjlEEPS9_SE_NS0_5tupleIJPjSE_EEENSF_IJSE_SE_EEES9_SG_JZNS1_25segmented_radix_sort_implINS0_14default_configELb0EPK12hip_bfloat16PSL_PKlPlN2at6native12_GLOBAL__N_18offset_tEEE10hipError_tPvRmT1_PNSt15iterator_traitsISZ_E10value_typeET2_T3_PNS10_IS15_E10value_typeET4_jRbjT5_S1B_jjP12ihipStream_tbEUljE_EEESW_SX_SY_S15_S19_S1B_T6_T7_T9_mT8_S1D_bDpT10_ENKUlT_T0_E_clISt17integral_constantIbLb0EES1P_IbLb1EEEEDaS1L_S1M_EUlS1L_E_NS1_11comp_targetILNS1_3genE0ELNS1_11target_archE4294967295ELNS1_3gpuE0ELNS1_3repE0EEENS1_30default_config_static_selectorELNS0_4arch9wavefront6targetE1EEEvSZ_
                                        ; -- End function
	.set _ZN7rocprim17ROCPRIM_400000_NS6detail17trampoline_kernelINS0_13select_configILj256ELj13ELNS0_17block_load_methodE3ELS4_3ELS4_3ELNS0_20block_scan_algorithmE0ELj4294967295EEENS1_25partition_config_selectorILNS1_17partition_subalgoE3EjNS0_10empty_typeEbEEZZNS1_14partition_implILS8_3ELb0ES6_jNS0_17counting_iteratorIjlEEPS9_SE_NS0_5tupleIJPjSE_EEENSF_IJSE_SE_EEES9_SG_JZNS1_25segmented_radix_sort_implINS0_14default_configELb0EPK12hip_bfloat16PSL_PKlPlN2at6native12_GLOBAL__N_18offset_tEEE10hipError_tPvRmT1_PNSt15iterator_traitsISZ_E10value_typeET2_T3_PNS10_IS15_E10value_typeET4_jRbjT5_S1B_jjP12ihipStream_tbEUljE_EEESW_SX_SY_S15_S19_S1B_T6_T7_T9_mT8_S1D_bDpT10_ENKUlT_T0_E_clISt17integral_constantIbLb0EES1P_IbLb1EEEEDaS1L_S1M_EUlS1L_E_NS1_11comp_targetILNS1_3genE0ELNS1_11target_archE4294967295ELNS1_3gpuE0ELNS1_3repE0EEENS1_30default_config_static_selectorELNS0_4arch9wavefront6targetE1EEEvSZ_.num_vgpr, 0
	.set _ZN7rocprim17ROCPRIM_400000_NS6detail17trampoline_kernelINS0_13select_configILj256ELj13ELNS0_17block_load_methodE3ELS4_3ELS4_3ELNS0_20block_scan_algorithmE0ELj4294967295EEENS1_25partition_config_selectorILNS1_17partition_subalgoE3EjNS0_10empty_typeEbEEZZNS1_14partition_implILS8_3ELb0ES6_jNS0_17counting_iteratorIjlEEPS9_SE_NS0_5tupleIJPjSE_EEENSF_IJSE_SE_EEES9_SG_JZNS1_25segmented_radix_sort_implINS0_14default_configELb0EPK12hip_bfloat16PSL_PKlPlN2at6native12_GLOBAL__N_18offset_tEEE10hipError_tPvRmT1_PNSt15iterator_traitsISZ_E10value_typeET2_T3_PNS10_IS15_E10value_typeET4_jRbjT5_S1B_jjP12ihipStream_tbEUljE_EEESW_SX_SY_S15_S19_S1B_T6_T7_T9_mT8_S1D_bDpT10_ENKUlT_T0_E_clISt17integral_constantIbLb0EES1P_IbLb1EEEEDaS1L_S1M_EUlS1L_E_NS1_11comp_targetILNS1_3genE0ELNS1_11target_archE4294967295ELNS1_3gpuE0ELNS1_3repE0EEENS1_30default_config_static_selectorELNS0_4arch9wavefront6targetE1EEEvSZ_.num_agpr, 0
	.set _ZN7rocprim17ROCPRIM_400000_NS6detail17trampoline_kernelINS0_13select_configILj256ELj13ELNS0_17block_load_methodE3ELS4_3ELS4_3ELNS0_20block_scan_algorithmE0ELj4294967295EEENS1_25partition_config_selectorILNS1_17partition_subalgoE3EjNS0_10empty_typeEbEEZZNS1_14partition_implILS8_3ELb0ES6_jNS0_17counting_iteratorIjlEEPS9_SE_NS0_5tupleIJPjSE_EEENSF_IJSE_SE_EEES9_SG_JZNS1_25segmented_radix_sort_implINS0_14default_configELb0EPK12hip_bfloat16PSL_PKlPlN2at6native12_GLOBAL__N_18offset_tEEE10hipError_tPvRmT1_PNSt15iterator_traitsISZ_E10value_typeET2_T3_PNS10_IS15_E10value_typeET4_jRbjT5_S1B_jjP12ihipStream_tbEUljE_EEESW_SX_SY_S15_S19_S1B_T6_T7_T9_mT8_S1D_bDpT10_ENKUlT_T0_E_clISt17integral_constantIbLb0EES1P_IbLb1EEEEDaS1L_S1M_EUlS1L_E_NS1_11comp_targetILNS1_3genE0ELNS1_11target_archE4294967295ELNS1_3gpuE0ELNS1_3repE0EEENS1_30default_config_static_selectorELNS0_4arch9wavefront6targetE1EEEvSZ_.numbered_sgpr, 0
	.set _ZN7rocprim17ROCPRIM_400000_NS6detail17trampoline_kernelINS0_13select_configILj256ELj13ELNS0_17block_load_methodE3ELS4_3ELS4_3ELNS0_20block_scan_algorithmE0ELj4294967295EEENS1_25partition_config_selectorILNS1_17partition_subalgoE3EjNS0_10empty_typeEbEEZZNS1_14partition_implILS8_3ELb0ES6_jNS0_17counting_iteratorIjlEEPS9_SE_NS0_5tupleIJPjSE_EEENSF_IJSE_SE_EEES9_SG_JZNS1_25segmented_radix_sort_implINS0_14default_configELb0EPK12hip_bfloat16PSL_PKlPlN2at6native12_GLOBAL__N_18offset_tEEE10hipError_tPvRmT1_PNSt15iterator_traitsISZ_E10value_typeET2_T3_PNS10_IS15_E10value_typeET4_jRbjT5_S1B_jjP12ihipStream_tbEUljE_EEESW_SX_SY_S15_S19_S1B_T6_T7_T9_mT8_S1D_bDpT10_ENKUlT_T0_E_clISt17integral_constantIbLb0EES1P_IbLb1EEEEDaS1L_S1M_EUlS1L_E_NS1_11comp_targetILNS1_3genE0ELNS1_11target_archE4294967295ELNS1_3gpuE0ELNS1_3repE0EEENS1_30default_config_static_selectorELNS0_4arch9wavefront6targetE1EEEvSZ_.num_named_barrier, 0
	.set _ZN7rocprim17ROCPRIM_400000_NS6detail17trampoline_kernelINS0_13select_configILj256ELj13ELNS0_17block_load_methodE3ELS4_3ELS4_3ELNS0_20block_scan_algorithmE0ELj4294967295EEENS1_25partition_config_selectorILNS1_17partition_subalgoE3EjNS0_10empty_typeEbEEZZNS1_14partition_implILS8_3ELb0ES6_jNS0_17counting_iteratorIjlEEPS9_SE_NS0_5tupleIJPjSE_EEENSF_IJSE_SE_EEES9_SG_JZNS1_25segmented_radix_sort_implINS0_14default_configELb0EPK12hip_bfloat16PSL_PKlPlN2at6native12_GLOBAL__N_18offset_tEEE10hipError_tPvRmT1_PNSt15iterator_traitsISZ_E10value_typeET2_T3_PNS10_IS15_E10value_typeET4_jRbjT5_S1B_jjP12ihipStream_tbEUljE_EEESW_SX_SY_S15_S19_S1B_T6_T7_T9_mT8_S1D_bDpT10_ENKUlT_T0_E_clISt17integral_constantIbLb0EES1P_IbLb1EEEEDaS1L_S1M_EUlS1L_E_NS1_11comp_targetILNS1_3genE0ELNS1_11target_archE4294967295ELNS1_3gpuE0ELNS1_3repE0EEENS1_30default_config_static_selectorELNS0_4arch9wavefront6targetE1EEEvSZ_.private_seg_size, 0
	.set _ZN7rocprim17ROCPRIM_400000_NS6detail17trampoline_kernelINS0_13select_configILj256ELj13ELNS0_17block_load_methodE3ELS4_3ELS4_3ELNS0_20block_scan_algorithmE0ELj4294967295EEENS1_25partition_config_selectorILNS1_17partition_subalgoE3EjNS0_10empty_typeEbEEZZNS1_14partition_implILS8_3ELb0ES6_jNS0_17counting_iteratorIjlEEPS9_SE_NS0_5tupleIJPjSE_EEENSF_IJSE_SE_EEES9_SG_JZNS1_25segmented_radix_sort_implINS0_14default_configELb0EPK12hip_bfloat16PSL_PKlPlN2at6native12_GLOBAL__N_18offset_tEEE10hipError_tPvRmT1_PNSt15iterator_traitsISZ_E10value_typeET2_T3_PNS10_IS15_E10value_typeET4_jRbjT5_S1B_jjP12ihipStream_tbEUljE_EEESW_SX_SY_S15_S19_S1B_T6_T7_T9_mT8_S1D_bDpT10_ENKUlT_T0_E_clISt17integral_constantIbLb0EES1P_IbLb1EEEEDaS1L_S1M_EUlS1L_E_NS1_11comp_targetILNS1_3genE0ELNS1_11target_archE4294967295ELNS1_3gpuE0ELNS1_3repE0EEENS1_30default_config_static_selectorELNS0_4arch9wavefront6targetE1EEEvSZ_.uses_vcc, 0
	.set _ZN7rocprim17ROCPRIM_400000_NS6detail17trampoline_kernelINS0_13select_configILj256ELj13ELNS0_17block_load_methodE3ELS4_3ELS4_3ELNS0_20block_scan_algorithmE0ELj4294967295EEENS1_25partition_config_selectorILNS1_17partition_subalgoE3EjNS0_10empty_typeEbEEZZNS1_14partition_implILS8_3ELb0ES6_jNS0_17counting_iteratorIjlEEPS9_SE_NS0_5tupleIJPjSE_EEENSF_IJSE_SE_EEES9_SG_JZNS1_25segmented_radix_sort_implINS0_14default_configELb0EPK12hip_bfloat16PSL_PKlPlN2at6native12_GLOBAL__N_18offset_tEEE10hipError_tPvRmT1_PNSt15iterator_traitsISZ_E10value_typeET2_T3_PNS10_IS15_E10value_typeET4_jRbjT5_S1B_jjP12ihipStream_tbEUljE_EEESW_SX_SY_S15_S19_S1B_T6_T7_T9_mT8_S1D_bDpT10_ENKUlT_T0_E_clISt17integral_constantIbLb0EES1P_IbLb1EEEEDaS1L_S1M_EUlS1L_E_NS1_11comp_targetILNS1_3genE0ELNS1_11target_archE4294967295ELNS1_3gpuE0ELNS1_3repE0EEENS1_30default_config_static_selectorELNS0_4arch9wavefront6targetE1EEEvSZ_.uses_flat_scratch, 0
	.set _ZN7rocprim17ROCPRIM_400000_NS6detail17trampoline_kernelINS0_13select_configILj256ELj13ELNS0_17block_load_methodE3ELS4_3ELS4_3ELNS0_20block_scan_algorithmE0ELj4294967295EEENS1_25partition_config_selectorILNS1_17partition_subalgoE3EjNS0_10empty_typeEbEEZZNS1_14partition_implILS8_3ELb0ES6_jNS0_17counting_iteratorIjlEEPS9_SE_NS0_5tupleIJPjSE_EEENSF_IJSE_SE_EEES9_SG_JZNS1_25segmented_radix_sort_implINS0_14default_configELb0EPK12hip_bfloat16PSL_PKlPlN2at6native12_GLOBAL__N_18offset_tEEE10hipError_tPvRmT1_PNSt15iterator_traitsISZ_E10value_typeET2_T3_PNS10_IS15_E10value_typeET4_jRbjT5_S1B_jjP12ihipStream_tbEUljE_EEESW_SX_SY_S15_S19_S1B_T6_T7_T9_mT8_S1D_bDpT10_ENKUlT_T0_E_clISt17integral_constantIbLb0EES1P_IbLb1EEEEDaS1L_S1M_EUlS1L_E_NS1_11comp_targetILNS1_3genE0ELNS1_11target_archE4294967295ELNS1_3gpuE0ELNS1_3repE0EEENS1_30default_config_static_selectorELNS0_4arch9wavefront6targetE1EEEvSZ_.has_dyn_sized_stack, 0
	.set _ZN7rocprim17ROCPRIM_400000_NS6detail17trampoline_kernelINS0_13select_configILj256ELj13ELNS0_17block_load_methodE3ELS4_3ELS4_3ELNS0_20block_scan_algorithmE0ELj4294967295EEENS1_25partition_config_selectorILNS1_17partition_subalgoE3EjNS0_10empty_typeEbEEZZNS1_14partition_implILS8_3ELb0ES6_jNS0_17counting_iteratorIjlEEPS9_SE_NS0_5tupleIJPjSE_EEENSF_IJSE_SE_EEES9_SG_JZNS1_25segmented_radix_sort_implINS0_14default_configELb0EPK12hip_bfloat16PSL_PKlPlN2at6native12_GLOBAL__N_18offset_tEEE10hipError_tPvRmT1_PNSt15iterator_traitsISZ_E10value_typeET2_T3_PNS10_IS15_E10value_typeET4_jRbjT5_S1B_jjP12ihipStream_tbEUljE_EEESW_SX_SY_S15_S19_S1B_T6_T7_T9_mT8_S1D_bDpT10_ENKUlT_T0_E_clISt17integral_constantIbLb0EES1P_IbLb1EEEEDaS1L_S1M_EUlS1L_E_NS1_11comp_targetILNS1_3genE0ELNS1_11target_archE4294967295ELNS1_3gpuE0ELNS1_3repE0EEENS1_30default_config_static_selectorELNS0_4arch9wavefront6targetE1EEEvSZ_.has_recursion, 0
	.set _ZN7rocprim17ROCPRIM_400000_NS6detail17trampoline_kernelINS0_13select_configILj256ELj13ELNS0_17block_load_methodE3ELS4_3ELS4_3ELNS0_20block_scan_algorithmE0ELj4294967295EEENS1_25partition_config_selectorILNS1_17partition_subalgoE3EjNS0_10empty_typeEbEEZZNS1_14partition_implILS8_3ELb0ES6_jNS0_17counting_iteratorIjlEEPS9_SE_NS0_5tupleIJPjSE_EEENSF_IJSE_SE_EEES9_SG_JZNS1_25segmented_radix_sort_implINS0_14default_configELb0EPK12hip_bfloat16PSL_PKlPlN2at6native12_GLOBAL__N_18offset_tEEE10hipError_tPvRmT1_PNSt15iterator_traitsISZ_E10value_typeET2_T3_PNS10_IS15_E10value_typeET4_jRbjT5_S1B_jjP12ihipStream_tbEUljE_EEESW_SX_SY_S15_S19_S1B_T6_T7_T9_mT8_S1D_bDpT10_ENKUlT_T0_E_clISt17integral_constantIbLb0EES1P_IbLb1EEEEDaS1L_S1M_EUlS1L_E_NS1_11comp_targetILNS1_3genE0ELNS1_11target_archE4294967295ELNS1_3gpuE0ELNS1_3repE0EEENS1_30default_config_static_selectorELNS0_4arch9wavefront6targetE1EEEvSZ_.has_indirect_call, 0
	.section	.AMDGPU.csdata,"",@progbits
; Kernel info:
; codeLenInByte = 0
; TotalNumSgprs: 4
; NumVgprs: 0
; ScratchSize: 0
; MemoryBound: 0
; FloatMode: 240
; IeeeMode: 1
; LDSByteSize: 0 bytes/workgroup (compile time only)
; SGPRBlocks: 0
; VGPRBlocks: 0
; NumSGPRsForWavesPerEU: 4
; NumVGPRsForWavesPerEU: 1
; Occupancy: 10
; WaveLimiterHint : 0
; COMPUTE_PGM_RSRC2:SCRATCH_EN: 0
; COMPUTE_PGM_RSRC2:USER_SGPR: 6
; COMPUTE_PGM_RSRC2:TRAP_HANDLER: 0
; COMPUTE_PGM_RSRC2:TGID_X_EN: 1
; COMPUTE_PGM_RSRC2:TGID_Y_EN: 0
; COMPUTE_PGM_RSRC2:TGID_Z_EN: 0
; COMPUTE_PGM_RSRC2:TIDIG_COMP_CNT: 0
	.section	.text._ZN7rocprim17ROCPRIM_400000_NS6detail17trampoline_kernelINS0_13select_configILj256ELj13ELNS0_17block_load_methodE3ELS4_3ELS4_3ELNS0_20block_scan_algorithmE0ELj4294967295EEENS1_25partition_config_selectorILNS1_17partition_subalgoE3EjNS0_10empty_typeEbEEZZNS1_14partition_implILS8_3ELb0ES6_jNS0_17counting_iteratorIjlEEPS9_SE_NS0_5tupleIJPjSE_EEENSF_IJSE_SE_EEES9_SG_JZNS1_25segmented_radix_sort_implINS0_14default_configELb0EPK12hip_bfloat16PSL_PKlPlN2at6native12_GLOBAL__N_18offset_tEEE10hipError_tPvRmT1_PNSt15iterator_traitsISZ_E10value_typeET2_T3_PNS10_IS15_E10value_typeET4_jRbjT5_S1B_jjP12ihipStream_tbEUljE_EEESW_SX_SY_S15_S19_S1B_T6_T7_T9_mT8_S1D_bDpT10_ENKUlT_T0_E_clISt17integral_constantIbLb0EES1P_IbLb1EEEEDaS1L_S1M_EUlS1L_E_NS1_11comp_targetILNS1_3genE5ELNS1_11target_archE942ELNS1_3gpuE9ELNS1_3repE0EEENS1_30default_config_static_selectorELNS0_4arch9wavefront6targetE1EEEvSZ_,"axG",@progbits,_ZN7rocprim17ROCPRIM_400000_NS6detail17trampoline_kernelINS0_13select_configILj256ELj13ELNS0_17block_load_methodE3ELS4_3ELS4_3ELNS0_20block_scan_algorithmE0ELj4294967295EEENS1_25partition_config_selectorILNS1_17partition_subalgoE3EjNS0_10empty_typeEbEEZZNS1_14partition_implILS8_3ELb0ES6_jNS0_17counting_iteratorIjlEEPS9_SE_NS0_5tupleIJPjSE_EEENSF_IJSE_SE_EEES9_SG_JZNS1_25segmented_radix_sort_implINS0_14default_configELb0EPK12hip_bfloat16PSL_PKlPlN2at6native12_GLOBAL__N_18offset_tEEE10hipError_tPvRmT1_PNSt15iterator_traitsISZ_E10value_typeET2_T3_PNS10_IS15_E10value_typeET4_jRbjT5_S1B_jjP12ihipStream_tbEUljE_EEESW_SX_SY_S15_S19_S1B_T6_T7_T9_mT8_S1D_bDpT10_ENKUlT_T0_E_clISt17integral_constantIbLb0EES1P_IbLb1EEEEDaS1L_S1M_EUlS1L_E_NS1_11comp_targetILNS1_3genE5ELNS1_11target_archE942ELNS1_3gpuE9ELNS1_3repE0EEENS1_30default_config_static_selectorELNS0_4arch9wavefront6targetE1EEEvSZ_,comdat
	.globl	_ZN7rocprim17ROCPRIM_400000_NS6detail17trampoline_kernelINS0_13select_configILj256ELj13ELNS0_17block_load_methodE3ELS4_3ELS4_3ELNS0_20block_scan_algorithmE0ELj4294967295EEENS1_25partition_config_selectorILNS1_17partition_subalgoE3EjNS0_10empty_typeEbEEZZNS1_14partition_implILS8_3ELb0ES6_jNS0_17counting_iteratorIjlEEPS9_SE_NS0_5tupleIJPjSE_EEENSF_IJSE_SE_EEES9_SG_JZNS1_25segmented_radix_sort_implINS0_14default_configELb0EPK12hip_bfloat16PSL_PKlPlN2at6native12_GLOBAL__N_18offset_tEEE10hipError_tPvRmT1_PNSt15iterator_traitsISZ_E10value_typeET2_T3_PNS10_IS15_E10value_typeET4_jRbjT5_S1B_jjP12ihipStream_tbEUljE_EEESW_SX_SY_S15_S19_S1B_T6_T7_T9_mT8_S1D_bDpT10_ENKUlT_T0_E_clISt17integral_constantIbLb0EES1P_IbLb1EEEEDaS1L_S1M_EUlS1L_E_NS1_11comp_targetILNS1_3genE5ELNS1_11target_archE942ELNS1_3gpuE9ELNS1_3repE0EEENS1_30default_config_static_selectorELNS0_4arch9wavefront6targetE1EEEvSZ_ ; -- Begin function _ZN7rocprim17ROCPRIM_400000_NS6detail17trampoline_kernelINS0_13select_configILj256ELj13ELNS0_17block_load_methodE3ELS4_3ELS4_3ELNS0_20block_scan_algorithmE0ELj4294967295EEENS1_25partition_config_selectorILNS1_17partition_subalgoE3EjNS0_10empty_typeEbEEZZNS1_14partition_implILS8_3ELb0ES6_jNS0_17counting_iteratorIjlEEPS9_SE_NS0_5tupleIJPjSE_EEENSF_IJSE_SE_EEES9_SG_JZNS1_25segmented_radix_sort_implINS0_14default_configELb0EPK12hip_bfloat16PSL_PKlPlN2at6native12_GLOBAL__N_18offset_tEEE10hipError_tPvRmT1_PNSt15iterator_traitsISZ_E10value_typeET2_T3_PNS10_IS15_E10value_typeET4_jRbjT5_S1B_jjP12ihipStream_tbEUljE_EEESW_SX_SY_S15_S19_S1B_T6_T7_T9_mT8_S1D_bDpT10_ENKUlT_T0_E_clISt17integral_constantIbLb0EES1P_IbLb1EEEEDaS1L_S1M_EUlS1L_E_NS1_11comp_targetILNS1_3genE5ELNS1_11target_archE942ELNS1_3gpuE9ELNS1_3repE0EEENS1_30default_config_static_selectorELNS0_4arch9wavefront6targetE1EEEvSZ_
	.p2align	8
	.type	_ZN7rocprim17ROCPRIM_400000_NS6detail17trampoline_kernelINS0_13select_configILj256ELj13ELNS0_17block_load_methodE3ELS4_3ELS4_3ELNS0_20block_scan_algorithmE0ELj4294967295EEENS1_25partition_config_selectorILNS1_17partition_subalgoE3EjNS0_10empty_typeEbEEZZNS1_14partition_implILS8_3ELb0ES6_jNS0_17counting_iteratorIjlEEPS9_SE_NS0_5tupleIJPjSE_EEENSF_IJSE_SE_EEES9_SG_JZNS1_25segmented_radix_sort_implINS0_14default_configELb0EPK12hip_bfloat16PSL_PKlPlN2at6native12_GLOBAL__N_18offset_tEEE10hipError_tPvRmT1_PNSt15iterator_traitsISZ_E10value_typeET2_T3_PNS10_IS15_E10value_typeET4_jRbjT5_S1B_jjP12ihipStream_tbEUljE_EEESW_SX_SY_S15_S19_S1B_T6_T7_T9_mT8_S1D_bDpT10_ENKUlT_T0_E_clISt17integral_constantIbLb0EES1P_IbLb1EEEEDaS1L_S1M_EUlS1L_E_NS1_11comp_targetILNS1_3genE5ELNS1_11target_archE942ELNS1_3gpuE9ELNS1_3repE0EEENS1_30default_config_static_selectorELNS0_4arch9wavefront6targetE1EEEvSZ_,@function
_ZN7rocprim17ROCPRIM_400000_NS6detail17trampoline_kernelINS0_13select_configILj256ELj13ELNS0_17block_load_methodE3ELS4_3ELS4_3ELNS0_20block_scan_algorithmE0ELj4294967295EEENS1_25partition_config_selectorILNS1_17partition_subalgoE3EjNS0_10empty_typeEbEEZZNS1_14partition_implILS8_3ELb0ES6_jNS0_17counting_iteratorIjlEEPS9_SE_NS0_5tupleIJPjSE_EEENSF_IJSE_SE_EEES9_SG_JZNS1_25segmented_radix_sort_implINS0_14default_configELb0EPK12hip_bfloat16PSL_PKlPlN2at6native12_GLOBAL__N_18offset_tEEE10hipError_tPvRmT1_PNSt15iterator_traitsISZ_E10value_typeET2_T3_PNS10_IS15_E10value_typeET4_jRbjT5_S1B_jjP12ihipStream_tbEUljE_EEESW_SX_SY_S15_S19_S1B_T6_T7_T9_mT8_S1D_bDpT10_ENKUlT_T0_E_clISt17integral_constantIbLb0EES1P_IbLb1EEEEDaS1L_S1M_EUlS1L_E_NS1_11comp_targetILNS1_3genE5ELNS1_11target_archE942ELNS1_3gpuE9ELNS1_3repE0EEENS1_30default_config_static_selectorELNS0_4arch9wavefront6targetE1EEEvSZ_: ; @_ZN7rocprim17ROCPRIM_400000_NS6detail17trampoline_kernelINS0_13select_configILj256ELj13ELNS0_17block_load_methodE3ELS4_3ELS4_3ELNS0_20block_scan_algorithmE0ELj4294967295EEENS1_25partition_config_selectorILNS1_17partition_subalgoE3EjNS0_10empty_typeEbEEZZNS1_14partition_implILS8_3ELb0ES6_jNS0_17counting_iteratorIjlEEPS9_SE_NS0_5tupleIJPjSE_EEENSF_IJSE_SE_EEES9_SG_JZNS1_25segmented_radix_sort_implINS0_14default_configELb0EPK12hip_bfloat16PSL_PKlPlN2at6native12_GLOBAL__N_18offset_tEEE10hipError_tPvRmT1_PNSt15iterator_traitsISZ_E10value_typeET2_T3_PNS10_IS15_E10value_typeET4_jRbjT5_S1B_jjP12ihipStream_tbEUljE_EEESW_SX_SY_S15_S19_S1B_T6_T7_T9_mT8_S1D_bDpT10_ENKUlT_T0_E_clISt17integral_constantIbLb0EES1P_IbLb1EEEEDaS1L_S1M_EUlS1L_E_NS1_11comp_targetILNS1_3genE5ELNS1_11target_archE942ELNS1_3gpuE9ELNS1_3repE0EEENS1_30default_config_static_selectorELNS0_4arch9wavefront6targetE1EEEvSZ_
; %bb.0:
	.section	.rodata,"a",@progbits
	.p2align	6, 0x0
	.amdhsa_kernel _ZN7rocprim17ROCPRIM_400000_NS6detail17trampoline_kernelINS0_13select_configILj256ELj13ELNS0_17block_load_methodE3ELS4_3ELS4_3ELNS0_20block_scan_algorithmE0ELj4294967295EEENS1_25partition_config_selectorILNS1_17partition_subalgoE3EjNS0_10empty_typeEbEEZZNS1_14partition_implILS8_3ELb0ES6_jNS0_17counting_iteratorIjlEEPS9_SE_NS0_5tupleIJPjSE_EEENSF_IJSE_SE_EEES9_SG_JZNS1_25segmented_radix_sort_implINS0_14default_configELb0EPK12hip_bfloat16PSL_PKlPlN2at6native12_GLOBAL__N_18offset_tEEE10hipError_tPvRmT1_PNSt15iterator_traitsISZ_E10value_typeET2_T3_PNS10_IS15_E10value_typeET4_jRbjT5_S1B_jjP12ihipStream_tbEUljE_EEESW_SX_SY_S15_S19_S1B_T6_T7_T9_mT8_S1D_bDpT10_ENKUlT_T0_E_clISt17integral_constantIbLb0EES1P_IbLb1EEEEDaS1L_S1M_EUlS1L_E_NS1_11comp_targetILNS1_3genE5ELNS1_11target_archE942ELNS1_3gpuE9ELNS1_3repE0EEENS1_30default_config_static_selectorELNS0_4arch9wavefront6targetE1EEEvSZ_
		.amdhsa_group_segment_fixed_size 0
		.amdhsa_private_segment_fixed_size 0
		.amdhsa_kernarg_size 152
		.amdhsa_user_sgpr_count 6
		.amdhsa_user_sgpr_private_segment_buffer 1
		.amdhsa_user_sgpr_dispatch_ptr 0
		.amdhsa_user_sgpr_queue_ptr 0
		.amdhsa_user_sgpr_kernarg_segment_ptr 1
		.amdhsa_user_sgpr_dispatch_id 0
		.amdhsa_user_sgpr_flat_scratch_init 0
		.amdhsa_user_sgpr_private_segment_size 0
		.amdhsa_uses_dynamic_stack 0
		.amdhsa_system_sgpr_private_segment_wavefront_offset 0
		.amdhsa_system_sgpr_workgroup_id_x 1
		.amdhsa_system_sgpr_workgroup_id_y 0
		.amdhsa_system_sgpr_workgroup_id_z 0
		.amdhsa_system_sgpr_workgroup_info 0
		.amdhsa_system_vgpr_workitem_id 0
		.amdhsa_next_free_vgpr 1
		.amdhsa_next_free_sgpr 0
		.amdhsa_reserve_vcc 0
		.amdhsa_reserve_flat_scratch 0
		.amdhsa_float_round_mode_32 0
		.amdhsa_float_round_mode_16_64 0
		.amdhsa_float_denorm_mode_32 3
		.amdhsa_float_denorm_mode_16_64 3
		.amdhsa_dx10_clamp 1
		.amdhsa_ieee_mode 1
		.amdhsa_fp16_overflow 0
		.amdhsa_exception_fp_ieee_invalid_op 0
		.amdhsa_exception_fp_denorm_src 0
		.amdhsa_exception_fp_ieee_div_zero 0
		.amdhsa_exception_fp_ieee_overflow 0
		.amdhsa_exception_fp_ieee_underflow 0
		.amdhsa_exception_fp_ieee_inexact 0
		.amdhsa_exception_int_div_zero 0
	.end_amdhsa_kernel
	.section	.text._ZN7rocprim17ROCPRIM_400000_NS6detail17trampoline_kernelINS0_13select_configILj256ELj13ELNS0_17block_load_methodE3ELS4_3ELS4_3ELNS0_20block_scan_algorithmE0ELj4294967295EEENS1_25partition_config_selectorILNS1_17partition_subalgoE3EjNS0_10empty_typeEbEEZZNS1_14partition_implILS8_3ELb0ES6_jNS0_17counting_iteratorIjlEEPS9_SE_NS0_5tupleIJPjSE_EEENSF_IJSE_SE_EEES9_SG_JZNS1_25segmented_radix_sort_implINS0_14default_configELb0EPK12hip_bfloat16PSL_PKlPlN2at6native12_GLOBAL__N_18offset_tEEE10hipError_tPvRmT1_PNSt15iterator_traitsISZ_E10value_typeET2_T3_PNS10_IS15_E10value_typeET4_jRbjT5_S1B_jjP12ihipStream_tbEUljE_EEESW_SX_SY_S15_S19_S1B_T6_T7_T9_mT8_S1D_bDpT10_ENKUlT_T0_E_clISt17integral_constantIbLb0EES1P_IbLb1EEEEDaS1L_S1M_EUlS1L_E_NS1_11comp_targetILNS1_3genE5ELNS1_11target_archE942ELNS1_3gpuE9ELNS1_3repE0EEENS1_30default_config_static_selectorELNS0_4arch9wavefront6targetE1EEEvSZ_,"axG",@progbits,_ZN7rocprim17ROCPRIM_400000_NS6detail17trampoline_kernelINS0_13select_configILj256ELj13ELNS0_17block_load_methodE3ELS4_3ELS4_3ELNS0_20block_scan_algorithmE0ELj4294967295EEENS1_25partition_config_selectorILNS1_17partition_subalgoE3EjNS0_10empty_typeEbEEZZNS1_14partition_implILS8_3ELb0ES6_jNS0_17counting_iteratorIjlEEPS9_SE_NS0_5tupleIJPjSE_EEENSF_IJSE_SE_EEES9_SG_JZNS1_25segmented_radix_sort_implINS0_14default_configELb0EPK12hip_bfloat16PSL_PKlPlN2at6native12_GLOBAL__N_18offset_tEEE10hipError_tPvRmT1_PNSt15iterator_traitsISZ_E10value_typeET2_T3_PNS10_IS15_E10value_typeET4_jRbjT5_S1B_jjP12ihipStream_tbEUljE_EEESW_SX_SY_S15_S19_S1B_T6_T7_T9_mT8_S1D_bDpT10_ENKUlT_T0_E_clISt17integral_constantIbLb0EES1P_IbLb1EEEEDaS1L_S1M_EUlS1L_E_NS1_11comp_targetILNS1_3genE5ELNS1_11target_archE942ELNS1_3gpuE9ELNS1_3repE0EEENS1_30default_config_static_selectorELNS0_4arch9wavefront6targetE1EEEvSZ_,comdat
.Lfunc_end2042:
	.size	_ZN7rocprim17ROCPRIM_400000_NS6detail17trampoline_kernelINS0_13select_configILj256ELj13ELNS0_17block_load_methodE3ELS4_3ELS4_3ELNS0_20block_scan_algorithmE0ELj4294967295EEENS1_25partition_config_selectorILNS1_17partition_subalgoE3EjNS0_10empty_typeEbEEZZNS1_14partition_implILS8_3ELb0ES6_jNS0_17counting_iteratorIjlEEPS9_SE_NS0_5tupleIJPjSE_EEENSF_IJSE_SE_EEES9_SG_JZNS1_25segmented_radix_sort_implINS0_14default_configELb0EPK12hip_bfloat16PSL_PKlPlN2at6native12_GLOBAL__N_18offset_tEEE10hipError_tPvRmT1_PNSt15iterator_traitsISZ_E10value_typeET2_T3_PNS10_IS15_E10value_typeET4_jRbjT5_S1B_jjP12ihipStream_tbEUljE_EEESW_SX_SY_S15_S19_S1B_T6_T7_T9_mT8_S1D_bDpT10_ENKUlT_T0_E_clISt17integral_constantIbLb0EES1P_IbLb1EEEEDaS1L_S1M_EUlS1L_E_NS1_11comp_targetILNS1_3genE5ELNS1_11target_archE942ELNS1_3gpuE9ELNS1_3repE0EEENS1_30default_config_static_selectorELNS0_4arch9wavefront6targetE1EEEvSZ_, .Lfunc_end2042-_ZN7rocprim17ROCPRIM_400000_NS6detail17trampoline_kernelINS0_13select_configILj256ELj13ELNS0_17block_load_methodE3ELS4_3ELS4_3ELNS0_20block_scan_algorithmE0ELj4294967295EEENS1_25partition_config_selectorILNS1_17partition_subalgoE3EjNS0_10empty_typeEbEEZZNS1_14partition_implILS8_3ELb0ES6_jNS0_17counting_iteratorIjlEEPS9_SE_NS0_5tupleIJPjSE_EEENSF_IJSE_SE_EEES9_SG_JZNS1_25segmented_radix_sort_implINS0_14default_configELb0EPK12hip_bfloat16PSL_PKlPlN2at6native12_GLOBAL__N_18offset_tEEE10hipError_tPvRmT1_PNSt15iterator_traitsISZ_E10value_typeET2_T3_PNS10_IS15_E10value_typeET4_jRbjT5_S1B_jjP12ihipStream_tbEUljE_EEESW_SX_SY_S15_S19_S1B_T6_T7_T9_mT8_S1D_bDpT10_ENKUlT_T0_E_clISt17integral_constantIbLb0EES1P_IbLb1EEEEDaS1L_S1M_EUlS1L_E_NS1_11comp_targetILNS1_3genE5ELNS1_11target_archE942ELNS1_3gpuE9ELNS1_3repE0EEENS1_30default_config_static_selectorELNS0_4arch9wavefront6targetE1EEEvSZ_
                                        ; -- End function
	.set _ZN7rocprim17ROCPRIM_400000_NS6detail17trampoline_kernelINS0_13select_configILj256ELj13ELNS0_17block_load_methodE3ELS4_3ELS4_3ELNS0_20block_scan_algorithmE0ELj4294967295EEENS1_25partition_config_selectorILNS1_17partition_subalgoE3EjNS0_10empty_typeEbEEZZNS1_14partition_implILS8_3ELb0ES6_jNS0_17counting_iteratorIjlEEPS9_SE_NS0_5tupleIJPjSE_EEENSF_IJSE_SE_EEES9_SG_JZNS1_25segmented_radix_sort_implINS0_14default_configELb0EPK12hip_bfloat16PSL_PKlPlN2at6native12_GLOBAL__N_18offset_tEEE10hipError_tPvRmT1_PNSt15iterator_traitsISZ_E10value_typeET2_T3_PNS10_IS15_E10value_typeET4_jRbjT5_S1B_jjP12ihipStream_tbEUljE_EEESW_SX_SY_S15_S19_S1B_T6_T7_T9_mT8_S1D_bDpT10_ENKUlT_T0_E_clISt17integral_constantIbLb0EES1P_IbLb1EEEEDaS1L_S1M_EUlS1L_E_NS1_11comp_targetILNS1_3genE5ELNS1_11target_archE942ELNS1_3gpuE9ELNS1_3repE0EEENS1_30default_config_static_selectorELNS0_4arch9wavefront6targetE1EEEvSZ_.num_vgpr, 0
	.set _ZN7rocprim17ROCPRIM_400000_NS6detail17trampoline_kernelINS0_13select_configILj256ELj13ELNS0_17block_load_methodE3ELS4_3ELS4_3ELNS0_20block_scan_algorithmE0ELj4294967295EEENS1_25partition_config_selectorILNS1_17partition_subalgoE3EjNS0_10empty_typeEbEEZZNS1_14partition_implILS8_3ELb0ES6_jNS0_17counting_iteratorIjlEEPS9_SE_NS0_5tupleIJPjSE_EEENSF_IJSE_SE_EEES9_SG_JZNS1_25segmented_radix_sort_implINS0_14default_configELb0EPK12hip_bfloat16PSL_PKlPlN2at6native12_GLOBAL__N_18offset_tEEE10hipError_tPvRmT1_PNSt15iterator_traitsISZ_E10value_typeET2_T3_PNS10_IS15_E10value_typeET4_jRbjT5_S1B_jjP12ihipStream_tbEUljE_EEESW_SX_SY_S15_S19_S1B_T6_T7_T9_mT8_S1D_bDpT10_ENKUlT_T0_E_clISt17integral_constantIbLb0EES1P_IbLb1EEEEDaS1L_S1M_EUlS1L_E_NS1_11comp_targetILNS1_3genE5ELNS1_11target_archE942ELNS1_3gpuE9ELNS1_3repE0EEENS1_30default_config_static_selectorELNS0_4arch9wavefront6targetE1EEEvSZ_.num_agpr, 0
	.set _ZN7rocprim17ROCPRIM_400000_NS6detail17trampoline_kernelINS0_13select_configILj256ELj13ELNS0_17block_load_methodE3ELS4_3ELS4_3ELNS0_20block_scan_algorithmE0ELj4294967295EEENS1_25partition_config_selectorILNS1_17partition_subalgoE3EjNS0_10empty_typeEbEEZZNS1_14partition_implILS8_3ELb0ES6_jNS0_17counting_iteratorIjlEEPS9_SE_NS0_5tupleIJPjSE_EEENSF_IJSE_SE_EEES9_SG_JZNS1_25segmented_radix_sort_implINS0_14default_configELb0EPK12hip_bfloat16PSL_PKlPlN2at6native12_GLOBAL__N_18offset_tEEE10hipError_tPvRmT1_PNSt15iterator_traitsISZ_E10value_typeET2_T3_PNS10_IS15_E10value_typeET4_jRbjT5_S1B_jjP12ihipStream_tbEUljE_EEESW_SX_SY_S15_S19_S1B_T6_T7_T9_mT8_S1D_bDpT10_ENKUlT_T0_E_clISt17integral_constantIbLb0EES1P_IbLb1EEEEDaS1L_S1M_EUlS1L_E_NS1_11comp_targetILNS1_3genE5ELNS1_11target_archE942ELNS1_3gpuE9ELNS1_3repE0EEENS1_30default_config_static_selectorELNS0_4arch9wavefront6targetE1EEEvSZ_.numbered_sgpr, 0
	.set _ZN7rocprim17ROCPRIM_400000_NS6detail17trampoline_kernelINS0_13select_configILj256ELj13ELNS0_17block_load_methodE3ELS4_3ELS4_3ELNS0_20block_scan_algorithmE0ELj4294967295EEENS1_25partition_config_selectorILNS1_17partition_subalgoE3EjNS0_10empty_typeEbEEZZNS1_14partition_implILS8_3ELb0ES6_jNS0_17counting_iteratorIjlEEPS9_SE_NS0_5tupleIJPjSE_EEENSF_IJSE_SE_EEES9_SG_JZNS1_25segmented_radix_sort_implINS0_14default_configELb0EPK12hip_bfloat16PSL_PKlPlN2at6native12_GLOBAL__N_18offset_tEEE10hipError_tPvRmT1_PNSt15iterator_traitsISZ_E10value_typeET2_T3_PNS10_IS15_E10value_typeET4_jRbjT5_S1B_jjP12ihipStream_tbEUljE_EEESW_SX_SY_S15_S19_S1B_T6_T7_T9_mT8_S1D_bDpT10_ENKUlT_T0_E_clISt17integral_constantIbLb0EES1P_IbLb1EEEEDaS1L_S1M_EUlS1L_E_NS1_11comp_targetILNS1_3genE5ELNS1_11target_archE942ELNS1_3gpuE9ELNS1_3repE0EEENS1_30default_config_static_selectorELNS0_4arch9wavefront6targetE1EEEvSZ_.num_named_barrier, 0
	.set _ZN7rocprim17ROCPRIM_400000_NS6detail17trampoline_kernelINS0_13select_configILj256ELj13ELNS0_17block_load_methodE3ELS4_3ELS4_3ELNS0_20block_scan_algorithmE0ELj4294967295EEENS1_25partition_config_selectorILNS1_17partition_subalgoE3EjNS0_10empty_typeEbEEZZNS1_14partition_implILS8_3ELb0ES6_jNS0_17counting_iteratorIjlEEPS9_SE_NS0_5tupleIJPjSE_EEENSF_IJSE_SE_EEES9_SG_JZNS1_25segmented_radix_sort_implINS0_14default_configELb0EPK12hip_bfloat16PSL_PKlPlN2at6native12_GLOBAL__N_18offset_tEEE10hipError_tPvRmT1_PNSt15iterator_traitsISZ_E10value_typeET2_T3_PNS10_IS15_E10value_typeET4_jRbjT5_S1B_jjP12ihipStream_tbEUljE_EEESW_SX_SY_S15_S19_S1B_T6_T7_T9_mT8_S1D_bDpT10_ENKUlT_T0_E_clISt17integral_constantIbLb0EES1P_IbLb1EEEEDaS1L_S1M_EUlS1L_E_NS1_11comp_targetILNS1_3genE5ELNS1_11target_archE942ELNS1_3gpuE9ELNS1_3repE0EEENS1_30default_config_static_selectorELNS0_4arch9wavefront6targetE1EEEvSZ_.private_seg_size, 0
	.set _ZN7rocprim17ROCPRIM_400000_NS6detail17trampoline_kernelINS0_13select_configILj256ELj13ELNS0_17block_load_methodE3ELS4_3ELS4_3ELNS0_20block_scan_algorithmE0ELj4294967295EEENS1_25partition_config_selectorILNS1_17partition_subalgoE3EjNS0_10empty_typeEbEEZZNS1_14partition_implILS8_3ELb0ES6_jNS0_17counting_iteratorIjlEEPS9_SE_NS0_5tupleIJPjSE_EEENSF_IJSE_SE_EEES9_SG_JZNS1_25segmented_radix_sort_implINS0_14default_configELb0EPK12hip_bfloat16PSL_PKlPlN2at6native12_GLOBAL__N_18offset_tEEE10hipError_tPvRmT1_PNSt15iterator_traitsISZ_E10value_typeET2_T3_PNS10_IS15_E10value_typeET4_jRbjT5_S1B_jjP12ihipStream_tbEUljE_EEESW_SX_SY_S15_S19_S1B_T6_T7_T9_mT8_S1D_bDpT10_ENKUlT_T0_E_clISt17integral_constantIbLb0EES1P_IbLb1EEEEDaS1L_S1M_EUlS1L_E_NS1_11comp_targetILNS1_3genE5ELNS1_11target_archE942ELNS1_3gpuE9ELNS1_3repE0EEENS1_30default_config_static_selectorELNS0_4arch9wavefront6targetE1EEEvSZ_.uses_vcc, 0
	.set _ZN7rocprim17ROCPRIM_400000_NS6detail17trampoline_kernelINS0_13select_configILj256ELj13ELNS0_17block_load_methodE3ELS4_3ELS4_3ELNS0_20block_scan_algorithmE0ELj4294967295EEENS1_25partition_config_selectorILNS1_17partition_subalgoE3EjNS0_10empty_typeEbEEZZNS1_14partition_implILS8_3ELb0ES6_jNS0_17counting_iteratorIjlEEPS9_SE_NS0_5tupleIJPjSE_EEENSF_IJSE_SE_EEES9_SG_JZNS1_25segmented_radix_sort_implINS0_14default_configELb0EPK12hip_bfloat16PSL_PKlPlN2at6native12_GLOBAL__N_18offset_tEEE10hipError_tPvRmT1_PNSt15iterator_traitsISZ_E10value_typeET2_T3_PNS10_IS15_E10value_typeET4_jRbjT5_S1B_jjP12ihipStream_tbEUljE_EEESW_SX_SY_S15_S19_S1B_T6_T7_T9_mT8_S1D_bDpT10_ENKUlT_T0_E_clISt17integral_constantIbLb0EES1P_IbLb1EEEEDaS1L_S1M_EUlS1L_E_NS1_11comp_targetILNS1_3genE5ELNS1_11target_archE942ELNS1_3gpuE9ELNS1_3repE0EEENS1_30default_config_static_selectorELNS0_4arch9wavefront6targetE1EEEvSZ_.uses_flat_scratch, 0
	.set _ZN7rocprim17ROCPRIM_400000_NS6detail17trampoline_kernelINS0_13select_configILj256ELj13ELNS0_17block_load_methodE3ELS4_3ELS4_3ELNS0_20block_scan_algorithmE0ELj4294967295EEENS1_25partition_config_selectorILNS1_17partition_subalgoE3EjNS0_10empty_typeEbEEZZNS1_14partition_implILS8_3ELb0ES6_jNS0_17counting_iteratorIjlEEPS9_SE_NS0_5tupleIJPjSE_EEENSF_IJSE_SE_EEES9_SG_JZNS1_25segmented_radix_sort_implINS0_14default_configELb0EPK12hip_bfloat16PSL_PKlPlN2at6native12_GLOBAL__N_18offset_tEEE10hipError_tPvRmT1_PNSt15iterator_traitsISZ_E10value_typeET2_T3_PNS10_IS15_E10value_typeET4_jRbjT5_S1B_jjP12ihipStream_tbEUljE_EEESW_SX_SY_S15_S19_S1B_T6_T7_T9_mT8_S1D_bDpT10_ENKUlT_T0_E_clISt17integral_constantIbLb0EES1P_IbLb1EEEEDaS1L_S1M_EUlS1L_E_NS1_11comp_targetILNS1_3genE5ELNS1_11target_archE942ELNS1_3gpuE9ELNS1_3repE0EEENS1_30default_config_static_selectorELNS0_4arch9wavefront6targetE1EEEvSZ_.has_dyn_sized_stack, 0
	.set _ZN7rocprim17ROCPRIM_400000_NS6detail17trampoline_kernelINS0_13select_configILj256ELj13ELNS0_17block_load_methodE3ELS4_3ELS4_3ELNS0_20block_scan_algorithmE0ELj4294967295EEENS1_25partition_config_selectorILNS1_17partition_subalgoE3EjNS0_10empty_typeEbEEZZNS1_14partition_implILS8_3ELb0ES6_jNS0_17counting_iteratorIjlEEPS9_SE_NS0_5tupleIJPjSE_EEENSF_IJSE_SE_EEES9_SG_JZNS1_25segmented_radix_sort_implINS0_14default_configELb0EPK12hip_bfloat16PSL_PKlPlN2at6native12_GLOBAL__N_18offset_tEEE10hipError_tPvRmT1_PNSt15iterator_traitsISZ_E10value_typeET2_T3_PNS10_IS15_E10value_typeET4_jRbjT5_S1B_jjP12ihipStream_tbEUljE_EEESW_SX_SY_S15_S19_S1B_T6_T7_T9_mT8_S1D_bDpT10_ENKUlT_T0_E_clISt17integral_constantIbLb0EES1P_IbLb1EEEEDaS1L_S1M_EUlS1L_E_NS1_11comp_targetILNS1_3genE5ELNS1_11target_archE942ELNS1_3gpuE9ELNS1_3repE0EEENS1_30default_config_static_selectorELNS0_4arch9wavefront6targetE1EEEvSZ_.has_recursion, 0
	.set _ZN7rocprim17ROCPRIM_400000_NS6detail17trampoline_kernelINS0_13select_configILj256ELj13ELNS0_17block_load_methodE3ELS4_3ELS4_3ELNS0_20block_scan_algorithmE0ELj4294967295EEENS1_25partition_config_selectorILNS1_17partition_subalgoE3EjNS0_10empty_typeEbEEZZNS1_14partition_implILS8_3ELb0ES6_jNS0_17counting_iteratorIjlEEPS9_SE_NS0_5tupleIJPjSE_EEENSF_IJSE_SE_EEES9_SG_JZNS1_25segmented_radix_sort_implINS0_14default_configELb0EPK12hip_bfloat16PSL_PKlPlN2at6native12_GLOBAL__N_18offset_tEEE10hipError_tPvRmT1_PNSt15iterator_traitsISZ_E10value_typeET2_T3_PNS10_IS15_E10value_typeET4_jRbjT5_S1B_jjP12ihipStream_tbEUljE_EEESW_SX_SY_S15_S19_S1B_T6_T7_T9_mT8_S1D_bDpT10_ENKUlT_T0_E_clISt17integral_constantIbLb0EES1P_IbLb1EEEEDaS1L_S1M_EUlS1L_E_NS1_11comp_targetILNS1_3genE5ELNS1_11target_archE942ELNS1_3gpuE9ELNS1_3repE0EEENS1_30default_config_static_selectorELNS0_4arch9wavefront6targetE1EEEvSZ_.has_indirect_call, 0
	.section	.AMDGPU.csdata,"",@progbits
; Kernel info:
; codeLenInByte = 0
; TotalNumSgprs: 4
; NumVgprs: 0
; ScratchSize: 0
; MemoryBound: 0
; FloatMode: 240
; IeeeMode: 1
; LDSByteSize: 0 bytes/workgroup (compile time only)
; SGPRBlocks: 0
; VGPRBlocks: 0
; NumSGPRsForWavesPerEU: 4
; NumVGPRsForWavesPerEU: 1
; Occupancy: 10
; WaveLimiterHint : 0
; COMPUTE_PGM_RSRC2:SCRATCH_EN: 0
; COMPUTE_PGM_RSRC2:USER_SGPR: 6
; COMPUTE_PGM_RSRC2:TRAP_HANDLER: 0
; COMPUTE_PGM_RSRC2:TGID_X_EN: 1
; COMPUTE_PGM_RSRC2:TGID_Y_EN: 0
; COMPUTE_PGM_RSRC2:TGID_Z_EN: 0
; COMPUTE_PGM_RSRC2:TIDIG_COMP_CNT: 0
	.section	.text._ZN7rocprim17ROCPRIM_400000_NS6detail17trampoline_kernelINS0_13select_configILj256ELj13ELNS0_17block_load_methodE3ELS4_3ELS4_3ELNS0_20block_scan_algorithmE0ELj4294967295EEENS1_25partition_config_selectorILNS1_17partition_subalgoE3EjNS0_10empty_typeEbEEZZNS1_14partition_implILS8_3ELb0ES6_jNS0_17counting_iteratorIjlEEPS9_SE_NS0_5tupleIJPjSE_EEENSF_IJSE_SE_EEES9_SG_JZNS1_25segmented_radix_sort_implINS0_14default_configELb0EPK12hip_bfloat16PSL_PKlPlN2at6native12_GLOBAL__N_18offset_tEEE10hipError_tPvRmT1_PNSt15iterator_traitsISZ_E10value_typeET2_T3_PNS10_IS15_E10value_typeET4_jRbjT5_S1B_jjP12ihipStream_tbEUljE_EEESW_SX_SY_S15_S19_S1B_T6_T7_T9_mT8_S1D_bDpT10_ENKUlT_T0_E_clISt17integral_constantIbLb0EES1P_IbLb1EEEEDaS1L_S1M_EUlS1L_E_NS1_11comp_targetILNS1_3genE4ELNS1_11target_archE910ELNS1_3gpuE8ELNS1_3repE0EEENS1_30default_config_static_selectorELNS0_4arch9wavefront6targetE1EEEvSZ_,"axG",@progbits,_ZN7rocprim17ROCPRIM_400000_NS6detail17trampoline_kernelINS0_13select_configILj256ELj13ELNS0_17block_load_methodE3ELS4_3ELS4_3ELNS0_20block_scan_algorithmE0ELj4294967295EEENS1_25partition_config_selectorILNS1_17partition_subalgoE3EjNS0_10empty_typeEbEEZZNS1_14partition_implILS8_3ELb0ES6_jNS0_17counting_iteratorIjlEEPS9_SE_NS0_5tupleIJPjSE_EEENSF_IJSE_SE_EEES9_SG_JZNS1_25segmented_radix_sort_implINS0_14default_configELb0EPK12hip_bfloat16PSL_PKlPlN2at6native12_GLOBAL__N_18offset_tEEE10hipError_tPvRmT1_PNSt15iterator_traitsISZ_E10value_typeET2_T3_PNS10_IS15_E10value_typeET4_jRbjT5_S1B_jjP12ihipStream_tbEUljE_EEESW_SX_SY_S15_S19_S1B_T6_T7_T9_mT8_S1D_bDpT10_ENKUlT_T0_E_clISt17integral_constantIbLb0EES1P_IbLb1EEEEDaS1L_S1M_EUlS1L_E_NS1_11comp_targetILNS1_3genE4ELNS1_11target_archE910ELNS1_3gpuE8ELNS1_3repE0EEENS1_30default_config_static_selectorELNS0_4arch9wavefront6targetE1EEEvSZ_,comdat
	.globl	_ZN7rocprim17ROCPRIM_400000_NS6detail17trampoline_kernelINS0_13select_configILj256ELj13ELNS0_17block_load_methodE3ELS4_3ELS4_3ELNS0_20block_scan_algorithmE0ELj4294967295EEENS1_25partition_config_selectorILNS1_17partition_subalgoE3EjNS0_10empty_typeEbEEZZNS1_14partition_implILS8_3ELb0ES6_jNS0_17counting_iteratorIjlEEPS9_SE_NS0_5tupleIJPjSE_EEENSF_IJSE_SE_EEES9_SG_JZNS1_25segmented_radix_sort_implINS0_14default_configELb0EPK12hip_bfloat16PSL_PKlPlN2at6native12_GLOBAL__N_18offset_tEEE10hipError_tPvRmT1_PNSt15iterator_traitsISZ_E10value_typeET2_T3_PNS10_IS15_E10value_typeET4_jRbjT5_S1B_jjP12ihipStream_tbEUljE_EEESW_SX_SY_S15_S19_S1B_T6_T7_T9_mT8_S1D_bDpT10_ENKUlT_T0_E_clISt17integral_constantIbLb0EES1P_IbLb1EEEEDaS1L_S1M_EUlS1L_E_NS1_11comp_targetILNS1_3genE4ELNS1_11target_archE910ELNS1_3gpuE8ELNS1_3repE0EEENS1_30default_config_static_selectorELNS0_4arch9wavefront6targetE1EEEvSZ_ ; -- Begin function _ZN7rocprim17ROCPRIM_400000_NS6detail17trampoline_kernelINS0_13select_configILj256ELj13ELNS0_17block_load_methodE3ELS4_3ELS4_3ELNS0_20block_scan_algorithmE0ELj4294967295EEENS1_25partition_config_selectorILNS1_17partition_subalgoE3EjNS0_10empty_typeEbEEZZNS1_14partition_implILS8_3ELb0ES6_jNS0_17counting_iteratorIjlEEPS9_SE_NS0_5tupleIJPjSE_EEENSF_IJSE_SE_EEES9_SG_JZNS1_25segmented_radix_sort_implINS0_14default_configELb0EPK12hip_bfloat16PSL_PKlPlN2at6native12_GLOBAL__N_18offset_tEEE10hipError_tPvRmT1_PNSt15iterator_traitsISZ_E10value_typeET2_T3_PNS10_IS15_E10value_typeET4_jRbjT5_S1B_jjP12ihipStream_tbEUljE_EEESW_SX_SY_S15_S19_S1B_T6_T7_T9_mT8_S1D_bDpT10_ENKUlT_T0_E_clISt17integral_constantIbLb0EES1P_IbLb1EEEEDaS1L_S1M_EUlS1L_E_NS1_11comp_targetILNS1_3genE4ELNS1_11target_archE910ELNS1_3gpuE8ELNS1_3repE0EEENS1_30default_config_static_selectorELNS0_4arch9wavefront6targetE1EEEvSZ_
	.p2align	8
	.type	_ZN7rocprim17ROCPRIM_400000_NS6detail17trampoline_kernelINS0_13select_configILj256ELj13ELNS0_17block_load_methodE3ELS4_3ELS4_3ELNS0_20block_scan_algorithmE0ELj4294967295EEENS1_25partition_config_selectorILNS1_17partition_subalgoE3EjNS0_10empty_typeEbEEZZNS1_14partition_implILS8_3ELb0ES6_jNS0_17counting_iteratorIjlEEPS9_SE_NS0_5tupleIJPjSE_EEENSF_IJSE_SE_EEES9_SG_JZNS1_25segmented_radix_sort_implINS0_14default_configELb0EPK12hip_bfloat16PSL_PKlPlN2at6native12_GLOBAL__N_18offset_tEEE10hipError_tPvRmT1_PNSt15iterator_traitsISZ_E10value_typeET2_T3_PNS10_IS15_E10value_typeET4_jRbjT5_S1B_jjP12ihipStream_tbEUljE_EEESW_SX_SY_S15_S19_S1B_T6_T7_T9_mT8_S1D_bDpT10_ENKUlT_T0_E_clISt17integral_constantIbLb0EES1P_IbLb1EEEEDaS1L_S1M_EUlS1L_E_NS1_11comp_targetILNS1_3genE4ELNS1_11target_archE910ELNS1_3gpuE8ELNS1_3repE0EEENS1_30default_config_static_selectorELNS0_4arch9wavefront6targetE1EEEvSZ_,@function
_ZN7rocprim17ROCPRIM_400000_NS6detail17trampoline_kernelINS0_13select_configILj256ELj13ELNS0_17block_load_methodE3ELS4_3ELS4_3ELNS0_20block_scan_algorithmE0ELj4294967295EEENS1_25partition_config_selectorILNS1_17partition_subalgoE3EjNS0_10empty_typeEbEEZZNS1_14partition_implILS8_3ELb0ES6_jNS0_17counting_iteratorIjlEEPS9_SE_NS0_5tupleIJPjSE_EEENSF_IJSE_SE_EEES9_SG_JZNS1_25segmented_radix_sort_implINS0_14default_configELb0EPK12hip_bfloat16PSL_PKlPlN2at6native12_GLOBAL__N_18offset_tEEE10hipError_tPvRmT1_PNSt15iterator_traitsISZ_E10value_typeET2_T3_PNS10_IS15_E10value_typeET4_jRbjT5_S1B_jjP12ihipStream_tbEUljE_EEESW_SX_SY_S15_S19_S1B_T6_T7_T9_mT8_S1D_bDpT10_ENKUlT_T0_E_clISt17integral_constantIbLb0EES1P_IbLb1EEEEDaS1L_S1M_EUlS1L_E_NS1_11comp_targetILNS1_3genE4ELNS1_11target_archE910ELNS1_3gpuE8ELNS1_3repE0EEENS1_30default_config_static_selectorELNS0_4arch9wavefront6targetE1EEEvSZ_: ; @_ZN7rocprim17ROCPRIM_400000_NS6detail17trampoline_kernelINS0_13select_configILj256ELj13ELNS0_17block_load_methodE3ELS4_3ELS4_3ELNS0_20block_scan_algorithmE0ELj4294967295EEENS1_25partition_config_selectorILNS1_17partition_subalgoE3EjNS0_10empty_typeEbEEZZNS1_14partition_implILS8_3ELb0ES6_jNS0_17counting_iteratorIjlEEPS9_SE_NS0_5tupleIJPjSE_EEENSF_IJSE_SE_EEES9_SG_JZNS1_25segmented_radix_sort_implINS0_14default_configELb0EPK12hip_bfloat16PSL_PKlPlN2at6native12_GLOBAL__N_18offset_tEEE10hipError_tPvRmT1_PNSt15iterator_traitsISZ_E10value_typeET2_T3_PNS10_IS15_E10value_typeET4_jRbjT5_S1B_jjP12ihipStream_tbEUljE_EEESW_SX_SY_S15_S19_S1B_T6_T7_T9_mT8_S1D_bDpT10_ENKUlT_T0_E_clISt17integral_constantIbLb0EES1P_IbLb1EEEEDaS1L_S1M_EUlS1L_E_NS1_11comp_targetILNS1_3genE4ELNS1_11target_archE910ELNS1_3gpuE8ELNS1_3repE0EEENS1_30default_config_static_selectorELNS0_4arch9wavefront6targetE1EEEvSZ_
; %bb.0:
	.section	.rodata,"a",@progbits
	.p2align	6, 0x0
	.amdhsa_kernel _ZN7rocprim17ROCPRIM_400000_NS6detail17trampoline_kernelINS0_13select_configILj256ELj13ELNS0_17block_load_methodE3ELS4_3ELS4_3ELNS0_20block_scan_algorithmE0ELj4294967295EEENS1_25partition_config_selectorILNS1_17partition_subalgoE3EjNS0_10empty_typeEbEEZZNS1_14partition_implILS8_3ELb0ES6_jNS0_17counting_iteratorIjlEEPS9_SE_NS0_5tupleIJPjSE_EEENSF_IJSE_SE_EEES9_SG_JZNS1_25segmented_radix_sort_implINS0_14default_configELb0EPK12hip_bfloat16PSL_PKlPlN2at6native12_GLOBAL__N_18offset_tEEE10hipError_tPvRmT1_PNSt15iterator_traitsISZ_E10value_typeET2_T3_PNS10_IS15_E10value_typeET4_jRbjT5_S1B_jjP12ihipStream_tbEUljE_EEESW_SX_SY_S15_S19_S1B_T6_T7_T9_mT8_S1D_bDpT10_ENKUlT_T0_E_clISt17integral_constantIbLb0EES1P_IbLb1EEEEDaS1L_S1M_EUlS1L_E_NS1_11comp_targetILNS1_3genE4ELNS1_11target_archE910ELNS1_3gpuE8ELNS1_3repE0EEENS1_30default_config_static_selectorELNS0_4arch9wavefront6targetE1EEEvSZ_
		.amdhsa_group_segment_fixed_size 0
		.amdhsa_private_segment_fixed_size 0
		.amdhsa_kernarg_size 152
		.amdhsa_user_sgpr_count 6
		.amdhsa_user_sgpr_private_segment_buffer 1
		.amdhsa_user_sgpr_dispatch_ptr 0
		.amdhsa_user_sgpr_queue_ptr 0
		.amdhsa_user_sgpr_kernarg_segment_ptr 1
		.amdhsa_user_sgpr_dispatch_id 0
		.amdhsa_user_sgpr_flat_scratch_init 0
		.amdhsa_user_sgpr_private_segment_size 0
		.amdhsa_uses_dynamic_stack 0
		.amdhsa_system_sgpr_private_segment_wavefront_offset 0
		.amdhsa_system_sgpr_workgroup_id_x 1
		.amdhsa_system_sgpr_workgroup_id_y 0
		.amdhsa_system_sgpr_workgroup_id_z 0
		.amdhsa_system_sgpr_workgroup_info 0
		.amdhsa_system_vgpr_workitem_id 0
		.amdhsa_next_free_vgpr 1
		.amdhsa_next_free_sgpr 0
		.amdhsa_reserve_vcc 0
		.amdhsa_reserve_flat_scratch 0
		.amdhsa_float_round_mode_32 0
		.amdhsa_float_round_mode_16_64 0
		.amdhsa_float_denorm_mode_32 3
		.amdhsa_float_denorm_mode_16_64 3
		.amdhsa_dx10_clamp 1
		.amdhsa_ieee_mode 1
		.amdhsa_fp16_overflow 0
		.amdhsa_exception_fp_ieee_invalid_op 0
		.amdhsa_exception_fp_denorm_src 0
		.amdhsa_exception_fp_ieee_div_zero 0
		.amdhsa_exception_fp_ieee_overflow 0
		.amdhsa_exception_fp_ieee_underflow 0
		.amdhsa_exception_fp_ieee_inexact 0
		.amdhsa_exception_int_div_zero 0
	.end_amdhsa_kernel
	.section	.text._ZN7rocprim17ROCPRIM_400000_NS6detail17trampoline_kernelINS0_13select_configILj256ELj13ELNS0_17block_load_methodE3ELS4_3ELS4_3ELNS0_20block_scan_algorithmE0ELj4294967295EEENS1_25partition_config_selectorILNS1_17partition_subalgoE3EjNS0_10empty_typeEbEEZZNS1_14partition_implILS8_3ELb0ES6_jNS0_17counting_iteratorIjlEEPS9_SE_NS0_5tupleIJPjSE_EEENSF_IJSE_SE_EEES9_SG_JZNS1_25segmented_radix_sort_implINS0_14default_configELb0EPK12hip_bfloat16PSL_PKlPlN2at6native12_GLOBAL__N_18offset_tEEE10hipError_tPvRmT1_PNSt15iterator_traitsISZ_E10value_typeET2_T3_PNS10_IS15_E10value_typeET4_jRbjT5_S1B_jjP12ihipStream_tbEUljE_EEESW_SX_SY_S15_S19_S1B_T6_T7_T9_mT8_S1D_bDpT10_ENKUlT_T0_E_clISt17integral_constantIbLb0EES1P_IbLb1EEEEDaS1L_S1M_EUlS1L_E_NS1_11comp_targetILNS1_3genE4ELNS1_11target_archE910ELNS1_3gpuE8ELNS1_3repE0EEENS1_30default_config_static_selectorELNS0_4arch9wavefront6targetE1EEEvSZ_,"axG",@progbits,_ZN7rocprim17ROCPRIM_400000_NS6detail17trampoline_kernelINS0_13select_configILj256ELj13ELNS0_17block_load_methodE3ELS4_3ELS4_3ELNS0_20block_scan_algorithmE0ELj4294967295EEENS1_25partition_config_selectorILNS1_17partition_subalgoE3EjNS0_10empty_typeEbEEZZNS1_14partition_implILS8_3ELb0ES6_jNS0_17counting_iteratorIjlEEPS9_SE_NS0_5tupleIJPjSE_EEENSF_IJSE_SE_EEES9_SG_JZNS1_25segmented_radix_sort_implINS0_14default_configELb0EPK12hip_bfloat16PSL_PKlPlN2at6native12_GLOBAL__N_18offset_tEEE10hipError_tPvRmT1_PNSt15iterator_traitsISZ_E10value_typeET2_T3_PNS10_IS15_E10value_typeET4_jRbjT5_S1B_jjP12ihipStream_tbEUljE_EEESW_SX_SY_S15_S19_S1B_T6_T7_T9_mT8_S1D_bDpT10_ENKUlT_T0_E_clISt17integral_constantIbLb0EES1P_IbLb1EEEEDaS1L_S1M_EUlS1L_E_NS1_11comp_targetILNS1_3genE4ELNS1_11target_archE910ELNS1_3gpuE8ELNS1_3repE0EEENS1_30default_config_static_selectorELNS0_4arch9wavefront6targetE1EEEvSZ_,comdat
.Lfunc_end2043:
	.size	_ZN7rocprim17ROCPRIM_400000_NS6detail17trampoline_kernelINS0_13select_configILj256ELj13ELNS0_17block_load_methodE3ELS4_3ELS4_3ELNS0_20block_scan_algorithmE0ELj4294967295EEENS1_25partition_config_selectorILNS1_17partition_subalgoE3EjNS0_10empty_typeEbEEZZNS1_14partition_implILS8_3ELb0ES6_jNS0_17counting_iteratorIjlEEPS9_SE_NS0_5tupleIJPjSE_EEENSF_IJSE_SE_EEES9_SG_JZNS1_25segmented_radix_sort_implINS0_14default_configELb0EPK12hip_bfloat16PSL_PKlPlN2at6native12_GLOBAL__N_18offset_tEEE10hipError_tPvRmT1_PNSt15iterator_traitsISZ_E10value_typeET2_T3_PNS10_IS15_E10value_typeET4_jRbjT5_S1B_jjP12ihipStream_tbEUljE_EEESW_SX_SY_S15_S19_S1B_T6_T7_T9_mT8_S1D_bDpT10_ENKUlT_T0_E_clISt17integral_constantIbLb0EES1P_IbLb1EEEEDaS1L_S1M_EUlS1L_E_NS1_11comp_targetILNS1_3genE4ELNS1_11target_archE910ELNS1_3gpuE8ELNS1_3repE0EEENS1_30default_config_static_selectorELNS0_4arch9wavefront6targetE1EEEvSZ_, .Lfunc_end2043-_ZN7rocprim17ROCPRIM_400000_NS6detail17trampoline_kernelINS0_13select_configILj256ELj13ELNS0_17block_load_methodE3ELS4_3ELS4_3ELNS0_20block_scan_algorithmE0ELj4294967295EEENS1_25partition_config_selectorILNS1_17partition_subalgoE3EjNS0_10empty_typeEbEEZZNS1_14partition_implILS8_3ELb0ES6_jNS0_17counting_iteratorIjlEEPS9_SE_NS0_5tupleIJPjSE_EEENSF_IJSE_SE_EEES9_SG_JZNS1_25segmented_radix_sort_implINS0_14default_configELb0EPK12hip_bfloat16PSL_PKlPlN2at6native12_GLOBAL__N_18offset_tEEE10hipError_tPvRmT1_PNSt15iterator_traitsISZ_E10value_typeET2_T3_PNS10_IS15_E10value_typeET4_jRbjT5_S1B_jjP12ihipStream_tbEUljE_EEESW_SX_SY_S15_S19_S1B_T6_T7_T9_mT8_S1D_bDpT10_ENKUlT_T0_E_clISt17integral_constantIbLb0EES1P_IbLb1EEEEDaS1L_S1M_EUlS1L_E_NS1_11comp_targetILNS1_3genE4ELNS1_11target_archE910ELNS1_3gpuE8ELNS1_3repE0EEENS1_30default_config_static_selectorELNS0_4arch9wavefront6targetE1EEEvSZ_
                                        ; -- End function
	.set _ZN7rocprim17ROCPRIM_400000_NS6detail17trampoline_kernelINS0_13select_configILj256ELj13ELNS0_17block_load_methodE3ELS4_3ELS4_3ELNS0_20block_scan_algorithmE0ELj4294967295EEENS1_25partition_config_selectorILNS1_17partition_subalgoE3EjNS0_10empty_typeEbEEZZNS1_14partition_implILS8_3ELb0ES6_jNS0_17counting_iteratorIjlEEPS9_SE_NS0_5tupleIJPjSE_EEENSF_IJSE_SE_EEES9_SG_JZNS1_25segmented_radix_sort_implINS0_14default_configELb0EPK12hip_bfloat16PSL_PKlPlN2at6native12_GLOBAL__N_18offset_tEEE10hipError_tPvRmT1_PNSt15iterator_traitsISZ_E10value_typeET2_T3_PNS10_IS15_E10value_typeET4_jRbjT5_S1B_jjP12ihipStream_tbEUljE_EEESW_SX_SY_S15_S19_S1B_T6_T7_T9_mT8_S1D_bDpT10_ENKUlT_T0_E_clISt17integral_constantIbLb0EES1P_IbLb1EEEEDaS1L_S1M_EUlS1L_E_NS1_11comp_targetILNS1_3genE4ELNS1_11target_archE910ELNS1_3gpuE8ELNS1_3repE0EEENS1_30default_config_static_selectorELNS0_4arch9wavefront6targetE1EEEvSZ_.num_vgpr, 0
	.set _ZN7rocprim17ROCPRIM_400000_NS6detail17trampoline_kernelINS0_13select_configILj256ELj13ELNS0_17block_load_methodE3ELS4_3ELS4_3ELNS0_20block_scan_algorithmE0ELj4294967295EEENS1_25partition_config_selectorILNS1_17partition_subalgoE3EjNS0_10empty_typeEbEEZZNS1_14partition_implILS8_3ELb0ES6_jNS0_17counting_iteratorIjlEEPS9_SE_NS0_5tupleIJPjSE_EEENSF_IJSE_SE_EEES9_SG_JZNS1_25segmented_radix_sort_implINS0_14default_configELb0EPK12hip_bfloat16PSL_PKlPlN2at6native12_GLOBAL__N_18offset_tEEE10hipError_tPvRmT1_PNSt15iterator_traitsISZ_E10value_typeET2_T3_PNS10_IS15_E10value_typeET4_jRbjT5_S1B_jjP12ihipStream_tbEUljE_EEESW_SX_SY_S15_S19_S1B_T6_T7_T9_mT8_S1D_bDpT10_ENKUlT_T0_E_clISt17integral_constantIbLb0EES1P_IbLb1EEEEDaS1L_S1M_EUlS1L_E_NS1_11comp_targetILNS1_3genE4ELNS1_11target_archE910ELNS1_3gpuE8ELNS1_3repE0EEENS1_30default_config_static_selectorELNS0_4arch9wavefront6targetE1EEEvSZ_.num_agpr, 0
	.set _ZN7rocprim17ROCPRIM_400000_NS6detail17trampoline_kernelINS0_13select_configILj256ELj13ELNS0_17block_load_methodE3ELS4_3ELS4_3ELNS0_20block_scan_algorithmE0ELj4294967295EEENS1_25partition_config_selectorILNS1_17partition_subalgoE3EjNS0_10empty_typeEbEEZZNS1_14partition_implILS8_3ELb0ES6_jNS0_17counting_iteratorIjlEEPS9_SE_NS0_5tupleIJPjSE_EEENSF_IJSE_SE_EEES9_SG_JZNS1_25segmented_radix_sort_implINS0_14default_configELb0EPK12hip_bfloat16PSL_PKlPlN2at6native12_GLOBAL__N_18offset_tEEE10hipError_tPvRmT1_PNSt15iterator_traitsISZ_E10value_typeET2_T3_PNS10_IS15_E10value_typeET4_jRbjT5_S1B_jjP12ihipStream_tbEUljE_EEESW_SX_SY_S15_S19_S1B_T6_T7_T9_mT8_S1D_bDpT10_ENKUlT_T0_E_clISt17integral_constantIbLb0EES1P_IbLb1EEEEDaS1L_S1M_EUlS1L_E_NS1_11comp_targetILNS1_3genE4ELNS1_11target_archE910ELNS1_3gpuE8ELNS1_3repE0EEENS1_30default_config_static_selectorELNS0_4arch9wavefront6targetE1EEEvSZ_.numbered_sgpr, 0
	.set _ZN7rocprim17ROCPRIM_400000_NS6detail17trampoline_kernelINS0_13select_configILj256ELj13ELNS0_17block_load_methodE3ELS4_3ELS4_3ELNS0_20block_scan_algorithmE0ELj4294967295EEENS1_25partition_config_selectorILNS1_17partition_subalgoE3EjNS0_10empty_typeEbEEZZNS1_14partition_implILS8_3ELb0ES6_jNS0_17counting_iteratorIjlEEPS9_SE_NS0_5tupleIJPjSE_EEENSF_IJSE_SE_EEES9_SG_JZNS1_25segmented_radix_sort_implINS0_14default_configELb0EPK12hip_bfloat16PSL_PKlPlN2at6native12_GLOBAL__N_18offset_tEEE10hipError_tPvRmT1_PNSt15iterator_traitsISZ_E10value_typeET2_T3_PNS10_IS15_E10value_typeET4_jRbjT5_S1B_jjP12ihipStream_tbEUljE_EEESW_SX_SY_S15_S19_S1B_T6_T7_T9_mT8_S1D_bDpT10_ENKUlT_T0_E_clISt17integral_constantIbLb0EES1P_IbLb1EEEEDaS1L_S1M_EUlS1L_E_NS1_11comp_targetILNS1_3genE4ELNS1_11target_archE910ELNS1_3gpuE8ELNS1_3repE0EEENS1_30default_config_static_selectorELNS0_4arch9wavefront6targetE1EEEvSZ_.num_named_barrier, 0
	.set _ZN7rocprim17ROCPRIM_400000_NS6detail17trampoline_kernelINS0_13select_configILj256ELj13ELNS0_17block_load_methodE3ELS4_3ELS4_3ELNS0_20block_scan_algorithmE0ELj4294967295EEENS1_25partition_config_selectorILNS1_17partition_subalgoE3EjNS0_10empty_typeEbEEZZNS1_14partition_implILS8_3ELb0ES6_jNS0_17counting_iteratorIjlEEPS9_SE_NS0_5tupleIJPjSE_EEENSF_IJSE_SE_EEES9_SG_JZNS1_25segmented_radix_sort_implINS0_14default_configELb0EPK12hip_bfloat16PSL_PKlPlN2at6native12_GLOBAL__N_18offset_tEEE10hipError_tPvRmT1_PNSt15iterator_traitsISZ_E10value_typeET2_T3_PNS10_IS15_E10value_typeET4_jRbjT5_S1B_jjP12ihipStream_tbEUljE_EEESW_SX_SY_S15_S19_S1B_T6_T7_T9_mT8_S1D_bDpT10_ENKUlT_T0_E_clISt17integral_constantIbLb0EES1P_IbLb1EEEEDaS1L_S1M_EUlS1L_E_NS1_11comp_targetILNS1_3genE4ELNS1_11target_archE910ELNS1_3gpuE8ELNS1_3repE0EEENS1_30default_config_static_selectorELNS0_4arch9wavefront6targetE1EEEvSZ_.private_seg_size, 0
	.set _ZN7rocprim17ROCPRIM_400000_NS6detail17trampoline_kernelINS0_13select_configILj256ELj13ELNS0_17block_load_methodE3ELS4_3ELS4_3ELNS0_20block_scan_algorithmE0ELj4294967295EEENS1_25partition_config_selectorILNS1_17partition_subalgoE3EjNS0_10empty_typeEbEEZZNS1_14partition_implILS8_3ELb0ES6_jNS0_17counting_iteratorIjlEEPS9_SE_NS0_5tupleIJPjSE_EEENSF_IJSE_SE_EEES9_SG_JZNS1_25segmented_radix_sort_implINS0_14default_configELb0EPK12hip_bfloat16PSL_PKlPlN2at6native12_GLOBAL__N_18offset_tEEE10hipError_tPvRmT1_PNSt15iterator_traitsISZ_E10value_typeET2_T3_PNS10_IS15_E10value_typeET4_jRbjT5_S1B_jjP12ihipStream_tbEUljE_EEESW_SX_SY_S15_S19_S1B_T6_T7_T9_mT8_S1D_bDpT10_ENKUlT_T0_E_clISt17integral_constantIbLb0EES1P_IbLb1EEEEDaS1L_S1M_EUlS1L_E_NS1_11comp_targetILNS1_3genE4ELNS1_11target_archE910ELNS1_3gpuE8ELNS1_3repE0EEENS1_30default_config_static_selectorELNS0_4arch9wavefront6targetE1EEEvSZ_.uses_vcc, 0
	.set _ZN7rocprim17ROCPRIM_400000_NS6detail17trampoline_kernelINS0_13select_configILj256ELj13ELNS0_17block_load_methodE3ELS4_3ELS4_3ELNS0_20block_scan_algorithmE0ELj4294967295EEENS1_25partition_config_selectorILNS1_17partition_subalgoE3EjNS0_10empty_typeEbEEZZNS1_14partition_implILS8_3ELb0ES6_jNS0_17counting_iteratorIjlEEPS9_SE_NS0_5tupleIJPjSE_EEENSF_IJSE_SE_EEES9_SG_JZNS1_25segmented_radix_sort_implINS0_14default_configELb0EPK12hip_bfloat16PSL_PKlPlN2at6native12_GLOBAL__N_18offset_tEEE10hipError_tPvRmT1_PNSt15iterator_traitsISZ_E10value_typeET2_T3_PNS10_IS15_E10value_typeET4_jRbjT5_S1B_jjP12ihipStream_tbEUljE_EEESW_SX_SY_S15_S19_S1B_T6_T7_T9_mT8_S1D_bDpT10_ENKUlT_T0_E_clISt17integral_constantIbLb0EES1P_IbLb1EEEEDaS1L_S1M_EUlS1L_E_NS1_11comp_targetILNS1_3genE4ELNS1_11target_archE910ELNS1_3gpuE8ELNS1_3repE0EEENS1_30default_config_static_selectorELNS0_4arch9wavefront6targetE1EEEvSZ_.uses_flat_scratch, 0
	.set _ZN7rocprim17ROCPRIM_400000_NS6detail17trampoline_kernelINS0_13select_configILj256ELj13ELNS0_17block_load_methodE3ELS4_3ELS4_3ELNS0_20block_scan_algorithmE0ELj4294967295EEENS1_25partition_config_selectorILNS1_17partition_subalgoE3EjNS0_10empty_typeEbEEZZNS1_14partition_implILS8_3ELb0ES6_jNS0_17counting_iteratorIjlEEPS9_SE_NS0_5tupleIJPjSE_EEENSF_IJSE_SE_EEES9_SG_JZNS1_25segmented_radix_sort_implINS0_14default_configELb0EPK12hip_bfloat16PSL_PKlPlN2at6native12_GLOBAL__N_18offset_tEEE10hipError_tPvRmT1_PNSt15iterator_traitsISZ_E10value_typeET2_T3_PNS10_IS15_E10value_typeET4_jRbjT5_S1B_jjP12ihipStream_tbEUljE_EEESW_SX_SY_S15_S19_S1B_T6_T7_T9_mT8_S1D_bDpT10_ENKUlT_T0_E_clISt17integral_constantIbLb0EES1P_IbLb1EEEEDaS1L_S1M_EUlS1L_E_NS1_11comp_targetILNS1_3genE4ELNS1_11target_archE910ELNS1_3gpuE8ELNS1_3repE0EEENS1_30default_config_static_selectorELNS0_4arch9wavefront6targetE1EEEvSZ_.has_dyn_sized_stack, 0
	.set _ZN7rocprim17ROCPRIM_400000_NS6detail17trampoline_kernelINS0_13select_configILj256ELj13ELNS0_17block_load_methodE3ELS4_3ELS4_3ELNS0_20block_scan_algorithmE0ELj4294967295EEENS1_25partition_config_selectorILNS1_17partition_subalgoE3EjNS0_10empty_typeEbEEZZNS1_14partition_implILS8_3ELb0ES6_jNS0_17counting_iteratorIjlEEPS9_SE_NS0_5tupleIJPjSE_EEENSF_IJSE_SE_EEES9_SG_JZNS1_25segmented_radix_sort_implINS0_14default_configELb0EPK12hip_bfloat16PSL_PKlPlN2at6native12_GLOBAL__N_18offset_tEEE10hipError_tPvRmT1_PNSt15iterator_traitsISZ_E10value_typeET2_T3_PNS10_IS15_E10value_typeET4_jRbjT5_S1B_jjP12ihipStream_tbEUljE_EEESW_SX_SY_S15_S19_S1B_T6_T7_T9_mT8_S1D_bDpT10_ENKUlT_T0_E_clISt17integral_constantIbLb0EES1P_IbLb1EEEEDaS1L_S1M_EUlS1L_E_NS1_11comp_targetILNS1_3genE4ELNS1_11target_archE910ELNS1_3gpuE8ELNS1_3repE0EEENS1_30default_config_static_selectorELNS0_4arch9wavefront6targetE1EEEvSZ_.has_recursion, 0
	.set _ZN7rocprim17ROCPRIM_400000_NS6detail17trampoline_kernelINS0_13select_configILj256ELj13ELNS0_17block_load_methodE3ELS4_3ELS4_3ELNS0_20block_scan_algorithmE0ELj4294967295EEENS1_25partition_config_selectorILNS1_17partition_subalgoE3EjNS0_10empty_typeEbEEZZNS1_14partition_implILS8_3ELb0ES6_jNS0_17counting_iteratorIjlEEPS9_SE_NS0_5tupleIJPjSE_EEENSF_IJSE_SE_EEES9_SG_JZNS1_25segmented_radix_sort_implINS0_14default_configELb0EPK12hip_bfloat16PSL_PKlPlN2at6native12_GLOBAL__N_18offset_tEEE10hipError_tPvRmT1_PNSt15iterator_traitsISZ_E10value_typeET2_T3_PNS10_IS15_E10value_typeET4_jRbjT5_S1B_jjP12ihipStream_tbEUljE_EEESW_SX_SY_S15_S19_S1B_T6_T7_T9_mT8_S1D_bDpT10_ENKUlT_T0_E_clISt17integral_constantIbLb0EES1P_IbLb1EEEEDaS1L_S1M_EUlS1L_E_NS1_11comp_targetILNS1_3genE4ELNS1_11target_archE910ELNS1_3gpuE8ELNS1_3repE0EEENS1_30default_config_static_selectorELNS0_4arch9wavefront6targetE1EEEvSZ_.has_indirect_call, 0
	.section	.AMDGPU.csdata,"",@progbits
; Kernel info:
; codeLenInByte = 0
; TotalNumSgprs: 4
; NumVgprs: 0
; ScratchSize: 0
; MemoryBound: 0
; FloatMode: 240
; IeeeMode: 1
; LDSByteSize: 0 bytes/workgroup (compile time only)
; SGPRBlocks: 0
; VGPRBlocks: 0
; NumSGPRsForWavesPerEU: 4
; NumVGPRsForWavesPerEU: 1
; Occupancy: 10
; WaveLimiterHint : 0
; COMPUTE_PGM_RSRC2:SCRATCH_EN: 0
; COMPUTE_PGM_RSRC2:USER_SGPR: 6
; COMPUTE_PGM_RSRC2:TRAP_HANDLER: 0
; COMPUTE_PGM_RSRC2:TGID_X_EN: 1
; COMPUTE_PGM_RSRC2:TGID_Y_EN: 0
; COMPUTE_PGM_RSRC2:TGID_Z_EN: 0
; COMPUTE_PGM_RSRC2:TIDIG_COMP_CNT: 0
	.section	.text._ZN7rocprim17ROCPRIM_400000_NS6detail17trampoline_kernelINS0_13select_configILj256ELj13ELNS0_17block_load_methodE3ELS4_3ELS4_3ELNS0_20block_scan_algorithmE0ELj4294967295EEENS1_25partition_config_selectorILNS1_17partition_subalgoE3EjNS0_10empty_typeEbEEZZNS1_14partition_implILS8_3ELb0ES6_jNS0_17counting_iteratorIjlEEPS9_SE_NS0_5tupleIJPjSE_EEENSF_IJSE_SE_EEES9_SG_JZNS1_25segmented_radix_sort_implINS0_14default_configELb0EPK12hip_bfloat16PSL_PKlPlN2at6native12_GLOBAL__N_18offset_tEEE10hipError_tPvRmT1_PNSt15iterator_traitsISZ_E10value_typeET2_T3_PNS10_IS15_E10value_typeET4_jRbjT5_S1B_jjP12ihipStream_tbEUljE_EEESW_SX_SY_S15_S19_S1B_T6_T7_T9_mT8_S1D_bDpT10_ENKUlT_T0_E_clISt17integral_constantIbLb0EES1P_IbLb1EEEEDaS1L_S1M_EUlS1L_E_NS1_11comp_targetILNS1_3genE3ELNS1_11target_archE908ELNS1_3gpuE7ELNS1_3repE0EEENS1_30default_config_static_selectorELNS0_4arch9wavefront6targetE1EEEvSZ_,"axG",@progbits,_ZN7rocprim17ROCPRIM_400000_NS6detail17trampoline_kernelINS0_13select_configILj256ELj13ELNS0_17block_load_methodE3ELS4_3ELS4_3ELNS0_20block_scan_algorithmE0ELj4294967295EEENS1_25partition_config_selectorILNS1_17partition_subalgoE3EjNS0_10empty_typeEbEEZZNS1_14partition_implILS8_3ELb0ES6_jNS0_17counting_iteratorIjlEEPS9_SE_NS0_5tupleIJPjSE_EEENSF_IJSE_SE_EEES9_SG_JZNS1_25segmented_radix_sort_implINS0_14default_configELb0EPK12hip_bfloat16PSL_PKlPlN2at6native12_GLOBAL__N_18offset_tEEE10hipError_tPvRmT1_PNSt15iterator_traitsISZ_E10value_typeET2_T3_PNS10_IS15_E10value_typeET4_jRbjT5_S1B_jjP12ihipStream_tbEUljE_EEESW_SX_SY_S15_S19_S1B_T6_T7_T9_mT8_S1D_bDpT10_ENKUlT_T0_E_clISt17integral_constantIbLb0EES1P_IbLb1EEEEDaS1L_S1M_EUlS1L_E_NS1_11comp_targetILNS1_3genE3ELNS1_11target_archE908ELNS1_3gpuE7ELNS1_3repE0EEENS1_30default_config_static_selectorELNS0_4arch9wavefront6targetE1EEEvSZ_,comdat
	.globl	_ZN7rocprim17ROCPRIM_400000_NS6detail17trampoline_kernelINS0_13select_configILj256ELj13ELNS0_17block_load_methodE3ELS4_3ELS4_3ELNS0_20block_scan_algorithmE0ELj4294967295EEENS1_25partition_config_selectorILNS1_17partition_subalgoE3EjNS0_10empty_typeEbEEZZNS1_14partition_implILS8_3ELb0ES6_jNS0_17counting_iteratorIjlEEPS9_SE_NS0_5tupleIJPjSE_EEENSF_IJSE_SE_EEES9_SG_JZNS1_25segmented_radix_sort_implINS0_14default_configELb0EPK12hip_bfloat16PSL_PKlPlN2at6native12_GLOBAL__N_18offset_tEEE10hipError_tPvRmT1_PNSt15iterator_traitsISZ_E10value_typeET2_T3_PNS10_IS15_E10value_typeET4_jRbjT5_S1B_jjP12ihipStream_tbEUljE_EEESW_SX_SY_S15_S19_S1B_T6_T7_T9_mT8_S1D_bDpT10_ENKUlT_T0_E_clISt17integral_constantIbLb0EES1P_IbLb1EEEEDaS1L_S1M_EUlS1L_E_NS1_11comp_targetILNS1_3genE3ELNS1_11target_archE908ELNS1_3gpuE7ELNS1_3repE0EEENS1_30default_config_static_selectorELNS0_4arch9wavefront6targetE1EEEvSZ_ ; -- Begin function _ZN7rocprim17ROCPRIM_400000_NS6detail17trampoline_kernelINS0_13select_configILj256ELj13ELNS0_17block_load_methodE3ELS4_3ELS4_3ELNS0_20block_scan_algorithmE0ELj4294967295EEENS1_25partition_config_selectorILNS1_17partition_subalgoE3EjNS0_10empty_typeEbEEZZNS1_14partition_implILS8_3ELb0ES6_jNS0_17counting_iteratorIjlEEPS9_SE_NS0_5tupleIJPjSE_EEENSF_IJSE_SE_EEES9_SG_JZNS1_25segmented_radix_sort_implINS0_14default_configELb0EPK12hip_bfloat16PSL_PKlPlN2at6native12_GLOBAL__N_18offset_tEEE10hipError_tPvRmT1_PNSt15iterator_traitsISZ_E10value_typeET2_T3_PNS10_IS15_E10value_typeET4_jRbjT5_S1B_jjP12ihipStream_tbEUljE_EEESW_SX_SY_S15_S19_S1B_T6_T7_T9_mT8_S1D_bDpT10_ENKUlT_T0_E_clISt17integral_constantIbLb0EES1P_IbLb1EEEEDaS1L_S1M_EUlS1L_E_NS1_11comp_targetILNS1_3genE3ELNS1_11target_archE908ELNS1_3gpuE7ELNS1_3repE0EEENS1_30default_config_static_selectorELNS0_4arch9wavefront6targetE1EEEvSZ_
	.p2align	8
	.type	_ZN7rocprim17ROCPRIM_400000_NS6detail17trampoline_kernelINS0_13select_configILj256ELj13ELNS0_17block_load_methodE3ELS4_3ELS4_3ELNS0_20block_scan_algorithmE0ELj4294967295EEENS1_25partition_config_selectorILNS1_17partition_subalgoE3EjNS0_10empty_typeEbEEZZNS1_14partition_implILS8_3ELb0ES6_jNS0_17counting_iteratorIjlEEPS9_SE_NS0_5tupleIJPjSE_EEENSF_IJSE_SE_EEES9_SG_JZNS1_25segmented_radix_sort_implINS0_14default_configELb0EPK12hip_bfloat16PSL_PKlPlN2at6native12_GLOBAL__N_18offset_tEEE10hipError_tPvRmT1_PNSt15iterator_traitsISZ_E10value_typeET2_T3_PNS10_IS15_E10value_typeET4_jRbjT5_S1B_jjP12ihipStream_tbEUljE_EEESW_SX_SY_S15_S19_S1B_T6_T7_T9_mT8_S1D_bDpT10_ENKUlT_T0_E_clISt17integral_constantIbLb0EES1P_IbLb1EEEEDaS1L_S1M_EUlS1L_E_NS1_11comp_targetILNS1_3genE3ELNS1_11target_archE908ELNS1_3gpuE7ELNS1_3repE0EEENS1_30default_config_static_selectorELNS0_4arch9wavefront6targetE1EEEvSZ_,@function
_ZN7rocprim17ROCPRIM_400000_NS6detail17trampoline_kernelINS0_13select_configILj256ELj13ELNS0_17block_load_methodE3ELS4_3ELS4_3ELNS0_20block_scan_algorithmE0ELj4294967295EEENS1_25partition_config_selectorILNS1_17partition_subalgoE3EjNS0_10empty_typeEbEEZZNS1_14partition_implILS8_3ELb0ES6_jNS0_17counting_iteratorIjlEEPS9_SE_NS0_5tupleIJPjSE_EEENSF_IJSE_SE_EEES9_SG_JZNS1_25segmented_radix_sort_implINS0_14default_configELb0EPK12hip_bfloat16PSL_PKlPlN2at6native12_GLOBAL__N_18offset_tEEE10hipError_tPvRmT1_PNSt15iterator_traitsISZ_E10value_typeET2_T3_PNS10_IS15_E10value_typeET4_jRbjT5_S1B_jjP12ihipStream_tbEUljE_EEESW_SX_SY_S15_S19_S1B_T6_T7_T9_mT8_S1D_bDpT10_ENKUlT_T0_E_clISt17integral_constantIbLb0EES1P_IbLb1EEEEDaS1L_S1M_EUlS1L_E_NS1_11comp_targetILNS1_3genE3ELNS1_11target_archE908ELNS1_3gpuE7ELNS1_3repE0EEENS1_30default_config_static_selectorELNS0_4arch9wavefront6targetE1EEEvSZ_: ; @_ZN7rocprim17ROCPRIM_400000_NS6detail17trampoline_kernelINS0_13select_configILj256ELj13ELNS0_17block_load_methodE3ELS4_3ELS4_3ELNS0_20block_scan_algorithmE0ELj4294967295EEENS1_25partition_config_selectorILNS1_17partition_subalgoE3EjNS0_10empty_typeEbEEZZNS1_14partition_implILS8_3ELb0ES6_jNS0_17counting_iteratorIjlEEPS9_SE_NS0_5tupleIJPjSE_EEENSF_IJSE_SE_EEES9_SG_JZNS1_25segmented_radix_sort_implINS0_14default_configELb0EPK12hip_bfloat16PSL_PKlPlN2at6native12_GLOBAL__N_18offset_tEEE10hipError_tPvRmT1_PNSt15iterator_traitsISZ_E10value_typeET2_T3_PNS10_IS15_E10value_typeET4_jRbjT5_S1B_jjP12ihipStream_tbEUljE_EEESW_SX_SY_S15_S19_S1B_T6_T7_T9_mT8_S1D_bDpT10_ENKUlT_T0_E_clISt17integral_constantIbLb0EES1P_IbLb1EEEEDaS1L_S1M_EUlS1L_E_NS1_11comp_targetILNS1_3genE3ELNS1_11target_archE908ELNS1_3gpuE7ELNS1_3repE0EEENS1_30default_config_static_selectorELNS0_4arch9wavefront6targetE1EEEvSZ_
; %bb.0:
	.section	.rodata,"a",@progbits
	.p2align	6, 0x0
	.amdhsa_kernel _ZN7rocprim17ROCPRIM_400000_NS6detail17trampoline_kernelINS0_13select_configILj256ELj13ELNS0_17block_load_methodE3ELS4_3ELS4_3ELNS0_20block_scan_algorithmE0ELj4294967295EEENS1_25partition_config_selectorILNS1_17partition_subalgoE3EjNS0_10empty_typeEbEEZZNS1_14partition_implILS8_3ELb0ES6_jNS0_17counting_iteratorIjlEEPS9_SE_NS0_5tupleIJPjSE_EEENSF_IJSE_SE_EEES9_SG_JZNS1_25segmented_radix_sort_implINS0_14default_configELb0EPK12hip_bfloat16PSL_PKlPlN2at6native12_GLOBAL__N_18offset_tEEE10hipError_tPvRmT1_PNSt15iterator_traitsISZ_E10value_typeET2_T3_PNS10_IS15_E10value_typeET4_jRbjT5_S1B_jjP12ihipStream_tbEUljE_EEESW_SX_SY_S15_S19_S1B_T6_T7_T9_mT8_S1D_bDpT10_ENKUlT_T0_E_clISt17integral_constantIbLb0EES1P_IbLb1EEEEDaS1L_S1M_EUlS1L_E_NS1_11comp_targetILNS1_3genE3ELNS1_11target_archE908ELNS1_3gpuE7ELNS1_3repE0EEENS1_30default_config_static_selectorELNS0_4arch9wavefront6targetE1EEEvSZ_
		.amdhsa_group_segment_fixed_size 0
		.amdhsa_private_segment_fixed_size 0
		.amdhsa_kernarg_size 152
		.amdhsa_user_sgpr_count 6
		.amdhsa_user_sgpr_private_segment_buffer 1
		.amdhsa_user_sgpr_dispatch_ptr 0
		.amdhsa_user_sgpr_queue_ptr 0
		.amdhsa_user_sgpr_kernarg_segment_ptr 1
		.amdhsa_user_sgpr_dispatch_id 0
		.amdhsa_user_sgpr_flat_scratch_init 0
		.amdhsa_user_sgpr_private_segment_size 0
		.amdhsa_uses_dynamic_stack 0
		.amdhsa_system_sgpr_private_segment_wavefront_offset 0
		.amdhsa_system_sgpr_workgroup_id_x 1
		.amdhsa_system_sgpr_workgroup_id_y 0
		.amdhsa_system_sgpr_workgroup_id_z 0
		.amdhsa_system_sgpr_workgroup_info 0
		.amdhsa_system_vgpr_workitem_id 0
		.amdhsa_next_free_vgpr 1
		.amdhsa_next_free_sgpr 0
		.amdhsa_reserve_vcc 0
		.amdhsa_reserve_flat_scratch 0
		.amdhsa_float_round_mode_32 0
		.amdhsa_float_round_mode_16_64 0
		.amdhsa_float_denorm_mode_32 3
		.amdhsa_float_denorm_mode_16_64 3
		.amdhsa_dx10_clamp 1
		.amdhsa_ieee_mode 1
		.amdhsa_fp16_overflow 0
		.amdhsa_exception_fp_ieee_invalid_op 0
		.amdhsa_exception_fp_denorm_src 0
		.amdhsa_exception_fp_ieee_div_zero 0
		.amdhsa_exception_fp_ieee_overflow 0
		.amdhsa_exception_fp_ieee_underflow 0
		.amdhsa_exception_fp_ieee_inexact 0
		.amdhsa_exception_int_div_zero 0
	.end_amdhsa_kernel
	.section	.text._ZN7rocprim17ROCPRIM_400000_NS6detail17trampoline_kernelINS0_13select_configILj256ELj13ELNS0_17block_load_methodE3ELS4_3ELS4_3ELNS0_20block_scan_algorithmE0ELj4294967295EEENS1_25partition_config_selectorILNS1_17partition_subalgoE3EjNS0_10empty_typeEbEEZZNS1_14partition_implILS8_3ELb0ES6_jNS0_17counting_iteratorIjlEEPS9_SE_NS0_5tupleIJPjSE_EEENSF_IJSE_SE_EEES9_SG_JZNS1_25segmented_radix_sort_implINS0_14default_configELb0EPK12hip_bfloat16PSL_PKlPlN2at6native12_GLOBAL__N_18offset_tEEE10hipError_tPvRmT1_PNSt15iterator_traitsISZ_E10value_typeET2_T3_PNS10_IS15_E10value_typeET4_jRbjT5_S1B_jjP12ihipStream_tbEUljE_EEESW_SX_SY_S15_S19_S1B_T6_T7_T9_mT8_S1D_bDpT10_ENKUlT_T0_E_clISt17integral_constantIbLb0EES1P_IbLb1EEEEDaS1L_S1M_EUlS1L_E_NS1_11comp_targetILNS1_3genE3ELNS1_11target_archE908ELNS1_3gpuE7ELNS1_3repE0EEENS1_30default_config_static_selectorELNS0_4arch9wavefront6targetE1EEEvSZ_,"axG",@progbits,_ZN7rocprim17ROCPRIM_400000_NS6detail17trampoline_kernelINS0_13select_configILj256ELj13ELNS0_17block_load_methodE3ELS4_3ELS4_3ELNS0_20block_scan_algorithmE0ELj4294967295EEENS1_25partition_config_selectorILNS1_17partition_subalgoE3EjNS0_10empty_typeEbEEZZNS1_14partition_implILS8_3ELb0ES6_jNS0_17counting_iteratorIjlEEPS9_SE_NS0_5tupleIJPjSE_EEENSF_IJSE_SE_EEES9_SG_JZNS1_25segmented_radix_sort_implINS0_14default_configELb0EPK12hip_bfloat16PSL_PKlPlN2at6native12_GLOBAL__N_18offset_tEEE10hipError_tPvRmT1_PNSt15iterator_traitsISZ_E10value_typeET2_T3_PNS10_IS15_E10value_typeET4_jRbjT5_S1B_jjP12ihipStream_tbEUljE_EEESW_SX_SY_S15_S19_S1B_T6_T7_T9_mT8_S1D_bDpT10_ENKUlT_T0_E_clISt17integral_constantIbLb0EES1P_IbLb1EEEEDaS1L_S1M_EUlS1L_E_NS1_11comp_targetILNS1_3genE3ELNS1_11target_archE908ELNS1_3gpuE7ELNS1_3repE0EEENS1_30default_config_static_selectorELNS0_4arch9wavefront6targetE1EEEvSZ_,comdat
.Lfunc_end2044:
	.size	_ZN7rocprim17ROCPRIM_400000_NS6detail17trampoline_kernelINS0_13select_configILj256ELj13ELNS0_17block_load_methodE3ELS4_3ELS4_3ELNS0_20block_scan_algorithmE0ELj4294967295EEENS1_25partition_config_selectorILNS1_17partition_subalgoE3EjNS0_10empty_typeEbEEZZNS1_14partition_implILS8_3ELb0ES6_jNS0_17counting_iteratorIjlEEPS9_SE_NS0_5tupleIJPjSE_EEENSF_IJSE_SE_EEES9_SG_JZNS1_25segmented_radix_sort_implINS0_14default_configELb0EPK12hip_bfloat16PSL_PKlPlN2at6native12_GLOBAL__N_18offset_tEEE10hipError_tPvRmT1_PNSt15iterator_traitsISZ_E10value_typeET2_T3_PNS10_IS15_E10value_typeET4_jRbjT5_S1B_jjP12ihipStream_tbEUljE_EEESW_SX_SY_S15_S19_S1B_T6_T7_T9_mT8_S1D_bDpT10_ENKUlT_T0_E_clISt17integral_constantIbLb0EES1P_IbLb1EEEEDaS1L_S1M_EUlS1L_E_NS1_11comp_targetILNS1_3genE3ELNS1_11target_archE908ELNS1_3gpuE7ELNS1_3repE0EEENS1_30default_config_static_selectorELNS0_4arch9wavefront6targetE1EEEvSZ_, .Lfunc_end2044-_ZN7rocprim17ROCPRIM_400000_NS6detail17trampoline_kernelINS0_13select_configILj256ELj13ELNS0_17block_load_methodE3ELS4_3ELS4_3ELNS0_20block_scan_algorithmE0ELj4294967295EEENS1_25partition_config_selectorILNS1_17partition_subalgoE3EjNS0_10empty_typeEbEEZZNS1_14partition_implILS8_3ELb0ES6_jNS0_17counting_iteratorIjlEEPS9_SE_NS0_5tupleIJPjSE_EEENSF_IJSE_SE_EEES9_SG_JZNS1_25segmented_radix_sort_implINS0_14default_configELb0EPK12hip_bfloat16PSL_PKlPlN2at6native12_GLOBAL__N_18offset_tEEE10hipError_tPvRmT1_PNSt15iterator_traitsISZ_E10value_typeET2_T3_PNS10_IS15_E10value_typeET4_jRbjT5_S1B_jjP12ihipStream_tbEUljE_EEESW_SX_SY_S15_S19_S1B_T6_T7_T9_mT8_S1D_bDpT10_ENKUlT_T0_E_clISt17integral_constantIbLb0EES1P_IbLb1EEEEDaS1L_S1M_EUlS1L_E_NS1_11comp_targetILNS1_3genE3ELNS1_11target_archE908ELNS1_3gpuE7ELNS1_3repE0EEENS1_30default_config_static_selectorELNS0_4arch9wavefront6targetE1EEEvSZ_
                                        ; -- End function
	.set _ZN7rocprim17ROCPRIM_400000_NS6detail17trampoline_kernelINS0_13select_configILj256ELj13ELNS0_17block_load_methodE3ELS4_3ELS4_3ELNS0_20block_scan_algorithmE0ELj4294967295EEENS1_25partition_config_selectorILNS1_17partition_subalgoE3EjNS0_10empty_typeEbEEZZNS1_14partition_implILS8_3ELb0ES6_jNS0_17counting_iteratorIjlEEPS9_SE_NS0_5tupleIJPjSE_EEENSF_IJSE_SE_EEES9_SG_JZNS1_25segmented_radix_sort_implINS0_14default_configELb0EPK12hip_bfloat16PSL_PKlPlN2at6native12_GLOBAL__N_18offset_tEEE10hipError_tPvRmT1_PNSt15iterator_traitsISZ_E10value_typeET2_T3_PNS10_IS15_E10value_typeET4_jRbjT5_S1B_jjP12ihipStream_tbEUljE_EEESW_SX_SY_S15_S19_S1B_T6_T7_T9_mT8_S1D_bDpT10_ENKUlT_T0_E_clISt17integral_constantIbLb0EES1P_IbLb1EEEEDaS1L_S1M_EUlS1L_E_NS1_11comp_targetILNS1_3genE3ELNS1_11target_archE908ELNS1_3gpuE7ELNS1_3repE0EEENS1_30default_config_static_selectorELNS0_4arch9wavefront6targetE1EEEvSZ_.num_vgpr, 0
	.set _ZN7rocprim17ROCPRIM_400000_NS6detail17trampoline_kernelINS0_13select_configILj256ELj13ELNS0_17block_load_methodE3ELS4_3ELS4_3ELNS0_20block_scan_algorithmE0ELj4294967295EEENS1_25partition_config_selectorILNS1_17partition_subalgoE3EjNS0_10empty_typeEbEEZZNS1_14partition_implILS8_3ELb0ES6_jNS0_17counting_iteratorIjlEEPS9_SE_NS0_5tupleIJPjSE_EEENSF_IJSE_SE_EEES9_SG_JZNS1_25segmented_radix_sort_implINS0_14default_configELb0EPK12hip_bfloat16PSL_PKlPlN2at6native12_GLOBAL__N_18offset_tEEE10hipError_tPvRmT1_PNSt15iterator_traitsISZ_E10value_typeET2_T3_PNS10_IS15_E10value_typeET4_jRbjT5_S1B_jjP12ihipStream_tbEUljE_EEESW_SX_SY_S15_S19_S1B_T6_T7_T9_mT8_S1D_bDpT10_ENKUlT_T0_E_clISt17integral_constantIbLb0EES1P_IbLb1EEEEDaS1L_S1M_EUlS1L_E_NS1_11comp_targetILNS1_3genE3ELNS1_11target_archE908ELNS1_3gpuE7ELNS1_3repE0EEENS1_30default_config_static_selectorELNS0_4arch9wavefront6targetE1EEEvSZ_.num_agpr, 0
	.set _ZN7rocprim17ROCPRIM_400000_NS6detail17trampoline_kernelINS0_13select_configILj256ELj13ELNS0_17block_load_methodE3ELS4_3ELS4_3ELNS0_20block_scan_algorithmE0ELj4294967295EEENS1_25partition_config_selectorILNS1_17partition_subalgoE3EjNS0_10empty_typeEbEEZZNS1_14partition_implILS8_3ELb0ES6_jNS0_17counting_iteratorIjlEEPS9_SE_NS0_5tupleIJPjSE_EEENSF_IJSE_SE_EEES9_SG_JZNS1_25segmented_radix_sort_implINS0_14default_configELb0EPK12hip_bfloat16PSL_PKlPlN2at6native12_GLOBAL__N_18offset_tEEE10hipError_tPvRmT1_PNSt15iterator_traitsISZ_E10value_typeET2_T3_PNS10_IS15_E10value_typeET4_jRbjT5_S1B_jjP12ihipStream_tbEUljE_EEESW_SX_SY_S15_S19_S1B_T6_T7_T9_mT8_S1D_bDpT10_ENKUlT_T0_E_clISt17integral_constantIbLb0EES1P_IbLb1EEEEDaS1L_S1M_EUlS1L_E_NS1_11comp_targetILNS1_3genE3ELNS1_11target_archE908ELNS1_3gpuE7ELNS1_3repE0EEENS1_30default_config_static_selectorELNS0_4arch9wavefront6targetE1EEEvSZ_.numbered_sgpr, 0
	.set _ZN7rocprim17ROCPRIM_400000_NS6detail17trampoline_kernelINS0_13select_configILj256ELj13ELNS0_17block_load_methodE3ELS4_3ELS4_3ELNS0_20block_scan_algorithmE0ELj4294967295EEENS1_25partition_config_selectorILNS1_17partition_subalgoE3EjNS0_10empty_typeEbEEZZNS1_14partition_implILS8_3ELb0ES6_jNS0_17counting_iteratorIjlEEPS9_SE_NS0_5tupleIJPjSE_EEENSF_IJSE_SE_EEES9_SG_JZNS1_25segmented_radix_sort_implINS0_14default_configELb0EPK12hip_bfloat16PSL_PKlPlN2at6native12_GLOBAL__N_18offset_tEEE10hipError_tPvRmT1_PNSt15iterator_traitsISZ_E10value_typeET2_T3_PNS10_IS15_E10value_typeET4_jRbjT5_S1B_jjP12ihipStream_tbEUljE_EEESW_SX_SY_S15_S19_S1B_T6_T7_T9_mT8_S1D_bDpT10_ENKUlT_T0_E_clISt17integral_constantIbLb0EES1P_IbLb1EEEEDaS1L_S1M_EUlS1L_E_NS1_11comp_targetILNS1_3genE3ELNS1_11target_archE908ELNS1_3gpuE7ELNS1_3repE0EEENS1_30default_config_static_selectorELNS0_4arch9wavefront6targetE1EEEvSZ_.num_named_barrier, 0
	.set _ZN7rocprim17ROCPRIM_400000_NS6detail17trampoline_kernelINS0_13select_configILj256ELj13ELNS0_17block_load_methodE3ELS4_3ELS4_3ELNS0_20block_scan_algorithmE0ELj4294967295EEENS1_25partition_config_selectorILNS1_17partition_subalgoE3EjNS0_10empty_typeEbEEZZNS1_14partition_implILS8_3ELb0ES6_jNS0_17counting_iteratorIjlEEPS9_SE_NS0_5tupleIJPjSE_EEENSF_IJSE_SE_EEES9_SG_JZNS1_25segmented_radix_sort_implINS0_14default_configELb0EPK12hip_bfloat16PSL_PKlPlN2at6native12_GLOBAL__N_18offset_tEEE10hipError_tPvRmT1_PNSt15iterator_traitsISZ_E10value_typeET2_T3_PNS10_IS15_E10value_typeET4_jRbjT5_S1B_jjP12ihipStream_tbEUljE_EEESW_SX_SY_S15_S19_S1B_T6_T7_T9_mT8_S1D_bDpT10_ENKUlT_T0_E_clISt17integral_constantIbLb0EES1P_IbLb1EEEEDaS1L_S1M_EUlS1L_E_NS1_11comp_targetILNS1_3genE3ELNS1_11target_archE908ELNS1_3gpuE7ELNS1_3repE0EEENS1_30default_config_static_selectorELNS0_4arch9wavefront6targetE1EEEvSZ_.private_seg_size, 0
	.set _ZN7rocprim17ROCPRIM_400000_NS6detail17trampoline_kernelINS0_13select_configILj256ELj13ELNS0_17block_load_methodE3ELS4_3ELS4_3ELNS0_20block_scan_algorithmE0ELj4294967295EEENS1_25partition_config_selectorILNS1_17partition_subalgoE3EjNS0_10empty_typeEbEEZZNS1_14partition_implILS8_3ELb0ES6_jNS0_17counting_iteratorIjlEEPS9_SE_NS0_5tupleIJPjSE_EEENSF_IJSE_SE_EEES9_SG_JZNS1_25segmented_radix_sort_implINS0_14default_configELb0EPK12hip_bfloat16PSL_PKlPlN2at6native12_GLOBAL__N_18offset_tEEE10hipError_tPvRmT1_PNSt15iterator_traitsISZ_E10value_typeET2_T3_PNS10_IS15_E10value_typeET4_jRbjT5_S1B_jjP12ihipStream_tbEUljE_EEESW_SX_SY_S15_S19_S1B_T6_T7_T9_mT8_S1D_bDpT10_ENKUlT_T0_E_clISt17integral_constantIbLb0EES1P_IbLb1EEEEDaS1L_S1M_EUlS1L_E_NS1_11comp_targetILNS1_3genE3ELNS1_11target_archE908ELNS1_3gpuE7ELNS1_3repE0EEENS1_30default_config_static_selectorELNS0_4arch9wavefront6targetE1EEEvSZ_.uses_vcc, 0
	.set _ZN7rocprim17ROCPRIM_400000_NS6detail17trampoline_kernelINS0_13select_configILj256ELj13ELNS0_17block_load_methodE3ELS4_3ELS4_3ELNS0_20block_scan_algorithmE0ELj4294967295EEENS1_25partition_config_selectorILNS1_17partition_subalgoE3EjNS0_10empty_typeEbEEZZNS1_14partition_implILS8_3ELb0ES6_jNS0_17counting_iteratorIjlEEPS9_SE_NS0_5tupleIJPjSE_EEENSF_IJSE_SE_EEES9_SG_JZNS1_25segmented_radix_sort_implINS0_14default_configELb0EPK12hip_bfloat16PSL_PKlPlN2at6native12_GLOBAL__N_18offset_tEEE10hipError_tPvRmT1_PNSt15iterator_traitsISZ_E10value_typeET2_T3_PNS10_IS15_E10value_typeET4_jRbjT5_S1B_jjP12ihipStream_tbEUljE_EEESW_SX_SY_S15_S19_S1B_T6_T7_T9_mT8_S1D_bDpT10_ENKUlT_T0_E_clISt17integral_constantIbLb0EES1P_IbLb1EEEEDaS1L_S1M_EUlS1L_E_NS1_11comp_targetILNS1_3genE3ELNS1_11target_archE908ELNS1_3gpuE7ELNS1_3repE0EEENS1_30default_config_static_selectorELNS0_4arch9wavefront6targetE1EEEvSZ_.uses_flat_scratch, 0
	.set _ZN7rocprim17ROCPRIM_400000_NS6detail17trampoline_kernelINS0_13select_configILj256ELj13ELNS0_17block_load_methodE3ELS4_3ELS4_3ELNS0_20block_scan_algorithmE0ELj4294967295EEENS1_25partition_config_selectorILNS1_17partition_subalgoE3EjNS0_10empty_typeEbEEZZNS1_14partition_implILS8_3ELb0ES6_jNS0_17counting_iteratorIjlEEPS9_SE_NS0_5tupleIJPjSE_EEENSF_IJSE_SE_EEES9_SG_JZNS1_25segmented_radix_sort_implINS0_14default_configELb0EPK12hip_bfloat16PSL_PKlPlN2at6native12_GLOBAL__N_18offset_tEEE10hipError_tPvRmT1_PNSt15iterator_traitsISZ_E10value_typeET2_T3_PNS10_IS15_E10value_typeET4_jRbjT5_S1B_jjP12ihipStream_tbEUljE_EEESW_SX_SY_S15_S19_S1B_T6_T7_T9_mT8_S1D_bDpT10_ENKUlT_T0_E_clISt17integral_constantIbLb0EES1P_IbLb1EEEEDaS1L_S1M_EUlS1L_E_NS1_11comp_targetILNS1_3genE3ELNS1_11target_archE908ELNS1_3gpuE7ELNS1_3repE0EEENS1_30default_config_static_selectorELNS0_4arch9wavefront6targetE1EEEvSZ_.has_dyn_sized_stack, 0
	.set _ZN7rocprim17ROCPRIM_400000_NS6detail17trampoline_kernelINS0_13select_configILj256ELj13ELNS0_17block_load_methodE3ELS4_3ELS4_3ELNS0_20block_scan_algorithmE0ELj4294967295EEENS1_25partition_config_selectorILNS1_17partition_subalgoE3EjNS0_10empty_typeEbEEZZNS1_14partition_implILS8_3ELb0ES6_jNS0_17counting_iteratorIjlEEPS9_SE_NS0_5tupleIJPjSE_EEENSF_IJSE_SE_EEES9_SG_JZNS1_25segmented_radix_sort_implINS0_14default_configELb0EPK12hip_bfloat16PSL_PKlPlN2at6native12_GLOBAL__N_18offset_tEEE10hipError_tPvRmT1_PNSt15iterator_traitsISZ_E10value_typeET2_T3_PNS10_IS15_E10value_typeET4_jRbjT5_S1B_jjP12ihipStream_tbEUljE_EEESW_SX_SY_S15_S19_S1B_T6_T7_T9_mT8_S1D_bDpT10_ENKUlT_T0_E_clISt17integral_constantIbLb0EES1P_IbLb1EEEEDaS1L_S1M_EUlS1L_E_NS1_11comp_targetILNS1_3genE3ELNS1_11target_archE908ELNS1_3gpuE7ELNS1_3repE0EEENS1_30default_config_static_selectorELNS0_4arch9wavefront6targetE1EEEvSZ_.has_recursion, 0
	.set _ZN7rocprim17ROCPRIM_400000_NS6detail17trampoline_kernelINS0_13select_configILj256ELj13ELNS0_17block_load_methodE3ELS4_3ELS4_3ELNS0_20block_scan_algorithmE0ELj4294967295EEENS1_25partition_config_selectorILNS1_17partition_subalgoE3EjNS0_10empty_typeEbEEZZNS1_14partition_implILS8_3ELb0ES6_jNS0_17counting_iteratorIjlEEPS9_SE_NS0_5tupleIJPjSE_EEENSF_IJSE_SE_EEES9_SG_JZNS1_25segmented_radix_sort_implINS0_14default_configELb0EPK12hip_bfloat16PSL_PKlPlN2at6native12_GLOBAL__N_18offset_tEEE10hipError_tPvRmT1_PNSt15iterator_traitsISZ_E10value_typeET2_T3_PNS10_IS15_E10value_typeET4_jRbjT5_S1B_jjP12ihipStream_tbEUljE_EEESW_SX_SY_S15_S19_S1B_T6_T7_T9_mT8_S1D_bDpT10_ENKUlT_T0_E_clISt17integral_constantIbLb0EES1P_IbLb1EEEEDaS1L_S1M_EUlS1L_E_NS1_11comp_targetILNS1_3genE3ELNS1_11target_archE908ELNS1_3gpuE7ELNS1_3repE0EEENS1_30default_config_static_selectorELNS0_4arch9wavefront6targetE1EEEvSZ_.has_indirect_call, 0
	.section	.AMDGPU.csdata,"",@progbits
; Kernel info:
; codeLenInByte = 0
; TotalNumSgprs: 4
; NumVgprs: 0
; ScratchSize: 0
; MemoryBound: 0
; FloatMode: 240
; IeeeMode: 1
; LDSByteSize: 0 bytes/workgroup (compile time only)
; SGPRBlocks: 0
; VGPRBlocks: 0
; NumSGPRsForWavesPerEU: 4
; NumVGPRsForWavesPerEU: 1
; Occupancy: 10
; WaveLimiterHint : 0
; COMPUTE_PGM_RSRC2:SCRATCH_EN: 0
; COMPUTE_PGM_RSRC2:USER_SGPR: 6
; COMPUTE_PGM_RSRC2:TRAP_HANDLER: 0
; COMPUTE_PGM_RSRC2:TGID_X_EN: 1
; COMPUTE_PGM_RSRC2:TGID_Y_EN: 0
; COMPUTE_PGM_RSRC2:TGID_Z_EN: 0
; COMPUTE_PGM_RSRC2:TIDIG_COMP_CNT: 0
	.section	.text._ZN7rocprim17ROCPRIM_400000_NS6detail17trampoline_kernelINS0_13select_configILj256ELj13ELNS0_17block_load_methodE3ELS4_3ELS4_3ELNS0_20block_scan_algorithmE0ELj4294967295EEENS1_25partition_config_selectorILNS1_17partition_subalgoE3EjNS0_10empty_typeEbEEZZNS1_14partition_implILS8_3ELb0ES6_jNS0_17counting_iteratorIjlEEPS9_SE_NS0_5tupleIJPjSE_EEENSF_IJSE_SE_EEES9_SG_JZNS1_25segmented_radix_sort_implINS0_14default_configELb0EPK12hip_bfloat16PSL_PKlPlN2at6native12_GLOBAL__N_18offset_tEEE10hipError_tPvRmT1_PNSt15iterator_traitsISZ_E10value_typeET2_T3_PNS10_IS15_E10value_typeET4_jRbjT5_S1B_jjP12ihipStream_tbEUljE_EEESW_SX_SY_S15_S19_S1B_T6_T7_T9_mT8_S1D_bDpT10_ENKUlT_T0_E_clISt17integral_constantIbLb0EES1P_IbLb1EEEEDaS1L_S1M_EUlS1L_E_NS1_11comp_targetILNS1_3genE2ELNS1_11target_archE906ELNS1_3gpuE6ELNS1_3repE0EEENS1_30default_config_static_selectorELNS0_4arch9wavefront6targetE1EEEvSZ_,"axG",@progbits,_ZN7rocprim17ROCPRIM_400000_NS6detail17trampoline_kernelINS0_13select_configILj256ELj13ELNS0_17block_load_methodE3ELS4_3ELS4_3ELNS0_20block_scan_algorithmE0ELj4294967295EEENS1_25partition_config_selectorILNS1_17partition_subalgoE3EjNS0_10empty_typeEbEEZZNS1_14partition_implILS8_3ELb0ES6_jNS0_17counting_iteratorIjlEEPS9_SE_NS0_5tupleIJPjSE_EEENSF_IJSE_SE_EEES9_SG_JZNS1_25segmented_radix_sort_implINS0_14default_configELb0EPK12hip_bfloat16PSL_PKlPlN2at6native12_GLOBAL__N_18offset_tEEE10hipError_tPvRmT1_PNSt15iterator_traitsISZ_E10value_typeET2_T3_PNS10_IS15_E10value_typeET4_jRbjT5_S1B_jjP12ihipStream_tbEUljE_EEESW_SX_SY_S15_S19_S1B_T6_T7_T9_mT8_S1D_bDpT10_ENKUlT_T0_E_clISt17integral_constantIbLb0EES1P_IbLb1EEEEDaS1L_S1M_EUlS1L_E_NS1_11comp_targetILNS1_3genE2ELNS1_11target_archE906ELNS1_3gpuE6ELNS1_3repE0EEENS1_30default_config_static_selectorELNS0_4arch9wavefront6targetE1EEEvSZ_,comdat
	.globl	_ZN7rocprim17ROCPRIM_400000_NS6detail17trampoline_kernelINS0_13select_configILj256ELj13ELNS0_17block_load_methodE3ELS4_3ELS4_3ELNS0_20block_scan_algorithmE0ELj4294967295EEENS1_25partition_config_selectorILNS1_17partition_subalgoE3EjNS0_10empty_typeEbEEZZNS1_14partition_implILS8_3ELb0ES6_jNS0_17counting_iteratorIjlEEPS9_SE_NS0_5tupleIJPjSE_EEENSF_IJSE_SE_EEES9_SG_JZNS1_25segmented_radix_sort_implINS0_14default_configELb0EPK12hip_bfloat16PSL_PKlPlN2at6native12_GLOBAL__N_18offset_tEEE10hipError_tPvRmT1_PNSt15iterator_traitsISZ_E10value_typeET2_T3_PNS10_IS15_E10value_typeET4_jRbjT5_S1B_jjP12ihipStream_tbEUljE_EEESW_SX_SY_S15_S19_S1B_T6_T7_T9_mT8_S1D_bDpT10_ENKUlT_T0_E_clISt17integral_constantIbLb0EES1P_IbLb1EEEEDaS1L_S1M_EUlS1L_E_NS1_11comp_targetILNS1_3genE2ELNS1_11target_archE906ELNS1_3gpuE6ELNS1_3repE0EEENS1_30default_config_static_selectorELNS0_4arch9wavefront6targetE1EEEvSZ_ ; -- Begin function _ZN7rocprim17ROCPRIM_400000_NS6detail17trampoline_kernelINS0_13select_configILj256ELj13ELNS0_17block_load_methodE3ELS4_3ELS4_3ELNS0_20block_scan_algorithmE0ELj4294967295EEENS1_25partition_config_selectorILNS1_17partition_subalgoE3EjNS0_10empty_typeEbEEZZNS1_14partition_implILS8_3ELb0ES6_jNS0_17counting_iteratorIjlEEPS9_SE_NS0_5tupleIJPjSE_EEENSF_IJSE_SE_EEES9_SG_JZNS1_25segmented_radix_sort_implINS0_14default_configELb0EPK12hip_bfloat16PSL_PKlPlN2at6native12_GLOBAL__N_18offset_tEEE10hipError_tPvRmT1_PNSt15iterator_traitsISZ_E10value_typeET2_T3_PNS10_IS15_E10value_typeET4_jRbjT5_S1B_jjP12ihipStream_tbEUljE_EEESW_SX_SY_S15_S19_S1B_T6_T7_T9_mT8_S1D_bDpT10_ENKUlT_T0_E_clISt17integral_constantIbLb0EES1P_IbLb1EEEEDaS1L_S1M_EUlS1L_E_NS1_11comp_targetILNS1_3genE2ELNS1_11target_archE906ELNS1_3gpuE6ELNS1_3repE0EEENS1_30default_config_static_selectorELNS0_4arch9wavefront6targetE1EEEvSZ_
	.p2align	8
	.type	_ZN7rocprim17ROCPRIM_400000_NS6detail17trampoline_kernelINS0_13select_configILj256ELj13ELNS0_17block_load_methodE3ELS4_3ELS4_3ELNS0_20block_scan_algorithmE0ELj4294967295EEENS1_25partition_config_selectorILNS1_17partition_subalgoE3EjNS0_10empty_typeEbEEZZNS1_14partition_implILS8_3ELb0ES6_jNS0_17counting_iteratorIjlEEPS9_SE_NS0_5tupleIJPjSE_EEENSF_IJSE_SE_EEES9_SG_JZNS1_25segmented_radix_sort_implINS0_14default_configELb0EPK12hip_bfloat16PSL_PKlPlN2at6native12_GLOBAL__N_18offset_tEEE10hipError_tPvRmT1_PNSt15iterator_traitsISZ_E10value_typeET2_T3_PNS10_IS15_E10value_typeET4_jRbjT5_S1B_jjP12ihipStream_tbEUljE_EEESW_SX_SY_S15_S19_S1B_T6_T7_T9_mT8_S1D_bDpT10_ENKUlT_T0_E_clISt17integral_constantIbLb0EES1P_IbLb1EEEEDaS1L_S1M_EUlS1L_E_NS1_11comp_targetILNS1_3genE2ELNS1_11target_archE906ELNS1_3gpuE6ELNS1_3repE0EEENS1_30default_config_static_selectorELNS0_4arch9wavefront6targetE1EEEvSZ_,@function
_ZN7rocprim17ROCPRIM_400000_NS6detail17trampoline_kernelINS0_13select_configILj256ELj13ELNS0_17block_load_methodE3ELS4_3ELS4_3ELNS0_20block_scan_algorithmE0ELj4294967295EEENS1_25partition_config_selectorILNS1_17partition_subalgoE3EjNS0_10empty_typeEbEEZZNS1_14partition_implILS8_3ELb0ES6_jNS0_17counting_iteratorIjlEEPS9_SE_NS0_5tupleIJPjSE_EEENSF_IJSE_SE_EEES9_SG_JZNS1_25segmented_radix_sort_implINS0_14default_configELb0EPK12hip_bfloat16PSL_PKlPlN2at6native12_GLOBAL__N_18offset_tEEE10hipError_tPvRmT1_PNSt15iterator_traitsISZ_E10value_typeET2_T3_PNS10_IS15_E10value_typeET4_jRbjT5_S1B_jjP12ihipStream_tbEUljE_EEESW_SX_SY_S15_S19_S1B_T6_T7_T9_mT8_S1D_bDpT10_ENKUlT_T0_E_clISt17integral_constantIbLb0EES1P_IbLb1EEEEDaS1L_S1M_EUlS1L_E_NS1_11comp_targetILNS1_3genE2ELNS1_11target_archE906ELNS1_3gpuE6ELNS1_3repE0EEENS1_30default_config_static_selectorELNS0_4arch9wavefront6targetE1EEEvSZ_: ; @_ZN7rocprim17ROCPRIM_400000_NS6detail17trampoline_kernelINS0_13select_configILj256ELj13ELNS0_17block_load_methodE3ELS4_3ELS4_3ELNS0_20block_scan_algorithmE0ELj4294967295EEENS1_25partition_config_selectorILNS1_17partition_subalgoE3EjNS0_10empty_typeEbEEZZNS1_14partition_implILS8_3ELb0ES6_jNS0_17counting_iteratorIjlEEPS9_SE_NS0_5tupleIJPjSE_EEENSF_IJSE_SE_EEES9_SG_JZNS1_25segmented_radix_sort_implINS0_14default_configELb0EPK12hip_bfloat16PSL_PKlPlN2at6native12_GLOBAL__N_18offset_tEEE10hipError_tPvRmT1_PNSt15iterator_traitsISZ_E10value_typeET2_T3_PNS10_IS15_E10value_typeET4_jRbjT5_S1B_jjP12ihipStream_tbEUljE_EEESW_SX_SY_S15_S19_S1B_T6_T7_T9_mT8_S1D_bDpT10_ENKUlT_T0_E_clISt17integral_constantIbLb0EES1P_IbLb1EEEEDaS1L_S1M_EUlS1L_E_NS1_11comp_targetILNS1_3genE2ELNS1_11target_archE906ELNS1_3gpuE6ELNS1_3repE0EEENS1_30default_config_static_selectorELNS0_4arch9wavefront6targetE1EEEvSZ_
; %bb.0:
	s_load_dwordx2 s[28:29], s[4:5], 0x10
	s_load_dwordx2 s[22:23], s[4:5], 0x28
	;; [unrolled: 1-line block ×3, first 2 shown]
	s_load_dwordx4 s[24:27], s[4:5], 0x48
	s_load_dword s14, s[4:5], 0x90
	s_load_dwordx2 s[34:35], s[4:5], 0x68
	s_load_dwordx4 s[8:11], s[4:5], 0x80
	v_cmp_eq_u32_e64 s[0:1], 0, v0
	s_and_saveexec_b64 s[2:3], s[0:1]
	s_cbranch_execz .LBB2045_4
; %bb.1:
	s_mov_b64 s[12:13], exec
	v_mbcnt_lo_u32_b32 v1, s12, 0
	v_mbcnt_hi_u32_b32 v1, s13, v1
	v_cmp_eq_u32_e32 vcc, 0, v1
                                        ; implicit-def: $vgpr2
	s_and_saveexec_b64 s[6:7], vcc
	s_cbranch_execz .LBB2045_3
; %bb.2:
	s_load_dwordx2 s[16:17], s[4:5], 0x78
	s_bcnt1_i32_b64 s12, s[12:13]
	v_mov_b32_e32 v2, 0
	v_mov_b32_e32 v3, s12
	s_waitcnt lgkmcnt(0)
	global_atomic_add v2, v2, v3, s[16:17] glc
.LBB2045_3:
	s_or_b64 exec, exec, s[6:7]
	s_waitcnt vmcnt(0)
	v_readfirstlane_b32 s6, v2
	v_add_u32_e32 v1, s6, v1
	v_mov_b32_e32 v2, 0
	ds_write_b32 v2, v1
.LBB2045_4:
	s_or_b64 exec, exec, s[2:3]
	v_mov_b32_e32 v1, 0
	s_load_dword s6, s[4:5], 0x8
	s_load_dword s2, s[4:5], 0x70
	s_waitcnt lgkmcnt(0)
	s_barrier
	ds_read_b32 v5, v1
	s_waitcnt lgkmcnt(0)
	s_barrier
	global_load_dwordx2 v[3:4], v1, s[26:27]
	s_add_i32 s4, s2, -1
	s_mulk_i32 s2, 0xd00
	s_add_i32 s3, s2, s28
	s_sub_i32 s33, s30, s3
	s_add_i32 s6, s6, s28
	s_addk_i32 s33, 0xd00
	s_add_u32 s2, s28, s2
	s_addc_u32 s3, s29, 0
	v_mov_b32_e32 v1, s2
	v_mov_b32_e32 v2, s3
	v_readfirstlane_b32 s43, v5
	v_cmp_gt_u64_e32 vcc, s[30:31], v[1:2]
	s_cmp_eq_u32 s43, s4
	v_cmp_ne_u32_e64 s[2:3], s4, v5
	s_cselect_b64 s[26:27], -1, 0
	s_or_b64 s[4:5], vcc, s[2:3]
	s_mul_i32 s42, s43, 0xd00
	s_mov_b64 s[2:3], -1
	s_and_b64 vcc, exec, s[4:5]
	v_lshlrev_b32_e32 v25, 2, v0
	s_cbranch_vccz .LBB2045_6
; %bb.5:
	s_add_i32 s2, s42, s6
	v_add_u32_e32 v1, s2, v0
	v_add_u32_e32 v2, 0x100, v1
	;; [unrolled: 1-line block ×13, first 2 shown]
	ds_write2st64_b32 v25, v1, v2 offset1:4
	ds_write2st64_b32 v25, v5, v6 offset0:8 offset1:12
	ds_write2st64_b32 v25, v7, v8 offset0:16 offset1:20
	;; [unrolled: 1-line block ×5, first 2 shown]
	ds_write_b32 v25, v15 offset:12288
	s_waitcnt vmcnt(0) lgkmcnt(0)
	s_barrier
	s_mov_b64 s[2:3], 0
.LBB2045_6:
	s_andn2_b64 vcc, exec, s[2:3]
	v_cmp_gt_u32_e64 s[2:3], s33, v0
	s_cbranch_vccnz .LBB2045_8
; %bb.7:
	s_add_i32 s6, s42, s6
	v_or_b32_e32 v2, 0x100, v0
	v_add_u32_e32 v5, s6, v2
	v_cmp_gt_u32_e32 vcc, s33, v2
	v_cndmask_b32_e32 v2, 0, v5, vcc
	v_or_b32_e32 v5, 0x200, v0
	v_add_u32_e32 v6, s6, v5
	v_cmp_gt_u32_e32 vcc, s33, v5
	v_cndmask_b32_e32 v5, 0, v6, vcc
	;; [unrolled: 4-line block ×10, first 2 shown]
	v_or_b32_e32 v14, 0xb00, v0
	v_add_u32_e32 v15, s6, v14
	v_cmp_gt_u32_e32 vcc, s33, v14
	v_add_u32_e32 v1, s6, v0
	v_cndmask_b32_e32 v14, 0, v15, vcc
	v_or_b32_e32 v15, 0xc00, v0
	v_cndmask_b32_e64 v1, 0, v1, s[2:3]
	v_add_u32_e32 v16, s6, v15
	v_cmp_gt_u32_e32 vcc, s33, v15
	v_cndmask_b32_e32 v15, 0, v16, vcc
	ds_write2st64_b32 v25, v1, v2 offset1:4
	ds_write2st64_b32 v25, v5, v6 offset0:8 offset1:12
	ds_write2st64_b32 v25, v7, v8 offset0:16 offset1:20
	;; [unrolled: 1-line block ×5, first 2 shown]
	ds_write_b32 v25, v15 offset:12288
	s_waitcnt vmcnt(0) lgkmcnt(0)
	s_barrier
.LBB2045_8:
	v_mul_u32_u24_e32 v27, 13, v0
	v_lshlrev_b32_e32 v1, 2, v27
	ds_read2_b32 v[15:16], v1 offset1:1
	ds_read2_b32 v[13:14], v1 offset0:2 offset1:3
	ds_read2_b32 v[11:12], v1 offset0:4 offset1:5
	;; [unrolled: 1-line block ×5, first 2 shown]
	ds_read_b32 v26, v1 offset:48
	v_cndmask_b32_e64 v1, 0, 1, s[4:5]
	v_cmp_ne_u32_e64 s[2:3], 1, v1
	s_andn2_b64 vcc, exec, s[4:5]
	s_waitcnt vmcnt(0) lgkmcnt(0)
	s_barrier
	s_cbranch_vccnz .LBB2045_10
; %bb.9:
	v_add_u32_e32 v1, s9, v15
	v_add_u32_e32 v2, s11, v15
	v_mul_lo_u32 v1, v1, s8
	v_mul_lo_u32 v2, v2, s10
	v_add_u32_e32 v17, s9, v13
	v_add_u32_e32 v18, s11, v13
	v_mul_lo_u32 v17, v17, s8
	v_sub_u32_e32 v1, v1, v2
	v_cmp_lt_u32_e32 vcc, s14, v1
	v_add_u32_e32 v1, s9, v16
	v_add_u32_e32 v2, s11, v16
	v_mul_lo_u32 v1, v1, s8
	v_mul_lo_u32 v2, v2, s10
	v_mul_lo_u32 v18, v18, s10
	v_cndmask_b32_e64 v28, 0, 1, vcc
	v_sub_u32_e32 v1, v1, v2
	v_cmp_lt_u32_e32 vcc, s14, v1
	v_sub_u32_e32 v1, v17, v18
	v_cndmask_b32_e64 v29, 0, 1, vcc
	v_cmp_lt_u32_e32 vcc, s14, v1
	v_add_u32_e32 v1, s9, v14
	v_add_u32_e32 v2, s11, v14
	v_mul_lo_u32 v1, v1, s8
	v_mul_lo_u32 v2, v2, s10
	v_add_u32_e32 v17, s9, v11
	v_add_u32_e32 v18, s11, v11
	v_mul_lo_u32 v17, v17, s8
	v_mul_lo_u32 v18, v18, s10
	v_sub_u32_e32 v1, v1, v2
	v_cndmask_b32_e64 v30, 0, 1, vcc
	v_cmp_lt_u32_e32 vcc, s14, v1
	v_sub_u32_e32 v1, v17, v18
	v_cndmask_b32_e64 v31, 0, 1, vcc
	v_cmp_lt_u32_e32 vcc, s14, v1
	v_add_u32_e32 v1, s9, v12
	v_add_u32_e32 v2, s11, v12
	v_mul_lo_u32 v1, v1, s8
	v_mul_lo_u32 v2, v2, s10
	v_add_u32_e32 v17, s9, v9
	v_add_u32_e32 v18, s11, v9
	v_mul_lo_u32 v17, v17, s8
	v_mul_lo_u32 v18, v18, s10
	v_sub_u32_e32 v1, v1, v2
	v_cndmask_b32_e64 v32, 0, 1, vcc
	;; [unrolled: 14-line block ×5, first 2 shown]
	v_cmp_lt_u32_e32 vcc, s14, v1
	v_sub_u32_e32 v1, v17, v18
	v_cndmask_b32_e64 v39, 0, 1, vcc
	v_cmp_lt_u32_e64 s[36:37], s14, v1
	s_cbranch_execz .LBB2045_11
	s_branch .LBB2045_38
.LBB2045_10:
                                        ; implicit-def: $sgpr36_sgpr37
                                        ; implicit-def: $vgpr39
                                        ; implicit-def: $vgpr38
                                        ; implicit-def: $vgpr37
                                        ; implicit-def: $vgpr36
                                        ; implicit-def: $vgpr35
                                        ; implicit-def: $vgpr34
                                        ; implicit-def: $vgpr33
                                        ; implicit-def: $vgpr32
                                        ; implicit-def: $vgpr28
                                        ; implicit-def: $vgpr29
                                        ; implicit-def: $vgpr30
                                        ; implicit-def: $vgpr31
.LBB2045_11:
	v_cmp_gt_u32_e32 vcc, s33, v27
	v_mov_b32_e32 v29, 0
	v_mov_b32_e32 v28, 0
	s_and_saveexec_b64 s[4:5], vcc
	s_cbranch_execz .LBB2045_13
; %bb.12:
	v_add_u32_e32 v1, s9, v15
	v_add_u32_e32 v2, s11, v15
	v_mul_lo_u32 v1, v1, s8
	v_mul_lo_u32 v2, v2, s10
	v_sub_u32_e32 v1, v1, v2
	v_cmp_lt_u32_e32 vcc, s14, v1
	v_cndmask_b32_e64 v28, 0, 1, vcc
.LBB2045_13:
	s_or_b64 exec, exec, s[4:5]
	v_add_u32_e32 v1, 1, v27
	v_cmp_gt_u32_e32 vcc, s33, v1
	s_and_saveexec_b64 s[4:5], vcc
	s_cbranch_execz .LBB2045_15
; %bb.14:
	v_add_u32_e32 v1, s9, v16
	v_add_u32_e32 v2, s11, v16
	v_mul_lo_u32 v1, v1, s8
	v_mul_lo_u32 v2, v2, s10
	v_sub_u32_e32 v1, v1, v2
	v_cmp_lt_u32_e32 vcc, s14, v1
	v_cndmask_b32_e64 v29, 0, 1, vcc
.LBB2045_15:
	s_or_b64 exec, exec, s[4:5]
	v_add_u32_e32 v1, 2, v27
	v_cmp_gt_u32_e32 vcc, s33, v1
	v_mov_b32_e32 v31, 0
	v_mov_b32_e32 v30, 0
	s_and_saveexec_b64 s[4:5], vcc
	s_cbranch_execz .LBB2045_17
; %bb.16:
	v_add_u32_e32 v1, s9, v13
	v_add_u32_e32 v2, s11, v13
	v_mul_lo_u32 v1, v1, s8
	v_mul_lo_u32 v2, v2, s10
	v_sub_u32_e32 v1, v1, v2
	v_cmp_lt_u32_e32 vcc, s14, v1
	v_cndmask_b32_e64 v30, 0, 1, vcc
.LBB2045_17:
	s_or_b64 exec, exec, s[4:5]
	v_add_u32_e32 v1, 3, v27
	v_cmp_gt_u32_e32 vcc, s33, v1
	s_and_saveexec_b64 s[4:5], vcc
	s_cbranch_execz .LBB2045_19
; %bb.18:
	v_add_u32_e32 v1, s9, v14
	v_add_u32_e32 v2, s11, v14
	v_mul_lo_u32 v1, v1, s8
	v_mul_lo_u32 v2, v2, s10
	v_sub_u32_e32 v1, v1, v2
	v_cmp_lt_u32_e32 vcc, s14, v1
	v_cndmask_b32_e64 v31, 0, 1, vcc
.LBB2045_19:
	s_or_b64 exec, exec, s[4:5]
	v_add_u32_e32 v1, 4, v27
	;; [unrolled: 30-line block ×6, first 2 shown]
	v_cmp_gt_u32_e32 vcc, s33, v1
	s_mov_b64 s[36:37], 0
	s_and_saveexec_b64 s[4:5], vcc
	s_cbranch_execz .LBB2045_37
; %bb.36:
	v_add_u32_e32 v1, s9, v26
	v_add_u32_e32 v2, s11, v26
	v_mul_lo_u32 v1, v1, s8
	v_mul_lo_u32 v2, v2, s10
	v_sub_u32_e32 v1, v1, v2
	v_cmp_lt_u32_e32 vcc, s14, v1
	s_and_b64 s[36:37], vcc, exec
.LBB2045_37:
	s_or_b64 exec, exec, s[4:5]
.LBB2045_38:
	v_and_b32_e32 v42, 0xff, v29
	v_and_b32_e32 v43, 0xff, v30
	;; [unrolled: 1-line block ×5, first 2 shown]
	v_add3_u32 v2, v43, v44, v42
	v_and_b32_e32 v46, 0xff, v33
	v_and_b32_e32 v47, 0xff, v34
	v_add3_u32 v2, v2, v41, v45
	v_and_b32_e32 v48, 0xff, v35
	v_and_b32_e32 v49, 0xff, v36
	;; [unrolled: 3-line block ×3, first 2 shown]
	v_add3_u32 v2, v2, v48, v49
	v_and_b32_e32 v40, 0xff, v39
	v_cndmask_b32_e64 v1, 0, 1, s[36:37]
	v_add3_u32 v2, v2, v50, v51
	v_add3_u32 v54, v2, v40, v1
	v_mbcnt_lo_u32_b32 v1, -1, 0
	v_mbcnt_hi_u32_b32 v52, -1, v1
	v_and_b32_e32 v1, 15, v52
	v_cmp_eq_u32_e64 s[16:17], 0, v1
	v_cmp_lt_u32_e64 s[14:15], 1, v1
	v_cmp_lt_u32_e64 s[12:13], 3, v1
	;; [unrolled: 1-line block ×3, first 2 shown]
	v_and_b32_e32 v1, 16, v52
	v_cmp_eq_u32_e64 s[8:9], 0, v1
	v_or_b32_e32 v1, 63, v0
	s_cmp_lg_u32 s43, 0
	v_cmp_lt_u32_e64 s[4:5], 31, v52
	v_lshrrev_b32_e32 v53, 6, v0
	v_cmp_eq_u32_e64 s[6:7], v0, v1
	s_cbranch_scc0 .LBB2045_60
; %bb.39:
	v_mov_b32_dpp v1, v54 row_shr:1 row_mask:0xf bank_mask:0xf
	v_cndmask_b32_e64 v1, v1, 0, s[16:17]
	v_add_u32_e32 v1, v1, v54
	s_nop 1
	v_mov_b32_dpp v2, v1 row_shr:2 row_mask:0xf bank_mask:0xf
	v_cndmask_b32_e64 v2, 0, v2, s[14:15]
	v_add_u32_e32 v1, v1, v2
	s_nop 1
	;; [unrolled: 4-line block ×4, first 2 shown]
	v_mov_b32_dpp v2, v1 row_bcast:15 row_mask:0xf bank_mask:0xf
	v_cndmask_b32_e64 v2, v2, 0, s[8:9]
	v_add_u32_e32 v1, v1, v2
	s_nop 1
	v_mov_b32_dpp v2, v1 row_bcast:31 row_mask:0xf bank_mask:0xf
	v_cndmask_b32_e64 v2, 0, v2, s[4:5]
	v_add_u32_e32 v1, v1, v2
	s_and_saveexec_b64 s[18:19], s[6:7]
; %bb.40:
	v_lshlrev_b32_e32 v2, 2, v53
	ds_write_b32 v2, v1
; %bb.41:
	s_or_b64 exec, exec, s[18:19]
	v_cmp_gt_u32_e32 vcc, 4, v0
	s_waitcnt lgkmcnt(0)
	s_barrier
	s_and_saveexec_b64 s[18:19], vcc
	s_cbranch_execz .LBB2045_43
; %bb.42:
	ds_read_b32 v2, v25
	v_and_b32_e32 v17, 3, v52
	v_cmp_ne_u32_e32 vcc, 0, v17
	s_waitcnt lgkmcnt(0)
	v_mov_b32_dpp v18, v2 row_shr:1 row_mask:0xf bank_mask:0xf
	v_cndmask_b32_e32 v18, 0, v18, vcc
	v_add_u32_e32 v2, v18, v2
	v_cmp_lt_u32_e32 vcc, 1, v17
	s_nop 0
	v_mov_b32_dpp v18, v2 row_shr:2 row_mask:0xf bank_mask:0xf
	v_cndmask_b32_e32 v17, 0, v18, vcc
	v_add_u32_e32 v2, v2, v17
	ds_write_b32 v25, v2
.LBB2045_43:
	s_or_b64 exec, exec, s[18:19]
	v_cmp_gt_u32_e32 vcc, 64, v0
	v_cmp_lt_u32_e64 s[18:19], 63, v0
	s_waitcnt lgkmcnt(0)
	s_barrier
                                        ; implicit-def: $vgpr55
	s_and_saveexec_b64 s[20:21], s[18:19]
	s_cbranch_execz .LBB2045_45
; %bb.44:
	v_lshl_add_u32 v2, v53, 2, -4
	ds_read_b32 v55, v2
	s_waitcnt lgkmcnt(0)
	v_add_u32_e32 v1, v55, v1
.LBB2045_45:
	s_or_b64 exec, exec, s[20:21]
	v_subrev_co_u32_e64 v2, s[18:19], 1, v52
	v_and_b32_e32 v17, 64, v52
	v_cmp_lt_i32_e64 s[20:21], v2, v17
	v_cndmask_b32_e64 v2, v2, v52, s[20:21]
	v_lshlrev_b32_e32 v2, 2, v2
	ds_bpermute_b32 v56, v2, v1
	s_and_saveexec_b64 s[20:21], vcc
	s_cbranch_execz .LBB2045_65
; %bb.46:
	v_mov_b32_e32 v21, 0
	ds_read_b32 v1, v21 offset:12
	s_and_saveexec_b64 s[38:39], s[18:19]
	s_cbranch_execz .LBB2045_48
; %bb.47:
	s_add_i32 s40, s43, 64
	s_mov_b32 s41, 0
	s_lshl_b64 s[40:41], s[40:41], 3
	s_add_u32 s40, s34, s40
	v_mov_b32_e32 v2, 1
	s_addc_u32 s41, s35, s41
	s_waitcnt lgkmcnt(0)
	global_store_dwordx2 v21, v[1:2], s[40:41]
.LBB2045_48:
	s_or_b64 exec, exec, s[38:39]
	v_xad_u32 v17, v52, -1, s43
	v_add_u32_e32 v20, 64, v17
	v_lshlrev_b64 v[18:19], 3, v[20:21]
	v_mov_b32_e32 v2, s35
	v_add_co_u32_e32 v22, vcc, s34, v18
	v_addc_co_u32_e32 v23, vcc, v2, v19, vcc
	global_load_dwordx2 v[19:20], v[22:23], off glc
	s_waitcnt vmcnt(0)
	v_cmp_eq_u16_sdwa s[40:41], v20, v21 src0_sel:BYTE_0 src1_sel:DWORD
	s_and_saveexec_b64 s[38:39], s[40:41]
	s_cbranch_execz .LBB2045_52
; %bb.49:
	s_mov_b64 s[40:41], 0
	v_mov_b32_e32 v2, 0
.LBB2045_50:                            ; =>This Inner Loop Header: Depth=1
	global_load_dwordx2 v[19:20], v[22:23], off glc
	s_waitcnt vmcnt(0)
	v_cmp_ne_u16_sdwa s[44:45], v20, v2 src0_sel:BYTE_0 src1_sel:DWORD
	s_or_b64 s[40:41], s[44:45], s[40:41]
	s_andn2_b64 exec, exec, s[40:41]
	s_cbranch_execnz .LBB2045_50
; %bb.51:
	s_or_b64 exec, exec, s[40:41]
.LBB2045_52:
	s_or_b64 exec, exec, s[38:39]
	v_and_b32_e32 v58, 63, v52
	v_mov_b32_e32 v57, 2
	v_lshlrev_b64 v[21:22], v52, -1
	v_cmp_ne_u32_e32 vcc, 63, v58
	v_cmp_eq_u16_sdwa s[38:39], v20, v57 src0_sel:BYTE_0 src1_sel:DWORD
	v_addc_co_u32_e32 v23, vcc, 0, v52, vcc
	v_and_b32_e32 v2, s39, v22
	v_lshlrev_b32_e32 v59, 2, v23
	v_or_b32_e32 v2, 0x80000000, v2
	ds_bpermute_b32 v23, v59, v19
	v_and_b32_e32 v18, s38, v21
	v_ffbl_b32_e32 v2, v2
	v_add_u32_e32 v2, 32, v2
	v_ffbl_b32_e32 v18, v18
	v_min_u32_e32 v2, v18, v2
	v_cmp_lt_u32_e32 vcc, v58, v2
	s_waitcnt lgkmcnt(0)
	v_cndmask_b32_e32 v18, 0, v23, vcc
	v_cmp_gt_u32_e32 vcc, 62, v58
	v_add_u32_e32 v18, v18, v19
	v_cndmask_b32_e64 v19, 0, 2, vcc
	v_add_lshl_u32 v60, v19, v52, 2
	ds_bpermute_b32 v19, v60, v18
	v_add_u32_e32 v61, 2, v58
	v_cmp_le_u32_e32 vcc, v61, v2
	v_add_u32_e32 v63, 4, v58
	v_add_u32_e32 v65, 8, v58
	s_waitcnt lgkmcnt(0)
	v_cndmask_b32_e32 v19, 0, v19, vcc
	v_cmp_gt_u32_e32 vcc, 60, v58
	v_add_u32_e32 v18, v18, v19
	v_cndmask_b32_e64 v19, 0, 4, vcc
	v_add_lshl_u32 v62, v19, v52, 2
	ds_bpermute_b32 v19, v62, v18
	v_cmp_le_u32_e32 vcc, v63, v2
	v_add_u32_e32 v67, 16, v58
	v_add_u32_e32 v69, 32, v58
	s_waitcnt lgkmcnt(0)
	v_cndmask_b32_e32 v19, 0, v19, vcc
	v_cmp_gt_u32_e32 vcc, 56, v58
	v_add_u32_e32 v18, v18, v19
	v_cndmask_b32_e64 v19, 0, 8, vcc
	v_add_lshl_u32 v64, v19, v52, 2
	ds_bpermute_b32 v19, v64, v18
	v_cmp_le_u32_e32 vcc, v65, v2
	s_waitcnt lgkmcnt(0)
	v_cndmask_b32_e32 v19, 0, v19, vcc
	v_cmp_gt_u32_e32 vcc, 48, v58
	v_add_u32_e32 v18, v18, v19
	v_cndmask_b32_e64 v19, 0, 16, vcc
	v_add_lshl_u32 v66, v19, v52, 2
	ds_bpermute_b32 v19, v66, v18
	v_cmp_le_u32_e32 vcc, v67, v2
	s_waitcnt lgkmcnt(0)
	v_cndmask_b32_e32 v19, 0, v19, vcc
	v_add_u32_e32 v18, v18, v19
	v_mov_b32_e32 v19, 0x80
	v_lshl_or_b32 v68, v52, 2, v19
	ds_bpermute_b32 v19, v68, v18
	v_cmp_le_u32_e32 vcc, v69, v2
	s_waitcnt lgkmcnt(0)
	v_cndmask_b32_e32 v2, 0, v19, vcc
	v_add_u32_e32 v19, v18, v2
	v_mov_b32_e32 v18, 0
	s_branch .LBB2045_56
.LBB2045_53:                            ;   in Loop: Header=BB2045_56 Depth=1
	s_or_b64 exec, exec, s[40:41]
.LBB2045_54:                            ;   in Loop: Header=BB2045_56 Depth=1
	s_or_b64 exec, exec, s[38:39]
	v_cmp_eq_u16_sdwa s[38:39], v20, v57 src0_sel:BYTE_0 src1_sel:DWORD
	v_and_b32_e32 v23, s39, v22
	v_or_b32_e32 v23, 0x80000000, v23
	ds_bpermute_b32 v70, v59, v19
	v_and_b32_e32 v24, s38, v21
	v_ffbl_b32_e32 v23, v23
	v_add_u32_e32 v23, 32, v23
	v_ffbl_b32_e32 v24, v24
	v_min_u32_e32 v23, v24, v23
	v_cmp_lt_u32_e32 vcc, v58, v23
	s_waitcnt lgkmcnt(0)
	v_cndmask_b32_e32 v24, 0, v70, vcc
	v_add_u32_e32 v19, v24, v19
	ds_bpermute_b32 v24, v60, v19
	v_cmp_le_u32_e32 vcc, v61, v23
	v_subrev_u32_e32 v17, 64, v17
	s_mov_b64 s[38:39], 0
	s_waitcnt lgkmcnt(0)
	v_cndmask_b32_e32 v24, 0, v24, vcc
	v_add_u32_e32 v19, v19, v24
	ds_bpermute_b32 v24, v62, v19
	v_cmp_le_u32_e32 vcc, v63, v23
	s_waitcnt lgkmcnt(0)
	v_cndmask_b32_e32 v24, 0, v24, vcc
	v_add_u32_e32 v19, v19, v24
	ds_bpermute_b32 v24, v64, v19
	v_cmp_le_u32_e32 vcc, v65, v23
	;; [unrolled: 5-line block ×4, first 2 shown]
	s_waitcnt lgkmcnt(0)
	v_cndmask_b32_e32 v23, 0, v24, vcc
	v_add3_u32 v19, v23, v2, v19
.LBB2045_55:                            ;   in Loop: Header=BB2045_56 Depth=1
	s_and_b64 vcc, exec, s[38:39]
	s_cbranch_vccnz .LBB2045_61
.LBB2045_56:                            ; =>This Loop Header: Depth=1
                                        ;     Child Loop BB2045_59 Depth 2
	v_cmp_ne_u16_sdwa s[38:39], v20, v57 src0_sel:BYTE_0 src1_sel:DWORD
	v_mov_b32_e32 v2, v19
	s_cmp_lg_u64 s[38:39], exec
	s_mov_b64 s[38:39], -1
                                        ; implicit-def: $vgpr19
                                        ; implicit-def: $vgpr20
	s_cbranch_scc1 .LBB2045_55
; %bb.57:                               ;   in Loop: Header=BB2045_56 Depth=1
	v_lshlrev_b64 v[19:20], 3, v[17:18]
	v_mov_b32_e32 v24, s35
	v_add_co_u32_e32 v23, vcc, s34, v19
	v_addc_co_u32_e32 v24, vcc, v24, v20, vcc
	global_load_dwordx2 v[19:20], v[23:24], off glc
	s_waitcnt vmcnt(0)
	v_cmp_eq_u16_sdwa s[40:41], v20, v18 src0_sel:BYTE_0 src1_sel:DWORD
	s_and_saveexec_b64 s[38:39], s[40:41]
	s_cbranch_execz .LBB2045_54
; %bb.58:                               ;   in Loop: Header=BB2045_56 Depth=1
	s_mov_b64 s[40:41], 0
.LBB2045_59:                            ;   Parent Loop BB2045_56 Depth=1
                                        ; =>  This Inner Loop Header: Depth=2
	global_load_dwordx2 v[19:20], v[23:24], off glc
	s_waitcnt vmcnt(0)
	v_cmp_ne_u16_sdwa s[44:45], v20, v18 src0_sel:BYTE_0 src1_sel:DWORD
	s_or_b64 s[40:41], s[44:45], s[40:41]
	s_andn2_b64 exec, exec, s[40:41]
	s_cbranch_execnz .LBB2045_59
	s_branch .LBB2045_53
.LBB2045_60:
                                        ; implicit-def: $vgpr2
                                        ; implicit-def: $vgpr17
	s_cbranch_execnz .LBB2045_66
	s_branch .LBB2045_75
.LBB2045_61:
	s_and_saveexec_b64 s[38:39], s[18:19]
	s_cbranch_execz .LBB2045_63
; %bb.62:
	s_add_i32 s40, s43, 64
	s_mov_b32 s41, 0
	s_lshl_b64 s[40:41], s[40:41], 3
	s_add_u32 s40, s34, s40
	v_add_u32_e32 v17, v2, v1
	v_mov_b32_e32 v18, 2
	s_addc_u32 s41, s35, s41
	v_mov_b32_e32 v19, 0
	global_store_dwordx2 v19, v[17:18], s[40:41]
	ds_write_b64 v19, v[1:2] offset:13312
.LBB2045_63:
	s_or_b64 exec, exec, s[38:39]
	s_and_b64 exec, exec, s[0:1]
; %bb.64:
	v_mov_b32_e32 v1, 0
	ds_write_b32 v1, v2 offset:12
.LBB2045_65:
	s_or_b64 exec, exec, s[20:21]
	v_mov_b32_e32 v1, 0
	s_waitcnt vmcnt(0) lgkmcnt(0)
	s_barrier
	ds_read_b32 v17, v1 offset:12
	s_waitcnt lgkmcnt(0)
	s_barrier
	ds_read_b64 v[1:2], v1 offset:13312
	v_cndmask_b32_e64 v18, v56, v55, s[18:19]
	v_cndmask_b32_e64 v18, v18, 0, s[0:1]
	v_add_u32_e32 v17, v17, v18
	s_branch .LBB2045_75
.LBB2045_66:
	s_waitcnt lgkmcnt(0)
	v_mov_b32_dpp v1, v54 row_shr:1 row_mask:0xf bank_mask:0xf
	v_cndmask_b32_e64 v1, v1, 0, s[16:17]
	v_add_u32_e32 v1, v1, v54
	s_nop 1
	v_mov_b32_dpp v2, v1 row_shr:2 row_mask:0xf bank_mask:0xf
	v_cndmask_b32_e64 v2, 0, v2, s[14:15]
	v_add_u32_e32 v1, v1, v2
	s_nop 1
	;; [unrolled: 4-line block ×4, first 2 shown]
	v_mov_b32_dpp v2, v1 row_bcast:15 row_mask:0xf bank_mask:0xf
	v_cndmask_b32_e64 v2, v2, 0, s[8:9]
	v_add_u32_e32 v1, v1, v2
	s_nop 1
	v_mov_b32_dpp v2, v1 row_bcast:31 row_mask:0xf bank_mask:0xf
	v_cndmask_b32_e64 v2, 0, v2, s[4:5]
	v_add_u32_e32 v1, v1, v2
	s_and_saveexec_b64 s[4:5], s[6:7]
; %bb.67:
	v_lshlrev_b32_e32 v2, 2, v53
	ds_write_b32 v2, v1
; %bb.68:
	s_or_b64 exec, exec, s[4:5]
	v_cmp_gt_u32_e32 vcc, 4, v0
	s_waitcnt lgkmcnt(0)
	s_barrier
	s_and_saveexec_b64 s[4:5], vcc
	s_cbranch_execz .LBB2045_70
; %bb.69:
	ds_read_b32 v2, v25
	v_and_b32_e32 v17, 3, v52
	v_cmp_ne_u32_e32 vcc, 0, v17
	s_waitcnt lgkmcnt(0)
	v_mov_b32_dpp v18, v2 row_shr:1 row_mask:0xf bank_mask:0xf
	v_cndmask_b32_e32 v18, 0, v18, vcc
	v_add_u32_e32 v2, v18, v2
	v_cmp_lt_u32_e32 vcc, 1, v17
	s_nop 0
	v_mov_b32_dpp v18, v2 row_shr:2 row_mask:0xf bank_mask:0xf
	v_cndmask_b32_e32 v17, 0, v18, vcc
	v_add_u32_e32 v2, v2, v17
	ds_write_b32 v25, v2
.LBB2045_70:
	s_or_b64 exec, exec, s[4:5]
	v_cmp_lt_u32_e32 vcc, 63, v0
	v_mov_b32_e32 v2, 0
	v_mov_b32_e32 v17, 0
	s_waitcnt lgkmcnt(0)
	s_barrier
	s_and_saveexec_b64 s[4:5], vcc
; %bb.71:
	v_lshl_add_u32 v17, v53, 2, -4
	ds_read_b32 v17, v17
; %bb.72:
	s_or_b64 exec, exec, s[4:5]
	v_subrev_co_u32_e32 v18, vcc, 1, v52
	v_and_b32_e32 v19, 64, v52
	v_cmp_lt_i32_e64 s[4:5], v18, v19
	v_cndmask_b32_e64 v18, v18, v52, s[4:5]
	s_waitcnt lgkmcnt(0)
	v_add_u32_e32 v1, v17, v1
	v_lshlrev_b32_e32 v18, 2, v18
	ds_bpermute_b32 v18, v18, v1
	ds_read_b32 v1, v2 offset:12
	s_and_saveexec_b64 s[4:5], s[0:1]
	s_cbranch_execz .LBB2045_74
; %bb.73:
	v_mov_b32_e32 v19, 0
	v_mov_b32_e32 v2, 2
	s_waitcnt lgkmcnt(0)
	global_store_dwordx2 v19, v[1:2], s[34:35] offset:512
.LBB2045_74:
	s_or_b64 exec, exec, s[4:5]
	s_waitcnt lgkmcnt(1)
	v_cndmask_b32_e32 v2, v18, v17, vcc
	v_cndmask_b32_e64 v17, v2, 0, s[0:1]
	s_waitcnt vmcnt(0) lgkmcnt(0)
	s_barrier
	v_mov_b32_e32 v2, 0
.LBB2045_75:
	v_add_u32_e32 v18, v17, v41
	v_add_u32_e32 v19, v18, v42
	v_add_u32_e32 v20, v19, v43
	v_add_u32_e32 v21, v20, v44
	s_waitcnt lgkmcnt(0)
	v_add_u32_e32 v27, v1, v27
	v_sub_u32_e32 v17, v17, v2
	v_and_b32_e32 v28, 1, v28
	v_add_u32_e32 v22, v21, v45
	v_sub_u32_e32 v45, v27, v17
	v_cmp_eq_u32_e32 vcc, 1, v28
	v_cndmask_b32_e32 v17, v45, v17, vcc
	v_lshlrev_b32_e32 v17, 2, v17
	ds_write_b32 v17, v15
	v_sub_u32_e32 v15, v18, v2
	v_sub_u32_e32 v17, v27, v15
	v_and_b32_e32 v18, 1, v29
	v_add_u32_e32 v17, 1, v17
	v_cmp_eq_u32_e32 vcc, 1, v18
	v_cndmask_b32_e32 v15, v17, v15, vcc
	v_lshlrev_b32_e32 v15, 2, v15
	ds_write_b32 v15, v16
	v_sub_u32_e32 v15, v19, v2
	v_sub_u32_e32 v16, v27, v15
	v_and_b32_e32 v17, 1, v30
	v_add_u32_e32 v16, 2, v16
	;; [unrolled: 8-line block ×5, first 2 shown]
	v_cmp_eq_u32_e32 vcc, 1, v14
	v_cndmask_b32_e32 v11, v13, v11, vcc
	v_add_u32_e32 v23, v22, v46
	v_lshlrev_b32_e32 v11, 2, v11
	ds_write_b32 v11, v12
	v_sub_u32_e32 v11, v23, v2
	v_sub_u32_e32 v12, v27, v11
	v_and_b32_e32 v13, 1, v34
	v_add_u32_e32 v12, 6, v12
	v_cmp_eq_u32_e32 vcc, 1, v13
	v_cndmask_b32_e32 v11, v12, v11, vcc
	v_add_u32_e32 v24, v23, v47
	v_lshlrev_b32_e32 v11, 2, v11
	ds_write_b32 v11, v9
	v_sub_u32_e32 v9, v24, v2
	v_sub_u32_e32 v11, v27, v9
	v_and_b32_e32 v12, 1, v35
	v_add_u32_e32 v11, 7, v11
	;; [unrolled: 9-line block ×6, first 2 shown]
	v_cmp_eq_u32_e32 vcc, 1, v8
	v_cndmask_b32_e32 v5, v7, v5, vcc
	v_lshlrev_b32_e32 v5, 2, v5
	ds_write_b32 v5, v6
	v_sub_u32_e32 v5, v40, v2
	v_add_u32_e32 v5, v44, v5
	v_sub_u32_e32 v6, v27, v5
	v_add_u32_e32 v6, 12, v6
	v_cndmask_b32_e64 v5, v6, v5, s[36:37]
	v_lshlrev_b32_e32 v5, 2, v5
	ds_write_b32 v5, v26
	s_waitcnt lgkmcnt(0)
	s_barrier
	ds_read2st64_b32 v[15:16], v25 offset1:4
	ds_read2st64_b32 v[13:14], v25 offset0:8 offset1:12
	ds_read2st64_b32 v[11:12], v25 offset0:16 offset1:20
	ds_read2st64_b32 v[9:10], v25 offset0:24 offset1:28
	ds_read2st64_b32 v[7:8], v25 offset0:32 offset1:36
	ds_read2st64_b32 v[5:6], v25 offset0:40 offset1:44
	ds_read_b32 v18, v25 offset:12288
	s_and_b64 vcc, exec, s[2:3]
	v_add_co_u32_e64 v17, s[2:3], v3, v2
	v_or_b32_e32 v32, 0x100, v0
	v_or_b32_e32 v30, 0x200, v0
	;; [unrolled: 1-line block ×12, first 2 shown]
	v_addc_co_u32_e64 v4, s[2:3], 0, v4, s[2:3]
	s_cbranch_vccnz .LBB2045_132
; %bb.76:
	v_mov_b32_e32 v2, s29
	v_subrev_co_u32_e32 v3, vcc, s28, v17
	s_sub_u32 s2, s30, s42
	v_subb_co_u32_e32 v2, vcc, v4, v2, vcc
	s_subb_u32 s3, s31, 0
	v_mov_b32_e32 v25, s3
	v_add_co_u32_e32 v31, vcc, s2, v1
	v_addc_co_u32_e32 v33, vcc, 0, v25, vcc
	v_add_co_u32_e32 v25, vcc, v31, v3
	v_addc_co_u32_e32 v31, vcc, v33, v2, vcc
	v_cmp_ge_u32_e32 vcc, v0, v1
                                        ; implicit-def: $vgpr2_vgpr3
	s_and_saveexec_b64 s[2:3], vcc
	s_xor_b64 s[2:3], exec, s[2:3]
; %bb.77:
	v_not_b32_e32 v2, v0
	v_ashrrev_i32_e32 v3, 31, v2
	v_add_co_u32_e32 v2, vcc, v25, v2
	v_addc_co_u32_e32 v3, vcc, v31, v3, vcc
; %bb.78:
	s_andn2_saveexec_b64 s[2:3], s[2:3]
; %bb.79:
	v_add_co_u32_e32 v2, vcc, v17, v0
	v_addc_co_u32_e32 v3, vcc, 0, v4, vcc
; %bb.80:
	s_or_b64 exec, exec, s[2:3]
	v_lshlrev_b64 v[2:3], 2, v[2:3]
	v_mov_b32_e32 v33, s23
	v_add_co_u32_e32 v2, vcc, s22, v2
	v_addc_co_u32_e32 v3, vcc, v33, v3, vcc
	v_cmp_ge_u32_e32 vcc, v32, v1
	s_waitcnt lgkmcnt(6)
	global_store_dword v[2:3], v15, off
                                        ; implicit-def: $vgpr2_vgpr3
	s_and_saveexec_b64 s[2:3], vcc
	s_xor_b64 s[2:3], exec, s[2:3]
; %bb.81:
	v_xor_b32_e32 v2, 0xfffffeff, v0
	v_ashrrev_i32_e32 v3, 31, v2
	v_add_co_u32_e32 v2, vcc, v25, v2
	v_addc_co_u32_e32 v3, vcc, v31, v3, vcc
; %bb.82:
	s_andn2_saveexec_b64 s[2:3], s[2:3]
; %bb.83:
	v_add_co_u32_e32 v2, vcc, v17, v32
	v_addc_co_u32_e32 v3, vcc, 0, v4, vcc
; %bb.84:
	s_or_b64 exec, exec, s[2:3]
	v_lshlrev_b64 v[2:3], 2, v[2:3]
	v_mov_b32_e32 v33, s23
	v_add_co_u32_e32 v2, vcc, s22, v2
	v_addc_co_u32_e32 v3, vcc, v33, v3, vcc
	v_cmp_ge_u32_e32 vcc, v30, v1
	global_store_dword v[2:3], v16, off
                                        ; implicit-def: $vgpr2_vgpr3
	s_and_saveexec_b64 s[2:3], vcc
	s_xor_b64 s[2:3], exec, s[2:3]
; %bb.85:
	v_xor_b32_e32 v2, 0xfffffdff, v0
	v_ashrrev_i32_e32 v3, 31, v2
	v_add_co_u32_e32 v2, vcc, v25, v2
	v_addc_co_u32_e32 v3, vcc, v31, v3, vcc
; %bb.86:
	s_andn2_saveexec_b64 s[2:3], s[2:3]
; %bb.87:
	v_add_co_u32_e32 v2, vcc, v17, v30
	v_addc_co_u32_e32 v3, vcc, 0, v4, vcc
; %bb.88:
	s_or_b64 exec, exec, s[2:3]
	v_lshlrev_b64 v[2:3], 2, v[2:3]
	v_mov_b32_e32 v33, s23
	v_add_co_u32_e32 v2, vcc, s22, v2
	v_addc_co_u32_e32 v3, vcc, v33, v3, vcc
	v_cmp_ge_u32_e32 vcc, v29, v1
	s_waitcnt lgkmcnt(5)
	global_store_dword v[2:3], v13, off
                                        ; implicit-def: $vgpr2_vgpr3
	s_and_saveexec_b64 s[2:3], vcc
	s_xor_b64 s[2:3], exec, s[2:3]
; %bb.89:
	v_xor_b32_e32 v2, 0xfffffcff, v0
	v_ashrrev_i32_e32 v3, 31, v2
	v_add_co_u32_e32 v2, vcc, v25, v2
	v_addc_co_u32_e32 v3, vcc, v31, v3, vcc
; %bb.90:
	s_andn2_saveexec_b64 s[2:3], s[2:3]
; %bb.91:
	v_add_co_u32_e32 v2, vcc, v17, v29
	v_addc_co_u32_e32 v3, vcc, 0, v4, vcc
; %bb.92:
	s_or_b64 exec, exec, s[2:3]
	v_lshlrev_b64 v[2:3], 2, v[2:3]
	v_mov_b32_e32 v33, s23
	v_add_co_u32_e32 v2, vcc, s22, v2
	v_addc_co_u32_e32 v3, vcc, v33, v3, vcc
	v_cmp_ge_u32_e32 vcc, v28, v1
	global_store_dword v[2:3], v14, off
                                        ; implicit-def: $vgpr2_vgpr3
	s_and_saveexec_b64 s[2:3], vcc
	s_xor_b64 s[2:3], exec, s[2:3]
; %bb.93:
	v_xor_b32_e32 v2, 0xfffffbff, v0
	;; [unrolled: 43-line block ×6, first 2 shown]
	v_ashrrev_i32_e32 v3, 31, v2
	v_add_co_u32_e32 v2, vcc, v25, v2
	v_addc_co_u32_e32 v3, vcc, v31, v3, vcc
; %bb.126:
	s_andn2_saveexec_b64 s[2:3], s[2:3]
; %bb.127:
	v_add_co_u32_e32 v2, vcc, v17, v19
	v_addc_co_u32_e32 v3, vcc, 0, v4, vcc
; %bb.128:
	s_or_b64 exec, exec, s[2:3]
	s_mov_b64 s[2:3], -1
.LBB2045_129:
	s_and_saveexec_b64 s[4:5], s[2:3]
	s_cbranch_execz .LBB2045_212
.LBB2045_130:
	v_lshlrev_b64 v[2:3], 2, v[2:3]
	v_mov_b32_e32 v0, s23
	v_add_co_u32_e32 v2, vcc, s22, v2
	v_addc_co_u32_e32 v3, vcc, v0, v3, vcc
	s_waitcnt lgkmcnt(0)
	global_store_dword v[2:3], v18, off
	s_or_b64 exec, exec, s[4:5]
	s_and_b64 s[0:1], s[0:1], s[26:27]
	s_and_saveexec_b64 s[2:3], s[0:1]
	s_cbranch_execnz .LBB2045_213
.LBB2045_131:
	s_endpgm
.LBB2045_132:
	s_mov_b64 s[2:3], 0
                                        ; implicit-def: $vgpr2_vgpr3
	s_cbranch_execz .LBB2045_129
; %bb.133:
	s_add_u32 s4, s28, s42
	s_addc_u32 s5, s29, 0
	s_sub_u32 s4, s30, s4
	s_subb_u32 s5, s31, s5
	v_mov_b32_e32 v2, s5
	v_add_co_u32_e32 v3, vcc, s4, v1
	v_addc_co_u32_e32 v2, vcc, 0, v2, vcc
	v_add_co_u32_e32 v25, vcc, v3, v17
	v_addc_co_u32_e32 v31, vcc, v2, v4, vcc
	v_cmp_gt_u32_e32 vcc, s33, v0
	s_and_saveexec_b64 s[4:5], vcc
	s_cbranch_execz .LBB2045_169
; %bb.134:
	v_cmp_ge_u32_e32 vcc, v0, v1
                                        ; implicit-def: $vgpr2_vgpr3
	s_and_saveexec_b64 s[6:7], vcc
	s_xor_b64 s[6:7], exec, s[6:7]
; %bb.135:
	v_not_b32_e32 v2, v0
	v_ashrrev_i32_e32 v3, 31, v2
	v_add_co_u32_e32 v2, vcc, v25, v2
	v_addc_co_u32_e32 v3, vcc, v31, v3, vcc
; %bb.136:
	s_andn2_saveexec_b64 s[6:7], s[6:7]
; %bb.137:
	v_add_co_u32_e32 v2, vcc, v17, v0
	v_addc_co_u32_e32 v3, vcc, 0, v4, vcc
; %bb.138:
	s_or_b64 exec, exec, s[6:7]
	v_lshlrev_b64 v[2:3], 2, v[2:3]
	v_mov_b32_e32 v33, s23
	v_add_co_u32_e32 v2, vcc, s22, v2
	v_addc_co_u32_e32 v3, vcc, v33, v3, vcc
	s_waitcnt lgkmcnt(6)
	global_store_dword v[2:3], v15, off
	s_or_b64 exec, exec, s[4:5]
	v_cmp_gt_u32_e32 vcc, s33, v32
	s_and_saveexec_b64 s[4:5], vcc
	s_cbranch_execnz .LBB2045_170
.LBB2045_139:
	s_or_b64 exec, exec, s[4:5]
	v_cmp_gt_u32_e32 vcc, s33, v30
	s_and_saveexec_b64 s[4:5], vcc
	s_cbranch_execz .LBB2045_175
.LBB2045_140:
	v_cmp_ge_u32_e32 vcc, v30, v1
                                        ; implicit-def: $vgpr2_vgpr3
	s_and_saveexec_b64 s[6:7], vcc
	s_xor_b64 s[6:7], exec, s[6:7]
; %bb.141:
	v_xor_b32_e32 v2, 0xfffffdff, v0
	v_ashrrev_i32_e32 v3, 31, v2
	v_add_co_u32_e32 v2, vcc, v25, v2
	v_addc_co_u32_e32 v3, vcc, v31, v3, vcc
                                        ; implicit-def: $vgpr30
; %bb.142:
	s_andn2_saveexec_b64 s[6:7], s[6:7]
; %bb.143:
	v_add_co_u32_e32 v2, vcc, v17, v30
	v_addc_co_u32_e32 v3, vcc, 0, v4, vcc
; %bb.144:
	s_or_b64 exec, exec, s[6:7]
	v_lshlrev_b64 v[2:3], 2, v[2:3]
	s_waitcnt lgkmcnt(6)
	v_mov_b32_e32 v15, s23
	v_add_co_u32_e32 v2, vcc, s22, v2
	v_addc_co_u32_e32 v3, vcc, v15, v3, vcc
	s_waitcnt lgkmcnt(5)
	global_store_dword v[2:3], v13, off
	s_or_b64 exec, exec, s[4:5]
	v_cmp_gt_u32_e32 vcc, s33, v29
	s_and_saveexec_b64 s[4:5], vcc
	s_cbranch_execnz .LBB2045_176
.LBB2045_145:
	s_or_b64 exec, exec, s[4:5]
	v_cmp_gt_u32_e32 vcc, s33, v28
	s_and_saveexec_b64 s[4:5], vcc
	s_cbranch_execz .LBB2045_181
.LBB2045_146:
	v_cmp_ge_u32_e32 vcc, v28, v1
                                        ; implicit-def: $vgpr2_vgpr3
	s_and_saveexec_b64 s[6:7], vcc
	s_xor_b64 s[6:7], exec, s[6:7]
; %bb.147:
	v_xor_b32_e32 v2, 0xfffffbff, v0
	v_ashrrev_i32_e32 v3, 31, v2
	v_add_co_u32_e32 v2, vcc, v25, v2
	v_addc_co_u32_e32 v3, vcc, v31, v3, vcc
                                        ; implicit-def: $vgpr28
; %bb.148:
	s_andn2_saveexec_b64 s[6:7], s[6:7]
; %bb.149:
	v_add_co_u32_e32 v2, vcc, v17, v28
	v_addc_co_u32_e32 v3, vcc, 0, v4, vcc
; %bb.150:
	s_or_b64 exec, exec, s[6:7]
	v_lshlrev_b64 v[2:3], 2, v[2:3]
	s_waitcnt lgkmcnt(5)
	v_mov_b32_e32 v13, s23
	v_add_co_u32_e32 v2, vcc, s22, v2
	v_addc_co_u32_e32 v3, vcc, v13, v3, vcc
	s_waitcnt lgkmcnt(4)
	global_store_dword v[2:3], v11, off
	s_or_b64 exec, exec, s[4:5]
	v_cmp_gt_u32_e32 vcc, s33, v27
	s_and_saveexec_b64 s[4:5], vcc
	s_cbranch_execnz .LBB2045_182
.LBB2045_151:
	s_or_b64 exec, exec, s[4:5]
	v_cmp_gt_u32_e32 vcc, s33, v26
	s_and_saveexec_b64 s[4:5], vcc
	s_cbranch_execz .LBB2045_187
.LBB2045_152:
	v_cmp_ge_u32_e32 vcc, v26, v1
                                        ; implicit-def: $vgpr2_vgpr3
	s_and_saveexec_b64 s[6:7], vcc
	s_xor_b64 s[6:7], exec, s[6:7]
; %bb.153:
	v_xor_b32_e32 v2, 0xfffff9ff, v0
	v_ashrrev_i32_e32 v3, 31, v2
	v_add_co_u32_e32 v2, vcc, v25, v2
	v_addc_co_u32_e32 v3, vcc, v31, v3, vcc
                                        ; implicit-def: $vgpr26
; %bb.154:
	s_andn2_saveexec_b64 s[6:7], s[6:7]
; %bb.155:
	v_add_co_u32_e32 v2, vcc, v17, v26
	v_addc_co_u32_e32 v3, vcc, 0, v4, vcc
; %bb.156:
	s_or_b64 exec, exec, s[6:7]
	v_lshlrev_b64 v[2:3], 2, v[2:3]
	s_waitcnt lgkmcnt(4)
	v_mov_b32_e32 v11, s23
	v_add_co_u32_e32 v2, vcc, s22, v2
	v_addc_co_u32_e32 v3, vcc, v11, v3, vcc
	s_waitcnt lgkmcnt(3)
	global_store_dword v[2:3], v9, off
	s_or_b64 exec, exec, s[4:5]
	v_cmp_gt_u32_e32 vcc, s33, v24
	s_and_saveexec_b64 s[4:5], vcc
	s_cbranch_execnz .LBB2045_188
.LBB2045_157:
	s_or_b64 exec, exec, s[4:5]
	v_cmp_gt_u32_e32 vcc, s33, v23
	s_and_saveexec_b64 s[4:5], vcc
	s_cbranch_execz .LBB2045_193
.LBB2045_158:
	v_cmp_ge_u32_e32 vcc, v23, v1
                                        ; implicit-def: $vgpr2_vgpr3
	s_and_saveexec_b64 s[6:7], vcc
	s_xor_b64 s[6:7], exec, s[6:7]
; %bb.159:
	v_xor_b32_e32 v2, 0xfffff7ff, v0
	v_ashrrev_i32_e32 v3, 31, v2
	v_add_co_u32_e32 v2, vcc, v25, v2
	v_addc_co_u32_e32 v3, vcc, v31, v3, vcc
                                        ; implicit-def: $vgpr23
; %bb.160:
	s_andn2_saveexec_b64 s[6:7], s[6:7]
; %bb.161:
	v_add_co_u32_e32 v2, vcc, v17, v23
	v_addc_co_u32_e32 v3, vcc, 0, v4, vcc
; %bb.162:
	s_or_b64 exec, exec, s[6:7]
	v_lshlrev_b64 v[2:3], 2, v[2:3]
	s_waitcnt lgkmcnt(3)
	v_mov_b32_e32 v9, s23
	v_add_co_u32_e32 v2, vcc, s22, v2
	v_addc_co_u32_e32 v3, vcc, v9, v3, vcc
	s_waitcnt lgkmcnt(2)
	global_store_dword v[2:3], v7, off
	s_or_b64 exec, exec, s[4:5]
	v_cmp_gt_u32_e32 vcc, s33, v22
	s_and_saveexec_b64 s[4:5], vcc
	s_cbranch_execnz .LBB2045_194
.LBB2045_163:
	s_or_b64 exec, exec, s[4:5]
	v_cmp_gt_u32_e32 vcc, s33, v21
	s_and_saveexec_b64 s[4:5], vcc
	s_cbranch_execz .LBB2045_199
.LBB2045_164:
	v_cmp_ge_u32_e32 vcc, v21, v1
                                        ; implicit-def: $vgpr2_vgpr3
	s_and_saveexec_b64 s[6:7], vcc
	s_xor_b64 s[6:7], exec, s[6:7]
; %bb.165:
	v_xor_b32_e32 v2, 0xfffff5ff, v0
	v_ashrrev_i32_e32 v3, 31, v2
	v_add_co_u32_e32 v2, vcc, v25, v2
	v_addc_co_u32_e32 v3, vcc, v31, v3, vcc
                                        ; implicit-def: $vgpr21
; %bb.166:
	s_andn2_saveexec_b64 s[6:7], s[6:7]
; %bb.167:
	v_add_co_u32_e32 v2, vcc, v17, v21
	v_addc_co_u32_e32 v3, vcc, 0, v4, vcc
; %bb.168:
	s_or_b64 exec, exec, s[6:7]
	v_lshlrev_b64 v[2:3], 2, v[2:3]
	s_waitcnt lgkmcnt(2)
	v_mov_b32_e32 v7, s23
	v_add_co_u32_e32 v2, vcc, s22, v2
	v_addc_co_u32_e32 v3, vcc, v7, v3, vcc
	s_waitcnt lgkmcnt(1)
	global_store_dword v[2:3], v5, off
	s_or_b64 exec, exec, s[4:5]
	v_cmp_gt_u32_e32 vcc, s33, v20
	s_and_saveexec_b64 s[4:5], vcc
	s_cbranch_execz .LBB2045_205
	s_branch .LBB2045_200
.LBB2045_169:
	s_or_b64 exec, exec, s[4:5]
	v_cmp_gt_u32_e32 vcc, s33, v32
	s_and_saveexec_b64 s[4:5], vcc
	s_cbranch_execz .LBB2045_139
.LBB2045_170:
	v_cmp_ge_u32_e32 vcc, v32, v1
                                        ; implicit-def: $vgpr2_vgpr3
	s_and_saveexec_b64 s[6:7], vcc
	s_xor_b64 s[6:7], exec, s[6:7]
; %bb.171:
	v_xor_b32_e32 v2, 0xfffffeff, v0
	v_ashrrev_i32_e32 v3, 31, v2
	v_add_co_u32_e32 v2, vcc, v25, v2
	v_addc_co_u32_e32 v3, vcc, v31, v3, vcc
                                        ; implicit-def: $vgpr32
; %bb.172:
	s_andn2_saveexec_b64 s[6:7], s[6:7]
; %bb.173:
	v_add_co_u32_e32 v2, vcc, v17, v32
	v_addc_co_u32_e32 v3, vcc, 0, v4, vcc
; %bb.174:
	s_or_b64 exec, exec, s[6:7]
	v_lshlrev_b64 v[2:3], 2, v[2:3]
	s_waitcnt lgkmcnt(6)
	v_mov_b32_e32 v15, s23
	v_add_co_u32_e32 v2, vcc, s22, v2
	v_addc_co_u32_e32 v3, vcc, v15, v3, vcc
	global_store_dword v[2:3], v16, off
	s_or_b64 exec, exec, s[4:5]
	v_cmp_gt_u32_e32 vcc, s33, v30
	s_and_saveexec_b64 s[4:5], vcc
	s_cbranch_execnz .LBB2045_140
.LBB2045_175:
	s_or_b64 exec, exec, s[4:5]
	v_cmp_gt_u32_e32 vcc, s33, v29
	s_and_saveexec_b64 s[4:5], vcc
	s_cbranch_execz .LBB2045_145
.LBB2045_176:
	v_cmp_ge_u32_e32 vcc, v29, v1
                                        ; implicit-def: $vgpr2_vgpr3
	s_and_saveexec_b64 s[6:7], vcc
	s_xor_b64 s[6:7], exec, s[6:7]
; %bb.177:
	v_xor_b32_e32 v2, 0xfffffcff, v0
	v_ashrrev_i32_e32 v3, 31, v2
	v_add_co_u32_e32 v2, vcc, v25, v2
	v_addc_co_u32_e32 v3, vcc, v31, v3, vcc
                                        ; implicit-def: $vgpr29
; %bb.178:
	s_andn2_saveexec_b64 s[6:7], s[6:7]
; %bb.179:
	v_add_co_u32_e32 v2, vcc, v17, v29
	v_addc_co_u32_e32 v3, vcc, 0, v4, vcc
; %bb.180:
	s_or_b64 exec, exec, s[6:7]
	v_lshlrev_b64 v[2:3], 2, v[2:3]
	s_waitcnt lgkmcnt(5)
	v_mov_b32_e32 v13, s23
	v_add_co_u32_e32 v2, vcc, s22, v2
	v_addc_co_u32_e32 v3, vcc, v13, v3, vcc
	global_store_dword v[2:3], v14, off
	s_or_b64 exec, exec, s[4:5]
	v_cmp_gt_u32_e32 vcc, s33, v28
	s_and_saveexec_b64 s[4:5], vcc
	s_cbranch_execnz .LBB2045_146
.LBB2045_181:
	s_or_b64 exec, exec, s[4:5]
	v_cmp_gt_u32_e32 vcc, s33, v27
	s_and_saveexec_b64 s[4:5], vcc
	s_cbranch_execz .LBB2045_151
.LBB2045_182:
	v_cmp_ge_u32_e32 vcc, v27, v1
                                        ; implicit-def: $vgpr2_vgpr3
	s_and_saveexec_b64 s[6:7], vcc
	s_xor_b64 s[6:7], exec, s[6:7]
; %bb.183:
	v_xor_b32_e32 v2, 0xfffffaff, v0
	v_ashrrev_i32_e32 v3, 31, v2
	v_add_co_u32_e32 v2, vcc, v25, v2
	v_addc_co_u32_e32 v3, vcc, v31, v3, vcc
                                        ; implicit-def: $vgpr27
; %bb.184:
	s_andn2_saveexec_b64 s[6:7], s[6:7]
; %bb.185:
	v_add_co_u32_e32 v2, vcc, v17, v27
	v_addc_co_u32_e32 v3, vcc, 0, v4, vcc
; %bb.186:
	s_or_b64 exec, exec, s[6:7]
	v_lshlrev_b64 v[2:3], 2, v[2:3]
	s_waitcnt lgkmcnt(4)
	v_mov_b32_e32 v11, s23
	v_add_co_u32_e32 v2, vcc, s22, v2
	v_addc_co_u32_e32 v3, vcc, v11, v3, vcc
	global_store_dword v[2:3], v12, off
	s_or_b64 exec, exec, s[4:5]
	v_cmp_gt_u32_e32 vcc, s33, v26
	s_and_saveexec_b64 s[4:5], vcc
	s_cbranch_execnz .LBB2045_152
.LBB2045_187:
	s_or_b64 exec, exec, s[4:5]
	v_cmp_gt_u32_e32 vcc, s33, v24
	s_and_saveexec_b64 s[4:5], vcc
	s_cbranch_execz .LBB2045_157
.LBB2045_188:
	v_cmp_ge_u32_e32 vcc, v24, v1
                                        ; implicit-def: $vgpr2_vgpr3
	s_and_saveexec_b64 s[6:7], vcc
	s_xor_b64 s[6:7], exec, s[6:7]
; %bb.189:
	v_xor_b32_e32 v2, 0xfffff8ff, v0
	v_ashrrev_i32_e32 v3, 31, v2
	v_add_co_u32_e32 v2, vcc, v25, v2
	v_addc_co_u32_e32 v3, vcc, v31, v3, vcc
                                        ; implicit-def: $vgpr24
; %bb.190:
	s_andn2_saveexec_b64 s[6:7], s[6:7]
; %bb.191:
	v_add_co_u32_e32 v2, vcc, v17, v24
	v_addc_co_u32_e32 v3, vcc, 0, v4, vcc
; %bb.192:
	s_or_b64 exec, exec, s[6:7]
	v_lshlrev_b64 v[2:3], 2, v[2:3]
	s_waitcnt lgkmcnt(3)
	v_mov_b32_e32 v9, s23
	v_add_co_u32_e32 v2, vcc, s22, v2
	v_addc_co_u32_e32 v3, vcc, v9, v3, vcc
	global_store_dword v[2:3], v10, off
	s_or_b64 exec, exec, s[4:5]
	v_cmp_gt_u32_e32 vcc, s33, v23
	s_and_saveexec_b64 s[4:5], vcc
	s_cbranch_execnz .LBB2045_158
.LBB2045_193:
	s_or_b64 exec, exec, s[4:5]
	v_cmp_gt_u32_e32 vcc, s33, v22
	s_and_saveexec_b64 s[4:5], vcc
	s_cbranch_execz .LBB2045_163
.LBB2045_194:
	v_cmp_ge_u32_e32 vcc, v22, v1
                                        ; implicit-def: $vgpr2_vgpr3
	s_and_saveexec_b64 s[6:7], vcc
	s_xor_b64 s[6:7], exec, s[6:7]
; %bb.195:
	v_xor_b32_e32 v2, 0xfffff6ff, v0
	v_ashrrev_i32_e32 v3, 31, v2
	v_add_co_u32_e32 v2, vcc, v25, v2
	v_addc_co_u32_e32 v3, vcc, v31, v3, vcc
                                        ; implicit-def: $vgpr22
; %bb.196:
	s_andn2_saveexec_b64 s[6:7], s[6:7]
; %bb.197:
	v_add_co_u32_e32 v2, vcc, v17, v22
	v_addc_co_u32_e32 v3, vcc, 0, v4, vcc
; %bb.198:
	s_or_b64 exec, exec, s[6:7]
	v_lshlrev_b64 v[2:3], 2, v[2:3]
	s_waitcnt lgkmcnt(2)
	v_mov_b32_e32 v7, s23
	v_add_co_u32_e32 v2, vcc, s22, v2
	v_addc_co_u32_e32 v3, vcc, v7, v3, vcc
	global_store_dword v[2:3], v8, off
	s_or_b64 exec, exec, s[4:5]
	v_cmp_gt_u32_e32 vcc, s33, v21
	s_and_saveexec_b64 s[4:5], vcc
	s_cbranch_execnz .LBB2045_164
.LBB2045_199:
	s_or_b64 exec, exec, s[4:5]
	v_cmp_gt_u32_e32 vcc, s33, v20
	s_and_saveexec_b64 s[4:5], vcc
	s_cbranch_execz .LBB2045_205
.LBB2045_200:
	v_cmp_ge_u32_e32 vcc, v20, v1
                                        ; implicit-def: $vgpr2_vgpr3
	s_and_saveexec_b64 s[6:7], vcc
	s_xor_b64 s[6:7], exec, s[6:7]
; %bb.201:
	v_xor_b32_e32 v2, 0xfffff4ff, v0
	v_ashrrev_i32_e32 v3, 31, v2
	v_add_co_u32_e32 v2, vcc, v25, v2
	v_addc_co_u32_e32 v3, vcc, v31, v3, vcc
                                        ; implicit-def: $vgpr20
; %bb.202:
	s_andn2_saveexec_b64 s[6:7], s[6:7]
; %bb.203:
	v_add_co_u32_e32 v2, vcc, v17, v20
	v_addc_co_u32_e32 v3, vcc, 0, v4, vcc
; %bb.204:
	s_or_b64 exec, exec, s[6:7]
	v_lshlrev_b64 v[2:3], 2, v[2:3]
	s_waitcnt lgkmcnt(1)
	v_mov_b32_e32 v5, s23
	v_add_co_u32_e32 v2, vcc, s22, v2
	v_addc_co_u32_e32 v3, vcc, v5, v3, vcc
	global_store_dword v[2:3], v6, off
.LBB2045_205:
	s_or_b64 exec, exec, s[4:5]
	v_cmp_gt_u32_e32 vcc, s33, v19
                                        ; implicit-def: $vgpr2_vgpr3
	s_and_saveexec_b64 s[4:5], vcc
	s_cbranch_execz .LBB2045_211
; %bb.206:
	v_cmp_ge_u32_e32 vcc, v19, v1
                                        ; implicit-def: $vgpr2_vgpr3
	s_and_saveexec_b64 s[6:7], vcc
	s_xor_b64 s[6:7], exec, s[6:7]
; %bb.207:
	v_xor_b32_e32 v0, 0xfffff3ff, v0
	v_ashrrev_i32_e32 v3, 31, v0
	v_add_co_u32_e32 v2, vcc, v25, v0
	v_addc_co_u32_e32 v3, vcc, v31, v3, vcc
                                        ; implicit-def: $vgpr19
; %bb.208:
	s_andn2_saveexec_b64 s[6:7], s[6:7]
; %bb.209:
	v_add_co_u32_e32 v2, vcc, v17, v19
	v_addc_co_u32_e32 v3, vcc, 0, v4, vcc
; %bb.210:
	s_or_b64 exec, exec, s[6:7]
	s_or_b64 s[2:3], s[2:3], exec
.LBB2045_211:
	s_or_b64 exec, exec, s[4:5]
	s_and_saveexec_b64 s[4:5], s[2:3]
	s_cbranch_execnz .LBB2045_130
.LBB2045_212:
	s_or_b64 exec, exec, s[4:5]
	s_and_b64 s[0:1], s[0:1], s[26:27]
	s_and_saveexec_b64 s[2:3], s[0:1]
	s_cbranch_execz .LBB2045_131
.LBB2045_213:
	v_add_co_u32_e32 v0, vcc, v17, v1
	v_mov_b32_e32 v2, 0
	v_addc_co_u32_e32 v1, vcc, 0, v4, vcc
	global_store_dwordx2 v2, v[0:1], s[24:25]
	s_endpgm
	.section	.rodata,"a",@progbits
	.p2align	6, 0x0
	.amdhsa_kernel _ZN7rocprim17ROCPRIM_400000_NS6detail17trampoline_kernelINS0_13select_configILj256ELj13ELNS0_17block_load_methodE3ELS4_3ELS4_3ELNS0_20block_scan_algorithmE0ELj4294967295EEENS1_25partition_config_selectorILNS1_17partition_subalgoE3EjNS0_10empty_typeEbEEZZNS1_14partition_implILS8_3ELb0ES6_jNS0_17counting_iteratorIjlEEPS9_SE_NS0_5tupleIJPjSE_EEENSF_IJSE_SE_EEES9_SG_JZNS1_25segmented_radix_sort_implINS0_14default_configELb0EPK12hip_bfloat16PSL_PKlPlN2at6native12_GLOBAL__N_18offset_tEEE10hipError_tPvRmT1_PNSt15iterator_traitsISZ_E10value_typeET2_T3_PNS10_IS15_E10value_typeET4_jRbjT5_S1B_jjP12ihipStream_tbEUljE_EEESW_SX_SY_S15_S19_S1B_T6_T7_T9_mT8_S1D_bDpT10_ENKUlT_T0_E_clISt17integral_constantIbLb0EES1P_IbLb1EEEEDaS1L_S1M_EUlS1L_E_NS1_11comp_targetILNS1_3genE2ELNS1_11target_archE906ELNS1_3gpuE6ELNS1_3repE0EEENS1_30default_config_static_selectorELNS0_4arch9wavefront6targetE1EEEvSZ_
		.amdhsa_group_segment_fixed_size 13320
		.amdhsa_private_segment_fixed_size 0
		.amdhsa_kernarg_size 152
		.amdhsa_user_sgpr_count 6
		.amdhsa_user_sgpr_private_segment_buffer 1
		.amdhsa_user_sgpr_dispatch_ptr 0
		.amdhsa_user_sgpr_queue_ptr 0
		.amdhsa_user_sgpr_kernarg_segment_ptr 1
		.amdhsa_user_sgpr_dispatch_id 0
		.amdhsa_user_sgpr_flat_scratch_init 0
		.amdhsa_user_sgpr_private_segment_size 0
		.amdhsa_uses_dynamic_stack 0
		.amdhsa_system_sgpr_private_segment_wavefront_offset 0
		.amdhsa_system_sgpr_workgroup_id_x 1
		.amdhsa_system_sgpr_workgroup_id_y 0
		.amdhsa_system_sgpr_workgroup_id_z 0
		.amdhsa_system_sgpr_workgroup_info 0
		.amdhsa_system_vgpr_workitem_id 0
		.amdhsa_next_free_vgpr 71
		.amdhsa_next_free_sgpr 98
		.amdhsa_reserve_vcc 1
		.amdhsa_reserve_flat_scratch 0
		.amdhsa_float_round_mode_32 0
		.amdhsa_float_round_mode_16_64 0
		.amdhsa_float_denorm_mode_32 3
		.amdhsa_float_denorm_mode_16_64 3
		.amdhsa_dx10_clamp 1
		.amdhsa_ieee_mode 1
		.amdhsa_fp16_overflow 0
		.amdhsa_exception_fp_ieee_invalid_op 0
		.amdhsa_exception_fp_denorm_src 0
		.amdhsa_exception_fp_ieee_div_zero 0
		.amdhsa_exception_fp_ieee_overflow 0
		.amdhsa_exception_fp_ieee_underflow 0
		.amdhsa_exception_fp_ieee_inexact 0
		.amdhsa_exception_int_div_zero 0
	.end_amdhsa_kernel
	.section	.text._ZN7rocprim17ROCPRIM_400000_NS6detail17trampoline_kernelINS0_13select_configILj256ELj13ELNS0_17block_load_methodE3ELS4_3ELS4_3ELNS0_20block_scan_algorithmE0ELj4294967295EEENS1_25partition_config_selectorILNS1_17partition_subalgoE3EjNS0_10empty_typeEbEEZZNS1_14partition_implILS8_3ELb0ES6_jNS0_17counting_iteratorIjlEEPS9_SE_NS0_5tupleIJPjSE_EEENSF_IJSE_SE_EEES9_SG_JZNS1_25segmented_radix_sort_implINS0_14default_configELb0EPK12hip_bfloat16PSL_PKlPlN2at6native12_GLOBAL__N_18offset_tEEE10hipError_tPvRmT1_PNSt15iterator_traitsISZ_E10value_typeET2_T3_PNS10_IS15_E10value_typeET4_jRbjT5_S1B_jjP12ihipStream_tbEUljE_EEESW_SX_SY_S15_S19_S1B_T6_T7_T9_mT8_S1D_bDpT10_ENKUlT_T0_E_clISt17integral_constantIbLb0EES1P_IbLb1EEEEDaS1L_S1M_EUlS1L_E_NS1_11comp_targetILNS1_3genE2ELNS1_11target_archE906ELNS1_3gpuE6ELNS1_3repE0EEENS1_30default_config_static_selectorELNS0_4arch9wavefront6targetE1EEEvSZ_,"axG",@progbits,_ZN7rocprim17ROCPRIM_400000_NS6detail17trampoline_kernelINS0_13select_configILj256ELj13ELNS0_17block_load_methodE3ELS4_3ELS4_3ELNS0_20block_scan_algorithmE0ELj4294967295EEENS1_25partition_config_selectorILNS1_17partition_subalgoE3EjNS0_10empty_typeEbEEZZNS1_14partition_implILS8_3ELb0ES6_jNS0_17counting_iteratorIjlEEPS9_SE_NS0_5tupleIJPjSE_EEENSF_IJSE_SE_EEES9_SG_JZNS1_25segmented_radix_sort_implINS0_14default_configELb0EPK12hip_bfloat16PSL_PKlPlN2at6native12_GLOBAL__N_18offset_tEEE10hipError_tPvRmT1_PNSt15iterator_traitsISZ_E10value_typeET2_T3_PNS10_IS15_E10value_typeET4_jRbjT5_S1B_jjP12ihipStream_tbEUljE_EEESW_SX_SY_S15_S19_S1B_T6_T7_T9_mT8_S1D_bDpT10_ENKUlT_T0_E_clISt17integral_constantIbLb0EES1P_IbLb1EEEEDaS1L_S1M_EUlS1L_E_NS1_11comp_targetILNS1_3genE2ELNS1_11target_archE906ELNS1_3gpuE6ELNS1_3repE0EEENS1_30default_config_static_selectorELNS0_4arch9wavefront6targetE1EEEvSZ_,comdat
.Lfunc_end2045:
	.size	_ZN7rocprim17ROCPRIM_400000_NS6detail17trampoline_kernelINS0_13select_configILj256ELj13ELNS0_17block_load_methodE3ELS4_3ELS4_3ELNS0_20block_scan_algorithmE0ELj4294967295EEENS1_25partition_config_selectorILNS1_17partition_subalgoE3EjNS0_10empty_typeEbEEZZNS1_14partition_implILS8_3ELb0ES6_jNS0_17counting_iteratorIjlEEPS9_SE_NS0_5tupleIJPjSE_EEENSF_IJSE_SE_EEES9_SG_JZNS1_25segmented_radix_sort_implINS0_14default_configELb0EPK12hip_bfloat16PSL_PKlPlN2at6native12_GLOBAL__N_18offset_tEEE10hipError_tPvRmT1_PNSt15iterator_traitsISZ_E10value_typeET2_T3_PNS10_IS15_E10value_typeET4_jRbjT5_S1B_jjP12ihipStream_tbEUljE_EEESW_SX_SY_S15_S19_S1B_T6_T7_T9_mT8_S1D_bDpT10_ENKUlT_T0_E_clISt17integral_constantIbLb0EES1P_IbLb1EEEEDaS1L_S1M_EUlS1L_E_NS1_11comp_targetILNS1_3genE2ELNS1_11target_archE906ELNS1_3gpuE6ELNS1_3repE0EEENS1_30default_config_static_selectorELNS0_4arch9wavefront6targetE1EEEvSZ_, .Lfunc_end2045-_ZN7rocprim17ROCPRIM_400000_NS6detail17trampoline_kernelINS0_13select_configILj256ELj13ELNS0_17block_load_methodE3ELS4_3ELS4_3ELNS0_20block_scan_algorithmE0ELj4294967295EEENS1_25partition_config_selectorILNS1_17partition_subalgoE3EjNS0_10empty_typeEbEEZZNS1_14partition_implILS8_3ELb0ES6_jNS0_17counting_iteratorIjlEEPS9_SE_NS0_5tupleIJPjSE_EEENSF_IJSE_SE_EEES9_SG_JZNS1_25segmented_radix_sort_implINS0_14default_configELb0EPK12hip_bfloat16PSL_PKlPlN2at6native12_GLOBAL__N_18offset_tEEE10hipError_tPvRmT1_PNSt15iterator_traitsISZ_E10value_typeET2_T3_PNS10_IS15_E10value_typeET4_jRbjT5_S1B_jjP12ihipStream_tbEUljE_EEESW_SX_SY_S15_S19_S1B_T6_T7_T9_mT8_S1D_bDpT10_ENKUlT_T0_E_clISt17integral_constantIbLb0EES1P_IbLb1EEEEDaS1L_S1M_EUlS1L_E_NS1_11comp_targetILNS1_3genE2ELNS1_11target_archE906ELNS1_3gpuE6ELNS1_3repE0EEENS1_30default_config_static_selectorELNS0_4arch9wavefront6targetE1EEEvSZ_
                                        ; -- End function
	.set _ZN7rocprim17ROCPRIM_400000_NS6detail17trampoline_kernelINS0_13select_configILj256ELj13ELNS0_17block_load_methodE3ELS4_3ELS4_3ELNS0_20block_scan_algorithmE0ELj4294967295EEENS1_25partition_config_selectorILNS1_17partition_subalgoE3EjNS0_10empty_typeEbEEZZNS1_14partition_implILS8_3ELb0ES6_jNS0_17counting_iteratorIjlEEPS9_SE_NS0_5tupleIJPjSE_EEENSF_IJSE_SE_EEES9_SG_JZNS1_25segmented_radix_sort_implINS0_14default_configELb0EPK12hip_bfloat16PSL_PKlPlN2at6native12_GLOBAL__N_18offset_tEEE10hipError_tPvRmT1_PNSt15iterator_traitsISZ_E10value_typeET2_T3_PNS10_IS15_E10value_typeET4_jRbjT5_S1B_jjP12ihipStream_tbEUljE_EEESW_SX_SY_S15_S19_S1B_T6_T7_T9_mT8_S1D_bDpT10_ENKUlT_T0_E_clISt17integral_constantIbLb0EES1P_IbLb1EEEEDaS1L_S1M_EUlS1L_E_NS1_11comp_targetILNS1_3genE2ELNS1_11target_archE906ELNS1_3gpuE6ELNS1_3repE0EEENS1_30default_config_static_selectorELNS0_4arch9wavefront6targetE1EEEvSZ_.num_vgpr, 71
	.set _ZN7rocprim17ROCPRIM_400000_NS6detail17trampoline_kernelINS0_13select_configILj256ELj13ELNS0_17block_load_methodE3ELS4_3ELS4_3ELNS0_20block_scan_algorithmE0ELj4294967295EEENS1_25partition_config_selectorILNS1_17partition_subalgoE3EjNS0_10empty_typeEbEEZZNS1_14partition_implILS8_3ELb0ES6_jNS0_17counting_iteratorIjlEEPS9_SE_NS0_5tupleIJPjSE_EEENSF_IJSE_SE_EEES9_SG_JZNS1_25segmented_radix_sort_implINS0_14default_configELb0EPK12hip_bfloat16PSL_PKlPlN2at6native12_GLOBAL__N_18offset_tEEE10hipError_tPvRmT1_PNSt15iterator_traitsISZ_E10value_typeET2_T3_PNS10_IS15_E10value_typeET4_jRbjT5_S1B_jjP12ihipStream_tbEUljE_EEESW_SX_SY_S15_S19_S1B_T6_T7_T9_mT8_S1D_bDpT10_ENKUlT_T0_E_clISt17integral_constantIbLb0EES1P_IbLb1EEEEDaS1L_S1M_EUlS1L_E_NS1_11comp_targetILNS1_3genE2ELNS1_11target_archE906ELNS1_3gpuE6ELNS1_3repE0EEENS1_30default_config_static_selectorELNS0_4arch9wavefront6targetE1EEEvSZ_.num_agpr, 0
	.set _ZN7rocprim17ROCPRIM_400000_NS6detail17trampoline_kernelINS0_13select_configILj256ELj13ELNS0_17block_load_methodE3ELS4_3ELS4_3ELNS0_20block_scan_algorithmE0ELj4294967295EEENS1_25partition_config_selectorILNS1_17partition_subalgoE3EjNS0_10empty_typeEbEEZZNS1_14partition_implILS8_3ELb0ES6_jNS0_17counting_iteratorIjlEEPS9_SE_NS0_5tupleIJPjSE_EEENSF_IJSE_SE_EEES9_SG_JZNS1_25segmented_radix_sort_implINS0_14default_configELb0EPK12hip_bfloat16PSL_PKlPlN2at6native12_GLOBAL__N_18offset_tEEE10hipError_tPvRmT1_PNSt15iterator_traitsISZ_E10value_typeET2_T3_PNS10_IS15_E10value_typeET4_jRbjT5_S1B_jjP12ihipStream_tbEUljE_EEESW_SX_SY_S15_S19_S1B_T6_T7_T9_mT8_S1D_bDpT10_ENKUlT_T0_E_clISt17integral_constantIbLb0EES1P_IbLb1EEEEDaS1L_S1M_EUlS1L_E_NS1_11comp_targetILNS1_3genE2ELNS1_11target_archE906ELNS1_3gpuE6ELNS1_3repE0EEENS1_30default_config_static_selectorELNS0_4arch9wavefront6targetE1EEEvSZ_.numbered_sgpr, 46
	.set _ZN7rocprim17ROCPRIM_400000_NS6detail17trampoline_kernelINS0_13select_configILj256ELj13ELNS0_17block_load_methodE3ELS4_3ELS4_3ELNS0_20block_scan_algorithmE0ELj4294967295EEENS1_25partition_config_selectorILNS1_17partition_subalgoE3EjNS0_10empty_typeEbEEZZNS1_14partition_implILS8_3ELb0ES6_jNS0_17counting_iteratorIjlEEPS9_SE_NS0_5tupleIJPjSE_EEENSF_IJSE_SE_EEES9_SG_JZNS1_25segmented_radix_sort_implINS0_14default_configELb0EPK12hip_bfloat16PSL_PKlPlN2at6native12_GLOBAL__N_18offset_tEEE10hipError_tPvRmT1_PNSt15iterator_traitsISZ_E10value_typeET2_T3_PNS10_IS15_E10value_typeET4_jRbjT5_S1B_jjP12ihipStream_tbEUljE_EEESW_SX_SY_S15_S19_S1B_T6_T7_T9_mT8_S1D_bDpT10_ENKUlT_T0_E_clISt17integral_constantIbLb0EES1P_IbLb1EEEEDaS1L_S1M_EUlS1L_E_NS1_11comp_targetILNS1_3genE2ELNS1_11target_archE906ELNS1_3gpuE6ELNS1_3repE0EEENS1_30default_config_static_selectorELNS0_4arch9wavefront6targetE1EEEvSZ_.num_named_barrier, 0
	.set _ZN7rocprim17ROCPRIM_400000_NS6detail17trampoline_kernelINS0_13select_configILj256ELj13ELNS0_17block_load_methodE3ELS4_3ELS4_3ELNS0_20block_scan_algorithmE0ELj4294967295EEENS1_25partition_config_selectorILNS1_17partition_subalgoE3EjNS0_10empty_typeEbEEZZNS1_14partition_implILS8_3ELb0ES6_jNS0_17counting_iteratorIjlEEPS9_SE_NS0_5tupleIJPjSE_EEENSF_IJSE_SE_EEES9_SG_JZNS1_25segmented_radix_sort_implINS0_14default_configELb0EPK12hip_bfloat16PSL_PKlPlN2at6native12_GLOBAL__N_18offset_tEEE10hipError_tPvRmT1_PNSt15iterator_traitsISZ_E10value_typeET2_T3_PNS10_IS15_E10value_typeET4_jRbjT5_S1B_jjP12ihipStream_tbEUljE_EEESW_SX_SY_S15_S19_S1B_T6_T7_T9_mT8_S1D_bDpT10_ENKUlT_T0_E_clISt17integral_constantIbLb0EES1P_IbLb1EEEEDaS1L_S1M_EUlS1L_E_NS1_11comp_targetILNS1_3genE2ELNS1_11target_archE906ELNS1_3gpuE6ELNS1_3repE0EEENS1_30default_config_static_selectorELNS0_4arch9wavefront6targetE1EEEvSZ_.private_seg_size, 0
	.set _ZN7rocprim17ROCPRIM_400000_NS6detail17trampoline_kernelINS0_13select_configILj256ELj13ELNS0_17block_load_methodE3ELS4_3ELS4_3ELNS0_20block_scan_algorithmE0ELj4294967295EEENS1_25partition_config_selectorILNS1_17partition_subalgoE3EjNS0_10empty_typeEbEEZZNS1_14partition_implILS8_3ELb0ES6_jNS0_17counting_iteratorIjlEEPS9_SE_NS0_5tupleIJPjSE_EEENSF_IJSE_SE_EEES9_SG_JZNS1_25segmented_radix_sort_implINS0_14default_configELb0EPK12hip_bfloat16PSL_PKlPlN2at6native12_GLOBAL__N_18offset_tEEE10hipError_tPvRmT1_PNSt15iterator_traitsISZ_E10value_typeET2_T3_PNS10_IS15_E10value_typeET4_jRbjT5_S1B_jjP12ihipStream_tbEUljE_EEESW_SX_SY_S15_S19_S1B_T6_T7_T9_mT8_S1D_bDpT10_ENKUlT_T0_E_clISt17integral_constantIbLb0EES1P_IbLb1EEEEDaS1L_S1M_EUlS1L_E_NS1_11comp_targetILNS1_3genE2ELNS1_11target_archE906ELNS1_3gpuE6ELNS1_3repE0EEENS1_30default_config_static_selectorELNS0_4arch9wavefront6targetE1EEEvSZ_.uses_vcc, 1
	.set _ZN7rocprim17ROCPRIM_400000_NS6detail17trampoline_kernelINS0_13select_configILj256ELj13ELNS0_17block_load_methodE3ELS4_3ELS4_3ELNS0_20block_scan_algorithmE0ELj4294967295EEENS1_25partition_config_selectorILNS1_17partition_subalgoE3EjNS0_10empty_typeEbEEZZNS1_14partition_implILS8_3ELb0ES6_jNS0_17counting_iteratorIjlEEPS9_SE_NS0_5tupleIJPjSE_EEENSF_IJSE_SE_EEES9_SG_JZNS1_25segmented_radix_sort_implINS0_14default_configELb0EPK12hip_bfloat16PSL_PKlPlN2at6native12_GLOBAL__N_18offset_tEEE10hipError_tPvRmT1_PNSt15iterator_traitsISZ_E10value_typeET2_T3_PNS10_IS15_E10value_typeET4_jRbjT5_S1B_jjP12ihipStream_tbEUljE_EEESW_SX_SY_S15_S19_S1B_T6_T7_T9_mT8_S1D_bDpT10_ENKUlT_T0_E_clISt17integral_constantIbLb0EES1P_IbLb1EEEEDaS1L_S1M_EUlS1L_E_NS1_11comp_targetILNS1_3genE2ELNS1_11target_archE906ELNS1_3gpuE6ELNS1_3repE0EEENS1_30default_config_static_selectorELNS0_4arch9wavefront6targetE1EEEvSZ_.uses_flat_scratch, 0
	.set _ZN7rocprim17ROCPRIM_400000_NS6detail17trampoline_kernelINS0_13select_configILj256ELj13ELNS0_17block_load_methodE3ELS4_3ELS4_3ELNS0_20block_scan_algorithmE0ELj4294967295EEENS1_25partition_config_selectorILNS1_17partition_subalgoE3EjNS0_10empty_typeEbEEZZNS1_14partition_implILS8_3ELb0ES6_jNS0_17counting_iteratorIjlEEPS9_SE_NS0_5tupleIJPjSE_EEENSF_IJSE_SE_EEES9_SG_JZNS1_25segmented_radix_sort_implINS0_14default_configELb0EPK12hip_bfloat16PSL_PKlPlN2at6native12_GLOBAL__N_18offset_tEEE10hipError_tPvRmT1_PNSt15iterator_traitsISZ_E10value_typeET2_T3_PNS10_IS15_E10value_typeET4_jRbjT5_S1B_jjP12ihipStream_tbEUljE_EEESW_SX_SY_S15_S19_S1B_T6_T7_T9_mT8_S1D_bDpT10_ENKUlT_T0_E_clISt17integral_constantIbLb0EES1P_IbLb1EEEEDaS1L_S1M_EUlS1L_E_NS1_11comp_targetILNS1_3genE2ELNS1_11target_archE906ELNS1_3gpuE6ELNS1_3repE0EEENS1_30default_config_static_selectorELNS0_4arch9wavefront6targetE1EEEvSZ_.has_dyn_sized_stack, 0
	.set _ZN7rocprim17ROCPRIM_400000_NS6detail17trampoline_kernelINS0_13select_configILj256ELj13ELNS0_17block_load_methodE3ELS4_3ELS4_3ELNS0_20block_scan_algorithmE0ELj4294967295EEENS1_25partition_config_selectorILNS1_17partition_subalgoE3EjNS0_10empty_typeEbEEZZNS1_14partition_implILS8_3ELb0ES6_jNS0_17counting_iteratorIjlEEPS9_SE_NS0_5tupleIJPjSE_EEENSF_IJSE_SE_EEES9_SG_JZNS1_25segmented_radix_sort_implINS0_14default_configELb0EPK12hip_bfloat16PSL_PKlPlN2at6native12_GLOBAL__N_18offset_tEEE10hipError_tPvRmT1_PNSt15iterator_traitsISZ_E10value_typeET2_T3_PNS10_IS15_E10value_typeET4_jRbjT5_S1B_jjP12ihipStream_tbEUljE_EEESW_SX_SY_S15_S19_S1B_T6_T7_T9_mT8_S1D_bDpT10_ENKUlT_T0_E_clISt17integral_constantIbLb0EES1P_IbLb1EEEEDaS1L_S1M_EUlS1L_E_NS1_11comp_targetILNS1_3genE2ELNS1_11target_archE906ELNS1_3gpuE6ELNS1_3repE0EEENS1_30default_config_static_selectorELNS0_4arch9wavefront6targetE1EEEvSZ_.has_recursion, 0
	.set _ZN7rocprim17ROCPRIM_400000_NS6detail17trampoline_kernelINS0_13select_configILj256ELj13ELNS0_17block_load_methodE3ELS4_3ELS4_3ELNS0_20block_scan_algorithmE0ELj4294967295EEENS1_25partition_config_selectorILNS1_17partition_subalgoE3EjNS0_10empty_typeEbEEZZNS1_14partition_implILS8_3ELb0ES6_jNS0_17counting_iteratorIjlEEPS9_SE_NS0_5tupleIJPjSE_EEENSF_IJSE_SE_EEES9_SG_JZNS1_25segmented_radix_sort_implINS0_14default_configELb0EPK12hip_bfloat16PSL_PKlPlN2at6native12_GLOBAL__N_18offset_tEEE10hipError_tPvRmT1_PNSt15iterator_traitsISZ_E10value_typeET2_T3_PNS10_IS15_E10value_typeET4_jRbjT5_S1B_jjP12ihipStream_tbEUljE_EEESW_SX_SY_S15_S19_S1B_T6_T7_T9_mT8_S1D_bDpT10_ENKUlT_T0_E_clISt17integral_constantIbLb0EES1P_IbLb1EEEEDaS1L_S1M_EUlS1L_E_NS1_11comp_targetILNS1_3genE2ELNS1_11target_archE906ELNS1_3gpuE6ELNS1_3repE0EEENS1_30default_config_static_selectorELNS0_4arch9wavefront6targetE1EEEvSZ_.has_indirect_call, 0
	.section	.AMDGPU.csdata,"",@progbits
; Kernel info:
; codeLenInByte = 7548
; TotalNumSgprs: 50
; NumVgprs: 71
; ScratchSize: 0
; MemoryBound: 0
; FloatMode: 240
; IeeeMode: 1
; LDSByteSize: 13320 bytes/workgroup (compile time only)
; SGPRBlocks: 12
; VGPRBlocks: 17
; NumSGPRsForWavesPerEU: 102
; NumVGPRsForWavesPerEU: 71
; Occupancy: 3
; WaveLimiterHint : 0
; COMPUTE_PGM_RSRC2:SCRATCH_EN: 0
; COMPUTE_PGM_RSRC2:USER_SGPR: 6
; COMPUTE_PGM_RSRC2:TRAP_HANDLER: 0
; COMPUTE_PGM_RSRC2:TGID_X_EN: 1
; COMPUTE_PGM_RSRC2:TGID_Y_EN: 0
; COMPUTE_PGM_RSRC2:TGID_Z_EN: 0
; COMPUTE_PGM_RSRC2:TIDIG_COMP_CNT: 0
	.section	.text._ZN7rocprim17ROCPRIM_400000_NS6detail17trampoline_kernelINS0_13select_configILj256ELj13ELNS0_17block_load_methodE3ELS4_3ELS4_3ELNS0_20block_scan_algorithmE0ELj4294967295EEENS1_25partition_config_selectorILNS1_17partition_subalgoE3EjNS0_10empty_typeEbEEZZNS1_14partition_implILS8_3ELb0ES6_jNS0_17counting_iteratorIjlEEPS9_SE_NS0_5tupleIJPjSE_EEENSF_IJSE_SE_EEES9_SG_JZNS1_25segmented_radix_sort_implINS0_14default_configELb0EPK12hip_bfloat16PSL_PKlPlN2at6native12_GLOBAL__N_18offset_tEEE10hipError_tPvRmT1_PNSt15iterator_traitsISZ_E10value_typeET2_T3_PNS10_IS15_E10value_typeET4_jRbjT5_S1B_jjP12ihipStream_tbEUljE_EEESW_SX_SY_S15_S19_S1B_T6_T7_T9_mT8_S1D_bDpT10_ENKUlT_T0_E_clISt17integral_constantIbLb0EES1P_IbLb1EEEEDaS1L_S1M_EUlS1L_E_NS1_11comp_targetILNS1_3genE10ELNS1_11target_archE1200ELNS1_3gpuE4ELNS1_3repE0EEENS1_30default_config_static_selectorELNS0_4arch9wavefront6targetE1EEEvSZ_,"axG",@progbits,_ZN7rocprim17ROCPRIM_400000_NS6detail17trampoline_kernelINS0_13select_configILj256ELj13ELNS0_17block_load_methodE3ELS4_3ELS4_3ELNS0_20block_scan_algorithmE0ELj4294967295EEENS1_25partition_config_selectorILNS1_17partition_subalgoE3EjNS0_10empty_typeEbEEZZNS1_14partition_implILS8_3ELb0ES6_jNS0_17counting_iteratorIjlEEPS9_SE_NS0_5tupleIJPjSE_EEENSF_IJSE_SE_EEES9_SG_JZNS1_25segmented_radix_sort_implINS0_14default_configELb0EPK12hip_bfloat16PSL_PKlPlN2at6native12_GLOBAL__N_18offset_tEEE10hipError_tPvRmT1_PNSt15iterator_traitsISZ_E10value_typeET2_T3_PNS10_IS15_E10value_typeET4_jRbjT5_S1B_jjP12ihipStream_tbEUljE_EEESW_SX_SY_S15_S19_S1B_T6_T7_T9_mT8_S1D_bDpT10_ENKUlT_T0_E_clISt17integral_constantIbLb0EES1P_IbLb1EEEEDaS1L_S1M_EUlS1L_E_NS1_11comp_targetILNS1_3genE10ELNS1_11target_archE1200ELNS1_3gpuE4ELNS1_3repE0EEENS1_30default_config_static_selectorELNS0_4arch9wavefront6targetE1EEEvSZ_,comdat
	.globl	_ZN7rocprim17ROCPRIM_400000_NS6detail17trampoline_kernelINS0_13select_configILj256ELj13ELNS0_17block_load_methodE3ELS4_3ELS4_3ELNS0_20block_scan_algorithmE0ELj4294967295EEENS1_25partition_config_selectorILNS1_17partition_subalgoE3EjNS0_10empty_typeEbEEZZNS1_14partition_implILS8_3ELb0ES6_jNS0_17counting_iteratorIjlEEPS9_SE_NS0_5tupleIJPjSE_EEENSF_IJSE_SE_EEES9_SG_JZNS1_25segmented_radix_sort_implINS0_14default_configELb0EPK12hip_bfloat16PSL_PKlPlN2at6native12_GLOBAL__N_18offset_tEEE10hipError_tPvRmT1_PNSt15iterator_traitsISZ_E10value_typeET2_T3_PNS10_IS15_E10value_typeET4_jRbjT5_S1B_jjP12ihipStream_tbEUljE_EEESW_SX_SY_S15_S19_S1B_T6_T7_T9_mT8_S1D_bDpT10_ENKUlT_T0_E_clISt17integral_constantIbLb0EES1P_IbLb1EEEEDaS1L_S1M_EUlS1L_E_NS1_11comp_targetILNS1_3genE10ELNS1_11target_archE1200ELNS1_3gpuE4ELNS1_3repE0EEENS1_30default_config_static_selectorELNS0_4arch9wavefront6targetE1EEEvSZ_ ; -- Begin function _ZN7rocprim17ROCPRIM_400000_NS6detail17trampoline_kernelINS0_13select_configILj256ELj13ELNS0_17block_load_methodE3ELS4_3ELS4_3ELNS0_20block_scan_algorithmE0ELj4294967295EEENS1_25partition_config_selectorILNS1_17partition_subalgoE3EjNS0_10empty_typeEbEEZZNS1_14partition_implILS8_3ELb0ES6_jNS0_17counting_iteratorIjlEEPS9_SE_NS0_5tupleIJPjSE_EEENSF_IJSE_SE_EEES9_SG_JZNS1_25segmented_radix_sort_implINS0_14default_configELb0EPK12hip_bfloat16PSL_PKlPlN2at6native12_GLOBAL__N_18offset_tEEE10hipError_tPvRmT1_PNSt15iterator_traitsISZ_E10value_typeET2_T3_PNS10_IS15_E10value_typeET4_jRbjT5_S1B_jjP12ihipStream_tbEUljE_EEESW_SX_SY_S15_S19_S1B_T6_T7_T9_mT8_S1D_bDpT10_ENKUlT_T0_E_clISt17integral_constantIbLb0EES1P_IbLb1EEEEDaS1L_S1M_EUlS1L_E_NS1_11comp_targetILNS1_3genE10ELNS1_11target_archE1200ELNS1_3gpuE4ELNS1_3repE0EEENS1_30default_config_static_selectorELNS0_4arch9wavefront6targetE1EEEvSZ_
	.p2align	8
	.type	_ZN7rocprim17ROCPRIM_400000_NS6detail17trampoline_kernelINS0_13select_configILj256ELj13ELNS0_17block_load_methodE3ELS4_3ELS4_3ELNS0_20block_scan_algorithmE0ELj4294967295EEENS1_25partition_config_selectorILNS1_17partition_subalgoE3EjNS0_10empty_typeEbEEZZNS1_14partition_implILS8_3ELb0ES6_jNS0_17counting_iteratorIjlEEPS9_SE_NS0_5tupleIJPjSE_EEENSF_IJSE_SE_EEES9_SG_JZNS1_25segmented_radix_sort_implINS0_14default_configELb0EPK12hip_bfloat16PSL_PKlPlN2at6native12_GLOBAL__N_18offset_tEEE10hipError_tPvRmT1_PNSt15iterator_traitsISZ_E10value_typeET2_T3_PNS10_IS15_E10value_typeET4_jRbjT5_S1B_jjP12ihipStream_tbEUljE_EEESW_SX_SY_S15_S19_S1B_T6_T7_T9_mT8_S1D_bDpT10_ENKUlT_T0_E_clISt17integral_constantIbLb0EES1P_IbLb1EEEEDaS1L_S1M_EUlS1L_E_NS1_11comp_targetILNS1_3genE10ELNS1_11target_archE1200ELNS1_3gpuE4ELNS1_3repE0EEENS1_30default_config_static_selectorELNS0_4arch9wavefront6targetE1EEEvSZ_,@function
_ZN7rocprim17ROCPRIM_400000_NS6detail17trampoline_kernelINS0_13select_configILj256ELj13ELNS0_17block_load_methodE3ELS4_3ELS4_3ELNS0_20block_scan_algorithmE0ELj4294967295EEENS1_25partition_config_selectorILNS1_17partition_subalgoE3EjNS0_10empty_typeEbEEZZNS1_14partition_implILS8_3ELb0ES6_jNS0_17counting_iteratorIjlEEPS9_SE_NS0_5tupleIJPjSE_EEENSF_IJSE_SE_EEES9_SG_JZNS1_25segmented_radix_sort_implINS0_14default_configELb0EPK12hip_bfloat16PSL_PKlPlN2at6native12_GLOBAL__N_18offset_tEEE10hipError_tPvRmT1_PNSt15iterator_traitsISZ_E10value_typeET2_T3_PNS10_IS15_E10value_typeET4_jRbjT5_S1B_jjP12ihipStream_tbEUljE_EEESW_SX_SY_S15_S19_S1B_T6_T7_T9_mT8_S1D_bDpT10_ENKUlT_T0_E_clISt17integral_constantIbLb0EES1P_IbLb1EEEEDaS1L_S1M_EUlS1L_E_NS1_11comp_targetILNS1_3genE10ELNS1_11target_archE1200ELNS1_3gpuE4ELNS1_3repE0EEENS1_30default_config_static_selectorELNS0_4arch9wavefront6targetE1EEEvSZ_: ; @_ZN7rocprim17ROCPRIM_400000_NS6detail17trampoline_kernelINS0_13select_configILj256ELj13ELNS0_17block_load_methodE3ELS4_3ELS4_3ELNS0_20block_scan_algorithmE0ELj4294967295EEENS1_25partition_config_selectorILNS1_17partition_subalgoE3EjNS0_10empty_typeEbEEZZNS1_14partition_implILS8_3ELb0ES6_jNS0_17counting_iteratorIjlEEPS9_SE_NS0_5tupleIJPjSE_EEENSF_IJSE_SE_EEES9_SG_JZNS1_25segmented_radix_sort_implINS0_14default_configELb0EPK12hip_bfloat16PSL_PKlPlN2at6native12_GLOBAL__N_18offset_tEEE10hipError_tPvRmT1_PNSt15iterator_traitsISZ_E10value_typeET2_T3_PNS10_IS15_E10value_typeET4_jRbjT5_S1B_jjP12ihipStream_tbEUljE_EEESW_SX_SY_S15_S19_S1B_T6_T7_T9_mT8_S1D_bDpT10_ENKUlT_T0_E_clISt17integral_constantIbLb0EES1P_IbLb1EEEEDaS1L_S1M_EUlS1L_E_NS1_11comp_targetILNS1_3genE10ELNS1_11target_archE1200ELNS1_3gpuE4ELNS1_3repE0EEENS1_30default_config_static_selectorELNS0_4arch9wavefront6targetE1EEEvSZ_
; %bb.0:
	.section	.rodata,"a",@progbits
	.p2align	6, 0x0
	.amdhsa_kernel _ZN7rocprim17ROCPRIM_400000_NS6detail17trampoline_kernelINS0_13select_configILj256ELj13ELNS0_17block_load_methodE3ELS4_3ELS4_3ELNS0_20block_scan_algorithmE0ELj4294967295EEENS1_25partition_config_selectorILNS1_17partition_subalgoE3EjNS0_10empty_typeEbEEZZNS1_14partition_implILS8_3ELb0ES6_jNS0_17counting_iteratorIjlEEPS9_SE_NS0_5tupleIJPjSE_EEENSF_IJSE_SE_EEES9_SG_JZNS1_25segmented_radix_sort_implINS0_14default_configELb0EPK12hip_bfloat16PSL_PKlPlN2at6native12_GLOBAL__N_18offset_tEEE10hipError_tPvRmT1_PNSt15iterator_traitsISZ_E10value_typeET2_T3_PNS10_IS15_E10value_typeET4_jRbjT5_S1B_jjP12ihipStream_tbEUljE_EEESW_SX_SY_S15_S19_S1B_T6_T7_T9_mT8_S1D_bDpT10_ENKUlT_T0_E_clISt17integral_constantIbLb0EES1P_IbLb1EEEEDaS1L_S1M_EUlS1L_E_NS1_11comp_targetILNS1_3genE10ELNS1_11target_archE1200ELNS1_3gpuE4ELNS1_3repE0EEENS1_30default_config_static_selectorELNS0_4arch9wavefront6targetE1EEEvSZ_
		.amdhsa_group_segment_fixed_size 0
		.amdhsa_private_segment_fixed_size 0
		.amdhsa_kernarg_size 152
		.amdhsa_user_sgpr_count 6
		.amdhsa_user_sgpr_private_segment_buffer 1
		.amdhsa_user_sgpr_dispatch_ptr 0
		.amdhsa_user_sgpr_queue_ptr 0
		.amdhsa_user_sgpr_kernarg_segment_ptr 1
		.amdhsa_user_sgpr_dispatch_id 0
		.amdhsa_user_sgpr_flat_scratch_init 0
		.amdhsa_user_sgpr_private_segment_size 0
		.amdhsa_uses_dynamic_stack 0
		.amdhsa_system_sgpr_private_segment_wavefront_offset 0
		.amdhsa_system_sgpr_workgroup_id_x 1
		.amdhsa_system_sgpr_workgroup_id_y 0
		.amdhsa_system_sgpr_workgroup_id_z 0
		.amdhsa_system_sgpr_workgroup_info 0
		.amdhsa_system_vgpr_workitem_id 0
		.amdhsa_next_free_vgpr 1
		.amdhsa_next_free_sgpr 0
		.amdhsa_reserve_vcc 0
		.amdhsa_reserve_flat_scratch 0
		.amdhsa_float_round_mode_32 0
		.amdhsa_float_round_mode_16_64 0
		.amdhsa_float_denorm_mode_32 3
		.amdhsa_float_denorm_mode_16_64 3
		.amdhsa_dx10_clamp 1
		.amdhsa_ieee_mode 1
		.amdhsa_fp16_overflow 0
		.amdhsa_exception_fp_ieee_invalid_op 0
		.amdhsa_exception_fp_denorm_src 0
		.amdhsa_exception_fp_ieee_div_zero 0
		.amdhsa_exception_fp_ieee_overflow 0
		.amdhsa_exception_fp_ieee_underflow 0
		.amdhsa_exception_fp_ieee_inexact 0
		.amdhsa_exception_int_div_zero 0
	.end_amdhsa_kernel
	.section	.text._ZN7rocprim17ROCPRIM_400000_NS6detail17trampoline_kernelINS0_13select_configILj256ELj13ELNS0_17block_load_methodE3ELS4_3ELS4_3ELNS0_20block_scan_algorithmE0ELj4294967295EEENS1_25partition_config_selectorILNS1_17partition_subalgoE3EjNS0_10empty_typeEbEEZZNS1_14partition_implILS8_3ELb0ES6_jNS0_17counting_iteratorIjlEEPS9_SE_NS0_5tupleIJPjSE_EEENSF_IJSE_SE_EEES9_SG_JZNS1_25segmented_radix_sort_implINS0_14default_configELb0EPK12hip_bfloat16PSL_PKlPlN2at6native12_GLOBAL__N_18offset_tEEE10hipError_tPvRmT1_PNSt15iterator_traitsISZ_E10value_typeET2_T3_PNS10_IS15_E10value_typeET4_jRbjT5_S1B_jjP12ihipStream_tbEUljE_EEESW_SX_SY_S15_S19_S1B_T6_T7_T9_mT8_S1D_bDpT10_ENKUlT_T0_E_clISt17integral_constantIbLb0EES1P_IbLb1EEEEDaS1L_S1M_EUlS1L_E_NS1_11comp_targetILNS1_3genE10ELNS1_11target_archE1200ELNS1_3gpuE4ELNS1_3repE0EEENS1_30default_config_static_selectorELNS0_4arch9wavefront6targetE1EEEvSZ_,"axG",@progbits,_ZN7rocprim17ROCPRIM_400000_NS6detail17trampoline_kernelINS0_13select_configILj256ELj13ELNS0_17block_load_methodE3ELS4_3ELS4_3ELNS0_20block_scan_algorithmE0ELj4294967295EEENS1_25partition_config_selectorILNS1_17partition_subalgoE3EjNS0_10empty_typeEbEEZZNS1_14partition_implILS8_3ELb0ES6_jNS0_17counting_iteratorIjlEEPS9_SE_NS0_5tupleIJPjSE_EEENSF_IJSE_SE_EEES9_SG_JZNS1_25segmented_radix_sort_implINS0_14default_configELb0EPK12hip_bfloat16PSL_PKlPlN2at6native12_GLOBAL__N_18offset_tEEE10hipError_tPvRmT1_PNSt15iterator_traitsISZ_E10value_typeET2_T3_PNS10_IS15_E10value_typeET4_jRbjT5_S1B_jjP12ihipStream_tbEUljE_EEESW_SX_SY_S15_S19_S1B_T6_T7_T9_mT8_S1D_bDpT10_ENKUlT_T0_E_clISt17integral_constantIbLb0EES1P_IbLb1EEEEDaS1L_S1M_EUlS1L_E_NS1_11comp_targetILNS1_3genE10ELNS1_11target_archE1200ELNS1_3gpuE4ELNS1_3repE0EEENS1_30default_config_static_selectorELNS0_4arch9wavefront6targetE1EEEvSZ_,comdat
.Lfunc_end2046:
	.size	_ZN7rocprim17ROCPRIM_400000_NS6detail17trampoline_kernelINS0_13select_configILj256ELj13ELNS0_17block_load_methodE3ELS4_3ELS4_3ELNS0_20block_scan_algorithmE0ELj4294967295EEENS1_25partition_config_selectorILNS1_17partition_subalgoE3EjNS0_10empty_typeEbEEZZNS1_14partition_implILS8_3ELb0ES6_jNS0_17counting_iteratorIjlEEPS9_SE_NS0_5tupleIJPjSE_EEENSF_IJSE_SE_EEES9_SG_JZNS1_25segmented_radix_sort_implINS0_14default_configELb0EPK12hip_bfloat16PSL_PKlPlN2at6native12_GLOBAL__N_18offset_tEEE10hipError_tPvRmT1_PNSt15iterator_traitsISZ_E10value_typeET2_T3_PNS10_IS15_E10value_typeET4_jRbjT5_S1B_jjP12ihipStream_tbEUljE_EEESW_SX_SY_S15_S19_S1B_T6_T7_T9_mT8_S1D_bDpT10_ENKUlT_T0_E_clISt17integral_constantIbLb0EES1P_IbLb1EEEEDaS1L_S1M_EUlS1L_E_NS1_11comp_targetILNS1_3genE10ELNS1_11target_archE1200ELNS1_3gpuE4ELNS1_3repE0EEENS1_30default_config_static_selectorELNS0_4arch9wavefront6targetE1EEEvSZ_, .Lfunc_end2046-_ZN7rocprim17ROCPRIM_400000_NS6detail17trampoline_kernelINS0_13select_configILj256ELj13ELNS0_17block_load_methodE3ELS4_3ELS4_3ELNS0_20block_scan_algorithmE0ELj4294967295EEENS1_25partition_config_selectorILNS1_17partition_subalgoE3EjNS0_10empty_typeEbEEZZNS1_14partition_implILS8_3ELb0ES6_jNS0_17counting_iteratorIjlEEPS9_SE_NS0_5tupleIJPjSE_EEENSF_IJSE_SE_EEES9_SG_JZNS1_25segmented_radix_sort_implINS0_14default_configELb0EPK12hip_bfloat16PSL_PKlPlN2at6native12_GLOBAL__N_18offset_tEEE10hipError_tPvRmT1_PNSt15iterator_traitsISZ_E10value_typeET2_T3_PNS10_IS15_E10value_typeET4_jRbjT5_S1B_jjP12ihipStream_tbEUljE_EEESW_SX_SY_S15_S19_S1B_T6_T7_T9_mT8_S1D_bDpT10_ENKUlT_T0_E_clISt17integral_constantIbLb0EES1P_IbLb1EEEEDaS1L_S1M_EUlS1L_E_NS1_11comp_targetILNS1_3genE10ELNS1_11target_archE1200ELNS1_3gpuE4ELNS1_3repE0EEENS1_30default_config_static_selectorELNS0_4arch9wavefront6targetE1EEEvSZ_
                                        ; -- End function
	.set _ZN7rocprim17ROCPRIM_400000_NS6detail17trampoline_kernelINS0_13select_configILj256ELj13ELNS0_17block_load_methodE3ELS4_3ELS4_3ELNS0_20block_scan_algorithmE0ELj4294967295EEENS1_25partition_config_selectorILNS1_17partition_subalgoE3EjNS0_10empty_typeEbEEZZNS1_14partition_implILS8_3ELb0ES6_jNS0_17counting_iteratorIjlEEPS9_SE_NS0_5tupleIJPjSE_EEENSF_IJSE_SE_EEES9_SG_JZNS1_25segmented_radix_sort_implINS0_14default_configELb0EPK12hip_bfloat16PSL_PKlPlN2at6native12_GLOBAL__N_18offset_tEEE10hipError_tPvRmT1_PNSt15iterator_traitsISZ_E10value_typeET2_T3_PNS10_IS15_E10value_typeET4_jRbjT5_S1B_jjP12ihipStream_tbEUljE_EEESW_SX_SY_S15_S19_S1B_T6_T7_T9_mT8_S1D_bDpT10_ENKUlT_T0_E_clISt17integral_constantIbLb0EES1P_IbLb1EEEEDaS1L_S1M_EUlS1L_E_NS1_11comp_targetILNS1_3genE10ELNS1_11target_archE1200ELNS1_3gpuE4ELNS1_3repE0EEENS1_30default_config_static_selectorELNS0_4arch9wavefront6targetE1EEEvSZ_.num_vgpr, 0
	.set _ZN7rocprim17ROCPRIM_400000_NS6detail17trampoline_kernelINS0_13select_configILj256ELj13ELNS0_17block_load_methodE3ELS4_3ELS4_3ELNS0_20block_scan_algorithmE0ELj4294967295EEENS1_25partition_config_selectorILNS1_17partition_subalgoE3EjNS0_10empty_typeEbEEZZNS1_14partition_implILS8_3ELb0ES6_jNS0_17counting_iteratorIjlEEPS9_SE_NS0_5tupleIJPjSE_EEENSF_IJSE_SE_EEES9_SG_JZNS1_25segmented_radix_sort_implINS0_14default_configELb0EPK12hip_bfloat16PSL_PKlPlN2at6native12_GLOBAL__N_18offset_tEEE10hipError_tPvRmT1_PNSt15iterator_traitsISZ_E10value_typeET2_T3_PNS10_IS15_E10value_typeET4_jRbjT5_S1B_jjP12ihipStream_tbEUljE_EEESW_SX_SY_S15_S19_S1B_T6_T7_T9_mT8_S1D_bDpT10_ENKUlT_T0_E_clISt17integral_constantIbLb0EES1P_IbLb1EEEEDaS1L_S1M_EUlS1L_E_NS1_11comp_targetILNS1_3genE10ELNS1_11target_archE1200ELNS1_3gpuE4ELNS1_3repE0EEENS1_30default_config_static_selectorELNS0_4arch9wavefront6targetE1EEEvSZ_.num_agpr, 0
	.set _ZN7rocprim17ROCPRIM_400000_NS6detail17trampoline_kernelINS0_13select_configILj256ELj13ELNS0_17block_load_methodE3ELS4_3ELS4_3ELNS0_20block_scan_algorithmE0ELj4294967295EEENS1_25partition_config_selectorILNS1_17partition_subalgoE3EjNS0_10empty_typeEbEEZZNS1_14partition_implILS8_3ELb0ES6_jNS0_17counting_iteratorIjlEEPS9_SE_NS0_5tupleIJPjSE_EEENSF_IJSE_SE_EEES9_SG_JZNS1_25segmented_radix_sort_implINS0_14default_configELb0EPK12hip_bfloat16PSL_PKlPlN2at6native12_GLOBAL__N_18offset_tEEE10hipError_tPvRmT1_PNSt15iterator_traitsISZ_E10value_typeET2_T3_PNS10_IS15_E10value_typeET4_jRbjT5_S1B_jjP12ihipStream_tbEUljE_EEESW_SX_SY_S15_S19_S1B_T6_T7_T9_mT8_S1D_bDpT10_ENKUlT_T0_E_clISt17integral_constantIbLb0EES1P_IbLb1EEEEDaS1L_S1M_EUlS1L_E_NS1_11comp_targetILNS1_3genE10ELNS1_11target_archE1200ELNS1_3gpuE4ELNS1_3repE0EEENS1_30default_config_static_selectorELNS0_4arch9wavefront6targetE1EEEvSZ_.numbered_sgpr, 0
	.set _ZN7rocprim17ROCPRIM_400000_NS6detail17trampoline_kernelINS0_13select_configILj256ELj13ELNS0_17block_load_methodE3ELS4_3ELS4_3ELNS0_20block_scan_algorithmE0ELj4294967295EEENS1_25partition_config_selectorILNS1_17partition_subalgoE3EjNS0_10empty_typeEbEEZZNS1_14partition_implILS8_3ELb0ES6_jNS0_17counting_iteratorIjlEEPS9_SE_NS0_5tupleIJPjSE_EEENSF_IJSE_SE_EEES9_SG_JZNS1_25segmented_radix_sort_implINS0_14default_configELb0EPK12hip_bfloat16PSL_PKlPlN2at6native12_GLOBAL__N_18offset_tEEE10hipError_tPvRmT1_PNSt15iterator_traitsISZ_E10value_typeET2_T3_PNS10_IS15_E10value_typeET4_jRbjT5_S1B_jjP12ihipStream_tbEUljE_EEESW_SX_SY_S15_S19_S1B_T6_T7_T9_mT8_S1D_bDpT10_ENKUlT_T0_E_clISt17integral_constantIbLb0EES1P_IbLb1EEEEDaS1L_S1M_EUlS1L_E_NS1_11comp_targetILNS1_3genE10ELNS1_11target_archE1200ELNS1_3gpuE4ELNS1_3repE0EEENS1_30default_config_static_selectorELNS0_4arch9wavefront6targetE1EEEvSZ_.num_named_barrier, 0
	.set _ZN7rocprim17ROCPRIM_400000_NS6detail17trampoline_kernelINS0_13select_configILj256ELj13ELNS0_17block_load_methodE3ELS4_3ELS4_3ELNS0_20block_scan_algorithmE0ELj4294967295EEENS1_25partition_config_selectorILNS1_17partition_subalgoE3EjNS0_10empty_typeEbEEZZNS1_14partition_implILS8_3ELb0ES6_jNS0_17counting_iteratorIjlEEPS9_SE_NS0_5tupleIJPjSE_EEENSF_IJSE_SE_EEES9_SG_JZNS1_25segmented_radix_sort_implINS0_14default_configELb0EPK12hip_bfloat16PSL_PKlPlN2at6native12_GLOBAL__N_18offset_tEEE10hipError_tPvRmT1_PNSt15iterator_traitsISZ_E10value_typeET2_T3_PNS10_IS15_E10value_typeET4_jRbjT5_S1B_jjP12ihipStream_tbEUljE_EEESW_SX_SY_S15_S19_S1B_T6_T7_T9_mT8_S1D_bDpT10_ENKUlT_T0_E_clISt17integral_constantIbLb0EES1P_IbLb1EEEEDaS1L_S1M_EUlS1L_E_NS1_11comp_targetILNS1_3genE10ELNS1_11target_archE1200ELNS1_3gpuE4ELNS1_3repE0EEENS1_30default_config_static_selectorELNS0_4arch9wavefront6targetE1EEEvSZ_.private_seg_size, 0
	.set _ZN7rocprim17ROCPRIM_400000_NS6detail17trampoline_kernelINS0_13select_configILj256ELj13ELNS0_17block_load_methodE3ELS4_3ELS4_3ELNS0_20block_scan_algorithmE0ELj4294967295EEENS1_25partition_config_selectorILNS1_17partition_subalgoE3EjNS0_10empty_typeEbEEZZNS1_14partition_implILS8_3ELb0ES6_jNS0_17counting_iteratorIjlEEPS9_SE_NS0_5tupleIJPjSE_EEENSF_IJSE_SE_EEES9_SG_JZNS1_25segmented_radix_sort_implINS0_14default_configELb0EPK12hip_bfloat16PSL_PKlPlN2at6native12_GLOBAL__N_18offset_tEEE10hipError_tPvRmT1_PNSt15iterator_traitsISZ_E10value_typeET2_T3_PNS10_IS15_E10value_typeET4_jRbjT5_S1B_jjP12ihipStream_tbEUljE_EEESW_SX_SY_S15_S19_S1B_T6_T7_T9_mT8_S1D_bDpT10_ENKUlT_T0_E_clISt17integral_constantIbLb0EES1P_IbLb1EEEEDaS1L_S1M_EUlS1L_E_NS1_11comp_targetILNS1_3genE10ELNS1_11target_archE1200ELNS1_3gpuE4ELNS1_3repE0EEENS1_30default_config_static_selectorELNS0_4arch9wavefront6targetE1EEEvSZ_.uses_vcc, 0
	.set _ZN7rocprim17ROCPRIM_400000_NS6detail17trampoline_kernelINS0_13select_configILj256ELj13ELNS0_17block_load_methodE3ELS4_3ELS4_3ELNS0_20block_scan_algorithmE0ELj4294967295EEENS1_25partition_config_selectorILNS1_17partition_subalgoE3EjNS0_10empty_typeEbEEZZNS1_14partition_implILS8_3ELb0ES6_jNS0_17counting_iteratorIjlEEPS9_SE_NS0_5tupleIJPjSE_EEENSF_IJSE_SE_EEES9_SG_JZNS1_25segmented_radix_sort_implINS0_14default_configELb0EPK12hip_bfloat16PSL_PKlPlN2at6native12_GLOBAL__N_18offset_tEEE10hipError_tPvRmT1_PNSt15iterator_traitsISZ_E10value_typeET2_T3_PNS10_IS15_E10value_typeET4_jRbjT5_S1B_jjP12ihipStream_tbEUljE_EEESW_SX_SY_S15_S19_S1B_T6_T7_T9_mT8_S1D_bDpT10_ENKUlT_T0_E_clISt17integral_constantIbLb0EES1P_IbLb1EEEEDaS1L_S1M_EUlS1L_E_NS1_11comp_targetILNS1_3genE10ELNS1_11target_archE1200ELNS1_3gpuE4ELNS1_3repE0EEENS1_30default_config_static_selectorELNS0_4arch9wavefront6targetE1EEEvSZ_.uses_flat_scratch, 0
	.set _ZN7rocprim17ROCPRIM_400000_NS6detail17trampoline_kernelINS0_13select_configILj256ELj13ELNS0_17block_load_methodE3ELS4_3ELS4_3ELNS0_20block_scan_algorithmE0ELj4294967295EEENS1_25partition_config_selectorILNS1_17partition_subalgoE3EjNS0_10empty_typeEbEEZZNS1_14partition_implILS8_3ELb0ES6_jNS0_17counting_iteratorIjlEEPS9_SE_NS0_5tupleIJPjSE_EEENSF_IJSE_SE_EEES9_SG_JZNS1_25segmented_radix_sort_implINS0_14default_configELb0EPK12hip_bfloat16PSL_PKlPlN2at6native12_GLOBAL__N_18offset_tEEE10hipError_tPvRmT1_PNSt15iterator_traitsISZ_E10value_typeET2_T3_PNS10_IS15_E10value_typeET4_jRbjT5_S1B_jjP12ihipStream_tbEUljE_EEESW_SX_SY_S15_S19_S1B_T6_T7_T9_mT8_S1D_bDpT10_ENKUlT_T0_E_clISt17integral_constantIbLb0EES1P_IbLb1EEEEDaS1L_S1M_EUlS1L_E_NS1_11comp_targetILNS1_3genE10ELNS1_11target_archE1200ELNS1_3gpuE4ELNS1_3repE0EEENS1_30default_config_static_selectorELNS0_4arch9wavefront6targetE1EEEvSZ_.has_dyn_sized_stack, 0
	.set _ZN7rocprim17ROCPRIM_400000_NS6detail17trampoline_kernelINS0_13select_configILj256ELj13ELNS0_17block_load_methodE3ELS4_3ELS4_3ELNS0_20block_scan_algorithmE0ELj4294967295EEENS1_25partition_config_selectorILNS1_17partition_subalgoE3EjNS0_10empty_typeEbEEZZNS1_14partition_implILS8_3ELb0ES6_jNS0_17counting_iteratorIjlEEPS9_SE_NS0_5tupleIJPjSE_EEENSF_IJSE_SE_EEES9_SG_JZNS1_25segmented_radix_sort_implINS0_14default_configELb0EPK12hip_bfloat16PSL_PKlPlN2at6native12_GLOBAL__N_18offset_tEEE10hipError_tPvRmT1_PNSt15iterator_traitsISZ_E10value_typeET2_T3_PNS10_IS15_E10value_typeET4_jRbjT5_S1B_jjP12ihipStream_tbEUljE_EEESW_SX_SY_S15_S19_S1B_T6_T7_T9_mT8_S1D_bDpT10_ENKUlT_T0_E_clISt17integral_constantIbLb0EES1P_IbLb1EEEEDaS1L_S1M_EUlS1L_E_NS1_11comp_targetILNS1_3genE10ELNS1_11target_archE1200ELNS1_3gpuE4ELNS1_3repE0EEENS1_30default_config_static_selectorELNS0_4arch9wavefront6targetE1EEEvSZ_.has_recursion, 0
	.set _ZN7rocprim17ROCPRIM_400000_NS6detail17trampoline_kernelINS0_13select_configILj256ELj13ELNS0_17block_load_methodE3ELS4_3ELS4_3ELNS0_20block_scan_algorithmE0ELj4294967295EEENS1_25partition_config_selectorILNS1_17partition_subalgoE3EjNS0_10empty_typeEbEEZZNS1_14partition_implILS8_3ELb0ES6_jNS0_17counting_iteratorIjlEEPS9_SE_NS0_5tupleIJPjSE_EEENSF_IJSE_SE_EEES9_SG_JZNS1_25segmented_radix_sort_implINS0_14default_configELb0EPK12hip_bfloat16PSL_PKlPlN2at6native12_GLOBAL__N_18offset_tEEE10hipError_tPvRmT1_PNSt15iterator_traitsISZ_E10value_typeET2_T3_PNS10_IS15_E10value_typeET4_jRbjT5_S1B_jjP12ihipStream_tbEUljE_EEESW_SX_SY_S15_S19_S1B_T6_T7_T9_mT8_S1D_bDpT10_ENKUlT_T0_E_clISt17integral_constantIbLb0EES1P_IbLb1EEEEDaS1L_S1M_EUlS1L_E_NS1_11comp_targetILNS1_3genE10ELNS1_11target_archE1200ELNS1_3gpuE4ELNS1_3repE0EEENS1_30default_config_static_selectorELNS0_4arch9wavefront6targetE1EEEvSZ_.has_indirect_call, 0
	.section	.AMDGPU.csdata,"",@progbits
; Kernel info:
; codeLenInByte = 0
; TotalNumSgprs: 4
; NumVgprs: 0
; ScratchSize: 0
; MemoryBound: 0
; FloatMode: 240
; IeeeMode: 1
; LDSByteSize: 0 bytes/workgroup (compile time only)
; SGPRBlocks: 0
; VGPRBlocks: 0
; NumSGPRsForWavesPerEU: 4
; NumVGPRsForWavesPerEU: 1
; Occupancy: 10
; WaveLimiterHint : 0
; COMPUTE_PGM_RSRC2:SCRATCH_EN: 0
; COMPUTE_PGM_RSRC2:USER_SGPR: 6
; COMPUTE_PGM_RSRC2:TRAP_HANDLER: 0
; COMPUTE_PGM_RSRC2:TGID_X_EN: 1
; COMPUTE_PGM_RSRC2:TGID_Y_EN: 0
; COMPUTE_PGM_RSRC2:TGID_Z_EN: 0
; COMPUTE_PGM_RSRC2:TIDIG_COMP_CNT: 0
	.section	.text._ZN7rocprim17ROCPRIM_400000_NS6detail17trampoline_kernelINS0_13select_configILj256ELj13ELNS0_17block_load_methodE3ELS4_3ELS4_3ELNS0_20block_scan_algorithmE0ELj4294967295EEENS1_25partition_config_selectorILNS1_17partition_subalgoE3EjNS0_10empty_typeEbEEZZNS1_14partition_implILS8_3ELb0ES6_jNS0_17counting_iteratorIjlEEPS9_SE_NS0_5tupleIJPjSE_EEENSF_IJSE_SE_EEES9_SG_JZNS1_25segmented_radix_sort_implINS0_14default_configELb0EPK12hip_bfloat16PSL_PKlPlN2at6native12_GLOBAL__N_18offset_tEEE10hipError_tPvRmT1_PNSt15iterator_traitsISZ_E10value_typeET2_T3_PNS10_IS15_E10value_typeET4_jRbjT5_S1B_jjP12ihipStream_tbEUljE_EEESW_SX_SY_S15_S19_S1B_T6_T7_T9_mT8_S1D_bDpT10_ENKUlT_T0_E_clISt17integral_constantIbLb0EES1P_IbLb1EEEEDaS1L_S1M_EUlS1L_E_NS1_11comp_targetILNS1_3genE9ELNS1_11target_archE1100ELNS1_3gpuE3ELNS1_3repE0EEENS1_30default_config_static_selectorELNS0_4arch9wavefront6targetE1EEEvSZ_,"axG",@progbits,_ZN7rocprim17ROCPRIM_400000_NS6detail17trampoline_kernelINS0_13select_configILj256ELj13ELNS0_17block_load_methodE3ELS4_3ELS4_3ELNS0_20block_scan_algorithmE0ELj4294967295EEENS1_25partition_config_selectorILNS1_17partition_subalgoE3EjNS0_10empty_typeEbEEZZNS1_14partition_implILS8_3ELb0ES6_jNS0_17counting_iteratorIjlEEPS9_SE_NS0_5tupleIJPjSE_EEENSF_IJSE_SE_EEES9_SG_JZNS1_25segmented_radix_sort_implINS0_14default_configELb0EPK12hip_bfloat16PSL_PKlPlN2at6native12_GLOBAL__N_18offset_tEEE10hipError_tPvRmT1_PNSt15iterator_traitsISZ_E10value_typeET2_T3_PNS10_IS15_E10value_typeET4_jRbjT5_S1B_jjP12ihipStream_tbEUljE_EEESW_SX_SY_S15_S19_S1B_T6_T7_T9_mT8_S1D_bDpT10_ENKUlT_T0_E_clISt17integral_constantIbLb0EES1P_IbLb1EEEEDaS1L_S1M_EUlS1L_E_NS1_11comp_targetILNS1_3genE9ELNS1_11target_archE1100ELNS1_3gpuE3ELNS1_3repE0EEENS1_30default_config_static_selectorELNS0_4arch9wavefront6targetE1EEEvSZ_,comdat
	.globl	_ZN7rocprim17ROCPRIM_400000_NS6detail17trampoline_kernelINS0_13select_configILj256ELj13ELNS0_17block_load_methodE3ELS4_3ELS4_3ELNS0_20block_scan_algorithmE0ELj4294967295EEENS1_25partition_config_selectorILNS1_17partition_subalgoE3EjNS0_10empty_typeEbEEZZNS1_14partition_implILS8_3ELb0ES6_jNS0_17counting_iteratorIjlEEPS9_SE_NS0_5tupleIJPjSE_EEENSF_IJSE_SE_EEES9_SG_JZNS1_25segmented_radix_sort_implINS0_14default_configELb0EPK12hip_bfloat16PSL_PKlPlN2at6native12_GLOBAL__N_18offset_tEEE10hipError_tPvRmT1_PNSt15iterator_traitsISZ_E10value_typeET2_T3_PNS10_IS15_E10value_typeET4_jRbjT5_S1B_jjP12ihipStream_tbEUljE_EEESW_SX_SY_S15_S19_S1B_T6_T7_T9_mT8_S1D_bDpT10_ENKUlT_T0_E_clISt17integral_constantIbLb0EES1P_IbLb1EEEEDaS1L_S1M_EUlS1L_E_NS1_11comp_targetILNS1_3genE9ELNS1_11target_archE1100ELNS1_3gpuE3ELNS1_3repE0EEENS1_30default_config_static_selectorELNS0_4arch9wavefront6targetE1EEEvSZ_ ; -- Begin function _ZN7rocprim17ROCPRIM_400000_NS6detail17trampoline_kernelINS0_13select_configILj256ELj13ELNS0_17block_load_methodE3ELS4_3ELS4_3ELNS0_20block_scan_algorithmE0ELj4294967295EEENS1_25partition_config_selectorILNS1_17partition_subalgoE3EjNS0_10empty_typeEbEEZZNS1_14partition_implILS8_3ELb0ES6_jNS0_17counting_iteratorIjlEEPS9_SE_NS0_5tupleIJPjSE_EEENSF_IJSE_SE_EEES9_SG_JZNS1_25segmented_radix_sort_implINS0_14default_configELb0EPK12hip_bfloat16PSL_PKlPlN2at6native12_GLOBAL__N_18offset_tEEE10hipError_tPvRmT1_PNSt15iterator_traitsISZ_E10value_typeET2_T3_PNS10_IS15_E10value_typeET4_jRbjT5_S1B_jjP12ihipStream_tbEUljE_EEESW_SX_SY_S15_S19_S1B_T6_T7_T9_mT8_S1D_bDpT10_ENKUlT_T0_E_clISt17integral_constantIbLb0EES1P_IbLb1EEEEDaS1L_S1M_EUlS1L_E_NS1_11comp_targetILNS1_3genE9ELNS1_11target_archE1100ELNS1_3gpuE3ELNS1_3repE0EEENS1_30default_config_static_selectorELNS0_4arch9wavefront6targetE1EEEvSZ_
	.p2align	8
	.type	_ZN7rocprim17ROCPRIM_400000_NS6detail17trampoline_kernelINS0_13select_configILj256ELj13ELNS0_17block_load_methodE3ELS4_3ELS4_3ELNS0_20block_scan_algorithmE0ELj4294967295EEENS1_25partition_config_selectorILNS1_17partition_subalgoE3EjNS0_10empty_typeEbEEZZNS1_14partition_implILS8_3ELb0ES6_jNS0_17counting_iteratorIjlEEPS9_SE_NS0_5tupleIJPjSE_EEENSF_IJSE_SE_EEES9_SG_JZNS1_25segmented_radix_sort_implINS0_14default_configELb0EPK12hip_bfloat16PSL_PKlPlN2at6native12_GLOBAL__N_18offset_tEEE10hipError_tPvRmT1_PNSt15iterator_traitsISZ_E10value_typeET2_T3_PNS10_IS15_E10value_typeET4_jRbjT5_S1B_jjP12ihipStream_tbEUljE_EEESW_SX_SY_S15_S19_S1B_T6_T7_T9_mT8_S1D_bDpT10_ENKUlT_T0_E_clISt17integral_constantIbLb0EES1P_IbLb1EEEEDaS1L_S1M_EUlS1L_E_NS1_11comp_targetILNS1_3genE9ELNS1_11target_archE1100ELNS1_3gpuE3ELNS1_3repE0EEENS1_30default_config_static_selectorELNS0_4arch9wavefront6targetE1EEEvSZ_,@function
_ZN7rocprim17ROCPRIM_400000_NS6detail17trampoline_kernelINS0_13select_configILj256ELj13ELNS0_17block_load_methodE3ELS4_3ELS4_3ELNS0_20block_scan_algorithmE0ELj4294967295EEENS1_25partition_config_selectorILNS1_17partition_subalgoE3EjNS0_10empty_typeEbEEZZNS1_14partition_implILS8_3ELb0ES6_jNS0_17counting_iteratorIjlEEPS9_SE_NS0_5tupleIJPjSE_EEENSF_IJSE_SE_EEES9_SG_JZNS1_25segmented_radix_sort_implINS0_14default_configELb0EPK12hip_bfloat16PSL_PKlPlN2at6native12_GLOBAL__N_18offset_tEEE10hipError_tPvRmT1_PNSt15iterator_traitsISZ_E10value_typeET2_T3_PNS10_IS15_E10value_typeET4_jRbjT5_S1B_jjP12ihipStream_tbEUljE_EEESW_SX_SY_S15_S19_S1B_T6_T7_T9_mT8_S1D_bDpT10_ENKUlT_T0_E_clISt17integral_constantIbLb0EES1P_IbLb1EEEEDaS1L_S1M_EUlS1L_E_NS1_11comp_targetILNS1_3genE9ELNS1_11target_archE1100ELNS1_3gpuE3ELNS1_3repE0EEENS1_30default_config_static_selectorELNS0_4arch9wavefront6targetE1EEEvSZ_: ; @_ZN7rocprim17ROCPRIM_400000_NS6detail17trampoline_kernelINS0_13select_configILj256ELj13ELNS0_17block_load_methodE3ELS4_3ELS4_3ELNS0_20block_scan_algorithmE0ELj4294967295EEENS1_25partition_config_selectorILNS1_17partition_subalgoE3EjNS0_10empty_typeEbEEZZNS1_14partition_implILS8_3ELb0ES6_jNS0_17counting_iteratorIjlEEPS9_SE_NS0_5tupleIJPjSE_EEENSF_IJSE_SE_EEES9_SG_JZNS1_25segmented_radix_sort_implINS0_14default_configELb0EPK12hip_bfloat16PSL_PKlPlN2at6native12_GLOBAL__N_18offset_tEEE10hipError_tPvRmT1_PNSt15iterator_traitsISZ_E10value_typeET2_T3_PNS10_IS15_E10value_typeET4_jRbjT5_S1B_jjP12ihipStream_tbEUljE_EEESW_SX_SY_S15_S19_S1B_T6_T7_T9_mT8_S1D_bDpT10_ENKUlT_T0_E_clISt17integral_constantIbLb0EES1P_IbLb1EEEEDaS1L_S1M_EUlS1L_E_NS1_11comp_targetILNS1_3genE9ELNS1_11target_archE1100ELNS1_3gpuE3ELNS1_3repE0EEENS1_30default_config_static_selectorELNS0_4arch9wavefront6targetE1EEEvSZ_
; %bb.0:
	.section	.rodata,"a",@progbits
	.p2align	6, 0x0
	.amdhsa_kernel _ZN7rocprim17ROCPRIM_400000_NS6detail17trampoline_kernelINS0_13select_configILj256ELj13ELNS0_17block_load_methodE3ELS4_3ELS4_3ELNS0_20block_scan_algorithmE0ELj4294967295EEENS1_25partition_config_selectorILNS1_17partition_subalgoE3EjNS0_10empty_typeEbEEZZNS1_14partition_implILS8_3ELb0ES6_jNS0_17counting_iteratorIjlEEPS9_SE_NS0_5tupleIJPjSE_EEENSF_IJSE_SE_EEES9_SG_JZNS1_25segmented_radix_sort_implINS0_14default_configELb0EPK12hip_bfloat16PSL_PKlPlN2at6native12_GLOBAL__N_18offset_tEEE10hipError_tPvRmT1_PNSt15iterator_traitsISZ_E10value_typeET2_T3_PNS10_IS15_E10value_typeET4_jRbjT5_S1B_jjP12ihipStream_tbEUljE_EEESW_SX_SY_S15_S19_S1B_T6_T7_T9_mT8_S1D_bDpT10_ENKUlT_T0_E_clISt17integral_constantIbLb0EES1P_IbLb1EEEEDaS1L_S1M_EUlS1L_E_NS1_11comp_targetILNS1_3genE9ELNS1_11target_archE1100ELNS1_3gpuE3ELNS1_3repE0EEENS1_30default_config_static_selectorELNS0_4arch9wavefront6targetE1EEEvSZ_
		.amdhsa_group_segment_fixed_size 0
		.amdhsa_private_segment_fixed_size 0
		.amdhsa_kernarg_size 152
		.amdhsa_user_sgpr_count 6
		.amdhsa_user_sgpr_private_segment_buffer 1
		.amdhsa_user_sgpr_dispatch_ptr 0
		.amdhsa_user_sgpr_queue_ptr 0
		.amdhsa_user_sgpr_kernarg_segment_ptr 1
		.amdhsa_user_sgpr_dispatch_id 0
		.amdhsa_user_sgpr_flat_scratch_init 0
		.amdhsa_user_sgpr_private_segment_size 0
		.amdhsa_uses_dynamic_stack 0
		.amdhsa_system_sgpr_private_segment_wavefront_offset 0
		.amdhsa_system_sgpr_workgroup_id_x 1
		.amdhsa_system_sgpr_workgroup_id_y 0
		.amdhsa_system_sgpr_workgroup_id_z 0
		.amdhsa_system_sgpr_workgroup_info 0
		.amdhsa_system_vgpr_workitem_id 0
		.amdhsa_next_free_vgpr 1
		.amdhsa_next_free_sgpr 0
		.amdhsa_reserve_vcc 0
		.amdhsa_reserve_flat_scratch 0
		.amdhsa_float_round_mode_32 0
		.amdhsa_float_round_mode_16_64 0
		.amdhsa_float_denorm_mode_32 3
		.amdhsa_float_denorm_mode_16_64 3
		.amdhsa_dx10_clamp 1
		.amdhsa_ieee_mode 1
		.amdhsa_fp16_overflow 0
		.amdhsa_exception_fp_ieee_invalid_op 0
		.amdhsa_exception_fp_denorm_src 0
		.amdhsa_exception_fp_ieee_div_zero 0
		.amdhsa_exception_fp_ieee_overflow 0
		.amdhsa_exception_fp_ieee_underflow 0
		.amdhsa_exception_fp_ieee_inexact 0
		.amdhsa_exception_int_div_zero 0
	.end_amdhsa_kernel
	.section	.text._ZN7rocprim17ROCPRIM_400000_NS6detail17trampoline_kernelINS0_13select_configILj256ELj13ELNS0_17block_load_methodE3ELS4_3ELS4_3ELNS0_20block_scan_algorithmE0ELj4294967295EEENS1_25partition_config_selectorILNS1_17partition_subalgoE3EjNS0_10empty_typeEbEEZZNS1_14partition_implILS8_3ELb0ES6_jNS0_17counting_iteratorIjlEEPS9_SE_NS0_5tupleIJPjSE_EEENSF_IJSE_SE_EEES9_SG_JZNS1_25segmented_radix_sort_implINS0_14default_configELb0EPK12hip_bfloat16PSL_PKlPlN2at6native12_GLOBAL__N_18offset_tEEE10hipError_tPvRmT1_PNSt15iterator_traitsISZ_E10value_typeET2_T3_PNS10_IS15_E10value_typeET4_jRbjT5_S1B_jjP12ihipStream_tbEUljE_EEESW_SX_SY_S15_S19_S1B_T6_T7_T9_mT8_S1D_bDpT10_ENKUlT_T0_E_clISt17integral_constantIbLb0EES1P_IbLb1EEEEDaS1L_S1M_EUlS1L_E_NS1_11comp_targetILNS1_3genE9ELNS1_11target_archE1100ELNS1_3gpuE3ELNS1_3repE0EEENS1_30default_config_static_selectorELNS0_4arch9wavefront6targetE1EEEvSZ_,"axG",@progbits,_ZN7rocprim17ROCPRIM_400000_NS6detail17trampoline_kernelINS0_13select_configILj256ELj13ELNS0_17block_load_methodE3ELS4_3ELS4_3ELNS0_20block_scan_algorithmE0ELj4294967295EEENS1_25partition_config_selectorILNS1_17partition_subalgoE3EjNS0_10empty_typeEbEEZZNS1_14partition_implILS8_3ELb0ES6_jNS0_17counting_iteratorIjlEEPS9_SE_NS0_5tupleIJPjSE_EEENSF_IJSE_SE_EEES9_SG_JZNS1_25segmented_radix_sort_implINS0_14default_configELb0EPK12hip_bfloat16PSL_PKlPlN2at6native12_GLOBAL__N_18offset_tEEE10hipError_tPvRmT1_PNSt15iterator_traitsISZ_E10value_typeET2_T3_PNS10_IS15_E10value_typeET4_jRbjT5_S1B_jjP12ihipStream_tbEUljE_EEESW_SX_SY_S15_S19_S1B_T6_T7_T9_mT8_S1D_bDpT10_ENKUlT_T0_E_clISt17integral_constantIbLb0EES1P_IbLb1EEEEDaS1L_S1M_EUlS1L_E_NS1_11comp_targetILNS1_3genE9ELNS1_11target_archE1100ELNS1_3gpuE3ELNS1_3repE0EEENS1_30default_config_static_selectorELNS0_4arch9wavefront6targetE1EEEvSZ_,comdat
.Lfunc_end2047:
	.size	_ZN7rocprim17ROCPRIM_400000_NS6detail17trampoline_kernelINS0_13select_configILj256ELj13ELNS0_17block_load_methodE3ELS4_3ELS4_3ELNS0_20block_scan_algorithmE0ELj4294967295EEENS1_25partition_config_selectorILNS1_17partition_subalgoE3EjNS0_10empty_typeEbEEZZNS1_14partition_implILS8_3ELb0ES6_jNS0_17counting_iteratorIjlEEPS9_SE_NS0_5tupleIJPjSE_EEENSF_IJSE_SE_EEES9_SG_JZNS1_25segmented_radix_sort_implINS0_14default_configELb0EPK12hip_bfloat16PSL_PKlPlN2at6native12_GLOBAL__N_18offset_tEEE10hipError_tPvRmT1_PNSt15iterator_traitsISZ_E10value_typeET2_T3_PNS10_IS15_E10value_typeET4_jRbjT5_S1B_jjP12ihipStream_tbEUljE_EEESW_SX_SY_S15_S19_S1B_T6_T7_T9_mT8_S1D_bDpT10_ENKUlT_T0_E_clISt17integral_constantIbLb0EES1P_IbLb1EEEEDaS1L_S1M_EUlS1L_E_NS1_11comp_targetILNS1_3genE9ELNS1_11target_archE1100ELNS1_3gpuE3ELNS1_3repE0EEENS1_30default_config_static_selectorELNS0_4arch9wavefront6targetE1EEEvSZ_, .Lfunc_end2047-_ZN7rocprim17ROCPRIM_400000_NS6detail17trampoline_kernelINS0_13select_configILj256ELj13ELNS0_17block_load_methodE3ELS4_3ELS4_3ELNS0_20block_scan_algorithmE0ELj4294967295EEENS1_25partition_config_selectorILNS1_17partition_subalgoE3EjNS0_10empty_typeEbEEZZNS1_14partition_implILS8_3ELb0ES6_jNS0_17counting_iteratorIjlEEPS9_SE_NS0_5tupleIJPjSE_EEENSF_IJSE_SE_EEES9_SG_JZNS1_25segmented_radix_sort_implINS0_14default_configELb0EPK12hip_bfloat16PSL_PKlPlN2at6native12_GLOBAL__N_18offset_tEEE10hipError_tPvRmT1_PNSt15iterator_traitsISZ_E10value_typeET2_T3_PNS10_IS15_E10value_typeET4_jRbjT5_S1B_jjP12ihipStream_tbEUljE_EEESW_SX_SY_S15_S19_S1B_T6_T7_T9_mT8_S1D_bDpT10_ENKUlT_T0_E_clISt17integral_constantIbLb0EES1P_IbLb1EEEEDaS1L_S1M_EUlS1L_E_NS1_11comp_targetILNS1_3genE9ELNS1_11target_archE1100ELNS1_3gpuE3ELNS1_3repE0EEENS1_30default_config_static_selectorELNS0_4arch9wavefront6targetE1EEEvSZ_
                                        ; -- End function
	.set _ZN7rocprim17ROCPRIM_400000_NS6detail17trampoline_kernelINS0_13select_configILj256ELj13ELNS0_17block_load_methodE3ELS4_3ELS4_3ELNS0_20block_scan_algorithmE0ELj4294967295EEENS1_25partition_config_selectorILNS1_17partition_subalgoE3EjNS0_10empty_typeEbEEZZNS1_14partition_implILS8_3ELb0ES6_jNS0_17counting_iteratorIjlEEPS9_SE_NS0_5tupleIJPjSE_EEENSF_IJSE_SE_EEES9_SG_JZNS1_25segmented_radix_sort_implINS0_14default_configELb0EPK12hip_bfloat16PSL_PKlPlN2at6native12_GLOBAL__N_18offset_tEEE10hipError_tPvRmT1_PNSt15iterator_traitsISZ_E10value_typeET2_T3_PNS10_IS15_E10value_typeET4_jRbjT5_S1B_jjP12ihipStream_tbEUljE_EEESW_SX_SY_S15_S19_S1B_T6_T7_T9_mT8_S1D_bDpT10_ENKUlT_T0_E_clISt17integral_constantIbLb0EES1P_IbLb1EEEEDaS1L_S1M_EUlS1L_E_NS1_11comp_targetILNS1_3genE9ELNS1_11target_archE1100ELNS1_3gpuE3ELNS1_3repE0EEENS1_30default_config_static_selectorELNS0_4arch9wavefront6targetE1EEEvSZ_.num_vgpr, 0
	.set _ZN7rocprim17ROCPRIM_400000_NS6detail17trampoline_kernelINS0_13select_configILj256ELj13ELNS0_17block_load_methodE3ELS4_3ELS4_3ELNS0_20block_scan_algorithmE0ELj4294967295EEENS1_25partition_config_selectorILNS1_17partition_subalgoE3EjNS0_10empty_typeEbEEZZNS1_14partition_implILS8_3ELb0ES6_jNS0_17counting_iteratorIjlEEPS9_SE_NS0_5tupleIJPjSE_EEENSF_IJSE_SE_EEES9_SG_JZNS1_25segmented_radix_sort_implINS0_14default_configELb0EPK12hip_bfloat16PSL_PKlPlN2at6native12_GLOBAL__N_18offset_tEEE10hipError_tPvRmT1_PNSt15iterator_traitsISZ_E10value_typeET2_T3_PNS10_IS15_E10value_typeET4_jRbjT5_S1B_jjP12ihipStream_tbEUljE_EEESW_SX_SY_S15_S19_S1B_T6_T7_T9_mT8_S1D_bDpT10_ENKUlT_T0_E_clISt17integral_constantIbLb0EES1P_IbLb1EEEEDaS1L_S1M_EUlS1L_E_NS1_11comp_targetILNS1_3genE9ELNS1_11target_archE1100ELNS1_3gpuE3ELNS1_3repE0EEENS1_30default_config_static_selectorELNS0_4arch9wavefront6targetE1EEEvSZ_.num_agpr, 0
	.set _ZN7rocprim17ROCPRIM_400000_NS6detail17trampoline_kernelINS0_13select_configILj256ELj13ELNS0_17block_load_methodE3ELS4_3ELS4_3ELNS0_20block_scan_algorithmE0ELj4294967295EEENS1_25partition_config_selectorILNS1_17partition_subalgoE3EjNS0_10empty_typeEbEEZZNS1_14partition_implILS8_3ELb0ES6_jNS0_17counting_iteratorIjlEEPS9_SE_NS0_5tupleIJPjSE_EEENSF_IJSE_SE_EEES9_SG_JZNS1_25segmented_radix_sort_implINS0_14default_configELb0EPK12hip_bfloat16PSL_PKlPlN2at6native12_GLOBAL__N_18offset_tEEE10hipError_tPvRmT1_PNSt15iterator_traitsISZ_E10value_typeET2_T3_PNS10_IS15_E10value_typeET4_jRbjT5_S1B_jjP12ihipStream_tbEUljE_EEESW_SX_SY_S15_S19_S1B_T6_T7_T9_mT8_S1D_bDpT10_ENKUlT_T0_E_clISt17integral_constantIbLb0EES1P_IbLb1EEEEDaS1L_S1M_EUlS1L_E_NS1_11comp_targetILNS1_3genE9ELNS1_11target_archE1100ELNS1_3gpuE3ELNS1_3repE0EEENS1_30default_config_static_selectorELNS0_4arch9wavefront6targetE1EEEvSZ_.numbered_sgpr, 0
	.set _ZN7rocprim17ROCPRIM_400000_NS6detail17trampoline_kernelINS0_13select_configILj256ELj13ELNS0_17block_load_methodE3ELS4_3ELS4_3ELNS0_20block_scan_algorithmE0ELj4294967295EEENS1_25partition_config_selectorILNS1_17partition_subalgoE3EjNS0_10empty_typeEbEEZZNS1_14partition_implILS8_3ELb0ES6_jNS0_17counting_iteratorIjlEEPS9_SE_NS0_5tupleIJPjSE_EEENSF_IJSE_SE_EEES9_SG_JZNS1_25segmented_radix_sort_implINS0_14default_configELb0EPK12hip_bfloat16PSL_PKlPlN2at6native12_GLOBAL__N_18offset_tEEE10hipError_tPvRmT1_PNSt15iterator_traitsISZ_E10value_typeET2_T3_PNS10_IS15_E10value_typeET4_jRbjT5_S1B_jjP12ihipStream_tbEUljE_EEESW_SX_SY_S15_S19_S1B_T6_T7_T9_mT8_S1D_bDpT10_ENKUlT_T0_E_clISt17integral_constantIbLb0EES1P_IbLb1EEEEDaS1L_S1M_EUlS1L_E_NS1_11comp_targetILNS1_3genE9ELNS1_11target_archE1100ELNS1_3gpuE3ELNS1_3repE0EEENS1_30default_config_static_selectorELNS0_4arch9wavefront6targetE1EEEvSZ_.num_named_barrier, 0
	.set _ZN7rocprim17ROCPRIM_400000_NS6detail17trampoline_kernelINS0_13select_configILj256ELj13ELNS0_17block_load_methodE3ELS4_3ELS4_3ELNS0_20block_scan_algorithmE0ELj4294967295EEENS1_25partition_config_selectorILNS1_17partition_subalgoE3EjNS0_10empty_typeEbEEZZNS1_14partition_implILS8_3ELb0ES6_jNS0_17counting_iteratorIjlEEPS9_SE_NS0_5tupleIJPjSE_EEENSF_IJSE_SE_EEES9_SG_JZNS1_25segmented_radix_sort_implINS0_14default_configELb0EPK12hip_bfloat16PSL_PKlPlN2at6native12_GLOBAL__N_18offset_tEEE10hipError_tPvRmT1_PNSt15iterator_traitsISZ_E10value_typeET2_T3_PNS10_IS15_E10value_typeET4_jRbjT5_S1B_jjP12ihipStream_tbEUljE_EEESW_SX_SY_S15_S19_S1B_T6_T7_T9_mT8_S1D_bDpT10_ENKUlT_T0_E_clISt17integral_constantIbLb0EES1P_IbLb1EEEEDaS1L_S1M_EUlS1L_E_NS1_11comp_targetILNS1_3genE9ELNS1_11target_archE1100ELNS1_3gpuE3ELNS1_3repE0EEENS1_30default_config_static_selectorELNS0_4arch9wavefront6targetE1EEEvSZ_.private_seg_size, 0
	.set _ZN7rocprim17ROCPRIM_400000_NS6detail17trampoline_kernelINS0_13select_configILj256ELj13ELNS0_17block_load_methodE3ELS4_3ELS4_3ELNS0_20block_scan_algorithmE0ELj4294967295EEENS1_25partition_config_selectorILNS1_17partition_subalgoE3EjNS0_10empty_typeEbEEZZNS1_14partition_implILS8_3ELb0ES6_jNS0_17counting_iteratorIjlEEPS9_SE_NS0_5tupleIJPjSE_EEENSF_IJSE_SE_EEES9_SG_JZNS1_25segmented_radix_sort_implINS0_14default_configELb0EPK12hip_bfloat16PSL_PKlPlN2at6native12_GLOBAL__N_18offset_tEEE10hipError_tPvRmT1_PNSt15iterator_traitsISZ_E10value_typeET2_T3_PNS10_IS15_E10value_typeET4_jRbjT5_S1B_jjP12ihipStream_tbEUljE_EEESW_SX_SY_S15_S19_S1B_T6_T7_T9_mT8_S1D_bDpT10_ENKUlT_T0_E_clISt17integral_constantIbLb0EES1P_IbLb1EEEEDaS1L_S1M_EUlS1L_E_NS1_11comp_targetILNS1_3genE9ELNS1_11target_archE1100ELNS1_3gpuE3ELNS1_3repE0EEENS1_30default_config_static_selectorELNS0_4arch9wavefront6targetE1EEEvSZ_.uses_vcc, 0
	.set _ZN7rocprim17ROCPRIM_400000_NS6detail17trampoline_kernelINS0_13select_configILj256ELj13ELNS0_17block_load_methodE3ELS4_3ELS4_3ELNS0_20block_scan_algorithmE0ELj4294967295EEENS1_25partition_config_selectorILNS1_17partition_subalgoE3EjNS0_10empty_typeEbEEZZNS1_14partition_implILS8_3ELb0ES6_jNS0_17counting_iteratorIjlEEPS9_SE_NS0_5tupleIJPjSE_EEENSF_IJSE_SE_EEES9_SG_JZNS1_25segmented_radix_sort_implINS0_14default_configELb0EPK12hip_bfloat16PSL_PKlPlN2at6native12_GLOBAL__N_18offset_tEEE10hipError_tPvRmT1_PNSt15iterator_traitsISZ_E10value_typeET2_T3_PNS10_IS15_E10value_typeET4_jRbjT5_S1B_jjP12ihipStream_tbEUljE_EEESW_SX_SY_S15_S19_S1B_T6_T7_T9_mT8_S1D_bDpT10_ENKUlT_T0_E_clISt17integral_constantIbLb0EES1P_IbLb1EEEEDaS1L_S1M_EUlS1L_E_NS1_11comp_targetILNS1_3genE9ELNS1_11target_archE1100ELNS1_3gpuE3ELNS1_3repE0EEENS1_30default_config_static_selectorELNS0_4arch9wavefront6targetE1EEEvSZ_.uses_flat_scratch, 0
	.set _ZN7rocprim17ROCPRIM_400000_NS6detail17trampoline_kernelINS0_13select_configILj256ELj13ELNS0_17block_load_methodE3ELS4_3ELS4_3ELNS0_20block_scan_algorithmE0ELj4294967295EEENS1_25partition_config_selectorILNS1_17partition_subalgoE3EjNS0_10empty_typeEbEEZZNS1_14partition_implILS8_3ELb0ES6_jNS0_17counting_iteratorIjlEEPS9_SE_NS0_5tupleIJPjSE_EEENSF_IJSE_SE_EEES9_SG_JZNS1_25segmented_radix_sort_implINS0_14default_configELb0EPK12hip_bfloat16PSL_PKlPlN2at6native12_GLOBAL__N_18offset_tEEE10hipError_tPvRmT1_PNSt15iterator_traitsISZ_E10value_typeET2_T3_PNS10_IS15_E10value_typeET4_jRbjT5_S1B_jjP12ihipStream_tbEUljE_EEESW_SX_SY_S15_S19_S1B_T6_T7_T9_mT8_S1D_bDpT10_ENKUlT_T0_E_clISt17integral_constantIbLb0EES1P_IbLb1EEEEDaS1L_S1M_EUlS1L_E_NS1_11comp_targetILNS1_3genE9ELNS1_11target_archE1100ELNS1_3gpuE3ELNS1_3repE0EEENS1_30default_config_static_selectorELNS0_4arch9wavefront6targetE1EEEvSZ_.has_dyn_sized_stack, 0
	.set _ZN7rocprim17ROCPRIM_400000_NS6detail17trampoline_kernelINS0_13select_configILj256ELj13ELNS0_17block_load_methodE3ELS4_3ELS4_3ELNS0_20block_scan_algorithmE0ELj4294967295EEENS1_25partition_config_selectorILNS1_17partition_subalgoE3EjNS0_10empty_typeEbEEZZNS1_14partition_implILS8_3ELb0ES6_jNS0_17counting_iteratorIjlEEPS9_SE_NS0_5tupleIJPjSE_EEENSF_IJSE_SE_EEES9_SG_JZNS1_25segmented_radix_sort_implINS0_14default_configELb0EPK12hip_bfloat16PSL_PKlPlN2at6native12_GLOBAL__N_18offset_tEEE10hipError_tPvRmT1_PNSt15iterator_traitsISZ_E10value_typeET2_T3_PNS10_IS15_E10value_typeET4_jRbjT5_S1B_jjP12ihipStream_tbEUljE_EEESW_SX_SY_S15_S19_S1B_T6_T7_T9_mT8_S1D_bDpT10_ENKUlT_T0_E_clISt17integral_constantIbLb0EES1P_IbLb1EEEEDaS1L_S1M_EUlS1L_E_NS1_11comp_targetILNS1_3genE9ELNS1_11target_archE1100ELNS1_3gpuE3ELNS1_3repE0EEENS1_30default_config_static_selectorELNS0_4arch9wavefront6targetE1EEEvSZ_.has_recursion, 0
	.set _ZN7rocprim17ROCPRIM_400000_NS6detail17trampoline_kernelINS0_13select_configILj256ELj13ELNS0_17block_load_methodE3ELS4_3ELS4_3ELNS0_20block_scan_algorithmE0ELj4294967295EEENS1_25partition_config_selectorILNS1_17partition_subalgoE3EjNS0_10empty_typeEbEEZZNS1_14partition_implILS8_3ELb0ES6_jNS0_17counting_iteratorIjlEEPS9_SE_NS0_5tupleIJPjSE_EEENSF_IJSE_SE_EEES9_SG_JZNS1_25segmented_radix_sort_implINS0_14default_configELb0EPK12hip_bfloat16PSL_PKlPlN2at6native12_GLOBAL__N_18offset_tEEE10hipError_tPvRmT1_PNSt15iterator_traitsISZ_E10value_typeET2_T3_PNS10_IS15_E10value_typeET4_jRbjT5_S1B_jjP12ihipStream_tbEUljE_EEESW_SX_SY_S15_S19_S1B_T6_T7_T9_mT8_S1D_bDpT10_ENKUlT_T0_E_clISt17integral_constantIbLb0EES1P_IbLb1EEEEDaS1L_S1M_EUlS1L_E_NS1_11comp_targetILNS1_3genE9ELNS1_11target_archE1100ELNS1_3gpuE3ELNS1_3repE0EEENS1_30default_config_static_selectorELNS0_4arch9wavefront6targetE1EEEvSZ_.has_indirect_call, 0
	.section	.AMDGPU.csdata,"",@progbits
; Kernel info:
; codeLenInByte = 0
; TotalNumSgprs: 4
; NumVgprs: 0
; ScratchSize: 0
; MemoryBound: 0
; FloatMode: 240
; IeeeMode: 1
; LDSByteSize: 0 bytes/workgroup (compile time only)
; SGPRBlocks: 0
; VGPRBlocks: 0
; NumSGPRsForWavesPerEU: 4
; NumVGPRsForWavesPerEU: 1
; Occupancy: 10
; WaveLimiterHint : 0
; COMPUTE_PGM_RSRC2:SCRATCH_EN: 0
; COMPUTE_PGM_RSRC2:USER_SGPR: 6
; COMPUTE_PGM_RSRC2:TRAP_HANDLER: 0
; COMPUTE_PGM_RSRC2:TGID_X_EN: 1
; COMPUTE_PGM_RSRC2:TGID_Y_EN: 0
; COMPUTE_PGM_RSRC2:TGID_Z_EN: 0
; COMPUTE_PGM_RSRC2:TIDIG_COMP_CNT: 0
	.section	.text._ZN7rocprim17ROCPRIM_400000_NS6detail17trampoline_kernelINS0_13select_configILj256ELj13ELNS0_17block_load_methodE3ELS4_3ELS4_3ELNS0_20block_scan_algorithmE0ELj4294967295EEENS1_25partition_config_selectorILNS1_17partition_subalgoE3EjNS0_10empty_typeEbEEZZNS1_14partition_implILS8_3ELb0ES6_jNS0_17counting_iteratorIjlEEPS9_SE_NS0_5tupleIJPjSE_EEENSF_IJSE_SE_EEES9_SG_JZNS1_25segmented_radix_sort_implINS0_14default_configELb0EPK12hip_bfloat16PSL_PKlPlN2at6native12_GLOBAL__N_18offset_tEEE10hipError_tPvRmT1_PNSt15iterator_traitsISZ_E10value_typeET2_T3_PNS10_IS15_E10value_typeET4_jRbjT5_S1B_jjP12ihipStream_tbEUljE_EEESW_SX_SY_S15_S19_S1B_T6_T7_T9_mT8_S1D_bDpT10_ENKUlT_T0_E_clISt17integral_constantIbLb0EES1P_IbLb1EEEEDaS1L_S1M_EUlS1L_E_NS1_11comp_targetILNS1_3genE8ELNS1_11target_archE1030ELNS1_3gpuE2ELNS1_3repE0EEENS1_30default_config_static_selectorELNS0_4arch9wavefront6targetE1EEEvSZ_,"axG",@progbits,_ZN7rocprim17ROCPRIM_400000_NS6detail17trampoline_kernelINS0_13select_configILj256ELj13ELNS0_17block_load_methodE3ELS4_3ELS4_3ELNS0_20block_scan_algorithmE0ELj4294967295EEENS1_25partition_config_selectorILNS1_17partition_subalgoE3EjNS0_10empty_typeEbEEZZNS1_14partition_implILS8_3ELb0ES6_jNS0_17counting_iteratorIjlEEPS9_SE_NS0_5tupleIJPjSE_EEENSF_IJSE_SE_EEES9_SG_JZNS1_25segmented_radix_sort_implINS0_14default_configELb0EPK12hip_bfloat16PSL_PKlPlN2at6native12_GLOBAL__N_18offset_tEEE10hipError_tPvRmT1_PNSt15iterator_traitsISZ_E10value_typeET2_T3_PNS10_IS15_E10value_typeET4_jRbjT5_S1B_jjP12ihipStream_tbEUljE_EEESW_SX_SY_S15_S19_S1B_T6_T7_T9_mT8_S1D_bDpT10_ENKUlT_T0_E_clISt17integral_constantIbLb0EES1P_IbLb1EEEEDaS1L_S1M_EUlS1L_E_NS1_11comp_targetILNS1_3genE8ELNS1_11target_archE1030ELNS1_3gpuE2ELNS1_3repE0EEENS1_30default_config_static_selectorELNS0_4arch9wavefront6targetE1EEEvSZ_,comdat
	.globl	_ZN7rocprim17ROCPRIM_400000_NS6detail17trampoline_kernelINS0_13select_configILj256ELj13ELNS0_17block_load_methodE3ELS4_3ELS4_3ELNS0_20block_scan_algorithmE0ELj4294967295EEENS1_25partition_config_selectorILNS1_17partition_subalgoE3EjNS0_10empty_typeEbEEZZNS1_14partition_implILS8_3ELb0ES6_jNS0_17counting_iteratorIjlEEPS9_SE_NS0_5tupleIJPjSE_EEENSF_IJSE_SE_EEES9_SG_JZNS1_25segmented_radix_sort_implINS0_14default_configELb0EPK12hip_bfloat16PSL_PKlPlN2at6native12_GLOBAL__N_18offset_tEEE10hipError_tPvRmT1_PNSt15iterator_traitsISZ_E10value_typeET2_T3_PNS10_IS15_E10value_typeET4_jRbjT5_S1B_jjP12ihipStream_tbEUljE_EEESW_SX_SY_S15_S19_S1B_T6_T7_T9_mT8_S1D_bDpT10_ENKUlT_T0_E_clISt17integral_constantIbLb0EES1P_IbLb1EEEEDaS1L_S1M_EUlS1L_E_NS1_11comp_targetILNS1_3genE8ELNS1_11target_archE1030ELNS1_3gpuE2ELNS1_3repE0EEENS1_30default_config_static_selectorELNS0_4arch9wavefront6targetE1EEEvSZ_ ; -- Begin function _ZN7rocprim17ROCPRIM_400000_NS6detail17trampoline_kernelINS0_13select_configILj256ELj13ELNS0_17block_load_methodE3ELS4_3ELS4_3ELNS0_20block_scan_algorithmE0ELj4294967295EEENS1_25partition_config_selectorILNS1_17partition_subalgoE3EjNS0_10empty_typeEbEEZZNS1_14partition_implILS8_3ELb0ES6_jNS0_17counting_iteratorIjlEEPS9_SE_NS0_5tupleIJPjSE_EEENSF_IJSE_SE_EEES9_SG_JZNS1_25segmented_radix_sort_implINS0_14default_configELb0EPK12hip_bfloat16PSL_PKlPlN2at6native12_GLOBAL__N_18offset_tEEE10hipError_tPvRmT1_PNSt15iterator_traitsISZ_E10value_typeET2_T3_PNS10_IS15_E10value_typeET4_jRbjT5_S1B_jjP12ihipStream_tbEUljE_EEESW_SX_SY_S15_S19_S1B_T6_T7_T9_mT8_S1D_bDpT10_ENKUlT_T0_E_clISt17integral_constantIbLb0EES1P_IbLb1EEEEDaS1L_S1M_EUlS1L_E_NS1_11comp_targetILNS1_3genE8ELNS1_11target_archE1030ELNS1_3gpuE2ELNS1_3repE0EEENS1_30default_config_static_selectorELNS0_4arch9wavefront6targetE1EEEvSZ_
	.p2align	8
	.type	_ZN7rocprim17ROCPRIM_400000_NS6detail17trampoline_kernelINS0_13select_configILj256ELj13ELNS0_17block_load_methodE3ELS4_3ELS4_3ELNS0_20block_scan_algorithmE0ELj4294967295EEENS1_25partition_config_selectorILNS1_17partition_subalgoE3EjNS0_10empty_typeEbEEZZNS1_14partition_implILS8_3ELb0ES6_jNS0_17counting_iteratorIjlEEPS9_SE_NS0_5tupleIJPjSE_EEENSF_IJSE_SE_EEES9_SG_JZNS1_25segmented_radix_sort_implINS0_14default_configELb0EPK12hip_bfloat16PSL_PKlPlN2at6native12_GLOBAL__N_18offset_tEEE10hipError_tPvRmT1_PNSt15iterator_traitsISZ_E10value_typeET2_T3_PNS10_IS15_E10value_typeET4_jRbjT5_S1B_jjP12ihipStream_tbEUljE_EEESW_SX_SY_S15_S19_S1B_T6_T7_T9_mT8_S1D_bDpT10_ENKUlT_T0_E_clISt17integral_constantIbLb0EES1P_IbLb1EEEEDaS1L_S1M_EUlS1L_E_NS1_11comp_targetILNS1_3genE8ELNS1_11target_archE1030ELNS1_3gpuE2ELNS1_3repE0EEENS1_30default_config_static_selectorELNS0_4arch9wavefront6targetE1EEEvSZ_,@function
_ZN7rocprim17ROCPRIM_400000_NS6detail17trampoline_kernelINS0_13select_configILj256ELj13ELNS0_17block_load_methodE3ELS4_3ELS4_3ELNS0_20block_scan_algorithmE0ELj4294967295EEENS1_25partition_config_selectorILNS1_17partition_subalgoE3EjNS0_10empty_typeEbEEZZNS1_14partition_implILS8_3ELb0ES6_jNS0_17counting_iteratorIjlEEPS9_SE_NS0_5tupleIJPjSE_EEENSF_IJSE_SE_EEES9_SG_JZNS1_25segmented_radix_sort_implINS0_14default_configELb0EPK12hip_bfloat16PSL_PKlPlN2at6native12_GLOBAL__N_18offset_tEEE10hipError_tPvRmT1_PNSt15iterator_traitsISZ_E10value_typeET2_T3_PNS10_IS15_E10value_typeET4_jRbjT5_S1B_jjP12ihipStream_tbEUljE_EEESW_SX_SY_S15_S19_S1B_T6_T7_T9_mT8_S1D_bDpT10_ENKUlT_T0_E_clISt17integral_constantIbLb0EES1P_IbLb1EEEEDaS1L_S1M_EUlS1L_E_NS1_11comp_targetILNS1_3genE8ELNS1_11target_archE1030ELNS1_3gpuE2ELNS1_3repE0EEENS1_30default_config_static_selectorELNS0_4arch9wavefront6targetE1EEEvSZ_: ; @_ZN7rocprim17ROCPRIM_400000_NS6detail17trampoline_kernelINS0_13select_configILj256ELj13ELNS0_17block_load_methodE3ELS4_3ELS4_3ELNS0_20block_scan_algorithmE0ELj4294967295EEENS1_25partition_config_selectorILNS1_17partition_subalgoE3EjNS0_10empty_typeEbEEZZNS1_14partition_implILS8_3ELb0ES6_jNS0_17counting_iteratorIjlEEPS9_SE_NS0_5tupleIJPjSE_EEENSF_IJSE_SE_EEES9_SG_JZNS1_25segmented_radix_sort_implINS0_14default_configELb0EPK12hip_bfloat16PSL_PKlPlN2at6native12_GLOBAL__N_18offset_tEEE10hipError_tPvRmT1_PNSt15iterator_traitsISZ_E10value_typeET2_T3_PNS10_IS15_E10value_typeET4_jRbjT5_S1B_jjP12ihipStream_tbEUljE_EEESW_SX_SY_S15_S19_S1B_T6_T7_T9_mT8_S1D_bDpT10_ENKUlT_T0_E_clISt17integral_constantIbLb0EES1P_IbLb1EEEEDaS1L_S1M_EUlS1L_E_NS1_11comp_targetILNS1_3genE8ELNS1_11target_archE1030ELNS1_3gpuE2ELNS1_3repE0EEENS1_30default_config_static_selectorELNS0_4arch9wavefront6targetE1EEEvSZ_
; %bb.0:
	.section	.rodata,"a",@progbits
	.p2align	6, 0x0
	.amdhsa_kernel _ZN7rocprim17ROCPRIM_400000_NS6detail17trampoline_kernelINS0_13select_configILj256ELj13ELNS0_17block_load_methodE3ELS4_3ELS4_3ELNS0_20block_scan_algorithmE0ELj4294967295EEENS1_25partition_config_selectorILNS1_17partition_subalgoE3EjNS0_10empty_typeEbEEZZNS1_14partition_implILS8_3ELb0ES6_jNS0_17counting_iteratorIjlEEPS9_SE_NS0_5tupleIJPjSE_EEENSF_IJSE_SE_EEES9_SG_JZNS1_25segmented_radix_sort_implINS0_14default_configELb0EPK12hip_bfloat16PSL_PKlPlN2at6native12_GLOBAL__N_18offset_tEEE10hipError_tPvRmT1_PNSt15iterator_traitsISZ_E10value_typeET2_T3_PNS10_IS15_E10value_typeET4_jRbjT5_S1B_jjP12ihipStream_tbEUljE_EEESW_SX_SY_S15_S19_S1B_T6_T7_T9_mT8_S1D_bDpT10_ENKUlT_T0_E_clISt17integral_constantIbLb0EES1P_IbLb1EEEEDaS1L_S1M_EUlS1L_E_NS1_11comp_targetILNS1_3genE8ELNS1_11target_archE1030ELNS1_3gpuE2ELNS1_3repE0EEENS1_30default_config_static_selectorELNS0_4arch9wavefront6targetE1EEEvSZ_
		.amdhsa_group_segment_fixed_size 0
		.amdhsa_private_segment_fixed_size 0
		.amdhsa_kernarg_size 152
		.amdhsa_user_sgpr_count 6
		.amdhsa_user_sgpr_private_segment_buffer 1
		.amdhsa_user_sgpr_dispatch_ptr 0
		.amdhsa_user_sgpr_queue_ptr 0
		.amdhsa_user_sgpr_kernarg_segment_ptr 1
		.amdhsa_user_sgpr_dispatch_id 0
		.amdhsa_user_sgpr_flat_scratch_init 0
		.amdhsa_user_sgpr_private_segment_size 0
		.amdhsa_uses_dynamic_stack 0
		.amdhsa_system_sgpr_private_segment_wavefront_offset 0
		.amdhsa_system_sgpr_workgroup_id_x 1
		.amdhsa_system_sgpr_workgroup_id_y 0
		.amdhsa_system_sgpr_workgroup_id_z 0
		.amdhsa_system_sgpr_workgroup_info 0
		.amdhsa_system_vgpr_workitem_id 0
		.amdhsa_next_free_vgpr 1
		.amdhsa_next_free_sgpr 0
		.amdhsa_reserve_vcc 0
		.amdhsa_reserve_flat_scratch 0
		.amdhsa_float_round_mode_32 0
		.amdhsa_float_round_mode_16_64 0
		.amdhsa_float_denorm_mode_32 3
		.amdhsa_float_denorm_mode_16_64 3
		.amdhsa_dx10_clamp 1
		.amdhsa_ieee_mode 1
		.amdhsa_fp16_overflow 0
		.amdhsa_exception_fp_ieee_invalid_op 0
		.amdhsa_exception_fp_denorm_src 0
		.amdhsa_exception_fp_ieee_div_zero 0
		.amdhsa_exception_fp_ieee_overflow 0
		.amdhsa_exception_fp_ieee_underflow 0
		.amdhsa_exception_fp_ieee_inexact 0
		.amdhsa_exception_int_div_zero 0
	.end_amdhsa_kernel
	.section	.text._ZN7rocprim17ROCPRIM_400000_NS6detail17trampoline_kernelINS0_13select_configILj256ELj13ELNS0_17block_load_methodE3ELS4_3ELS4_3ELNS0_20block_scan_algorithmE0ELj4294967295EEENS1_25partition_config_selectorILNS1_17partition_subalgoE3EjNS0_10empty_typeEbEEZZNS1_14partition_implILS8_3ELb0ES6_jNS0_17counting_iteratorIjlEEPS9_SE_NS0_5tupleIJPjSE_EEENSF_IJSE_SE_EEES9_SG_JZNS1_25segmented_radix_sort_implINS0_14default_configELb0EPK12hip_bfloat16PSL_PKlPlN2at6native12_GLOBAL__N_18offset_tEEE10hipError_tPvRmT1_PNSt15iterator_traitsISZ_E10value_typeET2_T3_PNS10_IS15_E10value_typeET4_jRbjT5_S1B_jjP12ihipStream_tbEUljE_EEESW_SX_SY_S15_S19_S1B_T6_T7_T9_mT8_S1D_bDpT10_ENKUlT_T0_E_clISt17integral_constantIbLb0EES1P_IbLb1EEEEDaS1L_S1M_EUlS1L_E_NS1_11comp_targetILNS1_3genE8ELNS1_11target_archE1030ELNS1_3gpuE2ELNS1_3repE0EEENS1_30default_config_static_selectorELNS0_4arch9wavefront6targetE1EEEvSZ_,"axG",@progbits,_ZN7rocprim17ROCPRIM_400000_NS6detail17trampoline_kernelINS0_13select_configILj256ELj13ELNS0_17block_load_methodE3ELS4_3ELS4_3ELNS0_20block_scan_algorithmE0ELj4294967295EEENS1_25partition_config_selectorILNS1_17partition_subalgoE3EjNS0_10empty_typeEbEEZZNS1_14partition_implILS8_3ELb0ES6_jNS0_17counting_iteratorIjlEEPS9_SE_NS0_5tupleIJPjSE_EEENSF_IJSE_SE_EEES9_SG_JZNS1_25segmented_radix_sort_implINS0_14default_configELb0EPK12hip_bfloat16PSL_PKlPlN2at6native12_GLOBAL__N_18offset_tEEE10hipError_tPvRmT1_PNSt15iterator_traitsISZ_E10value_typeET2_T3_PNS10_IS15_E10value_typeET4_jRbjT5_S1B_jjP12ihipStream_tbEUljE_EEESW_SX_SY_S15_S19_S1B_T6_T7_T9_mT8_S1D_bDpT10_ENKUlT_T0_E_clISt17integral_constantIbLb0EES1P_IbLb1EEEEDaS1L_S1M_EUlS1L_E_NS1_11comp_targetILNS1_3genE8ELNS1_11target_archE1030ELNS1_3gpuE2ELNS1_3repE0EEENS1_30default_config_static_selectorELNS0_4arch9wavefront6targetE1EEEvSZ_,comdat
.Lfunc_end2048:
	.size	_ZN7rocprim17ROCPRIM_400000_NS6detail17trampoline_kernelINS0_13select_configILj256ELj13ELNS0_17block_load_methodE3ELS4_3ELS4_3ELNS0_20block_scan_algorithmE0ELj4294967295EEENS1_25partition_config_selectorILNS1_17partition_subalgoE3EjNS0_10empty_typeEbEEZZNS1_14partition_implILS8_3ELb0ES6_jNS0_17counting_iteratorIjlEEPS9_SE_NS0_5tupleIJPjSE_EEENSF_IJSE_SE_EEES9_SG_JZNS1_25segmented_radix_sort_implINS0_14default_configELb0EPK12hip_bfloat16PSL_PKlPlN2at6native12_GLOBAL__N_18offset_tEEE10hipError_tPvRmT1_PNSt15iterator_traitsISZ_E10value_typeET2_T3_PNS10_IS15_E10value_typeET4_jRbjT5_S1B_jjP12ihipStream_tbEUljE_EEESW_SX_SY_S15_S19_S1B_T6_T7_T9_mT8_S1D_bDpT10_ENKUlT_T0_E_clISt17integral_constantIbLb0EES1P_IbLb1EEEEDaS1L_S1M_EUlS1L_E_NS1_11comp_targetILNS1_3genE8ELNS1_11target_archE1030ELNS1_3gpuE2ELNS1_3repE0EEENS1_30default_config_static_selectorELNS0_4arch9wavefront6targetE1EEEvSZ_, .Lfunc_end2048-_ZN7rocprim17ROCPRIM_400000_NS6detail17trampoline_kernelINS0_13select_configILj256ELj13ELNS0_17block_load_methodE3ELS4_3ELS4_3ELNS0_20block_scan_algorithmE0ELj4294967295EEENS1_25partition_config_selectorILNS1_17partition_subalgoE3EjNS0_10empty_typeEbEEZZNS1_14partition_implILS8_3ELb0ES6_jNS0_17counting_iteratorIjlEEPS9_SE_NS0_5tupleIJPjSE_EEENSF_IJSE_SE_EEES9_SG_JZNS1_25segmented_radix_sort_implINS0_14default_configELb0EPK12hip_bfloat16PSL_PKlPlN2at6native12_GLOBAL__N_18offset_tEEE10hipError_tPvRmT1_PNSt15iterator_traitsISZ_E10value_typeET2_T3_PNS10_IS15_E10value_typeET4_jRbjT5_S1B_jjP12ihipStream_tbEUljE_EEESW_SX_SY_S15_S19_S1B_T6_T7_T9_mT8_S1D_bDpT10_ENKUlT_T0_E_clISt17integral_constantIbLb0EES1P_IbLb1EEEEDaS1L_S1M_EUlS1L_E_NS1_11comp_targetILNS1_3genE8ELNS1_11target_archE1030ELNS1_3gpuE2ELNS1_3repE0EEENS1_30default_config_static_selectorELNS0_4arch9wavefront6targetE1EEEvSZ_
                                        ; -- End function
	.set _ZN7rocprim17ROCPRIM_400000_NS6detail17trampoline_kernelINS0_13select_configILj256ELj13ELNS0_17block_load_methodE3ELS4_3ELS4_3ELNS0_20block_scan_algorithmE0ELj4294967295EEENS1_25partition_config_selectorILNS1_17partition_subalgoE3EjNS0_10empty_typeEbEEZZNS1_14partition_implILS8_3ELb0ES6_jNS0_17counting_iteratorIjlEEPS9_SE_NS0_5tupleIJPjSE_EEENSF_IJSE_SE_EEES9_SG_JZNS1_25segmented_radix_sort_implINS0_14default_configELb0EPK12hip_bfloat16PSL_PKlPlN2at6native12_GLOBAL__N_18offset_tEEE10hipError_tPvRmT1_PNSt15iterator_traitsISZ_E10value_typeET2_T3_PNS10_IS15_E10value_typeET4_jRbjT5_S1B_jjP12ihipStream_tbEUljE_EEESW_SX_SY_S15_S19_S1B_T6_T7_T9_mT8_S1D_bDpT10_ENKUlT_T0_E_clISt17integral_constantIbLb0EES1P_IbLb1EEEEDaS1L_S1M_EUlS1L_E_NS1_11comp_targetILNS1_3genE8ELNS1_11target_archE1030ELNS1_3gpuE2ELNS1_3repE0EEENS1_30default_config_static_selectorELNS0_4arch9wavefront6targetE1EEEvSZ_.num_vgpr, 0
	.set _ZN7rocprim17ROCPRIM_400000_NS6detail17trampoline_kernelINS0_13select_configILj256ELj13ELNS0_17block_load_methodE3ELS4_3ELS4_3ELNS0_20block_scan_algorithmE0ELj4294967295EEENS1_25partition_config_selectorILNS1_17partition_subalgoE3EjNS0_10empty_typeEbEEZZNS1_14partition_implILS8_3ELb0ES6_jNS0_17counting_iteratorIjlEEPS9_SE_NS0_5tupleIJPjSE_EEENSF_IJSE_SE_EEES9_SG_JZNS1_25segmented_radix_sort_implINS0_14default_configELb0EPK12hip_bfloat16PSL_PKlPlN2at6native12_GLOBAL__N_18offset_tEEE10hipError_tPvRmT1_PNSt15iterator_traitsISZ_E10value_typeET2_T3_PNS10_IS15_E10value_typeET4_jRbjT5_S1B_jjP12ihipStream_tbEUljE_EEESW_SX_SY_S15_S19_S1B_T6_T7_T9_mT8_S1D_bDpT10_ENKUlT_T0_E_clISt17integral_constantIbLb0EES1P_IbLb1EEEEDaS1L_S1M_EUlS1L_E_NS1_11comp_targetILNS1_3genE8ELNS1_11target_archE1030ELNS1_3gpuE2ELNS1_3repE0EEENS1_30default_config_static_selectorELNS0_4arch9wavefront6targetE1EEEvSZ_.num_agpr, 0
	.set _ZN7rocprim17ROCPRIM_400000_NS6detail17trampoline_kernelINS0_13select_configILj256ELj13ELNS0_17block_load_methodE3ELS4_3ELS4_3ELNS0_20block_scan_algorithmE0ELj4294967295EEENS1_25partition_config_selectorILNS1_17partition_subalgoE3EjNS0_10empty_typeEbEEZZNS1_14partition_implILS8_3ELb0ES6_jNS0_17counting_iteratorIjlEEPS9_SE_NS0_5tupleIJPjSE_EEENSF_IJSE_SE_EEES9_SG_JZNS1_25segmented_radix_sort_implINS0_14default_configELb0EPK12hip_bfloat16PSL_PKlPlN2at6native12_GLOBAL__N_18offset_tEEE10hipError_tPvRmT1_PNSt15iterator_traitsISZ_E10value_typeET2_T3_PNS10_IS15_E10value_typeET4_jRbjT5_S1B_jjP12ihipStream_tbEUljE_EEESW_SX_SY_S15_S19_S1B_T6_T7_T9_mT8_S1D_bDpT10_ENKUlT_T0_E_clISt17integral_constantIbLb0EES1P_IbLb1EEEEDaS1L_S1M_EUlS1L_E_NS1_11comp_targetILNS1_3genE8ELNS1_11target_archE1030ELNS1_3gpuE2ELNS1_3repE0EEENS1_30default_config_static_selectorELNS0_4arch9wavefront6targetE1EEEvSZ_.numbered_sgpr, 0
	.set _ZN7rocprim17ROCPRIM_400000_NS6detail17trampoline_kernelINS0_13select_configILj256ELj13ELNS0_17block_load_methodE3ELS4_3ELS4_3ELNS0_20block_scan_algorithmE0ELj4294967295EEENS1_25partition_config_selectorILNS1_17partition_subalgoE3EjNS0_10empty_typeEbEEZZNS1_14partition_implILS8_3ELb0ES6_jNS0_17counting_iteratorIjlEEPS9_SE_NS0_5tupleIJPjSE_EEENSF_IJSE_SE_EEES9_SG_JZNS1_25segmented_radix_sort_implINS0_14default_configELb0EPK12hip_bfloat16PSL_PKlPlN2at6native12_GLOBAL__N_18offset_tEEE10hipError_tPvRmT1_PNSt15iterator_traitsISZ_E10value_typeET2_T3_PNS10_IS15_E10value_typeET4_jRbjT5_S1B_jjP12ihipStream_tbEUljE_EEESW_SX_SY_S15_S19_S1B_T6_T7_T9_mT8_S1D_bDpT10_ENKUlT_T0_E_clISt17integral_constantIbLb0EES1P_IbLb1EEEEDaS1L_S1M_EUlS1L_E_NS1_11comp_targetILNS1_3genE8ELNS1_11target_archE1030ELNS1_3gpuE2ELNS1_3repE0EEENS1_30default_config_static_selectorELNS0_4arch9wavefront6targetE1EEEvSZ_.num_named_barrier, 0
	.set _ZN7rocprim17ROCPRIM_400000_NS6detail17trampoline_kernelINS0_13select_configILj256ELj13ELNS0_17block_load_methodE3ELS4_3ELS4_3ELNS0_20block_scan_algorithmE0ELj4294967295EEENS1_25partition_config_selectorILNS1_17partition_subalgoE3EjNS0_10empty_typeEbEEZZNS1_14partition_implILS8_3ELb0ES6_jNS0_17counting_iteratorIjlEEPS9_SE_NS0_5tupleIJPjSE_EEENSF_IJSE_SE_EEES9_SG_JZNS1_25segmented_radix_sort_implINS0_14default_configELb0EPK12hip_bfloat16PSL_PKlPlN2at6native12_GLOBAL__N_18offset_tEEE10hipError_tPvRmT1_PNSt15iterator_traitsISZ_E10value_typeET2_T3_PNS10_IS15_E10value_typeET4_jRbjT5_S1B_jjP12ihipStream_tbEUljE_EEESW_SX_SY_S15_S19_S1B_T6_T7_T9_mT8_S1D_bDpT10_ENKUlT_T0_E_clISt17integral_constantIbLb0EES1P_IbLb1EEEEDaS1L_S1M_EUlS1L_E_NS1_11comp_targetILNS1_3genE8ELNS1_11target_archE1030ELNS1_3gpuE2ELNS1_3repE0EEENS1_30default_config_static_selectorELNS0_4arch9wavefront6targetE1EEEvSZ_.private_seg_size, 0
	.set _ZN7rocprim17ROCPRIM_400000_NS6detail17trampoline_kernelINS0_13select_configILj256ELj13ELNS0_17block_load_methodE3ELS4_3ELS4_3ELNS0_20block_scan_algorithmE0ELj4294967295EEENS1_25partition_config_selectorILNS1_17partition_subalgoE3EjNS0_10empty_typeEbEEZZNS1_14partition_implILS8_3ELb0ES6_jNS0_17counting_iteratorIjlEEPS9_SE_NS0_5tupleIJPjSE_EEENSF_IJSE_SE_EEES9_SG_JZNS1_25segmented_radix_sort_implINS0_14default_configELb0EPK12hip_bfloat16PSL_PKlPlN2at6native12_GLOBAL__N_18offset_tEEE10hipError_tPvRmT1_PNSt15iterator_traitsISZ_E10value_typeET2_T3_PNS10_IS15_E10value_typeET4_jRbjT5_S1B_jjP12ihipStream_tbEUljE_EEESW_SX_SY_S15_S19_S1B_T6_T7_T9_mT8_S1D_bDpT10_ENKUlT_T0_E_clISt17integral_constantIbLb0EES1P_IbLb1EEEEDaS1L_S1M_EUlS1L_E_NS1_11comp_targetILNS1_3genE8ELNS1_11target_archE1030ELNS1_3gpuE2ELNS1_3repE0EEENS1_30default_config_static_selectorELNS0_4arch9wavefront6targetE1EEEvSZ_.uses_vcc, 0
	.set _ZN7rocprim17ROCPRIM_400000_NS6detail17trampoline_kernelINS0_13select_configILj256ELj13ELNS0_17block_load_methodE3ELS4_3ELS4_3ELNS0_20block_scan_algorithmE0ELj4294967295EEENS1_25partition_config_selectorILNS1_17partition_subalgoE3EjNS0_10empty_typeEbEEZZNS1_14partition_implILS8_3ELb0ES6_jNS0_17counting_iteratorIjlEEPS9_SE_NS0_5tupleIJPjSE_EEENSF_IJSE_SE_EEES9_SG_JZNS1_25segmented_radix_sort_implINS0_14default_configELb0EPK12hip_bfloat16PSL_PKlPlN2at6native12_GLOBAL__N_18offset_tEEE10hipError_tPvRmT1_PNSt15iterator_traitsISZ_E10value_typeET2_T3_PNS10_IS15_E10value_typeET4_jRbjT5_S1B_jjP12ihipStream_tbEUljE_EEESW_SX_SY_S15_S19_S1B_T6_T7_T9_mT8_S1D_bDpT10_ENKUlT_T0_E_clISt17integral_constantIbLb0EES1P_IbLb1EEEEDaS1L_S1M_EUlS1L_E_NS1_11comp_targetILNS1_3genE8ELNS1_11target_archE1030ELNS1_3gpuE2ELNS1_3repE0EEENS1_30default_config_static_selectorELNS0_4arch9wavefront6targetE1EEEvSZ_.uses_flat_scratch, 0
	.set _ZN7rocprim17ROCPRIM_400000_NS6detail17trampoline_kernelINS0_13select_configILj256ELj13ELNS0_17block_load_methodE3ELS4_3ELS4_3ELNS0_20block_scan_algorithmE0ELj4294967295EEENS1_25partition_config_selectorILNS1_17partition_subalgoE3EjNS0_10empty_typeEbEEZZNS1_14partition_implILS8_3ELb0ES6_jNS0_17counting_iteratorIjlEEPS9_SE_NS0_5tupleIJPjSE_EEENSF_IJSE_SE_EEES9_SG_JZNS1_25segmented_radix_sort_implINS0_14default_configELb0EPK12hip_bfloat16PSL_PKlPlN2at6native12_GLOBAL__N_18offset_tEEE10hipError_tPvRmT1_PNSt15iterator_traitsISZ_E10value_typeET2_T3_PNS10_IS15_E10value_typeET4_jRbjT5_S1B_jjP12ihipStream_tbEUljE_EEESW_SX_SY_S15_S19_S1B_T6_T7_T9_mT8_S1D_bDpT10_ENKUlT_T0_E_clISt17integral_constantIbLb0EES1P_IbLb1EEEEDaS1L_S1M_EUlS1L_E_NS1_11comp_targetILNS1_3genE8ELNS1_11target_archE1030ELNS1_3gpuE2ELNS1_3repE0EEENS1_30default_config_static_selectorELNS0_4arch9wavefront6targetE1EEEvSZ_.has_dyn_sized_stack, 0
	.set _ZN7rocprim17ROCPRIM_400000_NS6detail17trampoline_kernelINS0_13select_configILj256ELj13ELNS0_17block_load_methodE3ELS4_3ELS4_3ELNS0_20block_scan_algorithmE0ELj4294967295EEENS1_25partition_config_selectorILNS1_17partition_subalgoE3EjNS0_10empty_typeEbEEZZNS1_14partition_implILS8_3ELb0ES6_jNS0_17counting_iteratorIjlEEPS9_SE_NS0_5tupleIJPjSE_EEENSF_IJSE_SE_EEES9_SG_JZNS1_25segmented_radix_sort_implINS0_14default_configELb0EPK12hip_bfloat16PSL_PKlPlN2at6native12_GLOBAL__N_18offset_tEEE10hipError_tPvRmT1_PNSt15iterator_traitsISZ_E10value_typeET2_T3_PNS10_IS15_E10value_typeET4_jRbjT5_S1B_jjP12ihipStream_tbEUljE_EEESW_SX_SY_S15_S19_S1B_T6_T7_T9_mT8_S1D_bDpT10_ENKUlT_T0_E_clISt17integral_constantIbLb0EES1P_IbLb1EEEEDaS1L_S1M_EUlS1L_E_NS1_11comp_targetILNS1_3genE8ELNS1_11target_archE1030ELNS1_3gpuE2ELNS1_3repE0EEENS1_30default_config_static_selectorELNS0_4arch9wavefront6targetE1EEEvSZ_.has_recursion, 0
	.set _ZN7rocprim17ROCPRIM_400000_NS6detail17trampoline_kernelINS0_13select_configILj256ELj13ELNS0_17block_load_methodE3ELS4_3ELS4_3ELNS0_20block_scan_algorithmE0ELj4294967295EEENS1_25partition_config_selectorILNS1_17partition_subalgoE3EjNS0_10empty_typeEbEEZZNS1_14partition_implILS8_3ELb0ES6_jNS0_17counting_iteratorIjlEEPS9_SE_NS0_5tupleIJPjSE_EEENSF_IJSE_SE_EEES9_SG_JZNS1_25segmented_radix_sort_implINS0_14default_configELb0EPK12hip_bfloat16PSL_PKlPlN2at6native12_GLOBAL__N_18offset_tEEE10hipError_tPvRmT1_PNSt15iterator_traitsISZ_E10value_typeET2_T3_PNS10_IS15_E10value_typeET4_jRbjT5_S1B_jjP12ihipStream_tbEUljE_EEESW_SX_SY_S15_S19_S1B_T6_T7_T9_mT8_S1D_bDpT10_ENKUlT_T0_E_clISt17integral_constantIbLb0EES1P_IbLb1EEEEDaS1L_S1M_EUlS1L_E_NS1_11comp_targetILNS1_3genE8ELNS1_11target_archE1030ELNS1_3gpuE2ELNS1_3repE0EEENS1_30default_config_static_selectorELNS0_4arch9wavefront6targetE1EEEvSZ_.has_indirect_call, 0
	.section	.AMDGPU.csdata,"",@progbits
; Kernel info:
; codeLenInByte = 0
; TotalNumSgprs: 4
; NumVgprs: 0
; ScratchSize: 0
; MemoryBound: 0
; FloatMode: 240
; IeeeMode: 1
; LDSByteSize: 0 bytes/workgroup (compile time only)
; SGPRBlocks: 0
; VGPRBlocks: 0
; NumSGPRsForWavesPerEU: 4
; NumVGPRsForWavesPerEU: 1
; Occupancy: 10
; WaveLimiterHint : 0
; COMPUTE_PGM_RSRC2:SCRATCH_EN: 0
; COMPUTE_PGM_RSRC2:USER_SGPR: 6
; COMPUTE_PGM_RSRC2:TRAP_HANDLER: 0
; COMPUTE_PGM_RSRC2:TGID_X_EN: 1
; COMPUTE_PGM_RSRC2:TGID_Y_EN: 0
; COMPUTE_PGM_RSRC2:TGID_Z_EN: 0
; COMPUTE_PGM_RSRC2:TIDIG_COMP_CNT: 0
	.section	.text._ZN7rocprim17ROCPRIM_400000_NS6detail17trampoline_kernelINS0_14default_configENS1_36segmented_radix_sort_config_selectorI12hip_bfloat16lEEZNS1_25segmented_radix_sort_implIS3_Lb0EPKS5_PS5_PKlPlN2at6native12_GLOBAL__N_18offset_tEEE10hipError_tPvRmT1_PNSt15iterator_traitsISL_E10value_typeET2_T3_PNSM_ISR_E10value_typeET4_jRbjT5_SX_jjP12ihipStream_tbEUlT_E_NS1_11comp_targetILNS1_3genE0ELNS1_11target_archE4294967295ELNS1_3gpuE0ELNS1_3repE0EEENS1_30default_config_static_selectorELNS0_4arch9wavefront6targetE1EEEvSL_,"axG",@progbits,_ZN7rocprim17ROCPRIM_400000_NS6detail17trampoline_kernelINS0_14default_configENS1_36segmented_radix_sort_config_selectorI12hip_bfloat16lEEZNS1_25segmented_radix_sort_implIS3_Lb0EPKS5_PS5_PKlPlN2at6native12_GLOBAL__N_18offset_tEEE10hipError_tPvRmT1_PNSt15iterator_traitsISL_E10value_typeET2_T3_PNSM_ISR_E10value_typeET4_jRbjT5_SX_jjP12ihipStream_tbEUlT_E_NS1_11comp_targetILNS1_3genE0ELNS1_11target_archE4294967295ELNS1_3gpuE0ELNS1_3repE0EEENS1_30default_config_static_selectorELNS0_4arch9wavefront6targetE1EEEvSL_,comdat
	.globl	_ZN7rocprim17ROCPRIM_400000_NS6detail17trampoline_kernelINS0_14default_configENS1_36segmented_radix_sort_config_selectorI12hip_bfloat16lEEZNS1_25segmented_radix_sort_implIS3_Lb0EPKS5_PS5_PKlPlN2at6native12_GLOBAL__N_18offset_tEEE10hipError_tPvRmT1_PNSt15iterator_traitsISL_E10value_typeET2_T3_PNSM_ISR_E10value_typeET4_jRbjT5_SX_jjP12ihipStream_tbEUlT_E_NS1_11comp_targetILNS1_3genE0ELNS1_11target_archE4294967295ELNS1_3gpuE0ELNS1_3repE0EEENS1_30default_config_static_selectorELNS0_4arch9wavefront6targetE1EEEvSL_ ; -- Begin function _ZN7rocprim17ROCPRIM_400000_NS6detail17trampoline_kernelINS0_14default_configENS1_36segmented_radix_sort_config_selectorI12hip_bfloat16lEEZNS1_25segmented_radix_sort_implIS3_Lb0EPKS5_PS5_PKlPlN2at6native12_GLOBAL__N_18offset_tEEE10hipError_tPvRmT1_PNSt15iterator_traitsISL_E10value_typeET2_T3_PNSM_ISR_E10value_typeET4_jRbjT5_SX_jjP12ihipStream_tbEUlT_E_NS1_11comp_targetILNS1_3genE0ELNS1_11target_archE4294967295ELNS1_3gpuE0ELNS1_3repE0EEENS1_30default_config_static_selectorELNS0_4arch9wavefront6targetE1EEEvSL_
	.p2align	8
	.type	_ZN7rocprim17ROCPRIM_400000_NS6detail17trampoline_kernelINS0_14default_configENS1_36segmented_radix_sort_config_selectorI12hip_bfloat16lEEZNS1_25segmented_radix_sort_implIS3_Lb0EPKS5_PS5_PKlPlN2at6native12_GLOBAL__N_18offset_tEEE10hipError_tPvRmT1_PNSt15iterator_traitsISL_E10value_typeET2_T3_PNSM_ISR_E10value_typeET4_jRbjT5_SX_jjP12ihipStream_tbEUlT_E_NS1_11comp_targetILNS1_3genE0ELNS1_11target_archE4294967295ELNS1_3gpuE0ELNS1_3repE0EEENS1_30default_config_static_selectorELNS0_4arch9wavefront6targetE1EEEvSL_,@function
_ZN7rocprim17ROCPRIM_400000_NS6detail17trampoline_kernelINS0_14default_configENS1_36segmented_radix_sort_config_selectorI12hip_bfloat16lEEZNS1_25segmented_radix_sort_implIS3_Lb0EPKS5_PS5_PKlPlN2at6native12_GLOBAL__N_18offset_tEEE10hipError_tPvRmT1_PNSt15iterator_traitsISL_E10value_typeET2_T3_PNSM_ISR_E10value_typeET4_jRbjT5_SX_jjP12ihipStream_tbEUlT_E_NS1_11comp_targetILNS1_3genE0ELNS1_11target_archE4294967295ELNS1_3gpuE0ELNS1_3repE0EEENS1_30default_config_static_selectorELNS0_4arch9wavefront6targetE1EEEvSL_: ; @_ZN7rocprim17ROCPRIM_400000_NS6detail17trampoline_kernelINS0_14default_configENS1_36segmented_radix_sort_config_selectorI12hip_bfloat16lEEZNS1_25segmented_radix_sort_implIS3_Lb0EPKS5_PS5_PKlPlN2at6native12_GLOBAL__N_18offset_tEEE10hipError_tPvRmT1_PNSt15iterator_traitsISL_E10value_typeET2_T3_PNSM_ISR_E10value_typeET4_jRbjT5_SX_jjP12ihipStream_tbEUlT_E_NS1_11comp_targetILNS1_3genE0ELNS1_11target_archE4294967295ELNS1_3gpuE0ELNS1_3repE0EEENS1_30default_config_static_selectorELNS0_4arch9wavefront6targetE1EEEvSL_
; %bb.0:
	.section	.rodata,"a",@progbits
	.p2align	6, 0x0
	.amdhsa_kernel _ZN7rocprim17ROCPRIM_400000_NS6detail17trampoline_kernelINS0_14default_configENS1_36segmented_radix_sort_config_selectorI12hip_bfloat16lEEZNS1_25segmented_radix_sort_implIS3_Lb0EPKS5_PS5_PKlPlN2at6native12_GLOBAL__N_18offset_tEEE10hipError_tPvRmT1_PNSt15iterator_traitsISL_E10value_typeET2_T3_PNSM_ISR_E10value_typeET4_jRbjT5_SX_jjP12ihipStream_tbEUlT_E_NS1_11comp_targetILNS1_3genE0ELNS1_11target_archE4294967295ELNS1_3gpuE0ELNS1_3repE0EEENS1_30default_config_static_selectorELNS0_4arch9wavefront6targetE1EEEvSL_
		.amdhsa_group_segment_fixed_size 0
		.amdhsa_private_segment_fixed_size 0
		.amdhsa_kernarg_size 96
		.amdhsa_user_sgpr_count 6
		.amdhsa_user_sgpr_private_segment_buffer 1
		.amdhsa_user_sgpr_dispatch_ptr 0
		.amdhsa_user_sgpr_queue_ptr 0
		.amdhsa_user_sgpr_kernarg_segment_ptr 1
		.amdhsa_user_sgpr_dispatch_id 0
		.amdhsa_user_sgpr_flat_scratch_init 0
		.amdhsa_user_sgpr_private_segment_size 0
		.amdhsa_uses_dynamic_stack 0
		.amdhsa_system_sgpr_private_segment_wavefront_offset 0
		.amdhsa_system_sgpr_workgroup_id_x 1
		.amdhsa_system_sgpr_workgroup_id_y 0
		.amdhsa_system_sgpr_workgroup_id_z 0
		.amdhsa_system_sgpr_workgroup_info 0
		.amdhsa_system_vgpr_workitem_id 0
		.amdhsa_next_free_vgpr 1
		.amdhsa_next_free_sgpr 0
		.amdhsa_reserve_vcc 0
		.amdhsa_reserve_flat_scratch 0
		.amdhsa_float_round_mode_32 0
		.amdhsa_float_round_mode_16_64 0
		.amdhsa_float_denorm_mode_32 3
		.amdhsa_float_denorm_mode_16_64 3
		.amdhsa_dx10_clamp 1
		.amdhsa_ieee_mode 1
		.amdhsa_fp16_overflow 0
		.amdhsa_exception_fp_ieee_invalid_op 0
		.amdhsa_exception_fp_denorm_src 0
		.amdhsa_exception_fp_ieee_div_zero 0
		.amdhsa_exception_fp_ieee_overflow 0
		.amdhsa_exception_fp_ieee_underflow 0
		.amdhsa_exception_fp_ieee_inexact 0
		.amdhsa_exception_int_div_zero 0
	.end_amdhsa_kernel
	.section	.text._ZN7rocprim17ROCPRIM_400000_NS6detail17trampoline_kernelINS0_14default_configENS1_36segmented_radix_sort_config_selectorI12hip_bfloat16lEEZNS1_25segmented_radix_sort_implIS3_Lb0EPKS5_PS5_PKlPlN2at6native12_GLOBAL__N_18offset_tEEE10hipError_tPvRmT1_PNSt15iterator_traitsISL_E10value_typeET2_T3_PNSM_ISR_E10value_typeET4_jRbjT5_SX_jjP12ihipStream_tbEUlT_E_NS1_11comp_targetILNS1_3genE0ELNS1_11target_archE4294967295ELNS1_3gpuE0ELNS1_3repE0EEENS1_30default_config_static_selectorELNS0_4arch9wavefront6targetE1EEEvSL_,"axG",@progbits,_ZN7rocprim17ROCPRIM_400000_NS6detail17trampoline_kernelINS0_14default_configENS1_36segmented_radix_sort_config_selectorI12hip_bfloat16lEEZNS1_25segmented_radix_sort_implIS3_Lb0EPKS5_PS5_PKlPlN2at6native12_GLOBAL__N_18offset_tEEE10hipError_tPvRmT1_PNSt15iterator_traitsISL_E10value_typeET2_T3_PNSM_ISR_E10value_typeET4_jRbjT5_SX_jjP12ihipStream_tbEUlT_E_NS1_11comp_targetILNS1_3genE0ELNS1_11target_archE4294967295ELNS1_3gpuE0ELNS1_3repE0EEENS1_30default_config_static_selectorELNS0_4arch9wavefront6targetE1EEEvSL_,comdat
.Lfunc_end2049:
	.size	_ZN7rocprim17ROCPRIM_400000_NS6detail17trampoline_kernelINS0_14default_configENS1_36segmented_radix_sort_config_selectorI12hip_bfloat16lEEZNS1_25segmented_radix_sort_implIS3_Lb0EPKS5_PS5_PKlPlN2at6native12_GLOBAL__N_18offset_tEEE10hipError_tPvRmT1_PNSt15iterator_traitsISL_E10value_typeET2_T3_PNSM_ISR_E10value_typeET4_jRbjT5_SX_jjP12ihipStream_tbEUlT_E_NS1_11comp_targetILNS1_3genE0ELNS1_11target_archE4294967295ELNS1_3gpuE0ELNS1_3repE0EEENS1_30default_config_static_selectorELNS0_4arch9wavefront6targetE1EEEvSL_, .Lfunc_end2049-_ZN7rocprim17ROCPRIM_400000_NS6detail17trampoline_kernelINS0_14default_configENS1_36segmented_radix_sort_config_selectorI12hip_bfloat16lEEZNS1_25segmented_radix_sort_implIS3_Lb0EPKS5_PS5_PKlPlN2at6native12_GLOBAL__N_18offset_tEEE10hipError_tPvRmT1_PNSt15iterator_traitsISL_E10value_typeET2_T3_PNSM_ISR_E10value_typeET4_jRbjT5_SX_jjP12ihipStream_tbEUlT_E_NS1_11comp_targetILNS1_3genE0ELNS1_11target_archE4294967295ELNS1_3gpuE0ELNS1_3repE0EEENS1_30default_config_static_selectorELNS0_4arch9wavefront6targetE1EEEvSL_
                                        ; -- End function
	.set _ZN7rocprim17ROCPRIM_400000_NS6detail17trampoline_kernelINS0_14default_configENS1_36segmented_radix_sort_config_selectorI12hip_bfloat16lEEZNS1_25segmented_radix_sort_implIS3_Lb0EPKS5_PS5_PKlPlN2at6native12_GLOBAL__N_18offset_tEEE10hipError_tPvRmT1_PNSt15iterator_traitsISL_E10value_typeET2_T3_PNSM_ISR_E10value_typeET4_jRbjT5_SX_jjP12ihipStream_tbEUlT_E_NS1_11comp_targetILNS1_3genE0ELNS1_11target_archE4294967295ELNS1_3gpuE0ELNS1_3repE0EEENS1_30default_config_static_selectorELNS0_4arch9wavefront6targetE1EEEvSL_.num_vgpr, 0
	.set _ZN7rocprim17ROCPRIM_400000_NS6detail17trampoline_kernelINS0_14default_configENS1_36segmented_radix_sort_config_selectorI12hip_bfloat16lEEZNS1_25segmented_radix_sort_implIS3_Lb0EPKS5_PS5_PKlPlN2at6native12_GLOBAL__N_18offset_tEEE10hipError_tPvRmT1_PNSt15iterator_traitsISL_E10value_typeET2_T3_PNSM_ISR_E10value_typeET4_jRbjT5_SX_jjP12ihipStream_tbEUlT_E_NS1_11comp_targetILNS1_3genE0ELNS1_11target_archE4294967295ELNS1_3gpuE0ELNS1_3repE0EEENS1_30default_config_static_selectorELNS0_4arch9wavefront6targetE1EEEvSL_.num_agpr, 0
	.set _ZN7rocprim17ROCPRIM_400000_NS6detail17trampoline_kernelINS0_14default_configENS1_36segmented_radix_sort_config_selectorI12hip_bfloat16lEEZNS1_25segmented_radix_sort_implIS3_Lb0EPKS5_PS5_PKlPlN2at6native12_GLOBAL__N_18offset_tEEE10hipError_tPvRmT1_PNSt15iterator_traitsISL_E10value_typeET2_T3_PNSM_ISR_E10value_typeET4_jRbjT5_SX_jjP12ihipStream_tbEUlT_E_NS1_11comp_targetILNS1_3genE0ELNS1_11target_archE4294967295ELNS1_3gpuE0ELNS1_3repE0EEENS1_30default_config_static_selectorELNS0_4arch9wavefront6targetE1EEEvSL_.numbered_sgpr, 0
	.set _ZN7rocprim17ROCPRIM_400000_NS6detail17trampoline_kernelINS0_14default_configENS1_36segmented_radix_sort_config_selectorI12hip_bfloat16lEEZNS1_25segmented_radix_sort_implIS3_Lb0EPKS5_PS5_PKlPlN2at6native12_GLOBAL__N_18offset_tEEE10hipError_tPvRmT1_PNSt15iterator_traitsISL_E10value_typeET2_T3_PNSM_ISR_E10value_typeET4_jRbjT5_SX_jjP12ihipStream_tbEUlT_E_NS1_11comp_targetILNS1_3genE0ELNS1_11target_archE4294967295ELNS1_3gpuE0ELNS1_3repE0EEENS1_30default_config_static_selectorELNS0_4arch9wavefront6targetE1EEEvSL_.num_named_barrier, 0
	.set _ZN7rocprim17ROCPRIM_400000_NS6detail17trampoline_kernelINS0_14default_configENS1_36segmented_radix_sort_config_selectorI12hip_bfloat16lEEZNS1_25segmented_radix_sort_implIS3_Lb0EPKS5_PS5_PKlPlN2at6native12_GLOBAL__N_18offset_tEEE10hipError_tPvRmT1_PNSt15iterator_traitsISL_E10value_typeET2_T3_PNSM_ISR_E10value_typeET4_jRbjT5_SX_jjP12ihipStream_tbEUlT_E_NS1_11comp_targetILNS1_3genE0ELNS1_11target_archE4294967295ELNS1_3gpuE0ELNS1_3repE0EEENS1_30default_config_static_selectorELNS0_4arch9wavefront6targetE1EEEvSL_.private_seg_size, 0
	.set _ZN7rocprim17ROCPRIM_400000_NS6detail17trampoline_kernelINS0_14default_configENS1_36segmented_radix_sort_config_selectorI12hip_bfloat16lEEZNS1_25segmented_radix_sort_implIS3_Lb0EPKS5_PS5_PKlPlN2at6native12_GLOBAL__N_18offset_tEEE10hipError_tPvRmT1_PNSt15iterator_traitsISL_E10value_typeET2_T3_PNSM_ISR_E10value_typeET4_jRbjT5_SX_jjP12ihipStream_tbEUlT_E_NS1_11comp_targetILNS1_3genE0ELNS1_11target_archE4294967295ELNS1_3gpuE0ELNS1_3repE0EEENS1_30default_config_static_selectorELNS0_4arch9wavefront6targetE1EEEvSL_.uses_vcc, 0
	.set _ZN7rocprim17ROCPRIM_400000_NS6detail17trampoline_kernelINS0_14default_configENS1_36segmented_radix_sort_config_selectorI12hip_bfloat16lEEZNS1_25segmented_radix_sort_implIS3_Lb0EPKS5_PS5_PKlPlN2at6native12_GLOBAL__N_18offset_tEEE10hipError_tPvRmT1_PNSt15iterator_traitsISL_E10value_typeET2_T3_PNSM_ISR_E10value_typeET4_jRbjT5_SX_jjP12ihipStream_tbEUlT_E_NS1_11comp_targetILNS1_3genE0ELNS1_11target_archE4294967295ELNS1_3gpuE0ELNS1_3repE0EEENS1_30default_config_static_selectorELNS0_4arch9wavefront6targetE1EEEvSL_.uses_flat_scratch, 0
	.set _ZN7rocprim17ROCPRIM_400000_NS6detail17trampoline_kernelINS0_14default_configENS1_36segmented_radix_sort_config_selectorI12hip_bfloat16lEEZNS1_25segmented_radix_sort_implIS3_Lb0EPKS5_PS5_PKlPlN2at6native12_GLOBAL__N_18offset_tEEE10hipError_tPvRmT1_PNSt15iterator_traitsISL_E10value_typeET2_T3_PNSM_ISR_E10value_typeET4_jRbjT5_SX_jjP12ihipStream_tbEUlT_E_NS1_11comp_targetILNS1_3genE0ELNS1_11target_archE4294967295ELNS1_3gpuE0ELNS1_3repE0EEENS1_30default_config_static_selectorELNS0_4arch9wavefront6targetE1EEEvSL_.has_dyn_sized_stack, 0
	.set _ZN7rocprim17ROCPRIM_400000_NS6detail17trampoline_kernelINS0_14default_configENS1_36segmented_radix_sort_config_selectorI12hip_bfloat16lEEZNS1_25segmented_radix_sort_implIS3_Lb0EPKS5_PS5_PKlPlN2at6native12_GLOBAL__N_18offset_tEEE10hipError_tPvRmT1_PNSt15iterator_traitsISL_E10value_typeET2_T3_PNSM_ISR_E10value_typeET4_jRbjT5_SX_jjP12ihipStream_tbEUlT_E_NS1_11comp_targetILNS1_3genE0ELNS1_11target_archE4294967295ELNS1_3gpuE0ELNS1_3repE0EEENS1_30default_config_static_selectorELNS0_4arch9wavefront6targetE1EEEvSL_.has_recursion, 0
	.set _ZN7rocprim17ROCPRIM_400000_NS6detail17trampoline_kernelINS0_14default_configENS1_36segmented_radix_sort_config_selectorI12hip_bfloat16lEEZNS1_25segmented_radix_sort_implIS3_Lb0EPKS5_PS5_PKlPlN2at6native12_GLOBAL__N_18offset_tEEE10hipError_tPvRmT1_PNSt15iterator_traitsISL_E10value_typeET2_T3_PNSM_ISR_E10value_typeET4_jRbjT5_SX_jjP12ihipStream_tbEUlT_E_NS1_11comp_targetILNS1_3genE0ELNS1_11target_archE4294967295ELNS1_3gpuE0ELNS1_3repE0EEENS1_30default_config_static_selectorELNS0_4arch9wavefront6targetE1EEEvSL_.has_indirect_call, 0
	.section	.AMDGPU.csdata,"",@progbits
; Kernel info:
; codeLenInByte = 0
; TotalNumSgprs: 4
; NumVgprs: 0
; ScratchSize: 0
; MemoryBound: 0
; FloatMode: 240
; IeeeMode: 1
; LDSByteSize: 0 bytes/workgroup (compile time only)
; SGPRBlocks: 0
; VGPRBlocks: 0
; NumSGPRsForWavesPerEU: 4
; NumVGPRsForWavesPerEU: 1
; Occupancy: 10
; WaveLimiterHint : 0
; COMPUTE_PGM_RSRC2:SCRATCH_EN: 0
; COMPUTE_PGM_RSRC2:USER_SGPR: 6
; COMPUTE_PGM_RSRC2:TRAP_HANDLER: 0
; COMPUTE_PGM_RSRC2:TGID_X_EN: 1
; COMPUTE_PGM_RSRC2:TGID_Y_EN: 0
; COMPUTE_PGM_RSRC2:TGID_Z_EN: 0
; COMPUTE_PGM_RSRC2:TIDIG_COMP_CNT: 0
	.section	.text._ZN7rocprim17ROCPRIM_400000_NS6detail17trampoline_kernelINS0_14default_configENS1_36segmented_radix_sort_config_selectorI12hip_bfloat16lEEZNS1_25segmented_radix_sort_implIS3_Lb0EPKS5_PS5_PKlPlN2at6native12_GLOBAL__N_18offset_tEEE10hipError_tPvRmT1_PNSt15iterator_traitsISL_E10value_typeET2_T3_PNSM_ISR_E10value_typeET4_jRbjT5_SX_jjP12ihipStream_tbEUlT_E_NS1_11comp_targetILNS1_3genE5ELNS1_11target_archE942ELNS1_3gpuE9ELNS1_3repE0EEENS1_30default_config_static_selectorELNS0_4arch9wavefront6targetE1EEEvSL_,"axG",@progbits,_ZN7rocprim17ROCPRIM_400000_NS6detail17trampoline_kernelINS0_14default_configENS1_36segmented_radix_sort_config_selectorI12hip_bfloat16lEEZNS1_25segmented_radix_sort_implIS3_Lb0EPKS5_PS5_PKlPlN2at6native12_GLOBAL__N_18offset_tEEE10hipError_tPvRmT1_PNSt15iterator_traitsISL_E10value_typeET2_T3_PNSM_ISR_E10value_typeET4_jRbjT5_SX_jjP12ihipStream_tbEUlT_E_NS1_11comp_targetILNS1_3genE5ELNS1_11target_archE942ELNS1_3gpuE9ELNS1_3repE0EEENS1_30default_config_static_selectorELNS0_4arch9wavefront6targetE1EEEvSL_,comdat
	.globl	_ZN7rocprim17ROCPRIM_400000_NS6detail17trampoline_kernelINS0_14default_configENS1_36segmented_radix_sort_config_selectorI12hip_bfloat16lEEZNS1_25segmented_radix_sort_implIS3_Lb0EPKS5_PS5_PKlPlN2at6native12_GLOBAL__N_18offset_tEEE10hipError_tPvRmT1_PNSt15iterator_traitsISL_E10value_typeET2_T3_PNSM_ISR_E10value_typeET4_jRbjT5_SX_jjP12ihipStream_tbEUlT_E_NS1_11comp_targetILNS1_3genE5ELNS1_11target_archE942ELNS1_3gpuE9ELNS1_3repE0EEENS1_30default_config_static_selectorELNS0_4arch9wavefront6targetE1EEEvSL_ ; -- Begin function _ZN7rocprim17ROCPRIM_400000_NS6detail17trampoline_kernelINS0_14default_configENS1_36segmented_radix_sort_config_selectorI12hip_bfloat16lEEZNS1_25segmented_radix_sort_implIS3_Lb0EPKS5_PS5_PKlPlN2at6native12_GLOBAL__N_18offset_tEEE10hipError_tPvRmT1_PNSt15iterator_traitsISL_E10value_typeET2_T3_PNSM_ISR_E10value_typeET4_jRbjT5_SX_jjP12ihipStream_tbEUlT_E_NS1_11comp_targetILNS1_3genE5ELNS1_11target_archE942ELNS1_3gpuE9ELNS1_3repE0EEENS1_30default_config_static_selectorELNS0_4arch9wavefront6targetE1EEEvSL_
	.p2align	8
	.type	_ZN7rocprim17ROCPRIM_400000_NS6detail17trampoline_kernelINS0_14default_configENS1_36segmented_radix_sort_config_selectorI12hip_bfloat16lEEZNS1_25segmented_radix_sort_implIS3_Lb0EPKS5_PS5_PKlPlN2at6native12_GLOBAL__N_18offset_tEEE10hipError_tPvRmT1_PNSt15iterator_traitsISL_E10value_typeET2_T3_PNSM_ISR_E10value_typeET4_jRbjT5_SX_jjP12ihipStream_tbEUlT_E_NS1_11comp_targetILNS1_3genE5ELNS1_11target_archE942ELNS1_3gpuE9ELNS1_3repE0EEENS1_30default_config_static_selectorELNS0_4arch9wavefront6targetE1EEEvSL_,@function
_ZN7rocprim17ROCPRIM_400000_NS6detail17trampoline_kernelINS0_14default_configENS1_36segmented_radix_sort_config_selectorI12hip_bfloat16lEEZNS1_25segmented_radix_sort_implIS3_Lb0EPKS5_PS5_PKlPlN2at6native12_GLOBAL__N_18offset_tEEE10hipError_tPvRmT1_PNSt15iterator_traitsISL_E10value_typeET2_T3_PNSM_ISR_E10value_typeET4_jRbjT5_SX_jjP12ihipStream_tbEUlT_E_NS1_11comp_targetILNS1_3genE5ELNS1_11target_archE942ELNS1_3gpuE9ELNS1_3repE0EEENS1_30default_config_static_selectorELNS0_4arch9wavefront6targetE1EEEvSL_: ; @_ZN7rocprim17ROCPRIM_400000_NS6detail17trampoline_kernelINS0_14default_configENS1_36segmented_radix_sort_config_selectorI12hip_bfloat16lEEZNS1_25segmented_radix_sort_implIS3_Lb0EPKS5_PS5_PKlPlN2at6native12_GLOBAL__N_18offset_tEEE10hipError_tPvRmT1_PNSt15iterator_traitsISL_E10value_typeET2_T3_PNSM_ISR_E10value_typeET4_jRbjT5_SX_jjP12ihipStream_tbEUlT_E_NS1_11comp_targetILNS1_3genE5ELNS1_11target_archE942ELNS1_3gpuE9ELNS1_3repE0EEENS1_30default_config_static_selectorELNS0_4arch9wavefront6targetE1EEEvSL_
; %bb.0:
	.section	.rodata,"a",@progbits
	.p2align	6, 0x0
	.amdhsa_kernel _ZN7rocprim17ROCPRIM_400000_NS6detail17trampoline_kernelINS0_14default_configENS1_36segmented_radix_sort_config_selectorI12hip_bfloat16lEEZNS1_25segmented_radix_sort_implIS3_Lb0EPKS5_PS5_PKlPlN2at6native12_GLOBAL__N_18offset_tEEE10hipError_tPvRmT1_PNSt15iterator_traitsISL_E10value_typeET2_T3_PNSM_ISR_E10value_typeET4_jRbjT5_SX_jjP12ihipStream_tbEUlT_E_NS1_11comp_targetILNS1_3genE5ELNS1_11target_archE942ELNS1_3gpuE9ELNS1_3repE0EEENS1_30default_config_static_selectorELNS0_4arch9wavefront6targetE1EEEvSL_
		.amdhsa_group_segment_fixed_size 0
		.amdhsa_private_segment_fixed_size 0
		.amdhsa_kernarg_size 96
		.amdhsa_user_sgpr_count 6
		.amdhsa_user_sgpr_private_segment_buffer 1
		.amdhsa_user_sgpr_dispatch_ptr 0
		.amdhsa_user_sgpr_queue_ptr 0
		.amdhsa_user_sgpr_kernarg_segment_ptr 1
		.amdhsa_user_sgpr_dispatch_id 0
		.amdhsa_user_sgpr_flat_scratch_init 0
		.amdhsa_user_sgpr_private_segment_size 0
		.amdhsa_uses_dynamic_stack 0
		.amdhsa_system_sgpr_private_segment_wavefront_offset 0
		.amdhsa_system_sgpr_workgroup_id_x 1
		.amdhsa_system_sgpr_workgroup_id_y 0
		.amdhsa_system_sgpr_workgroup_id_z 0
		.amdhsa_system_sgpr_workgroup_info 0
		.amdhsa_system_vgpr_workitem_id 0
		.amdhsa_next_free_vgpr 1
		.amdhsa_next_free_sgpr 0
		.amdhsa_reserve_vcc 0
		.amdhsa_reserve_flat_scratch 0
		.amdhsa_float_round_mode_32 0
		.amdhsa_float_round_mode_16_64 0
		.amdhsa_float_denorm_mode_32 3
		.amdhsa_float_denorm_mode_16_64 3
		.amdhsa_dx10_clamp 1
		.amdhsa_ieee_mode 1
		.amdhsa_fp16_overflow 0
		.amdhsa_exception_fp_ieee_invalid_op 0
		.amdhsa_exception_fp_denorm_src 0
		.amdhsa_exception_fp_ieee_div_zero 0
		.amdhsa_exception_fp_ieee_overflow 0
		.amdhsa_exception_fp_ieee_underflow 0
		.amdhsa_exception_fp_ieee_inexact 0
		.amdhsa_exception_int_div_zero 0
	.end_amdhsa_kernel
	.section	.text._ZN7rocprim17ROCPRIM_400000_NS6detail17trampoline_kernelINS0_14default_configENS1_36segmented_radix_sort_config_selectorI12hip_bfloat16lEEZNS1_25segmented_radix_sort_implIS3_Lb0EPKS5_PS5_PKlPlN2at6native12_GLOBAL__N_18offset_tEEE10hipError_tPvRmT1_PNSt15iterator_traitsISL_E10value_typeET2_T3_PNSM_ISR_E10value_typeET4_jRbjT5_SX_jjP12ihipStream_tbEUlT_E_NS1_11comp_targetILNS1_3genE5ELNS1_11target_archE942ELNS1_3gpuE9ELNS1_3repE0EEENS1_30default_config_static_selectorELNS0_4arch9wavefront6targetE1EEEvSL_,"axG",@progbits,_ZN7rocprim17ROCPRIM_400000_NS6detail17trampoline_kernelINS0_14default_configENS1_36segmented_radix_sort_config_selectorI12hip_bfloat16lEEZNS1_25segmented_radix_sort_implIS3_Lb0EPKS5_PS5_PKlPlN2at6native12_GLOBAL__N_18offset_tEEE10hipError_tPvRmT1_PNSt15iterator_traitsISL_E10value_typeET2_T3_PNSM_ISR_E10value_typeET4_jRbjT5_SX_jjP12ihipStream_tbEUlT_E_NS1_11comp_targetILNS1_3genE5ELNS1_11target_archE942ELNS1_3gpuE9ELNS1_3repE0EEENS1_30default_config_static_selectorELNS0_4arch9wavefront6targetE1EEEvSL_,comdat
.Lfunc_end2050:
	.size	_ZN7rocprim17ROCPRIM_400000_NS6detail17trampoline_kernelINS0_14default_configENS1_36segmented_radix_sort_config_selectorI12hip_bfloat16lEEZNS1_25segmented_radix_sort_implIS3_Lb0EPKS5_PS5_PKlPlN2at6native12_GLOBAL__N_18offset_tEEE10hipError_tPvRmT1_PNSt15iterator_traitsISL_E10value_typeET2_T3_PNSM_ISR_E10value_typeET4_jRbjT5_SX_jjP12ihipStream_tbEUlT_E_NS1_11comp_targetILNS1_3genE5ELNS1_11target_archE942ELNS1_3gpuE9ELNS1_3repE0EEENS1_30default_config_static_selectorELNS0_4arch9wavefront6targetE1EEEvSL_, .Lfunc_end2050-_ZN7rocprim17ROCPRIM_400000_NS6detail17trampoline_kernelINS0_14default_configENS1_36segmented_radix_sort_config_selectorI12hip_bfloat16lEEZNS1_25segmented_radix_sort_implIS3_Lb0EPKS5_PS5_PKlPlN2at6native12_GLOBAL__N_18offset_tEEE10hipError_tPvRmT1_PNSt15iterator_traitsISL_E10value_typeET2_T3_PNSM_ISR_E10value_typeET4_jRbjT5_SX_jjP12ihipStream_tbEUlT_E_NS1_11comp_targetILNS1_3genE5ELNS1_11target_archE942ELNS1_3gpuE9ELNS1_3repE0EEENS1_30default_config_static_selectorELNS0_4arch9wavefront6targetE1EEEvSL_
                                        ; -- End function
	.set _ZN7rocprim17ROCPRIM_400000_NS6detail17trampoline_kernelINS0_14default_configENS1_36segmented_radix_sort_config_selectorI12hip_bfloat16lEEZNS1_25segmented_radix_sort_implIS3_Lb0EPKS5_PS5_PKlPlN2at6native12_GLOBAL__N_18offset_tEEE10hipError_tPvRmT1_PNSt15iterator_traitsISL_E10value_typeET2_T3_PNSM_ISR_E10value_typeET4_jRbjT5_SX_jjP12ihipStream_tbEUlT_E_NS1_11comp_targetILNS1_3genE5ELNS1_11target_archE942ELNS1_3gpuE9ELNS1_3repE0EEENS1_30default_config_static_selectorELNS0_4arch9wavefront6targetE1EEEvSL_.num_vgpr, 0
	.set _ZN7rocprim17ROCPRIM_400000_NS6detail17trampoline_kernelINS0_14default_configENS1_36segmented_radix_sort_config_selectorI12hip_bfloat16lEEZNS1_25segmented_radix_sort_implIS3_Lb0EPKS5_PS5_PKlPlN2at6native12_GLOBAL__N_18offset_tEEE10hipError_tPvRmT1_PNSt15iterator_traitsISL_E10value_typeET2_T3_PNSM_ISR_E10value_typeET4_jRbjT5_SX_jjP12ihipStream_tbEUlT_E_NS1_11comp_targetILNS1_3genE5ELNS1_11target_archE942ELNS1_3gpuE9ELNS1_3repE0EEENS1_30default_config_static_selectorELNS0_4arch9wavefront6targetE1EEEvSL_.num_agpr, 0
	.set _ZN7rocprim17ROCPRIM_400000_NS6detail17trampoline_kernelINS0_14default_configENS1_36segmented_radix_sort_config_selectorI12hip_bfloat16lEEZNS1_25segmented_radix_sort_implIS3_Lb0EPKS5_PS5_PKlPlN2at6native12_GLOBAL__N_18offset_tEEE10hipError_tPvRmT1_PNSt15iterator_traitsISL_E10value_typeET2_T3_PNSM_ISR_E10value_typeET4_jRbjT5_SX_jjP12ihipStream_tbEUlT_E_NS1_11comp_targetILNS1_3genE5ELNS1_11target_archE942ELNS1_3gpuE9ELNS1_3repE0EEENS1_30default_config_static_selectorELNS0_4arch9wavefront6targetE1EEEvSL_.numbered_sgpr, 0
	.set _ZN7rocprim17ROCPRIM_400000_NS6detail17trampoline_kernelINS0_14default_configENS1_36segmented_radix_sort_config_selectorI12hip_bfloat16lEEZNS1_25segmented_radix_sort_implIS3_Lb0EPKS5_PS5_PKlPlN2at6native12_GLOBAL__N_18offset_tEEE10hipError_tPvRmT1_PNSt15iterator_traitsISL_E10value_typeET2_T3_PNSM_ISR_E10value_typeET4_jRbjT5_SX_jjP12ihipStream_tbEUlT_E_NS1_11comp_targetILNS1_3genE5ELNS1_11target_archE942ELNS1_3gpuE9ELNS1_3repE0EEENS1_30default_config_static_selectorELNS0_4arch9wavefront6targetE1EEEvSL_.num_named_barrier, 0
	.set _ZN7rocprim17ROCPRIM_400000_NS6detail17trampoline_kernelINS0_14default_configENS1_36segmented_radix_sort_config_selectorI12hip_bfloat16lEEZNS1_25segmented_radix_sort_implIS3_Lb0EPKS5_PS5_PKlPlN2at6native12_GLOBAL__N_18offset_tEEE10hipError_tPvRmT1_PNSt15iterator_traitsISL_E10value_typeET2_T3_PNSM_ISR_E10value_typeET4_jRbjT5_SX_jjP12ihipStream_tbEUlT_E_NS1_11comp_targetILNS1_3genE5ELNS1_11target_archE942ELNS1_3gpuE9ELNS1_3repE0EEENS1_30default_config_static_selectorELNS0_4arch9wavefront6targetE1EEEvSL_.private_seg_size, 0
	.set _ZN7rocprim17ROCPRIM_400000_NS6detail17trampoline_kernelINS0_14default_configENS1_36segmented_radix_sort_config_selectorI12hip_bfloat16lEEZNS1_25segmented_radix_sort_implIS3_Lb0EPKS5_PS5_PKlPlN2at6native12_GLOBAL__N_18offset_tEEE10hipError_tPvRmT1_PNSt15iterator_traitsISL_E10value_typeET2_T3_PNSM_ISR_E10value_typeET4_jRbjT5_SX_jjP12ihipStream_tbEUlT_E_NS1_11comp_targetILNS1_3genE5ELNS1_11target_archE942ELNS1_3gpuE9ELNS1_3repE0EEENS1_30default_config_static_selectorELNS0_4arch9wavefront6targetE1EEEvSL_.uses_vcc, 0
	.set _ZN7rocprim17ROCPRIM_400000_NS6detail17trampoline_kernelINS0_14default_configENS1_36segmented_radix_sort_config_selectorI12hip_bfloat16lEEZNS1_25segmented_radix_sort_implIS3_Lb0EPKS5_PS5_PKlPlN2at6native12_GLOBAL__N_18offset_tEEE10hipError_tPvRmT1_PNSt15iterator_traitsISL_E10value_typeET2_T3_PNSM_ISR_E10value_typeET4_jRbjT5_SX_jjP12ihipStream_tbEUlT_E_NS1_11comp_targetILNS1_3genE5ELNS1_11target_archE942ELNS1_3gpuE9ELNS1_3repE0EEENS1_30default_config_static_selectorELNS0_4arch9wavefront6targetE1EEEvSL_.uses_flat_scratch, 0
	.set _ZN7rocprim17ROCPRIM_400000_NS6detail17trampoline_kernelINS0_14default_configENS1_36segmented_radix_sort_config_selectorI12hip_bfloat16lEEZNS1_25segmented_radix_sort_implIS3_Lb0EPKS5_PS5_PKlPlN2at6native12_GLOBAL__N_18offset_tEEE10hipError_tPvRmT1_PNSt15iterator_traitsISL_E10value_typeET2_T3_PNSM_ISR_E10value_typeET4_jRbjT5_SX_jjP12ihipStream_tbEUlT_E_NS1_11comp_targetILNS1_3genE5ELNS1_11target_archE942ELNS1_3gpuE9ELNS1_3repE0EEENS1_30default_config_static_selectorELNS0_4arch9wavefront6targetE1EEEvSL_.has_dyn_sized_stack, 0
	.set _ZN7rocprim17ROCPRIM_400000_NS6detail17trampoline_kernelINS0_14default_configENS1_36segmented_radix_sort_config_selectorI12hip_bfloat16lEEZNS1_25segmented_radix_sort_implIS3_Lb0EPKS5_PS5_PKlPlN2at6native12_GLOBAL__N_18offset_tEEE10hipError_tPvRmT1_PNSt15iterator_traitsISL_E10value_typeET2_T3_PNSM_ISR_E10value_typeET4_jRbjT5_SX_jjP12ihipStream_tbEUlT_E_NS1_11comp_targetILNS1_3genE5ELNS1_11target_archE942ELNS1_3gpuE9ELNS1_3repE0EEENS1_30default_config_static_selectorELNS0_4arch9wavefront6targetE1EEEvSL_.has_recursion, 0
	.set _ZN7rocprim17ROCPRIM_400000_NS6detail17trampoline_kernelINS0_14default_configENS1_36segmented_radix_sort_config_selectorI12hip_bfloat16lEEZNS1_25segmented_radix_sort_implIS3_Lb0EPKS5_PS5_PKlPlN2at6native12_GLOBAL__N_18offset_tEEE10hipError_tPvRmT1_PNSt15iterator_traitsISL_E10value_typeET2_T3_PNSM_ISR_E10value_typeET4_jRbjT5_SX_jjP12ihipStream_tbEUlT_E_NS1_11comp_targetILNS1_3genE5ELNS1_11target_archE942ELNS1_3gpuE9ELNS1_3repE0EEENS1_30default_config_static_selectorELNS0_4arch9wavefront6targetE1EEEvSL_.has_indirect_call, 0
	.section	.AMDGPU.csdata,"",@progbits
; Kernel info:
; codeLenInByte = 0
; TotalNumSgprs: 4
; NumVgprs: 0
; ScratchSize: 0
; MemoryBound: 0
; FloatMode: 240
; IeeeMode: 1
; LDSByteSize: 0 bytes/workgroup (compile time only)
; SGPRBlocks: 0
; VGPRBlocks: 0
; NumSGPRsForWavesPerEU: 4
; NumVGPRsForWavesPerEU: 1
; Occupancy: 10
; WaveLimiterHint : 0
; COMPUTE_PGM_RSRC2:SCRATCH_EN: 0
; COMPUTE_PGM_RSRC2:USER_SGPR: 6
; COMPUTE_PGM_RSRC2:TRAP_HANDLER: 0
; COMPUTE_PGM_RSRC2:TGID_X_EN: 1
; COMPUTE_PGM_RSRC2:TGID_Y_EN: 0
; COMPUTE_PGM_RSRC2:TGID_Z_EN: 0
; COMPUTE_PGM_RSRC2:TIDIG_COMP_CNT: 0
	.section	.text._ZN7rocprim17ROCPRIM_400000_NS6detail17trampoline_kernelINS0_14default_configENS1_36segmented_radix_sort_config_selectorI12hip_bfloat16lEEZNS1_25segmented_radix_sort_implIS3_Lb0EPKS5_PS5_PKlPlN2at6native12_GLOBAL__N_18offset_tEEE10hipError_tPvRmT1_PNSt15iterator_traitsISL_E10value_typeET2_T3_PNSM_ISR_E10value_typeET4_jRbjT5_SX_jjP12ihipStream_tbEUlT_E_NS1_11comp_targetILNS1_3genE4ELNS1_11target_archE910ELNS1_3gpuE8ELNS1_3repE0EEENS1_30default_config_static_selectorELNS0_4arch9wavefront6targetE1EEEvSL_,"axG",@progbits,_ZN7rocprim17ROCPRIM_400000_NS6detail17trampoline_kernelINS0_14default_configENS1_36segmented_radix_sort_config_selectorI12hip_bfloat16lEEZNS1_25segmented_radix_sort_implIS3_Lb0EPKS5_PS5_PKlPlN2at6native12_GLOBAL__N_18offset_tEEE10hipError_tPvRmT1_PNSt15iterator_traitsISL_E10value_typeET2_T3_PNSM_ISR_E10value_typeET4_jRbjT5_SX_jjP12ihipStream_tbEUlT_E_NS1_11comp_targetILNS1_3genE4ELNS1_11target_archE910ELNS1_3gpuE8ELNS1_3repE0EEENS1_30default_config_static_selectorELNS0_4arch9wavefront6targetE1EEEvSL_,comdat
	.globl	_ZN7rocprim17ROCPRIM_400000_NS6detail17trampoline_kernelINS0_14default_configENS1_36segmented_radix_sort_config_selectorI12hip_bfloat16lEEZNS1_25segmented_radix_sort_implIS3_Lb0EPKS5_PS5_PKlPlN2at6native12_GLOBAL__N_18offset_tEEE10hipError_tPvRmT1_PNSt15iterator_traitsISL_E10value_typeET2_T3_PNSM_ISR_E10value_typeET4_jRbjT5_SX_jjP12ihipStream_tbEUlT_E_NS1_11comp_targetILNS1_3genE4ELNS1_11target_archE910ELNS1_3gpuE8ELNS1_3repE0EEENS1_30default_config_static_selectorELNS0_4arch9wavefront6targetE1EEEvSL_ ; -- Begin function _ZN7rocprim17ROCPRIM_400000_NS6detail17trampoline_kernelINS0_14default_configENS1_36segmented_radix_sort_config_selectorI12hip_bfloat16lEEZNS1_25segmented_radix_sort_implIS3_Lb0EPKS5_PS5_PKlPlN2at6native12_GLOBAL__N_18offset_tEEE10hipError_tPvRmT1_PNSt15iterator_traitsISL_E10value_typeET2_T3_PNSM_ISR_E10value_typeET4_jRbjT5_SX_jjP12ihipStream_tbEUlT_E_NS1_11comp_targetILNS1_3genE4ELNS1_11target_archE910ELNS1_3gpuE8ELNS1_3repE0EEENS1_30default_config_static_selectorELNS0_4arch9wavefront6targetE1EEEvSL_
	.p2align	8
	.type	_ZN7rocprim17ROCPRIM_400000_NS6detail17trampoline_kernelINS0_14default_configENS1_36segmented_radix_sort_config_selectorI12hip_bfloat16lEEZNS1_25segmented_radix_sort_implIS3_Lb0EPKS5_PS5_PKlPlN2at6native12_GLOBAL__N_18offset_tEEE10hipError_tPvRmT1_PNSt15iterator_traitsISL_E10value_typeET2_T3_PNSM_ISR_E10value_typeET4_jRbjT5_SX_jjP12ihipStream_tbEUlT_E_NS1_11comp_targetILNS1_3genE4ELNS1_11target_archE910ELNS1_3gpuE8ELNS1_3repE0EEENS1_30default_config_static_selectorELNS0_4arch9wavefront6targetE1EEEvSL_,@function
_ZN7rocprim17ROCPRIM_400000_NS6detail17trampoline_kernelINS0_14default_configENS1_36segmented_radix_sort_config_selectorI12hip_bfloat16lEEZNS1_25segmented_radix_sort_implIS3_Lb0EPKS5_PS5_PKlPlN2at6native12_GLOBAL__N_18offset_tEEE10hipError_tPvRmT1_PNSt15iterator_traitsISL_E10value_typeET2_T3_PNSM_ISR_E10value_typeET4_jRbjT5_SX_jjP12ihipStream_tbEUlT_E_NS1_11comp_targetILNS1_3genE4ELNS1_11target_archE910ELNS1_3gpuE8ELNS1_3repE0EEENS1_30default_config_static_selectorELNS0_4arch9wavefront6targetE1EEEvSL_: ; @_ZN7rocprim17ROCPRIM_400000_NS6detail17trampoline_kernelINS0_14default_configENS1_36segmented_radix_sort_config_selectorI12hip_bfloat16lEEZNS1_25segmented_radix_sort_implIS3_Lb0EPKS5_PS5_PKlPlN2at6native12_GLOBAL__N_18offset_tEEE10hipError_tPvRmT1_PNSt15iterator_traitsISL_E10value_typeET2_T3_PNSM_ISR_E10value_typeET4_jRbjT5_SX_jjP12ihipStream_tbEUlT_E_NS1_11comp_targetILNS1_3genE4ELNS1_11target_archE910ELNS1_3gpuE8ELNS1_3repE0EEENS1_30default_config_static_selectorELNS0_4arch9wavefront6targetE1EEEvSL_
; %bb.0:
	.section	.rodata,"a",@progbits
	.p2align	6, 0x0
	.amdhsa_kernel _ZN7rocprim17ROCPRIM_400000_NS6detail17trampoline_kernelINS0_14default_configENS1_36segmented_radix_sort_config_selectorI12hip_bfloat16lEEZNS1_25segmented_radix_sort_implIS3_Lb0EPKS5_PS5_PKlPlN2at6native12_GLOBAL__N_18offset_tEEE10hipError_tPvRmT1_PNSt15iterator_traitsISL_E10value_typeET2_T3_PNSM_ISR_E10value_typeET4_jRbjT5_SX_jjP12ihipStream_tbEUlT_E_NS1_11comp_targetILNS1_3genE4ELNS1_11target_archE910ELNS1_3gpuE8ELNS1_3repE0EEENS1_30default_config_static_selectorELNS0_4arch9wavefront6targetE1EEEvSL_
		.amdhsa_group_segment_fixed_size 0
		.amdhsa_private_segment_fixed_size 0
		.amdhsa_kernarg_size 96
		.amdhsa_user_sgpr_count 6
		.amdhsa_user_sgpr_private_segment_buffer 1
		.amdhsa_user_sgpr_dispatch_ptr 0
		.amdhsa_user_sgpr_queue_ptr 0
		.amdhsa_user_sgpr_kernarg_segment_ptr 1
		.amdhsa_user_sgpr_dispatch_id 0
		.amdhsa_user_sgpr_flat_scratch_init 0
		.amdhsa_user_sgpr_private_segment_size 0
		.amdhsa_uses_dynamic_stack 0
		.amdhsa_system_sgpr_private_segment_wavefront_offset 0
		.amdhsa_system_sgpr_workgroup_id_x 1
		.amdhsa_system_sgpr_workgroup_id_y 0
		.amdhsa_system_sgpr_workgroup_id_z 0
		.amdhsa_system_sgpr_workgroup_info 0
		.amdhsa_system_vgpr_workitem_id 0
		.amdhsa_next_free_vgpr 1
		.amdhsa_next_free_sgpr 0
		.amdhsa_reserve_vcc 0
		.amdhsa_reserve_flat_scratch 0
		.amdhsa_float_round_mode_32 0
		.amdhsa_float_round_mode_16_64 0
		.amdhsa_float_denorm_mode_32 3
		.amdhsa_float_denorm_mode_16_64 3
		.amdhsa_dx10_clamp 1
		.amdhsa_ieee_mode 1
		.amdhsa_fp16_overflow 0
		.amdhsa_exception_fp_ieee_invalid_op 0
		.amdhsa_exception_fp_denorm_src 0
		.amdhsa_exception_fp_ieee_div_zero 0
		.amdhsa_exception_fp_ieee_overflow 0
		.amdhsa_exception_fp_ieee_underflow 0
		.amdhsa_exception_fp_ieee_inexact 0
		.amdhsa_exception_int_div_zero 0
	.end_amdhsa_kernel
	.section	.text._ZN7rocprim17ROCPRIM_400000_NS6detail17trampoline_kernelINS0_14default_configENS1_36segmented_radix_sort_config_selectorI12hip_bfloat16lEEZNS1_25segmented_radix_sort_implIS3_Lb0EPKS5_PS5_PKlPlN2at6native12_GLOBAL__N_18offset_tEEE10hipError_tPvRmT1_PNSt15iterator_traitsISL_E10value_typeET2_T3_PNSM_ISR_E10value_typeET4_jRbjT5_SX_jjP12ihipStream_tbEUlT_E_NS1_11comp_targetILNS1_3genE4ELNS1_11target_archE910ELNS1_3gpuE8ELNS1_3repE0EEENS1_30default_config_static_selectorELNS0_4arch9wavefront6targetE1EEEvSL_,"axG",@progbits,_ZN7rocprim17ROCPRIM_400000_NS6detail17trampoline_kernelINS0_14default_configENS1_36segmented_radix_sort_config_selectorI12hip_bfloat16lEEZNS1_25segmented_radix_sort_implIS3_Lb0EPKS5_PS5_PKlPlN2at6native12_GLOBAL__N_18offset_tEEE10hipError_tPvRmT1_PNSt15iterator_traitsISL_E10value_typeET2_T3_PNSM_ISR_E10value_typeET4_jRbjT5_SX_jjP12ihipStream_tbEUlT_E_NS1_11comp_targetILNS1_3genE4ELNS1_11target_archE910ELNS1_3gpuE8ELNS1_3repE0EEENS1_30default_config_static_selectorELNS0_4arch9wavefront6targetE1EEEvSL_,comdat
.Lfunc_end2051:
	.size	_ZN7rocprim17ROCPRIM_400000_NS6detail17trampoline_kernelINS0_14default_configENS1_36segmented_radix_sort_config_selectorI12hip_bfloat16lEEZNS1_25segmented_radix_sort_implIS3_Lb0EPKS5_PS5_PKlPlN2at6native12_GLOBAL__N_18offset_tEEE10hipError_tPvRmT1_PNSt15iterator_traitsISL_E10value_typeET2_T3_PNSM_ISR_E10value_typeET4_jRbjT5_SX_jjP12ihipStream_tbEUlT_E_NS1_11comp_targetILNS1_3genE4ELNS1_11target_archE910ELNS1_3gpuE8ELNS1_3repE0EEENS1_30default_config_static_selectorELNS0_4arch9wavefront6targetE1EEEvSL_, .Lfunc_end2051-_ZN7rocprim17ROCPRIM_400000_NS6detail17trampoline_kernelINS0_14default_configENS1_36segmented_radix_sort_config_selectorI12hip_bfloat16lEEZNS1_25segmented_radix_sort_implIS3_Lb0EPKS5_PS5_PKlPlN2at6native12_GLOBAL__N_18offset_tEEE10hipError_tPvRmT1_PNSt15iterator_traitsISL_E10value_typeET2_T3_PNSM_ISR_E10value_typeET4_jRbjT5_SX_jjP12ihipStream_tbEUlT_E_NS1_11comp_targetILNS1_3genE4ELNS1_11target_archE910ELNS1_3gpuE8ELNS1_3repE0EEENS1_30default_config_static_selectorELNS0_4arch9wavefront6targetE1EEEvSL_
                                        ; -- End function
	.set _ZN7rocprim17ROCPRIM_400000_NS6detail17trampoline_kernelINS0_14default_configENS1_36segmented_radix_sort_config_selectorI12hip_bfloat16lEEZNS1_25segmented_radix_sort_implIS3_Lb0EPKS5_PS5_PKlPlN2at6native12_GLOBAL__N_18offset_tEEE10hipError_tPvRmT1_PNSt15iterator_traitsISL_E10value_typeET2_T3_PNSM_ISR_E10value_typeET4_jRbjT5_SX_jjP12ihipStream_tbEUlT_E_NS1_11comp_targetILNS1_3genE4ELNS1_11target_archE910ELNS1_3gpuE8ELNS1_3repE0EEENS1_30default_config_static_selectorELNS0_4arch9wavefront6targetE1EEEvSL_.num_vgpr, 0
	.set _ZN7rocprim17ROCPRIM_400000_NS6detail17trampoline_kernelINS0_14default_configENS1_36segmented_radix_sort_config_selectorI12hip_bfloat16lEEZNS1_25segmented_radix_sort_implIS3_Lb0EPKS5_PS5_PKlPlN2at6native12_GLOBAL__N_18offset_tEEE10hipError_tPvRmT1_PNSt15iterator_traitsISL_E10value_typeET2_T3_PNSM_ISR_E10value_typeET4_jRbjT5_SX_jjP12ihipStream_tbEUlT_E_NS1_11comp_targetILNS1_3genE4ELNS1_11target_archE910ELNS1_3gpuE8ELNS1_3repE0EEENS1_30default_config_static_selectorELNS0_4arch9wavefront6targetE1EEEvSL_.num_agpr, 0
	.set _ZN7rocprim17ROCPRIM_400000_NS6detail17trampoline_kernelINS0_14default_configENS1_36segmented_radix_sort_config_selectorI12hip_bfloat16lEEZNS1_25segmented_radix_sort_implIS3_Lb0EPKS5_PS5_PKlPlN2at6native12_GLOBAL__N_18offset_tEEE10hipError_tPvRmT1_PNSt15iterator_traitsISL_E10value_typeET2_T3_PNSM_ISR_E10value_typeET4_jRbjT5_SX_jjP12ihipStream_tbEUlT_E_NS1_11comp_targetILNS1_3genE4ELNS1_11target_archE910ELNS1_3gpuE8ELNS1_3repE0EEENS1_30default_config_static_selectorELNS0_4arch9wavefront6targetE1EEEvSL_.numbered_sgpr, 0
	.set _ZN7rocprim17ROCPRIM_400000_NS6detail17trampoline_kernelINS0_14default_configENS1_36segmented_radix_sort_config_selectorI12hip_bfloat16lEEZNS1_25segmented_radix_sort_implIS3_Lb0EPKS5_PS5_PKlPlN2at6native12_GLOBAL__N_18offset_tEEE10hipError_tPvRmT1_PNSt15iterator_traitsISL_E10value_typeET2_T3_PNSM_ISR_E10value_typeET4_jRbjT5_SX_jjP12ihipStream_tbEUlT_E_NS1_11comp_targetILNS1_3genE4ELNS1_11target_archE910ELNS1_3gpuE8ELNS1_3repE0EEENS1_30default_config_static_selectorELNS0_4arch9wavefront6targetE1EEEvSL_.num_named_barrier, 0
	.set _ZN7rocprim17ROCPRIM_400000_NS6detail17trampoline_kernelINS0_14default_configENS1_36segmented_radix_sort_config_selectorI12hip_bfloat16lEEZNS1_25segmented_radix_sort_implIS3_Lb0EPKS5_PS5_PKlPlN2at6native12_GLOBAL__N_18offset_tEEE10hipError_tPvRmT1_PNSt15iterator_traitsISL_E10value_typeET2_T3_PNSM_ISR_E10value_typeET4_jRbjT5_SX_jjP12ihipStream_tbEUlT_E_NS1_11comp_targetILNS1_3genE4ELNS1_11target_archE910ELNS1_3gpuE8ELNS1_3repE0EEENS1_30default_config_static_selectorELNS0_4arch9wavefront6targetE1EEEvSL_.private_seg_size, 0
	.set _ZN7rocprim17ROCPRIM_400000_NS6detail17trampoline_kernelINS0_14default_configENS1_36segmented_radix_sort_config_selectorI12hip_bfloat16lEEZNS1_25segmented_radix_sort_implIS3_Lb0EPKS5_PS5_PKlPlN2at6native12_GLOBAL__N_18offset_tEEE10hipError_tPvRmT1_PNSt15iterator_traitsISL_E10value_typeET2_T3_PNSM_ISR_E10value_typeET4_jRbjT5_SX_jjP12ihipStream_tbEUlT_E_NS1_11comp_targetILNS1_3genE4ELNS1_11target_archE910ELNS1_3gpuE8ELNS1_3repE0EEENS1_30default_config_static_selectorELNS0_4arch9wavefront6targetE1EEEvSL_.uses_vcc, 0
	.set _ZN7rocprim17ROCPRIM_400000_NS6detail17trampoline_kernelINS0_14default_configENS1_36segmented_radix_sort_config_selectorI12hip_bfloat16lEEZNS1_25segmented_radix_sort_implIS3_Lb0EPKS5_PS5_PKlPlN2at6native12_GLOBAL__N_18offset_tEEE10hipError_tPvRmT1_PNSt15iterator_traitsISL_E10value_typeET2_T3_PNSM_ISR_E10value_typeET4_jRbjT5_SX_jjP12ihipStream_tbEUlT_E_NS1_11comp_targetILNS1_3genE4ELNS1_11target_archE910ELNS1_3gpuE8ELNS1_3repE0EEENS1_30default_config_static_selectorELNS0_4arch9wavefront6targetE1EEEvSL_.uses_flat_scratch, 0
	.set _ZN7rocprim17ROCPRIM_400000_NS6detail17trampoline_kernelINS0_14default_configENS1_36segmented_radix_sort_config_selectorI12hip_bfloat16lEEZNS1_25segmented_radix_sort_implIS3_Lb0EPKS5_PS5_PKlPlN2at6native12_GLOBAL__N_18offset_tEEE10hipError_tPvRmT1_PNSt15iterator_traitsISL_E10value_typeET2_T3_PNSM_ISR_E10value_typeET4_jRbjT5_SX_jjP12ihipStream_tbEUlT_E_NS1_11comp_targetILNS1_3genE4ELNS1_11target_archE910ELNS1_3gpuE8ELNS1_3repE0EEENS1_30default_config_static_selectorELNS0_4arch9wavefront6targetE1EEEvSL_.has_dyn_sized_stack, 0
	.set _ZN7rocprim17ROCPRIM_400000_NS6detail17trampoline_kernelINS0_14default_configENS1_36segmented_radix_sort_config_selectorI12hip_bfloat16lEEZNS1_25segmented_radix_sort_implIS3_Lb0EPKS5_PS5_PKlPlN2at6native12_GLOBAL__N_18offset_tEEE10hipError_tPvRmT1_PNSt15iterator_traitsISL_E10value_typeET2_T3_PNSM_ISR_E10value_typeET4_jRbjT5_SX_jjP12ihipStream_tbEUlT_E_NS1_11comp_targetILNS1_3genE4ELNS1_11target_archE910ELNS1_3gpuE8ELNS1_3repE0EEENS1_30default_config_static_selectorELNS0_4arch9wavefront6targetE1EEEvSL_.has_recursion, 0
	.set _ZN7rocprim17ROCPRIM_400000_NS6detail17trampoline_kernelINS0_14default_configENS1_36segmented_radix_sort_config_selectorI12hip_bfloat16lEEZNS1_25segmented_radix_sort_implIS3_Lb0EPKS5_PS5_PKlPlN2at6native12_GLOBAL__N_18offset_tEEE10hipError_tPvRmT1_PNSt15iterator_traitsISL_E10value_typeET2_T3_PNSM_ISR_E10value_typeET4_jRbjT5_SX_jjP12ihipStream_tbEUlT_E_NS1_11comp_targetILNS1_3genE4ELNS1_11target_archE910ELNS1_3gpuE8ELNS1_3repE0EEENS1_30default_config_static_selectorELNS0_4arch9wavefront6targetE1EEEvSL_.has_indirect_call, 0
	.section	.AMDGPU.csdata,"",@progbits
; Kernel info:
; codeLenInByte = 0
; TotalNumSgprs: 4
; NumVgprs: 0
; ScratchSize: 0
; MemoryBound: 0
; FloatMode: 240
; IeeeMode: 1
; LDSByteSize: 0 bytes/workgroup (compile time only)
; SGPRBlocks: 0
; VGPRBlocks: 0
; NumSGPRsForWavesPerEU: 4
; NumVGPRsForWavesPerEU: 1
; Occupancy: 10
; WaveLimiterHint : 0
; COMPUTE_PGM_RSRC2:SCRATCH_EN: 0
; COMPUTE_PGM_RSRC2:USER_SGPR: 6
; COMPUTE_PGM_RSRC2:TRAP_HANDLER: 0
; COMPUTE_PGM_RSRC2:TGID_X_EN: 1
; COMPUTE_PGM_RSRC2:TGID_Y_EN: 0
; COMPUTE_PGM_RSRC2:TGID_Z_EN: 0
; COMPUTE_PGM_RSRC2:TIDIG_COMP_CNT: 0
	.section	.text._ZN7rocprim17ROCPRIM_400000_NS6detail17trampoline_kernelINS0_14default_configENS1_36segmented_radix_sort_config_selectorI12hip_bfloat16lEEZNS1_25segmented_radix_sort_implIS3_Lb0EPKS5_PS5_PKlPlN2at6native12_GLOBAL__N_18offset_tEEE10hipError_tPvRmT1_PNSt15iterator_traitsISL_E10value_typeET2_T3_PNSM_ISR_E10value_typeET4_jRbjT5_SX_jjP12ihipStream_tbEUlT_E_NS1_11comp_targetILNS1_3genE3ELNS1_11target_archE908ELNS1_3gpuE7ELNS1_3repE0EEENS1_30default_config_static_selectorELNS0_4arch9wavefront6targetE1EEEvSL_,"axG",@progbits,_ZN7rocprim17ROCPRIM_400000_NS6detail17trampoline_kernelINS0_14default_configENS1_36segmented_radix_sort_config_selectorI12hip_bfloat16lEEZNS1_25segmented_radix_sort_implIS3_Lb0EPKS5_PS5_PKlPlN2at6native12_GLOBAL__N_18offset_tEEE10hipError_tPvRmT1_PNSt15iterator_traitsISL_E10value_typeET2_T3_PNSM_ISR_E10value_typeET4_jRbjT5_SX_jjP12ihipStream_tbEUlT_E_NS1_11comp_targetILNS1_3genE3ELNS1_11target_archE908ELNS1_3gpuE7ELNS1_3repE0EEENS1_30default_config_static_selectorELNS0_4arch9wavefront6targetE1EEEvSL_,comdat
	.globl	_ZN7rocprim17ROCPRIM_400000_NS6detail17trampoline_kernelINS0_14default_configENS1_36segmented_radix_sort_config_selectorI12hip_bfloat16lEEZNS1_25segmented_radix_sort_implIS3_Lb0EPKS5_PS5_PKlPlN2at6native12_GLOBAL__N_18offset_tEEE10hipError_tPvRmT1_PNSt15iterator_traitsISL_E10value_typeET2_T3_PNSM_ISR_E10value_typeET4_jRbjT5_SX_jjP12ihipStream_tbEUlT_E_NS1_11comp_targetILNS1_3genE3ELNS1_11target_archE908ELNS1_3gpuE7ELNS1_3repE0EEENS1_30default_config_static_selectorELNS0_4arch9wavefront6targetE1EEEvSL_ ; -- Begin function _ZN7rocprim17ROCPRIM_400000_NS6detail17trampoline_kernelINS0_14default_configENS1_36segmented_radix_sort_config_selectorI12hip_bfloat16lEEZNS1_25segmented_radix_sort_implIS3_Lb0EPKS5_PS5_PKlPlN2at6native12_GLOBAL__N_18offset_tEEE10hipError_tPvRmT1_PNSt15iterator_traitsISL_E10value_typeET2_T3_PNSM_ISR_E10value_typeET4_jRbjT5_SX_jjP12ihipStream_tbEUlT_E_NS1_11comp_targetILNS1_3genE3ELNS1_11target_archE908ELNS1_3gpuE7ELNS1_3repE0EEENS1_30default_config_static_selectorELNS0_4arch9wavefront6targetE1EEEvSL_
	.p2align	8
	.type	_ZN7rocprim17ROCPRIM_400000_NS6detail17trampoline_kernelINS0_14default_configENS1_36segmented_radix_sort_config_selectorI12hip_bfloat16lEEZNS1_25segmented_radix_sort_implIS3_Lb0EPKS5_PS5_PKlPlN2at6native12_GLOBAL__N_18offset_tEEE10hipError_tPvRmT1_PNSt15iterator_traitsISL_E10value_typeET2_T3_PNSM_ISR_E10value_typeET4_jRbjT5_SX_jjP12ihipStream_tbEUlT_E_NS1_11comp_targetILNS1_3genE3ELNS1_11target_archE908ELNS1_3gpuE7ELNS1_3repE0EEENS1_30default_config_static_selectorELNS0_4arch9wavefront6targetE1EEEvSL_,@function
_ZN7rocprim17ROCPRIM_400000_NS6detail17trampoline_kernelINS0_14default_configENS1_36segmented_radix_sort_config_selectorI12hip_bfloat16lEEZNS1_25segmented_radix_sort_implIS3_Lb0EPKS5_PS5_PKlPlN2at6native12_GLOBAL__N_18offset_tEEE10hipError_tPvRmT1_PNSt15iterator_traitsISL_E10value_typeET2_T3_PNSM_ISR_E10value_typeET4_jRbjT5_SX_jjP12ihipStream_tbEUlT_E_NS1_11comp_targetILNS1_3genE3ELNS1_11target_archE908ELNS1_3gpuE7ELNS1_3repE0EEENS1_30default_config_static_selectorELNS0_4arch9wavefront6targetE1EEEvSL_: ; @_ZN7rocprim17ROCPRIM_400000_NS6detail17trampoline_kernelINS0_14default_configENS1_36segmented_radix_sort_config_selectorI12hip_bfloat16lEEZNS1_25segmented_radix_sort_implIS3_Lb0EPKS5_PS5_PKlPlN2at6native12_GLOBAL__N_18offset_tEEE10hipError_tPvRmT1_PNSt15iterator_traitsISL_E10value_typeET2_T3_PNSM_ISR_E10value_typeET4_jRbjT5_SX_jjP12ihipStream_tbEUlT_E_NS1_11comp_targetILNS1_3genE3ELNS1_11target_archE908ELNS1_3gpuE7ELNS1_3repE0EEENS1_30default_config_static_selectorELNS0_4arch9wavefront6targetE1EEEvSL_
; %bb.0:
	.section	.rodata,"a",@progbits
	.p2align	6, 0x0
	.amdhsa_kernel _ZN7rocprim17ROCPRIM_400000_NS6detail17trampoline_kernelINS0_14default_configENS1_36segmented_radix_sort_config_selectorI12hip_bfloat16lEEZNS1_25segmented_radix_sort_implIS3_Lb0EPKS5_PS5_PKlPlN2at6native12_GLOBAL__N_18offset_tEEE10hipError_tPvRmT1_PNSt15iterator_traitsISL_E10value_typeET2_T3_PNSM_ISR_E10value_typeET4_jRbjT5_SX_jjP12ihipStream_tbEUlT_E_NS1_11comp_targetILNS1_3genE3ELNS1_11target_archE908ELNS1_3gpuE7ELNS1_3repE0EEENS1_30default_config_static_selectorELNS0_4arch9wavefront6targetE1EEEvSL_
		.amdhsa_group_segment_fixed_size 0
		.amdhsa_private_segment_fixed_size 0
		.amdhsa_kernarg_size 96
		.amdhsa_user_sgpr_count 6
		.amdhsa_user_sgpr_private_segment_buffer 1
		.amdhsa_user_sgpr_dispatch_ptr 0
		.amdhsa_user_sgpr_queue_ptr 0
		.amdhsa_user_sgpr_kernarg_segment_ptr 1
		.amdhsa_user_sgpr_dispatch_id 0
		.amdhsa_user_sgpr_flat_scratch_init 0
		.amdhsa_user_sgpr_private_segment_size 0
		.amdhsa_uses_dynamic_stack 0
		.amdhsa_system_sgpr_private_segment_wavefront_offset 0
		.amdhsa_system_sgpr_workgroup_id_x 1
		.amdhsa_system_sgpr_workgroup_id_y 0
		.amdhsa_system_sgpr_workgroup_id_z 0
		.amdhsa_system_sgpr_workgroup_info 0
		.amdhsa_system_vgpr_workitem_id 0
		.amdhsa_next_free_vgpr 1
		.amdhsa_next_free_sgpr 0
		.amdhsa_reserve_vcc 0
		.amdhsa_reserve_flat_scratch 0
		.amdhsa_float_round_mode_32 0
		.amdhsa_float_round_mode_16_64 0
		.amdhsa_float_denorm_mode_32 3
		.amdhsa_float_denorm_mode_16_64 3
		.amdhsa_dx10_clamp 1
		.amdhsa_ieee_mode 1
		.amdhsa_fp16_overflow 0
		.amdhsa_exception_fp_ieee_invalid_op 0
		.amdhsa_exception_fp_denorm_src 0
		.amdhsa_exception_fp_ieee_div_zero 0
		.amdhsa_exception_fp_ieee_overflow 0
		.amdhsa_exception_fp_ieee_underflow 0
		.amdhsa_exception_fp_ieee_inexact 0
		.amdhsa_exception_int_div_zero 0
	.end_amdhsa_kernel
	.section	.text._ZN7rocprim17ROCPRIM_400000_NS6detail17trampoline_kernelINS0_14default_configENS1_36segmented_radix_sort_config_selectorI12hip_bfloat16lEEZNS1_25segmented_radix_sort_implIS3_Lb0EPKS5_PS5_PKlPlN2at6native12_GLOBAL__N_18offset_tEEE10hipError_tPvRmT1_PNSt15iterator_traitsISL_E10value_typeET2_T3_PNSM_ISR_E10value_typeET4_jRbjT5_SX_jjP12ihipStream_tbEUlT_E_NS1_11comp_targetILNS1_3genE3ELNS1_11target_archE908ELNS1_3gpuE7ELNS1_3repE0EEENS1_30default_config_static_selectorELNS0_4arch9wavefront6targetE1EEEvSL_,"axG",@progbits,_ZN7rocprim17ROCPRIM_400000_NS6detail17trampoline_kernelINS0_14default_configENS1_36segmented_radix_sort_config_selectorI12hip_bfloat16lEEZNS1_25segmented_radix_sort_implIS3_Lb0EPKS5_PS5_PKlPlN2at6native12_GLOBAL__N_18offset_tEEE10hipError_tPvRmT1_PNSt15iterator_traitsISL_E10value_typeET2_T3_PNSM_ISR_E10value_typeET4_jRbjT5_SX_jjP12ihipStream_tbEUlT_E_NS1_11comp_targetILNS1_3genE3ELNS1_11target_archE908ELNS1_3gpuE7ELNS1_3repE0EEENS1_30default_config_static_selectorELNS0_4arch9wavefront6targetE1EEEvSL_,comdat
.Lfunc_end2052:
	.size	_ZN7rocprim17ROCPRIM_400000_NS6detail17trampoline_kernelINS0_14default_configENS1_36segmented_radix_sort_config_selectorI12hip_bfloat16lEEZNS1_25segmented_radix_sort_implIS3_Lb0EPKS5_PS5_PKlPlN2at6native12_GLOBAL__N_18offset_tEEE10hipError_tPvRmT1_PNSt15iterator_traitsISL_E10value_typeET2_T3_PNSM_ISR_E10value_typeET4_jRbjT5_SX_jjP12ihipStream_tbEUlT_E_NS1_11comp_targetILNS1_3genE3ELNS1_11target_archE908ELNS1_3gpuE7ELNS1_3repE0EEENS1_30default_config_static_selectorELNS0_4arch9wavefront6targetE1EEEvSL_, .Lfunc_end2052-_ZN7rocprim17ROCPRIM_400000_NS6detail17trampoline_kernelINS0_14default_configENS1_36segmented_radix_sort_config_selectorI12hip_bfloat16lEEZNS1_25segmented_radix_sort_implIS3_Lb0EPKS5_PS5_PKlPlN2at6native12_GLOBAL__N_18offset_tEEE10hipError_tPvRmT1_PNSt15iterator_traitsISL_E10value_typeET2_T3_PNSM_ISR_E10value_typeET4_jRbjT5_SX_jjP12ihipStream_tbEUlT_E_NS1_11comp_targetILNS1_3genE3ELNS1_11target_archE908ELNS1_3gpuE7ELNS1_3repE0EEENS1_30default_config_static_selectorELNS0_4arch9wavefront6targetE1EEEvSL_
                                        ; -- End function
	.set _ZN7rocprim17ROCPRIM_400000_NS6detail17trampoline_kernelINS0_14default_configENS1_36segmented_radix_sort_config_selectorI12hip_bfloat16lEEZNS1_25segmented_radix_sort_implIS3_Lb0EPKS5_PS5_PKlPlN2at6native12_GLOBAL__N_18offset_tEEE10hipError_tPvRmT1_PNSt15iterator_traitsISL_E10value_typeET2_T3_PNSM_ISR_E10value_typeET4_jRbjT5_SX_jjP12ihipStream_tbEUlT_E_NS1_11comp_targetILNS1_3genE3ELNS1_11target_archE908ELNS1_3gpuE7ELNS1_3repE0EEENS1_30default_config_static_selectorELNS0_4arch9wavefront6targetE1EEEvSL_.num_vgpr, 0
	.set _ZN7rocprim17ROCPRIM_400000_NS6detail17trampoline_kernelINS0_14default_configENS1_36segmented_radix_sort_config_selectorI12hip_bfloat16lEEZNS1_25segmented_radix_sort_implIS3_Lb0EPKS5_PS5_PKlPlN2at6native12_GLOBAL__N_18offset_tEEE10hipError_tPvRmT1_PNSt15iterator_traitsISL_E10value_typeET2_T3_PNSM_ISR_E10value_typeET4_jRbjT5_SX_jjP12ihipStream_tbEUlT_E_NS1_11comp_targetILNS1_3genE3ELNS1_11target_archE908ELNS1_3gpuE7ELNS1_3repE0EEENS1_30default_config_static_selectorELNS0_4arch9wavefront6targetE1EEEvSL_.num_agpr, 0
	.set _ZN7rocprim17ROCPRIM_400000_NS6detail17trampoline_kernelINS0_14default_configENS1_36segmented_radix_sort_config_selectorI12hip_bfloat16lEEZNS1_25segmented_radix_sort_implIS3_Lb0EPKS5_PS5_PKlPlN2at6native12_GLOBAL__N_18offset_tEEE10hipError_tPvRmT1_PNSt15iterator_traitsISL_E10value_typeET2_T3_PNSM_ISR_E10value_typeET4_jRbjT5_SX_jjP12ihipStream_tbEUlT_E_NS1_11comp_targetILNS1_3genE3ELNS1_11target_archE908ELNS1_3gpuE7ELNS1_3repE0EEENS1_30default_config_static_selectorELNS0_4arch9wavefront6targetE1EEEvSL_.numbered_sgpr, 0
	.set _ZN7rocprim17ROCPRIM_400000_NS6detail17trampoline_kernelINS0_14default_configENS1_36segmented_radix_sort_config_selectorI12hip_bfloat16lEEZNS1_25segmented_radix_sort_implIS3_Lb0EPKS5_PS5_PKlPlN2at6native12_GLOBAL__N_18offset_tEEE10hipError_tPvRmT1_PNSt15iterator_traitsISL_E10value_typeET2_T3_PNSM_ISR_E10value_typeET4_jRbjT5_SX_jjP12ihipStream_tbEUlT_E_NS1_11comp_targetILNS1_3genE3ELNS1_11target_archE908ELNS1_3gpuE7ELNS1_3repE0EEENS1_30default_config_static_selectorELNS0_4arch9wavefront6targetE1EEEvSL_.num_named_barrier, 0
	.set _ZN7rocprim17ROCPRIM_400000_NS6detail17trampoline_kernelINS0_14default_configENS1_36segmented_radix_sort_config_selectorI12hip_bfloat16lEEZNS1_25segmented_radix_sort_implIS3_Lb0EPKS5_PS5_PKlPlN2at6native12_GLOBAL__N_18offset_tEEE10hipError_tPvRmT1_PNSt15iterator_traitsISL_E10value_typeET2_T3_PNSM_ISR_E10value_typeET4_jRbjT5_SX_jjP12ihipStream_tbEUlT_E_NS1_11comp_targetILNS1_3genE3ELNS1_11target_archE908ELNS1_3gpuE7ELNS1_3repE0EEENS1_30default_config_static_selectorELNS0_4arch9wavefront6targetE1EEEvSL_.private_seg_size, 0
	.set _ZN7rocprim17ROCPRIM_400000_NS6detail17trampoline_kernelINS0_14default_configENS1_36segmented_radix_sort_config_selectorI12hip_bfloat16lEEZNS1_25segmented_radix_sort_implIS3_Lb0EPKS5_PS5_PKlPlN2at6native12_GLOBAL__N_18offset_tEEE10hipError_tPvRmT1_PNSt15iterator_traitsISL_E10value_typeET2_T3_PNSM_ISR_E10value_typeET4_jRbjT5_SX_jjP12ihipStream_tbEUlT_E_NS1_11comp_targetILNS1_3genE3ELNS1_11target_archE908ELNS1_3gpuE7ELNS1_3repE0EEENS1_30default_config_static_selectorELNS0_4arch9wavefront6targetE1EEEvSL_.uses_vcc, 0
	.set _ZN7rocprim17ROCPRIM_400000_NS6detail17trampoline_kernelINS0_14default_configENS1_36segmented_radix_sort_config_selectorI12hip_bfloat16lEEZNS1_25segmented_radix_sort_implIS3_Lb0EPKS5_PS5_PKlPlN2at6native12_GLOBAL__N_18offset_tEEE10hipError_tPvRmT1_PNSt15iterator_traitsISL_E10value_typeET2_T3_PNSM_ISR_E10value_typeET4_jRbjT5_SX_jjP12ihipStream_tbEUlT_E_NS1_11comp_targetILNS1_3genE3ELNS1_11target_archE908ELNS1_3gpuE7ELNS1_3repE0EEENS1_30default_config_static_selectorELNS0_4arch9wavefront6targetE1EEEvSL_.uses_flat_scratch, 0
	.set _ZN7rocprim17ROCPRIM_400000_NS6detail17trampoline_kernelINS0_14default_configENS1_36segmented_radix_sort_config_selectorI12hip_bfloat16lEEZNS1_25segmented_radix_sort_implIS3_Lb0EPKS5_PS5_PKlPlN2at6native12_GLOBAL__N_18offset_tEEE10hipError_tPvRmT1_PNSt15iterator_traitsISL_E10value_typeET2_T3_PNSM_ISR_E10value_typeET4_jRbjT5_SX_jjP12ihipStream_tbEUlT_E_NS1_11comp_targetILNS1_3genE3ELNS1_11target_archE908ELNS1_3gpuE7ELNS1_3repE0EEENS1_30default_config_static_selectorELNS0_4arch9wavefront6targetE1EEEvSL_.has_dyn_sized_stack, 0
	.set _ZN7rocprim17ROCPRIM_400000_NS6detail17trampoline_kernelINS0_14default_configENS1_36segmented_radix_sort_config_selectorI12hip_bfloat16lEEZNS1_25segmented_radix_sort_implIS3_Lb0EPKS5_PS5_PKlPlN2at6native12_GLOBAL__N_18offset_tEEE10hipError_tPvRmT1_PNSt15iterator_traitsISL_E10value_typeET2_T3_PNSM_ISR_E10value_typeET4_jRbjT5_SX_jjP12ihipStream_tbEUlT_E_NS1_11comp_targetILNS1_3genE3ELNS1_11target_archE908ELNS1_3gpuE7ELNS1_3repE0EEENS1_30default_config_static_selectorELNS0_4arch9wavefront6targetE1EEEvSL_.has_recursion, 0
	.set _ZN7rocprim17ROCPRIM_400000_NS6detail17trampoline_kernelINS0_14default_configENS1_36segmented_radix_sort_config_selectorI12hip_bfloat16lEEZNS1_25segmented_radix_sort_implIS3_Lb0EPKS5_PS5_PKlPlN2at6native12_GLOBAL__N_18offset_tEEE10hipError_tPvRmT1_PNSt15iterator_traitsISL_E10value_typeET2_T3_PNSM_ISR_E10value_typeET4_jRbjT5_SX_jjP12ihipStream_tbEUlT_E_NS1_11comp_targetILNS1_3genE3ELNS1_11target_archE908ELNS1_3gpuE7ELNS1_3repE0EEENS1_30default_config_static_selectorELNS0_4arch9wavefront6targetE1EEEvSL_.has_indirect_call, 0
	.section	.AMDGPU.csdata,"",@progbits
; Kernel info:
; codeLenInByte = 0
; TotalNumSgprs: 4
; NumVgprs: 0
; ScratchSize: 0
; MemoryBound: 0
; FloatMode: 240
; IeeeMode: 1
; LDSByteSize: 0 bytes/workgroup (compile time only)
; SGPRBlocks: 0
; VGPRBlocks: 0
; NumSGPRsForWavesPerEU: 4
; NumVGPRsForWavesPerEU: 1
; Occupancy: 10
; WaveLimiterHint : 0
; COMPUTE_PGM_RSRC2:SCRATCH_EN: 0
; COMPUTE_PGM_RSRC2:USER_SGPR: 6
; COMPUTE_PGM_RSRC2:TRAP_HANDLER: 0
; COMPUTE_PGM_RSRC2:TGID_X_EN: 1
; COMPUTE_PGM_RSRC2:TGID_Y_EN: 0
; COMPUTE_PGM_RSRC2:TGID_Z_EN: 0
; COMPUTE_PGM_RSRC2:TIDIG_COMP_CNT: 0
	.text
	.p2align	2                               ; -- Begin function _ZN7rocprim17ROCPRIM_400000_NS6detail40segmented_radix_sort_single_block_helperI12hip_bfloat16lLj256ELj8ELb0EE4sortIPKS3_PS3_PKlPlEEbT_T0_T1_T2_jjjjRNS4_12storage_typeE
	.type	_ZN7rocprim17ROCPRIM_400000_NS6detail40segmented_radix_sort_single_block_helperI12hip_bfloat16lLj256ELj8ELb0EE4sortIPKS3_PS3_PKlPlEEbT_T0_T1_T2_jjjjRNS4_12storage_typeE,@function
_ZN7rocprim17ROCPRIM_400000_NS6detail40segmented_radix_sort_single_block_helperI12hip_bfloat16lLj256ELj8ELb0EE4sortIPKS3_PS3_PKlPlEEbT_T0_T1_T2_jjjjRNS4_12storage_typeE: ; @_ZN7rocprim17ROCPRIM_400000_NS6detail40segmented_radix_sort_single_block_helperI12hip_bfloat16lLj256ELj8ELb0EE4sortIPKS3_PS3_PKlPlEEbT_T0_T1_T2_jjjjRNS4_12storage_typeE
; %bb.0:
	s_waitcnt vmcnt(0) expcnt(0) lgkmcnt(0)
	v_sub_u32_e32 v71, v9, v8
	s_movk_i32 s4, 0x801
	v_cmp_gt_u32_e32 vcc, s4, v71
	s_and_saveexec_b64 s[46:47], vcc
	s_cbranch_execz .LBB2053_199
; %bb.1:
	s_movk_i32 s4, 0x400
	v_cmp_lt_u32_e32 vcc, s4, v71
	v_bfe_u32 v17, v31, 10, 10
	v_bfe_u32 v18, v31, 20, 10
	v_mbcnt_lo_u32_b32 v19, -1, 0
	s_and_saveexec_b64 s[4:5], vcc
	s_xor_b64 s[56:57], exec, s[4:5]
	s_cbranch_execz .LBB2053_79
; %bb.2:
	s_load_dwordx2 s[4:5], s[8:9], 0x0
	v_mov_b32_e32 v9, 0
	v_lshlrev_b64 v[26:27], 1, v[8:9]
	v_and_b32_e32 v14, 0x3ff, v31
	v_add_co_u32_e32 v24, vcc, v0, v26
	s_waitcnt lgkmcnt(0)
	s_cmp_lt_u32 s13, s5
	s_cselect_b32 s5, 14, 20
	s_add_u32 s6, s8, s5
	s_addc_u32 s7, s9, 0
	s_cmp_lt_u32 s12, s4
	s_cselect_b32 s4, 12, 18
	s_add_u32 s4, s8, s4
	global_load_ushort v15, v9, s[6:7]
	s_addc_u32 s5, s9, 0
	global_load_ushort v22, v9, s[4:5]
	v_addc_co_u32_e32 v25, vcc, v1, v27, vcc
	v_mbcnt_hi_u32_b32 v19, -1, v19
	v_and_b32_e32 v20, 63, v19
	v_mov_b32_e32 v16, v9
	v_lshlrev_b32_e32 v23, 1, v20
	v_mov_b32_e32 v21, 0x7fff
	s_waitcnt vmcnt(1)
	v_mad_u32_u24 v0, v18, v15, v17
	s_waitcnt vmcnt(0)
	v_mad_u64_u32 v[0:1], s[4:5], v0, v22, v[14:15]
	v_add_co_u32_e32 v22, vcc, v24, v23
	v_lshlrev_b32_e32 v1, 3, v0
	v_and_b32_e32 v15, 0xfffffe00, v1
	v_lshlrev_b64 v[17:18], 1, v[15:16]
	v_addc_co_u32_e32 v23, vcc, 0, v25, vcc
	v_or_b32_e32 v1, v15, v20
	v_add_co_u32_e64 v17, s[4:5], v22, v17
	v_cmp_lt_u32_e32 vcc, v1, v71
	v_addc_co_u32_e64 v18, s[4:5], v23, v18, s[4:5]
	v_mov_b32_e32 v22, 0x7fff
	s_and_saveexec_b64 s[4:5], vcc
	s_cbranch_execz .LBB2053_4
; %bb.3:
	flat_load_ushort v22, v[17:18]
.LBB2053_4:
	s_or_b64 exec, exec, s[4:5]
	v_or_b32_e32 v23, 64, v1
	v_cmp_lt_u32_e64 s[4:5], v23, v71
	s_and_saveexec_b64 s[6:7], s[4:5]
	s_cbranch_execz .LBB2053_6
; %bb.5:
	flat_load_ushort v21, v[17:18] offset:128
.LBB2053_6:
	s_or_b64 exec, exec, s[6:7]
	v_or_b32_e32 v23, 0x80, v1
	v_cmp_lt_u32_e64 s[6:7], v23, v71
	v_mov_b32_e32 v23, 0x7fff
	v_mov_b32_e32 v28, 0x7fff
	s_and_saveexec_b64 s[10:11], s[6:7]
	s_cbranch_execz .LBB2053_8
; %bb.7:
	flat_load_ushort v28, v[17:18] offset:256
.LBB2053_8:
	s_or_b64 exec, exec, s[10:11]
	v_or_b32_e32 v24, 0xc0, v1
	v_cmp_lt_u32_e64 s[10:11], v24, v71
	s_and_saveexec_b64 s[14:15], s[10:11]
	s_cbranch_execz .LBB2053_10
; %bb.9:
	flat_load_ushort v23, v[17:18] offset:384
.LBB2053_10:
	s_or_b64 exec, exec, s[14:15]
	v_or_b32_e32 v24, 0x100, v1
	v_cmp_lt_u32_e64 s[20:21], v24, v71
	v_mov_b32_e32 v29, 0x7fff
	v_mov_b32_e32 v30, 0x7fff
	s_and_saveexec_b64 s[14:15], s[20:21]
	s_cbranch_execz .LBB2053_12
; %bb.11:
	flat_load_ushort v30, v[17:18] offset:512
.LBB2053_12:
	;; [unrolled: 18-line block ×3, first 2 shown]
	s_or_b64 exec, exec, s[18:19]
	v_or_b32_e32 v1, 0x1c0, v1
	v_cmp_lt_u32_e64 s[18:19], v1, v71
	s_and_saveexec_b64 s[22:23], s[18:19]
	s_cbranch_execz .LBB2053_18
; %bb.17:
	flat_load_ushort v31, v[17:18] offset:896
.LBB2053_18:
	s_or_b64 exec, exec, s[22:23]
	v_lshlrev_b64 v[24:25], 3, v[8:9]
                                        ; implicit-def: $vgpr34_vgpr35
	v_add_co_u32_e64 v1, s[22:23], v4, v24
	v_addc_co_u32_e64 v4, s[22:23], v5, v25, s[22:23]
	v_lshlrev_b32_e32 v5, 3, v20
	v_add_co_u32_e64 v1, s[22:23], v1, v5
	v_addc_co_u32_e64 v8, s[22:23], 0, v4, s[22:23]
	v_lshlrev_b64 v[4:5], 3, v[15:16]
	v_add_co_u32_e64 v4, s[22:23], v1, v4
	v_addc_co_u32_e64 v5, s[22:23], v8, v5, s[22:23]
	s_and_saveexec_b64 s[22:23], vcc
	s_cbranch_execnz .LBB2053_112
; %bb.19:
	s_or_b64 exec, exec, s[22:23]
                                        ; implicit-def: $vgpr36_vgpr37
	s_and_saveexec_b64 s[22:23], s[4:5]
	s_cbranch_execnz .LBB2053_113
.LBB2053_20:
	s_or_b64 exec, exec, s[22:23]
                                        ; implicit-def: $vgpr38_vgpr39
	s_and_saveexec_b64 s[4:5], s[6:7]
	s_cbranch_execnz .LBB2053_114
.LBB2053_21:
	s_or_b64 exec, exec, s[4:5]
                                        ; implicit-def: $vgpr48_vgpr49
	s_and_saveexec_b64 s[4:5], s[10:11]
	s_cbranch_execnz .LBB2053_115
.LBB2053_22:
	s_or_b64 exec, exec, s[4:5]
                                        ; implicit-def: $vgpr69_vgpr70
	s_and_saveexec_b64 s[4:5], s[20:21]
	s_cbranch_execnz .LBB2053_116
.LBB2053_23:
	s_or_b64 exec, exec, s[4:5]
                                        ; implicit-def: $vgpr81_vgpr82
	s_and_saveexec_b64 s[4:5], s[14:15]
	s_cbranch_execnz .LBB2053_117
.LBB2053_24:
	s_or_b64 exec, exec, s[4:5]
                                        ; implicit-def: $vgpr96_vgpr97
	s_and_saveexec_b64 s[4:5], s[16:17]
	s_cbranch_execnz .LBB2053_118
.LBB2053_25:
	s_or_b64 exec, exec, s[4:5]
                                        ; implicit-def: $vgpr112_vgpr113
	s_and_saveexec_b64 s[4:5], s[18:19]
	s_cbranch_execz .LBB2053_27
.LBB2053_26:
	flat_load_dwordx2 v[112:113], v[4:5] offset:3584
.LBB2053_27:
	s_or_b64 exec, exec, s[4:5]
	v_mov_b32_e32 v1, 0xffff8000
	s_waitcnt vmcnt(0) lgkmcnt(0)
	v_cmp_lt_i16_e32 vcc, -1, v22
	v_cndmask_b32_e32 v4, -1, v1, vcc
	v_cmp_lt_i16_e32 vcc, -1, v21
	v_xor_b32_e32 v51, v4, v22
	v_cndmask_b32_e32 v4, -1, v1, vcc
	v_cmp_lt_i16_e32 vcc, -1, v28
	v_xor_b32_e32 v53, v4, v21
	v_cndmask_b32_e32 v4, -1, v1, vcc
	v_cmp_lt_i16_e32 vcc, -1, v23
	v_xor_b32_e32 v55, v4, v28
	v_cndmask_b32_e32 v4, -1, v1, vcc
	v_cmp_lt_i16_e32 vcc, -1, v30
	v_xor_b32_e32 v65, v4, v23
	v_cndmask_b32_e32 v4, -1, v1, vcc
	v_cmp_lt_i16_e32 vcc, -1, v29
	v_xor_b32_e32 v67, v4, v30
	v_cndmask_b32_e32 v4, -1, v1, vcc
	v_cmp_lt_i16_e32 vcc, -1, v32
	v_xor_b32_e32 v192, v4, v29
	v_cndmask_b32_e32 v4, -1, v1, vcc
	v_cmp_lt_i16_e32 vcc, -1, v31
	v_xor_b32_e32 v193, v4, v32
	v_cndmask_b32_e32 v4, -1, v1, vcc
	v_xor_b32_e32 v194, v4, v31
	v_lshl_add_u32 v4, v14, 4, v12
	s_getpc_b64 s[4:5]
	s_add_u32 s4, s4, _ZN7rocprim17ROCPRIM_400000_NS16block_radix_sortI12hip_bfloat16Lj256ELj8ElLj1ELj1ELj8ELNS0_26block_radix_rank_algorithmE2ELNS0_18block_padding_hintE2ELNS0_4arch9wavefront6targetE1EE19radix_bits_per_passE@rel32@lo+4
	s_addc_u32 s5, s5, _ZN7rocprim17ROCPRIM_400000_NS16block_radix_sortI12hip_bfloat16Lj256ELj8ElLj1ELj1ELj8ELNS0_26block_radix_rank_algorithmE2ELNS0_18block_padding_hintE2ELNS0_4arch9wavefront6targetE1EE19radix_bits_per_passE@rel32@hi+12
	v_add_u32_e32 v23, 16, v4
	v_add_u32_e32 v87, 20, v4
	;; [unrolled: 1-line block ×4, first 2 shown]
	v_and_b32_e32 v4, 15, v19
	s_load_dword s62, s[4:5], 0x0
	v_cmp_eq_u32_e32 vcc, 0, v4
	v_cmp_lt_u32_e64 s[4:5], 1, v4
	v_cmp_lt_u32_e64 s[6:7], 3, v4
	;; [unrolled: 1-line block ×3, first 2 shown]
	v_and_b32_e32 v4, 16, v19
	v_cmp_eq_u32_e64 s[40:41], 0, v4
	v_and_b32_e32 v4, 0x3c0, v14
	v_min_u32_e32 v4, 0xc0, v4
	v_or_b32_e32 v4, 63, v4
	v_cmp_eq_u32_e64 s[16:17], v14, v4
	v_subrev_co_u32_e64 v4, s[22:23], 1, v19
	v_and_b32_e32 v5, 64, v19
	v_cmp_lt_i32_e64 s[24:25], v4, v5
	v_cndmask_b32_e64 v4, v4, v19, s[24:25]
	v_lshlrev_b32_e32 v131, 2, v4
	v_lshrrev_b32_e32 v4, 4, v14
	v_and_b32_e32 v4, 60, v4
	v_add_u32_e32 v132, v12, v4
	v_and_b32_e32 v4, 3, v19
	v_cmp_eq_u32_e64 s[26:27], 0, v4
	v_cmp_lt_u32_e64 s[28:29], 1, v4
	v_lshlrev_b32_e32 v4, 3, v14
	s_movk_i32 s42, 0x1e00
	v_and_or_b32 v4, v4, s42, v20
	v_lshl_add_u32 v135, v4, 1, v12
	v_mul_u32_u24_e32 v4, 6, v4
	v_add_u32_e32 v151, v135, v4
	v_lshrrev_b32_e32 v130, 6, v0
	v_cmp_lt_u32_e64 s[14:15], 31, v19
	v_cmp_gt_u32_e64 s[18:19], 4, v14
	v_cmp_lt_u32_e64 s[20:21], 63, v14
	v_cmp_eq_u32_e64 s[24:25], 0, v14
	v_mov_b32_e32 v5, 0
	v_lshl_add_u32 v133, v14, 2, v12
	v_add_u32_e32 v134, -4, v132
	v_add_u32_e32 v144, 0x80, v135
	v_add_u32_e32 v145, 0x100, v135
	;; [unrolled: 1-line block ×14, first 2 shown]
	v_sub_u32_e32 v167, v11, v10
	s_mov_b64 s[58:59], 0
	s_movk_i32 s63, 0x7fff
	s_waitcnt lgkmcnt(0)
	s_barrier
	s_branch .LBB2053_29
.LBB2053_28:                            ;   in Loop: Header=BB2053_29 Depth=1
	s_or_b64 exec, exec, s[44:45]
	s_and_b64 s[42:43], exec, s[60:61]
	s_or_b64 s[58:59], s[42:43], s[58:59]
	s_andn2_b64 exec, exec, s[58:59]
	s_cbranch_execz .LBB2053_53
.LBB2053_29:                            ; =>This Inner Loop Header: Depth=1
	v_mov_b32_e32 v183, v51
	v_min_u32_e32 v4, s62, v167
	v_mov_b32_e32 v28, v38
	v_lshlrev_b32_e64 v4, v4, -1
	v_cmp_ne_u16_e64 s[42:43], s63, v183
	v_mov_b32_e32 v29, v39
	v_not_b32_e32 v39, v4
	v_cndmask_b32_e64 v4, v1, v183, s[42:43]
	v_mov_b32_e32 v30, v36
	v_lshrrev_b32_sdwa v4, v10, v4 dst_sel:DWORD dst_unused:UNUSED_PAD src0_sel:DWORD src1_sel:WORD_0
	v_mov_b32_e32 v31, v37
	v_and_b32_e32 v36, v4, v39
	v_lshlrev_b32_e32 v4, 2, v36
	v_add_lshl_u32 v4, v4, v130, 2
	v_mov_b32_e32 v32, v34
	v_add_co_u32_e64 v4, s[42:43], v12, v4
	v_mov_b32_e32 v33, v35
	v_add_co_u32_e64 v4, s[42:43], 16, v4
	v_and_b32_e32 v34, 1, v36
	v_add_co_u32_e64 v35, s[42:43], -1, v34
	v_addc_co_u32_e64 v37, s[42:43], 0, -1, s[42:43]
	v_cmp_ne_u32_e64 s[42:43], 0, v34
	v_xor_b32_e32 v34, s43, v37
	v_xor_b32_e32 v35, s42, v35
	v_and_b32_e32 v37, exec_hi, v34
	v_and_b32_e32 v38, exec_lo, v35
	v_lshlrev_b32_e32 v35, 30, v36
	v_mov_b32_e32 v34, v5
	v_cmp_gt_i64_e64 s[42:43], 0, v[34:35]
	v_not_b32_e32 v34, v35
	v_ashrrev_i32_e32 v34, 31, v34
	v_xor_b32_e32 v35, s43, v34
	v_xor_b32_e32 v34, s42, v34
	v_and_b32_e32 v37, v37, v35
	v_and_b32_e32 v38, v38, v34
	v_lshlrev_b32_e32 v35, 29, v36
	v_mov_b32_e32 v34, v5
	v_cmp_gt_i64_e64 s[42:43], 0, v[34:35]
	v_not_b32_e32 v34, v35
	v_ashrrev_i32_e32 v34, 31, v34
	v_xor_b32_e32 v35, s43, v34
	v_xor_b32_e32 v34, s42, v34
	v_and_b32_e32 v37, v37, v35
	v_and_b32_e32 v38, v38, v34
	;; [unrolled: 9-line block ×7, first 2 shown]
	v_mbcnt_lo_u32_b32 v36, v34, 0
	v_mbcnt_hi_u32_b32 v36, v35, v36
	v_cmp_ne_u64_e64 s[42:43], 0, v[34:35]
	v_mov_b32_e32 v21, v48
	v_mov_b32_e32 v19, v69
	;; [unrolled: 1-line block ×5, first 2 shown]
	v_cmp_eq_u32_e64 s[44:45], 0, v36
	v_mov_b32_e32 v22, v49
	v_mov_b32_e32 v20, v70
	;; [unrolled: 1-line block ×12, first 2 shown]
	s_and_b64 s[44:45], s[42:43], s[44:45]
	ds_write_b32 v23, v5
	ds_write_b32 v87, v5
	;; [unrolled: 1-line block ×4, first 2 shown]
	s_waitcnt lgkmcnt(0)
	s_barrier
	; wave barrier
	s_and_saveexec_b64 s[42:43], s[44:45]
; %bb.30:                               ;   in Loop: Header=BB2053_29 Depth=1
	v_bcnt_u32_b32 v34, v34, 0
	v_bcnt_u32_b32 v34, v35, v34
	ds_write_b32 v4, v34
; %bb.31:                               ;   in Loop: Header=BB2053_29 Depth=1
	s_or_b64 exec, exec, s[42:43]
	v_cmp_ne_u16_e64 s[42:43], s63, v182
	v_cndmask_b32_e64 v34, v1, v182, s[42:43]
	v_lshrrev_b32_sdwa v34, v10, v34 dst_sel:DWORD dst_unused:UNUSED_PAD src0_sel:DWORD src1_sel:WORD_0
	v_and_b32_e32 v48, v34, v39
	v_lshl_add_u32 v34, v48, 2, v130
	v_lshl_add_u32 v34, v34, 2, v12
	; wave barrier
	v_add_u32_e32 v38, 16, v34
	ds_read_b32 v37, v34 offset:16
	v_and_b32_e32 v34, 1, v48
	v_add_co_u32_e64 v35, s[42:43], -1, v34
	v_addc_co_u32_e64 v49, s[42:43], 0, -1, s[42:43]
	v_cmp_ne_u32_e64 s[42:43], 0, v34
	v_xor_b32_e32 v34, s43, v49
	v_xor_b32_e32 v35, s42, v35
	v_and_b32_e32 v49, exec_hi, v34
	v_and_b32_e32 v50, exec_lo, v35
	v_lshlrev_b32_e32 v35, 30, v48
	v_mov_b32_e32 v34, v5
	v_cmp_gt_i64_e64 s[42:43], 0, v[34:35]
	v_not_b32_e32 v34, v35
	v_ashrrev_i32_e32 v34, 31, v34
	v_xor_b32_e32 v35, s43, v34
	v_xor_b32_e32 v34, s42, v34
	v_and_b32_e32 v49, v49, v35
	v_and_b32_e32 v50, v50, v34
	v_lshlrev_b32_e32 v35, 29, v48
	v_mov_b32_e32 v34, v5
	v_cmp_gt_i64_e64 s[42:43], 0, v[34:35]
	v_not_b32_e32 v34, v35
	v_ashrrev_i32_e32 v34, 31, v34
	v_xor_b32_e32 v35, s43, v34
	v_xor_b32_e32 v34, s42, v34
	v_and_b32_e32 v49, v49, v35
	v_and_b32_e32 v50, v50, v34
	;; [unrolled: 9-line block ×7, first 2 shown]
	v_mbcnt_lo_u32_b32 v48, v34, 0
	v_mbcnt_hi_u32_b32 v48, v35, v48
	v_cmp_ne_u64_e64 s[42:43], 0, v[34:35]
	v_cmp_eq_u32_e64 s[44:45], 0, v48
	s_and_b64 s[44:45], s[42:43], s[44:45]
	; wave barrier
	s_and_saveexec_b64 s[42:43], s[44:45]
	s_cbranch_execz .LBB2053_33
; %bb.32:                               ;   in Loop: Header=BB2053_29 Depth=1
	v_bcnt_u32_b32 v34, v34, 0
	v_bcnt_u32_b32 v34, v35, v34
	s_waitcnt lgkmcnt(0)
	v_add_u32_e32 v34, v37, v34
	ds_write_b32 v38, v34
.LBB2053_33:                            ;   in Loop: Header=BB2053_29 Depth=1
	s_or_b64 exec, exec, s[42:43]
	v_cmp_ne_u16_e64 s[42:43], s63, v181
	v_cndmask_b32_e64 v34, v1, v181, s[42:43]
	v_lshrrev_b32_sdwa v34, v10, v34 dst_sel:DWORD dst_unused:UNUSED_PAD src0_sel:DWORD src1_sel:WORD_0
	v_and_b32_e32 v51, v34, v39
	v_lshl_add_u32 v34, v51, 2, v130
	v_lshl_add_u32 v34, v34, 2, v12
	; wave barrier
	v_add_u32_e32 v50, 16, v34
	ds_read_b32 v49, v34 offset:16
	v_and_b32_e32 v34, 1, v51
	v_add_co_u32_e64 v35, s[42:43], -1, v34
	v_addc_co_u32_e64 v52, s[42:43], 0, -1, s[42:43]
	v_cmp_ne_u32_e64 s[42:43], 0, v34
	v_xor_b32_e32 v34, s43, v52
	v_xor_b32_e32 v35, s42, v35
	v_and_b32_e32 v52, exec_hi, v34
	v_and_b32_e32 v53, exec_lo, v35
	v_lshlrev_b32_e32 v35, 30, v51
	v_mov_b32_e32 v34, v5
	v_cmp_gt_i64_e64 s[42:43], 0, v[34:35]
	v_not_b32_e32 v34, v35
	v_ashrrev_i32_e32 v34, 31, v34
	v_xor_b32_e32 v35, s43, v34
	v_xor_b32_e32 v34, s42, v34
	v_and_b32_e32 v52, v52, v35
	v_and_b32_e32 v53, v53, v34
	v_lshlrev_b32_e32 v35, 29, v51
	v_mov_b32_e32 v34, v5
	v_cmp_gt_i64_e64 s[42:43], 0, v[34:35]
	v_not_b32_e32 v34, v35
	v_ashrrev_i32_e32 v34, 31, v34
	v_xor_b32_e32 v35, s43, v34
	v_xor_b32_e32 v34, s42, v34
	v_and_b32_e32 v52, v52, v35
	v_and_b32_e32 v53, v53, v34
	;; [unrolled: 9-line block ×7, first 2 shown]
	v_mbcnt_lo_u32_b32 v51, v34, 0
	v_mbcnt_hi_u32_b32 v51, v35, v51
	v_cmp_ne_u64_e64 s[42:43], 0, v[34:35]
	v_cmp_eq_u32_e64 s[44:45], 0, v51
	s_and_b64 s[44:45], s[42:43], s[44:45]
	; wave barrier
	s_and_saveexec_b64 s[42:43], s[44:45]
	s_cbranch_execz .LBB2053_35
; %bb.34:                               ;   in Loop: Header=BB2053_29 Depth=1
	v_bcnt_u32_b32 v34, v34, 0
	v_bcnt_u32_b32 v34, v35, v34
	s_waitcnt lgkmcnt(0)
	v_add_u32_e32 v34, v49, v34
	ds_write_b32 v50, v34
.LBB2053_35:                            ;   in Loop: Header=BB2053_29 Depth=1
	s_or_b64 exec, exec, s[42:43]
	v_cmp_ne_u16_e64 s[42:43], s63, v180
	v_cndmask_b32_e64 v34, v1, v180, s[42:43]
	v_lshrrev_b32_sdwa v34, v10, v34 dst_sel:DWORD dst_unused:UNUSED_PAD src0_sel:DWORD src1_sel:WORD_0
	v_and_b32_e32 v54, v34, v39
	v_lshl_add_u32 v34, v54, 2, v130
	v_lshl_add_u32 v34, v34, 2, v12
	; wave barrier
	v_add_u32_e32 v53, 16, v34
	ds_read_b32 v52, v34 offset:16
	v_and_b32_e32 v34, 1, v54
	v_add_co_u32_e64 v35, s[42:43], -1, v34
	v_addc_co_u32_e64 v55, s[42:43], 0, -1, s[42:43]
	v_cmp_ne_u32_e64 s[42:43], 0, v34
	v_xor_b32_e32 v34, s43, v55
	v_xor_b32_e32 v35, s42, v35
	v_and_b32_e32 v55, exec_hi, v34
	v_and_b32_e32 v64, exec_lo, v35
	v_lshlrev_b32_e32 v35, 30, v54
	v_mov_b32_e32 v34, v5
	v_cmp_gt_i64_e64 s[42:43], 0, v[34:35]
	v_not_b32_e32 v34, v35
	v_ashrrev_i32_e32 v34, 31, v34
	v_xor_b32_e32 v35, s43, v34
	v_xor_b32_e32 v34, s42, v34
	v_and_b32_e32 v55, v55, v35
	v_and_b32_e32 v64, v64, v34
	v_lshlrev_b32_e32 v35, 29, v54
	v_mov_b32_e32 v34, v5
	v_cmp_gt_i64_e64 s[42:43], 0, v[34:35]
	v_not_b32_e32 v34, v35
	v_ashrrev_i32_e32 v34, 31, v34
	v_xor_b32_e32 v35, s43, v34
	v_xor_b32_e32 v34, s42, v34
	v_and_b32_e32 v55, v55, v35
	v_and_b32_e32 v64, v64, v34
	;; [unrolled: 9-line block ×7, first 2 shown]
	v_mbcnt_lo_u32_b32 v54, v34, 0
	v_mbcnt_hi_u32_b32 v55, v35, v54
	v_cmp_ne_u64_e64 s[42:43], 0, v[34:35]
	v_cmp_eq_u32_e64 s[44:45], 0, v55
	s_and_b64 s[44:45], s[42:43], s[44:45]
	; wave barrier
	s_and_saveexec_b64 s[42:43], s[44:45]
	s_cbranch_execz .LBB2053_37
; %bb.36:                               ;   in Loop: Header=BB2053_29 Depth=1
	v_bcnt_u32_b32 v34, v34, 0
	v_bcnt_u32_b32 v34, v35, v34
	s_waitcnt lgkmcnt(0)
	v_add_u32_e32 v34, v52, v34
	ds_write_b32 v53, v34
.LBB2053_37:                            ;   in Loop: Header=BB2053_29 Depth=1
	s_or_b64 exec, exec, s[42:43]
	v_cmp_ne_u16_e64 s[42:43], s63, v179
	v_cndmask_b32_e64 v34, v1, v179, s[42:43]
	v_lshrrev_b32_sdwa v34, v10, v34 dst_sel:DWORD dst_unused:UNUSED_PAD src0_sel:DWORD src1_sel:WORD_0
	v_and_b32_e32 v54, v34, v39
	v_lshl_add_u32 v34, v54, 2, v130
	v_lshl_add_u32 v34, v34, 2, v12
	; wave barrier
	v_add_u32_e32 v65, 16, v34
	ds_read_b32 v64, v34 offset:16
	v_and_b32_e32 v34, 1, v54
	v_add_co_u32_e64 v35, s[42:43], -1, v34
	v_addc_co_u32_e64 v66, s[42:43], 0, -1, s[42:43]
	v_cmp_ne_u32_e64 s[42:43], 0, v34
	v_xor_b32_e32 v34, s43, v66
	v_xor_b32_e32 v35, s42, v35
	v_and_b32_e32 v66, exec_hi, v34
	v_and_b32_e32 v67, exec_lo, v35
	v_lshlrev_b32_e32 v35, 30, v54
	v_mov_b32_e32 v34, v5
	v_cmp_gt_i64_e64 s[42:43], 0, v[34:35]
	v_not_b32_e32 v34, v35
	v_ashrrev_i32_e32 v34, 31, v34
	v_xor_b32_e32 v35, s43, v34
	v_xor_b32_e32 v34, s42, v34
	v_and_b32_e32 v66, v66, v35
	v_and_b32_e32 v67, v67, v34
	v_lshlrev_b32_e32 v35, 29, v54
	v_mov_b32_e32 v34, v5
	v_cmp_gt_i64_e64 s[42:43], 0, v[34:35]
	v_not_b32_e32 v34, v35
	v_ashrrev_i32_e32 v34, 31, v34
	v_xor_b32_e32 v35, s43, v34
	v_xor_b32_e32 v34, s42, v34
	v_and_b32_e32 v66, v66, v35
	v_and_b32_e32 v67, v67, v34
	;; [unrolled: 9-line block ×7, first 2 shown]
	v_mbcnt_lo_u32_b32 v54, v34, 0
	v_mbcnt_hi_u32_b32 v66, v35, v54
	v_cmp_ne_u64_e64 s[42:43], 0, v[34:35]
	v_cmp_eq_u32_e64 s[44:45], 0, v66
	s_and_b64 s[44:45], s[42:43], s[44:45]
	; wave barrier
	s_and_saveexec_b64 s[42:43], s[44:45]
	s_cbranch_execz .LBB2053_39
; %bb.38:                               ;   in Loop: Header=BB2053_29 Depth=1
	v_bcnt_u32_b32 v34, v34, 0
	v_bcnt_u32_b32 v34, v35, v34
	s_waitcnt lgkmcnt(0)
	v_add_u32_e32 v34, v64, v34
	ds_write_b32 v65, v34
.LBB2053_39:                            ;   in Loop: Header=BB2053_29 Depth=1
	s_or_b64 exec, exec, s[42:43]
	v_cmp_ne_u16_e64 s[42:43], s63, v178
	v_cndmask_b32_e64 v34, v1, v178, s[42:43]
	v_lshrrev_b32_sdwa v34, v10, v34 dst_sel:DWORD dst_unused:UNUSED_PAD src0_sel:DWORD src1_sel:WORD_0
	v_and_b32_e32 v54, v34, v39
	v_lshl_add_u32 v34, v54, 2, v130
	v_lshl_add_u32 v34, v34, 2, v12
	; wave barrier
	v_add_u32_e32 v68, 16, v34
	ds_read_b32 v67, v34 offset:16
	v_and_b32_e32 v34, 1, v54
	v_add_co_u32_e64 v35, s[42:43], -1, v34
	v_addc_co_u32_e64 v69, s[42:43], 0, -1, s[42:43]
	v_cmp_ne_u32_e64 s[42:43], 0, v34
	v_xor_b32_e32 v34, s43, v69
	v_xor_b32_e32 v35, s42, v35
	v_and_b32_e32 v69, exec_hi, v34
	v_and_b32_e32 v70, exec_lo, v35
	v_lshlrev_b32_e32 v35, 30, v54
	v_mov_b32_e32 v34, v5
	v_cmp_gt_i64_e64 s[42:43], 0, v[34:35]
	v_not_b32_e32 v34, v35
	v_ashrrev_i32_e32 v34, 31, v34
	v_xor_b32_e32 v35, s43, v34
	v_xor_b32_e32 v34, s42, v34
	v_and_b32_e32 v69, v69, v35
	v_and_b32_e32 v70, v70, v34
	v_lshlrev_b32_e32 v35, 29, v54
	v_mov_b32_e32 v34, v5
	v_cmp_gt_i64_e64 s[42:43], 0, v[34:35]
	v_not_b32_e32 v34, v35
	v_ashrrev_i32_e32 v34, 31, v34
	v_xor_b32_e32 v35, s43, v34
	v_xor_b32_e32 v34, s42, v34
	v_and_b32_e32 v69, v69, v35
	v_and_b32_e32 v70, v70, v34
	;; [unrolled: 9-line block ×7, first 2 shown]
	v_mbcnt_lo_u32_b32 v54, v34, 0
	v_mbcnt_hi_u32_b32 v69, v35, v54
	v_cmp_ne_u64_e64 s[42:43], 0, v[34:35]
	v_cmp_eq_u32_e64 s[44:45], 0, v69
	s_and_b64 s[44:45], s[42:43], s[44:45]
	; wave barrier
	s_and_saveexec_b64 s[42:43], s[44:45]
	s_cbranch_execz .LBB2053_41
; %bb.40:                               ;   in Loop: Header=BB2053_29 Depth=1
	v_bcnt_u32_b32 v34, v34, 0
	v_bcnt_u32_b32 v34, v35, v34
	s_waitcnt lgkmcnt(0)
	v_add_u32_e32 v34, v67, v34
	ds_write_b32 v68, v34
.LBB2053_41:                            ;   in Loop: Header=BB2053_29 Depth=1
	s_or_b64 exec, exec, s[42:43]
	v_cmp_ne_u16_e64 s[42:43], s63, v177
	v_cndmask_b32_e64 v34, v1, v177, s[42:43]
	v_lshrrev_b32_sdwa v34, v10, v34 dst_sel:DWORD dst_unused:UNUSED_PAD src0_sel:DWORD src1_sel:WORD_0
	v_and_b32_e32 v54, v34, v39
	v_lshl_add_u32 v34, v54, 2, v130
	v_lshl_add_u32 v34, v34, 2, v12
	; wave barrier
	v_add_u32_e32 v80, 16, v34
	ds_read_b32 v70, v34 offset:16
	v_and_b32_e32 v34, 1, v54
	v_add_co_u32_e64 v35, s[42:43], -1, v34
	v_addc_co_u32_e64 v81, s[42:43], 0, -1, s[42:43]
	v_cmp_ne_u32_e64 s[42:43], 0, v34
	v_xor_b32_e32 v34, s43, v81
	v_xor_b32_e32 v35, s42, v35
	v_and_b32_e32 v81, exec_hi, v34
	v_and_b32_e32 v82, exec_lo, v35
	v_lshlrev_b32_e32 v35, 30, v54
	v_mov_b32_e32 v34, v5
	v_cmp_gt_i64_e64 s[42:43], 0, v[34:35]
	v_not_b32_e32 v34, v35
	v_ashrrev_i32_e32 v34, 31, v34
	v_xor_b32_e32 v35, s43, v34
	v_xor_b32_e32 v34, s42, v34
	v_and_b32_e32 v81, v81, v35
	v_and_b32_e32 v82, v82, v34
	v_lshlrev_b32_e32 v35, 29, v54
	v_mov_b32_e32 v34, v5
	v_cmp_gt_i64_e64 s[42:43], 0, v[34:35]
	v_not_b32_e32 v34, v35
	v_ashrrev_i32_e32 v34, 31, v34
	v_xor_b32_e32 v35, s43, v34
	v_xor_b32_e32 v34, s42, v34
	v_and_b32_e32 v81, v81, v35
	v_and_b32_e32 v82, v82, v34
	;; [unrolled: 9-line block ×7, first 2 shown]
	v_mbcnt_lo_u32_b32 v54, v34, 0
	v_mbcnt_hi_u32_b32 v81, v35, v54
	v_cmp_ne_u64_e64 s[42:43], 0, v[34:35]
	v_cmp_eq_u32_e64 s[44:45], 0, v81
	s_and_b64 s[44:45], s[42:43], s[44:45]
	; wave barrier
	s_and_saveexec_b64 s[42:43], s[44:45]
	s_cbranch_execz .LBB2053_43
; %bb.42:                               ;   in Loop: Header=BB2053_29 Depth=1
	v_bcnt_u32_b32 v34, v34, 0
	v_bcnt_u32_b32 v34, v35, v34
	s_waitcnt lgkmcnt(0)
	v_add_u32_e32 v34, v70, v34
	ds_write_b32 v80, v34
.LBB2053_43:                            ;   in Loop: Header=BB2053_29 Depth=1
	s_or_b64 exec, exec, s[42:43]
	v_cmp_ne_u16_e64 s[42:43], s63, v176
	v_cndmask_b32_e64 v34, v1, v176, s[42:43]
	v_lshrrev_b32_sdwa v34, v10, v34 dst_sel:DWORD dst_unused:UNUSED_PAD src0_sel:DWORD src1_sel:WORD_0
	v_and_b32_e32 v54, v34, v39
	v_lshl_add_u32 v34, v54, 2, v130
	v_lshl_add_u32 v34, v34, 2, v12
	; wave barrier
	v_add_u32_e32 v82, 16, v34
	ds_read_b32 v39, v34 offset:16
	v_and_b32_e32 v34, 1, v54
	v_add_co_u32_e64 v35, s[42:43], -1, v34
	v_addc_co_u32_e64 v83, s[42:43], 0, -1, s[42:43]
	v_cmp_ne_u32_e64 s[42:43], 0, v34
	v_xor_b32_e32 v34, s43, v83
	v_xor_b32_e32 v35, s42, v35
	v_and_b32_e32 v83, exec_hi, v34
	v_and_b32_e32 v84, exec_lo, v35
	v_lshlrev_b32_e32 v35, 30, v54
	v_mov_b32_e32 v34, v5
	v_cmp_gt_i64_e64 s[42:43], 0, v[34:35]
	v_not_b32_e32 v34, v35
	v_ashrrev_i32_e32 v34, 31, v34
	v_xor_b32_e32 v35, s43, v34
	v_xor_b32_e32 v34, s42, v34
	v_and_b32_e32 v83, v83, v35
	v_and_b32_e32 v84, v84, v34
	v_lshlrev_b32_e32 v35, 29, v54
	v_mov_b32_e32 v34, v5
	v_cmp_gt_i64_e64 s[42:43], 0, v[34:35]
	v_not_b32_e32 v34, v35
	v_ashrrev_i32_e32 v34, 31, v34
	v_xor_b32_e32 v35, s43, v34
	v_xor_b32_e32 v34, s42, v34
	v_and_b32_e32 v83, v83, v35
	v_and_b32_e32 v84, v84, v34
	;; [unrolled: 9-line block ×7, first 2 shown]
	v_mbcnt_lo_u32_b32 v54, v34, 0
	v_mbcnt_hi_u32_b32 v83, v35, v54
	v_cmp_ne_u64_e64 s[42:43], 0, v[34:35]
	v_cmp_eq_u32_e64 s[44:45], 0, v83
	s_and_b64 s[44:45], s[42:43], s[44:45]
	; wave barrier
	s_and_saveexec_b64 s[42:43], s[44:45]
	s_cbranch_execz .LBB2053_45
; %bb.44:                               ;   in Loop: Header=BB2053_29 Depth=1
	v_bcnt_u32_b32 v34, v34, 0
	v_bcnt_u32_b32 v34, v35, v34
	s_waitcnt lgkmcnt(0)
	v_add_u32_e32 v34, v39, v34
	ds_write_b32 v82, v34
.LBB2053_45:                            ;   in Loop: Header=BB2053_29 Depth=1
	s_or_b64 exec, exec, s[42:43]
	; wave barrier
	s_waitcnt lgkmcnt(0)
	s_barrier
	ds_read_b32 v54, v23
	ds_read_b32 v35, v87
	;; [unrolled: 1-line block ×4, first 2 shown]
	s_waitcnt lgkmcnt(2)
	v_add_u32_e32 v85, v35, v54
	s_waitcnt lgkmcnt(0)
	v_add3_u32 v84, v85, v34, v84
	s_nop 1
	v_mov_b32_dpp v85, v84 row_shr:1 row_mask:0xf bank_mask:0xf
	v_cndmask_b32_e64 v85, v85, 0, vcc
	v_add_u32_e32 v84, v85, v84
	s_nop 1
	v_mov_b32_dpp v85, v84 row_shr:2 row_mask:0xf bank_mask:0xf
	v_cndmask_b32_e64 v85, 0, v85, s[4:5]
	v_add_u32_e32 v84, v84, v85
	s_nop 1
	v_mov_b32_dpp v85, v84 row_shr:4 row_mask:0xf bank_mask:0xf
	v_cndmask_b32_e64 v85, 0, v85, s[6:7]
	;; [unrolled: 4-line block ×3, first 2 shown]
	v_add_u32_e32 v84, v84, v85
	s_nop 1
	v_mov_b32_dpp v85, v84 row_bcast:15 row_mask:0xf bank_mask:0xf
	v_cndmask_b32_e64 v85, v85, 0, s[40:41]
	v_add_u32_e32 v84, v84, v85
	s_nop 1
	v_mov_b32_dpp v85, v84 row_bcast:31 row_mask:0xf bank_mask:0xf
	v_cndmask_b32_e64 v85, 0, v85, s[14:15]
	v_add_u32_e32 v84, v84, v85
	s_and_saveexec_b64 s[42:43], s[16:17]
; %bb.46:                               ;   in Loop: Header=BB2053_29 Depth=1
	ds_write_b32 v132, v84
; %bb.47:                               ;   in Loop: Header=BB2053_29 Depth=1
	s_or_b64 exec, exec, s[42:43]
	s_waitcnt lgkmcnt(0)
	s_barrier
	s_and_saveexec_b64 s[42:43], s[18:19]
	s_cbranch_execz .LBB2053_49
; %bb.48:                               ;   in Loop: Header=BB2053_29 Depth=1
	ds_read_b32 v85, v133
	s_waitcnt lgkmcnt(0)
	s_nop 0
	v_mov_b32_dpp v86, v85 row_shr:1 row_mask:0xf bank_mask:0xf
	v_cndmask_b32_e64 v86, v86, 0, s[26:27]
	v_add_u32_e32 v85, v86, v85
	s_nop 1
	v_mov_b32_dpp v86, v85 row_shr:2 row_mask:0xf bank_mask:0xf
	v_cndmask_b32_e64 v86, 0, v86, s[28:29]
	v_add_u32_e32 v85, v85, v86
	ds_write_b32 v133, v85
.LBB2053_49:                            ;   in Loop: Header=BB2053_29 Depth=1
	s_or_b64 exec, exec, s[42:43]
	v_mov_b32_e32 v85, 0
	s_waitcnt lgkmcnt(0)
	s_barrier
	s_and_saveexec_b64 s[42:43], s[20:21]
; %bb.50:                               ;   in Loop: Header=BB2053_29 Depth=1
	ds_read_b32 v85, v134
; %bb.51:                               ;   in Loop: Header=BB2053_29 Depth=1
	s_or_b64 exec, exec, s[42:43]
	s_waitcnt lgkmcnt(0)
	v_add_u32_e32 v84, v85, v84
	ds_bpermute_b32 v84, v131, v84
	v_add_u32_e32 v10, 8, v10
	v_cmp_lt_u32_e64 s[42:43], v10, v11
	s_mov_b64 s[60:61], -1
                                        ; implicit-def: $vgpr96_vgpr97
                                        ; implicit-def: $vgpr112_vgpr113
                                        ; implicit-def: $vgpr192
                                        ; implicit-def: $vgpr193
                                        ; implicit-def: $vgpr194
	s_waitcnt lgkmcnt(0)
	v_cndmask_b32_e64 v84, v84, v85, s[22:23]
	v_cndmask_b32_e64 v84, v84, 0, s[24:25]
	v_add_u32_e32 v54, v84, v54
	v_add_u32_e32 v35, v54, v35
	v_add_u32_e32 v34, v35, v34
	ds_write_b32 v23, v84
	ds_write_b32 v87, v54
	;; [unrolled: 1-line block ×4, first 2 shown]
	s_waitcnt lgkmcnt(0)
	s_barrier
	ds_read_b32 v4, v4
	ds_read_b32 v34, v38
	;; [unrolled: 1-line block ×3, first 2 shown]
	s_waitcnt lgkmcnt(2)
	v_add_u32_e32 v4, v4, v36
	s_waitcnt lgkmcnt(1)
	v_add3_u32 v54, v48, v37, v34
	s_waitcnt lgkmcnt(0)
	v_add3_u32 v50, v51, v49, v35
	ds_read_b32 v34, v53
	ds_read_b32 v35, v65
	;; [unrolled: 1-line block ×5, first 2 shown]
	s_waitcnt lgkmcnt(4)
	v_add3_u32 v80, v55, v52, v34
	s_waitcnt lgkmcnt(3)
	v_add3_u32 v68, v66, v64, v35
	v_lshlrev_b64 v[34:35], 1, v[4:5]
	v_mov_b32_e32 v55, v5
	s_waitcnt lgkmcnt(0)
	v_add3_u32 v52, v83, v39, v38
	v_add_co_u32_e64 v83, s[44:45], v12, v34
	v_addc_co_u32_e64 v84, s[44:45], v13, v35, s[44:45]
	v_lshlrev_b64 v[34:35], 1, v[54:55]
	v_mov_b32_e32 v51, v5
	v_add_co_u32_e64 v85, s[44:45], v12, v34
	v_addc_co_u32_e64 v86, s[44:45], v13, v35, s[44:45]
	v_lshlrev_b64 v[34:35], 1, v[50:51]
	v_add3_u32 v64, v81, v70, v37
	v_add_co_u32_e64 v98, s[44:45], v12, v34
	v_mov_b32_e32 v81, v5
	v_addc_co_u32_e64 v99, s[44:45], v13, v35, s[44:45]
	v_lshlrev_b64 v[34:35], 1, v[80:81]
	v_add3_u32 v66, v69, v67, v36
	v_add_co_u32_e64 v100, s[44:45], v12, v34
	v_mov_b32_e32 v69, v5
	v_addc_co_u32_e64 v101, s[44:45], v13, v35, s[44:45]
	v_lshlrev_b64 v[34:35], 1, v[68:69]
	v_mov_b32_e32 v67, v5
	v_add_co_u32_e64 v102, s[44:45], v12, v34
	v_addc_co_u32_e64 v103, s[44:45], v13, v35, s[44:45]
	v_lshlrev_b64 v[34:35], 1, v[66:67]
	v_mov_b32_e32 v65, v5
	v_add_co_u32_e64 v114, s[44:45], v12, v34
	;; [unrolled: 4-line block ×3, first 2 shown]
	v_addc_co_u32_e64 v117, s[44:45], v13, v35, s[44:45]
	v_lshlrev_b64 v[34:35], 1, v[52:53]
	v_add_co_u32_e64 v118, s[44:45], v12, v34
	v_addc_co_u32_e64 v119, s[44:45], v13, v35, s[44:45]
                                        ; implicit-def: $vgpr34_vgpr35
                                        ; implicit-def: $vgpr36_vgpr37
                                        ; implicit-def: $vgpr38_vgpr39
                                        ; implicit-def: $vgpr48_vgpr49
                                        ; implicit-def: $vgpr69_vgpr70
                                        ; implicit-def: $vgpr81_vgpr82
                                        ; implicit-def: $vgpr51
                                        ; implicit-def: $vgpr53
                                        ; implicit-def: $vgpr55
                                        ; implicit-def: $vgpr65
                                        ; implicit-def: $vgpr67
	s_and_saveexec_b64 s[44:45], s[42:43]
	s_cbranch_execz .LBB2053_28
; %bb.52:                               ;   in Loop: Header=BB2053_29 Depth=1
	v_mad_u64_u32 v[34:35], s[42:43], v4, 6, v[83:84]
	v_mad_u64_u32 v[35:36], s[42:43], v54, 6, v[85:86]
	;; [unrolled: 1-line block ×4, first 2 shown]
	s_barrier
	ds_write_b16 v83, v183
	ds_write_b16 v85, v182
	;; [unrolled: 1-line block ×8, first 2 shown]
	s_waitcnt lgkmcnt(0)
	s_barrier
	ds_read_u16 v51, v135
	ds_read_u16 v53, v144
	;; [unrolled: 1-line block ×8, first 2 shown]
	s_waitcnt lgkmcnt(0)
	s_barrier
	ds_write_b64 v34, v[32:33]
	ds_write_b64 v35, v[30:31]
	;; [unrolled: 1-line block ×4, first 2 shown]
	v_mad_u64_u32 v[34:35], s[42:43], v68, 6, v[102:103]
	v_mad_u64_u32 v[35:36], s[42:43], v66, 6, v[114:115]
	;; [unrolled: 1-line block ×4, first 2 shown]
	ds_write_b64 v34, v[19:20]
	ds_write_b64 v35, v[17:18]
	ds_write_b64 v36, v[15:16]
	ds_write_b64 v37, v[8:9]
	s_waitcnt lgkmcnt(0)
	s_barrier
	ds_read_b64 v[34:35], v151
	ds_read_b64 v[36:37], v160
	;; [unrolled: 1-line block ×8, first 2 shown]
	v_add_u32_e32 v167, -8, v167
	s_xor_b64 s[60:61], exec, -1
	s_waitcnt lgkmcnt(0)
	s_barrier
	s_branch .LBB2053_28
.LBB2053_53:
	s_or_b64 exec, exec, s[58:59]
	v_mad_u64_u32 v[10:11], s[4:5], v4, 6, v[83:84]
	v_lshl_add_u32 v1, v14, 1, v12
	v_mad_u64_u32 v[11:12], s[4:5], v54, 6, v[85:86]
	v_mad_u64_u32 v[12:13], s[4:5], v50, 6, v[98:99]
	;; [unrolled: 1-line block ×3, first 2 shown]
	s_barrier
	ds_write_b16 v83, v183
	ds_write_b16 v85, v182
	;; [unrolled: 1-line block ×8, first 2 shown]
	s_waitcnt lgkmcnt(0)
	s_barrier
	ds_read_u16 v48, v1
	ds_read_u16 v39, v1 offset:512
	ds_read_u16 v38, v1 offset:1024
	;; [unrolled: 1-line block ×7, first 2 shown]
	s_waitcnt lgkmcnt(0)
	s_barrier
	ds_write_b64 v10, v[32:33]
	ds_write_b64 v11, v[30:31]
	;; [unrolled: 1-line block ×4, first 2 shown]
	v_mad_u64_u32 v[10:11], s[4:5], v68, 6, v[102:103]
	v_mad_u64_u32 v[11:12], s[4:5], v66, 6, v[114:115]
	;; [unrolled: 1-line block ×3, first 2 shown]
	v_mul_u32_u24_e32 v4, 6, v14
	v_mad_u64_u32 v[21:22], s[4:5], v52, 6, v[118:119]
	v_add_u32_e32 v1, v1, v4
	ds_write_b64 v10, v[19:20]
	ds_write_b64 v11, v[17:18]
	;; [unrolled: 1-line block ×4, first 2 shown]
	s_waitcnt lgkmcnt(0)
	s_barrier
	ds_read2st64_b64 v[20:23], v1 offset1:4
	ds_read2st64_b64 v[16:19], v1 offset0:8 offset1:12
	ds_read2st64_b64 v[12:15], v1 offset0:16 offset1:20
	;; [unrolled: 1-line block ×3, first 2 shown]
	v_add_co_u32_e32 v4, vcc, v2, v26
	v_mov_b32_e32 v1, 0
	v_addc_co_u32_e32 v26, vcc, v3, v27, vcc
	v_lshlrev_b64 v[2:3], 1, v[0:1]
	s_waitcnt lgkmcnt(0)
	v_add_co_u32_e32 v2, vcc, v4, v2
	v_addc_co_u32_e32 v3, vcc, v26, v3, vcc
	v_cmp_lt_u32_e32 vcc, v0, v71
	s_barrier
	s_and_saveexec_b64 s[6:7], vcc
	s_cbranch_execz .LBB2053_55
; %bb.54:
	v_mov_b32_e32 v4, 0xffff8000
	v_cmp_lt_i16_e64 s[4:5], -1, v48
	v_cndmask_b32_e64 v4, v4, -1, s[4:5]
	v_xor_b32_e32 v4, v4, v48
	flat_store_short v[2:3], v4
.LBB2053_55:
	s_or_b64 exec, exec, s[6:7]
	v_add_u32_e32 v4, 0x100, v0
	v_cmp_lt_u32_e64 s[4:5], v4, v71
	s_and_saveexec_b64 s[10:11], s[4:5]
	s_cbranch_execz .LBB2053_57
; %bb.56:
	v_mov_b32_e32 v4, 0xffff8000
	v_cmp_lt_i16_e64 s[6:7], -1, v39
	v_cndmask_b32_e64 v4, v4, -1, s[6:7]
	v_xor_b32_e32 v4, v4, v39
	flat_store_short v[2:3], v4 offset:512
.LBB2053_57:
	s_or_b64 exec, exec, s[10:11]
	v_add_u32_e32 v4, 0x200, v0
	v_cmp_lt_u32_e64 s[6:7], v4, v71
	s_and_saveexec_b64 s[14:15], s[6:7]
	s_cbranch_execz .LBB2053_59
; %bb.58:
	v_mov_b32_e32 v4, 0xffff8000
	v_cmp_lt_i16_e64 s[10:11], -1, v38
	v_cndmask_b32_e64 v4, v4, -1, s[10:11]
	v_xor_b32_e32 v4, v4, v38
	flat_store_short v[2:3], v4 offset:1024
.LBB2053_59:
	;; [unrolled: 12-line block ×7, first 2 shown]
	s_or_b64 exec, exec, s[24:25]
	v_add_co_u32_e64 v2, s[22:23], v6, v24
	v_lshlrev_b64 v[0:1], 3, v[0:1]
	v_addc_co_u32_e64 v3, s[22:23], v7, v25, s[22:23]
	v_add_co_u32_e64 v0, s[22:23], v2, v0
	v_addc_co_u32_e64 v1, s[22:23], v3, v1, s[22:23]
	s_and_saveexec_b64 s[22:23], vcc
	s_cbranch_execnz .LBB2053_119
; %bb.70:
	s_or_b64 exec, exec, s[22:23]
	s_and_saveexec_b64 s[22:23], s[4:5]
	s_cbranch_execnz .LBB2053_120
.LBB2053_71:
	s_or_b64 exec, exec, s[22:23]
	s_and_saveexec_b64 s[4:5], s[6:7]
	s_cbranch_execnz .LBB2053_121
.LBB2053_72:
	s_or_b64 exec, exec, s[4:5]
	s_and_saveexec_b64 s[4:5], s[10:11]
	s_cbranch_execnz .LBB2053_122
.LBB2053_73:
	s_or_b64 exec, exec, s[4:5]
	s_and_saveexec_b64 s[4:5], s[20:21]
	s_cbranch_execnz .LBB2053_123
.LBB2053_74:
	s_or_b64 exec, exec, s[4:5]
	s_and_saveexec_b64 s[4:5], s[14:15]
	s_cbranch_execnz .LBB2053_124
.LBB2053_75:
	s_or_b64 exec, exec, s[4:5]
	s_and_saveexec_b64 s[4:5], s[16:17]
	s_cbranch_execnz .LBB2053_125
.LBB2053_76:
	s_or_b64 exec, exec, s[4:5]
	s_and_saveexec_b64 s[4:5], s[18:19]
	s_cbranch_execz .LBB2053_78
.LBB2053_77:
	v_add_co_u32_e32 v0, vcc, 0x3000, v0
	v_addc_co_u32_e32 v1, vcc, 0, v1, vcc
	flat_store_dwordx2 v[0:1], v[10:11] offset:2048
.LBB2053_78:
	s_or_b64 exec, exec, s[4:5]
                                        ; implicit-def: $vgpr71
                                        ; implicit-def: $vgpr0
                                        ; implicit-def: $vgpr1
                                        ; implicit-def: $vgpr2
                                        ; implicit-def: $vgpr3
                                        ; implicit-def: $vgpr4
                                        ; implicit-def: $vgpr5
                                        ; implicit-def: $vgpr6
                                        ; implicit-def: $vgpr7
                                        ; implicit-def: $vgpr8
                                        ; implicit-def: $vgpr10
                                        ; implicit-def: $vgpr11
                                        ; implicit-def: $vgpr12
                                        ; implicit-def: $vgpr13
                                        ; implicit-def: $vgpr31
                                        ; implicit-def: $vgpr17
                                        ; implicit-def: $vgpr18
                                        ; implicit-def: $vgpr19
.LBB2053_79:
	s_andn2_saveexec_b64 s[4:5], s[56:57]
	s_cbranch_execz .LBB2053_199
; %bb.80:
	s_movk_i32 s4, 0x200
	v_cmp_lt_u32_e32 vcc, s4, v71
	s_and_saveexec_b64 s[4:5], vcc
	s_xor_b64 s[56:57], exec, s[4:5]
	s_cbranch_execz .LBB2053_140
; %bb.81:
	s_load_dwordx2 s[4:5], s[8:9], 0x0
	v_mov_b32_e32 v9, 0
	v_and_b32_e32 v30, 0x3ff, v31
	v_lshlrev_b64 v[31:32], 1, v[8:9]
	v_mbcnt_hi_u32_b32 v19, -1, v19
	s_waitcnt lgkmcnt(0)
	s_cmp_lt_u32 s13, s5
	s_cselect_b32 s5, 14, 20
	s_add_u32 s6, s8, s5
	s_addc_u32 s7, s9, 0
	s_cmp_lt_u32 s12, s4
	s_cselect_b32 s4, 12, 18
	s_add_u32 s4, s8, s4
	global_load_ushort v14, v9, s[6:7]
	s_addc_u32 s5, s9, 0
	global_load_ushort v16, v9, s[4:5]
	v_add_co_u32_e32 v23, vcc, v0, v31
	v_addc_co_u32_e32 v24, vcc, v1, v32, vcc
	v_and_b32_e32 v20, 63, v19
	v_mov_b32_e32 v15, v9
	v_lshlrev_b32_e32 v22, 1, v20
	v_mov_b32_e32 v21, 0x7fff
	s_waitcnt vmcnt(0)
	v_mad_u32_u24 v0, v18, v14, v17
	v_add_co_u32_e32 v18, vcc, v23, v22
	v_mad_u64_u32 v[0:1], s[4:5], v0, v16, v[30:31]
	v_addc_co_u32_e32 v22, vcc, 0, v24, vcc
	v_lshlrev_b32_e32 v1, 2, v0
	v_and_b32_e32 v14, 0xffffff00, v1
	v_lshlrev_b64 v[16:17], 1, v[14:15]
	v_or_b32_e32 v1, v14, v20
	v_add_co_u32_e32 v16, vcc, v18, v16
	v_cmp_lt_u32_e64 s[10:11], v1, v71
	v_addc_co_u32_e32 v17, vcc, v22, v17, vcc
	v_mov_b32_e32 v18, 0x7fff
	s_and_saveexec_b64 s[4:5], s[10:11]
	s_cbranch_execz .LBB2053_83
; %bb.82:
	flat_load_ushort v18, v[16:17]
.LBB2053_83:
	s_or_b64 exec, exec, s[4:5]
	v_or_b32_e32 v22, 64, v1
	v_cmp_lt_u32_e64 s[6:7], v22, v71
	s_and_saveexec_b64 s[4:5], s[6:7]
	s_cbranch_execz .LBB2053_85
; %bb.84:
	flat_load_ushort v21, v[16:17] offset:128
.LBB2053_85:
	s_or_b64 exec, exec, s[4:5]
	v_or_b32_e32 v22, 0x80, v1
	v_cmp_lt_u32_e64 s[4:5], v22, v71
	v_mov_b32_e32 v35, 0x7fff
	v_mov_b32_e32 v37, 0x7fff
	s_and_saveexec_b64 s[14:15], s[4:5]
	s_cbranch_execz .LBB2053_87
; %bb.86:
	flat_load_ushort v37, v[16:17] offset:256
.LBB2053_87:
	s_or_b64 exec, exec, s[14:15]
	v_or_b32_e32 v1, 0xc0, v1
	v_cmp_lt_u32_e32 vcc, v1, v71
	s_and_saveexec_b64 s[14:15], vcc
	s_cbranch_execz .LBB2053_89
; %bb.88:
	flat_load_ushort v35, v[16:17] offset:384
.LBB2053_89:
	s_or_b64 exec, exec, s[14:15]
	v_lshlrev_b64 v[33:34], 3, v[8:9]
	v_mov_b32_e32 v22, 0
	v_add_co_u32_e64 v1, s[14:15], v4, v33
	v_addc_co_u32_e64 v4, s[14:15], v5, v34, s[14:15]
	v_lshlrev_b32_e32 v5, 3, v20
	v_add_co_u32_e64 v1, s[14:15], v1, v5
	v_addc_co_u32_e64 v8, s[14:15], 0, v4, s[14:15]
	v_lshlrev_b64 v[4:5], 3, v[14:15]
	v_mov_b32_e32 v23, v22
	v_add_co_u32_e64 v4, s[14:15], v1, v4
	v_addc_co_u32_e64 v5, s[14:15], v8, v5, s[14:15]
	v_mov_b32_e32 v24, v22
	v_mov_b32_e32 v25, v22
	;; [unrolled: 1-line block ×6, first 2 shown]
	s_and_saveexec_b64 s[14:15], s[10:11]
	s_cbranch_execnz .LBB2053_164
; %bb.90:
	s_or_b64 exec, exec, s[14:15]
	s_and_saveexec_b64 s[10:11], s[6:7]
	s_cbranch_execnz .LBB2053_165
.LBB2053_91:
	s_or_b64 exec, exec, s[10:11]
	s_and_saveexec_b64 s[6:7], s[4:5]
	s_cbranch_execnz .LBB2053_166
.LBB2053_92:
	s_or_b64 exec, exec, s[6:7]
	s_and_saveexec_b64 s[4:5], vcc
	s_cbranch_execz .LBB2053_94
.LBB2053_93:
	flat_load_dwordx2 v[28:29], v[4:5] offset:1536
.LBB2053_94:
	s_or_b64 exec, exec, s[4:5]
	v_mov_b32_e32 v1, 0xffff8000
	s_waitcnt vmcnt(0) lgkmcnt(0)
	v_cmp_lt_i16_e32 vcc, -1, v18
	v_cndmask_b32_e32 v4, -1, v1, vcc
	v_cmp_lt_i16_e32 vcc, -1, v21
	v_xor_b32_e32 v9, v4, v18
	v_cndmask_b32_e32 v4, -1, v1, vcc
	v_cmp_lt_i16_e32 vcc, -1, v37
	v_lshl_add_u32 v5, v30, 4, v12
	v_xor_b32_e32 v36, v4, v21
	v_cndmask_b32_e32 v4, -1, v1, vcc
	v_cmp_lt_i16_e32 vcc, -1, v35
	s_getpc_b64 s[4:5]
	s_add_u32 s4, s4, _ZN7rocprim17ROCPRIM_400000_NS16block_radix_sortI12hip_bfloat16Lj256ELj4ElLj1ELj1ELj8ELNS0_26block_radix_rank_algorithmE2ELNS0_18block_padding_hintE2ELNS0_4arch9wavefront6targetE1EE19radix_bits_per_passE@rel32@lo+4
	s_addc_u32 s5, s5, _ZN7rocprim17ROCPRIM_400000_NS16block_radix_sortI12hip_bfloat16Lj256ELj4ElLj1ELj1ELj8ELNS0_26block_radix_rank_algorithmE2ELNS0_18block_padding_hintE2ELNS0_4arch9wavefront6targetE1EE19radix_bits_per_passE@rel32@hi+12
	v_add_u32_e32 v54, 16, v5
	v_add_u32_e32 v55, 20, v5
	;; [unrolled: 1-line block ×4, first 2 shown]
	v_and_b32_e32 v5, 15, v19
	v_xor_b32_e32 v101, v4, v37
	v_cndmask_b32_e32 v4, -1, v1, vcc
	s_load_dword s62, s[4:5], 0x0
	v_cmp_eq_u32_e32 vcc, 0, v5
	v_cmp_lt_u32_e64 s[4:5], 1, v5
	v_cmp_lt_u32_e64 s[6:7], 3, v5
	;; [unrolled: 1-line block ×3, first 2 shown]
	v_and_b32_e32 v5, 16, v19
	v_cmp_eq_u32_e64 s[40:41], 0, v5
	v_and_b32_e32 v5, 0x3c0, v30
	v_min_u32_e32 v5, 0xc0, v5
	v_or_b32_e32 v5, 63, v5
	v_cmp_eq_u32_e64 s[16:17], v30, v5
	v_subrev_co_u32_e64 v5, s[22:23], 1, v19
	v_and_b32_e32 v8, 64, v19
	v_cmp_lt_i32_e64 s[24:25], v5, v8
	v_xor_b32_e32 v102, v4, v35
	v_lshlrev_b32_e32 v4, 2, v30
	v_cndmask_b32_e64 v5, v5, v19, s[24:25]
	s_movk_i32 s42, 0xf00
	v_lshlrev_b32_e32 v67, 2, v5
	v_lshrrev_b32_e32 v5, 4, v30
	v_add_u32_e32 v69, v12, v4
	v_and_or_b32 v4, v4, s42, v20
	v_and_b32_e32 v5, 60, v5
	v_lshl_add_u32 v80, v4, 1, v12
	v_mul_u32_u24_e32 v4, 6, v4
	v_add_u32_e32 v68, v12, v5
	v_and_b32_e32 v8, 3, v19
	v_add_u32_e32 v84, v80, v4
	v_lshrrev_b32_e32 v66, 6, v0
	v_cmp_lt_u32_e64 s[14:15], 31, v19
	v_cmp_gt_u32_e64 s[18:19], 4, v30
	v_cmp_lt_u32_e64 s[20:21], 63, v30
	v_cmp_eq_u32_e64 s[24:25], 0, v30
	v_mov_b32_e32 v5, 0
	v_cmp_eq_u32_e64 s[26:27], 0, v8
	v_cmp_lt_u32_e64 s[28:29], 1, v8
	v_add_u32_e32 v70, -4, v68
	v_add_u32_e32 v81, 0x80, v80
	v_add_u32_e32 v82, 0x100, v80
	v_add_u32_e32 v83, 0x180, v80
	v_add_u32_e32 v85, 0x200, v84
	v_add_u32_e32 v86, 0x400, v84
	v_add_u32_e32 v87, 0x600, v84
	v_sub_u32_e32 v96, v11, v10
	s_mov_b64 s[58:59], 0
	s_movk_i32 s63, 0x7fff
	s_waitcnt lgkmcnt(0)
	s_barrier
	s_branch .LBB2053_96
.LBB2053_95:                            ;   in Loop: Header=BB2053_96 Depth=1
	s_or_b64 exec, exec, s[44:45]
	s_and_b64 s[42:43], exec, s[60:61]
	s_or_b64 s[58:59], s[42:43], s[58:59]
	s_andn2_b64 exec, exec, s[58:59]
	s_cbranch_execz .LBB2053_126
.LBB2053_96:                            ; =>This Inner Loop Header: Depth=1
	v_mov_b32_e32 v100, v9
	v_min_u32_e32 v4, s62, v96
	v_mov_b32_e32 v14, v22
	v_lshlrev_b32_e64 v4, v4, -1
	v_cmp_ne_u16_e64 s[42:43], s63, v100
	v_mov_b32_e32 v15, v23
	v_mov_b32_e32 v16, v24
	v_mov_b32_e32 v17, v25
	v_mov_b32_e32 v18, v26
	v_mov_b32_e32 v19, v27
	v_mov_b32_e32 v20, v28
	v_mov_b32_e32 v21, v29
	v_not_b32_e32 v25, v4
	v_cndmask_b32_e64 v4, v1, v100, s[42:43]
	v_lshrrev_b32_sdwa v4, v10, v4 dst_sel:DWORD dst_unused:UNUSED_PAD src0_sel:DWORD src1_sel:WORD_0
	v_and_b32_e32 v22, v4, v25
	v_lshlrev_b32_e32 v4, 2, v22
	v_add_lshl_u32 v4, v4, v66, 2
	v_add_co_u32_e64 v4, s[42:43], v12, v4
	v_add_co_u32_e64 v4, s[42:43], 16, v4
	v_and_b32_e32 v8, 1, v22
	v_add_co_u32_e64 v9, s[42:43], -1, v8
	v_addc_co_u32_e64 v23, s[42:43], 0, -1, s[42:43]
	v_cmp_ne_u32_e64 s[42:43], 0, v8
	v_xor_b32_e32 v8, s43, v23
	v_xor_b32_e32 v9, s42, v9
	v_and_b32_e32 v23, exec_hi, v8
	v_and_b32_e32 v24, exec_lo, v9
	v_lshlrev_b32_e32 v9, 30, v22
	v_mov_b32_e32 v8, v5
	v_cmp_gt_i64_e64 s[42:43], 0, v[8:9]
	v_not_b32_e32 v8, v9
	v_ashrrev_i32_e32 v8, 31, v8
	v_xor_b32_e32 v9, s43, v8
	v_xor_b32_e32 v8, s42, v8
	v_and_b32_e32 v23, v23, v9
	v_and_b32_e32 v24, v24, v8
	v_lshlrev_b32_e32 v9, 29, v22
	v_mov_b32_e32 v8, v5
	v_cmp_gt_i64_e64 s[42:43], 0, v[8:9]
	v_not_b32_e32 v8, v9
	v_ashrrev_i32_e32 v8, 31, v8
	v_xor_b32_e32 v9, s43, v8
	v_xor_b32_e32 v8, s42, v8
	v_and_b32_e32 v23, v23, v9
	v_and_b32_e32 v24, v24, v8
	;; [unrolled: 9-line block ×7, first 2 shown]
	v_mbcnt_lo_u32_b32 v22, v8, 0
	v_mbcnt_hi_u32_b32 v22, v9, v22
	v_cmp_ne_u64_e64 s[42:43], 0, v[8:9]
	v_cmp_eq_u32_e64 s[44:45], 0, v22
	v_mov_b32_e32 v99, v36
	v_mov_b32_e32 v98, v101
	;; [unrolled: 1-line block ×3, first 2 shown]
	s_and_b64 s[44:45], s[42:43], s[44:45]
	ds_write_b32 v54, v5
	ds_write_b32 v55, v5
	;; [unrolled: 1-line block ×4, first 2 shown]
	s_waitcnt lgkmcnt(0)
	s_barrier
	; wave barrier
	s_and_saveexec_b64 s[42:43], s[44:45]
; %bb.97:                               ;   in Loop: Header=BB2053_96 Depth=1
	v_bcnt_u32_b32 v8, v8, 0
	v_bcnt_u32_b32 v8, v9, v8
	ds_write_b32 v4, v8
; %bb.98:                               ;   in Loop: Header=BB2053_96 Depth=1
	s_or_b64 exec, exec, s[42:43]
	v_cmp_ne_u16_e64 s[42:43], s63, v99
	v_cndmask_b32_e64 v8, v1, v99, s[42:43]
	v_lshrrev_b32_sdwa v8, v10, v8 dst_sel:DWORD dst_unused:UNUSED_PAD src0_sel:DWORD src1_sel:WORD_0
	v_and_b32_e32 v26, v8, v25
	v_lshl_add_u32 v8, v26, 2, v66
	v_lshl_add_u32 v8, v8, 2, v12
	; wave barrier
	v_add_u32_e32 v24, 16, v8
	ds_read_b32 v23, v8 offset:16
	v_and_b32_e32 v8, 1, v26
	v_add_co_u32_e64 v9, s[42:43], -1, v8
	v_addc_co_u32_e64 v27, s[42:43], 0, -1, s[42:43]
	v_cmp_ne_u32_e64 s[42:43], 0, v8
	v_xor_b32_e32 v8, s43, v27
	v_xor_b32_e32 v9, s42, v9
	v_and_b32_e32 v27, exec_hi, v8
	v_and_b32_e32 v28, exec_lo, v9
	v_lshlrev_b32_e32 v9, 30, v26
	v_mov_b32_e32 v8, v5
	v_cmp_gt_i64_e64 s[42:43], 0, v[8:9]
	v_not_b32_e32 v8, v9
	v_ashrrev_i32_e32 v8, 31, v8
	v_xor_b32_e32 v9, s43, v8
	v_xor_b32_e32 v8, s42, v8
	v_and_b32_e32 v27, v27, v9
	v_and_b32_e32 v28, v28, v8
	v_lshlrev_b32_e32 v9, 29, v26
	v_mov_b32_e32 v8, v5
	v_cmp_gt_i64_e64 s[42:43], 0, v[8:9]
	v_not_b32_e32 v8, v9
	v_ashrrev_i32_e32 v8, 31, v8
	v_xor_b32_e32 v9, s43, v8
	v_xor_b32_e32 v8, s42, v8
	v_and_b32_e32 v27, v27, v9
	v_and_b32_e32 v28, v28, v8
	v_lshlrev_b32_e32 v9, 28, v26
	v_mov_b32_e32 v8, v5
	v_cmp_gt_i64_e64 s[42:43], 0, v[8:9]
	v_not_b32_e32 v8, v9
	v_ashrrev_i32_e32 v8, 31, v8
	v_xor_b32_e32 v9, s43, v8
	v_xor_b32_e32 v8, s42, v8
	v_and_b32_e32 v27, v27, v9
	v_and_b32_e32 v28, v28, v8
	v_lshlrev_b32_e32 v9, 27, v26
	v_mov_b32_e32 v8, v5
	v_cmp_gt_i64_e64 s[42:43], 0, v[8:9]
	v_not_b32_e32 v8, v9
	v_ashrrev_i32_e32 v8, 31, v8
	v_xor_b32_e32 v9, s43, v8
	v_xor_b32_e32 v8, s42, v8
	v_and_b32_e32 v27, v27, v9
	v_and_b32_e32 v28, v28, v8
	v_lshlrev_b32_e32 v9, 26, v26
	v_mov_b32_e32 v8, v5
	v_cmp_gt_i64_e64 s[42:43], 0, v[8:9]
	v_not_b32_e32 v8, v9
	v_ashrrev_i32_e32 v8, 31, v8
	v_xor_b32_e32 v9, s43, v8
	v_xor_b32_e32 v8, s42, v8
	v_and_b32_e32 v27, v27, v9
	v_and_b32_e32 v28, v28, v8
	v_lshlrev_b32_e32 v9, 25, v26
	v_mov_b32_e32 v8, v5
	v_cmp_gt_i64_e64 s[42:43], 0, v[8:9]
	v_not_b32_e32 v8, v9
	v_ashrrev_i32_e32 v8, 31, v8
	v_xor_b32_e32 v9, s43, v8
	v_xor_b32_e32 v8, s42, v8
	v_and_b32_e32 v27, v27, v9
	v_and_b32_e32 v28, v28, v8
	v_lshlrev_b32_e32 v9, 24, v26
	v_mov_b32_e32 v8, v5
	v_cmp_gt_i64_e64 s[42:43], 0, v[8:9]
	v_not_b32_e32 v8, v9
	v_ashrrev_i32_e32 v8, 31, v8
	v_xor_b32_e32 v9, s43, v8
	v_xor_b32_e32 v8, s42, v8
	v_and_b32_e32 v8, v28, v8
	v_and_b32_e32 v9, v27, v9
	v_mbcnt_lo_u32_b32 v26, v8, 0
	v_mbcnt_hi_u32_b32 v26, v9, v26
	v_cmp_ne_u64_e64 s[42:43], 0, v[8:9]
	v_cmp_eq_u32_e64 s[44:45], 0, v26
	s_and_b64 s[44:45], s[42:43], s[44:45]
	; wave barrier
	s_and_saveexec_b64 s[42:43], s[44:45]
	s_cbranch_execz .LBB2053_100
; %bb.99:                               ;   in Loop: Header=BB2053_96 Depth=1
	v_bcnt_u32_b32 v8, v8, 0
	v_bcnt_u32_b32 v8, v9, v8
	s_waitcnt lgkmcnt(0)
	v_add_u32_e32 v8, v23, v8
	ds_write_b32 v24, v8
.LBB2053_100:                           ;   in Loop: Header=BB2053_96 Depth=1
	s_or_b64 exec, exec, s[42:43]
	v_cmp_ne_u16_e64 s[42:43], s63, v98
	v_cndmask_b32_e64 v8, v1, v98, s[42:43]
	v_lshrrev_b32_sdwa v8, v10, v8 dst_sel:DWORD dst_unused:UNUSED_PAD src0_sel:DWORD src1_sel:WORD_0
	v_and_b32_e32 v29, v8, v25
	v_lshl_add_u32 v8, v29, 2, v66
	v_lshl_add_u32 v8, v8, 2, v12
	; wave barrier
	v_add_u32_e32 v28, 16, v8
	ds_read_b32 v27, v8 offset:16
	v_and_b32_e32 v8, 1, v29
	v_add_co_u32_e64 v9, s[42:43], -1, v8
	v_addc_co_u32_e64 v35, s[42:43], 0, -1, s[42:43]
	v_cmp_ne_u32_e64 s[42:43], 0, v8
	v_xor_b32_e32 v8, s43, v35
	v_xor_b32_e32 v9, s42, v9
	v_and_b32_e32 v35, exec_hi, v8
	v_and_b32_e32 v36, exec_lo, v9
	v_lshlrev_b32_e32 v9, 30, v29
	v_mov_b32_e32 v8, v5
	v_cmp_gt_i64_e64 s[42:43], 0, v[8:9]
	v_not_b32_e32 v8, v9
	v_ashrrev_i32_e32 v8, 31, v8
	v_xor_b32_e32 v9, s43, v8
	v_xor_b32_e32 v8, s42, v8
	v_and_b32_e32 v35, v35, v9
	v_and_b32_e32 v36, v36, v8
	v_lshlrev_b32_e32 v9, 29, v29
	v_mov_b32_e32 v8, v5
	v_cmp_gt_i64_e64 s[42:43], 0, v[8:9]
	v_not_b32_e32 v8, v9
	v_ashrrev_i32_e32 v8, 31, v8
	v_xor_b32_e32 v9, s43, v8
	v_xor_b32_e32 v8, s42, v8
	v_and_b32_e32 v35, v35, v9
	v_and_b32_e32 v36, v36, v8
	;; [unrolled: 9-line block ×7, first 2 shown]
	v_mbcnt_lo_u32_b32 v29, v8, 0
	v_mbcnt_hi_u32_b32 v29, v9, v29
	v_cmp_ne_u64_e64 s[42:43], 0, v[8:9]
	v_cmp_eq_u32_e64 s[44:45], 0, v29
	s_and_b64 s[44:45], s[42:43], s[44:45]
	; wave barrier
	s_and_saveexec_b64 s[42:43], s[44:45]
	s_cbranch_execz .LBB2053_102
; %bb.101:                              ;   in Loop: Header=BB2053_96 Depth=1
	v_bcnt_u32_b32 v8, v8, 0
	v_bcnt_u32_b32 v8, v9, v8
	s_waitcnt lgkmcnt(0)
	v_add_u32_e32 v8, v27, v8
	ds_write_b32 v28, v8
.LBB2053_102:                           ;   in Loop: Header=BB2053_96 Depth=1
	s_or_b64 exec, exec, s[42:43]
	v_cmp_ne_u16_e64 s[42:43], s63, v97
	v_cndmask_b32_e64 v8, v1, v97, s[42:43]
	v_lshrrev_b32_sdwa v8, v10, v8 dst_sel:DWORD dst_unused:UNUSED_PAD src0_sel:DWORD src1_sel:WORD_0
	v_and_b32_e32 v36, v8, v25
	v_lshl_add_u32 v8, v36, 2, v66
	v_lshl_add_u32 v8, v8, 2, v12
	; wave barrier
	v_add_u32_e32 v35, 16, v8
	ds_read_b32 v25, v8 offset:16
	v_and_b32_e32 v8, 1, v36
	v_add_co_u32_e64 v9, s[42:43], -1, v8
	v_addc_co_u32_e64 v37, s[42:43], 0, -1, s[42:43]
	v_cmp_ne_u32_e64 s[42:43], 0, v8
	v_xor_b32_e32 v8, s43, v37
	v_xor_b32_e32 v9, s42, v9
	v_and_b32_e32 v37, exec_hi, v8
	v_and_b32_e32 v38, exec_lo, v9
	v_lshlrev_b32_e32 v9, 30, v36
	v_mov_b32_e32 v8, v5
	v_cmp_gt_i64_e64 s[42:43], 0, v[8:9]
	v_not_b32_e32 v8, v9
	v_ashrrev_i32_e32 v8, 31, v8
	v_xor_b32_e32 v9, s43, v8
	v_xor_b32_e32 v8, s42, v8
	v_and_b32_e32 v37, v37, v9
	v_and_b32_e32 v38, v38, v8
	v_lshlrev_b32_e32 v9, 29, v36
	v_mov_b32_e32 v8, v5
	v_cmp_gt_i64_e64 s[42:43], 0, v[8:9]
	v_not_b32_e32 v8, v9
	v_ashrrev_i32_e32 v8, 31, v8
	v_xor_b32_e32 v9, s43, v8
	v_xor_b32_e32 v8, s42, v8
	v_and_b32_e32 v37, v37, v9
	v_and_b32_e32 v38, v38, v8
	;; [unrolled: 9-line block ×7, first 2 shown]
	v_mbcnt_lo_u32_b32 v36, v8, 0
	v_mbcnt_hi_u32_b32 v36, v9, v36
	v_cmp_ne_u64_e64 s[42:43], 0, v[8:9]
	v_cmp_eq_u32_e64 s[44:45], 0, v36
	s_and_b64 s[44:45], s[42:43], s[44:45]
	; wave barrier
	s_and_saveexec_b64 s[42:43], s[44:45]
	s_cbranch_execz .LBB2053_104
; %bb.103:                              ;   in Loop: Header=BB2053_96 Depth=1
	v_bcnt_u32_b32 v8, v8, 0
	v_bcnt_u32_b32 v8, v9, v8
	s_waitcnt lgkmcnt(0)
	v_add_u32_e32 v8, v25, v8
	ds_write_b32 v35, v8
.LBB2053_104:                           ;   in Loop: Header=BB2053_96 Depth=1
	s_or_b64 exec, exec, s[42:43]
	; wave barrier
	s_waitcnt lgkmcnt(0)
	s_barrier
	ds_read_b32 v37, v54
	ds_read_b32 v9, v55
	;; [unrolled: 1-line block ×4, first 2 shown]
	s_waitcnt lgkmcnt(2)
	v_add_u32_e32 v39, v9, v37
	s_waitcnt lgkmcnt(0)
	v_add3_u32 v38, v39, v8, v38
	s_nop 1
	v_mov_b32_dpp v39, v38 row_shr:1 row_mask:0xf bank_mask:0xf
	v_cndmask_b32_e64 v39, v39, 0, vcc
	v_add_u32_e32 v38, v39, v38
	s_nop 1
	v_mov_b32_dpp v39, v38 row_shr:2 row_mask:0xf bank_mask:0xf
	v_cndmask_b32_e64 v39, 0, v39, s[4:5]
	v_add_u32_e32 v38, v38, v39
	s_nop 1
	v_mov_b32_dpp v39, v38 row_shr:4 row_mask:0xf bank_mask:0xf
	v_cndmask_b32_e64 v39, 0, v39, s[6:7]
	;; [unrolled: 4-line block ×3, first 2 shown]
	v_add_u32_e32 v38, v38, v39
	s_nop 1
	v_mov_b32_dpp v39, v38 row_bcast:15 row_mask:0xf bank_mask:0xf
	v_cndmask_b32_e64 v39, v39, 0, s[40:41]
	v_add_u32_e32 v38, v38, v39
	s_nop 1
	v_mov_b32_dpp v39, v38 row_bcast:31 row_mask:0xf bank_mask:0xf
	v_cndmask_b32_e64 v39, 0, v39, s[14:15]
	v_add_u32_e32 v38, v38, v39
	s_and_saveexec_b64 s[42:43], s[16:17]
; %bb.105:                              ;   in Loop: Header=BB2053_96 Depth=1
	ds_write_b32 v68, v38
; %bb.106:                              ;   in Loop: Header=BB2053_96 Depth=1
	s_or_b64 exec, exec, s[42:43]
	s_waitcnt lgkmcnt(0)
	s_barrier
	s_and_saveexec_b64 s[42:43], s[18:19]
	s_cbranch_execz .LBB2053_108
; %bb.107:                              ;   in Loop: Header=BB2053_96 Depth=1
	ds_read_b32 v39, v69
	s_waitcnt lgkmcnt(0)
	s_nop 0
	v_mov_b32_dpp v48, v39 row_shr:1 row_mask:0xf bank_mask:0xf
	v_cndmask_b32_e64 v48, v48, 0, s[26:27]
	v_add_u32_e32 v39, v48, v39
	s_nop 1
	v_mov_b32_dpp v48, v39 row_shr:2 row_mask:0xf bank_mask:0xf
	v_cndmask_b32_e64 v48, 0, v48, s[28:29]
	v_add_u32_e32 v39, v39, v48
	ds_write_b32 v69, v39
.LBB2053_108:                           ;   in Loop: Header=BB2053_96 Depth=1
	s_or_b64 exec, exec, s[42:43]
	v_mov_b32_e32 v39, 0
	s_waitcnt lgkmcnt(0)
	s_barrier
	s_and_saveexec_b64 s[42:43], s[20:21]
; %bb.109:                              ;   in Loop: Header=BB2053_96 Depth=1
	ds_read_b32 v39, v70
; %bb.110:                              ;   in Loop: Header=BB2053_96 Depth=1
	s_or_b64 exec, exec, s[42:43]
	s_waitcnt lgkmcnt(0)
	v_add_u32_e32 v38, v39, v38
	ds_bpermute_b32 v38, v67, v38
	v_add_u32_e32 v10, 8, v10
	v_cmp_lt_u32_e64 s[42:43], v10, v11
	s_mov_b64 s[60:61], -1
                                        ; implicit-def: $vgpr101
                                        ; implicit-def: $vgpr102
	s_waitcnt lgkmcnt(0)
	v_cndmask_b32_e64 v38, v38, v39, s[22:23]
	v_cndmask_b32_e64 v38, v38, 0, s[24:25]
	v_add_u32_e32 v37, v38, v37
	v_add_u32_e32 v9, v37, v9
	;; [unrolled: 1-line block ×3, first 2 shown]
	ds_write_b32 v54, v38
	ds_write_b32 v55, v37
	ds_write_b32 v64, v9
	ds_write_b32 v65, v8
	s_waitcnt lgkmcnt(0)
	s_barrier
	ds_read_b32 v4, v4
	ds_read_b32 v8, v24
	;; [unrolled: 1-line block ×4, first 2 shown]
	v_mov_b32_e32 v38, v5
	s_waitcnt lgkmcnt(3)
	v_add_u32_e32 v4, v4, v22
	s_waitcnt lgkmcnt(2)
	v_add3_u32 v37, v26, v23, v8
	v_lshlrev_b64 v[22:23], 1, v[4:5]
	s_waitcnt lgkmcnt(1)
	v_add3_u32 v35, v29, v27, v9
	v_add_co_u32_e64 v48, s[44:45], v12, v22
	v_addc_co_u32_e64 v49, s[44:45], v13, v23, s[44:45]
	v_lshlrev_b64 v[22:23], 1, v[37:38]
	s_waitcnt lgkmcnt(0)
	v_add3_u32 v8, v36, v25, v24
	v_add_co_u32_e64 v38, s[44:45], v12, v22
	v_mov_b32_e32 v36, v5
	v_addc_co_u32_e64 v39, s[44:45], v13, v23, s[44:45]
	v_lshlrev_b64 v[22:23], 1, v[35:36]
	v_mov_b32_e32 v9, v5
	v_add_co_u32_e64 v50, s[44:45], v12, v22
	v_addc_co_u32_e64 v51, s[44:45], v13, v23, s[44:45]
	v_lshlrev_b64 v[22:23], 1, v[8:9]
	v_add_co_u32_e64 v52, s[44:45], v12, v22
	v_addc_co_u32_e64 v53, s[44:45], v13, v23, s[44:45]
                                        ; implicit-def: $vgpr22_vgpr23_vgpr24_vgpr25_vgpr26_vgpr27_vgpr28_vgpr29
                                        ; implicit-def: $vgpr9
                                        ; implicit-def: $vgpr36
	s_and_saveexec_b64 s[44:45], s[42:43]
	s_cbranch_execz .LBB2053_95
; %bb.111:                              ;   in Loop: Header=BB2053_96 Depth=1
	v_mad_u64_u32 v[22:23], s[42:43], v4, 6, v[48:49]
	v_mad_u64_u32 v[23:24], s[42:43], v37, 6, v[38:39]
	;; [unrolled: 1-line block ×4, first 2 shown]
	s_barrier
	ds_write_b16 v48, v100
	ds_write_b16 v38, v99
	;; [unrolled: 1-line block ×4, first 2 shown]
	s_waitcnt lgkmcnt(0)
	s_barrier
	ds_read_u16 v9, v80
	ds_read_u16 v36, v81
	;; [unrolled: 1-line block ×4, first 2 shown]
	s_waitcnt lgkmcnt(0)
	s_barrier
	ds_write_b64 v22, v[14:15]
	ds_write_b64 v23, v[16:17]
	;; [unrolled: 1-line block ×4, first 2 shown]
	s_waitcnt lgkmcnt(0)
	s_barrier
	ds_read_b64 v[22:23], v84
	ds_read_b64 v[24:25], v85
	ds_read_b64 v[26:27], v86
	ds_read_b64 v[28:29], v87
	v_add_u32_e32 v96, -8, v96
	s_xor_b64 s[60:61], exec, -1
	s_waitcnt lgkmcnt(0)
	s_barrier
	s_branch .LBB2053_95
.LBB2053_112:
	flat_load_dwordx2 v[34:35], v[4:5]
	s_or_b64 exec, exec, s[22:23]
                                        ; implicit-def: $vgpr36_vgpr37
	s_and_saveexec_b64 s[22:23], s[4:5]
	s_cbranch_execz .LBB2053_20
.LBB2053_113:
	flat_load_dwordx2 v[36:37], v[4:5] offset:512
	s_or_b64 exec, exec, s[22:23]
                                        ; implicit-def: $vgpr38_vgpr39
	s_and_saveexec_b64 s[4:5], s[6:7]
	s_cbranch_execz .LBB2053_21
.LBB2053_114:
	flat_load_dwordx2 v[38:39], v[4:5] offset:1024
	s_or_b64 exec, exec, s[4:5]
                                        ; implicit-def: $vgpr48_vgpr49
	s_and_saveexec_b64 s[4:5], s[10:11]
	s_cbranch_execz .LBB2053_22
.LBB2053_115:
	flat_load_dwordx2 v[48:49], v[4:5] offset:1536
	s_or_b64 exec, exec, s[4:5]
                                        ; implicit-def: $vgpr69_vgpr70
	s_and_saveexec_b64 s[4:5], s[20:21]
	s_cbranch_execz .LBB2053_23
.LBB2053_116:
	flat_load_dwordx2 v[69:70], v[4:5] offset:2048
	s_or_b64 exec, exec, s[4:5]
                                        ; implicit-def: $vgpr81_vgpr82
	s_and_saveexec_b64 s[4:5], s[14:15]
	s_cbranch_execz .LBB2053_24
.LBB2053_117:
	flat_load_dwordx2 v[81:82], v[4:5] offset:2560
	s_or_b64 exec, exec, s[4:5]
                                        ; implicit-def: $vgpr96_vgpr97
	s_and_saveexec_b64 s[4:5], s[16:17]
	s_cbranch_execz .LBB2053_25
.LBB2053_118:
	flat_load_dwordx2 v[96:97], v[4:5] offset:3072
	s_or_b64 exec, exec, s[4:5]
                                        ; implicit-def: $vgpr112_vgpr113
	s_and_saveexec_b64 s[4:5], s[18:19]
	s_cbranch_execnz .LBB2053_26
	s_branch .LBB2053_27
.LBB2053_119:
	flat_store_dwordx2 v[0:1], v[20:21]
	s_or_b64 exec, exec, s[22:23]
	s_and_saveexec_b64 s[22:23], s[4:5]
	s_cbranch_execz .LBB2053_71
.LBB2053_120:
	flat_store_dwordx2 v[0:1], v[22:23] offset:2048
	s_or_b64 exec, exec, s[22:23]
	s_and_saveexec_b64 s[4:5], s[6:7]
	s_cbranch_execz .LBB2053_72
.LBB2053_121:
	v_add_co_u32_e32 v2, vcc, 0x1000, v0
	v_addc_co_u32_e32 v3, vcc, 0, v1, vcc
	flat_store_dwordx2 v[2:3], v[16:17]
	s_or_b64 exec, exec, s[4:5]
	s_and_saveexec_b64 s[4:5], s[10:11]
	s_cbranch_execz .LBB2053_73
.LBB2053_122:
	v_add_co_u32_e32 v2, vcc, 0x1000, v0
	v_addc_co_u32_e32 v3, vcc, 0, v1, vcc
	flat_store_dwordx2 v[2:3], v[18:19] offset:2048
	s_or_b64 exec, exec, s[4:5]
	s_and_saveexec_b64 s[4:5], s[20:21]
	s_cbranch_execz .LBB2053_74
.LBB2053_123:
	v_add_co_u32_e32 v2, vcc, 0x2000, v0
	v_addc_co_u32_e32 v3, vcc, 0, v1, vcc
	flat_store_dwordx2 v[2:3], v[12:13]
	s_or_b64 exec, exec, s[4:5]
	s_and_saveexec_b64 s[4:5], s[14:15]
	s_cbranch_execz .LBB2053_75
.LBB2053_124:
	v_add_co_u32_e32 v2, vcc, 0x2000, v0
	v_addc_co_u32_e32 v3, vcc, 0, v1, vcc
	flat_store_dwordx2 v[2:3], v[14:15] offset:2048
	s_or_b64 exec, exec, s[4:5]
	s_and_saveexec_b64 s[4:5], s[16:17]
	s_cbranch_execz .LBB2053_76
.LBB2053_125:
	v_add_co_u32_e32 v2, vcc, 0x3000, v0
	v_addc_co_u32_e32 v3, vcc, 0, v1, vcc
	flat_store_dwordx2 v[2:3], v[8:9]
	s_or_b64 exec, exec, s[4:5]
	s_and_saveexec_b64 s[4:5], s[18:19]
	s_cbranch_execnz .LBB2053_77
	s_branch .LBB2053_78
.LBB2053_126:
	s_or_b64 exec, exec, s[58:59]
	v_mad_u64_u32 v[9:10], s[4:5], v4, 6, v[48:49]
	v_mad_u64_u32 v[10:11], s[4:5], v37, 6, v[38:39]
	v_lshl_add_u32 v1, v30, 1, v12
	v_mad_u64_u32 v[11:12], s[4:5], v35, 6, v[50:51]
	v_mul_u32_u24_e32 v4, 6, v30
	s_barrier
	ds_write_b16 v48, v100
	ds_write_b16 v38, v99
	;; [unrolled: 1-line block ×4, first 2 shown]
	s_waitcnt lgkmcnt(0)
	s_barrier
	ds_read_u16 v24, v1
	ds_read_u16 v23, v1 offset:512
	ds_read_u16 v22, v1 offset:1024
	;; [unrolled: 1-line block ×3, first 2 shown]
	v_mad_u64_u32 v[12:13], s[4:5], v8, 6, v[52:53]
	v_add_u32_e32 v1, v1, v4
	s_waitcnt lgkmcnt(0)
	s_barrier
	ds_write_b64 v9, v[14:15]
	ds_write_b64 v10, v[16:17]
	ds_write_b64 v11, v[18:19]
	ds_write_b64 v12, v[20:21]
	s_waitcnt lgkmcnt(0)
	s_barrier
	ds_read2st64_b64 v[12:15], v1 offset1:4
	ds_read2st64_b64 v[8:11], v1 offset0:8 offset1:12
	v_add_co_u32_e32 v4, vcc, v2, v31
	v_mov_b32_e32 v1, 0
	v_addc_co_u32_e32 v16, vcc, v3, v32, vcc
	v_lshlrev_b64 v[2:3], 1, v[0:1]
	s_waitcnt lgkmcnt(0)
	v_add_co_u32_e32 v2, vcc, v4, v2
	v_addc_co_u32_e32 v3, vcc, v16, v3, vcc
	v_cmp_lt_u32_e32 vcc, v0, v71
	s_barrier
	s_and_saveexec_b64 s[6:7], vcc
	s_cbranch_execz .LBB2053_128
; %bb.127:
	v_mov_b32_e32 v4, 0xffff8000
	v_cmp_lt_i16_e64 s[4:5], -1, v24
	v_cndmask_b32_e64 v4, v4, -1, s[4:5]
	v_xor_b32_e32 v4, v4, v24
	flat_store_short v[2:3], v4
.LBB2053_128:
	s_or_b64 exec, exec, s[6:7]
	v_add_u32_e32 v4, 0x100, v0
	v_cmp_lt_u32_e64 s[4:5], v4, v71
	s_and_saveexec_b64 s[10:11], s[4:5]
	s_cbranch_execz .LBB2053_130
; %bb.129:
	v_mov_b32_e32 v4, 0xffff8000
	v_cmp_lt_i16_e64 s[6:7], -1, v23
	v_cndmask_b32_e64 v4, v4, -1, s[6:7]
	v_xor_b32_e32 v4, v4, v23
	flat_store_short v[2:3], v4 offset:512
.LBB2053_130:
	s_or_b64 exec, exec, s[10:11]
	v_add_u32_e32 v4, 0x200, v0
	v_cmp_lt_u32_e64 s[6:7], v4, v71
	s_and_saveexec_b64 s[14:15], s[6:7]
	s_cbranch_execz .LBB2053_132
; %bb.131:
	v_mov_b32_e32 v4, 0xffff8000
	v_cmp_lt_i16_e64 s[10:11], -1, v22
	v_cndmask_b32_e64 v4, v4, -1, s[10:11]
	v_xor_b32_e32 v4, v4, v22
	flat_store_short v[2:3], v4 offset:1024
.LBB2053_132:
	;; [unrolled: 12-line block ×3, first 2 shown]
	s_or_b64 exec, exec, s[16:17]
	v_add_co_u32_e64 v2, s[14:15], v6, v33
	v_lshlrev_b64 v[0:1], 3, v[0:1]
	v_addc_co_u32_e64 v3, s[14:15], v7, v34, s[14:15]
	v_add_co_u32_e64 v0, s[14:15], v2, v0
	v_addc_co_u32_e64 v1, s[14:15], v3, v1, s[14:15]
	s_and_saveexec_b64 s[14:15], vcc
	s_cbranch_execnz .LBB2053_167
; %bb.135:
	s_or_b64 exec, exec, s[14:15]
	s_and_saveexec_b64 s[14:15], s[4:5]
	s_cbranch_execnz .LBB2053_168
.LBB2053_136:
	s_or_b64 exec, exec, s[14:15]
	s_and_saveexec_b64 s[4:5], s[6:7]
	s_cbranch_execnz .LBB2053_169
.LBB2053_137:
	s_or_b64 exec, exec, s[4:5]
	s_and_saveexec_b64 s[4:5], s[10:11]
	s_cbranch_execz .LBB2053_139
.LBB2053_138:
	v_add_co_u32_e32 v0, vcc, 0x1000, v0
	v_addc_co_u32_e32 v1, vcc, 0, v1, vcc
	flat_store_dwordx2 v[0:1], v[10:11] offset:2048
.LBB2053_139:
	s_or_b64 exec, exec, s[4:5]
                                        ; implicit-def: $vgpr71
                                        ; implicit-def: $vgpr0
                                        ; implicit-def: $vgpr1
                                        ; implicit-def: $vgpr2
                                        ; implicit-def: $vgpr3
                                        ; implicit-def: $vgpr4
                                        ; implicit-def: $vgpr5
                                        ; implicit-def: $vgpr6
                                        ; implicit-def: $vgpr7
                                        ; implicit-def: $vgpr8
                                        ; implicit-def: $vgpr10
                                        ; implicit-def: $vgpr11
                                        ; implicit-def: $vgpr12
                                        ; implicit-def: $vgpr13
                                        ; implicit-def: $vgpr31
                                        ; implicit-def: $vgpr17
                                        ; implicit-def: $vgpr18
                                        ; implicit-def: $vgpr19
.LBB2053_140:
	s_andn2_saveexec_b64 s[4:5], s[56:57]
	s_cbranch_execz .LBB2053_199
; %bb.141:
	s_load_dwordx2 s[4:5], s[8:9], 0x0
	v_mov_b32_e32 v9, 0
	s_waitcnt lgkmcnt(0)
	s_cmp_lt_u32 s13, s5
	s_cselect_b32 s5, 14, 20
	s_add_u32 s6, s8, s5
	s_addc_u32 s7, s9, 0
	s_cmp_lt_u32 s12, s4
	s_cselect_b32 s4, 12, 18
	s_add_u32 s4, s8, s4
	global_load_ushort v14, v9, s[6:7]
	s_addc_u32 s5, s9, 0
	global_load_ushort v15, v9, s[4:5]
	s_waitcnt vmcnt(0)
	v_mad_u32_u24 v14, v18, v14, v17
	v_and_b32_e32 v18, 0x3ff, v31
	v_mad_u64_u32 v[14:15], s[4:5], v14, v15, v[18:19]
	s_movk_i32 s4, 0x100
	v_lshlrev_b64 v[16:17], 1, v[8:9]
	v_cmp_lt_u32_e32 vcc, s4, v71
	s_and_saveexec_b64 s[4:5], vcc
	s_xor_b64 s[42:43], exec, s[4:5]
	s_cbranch_execz .LBB2053_179
; %bb.142:
	v_mbcnt_hi_u32_b32 v26, -1, v19
	v_add_co_u32_e32 v0, vcc, v0, v16
	v_and_b32_e32 v25, 63, v26
	v_lshlrev_b32_e32 v15, 1, v14
	v_addc_co_u32_e32 v1, vcc, v1, v17, vcc
	v_and_b32_e32 v19, 0xffffff80, v15
	v_lshlrev_b32_e32 v15, 1, v25
	v_add_co_u32_e32 v15, vcc, v0, v15
	v_mov_b32_e32 v20, v9
	v_addc_co_u32_e32 v21, vcc, 0, v1, vcc
	v_lshlrev_b64 v[0:1], 1, v[19:20]
	v_mov_b32_e32 v27, 0x7fff
	v_add_co_u32_e32 v0, vcc, v15, v0
	v_addc_co_u32_e32 v1, vcc, v21, v1, vcc
	v_or_b32_e32 v15, v25, v19
	v_cmp_lt_u32_e32 vcc, v15, v71
	v_mov_b32_e32 v28, 0x7fff
	s_and_saveexec_b64 s[4:5], vcc
	s_cbranch_execz .LBB2053_144
; %bb.143:
	flat_load_ushort v28, v[0:1]
.LBB2053_144:
	s_or_b64 exec, exec, s[4:5]
	v_or_b32_e32 v15, 64, v15
	v_cmp_lt_u32_e64 s[4:5], v15, v71
	s_and_saveexec_b64 s[6:7], s[4:5]
	s_cbranch_execz .LBB2053_146
; %bb.145:
	flat_load_ushort v27, v[0:1] offset:128
.LBB2053_146:
	s_or_b64 exec, exec, s[6:7]
	v_lshlrev_b64 v[0:1], 3, v[8:9]
	v_lshlrev_b32_e32 v8, 3, v25
	v_add_co_u32_e64 v4, s[6:7], v4, v0
	v_addc_co_u32_e64 v5, s[6:7], v5, v1, s[6:7]
	v_add_co_u32_e64 v8, s[6:7], v4, v8
	v_addc_co_u32_e64 v9, s[6:7], 0, v5, s[6:7]
	v_lshlrev_b64 v[4:5], 3, v[19:20]
	v_mov_b32_e32 v23, 0
	v_mov_b32_e32 v21, 0
	v_add_co_u32_e64 v4, s[6:7], v8, v4
	v_mov_b32_e32 v24, 0
	v_mov_b32_e32 v22, 0
	v_addc_co_u32_e64 v5, s[6:7], v9, v5, s[6:7]
	s_and_saveexec_b64 s[6:7], vcc
	s_cbranch_execz .LBB2053_148
; %bb.147:
	flat_load_dwordx2 v[21:22], v[4:5]
.LBB2053_148:
	s_or_b64 exec, exec, s[6:7]
	s_and_saveexec_b64 s[6:7], s[4:5]
	s_cbranch_execz .LBB2053_150
; %bb.149:
	flat_load_dwordx2 v[23:24], v[4:5] offset:512
.LBB2053_150:
	s_or_b64 exec, exec, s[6:7]
	v_mov_b32_e32 v15, 0xffff8000
	s_waitcnt vmcnt(0) lgkmcnt(0)
	v_cmp_lt_i16_e32 vcc, -1, v28
	v_cndmask_b32_e32 v4, -1, v15, vcc
	v_cmp_lt_i16_e32 vcc, -1, v27
	v_xor_b32_e32 v55, v4, v28
	v_cndmask_b32_e32 v4, -1, v15, vcc
	v_xor_b32_e32 v64, v4, v27
	v_lshl_add_u32 v4, v18, 4, v12
	s_getpc_b64 s[4:5]
	s_add_u32 s4, s4, _ZN7rocprim17ROCPRIM_400000_NS16block_radix_sortI12hip_bfloat16Lj256ELj2ElLj1ELj1ELj8ELNS0_26block_radix_rank_algorithmE2ELNS0_18block_padding_hintE2ELNS0_4arch9wavefront6targetE1EE19radix_bits_per_passE@rel32@lo+4
	s_addc_u32 s5, s5, _ZN7rocprim17ROCPRIM_400000_NS16block_radix_sortI12hip_bfloat16Lj256ELj2ElLj1ELj1ELj8ELNS0_26block_radix_rank_algorithmE2ELNS0_18block_padding_hintE2ELNS0_4arch9wavefront6targetE1EE19radix_bits_per_passE@rel32@hi+12
	v_add_u32_e32 v31, 16, v4
	v_add_u32_e32 v32, 20, v4
	;; [unrolled: 1-line block ×4, first 2 shown]
	v_and_b32_e32 v4, 15, v26
	s_load_dword s58, s[4:5], 0x0
	v_cmp_eq_u32_e32 vcc, 0, v4
	v_cmp_lt_u32_e64 s[4:5], 1, v4
	v_cmp_lt_u32_e64 s[6:7], 3, v4
	;; [unrolled: 1-line block ×3, first 2 shown]
	v_and_b32_e32 v4, 16, v26
	v_cmp_eq_u32_e64 s[10:11], 0, v4
	v_and_b32_e32 v4, 0x3c0, v18
	v_min_u32_e32 v4, 0xc0, v4
	v_or_b32_e32 v4, 63, v4
	v_cmp_eq_u32_e64 s[14:15], v18, v4
	v_subrev_co_u32_e64 v4, s[20:21], 1, v26
	v_and_b32_e32 v5, 64, v26
	v_cmp_lt_i32_e64 s[22:23], v4, v5
	v_cndmask_b32_e64 v4, v4, v26, s[22:23]
	v_lshlrev_b32_e32 v36, 2, v4
	v_lshrrev_b32_e32 v4, 4, v18
	v_and_b32_e32 v4, 60, v4
	v_add_u32_e32 v37, v12, v4
	v_and_b32_e32 v4, 3, v26
	v_cmp_eq_u32_e64 s[24:25], 0, v4
	v_cmp_lt_u32_e64 s[26:27], 1, v4
	v_lshlrev_b32_e32 v4, 1, v18
	s_movk_i32 s28, 0x780
	v_and_or_b32 v4, v4, s28, v25
	v_lshl_add_u32 v48, v4, 1, v12
	v_mul_u32_u24_e32 v4, 6, v4
	v_add_u32_e32 v50, v48, v4
	v_lshrrev_b32_e32 v35, 6, v14
	v_cmp_lt_u32_e64 s[12:13], 31, v26
	v_cmp_gt_u32_e64 s[16:17], 4, v18
	v_cmp_lt_u32_e64 s[18:19], 63, v18
	v_cmp_eq_u32_e64 s[22:23], 0, v18
	v_mov_b32_e32 v5, 0
	v_lshl_add_u32 v38, v18, 2, v12
	v_add_u32_e32 v39, -4, v37
	v_add_u32_e32 v49, 0x80, v48
	v_add_u32_e32 v51, 0x200, v50
	v_sub_u32_e32 v52, v11, v10
	s_mov_b64 s[44:45], 0
	s_movk_i32 s59, 0x7fff
	s_waitcnt lgkmcnt(0)
	s_barrier
	s_branch .LBB2053_152
.LBB2053_151:                           ;   in Loop: Header=BB2053_152 Depth=1
	s_or_b64 exec, exec, s[40:41]
	s_and_b64 s[28:29], exec, s[56:57]
	s_or_b64 s[44:45], s[28:29], s[44:45]
	s_andn2_b64 exec, exec, s[44:45]
	s_cbranch_execz .LBB2053_170
.LBB2053_152:                           ; =>This Inner Loop Header: Depth=1
	v_mov_b32_e32 v54, v55
	v_min_u32_e32 v4, s58, v52
	v_mov_b32_e32 v8, v23
	v_lshlrev_b32_e64 v4, v4, -1
	v_cmp_ne_u16_e64 s[28:29], s59, v54
	v_mov_b32_e32 v9, v24
	v_not_b32_e32 v24, v4
	v_cndmask_b32_e64 v4, v15, v54, s[28:29]
	v_lshrrev_b32_sdwa v4, v10, v4 dst_sel:DWORD dst_unused:UNUSED_PAD src0_sel:DWORD src1_sel:WORD_0
	v_and_b32_e32 v23, v4, v24
	v_lshlrev_b32_e32 v4, 2, v23
	v_add_lshl_u32 v4, v4, v35, 2
	v_mov_b32_e32 v19, v21
	v_add_co_u32_e64 v4, s[28:29], v12, v4
	v_mov_b32_e32 v20, v22
	v_add_co_u32_e64 v4, s[28:29], 16, v4
	v_and_b32_e32 v21, 1, v23
	v_add_co_u32_e64 v22, s[28:29], -1, v21
	v_addc_co_u32_e64 v25, s[28:29], 0, -1, s[28:29]
	v_cmp_ne_u32_e64 s[28:29], 0, v21
	v_xor_b32_e32 v21, s29, v25
	v_xor_b32_e32 v22, s28, v22
	v_and_b32_e32 v25, exec_hi, v21
	v_and_b32_e32 v26, exec_lo, v22
	v_lshlrev_b32_e32 v22, 30, v23
	v_mov_b32_e32 v21, v5
	v_cmp_gt_i64_e64 s[28:29], 0, v[21:22]
	v_not_b32_e32 v21, v22
	v_ashrrev_i32_e32 v21, 31, v21
	v_xor_b32_e32 v22, s29, v21
	v_xor_b32_e32 v21, s28, v21
	v_and_b32_e32 v25, v25, v22
	v_and_b32_e32 v26, v26, v21
	v_lshlrev_b32_e32 v22, 29, v23
	v_mov_b32_e32 v21, v5
	v_cmp_gt_i64_e64 s[28:29], 0, v[21:22]
	v_not_b32_e32 v21, v22
	v_ashrrev_i32_e32 v21, 31, v21
	v_xor_b32_e32 v22, s29, v21
	v_xor_b32_e32 v21, s28, v21
	v_and_b32_e32 v25, v25, v22
	v_and_b32_e32 v26, v26, v21
	;; [unrolled: 9-line block ×7, first 2 shown]
	v_mbcnt_lo_u32_b32 v23, v21, 0
	v_mbcnt_hi_u32_b32 v23, v22, v23
	v_cmp_ne_u64_e64 s[28:29], 0, v[21:22]
	v_cmp_eq_u32_e64 s[40:41], 0, v23
	v_mov_b32_e32 v53, v64
	s_and_b64 s[40:41], s[28:29], s[40:41]
	ds_write_b32 v31, v5
	ds_write_b32 v32, v5
	;; [unrolled: 1-line block ×4, first 2 shown]
	s_waitcnt lgkmcnt(0)
	s_barrier
	; wave barrier
	s_and_saveexec_b64 s[28:29], s[40:41]
; %bb.153:                              ;   in Loop: Header=BB2053_152 Depth=1
	v_bcnt_u32_b32 v21, v21, 0
	v_bcnt_u32_b32 v21, v22, v21
	ds_write_b32 v4, v21
; %bb.154:                              ;   in Loop: Header=BB2053_152 Depth=1
	s_or_b64 exec, exec, s[28:29]
	v_cmp_ne_u16_e64 s[28:29], s59, v53
	v_cndmask_b32_e64 v21, v15, v53, s[28:29]
	v_lshrrev_b32_sdwa v21, v10, v21 dst_sel:DWORD dst_unused:UNUSED_PAD src0_sel:DWORD src1_sel:WORD_0
	v_and_b32_e32 v26, v21, v24
	v_lshl_add_u32 v21, v26, 2, v35
	v_lshl_add_u32 v21, v21, 2, v12
	; wave barrier
	v_add_u32_e32 v25, 16, v21
	ds_read_b32 v24, v21 offset:16
	v_and_b32_e32 v21, 1, v26
	v_add_co_u32_e64 v22, s[28:29], -1, v21
	v_addc_co_u32_e64 v27, s[28:29], 0, -1, s[28:29]
	v_cmp_ne_u32_e64 s[28:29], 0, v21
	v_xor_b32_e32 v21, s29, v27
	v_xor_b32_e32 v22, s28, v22
	v_and_b32_e32 v27, exec_hi, v21
	v_and_b32_e32 v28, exec_lo, v22
	v_lshlrev_b32_e32 v22, 30, v26
	v_mov_b32_e32 v21, v5
	v_cmp_gt_i64_e64 s[28:29], 0, v[21:22]
	v_not_b32_e32 v21, v22
	v_ashrrev_i32_e32 v21, 31, v21
	v_xor_b32_e32 v22, s29, v21
	v_xor_b32_e32 v21, s28, v21
	v_and_b32_e32 v27, v27, v22
	v_and_b32_e32 v28, v28, v21
	v_lshlrev_b32_e32 v22, 29, v26
	v_mov_b32_e32 v21, v5
	v_cmp_gt_i64_e64 s[28:29], 0, v[21:22]
	v_not_b32_e32 v21, v22
	v_ashrrev_i32_e32 v21, 31, v21
	v_xor_b32_e32 v22, s29, v21
	v_xor_b32_e32 v21, s28, v21
	v_and_b32_e32 v27, v27, v22
	v_and_b32_e32 v28, v28, v21
	;; [unrolled: 9-line block ×7, first 2 shown]
	v_mbcnt_lo_u32_b32 v26, v21, 0
	v_mbcnt_hi_u32_b32 v26, v22, v26
	v_cmp_ne_u64_e64 s[28:29], 0, v[21:22]
	v_cmp_eq_u32_e64 s[40:41], 0, v26
	s_and_b64 s[40:41], s[28:29], s[40:41]
	; wave barrier
	s_and_saveexec_b64 s[28:29], s[40:41]
	s_cbranch_execz .LBB2053_156
; %bb.155:                              ;   in Loop: Header=BB2053_152 Depth=1
	v_bcnt_u32_b32 v21, v21, 0
	v_bcnt_u32_b32 v21, v22, v21
	s_waitcnt lgkmcnt(0)
	v_add_u32_e32 v21, v24, v21
	ds_write_b32 v25, v21
.LBB2053_156:                           ;   in Loop: Header=BB2053_152 Depth=1
	s_or_b64 exec, exec, s[28:29]
	; wave barrier
	s_waitcnt lgkmcnt(0)
	s_barrier
	ds_read_b32 v27, v31
	ds_read_b32 v22, v32
	;; [unrolled: 1-line block ×4, first 2 shown]
	s_waitcnt lgkmcnt(2)
	v_add_u32_e32 v29, v22, v27
	s_waitcnt lgkmcnt(0)
	v_add3_u32 v28, v29, v21, v28
	s_nop 1
	v_mov_b32_dpp v29, v28 row_shr:1 row_mask:0xf bank_mask:0xf
	v_cndmask_b32_e64 v29, v29, 0, vcc
	v_add_u32_e32 v28, v29, v28
	s_nop 1
	v_mov_b32_dpp v29, v28 row_shr:2 row_mask:0xf bank_mask:0xf
	v_cndmask_b32_e64 v29, 0, v29, s[4:5]
	v_add_u32_e32 v28, v28, v29
	s_nop 1
	v_mov_b32_dpp v29, v28 row_shr:4 row_mask:0xf bank_mask:0xf
	v_cndmask_b32_e64 v29, 0, v29, s[6:7]
	;; [unrolled: 4-line block ×3, first 2 shown]
	v_add_u32_e32 v28, v28, v29
	s_nop 1
	v_mov_b32_dpp v29, v28 row_bcast:15 row_mask:0xf bank_mask:0xf
	v_cndmask_b32_e64 v29, v29, 0, s[10:11]
	v_add_u32_e32 v28, v28, v29
	s_nop 1
	v_mov_b32_dpp v29, v28 row_bcast:31 row_mask:0xf bank_mask:0xf
	v_cndmask_b32_e64 v29, 0, v29, s[12:13]
	v_add_u32_e32 v28, v28, v29
	s_and_saveexec_b64 s[28:29], s[14:15]
; %bb.157:                              ;   in Loop: Header=BB2053_152 Depth=1
	ds_write_b32 v37, v28
; %bb.158:                              ;   in Loop: Header=BB2053_152 Depth=1
	s_or_b64 exec, exec, s[28:29]
	s_waitcnt lgkmcnt(0)
	s_barrier
	s_and_saveexec_b64 s[28:29], s[16:17]
	s_cbranch_execz .LBB2053_160
; %bb.159:                              ;   in Loop: Header=BB2053_152 Depth=1
	ds_read_b32 v29, v38
	s_waitcnt lgkmcnt(0)
	s_nop 0
	v_mov_b32_dpp v30, v29 row_shr:1 row_mask:0xf bank_mask:0xf
	v_cndmask_b32_e64 v30, v30, 0, s[24:25]
	v_add_u32_e32 v29, v30, v29
	s_nop 1
	v_mov_b32_dpp v30, v29 row_shr:2 row_mask:0xf bank_mask:0xf
	v_cndmask_b32_e64 v30, 0, v30, s[26:27]
	v_add_u32_e32 v29, v29, v30
	ds_write_b32 v38, v29
.LBB2053_160:                           ;   in Loop: Header=BB2053_152 Depth=1
	s_or_b64 exec, exec, s[28:29]
	v_mov_b32_e32 v29, 0
	s_waitcnt lgkmcnt(0)
	s_barrier
	s_and_saveexec_b64 s[28:29], s[18:19]
; %bb.161:                              ;   in Loop: Header=BB2053_152 Depth=1
	ds_read_b32 v29, v39
; %bb.162:                              ;   in Loop: Header=BB2053_152 Depth=1
	s_or_b64 exec, exec, s[28:29]
	s_waitcnt lgkmcnt(0)
	v_add_u32_e32 v28, v29, v28
	ds_bpermute_b32 v28, v36, v28
	v_add_u32_e32 v10, 8, v10
	v_cmp_lt_u32_e64 s[28:29], v10, v11
	s_mov_b64 s[56:57], -1
                                        ; implicit-def: $vgpr55
                                        ; implicit-def: $vgpr64
	s_waitcnt lgkmcnt(0)
	v_cndmask_b32_e64 v28, v28, v29, s[20:21]
	v_cndmask_b32_e64 v28, v28, 0, s[22:23]
	v_add_u32_e32 v27, v28, v27
	v_add_u32_e32 v22, v27, v22
	;; [unrolled: 1-line block ×3, first 2 shown]
	ds_write_b32 v31, v28
	ds_write_b32 v32, v27
	;; [unrolled: 1-line block ×4, first 2 shown]
	s_waitcnt lgkmcnt(0)
	s_barrier
	ds_read_b32 v4, v4
	ds_read_b32 v21, v25
	s_waitcnt lgkmcnt(0)
	v_add_u32_e32 v4, v4, v23
	v_add3_u32 v25, v26, v24, v21
	v_lshlrev_b64 v[21:22], 1, v[4:5]
	v_mov_b32_e32 v26, v5
	v_add_co_u32_e64 v27, s[40:41], v12, v21
	v_addc_co_u32_e64 v28, s[40:41], v13, v22, s[40:41]
	v_lshlrev_b64 v[21:22], 1, v[25:26]
                                        ; implicit-def: $vgpr23_vgpr24
	v_add_co_u32_e64 v29, s[40:41], v12, v21
	v_addc_co_u32_e64 v30, s[40:41], v13, v22, s[40:41]
                                        ; implicit-def: $vgpr21_vgpr22
	s_and_saveexec_b64 s[40:41], s[28:29]
	s_cbranch_execz .LBB2053_151
; %bb.163:                              ;   in Loop: Header=BB2053_152 Depth=1
	v_mad_u64_u32 v[21:22], s[28:29], v4, 6, v[27:28]
	v_mad_u64_u32 v[22:23], s[28:29], v25, 6, v[29:30]
	s_barrier
	ds_write_b16 v27, v54
	ds_write_b16 v29, v53
	s_waitcnt lgkmcnt(0)
	s_barrier
	ds_read_u16 v55, v48
	ds_read_u16 v64, v49
	s_waitcnt lgkmcnt(0)
	s_barrier
	ds_write_b64 v21, v[19:20]
	ds_write_b64 v22, v[8:9]
	s_waitcnt lgkmcnt(0)
	s_barrier
	ds_read_b64 v[21:22], v50
	ds_read_b64 v[23:24], v51
	v_add_u32_e32 v52, -8, v52
	s_xor_b64 s[56:57], exec, -1
	s_waitcnt lgkmcnt(0)
	s_barrier
	s_branch .LBB2053_151
.LBB2053_164:
	flat_load_dwordx2 v[48:49], v[4:5]
	v_mov_b32_e32 v50, v22
	v_mov_b32_e32 v51, v22
	v_mov_b32_e32 v52, v22
	v_mov_b32_e32 v53, v22
	v_mov_b32_e32 v54, v22
	v_mov_b32_e32 v55, v22
	s_waitcnt vmcnt(0) lgkmcnt(0)
	v_mov_b32_e32 v22, v48
	v_mov_b32_e32 v23, v49
	;; [unrolled: 1-line block ×8, first 2 shown]
	s_or_b64 exec, exec, s[14:15]
	s_and_saveexec_b64 s[10:11], s[6:7]
	s_cbranch_execz .LBB2053_91
.LBB2053_165:
	flat_load_dwordx2 v[24:25], v[4:5] offset:512
	s_or_b64 exec, exec, s[10:11]
	s_and_saveexec_b64 s[6:7], s[4:5]
	s_cbranch_execz .LBB2053_92
.LBB2053_166:
	flat_load_dwordx2 v[26:27], v[4:5] offset:1024
	s_or_b64 exec, exec, s[6:7]
	s_and_saveexec_b64 s[4:5], vcc
	s_cbranch_execnz .LBB2053_93
	s_branch .LBB2053_94
.LBB2053_167:
	flat_store_dwordx2 v[0:1], v[12:13]
	s_or_b64 exec, exec, s[14:15]
	s_and_saveexec_b64 s[14:15], s[4:5]
	s_cbranch_execz .LBB2053_136
.LBB2053_168:
	flat_store_dwordx2 v[0:1], v[14:15] offset:2048
	s_or_b64 exec, exec, s[14:15]
	s_and_saveexec_b64 s[4:5], s[6:7]
	s_cbranch_execz .LBB2053_137
.LBB2053_169:
	v_add_co_u32_e32 v2, vcc, 0x1000, v0
	v_addc_co_u32_e32 v3, vcc, 0, v1, vcc
	flat_store_dwordx2 v[2:3], v[8:9]
	s_or_b64 exec, exec, s[4:5]
	s_and_saveexec_b64 s[4:5], s[10:11]
	s_cbranch_execnz .LBB2053_138
	s_branch .LBB2053_139
.LBB2053_170:
	s_or_b64 exec, exec, s[44:45]
	v_mad_u64_u32 v[10:11], s[4:5], v4, 6, v[27:28]
	v_mad_u64_u32 v[21:22], s[4:5], v25, 6, v[29:30]
	v_lshl_add_u32 v13, v18, 1, v12
	v_mul_u32_u24_e32 v4, 6, v18
	v_add_u32_e32 v4, v13, v4
	s_barrier
	ds_write_b16 v27, v54
	ds_write_b16 v29, v53
	s_waitcnt lgkmcnt(0)
	s_barrier
	ds_read_u16 v12, v13
	ds_read_u16 v5, v13 offset:512
	s_waitcnt lgkmcnt(0)
	s_barrier
	ds_write_b64 v10, v[19:20]
	ds_write_b64 v21, v[8:9]
	s_waitcnt lgkmcnt(0)
	s_barrier
	ds_read2st64_b64 v[8:11], v4 offset1:4
	v_add_co_u32_e32 v4, vcc, v2, v16
	v_mov_b32_e32 v15, 0
	v_addc_co_u32_e32 v13, vcc, v3, v17, vcc
	v_lshlrev_b64 v[2:3], 1, v[14:15]
	s_waitcnt lgkmcnt(0)
	v_add_co_u32_e32 v2, vcc, v4, v2
	v_addc_co_u32_e32 v3, vcc, v13, v3, vcc
	v_cmp_lt_u32_e32 vcc, v14, v71
	s_barrier
	s_and_saveexec_b64 s[6:7], vcc
	s_cbranch_execz .LBB2053_172
; %bb.171:
	v_mov_b32_e32 v4, 0xffff8000
	v_cmp_lt_i16_e64 s[4:5], -1, v12
	v_cndmask_b32_e64 v4, v4, -1, s[4:5]
	v_xor_b32_e32 v4, v4, v12
	flat_store_short v[2:3], v4
.LBB2053_172:
	s_or_b64 exec, exec, s[6:7]
	v_add_u32_e32 v4, 0x100, v14
	v_cmp_lt_u32_e64 s[4:5], v4, v71
	s_and_saveexec_b64 s[8:9], s[4:5]
	s_cbranch_execz .LBB2053_174
; %bb.173:
	v_mov_b32_e32 v4, 0xffff8000
	v_cmp_lt_i16_e64 s[6:7], -1, v5
	v_cndmask_b32_e64 v4, v4, -1, s[6:7]
	v_xor_b32_e32 v4, v4, v5
	flat_store_short v[2:3], v4 offset:512
.LBB2053_174:
	s_or_b64 exec, exec, s[8:9]
	v_add_co_u32_e64 v2, s[6:7], v6, v0
	v_addc_co_u32_e64 v3, s[6:7], v7, v1, s[6:7]
	v_lshlrev_b64 v[0:1], 3, v[14:15]
	v_add_co_u32_e64 v0, s[6:7], v2, v0
	v_addc_co_u32_e64 v1, s[6:7], v3, v1, s[6:7]
	s_and_saveexec_b64 s[6:7], vcc
	s_cbranch_execz .LBB2053_176
; %bb.175:
	flat_store_dwordx2 v[0:1], v[8:9]
.LBB2053_176:
	s_or_b64 exec, exec, s[6:7]
	s_and_saveexec_b64 s[6:7], s[4:5]
	s_cbranch_execz .LBB2053_178
; %bb.177:
	flat_store_dwordx2 v[0:1], v[10:11] offset:2048
.LBB2053_178:
	s_or_b64 exec, exec, s[6:7]
                                        ; implicit-def: $vgpr18
                                        ; implicit-def: $vgpr14_vgpr15
                                        ; implicit-def: $vgpr8_vgpr9
                                        ; implicit-def: $vgpr16_vgpr17
                                        ; implicit-def: $vgpr71
                                        ; implicit-def: $vgpr0
                                        ; implicit-def: $vgpr1
                                        ; implicit-def: $vgpr2
                                        ; implicit-def: $vgpr3
                                        ; implicit-def: $vgpr4
                                        ; implicit-def: $vgpr5
                                        ; implicit-def: $vgpr6
                                        ; implicit-def: $vgpr7
                                        ; implicit-def: $vgpr10
                                        ; implicit-def: $vgpr11
                                        ; implicit-def: $vgpr12
                                        ; implicit-def: $vgpr13
                                        ; implicit-def: $vgpr19
.LBB2053_179:
	s_andn2_saveexec_b64 s[4:5], s[42:43]
	s_cbranch_execz .LBB2053_199
; %bb.180:
	v_mbcnt_hi_u32_b32 v31, -1, v19
	v_bfi_b32 v15, 63, v31, v14
	v_and_b32_e32 v32, 63, v31
	v_and_b32_e32 v21, 0xffffffc0, v14
	v_cmp_lt_u32_e32 vcc, v15, v71
	v_mov_b32_e32 v23, 0x7fff
	s_and_saveexec_b64 s[6:7], vcc
	s_cbranch_execz .LBB2053_182
; %bb.181:
	v_add_co_u32_e64 v0, s[4:5], v0, v16
	v_addc_co_u32_e64 v1, s[4:5], v1, v17, s[4:5]
	v_lshlrev_b32_e32 v15, 1, v32
	v_mov_b32_e32 v22, 0
	v_add_co_u32_e64 v15, s[4:5], v0, v15
	v_addc_co_u32_e64 v19, s[4:5], 0, v1, s[4:5]
	v_lshlrev_b64 v[0:1], 1, v[21:22]
	v_add_co_u32_e64 v0, s[4:5], v15, v0
	v_addc_co_u32_e64 v1, s[4:5], v19, v1, s[4:5]
	flat_load_ushort v23, v[0:1]
.LBB2053_182:
	s_or_b64 exec, exec, s[6:7]
	v_lshlrev_b64 v[0:1], 3, v[8:9]
                                        ; implicit-def: $vgpr19_vgpr20
	s_and_saveexec_b64 s[4:5], vcc
	s_cbranch_execz .LBB2053_184
; %bb.183:
	v_add_co_u32_e32 v4, vcc, v4, v0
	v_addc_co_u32_e32 v5, vcc, v5, v1, vcc
	v_lshlrev_b32_e32 v8, 3, v32
	v_mov_b32_e32 v22, 0
	v_add_co_u32_e32 v8, vcc, v4, v8
	v_addc_co_u32_e32 v9, vcc, 0, v5, vcc
	v_lshlrev_b64 v[4:5], 3, v[21:22]
	v_add_co_u32_e32 v4, vcc, v8, v4
	v_addc_co_u32_e32 v5, vcc, v9, v5, vcc
	flat_load_dwordx2 v[19:20], v[4:5]
.LBB2053_184:
	s_or_b64 exec, exec, s[4:5]
	v_mov_b32_e32 v15, 0xffff8000
	s_waitcnt vmcnt(0) lgkmcnt(0)
	v_cmp_lt_i16_e32 vcc, -1, v23
	v_cndmask_b32_e32 v4, -1, v15, vcc
	v_lshl_add_u32 v8, v18, 4, v12
	v_xor_b32_e32 v36, v4, v23
	s_getpc_b64 s[4:5]
	s_add_u32 s4, s4, _ZN7rocprim17ROCPRIM_400000_NS16block_radix_sortI12hip_bfloat16Lj256ELj1ElLj1ELj1ELj8ELNS0_26block_radix_rank_algorithmE2ELNS0_18block_padding_hintE2ELNS0_4arch9wavefront6targetE1EE19radix_bits_per_passE@rel32@lo+4
	s_addc_u32 s5, s5, _ZN7rocprim17ROCPRIM_400000_NS16block_radix_sortI12hip_bfloat16Lj256ELj1ElLj1ELj1ELj8ELNS0_26block_radix_rank_algorithmE2ELNS0_18block_padding_hintE2ELNS0_4arch9wavefront6targetE1EE19radix_bits_per_passE@rel32@hi+12
	v_add_u32_e32 v23, 16, v8
	v_add_u32_e32 v24, 20, v8
	v_add_u32_e32 v25, 24, v8
	v_add_u32_e32 v26, 28, v8
	v_and_b32_e32 v8, 15, v31
	s_load_dword s56, s[4:5], 0x0
	v_cmp_eq_u32_e32 vcc, 0, v8
	v_cmp_lt_u32_e64 s[4:5], 1, v8
	v_cmp_lt_u32_e64 s[6:7], 3, v8
	v_cmp_lt_u32_e64 s[8:9], 7, v8
	v_and_b32_e32 v8, 16, v31
	v_cmp_eq_u32_e64 s[10:11], 0, v8
	v_and_b32_e32 v8, 0x3c0, v18
	v_min_u32_e32 v9, 0xc0, v8
	v_or_b32_e32 v9, 63, v9
	v_cmp_eq_u32_e64 s[14:15], v18, v9
	v_subrev_co_u32_e64 v9, s[20:21], 1, v31
	v_and_b32_e32 v21, 64, v31
	v_cmp_lt_i32_e64 s[22:23], v9, v21
	v_lshlrev_b32_e32 v4, 2, v18
	v_cndmask_b32_e64 v9, v9, v31, s[22:23]
	v_lshlrev_b32_e32 v29, 2, v9
	v_lshrrev_b32_e32 v9, 4, v18
	v_add_co_u32_e64 v28, s[24:25], v12, v4
	v_and_b32_e32 v4, 3, v31
	v_and_b32_e32 v9, 60, v9
	v_cmp_eq_u32_e64 s[24:25], 0, v4
	v_cmp_lt_u32_e64 s[26:27], 1, v4
	v_or_b32_e32 v4, v32, v8
	v_add_u32_e32 v30, v12, v9
	v_lshl_add_u32 v32, v4, 1, v12
	v_mul_u32_u24_e32 v4, 6, v4
	v_mov_b32_e32 v5, 0
	v_lshrrev_b32_e32 v27, 6, v14
	v_cmp_lt_u32_e64 s[12:13], 31, v31
	v_cmp_gt_u32_e64 s[16:17], 4, v18
	v_cmp_lt_u32_e64 s[18:19], 63, v18
	v_cmp_eq_u32_e64 s[22:23], 0, v18
	v_add_u32_e32 v31, -4, v30
	v_add_u32_e32 v33, v32, v4
	v_sub_u32_e32 v34, v11, v10
	s_mov_b64 s[42:43], 0
	s_movk_i32 s57, 0x7fff
	s_waitcnt lgkmcnt(0)
	s_barrier
	s_branch .LBB2053_186
.LBB2053_185:                           ;   in Loop: Header=BB2053_186 Depth=1
	s_or_b64 exec, exec, s[40:41]
	s_and_b64 s[28:29], exec, s[44:45]
	s_or_b64 s[42:43], s[28:29], s[42:43]
	s_andn2_b64 exec, exec, s[42:43]
	s_cbranch_execz .LBB2053_196
.LBB2053_186:                           ; =>This Inner Loop Header: Depth=1
	v_mov_b32_e32 v35, v36
	v_mov_b32_e32 v8, v19
	v_cmp_ne_u16_e64 s[28:29], s57, v35
	v_mov_b32_e32 v9, v20
	v_cndmask_b32_e64 v19, v15, v35, s[28:29]
	v_min_u32_e32 v4, s56, v34
	v_lshrrev_b32_sdwa v19, v10, v19 dst_sel:DWORD dst_unused:UNUSED_PAD src0_sel:DWORD src1_sel:WORD_0
	v_bfe_u32 v21, v19, 0, v4
	v_lshlrev_b32_e32 v4, 2, v21
	v_add_lshl_u32 v4, v4, v27, 2
	v_add_co_u32_e64 v4, s[28:29], v12, v4
	v_add_co_u32_e64 v4, s[28:29], 16, v4
	v_and_b32_e32 v19, 1, v21
	v_add_co_u32_e64 v20, s[28:29], -1, v19
	v_addc_co_u32_e64 v22, s[28:29], 0, -1, s[28:29]
	v_cmp_ne_u32_e64 s[28:29], 0, v19
	v_xor_b32_e32 v19, s29, v22
	v_xor_b32_e32 v20, s28, v20
	v_and_b32_e32 v22, exec_hi, v19
	v_and_b32_e32 v36, exec_lo, v20
	v_lshlrev_b32_e32 v20, 30, v21
	v_mov_b32_e32 v19, v5
	v_cmp_gt_i64_e64 s[28:29], 0, v[19:20]
	v_not_b32_e32 v19, v20
	v_ashrrev_i32_e32 v19, 31, v19
	v_xor_b32_e32 v20, s29, v19
	v_xor_b32_e32 v19, s28, v19
	v_and_b32_e32 v22, v22, v20
	v_and_b32_e32 v36, v36, v19
	v_lshlrev_b32_e32 v20, 29, v21
	v_mov_b32_e32 v19, v5
	v_cmp_gt_i64_e64 s[28:29], 0, v[19:20]
	v_not_b32_e32 v19, v20
	v_ashrrev_i32_e32 v19, 31, v19
	v_xor_b32_e32 v20, s29, v19
	v_xor_b32_e32 v19, s28, v19
	v_and_b32_e32 v22, v22, v20
	v_and_b32_e32 v36, v36, v19
	;; [unrolled: 9-line block ×7, first 2 shown]
	v_mbcnt_lo_u32_b32 v21, v19, 0
	v_mbcnt_hi_u32_b32 v21, v20, v21
	v_cmp_ne_u64_e64 s[28:29], 0, v[19:20]
	v_cmp_eq_u32_e64 s[40:41], 0, v21
	s_and_b64 s[40:41], s[28:29], s[40:41]
	ds_write_b32 v23, v5
	ds_write_b32 v24, v5
	;; [unrolled: 1-line block ×4, first 2 shown]
	s_waitcnt lgkmcnt(0)
	s_barrier
	; wave barrier
	s_and_saveexec_b64 s[28:29], s[40:41]
; %bb.187:                              ;   in Loop: Header=BB2053_186 Depth=1
	v_bcnt_u32_b32 v19, v19, 0
	v_bcnt_u32_b32 v19, v20, v19
	ds_write_b32 v4, v19
; %bb.188:                              ;   in Loop: Header=BB2053_186 Depth=1
	s_or_b64 exec, exec, s[28:29]
	; wave barrier
	s_waitcnt lgkmcnt(0)
	s_barrier
	ds_read_b32 v22, v23
	ds_read_b32 v20, v24
	ds_read_b32 v19, v25
	ds_read_b32 v36, v26
	s_waitcnt lgkmcnt(2)
	v_add_u32_e32 v37, v20, v22
	s_waitcnt lgkmcnt(0)
	v_add3_u32 v36, v37, v19, v36
	s_nop 1
	v_mov_b32_dpp v37, v36 row_shr:1 row_mask:0xf bank_mask:0xf
	v_cndmask_b32_e64 v37, v37, 0, vcc
	v_add_u32_e32 v36, v37, v36
	s_nop 1
	v_mov_b32_dpp v37, v36 row_shr:2 row_mask:0xf bank_mask:0xf
	v_cndmask_b32_e64 v37, 0, v37, s[4:5]
	v_add_u32_e32 v36, v36, v37
	s_nop 1
	v_mov_b32_dpp v37, v36 row_shr:4 row_mask:0xf bank_mask:0xf
	v_cndmask_b32_e64 v37, 0, v37, s[6:7]
	v_add_u32_e32 v36, v36, v37
	s_nop 1
	v_mov_b32_dpp v37, v36 row_shr:8 row_mask:0xf bank_mask:0xf
	v_cndmask_b32_e64 v37, 0, v37, s[8:9]
	v_add_u32_e32 v36, v36, v37
	s_nop 1
	v_mov_b32_dpp v37, v36 row_bcast:15 row_mask:0xf bank_mask:0xf
	v_cndmask_b32_e64 v37, v37, 0, s[10:11]
	v_add_u32_e32 v36, v36, v37
	s_nop 1
	v_mov_b32_dpp v37, v36 row_bcast:31 row_mask:0xf bank_mask:0xf
	v_cndmask_b32_e64 v37, 0, v37, s[12:13]
	v_add_u32_e32 v36, v36, v37
	s_and_saveexec_b64 s[28:29], s[14:15]
; %bb.189:                              ;   in Loop: Header=BB2053_186 Depth=1
	ds_write_b32 v30, v36
; %bb.190:                              ;   in Loop: Header=BB2053_186 Depth=1
	s_or_b64 exec, exec, s[28:29]
	s_waitcnt lgkmcnt(0)
	s_barrier
	s_and_saveexec_b64 s[28:29], s[16:17]
	s_cbranch_execz .LBB2053_192
; %bb.191:                              ;   in Loop: Header=BB2053_186 Depth=1
	ds_read_b32 v37, v28
	s_waitcnt lgkmcnt(0)
	s_nop 0
	v_mov_b32_dpp v38, v37 row_shr:1 row_mask:0xf bank_mask:0xf
	v_cndmask_b32_e64 v38, v38, 0, s[24:25]
	v_add_u32_e32 v37, v38, v37
	s_nop 1
	v_mov_b32_dpp v38, v37 row_shr:2 row_mask:0xf bank_mask:0xf
	v_cndmask_b32_e64 v38, 0, v38, s[26:27]
	v_add_u32_e32 v37, v37, v38
	ds_write_b32 v28, v37
.LBB2053_192:                           ;   in Loop: Header=BB2053_186 Depth=1
	s_or_b64 exec, exec, s[28:29]
	v_mov_b32_e32 v37, 0
	s_waitcnt lgkmcnt(0)
	s_barrier
	s_and_saveexec_b64 s[28:29], s[18:19]
; %bb.193:                              ;   in Loop: Header=BB2053_186 Depth=1
	ds_read_b32 v37, v31
; %bb.194:                              ;   in Loop: Header=BB2053_186 Depth=1
	s_or_b64 exec, exec, s[28:29]
	s_waitcnt lgkmcnt(0)
	v_add_u32_e32 v36, v37, v36
	ds_bpermute_b32 v36, v29, v36
	v_add_u32_e32 v10, 8, v10
	v_cmp_lt_u32_e64 s[28:29], v10, v11
	s_mov_b64 s[44:45], -1
	s_waitcnt lgkmcnt(0)
	v_cndmask_b32_e64 v36, v36, v37, s[20:21]
	v_cndmask_b32_e64 v36, v36, 0, s[22:23]
	v_add_u32_e32 v22, v36, v22
	v_add_u32_e32 v20, v22, v20
	ds_write_b32 v23, v36
	ds_write_b32 v24, v22
	v_add_u32_e32 v19, v20, v19
	ds_write_b32 v25, v20
	ds_write_b32 v26, v19
	s_waitcnt lgkmcnt(0)
	s_barrier
	ds_read_b32 v4, v4
	s_waitcnt lgkmcnt(0)
                                        ; implicit-def: $vgpr36
	v_add_u32_e32 v4, v4, v21
	v_lshlrev_b64 v[19:20], 1, v[4:5]
	v_add_co_u32_e64 v21, s[40:41], v12, v19
	v_addc_co_u32_e64 v22, s[40:41], v13, v20, s[40:41]
                                        ; implicit-def: $vgpr19_vgpr20
	s_and_saveexec_b64 s[40:41], s[28:29]
	s_cbranch_execz .LBB2053_185
; %bb.195:                              ;   in Loop: Header=BB2053_186 Depth=1
	v_mad_u64_u32 v[19:20], s[28:29], v4, 6, v[21:22]
	s_barrier
	ds_write_b16 v21, v35
	s_waitcnt lgkmcnt(0)
	s_barrier
	ds_read_u16 v36, v32
	s_waitcnt lgkmcnt(0)
	s_barrier
	ds_write_b64 v19, v[8:9]
	s_waitcnt lgkmcnt(0)
	s_barrier
	ds_read_b64 v[19:20], v33
	v_add_u32_e32 v34, -8, v34
	s_xor_b64 s[44:45], exec, -1
	s_waitcnt lgkmcnt(0)
	s_barrier
	s_branch .LBB2053_185
.LBB2053_196:
	s_or_b64 exec, exec, s[42:43]
	v_lshlrev_b32_e32 v5, 1, v18
	v_sub_u32_e32 v11, v28, v5
	v_mad_u64_u32 v[4:5], s[4:5], v4, 6, v[21:22]
	s_barrier
	ds_write_b16 v21, v35
	s_waitcnt lgkmcnt(0)
	s_barrier
	ds_read_u16 v10, v11
	s_waitcnt lgkmcnt(0)
	s_barrier
	ds_write_b64 v4, v[8:9]
	v_mul_u32_u24_e32 v4, 6, v18
	v_add_u32_e32 v4, v11, v4
	s_waitcnt lgkmcnt(0)
	s_barrier
	ds_read_b64 v[4:5], v4
	v_cmp_lt_u32_e32 vcc, v14, v71
	s_waitcnt lgkmcnt(0)
	s_barrier
	s_and_saveexec_b64 s[4:5], vcc
	s_cbranch_execz .LBB2053_198
; %bb.197:
	v_add_co_u32_e32 v6, vcc, v6, v0
	v_mov_b32_e32 v15, 0
	v_addc_co_u32_e32 v7, vcc, v7, v1, vcc
	v_lshlrev_b64 v[0:1], 3, v[14:15]
	v_add_co_u32_e32 v0, vcc, v6, v0
	v_addc_co_u32_e32 v1, vcc, v7, v1, vcc
	v_mov_b32_e32 v6, 0xffff8000
	v_cmp_lt_i16_e32 vcc, -1, v10
	v_cndmask_b32_e64 v6, v6, -1, vcc
	v_add_co_u32_e32 v7, vcc, v2, v16
	v_addc_co_u32_e32 v8, vcc, v3, v17, vcc
	v_lshlrev_b64 v[2:3], 1, v[14:15]
	v_xor_b32_e32 v6, v6, v10
	v_add_co_u32_e32 v2, vcc, v7, v2
	v_addc_co_u32_e32 v3, vcc, v8, v3, vcc
	flat_store_short v[2:3], v6
	flat_store_dwordx2 v[0:1], v[4:5]
.LBB2053_198:
	s_or_b64 exec, exec, s[4:5]
.LBB2053_199:
	s_or_b64 exec, exec, s[46:47]
	s_waitcnt vmcnt(0) lgkmcnt(0)
	s_setpc_b64 s[30:31]
.Lfunc_end2053:
	.size	_ZN7rocprim17ROCPRIM_400000_NS6detail40segmented_radix_sort_single_block_helperI12hip_bfloat16lLj256ELj8ELb0EE4sortIPKS3_PS3_PKlPlEEbT_T0_T1_T2_jjjjRNS4_12storage_typeE, .Lfunc_end2053-_ZN7rocprim17ROCPRIM_400000_NS6detail40segmented_radix_sort_single_block_helperI12hip_bfloat16lLj256ELj8ELb0EE4sortIPKS3_PS3_PKlPlEEbT_T0_T1_T2_jjjjRNS4_12storage_typeE
                                        ; -- End function
	.set .L_ZN7rocprim17ROCPRIM_400000_NS6detail40segmented_radix_sort_single_block_helperI12hip_bfloat16lLj256ELj8ELb0EE4sortIPKS3_PS3_PKlPlEEbT_T0_T1_T2_jjjjRNS4_12storage_typeE.num_vgpr, 195
	.set .L_ZN7rocprim17ROCPRIM_400000_NS6detail40segmented_radix_sort_single_block_helperI12hip_bfloat16lLj256ELj8ELb0EE4sortIPKS3_PS3_PKlPlEEbT_T0_T1_T2_jjjjRNS4_12storage_typeE.num_agpr, 0
	.set .L_ZN7rocprim17ROCPRIM_400000_NS6detail40segmented_radix_sort_single_block_helperI12hip_bfloat16lLj256ELj8ELb0EE4sortIPKS3_PS3_PKlPlEEbT_T0_T1_T2_jjjjRNS4_12storage_typeE.numbered_sgpr, 64
	.set .L_ZN7rocprim17ROCPRIM_400000_NS6detail40segmented_radix_sort_single_block_helperI12hip_bfloat16lLj256ELj8ELb0EE4sortIPKS3_PS3_PKlPlEEbT_T0_T1_T2_jjjjRNS4_12storage_typeE.num_named_barrier, 0
	.set .L_ZN7rocprim17ROCPRIM_400000_NS6detail40segmented_radix_sort_single_block_helperI12hip_bfloat16lLj256ELj8ELb0EE4sortIPKS3_PS3_PKlPlEEbT_T0_T1_T2_jjjjRNS4_12storage_typeE.private_seg_size, 0
	.set .L_ZN7rocprim17ROCPRIM_400000_NS6detail40segmented_radix_sort_single_block_helperI12hip_bfloat16lLj256ELj8ELb0EE4sortIPKS3_PS3_PKlPlEEbT_T0_T1_T2_jjjjRNS4_12storage_typeE.uses_vcc, 1
	.set .L_ZN7rocprim17ROCPRIM_400000_NS6detail40segmented_radix_sort_single_block_helperI12hip_bfloat16lLj256ELj8ELb0EE4sortIPKS3_PS3_PKlPlEEbT_T0_T1_T2_jjjjRNS4_12storage_typeE.uses_flat_scratch, 0
	.set .L_ZN7rocprim17ROCPRIM_400000_NS6detail40segmented_radix_sort_single_block_helperI12hip_bfloat16lLj256ELj8ELb0EE4sortIPKS3_PS3_PKlPlEEbT_T0_T1_T2_jjjjRNS4_12storage_typeE.has_dyn_sized_stack, 0
	.set .L_ZN7rocprim17ROCPRIM_400000_NS6detail40segmented_radix_sort_single_block_helperI12hip_bfloat16lLj256ELj8ELb0EE4sortIPKS3_PS3_PKlPlEEbT_T0_T1_T2_jjjjRNS4_12storage_typeE.has_recursion, 0
	.set .L_ZN7rocprim17ROCPRIM_400000_NS6detail40segmented_radix_sort_single_block_helperI12hip_bfloat16lLj256ELj8ELb0EE4sortIPKS3_PS3_PKlPlEEbT_T0_T1_T2_jjjjRNS4_12storage_typeE.has_indirect_call, 0
	.section	.AMDGPU.csdata,"",@progbits
; Function info:
; codeLenInByte = 16748
; TotalNumSgprs: 68
; NumVgprs: 195
; ScratchSize: 0
; MemoryBound: 1
	.section	.text._ZN7rocprim17ROCPRIM_400000_NS6detail17trampoline_kernelINS0_14default_configENS1_36segmented_radix_sort_config_selectorI12hip_bfloat16lEEZNS1_25segmented_radix_sort_implIS3_Lb0EPKS5_PS5_PKlPlN2at6native12_GLOBAL__N_18offset_tEEE10hipError_tPvRmT1_PNSt15iterator_traitsISL_E10value_typeET2_T3_PNSM_ISR_E10value_typeET4_jRbjT5_SX_jjP12ihipStream_tbEUlT_E_NS1_11comp_targetILNS1_3genE2ELNS1_11target_archE906ELNS1_3gpuE6ELNS1_3repE0EEENS1_30default_config_static_selectorELNS0_4arch9wavefront6targetE1EEEvSL_,"axG",@progbits,_ZN7rocprim17ROCPRIM_400000_NS6detail17trampoline_kernelINS0_14default_configENS1_36segmented_radix_sort_config_selectorI12hip_bfloat16lEEZNS1_25segmented_radix_sort_implIS3_Lb0EPKS5_PS5_PKlPlN2at6native12_GLOBAL__N_18offset_tEEE10hipError_tPvRmT1_PNSt15iterator_traitsISL_E10value_typeET2_T3_PNSM_ISR_E10value_typeET4_jRbjT5_SX_jjP12ihipStream_tbEUlT_E_NS1_11comp_targetILNS1_3genE2ELNS1_11target_archE906ELNS1_3gpuE6ELNS1_3repE0EEENS1_30default_config_static_selectorELNS0_4arch9wavefront6targetE1EEEvSL_,comdat
	.globl	_ZN7rocprim17ROCPRIM_400000_NS6detail17trampoline_kernelINS0_14default_configENS1_36segmented_radix_sort_config_selectorI12hip_bfloat16lEEZNS1_25segmented_radix_sort_implIS3_Lb0EPKS5_PS5_PKlPlN2at6native12_GLOBAL__N_18offset_tEEE10hipError_tPvRmT1_PNSt15iterator_traitsISL_E10value_typeET2_T3_PNSM_ISR_E10value_typeET4_jRbjT5_SX_jjP12ihipStream_tbEUlT_E_NS1_11comp_targetILNS1_3genE2ELNS1_11target_archE906ELNS1_3gpuE6ELNS1_3repE0EEENS1_30default_config_static_selectorELNS0_4arch9wavefront6targetE1EEEvSL_ ; -- Begin function _ZN7rocprim17ROCPRIM_400000_NS6detail17trampoline_kernelINS0_14default_configENS1_36segmented_radix_sort_config_selectorI12hip_bfloat16lEEZNS1_25segmented_radix_sort_implIS3_Lb0EPKS5_PS5_PKlPlN2at6native12_GLOBAL__N_18offset_tEEE10hipError_tPvRmT1_PNSt15iterator_traitsISL_E10value_typeET2_T3_PNSM_ISR_E10value_typeET4_jRbjT5_SX_jjP12ihipStream_tbEUlT_E_NS1_11comp_targetILNS1_3genE2ELNS1_11target_archE906ELNS1_3gpuE6ELNS1_3repE0EEENS1_30default_config_static_selectorELNS0_4arch9wavefront6targetE1EEEvSL_
	.p2align	8
	.type	_ZN7rocprim17ROCPRIM_400000_NS6detail17trampoline_kernelINS0_14default_configENS1_36segmented_radix_sort_config_selectorI12hip_bfloat16lEEZNS1_25segmented_radix_sort_implIS3_Lb0EPKS5_PS5_PKlPlN2at6native12_GLOBAL__N_18offset_tEEE10hipError_tPvRmT1_PNSt15iterator_traitsISL_E10value_typeET2_T3_PNSM_ISR_E10value_typeET4_jRbjT5_SX_jjP12ihipStream_tbEUlT_E_NS1_11comp_targetILNS1_3genE2ELNS1_11target_archE906ELNS1_3gpuE6ELNS1_3repE0EEENS1_30default_config_static_selectorELNS0_4arch9wavefront6targetE1EEEvSL_,@function
_ZN7rocprim17ROCPRIM_400000_NS6detail17trampoline_kernelINS0_14default_configENS1_36segmented_radix_sort_config_selectorI12hip_bfloat16lEEZNS1_25segmented_radix_sort_implIS3_Lb0EPKS5_PS5_PKlPlN2at6native12_GLOBAL__N_18offset_tEEE10hipError_tPvRmT1_PNSt15iterator_traitsISL_E10value_typeET2_T3_PNSM_ISR_E10value_typeET4_jRbjT5_SX_jjP12ihipStream_tbEUlT_E_NS1_11comp_targetILNS1_3genE2ELNS1_11target_archE906ELNS1_3gpuE6ELNS1_3repE0EEENS1_30default_config_static_selectorELNS0_4arch9wavefront6targetE1EEEvSL_: ; @_ZN7rocprim17ROCPRIM_400000_NS6detail17trampoline_kernelINS0_14default_configENS1_36segmented_radix_sort_config_selectorI12hip_bfloat16lEEZNS1_25segmented_radix_sort_implIS3_Lb0EPKS5_PS5_PKlPlN2at6native12_GLOBAL__N_18offset_tEEE10hipError_tPvRmT1_PNSt15iterator_traitsISL_E10value_typeET2_T3_PNSM_ISR_E10value_typeET4_jRbjT5_SX_jjP12ihipStream_tbEUlT_E_NS1_11comp_targetILNS1_3genE2ELNS1_11target_archE906ELNS1_3gpuE6ELNS1_3repE0EEENS1_30default_config_static_selectorELNS0_4arch9wavefront6targetE1EEEvSL_
; %bb.0:
	s_add_u32 s0, s0, s8
	s_mov_b64 s[34:35], s[4:5]
	s_load_dwordx2 s[4:5], s[4:5], 0x38
	s_nop 0
	s_load_dwordx4 s[8:11], s[34:35], 0x40
	s_mov_b32 s33, s7
	s_mov_b32 s7, 0
	s_addc_u32 s1, s1, 0
	s_lshl_b64 s[12:13], s[6:7], 2
	s_waitcnt lgkmcnt(0)
	s_add_u32 s4, s4, s12
	s_addc_u32 s5, s5, s13
	s_load_dword s4, s[4:5], 0x0
	s_mov_b32 s32, 0
	s_waitcnt lgkmcnt(0)
	s_add_i32 s80, s4, s9
	s_add_i32 s81, s4, s11
	s_mul_i32 s80, s80, s8
	s_mul_i32 s81, s81, s10
	s_cmp_le_u32 s81, s80
	s_cbranch_scc1 .LBB2054_670
; %bb.1:
	s_load_dword s4, s[34:35], 0x30
	s_load_dwordx4 s[72:75], s[34:35], 0x20
	s_load_dwordx4 s[76:79], s[34:35], 0x50
	s_load_dwordx8 s[64:71], s[34:35], 0x0
	s_waitcnt lgkmcnt(0)
	s_bitcmp1_b32 s4, 0
	s_cselect_b64 s[54:55], -1, 0
	s_sub_i32 s79, s81, s80
	s_cmpk_lt_u32 s79, 0x801
	s_mov_b64 s[4:5], -1
	s_cbranch_scc0 .LBB2054_7
; %bb.2:
	s_and_b32 s4, s76, 1
	v_cndmask_b32_e64 v3, 0, 1, s[54:55]
	v_cmp_ne_u32_e32 vcc, s4, v3
	s_mov_b64 s[4:5], -1
	v_lshlrev_b32_e32 v41, 20, v2
	v_lshlrev_b32_e32 v42, 10, v1
	s_cbranch_vccnz .LBB2054_4
; %bb.3:
	s_add_u32 s8, s34, 0x60
	s_mov_b64 s[4:5], src_shared_base
	s_addc_u32 s9, s35, 0
	s_getpc_b64 s[10:11]
	s_add_u32 s10, s10, _ZN7rocprim17ROCPRIM_400000_NS6detail40segmented_radix_sort_single_block_helperI12hip_bfloat16lLj256ELj8ELb0EE4sortIPKS3_PS3_PKlPlEEbT_T0_T1_T2_jjjjRNS4_12storage_typeE@rel32@lo+4
	s_addc_u32 s11, s11, _ZN7rocprim17ROCPRIM_400000_NS6detail40segmented_radix_sort_single_block_helperI12hip_bfloat16lLj256ELj8ELb0EE4sortIPKS3_PS3_PKlPlEEbT_T0_T1_T2_jjjjRNS4_12storage_typeE@rel32@hi+12
	v_or3_b32 v31, v0, v42, v41
	s_mov_b32 s12, s6
	s_mov_b32 s13, s33
	v_mov_b32_e32 v40, v0
	v_mov_b32_e32 v0, s64
	;; [unrolled: 1-line block ×17, first 2 shown]
	s_mov_b32 s36, s6
	s_swappc_b64 s[30:31], s[10:11]
	v_mov_b32_e32 v1, v43
	v_mov_b32_e32 v2, v44
	;; [unrolled: 1-line block ×3, first 2 shown]
	s_mov_b32 s6, s36
	s_mov_b64 s[4:5], 0
.LBB2054_4:
	s_andn2_b64 vcc, exec, s[4:5]
	s_cbranch_vccnz .LBB2054_6
; %bb.5:
	s_add_u32 s8, s34, 0x60
	s_mov_b64 s[4:5], src_shared_base
	s_addc_u32 s9, s35, 0
	s_getpc_b64 s[10:11]
	s_add_u32 s10, s10, _ZN7rocprim17ROCPRIM_400000_NS6detail40segmented_radix_sort_single_block_helperI12hip_bfloat16lLj256ELj8ELb0EE4sortIPKS3_PS3_PKlPlEEbT_T0_T1_T2_jjjjRNS4_12storage_typeE@rel32@lo+4
	s_addc_u32 s11, s11, _ZN7rocprim17ROCPRIM_400000_NS6detail40segmented_radix_sort_single_block_helperI12hip_bfloat16lLj256ELj8ELb0EE4sortIPKS3_PS3_PKlPlEEbT_T0_T1_T2_jjjjRNS4_12storage_typeE@rel32@hi+12
	v_or3_b32 v31, v0, v42, v41
	s_mov_b32 s12, s6
	s_mov_b32 s13, s33
	v_mov_b32_e32 v40, v0
	v_mov_b32_e32 v0, s64
	;; [unrolled: 1-line block ×17, first 2 shown]
	s_mov_b32 s36, s6
	s_swappc_b64 s[30:31], s[10:11]
	v_mov_b32_e32 v1, v41
	v_mov_b32_e32 v2, v42
	;; [unrolled: 1-line block ×3, first 2 shown]
	s_mov_b32 s6, s36
.LBB2054_6:
	s_mov_b64 s[4:5], 0
.LBB2054_7:
	s_andn2_b64 vcc, exec, s[4:5]
	s_cbranch_vccnz .LBB2054_670
; %bb.8:
	s_cmp_ge_u32 s77, s78
	s_cbranch_scc1 .LBB2054_670
; %bb.9:
	v_and_b32_e32 v4, 3, v0
	v_lshlrev_b32_e32 v35, 2, v4
	v_or_b32_e32 v4, 63, v0
	v_lshlrev_b32_e32 v25, 2, v0
	v_lshlrev_b32_e32 v5, 1, v0
	v_cmp_eq_u32_e64 s[8:9], v0, v4
	v_lshrrev_b32_e32 v4, 4, v0
	v_mov_b32_e32 v6, s69
	v_add_co_u32_e32 v29, vcc, s68, v5
	v_mad_u32_u24 v36, v0, 12, v25
	v_and_b32_e32 v37, 12, v4
	v_lshlrev_b32_e32 v4, 3, v0
	v_addc_co_u32_e32 v30, vcc, 0, v6, vcc
	v_and_b32_e32 v4, 0x600, v4
	v_add_u32_e32 v41, v36, v25
	v_lshlrev_b32_e32 v6, 4, v0
	v_sub_u32_e32 v42, v41, v6
	v_lshlrev_b32_e32 v6, 3, v4
	v_mov_b32_e32 v7, s75
	v_add_co_u32_e32 v43, vcc, s74, v6
	v_addc_co_u32_e32 v44, vcc, 0, v7, vcc
	v_lshlrev_b32_e32 v7, 1, v4
	v_mov_b32_e32 v8, s69
	v_add_co_u32_e32 v45, vcc, s68, v7
	v_addc_co_u32_e32 v46, vcc, 0, v8, vcc
	v_mov_b32_e32 v8, s67
	v_add_co_u32_e32 v49, vcc, s66, v5
	v_addc_co_u32_e32 v50, vcc, 0, v8, vcc
	v_mov_b32_e32 v8, s73
	v_add_co_u32_e32 v51, vcc, s72, v6
	v_addc_co_u32_e32 v52, vcc, 0, v8, vcc
	v_mov_b32_e32 v8, s67
	v_add_co_u32_e32 v53, vcc, s66, v7
	v_addc_co_u32_e32 v54, vcc, 0, v8, vcc
	v_mov_b32_e32 v8, s65
	v_add_co_u32_e32 v55, vcc, s64, v5
	v_addc_co_u32_e32 v56, vcc, 0, v8, vcc
	v_sub_u32_e32 v47, v42, v5
	v_mov_b32_e32 v5, s71
	v_add_co_u32_e32 v57, vcc, s70, v6
	v_addc_co_u32_e32 v58, vcc, 0, v5, vcc
	v_mov_b32_e32 v5, s65
	v_add_co_u32_e32 v59, vcc, s64, v7
	v_addc_co_u32_e32 v60, vcc, 0, v5, vcc
	v_mbcnt_lo_u32_b32 v5, -1, 0
	v_mbcnt_hi_u32_b32 v66, -1, v5
	v_and_b32_e32 v5, 63, v66
	s_movk_i32 s4, 0x100
	s_add_u32 s56, s34, 0x60
	s_movk_i32 s7, 0xff
	v_or_b32_e32 v73, v5, v4
	v_mov_b32_e32 v3, 0
	v_or_b32_e32 v26, 0x100, v0
	v_or_b32_e32 v27, 0x200, v0
	;; [unrolled: 1-line block ×7, first 2 shown]
	v_cmp_gt_u32_e64 s[4:5], s4, v0
	v_or_b32_e32 v38, 0x4400, v37
	v_cmp_gt_u32_e64 s[10:11], 4, v0
	v_or_b32_e32 v39, 0x4400, v25
	v_cmp_lt_u32_e64 s[12:13], 63, v0
	v_add_u32_e32 v40, 0x43fc, v37
	s_addc_u32 s57, s35, 0
	s_mov_b32 s59, 0
	v_cmp_eq_u32_e64 s[14:15], 0, v0
	v_cmp_ne_u32_e64 s[16:17], s7, v0
	v_mul_u32_u24_e32 v48, 6, v0
	s_movk_i32 s7, 0x7fff
	v_mov_b32_e32 v61, 1
	v_add_u32_e32 v62, 0x410, v41
	v_add_u32_e32 v63, 0x418, v41
	v_lshlrev_b32_e32 v64, 1, v0
	v_mov_b32_e32 v65, 0xffff8000
	v_and_b32_e32 v67, 15, v66
	v_bfe_i32 v68, v66, 4, 1
	v_and_b32_e32 v69, 16, v66
	v_and_b32_e32 v70, 3, v66
	;; [unrolled: 1-line block ×3, first 2 shown]
	v_lshlrev_b32_e32 v72, 3, v5
	v_or_b32_e32 v74, 64, v73
	v_or_b32_e32 v75, 0x80, v73
	;; [unrolled: 1-line block ×7, first 2 shown]
	v_lshlrev_b32_e32 v81, 1, v5
	s_mov_b32 s62, s77
	s_branch .LBB2054_12
.LBB2054_10:                            ;   in Loop: Header=BB2054_12 Depth=1
	s_waitcnt lgkmcnt(0)
	s_barrier
.LBB2054_11:                            ;   in Loop: Header=BB2054_12 Depth=1
	s_add_i32 s62, s62, 8
	s_cmp_ge_u32 s62, s78
	s_cbranch_scc1 .LBB2054_670
.LBB2054_12:                            ; =>This Loop Header: Depth=1
                                        ;     Child Loop BB2054_16 Depth 2
                                        ;     Child Loop BB2054_64 Depth 2
	;; [unrolled: 1-line block ×8, first 2 shown]
	s_sub_i32 s18, s78, s62
	s_min_u32 s18, s18, 8
	s_lshl_b32 s18, -1, s18
	s_xor_b64 s[54:55], s[54:55], -1
	s_not_b32 s63, s18
	s_cmp_lg_u32 s62, s77
	s_mov_b64 s[18:19], -1
	ds_write2st64_b32 v25, v3, v3 offset1:4
	ds_write2st64_b32 v25, v3, v3 offset0:8 offset1:12
	s_waitcnt lgkmcnt(0)
	s_cbranch_scc0 .LBB2054_342
; %bb.13:                               ;   in Loop: Header=BB2054_12 Depth=1
	s_and_b64 vcc, exec, s[54:55]
	s_cbranch_vccz .LBB2054_177
; %bb.14:                               ;   in Loop: Header=BB2054_12 Depth=1
	s_mov_b32 s22, s79
	s_mov_b32 s58, s80
	s_barrier
                                        ; implicit-def: $vgpr4
                                        ; implicit-def: $vgpr5
                                        ; implicit-def: $vgpr6
                                        ; implicit-def: $vgpr7
                                        ; implicit-def: $vgpr8
                                        ; implicit-def: $vgpr9
                                        ; implicit-def: $vgpr10
                                        ; implicit-def: $vgpr11
	s_branch .LBB2054_16
.LBB2054_15:                            ;   in Loop: Header=BB2054_16 Depth=2
	s_or_b64 exec, exec, s[18:19]
	s_addk_i32 s22, 0xf800
	s_cmp_ge_u32 s23, s81
	s_mov_b32 s58, s23
	s_cbranch_scc1 .LBB2054_52
.LBB2054_16:                            ;   Parent Loop BB2054_12 Depth=1
                                        ; =>  This Inner Loop Header: Depth=2
	s_add_i32 s23, s58, 0x800
	s_cmp_gt_u32 s23, s81
	s_mov_b64 s[18:19], -1
                                        ; implicit-def: $vgpr12
                                        ; implicit-def: $vgpr13
                                        ; implicit-def: $vgpr14
                                        ; implicit-def: $vgpr15
                                        ; implicit-def: $vgpr16
                                        ; implicit-def: $vgpr17
                                        ; implicit-def: $vgpr18
                                        ; implicit-def: $vgpr19
	s_cbranch_scc1 .LBB2054_18
; %bb.17:                               ;   in Loop: Header=BB2054_16 Depth=2
	s_lshl_b64 s[18:19], s[58:59], 1
	v_mov_b32_e32 v12, s19
	v_add_co_u32_e32 v20, vcc, s18, v29
	v_addc_co_u32_e32 v21, vcc, v30, v12, vcc
	global_load_ushort v12, v[20:21], off
	global_load_ushort v13, v[20:21], off offset:512
	global_load_ushort v14, v[20:21], off offset:1024
	;; [unrolled: 1-line block ×7, first 2 shown]
	s_mov_b64 s[18:19], 0
.LBB2054_18:                            ;   in Loop: Header=BB2054_16 Depth=2
	s_andn2_b64 vcc, exec, s[18:19]
	s_movk_i32 s20, 0x800
	s_cbranch_vccnz .LBB2054_29
; %bb.19:                               ;   in Loop: Header=BB2054_16 Depth=2
	s_lshl_b64 s[18:19], s[58:59], 1
	s_add_u32 s18, s68, s18
	s_addc_u32 s19, s69, s19
	v_cmp_gt_u32_e32 vcc, s22, v0
	s_and_saveexec_b64 s[20:21], vcc
	s_cbranch_execnz .LBB2054_45
; %bb.20:                               ;   in Loop: Header=BB2054_16 Depth=2
	s_or_b64 exec, exec, s[20:21]
	v_cmp_gt_u32_e32 vcc, s22, v26
	s_and_saveexec_b64 s[20:21], vcc
	s_cbranch_execnz .LBB2054_46
.LBB2054_21:                            ;   in Loop: Header=BB2054_16 Depth=2
	s_or_b64 exec, exec, s[20:21]
	v_cmp_gt_u32_e32 vcc, s22, v27
	s_and_saveexec_b64 s[20:21], vcc
	s_cbranch_execnz .LBB2054_47
.LBB2054_22:                            ;   in Loop: Header=BB2054_16 Depth=2
	s_or_b64 exec, exec, s[20:21]
	v_cmp_gt_u32_e32 vcc, s22, v28
	s_and_saveexec_b64 s[20:21], vcc
	s_cbranch_execnz .LBB2054_48
.LBB2054_23:                            ;   in Loop: Header=BB2054_16 Depth=2
	s_or_b64 exec, exec, s[20:21]
	v_cmp_gt_u32_e32 vcc, s22, v31
	s_and_saveexec_b64 s[20:21], vcc
	s_cbranch_execnz .LBB2054_49
.LBB2054_24:                            ;   in Loop: Header=BB2054_16 Depth=2
	s_or_b64 exec, exec, s[20:21]
	v_cmp_gt_u32_e32 vcc, s22, v32
	s_and_saveexec_b64 s[20:21], vcc
	s_cbranch_execnz .LBB2054_50
.LBB2054_25:                            ;   in Loop: Header=BB2054_16 Depth=2
	s_or_b64 exec, exec, s[20:21]
	v_cmp_gt_u32_e32 vcc, s22, v33
	s_and_saveexec_b64 s[20:21], vcc
	s_cbranch_execnz .LBB2054_51
.LBB2054_26:                            ;   in Loop: Header=BB2054_16 Depth=2
	s_or_b64 exec, exec, s[20:21]
	v_cmp_gt_u32_e32 vcc, s22, v34
	s_and_saveexec_b64 s[20:21], vcc
	s_cbranch_execz .LBB2054_28
.LBB2054_27:                            ;   in Loop: Header=BB2054_16 Depth=2
	global_load_ushort v4, v64, s[18:19] offset:3584
.LBB2054_28:                            ;   in Loop: Header=BB2054_16 Depth=2
	s_or_b64 exec, exec, s[20:21]
	s_mov_b32 s20, s22
	s_waitcnt vmcnt(0)
	v_mov_b32_e32 v12, v11
	v_mov_b32_e32 v13, v10
	;; [unrolled: 1-line block ×8, first 2 shown]
.LBB2054_29:                            ;   in Loop: Header=BB2054_16 Depth=2
	s_waitcnt vmcnt(0)
	v_mov_b32_e32 v4, v19
	v_mov_b32_e32 v5, v18
	;; [unrolled: 1-line block ×8, first 2 shown]
	v_cmp_gt_u32_e32 vcc, s20, v0
	s_and_saveexec_b64 s[18:19], vcc
	s_cbranch_execnz .LBB2054_37
; %bb.30:                               ;   in Loop: Header=BB2054_16 Depth=2
	s_or_b64 exec, exec, s[18:19]
	v_cmp_gt_u32_e32 vcc, s20, v26
	s_and_saveexec_b64 s[18:19], vcc
	s_cbranch_execnz .LBB2054_38
.LBB2054_31:                            ;   in Loop: Header=BB2054_16 Depth=2
	s_or_b64 exec, exec, s[18:19]
	v_cmp_gt_u32_e32 vcc, s20, v27
	s_and_saveexec_b64 s[18:19], vcc
	s_cbranch_execnz .LBB2054_39
.LBB2054_32:                            ;   in Loop: Header=BB2054_16 Depth=2
	s_or_b64 exec, exec, s[18:19]
	v_cmp_gt_u32_e32 vcc, s20, v28
	s_and_saveexec_b64 s[18:19], vcc
	s_cbranch_execnz .LBB2054_40
.LBB2054_33:                            ;   in Loop: Header=BB2054_16 Depth=2
	s_or_b64 exec, exec, s[18:19]
	v_cmp_gt_u32_e32 vcc, s20, v31
	s_and_saveexec_b64 s[18:19], vcc
	s_cbranch_execnz .LBB2054_41
.LBB2054_34:                            ;   in Loop: Header=BB2054_16 Depth=2
	s_or_b64 exec, exec, s[18:19]
	v_cmp_gt_u32_e32 vcc, s20, v32
	s_and_saveexec_b64 s[18:19], vcc
	s_cbranch_execnz .LBB2054_42
.LBB2054_35:                            ;   in Loop: Header=BB2054_16 Depth=2
	s_or_b64 exec, exec, s[18:19]
	v_cmp_gt_u32_e32 vcc, s20, v33
	s_and_saveexec_b64 s[18:19], vcc
	s_cbranch_execnz .LBB2054_43
.LBB2054_36:                            ;   in Loop: Header=BB2054_16 Depth=2
	s_or_b64 exec, exec, s[18:19]
	v_cmp_gt_u32_e32 vcc, s20, v34
	s_and_saveexec_b64 s[18:19], vcc
	s_cbranch_execz .LBB2054_15
	s_branch .LBB2054_44
.LBB2054_37:                            ;   in Loop: Header=BB2054_16 Depth=2
	v_cmp_lt_i16_e32 vcc, -1, v11
	v_cndmask_b32_e32 v12, -1, v65, vcc
	v_xor_b32_e32 v12, v12, v11
	v_cmp_ne_u16_e32 vcc, s7, v12
	v_cndmask_b32_e32 v12, v65, v12, vcc
	v_lshrrev_b32_sdwa v12, s62, v12 dst_sel:DWORD dst_unused:UNUSED_PAD src0_sel:DWORD src1_sel:WORD_0
	v_and_b32_e32 v12, s63, v12
	v_lshl_or_b32 v12, v12, 4, v35
	ds_add_u32 v12, v61
	s_or_b64 exec, exec, s[18:19]
	v_cmp_gt_u32_e32 vcc, s20, v26
	s_and_saveexec_b64 s[18:19], vcc
	s_cbranch_execz .LBB2054_31
.LBB2054_38:                            ;   in Loop: Header=BB2054_16 Depth=2
	v_cmp_lt_i16_e32 vcc, -1, v10
	v_cndmask_b32_e32 v12, -1, v65, vcc
	v_xor_b32_e32 v12, v12, v10
	v_cmp_ne_u16_e32 vcc, s7, v12
	v_cndmask_b32_e32 v12, v65, v12, vcc
	v_lshrrev_b32_sdwa v12, s62, v12 dst_sel:DWORD dst_unused:UNUSED_PAD src0_sel:DWORD src1_sel:WORD_0
	v_and_b32_e32 v12, s63, v12
	v_lshl_or_b32 v12, v12, 4, v35
	ds_add_u32 v12, v61
	s_or_b64 exec, exec, s[18:19]
	v_cmp_gt_u32_e32 vcc, s20, v27
	s_and_saveexec_b64 s[18:19], vcc
	s_cbranch_execz .LBB2054_32
.LBB2054_39:                            ;   in Loop: Header=BB2054_16 Depth=2
	v_cmp_lt_i16_e32 vcc, -1, v9
	v_cndmask_b32_e32 v12, -1, v65, vcc
	v_xor_b32_e32 v12, v12, v9
	v_cmp_ne_u16_e32 vcc, s7, v12
	v_cndmask_b32_e32 v12, v65, v12, vcc
	v_lshrrev_b32_sdwa v12, s62, v12 dst_sel:DWORD dst_unused:UNUSED_PAD src0_sel:DWORD src1_sel:WORD_0
	v_and_b32_e32 v12, s63, v12
	v_lshl_or_b32 v12, v12, 4, v35
	ds_add_u32 v12, v61
	s_or_b64 exec, exec, s[18:19]
	v_cmp_gt_u32_e32 vcc, s20, v28
	s_and_saveexec_b64 s[18:19], vcc
	s_cbranch_execz .LBB2054_33
.LBB2054_40:                            ;   in Loop: Header=BB2054_16 Depth=2
	v_cmp_lt_i16_e32 vcc, -1, v8
	v_cndmask_b32_e32 v12, -1, v65, vcc
	v_xor_b32_e32 v12, v12, v8
	v_cmp_ne_u16_e32 vcc, s7, v12
	v_cndmask_b32_e32 v12, v65, v12, vcc
	v_lshrrev_b32_sdwa v12, s62, v12 dst_sel:DWORD dst_unused:UNUSED_PAD src0_sel:DWORD src1_sel:WORD_0
	v_and_b32_e32 v12, s63, v12
	v_lshl_or_b32 v12, v12, 4, v35
	ds_add_u32 v12, v61
	s_or_b64 exec, exec, s[18:19]
	v_cmp_gt_u32_e32 vcc, s20, v31
	s_and_saveexec_b64 s[18:19], vcc
	s_cbranch_execz .LBB2054_34
.LBB2054_41:                            ;   in Loop: Header=BB2054_16 Depth=2
	v_cmp_lt_i16_e32 vcc, -1, v7
	v_cndmask_b32_e32 v12, -1, v65, vcc
	v_xor_b32_e32 v12, v12, v7
	v_cmp_ne_u16_e32 vcc, s7, v12
	v_cndmask_b32_e32 v12, v65, v12, vcc
	v_lshrrev_b32_sdwa v12, s62, v12 dst_sel:DWORD dst_unused:UNUSED_PAD src0_sel:DWORD src1_sel:WORD_0
	v_and_b32_e32 v12, s63, v12
	v_lshl_or_b32 v12, v12, 4, v35
	ds_add_u32 v12, v61
	s_or_b64 exec, exec, s[18:19]
	v_cmp_gt_u32_e32 vcc, s20, v32
	s_and_saveexec_b64 s[18:19], vcc
	s_cbranch_execz .LBB2054_35
.LBB2054_42:                            ;   in Loop: Header=BB2054_16 Depth=2
	v_cmp_lt_i16_e32 vcc, -1, v6
	v_cndmask_b32_e32 v12, -1, v65, vcc
	v_xor_b32_e32 v12, v12, v6
	v_cmp_ne_u16_e32 vcc, s7, v12
	v_cndmask_b32_e32 v12, v65, v12, vcc
	v_lshrrev_b32_sdwa v12, s62, v12 dst_sel:DWORD dst_unused:UNUSED_PAD src0_sel:DWORD src1_sel:WORD_0
	v_and_b32_e32 v12, s63, v12
	v_lshl_or_b32 v12, v12, 4, v35
	ds_add_u32 v12, v61
	s_or_b64 exec, exec, s[18:19]
	v_cmp_gt_u32_e32 vcc, s20, v33
	s_and_saveexec_b64 s[18:19], vcc
	s_cbranch_execz .LBB2054_36
.LBB2054_43:                            ;   in Loop: Header=BB2054_16 Depth=2
	v_cmp_lt_i16_e32 vcc, -1, v5
	v_cndmask_b32_e32 v12, -1, v65, vcc
	v_xor_b32_e32 v12, v12, v5
	v_cmp_ne_u16_e32 vcc, s7, v12
	v_cndmask_b32_e32 v12, v65, v12, vcc
	v_lshrrev_b32_sdwa v12, s62, v12 dst_sel:DWORD dst_unused:UNUSED_PAD src0_sel:DWORD src1_sel:WORD_0
	v_and_b32_e32 v12, s63, v12
	v_lshl_or_b32 v12, v12, 4, v35
	ds_add_u32 v12, v61
	s_or_b64 exec, exec, s[18:19]
	v_cmp_gt_u32_e32 vcc, s20, v34
	s_and_saveexec_b64 s[18:19], vcc
	s_cbranch_execz .LBB2054_15
.LBB2054_44:                            ;   in Loop: Header=BB2054_16 Depth=2
	v_cmp_lt_i16_e32 vcc, -1, v4
	v_cndmask_b32_e32 v12, -1, v65, vcc
	v_xor_b32_e32 v12, v12, v4
	v_cmp_ne_u16_e32 vcc, s7, v12
	v_cndmask_b32_e32 v12, v65, v12, vcc
	v_lshrrev_b32_sdwa v12, s62, v12 dst_sel:DWORD dst_unused:UNUSED_PAD src0_sel:DWORD src1_sel:WORD_0
	v_and_b32_e32 v12, s63, v12
	v_lshl_or_b32 v12, v12, 4, v35
	ds_add_u32 v12, v61
	s_branch .LBB2054_15
.LBB2054_45:                            ;   in Loop: Header=BB2054_16 Depth=2
	global_load_ushort v11, v64, s[18:19]
	s_or_b64 exec, exec, s[20:21]
	v_cmp_gt_u32_e32 vcc, s22, v26
	s_and_saveexec_b64 s[20:21], vcc
	s_cbranch_execz .LBB2054_21
.LBB2054_46:                            ;   in Loop: Header=BB2054_16 Depth=2
	global_load_ushort v10, v64, s[18:19] offset:512
	s_or_b64 exec, exec, s[20:21]
	v_cmp_gt_u32_e32 vcc, s22, v27
	s_and_saveexec_b64 s[20:21], vcc
	s_cbranch_execz .LBB2054_22
.LBB2054_47:                            ;   in Loop: Header=BB2054_16 Depth=2
	global_load_ushort v9, v64, s[18:19] offset:1024
	s_or_b64 exec, exec, s[20:21]
	v_cmp_gt_u32_e32 vcc, s22, v28
	s_and_saveexec_b64 s[20:21], vcc
	s_cbranch_execz .LBB2054_23
.LBB2054_48:                            ;   in Loop: Header=BB2054_16 Depth=2
	global_load_ushort v8, v64, s[18:19] offset:1536
	s_or_b64 exec, exec, s[20:21]
	v_cmp_gt_u32_e32 vcc, s22, v31
	s_and_saveexec_b64 s[20:21], vcc
	s_cbranch_execz .LBB2054_24
.LBB2054_49:                            ;   in Loop: Header=BB2054_16 Depth=2
	global_load_ushort v7, v64, s[18:19] offset:2048
	s_or_b64 exec, exec, s[20:21]
	v_cmp_gt_u32_e32 vcc, s22, v32
	s_and_saveexec_b64 s[20:21], vcc
	s_cbranch_execz .LBB2054_25
.LBB2054_50:                            ;   in Loop: Header=BB2054_16 Depth=2
	global_load_ushort v6, v64, s[18:19] offset:2560
	s_or_b64 exec, exec, s[20:21]
	v_cmp_gt_u32_e32 vcc, s22, v33
	s_and_saveexec_b64 s[20:21], vcc
	s_cbranch_execz .LBB2054_26
.LBB2054_51:                            ;   in Loop: Header=BB2054_16 Depth=2
	global_load_ushort v5, v64, s[18:19] offset:3072
	s_or_b64 exec, exec, s[20:21]
	v_cmp_gt_u32_e32 vcc, s22, v34
	s_and_saveexec_b64 s[20:21], vcc
	s_cbranch_execnz .LBB2054_27
	s_branch .LBB2054_28
.LBB2054_52:                            ;   in Loop: Header=BB2054_12 Depth=1
	v_mov_b32_e32 v4, 0
	s_waitcnt lgkmcnt(0)
	s_barrier
	s_and_saveexec_b64 s[18:19], s[4:5]
	s_cbranch_execz .LBB2054_54
; %bb.53:                               ;   in Loop: Header=BB2054_12 Depth=1
	ds_read2_b64 v[4:7], v36 offset1:1
	s_waitcnt lgkmcnt(0)
	v_add_u32_e32 v4, v5, v4
	v_add3_u32 v4, v4, v6, v7
.LBB2054_54:                            ;   in Loop: Header=BB2054_12 Depth=1
	s_or_b64 exec, exec, s[18:19]
	s_nop 0
	v_mov_b32_dpp v5, v4 row_shr:1 row_mask:0xf bank_mask:0xf
	v_cmp_eq_u32_e64 s[18:19], 0, v67
	v_cndmask_b32_e64 v5, v5, 0, s[18:19]
	v_add_u32_e32 v4, v5, v4
	v_cmp_lt_u32_e64 s[20:21], 1, v67
	v_cmp_lt_u32_e64 s[22:23], 3, v67
	v_mov_b32_dpp v5, v4 row_shr:2 row_mask:0xf bank_mask:0xf
	v_cndmask_b32_e64 v5, 0, v5, s[20:21]
	v_add_u32_e32 v4, v4, v5
	v_cmp_lt_u32_e64 s[24:25], 7, v67
	v_cmp_lt_u32_e64 s[28:29], 31, v66
	v_mov_b32_dpp v5, v4 row_shr:4 row_mask:0xf bank_mask:0xf
	v_cndmask_b32_e64 v5, 0, v5, s[22:23]
	v_add_u32_e32 v4, v4, v5
	v_cmp_eq_u32_e64 s[26:27], 0, v69
	s_nop 0
	v_mov_b32_dpp v5, v4 row_shr:8 row_mask:0xf bank_mask:0xf
	v_cndmask_b32_e64 v5, 0, v5, s[24:25]
	v_add_u32_e32 v4, v4, v5
	s_nop 1
	v_mov_b32_dpp v5, v4 row_bcast:15 row_mask:0xf bank_mask:0xf
	v_and_b32_e32 v5, v68, v5
	v_add_u32_e32 v4, v4, v5
	s_nop 1
	v_mov_b32_dpp v5, v4 row_bcast:31 row_mask:0xf bank_mask:0xf
	v_cndmask_b32_e64 v5, 0, v5, s[28:29]
	v_add_u32_e32 v4, v4, v5
	s_and_saveexec_b64 s[30:31], s[8:9]
; %bb.55:                               ;   in Loop: Header=BB2054_12 Depth=1
	ds_write_b32 v38, v4
; %bb.56:                               ;   in Loop: Header=BB2054_12 Depth=1
	s_or_b64 exec, exec, s[30:31]
	s_waitcnt lgkmcnt(0)
	s_barrier
	s_and_saveexec_b64 s[30:31], s[10:11]
	s_cbranch_execz .LBB2054_58
; %bb.57:                               ;   in Loop: Header=BB2054_12 Depth=1
	ds_read_b32 v5, v39
	v_cmp_ne_u32_e32 vcc, 0, v70
	s_waitcnt lgkmcnt(0)
	v_mov_b32_dpp v6, v5 row_shr:1 row_mask:0xf bank_mask:0xf
	v_cndmask_b32_e32 v6, 0, v6, vcc
	v_add_u32_e32 v5, v6, v5
	v_cmp_lt_u32_e32 vcc, 1, v70
	s_nop 0
	v_mov_b32_dpp v6, v5 row_shr:2 row_mask:0xf bank_mask:0xf
	v_cndmask_b32_e32 v6, 0, v6, vcc
	v_add_u32_e32 v5, v5, v6
	ds_write_b32 v39, v5
.LBB2054_58:                            ;   in Loop: Header=BB2054_12 Depth=1
	s_or_b64 exec, exec, s[30:31]
	v_mov_b32_e32 v5, 0
	s_waitcnt lgkmcnt(0)
	s_barrier
	s_and_saveexec_b64 s[30:31], s[12:13]
; %bb.59:                               ;   in Loop: Header=BB2054_12 Depth=1
	ds_read_b32 v5, v40
; %bb.60:                               ;   in Loop: Header=BB2054_12 Depth=1
	s_or_b64 exec, exec, s[30:31]
	v_subrev_co_u32_e64 v6, s[30:31], 1, v66
	v_cmp_lt_i32_e32 vcc, v6, v71
	v_cndmask_b32_e32 v6, v6, v66, vcc
	s_waitcnt lgkmcnt(0)
	v_add_u32_e32 v4, v5, v4
	v_lshlrev_b32_e32 v82, 2, v6
	ds_bpermute_b32 v4, v82, v4
	s_waitcnt lgkmcnt(0)
	s_barrier
	s_and_saveexec_b64 s[34:35], s[4:5]
; %bb.61:                               ;   in Loop: Header=BB2054_12 Depth=1
	v_cndmask_b32_e64 v4, v4, v5, s[30:31]
	v_add_u32_e32 v4, s80, v4
	ds_write_b32 v25, v4
; %bb.62:                               ;   in Loop: Header=BB2054_12 Depth=1
	s_or_b64 exec, exec, s[34:35]
	s_load_dword s34, s[56:57], 0x4
	s_load_dword s38, s[56:57], 0xc
	v_add_co_u32_e32 v83, vcc, v43, v72
	v_addc_co_u32_e32 v84, vcc, 0, v44, vcc
	s_waitcnt lgkmcnt(0)
	s_cmp_lt_u32 s33, s34
	s_cselect_b32 s34, 14, 20
	s_add_u32 s34, s56, s34
	s_addc_u32 s35, s57, 0
	global_load_ushort v4, v3, s[34:35]
	s_and_b32 s38, s38, 0xffff
	v_add_co_u32_e32 v85, vcc, v45, v81
	v_cmp_eq_u32_e64 s[34:35], 0, v70
	v_cmp_lt_u32_e64 s[36:37], 1, v70
	v_addc_co_u32_e32 v86, vcc, 0, v46, vcc
	s_mov_b32 s70, s79
	s_mov_b32 s58, s80
                                        ; implicit-def: $vgpr7_vgpr8
                                        ; implicit-def: $vgpr9_vgpr10
                                        ; implicit-def: $vgpr11_vgpr12
                                        ; implicit-def: $vgpr13_vgpr14
                                        ; implicit-def: $vgpr15_vgpr16
                                        ; implicit-def: $vgpr17_vgpr18
                                        ; implicit-def: $vgpr19_vgpr20
                                        ; implicit-def: $vgpr87
                                        ; implicit-def: $vgpr88
                                        ; implicit-def: $vgpr89
                                        ; implicit-def: $vgpr90
                                        ; implicit-def: $vgpr92
                                        ; implicit-def: $vgpr93
                                        ; implicit-def: $vgpr94
                                        ; implicit-def: $vgpr95
	s_waitcnt vmcnt(0)
	v_mad_u32_u24 v4, v2, v4, v1
	v_mad_u64_u32 v[4:5], s[38:39], v4, s38, v[0:1]
                                        ; implicit-def: $vgpr5_vgpr6
	v_lshrrev_b32_e32 v4, 4, v4
	v_and_b32_e32 v91, 0xffffffc, v4
	s_branch .LBB2054_64
.LBB2054_63:                            ;   in Loop: Header=BB2054_64 Depth=2
	s_or_b64 exec, exec, s[38:39]
	s_addk_i32 s70, 0xf800
	s_cmp_lt_u32 s71, s81
	s_mov_b32 s58, s71
	s_cbranch_scc0 .LBB2054_176
.LBB2054_64:                            ;   Parent Loop BB2054_12 Depth=1
                                        ; =>  This Inner Loop Header: Depth=2
	s_add_i32 s71, s58, 0x800
	s_cmp_gt_u32 s71, s81
	s_cbranch_scc1 .LBB2054_66
; %bb.65:                               ;   in Loop: Header=BB2054_64 Depth=2
	s_lshl_b64 s[38:39], s[58:59], 1
	v_mov_b32_e32 v4, s39
	v_add_co_u32_e32 v21, vcc, s38, v85
	v_addc_co_u32_e32 v22, vcc, v86, v4, vcc
	global_load_ushort v4, v[21:22], off
	global_load_ushort v99, v[21:22], off offset:128
	global_load_ushort v103, v[21:22], off offset:256
	;; [unrolled: 1-line block ×6, first 2 shown]
	s_mov_b64 s[38:39], -1
	s_movk_i32 s42, 0x800
	s_cbranch_execz .LBB2054_67
	s_branch .LBB2054_82
.LBB2054_66:                            ;   in Loop: Header=BB2054_64 Depth=2
	s_mov_b64 s[38:39], 0
                                        ; implicit-def: $vgpr4
                                        ; implicit-def: $vgpr99
                                        ; implicit-def: $vgpr103
                                        ; implicit-def: $vgpr107
                                        ; implicit-def: $vgpr112
                                        ; implicit-def: $vgpr108
                                        ; implicit-def: $vgpr24
	s_movk_i32 s42, 0x800
.LBB2054_67:                            ;   in Loop: Header=BB2054_64 Depth=2
	s_lshl_b64 s[38:39], s[58:59], 1
	s_waitcnt vmcnt(6)
	v_mov_b32_e32 v4, s39
	v_add_co_u32_e32 v21, vcc, s38, v85
	v_addc_co_u32_e32 v22, vcc, v86, v4, vcc
	v_cmp_gt_u32_e32 vcc, s70, v73
	s_waitcnt vmcnt(5)
	v_mov_b32_e32 v99, 0x7fff
	v_mov_b32_e32 v4, 0x7fff
	s_and_saveexec_b64 s[38:39], vcc
	s_cbranch_execz .LBB2054_69
; %bb.68:                               ;   in Loop: Header=BB2054_64 Depth=2
	global_load_ushort v4, v[21:22], off
.LBB2054_69:                            ;   in Loop: Header=BB2054_64 Depth=2
	s_or_b64 exec, exec, s[38:39]
	v_cmp_gt_u32_e32 vcc, s70, v74
	s_and_saveexec_b64 s[38:39], vcc
	s_cbranch_execz .LBB2054_71
; %bb.70:                               ;   in Loop: Header=BB2054_64 Depth=2
	global_load_ushort v99, v[21:22], off offset:128
.LBB2054_71:                            ;   in Loop: Header=BB2054_64 Depth=2
	s_or_b64 exec, exec, s[38:39]
	v_cmp_gt_u32_e32 vcc, s70, v75
	s_waitcnt vmcnt(3)
	v_mov_b32_e32 v107, 0x7fff
	v_mov_b32_e32 v103, 0x7fff
	s_and_saveexec_b64 s[38:39], vcc
	s_cbranch_execz .LBB2054_73
; %bb.72:                               ;   in Loop: Header=BB2054_64 Depth=2
	global_load_ushort v103, v[21:22], off offset:256
.LBB2054_73:                            ;   in Loop: Header=BB2054_64 Depth=2
	s_or_b64 exec, exec, s[38:39]
	v_cmp_gt_u32_e32 vcc, s70, v76
	s_and_saveexec_b64 s[38:39], vcc
	s_cbranch_execz .LBB2054_75
; %bb.74:                               ;   in Loop: Header=BB2054_64 Depth=2
	global_load_ushort v107, v[21:22], off offset:384
.LBB2054_75:                            ;   in Loop: Header=BB2054_64 Depth=2
	s_or_b64 exec, exec, s[38:39]
	v_cmp_gt_u32_e32 vcc, s70, v77
	s_waitcnt vmcnt(1)
	v_mov_b32_e32 v108, 0x7fff
	v_mov_b32_e32 v112, 0x7fff
	s_and_saveexec_b64 s[38:39], vcc
	s_cbranch_execz .LBB2054_77
; %bb.76:                               ;   in Loop: Header=BB2054_64 Depth=2
	global_load_ushort v112, v[21:22], off offset:512
.LBB2054_77:                            ;   in Loop: Header=BB2054_64 Depth=2
	s_or_b64 exec, exec, s[38:39]
	v_cmp_gt_u32_e32 vcc, s70, v78
	s_and_saveexec_b64 s[38:39], vcc
	s_cbranch_execz .LBB2054_79
; %bb.78:                               ;   in Loop: Header=BB2054_64 Depth=2
	global_load_ushort v108, v[21:22], off offset:640
.LBB2054_79:                            ;   in Loop: Header=BB2054_64 Depth=2
	s_or_b64 exec, exec, s[38:39]
	v_cmp_gt_u32_e32 vcc, s70, v79
	s_waitcnt vmcnt(0)
	v_mov_b32_e32 v24, 0x7fff
	s_and_saveexec_b64 s[38:39], vcc
	s_cbranch_execz .LBB2054_81
; %bb.80:                               ;   in Loop: Header=BB2054_64 Depth=2
	global_load_ushort v24, v[21:22], off offset:768
.LBB2054_81:                            ;   in Loop: Header=BB2054_64 Depth=2
	s_or_b64 exec, exec, s[38:39]
	s_sub_i32 s42, s81, s58
	v_cmp_gt_u32_e64 s[38:39], s70, v80
.LBB2054_82:                            ;   in Loop: Header=BB2054_64 Depth=2
	v_mov_b32_e32 v23, 0x7fff
	v_mov_b32_e32 v96, s70
	s_and_saveexec_b64 s[40:41], s[38:39]
	s_cbranch_execz .LBB2054_84
; %bb.83:                               ;   in Loop: Header=BB2054_64 Depth=2
	s_lshl_b64 s[38:39], s[58:59], 1
	v_mov_b32_e32 v22, s39
	v_add_co_u32_e32 v21, vcc, s38, v85
	v_addc_co_u32_e32 v22, vcc, v86, v22, vcc
	global_load_ushort v23, v[21:22], off offset:896
	v_mov_b32_e32 v96, s42
.LBB2054_84:                            ;   in Loop: Header=BB2054_64 Depth=2
	s_or_b64 exec, exec, s[40:41]
	s_waitcnt vmcnt(6)
	v_cmp_lt_i16_e32 vcc, -1, v4
	v_cndmask_b32_e32 v21, -1, v65, vcc
	v_xor_b32_e32 v97, v21, v4
	v_cmp_ne_u16_e32 vcc, s7, v97
	v_cndmask_b32_e32 v4, v65, v97, vcc
	v_lshrrev_b32_sdwa v4, s62, v4 dst_sel:DWORD dst_unused:UNUSED_PAD src0_sel:DWORD src1_sel:WORD_0
	v_and_b32_e32 v21, s63, v4
	v_and_b32_e32 v4, 1, v21
	v_add_co_u32_e32 v22, vcc, -1, v4
	v_addc_co_u32_e64 v98, s[38:39], 0, -1, vcc
	v_cmp_ne_u32_e32 vcc, 0, v4
	v_xor_b32_e32 v4, vcc_hi, v98
	v_and_b32_e32 v98, exec_hi, v4
	v_lshlrev_b32_e32 v4, 30, v21
	v_xor_b32_e32 v22, vcc_lo, v22
	v_cmp_gt_i64_e32 vcc, 0, v[3:4]
	v_not_b32_e32 v4, v4
	v_ashrrev_i32_e32 v4, 31, v4
	v_and_b32_e32 v22, exec_lo, v22
	v_xor_b32_e32 v101, vcc_hi, v4
	v_xor_b32_e32 v4, vcc_lo, v4
	v_and_b32_e32 v22, v22, v4
	v_lshlrev_b32_e32 v4, 29, v21
	v_cmp_gt_i64_e32 vcc, 0, v[3:4]
	v_not_b32_e32 v4, v4
	v_ashrrev_i32_e32 v4, 31, v4
	v_and_b32_e32 v98, v98, v101
	v_xor_b32_e32 v101, vcc_hi, v4
	v_xor_b32_e32 v4, vcc_lo, v4
	v_and_b32_e32 v22, v22, v4
	v_lshlrev_b32_e32 v4, 28, v21
	v_cmp_gt_i64_e32 vcc, 0, v[3:4]
	v_not_b32_e32 v4, v4
	v_ashrrev_i32_e32 v4, 31, v4
	v_and_b32_e32 v98, v98, v101
	;; [unrolled: 8-line block ×5, first 2 shown]
	v_xor_b32_e32 v101, vcc_hi, v4
	v_xor_b32_e32 v4, vcc_lo, v4
	v_and_b32_e32 v98, v98, v101
	v_and_b32_e32 v101, v22, v4
	v_lshlrev_b32_e32 v4, 24, v21
	v_cmp_gt_i64_e32 vcc, 0, v[3:4]
	v_not_b32_e32 v4, v4
	v_ashrrev_i32_e32 v4, 31, v4
	v_mul_u32_u24_e32 v100, 20, v21
	v_xor_b32_e32 v21, vcc_hi, v4
	v_xor_b32_e32 v4, vcc_lo, v4
	v_and_b32_e32 v22, v98, v21
	v_and_b32_e32 v21, v101, v4
	v_mbcnt_lo_u32_b32 v4, v21, 0
	v_mbcnt_hi_u32_b32 v98, v22, v4
	v_cmp_ne_u64_e32 vcc, 0, v[21:22]
	v_cmp_eq_u32_e64 s[38:39], 0, v98
	s_and_b64 s[40:41], vcc, s[38:39]
	v_add_u32_e32 v101, v91, v100
	ds_write2_b32 v62, v3, v3 offset1:1
	ds_write2_b32 v63, v3, v3 offset1:1
	ds_write_b32 v41, v3 offset:1056
	s_waitcnt vmcnt(0) lgkmcnt(0)
	s_barrier
	; wave barrier
	s_and_saveexec_b64 s[38:39], s[40:41]
; %bb.85:                               ;   in Loop: Header=BB2054_64 Depth=2
	v_bcnt_u32_b32 v4, v21, 0
	v_bcnt_u32_b32 v4, v22, v4
	ds_write_b32 v101, v4 offset:1040
; %bb.86:                               ;   in Loop: Header=BB2054_64 Depth=2
	s_or_b64 exec, exec, s[38:39]
	v_cmp_lt_i16_e32 vcc, -1, v99
	v_cndmask_b32_e32 v4, -1, v65, vcc
	v_xor_b32_e32 v99, v4, v99
	v_cmp_ne_u16_e32 vcc, s7, v99
	v_cndmask_b32_e32 v4, v65, v99, vcc
	v_lshrrev_b32_sdwa v4, s62, v4 dst_sel:DWORD dst_unused:UNUSED_PAD src0_sel:DWORD src1_sel:WORD_0
	v_and_b32_e32 v21, s63, v4
	v_mad_u32_u24 v4, v21, 20, v91
	; wave barrier
	ds_read_b32 v100, v4 offset:1040
	v_and_b32_e32 v4, 1, v21
	v_add_co_u32_e32 v22, vcc, -1, v4
	v_addc_co_u32_e64 v102, s[38:39], 0, -1, vcc
	v_cmp_ne_u32_e32 vcc, 0, v4
	v_xor_b32_e32 v4, vcc_hi, v102
	v_and_b32_e32 v102, exec_hi, v4
	v_lshlrev_b32_e32 v4, 30, v21
	v_xor_b32_e32 v22, vcc_lo, v22
	v_cmp_gt_i64_e32 vcc, 0, v[3:4]
	v_not_b32_e32 v4, v4
	v_ashrrev_i32_e32 v4, 31, v4
	v_and_b32_e32 v22, exec_lo, v22
	v_xor_b32_e32 v105, vcc_hi, v4
	v_xor_b32_e32 v4, vcc_lo, v4
	v_and_b32_e32 v22, v22, v4
	v_lshlrev_b32_e32 v4, 29, v21
	v_cmp_gt_i64_e32 vcc, 0, v[3:4]
	v_not_b32_e32 v4, v4
	v_ashrrev_i32_e32 v4, 31, v4
	v_and_b32_e32 v102, v102, v105
	v_xor_b32_e32 v105, vcc_hi, v4
	v_xor_b32_e32 v4, vcc_lo, v4
	v_and_b32_e32 v22, v22, v4
	v_lshlrev_b32_e32 v4, 28, v21
	v_cmp_gt_i64_e32 vcc, 0, v[3:4]
	v_not_b32_e32 v4, v4
	v_ashrrev_i32_e32 v4, 31, v4
	v_and_b32_e32 v102, v102, v105
	;; [unrolled: 8-line block ×5, first 2 shown]
	v_xor_b32_e32 v105, vcc_hi, v4
	v_xor_b32_e32 v4, vcc_lo, v4
	v_and_b32_e32 v102, v102, v105
	v_and_b32_e32 v105, v22, v4
	v_lshlrev_b32_e32 v4, 24, v21
	v_cmp_gt_i64_e32 vcc, 0, v[3:4]
	v_not_b32_e32 v4, v4
	v_ashrrev_i32_e32 v4, 31, v4
	v_mul_u32_u24_e32 v104, 20, v21
	v_xor_b32_e32 v21, vcc_hi, v4
	v_xor_b32_e32 v4, vcc_lo, v4
	v_and_b32_e32 v22, v102, v21
	v_and_b32_e32 v21, v105, v4
	v_mbcnt_lo_u32_b32 v4, v21, 0
	v_mbcnt_hi_u32_b32 v102, v22, v4
	v_cmp_ne_u64_e32 vcc, 0, v[21:22]
	v_cmp_eq_u32_e64 s[38:39], 0, v102
	s_and_b64 s[40:41], vcc, s[38:39]
	v_add_u32_e32 v105, v91, v104
	; wave barrier
	s_and_saveexec_b64 s[38:39], s[40:41]
	s_cbranch_execz .LBB2054_88
; %bb.87:                               ;   in Loop: Header=BB2054_64 Depth=2
	v_bcnt_u32_b32 v4, v21, 0
	v_bcnt_u32_b32 v4, v22, v4
	s_waitcnt lgkmcnt(0)
	v_add_u32_e32 v4, v100, v4
	ds_write_b32 v105, v4 offset:1040
.LBB2054_88:                            ;   in Loop: Header=BB2054_64 Depth=2
	s_or_b64 exec, exec, s[38:39]
	v_cmp_lt_i16_e32 vcc, -1, v103
	v_cndmask_b32_e32 v4, -1, v65, vcc
	v_xor_b32_e32 v103, v4, v103
	v_cmp_ne_u16_e32 vcc, s7, v103
	v_cndmask_b32_e32 v4, v65, v103, vcc
	v_lshrrev_b32_sdwa v4, s62, v4 dst_sel:DWORD dst_unused:UNUSED_PAD src0_sel:DWORD src1_sel:WORD_0
	v_and_b32_e32 v21, s63, v4
	v_mad_u32_u24 v4, v21, 20, v91
	; wave barrier
	ds_read_b32 v104, v4 offset:1040
	v_and_b32_e32 v4, 1, v21
	v_add_co_u32_e32 v22, vcc, -1, v4
	v_addc_co_u32_e64 v106, s[38:39], 0, -1, vcc
	v_cmp_ne_u32_e32 vcc, 0, v4
	v_xor_b32_e32 v4, vcc_hi, v106
	v_and_b32_e32 v106, exec_hi, v4
	v_lshlrev_b32_e32 v4, 30, v21
	v_xor_b32_e32 v22, vcc_lo, v22
	v_cmp_gt_i64_e32 vcc, 0, v[3:4]
	v_not_b32_e32 v4, v4
	v_ashrrev_i32_e32 v4, 31, v4
	v_and_b32_e32 v22, exec_lo, v22
	v_xor_b32_e32 v110, vcc_hi, v4
	v_xor_b32_e32 v4, vcc_lo, v4
	v_and_b32_e32 v22, v22, v4
	v_lshlrev_b32_e32 v4, 29, v21
	v_cmp_gt_i64_e32 vcc, 0, v[3:4]
	v_not_b32_e32 v4, v4
	v_ashrrev_i32_e32 v4, 31, v4
	v_and_b32_e32 v106, v106, v110
	v_xor_b32_e32 v110, vcc_hi, v4
	v_xor_b32_e32 v4, vcc_lo, v4
	v_and_b32_e32 v22, v22, v4
	v_lshlrev_b32_e32 v4, 28, v21
	v_cmp_gt_i64_e32 vcc, 0, v[3:4]
	v_not_b32_e32 v4, v4
	v_ashrrev_i32_e32 v4, 31, v4
	v_and_b32_e32 v106, v106, v110
	;; [unrolled: 8-line block ×5, first 2 shown]
	v_xor_b32_e32 v110, vcc_hi, v4
	v_xor_b32_e32 v4, vcc_lo, v4
	v_and_b32_e32 v106, v106, v110
	v_and_b32_e32 v110, v22, v4
	v_lshlrev_b32_e32 v4, 24, v21
	v_cmp_gt_i64_e32 vcc, 0, v[3:4]
	v_not_b32_e32 v4, v4
	v_ashrrev_i32_e32 v4, 31, v4
	v_mul_u32_u24_e32 v109, 20, v21
	v_xor_b32_e32 v21, vcc_hi, v4
	v_xor_b32_e32 v4, vcc_lo, v4
	v_and_b32_e32 v22, v106, v21
	v_and_b32_e32 v21, v110, v4
	v_mbcnt_lo_u32_b32 v4, v21, 0
	v_mbcnt_hi_u32_b32 v106, v22, v4
	v_cmp_ne_u64_e32 vcc, 0, v[21:22]
	v_cmp_eq_u32_e64 s[38:39], 0, v106
	s_and_b64 s[40:41], vcc, s[38:39]
	v_add_u32_e32 v110, v91, v109
	; wave barrier
	s_and_saveexec_b64 s[38:39], s[40:41]
	s_cbranch_execz .LBB2054_90
; %bb.89:                               ;   in Loop: Header=BB2054_64 Depth=2
	v_bcnt_u32_b32 v4, v21, 0
	v_bcnt_u32_b32 v4, v22, v4
	s_waitcnt lgkmcnt(0)
	v_add_u32_e32 v4, v104, v4
	ds_write_b32 v110, v4 offset:1040
.LBB2054_90:                            ;   in Loop: Header=BB2054_64 Depth=2
	s_or_b64 exec, exec, s[38:39]
	v_cmp_lt_i16_e32 vcc, -1, v107
	v_cndmask_b32_e32 v4, -1, v65, vcc
	v_xor_b32_e32 v107, v4, v107
	v_cmp_ne_u16_e32 vcc, s7, v107
	v_cndmask_b32_e32 v4, v65, v107, vcc
	v_lshrrev_b32_sdwa v4, s62, v4 dst_sel:DWORD dst_unused:UNUSED_PAD src0_sel:DWORD src1_sel:WORD_0
	v_and_b32_e32 v21, s63, v4
	v_mad_u32_u24 v4, v21, 20, v91
	; wave barrier
	ds_read_b32 v109, v4 offset:1040
	v_and_b32_e32 v4, 1, v21
	v_add_co_u32_e32 v22, vcc, -1, v4
	v_addc_co_u32_e64 v111, s[38:39], 0, -1, vcc
	v_cmp_ne_u32_e32 vcc, 0, v4
	v_xor_b32_e32 v4, vcc_hi, v111
	v_and_b32_e32 v111, exec_hi, v4
	v_lshlrev_b32_e32 v4, 30, v21
	v_xor_b32_e32 v22, vcc_lo, v22
	v_cmp_gt_i64_e32 vcc, 0, v[3:4]
	v_not_b32_e32 v4, v4
	v_ashrrev_i32_e32 v4, 31, v4
	v_and_b32_e32 v22, exec_lo, v22
	v_xor_b32_e32 v114, vcc_hi, v4
	v_xor_b32_e32 v4, vcc_lo, v4
	v_and_b32_e32 v22, v22, v4
	v_lshlrev_b32_e32 v4, 29, v21
	v_cmp_gt_i64_e32 vcc, 0, v[3:4]
	v_not_b32_e32 v4, v4
	v_ashrrev_i32_e32 v4, 31, v4
	v_and_b32_e32 v111, v111, v114
	v_xor_b32_e32 v114, vcc_hi, v4
	v_xor_b32_e32 v4, vcc_lo, v4
	v_and_b32_e32 v22, v22, v4
	v_lshlrev_b32_e32 v4, 28, v21
	v_cmp_gt_i64_e32 vcc, 0, v[3:4]
	v_not_b32_e32 v4, v4
	v_ashrrev_i32_e32 v4, 31, v4
	v_and_b32_e32 v111, v111, v114
	;; [unrolled: 8-line block ×5, first 2 shown]
	v_xor_b32_e32 v114, vcc_hi, v4
	v_xor_b32_e32 v4, vcc_lo, v4
	v_and_b32_e32 v111, v111, v114
	v_and_b32_e32 v114, v22, v4
	v_lshlrev_b32_e32 v4, 24, v21
	v_cmp_gt_i64_e32 vcc, 0, v[3:4]
	v_not_b32_e32 v4, v4
	v_ashrrev_i32_e32 v4, 31, v4
	v_mul_u32_u24_e32 v113, 20, v21
	v_xor_b32_e32 v21, vcc_hi, v4
	v_xor_b32_e32 v4, vcc_lo, v4
	v_and_b32_e32 v22, v111, v21
	v_and_b32_e32 v21, v114, v4
	v_mbcnt_lo_u32_b32 v4, v21, 0
	v_mbcnt_hi_u32_b32 v111, v22, v4
	v_cmp_ne_u64_e32 vcc, 0, v[21:22]
	v_cmp_eq_u32_e64 s[38:39], 0, v111
	s_and_b64 s[40:41], vcc, s[38:39]
	v_add_u32_e32 v114, v91, v113
	; wave barrier
	s_and_saveexec_b64 s[38:39], s[40:41]
	s_cbranch_execz .LBB2054_92
; %bb.91:                               ;   in Loop: Header=BB2054_64 Depth=2
	v_bcnt_u32_b32 v4, v21, 0
	v_bcnt_u32_b32 v4, v22, v4
	s_waitcnt lgkmcnt(0)
	v_add_u32_e32 v4, v109, v4
	ds_write_b32 v114, v4 offset:1040
.LBB2054_92:                            ;   in Loop: Header=BB2054_64 Depth=2
	s_or_b64 exec, exec, s[38:39]
	v_cmp_lt_i16_e32 vcc, -1, v112
	v_cndmask_b32_e32 v4, -1, v65, vcc
	v_xor_b32_e32 v112, v4, v112
	v_cmp_ne_u16_e32 vcc, s7, v112
	v_cndmask_b32_e32 v4, v65, v112, vcc
	v_lshrrev_b32_sdwa v4, s62, v4 dst_sel:DWORD dst_unused:UNUSED_PAD src0_sel:DWORD src1_sel:WORD_0
	v_and_b32_e32 v21, s63, v4
	v_mad_u32_u24 v4, v21, 20, v91
	; wave barrier
	ds_read_b32 v113, v4 offset:1040
	v_and_b32_e32 v4, 1, v21
	v_add_co_u32_e32 v22, vcc, -1, v4
	v_addc_co_u32_e64 v115, s[38:39], 0, -1, vcc
	v_cmp_ne_u32_e32 vcc, 0, v4
	v_xor_b32_e32 v4, vcc_hi, v115
	v_and_b32_e32 v115, exec_hi, v4
	v_lshlrev_b32_e32 v4, 30, v21
	v_xor_b32_e32 v22, vcc_lo, v22
	v_cmp_gt_i64_e32 vcc, 0, v[3:4]
	v_not_b32_e32 v4, v4
	v_ashrrev_i32_e32 v4, 31, v4
	v_and_b32_e32 v22, exec_lo, v22
	v_xor_b32_e32 v117, vcc_hi, v4
	v_xor_b32_e32 v4, vcc_lo, v4
	v_and_b32_e32 v22, v22, v4
	v_lshlrev_b32_e32 v4, 29, v21
	v_cmp_gt_i64_e32 vcc, 0, v[3:4]
	v_not_b32_e32 v4, v4
	v_ashrrev_i32_e32 v4, 31, v4
	v_and_b32_e32 v115, v115, v117
	v_xor_b32_e32 v117, vcc_hi, v4
	v_xor_b32_e32 v4, vcc_lo, v4
	v_and_b32_e32 v22, v22, v4
	v_lshlrev_b32_e32 v4, 28, v21
	v_cmp_gt_i64_e32 vcc, 0, v[3:4]
	v_not_b32_e32 v4, v4
	v_ashrrev_i32_e32 v4, 31, v4
	v_and_b32_e32 v115, v115, v117
	;; [unrolled: 8-line block ×5, first 2 shown]
	v_xor_b32_e32 v117, vcc_hi, v4
	v_xor_b32_e32 v4, vcc_lo, v4
	v_and_b32_e32 v115, v115, v117
	v_and_b32_e32 v117, v22, v4
	v_lshlrev_b32_e32 v4, 24, v21
	v_cmp_gt_i64_e32 vcc, 0, v[3:4]
	v_not_b32_e32 v4, v4
	v_ashrrev_i32_e32 v4, 31, v4
	v_mul_u32_u24_e32 v116, 20, v21
	v_xor_b32_e32 v21, vcc_hi, v4
	v_xor_b32_e32 v4, vcc_lo, v4
	v_and_b32_e32 v22, v115, v21
	v_and_b32_e32 v21, v117, v4
	v_mbcnt_lo_u32_b32 v4, v21, 0
	v_mbcnt_hi_u32_b32 v115, v22, v4
	v_cmp_ne_u64_e32 vcc, 0, v[21:22]
	v_cmp_eq_u32_e64 s[38:39], 0, v115
	s_and_b64 s[40:41], vcc, s[38:39]
	v_add_u32_e32 v118, v91, v116
	; wave barrier
	s_and_saveexec_b64 s[38:39], s[40:41]
	s_cbranch_execz .LBB2054_94
; %bb.93:                               ;   in Loop: Header=BB2054_64 Depth=2
	v_bcnt_u32_b32 v4, v21, 0
	v_bcnt_u32_b32 v4, v22, v4
	s_waitcnt lgkmcnt(0)
	v_add_u32_e32 v4, v113, v4
	ds_write_b32 v118, v4 offset:1040
.LBB2054_94:                            ;   in Loop: Header=BB2054_64 Depth=2
	s_or_b64 exec, exec, s[38:39]
	v_cmp_lt_i16_e32 vcc, -1, v108
	v_cndmask_b32_e32 v4, -1, v65, vcc
	v_xor_b32_e32 v116, v4, v108
	v_cmp_ne_u16_e32 vcc, s7, v116
	v_cndmask_b32_e32 v4, v65, v116, vcc
	v_lshrrev_b32_sdwa v4, s62, v4 dst_sel:DWORD dst_unused:UNUSED_PAD src0_sel:DWORD src1_sel:WORD_0
	v_and_b32_e32 v21, s63, v4
	v_mad_u32_u24 v4, v21, 20, v91
	; wave barrier
	ds_read_b32 v117, v4 offset:1040
	v_and_b32_e32 v4, 1, v21
	v_add_co_u32_e32 v22, vcc, -1, v4
	v_addc_co_u32_e64 v119, s[38:39], 0, -1, vcc
	v_cmp_ne_u32_e32 vcc, 0, v4
	v_xor_b32_e32 v4, vcc_hi, v119
	v_and_b32_e32 v119, exec_hi, v4
	v_lshlrev_b32_e32 v4, 30, v21
	v_xor_b32_e32 v22, vcc_lo, v22
	v_cmp_gt_i64_e32 vcc, 0, v[3:4]
	v_not_b32_e32 v4, v4
	v_ashrrev_i32_e32 v4, 31, v4
	v_and_b32_e32 v22, exec_lo, v22
	v_xor_b32_e32 v120, vcc_hi, v4
	v_xor_b32_e32 v4, vcc_lo, v4
	v_and_b32_e32 v22, v22, v4
	v_lshlrev_b32_e32 v4, 29, v21
	v_cmp_gt_i64_e32 vcc, 0, v[3:4]
	v_not_b32_e32 v4, v4
	v_ashrrev_i32_e32 v4, 31, v4
	v_and_b32_e32 v119, v119, v120
	v_xor_b32_e32 v120, vcc_hi, v4
	v_xor_b32_e32 v4, vcc_lo, v4
	v_and_b32_e32 v22, v22, v4
	v_lshlrev_b32_e32 v4, 28, v21
	v_cmp_gt_i64_e32 vcc, 0, v[3:4]
	v_not_b32_e32 v4, v4
	v_ashrrev_i32_e32 v4, 31, v4
	v_and_b32_e32 v119, v119, v120
	;; [unrolled: 8-line block ×5, first 2 shown]
	v_xor_b32_e32 v120, vcc_hi, v4
	v_xor_b32_e32 v4, vcc_lo, v4
	v_and_b32_e32 v119, v119, v120
	v_and_b32_e32 v120, v22, v4
	v_lshlrev_b32_e32 v4, 24, v21
	v_cmp_gt_i64_e32 vcc, 0, v[3:4]
	v_not_b32_e32 v4, v4
	v_ashrrev_i32_e32 v4, 31, v4
	v_mul_u32_u24_e32 v108, 20, v21
	v_xor_b32_e32 v21, vcc_hi, v4
	v_xor_b32_e32 v4, vcc_lo, v4
	v_and_b32_e32 v22, v119, v21
	v_and_b32_e32 v21, v120, v4
	v_mbcnt_lo_u32_b32 v4, v21, 0
	v_mbcnt_hi_u32_b32 v119, v22, v4
	v_cmp_ne_u64_e32 vcc, 0, v[21:22]
	v_cmp_eq_u32_e64 s[38:39], 0, v119
	s_and_b64 s[40:41], vcc, s[38:39]
	v_add_u32_e32 v108, v91, v108
	; wave barrier
	s_and_saveexec_b64 s[38:39], s[40:41]
	s_cbranch_execz .LBB2054_96
; %bb.95:                               ;   in Loop: Header=BB2054_64 Depth=2
	v_bcnt_u32_b32 v4, v21, 0
	v_bcnt_u32_b32 v4, v22, v4
	s_waitcnt lgkmcnt(0)
	v_add_u32_e32 v4, v117, v4
	ds_write_b32 v108, v4 offset:1040
.LBB2054_96:                            ;   in Loop: Header=BB2054_64 Depth=2
	s_or_b64 exec, exec, s[38:39]
	v_cmp_lt_i16_e32 vcc, -1, v24
	v_cndmask_b32_e32 v4, -1, v65, vcc
	v_xor_b32_e32 v120, v4, v24
	v_cmp_ne_u16_e32 vcc, s7, v120
	v_cndmask_b32_e32 v4, v65, v120, vcc
	v_lshrrev_b32_sdwa v4, s62, v4 dst_sel:DWORD dst_unused:UNUSED_PAD src0_sel:DWORD src1_sel:WORD_0
	v_and_b32_e32 v21, s63, v4
	v_mad_u32_u24 v4, v21, 20, v91
	; wave barrier
	ds_read_b32 v121, v4 offset:1040
	v_and_b32_e32 v4, 1, v21
	v_add_co_u32_e32 v22, vcc, -1, v4
	v_addc_co_u32_e64 v122, s[38:39], 0, -1, vcc
	v_cmp_ne_u32_e32 vcc, 0, v4
	v_xor_b32_e32 v4, vcc_hi, v122
	v_and_b32_e32 v122, exec_hi, v4
	v_lshlrev_b32_e32 v4, 30, v21
	v_xor_b32_e32 v22, vcc_lo, v22
	v_cmp_gt_i64_e32 vcc, 0, v[3:4]
	v_not_b32_e32 v4, v4
	v_ashrrev_i32_e32 v4, 31, v4
	v_and_b32_e32 v22, exec_lo, v22
	v_xor_b32_e32 v123, vcc_hi, v4
	v_xor_b32_e32 v4, vcc_lo, v4
	v_and_b32_e32 v22, v22, v4
	v_lshlrev_b32_e32 v4, 29, v21
	v_cmp_gt_i64_e32 vcc, 0, v[3:4]
	v_not_b32_e32 v4, v4
	v_ashrrev_i32_e32 v4, 31, v4
	v_and_b32_e32 v122, v122, v123
	v_xor_b32_e32 v123, vcc_hi, v4
	v_xor_b32_e32 v4, vcc_lo, v4
	v_and_b32_e32 v22, v22, v4
	v_lshlrev_b32_e32 v4, 28, v21
	v_cmp_gt_i64_e32 vcc, 0, v[3:4]
	v_not_b32_e32 v4, v4
	v_ashrrev_i32_e32 v4, 31, v4
	v_and_b32_e32 v122, v122, v123
	;; [unrolled: 8-line block ×5, first 2 shown]
	v_xor_b32_e32 v123, vcc_hi, v4
	v_xor_b32_e32 v4, vcc_lo, v4
	v_and_b32_e32 v122, v122, v123
	v_and_b32_e32 v123, v22, v4
	v_lshlrev_b32_e32 v4, 24, v21
	v_cmp_gt_i64_e32 vcc, 0, v[3:4]
	v_not_b32_e32 v4, v4
	v_ashrrev_i32_e32 v4, 31, v4
	v_mul_u32_u24_e32 v24, 20, v21
	v_xor_b32_e32 v21, vcc_hi, v4
	v_xor_b32_e32 v4, vcc_lo, v4
	v_and_b32_e32 v22, v122, v21
	v_and_b32_e32 v21, v123, v4
	v_mbcnt_lo_u32_b32 v4, v21, 0
	v_mbcnt_hi_u32_b32 v122, v22, v4
	v_cmp_ne_u64_e32 vcc, 0, v[21:22]
	v_cmp_eq_u32_e64 s[38:39], 0, v122
	s_and_b64 s[40:41], vcc, s[38:39]
	v_add_u32_e32 v125, v91, v24
	; wave barrier
	s_and_saveexec_b64 s[38:39], s[40:41]
	s_cbranch_execz .LBB2054_98
; %bb.97:                               ;   in Loop: Header=BB2054_64 Depth=2
	v_bcnt_u32_b32 v4, v21, 0
	v_bcnt_u32_b32 v4, v22, v4
	s_waitcnt lgkmcnt(0)
	v_add_u32_e32 v4, v121, v4
	ds_write_b32 v125, v4 offset:1040
.LBB2054_98:                            ;   in Loop: Header=BB2054_64 Depth=2
	s_or_b64 exec, exec, s[38:39]
	v_cmp_lt_i16_e32 vcc, -1, v23
	v_cndmask_b32_e32 v4, -1, v65, vcc
	v_xor_b32_e32 v123, v4, v23
	v_cmp_ne_u16_e32 vcc, s7, v123
	v_cndmask_b32_e32 v4, v65, v123, vcc
	v_lshrrev_b32_sdwa v4, s62, v4 dst_sel:DWORD dst_unused:UNUSED_PAD src0_sel:DWORD src1_sel:WORD_0
	v_and_b32_e32 v21, s63, v4
	v_mad_u32_u24 v4, v21, 20, v91
	; wave barrier
	ds_read_b32 v124, v4 offset:1040
	v_and_b32_e32 v4, 1, v21
	v_add_co_u32_e32 v22, vcc, -1, v4
	v_addc_co_u32_e64 v24, s[38:39], 0, -1, vcc
	v_cmp_ne_u32_e32 vcc, 0, v4
	v_xor_b32_e32 v4, vcc_hi, v24
	v_and_b32_e32 v24, exec_hi, v4
	v_lshlrev_b32_e32 v4, 30, v21
	v_xor_b32_e32 v22, vcc_lo, v22
	v_cmp_gt_i64_e32 vcc, 0, v[3:4]
	v_not_b32_e32 v4, v4
	v_ashrrev_i32_e32 v4, 31, v4
	v_and_b32_e32 v22, exec_lo, v22
	v_xor_b32_e32 v126, vcc_hi, v4
	v_xor_b32_e32 v4, vcc_lo, v4
	v_and_b32_e32 v22, v22, v4
	v_lshlrev_b32_e32 v4, 29, v21
	v_cmp_gt_i64_e32 vcc, 0, v[3:4]
	v_not_b32_e32 v4, v4
	v_ashrrev_i32_e32 v4, 31, v4
	v_and_b32_e32 v24, v24, v126
	v_xor_b32_e32 v126, vcc_hi, v4
	v_xor_b32_e32 v4, vcc_lo, v4
	v_and_b32_e32 v22, v22, v4
	v_lshlrev_b32_e32 v4, 28, v21
	v_cmp_gt_i64_e32 vcc, 0, v[3:4]
	v_not_b32_e32 v4, v4
	v_ashrrev_i32_e32 v4, 31, v4
	v_and_b32_e32 v24, v24, v126
	;; [unrolled: 8-line block ×5, first 2 shown]
	v_xor_b32_e32 v126, vcc_hi, v4
	v_xor_b32_e32 v4, vcc_lo, v4
	v_and_b32_e32 v24, v24, v126
	v_and_b32_e32 v126, v22, v4
	v_lshlrev_b32_e32 v4, 24, v21
	v_cmp_gt_i64_e32 vcc, 0, v[3:4]
	v_not_b32_e32 v4, v4
	v_ashrrev_i32_e32 v4, 31, v4
	v_mul_u32_u24_e32 v23, 20, v21
	v_xor_b32_e32 v21, vcc_hi, v4
	v_xor_b32_e32 v4, vcc_lo, v4
	v_and_b32_e32 v22, v24, v21
	v_and_b32_e32 v21, v126, v4
	v_mbcnt_lo_u32_b32 v4, v21, 0
	v_mbcnt_hi_u32_b32 v126, v22, v4
	v_cmp_ne_u64_e32 vcc, 0, v[21:22]
	v_cmp_eq_u32_e64 s[38:39], 0, v126
	s_and_b64 s[40:41], vcc, s[38:39]
	v_add_u32_e32 v4, v91, v23
	; wave barrier
	s_and_saveexec_b64 s[38:39], s[40:41]
	s_cbranch_execz .LBB2054_100
; %bb.99:                               ;   in Loop: Header=BB2054_64 Depth=2
	v_bcnt_u32_b32 v21, v21, 0
	v_bcnt_u32_b32 v21, v22, v21
	s_waitcnt lgkmcnt(0)
	v_add_u32_e32 v21, v124, v21
	ds_write_b32 v4, v21 offset:1040
.LBB2054_100:                           ;   in Loop: Header=BB2054_64 Depth=2
	s_or_b64 exec, exec, s[38:39]
	; wave barrier
	s_waitcnt lgkmcnt(0)
	s_barrier
	ds_read2_b32 v[23:24], v62 offset1:1
	ds_read2_b32 v[21:22], v63 offset1:1
	ds_read_b32 v127, v41 offset:1056
	s_waitcnt lgkmcnt(1)
	v_add3_u32 v128, v24, v23, v21
	s_waitcnt lgkmcnt(0)
	v_add3_u32 v127, v128, v22, v127
	s_nop 1
	v_mov_b32_dpp v128, v127 row_shr:1 row_mask:0xf bank_mask:0xf
	v_cndmask_b32_e64 v128, v128, 0, s[18:19]
	v_add_u32_e32 v127, v128, v127
	s_nop 1
	v_mov_b32_dpp v128, v127 row_shr:2 row_mask:0xf bank_mask:0xf
	v_cndmask_b32_e64 v128, 0, v128, s[20:21]
	v_add_u32_e32 v127, v127, v128
	;; [unrolled: 4-line block ×4, first 2 shown]
	s_nop 1
	v_mov_b32_dpp v128, v127 row_bcast:15 row_mask:0xf bank_mask:0xf
	v_cndmask_b32_e64 v128, v128, 0, s[26:27]
	v_add_u32_e32 v127, v127, v128
	s_nop 1
	v_mov_b32_dpp v128, v127 row_bcast:31 row_mask:0xf bank_mask:0xf
	v_cndmask_b32_e64 v128, 0, v128, s[28:29]
	v_add_u32_e32 v127, v127, v128
	s_and_saveexec_b64 s[38:39], s[8:9]
; %bb.101:                              ;   in Loop: Header=BB2054_64 Depth=2
	ds_write_b32 v37, v127 offset:1024
; %bb.102:                              ;   in Loop: Header=BB2054_64 Depth=2
	s_or_b64 exec, exec, s[38:39]
	s_waitcnt lgkmcnt(0)
	s_barrier
	s_and_saveexec_b64 s[38:39], s[10:11]
	s_cbranch_execz .LBB2054_104
; %bb.103:                              ;   in Loop: Header=BB2054_64 Depth=2
	ds_read_b32 v128, v42 offset:1024
	s_waitcnt lgkmcnt(0)
	s_nop 0
	v_mov_b32_dpp v129, v128 row_shr:1 row_mask:0xf bank_mask:0xf
	v_cndmask_b32_e64 v129, v129, 0, s[34:35]
	v_add_u32_e32 v128, v129, v128
	s_nop 1
	v_mov_b32_dpp v129, v128 row_shr:2 row_mask:0xf bank_mask:0xf
	v_cndmask_b32_e64 v129, 0, v129, s[36:37]
	v_add_u32_e32 v128, v128, v129
	ds_write_b32 v42, v128 offset:1024
.LBB2054_104:                           ;   in Loop: Header=BB2054_64 Depth=2
	s_or_b64 exec, exec, s[38:39]
	v_mov_b32_e32 v128, 0
	s_waitcnt lgkmcnt(0)
	s_barrier
	s_and_saveexec_b64 s[38:39], s[12:13]
; %bb.105:                              ;   in Loop: Header=BB2054_64 Depth=2
	ds_read_b32 v128, v37 offset:1020
; %bb.106:                              ;   in Loop: Header=BB2054_64 Depth=2
	s_or_b64 exec, exec, s[38:39]
	s_waitcnt lgkmcnt(0)
	v_add_u32_e32 v127, v128, v127
	ds_bpermute_b32 v127, v82, v127
	s_waitcnt lgkmcnt(0)
	v_cndmask_b32_e64 v127, v127, v128, s[30:31]
	v_cndmask_b32_e64 v127, v127, 0, s[14:15]
	v_add_u32_e32 v23, v127, v23
	v_add_u32_e32 v24, v23, v24
	;; [unrolled: 1-line block ×4, first 2 shown]
	ds_write2_b32 v62, v127, v23 offset1:1
	ds_write2_b32 v63, v24, v21 offset1:1
	ds_write_b32 v41, v22 offset:1056
	s_waitcnt lgkmcnt(0)
	s_barrier
	ds_read_b32 v21, v101 offset:1040
	ds_read_b32 v22, v105 offset:1040
	;; [unrolled: 1-line block ×9, first 2 shown]
	v_mov_b32_e32 v4, 0x800
	s_and_saveexec_b64 s[38:39], s[16:17]
; %bb.107:                              ;   in Loop: Header=BB2054_64 Depth=2
	ds_read_b32 v4, v41 offset:1060
; %bb.108:                              ;   in Loop: Header=BB2054_64 Depth=2
	s_or_b64 exec, exec, s[38:39]
	s_waitcnt lgkmcnt(0)
	s_barrier
	s_and_saveexec_b64 s[38:39], s[4:5]
	s_cbranch_execz .LBB2054_110
; %bb.109:                              ;   in Loop: Header=BB2054_64 Depth=2
	ds_read_b32 v105, v25
	s_waitcnt lgkmcnt(0)
	v_sub_u32_e32 v101, v105, v101
	ds_write_b32 v25, v101
.LBB2054_110:                           ;   in Loop: Header=BB2054_64 Depth=2
	s_or_b64 exec, exec, s[38:39]
	v_add_u32_e32 v108, v21, v98
	v_add3_u32 v105, v102, v100, v22
	v_lshlrev_b32_e32 v21, 1, v108
	v_add3_u32 v102, v106, v104, v23
	ds_write_b16 v21, v97 offset:1024
	v_lshlrev_b32_e32 v21, 1, v105
	v_add3_u32 v101, v111, v109, v24
	ds_write_b16 v21, v99 offset:1024
	;; [unrolled: 3-line block ×6, first 2 shown]
	v_lshlrev_b32_e32 v21, 1, v24
	ds_write_b16 v21, v120 offset:1024
	v_lshlrev_b32_e32 v21, 1, v23
	v_cmp_lt_u32_e32 vcc, v0, v96
	ds_write_b16 v21, v123 offset:1024
	s_waitcnt lgkmcnt(0)
	s_barrier
	s_and_saveexec_b64 s[40:41], vcc
	s_cbranch_execnz .LBB2054_147
; %bb.111:                              ;   in Loop: Header=BB2054_64 Depth=2
	s_or_b64 exec, exec, s[40:41]
	v_cmp_lt_u32_e64 s[38:39], v26, v96
	s_and_saveexec_b64 s[42:43], s[38:39]
	s_cbranch_execnz .LBB2054_148
.LBB2054_112:                           ;   in Loop: Header=BB2054_64 Depth=2
	s_or_b64 exec, exec, s[42:43]
	v_cmp_lt_u32_e64 s[40:41], v27, v96
	s_and_saveexec_b64 s[44:45], s[40:41]
	s_cbranch_execnz .LBB2054_149
.LBB2054_113:                           ;   in Loop: Header=BB2054_64 Depth=2
	s_or_b64 exec, exec, s[44:45]
	v_cmp_lt_u32_e64 s[42:43], v28, v96
	s_and_saveexec_b64 s[46:47], s[42:43]
	s_cbranch_execnz .LBB2054_150
.LBB2054_114:                           ;   in Loop: Header=BB2054_64 Depth=2
	s_or_b64 exec, exec, s[46:47]
	v_cmp_lt_u32_e64 s[44:45], v31, v96
	s_and_saveexec_b64 s[48:49], s[44:45]
	s_cbranch_execnz .LBB2054_151
.LBB2054_115:                           ;   in Loop: Header=BB2054_64 Depth=2
	s_or_b64 exec, exec, s[48:49]
	v_cmp_lt_u32_e64 s[46:47], v32, v96
	s_and_saveexec_b64 s[50:51], s[46:47]
	s_cbranch_execnz .LBB2054_152
.LBB2054_116:                           ;   in Loop: Header=BB2054_64 Depth=2
	s_or_b64 exec, exec, s[50:51]
	v_cmp_lt_u32_e64 s[48:49], v33, v96
	s_and_saveexec_b64 s[52:53], s[48:49]
	s_cbranch_execnz .LBB2054_153
.LBB2054_117:                           ;   in Loop: Header=BB2054_64 Depth=2
	s_or_b64 exec, exec, s[52:53]
	v_cmp_lt_u32_e64 s[50:51], v34, v96
	s_and_saveexec_b64 s[60:61], s[50:51]
	s_cbranch_execz .LBB2054_119
.LBB2054_118:                           ;   in Loop: Header=BB2054_64 Depth=2
	ds_read_u16 v21, v47 offset:4608
	v_mov_b32_e32 v22, v3
	v_mov_b32_e32 v99, s67
	s_waitcnt lgkmcnt(0)
	v_cmp_ne_u16_e64 s[52:53], s7, v21
	v_cndmask_b32_e64 v97, v65, v21, s[52:53]
	v_lshrrev_b32_sdwa v97, s62, v97 dst_sel:DWORD dst_unused:UNUSED_PAD src0_sel:DWORD src1_sel:WORD_0
	v_and_b32_e32 v97, s63, v97
	v_lshlrev_b32_e32 v97, 2, v97
	ds_read_b32 v97, v97
	v_cmp_lt_i16_e64 s[52:53], -1, v21
	v_cndmask_b32_e64 v103, v65, -1, s[52:53]
	v_xor_b32_e32 v103, v103, v21
	s_waitcnt lgkmcnt(0)
	v_add_u32_e32 v21, v97, v34
	v_lshlrev_b64 v[21:22], 1, v[21:22]
	v_add_co_u32_e64 v21, s[52:53], s66, v21
	v_addc_co_u32_e64 v22, s[52:53], v99, v22, s[52:53]
	global_store_short v[21:22], v103, off
.LBB2054_119:                           ;   in Loop: Header=BB2054_64 Depth=2
	s_or_b64 exec, exec, s[60:61]
	s_lshl_b64 s[52:53], s[58:59], 3
	v_mov_b32_e32 v22, s53
	v_add_co_u32_e64 v21, s[52:53], s52, v83
	v_addc_co_u32_e64 v22, s[52:53], v84, v22, s[52:53]
	v_cmp_lt_u32_e64 s[52:53], v73, v96
	s_and_saveexec_b64 s[60:61], s[52:53]
	s_xor_b64 s[52:53], exec, s[60:61]
	s_cbranch_execnz .LBB2054_154
; %bb.120:                              ;   in Loop: Header=BB2054_64 Depth=2
	s_or_b64 exec, exec, s[52:53]
	v_cmp_lt_u32_e64 s[52:53], v74, v96
	s_and_saveexec_b64 s[60:61], s[52:53]
	s_cbranch_execnz .LBB2054_155
.LBB2054_121:                           ;   in Loop: Header=BB2054_64 Depth=2
	s_or_b64 exec, exec, s[60:61]
	v_cmp_lt_u32_e64 s[52:53], v75, v96
	s_and_saveexec_b64 s[60:61], s[52:53]
	s_cbranch_execnz .LBB2054_156
.LBB2054_122:                           ;   in Loop: Header=BB2054_64 Depth=2
	s_or_b64 exec, exec, s[60:61]
	v_cmp_lt_u32_e64 s[52:53], v76, v96
	s_and_saveexec_b64 s[60:61], s[52:53]
	s_cbranch_execnz .LBB2054_157
.LBB2054_123:                           ;   in Loop: Header=BB2054_64 Depth=2
	s_or_b64 exec, exec, s[60:61]
	v_cmp_lt_u32_e64 s[52:53], v77, v96
	s_and_saveexec_b64 s[60:61], s[52:53]
	s_cbranch_execnz .LBB2054_158
.LBB2054_124:                           ;   in Loop: Header=BB2054_64 Depth=2
	s_or_b64 exec, exec, s[60:61]
	v_cmp_lt_u32_e64 s[52:53], v78, v96
	s_and_saveexec_b64 s[60:61], s[52:53]
	s_cbranch_execnz .LBB2054_159
.LBB2054_125:                           ;   in Loop: Header=BB2054_64 Depth=2
	s_or_b64 exec, exec, s[60:61]
	v_cmp_lt_u32_e64 s[52:53], v79, v96
	s_and_saveexec_b64 s[60:61], s[52:53]
	s_cbranch_execnz .LBB2054_160
.LBB2054_126:                           ;   in Loop: Header=BB2054_64 Depth=2
	s_or_b64 exec, exec, s[60:61]
	v_cmp_lt_u32_e64 s[52:53], v80, v96
	s_and_saveexec_b64 s[60:61], s[52:53]
	s_cbranch_execnz .LBB2054_161
.LBB2054_127:                           ;   in Loop: Header=BB2054_64 Depth=2
	s_or_b64 exec, exec, s[60:61]
	s_and_saveexec_b64 s[60:61], vcc
	s_cbranch_execnz .LBB2054_162
.LBB2054_128:                           ;   in Loop: Header=BB2054_64 Depth=2
	s_or_b64 exec, exec, s[60:61]
	s_and_saveexec_b64 s[60:61], s[38:39]
	s_cbranch_execnz .LBB2054_163
.LBB2054_129:                           ;   in Loop: Header=BB2054_64 Depth=2
	s_or_b64 exec, exec, s[60:61]
	s_and_saveexec_b64 s[60:61], s[40:41]
	s_cbranch_execnz .LBB2054_164
.LBB2054_130:                           ;   in Loop: Header=BB2054_64 Depth=2
	s_or_b64 exec, exec, s[60:61]
	s_and_saveexec_b64 s[60:61], s[42:43]
	s_cbranch_execnz .LBB2054_165
.LBB2054_131:                           ;   in Loop: Header=BB2054_64 Depth=2
	s_or_b64 exec, exec, s[60:61]
	s_and_saveexec_b64 s[60:61], s[44:45]
	s_cbranch_execnz .LBB2054_166
.LBB2054_132:                           ;   in Loop: Header=BB2054_64 Depth=2
	s_or_b64 exec, exec, s[60:61]
	s_and_saveexec_b64 s[60:61], s[46:47]
	s_cbranch_execnz .LBB2054_167
.LBB2054_133:                           ;   in Loop: Header=BB2054_64 Depth=2
	s_or_b64 exec, exec, s[60:61]
	s_and_saveexec_b64 s[60:61], s[48:49]
	s_cbranch_execnz .LBB2054_168
.LBB2054_134:                           ;   in Loop: Header=BB2054_64 Depth=2
	s_or_b64 exec, exec, s[60:61]
	s_and_saveexec_b64 s[60:61], s[50:51]
	s_cbranch_execz .LBB2054_136
.LBB2054_135:                           ;   in Loop: Header=BB2054_64 Depth=2
	ds_read_u16 v21, v47 offset:4608
	s_waitcnt lgkmcnt(0)
	v_cmp_ne_u16_e64 s[52:53], s7, v21
	v_cndmask_b32_e64 v21, v65, v21, s[52:53]
	v_lshrrev_b32_sdwa v21, s62, v21 dst_sel:DWORD dst_unused:UNUSED_PAD src0_sel:DWORD src1_sel:WORD_0
	v_and_b32_e32 v87, s63, v21
.LBB2054_136:                           ;   in Loop: Header=BB2054_64 Depth=2
	s_or_b64 exec, exec, s[60:61]
	v_lshlrev_b32_e32 v21, 3, v108
	s_waitcnt vmcnt(0)
	s_barrier
	ds_write_b64 v21, v[19:20] offset:1024
	v_lshlrev_b32_e32 v21, 3, v105
	ds_write_b64 v21, v[17:18] offset:1024
	v_lshlrev_b32_e32 v21, 3, v102
	;; [unrolled: 2-line block ×7, first 2 shown]
	ds_write_b64 v21, v[5:6] offset:1024
	s_waitcnt lgkmcnt(0)
	s_barrier
	s_and_saveexec_b64 s[52:53], vcc
	s_cbranch_execnz .LBB2054_169
; %bb.137:                              ;   in Loop: Header=BB2054_64 Depth=2
	s_or_b64 exec, exec, s[52:53]
	s_and_saveexec_b64 s[52:53], s[38:39]
	s_cbranch_execnz .LBB2054_170
.LBB2054_138:                           ;   in Loop: Header=BB2054_64 Depth=2
	s_or_b64 exec, exec, s[52:53]
	s_and_saveexec_b64 s[38:39], s[40:41]
	s_cbranch_execnz .LBB2054_171
.LBB2054_139:                           ;   in Loop: Header=BB2054_64 Depth=2
	s_or_b64 exec, exec, s[38:39]
	s_and_saveexec_b64 s[38:39], s[42:43]
	s_cbranch_execnz .LBB2054_172
.LBB2054_140:                           ;   in Loop: Header=BB2054_64 Depth=2
	s_or_b64 exec, exec, s[38:39]
	s_and_saveexec_b64 s[38:39], s[44:45]
	s_cbranch_execnz .LBB2054_173
.LBB2054_141:                           ;   in Loop: Header=BB2054_64 Depth=2
	s_or_b64 exec, exec, s[38:39]
	s_and_saveexec_b64 s[38:39], s[46:47]
	s_cbranch_execnz .LBB2054_174
.LBB2054_142:                           ;   in Loop: Header=BB2054_64 Depth=2
	s_or_b64 exec, exec, s[38:39]
	s_and_saveexec_b64 s[38:39], s[48:49]
	s_cbranch_execnz .LBB2054_175
.LBB2054_143:                           ;   in Loop: Header=BB2054_64 Depth=2
	s_or_b64 exec, exec, s[38:39]
	s_and_saveexec_b64 s[38:39], s[50:51]
	s_cbranch_execz .LBB2054_145
.LBB2054_144:                           ;   in Loop: Header=BB2054_64 Depth=2
	v_lshlrev_b32_e32 v21, 2, v87
	ds_read_b32 v23, v21
	v_add_u32_e32 v21, v47, v48
	ds_read_b64 v[21:22], v21 offset:15360
	v_mov_b32_e32 v24, v3
	v_mov_b32_e32 v96, s73
	s_waitcnt lgkmcnt(1)
	v_add_u32_e32 v23, v23, v34
	v_lshlrev_b64 v[23:24], 3, v[23:24]
	v_add_co_u32_e32 v23, vcc, s72, v23
	v_addc_co_u32_e32 v24, vcc, v96, v24, vcc
	s_waitcnt lgkmcnt(0)
	global_store_dwordx2 v[23:24], v[21:22], off
.LBB2054_145:                           ;   in Loop: Header=BB2054_64 Depth=2
	s_or_b64 exec, exec, s[38:39]
	s_waitcnt vmcnt(0)
	s_barrier
	s_and_saveexec_b64 s[38:39], s[4:5]
	s_cbranch_execz .LBB2054_63
; %bb.146:                              ;   in Loop: Header=BB2054_64 Depth=2
	ds_read_b32 v21, v25
	s_waitcnt lgkmcnt(0)
	v_add_u32_e32 v4, v21, v4
	ds_write_b32 v25, v4
	s_branch .LBB2054_63
.LBB2054_147:                           ;   in Loop: Header=BB2054_64 Depth=2
	ds_read_u16 v21, v47 offset:1024
	v_mov_b32_e32 v22, v3
	v_mov_b32_e32 v99, s67
	s_waitcnt lgkmcnt(0)
	v_cmp_ne_u16_e64 s[38:39], s7, v21
	v_cndmask_b32_e64 v97, v65, v21, s[38:39]
	v_lshrrev_b32_sdwa v97, s62, v97 dst_sel:DWORD dst_unused:UNUSED_PAD src0_sel:DWORD src1_sel:WORD_0
	v_and_b32_e32 v97, s63, v97
	v_lshlrev_b32_e32 v97, 2, v97
	ds_read_b32 v97, v97
	v_cmp_lt_i16_e64 s[38:39], -1, v21
	v_cndmask_b32_e64 v103, v65, -1, s[38:39]
	v_xor_b32_e32 v103, v103, v21
	s_waitcnt lgkmcnt(0)
	v_add_u32_e32 v21, v97, v0
	v_lshlrev_b64 v[21:22], 1, v[21:22]
	v_add_co_u32_e64 v21, s[38:39], s66, v21
	v_addc_co_u32_e64 v22, s[38:39], v99, v22, s[38:39]
	global_store_short v[21:22], v103, off
	s_or_b64 exec, exec, s[40:41]
	v_cmp_lt_u32_e64 s[38:39], v26, v96
	s_and_saveexec_b64 s[42:43], s[38:39]
	s_cbranch_execz .LBB2054_112
.LBB2054_148:                           ;   in Loop: Header=BB2054_64 Depth=2
	ds_read_u16 v21, v47 offset:1536
	v_mov_b32_e32 v22, v3
	v_mov_b32_e32 v99, s67
	s_waitcnt lgkmcnt(0)
	v_cmp_ne_u16_e64 s[40:41], s7, v21
	v_cndmask_b32_e64 v97, v65, v21, s[40:41]
	v_lshrrev_b32_sdwa v97, s62, v97 dst_sel:DWORD dst_unused:UNUSED_PAD src0_sel:DWORD src1_sel:WORD_0
	v_and_b32_e32 v97, s63, v97
	v_lshlrev_b32_e32 v97, 2, v97
	ds_read_b32 v97, v97
	v_cmp_lt_i16_e64 s[40:41], -1, v21
	v_cndmask_b32_e64 v103, v65, -1, s[40:41]
	v_xor_b32_e32 v103, v103, v21
	s_waitcnt lgkmcnt(0)
	v_add_u32_e32 v21, v97, v26
	v_lshlrev_b64 v[21:22], 1, v[21:22]
	v_add_co_u32_e64 v21, s[40:41], s66, v21
	v_addc_co_u32_e64 v22, s[40:41], v99, v22, s[40:41]
	global_store_short v[21:22], v103, off
	s_or_b64 exec, exec, s[42:43]
	v_cmp_lt_u32_e64 s[40:41], v27, v96
	s_and_saveexec_b64 s[44:45], s[40:41]
	s_cbranch_execz .LBB2054_113
.LBB2054_149:                           ;   in Loop: Header=BB2054_64 Depth=2
	ds_read_u16 v21, v47 offset:2048
	v_mov_b32_e32 v22, v3
	v_mov_b32_e32 v99, s67
	s_waitcnt lgkmcnt(0)
	v_cmp_ne_u16_e64 s[42:43], s7, v21
	v_cndmask_b32_e64 v97, v65, v21, s[42:43]
	v_lshrrev_b32_sdwa v97, s62, v97 dst_sel:DWORD dst_unused:UNUSED_PAD src0_sel:DWORD src1_sel:WORD_0
	v_and_b32_e32 v97, s63, v97
	v_lshlrev_b32_e32 v97, 2, v97
	ds_read_b32 v97, v97
	v_cmp_lt_i16_e64 s[42:43], -1, v21
	v_cndmask_b32_e64 v103, v65, -1, s[42:43]
	v_xor_b32_e32 v103, v103, v21
	s_waitcnt lgkmcnt(0)
	v_add_u32_e32 v21, v97, v27
	v_lshlrev_b64 v[21:22], 1, v[21:22]
	v_add_co_u32_e64 v21, s[42:43], s66, v21
	v_addc_co_u32_e64 v22, s[42:43], v99, v22, s[42:43]
	global_store_short v[21:22], v103, off
	s_or_b64 exec, exec, s[44:45]
	v_cmp_lt_u32_e64 s[42:43], v28, v96
	s_and_saveexec_b64 s[46:47], s[42:43]
	s_cbranch_execz .LBB2054_114
.LBB2054_150:                           ;   in Loop: Header=BB2054_64 Depth=2
	ds_read_u16 v21, v47 offset:2560
	v_mov_b32_e32 v22, v3
	v_mov_b32_e32 v99, s67
	s_waitcnt lgkmcnt(0)
	v_cmp_ne_u16_e64 s[44:45], s7, v21
	v_cndmask_b32_e64 v97, v65, v21, s[44:45]
	v_lshrrev_b32_sdwa v97, s62, v97 dst_sel:DWORD dst_unused:UNUSED_PAD src0_sel:DWORD src1_sel:WORD_0
	v_and_b32_e32 v97, s63, v97
	v_lshlrev_b32_e32 v97, 2, v97
	ds_read_b32 v97, v97
	v_cmp_lt_i16_e64 s[44:45], -1, v21
	v_cndmask_b32_e64 v103, v65, -1, s[44:45]
	v_xor_b32_e32 v103, v103, v21
	s_waitcnt lgkmcnt(0)
	v_add_u32_e32 v21, v97, v28
	v_lshlrev_b64 v[21:22], 1, v[21:22]
	v_add_co_u32_e64 v21, s[44:45], s66, v21
	v_addc_co_u32_e64 v22, s[44:45], v99, v22, s[44:45]
	global_store_short v[21:22], v103, off
	s_or_b64 exec, exec, s[46:47]
	v_cmp_lt_u32_e64 s[44:45], v31, v96
	s_and_saveexec_b64 s[48:49], s[44:45]
	s_cbranch_execz .LBB2054_115
.LBB2054_151:                           ;   in Loop: Header=BB2054_64 Depth=2
	ds_read_u16 v21, v47 offset:3072
	v_mov_b32_e32 v22, v3
	v_mov_b32_e32 v99, s67
	s_waitcnt lgkmcnt(0)
	v_cmp_ne_u16_e64 s[46:47], s7, v21
	v_cndmask_b32_e64 v97, v65, v21, s[46:47]
	v_lshrrev_b32_sdwa v97, s62, v97 dst_sel:DWORD dst_unused:UNUSED_PAD src0_sel:DWORD src1_sel:WORD_0
	v_and_b32_e32 v97, s63, v97
	v_lshlrev_b32_e32 v97, 2, v97
	ds_read_b32 v97, v97
	v_cmp_lt_i16_e64 s[46:47], -1, v21
	v_cndmask_b32_e64 v103, v65, -1, s[46:47]
	v_xor_b32_e32 v103, v103, v21
	s_waitcnt lgkmcnt(0)
	v_add_u32_e32 v21, v97, v31
	v_lshlrev_b64 v[21:22], 1, v[21:22]
	v_add_co_u32_e64 v21, s[46:47], s66, v21
	v_addc_co_u32_e64 v22, s[46:47], v99, v22, s[46:47]
	global_store_short v[21:22], v103, off
	s_or_b64 exec, exec, s[48:49]
	v_cmp_lt_u32_e64 s[46:47], v32, v96
	s_and_saveexec_b64 s[50:51], s[46:47]
	s_cbranch_execz .LBB2054_116
.LBB2054_152:                           ;   in Loop: Header=BB2054_64 Depth=2
	ds_read_u16 v21, v47 offset:3584
	v_mov_b32_e32 v22, v3
	v_mov_b32_e32 v99, s67
	s_waitcnt lgkmcnt(0)
	v_cmp_ne_u16_e64 s[48:49], s7, v21
	v_cndmask_b32_e64 v97, v65, v21, s[48:49]
	v_lshrrev_b32_sdwa v97, s62, v97 dst_sel:DWORD dst_unused:UNUSED_PAD src0_sel:DWORD src1_sel:WORD_0
	v_and_b32_e32 v97, s63, v97
	v_lshlrev_b32_e32 v97, 2, v97
	ds_read_b32 v97, v97
	v_cmp_lt_i16_e64 s[48:49], -1, v21
	v_cndmask_b32_e64 v103, v65, -1, s[48:49]
	v_xor_b32_e32 v103, v103, v21
	s_waitcnt lgkmcnt(0)
	v_add_u32_e32 v21, v97, v32
	v_lshlrev_b64 v[21:22], 1, v[21:22]
	v_add_co_u32_e64 v21, s[48:49], s66, v21
	v_addc_co_u32_e64 v22, s[48:49], v99, v22, s[48:49]
	global_store_short v[21:22], v103, off
	s_or_b64 exec, exec, s[50:51]
	v_cmp_lt_u32_e64 s[48:49], v33, v96
	s_and_saveexec_b64 s[52:53], s[48:49]
	s_cbranch_execz .LBB2054_117
.LBB2054_153:                           ;   in Loop: Header=BB2054_64 Depth=2
	ds_read_u16 v21, v47 offset:4096
	v_mov_b32_e32 v22, v3
	v_mov_b32_e32 v99, s67
	s_waitcnt lgkmcnt(0)
	v_cmp_ne_u16_e64 s[50:51], s7, v21
	v_cndmask_b32_e64 v97, v65, v21, s[50:51]
	v_lshrrev_b32_sdwa v97, s62, v97 dst_sel:DWORD dst_unused:UNUSED_PAD src0_sel:DWORD src1_sel:WORD_0
	v_and_b32_e32 v97, s63, v97
	v_lshlrev_b32_e32 v97, 2, v97
	ds_read_b32 v97, v97
	v_cmp_lt_i16_e64 s[50:51], -1, v21
	v_cndmask_b32_e64 v103, v65, -1, s[50:51]
	v_xor_b32_e32 v103, v103, v21
	s_waitcnt lgkmcnt(0)
	v_add_u32_e32 v21, v97, v33
	v_lshlrev_b64 v[21:22], 1, v[21:22]
	v_add_co_u32_e64 v21, s[50:51], s66, v21
	v_addc_co_u32_e64 v22, s[50:51], v99, v22, s[50:51]
	global_store_short v[21:22], v103, off
	s_or_b64 exec, exec, s[52:53]
	v_cmp_lt_u32_e64 s[50:51], v34, v96
	s_and_saveexec_b64 s[60:61], s[50:51]
	s_cbranch_execnz .LBB2054_118
	s_branch .LBB2054_119
.LBB2054_154:                           ;   in Loop: Header=BB2054_64 Depth=2
	global_load_dwordx2 v[19:20], v[21:22], off
	s_or_b64 exec, exec, s[52:53]
	v_cmp_lt_u32_e64 s[52:53], v74, v96
	s_and_saveexec_b64 s[60:61], s[52:53]
	s_cbranch_execz .LBB2054_121
.LBB2054_155:                           ;   in Loop: Header=BB2054_64 Depth=2
	global_load_dwordx2 v[17:18], v[21:22], off offset:512
	s_or_b64 exec, exec, s[60:61]
	v_cmp_lt_u32_e64 s[52:53], v75, v96
	s_and_saveexec_b64 s[60:61], s[52:53]
	s_cbranch_execz .LBB2054_122
.LBB2054_156:                           ;   in Loop: Header=BB2054_64 Depth=2
	global_load_dwordx2 v[15:16], v[21:22], off offset:1024
	s_or_b64 exec, exec, s[60:61]
	v_cmp_lt_u32_e64 s[52:53], v76, v96
	s_and_saveexec_b64 s[60:61], s[52:53]
	s_cbranch_execz .LBB2054_123
.LBB2054_157:                           ;   in Loop: Header=BB2054_64 Depth=2
	global_load_dwordx2 v[13:14], v[21:22], off offset:1536
	s_or_b64 exec, exec, s[60:61]
	v_cmp_lt_u32_e64 s[52:53], v77, v96
	s_and_saveexec_b64 s[60:61], s[52:53]
	s_cbranch_execz .LBB2054_124
.LBB2054_158:                           ;   in Loop: Header=BB2054_64 Depth=2
	global_load_dwordx2 v[11:12], v[21:22], off offset:2048
	s_or_b64 exec, exec, s[60:61]
	v_cmp_lt_u32_e64 s[52:53], v78, v96
	s_and_saveexec_b64 s[60:61], s[52:53]
	s_cbranch_execz .LBB2054_125
.LBB2054_159:                           ;   in Loop: Header=BB2054_64 Depth=2
	global_load_dwordx2 v[9:10], v[21:22], off offset:2560
	s_or_b64 exec, exec, s[60:61]
	v_cmp_lt_u32_e64 s[52:53], v79, v96
	s_and_saveexec_b64 s[60:61], s[52:53]
	s_cbranch_execz .LBB2054_126
.LBB2054_160:                           ;   in Loop: Header=BB2054_64 Depth=2
	global_load_dwordx2 v[7:8], v[21:22], off offset:3072
	s_or_b64 exec, exec, s[60:61]
	v_cmp_lt_u32_e64 s[52:53], v80, v96
	s_and_saveexec_b64 s[60:61], s[52:53]
	s_cbranch_execz .LBB2054_127
.LBB2054_161:                           ;   in Loop: Header=BB2054_64 Depth=2
	global_load_dwordx2 v[5:6], v[21:22], off offset:3584
	s_or_b64 exec, exec, s[60:61]
	s_and_saveexec_b64 s[60:61], vcc
	s_cbranch_execz .LBB2054_128
.LBB2054_162:                           ;   in Loop: Header=BB2054_64 Depth=2
	ds_read_u16 v21, v47 offset:1024
	s_waitcnt lgkmcnt(0)
	v_cmp_ne_u16_e64 s[52:53], s7, v21
	v_cndmask_b32_e64 v21, v65, v21, s[52:53]
	v_lshrrev_b32_sdwa v21, s62, v21 dst_sel:DWORD dst_unused:UNUSED_PAD src0_sel:DWORD src1_sel:WORD_0
	v_and_b32_e32 v95, s63, v21
	s_or_b64 exec, exec, s[60:61]
	s_and_saveexec_b64 s[60:61], s[38:39]
	s_cbranch_execz .LBB2054_129
.LBB2054_163:                           ;   in Loop: Header=BB2054_64 Depth=2
	ds_read_u16 v21, v47 offset:1536
	s_waitcnt lgkmcnt(0)
	v_cmp_ne_u16_e64 s[52:53], s7, v21
	v_cndmask_b32_e64 v21, v65, v21, s[52:53]
	v_lshrrev_b32_sdwa v21, s62, v21 dst_sel:DWORD dst_unused:UNUSED_PAD src0_sel:DWORD src1_sel:WORD_0
	v_and_b32_e32 v94, s63, v21
	s_or_b64 exec, exec, s[60:61]
	s_and_saveexec_b64 s[60:61], s[40:41]
	s_cbranch_execz .LBB2054_130
.LBB2054_164:                           ;   in Loop: Header=BB2054_64 Depth=2
	ds_read_u16 v21, v47 offset:2048
	s_waitcnt lgkmcnt(0)
	v_cmp_ne_u16_e64 s[52:53], s7, v21
	v_cndmask_b32_e64 v21, v65, v21, s[52:53]
	v_lshrrev_b32_sdwa v21, s62, v21 dst_sel:DWORD dst_unused:UNUSED_PAD src0_sel:DWORD src1_sel:WORD_0
	v_and_b32_e32 v93, s63, v21
	s_or_b64 exec, exec, s[60:61]
	s_and_saveexec_b64 s[60:61], s[42:43]
	s_cbranch_execz .LBB2054_131
.LBB2054_165:                           ;   in Loop: Header=BB2054_64 Depth=2
	ds_read_u16 v21, v47 offset:2560
	s_waitcnt lgkmcnt(0)
	v_cmp_ne_u16_e64 s[52:53], s7, v21
	v_cndmask_b32_e64 v21, v65, v21, s[52:53]
	v_lshrrev_b32_sdwa v21, s62, v21 dst_sel:DWORD dst_unused:UNUSED_PAD src0_sel:DWORD src1_sel:WORD_0
	v_and_b32_e32 v92, s63, v21
	s_or_b64 exec, exec, s[60:61]
	s_and_saveexec_b64 s[60:61], s[44:45]
	s_cbranch_execz .LBB2054_132
.LBB2054_166:                           ;   in Loop: Header=BB2054_64 Depth=2
	ds_read_u16 v21, v47 offset:3072
	s_waitcnt lgkmcnt(0)
	v_cmp_ne_u16_e64 s[52:53], s7, v21
	v_cndmask_b32_e64 v21, v65, v21, s[52:53]
	v_lshrrev_b32_sdwa v21, s62, v21 dst_sel:DWORD dst_unused:UNUSED_PAD src0_sel:DWORD src1_sel:WORD_0
	v_and_b32_e32 v90, s63, v21
	s_or_b64 exec, exec, s[60:61]
	s_and_saveexec_b64 s[60:61], s[46:47]
	s_cbranch_execz .LBB2054_133
.LBB2054_167:                           ;   in Loop: Header=BB2054_64 Depth=2
	ds_read_u16 v21, v47 offset:3584
	s_waitcnt lgkmcnt(0)
	v_cmp_ne_u16_e64 s[52:53], s7, v21
	v_cndmask_b32_e64 v21, v65, v21, s[52:53]
	v_lshrrev_b32_sdwa v21, s62, v21 dst_sel:DWORD dst_unused:UNUSED_PAD src0_sel:DWORD src1_sel:WORD_0
	v_and_b32_e32 v89, s63, v21
	s_or_b64 exec, exec, s[60:61]
	s_and_saveexec_b64 s[60:61], s[48:49]
	s_cbranch_execz .LBB2054_134
.LBB2054_168:                           ;   in Loop: Header=BB2054_64 Depth=2
	ds_read_u16 v21, v47 offset:4096
	s_waitcnt lgkmcnt(0)
	v_cmp_ne_u16_e64 s[52:53], s7, v21
	v_cndmask_b32_e64 v21, v65, v21, s[52:53]
	v_lshrrev_b32_sdwa v21, s62, v21 dst_sel:DWORD dst_unused:UNUSED_PAD src0_sel:DWORD src1_sel:WORD_0
	v_and_b32_e32 v88, s63, v21
	s_or_b64 exec, exec, s[60:61]
	s_and_saveexec_b64 s[60:61], s[50:51]
	s_cbranch_execnz .LBB2054_135
	s_branch .LBB2054_136
.LBB2054_169:                           ;   in Loop: Header=BB2054_64 Depth=2
	v_lshlrev_b32_e32 v21, 2, v95
	ds_read_b32 v23, v21
	v_add_u32_e32 v21, v47, v48
	ds_read_b64 v[21:22], v21 offset:1024
	v_mov_b32_e32 v24, v3
	v_mov_b32_e32 v96, s73
	s_waitcnt lgkmcnt(1)
	v_add_u32_e32 v23, v23, v0
	v_lshlrev_b64 v[23:24], 3, v[23:24]
	v_add_co_u32_e32 v23, vcc, s72, v23
	v_addc_co_u32_e32 v24, vcc, v96, v24, vcc
	s_waitcnt lgkmcnt(0)
	global_store_dwordx2 v[23:24], v[21:22], off
	s_or_b64 exec, exec, s[52:53]
	s_and_saveexec_b64 s[52:53], s[38:39]
	s_cbranch_execz .LBB2054_138
.LBB2054_170:                           ;   in Loop: Header=BB2054_64 Depth=2
	v_lshlrev_b32_e32 v21, 2, v94
	ds_read_b32 v23, v21
	v_add_u32_e32 v21, v47, v48
	ds_read_b64 v[21:22], v21 offset:3072
	v_mov_b32_e32 v24, v3
	v_mov_b32_e32 v96, s73
	s_waitcnt lgkmcnt(1)
	v_add_u32_e32 v23, v23, v26
	v_lshlrev_b64 v[23:24], 3, v[23:24]
	v_add_co_u32_e32 v23, vcc, s72, v23
	v_addc_co_u32_e32 v24, vcc, v96, v24, vcc
	s_waitcnt lgkmcnt(0)
	global_store_dwordx2 v[23:24], v[21:22], off
	s_or_b64 exec, exec, s[52:53]
	s_and_saveexec_b64 s[38:39], s[40:41]
	s_cbranch_execz .LBB2054_139
.LBB2054_171:                           ;   in Loop: Header=BB2054_64 Depth=2
	v_lshlrev_b32_e32 v21, 2, v93
	ds_read_b32 v23, v21
	v_add_u32_e32 v21, v47, v48
	ds_read_b64 v[21:22], v21 offset:5120
	v_mov_b32_e32 v24, v3
	v_mov_b32_e32 v96, s73
	s_waitcnt lgkmcnt(1)
	v_add_u32_e32 v23, v23, v27
	v_lshlrev_b64 v[23:24], 3, v[23:24]
	v_add_co_u32_e32 v23, vcc, s72, v23
	v_addc_co_u32_e32 v24, vcc, v96, v24, vcc
	s_waitcnt lgkmcnt(0)
	global_store_dwordx2 v[23:24], v[21:22], off
	s_or_b64 exec, exec, s[38:39]
	s_and_saveexec_b64 s[38:39], s[42:43]
	s_cbranch_execz .LBB2054_140
.LBB2054_172:                           ;   in Loop: Header=BB2054_64 Depth=2
	v_lshlrev_b32_e32 v21, 2, v92
	ds_read_b32 v23, v21
	v_add_u32_e32 v21, v47, v48
	ds_read_b64 v[21:22], v21 offset:7168
	v_mov_b32_e32 v24, v3
	v_mov_b32_e32 v96, s73
	s_waitcnt lgkmcnt(1)
	v_add_u32_e32 v23, v23, v28
	v_lshlrev_b64 v[23:24], 3, v[23:24]
	v_add_co_u32_e32 v23, vcc, s72, v23
	v_addc_co_u32_e32 v24, vcc, v96, v24, vcc
	s_waitcnt lgkmcnt(0)
	global_store_dwordx2 v[23:24], v[21:22], off
	s_or_b64 exec, exec, s[38:39]
	s_and_saveexec_b64 s[38:39], s[44:45]
	s_cbranch_execz .LBB2054_141
.LBB2054_173:                           ;   in Loop: Header=BB2054_64 Depth=2
	v_lshlrev_b32_e32 v21, 2, v90
	ds_read_b32 v23, v21
	v_add_u32_e32 v21, v47, v48
	ds_read_b64 v[21:22], v21 offset:9216
	v_mov_b32_e32 v24, v3
	v_mov_b32_e32 v96, s73
	s_waitcnt lgkmcnt(1)
	v_add_u32_e32 v23, v23, v31
	v_lshlrev_b64 v[23:24], 3, v[23:24]
	v_add_co_u32_e32 v23, vcc, s72, v23
	v_addc_co_u32_e32 v24, vcc, v96, v24, vcc
	s_waitcnt lgkmcnt(0)
	global_store_dwordx2 v[23:24], v[21:22], off
	s_or_b64 exec, exec, s[38:39]
	s_and_saveexec_b64 s[38:39], s[46:47]
	s_cbranch_execz .LBB2054_142
.LBB2054_174:                           ;   in Loop: Header=BB2054_64 Depth=2
	v_lshlrev_b32_e32 v21, 2, v89
	ds_read_b32 v23, v21
	v_add_u32_e32 v21, v47, v48
	ds_read_b64 v[21:22], v21 offset:11264
	v_mov_b32_e32 v24, v3
	v_mov_b32_e32 v96, s73
	s_waitcnt lgkmcnt(1)
	v_add_u32_e32 v23, v23, v32
	v_lshlrev_b64 v[23:24], 3, v[23:24]
	v_add_co_u32_e32 v23, vcc, s72, v23
	v_addc_co_u32_e32 v24, vcc, v96, v24, vcc
	s_waitcnt lgkmcnt(0)
	global_store_dwordx2 v[23:24], v[21:22], off
	s_or_b64 exec, exec, s[38:39]
	s_and_saveexec_b64 s[38:39], s[48:49]
	s_cbranch_execz .LBB2054_143
.LBB2054_175:                           ;   in Loop: Header=BB2054_64 Depth=2
	v_lshlrev_b32_e32 v21, 2, v88
	ds_read_b32 v23, v21
	v_add_u32_e32 v21, v47, v48
	ds_read_b64 v[21:22], v21 offset:13312
	v_mov_b32_e32 v24, v3
	v_mov_b32_e32 v96, s73
	s_waitcnt lgkmcnt(1)
	v_add_u32_e32 v23, v23, v33
	v_lshlrev_b64 v[23:24], 3, v[23:24]
	v_add_co_u32_e32 v23, vcc, s72, v23
	v_addc_co_u32_e32 v24, vcc, v96, v24, vcc
	s_waitcnt lgkmcnt(0)
	global_store_dwordx2 v[23:24], v[21:22], off
	s_or_b64 exec, exec, s[38:39]
	s_and_saveexec_b64 s[38:39], s[50:51]
	s_cbranch_execnz .LBB2054_144
	s_branch .LBB2054_145
.LBB2054_176:                           ;   in Loop: Header=BB2054_12 Depth=1
	s_waitcnt lgkmcnt(0)
	s_barrier
	s_mov_b64 s[18:19], 0
.LBB2054_177:                           ;   in Loop: Header=BB2054_12 Depth=1
	s_and_b64 vcc, exec, s[18:19]
	s_cbranch_vccz .LBB2054_341
; %bb.178:                              ;   in Loop: Header=BB2054_12 Depth=1
	s_mov_b32 s22, s79
	s_mov_b32 s58, s80
	s_barrier
                                        ; implicit-def: $vgpr4
                                        ; implicit-def: $vgpr5
                                        ; implicit-def: $vgpr6
                                        ; implicit-def: $vgpr7
                                        ; implicit-def: $vgpr8
                                        ; implicit-def: $vgpr9
                                        ; implicit-def: $vgpr10
                                        ; implicit-def: $vgpr11
	s_branch .LBB2054_180
.LBB2054_179:                           ;   in Loop: Header=BB2054_180 Depth=2
	s_or_b64 exec, exec, s[18:19]
	s_addk_i32 s22, 0xf800
	s_cmp_ge_u32 s23, s81
	s_mov_b32 s58, s23
	s_cbranch_scc1 .LBB2054_216
.LBB2054_180:                           ;   Parent Loop BB2054_12 Depth=1
                                        ; =>  This Inner Loop Header: Depth=2
	s_add_i32 s23, s58, 0x800
	s_cmp_gt_u32 s23, s81
	s_mov_b64 s[18:19], -1
                                        ; implicit-def: $vgpr12
                                        ; implicit-def: $vgpr13
                                        ; implicit-def: $vgpr14
                                        ; implicit-def: $vgpr15
                                        ; implicit-def: $vgpr16
                                        ; implicit-def: $vgpr17
                                        ; implicit-def: $vgpr18
                                        ; implicit-def: $vgpr19
	s_cbranch_scc1 .LBB2054_182
; %bb.181:                              ;   in Loop: Header=BB2054_180 Depth=2
	s_lshl_b64 s[18:19], s[58:59], 1
	v_mov_b32_e32 v12, s19
	v_add_co_u32_e32 v20, vcc, s18, v49
	v_addc_co_u32_e32 v21, vcc, v50, v12, vcc
	global_load_ushort v12, v[20:21], off
	global_load_ushort v13, v[20:21], off offset:512
	global_load_ushort v14, v[20:21], off offset:1024
	;; [unrolled: 1-line block ×7, first 2 shown]
	s_mov_b64 s[18:19], 0
.LBB2054_182:                           ;   in Loop: Header=BB2054_180 Depth=2
	s_andn2_b64 vcc, exec, s[18:19]
	s_movk_i32 s20, 0x800
	s_cbranch_vccnz .LBB2054_193
; %bb.183:                              ;   in Loop: Header=BB2054_180 Depth=2
	s_lshl_b64 s[18:19], s[58:59], 1
	s_add_u32 s18, s66, s18
	s_addc_u32 s19, s67, s19
	v_cmp_gt_u32_e32 vcc, s22, v0
	s_and_saveexec_b64 s[20:21], vcc
	s_cbranch_execnz .LBB2054_209
; %bb.184:                              ;   in Loop: Header=BB2054_180 Depth=2
	s_or_b64 exec, exec, s[20:21]
	v_cmp_gt_u32_e32 vcc, s22, v26
	s_and_saveexec_b64 s[20:21], vcc
	s_cbranch_execnz .LBB2054_210
.LBB2054_185:                           ;   in Loop: Header=BB2054_180 Depth=2
	s_or_b64 exec, exec, s[20:21]
	v_cmp_gt_u32_e32 vcc, s22, v27
	s_and_saveexec_b64 s[20:21], vcc
	s_cbranch_execnz .LBB2054_211
.LBB2054_186:                           ;   in Loop: Header=BB2054_180 Depth=2
	s_or_b64 exec, exec, s[20:21]
	v_cmp_gt_u32_e32 vcc, s22, v28
	s_and_saveexec_b64 s[20:21], vcc
	s_cbranch_execnz .LBB2054_212
.LBB2054_187:                           ;   in Loop: Header=BB2054_180 Depth=2
	s_or_b64 exec, exec, s[20:21]
	v_cmp_gt_u32_e32 vcc, s22, v31
	s_and_saveexec_b64 s[20:21], vcc
	s_cbranch_execnz .LBB2054_213
.LBB2054_188:                           ;   in Loop: Header=BB2054_180 Depth=2
	s_or_b64 exec, exec, s[20:21]
	v_cmp_gt_u32_e32 vcc, s22, v32
	s_and_saveexec_b64 s[20:21], vcc
	s_cbranch_execnz .LBB2054_214
.LBB2054_189:                           ;   in Loop: Header=BB2054_180 Depth=2
	s_or_b64 exec, exec, s[20:21]
	v_cmp_gt_u32_e32 vcc, s22, v33
	s_and_saveexec_b64 s[20:21], vcc
	s_cbranch_execnz .LBB2054_215
.LBB2054_190:                           ;   in Loop: Header=BB2054_180 Depth=2
	s_or_b64 exec, exec, s[20:21]
	v_cmp_gt_u32_e32 vcc, s22, v34
	s_and_saveexec_b64 s[20:21], vcc
	s_cbranch_execz .LBB2054_192
.LBB2054_191:                           ;   in Loop: Header=BB2054_180 Depth=2
	global_load_ushort v4, v64, s[18:19] offset:3584
.LBB2054_192:                           ;   in Loop: Header=BB2054_180 Depth=2
	s_or_b64 exec, exec, s[20:21]
	s_mov_b32 s20, s22
	s_waitcnt vmcnt(0)
	v_mov_b32_e32 v12, v11
	v_mov_b32_e32 v13, v10
	;; [unrolled: 1-line block ×8, first 2 shown]
.LBB2054_193:                           ;   in Loop: Header=BB2054_180 Depth=2
	s_waitcnt vmcnt(0)
	v_mov_b32_e32 v4, v19
	v_mov_b32_e32 v5, v18
	;; [unrolled: 1-line block ×8, first 2 shown]
	v_cmp_gt_u32_e32 vcc, s20, v0
	s_and_saveexec_b64 s[18:19], vcc
	s_cbranch_execnz .LBB2054_201
; %bb.194:                              ;   in Loop: Header=BB2054_180 Depth=2
	s_or_b64 exec, exec, s[18:19]
	v_cmp_gt_u32_e32 vcc, s20, v26
	s_and_saveexec_b64 s[18:19], vcc
	s_cbranch_execnz .LBB2054_202
.LBB2054_195:                           ;   in Loop: Header=BB2054_180 Depth=2
	s_or_b64 exec, exec, s[18:19]
	v_cmp_gt_u32_e32 vcc, s20, v27
	s_and_saveexec_b64 s[18:19], vcc
	s_cbranch_execnz .LBB2054_203
.LBB2054_196:                           ;   in Loop: Header=BB2054_180 Depth=2
	s_or_b64 exec, exec, s[18:19]
	v_cmp_gt_u32_e32 vcc, s20, v28
	s_and_saveexec_b64 s[18:19], vcc
	s_cbranch_execnz .LBB2054_204
.LBB2054_197:                           ;   in Loop: Header=BB2054_180 Depth=2
	s_or_b64 exec, exec, s[18:19]
	v_cmp_gt_u32_e32 vcc, s20, v31
	s_and_saveexec_b64 s[18:19], vcc
	s_cbranch_execnz .LBB2054_205
.LBB2054_198:                           ;   in Loop: Header=BB2054_180 Depth=2
	s_or_b64 exec, exec, s[18:19]
	v_cmp_gt_u32_e32 vcc, s20, v32
	s_and_saveexec_b64 s[18:19], vcc
	s_cbranch_execnz .LBB2054_206
.LBB2054_199:                           ;   in Loop: Header=BB2054_180 Depth=2
	s_or_b64 exec, exec, s[18:19]
	v_cmp_gt_u32_e32 vcc, s20, v33
	s_and_saveexec_b64 s[18:19], vcc
	s_cbranch_execnz .LBB2054_207
.LBB2054_200:                           ;   in Loop: Header=BB2054_180 Depth=2
	s_or_b64 exec, exec, s[18:19]
	v_cmp_gt_u32_e32 vcc, s20, v34
	s_and_saveexec_b64 s[18:19], vcc
	s_cbranch_execz .LBB2054_179
	s_branch .LBB2054_208
.LBB2054_201:                           ;   in Loop: Header=BB2054_180 Depth=2
	v_cmp_lt_i16_e32 vcc, -1, v11
	v_cndmask_b32_e32 v12, -1, v65, vcc
	v_xor_b32_e32 v12, v12, v11
	v_cmp_ne_u16_e32 vcc, s7, v12
	v_cndmask_b32_e32 v12, v65, v12, vcc
	v_lshrrev_b32_sdwa v12, s62, v12 dst_sel:DWORD dst_unused:UNUSED_PAD src0_sel:DWORD src1_sel:WORD_0
	v_and_b32_e32 v12, s63, v12
	v_lshl_or_b32 v12, v12, 4, v35
	ds_add_u32 v12, v61
	s_or_b64 exec, exec, s[18:19]
	v_cmp_gt_u32_e32 vcc, s20, v26
	s_and_saveexec_b64 s[18:19], vcc
	s_cbranch_execz .LBB2054_195
.LBB2054_202:                           ;   in Loop: Header=BB2054_180 Depth=2
	v_cmp_lt_i16_e32 vcc, -1, v10
	v_cndmask_b32_e32 v12, -1, v65, vcc
	v_xor_b32_e32 v12, v12, v10
	v_cmp_ne_u16_e32 vcc, s7, v12
	v_cndmask_b32_e32 v12, v65, v12, vcc
	v_lshrrev_b32_sdwa v12, s62, v12 dst_sel:DWORD dst_unused:UNUSED_PAD src0_sel:DWORD src1_sel:WORD_0
	v_and_b32_e32 v12, s63, v12
	v_lshl_or_b32 v12, v12, 4, v35
	ds_add_u32 v12, v61
	s_or_b64 exec, exec, s[18:19]
	v_cmp_gt_u32_e32 vcc, s20, v27
	s_and_saveexec_b64 s[18:19], vcc
	s_cbranch_execz .LBB2054_196
.LBB2054_203:                           ;   in Loop: Header=BB2054_180 Depth=2
	v_cmp_lt_i16_e32 vcc, -1, v9
	v_cndmask_b32_e32 v12, -1, v65, vcc
	v_xor_b32_e32 v12, v12, v9
	v_cmp_ne_u16_e32 vcc, s7, v12
	v_cndmask_b32_e32 v12, v65, v12, vcc
	v_lshrrev_b32_sdwa v12, s62, v12 dst_sel:DWORD dst_unused:UNUSED_PAD src0_sel:DWORD src1_sel:WORD_0
	v_and_b32_e32 v12, s63, v12
	v_lshl_or_b32 v12, v12, 4, v35
	ds_add_u32 v12, v61
	s_or_b64 exec, exec, s[18:19]
	v_cmp_gt_u32_e32 vcc, s20, v28
	s_and_saveexec_b64 s[18:19], vcc
	s_cbranch_execz .LBB2054_197
.LBB2054_204:                           ;   in Loop: Header=BB2054_180 Depth=2
	v_cmp_lt_i16_e32 vcc, -1, v8
	v_cndmask_b32_e32 v12, -1, v65, vcc
	v_xor_b32_e32 v12, v12, v8
	v_cmp_ne_u16_e32 vcc, s7, v12
	v_cndmask_b32_e32 v12, v65, v12, vcc
	v_lshrrev_b32_sdwa v12, s62, v12 dst_sel:DWORD dst_unused:UNUSED_PAD src0_sel:DWORD src1_sel:WORD_0
	v_and_b32_e32 v12, s63, v12
	v_lshl_or_b32 v12, v12, 4, v35
	ds_add_u32 v12, v61
	s_or_b64 exec, exec, s[18:19]
	v_cmp_gt_u32_e32 vcc, s20, v31
	s_and_saveexec_b64 s[18:19], vcc
	s_cbranch_execz .LBB2054_198
.LBB2054_205:                           ;   in Loop: Header=BB2054_180 Depth=2
	v_cmp_lt_i16_e32 vcc, -1, v7
	v_cndmask_b32_e32 v12, -1, v65, vcc
	v_xor_b32_e32 v12, v12, v7
	v_cmp_ne_u16_e32 vcc, s7, v12
	v_cndmask_b32_e32 v12, v65, v12, vcc
	v_lshrrev_b32_sdwa v12, s62, v12 dst_sel:DWORD dst_unused:UNUSED_PAD src0_sel:DWORD src1_sel:WORD_0
	v_and_b32_e32 v12, s63, v12
	v_lshl_or_b32 v12, v12, 4, v35
	ds_add_u32 v12, v61
	s_or_b64 exec, exec, s[18:19]
	v_cmp_gt_u32_e32 vcc, s20, v32
	s_and_saveexec_b64 s[18:19], vcc
	s_cbranch_execz .LBB2054_199
.LBB2054_206:                           ;   in Loop: Header=BB2054_180 Depth=2
	v_cmp_lt_i16_e32 vcc, -1, v6
	v_cndmask_b32_e32 v12, -1, v65, vcc
	v_xor_b32_e32 v12, v12, v6
	v_cmp_ne_u16_e32 vcc, s7, v12
	v_cndmask_b32_e32 v12, v65, v12, vcc
	v_lshrrev_b32_sdwa v12, s62, v12 dst_sel:DWORD dst_unused:UNUSED_PAD src0_sel:DWORD src1_sel:WORD_0
	v_and_b32_e32 v12, s63, v12
	v_lshl_or_b32 v12, v12, 4, v35
	ds_add_u32 v12, v61
	s_or_b64 exec, exec, s[18:19]
	v_cmp_gt_u32_e32 vcc, s20, v33
	s_and_saveexec_b64 s[18:19], vcc
	s_cbranch_execz .LBB2054_200
.LBB2054_207:                           ;   in Loop: Header=BB2054_180 Depth=2
	v_cmp_lt_i16_e32 vcc, -1, v5
	v_cndmask_b32_e32 v12, -1, v65, vcc
	v_xor_b32_e32 v12, v12, v5
	v_cmp_ne_u16_e32 vcc, s7, v12
	v_cndmask_b32_e32 v12, v65, v12, vcc
	v_lshrrev_b32_sdwa v12, s62, v12 dst_sel:DWORD dst_unused:UNUSED_PAD src0_sel:DWORD src1_sel:WORD_0
	v_and_b32_e32 v12, s63, v12
	v_lshl_or_b32 v12, v12, 4, v35
	ds_add_u32 v12, v61
	s_or_b64 exec, exec, s[18:19]
	v_cmp_gt_u32_e32 vcc, s20, v34
	s_and_saveexec_b64 s[18:19], vcc
	s_cbranch_execz .LBB2054_179
.LBB2054_208:                           ;   in Loop: Header=BB2054_180 Depth=2
	v_cmp_lt_i16_e32 vcc, -1, v4
	v_cndmask_b32_e32 v12, -1, v65, vcc
	v_xor_b32_e32 v12, v12, v4
	v_cmp_ne_u16_e32 vcc, s7, v12
	v_cndmask_b32_e32 v12, v65, v12, vcc
	v_lshrrev_b32_sdwa v12, s62, v12 dst_sel:DWORD dst_unused:UNUSED_PAD src0_sel:DWORD src1_sel:WORD_0
	v_and_b32_e32 v12, s63, v12
	v_lshl_or_b32 v12, v12, 4, v35
	ds_add_u32 v12, v61
	s_branch .LBB2054_179
.LBB2054_209:                           ;   in Loop: Header=BB2054_180 Depth=2
	global_load_ushort v11, v64, s[18:19]
	s_or_b64 exec, exec, s[20:21]
	v_cmp_gt_u32_e32 vcc, s22, v26
	s_and_saveexec_b64 s[20:21], vcc
	s_cbranch_execz .LBB2054_185
.LBB2054_210:                           ;   in Loop: Header=BB2054_180 Depth=2
	global_load_ushort v10, v64, s[18:19] offset:512
	s_or_b64 exec, exec, s[20:21]
	v_cmp_gt_u32_e32 vcc, s22, v27
	s_and_saveexec_b64 s[20:21], vcc
	s_cbranch_execz .LBB2054_186
.LBB2054_211:                           ;   in Loop: Header=BB2054_180 Depth=2
	global_load_ushort v9, v64, s[18:19] offset:1024
	s_or_b64 exec, exec, s[20:21]
	v_cmp_gt_u32_e32 vcc, s22, v28
	s_and_saveexec_b64 s[20:21], vcc
	s_cbranch_execz .LBB2054_187
.LBB2054_212:                           ;   in Loop: Header=BB2054_180 Depth=2
	global_load_ushort v8, v64, s[18:19] offset:1536
	s_or_b64 exec, exec, s[20:21]
	v_cmp_gt_u32_e32 vcc, s22, v31
	s_and_saveexec_b64 s[20:21], vcc
	s_cbranch_execz .LBB2054_188
.LBB2054_213:                           ;   in Loop: Header=BB2054_180 Depth=2
	global_load_ushort v7, v64, s[18:19] offset:2048
	s_or_b64 exec, exec, s[20:21]
	v_cmp_gt_u32_e32 vcc, s22, v32
	s_and_saveexec_b64 s[20:21], vcc
	s_cbranch_execz .LBB2054_189
.LBB2054_214:                           ;   in Loop: Header=BB2054_180 Depth=2
	global_load_ushort v6, v64, s[18:19] offset:2560
	s_or_b64 exec, exec, s[20:21]
	v_cmp_gt_u32_e32 vcc, s22, v33
	s_and_saveexec_b64 s[20:21], vcc
	s_cbranch_execz .LBB2054_190
.LBB2054_215:                           ;   in Loop: Header=BB2054_180 Depth=2
	global_load_ushort v5, v64, s[18:19] offset:3072
	s_or_b64 exec, exec, s[20:21]
	v_cmp_gt_u32_e32 vcc, s22, v34
	s_and_saveexec_b64 s[20:21], vcc
	s_cbranch_execnz .LBB2054_191
	s_branch .LBB2054_192
.LBB2054_216:                           ;   in Loop: Header=BB2054_12 Depth=1
	v_mov_b32_e32 v4, 0
	s_waitcnt lgkmcnt(0)
	s_barrier
	s_and_saveexec_b64 s[18:19], s[4:5]
	s_cbranch_execz .LBB2054_218
; %bb.217:                              ;   in Loop: Header=BB2054_12 Depth=1
	ds_read2_b64 v[4:7], v36 offset1:1
	s_waitcnt lgkmcnt(0)
	v_add_u32_e32 v4, v5, v4
	v_add3_u32 v4, v4, v6, v7
.LBB2054_218:                           ;   in Loop: Header=BB2054_12 Depth=1
	s_or_b64 exec, exec, s[18:19]
	s_nop 0
	v_mov_b32_dpp v5, v4 row_shr:1 row_mask:0xf bank_mask:0xf
	v_cmp_eq_u32_e64 s[18:19], 0, v67
	v_cndmask_b32_e64 v5, v5, 0, s[18:19]
	v_add_u32_e32 v4, v5, v4
	v_cmp_lt_u32_e64 s[20:21], 1, v67
	v_cmp_lt_u32_e64 s[22:23], 3, v67
	v_mov_b32_dpp v5, v4 row_shr:2 row_mask:0xf bank_mask:0xf
	v_cndmask_b32_e64 v5, 0, v5, s[20:21]
	v_add_u32_e32 v4, v4, v5
	v_cmp_lt_u32_e64 s[24:25], 7, v67
	v_cmp_lt_u32_e64 s[28:29], 31, v66
	v_mov_b32_dpp v5, v4 row_shr:4 row_mask:0xf bank_mask:0xf
	v_cndmask_b32_e64 v5, 0, v5, s[22:23]
	v_add_u32_e32 v4, v4, v5
	v_cmp_eq_u32_e64 s[26:27], 0, v69
	s_nop 0
	v_mov_b32_dpp v5, v4 row_shr:8 row_mask:0xf bank_mask:0xf
	v_cndmask_b32_e64 v5, 0, v5, s[24:25]
	v_add_u32_e32 v4, v4, v5
	s_nop 1
	v_mov_b32_dpp v5, v4 row_bcast:15 row_mask:0xf bank_mask:0xf
	v_and_b32_e32 v5, v68, v5
	v_add_u32_e32 v4, v4, v5
	s_nop 1
	v_mov_b32_dpp v5, v4 row_bcast:31 row_mask:0xf bank_mask:0xf
	v_cndmask_b32_e64 v5, 0, v5, s[28:29]
	v_add_u32_e32 v4, v4, v5
	s_and_saveexec_b64 s[30:31], s[8:9]
; %bb.219:                              ;   in Loop: Header=BB2054_12 Depth=1
	ds_write_b32 v38, v4
; %bb.220:                              ;   in Loop: Header=BB2054_12 Depth=1
	s_or_b64 exec, exec, s[30:31]
	s_waitcnt lgkmcnt(0)
	s_barrier
	s_and_saveexec_b64 s[30:31], s[10:11]
	s_cbranch_execz .LBB2054_222
; %bb.221:                              ;   in Loop: Header=BB2054_12 Depth=1
	ds_read_b32 v5, v39
	v_cmp_ne_u32_e32 vcc, 0, v70
	s_waitcnt lgkmcnt(0)
	v_mov_b32_dpp v6, v5 row_shr:1 row_mask:0xf bank_mask:0xf
	v_cndmask_b32_e32 v6, 0, v6, vcc
	v_add_u32_e32 v5, v6, v5
	v_cmp_lt_u32_e32 vcc, 1, v70
	s_nop 0
	v_mov_b32_dpp v6, v5 row_shr:2 row_mask:0xf bank_mask:0xf
	v_cndmask_b32_e32 v6, 0, v6, vcc
	v_add_u32_e32 v5, v5, v6
	ds_write_b32 v39, v5
.LBB2054_222:                           ;   in Loop: Header=BB2054_12 Depth=1
	s_or_b64 exec, exec, s[30:31]
	v_mov_b32_e32 v5, 0
	s_waitcnt lgkmcnt(0)
	s_barrier
	s_and_saveexec_b64 s[30:31], s[12:13]
; %bb.223:                              ;   in Loop: Header=BB2054_12 Depth=1
	ds_read_b32 v5, v40
; %bb.224:                              ;   in Loop: Header=BB2054_12 Depth=1
	s_or_b64 exec, exec, s[30:31]
	v_subrev_co_u32_e64 v6, s[30:31], 1, v66
	v_cmp_lt_i32_e32 vcc, v6, v71
	v_cndmask_b32_e32 v6, v6, v66, vcc
	s_waitcnt lgkmcnt(0)
	v_add_u32_e32 v4, v5, v4
	v_lshlrev_b32_e32 v82, 2, v6
	ds_bpermute_b32 v4, v82, v4
	s_waitcnt lgkmcnt(0)
	s_barrier
	s_and_saveexec_b64 s[34:35], s[4:5]
; %bb.225:                              ;   in Loop: Header=BB2054_12 Depth=1
	v_cndmask_b32_e64 v4, v4, v5, s[30:31]
	v_add_u32_e32 v4, s80, v4
	ds_write_b32 v25, v4
; %bb.226:                              ;   in Loop: Header=BB2054_12 Depth=1
	s_or_b64 exec, exec, s[34:35]
	s_load_dwordx2 s[34:35], s[56:57], 0x0
	v_add_co_u32_e32 v83, vcc, v51, v72
	v_addc_co_u32_e32 v84, vcc, 0, v52, vcc
	s_waitcnt lgkmcnt(0)
	s_cmp_lt_u32 s33, s35
	s_cselect_b32 s35, 14, 20
	s_add_u32 s36, s56, s35
	s_addc_u32 s37, s57, 0
	s_cmp_lt_u32 s6, s34
	s_cselect_b32 s34, 12, 18
	s_add_u32 s34, s56, s34
	global_load_ushort v4, v3, s[36:37]
	s_addc_u32 s35, s57, 0
	global_load_ushort v5, v3, s[34:35]
	v_add_co_u32_e32 v85, vcc, v53, v81
	v_cmp_eq_u32_e64 s[34:35], 0, v70
	v_cmp_lt_u32_e64 s[36:37], 1, v70
	v_addc_co_u32_e32 v86, vcc, 0, v54, vcc
	s_mov_b32 s70, s79
	s_mov_b32 s58, s80
                                        ; implicit-def: $vgpr7_vgpr8
                                        ; implicit-def: $vgpr9_vgpr10
                                        ; implicit-def: $vgpr11_vgpr12
                                        ; implicit-def: $vgpr13_vgpr14
                                        ; implicit-def: $vgpr15_vgpr16
                                        ; implicit-def: $vgpr17_vgpr18
                                        ; implicit-def: $vgpr19_vgpr20
                                        ; implicit-def: $vgpr87
                                        ; implicit-def: $vgpr88
                                        ; implicit-def: $vgpr89
                                        ; implicit-def: $vgpr90
                                        ; implicit-def: $vgpr92
                                        ; implicit-def: $vgpr93
                                        ; implicit-def: $vgpr94
                                        ; implicit-def: $vgpr95
	s_waitcnt vmcnt(1)
	v_mad_u32_u24 v4, v2, v4, v1
	s_waitcnt vmcnt(0)
	v_mad_u64_u32 v[4:5], s[38:39], v4, v5, v[0:1]
                                        ; implicit-def: $vgpr5_vgpr6
	v_lshrrev_b32_e32 v4, 4, v4
	v_and_b32_e32 v91, 0xffffffc, v4
	s_branch .LBB2054_228
.LBB2054_227:                           ;   in Loop: Header=BB2054_228 Depth=2
	s_or_b64 exec, exec, s[38:39]
	s_addk_i32 s70, 0xf800
	s_cmp_lt_u32 s71, s81
	s_mov_b32 s58, s71
	s_cbranch_scc0 .LBB2054_340
.LBB2054_228:                           ;   Parent Loop BB2054_12 Depth=1
                                        ; =>  This Inner Loop Header: Depth=2
	s_add_i32 s71, s58, 0x800
	s_cmp_gt_u32 s71, s81
	s_cbranch_scc1 .LBB2054_230
; %bb.229:                              ;   in Loop: Header=BB2054_228 Depth=2
	s_lshl_b64 s[38:39], s[58:59], 1
	v_mov_b32_e32 v4, s39
	v_add_co_u32_e32 v21, vcc, s38, v85
	v_addc_co_u32_e32 v22, vcc, v86, v4, vcc
	global_load_ushort v4, v[21:22], off
	global_load_ushort v99, v[21:22], off offset:128
	global_load_ushort v103, v[21:22], off offset:256
	global_load_ushort v107, v[21:22], off offset:384
	global_load_ushort v112, v[21:22], off offset:512
	global_load_ushort v108, v[21:22], off offset:640
	global_load_ushort v24, v[21:22], off offset:768
	s_mov_b64 s[38:39], -1
	s_movk_i32 s42, 0x800
	s_cbranch_execz .LBB2054_231
	s_branch .LBB2054_246
.LBB2054_230:                           ;   in Loop: Header=BB2054_228 Depth=2
	s_mov_b64 s[38:39], 0
                                        ; implicit-def: $vgpr4
                                        ; implicit-def: $vgpr99
                                        ; implicit-def: $vgpr103
                                        ; implicit-def: $vgpr107
                                        ; implicit-def: $vgpr112
                                        ; implicit-def: $vgpr108
                                        ; implicit-def: $vgpr24
	s_movk_i32 s42, 0x800
.LBB2054_231:                           ;   in Loop: Header=BB2054_228 Depth=2
	s_lshl_b64 s[38:39], s[58:59], 1
	s_waitcnt vmcnt(6)
	v_mov_b32_e32 v4, s39
	v_add_co_u32_e32 v21, vcc, s38, v85
	v_addc_co_u32_e32 v22, vcc, v86, v4, vcc
	v_cmp_gt_u32_e32 vcc, s70, v73
	s_waitcnt vmcnt(5)
	v_mov_b32_e32 v99, 0x7fff
	v_mov_b32_e32 v4, 0x7fff
	s_and_saveexec_b64 s[38:39], vcc
	s_cbranch_execz .LBB2054_233
; %bb.232:                              ;   in Loop: Header=BB2054_228 Depth=2
	global_load_ushort v4, v[21:22], off
.LBB2054_233:                           ;   in Loop: Header=BB2054_228 Depth=2
	s_or_b64 exec, exec, s[38:39]
	v_cmp_gt_u32_e32 vcc, s70, v74
	s_and_saveexec_b64 s[38:39], vcc
	s_cbranch_execz .LBB2054_235
; %bb.234:                              ;   in Loop: Header=BB2054_228 Depth=2
	global_load_ushort v99, v[21:22], off offset:128
.LBB2054_235:                           ;   in Loop: Header=BB2054_228 Depth=2
	s_or_b64 exec, exec, s[38:39]
	v_cmp_gt_u32_e32 vcc, s70, v75
	s_waitcnt vmcnt(3)
	v_mov_b32_e32 v107, 0x7fff
	v_mov_b32_e32 v103, 0x7fff
	s_and_saveexec_b64 s[38:39], vcc
	s_cbranch_execz .LBB2054_237
; %bb.236:                              ;   in Loop: Header=BB2054_228 Depth=2
	global_load_ushort v103, v[21:22], off offset:256
.LBB2054_237:                           ;   in Loop: Header=BB2054_228 Depth=2
	s_or_b64 exec, exec, s[38:39]
	v_cmp_gt_u32_e32 vcc, s70, v76
	s_and_saveexec_b64 s[38:39], vcc
	s_cbranch_execz .LBB2054_239
; %bb.238:                              ;   in Loop: Header=BB2054_228 Depth=2
	global_load_ushort v107, v[21:22], off offset:384
.LBB2054_239:                           ;   in Loop: Header=BB2054_228 Depth=2
	s_or_b64 exec, exec, s[38:39]
	v_cmp_gt_u32_e32 vcc, s70, v77
	s_waitcnt vmcnt(1)
	v_mov_b32_e32 v108, 0x7fff
	v_mov_b32_e32 v112, 0x7fff
	s_and_saveexec_b64 s[38:39], vcc
	s_cbranch_execz .LBB2054_241
; %bb.240:                              ;   in Loop: Header=BB2054_228 Depth=2
	global_load_ushort v112, v[21:22], off offset:512
.LBB2054_241:                           ;   in Loop: Header=BB2054_228 Depth=2
	s_or_b64 exec, exec, s[38:39]
	v_cmp_gt_u32_e32 vcc, s70, v78
	s_and_saveexec_b64 s[38:39], vcc
	s_cbranch_execz .LBB2054_243
; %bb.242:                              ;   in Loop: Header=BB2054_228 Depth=2
	global_load_ushort v108, v[21:22], off offset:640
.LBB2054_243:                           ;   in Loop: Header=BB2054_228 Depth=2
	s_or_b64 exec, exec, s[38:39]
	v_cmp_gt_u32_e32 vcc, s70, v79
	s_waitcnt vmcnt(0)
	v_mov_b32_e32 v24, 0x7fff
	s_and_saveexec_b64 s[38:39], vcc
	s_cbranch_execz .LBB2054_245
; %bb.244:                              ;   in Loop: Header=BB2054_228 Depth=2
	global_load_ushort v24, v[21:22], off offset:768
.LBB2054_245:                           ;   in Loop: Header=BB2054_228 Depth=2
	s_or_b64 exec, exec, s[38:39]
	s_sub_i32 s42, s81, s58
	v_cmp_gt_u32_e64 s[38:39], s70, v80
.LBB2054_246:                           ;   in Loop: Header=BB2054_228 Depth=2
	v_mov_b32_e32 v23, 0x7fff
	v_mov_b32_e32 v96, s70
	s_and_saveexec_b64 s[40:41], s[38:39]
	s_cbranch_execz .LBB2054_248
; %bb.247:                              ;   in Loop: Header=BB2054_228 Depth=2
	s_lshl_b64 s[38:39], s[58:59], 1
	v_mov_b32_e32 v22, s39
	v_add_co_u32_e32 v21, vcc, s38, v85
	v_addc_co_u32_e32 v22, vcc, v86, v22, vcc
	global_load_ushort v23, v[21:22], off offset:896
	v_mov_b32_e32 v96, s42
.LBB2054_248:                           ;   in Loop: Header=BB2054_228 Depth=2
	s_or_b64 exec, exec, s[40:41]
	s_waitcnt vmcnt(6)
	v_cmp_lt_i16_e32 vcc, -1, v4
	v_cndmask_b32_e32 v21, -1, v65, vcc
	v_xor_b32_e32 v97, v21, v4
	v_cmp_ne_u16_e32 vcc, s7, v97
	v_cndmask_b32_e32 v4, v65, v97, vcc
	v_lshrrev_b32_sdwa v4, s62, v4 dst_sel:DWORD dst_unused:UNUSED_PAD src0_sel:DWORD src1_sel:WORD_0
	v_and_b32_e32 v21, s63, v4
	v_and_b32_e32 v4, 1, v21
	v_add_co_u32_e32 v22, vcc, -1, v4
	v_addc_co_u32_e64 v98, s[38:39], 0, -1, vcc
	v_cmp_ne_u32_e32 vcc, 0, v4
	v_xor_b32_e32 v4, vcc_hi, v98
	v_and_b32_e32 v98, exec_hi, v4
	v_lshlrev_b32_e32 v4, 30, v21
	v_xor_b32_e32 v22, vcc_lo, v22
	v_cmp_gt_i64_e32 vcc, 0, v[3:4]
	v_not_b32_e32 v4, v4
	v_ashrrev_i32_e32 v4, 31, v4
	v_and_b32_e32 v22, exec_lo, v22
	v_xor_b32_e32 v101, vcc_hi, v4
	v_xor_b32_e32 v4, vcc_lo, v4
	v_and_b32_e32 v22, v22, v4
	v_lshlrev_b32_e32 v4, 29, v21
	v_cmp_gt_i64_e32 vcc, 0, v[3:4]
	v_not_b32_e32 v4, v4
	v_ashrrev_i32_e32 v4, 31, v4
	v_and_b32_e32 v98, v98, v101
	v_xor_b32_e32 v101, vcc_hi, v4
	v_xor_b32_e32 v4, vcc_lo, v4
	v_and_b32_e32 v22, v22, v4
	v_lshlrev_b32_e32 v4, 28, v21
	v_cmp_gt_i64_e32 vcc, 0, v[3:4]
	v_not_b32_e32 v4, v4
	v_ashrrev_i32_e32 v4, 31, v4
	v_and_b32_e32 v98, v98, v101
	;; [unrolled: 8-line block ×5, first 2 shown]
	v_xor_b32_e32 v101, vcc_hi, v4
	v_xor_b32_e32 v4, vcc_lo, v4
	v_and_b32_e32 v98, v98, v101
	v_and_b32_e32 v101, v22, v4
	v_lshlrev_b32_e32 v4, 24, v21
	v_cmp_gt_i64_e32 vcc, 0, v[3:4]
	v_not_b32_e32 v4, v4
	v_ashrrev_i32_e32 v4, 31, v4
	v_mul_u32_u24_e32 v100, 20, v21
	v_xor_b32_e32 v21, vcc_hi, v4
	v_xor_b32_e32 v4, vcc_lo, v4
	v_and_b32_e32 v22, v98, v21
	v_and_b32_e32 v21, v101, v4
	v_mbcnt_lo_u32_b32 v4, v21, 0
	v_mbcnt_hi_u32_b32 v98, v22, v4
	v_cmp_ne_u64_e32 vcc, 0, v[21:22]
	v_cmp_eq_u32_e64 s[38:39], 0, v98
	s_and_b64 s[40:41], vcc, s[38:39]
	v_add_u32_e32 v101, v91, v100
	ds_write2_b32 v62, v3, v3 offset1:1
	ds_write2_b32 v63, v3, v3 offset1:1
	ds_write_b32 v41, v3 offset:1056
	s_waitcnt vmcnt(0) lgkmcnt(0)
	s_barrier
	; wave barrier
	s_and_saveexec_b64 s[38:39], s[40:41]
; %bb.249:                              ;   in Loop: Header=BB2054_228 Depth=2
	v_bcnt_u32_b32 v4, v21, 0
	v_bcnt_u32_b32 v4, v22, v4
	ds_write_b32 v101, v4 offset:1040
; %bb.250:                              ;   in Loop: Header=BB2054_228 Depth=2
	s_or_b64 exec, exec, s[38:39]
	v_cmp_lt_i16_e32 vcc, -1, v99
	v_cndmask_b32_e32 v4, -1, v65, vcc
	v_xor_b32_e32 v99, v4, v99
	v_cmp_ne_u16_e32 vcc, s7, v99
	v_cndmask_b32_e32 v4, v65, v99, vcc
	v_lshrrev_b32_sdwa v4, s62, v4 dst_sel:DWORD dst_unused:UNUSED_PAD src0_sel:DWORD src1_sel:WORD_0
	v_and_b32_e32 v21, s63, v4
	v_mad_u32_u24 v4, v21, 20, v91
	; wave barrier
	ds_read_b32 v100, v4 offset:1040
	v_and_b32_e32 v4, 1, v21
	v_add_co_u32_e32 v22, vcc, -1, v4
	v_addc_co_u32_e64 v102, s[38:39], 0, -1, vcc
	v_cmp_ne_u32_e32 vcc, 0, v4
	v_xor_b32_e32 v4, vcc_hi, v102
	v_and_b32_e32 v102, exec_hi, v4
	v_lshlrev_b32_e32 v4, 30, v21
	v_xor_b32_e32 v22, vcc_lo, v22
	v_cmp_gt_i64_e32 vcc, 0, v[3:4]
	v_not_b32_e32 v4, v4
	v_ashrrev_i32_e32 v4, 31, v4
	v_and_b32_e32 v22, exec_lo, v22
	v_xor_b32_e32 v105, vcc_hi, v4
	v_xor_b32_e32 v4, vcc_lo, v4
	v_and_b32_e32 v22, v22, v4
	v_lshlrev_b32_e32 v4, 29, v21
	v_cmp_gt_i64_e32 vcc, 0, v[3:4]
	v_not_b32_e32 v4, v4
	v_ashrrev_i32_e32 v4, 31, v4
	v_and_b32_e32 v102, v102, v105
	v_xor_b32_e32 v105, vcc_hi, v4
	v_xor_b32_e32 v4, vcc_lo, v4
	v_and_b32_e32 v22, v22, v4
	v_lshlrev_b32_e32 v4, 28, v21
	v_cmp_gt_i64_e32 vcc, 0, v[3:4]
	v_not_b32_e32 v4, v4
	v_ashrrev_i32_e32 v4, 31, v4
	v_and_b32_e32 v102, v102, v105
	;; [unrolled: 8-line block ×5, first 2 shown]
	v_xor_b32_e32 v105, vcc_hi, v4
	v_xor_b32_e32 v4, vcc_lo, v4
	v_and_b32_e32 v102, v102, v105
	v_and_b32_e32 v105, v22, v4
	v_lshlrev_b32_e32 v4, 24, v21
	v_cmp_gt_i64_e32 vcc, 0, v[3:4]
	v_not_b32_e32 v4, v4
	v_ashrrev_i32_e32 v4, 31, v4
	v_mul_u32_u24_e32 v104, 20, v21
	v_xor_b32_e32 v21, vcc_hi, v4
	v_xor_b32_e32 v4, vcc_lo, v4
	v_and_b32_e32 v22, v102, v21
	v_and_b32_e32 v21, v105, v4
	v_mbcnt_lo_u32_b32 v4, v21, 0
	v_mbcnt_hi_u32_b32 v102, v22, v4
	v_cmp_ne_u64_e32 vcc, 0, v[21:22]
	v_cmp_eq_u32_e64 s[38:39], 0, v102
	s_and_b64 s[40:41], vcc, s[38:39]
	v_add_u32_e32 v105, v91, v104
	; wave barrier
	s_and_saveexec_b64 s[38:39], s[40:41]
	s_cbranch_execz .LBB2054_252
; %bb.251:                              ;   in Loop: Header=BB2054_228 Depth=2
	v_bcnt_u32_b32 v4, v21, 0
	v_bcnt_u32_b32 v4, v22, v4
	s_waitcnt lgkmcnt(0)
	v_add_u32_e32 v4, v100, v4
	ds_write_b32 v105, v4 offset:1040
.LBB2054_252:                           ;   in Loop: Header=BB2054_228 Depth=2
	s_or_b64 exec, exec, s[38:39]
	v_cmp_lt_i16_e32 vcc, -1, v103
	v_cndmask_b32_e32 v4, -1, v65, vcc
	v_xor_b32_e32 v103, v4, v103
	v_cmp_ne_u16_e32 vcc, s7, v103
	v_cndmask_b32_e32 v4, v65, v103, vcc
	v_lshrrev_b32_sdwa v4, s62, v4 dst_sel:DWORD dst_unused:UNUSED_PAD src0_sel:DWORD src1_sel:WORD_0
	v_and_b32_e32 v21, s63, v4
	v_mad_u32_u24 v4, v21, 20, v91
	; wave barrier
	ds_read_b32 v104, v4 offset:1040
	v_and_b32_e32 v4, 1, v21
	v_add_co_u32_e32 v22, vcc, -1, v4
	v_addc_co_u32_e64 v106, s[38:39], 0, -1, vcc
	v_cmp_ne_u32_e32 vcc, 0, v4
	v_xor_b32_e32 v4, vcc_hi, v106
	v_and_b32_e32 v106, exec_hi, v4
	v_lshlrev_b32_e32 v4, 30, v21
	v_xor_b32_e32 v22, vcc_lo, v22
	v_cmp_gt_i64_e32 vcc, 0, v[3:4]
	v_not_b32_e32 v4, v4
	v_ashrrev_i32_e32 v4, 31, v4
	v_and_b32_e32 v22, exec_lo, v22
	v_xor_b32_e32 v110, vcc_hi, v4
	v_xor_b32_e32 v4, vcc_lo, v4
	v_and_b32_e32 v22, v22, v4
	v_lshlrev_b32_e32 v4, 29, v21
	v_cmp_gt_i64_e32 vcc, 0, v[3:4]
	v_not_b32_e32 v4, v4
	v_ashrrev_i32_e32 v4, 31, v4
	v_and_b32_e32 v106, v106, v110
	v_xor_b32_e32 v110, vcc_hi, v4
	v_xor_b32_e32 v4, vcc_lo, v4
	v_and_b32_e32 v22, v22, v4
	v_lshlrev_b32_e32 v4, 28, v21
	v_cmp_gt_i64_e32 vcc, 0, v[3:4]
	v_not_b32_e32 v4, v4
	v_ashrrev_i32_e32 v4, 31, v4
	v_and_b32_e32 v106, v106, v110
	;; [unrolled: 8-line block ×5, first 2 shown]
	v_xor_b32_e32 v110, vcc_hi, v4
	v_xor_b32_e32 v4, vcc_lo, v4
	v_and_b32_e32 v106, v106, v110
	v_and_b32_e32 v110, v22, v4
	v_lshlrev_b32_e32 v4, 24, v21
	v_cmp_gt_i64_e32 vcc, 0, v[3:4]
	v_not_b32_e32 v4, v4
	v_ashrrev_i32_e32 v4, 31, v4
	v_mul_u32_u24_e32 v109, 20, v21
	v_xor_b32_e32 v21, vcc_hi, v4
	v_xor_b32_e32 v4, vcc_lo, v4
	v_and_b32_e32 v22, v106, v21
	v_and_b32_e32 v21, v110, v4
	v_mbcnt_lo_u32_b32 v4, v21, 0
	v_mbcnt_hi_u32_b32 v106, v22, v4
	v_cmp_ne_u64_e32 vcc, 0, v[21:22]
	v_cmp_eq_u32_e64 s[38:39], 0, v106
	s_and_b64 s[40:41], vcc, s[38:39]
	v_add_u32_e32 v110, v91, v109
	; wave barrier
	s_and_saveexec_b64 s[38:39], s[40:41]
	s_cbranch_execz .LBB2054_254
; %bb.253:                              ;   in Loop: Header=BB2054_228 Depth=2
	v_bcnt_u32_b32 v4, v21, 0
	v_bcnt_u32_b32 v4, v22, v4
	s_waitcnt lgkmcnt(0)
	v_add_u32_e32 v4, v104, v4
	ds_write_b32 v110, v4 offset:1040
.LBB2054_254:                           ;   in Loop: Header=BB2054_228 Depth=2
	s_or_b64 exec, exec, s[38:39]
	v_cmp_lt_i16_e32 vcc, -1, v107
	v_cndmask_b32_e32 v4, -1, v65, vcc
	v_xor_b32_e32 v107, v4, v107
	v_cmp_ne_u16_e32 vcc, s7, v107
	v_cndmask_b32_e32 v4, v65, v107, vcc
	v_lshrrev_b32_sdwa v4, s62, v4 dst_sel:DWORD dst_unused:UNUSED_PAD src0_sel:DWORD src1_sel:WORD_0
	v_and_b32_e32 v21, s63, v4
	v_mad_u32_u24 v4, v21, 20, v91
	; wave barrier
	ds_read_b32 v109, v4 offset:1040
	v_and_b32_e32 v4, 1, v21
	v_add_co_u32_e32 v22, vcc, -1, v4
	v_addc_co_u32_e64 v111, s[38:39], 0, -1, vcc
	v_cmp_ne_u32_e32 vcc, 0, v4
	v_xor_b32_e32 v4, vcc_hi, v111
	v_and_b32_e32 v111, exec_hi, v4
	v_lshlrev_b32_e32 v4, 30, v21
	v_xor_b32_e32 v22, vcc_lo, v22
	v_cmp_gt_i64_e32 vcc, 0, v[3:4]
	v_not_b32_e32 v4, v4
	v_ashrrev_i32_e32 v4, 31, v4
	v_and_b32_e32 v22, exec_lo, v22
	v_xor_b32_e32 v114, vcc_hi, v4
	v_xor_b32_e32 v4, vcc_lo, v4
	v_and_b32_e32 v22, v22, v4
	v_lshlrev_b32_e32 v4, 29, v21
	v_cmp_gt_i64_e32 vcc, 0, v[3:4]
	v_not_b32_e32 v4, v4
	v_ashrrev_i32_e32 v4, 31, v4
	v_and_b32_e32 v111, v111, v114
	v_xor_b32_e32 v114, vcc_hi, v4
	v_xor_b32_e32 v4, vcc_lo, v4
	v_and_b32_e32 v22, v22, v4
	v_lshlrev_b32_e32 v4, 28, v21
	v_cmp_gt_i64_e32 vcc, 0, v[3:4]
	v_not_b32_e32 v4, v4
	v_ashrrev_i32_e32 v4, 31, v4
	v_and_b32_e32 v111, v111, v114
	;; [unrolled: 8-line block ×5, first 2 shown]
	v_xor_b32_e32 v114, vcc_hi, v4
	v_xor_b32_e32 v4, vcc_lo, v4
	v_and_b32_e32 v111, v111, v114
	v_and_b32_e32 v114, v22, v4
	v_lshlrev_b32_e32 v4, 24, v21
	v_cmp_gt_i64_e32 vcc, 0, v[3:4]
	v_not_b32_e32 v4, v4
	v_ashrrev_i32_e32 v4, 31, v4
	v_mul_u32_u24_e32 v113, 20, v21
	v_xor_b32_e32 v21, vcc_hi, v4
	v_xor_b32_e32 v4, vcc_lo, v4
	v_and_b32_e32 v22, v111, v21
	v_and_b32_e32 v21, v114, v4
	v_mbcnt_lo_u32_b32 v4, v21, 0
	v_mbcnt_hi_u32_b32 v111, v22, v4
	v_cmp_ne_u64_e32 vcc, 0, v[21:22]
	v_cmp_eq_u32_e64 s[38:39], 0, v111
	s_and_b64 s[40:41], vcc, s[38:39]
	v_add_u32_e32 v114, v91, v113
	; wave barrier
	s_and_saveexec_b64 s[38:39], s[40:41]
	s_cbranch_execz .LBB2054_256
; %bb.255:                              ;   in Loop: Header=BB2054_228 Depth=2
	v_bcnt_u32_b32 v4, v21, 0
	v_bcnt_u32_b32 v4, v22, v4
	s_waitcnt lgkmcnt(0)
	v_add_u32_e32 v4, v109, v4
	ds_write_b32 v114, v4 offset:1040
.LBB2054_256:                           ;   in Loop: Header=BB2054_228 Depth=2
	s_or_b64 exec, exec, s[38:39]
	v_cmp_lt_i16_e32 vcc, -1, v112
	v_cndmask_b32_e32 v4, -1, v65, vcc
	v_xor_b32_e32 v112, v4, v112
	v_cmp_ne_u16_e32 vcc, s7, v112
	v_cndmask_b32_e32 v4, v65, v112, vcc
	v_lshrrev_b32_sdwa v4, s62, v4 dst_sel:DWORD dst_unused:UNUSED_PAD src0_sel:DWORD src1_sel:WORD_0
	v_and_b32_e32 v21, s63, v4
	v_mad_u32_u24 v4, v21, 20, v91
	; wave barrier
	ds_read_b32 v113, v4 offset:1040
	v_and_b32_e32 v4, 1, v21
	v_add_co_u32_e32 v22, vcc, -1, v4
	v_addc_co_u32_e64 v115, s[38:39], 0, -1, vcc
	v_cmp_ne_u32_e32 vcc, 0, v4
	v_xor_b32_e32 v4, vcc_hi, v115
	v_and_b32_e32 v115, exec_hi, v4
	v_lshlrev_b32_e32 v4, 30, v21
	v_xor_b32_e32 v22, vcc_lo, v22
	v_cmp_gt_i64_e32 vcc, 0, v[3:4]
	v_not_b32_e32 v4, v4
	v_ashrrev_i32_e32 v4, 31, v4
	v_and_b32_e32 v22, exec_lo, v22
	v_xor_b32_e32 v117, vcc_hi, v4
	v_xor_b32_e32 v4, vcc_lo, v4
	v_and_b32_e32 v22, v22, v4
	v_lshlrev_b32_e32 v4, 29, v21
	v_cmp_gt_i64_e32 vcc, 0, v[3:4]
	v_not_b32_e32 v4, v4
	v_ashrrev_i32_e32 v4, 31, v4
	v_and_b32_e32 v115, v115, v117
	v_xor_b32_e32 v117, vcc_hi, v4
	v_xor_b32_e32 v4, vcc_lo, v4
	v_and_b32_e32 v22, v22, v4
	v_lshlrev_b32_e32 v4, 28, v21
	v_cmp_gt_i64_e32 vcc, 0, v[3:4]
	v_not_b32_e32 v4, v4
	v_ashrrev_i32_e32 v4, 31, v4
	v_and_b32_e32 v115, v115, v117
	;; [unrolled: 8-line block ×5, first 2 shown]
	v_xor_b32_e32 v117, vcc_hi, v4
	v_xor_b32_e32 v4, vcc_lo, v4
	v_and_b32_e32 v115, v115, v117
	v_and_b32_e32 v117, v22, v4
	v_lshlrev_b32_e32 v4, 24, v21
	v_cmp_gt_i64_e32 vcc, 0, v[3:4]
	v_not_b32_e32 v4, v4
	v_ashrrev_i32_e32 v4, 31, v4
	v_mul_u32_u24_e32 v116, 20, v21
	v_xor_b32_e32 v21, vcc_hi, v4
	v_xor_b32_e32 v4, vcc_lo, v4
	v_and_b32_e32 v22, v115, v21
	v_and_b32_e32 v21, v117, v4
	v_mbcnt_lo_u32_b32 v4, v21, 0
	v_mbcnt_hi_u32_b32 v115, v22, v4
	v_cmp_ne_u64_e32 vcc, 0, v[21:22]
	v_cmp_eq_u32_e64 s[38:39], 0, v115
	s_and_b64 s[40:41], vcc, s[38:39]
	v_add_u32_e32 v118, v91, v116
	; wave barrier
	s_and_saveexec_b64 s[38:39], s[40:41]
	s_cbranch_execz .LBB2054_258
; %bb.257:                              ;   in Loop: Header=BB2054_228 Depth=2
	v_bcnt_u32_b32 v4, v21, 0
	v_bcnt_u32_b32 v4, v22, v4
	s_waitcnt lgkmcnt(0)
	v_add_u32_e32 v4, v113, v4
	ds_write_b32 v118, v4 offset:1040
.LBB2054_258:                           ;   in Loop: Header=BB2054_228 Depth=2
	s_or_b64 exec, exec, s[38:39]
	v_cmp_lt_i16_e32 vcc, -1, v108
	v_cndmask_b32_e32 v4, -1, v65, vcc
	v_xor_b32_e32 v116, v4, v108
	v_cmp_ne_u16_e32 vcc, s7, v116
	v_cndmask_b32_e32 v4, v65, v116, vcc
	v_lshrrev_b32_sdwa v4, s62, v4 dst_sel:DWORD dst_unused:UNUSED_PAD src0_sel:DWORD src1_sel:WORD_0
	v_and_b32_e32 v21, s63, v4
	v_mad_u32_u24 v4, v21, 20, v91
	; wave barrier
	ds_read_b32 v117, v4 offset:1040
	v_and_b32_e32 v4, 1, v21
	v_add_co_u32_e32 v22, vcc, -1, v4
	v_addc_co_u32_e64 v119, s[38:39], 0, -1, vcc
	v_cmp_ne_u32_e32 vcc, 0, v4
	v_xor_b32_e32 v4, vcc_hi, v119
	v_and_b32_e32 v119, exec_hi, v4
	v_lshlrev_b32_e32 v4, 30, v21
	v_xor_b32_e32 v22, vcc_lo, v22
	v_cmp_gt_i64_e32 vcc, 0, v[3:4]
	v_not_b32_e32 v4, v4
	v_ashrrev_i32_e32 v4, 31, v4
	v_and_b32_e32 v22, exec_lo, v22
	v_xor_b32_e32 v120, vcc_hi, v4
	v_xor_b32_e32 v4, vcc_lo, v4
	v_and_b32_e32 v22, v22, v4
	v_lshlrev_b32_e32 v4, 29, v21
	v_cmp_gt_i64_e32 vcc, 0, v[3:4]
	v_not_b32_e32 v4, v4
	v_ashrrev_i32_e32 v4, 31, v4
	v_and_b32_e32 v119, v119, v120
	v_xor_b32_e32 v120, vcc_hi, v4
	v_xor_b32_e32 v4, vcc_lo, v4
	v_and_b32_e32 v22, v22, v4
	v_lshlrev_b32_e32 v4, 28, v21
	v_cmp_gt_i64_e32 vcc, 0, v[3:4]
	v_not_b32_e32 v4, v4
	v_ashrrev_i32_e32 v4, 31, v4
	v_and_b32_e32 v119, v119, v120
	;; [unrolled: 8-line block ×5, first 2 shown]
	v_xor_b32_e32 v120, vcc_hi, v4
	v_xor_b32_e32 v4, vcc_lo, v4
	v_and_b32_e32 v119, v119, v120
	v_and_b32_e32 v120, v22, v4
	v_lshlrev_b32_e32 v4, 24, v21
	v_cmp_gt_i64_e32 vcc, 0, v[3:4]
	v_not_b32_e32 v4, v4
	v_ashrrev_i32_e32 v4, 31, v4
	v_mul_u32_u24_e32 v108, 20, v21
	v_xor_b32_e32 v21, vcc_hi, v4
	v_xor_b32_e32 v4, vcc_lo, v4
	v_and_b32_e32 v22, v119, v21
	v_and_b32_e32 v21, v120, v4
	v_mbcnt_lo_u32_b32 v4, v21, 0
	v_mbcnt_hi_u32_b32 v119, v22, v4
	v_cmp_ne_u64_e32 vcc, 0, v[21:22]
	v_cmp_eq_u32_e64 s[38:39], 0, v119
	s_and_b64 s[40:41], vcc, s[38:39]
	v_add_u32_e32 v108, v91, v108
	; wave barrier
	s_and_saveexec_b64 s[38:39], s[40:41]
	s_cbranch_execz .LBB2054_260
; %bb.259:                              ;   in Loop: Header=BB2054_228 Depth=2
	v_bcnt_u32_b32 v4, v21, 0
	v_bcnt_u32_b32 v4, v22, v4
	s_waitcnt lgkmcnt(0)
	v_add_u32_e32 v4, v117, v4
	ds_write_b32 v108, v4 offset:1040
.LBB2054_260:                           ;   in Loop: Header=BB2054_228 Depth=2
	s_or_b64 exec, exec, s[38:39]
	v_cmp_lt_i16_e32 vcc, -1, v24
	v_cndmask_b32_e32 v4, -1, v65, vcc
	v_xor_b32_e32 v120, v4, v24
	v_cmp_ne_u16_e32 vcc, s7, v120
	v_cndmask_b32_e32 v4, v65, v120, vcc
	v_lshrrev_b32_sdwa v4, s62, v4 dst_sel:DWORD dst_unused:UNUSED_PAD src0_sel:DWORD src1_sel:WORD_0
	v_and_b32_e32 v21, s63, v4
	v_mad_u32_u24 v4, v21, 20, v91
	; wave barrier
	ds_read_b32 v121, v4 offset:1040
	v_and_b32_e32 v4, 1, v21
	v_add_co_u32_e32 v22, vcc, -1, v4
	v_addc_co_u32_e64 v122, s[38:39], 0, -1, vcc
	v_cmp_ne_u32_e32 vcc, 0, v4
	v_xor_b32_e32 v4, vcc_hi, v122
	v_and_b32_e32 v122, exec_hi, v4
	v_lshlrev_b32_e32 v4, 30, v21
	v_xor_b32_e32 v22, vcc_lo, v22
	v_cmp_gt_i64_e32 vcc, 0, v[3:4]
	v_not_b32_e32 v4, v4
	v_ashrrev_i32_e32 v4, 31, v4
	v_and_b32_e32 v22, exec_lo, v22
	v_xor_b32_e32 v123, vcc_hi, v4
	v_xor_b32_e32 v4, vcc_lo, v4
	v_and_b32_e32 v22, v22, v4
	v_lshlrev_b32_e32 v4, 29, v21
	v_cmp_gt_i64_e32 vcc, 0, v[3:4]
	v_not_b32_e32 v4, v4
	v_ashrrev_i32_e32 v4, 31, v4
	v_and_b32_e32 v122, v122, v123
	v_xor_b32_e32 v123, vcc_hi, v4
	v_xor_b32_e32 v4, vcc_lo, v4
	v_and_b32_e32 v22, v22, v4
	v_lshlrev_b32_e32 v4, 28, v21
	v_cmp_gt_i64_e32 vcc, 0, v[3:4]
	v_not_b32_e32 v4, v4
	v_ashrrev_i32_e32 v4, 31, v4
	v_and_b32_e32 v122, v122, v123
	;; [unrolled: 8-line block ×5, first 2 shown]
	v_xor_b32_e32 v123, vcc_hi, v4
	v_xor_b32_e32 v4, vcc_lo, v4
	v_and_b32_e32 v122, v122, v123
	v_and_b32_e32 v123, v22, v4
	v_lshlrev_b32_e32 v4, 24, v21
	v_cmp_gt_i64_e32 vcc, 0, v[3:4]
	v_not_b32_e32 v4, v4
	v_ashrrev_i32_e32 v4, 31, v4
	v_mul_u32_u24_e32 v24, 20, v21
	v_xor_b32_e32 v21, vcc_hi, v4
	v_xor_b32_e32 v4, vcc_lo, v4
	v_and_b32_e32 v22, v122, v21
	v_and_b32_e32 v21, v123, v4
	v_mbcnt_lo_u32_b32 v4, v21, 0
	v_mbcnt_hi_u32_b32 v122, v22, v4
	v_cmp_ne_u64_e32 vcc, 0, v[21:22]
	v_cmp_eq_u32_e64 s[38:39], 0, v122
	s_and_b64 s[40:41], vcc, s[38:39]
	v_add_u32_e32 v125, v91, v24
	; wave barrier
	s_and_saveexec_b64 s[38:39], s[40:41]
	s_cbranch_execz .LBB2054_262
; %bb.261:                              ;   in Loop: Header=BB2054_228 Depth=2
	v_bcnt_u32_b32 v4, v21, 0
	v_bcnt_u32_b32 v4, v22, v4
	s_waitcnt lgkmcnt(0)
	v_add_u32_e32 v4, v121, v4
	ds_write_b32 v125, v4 offset:1040
.LBB2054_262:                           ;   in Loop: Header=BB2054_228 Depth=2
	s_or_b64 exec, exec, s[38:39]
	v_cmp_lt_i16_e32 vcc, -1, v23
	v_cndmask_b32_e32 v4, -1, v65, vcc
	v_xor_b32_e32 v123, v4, v23
	v_cmp_ne_u16_e32 vcc, s7, v123
	v_cndmask_b32_e32 v4, v65, v123, vcc
	v_lshrrev_b32_sdwa v4, s62, v4 dst_sel:DWORD dst_unused:UNUSED_PAD src0_sel:DWORD src1_sel:WORD_0
	v_and_b32_e32 v21, s63, v4
	v_mad_u32_u24 v4, v21, 20, v91
	; wave barrier
	ds_read_b32 v124, v4 offset:1040
	v_and_b32_e32 v4, 1, v21
	v_add_co_u32_e32 v22, vcc, -1, v4
	v_addc_co_u32_e64 v24, s[38:39], 0, -1, vcc
	v_cmp_ne_u32_e32 vcc, 0, v4
	v_xor_b32_e32 v4, vcc_hi, v24
	v_and_b32_e32 v24, exec_hi, v4
	v_lshlrev_b32_e32 v4, 30, v21
	v_xor_b32_e32 v22, vcc_lo, v22
	v_cmp_gt_i64_e32 vcc, 0, v[3:4]
	v_not_b32_e32 v4, v4
	v_ashrrev_i32_e32 v4, 31, v4
	v_and_b32_e32 v22, exec_lo, v22
	v_xor_b32_e32 v126, vcc_hi, v4
	v_xor_b32_e32 v4, vcc_lo, v4
	v_and_b32_e32 v22, v22, v4
	v_lshlrev_b32_e32 v4, 29, v21
	v_cmp_gt_i64_e32 vcc, 0, v[3:4]
	v_not_b32_e32 v4, v4
	v_ashrrev_i32_e32 v4, 31, v4
	v_and_b32_e32 v24, v24, v126
	v_xor_b32_e32 v126, vcc_hi, v4
	v_xor_b32_e32 v4, vcc_lo, v4
	v_and_b32_e32 v22, v22, v4
	v_lshlrev_b32_e32 v4, 28, v21
	v_cmp_gt_i64_e32 vcc, 0, v[3:4]
	v_not_b32_e32 v4, v4
	v_ashrrev_i32_e32 v4, 31, v4
	v_and_b32_e32 v24, v24, v126
	;; [unrolled: 8-line block ×5, first 2 shown]
	v_xor_b32_e32 v126, vcc_hi, v4
	v_xor_b32_e32 v4, vcc_lo, v4
	v_and_b32_e32 v24, v24, v126
	v_and_b32_e32 v126, v22, v4
	v_lshlrev_b32_e32 v4, 24, v21
	v_cmp_gt_i64_e32 vcc, 0, v[3:4]
	v_not_b32_e32 v4, v4
	v_ashrrev_i32_e32 v4, 31, v4
	v_mul_u32_u24_e32 v23, 20, v21
	v_xor_b32_e32 v21, vcc_hi, v4
	v_xor_b32_e32 v4, vcc_lo, v4
	v_and_b32_e32 v22, v24, v21
	v_and_b32_e32 v21, v126, v4
	v_mbcnt_lo_u32_b32 v4, v21, 0
	v_mbcnt_hi_u32_b32 v126, v22, v4
	v_cmp_ne_u64_e32 vcc, 0, v[21:22]
	v_cmp_eq_u32_e64 s[38:39], 0, v126
	s_and_b64 s[40:41], vcc, s[38:39]
	v_add_u32_e32 v4, v91, v23
	; wave barrier
	s_and_saveexec_b64 s[38:39], s[40:41]
	s_cbranch_execz .LBB2054_264
; %bb.263:                              ;   in Loop: Header=BB2054_228 Depth=2
	v_bcnt_u32_b32 v21, v21, 0
	v_bcnt_u32_b32 v21, v22, v21
	s_waitcnt lgkmcnt(0)
	v_add_u32_e32 v21, v124, v21
	ds_write_b32 v4, v21 offset:1040
.LBB2054_264:                           ;   in Loop: Header=BB2054_228 Depth=2
	s_or_b64 exec, exec, s[38:39]
	; wave barrier
	s_waitcnt lgkmcnt(0)
	s_barrier
	ds_read2_b32 v[23:24], v62 offset1:1
	ds_read2_b32 v[21:22], v63 offset1:1
	ds_read_b32 v127, v41 offset:1056
	s_waitcnt lgkmcnt(1)
	v_add3_u32 v128, v24, v23, v21
	s_waitcnt lgkmcnt(0)
	v_add3_u32 v127, v128, v22, v127
	s_nop 1
	v_mov_b32_dpp v128, v127 row_shr:1 row_mask:0xf bank_mask:0xf
	v_cndmask_b32_e64 v128, v128, 0, s[18:19]
	v_add_u32_e32 v127, v128, v127
	s_nop 1
	v_mov_b32_dpp v128, v127 row_shr:2 row_mask:0xf bank_mask:0xf
	v_cndmask_b32_e64 v128, 0, v128, s[20:21]
	v_add_u32_e32 v127, v127, v128
	;; [unrolled: 4-line block ×4, first 2 shown]
	s_nop 1
	v_mov_b32_dpp v128, v127 row_bcast:15 row_mask:0xf bank_mask:0xf
	v_cndmask_b32_e64 v128, v128, 0, s[26:27]
	v_add_u32_e32 v127, v127, v128
	s_nop 1
	v_mov_b32_dpp v128, v127 row_bcast:31 row_mask:0xf bank_mask:0xf
	v_cndmask_b32_e64 v128, 0, v128, s[28:29]
	v_add_u32_e32 v127, v127, v128
	s_and_saveexec_b64 s[38:39], s[8:9]
; %bb.265:                              ;   in Loop: Header=BB2054_228 Depth=2
	ds_write_b32 v37, v127 offset:1024
; %bb.266:                              ;   in Loop: Header=BB2054_228 Depth=2
	s_or_b64 exec, exec, s[38:39]
	s_waitcnt lgkmcnt(0)
	s_barrier
	s_and_saveexec_b64 s[38:39], s[10:11]
	s_cbranch_execz .LBB2054_268
; %bb.267:                              ;   in Loop: Header=BB2054_228 Depth=2
	ds_read_b32 v128, v42 offset:1024
	s_waitcnt lgkmcnt(0)
	s_nop 0
	v_mov_b32_dpp v129, v128 row_shr:1 row_mask:0xf bank_mask:0xf
	v_cndmask_b32_e64 v129, v129, 0, s[34:35]
	v_add_u32_e32 v128, v129, v128
	s_nop 1
	v_mov_b32_dpp v129, v128 row_shr:2 row_mask:0xf bank_mask:0xf
	v_cndmask_b32_e64 v129, 0, v129, s[36:37]
	v_add_u32_e32 v128, v128, v129
	ds_write_b32 v42, v128 offset:1024
.LBB2054_268:                           ;   in Loop: Header=BB2054_228 Depth=2
	s_or_b64 exec, exec, s[38:39]
	v_mov_b32_e32 v128, 0
	s_waitcnt lgkmcnt(0)
	s_barrier
	s_and_saveexec_b64 s[38:39], s[12:13]
; %bb.269:                              ;   in Loop: Header=BB2054_228 Depth=2
	ds_read_b32 v128, v37 offset:1020
; %bb.270:                              ;   in Loop: Header=BB2054_228 Depth=2
	s_or_b64 exec, exec, s[38:39]
	s_waitcnt lgkmcnt(0)
	v_add_u32_e32 v127, v128, v127
	ds_bpermute_b32 v127, v82, v127
	s_waitcnt lgkmcnt(0)
	v_cndmask_b32_e64 v127, v127, v128, s[30:31]
	v_cndmask_b32_e64 v127, v127, 0, s[14:15]
	v_add_u32_e32 v23, v127, v23
	v_add_u32_e32 v24, v23, v24
	;; [unrolled: 1-line block ×4, first 2 shown]
	ds_write2_b32 v62, v127, v23 offset1:1
	ds_write2_b32 v63, v24, v21 offset1:1
	ds_write_b32 v41, v22 offset:1056
	s_waitcnt lgkmcnt(0)
	s_barrier
	ds_read_b32 v21, v101 offset:1040
	ds_read_b32 v22, v105 offset:1040
	;; [unrolled: 1-line block ×9, first 2 shown]
	v_mov_b32_e32 v4, 0x800
	s_and_saveexec_b64 s[38:39], s[16:17]
; %bb.271:                              ;   in Loop: Header=BB2054_228 Depth=2
	ds_read_b32 v4, v41 offset:1060
; %bb.272:                              ;   in Loop: Header=BB2054_228 Depth=2
	s_or_b64 exec, exec, s[38:39]
	s_waitcnt lgkmcnt(0)
	s_barrier
	s_and_saveexec_b64 s[38:39], s[4:5]
	s_cbranch_execz .LBB2054_274
; %bb.273:                              ;   in Loop: Header=BB2054_228 Depth=2
	ds_read_b32 v105, v25
	s_waitcnt lgkmcnt(0)
	v_sub_u32_e32 v101, v105, v101
	ds_write_b32 v25, v101
.LBB2054_274:                           ;   in Loop: Header=BB2054_228 Depth=2
	s_or_b64 exec, exec, s[38:39]
	v_add_u32_e32 v108, v21, v98
	v_add3_u32 v105, v102, v100, v22
	v_lshlrev_b32_e32 v21, 1, v108
	v_add3_u32 v102, v106, v104, v23
	ds_write_b16 v21, v97 offset:1024
	v_lshlrev_b32_e32 v21, 1, v105
	v_add3_u32 v101, v111, v109, v24
	ds_write_b16 v21, v99 offset:1024
	;; [unrolled: 3-line block ×6, first 2 shown]
	v_lshlrev_b32_e32 v21, 1, v24
	ds_write_b16 v21, v120 offset:1024
	v_lshlrev_b32_e32 v21, 1, v23
	v_cmp_lt_u32_e32 vcc, v0, v96
	ds_write_b16 v21, v123 offset:1024
	s_waitcnt lgkmcnt(0)
	s_barrier
	s_and_saveexec_b64 s[40:41], vcc
	s_cbranch_execnz .LBB2054_311
; %bb.275:                              ;   in Loop: Header=BB2054_228 Depth=2
	s_or_b64 exec, exec, s[40:41]
	v_cmp_lt_u32_e64 s[38:39], v26, v96
	s_and_saveexec_b64 s[42:43], s[38:39]
	s_cbranch_execnz .LBB2054_312
.LBB2054_276:                           ;   in Loop: Header=BB2054_228 Depth=2
	s_or_b64 exec, exec, s[42:43]
	v_cmp_lt_u32_e64 s[40:41], v27, v96
	s_and_saveexec_b64 s[44:45], s[40:41]
	s_cbranch_execnz .LBB2054_313
.LBB2054_277:                           ;   in Loop: Header=BB2054_228 Depth=2
	s_or_b64 exec, exec, s[44:45]
	v_cmp_lt_u32_e64 s[42:43], v28, v96
	s_and_saveexec_b64 s[46:47], s[42:43]
	s_cbranch_execnz .LBB2054_314
.LBB2054_278:                           ;   in Loop: Header=BB2054_228 Depth=2
	s_or_b64 exec, exec, s[46:47]
	v_cmp_lt_u32_e64 s[44:45], v31, v96
	s_and_saveexec_b64 s[48:49], s[44:45]
	s_cbranch_execnz .LBB2054_315
.LBB2054_279:                           ;   in Loop: Header=BB2054_228 Depth=2
	s_or_b64 exec, exec, s[48:49]
	v_cmp_lt_u32_e64 s[46:47], v32, v96
	s_and_saveexec_b64 s[50:51], s[46:47]
	s_cbranch_execnz .LBB2054_316
.LBB2054_280:                           ;   in Loop: Header=BB2054_228 Depth=2
	s_or_b64 exec, exec, s[50:51]
	v_cmp_lt_u32_e64 s[48:49], v33, v96
	s_and_saveexec_b64 s[52:53], s[48:49]
	s_cbranch_execnz .LBB2054_317
.LBB2054_281:                           ;   in Loop: Header=BB2054_228 Depth=2
	s_or_b64 exec, exec, s[52:53]
	v_cmp_lt_u32_e64 s[50:51], v34, v96
	s_and_saveexec_b64 s[60:61], s[50:51]
	s_cbranch_execz .LBB2054_283
.LBB2054_282:                           ;   in Loop: Header=BB2054_228 Depth=2
	ds_read_u16 v21, v47 offset:4608
	v_mov_b32_e32 v22, v3
	v_mov_b32_e32 v99, s69
	s_waitcnt lgkmcnt(0)
	v_cmp_ne_u16_e64 s[52:53], s7, v21
	v_cndmask_b32_e64 v97, v65, v21, s[52:53]
	v_lshrrev_b32_sdwa v97, s62, v97 dst_sel:DWORD dst_unused:UNUSED_PAD src0_sel:DWORD src1_sel:WORD_0
	v_and_b32_e32 v97, s63, v97
	v_lshlrev_b32_e32 v97, 2, v97
	ds_read_b32 v97, v97
	v_cmp_lt_i16_e64 s[52:53], -1, v21
	v_cndmask_b32_e64 v103, v65, -1, s[52:53]
	v_xor_b32_e32 v103, v103, v21
	s_waitcnt lgkmcnt(0)
	v_add_u32_e32 v21, v97, v34
	v_lshlrev_b64 v[21:22], 1, v[21:22]
	v_add_co_u32_e64 v21, s[52:53], s68, v21
	v_addc_co_u32_e64 v22, s[52:53], v99, v22, s[52:53]
	global_store_short v[21:22], v103, off
.LBB2054_283:                           ;   in Loop: Header=BB2054_228 Depth=2
	s_or_b64 exec, exec, s[60:61]
	s_lshl_b64 s[52:53], s[58:59], 3
	v_mov_b32_e32 v22, s53
	v_add_co_u32_e64 v21, s[52:53], s52, v83
	v_addc_co_u32_e64 v22, s[52:53], v84, v22, s[52:53]
	v_cmp_lt_u32_e64 s[52:53], v73, v96
	s_and_saveexec_b64 s[60:61], s[52:53]
	s_xor_b64 s[52:53], exec, s[60:61]
	s_cbranch_execnz .LBB2054_318
; %bb.284:                              ;   in Loop: Header=BB2054_228 Depth=2
	s_or_b64 exec, exec, s[52:53]
	v_cmp_lt_u32_e64 s[52:53], v74, v96
	s_and_saveexec_b64 s[60:61], s[52:53]
	s_cbranch_execnz .LBB2054_319
.LBB2054_285:                           ;   in Loop: Header=BB2054_228 Depth=2
	s_or_b64 exec, exec, s[60:61]
	v_cmp_lt_u32_e64 s[52:53], v75, v96
	s_and_saveexec_b64 s[60:61], s[52:53]
	s_cbranch_execnz .LBB2054_320
.LBB2054_286:                           ;   in Loop: Header=BB2054_228 Depth=2
	s_or_b64 exec, exec, s[60:61]
	v_cmp_lt_u32_e64 s[52:53], v76, v96
	s_and_saveexec_b64 s[60:61], s[52:53]
	s_cbranch_execnz .LBB2054_321
.LBB2054_287:                           ;   in Loop: Header=BB2054_228 Depth=2
	s_or_b64 exec, exec, s[60:61]
	v_cmp_lt_u32_e64 s[52:53], v77, v96
	s_and_saveexec_b64 s[60:61], s[52:53]
	s_cbranch_execnz .LBB2054_322
.LBB2054_288:                           ;   in Loop: Header=BB2054_228 Depth=2
	s_or_b64 exec, exec, s[60:61]
	v_cmp_lt_u32_e64 s[52:53], v78, v96
	s_and_saveexec_b64 s[60:61], s[52:53]
	s_cbranch_execnz .LBB2054_323
.LBB2054_289:                           ;   in Loop: Header=BB2054_228 Depth=2
	s_or_b64 exec, exec, s[60:61]
	v_cmp_lt_u32_e64 s[52:53], v79, v96
	s_and_saveexec_b64 s[60:61], s[52:53]
	s_cbranch_execnz .LBB2054_324
.LBB2054_290:                           ;   in Loop: Header=BB2054_228 Depth=2
	s_or_b64 exec, exec, s[60:61]
	v_cmp_lt_u32_e64 s[52:53], v80, v96
	s_and_saveexec_b64 s[60:61], s[52:53]
	s_cbranch_execnz .LBB2054_325
.LBB2054_291:                           ;   in Loop: Header=BB2054_228 Depth=2
	s_or_b64 exec, exec, s[60:61]
	s_and_saveexec_b64 s[60:61], vcc
	s_cbranch_execnz .LBB2054_326
.LBB2054_292:                           ;   in Loop: Header=BB2054_228 Depth=2
	s_or_b64 exec, exec, s[60:61]
	s_and_saveexec_b64 s[60:61], s[38:39]
	s_cbranch_execnz .LBB2054_327
.LBB2054_293:                           ;   in Loop: Header=BB2054_228 Depth=2
	s_or_b64 exec, exec, s[60:61]
	s_and_saveexec_b64 s[60:61], s[40:41]
	s_cbranch_execnz .LBB2054_328
.LBB2054_294:                           ;   in Loop: Header=BB2054_228 Depth=2
	s_or_b64 exec, exec, s[60:61]
	s_and_saveexec_b64 s[60:61], s[42:43]
	s_cbranch_execnz .LBB2054_329
.LBB2054_295:                           ;   in Loop: Header=BB2054_228 Depth=2
	s_or_b64 exec, exec, s[60:61]
	s_and_saveexec_b64 s[60:61], s[44:45]
	s_cbranch_execnz .LBB2054_330
.LBB2054_296:                           ;   in Loop: Header=BB2054_228 Depth=2
	s_or_b64 exec, exec, s[60:61]
	s_and_saveexec_b64 s[60:61], s[46:47]
	s_cbranch_execnz .LBB2054_331
.LBB2054_297:                           ;   in Loop: Header=BB2054_228 Depth=2
	s_or_b64 exec, exec, s[60:61]
	s_and_saveexec_b64 s[60:61], s[48:49]
	s_cbranch_execnz .LBB2054_332
.LBB2054_298:                           ;   in Loop: Header=BB2054_228 Depth=2
	s_or_b64 exec, exec, s[60:61]
	s_and_saveexec_b64 s[60:61], s[50:51]
	s_cbranch_execz .LBB2054_300
.LBB2054_299:                           ;   in Loop: Header=BB2054_228 Depth=2
	ds_read_u16 v21, v47 offset:4608
	s_waitcnt lgkmcnt(0)
	v_cmp_ne_u16_e64 s[52:53], s7, v21
	v_cndmask_b32_e64 v21, v65, v21, s[52:53]
	v_lshrrev_b32_sdwa v21, s62, v21 dst_sel:DWORD dst_unused:UNUSED_PAD src0_sel:DWORD src1_sel:WORD_0
	v_and_b32_e32 v87, s63, v21
.LBB2054_300:                           ;   in Loop: Header=BB2054_228 Depth=2
	s_or_b64 exec, exec, s[60:61]
	v_lshlrev_b32_e32 v21, 3, v108
	s_waitcnt vmcnt(0)
	s_barrier
	ds_write_b64 v21, v[19:20] offset:1024
	v_lshlrev_b32_e32 v21, 3, v105
	ds_write_b64 v21, v[17:18] offset:1024
	v_lshlrev_b32_e32 v21, 3, v102
	;; [unrolled: 2-line block ×7, first 2 shown]
	ds_write_b64 v21, v[5:6] offset:1024
	s_waitcnt lgkmcnt(0)
	s_barrier
	s_and_saveexec_b64 s[52:53], vcc
	s_cbranch_execnz .LBB2054_333
; %bb.301:                              ;   in Loop: Header=BB2054_228 Depth=2
	s_or_b64 exec, exec, s[52:53]
	s_and_saveexec_b64 s[52:53], s[38:39]
	s_cbranch_execnz .LBB2054_334
.LBB2054_302:                           ;   in Loop: Header=BB2054_228 Depth=2
	s_or_b64 exec, exec, s[52:53]
	s_and_saveexec_b64 s[38:39], s[40:41]
	s_cbranch_execnz .LBB2054_335
.LBB2054_303:                           ;   in Loop: Header=BB2054_228 Depth=2
	s_or_b64 exec, exec, s[38:39]
	s_and_saveexec_b64 s[38:39], s[42:43]
	s_cbranch_execnz .LBB2054_336
.LBB2054_304:                           ;   in Loop: Header=BB2054_228 Depth=2
	s_or_b64 exec, exec, s[38:39]
	s_and_saveexec_b64 s[38:39], s[44:45]
	s_cbranch_execnz .LBB2054_337
.LBB2054_305:                           ;   in Loop: Header=BB2054_228 Depth=2
	s_or_b64 exec, exec, s[38:39]
	s_and_saveexec_b64 s[38:39], s[46:47]
	s_cbranch_execnz .LBB2054_338
.LBB2054_306:                           ;   in Loop: Header=BB2054_228 Depth=2
	s_or_b64 exec, exec, s[38:39]
	s_and_saveexec_b64 s[38:39], s[48:49]
	s_cbranch_execnz .LBB2054_339
.LBB2054_307:                           ;   in Loop: Header=BB2054_228 Depth=2
	s_or_b64 exec, exec, s[38:39]
	s_and_saveexec_b64 s[38:39], s[50:51]
	s_cbranch_execz .LBB2054_309
.LBB2054_308:                           ;   in Loop: Header=BB2054_228 Depth=2
	v_lshlrev_b32_e32 v21, 2, v87
	ds_read_b32 v23, v21
	v_add_u32_e32 v21, v47, v48
	ds_read_b64 v[21:22], v21 offset:15360
	v_mov_b32_e32 v24, v3
	v_mov_b32_e32 v96, s75
	s_waitcnt lgkmcnt(1)
	v_add_u32_e32 v23, v23, v34
	v_lshlrev_b64 v[23:24], 3, v[23:24]
	v_add_co_u32_e32 v23, vcc, s74, v23
	v_addc_co_u32_e32 v24, vcc, v96, v24, vcc
	s_waitcnt lgkmcnt(0)
	global_store_dwordx2 v[23:24], v[21:22], off
.LBB2054_309:                           ;   in Loop: Header=BB2054_228 Depth=2
	s_or_b64 exec, exec, s[38:39]
	s_waitcnt vmcnt(0)
	s_barrier
	s_and_saveexec_b64 s[38:39], s[4:5]
	s_cbranch_execz .LBB2054_227
; %bb.310:                              ;   in Loop: Header=BB2054_228 Depth=2
	ds_read_b32 v21, v25
	s_waitcnt lgkmcnt(0)
	v_add_u32_e32 v4, v21, v4
	ds_write_b32 v25, v4
	s_branch .LBB2054_227
.LBB2054_311:                           ;   in Loop: Header=BB2054_228 Depth=2
	ds_read_u16 v21, v47 offset:1024
	v_mov_b32_e32 v22, v3
	v_mov_b32_e32 v99, s69
	s_waitcnt lgkmcnt(0)
	v_cmp_ne_u16_e64 s[38:39], s7, v21
	v_cndmask_b32_e64 v97, v65, v21, s[38:39]
	v_lshrrev_b32_sdwa v97, s62, v97 dst_sel:DWORD dst_unused:UNUSED_PAD src0_sel:DWORD src1_sel:WORD_0
	v_and_b32_e32 v97, s63, v97
	v_lshlrev_b32_e32 v97, 2, v97
	ds_read_b32 v97, v97
	v_cmp_lt_i16_e64 s[38:39], -1, v21
	v_cndmask_b32_e64 v103, v65, -1, s[38:39]
	v_xor_b32_e32 v103, v103, v21
	s_waitcnt lgkmcnt(0)
	v_add_u32_e32 v21, v97, v0
	v_lshlrev_b64 v[21:22], 1, v[21:22]
	v_add_co_u32_e64 v21, s[38:39], s68, v21
	v_addc_co_u32_e64 v22, s[38:39], v99, v22, s[38:39]
	global_store_short v[21:22], v103, off
	s_or_b64 exec, exec, s[40:41]
	v_cmp_lt_u32_e64 s[38:39], v26, v96
	s_and_saveexec_b64 s[42:43], s[38:39]
	s_cbranch_execz .LBB2054_276
.LBB2054_312:                           ;   in Loop: Header=BB2054_228 Depth=2
	ds_read_u16 v21, v47 offset:1536
	v_mov_b32_e32 v22, v3
	v_mov_b32_e32 v99, s69
	s_waitcnt lgkmcnt(0)
	v_cmp_ne_u16_e64 s[40:41], s7, v21
	v_cndmask_b32_e64 v97, v65, v21, s[40:41]
	v_lshrrev_b32_sdwa v97, s62, v97 dst_sel:DWORD dst_unused:UNUSED_PAD src0_sel:DWORD src1_sel:WORD_0
	v_and_b32_e32 v97, s63, v97
	v_lshlrev_b32_e32 v97, 2, v97
	ds_read_b32 v97, v97
	v_cmp_lt_i16_e64 s[40:41], -1, v21
	v_cndmask_b32_e64 v103, v65, -1, s[40:41]
	v_xor_b32_e32 v103, v103, v21
	s_waitcnt lgkmcnt(0)
	v_add_u32_e32 v21, v97, v26
	v_lshlrev_b64 v[21:22], 1, v[21:22]
	v_add_co_u32_e64 v21, s[40:41], s68, v21
	v_addc_co_u32_e64 v22, s[40:41], v99, v22, s[40:41]
	global_store_short v[21:22], v103, off
	s_or_b64 exec, exec, s[42:43]
	v_cmp_lt_u32_e64 s[40:41], v27, v96
	s_and_saveexec_b64 s[44:45], s[40:41]
	s_cbranch_execz .LBB2054_277
.LBB2054_313:                           ;   in Loop: Header=BB2054_228 Depth=2
	ds_read_u16 v21, v47 offset:2048
	v_mov_b32_e32 v22, v3
	v_mov_b32_e32 v99, s69
	s_waitcnt lgkmcnt(0)
	v_cmp_ne_u16_e64 s[42:43], s7, v21
	v_cndmask_b32_e64 v97, v65, v21, s[42:43]
	v_lshrrev_b32_sdwa v97, s62, v97 dst_sel:DWORD dst_unused:UNUSED_PAD src0_sel:DWORD src1_sel:WORD_0
	v_and_b32_e32 v97, s63, v97
	v_lshlrev_b32_e32 v97, 2, v97
	ds_read_b32 v97, v97
	v_cmp_lt_i16_e64 s[42:43], -1, v21
	v_cndmask_b32_e64 v103, v65, -1, s[42:43]
	v_xor_b32_e32 v103, v103, v21
	s_waitcnt lgkmcnt(0)
	v_add_u32_e32 v21, v97, v27
	v_lshlrev_b64 v[21:22], 1, v[21:22]
	v_add_co_u32_e64 v21, s[42:43], s68, v21
	v_addc_co_u32_e64 v22, s[42:43], v99, v22, s[42:43]
	global_store_short v[21:22], v103, off
	s_or_b64 exec, exec, s[44:45]
	v_cmp_lt_u32_e64 s[42:43], v28, v96
	s_and_saveexec_b64 s[46:47], s[42:43]
	s_cbranch_execz .LBB2054_278
.LBB2054_314:                           ;   in Loop: Header=BB2054_228 Depth=2
	ds_read_u16 v21, v47 offset:2560
	v_mov_b32_e32 v22, v3
	v_mov_b32_e32 v99, s69
	s_waitcnt lgkmcnt(0)
	v_cmp_ne_u16_e64 s[44:45], s7, v21
	v_cndmask_b32_e64 v97, v65, v21, s[44:45]
	v_lshrrev_b32_sdwa v97, s62, v97 dst_sel:DWORD dst_unused:UNUSED_PAD src0_sel:DWORD src1_sel:WORD_0
	v_and_b32_e32 v97, s63, v97
	v_lshlrev_b32_e32 v97, 2, v97
	ds_read_b32 v97, v97
	v_cmp_lt_i16_e64 s[44:45], -1, v21
	v_cndmask_b32_e64 v103, v65, -1, s[44:45]
	v_xor_b32_e32 v103, v103, v21
	s_waitcnt lgkmcnt(0)
	v_add_u32_e32 v21, v97, v28
	v_lshlrev_b64 v[21:22], 1, v[21:22]
	v_add_co_u32_e64 v21, s[44:45], s68, v21
	v_addc_co_u32_e64 v22, s[44:45], v99, v22, s[44:45]
	global_store_short v[21:22], v103, off
	s_or_b64 exec, exec, s[46:47]
	v_cmp_lt_u32_e64 s[44:45], v31, v96
	s_and_saveexec_b64 s[48:49], s[44:45]
	s_cbranch_execz .LBB2054_279
.LBB2054_315:                           ;   in Loop: Header=BB2054_228 Depth=2
	ds_read_u16 v21, v47 offset:3072
	v_mov_b32_e32 v22, v3
	v_mov_b32_e32 v99, s69
	s_waitcnt lgkmcnt(0)
	v_cmp_ne_u16_e64 s[46:47], s7, v21
	v_cndmask_b32_e64 v97, v65, v21, s[46:47]
	v_lshrrev_b32_sdwa v97, s62, v97 dst_sel:DWORD dst_unused:UNUSED_PAD src0_sel:DWORD src1_sel:WORD_0
	v_and_b32_e32 v97, s63, v97
	v_lshlrev_b32_e32 v97, 2, v97
	ds_read_b32 v97, v97
	v_cmp_lt_i16_e64 s[46:47], -1, v21
	v_cndmask_b32_e64 v103, v65, -1, s[46:47]
	v_xor_b32_e32 v103, v103, v21
	s_waitcnt lgkmcnt(0)
	v_add_u32_e32 v21, v97, v31
	v_lshlrev_b64 v[21:22], 1, v[21:22]
	v_add_co_u32_e64 v21, s[46:47], s68, v21
	v_addc_co_u32_e64 v22, s[46:47], v99, v22, s[46:47]
	global_store_short v[21:22], v103, off
	s_or_b64 exec, exec, s[48:49]
	v_cmp_lt_u32_e64 s[46:47], v32, v96
	s_and_saveexec_b64 s[50:51], s[46:47]
	s_cbranch_execz .LBB2054_280
.LBB2054_316:                           ;   in Loop: Header=BB2054_228 Depth=2
	ds_read_u16 v21, v47 offset:3584
	v_mov_b32_e32 v22, v3
	v_mov_b32_e32 v99, s69
	s_waitcnt lgkmcnt(0)
	v_cmp_ne_u16_e64 s[48:49], s7, v21
	v_cndmask_b32_e64 v97, v65, v21, s[48:49]
	v_lshrrev_b32_sdwa v97, s62, v97 dst_sel:DWORD dst_unused:UNUSED_PAD src0_sel:DWORD src1_sel:WORD_0
	v_and_b32_e32 v97, s63, v97
	v_lshlrev_b32_e32 v97, 2, v97
	ds_read_b32 v97, v97
	v_cmp_lt_i16_e64 s[48:49], -1, v21
	v_cndmask_b32_e64 v103, v65, -1, s[48:49]
	v_xor_b32_e32 v103, v103, v21
	s_waitcnt lgkmcnt(0)
	v_add_u32_e32 v21, v97, v32
	v_lshlrev_b64 v[21:22], 1, v[21:22]
	v_add_co_u32_e64 v21, s[48:49], s68, v21
	v_addc_co_u32_e64 v22, s[48:49], v99, v22, s[48:49]
	global_store_short v[21:22], v103, off
	s_or_b64 exec, exec, s[50:51]
	v_cmp_lt_u32_e64 s[48:49], v33, v96
	s_and_saveexec_b64 s[52:53], s[48:49]
	s_cbranch_execz .LBB2054_281
.LBB2054_317:                           ;   in Loop: Header=BB2054_228 Depth=2
	ds_read_u16 v21, v47 offset:4096
	v_mov_b32_e32 v22, v3
	v_mov_b32_e32 v99, s69
	s_waitcnt lgkmcnt(0)
	v_cmp_ne_u16_e64 s[50:51], s7, v21
	v_cndmask_b32_e64 v97, v65, v21, s[50:51]
	v_lshrrev_b32_sdwa v97, s62, v97 dst_sel:DWORD dst_unused:UNUSED_PAD src0_sel:DWORD src1_sel:WORD_0
	v_and_b32_e32 v97, s63, v97
	v_lshlrev_b32_e32 v97, 2, v97
	ds_read_b32 v97, v97
	v_cmp_lt_i16_e64 s[50:51], -1, v21
	v_cndmask_b32_e64 v103, v65, -1, s[50:51]
	v_xor_b32_e32 v103, v103, v21
	s_waitcnt lgkmcnt(0)
	v_add_u32_e32 v21, v97, v33
	v_lshlrev_b64 v[21:22], 1, v[21:22]
	v_add_co_u32_e64 v21, s[50:51], s68, v21
	v_addc_co_u32_e64 v22, s[50:51], v99, v22, s[50:51]
	global_store_short v[21:22], v103, off
	s_or_b64 exec, exec, s[52:53]
	v_cmp_lt_u32_e64 s[50:51], v34, v96
	s_and_saveexec_b64 s[60:61], s[50:51]
	s_cbranch_execnz .LBB2054_282
	s_branch .LBB2054_283
.LBB2054_318:                           ;   in Loop: Header=BB2054_228 Depth=2
	global_load_dwordx2 v[19:20], v[21:22], off
	s_or_b64 exec, exec, s[52:53]
	v_cmp_lt_u32_e64 s[52:53], v74, v96
	s_and_saveexec_b64 s[60:61], s[52:53]
	s_cbranch_execz .LBB2054_285
.LBB2054_319:                           ;   in Loop: Header=BB2054_228 Depth=2
	global_load_dwordx2 v[17:18], v[21:22], off offset:512
	s_or_b64 exec, exec, s[60:61]
	v_cmp_lt_u32_e64 s[52:53], v75, v96
	s_and_saveexec_b64 s[60:61], s[52:53]
	s_cbranch_execz .LBB2054_286
.LBB2054_320:                           ;   in Loop: Header=BB2054_228 Depth=2
	global_load_dwordx2 v[15:16], v[21:22], off offset:1024
	s_or_b64 exec, exec, s[60:61]
	v_cmp_lt_u32_e64 s[52:53], v76, v96
	s_and_saveexec_b64 s[60:61], s[52:53]
	s_cbranch_execz .LBB2054_287
.LBB2054_321:                           ;   in Loop: Header=BB2054_228 Depth=2
	global_load_dwordx2 v[13:14], v[21:22], off offset:1536
	s_or_b64 exec, exec, s[60:61]
	v_cmp_lt_u32_e64 s[52:53], v77, v96
	s_and_saveexec_b64 s[60:61], s[52:53]
	s_cbranch_execz .LBB2054_288
.LBB2054_322:                           ;   in Loop: Header=BB2054_228 Depth=2
	global_load_dwordx2 v[11:12], v[21:22], off offset:2048
	s_or_b64 exec, exec, s[60:61]
	v_cmp_lt_u32_e64 s[52:53], v78, v96
	s_and_saveexec_b64 s[60:61], s[52:53]
	s_cbranch_execz .LBB2054_289
.LBB2054_323:                           ;   in Loop: Header=BB2054_228 Depth=2
	global_load_dwordx2 v[9:10], v[21:22], off offset:2560
	s_or_b64 exec, exec, s[60:61]
	v_cmp_lt_u32_e64 s[52:53], v79, v96
	s_and_saveexec_b64 s[60:61], s[52:53]
	s_cbranch_execz .LBB2054_290
.LBB2054_324:                           ;   in Loop: Header=BB2054_228 Depth=2
	global_load_dwordx2 v[7:8], v[21:22], off offset:3072
	s_or_b64 exec, exec, s[60:61]
	v_cmp_lt_u32_e64 s[52:53], v80, v96
	s_and_saveexec_b64 s[60:61], s[52:53]
	s_cbranch_execz .LBB2054_291
.LBB2054_325:                           ;   in Loop: Header=BB2054_228 Depth=2
	global_load_dwordx2 v[5:6], v[21:22], off offset:3584
	s_or_b64 exec, exec, s[60:61]
	s_and_saveexec_b64 s[60:61], vcc
	s_cbranch_execz .LBB2054_292
.LBB2054_326:                           ;   in Loop: Header=BB2054_228 Depth=2
	ds_read_u16 v21, v47 offset:1024
	s_waitcnt lgkmcnt(0)
	v_cmp_ne_u16_e64 s[52:53], s7, v21
	v_cndmask_b32_e64 v21, v65, v21, s[52:53]
	v_lshrrev_b32_sdwa v21, s62, v21 dst_sel:DWORD dst_unused:UNUSED_PAD src0_sel:DWORD src1_sel:WORD_0
	v_and_b32_e32 v95, s63, v21
	s_or_b64 exec, exec, s[60:61]
	s_and_saveexec_b64 s[60:61], s[38:39]
	s_cbranch_execz .LBB2054_293
.LBB2054_327:                           ;   in Loop: Header=BB2054_228 Depth=2
	ds_read_u16 v21, v47 offset:1536
	s_waitcnt lgkmcnt(0)
	v_cmp_ne_u16_e64 s[52:53], s7, v21
	v_cndmask_b32_e64 v21, v65, v21, s[52:53]
	v_lshrrev_b32_sdwa v21, s62, v21 dst_sel:DWORD dst_unused:UNUSED_PAD src0_sel:DWORD src1_sel:WORD_0
	v_and_b32_e32 v94, s63, v21
	s_or_b64 exec, exec, s[60:61]
	s_and_saveexec_b64 s[60:61], s[40:41]
	s_cbranch_execz .LBB2054_294
.LBB2054_328:                           ;   in Loop: Header=BB2054_228 Depth=2
	ds_read_u16 v21, v47 offset:2048
	s_waitcnt lgkmcnt(0)
	v_cmp_ne_u16_e64 s[52:53], s7, v21
	v_cndmask_b32_e64 v21, v65, v21, s[52:53]
	v_lshrrev_b32_sdwa v21, s62, v21 dst_sel:DWORD dst_unused:UNUSED_PAD src0_sel:DWORD src1_sel:WORD_0
	v_and_b32_e32 v93, s63, v21
	s_or_b64 exec, exec, s[60:61]
	s_and_saveexec_b64 s[60:61], s[42:43]
	s_cbranch_execz .LBB2054_295
.LBB2054_329:                           ;   in Loop: Header=BB2054_228 Depth=2
	ds_read_u16 v21, v47 offset:2560
	s_waitcnt lgkmcnt(0)
	v_cmp_ne_u16_e64 s[52:53], s7, v21
	v_cndmask_b32_e64 v21, v65, v21, s[52:53]
	v_lshrrev_b32_sdwa v21, s62, v21 dst_sel:DWORD dst_unused:UNUSED_PAD src0_sel:DWORD src1_sel:WORD_0
	v_and_b32_e32 v92, s63, v21
	s_or_b64 exec, exec, s[60:61]
	s_and_saveexec_b64 s[60:61], s[44:45]
	s_cbranch_execz .LBB2054_296
.LBB2054_330:                           ;   in Loop: Header=BB2054_228 Depth=2
	ds_read_u16 v21, v47 offset:3072
	s_waitcnt lgkmcnt(0)
	v_cmp_ne_u16_e64 s[52:53], s7, v21
	v_cndmask_b32_e64 v21, v65, v21, s[52:53]
	v_lshrrev_b32_sdwa v21, s62, v21 dst_sel:DWORD dst_unused:UNUSED_PAD src0_sel:DWORD src1_sel:WORD_0
	v_and_b32_e32 v90, s63, v21
	s_or_b64 exec, exec, s[60:61]
	s_and_saveexec_b64 s[60:61], s[46:47]
	s_cbranch_execz .LBB2054_297
.LBB2054_331:                           ;   in Loop: Header=BB2054_228 Depth=2
	ds_read_u16 v21, v47 offset:3584
	s_waitcnt lgkmcnt(0)
	v_cmp_ne_u16_e64 s[52:53], s7, v21
	v_cndmask_b32_e64 v21, v65, v21, s[52:53]
	v_lshrrev_b32_sdwa v21, s62, v21 dst_sel:DWORD dst_unused:UNUSED_PAD src0_sel:DWORD src1_sel:WORD_0
	v_and_b32_e32 v89, s63, v21
	s_or_b64 exec, exec, s[60:61]
	s_and_saveexec_b64 s[60:61], s[48:49]
	s_cbranch_execz .LBB2054_298
.LBB2054_332:                           ;   in Loop: Header=BB2054_228 Depth=2
	ds_read_u16 v21, v47 offset:4096
	s_waitcnt lgkmcnt(0)
	v_cmp_ne_u16_e64 s[52:53], s7, v21
	v_cndmask_b32_e64 v21, v65, v21, s[52:53]
	v_lshrrev_b32_sdwa v21, s62, v21 dst_sel:DWORD dst_unused:UNUSED_PAD src0_sel:DWORD src1_sel:WORD_0
	v_and_b32_e32 v88, s63, v21
	s_or_b64 exec, exec, s[60:61]
	s_and_saveexec_b64 s[60:61], s[50:51]
	s_cbranch_execnz .LBB2054_299
	s_branch .LBB2054_300
.LBB2054_333:                           ;   in Loop: Header=BB2054_228 Depth=2
	v_lshlrev_b32_e32 v21, 2, v95
	ds_read_b32 v23, v21
	v_add_u32_e32 v21, v47, v48
	ds_read_b64 v[21:22], v21 offset:1024
	v_mov_b32_e32 v24, v3
	v_mov_b32_e32 v96, s75
	s_waitcnt lgkmcnt(1)
	v_add_u32_e32 v23, v23, v0
	v_lshlrev_b64 v[23:24], 3, v[23:24]
	v_add_co_u32_e32 v23, vcc, s74, v23
	v_addc_co_u32_e32 v24, vcc, v96, v24, vcc
	s_waitcnt lgkmcnt(0)
	global_store_dwordx2 v[23:24], v[21:22], off
	s_or_b64 exec, exec, s[52:53]
	s_and_saveexec_b64 s[52:53], s[38:39]
	s_cbranch_execz .LBB2054_302
.LBB2054_334:                           ;   in Loop: Header=BB2054_228 Depth=2
	v_lshlrev_b32_e32 v21, 2, v94
	ds_read_b32 v23, v21
	v_add_u32_e32 v21, v47, v48
	ds_read_b64 v[21:22], v21 offset:3072
	v_mov_b32_e32 v24, v3
	v_mov_b32_e32 v96, s75
	s_waitcnt lgkmcnt(1)
	v_add_u32_e32 v23, v23, v26
	v_lshlrev_b64 v[23:24], 3, v[23:24]
	v_add_co_u32_e32 v23, vcc, s74, v23
	v_addc_co_u32_e32 v24, vcc, v96, v24, vcc
	s_waitcnt lgkmcnt(0)
	global_store_dwordx2 v[23:24], v[21:22], off
	s_or_b64 exec, exec, s[52:53]
	s_and_saveexec_b64 s[38:39], s[40:41]
	s_cbranch_execz .LBB2054_303
.LBB2054_335:                           ;   in Loop: Header=BB2054_228 Depth=2
	v_lshlrev_b32_e32 v21, 2, v93
	ds_read_b32 v23, v21
	v_add_u32_e32 v21, v47, v48
	ds_read_b64 v[21:22], v21 offset:5120
	v_mov_b32_e32 v24, v3
	v_mov_b32_e32 v96, s75
	s_waitcnt lgkmcnt(1)
	v_add_u32_e32 v23, v23, v27
	v_lshlrev_b64 v[23:24], 3, v[23:24]
	v_add_co_u32_e32 v23, vcc, s74, v23
	v_addc_co_u32_e32 v24, vcc, v96, v24, vcc
	s_waitcnt lgkmcnt(0)
	global_store_dwordx2 v[23:24], v[21:22], off
	s_or_b64 exec, exec, s[38:39]
	s_and_saveexec_b64 s[38:39], s[42:43]
	s_cbranch_execz .LBB2054_304
.LBB2054_336:                           ;   in Loop: Header=BB2054_228 Depth=2
	v_lshlrev_b32_e32 v21, 2, v92
	ds_read_b32 v23, v21
	v_add_u32_e32 v21, v47, v48
	ds_read_b64 v[21:22], v21 offset:7168
	v_mov_b32_e32 v24, v3
	v_mov_b32_e32 v96, s75
	s_waitcnt lgkmcnt(1)
	v_add_u32_e32 v23, v23, v28
	v_lshlrev_b64 v[23:24], 3, v[23:24]
	v_add_co_u32_e32 v23, vcc, s74, v23
	v_addc_co_u32_e32 v24, vcc, v96, v24, vcc
	s_waitcnt lgkmcnt(0)
	global_store_dwordx2 v[23:24], v[21:22], off
	s_or_b64 exec, exec, s[38:39]
	s_and_saveexec_b64 s[38:39], s[44:45]
	s_cbranch_execz .LBB2054_305
.LBB2054_337:                           ;   in Loop: Header=BB2054_228 Depth=2
	v_lshlrev_b32_e32 v21, 2, v90
	ds_read_b32 v23, v21
	v_add_u32_e32 v21, v47, v48
	ds_read_b64 v[21:22], v21 offset:9216
	v_mov_b32_e32 v24, v3
	v_mov_b32_e32 v96, s75
	s_waitcnt lgkmcnt(1)
	v_add_u32_e32 v23, v23, v31
	v_lshlrev_b64 v[23:24], 3, v[23:24]
	v_add_co_u32_e32 v23, vcc, s74, v23
	v_addc_co_u32_e32 v24, vcc, v96, v24, vcc
	s_waitcnt lgkmcnt(0)
	global_store_dwordx2 v[23:24], v[21:22], off
	s_or_b64 exec, exec, s[38:39]
	s_and_saveexec_b64 s[38:39], s[46:47]
	s_cbranch_execz .LBB2054_306
.LBB2054_338:                           ;   in Loop: Header=BB2054_228 Depth=2
	v_lshlrev_b32_e32 v21, 2, v89
	ds_read_b32 v23, v21
	v_add_u32_e32 v21, v47, v48
	ds_read_b64 v[21:22], v21 offset:11264
	v_mov_b32_e32 v24, v3
	v_mov_b32_e32 v96, s75
	s_waitcnt lgkmcnt(1)
	v_add_u32_e32 v23, v23, v32
	v_lshlrev_b64 v[23:24], 3, v[23:24]
	v_add_co_u32_e32 v23, vcc, s74, v23
	v_addc_co_u32_e32 v24, vcc, v96, v24, vcc
	s_waitcnt lgkmcnt(0)
	global_store_dwordx2 v[23:24], v[21:22], off
	s_or_b64 exec, exec, s[38:39]
	s_and_saveexec_b64 s[38:39], s[48:49]
	s_cbranch_execz .LBB2054_307
.LBB2054_339:                           ;   in Loop: Header=BB2054_228 Depth=2
	v_lshlrev_b32_e32 v21, 2, v88
	ds_read_b32 v23, v21
	v_add_u32_e32 v21, v47, v48
	ds_read_b64 v[21:22], v21 offset:13312
	v_mov_b32_e32 v24, v3
	v_mov_b32_e32 v96, s75
	s_waitcnt lgkmcnt(1)
	v_add_u32_e32 v23, v23, v33
	v_lshlrev_b64 v[23:24], 3, v[23:24]
	v_add_co_u32_e32 v23, vcc, s74, v23
	v_addc_co_u32_e32 v24, vcc, v96, v24, vcc
	s_waitcnt lgkmcnt(0)
	global_store_dwordx2 v[23:24], v[21:22], off
	s_or_b64 exec, exec, s[38:39]
	s_and_saveexec_b64 s[38:39], s[50:51]
	s_cbranch_execnz .LBB2054_308
	s_branch .LBB2054_309
.LBB2054_340:                           ;   in Loop: Header=BB2054_12 Depth=1
	s_waitcnt lgkmcnt(0)
	s_barrier
.LBB2054_341:                           ;   in Loop: Header=BB2054_12 Depth=1
	s_mov_b64 s[18:19], 0
.LBB2054_342:                           ;   in Loop: Header=BB2054_12 Depth=1
	s_andn2_b64 vcc, exec, s[18:19]
	s_cbranch_vccnz .LBB2054_11
; %bb.343:                              ;   in Loop: Header=BB2054_12 Depth=1
	s_mov_b64 s[18:19], -1
	s_and_b64 vcc, exec, s[54:55]
	s_cbranch_vccz .LBB2054_507
; %bb.344:                              ;   in Loop: Header=BB2054_12 Depth=1
	s_mov_b32 s22, s79
	s_mov_b32 s58, s80
	s_barrier
                                        ; implicit-def: $vgpr4
                                        ; implicit-def: $vgpr5
                                        ; implicit-def: $vgpr6
                                        ; implicit-def: $vgpr7
                                        ; implicit-def: $vgpr8
                                        ; implicit-def: $vgpr9
                                        ; implicit-def: $vgpr10
                                        ; implicit-def: $vgpr11
	s_branch .LBB2054_346
.LBB2054_345:                           ;   in Loop: Header=BB2054_346 Depth=2
	s_or_b64 exec, exec, s[18:19]
	s_addk_i32 s22, 0xf800
	s_cmp_ge_u32 s23, s81
	s_mov_b32 s58, s23
	s_cbranch_scc1 .LBB2054_382
.LBB2054_346:                           ;   Parent Loop BB2054_12 Depth=1
                                        ; =>  This Inner Loop Header: Depth=2
	s_add_i32 s23, s58, 0x800
	s_cmp_gt_u32 s23, s81
	s_mov_b64 s[18:19], -1
                                        ; implicit-def: $vgpr12
                                        ; implicit-def: $vgpr13
                                        ; implicit-def: $vgpr14
                                        ; implicit-def: $vgpr15
                                        ; implicit-def: $vgpr16
                                        ; implicit-def: $vgpr17
                                        ; implicit-def: $vgpr18
                                        ; implicit-def: $vgpr19
	s_cbranch_scc1 .LBB2054_348
; %bb.347:                              ;   in Loop: Header=BB2054_346 Depth=2
	s_lshl_b64 s[18:19], s[58:59], 1
	v_mov_b32_e32 v12, s19
	v_add_co_u32_e32 v20, vcc, s18, v55
	v_addc_co_u32_e32 v21, vcc, v56, v12, vcc
	global_load_ushort v12, v[20:21], off
	global_load_ushort v13, v[20:21], off offset:512
	global_load_ushort v14, v[20:21], off offset:1024
	;; [unrolled: 1-line block ×7, first 2 shown]
	s_mov_b64 s[18:19], 0
.LBB2054_348:                           ;   in Loop: Header=BB2054_346 Depth=2
	s_andn2_b64 vcc, exec, s[18:19]
	s_movk_i32 s20, 0x800
	s_cbranch_vccnz .LBB2054_359
; %bb.349:                              ;   in Loop: Header=BB2054_346 Depth=2
	s_lshl_b64 s[18:19], s[58:59], 1
	s_add_u32 s18, s64, s18
	s_addc_u32 s19, s65, s19
	v_cmp_gt_u32_e32 vcc, s22, v0
	s_and_saveexec_b64 s[20:21], vcc
	s_cbranch_execnz .LBB2054_375
; %bb.350:                              ;   in Loop: Header=BB2054_346 Depth=2
	s_or_b64 exec, exec, s[20:21]
	v_cmp_gt_u32_e32 vcc, s22, v26
	s_and_saveexec_b64 s[20:21], vcc
	s_cbranch_execnz .LBB2054_376
.LBB2054_351:                           ;   in Loop: Header=BB2054_346 Depth=2
	s_or_b64 exec, exec, s[20:21]
	v_cmp_gt_u32_e32 vcc, s22, v27
	s_and_saveexec_b64 s[20:21], vcc
	s_cbranch_execnz .LBB2054_377
.LBB2054_352:                           ;   in Loop: Header=BB2054_346 Depth=2
	s_or_b64 exec, exec, s[20:21]
	v_cmp_gt_u32_e32 vcc, s22, v28
	s_and_saveexec_b64 s[20:21], vcc
	s_cbranch_execnz .LBB2054_378
.LBB2054_353:                           ;   in Loop: Header=BB2054_346 Depth=2
	s_or_b64 exec, exec, s[20:21]
	v_cmp_gt_u32_e32 vcc, s22, v31
	s_and_saveexec_b64 s[20:21], vcc
	s_cbranch_execnz .LBB2054_379
.LBB2054_354:                           ;   in Loop: Header=BB2054_346 Depth=2
	s_or_b64 exec, exec, s[20:21]
	v_cmp_gt_u32_e32 vcc, s22, v32
	s_and_saveexec_b64 s[20:21], vcc
	s_cbranch_execnz .LBB2054_380
.LBB2054_355:                           ;   in Loop: Header=BB2054_346 Depth=2
	s_or_b64 exec, exec, s[20:21]
	v_cmp_gt_u32_e32 vcc, s22, v33
	s_and_saveexec_b64 s[20:21], vcc
	s_cbranch_execnz .LBB2054_381
.LBB2054_356:                           ;   in Loop: Header=BB2054_346 Depth=2
	s_or_b64 exec, exec, s[20:21]
	v_cmp_gt_u32_e32 vcc, s22, v34
	s_and_saveexec_b64 s[20:21], vcc
	s_cbranch_execz .LBB2054_358
.LBB2054_357:                           ;   in Loop: Header=BB2054_346 Depth=2
	global_load_ushort v4, v64, s[18:19] offset:3584
.LBB2054_358:                           ;   in Loop: Header=BB2054_346 Depth=2
	s_or_b64 exec, exec, s[20:21]
	s_mov_b32 s20, s22
	s_waitcnt vmcnt(0)
	v_mov_b32_e32 v12, v11
	v_mov_b32_e32 v13, v10
	;; [unrolled: 1-line block ×8, first 2 shown]
.LBB2054_359:                           ;   in Loop: Header=BB2054_346 Depth=2
	s_waitcnt vmcnt(0)
	v_mov_b32_e32 v4, v19
	v_mov_b32_e32 v5, v18
	;; [unrolled: 1-line block ×8, first 2 shown]
	v_cmp_gt_u32_e32 vcc, s20, v0
	s_and_saveexec_b64 s[18:19], vcc
	s_cbranch_execnz .LBB2054_367
; %bb.360:                              ;   in Loop: Header=BB2054_346 Depth=2
	s_or_b64 exec, exec, s[18:19]
	v_cmp_gt_u32_e32 vcc, s20, v26
	s_and_saveexec_b64 s[18:19], vcc
	s_cbranch_execnz .LBB2054_368
.LBB2054_361:                           ;   in Loop: Header=BB2054_346 Depth=2
	s_or_b64 exec, exec, s[18:19]
	v_cmp_gt_u32_e32 vcc, s20, v27
	s_and_saveexec_b64 s[18:19], vcc
	s_cbranch_execnz .LBB2054_369
.LBB2054_362:                           ;   in Loop: Header=BB2054_346 Depth=2
	s_or_b64 exec, exec, s[18:19]
	v_cmp_gt_u32_e32 vcc, s20, v28
	s_and_saveexec_b64 s[18:19], vcc
	s_cbranch_execnz .LBB2054_370
.LBB2054_363:                           ;   in Loop: Header=BB2054_346 Depth=2
	s_or_b64 exec, exec, s[18:19]
	v_cmp_gt_u32_e32 vcc, s20, v31
	s_and_saveexec_b64 s[18:19], vcc
	s_cbranch_execnz .LBB2054_371
.LBB2054_364:                           ;   in Loop: Header=BB2054_346 Depth=2
	s_or_b64 exec, exec, s[18:19]
	v_cmp_gt_u32_e32 vcc, s20, v32
	s_and_saveexec_b64 s[18:19], vcc
	s_cbranch_execnz .LBB2054_372
.LBB2054_365:                           ;   in Loop: Header=BB2054_346 Depth=2
	s_or_b64 exec, exec, s[18:19]
	v_cmp_gt_u32_e32 vcc, s20, v33
	s_and_saveexec_b64 s[18:19], vcc
	s_cbranch_execnz .LBB2054_373
.LBB2054_366:                           ;   in Loop: Header=BB2054_346 Depth=2
	s_or_b64 exec, exec, s[18:19]
	v_cmp_gt_u32_e32 vcc, s20, v34
	s_and_saveexec_b64 s[18:19], vcc
	s_cbranch_execz .LBB2054_345
	s_branch .LBB2054_374
.LBB2054_367:                           ;   in Loop: Header=BB2054_346 Depth=2
	v_cmp_lt_i16_e32 vcc, -1, v11
	v_cndmask_b32_e32 v12, -1, v65, vcc
	v_xor_b32_e32 v12, v12, v11
	v_cmp_ne_u16_e32 vcc, s7, v12
	v_cndmask_b32_e32 v12, v65, v12, vcc
	v_lshrrev_b32_sdwa v12, s77, v12 dst_sel:DWORD dst_unused:UNUSED_PAD src0_sel:DWORD src1_sel:WORD_0
	v_and_b32_e32 v12, s63, v12
	v_lshl_or_b32 v12, v12, 4, v35
	ds_add_u32 v12, v61
	s_or_b64 exec, exec, s[18:19]
	v_cmp_gt_u32_e32 vcc, s20, v26
	s_and_saveexec_b64 s[18:19], vcc
	s_cbranch_execz .LBB2054_361
.LBB2054_368:                           ;   in Loop: Header=BB2054_346 Depth=2
	v_cmp_lt_i16_e32 vcc, -1, v10
	v_cndmask_b32_e32 v12, -1, v65, vcc
	v_xor_b32_e32 v12, v12, v10
	v_cmp_ne_u16_e32 vcc, s7, v12
	v_cndmask_b32_e32 v12, v65, v12, vcc
	v_lshrrev_b32_sdwa v12, s77, v12 dst_sel:DWORD dst_unused:UNUSED_PAD src0_sel:DWORD src1_sel:WORD_0
	v_and_b32_e32 v12, s63, v12
	v_lshl_or_b32 v12, v12, 4, v35
	ds_add_u32 v12, v61
	s_or_b64 exec, exec, s[18:19]
	v_cmp_gt_u32_e32 vcc, s20, v27
	s_and_saveexec_b64 s[18:19], vcc
	s_cbranch_execz .LBB2054_362
.LBB2054_369:                           ;   in Loop: Header=BB2054_346 Depth=2
	v_cmp_lt_i16_e32 vcc, -1, v9
	v_cndmask_b32_e32 v12, -1, v65, vcc
	v_xor_b32_e32 v12, v12, v9
	v_cmp_ne_u16_e32 vcc, s7, v12
	v_cndmask_b32_e32 v12, v65, v12, vcc
	v_lshrrev_b32_sdwa v12, s77, v12 dst_sel:DWORD dst_unused:UNUSED_PAD src0_sel:DWORD src1_sel:WORD_0
	v_and_b32_e32 v12, s63, v12
	v_lshl_or_b32 v12, v12, 4, v35
	ds_add_u32 v12, v61
	s_or_b64 exec, exec, s[18:19]
	v_cmp_gt_u32_e32 vcc, s20, v28
	s_and_saveexec_b64 s[18:19], vcc
	s_cbranch_execz .LBB2054_363
.LBB2054_370:                           ;   in Loop: Header=BB2054_346 Depth=2
	v_cmp_lt_i16_e32 vcc, -1, v8
	v_cndmask_b32_e32 v12, -1, v65, vcc
	v_xor_b32_e32 v12, v12, v8
	v_cmp_ne_u16_e32 vcc, s7, v12
	v_cndmask_b32_e32 v12, v65, v12, vcc
	v_lshrrev_b32_sdwa v12, s77, v12 dst_sel:DWORD dst_unused:UNUSED_PAD src0_sel:DWORD src1_sel:WORD_0
	v_and_b32_e32 v12, s63, v12
	v_lshl_or_b32 v12, v12, 4, v35
	ds_add_u32 v12, v61
	s_or_b64 exec, exec, s[18:19]
	v_cmp_gt_u32_e32 vcc, s20, v31
	s_and_saveexec_b64 s[18:19], vcc
	s_cbranch_execz .LBB2054_364
.LBB2054_371:                           ;   in Loop: Header=BB2054_346 Depth=2
	v_cmp_lt_i16_e32 vcc, -1, v7
	v_cndmask_b32_e32 v12, -1, v65, vcc
	v_xor_b32_e32 v12, v12, v7
	v_cmp_ne_u16_e32 vcc, s7, v12
	v_cndmask_b32_e32 v12, v65, v12, vcc
	v_lshrrev_b32_sdwa v12, s77, v12 dst_sel:DWORD dst_unused:UNUSED_PAD src0_sel:DWORD src1_sel:WORD_0
	v_and_b32_e32 v12, s63, v12
	v_lshl_or_b32 v12, v12, 4, v35
	ds_add_u32 v12, v61
	s_or_b64 exec, exec, s[18:19]
	v_cmp_gt_u32_e32 vcc, s20, v32
	s_and_saveexec_b64 s[18:19], vcc
	s_cbranch_execz .LBB2054_365
.LBB2054_372:                           ;   in Loop: Header=BB2054_346 Depth=2
	v_cmp_lt_i16_e32 vcc, -1, v6
	v_cndmask_b32_e32 v12, -1, v65, vcc
	v_xor_b32_e32 v12, v12, v6
	v_cmp_ne_u16_e32 vcc, s7, v12
	v_cndmask_b32_e32 v12, v65, v12, vcc
	v_lshrrev_b32_sdwa v12, s77, v12 dst_sel:DWORD dst_unused:UNUSED_PAD src0_sel:DWORD src1_sel:WORD_0
	v_and_b32_e32 v12, s63, v12
	v_lshl_or_b32 v12, v12, 4, v35
	ds_add_u32 v12, v61
	s_or_b64 exec, exec, s[18:19]
	v_cmp_gt_u32_e32 vcc, s20, v33
	s_and_saveexec_b64 s[18:19], vcc
	s_cbranch_execz .LBB2054_366
.LBB2054_373:                           ;   in Loop: Header=BB2054_346 Depth=2
	v_cmp_lt_i16_e32 vcc, -1, v5
	v_cndmask_b32_e32 v12, -1, v65, vcc
	v_xor_b32_e32 v12, v12, v5
	v_cmp_ne_u16_e32 vcc, s7, v12
	v_cndmask_b32_e32 v12, v65, v12, vcc
	v_lshrrev_b32_sdwa v12, s77, v12 dst_sel:DWORD dst_unused:UNUSED_PAD src0_sel:DWORD src1_sel:WORD_0
	v_and_b32_e32 v12, s63, v12
	v_lshl_or_b32 v12, v12, 4, v35
	ds_add_u32 v12, v61
	s_or_b64 exec, exec, s[18:19]
	v_cmp_gt_u32_e32 vcc, s20, v34
	s_and_saveexec_b64 s[18:19], vcc
	s_cbranch_execz .LBB2054_345
.LBB2054_374:                           ;   in Loop: Header=BB2054_346 Depth=2
	v_cmp_lt_i16_e32 vcc, -1, v4
	v_cndmask_b32_e32 v12, -1, v65, vcc
	v_xor_b32_e32 v12, v12, v4
	v_cmp_ne_u16_e32 vcc, s7, v12
	v_cndmask_b32_e32 v12, v65, v12, vcc
	v_lshrrev_b32_sdwa v12, s77, v12 dst_sel:DWORD dst_unused:UNUSED_PAD src0_sel:DWORD src1_sel:WORD_0
	v_and_b32_e32 v12, s63, v12
	v_lshl_or_b32 v12, v12, 4, v35
	ds_add_u32 v12, v61
	s_branch .LBB2054_345
.LBB2054_375:                           ;   in Loop: Header=BB2054_346 Depth=2
	global_load_ushort v11, v64, s[18:19]
	s_or_b64 exec, exec, s[20:21]
	v_cmp_gt_u32_e32 vcc, s22, v26
	s_and_saveexec_b64 s[20:21], vcc
	s_cbranch_execz .LBB2054_351
.LBB2054_376:                           ;   in Loop: Header=BB2054_346 Depth=2
	global_load_ushort v10, v64, s[18:19] offset:512
	s_or_b64 exec, exec, s[20:21]
	v_cmp_gt_u32_e32 vcc, s22, v27
	s_and_saveexec_b64 s[20:21], vcc
	s_cbranch_execz .LBB2054_352
.LBB2054_377:                           ;   in Loop: Header=BB2054_346 Depth=2
	global_load_ushort v9, v64, s[18:19] offset:1024
	s_or_b64 exec, exec, s[20:21]
	v_cmp_gt_u32_e32 vcc, s22, v28
	s_and_saveexec_b64 s[20:21], vcc
	s_cbranch_execz .LBB2054_353
.LBB2054_378:                           ;   in Loop: Header=BB2054_346 Depth=2
	global_load_ushort v8, v64, s[18:19] offset:1536
	s_or_b64 exec, exec, s[20:21]
	v_cmp_gt_u32_e32 vcc, s22, v31
	s_and_saveexec_b64 s[20:21], vcc
	s_cbranch_execz .LBB2054_354
.LBB2054_379:                           ;   in Loop: Header=BB2054_346 Depth=2
	global_load_ushort v7, v64, s[18:19] offset:2048
	s_or_b64 exec, exec, s[20:21]
	v_cmp_gt_u32_e32 vcc, s22, v32
	s_and_saveexec_b64 s[20:21], vcc
	s_cbranch_execz .LBB2054_355
.LBB2054_380:                           ;   in Loop: Header=BB2054_346 Depth=2
	global_load_ushort v6, v64, s[18:19] offset:2560
	s_or_b64 exec, exec, s[20:21]
	v_cmp_gt_u32_e32 vcc, s22, v33
	s_and_saveexec_b64 s[20:21], vcc
	s_cbranch_execz .LBB2054_356
.LBB2054_381:                           ;   in Loop: Header=BB2054_346 Depth=2
	global_load_ushort v5, v64, s[18:19] offset:3072
	s_or_b64 exec, exec, s[20:21]
	v_cmp_gt_u32_e32 vcc, s22, v34
	s_and_saveexec_b64 s[20:21], vcc
	s_cbranch_execnz .LBB2054_357
	s_branch .LBB2054_358
.LBB2054_382:                           ;   in Loop: Header=BB2054_12 Depth=1
	v_mov_b32_e32 v4, 0
	s_waitcnt lgkmcnt(0)
	s_barrier
	s_and_saveexec_b64 s[18:19], s[4:5]
	s_cbranch_execz .LBB2054_384
; %bb.383:                              ;   in Loop: Header=BB2054_12 Depth=1
	ds_read2_b64 v[4:7], v36 offset1:1
	s_waitcnt lgkmcnt(0)
	v_add_u32_e32 v4, v5, v4
	v_add3_u32 v4, v4, v6, v7
.LBB2054_384:                           ;   in Loop: Header=BB2054_12 Depth=1
	s_or_b64 exec, exec, s[18:19]
	s_nop 0
	v_mov_b32_dpp v5, v4 row_shr:1 row_mask:0xf bank_mask:0xf
	v_cmp_eq_u32_e64 s[18:19], 0, v67
	v_cndmask_b32_e64 v5, v5, 0, s[18:19]
	v_add_u32_e32 v4, v5, v4
	v_cmp_lt_u32_e64 s[20:21], 1, v67
	v_cmp_lt_u32_e64 s[22:23], 3, v67
	v_mov_b32_dpp v5, v4 row_shr:2 row_mask:0xf bank_mask:0xf
	v_cndmask_b32_e64 v5, 0, v5, s[20:21]
	v_add_u32_e32 v4, v4, v5
	v_cmp_lt_u32_e64 s[24:25], 7, v67
	v_cmp_lt_u32_e64 s[28:29], 31, v66
	v_mov_b32_dpp v5, v4 row_shr:4 row_mask:0xf bank_mask:0xf
	v_cndmask_b32_e64 v5, 0, v5, s[22:23]
	v_add_u32_e32 v4, v4, v5
	v_cmp_eq_u32_e64 s[26:27], 0, v69
	s_nop 0
	v_mov_b32_dpp v5, v4 row_shr:8 row_mask:0xf bank_mask:0xf
	v_cndmask_b32_e64 v5, 0, v5, s[24:25]
	v_add_u32_e32 v4, v4, v5
	s_nop 1
	v_mov_b32_dpp v5, v4 row_bcast:15 row_mask:0xf bank_mask:0xf
	v_and_b32_e32 v5, v68, v5
	v_add_u32_e32 v4, v4, v5
	s_nop 1
	v_mov_b32_dpp v5, v4 row_bcast:31 row_mask:0xf bank_mask:0xf
	v_cndmask_b32_e64 v5, 0, v5, s[28:29]
	v_add_u32_e32 v4, v4, v5
	s_and_saveexec_b64 s[30:31], s[8:9]
; %bb.385:                              ;   in Loop: Header=BB2054_12 Depth=1
	ds_write_b32 v38, v4
; %bb.386:                              ;   in Loop: Header=BB2054_12 Depth=1
	s_or_b64 exec, exec, s[30:31]
	s_waitcnt lgkmcnt(0)
	s_barrier
	s_and_saveexec_b64 s[30:31], s[10:11]
	s_cbranch_execz .LBB2054_388
; %bb.387:                              ;   in Loop: Header=BB2054_12 Depth=1
	ds_read_b32 v5, v39
	v_cmp_ne_u32_e32 vcc, 0, v70
	s_waitcnt lgkmcnt(0)
	v_mov_b32_dpp v6, v5 row_shr:1 row_mask:0xf bank_mask:0xf
	v_cndmask_b32_e32 v6, 0, v6, vcc
	v_add_u32_e32 v5, v6, v5
	v_cmp_lt_u32_e32 vcc, 1, v70
	s_nop 0
	v_mov_b32_dpp v6, v5 row_shr:2 row_mask:0xf bank_mask:0xf
	v_cndmask_b32_e32 v6, 0, v6, vcc
	v_add_u32_e32 v5, v5, v6
	ds_write_b32 v39, v5
.LBB2054_388:                           ;   in Loop: Header=BB2054_12 Depth=1
	s_or_b64 exec, exec, s[30:31]
	v_mov_b32_e32 v5, 0
	s_waitcnt lgkmcnt(0)
	s_barrier
	s_and_saveexec_b64 s[30:31], s[12:13]
; %bb.389:                              ;   in Loop: Header=BB2054_12 Depth=1
	ds_read_b32 v5, v40
; %bb.390:                              ;   in Loop: Header=BB2054_12 Depth=1
	s_or_b64 exec, exec, s[30:31]
	v_subrev_co_u32_e64 v6, s[30:31], 1, v66
	v_cmp_lt_i32_e32 vcc, v6, v71
	v_cndmask_b32_e32 v6, v6, v66, vcc
	s_waitcnt lgkmcnt(0)
	v_add_u32_e32 v4, v5, v4
	v_lshlrev_b32_e32 v82, 2, v6
	ds_bpermute_b32 v4, v82, v4
	s_waitcnt lgkmcnt(0)
	s_barrier
	s_and_saveexec_b64 s[34:35], s[4:5]
; %bb.391:                              ;   in Loop: Header=BB2054_12 Depth=1
	v_cndmask_b32_e64 v4, v4, v5, s[30:31]
	v_add_u32_e32 v4, s80, v4
	ds_write_b32 v25, v4
; %bb.392:                              ;   in Loop: Header=BB2054_12 Depth=1
	s_or_b64 exec, exec, s[34:35]
	s_load_dwordx2 s[34:35], s[56:57], 0x0
	v_add_co_u32_e32 v83, vcc, v57, v72
	v_addc_co_u32_e32 v84, vcc, 0, v58, vcc
	s_waitcnt lgkmcnt(0)
	s_cmp_lt_u32 s33, s35
	s_cselect_b32 s35, 14, 20
	s_add_u32 s36, s56, s35
	s_addc_u32 s37, s57, 0
	s_cmp_lt_u32 s6, s34
	s_cselect_b32 s34, 12, 18
	s_add_u32 s34, s56, s34
	global_load_ushort v4, v3, s[36:37]
	s_addc_u32 s35, s57, 0
	global_load_ushort v5, v3, s[34:35]
	v_add_co_u32_e32 v85, vcc, v59, v81
	v_cmp_eq_u32_e64 s[34:35], 0, v70
	v_cmp_lt_u32_e64 s[36:37], 1, v70
	v_addc_co_u32_e32 v86, vcc, 0, v60, vcc
	s_mov_b32 s70, s79
	s_mov_b32 s58, s80
                                        ; implicit-def: $vgpr7_vgpr8
                                        ; implicit-def: $vgpr9_vgpr10
                                        ; implicit-def: $vgpr11_vgpr12
                                        ; implicit-def: $vgpr13_vgpr14
                                        ; implicit-def: $vgpr15_vgpr16
                                        ; implicit-def: $vgpr17_vgpr18
                                        ; implicit-def: $vgpr19_vgpr20
                                        ; implicit-def: $vgpr87
                                        ; implicit-def: $vgpr88
                                        ; implicit-def: $vgpr89
                                        ; implicit-def: $vgpr90
                                        ; implicit-def: $vgpr92
                                        ; implicit-def: $vgpr93
                                        ; implicit-def: $vgpr94
                                        ; implicit-def: $vgpr95
	s_waitcnt vmcnt(1)
	v_mad_u32_u24 v4, v2, v4, v1
	s_waitcnt vmcnt(0)
	v_mad_u64_u32 v[4:5], s[38:39], v4, v5, v[0:1]
                                        ; implicit-def: $vgpr5_vgpr6
	v_lshrrev_b32_e32 v4, 4, v4
	v_and_b32_e32 v91, 0xffffffc, v4
	s_branch .LBB2054_394
.LBB2054_393:                           ;   in Loop: Header=BB2054_394 Depth=2
	s_or_b64 exec, exec, s[38:39]
	s_addk_i32 s70, 0xf800
	s_cmp_lt_u32 s71, s81
	s_mov_b32 s58, s71
	s_cbranch_scc0 .LBB2054_506
.LBB2054_394:                           ;   Parent Loop BB2054_12 Depth=1
                                        ; =>  This Inner Loop Header: Depth=2
	s_add_i32 s71, s58, 0x800
	s_cmp_gt_u32 s71, s81
	s_cbranch_scc1 .LBB2054_396
; %bb.395:                              ;   in Loop: Header=BB2054_394 Depth=2
	s_lshl_b64 s[38:39], s[58:59], 1
	v_mov_b32_e32 v4, s39
	v_add_co_u32_e32 v21, vcc, s38, v85
	v_addc_co_u32_e32 v22, vcc, v86, v4, vcc
	global_load_ushort v4, v[21:22], off
	global_load_ushort v99, v[21:22], off offset:128
	global_load_ushort v103, v[21:22], off offset:256
	;; [unrolled: 1-line block ×6, first 2 shown]
	s_mov_b64 s[38:39], -1
	s_movk_i32 s42, 0x800
	s_cbranch_execz .LBB2054_397
	s_branch .LBB2054_412
.LBB2054_396:                           ;   in Loop: Header=BB2054_394 Depth=2
	s_mov_b64 s[38:39], 0
                                        ; implicit-def: $vgpr4
                                        ; implicit-def: $vgpr99
                                        ; implicit-def: $vgpr103
                                        ; implicit-def: $vgpr107
                                        ; implicit-def: $vgpr112
                                        ; implicit-def: $vgpr108
                                        ; implicit-def: $vgpr24
	s_movk_i32 s42, 0x800
.LBB2054_397:                           ;   in Loop: Header=BB2054_394 Depth=2
	s_lshl_b64 s[38:39], s[58:59], 1
	s_waitcnt vmcnt(6)
	v_mov_b32_e32 v4, s39
	v_add_co_u32_e32 v21, vcc, s38, v85
	v_addc_co_u32_e32 v22, vcc, v86, v4, vcc
	v_cmp_gt_u32_e32 vcc, s70, v73
	s_waitcnt vmcnt(5)
	v_mov_b32_e32 v99, 0x7fff
	v_mov_b32_e32 v4, 0x7fff
	s_and_saveexec_b64 s[38:39], vcc
	s_cbranch_execz .LBB2054_399
; %bb.398:                              ;   in Loop: Header=BB2054_394 Depth=2
	global_load_ushort v4, v[21:22], off
.LBB2054_399:                           ;   in Loop: Header=BB2054_394 Depth=2
	s_or_b64 exec, exec, s[38:39]
	v_cmp_gt_u32_e32 vcc, s70, v74
	s_and_saveexec_b64 s[38:39], vcc
	s_cbranch_execz .LBB2054_401
; %bb.400:                              ;   in Loop: Header=BB2054_394 Depth=2
	global_load_ushort v99, v[21:22], off offset:128
.LBB2054_401:                           ;   in Loop: Header=BB2054_394 Depth=2
	s_or_b64 exec, exec, s[38:39]
	v_cmp_gt_u32_e32 vcc, s70, v75
	s_waitcnt vmcnt(3)
	v_mov_b32_e32 v107, 0x7fff
	v_mov_b32_e32 v103, 0x7fff
	s_and_saveexec_b64 s[38:39], vcc
	s_cbranch_execz .LBB2054_403
; %bb.402:                              ;   in Loop: Header=BB2054_394 Depth=2
	global_load_ushort v103, v[21:22], off offset:256
.LBB2054_403:                           ;   in Loop: Header=BB2054_394 Depth=2
	s_or_b64 exec, exec, s[38:39]
	v_cmp_gt_u32_e32 vcc, s70, v76
	s_and_saveexec_b64 s[38:39], vcc
	s_cbranch_execz .LBB2054_405
; %bb.404:                              ;   in Loop: Header=BB2054_394 Depth=2
	global_load_ushort v107, v[21:22], off offset:384
.LBB2054_405:                           ;   in Loop: Header=BB2054_394 Depth=2
	s_or_b64 exec, exec, s[38:39]
	v_cmp_gt_u32_e32 vcc, s70, v77
	s_waitcnt vmcnt(1)
	v_mov_b32_e32 v108, 0x7fff
	v_mov_b32_e32 v112, 0x7fff
	s_and_saveexec_b64 s[38:39], vcc
	s_cbranch_execz .LBB2054_407
; %bb.406:                              ;   in Loop: Header=BB2054_394 Depth=2
	global_load_ushort v112, v[21:22], off offset:512
.LBB2054_407:                           ;   in Loop: Header=BB2054_394 Depth=2
	s_or_b64 exec, exec, s[38:39]
	v_cmp_gt_u32_e32 vcc, s70, v78
	s_and_saveexec_b64 s[38:39], vcc
	s_cbranch_execz .LBB2054_409
; %bb.408:                              ;   in Loop: Header=BB2054_394 Depth=2
	global_load_ushort v108, v[21:22], off offset:640
.LBB2054_409:                           ;   in Loop: Header=BB2054_394 Depth=2
	s_or_b64 exec, exec, s[38:39]
	v_cmp_gt_u32_e32 vcc, s70, v79
	s_waitcnt vmcnt(0)
	v_mov_b32_e32 v24, 0x7fff
	s_and_saveexec_b64 s[38:39], vcc
	s_cbranch_execz .LBB2054_411
; %bb.410:                              ;   in Loop: Header=BB2054_394 Depth=2
	global_load_ushort v24, v[21:22], off offset:768
.LBB2054_411:                           ;   in Loop: Header=BB2054_394 Depth=2
	s_or_b64 exec, exec, s[38:39]
	s_sub_i32 s42, s81, s58
	v_cmp_gt_u32_e64 s[38:39], s70, v80
.LBB2054_412:                           ;   in Loop: Header=BB2054_394 Depth=2
	v_mov_b32_e32 v23, 0x7fff
	v_mov_b32_e32 v96, s70
	s_and_saveexec_b64 s[40:41], s[38:39]
	s_cbranch_execz .LBB2054_414
; %bb.413:                              ;   in Loop: Header=BB2054_394 Depth=2
	s_lshl_b64 s[38:39], s[58:59], 1
	v_mov_b32_e32 v22, s39
	v_add_co_u32_e32 v21, vcc, s38, v85
	v_addc_co_u32_e32 v22, vcc, v86, v22, vcc
	global_load_ushort v23, v[21:22], off offset:896
	v_mov_b32_e32 v96, s42
.LBB2054_414:                           ;   in Loop: Header=BB2054_394 Depth=2
	s_or_b64 exec, exec, s[40:41]
	s_waitcnt vmcnt(6)
	v_cmp_lt_i16_e32 vcc, -1, v4
	v_cndmask_b32_e32 v21, -1, v65, vcc
	v_xor_b32_e32 v97, v21, v4
	v_cmp_ne_u16_e32 vcc, s7, v97
	v_cndmask_b32_e32 v4, v65, v97, vcc
	v_lshrrev_b32_sdwa v4, s77, v4 dst_sel:DWORD dst_unused:UNUSED_PAD src0_sel:DWORD src1_sel:WORD_0
	v_and_b32_e32 v21, s63, v4
	v_and_b32_e32 v4, 1, v21
	v_add_co_u32_e32 v22, vcc, -1, v4
	v_addc_co_u32_e64 v98, s[38:39], 0, -1, vcc
	v_cmp_ne_u32_e32 vcc, 0, v4
	v_xor_b32_e32 v4, vcc_hi, v98
	v_and_b32_e32 v98, exec_hi, v4
	v_lshlrev_b32_e32 v4, 30, v21
	v_xor_b32_e32 v22, vcc_lo, v22
	v_cmp_gt_i64_e32 vcc, 0, v[3:4]
	v_not_b32_e32 v4, v4
	v_ashrrev_i32_e32 v4, 31, v4
	v_and_b32_e32 v22, exec_lo, v22
	v_xor_b32_e32 v101, vcc_hi, v4
	v_xor_b32_e32 v4, vcc_lo, v4
	v_and_b32_e32 v22, v22, v4
	v_lshlrev_b32_e32 v4, 29, v21
	v_cmp_gt_i64_e32 vcc, 0, v[3:4]
	v_not_b32_e32 v4, v4
	v_ashrrev_i32_e32 v4, 31, v4
	v_and_b32_e32 v98, v98, v101
	v_xor_b32_e32 v101, vcc_hi, v4
	v_xor_b32_e32 v4, vcc_lo, v4
	v_and_b32_e32 v22, v22, v4
	v_lshlrev_b32_e32 v4, 28, v21
	v_cmp_gt_i64_e32 vcc, 0, v[3:4]
	v_not_b32_e32 v4, v4
	v_ashrrev_i32_e32 v4, 31, v4
	v_and_b32_e32 v98, v98, v101
	;; [unrolled: 8-line block ×5, first 2 shown]
	v_xor_b32_e32 v101, vcc_hi, v4
	v_xor_b32_e32 v4, vcc_lo, v4
	v_and_b32_e32 v98, v98, v101
	v_and_b32_e32 v101, v22, v4
	v_lshlrev_b32_e32 v4, 24, v21
	v_cmp_gt_i64_e32 vcc, 0, v[3:4]
	v_not_b32_e32 v4, v4
	v_ashrrev_i32_e32 v4, 31, v4
	v_mul_u32_u24_e32 v100, 20, v21
	v_xor_b32_e32 v21, vcc_hi, v4
	v_xor_b32_e32 v4, vcc_lo, v4
	v_and_b32_e32 v22, v98, v21
	v_and_b32_e32 v21, v101, v4
	v_mbcnt_lo_u32_b32 v4, v21, 0
	v_mbcnt_hi_u32_b32 v98, v22, v4
	v_cmp_ne_u64_e32 vcc, 0, v[21:22]
	v_cmp_eq_u32_e64 s[38:39], 0, v98
	s_and_b64 s[40:41], vcc, s[38:39]
	v_add_u32_e32 v101, v91, v100
	ds_write2_b32 v62, v3, v3 offset1:1
	ds_write2_b32 v63, v3, v3 offset1:1
	ds_write_b32 v41, v3 offset:1056
	s_waitcnt vmcnt(0) lgkmcnt(0)
	s_barrier
	; wave barrier
	s_and_saveexec_b64 s[38:39], s[40:41]
; %bb.415:                              ;   in Loop: Header=BB2054_394 Depth=2
	v_bcnt_u32_b32 v4, v21, 0
	v_bcnt_u32_b32 v4, v22, v4
	ds_write_b32 v101, v4 offset:1040
; %bb.416:                              ;   in Loop: Header=BB2054_394 Depth=2
	s_or_b64 exec, exec, s[38:39]
	v_cmp_lt_i16_e32 vcc, -1, v99
	v_cndmask_b32_e32 v4, -1, v65, vcc
	v_xor_b32_e32 v99, v4, v99
	v_cmp_ne_u16_e32 vcc, s7, v99
	v_cndmask_b32_e32 v4, v65, v99, vcc
	v_lshrrev_b32_sdwa v4, s77, v4 dst_sel:DWORD dst_unused:UNUSED_PAD src0_sel:DWORD src1_sel:WORD_0
	v_and_b32_e32 v21, s63, v4
	v_mad_u32_u24 v4, v21, 20, v91
	; wave barrier
	ds_read_b32 v100, v4 offset:1040
	v_and_b32_e32 v4, 1, v21
	v_add_co_u32_e32 v22, vcc, -1, v4
	v_addc_co_u32_e64 v102, s[38:39], 0, -1, vcc
	v_cmp_ne_u32_e32 vcc, 0, v4
	v_xor_b32_e32 v4, vcc_hi, v102
	v_and_b32_e32 v102, exec_hi, v4
	v_lshlrev_b32_e32 v4, 30, v21
	v_xor_b32_e32 v22, vcc_lo, v22
	v_cmp_gt_i64_e32 vcc, 0, v[3:4]
	v_not_b32_e32 v4, v4
	v_ashrrev_i32_e32 v4, 31, v4
	v_and_b32_e32 v22, exec_lo, v22
	v_xor_b32_e32 v105, vcc_hi, v4
	v_xor_b32_e32 v4, vcc_lo, v4
	v_and_b32_e32 v22, v22, v4
	v_lshlrev_b32_e32 v4, 29, v21
	v_cmp_gt_i64_e32 vcc, 0, v[3:4]
	v_not_b32_e32 v4, v4
	v_ashrrev_i32_e32 v4, 31, v4
	v_and_b32_e32 v102, v102, v105
	v_xor_b32_e32 v105, vcc_hi, v4
	v_xor_b32_e32 v4, vcc_lo, v4
	v_and_b32_e32 v22, v22, v4
	v_lshlrev_b32_e32 v4, 28, v21
	v_cmp_gt_i64_e32 vcc, 0, v[3:4]
	v_not_b32_e32 v4, v4
	v_ashrrev_i32_e32 v4, 31, v4
	v_and_b32_e32 v102, v102, v105
	;; [unrolled: 8-line block ×5, first 2 shown]
	v_xor_b32_e32 v105, vcc_hi, v4
	v_xor_b32_e32 v4, vcc_lo, v4
	v_and_b32_e32 v102, v102, v105
	v_and_b32_e32 v105, v22, v4
	v_lshlrev_b32_e32 v4, 24, v21
	v_cmp_gt_i64_e32 vcc, 0, v[3:4]
	v_not_b32_e32 v4, v4
	v_ashrrev_i32_e32 v4, 31, v4
	v_mul_u32_u24_e32 v104, 20, v21
	v_xor_b32_e32 v21, vcc_hi, v4
	v_xor_b32_e32 v4, vcc_lo, v4
	v_and_b32_e32 v22, v102, v21
	v_and_b32_e32 v21, v105, v4
	v_mbcnt_lo_u32_b32 v4, v21, 0
	v_mbcnt_hi_u32_b32 v102, v22, v4
	v_cmp_ne_u64_e32 vcc, 0, v[21:22]
	v_cmp_eq_u32_e64 s[38:39], 0, v102
	s_and_b64 s[40:41], vcc, s[38:39]
	v_add_u32_e32 v105, v91, v104
	; wave barrier
	s_and_saveexec_b64 s[38:39], s[40:41]
	s_cbranch_execz .LBB2054_418
; %bb.417:                              ;   in Loop: Header=BB2054_394 Depth=2
	v_bcnt_u32_b32 v4, v21, 0
	v_bcnt_u32_b32 v4, v22, v4
	s_waitcnt lgkmcnt(0)
	v_add_u32_e32 v4, v100, v4
	ds_write_b32 v105, v4 offset:1040
.LBB2054_418:                           ;   in Loop: Header=BB2054_394 Depth=2
	s_or_b64 exec, exec, s[38:39]
	v_cmp_lt_i16_e32 vcc, -1, v103
	v_cndmask_b32_e32 v4, -1, v65, vcc
	v_xor_b32_e32 v103, v4, v103
	v_cmp_ne_u16_e32 vcc, s7, v103
	v_cndmask_b32_e32 v4, v65, v103, vcc
	v_lshrrev_b32_sdwa v4, s77, v4 dst_sel:DWORD dst_unused:UNUSED_PAD src0_sel:DWORD src1_sel:WORD_0
	v_and_b32_e32 v21, s63, v4
	v_mad_u32_u24 v4, v21, 20, v91
	; wave barrier
	ds_read_b32 v104, v4 offset:1040
	v_and_b32_e32 v4, 1, v21
	v_add_co_u32_e32 v22, vcc, -1, v4
	v_addc_co_u32_e64 v106, s[38:39], 0, -1, vcc
	v_cmp_ne_u32_e32 vcc, 0, v4
	v_xor_b32_e32 v4, vcc_hi, v106
	v_and_b32_e32 v106, exec_hi, v4
	v_lshlrev_b32_e32 v4, 30, v21
	v_xor_b32_e32 v22, vcc_lo, v22
	v_cmp_gt_i64_e32 vcc, 0, v[3:4]
	v_not_b32_e32 v4, v4
	v_ashrrev_i32_e32 v4, 31, v4
	v_and_b32_e32 v22, exec_lo, v22
	v_xor_b32_e32 v110, vcc_hi, v4
	v_xor_b32_e32 v4, vcc_lo, v4
	v_and_b32_e32 v22, v22, v4
	v_lshlrev_b32_e32 v4, 29, v21
	v_cmp_gt_i64_e32 vcc, 0, v[3:4]
	v_not_b32_e32 v4, v4
	v_ashrrev_i32_e32 v4, 31, v4
	v_and_b32_e32 v106, v106, v110
	v_xor_b32_e32 v110, vcc_hi, v4
	v_xor_b32_e32 v4, vcc_lo, v4
	v_and_b32_e32 v22, v22, v4
	v_lshlrev_b32_e32 v4, 28, v21
	v_cmp_gt_i64_e32 vcc, 0, v[3:4]
	v_not_b32_e32 v4, v4
	v_ashrrev_i32_e32 v4, 31, v4
	v_and_b32_e32 v106, v106, v110
	;; [unrolled: 8-line block ×5, first 2 shown]
	v_xor_b32_e32 v110, vcc_hi, v4
	v_xor_b32_e32 v4, vcc_lo, v4
	v_and_b32_e32 v106, v106, v110
	v_and_b32_e32 v110, v22, v4
	v_lshlrev_b32_e32 v4, 24, v21
	v_cmp_gt_i64_e32 vcc, 0, v[3:4]
	v_not_b32_e32 v4, v4
	v_ashrrev_i32_e32 v4, 31, v4
	v_mul_u32_u24_e32 v109, 20, v21
	v_xor_b32_e32 v21, vcc_hi, v4
	v_xor_b32_e32 v4, vcc_lo, v4
	v_and_b32_e32 v22, v106, v21
	v_and_b32_e32 v21, v110, v4
	v_mbcnt_lo_u32_b32 v4, v21, 0
	v_mbcnt_hi_u32_b32 v106, v22, v4
	v_cmp_ne_u64_e32 vcc, 0, v[21:22]
	v_cmp_eq_u32_e64 s[38:39], 0, v106
	s_and_b64 s[40:41], vcc, s[38:39]
	v_add_u32_e32 v110, v91, v109
	; wave barrier
	s_and_saveexec_b64 s[38:39], s[40:41]
	s_cbranch_execz .LBB2054_420
; %bb.419:                              ;   in Loop: Header=BB2054_394 Depth=2
	v_bcnt_u32_b32 v4, v21, 0
	v_bcnt_u32_b32 v4, v22, v4
	s_waitcnt lgkmcnt(0)
	v_add_u32_e32 v4, v104, v4
	ds_write_b32 v110, v4 offset:1040
.LBB2054_420:                           ;   in Loop: Header=BB2054_394 Depth=2
	s_or_b64 exec, exec, s[38:39]
	v_cmp_lt_i16_e32 vcc, -1, v107
	v_cndmask_b32_e32 v4, -1, v65, vcc
	v_xor_b32_e32 v107, v4, v107
	v_cmp_ne_u16_e32 vcc, s7, v107
	v_cndmask_b32_e32 v4, v65, v107, vcc
	v_lshrrev_b32_sdwa v4, s77, v4 dst_sel:DWORD dst_unused:UNUSED_PAD src0_sel:DWORD src1_sel:WORD_0
	v_and_b32_e32 v21, s63, v4
	v_mad_u32_u24 v4, v21, 20, v91
	; wave barrier
	ds_read_b32 v109, v4 offset:1040
	v_and_b32_e32 v4, 1, v21
	v_add_co_u32_e32 v22, vcc, -1, v4
	v_addc_co_u32_e64 v111, s[38:39], 0, -1, vcc
	v_cmp_ne_u32_e32 vcc, 0, v4
	v_xor_b32_e32 v4, vcc_hi, v111
	v_and_b32_e32 v111, exec_hi, v4
	v_lshlrev_b32_e32 v4, 30, v21
	v_xor_b32_e32 v22, vcc_lo, v22
	v_cmp_gt_i64_e32 vcc, 0, v[3:4]
	v_not_b32_e32 v4, v4
	v_ashrrev_i32_e32 v4, 31, v4
	v_and_b32_e32 v22, exec_lo, v22
	v_xor_b32_e32 v114, vcc_hi, v4
	v_xor_b32_e32 v4, vcc_lo, v4
	v_and_b32_e32 v22, v22, v4
	v_lshlrev_b32_e32 v4, 29, v21
	v_cmp_gt_i64_e32 vcc, 0, v[3:4]
	v_not_b32_e32 v4, v4
	v_ashrrev_i32_e32 v4, 31, v4
	v_and_b32_e32 v111, v111, v114
	v_xor_b32_e32 v114, vcc_hi, v4
	v_xor_b32_e32 v4, vcc_lo, v4
	v_and_b32_e32 v22, v22, v4
	v_lshlrev_b32_e32 v4, 28, v21
	v_cmp_gt_i64_e32 vcc, 0, v[3:4]
	v_not_b32_e32 v4, v4
	v_ashrrev_i32_e32 v4, 31, v4
	v_and_b32_e32 v111, v111, v114
	;; [unrolled: 8-line block ×5, first 2 shown]
	v_xor_b32_e32 v114, vcc_hi, v4
	v_xor_b32_e32 v4, vcc_lo, v4
	v_and_b32_e32 v111, v111, v114
	v_and_b32_e32 v114, v22, v4
	v_lshlrev_b32_e32 v4, 24, v21
	v_cmp_gt_i64_e32 vcc, 0, v[3:4]
	v_not_b32_e32 v4, v4
	v_ashrrev_i32_e32 v4, 31, v4
	v_mul_u32_u24_e32 v113, 20, v21
	v_xor_b32_e32 v21, vcc_hi, v4
	v_xor_b32_e32 v4, vcc_lo, v4
	v_and_b32_e32 v22, v111, v21
	v_and_b32_e32 v21, v114, v4
	v_mbcnt_lo_u32_b32 v4, v21, 0
	v_mbcnt_hi_u32_b32 v111, v22, v4
	v_cmp_ne_u64_e32 vcc, 0, v[21:22]
	v_cmp_eq_u32_e64 s[38:39], 0, v111
	s_and_b64 s[40:41], vcc, s[38:39]
	v_add_u32_e32 v114, v91, v113
	; wave barrier
	s_and_saveexec_b64 s[38:39], s[40:41]
	s_cbranch_execz .LBB2054_422
; %bb.421:                              ;   in Loop: Header=BB2054_394 Depth=2
	v_bcnt_u32_b32 v4, v21, 0
	v_bcnt_u32_b32 v4, v22, v4
	s_waitcnt lgkmcnt(0)
	v_add_u32_e32 v4, v109, v4
	ds_write_b32 v114, v4 offset:1040
.LBB2054_422:                           ;   in Loop: Header=BB2054_394 Depth=2
	s_or_b64 exec, exec, s[38:39]
	v_cmp_lt_i16_e32 vcc, -1, v112
	v_cndmask_b32_e32 v4, -1, v65, vcc
	v_xor_b32_e32 v112, v4, v112
	v_cmp_ne_u16_e32 vcc, s7, v112
	v_cndmask_b32_e32 v4, v65, v112, vcc
	v_lshrrev_b32_sdwa v4, s77, v4 dst_sel:DWORD dst_unused:UNUSED_PAD src0_sel:DWORD src1_sel:WORD_0
	v_and_b32_e32 v21, s63, v4
	v_mad_u32_u24 v4, v21, 20, v91
	; wave barrier
	ds_read_b32 v113, v4 offset:1040
	v_and_b32_e32 v4, 1, v21
	v_add_co_u32_e32 v22, vcc, -1, v4
	v_addc_co_u32_e64 v115, s[38:39], 0, -1, vcc
	v_cmp_ne_u32_e32 vcc, 0, v4
	v_xor_b32_e32 v4, vcc_hi, v115
	v_and_b32_e32 v115, exec_hi, v4
	v_lshlrev_b32_e32 v4, 30, v21
	v_xor_b32_e32 v22, vcc_lo, v22
	v_cmp_gt_i64_e32 vcc, 0, v[3:4]
	v_not_b32_e32 v4, v4
	v_ashrrev_i32_e32 v4, 31, v4
	v_and_b32_e32 v22, exec_lo, v22
	v_xor_b32_e32 v117, vcc_hi, v4
	v_xor_b32_e32 v4, vcc_lo, v4
	v_and_b32_e32 v22, v22, v4
	v_lshlrev_b32_e32 v4, 29, v21
	v_cmp_gt_i64_e32 vcc, 0, v[3:4]
	v_not_b32_e32 v4, v4
	v_ashrrev_i32_e32 v4, 31, v4
	v_and_b32_e32 v115, v115, v117
	v_xor_b32_e32 v117, vcc_hi, v4
	v_xor_b32_e32 v4, vcc_lo, v4
	v_and_b32_e32 v22, v22, v4
	v_lshlrev_b32_e32 v4, 28, v21
	v_cmp_gt_i64_e32 vcc, 0, v[3:4]
	v_not_b32_e32 v4, v4
	v_ashrrev_i32_e32 v4, 31, v4
	v_and_b32_e32 v115, v115, v117
	;; [unrolled: 8-line block ×5, first 2 shown]
	v_xor_b32_e32 v117, vcc_hi, v4
	v_xor_b32_e32 v4, vcc_lo, v4
	v_and_b32_e32 v115, v115, v117
	v_and_b32_e32 v117, v22, v4
	v_lshlrev_b32_e32 v4, 24, v21
	v_cmp_gt_i64_e32 vcc, 0, v[3:4]
	v_not_b32_e32 v4, v4
	v_ashrrev_i32_e32 v4, 31, v4
	v_mul_u32_u24_e32 v116, 20, v21
	v_xor_b32_e32 v21, vcc_hi, v4
	v_xor_b32_e32 v4, vcc_lo, v4
	v_and_b32_e32 v22, v115, v21
	v_and_b32_e32 v21, v117, v4
	v_mbcnt_lo_u32_b32 v4, v21, 0
	v_mbcnt_hi_u32_b32 v115, v22, v4
	v_cmp_ne_u64_e32 vcc, 0, v[21:22]
	v_cmp_eq_u32_e64 s[38:39], 0, v115
	s_and_b64 s[40:41], vcc, s[38:39]
	v_add_u32_e32 v118, v91, v116
	; wave barrier
	s_and_saveexec_b64 s[38:39], s[40:41]
	s_cbranch_execz .LBB2054_424
; %bb.423:                              ;   in Loop: Header=BB2054_394 Depth=2
	v_bcnt_u32_b32 v4, v21, 0
	v_bcnt_u32_b32 v4, v22, v4
	s_waitcnt lgkmcnt(0)
	v_add_u32_e32 v4, v113, v4
	ds_write_b32 v118, v4 offset:1040
.LBB2054_424:                           ;   in Loop: Header=BB2054_394 Depth=2
	s_or_b64 exec, exec, s[38:39]
	v_cmp_lt_i16_e32 vcc, -1, v108
	v_cndmask_b32_e32 v4, -1, v65, vcc
	v_xor_b32_e32 v116, v4, v108
	v_cmp_ne_u16_e32 vcc, s7, v116
	v_cndmask_b32_e32 v4, v65, v116, vcc
	v_lshrrev_b32_sdwa v4, s77, v4 dst_sel:DWORD dst_unused:UNUSED_PAD src0_sel:DWORD src1_sel:WORD_0
	v_and_b32_e32 v21, s63, v4
	v_mad_u32_u24 v4, v21, 20, v91
	; wave barrier
	ds_read_b32 v117, v4 offset:1040
	v_and_b32_e32 v4, 1, v21
	v_add_co_u32_e32 v22, vcc, -1, v4
	v_addc_co_u32_e64 v119, s[38:39], 0, -1, vcc
	v_cmp_ne_u32_e32 vcc, 0, v4
	v_xor_b32_e32 v4, vcc_hi, v119
	v_and_b32_e32 v119, exec_hi, v4
	v_lshlrev_b32_e32 v4, 30, v21
	v_xor_b32_e32 v22, vcc_lo, v22
	v_cmp_gt_i64_e32 vcc, 0, v[3:4]
	v_not_b32_e32 v4, v4
	v_ashrrev_i32_e32 v4, 31, v4
	v_and_b32_e32 v22, exec_lo, v22
	v_xor_b32_e32 v120, vcc_hi, v4
	v_xor_b32_e32 v4, vcc_lo, v4
	v_and_b32_e32 v22, v22, v4
	v_lshlrev_b32_e32 v4, 29, v21
	v_cmp_gt_i64_e32 vcc, 0, v[3:4]
	v_not_b32_e32 v4, v4
	v_ashrrev_i32_e32 v4, 31, v4
	v_and_b32_e32 v119, v119, v120
	v_xor_b32_e32 v120, vcc_hi, v4
	v_xor_b32_e32 v4, vcc_lo, v4
	v_and_b32_e32 v22, v22, v4
	v_lshlrev_b32_e32 v4, 28, v21
	v_cmp_gt_i64_e32 vcc, 0, v[3:4]
	v_not_b32_e32 v4, v4
	v_ashrrev_i32_e32 v4, 31, v4
	v_and_b32_e32 v119, v119, v120
	;; [unrolled: 8-line block ×5, first 2 shown]
	v_xor_b32_e32 v120, vcc_hi, v4
	v_xor_b32_e32 v4, vcc_lo, v4
	v_and_b32_e32 v119, v119, v120
	v_and_b32_e32 v120, v22, v4
	v_lshlrev_b32_e32 v4, 24, v21
	v_cmp_gt_i64_e32 vcc, 0, v[3:4]
	v_not_b32_e32 v4, v4
	v_ashrrev_i32_e32 v4, 31, v4
	v_mul_u32_u24_e32 v108, 20, v21
	v_xor_b32_e32 v21, vcc_hi, v4
	v_xor_b32_e32 v4, vcc_lo, v4
	v_and_b32_e32 v22, v119, v21
	v_and_b32_e32 v21, v120, v4
	v_mbcnt_lo_u32_b32 v4, v21, 0
	v_mbcnt_hi_u32_b32 v119, v22, v4
	v_cmp_ne_u64_e32 vcc, 0, v[21:22]
	v_cmp_eq_u32_e64 s[38:39], 0, v119
	s_and_b64 s[40:41], vcc, s[38:39]
	v_add_u32_e32 v108, v91, v108
	; wave barrier
	s_and_saveexec_b64 s[38:39], s[40:41]
	s_cbranch_execz .LBB2054_426
; %bb.425:                              ;   in Loop: Header=BB2054_394 Depth=2
	v_bcnt_u32_b32 v4, v21, 0
	v_bcnt_u32_b32 v4, v22, v4
	s_waitcnt lgkmcnt(0)
	v_add_u32_e32 v4, v117, v4
	ds_write_b32 v108, v4 offset:1040
.LBB2054_426:                           ;   in Loop: Header=BB2054_394 Depth=2
	s_or_b64 exec, exec, s[38:39]
	v_cmp_lt_i16_e32 vcc, -1, v24
	v_cndmask_b32_e32 v4, -1, v65, vcc
	v_xor_b32_e32 v120, v4, v24
	v_cmp_ne_u16_e32 vcc, s7, v120
	v_cndmask_b32_e32 v4, v65, v120, vcc
	v_lshrrev_b32_sdwa v4, s77, v4 dst_sel:DWORD dst_unused:UNUSED_PAD src0_sel:DWORD src1_sel:WORD_0
	v_and_b32_e32 v21, s63, v4
	v_mad_u32_u24 v4, v21, 20, v91
	; wave barrier
	ds_read_b32 v121, v4 offset:1040
	v_and_b32_e32 v4, 1, v21
	v_add_co_u32_e32 v22, vcc, -1, v4
	v_addc_co_u32_e64 v122, s[38:39], 0, -1, vcc
	v_cmp_ne_u32_e32 vcc, 0, v4
	v_xor_b32_e32 v4, vcc_hi, v122
	v_and_b32_e32 v122, exec_hi, v4
	v_lshlrev_b32_e32 v4, 30, v21
	v_xor_b32_e32 v22, vcc_lo, v22
	v_cmp_gt_i64_e32 vcc, 0, v[3:4]
	v_not_b32_e32 v4, v4
	v_ashrrev_i32_e32 v4, 31, v4
	v_and_b32_e32 v22, exec_lo, v22
	v_xor_b32_e32 v123, vcc_hi, v4
	v_xor_b32_e32 v4, vcc_lo, v4
	v_and_b32_e32 v22, v22, v4
	v_lshlrev_b32_e32 v4, 29, v21
	v_cmp_gt_i64_e32 vcc, 0, v[3:4]
	v_not_b32_e32 v4, v4
	v_ashrrev_i32_e32 v4, 31, v4
	v_and_b32_e32 v122, v122, v123
	v_xor_b32_e32 v123, vcc_hi, v4
	v_xor_b32_e32 v4, vcc_lo, v4
	v_and_b32_e32 v22, v22, v4
	v_lshlrev_b32_e32 v4, 28, v21
	v_cmp_gt_i64_e32 vcc, 0, v[3:4]
	v_not_b32_e32 v4, v4
	v_ashrrev_i32_e32 v4, 31, v4
	v_and_b32_e32 v122, v122, v123
	;; [unrolled: 8-line block ×5, first 2 shown]
	v_xor_b32_e32 v123, vcc_hi, v4
	v_xor_b32_e32 v4, vcc_lo, v4
	v_and_b32_e32 v122, v122, v123
	v_and_b32_e32 v123, v22, v4
	v_lshlrev_b32_e32 v4, 24, v21
	v_cmp_gt_i64_e32 vcc, 0, v[3:4]
	v_not_b32_e32 v4, v4
	v_ashrrev_i32_e32 v4, 31, v4
	v_mul_u32_u24_e32 v24, 20, v21
	v_xor_b32_e32 v21, vcc_hi, v4
	v_xor_b32_e32 v4, vcc_lo, v4
	v_and_b32_e32 v22, v122, v21
	v_and_b32_e32 v21, v123, v4
	v_mbcnt_lo_u32_b32 v4, v21, 0
	v_mbcnt_hi_u32_b32 v122, v22, v4
	v_cmp_ne_u64_e32 vcc, 0, v[21:22]
	v_cmp_eq_u32_e64 s[38:39], 0, v122
	s_and_b64 s[40:41], vcc, s[38:39]
	v_add_u32_e32 v125, v91, v24
	; wave barrier
	s_and_saveexec_b64 s[38:39], s[40:41]
	s_cbranch_execz .LBB2054_428
; %bb.427:                              ;   in Loop: Header=BB2054_394 Depth=2
	v_bcnt_u32_b32 v4, v21, 0
	v_bcnt_u32_b32 v4, v22, v4
	s_waitcnt lgkmcnt(0)
	v_add_u32_e32 v4, v121, v4
	ds_write_b32 v125, v4 offset:1040
.LBB2054_428:                           ;   in Loop: Header=BB2054_394 Depth=2
	s_or_b64 exec, exec, s[38:39]
	v_cmp_lt_i16_e32 vcc, -1, v23
	v_cndmask_b32_e32 v4, -1, v65, vcc
	v_xor_b32_e32 v123, v4, v23
	v_cmp_ne_u16_e32 vcc, s7, v123
	v_cndmask_b32_e32 v4, v65, v123, vcc
	v_lshrrev_b32_sdwa v4, s77, v4 dst_sel:DWORD dst_unused:UNUSED_PAD src0_sel:DWORD src1_sel:WORD_0
	v_and_b32_e32 v21, s63, v4
	v_mad_u32_u24 v4, v21, 20, v91
	; wave barrier
	ds_read_b32 v124, v4 offset:1040
	v_and_b32_e32 v4, 1, v21
	v_add_co_u32_e32 v22, vcc, -1, v4
	v_addc_co_u32_e64 v24, s[38:39], 0, -1, vcc
	v_cmp_ne_u32_e32 vcc, 0, v4
	v_xor_b32_e32 v4, vcc_hi, v24
	v_and_b32_e32 v24, exec_hi, v4
	v_lshlrev_b32_e32 v4, 30, v21
	v_xor_b32_e32 v22, vcc_lo, v22
	v_cmp_gt_i64_e32 vcc, 0, v[3:4]
	v_not_b32_e32 v4, v4
	v_ashrrev_i32_e32 v4, 31, v4
	v_and_b32_e32 v22, exec_lo, v22
	v_xor_b32_e32 v126, vcc_hi, v4
	v_xor_b32_e32 v4, vcc_lo, v4
	v_and_b32_e32 v22, v22, v4
	v_lshlrev_b32_e32 v4, 29, v21
	v_cmp_gt_i64_e32 vcc, 0, v[3:4]
	v_not_b32_e32 v4, v4
	v_ashrrev_i32_e32 v4, 31, v4
	v_and_b32_e32 v24, v24, v126
	v_xor_b32_e32 v126, vcc_hi, v4
	v_xor_b32_e32 v4, vcc_lo, v4
	v_and_b32_e32 v22, v22, v4
	v_lshlrev_b32_e32 v4, 28, v21
	v_cmp_gt_i64_e32 vcc, 0, v[3:4]
	v_not_b32_e32 v4, v4
	v_ashrrev_i32_e32 v4, 31, v4
	v_and_b32_e32 v24, v24, v126
	;; [unrolled: 8-line block ×5, first 2 shown]
	v_xor_b32_e32 v126, vcc_hi, v4
	v_xor_b32_e32 v4, vcc_lo, v4
	v_and_b32_e32 v24, v24, v126
	v_and_b32_e32 v126, v22, v4
	v_lshlrev_b32_e32 v4, 24, v21
	v_cmp_gt_i64_e32 vcc, 0, v[3:4]
	v_not_b32_e32 v4, v4
	v_ashrrev_i32_e32 v4, 31, v4
	v_mul_u32_u24_e32 v23, 20, v21
	v_xor_b32_e32 v21, vcc_hi, v4
	v_xor_b32_e32 v4, vcc_lo, v4
	v_and_b32_e32 v22, v24, v21
	v_and_b32_e32 v21, v126, v4
	v_mbcnt_lo_u32_b32 v4, v21, 0
	v_mbcnt_hi_u32_b32 v126, v22, v4
	v_cmp_ne_u64_e32 vcc, 0, v[21:22]
	v_cmp_eq_u32_e64 s[38:39], 0, v126
	s_and_b64 s[40:41], vcc, s[38:39]
	v_add_u32_e32 v4, v91, v23
	; wave barrier
	s_and_saveexec_b64 s[38:39], s[40:41]
	s_cbranch_execz .LBB2054_430
; %bb.429:                              ;   in Loop: Header=BB2054_394 Depth=2
	v_bcnt_u32_b32 v21, v21, 0
	v_bcnt_u32_b32 v21, v22, v21
	s_waitcnt lgkmcnt(0)
	v_add_u32_e32 v21, v124, v21
	ds_write_b32 v4, v21 offset:1040
.LBB2054_430:                           ;   in Loop: Header=BB2054_394 Depth=2
	s_or_b64 exec, exec, s[38:39]
	; wave barrier
	s_waitcnt lgkmcnt(0)
	s_barrier
	ds_read2_b32 v[23:24], v62 offset1:1
	ds_read2_b32 v[21:22], v63 offset1:1
	ds_read_b32 v127, v41 offset:1056
	s_waitcnt lgkmcnt(1)
	v_add3_u32 v128, v24, v23, v21
	s_waitcnt lgkmcnt(0)
	v_add3_u32 v127, v128, v22, v127
	s_nop 1
	v_mov_b32_dpp v128, v127 row_shr:1 row_mask:0xf bank_mask:0xf
	v_cndmask_b32_e64 v128, v128, 0, s[18:19]
	v_add_u32_e32 v127, v128, v127
	s_nop 1
	v_mov_b32_dpp v128, v127 row_shr:2 row_mask:0xf bank_mask:0xf
	v_cndmask_b32_e64 v128, 0, v128, s[20:21]
	v_add_u32_e32 v127, v127, v128
	;; [unrolled: 4-line block ×4, first 2 shown]
	s_nop 1
	v_mov_b32_dpp v128, v127 row_bcast:15 row_mask:0xf bank_mask:0xf
	v_cndmask_b32_e64 v128, v128, 0, s[26:27]
	v_add_u32_e32 v127, v127, v128
	s_nop 1
	v_mov_b32_dpp v128, v127 row_bcast:31 row_mask:0xf bank_mask:0xf
	v_cndmask_b32_e64 v128, 0, v128, s[28:29]
	v_add_u32_e32 v127, v127, v128
	s_and_saveexec_b64 s[38:39], s[8:9]
; %bb.431:                              ;   in Loop: Header=BB2054_394 Depth=2
	ds_write_b32 v37, v127 offset:1024
; %bb.432:                              ;   in Loop: Header=BB2054_394 Depth=2
	s_or_b64 exec, exec, s[38:39]
	s_waitcnt lgkmcnt(0)
	s_barrier
	s_and_saveexec_b64 s[38:39], s[10:11]
	s_cbranch_execz .LBB2054_434
; %bb.433:                              ;   in Loop: Header=BB2054_394 Depth=2
	ds_read_b32 v128, v42 offset:1024
	s_waitcnt lgkmcnt(0)
	s_nop 0
	v_mov_b32_dpp v129, v128 row_shr:1 row_mask:0xf bank_mask:0xf
	v_cndmask_b32_e64 v129, v129, 0, s[34:35]
	v_add_u32_e32 v128, v129, v128
	s_nop 1
	v_mov_b32_dpp v129, v128 row_shr:2 row_mask:0xf bank_mask:0xf
	v_cndmask_b32_e64 v129, 0, v129, s[36:37]
	v_add_u32_e32 v128, v128, v129
	ds_write_b32 v42, v128 offset:1024
.LBB2054_434:                           ;   in Loop: Header=BB2054_394 Depth=2
	s_or_b64 exec, exec, s[38:39]
	v_mov_b32_e32 v128, 0
	s_waitcnt lgkmcnt(0)
	s_barrier
	s_and_saveexec_b64 s[38:39], s[12:13]
; %bb.435:                              ;   in Loop: Header=BB2054_394 Depth=2
	ds_read_b32 v128, v37 offset:1020
; %bb.436:                              ;   in Loop: Header=BB2054_394 Depth=2
	s_or_b64 exec, exec, s[38:39]
	s_waitcnt lgkmcnt(0)
	v_add_u32_e32 v127, v128, v127
	ds_bpermute_b32 v127, v82, v127
	s_waitcnt lgkmcnt(0)
	v_cndmask_b32_e64 v127, v127, v128, s[30:31]
	v_cndmask_b32_e64 v127, v127, 0, s[14:15]
	v_add_u32_e32 v23, v127, v23
	v_add_u32_e32 v24, v23, v24
	;; [unrolled: 1-line block ×4, first 2 shown]
	ds_write2_b32 v62, v127, v23 offset1:1
	ds_write2_b32 v63, v24, v21 offset1:1
	ds_write_b32 v41, v22 offset:1056
	s_waitcnt lgkmcnt(0)
	s_barrier
	ds_read_b32 v21, v101 offset:1040
	ds_read_b32 v22, v105 offset:1040
	;; [unrolled: 1-line block ×9, first 2 shown]
	v_mov_b32_e32 v4, 0x800
	s_and_saveexec_b64 s[38:39], s[16:17]
; %bb.437:                              ;   in Loop: Header=BB2054_394 Depth=2
	ds_read_b32 v4, v41 offset:1060
; %bb.438:                              ;   in Loop: Header=BB2054_394 Depth=2
	s_or_b64 exec, exec, s[38:39]
	s_waitcnt lgkmcnt(0)
	s_barrier
	s_and_saveexec_b64 s[38:39], s[4:5]
	s_cbranch_execz .LBB2054_440
; %bb.439:                              ;   in Loop: Header=BB2054_394 Depth=2
	ds_read_b32 v105, v25
	s_waitcnt lgkmcnt(0)
	v_sub_u32_e32 v101, v105, v101
	ds_write_b32 v25, v101
.LBB2054_440:                           ;   in Loop: Header=BB2054_394 Depth=2
	s_or_b64 exec, exec, s[38:39]
	v_add_u32_e32 v108, v21, v98
	v_add3_u32 v105, v102, v100, v22
	v_lshlrev_b32_e32 v21, 1, v108
	v_add3_u32 v102, v106, v104, v23
	ds_write_b16 v21, v97 offset:1024
	v_lshlrev_b32_e32 v21, 1, v105
	v_add3_u32 v101, v111, v109, v24
	ds_write_b16 v21, v99 offset:1024
	;; [unrolled: 3-line block ×6, first 2 shown]
	v_lshlrev_b32_e32 v21, 1, v24
	ds_write_b16 v21, v120 offset:1024
	v_lshlrev_b32_e32 v21, 1, v23
	v_cmp_lt_u32_e32 vcc, v0, v96
	ds_write_b16 v21, v123 offset:1024
	s_waitcnt lgkmcnt(0)
	s_barrier
	s_and_saveexec_b64 s[40:41], vcc
	s_cbranch_execnz .LBB2054_477
; %bb.441:                              ;   in Loop: Header=BB2054_394 Depth=2
	s_or_b64 exec, exec, s[40:41]
	v_cmp_lt_u32_e64 s[38:39], v26, v96
	s_and_saveexec_b64 s[42:43], s[38:39]
	s_cbranch_execnz .LBB2054_478
.LBB2054_442:                           ;   in Loop: Header=BB2054_394 Depth=2
	s_or_b64 exec, exec, s[42:43]
	v_cmp_lt_u32_e64 s[40:41], v27, v96
	s_and_saveexec_b64 s[44:45], s[40:41]
	s_cbranch_execnz .LBB2054_479
.LBB2054_443:                           ;   in Loop: Header=BB2054_394 Depth=2
	s_or_b64 exec, exec, s[44:45]
	v_cmp_lt_u32_e64 s[42:43], v28, v96
	s_and_saveexec_b64 s[46:47], s[42:43]
	s_cbranch_execnz .LBB2054_480
.LBB2054_444:                           ;   in Loop: Header=BB2054_394 Depth=2
	s_or_b64 exec, exec, s[46:47]
	v_cmp_lt_u32_e64 s[44:45], v31, v96
	s_and_saveexec_b64 s[48:49], s[44:45]
	s_cbranch_execnz .LBB2054_481
.LBB2054_445:                           ;   in Loop: Header=BB2054_394 Depth=2
	s_or_b64 exec, exec, s[48:49]
	v_cmp_lt_u32_e64 s[46:47], v32, v96
	s_and_saveexec_b64 s[50:51], s[46:47]
	s_cbranch_execnz .LBB2054_482
.LBB2054_446:                           ;   in Loop: Header=BB2054_394 Depth=2
	s_or_b64 exec, exec, s[50:51]
	v_cmp_lt_u32_e64 s[48:49], v33, v96
	s_and_saveexec_b64 s[52:53], s[48:49]
	s_cbranch_execnz .LBB2054_483
.LBB2054_447:                           ;   in Loop: Header=BB2054_394 Depth=2
	s_or_b64 exec, exec, s[52:53]
	v_cmp_lt_u32_e64 s[50:51], v34, v96
	s_and_saveexec_b64 s[60:61], s[50:51]
	s_cbranch_execz .LBB2054_449
.LBB2054_448:                           ;   in Loop: Header=BB2054_394 Depth=2
	ds_read_u16 v21, v47 offset:4608
	v_mov_b32_e32 v22, v3
	v_mov_b32_e32 v99, s67
	s_waitcnt lgkmcnt(0)
	v_cmp_ne_u16_e64 s[52:53], s7, v21
	v_cndmask_b32_e64 v97, v65, v21, s[52:53]
	v_lshrrev_b32_sdwa v97, s77, v97 dst_sel:DWORD dst_unused:UNUSED_PAD src0_sel:DWORD src1_sel:WORD_0
	v_and_b32_e32 v97, s63, v97
	v_lshlrev_b32_e32 v97, 2, v97
	ds_read_b32 v97, v97
	v_cmp_lt_i16_e64 s[52:53], -1, v21
	v_cndmask_b32_e64 v103, v65, -1, s[52:53]
	v_xor_b32_e32 v103, v103, v21
	s_waitcnt lgkmcnt(0)
	v_add_u32_e32 v21, v97, v34
	v_lshlrev_b64 v[21:22], 1, v[21:22]
	v_add_co_u32_e64 v21, s[52:53], s66, v21
	v_addc_co_u32_e64 v22, s[52:53], v99, v22, s[52:53]
	global_store_short v[21:22], v103, off
.LBB2054_449:                           ;   in Loop: Header=BB2054_394 Depth=2
	s_or_b64 exec, exec, s[60:61]
	s_lshl_b64 s[52:53], s[58:59], 3
	v_mov_b32_e32 v22, s53
	v_add_co_u32_e64 v21, s[52:53], s52, v83
	v_addc_co_u32_e64 v22, s[52:53], v84, v22, s[52:53]
	v_cmp_lt_u32_e64 s[52:53], v73, v96
	s_and_saveexec_b64 s[60:61], s[52:53]
	s_xor_b64 s[52:53], exec, s[60:61]
	s_cbranch_execnz .LBB2054_484
; %bb.450:                              ;   in Loop: Header=BB2054_394 Depth=2
	s_or_b64 exec, exec, s[52:53]
	v_cmp_lt_u32_e64 s[52:53], v74, v96
	s_and_saveexec_b64 s[60:61], s[52:53]
	s_cbranch_execnz .LBB2054_485
.LBB2054_451:                           ;   in Loop: Header=BB2054_394 Depth=2
	s_or_b64 exec, exec, s[60:61]
	v_cmp_lt_u32_e64 s[52:53], v75, v96
	s_and_saveexec_b64 s[60:61], s[52:53]
	s_cbranch_execnz .LBB2054_486
.LBB2054_452:                           ;   in Loop: Header=BB2054_394 Depth=2
	s_or_b64 exec, exec, s[60:61]
	v_cmp_lt_u32_e64 s[52:53], v76, v96
	s_and_saveexec_b64 s[60:61], s[52:53]
	s_cbranch_execnz .LBB2054_487
.LBB2054_453:                           ;   in Loop: Header=BB2054_394 Depth=2
	s_or_b64 exec, exec, s[60:61]
	v_cmp_lt_u32_e64 s[52:53], v77, v96
	s_and_saveexec_b64 s[60:61], s[52:53]
	s_cbranch_execnz .LBB2054_488
.LBB2054_454:                           ;   in Loop: Header=BB2054_394 Depth=2
	s_or_b64 exec, exec, s[60:61]
	v_cmp_lt_u32_e64 s[52:53], v78, v96
	s_and_saveexec_b64 s[60:61], s[52:53]
	s_cbranch_execnz .LBB2054_489
.LBB2054_455:                           ;   in Loop: Header=BB2054_394 Depth=2
	s_or_b64 exec, exec, s[60:61]
	v_cmp_lt_u32_e64 s[52:53], v79, v96
	s_and_saveexec_b64 s[60:61], s[52:53]
	s_cbranch_execnz .LBB2054_490
.LBB2054_456:                           ;   in Loop: Header=BB2054_394 Depth=2
	s_or_b64 exec, exec, s[60:61]
	v_cmp_lt_u32_e64 s[52:53], v80, v96
	s_and_saveexec_b64 s[60:61], s[52:53]
	s_cbranch_execnz .LBB2054_491
.LBB2054_457:                           ;   in Loop: Header=BB2054_394 Depth=2
	s_or_b64 exec, exec, s[60:61]
	s_and_saveexec_b64 s[60:61], vcc
	s_cbranch_execnz .LBB2054_492
.LBB2054_458:                           ;   in Loop: Header=BB2054_394 Depth=2
	s_or_b64 exec, exec, s[60:61]
	s_and_saveexec_b64 s[60:61], s[38:39]
	s_cbranch_execnz .LBB2054_493
.LBB2054_459:                           ;   in Loop: Header=BB2054_394 Depth=2
	s_or_b64 exec, exec, s[60:61]
	s_and_saveexec_b64 s[60:61], s[40:41]
	s_cbranch_execnz .LBB2054_494
.LBB2054_460:                           ;   in Loop: Header=BB2054_394 Depth=2
	s_or_b64 exec, exec, s[60:61]
	s_and_saveexec_b64 s[60:61], s[42:43]
	s_cbranch_execnz .LBB2054_495
.LBB2054_461:                           ;   in Loop: Header=BB2054_394 Depth=2
	s_or_b64 exec, exec, s[60:61]
	s_and_saveexec_b64 s[60:61], s[44:45]
	s_cbranch_execnz .LBB2054_496
.LBB2054_462:                           ;   in Loop: Header=BB2054_394 Depth=2
	s_or_b64 exec, exec, s[60:61]
	s_and_saveexec_b64 s[60:61], s[46:47]
	s_cbranch_execnz .LBB2054_497
.LBB2054_463:                           ;   in Loop: Header=BB2054_394 Depth=2
	s_or_b64 exec, exec, s[60:61]
	s_and_saveexec_b64 s[60:61], s[48:49]
	s_cbranch_execnz .LBB2054_498
.LBB2054_464:                           ;   in Loop: Header=BB2054_394 Depth=2
	s_or_b64 exec, exec, s[60:61]
	s_and_saveexec_b64 s[60:61], s[50:51]
	s_cbranch_execz .LBB2054_466
.LBB2054_465:                           ;   in Loop: Header=BB2054_394 Depth=2
	ds_read_u16 v21, v47 offset:4608
	s_waitcnt lgkmcnt(0)
	v_cmp_ne_u16_e64 s[52:53], s7, v21
	v_cndmask_b32_e64 v21, v65, v21, s[52:53]
	v_lshrrev_b32_sdwa v21, s77, v21 dst_sel:DWORD dst_unused:UNUSED_PAD src0_sel:DWORD src1_sel:WORD_0
	v_and_b32_e32 v87, s63, v21
.LBB2054_466:                           ;   in Loop: Header=BB2054_394 Depth=2
	s_or_b64 exec, exec, s[60:61]
	v_lshlrev_b32_e32 v21, 3, v108
	s_waitcnt vmcnt(0)
	s_barrier
	ds_write_b64 v21, v[19:20] offset:1024
	v_lshlrev_b32_e32 v21, 3, v105
	ds_write_b64 v21, v[17:18] offset:1024
	v_lshlrev_b32_e32 v21, 3, v102
	;; [unrolled: 2-line block ×7, first 2 shown]
	ds_write_b64 v21, v[5:6] offset:1024
	s_waitcnt lgkmcnt(0)
	s_barrier
	s_and_saveexec_b64 s[52:53], vcc
	s_cbranch_execnz .LBB2054_499
; %bb.467:                              ;   in Loop: Header=BB2054_394 Depth=2
	s_or_b64 exec, exec, s[52:53]
	s_and_saveexec_b64 s[52:53], s[38:39]
	s_cbranch_execnz .LBB2054_500
.LBB2054_468:                           ;   in Loop: Header=BB2054_394 Depth=2
	s_or_b64 exec, exec, s[52:53]
	s_and_saveexec_b64 s[38:39], s[40:41]
	s_cbranch_execnz .LBB2054_501
.LBB2054_469:                           ;   in Loop: Header=BB2054_394 Depth=2
	s_or_b64 exec, exec, s[38:39]
	s_and_saveexec_b64 s[38:39], s[42:43]
	s_cbranch_execnz .LBB2054_502
.LBB2054_470:                           ;   in Loop: Header=BB2054_394 Depth=2
	s_or_b64 exec, exec, s[38:39]
	s_and_saveexec_b64 s[38:39], s[44:45]
	s_cbranch_execnz .LBB2054_503
.LBB2054_471:                           ;   in Loop: Header=BB2054_394 Depth=2
	s_or_b64 exec, exec, s[38:39]
	s_and_saveexec_b64 s[38:39], s[46:47]
	s_cbranch_execnz .LBB2054_504
.LBB2054_472:                           ;   in Loop: Header=BB2054_394 Depth=2
	s_or_b64 exec, exec, s[38:39]
	s_and_saveexec_b64 s[38:39], s[48:49]
	s_cbranch_execnz .LBB2054_505
.LBB2054_473:                           ;   in Loop: Header=BB2054_394 Depth=2
	s_or_b64 exec, exec, s[38:39]
	s_and_saveexec_b64 s[38:39], s[50:51]
	s_cbranch_execz .LBB2054_475
.LBB2054_474:                           ;   in Loop: Header=BB2054_394 Depth=2
	v_lshlrev_b32_e32 v21, 2, v87
	ds_read_b32 v23, v21
	v_add_u32_e32 v21, v47, v48
	ds_read_b64 v[21:22], v21 offset:15360
	v_mov_b32_e32 v24, v3
	v_mov_b32_e32 v96, s73
	s_waitcnt lgkmcnt(1)
	v_add_u32_e32 v23, v23, v34
	v_lshlrev_b64 v[23:24], 3, v[23:24]
	v_add_co_u32_e32 v23, vcc, s72, v23
	v_addc_co_u32_e32 v24, vcc, v96, v24, vcc
	s_waitcnt lgkmcnt(0)
	global_store_dwordx2 v[23:24], v[21:22], off
.LBB2054_475:                           ;   in Loop: Header=BB2054_394 Depth=2
	s_or_b64 exec, exec, s[38:39]
	s_waitcnt vmcnt(0)
	s_barrier
	s_and_saveexec_b64 s[38:39], s[4:5]
	s_cbranch_execz .LBB2054_393
; %bb.476:                              ;   in Loop: Header=BB2054_394 Depth=2
	ds_read_b32 v21, v25
	s_waitcnt lgkmcnt(0)
	v_add_u32_e32 v4, v21, v4
	ds_write_b32 v25, v4
	s_branch .LBB2054_393
.LBB2054_477:                           ;   in Loop: Header=BB2054_394 Depth=2
	ds_read_u16 v21, v47 offset:1024
	v_mov_b32_e32 v22, v3
	v_mov_b32_e32 v99, s67
	s_waitcnt lgkmcnt(0)
	v_cmp_ne_u16_e64 s[38:39], s7, v21
	v_cndmask_b32_e64 v97, v65, v21, s[38:39]
	v_lshrrev_b32_sdwa v97, s77, v97 dst_sel:DWORD dst_unused:UNUSED_PAD src0_sel:DWORD src1_sel:WORD_0
	v_and_b32_e32 v97, s63, v97
	v_lshlrev_b32_e32 v97, 2, v97
	ds_read_b32 v97, v97
	v_cmp_lt_i16_e64 s[38:39], -1, v21
	v_cndmask_b32_e64 v103, v65, -1, s[38:39]
	v_xor_b32_e32 v103, v103, v21
	s_waitcnt lgkmcnt(0)
	v_add_u32_e32 v21, v97, v0
	v_lshlrev_b64 v[21:22], 1, v[21:22]
	v_add_co_u32_e64 v21, s[38:39], s66, v21
	v_addc_co_u32_e64 v22, s[38:39], v99, v22, s[38:39]
	global_store_short v[21:22], v103, off
	s_or_b64 exec, exec, s[40:41]
	v_cmp_lt_u32_e64 s[38:39], v26, v96
	s_and_saveexec_b64 s[42:43], s[38:39]
	s_cbranch_execz .LBB2054_442
.LBB2054_478:                           ;   in Loop: Header=BB2054_394 Depth=2
	ds_read_u16 v21, v47 offset:1536
	v_mov_b32_e32 v22, v3
	v_mov_b32_e32 v99, s67
	s_waitcnt lgkmcnt(0)
	v_cmp_ne_u16_e64 s[40:41], s7, v21
	v_cndmask_b32_e64 v97, v65, v21, s[40:41]
	v_lshrrev_b32_sdwa v97, s77, v97 dst_sel:DWORD dst_unused:UNUSED_PAD src0_sel:DWORD src1_sel:WORD_0
	v_and_b32_e32 v97, s63, v97
	v_lshlrev_b32_e32 v97, 2, v97
	ds_read_b32 v97, v97
	v_cmp_lt_i16_e64 s[40:41], -1, v21
	v_cndmask_b32_e64 v103, v65, -1, s[40:41]
	v_xor_b32_e32 v103, v103, v21
	s_waitcnt lgkmcnt(0)
	v_add_u32_e32 v21, v97, v26
	v_lshlrev_b64 v[21:22], 1, v[21:22]
	v_add_co_u32_e64 v21, s[40:41], s66, v21
	v_addc_co_u32_e64 v22, s[40:41], v99, v22, s[40:41]
	global_store_short v[21:22], v103, off
	s_or_b64 exec, exec, s[42:43]
	v_cmp_lt_u32_e64 s[40:41], v27, v96
	s_and_saveexec_b64 s[44:45], s[40:41]
	s_cbranch_execz .LBB2054_443
.LBB2054_479:                           ;   in Loop: Header=BB2054_394 Depth=2
	ds_read_u16 v21, v47 offset:2048
	v_mov_b32_e32 v22, v3
	v_mov_b32_e32 v99, s67
	s_waitcnt lgkmcnt(0)
	v_cmp_ne_u16_e64 s[42:43], s7, v21
	v_cndmask_b32_e64 v97, v65, v21, s[42:43]
	v_lshrrev_b32_sdwa v97, s77, v97 dst_sel:DWORD dst_unused:UNUSED_PAD src0_sel:DWORD src1_sel:WORD_0
	v_and_b32_e32 v97, s63, v97
	v_lshlrev_b32_e32 v97, 2, v97
	ds_read_b32 v97, v97
	v_cmp_lt_i16_e64 s[42:43], -1, v21
	v_cndmask_b32_e64 v103, v65, -1, s[42:43]
	v_xor_b32_e32 v103, v103, v21
	s_waitcnt lgkmcnt(0)
	v_add_u32_e32 v21, v97, v27
	v_lshlrev_b64 v[21:22], 1, v[21:22]
	v_add_co_u32_e64 v21, s[42:43], s66, v21
	v_addc_co_u32_e64 v22, s[42:43], v99, v22, s[42:43]
	global_store_short v[21:22], v103, off
	s_or_b64 exec, exec, s[44:45]
	v_cmp_lt_u32_e64 s[42:43], v28, v96
	s_and_saveexec_b64 s[46:47], s[42:43]
	s_cbranch_execz .LBB2054_444
.LBB2054_480:                           ;   in Loop: Header=BB2054_394 Depth=2
	ds_read_u16 v21, v47 offset:2560
	v_mov_b32_e32 v22, v3
	v_mov_b32_e32 v99, s67
	s_waitcnt lgkmcnt(0)
	v_cmp_ne_u16_e64 s[44:45], s7, v21
	v_cndmask_b32_e64 v97, v65, v21, s[44:45]
	v_lshrrev_b32_sdwa v97, s77, v97 dst_sel:DWORD dst_unused:UNUSED_PAD src0_sel:DWORD src1_sel:WORD_0
	v_and_b32_e32 v97, s63, v97
	v_lshlrev_b32_e32 v97, 2, v97
	ds_read_b32 v97, v97
	v_cmp_lt_i16_e64 s[44:45], -1, v21
	v_cndmask_b32_e64 v103, v65, -1, s[44:45]
	v_xor_b32_e32 v103, v103, v21
	s_waitcnt lgkmcnt(0)
	v_add_u32_e32 v21, v97, v28
	v_lshlrev_b64 v[21:22], 1, v[21:22]
	v_add_co_u32_e64 v21, s[44:45], s66, v21
	v_addc_co_u32_e64 v22, s[44:45], v99, v22, s[44:45]
	global_store_short v[21:22], v103, off
	s_or_b64 exec, exec, s[46:47]
	v_cmp_lt_u32_e64 s[44:45], v31, v96
	s_and_saveexec_b64 s[48:49], s[44:45]
	s_cbranch_execz .LBB2054_445
.LBB2054_481:                           ;   in Loop: Header=BB2054_394 Depth=2
	ds_read_u16 v21, v47 offset:3072
	v_mov_b32_e32 v22, v3
	v_mov_b32_e32 v99, s67
	s_waitcnt lgkmcnt(0)
	v_cmp_ne_u16_e64 s[46:47], s7, v21
	v_cndmask_b32_e64 v97, v65, v21, s[46:47]
	v_lshrrev_b32_sdwa v97, s77, v97 dst_sel:DWORD dst_unused:UNUSED_PAD src0_sel:DWORD src1_sel:WORD_0
	v_and_b32_e32 v97, s63, v97
	v_lshlrev_b32_e32 v97, 2, v97
	ds_read_b32 v97, v97
	v_cmp_lt_i16_e64 s[46:47], -1, v21
	v_cndmask_b32_e64 v103, v65, -1, s[46:47]
	v_xor_b32_e32 v103, v103, v21
	s_waitcnt lgkmcnt(0)
	v_add_u32_e32 v21, v97, v31
	v_lshlrev_b64 v[21:22], 1, v[21:22]
	v_add_co_u32_e64 v21, s[46:47], s66, v21
	v_addc_co_u32_e64 v22, s[46:47], v99, v22, s[46:47]
	global_store_short v[21:22], v103, off
	s_or_b64 exec, exec, s[48:49]
	v_cmp_lt_u32_e64 s[46:47], v32, v96
	s_and_saveexec_b64 s[50:51], s[46:47]
	s_cbranch_execz .LBB2054_446
.LBB2054_482:                           ;   in Loop: Header=BB2054_394 Depth=2
	ds_read_u16 v21, v47 offset:3584
	v_mov_b32_e32 v22, v3
	v_mov_b32_e32 v99, s67
	s_waitcnt lgkmcnt(0)
	v_cmp_ne_u16_e64 s[48:49], s7, v21
	v_cndmask_b32_e64 v97, v65, v21, s[48:49]
	v_lshrrev_b32_sdwa v97, s77, v97 dst_sel:DWORD dst_unused:UNUSED_PAD src0_sel:DWORD src1_sel:WORD_0
	v_and_b32_e32 v97, s63, v97
	v_lshlrev_b32_e32 v97, 2, v97
	ds_read_b32 v97, v97
	v_cmp_lt_i16_e64 s[48:49], -1, v21
	v_cndmask_b32_e64 v103, v65, -1, s[48:49]
	v_xor_b32_e32 v103, v103, v21
	s_waitcnt lgkmcnt(0)
	v_add_u32_e32 v21, v97, v32
	v_lshlrev_b64 v[21:22], 1, v[21:22]
	v_add_co_u32_e64 v21, s[48:49], s66, v21
	v_addc_co_u32_e64 v22, s[48:49], v99, v22, s[48:49]
	global_store_short v[21:22], v103, off
	s_or_b64 exec, exec, s[50:51]
	v_cmp_lt_u32_e64 s[48:49], v33, v96
	s_and_saveexec_b64 s[52:53], s[48:49]
	s_cbranch_execz .LBB2054_447
.LBB2054_483:                           ;   in Loop: Header=BB2054_394 Depth=2
	ds_read_u16 v21, v47 offset:4096
	v_mov_b32_e32 v22, v3
	v_mov_b32_e32 v99, s67
	s_waitcnt lgkmcnt(0)
	v_cmp_ne_u16_e64 s[50:51], s7, v21
	v_cndmask_b32_e64 v97, v65, v21, s[50:51]
	v_lshrrev_b32_sdwa v97, s77, v97 dst_sel:DWORD dst_unused:UNUSED_PAD src0_sel:DWORD src1_sel:WORD_0
	v_and_b32_e32 v97, s63, v97
	v_lshlrev_b32_e32 v97, 2, v97
	ds_read_b32 v97, v97
	v_cmp_lt_i16_e64 s[50:51], -1, v21
	v_cndmask_b32_e64 v103, v65, -1, s[50:51]
	v_xor_b32_e32 v103, v103, v21
	s_waitcnt lgkmcnt(0)
	v_add_u32_e32 v21, v97, v33
	v_lshlrev_b64 v[21:22], 1, v[21:22]
	v_add_co_u32_e64 v21, s[50:51], s66, v21
	v_addc_co_u32_e64 v22, s[50:51], v99, v22, s[50:51]
	global_store_short v[21:22], v103, off
	s_or_b64 exec, exec, s[52:53]
	v_cmp_lt_u32_e64 s[50:51], v34, v96
	s_and_saveexec_b64 s[60:61], s[50:51]
	s_cbranch_execnz .LBB2054_448
	s_branch .LBB2054_449
.LBB2054_484:                           ;   in Loop: Header=BB2054_394 Depth=2
	global_load_dwordx2 v[19:20], v[21:22], off
	s_or_b64 exec, exec, s[52:53]
	v_cmp_lt_u32_e64 s[52:53], v74, v96
	s_and_saveexec_b64 s[60:61], s[52:53]
	s_cbranch_execz .LBB2054_451
.LBB2054_485:                           ;   in Loop: Header=BB2054_394 Depth=2
	global_load_dwordx2 v[17:18], v[21:22], off offset:512
	s_or_b64 exec, exec, s[60:61]
	v_cmp_lt_u32_e64 s[52:53], v75, v96
	s_and_saveexec_b64 s[60:61], s[52:53]
	s_cbranch_execz .LBB2054_452
.LBB2054_486:                           ;   in Loop: Header=BB2054_394 Depth=2
	global_load_dwordx2 v[15:16], v[21:22], off offset:1024
	s_or_b64 exec, exec, s[60:61]
	v_cmp_lt_u32_e64 s[52:53], v76, v96
	s_and_saveexec_b64 s[60:61], s[52:53]
	s_cbranch_execz .LBB2054_453
.LBB2054_487:                           ;   in Loop: Header=BB2054_394 Depth=2
	global_load_dwordx2 v[13:14], v[21:22], off offset:1536
	s_or_b64 exec, exec, s[60:61]
	v_cmp_lt_u32_e64 s[52:53], v77, v96
	s_and_saveexec_b64 s[60:61], s[52:53]
	s_cbranch_execz .LBB2054_454
.LBB2054_488:                           ;   in Loop: Header=BB2054_394 Depth=2
	global_load_dwordx2 v[11:12], v[21:22], off offset:2048
	s_or_b64 exec, exec, s[60:61]
	v_cmp_lt_u32_e64 s[52:53], v78, v96
	s_and_saveexec_b64 s[60:61], s[52:53]
	s_cbranch_execz .LBB2054_455
.LBB2054_489:                           ;   in Loop: Header=BB2054_394 Depth=2
	global_load_dwordx2 v[9:10], v[21:22], off offset:2560
	s_or_b64 exec, exec, s[60:61]
	v_cmp_lt_u32_e64 s[52:53], v79, v96
	s_and_saveexec_b64 s[60:61], s[52:53]
	s_cbranch_execz .LBB2054_456
.LBB2054_490:                           ;   in Loop: Header=BB2054_394 Depth=2
	global_load_dwordx2 v[7:8], v[21:22], off offset:3072
	s_or_b64 exec, exec, s[60:61]
	v_cmp_lt_u32_e64 s[52:53], v80, v96
	s_and_saveexec_b64 s[60:61], s[52:53]
	s_cbranch_execz .LBB2054_457
.LBB2054_491:                           ;   in Loop: Header=BB2054_394 Depth=2
	global_load_dwordx2 v[5:6], v[21:22], off offset:3584
	s_or_b64 exec, exec, s[60:61]
	s_and_saveexec_b64 s[60:61], vcc
	s_cbranch_execz .LBB2054_458
.LBB2054_492:                           ;   in Loop: Header=BB2054_394 Depth=2
	ds_read_u16 v21, v47 offset:1024
	s_waitcnt lgkmcnt(0)
	v_cmp_ne_u16_e64 s[52:53], s7, v21
	v_cndmask_b32_e64 v21, v65, v21, s[52:53]
	v_lshrrev_b32_sdwa v21, s77, v21 dst_sel:DWORD dst_unused:UNUSED_PAD src0_sel:DWORD src1_sel:WORD_0
	v_and_b32_e32 v95, s63, v21
	s_or_b64 exec, exec, s[60:61]
	s_and_saveexec_b64 s[60:61], s[38:39]
	s_cbranch_execz .LBB2054_459
.LBB2054_493:                           ;   in Loop: Header=BB2054_394 Depth=2
	ds_read_u16 v21, v47 offset:1536
	s_waitcnt lgkmcnt(0)
	v_cmp_ne_u16_e64 s[52:53], s7, v21
	v_cndmask_b32_e64 v21, v65, v21, s[52:53]
	v_lshrrev_b32_sdwa v21, s77, v21 dst_sel:DWORD dst_unused:UNUSED_PAD src0_sel:DWORD src1_sel:WORD_0
	v_and_b32_e32 v94, s63, v21
	s_or_b64 exec, exec, s[60:61]
	s_and_saveexec_b64 s[60:61], s[40:41]
	s_cbranch_execz .LBB2054_460
.LBB2054_494:                           ;   in Loop: Header=BB2054_394 Depth=2
	ds_read_u16 v21, v47 offset:2048
	s_waitcnt lgkmcnt(0)
	v_cmp_ne_u16_e64 s[52:53], s7, v21
	v_cndmask_b32_e64 v21, v65, v21, s[52:53]
	v_lshrrev_b32_sdwa v21, s77, v21 dst_sel:DWORD dst_unused:UNUSED_PAD src0_sel:DWORD src1_sel:WORD_0
	v_and_b32_e32 v93, s63, v21
	s_or_b64 exec, exec, s[60:61]
	s_and_saveexec_b64 s[60:61], s[42:43]
	s_cbranch_execz .LBB2054_461
.LBB2054_495:                           ;   in Loop: Header=BB2054_394 Depth=2
	ds_read_u16 v21, v47 offset:2560
	s_waitcnt lgkmcnt(0)
	v_cmp_ne_u16_e64 s[52:53], s7, v21
	v_cndmask_b32_e64 v21, v65, v21, s[52:53]
	v_lshrrev_b32_sdwa v21, s77, v21 dst_sel:DWORD dst_unused:UNUSED_PAD src0_sel:DWORD src1_sel:WORD_0
	v_and_b32_e32 v92, s63, v21
	s_or_b64 exec, exec, s[60:61]
	s_and_saveexec_b64 s[60:61], s[44:45]
	s_cbranch_execz .LBB2054_462
.LBB2054_496:                           ;   in Loop: Header=BB2054_394 Depth=2
	ds_read_u16 v21, v47 offset:3072
	s_waitcnt lgkmcnt(0)
	v_cmp_ne_u16_e64 s[52:53], s7, v21
	v_cndmask_b32_e64 v21, v65, v21, s[52:53]
	v_lshrrev_b32_sdwa v21, s77, v21 dst_sel:DWORD dst_unused:UNUSED_PAD src0_sel:DWORD src1_sel:WORD_0
	v_and_b32_e32 v90, s63, v21
	s_or_b64 exec, exec, s[60:61]
	s_and_saveexec_b64 s[60:61], s[46:47]
	s_cbranch_execz .LBB2054_463
.LBB2054_497:                           ;   in Loop: Header=BB2054_394 Depth=2
	ds_read_u16 v21, v47 offset:3584
	s_waitcnt lgkmcnt(0)
	v_cmp_ne_u16_e64 s[52:53], s7, v21
	v_cndmask_b32_e64 v21, v65, v21, s[52:53]
	v_lshrrev_b32_sdwa v21, s77, v21 dst_sel:DWORD dst_unused:UNUSED_PAD src0_sel:DWORD src1_sel:WORD_0
	v_and_b32_e32 v89, s63, v21
	s_or_b64 exec, exec, s[60:61]
	s_and_saveexec_b64 s[60:61], s[48:49]
	s_cbranch_execz .LBB2054_464
.LBB2054_498:                           ;   in Loop: Header=BB2054_394 Depth=2
	ds_read_u16 v21, v47 offset:4096
	s_waitcnt lgkmcnt(0)
	v_cmp_ne_u16_e64 s[52:53], s7, v21
	v_cndmask_b32_e64 v21, v65, v21, s[52:53]
	v_lshrrev_b32_sdwa v21, s77, v21 dst_sel:DWORD dst_unused:UNUSED_PAD src0_sel:DWORD src1_sel:WORD_0
	v_and_b32_e32 v88, s63, v21
	s_or_b64 exec, exec, s[60:61]
	s_and_saveexec_b64 s[60:61], s[50:51]
	s_cbranch_execnz .LBB2054_465
	s_branch .LBB2054_466
.LBB2054_499:                           ;   in Loop: Header=BB2054_394 Depth=2
	v_lshlrev_b32_e32 v21, 2, v95
	ds_read_b32 v23, v21
	v_add_u32_e32 v21, v47, v48
	ds_read_b64 v[21:22], v21 offset:1024
	v_mov_b32_e32 v24, v3
	v_mov_b32_e32 v96, s73
	s_waitcnt lgkmcnt(1)
	v_add_u32_e32 v23, v23, v0
	v_lshlrev_b64 v[23:24], 3, v[23:24]
	v_add_co_u32_e32 v23, vcc, s72, v23
	v_addc_co_u32_e32 v24, vcc, v96, v24, vcc
	s_waitcnt lgkmcnt(0)
	global_store_dwordx2 v[23:24], v[21:22], off
	s_or_b64 exec, exec, s[52:53]
	s_and_saveexec_b64 s[52:53], s[38:39]
	s_cbranch_execz .LBB2054_468
.LBB2054_500:                           ;   in Loop: Header=BB2054_394 Depth=2
	v_lshlrev_b32_e32 v21, 2, v94
	ds_read_b32 v23, v21
	v_add_u32_e32 v21, v47, v48
	ds_read_b64 v[21:22], v21 offset:3072
	v_mov_b32_e32 v24, v3
	v_mov_b32_e32 v96, s73
	s_waitcnt lgkmcnt(1)
	v_add_u32_e32 v23, v23, v26
	v_lshlrev_b64 v[23:24], 3, v[23:24]
	v_add_co_u32_e32 v23, vcc, s72, v23
	v_addc_co_u32_e32 v24, vcc, v96, v24, vcc
	s_waitcnt lgkmcnt(0)
	global_store_dwordx2 v[23:24], v[21:22], off
	s_or_b64 exec, exec, s[52:53]
	s_and_saveexec_b64 s[38:39], s[40:41]
	s_cbranch_execz .LBB2054_469
.LBB2054_501:                           ;   in Loop: Header=BB2054_394 Depth=2
	v_lshlrev_b32_e32 v21, 2, v93
	ds_read_b32 v23, v21
	v_add_u32_e32 v21, v47, v48
	ds_read_b64 v[21:22], v21 offset:5120
	v_mov_b32_e32 v24, v3
	v_mov_b32_e32 v96, s73
	s_waitcnt lgkmcnt(1)
	v_add_u32_e32 v23, v23, v27
	v_lshlrev_b64 v[23:24], 3, v[23:24]
	v_add_co_u32_e32 v23, vcc, s72, v23
	v_addc_co_u32_e32 v24, vcc, v96, v24, vcc
	s_waitcnt lgkmcnt(0)
	global_store_dwordx2 v[23:24], v[21:22], off
	s_or_b64 exec, exec, s[38:39]
	s_and_saveexec_b64 s[38:39], s[42:43]
	s_cbranch_execz .LBB2054_470
.LBB2054_502:                           ;   in Loop: Header=BB2054_394 Depth=2
	v_lshlrev_b32_e32 v21, 2, v92
	ds_read_b32 v23, v21
	v_add_u32_e32 v21, v47, v48
	ds_read_b64 v[21:22], v21 offset:7168
	v_mov_b32_e32 v24, v3
	v_mov_b32_e32 v96, s73
	s_waitcnt lgkmcnt(1)
	v_add_u32_e32 v23, v23, v28
	v_lshlrev_b64 v[23:24], 3, v[23:24]
	v_add_co_u32_e32 v23, vcc, s72, v23
	v_addc_co_u32_e32 v24, vcc, v96, v24, vcc
	s_waitcnt lgkmcnt(0)
	global_store_dwordx2 v[23:24], v[21:22], off
	s_or_b64 exec, exec, s[38:39]
	s_and_saveexec_b64 s[38:39], s[44:45]
	s_cbranch_execz .LBB2054_471
.LBB2054_503:                           ;   in Loop: Header=BB2054_394 Depth=2
	v_lshlrev_b32_e32 v21, 2, v90
	ds_read_b32 v23, v21
	v_add_u32_e32 v21, v47, v48
	ds_read_b64 v[21:22], v21 offset:9216
	v_mov_b32_e32 v24, v3
	v_mov_b32_e32 v96, s73
	s_waitcnt lgkmcnt(1)
	v_add_u32_e32 v23, v23, v31
	v_lshlrev_b64 v[23:24], 3, v[23:24]
	v_add_co_u32_e32 v23, vcc, s72, v23
	v_addc_co_u32_e32 v24, vcc, v96, v24, vcc
	s_waitcnt lgkmcnt(0)
	global_store_dwordx2 v[23:24], v[21:22], off
	s_or_b64 exec, exec, s[38:39]
	s_and_saveexec_b64 s[38:39], s[46:47]
	s_cbranch_execz .LBB2054_472
.LBB2054_504:                           ;   in Loop: Header=BB2054_394 Depth=2
	v_lshlrev_b32_e32 v21, 2, v89
	ds_read_b32 v23, v21
	v_add_u32_e32 v21, v47, v48
	ds_read_b64 v[21:22], v21 offset:11264
	v_mov_b32_e32 v24, v3
	v_mov_b32_e32 v96, s73
	s_waitcnt lgkmcnt(1)
	v_add_u32_e32 v23, v23, v32
	v_lshlrev_b64 v[23:24], 3, v[23:24]
	v_add_co_u32_e32 v23, vcc, s72, v23
	v_addc_co_u32_e32 v24, vcc, v96, v24, vcc
	s_waitcnt lgkmcnt(0)
	global_store_dwordx2 v[23:24], v[21:22], off
	s_or_b64 exec, exec, s[38:39]
	s_and_saveexec_b64 s[38:39], s[48:49]
	s_cbranch_execz .LBB2054_473
.LBB2054_505:                           ;   in Loop: Header=BB2054_394 Depth=2
	v_lshlrev_b32_e32 v21, 2, v88
	ds_read_b32 v23, v21
	v_add_u32_e32 v21, v47, v48
	ds_read_b64 v[21:22], v21 offset:13312
	v_mov_b32_e32 v24, v3
	v_mov_b32_e32 v96, s73
	s_waitcnt lgkmcnt(1)
	v_add_u32_e32 v23, v23, v33
	v_lshlrev_b64 v[23:24], 3, v[23:24]
	v_add_co_u32_e32 v23, vcc, s72, v23
	v_addc_co_u32_e32 v24, vcc, v96, v24, vcc
	s_waitcnt lgkmcnt(0)
	global_store_dwordx2 v[23:24], v[21:22], off
	s_or_b64 exec, exec, s[38:39]
	s_and_saveexec_b64 s[38:39], s[50:51]
	s_cbranch_execnz .LBB2054_474
	s_branch .LBB2054_475
.LBB2054_506:                           ;   in Loop: Header=BB2054_12 Depth=1
	s_waitcnt lgkmcnt(0)
	s_barrier
	s_mov_b64 s[18:19], 0
.LBB2054_507:                           ;   in Loop: Header=BB2054_12 Depth=1
	s_and_b64 vcc, exec, s[18:19]
	s_cbranch_vccz .LBB2054_11
; %bb.508:                              ;   in Loop: Header=BB2054_12 Depth=1
	s_mov_b32 s22, s79
	s_mov_b32 s58, s80
	s_barrier
                                        ; implicit-def: $vgpr4
                                        ; implicit-def: $vgpr5
                                        ; implicit-def: $vgpr6
                                        ; implicit-def: $vgpr7
                                        ; implicit-def: $vgpr8
                                        ; implicit-def: $vgpr9
                                        ; implicit-def: $vgpr10
                                        ; implicit-def: $vgpr11
	s_branch .LBB2054_510
.LBB2054_509:                           ;   in Loop: Header=BB2054_510 Depth=2
	s_or_b64 exec, exec, s[18:19]
	s_addk_i32 s22, 0xf800
	s_cmp_ge_u32 s23, s81
	s_mov_b32 s58, s23
	s_cbranch_scc1 .LBB2054_546
.LBB2054_510:                           ;   Parent Loop BB2054_12 Depth=1
                                        ; =>  This Inner Loop Header: Depth=2
	s_add_i32 s23, s58, 0x800
	s_cmp_gt_u32 s23, s81
	s_mov_b64 s[18:19], -1
                                        ; implicit-def: $vgpr12
                                        ; implicit-def: $vgpr13
                                        ; implicit-def: $vgpr14
                                        ; implicit-def: $vgpr15
                                        ; implicit-def: $vgpr16
                                        ; implicit-def: $vgpr17
                                        ; implicit-def: $vgpr18
                                        ; implicit-def: $vgpr19
	s_cbranch_scc1 .LBB2054_512
; %bb.511:                              ;   in Loop: Header=BB2054_510 Depth=2
	s_lshl_b64 s[18:19], s[58:59], 1
	v_mov_b32_e32 v12, s19
	v_add_co_u32_e32 v20, vcc, s18, v55
	v_addc_co_u32_e32 v21, vcc, v56, v12, vcc
	global_load_ushort v12, v[20:21], off
	global_load_ushort v13, v[20:21], off offset:512
	global_load_ushort v14, v[20:21], off offset:1024
	;; [unrolled: 1-line block ×7, first 2 shown]
	s_mov_b64 s[18:19], 0
.LBB2054_512:                           ;   in Loop: Header=BB2054_510 Depth=2
	s_andn2_b64 vcc, exec, s[18:19]
	s_movk_i32 s20, 0x800
	s_cbranch_vccnz .LBB2054_523
; %bb.513:                              ;   in Loop: Header=BB2054_510 Depth=2
	s_lshl_b64 s[18:19], s[58:59], 1
	s_add_u32 s18, s64, s18
	s_addc_u32 s19, s65, s19
	v_cmp_gt_u32_e32 vcc, s22, v0
	s_and_saveexec_b64 s[20:21], vcc
	s_cbranch_execnz .LBB2054_539
; %bb.514:                              ;   in Loop: Header=BB2054_510 Depth=2
	s_or_b64 exec, exec, s[20:21]
	v_cmp_gt_u32_e32 vcc, s22, v26
	s_and_saveexec_b64 s[20:21], vcc
	s_cbranch_execnz .LBB2054_540
.LBB2054_515:                           ;   in Loop: Header=BB2054_510 Depth=2
	s_or_b64 exec, exec, s[20:21]
	v_cmp_gt_u32_e32 vcc, s22, v27
	s_and_saveexec_b64 s[20:21], vcc
	s_cbranch_execnz .LBB2054_541
.LBB2054_516:                           ;   in Loop: Header=BB2054_510 Depth=2
	s_or_b64 exec, exec, s[20:21]
	v_cmp_gt_u32_e32 vcc, s22, v28
	s_and_saveexec_b64 s[20:21], vcc
	s_cbranch_execnz .LBB2054_542
.LBB2054_517:                           ;   in Loop: Header=BB2054_510 Depth=2
	s_or_b64 exec, exec, s[20:21]
	v_cmp_gt_u32_e32 vcc, s22, v31
	s_and_saveexec_b64 s[20:21], vcc
	s_cbranch_execnz .LBB2054_543
.LBB2054_518:                           ;   in Loop: Header=BB2054_510 Depth=2
	s_or_b64 exec, exec, s[20:21]
	v_cmp_gt_u32_e32 vcc, s22, v32
	s_and_saveexec_b64 s[20:21], vcc
	s_cbranch_execnz .LBB2054_544
.LBB2054_519:                           ;   in Loop: Header=BB2054_510 Depth=2
	s_or_b64 exec, exec, s[20:21]
	v_cmp_gt_u32_e32 vcc, s22, v33
	s_and_saveexec_b64 s[20:21], vcc
	s_cbranch_execnz .LBB2054_545
.LBB2054_520:                           ;   in Loop: Header=BB2054_510 Depth=2
	s_or_b64 exec, exec, s[20:21]
	v_cmp_gt_u32_e32 vcc, s22, v34
	s_and_saveexec_b64 s[20:21], vcc
	s_cbranch_execz .LBB2054_522
.LBB2054_521:                           ;   in Loop: Header=BB2054_510 Depth=2
	global_load_ushort v4, v64, s[18:19] offset:3584
.LBB2054_522:                           ;   in Loop: Header=BB2054_510 Depth=2
	s_or_b64 exec, exec, s[20:21]
	s_mov_b32 s20, s22
	s_waitcnt vmcnt(0)
	v_mov_b32_e32 v12, v11
	v_mov_b32_e32 v13, v10
	;; [unrolled: 1-line block ×8, first 2 shown]
.LBB2054_523:                           ;   in Loop: Header=BB2054_510 Depth=2
	s_waitcnt vmcnt(0)
	v_mov_b32_e32 v4, v19
	v_mov_b32_e32 v5, v18
	;; [unrolled: 1-line block ×8, first 2 shown]
	v_cmp_gt_u32_e32 vcc, s20, v0
	s_and_saveexec_b64 s[18:19], vcc
	s_cbranch_execnz .LBB2054_531
; %bb.524:                              ;   in Loop: Header=BB2054_510 Depth=2
	s_or_b64 exec, exec, s[18:19]
	v_cmp_gt_u32_e32 vcc, s20, v26
	s_and_saveexec_b64 s[18:19], vcc
	s_cbranch_execnz .LBB2054_532
.LBB2054_525:                           ;   in Loop: Header=BB2054_510 Depth=2
	s_or_b64 exec, exec, s[18:19]
	v_cmp_gt_u32_e32 vcc, s20, v27
	s_and_saveexec_b64 s[18:19], vcc
	s_cbranch_execnz .LBB2054_533
.LBB2054_526:                           ;   in Loop: Header=BB2054_510 Depth=2
	s_or_b64 exec, exec, s[18:19]
	v_cmp_gt_u32_e32 vcc, s20, v28
	s_and_saveexec_b64 s[18:19], vcc
	s_cbranch_execnz .LBB2054_534
.LBB2054_527:                           ;   in Loop: Header=BB2054_510 Depth=2
	s_or_b64 exec, exec, s[18:19]
	v_cmp_gt_u32_e32 vcc, s20, v31
	s_and_saveexec_b64 s[18:19], vcc
	s_cbranch_execnz .LBB2054_535
.LBB2054_528:                           ;   in Loop: Header=BB2054_510 Depth=2
	s_or_b64 exec, exec, s[18:19]
	v_cmp_gt_u32_e32 vcc, s20, v32
	s_and_saveexec_b64 s[18:19], vcc
	s_cbranch_execnz .LBB2054_536
.LBB2054_529:                           ;   in Loop: Header=BB2054_510 Depth=2
	s_or_b64 exec, exec, s[18:19]
	v_cmp_gt_u32_e32 vcc, s20, v33
	s_and_saveexec_b64 s[18:19], vcc
	s_cbranch_execnz .LBB2054_537
.LBB2054_530:                           ;   in Loop: Header=BB2054_510 Depth=2
	s_or_b64 exec, exec, s[18:19]
	v_cmp_gt_u32_e32 vcc, s20, v34
	s_and_saveexec_b64 s[18:19], vcc
	s_cbranch_execz .LBB2054_509
	s_branch .LBB2054_538
.LBB2054_531:                           ;   in Loop: Header=BB2054_510 Depth=2
	v_cmp_lt_i16_e32 vcc, -1, v11
	v_cndmask_b32_e32 v12, -1, v65, vcc
	v_xor_b32_e32 v12, v12, v11
	v_cmp_ne_u16_e32 vcc, s7, v12
	v_cndmask_b32_e32 v12, v65, v12, vcc
	v_lshrrev_b32_sdwa v12, s77, v12 dst_sel:DWORD dst_unused:UNUSED_PAD src0_sel:DWORD src1_sel:WORD_0
	v_and_b32_e32 v12, s63, v12
	v_lshl_or_b32 v12, v12, 4, v35
	ds_add_u32 v12, v61
	s_or_b64 exec, exec, s[18:19]
	v_cmp_gt_u32_e32 vcc, s20, v26
	s_and_saveexec_b64 s[18:19], vcc
	s_cbranch_execz .LBB2054_525
.LBB2054_532:                           ;   in Loop: Header=BB2054_510 Depth=2
	v_cmp_lt_i16_e32 vcc, -1, v10
	v_cndmask_b32_e32 v12, -1, v65, vcc
	v_xor_b32_e32 v12, v12, v10
	v_cmp_ne_u16_e32 vcc, s7, v12
	v_cndmask_b32_e32 v12, v65, v12, vcc
	v_lshrrev_b32_sdwa v12, s77, v12 dst_sel:DWORD dst_unused:UNUSED_PAD src0_sel:DWORD src1_sel:WORD_0
	v_and_b32_e32 v12, s63, v12
	v_lshl_or_b32 v12, v12, 4, v35
	ds_add_u32 v12, v61
	s_or_b64 exec, exec, s[18:19]
	v_cmp_gt_u32_e32 vcc, s20, v27
	s_and_saveexec_b64 s[18:19], vcc
	s_cbranch_execz .LBB2054_526
.LBB2054_533:                           ;   in Loop: Header=BB2054_510 Depth=2
	v_cmp_lt_i16_e32 vcc, -1, v9
	v_cndmask_b32_e32 v12, -1, v65, vcc
	v_xor_b32_e32 v12, v12, v9
	v_cmp_ne_u16_e32 vcc, s7, v12
	v_cndmask_b32_e32 v12, v65, v12, vcc
	v_lshrrev_b32_sdwa v12, s77, v12 dst_sel:DWORD dst_unused:UNUSED_PAD src0_sel:DWORD src1_sel:WORD_0
	v_and_b32_e32 v12, s63, v12
	v_lshl_or_b32 v12, v12, 4, v35
	ds_add_u32 v12, v61
	s_or_b64 exec, exec, s[18:19]
	v_cmp_gt_u32_e32 vcc, s20, v28
	s_and_saveexec_b64 s[18:19], vcc
	s_cbranch_execz .LBB2054_527
.LBB2054_534:                           ;   in Loop: Header=BB2054_510 Depth=2
	v_cmp_lt_i16_e32 vcc, -1, v8
	v_cndmask_b32_e32 v12, -1, v65, vcc
	v_xor_b32_e32 v12, v12, v8
	v_cmp_ne_u16_e32 vcc, s7, v12
	v_cndmask_b32_e32 v12, v65, v12, vcc
	v_lshrrev_b32_sdwa v12, s77, v12 dst_sel:DWORD dst_unused:UNUSED_PAD src0_sel:DWORD src1_sel:WORD_0
	v_and_b32_e32 v12, s63, v12
	v_lshl_or_b32 v12, v12, 4, v35
	ds_add_u32 v12, v61
	s_or_b64 exec, exec, s[18:19]
	v_cmp_gt_u32_e32 vcc, s20, v31
	s_and_saveexec_b64 s[18:19], vcc
	s_cbranch_execz .LBB2054_528
.LBB2054_535:                           ;   in Loop: Header=BB2054_510 Depth=2
	v_cmp_lt_i16_e32 vcc, -1, v7
	v_cndmask_b32_e32 v12, -1, v65, vcc
	v_xor_b32_e32 v12, v12, v7
	v_cmp_ne_u16_e32 vcc, s7, v12
	v_cndmask_b32_e32 v12, v65, v12, vcc
	v_lshrrev_b32_sdwa v12, s77, v12 dst_sel:DWORD dst_unused:UNUSED_PAD src0_sel:DWORD src1_sel:WORD_0
	v_and_b32_e32 v12, s63, v12
	v_lshl_or_b32 v12, v12, 4, v35
	ds_add_u32 v12, v61
	s_or_b64 exec, exec, s[18:19]
	v_cmp_gt_u32_e32 vcc, s20, v32
	s_and_saveexec_b64 s[18:19], vcc
	s_cbranch_execz .LBB2054_529
.LBB2054_536:                           ;   in Loop: Header=BB2054_510 Depth=2
	v_cmp_lt_i16_e32 vcc, -1, v6
	v_cndmask_b32_e32 v12, -1, v65, vcc
	v_xor_b32_e32 v12, v12, v6
	v_cmp_ne_u16_e32 vcc, s7, v12
	v_cndmask_b32_e32 v12, v65, v12, vcc
	v_lshrrev_b32_sdwa v12, s77, v12 dst_sel:DWORD dst_unused:UNUSED_PAD src0_sel:DWORD src1_sel:WORD_0
	v_and_b32_e32 v12, s63, v12
	v_lshl_or_b32 v12, v12, 4, v35
	ds_add_u32 v12, v61
	s_or_b64 exec, exec, s[18:19]
	v_cmp_gt_u32_e32 vcc, s20, v33
	s_and_saveexec_b64 s[18:19], vcc
	s_cbranch_execz .LBB2054_530
.LBB2054_537:                           ;   in Loop: Header=BB2054_510 Depth=2
	v_cmp_lt_i16_e32 vcc, -1, v5
	v_cndmask_b32_e32 v12, -1, v65, vcc
	v_xor_b32_e32 v12, v12, v5
	v_cmp_ne_u16_e32 vcc, s7, v12
	v_cndmask_b32_e32 v12, v65, v12, vcc
	v_lshrrev_b32_sdwa v12, s77, v12 dst_sel:DWORD dst_unused:UNUSED_PAD src0_sel:DWORD src1_sel:WORD_0
	v_and_b32_e32 v12, s63, v12
	v_lshl_or_b32 v12, v12, 4, v35
	ds_add_u32 v12, v61
	s_or_b64 exec, exec, s[18:19]
	v_cmp_gt_u32_e32 vcc, s20, v34
	s_and_saveexec_b64 s[18:19], vcc
	s_cbranch_execz .LBB2054_509
.LBB2054_538:                           ;   in Loop: Header=BB2054_510 Depth=2
	v_cmp_lt_i16_e32 vcc, -1, v4
	v_cndmask_b32_e32 v12, -1, v65, vcc
	v_xor_b32_e32 v12, v12, v4
	v_cmp_ne_u16_e32 vcc, s7, v12
	v_cndmask_b32_e32 v12, v65, v12, vcc
	v_lshrrev_b32_sdwa v12, s77, v12 dst_sel:DWORD dst_unused:UNUSED_PAD src0_sel:DWORD src1_sel:WORD_0
	v_and_b32_e32 v12, s63, v12
	v_lshl_or_b32 v12, v12, 4, v35
	ds_add_u32 v12, v61
	s_branch .LBB2054_509
.LBB2054_539:                           ;   in Loop: Header=BB2054_510 Depth=2
	global_load_ushort v11, v64, s[18:19]
	s_or_b64 exec, exec, s[20:21]
	v_cmp_gt_u32_e32 vcc, s22, v26
	s_and_saveexec_b64 s[20:21], vcc
	s_cbranch_execz .LBB2054_515
.LBB2054_540:                           ;   in Loop: Header=BB2054_510 Depth=2
	global_load_ushort v10, v64, s[18:19] offset:512
	s_or_b64 exec, exec, s[20:21]
	v_cmp_gt_u32_e32 vcc, s22, v27
	s_and_saveexec_b64 s[20:21], vcc
	s_cbranch_execz .LBB2054_516
.LBB2054_541:                           ;   in Loop: Header=BB2054_510 Depth=2
	global_load_ushort v9, v64, s[18:19] offset:1024
	s_or_b64 exec, exec, s[20:21]
	v_cmp_gt_u32_e32 vcc, s22, v28
	s_and_saveexec_b64 s[20:21], vcc
	s_cbranch_execz .LBB2054_517
.LBB2054_542:                           ;   in Loop: Header=BB2054_510 Depth=2
	global_load_ushort v8, v64, s[18:19] offset:1536
	s_or_b64 exec, exec, s[20:21]
	v_cmp_gt_u32_e32 vcc, s22, v31
	s_and_saveexec_b64 s[20:21], vcc
	s_cbranch_execz .LBB2054_518
.LBB2054_543:                           ;   in Loop: Header=BB2054_510 Depth=2
	global_load_ushort v7, v64, s[18:19] offset:2048
	s_or_b64 exec, exec, s[20:21]
	v_cmp_gt_u32_e32 vcc, s22, v32
	s_and_saveexec_b64 s[20:21], vcc
	s_cbranch_execz .LBB2054_519
.LBB2054_544:                           ;   in Loop: Header=BB2054_510 Depth=2
	global_load_ushort v6, v64, s[18:19] offset:2560
	s_or_b64 exec, exec, s[20:21]
	v_cmp_gt_u32_e32 vcc, s22, v33
	s_and_saveexec_b64 s[20:21], vcc
	s_cbranch_execz .LBB2054_520
.LBB2054_545:                           ;   in Loop: Header=BB2054_510 Depth=2
	global_load_ushort v5, v64, s[18:19] offset:3072
	s_or_b64 exec, exec, s[20:21]
	v_cmp_gt_u32_e32 vcc, s22, v34
	s_and_saveexec_b64 s[20:21], vcc
	s_cbranch_execnz .LBB2054_521
	s_branch .LBB2054_522
.LBB2054_546:                           ;   in Loop: Header=BB2054_12 Depth=1
	v_mov_b32_e32 v4, 0
	s_waitcnt lgkmcnt(0)
	s_barrier
	s_and_saveexec_b64 s[18:19], s[4:5]
	s_cbranch_execz .LBB2054_548
; %bb.547:                              ;   in Loop: Header=BB2054_12 Depth=1
	ds_read2_b64 v[4:7], v36 offset1:1
	s_waitcnt lgkmcnt(0)
	v_add_u32_e32 v4, v5, v4
	v_add3_u32 v4, v4, v6, v7
.LBB2054_548:                           ;   in Loop: Header=BB2054_12 Depth=1
	s_or_b64 exec, exec, s[18:19]
	s_nop 0
	v_mov_b32_dpp v5, v4 row_shr:1 row_mask:0xf bank_mask:0xf
	v_cmp_eq_u32_e64 s[18:19], 0, v67
	v_cndmask_b32_e64 v5, v5, 0, s[18:19]
	v_add_u32_e32 v4, v5, v4
	v_cmp_lt_u32_e64 s[20:21], 1, v67
	v_cmp_lt_u32_e64 s[22:23], 3, v67
	v_mov_b32_dpp v5, v4 row_shr:2 row_mask:0xf bank_mask:0xf
	v_cndmask_b32_e64 v5, 0, v5, s[20:21]
	v_add_u32_e32 v4, v4, v5
	v_cmp_lt_u32_e64 s[24:25], 7, v67
	v_cmp_lt_u32_e64 s[28:29], 31, v66
	v_mov_b32_dpp v5, v4 row_shr:4 row_mask:0xf bank_mask:0xf
	v_cndmask_b32_e64 v5, 0, v5, s[22:23]
	v_add_u32_e32 v4, v4, v5
	v_cmp_eq_u32_e64 s[26:27], 0, v69
	s_nop 0
	v_mov_b32_dpp v5, v4 row_shr:8 row_mask:0xf bank_mask:0xf
	v_cndmask_b32_e64 v5, 0, v5, s[24:25]
	v_add_u32_e32 v4, v4, v5
	s_nop 1
	v_mov_b32_dpp v5, v4 row_bcast:15 row_mask:0xf bank_mask:0xf
	v_and_b32_e32 v5, v68, v5
	v_add_u32_e32 v4, v4, v5
	s_nop 1
	v_mov_b32_dpp v5, v4 row_bcast:31 row_mask:0xf bank_mask:0xf
	v_cndmask_b32_e64 v5, 0, v5, s[28:29]
	v_add_u32_e32 v4, v4, v5
	s_and_saveexec_b64 s[30:31], s[8:9]
; %bb.549:                              ;   in Loop: Header=BB2054_12 Depth=1
	ds_write_b32 v38, v4
; %bb.550:                              ;   in Loop: Header=BB2054_12 Depth=1
	s_or_b64 exec, exec, s[30:31]
	s_waitcnt lgkmcnt(0)
	s_barrier
	s_and_saveexec_b64 s[30:31], s[10:11]
	s_cbranch_execz .LBB2054_552
; %bb.551:                              ;   in Loop: Header=BB2054_12 Depth=1
	ds_read_b32 v5, v39
	v_cmp_ne_u32_e32 vcc, 0, v70
	s_waitcnt lgkmcnt(0)
	v_mov_b32_dpp v6, v5 row_shr:1 row_mask:0xf bank_mask:0xf
	v_cndmask_b32_e32 v6, 0, v6, vcc
	v_add_u32_e32 v5, v6, v5
	v_cmp_lt_u32_e32 vcc, 1, v70
	s_nop 0
	v_mov_b32_dpp v6, v5 row_shr:2 row_mask:0xf bank_mask:0xf
	v_cndmask_b32_e32 v6, 0, v6, vcc
	v_add_u32_e32 v5, v5, v6
	ds_write_b32 v39, v5
.LBB2054_552:                           ;   in Loop: Header=BB2054_12 Depth=1
	s_or_b64 exec, exec, s[30:31]
	v_mov_b32_e32 v5, 0
	s_waitcnt lgkmcnt(0)
	s_barrier
	s_and_saveexec_b64 s[30:31], s[12:13]
; %bb.553:                              ;   in Loop: Header=BB2054_12 Depth=1
	ds_read_b32 v5, v40
; %bb.554:                              ;   in Loop: Header=BB2054_12 Depth=1
	s_or_b64 exec, exec, s[30:31]
	v_subrev_co_u32_e64 v6, s[30:31], 1, v66
	v_cmp_lt_i32_e32 vcc, v6, v71
	v_cndmask_b32_e32 v6, v6, v66, vcc
	s_waitcnt lgkmcnt(0)
	v_add_u32_e32 v4, v5, v4
	v_lshlrev_b32_e32 v82, 2, v6
	ds_bpermute_b32 v4, v82, v4
	s_waitcnt lgkmcnt(0)
	s_barrier
	s_and_saveexec_b64 s[34:35], s[4:5]
; %bb.555:                              ;   in Loop: Header=BB2054_12 Depth=1
	v_cndmask_b32_e64 v4, v4, v5, s[30:31]
	v_add_u32_e32 v4, s80, v4
	ds_write_b32 v25, v4
; %bb.556:                              ;   in Loop: Header=BB2054_12 Depth=1
	s_or_b64 exec, exec, s[34:35]
	s_load_dwordx2 s[34:35], s[56:57], 0x0
	v_add_co_u32_e32 v83, vcc, v57, v72
	v_addc_co_u32_e32 v84, vcc, 0, v58, vcc
	s_waitcnt lgkmcnt(0)
	s_cmp_lt_u32 s33, s35
	s_cselect_b32 s35, 14, 20
	s_add_u32 s36, s56, s35
	s_addc_u32 s37, s57, 0
	s_cmp_lt_u32 s6, s34
	s_cselect_b32 s34, 12, 18
	s_add_u32 s34, s56, s34
	global_load_ushort v4, v3, s[36:37]
	s_addc_u32 s35, s57, 0
	global_load_ushort v5, v3, s[34:35]
	v_add_co_u32_e32 v85, vcc, v59, v81
	v_cmp_eq_u32_e64 s[34:35], 0, v70
	v_cmp_lt_u32_e64 s[36:37], 1, v70
	v_addc_co_u32_e32 v86, vcc, 0, v60, vcc
	s_mov_b32 s70, s79
	s_mov_b32 s58, s80
                                        ; implicit-def: $vgpr7_vgpr8
                                        ; implicit-def: $vgpr9_vgpr10
                                        ; implicit-def: $vgpr11_vgpr12
                                        ; implicit-def: $vgpr13_vgpr14
                                        ; implicit-def: $vgpr15_vgpr16
                                        ; implicit-def: $vgpr17_vgpr18
                                        ; implicit-def: $vgpr19_vgpr20
                                        ; implicit-def: $vgpr87
                                        ; implicit-def: $vgpr88
                                        ; implicit-def: $vgpr89
                                        ; implicit-def: $vgpr90
                                        ; implicit-def: $vgpr92
                                        ; implicit-def: $vgpr93
                                        ; implicit-def: $vgpr94
                                        ; implicit-def: $vgpr95
	s_waitcnt vmcnt(1)
	v_mad_u32_u24 v4, v2, v4, v1
	s_waitcnt vmcnt(0)
	v_mad_u64_u32 v[4:5], s[38:39], v4, v5, v[0:1]
                                        ; implicit-def: $vgpr5_vgpr6
	v_lshrrev_b32_e32 v4, 4, v4
	v_and_b32_e32 v91, 0xffffffc, v4
	s_branch .LBB2054_558
.LBB2054_557:                           ;   in Loop: Header=BB2054_558 Depth=2
	s_or_b64 exec, exec, s[38:39]
	s_addk_i32 s70, 0xf800
	s_cmp_lt_u32 s71, s81
	s_mov_b32 s58, s71
	s_cbranch_scc0 .LBB2054_10
.LBB2054_558:                           ;   Parent Loop BB2054_12 Depth=1
                                        ; =>  This Inner Loop Header: Depth=2
	s_add_i32 s71, s58, 0x800
	s_cmp_gt_u32 s71, s81
	s_cbranch_scc1 .LBB2054_560
; %bb.559:                              ;   in Loop: Header=BB2054_558 Depth=2
	s_lshl_b64 s[38:39], s[58:59], 1
	v_mov_b32_e32 v4, s39
	v_add_co_u32_e32 v21, vcc, s38, v85
	v_addc_co_u32_e32 v22, vcc, v86, v4, vcc
	global_load_ushort v4, v[21:22], off
	global_load_ushort v99, v[21:22], off offset:128
	global_load_ushort v103, v[21:22], off offset:256
	;; [unrolled: 1-line block ×6, first 2 shown]
	s_mov_b64 s[38:39], -1
	s_movk_i32 s42, 0x800
	s_cbranch_execz .LBB2054_561
	s_branch .LBB2054_576
.LBB2054_560:                           ;   in Loop: Header=BB2054_558 Depth=2
	s_mov_b64 s[38:39], 0
                                        ; implicit-def: $vgpr4
                                        ; implicit-def: $vgpr99
                                        ; implicit-def: $vgpr103
                                        ; implicit-def: $vgpr107
                                        ; implicit-def: $vgpr112
                                        ; implicit-def: $vgpr108
                                        ; implicit-def: $vgpr24
	s_movk_i32 s42, 0x800
.LBB2054_561:                           ;   in Loop: Header=BB2054_558 Depth=2
	s_lshl_b64 s[38:39], s[58:59], 1
	s_waitcnt vmcnt(6)
	v_mov_b32_e32 v4, s39
	v_add_co_u32_e32 v21, vcc, s38, v85
	v_addc_co_u32_e32 v22, vcc, v86, v4, vcc
	v_cmp_gt_u32_e32 vcc, s70, v73
	s_waitcnt vmcnt(5)
	v_mov_b32_e32 v99, 0x7fff
	v_mov_b32_e32 v4, 0x7fff
	s_and_saveexec_b64 s[38:39], vcc
	s_cbranch_execz .LBB2054_563
; %bb.562:                              ;   in Loop: Header=BB2054_558 Depth=2
	global_load_ushort v4, v[21:22], off
.LBB2054_563:                           ;   in Loop: Header=BB2054_558 Depth=2
	s_or_b64 exec, exec, s[38:39]
	v_cmp_gt_u32_e32 vcc, s70, v74
	s_and_saveexec_b64 s[38:39], vcc
	s_cbranch_execz .LBB2054_565
; %bb.564:                              ;   in Loop: Header=BB2054_558 Depth=2
	global_load_ushort v99, v[21:22], off offset:128
.LBB2054_565:                           ;   in Loop: Header=BB2054_558 Depth=2
	s_or_b64 exec, exec, s[38:39]
	v_cmp_gt_u32_e32 vcc, s70, v75
	s_waitcnt vmcnt(3)
	v_mov_b32_e32 v107, 0x7fff
	v_mov_b32_e32 v103, 0x7fff
	s_and_saveexec_b64 s[38:39], vcc
	s_cbranch_execz .LBB2054_567
; %bb.566:                              ;   in Loop: Header=BB2054_558 Depth=2
	global_load_ushort v103, v[21:22], off offset:256
.LBB2054_567:                           ;   in Loop: Header=BB2054_558 Depth=2
	s_or_b64 exec, exec, s[38:39]
	v_cmp_gt_u32_e32 vcc, s70, v76
	s_and_saveexec_b64 s[38:39], vcc
	s_cbranch_execz .LBB2054_569
; %bb.568:                              ;   in Loop: Header=BB2054_558 Depth=2
	global_load_ushort v107, v[21:22], off offset:384
.LBB2054_569:                           ;   in Loop: Header=BB2054_558 Depth=2
	s_or_b64 exec, exec, s[38:39]
	v_cmp_gt_u32_e32 vcc, s70, v77
	s_waitcnt vmcnt(1)
	v_mov_b32_e32 v108, 0x7fff
	v_mov_b32_e32 v112, 0x7fff
	s_and_saveexec_b64 s[38:39], vcc
	s_cbranch_execz .LBB2054_571
; %bb.570:                              ;   in Loop: Header=BB2054_558 Depth=2
	global_load_ushort v112, v[21:22], off offset:512
.LBB2054_571:                           ;   in Loop: Header=BB2054_558 Depth=2
	s_or_b64 exec, exec, s[38:39]
	v_cmp_gt_u32_e32 vcc, s70, v78
	s_and_saveexec_b64 s[38:39], vcc
	s_cbranch_execz .LBB2054_573
; %bb.572:                              ;   in Loop: Header=BB2054_558 Depth=2
	global_load_ushort v108, v[21:22], off offset:640
.LBB2054_573:                           ;   in Loop: Header=BB2054_558 Depth=2
	s_or_b64 exec, exec, s[38:39]
	v_cmp_gt_u32_e32 vcc, s70, v79
	s_waitcnt vmcnt(0)
	v_mov_b32_e32 v24, 0x7fff
	s_and_saveexec_b64 s[38:39], vcc
	s_cbranch_execz .LBB2054_575
; %bb.574:                              ;   in Loop: Header=BB2054_558 Depth=2
	global_load_ushort v24, v[21:22], off offset:768
.LBB2054_575:                           ;   in Loop: Header=BB2054_558 Depth=2
	s_or_b64 exec, exec, s[38:39]
	s_sub_i32 s42, s81, s58
	v_cmp_gt_u32_e64 s[38:39], s70, v80
.LBB2054_576:                           ;   in Loop: Header=BB2054_558 Depth=2
	v_mov_b32_e32 v23, 0x7fff
	v_mov_b32_e32 v96, s70
	s_and_saveexec_b64 s[40:41], s[38:39]
	s_cbranch_execz .LBB2054_578
; %bb.577:                              ;   in Loop: Header=BB2054_558 Depth=2
	s_lshl_b64 s[38:39], s[58:59], 1
	v_mov_b32_e32 v22, s39
	v_add_co_u32_e32 v21, vcc, s38, v85
	v_addc_co_u32_e32 v22, vcc, v86, v22, vcc
	global_load_ushort v23, v[21:22], off offset:896
	v_mov_b32_e32 v96, s42
.LBB2054_578:                           ;   in Loop: Header=BB2054_558 Depth=2
	s_or_b64 exec, exec, s[40:41]
	s_waitcnt vmcnt(6)
	v_cmp_lt_i16_e32 vcc, -1, v4
	v_cndmask_b32_e32 v21, -1, v65, vcc
	v_xor_b32_e32 v97, v21, v4
	v_cmp_ne_u16_e32 vcc, s7, v97
	v_cndmask_b32_e32 v4, v65, v97, vcc
	v_lshrrev_b32_sdwa v4, s77, v4 dst_sel:DWORD dst_unused:UNUSED_PAD src0_sel:DWORD src1_sel:WORD_0
	v_and_b32_e32 v21, s63, v4
	v_and_b32_e32 v4, 1, v21
	v_add_co_u32_e32 v22, vcc, -1, v4
	v_addc_co_u32_e64 v98, s[38:39], 0, -1, vcc
	v_cmp_ne_u32_e32 vcc, 0, v4
	v_xor_b32_e32 v4, vcc_hi, v98
	v_and_b32_e32 v98, exec_hi, v4
	v_lshlrev_b32_e32 v4, 30, v21
	v_xor_b32_e32 v22, vcc_lo, v22
	v_cmp_gt_i64_e32 vcc, 0, v[3:4]
	v_not_b32_e32 v4, v4
	v_ashrrev_i32_e32 v4, 31, v4
	v_and_b32_e32 v22, exec_lo, v22
	v_xor_b32_e32 v101, vcc_hi, v4
	v_xor_b32_e32 v4, vcc_lo, v4
	v_and_b32_e32 v22, v22, v4
	v_lshlrev_b32_e32 v4, 29, v21
	v_cmp_gt_i64_e32 vcc, 0, v[3:4]
	v_not_b32_e32 v4, v4
	v_ashrrev_i32_e32 v4, 31, v4
	v_and_b32_e32 v98, v98, v101
	v_xor_b32_e32 v101, vcc_hi, v4
	v_xor_b32_e32 v4, vcc_lo, v4
	v_and_b32_e32 v22, v22, v4
	v_lshlrev_b32_e32 v4, 28, v21
	v_cmp_gt_i64_e32 vcc, 0, v[3:4]
	v_not_b32_e32 v4, v4
	v_ashrrev_i32_e32 v4, 31, v4
	v_and_b32_e32 v98, v98, v101
	;; [unrolled: 8-line block ×5, first 2 shown]
	v_xor_b32_e32 v101, vcc_hi, v4
	v_xor_b32_e32 v4, vcc_lo, v4
	v_and_b32_e32 v98, v98, v101
	v_and_b32_e32 v101, v22, v4
	v_lshlrev_b32_e32 v4, 24, v21
	v_cmp_gt_i64_e32 vcc, 0, v[3:4]
	v_not_b32_e32 v4, v4
	v_ashrrev_i32_e32 v4, 31, v4
	v_mul_u32_u24_e32 v100, 20, v21
	v_xor_b32_e32 v21, vcc_hi, v4
	v_xor_b32_e32 v4, vcc_lo, v4
	v_and_b32_e32 v22, v98, v21
	v_and_b32_e32 v21, v101, v4
	v_mbcnt_lo_u32_b32 v4, v21, 0
	v_mbcnt_hi_u32_b32 v98, v22, v4
	v_cmp_ne_u64_e32 vcc, 0, v[21:22]
	v_cmp_eq_u32_e64 s[38:39], 0, v98
	s_and_b64 s[40:41], vcc, s[38:39]
	v_add_u32_e32 v101, v91, v100
	ds_write2_b32 v62, v3, v3 offset1:1
	ds_write2_b32 v63, v3, v3 offset1:1
	ds_write_b32 v41, v3 offset:1056
	s_waitcnt vmcnt(0) lgkmcnt(0)
	s_barrier
	; wave barrier
	s_and_saveexec_b64 s[38:39], s[40:41]
; %bb.579:                              ;   in Loop: Header=BB2054_558 Depth=2
	v_bcnt_u32_b32 v4, v21, 0
	v_bcnt_u32_b32 v4, v22, v4
	ds_write_b32 v101, v4 offset:1040
; %bb.580:                              ;   in Loop: Header=BB2054_558 Depth=2
	s_or_b64 exec, exec, s[38:39]
	v_cmp_lt_i16_e32 vcc, -1, v99
	v_cndmask_b32_e32 v4, -1, v65, vcc
	v_xor_b32_e32 v99, v4, v99
	v_cmp_ne_u16_e32 vcc, s7, v99
	v_cndmask_b32_e32 v4, v65, v99, vcc
	v_lshrrev_b32_sdwa v4, s77, v4 dst_sel:DWORD dst_unused:UNUSED_PAD src0_sel:DWORD src1_sel:WORD_0
	v_and_b32_e32 v21, s63, v4
	v_mad_u32_u24 v4, v21, 20, v91
	; wave barrier
	ds_read_b32 v100, v4 offset:1040
	v_and_b32_e32 v4, 1, v21
	v_add_co_u32_e32 v22, vcc, -1, v4
	v_addc_co_u32_e64 v102, s[38:39], 0, -1, vcc
	v_cmp_ne_u32_e32 vcc, 0, v4
	v_xor_b32_e32 v4, vcc_hi, v102
	v_and_b32_e32 v102, exec_hi, v4
	v_lshlrev_b32_e32 v4, 30, v21
	v_xor_b32_e32 v22, vcc_lo, v22
	v_cmp_gt_i64_e32 vcc, 0, v[3:4]
	v_not_b32_e32 v4, v4
	v_ashrrev_i32_e32 v4, 31, v4
	v_and_b32_e32 v22, exec_lo, v22
	v_xor_b32_e32 v105, vcc_hi, v4
	v_xor_b32_e32 v4, vcc_lo, v4
	v_and_b32_e32 v22, v22, v4
	v_lshlrev_b32_e32 v4, 29, v21
	v_cmp_gt_i64_e32 vcc, 0, v[3:4]
	v_not_b32_e32 v4, v4
	v_ashrrev_i32_e32 v4, 31, v4
	v_and_b32_e32 v102, v102, v105
	v_xor_b32_e32 v105, vcc_hi, v4
	v_xor_b32_e32 v4, vcc_lo, v4
	v_and_b32_e32 v22, v22, v4
	v_lshlrev_b32_e32 v4, 28, v21
	v_cmp_gt_i64_e32 vcc, 0, v[3:4]
	v_not_b32_e32 v4, v4
	v_ashrrev_i32_e32 v4, 31, v4
	v_and_b32_e32 v102, v102, v105
	;; [unrolled: 8-line block ×5, first 2 shown]
	v_xor_b32_e32 v105, vcc_hi, v4
	v_xor_b32_e32 v4, vcc_lo, v4
	v_and_b32_e32 v102, v102, v105
	v_and_b32_e32 v105, v22, v4
	v_lshlrev_b32_e32 v4, 24, v21
	v_cmp_gt_i64_e32 vcc, 0, v[3:4]
	v_not_b32_e32 v4, v4
	v_ashrrev_i32_e32 v4, 31, v4
	v_mul_u32_u24_e32 v104, 20, v21
	v_xor_b32_e32 v21, vcc_hi, v4
	v_xor_b32_e32 v4, vcc_lo, v4
	v_and_b32_e32 v22, v102, v21
	v_and_b32_e32 v21, v105, v4
	v_mbcnt_lo_u32_b32 v4, v21, 0
	v_mbcnt_hi_u32_b32 v102, v22, v4
	v_cmp_ne_u64_e32 vcc, 0, v[21:22]
	v_cmp_eq_u32_e64 s[38:39], 0, v102
	s_and_b64 s[40:41], vcc, s[38:39]
	v_add_u32_e32 v105, v91, v104
	; wave barrier
	s_and_saveexec_b64 s[38:39], s[40:41]
	s_cbranch_execz .LBB2054_582
; %bb.581:                              ;   in Loop: Header=BB2054_558 Depth=2
	v_bcnt_u32_b32 v4, v21, 0
	v_bcnt_u32_b32 v4, v22, v4
	s_waitcnt lgkmcnt(0)
	v_add_u32_e32 v4, v100, v4
	ds_write_b32 v105, v4 offset:1040
.LBB2054_582:                           ;   in Loop: Header=BB2054_558 Depth=2
	s_or_b64 exec, exec, s[38:39]
	v_cmp_lt_i16_e32 vcc, -1, v103
	v_cndmask_b32_e32 v4, -1, v65, vcc
	v_xor_b32_e32 v103, v4, v103
	v_cmp_ne_u16_e32 vcc, s7, v103
	v_cndmask_b32_e32 v4, v65, v103, vcc
	v_lshrrev_b32_sdwa v4, s77, v4 dst_sel:DWORD dst_unused:UNUSED_PAD src0_sel:DWORD src1_sel:WORD_0
	v_and_b32_e32 v21, s63, v4
	v_mad_u32_u24 v4, v21, 20, v91
	; wave barrier
	ds_read_b32 v104, v4 offset:1040
	v_and_b32_e32 v4, 1, v21
	v_add_co_u32_e32 v22, vcc, -1, v4
	v_addc_co_u32_e64 v106, s[38:39], 0, -1, vcc
	v_cmp_ne_u32_e32 vcc, 0, v4
	v_xor_b32_e32 v4, vcc_hi, v106
	v_and_b32_e32 v106, exec_hi, v4
	v_lshlrev_b32_e32 v4, 30, v21
	v_xor_b32_e32 v22, vcc_lo, v22
	v_cmp_gt_i64_e32 vcc, 0, v[3:4]
	v_not_b32_e32 v4, v4
	v_ashrrev_i32_e32 v4, 31, v4
	v_and_b32_e32 v22, exec_lo, v22
	v_xor_b32_e32 v110, vcc_hi, v4
	v_xor_b32_e32 v4, vcc_lo, v4
	v_and_b32_e32 v22, v22, v4
	v_lshlrev_b32_e32 v4, 29, v21
	v_cmp_gt_i64_e32 vcc, 0, v[3:4]
	v_not_b32_e32 v4, v4
	v_ashrrev_i32_e32 v4, 31, v4
	v_and_b32_e32 v106, v106, v110
	v_xor_b32_e32 v110, vcc_hi, v4
	v_xor_b32_e32 v4, vcc_lo, v4
	v_and_b32_e32 v22, v22, v4
	v_lshlrev_b32_e32 v4, 28, v21
	v_cmp_gt_i64_e32 vcc, 0, v[3:4]
	v_not_b32_e32 v4, v4
	v_ashrrev_i32_e32 v4, 31, v4
	v_and_b32_e32 v106, v106, v110
	;; [unrolled: 8-line block ×5, first 2 shown]
	v_xor_b32_e32 v110, vcc_hi, v4
	v_xor_b32_e32 v4, vcc_lo, v4
	v_and_b32_e32 v106, v106, v110
	v_and_b32_e32 v110, v22, v4
	v_lshlrev_b32_e32 v4, 24, v21
	v_cmp_gt_i64_e32 vcc, 0, v[3:4]
	v_not_b32_e32 v4, v4
	v_ashrrev_i32_e32 v4, 31, v4
	v_mul_u32_u24_e32 v109, 20, v21
	v_xor_b32_e32 v21, vcc_hi, v4
	v_xor_b32_e32 v4, vcc_lo, v4
	v_and_b32_e32 v22, v106, v21
	v_and_b32_e32 v21, v110, v4
	v_mbcnt_lo_u32_b32 v4, v21, 0
	v_mbcnt_hi_u32_b32 v106, v22, v4
	v_cmp_ne_u64_e32 vcc, 0, v[21:22]
	v_cmp_eq_u32_e64 s[38:39], 0, v106
	s_and_b64 s[40:41], vcc, s[38:39]
	v_add_u32_e32 v110, v91, v109
	; wave barrier
	s_and_saveexec_b64 s[38:39], s[40:41]
	s_cbranch_execz .LBB2054_584
; %bb.583:                              ;   in Loop: Header=BB2054_558 Depth=2
	v_bcnt_u32_b32 v4, v21, 0
	v_bcnt_u32_b32 v4, v22, v4
	s_waitcnt lgkmcnt(0)
	v_add_u32_e32 v4, v104, v4
	ds_write_b32 v110, v4 offset:1040
.LBB2054_584:                           ;   in Loop: Header=BB2054_558 Depth=2
	s_or_b64 exec, exec, s[38:39]
	v_cmp_lt_i16_e32 vcc, -1, v107
	v_cndmask_b32_e32 v4, -1, v65, vcc
	v_xor_b32_e32 v107, v4, v107
	v_cmp_ne_u16_e32 vcc, s7, v107
	v_cndmask_b32_e32 v4, v65, v107, vcc
	v_lshrrev_b32_sdwa v4, s77, v4 dst_sel:DWORD dst_unused:UNUSED_PAD src0_sel:DWORD src1_sel:WORD_0
	v_and_b32_e32 v21, s63, v4
	v_mad_u32_u24 v4, v21, 20, v91
	; wave barrier
	ds_read_b32 v109, v4 offset:1040
	v_and_b32_e32 v4, 1, v21
	v_add_co_u32_e32 v22, vcc, -1, v4
	v_addc_co_u32_e64 v111, s[38:39], 0, -1, vcc
	v_cmp_ne_u32_e32 vcc, 0, v4
	v_xor_b32_e32 v4, vcc_hi, v111
	v_and_b32_e32 v111, exec_hi, v4
	v_lshlrev_b32_e32 v4, 30, v21
	v_xor_b32_e32 v22, vcc_lo, v22
	v_cmp_gt_i64_e32 vcc, 0, v[3:4]
	v_not_b32_e32 v4, v4
	v_ashrrev_i32_e32 v4, 31, v4
	v_and_b32_e32 v22, exec_lo, v22
	v_xor_b32_e32 v114, vcc_hi, v4
	v_xor_b32_e32 v4, vcc_lo, v4
	v_and_b32_e32 v22, v22, v4
	v_lshlrev_b32_e32 v4, 29, v21
	v_cmp_gt_i64_e32 vcc, 0, v[3:4]
	v_not_b32_e32 v4, v4
	v_ashrrev_i32_e32 v4, 31, v4
	v_and_b32_e32 v111, v111, v114
	v_xor_b32_e32 v114, vcc_hi, v4
	v_xor_b32_e32 v4, vcc_lo, v4
	v_and_b32_e32 v22, v22, v4
	v_lshlrev_b32_e32 v4, 28, v21
	v_cmp_gt_i64_e32 vcc, 0, v[3:4]
	v_not_b32_e32 v4, v4
	v_ashrrev_i32_e32 v4, 31, v4
	v_and_b32_e32 v111, v111, v114
	;; [unrolled: 8-line block ×5, first 2 shown]
	v_xor_b32_e32 v114, vcc_hi, v4
	v_xor_b32_e32 v4, vcc_lo, v4
	v_and_b32_e32 v111, v111, v114
	v_and_b32_e32 v114, v22, v4
	v_lshlrev_b32_e32 v4, 24, v21
	v_cmp_gt_i64_e32 vcc, 0, v[3:4]
	v_not_b32_e32 v4, v4
	v_ashrrev_i32_e32 v4, 31, v4
	v_mul_u32_u24_e32 v113, 20, v21
	v_xor_b32_e32 v21, vcc_hi, v4
	v_xor_b32_e32 v4, vcc_lo, v4
	v_and_b32_e32 v22, v111, v21
	v_and_b32_e32 v21, v114, v4
	v_mbcnt_lo_u32_b32 v4, v21, 0
	v_mbcnt_hi_u32_b32 v111, v22, v4
	v_cmp_ne_u64_e32 vcc, 0, v[21:22]
	v_cmp_eq_u32_e64 s[38:39], 0, v111
	s_and_b64 s[40:41], vcc, s[38:39]
	v_add_u32_e32 v114, v91, v113
	; wave barrier
	s_and_saveexec_b64 s[38:39], s[40:41]
	s_cbranch_execz .LBB2054_586
; %bb.585:                              ;   in Loop: Header=BB2054_558 Depth=2
	v_bcnt_u32_b32 v4, v21, 0
	v_bcnt_u32_b32 v4, v22, v4
	s_waitcnt lgkmcnt(0)
	v_add_u32_e32 v4, v109, v4
	ds_write_b32 v114, v4 offset:1040
.LBB2054_586:                           ;   in Loop: Header=BB2054_558 Depth=2
	s_or_b64 exec, exec, s[38:39]
	v_cmp_lt_i16_e32 vcc, -1, v112
	v_cndmask_b32_e32 v4, -1, v65, vcc
	v_xor_b32_e32 v112, v4, v112
	v_cmp_ne_u16_e32 vcc, s7, v112
	v_cndmask_b32_e32 v4, v65, v112, vcc
	v_lshrrev_b32_sdwa v4, s77, v4 dst_sel:DWORD dst_unused:UNUSED_PAD src0_sel:DWORD src1_sel:WORD_0
	v_and_b32_e32 v21, s63, v4
	v_mad_u32_u24 v4, v21, 20, v91
	; wave barrier
	ds_read_b32 v113, v4 offset:1040
	v_and_b32_e32 v4, 1, v21
	v_add_co_u32_e32 v22, vcc, -1, v4
	v_addc_co_u32_e64 v115, s[38:39], 0, -1, vcc
	v_cmp_ne_u32_e32 vcc, 0, v4
	v_xor_b32_e32 v4, vcc_hi, v115
	v_and_b32_e32 v115, exec_hi, v4
	v_lshlrev_b32_e32 v4, 30, v21
	v_xor_b32_e32 v22, vcc_lo, v22
	v_cmp_gt_i64_e32 vcc, 0, v[3:4]
	v_not_b32_e32 v4, v4
	v_ashrrev_i32_e32 v4, 31, v4
	v_and_b32_e32 v22, exec_lo, v22
	v_xor_b32_e32 v117, vcc_hi, v4
	v_xor_b32_e32 v4, vcc_lo, v4
	v_and_b32_e32 v22, v22, v4
	v_lshlrev_b32_e32 v4, 29, v21
	v_cmp_gt_i64_e32 vcc, 0, v[3:4]
	v_not_b32_e32 v4, v4
	v_ashrrev_i32_e32 v4, 31, v4
	v_and_b32_e32 v115, v115, v117
	v_xor_b32_e32 v117, vcc_hi, v4
	v_xor_b32_e32 v4, vcc_lo, v4
	v_and_b32_e32 v22, v22, v4
	v_lshlrev_b32_e32 v4, 28, v21
	v_cmp_gt_i64_e32 vcc, 0, v[3:4]
	v_not_b32_e32 v4, v4
	v_ashrrev_i32_e32 v4, 31, v4
	v_and_b32_e32 v115, v115, v117
	;; [unrolled: 8-line block ×5, first 2 shown]
	v_xor_b32_e32 v117, vcc_hi, v4
	v_xor_b32_e32 v4, vcc_lo, v4
	v_and_b32_e32 v115, v115, v117
	v_and_b32_e32 v117, v22, v4
	v_lshlrev_b32_e32 v4, 24, v21
	v_cmp_gt_i64_e32 vcc, 0, v[3:4]
	v_not_b32_e32 v4, v4
	v_ashrrev_i32_e32 v4, 31, v4
	v_mul_u32_u24_e32 v116, 20, v21
	v_xor_b32_e32 v21, vcc_hi, v4
	v_xor_b32_e32 v4, vcc_lo, v4
	v_and_b32_e32 v22, v115, v21
	v_and_b32_e32 v21, v117, v4
	v_mbcnt_lo_u32_b32 v4, v21, 0
	v_mbcnt_hi_u32_b32 v115, v22, v4
	v_cmp_ne_u64_e32 vcc, 0, v[21:22]
	v_cmp_eq_u32_e64 s[38:39], 0, v115
	s_and_b64 s[40:41], vcc, s[38:39]
	v_add_u32_e32 v118, v91, v116
	; wave barrier
	s_and_saveexec_b64 s[38:39], s[40:41]
	s_cbranch_execz .LBB2054_588
; %bb.587:                              ;   in Loop: Header=BB2054_558 Depth=2
	v_bcnt_u32_b32 v4, v21, 0
	v_bcnt_u32_b32 v4, v22, v4
	s_waitcnt lgkmcnt(0)
	v_add_u32_e32 v4, v113, v4
	ds_write_b32 v118, v4 offset:1040
.LBB2054_588:                           ;   in Loop: Header=BB2054_558 Depth=2
	s_or_b64 exec, exec, s[38:39]
	v_cmp_lt_i16_e32 vcc, -1, v108
	v_cndmask_b32_e32 v4, -1, v65, vcc
	v_xor_b32_e32 v116, v4, v108
	v_cmp_ne_u16_e32 vcc, s7, v116
	v_cndmask_b32_e32 v4, v65, v116, vcc
	v_lshrrev_b32_sdwa v4, s77, v4 dst_sel:DWORD dst_unused:UNUSED_PAD src0_sel:DWORD src1_sel:WORD_0
	v_and_b32_e32 v21, s63, v4
	v_mad_u32_u24 v4, v21, 20, v91
	; wave barrier
	ds_read_b32 v117, v4 offset:1040
	v_and_b32_e32 v4, 1, v21
	v_add_co_u32_e32 v22, vcc, -1, v4
	v_addc_co_u32_e64 v119, s[38:39], 0, -1, vcc
	v_cmp_ne_u32_e32 vcc, 0, v4
	v_xor_b32_e32 v4, vcc_hi, v119
	v_and_b32_e32 v119, exec_hi, v4
	v_lshlrev_b32_e32 v4, 30, v21
	v_xor_b32_e32 v22, vcc_lo, v22
	v_cmp_gt_i64_e32 vcc, 0, v[3:4]
	v_not_b32_e32 v4, v4
	v_ashrrev_i32_e32 v4, 31, v4
	v_and_b32_e32 v22, exec_lo, v22
	v_xor_b32_e32 v120, vcc_hi, v4
	v_xor_b32_e32 v4, vcc_lo, v4
	v_and_b32_e32 v22, v22, v4
	v_lshlrev_b32_e32 v4, 29, v21
	v_cmp_gt_i64_e32 vcc, 0, v[3:4]
	v_not_b32_e32 v4, v4
	v_ashrrev_i32_e32 v4, 31, v4
	v_and_b32_e32 v119, v119, v120
	v_xor_b32_e32 v120, vcc_hi, v4
	v_xor_b32_e32 v4, vcc_lo, v4
	v_and_b32_e32 v22, v22, v4
	v_lshlrev_b32_e32 v4, 28, v21
	v_cmp_gt_i64_e32 vcc, 0, v[3:4]
	v_not_b32_e32 v4, v4
	v_ashrrev_i32_e32 v4, 31, v4
	v_and_b32_e32 v119, v119, v120
	;; [unrolled: 8-line block ×5, first 2 shown]
	v_xor_b32_e32 v120, vcc_hi, v4
	v_xor_b32_e32 v4, vcc_lo, v4
	v_and_b32_e32 v119, v119, v120
	v_and_b32_e32 v120, v22, v4
	v_lshlrev_b32_e32 v4, 24, v21
	v_cmp_gt_i64_e32 vcc, 0, v[3:4]
	v_not_b32_e32 v4, v4
	v_ashrrev_i32_e32 v4, 31, v4
	v_mul_u32_u24_e32 v108, 20, v21
	v_xor_b32_e32 v21, vcc_hi, v4
	v_xor_b32_e32 v4, vcc_lo, v4
	v_and_b32_e32 v22, v119, v21
	v_and_b32_e32 v21, v120, v4
	v_mbcnt_lo_u32_b32 v4, v21, 0
	v_mbcnt_hi_u32_b32 v119, v22, v4
	v_cmp_ne_u64_e32 vcc, 0, v[21:22]
	v_cmp_eq_u32_e64 s[38:39], 0, v119
	s_and_b64 s[40:41], vcc, s[38:39]
	v_add_u32_e32 v108, v91, v108
	; wave barrier
	s_and_saveexec_b64 s[38:39], s[40:41]
	s_cbranch_execz .LBB2054_590
; %bb.589:                              ;   in Loop: Header=BB2054_558 Depth=2
	v_bcnt_u32_b32 v4, v21, 0
	v_bcnt_u32_b32 v4, v22, v4
	s_waitcnt lgkmcnt(0)
	v_add_u32_e32 v4, v117, v4
	ds_write_b32 v108, v4 offset:1040
.LBB2054_590:                           ;   in Loop: Header=BB2054_558 Depth=2
	s_or_b64 exec, exec, s[38:39]
	v_cmp_lt_i16_e32 vcc, -1, v24
	v_cndmask_b32_e32 v4, -1, v65, vcc
	v_xor_b32_e32 v120, v4, v24
	v_cmp_ne_u16_e32 vcc, s7, v120
	v_cndmask_b32_e32 v4, v65, v120, vcc
	v_lshrrev_b32_sdwa v4, s77, v4 dst_sel:DWORD dst_unused:UNUSED_PAD src0_sel:DWORD src1_sel:WORD_0
	v_and_b32_e32 v21, s63, v4
	v_mad_u32_u24 v4, v21, 20, v91
	; wave barrier
	ds_read_b32 v121, v4 offset:1040
	v_and_b32_e32 v4, 1, v21
	v_add_co_u32_e32 v22, vcc, -1, v4
	v_addc_co_u32_e64 v122, s[38:39], 0, -1, vcc
	v_cmp_ne_u32_e32 vcc, 0, v4
	v_xor_b32_e32 v4, vcc_hi, v122
	v_and_b32_e32 v122, exec_hi, v4
	v_lshlrev_b32_e32 v4, 30, v21
	v_xor_b32_e32 v22, vcc_lo, v22
	v_cmp_gt_i64_e32 vcc, 0, v[3:4]
	v_not_b32_e32 v4, v4
	v_ashrrev_i32_e32 v4, 31, v4
	v_and_b32_e32 v22, exec_lo, v22
	v_xor_b32_e32 v123, vcc_hi, v4
	v_xor_b32_e32 v4, vcc_lo, v4
	v_and_b32_e32 v22, v22, v4
	v_lshlrev_b32_e32 v4, 29, v21
	v_cmp_gt_i64_e32 vcc, 0, v[3:4]
	v_not_b32_e32 v4, v4
	v_ashrrev_i32_e32 v4, 31, v4
	v_and_b32_e32 v122, v122, v123
	v_xor_b32_e32 v123, vcc_hi, v4
	v_xor_b32_e32 v4, vcc_lo, v4
	v_and_b32_e32 v22, v22, v4
	v_lshlrev_b32_e32 v4, 28, v21
	v_cmp_gt_i64_e32 vcc, 0, v[3:4]
	v_not_b32_e32 v4, v4
	v_ashrrev_i32_e32 v4, 31, v4
	v_and_b32_e32 v122, v122, v123
	;; [unrolled: 8-line block ×5, first 2 shown]
	v_xor_b32_e32 v123, vcc_hi, v4
	v_xor_b32_e32 v4, vcc_lo, v4
	v_and_b32_e32 v122, v122, v123
	v_and_b32_e32 v123, v22, v4
	v_lshlrev_b32_e32 v4, 24, v21
	v_cmp_gt_i64_e32 vcc, 0, v[3:4]
	v_not_b32_e32 v4, v4
	v_ashrrev_i32_e32 v4, 31, v4
	v_mul_u32_u24_e32 v24, 20, v21
	v_xor_b32_e32 v21, vcc_hi, v4
	v_xor_b32_e32 v4, vcc_lo, v4
	v_and_b32_e32 v22, v122, v21
	v_and_b32_e32 v21, v123, v4
	v_mbcnt_lo_u32_b32 v4, v21, 0
	v_mbcnt_hi_u32_b32 v122, v22, v4
	v_cmp_ne_u64_e32 vcc, 0, v[21:22]
	v_cmp_eq_u32_e64 s[38:39], 0, v122
	s_and_b64 s[40:41], vcc, s[38:39]
	v_add_u32_e32 v125, v91, v24
	; wave barrier
	s_and_saveexec_b64 s[38:39], s[40:41]
	s_cbranch_execz .LBB2054_592
; %bb.591:                              ;   in Loop: Header=BB2054_558 Depth=2
	v_bcnt_u32_b32 v4, v21, 0
	v_bcnt_u32_b32 v4, v22, v4
	s_waitcnt lgkmcnt(0)
	v_add_u32_e32 v4, v121, v4
	ds_write_b32 v125, v4 offset:1040
.LBB2054_592:                           ;   in Loop: Header=BB2054_558 Depth=2
	s_or_b64 exec, exec, s[38:39]
	v_cmp_lt_i16_e32 vcc, -1, v23
	v_cndmask_b32_e32 v4, -1, v65, vcc
	v_xor_b32_e32 v123, v4, v23
	v_cmp_ne_u16_e32 vcc, s7, v123
	v_cndmask_b32_e32 v4, v65, v123, vcc
	v_lshrrev_b32_sdwa v4, s77, v4 dst_sel:DWORD dst_unused:UNUSED_PAD src0_sel:DWORD src1_sel:WORD_0
	v_and_b32_e32 v21, s63, v4
	v_mad_u32_u24 v4, v21, 20, v91
	; wave barrier
	ds_read_b32 v124, v4 offset:1040
	v_and_b32_e32 v4, 1, v21
	v_add_co_u32_e32 v22, vcc, -1, v4
	v_addc_co_u32_e64 v24, s[38:39], 0, -1, vcc
	v_cmp_ne_u32_e32 vcc, 0, v4
	v_xor_b32_e32 v4, vcc_hi, v24
	v_and_b32_e32 v24, exec_hi, v4
	v_lshlrev_b32_e32 v4, 30, v21
	v_xor_b32_e32 v22, vcc_lo, v22
	v_cmp_gt_i64_e32 vcc, 0, v[3:4]
	v_not_b32_e32 v4, v4
	v_ashrrev_i32_e32 v4, 31, v4
	v_and_b32_e32 v22, exec_lo, v22
	v_xor_b32_e32 v126, vcc_hi, v4
	v_xor_b32_e32 v4, vcc_lo, v4
	v_and_b32_e32 v22, v22, v4
	v_lshlrev_b32_e32 v4, 29, v21
	v_cmp_gt_i64_e32 vcc, 0, v[3:4]
	v_not_b32_e32 v4, v4
	v_ashrrev_i32_e32 v4, 31, v4
	v_and_b32_e32 v24, v24, v126
	v_xor_b32_e32 v126, vcc_hi, v4
	v_xor_b32_e32 v4, vcc_lo, v4
	v_and_b32_e32 v22, v22, v4
	v_lshlrev_b32_e32 v4, 28, v21
	v_cmp_gt_i64_e32 vcc, 0, v[3:4]
	v_not_b32_e32 v4, v4
	v_ashrrev_i32_e32 v4, 31, v4
	v_and_b32_e32 v24, v24, v126
	;; [unrolled: 8-line block ×5, first 2 shown]
	v_xor_b32_e32 v126, vcc_hi, v4
	v_xor_b32_e32 v4, vcc_lo, v4
	v_and_b32_e32 v24, v24, v126
	v_and_b32_e32 v126, v22, v4
	v_lshlrev_b32_e32 v4, 24, v21
	v_cmp_gt_i64_e32 vcc, 0, v[3:4]
	v_not_b32_e32 v4, v4
	v_ashrrev_i32_e32 v4, 31, v4
	v_mul_u32_u24_e32 v23, 20, v21
	v_xor_b32_e32 v21, vcc_hi, v4
	v_xor_b32_e32 v4, vcc_lo, v4
	v_and_b32_e32 v22, v24, v21
	v_and_b32_e32 v21, v126, v4
	v_mbcnt_lo_u32_b32 v4, v21, 0
	v_mbcnt_hi_u32_b32 v126, v22, v4
	v_cmp_ne_u64_e32 vcc, 0, v[21:22]
	v_cmp_eq_u32_e64 s[38:39], 0, v126
	s_and_b64 s[40:41], vcc, s[38:39]
	v_add_u32_e32 v4, v91, v23
	; wave barrier
	s_and_saveexec_b64 s[38:39], s[40:41]
	s_cbranch_execz .LBB2054_594
; %bb.593:                              ;   in Loop: Header=BB2054_558 Depth=2
	v_bcnt_u32_b32 v21, v21, 0
	v_bcnt_u32_b32 v21, v22, v21
	s_waitcnt lgkmcnt(0)
	v_add_u32_e32 v21, v124, v21
	ds_write_b32 v4, v21 offset:1040
.LBB2054_594:                           ;   in Loop: Header=BB2054_558 Depth=2
	s_or_b64 exec, exec, s[38:39]
	; wave barrier
	s_waitcnt lgkmcnt(0)
	s_barrier
	ds_read2_b32 v[23:24], v62 offset1:1
	ds_read2_b32 v[21:22], v63 offset1:1
	ds_read_b32 v127, v41 offset:1056
	s_waitcnt lgkmcnt(1)
	v_add3_u32 v128, v24, v23, v21
	s_waitcnt lgkmcnt(0)
	v_add3_u32 v127, v128, v22, v127
	s_nop 1
	v_mov_b32_dpp v128, v127 row_shr:1 row_mask:0xf bank_mask:0xf
	v_cndmask_b32_e64 v128, v128, 0, s[18:19]
	v_add_u32_e32 v127, v128, v127
	s_nop 1
	v_mov_b32_dpp v128, v127 row_shr:2 row_mask:0xf bank_mask:0xf
	v_cndmask_b32_e64 v128, 0, v128, s[20:21]
	v_add_u32_e32 v127, v127, v128
	;; [unrolled: 4-line block ×4, first 2 shown]
	s_nop 1
	v_mov_b32_dpp v128, v127 row_bcast:15 row_mask:0xf bank_mask:0xf
	v_cndmask_b32_e64 v128, v128, 0, s[26:27]
	v_add_u32_e32 v127, v127, v128
	s_nop 1
	v_mov_b32_dpp v128, v127 row_bcast:31 row_mask:0xf bank_mask:0xf
	v_cndmask_b32_e64 v128, 0, v128, s[28:29]
	v_add_u32_e32 v127, v127, v128
	s_and_saveexec_b64 s[38:39], s[8:9]
; %bb.595:                              ;   in Loop: Header=BB2054_558 Depth=2
	ds_write_b32 v37, v127 offset:1024
; %bb.596:                              ;   in Loop: Header=BB2054_558 Depth=2
	s_or_b64 exec, exec, s[38:39]
	s_waitcnt lgkmcnt(0)
	s_barrier
	s_and_saveexec_b64 s[38:39], s[10:11]
	s_cbranch_execz .LBB2054_598
; %bb.597:                              ;   in Loop: Header=BB2054_558 Depth=2
	ds_read_b32 v128, v42 offset:1024
	s_waitcnt lgkmcnt(0)
	s_nop 0
	v_mov_b32_dpp v129, v128 row_shr:1 row_mask:0xf bank_mask:0xf
	v_cndmask_b32_e64 v129, v129, 0, s[34:35]
	v_add_u32_e32 v128, v129, v128
	s_nop 1
	v_mov_b32_dpp v129, v128 row_shr:2 row_mask:0xf bank_mask:0xf
	v_cndmask_b32_e64 v129, 0, v129, s[36:37]
	v_add_u32_e32 v128, v128, v129
	ds_write_b32 v42, v128 offset:1024
.LBB2054_598:                           ;   in Loop: Header=BB2054_558 Depth=2
	s_or_b64 exec, exec, s[38:39]
	v_mov_b32_e32 v128, 0
	s_waitcnt lgkmcnt(0)
	s_barrier
	s_and_saveexec_b64 s[38:39], s[12:13]
; %bb.599:                              ;   in Loop: Header=BB2054_558 Depth=2
	ds_read_b32 v128, v37 offset:1020
; %bb.600:                              ;   in Loop: Header=BB2054_558 Depth=2
	s_or_b64 exec, exec, s[38:39]
	s_waitcnt lgkmcnt(0)
	v_add_u32_e32 v127, v128, v127
	ds_bpermute_b32 v127, v82, v127
	s_waitcnt lgkmcnt(0)
	v_cndmask_b32_e64 v127, v127, v128, s[30:31]
	v_cndmask_b32_e64 v127, v127, 0, s[14:15]
	v_add_u32_e32 v23, v127, v23
	v_add_u32_e32 v24, v23, v24
	;; [unrolled: 1-line block ×4, first 2 shown]
	ds_write2_b32 v62, v127, v23 offset1:1
	ds_write2_b32 v63, v24, v21 offset1:1
	ds_write_b32 v41, v22 offset:1056
	s_waitcnt lgkmcnt(0)
	s_barrier
	ds_read_b32 v21, v101 offset:1040
	ds_read_b32 v22, v105 offset:1040
	;; [unrolled: 1-line block ×9, first 2 shown]
	v_mov_b32_e32 v4, 0x800
	s_and_saveexec_b64 s[38:39], s[16:17]
; %bb.601:                              ;   in Loop: Header=BB2054_558 Depth=2
	ds_read_b32 v4, v41 offset:1060
; %bb.602:                              ;   in Loop: Header=BB2054_558 Depth=2
	s_or_b64 exec, exec, s[38:39]
	s_waitcnt lgkmcnt(0)
	s_barrier
	s_and_saveexec_b64 s[38:39], s[4:5]
	s_cbranch_execz .LBB2054_604
; %bb.603:                              ;   in Loop: Header=BB2054_558 Depth=2
	ds_read_b32 v105, v25
	s_waitcnt lgkmcnt(0)
	v_sub_u32_e32 v101, v105, v101
	ds_write_b32 v25, v101
.LBB2054_604:                           ;   in Loop: Header=BB2054_558 Depth=2
	s_or_b64 exec, exec, s[38:39]
	v_add_u32_e32 v108, v21, v98
	v_add3_u32 v105, v102, v100, v22
	v_lshlrev_b32_e32 v21, 1, v108
	v_add3_u32 v102, v106, v104, v23
	ds_write_b16 v21, v97 offset:1024
	v_lshlrev_b32_e32 v21, 1, v105
	v_add3_u32 v101, v111, v109, v24
	ds_write_b16 v21, v99 offset:1024
	;; [unrolled: 3-line block ×6, first 2 shown]
	v_lshlrev_b32_e32 v21, 1, v24
	ds_write_b16 v21, v120 offset:1024
	v_lshlrev_b32_e32 v21, 1, v23
	v_cmp_lt_u32_e32 vcc, v0, v96
	ds_write_b16 v21, v123 offset:1024
	s_waitcnt lgkmcnt(0)
	s_barrier
	s_and_saveexec_b64 s[40:41], vcc
	s_cbranch_execnz .LBB2054_641
; %bb.605:                              ;   in Loop: Header=BB2054_558 Depth=2
	s_or_b64 exec, exec, s[40:41]
	v_cmp_lt_u32_e64 s[38:39], v26, v96
	s_and_saveexec_b64 s[42:43], s[38:39]
	s_cbranch_execnz .LBB2054_642
.LBB2054_606:                           ;   in Loop: Header=BB2054_558 Depth=2
	s_or_b64 exec, exec, s[42:43]
	v_cmp_lt_u32_e64 s[40:41], v27, v96
	s_and_saveexec_b64 s[44:45], s[40:41]
	s_cbranch_execnz .LBB2054_643
.LBB2054_607:                           ;   in Loop: Header=BB2054_558 Depth=2
	s_or_b64 exec, exec, s[44:45]
	v_cmp_lt_u32_e64 s[42:43], v28, v96
	s_and_saveexec_b64 s[46:47], s[42:43]
	s_cbranch_execnz .LBB2054_644
.LBB2054_608:                           ;   in Loop: Header=BB2054_558 Depth=2
	s_or_b64 exec, exec, s[46:47]
	v_cmp_lt_u32_e64 s[44:45], v31, v96
	s_and_saveexec_b64 s[48:49], s[44:45]
	s_cbranch_execnz .LBB2054_645
.LBB2054_609:                           ;   in Loop: Header=BB2054_558 Depth=2
	s_or_b64 exec, exec, s[48:49]
	v_cmp_lt_u32_e64 s[46:47], v32, v96
	s_and_saveexec_b64 s[50:51], s[46:47]
	s_cbranch_execnz .LBB2054_646
.LBB2054_610:                           ;   in Loop: Header=BB2054_558 Depth=2
	s_or_b64 exec, exec, s[50:51]
	v_cmp_lt_u32_e64 s[48:49], v33, v96
	s_and_saveexec_b64 s[52:53], s[48:49]
	s_cbranch_execnz .LBB2054_647
.LBB2054_611:                           ;   in Loop: Header=BB2054_558 Depth=2
	s_or_b64 exec, exec, s[52:53]
	v_cmp_lt_u32_e64 s[50:51], v34, v96
	s_and_saveexec_b64 s[60:61], s[50:51]
	s_cbranch_execz .LBB2054_613
.LBB2054_612:                           ;   in Loop: Header=BB2054_558 Depth=2
	ds_read_u16 v21, v47 offset:4608
	v_mov_b32_e32 v22, v3
	v_mov_b32_e32 v99, s69
	s_waitcnt lgkmcnt(0)
	v_cmp_ne_u16_e64 s[52:53], s7, v21
	v_cndmask_b32_e64 v97, v65, v21, s[52:53]
	v_lshrrev_b32_sdwa v97, s77, v97 dst_sel:DWORD dst_unused:UNUSED_PAD src0_sel:DWORD src1_sel:WORD_0
	v_and_b32_e32 v97, s63, v97
	v_lshlrev_b32_e32 v97, 2, v97
	ds_read_b32 v97, v97
	v_cmp_lt_i16_e64 s[52:53], -1, v21
	v_cndmask_b32_e64 v103, v65, -1, s[52:53]
	v_xor_b32_e32 v103, v103, v21
	s_waitcnt lgkmcnt(0)
	v_add_u32_e32 v21, v97, v34
	v_lshlrev_b64 v[21:22], 1, v[21:22]
	v_add_co_u32_e64 v21, s[52:53], s68, v21
	v_addc_co_u32_e64 v22, s[52:53], v99, v22, s[52:53]
	global_store_short v[21:22], v103, off
.LBB2054_613:                           ;   in Loop: Header=BB2054_558 Depth=2
	s_or_b64 exec, exec, s[60:61]
	s_lshl_b64 s[52:53], s[58:59], 3
	v_mov_b32_e32 v22, s53
	v_add_co_u32_e64 v21, s[52:53], s52, v83
	v_addc_co_u32_e64 v22, s[52:53], v84, v22, s[52:53]
	v_cmp_lt_u32_e64 s[52:53], v73, v96
	s_and_saveexec_b64 s[60:61], s[52:53]
	s_xor_b64 s[52:53], exec, s[60:61]
	s_cbranch_execnz .LBB2054_648
; %bb.614:                              ;   in Loop: Header=BB2054_558 Depth=2
	s_or_b64 exec, exec, s[52:53]
	v_cmp_lt_u32_e64 s[52:53], v74, v96
	s_and_saveexec_b64 s[60:61], s[52:53]
	s_cbranch_execnz .LBB2054_649
.LBB2054_615:                           ;   in Loop: Header=BB2054_558 Depth=2
	s_or_b64 exec, exec, s[60:61]
	v_cmp_lt_u32_e64 s[52:53], v75, v96
	s_and_saveexec_b64 s[60:61], s[52:53]
	s_cbranch_execnz .LBB2054_650
.LBB2054_616:                           ;   in Loop: Header=BB2054_558 Depth=2
	s_or_b64 exec, exec, s[60:61]
	v_cmp_lt_u32_e64 s[52:53], v76, v96
	s_and_saveexec_b64 s[60:61], s[52:53]
	s_cbranch_execnz .LBB2054_651
.LBB2054_617:                           ;   in Loop: Header=BB2054_558 Depth=2
	s_or_b64 exec, exec, s[60:61]
	v_cmp_lt_u32_e64 s[52:53], v77, v96
	s_and_saveexec_b64 s[60:61], s[52:53]
	s_cbranch_execnz .LBB2054_652
.LBB2054_618:                           ;   in Loop: Header=BB2054_558 Depth=2
	s_or_b64 exec, exec, s[60:61]
	v_cmp_lt_u32_e64 s[52:53], v78, v96
	s_and_saveexec_b64 s[60:61], s[52:53]
	s_cbranch_execnz .LBB2054_653
.LBB2054_619:                           ;   in Loop: Header=BB2054_558 Depth=2
	s_or_b64 exec, exec, s[60:61]
	v_cmp_lt_u32_e64 s[52:53], v79, v96
	s_and_saveexec_b64 s[60:61], s[52:53]
	s_cbranch_execnz .LBB2054_654
.LBB2054_620:                           ;   in Loop: Header=BB2054_558 Depth=2
	s_or_b64 exec, exec, s[60:61]
	v_cmp_lt_u32_e64 s[52:53], v80, v96
	s_and_saveexec_b64 s[60:61], s[52:53]
	s_cbranch_execnz .LBB2054_655
.LBB2054_621:                           ;   in Loop: Header=BB2054_558 Depth=2
	s_or_b64 exec, exec, s[60:61]
	s_and_saveexec_b64 s[60:61], vcc
	s_cbranch_execnz .LBB2054_656
.LBB2054_622:                           ;   in Loop: Header=BB2054_558 Depth=2
	s_or_b64 exec, exec, s[60:61]
	s_and_saveexec_b64 s[60:61], s[38:39]
	s_cbranch_execnz .LBB2054_657
.LBB2054_623:                           ;   in Loop: Header=BB2054_558 Depth=2
	s_or_b64 exec, exec, s[60:61]
	s_and_saveexec_b64 s[60:61], s[40:41]
	s_cbranch_execnz .LBB2054_658
.LBB2054_624:                           ;   in Loop: Header=BB2054_558 Depth=2
	s_or_b64 exec, exec, s[60:61]
	s_and_saveexec_b64 s[60:61], s[42:43]
	s_cbranch_execnz .LBB2054_659
.LBB2054_625:                           ;   in Loop: Header=BB2054_558 Depth=2
	s_or_b64 exec, exec, s[60:61]
	s_and_saveexec_b64 s[60:61], s[44:45]
	s_cbranch_execnz .LBB2054_660
.LBB2054_626:                           ;   in Loop: Header=BB2054_558 Depth=2
	s_or_b64 exec, exec, s[60:61]
	s_and_saveexec_b64 s[60:61], s[46:47]
	s_cbranch_execnz .LBB2054_661
.LBB2054_627:                           ;   in Loop: Header=BB2054_558 Depth=2
	s_or_b64 exec, exec, s[60:61]
	s_and_saveexec_b64 s[60:61], s[48:49]
	s_cbranch_execnz .LBB2054_662
.LBB2054_628:                           ;   in Loop: Header=BB2054_558 Depth=2
	s_or_b64 exec, exec, s[60:61]
	s_and_saveexec_b64 s[60:61], s[50:51]
	s_cbranch_execz .LBB2054_630
.LBB2054_629:                           ;   in Loop: Header=BB2054_558 Depth=2
	ds_read_u16 v21, v47 offset:4608
	s_waitcnt lgkmcnt(0)
	v_cmp_ne_u16_e64 s[52:53], s7, v21
	v_cndmask_b32_e64 v21, v65, v21, s[52:53]
	v_lshrrev_b32_sdwa v21, s77, v21 dst_sel:DWORD dst_unused:UNUSED_PAD src0_sel:DWORD src1_sel:WORD_0
	v_and_b32_e32 v87, s63, v21
.LBB2054_630:                           ;   in Loop: Header=BB2054_558 Depth=2
	s_or_b64 exec, exec, s[60:61]
	v_lshlrev_b32_e32 v21, 3, v108
	s_waitcnt vmcnt(0)
	s_barrier
	ds_write_b64 v21, v[19:20] offset:1024
	v_lshlrev_b32_e32 v21, 3, v105
	ds_write_b64 v21, v[17:18] offset:1024
	v_lshlrev_b32_e32 v21, 3, v102
	;; [unrolled: 2-line block ×7, first 2 shown]
	ds_write_b64 v21, v[5:6] offset:1024
	v_add_u32_e32 v21, v47, v48
	s_waitcnt lgkmcnt(0)
	s_barrier
	s_and_saveexec_b64 s[52:53], vcc
	s_cbranch_execnz .LBB2054_663
; %bb.631:                              ;   in Loop: Header=BB2054_558 Depth=2
	s_or_b64 exec, exec, s[52:53]
	s_and_saveexec_b64 s[52:53], s[38:39]
	s_cbranch_execnz .LBB2054_664
.LBB2054_632:                           ;   in Loop: Header=BB2054_558 Depth=2
	s_or_b64 exec, exec, s[52:53]
	s_and_saveexec_b64 s[38:39], s[40:41]
	s_cbranch_execnz .LBB2054_665
.LBB2054_633:                           ;   in Loop: Header=BB2054_558 Depth=2
	s_or_b64 exec, exec, s[38:39]
	s_and_saveexec_b64 s[38:39], s[42:43]
	s_cbranch_execnz .LBB2054_666
.LBB2054_634:                           ;   in Loop: Header=BB2054_558 Depth=2
	s_or_b64 exec, exec, s[38:39]
	s_and_saveexec_b64 s[38:39], s[44:45]
	s_cbranch_execnz .LBB2054_667
.LBB2054_635:                           ;   in Loop: Header=BB2054_558 Depth=2
	s_or_b64 exec, exec, s[38:39]
	s_and_saveexec_b64 s[38:39], s[46:47]
	s_cbranch_execnz .LBB2054_668
.LBB2054_636:                           ;   in Loop: Header=BB2054_558 Depth=2
	s_or_b64 exec, exec, s[38:39]
	s_and_saveexec_b64 s[38:39], s[48:49]
	s_cbranch_execnz .LBB2054_669
.LBB2054_637:                           ;   in Loop: Header=BB2054_558 Depth=2
	s_or_b64 exec, exec, s[38:39]
	s_and_saveexec_b64 s[38:39], s[50:51]
	s_cbranch_execz .LBB2054_639
.LBB2054_638:                           ;   in Loop: Header=BB2054_558 Depth=2
	v_lshlrev_b32_e32 v22, 2, v87
	ds_read_b32 v23, v22
	ds_read_b64 v[21:22], v21 offset:15360
	v_mov_b32_e32 v24, v3
	v_mov_b32_e32 v96, s75
	s_waitcnt lgkmcnt(1)
	v_add_u32_e32 v23, v23, v34
	v_lshlrev_b64 v[23:24], 3, v[23:24]
	v_add_co_u32_e32 v23, vcc, s74, v23
	v_addc_co_u32_e32 v24, vcc, v96, v24, vcc
	s_waitcnt lgkmcnt(0)
	global_store_dwordx2 v[23:24], v[21:22], off
.LBB2054_639:                           ;   in Loop: Header=BB2054_558 Depth=2
	s_or_b64 exec, exec, s[38:39]
	s_waitcnt vmcnt(0)
	s_barrier
	s_and_saveexec_b64 s[38:39], s[4:5]
	s_cbranch_execz .LBB2054_557
; %bb.640:                              ;   in Loop: Header=BB2054_558 Depth=2
	ds_read_b32 v21, v25
	s_waitcnt lgkmcnt(0)
	v_add_u32_e32 v4, v21, v4
	ds_write_b32 v25, v4
	s_branch .LBB2054_557
.LBB2054_641:                           ;   in Loop: Header=BB2054_558 Depth=2
	ds_read_u16 v21, v47 offset:1024
	v_mov_b32_e32 v22, v3
	v_mov_b32_e32 v99, s69
	s_waitcnt lgkmcnt(0)
	v_cmp_ne_u16_e64 s[38:39], s7, v21
	v_cndmask_b32_e64 v97, v65, v21, s[38:39]
	v_lshrrev_b32_sdwa v97, s77, v97 dst_sel:DWORD dst_unused:UNUSED_PAD src0_sel:DWORD src1_sel:WORD_0
	v_and_b32_e32 v97, s63, v97
	v_lshlrev_b32_e32 v97, 2, v97
	ds_read_b32 v97, v97
	v_cmp_lt_i16_e64 s[38:39], -1, v21
	v_cndmask_b32_e64 v103, v65, -1, s[38:39]
	v_xor_b32_e32 v103, v103, v21
	s_waitcnt lgkmcnt(0)
	v_add_u32_e32 v21, v97, v0
	v_lshlrev_b64 v[21:22], 1, v[21:22]
	v_add_co_u32_e64 v21, s[38:39], s68, v21
	v_addc_co_u32_e64 v22, s[38:39], v99, v22, s[38:39]
	global_store_short v[21:22], v103, off
	s_or_b64 exec, exec, s[40:41]
	v_cmp_lt_u32_e64 s[38:39], v26, v96
	s_and_saveexec_b64 s[42:43], s[38:39]
	s_cbranch_execz .LBB2054_606
.LBB2054_642:                           ;   in Loop: Header=BB2054_558 Depth=2
	ds_read_u16 v21, v47 offset:1536
	v_mov_b32_e32 v22, v3
	v_mov_b32_e32 v99, s69
	s_waitcnt lgkmcnt(0)
	v_cmp_ne_u16_e64 s[40:41], s7, v21
	v_cndmask_b32_e64 v97, v65, v21, s[40:41]
	v_lshrrev_b32_sdwa v97, s77, v97 dst_sel:DWORD dst_unused:UNUSED_PAD src0_sel:DWORD src1_sel:WORD_0
	v_and_b32_e32 v97, s63, v97
	v_lshlrev_b32_e32 v97, 2, v97
	ds_read_b32 v97, v97
	v_cmp_lt_i16_e64 s[40:41], -1, v21
	v_cndmask_b32_e64 v103, v65, -1, s[40:41]
	v_xor_b32_e32 v103, v103, v21
	s_waitcnt lgkmcnt(0)
	v_add_u32_e32 v21, v97, v26
	v_lshlrev_b64 v[21:22], 1, v[21:22]
	v_add_co_u32_e64 v21, s[40:41], s68, v21
	v_addc_co_u32_e64 v22, s[40:41], v99, v22, s[40:41]
	global_store_short v[21:22], v103, off
	s_or_b64 exec, exec, s[42:43]
	v_cmp_lt_u32_e64 s[40:41], v27, v96
	s_and_saveexec_b64 s[44:45], s[40:41]
	s_cbranch_execz .LBB2054_607
.LBB2054_643:                           ;   in Loop: Header=BB2054_558 Depth=2
	ds_read_u16 v21, v47 offset:2048
	v_mov_b32_e32 v22, v3
	v_mov_b32_e32 v99, s69
	s_waitcnt lgkmcnt(0)
	v_cmp_ne_u16_e64 s[42:43], s7, v21
	v_cndmask_b32_e64 v97, v65, v21, s[42:43]
	v_lshrrev_b32_sdwa v97, s77, v97 dst_sel:DWORD dst_unused:UNUSED_PAD src0_sel:DWORD src1_sel:WORD_0
	v_and_b32_e32 v97, s63, v97
	v_lshlrev_b32_e32 v97, 2, v97
	ds_read_b32 v97, v97
	v_cmp_lt_i16_e64 s[42:43], -1, v21
	v_cndmask_b32_e64 v103, v65, -1, s[42:43]
	v_xor_b32_e32 v103, v103, v21
	s_waitcnt lgkmcnt(0)
	v_add_u32_e32 v21, v97, v27
	v_lshlrev_b64 v[21:22], 1, v[21:22]
	v_add_co_u32_e64 v21, s[42:43], s68, v21
	v_addc_co_u32_e64 v22, s[42:43], v99, v22, s[42:43]
	global_store_short v[21:22], v103, off
	s_or_b64 exec, exec, s[44:45]
	v_cmp_lt_u32_e64 s[42:43], v28, v96
	s_and_saveexec_b64 s[46:47], s[42:43]
	s_cbranch_execz .LBB2054_608
.LBB2054_644:                           ;   in Loop: Header=BB2054_558 Depth=2
	ds_read_u16 v21, v47 offset:2560
	v_mov_b32_e32 v22, v3
	v_mov_b32_e32 v99, s69
	s_waitcnt lgkmcnt(0)
	v_cmp_ne_u16_e64 s[44:45], s7, v21
	v_cndmask_b32_e64 v97, v65, v21, s[44:45]
	v_lshrrev_b32_sdwa v97, s77, v97 dst_sel:DWORD dst_unused:UNUSED_PAD src0_sel:DWORD src1_sel:WORD_0
	v_and_b32_e32 v97, s63, v97
	v_lshlrev_b32_e32 v97, 2, v97
	ds_read_b32 v97, v97
	v_cmp_lt_i16_e64 s[44:45], -1, v21
	v_cndmask_b32_e64 v103, v65, -1, s[44:45]
	v_xor_b32_e32 v103, v103, v21
	s_waitcnt lgkmcnt(0)
	v_add_u32_e32 v21, v97, v28
	v_lshlrev_b64 v[21:22], 1, v[21:22]
	v_add_co_u32_e64 v21, s[44:45], s68, v21
	v_addc_co_u32_e64 v22, s[44:45], v99, v22, s[44:45]
	global_store_short v[21:22], v103, off
	s_or_b64 exec, exec, s[46:47]
	v_cmp_lt_u32_e64 s[44:45], v31, v96
	s_and_saveexec_b64 s[48:49], s[44:45]
	s_cbranch_execz .LBB2054_609
.LBB2054_645:                           ;   in Loop: Header=BB2054_558 Depth=2
	ds_read_u16 v21, v47 offset:3072
	v_mov_b32_e32 v22, v3
	v_mov_b32_e32 v99, s69
	s_waitcnt lgkmcnt(0)
	v_cmp_ne_u16_e64 s[46:47], s7, v21
	v_cndmask_b32_e64 v97, v65, v21, s[46:47]
	v_lshrrev_b32_sdwa v97, s77, v97 dst_sel:DWORD dst_unused:UNUSED_PAD src0_sel:DWORD src1_sel:WORD_0
	v_and_b32_e32 v97, s63, v97
	v_lshlrev_b32_e32 v97, 2, v97
	ds_read_b32 v97, v97
	v_cmp_lt_i16_e64 s[46:47], -1, v21
	v_cndmask_b32_e64 v103, v65, -1, s[46:47]
	v_xor_b32_e32 v103, v103, v21
	s_waitcnt lgkmcnt(0)
	v_add_u32_e32 v21, v97, v31
	v_lshlrev_b64 v[21:22], 1, v[21:22]
	v_add_co_u32_e64 v21, s[46:47], s68, v21
	v_addc_co_u32_e64 v22, s[46:47], v99, v22, s[46:47]
	global_store_short v[21:22], v103, off
	s_or_b64 exec, exec, s[48:49]
	v_cmp_lt_u32_e64 s[46:47], v32, v96
	s_and_saveexec_b64 s[50:51], s[46:47]
	s_cbranch_execz .LBB2054_610
.LBB2054_646:                           ;   in Loop: Header=BB2054_558 Depth=2
	ds_read_u16 v21, v47 offset:3584
	v_mov_b32_e32 v22, v3
	v_mov_b32_e32 v99, s69
	s_waitcnt lgkmcnt(0)
	v_cmp_ne_u16_e64 s[48:49], s7, v21
	v_cndmask_b32_e64 v97, v65, v21, s[48:49]
	v_lshrrev_b32_sdwa v97, s77, v97 dst_sel:DWORD dst_unused:UNUSED_PAD src0_sel:DWORD src1_sel:WORD_0
	v_and_b32_e32 v97, s63, v97
	v_lshlrev_b32_e32 v97, 2, v97
	ds_read_b32 v97, v97
	v_cmp_lt_i16_e64 s[48:49], -1, v21
	v_cndmask_b32_e64 v103, v65, -1, s[48:49]
	v_xor_b32_e32 v103, v103, v21
	s_waitcnt lgkmcnt(0)
	v_add_u32_e32 v21, v97, v32
	v_lshlrev_b64 v[21:22], 1, v[21:22]
	v_add_co_u32_e64 v21, s[48:49], s68, v21
	v_addc_co_u32_e64 v22, s[48:49], v99, v22, s[48:49]
	global_store_short v[21:22], v103, off
	s_or_b64 exec, exec, s[50:51]
	v_cmp_lt_u32_e64 s[48:49], v33, v96
	s_and_saveexec_b64 s[52:53], s[48:49]
	s_cbranch_execz .LBB2054_611
.LBB2054_647:                           ;   in Loop: Header=BB2054_558 Depth=2
	ds_read_u16 v21, v47 offset:4096
	v_mov_b32_e32 v22, v3
	v_mov_b32_e32 v99, s69
	s_waitcnt lgkmcnt(0)
	v_cmp_ne_u16_e64 s[50:51], s7, v21
	v_cndmask_b32_e64 v97, v65, v21, s[50:51]
	v_lshrrev_b32_sdwa v97, s77, v97 dst_sel:DWORD dst_unused:UNUSED_PAD src0_sel:DWORD src1_sel:WORD_0
	v_and_b32_e32 v97, s63, v97
	v_lshlrev_b32_e32 v97, 2, v97
	ds_read_b32 v97, v97
	v_cmp_lt_i16_e64 s[50:51], -1, v21
	v_cndmask_b32_e64 v103, v65, -1, s[50:51]
	v_xor_b32_e32 v103, v103, v21
	s_waitcnt lgkmcnt(0)
	v_add_u32_e32 v21, v97, v33
	v_lshlrev_b64 v[21:22], 1, v[21:22]
	v_add_co_u32_e64 v21, s[50:51], s68, v21
	v_addc_co_u32_e64 v22, s[50:51], v99, v22, s[50:51]
	global_store_short v[21:22], v103, off
	s_or_b64 exec, exec, s[52:53]
	v_cmp_lt_u32_e64 s[50:51], v34, v96
	s_and_saveexec_b64 s[60:61], s[50:51]
	s_cbranch_execnz .LBB2054_612
	s_branch .LBB2054_613
.LBB2054_648:                           ;   in Loop: Header=BB2054_558 Depth=2
	global_load_dwordx2 v[19:20], v[21:22], off
	s_or_b64 exec, exec, s[52:53]
	v_cmp_lt_u32_e64 s[52:53], v74, v96
	s_and_saveexec_b64 s[60:61], s[52:53]
	s_cbranch_execz .LBB2054_615
.LBB2054_649:                           ;   in Loop: Header=BB2054_558 Depth=2
	global_load_dwordx2 v[17:18], v[21:22], off offset:512
	s_or_b64 exec, exec, s[60:61]
	v_cmp_lt_u32_e64 s[52:53], v75, v96
	s_and_saveexec_b64 s[60:61], s[52:53]
	s_cbranch_execz .LBB2054_616
.LBB2054_650:                           ;   in Loop: Header=BB2054_558 Depth=2
	global_load_dwordx2 v[15:16], v[21:22], off offset:1024
	s_or_b64 exec, exec, s[60:61]
	v_cmp_lt_u32_e64 s[52:53], v76, v96
	s_and_saveexec_b64 s[60:61], s[52:53]
	s_cbranch_execz .LBB2054_617
.LBB2054_651:                           ;   in Loop: Header=BB2054_558 Depth=2
	global_load_dwordx2 v[13:14], v[21:22], off offset:1536
	s_or_b64 exec, exec, s[60:61]
	v_cmp_lt_u32_e64 s[52:53], v77, v96
	s_and_saveexec_b64 s[60:61], s[52:53]
	s_cbranch_execz .LBB2054_618
.LBB2054_652:                           ;   in Loop: Header=BB2054_558 Depth=2
	global_load_dwordx2 v[11:12], v[21:22], off offset:2048
	s_or_b64 exec, exec, s[60:61]
	v_cmp_lt_u32_e64 s[52:53], v78, v96
	s_and_saveexec_b64 s[60:61], s[52:53]
	s_cbranch_execz .LBB2054_619
.LBB2054_653:                           ;   in Loop: Header=BB2054_558 Depth=2
	global_load_dwordx2 v[9:10], v[21:22], off offset:2560
	s_or_b64 exec, exec, s[60:61]
	v_cmp_lt_u32_e64 s[52:53], v79, v96
	s_and_saveexec_b64 s[60:61], s[52:53]
	s_cbranch_execz .LBB2054_620
.LBB2054_654:                           ;   in Loop: Header=BB2054_558 Depth=2
	global_load_dwordx2 v[7:8], v[21:22], off offset:3072
	s_or_b64 exec, exec, s[60:61]
	v_cmp_lt_u32_e64 s[52:53], v80, v96
	s_and_saveexec_b64 s[60:61], s[52:53]
	s_cbranch_execz .LBB2054_621
.LBB2054_655:                           ;   in Loop: Header=BB2054_558 Depth=2
	global_load_dwordx2 v[5:6], v[21:22], off offset:3584
	s_or_b64 exec, exec, s[60:61]
	s_and_saveexec_b64 s[60:61], vcc
	s_cbranch_execz .LBB2054_622
.LBB2054_656:                           ;   in Loop: Header=BB2054_558 Depth=2
	ds_read_u16 v21, v47 offset:1024
	s_waitcnt lgkmcnt(0)
	v_cmp_ne_u16_e64 s[52:53], s7, v21
	v_cndmask_b32_e64 v21, v65, v21, s[52:53]
	v_lshrrev_b32_sdwa v21, s77, v21 dst_sel:DWORD dst_unused:UNUSED_PAD src0_sel:DWORD src1_sel:WORD_0
	v_and_b32_e32 v95, s63, v21
	s_or_b64 exec, exec, s[60:61]
	s_and_saveexec_b64 s[60:61], s[38:39]
	s_cbranch_execz .LBB2054_623
.LBB2054_657:                           ;   in Loop: Header=BB2054_558 Depth=2
	ds_read_u16 v21, v47 offset:1536
	s_waitcnt lgkmcnt(0)
	v_cmp_ne_u16_e64 s[52:53], s7, v21
	v_cndmask_b32_e64 v21, v65, v21, s[52:53]
	v_lshrrev_b32_sdwa v21, s77, v21 dst_sel:DWORD dst_unused:UNUSED_PAD src0_sel:DWORD src1_sel:WORD_0
	v_and_b32_e32 v94, s63, v21
	s_or_b64 exec, exec, s[60:61]
	s_and_saveexec_b64 s[60:61], s[40:41]
	s_cbranch_execz .LBB2054_624
.LBB2054_658:                           ;   in Loop: Header=BB2054_558 Depth=2
	ds_read_u16 v21, v47 offset:2048
	s_waitcnt lgkmcnt(0)
	v_cmp_ne_u16_e64 s[52:53], s7, v21
	v_cndmask_b32_e64 v21, v65, v21, s[52:53]
	v_lshrrev_b32_sdwa v21, s77, v21 dst_sel:DWORD dst_unused:UNUSED_PAD src0_sel:DWORD src1_sel:WORD_0
	v_and_b32_e32 v93, s63, v21
	s_or_b64 exec, exec, s[60:61]
	s_and_saveexec_b64 s[60:61], s[42:43]
	s_cbranch_execz .LBB2054_625
.LBB2054_659:                           ;   in Loop: Header=BB2054_558 Depth=2
	ds_read_u16 v21, v47 offset:2560
	s_waitcnt lgkmcnt(0)
	v_cmp_ne_u16_e64 s[52:53], s7, v21
	v_cndmask_b32_e64 v21, v65, v21, s[52:53]
	v_lshrrev_b32_sdwa v21, s77, v21 dst_sel:DWORD dst_unused:UNUSED_PAD src0_sel:DWORD src1_sel:WORD_0
	v_and_b32_e32 v92, s63, v21
	s_or_b64 exec, exec, s[60:61]
	s_and_saveexec_b64 s[60:61], s[44:45]
	s_cbranch_execz .LBB2054_626
.LBB2054_660:                           ;   in Loop: Header=BB2054_558 Depth=2
	ds_read_u16 v21, v47 offset:3072
	s_waitcnt lgkmcnt(0)
	v_cmp_ne_u16_e64 s[52:53], s7, v21
	v_cndmask_b32_e64 v21, v65, v21, s[52:53]
	v_lshrrev_b32_sdwa v21, s77, v21 dst_sel:DWORD dst_unused:UNUSED_PAD src0_sel:DWORD src1_sel:WORD_0
	v_and_b32_e32 v90, s63, v21
	s_or_b64 exec, exec, s[60:61]
	s_and_saveexec_b64 s[60:61], s[46:47]
	s_cbranch_execz .LBB2054_627
.LBB2054_661:                           ;   in Loop: Header=BB2054_558 Depth=2
	ds_read_u16 v21, v47 offset:3584
	s_waitcnt lgkmcnt(0)
	v_cmp_ne_u16_e64 s[52:53], s7, v21
	v_cndmask_b32_e64 v21, v65, v21, s[52:53]
	v_lshrrev_b32_sdwa v21, s77, v21 dst_sel:DWORD dst_unused:UNUSED_PAD src0_sel:DWORD src1_sel:WORD_0
	v_and_b32_e32 v89, s63, v21
	s_or_b64 exec, exec, s[60:61]
	s_and_saveexec_b64 s[60:61], s[48:49]
	s_cbranch_execz .LBB2054_628
.LBB2054_662:                           ;   in Loop: Header=BB2054_558 Depth=2
	ds_read_u16 v21, v47 offset:4096
	s_waitcnt lgkmcnt(0)
	v_cmp_ne_u16_e64 s[52:53], s7, v21
	v_cndmask_b32_e64 v21, v65, v21, s[52:53]
	v_lshrrev_b32_sdwa v21, s77, v21 dst_sel:DWORD dst_unused:UNUSED_PAD src0_sel:DWORD src1_sel:WORD_0
	v_and_b32_e32 v88, s63, v21
	s_or_b64 exec, exec, s[60:61]
	s_and_saveexec_b64 s[60:61], s[50:51]
	s_cbranch_execnz .LBB2054_629
	s_branch .LBB2054_630
.LBB2054_663:                           ;   in Loop: Header=BB2054_558 Depth=2
	v_lshlrev_b32_e32 v22, 2, v95
	ds_read_b32 v24, v22
	ds_read_b64 v[22:23], v21 offset:1024
	v_mov_b32_e32 v97, v3
	v_mov_b32_e32 v98, s75
	s_waitcnt lgkmcnt(1)
	v_add_u32_e32 v96, v24, v0
	v_lshlrev_b64 v[96:97], 3, v[96:97]
	v_add_co_u32_e32 v96, vcc, s74, v96
	v_addc_co_u32_e32 v97, vcc, v98, v97, vcc
	s_waitcnt lgkmcnt(0)
	global_store_dwordx2 v[96:97], v[22:23], off
	s_or_b64 exec, exec, s[52:53]
	s_and_saveexec_b64 s[52:53], s[38:39]
	s_cbranch_execz .LBB2054_632
.LBB2054_664:                           ;   in Loop: Header=BB2054_558 Depth=2
	v_lshlrev_b32_e32 v22, 2, v94
	ds_read_b32 v24, v22
	ds_read_b64 v[22:23], v21 offset:3072
	v_mov_b32_e32 v97, v3
	v_mov_b32_e32 v98, s75
	s_waitcnt lgkmcnt(1)
	v_add_u32_e32 v96, v24, v26
	v_lshlrev_b64 v[96:97], 3, v[96:97]
	v_add_co_u32_e32 v96, vcc, s74, v96
	v_addc_co_u32_e32 v97, vcc, v98, v97, vcc
	s_waitcnt lgkmcnt(0)
	global_store_dwordx2 v[96:97], v[22:23], off
	s_or_b64 exec, exec, s[52:53]
	s_and_saveexec_b64 s[38:39], s[40:41]
	s_cbranch_execz .LBB2054_633
.LBB2054_665:                           ;   in Loop: Header=BB2054_558 Depth=2
	v_lshlrev_b32_e32 v22, 2, v93
	ds_read_b32 v24, v22
	ds_read_b64 v[22:23], v21 offset:5120
	v_mov_b32_e32 v97, v3
	v_mov_b32_e32 v98, s75
	s_waitcnt lgkmcnt(1)
	v_add_u32_e32 v96, v24, v27
	v_lshlrev_b64 v[96:97], 3, v[96:97]
	v_add_co_u32_e32 v96, vcc, s74, v96
	v_addc_co_u32_e32 v97, vcc, v98, v97, vcc
	s_waitcnt lgkmcnt(0)
	global_store_dwordx2 v[96:97], v[22:23], off
	s_or_b64 exec, exec, s[38:39]
	s_and_saveexec_b64 s[38:39], s[42:43]
	s_cbranch_execz .LBB2054_634
.LBB2054_666:                           ;   in Loop: Header=BB2054_558 Depth=2
	v_lshlrev_b32_e32 v22, 2, v92
	ds_read_b32 v24, v22
	ds_read_b64 v[22:23], v21 offset:7168
	v_mov_b32_e32 v97, v3
	v_mov_b32_e32 v98, s75
	s_waitcnt lgkmcnt(1)
	v_add_u32_e32 v96, v24, v28
	v_lshlrev_b64 v[96:97], 3, v[96:97]
	v_add_co_u32_e32 v96, vcc, s74, v96
	v_addc_co_u32_e32 v97, vcc, v98, v97, vcc
	s_waitcnt lgkmcnt(0)
	global_store_dwordx2 v[96:97], v[22:23], off
	s_or_b64 exec, exec, s[38:39]
	s_and_saveexec_b64 s[38:39], s[44:45]
	s_cbranch_execz .LBB2054_635
.LBB2054_667:                           ;   in Loop: Header=BB2054_558 Depth=2
	v_lshlrev_b32_e32 v22, 2, v90
	ds_read_b32 v24, v22
	ds_read_b64 v[22:23], v21 offset:9216
	v_mov_b32_e32 v97, v3
	v_mov_b32_e32 v98, s75
	s_waitcnt lgkmcnt(1)
	v_add_u32_e32 v96, v24, v31
	v_lshlrev_b64 v[96:97], 3, v[96:97]
	v_add_co_u32_e32 v96, vcc, s74, v96
	v_addc_co_u32_e32 v97, vcc, v98, v97, vcc
	s_waitcnt lgkmcnt(0)
	global_store_dwordx2 v[96:97], v[22:23], off
	s_or_b64 exec, exec, s[38:39]
	s_and_saveexec_b64 s[38:39], s[46:47]
	s_cbranch_execz .LBB2054_636
.LBB2054_668:                           ;   in Loop: Header=BB2054_558 Depth=2
	v_lshlrev_b32_e32 v22, 2, v89
	ds_read_b32 v24, v22
	ds_read_b64 v[22:23], v21 offset:11264
	v_mov_b32_e32 v97, v3
	v_mov_b32_e32 v98, s75
	s_waitcnt lgkmcnt(1)
	v_add_u32_e32 v96, v24, v32
	v_lshlrev_b64 v[96:97], 3, v[96:97]
	v_add_co_u32_e32 v96, vcc, s74, v96
	v_addc_co_u32_e32 v97, vcc, v98, v97, vcc
	s_waitcnt lgkmcnt(0)
	global_store_dwordx2 v[96:97], v[22:23], off
	s_or_b64 exec, exec, s[38:39]
	s_and_saveexec_b64 s[38:39], s[48:49]
	s_cbranch_execz .LBB2054_637
.LBB2054_669:                           ;   in Loop: Header=BB2054_558 Depth=2
	v_lshlrev_b32_e32 v22, 2, v88
	ds_read_b32 v24, v22
	ds_read_b64 v[22:23], v21 offset:13312
	v_mov_b32_e32 v97, v3
	v_mov_b32_e32 v98, s75
	s_waitcnt lgkmcnt(1)
	v_add_u32_e32 v96, v24, v33
	v_lshlrev_b64 v[96:97], 3, v[96:97]
	v_add_co_u32_e32 v96, vcc, s74, v96
	v_addc_co_u32_e32 v97, vcc, v98, v97, vcc
	s_waitcnt lgkmcnt(0)
	global_store_dwordx2 v[96:97], v[22:23], off
	s_or_b64 exec, exec, s[38:39]
	s_and_saveexec_b64 s[38:39], s[50:51]
	s_cbranch_execnz .LBB2054_638
	s_branch .LBB2054_639
.LBB2054_670:
	s_endpgm
	.section	.rodata,"a",@progbits
	.p2align	6, 0x0
	.amdhsa_kernel _ZN7rocprim17ROCPRIM_400000_NS6detail17trampoline_kernelINS0_14default_configENS1_36segmented_radix_sort_config_selectorI12hip_bfloat16lEEZNS1_25segmented_radix_sort_implIS3_Lb0EPKS5_PS5_PKlPlN2at6native12_GLOBAL__N_18offset_tEEE10hipError_tPvRmT1_PNSt15iterator_traitsISL_E10value_typeET2_T3_PNSM_ISR_E10value_typeET4_jRbjT5_SX_jjP12ihipStream_tbEUlT_E_NS1_11comp_targetILNS1_3genE2ELNS1_11target_archE906ELNS1_3gpuE6ELNS1_3repE0EEENS1_30default_config_static_selectorELNS0_4arch9wavefront6targetE1EEEvSL_
		.amdhsa_group_segment_fixed_size 17424
		.amdhsa_private_segment_fixed_size 0
		.amdhsa_kernarg_size 352
		.amdhsa_user_sgpr_count 6
		.amdhsa_user_sgpr_private_segment_buffer 1
		.amdhsa_user_sgpr_dispatch_ptr 0
		.amdhsa_user_sgpr_queue_ptr 0
		.amdhsa_user_sgpr_kernarg_segment_ptr 1
		.amdhsa_user_sgpr_dispatch_id 0
		.amdhsa_user_sgpr_flat_scratch_init 0
		.amdhsa_user_sgpr_private_segment_size 0
		.amdhsa_uses_dynamic_stack 0
		.amdhsa_system_sgpr_private_segment_wavefront_offset 0
		.amdhsa_system_sgpr_workgroup_id_x 1
		.amdhsa_system_sgpr_workgroup_id_y 1
		.amdhsa_system_sgpr_workgroup_id_z 0
		.amdhsa_system_sgpr_workgroup_info 0
		.amdhsa_system_vgpr_workitem_id 2
		.amdhsa_next_free_vgpr 195
		.amdhsa_next_free_sgpr 98
		.amdhsa_reserve_vcc 1
		.amdhsa_reserve_flat_scratch 0
		.amdhsa_float_round_mode_32 0
		.amdhsa_float_round_mode_16_64 0
		.amdhsa_float_denorm_mode_32 3
		.amdhsa_float_denorm_mode_16_64 3
		.amdhsa_dx10_clamp 1
		.amdhsa_ieee_mode 1
		.amdhsa_fp16_overflow 0
		.amdhsa_exception_fp_ieee_invalid_op 0
		.amdhsa_exception_fp_denorm_src 0
		.amdhsa_exception_fp_ieee_div_zero 0
		.amdhsa_exception_fp_ieee_overflow 0
		.amdhsa_exception_fp_ieee_underflow 0
		.amdhsa_exception_fp_ieee_inexact 0
		.amdhsa_exception_int_div_zero 0
	.end_amdhsa_kernel
	.section	.text._ZN7rocprim17ROCPRIM_400000_NS6detail17trampoline_kernelINS0_14default_configENS1_36segmented_radix_sort_config_selectorI12hip_bfloat16lEEZNS1_25segmented_radix_sort_implIS3_Lb0EPKS5_PS5_PKlPlN2at6native12_GLOBAL__N_18offset_tEEE10hipError_tPvRmT1_PNSt15iterator_traitsISL_E10value_typeET2_T3_PNSM_ISR_E10value_typeET4_jRbjT5_SX_jjP12ihipStream_tbEUlT_E_NS1_11comp_targetILNS1_3genE2ELNS1_11target_archE906ELNS1_3gpuE6ELNS1_3repE0EEENS1_30default_config_static_selectorELNS0_4arch9wavefront6targetE1EEEvSL_,"axG",@progbits,_ZN7rocprim17ROCPRIM_400000_NS6detail17trampoline_kernelINS0_14default_configENS1_36segmented_radix_sort_config_selectorI12hip_bfloat16lEEZNS1_25segmented_radix_sort_implIS3_Lb0EPKS5_PS5_PKlPlN2at6native12_GLOBAL__N_18offset_tEEE10hipError_tPvRmT1_PNSt15iterator_traitsISL_E10value_typeET2_T3_PNSM_ISR_E10value_typeET4_jRbjT5_SX_jjP12ihipStream_tbEUlT_E_NS1_11comp_targetILNS1_3genE2ELNS1_11target_archE906ELNS1_3gpuE6ELNS1_3repE0EEENS1_30default_config_static_selectorELNS0_4arch9wavefront6targetE1EEEvSL_,comdat
.Lfunc_end2054:
	.size	_ZN7rocprim17ROCPRIM_400000_NS6detail17trampoline_kernelINS0_14default_configENS1_36segmented_radix_sort_config_selectorI12hip_bfloat16lEEZNS1_25segmented_radix_sort_implIS3_Lb0EPKS5_PS5_PKlPlN2at6native12_GLOBAL__N_18offset_tEEE10hipError_tPvRmT1_PNSt15iterator_traitsISL_E10value_typeET2_T3_PNSM_ISR_E10value_typeET4_jRbjT5_SX_jjP12ihipStream_tbEUlT_E_NS1_11comp_targetILNS1_3genE2ELNS1_11target_archE906ELNS1_3gpuE6ELNS1_3repE0EEENS1_30default_config_static_selectorELNS0_4arch9wavefront6targetE1EEEvSL_, .Lfunc_end2054-_ZN7rocprim17ROCPRIM_400000_NS6detail17trampoline_kernelINS0_14default_configENS1_36segmented_radix_sort_config_selectorI12hip_bfloat16lEEZNS1_25segmented_radix_sort_implIS3_Lb0EPKS5_PS5_PKlPlN2at6native12_GLOBAL__N_18offset_tEEE10hipError_tPvRmT1_PNSt15iterator_traitsISL_E10value_typeET2_T3_PNSM_ISR_E10value_typeET4_jRbjT5_SX_jjP12ihipStream_tbEUlT_E_NS1_11comp_targetILNS1_3genE2ELNS1_11target_archE906ELNS1_3gpuE6ELNS1_3repE0EEENS1_30default_config_static_selectorELNS0_4arch9wavefront6targetE1EEEvSL_
                                        ; -- End function
	.set _ZN7rocprim17ROCPRIM_400000_NS6detail17trampoline_kernelINS0_14default_configENS1_36segmented_radix_sort_config_selectorI12hip_bfloat16lEEZNS1_25segmented_radix_sort_implIS3_Lb0EPKS5_PS5_PKlPlN2at6native12_GLOBAL__N_18offset_tEEE10hipError_tPvRmT1_PNSt15iterator_traitsISL_E10value_typeET2_T3_PNSM_ISR_E10value_typeET4_jRbjT5_SX_jjP12ihipStream_tbEUlT_E_NS1_11comp_targetILNS1_3genE2ELNS1_11target_archE906ELNS1_3gpuE6ELNS1_3repE0EEENS1_30default_config_static_selectorELNS0_4arch9wavefront6targetE1EEEvSL_.num_vgpr, max(130, .L_ZN7rocprim17ROCPRIM_400000_NS6detail40segmented_radix_sort_single_block_helperI12hip_bfloat16lLj256ELj8ELb0EE4sortIPKS3_PS3_PKlPlEEbT_T0_T1_T2_jjjjRNS4_12storage_typeE.num_vgpr)
	.set _ZN7rocprim17ROCPRIM_400000_NS6detail17trampoline_kernelINS0_14default_configENS1_36segmented_radix_sort_config_selectorI12hip_bfloat16lEEZNS1_25segmented_radix_sort_implIS3_Lb0EPKS5_PS5_PKlPlN2at6native12_GLOBAL__N_18offset_tEEE10hipError_tPvRmT1_PNSt15iterator_traitsISL_E10value_typeET2_T3_PNSM_ISR_E10value_typeET4_jRbjT5_SX_jjP12ihipStream_tbEUlT_E_NS1_11comp_targetILNS1_3genE2ELNS1_11target_archE906ELNS1_3gpuE6ELNS1_3repE0EEENS1_30default_config_static_selectorELNS0_4arch9wavefront6targetE1EEEvSL_.num_agpr, max(0, .L_ZN7rocprim17ROCPRIM_400000_NS6detail40segmented_radix_sort_single_block_helperI12hip_bfloat16lLj256ELj8ELb0EE4sortIPKS3_PS3_PKlPlEEbT_T0_T1_T2_jjjjRNS4_12storage_typeE.num_agpr)
	.set _ZN7rocprim17ROCPRIM_400000_NS6detail17trampoline_kernelINS0_14default_configENS1_36segmented_radix_sort_config_selectorI12hip_bfloat16lEEZNS1_25segmented_radix_sort_implIS3_Lb0EPKS5_PS5_PKlPlN2at6native12_GLOBAL__N_18offset_tEEE10hipError_tPvRmT1_PNSt15iterator_traitsISL_E10value_typeET2_T3_PNSM_ISR_E10value_typeET4_jRbjT5_SX_jjP12ihipStream_tbEUlT_E_NS1_11comp_targetILNS1_3genE2ELNS1_11target_archE906ELNS1_3gpuE6ELNS1_3repE0EEENS1_30default_config_static_selectorELNS0_4arch9wavefront6targetE1EEEvSL_.numbered_sgpr, max(82, .L_ZN7rocprim17ROCPRIM_400000_NS6detail40segmented_radix_sort_single_block_helperI12hip_bfloat16lLj256ELj8ELb0EE4sortIPKS3_PS3_PKlPlEEbT_T0_T1_T2_jjjjRNS4_12storage_typeE.numbered_sgpr)
	.set _ZN7rocprim17ROCPRIM_400000_NS6detail17trampoline_kernelINS0_14default_configENS1_36segmented_radix_sort_config_selectorI12hip_bfloat16lEEZNS1_25segmented_radix_sort_implIS3_Lb0EPKS5_PS5_PKlPlN2at6native12_GLOBAL__N_18offset_tEEE10hipError_tPvRmT1_PNSt15iterator_traitsISL_E10value_typeET2_T3_PNSM_ISR_E10value_typeET4_jRbjT5_SX_jjP12ihipStream_tbEUlT_E_NS1_11comp_targetILNS1_3genE2ELNS1_11target_archE906ELNS1_3gpuE6ELNS1_3repE0EEENS1_30default_config_static_selectorELNS0_4arch9wavefront6targetE1EEEvSL_.num_named_barrier, max(0, .L_ZN7rocprim17ROCPRIM_400000_NS6detail40segmented_radix_sort_single_block_helperI12hip_bfloat16lLj256ELj8ELb0EE4sortIPKS3_PS3_PKlPlEEbT_T0_T1_T2_jjjjRNS4_12storage_typeE.num_named_barrier)
	.set _ZN7rocprim17ROCPRIM_400000_NS6detail17trampoline_kernelINS0_14default_configENS1_36segmented_radix_sort_config_selectorI12hip_bfloat16lEEZNS1_25segmented_radix_sort_implIS3_Lb0EPKS5_PS5_PKlPlN2at6native12_GLOBAL__N_18offset_tEEE10hipError_tPvRmT1_PNSt15iterator_traitsISL_E10value_typeET2_T3_PNSM_ISR_E10value_typeET4_jRbjT5_SX_jjP12ihipStream_tbEUlT_E_NS1_11comp_targetILNS1_3genE2ELNS1_11target_archE906ELNS1_3gpuE6ELNS1_3repE0EEENS1_30default_config_static_selectorELNS0_4arch9wavefront6targetE1EEEvSL_.private_seg_size, 0+max(.L_ZN7rocprim17ROCPRIM_400000_NS6detail40segmented_radix_sort_single_block_helperI12hip_bfloat16lLj256ELj8ELb0EE4sortIPKS3_PS3_PKlPlEEbT_T0_T1_T2_jjjjRNS4_12storage_typeE.private_seg_size)
	.set _ZN7rocprim17ROCPRIM_400000_NS6detail17trampoline_kernelINS0_14default_configENS1_36segmented_radix_sort_config_selectorI12hip_bfloat16lEEZNS1_25segmented_radix_sort_implIS3_Lb0EPKS5_PS5_PKlPlN2at6native12_GLOBAL__N_18offset_tEEE10hipError_tPvRmT1_PNSt15iterator_traitsISL_E10value_typeET2_T3_PNSM_ISR_E10value_typeET4_jRbjT5_SX_jjP12ihipStream_tbEUlT_E_NS1_11comp_targetILNS1_3genE2ELNS1_11target_archE906ELNS1_3gpuE6ELNS1_3repE0EEENS1_30default_config_static_selectorELNS0_4arch9wavefront6targetE1EEEvSL_.uses_vcc, or(1, .L_ZN7rocprim17ROCPRIM_400000_NS6detail40segmented_radix_sort_single_block_helperI12hip_bfloat16lLj256ELj8ELb0EE4sortIPKS3_PS3_PKlPlEEbT_T0_T1_T2_jjjjRNS4_12storage_typeE.uses_vcc)
	.set _ZN7rocprim17ROCPRIM_400000_NS6detail17trampoline_kernelINS0_14default_configENS1_36segmented_radix_sort_config_selectorI12hip_bfloat16lEEZNS1_25segmented_radix_sort_implIS3_Lb0EPKS5_PS5_PKlPlN2at6native12_GLOBAL__N_18offset_tEEE10hipError_tPvRmT1_PNSt15iterator_traitsISL_E10value_typeET2_T3_PNSM_ISR_E10value_typeET4_jRbjT5_SX_jjP12ihipStream_tbEUlT_E_NS1_11comp_targetILNS1_3genE2ELNS1_11target_archE906ELNS1_3gpuE6ELNS1_3repE0EEENS1_30default_config_static_selectorELNS0_4arch9wavefront6targetE1EEEvSL_.uses_flat_scratch, or(0, .L_ZN7rocprim17ROCPRIM_400000_NS6detail40segmented_radix_sort_single_block_helperI12hip_bfloat16lLj256ELj8ELb0EE4sortIPKS3_PS3_PKlPlEEbT_T0_T1_T2_jjjjRNS4_12storage_typeE.uses_flat_scratch)
	.set _ZN7rocprim17ROCPRIM_400000_NS6detail17trampoline_kernelINS0_14default_configENS1_36segmented_radix_sort_config_selectorI12hip_bfloat16lEEZNS1_25segmented_radix_sort_implIS3_Lb0EPKS5_PS5_PKlPlN2at6native12_GLOBAL__N_18offset_tEEE10hipError_tPvRmT1_PNSt15iterator_traitsISL_E10value_typeET2_T3_PNSM_ISR_E10value_typeET4_jRbjT5_SX_jjP12ihipStream_tbEUlT_E_NS1_11comp_targetILNS1_3genE2ELNS1_11target_archE906ELNS1_3gpuE6ELNS1_3repE0EEENS1_30default_config_static_selectorELNS0_4arch9wavefront6targetE1EEEvSL_.has_dyn_sized_stack, or(0, .L_ZN7rocprim17ROCPRIM_400000_NS6detail40segmented_radix_sort_single_block_helperI12hip_bfloat16lLj256ELj8ELb0EE4sortIPKS3_PS3_PKlPlEEbT_T0_T1_T2_jjjjRNS4_12storage_typeE.has_dyn_sized_stack)
	.set _ZN7rocprim17ROCPRIM_400000_NS6detail17trampoline_kernelINS0_14default_configENS1_36segmented_radix_sort_config_selectorI12hip_bfloat16lEEZNS1_25segmented_radix_sort_implIS3_Lb0EPKS5_PS5_PKlPlN2at6native12_GLOBAL__N_18offset_tEEE10hipError_tPvRmT1_PNSt15iterator_traitsISL_E10value_typeET2_T3_PNSM_ISR_E10value_typeET4_jRbjT5_SX_jjP12ihipStream_tbEUlT_E_NS1_11comp_targetILNS1_3genE2ELNS1_11target_archE906ELNS1_3gpuE6ELNS1_3repE0EEENS1_30default_config_static_selectorELNS0_4arch9wavefront6targetE1EEEvSL_.has_recursion, or(0, .L_ZN7rocprim17ROCPRIM_400000_NS6detail40segmented_radix_sort_single_block_helperI12hip_bfloat16lLj256ELj8ELb0EE4sortIPKS3_PS3_PKlPlEEbT_T0_T1_T2_jjjjRNS4_12storage_typeE.has_recursion)
	.set _ZN7rocprim17ROCPRIM_400000_NS6detail17trampoline_kernelINS0_14default_configENS1_36segmented_radix_sort_config_selectorI12hip_bfloat16lEEZNS1_25segmented_radix_sort_implIS3_Lb0EPKS5_PS5_PKlPlN2at6native12_GLOBAL__N_18offset_tEEE10hipError_tPvRmT1_PNSt15iterator_traitsISL_E10value_typeET2_T3_PNSM_ISR_E10value_typeET4_jRbjT5_SX_jjP12ihipStream_tbEUlT_E_NS1_11comp_targetILNS1_3genE2ELNS1_11target_archE906ELNS1_3gpuE6ELNS1_3repE0EEENS1_30default_config_static_selectorELNS0_4arch9wavefront6targetE1EEEvSL_.has_indirect_call, or(0, .L_ZN7rocprim17ROCPRIM_400000_NS6detail40segmented_radix_sort_single_block_helperI12hip_bfloat16lLj256ELj8ELb0EE4sortIPKS3_PS3_PKlPlEEbT_T0_T1_T2_jjjjRNS4_12storage_typeE.has_indirect_call)
	.section	.AMDGPU.csdata,"",@progbits
; Kernel info:
; codeLenInByte = 37580
; TotalNumSgprs: 86
; NumVgprs: 195
; ScratchSize: 0
; MemoryBound: 0
; FloatMode: 240
; IeeeMode: 1
; LDSByteSize: 17424 bytes/workgroup (compile time only)
; SGPRBlocks: 12
; VGPRBlocks: 48
; NumSGPRsForWavesPerEU: 102
; NumVGPRsForWavesPerEU: 195
; Occupancy: 1
; WaveLimiterHint : 1
; COMPUTE_PGM_RSRC2:SCRATCH_EN: 0
; COMPUTE_PGM_RSRC2:USER_SGPR: 6
; COMPUTE_PGM_RSRC2:TRAP_HANDLER: 0
; COMPUTE_PGM_RSRC2:TGID_X_EN: 1
; COMPUTE_PGM_RSRC2:TGID_Y_EN: 1
; COMPUTE_PGM_RSRC2:TGID_Z_EN: 0
; COMPUTE_PGM_RSRC2:TIDIG_COMP_CNT: 2
	.section	.text._ZN7rocprim17ROCPRIM_400000_NS6detail17trampoline_kernelINS0_14default_configENS1_36segmented_radix_sort_config_selectorI12hip_bfloat16lEEZNS1_25segmented_radix_sort_implIS3_Lb0EPKS5_PS5_PKlPlN2at6native12_GLOBAL__N_18offset_tEEE10hipError_tPvRmT1_PNSt15iterator_traitsISL_E10value_typeET2_T3_PNSM_ISR_E10value_typeET4_jRbjT5_SX_jjP12ihipStream_tbEUlT_E_NS1_11comp_targetILNS1_3genE10ELNS1_11target_archE1201ELNS1_3gpuE5ELNS1_3repE0EEENS1_30default_config_static_selectorELNS0_4arch9wavefront6targetE1EEEvSL_,"axG",@progbits,_ZN7rocprim17ROCPRIM_400000_NS6detail17trampoline_kernelINS0_14default_configENS1_36segmented_radix_sort_config_selectorI12hip_bfloat16lEEZNS1_25segmented_radix_sort_implIS3_Lb0EPKS5_PS5_PKlPlN2at6native12_GLOBAL__N_18offset_tEEE10hipError_tPvRmT1_PNSt15iterator_traitsISL_E10value_typeET2_T3_PNSM_ISR_E10value_typeET4_jRbjT5_SX_jjP12ihipStream_tbEUlT_E_NS1_11comp_targetILNS1_3genE10ELNS1_11target_archE1201ELNS1_3gpuE5ELNS1_3repE0EEENS1_30default_config_static_selectorELNS0_4arch9wavefront6targetE1EEEvSL_,comdat
	.globl	_ZN7rocprim17ROCPRIM_400000_NS6detail17trampoline_kernelINS0_14default_configENS1_36segmented_radix_sort_config_selectorI12hip_bfloat16lEEZNS1_25segmented_radix_sort_implIS3_Lb0EPKS5_PS5_PKlPlN2at6native12_GLOBAL__N_18offset_tEEE10hipError_tPvRmT1_PNSt15iterator_traitsISL_E10value_typeET2_T3_PNSM_ISR_E10value_typeET4_jRbjT5_SX_jjP12ihipStream_tbEUlT_E_NS1_11comp_targetILNS1_3genE10ELNS1_11target_archE1201ELNS1_3gpuE5ELNS1_3repE0EEENS1_30default_config_static_selectorELNS0_4arch9wavefront6targetE1EEEvSL_ ; -- Begin function _ZN7rocprim17ROCPRIM_400000_NS6detail17trampoline_kernelINS0_14default_configENS1_36segmented_radix_sort_config_selectorI12hip_bfloat16lEEZNS1_25segmented_radix_sort_implIS3_Lb0EPKS5_PS5_PKlPlN2at6native12_GLOBAL__N_18offset_tEEE10hipError_tPvRmT1_PNSt15iterator_traitsISL_E10value_typeET2_T3_PNSM_ISR_E10value_typeET4_jRbjT5_SX_jjP12ihipStream_tbEUlT_E_NS1_11comp_targetILNS1_3genE10ELNS1_11target_archE1201ELNS1_3gpuE5ELNS1_3repE0EEENS1_30default_config_static_selectorELNS0_4arch9wavefront6targetE1EEEvSL_
	.p2align	8
	.type	_ZN7rocprim17ROCPRIM_400000_NS6detail17trampoline_kernelINS0_14default_configENS1_36segmented_radix_sort_config_selectorI12hip_bfloat16lEEZNS1_25segmented_radix_sort_implIS3_Lb0EPKS5_PS5_PKlPlN2at6native12_GLOBAL__N_18offset_tEEE10hipError_tPvRmT1_PNSt15iterator_traitsISL_E10value_typeET2_T3_PNSM_ISR_E10value_typeET4_jRbjT5_SX_jjP12ihipStream_tbEUlT_E_NS1_11comp_targetILNS1_3genE10ELNS1_11target_archE1201ELNS1_3gpuE5ELNS1_3repE0EEENS1_30default_config_static_selectorELNS0_4arch9wavefront6targetE1EEEvSL_,@function
_ZN7rocprim17ROCPRIM_400000_NS6detail17trampoline_kernelINS0_14default_configENS1_36segmented_radix_sort_config_selectorI12hip_bfloat16lEEZNS1_25segmented_radix_sort_implIS3_Lb0EPKS5_PS5_PKlPlN2at6native12_GLOBAL__N_18offset_tEEE10hipError_tPvRmT1_PNSt15iterator_traitsISL_E10value_typeET2_T3_PNSM_ISR_E10value_typeET4_jRbjT5_SX_jjP12ihipStream_tbEUlT_E_NS1_11comp_targetILNS1_3genE10ELNS1_11target_archE1201ELNS1_3gpuE5ELNS1_3repE0EEENS1_30default_config_static_selectorELNS0_4arch9wavefront6targetE1EEEvSL_: ; @_ZN7rocprim17ROCPRIM_400000_NS6detail17trampoline_kernelINS0_14default_configENS1_36segmented_radix_sort_config_selectorI12hip_bfloat16lEEZNS1_25segmented_radix_sort_implIS3_Lb0EPKS5_PS5_PKlPlN2at6native12_GLOBAL__N_18offset_tEEE10hipError_tPvRmT1_PNSt15iterator_traitsISL_E10value_typeET2_T3_PNSM_ISR_E10value_typeET4_jRbjT5_SX_jjP12ihipStream_tbEUlT_E_NS1_11comp_targetILNS1_3genE10ELNS1_11target_archE1201ELNS1_3gpuE5ELNS1_3repE0EEENS1_30default_config_static_selectorELNS0_4arch9wavefront6targetE1EEEvSL_
; %bb.0:
	.section	.rodata,"a",@progbits
	.p2align	6, 0x0
	.amdhsa_kernel _ZN7rocprim17ROCPRIM_400000_NS6detail17trampoline_kernelINS0_14default_configENS1_36segmented_radix_sort_config_selectorI12hip_bfloat16lEEZNS1_25segmented_radix_sort_implIS3_Lb0EPKS5_PS5_PKlPlN2at6native12_GLOBAL__N_18offset_tEEE10hipError_tPvRmT1_PNSt15iterator_traitsISL_E10value_typeET2_T3_PNSM_ISR_E10value_typeET4_jRbjT5_SX_jjP12ihipStream_tbEUlT_E_NS1_11comp_targetILNS1_3genE10ELNS1_11target_archE1201ELNS1_3gpuE5ELNS1_3repE0EEENS1_30default_config_static_selectorELNS0_4arch9wavefront6targetE1EEEvSL_
		.amdhsa_group_segment_fixed_size 0
		.amdhsa_private_segment_fixed_size 0
		.amdhsa_kernarg_size 96
		.amdhsa_user_sgpr_count 6
		.amdhsa_user_sgpr_private_segment_buffer 1
		.amdhsa_user_sgpr_dispatch_ptr 0
		.amdhsa_user_sgpr_queue_ptr 0
		.amdhsa_user_sgpr_kernarg_segment_ptr 1
		.amdhsa_user_sgpr_dispatch_id 0
		.amdhsa_user_sgpr_flat_scratch_init 0
		.amdhsa_user_sgpr_private_segment_size 0
		.amdhsa_uses_dynamic_stack 0
		.amdhsa_system_sgpr_private_segment_wavefront_offset 0
		.amdhsa_system_sgpr_workgroup_id_x 1
		.amdhsa_system_sgpr_workgroup_id_y 0
		.amdhsa_system_sgpr_workgroup_id_z 0
		.amdhsa_system_sgpr_workgroup_info 0
		.amdhsa_system_vgpr_workitem_id 0
		.amdhsa_next_free_vgpr 1
		.amdhsa_next_free_sgpr 0
		.amdhsa_reserve_vcc 0
		.amdhsa_reserve_flat_scratch 0
		.amdhsa_float_round_mode_32 0
		.amdhsa_float_round_mode_16_64 0
		.amdhsa_float_denorm_mode_32 3
		.amdhsa_float_denorm_mode_16_64 3
		.amdhsa_dx10_clamp 1
		.amdhsa_ieee_mode 1
		.amdhsa_fp16_overflow 0
		.amdhsa_exception_fp_ieee_invalid_op 0
		.amdhsa_exception_fp_denorm_src 0
		.amdhsa_exception_fp_ieee_div_zero 0
		.amdhsa_exception_fp_ieee_overflow 0
		.amdhsa_exception_fp_ieee_underflow 0
		.amdhsa_exception_fp_ieee_inexact 0
		.amdhsa_exception_int_div_zero 0
	.end_amdhsa_kernel
	.section	.text._ZN7rocprim17ROCPRIM_400000_NS6detail17trampoline_kernelINS0_14default_configENS1_36segmented_radix_sort_config_selectorI12hip_bfloat16lEEZNS1_25segmented_radix_sort_implIS3_Lb0EPKS5_PS5_PKlPlN2at6native12_GLOBAL__N_18offset_tEEE10hipError_tPvRmT1_PNSt15iterator_traitsISL_E10value_typeET2_T3_PNSM_ISR_E10value_typeET4_jRbjT5_SX_jjP12ihipStream_tbEUlT_E_NS1_11comp_targetILNS1_3genE10ELNS1_11target_archE1201ELNS1_3gpuE5ELNS1_3repE0EEENS1_30default_config_static_selectorELNS0_4arch9wavefront6targetE1EEEvSL_,"axG",@progbits,_ZN7rocprim17ROCPRIM_400000_NS6detail17trampoline_kernelINS0_14default_configENS1_36segmented_radix_sort_config_selectorI12hip_bfloat16lEEZNS1_25segmented_radix_sort_implIS3_Lb0EPKS5_PS5_PKlPlN2at6native12_GLOBAL__N_18offset_tEEE10hipError_tPvRmT1_PNSt15iterator_traitsISL_E10value_typeET2_T3_PNSM_ISR_E10value_typeET4_jRbjT5_SX_jjP12ihipStream_tbEUlT_E_NS1_11comp_targetILNS1_3genE10ELNS1_11target_archE1201ELNS1_3gpuE5ELNS1_3repE0EEENS1_30default_config_static_selectorELNS0_4arch9wavefront6targetE1EEEvSL_,comdat
.Lfunc_end2055:
	.size	_ZN7rocprim17ROCPRIM_400000_NS6detail17trampoline_kernelINS0_14default_configENS1_36segmented_radix_sort_config_selectorI12hip_bfloat16lEEZNS1_25segmented_radix_sort_implIS3_Lb0EPKS5_PS5_PKlPlN2at6native12_GLOBAL__N_18offset_tEEE10hipError_tPvRmT1_PNSt15iterator_traitsISL_E10value_typeET2_T3_PNSM_ISR_E10value_typeET4_jRbjT5_SX_jjP12ihipStream_tbEUlT_E_NS1_11comp_targetILNS1_3genE10ELNS1_11target_archE1201ELNS1_3gpuE5ELNS1_3repE0EEENS1_30default_config_static_selectorELNS0_4arch9wavefront6targetE1EEEvSL_, .Lfunc_end2055-_ZN7rocprim17ROCPRIM_400000_NS6detail17trampoline_kernelINS0_14default_configENS1_36segmented_radix_sort_config_selectorI12hip_bfloat16lEEZNS1_25segmented_radix_sort_implIS3_Lb0EPKS5_PS5_PKlPlN2at6native12_GLOBAL__N_18offset_tEEE10hipError_tPvRmT1_PNSt15iterator_traitsISL_E10value_typeET2_T3_PNSM_ISR_E10value_typeET4_jRbjT5_SX_jjP12ihipStream_tbEUlT_E_NS1_11comp_targetILNS1_3genE10ELNS1_11target_archE1201ELNS1_3gpuE5ELNS1_3repE0EEENS1_30default_config_static_selectorELNS0_4arch9wavefront6targetE1EEEvSL_
                                        ; -- End function
	.set _ZN7rocprim17ROCPRIM_400000_NS6detail17trampoline_kernelINS0_14default_configENS1_36segmented_radix_sort_config_selectorI12hip_bfloat16lEEZNS1_25segmented_radix_sort_implIS3_Lb0EPKS5_PS5_PKlPlN2at6native12_GLOBAL__N_18offset_tEEE10hipError_tPvRmT1_PNSt15iterator_traitsISL_E10value_typeET2_T3_PNSM_ISR_E10value_typeET4_jRbjT5_SX_jjP12ihipStream_tbEUlT_E_NS1_11comp_targetILNS1_3genE10ELNS1_11target_archE1201ELNS1_3gpuE5ELNS1_3repE0EEENS1_30default_config_static_selectorELNS0_4arch9wavefront6targetE1EEEvSL_.num_vgpr, 0
	.set _ZN7rocprim17ROCPRIM_400000_NS6detail17trampoline_kernelINS0_14default_configENS1_36segmented_radix_sort_config_selectorI12hip_bfloat16lEEZNS1_25segmented_radix_sort_implIS3_Lb0EPKS5_PS5_PKlPlN2at6native12_GLOBAL__N_18offset_tEEE10hipError_tPvRmT1_PNSt15iterator_traitsISL_E10value_typeET2_T3_PNSM_ISR_E10value_typeET4_jRbjT5_SX_jjP12ihipStream_tbEUlT_E_NS1_11comp_targetILNS1_3genE10ELNS1_11target_archE1201ELNS1_3gpuE5ELNS1_3repE0EEENS1_30default_config_static_selectorELNS0_4arch9wavefront6targetE1EEEvSL_.num_agpr, 0
	.set _ZN7rocprim17ROCPRIM_400000_NS6detail17trampoline_kernelINS0_14default_configENS1_36segmented_radix_sort_config_selectorI12hip_bfloat16lEEZNS1_25segmented_radix_sort_implIS3_Lb0EPKS5_PS5_PKlPlN2at6native12_GLOBAL__N_18offset_tEEE10hipError_tPvRmT1_PNSt15iterator_traitsISL_E10value_typeET2_T3_PNSM_ISR_E10value_typeET4_jRbjT5_SX_jjP12ihipStream_tbEUlT_E_NS1_11comp_targetILNS1_3genE10ELNS1_11target_archE1201ELNS1_3gpuE5ELNS1_3repE0EEENS1_30default_config_static_selectorELNS0_4arch9wavefront6targetE1EEEvSL_.numbered_sgpr, 0
	.set _ZN7rocprim17ROCPRIM_400000_NS6detail17trampoline_kernelINS0_14default_configENS1_36segmented_radix_sort_config_selectorI12hip_bfloat16lEEZNS1_25segmented_radix_sort_implIS3_Lb0EPKS5_PS5_PKlPlN2at6native12_GLOBAL__N_18offset_tEEE10hipError_tPvRmT1_PNSt15iterator_traitsISL_E10value_typeET2_T3_PNSM_ISR_E10value_typeET4_jRbjT5_SX_jjP12ihipStream_tbEUlT_E_NS1_11comp_targetILNS1_3genE10ELNS1_11target_archE1201ELNS1_3gpuE5ELNS1_3repE0EEENS1_30default_config_static_selectorELNS0_4arch9wavefront6targetE1EEEvSL_.num_named_barrier, 0
	.set _ZN7rocprim17ROCPRIM_400000_NS6detail17trampoline_kernelINS0_14default_configENS1_36segmented_radix_sort_config_selectorI12hip_bfloat16lEEZNS1_25segmented_radix_sort_implIS3_Lb0EPKS5_PS5_PKlPlN2at6native12_GLOBAL__N_18offset_tEEE10hipError_tPvRmT1_PNSt15iterator_traitsISL_E10value_typeET2_T3_PNSM_ISR_E10value_typeET4_jRbjT5_SX_jjP12ihipStream_tbEUlT_E_NS1_11comp_targetILNS1_3genE10ELNS1_11target_archE1201ELNS1_3gpuE5ELNS1_3repE0EEENS1_30default_config_static_selectorELNS0_4arch9wavefront6targetE1EEEvSL_.private_seg_size, 0
	.set _ZN7rocprim17ROCPRIM_400000_NS6detail17trampoline_kernelINS0_14default_configENS1_36segmented_radix_sort_config_selectorI12hip_bfloat16lEEZNS1_25segmented_radix_sort_implIS3_Lb0EPKS5_PS5_PKlPlN2at6native12_GLOBAL__N_18offset_tEEE10hipError_tPvRmT1_PNSt15iterator_traitsISL_E10value_typeET2_T3_PNSM_ISR_E10value_typeET4_jRbjT5_SX_jjP12ihipStream_tbEUlT_E_NS1_11comp_targetILNS1_3genE10ELNS1_11target_archE1201ELNS1_3gpuE5ELNS1_3repE0EEENS1_30default_config_static_selectorELNS0_4arch9wavefront6targetE1EEEvSL_.uses_vcc, 0
	.set _ZN7rocprim17ROCPRIM_400000_NS6detail17trampoline_kernelINS0_14default_configENS1_36segmented_radix_sort_config_selectorI12hip_bfloat16lEEZNS1_25segmented_radix_sort_implIS3_Lb0EPKS5_PS5_PKlPlN2at6native12_GLOBAL__N_18offset_tEEE10hipError_tPvRmT1_PNSt15iterator_traitsISL_E10value_typeET2_T3_PNSM_ISR_E10value_typeET4_jRbjT5_SX_jjP12ihipStream_tbEUlT_E_NS1_11comp_targetILNS1_3genE10ELNS1_11target_archE1201ELNS1_3gpuE5ELNS1_3repE0EEENS1_30default_config_static_selectorELNS0_4arch9wavefront6targetE1EEEvSL_.uses_flat_scratch, 0
	.set _ZN7rocprim17ROCPRIM_400000_NS6detail17trampoline_kernelINS0_14default_configENS1_36segmented_radix_sort_config_selectorI12hip_bfloat16lEEZNS1_25segmented_radix_sort_implIS3_Lb0EPKS5_PS5_PKlPlN2at6native12_GLOBAL__N_18offset_tEEE10hipError_tPvRmT1_PNSt15iterator_traitsISL_E10value_typeET2_T3_PNSM_ISR_E10value_typeET4_jRbjT5_SX_jjP12ihipStream_tbEUlT_E_NS1_11comp_targetILNS1_3genE10ELNS1_11target_archE1201ELNS1_3gpuE5ELNS1_3repE0EEENS1_30default_config_static_selectorELNS0_4arch9wavefront6targetE1EEEvSL_.has_dyn_sized_stack, 0
	.set _ZN7rocprim17ROCPRIM_400000_NS6detail17trampoline_kernelINS0_14default_configENS1_36segmented_radix_sort_config_selectorI12hip_bfloat16lEEZNS1_25segmented_radix_sort_implIS3_Lb0EPKS5_PS5_PKlPlN2at6native12_GLOBAL__N_18offset_tEEE10hipError_tPvRmT1_PNSt15iterator_traitsISL_E10value_typeET2_T3_PNSM_ISR_E10value_typeET4_jRbjT5_SX_jjP12ihipStream_tbEUlT_E_NS1_11comp_targetILNS1_3genE10ELNS1_11target_archE1201ELNS1_3gpuE5ELNS1_3repE0EEENS1_30default_config_static_selectorELNS0_4arch9wavefront6targetE1EEEvSL_.has_recursion, 0
	.set _ZN7rocprim17ROCPRIM_400000_NS6detail17trampoline_kernelINS0_14default_configENS1_36segmented_radix_sort_config_selectorI12hip_bfloat16lEEZNS1_25segmented_radix_sort_implIS3_Lb0EPKS5_PS5_PKlPlN2at6native12_GLOBAL__N_18offset_tEEE10hipError_tPvRmT1_PNSt15iterator_traitsISL_E10value_typeET2_T3_PNSM_ISR_E10value_typeET4_jRbjT5_SX_jjP12ihipStream_tbEUlT_E_NS1_11comp_targetILNS1_3genE10ELNS1_11target_archE1201ELNS1_3gpuE5ELNS1_3repE0EEENS1_30default_config_static_selectorELNS0_4arch9wavefront6targetE1EEEvSL_.has_indirect_call, 0
	.section	.AMDGPU.csdata,"",@progbits
; Kernel info:
; codeLenInByte = 0
; TotalNumSgprs: 4
; NumVgprs: 0
; ScratchSize: 0
; MemoryBound: 0
; FloatMode: 240
; IeeeMode: 1
; LDSByteSize: 0 bytes/workgroup (compile time only)
; SGPRBlocks: 0
; VGPRBlocks: 0
; NumSGPRsForWavesPerEU: 4
; NumVGPRsForWavesPerEU: 1
; Occupancy: 10
; WaveLimiterHint : 0
; COMPUTE_PGM_RSRC2:SCRATCH_EN: 0
; COMPUTE_PGM_RSRC2:USER_SGPR: 6
; COMPUTE_PGM_RSRC2:TRAP_HANDLER: 0
; COMPUTE_PGM_RSRC2:TGID_X_EN: 1
; COMPUTE_PGM_RSRC2:TGID_Y_EN: 0
; COMPUTE_PGM_RSRC2:TGID_Z_EN: 0
; COMPUTE_PGM_RSRC2:TIDIG_COMP_CNT: 0
	.section	.text._ZN7rocprim17ROCPRIM_400000_NS6detail17trampoline_kernelINS0_14default_configENS1_36segmented_radix_sort_config_selectorI12hip_bfloat16lEEZNS1_25segmented_radix_sort_implIS3_Lb0EPKS5_PS5_PKlPlN2at6native12_GLOBAL__N_18offset_tEEE10hipError_tPvRmT1_PNSt15iterator_traitsISL_E10value_typeET2_T3_PNSM_ISR_E10value_typeET4_jRbjT5_SX_jjP12ihipStream_tbEUlT_E_NS1_11comp_targetILNS1_3genE10ELNS1_11target_archE1200ELNS1_3gpuE4ELNS1_3repE0EEENS1_30default_config_static_selectorELNS0_4arch9wavefront6targetE1EEEvSL_,"axG",@progbits,_ZN7rocprim17ROCPRIM_400000_NS6detail17trampoline_kernelINS0_14default_configENS1_36segmented_radix_sort_config_selectorI12hip_bfloat16lEEZNS1_25segmented_radix_sort_implIS3_Lb0EPKS5_PS5_PKlPlN2at6native12_GLOBAL__N_18offset_tEEE10hipError_tPvRmT1_PNSt15iterator_traitsISL_E10value_typeET2_T3_PNSM_ISR_E10value_typeET4_jRbjT5_SX_jjP12ihipStream_tbEUlT_E_NS1_11comp_targetILNS1_3genE10ELNS1_11target_archE1200ELNS1_3gpuE4ELNS1_3repE0EEENS1_30default_config_static_selectorELNS0_4arch9wavefront6targetE1EEEvSL_,comdat
	.globl	_ZN7rocprim17ROCPRIM_400000_NS6detail17trampoline_kernelINS0_14default_configENS1_36segmented_radix_sort_config_selectorI12hip_bfloat16lEEZNS1_25segmented_radix_sort_implIS3_Lb0EPKS5_PS5_PKlPlN2at6native12_GLOBAL__N_18offset_tEEE10hipError_tPvRmT1_PNSt15iterator_traitsISL_E10value_typeET2_T3_PNSM_ISR_E10value_typeET4_jRbjT5_SX_jjP12ihipStream_tbEUlT_E_NS1_11comp_targetILNS1_3genE10ELNS1_11target_archE1200ELNS1_3gpuE4ELNS1_3repE0EEENS1_30default_config_static_selectorELNS0_4arch9wavefront6targetE1EEEvSL_ ; -- Begin function _ZN7rocprim17ROCPRIM_400000_NS6detail17trampoline_kernelINS0_14default_configENS1_36segmented_radix_sort_config_selectorI12hip_bfloat16lEEZNS1_25segmented_radix_sort_implIS3_Lb0EPKS5_PS5_PKlPlN2at6native12_GLOBAL__N_18offset_tEEE10hipError_tPvRmT1_PNSt15iterator_traitsISL_E10value_typeET2_T3_PNSM_ISR_E10value_typeET4_jRbjT5_SX_jjP12ihipStream_tbEUlT_E_NS1_11comp_targetILNS1_3genE10ELNS1_11target_archE1200ELNS1_3gpuE4ELNS1_3repE0EEENS1_30default_config_static_selectorELNS0_4arch9wavefront6targetE1EEEvSL_
	.p2align	8
	.type	_ZN7rocprim17ROCPRIM_400000_NS6detail17trampoline_kernelINS0_14default_configENS1_36segmented_radix_sort_config_selectorI12hip_bfloat16lEEZNS1_25segmented_radix_sort_implIS3_Lb0EPKS5_PS5_PKlPlN2at6native12_GLOBAL__N_18offset_tEEE10hipError_tPvRmT1_PNSt15iterator_traitsISL_E10value_typeET2_T3_PNSM_ISR_E10value_typeET4_jRbjT5_SX_jjP12ihipStream_tbEUlT_E_NS1_11comp_targetILNS1_3genE10ELNS1_11target_archE1200ELNS1_3gpuE4ELNS1_3repE0EEENS1_30default_config_static_selectorELNS0_4arch9wavefront6targetE1EEEvSL_,@function
_ZN7rocprim17ROCPRIM_400000_NS6detail17trampoline_kernelINS0_14default_configENS1_36segmented_radix_sort_config_selectorI12hip_bfloat16lEEZNS1_25segmented_radix_sort_implIS3_Lb0EPKS5_PS5_PKlPlN2at6native12_GLOBAL__N_18offset_tEEE10hipError_tPvRmT1_PNSt15iterator_traitsISL_E10value_typeET2_T3_PNSM_ISR_E10value_typeET4_jRbjT5_SX_jjP12ihipStream_tbEUlT_E_NS1_11comp_targetILNS1_3genE10ELNS1_11target_archE1200ELNS1_3gpuE4ELNS1_3repE0EEENS1_30default_config_static_selectorELNS0_4arch9wavefront6targetE1EEEvSL_: ; @_ZN7rocprim17ROCPRIM_400000_NS6detail17trampoline_kernelINS0_14default_configENS1_36segmented_radix_sort_config_selectorI12hip_bfloat16lEEZNS1_25segmented_radix_sort_implIS3_Lb0EPKS5_PS5_PKlPlN2at6native12_GLOBAL__N_18offset_tEEE10hipError_tPvRmT1_PNSt15iterator_traitsISL_E10value_typeET2_T3_PNSM_ISR_E10value_typeET4_jRbjT5_SX_jjP12ihipStream_tbEUlT_E_NS1_11comp_targetILNS1_3genE10ELNS1_11target_archE1200ELNS1_3gpuE4ELNS1_3repE0EEENS1_30default_config_static_selectorELNS0_4arch9wavefront6targetE1EEEvSL_
; %bb.0:
	.section	.rodata,"a",@progbits
	.p2align	6, 0x0
	.amdhsa_kernel _ZN7rocprim17ROCPRIM_400000_NS6detail17trampoline_kernelINS0_14default_configENS1_36segmented_radix_sort_config_selectorI12hip_bfloat16lEEZNS1_25segmented_radix_sort_implIS3_Lb0EPKS5_PS5_PKlPlN2at6native12_GLOBAL__N_18offset_tEEE10hipError_tPvRmT1_PNSt15iterator_traitsISL_E10value_typeET2_T3_PNSM_ISR_E10value_typeET4_jRbjT5_SX_jjP12ihipStream_tbEUlT_E_NS1_11comp_targetILNS1_3genE10ELNS1_11target_archE1200ELNS1_3gpuE4ELNS1_3repE0EEENS1_30default_config_static_selectorELNS0_4arch9wavefront6targetE1EEEvSL_
		.amdhsa_group_segment_fixed_size 0
		.amdhsa_private_segment_fixed_size 0
		.amdhsa_kernarg_size 96
		.amdhsa_user_sgpr_count 6
		.amdhsa_user_sgpr_private_segment_buffer 1
		.amdhsa_user_sgpr_dispatch_ptr 0
		.amdhsa_user_sgpr_queue_ptr 0
		.amdhsa_user_sgpr_kernarg_segment_ptr 1
		.amdhsa_user_sgpr_dispatch_id 0
		.amdhsa_user_sgpr_flat_scratch_init 0
		.amdhsa_user_sgpr_private_segment_size 0
		.amdhsa_uses_dynamic_stack 0
		.amdhsa_system_sgpr_private_segment_wavefront_offset 0
		.amdhsa_system_sgpr_workgroup_id_x 1
		.amdhsa_system_sgpr_workgroup_id_y 0
		.amdhsa_system_sgpr_workgroup_id_z 0
		.amdhsa_system_sgpr_workgroup_info 0
		.amdhsa_system_vgpr_workitem_id 0
		.amdhsa_next_free_vgpr 1
		.amdhsa_next_free_sgpr 0
		.amdhsa_reserve_vcc 0
		.amdhsa_reserve_flat_scratch 0
		.amdhsa_float_round_mode_32 0
		.amdhsa_float_round_mode_16_64 0
		.amdhsa_float_denorm_mode_32 3
		.amdhsa_float_denorm_mode_16_64 3
		.amdhsa_dx10_clamp 1
		.amdhsa_ieee_mode 1
		.amdhsa_fp16_overflow 0
		.amdhsa_exception_fp_ieee_invalid_op 0
		.amdhsa_exception_fp_denorm_src 0
		.amdhsa_exception_fp_ieee_div_zero 0
		.amdhsa_exception_fp_ieee_overflow 0
		.amdhsa_exception_fp_ieee_underflow 0
		.amdhsa_exception_fp_ieee_inexact 0
		.amdhsa_exception_int_div_zero 0
	.end_amdhsa_kernel
	.section	.text._ZN7rocprim17ROCPRIM_400000_NS6detail17trampoline_kernelINS0_14default_configENS1_36segmented_radix_sort_config_selectorI12hip_bfloat16lEEZNS1_25segmented_radix_sort_implIS3_Lb0EPKS5_PS5_PKlPlN2at6native12_GLOBAL__N_18offset_tEEE10hipError_tPvRmT1_PNSt15iterator_traitsISL_E10value_typeET2_T3_PNSM_ISR_E10value_typeET4_jRbjT5_SX_jjP12ihipStream_tbEUlT_E_NS1_11comp_targetILNS1_3genE10ELNS1_11target_archE1200ELNS1_3gpuE4ELNS1_3repE0EEENS1_30default_config_static_selectorELNS0_4arch9wavefront6targetE1EEEvSL_,"axG",@progbits,_ZN7rocprim17ROCPRIM_400000_NS6detail17trampoline_kernelINS0_14default_configENS1_36segmented_radix_sort_config_selectorI12hip_bfloat16lEEZNS1_25segmented_radix_sort_implIS3_Lb0EPKS5_PS5_PKlPlN2at6native12_GLOBAL__N_18offset_tEEE10hipError_tPvRmT1_PNSt15iterator_traitsISL_E10value_typeET2_T3_PNSM_ISR_E10value_typeET4_jRbjT5_SX_jjP12ihipStream_tbEUlT_E_NS1_11comp_targetILNS1_3genE10ELNS1_11target_archE1200ELNS1_3gpuE4ELNS1_3repE0EEENS1_30default_config_static_selectorELNS0_4arch9wavefront6targetE1EEEvSL_,comdat
.Lfunc_end2056:
	.size	_ZN7rocprim17ROCPRIM_400000_NS6detail17trampoline_kernelINS0_14default_configENS1_36segmented_radix_sort_config_selectorI12hip_bfloat16lEEZNS1_25segmented_radix_sort_implIS3_Lb0EPKS5_PS5_PKlPlN2at6native12_GLOBAL__N_18offset_tEEE10hipError_tPvRmT1_PNSt15iterator_traitsISL_E10value_typeET2_T3_PNSM_ISR_E10value_typeET4_jRbjT5_SX_jjP12ihipStream_tbEUlT_E_NS1_11comp_targetILNS1_3genE10ELNS1_11target_archE1200ELNS1_3gpuE4ELNS1_3repE0EEENS1_30default_config_static_selectorELNS0_4arch9wavefront6targetE1EEEvSL_, .Lfunc_end2056-_ZN7rocprim17ROCPRIM_400000_NS6detail17trampoline_kernelINS0_14default_configENS1_36segmented_radix_sort_config_selectorI12hip_bfloat16lEEZNS1_25segmented_radix_sort_implIS3_Lb0EPKS5_PS5_PKlPlN2at6native12_GLOBAL__N_18offset_tEEE10hipError_tPvRmT1_PNSt15iterator_traitsISL_E10value_typeET2_T3_PNSM_ISR_E10value_typeET4_jRbjT5_SX_jjP12ihipStream_tbEUlT_E_NS1_11comp_targetILNS1_3genE10ELNS1_11target_archE1200ELNS1_3gpuE4ELNS1_3repE0EEENS1_30default_config_static_selectorELNS0_4arch9wavefront6targetE1EEEvSL_
                                        ; -- End function
	.set _ZN7rocprim17ROCPRIM_400000_NS6detail17trampoline_kernelINS0_14default_configENS1_36segmented_radix_sort_config_selectorI12hip_bfloat16lEEZNS1_25segmented_radix_sort_implIS3_Lb0EPKS5_PS5_PKlPlN2at6native12_GLOBAL__N_18offset_tEEE10hipError_tPvRmT1_PNSt15iterator_traitsISL_E10value_typeET2_T3_PNSM_ISR_E10value_typeET4_jRbjT5_SX_jjP12ihipStream_tbEUlT_E_NS1_11comp_targetILNS1_3genE10ELNS1_11target_archE1200ELNS1_3gpuE4ELNS1_3repE0EEENS1_30default_config_static_selectorELNS0_4arch9wavefront6targetE1EEEvSL_.num_vgpr, 0
	.set _ZN7rocprim17ROCPRIM_400000_NS6detail17trampoline_kernelINS0_14default_configENS1_36segmented_radix_sort_config_selectorI12hip_bfloat16lEEZNS1_25segmented_radix_sort_implIS3_Lb0EPKS5_PS5_PKlPlN2at6native12_GLOBAL__N_18offset_tEEE10hipError_tPvRmT1_PNSt15iterator_traitsISL_E10value_typeET2_T3_PNSM_ISR_E10value_typeET4_jRbjT5_SX_jjP12ihipStream_tbEUlT_E_NS1_11comp_targetILNS1_3genE10ELNS1_11target_archE1200ELNS1_3gpuE4ELNS1_3repE0EEENS1_30default_config_static_selectorELNS0_4arch9wavefront6targetE1EEEvSL_.num_agpr, 0
	.set _ZN7rocprim17ROCPRIM_400000_NS6detail17trampoline_kernelINS0_14default_configENS1_36segmented_radix_sort_config_selectorI12hip_bfloat16lEEZNS1_25segmented_radix_sort_implIS3_Lb0EPKS5_PS5_PKlPlN2at6native12_GLOBAL__N_18offset_tEEE10hipError_tPvRmT1_PNSt15iterator_traitsISL_E10value_typeET2_T3_PNSM_ISR_E10value_typeET4_jRbjT5_SX_jjP12ihipStream_tbEUlT_E_NS1_11comp_targetILNS1_3genE10ELNS1_11target_archE1200ELNS1_3gpuE4ELNS1_3repE0EEENS1_30default_config_static_selectorELNS0_4arch9wavefront6targetE1EEEvSL_.numbered_sgpr, 0
	.set _ZN7rocprim17ROCPRIM_400000_NS6detail17trampoline_kernelINS0_14default_configENS1_36segmented_radix_sort_config_selectorI12hip_bfloat16lEEZNS1_25segmented_radix_sort_implIS3_Lb0EPKS5_PS5_PKlPlN2at6native12_GLOBAL__N_18offset_tEEE10hipError_tPvRmT1_PNSt15iterator_traitsISL_E10value_typeET2_T3_PNSM_ISR_E10value_typeET4_jRbjT5_SX_jjP12ihipStream_tbEUlT_E_NS1_11comp_targetILNS1_3genE10ELNS1_11target_archE1200ELNS1_3gpuE4ELNS1_3repE0EEENS1_30default_config_static_selectorELNS0_4arch9wavefront6targetE1EEEvSL_.num_named_barrier, 0
	.set _ZN7rocprim17ROCPRIM_400000_NS6detail17trampoline_kernelINS0_14default_configENS1_36segmented_radix_sort_config_selectorI12hip_bfloat16lEEZNS1_25segmented_radix_sort_implIS3_Lb0EPKS5_PS5_PKlPlN2at6native12_GLOBAL__N_18offset_tEEE10hipError_tPvRmT1_PNSt15iterator_traitsISL_E10value_typeET2_T3_PNSM_ISR_E10value_typeET4_jRbjT5_SX_jjP12ihipStream_tbEUlT_E_NS1_11comp_targetILNS1_3genE10ELNS1_11target_archE1200ELNS1_3gpuE4ELNS1_3repE0EEENS1_30default_config_static_selectorELNS0_4arch9wavefront6targetE1EEEvSL_.private_seg_size, 0
	.set _ZN7rocprim17ROCPRIM_400000_NS6detail17trampoline_kernelINS0_14default_configENS1_36segmented_radix_sort_config_selectorI12hip_bfloat16lEEZNS1_25segmented_radix_sort_implIS3_Lb0EPKS5_PS5_PKlPlN2at6native12_GLOBAL__N_18offset_tEEE10hipError_tPvRmT1_PNSt15iterator_traitsISL_E10value_typeET2_T3_PNSM_ISR_E10value_typeET4_jRbjT5_SX_jjP12ihipStream_tbEUlT_E_NS1_11comp_targetILNS1_3genE10ELNS1_11target_archE1200ELNS1_3gpuE4ELNS1_3repE0EEENS1_30default_config_static_selectorELNS0_4arch9wavefront6targetE1EEEvSL_.uses_vcc, 0
	.set _ZN7rocprim17ROCPRIM_400000_NS6detail17trampoline_kernelINS0_14default_configENS1_36segmented_radix_sort_config_selectorI12hip_bfloat16lEEZNS1_25segmented_radix_sort_implIS3_Lb0EPKS5_PS5_PKlPlN2at6native12_GLOBAL__N_18offset_tEEE10hipError_tPvRmT1_PNSt15iterator_traitsISL_E10value_typeET2_T3_PNSM_ISR_E10value_typeET4_jRbjT5_SX_jjP12ihipStream_tbEUlT_E_NS1_11comp_targetILNS1_3genE10ELNS1_11target_archE1200ELNS1_3gpuE4ELNS1_3repE0EEENS1_30default_config_static_selectorELNS0_4arch9wavefront6targetE1EEEvSL_.uses_flat_scratch, 0
	.set _ZN7rocprim17ROCPRIM_400000_NS6detail17trampoline_kernelINS0_14default_configENS1_36segmented_radix_sort_config_selectorI12hip_bfloat16lEEZNS1_25segmented_radix_sort_implIS3_Lb0EPKS5_PS5_PKlPlN2at6native12_GLOBAL__N_18offset_tEEE10hipError_tPvRmT1_PNSt15iterator_traitsISL_E10value_typeET2_T3_PNSM_ISR_E10value_typeET4_jRbjT5_SX_jjP12ihipStream_tbEUlT_E_NS1_11comp_targetILNS1_3genE10ELNS1_11target_archE1200ELNS1_3gpuE4ELNS1_3repE0EEENS1_30default_config_static_selectorELNS0_4arch9wavefront6targetE1EEEvSL_.has_dyn_sized_stack, 0
	.set _ZN7rocprim17ROCPRIM_400000_NS6detail17trampoline_kernelINS0_14default_configENS1_36segmented_radix_sort_config_selectorI12hip_bfloat16lEEZNS1_25segmented_radix_sort_implIS3_Lb0EPKS5_PS5_PKlPlN2at6native12_GLOBAL__N_18offset_tEEE10hipError_tPvRmT1_PNSt15iterator_traitsISL_E10value_typeET2_T3_PNSM_ISR_E10value_typeET4_jRbjT5_SX_jjP12ihipStream_tbEUlT_E_NS1_11comp_targetILNS1_3genE10ELNS1_11target_archE1200ELNS1_3gpuE4ELNS1_3repE0EEENS1_30default_config_static_selectorELNS0_4arch9wavefront6targetE1EEEvSL_.has_recursion, 0
	.set _ZN7rocprim17ROCPRIM_400000_NS6detail17trampoline_kernelINS0_14default_configENS1_36segmented_radix_sort_config_selectorI12hip_bfloat16lEEZNS1_25segmented_radix_sort_implIS3_Lb0EPKS5_PS5_PKlPlN2at6native12_GLOBAL__N_18offset_tEEE10hipError_tPvRmT1_PNSt15iterator_traitsISL_E10value_typeET2_T3_PNSM_ISR_E10value_typeET4_jRbjT5_SX_jjP12ihipStream_tbEUlT_E_NS1_11comp_targetILNS1_3genE10ELNS1_11target_archE1200ELNS1_3gpuE4ELNS1_3repE0EEENS1_30default_config_static_selectorELNS0_4arch9wavefront6targetE1EEEvSL_.has_indirect_call, 0
	.section	.AMDGPU.csdata,"",@progbits
; Kernel info:
; codeLenInByte = 0
; TotalNumSgprs: 4
; NumVgprs: 0
; ScratchSize: 0
; MemoryBound: 0
; FloatMode: 240
; IeeeMode: 1
; LDSByteSize: 0 bytes/workgroup (compile time only)
; SGPRBlocks: 0
; VGPRBlocks: 0
; NumSGPRsForWavesPerEU: 4
; NumVGPRsForWavesPerEU: 1
; Occupancy: 10
; WaveLimiterHint : 0
; COMPUTE_PGM_RSRC2:SCRATCH_EN: 0
; COMPUTE_PGM_RSRC2:USER_SGPR: 6
; COMPUTE_PGM_RSRC2:TRAP_HANDLER: 0
; COMPUTE_PGM_RSRC2:TGID_X_EN: 1
; COMPUTE_PGM_RSRC2:TGID_Y_EN: 0
; COMPUTE_PGM_RSRC2:TGID_Z_EN: 0
; COMPUTE_PGM_RSRC2:TIDIG_COMP_CNT: 0
	.section	.text._ZN7rocprim17ROCPRIM_400000_NS6detail17trampoline_kernelINS0_14default_configENS1_36segmented_radix_sort_config_selectorI12hip_bfloat16lEEZNS1_25segmented_radix_sort_implIS3_Lb0EPKS5_PS5_PKlPlN2at6native12_GLOBAL__N_18offset_tEEE10hipError_tPvRmT1_PNSt15iterator_traitsISL_E10value_typeET2_T3_PNSM_ISR_E10value_typeET4_jRbjT5_SX_jjP12ihipStream_tbEUlT_E_NS1_11comp_targetILNS1_3genE9ELNS1_11target_archE1100ELNS1_3gpuE3ELNS1_3repE0EEENS1_30default_config_static_selectorELNS0_4arch9wavefront6targetE1EEEvSL_,"axG",@progbits,_ZN7rocprim17ROCPRIM_400000_NS6detail17trampoline_kernelINS0_14default_configENS1_36segmented_radix_sort_config_selectorI12hip_bfloat16lEEZNS1_25segmented_radix_sort_implIS3_Lb0EPKS5_PS5_PKlPlN2at6native12_GLOBAL__N_18offset_tEEE10hipError_tPvRmT1_PNSt15iterator_traitsISL_E10value_typeET2_T3_PNSM_ISR_E10value_typeET4_jRbjT5_SX_jjP12ihipStream_tbEUlT_E_NS1_11comp_targetILNS1_3genE9ELNS1_11target_archE1100ELNS1_3gpuE3ELNS1_3repE0EEENS1_30default_config_static_selectorELNS0_4arch9wavefront6targetE1EEEvSL_,comdat
	.globl	_ZN7rocprim17ROCPRIM_400000_NS6detail17trampoline_kernelINS0_14default_configENS1_36segmented_radix_sort_config_selectorI12hip_bfloat16lEEZNS1_25segmented_radix_sort_implIS3_Lb0EPKS5_PS5_PKlPlN2at6native12_GLOBAL__N_18offset_tEEE10hipError_tPvRmT1_PNSt15iterator_traitsISL_E10value_typeET2_T3_PNSM_ISR_E10value_typeET4_jRbjT5_SX_jjP12ihipStream_tbEUlT_E_NS1_11comp_targetILNS1_3genE9ELNS1_11target_archE1100ELNS1_3gpuE3ELNS1_3repE0EEENS1_30default_config_static_selectorELNS0_4arch9wavefront6targetE1EEEvSL_ ; -- Begin function _ZN7rocprim17ROCPRIM_400000_NS6detail17trampoline_kernelINS0_14default_configENS1_36segmented_radix_sort_config_selectorI12hip_bfloat16lEEZNS1_25segmented_radix_sort_implIS3_Lb0EPKS5_PS5_PKlPlN2at6native12_GLOBAL__N_18offset_tEEE10hipError_tPvRmT1_PNSt15iterator_traitsISL_E10value_typeET2_T3_PNSM_ISR_E10value_typeET4_jRbjT5_SX_jjP12ihipStream_tbEUlT_E_NS1_11comp_targetILNS1_3genE9ELNS1_11target_archE1100ELNS1_3gpuE3ELNS1_3repE0EEENS1_30default_config_static_selectorELNS0_4arch9wavefront6targetE1EEEvSL_
	.p2align	8
	.type	_ZN7rocprim17ROCPRIM_400000_NS6detail17trampoline_kernelINS0_14default_configENS1_36segmented_radix_sort_config_selectorI12hip_bfloat16lEEZNS1_25segmented_radix_sort_implIS3_Lb0EPKS5_PS5_PKlPlN2at6native12_GLOBAL__N_18offset_tEEE10hipError_tPvRmT1_PNSt15iterator_traitsISL_E10value_typeET2_T3_PNSM_ISR_E10value_typeET4_jRbjT5_SX_jjP12ihipStream_tbEUlT_E_NS1_11comp_targetILNS1_3genE9ELNS1_11target_archE1100ELNS1_3gpuE3ELNS1_3repE0EEENS1_30default_config_static_selectorELNS0_4arch9wavefront6targetE1EEEvSL_,@function
_ZN7rocprim17ROCPRIM_400000_NS6detail17trampoline_kernelINS0_14default_configENS1_36segmented_radix_sort_config_selectorI12hip_bfloat16lEEZNS1_25segmented_radix_sort_implIS3_Lb0EPKS5_PS5_PKlPlN2at6native12_GLOBAL__N_18offset_tEEE10hipError_tPvRmT1_PNSt15iterator_traitsISL_E10value_typeET2_T3_PNSM_ISR_E10value_typeET4_jRbjT5_SX_jjP12ihipStream_tbEUlT_E_NS1_11comp_targetILNS1_3genE9ELNS1_11target_archE1100ELNS1_3gpuE3ELNS1_3repE0EEENS1_30default_config_static_selectorELNS0_4arch9wavefront6targetE1EEEvSL_: ; @_ZN7rocprim17ROCPRIM_400000_NS6detail17trampoline_kernelINS0_14default_configENS1_36segmented_radix_sort_config_selectorI12hip_bfloat16lEEZNS1_25segmented_radix_sort_implIS3_Lb0EPKS5_PS5_PKlPlN2at6native12_GLOBAL__N_18offset_tEEE10hipError_tPvRmT1_PNSt15iterator_traitsISL_E10value_typeET2_T3_PNSM_ISR_E10value_typeET4_jRbjT5_SX_jjP12ihipStream_tbEUlT_E_NS1_11comp_targetILNS1_3genE9ELNS1_11target_archE1100ELNS1_3gpuE3ELNS1_3repE0EEENS1_30default_config_static_selectorELNS0_4arch9wavefront6targetE1EEEvSL_
; %bb.0:
	.section	.rodata,"a",@progbits
	.p2align	6, 0x0
	.amdhsa_kernel _ZN7rocprim17ROCPRIM_400000_NS6detail17trampoline_kernelINS0_14default_configENS1_36segmented_radix_sort_config_selectorI12hip_bfloat16lEEZNS1_25segmented_radix_sort_implIS3_Lb0EPKS5_PS5_PKlPlN2at6native12_GLOBAL__N_18offset_tEEE10hipError_tPvRmT1_PNSt15iterator_traitsISL_E10value_typeET2_T3_PNSM_ISR_E10value_typeET4_jRbjT5_SX_jjP12ihipStream_tbEUlT_E_NS1_11comp_targetILNS1_3genE9ELNS1_11target_archE1100ELNS1_3gpuE3ELNS1_3repE0EEENS1_30default_config_static_selectorELNS0_4arch9wavefront6targetE1EEEvSL_
		.amdhsa_group_segment_fixed_size 0
		.amdhsa_private_segment_fixed_size 0
		.amdhsa_kernarg_size 96
		.amdhsa_user_sgpr_count 6
		.amdhsa_user_sgpr_private_segment_buffer 1
		.amdhsa_user_sgpr_dispatch_ptr 0
		.amdhsa_user_sgpr_queue_ptr 0
		.amdhsa_user_sgpr_kernarg_segment_ptr 1
		.amdhsa_user_sgpr_dispatch_id 0
		.amdhsa_user_sgpr_flat_scratch_init 0
		.amdhsa_user_sgpr_private_segment_size 0
		.amdhsa_uses_dynamic_stack 0
		.amdhsa_system_sgpr_private_segment_wavefront_offset 0
		.amdhsa_system_sgpr_workgroup_id_x 1
		.amdhsa_system_sgpr_workgroup_id_y 0
		.amdhsa_system_sgpr_workgroup_id_z 0
		.amdhsa_system_sgpr_workgroup_info 0
		.amdhsa_system_vgpr_workitem_id 0
		.amdhsa_next_free_vgpr 1
		.amdhsa_next_free_sgpr 0
		.amdhsa_reserve_vcc 0
		.amdhsa_reserve_flat_scratch 0
		.amdhsa_float_round_mode_32 0
		.amdhsa_float_round_mode_16_64 0
		.amdhsa_float_denorm_mode_32 3
		.amdhsa_float_denorm_mode_16_64 3
		.amdhsa_dx10_clamp 1
		.amdhsa_ieee_mode 1
		.amdhsa_fp16_overflow 0
		.amdhsa_exception_fp_ieee_invalid_op 0
		.amdhsa_exception_fp_denorm_src 0
		.amdhsa_exception_fp_ieee_div_zero 0
		.amdhsa_exception_fp_ieee_overflow 0
		.amdhsa_exception_fp_ieee_underflow 0
		.amdhsa_exception_fp_ieee_inexact 0
		.amdhsa_exception_int_div_zero 0
	.end_amdhsa_kernel
	.section	.text._ZN7rocprim17ROCPRIM_400000_NS6detail17trampoline_kernelINS0_14default_configENS1_36segmented_radix_sort_config_selectorI12hip_bfloat16lEEZNS1_25segmented_radix_sort_implIS3_Lb0EPKS5_PS5_PKlPlN2at6native12_GLOBAL__N_18offset_tEEE10hipError_tPvRmT1_PNSt15iterator_traitsISL_E10value_typeET2_T3_PNSM_ISR_E10value_typeET4_jRbjT5_SX_jjP12ihipStream_tbEUlT_E_NS1_11comp_targetILNS1_3genE9ELNS1_11target_archE1100ELNS1_3gpuE3ELNS1_3repE0EEENS1_30default_config_static_selectorELNS0_4arch9wavefront6targetE1EEEvSL_,"axG",@progbits,_ZN7rocprim17ROCPRIM_400000_NS6detail17trampoline_kernelINS0_14default_configENS1_36segmented_radix_sort_config_selectorI12hip_bfloat16lEEZNS1_25segmented_radix_sort_implIS3_Lb0EPKS5_PS5_PKlPlN2at6native12_GLOBAL__N_18offset_tEEE10hipError_tPvRmT1_PNSt15iterator_traitsISL_E10value_typeET2_T3_PNSM_ISR_E10value_typeET4_jRbjT5_SX_jjP12ihipStream_tbEUlT_E_NS1_11comp_targetILNS1_3genE9ELNS1_11target_archE1100ELNS1_3gpuE3ELNS1_3repE0EEENS1_30default_config_static_selectorELNS0_4arch9wavefront6targetE1EEEvSL_,comdat
.Lfunc_end2057:
	.size	_ZN7rocprim17ROCPRIM_400000_NS6detail17trampoline_kernelINS0_14default_configENS1_36segmented_radix_sort_config_selectorI12hip_bfloat16lEEZNS1_25segmented_radix_sort_implIS3_Lb0EPKS5_PS5_PKlPlN2at6native12_GLOBAL__N_18offset_tEEE10hipError_tPvRmT1_PNSt15iterator_traitsISL_E10value_typeET2_T3_PNSM_ISR_E10value_typeET4_jRbjT5_SX_jjP12ihipStream_tbEUlT_E_NS1_11comp_targetILNS1_3genE9ELNS1_11target_archE1100ELNS1_3gpuE3ELNS1_3repE0EEENS1_30default_config_static_selectorELNS0_4arch9wavefront6targetE1EEEvSL_, .Lfunc_end2057-_ZN7rocprim17ROCPRIM_400000_NS6detail17trampoline_kernelINS0_14default_configENS1_36segmented_radix_sort_config_selectorI12hip_bfloat16lEEZNS1_25segmented_radix_sort_implIS3_Lb0EPKS5_PS5_PKlPlN2at6native12_GLOBAL__N_18offset_tEEE10hipError_tPvRmT1_PNSt15iterator_traitsISL_E10value_typeET2_T3_PNSM_ISR_E10value_typeET4_jRbjT5_SX_jjP12ihipStream_tbEUlT_E_NS1_11comp_targetILNS1_3genE9ELNS1_11target_archE1100ELNS1_3gpuE3ELNS1_3repE0EEENS1_30default_config_static_selectorELNS0_4arch9wavefront6targetE1EEEvSL_
                                        ; -- End function
	.set _ZN7rocprim17ROCPRIM_400000_NS6detail17trampoline_kernelINS0_14default_configENS1_36segmented_radix_sort_config_selectorI12hip_bfloat16lEEZNS1_25segmented_radix_sort_implIS3_Lb0EPKS5_PS5_PKlPlN2at6native12_GLOBAL__N_18offset_tEEE10hipError_tPvRmT1_PNSt15iterator_traitsISL_E10value_typeET2_T3_PNSM_ISR_E10value_typeET4_jRbjT5_SX_jjP12ihipStream_tbEUlT_E_NS1_11comp_targetILNS1_3genE9ELNS1_11target_archE1100ELNS1_3gpuE3ELNS1_3repE0EEENS1_30default_config_static_selectorELNS0_4arch9wavefront6targetE1EEEvSL_.num_vgpr, 0
	.set _ZN7rocprim17ROCPRIM_400000_NS6detail17trampoline_kernelINS0_14default_configENS1_36segmented_radix_sort_config_selectorI12hip_bfloat16lEEZNS1_25segmented_radix_sort_implIS3_Lb0EPKS5_PS5_PKlPlN2at6native12_GLOBAL__N_18offset_tEEE10hipError_tPvRmT1_PNSt15iterator_traitsISL_E10value_typeET2_T3_PNSM_ISR_E10value_typeET4_jRbjT5_SX_jjP12ihipStream_tbEUlT_E_NS1_11comp_targetILNS1_3genE9ELNS1_11target_archE1100ELNS1_3gpuE3ELNS1_3repE0EEENS1_30default_config_static_selectorELNS0_4arch9wavefront6targetE1EEEvSL_.num_agpr, 0
	.set _ZN7rocprim17ROCPRIM_400000_NS6detail17trampoline_kernelINS0_14default_configENS1_36segmented_radix_sort_config_selectorI12hip_bfloat16lEEZNS1_25segmented_radix_sort_implIS3_Lb0EPKS5_PS5_PKlPlN2at6native12_GLOBAL__N_18offset_tEEE10hipError_tPvRmT1_PNSt15iterator_traitsISL_E10value_typeET2_T3_PNSM_ISR_E10value_typeET4_jRbjT5_SX_jjP12ihipStream_tbEUlT_E_NS1_11comp_targetILNS1_3genE9ELNS1_11target_archE1100ELNS1_3gpuE3ELNS1_3repE0EEENS1_30default_config_static_selectorELNS0_4arch9wavefront6targetE1EEEvSL_.numbered_sgpr, 0
	.set _ZN7rocprim17ROCPRIM_400000_NS6detail17trampoline_kernelINS0_14default_configENS1_36segmented_radix_sort_config_selectorI12hip_bfloat16lEEZNS1_25segmented_radix_sort_implIS3_Lb0EPKS5_PS5_PKlPlN2at6native12_GLOBAL__N_18offset_tEEE10hipError_tPvRmT1_PNSt15iterator_traitsISL_E10value_typeET2_T3_PNSM_ISR_E10value_typeET4_jRbjT5_SX_jjP12ihipStream_tbEUlT_E_NS1_11comp_targetILNS1_3genE9ELNS1_11target_archE1100ELNS1_3gpuE3ELNS1_3repE0EEENS1_30default_config_static_selectorELNS0_4arch9wavefront6targetE1EEEvSL_.num_named_barrier, 0
	.set _ZN7rocprim17ROCPRIM_400000_NS6detail17trampoline_kernelINS0_14default_configENS1_36segmented_radix_sort_config_selectorI12hip_bfloat16lEEZNS1_25segmented_radix_sort_implIS3_Lb0EPKS5_PS5_PKlPlN2at6native12_GLOBAL__N_18offset_tEEE10hipError_tPvRmT1_PNSt15iterator_traitsISL_E10value_typeET2_T3_PNSM_ISR_E10value_typeET4_jRbjT5_SX_jjP12ihipStream_tbEUlT_E_NS1_11comp_targetILNS1_3genE9ELNS1_11target_archE1100ELNS1_3gpuE3ELNS1_3repE0EEENS1_30default_config_static_selectorELNS0_4arch9wavefront6targetE1EEEvSL_.private_seg_size, 0
	.set _ZN7rocprim17ROCPRIM_400000_NS6detail17trampoline_kernelINS0_14default_configENS1_36segmented_radix_sort_config_selectorI12hip_bfloat16lEEZNS1_25segmented_radix_sort_implIS3_Lb0EPKS5_PS5_PKlPlN2at6native12_GLOBAL__N_18offset_tEEE10hipError_tPvRmT1_PNSt15iterator_traitsISL_E10value_typeET2_T3_PNSM_ISR_E10value_typeET4_jRbjT5_SX_jjP12ihipStream_tbEUlT_E_NS1_11comp_targetILNS1_3genE9ELNS1_11target_archE1100ELNS1_3gpuE3ELNS1_3repE0EEENS1_30default_config_static_selectorELNS0_4arch9wavefront6targetE1EEEvSL_.uses_vcc, 0
	.set _ZN7rocprim17ROCPRIM_400000_NS6detail17trampoline_kernelINS0_14default_configENS1_36segmented_radix_sort_config_selectorI12hip_bfloat16lEEZNS1_25segmented_radix_sort_implIS3_Lb0EPKS5_PS5_PKlPlN2at6native12_GLOBAL__N_18offset_tEEE10hipError_tPvRmT1_PNSt15iterator_traitsISL_E10value_typeET2_T3_PNSM_ISR_E10value_typeET4_jRbjT5_SX_jjP12ihipStream_tbEUlT_E_NS1_11comp_targetILNS1_3genE9ELNS1_11target_archE1100ELNS1_3gpuE3ELNS1_3repE0EEENS1_30default_config_static_selectorELNS0_4arch9wavefront6targetE1EEEvSL_.uses_flat_scratch, 0
	.set _ZN7rocprim17ROCPRIM_400000_NS6detail17trampoline_kernelINS0_14default_configENS1_36segmented_radix_sort_config_selectorI12hip_bfloat16lEEZNS1_25segmented_radix_sort_implIS3_Lb0EPKS5_PS5_PKlPlN2at6native12_GLOBAL__N_18offset_tEEE10hipError_tPvRmT1_PNSt15iterator_traitsISL_E10value_typeET2_T3_PNSM_ISR_E10value_typeET4_jRbjT5_SX_jjP12ihipStream_tbEUlT_E_NS1_11comp_targetILNS1_3genE9ELNS1_11target_archE1100ELNS1_3gpuE3ELNS1_3repE0EEENS1_30default_config_static_selectorELNS0_4arch9wavefront6targetE1EEEvSL_.has_dyn_sized_stack, 0
	.set _ZN7rocprim17ROCPRIM_400000_NS6detail17trampoline_kernelINS0_14default_configENS1_36segmented_radix_sort_config_selectorI12hip_bfloat16lEEZNS1_25segmented_radix_sort_implIS3_Lb0EPKS5_PS5_PKlPlN2at6native12_GLOBAL__N_18offset_tEEE10hipError_tPvRmT1_PNSt15iterator_traitsISL_E10value_typeET2_T3_PNSM_ISR_E10value_typeET4_jRbjT5_SX_jjP12ihipStream_tbEUlT_E_NS1_11comp_targetILNS1_3genE9ELNS1_11target_archE1100ELNS1_3gpuE3ELNS1_3repE0EEENS1_30default_config_static_selectorELNS0_4arch9wavefront6targetE1EEEvSL_.has_recursion, 0
	.set _ZN7rocprim17ROCPRIM_400000_NS6detail17trampoline_kernelINS0_14default_configENS1_36segmented_radix_sort_config_selectorI12hip_bfloat16lEEZNS1_25segmented_radix_sort_implIS3_Lb0EPKS5_PS5_PKlPlN2at6native12_GLOBAL__N_18offset_tEEE10hipError_tPvRmT1_PNSt15iterator_traitsISL_E10value_typeET2_T3_PNSM_ISR_E10value_typeET4_jRbjT5_SX_jjP12ihipStream_tbEUlT_E_NS1_11comp_targetILNS1_3genE9ELNS1_11target_archE1100ELNS1_3gpuE3ELNS1_3repE0EEENS1_30default_config_static_selectorELNS0_4arch9wavefront6targetE1EEEvSL_.has_indirect_call, 0
	.section	.AMDGPU.csdata,"",@progbits
; Kernel info:
; codeLenInByte = 0
; TotalNumSgprs: 4
; NumVgprs: 0
; ScratchSize: 0
; MemoryBound: 0
; FloatMode: 240
; IeeeMode: 1
; LDSByteSize: 0 bytes/workgroup (compile time only)
; SGPRBlocks: 0
; VGPRBlocks: 0
; NumSGPRsForWavesPerEU: 4
; NumVGPRsForWavesPerEU: 1
; Occupancy: 10
; WaveLimiterHint : 0
; COMPUTE_PGM_RSRC2:SCRATCH_EN: 0
; COMPUTE_PGM_RSRC2:USER_SGPR: 6
; COMPUTE_PGM_RSRC2:TRAP_HANDLER: 0
; COMPUTE_PGM_RSRC2:TGID_X_EN: 1
; COMPUTE_PGM_RSRC2:TGID_Y_EN: 0
; COMPUTE_PGM_RSRC2:TGID_Z_EN: 0
; COMPUTE_PGM_RSRC2:TIDIG_COMP_CNT: 0
	.section	.text._ZN7rocprim17ROCPRIM_400000_NS6detail17trampoline_kernelINS0_14default_configENS1_36segmented_radix_sort_config_selectorI12hip_bfloat16lEEZNS1_25segmented_radix_sort_implIS3_Lb0EPKS5_PS5_PKlPlN2at6native12_GLOBAL__N_18offset_tEEE10hipError_tPvRmT1_PNSt15iterator_traitsISL_E10value_typeET2_T3_PNSM_ISR_E10value_typeET4_jRbjT5_SX_jjP12ihipStream_tbEUlT_E_NS1_11comp_targetILNS1_3genE8ELNS1_11target_archE1030ELNS1_3gpuE2ELNS1_3repE0EEENS1_30default_config_static_selectorELNS0_4arch9wavefront6targetE1EEEvSL_,"axG",@progbits,_ZN7rocprim17ROCPRIM_400000_NS6detail17trampoline_kernelINS0_14default_configENS1_36segmented_radix_sort_config_selectorI12hip_bfloat16lEEZNS1_25segmented_radix_sort_implIS3_Lb0EPKS5_PS5_PKlPlN2at6native12_GLOBAL__N_18offset_tEEE10hipError_tPvRmT1_PNSt15iterator_traitsISL_E10value_typeET2_T3_PNSM_ISR_E10value_typeET4_jRbjT5_SX_jjP12ihipStream_tbEUlT_E_NS1_11comp_targetILNS1_3genE8ELNS1_11target_archE1030ELNS1_3gpuE2ELNS1_3repE0EEENS1_30default_config_static_selectorELNS0_4arch9wavefront6targetE1EEEvSL_,comdat
	.globl	_ZN7rocprim17ROCPRIM_400000_NS6detail17trampoline_kernelINS0_14default_configENS1_36segmented_radix_sort_config_selectorI12hip_bfloat16lEEZNS1_25segmented_radix_sort_implIS3_Lb0EPKS5_PS5_PKlPlN2at6native12_GLOBAL__N_18offset_tEEE10hipError_tPvRmT1_PNSt15iterator_traitsISL_E10value_typeET2_T3_PNSM_ISR_E10value_typeET4_jRbjT5_SX_jjP12ihipStream_tbEUlT_E_NS1_11comp_targetILNS1_3genE8ELNS1_11target_archE1030ELNS1_3gpuE2ELNS1_3repE0EEENS1_30default_config_static_selectorELNS0_4arch9wavefront6targetE1EEEvSL_ ; -- Begin function _ZN7rocprim17ROCPRIM_400000_NS6detail17trampoline_kernelINS0_14default_configENS1_36segmented_radix_sort_config_selectorI12hip_bfloat16lEEZNS1_25segmented_radix_sort_implIS3_Lb0EPKS5_PS5_PKlPlN2at6native12_GLOBAL__N_18offset_tEEE10hipError_tPvRmT1_PNSt15iterator_traitsISL_E10value_typeET2_T3_PNSM_ISR_E10value_typeET4_jRbjT5_SX_jjP12ihipStream_tbEUlT_E_NS1_11comp_targetILNS1_3genE8ELNS1_11target_archE1030ELNS1_3gpuE2ELNS1_3repE0EEENS1_30default_config_static_selectorELNS0_4arch9wavefront6targetE1EEEvSL_
	.p2align	8
	.type	_ZN7rocprim17ROCPRIM_400000_NS6detail17trampoline_kernelINS0_14default_configENS1_36segmented_radix_sort_config_selectorI12hip_bfloat16lEEZNS1_25segmented_radix_sort_implIS3_Lb0EPKS5_PS5_PKlPlN2at6native12_GLOBAL__N_18offset_tEEE10hipError_tPvRmT1_PNSt15iterator_traitsISL_E10value_typeET2_T3_PNSM_ISR_E10value_typeET4_jRbjT5_SX_jjP12ihipStream_tbEUlT_E_NS1_11comp_targetILNS1_3genE8ELNS1_11target_archE1030ELNS1_3gpuE2ELNS1_3repE0EEENS1_30default_config_static_selectorELNS0_4arch9wavefront6targetE1EEEvSL_,@function
_ZN7rocprim17ROCPRIM_400000_NS6detail17trampoline_kernelINS0_14default_configENS1_36segmented_radix_sort_config_selectorI12hip_bfloat16lEEZNS1_25segmented_radix_sort_implIS3_Lb0EPKS5_PS5_PKlPlN2at6native12_GLOBAL__N_18offset_tEEE10hipError_tPvRmT1_PNSt15iterator_traitsISL_E10value_typeET2_T3_PNSM_ISR_E10value_typeET4_jRbjT5_SX_jjP12ihipStream_tbEUlT_E_NS1_11comp_targetILNS1_3genE8ELNS1_11target_archE1030ELNS1_3gpuE2ELNS1_3repE0EEENS1_30default_config_static_selectorELNS0_4arch9wavefront6targetE1EEEvSL_: ; @_ZN7rocprim17ROCPRIM_400000_NS6detail17trampoline_kernelINS0_14default_configENS1_36segmented_radix_sort_config_selectorI12hip_bfloat16lEEZNS1_25segmented_radix_sort_implIS3_Lb0EPKS5_PS5_PKlPlN2at6native12_GLOBAL__N_18offset_tEEE10hipError_tPvRmT1_PNSt15iterator_traitsISL_E10value_typeET2_T3_PNSM_ISR_E10value_typeET4_jRbjT5_SX_jjP12ihipStream_tbEUlT_E_NS1_11comp_targetILNS1_3genE8ELNS1_11target_archE1030ELNS1_3gpuE2ELNS1_3repE0EEENS1_30default_config_static_selectorELNS0_4arch9wavefront6targetE1EEEvSL_
; %bb.0:
	.section	.rodata,"a",@progbits
	.p2align	6, 0x0
	.amdhsa_kernel _ZN7rocprim17ROCPRIM_400000_NS6detail17trampoline_kernelINS0_14default_configENS1_36segmented_radix_sort_config_selectorI12hip_bfloat16lEEZNS1_25segmented_radix_sort_implIS3_Lb0EPKS5_PS5_PKlPlN2at6native12_GLOBAL__N_18offset_tEEE10hipError_tPvRmT1_PNSt15iterator_traitsISL_E10value_typeET2_T3_PNSM_ISR_E10value_typeET4_jRbjT5_SX_jjP12ihipStream_tbEUlT_E_NS1_11comp_targetILNS1_3genE8ELNS1_11target_archE1030ELNS1_3gpuE2ELNS1_3repE0EEENS1_30default_config_static_selectorELNS0_4arch9wavefront6targetE1EEEvSL_
		.amdhsa_group_segment_fixed_size 0
		.amdhsa_private_segment_fixed_size 0
		.amdhsa_kernarg_size 96
		.amdhsa_user_sgpr_count 6
		.amdhsa_user_sgpr_private_segment_buffer 1
		.amdhsa_user_sgpr_dispatch_ptr 0
		.amdhsa_user_sgpr_queue_ptr 0
		.amdhsa_user_sgpr_kernarg_segment_ptr 1
		.amdhsa_user_sgpr_dispatch_id 0
		.amdhsa_user_sgpr_flat_scratch_init 0
		.amdhsa_user_sgpr_private_segment_size 0
		.amdhsa_uses_dynamic_stack 0
		.amdhsa_system_sgpr_private_segment_wavefront_offset 0
		.amdhsa_system_sgpr_workgroup_id_x 1
		.amdhsa_system_sgpr_workgroup_id_y 0
		.amdhsa_system_sgpr_workgroup_id_z 0
		.amdhsa_system_sgpr_workgroup_info 0
		.amdhsa_system_vgpr_workitem_id 0
		.amdhsa_next_free_vgpr 1
		.amdhsa_next_free_sgpr 0
		.amdhsa_reserve_vcc 0
		.amdhsa_reserve_flat_scratch 0
		.amdhsa_float_round_mode_32 0
		.amdhsa_float_round_mode_16_64 0
		.amdhsa_float_denorm_mode_32 3
		.amdhsa_float_denorm_mode_16_64 3
		.amdhsa_dx10_clamp 1
		.amdhsa_ieee_mode 1
		.amdhsa_fp16_overflow 0
		.amdhsa_exception_fp_ieee_invalid_op 0
		.amdhsa_exception_fp_denorm_src 0
		.amdhsa_exception_fp_ieee_div_zero 0
		.amdhsa_exception_fp_ieee_overflow 0
		.amdhsa_exception_fp_ieee_underflow 0
		.amdhsa_exception_fp_ieee_inexact 0
		.amdhsa_exception_int_div_zero 0
	.end_amdhsa_kernel
	.section	.text._ZN7rocprim17ROCPRIM_400000_NS6detail17trampoline_kernelINS0_14default_configENS1_36segmented_radix_sort_config_selectorI12hip_bfloat16lEEZNS1_25segmented_radix_sort_implIS3_Lb0EPKS5_PS5_PKlPlN2at6native12_GLOBAL__N_18offset_tEEE10hipError_tPvRmT1_PNSt15iterator_traitsISL_E10value_typeET2_T3_PNSM_ISR_E10value_typeET4_jRbjT5_SX_jjP12ihipStream_tbEUlT_E_NS1_11comp_targetILNS1_3genE8ELNS1_11target_archE1030ELNS1_3gpuE2ELNS1_3repE0EEENS1_30default_config_static_selectorELNS0_4arch9wavefront6targetE1EEEvSL_,"axG",@progbits,_ZN7rocprim17ROCPRIM_400000_NS6detail17trampoline_kernelINS0_14default_configENS1_36segmented_radix_sort_config_selectorI12hip_bfloat16lEEZNS1_25segmented_radix_sort_implIS3_Lb0EPKS5_PS5_PKlPlN2at6native12_GLOBAL__N_18offset_tEEE10hipError_tPvRmT1_PNSt15iterator_traitsISL_E10value_typeET2_T3_PNSM_ISR_E10value_typeET4_jRbjT5_SX_jjP12ihipStream_tbEUlT_E_NS1_11comp_targetILNS1_3genE8ELNS1_11target_archE1030ELNS1_3gpuE2ELNS1_3repE0EEENS1_30default_config_static_selectorELNS0_4arch9wavefront6targetE1EEEvSL_,comdat
.Lfunc_end2058:
	.size	_ZN7rocprim17ROCPRIM_400000_NS6detail17trampoline_kernelINS0_14default_configENS1_36segmented_radix_sort_config_selectorI12hip_bfloat16lEEZNS1_25segmented_radix_sort_implIS3_Lb0EPKS5_PS5_PKlPlN2at6native12_GLOBAL__N_18offset_tEEE10hipError_tPvRmT1_PNSt15iterator_traitsISL_E10value_typeET2_T3_PNSM_ISR_E10value_typeET4_jRbjT5_SX_jjP12ihipStream_tbEUlT_E_NS1_11comp_targetILNS1_3genE8ELNS1_11target_archE1030ELNS1_3gpuE2ELNS1_3repE0EEENS1_30default_config_static_selectorELNS0_4arch9wavefront6targetE1EEEvSL_, .Lfunc_end2058-_ZN7rocprim17ROCPRIM_400000_NS6detail17trampoline_kernelINS0_14default_configENS1_36segmented_radix_sort_config_selectorI12hip_bfloat16lEEZNS1_25segmented_radix_sort_implIS3_Lb0EPKS5_PS5_PKlPlN2at6native12_GLOBAL__N_18offset_tEEE10hipError_tPvRmT1_PNSt15iterator_traitsISL_E10value_typeET2_T3_PNSM_ISR_E10value_typeET4_jRbjT5_SX_jjP12ihipStream_tbEUlT_E_NS1_11comp_targetILNS1_3genE8ELNS1_11target_archE1030ELNS1_3gpuE2ELNS1_3repE0EEENS1_30default_config_static_selectorELNS0_4arch9wavefront6targetE1EEEvSL_
                                        ; -- End function
	.set _ZN7rocprim17ROCPRIM_400000_NS6detail17trampoline_kernelINS0_14default_configENS1_36segmented_radix_sort_config_selectorI12hip_bfloat16lEEZNS1_25segmented_radix_sort_implIS3_Lb0EPKS5_PS5_PKlPlN2at6native12_GLOBAL__N_18offset_tEEE10hipError_tPvRmT1_PNSt15iterator_traitsISL_E10value_typeET2_T3_PNSM_ISR_E10value_typeET4_jRbjT5_SX_jjP12ihipStream_tbEUlT_E_NS1_11comp_targetILNS1_3genE8ELNS1_11target_archE1030ELNS1_3gpuE2ELNS1_3repE0EEENS1_30default_config_static_selectorELNS0_4arch9wavefront6targetE1EEEvSL_.num_vgpr, 0
	.set _ZN7rocprim17ROCPRIM_400000_NS6detail17trampoline_kernelINS0_14default_configENS1_36segmented_radix_sort_config_selectorI12hip_bfloat16lEEZNS1_25segmented_radix_sort_implIS3_Lb0EPKS5_PS5_PKlPlN2at6native12_GLOBAL__N_18offset_tEEE10hipError_tPvRmT1_PNSt15iterator_traitsISL_E10value_typeET2_T3_PNSM_ISR_E10value_typeET4_jRbjT5_SX_jjP12ihipStream_tbEUlT_E_NS1_11comp_targetILNS1_3genE8ELNS1_11target_archE1030ELNS1_3gpuE2ELNS1_3repE0EEENS1_30default_config_static_selectorELNS0_4arch9wavefront6targetE1EEEvSL_.num_agpr, 0
	.set _ZN7rocprim17ROCPRIM_400000_NS6detail17trampoline_kernelINS0_14default_configENS1_36segmented_radix_sort_config_selectorI12hip_bfloat16lEEZNS1_25segmented_radix_sort_implIS3_Lb0EPKS5_PS5_PKlPlN2at6native12_GLOBAL__N_18offset_tEEE10hipError_tPvRmT1_PNSt15iterator_traitsISL_E10value_typeET2_T3_PNSM_ISR_E10value_typeET4_jRbjT5_SX_jjP12ihipStream_tbEUlT_E_NS1_11comp_targetILNS1_3genE8ELNS1_11target_archE1030ELNS1_3gpuE2ELNS1_3repE0EEENS1_30default_config_static_selectorELNS0_4arch9wavefront6targetE1EEEvSL_.numbered_sgpr, 0
	.set _ZN7rocprim17ROCPRIM_400000_NS6detail17trampoline_kernelINS0_14default_configENS1_36segmented_radix_sort_config_selectorI12hip_bfloat16lEEZNS1_25segmented_radix_sort_implIS3_Lb0EPKS5_PS5_PKlPlN2at6native12_GLOBAL__N_18offset_tEEE10hipError_tPvRmT1_PNSt15iterator_traitsISL_E10value_typeET2_T3_PNSM_ISR_E10value_typeET4_jRbjT5_SX_jjP12ihipStream_tbEUlT_E_NS1_11comp_targetILNS1_3genE8ELNS1_11target_archE1030ELNS1_3gpuE2ELNS1_3repE0EEENS1_30default_config_static_selectorELNS0_4arch9wavefront6targetE1EEEvSL_.num_named_barrier, 0
	.set _ZN7rocprim17ROCPRIM_400000_NS6detail17trampoline_kernelINS0_14default_configENS1_36segmented_radix_sort_config_selectorI12hip_bfloat16lEEZNS1_25segmented_radix_sort_implIS3_Lb0EPKS5_PS5_PKlPlN2at6native12_GLOBAL__N_18offset_tEEE10hipError_tPvRmT1_PNSt15iterator_traitsISL_E10value_typeET2_T3_PNSM_ISR_E10value_typeET4_jRbjT5_SX_jjP12ihipStream_tbEUlT_E_NS1_11comp_targetILNS1_3genE8ELNS1_11target_archE1030ELNS1_3gpuE2ELNS1_3repE0EEENS1_30default_config_static_selectorELNS0_4arch9wavefront6targetE1EEEvSL_.private_seg_size, 0
	.set _ZN7rocprim17ROCPRIM_400000_NS6detail17trampoline_kernelINS0_14default_configENS1_36segmented_radix_sort_config_selectorI12hip_bfloat16lEEZNS1_25segmented_radix_sort_implIS3_Lb0EPKS5_PS5_PKlPlN2at6native12_GLOBAL__N_18offset_tEEE10hipError_tPvRmT1_PNSt15iterator_traitsISL_E10value_typeET2_T3_PNSM_ISR_E10value_typeET4_jRbjT5_SX_jjP12ihipStream_tbEUlT_E_NS1_11comp_targetILNS1_3genE8ELNS1_11target_archE1030ELNS1_3gpuE2ELNS1_3repE0EEENS1_30default_config_static_selectorELNS0_4arch9wavefront6targetE1EEEvSL_.uses_vcc, 0
	.set _ZN7rocprim17ROCPRIM_400000_NS6detail17trampoline_kernelINS0_14default_configENS1_36segmented_radix_sort_config_selectorI12hip_bfloat16lEEZNS1_25segmented_radix_sort_implIS3_Lb0EPKS5_PS5_PKlPlN2at6native12_GLOBAL__N_18offset_tEEE10hipError_tPvRmT1_PNSt15iterator_traitsISL_E10value_typeET2_T3_PNSM_ISR_E10value_typeET4_jRbjT5_SX_jjP12ihipStream_tbEUlT_E_NS1_11comp_targetILNS1_3genE8ELNS1_11target_archE1030ELNS1_3gpuE2ELNS1_3repE0EEENS1_30default_config_static_selectorELNS0_4arch9wavefront6targetE1EEEvSL_.uses_flat_scratch, 0
	.set _ZN7rocprim17ROCPRIM_400000_NS6detail17trampoline_kernelINS0_14default_configENS1_36segmented_radix_sort_config_selectorI12hip_bfloat16lEEZNS1_25segmented_radix_sort_implIS3_Lb0EPKS5_PS5_PKlPlN2at6native12_GLOBAL__N_18offset_tEEE10hipError_tPvRmT1_PNSt15iterator_traitsISL_E10value_typeET2_T3_PNSM_ISR_E10value_typeET4_jRbjT5_SX_jjP12ihipStream_tbEUlT_E_NS1_11comp_targetILNS1_3genE8ELNS1_11target_archE1030ELNS1_3gpuE2ELNS1_3repE0EEENS1_30default_config_static_selectorELNS0_4arch9wavefront6targetE1EEEvSL_.has_dyn_sized_stack, 0
	.set _ZN7rocprim17ROCPRIM_400000_NS6detail17trampoline_kernelINS0_14default_configENS1_36segmented_radix_sort_config_selectorI12hip_bfloat16lEEZNS1_25segmented_radix_sort_implIS3_Lb0EPKS5_PS5_PKlPlN2at6native12_GLOBAL__N_18offset_tEEE10hipError_tPvRmT1_PNSt15iterator_traitsISL_E10value_typeET2_T3_PNSM_ISR_E10value_typeET4_jRbjT5_SX_jjP12ihipStream_tbEUlT_E_NS1_11comp_targetILNS1_3genE8ELNS1_11target_archE1030ELNS1_3gpuE2ELNS1_3repE0EEENS1_30default_config_static_selectorELNS0_4arch9wavefront6targetE1EEEvSL_.has_recursion, 0
	.set _ZN7rocprim17ROCPRIM_400000_NS6detail17trampoline_kernelINS0_14default_configENS1_36segmented_radix_sort_config_selectorI12hip_bfloat16lEEZNS1_25segmented_radix_sort_implIS3_Lb0EPKS5_PS5_PKlPlN2at6native12_GLOBAL__N_18offset_tEEE10hipError_tPvRmT1_PNSt15iterator_traitsISL_E10value_typeET2_T3_PNSM_ISR_E10value_typeET4_jRbjT5_SX_jjP12ihipStream_tbEUlT_E_NS1_11comp_targetILNS1_3genE8ELNS1_11target_archE1030ELNS1_3gpuE2ELNS1_3repE0EEENS1_30default_config_static_selectorELNS0_4arch9wavefront6targetE1EEEvSL_.has_indirect_call, 0
	.section	.AMDGPU.csdata,"",@progbits
; Kernel info:
; codeLenInByte = 0
; TotalNumSgprs: 4
; NumVgprs: 0
; ScratchSize: 0
; MemoryBound: 0
; FloatMode: 240
; IeeeMode: 1
; LDSByteSize: 0 bytes/workgroup (compile time only)
; SGPRBlocks: 0
; VGPRBlocks: 0
; NumSGPRsForWavesPerEU: 4
; NumVGPRsForWavesPerEU: 1
; Occupancy: 10
; WaveLimiterHint : 0
; COMPUTE_PGM_RSRC2:SCRATCH_EN: 0
; COMPUTE_PGM_RSRC2:USER_SGPR: 6
; COMPUTE_PGM_RSRC2:TRAP_HANDLER: 0
; COMPUTE_PGM_RSRC2:TGID_X_EN: 1
; COMPUTE_PGM_RSRC2:TGID_Y_EN: 0
; COMPUTE_PGM_RSRC2:TGID_Z_EN: 0
; COMPUTE_PGM_RSRC2:TIDIG_COMP_CNT: 0
	.section	.text._ZN7rocprim17ROCPRIM_400000_NS6detail17trampoline_kernelINS0_14default_configENS1_36segmented_radix_sort_config_selectorI12hip_bfloat16lEEZNS1_25segmented_radix_sort_implIS3_Lb0EPKS5_PS5_PKlPlN2at6native12_GLOBAL__N_18offset_tEEE10hipError_tPvRmT1_PNSt15iterator_traitsISL_E10value_typeET2_T3_PNSM_ISR_E10value_typeET4_jRbjT5_SX_jjP12ihipStream_tbEUlT_E0_NS1_11comp_targetILNS1_3genE0ELNS1_11target_archE4294967295ELNS1_3gpuE0ELNS1_3repE0EEENS1_60segmented_radix_sort_warp_sort_medium_config_static_selectorELNS0_4arch9wavefront6targetE1EEEvSL_,"axG",@progbits,_ZN7rocprim17ROCPRIM_400000_NS6detail17trampoline_kernelINS0_14default_configENS1_36segmented_radix_sort_config_selectorI12hip_bfloat16lEEZNS1_25segmented_radix_sort_implIS3_Lb0EPKS5_PS5_PKlPlN2at6native12_GLOBAL__N_18offset_tEEE10hipError_tPvRmT1_PNSt15iterator_traitsISL_E10value_typeET2_T3_PNSM_ISR_E10value_typeET4_jRbjT5_SX_jjP12ihipStream_tbEUlT_E0_NS1_11comp_targetILNS1_3genE0ELNS1_11target_archE4294967295ELNS1_3gpuE0ELNS1_3repE0EEENS1_60segmented_radix_sort_warp_sort_medium_config_static_selectorELNS0_4arch9wavefront6targetE1EEEvSL_,comdat
	.globl	_ZN7rocprim17ROCPRIM_400000_NS6detail17trampoline_kernelINS0_14default_configENS1_36segmented_radix_sort_config_selectorI12hip_bfloat16lEEZNS1_25segmented_radix_sort_implIS3_Lb0EPKS5_PS5_PKlPlN2at6native12_GLOBAL__N_18offset_tEEE10hipError_tPvRmT1_PNSt15iterator_traitsISL_E10value_typeET2_T3_PNSM_ISR_E10value_typeET4_jRbjT5_SX_jjP12ihipStream_tbEUlT_E0_NS1_11comp_targetILNS1_3genE0ELNS1_11target_archE4294967295ELNS1_3gpuE0ELNS1_3repE0EEENS1_60segmented_radix_sort_warp_sort_medium_config_static_selectorELNS0_4arch9wavefront6targetE1EEEvSL_ ; -- Begin function _ZN7rocprim17ROCPRIM_400000_NS6detail17trampoline_kernelINS0_14default_configENS1_36segmented_radix_sort_config_selectorI12hip_bfloat16lEEZNS1_25segmented_radix_sort_implIS3_Lb0EPKS5_PS5_PKlPlN2at6native12_GLOBAL__N_18offset_tEEE10hipError_tPvRmT1_PNSt15iterator_traitsISL_E10value_typeET2_T3_PNSM_ISR_E10value_typeET4_jRbjT5_SX_jjP12ihipStream_tbEUlT_E0_NS1_11comp_targetILNS1_3genE0ELNS1_11target_archE4294967295ELNS1_3gpuE0ELNS1_3repE0EEENS1_60segmented_radix_sort_warp_sort_medium_config_static_selectorELNS0_4arch9wavefront6targetE1EEEvSL_
	.p2align	8
	.type	_ZN7rocprim17ROCPRIM_400000_NS6detail17trampoline_kernelINS0_14default_configENS1_36segmented_radix_sort_config_selectorI12hip_bfloat16lEEZNS1_25segmented_radix_sort_implIS3_Lb0EPKS5_PS5_PKlPlN2at6native12_GLOBAL__N_18offset_tEEE10hipError_tPvRmT1_PNSt15iterator_traitsISL_E10value_typeET2_T3_PNSM_ISR_E10value_typeET4_jRbjT5_SX_jjP12ihipStream_tbEUlT_E0_NS1_11comp_targetILNS1_3genE0ELNS1_11target_archE4294967295ELNS1_3gpuE0ELNS1_3repE0EEENS1_60segmented_radix_sort_warp_sort_medium_config_static_selectorELNS0_4arch9wavefront6targetE1EEEvSL_,@function
_ZN7rocprim17ROCPRIM_400000_NS6detail17trampoline_kernelINS0_14default_configENS1_36segmented_radix_sort_config_selectorI12hip_bfloat16lEEZNS1_25segmented_radix_sort_implIS3_Lb0EPKS5_PS5_PKlPlN2at6native12_GLOBAL__N_18offset_tEEE10hipError_tPvRmT1_PNSt15iterator_traitsISL_E10value_typeET2_T3_PNSM_ISR_E10value_typeET4_jRbjT5_SX_jjP12ihipStream_tbEUlT_E0_NS1_11comp_targetILNS1_3genE0ELNS1_11target_archE4294967295ELNS1_3gpuE0ELNS1_3repE0EEENS1_60segmented_radix_sort_warp_sort_medium_config_static_selectorELNS0_4arch9wavefront6targetE1EEEvSL_: ; @_ZN7rocprim17ROCPRIM_400000_NS6detail17trampoline_kernelINS0_14default_configENS1_36segmented_radix_sort_config_selectorI12hip_bfloat16lEEZNS1_25segmented_radix_sort_implIS3_Lb0EPKS5_PS5_PKlPlN2at6native12_GLOBAL__N_18offset_tEEE10hipError_tPvRmT1_PNSt15iterator_traitsISL_E10value_typeET2_T3_PNSM_ISR_E10value_typeET4_jRbjT5_SX_jjP12ihipStream_tbEUlT_E0_NS1_11comp_targetILNS1_3genE0ELNS1_11target_archE4294967295ELNS1_3gpuE0ELNS1_3repE0EEENS1_60segmented_radix_sort_warp_sort_medium_config_static_selectorELNS0_4arch9wavefront6targetE1EEEvSL_
; %bb.0:
	.section	.rodata,"a",@progbits
	.p2align	6, 0x0
	.amdhsa_kernel _ZN7rocprim17ROCPRIM_400000_NS6detail17trampoline_kernelINS0_14default_configENS1_36segmented_radix_sort_config_selectorI12hip_bfloat16lEEZNS1_25segmented_radix_sort_implIS3_Lb0EPKS5_PS5_PKlPlN2at6native12_GLOBAL__N_18offset_tEEE10hipError_tPvRmT1_PNSt15iterator_traitsISL_E10value_typeET2_T3_PNSM_ISR_E10value_typeET4_jRbjT5_SX_jjP12ihipStream_tbEUlT_E0_NS1_11comp_targetILNS1_3genE0ELNS1_11target_archE4294967295ELNS1_3gpuE0ELNS1_3repE0EEENS1_60segmented_radix_sort_warp_sort_medium_config_static_selectorELNS0_4arch9wavefront6targetE1EEEvSL_
		.amdhsa_group_segment_fixed_size 0
		.amdhsa_private_segment_fixed_size 0
		.amdhsa_kernarg_size 88
		.amdhsa_user_sgpr_count 6
		.amdhsa_user_sgpr_private_segment_buffer 1
		.amdhsa_user_sgpr_dispatch_ptr 0
		.amdhsa_user_sgpr_queue_ptr 0
		.amdhsa_user_sgpr_kernarg_segment_ptr 1
		.amdhsa_user_sgpr_dispatch_id 0
		.amdhsa_user_sgpr_flat_scratch_init 0
		.amdhsa_user_sgpr_private_segment_size 0
		.amdhsa_uses_dynamic_stack 0
		.amdhsa_system_sgpr_private_segment_wavefront_offset 0
		.amdhsa_system_sgpr_workgroup_id_x 1
		.amdhsa_system_sgpr_workgroup_id_y 0
		.amdhsa_system_sgpr_workgroup_id_z 0
		.amdhsa_system_sgpr_workgroup_info 0
		.amdhsa_system_vgpr_workitem_id 0
		.amdhsa_next_free_vgpr 1
		.amdhsa_next_free_sgpr 0
		.amdhsa_reserve_vcc 0
		.amdhsa_reserve_flat_scratch 0
		.amdhsa_float_round_mode_32 0
		.amdhsa_float_round_mode_16_64 0
		.amdhsa_float_denorm_mode_32 3
		.amdhsa_float_denorm_mode_16_64 3
		.amdhsa_dx10_clamp 1
		.amdhsa_ieee_mode 1
		.amdhsa_fp16_overflow 0
		.amdhsa_exception_fp_ieee_invalid_op 0
		.amdhsa_exception_fp_denorm_src 0
		.amdhsa_exception_fp_ieee_div_zero 0
		.amdhsa_exception_fp_ieee_overflow 0
		.amdhsa_exception_fp_ieee_underflow 0
		.amdhsa_exception_fp_ieee_inexact 0
		.amdhsa_exception_int_div_zero 0
	.end_amdhsa_kernel
	.section	.text._ZN7rocprim17ROCPRIM_400000_NS6detail17trampoline_kernelINS0_14default_configENS1_36segmented_radix_sort_config_selectorI12hip_bfloat16lEEZNS1_25segmented_radix_sort_implIS3_Lb0EPKS5_PS5_PKlPlN2at6native12_GLOBAL__N_18offset_tEEE10hipError_tPvRmT1_PNSt15iterator_traitsISL_E10value_typeET2_T3_PNSM_ISR_E10value_typeET4_jRbjT5_SX_jjP12ihipStream_tbEUlT_E0_NS1_11comp_targetILNS1_3genE0ELNS1_11target_archE4294967295ELNS1_3gpuE0ELNS1_3repE0EEENS1_60segmented_radix_sort_warp_sort_medium_config_static_selectorELNS0_4arch9wavefront6targetE1EEEvSL_,"axG",@progbits,_ZN7rocprim17ROCPRIM_400000_NS6detail17trampoline_kernelINS0_14default_configENS1_36segmented_radix_sort_config_selectorI12hip_bfloat16lEEZNS1_25segmented_radix_sort_implIS3_Lb0EPKS5_PS5_PKlPlN2at6native12_GLOBAL__N_18offset_tEEE10hipError_tPvRmT1_PNSt15iterator_traitsISL_E10value_typeET2_T3_PNSM_ISR_E10value_typeET4_jRbjT5_SX_jjP12ihipStream_tbEUlT_E0_NS1_11comp_targetILNS1_3genE0ELNS1_11target_archE4294967295ELNS1_3gpuE0ELNS1_3repE0EEENS1_60segmented_radix_sort_warp_sort_medium_config_static_selectorELNS0_4arch9wavefront6targetE1EEEvSL_,comdat
.Lfunc_end2059:
	.size	_ZN7rocprim17ROCPRIM_400000_NS6detail17trampoline_kernelINS0_14default_configENS1_36segmented_radix_sort_config_selectorI12hip_bfloat16lEEZNS1_25segmented_radix_sort_implIS3_Lb0EPKS5_PS5_PKlPlN2at6native12_GLOBAL__N_18offset_tEEE10hipError_tPvRmT1_PNSt15iterator_traitsISL_E10value_typeET2_T3_PNSM_ISR_E10value_typeET4_jRbjT5_SX_jjP12ihipStream_tbEUlT_E0_NS1_11comp_targetILNS1_3genE0ELNS1_11target_archE4294967295ELNS1_3gpuE0ELNS1_3repE0EEENS1_60segmented_radix_sort_warp_sort_medium_config_static_selectorELNS0_4arch9wavefront6targetE1EEEvSL_, .Lfunc_end2059-_ZN7rocprim17ROCPRIM_400000_NS6detail17trampoline_kernelINS0_14default_configENS1_36segmented_radix_sort_config_selectorI12hip_bfloat16lEEZNS1_25segmented_radix_sort_implIS3_Lb0EPKS5_PS5_PKlPlN2at6native12_GLOBAL__N_18offset_tEEE10hipError_tPvRmT1_PNSt15iterator_traitsISL_E10value_typeET2_T3_PNSM_ISR_E10value_typeET4_jRbjT5_SX_jjP12ihipStream_tbEUlT_E0_NS1_11comp_targetILNS1_3genE0ELNS1_11target_archE4294967295ELNS1_3gpuE0ELNS1_3repE0EEENS1_60segmented_radix_sort_warp_sort_medium_config_static_selectorELNS0_4arch9wavefront6targetE1EEEvSL_
                                        ; -- End function
	.set _ZN7rocprim17ROCPRIM_400000_NS6detail17trampoline_kernelINS0_14default_configENS1_36segmented_radix_sort_config_selectorI12hip_bfloat16lEEZNS1_25segmented_radix_sort_implIS3_Lb0EPKS5_PS5_PKlPlN2at6native12_GLOBAL__N_18offset_tEEE10hipError_tPvRmT1_PNSt15iterator_traitsISL_E10value_typeET2_T3_PNSM_ISR_E10value_typeET4_jRbjT5_SX_jjP12ihipStream_tbEUlT_E0_NS1_11comp_targetILNS1_3genE0ELNS1_11target_archE4294967295ELNS1_3gpuE0ELNS1_3repE0EEENS1_60segmented_radix_sort_warp_sort_medium_config_static_selectorELNS0_4arch9wavefront6targetE1EEEvSL_.num_vgpr, 0
	.set _ZN7rocprim17ROCPRIM_400000_NS6detail17trampoline_kernelINS0_14default_configENS1_36segmented_radix_sort_config_selectorI12hip_bfloat16lEEZNS1_25segmented_radix_sort_implIS3_Lb0EPKS5_PS5_PKlPlN2at6native12_GLOBAL__N_18offset_tEEE10hipError_tPvRmT1_PNSt15iterator_traitsISL_E10value_typeET2_T3_PNSM_ISR_E10value_typeET4_jRbjT5_SX_jjP12ihipStream_tbEUlT_E0_NS1_11comp_targetILNS1_3genE0ELNS1_11target_archE4294967295ELNS1_3gpuE0ELNS1_3repE0EEENS1_60segmented_radix_sort_warp_sort_medium_config_static_selectorELNS0_4arch9wavefront6targetE1EEEvSL_.num_agpr, 0
	.set _ZN7rocprim17ROCPRIM_400000_NS6detail17trampoline_kernelINS0_14default_configENS1_36segmented_radix_sort_config_selectorI12hip_bfloat16lEEZNS1_25segmented_radix_sort_implIS3_Lb0EPKS5_PS5_PKlPlN2at6native12_GLOBAL__N_18offset_tEEE10hipError_tPvRmT1_PNSt15iterator_traitsISL_E10value_typeET2_T3_PNSM_ISR_E10value_typeET4_jRbjT5_SX_jjP12ihipStream_tbEUlT_E0_NS1_11comp_targetILNS1_3genE0ELNS1_11target_archE4294967295ELNS1_3gpuE0ELNS1_3repE0EEENS1_60segmented_radix_sort_warp_sort_medium_config_static_selectorELNS0_4arch9wavefront6targetE1EEEvSL_.numbered_sgpr, 0
	.set _ZN7rocprim17ROCPRIM_400000_NS6detail17trampoline_kernelINS0_14default_configENS1_36segmented_radix_sort_config_selectorI12hip_bfloat16lEEZNS1_25segmented_radix_sort_implIS3_Lb0EPKS5_PS5_PKlPlN2at6native12_GLOBAL__N_18offset_tEEE10hipError_tPvRmT1_PNSt15iterator_traitsISL_E10value_typeET2_T3_PNSM_ISR_E10value_typeET4_jRbjT5_SX_jjP12ihipStream_tbEUlT_E0_NS1_11comp_targetILNS1_3genE0ELNS1_11target_archE4294967295ELNS1_3gpuE0ELNS1_3repE0EEENS1_60segmented_radix_sort_warp_sort_medium_config_static_selectorELNS0_4arch9wavefront6targetE1EEEvSL_.num_named_barrier, 0
	.set _ZN7rocprim17ROCPRIM_400000_NS6detail17trampoline_kernelINS0_14default_configENS1_36segmented_radix_sort_config_selectorI12hip_bfloat16lEEZNS1_25segmented_radix_sort_implIS3_Lb0EPKS5_PS5_PKlPlN2at6native12_GLOBAL__N_18offset_tEEE10hipError_tPvRmT1_PNSt15iterator_traitsISL_E10value_typeET2_T3_PNSM_ISR_E10value_typeET4_jRbjT5_SX_jjP12ihipStream_tbEUlT_E0_NS1_11comp_targetILNS1_3genE0ELNS1_11target_archE4294967295ELNS1_3gpuE0ELNS1_3repE0EEENS1_60segmented_radix_sort_warp_sort_medium_config_static_selectorELNS0_4arch9wavefront6targetE1EEEvSL_.private_seg_size, 0
	.set _ZN7rocprim17ROCPRIM_400000_NS6detail17trampoline_kernelINS0_14default_configENS1_36segmented_radix_sort_config_selectorI12hip_bfloat16lEEZNS1_25segmented_radix_sort_implIS3_Lb0EPKS5_PS5_PKlPlN2at6native12_GLOBAL__N_18offset_tEEE10hipError_tPvRmT1_PNSt15iterator_traitsISL_E10value_typeET2_T3_PNSM_ISR_E10value_typeET4_jRbjT5_SX_jjP12ihipStream_tbEUlT_E0_NS1_11comp_targetILNS1_3genE0ELNS1_11target_archE4294967295ELNS1_3gpuE0ELNS1_3repE0EEENS1_60segmented_radix_sort_warp_sort_medium_config_static_selectorELNS0_4arch9wavefront6targetE1EEEvSL_.uses_vcc, 0
	.set _ZN7rocprim17ROCPRIM_400000_NS6detail17trampoline_kernelINS0_14default_configENS1_36segmented_radix_sort_config_selectorI12hip_bfloat16lEEZNS1_25segmented_radix_sort_implIS3_Lb0EPKS5_PS5_PKlPlN2at6native12_GLOBAL__N_18offset_tEEE10hipError_tPvRmT1_PNSt15iterator_traitsISL_E10value_typeET2_T3_PNSM_ISR_E10value_typeET4_jRbjT5_SX_jjP12ihipStream_tbEUlT_E0_NS1_11comp_targetILNS1_3genE0ELNS1_11target_archE4294967295ELNS1_3gpuE0ELNS1_3repE0EEENS1_60segmented_radix_sort_warp_sort_medium_config_static_selectorELNS0_4arch9wavefront6targetE1EEEvSL_.uses_flat_scratch, 0
	.set _ZN7rocprim17ROCPRIM_400000_NS6detail17trampoline_kernelINS0_14default_configENS1_36segmented_radix_sort_config_selectorI12hip_bfloat16lEEZNS1_25segmented_radix_sort_implIS3_Lb0EPKS5_PS5_PKlPlN2at6native12_GLOBAL__N_18offset_tEEE10hipError_tPvRmT1_PNSt15iterator_traitsISL_E10value_typeET2_T3_PNSM_ISR_E10value_typeET4_jRbjT5_SX_jjP12ihipStream_tbEUlT_E0_NS1_11comp_targetILNS1_3genE0ELNS1_11target_archE4294967295ELNS1_3gpuE0ELNS1_3repE0EEENS1_60segmented_radix_sort_warp_sort_medium_config_static_selectorELNS0_4arch9wavefront6targetE1EEEvSL_.has_dyn_sized_stack, 0
	.set _ZN7rocprim17ROCPRIM_400000_NS6detail17trampoline_kernelINS0_14default_configENS1_36segmented_radix_sort_config_selectorI12hip_bfloat16lEEZNS1_25segmented_radix_sort_implIS3_Lb0EPKS5_PS5_PKlPlN2at6native12_GLOBAL__N_18offset_tEEE10hipError_tPvRmT1_PNSt15iterator_traitsISL_E10value_typeET2_T3_PNSM_ISR_E10value_typeET4_jRbjT5_SX_jjP12ihipStream_tbEUlT_E0_NS1_11comp_targetILNS1_3genE0ELNS1_11target_archE4294967295ELNS1_3gpuE0ELNS1_3repE0EEENS1_60segmented_radix_sort_warp_sort_medium_config_static_selectorELNS0_4arch9wavefront6targetE1EEEvSL_.has_recursion, 0
	.set _ZN7rocprim17ROCPRIM_400000_NS6detail17trampoline_kernelINS0_14default_configENS1_36segmented_radix_sort_config_selectorI12hip_bfloat16lEEZNS1_25segmented_radix_sort_implIS3_Lb0EPKS5_PS5_PKlPlN2at6native12_GLOBAL__N_18offset_tEEE10hipError_tPvRmT1_PNSt15iterator_traitsISL_E10value_typeET2_T3_PNSM_ISR_E10value_typeET4_jRbjT5_SX_jjP12ihipStream_tbEUlT_E0_NS1_11comp_targetILNS1_3genE0ELNS1_11target_archE4294967295ELNS1_3gpuE0ELNS1_3repE0EEENS1_60segmented_radix_sort_warp_sort_medium_config_static_selectorELNS0_4arch9wavefront6targetE1EEEvSL_.has_indirect_call, 0
	.section	.AMDGPU.csdata,"",@progbits
; Kernel info:
; codeLenInByte = 0
; TotalNumSgprs: 4
; NumVgprs: 0
; ScratchSize: 0
; MemoryBound: 0
; FloatMode: 240
; IeeeMode: 1
; LDSByteSize: 0 bytes/workgroup (compile time only)
; SGPRBlocks: 0
; VGPRBlocks: 0
; NumSGPRsForWavesPerEU: 4
; NumVGPRsForWavesPerEU: 1
; Occupancy: 10
; WaveLimiterHint : 0
; COMPUTE_PGM_RSRC2:SCRATCH_EN: 0
; COMPUTE_PGM_RSRC2:USER_SGPR: 6
; COMPUTE_PGM_RSRC2:TRAP_HANDLER: 0
; COMPUTE_PGM_RSRC2:TGID_X_EN: 1
; COMPUTE_PGM_RSRC2:TGID_Y_EN: 0
; COMPUTE_PGM_RSRC2:TGID_Z_EN: 0
; COMPUTE_PGM_RSRC2:TIDIG_COMP_CNT: 0
	.section	.text._ZN7rocprim17ROCPRIM_400000_NS6detail17trampoline_kernelINS0_14default_configENS1_36segmented_radix_sort_config_selectorI12hip_bfloat16lEEZNS1_25segmented_radix_sort_implIS3_Lb0EPKS5_PS5_PKlPlN2at6native12_GLOBAL__N_18offset_tEEE10hipError_tPvRmT1_PNSt15iterator_traitsISL_E10value_typeET2_T3_PNSM_ISR_E10value_typeET4_jRbjT5_SX_jjP12ihipStream_tbEUlT_E0_NS1_11comp_targetILNS1_3genE5ELNS1_11target_archE942ELNS1_3gpuE9ELNS1_3repE0EEENS1_60segmented_radix_sort_warp_sort_medium_config_static_selectorELNS0_4arch9wavefront6targetE1EEEvSL_,"axG",@progbits,_ZN7rocprim17ROCPRIM_400000_NS6detail17trampoline_kernelINS0_14default_configENS1_36segmented_radix_sort_config_selectorI12hip_bfloat16lEEZNS1_25segmented_radix_sort_implIS3_Lb0EPKS5_PS5_PKlPlN2at6native12_GLOBAL__N_18offset_tEEE10hipError_tPvRmT1_PNSt15iterator_traitsISL_E10value_typeET2_T3_PNSM_ISR_E10value_typeET4_jRbjT5_SX_jjP12ihipStream_tbEUlT_E0_NS1_11comp_targetILNS1_3genE5ELNS1_11target_archE942ELNS1_3gpuE9ELNS1_3repE0EEENS1_60segmented_radix_sort_warp_sort_medium_config_static_selectorELNS0_4arch9wavefront6targetE1EEEvSL_,comdat
	.globl	_ZN7rocprim17ROCPRIM_400000_NS6detail17trampoline_kernelINS0_14default_configENS1_36segmented_radix_sort_config_selectorI12hip_bfloat16lEEZNS1_25segmented_radix_sort_implIS3_Lb0EPKS5_PS5_PKlPlN2at6native12_GLOBAL__N_18offset_tEEE10hipError_tPvRmT1_PNSt15iterator_traitsISL_E10value_typeET2_T3_PNSM_ISR_E10value_typeET4_jRbjT5_SX_jjP12ihipStream_tbEUlT_E0_NS1_11comp_targetILNS1_3genE5ELNS1_11target_archE942ELNS1_3gpuE9ELNS1_3repE0EEENS1_60segmented_radix_sort_warp_sort_medium_config_static_selectorELNS0_4arch9wavefront6targetE1EEEvSL_ ; -- Begin function _ZN7rocprim17ROCPRIM_400000_NS6detail17trampoline_kernelINS0_14default_configENS1_36segmented_radix_sort_config_selectorI12hip_bfloat16lEEZNS1_25segmented_radix_sort_implIS3_Lb0EPKS5_PS5_PKlPlN2at6native12_GLOBAL__N_18offset_tEEE10hipError_tPvRmT1_PNSt15iterator_traitsISL_E10value_typeET2_T3_PNSM_ISR_E10value_typeET4_jRbjT5_SX_jjP12ihipStream_tbEUlT_E0_NS1_11comp_targetILNS1_3genE5ELNS1_11target_archE942ELNS1_3gpuE9ELNS1_3repE0EEENS1_60segmented_radix_sort_warp_sort_medium_config_static_selectorELNS0_4arch9wavefront6targetE1EEEvSL_
	.p2align	8
	.type	_ZN7rocprim17ROCPRIM_400000_NS6detail17trampoline_kernelINS0_14default_configENS1_36segmented_radix_sort_config_selectorI12hip_bfloat16lEEZNS1_25segmented_radix_sort_implIS3_Lb0EPKS5_PS5_PKlPlN2at6native12_GLOBAL__N_18offset_tEEE10hipError_tPvRmT1_PNSt15iterator_traitsISL_E10value_typeET2_T3_PNSM_ISR_E10value_typeET4_jRbjT5_SX_jjP12ihipStream_tbEUlT_E0_NS1_11comp_targetILNS1_3genE5ELNS1_11target_archE942ELNS1_3gpuE9ELNS1_3repE0EEENS1_60segmented_radix_sort_warp_sort_medium_config_static_selectorELNS0_4arch9wavefront6targetE1EEEvSL_,@function
_ZN7rocprim17ROCPRIM_400000_NS6detail17trampoline_kernelINS0_14default_configENS1_36segmented_radix_sort_config_selectorI12hip_bfloat16lEEZNS1_25segmented_radix_sort_implIS3_Lb0EPKS5_PS5_PKlPlN2at6native12_GLOBAL__N_18offset_tEEE10hipError_tPvRmT1_PNSt15iterator_traitsISL_E10value_typeET2_T3_PNSM_ISR_E10value_typeET4_jRbjT5_SX_jjP12ihipStream_tbEUlT_E0_NS1_11comp_targetILNS1_3genE5ELNS1_11target_archE942ELNS1_3gpuE9ELNS1_3repE0EEENS1_60segmented_radix_sort_warp_sort_medium_config_static_selectorELNS0_4arch9wavefront6targetE1EEEvSL_: ; @_ZN7rocprim17ROCPRIM_400000_NS6detail17trampoline_kernelINS0_14default_configENS1_36segmented_radix_sort_config_selectorI12hip_bfloat16lEEZNS1_25segmented_radix_sort_implIS3_Lb0EPKS5_PS5_PKlPlN2at6native12_GLOBAL__N_18offset_tEEE10hipError_tPvRmT1_PNSt15iterator_traitsISL_E10value_typeET2_T3_PNSM_ISR_E10value_typeET4_jRbjT5_SX_jjP12ihipStream_tbEUlT_E0_NS1_11comp_targetILNS1_3genE5ELNS1_11target_archE942ELNS1_3gpuE9ELNS1_3repE0EEENS1_60segmented_radix_sort_warp_sort_medium_config_static_selectorELNS0_4arch9wavefront6targetE1EEEvSL_
; %bb.0:
	.section	.rodata,"a",@progbits
	.p2align	6, 0x0
	.amdhsa_kernel _ZN7rocprim17ROCPRIM_400000_NS6detail17trampoline_kernelINS0_14default_configENS1_36segmented_radix_sort_config_selectorI12hip_bfloat16lEEZNS1_25segmented_radix_sort_implIS3_Lb0EPKS5_PS5_PKlPlN2at6native12_GLOBAL__N_18offset_tEEE10hipError_tPvRmT1_PNSt15iterator_traitsISL_E10value_typeET2_T3_PNSM_ISR_E10value_typeET4_jRbjT5_SX_jjP12ihipStream_tbEUlT_E0_NS1_11comp_targetILNS1_3genE5ELNS1_11target_archE942ELNS1_3gpuE9ELNS1_3repE0EEENS1_60segmented_radix_sort_warp_sort_medium_config_static_selectorELNS0_4arch9wavefront6targetE1EEEvSL_
		.amdhsa_group_segment_fixed_size 0
		.amdhsa_private_segment_fixed_size 0
		.amdhsa_kernarg_size 88
		.amdhsa_user_sgpr_count 6
		.amdhsa_user_sgpr_private_segment_buffer 1
		.amdhsa_user_sgpr_dispatch_ptr 0
		.amdhsa_user_sgpr_queue_ptr 0
		.amdhsa_user_sgpr_kernarg_segment_ptr 1
		.amdhsa_user_sgpr_dispatch_id 0
		.amdhsa_user_sgpr_flat_scratch_init 0
		.amdhsa_user_sgpr_private_segment_size 0
		.amdhsa_uses_dynamic_stack 0
		.amdhsa_system_sgpr_private_segment_wavefront_offset 0
		.amdhsa_system_sgpr_workgroup_id_x 1
		.amdhsa_system_sgpr_workgroup_id_y 0
		.amdhsa_system_sgpr_workgroup_id_z 0
		.amdhsa_system_sgpr_workgroup_info 0
		.amdhsa_system_vgpr_workitem_id 0
		.amdhsa_next_free_vgpr 1
		.amdhsa_next_free_sgpr 0
		.amdhsa_reserve_vcc 0
		.amdhsa_reserve_flat_scratch 0
		.amdhsa_float_round_mode_32 0
		.amdhsa_float_round_mode_16_64 0
		.amdhsa_float_denorm_mode_32 3
		.amdhsa_float_denorm_mode_16_64 3
		.amdhsa_dx10_clamp 1
		.amdhsa_ieee_mode 1
		.amdhsa_fp16_overflow 0
		.amdhsa_exception_fp_ieee_invalid_op 0
		.amdhsa_exception_fp_denorm_src 0
		.amdhsa_exception_fp_ieee_div_zero 0
		.amdhsa_exception_fp_ieee_overflow 0
		.amdhsa_exception_fp_ieee_underflow 0
		.amdhsa_exception_fp_ieee_inexact 0
		.amdhsa_exception_int_div_zero 0
	.end_amdhsa_kernel
	.section	.text._ZN7rocprim17ROCPRIM_400000_NS6detail17trampoline_kernelINS0_14default_configENS1_36segmented_radix_sort_config_selectorI12hip_bfloat16lEEZNS1_25segmented_radix_sort_implIS3_Lb0EPKS5_PS5_PKlPlN2at6native12_GLOBAL__N_18offset_tEEE10hipError_tPvRmT1_PNSt15iterator_traitsISL_E10value_typeET2_T3_PNSM_ISR_E10value_typeET4_jRbjT5_SX_jjP12ihipStream_tbEUlT_E0_NS1_11comp_targetILNS1_3genE5ELNS1_11target_archE942ELNS1_3gpuE9ELNS1_3repE0EEENS1_60segmented_radix_sort_warp_sort_medium_config_static_selectorELNS0_4arch9wavefront6targetE1EEEvSL_,"axG",@progbits,_ZN7rocprim17ROCPRIM_400000_NS6detail17trampoline_kernelINS0_14default_configENS1_36segmented_radix_sort_config_selectorI12hip_bfloat16lEEZNS1_25segmented_radix_sort_implIS3_Lb0EPKS5_PS5_PKlPlN2at6native12_GLOBAL__N_18offset_tEEE10hipError_tPvRmT1_PNSt15iterator_traitsISL_E10value_typeET2_T3_PNSM_ISR_E10value_typeET4_jRbjT5_SX_jjP12ihipStream_tbEUlT_E0_NS1_11comp_targetILNS1_3genE5ELNS1_11target_archE942ELNS1_3gpuE9ELNS1_3repE0EEENS1_60segmented_radix_sort_warp_sort_medium_config_static_selectorELNS0_4arch9wavefront6targetE1EEEvSL_,comdat
.Lfunc_end2060:
	.size	_ZN7rocprim17ROCPRIM_400000_NS6detail17trampoline_kernelINS0_14default_configENS1_36segmented_radix_sort_config_selectorI12hip_bfloat16lEEZNS1_25segmented_radix_sort_implIS3_Lb0EPKS5_PS5_PKlPlN2at6native12_GLOBAL__N_18offset_tEEE10hipError_tPvRmT1_PNSt15iterator_traitsISL_E10value_typeET2_T3_PNSM_ISR_E10value_typeET4_jRbjT5_SX_jjP12ihipStream_tbEUlT_E0_NS1_11comp_targetILNS1_3genE5ELNS1_11target_archE942ELNS1_3gpuE9ELNS1_3repE0EEENS1_60segmented_radix_sort_warp_sort_medium_config_static_selectorELNS0_4arch9wavefront6targetE1EEEvSL_, .Lfunc_end2060-_ZN7rocprim17ROCPRIM_400000_NS6detail17trampoline_kernelINS0_14default_configENS1_36segmented_radix_sort_config_selectorI12hip_bfloat16lEEZNS1_25segmented_radix_sort_implIS3_Lb0EPKS5_PS5_PKlPlN2at6native12_GLOBAL__N_18offset_tEEE10hipError_tPvRmT1_PNSt15iterator_traitsISL_E10value_typeET2_T3_PNSM_ISR_E10value_typeET4_jRbjT5_SX_jjP12ihipStream_tbEUlT_E0_NS1_11comp_targetILNS1_3genE5ELNS1_11target_archE942ELNS1_3gpuE9ELNS1_3repE0EEENS1_60segmented_radix_sort_warp_sort_medium_config_static_selectorELNS0_4arch9wavefront6targetE1EEEvSL_
                                        ; -- End function
	.set _ZN7rocprim17ROCPRIM_400000_NS6detail17trampoline_kernelINS0_14default_configENS1_36segmented_radix_sort_config_selectorI12hip_bfloat16lEEZNS1_25segmented_radix_sort_implIS3_Lb0EPKS5_PS5_PKlPlN2at6native12_GLOBAL__N_18offset_tEEE10hipError_tPvRmT1_PNSt15iterator_traitsISL_E10value_typeET2_T3_PNSM_ISR_E10value_typeET4_jRbjT5_SX_jjP12ihipStream_tbEUlT_E0_NS1_11comp_targetILNS1_3genE5ELNS1_11target_archE942ELNS1_3gpuE9ELNS1_3repE0EEENS1_60segmented_radix_sort_warp_sort_medium_config_static_selectorELNS0_4arch9wavefront6targetE1EEEvSL_.num_vgpr, 0
	.set _ZN7rocprim17ROCPRIM_400000_NS6detail17trampoline_kernelINS0_14default_configENS1_36segmented_radix_sort_config_selectorI12hip_bfloat16lEEZNS1_25segmented_radix_sort_implIS3_Lb0EPKS5_PS5_PKlPlN2at6native12_GLOBAL__N_18offset_tEEE10hipError_tPvRmT1_PNSt15iterator_traitsISL_E10value_typeET2_T3_PNSM_ISR_E10value_typeET4_jRbjT5_SX_jjP12ihipStream_tbEUlT_E0_NS1_11comp_targetILNS1_3genE5ELNS1_11target_archE942ELNS1_3gpuE9ELNS1_3repE0EEENS1_60segmented_radix_sort_warp_sort_medium_config_static_selectorELNS0_4arch9wavefront6targetE1EEEvSL_.num_agpr, 0
	.set _ZN7rocprim17ROCPRIM_400000_NS6detail17trampoline_kernelINS0_14default_configENS1_36segmented_radix_sort_config_selectorI12hip_bfloat16lEEZNS1_25segmented_radix_sort_implIS3_Lb0EPKS5_PS5_PKlPlN2at6native12_GLOBAL__N_18offset_tEEE10hipError_tPvRmT1_PNSt15iterator_traitsISL_E10value_typeET2_T3_PNSM_ISR_E10value_typeET4_jRbjT5_SX_jjP12ihipStream_tbEUlT_E0_NS1_11comp_targetILNS1_3genE5ELNS1_11target_archE942ELNS1_3gpuE9ELNS1_3repE0EEENS1_60segmented_radix_sort_warp_sort_medium_config_static_selectorELNS0_4arch9wavefront6targetE1EEEvSL_.numbered_sgpr, 0
	.set _ZN7rocprim17ROCPRIM_400000_NS6detail17trampoline_kernelINS0_14default_configENS1_36segmented_radix_sort_config_selectorI12hip_bfloat16lEEZNS1_25segmented_radix_sort_implIS3_Lb0EPKS5_PS5_PKlPlN2at6native12_GLOBAL__N_18offset_tEEE10hipError_tPvRmT1_PNSt15iterator_traitsISL_E10value_typeET2_T3_PNSM_ISR_E10value_typeET4_jRbjT5_SX_jjP12ihipStream_tbEUlT_E0_NS1_11comp_targetILNS1_3genE5ELNS1_11target_archE942ELNS1_3gpuE9ELNS1_3repE0EEENS1_60segmented_radix_sort_warp_sort_medium_config_static_selectorELNS0_4arch9wavefront6targetE1EEEvSL_.num_named_barrier, 0
	.set _ZN7rocprim17ROCPRIM_400000_NS6detail17trampoline_kernelINS0_14default_configENS1_36segmented_radix_sort_config_selectorI12hip_bfloat16lEEZNS1_25segmented_radix_sort_implIS3_Lb0EPKS5_PS5_PKlPlN2at6native12_GLOBAL__N_18offset_tEEE10hipError_tPvRmT1_PNSt15iterator_traitsISL_E10value_typeET2_T3_PNSM_ISR_E10value_typeET4_jRbjT5_SX_jjP12ihipStream_tbEUlT_E0_NS1_11comp_targetILNS1_3genE5ELNS1_11target_archE942ELNS1_3gpuE9ELNS1_3repE0EEENS1_60segmented_radix_sort_warp_sort_medium_config_static_selectorELNS0_4arch9wavefront6targetE1EEEvSL_.private_seg_size, 0
	.set _ZN7rocprim17ROCPRIM_400000_NS6detail17trampoline_kernelINS0_14default_configENS1_36segmented_radix_sort_config_selectorI12hip_bfloat16lEEZNS1_25segmented_radix_sort_implIS3_Lb0EPKS5_PS5_PKlPlN2at6native12_GLOBAL__N_18offset_tEEE10hipError_tPvRmT1_PNSt15iterator_traitsISL_E10value_typeET2_T3_PNSM_ISR_E10value_typeET4_jRbjT5_SX_jjP12ihipStream_tbEUlT_E0_NS1_11comp_targetILNS1_3genE5ELNS1_11target_archE942ELNS1_3gpuE9ELNS1_3repE0EEENS1_60segmented_radix_sort_warp_sort_medium_config_static_selectorELNS0_4arch9wavefront6targetE1EEEvSL_.uses_vcc, 0
	.set _ZN7rocprim17ROCPRIM_400000_NS6detail17trampoline_kernelINS0_14default_configENS1_36segmented_radix_sort_config_selectorI12hip_bfloat16lEEZNS1_25segmented_radix_sort_implIS3_Lb0EPKS5_PS5_PKlPlN2at6native12_GLOBAL__N_18offset_tEEE10hipError_tPvRmT1_PNSt15iterator_traitsISL_E10value_typeET2_T3_PNSM_ISR_E10value_typeET4_jRbjT5_SX_jjP12ihipStream_tbEUlT_E0_NS1_11comp_targetILNS1_3genE5ELNS1_11target_archE942ELNS1_3gpuE9ELNS1_3repE0EEENS1_60segmented_radix_sort_warp_sort_medium_config_static_selectorELNS0_4arch9wavefront6targetE1EEEvSL_.uses_flat_scratch, 0
	.set _ZN7rocprim17ROCPRIM_400000_NS6detail17trampoline_kernelINS0_14default_configENS1_36segmented_radix_sort_config_selectorI12hip_bfloat16lEEZNS1_25segmented_radix_sort_implIS3_Lb0EPKS5_PS5_PKlPlN2at6native12_GLOBAL__N_18offset_tEEE10hipError_tPvRmT1_PNSt15iterator_traitsISL_E10value_typeET2_T3_PNSM_ISR_E10value_typeET4_jRbjT5_SX_jjP12ihipStream_tbEUlT_E0_NS1_11comp_targetILNS1_3genE5ELNS1_11target_archE942ELNS1_3gpuE9ELNS1_3repE0EEENS1_60segmented_radix_sort_warp_sort_medium_config_static_selectorELNS0_4arch9wavefront6targetE1EEEvSL_.has_dyn_sized_stack, 0
	.set _ZN7rocprim17ROCPRIM_400000_NS6detail17trampoline_kernelINS0_14default_configENS1_36segmented_radix_sort_config_selectorI12hip_bfloat16lEEZNS1_25segmented_radix_sort_implIS3_Lb0EPKS5_PS5_PKlPlN2at6native12_GLOBAL__N_18offset_tEEE10hipError_tPvRmT1_PNSt15iterator_traitsISL_E10value_typeET2_T3_PNSM_ISR_E10value_typeET4_jRbjT5_SX_jjP12ihipStream_tbEUlT_E0_NS1_11comp_targetILNS1_3genE5ELNS1_11target_archE942ELNS1_3gpuE9ELNS1_3repE0EEENS1_60segmented_radix_sort_warp_sort_medium_config_static_selectorELNS0_4arch9wavefront6targetE1EEEvSL_.has_recursion, 0
	.set _ZN7rocprim17ROCPRIM_400000_NS6detail17trampoline_kernelINS0_14default_configENS1_36segmented_radix_sort_config_selectorI12hip_bfloat16lEEZNS1_25segmented_radix_sort_implIS3_Lb0EPKS5_PS5_PKlPlN2at6native12_GLOBAL__N_18offset_tEEE10hipError_tPvRmT1_PNSt15iterator_traitsISL_E10value_typeET2_T3_PNSM_ISR_E10value_typeET4_jRbjT5_SX_jjP12ihipStream_tbEUlT_E0_NS1_11comp_targetILNS1_3genE5ELNS1_11target_archE942ELNS1_3gpuE9ELNS1_3repE0EEENS1_60segmented_radix_sort_warp_sort_medium_config_static_selectorELNS0_4arch9wavefront6targetE1EEEvSL_.has_indirect_call, 0
	.section	.AMDGPU.csdata,"",@progbits
; Kernel info:
; codeLenInByte = 0
; TotalNumSgprs: 4
; NumVgprs: 0
; ScratchSize: 0
; MemoryBound: 0
; FloatMode: 240
; IeeeMode: 1
; LDSByteSize: 0 bytes/workgroup (compile time only)
; SGPRBlocks: 0
; VGPRBlocks: 0
; NumSGPRsForWavesPerEU: 4
; NumVGPRsForWavesPerEU: 1
; Occupancy: 10
; WaveLimiterHint : 0
; COMPUTE_PGM_RSRC2:SCRATCH_EN: 0
; COMPUTE_PGM_RSRC2:USER_SGPR: 6
; COMPUTE_PGM_RSRC2:TRAP_HANDLER: 0
; COMPUTE_PGM_RSRC2:TGID_X_EN: 1
; COMPUTE_PGM_RSRC2:TGID_Y_EN: 0
; COMPUTE_PGM_RSRC2:TGID_Z_EN: 0
; COMPUTE_PGM_RSRC2:TIDIG_COMP_CNT: 0
	.section	.text._ZN7rocprim17ROCPRIM_400000_NS6detail17trampoline_kernelINS0_14default_configENS1_36segmented_radix_sort_config_selectorI12hip_bfloat16lEEZNS1_25segmented_radix_sort_implIS3_Lb0EPKS5_PS5_PKlPlN2at6native12_GLOBAL__N_18offset_tEEE10hipError_tPvRmT1_PNSt15iterator_traitsISL_E10value_typeET2_T3_PNSM_ISR_E10value_typeET4_jRbjT5_SX_jjP12ihipStream_tbEUlT_E0_NS1_11comp_targetILNS1_3genE4ELNS1_11target_archE910ELNS1_3gpuE8ELNS1_3repE0EEENS1_60segmented_radix_sort_warp_sort_medium_config_static_selectorELNS0_4arch9wavefront6targetE1EEEvSL_,"axG",@progbits,_ZN7rocprim17ROCPRIM_400000_NS6detail17trampoline_kernelINS0_14default_configENS1_36segmented_radix_sort_config_selectorI12hip_bfloat16lEEZNS1_25segmented_radix_sort_implIS3_Lb0EPKS5_PS5_PKlPlN2at6native12_GLOBAL__N_18offset_tEEE10hipError_tPvRmT1_PNSt15iterator_traitsISL_E10value_typeET2_T3_PNSM_ISR_E10value_typeET4_jRbjT5_SX_jjP12ihipStream_tbEUlT_E0_NS1_11comp_targetILNS1_3genE4ELNS1_11target_archE910ELNS1_3gpuE8ELNS1_3repE0EEENS1_60segmented_radix_sort_warp_sort_medium_config_static_selectorELNS0_4arch9wavefront6targetE1EEEvSL_,comdat
	.globl	_ZN7rocprim17ROCPRIM_400000_NS6detail17trampoline_kernelINS0_14default_configENS1_36segmented_radix_sort_config_selectorI12hip_bfloat16lEEZNS1_25segmented_radix_sort_implIS3_Lb0EPKS5_PS5_PKlPlN2at6native12_GLOBAL__N_18offset_tEEE10hipError_tPvRmT1_PNSt15iterator_traitsISL_E10value_typeET2_T3_PNSM_ISR_E10value_typeET4_jRbjT5_SX_jjP12ihipStream_tbEUlT_E0_NS1_11comp_targetILNS1_3genE4ELNS1_11target_archE910ELNS1_3gpuE8ELNS1_3repE0EEENS1_60segmented_radix_sort_warp_sort_medium_config_static_selectorELNS0_4arch9wavefront6targetE1EEEvSL_ ; -- Begin function _ZN7rocprim17ROCPRIM_400000_NS6detail17trampoline_kernelINS0_14default_configENS1_36segmented_radix_sort_config_selectorI12hip_bfloat16lEEZNS1_25segmented_radix_sort_implIS3_Lb0EPKS5_PS5_PKlPlN2at6native12_GLOBAL__N_18offset_tEEE10hipError_tPvRmT1_PNSt15iterator_traitsISL_E10value_typeET2_T3_PNSM_ISR_E10value_typeET4_jRbjT5_SX_jjP12ihipStream_tbEUlT_E0_NS1_11comp_targetILNS1_3genE4ELNS1_11target_archE910ELNS1_3gpuE8ELNS1_3repE0EEENS1_60segmented_radix_sort_warp_sort_medium_config_static_selectorELNS0_4arch9wavefront6targetE1EEEvSL_
	.p2align	8
	.type	_ZN7rocprim17ROCPRIM_400000_NS6detail17trampoline_kernelINS0_14default_configENS1_36segmented_radix_sort_config_selectorI12hip_bfloat16lEEZNS1_25segmented_radix_sort_implIS3_Lb0EPKS5_PS5_PKlPlN2at6native12_GLOBAL__N_18offset_tEEE10hipError_tPvRmT1_PNSt15iterator_traitsISL_E10value_typeET2_T3_PNSM_ISR_E10value_typeET4_jRbjT5_SX_jjP12ihipStream_tbEUlT_E0_NS1_11comp_targetILNS1_3genE4ELNS1_11target_archE910ELNS1_3gpuE8ELNS1_3repE0EEENS1_60segmented_radix_sort_warp_sort_medium_config_static_selectorELNS0_4arch9wavefront6targetE1EEEvSL_,@function
_ZN7rocprim17ROCPRIM_400000_NS6detail17trampoline_kernelINS0_14default_configENS1_36segmented_radix_sort_config_selectorI12hip_bfloat16lEEZNS1_25segmented_radix_sort_implIS3_Lb0EPKS5_PS5_PKlPlN2at6native12_GLOBAL__N_18offset_tEEE10hipError_tPvRmT1_PNSt15iterator_traitsISL_E10value_typeET2_T3_PNSM_ISR_E10value_typeET4_jRbjT5_SX_jjP12ihipStream_tbEUlT_E0_NS1_11comp_targetILNS1_3genE4ELNS1_11target_archE910ELNS1_3gpuE8ELNS1_3repE0EEENS1_60segmented_radix_sort_warp_sort_medium_config_static_selectorELNS0_4arch9wavefront6targetE1EEEvSL_: ; @_ZN7rocprim17ROCPRIM_400000_NS6detail17trampoline_kernelINS0_14default_configENS1_36segmented_radix_sort_config_selectorI12hip_bfloat16lEEZNS1_25segmented_radix_sort_implIS3_Lb0EPKS5_PS5_PKlPlN2at6native12_GLOBAL__N_18offset_tEEE10hipError_tPvRmT1_PNSt15iterator_traitsISL_E10value_typeET2_T3_PNSM_ISR_E10value_typeET4_jRbjT5_SX_jjP12ihipStream_tbEUlT_E0_NS1_11comp_targetILNS1_3genE4ELNS1_11target_archE910ELNS1_3gpuE8ELNS1_3repE0EEENS1_60segmented_radix_sort_warp_sort_medium_config_static_selectorELNS0_4arch9wavefront6targetE1EEEvSL_
; %bb.0:
	.section	.rodata,"a",@progbits
	.p2align	6, 0x0
	.amdhsa_kernel _ZN7rocprim17ROCPRIM_400000_NS6detail17trampoline_kernelINS0_14default_configENS1_36segmented_radix_sort_config_selectorI12hip_bfloat16lEEZNS1_25segmented_radix_sort_implIS3_Lb0EPKS5_PS5_PKlPlN2at6native12_GLOBAL__N_18offset_tEEE10hipError_tPvRmT1_PNSt15iterator_traitsISL_E10value_typeET2_T3_PNSM_ISR_E10value_typeET4_jRbjT5_SX_jjP12ihipStream_tbEUlT_E0_NS1_11comp_targetILNS1_3genE4ELNS1_11target_archE910ELNS1_3gpuE8ELNS1_3repE0EEENS1_60segmented_radix_sort_warp_sort_medium_config_static_selectorELNS0_4arch9wavefront6targetE1EEEvSL_
		.amdhsa_group_segment_fixed_size 0
		.amdhsa_private_segment_fixed_size 0
		.amdhsa_kernarg_size 88
		.amdhsa_user_sgpr_count 6
		.amdhsa_user_sgpr_private_segment_buffer 1
		.amdhsa_user_sgpr_dispatch_ptr 0
		.amdhsa_user_sgpr_queue_ptr 0
		.amdhsa_user_sgpr_kernarg_segment_ptr 1
		.amdhsa_user_sgpr_dispatch_id 0
		.amdhsa_user_sgpr_flat_scratch_init 0
		.amdhsa_user_sgpr_private_segment_size 0
		.amdhsa_uses_dynamic_stack 0
		.amdhsa_system_sgpr_private_segment_wavefront_offset 0
		.amdhsa_system_sgpr_workgroup_id_x 1
		.amdhsa_system_sgpr_workgroup_id_y 0
		.amdhsa_system_sgpr_workgroup_id_z 0
		.amdhsa_system_sgpr_workgroup_info 0
		.amdhsa_system_vgpr_workitem_id 0
		.amdhsa_next_free_vgpr 1
		.amdhsa_next_free_sgpr 0
		.amdhsa_reserve_vcc 0
		.amdhsa_reserve_flat_scratch 0
		.amdhsa_float_round_mode_32 0
		.amdhsa_float_round_mode_16_64 0
		.amdhsa_float_denorm_mode_32 3
		.amdhsa_float_denorm_mode_16_64 3
		.amdhsa_dx10_clamp 1
		.amdhsa_ieee_mode 1
		.amdhsa_fp16_overflow 0
		.amdhsa_exception_fp_ieee_invalid_op 0
		.amdhsa_exception_fp_denorm_src 0
		.amdhsa_exception_fp_ieee_div_zero 0
		.amdhsa_exception_fp_ieee_overflow 0
		.amdhsa_exception_fp_ieee_underflow 0
		.amdhsa_exception_fp_ieee_inexact 0
		.amdhsa_exception_int_div_zero 0
	.end_amdhsa_kernel
	.section	.text._ZN7rocprim17ROCPRIM_400000_NS6detail17trampoline_kernelINS0_14default_configENS1_36segmented_radix_sort_config_selectorI12hip_bfloat16lEEZNS1_25segmented_radix_sort_implIS3_Lb0EPKS5_PS5_PKlPlN2at6native12_GLOBAL__N_18offset_tEEE10hipError_tPvRmT1_PNSt15iterator_traitsISL_E10value_typeET2_T3_PNSM_ISR_E10value_typeET4_jRbjT5_SX_jjP12ihipStream_tbEUlT_E0_NS1_11comp_targetILNS1_3genE4ELNS1_11target_archE910ELNS1_3gpuE8ELNS1_3repE0EEENS1_60segmented_radix_sort_warp_sort_medium_config_static_selectorELNS0_4arch9wavefront6targetE1EEEvSL_,"axG",@progbits,_ZN7rocprim17ROCPRIM_400000_NS6detail17trampoline_kernelINS0_14default_configENS1_36segmented_radix_sort_config_selectorI12hip_bfloat16lEEZNS1_25segmented_radix_sort_implIS3_Lb0EPKS5_PS5_PKlPlN2at6native12_GLOBAL__N_18offset_tEEE10hipError_tPvRmT1_PNSt15iterator_traitsISL_E10value_typeET2_T3_PNSM_ISR_E10value_typeET4_jRbjT5_SX_jjP12ihipStream_tbEUlT_E0_NS1_11comp_targetILNS1_3genE4ELNS1_11target_archE910ELNS1_3gpuE8ELNS1_3repE0EEENS1_60segmented_radix_sort_warp_sort_medium_config_static_selectorELNS0_4arch9wavefront6targetE1EEEvSL_,comdat
.Lfunc_end2061:
	.size	_ZN7rocprim17ROCPRIM_400000_NS6detail17trampoline_kernelINS0_14default_configENS1_36segmented_radix_sort_config_selectorI12hip_bfloat16lEEZNS1_25segmented_radix_sort_implIS3_Lb0EPKS5_PS5_PKlPlN2at6native12_GLOBAL__N_18offset_tEEE10hipError_tPvRmT1_PNSt15iterator_traitsISL_E10value_typeET2_T3_PNSM_ISR_E10value_typeET4_jRbjT5_SX_jjP12ihipStream_tbEUlT_E0_NS1_11comp_targetILNS1_3genE4ELNS1_11target_archE910ELNS1_3gpuE8ELNS1_3repE0EEENS1_60segmented_radix_sort_warp_sort_medium_config_static_selectorELNS0_4arch9wavefront6targetE1EEEvSL_, .Lfunc_end2061-_ZN7rocprim17ROCPRIM_400000_NS6detail17trampoline_kernelINS0_14default_configENS1_36segmented_radix_sort_config_selectorI12hip_bfloat16lEEZNS1_25segmented_radix_sort_implIS3_Lb0EPKS5_PS5_PKlPlN2at6native12_GLOBAL__N_18offset_tEEE10hipError_tPvRmT1_PNSt15iterator_traitsISL_E10value_typeET2_T3_PNSM_ISR_E10value_typeET4_jRbjT5_SX_jjP12ihipStream_tbEUlT_E0_NS1_11comp_targetILNS1_3genE4ELNS1_11target_archE910ELNS1_3gpuE8ELNS1_3repE0EEENS1_60segmented_radix_sort_warp_sort_medium_config_static_selectorELNS0_4arch9wavefront6targetE1EEEvSL_
                                        ; -- End function
	.set _ZN7rocprim17ROCPRIM_400000_NS6detail17trampoline_kernelINS0_14default_configENS1_36segmented_radix_sort_config_selectorI12hip_bfloat16lEEZNS1_25segmented_radix_sort_implIS3_Lb0EPKS5_PS5_PKlPlN2at6native12_GLOBAL__N_18offset_tEEE10hipError_tPvRmT1_PNSt15iterator_traitsISL_E10value_typeET2_T3_PNSM_ISR_E10value_typeET4_jRbjT5_SX_jjP12ihipStream_tbEUlT_E0_NS1_11comp_targetILNS1_3genE4ELNS1_11target_archE910ELNS1_3gpuE8ELNS1_3repE0EEENS1_60segmented_radix_sort_warp_sort_medium_config_static_selectorELNS0_4arch9wavefront6targetE1EEEvSL_.num_vgpr, 0
	.set _ZN7rocprim17ROCPRIM_400000_NS6detail17trampoline_kernelINS0_14default_configENS1_36segmented_radix_sort_config_selectorI12hip_bfloat16lEEZNS1_25segmented_radix_sort_implIS3_Lb0EPKS5_PS5_PKlPlN2at6native12_GLOBAL__N_18offset_tEEE10hipError_tPvRmT1_PNSt15iterator_traitsISL_E10value_typeET2_T3_PNSM_ISR_E10value_typeET4_jRbjT5_SX_jjP12ihipStream_tbEUlT_E0_NS1_11comp_targetILNS1_3genE4ELNS1_11target_archE910ELNS1_3gpuE8ELNS1_3repE0EEENS1_60segmented_radix_sort_warp_sort_medium_config_static_selectorELNS0_4arch9wavefront6targetE1EEEvSL_.num_agpr, 0
	.set _ZN7rocprim17ROCPRIM_400000_NS6detail17trampoline_kernelINS0_14default_configENS1_36segmented_radix_sort_config_selectorI12hip_bfloat16lEEZNS1_25segmented_radix_sort_implIS3_Lb0EPKS5_PS5_PKlPlN2at6native12_GLOBAL__N_18offset_tEEE10hipError_tPvRmT1_PNSt15iterator_traitsISL_E10value_typeET2_T3_PNSM_ISR_E10value_typeET4_jRbjT5_SX_jjP12ihipStream_tbEUlT_E0_NS1_11comp_targetILNS1_3genE4ELNS1_11target_archE910ELNS1_3gpuE8ELNS1_3repE0EEENS1_60segmented_radix_sort_warp_sort_medium_config_static_selectorELNS0_4arch9wavefront6targetE1EEEvSL_.numbered_sgpr, 0
	.set _ZN7rocprim17ROCPRIM_400000_NS6detail17trampoline_kernelINS0_14default_configENS1_36segmented_radix_sort_config_selectorI12hip_bfloat16lEEZNS1_25segmented_radix_sort_implIS3_Lb0EPKS5_PS5_PKlPlN2at6native12_GLOBAL__N_18offset_tEEE10hipError_tPvRmT1_PNSt15iterator_traitsISL_E10value_typeET2_T3_PNSM_ISR_E10value_typeET4_jRbjT5_SX_jjP12ihipStream_tbEUlT_E0_NS1_11comp_targetILNS1_3genE4ELNS1_11target_archE910ELNS1_3gpuE8ELNS1_3repE0EEENS1_60segmented_radix_sort_warp_sort_medium_config_static_selectorELNS0_4arch9wavefront6targetE1EEEvSL_.num_named_barrier, 0
	.set _ZN7rocprim17ROCPRIM_400000_NS6detail17trampoline_kernelINS0_14default_configENS1_36segmented_radix_sort_config_selectorI12hip_bfloat16lEEZNS1_25segmented_radix_sort_implIS3_Lb0EPKS5_PS5_PKlPlN2at6native12_GLOBAL__N_18offset_tEEE10hipError_tPvRmT1_PNSt15iterator_traitsISL_E10value_typeET2_T3_PNSM_ISR_E10value_typeET4_jRbjT5_SX_jjP12ihipStream_tbEUlT_E0_NS1_11comp_targetILNS1_3genE4ELNS1_11target_archE910ELNS1_3gpuE8ELNS1_3repE0EEENS1_60segmented_radix_sort_warp_sort_medium_config_static_selectorELNS0_4arch9wavefront6targetE1EEEvSL_.private_seg_size, 0
	.set _ZN7rocprim17ROCPRIM_400000_NS6detail17trampoline_kernelINS0_14default_configENS1_36segmented_radix_sort_config_selectorI12hip_bfloat16lEEZNS1_25segmented_radix_sort_implIS3_Lb0EPKS5_PS5_PKlPlN2at6native12_GLOBAL__N_18offset_tEEE10hipError_tPvRmT1_PNSt15iterator_traitsISL_E10value_typeET2_T3_PNSM_ISR_E10value_typeET4_jRbjT5_SX_jjP12ihipStream_tbEUlT_E0_NS1_11comp_targetILNS1_3genE4ELNS1_11target_archE910ELNS1_3gpuE8ELNS1_3repE0EEENS1_60segmented_radix_sort_warp_sort_medium_config_static_selectorELNS0_4arch9wavefront6targetE1EEEvSL_.uses_vcc, 0
	.set _ZN7rocprim17ROCPRIM_400000_NS6detail17trampoline_kernelINS0_14default_configENS1_36segmented_radix_sort_config_selectorI12hip_bfloat16lEEZNS1_25segmented_radix_sort_implIS3_Lb0EPKS5_PS5_PKlPlN2at6native12_GLOBAL__N_18offset_tEEE10hipError_tPvRmT1_PNSt15iterator_traitsISL_E10value_typeET2_T3_PNSM_ISR_E10value_typeET4_jRbjT5_SX_jjP12ihipStream_tbEUlT_E0_NS1_11comp_targetILNS1_3genE4ELNS1_11target_archE910ELNS1_3gpuE8ELNS1_3repE0EEENS1_60segmented_radix_sort_warp_sort_medium_config_static_selectorELNS0_4arch9wavefront6targetE1EEEvSL_.uses_flat_scratch, 0
	.set _ZN7rocprim17ROCPRIM_400000_NS6detail17trampoline_kernelINS0_14default_configENS1_36segmented_radix_sort_config_selectorI12hip_bfloat16lEEZNS1_25segmented_radix_sort_implIS3_Lb0EPKS5_PS5_PKlPlN2at6native12_GLOBAL__N_18offset_tEEE10hipError_tPvRmT1_PNSt15iterator_traitsISL_E10value_typeET2_T3_PNSM_ISR_E10value_typeET4_jRbjT5_SX_jjP12ihipStream_tbEUlT_E0_NS1_11comp_targetILNS1_3genE4ELNS1_11target_archE910ELNS1_3gpuE8ELNS1_3repE0EEENS1_60segmented_radix_sort_warp_sort_medium_config_static_selectorELNS0_4arch9wavefront6targetE1EEEvSL_.has_dyn_sized_stack, 0
	.set _ZN7rocprim17ROCPRIM_400000_NS6detail17trampoline_kernelINS0_14default_configENS1_36segmented_radix_sort_config_selectorI12hip_bfloat16lEEZNS1_25segmented_radix_sort_implIS3_Lb0EPKS5_PS5_PKlPlN2at6native12_GLOBAL__N_18offset_tEEE10hipError_tPvRmT1_PNSt15iterator_traitsISL_E10value_typeET2_T3_PNSM_ISR_E10value_typeET4_jRbjT5_SX_jjP12ihipStream_tbEUlT_E0_NS1_11comp_targetILNS1_3genE4ELNS1_11target_archE910ELNS1_3gpuE8ELNS1_3repE0EEENS1_60segmented_radix_sort_warp_sort_medium_config_static_selectorELNS0_4arch9wavefront6targetE1EEEvSL_.has_recursion, 0
	.set _ZN7rocprim17ROCPRIM_400000_NS6detail17trampoline_kernelINS0_14default_configENS1_36segmented_radix_sort_config_selectorI12hip_bfloat16lEEZNS1_25segmented_radix_sort_implIS3_Lb0EPKS5_PS5_PKlPlN2at6native12_GLOBAL__N_18offset_tEEE10hipError_tPvRmT1_PNSt15iterator_traitsISL_E10value_typeET2_T3_PNSM_ISR_E10value_typeET4_jRbjT5_SX_jjP12ihipStream_tbEUlT_E0_NS1_11comp_targetILNS1_3genE4ELNS1_11target_archE910ELNS1_3gpuE8ELNS1_3repE0EEENS1_60segmented_radix_sort_warp_sort_medium_config_static_selectorELNS0_4arch9wavefront6targetE1EEEvSL_.has_indirect_call, 0
	.section	.AMDGPU.csdata,"",@progbits
; Kernel info:
; codeLenInByte = 0
; TotalNumSgprs: 4
; NumVgprs: 0
; ScratchSize: 0
; MemoryBound: 0
; FloatMode: 240
; IeeeMode: 1
; LDSByteSize: 0 bytes/workgroup (compile time only)
; SGPRBlocks: 0
; VGPRBlocks: 0
; NumSGPRsForWavesPerEU: 4
; NumVGPRsForWavesPerEU: 1
; Occupancy: 10
; WaveLimiterHint : 0
; COMPUTE_PGM_RSRC2:SCRATCH_EN: 0
; COMPUTE_PGM_RSRC2:USER_SGPR: 6
; COMPUTE_PGM_RSRC2:TRAP_HANDLER: 0
; COMPUTE_PGM_RSRC2:TGID_X_EN: 1
; COMPUTE_PGM_RSRC2:TGID_Y_EN: 0
; COMPUTE_PGM_RSRC2:TGID_Z_EN: 0
; COMPUTE_PGM_RSRC2:TIDIG_COMP_CNT: 0
	.section	.text._ZN7rocprim17ROCPRIM_400000_NS6detail17trampoline_kernelINS0_14default_configENS1_36segmented_radix_sort_config_selectorI12hip_bfloat16lEEZNS1_25segmented_radix_sort_implIS3_Lb0EPKS5_PS5_PKlPlN2at6native12_GLOBAL__N_18offset_tEEE10hipError_tPvRmT1_PNSt15iterator_traitsISL_E10value_typeET2_T3_PNSM_ISR_E10value_typeET4_jRbjT5_SX_jjP12ihipStream_tbEUlT_E0_NS1_11comp_targetILNS1_3genE3ELNS1_11target_archE908ELNS1_3gpuE7ELNS1_3repE0EEENS1_60segmented_radix_sort_warp_sort_medium_config_static_selectorELNS0_4arch9wavefront6targetE1EEEvSL_,"axG",@progbits,_ZN7rocprim17ROCPRIM_400000_NS6detail17trampoline_kernelINS0_14default_configENS1_36segmented_radix_sort_config_selectorI12hip_bfloat16lEEZNS1_25segmented_radix_sort_implIS3_Lb0EPKS5_PS5_PKlPlN2at6native12_GLOBAL__N_18offset_tEEE10hipError_tPvRmT1_PNSt15iterator_traitsISL_E10value_typeET2_T3_PNSM_ISR_E10value_typeET4_jRbjT5_SX_jjP12ihipStream_tbEUlT_E0_NS1_11comp_targetILNS1_3genE3ELNS1_11target_archE908ELNS1_3gpuE7ELNS1_3repE0EEENS1_60segmented_radix_sort_warp_sort_medium_config_static_selectorELNS0_4arch9wavefront6targetE1EEEvSL_,comdat
	.globl	_ZN7rocprim17ROCPRIM_400000_NS6detail17trampoline_kernelINS0_14default_configENS1_36segmented_radix_sort_config_selectorI12hip_bfloat16lEEZNS1_25segmented_radix_sort_implIS3_Lb0EPKS5_PS5_PKlPlN2at6native12_GLOBAL__N_18offset_tEEE10hipError_tPvRmT1_PNSt15iterator_traitsISL_E10value_typeET2_T3_PNSM_ISR_E10value_typeET4_jRbjT5_SX_jjP12ihipStream_tbEUlT_E0_NS1_11comp_targetILNS1_3genE3ELNS1_11target_archE908ELNS1_3gpuE7ELNS1_3repE0EEENS1_60segmented_radix_sort_warp_sort_medium_config_static_selectorELNS0_4arch9wavefront6targetE1EEEvSL_ ; -- Begin function _ZN7rocprim17ROCPRIM_400000_NS6detail17trampoline_kernelINS0_14default_configENS1_36segmented_radix_sort_config_selectorI12hip_bfloat16lEEZNS1_25segmented_radix_sort_implIS3_Lb0EPKS5_PS5_PKlPlN2at6native12_GLOBAL__N_18offset_tEEE10hipError_tPvRmT1_PNSt15iterator_traitsISL_E10value_typeET2_T3_PNSM_ISR_E10value_typeET4_jRbjT5_SX_jjP12ihipStream_tbEUlT_E0_NS1_11comp_targetILNS1_3genE3ELNS1_11target_archE908ELNS1_3gpuE7ELNS1_3repE0EEENS1_60segmented_radix_sort_warp_sort_medium_config_static_selectorELNS0_4arch9wavefront6targetE1EEEvSL_
	.p2align	8
	.type	_ZN7rocprim17ROCPRIM_400000_NS6detail17trampoline_kernelINS0_14default_configENS1_36segmented_radix_sort_config_selectorI12hip_bfloat16lEEZNS1_25segmented_radix_sort_implIS3_Lb0EPKS5_PS5_PKlPlN2at6native12_GLOBAL__N_18offset_tEEE10hipError_tPvRmT1_PNSt15iterator_traitsISL_E10value_typeET2_T3_PNSM_ISR_E10value_typeET4_jRbjT5_SX_jjP12ihipStream_tbEUlT_E0_NS1_11comp_targetILNS1_3genE3ELNS1_11target_archE908ELNS1_3gpuE7ELNS1_3repE0EEENS1_60segmented_radix_sort_warp_sort_medium_config_static_selectorELNS0_4arch9wavefront6targetE1EEEvSL_,@function
_ZN7rocprim17ROCPRIM_400000_NS6detail17trampoline_kernelINS0_14default_configENS1_36segmented_radix_sort_config_selectorI12hip_bfloat16lEEZNS1_25segmented_radix_sort_implIS3_Lb0EPKS5_PS5_PKlPlN2at6native12_GLOBAL__N_18offset_tEEE10hipError_tPvRmT1_PNSt15iterator_traitsISL_E10value_typeET2_T3_PNSM_ISR_E10value_typeET4_jRbjT5_SX_jjP12ihipStream_tbEUlT_E0_NS1_11comp_targetILNS1_3genE3ELNS1_11target_archE908ELNS1_3gpuE7ELNS1_3repE0EEENS1_60segmented_radix_sort_warp_sort_medium_config_static_selectorELNS0_4arch9wavefront6targetE1EEEvSL_: ; @_ZN7rocprim17ROCPRIM_400000_NS6detail17trampoline_kernelINS0_14default_configENS1_36segmented_radix_sort_config_selectorI12hip_bfloat16lEEZNS1_25segmented_radix_sort_implIS3_Lb0EPKS5_PS5_PKlPlN2at6native12_GLOBAL__N_18offset_tEEE10hipError_tPvRmT1_PNSt15iterator_traitsISL_E10value_typeET2_T3_PNSM_ISR_E10value_typeET4_jRbjT5_SX_jjP12ihipStream_tbEUlT_E0_NS1_11comp_targetILNS1_3genE3ELNS1_11target_archE908ELNS1_3gpuE7ELNS1_3repE0EEENS1_60segmented_radix_sort_warp_sort_medium_config_static_selectorELNS0_4arch9wavefront6targetE1EEEvSL_
; %bb.0:
	.section	.rodata,"a",@progbits
	.p2align	6, 0x0
	.amdhsa_kernel _ZN7rocprim17ROCPRIM_400000_NS6detail17trampoline_kernelINS0_14default_configENS1_36segmented_radix_sort_config_selectorI12hip_bfloat16lEEZNS1_25segmented_radix_sort_implIS3_Lb0EPKS5_PS5_PKlPlN2at6native12_GLOBAL__N_18offset_tEEE10hipError_tPvRmT1_PNSt15iterator_traitsISL_E10value_typeET2_T3_PNSM_ISR_E10value_typeET4_jRbjT5_SX_jjP12ihipStream_tbEUlT_E0_NS1_11comp_targetILNS1_3genE3ELNS1_11target_archE908ELNS1_3gpuE7ELNS1_3repE0EEENS1_60segmented_radix_sort_warp_sort_medium_config_static_selectorELNS0_4arch9wavefront6targetE1EEEvSL_
		.amdhsa_group_segment_fixed_size 0
		.amdhsa_private_segment_fixed_size 0
		.amdhsa_kernarg_size 88
		.amdhsa_user_sgpr_count 6
		.amdhsa_user_sgpr_private_segment_buffer 1
		.amdhsa_user_sgpr_dispatch_ptr 0
		.amdhsa_user_sgpr_queue_ptr 0
		.amdhsa_user_sgpr_kernarg_segment_ptr 1
		.amdhsa_user_sgpr_dispatch_id 0
		.amdhsa_user_sgpr_flat_scratch_init 0
		.amdhsa_user_sgpr_private_segment_size 0
		.amdhsa_uses_dynamic_stack 0
		.amdhsa_system_sgpr_private_segment_wavefront_offset 0
		.amdhsa_system_sgpr_workgroup_id_x 1
		.amdhsa_system_sgpr_workgroup_id_y 0
		.amdhsa_system_sgpr_workgroup_id_z 0
		.amdhsa_system_sgpr_workgroup_info 0
		.amdhsa_system_vgpr_workitem_id 0
		.amdhsa_next_free_vgpr 1
		.amdhsa_next_free_sgpr 0
		.amdhsa_reserve_vcc 0
		.amdhsa_reserve_flat_scratch 0
		.amdhsa_float_round_mode_32 0
		.amdhsa_float_round_mode_16_64 0
		.amdhsa_float_denorm_mode_32 3
		.amdhsa_float_denorm_mode_16_64 3
		.amdhsa_dx10_clamp 1
		.amdhsa_ieee_mode 1
		.amdhsa_fp16_overflow 0
		.amdhsa_exception_fp_ieee_invalid_op 0
		.amdhsa_exception_fp_denorm_src 0
		.amdhsa_exception_fp_ieee_div_zero 0
		.amdhsa_exception_fp_ieee_overflow 0
		.amdhsa_exception_fp_ieee_underflow 0
		.amdhsa_exception_fp_ieee_inexact 0
		.amdhsa_exception_int_div_zero 0
	.end_amdhsa_kernel
	.section	.text._ZN7rocprim17ROCPRIM_400000_NS6detail17trampoline_kernelINS0_14default_configENS1_36segmented_radix_sort_config_selectorI12hip_bfloat16lEEZNS1_25segmented_radix_sort_implIS3_Lb0EPKS5_PS5_PKlPlN2at6native12_GLOBAL__N_18offset_tEEE10hipError_tPvRmT1_PNSt15iterator_traitsISL_E10value_typeET2_T3_PNSM_ISR_E10value_typeET4_jRbjT5_SX_jjP12ihipStream_tbEUlT_E0_NS1_11comp_targetILNS1_3genE3ELNS1_11target_archE908ELNS1_3gpuE7ELNS1_3repE0EEENS1_60segmented_radix_sort_warp_sort_medium_config_static_selectorELNS0_4arch9wavefront6targetE1EEEvSL_,"axG",@progbits,_ZN7rocprim17ROCPRIM_400000_NS6detail17trampoline_kernelINS0_14default_configENS1_36segmented_radix_sort_config_selectorI12hip_bfloat16lEEZNS1_25segmented_radix_sort_implIS3_Lb0EPKS5_PS5_PKlPlN2at6native12_GLOBAL__N_18offset_tEEE10hipError_tPvRmT1_PNSt15iterator_traitsISL_E10value_typeET2_T3_PNSM_ISR_E10value_typeET4_jRbjT5_SX_jjP12ihipStream_tbEUlT_E0_NS1_11comp_targetILNS1_3genE3ELNS1_11target_archE908ELNS1_3gpuE7ELNS1_3repE0EEENS1_60segmented_radix_sort_warp_sort_medium_config_static_selectorELNS0_4arch9wavefront6targetE1EEEvSL_,comdat
.Lfunc_end2062:
	.size	_ZN7rocprim17ROCPRIM_400000_NS6detail17trampoline_kernelINS0_14default_configENS1_36segmented_radix_sort_config_selectorI12hip_bfloat16lEEZNS1_25segmented_radix_sort_implIS3_Lb0EPKS5_PS5_PKlPlN2at6native12_GLOBAL__N_18offset_tEEE10hipError_tPvRmT1_PNSt15iterator_traitsISL_E10value_typeET2_T3_PNSM_ISR_E10value_typeET4_jRbjT5_SX_jjP12ihipStream_tbEUlT_E0_NS1_11comp_targetILNS1_3genE3ELNS1_11target_archE908ELNS1_3gpuE7ELNS1_3repE0EEENS1_60segmented_radix_sort_warp_sort_medium_config_static_selectorELNS0_4arch9wavefront6targetE1EEEvSL_, .Lfunc_end2062-_ZN7rocprim17ROCPRIM_400000_NS6detail17trampoline_kernelINS0_14default_configENS1_36segmented_radix_sort_config_selectorI12hip_bfloat16lEEZNS1_25segmented_radix_sort_implIS3_Lb0EPKS5_PS5_PKlPlN2at6native12_GLOBAL__N_18offset_tEEE10hipError_tPvRmT1_PNSt15iterator_traitsISL_E10value_typeET2_T3_PNSM_ISR_E10value_typeET4_jRbjT5_SX_jjP12ihipStream_tbEUlT_E0_NS1_11comp_targetILNS1_3genE3ELNS1_11target_archE908ELNS1_3gpuE7ELNS1_3repE0EEENS1_60segmented_radix_sort_warp_sort_medium_config_static_selectorELNS0_4arch9wavefront6targetE1EEEvSL_
                                        ; -- End function
	.set _ZN7rocprim17ROCPRIM_400000_NS6detail17trampoline_kernelINS0_14default_configENS1_36segmented_radix_sort_config_selectorI12hip_bfloat16lEEZNS1_25segmented_radix_sort_implIS3_Lb0EPKS5_PS5_PKlPlN2at6native12_GLOBAL__N_18offset_tEEE10hipError_tPvRmT1_PNSt15iterator_traitsISL_E10value_typeET2_T3_PNSM_ISR_E10value_typeET4_jRbjT5_SX_jjP12ihipStream_tbEUlT_E0_NS1_11comp_targetILNS1_3genE3ELNS1_11target_archE908ELNS1_3gpuE7ELNS1_3repE0EEENS1_60segmented_radix_sort_warp_sort_medium_config_static_selectorELNS0_4arch9wavefront6targetE1EEEvSL_.num_vgpr, 0
	.set _ZN7rocprim17ROCPRIM_400000_NS6detail17trampoline_kernelINS0_14default_configENS1_36segmented_radix_sort_config_selectorI12hip_bfloat16lEEZNS1_25segmented_radix_sort_implIS3_Lb0EPKS5_PS5_PKlPlN2at6native12_GLOBAL__N_18offset_tEEE10hipError_tPvRmT1_PNSt15iterator_traitsISL_E10value_typeET2_T3_PNSM_ISR_E10value_typeET4_jRbjT5_SX_jjP12ihipStream_tbEUlT_E0_NS1_11comp_targetILNS1_3genE3ELNS1_11target_archE908ELNS1_3gpuE7ELNS1_3repE0EEENS1_60segmented_radix_sort_warp_sort_medium_config_static_selectorELNS0_4arch9wavefront6targetE1EEEvSL_.num_agpr, 0
	.set _ZN7rocprim17ROCPRIM_400000_NS6detail17trampoline_kernelINS0_14default_configENS1_36segmented_radix_sort_config_selectorI12hip_bfloat16lEEZNS1_25segmented_radix_sort_implIS3_Lb0EPKS5_PS5_PKlPlN2at6native12_GLOBAL__N_18offset_tEEE10hipError_tPvRmT1_PNSt15iterator_traitsISL_E10value_typeET2_T3_PNSM_ISR_E10value_typeET4_jRbjT5_SX_jjP12ihipStream_tbEUlT_E0_NS1_11comp_targetILNS1_3genE3ELNS1_11target_archE908ELNS1_3gpuE7ELNS1_3repE0EEENS1_60segmented_radix_sort_warp_sort_medium_config_static_selectorELNS0_4arch9wavefront6targetE1EEEvSL_.numbered_sgpr, 0
	.set _ZN7rocprim17ROCPRIM_400000_NS6detail17trampoline_kernelINS0_14default_configENS1_36segmented_radix_sort_config_selectorI12hip_bfloat16lEEZNS1_25segmented_radix_sort_implIS3_Lb0EPKS5_PS5_PKlPlN2at6native12_GLOBAL__N_18offset_tEEE10hipError_tPvRmT1_PNSt15iterator_traitsISL_E10value_typeET2_T3_PNSM_ISR_E10value_typeET4_jRbjT5_SX_jjP12ihipStream_tbEUlT_E0_NS1_11comp_targetILNS1_3genE3ELNS1_11target_archE908ELNS1_3gpuE7ELNS1_3repE0EEENS1_60segmented_radix_sort_warp_sort_medium_config_static_selectorELNS0_4arch9wavefront6targetE1EEEvSL_.num_named_barrier, 0
	.set _ZN7rocprim17ROCPRIM_400000_NS6detail17trampoline_kernelINS0_14default_configENS1_36segmented_radix_sort_config_selectorI12hip_bfloat16lEEZNS1_25segmented_radix_sort_implIS3_Lb0EPKS5_PS5_PKlPlN2at6native12_GLOBAL__N_18offset_tEEE10hipError_tPvRmT1_PNSt15iterator_traitsISL_E10value_typeET2_T3_PNSM_ISR_E10value_typeET4_jRbjT5_SX_jjP12ihipStream_tbEUlT_E0_NS1_11comp_targetILNS1_3genE3ELNS1_11target_archE908ELNS1_3gpuE7ELNS1_3repE0EEENS1_60segmented_radix_sort_warp_sort_medium_config_static_selectorELNS0_4arch9wavefront6targetE1EEEvSL_.private_seg_size, 0
	.set _ZN7rocprim17ROCPRIM_400000_NS6detail17trampoline_kernelINS0_14default_configENS1_36segmented_radix_sort_config_selectorI12hip_bfloat16lEEZNS1_25segmented_radix_sort_implIS3_Lb0EPKS5_PS5_PKlPlN2at6native12_GLOBAL__N_18offset_tEEE10hipError_tPvRmT1_PNSt15iterator_traitsISL_E10value_typeET2_T3_PNSM_ISR_E10value_typeET4_jRbjT5_SX_jjP12ihipStream_tbEUlT_E0_NS1_11comp_targetILNS1_3genE3ELNS1_11target_archE908ELNS1_3gpuE7ELNS1_3repE0EEENS1_60segmented_radix_sort_warp_sort_medium_config_static_selectorELNS0_4arch9wavefront6targetE1EEEvSL_.uses_vcc, 0
	.set _ZN7rocprim17ROCPRIM_400000_NS6detail17trampoline_kernelINS0_14default_configENS1_36segmented_radix_sort_config_selectorI12hip_bfloat16lEEZNS1_25segmented_radix_sort_implIS3_Lb0EPKS5_PS5_PKlPlN2at6native12_GLOBAL__N_18offset_tEEE10hipError_tPvRmT1_PNSt15iterator_traitsISL_E10value_typeET2_T3_PNSM_ISR_E10value_typeET4_jRbjT5_SX_jjP12ihipStream_tbEUlT_E0_NS1_11comp_targetILNS1_3genE3ELNS1_11target_archE908ELNS1_3gpuE7ELNS1_3repE0EEENS1_60segmented_radix_sort_warp_sort_medium_config_static_selectorELNS0_4arch9wavefront6targetE1EEEvSL_.uses_flat_scratch, 0
	.set _ZN7rocprim17ROCPRIM_400000_NS6detail17trampoline_kernelINS0_14default_configENS1_36segmented_radix_sort_config_selectorI12hip_bfloat16lEEZNS1_25segmented_radix_sort_implIS3_Lb0EPKS5_PS5_PKlPlN2at6native12_GLOBAL__N_18offset_tEEE10hipError_tPvRmT1_PNSt15iterator_traitsISL_E10value_typeET2_T3_PNSM_ISR_E10value_typeET4_jRbjT5_SX_jjP12ihipStream_tbEUlT_E0_NS1_11comp_targetILNS1_3genE3ELNS1_11target_archE908ELNS1_3gpuE7ELNS1_3repE0EEENS1_60segmented_radix_sort_warp_sort_medium_config_static_selectorELNS0_4arch9wavefront6targetE1EEEvSL_.has_dyn_sized_stack, 0
	.set _ZN7rocprim17ROCPRIM_400000_NS6detail17trampoline_kernelINS0_14default_configENS1_36segmented_radix_sort_config_selectorI12hip_bfloat16lEEZNS1_25segmented_radix_sort_implIS3_Lb0EPKS5_PS5_PKlPlN2at6native12_GLOBAL__N_18offset_tEEE10hipError_tPvRmT1_PNSt15iterator_traitsISL_E10value_typeET2_T3_PNSM_ISR_E10value_typeET4_jRbjT5_SX_jjP12ihipStream_tbEUlT_E0_NS1_11comp_targetILNS1_3genE3ELNS1_11target_archE908ELNS1_3gpuE7ELNS1_3repE0EEENS1_60segmented_radix_sort_warp_sort_medium_config_static_selectorELNS0_4arch9wavefront6targetE1EEEvSL_.has_recursion, 0
	.set _ZN7rocprim17ROCPRIM_400000_NS6detail17trampoline_kernelINS0_14default_configENS1_36segmented_radix_sort_config_selectorI12hip_bfloat16lEEZNS1_25segmented_radix_sort_implIS3_Lb0EPKS5_PS5_PKlPlN2at6native12_GLOBAL__N_18offset_tEEE10hipError_tPvRmT1_PNSt15iterator_traitsISL_E10value_typeET2_T3_PNSM_ISR_E10value_typeET4_jRbjT5_SX_jjP12ihipStream_tbEUlT_E0_NS1_11comp_targetILNS1_3genE3ELNS1_11target_archE908ELNS1_3gpuE7ELNS1_3repE0EEENS1_60segmented_radix_sort_warp_sort_medium_config_static_selectorELNS0_4arch9wavefront6targetE1EEEvSL_.has_indirect_call, 0
	.section	.AMDGPU.csdata,"",@progbits
; Kernel info:
; codeLenInByte = 0
; TotalNumSgprs: 4
; NumVgprs: 0
; ScratchSize: 0
; MemoryBound: 0
; FloatMode: 240
; IeeeMode: 1
; LDSByteSize: 0 bytes/workgroup (compile time only)
; SGPRBlocks: 0
; VGPRBlocks: 0
; NumSGPRsForWavesPerEU: 4
; NumVGPRsForWavesPerEU: 1
; Occupancy: 10
; WaveLimiterHint : 0
; COMPUTE_PGM_RSRC2:SCRATCH_EN: 0
; COMPUTE_PGM_RSRC2:USER_SGPR: 6
; COMPUTE_PGM_RSRC2:TRAP_HANDLER: 0
; COMPUTE_PGM_RSRC2:TGID_X_EN: 1
; COMPUTE_PGM_RSRC2:TGID_Y_EN: 0
; COMPUTE_PGM_RSRC2:TGID_Z_EN: 0
; COMPUTE_PGM_RSRC2:TIDIG_COMP_CNT: 0
	.text
	.p2align	2                               ; -- Begin function _ZN7rocprim17ROCPRIM_400000_NS6detail26segmented_warp_sort_helperINS1_20WarpSortHelperConfigILj16ELj8ELj256EEE12hip_bfloat16lLi256ELb0EvE4sortIPKS5_PS5_PKlPlEEvT_T0_T1_T2_jjjjRNS6_12storage_typeE
	.type	_ZN7rocprim17ROCPRIM_400000_NS6detail26segmented_warp_sort_helperINS1_20WarpSortHelperConfigILj16ELj8ELj256EEE12hip_bfloat16lLi256ELb0EvE4sortIPKS5_PS5_PKlPlEEvT_T0_T1_T2_jjjjRNS6_12storage_typeE,@function
_ZN7rocprim17ROCPRIM_400000_NS6detail26segmented_warp_sort_helperINS1_20WarpSortHelperConfigILj16ELj8ELj256EEE12hip_bfloat16lLi256ELb0EvE4sortIPKS5_PS5_PKlPlEEvT_T0_T1_T2_jjjjRNS6_12storage_typeE: ; @_ZN7rocprim17ROCPRIM_400000_NS6detail26segmented_warp_sort_helperINS1_20WarpSortHelperConfigILj16ELj8ELj256EEE12hip_bfloat16lLi256ELb0EvE4sortIPKS5_PS5_PKlPlEEvT_T0_T1_T2_jjjjRNS6_12storage_typeE
; %bb.0:
	s_waitcnt vmcnt(0) expcnt(0) lgkmcnt(0)
	v_sub_u32_e32 v12, v9, v8
	v_mov_b32_e32 v9, 0
	v_mbcnt_lo_u32_b32 v13, -1, 0
	v_lshlrev_b64 v[10:11], 1, v[8:9]
	v_mbcnt_hi_u32_b32 v13, -1, v13
	v_lshlrev_b32_e32 v35, 3, v13
	v_add_co_u32_e32 v0, vcc, v0, v10
	v_and_b32_e32 v34, 0x78, v35
	v_addc_co_u32_e32 v1, vcc, v1, v11, vcc
	v_lshlrev_b32_e32 v32, 1, v34
	v_add_co_u32_e32 v0, vcc, v0, v32
	v_addc_co_u32_e32 v1, vcc, 0, v1, vcc
	v_cmp_lt_u32_e32 vcc, v34, v12
	v_mov_b32_e32 v48, 0x7fff
	v_mov_b32_e32 v36, 0x7fff
	s_and_saveexec_b64 s[4:5], vcc
	s_cbranch_execz .LBB2063_2
; %bb.1:
	flat_load_ushort v36, v[0:1]
.LBB2063_2:
	s_or_b64 exec, exec, s[4:5]
	v_or_b32_e32 v13, 1, v34
	v_cmp_lt_u32_e64 s[4:5], v13, v12
	s_and_saveexec_b64 s[6:7], s[4:5]
	s_cbranch_execz .LBB2063_4
; %bb.3:
	flat_load_ushort v48, v[0:1] offset:2
.LBB2063_4:
	s_or_b64 exec, exec, s[6:7]
	v_or_b32_e32 v13, 2, v34
	v_cmp_lt_u32_e64 s[6:7], v13, v12
	v_mov_b32_e32 v51, 0x7fff
	v_mov_b32_e32 v49, 0x7fff
	s_and_saveexec_b64 s[10:11], s[6:7]
	s_cbranch_execz .LBB2063_6
; %bb.5:
	flat_load_ushort v49, v[0:1] offset:4
.LBB2063_6:
	s_or_b64 exec, exec, s[10:11]
	v_or_b32_e32 v13, 3, v34
	v_cmp_lt_u32_e64 s[18:19], v13, v12
	s_and_saveexec_b64 s[10:11], s[18:19]
	s_cbranch_execz .LBB2063_8
; %bb.7:
	flat_load_ushort v51, v[0:1] offset:6
.LBB2063_8:
	s_or_b64 exec, exec, s[10:11]
	v_or_b32_e32 v13, 4, v34
	v_cmp_lt_u32_e64 s[10:11], v13, v12
	v_mov_b32_e32 v38, 0x7fff
	v_mov_b32_e32 v39, 0x7fff
	s_and_saveexec_b64 s[14:15], s[10:11]
	s_cbranch_execz .LBB2063_10
; %bb.9:
	flat_load_ushort v39, v[0:1] offset:8
.LBB2063_10:
	;; [unrolled: 18-line block ×3, first 2 shown]
	s_or_b64 exec, exec, s[16:17]
	v_or_b32_e32 v13, 7, v34
	v_cmp_lt_u32_e64 s[16:17], v13, v12
	s_and_saveexec_b64 s[22:23], s[16:17]
	s_cbranch_execz .LBB2063_16
; %bb.15:
	flat_load_ushort v37, v[0:1] offset:14
.LBB2063_16:
	s_or_b64 exec, exec, s[22:23]
	v_lshlrev_b64 v[0:1], 3, v[8:9]
	v_lshlrev_b32_e32 v33, 3, v34
	v_add_co_u32_e64 v4, s[22:23], v4, v0
	v_addc_co_u32_e64 v5, s[22:23], v5, v1, s[22:23]
	v_add_co_u32_e64 v8, s[22:23], v4, v33
	v_addc_co_u32_e64 v9, s[22:23], 0, v5, s[22:23]
	; wave barrier
                                        ; implicit-def: $vgpr4_vgpr5
	s_and_saveexec_b64 s[22:23], vcc
	s_cbranch_execnz .LBB2063_318
; %bb.17:
	s_or_b64 exec, exec, s[22:23]
	s_and_saveexec_b64 s[22:23], s[4:5]
                                        ; implicit-def: $vgpr12_vgpr13
	s_cbranch_execnz .LBB2063_319
.LBB2063_18:
	s_or_b64 exec, exec, s[22:23]
                                        ; implicit-def: $vgpr15_vgpr16
	s_and_saveexec_b64 s[22:23], s[6:7]
	s_cbranch_execnz .LBB2063_320
.LBB2063_19:
	s_or_b64 exec, exec, s[22:23]
	s_and_saveexec_b64 s[22:23], s[18:19]
                                        ; implicit-def: $vgpr17_vgpr18
	s_cbranch_execnz .LBB2063_321
.LBB2063_20:
	s_or_b64 exec, exec, s[22:23]
                                        ; implicit-def: $vgpr19_vgpr20
	s_and_saveexec_b64 s[22:23], s[10:11]
	s_cbranch_execnz .LBB2063_322
.LBB2063_21:
	s_or_b64 exec, exec, s[22:23]
	s_and_saveexec_b64 s[22:23], s[20:21]
                                        ; implicit-def: $vgpr23_vgpr24
	s_cbranch_execnz .LBB2063_323
.LBB2063_22:
	s_or_b64 exec, exec, s[22:23]
                                        ; implicit-def: $vgpr21_vgpr22
	s_and_saveexec_b64 s[22:23], s[14:15]
	s_cbranch_execnz .LBB2063_324
.LBB2063_23:
	s_or_b64 exec, exec, s[22:23]
	s_and_saveexec_b64 s[22:23], s[16:17]
                                        ; implicit-def: $vgpr25_vgpr26
	s_cbranch_execz .LBB2063_25
.LBB2063_24:
	flat_load_dwordx2 v[25:26], v[8:9] offset:56
.LBB2063_25:
	s_or_b64 exec, exec, s[22:23]
	; wave barrier
	s_load_dwordx2 s[22:23], s[8:9], 0x0
	v_mov_b32_e32 v8, 0
	v_bfe_u32 v27, v31, 20, 10
	s_waitcnt lgkmcnt(0)
	s_cmp_lt_u32 s13, s23
	s_cselect_b32 s13, 14, 20
	s_add_u32 s24, s8, s13
	s_addc_u32 s25, s9, 0
	s_cmp_lt_u32 s12, s22
	s_cselect_b32 s12, 12, 18
	s_add_u32 s8, s8, s12
	s_addc_u32 s9, s9, 0
	global_load_ushort v9, v8, s[24:25]
	global_load_ushort v14, v8, s[8:9]
	v_bfe_u32 v8, v31, 10, 10
	s_movk_i32 s8, 0x800
	s_waitcnt vmcnt(0)
	v_mad_u32_u24 v8, v27, v9, v8
	v_mul_lo_u32 v8, v8, v14
	v_and_b32_e32 v9, 0x3ff, v31
	v_add_lshl_u32 v31, v8, v9, 3
	v_cmp_gt_u32_e64 s[8:9], s8, v31
	s_and_saveexec_b64 s[12:13], s[8:9]
	s_cbranch_execz .LBB2063_307
; %bb.26:
	v_lshlrev_b32_e32 v8, 16, v36
	v_add_f32_e32 v9, 0, v8
	s_mov_b32 s8, 0x7f800000
	v_and_b32_e32 v8, 0x7f800000, v9
	v_cmp_ne_u32_e64 s[8:9], s8, v8
                                        ; implicit-def: $vgpr8
	s_and_saveexec_b64 s[22:23], s[8:9]
	s_xor_b64 s[8:9], exec, s[22:23]
; %bb.27:
	v_bfe_u32 v8, v9, 16, 1
	s_movk_i32 s22, 0x7fff
	v_add3_u32 v8, v9, v8, s22
                                        ; implicit-def: $vgpr9
; %bb.28:
	s_andn2_saveexec_b64 s[22:23], s[8:9]
; %bb.29:
	v_mov_b32_e32 v8, 0
	v_or_b32_e32 v14, 0x10000, v9
	v_cmp_eq_u32_sdwa s[8:9], v9, v8 src0_sel:WORD_0 src1_sel:DWORD
	v_cndmask_b32_e64 v8, v14, v9, s[8:9]
; %bb.30:
	s_or_b64 exec, exec, s[22:23]
	v_lshlrev_b32_e32 v9, 16, v48
	v_add_f32_e32 v14, 0, v9
	s_mov_b32 s8, 0x7f800000
	v_and_b32_e32 v9, 0x7f800000, v14
	v_cmp_ne_u32_e64 s[8:9], s8, v9
                                        ; implicit-def: $vgpr9
	s_and_saveexec_b64 s[22:23], s[8:9]
	s_xor_b64 s[8:9], exec, s[22:23]
; %bb.31:
	v_bfe_u32 v9, v14, 16, 1
	s_movk_i32 s22, 0x7fff
	v_add3_u32 v9, v14, v9, s22
                                        ; implicit-def: $vgpr14
; %bb.32:
	s_andn2_saveexec_b64 s[22:23], s[8:9]
; %bb.33:
	v_mov_b32_e32 v9, 0
	v_or_b32_e32 v27, 0x10000, v14
	v_cmp_eq_u32_sdwa s[8:9], v14, v9 src0_sel:WORD_0 src1_sel:DWORD
	v_cndmask_b32_e64 v9, v27, v14, s[8:9]
; %bb.34:
	s_or_b64 exec, exec, s[22:23]
	s_mov_b32 s8, 0x7060302
	v_perm_b32 v14, v9, v8, s8
	v_mov_b32_e32 v27, 0xffff8000
	v_cmp_lt_i32_e64 s[8:9], -1, v8
	v_cndmask_b32_e64 v8, -1, v27, s[8:9]
	v_cmp_lt_i32_e64 s[8:9], -1, v9
	v_cndmask_b32_e64 v9, -1, v27, s[8:9]
	s_mov_b32 s8, 0x5040100
	v_perm_b32 v8, v9, v8, s8
	v_xor_b32_e32 v8, v8, v14
	v_mov_b32_e32 v28, v13
	v_cmp_gt_u16_sdwa s[22:23], v8, v8 src0_sel:DWORD src1_sel:WORD_1
	v_mov_b32_e32 v52, v48
	v_mov_b32_e32 v27, v12
	s_and_saveexec_b64 s[8:9], s[22:23]
; %bb.35:
	v_mov_b32_e32 v28, v5
	v_mov_b32_e32 v27, v4
	;; [unrolled: 1-line block ×6, first 2 shown]
; %bb.36:
	s_or_b64 exec, exec, s[8:9]
	v_lshlrev_b32_e32 v8, 16, v49
	v_add_f32_e32 v9, 0, v8
	s_mov_b32 s8, 0x7f800000
	v_and_b32_e32 v8, 0x7f800000, v9
	v_cmp_ne_u32_e64 s[8:9], s8, v8
                                        ; implicit-def: $vgpr8
	s_and_saveexec_b64 s[22:23], s[8:9]
	s_xor_b64 s[8:9], exec, s[22:23]
; %bb.37:
	v_bfe_u32 v8, v9, 16, 1
	s_movk_i32 s22, 0x7fff
	v_add3_u32 v8, v9, v8, s22
                                        ; implicit-def: $vgpr9
; %bb.38:
	s_andn2_saveexec_b64 s[22:23], s[8:9]
; %bb.39:
	v_mov_b32_e32 v8, 0
	v_or_b32_e32 v12, 0x10000, v9
	v_cmp_eq_u32_sdwa s[8:9], v9, v8 src0_sel:WORD_0 src1_sel:DWORD
	v_cndmask_b32_e64 v8, v12, v9, s[8:9]
; %bb.40:
	s_or_b64 exec, exec, s[22:23]
	v_lshlrev_b32_e32 v9, 16, v51
	v_add_f32_e32 v12, 0, v9
	s_mov_b32 s8, 0x7f800000
	v_and_b32_e32 v9, 0x7f800000, v12
	v_cmp_ne_u32_e64 s[8:9], s8, v9
                                        ; implicit-def: $vgpr9
	s_and_saveexec_b64 s[22:23], s[8:9]
	s_xor_b64 s[8:9], exec, s[22:23]
; %bb.41:
	v_bfe_u32 v9, v12, 16, 1
	s_movk_i32 s22, 0x7fff
	v_add3_u32 v9, v12, v9, s22
                                        ; implicit-def: $vgpr12
; %bb.42:
	s_andn2_saveexec_b64 s[22:23], s[8:9]
; %bb.43:
	v_mov_b32_e32 v9, 0
	v_or_b32_e32 v13, 0x10000, v12
	v_cmp_eq_u32_sdwa s[8:9], v12, v9 src0_sel:WORD_0 src1_sel:DWORD
	v_cndmask_b32_e64 v9, v13, v12, s[8:9]
; %bb.44:
	s_or_b64 exec, exec, s[22:23]
	s_mov_b32 s8, 0x7060302
	v_perm_b32 v12, v9, v8, s8
	v_mov_b32_e32 v13, 0xffff8000
	v_cmp_lt_i32_e64 s[8:9], -1, v8
	v_cndmask_b32_e64 v8, -1, v13, s[8:9]
	v_cmp_lt_i32_e64 s[8:9], -1, v9
	v_cndmask_b32_e64 v9, -1, v13, s[8:9]
	s_mov_b32 s8, 0x5040100
	v_perm_b32 v8, v9, v8, s8
	v_xor_b32_e32 v8, v8, v12
	v_mov_b32_e32 v30, v18
	v_cmp_gt_u16_sdwa s[22:23], v8, v8 src0_sel:DWORD src1_sel:WORD_1
	v_mov_b32_e32 v14, v51
	v_mov_b32_e32 v29, v17
	s_and_saveexec_b64 s[8:9], s[22:23]
; %bb.45:
	v_mov_b32_e32 v30, v16
	v_mov_b32_e32 v29, v15
	v_mov_b32_e32 v15, v17
	v_mov_b32_e32 v14, v49
	v_mov_b32_e32 v49, v51
	v_mov_b32_e32 v16, v18
; %bb.46:
	s_or_b64 exec, exec, s[8:9]
	v_lshlrev_b32_e32 v8, 16, v39
	v_add_f32_e32 v9, 0, v8
	s_mov_b32 s8, 0x7f800000
	v_and_b32_e32 v8, 0x7f800000, v9
	v_cmp_ne_u32_e64 s[8:9], s8, v8
                                        ; implicit-def: $vgpr8
	s_and_saveexec_b64 s[22:23], s[8:9]
	s_xor_b64 s[8:9], exec, s[22:23]
; %bb.47:
	v_bfe_u32 v8, v9, 16, 1
	s_movk_i32 s22, 0x7fff
	v_add3_u32 v8, v9, v8, s22
                                        ; implicit-def: $vgpr9
; %bb.48:
	s_andn2_saveexec_b64 s[22:23], s[8:9]
; %bb.49:
	v_mov_b32_e32 v8, 0
	v_or_b32_e32 v12, 0x10000, v9
	v_cmp_eq_u32_sdwa s[8:9], v9, v8 src0_sel:WORD_0 src1_sel:DWORD
	v_cndmask_b32_e64 v8, v12, v9, s[8:9]
; %bb.50:
	s_or_b64 exec, exec, s[22:23]
	v_lshlrev_b32_e32 v9, 16, v38
	v_add_f32_e32 v12, 0, v9
	s_mov_b32 s8, 0x7f800000
	v_and_b32_e32 v9, 0x7f800000, v12
	v_cmp_ne_u32_e64 s[8:9], s8, v9
                                        ; implicit-def: $vgpr9
	s_and_saveexec_b64 s[22:23], s[8:9]
	s_xor_b64 s[8:9], exec, s[22:23]
; %bb.51:
	v_bfe_u32 v9, v12, 16, 1
	s_movk_i32 s22, 0x7fff
	v_add3_u32 v9, v12, v9, s22
                                        ; implicit-def: $vgpr12
; %bb.52:
	s_andn2_saveexec_b64 s[22:23], s[8:9]
; %bb.53:
	v_mov_b32_e32 v9, 0
	v_or_b32_e32 v13, 0x10000, v12
	v_cmp_eq_u32_sdwa s[8:9], v12, v9 src0_sel:WORD_0 src1_sel:DWORD
	v_cndmask_b32_e64 v9, v13, v12, s[8:9]
; %bb.54:
	s_or_b64 exec, exec, s[22:23]
	s_mov_b32 s8, 0x7060302
	v_perm_b32 v12, v9, v8, s8
	v_mov_b32_e32 v13, 0xffff8000
	v_cmp_lt_i32_e64 s[8:9], -1, v8
	v_cndmask_b32_e64 v8, -1, v13, s[8:9]
	v_cmp_lt_i32_e64 s[8:9], -1, v9
	v_cndmask_b32_e64 v9, -1, v13, s[8:9]
	s_mov_b32 s8, 0x5040100
	v_perm_b32 v8, v9, v8, s8
	v_xor_b32_e32 v8, v8, v12
	v_cmp_gt_u16_sdwa s[22:23], v8, v8 src0_sel:DWORD src1_sel:WORD_1
	v_mov_b32_e32 v8, v23
	v_mov_b32_e32 v9, v24
	;; [unrolled: 1-line block ×3, first 2 shown]
	s_and_saveexec_b64 s[8:9], s[22:23]
; %bb.55:
	v_mov_b32_e32 v8, v19
	v_mov_b32_e32 v9, v20
	;; [unrolled: 1-line block ×6, first 2 shown]
; %bb.56:
	s_or_b64 exec, exec, s[8:9]
	v_lshlrev_b32_e32 v12, 16, v50
	v_add_f32_e32 v13, 0, v12
	s_mov_b32 s8, 0x7f800000
	v_and_b32_e32 v12, 0x7f800000, v13
	v_cmp_ne_u32_e64 s[8:9], s8, v12
                                        ; implicit-def: $vgpr12
	s_and_saveexec_b64 s[22:23], s[8:9]
	s_xor_b64 s[8:9], exec, s[22:23]
; %bb.57:
	v_bfe_u32 v12, v13, 16, 1
	s_movk_i32 s22, 0x7fff
	v_add3_u32 v12, v13, v12, s22
                                        ; implicit-def: $vgpr13
; %bb.58:
	s_andn2_saveexec_b64 s[22:23], s[8:9]
; %bb.59:
	v_mov_b32_e32 v12, 0
	v_or_b32_e32 v17, 0x10000, v13
	v_cmp_eq_u32_sdwa s[8:9], v13, v12 src0_sel:WORD_0 src1_sel:DWORD
	v_cndmask_b32_e64 v12, v17, v13, s[8:9]
; %bb.60:
	s_or_b64 exec, exec, s[22:23]
	v_lshlrev_b32_e32 v13, 16, v37
	v_add_f32_e32 v17, 0, v13
	s_mov_b32 s8, 0x7f800000
	v_and_b32_e32 v13, 0x7f800000, v17
	v_cmp_ne_u32_e64 s[8:9], s8, v13
                                        ; implicit-def: $vgpr13
	s_and_saveexec_b64 s[22:23], s[8:9]
	s_xor_b64 s[8:9], exec, s[22:23]
; %bb.61:
	v_bfe_u32 v13, v17, 16, 1
	s_movk_i32 s22, 0x7fff
	v_add3_u32 v13, v17, v13, s22
                                        ; implicit-def: $vgpr17
; %bb.62:
	s_andn2_saveexec_b64 s[22:23], s[8:9]
; %bb.63:
	v_mov_b32_e32 v13, 0
	v_or_b32_e32 v18, 0x10000, v17
	v_cmp_eq_u32_sdwa s[8:9], v17, v13 src0_sel:WORD_0 src1_sel:DWORD
	v_cndmask_b32_e64 v13, v18, v17, s[8:9]
; %bb.64:
	s_or_b64 exec, exec, s[22:23]
	s_mov_b32 s8, 0x7060302
	v_perm_b32 v17, v13, v12, s8
	v_mov_b32_e32 v18, 0xffff8000
	v_cmp_lt_i32_e64 s[8:9], -1, v12
	v_cndmask_b32_e64 v12, -1, v18, s[8:9]
	v_cmp_lt_i32_e64 s[8:9], -1, v13
	v_cndmask_b32_e64 v13, -1, v18, s[8:9]
	s_mov_b32 s8, 0x5040100
	v_perm_b32 v12, v13, v12, s8
	v_xor_b32_e32 v12, v12, v17
	v_cmp_gt_u16_sdwa s[22:23], v12, v12 src0_sel:DWORD src1_sel:WORD_1
	v_mov_b32_e32 v12, v25
	v_mov_b32_e32 v13, v26
	;; [unrolled: 1-line block ×3, first 2 shown]
	s_and_saveexec_b64 s[8:9], s[22:23]
; %bb.65:
	v_mov_b32_e32 v12, v21
	v_mov_b32_e32 v13, v22
	;; [unrolled: 1-line block ×6, first 2 shown]
; %bb.66:
	s_or_b64 exec, exec, s[8:9]
	v_lshlrev_b32_e32 v17, 16, v52
	v_add_f32_e32 v18, 0, v17
	s_mov_b32 s8, 0x7f800000
	v_and_b32_e32 v17, 0x7f800000, v18
	v_cmp_ne_u32_e64 s[8:9], s8, v17
                                        ; implicit-def: $vgpr17
	s_and_saveexec_b64 s[22:23], s[8:9]
	s_xor_b64 s[8:9], exec, s[22:23]
; %bb.67:
	v_bfe_u32 v17, v18, 16, 1
	s_movk_i32 s22, 0x7fff
	v_add3_u32 v17, v18, v17, s22
                                        ; implicit-def: $vgpr18
; %bb.68:
	s_andn2_saveexec_b64 s[22:23], s[8:9]
; %bb.69:
	v_mov_b32_e32 v17, 0
	v_or_b32_e32 v23, 0x10000, v18
	v_cmp_eq_u32_sdwa s[8:9], v18, v17 src0_sel:WORD_0 src1_sel:DWORD
	v_cndmask_b32_e64 v17, v23, v18, s[8:9]
; %bb.70:
	s_or_b64 exec, exec, s[22:23]
	v_lshlrev_b32_e32 v18, 16, v49
	v_add_f32_e32 v23, 0, v18
	s_mov_b32 s8, 0x7f800000
	v_and_b32_e32 v18, 0x7f800000, v23
	v_cmp_ne_u32_e64 s[8:9], s8, v18
                                        ; implicit-def: $vgpr18
	s_and_saveexec_b64 s[22:23], s[8:9]
	s_xor_b64 s[8:9], exec, s[22:23]
; %bb.71:
	v_bfe_u32 v18, v23, 16, 1
	s_movk_i32 s22, 0x7fff
	v_add3_u32 v18, v23, v18, s22
                                        ; implicit-def: $vgpr23
; %bb.72:
	s_andn2_saveexec_b64 s[22:23], s[8:9]
; %bb.73:
	v_mov_b32_e32 v18, 0
	v_or_b32_e32 v24, 0x10000, v23
	v_cmp_eq_u32_sdwa s[8:9], v23, v18 src0_sel:WORD_0 src1_sel:DWORD
	v_cndmask_b32_e64 v18, v24, v23, s[8:9]
; %bb.74:
	s_or_b64 exec, exec, s[22:23]
	s_mov_b32 s8, 0x7060302
	v_perm_b32 v23, v18, v17, s8
	v_mov_b32_e32 v24, 0xffff8000
	v_cmp_lt_i32_e64 s[8:9], -1, v17
	v_cndmask_b32_e64 v17, -1, v24, s[8:9]
	v_cmp_lt_i32_e64 s[8:9], -1, v18
	v_cndmask_b32_e64 v18, -1, v24, s[8:9]
	s_mov_b32 s8, 0x5040100
	v_perm_b32 v17, v18, v17, s8
	v_xor_b32_e32 v17, v17, v23
	v_mov_b32_e32 v26, v16
	v_cmp_gt_u16_sdwa s[22:23], v17, v17 src0_sel:DWORD src1_sel:WORD_1
	v_mov_b32_e32 v39, v49
	v_mov_b32_e32 v25, v15
	s_and_saveexec_b64 s[8:9], s[22:23]
; %bb.75:
	v_mov_b32_e32 v25, v27
	v_mov_b32_e32 v26, v28
	;; [unrolled: 1-line block ×6, first 2 shown]
; %bb.76:
	s_or_b64 exec, exec, s[8:9]
	v_lshlrev_b32_e32 v15, 16, v14
	v_add_f32_e32 v16, 0, v15
	s_mov_b32 s8, 0x7f800000
	v_and_b32_e32 v15, 0x7f800000, v16
	v_cmp_ne_u32_e64 s[8:9], s8, v15
                                        ; implicit-def: $vgpr15
	s_and_saveexec_b64 s[22:23], s[8:9]
	s_xor_b64 s[8:9], exec, s[22:23]
; %bb.77:
	v_bfe_u32 v15, v16, 16, 1
	s_movk_i32 s22, 0x7fff
	v_add3_u32 v15, v16, v15, s22
                                        ; implicit-def: $vgpr16
; %bb.78:
	s_andn2_saveexec_b64 s[22:23], s[8:9]
; %bb.79:
	v_mov_b32_e32 v15, 0
	v_or_b32_e32 v17, 0x10000, v16
	v_cmp_eq_u32_sdwa s[8:9], v16, v15 src0_sel:WORD_0 src1_sel:DWORD
	v_cndmask_b32_e64 v15, v17, v16, s[8:9]
; %bb.80:
	s_or_b64 exec, exec, s[22:23]
	v_lshlrev_b32_e32 v16, 16, v51
	v_add_f32_e32 v17, 0, v16
	s_mov_b32 s8, 0x7f800000
	v_and_b32_e32 v16, 0x7f800000, v17
	v_cmp_ne_u32_e64 s[8:9], s8, v16
                                        ; implicit-def: $vgpr16
	s_and_saveexec_b64 s[22:23], s[8:9]
	s_xor_b64 s[8:9], exec, s[22:23]
; %bb.81:
	v_bfe_u32 v16, v17, 16, 1
	s_movk_i32 s22, 0x7fff
	v_add3_u32 v16, v17, v16, s22
                                        ; implicit-def: $vgpr17
; %bb.82:
	s_andn2_saveexec_b64 s[22:23], s[8:9]
; %bb.83:
	v_mov_b32_e32 v16, 0
	v_or_b32_e32 v18, 0x10000, v17
	v_cmp_eq_u32_sdwa s[8:9], v17, v16 src0_sel:WORD_0 src1_sel:DWORD
	v_cndmask_b32_e64 v16, v18, v17, s[8:9]
; %bb.84:
	s_or_b64 exec, exec, s[22:23]
	s_mov_b32 s8, 0x7060302
	v_perm_b32 v17, v16, v15, s8
	v_mov_b32_e32 v18, 0xffff8000
	v_cmp_lt_i32_e64 s[8:9], -1, v15
	v_cndmask_b32_e64 v15, -1, v18, s[8:9]
	v_cmp_lt_i32_e64 s[8:9], -1, v16
	v_cndmask_b32_e64 v16, -1, v18, s[8:9]
	s_mov_b32 s8, 0x5040100
	v_perm_b32 v15, v16, v15, s8
	v_xor_b32_e32 v15, v15, v17
	v_mov_b32_e32 v24, v20
	v_cmp_gt_u16_sdwa s[22:23], v15, v15 src0_sel:DWORD src1_sel:WORD_1
	v_mov_b32_e32 v16, v14
	v_mov_b32_e32 v23, v19
	s_and_saveexec_b64 s[8:9], s[22:23]
; %bb.85:
	v_mov_b32_e32 v23, v29
	v_mov_b32_e32 v24, v30
	;; [unrolled: 1-line block ×6, first 2 shown]
; %bb.86:
	s_or_b64 exec, exec, s[8:9]
	v_lshlrev_b32_e32 v14, 16, v38
	v_add_f32_e32 v15, 0, v14
	s_mov_b32 s8, 0x7f800000
	v_and_b32_e32 v14, 0x7f800000, v15
	v_cmp_ne_u32_e64 s[8:9], s8, v14
                                        ; implicit-def: $vgpr14
	s_and_saveexec_b64 s[22:23], s[8:9]
	s_xor_b64 s[8:9], exec, s[22:23]
; %bb.87:
	v_bfe_u32 v14, v15, 16, 1
	s_movk_i32 s22, 0x7fff
	v_add3_u32 v14, v15, v14, s22
                                        ; implicit-def: $vgpr15
; %bb.88:
	s_andn2_saveexec_b64 s[22:23], s[8:9]
; %bb.89:
	v_mov_b32_e32 v14, 0
	v_or_b32_e32 v17, 0x10000, v15
	v_cmp_eq_u32_sdwa s[8:9], v15, v14 src0_sel:WORD_0 src1_sel:DWORD
	v_cndmask_b32_e64 v14, v17, v15, s[8:9]
; %bb.90:
	s_or_b64 exec, exec, s[22:23]
	v_lshlrev_b32_e32 v15, 16, v48
	v_add_f32_e32 v17, 0, v15
	s_mov_b32 s8, 0x7f800000
	v_and_b32_e32 v15, 0x7f800000, v17
	v_cmp_ne_u32_e64 s[8:9], s8, v15
                                        ; implicit-def: $vgpr15
	s_and_saveexec_b64 s[22:23], s[8:9]
	s_xor_b64 s[8:9], exec, s[22:23]
; %bb.91:
	v_bfe_u32 v15, v17, 16, 1
	s_movk_i32 s22, 0x7fff
	v_add3_u32 v15, v17, v15, s22
                                        ; implicit-def: $vgpr17
; %bb.92:
	s_andn2_saveexec_b64 s[22:23], s[8:9]
; %bb.93:
	v_mov_b32_e32 v15, 0
	v_or_b32_e32 v18, 0x10000, v17
	v_cmp_eq_u32_sdwa s[8:9], v17, v15 src0_sel:WORD_0 src1_sel:DWORD
	v_cndmask_b32_e64 v15, v18, v17, s[8:9]
; %bb.94:
	s_or_b64 exec, exec, s[22:23]
	s_mov_b32 s8, 0x7060302
	v_perm_b32 v17, v15, v14, s8
	v_mov_b32_e32 v18, 0xffff8000
	v_cmp_lt_i32_e64 s[8:9], -1, v14
	v_cndmask_b32_e64 v14, -1, v18, s[8:9]
	v_cmp_lt_i32_e64 s[8:9], -1, v15
	v_cndmask_b32_e64 v15, -1, v18, s[8:9]
	s_mov_b32 s8, 0x5040100
	v_perm_b32 v14, v15, v14, s8
	v_xor_b32_e32 v14, v14, v17
	v_cmp_gt_u16_sdwa s[22:23], v14, v14 src0_sel:DWORD src1_sel:WORD_1
	v_mov_b32_e32 v14, v21
	v_mov_b32_e32 v15, v22
	;; [unrolled: 1-line block ×3, first 2 shown]
	s_and_saveexec_b64 s[8:9], s[22:23]
; %bb.95:
	v_mov_b32_e32 v15, v9
	v_mov_b32_e32 v14, v8
	;; [unrolled: 1-line block ×6, first 2 shown]
; %bb.96:
	s_or_b64 exec, exec, s[8:9]
	v_lshlrev_b32_e32 v17, 16, v36
	v_add_f32_e32 v18, 0, v17
	s_mov_b32 s8, 0x7f800000
	v_and_b32_e32 v17, 0x7f800000, v18
	v_cmp_ne_u32_e64 s[8:9], s8, v17
                                        ; implicit-def: $vgpr17
	s_and_saveexec_b64 s[22:23], s[8:9]
	s_xor_b64 s[8:9], exec, s[22:23]
; %bb.97:
	v_bfe_u32 v17, v18, 16, 1
	s_movk_i32 s22, 0x7fff
	v_add3_u32 v17, v18, v17, s22
                                        ; implicit-def: $vgpr18
; %bb.98:
	s_andn2_saveexec_b64 s[22:23], s[8:9]
; %bb.99:
	v_mov_b32_e32 v17, 0
	v_or_b32_e32 v19, 0x10000, v18
	v_cmp_eq_u32_sdwa s[8:9], v18, v17 src0_sel:WORD_0 src1_sel:DWORD
	v_cndmask_b32_e64 v17, v19, v18, s[8:9]
; %bb.100:
	s_or_b64 exec, exec, s[22:23]
	v_lshlrev_b32_e32 v18, 16, v52
	v_add_f32_e32 v19, 0, v18
	s_mov_b32 s8, 0x7f800000
	v_and_b32_e32 v18, 0x7f800000, v19
	v_cmp_ne_u32_e64 s[8:9], s8, v18
                                        ; implicit-def: $vgpr18
	s_and_saveexec_b64 s[22:23], s[8:9]
	s_xor_b64 s[8:9], exec, s[22:23]
; %bb.101:
	v_bfe_u32 v18, v19, 16, 1
	s_movk_i32 s22, 0x7fff
	v_add3_u32 v18, v19, v18, s22
                                        ; implicit-def: $vgpr19
; %bb.102:
	s_andn2_saveexec_b64 s[22:23], s[8:9]
; %bb.103:
	v_mov_b32_e32 v18, 0
	v_or_b32_e32 v20, 0x10000, v19
	v_cmp_eq_u32_sdwa s[8:9], v19, v18 src0_sel:WORD_0 src1_sel:DWORD
	v_cndmask_b32_e64 v18, v20, v19, s[8:9]
; %bb.104:
	s_or_b64 exec, exec, s[22:23]
	s_mov_b32 s8, 0x7060302
	v_perm_b32 v19, v18, v17, s8
	v_mov_b32_e32 v20, 0xffff8000
	v_cmp_lt_i32_e64 s[8:9], -1, v17
	v_cndmask_b32_e64 v17, -1, v20, s[8:9]
	v_cmp_lt_i32_e64 s[8:9], -1, v18
	v_cndmask_b32_e64 v18, -1, v20, s[8:9]
	s_mov_b32 s8, 0x5040100
	v_perm_b32 v17, v18, v17, s8
	v_xor_b32_e32 v17, v17, v19
	v_mov_b32_e32 v18, v27
	v_cmp_gt_u16_sdwa s[22:23], v17, v17 src0_sel:DWORD src1_sel:WORD_1
	v_mov_b32_e32 v20, v52
	v_mov_b32_e32 v19, v28
	s_and_saveexec_b64 s[8:9], s[22:23]
; %bb.105:
	v_mov_b32_e32 v19, v5
	v_mov_b32_e32 v18, v4
	v_mov_b32_e32 v4, v27
	v_mov_b32_e32 v20, v36
	v_mov_b32_e32 v36, v52
	v_mov_b32_e32 v5, v28
; %bb.106:
	s_or_b64 exec, exec, s[8:9]
	v_lshlrev_b32_e32 v17, 16, v39
	v_add_f32_e32 v21, 0, v17
	s_mov_b32 s8, 0x7f800000
	v_and_b32_e32 v17, 0x7f800000, v21
	v_cmp_ne_u32_e64 s[8:9], s8, v17
                                        ; implicit-def: $vgpr17
	s_and_saveexec_b64 s[22:23], s[8:9]
	s_xor_b64 s[8:9], exec, s[22:23]
; %bb.107:
	v_bfe_u32 v17, v21, 16, 1
	s_movk_i32 s22, 0x7fff
	v_add3_u32 v17, v21, v17, s22
                                        ; implicit-def: $vgpr21
; %bb.108:
	s_andn2_saveexec_b64 s[22:23], s[8:9]
; %bb.109:
	v_mov_b32_e32 v17, 0
	v_or_b32_e32 v22, 0x10000, v21
	v_cmp_eq_u32_sdwa s[8:9], v21, v17 src0_sel:WORD_0 src1_sel:DWORD
	v_cndmask_b32_e64 v17, v22, v21, s[8:9]
; %bb.110:
	s_or_b64 exec, exec, s[22:23]
	v_lshlrev_b32_e32 v21, 16, v16
	v_add_f32_e32 v22, 0, v21
	s_mov_b32 s8, 0x7f800000
	v_and_b32_e32 v21, 0x7f800000, v22
	v_cmp_ne_u32_e64 s[8:9], s8, v21
                                        ; implicit-def: $vgpr21
	s_and_saveexec_b64 s[22:23], s[8:9]
	s_xor_b64 s[8:9], exec, s[22:23]
; %bb.111:
	v_bfe_u32 v21, v22, 16, 1
	s_movk_i32 s22, 0x7fff
	v_add3_u32 v21, v22, v21, s22
                                        ; implicit-def: $vgpr22
; %bb.112:
	s_andn2_saveexec_b64 s[22:23], s[8:9]
; %bb.113:
	v_mov_b32_e32 v21, 0
	v_or_b32_e32 v27, 0x10000, v22
	v_cmp_eq_u32_sdwa s[8:9], v22, v21 src0_sel:WORD_0 src1_sel:DWORD
	v_cndmask_b32_e64 v21, v27, v22, s[8:9]
; %bb.114:
	s_or_b64 exec, exec, s[22:23]
	s_mov_b32 s8, 0x7060302
	v_perm_b32 v22, v21, v17, s8
	v_mov_b32_e32 v27, 0xffff8000
	v_cmp_lt_i32_e64 s[8:9], -1, v17
	v_cndmask_b32_e64 v17, -1, v27, s[8:9]
	v_cmp_lt_i32_e64 s[8:9], -1, v21
	v_cndmask_b32_e64 v21, -1, v27, s[8:9]
	s_mov_b32 s8, 0x5040100
	v_perm_b32 v17, v21, v17, s8
	v_xor_b32_e32 v17, v17, v22
	v_mov_b32_e32 v27, v29
	v_cmp_gt_u16_sdwa s[22:23], v17, v17 src0_sel:DWORD src1_sel:WORD_1
	v_mov_b32_e32 v53, v16
	v_mov_b32_e32 v28, v30
	s_and_saveexec_b64 s[8:9], s[22:23]
; %bb.115:
	v_mov_b32_e32 v28, v26
	v_mov_b32_e32 v27, v25
	;; [unrolled: 1-line block ×6, first 2 shown]
; %bb.116:
	s_or_b64 exec, exec, s[8:9]
	v_lshlrev_b32_e32 v16, 16, v51
	v_add_f32_e32 v17, 0, v16
	s_mov_b32 s8, 0x7f800000
	v_and_b32_e32 v16, 0x7f800000, v17
	v_cmp_ne_u32_e64 s[8:9], s8, v16
                                        ; implicit-def: $vgpr16
	s_and_saveexec_b64 s[22:23], s[8:9]
	s_xor_b64 s[8:9], exec, s[22:23]
; %bb.117:
	v_bfe_u32 v16, v17, 16, 1
	s_movk_i32 s22, 0x7fff
	v_add3_u32 v16, v17, v16, s22
                                        ; implicit-def: $vgpr17
; %bb.118:
	s_andn2_saveexec_b64 s[22:23], s[8:9]
; %bb.119:
	v_mov_b32_e32 v16, 0
	v_or_b32_e32 v21, 0x10000, v17
	v_cmp_eq_u32_sdwa s[8:9], v17, v16 src0_sel:WORD_0 src1_sel:DWORD
	v_cndmask_b32_e64 v16, v21, v17, s[8:9]
; %bb.120:
	s_or_b64 exec, exec, s[22:23]
	v_lshlrev_b32_e32 v17, 16, v49
	v_add_f32_e32 v21, 0, v17
	s_mov_b32 s8, 0x7f800000
	v_and_b32_e32 v17, 0x7f800000, v21
	v_cmp_ne_u32_e64 s[8:9], s8, v17
                                        ; implicit-def: $vgpr17
	s_and_saveexec_b64 s[22:23], s[8:9]
	s_xor_b64 s[8:9], exec, s[22:23]
; %bb.121:
	v_bfe_u32 v17, v21, 16, 1
	s_movk_i32 s22, 0x7fff
	v_add3_u32 v17, v21, v17, s22
                                        ; implicit-def: $vgpr21
; %bb.122:
	s_andn2_saveexec_b64 s[22:23], s[8:9]
; %bb.123:
	v_mov_b32_e32 v17, 0
	v_or_b32_e32 v22, 0x10000, v21
	v_cmp_eq_u32_sdwa s[8:9], v21, v17 src0_sel:WORD_0 src1_sel:DWORD
	v_cndmask_b32_e64 v17, v22, v21, s[8:9]
; %bb.124:
	s_or_b64 exec, exec, s[22:23]
	s_mov_b32 s8, 0x7060302
	v_perm_b32 v21, v17, v16, s8
	v_mov_b32_e32 v22, 0xffff8000
	v_cmp_lt_i32_e64 s[8:9], -1, v16
	v_cndmask_b32_e64 v16, -1, v22, s[8:9]
	v_cmp_lt_i32_e64 s[8:9], -1, v17
	v_cndmask_b32_e64 v17, -1, v22, s[8:9]
	s_mov_b32 s8, 0x5040100
	v_perm_b32 v16, v17, v16, s8
	v_xor_b32_e32 v16, v16, v21
	v_cmp_gt_u16_sdwa s[22:23], v16, v16 src0_sel:DWORD src1_sel:WORD_1
	v_mov_b32_e32 v17, v9
	v_mov_b32_e32 v16, v8
	;; [unrolled: 1-line block ×3, first 2 shown]
	s_and_saveexec_b64 s[8:9], s[22:23]
; %bb.125:
	v_mov_b32_e32 v16, v23
	v_mov_b32_e32 v17, v24
	;; [unrolled: 1-line block ×6, first 2 shown]
; %bb.126:
	s_or_b64 exec, exec, s[8:9]
	v_lshlrev_b32_e32 v8, 16, v48
	v_add_f32_e32 v9, 0, v8
	s_mov_b32 s8, 0x7f800000
	v_and_b32_e32 v8, 0x7f800000, v9
	v_cmp_ne_u32_e64 s[8:9], s8, v8
                                        ; implicit-def: $vgpr8
	s_and_saveexec_b64 s[22:23], s[8:9]
	s_xor_b64 s[8:9], exec, s[22:23]
; %bb.127:
	v_bfe_u32 v8, v9, 16, 1
	s_movk_i32 s22, 0x7fff
	v_add3_u32 v8, v9, v8, s22
                                        ; implicit-def: $vgpr9
; %bb.128:
	s_andn2_saveexec_b64 s[22:23], s[8:9]
; %bb.129:
	v_mov_b32_e32 v8, 0
	v_or_b32_e32 v21, 0x10000, v9
	v_cmp_eq_u32_sdwa s[8:9], v9, v8 src0_sel:WORD_0 src1_sel:DWORD
	v_cndmask_b32_e64 v8, v21, v9, s[8:9]
; %bb.130:
	s_or_b64 exec, exec, s[22:23]
	v_lshlrev_b32_e32 v9, 16, v37
	v_add_f32_e32 v21, 0, v9
	s_mov_b32 s8, 0x7f800000
	v_and_b32_e32 v9, 0x7f800000, v21
	v_cmp_ne_u32_e64 s[8:9], s8, v9
                                        ; implicit-def: $vgpr9
	s_and_saveexec_b64 s[22:23], s[8:9]
	s_xor_b64 s[8:9], exec, s[22:23]
; %bb.131:
	v_bfe_u32 v9, v21, 16, 1
	s_movk_i32 s22, 0x7fff
	v_add3_u32 v9, v21, v9, s22
                                        ; implicit-def: $vgpr21
; %bb.132:
	s_andn2_saveexec_b64 s[22:23], s[8:9]
; %bb.133:
	v_mov_b32_e32 v9, 0
	v_or_b32_e32 v22, 0x10000, v21
	v_cmp_eq_u32_sdwa s[8:9], v21, v9 src0_sel:WORD_0 src1_sel:DWORD
	v_cndmask_b32_e64 v9, v22, v21, s[8:9]
; %bb.134:
	s_or_b64 exec, exec, s[22:23]
	s_mov_b32 s8, 0x7060302
	v_perm_b32 v21, v9, v8, s8
	v_mov_b32_e32 v22, 0xffff8000
	v_cmp_lt_i32_e64 s[8:9], -1, v8
	v_cndmask_b32_e64 v8, -1, v22, s[8:9]
	v_cmp_lt_i32_e64 s[8:9], -1, v9
	v_cndmask_b32_e64 v9, -1, v22, s[8:9]
	s_mov_b32 s8, 0x5040100
	v_perm_b32 v8, v9, v8, s8
	v_xor_b32_e32 v8, v8, v21
	v_cmp_gt_u16_sdwa s[22:23], v8, v8 src0_sel:DWORD src1_sel:WORD_1
	v_mov_b32_e32 v8, v12
	v_mov_b32_e32 v9, v13
	;; [unrolled: 1-line block ×3, first 2 shown]
	s_and_saveexec_b64 s[8:9], s[22:23]
; %bb.135:
	v_mov_b32_e32 v8, v14
	v_mov_b32_e32 v9, v15
	;; [unrolled: 1-line block ×6, first 2 shown]
; %bb.136:
	s_or_b64 exec, exec, s[8:9]
	v_lshlrev_b32_e32 v12, 16, v20
	v_add_f32_e32 v13, 0, v12
	s_mov_b32 s8, 0x7f800000
	v_and_b32_e32 v12, 0x7f800000, v13
	v_cmp_ne_u32_e64 s[8:9], s8, v12
                                        ; implicit-def: $vgpr12
	s_and_saveexec_b64 s[22:23], s[8:9]
	s_xor_b64 s[8:9], exec, s[22:23]
; %bb.137:
	v_bfe_u32 v12, v13, 16, 1
	s_movk_i32 s22, 0x7fff
	v_add3_u32 v12, v13, v12, s22
                                        ; implicit-def: $vgpr13
; %bb.138:
	s_andn2_saveexec_b64 s[22:23], s[8:9]
; %bb.139:
	v_mov_b32_e32 v12, 0
	v_or_b32_e32 v21, 0x10000, v13
	v_cmp_eq_u32_sdwa s[8:9], v13, v12 src0_sel:WORD_0 src1_sel:DWORD
	v_cndmask_b32_e64 v12, v21, v13, s[8:9]
; %bb.140:
	s_or_b64 exec, exec, s[22:23]
	v_lshlrev_b32_e32 v13, 16, v39
	v_add_f32_e32 v21, 0, v13
	s_mov_b32 s8, 0x7f800000
	v_and_b32_e32 v13, 0x7f800000, v21
	v_cmp_ne_u32_e64 s[8:9], s8, v13
                                        ; implicit-def: $vgpr13
	s_and_saveexec_b64 s[22:23], s[8:9]
	s_xor_b64 s[8:9], exec, s[22:23]
; %bb.141:
	v_bfe_u32 v13, v21, 16, 1
	s_movk_i32 s22, 0x7fff
	v_add3_u32 v13, v21, v13, s22
                                        ; implicit-def: $vgpr21
; %bb.142:
	s_andn2_saveexec_b64 s[22:23], s[8:9]
; %bb.143:
	v_mov_b32_e32 v13, 0
	v_or_b32_e32 v22, 0x10000, v21
	v_cmp_eq_u32_sdwa s[8:9], v21, v13 src0_sel:WORD_0 src1_sel:DWORD
	v_cndmask_b32_e64 v13, v22, v21, s[8:9]
; %bb.144:
	s_or_b64 exec, exec, s[22:23]
	s_mov_b32 s8, 0x7060302
	v_perm_b32 v21, v13, v12, s8
	v_mov_b32_e32 v22, 0xffff8000
	v_cmp_lt_i32_e64 s[8:9], -1, v12
	v_cndmask_b32_e64 v12, -1, v22, s[8:9]
	v_cmp_lt_i32_e64 s[8:9], -1, v13
	v_cndmask_b32_e64 v13, -1, v22, s[8:9]
	s_mov_b32 s8, 0x5040100
	v_perm_b32 v12, v13, v12, s8
	v_xor_b32_e32 v12, v12, v21
	v_mov_b32_e32 v30, v26
	v_cmp_gt_u16_sdwa s[22:23], v12, v12 src0_sel:DWORD src1_sel:WORD_1
	v_mov_b32_e32 v38, v39
	v_mov_b32_e32 v29, v25
	s_and_saveexec_b64 s[8:9], s[22:23]
; %bb.145:
	v_mov_b32_e32 v30, v19
	v_mov_b32_e32 v29, v18
	;; [unrolled: 1-line block ×6, first 2 shown]
; %bb.146:
	s_or_b64 exec, exec, s[8:9]
	v_lshlrev_b32_e32 v12, 16, v53
	v_add_f32_e32 v13, 0, v12
	s_mov_b32 s8, 0x7f800000
	v_and_b32_e32 v12, 0x7f800000, v13
	v_cmp_ne_u32_e64 s[8:9], s8, v12
                                        ; implicit-def: $vgpr12
	s_and_saveexec_b64 s[22:23], s[8:9]
	s_xor_b64 s[8:9], exec, s[22:23]
; %bb.147:
	v_bfe_u32 v12, v13, 16, 1
	s_movk_i32 s22, 0x7fff
	v_add3_u32 v12, v13, v12, s22
                                        ; implicit-def: $vgpr13
; %bb.148:
	s_andn2_saveexec_b64 s[22:23], s[8:9]
; %bb.149:
	v_mov_b32_e32 v12, 0
	v_or_b32_e32 v21, 0x10000, v13
	v_cmp_eq_u32_sdwa s[8:9], v13, v12 src0_sel:WORD_0 src1_sel:DWORD
	v_cndmask_b32_e64 v12, v21, v13, s[8:9]
; %bb.150:
	s_or_b64 exec, exec, s[22:23]
	v_lshlrev_b32_e32 v13, 16, v52
	v_add_f32_e32 v21, 0, v13
	s_mov_b32 s8, 0x7f800000
	v_and_b32_e32 v13, 0x7f800000, v21
	v_cmp_ne_u32_e64 s[8:9], s8, v13
                                        ; implicit-def: $vgpr13
	s_and_saveexec_b64 s[22:23], s[8:9]
	s_xor_b64 s[8:9], exec, s[22:23]
; %bb.151:
	v_bfe_u32 v13, v21, 16, 1
	s_movk_i32 s22, 0x7fff
	v_add3_u32 v13, v21, v13, s22
                                        ; implicit-def: $vgpr21
; %bb.152:
	s_andn2_saveexec_b64 s[22:23], s[8:9]
; %bb.153:
	v_mov_b32_e32 v13, 0
	v_or_b32_e32 v22, 0x10000, v21
	v_cmp_eq_u32_sdwa s[8:9], v21, v13 src0_sel:WORD_0 src1_sel:DWORD
	v_cndmask_b32_e64 v13, v22, v21, s[8:9]
; %bb.154:
	s_or_b64 exec, exec, s[22:23]
	s_mov_b32 s8, 0x7060302
	v_perm_b32 v21, v13, v12, s8
	v_mov_b32_e32 v22, 0xffff8000
	v_cmp_lt_i32_e64 s[8:9], -1, v12
	v_cndmask_b32_e64 v12, -1, v22, s[8:9]
	v_cmp_lt_i32_e64 s[8:9], -1, v13
	v_cndmask_b32_e64 v13, -1, v22, s[8:9]
	s_mov_b32 s8, 0x5040100
	v_perm_b32 v12, v13, v12, s8
	v_xor_b32_e32 v12, v12, v21
	v_mov_b32_e32 v21, v23
	v_cmp_gt_u16_sdwa s[22:23], v12, v12 src0_sel:DWORD src1_sel:WORD_1
	v_mov_b32_e32 v51, v53
	v_mov_b32_e32 v22, v24
	s_and_saveexec_b64 s[8:9], s[22:23]
; %bb.155:
	v_mov_b32_e32 v21, v27
	v_mov_b32_e32 v22, v28
	;; [unrolled: 1-line block ×6, first 2 shown]
; %bb.156:
	s_or_b64 exec, exec, s[8:9]
	v_lshlrev_b32_e32 v12, 16, v49
	v_add_f32_e32 v13, 0, v12
	s_mov_b32 s8, 0x7f800000
	v_and_b32_e32 v12, 0x7f800000, v13
	v_cmp_ne_u32_e64 s[8:9], s8, v12
                                        ; implicit-def: $vgpr12
	s_and_saveexec_b64 s[22:23], s[8:9]
	s_xor_b64 s[8:9], exec, s[22:23]
; %bb.157:
	v_bfe_u32 v12, v13, 16, 1
	s_movk_i32 s22, 0x7fff
	v_add3_u32 v12, v13, v12, s22
                                        ; implicit-def: $vgpr13
; %bb.158:
	s_andn2_saveexec_b64 s[22:23], s[8:9]
; %bb.159:
	v_mov_b32_e32 v12, 0
	v_or_b32_e32 v23, 0x10000, v13
	v_cmp_eq_u32_sdwa s[8:9], v13, v12 src0_sel:WORD_0 src1_sel:DWORD
	v_cndmask_b32_e64 v12, v23, v13, s[8:9]
; %bb.160:
	s_or_b64 exec, exec, s[22:23]
	v_lshlrev_b32_e32 v13, 16, v50
	v_add_f32_e32 v23, 0, v13
	s_mov_b32 s8, 0x7f800000
	v_and_b32_e32 v13, 0x7f800000, v23
	v_cmp_ne_u32_e64 s[8:9], s8, v13
                                        ; implicit-def: $vgpr13
	s_and_saveexec_b64 s[22:23], s[8:9]
	s_xor_b64 s[8:9], exec, s[22:23]
; %bb.161:
	v_bfe_u32 v13, v23, 16, 1
	s_movk_i32 s22, 0x7fff
	v_add3_u32 v13, v23, v13, s22
                                        ; implicit-def: $vgpr23
; %bb.162:
	s_andn2_saveexec_b64 s[22:23], s[8:9]
; %bb.163:
	v_mov_b32_e32 v13, 0
	v_or_b32_e32 v24, 0x10000, v23
	v_cmp_eq_u32_sdwa s[8:9], v23, v13 src0_sel:WORD_0 src1_sel:DWORD
	v_cndmask_b32_e64 v13, v24, v23, s[8:9]
; %bb.164:
	s_or_b64 exec, exec, s[22:23]
	s_mov_b32 s8, 0x7060302
	v_perm_b32 v23, v13, v12, s8
	v_mov_b32_e32 v24, 0xffff8000
	v_cmp_lt_i32_e64 s[8:9], -1, v12
	v_cndmask_b32_e64 v12, -1, v24, s[8:9]
	v_cmp_lt_i32_e64 s[8:9], -1, v13
	v_cndmask_b32_e64 v13, -1, v24, s[8:9]
	s_mov_b32 s8, 0x5040100
	v_perm_b32 v12, v13, v12, s8
	v_xor_b32_e32 v12, v12, v23
	v_cmp_gt_u16_sdwa s[22:23], v12, v12 src0_sel:DWORD src1_sel:WORD_1
	v_mov_b32_e32 v12, v14
	v_mov_b32_e32 v13, v15
	v_mov_b32_e32 v48, v49
	s_and_saveexec_b64 s[8:9], s[22:23]
; %bb.165:
	v_mov_b32_e32 v12, v16
	v_mov_b32_e32 v13, v17
	;; [unrolled: 1-line block ×6, first 2 shown]
; %bb.166:
	s_or_b64 exec, exec, s[8:9]
	v_lshlrev_b32_e32 v14, 16, v36
	v_add_f32_e32 v15, 0, v14
	s_mov_b32 s8, 0x7f800000
	v_and_b32_e32 v14, 0x7f800000, v15
	v_cmp_ne_u32_e64 s[8:9], s8, v14
                                        ; implicit-def: $vgpr14
	s_and_saveexec_b64 s[22:23], s[8:9]
	s_xor_b64 s[8:9], exec, s[22:23]
; %bb.167:
	v_bfe_u32 v14, v15, 16, 1
	s_movk_i32 s22, 0x7fff
	v_add3_u32 v14, v15, v14, s22
                                        ; implicit-def: $vgpr15
; %bb.168:
	s_andn2_saveexec_b64 s[22:23], s[8:9]
; %bb.169:
	v_mov_b32_e32 v14, 0
	v_or_b32_e32 v23, 0x10000, v15
	v_cmp_eq_u32_sdwa s[8:9], v15, v14 src0_sel:WORD_0 src1_sel:DWORD
	v_cndmask_b32_e64 v14, v23, v15, s[8:9]
; %bb.170:
	s_or_b64 exec, exec, s[22:23]
	v_lshlrev_b32_e32 v15, 16, v20
	v_add_f32_e32 v23, 0, v15
	s_mov_b32 s8, 0x7f800000
	v_and_b32_e32 v15, 0x7f800000, v23
	v_cmp_ne_u32_e64 s[8:9], s8, v15
                                        ; implicit-def: $vgpr15
	s_and_saveexec_b64 s[22:23], s[8:9]
	s_xor_b64 s[8:9], exec, s[22:23]
; %bb.171:
	v_bfe_u32 v15, v23, 16, 1
	s_movk_i32 s22, 0x7fff
	v_add3_u32 v15, v23, v15, s22
                                        ; implicit-def: $vgpr23
; %bb.172:
	s_andn2_saveexec_b64 s[22:23], s[8:9]
; %bb.173:
	v_mov_b32_e32 v15, 0
	v_or_b32_e32 v24, 0x10000, v23
	v_cmp_eq_u32_sdwa s[8:9], v23, v15 src0_sel:WORD_0 src1_sel:DWORD
	v_cndmask_b32_e64 v15, v24, v23, s[8:9]
; %bb.174:
	s_or_b64 exec, exec, s[22:23]
	s_mov_b32 s8, 0x7060302
	v_perm_b32 v23, v15, v14, s8
	v_mov_b32_e32 v24, 0xffff8000
	v_cmp_lt_i32_e64 s[8:9], -1, v14
	v_cndmask_b32_e64 v14, -1, v24, s[8:9]
	v_cmp_lt_i32_e64 s[8:9], -1, v15
	v_cndmask_b32_e64 v15, -1, v24, s[8:9]
	s_mov_b32 s8, 0x5040100
	v_perm_b32 v14, v15, v14, s8
	v_xor_b32_e32 v14, v14, v23
	v_mov_b32_e32 v24, v19
	v_cmp_gt_u16_sdwa s[22:23], v14, v14 src0_sel:DWORD src1_sel:WORD_1
	v_mov_b32_e32 v39, v20
	v_mov_b32_e32 v23, v18
	s_and_saveexec_b64 s[8:9], s[22:23]
; %bb.175:
	v_mov_b32_e32 v24, v5
	v_mov_b32_e32 v23, v4
	;; [unrolled: 1-line block ×6, first 2 shown]
; %bb.176:
	s_or_b64 exec, exec, s[8:9]
	v_lshlrev_b32_e32 v14, 16, v38
	v_add_f32_e32 v15, 0, v14
	s_mov_b32 s8, 0x7f800000
	v_and_b32_e32 v14, 0x7f800000, v15
	v_cmp_ne_u32_e64 s[8:9], s8, v14
                                        ; implicit-def: $vgpr14
	s_and_saveexec_b64 s[22:23], s[8:9]
	s_xor_b64 s[8:9], exec, s[22:23]
; %bb.177:
	v_bfe_u32 v14, v15, 16, 1
	s_movk_i32 s22, 0x7fff
	v_add3_u32 v14, v15, v14, s22
                                        ; implicit-def: $vgpr15
; %bb.178:
	s_andn2_saveexec_b64 s[22:23], s[8:9]
; %bb.179:
	v_mov_b32_e32 v14, 0
	v_or_b32_e32 v18, 0x10000, v15
	v_cmp_eq_u32_sdwa s[8:9], v15, v14 src0_sel:WORD_0 src1_sel:DWORD
	v_cndmask_b32_e64 v14, v18, v15, s[8:9]
; %bb.180:
	s_or_b64 exec, exec, s[22:23]
	v_lshlrev_b32_e32 v15, 16, v51
	v_add_f32_e32 v18, 0, v15
	s_mov_b32 s8, 0x7f800000
	v_and_b32_e32 v15, 0x7f800000, v18
	v_cmp_ne_u32_e64 s[8:9], s8, v15
                                        ; implicit-def: $vgpr15
	s_and_saveexec_b64 s[22:23], s[8:9]
	s_xor_b64 s[8:9], exec, s[22:23]
; %bb.181:
	v_bfe_u32 v15, v18, 16, 1
	s_movk_i32 s22, 0x7fff
	v_add3_u32 v15, v18, v15, s22
                                        ; implicit-def: $vgpr18
; %bb.182:
	s_andn2_saveexec_b64 s[22:23], s[8:9]
; %bb.183:
	v_mov_b32_e32 v15, 0
	v_or_b32_e32 v19, 0x10000, v18
	v_cmp_eq_u32_sdwa s[8:9], v18, v15 src0_sel:WORD_0 src1_sel:DWORD
	v_cndmask_b32_e64 v15, v19, v18, s[8:9]
; %bb.184:
	s_or_b64 exec, exec, s[22:23]
	s_mov_b32 s8, 0x7060302
	v_perm_b32 v18, v15, v14, s8
	v_mov_b32_e32 v19, 0xffff8000
	v_cmp_lt_i32_e64 s[8:9], -1, v14
	v_cndmask_b32_e64 v14, -1, v19, s[8:9]
	v_cmp_lt_i32_e64 s[8:9], -1, v15
	v_cndmask_b32_e64 v15, -1, v19, s[8:9]
	s_mov_b32 s8, 0x5040100
	v_perm_b32 v14, v15, v14, s8
	v_xor_b32_e32 v14, v14, v18
	v_mov_b32_e32 v25, v27
	v_cmp_gt_u16_sdwa s[22:23], v14, v14 src0_sel:DWORD src1_sel:WORD_1
	v_mov_b32_e32 v18, v51
	v_mov_b32_e32 v26, v28
	s_and_saveexec_b64 s[8:9], s[22:23]
; %bb.185:
	v_mov_b32_e32 v25, v29
	v_mov_b32_e32 v26, v30
	;; [unrolled: 1-line block ×6, first 2 shown]
; %bb.186:
	s_or_b64 exec, exec, s[8:9]
	v_lshlrev_b32_e32 v14, 16, v52
	v_add_f32_e32 v15, 0, v14
	s_mov_b32 s8, 0x7f800000
	v_and_b32_e32 v14, 0x7f800000, v15
	v_cmp_ne_u32_e64 s[8:9], s8, v14
                                        ; implicit-def: $vgpr14
	s_and_saveexec_b64 s[22:23], s[8:9]
	s_xor_b64 s[8:9], exec, s[22:23]
; %bb.187:
	v_bfe_u32 v14, v15, 16, 1
	s_movk_i32 s22, 0x7fff
	v_add3_u32 v14, v15, v14, s22
                                        ; implicit-def: $vgpr15
; %bb.188:
	s_andn2_saveexec_b64 s[22:23], s[8:9]
; %bb.189:
	v_mov_b32_e32 v14, 0
	v_or_b32_e32 v19, 0x10000, v15
	v_cmp_eq_u32_sdwa s[8:9], v15, v14 src0_sel:WORD_0 src1_sel:DWORD
	v_cndmask_b32_e64 v14, v19, v15, s[8:9]
; %bb.190:
	s_or_b64 exec, exec, s[22:23]
	v_lshlrev_b32_e32 v15, 16, v48
	v_add_f32_e32 v19, 0, v15
	s_mov_b32 s8, 0x7f800000
	v_and_b32_e32 v15, 0x7f800000, v19
	v_cmp_ne_u32_e64 s[8:9], s8, v15
                                        ; implicit-def: $vgpr15
	s_and_saveexec_b64 s[22:23], s[8:9]
	s_xor_b64 s[8:9], exec, s[22:23]
; %bb.191:
	v_bfe_u32 v15, v19, 16, 1
	s_movk_i32 s22, 0x7fff
	v_add3_u32 v15, v19, v15, s22
                                        ; implicit-def: $vgpr19
; %bb.192:
	s_andn2_saveexec_b64 s[22:23], s[8:9]
; %bb.193:
	v_mov_b32_e32 v15, 0
	v_or_b32_e32 v20, 0x10000, v19
	v_cmp_eq_u32_sdwa s[8:9], v19, v15 src0_sel:WORD_0 src1_sel:DWORD
	v_cndmask_b32_e64 v15, v20, v19, s[8:9]
; %bb.194:
	s_or_b64 exec, exec, s[22:23]
	s_mov_b32 s8, 0x7060302
	v_perm_b32 v19, v15, v14, s8
	v_mov_b32_e32 v20, 0xffff8000
	v_cmp_lt_i32_e64 s[8:9], -1, v14
	v_cndmask_b32_e64 v14, -1, v20, s[8:9]
	v_cmp_lt_i32_e64 s[8:9], -1, v15
	v_cndmask_b32_e64 v15, -1, v20, s[8:9]
	s_mov_b32 s8, 0x5040100
	v_perm_b32 v14, v15, v14, s8
	v_xor_b32_e32 v14, v14, v19
	v_mov_b32_e32 v20, v17
	v_cmp_gt_u16_sdwa s[22:23], v14, v14 src0_sel:DWORD src1_sel:WORD_1
	v_mov_b32_e32 v19, v16
	v_mov_b32_e32 v49, v52
	s_and_saveexec_b64 s[8:9], s[22:23]
; %bb.195:
	v_mov_b32_e32 v19, v21
	v_mov_b32_e32 v20, v22
	;; [unrolled: 1-line block ×6, first 2 shown]
; %bb.196:
	s_or_b64 exec, exec, s[8:9]
	v_lshlrev_b32_e32 v14, 16, v50
	v_add_f32_e32 v15, 0, v14
	s_mov_b32 s8, 0x7f800000
	v_and_b32_e32 v14, 0x7f800000, v15
	v_cmp_ne_u32_e64 s[8:9], s8, v14
                                        ; implicit-def: $vgpr14
	s_and_saveexec_b64 s[22:23], s[8:9]
	s_xor_b64 s[8:9], exec, s[22:23]
; %bb.197:
	v_bfe_u32 v14, v15, 16, 1
	s_movk_i32 s22, 0x7fff
	v_add3_u32 v14, v15, v14, s22
                                        ; implicit-def: $vgpr15
; %bb.198:
	s_andn2_saveexec_b64 s[22:23], s[8:9]
; %bb.199:
	v_mov_b32_e32 v14, 0
	v_or_b32_e32 v16, 0x10000, v15
	v_cmp_eq_u32_sdwa s[8:9], v15, v14 src0_sel:WORD_0 src1_sel:DWORD
	v_cndmask_b32_e64 v14, v16, v15, s[8:9]
; %bb.200:
	s_or_b64 exec, exec, s[22:23]
	v_lshlrev_b32_e32 v15, 16, v37
	v_add_f32_e32 v16, 0, v15
	s_mov_b32 s8, 0x7f800000
	v_and_b32_e32 v15, 0x7f800000, v16
	v_cmp_ne_u32_e64 s[8:9], s8, v15
                                        ; implicit-def: $vgpr15
	s_and_saveexec_b64 s[22:23], s[8:9]
	s_xor_b64 s[8:9], exec, s[22:23]
; %bb.201:
	v_bfe_u32 v15, v16, 16, 1
	s_movk_i32 s22, 0x7fff
	v_add3_u32 v15, v16, v15, s22
                                        ; implicit-def: $vgpr16
; %bb.202:
	s_andn2_saveexec_b64 s[22:23], s[8:9]
; %bb.203:
	v_mov_b32_e32 v15, 0
	v_or_b32_e32 v17, 0x10000, v16
	v_cmp_eq_u32_sdwa s[8:9], v16, v15 src0_sel:WORD_0 src1_sel:DWORD
	v_cndmask_b32_e64 v15, v17, v16, s[8:9]
; %bb.204:
	s_or_b64 exec, exec, s[22:23]
	s_mov_b32 s8, 0x7060302
	v_perm_b32 v16, v15, v14, s8
	v_mov_b32_e32 v17, 0xffff8000
	v_cmp_lt_i32_e64 s[8:9], -1, v14
	v_cndmask_b32_e64 v14, -1, v17, s[8:9]
	v_cmp_lt_i32_e64 s[8:9], -1, v15
	v_cndmask_b32_e64 v15, -1, v17, s[8:9]
	s_mov_b32 s8, 0x5040100
	v_perm_b32 v14, v15, v14, s8
	v_xor_b32_e32 v14, v14, v16
	v_cmp_gt_u16_sdwa s[22:23], v14, v14 src0_sel:DWORD src1_sel:WORD_1
	v_mov_b32_e32 v15, v9
	v_mov_b32_e32 v14, v8
	v_mov_b32_e32 v16, v50
	s_and_saveexec_b64 s[8:9], s[22:23]
; %bb.205:
	v_mov_b32_e32 v15, v13
	v_mov_b32_e32 v14, v12
	;; [unrolled: 1-line block ×6, first 2 shown]
; %bb.206:
	s_or_b64 exec, exec, s[8:9]
	v_lshlrev_b32_e32 v8, 16, v39
	v_add_f32_e32 v9, 0, v8
	s_mov_b32 s8, 0x7f800000
	v_and_b32_e32 v8, 0x7f800000, v9
	v_cmp_ne_u32_e64 s[8:9], s8, v8
                                        ; implicit-def: $vgpr8
	s_and_saveexec_b64 s[22:23], s[8:9]
	s_xor_b64 s[8:9], exec, s[22:23]
; %bb.207:
	v_bfe_u32 v8, v9, 16, 1
	s_movk_i32 s22, 0x7fff
	v_add3_u32 v8, v9, v8, s22
                                        ; implicit-def: $vgpr9
; %bb.208:
	s_andn2_saveexec_b64 s[22:23], s[8:9]
; %bb.209:
	v_mov_b32_e32 v8, 0
	v_or_b32_e32 v17, 0x10000, v9
	v_cmp_eq_u32_sdwa s[8:9], v9, v8 src0_sel:WORD_0 src1_sel:DWORD
	v_cndmask_b32_e64 v8, v17, v9, s[8:9]
; %bb.210:
	s_or_b64 exec, exec, s[22:23]
	v_lshlrev_b32_e32 v9, 16, v38
	v_add_f32_e32 v17, 0, v9
	s_mov_b32 s8, 0x7f800000
	v_and_b32_e32 v9, 0x7f800000, v17
	v_cmp_ne_u32_e64 s[8:9], s8, v9
                                        ; implicit-def: $vgpr9
	s_and_saveexec_b64 s[22:23], s[8:9]
	s_xor_b64 s[8:9], exec, s[22:23]
; %bb.211:
	v_bfe_u32 v9, v17, 16, 1
	s_movk_i32 s22, 0x7fff
	v_add3_u32 v9, v17, v9, s22
                                        ; implicit-def: $vgpr17
; %bb.212:
	s_andn2_saveexec_b64 s[22:23], s[8:9]
; %bb.213:
	v_mov_b32_e32 v9, 0
	v_or_b32_e32 v27, 0x10000, v17
	v_cmp_eq_u32_sdwa s[8:9], v17, v9 src0_sel:WORD_0 src1_sel:DWORD
	v_cndmask_b32_e64 v9, v27, v17, s[8:9]
; %bb.214:
	s_or_b64 exec, exec, s[22:23]
	s_mov_b32 s8, 0x7060302
	v_perm_b32 v17, v9, v8, s8
	v_mov_b32_e32 v27, 0xffff8000
	v_cmp_lt_i32_e64 s[8:9], -1, v8
	v_cndmask_b32_e64 v8, -1, v27, s[8:9]
	v_cmp_lt_i32_e64 s[8:9], -1, v9
	v_cndmask_b32_e64 v9, -1, v27, s[8:9]
	s_mov_b32 s8, 0x5040100
	v_perm_b32 v8, v9, v8, s8
	v_xor_b32_e32 v8, v8, v17
	v_mov_b32_e32 v27, v29
	v_cmp_gt_u16_sdwa s[22:23], v8, v8 src0_sel:DWORD src1_sel:WORD_1
	v_mov_b32_e32 v50, v38
	v_mov_b32_e32 v28, v30
	s_and_saveexec_b64 s[8:9], s[22:23]
; %bb.215:
	v_mov_b32_e32 v28, v24
	v_mov_b32_e32 v27, v23
	;; [unrolled: 1-line block ×6, first 2 shown]
; %bb.216:
	s_or_b64 exec, exec, s[8:9]
	v_lshlrev_b32_e32 v8, 16, v18
	v_add_f32_e32 v9, 0, v8
	s_mov_b32 s8, 0x7f800000
	v_and_b32_e32 v8, 0x7f800000, v9
	v_cmp_ne_u32_e64 s[8:9], s8, v8
                                        ; implicit-def: $vgpr8
	s_and_saveexec_b64 s[22:23], s[8:9]
	s_xor_b64 s[8:9], exec, s[22:23]
; %bb.217:
	v_bfe_u32 v8, v9, 16, 1
	s_movk_i32 s22, 0x7fff
	v_add3_u32 v8, v9, v8, s22
                                        ; implicit-def: $vgpr9
; %bb.218:
	s_andn2_saveexec_b64 s[22:23], s[8:9]
; %bb.219:
	v_mov_b32_e32 v8, 0
	v_or_b32_e32 v17, 0x10000, v9
	v_cmp_eq_u32_sdwa s[8:9], v9, v8 src0_sel:WORD_0 src1_sel:DWORD
	v_cndmask_b32_e64 v8, v17, v9, s[8:9]
; %bb.220:
	s_or_b64 exec, exec, s[22:23]
	v_lshlrev_b32_e32 v9, 16, v49
	v_add_f32_e32 v17, 0, v9
	s_mov_b32 s8, 0x7f800000
	v_and_b32_e32 v9, 0x7f800000, v17
	v_cmp_ne_u32_e64 s[8:9], s8, v9
                                        ; implicit-def: $vgpr9
	s_and_saveexec_b64 s[22:23], s[8:9]
	s_xor_b64 s[8:9], exec, s[22:23]
; %bb.221:
	v_bfe_u32 v9, v17, 16, 1
	s_movk_i32 s22, 0x7fff
	v_add3_u32 v9, v17, v9, s22
                                        ; implicit-def: $vgpr17
; %bb.222:
	s_andn2_saveexec_b64 s[22:23], s[8:9]
; %bb.223:
	v_mov_b32_e32 v9, 0
	v_or_b32_e32 v29, 0x10000, v17
	v_cmp_eq_u32_sdwa s[8:9], v17, v9 src0_sel:WORD_0 src1_sel:DWORD
	v_cndmask_b32_e64 v9, v29, v17, s[8:9]
; %bb.224:
	s_or_b64 exec, exec, s[22:23]
	s_mov_b32 s8, 0x7060302
	v_perm_b32 v17, v9, v8, s8
	v_mov_b32_e32 v29, 0xffff8000
	v_cmp_lt_i32_e64 s[8:9], -1, v8
	v_cndmask_b32_e64 v8, -1, v29, s[8:9]
	v_cmp_lt_i32_e64 s[8:9], -1, v9
	v_cndmask_b32_e64 v9, -1, v29, s[8:9]
	s_mov_b32 s8, 0x5040100
	v_perm_b32 v8, v9, v8, s8
	v_xor_b32_e32 v8, v8, v17
	v_cmp_gt_u16_sdwa s[22:23], v8, v8 src0_sel:DWORD src1_sel:WORD_1
	v_mov_b32_e32 v8, v21
	v_mov_b32_e32 v29, v18
	;; [unrolled: 1-line block ×3, first 2 shown]
	s_and_saveexec_b64 s[8:9], s[22:23]
; %bb.225:
	v_mov_b32_e32 v8, v25
	v_mov_b32_e32 v9, v26
	;; [unrolled: 1-line block ×6, first 2 shown]
; %bb.226:
	s_or_b64 exec, exec, s[8:9]
	v_lshlrev_b32_e32 v17, 16, v48
	v_add_f32_e32 v18, 0, v17
	s_mov_b32 s8, 0x7f800000
	v_and_b32_e32 v17, 0x7f800000, v18
	v_cmp_ne_u32_e64 s[8:9], s8, v17
                                        ; implicit-def: $vgpr17
	s_and_saveexec_b64 s[22:23], s[8:9]
	s_xor_b64 s[8:9], exec, s[22:23]
; %bb.227:
	v_bfe_u32 v17, v18, 16, 1
	s_movk_i32 s22, 0x7fff
	v_add3_u32 v17, v18, v17, s22
                                        ; implicit-def: $vgpr18
; %bb.228:
	s_andn2_saveexec_b64 s[22:23], s[8:9]
; %bb.229:
	v_mov_b32_e32 v17, 0
	v_or_b32_e32 v21, 0x10000, v18
	v_cmp_eq_u32_sdwa s[8:9], v18, v17 src0_sel:WORD_0 src1_sel:DWORD
	v_cndmask_b32_e64 v17, v21, v18, s[8:9]
; %bb.230:
	s_or_b64 exec, exec, s[22:23]
	v_lshlrev_b32_e32 v18, 16, v16
	v_add_f32_e32 v21, 0, v18
	s_mov_b32 s8, 0x7f800000
	v_and_b32_e32 v18, 0x7f800000, v21
	v_cmp_ne_u32_e64 s[8:9], s8, v18
                                        ; implicit-def: $vgpr18
	s_and_saveexec_b64 s[22:23], s[8:9]
	s_xor_b64 s[8:9], exec, s[22:23]
; %bb.231:
	v_bfe_u32 v18, v21, 16, 1
	s_movk_i32 s22, 0x7fff
	v_add3_u32 v18, v21, v18, s22
                                        ; implicit-def: $vgpr21
; %bb.232:
	s_andn2_saveexec_b64 s[22:23], s[8:9]
; %bb.233:
	v_mov_b32_e32 v18, 0
	v_or_b32_e32 v22, 0x10000, v21
	v_cmp_eq_u32_sdwa s[8:9], v21, v18 src0_sel:WORD_0 src1_sel:DWORD
	v_cndmask_b32_e64 v18, v22, v21, s[8:9]
; %bb.234:
	s_or_b64 exec, exec, s[22:23]
	s_mov_b32 s8, 0x7060302
	v_perm_b32 v21, v18, v17, s8
	v_mov_b32_e32 v22, 0xffff8000
	v_cmp_lt_i32_e64 s[8:9], -1, v17
	v_cndmask_b32_e64 v17, -1, v22, s[8:9]
	v_cmp_lt_i32_e64 s[8:9], -1, v18
	v_cndmask_b32_e64 v18, -1, v22, s[8:9]
	s_mov_b32 s8, 0x5040100
	v_perm_b32 v17, v18, v17, s8
	v_xor_b32_e32 v17, v17, v21
	v_mov_b32_e32 v22, v13
	v_cmp_gt_u16_sdwa s[22:23], v17, v17 src0_sel:DWORD src1_sel:WORD_1
	v_mov_b32_e32 v21, v12
	v_mov_b32_e32 v38, v48
	s_and_saveexec_b64 s[8:9], s[22:23]
; %bb.235:
	v_mov_b32_e32 v22, v20
	v_mov_b32_e32 v21, v19
	;; [unrolled: 1-line block ×6, first 2 shown]
; %bb.236:
	s_or_b64 exec, exec, s[8:9]
	v_lshlrev_b32_e32 v12, 16, v36
	v_add_f32_e32 v13, 0, v12
	s_mov_b32 s8, 0x7f800000
	v_and_b32_e32 v12, 0x7f800000, v13
	v_cmp_ne_u32_e64 s[8:9], s8, v12
                                        ; implicit-def: $vgpr12
	s_and_saveexec_b64 s[22:23], s[8:9]
	s_xor_b64 s[8:9], exec, s[22:23]
; %bb.237:
	v_bfe_u32 v12, v13, 16, 1
	s_movk_i32 s22, 0x7fff
	v_add3_u32 v12, v13, v12, s22
                                        ; implicit-def: $vgpr13
; %bb.238:
	s_andn2_saveexec_b64 s[22:23], s[8:9]
; %bb.239:
	v_mov_b32_e32 v12, 0
	v_or_b32_e32 v17, 0x10000, v13
	v_cmp_eq_u32_sdwa s[8:9], v13, v12 src0_sel:WORD_0 src1_sel:DWORD
	v_cndmask_b32_e64 v12, v17, v13, s[8:9]
; %bb.240:
	s_or_b64 exec, exec, s[22:23]
	v_lshlrev_b32_e32 v13, 16, v39
	v_add_f32_e32 v17, 0, v13
	s_mov_b32 s8, 0x7f800000
	v_and_b32_e32 v13, 0x7f800000, v17
	v_cmp_ne_u32_e64 s[8:9], s8, v13
                                        ; implicit-def: $vgpr13
	s_and_saveexec_b64 s[22:23], s[8:9]
	s_xor_b64 s[8:9], exec, s[22:23]
; %bb.241:
	v_bfe_u32 v13, v17, 16, 1
	s_movk_i32 s22, 0x7fff
	v_add3_u32 v13, v17, v13, s22
                                        ; implicit-def: $vgpr17
; %bb.242:
	s_andn2_saveexec_b64 s[22:23], s[8:9]
; %bb.243:
	v_mov_b32_e32 v13, 0
	v_or_b32_e32 v18, 0x10000, v17
	v_cmp_eq_u32_sdwa s[8:9], v17, v13 src0_sel:WORD_0 src1_sel:DWORD
	v_cndmask_b32_e64 v13, v18, v17, s[8:9]
; %bb.244:
	s_or_b64 exec, exec, s[22:23]
	s_mov_b32 s8, 0x7060302
	v_perm_b32 v17, v13, v12, s8
	v_mov_b32_e32 v18, 0xffff8000
	v_cmp_lt_i32_e64 s[8:9], -1, v12
	v_cndmask_b32_e64 v12, -1, v18, s[8:9]
	v_cmp_lt_i32_e64 s[8:9], -1, v13
	v_cndmask_b32_e64 v13, -1, v18, s[8:9]
	s_mov_b32 s8, 0x5040100
	v_perm_b32 v12, v13, v12, s8
	v_xor_b32_e32 v12, v12, v17
	v_cmp_gt_u16_sdwa s[22:23], v12, v12 src0_sel:DWORD src1_sel:WORD_1
	v_mov_b32_e32 v12, v23
	v_mov_b32_e32 v48, v39
	;; [unrolled: 1-line block ×3, first 2 shown]
	s_and_saveexec_b64 s[8:9], s[22:23]
; %bb.245:
	v_mov_b32_e32 v13, v5
	v_mov_b32_e32 v12, v4
	;; [unrolled: 1-line block ×6, first 2 shown]
; %bb.246:
	s_or_b64 exec, exec, s[8:9]
	v_lshlrev_b32_e32 v17, 16, v50
	v_add_f32_e32 v18, 0, v17
	s_mov_b32 s8, 0x7f800000
	v_and_b32_e32 v17, 0x7f800000, v18
	v_cmp_ne_u32_e64 s[8:9], s8, v17
                                        ; implicit-def: $vgpr17
	s_and_saveexec_b64 s[22:23], s[8:9]
	s_xor_b64 s[8:9], exec, s[22:23]
; %bb.247:
	v_bfe_u32 v17, v18, 16, 1
	s_movk_i32 s22, 0x7fff
	v_add3_u32 v17, v18, v17, s22
                                        ; implicit-def: $vgpr18
; %bb.248:
	s_andn2_saveexec_b64 s[22:23], s[8:9]
; %bb.249:
	v_mov_b32_e32 v17, 0
	v_or_b32_e32 v23, 0x10000, v18
	v_cmp_eq_u32_sdwa s[8:9], v18, v17 src0_sel:WORD_0 src1_sel:DWORD
	v_cndmask_b32_e64 v17, v23, v18, s[8:9]
; %bb.250:
	s_or_b64 exec, exec, s[22:23]
	v_lshlrev_b32_e32 v18, 16, v29
	v_add_f32_e32 v23, 0, v18
	s_mov_b32 s8, 0x7f800000
	v_and_b32_e32 v18, 0x7f800000, v23
	v_cmp_ne_u32_e64 s[8:9], s8, v18
                                        ; implicit-def: $vgpr18
	s_and_saveexec_b64 s[22:23], s[8:9]
	s_xor_b64 s[8:9], exec, s[22:23]
; %bb.251:
	v_bfe_u32 v18, v23, 16, 1
	s_movk_i32 s22, 0x7fff
	v_add3_u32 v18, v23, v18, s22
                                        ; implicit-def: $vgpr23
; %bb.252:
	s_andn2_saveexec_b64 s[22:23], s[8:9]
; %bb.253:
	v_mov_b32_e32 v18, 0
	v_or_b32_e32 v24, 0x10000, v23
	v_cmp_eq_u32_sdwa s[8:9], v23, v18 src0_sel:WORD_0 src1_sel:DWORD
	v_cndmask_b32_e64 v18, v24, v23, s[8:9]
; %bb.254:
	s_or_b64 exec, exec, s[22:23]
	s_mov_b32 s8, 0x7060302
	v_perm_b32 v23, v18, v17, s8
	v_mov_b32_e32 v24, 0xffff8000
	v_cmp_lt_i32_e64 s[8:9], -1, v17
	v_cndmask_b32_e64 v17, -1, v24, s[8:9]
	v_cmp_lt_i32_e64 s[8:9], -1, v18
	v_cndmask_b32_e64 v18, -1, v24, s[8:9]
	s_mov_b32 s8, 0x5040100
	v_perm_b32 v17, v18, v17, s8
	v_xor_b32_e32 v17, v17, v23
	v_cmp_gt_u16_sdwa s[22:23], v17, v17 src0_sel:DWORD src1_sel:WORD_1
	v_mov_b32_e32 v17, v25
	v_mov_b32_e32 v23, v29
	;; [unrolled: 1-line block ×3, first 2 shown]
	s_and_saveexec_b64 s[8:9], s[22:23]
; %bb.255:
	v_mov_b32_e32 v17, v27
	v_mov_b32_e32 v18, v28
	;; [unrolled: 1-line block ×6, first 2 shown]
; %bb.256:
	s_or_b64 exec, exec, s[8:9]
	v_lshlrev_b32_e32 v24, 16, v49
	v_add_f32_e32 v25, 0, v24
	s_mov_b32 s8, 0x7f800000
	v_and_b32_e32 v24, 0x7f800000, v25
	v_cmp_ne_u32_e64 s[8:9], s8, v24
                                        ; implicit-def: $vgpr24
	s_and_saveexec_b64 s[22:23], s[8:9]
	s_xor_b64 s[8:9], exec, s[22:23]
; %bb.257:
	v_bfe_u32 v24, v25, 16, 1
	s_movk_i32 s22, 0x7fff
	v_add3_u32 v24, v25, v24, s22
                                        ; implicit-def: $vgpr25
; %bb.258:
	s_andn2_saveexec_b64 s[22:23], s[8:9]
; %bb.259:
	v_mov_b32_e32 v24, 0
	v_or_b32_e32 v26, 0x10000, v25
	v_cmp_eq_u32_sdwa s[8:9], v25, v24 src0_sel:WORD_0 src1_sel:DWORD
	v_cndmask_b32_e64 v24, v26, v25, s[8:9]
; %bb.260:
	s_or_b64 exec, exec, s[22:23]
	v_lshlrev_b32_e32 v25, 16, v38
	v_add_f32_e32 v26, 0, v25
	s_mov_b32 s8, 0x7f800000
	v_and_b32_e32 v25, 0x7f800000, v26
	v_cmp_ne_u32_e64 s[8:9], s8, v25
                                        ; implicit-def: $vgpr25
	s_and_saveexec_b64 s[22:23], s[8:9]
	s_xor_b64 s[8:9], exec, s[22:23]
; %bb.261:
	v_bfe_u32 v25, v26, 16, 1
	s_movk_i32 s22, 0x7fff
	v_add3_u32 v25, v26, v25, s22
                                        ; implicit-def: $vgpr26
; %bb.262:
	s_andn2_saveexec_b64 s[22:23], s[8:9]
; %bb.263:
	v_mov_b32_e32 v25, 0
	v_or_b32_e32 v29, 0x10000, v26
	v_cmp_eq_u32_sdwa s[8:9], v26, v25 src0_sel:WORD_0 src1_sel:DWORD
	v_cndmask_b32_e64 v25, v29, v26, s[8:9]
; %bb.264:
	s_or_b64 exec, exec, s[22:23]
	s_mov_b32 s8, 0x7060302
	v_perm_b32 v26, v25, v24, s8
	v_mov_b32_e32 v29, 0xffff8000
	v_cmp_lt_i32_e64 s[8:9], -1, v24
	v_cndmask_b32_e64 v24, -1, v29, s[8:9]
	v_cmp_lt_i32_e64 s[8:9], -1, v25
	v_cndmask_b32_e64 v25, -1, v29, s[8:9]
	s_mov_b32 s8, 0x5040100
	v_perm_b32 v24, v25, v24, s8
	v_xor_b32_e32 v24, v24, v26
	v_mov_b32_e32 v30, v20
	v_cmp_gt_u16_sdwa s[22:23], v24, v24 src0_sel:DWORD src1_sel:WORD_1
	v_mov_b32_e32 v29, v19
	v_mov_b32_e32 v39, v49
	s_and_saveexec_b64 s[8:9], s[22:23]
; %bb.265:
	v_mov_b32_e32 v30, v9
	v_mov_b32_e32 v29, v8
	;; [unrolled: 1-line block ×6, first 2 shown]
; %bb.266:
	s_or_b64 exec, exec, s[8:9]
	v_lshlrev_b32_e32 v19, 16, v16
	v_add_f32_e32 v20, 0, v19
	s_mov_b32 s8, 0x7f800000
	v_and_b32_e32 v19, 0x7f800000, v20
	v_cmp_ne_u32_e64 s[8:9], s8, v19
                                        ; implicit-def: $vgpr19
	s_and_saveexec_b64 s[22:23], s[8:9]
	s_xor_b64 s[8:9], exec, s[22:23]
; %bb.267:
	v_bfe_u32 v19, v20, 16, 1
	s_movk_i32 s22, 0x7fff
	v_add3_u32 v19, v20, v19, s22
                                        ; implicit-def: $vgpr20
; %bb.268:
	s_andn2_saveexec_b64 s[22:23], s[8:9]
; %bb.269:
	v_mov_b32_e32 v19, 0
	v_or_b32_e32 v24, 0x10000, v20
	v_cmp_eq_u32_sdwa s[8:9], v20, v19 src0_sel:WORD_0 src1_sel:DWORD
	v_cndmask_b32_e64 v19, v24, v20, s[8:9]
; %bb.270:
	s_or_b64 exec, exec, s[22:23]
	v_lshlrev_b32_e32 v20, 16, v37
	v_add_f32_e32 v24, 0, v20
	s_mov_b32 s8, 0x7f800000
	v_and_b32_e32 v20, 0x7f800000, v24
	v_cmp_ne_u32_e64 s[8:9], s8, v20
                                        ; implicit-def: $vgpr20
	s_and_saveexec_b64 s[22:23], s[8:9]
	s_xor_b64 s[8:9], exec, s[22:23]
; %bb.271:
	v_bfe_u32 v20, v24, 16, 1
	s_movk_i32 s22, 0x7fff
	v_add3_u32 v20, v24, v20, s22
                                        ; implicit-def: $vgpr24
; %bb.272:
	s_andn2_saveexec_b64 s[22:23], s[8:9]
; %bb.273:
	v_mov_b32_e32 v20, 0
	v_or_b32_e32 v25, 0x10000, v24
	v_cmp_eq_u32_sdwa s[8:9], v24, v20 src0_sel:WORD_0 src1_sel:DWORD
	v_cndmask_b32_e64 v20, v25, v24, s[8:9]
; %bb.274:
	s_or_b64 exec, exec, s[22:23]
	s_mov_b32 s8, 0x7060302
	v_perm_b32 v24, v20, v19, s8
	v_mov_b32_e32 v25, 0xffff8000
	v_cmp_lt_i32_e64 s[8:9], -1, v19
	v_cndmask_b32_e64 v19, -1, v25, s[8:9]
	v_cmp_lt_i32_e64 s[8:9], -1, v20
	v_cndmask_b32_e64 v20, -1, v25, s[8:9]
	s_mov_b32 s8, 0x5040100
	v_perm_b32 v19, v20, v19, s8
	v_xor_b32_e32 v19, v19, v24
	v_mov_b32_e32 v26, v15
	v_cmp_gt_u16_sdwa s[22:23], v19, v19 src0_sel:DWORD src1_sel:WORD_1
	v_mov_b32_e32 v25, v14
	v_mov_b32_e32 v52, v16
	s_and_saveexec_b64 s[8:9], s[22:23]
; %bb.275:
	v_mov_b32_e32 v26, v22
	v_mov_b32_e32 v25, v21
	;; [unrolled: 1-line block ×6, first 2 shown]
; %bb.276:
	s_or_b64 exec, exec, s[8:9]
	v_lshlrev_b32_e32 v14, 16, v48
	v_add_f32_e32 v15, 0, v14
	s_mov_b32 s8, 0x7f800000
	v_and_b32_e32 v14, 0x7f800000, v15
	v_cmp_ne_u32_e64 s[8:9], s8, v14
                                        ; implicit-def: $vgpr14
	s_and_saveexec_b64 s[22:23], s[8:9]
	s_xor_b64 s[8:9], exec, s[22:23]
; %bb.277:
	v_bfe_u32 v14, v15, 16, 1
	s_movk_i32 s22, 0x7fff
	v_add3_u32 v14, v15, v14, s22
                                        ; implicit-def: $vgpr15
; %bb.278:
	s_andn2_saveexec_b64 s[22:23], s[8:9]
; %bb.279:
	v_mov_b32_e32 v14, 0
	v_or_b32_e32 v16, 0x10000, v15
	v_cmp_eq_u32_sdwa s[8:9], v15, v14 src0_sel:WORD_0 src1_sel:DWORD
	v_cndmask_b32_e64 v14, v16, v15, s[8:9]
; %bb.280:
	s_or_b64 exec, exec, s[22:23]
	v_lshlrev_b32_e32 v15, 16, v50
	v_add_f32_e32 v16, 0, v15
	s_mov_b32 s8, 0x7f800000
	v_and_b32_e32 v15, 0x7f800000, v16
	v_cmp_ne_u32_e64 s[8:9], s8, v15
                                        ; implicit-def: $vgpr15
	s_and_saveexec_b64 s[22:23], s[8:9]
	s_xor_b64 s[8:9], exec, s[22:23]
; %bb.281:
	v_bfe_u32 v15, v16, 16, 1
	s_movk_i32 s22, 0x7fff
	v_add3_u32 v15, v16, v15, s22
                                        ; implicit-def: $vgpr16
; %bb.282:
	s_andn2_saveexec_b64 s[22:23], s[8:9]
; %bb.283:
	v_mov_b32_e32 v15, 0
	v_or_b32_e32 v19, 0x10000, v16
	v_cmp_eq_u32_sdwa s[8:9], v16, v15 src0_sel:WORD_0 src1_sel:DWORD
	v_cndmask_b32_e64 v15, v19, v16, s[8:9]
; %bb.284:
	s_or_b64 exec, exec, s[22:23]
	s_mov_b32 s8, 0x7060302
	v_perm_b32 v16, v15, v14, s8
	v_mov_b32_e32 v19, 0xffff8000
	v_cmp_lt_i32_e64 s[8:9], -1, v14
	v_cndmask_b32_e64 v14, -1, v19, s[8:9]
	v_cmp_lt_i32_e64 s[8:9], -1, v15
	v_cndmask_b32_e64 v15, -1, v19, s[8:9]
	s_mov_b32 s8, 0x5040100
	v_perm_b32 v14, v15, v14, s8
	v_xor_b32_e32 v14, v14, v16
	v_mov_b32_e32 v15, v27
	v_cmp_gt_u16_sdwa s[22:23], v14, v14 src0_sel:DWORD src1_sel:WORD_1
	v_mov_b32_e32 v49, v50
	v_mov_b32_e32 v16, v28
	s_and_saveexec_b64 s[8:9], s[22:23]
; %bb.285:
	v_mov_b32_e32 v16, v13
	v_mov_b32_e32 v15, v12
	;; [unrolled: 1-line block ×6, first 2 shown]
; %bb.286:
	s_or_b64 exec, exec, s[8:9]
	v_lshlrev_b32_e32 v14, 16, v23
	v_add_f32_e32 v19, 0, v14
	s_mov_b32 s8, 0x7f800000
	v_and_b32_e32 v14, 0x7f800000, v19
	v_cmp_ne_u32_e64 s[8:9], s8, v14
                                        ; implicit-def: $vgpr14
	s_and_saveexec_b64 s[22:23], s[8:9]
	s_xor_b64 s[8:9], exec, s[22:23]
; %bb.287:
	v_bfe_u32 v14, v19, 16, 1
	s_movk_i32 s22, 0x7fff
	v_add3_u32 v14, v19, v14, s22
                                        ; implicit-def: $vgpr19
; %bb.288:
	s_andn2_saveexec_b64 s[22:23], s[8:9]
; %bb.289:
	v_mov_b32_e32 v14, 0
	v_or_b32_e32 v20, 0x10000, v19
	v_cmp_eq_u32_sdwa s[8:9], v19, v14 src0_sel:WORD_0 src1_sel:DWORD
	v_cndmask_b32_e64 v14, v20, v19, s[8:9]
; %bb.290:
	s_or_b64 exec, exec, s[22:23]
	v_lshlrev_b32_e32 v19, 16, v39
	v_add_f32_e32 v20, 0, v19
	s_mov_b32 s8, 0x7f800000
	v_and_b32_e32 v19, 0x7f800000, v20
	v_cmp_ne_u32_e64 s[8:9], s8, v19
                                        ; implicit-def: $vgpr19
	s_and_saveexec_b64 s[22:23], s[8:9]
	s_xor_b64 s[8:9], exec, s[22:23]
; %bb.291:
	v_bfe_u32 v19, v20, 16, 1
	s_movk_i32 s22, 0x7fff
	v_add3_u32 v19, v20, v19, s22
                                        ; implicit-def: $vgpr20
; %bb.292:
	s_andn2_saveexec_b64 s[22:23], s[8:9]
; %bb.293:
	v_mov_b32_e32 v19, 0
	v_or_b32_e32 v24, 0x10000, v20
	v_cmp_eq_u32_sdwa s[8:9], v20, v19 src0_sel:WORD_0 src1_sel:DWORD
	v_cndmask_b32_e64 v19, v24, v20, s[8:9]
; %bb.294:
	s_or_b64 exec, exec, s[22:23]
	s_mov_b32 s8, 0x7060302
	v_perm_b32 v20, v19, v14, s8
	v_mov_b32_e32 v24, 0xffff8000
	v_cmp_lt_i32_e64 s[8:9], -1, v14
	v_cndmask_b32_e64 v14, -1, v24, s[8:9]
	v_cmp_lt_i32_e64 s[8:9], -1, v19
	v_cndmask_b32_e64 v19, -1, v24, s[8:9]
	s_mov_b32 s8, 0x5040100
	v_perm_b32 v14, v19, v14, s8
	v_xor_b32_e32 v14, v14, v20
	v_mov_b32_e32 v20, v9
	v_cmp_gt_u16_sdwa s[22:23], v14, v14 src0_sel:DWORD src1_sel:WORD_1
	v_mov_b32_e32 v51, v23
	v_mov_b32_e32 v19, v8
	s_and_saveexec_b64 s[8:9], s[22:23]
; %bb.295:
	v_mov_b32_e32 v20, v18
	v_mov_b32_e32 v19, v17
	;; [unrolled: 1-line block ×6, first 2 shown]
; %bb.296:
	s_or_b64 exec, exec, s[8:9]
	v_lshlrev_b32_e32 v8, 16, v38
	v_add_f32_e32 v9, 0, v8
	s_mov_b32 s8, 0x7f800000
	v_and_b32_e32 v8, 0x7f800000, v9
	v_cmp_ne_u32_e64 s[8:9], s8, v8
                                        ; implicit-def: $vgpr8
	s_and_saveexec_b64 s[22:23], s[8:9]
	s_xor_b64 s[8:9], exec, s[22:23]
; %bb.297:
	v_bfe_u32 v8, v9, 16, 1
	s_movk_i32 s22, 0x7fff
	v_add3_u32 v8, v9, v8, s22
                                        ; implicit-def: $vgpr9
; %bb.298:
	s_andn2_saveexec_b64 s[22:23], s[8:9]
; %bb.299:
	v_mov_b32_e32 v8, 0
	v_or_b32_e32 v14, 0x10000, v9
	v_cmp_eq_u32_sdwa s[8:9], v9, v8 src0_sel:WORD_0 src1_sel:DWORD
	v_cndmask_b32_e64 v8, v14, v9, s[8:9]
; %bb.300:
	s_or_b64 exec, exec, s[22:23]
	v_lshlrev_b32_e32 v9, 16, v52
	v_add_f32_e32 v14, 0, v9
	s_mov_b32 s8, 0x7f800000
	v_and_b32_e32 v9, 0x7f800000, v14
	v_cmp_ne_u32_e64 s[8:9], s8, v9
                                        ; implicit-def: $vgpr9
	s_and_saveexec_b64 s[22:23], s[8:9]
	s_xor_b64 s[8:9], exec, s[22:23]
; %bb.301:
	v_bfe_u32 v9, v14, 16, 1
	s_movk_i32 s22, 0x7fff
	v_add3_u32 v9, v14, v9, s22
                                        ; implicit-def: $vgpr14
; %bb.302:
	s_andn2_saveexec_b64 s[22:23], s[8:9]
; %bb.303:
	v_mov_b32_e32 v9, 0
	v_or_b32_e32 v23, 0x10000, v14
	v_cmp_eq_u32_sdwa s[8:9], v14, v9 src0_sel:WORD_0 src1_sel:DWORD
	v_cndmask_b32_e64 v9, v23, v14, s[8:9]
; %bb.304:
	s_or_b64 exec, exec, s[22:23]
	s_mov_b32 s8, 0x7060302
	v_perm_b32 v14, v9, v8, s8
	v_mov_b32_e32 v23, 0xffff8000
	v_cmp_lt_i32_e64 s[8:9], -1, v8
	v_cndmask_b32_e64 v8, -1, v23, s[8:9]
	v_cmp_lt_i32_e64 s[8:9], -1, v9
	v_cndmask_b32_e64 v9, -1, v23, s[8:9]
	s_mov_b32 s8, 0x5040100
	v_perm_b32 v8, v9, v8, s8
	v_xor_b32_e32 v8, v8, v14
	v_mov_b32_e32 v23, v29
	v_cmp_gt_u16_sdwa s[22:23], v8, v8 src0_sel:DWORD src1_sel:WORD_1
	v_mov_b32_e32 v50, v52
	v_mov_b32_e32 v24, v30
	s_and_saveexec_b64 s[8:9], s[22:23]
; %bb.305:
	v_mov_b32_e32 v24, v22
	v_mov_b32_e32 v23, v21
	;; [unrolled: 1-line block ×6, first 2 shown]
; %bb.306:
	s_or_b64 exec, exec, s[8:9]
.LBB2063_307:
	s_or_b64 exec, exec, s[12:13]
	v_and_b32_e32 v27, 0xfffffe00, v31
	v_lshlrev_b32_e32 v14, 1, v27
	v_mad_u64_u32 v[8:9], s[8:9], v27, 6, v[14:15]
	s_movk_i32 s8, 0x800
	v_sub_u32_e64 v9, s8, v27 clamp
	v_lshl_add_u32 v28, v35, 3, v8
	v_add_u32_e32 v29, 0x1000, v28
	ds_write2_b64 v29, v[4:5], v[12:13] offset1:1
	v_add_u32_e32 v29, 0x1010, v28
	ds_write2_b64 v29, v[15:16], v[17:18] offset1:1
	v_add_u32_e32 v29, 0x1020, v28
	s_mov_b32 s8, 0x5040100
	v_lshl_add_u32 v27, v35, 1, v14
	ds_write2_b64 v29, v[19:20], v[23:24] offset1:1
	v_perm_b32 v30, v37, v50, s8
	v_perm_b32 v29, v38, v39, s8
	;; [unrolled: 1-line block ×4, first 2 shown]
	v_add_u32_e32 v31, 0x1030, v28
	ds_write2_b64 v27, v[52:53], v[29:30] offset1:1
	ds_write2_b64 v31, v[21:22], v[25:26] offset1:1
	v_or_b32_e32 v29, 8, v35
	v_min_u32_e32 v29, v9, v29
	v_add_u32_e32 v30, 8, v29
	v_and_b32_e32 v31, 0x3f0, v35
	v_min_u32_e32 v30, v9, v30
	v_and_b32_e32 v52, 8, v35
	v_min_u32_e32 v53, v9, v52
	v_sub_u32_e32 v52, v29, v31
	v_sub_u32_e32 v55, v30, v29
	v_sub_u32_e64 v55, v53, v55 clamp
	v_min_u32_e32 v52, v53, v52
	v_lshl_add_u32 v54, v31, 1, v14
	v_cmp_lt_u32_e64 s[8:9], v55, v52
	; wave barrier
	s_and_saveexec_b64 s[12:13], s[8:9]
	s_cbranch_execz .LBB2063_326
; %bb.308:
	v_lshlrev_b32_e32 v64, 1, v29
	v_lshlrev_b32_e32 v65, 1, v53
	v_add3_u32 v64, v14, v64, v65
	s_mov_b64 s[22:23], 0
	s_mov_b32 s26, 0x7f800000
	s_movk_i32 s27, 0x7fff
	v_mov_b32_e32 v65, 0
	v_mov_b32_e32 v66, 0xffff8000
	s_branch .LBB2063_310
.LBB2063_309:                           ;   in Loop: Header=BB2063_310 Depth=1
	s_or_b64 exec, exec, s[24:25]
	v_cmp_lt_i32_e64 s[8:9], -1, v68
	v_cndmask_b32_e64 v70, -1, v66, s[8:9]
	v_cmp_lt_i32_e64 s[8:9], -1, v69
	v_xor_b32_sdwa v68, v70, v68 dst_sel:DWORD dst_unused:UNUSED_PAD src0_sel:DWORD src1_sel:WORD_1
	v_cndmask_b32_e64 v70, -1, v66, s[8:9]
	v_xor_b32_sdwa v69, v70, v69 dst_sel:DWORD dst_unused:UNUSED_PAD src0_sel:DWORD src1_sel:WORD_1
	v_add_u32_e32 v70, 1, v67
	v_cmp_gt_u16_e64 s[8:9], v68, v69
	v_cndmask_b32_e64 v52, v52, v67, s[8:9]
	v_cndmask_b32_e64 v55, v70, v55, s[8:9]
	v_cmp_ge_u32_e64 s[8:9], v55, v52
	s_or_b64 s[22:23], s[8:9], s[22:23]
	s_andn2_b64 exec, exec, s[22:23]
	s_cbranch_execz .LBB2063_325
.LBB2063_310:                           ; =>This Inner Loop Header: Depth=1
	v_add_u32_e32 v67, v52, v55
	v_and_b32_e32 v68, -2, v67
	v_add_u32_e32 v68, v54, v68
	ds_read_u16 v68, v68
	v_lshrrev_b32_e32 v67, 1, v67
	v_not_b32_e32 v69, v67
	v_lshl_add_u32 v69, v69, 1, v64
	ds_read_u16 v69, v69
	s_waitcnt lgkmcnt(1)
	v_lshlrev_b32_e32 v68, 16, v68
	v_add_f32_e32 v70, 0, v68
	v_and_b32_e32 v68, 0x7f800000, v70
	v_cmp_ne_u32_e64 s[8:9], s26, v68
                                        ; implicit-def: $vgpr68
	s_and_saveexec_b64 s[24:25], s[8:9]
	s_xor_b64 s[8:9], exec, s[24:25]
; %bb.311:                              ;   in Loop: Header=BB2063_310 Depth=1
	v_bfe_u32 v68, v70, 16, 1
	v_add3_u32 v68, v70, v68, s27
                                        ; implicit-def: $vgpr70
; %bb.312:                              ;   in Loop: Header=BB2063_310 Depth=1
	s_andn2_saveexec_b64 s[24:25], s[8:9]
; %bb.313:                              ;   in Loop: Header=BB2063_310 Depth=1
	v_or_b32_e32 v68, 0x10000, v70
	v_cmp_eq_u32_sdwa s[8:9], v70, v65 src0_sel:WORD_0 src1_sel:DWORD
	v_cndmask_b32_e64 v68, v68, v70, s[8:9]
; %bb.314:                              ;   in Loop: Header=BB2063_310 Depth=1
	s_or_b64 exec, exec, s[24:25]
	s_waitcnt lgkmcnt(0)
	v_lshlrev_b32_e32 v69, 16, v69
	v_add_f32_e32 v70, 0, v69
	v_and_b32_e32 v69, 0x7f800000, v70
	v_cmp_ne_u32_e64 s[8:9], s26, v69
                                        ; implicit-def: $vgpr69
	s_and_saveexec_b64 s[24:25], s[8:9]
	s_xor_b64 s[8:9], exec, s[24:25]
; %bb.315:                              ;   in Loop: Header=BB2063_310 Depth=1
	v_bfe_u32 v69, v70, 16, 1
	v_add3_u32 v69, v70, v69, s27
                                        ; implicit-def: $vgpr70
; %bb.316:                              ;   in Loop: Header=BB2063_310 Depth=1
	s_andn2_saveexec_b64 s[24:25], s[8:9]
	s_cbranch_execz .LBB2063_309
; %bb.317:                              ;   in Loop: Header=BB2063_310 Depth=1
	v_or_b32_e32 v69, 0x10000, v70
	v_cmp_eq_u32_sdwa s[8:9], v70, v65 src0_sel:WORD_0 src1_sel:DWORD
	v_cndmask_b32_e64 v69, v69, v70, s[8:9]
	s_branch .LBB2063_309
.LBB2063_318:
	flat_load_dwordx2 v[4:5], v[8:9]
	s_or_b64 exec, exec, s[22:23]
	s_and_saveexec_b64 s[22:23], s[4:5]
                                        ; implicit-def: $vgpr12_vgpr13
	s_cbranch_execz .LBB2063_18
.LBB2063_319:
	flat_load_dwordx2 v[12:13], v[8:9] offset:8
	s_or_b64 exec, exec, s[22:23]
                                        ; implicit-def: $vgpr15_vgpr16
	s_and_saveexec_b64 s[22:23], s[6:7]
	s_cbranch_execz .LBB2063_19
.LBB2063_320:
	flat_load_dwordx2 v[15:16], v[8:9] offset:16
	s_or_b64 exec, exec, s[22:23]
	s_and_saveexec_b64 s[22:23], s[18:19]
                                        ; implicit-def: $vgpr17_vgpr18
	s_cbranch_execz .LBB2063_20
.LBB2063_321:
	flat_load_dwordx2 v[17:18], v[8:9] offset:24
	s_or_b64 exec, exec, s[22:23]
                                        ; implicit-def: $vgpr19_vgpr20
	s_and_saveexec_b64 s[22:23], s[10:11]
	s_cbranch_execz .LBB2063_21
.LBB2063_322:
	flat_load_dwordx2 v[19:20], v[8:9] offset:32
	s_or_b64 exec, exec, s[22:23]
	s_and_saveexec_b64 s[22:23], s[20:21]
                                        ; implicit-def: $vgpr23_vgpr24
	s_cbranch_execz .LBB2063_22
.LBB2063_323:
	flat_load_dwordx2 v[23:24], v[8:9] offset:40
	s_or_b64 exec, exec, s[22:23]
                                        ; implicit-def: $vgpr21_vgpr22
	s_and_saveexec_b64 s[22:23], s[14:15]
	s_cbranch_execz .LBB2063_23
.LBB2063_324:
	flat_load_dwordx2 v[21:22], v[8:9] offset:48
	s_or_b64 exec, exec, s[22:23]
	s_and_saveexec_b64 s[22:23], s[16:17]
                                        ; implicit-def: $vgpr25_vgpr26
	s_cbranch_execnz .LBB2063_24
	s_branch .LBB2063_25
.LBB2063_325:
	s_or_b64 exec, exec, s[22:23]
.LBB2063_326:
	s_or_b64 exec, exec, s[12:13]
	v_add_u32_e32 v52, v55, v31
	v_add_u32_e32 v31, v29, v53
	v_sub_u32_e32 v53, v31, v55
	v_cmp_le_u32_e64 s[8:9], v52, v29
	v_cmp_le_u32_e64 s[12:13], v53, v30
	s_or_b64 s[8:9], s[8:9], s[12:13]
	s_and_saveexec_b64 s[22:23], s[8:9]
	s_cbranch_execz .LBB2063_426
; %bb.327:
	v_cmp_ge_u32_e64 s[8:9], v52, v29
	v_cmp_lt_u32_e64 s[12:13], v52, v29
                                        ; implicit-def: $vgpr31
	s_and_saveexec_b64 s[24:25], s[12:13]
; %bb.328:
	v_lshl_add_u32 v4, v55, 1, v54
	ds_read_u16 v31, v4
; %bb.329:
	s_or_b64 exec, exec, s[24:25]
	v_cmp_ge_u32_e64 s[24:25], v53, v30
	v_cmp_lt_u32_e64 s[12:13], v53, v30
                                        ; implicit-def: $vgpr36
	s_and_saveexec_b64 s[26:27], s[12:13]
; %bb.330:
	v_lshl_add_u32 v4, v53, 1, v14
	ds_read_u16 v36, v4
; %bb.331:
	s_or_b64 exec, exec, s[26:27]
	s_nor_b64 s[8:9], s[8:9], s[24:25]
	s_and_saveexec_b64 s[12:13], s[8:9]
	s_cbranch_execz .LBB2063_341
; %bb.332:
	s_waitcnt lgkmcnt(0)
	v_lshlrev_b32_e32 v4, 16, v31
	v_add_f32_e32 v5, 0, v4
	s_mov_b32 s8, 0x7f800000
	v_and_b32_e32 v4, 0x7f800000, v5
	v_cmp_ne_u32_e64 s[8:9], s8, v4
                                        ; implicit-def: $vgpr4
	s_and_saveexec_b64 s[26:27], s[8:9]
	s_xor_b64 s[8:9], exec, s[26:27]
; %bb.333:
	v_bfe_u32 v4, v5, 16, 1
	s_movk_i32 s26, 0x7fff
	v_add3_u32 v4, v5, v4, s26
                                        ; implicit-def: $vgpr5
; %bb.334:
	s_andn2_saveexec_b64 s[26:27], s[8:9]
; %bb.335:
	v_mov_b32_e32 v4, 0
	v_or_b32_e32 v12, 0x10000, v5
	v_cmp_eq_u32_sdwa s[8:9], v5, v4 src0_sel:WORD_0 src1_sel:DWORD
	v_cndmask_b32_e64 v4, v12, v5, s[8:9]
; %bb.336:
	s_or_b64 exec, exec, s[26:27]
	v_lshlrev_b32_e32 v5, 16, v36
	v_add_f32_e32 v12, 0, v5
	s_mov_b32 s8, 0x7f800000
	v_and_b32_e32 v5, 0x7f800000, v12
	v_cmp_ne_u32_e64 s[8:9], s8, v5
                                        ; implicit-def: $vgpr5
	s_and_saveexec_b64 s[26:27], s[8:9]
	s_xor_b64 s[8:9], exec, s[26:27]
; %bb.337:
	v_bfe_u32 v5, v12, 16, 1
	s_movk_i32 s26, 0x7fff
	v_add3_u32 v5, v12, v5, s26
                                        ; implicit-def: $vgpr12
; %bb.338:
	s_andn2_saveexec_b64 s[26:27], s[8:9]
; %bb.339:
	v_mov_b32_e32 v5, 0
	v_or_b32_e32 v13, 0x10000, v12
	v_cmp_eq_u32_sdwa s[8:9], v12, v5 src0_sel:WORD_0 src1_sel:DWORD
	v_cndmask_b32_e64 v5, v13, v12, s[8:9]
; %bb.340:
	s_or_b64 exec, exec, s[26:27]
	s_mov_b32 s8, 0x7060302
	v_perm_b32 v12, v5, v4, s8
	v_mov_b32_e32 v13, 0xffff8000
	v_cmp_lt_i32_e64 s[8:9], -1, v4
	v_cndmask_b32_e64 v4, -1, v13, s[8:9]
	v_cmp_lt_i32_e64 s[8:9], -1, v5
	v_cndmask_b32_e64 v5, -1, v13, s[8:9]
	s_mov_b32 s8, 0x5040100
	v_perm_b32 v4, v5, v4, s8
	v_xor_b32_e32 v4, v4, v12
	v_cmp_le_u16_sdwa s[8:9], v4, v4 src0_sel:DWORD src1_sel:WORD_1
	s_andn2_b64 s[24:25], s[24:25], exec
	s_and_b64 s[8:9], s[8:9], exec
	s_or_b64 s[24:25], s[24:25], s[8:9]
.LBB2063_341:
	s_or_b64 exec, exec, s[12:13]
	v_cndmask_b32_e64 v4, v53, v52, s[24:25]
	v_cndmask_b32_e64 v5, v30, v29, s[24:25]
	v_add_u32_e32 v12, 1, v4
	v_add_u32_e32 v5, -1, v5
	v_min_u32_e32 v5, v12, v5
	v_lshl_add_u32 v5, v5, 1, v14
	ds_read_u16 v13, v5
	v_lshl_add_u32 v4, v4, 3, v8
	ds_read_b64 v[4:5], v4 offset:4096
	v_cndmask_b32_e64 v15, v12, v53, s[24:25]
	v_cndmask_b32_e64 v16, v52, v12, s[24:25]
	s_waitcnt lgkmcnt(1)
	v_cndmask_b32_e64 v37, v13, v36, s[24:25]
	v_cndmask_b32_e64 v48, v31, v13, s[24:25]
	v_cmp_lt_u32_e64 s[8:9], v15, v30
	s_mov_b64 s[26:27], -1
	s_mov_b64 s[12:13], -1
	s_and_saveexec_b64 s[28:29], s[8:9]
	s_cbranch_execz .LBB2063_353
; %bb.342:
	v_cmp_lt_u32_e64 s[8:9], v16, v29
	s_mov_b64 s[40:41], 0
	s_and_saveexec_b64 s[12:13], s[8:9]
	s_cbranch_execz .LBB2063_352
; %bb.343:
	v_lshlrev_b32_e32 v12, 16, v48
	v_add_f32_e32 v13, 0, v12
	s_mov_b32 s8, 0x7f800000
	v_and_b32_e32 v12, 0x7f800000, v13
	v_cmp_ne_u32_e64 s[8:9], s8, v12
                                        ; implicit-def: $vgpr12
	s_and_saveexec_b64 s[40:41], s[8:9]
	s_xor_b64 s[8:9], exec, s[40:41]
; %bb.344:
	v_bfe_u32 v12, v13, 16, 1
	s_movk_i32 s40, 0x7fff
	v_add3_u32 v12, v13, v12, s40
                                        ; implicit-def: $vgpr13
; %bb.345:
	s_andn2_saveexec_b64 s[40:41], s[8:9]
; %bb.346:
	v_mov_b32_e32 v12, 0
	v_or_b32_e32 v17, 0x10000, v13
	v_cmp_eq_u32_sdwa s[8:9], v13, v12 src0_sel:WORD_0 src1_sel:DWORD
	v_cndmask_b32_e64 v12, v17, v13, s[8:9]
; %bb.347:
	s_or_b64 exec, exec, s[40:41]
	v_lshlrev_b32_e32 v13, 16, v37
	v_add_f32_e32 v17, 0, v13
	s_mov_b32 s8, 0x7f800000
	v_and_b32_e32 v13, 0x7f800000, v17
	v_cmp_ne_u32_e64 s[8:9], s8, v13
                                        ; implicit-def: $vgpr13
	s_and_saveexec_b64 s[40:41], s[8:9]
	s_xor_b64 s[8:9], exec, s[40:41]
; %bb.348:
	v_bfe_u32 v13, v17, 16, 1
	s_movk_i32 s40, 0x7fff
	v_add3_u32 v13, v17, v13, s40
                                        ; implicit-def: $vgpr17
; %bb.349:
	s_andn2_saveexec_b64 s[40:41], s[8:9]
; %bb.350:
	v_mov_b32_e32 v13, 0
	v_or_b32_e32 v18, 0x10000, v17
	v_cmp_eq_u32_sdwa s[8:9], v17, v13 src0_sel:WORD_0 src1_sel:DWORD
	v_cndmask_b32_e64 v13, v18, v17, s[8:9]
; %bb.351:
	s_or_b64 exec, exec, s[40:41]
	s_mov_b32 s8, 0x7060302
	v_perm_b32 v17, v13, v12, s8
	v_mov_b32_e32 v18, 0xffff8000
	v_cmp_lt_i32_e64 s[8:9], -1, v12
	v_cndmask_b32_e64 v12, -1, v18, s[8:9]
	v_cmp_lt_i32_e64 s[8:9], -1, v13
	v_cndmask_b32_e64 v13, -1, v18, s[8:9]
	s_mov_b32 s8, 0x5040100
	v_perm_b32 v12, v13, v12, s8
	v_xor_b32_e32 v12, v12, v17
	v_cmp_le_u16_sdwa s[8:9], v12, v12 src0_sel:DWORD src1_sel:WORD_1
	s_and_b64 s[40:41], s[8:9], exec
.LBB2063_352:
	s_or_b64 exec, exec, s[12:13]
	s_orn2_b64 s[12:13], s[40:41], exec
.LBB2063_353:
	s_or_b64 exec, exec, s[28:29]
	v_cndmask_b32_e64 v12, v15, v16, s[12:13]
	v_cndmask_b32_e64 v13, v30, v29, s[12:13]
	v_add_u32_e32 v18, 1, v12
	v_add_u32_e32 v13, -1, v13
	v_min_u32_e32 v13, v18, v13
	v_lshl_add_u32 v13, v13, 1, v14
	ds_read_u16 v17, v13
	v_lshl_add_u32 v12, v12, 3, v8
	ds_read_b64 v[12:13], v12 offset:4096
	s_waitcnt lgkmcnt(1)
	v_cndmask_b32_e64 v49, v17, v37, s[12:13]
	v_cndmask_b32_e64 v52, v48, v17, s[12:13]
	;; [unrolled: 1-line block ×4, first 2 shown]
	v_cmp_lt_u32_e64 s[8:9], v17, v30
	s_and_saveexec_b64 s[28:29], s[8:9]
	s_cbranch_execz .LBB2063_365
; %bb.354:
	v_cmp_lt_u32_e64 s[8:9], v18, v29
	s_mov_b64 s[40:41], 0
	s_and_saveexec_b64 s[26:27], s[8:9]
	s_cbranch_execz .LBB2063_364
; %bb.355:
	v_lshlrev_b32_e32 v15, 16, v52
	v_add_f32_e32 v16, 0, v15
	s_mov_b32 s8, 0x7f800000
	v_and_b32_e32 v15, 0x7f800000, v16
	v_cmp_ne_u32_e64 s[8:9], s8, v15
                                        ; implicit-def: $vgpr15
	s_and_saveexec_b64 s[40:41], s[8:9]
	s_xor_b64 s[8:9], exec, s[40:41]
; %bb.356:
	v_bfe_u32 v15, v16, 16, 1
	s_movk_i32 s40, 0x7fff
	v_add3_u32 v15, v16, v15, s40
                                        ; implicit-def: $vgpr16
; %bb.357:
	s_andn2_saveexec_b64 s[40:41], s[8:9]
; %bb.358:
	v_mov_b32_e32 v15, 0
	v_or_b32_e32 v19, 0x10000, v16
	v_cmp_eq_u32_sdwa s[8:9], v16, v15 src0_sel:WORD_0 src1_sel:DWORD
	v_cndmask_b32_e64 v15, v19, v16, s[8:9]
; %bb.359:
	s_or_b64 exec, exec, s[40:41]
	v_lshlrev_b32_e32 v16, 16, v49
	v_add_f32_e32 v19, 0, v16
	s_mov_b32 s8, 0x7f800000
	v_and_b32_e32 v16, 0x7f800000, v19
	v_cmp_ne_u32_e64 s[8:9], s8, v16
                                        ; implicit-def: $vgpr16
	s_and_saveexec_b64 s[40:41], s[8:9]
	s_xor_b64 s[8:9], exec, s[40:41]
; %bb.360:
	v_bfe_u32 v16, v19, 16, 1
	s_movk_i32 s40, 0x7fff
	v_add3_u32 v16, v19, v16, s40
                                        ; implicit-def: $vgpr19
; %bb.361:
	s_andn2_saveexec_b64 s[40:41], s[8:9]
; %bb.362:
	v_mov_b32_e32 v16, 0
	v_or_b32_e32 v20, 0x10000, v19
	v_cmp_eq_u32_sdwa s[8:9], v19, v16 src0_sel:WORD_0 src1_sel:DWORD
	v_cndmask_b32_e64 v16, v20, v19, s[8:9]
; %bb.363:
	s_or_b64 exec, exec, s[40:41]
	s_mov_b32 s8, 0x7060302
	v_perm_b32 v19, v16, v15, s8
	v_mov_b32_e32 v20, 0xffff8000
	v_cmp_lt_i32_e64 s[8:9], -1, v15
	v_cndmask_b32_e64 v15, -1, v20, s[8:9]
	v_cmp_lt_i32_e64 s[8:9], -1, v16
	v_cndmask_b32_e64 v16, -1, v20, s[8:9]
	s_mov_b32 s8, 0x5040100
	v_perm_b32 v15, v16, v15, s8
	v_xor_b32_e32 v15, v15, v19
	v_cmp_le_u16_sdwa s[8:9], v15, v15 src0_sel:DWORD src1_sel:WORD_1
	s_and_b64 s[40:41], s[8:9], exec
.LBB2063_364:
	s_or_b64 exec, exec, s[26:27]
	s_orn2_b64 s[26:27], s[40:41], exec
.LBB2063_365:
	s_or_b64 exec, exec, s[28:29]
	v_cndmask_b32_e64 v15, v17, v18, s[26:27]
	v_cndmask_b32_e64 v16, v30, v29, s[26:27]
	v_add_u32_e32 v20, 1, v15
	v_add_u32_e32 v16, -1, v16
	v_min_u32_e32 v16, v20, v16
	v_lshl_add_u32 v16, v16, 1, v14
	ds_read_u16 v19, v16
	v_lshl_add_u32 v15, v15, 3, v8
	ds_read_b64 v[15:16], v15 offset:4096
	s_mov_b64 s[40:41], -1
	s_mov_b64 s[28:29], -1
	s_waitcnt lgkmcnt(1)
	v_cndmask_b32_e64 v25, v19, v49, s[26:27]
	v_cndmask_b32_e64 v26, v52, v19, s[26:27]
	;; [unrolled: 1-line block ×4, first 2 shown]
	v_cmp_lt_u32_e64 s[8:9], v19, v30
	s_and_saveexec_b64 s[42:43], s[8:9]
	s_cbranch_execz .LBB2063_377
; %bb.366:
	v_cmp_lt_u32_e64 s[8:9], v20, v29
	s_mov_b64 s[44:45], 0
	s_and_saveexec_b64 s[28:29], s[8:9]
	s_cbranch_execz .LBB2063_376
; %bb.367:
	v_lshlrev_b32_e32 v17, 16, v26
	v_add_f32_e32 v18, 0, v17
	s_mov_b32 s8, 0x7f800000
	v_and_b32_e32 v17, 0x7f800000, v18
	v_cmp_ne_u32_e64 s[8:9], s8, v17
                                        ; implicit-def: $vgpr17
	s_and_saveexec_b64 s[44:45], s[8:9]
	s_xor_b64 s[8:9], exec, s[44:45]
; %bb.368:
	v_bfe_u32 v17, v18, 16, 1
	s_movk_i32 s44, 0x7fff
	v_add3_u32 v17, v18, v17, s44
                                        ; implicit-def: $vgpr18
; %bb.369:
	s_andn2_saveexec_b64 s[44:45], s[8:9]
; %bb.370:
	v_mov_b32_e32 v17, 0
	v_or_b32_e32 v21, 0x10000, v18
	v_cmp_eq_u32_sdwa s[8:9], v18, v17 src0_sel:WORD_0 src1_sel:DWORD
	v_cndmask_b32_e64 v17, v21, v18, s[8:9]
; %bb.371:
	s_or_b64 exec, exec, s[44:45]
	v_lshlrev_b32_e32 v18, 16, v25
	v_add_f32_e32 v21, 0, v18
	s_mov_b32 s8, 0x7f800000
	v_and_b32_e32 v18, 0x7f800000, v21
	v_cmp_ne_u32_e64 s[8:9], s8, v18
                                        ; implicit-def: $vgpr18
	s_and_saveexec_b64 s[44:45], s[8:9]
	s_xor_b64 s[8:9], exec, s[44:45]
; %bb.372:
	v_bfe_u32 v18, v21, 16, 1
	s_movk_i32 s44, 0x7fff
	v_add3_u32 v18, v21, v18, s44
                                        ; implicit-def: $vgpr21
; %bb.373:
	s_andn2_saveexec_b64 s[44:45], s[8:9]
; %bb.374:
	v_mov_b32_e32 v18, 0
	v_or_b32_e32 v22, 0x10000, v21
	v_cmp_eq_u32_sdwa s[8:9], v21, v18 src0_sel:WORD_0 src1_sel:DWORD
	v_cndmask_b32_e64 v18, v22, v21, s[8:9]
; %bb.375:
	s_or_b64 exec, exec, s[44:45]
	s_mov_b32 s8, 0x7060302
	v_perm_b32 v21, v18, v17, s8
	v_mov_b32_e32 v22, 0xffff8000
	v_cmp_lt_i32_e64 s[8:9], -1, v17
	v_cndmask_b32_e64 v17, -1, v22, s[8:9]
	v_cmp_lt_i32_e64 s[8:9], -1, v18
	v_cndmask_b32_e64 v18, -1, v22, s[8:9]
	s_mov_b32 s8, 0x5040100
	v_perm_b32 v17, v18, v17, s8
	v_xor_b32_e32 v17, v17, v21
	v_cmp_le_u16_sdwa s[8:9], v17, v17 src0_sel:DWORD src1_sel:WORD_1
	s_and_b64 s[44:45], s[8:9], exec
.LBB2063_376:
	s_or_b64 exec, exec, s[28:29]
	s_orn2_b64 s[28:29], s[44:45], exec
.LBB2063_377:
	s_or_b64 exec, exec, s[42:43]
	v_cndmask_b32_e64 v17, v19, v20, s[28:29]
	v_cndmask_b32_e64 v18, v30, v29, s[28:29]
	v_add_u32_e32 v22, 1, v17
	v_add_u32_e32 v18, -1, v18
	v_min_u32_e32 v18, v22, v18
	v_lshl_add_u32 v18, v18, 1, v14
	ds_read_u16 v21, v18
	v_lshl_add_u32 v17, v17, 3, v8
	ds_read_b64 v[17:18], v17 offset:4096
	s_waitcnt lgkmcnt(1)
	v_cndmask_b32_e64 v39, v21, v25, s[28:29]
	v_cndmask_b32_e64 v51, v26, v21, s[28:29]
	;; [unrolled: 1-line block ×4, first 2 shown]
	v_cmp_lt_u32_e64 s[8:9], v21, v30
	s_and_saveexec_b64 s[42:43], s[8:9]
	s_cbranch_execz .LBB2063_389
; %bb.378:
	v_cmp_lt_u32_e64 s[8:9], v22, v29
	s_mov_b64 s[44:45], 0
	s_and_saveexec_b64 s[40:41], s[8:9]
	s_cbranch_execz .LBB2063_388
; %bb.379:
	v_lshlrev_b32_e32 v19, 16, v51
	v_add_f32_e32 v20, 0, v19
	s_mov_b32 s8, 0x7f800000
	v_and_b32_e32 v19, 0x7f800000, v20
	v_cmp_ne_u32_e64 s[8:9], s8, v19
                                        ; implicit-def: $vgpr19
	s_and_saveexec_b64 s[44:45], s[8:9]
	s_xor_b64 s[8:9], exec, s[44:45]
; %bb.380:
	v_bfe_u32 v19, v20, 16, 1
	s_movk_i32 s44, 0x7fff
	v_add3_u32 v19, v20, v19, s44
                                        ; implicit-def: $vgpr20
; %bb.381:
	s_andn2_saveexec_b64 s[44:45], s[8:9]
; %bb.382:
	v_mov_b32_e32 v19, 0
	v_or_b32_e32 v23, 0x10000, v20
	v_cmp_eq_u32_sdwa s[8:9], v20, v19 src0_sel:WORD_0 src1_sel:DWORD
	v_cndmask_b32_e64 v19, v23, v20, s[8:9]
; %bb.383:
	s_or_b64 exec, exec, s[44:45]
	v_lshlrev_b32_e32 v20, 16, v39
	v_add_f32_e32 v23, 0, v20
	s_mov_b32 s8, 0x7f800000
	v_and_b32_e32 v20, 0x7f800000, v23
	v_cmp_ne_u32_e64 s[8:9], s8, v20
                                        ; implicit-def: $vgpr20
	s_and_saveexec_b64 s[44:45], s[8:9]
	s_xor_b64 s[8:9], exec, s[44:45]
; %bb.384:
	v_bfe_u32 v20, v23, 16, 1
	s_movk_i32 s44, 0x7fff
	v_add3_u32 v20, v23, v20, s44
                                        ; implicit-def: $vgpr23
; %bb.385:
	s_andn2_saveexec_b64 s[44:45], s[8:9]
; %bb.386:
	v_mov_b32_e32 v20, 0
	v_or_b32_e32 v24, 0x10000, v23
	v_cmp_eq_u32_sdwa s[8:9], v23, v20 src0_sel:WORD_0 src1_sel:DWORD
	v_cndmask_b32_e64 v20, v24, v23, s[8:9]
; %bb.387:
	s_or_b64 exec, exec, s[44:45]
	s_mov_b32 s8, 0x7060302
	v_perm_b32 v23, v20, v19, s8
	v_mov_b32_e32 v24, 0xffff8000
	v_cmp_lt_i32_e64 s[8:9], -1, v19
	v_cndmask_b32_e64 v19, -1, v24, s[8:9]
	v_cmp_lt_i32_e64 s[8:9], -1, v20
	v_cndmask_b32_e64 v20, -1, v24, s[8:9]
	s_mov_b32 s8, 0x5040100
	v_perm_b32 v19, v20, v19, s8
	v_xor_b32_e32 v19, v19, v23
	v_cmp_le_u16_sdwa s[8:9], v19, v19 src0_sel:DWORD src1_sel:WORD_1
	s_and_b64 s[44:45], s[8:9], exec
.LBB2063_388:
	s_or_b64 exec, exec, s[40:41]
	s_orn2_b64 s[40:41], s[44:45], exec
.LBB2063_389:
	s_or_b64 exec, exec, s[42:43]
	v_cndmask_b32_e64 v19, v21, v22, s[40:41]
	v_cndmask_b32_e64 v20, v30, v29, s[40:41]
	v_add_u32_e32 v23, 1, v19
	v_add_u32_e32 v20, -1, v20
	v_min_u32_e32 v20, v23, v20
	v_lshl_add_u32 v20, v20, 1, v14
	ds_read_u16 v24, v20
	v_lshl_add_u32 v19, v19, 3, v8
	ds_read_b64 v[19:20], v19 offset:4096
	v_cndmask_b32_e64 v21, v23, v21, s[40:41]
	v_cndmask_b32_e64 v22, v22, v23, s[40:41]
	s_waitcnt lgkmcnt(1)
	v_cndmask_b32_e64 v38, v24, v39, s[40:41]
	v_cndmask_b32_e64 v53, v51, v24, s[40:41]
	v_cmp_lt_u32_e64 s[8:9], v21, v30
	s_mov_b64 s[44:45], -1
	s_mov_b64 s[42:43], -1
	s_and_saveexec_b64 s[46:47], s[8:9]
	s_cbranch_execz .LBB2063_401
; %bb.390:
	v_cmp_lt_u32_e64 s[8:9], v22, v29
	s_mov_b64 s[56:57], 0
	s_and_saveexec_b64 s[42:43], s[8:9]
	s_cbranch_execz .LBB2063_400
; %bb.391:
	v_lshlrev_b32_e32 v23, 16, v53
	v_add_f32_e32 v24, 0, v23
	s_mov_b32 s8, 0x7f800000
	v_and_b32_e32 v23, 0x7f800000, v24
	v_cmp_ne_u32_e64 s[8:9], s8, v23
                                        ; implicit-def: $vgpr23
	s_and_saveexec_b64 s[56:57], s[8:9]
	s_xor_b64 s[8:9], exec, s[56:57]
; %bb.392:
	v_bfe_u32 v23, v24, 16, 1
	s_movk_i32 s56, 0x7fff
	v_add3_u32 v23, v24, v23, s56
                                        ; implicit-def: $vgpr24
; %bb.393:
	s_andn2_saveexec_b64 s[56:57], s[8:9]
; %bb.394:
	v_mov_b32_e32 v23, 0
	v_or_b32_e32 v50, 0x10000, v24
	v_cmp_eq_u32_sdwa s[8:9], v24, v23 src0_sel:WORD_0 src1_sel:DWORD
	v_cndmask_b32_e64 v23, v50, v24, s[8:9]
; %bb.395:
	s_or_b64 exec, exec, s[56:57]
	v_lshlrev_b32_e32 v24, 16, v38
	v_add_f32_e32 v50, 0, v24
	s_mov_b32 s8, 0x7f800000
	v_and_b32_e32 v24, 0x7f800000, v50
	v_cmp_ne_u32_e64 s[8:9], s8, v24
                                        ; implicit-def: $vgpr24
	s_and_saveexec_b64 s[56:57], s[8:9]
	s_xor_b64 s[8:9], exec, s[56:57]
; %bb.396:
	v_bfe_u32 v24, v50, 16, 1
	s_movk_i32 s56, 0x7fff
	v_add3_u32 v24, v50, v24, s56
                                        ; implicit-def: $vgpr50
; %bb.397:
	s_andn2_saveexec_b64 s[56:57], s[8:9]
; %bb.398:
	v_mov_b32_e32 v24, 0
	v_or_b32_e32 v54, 0x10000, v50
	v_cmp_eq_u32_sdwa s[8:9], v50, v24 src0_sel:WORD_0 src1_sel:DWORD
	v_cndmask_b32_e64 v24, v54, v50, s[8:9]
; %bb.399:
	s_or_b64 exec, exec, s[56:57]
	s_mov_b32 s8, 0x7060302
	v_perm_b32 v50, v24, v23, s8
	v_mov_b32_e32 v54, 0xffff8000
	v_cmp_lt_i32_e64 s[8:9], -1, v23
	v_cndmask_b32_e64 v23, -1, v54, s[8:9]
	v_cmp_lt_i32_e64 s[8:9], -1, v24
	v_cndmask_b32_e64 v24, -1, v54, s[8:9]
	s_mov_b32 s8, 0x5040100
	v_perm_b32 v23, v24, v23, s8
	v_xor_b32_e32 v23, v23, v50
	v_cmp_le_u16_sdwa s[8:9], v23, v23 src0_sel:DWORD src1_sel:WORD_1
	s_and_b64 s[56:57], s[8:9], exec
.LBB2063_400:
	s_or_b64 exec, exec, s[42:43]
	s_orn2_b64 s[42:43], s[56:57], exec
.LBB2063_401:
	s_or_b64 exec, exec, s[46:47]
	v_cndmask_b32_e64 v23, v21, v22, s[42:43]
	v_cndmask_b32_e64 v24, v30, v29, s[42:43]
	v_add_u32_e32 v55, 1, v23
	v_add_u32_e32 v24, -1, v24
	v_min_u32_e32 v24, v55, v24
	v_lshl_add_u32 v24, v24, 1, v14
	ds_read_u16 v54, v24
	v_lshl_add_u32 v23, v23, 3, v8
	ds_read_b64 v[23:24], v23 offset:4096
	v_cndmask_b32_e64 v65, v55, v21, s[42:43]
	v_cndmask_b32_e64 v66, v22, v55, s[42:43]
	s_waitcnt lgkmcnt(1)
	v_cndmask_b32_e64 v50, v54, v38, s[42:43]
	v_cndmask_b32_e64 v54, v53, v54, s[42:43]
	v_cmp_lt_u32_e64 s[8:9], v65, v30
	s_and_saveexec_b64 s[46:47], s[8:9]
	s_cbranch_execz .LBB2063_413
; %bb.402:
	v_cmp_lt_u32_e64 s[8:9], v66, v29
	s_mov_b64 s[56:57], 0
	s_and_saveexec_b64 s[44:45], s[8:9]
	s_cbranch_execz .LBB2063_412
; %bb.403:
	v_lshlrev_b32_e32 v21, 16, v54
	v_add_f32_e32 v22, 0, v21
	s_mov_b32 s8, 0x7f800000
	v_and_b32_e32 v21, 0x7f800000, v22
	v_cmp_ne_u32_e64 s[8:9], s8, v21
                                        ; implicit-def: $vgpr21
	s_and_saveexec_b64 s[56:57], s[8:9]
	s_xor_b64 s[8:9], exec, s[56:57]
; %bb.404:
	v_bfe_u32 v21, v22, 16, 1
	s_movk_i32 s56, 0x7fff
	v_add3_u32 v21, v22, v21, s56
                                        ; implicit-def: $vgpr22
; %bb.405:
	s_andn2_saveexec_b64 s[56:57], s[8:9]
; %bb.406:
	v_mov_b32_e32 v21, 0
	v_or_b32_e32 v55, 0x10000, v22
	v_cmp_eq_u32_sdwa s[8:9], v22, v21 src0_sel:WORD_0 src1_sel:DWORD
	v_cndmask_b32_e64 v21, v55, v22, s[8:9]
; %bb.407:
	s_or_b64 exec, exec, s[56:57]
	v_lshlrev_b32_e32 v22, 16, v50
	v_add_f32_e32 v55, 0, v22
	s_mov_b32 s8, 0x7f800000
	v_and_b32_e32 v22, 0x7f800000, v55
	v_cmp_ne_u32_e64 s[8:9], s8, v22
                                        ; implicit-def: $vgpr22
	s_and_saveexec_b64 s[56:57], s[8:9]
	s_xor_b64 s[8:9], exec, s[56:57]
; %bb.408:
	v_bfe_u32 v22, v55, 16, 1
	s_movk_i32 s56, 0x7fff
	v_add3_u32 v22, v55, v22, s56
                                        ; implicit-def: $vgpr55
; %bb.409:
	s_andn2_saveexec_b64 s[56:57], s[8:9]
; %bb.410:
	v_mov_b32_e32 v22, 0
	v_or_b32_e32 v64, 0x10000, v55
	v_cmp_eq_u32_sdwa s[8:9], v55, v22 src0_sel:WORD_0 src1_sel:DWORD
	v_cndmask_b32_e64 v22, v64, v55, s[8:9]
; %bb.411:
	s_or_b64 exec, exec, s[56:57]
	s_mov_b32 s8, 0x7060302
	v_perm_b32 v55, v22, v21, s8
	v_mov_b32_e32 v64, 0xffff8000
	v_cmp_lt_i32_e64 s[8:9], -1, v21
	v_cndmask_b32_e64 v21, -1, v64, s[8:9]
	v_cmp_lt_i32_e64 s[8:9], -1, v22
	v_cndmask_b32_e64 v22, -1, v64, s[8:9]
	s_mov_b32 s8, 0x5040100
	v_perm_b32 v21, v22, v21, s8
	v_xor_b32_e32 v21, v21, v55
	v_cmp_le_u16_sdwa s[8:9], v21, v21 src0_sel:DWORD src1_sel:WORD_1
	s_and_b64 s[56:57], s[8:9], exec
.LBB2063_412:
	s_or_b64 exec, exec, s[44:45]
	s_orn2_b64 s[44:45], s[56:57], exec
.LBB2063_413:
	s_or_b64 exec, exec, s[46:47]
	v_cndmask_b32_e64 v21, v65, v66, s[44:45]
	v_cndmask_b32_e64 v22, v30, v29, s[44:45]
	v_add_u32_e32 v67, 1, v21
	v_add_u32_e32 v22, -1, v22
	v_min_u32_e32 v22, v67, v22
	v_lshl_add_u32 v22, v22, 1, v14
	ds_read_u16 v64, v22
	v_lshl_add_u32 v21, v21, 3, v8
	ds_read_b64 v[21:22], v21 offset:4096
	v_cndmask_b32_e64 v65, v67, v65, s[44:45]
	v_cndmask_b32_e64 v66, v66, v67, s[44:45]
	s_waitcnt lgkmcnt(1)
	v_cndmask_b32_e64 v55, v64, v50, s[44:45]
	v_cndmask_b32_e64 v64, v54, v64, s[44:45]
	v_cmp_lt_u32_e64 s[8:9], v65, v30
	s_mov_b64 s[56:57], -1
	s_and_saveexec_b64 s[46:47], s[8:9]
	s_cbranch_execz .LBB2063_425
; %bb.414:
	v_cmp_lt_u32_e64 s[8:9], v66, v29
	s_mov_b64 s[58:59], 0
	s_and_saveexec_b64 s[56:57], s[8:9]
	s_cbranch_execz .LBB2063_424
; %bb.415:
	v_lshlrev_b32_e32 v29, 16, v64
	v_add_f32_e32 v30, 0, v29
	s_mov_b32 s8, 0x7f800000
	v_and_b32_e32 v29, 0x7f800000, v30
	v_cmp_ne_u32_e64 s[8:9], s8, v29
                                        ; implicit-def: $vgpr29
	s_and_saveexec_b64 s[58:59], s[8:9]
	s_xor_b64 s[8:9], exec, s[58:59]
; %bb.416:
	v_bfe_u32 v29, v30, 16, 1
	s_movk_i32 s58, 0x7fff
	v_add3_u32 v29, v30, v29, s58
                                        ; implicit-def: $vgpr30
; %bb.417:
	s_andn2_saveexec_b64 s[58:59], s[8:9]
; %bb.418:
	v_mov_b32_e32 v29, 0
	v_or_b32_e32 v67, 0x10000, v30
	v_cmp_eq_u32_sdwa s[8:9], v30, v29 src0_sel:WORD_0 src1_sel:DWORD
	v_cndmask_b32_e64 v29, v67, v30, s[8:9]
; %bb.419:
	s_or_b64 exec, exec, s[58:59]
	v_lshlrev_b32_e32 v30, 16, v55
	v_add_f32_e32 v67, 0, v30
	s_mov_b32 s8, 0x7f800000
	v_and_b32_e32 v30, 0x7f800000, v67
	v_cmp_ne_u32_e64 s[8:9], s8, v30
                                        ; implicit-def: $vgpr30
	s_and_saveexec_b64 s[58:59], s[8:9]
	s_xor_b64 s[8:9], exec, s[58:59]
; %bb.420:
	v_bfe_u32 v30, v67, 16, 1
	s_movk_i32 s58, 0x7fff
	v_add3_u32 v30, v67, v30, s58
                                        ; implicit-def: $vgpr67
; %bb.421:
	s_andn2_saveexec_b64 s[58:59], s[8:9]
; %bb.422:
	v_mov_b32_e32 v30, 0
	v_or_b32_e32 v68, 0x10000, v67
	v_cmp_eq_u32_sdwa s[8:9], v67, v30 src0_sel:WORD_0 src1_sel:DWORD
	v_cndmask_b32_e64 v30, v68, v67, s[8:9]
; %bb.423:
	s_or_b64 exec, exec, s[58:59]
	s_mov_b32 s8, 0x7060302
	v_perm_b32 v67, v30, v29, s8
	v_mov_b32_e32 v68, 0xffff8000
	v_cmp_lt_i32_e64 s[8:9], -1, v29
	v_cndmask_b32_e64 v29, -1, v68, s[8:9]
	v_cmp_lt_i32_e64 s[8:9], -1, v30
	v_cndmask_b32_e64 v30, -1, v68, s[8:9]
	s_mov_b32 s8, 0x5040100
	v_perm_b32 v29, v30, v29, s8
	v_xor_b32_e32 v29, v29, v67
	v_cmp_le_u16_sdwa s[8:9], v29, v29 src0_sel:DWORD src1_sel:WORD_1
	s_and_b64 s[58:59], s[8:9], exec
.LBB2063_424:
	s_or_b64 exec, exec, s[56:57]
	s_orn2_b64 s[56:57], s[58:59], exec
.LBB2063_425:
	s_or_b64 exec, exec, s[46:47]
	v_cndmask_b32_e64 v39, v39, v51, s[40:41]
	v_cndmask_b32_e64 v51, v25, v26, s[28:29]
	;; [unrolled: 1-line block ×3, first 2 shown]
	v_lshl_add_u32 v25, v25, 3, v8
	ds_read_b64 v[25:26], v25 offset:4096
	v_cndmask_b32_e64 v50, v50, v54, s[44:45]
	v_cndmask_b32_e64 v38, v38, v53, s[42:43]
	;; [unrolled: 1-line block ×6, first 2 shown]
.LBB2063_426:
	s_or_b64 exec, exec, s[22:23]
	v_add_u32_e32 v29, 0x1000, v28
	; wave barrier
	ds_write2_b64 v29, v[4:5], v[12:13] offset1:1
	v_add_u32_e32 v29, 0x1010, v28
	ds_write2_b64 v29, v[15:16], v[17:18] offset1:1
	v_add_u32_e32 v29, 0x1020, v28
	s_mov_b32 s8, 0x5040100
	ds_write2_b64 v29, v[19:20], v[23:24] offset1:1
	v_add_u32_e32 v31, 0x1030, v28
	v_perm_b32 v30, v37, v50, s8
	v_perm_b32 v29, v38, v39, s8
	;; [unrolled: 1-line block ×4, first 2 shown]
	ds_write2_b64 v27, v[52:53], v[29:30] offset1:1
	s_waitcnt lgkmcnt(4)
	ds_write2_b64 v31, v[21:22], v[25:26] offset1:1
	v_and_b32_e32 v31, 0x3e0, v35
	v_or_b32_e32 v29, 16, v31
	v_min_u32_e32 v29, v9, v29
	v_add_u32_e32 v30, 16, v29
	v_min_u32_e32 v30, v9, v30
	v_and_b32_e32 v52, 24, v35
	v_min_u32_e32 v53, v9, v52
	v_sub_u32_e32 v52, v29, v31
	v_sub_u32_e32 v55, v30, v29
	v_sub_u32_e64 v55, v53, v55 clamp
	v_min_u32_e32 v52, v53, v52
	v_lshl_add_u32 v54, v31, 1, v14
	v_cmp_lt_u32_e64 s[8:9], v55, v52
	; wave barrier
	s_and_saveexec_b64 s[12:13], s[8:9]
	s_cbranch_execz .LBB2063_438
; %bb.427:
	v_lshlrev_b32_e32 v64, 1, v29
	v_lshlrev_b32_e32 v65, 1, v53
	v_add3_u32 v64, v14, v64, v65
	s_mov_b64 s[22:23], 0
	s_mov_b32 s26, 0x7f800000
	s_movk_i32 s27, 0x7fff
	v_mov_b32_e32 v65, 0
	v_mov_b32_e32 v66, 0xffff8000
	s_branch .LBB2063_429
.LBB2063_428:                           ;   in Loop: Header=BB2063_429 Depth=1
	s_or_b64 exec, exec, s[24:25]
	v_cmp_lt_i32_e64 s[8:9], -1, v68
	v_cndmask_b32_e64 v70, -1, v66, s[8:9]
	v_cmp_lt_i32_e64 s[8:9], -1, v69
	v_xor_b32_sdwa v68, v70, v68 dst_sel:DWORD dst_unused:UNUSED_PAD src0_sel:DWORD src1_sel:WORD_1
	v_cndmask_b32_e64 v70, -1, v66, s[8:9]
	v_xor_b32_sdwa v69, v70, v69 dst_sel:DWORD dst_unused:UNUSED_PAD src0_sel:DWORD src1_sel:WORD_1
	v_add_u32_e32 v70, 1, v67
	v_cmp_gt_u16_e64 s[8:9], v68, v69
	v_cndmask_b32_e64 v52, v52, v67, s[8:9]
	v_cndmask_b32_e64 v55, v70, v55, s[8:9]
	v_cmp_ge_u32_e64 s[8:9], v55, v52
	s_or_b64 s[22:23], s[8:9], s[22:23]
	s_andn2_b64 exec, exec, s[22:23]
	s_cbranch_execz .LBB2063_437
.LBB2063_429:                           ; =>This Inner Loop Header: Depth=1
	v_add_u32_e32 v67, v52, v55
	v_and_b32_e32 v68, -2, v67
	v_add_u32_e32 v68, v54, v68
	ds_read_u16 v68, v68
	v_lshrrev_b32_e32 v67, 1, v67
	v_not_b32_e32 v69, v67
	v_lshl_add_u32 v69, v69, 1, v64
	ds_read_u16 v69, v69
	s_waitcnt lgkmcnt(1)
	v_lshlrev_b32_e32 v68, 16, v68
	v_add_f32_e32 v70, 0, v68
	v_and_b32_e32 v68, 0x7f800000, v70
	v_cmp_ne_u32_e64 s[8:9], s26, v68
                                        ; implicit-def: $vgpr68
	s_and_saveexec_b64 s[24:25], s[8:9]
	s_xor_b64 s[8:9], exec, s[24:25]
; %bb.430:                              ;   in Loop: Header=BB2063_429 Depth=1
	v_bfe_u32 v68, v70, 16, 1
	v_add3_u32 v68, v70, v68, s27
                                        ; implicit-def: $vgpr70
; %bb.431:                              ;   in Loop: Header=BB2063_429 Depth=1
	s_andn2_saveexec_b64 s[24:25], s[8:9]
; %bb.432:                              ;   in Loop: Header=BB2063_429 Depth=1
	v_or_b32_e32 v68, 0x10000, v70
	v_cmp_eq_u32_sdwa s[8:9], v70, v65 src0_sel:WORD_0 src1_sel:DWORD
	v_cndmask_b32_e64 v68, v68, v70, s[8:9]
; %bb.433:                              ;   in Loop: Header=BB2063_429 Depth=1
	s_or_b64 exec, exec, s[24:25]
	s_waitcnt lgkmcnt(0)
	v_lshlrev_b32_e32 v69, 16, v69
	v_add_f32_e32 v70, 0, v69
	v_and_b32_e32 v69, 0x7f800000, v70
	v_cmp_ne_u32_e64 s[8:9], s26, v69
                                        ; implicit-def: $vgpr69
	s_and_saveexec_b64 s[24:25], s[8:9]
	s_xor_b64 s[8:9], exec, s[24:25]
; %bb.434:                              ;   in Loop: Header=BB2063_429 Depth=1
	v_bfe_u32 v69, v70, 16, 1
	v_add3_u32 v69, v70, v69, s27
                                        ; implicit-def: $vgpr70
; %bb.435:                              ;   in Loop: Header=BB2063_429 Depth=1
	s_andn2_saveexec_b64 s[24:25], s[8:9]
	s_cbranch_execz .LBB2063_428
; %bb.436:                              ;   in Loop: Header=BB2063_429 Depth=1
	v_or_b32_e32 v69, 0x10000, v70
	v_cmp_eq_u32_sdwa s[8:9], v70, v65 src0_sel:WORD_0 src1_sel:DWORD
	v_cndmask_b32_e64 v69, v69, v70, s[8:9]
	s_branch .LBB2063_428
.LBB2063_437:
	s_or_b64 exec, exec, s[22:23]
.LBB2063_438:
	s_or_b64 exec, exec, s[12:13]
	v_add_u32_e32 v52, v55, v31
	v_add_u32_e32 v31, v29, v53
	v_sub_u32_e32 v53, v31, v55
	v_cmp_le_u32_e64 s[8:9], v52, v29
	v_cmp_le_u32_e64 s[12:13], v53, v30
	s_or_b64 s[8:9], s[8:9], s[12:13]
	s_and_saveexec_b64 s[22:23], s[8:9]
	s_cbranch_execz .LBB2063_538
; %bb.439:
	v_cmp_ge_u32_e64 s[8:9], v52, v29
	v_cmp_lt_u32_e64 s[12:13], v52, v29
                                        ; implicit-def: $vgpr31
	s_and_saveexec_b64 s[24:25], s[12:13]
; %bb.440:
	v_lshl_add_u32 v4, v55, 1, v54
	ds_read_u16 v31, v4
; %bb.441:
	s_or_b64 exec, exec, s[24:25]
	v_cmp_ge_u32_e64 s[24:25], v53, v30
	v_cmp_lt_u32_e64 s[12:13], v53, v30
                                        ; implicit-def: $vgpr36
	s_and_saveexec_b64 s[26:27], s[12:13]
; %bb.442:
	v_lshl_add_u32 v4, v53, 1, v14
	ds_read_u16 v36, v4
; %bb.443:
	s_or_b64 exec, exec, s[26:27]
	s_nor_b64 s[8:9], s[8:9], s[24:25]
	s_and_saveexec_b64 s[12:13], s[8:9]
	s_cbranch_execz .LBB2063_453
; %bb.444:
	s_waitcnt lgkmcnt(0)
	v_lshlrev_b32_e32 v4, 16, v31
	v_add_f32_e32 v5, 0, v4
	s_mov_b32 s8, 0x7f800000
	v_and_b32_e32 v4, 0x7f800000, v5
	v_cmp_ne_u32_e64 s[8:9], s8, v4
                                        ; implicit-def: $vgpr4
	s_and_saveexec_b64 s[26:27], s[8:9]
	s_xor_b64 s[8:9], exec, s[26:27]
; %bb.445:
	v_bfe_u32 v4, v5, 16, 1
	s_movk_i32 s26, 0x7fff
	v_add3_u32 v4, v5, v4, s26
                                        ; implicit-def: $vgpr5
; %bb.446:
	s_andn2_saveexec_b64 s[26:27], s[8:9]
; %bb.447:
	v_mov_b32_e32 v4, 0
	v_or_b32_e32 v12, 0x10000, v5
	v_cmp_eq_u32_sdwa s[8:9], v5, v4 src0_sel:WORD_0 src1_sel:DWORD
	v_cndmask_b32_e64 v4, v12, v5, s[8:9]
; %bb.448:
	s_or_b64 exec, exec, s[26:27]
	v_lshlrev_b32_e32 v5, 16, v36
	v_add_f32_e32 v12, 0, v5
	s_mov_b32 s8, 0x7f800000
	v_and_b32_e32 v5, 0x7f800000, v12
	v_cmp_ne_u32_e64 s[8:9], s8, v5
                                        ; implicit-def: $vgpr5
	s_and_saveexec_b64 s[26:27], s[8:9]
	s_xor_b64 s[8:9], exec, s[26:27]
; %bb.449:
	v_bfe_u32 v5, v12, 16, 1
	s_movk_i32 s26, 0x7fff
	v_add3_u32 v5, v12, v5, s26
                                        ; implicit-def: $vgpr12
; %bb.450:
	s_andn2_saveexec_b64 s[26:27], s[8:9]
; %bb.451:
	v_mov_b32_e32 v5, 0
	v_or_b32_e32 v13, 0x10000, v12
	v_cmp_eq_u32_sdwa s[8:9], v12, v5 src0_sel:WORD_0 src1_sel:DWORD
	v_cndmask_b32_e64 v5, v13, v12, s[8:9]
; %bb.452:
	s_or_b64 exec, exec, s[26:27]
	s_mov_b32 s8, 0x7060302
	v_perm_b32 v12, v5, v4, s8
	v_mov_b32_e32 v13, 0xffff8000
	v_cmp_lt_i32_e64 s[8:9], -1, v4
	v_cndmask_b32_e64 v4, -1, v13, s[8:9]
	v_cmp_lt_i32_e64 s[8:9], -1, v5
	v_cndmask_b32_e64 v5, -1, v13, s[8:9]
	s_mov_b32 s8, 0x5040100
	v_perm_b32 v4, v5, v4, s8
	v_xor_b32_e32 v4, v4, v12
	v_cmp_le_u16_sdwa s[8:9], v4, v4 src0_sel:DWORD src1_sel:WORD_1
	s_andn2_b64 s[24:25], s[24:25], exec
	s_and_b64 s[8:9], s[8:9], exec
	s_or_b64 s[24:25], s[24:25], s[8:9]
.LBB2063_453:
	s_or_b64 exec, exec, s[12:13]
	v_cndmask_b32_e64 v4, v53, v52, s[24:25]
	v_cndmask_b32_e64 v5, v30, v29, s[24:25]
	v_add_u32_e32 v12, 1, v4
	v_add_u32_e32 v5, -1, v5
	v_min_u32_e32 v5, v12, v5
	v_lshl_add_u32 v5, v5, 1, v14
	ds_read_u16 v13, v5
	v_lshl_add_u32 v4, v4, 3, v8
	ds_read_b64 v[4:5], v4 offset:4096
	v_cndmask_b32_e64 v15, v12, v53, s[24:25]
	v_cndmask_b32_e64 v16, v52, v12, s[24:25]
	s_waitcnt lgkmcnt(1)
	v_cndmask_b32_e64 v37, v13, v36, s[24:25]
	v_cndmask_b32_e64 v48, v31, v13, s[24:25]
	v_cmp_lt_u32_e64 s[8:9], v15, v30
	s_mov_b64 s[26:27], -1
	s_mov_b64 s[12:13], -1
	s_and_saveexec_b64 s[28:29], s[8:9]
	s_cbranch_execz .LBB2063_465
; %bb.454:
	v_cmp_lt_u32_e64 s[8:9], v16, v29
	s_mov_b64 s[40:41], 0
	s_and_saveexec_b64 s[12:13], s[8:9]
	s_cbranch_execz .LBB2063_464
; %bb.455:
	v_lshlrev_b32_e32 v12, 16, v48
	v_add_f32_e32 v13, 0, v12
	s_mov_b32 s8, 0x7f800000
	v_and_b32_e32 v12, 0x7f800000, v13
	v_cmp_ne_u32_e64 s[8:9], s8, v12
                                        ; implicit-def: $vgpr12
	s_and_saveexec_b64 s[40:41], s[8:9]
	s_xor_b64 s[8:9], exec, s[40:41]
; %bb.456:
	v_bfe_u32 v12, v13, 16, 1
	s_movk_i32 s40, 0x7fff
	v_add3_u32 v12, v13, v12, s40
                                        ; implicit-def: $vgpr13
; %bb.457:
	s_andn2_saveexec_b64 s[40:41], s[8:9]
; %bb.458:
	v_mov_b32_e32 v12, 0
	v_or_b32_e32 v17, 0x10000, v13
	v_cmp_eq_u32_sdwa s[8:9], v13, v12 src0_sel:WORD_0 src1_sel:DWORD
	v_cndmask_b32_e64 v12, v17, v13, s[8:9]
; %bb.459:
	s_or_b64 exec, exec, s[40:41]
	v_lshlrev_b32_e32 v13, 16, v37
	v_add_f32_e32 v17, 0, v13
	s_mov_b32 s8, 0x7f800000
	v_and_b32_e32 v13, 0x7f800000, v17
	v_cmp_ne_u32_e64 s[8:9], s8, v13
                                        ; implicit-def: $vgpr13
	s_and_saveexec_b64 s[40:41], s[8:9]
	s_xor_b64 s[8:9], exec, s[40:41]
; %bb.460:
	v_bfe_u32 v13, v17, 16, 1
	s_movk_i32 s40, 0x7fff
	v_add3_u32 v13, v17, v13, s40
                                        ; implicit-def: $vgpr17
; %bb.461:
	s_andn2_saveexec_b64 s[40:41], s[8:9]
; %bb.462:
	v_mov_b32_e32 v13, 0
	v_or_b32_e32 v18, 0x10000, v17
	v_cmp_eq_u32_sdwa s[8:9], v17, v13 src0_sel:WORD_0 src1_sel:DWORD
	v_cndmask_b32_e64 v13, v18, v17, s[8:9]
; %bb.463:
	s_or_b64 exec, exec, s[40:41]
	s_mov_b32 s8, 0x7060302
	v_perm_b32 v17, v13, v12, s8
	v_mov_b32_e32 v18, 0xffff8000
	v_cmp_lt_i32_e64 s[8:9], -1, v12
	v_cndmask_b32_e64 v12, -1, v18, s[8:9]
	v_cmp_lt_i32_e64 s[8:9], -1, v13
	v_cndmask_b32_e64 v13, -1, v18, s[8:9]
	s_mov_b32 s8, 0x5040100
	v_perm_b32 v12, v13, v12, s8
	v_xor_b32_e32 v12, v12, v17
	v_cmp_le_u16_sdwa s[8:9], v12, v12 src0_sel:DWORD src1_sel:WORD_1
	s_and_b64 s[40:41], s[8:9], exec
.LBB2063_464:
	s_or_b64 exec, exec, s[12:13]
	s_orn2_b64 s[12:13], s[40:41], exec
.LBB2063_465:
	s_or_b64 exec, exec, s[28:29]
	v_cndmask_b32_e64 v12, v15, v16, s[12:13]
	v_cndmask_b32_e64 v13, v30, v29, s[12:13]
	v_add_u32_e32 v18, 1, v12
	v_add_u32_e32 v13, -1, v13
	v_min_u32_e32 v13, v18, v13
	v_lshl_add_u32 v13, v13, 1, v14
	ds_read_u16 v17, v13
	v_lshl_add_u32 v12, v12, 3, v8
	ds_read_b64 v[12:13], v12 offset:4096
	s_waitcnt lgkmcnt(1)
	v_cndmask_b32_e64 v49, v17, v37, s[12:13]
	v_cndmask_b32_e64 v52, v48, v17, s[12:13]
	;; [unrolled: 1-line block ×4, first 2 shown]
	v_cmp_lt_u32_e64 s[8:9], v17, v30
	s_and_saveexec_b64 s[28:29], s[8:9]
	s_cbranch_execz .LBB2063_477
; %bb.466:
	v_cmp_lt_u32_e64 s[8:9], v18, v29
	s_mov_b64 s[40:41], 0
	s_and_saveexec_b64 s[26:27], s[8:9]
	s_cbranch_execz .LBB2063_476
; %bb.467:
	v_lshlrev_b32_e32 v15, 16, v52
	v_add_f32_e32 v16, 0, v15
	s_mov_b32 s8, 0x7f800000
	v_and_b32_e32 v15, 0x7f800000, v16
	v_cmp_ne_u32_e64 s[8:9], s8, v15
                                        ; implicit-def: $vgpr15
	s_and_saveexec_b64 s[40:41], s[8:9]
	s_xor_b64 s[8:9], exec, s[40:41]
; %bb.468:
	v_bfe_u32 v15, v16, 16, 1
	s_movk_i32 s40, 0x7fff
	v_add3_u32 v15, v16, v15, s40
                                        ; implicit-def: $vgpr16
; %bb.469:
	s_andn2_saveexec_b64 s[40:41], s[8:9]
; %bb.470:
	v_mov_b32_e32 v15, 0
	v_or_b32_e32 v19, 0x10000, v16
	v_cmp_eq_u32_sdwa s[8:9], v16, v15 src0_sel:WORD_0 src1_sel:DWORD
	v_cndmask_b32_e64 v15, v19, v16, s[8:9]
; %bb.471:
	s_or_b64 exec, exec, s[40:41]
	v_lshlrev_b32_e32 v16, 16, v49
	v_add_f32_e32 v19, 0, v16
	s_mov_b32 s8, 0x7f800000
	v_and_b32_e32 v16, 0x7f800000, v19
	v_cmp_ne_u32_e64 s[8:9], s8, v16
                                        ; implicit-def: $vgpr16
	s_and_saveexec_b64 s[40:41], s[8:9]
	s_xor_b64 s[8:9], exec, s[40:41]
; %bb.472:
	v_bfe_u32 v16, v19, 16, 1
	s_movk_i32 s40, 0x7fff
	v_add3_u32 v16, v19, v16, s40
                                        ; implicit-def: $vgpr19
; %bb.473:
	s_andn2_saveexec_b64 s[40:41], s[8:9]
; %bb.474:
	v_mov_b32_e32 v16, 0
	v_or_b32_e32 v20, 0x10000, v19
	v_cmp_eq_u32_sdwa s[8:9], v19, v16 src0_sel:WORD_0 src1_sel:DWORD
	v_cndmask_b32_e64 v16, v20, v19, s[8:9]
; %bb.475:
	s_or_b64 exec, exec, s[40:41]
	s_mov_b32 s8, 0x7060302
	v_perm_b32 v19, v16, v15, s8
	v_mov_b32_e32 v20, 0xffff8000
	v_cmp_lt_i32_e64 s[8:9], -1, v15
	v_cndmask_b32_e64 v15, -1, v20, s[8:9]
	v_cmp_lt_i32_e64 s[8:9], -1, v16
	v_cndmask_b32_e64 v16, -1, v20, s[8:9]
	s_mov_b32 s8, 0x5040100
	v_perm_b32 v15, v16, v15, s8
	v_xor_b32_e32 v15, v15, v19
	v_cmp_le_u16_sdwa s[8:9], v15, v15 src0_sel:DWORD src1_sel:WORD_1
	s_and_b64 s[40:41], s[8:9], exec
.LBB2063_476:
	s_or_b64 exec, exec, s[26:27]
	s_orn2_b64 s[26:27], s[40:41], exec
.LBB2063_477:
	s_or_b64 exec, exec, s[28:29]
	v_cndmask_b32_e64 v15, v17, v18, s[26:27]
	v_cndmask_b32_e64 v16, v30, v29, s[26:27]
	v_add_u32_e32 v20, 1, v15
	v_add_u32_e32 v16, -1, v16
	v_min_u32_e32 v16, v20, v16
	v_lshl_add_u32 v16, v16, 1, v14
	ds_read_u16 v19, v16
	v_lshl_add_u32 v15, v15, 3, v8
	ds_read_b64 v[15:16], v15 offset:4096
	s_mov_b64 s[40:41], -1
	s_mov_b64 s[28:29], -1
	s_waitcnt lgkmcnt(1)
	v_cndmask_b32_e64 v25, v19, v49, s[26:27]
	v_cndmask_b32_e64 v26, v52, v19, s[26:27]
	;; [unrolled: 1-line block ×4, first 2 shown]
	v_cmp_lt_u32_e64 s[8:9], v19, v30
	s_and_saveexec_b64 s[42:43], s[8:9]
	s_cbranch_execz .LBB2063_489
; %bb.478:
	v_cmp_lt_u32_e64 s[8:9], v20, v29
	s_mov_b64 s[44:45], 0
	s_and_saveexec_b64 s[28:29], s[8:9]
	s_cbranch_execz .LBB2063_488
; %bb.479:
	v_lshlrev_b32_e32 v17, 16, v26
	v_add_f32_e32 v18, 0, v17
	s_mov_b32 s8, 0x7f800000
	v_and_b32_e32 v17, 0x7f800000, v18
	v_cmp_ne_u32_e64 s[8:9], s8, v17
                                        ; implicit-def: $vgpr17
	s_and_saveexec_b64 s[44:45], s[8:9]
	s_xor_b64 s[8:9], exec, s[44:45]
; %bb.480:
	v_bfe_u32 v17, v18, 16, 1
	s_movk_i32 s44, 0x7fff
	v_add3_u32 v17, v18, v17, s44
                                        ; implicit-def: $vgpr18
; %bb.481:
	s_andn2_saveexec_b64 s[44:45], s[8:9]
; %bb.482:
	v_mov_b32_e32 v17, 0
	v_or_b32_e32 v21, 0x10000, v18
	v_cmp_eq_u32_sdwa s[8:9], v18, v17 src0_sel:WORD_0 src1_sel:DWORD
	v_cndmask_b32_e64 v17, v21, v18, s[8:9]
; %bb.483:
	s_or_b64 exec, exec, s[44:45]
	v_lshlrev_b32_e32 v18, 16, v25
	v_add_f32_e32 v21, 0, v18
	s_mov_b32 s8, 0x7f800000
	v_and_b32_e32 v18, 0x7f800000, v21
	v_cmp_ne_u32_e64 s[8:9], s8, v18
                                        ; implicit-def: $vgpr18
	s_and_saveexec_b64 s[44:45], s[8:9]
	s_xor_b64 s[8:9], exec, s[44:45]
; %bb.484:
	v_bfe_u32 v18, v21, 16, 1
	s_movk_i32 s44, 0x7fff
	v_add3_u32 v18, v21, v18, s44
                                        ; implicit-def: $vgpr21
; %bb.485:
	s_andn2_saveexec_b64 s[44:45], s[8:9]
; %bb.486:
	v_mov_b32_e32 v18, 0
	v_or_b32_e32 v22, 0x10000, v21
	v_cmp_eq_u32_sdwa s[8:9], v21, v18 src0_sel:WORD_0 src1_sel:DWORD
	v_cndmask_b32_e64 v18, v22, v21, s[8:9]
; %bb.487:
	s_or_b64 exec, exec, s[44:45]
	s_mov_b32 s8, 0x7060302
	v_perm_b32 v21, v18, v17, s8
	v_mov_b32_e32 v22, 0xffff8000
	v_cmp_lt_i32_e64 s[8:9], -1, v17
	v_cndmask_b32_e64 v17, -1, v22, s[8:9]
	v_cmp_lt_i32_e64 s[8:9], -1, v18
	v_cndmask_b32_e64 v18, -1, v22, s[8:9]
	s_mov_b32 s8, 0x5040100
	v_perm_b32 v17, v18, v17, s8
	v_xor_b32_e32 v17, v17, v21
	v_cmp_le_u16_sdwa s[8:9], v17, v17 src0_sel:DWORD src1_sel:WORD_1
	s_and_b64 s[44:45], s[8:9], exec
.LBB2063_488:
	s_or_b64 exec, exec, s[28:29]
	s_orn2_b64 s[28:29], s[44:45], exec
.LBB2063_489:
	s_or_b64 exec, exec, s[42:43]
	v_cndmask_b32_e64 v17, v19, v20, s[28:29]
	v_cndmask_b32_e64 v18, v30, v29, s[28:29]
	v_add_u32_e32 v22, 1, v17
	v_add_u32_e32 v18, -1, v18
	v_min_u32_e32 v18, v22, v18
	v_lshl_add_u32 v18, v18, 1, v14
	ds_read_u16 v21, v18
	v_lshl_add_u32 v17, v17, 3, v8
	ds_read_b64 v[17:18], v17 offset:4096
	s_waitcnt lgkmcnt(1)
	v_cndmask_b32_e64 v39, v21, v25, s[28:29]
	v_cndmask_b32_e64 v51, v26, v21, s[28:29]
	;; [unrolled: 1-line block ×4, first 2 shown]
	v_cmp_lt_u32_e64 s[8:9], v21, v30
	s_and_saveexec_b64 s[42:43], s[8:9]
	s_cbranch_execz .LBB2063_501
; %bb.490:
	v_cmp_lt_u32_e64 s[8:9], v22, v29
	s_mov_b64 s[44:45], 0
	s_and_saveexec_b64 s[40:41], s[8:9]
	s_cbranch_execz .LBB2063_500
; %bb.491:
	v_lshlrev_b32_e32 v19, 16, v51
	v_add_f32_e32 v20, 0, v19
	s_mov_b32 s8, 0x7f800000
	v_and_b32_e32 v19, 0x7f800000, v20
	v_cmp_ne_u32_e64 s[8:9], s8, v19
                                        ; implicit-def: $vgpr19
	s_and_saveexec_b64 s[44:45], s[8:9]
	s_xor_b64 s[8:9], exec, s[44:45]
; %bb.492:
	v_bfe_u32 v19, v20, 16, 1
	s_movk_i32 s44, 0x7fff
	v_add3_u32 v19, v20, v19, s44
                                        ; implicit-def: $vgpr20
; %bb.493:
	s_andn2_saveexec_b64 s[44:45], s[8:9]
; %bb.494:
	v_mov_b32_e32 v19, 0
	v_or_b32_e32 v23, 0x10000, v20
	v_cmp_eq_u32_sdwa s[8:9], v20, v19 src0_sel:WORD_0 src1_sel:DWORD
	v_cndmask_b32_e64 v19, v23, v20, s[8:9]
; %bb.495:
	s_or_b64 exec, exec, s[44:45]
	v_lshlrev_b32_e32 v20, 16, v39
	v_add_f32_e32 v23, 0, v20
	s_mov_b32 s8, 0x7f800000
	v_and_b32_e32 v20, 0x7f800000, v23
	v_cmp_ne_u32_e64 s[8:9], s8, v20
                                        ; implicit-def: $vgpr20
	s_and_saveexec_b64 s[44:45], s[8:9]
	s_xor_b64 s[8:9], exec, s[44:45]
; %bb.496:
	v_bfe_u32 v20, v23, 16, 1
	s_movk_i32 s44, 0x7fff
	v_add3_u32 v20, v23, v20, s44
                                        ; implicit-def: $vgpr23
; %bb.497:
	s_andn2_saveexec_b64 s[44:45], s[8:9]
; %bb.498:
	v_mov_b32_e32 v20, 0
	v_or_b32_e32 v24, 0x10000, v23
	v_cmp_eq_u32_sdwa s[8:9], v23, v20 src0_sel:WORD_0 src1_sel:DWORD
	v_cndmask_b32_e64 v20, v24, v23, s[8:9]
; %bb.499:
	s_or_b64 exec, exec, s[44:45]
	s_mov_b32 s8, 0x7060302
	v_perm_b32 v23, v20, v19, s8
	v_mov_b32_e32 v24, 0xffff8000
	v_cmp_lt_i32_e64 s[8:9], -1, v19
	v_cndmask_b32_e64 v19, -1, v24, s[8:9]
	v_cmp_lt_i32_e64 s[8:9], -1, v20
	v_cndmask_b32_e64 v20, -1, v24, s[8:9]
	s_mov_b32 s8, 0x5040100
	v_perm_b32 v19, v20, v19, s8
	v_xor_b32_e32 v19, v19, v23
	v_cmp_le_u16_sdwa s[8:9], v19, v19 src0_sel:DWORD src1_sel:WORD_1
	s_and_b64 s[44:45], s[8:9], exec
.LBB2063_500:
	s_or_b64 exec, exec, s[40:41]
	s_orn2_b64 s[40:41], s[44:45], exec
.LBB2063_501:
	s_or_b64 exec, exec, s[42:43]
	v_cndmask_b32_e64 v19, v21, v22, s[40:41]
	v_cndmask_b32_e64 v20, v30, v29, s[40:41]
	v_add_u32_e32 v23, 1, v19
	v_add_u32_e32 v20, -1, v20
	v_min_u32_e32 v20, v23, v20
	v_lshl_add_u32 v20, v20, 1, v14
	ds_read_u16 v24, v20
	v_lshl_add_u32 v19, v19, 3, v8
	ds_read_b64 v[19:20], v19 offset:4096
	v_cndmask_b32_e64 v21, v23, v21, s[40:41]
	v_cndmask_b32_e64 v22, v22, v23, s[40:41]
	s_waitcnt lgkmcnt(1)
	v_cndmask_b32_e64 v38, v24, v39, s[40:41]
	v_cndmask_b32_e64 v53, v51, v24, s[40:41]
	v_cmp_lt_u32_e64 s[8:9], v21, v30
	s_mov_b64 s[44:45], -1
	s_mov_b64 s[42:43], -1
	s_and_saveexec_b64 s[46:47], s[8:9]
	s_cbranch_execz .LBB2063_513
; %bb.502:
	v_cmp_lt_u32_e64 s[8:9], v22, v29
	s_mov_b64 s[56:57], 0
	s_and_saveexec_b64 s[42:43], s[8:9]
	s_cbranch_execz .LBB2063_512
; %bb.503:
	v_lshlrev_b32_e32 v23, 16, v53
	v_add_f32_e32 v24, 0, v23
	s_mov_b32 s8, 0x7f800000
	v_and_b32_e32 v23, 0x7f800000, v24
	v_cmp_ne_u32_e64 s[8:9], s8, v23
                                        ; implicit-def: $vgpr23
	s_and_saveexec_b64 s[56:57], s[8:9]
	s_xor_b64 s[8:9], exec, s[56:57]
; %bb.504:
	v_bfe_u32 v23, v24, 16, 1
	s_movk_i32 s56, 0x7fff
	v_add3_u32 v23, v24, v23, s56
                                        ; implicit-def: $vgpr24
; %bb.505:
	s_andn2_saveexec_b64 s[56:57], s[8:9]
; %bb.506:
	v_mov_b32_e32 v23, 0
	v_or_b32_e32 v50, 0x10000, v24
	v_cmp_eq_u32_sdwa s[8:9], v24, v23 src0_sel:WORD_0 src1_sel:DWORD
	v_cndmask_b32_e64 v23, v50, v24, s[8:9]
; %bb.507:
	s_or_b64 exec, exec, s[56:57]
	v_lshlrev_b32_e32 v24, 16, v38
	v_add_f32_e32 v50, 0, v24
	s_mov_b32 s8, 0x7f800000
	v_and_b32_e32 v24, 0x7f800000, v50
	v_cmp_ne_u32_e64 s[8:9], s8, v24
                                        ; implicit-def: $vgpr24
	s_and_saveexec_b64 s[56:57], s[8:9]
	s_xor_b64 s[8:9], exec, s[56:57]
; %bb.508:
	v_bfe_u32 v24, v50, 16, 1
	s_movk_i32 s56, 0x7fff
	v_add3_u32 v24, v50, v24, s56
                                        ; implicit-def: $vgpr50
; %bb.509:
	s_andn2_saveexec_b64 s[56:57], s[8:9]
; %bb.510:
	v_mov_b32_e32 v24, 0
	v_or_b32_e32 v54, 0x10000, v50
	v_cmp_eq_u32_sdwa s[8:9], v50, v24 src0_sel:WORD_0 src1_sel:DWORD
	v_cndmask_b32_e64 v24, v54, v50, s[8:9]
; %bb.511:
	s_or_b64 exec, exec, s[56:57]
	s_mov_b32 s8, 0x7060302
	v_perm_b32 v50, v24, v23, s8
	v_mov_b32_e32 v54, 0xffff8000
	v_cmp_lt_i32_e64 s[8:9], -1, v23
	v_cndmask_b32_e64 v23, -1, v54, s[8:9]
	v_cmp_lt_i32_e64 s[8:9], -1, v24
	v_cndmask_b32_e64 v24, -1, v54, s[8:9]
	s_mov_b32 s8, 0x5040100
	v_perm_b32 v23, v24, v23, s8
	v_xor_b32_e32 v23, v23, v50
	v_cmp_le_u16_sdwa s[8:9], v23, v23 src0_sel:DWORD src1_sel:WORD_1
	s_and_b64 s[56:57], s[8:9], exec
.LBB2063_512:
	s_or_b64 exec, exec, s[42:43]
	s_orn2_b64 s[42:43], s[56:57], exec
.LBB2063_513:
	s_or_b64 exec, exec, s[46:47]
	v_cndmask_b32_e64 v23, v21, v22, s[42:43]
	v_cndmask_b32_e64 v24, v30, v29, s[42:43]
	v_add_u32_e32 v55, 1, v23
	v_add_u32_e32 v24, -1, v24
	v_min_u32_e32 v24, v55, v24
	v_lshl_add_u32 v24, v24, 1, v14
	ds_read_u16 v54, v24
	v_lshl_add_u32 v23, v23, 3, v8
	ds_read_b64 v[23:24], v23 offset:4096
	v_cndmask_b32_e64 v65, v55, v21, s[42:43]
	v_cndmask_b32_e64 v66, v22, v55, s[42:43]
	s_waitcnt lgkmcnt(1)
	v_cndmask_b32_e64 v50, v54, v38, s[42:43]
	v_cndmask_b32_e64 v54, v53, v54, s[42:43]
	v_cmp_lt_u32_e64 s[8:9], v65, v30
	s_and_saveexec_b64 s[46:47], s[8:9]
	s_cbranch_execz .LBB2063_525
; %bb.514:
	v_cmp_lt_u32_e64 s[8:9], v66, v29
	s_mov_b64 s[56:57], 0
	s_and_saveexec_b64 s[44:45], s[8:9]
	s_cbranch_execz .LBB2063_524
; %bb.515:
	v_lshlrev_b32_e32 v21, 16, v54
	v_add_f32_e32 v22, 0, v21
	s_mov_b32 s8, 0x7f800000
	v_and_b32_e32 v21, 0x7f800000, v22
	v_cmp_ne_u32_e64 s[8:9], s8, v21
                                        ; implicit-def: $vgpr21
	s_and_saveexec_b64 s[56:57], s[8:9]
	s_xor_b64 s[8:9], exec, s[56:57]
; %bb.516:
	v_bfe_u32 v21, v22, 16, 1
	s_movk_i32 s56, 0x7fff
	v_add3_u32 v21, v22, v21, s56
                                        ; implicit-def: $vgpr22
; %bb.517:
	s_andn2_saveexec_b64 s[56:57], s[8:9]
; %bb.518:
	v_mov_b32_e32 v21, 0
	v_or_b32_e32 v55, 0x10000, v22
	v_cmp_eq_u32_sdwa s[8:9], v22, v21 src0_sel:WORD_0 src1_sel:DWORD
	v_cndmask_b32_e64 v21, v55, v22, s[8:9]
; %bb.519:
	s_or_b64 exec, exec, s[56:57]
	v_lshlrev_b32_e32 v22, 16, v50
	v_add_f32_e32 v55, 0, v22
	s_mov_b32 s8, 0x7f800000
	v_and_b32_e32 v22, 0x7f800000, v55
	v_cmp_ne_u32_e64 s[8:9], s8, v22
                                        ; implicit-def: $vgpr22
	s_and_saveexec_b64 s[56:57], s[8:9]
	s_xor_b64 s[8:9], exec, s[56:57]
; %bb.520:
	v_bfe_u32 v22, v55, 16, 1
	s_movk_i32 s56, 0x7fff
	v_add3_u32 v22, v55, v22, s56
                                        ; implicit-def: $vgpr55
; %bb.521:
	s_andn2_saveexec_b64 s[56:57], s[8:9]
; %bb.522:
	v_mov_b32_e32 v22, 0
	v_or_b32_e32 v64, 0x10000, v55
	v_cmp_eq_u32_sdwa s[8:9], v55, v22 src0_sel:WORD_0 src1_sel:DWORD
	v_cndmask_b32_e64 v22, v64, v55, s[8:9]
; %bb.523:
	s_or_b64 exec, exec, s[56:57]
	s_mov_b32 s8, 0x7060302
	v_perm_b32 v55, v22, v21, s8
	v_mov_b32_e32 v64, 0xffff8000
	v_cmp_lt_i32_e64 s[8:9], -1, v21
	v_cndmask_b32_e64 v21, -1, v64, s[8:9]
	v_cmp_lt_i32_e64 s[8:9], -1, v22
	v_cndmask_b32_e64 v22, -1, v64, s[8:9]
	s_mov_b32 s8, 0x5040100
	v_perm_b32 v21, v22, v21, s8
	v_xor_b32_e32 v21, v21, v55
	v_cmp_le_u16_sdwa s[8:9], v21, v21 src0_sel:DWORD src1_sel:WORD_1
	s_and_b64 s[56:57], s[8:9], exec
.LBB2063_524:
	s_or_b64 exec, exec, s[44:45]
	s_orn2_b64 s[44:45], s[56:57], exec
.LBB2063_525:
	s_or_b64 exec, exec, s[46:47]
	v_cndmask_b32_e64 v21, v65, v66, s[44:45]
	v_cndmask_b32_e64 v22, v30, v29, s[44:45]
	v_add_u32_e32 v67, 1, v21
	v_add_u32_e32 v22, -1, v22
	v_min_u32_e32 v22, v67, v22
	v_lshl_add_u32 v22, v22, 1, v14
	ds_read_u16 v64, v22
	v_lshl_add_u32 v21, v21, 3, v8
	ds_read_b64 v[21:22], v21 offset:4096
	v_cndmask_b32_e64 v65, v67, v65, s[44:45]
	v_cndmask_b32_e64 v66, v66, v67, s[44:45]
	s_waitcnt lgkmcnt(1)
	v_cndmask_b32_e64 v55, v64, v50, s[44:45]
	v_cndmask_b32_e64 v64, v54, v64, s[44:45]
	v_cmp_lt_u32_e64 s[8:9], v65, v30
	s_mov_b64 s[56:57], -1
	s_and_saveexec_b64 s[46:47], s[8:9]
	s_cbranch_execz .LBB2063_537
; %bb.526:
	v_cmp_lt_u32_e64 s[8:9], v66, v29
	s_mov_b64 s[58:59], 0
	s_and_saveexec_b64 s[56:57], s[8:9]
	s_cbranch_execz .LBB2063_536
; %bb.527:
	v_lshlrev_b32_e32 v29, 16, v64
	v_add_f32_e32 v30, 0, v29
	s_mov_b32 s8, 0x7f800000
	v_and_b32_e32 v29, 0x7f800000, v30
	v_cmp_ne_u32_e64 s[8:9], s8, v29
                                        ; implicit-def: $vgpr29
	s_and_saveexec_b64 s[58:59], s[8:9]
	s_xor_b64 s[8:9], exec, s[58:59]
; %bb.528:
	v_bfe_u32 v29, v30, 16, 1
	s_movk_i32 s58, 0x7fff
	v_add3_u32 v29, v30, v29, s58
                                        ; implicit-def: $vgpr30
; %bb.529:
	s_andn2_saveexec_b64 s[58:59], s[8:9]
; %bb.530:
	v_mov_b32_e32 v29, 0
	v_or_b32_e32 v67, 0x10000, v30
	v_cmp_eq_u32_sdwa s[8:9], v30, v29 src0_sel:WORD_0 src1_sel:DWORD
	v_cndmask_b32_e64 v29, v67, v30, s[8:9]
; %bb.531:
	s_or_b64 exec, exec, s[58:59]
	v_lshlrev_b32_e32 v30, 16, v55
	v_add_f32_e32 v67, 0, v30
	s_mov_b32 s8, 0x7f800000
	v_and_b32_e32 v30, 0x7f800000, v67
	v_cmp_ne_u32_e64 s[8:9], s8, v30
                                        ; implicit-def: $vgpr30
	s_and_saveexec_b64 s[58:59], s[8:9]
	s_xor_b64 s[8:9], exec, s[58:59]
; %bb.532:
	v_bfe_u32 v30, v67, 16, 1
	s_movk_i32 s58, 0x7fff
	v_add3_u32 v30, v67, v30, s58
                                        ; implicit-def: $vgpr67
; %bb.533:
	s_andn2_saveexec_b64 s[58:59], s[8:9]
; %bb.534:
	v_mov_b32_e32 v30, 0
	v_or_b32_e32 v68, 0x10000, v67
	v_cmp_eq_u32_sdwa s[8:9], v67, v30 src0_sel:WORD_0 src1_sel:DWORD
	v_cndmask_b32_e64 v30, v68, v67, s[8:9]
; %bb.535:
	s_or_b64 exec, exec, s[58:59]
	s_mov_b32 s8, 0x7060302
	v_perm_b32 v67, v30, v29, s8
	v_mov_b32_e32 v68, 0xffff8000
	v_cmp_lt_i32_e64 s[8:9], -1, v29
	v_cndmask_b32_e64 v29, -1, v68, s[8:9]
	v_cmp_lt_i32_e64 s[8:9], -1, v30
	v_cndmask_b32_e64 v30, -1, v68, s[8:9]
	s_mov_b32 s8, 0x5040100
	v_perm_b32 v29, v30, v29, s8
	v_xor_b32_e32 v29, v29, v67
	v_cmp_le_u16_sdwa s[8:9], v29, v29 src0_sel:DWORD src1_sel:WORD_1
	s_and_b64 s[58:59], s[8:9], exec
.LBB2063_536:
	s_or_b64 exec, exec, s[56:57]
	s_orn2_b64 s[56:57], s[58:59], exec
.LBB2063_537:
	s_or_b64 exec, exec, s[46:47]
	v_cndmask_b32_e64 v39, v39, v51, s[40:41]
	v_cndmask_b32_e64 v51, v25, v26, s[28:29]
	;; [unrolled: 1-line block ×3, first 2 shown]
	v_lshl_add_u32 v25, v25, 3, v8
	ds_read_b64 v[25:26], v25 offset:4096
	v_cndmask_b32_e64 v50, v50, v54, s[44:45]
	v_cndmask_b32_e64 v38, v38, v53, s[42:43]
	;; [unrolled: 1-line block ×6, first 2 shown]
.LBB2063_538:
	s_or_b64 exec, exec, s[22:23]
	v_add_u32_e32 v29, 0x1000, v28
	; wave barrier
	ds_write2_b64 v29, v[4:5], v[12:13] offset1:1
	v_add_u32_e32 v29, 0x1010, v28
	ds_write2_b64 v29, v[15:16], v[17:18] offset1:1
	v_add_u32_e32 v29, 0x1020, v28
	s_mov_b32 s8, 0x5040100
	ds_write2_b64 v29, v[19:20], v[23:24] offset1:1
	v_add_u32_e32 v31, 0x1030, v28
	v_perm_b32 v30, v37, v50, s8
	v_perm_b32 v29, v38, v39, s8
	;; [unrolled: 1-line block ×4, first 2 shown]
	ds_write2_b64 v27, v[52:53], v[29:30] offset1:1
	s_waitcnt lgkmcnt(4)
	ds_write2_b64 v31, v[21:22], v[25:26] offset1:1
	v_and_b32_e32 v31, 0x3c0, v35
	v_or_b32_e32 v29, 32, v31
	v_min_u32_e32 v29, v9, v29
	v_add_u32_e32 v30, 32, v29
	v_min_u32_e32 v30, v9, v30
	v_and_b32_e32 v52, 56, v35
	v_min_u32_e32 v53, v9, v52
	v_sub_u32_e32 v52, v29, v31
	v_sub_u32_e32 v55, v30, v29
	v_sub_u32_e64 v55, v53, v55 clamp
	v_min_u32_e32 v52, v53, v52
	v_lshl_add_u32 v54, v31, 1, v14
	v_cmp_lt_u32_e64 s[8:9], v55, v52
	; wave barrier
	s_and_saveexec_b64 s[12:13], s[8:9]
	s_cbranch_execz .LBB2063_550
; %bb.539:
	v_lshlrev_b32_e32 v64, 1, v29
	v_lshlrev_b32_e32 v65, 1, v53
	v_add3_u32 v64, v14, v64, v65
	s_mov_b64 s[22:23], 0
	s_mov_b32 s26, 0x7f800000
	s_movk_i32 s27, 0x7fff
	v_mov_b32_e32 v65, 0
	v_mov_b32_e32 v66, 0xffff8000
	s_branch .LBB2063_541
.LBB2063_540:                           ;   in Loop: Header=BB2063_541 Depth=1
	s_or_b64 exec, exec, s[24:25]
	v_cmp_lt_i32_e64 s[8:9], -1, v68
	v_cndmask_b32_e64 v70, -1, v66, s[8:9]
	v_cmp_lt_i32_e64 s[8:9], -1, v69
	v_xor_b32_sdwa v68, v70, v68 dst_sel:DWORD dst_unused:UNUSED_PAD src0_sel:DWORD src1_sel:WORD_1
	v_cndmask_b32_e64 v70, -1, v66, s[8:9]
	v_xor_b32_sdwa v69, v70, v69 dst_sel:DWORD dst_unused:UNUSED_PAD src0_sel:DWORD src1_sel:WORD_1
	v_add_u32_e32 v70, 1, v67
	v_cmp_gt_u16_e64 s[8:9], v68, v69
	v_cndmask_b32_e64 v52, v52, v67, s[8:9]
	v_cndmask_b32_e64 v55, v70, v55, s[8:9]
	v_cmp_ge_u32_e64 s[8:9], v55, v52
	s_or_b64 s[22:23], s[8:9], s[22:23]
	s_andn2_b64 exec, exec, s[22:23]
	s_cbranch_execz .LBB2063_549
.LBB2063_541:                           ; =>This Inner Loop Header: Depth=1
	v_add_u32_e32 v67, v52, v55
	v_and_b32_e32 v68, -2, v67
	v_add_u32_e32 v68, v54, v68
	ds_read_u16 v68, v68
	v_lshrrev_b32_e32 v67, 1, v67
	v_not_b32_e32 v69, v67
	v_lshl_add_u32 v69, v69, 1, v64
	ds_read_u16 v69, v69
	s_waitcnt lgkmcnt(1)
	v_lshlrev_b32_e32 v68, 16, v68
	v_add_f32_e32 v70, 0, v68
	v_and_b32_e32 v68, 0x7f800000, v70
	v_cmp_ne_u32_e64 s[8:9], s26, v68
                                        ; implicit-def: $vgpr68
	s_and_saveexec_b64 s[24:25], s[8:9]
	s_xor_b64 s[8:9], exec, s[24:25]
; %bb.542:                              ;   in Loop: Header=BB2063_541 Depth=1
	v_bfe_u32 v68, v70, 16, 1
	v_add3_u32 v68, v70, v68, s27
                                        ; implicit-def: $vgpr70
; %bb.543:                              ;   in Loop: Header=BB2063_541 Depth=1
	s_andn2_saveexec_b64 s[24:25], s[8:9]
; %bb.544:                              ;   in Loop: Header=BB2063_541 Depth=1
	v_or_b32_e32 v68, 0x10000, v70
	v_cmp_eq_u32_sdwa s[8:9], v70, v65 src0_sel:WORD_0 src1_sel:DWORD
	v_cndmask_b32_e64 v68, v68, v70, s[8:9]
; %bb.545:                              ;   in Loop: Header=BB2063_541 Depth=1
	s_or_b64 exec, exec, s[24:25]
	s_waitcnt lgkmcnt(0)
	v_lshlrev_b32_e32 v69, 16, v69
	v_add_f32_e32 v70, 0, v69
	v_and_b32_e32 v69, 0x7f800000, v70
	v_cmp_ne_u32_e64 s[8:9], s26, v69
                                        ; implicit-def: $vgpr69
	s_and_saveexec_b64 s[24:25], s[8:9]
	s_xor_b64 s[8:9], exec, s[24:25]
; %bb.546:                              ;   in Loop: Header=BB2063_541 Depth=1
	v_bfe_u32 v69, v70, 16, 1
	v_add3_u32 v69, v70, v69, s27
                                        ; implicit-def: $vgpr70
; %bb.547:                              ;   in Loop: Header=BB2063_541 Depth=1
	s_andn2_saveexec_b64 s[24:25], s[8:9]
	s_cbranch_execz .LBB2063_540
; %bb.548:                              ;   in Loop: Header=BB2063_541 Depth=1
	v_or_b32_e32 v69, 0x10000, v70
	v_cmp_eq_u32_sdwa s[8:9], v70, v65 src0_sel:WORD_0 src1_sel:DWORD
	v_cndmask_b32_e64 v69, v69, v70, s[8:9]
	s_branch .LBB2063_540
.LBB2063_549:
	s_or_b64 exec, exec, s[22:23]
.LBB2063_550:
	s_or_b64 exec, exec, s[12:13]
	v_add_u32_e32 v52, v55, v31
	v_add_u32_e32 v31, v29, v53
	v_sub_u32_e32 v53, v31, v55
	v_cmp_le_u32_e64 s[8:9], v52, v29
	v_cmp_le_u32_e64 s[12:13], v53, v30
	s_or_b64 s[8:9], s[8:9], s[12:13]
	s_and_saveexec_b64 s[22:23], s[8:9]
	s_cbranch_execz .LBB2063_650
; %bb.551:
	v_cmp_ge_u32_e64 s[8:9], v52, v29
	v_cmp_lt_u32_e64 s[12:13], v52, v29
                                        ; implicit-def: $vgpr31
	s_and_saveexec_b64 s[24:25], s[12:13]
; %bb.552:
	v_lshl_add_u32 v4, v55, 1, v54
	ds_read_u16 v31, v4
; %bb.553:
	s_or_b64 exec, exec, s[24:25]
	v_cmp_ge_u32_e64 s[24:25], v53, v30
	v_cmp_lt_u32_e64 s[12:13], v53, v30
                                        ; implicit-def: $vgpr36
	s_and_saveexec_b64 s[26:27], s[12:13]
; %bb.554:
	v_lshl_add_u32 v4, v53, 1, v14
	ds_read_u16 v36, v4
; %bb.555:
	s_or_b64 exec, exec, s[26:27]
	s_nor_b64 s[8:9], s[8:9], s[24:25]
	s_and_saveexec_b64 s[12:13], s[8:9]
	s_cbranch_execz .LBB2063_565
; %bb.556:
	s_waitcnt lgkmcnt(0)
	v_lshlrev_b32_e32 v4, 16, v31
	v_add_f32_e32 v5, 0, v4
	s_mov_b32 s8, 0x7f800000
	v_and_b32_e32 v4, 0x7f800000, v5
	v_cmp_ne_u32_e64 s[8:9], s8, v4
                                        ; implicit-def: $vgpr4
	s_and_saveexec_b64 s[26:27], s[8:9]
	s_xor_b64 s[8:9], exec, s[26:27]
; %bb.557:
	v_bfe_u32 v4, v5, 16, 1
	s_movk_i32 s26, 0x7fff
	v_add3_u32 v4, v5, v4, s26
                                        ; implicit-def: $vgpr5
; %bb.558:
	s_andn2_saveexec_b64 s[26:27], s[8:9]
; %bb.559:
	v_mov_b32_e32 v4, 0
	v_or_b32_e32 v12, 0x10000, v5
	v_cmp_eq_u32_sdwa s[8:9], v5, v4 src0_sel:WORD_0 src1_sel:DWORD
	v_cndmask_b32_e64 v4, v12, v5, s[8:9]
; %bb.560:
	s_or_b64 exec, exec, s[26:27]
	v_lshlrev_b32_e32 v5, 16, v36
	v_add_f32_e32 v12, 0, v5
	s_mov_b32 s8, 0x7f800000
	v_and_b32_e32 v5, 0x7f800000, v12
	v_cmp_ne_u32_e64 s[8:9], s8, v5
                                        ; implicit-def: $vgpr5
	s_and_saveexec_b64 s[26:27], s[8:9]
	s_xor_b64 s[8:9], exec, s[26:27]
; %bb.561:
	v_bfe_u32 v5, v12, 16, 1
	s_movk_i32 s26, 0x7fff
	v_add3_u32 v5, v12, v5, s26
                                        ; implicit-def: $vgpr12
; %bb.562:
	s_andn2_saveexec_b64 s[26:27], s[8:9]
; %bb.563:
	v_mov_b32_e32 v5, 0
	v_or_b32_e32 v13, 0x10000, v12
	v_cmp_eq_u32_sdwa s[8:9], v12, v5 src0_sel:WORD_0 src1_sel:DWORD
	v_cndmask_b32_e64 v5, v13, v12, s[8:9]
; %bb.564:
	s_or_b64 exec, exec, s[26:27]
	s_mov_b32 s8, 0x7060302
	v_perm_b32 v12, v5, v4, s8
	v_mov_b32_e32 v13, 0xffff8000
	v_cmp_lt_i32_e64 s[8:9], -1, v4
	v_cndmask_b32_e64 v4, -1, v13, s[8:9]
	v_cmp_lt_i32_e64 s[8:9], -1, v5
	v_cndmask_b32_e64 v5, -1, v13, s[8:9]
	s_mov_b32 s8, 0x5040100
	v_perm_b32 v4, v5, v4, s8
	v_xor_b32_e32 v4, v4, v12
	v_cmp_le_u16_sdwa s[8:9], v4, v4 src0_sel:DWORD src1_sel:WORD_1
	s_andn2_b64 s[24:25], s[24:25], exec
	s_and_b64 s[8:9], s[8:9], exec
	s_or_b64 s[24:25], s[24:25], s[8:9]
.LBB2063_565:
	s_or_b64 exec, exec, s[12:13]
	v_cndmask_b32_e64 v4, v53, v52, s[24:25]
	v_cndmask_b32_e64 v5, v30, v29, s[24:25]
	v_add_u32_e32 v12, 1, v4
	v_add_u32_e32 v5, -1, v5
	v_min_u32_e32 v5, v12, v5
	v_lshl_add_u32 v5, v5, 1, v14
	ds_read_u16 v13, v5
	v_lshl_add_u32 v4, v4, 3, v8
	ds_read_b64 v[4:5], v4 offset:4096
	v_cndmask_b32_e64 v15, v12, v53, s[24:25]
	v_cndmask_b32_e64 v16, v52, v12, s[24:25]
	s_waitcnt lgkmcnt(1)
	v_cndmask_b32_e64 v37, v13, v36, s[24:25]
	v_cndmask_b32_e64 v48, v31, v13, s[24:25]
	v_cmp_lt_u32_e64 s[8:9], v15, v30
	s_mov_b64 s[26:27], -1
	s_mov_b64 s[12:13], -1
	s_and_saveexec_b64 s[28:29], s[8:9]
	s_cbranch_execz .LBB2063_577
; %bb.566:
	v_cmp_lt_u32_e64 s[8:9], v16, v29
	s_mov_b64 s[40:41], 0
	s_and_saveexec_b64 s[12:13], s[8:9]
	s_cbranch_execz .LBB2063_576
; %bb.567:
	v_lshlrev_b32_e32 v12, 16, v48
	v_add_f32_e32 v13, 0, v12
	s_mov_b32 s8, 0x7f800000
	v_and_b32_e32 v12, 0x7f800000, v13
	v_cmp_ne_u32_e64 s[8:9], s8, v12
                                        ; implicit-def: $vgpr12
	s_and_saveexec_b64 s[40:41], s[8:9]
	s_xor_b64 s[8:9], exec, s[40:41]
; %bb.568:
	v_bfe_u32 v12, v13, 16, 1
	s_movk_i32 s40, 0x7fff
	v_add3_u32 v12, v13, v12, s40
                                        ; implicit-def: $vgpr13
; %bb.569:
	s_andn2_saveexec_b64 s[40:41], s[8:9]
; %bb.570:
	v_mov_b32_e32 v12, 0
	v_or_b32_e32 v17, 0x10000, v13
	v_cmp_eq_u32_sdwa s[8:9], v13, v12 src0_sel:WORD_0 src1_sel:DWORD
	v_cndmask_b32_e64 v12, v17, v13, s[8:9]
; %bb.571:
	s_or_b64 exec, exec, s[40:41]
	v_lshlrev_b32_e32 v13, 16, v37
	v_add_f32_e32 v17, 0, v13
	s_mov_b32 s8, 0x7f800000
	v_and_b32_e32 v13, 0x7f800000, v17
	v_cmp_ne_u32_e64 s[8:9], s8, v13
                                        ; implicit-def: $vgpr13
	s_and_saveexec_b64 s[40:41], s[8:9]
	s_xor_b64 s[8:9], exec, s[40:41]
; %bb.572:
	v_bfe_u32 v13, v17, 16, 1
	s_movk_i32 s40, 0x7fff
	v_add3_u32 v13, v17, v13, s40
                                        ; implicit-def: $vgpr17
; %bb.573:
	s_andn2_saveexec_b64 s[40:41], s[8:9]
; %bb.574:
	v_mov_b32_e32 v13, 0
	v_or_b32_e32 v18, 0x10000, v17
	v_cmp_eq_u32_sdwa s[8:9], v17, v13 src0_sel:WORD_0 src1_sel:DWORD
	v_cndmask_b32_e64 v13, v18, v17, s[8:9]
; %bb.575:
	s_or_b64 exec, exec, s[40:41]
	s_mov_b32 s8, 0x7060302
	v_perm_b32 v17, v13, v12, s8
	v_mov_b32_e32 v18, 0xffff8000
	v_cmp_lt_i32_e64 s[8:9], -1, v12
	v_cndmask_b32_e64 v12, -1, v18, s[8:9]
	v_cmp_lt_i32_e64 s[8:9], -1, v13
	v_cndmask_b32_e64 v13, -1, v18, s[8:9]
	s_mov_b32 s8, 0x5040100
	v_perm_b32 v12, v13, v12, s8
	v_xor_b32_e32 v12, v12, v17
	v_cmp_le_u16_sdwa s[8:9], v12, v12 src0_sel:DWORD src1_sel:WORD_1
	s_and_b64 s[40:41], s[8:9], exec
.LBB2063_576:
	s_or_b64 exec, exec, s[12:13]
	s_orn2_b64 s[12:13], s[40:41], exec
.LBB2063_577:
	s_or_b64 exec, exec, s[28:29]
	v_cndmask_b32_e64 v12, v15, v16, s[12:13]
	v_cndmask_b32_e64 v13, v30, v29, s[12:13]
	v_add_u32_e32 v18, 1, v12
	v_add_u32_e32 v13, -1, v13
	v_min_u32_e32 v13, v18, v13
	v_lshl_add_u32 v13, v13, 1, v14
	ds_read_u16 v17, v13
	v_lshl_add_u32 v12, v12, 3, v8
	ds_read_b64 v[12:13], v12 offset:4096
	s_waitcnt lgkmcnt(1)
	v_cndmask_b32_e64 v49, v17, v37, s[12:13]
	v_cndmask_b32_e64 v52, v48, v17, s[12:13]
	;; [unrolled: 1-line block ×4, first 2 shown]
	v_cmp_lt_u32_e64 s[8:9], v17, v30
	s_and_saveexec_b64 s[28:29], s[8:9]
	s_cbranch_execz .LBB2063_589
; %bb.578:
	v_cmp_lt_u32_e64 s[8:9], v18, v29
	s_mov_b64 s[40:41], 0
	s_and_saveexec_b64 s[26:27], s[8:9]
	s_cbranch_execz .LBB2063_588
; %bb.579:
	v_lshlrev_b32_e32 v15, 16, v52
	v_add_f32_e32 v16, 0, v15
	s_mov_b32 s8, 0x7f800000
	v_and_b32_e32 v15, 0x7f800000, v16
	v_cmp_ne_u32_e64 s[8:9], s8, v15
                                        ; implicit-def: $vgpr15
	s_and_saveexec_b64 s[40:41], s[8:9]
	s_xor_b64 s[8:9], exec, s[40:41]
; %bb.580:
	v_bfe_u32 v15, v16, 16, 1
	s_movk_i32 s40, 0x7fff
	v_add3_u32 v15, v16, v15, s40
                                        ; implicit-def: $vgpr16
; %bb.581:
	s_andn2_saveexec_b64 s[40:41], s[8:9]
; %bb.582:
	v_mov_b32_e32 v15, 0
	v_or_b32_e32 v19, 0x10000, v16
	v_cmp_eq_u32_sdwa s[8:9], v16, v15 src0_sel:WORD_0 src1_sel:DWORD
	v_cndmask_b32_e64 v15, v19, v16, s[8:9]
; %bb.583:
	s_or_b64 exec, exec, s[40:41]
	v_lshlrev_b32_e32 v16, 16, v49
	v_add_f32_e32 v19, 0, v16
	s_mov_b32 s8, 0x7f800000
	v_and_b32_e32 v16, 0x7f800000, v19
	v_cmp_ne_u32_e64 s[8:9], s8, v16
                                        ; implicit-def: $vgpr16
	s_and_saveexec_b64 s[40:41], s[8:9]
	s_xor_b64 s[8:9], exec, s[40:41]
; %bb.584:
	v_bfe_u32 v16, v19, 16, 1
	s_movk_i32 s40, 0x7fff
	v_add3_u32 v16, v19, v16, s40
                                        ; implicit-def: $vgpr19
; %bb.585:
	s_andn2_saveexec_b64 s[40:41], s[8:9]
; %bb.586:
	v_mov_b32_e32 v16, 0
	v_or_b32_e32 v20, 0x10000, v19
	v_cmp_eq_u32_sdwa s[8:9], v19, v16 src0_sel:WORD_0 src1_sel:DWORD
	v_cndmask_b32_e64 v16, v20, v19, s[8:9]
; %bb.587:
	s_or_b64 exec, exec, s[40:41]
	s_mov_b32 s8, 0x7060302
	v_perm_b32 v19, v16, v15, s8
	v_mov_b32_e32 v20, 0xffff8000
	v_cmp_lt_i32_e64 s[8:9], -1, v15
	v_cndmask_b32_e64 v15, -1, v20, s[8:9]
	v_cmp_lt_i32_e64 s[8:9], -1, v16
	v_cndmask_b32_e64 v16, -1, v20, s[8:9]
	s_mov_b32 s8, 0x5040100
	v_perm_b32 v15, v16, v15, s8
	v_xor_b32_e32 v15, v15, v19
	v_cmp_le_u16_sdwa s[8:9], v15, v15 src0_sel:DWORD src1_sel:WORD_1
	s_and_b64 s[40:41], s[8:9], exec
.LBB2063_588:
	s_or_b64 exec, exec, s[26:27]
	s_orn2_b64 s[26:27], s[40:41], exec
.LBB2063_589:
	s_or_b64 exec, exec, s[28:29]
	v_cndmask_b32_e64 v15, v17, v18, s[26:27]
	v_cndmask_b32_e64 v16, v30, v29, s[26:27]
	v_add_u32_e32 v20, 1, v15
	v_add_u32_e32 v16, -1, v16
	v_min_u32_e32 v16, v20, v16
	v_lshl_add_u32 v16, v16, 1, v14
	ds_read_u16 v19, v16
	v_lshl_add_u32 v15, v15, 3, v8
	ds_read_b64 v[15:16], v15 offset:4096
	s_mov_b64 s[40:41], -1
	s_mov_b64 s[28:29], -1
	s_waitcnt lgkmcnt(1)
	v_cndmask_b32_e64 v25, v19, v49, s[26:27]
	v_cndmask_b32_e64 v26, v52, v19, s[26:27]
	;; [unrolled: 1-line block ×4, first 2 shown]
	v_cmp_lt_u32_e64 s[8:9], v19, v30
	s_and_saveexec_b64 s[42:43], s[8:9]
	s_cbranch_execz .LBB2063_601
; %bb.590:
	v_cmp_lt_u32_e64 s[8:9], v20, v29
	s_mov_b64 s[44:45], 0
	s_and_saveexec_b64 s[28:29], s[8:9]
	s_cbranch_execz .LBB2063_600
; %bb.591:
	v_lshlrev_b32_e32 v17, 16, v26
	v_add_f32_e32 v18, 0, v17
	s_mov_b32 s8, 0x7f800000
	v_and_b32_e32 v17, 0x7f800000, v18
	v_cmp_ne_u32_e64 s[8:9], s8, v17
                                        ; implicit-def: $vgpr17
	s_and_saveexec_b64 s[44:45], s[8:9]
	s_xor_b64 s[8:9], exec, s[44:45]
; %bb.592:
	v_bfe_u32 v17, v18, 16, 1
	s_movk_i32 s44, 0x7fff
	v_add3_u32 v17, v18, v17, s44
                                        ; implicit-def: $vgpr18
; %bb.593:
	s_andn2_saveexec_b64 s[44:45], s[8:9]
; %bb.594:
	v_mov_b32_e32 v17, 0
	v_or_b32_e32 v21, 0x10000, v18
	v_cmp_eq_u32_sdwa s[8:9], v18, v17 src0_sel:WORD_0 src1_sel:DWORD
	v_cndmask_b32_e64 v17, v21, v18, s[8:9]
; %bb.595:
	s_or_b64 exec, exec, s[44:45]
	v_lshlrev_b32_e32 v18, 16, v25
	v_add_f32_e32 v21, 0, v18
	s_mov_b32 s8, 0x7f800000
	v_and_b32_e32 v18, 0x7f800000, v21
	v_cmp_ne_u32_e64 s[8:9], s8, v18
                                        ; implicit-def: $vgpr18
	s_and_saveexec_b64 s[44:45], s[8:9]
	s_xor_b64 s[8:9], exec, s[44:45]
; %bb.596:
	v_bfe_u32 v18, v21, 16, 1
	s_movk_i32 s44, 0x7fff
	v_add3_u32 v18, v21, v18, s44
                                        ; implicit-def: $vgpr21
; %bb.597:
	s_andn2_saveexec_b64 s[44:45], s[8:9]
; %bb.598:
	v_mov_b32_e32 v18, 0
	v_or_b32_e32 v22, 0x10000, v21
	v_cmp_eq_u32_sdwa s[8:9], v21, v18 src0_sel:WORD_0 src1_sel:DWORD
	v_cndmask_b32_e64 v18, v22, v21, s[8:9]
; %bb.599:
	s_or_b64 exec, exec, s[44:45]
	s_mov_b32 s8, 0x7060302
	v_perm_b32 v21, v18, v17, s8
	v_mov_b32_e32 v22, 0xffff8000
	v_cmp_lt_i32_e64 s[8:9], -1, v17
	v_cndmask_b32_e64 v17, -1, v22, s[8:9]
	v_cmp_lt_i32_e64 s[8:9], -1, v18
	v_cndmask_b32_e64 v18, -1, v22, s[8:9]
	s_mov_b32 s8, 0x5040100
	v_perm_b32 v17, v18, v17, s8
	v_xor_b32_e32 v17, v17, v21
	v_cmp_le_u16_sdwa s[8:9], v17, v17 src0_sel:DWORD src1_sel:WORD_1
	s_and_b64 s[44:45], s[8:9], exec
.LBB2063_600:
	s_or_b64 exec, exec, s[28:29]
	s_orn2_b64 s[28:29], s[44:45], exec
.LBB2063_601:
	s_or_b64 exec, exec, s[42:43]
	v_cndmask_b32_e64 v17, v19, v20, s[28:29]
	v_cndmask_b32_e64 v18, v30, v29, s[28:29]
	v_add_u32_e32 v22, 1, v17
	v_add_u32_e32 v18, -1, v18
	v_min_u32_e32 v18, v22, v18
	v_lshl_add_u32 v18, v18, 1, v14
	ds_read_u16 v21, v18
	v_lshl_add_u32 v17, v17, 3, v8
	ds_read_b64 v[17:18], v17 offset:4096
	s_waitcnt lgkmcnt(1)
	v_cndmask_b32_e64 v39, v21, v25, s[28:29]
	v_cndmask_b32_e64 v51, v26, v21, s[28:29]
	;; [unrolled: 1-line block ×4, first 2 shown]
	v_cmp_lt_u32_e64 s[8:9], v21, v30
	s_and_saveexec_b64 s[42:43], s[8:9]
	s_cbranch_execz .LBB2063_613
; %bb.602:
	v_cmp_lt_u32_e64 s[8:9], v22, v29
	s_mov_b64 s[44:45], 0
	s_and_saveexec_b64 s[40:41], s[8:9]
	s_cbranch_execz .LBB2063_612
; %bb.603:
	v_lshlrev_b32_e32 v19, 16, v51
	v_add_f32_e32 v20, 0, v19
	s_mov_b32 s8, 0x7f800000
	v_and_b32_e32 v19, 0x7f800000, v20
	v_cmp_ne_u32_e64 s[8:9], s8, v19
                                        ; implicit-def: $vgpr19
	s_and_saveexec_b64 s[44:45], s[8:9]
	s_xor_b64 s[8:9], exec, s[44:45]
; %bb.604:
	v_bfe_u32 v19, v20, 16, 1
	s_movk_i32 s44, 0x7fff
	v_add3_u32 v19, v20, v19, s44
                                        ; implicit-def: $vgpr20
; %bb.605:
	s_andn2_saveexec_b64 s[44:45], s[8:9]
; %bb.606:
	v_mov_b32_e32 v19, 0
	v_or_b32_e32 v23, 0x10000, v20
	v_cmp_eq_u32_sdwa s[8:9], v20, v19 src0_sel:WORD_0 src1_sel:DWORD
	v_cndmask_b32_e64 v19, v23, v20, s[8:9]
; %bb.607:
	s_or_b64 exec, exec, s[44:45]
	v_lshlrev_b32_e32 v20, 16, v39
	v_add_f32_e32 v23, 0, v20
	s_mov_b32 s8, 0x7f800000
	v_and_b32_e32 v20, 0x7f800000, v23
	v_cmp_ne_u32_e64 s[8:9], s8, v20
                                        ; implicit-def: $vgpr20
	s_and_saveexec_b64 s[44:45], s[8:9]
	s_xor_b64 s[8:9], exec, s[44:45]
; %bb.608:
	v_bfe_u32 v20, v23, 16, 1
	s_movk_i32 s44, 0x7fff
	v_add3_u32 v20, v23, v20, s44
                                        ; implicit-def: $vgpr23
; %bb.609:
	s_andn2_saveexec_b64 s[44:45], s[8:9]
; %bb.610:
	v_mov_b32_e32 v20, 0
	v_or_b32_e32 v24, 0x10000, v23
	v_cmp_eq_u32_sdwa s[8:9], v23, v20 src0_sel:WORD_0 src1_sel:DWORD
	v_cndmask_b32_e64 v20, v24, v23, s[8:9]
; %bb.611:
	s_or_b64 exec, exec, s[44:45]
	s_mov_b32 s8, 0x7060302
	v_perm_b32 v23, v20, v19, s8
	v_mov_b32_e32 v24, 0xffff8000
	v_cmp_lt_i32_e64 s[8:9], -1, v19
	v_cndmask_b32_e64 v19, -1, v24, s[8:9]
	v_cmp_lt_i32_e64 s[8:9], -1, v20
	v_cndmask_b32_e64 v20, -1, v24, s[8:9]
	s_mov_b32 s8, 0x5040100
	v_perm_b32 v19, v20, v19, s8
	v_xor_b32_e32 v19, v19, v23
	v_cmp_le_u16_sdwa s[8:9], v19, v19 src0_sel:DWORD src1_sel:WORD_1
	s_and_b64 s[44:45], s[8:9], exec
.LBB2063_612:
	s_or_b64 exec, exec, s[40:41]
	s_orn2_b64 s[40:41], s[44:45], exec
.LBB2063_613:
	s_or_b64 exec, exec, s[42:43]
	v_cndmask_b32_e64 v19, v21, v22, s[40:41]
	v_cndmask_b32_e64 v20, v30, v29, s[40:41]
	v_add_u32_e32 v23, 1, v19
	v_add_u32_e32 v20, -1, v20
	v_min_u32_e32 v20, v23, v20
	v_lshl_add_u32 v20, v20, 1, v14
	ds_read_u16 v24, v20
	v_lshl_add_u32 v19, v19, 3, v8
	ds_read_b64 v[19:20], v19 offset:4096
	v_cndmask_b32_e64 v21, v23, v21, s[40:41]
	v_cndmask_b32_e64 v22, v22, v23, s[40:41]
	s_waitcnt lgkmcnt(1)
	v_cndmask_b32_e64 v38, v24, v39, s[40:41]
	v_cndmask_b32_e64 v53, v51, v24, s[40:41]
	v_cmp_lt_u32_e64 s[8:9], v21, v30
	s_mov_b64 s[44:45], -1
	s_mov_b64 s[42:43], -1
	s_and_saveexec_b64 s[46:47], s[8:9]
	s_cbranch_execz .LBB2063_625
; %bb.614:
	v_cmp_lt_u32_e64 s[8:9], v22, v29
	s_mov_b64 s[56:57], 0
	s_and_saveexec_b64 s[42:43], s[8:9]
	s_cbranch_execz .LBB2063_624
; %bb.615:
	v_lshlrev_b32_e32 v23, 16, v53
	v_add_f32_e32 v24, 0, v23
	s_mov_b32 s8, 0x7f800000
	v_and_b32_e32 v23, 0x7f800000, v24
	v_cmp_ne_u32_e64 s[8:9], s8, v23
                                        ; implicit-def: $vgpr23
	s_and_saveexec_b64 s[56:57], s[8:9]
	s_xor_b64 s[8:9], exec, s[56:57]
; %bb.616:
	v_bfe_u32 v23, v24, 16, 1
	s_movk_i32 s56, 0x7fff
	v_add3_u32 v23, v24, v23, s56
                                        ; implicit-def: $vgpr24
; %bb.617:
	s_andn2_saveexec_b64 s[56:57], s[8:9]
; %bb.618:
	v_mov_b32_e32 v23, 0
	v_or_b32_e32 v50, 0x10000, v24
	v_cmp_eq_u32_sdwa s[8:9], v24, v23 src0_sel:WORD_0 src1_sel:DWORD
	v_cndmask_b32_e64 v23, v50, v24, s[8:9]
; %bb.619:
	s_or_b64 exec, exec, s[56:57]
	v_lshlrev_b32_e32 v24, 16, v38
	v_add_f32_e32 v50, 0, v24
	s_mov_b32 s8, 0x7f800000
	v_and_b32_e32 v24, 0x7f800000, v50
	v_cmp_ne_u32_e64 s[8:9], s8, v24
                                        ; implicit-def: $vgpr24
	s_and_saveexec_b64 s[56:57], s[8:9]
	s_xor_b64 s[8:9], exec, s[56:57]
; %bb.620:
	v_bfe_u32 v24, v50, 16, 1
	s_movk_i32 s56, 0x7fff
	v_add3_u32 v24, v50, v24, s56
                                        ; implicit-def: $vgpr50
; %bb.621:
	s_andn2_saveexec_b64 s[56:57], s[8:9]
; %bb.622:
	v_mov_b32_e32 v24, 0
	v_or_b32_e32 v54, 0x10000, v50
	v_cmp_eq_u32_sdwa s[8:9], v50, v24 src0_sel:WORD_0 src1_sel:DWORD
	v_cndmask_b32_e64 v24, v54, v50, s[8:9]
; %bb.623:
	s_or_b64 exec, exec, s[56:57]
	s_mov_b32 s8, 0x7060302
	v_perm_b32 v50, v24, v23, s8
	v_mov_b32_e32 v54, 0xffff8000
	v_cmp_lt_i32_e64 s[8:9], -1, v23
	v_cndmask_b32_e64 v23, -1, v54, s[8:9]
	v_cmp_lt_i32_e64 s[8:9], -1, v24
	v_cndmask_b32_e64 v24, -1, v54, s[8:9]
	s_mov_b32 s8, 0x5040100
	v_perm_b32 v23, v24, v23, s8
	v_xor_b32_e32 v23, v23, v50
	v_cmp_le_u16_sdwa s[8:9], v23, v23 src0_sel:DWORD src1_sel:WORD_1
	s_and_b64 s[56:57], s[8:9], exec
.LBB2063_624:
	s_or_b64 exec, exec, s[42:43]
	s_orn2_b64 s[42:43], s[56:57], exec
.LBB2063_625:
	s_or_b64 exec, exec, s[46:47]
	v_cndmask_b32_e64 v23, v21, v22, s[42:43]
	v_cndmask_b32_e64 v24, v30, v29, s[42:43]
	v_add_u32_e32 v55, 1, v23
	v_add_u32_e32 v24, -1, v24
	v_min_u32_e32 v24, v55, v24
	v_lshl_add_u32 v24, v24, 1, v14
	ds_read_u16 v54, v24
	v_lshl_add_u32 v23, v23, 3, v8
	ds_read_b64 v[23:24], v23 offset:4096
	v_cndmask_b32_e64 v65, v55, v21, s[42:43]
	v_cndmask_b32_e64 v66, v22, v55, s[42:43]
	s_waitcnt lgkmcnt(1)
	v_cndmask_b32_e64 v50, v54, v38, s[42:43]
	v_cndmask_b32_e64 v54, v53, v54, s[42:43]
	v_cmp_lt_u32_e64 s[8:9], v65, v30
	s_and_saveexec_b64 s[46:47], s[8:9]
	s_cbranch_execz .LBB2063_637
; %bb.626:
	v_cmp_lt_u32_e64 s[8:9], v66, v29
	s_mov_b64 s[56:57], 0
	s_and_saveexec_b64 s[44:45], s[8:9]
	s_cbranch_execz .LBB2063_636
; %bb.627:
	v_lshlrev_b32_e32 v21, 16, v54
	v_add_f32_e32 v22, 0, v21
	s_mov_b32 s8, 0x7f800000
	v_and_b32_e32 v21, 0x7f800000, v22
	v_cmp_ne_u32_e64 s[8:9], s8, v21
                                        ; implicit-def: $vgpr21
	s_and_saveexec_b64 s[56:57], s[8:9]
	s_xor_b64 s[8:9], exec, s[56:57]
; %bb.628:
	v_bfe_u32 v21, v22, 16, 1
	s_movk_i32 s56, 0x7fff
	v_add3_u32 v21, v22, v21, s56
                                        ; implicit-def: $vgpr22
; %bb.629:
	s_andn2_saveexec_b64 s[56:57], s[8:9]
; %bb.630:
	v_mov_b32_e32 v21, 0
	v_or_b32_e32 v55, 0x10000, v22
	v_cmp_eq_u32_sdwa s[8:9], v22, v21 src0_sel:WORD_0 src1_sel:DWORD
	v_cndmask_b32_e64 v21, v55, v22, s[8:9]
; %bb.631:
	s_or_b64 exec, exec, s[56:57]
	v_lshlrev_b32_e32 v22, 16, v50
	v_add_f32_e32 v55, 0, v22
	s_mov_b32 s8, 0x7f800000
	v_and_b32_e32 v22, 0x7f800000, v55
	v_cmp_ne_u32_e64 s[8:9], s8, v22
                                        ; implicit-def: $vgpr22
	s_and_saveexec_b64 s[56:57], s[8:9]
	s_xor_b64 s[8:9], exec, s[56:57]
; %bb.632:
	v_bfe_u32 v22, v55, 16, 1
	s_movk_i32 s56, 0x7fff
	v_add3_u32 v22, v55, v22, s56
                                        ; implicit-def: $vgpr55
; %bb.633:
	s_andn2_saveexec_b64 s[56:57], s[8:9]
; %bb.634:
	v_mov_b32_e32 v22, 0
	v_or_b32_e32 v64, 0x10000, v55
	v_cmp_eq_u32_sdwa s[8:9], v55, v22 src0_sel:WORD_0 src1_sel:DWORD
	v_cndmask_b32_e64 v22, v64, v55, s[8:9]
; %bb.635:
	s_or_b64 exec, exec, s[56:57]
	s_mov_b32 s8, 0x7060302
	v_perm_b32 v55, v22, v21, s8
	v_mov_b32_e32 v64, 0xffff8000
	v_cmp_lt_i32_e64 s[8:9], -1, v21
	v_cndmask_b32_e64 v21, -1, v64, s[8:9]
	v_cmp_lt_i32_e64 s[8:9], -1, v22
	v_cndmask_b32_e64 v22, -1, v64, s[8:9]
	s_mov_b32 s8, 0x5040100
	v_perm_b32 v21, v22, v21, s8
	v_xor_b32_e32 v21, v21, v55
	v_cmp_le_u16_sdwa s[8:9], v21, v21 src0_sel:DWORD src1_sel:WORD_1
	s_and_b64 s[56:57], s[8:9], exec
.LBB2063_636:
	s_or_b64 exec, exec, s[44:45]
	s_orn2_b64 s[44:45], s[56:57], exec
.LBB2063_637:
	s_or_b64 exec, exec, s[46:47]
	v_cndmask_b32_e64 v21, v65, v66, s[44:45]
	v_cndmask_b32_e64 v22, v30, v29, s[44:45]
	v_add_u32_e32 v67, 1, v21
	v_add_u32_e32 v22, -1, v22
	v_min_u32_e32 v22, v67, v22
	v_lshl_add_u32 v22, v22, 1, v14
	ds_read_u16 v64, v22
	v_lshl_add_u32 v21, v21, 3, v8
	ds_read_b64 v[21:22], v21 offset:4096
	v_cndmask_b32_e64 v65, v67, v65, s[44:45]
	v_cndmask_b32_e64 v66, v66, v67, s[44:45]
	s_waitcnt lgkmcnt(1)
	v_cndmask_b32_e64 v55, v64, v50, s[44:45]
	v_cndmask_b32_e64 v64, v54, v64, s[44:45]
	v_cmp_lt_u32_e64 s[8:9], v65, v30
	s_mov_b64 s[56:57], -1
	s_and_saveexec_b64 s[46:47], s[8:9]
	s_cbranch_execz .LBB2063_649
; %bb.638:
	v_cmp_lt_u32_e64 s[8:9], v66, v29
	s_mov_b64 s[58:59], 0
	s_and_saveexec_b64 s[56:57], s[8:9]
	s_cbranch_execz .LBB2063_648
; %bb.639:
	v_lshlrev_b32_e32 v29, 16, v64
	v_add_f32_e32 v30, 0, v29
	s_mov_b32 s8, 0x7f800000
	v_and_b32_e32 v29, 0x7f800000, v30
	v_cmp_ne_u32_e64 s[8:9], s8, v29
                                        ; implicit-def: $vgpr29
	s_and_saveexec_b64 s[58:59], s[8:9]
	s_xor_b64 s[8:9], exec, s[58:59]
; %bb.640:
	v_bfe_u32 v29, v30, 16, 1
	s_movk_i32 s58, 0x7fff
	v_add3_u32 v29, v30, v29, s58
                                        ; implicit-def: $vgpr30
; %bb.641:
	s_andn2_saveexec_b64 s[58:59], s[8:9]
; %bb.642:
	v_mov_b32_e32 v29, 0
	v_or_b32_e32 v67, 0x10000, v30
	v_cmp_eq_u32_sdwa s[8:9], v30, v29 src0_sel:WORD_0 src1_sel:DWORD
	v_cndmask_b32_e64 v29, v67, v30, s[8:9]
; %bb.643:
	s_or_b64 exec, exec, s[58:59]
	v_lshlrev_b32_e32 v30, 16, v55
	v_add_f32_e32 v67, 0, v30
	s_mov_b32 s8, 0x7f800000
	v_and_b32_e32 v30, 0x7f800000, v67
	v_cmp_ne_u32_e64 s[8:9], s8, v30
                                        ; implicit-def: $vgpr30
	s_and_saveexec_b64 s[58:59], s[8:9]
	s_xor_b64 s[8:9], exec, s[58:59]
; %bb.644:
	v_bfe_u32 v30, v67, 16, 1
	s_movk_i32 s58, 0x7fff
	v_add3_u32 v30, v67, v30, s58
                                        ; implicit-def: $vgpr67
; %bb.645:
	s_andn2_saveexec_b64 s[58:59], s[8:9]
; %bb.646:
	v_mov_b32_e32 v30, 0
	v_or_b32_e32 v68, 0x10000, v67
	v_cmp_eq_u32_sdwa s[8:9], v67, v30 src0_sel:WORD_0 src1_sel:DWORD
	v_cndmask_b32_e64 v30, v68, v67, s[8:9]
; %bb.647:
	s_or_b64 exec, exec, s[58:59]
	s_mov_b32 s8, 0x7060302
	v_perm_b32 v67, v30, v29, s8
	v_mov_b32_e32 v68, 0xffff8000
	v_cmp_lt_i32_e64 s[8:9], -1, v29
	v_cndmask_b32_e64 v29, -1, v68, s[8:9]
	v_cmp_lt_i32_e64 s[8:9], -1, v30
	v_cndmask_b32_e64 v30, -1, v68, s[8:9]
	s_mov_b32 s8, 0x5040100
	v_perm_b32 v29, v30, v29, s8
	v_xor_b32_e32 v29, v29, v67
	v_cmp_le_u16_sdwa s[8:9], v29, v29 src0_sel:DWORD src1_sel:WORD_1
	s_and_b64 s[58:59], s[8:9], exec
.LBB2063_648:
	s_or_b64 exec, exec, s[56:57]
	s_orn2_b64 s[56:57], s[58:59], exec
.LBB2063_649:
	s_or_b64 exec, exec, s[46:47]
	v_cndmask_b32_e64 v39, v39, v51, s[40:41]
	v_cndmask_b32_e64 v51, v25, v26, s[28:29]
	;; [unrolled: 1-line block ×3, first 2 shown]
	v_lshl_add_u32 v25, v25, 3, v8
	ds_read_b64 v[25:26], v25 offset:4096
	v_cndmask_b32_e64 v50, v50, v54, s[44:45]
	v_cndmask_b32_e64 v38, v38, v53, s[42:43]
	;; [unrolled: 1-line block ×6, first 2 shown]
.LBB2063_650:
	s_or_b64 exec, exec, s[22:23]
	v_add_u32_e32 v29, 0x1000, v28
	; wave barrier
	ds_write2_b64 v29, v[4:5], v[12:13] offset1:1
	v_add_u32_e32 v29, 0x1010, v28
	ds_write2_b64 v29, v[15:16], v[17:18] offset1:1
	v_add_u32_e32 v29, 0x1020, v28
	s_mov_b32 s8, 0x5040100
	ds_write2_b64 v29, v[19:20], v[23:24] offset1:1
	v_add_u32_e32 v52, 0x1030, v28
	v_perm_b32 v29, v37, v50, s8
	v_perm_b32 v28, v38, v39, s8
	;; [unrolled: 1-line block ×4, first 2 shown]
	ds_write2_b64 v27, v[30:31], v[28:29] offset1:1
	s_waitcnt lgkmcnt(4)
	ds_write2_b64 v52, v[21:22], v[25:26] offset1:1
	v_and_b32_e32 v31, 0x380, v35
	v_or_b32_e32 v27, 64, v31
	v_min_u32_e32 v27, v9, v27
	v_add_u32_e32 v28, 64, v27
	v_min_u32_e32 v28, v9, v28
	v_min_u32_e32 v9, v9, v34
	v_sub_u32_e32 v34, v27, v31
	v_sub_u32_e32 v30, v28, v27
	v_sub_u32_e64 v30, v9, v30 clamp
	v_min_u32_e32 v34, v9, v34
	v_lshl_add_u32 v29, v31, 1, v14
	v_cmp_lt_u32_e64 s[8:9], v30, v34
	; wave barrier
	s_and_saveexec_b64 s[12:13], s[8:9]
	s_cbranch_execz .LBB2063_662
; %bb.651:
	v_lshlrev_b32_e32 v35, 1, v27
	v_lshlrev_b32_e32 v52, 1, v9
	v_add3_u32 v35, v14, v35, v52
	s_mov_b64 s[22:23], 0
	s_mov_b32 s26, 0x7f800000
	s_movk_i32 s27, 0x7fff
	v_mov_b32_e32 v52, 0
	v_mov_b32_e32 v53, 0xffff8000
	s_branch .LBB2063_653
.LBB2063_652:                           ;   in Loop: Header=BB2063_653 Depth=1
	s_or_b64 exec, exec, s[24:25]
	v_cmp_lt_i32_e64 s[8:9], -1, v55
	v_cndmask_b32_e64 v65, -1, v53, s[8:9]
	v_cmp_lt_i32_e64 s[8:9], -1, v64
	v_xor_b32_sdwa v55, v65, v55 dst_sel:DWORD dst_unused:UNUSED_PAD src0_sel:DWORD src1_sel:WORD_1
	v_cndmask_b32_e64 v65, -1, v53, s[8:9]
	v_xor_b32_sdwa v64, v65, v64 dst_sel:DWORD dst_unused:UNUSED_PAD src0_sel:DWORD src1_sel:WORD_1
	v_add_u32_e32 v65, 1, v54
	v_cmp_gt_u16_e64 s[8:9], v55, v64
	v_cndmask_b32_e64 v34, v34, v54, s[8:9]
	v_cndmask_b32_e64 v30, v65, v30, s[8:9]
	v_cmp_ge_u32_e64 s[8:9], v30, v34
	s_or_b64 s[22:23], s[8:9], s[22:23]
	s_andn2_b64 exec, exec, s[22:23]
	s_cbranch_execz .LBB2063_661
.LBB2063_653:                           ; =>This Inner Loop Header: Depth=1
	v_add_u32_e32 v54, v34, v30
	v_and_b32_e32 v55, -2, v54
	v_add_u32_e32 v55, v29, v55
	ds_read_u16 v55, v55
	v_lshrrev_b32_e32 v54, 1, v54
	v_not_b32_e32 v64, v54
	v_lshl_add_u32 v64, v64, 1, v35
	ds_read_u16 v64, v64
	s_waitcnt lgkmcnt(1)
	v_lshlrev_b32_e32 v55, 16, v55
	v_add_f32_e32 v65, 0, v55
	v_and_b32_e32 v55, 0x7f800000, v65
	v_cmp_ne_u32_e64 s[8:9], s26, v55
                                        ; implicit-def: $vgpr55
	s_and_saveexec_b64 s[24:25], s[8:9]
	s_xor_b64 s[8:9], exec, s[24:25]
; %bb.654:                              ;   in Loop: Header=BB2063_653 Depth=1
	v_bfe_u32 v55, v65, 16, 1
	v_add3_u32 v55, v65, v55, s27
                                        ; implicit-def: $vgpr65
; %bb.655:                              ;   in Loop: Header=BB2063_653 Depth=1
	s_andn2_saveexec_b64 s[24:25], s[8:9]
; %bb.656:                              ;   in Loop: Header=BB2063_653 Depth=1
	v_or_b32_e32 v55, 0x10000, v65
	v_cmp_eq_u32_sdwa s[8:9], v65, v52 src0_sel:WORD_0 src1_sel:DWORD
	v_cndmask_b32_e64 v55, v55, v65, s[8:9]
; %bb.657:                              ;   in Loop: Header=BB2063_653 Depth=1
	s_or_b64 exec, exec, s[24:25]
	s_waitcnt lgkmcnt(0)
	v_lshlrev_b32_e32 v64, 16, v64
	v_add_f32_e32 v65, 0, v64
	v_and_b32_e32 v64, 0x7f800000, v65
	v_cmp_ne_u32_e64 s[8:9], s26, v64
                                        ; implicit-def: $vgpr64
	s_and_saveexec_b64 s[24:25], s[8:9]
	s_xor_b64 s[8:9], exec, s[24:25]
; %bb.658:                              ;   in Loop: Header=BB2063_653 Depth=1
	v_bfe_u32 v64, v65, 16, 1
	v_add3_u32 v64, v65, v64, s27
                                        ; implicit-def: $vgpr65
; %bb.659:                              ;   in Loop: Header=BB2063_653 Depth=1
	s_andn2_saveexec_b64 s[24:25], s[8:9]
	s_cbranch_execz .LBB2063_652
; %bb.660:                              ;   in Loop: Header=BB2063_653 Depth=1
	v_or_b32_e32 v64, 0x10000, v65
	v_cmp_eq_u32_sdwa s[8:9], v65, v52 src0_sel:WORD_0 src1_sel:DWORD
	v_cndmask_b32_e64 v64, v64, v65, s[8:9]
	s_branch .LBB2063_652
.LBB2063_661:
	s_or_b64 exec, exec, s[22:23]
.LBB2063_662:
	s_or_b64 exec, exec, s[12:13]
	v_add_u32_e32 v9, v27, v9
	v_add_u32_e32 v34, v30, v31
	v_sub_u32_e32 v35, v9, v30
	v_cmp_le_u32_e64 s[8:9], v34, v27
	v_cmp_le_u32_e64 s[12:13], v35, v28
	s_or_b64 s[8:9], s[8:9], s[12:13]
	s_and_saveexec_b64 s[22:23], s[8:9]
	s_cbranch_execz .LBB2063_762
; %bb.663:
	v_cmp_ge_u32_e64 s[8:9], v34, v27
	v_cmp_lt_u32_e64 s[12:13], v34, v27
                                        ; implicit-def: $vgpr9
	s_and_saveexec_b64 s[24:25], s[12:13]
; %bb.664:
	v_lshl_add_u32 v4, v30, 1, v29
	ds_read_u16 v9, v4
; %bb.665:
	s_or_b64 exec, exec, s[24:25]
	v_cmp_ge_u32_e64 s[24:25], v35, v28
	v_cmp_lt_u32_e64 s[12:13], v35, v28
                                        ; implicit-def: $vgpr29
	s_and_saveexec_b64 s[26:27], s[12:13]
; %bb.666:
	v_lshl_add_u32 v4, v35, 1, v14
	ds_read_u16 v29, v4
; %bb.667:
	s_or_b64 exec, exec, s[26:27]
	s_nor_b64 s[8:9], s[8:9], s[24:25]
	s_and_saveexec_b64 s[12:13], s[8:9]
	s_cbranch_execz .LBB2063_677
; %bb.668:
	s_waitcnt lgkmcnt(0)
	v_lshlrev_b32_e32 v4, 16, v9
	v_add_f32_e32 v5, 0, v4
	s_mov_b32 s8, 0x7f800000
	v_and_b32_e32 v4, 0x7f800000, v5
	v_cmp_ne_u32_e64 s[8:9], s8, v4
                                        ; implicit-def: $vgpr4
	s_and_saveexec_b64 s[26:27], s[8:9]
	s_xor_b64 s[8:9], exec, s[26:27]
; %bb.669:
	v_bfe_u32 v4, v5, 16, 1
	s_movk_i32 s26, 0x7fff
	v_add3_u32 v4, v5, v4, s26
                                        ; implicit-def: $vgpr5
; %bb.670:
	s_andn2_saveexec_b64 s[26:27], s[8:9]
; %bb.671:
	v_mov_b32_e32 v4, 0
	v_or_b32_e32 v12, 0x10000, v5
	v_cmp_eq_u32_sdwa s[8:9], v5, v4 src0_sel:WORD_0 src1_sel:DWORD
	v_cndmask_b32_e64 v4, v12, v5, s[8:9]
; %bb.672:
	s_or_b64 exec, exec, s[26:27]
	v_lshlrev_b32_e32 v5, 16, v29
	v_add_f32_e32 v12, 0, v5
	s_mov_b32 s8, 0x7f800000
	v_and_b32_e32 v5, 0x7f800000, v12
	v_cmp_ne_u32_e64 s[8:9], s8, v5
                                        ; implicit-def: $vgpr5
	s_and_saveexec_b64 s[26:27], s[8:9]
	s_xor_b64 s[8:9], exec, s[26:27]
; %bb.673:
	v_bfe_u32 v5, v12, 16, 1
	s_movk_i32 s26, 0x7fff
	v_add3_u32 v5, v12, v5, s26
                                        ; implicit-def: $vgpr12
; %bb.674:
	s_andn2_saveexec_b64 s[26:27], s[8:9]
; %bb.675:
	v_mov_b32_e32 v5, 0
	v_or_b32_e32 v13, 0x10000, v12
	v_cmp_eq_u32_sdwa s[8:9], v12, v5 src0_sel:WORD_0 src1_sel:DWORD
	v_cndmask_b32_e64 v5, v13, v12, s[8:9]
; %bb.676:
	s_or_b64 exec, exec, s[26:27]
	s_mov_b32 s8, 0x7060302
	v_perm_b32 v12, v5, v4, s8
	v_mov_b32_e32 v13, 0xffff8000
	v_cmp_lt_i32_e64 s[8:9], -1, v4
	v_cndmask_b32_e64 v4, -1, v13, s[8:9]
	v_cmp_lt_i32_e64 s[8:9], -1, v5
	v_cndmask_b32_e64 v5, -1, v13, s[8:9]
	s_mov_b32 s8, 0x5040100
	v_perm_b32 v4, v5, v4, s8
	v_xor_b32_e32 v4, v4, v12
	v_cmp_le_u16_sdwa s[8:9], v4, v4 src0_sel:DWORD src1_sel:WORD_1
	s_andn2_b64 s[24:25], s[24:25], exec
	s_and_b64 s[8:9], s[8:9], exec
	s_or_b64 s[24:25], s[24:25], s[8:9]
.LBB2063_677:
	s_or_b64 exec, exec, s[12:13]
	v_cndmask_b32_e64 v4, v35, v34, s[24:25]
	v_cndmask_b32_e64 v5, v28, v27, s[24:25]
	v_add_u32_e32 v12, 1, v4
	v_add_u32_e32 v5, -1, v5
	v_min_u32_e32 v5, v12, v5
	v_lshl_add_u32 v5, v5, 1, v14
	ds_read_u16 v13, v5
	v_lshl_add_u32 v4, v4, 3, v8
	ds_read_b64 v[4:5], v4 offset:4096
	v_cndmask_b32_e64 v15, v12, v35, s[24:25]
	v_cndmask_b32_e64 v16, v34, v12, s[24:25]
	s_waitcnt lgkmcnt(1)
	v_cndmask_b32_e64 v30, v13, v29, s[24:25]
	v_cndmask_b32_e64 v31, v9, v13, s[24:25]
	v_cmp_lt_u32_e64 s[8:9], v15, v28
	s_mov_b64 s[26:27], -1
	s_mov_b64 s[12:13], -1
	s_and_saveexec_b64 s[28:29], s[8:9]
	s_cbranch_execz .LBB2063_689
; %bb.678:
	v_cmp_lt_u32_e64 s[8:9], v16, v27
	s_mov_b64 s[40:41], 0
	s_and_saveexec_b64 s[12:13], s[8:9]
	s_cbranch_execz .LBB2063_688
; %bb.679:
	v_lshlrev_b32_e32 v12, 16, v31
	v_add_f32_e32 v13, 0, v12
	s_mov_b32 s8, 0x7f800000
	v_and_b32_e32 v12, 0x7f800000, v13
	v_cmp_ne_u32_e64 s[8:9], s8, v12
                                        ; implicit-def: $vgpr12
	s_and_saveexec_b64 s[40:41], s[8:9]
	s_xor_b64 s[8:9], exec, s[40:41]
; %bb.680:
	v_bfe_u32 v12, v13, 16, 1
	s_movk_i32 s40, 0x7fff
	v_add3_u32 v12, v13, v12, s40
                                        ; implicit-def: $vgpr13
; %bb.681:
	s_andn2_saveexec_b64 s[40:41], s[8:9]
; %bb.682:
	v_mov_b32_e32 v12, 0
	v_or_b32_e32 v17, 0x10000, v13
	v_cmp_eq_u32_sdwa s[8:9], v13, v12 src0_sel:WORD_0 src1_sel:DWORD
	v_cndmask_b32_e64 v12, v17, v13, s[8:9]
; %bb.683:
	s_or_b64 exec, exec, s[40:41]
	v_lshlrev_b32_e32 v13, 16, v30
	v_add_f32_e32 v17, 0, v13
	s_mov_b32 s8, 0x7f800000
	v_and_b32_e32 v13, 0x7f800000, v17
	v_cmp_ne_u32_e64 s[8:9], s8, v13
                                        ; implicit-def: $vgpr13
	s_and_saveexec_b64 s[40:41], s[8:9]
	s_xor_b64 s[8:9], exec, s[40:41]
; %bb.684:
	v_bfe_u32 v13, v17, 16, 1
	s_movk_i32 s40, 0x7fff
	v_add3_u32 v13, v17, v13, s40
                                        ; implicit-def: $vgpr17
; %bb.685:
	s_andn2_saveexec_b64 s[40:41], s[8:9]
; %bb.686:
	v_mov_b32_e32 v13, 0
	v_or_b32_e32 v18, 0x10000, v17
	v_cmp_eq_u32_sdwa s[8:9], v17, v13 src0_sel:WORD_0 src1_sel:DWORD
	v_cndmask_b32_e64 v13, v18, v17, s[8:9]
; %bb.687:
	s_or_b64 exec, exec, s[40:41]
	s_mov_b32 s8, 0x7060302
	v_perm_b32 v17, v13, v12, s8
	v_mov_b32_e32 v18, 0xffff8000
	v_cmp_lt_i32_e64 s[8:9], -1, v12
	v_cndmask_b32_e64 v12, -1, v18, s[8:9]
	v_cmp_lt_i32_e64 s[8:9], -1, v13
	v_cndmask_b32_e64 v13, -1, v18, s[8:9]
	s_mov_b32 s8, 0x5040100
	v_perm_b32 v12, v13, v12, s8
	v_xor_b32_e32 v12, v12, v17
	v_cmp_le_u16_sdwa s[8:9], v12, v12 src0_sel:DWORD src1_sel:WORD_1
	s_and_b64 s[40:41], s[8:9], exec
.LBB2063_688:
	s_or_b64 exec, exec, s[12:13]
	s_orn2_b64 s[12:13], s[40:41], exec
.LBB2063_689:
	s_or_b64 exec, exec, s[28:29]
	v_cndmask_b32_e64 v12, v15, v16, s[12:13]
	v_cndmask_b32_e64 v13, v28, v27, s[12:13]
	v_add_u32_e32 v18, 1, v12
	v_add_u32_e32 v13, -1, v13
	v_min_u32_e32 v13, v18, v13
	v_lshl_add_u32 v13, v13, 1, v14
	ds_read_u16 v17, v13
	v_lshl_add_u32 v12, v12, 3, v8
	ds_read_b64 v[12:13], v12 offset:4096
	s_waitcnt lgkmcnt(1)
	v_cndmask_b32_e64 v34, v17, v30, s[12:13]
	v_cndmask_b32_e64 v35, v31, v17, s[12:13]
	;; [unrolled: 1-line block ×4, first 2 shown]
	v_cmp_lt_u32_e64 s[8:9], v17, v28
	s_and_saveexec_b64 s[28:29], s[8:9]
	s_cbranch_execz .LBB2063_701
; %bb.690:
	v_cmp_lt_u32_e64 s[8:9], v18, v27
	s_mov_b64 s[40:41], 0
	s_and_saveexec_b64 s[26:27], s[8:9]
	s_cbranch_execz .LBB2063_700
; %bb.691:
	v_lshlrev_b32_e32 v15, 16, v35
	v_add_f32_e32 v16, 0, v15
	s_mov_b32 s8, 0x7f800000
	v_and_b32_e32 v15, 0x7f800000, v16
	v_cmp_ne_u32_e64 s[8:9], s8, v15
                                        ; implicit-def: $vgpr15
	s_and_saveexec_b64 s[40:41], s[8:9]
	s_xor_b64 s[8:9], exec, s[40:41]
; %bb.692:
	v_bfe_u32 v15, v16, 16, 1
	s_movk_i32 s40, 0x7fff
	v_add3_u32 v15, v16, v15, s40
                                        ; implicit-def: $vgpr16
; %bb.693:
	s_andn2_saveexec_b64 s[40:41], s[8:9]
; %bb.694:
	v_mov_b32_e32 v15, 0
	v_or_b32_e32 v19, 0x10000, v16
	v_cmp_eq_u32_sdwa s[8:9], v16, v15 src0_sel:WORD_0 src1_sel:DWORD
	v_cndmask_b32_e64 v15, v19, v16, s[8:9]
; %bb.695:
	s_or_b64 exec, exec, s[40:41]
	v_lshlrev_b32_e32 v16, 16, v34
	v_add_f32_e32 v19, 0, v16
	s_mov_b32 s8, 0x7f800000
	v_and_b32_e32 v16, 0x7f800000, v19
	v_cmp_ne_u32_e64 s[8:9], s8, v16
                                        ; implicit-def: $vgpr16
	s_and_saveexec_b64 s[40:41], s[8:9]
	s_xor_b64 s[8:9], exec, s[40:41]
; %bb.696:
	v_bfe_u32 v16, v19, 16, 1
	s_movk_i32 s40, 0x7fff
	v_add3_u32 v16, v19, v16, s40
                                        ; implicit-def: $vgpr19
; %bb.697:
	s_andn2_saveexec_b64 s[40:41], s[8:9]
; %bb.698:
	v_mov_b32_e32 v16, 0
	v_or_b32_e32 v20, 0x10000, v19
	v_cmp_eq_u32_sdwa s[8:9], v19, v16 src0_sel:WORD_0 src1_sel:DWORD
	v_cndmask_b32_e64 v16, v20, v19, s[8:9]
; %bb.699:
	s_or_b64 exec, exec, s[40:41]
	s_mov_b32 s8, 0x7060302
	v_perm_b32 v19, v16, v15, s8
	v_mov_b32_e32 v20, 0xffff8000
	v_cmp_lt_i32_e64 s[8:9], -1, v15
	v_cndmask_b32_e64 v15, -1, v20, s[8:9]
	v_cmp_lt_i32_e64 s[8:9], -1, v16
	v_cndmask_b32_e64 v16, -1, v20, s[8:9]
	s_mov_b32 s8, 0x5040100
	v_perm_b32 v15, v16, v15, s8
	v_xor_b32_e32 v15, v15, v19
	v_cmp_le_u16_sdwa s[8:9], v15, v15 src0_sel:DWORD src1_sel:WORD_1
	s_and_b64 s[40:41], s[8:9], exec
.LBB2063_700:
	s_or_b64 exec, exec, s[26:27]
	s_orn2_b64 s[26:27], s[40:41], exec
.LBB2063_701:
	s_or_b64 exec, exec, s[28:29]
	v_cndmask_b32_e64 v15, v17, v18, s[26:27]
	v_cndmask_b32_e64 v16, v28, v27, s[26:27]
	v_add_u32_e32 v20, 1, v15
	v_add_u32_e32 v16, -1, v16
	v_min_u32_e32 v16, v20, v16
	v_lshl_add_u32 v16, v16, 1, v14
	ds_read_u16 v19, v16
	v_lshl_add_u32 v15, v15, 3, v8
	ds_read_b64 v[15:16], v15 offset:4096
	s_mov_b64 s[40:41], -1
	s_mov_b64 s[28:29], -1
	s_waitcnt lgkmcnt(1)
	v_cndmask_b32_e64 v25, v19, v34, s[26:27]
	v_cndmask_b32_e64 v26, v35, v19, s[26:27]
	;; [unrolled: 1-line block ×4, first 2 shown]
	v_cmp_lt_u32_e64 s[8:9], v19, v28
	s_and_saveexec_b64 s[42:43], s[8:9]
	s_cbranch_execz .LBB2063_713
; %bb.702:
	v_cmp_lt_u32_e64 s[8:9], v20, v27
	s_mov_b64 s[44:45], 0
	s_and_saveexec_b64 s[28:29], s[8:9]
	s_cbranch_execz .LBB2063_712
; %bb.703:
	v_lshlrev_b32_e32 v17, 16, v26
	v_add_f32_e32 v18, 0, v17
	s_mov_b32 s8, 0x7f800000
	v_and_b32_e32 v17, 0x7f800000, v18
	v_cmp_ne_u32_e64 s[8:9], s8, v17
                                        ; implicit-def: $vgpr17
	s_and_saveexec_b64 s[44:45], s[8:9]
	s_xor_b64 s[8:9], exec, s[44:45]
; %bb.704:
	v_bfe_u32 v17, v18, 16, 1
	s_movk_i32 s44, 0x7fff
	v_add3_u32 v17, v18, v17, s44
                                        ; implicit-def: $vgpr18
; %bb.705:
	s_andn2_saveexec_b64 s[44:45], s[8:9]
; %bb.706:
	v_mov_b32_e32 v17, 0
	v_or_b32_e32 v21, 0x10000, v18
	v_cmp_eq_u32_sdwa s[8:9], v18, v17 src0_sel:WORD_0 src1_sel:DWORD
	v_cndmask_b32_e64 v17, v21, v18, s[8:9]
; %bb.707:
	s_or_b64 exec, exec, s[44:45]
	v_lshlrev_b32_e32 v18, 16, v25
	v_add_f32_e32 v21, 0, v18
	s_mov_b32 s8, 0x7f800000
	v_and_b32_e32 v18, 0x7f800000, v21
	v_cmp_ne_u32_e64 s[8:9], s8, v18
                                        ; implicit-def: $vgpr18
	s_and_saveexec_b64 s[44:45], s[8:9]
	s_xor_b64 s[8:9], exec, s[44:45]
; %bb.708:
	v_bfe_u32 v18, v21, 16, 1
	s_movk_i32 s44, 0x7fff
	v_add3_u32 v18, v21, v18, s44
                                        ; implicit-def: $vgpr21
; %bb.709:
	s_andn2_saveexec_b64 s[44:45], s[8:9]
; %bb.710:
	v_mov_b32_e32 v18, 0
	v_or_b32_e32 v22, 0x10000, v21
	v_cmp_eq_u32_sdwa s[8:9], v21, v18 src0_sel:WORD_0 src1_sel:DWORD
	v_cndmask_b32_e64 v18, v22, v21, s[8:9]
; %bb.711:
	s_or_b64 exec, exec, s[44:45]
	s_mov_b32 s8, 0x7060302
	v_perm_b32 v21, v18, v17, s8
	v_mov_b32_e32 v22, 0xffff8000
	v_cmp_lt_i32_e64 s[8:9], -1, v17
	v_cndmask_b32_e64 v17, -1, v22, s[8:9]
	v_cmp_lt_i32_e64 s[8:9], -1, v18
	v_cndmask_b32_e64 v18, -1, v22, s[8:9]
	s_mov_b32 s8, 0x5040100
	v_perm_b32 v17, v18, v17, s8
	v_xor_b32_e32 v17, v17, v21
	v_cmp_le_u16_sdwa s[8:9], v17, v17 src0_sel:DWORD src1_sel:WORD_1
	s_and_b64 s[44:45], s[8:9], exec
.LBB2063_712:
	s_or_b64 exec, exec, s[28:29]
	s_orn2_b64 s[28:29], s[44:45], exec
.LBB2063_713:
	s_or_b64 exec, exec, s[42:43]
	v_cndmask_b32_e64 v17, v19, v20, s[28:29]
	v_cndmask_b32_e64 v18, v28, v27, s[28:29]
	v_add_u32_e32 v22, 1, v17
	v_add_u32_e32 v18, -1, v18
	v_min_u32_e32 v18, v22, v18
	v_lshl_add_u32 v18, v18, 1, v14
	ds_read_u16 v21, v18
	v_lshl_add_u32 v17, v17, 3, v8
	ds_read_b64 v[17:18], v17 offset:4096
	s_waitcnt lgkmcnt(1)
	v_cndmask_b32_e64 v36, v21, v25, s[28:29]
	v_cndmask_b32_e64 v37, v26, v21, s[28:29]
	;; [unrolled: 1-line block ×4, first 2 shown]
	v_cmp_lt_u32_e64 s[8:9], v21, v28
	s_and_saveexec_b64 s[42:43], s[8:9]
	s_cbranch_execz .LBB2063_725
; %bb.714:
	v_cmp_lt_u32_e64 s[8:9], v22, v27
	s_mov_b64 s[44:45], 0
	s_and_saveexec_b64 s[40:41], s[8:9]
	s_cbranch_execz .LBB2063_724
; %bb.715:
	v_lshlrev_b32_e32 v19, 16, v37
	v_add_f32_e32 v20, 0, v19
	s_mov_b32 s8, 0x7f800000
	v_and_b32_e32 v19, 0x7f800000, v20
	v_cmp_ne_u32_e64 s[8:9], s8, v19
                                        ; implicit-def: $vgpr19
	s_and_saveexec_b64 s[44:45], s[8:9]
	s_xor_b64 s[8:9], exec, s[44:45]
; %bb.716:
	v_bfe_u32 v19, v20, 16, 1
	s_movk_i32 s44, 0x7fff
	v_add3_u32 v19, v20, v19, s44
                                        ; implicit-def: $vgpr20
; %bb.717:
	s_andn2_saveexec_b64 s[44:45], s[8:9]
; %bb.718:
	v_mov_b32_e32 v19, 0
	v_or_b32_e32 v23, 0x10000, v20
	v_cmp_eq_u32_sdwa s[8:9], v20, v19 src0_sel:WORD_0 src1_sel:DWORD
	v_cndmask_b32_e64 v19, v23, v20, s[8:9]
; %bb.719:
	s_or_b64 exec, exec, s[44:45]
	v_lshlrev_b32_e32 v20, 16, v36
	v_add_f32_e32 v23, 0, v20
	s_mov_b32 s8, 0x7f800000
	v_and_b32_e32 v20, 0x7f800000, v23
	v_cmp_ne_u32_e64 s[8:9], s8, v20
                                        ; implicit-def: $vgpr20
	s_and_saveexec_b64 s[44:45], s[8:9]
	s_xor_b64 s[8:9], exec, s[44:45]
; %bb.720:
	v_bfe_u32 v20, v23, 16, 1
	s_movk_i32 s44, 0x7fff
	v_add3_u32 v20, v23, v20, s44
                                        ; implicit-def: $vgpr23
; %bb.721:
	s_andn2_saveexec_b64 s[44:45], s[8:9]
; %bb.722:
	v_mov_b32_e32 v20, 0
	v_or_b32_e32 v24, 0x10000, v23
	v_cmp_eq_u32_sdwa s[8:9], v23, v20 src0_sel:WORD_0 src1_sel:DWORD
	v_cndmask_b32_e64 v20, v24, v23, s[8:9]
; %bb.723:
	s_or_b64 exec, exec, s[44:45]
	s_mov_b32 s8, 0x7060302
	v_perm_b32 v23, v20, v19, s8
	v_mov_b32_e32 v24, 0xffff8000
	v_cmp_lt_i32_e64 s[8:9], -1, v19
	v_cndmask_b32_e64 v19, -1, v24, s[8:9]
	v_cmp_lt_i32_e64 s[8:9], -1, v20
	v_cndmask_b32_e64 v20, -1, v24, s[8:9]
	s_mov_b32 s8, 0x5040100
	v_perm_b32 v19, v20, v19, s8
	v_xor_b32_e32 v19, v19, v23
	v_cmp_le_u16_sdwa s[8:9], v19, v19 src0_sel:DWORD src1_sel:WORD_1
	s_and_b64 s[44:45], s[8:9], exec
.LBB2063_724:
	s_or_b64 exec, exec, s[40:41]
	s_orn2_b64 s[40:41], s[44:45], exec
.LBB2063_725:
	s_or_b64 exec, exec, s[42:43]
	v_cndmask_b32_e64 v19, v21, v22, s[40:41]
	v_cndmask_b32_e64 v20, v28, v27, s[40:41]
	v_add_u32_e32 v23, 1, v19
	v_add_u32_e32 v20, -1, v20
	v_min_u32_e32 v20, v23, v20
	v_lshl_add_u32 v20, v20, 1, v14
	ds_read_u16 v24, v20
	v_lshl_add_u32 v19, v19, 3, v8
	ds_read_b64 v[19:20], v19 offset:4096
	v_cndmask_b32_e64 v21, v23, v21, s[40:41]
	v_cndmask_b32_e64 v22, v22, v23, s[40:41]
	s_waitcnt lgkmcnt(1)
	v_cndmask_b32_e64 v38, v24, v36, s[40:41]
	v_cndmask_b32_e64 v39, v37, v24, s[40:41]
	v_cmp_lt_u32_e64 s[8:9], v21, v28
	s_mov_b64 s[44:45], -1
	s_mov_b64 s[42:43], -1
	s_and_saveexec_b64 s[46:47], s[8:9]
	s_cbranch_execz .LBB2063_737
; %bb.726:
	v_cmp_lt_u32_e64 s[8:9], v22, v27
	s_mov_b64 s[56:57], 0
	s_and_saveexec_b64 s[42:43], s[8:9]
	s_cbranch_execz .LBB2063_736
; %bb.727:
	v_lshlrev_b32_e32 v23, 16, v39
	v_add_f32_e32 v24, 0, v23
	s_mov_b32 s8, 0x7f800000
	v_and_b32_e32 v23, 0x7f800000, v24
	v_cmp_ne_u32_e64 s[8:9], s8, v23
                                        ; implicit-def: $vgpr23
	s_and_saveexec_b64 s[56:57], s[8:9]
	s_xor_b64 s[8:9], exec, s[56:57]
; %bb.728:
	v_bfe_u32 v23, v24, 16, 1
	s_movk_i32 s56, 0x7fff
	v_add3_u32 v23, v24, v23, s56
                                        ; implicit-def: $vgpr24
; %bb.729:
	s_andn2_saveexec_b64 s[56:57], s[8:9]
; %bb.730:
	v_mov_b32_e32 v23, 0
	v_or_b32_e32 v48, 0x10000, v24
	v_cmp_eq_u32_sdwa s[8:9], v24, v23 src0_sel:WORD_0 src1_sel:DWORD
	v_cndmask_b32_e64 v23, v48, v24, s[8:9]
; %bb.731:
	s_or_b64 exec, exec, s[56:57]
	v_lshlrev_b32_e32 v24, 16, v38
	v_add_f32_e32 v48, 0, v24
	s_mov_b32 s8, 0x7f800000
	v_and_b32_e32 v24, 0x7f800000, v48
	v_cmp_ne_u32_e64 s[8:9], s8, v24
                                        ; implicit-def: $vgpr24
	s_and_saveexec_b64 s[56:57], s[8:9]
	s_xor_b64 s[8:9], exec, s[56:57]
; %bb.732:
	v_bfe_u32 v24, v48, 16, 1
	s_movk_i32 s56, 0x7fff
	v_add3_u32 v24, v48, v24, s56
                                        ; implicit-def: $vgpr48
; %bb.733:
	s_andn2_saveexec_b64 s[56:57], s[8:9]
; %bb.734:
	v_mov_b32_e32 v24, 0
	v_or_b32_e32 v49, 0x10000, v48
	v_cmp_eq_u32_sdwa s[8:9], v48, v24 src0_sel:WORD_0 src1_sel:DWORD
	v_cndmask_b32_e64 v24, v49, v48, s[8:9]
; %bb.735:
	s_or_b64 exec, exec, s[56:57]
	s_mov_b32 s8, 0x7060302
	v_perm_b32 v48, v24, v23, s8
	v_mov_b32_e32 v49, 0xffff8000
	v_cmp_lt_i32_e64 s[8:9], -1, v23
	v_cndmask_b32_e64 v23, -1, v49, s[8:9]
	v_cmp_lt_i32_e64 s[8:9], -1, v24
	v_cndmask_b32_e64 v24, -1, v49, s[8:9]
	s_mov_b32 s8, 0x5040100
	v_perm_b32 v23, v24, v23, s8
	v_xor_b32_e32 v23, v23, v48
	v_cmp_le_u16_sdwa s[8:9], v23, v23 src0_sel:DWORD src1_sel:WORD_1
	s_and_b64 s[56:57], s[8:9], exec
.LBB2063_736:
	s_or_b64 exec, exec, s[42:43]
	s_orn2_b64 s[42:43], s[56:57], exec
.LBB2063_737:
	s_or_b64 exec, exec, s[46:47]
	v_cndmask_b32_e64 v23, v21, v22, s[42:43]
	v_cndmask_b32_e64 v24, v28, v27, s[42:43]
	v_add_u32_e32 v51, 1, v23
	v_add_u32_e32 v24, -1, v24
	v_min_u32_e32 v24, v51, v24
	v_lshl_add_u32 v24, v24, 1, v14
	ds_read_u16 v49, v24
	v_lshl_add_u32 v23, v23, 3, v8
	ds_read_b64 v[23:24], v23 offset:4096
	v_cndmask_b32_e64 v50, v51, v21, s[42:43]
	v_cndmask_b32_e64 v51, v22, v51, s[42:43]
	s_waitcnt lgkmcnt(1)
	v_cndmask_b32_e64 v48, v49, v38, s[42:43]
	v_cndmask_b32_e64 v49, v39, v49, s[42:43]
	v_cmp_lt_u32_e64 s[8:9], v50, v28
	s_and_saveexec_b64 s[46:47], s[8:9]
	s_cbranch_execz .LBB2063_749
; %bb.738:
	v_cmp_lt_u32_e64 s[8:9], v51, v27
	s_mov_b64 s[56:57], 0
	s_and_saveexec_b64 s[44:45], s[8:9]
	s_cbranch_execz .LBB2063_748
; %bb.739:
	v_lshlrev_b32_e32 v21, 16, v49
	v_add_f32_e32 v22, 0, v21
	s_mov_b32 s8, 0x7f800000
	v_and_b32_e32 v21, 0x7f800000, v22
	v_cmp_ne_u32_e64 s[8:9], s8, v21
                                        ; implicit-def: $vgpr21
	s_and_saveexec_b64 s[56:57], s[8:9]
	s_xor_b64 s[8:9], exec, s[56:57]
; %bb.740:
	v_bfe_u32 v21, v22, 16, 1
	s_movk_i32 s56, 0x7fff
	v_add3_u32 v21, v22, v21, s56
                                        ; implicit-def: $vgpr22
; %bb.741:
	s_andn2_saveexec_b64 s[56:57], s[8:9]
; %bb.742:
	v_mov_b32_e32 v21, 0
	v_or_b32_e32 v52, 0x10000, v22
	v_cmp_eq_u32_sdwa s[8:9], v22, v21 src0_sel:WORD_0 src1_sel:DWORD
	v_cndmask_b32_e64 v21, v52, v22, s[8:9]
; %bb.743:
	s_or_b64 exec, exec, s[56:57]
	v_lshlrev_b32_e32 v22, 16, v48
	v_add_f32_e32 v52, 0, v22
	s_mov_b32 s8, 0x7f800000
	v_and_b32_e32 v22, 0x7f800000, v52
	v_cmp_ne_u32_e64 s[8:9], s8, v22
                                        ; implicit-def: $vgpr22
	s_and_saveexec_b64 s[56:57], s[8:9]
	s_xor_b64 s[8:9], exec, s[56:57]
; %bb.744:
	v_bfe_u32 v22, v52, 16, 1
	s_movk_i32 s56, 0x7fff
	v_add3_u32 v22, v52, v22, s56
                                        ; implicit-def: $vgpr52
; %bb.745:
	s_andn2_saveexec_b64 s[56:57], s[8:9]
; %bb.746:
	v_mov_b32_e32 v22, 0
	v_or_b32_e32 v53, 0x10000, v52
	v_cmp_eq_u32_sdwa s[8:9], v52, v22 src0_sel:WORD_0 src1_sel:DWORD
	v_cndmask_b32_e64 v22, v53, v52, s[8:9]
; %bb.747:
	s_or_b64 exec, exec, s[56:57]
	s_mov_b32 s8, 0x7060302
	v_perm_b32 v52, v22, v21, s8
	v_mov_b32_e32 v53, 0xffff8000
	v_cmp_lt_i32_e64 s[8:9], -1, v21
	v_cndmask_b32_e64 v21, -1, v53, s[8:9]
	v_cmp_lt_i32_e64 s[8:9], -1, v22
	v_cndmask_b32_e64 v22, -1, v53, s[8:9]
	s_mov_b32 s8, 0x5040100
	v_perm_b32 v21, v22, v21, s8
	v_xor_b32_e32 v21, v21, v52
	v_cmp_le_u16_sdwa s[8:9], v21, v21 src0_sel:DWORD src1_sel:WORD_1
	s_and_b64 s[56:57], s[8:9], exec
.LBB2063_748:
	s_or_b64 exec, exec, s[44:45]
	s_orn2_b64 s[44:45], s[56:57], exec
.LBB2063_749:
	s_or_b64 exec, exec, s[46:47]
	v_cndmask_b32_e64 v21, v50, v51, s[44:45]
	v_cndmask_b32_e64 v22, v28, v27, s[44:45]
	v_add_u32_e32 v54, 1, v21
	v_add_u32_e32 v22, -1, v22
	v_min_u32_e32 v22, v54, v22
	v_lshl_add_u32 v14, v22, 1, v14
	ds_read_u16 v52, v14
	v_lshl_add_u32 v14, v21, 3, v8
	ds_read_b64 v[21:22], v14 offset:4096
	v_cndmask_b32_e64 v53, v54, v50, s[44:45]
	v_cndmask_b32_e64 v54, v51, v54, s[44:45]
	s_waitcnt lgkmcnt(1)
	v_cndmask_b32_e64 v14, v52, v48, s[44:45]
	v_cndmask_b32_e64 v52, v49, v52, s[44:45]
	v_cmp_lt_u32_e64 s[8:9], v53, v28
	s_mov_b64 s[56:57], -1
	s_and_saveexec_b64 s[46:47], s[8:9]
	s_cbranch_execz .LBB2063_761
; %bb.750:
	v_cmp_lt_u32_e64 s[8:9], v54, v27
	s_mov_b64 s[58:59], 0
	s_and_saveexec_b64 s[56:57], s[8:9]
	s_cbranch_execz .LBB2063_760
; %bb.751:
	v_lshlrev_b32_e32 v27, 16, v52
	v_add_f32_e32 v28, 0, v27
	s_mov_b32 s8, 0x7f800000
	v_and_b32_e32 v27, 0x7f800000, v28
	v_cmp_ne_u32_e64 s[8:9], s8, v27
                                        ; implicit-def: $vgpr27
	s_and_saveexec_b64 s[58:59], s[8:9]
	s_xor_b64 s[8:9], exec, s[58:59]
; %bb.752:
	v_bfe_u32 v27, v28, 16, 1
	s_movk_i32 s58, 0x7fff
	v_add3_u32 v27, v28, v27, s58
                                        ; implicit-def: $vgpr28
; %bb.753:
	s_andn2_saveexec_b64 s[58:59], s[8:9]
; %bb.754:
	v_mov_b32_e32 v27, 0
	v_or_b32_e32 v50, 0x10000, v28
	v_cmp_eq_u32_sdwa s[8:9], v28, v27 src0_sel:WORD_0 src1_sel:DWORD
	v_cndmask_b32_e64 v27, v50, v28, s[8:9]
; %bb.755:
	s_or_b64 exec, exec, s[58:59]
	v_lshlrev_b32_e32 v28, 16, v14
	v_add_f32_e32 v50, 0, v28
	s_mov_b32 s8, 0x7f800000
	v_and_b32_e32 v28, 0x7f800000, v50
	v_cmp_ne_u32_e64 s[8:9], s8, v28
                                        ; implicit-def: $vgpr28
	s_and_saveexec_b64 s[58:59], s[8:9]
	s_xor_b64 s[8:9], exec, s[58:59]
; %bb.756:
	v_bfe_u32 v28, v50, 16, 1
	s_movk_i32 s58, 0x7fff
	v_add3_u32 v28, v50, v28, s58
                                        ; implicit-def: $vgpr50
; %bb.757:
	s_andn2_saveexec_b64 s[58:59], s[8:9]
; %bb.758:
	v_mov_b32_e32 v28, 0
	v_or_b32_e32 v51, 0x10000, v50
	v_cmp_eq_u32_sdwa s[8:9], v50, v28 src0_sel:WORD_0 src1_sel:DWORD
	v_cndmask_b32_e64 v28, v51, v50, s[8:9]
; %bb.759:
	s_or_b64 exec, exec, s[58:59]
	s_mov_b32 s8, 0x7060302
	v_perm_b32 v50, v28, v27, s8
	v_mov_b32_e32 v51, 0xffff8000
	v_cmp_lt_i32_e64 s[8:9], -1, v27
	v_cndmask_b32_e64 v27, -1, v51, s[8:9]
	v_cmp_lt_i32_e64 s[8:9], -1, v28
	v_cndmask_b32_e64 v28, -1, v51, s[8:9]
	s_mov_b32 s8, 0x5040100
	v_perm_b32 v27, v28, v27, s8
	v_xor_b32_e32 v27, v27, v50
	v_cmp_le_u16_sdwa s[8:9], v27, v27 src0_sel:DWORD src1_sel:WORD_1
	s_and_b64 s[58:59], s[8:9], exec
.LBB2063_760:
	s_or_b64 exec, exec, s[56:57]
	s_orn2_b64 s[56:57], s[58:59], exec
.LBB2063_761:
	s_or_b64 exec, exec, s[46:47]
	v_cndmask_b32_e64 v51, v25, v26, s[28:29]
	v_cndmask_b32_e64 v25, v53, v54, s[56:57]
	v_lshl_add_u32 v8, v25, 3, v8
	ds_read_b64 v[25:26], v8 offset:4096
	v_cndmask_b32_e64 v50, v48, v49, s[44:45]
	v_cndmask_b32_e64 v38, v38, v39, s[42:43]
	v_cndmask_b32_e64 v39, v36, v37, s[40:41]
	v_cndmask_b32_e64 v49, v34, v35, s[26:27]
	v_cndmask_b32_e64 v48, v30, v31, s[12:13]
	v_cndmask_b32_e64 v36, v29, v9, s[24:25]
	v_cndmask_b32_e64 v37, v14, v52, s[56:57]
.LBB2063_762:
	s_or_b64 exec, exec, s[22:23]
	v_add_co_u32_e64 v2, s[8:9], v2, v10
	v_addc_co_u32_e64 v3, s[8:9], v3, v11, s[8:9]
	v_add_co_u32_e64 v2, s[8:9], v2, v32
	v_addc_co_u32_e64 v3, s[8:9], 0, v3, s[8:9]
	; wave barrier
	s_waitcnt lgkmcnt(0)
	s_barrier
	; wave barrier
	s_and_saveexec_b64 s[8:9], vcc
	s_cbranch_execnz .LBB2063_780
; %bb.763:
	s_or_b64 exec, exec, s[8:9]
	s_and_saveexec_b64 s[8:9], s[4:5]
	s_cbranch_execnz .LBB2063_781
.LBB2063_764:
	s_or_b64 exec, exec, s[8:9]
	s_and_saveexec_b64 s[8:9], s[6:7]
	s_cbranch_execnz .LBB2063_782
.LBB2063_765:
	s_or_b64 exec, exec, s[8:9]
	s_and_saveexec_b64 s[8:9], s[18:19]
	s_cbranch_execnz .LBB2063_783
.LBB2063_766:
	s_or_b64 exec, exec, s[8:9]
	s_and_saveexec_b64 s[8:9], s[10:11]
	s_cbranch_execnz .LBB2063_784
.LBB2063_767:
	s_or_b64 exec, exec, s[8:9]
	s_and_saveexec_b64 s[8:9], s[20:21]
	s_cbranch_execnz .LBB2063_785
.LBB2063_768:
	s_or_b64 exec, exec, s[8:9]
	s_and_saveexec_b64 s[8:9], s[14:15]
	s_cbranch_execnz .LBB2063_786
.LBB2063_769:
	s_or_b64 exec, exec, s[8:9]
	s_and_saveexec_b64 s[8:9], s[16:17]
	s_cbranch_execz .LBB2063_771
.LBB2063_770:
	flat_store_short v[2:3], v37 offset:14
.LBB2063_771:
	s_or_b64 exec, exec, s[8:9]
	v_add_co_u32_e64 v0, s[8:9], v6, v0
	v_addc_co_u32_e64 v1, s[8:9], v7, v1, s[8:9]
	v_add_co_u32_e64 v0, s[8:9], v0, v33
	v_addc_co_u32_e64 v1, s[8:9], 0, v1, s[8:9]
	; wave barrier
	s_and_saveexec_b64 s[8:9], vcc
	s_cbranch_execnz .LBB2063_787
; %bb.772:
	s_or_b64 exec, exec, s[8:9]
	s_and_saveexec_b64 s[8:9], s[4:5]
	s_cbranch_execnz .LBB2063_788
.LBB2063_773:
	s_or_b64 exec, exec, s[8:9]
	s_and_saveexec_b64 s[4:5], s[6:7]
	s_cbranch_execnz .LBB2063_789
.LBB2063_774:
	s_or_b64 exec, exec, s[4:5]
	s_and_saveexec_b64 s[4:5], s[18:19]
	s_cbranch_execnz .LBB2063_790
.LBB2063_775:
	s_or_b64 exec, exec, s[4:5]
	s_and_saveexec_b64 s[4:5], s[10:11]
	s_cbranch_execnz .LBB2063_791
.LBB2063_776:
	s_or_b64 exec, exec, s[4:5]
	s_and_saveexec_b64 s[4:5], s[20:21]
	s_cbranch_execnz .LBB2063_792
.LBB2063_777:
	s_or_b64 exec, exec, s[4:5]
	s_and_saveexec_b64 s[4:5], s[14:15]
	s_cbranch_execnz .LBB2063_793
.LBB2063_778:
	s_or_b64 exec, exec, s[4:5]
	s_and_saveexec_b64 s[4:5], s[16:17]
	s_cbranch_execnz .LBB2063_794
.LBB2063_779:
	s_or_b64 exec, exec, s[4:5]
	s_waitcnt vmcnt(0) lgkmcnt(0)
	s_setpc_b64 s[30:31]
.LBB2063_780:
	flat_store_short v[2:3], v36
	s_or_b64 exec, exec, s[8:9]
	s_and_saveexec_b64 s[8:9], s[4:5]
	s_cbranch_execz .LBB2063_764
.LBB2063_781:
	flat_store_short v[2:3], v48 offset:2
	s_or_b64 exec, exec, s[8:9]
	s_and_saveexec_b64 s[8:9], s[6:7]
	s_cbranch_execz .LBB2063_765
.LBB2063_782:
	flat_store_short v[2:3], v49 offset:4
	s_or_b64 exec, exec, s[8:9]
	s_and_saveexec_b64 s[8:9], s[18:19]
	s_cbranch_execz .LBB2063_766
.LBB2063_783:
	flat_store_short v[2:3], v51 offset:6
	s_or_b64 exec, exec, s[8:9]
	s_and_saveexec_b64 s[8:9], s[10:11]
	s_cbranch_execz .LBB2063_767
.LBB2063_784:
	flat_store_short v[2:3], v39 offset:8
	s_or_b64 exec, exec, s[8:9]
	s_and_saveexec_b64 s[8:9], s[20:21]
	s_cbranch_execz .LBB2063_768
.LBB2063_785:
	flat_store_short v[2:3], v38 offset:10
	s_or_b64 exec, exec, s[8:9]
	s_and_saveexec_b64 s[8:9], s[14:15]
	s_cbranch_execz .LBB2063_769
.LBB2063_786:
	flat_store_short v[2:3], v50 offset:12
	s_or_b64 exec, exec, s[8:9]
	s_and_saveexec_b64 s[8:9], s[16:17]
	s_cbranch_execnz .LBB2063_770
	s_branch .LBB2063_771
.LBB2063_787:
	flat_store_dwordx2 v[0:1], v[4:5]
	s_or_b64 exec, exec, s[8:9]
	s_and_saveexec_b64 s[8:9], s[4:5]
	s_cbranch_execz .LBB2063_773
.LBB2063_788:
	flat_store_dwordx2 v[0:1], v[12:13] offset:8
	s_or_b64 exec, exec, s[8:9]
	s_and_saveexec_b64 s[4:5], s[6:7]
	s_cbranch_execz .LBB2063_774
.LBB2063_789:
	flat_store_dwordx2 v[0:1], v[15:16] offset:16
	s_or_b64 exec, exec, s[4:5]
	s_and_saveexec_b64 s[4:5], s[18:19]
	s_cbranch_execz .LBB2063_775
.LBB2063_790:
	flat_store_dwordx2 v[0:1], v[17:18] offset:24
	s_or_b64 exec, exec, s[4:5]
	s_and_saveexec_b64 s[4:5], s[10:11]
	s_cbranch_execz .LBB2063_776
.LBB2063_791:
	flat_store_dwordx2 v[0:1], v[19:20] offset:32
	s_or_b64 exec, exec, s[4:5]
	s_and_saveexec_b64 s[4:5], s[20:21]
	s_cbranch_execz .LBB2063_777
.LBB2063_792:
	flat_store_dwordx2 v[0:1], v[23:24] offset:40
	s_or_b64 exec, exec, s[4:5]
	s_and_saveexec_b64 s[4:5], s[14:15]
	s_cbranch_execz .LBB2063_778
.LBB2063_793:
	flat_store_dwordx2 v[0:1], v[21:22] offset:48
	s_or_b64 exec, exec, s[4:5]
	s_and_saveexec_b64 s[4:5], s[16:17]
	s_cbranch_execz .LBB2063_779
.LBB2063_794:
	flat_store_dwordx2 v[0:1], v[25:26] offset:56
	s_or_b64 exec, exec, s[4:5]
	s_waitcnt vmcnt(0) lgkmcnt(0)
	s_setpc_b64 s[30:31]
.Lfunc_end2063:
	.size	_ZN7rocprim17ROCPRIM_400000_NS6detail26segmented_warp_sort_helperINS1_20WarpSortHelperConfigILj16ELj8ELj256EEE12hip_bfloat16lLi256ELb0EvE4sortIPKS5_PS5_PKlPlEEvT_T0_T1_T2_jjjjRNS6_12storage_typeE, .Lfunc_end2063-_ZN7rocprim17ROCPRIM_400000_NS6detail26segmented_warp_sort_helperINS1_20WarpSortHelperConfigILj16ELj8ELj256EEE12hip_bfloat16lLi256ELb0EvE4sortIPKS5_PS5_PKlPlEEvT_T0_T1_T2_jjjjRNS6_12storage_typeE
                                        ; -- End function
	.set .L_ZN7rocprim17ROCPRIM_400000_NS6detail26segmented_warp_sort_helperINS1_20WarpSortHelperConfigILj16ELj8ELj256EEE12hip_bfloat16lLi256ELb0EvE4sortIPKS5_PS5_PKlPlEEvT_T0_T1_T2_jjjjRNS6_12storage_typeE.num_vgpr, 71
	.set .L_ZN7rocprim17ROCPRIM_400000_NS6detail26segmented_warp_sort_helperINS1_20WarpSortHelperConfigILj16ELj8ELj256EEE12hip_bfloat16lLi256ELb0EvE4sortIPKS5_PS5_PKlPlEEvT_T0_T1_T2_jjjjRNS6_12storage_typeE.num_agpr, 0
	.set .L_ZN7rocprim17ROCPRIM_400000_NS6detail26segmented_warp_sort_helperINS1_20WarpSortHelperConfigILj16ELj8ELj256EEE12hip_bfloat16lLi256ELb0EvE4sortIPKS5_PS5_PKlPlEEvT_T0_T1_T2_jjjjRNS6_12storage_typeE.numbered_sgpr, 60
	.set .L_ZN7rocprim17ROCPRIM_400000_NS6detail26segmented_warp_sort_helperINS1_20WarpSortHelperConfigILj16ELj8ELj256EEE12hip_bfloat16lLi256ELb0EvE4sortIPKS5_PS5_PKlPlEEvT_T0_T1_T2_jjjjRNS6_12storage_typeE.num_named_barrier, 0
	.set .L_ZN7rocprim17ROCPRIM_400000_NS6detail26segmented_warp_sort_helperINS1_20WarpSortHelperConfigILj16ELj8ELj256EEE12hip_bfloat16lLi256ELb0EvE4sortIPKS5_PS5_PKlPlEEvT_T0_T1_T2_jjjjRNS6_12storage_typeE.private_seg_size, 0
	.set .L_ZN7rocprim17ROCPRIM_400000_NS6detail26segmented_warp_sort_helperINS1_20WarpSortHelperConfigILj16ELj8ELj256EEE12hip_bfloat16lLi256ELb0EvE4sortIPKS5_PS5_PKlPlEEvT_T0_T1_T2_jjjjRNS6_12storage_typeE.uses_vcc, 1
	.set .L_ZN7rocprim17ROCPRIM_400000_NS6detail26segmented_warp_sort_helperINS1_20WarpSortHelperConfigILj16ELj8ELj256EEE12hip_bfloat16lLi256ELb0EvE4sortIPKS5_PS5_PKlPlEEvT_T0_T1_T2_jjjjRNS6_12storage_typeE.uses_flat_scratch, 0
	.set .L_ZN7rocprim17ROCPRIM_400000_NS6detail26segmented_warp_sort_helperINS1_20WarpSortHelperConfigILj16ELj8ELj256EEE12hip_bfloat16lLi256ELb0EvE4sortIPKS5_PS5_PKlPlEEvT_T0_T1_T2_jjjjRNS6_12storage_typeE.has_dyn_sized_stack, 0
	.set .L_ZN7rocprim17ROCPRIM_400000_NS6detail26segmented_warp_sort_helperINS1_20WarpSortHelperConfigILj16ELj8ELj256EEE12hip_bfloat16lLi256ELb0EvE4sortIPKS5_PS5_PKlPlEEvT_T0_T1_T2_jjjjRNS6_12storage_typeE.has_recursion, 0
	.set .L_ZN7rocprim17ROCPRIM_400000_NS6detail26segmented_warp_sort_helperINS1_20WarpSortHelperConfigILj16ELj8ELj256EEE12hip_bfloat16lLi256ELb0EvE4sortIPKS5_PS5_PKlPlEEvT_T0_T1_T2_jjjjRNS6_12storage_typeE.has_indirect_call, 0
	.section	.AMDGPU.csdata,"",@progbits
; Function info:
; codeLenInByte = 26716
; TotalNumSgprs: 64
; NumVgprs: 71
; ScratchSize: 0
; MemoryBound: 0
	.section	.text._ZN7rocprim17ROCPRIM_400000_NS6detail17trampoline_kernelINS0_14default_configENS1_36segmented_radix_sort_config_selectorI12hip_bfloat16lEEZNS1_25segmented_radix_sort_implIS3_Lb0EPKS5_PS5_PKlPlN2at6native12_GLOBAL__N_18offset_tEEE10hipError_tPvRmT1_PNSt15iterator_traitsISL_E10value_typeET2_T3_PNSM_ISR_E10value_typeET4_jRbjT5_SX_jjP12ihipStream_tbEUlT_E0_NS1_11comp_targetILNS1_3genE2ELNS1_11target_archE906ELNS1_3gpuE6ELNS1_3repE0EEENS1_60segmented_radix_sort_warp_sort_medium_config_static_selectorELNS0_4arch9wavefront6targetE1EEEvSL_,"axG",@progbits,_ZN7rocprim17ROCPRIM_400000_NS6detail17trampoline_kernelINS0_14default_configENS1_36segmented_radix_sort_config_selectorI12hip_bfloat16lEEZNS1_25segmented_radix_sort_implIS3_Lb0EPKS5_PS5_PKlPlN2at6native12_GLOBAL__N_18offset_tEEE10hipError_tPvRmT1_PNSt15iterator_traitsISL_E10value_typeET2_T3_PNSM_ISR_E10value_typeET4_jRbjT5_SX_jjP12ihipStream_tbEUlT_E0_NS1_11comp_targetILNS1_3genE2ELNS1_11target_archE906ELNS1_3gpuE6ELNS1_3repE0EEENS1_60segmented_radix_sort_warp_sort_medium_config_static_selectorELNS0_4arch9wavefront6targetE1EEEvSL_,comdat
	.globl	_ZN7rocprim17ROCPRIM_400000_NS6detail17trampoline_kernelINS0_14default_configENS1_36segmented_radix_sort_config_selectorI12hip_bfloat16lEEZNS1_25segmented_radix_sort_implIS3_Lb0EPKS5_PS5_PKlPlN2at6native12_GLOBAL__N_18offset_tEEE10hipError_tPvRmT1_PNSt15iterator_traitsISL_E10value_typeET2_T3_PNSM_ISR_E10value_typeET4_jRbjT5_SX_jjP12ihipStream_tbEUlT_E0_NS1_11comp_targetILNS1_3genE2ELNS1_11target_archE906ELNS1_3gpuE6ELNS1_3repE0EEENS1_60segmented_radix_sort_warp_sort_medium_config_static_selectorELNS0_4arch9wavefront6targetE1EEEvSL_ ; -- Begin function _ZN7rocprim17ROCPRIM_400000_NS6detail17trampoline_kernelINS0_14default_configENS1_36segmented_radix_sort_config_selectorI12hip_bfloat16lEEZNS1_25segmented_radix_sort_implIS3_Lb0EPKS5_PS5_PKlPlN2at6native12_GLOBAL__N_18offset_tEEE10hipError_tPvRmT1_PNSt15iterator_traitsISL_E10value_typeET2_T3_PNSM_ISR_E10value_typeET4_jRbjT5_SX_jjP12ihipStream_tbEUlT_E0_NS1_11comp_targetILNS1_3genE2ELNS1_11target_archE906ELNS1_3gpuE6ELNS1_3repE0EEENS1_60segmented_radix_sort_warp_sort_medium_config_static_selectorELNS0_4arch9wavefront6targetE1EEEvSL_
	.p2align	8
	.type	_ZN7rocprim17ROCPRIM_400000_NS6detail17trampoline_kernelINS0_14default_configENS1_36segmented_radix_sort_config_selectorI12hip_bfloat16lEEZNS1_25segmented_radix_sort_implIS3_Lb0EPKS5_PS5_PKlPlN2at6native12_GLOBAL__N_18offset_tEEE10hipError_tPvRmT1_PNSt15iterator_traitsISL_E10value_typeET2_T3_PNSM_ISR_E10value_typeET4_jRbjT5_SX_jjP12ihipStream_tbEUlT_E0_NS1_11comp_targetILNS1_3genE2ELNS1_11target_archE906ELNS1_3gpuE6ELNS1_3repE0EEENS1_60segmented_radix_sort_warp_sort_medium_config_static_selectorELNS0_4arch9wavefront6targetE1EEEvSL_,@function
_ZN7rocprim17ROCPRIM_400000_NS6detail17trampoline_kernelINS0_14default_configENS1_36segmented_radix_sort_config_selectorI12hip_bfloat16lEEZNS1_25segmented_radix_sort_implIS3_Lb0EPKS5_PS5_PKlPlN2at6native12_GLOBAL__N_18offset_tEEE10hipError_tPvRmT1_PNSt15iterator_traitsISL_E10value_typeET2_T3_PNSM_ISR_E10value_typeET4_jRbjT5_SX_jjP12ihipStream_tbEUlT_E0_NS1_11comp_targetILNS1_3genE2ELNS1_11target_archE906ELNS1_3gpuE6ELNS1_3repE0EEENS1_60segmented_radix_sort_warp_sort_medium_config_static_selectorELNS0_4arch9wavefront6targetE1EEEvSL_: ; @_ZN7rocprim17ROCPRIM_400000_NS6detail17trampoline_kernelINS0_14default_configENS1_36segmented_radix_sort_config_selectorI12hip_bfloat16lEEZNS1_25segmented_radix_sort_implIS3_Lb0EPKS5_PS5_PKlPlN2at6native12_GLOBAL__N_18offset_tEEE10hipError_tPvRmT1_PNSt15iterator_traitsISL_E10value_typeET2_T3_PNSM_ISR_E10value_typeET4_jRbjT5_SX_jjP12ihipStream_tbEUlT_E0_NS1_11comp_targetILNS1_3genE2ELNS1_11target_archE906ELNS1_3gpuE6ELNS1_3repE0EEENS1_60segmented_radix_sort_warp_sort_medium_config_static_selectorELNS0_4arch9wavefront6targetE1EEEvSL_
; %bb.0:
	s_add_u32 s0, s0, s8
	s_load_dword s8, s[4:5], 0x64
	s_addc_u32 s1, s1, 0
	s_mov_b32 s32, 0
	s_waitcnt lgkmcnt(0)
	s_lshr_b32 s9, s8, 16
	s_and_b32 s8, s8, 0xffff
	v_mad_u32_u24 v3, v2, s9, v1
	v_mad_u64_u32 v[3:4], s[8:9], v3, s8, v[0:1]
	s_load_dword s8, s[4:5], 0x34
	v_lshrrev_b32_e32 v3, 4, v3
	v_lshl_add_u32 v3, s6, 4, v3
	s_waitcnt lgkmcnt(0)
	v_cmp_gt_u32_e32 vcc, s8, v3
	s_and_saveexec_b64 s[8:9], vcc
	s_cbranch_execz .LBB2064_6
; %bb.1:
	s_load_dwordx2 s[12:13], s[4:5], 0x38
	s_load_dwordx4 s[8:11], s[4:5], 0x40
	v_mov_b32_e32 v4, 0
	v_lshlrev_b64 v[3:4], 2, v[3:4]
	s_waitcnt lgkmcnt(0)
	v_mov_b32_e32 v5, s13
	v_add_co_u32_e32 v3, vcc, s12, v3
	v_addc_co_u32_e32 v4, vcc, v5, v4, vcc
	global_load_dword v3, v[3:4], off
	s_waitcnt vmcnt(0)
	v_add_u32_e32 v4, s9, v3
	v_add_u32_e32 v3, s11, v3
	v_mul_lo_u32 v40, v4, s8
	v_mul_lo_u32 v41, v3, s10
	v_cmp_gt_u32_e32 vcc, v41, v40
	s_and_b64 exec, exec, vcc
	s_cbranch_execz .LBB2064_6
; %bb.2:
	s_load_dword s10, s[4:5], 0x30
	s_load_dwordx4 s[36:39], s[4:5], 0x20
	s_load_dwordx8 s[48:55], s[4:5], 0x0
	s_mov_b64 s[8:9], -1
	v_lshlrev_b32_e32 v43, 20, v2
	s_waitcnt lgkmcnt(0)
	s_bitcmp0_b32 s10, 0
	v_lshlrev_b32_e32 v44, 10, v1
	s_cbranch_scc0 .LBB2064_4
; %bb.3:
	s_add_u32 s8, s4, 0x58
	s_addc_u32 s9, s5, 0
	s_getpc_b64 s[10:11]
	s_add_u32 s10, s10, _ZN7rocprim17ROCPRIM_400000_NS6detail26segmented_warp_sort_helperINS1_20WarpSortHelperConfigILj16ELj8ELj256EEE12hip_bfloat16lLi256ELb0EvE4sortIPKS5_PS5_PKlPlEEvT_T0_T1_T2_jjjjRNS6_12storage_typeE@rel32@lo+4
	s_addc_u32 s11, s11, _ZN7rocprim17ROCPRIM_400000_NS6detail26segmented_warp_sort_helperINS1_20WarpSortHelperConfigILj16ELj8ELj256EEE12hip_bfloat16lLi256ELb0EvE4sortIPKS5_PS5_PKlPlEEvT_T0_T1_T2_jjjjRNS6_12storage_typeE@rel32@hi+12
	v_or3_b32 v31, v0, v44, v43
	s_mov_b32 s12, s6
	s_mov_b32 s13, s7
	v_mov_b32_e32 v42, v0
	v_mov_b32_e32 v0, s48
	;; [unrolled: 1-line block ×11, first 2 shown]
	s_mov_b64 s[34:35], s[4:5]
	s_mov_b32 s36, s7
	s_mov_b32 s33, s6
	s_swappc_b64 s[30:31], s[10:11]
	v_mov_b32_e32 v0, v42
	s_mov_b32 s6, s33
	s_mov_b32 s7, s36
	s_mov_b64 s[4:5], s[34:35]
	s_mov_b64 s[8:9], 0
.LBB2064_4:
	s_andn2_b64 vcc, exec, s[8:9]
	s_cbranch_vccnz .LBB2064_6
; %bb.5:
	s_add_u32 s8, s4, 0x58
	s_addc_u32 s9, s5, 0
	s_getpc_b64 s[4:5]
	s_add_u32 s4, s4, _ZN7rocprim17ROCPRIM_400000_NS6detail26segmented_warp_sort_helperINS1_20WarpSortHelperConfigILj16ELj8ELj256EEE12hip_bfloat16lLi256ELb0EvE4sortIPKS5_PS5_PKlPlEEvT_T0_T1_T2_jjjjRNS6_12storage_typeE@rel32@lo+4
	s_addc_u32 s5, s5, _ZN7rocprim17ROCPRIM_400000_NS6detail26segmented_warp_sort_helperINS1_20WarpSortHelperConfigILj16ELj8ELj256EEE12hip_bfloat16lLi256ELb0EvE4sortIPKS5_PS5_PKlPlEEvT_T0_T1_T2_jjjjRNS6_12storage_typeE@rel32@hi+12
	v_or3_b32 v31, v0, v44, v43
	s_mov_b32 s12, s6
	s_mov_b32 s13, s7
	v_mov_b32_e32 v0, s48
	v_mov_b32_e32 v1, s49
	v_mov_b32_e32 v2, s52
	v_mov_b32_e32 v3, s53
	v_mov_b32_e32 v4, s54
	v_mov_b32_e32 v5, s55
	v_mov_b32_e32 v6, s38
	v_mov_b32_e32 v7, s39
	v_mov_b32_e32 v8, v40
	v_mov_b32_e32 v9, v41
	s_swappc_b64 s[30:31], s[4:5]
.LBB2064_6:
	s_endpgm
	.section	.rodata,"a",@progbits
	.p2align	6, 0x0
	.amdhsa_kernel _ZN7rocprim17ROCPRIM_400000_NS6detail17trampoline_kernelINS0_14default_configENS1_36segmented_radix_sort_config_selectorI12hip_bfloat16lEEZNS1_25segmented_radix_sort_implIS3_Lb0EPKS5_PS5_PKlPlN2at6native12_GLOBAL__N_18offset_tEEE10hipError_tPvRmT1_PNSt15iterator_traitsISL_E10value_typeET2_T3_PNSM_ISR_E10value_typeET4_jRbjT5_SX_jjP12ihipStream_tbEUlT_E0_NS1_11comp_targetILNS1_3genE2ELNS1_11target_archE906ELNS1_3gpuE6ELNS1_3repE0EEENS1_60segmented_radix_sort_warp_sort_medium_config_static_selectorELNS0_4arch9wavefront6targetE1EEEvSL_
		.amdhsa_group_segment_fixed_size 20480
		.amdhsa_private_segment_fixed_size 0
		.amdhsa_kernarg_size 344
		.amdhsa_user_sgpr_count 6
		.amdhsa_user_sgpr_private_segment_buffer 1
		.amdhsa_user_sgpr_dispatch_ptr 0
		.amdhsa_user_sgpr_queue_ptr 0
		.amdhsa_user_sgpr_kernarg_segment_ptr 1
		.amdhsa_user_sgpr_dispatch_id 0
		.amdhsa_user_sgpr_flat_scratch_init 0
		.amdhsa_user_sgpr_private_segment_size 0
		.amdhsa_uses_dynamic_stack 0
		.amdhsa_system_sgpr_private_segment_wavefront_offset 0
		.amdhsa_system_sgpr_workgroup_id_x 1
		.amdhsa_system_sgpr_workgroup_id_y 1
		.amdhsa_system_sgpr_workgroup_id_z 0
		.amdhsa_system_sgpr_workgroup_info 0
		.amdhsa_system_vgpr_workitem_id 2
		.amdhsa_next_free_vgpr 71
		.amdhsa_next_free_sgpr 98
		.amdhsa_reserve_vcc 1
		.amdhsa_reserve_flat_scratch 0
		.amdhsa_float_round_mode_32 0
		.amdhsa_float_round_mode_16_64 0
		.amdhsa_float_denorm_mode_32 3
		.amdhsa_float_denorm_mode_16_64 3
		.amdhsa_dx10_clamp 1
		.amdhsa_ieee_mode 1
		.amdhsa_fp16_overflow 0
		.amdhsa_exception_fp_ieee_invalid_op 0
		.amdhsa_exception_fp_denorm_src 0
		.amdhsa_exception_fp_ieee_div_zero 0
		.amdhsa_exception_fp_ieee_overflow 0
		.amdhsa_exception_fp_ieee_underflow 0
		.amdhsa_exception_fp_ieee_inexact 0
		.amdhsa_exception_int_div_zero 0
	.end_amdhsa_kernel
	.section	.text._ZN7rocprim17ROCPRIM_400000_NS6detail17trampoline_kernelINS0_14default_configENS1_36segmented_radix_sort_config_selectorI12hip_bfloat16lEEZNS1_25segmented_radix_sort_implIS3_Lb0EPKS5_PS5_PKlPlN2at6native12_GLOBAL__N_18offset_tEEE10hipError_tPvRmT1_PNSt15iterator_traitsISL_E10value_typeET2_T3_PNSM_ISR_E10value_typeET4_jRbjT5_SX_jjP12ihipStream_tbEUlT_E0_NS1_11comp_targetILNS1_3genE2ELNS1_11target_archE906ELNS1_3gpuE6ELNS1_3repE0EEENS1_60segmented_radix_sort_warp_sort_medium_config_static_selectorELNS0_4arch9wavefront6targetE1EEEvSL_,"axG",@progbits,_ZN7rocprim17ROCPRIM_400000_NS6detail17trampoline_kernelINS0_14default_configENS1_36segmented_radix_sort_config_selectorI12hip_bfloat16lEEZNS1_25segmented_radix_sort_implIS3_Lb0EPKS5_PS5_PKlPlN2at6native12_GLOBAL__N_18offset_tEEE10hipError_tPvRmT1_PNSt15iterator_traitsISL_E10value_typeET2_T3_PNSM_ISR_E10value_typeET4_jRbjT5_SX_jjP12ihipStream_tbEUlT_E0_NS1_11comp_targetILNS1_3genE2ELNS1_11target_archE906ELNS1_3gpuE6ELNS1_3repE0EEENS1_60segmented_radix_sort_warp_sort_medium_config_static_selectorELNS0_4arch9wavefront6targetE1EEEvSL_,comdat
.Lfunc_end2064:
	.size	_ZN7rocprim17ROCPRIM_400000_NS6detail17trampoline_kernelINS0_14default_configENS1_36segmented_radix_sort_config_selectorI12hip_bfloat16lEEZNS1_25segmented_radix_sort_implIS3_Lb0EPKS5_PS5_PKlPlN2at6native12_GLOBAL__N_18offset_tEEE10hipError_tPvRmT1_PNSt15iterator_traitsISL_E10value_typeET2_T3_PNSM_ISR_E10value_typeET4_jRbjT5_SX_jjP12ihipStream_tbEUlT_E0_NS1_11comp_targetILNS1_3genE2ELNS1_11target_archE906ELNS1_3gpuE6ELNS1_3repE0EEENS1_60segmented_radix_sort_warp_sort_medium_config_static_selectorELNS0_4arch9wavefront6targetE1EEEvSL_, .Lfunc_end2064-_ZN7rocprim17ROCPRIM_400000_NS6detail17trampoline_kernelINS0_14default_configENS1_36segmented_radix_sort_config_selectorI12hip_bfloat16lEEZNS1_25segmented_radix_sort_implIS3_Lb0EPKS5_PS5_PKlPlN2at6native12_GLOBAL__N_18offset_tEEE10hipError_tPvRmT1_PNSt15iterator_traitsISL_E10value_typeET2_T3_PNSM_ISR_E10value_typeET4_jRbjT5_SX_jjP12ihipStream_tbEUlT_E0_NS1_11comp_targetILNS1_3genE2ELNS1_11target_archE906ELNS1_3gpuE6ELNS1_3repE0EEENS1_60segmented_radix_sort_warp_sort_medium_config_static_selectorELNS0_4arch9wavefront6targetE1EEEvSL_
                                        ; -- End function
	.set _ZN7rocprim17ROCPRIM_400000_NS6detail17trampoline_kernelINS0_14default_configENS1_36segmented_radix_sort_config_selectorI12hip_bfloat16lEEZNS1_25segmented_radix_sort_implIS3_Lb0EPKS5_PS5_PKlPlN2at6native12_GLOBAL__N_18offset_tEEE10hipError_tPvRmT1_PNSt15iterator_traitsISL_E10value_typeET2_T3_PNSM_ISR_E10value_typeET4_jRbjT5_SX_jjP12ihipStream_tbEUlT_E0_NS1_11comp_targetILNS1_3genE2ELNS1_11target_archE906ELNS1_3gpuE6ELNS1_3repE0EEENS1_60segmented_radix_sort_warp_sort_medium_config_static_selectorELNS0_4arch9wavefront6targetE1EEEvSL_.num_vgpr, max(45, .L_ZN7rocprim17ROCPRIM_400000_NS6detail26segmented_warp_sort_helperINS1_20WarpSortHelperConfigILj16ELj8ELj256EEE12hip_bfloat16lLi256ELb0EvE4sortIPKS5_PS5_PKlPlEEvT_T0_T1_T2_jjjjRNS6_12storage_typeE.num_vgpr)
	.set _ZN7rocprim17ROCPRIM_400000_NS6detail17trampoline_kernelINS0_14default_configENS1_36segmented_radix_sort_config_selectorI12hip_bfloat16lEEZNS1_25segmented_radix_sort_implIS3_Lb0EPKS5_PS5_PKlPlN2at6native12_GLOBAL__N_18offset_tEEE10hipError_tPvRmT1_PNSt15iterator_traitsISL_E10value_typeET2_T3_PNSM_ISR_E10value_typeET4_jRbjT5_SX_jjP12ihipStream_tbEUlT_E0_NS1_11comp_targetILNS1_3genE2ELNS1_11target_archE906ELNS1_3gpuE6ELNS1_3repE0EEENS1_60segmented_radix_sort_warp_sort_medium_config_static_selectorELNS0_4arch9wavefront6targetE1EEEvSL_.num_agpr, max(0, .L_ZN7rocprim17ROCPRIM_400000_NS6detail26segmented_warp_sort_helperINS1_20WarpSortHelperConfigILj16ELj8ELj256EEE12hip_bfloat16lLi256ELb0EvE4sortIPKS5_PS5_PKlPlEEvT_T0_T1_T2_jjjjRNS6_12storage_typeE.num_agpr)
	.set _ZN7rocprim17ROCPRIM_400000_NS6detail17trampoline_kernelINS0_14default_configENS1_36segmented_radix_sort_config_selectorI12hip_bfloat16lEEZNS1_25segmented_radix_sort_implIS3_Lb0EPKS5_PS5_PKlPlN2at6native12_GLOBAL__N_18offset_tEEE10hipError_tPvRmT1_PNSt15iterator_traitsISL_E10value_typeET2_T3_PNSM_ISR_E10value_typeET4_jRbjT5_SX_jjP12ihipStream_tbEUlT_E0_NS1_11comp_targetILNS1_3genE2ELNS1_11target_archE906ELNS1_3gpuE6ELNS1_3repE0EEENS1_60segmented_radix_sort_warp_sort_medium_config_static_selectorELNS0_4arch9wavefront6targetE1EEEvSL_.numbered_sgpr, max(56, .L_ZN7rocprim17ROCPRIM_400000_NS6detail26segmented_warp_sort_helperINS1_20WarpSortHelperConfigILj16ELj8ELj256EEE12hip_bfloat16lLi256ELb0EvE4sortIPKS5_PS5_PKlPlEEvT_T0_T1_T2_jjjjRNS6_12storage_typeE.numbered_sgpr)
	.set _ZN7rocprim17ROCPRIM_400000_NS6detail17trampoline_kernelINS0_14default_configENS1_36segmented_radix_sort_config_selectorI12hip_bfloat16lEEZNS1_25segmented_radix_sort_implIS3_Lb0EPKS5_PS5_PKlPlN2at6native12_GLOBAL__N_18offset_tEEE10hipError_tPvRmT1_PNSt15iterator_traitsISL_E10value_typeET2_T3_PNSM_ISR_E10value_typeET4_jRbjT5_SX_jjP12ihipStream_tbEUlT_E0_NS1_11comp_targetILNS1_3genE2ELNS1_11target_archE906ELNS1_3gpuE6ELNS1_3repE0EEENS1_60segmented_radix_sort_warp_sort_medium_config_static_selectorELNS0_4arch9wavefront6targetE1EEEvSL_.num_named_barrier, max(0, .L_ZN7rocprim17ROCPRIM_400000_NS6detail26segmented_warp_sort_helperINS1_20WarpSortHelperConfigILj16ELj8ELj256EEE12hip_bfloat16lLi256ELb0EvE4sortIPKS5_PS5_PKlPlEEvT_T0_T1_T2_jjjjRNS6_12storage_typeE.num_named_barrier)
	.set _ZN7rocprim17ROCPRIM_400000_NS6detail17trampoline_kernelINS0_14default_configENS1_36segmented_radix_sort_config_selectorI12hip_bfloat16lEEZNS1_25segmented_radix_sort_implIS3_Lb0EPKS5_PS5_PKlPlN2at6native12_GLOBAL__N_18offset_tEEE10hipError_tPvRmT1_PNSt15iterator_traitsISL_E10value_typeET2_T3_PNSM_ISR_E10value_typeET4_jRbjT5_SX_jjP12ihipStream_tbEUlT_E0_NS1_11comp_targetILNS1_3genE2ELNS1_11target_archE906ELNS1_3gpuE6ELNS1_3repE0EEENS1_60segmented_radix_sort_warp_sort_medium_config_static_selectorELNS0_4arch9wavefront6targetE1EEEvSL_.private_seg_size, 0+max(.L_ZN7rocprim17ROCPRIM_400000_NS6detail26segmented_warp_sort_helperINS1_20WarpSortHelperConfigILj16ELj8ELj256EEE12hip_bfloat16lLi256ELb0EvE4sortIPKS5_PS5_PKlPlEEvT_T0_T1_T2_jjjjRNS6_12storage_typeE.private_seg_size)
	.set _ZN7rocprim17ROCPRIM_400000_NS6detail17trampoline_kernelINS0_14default_configENS1_36segmented_radix_sort_config_selectorI12hip_bfloat16lEEZNS1_25segmented_radix_sort_implIS3_Lb0EPKS5_PS5_PKlPlN2at6native12_GLOBAL__N_18offset_tEEE10hipError_tPvRmT1_PNSt15iterator_traitsISL_E10value_typeET2_T3_PNSM_ISR_E10value_typeET4_jRbjT5_SX_jjP12ihipStream_tbEUlT_E0_NS1_11comp_targetILNS1_3genE2ELNS1_11target_archE906ELNS1_3gpuE6ELNS1_3repE0EEENS1_60segmented_radix_sort_warp_sort_medium_config_static_selectorELNS0_4arch9wavefront6targetE1EEEvSL_.uses_vcc, or(1, .L_ZN7rocprim17ROCPRIM_400000_NS6detail26segmented_warp_sort_helperINS1_20WarpSortHelperConfigILj16ELj8ELj256EEE12hip_bfloat16lLi256ELb0EvE4sortIPKS5_PS5_PKlPlEEvT_T0_T1_T2_jjjjRNS6_12storage_typeE.uses_vcc)
	.set _ZN7rocprim17ROCPRIM_400000_NS6detail17trampoline_kernelINS0_14default_configENS1_36segmented_radix_sort_config_selectorI12hip_bfloat16lEEZNS1_25segmented_radix_sort_implIS3_Lb0EPKS5_PS5_PKlPlN2at6native12_GLOBAL__N_18offset_tEEE10hipError_tPvRmT1_PNSt15iterator_traitsISL_E10value_typeET2_T3_PNSM_ISR_E10value_typeET4_jRbjT5_SX_jjP12ihipStream_tbEUlT_E0_NS1_11comp_targetILNS1_3genE2ELNS1_11target_archE906ELNS1_3gpuE6ELNS1_3repE0EEENS1_60segmented_radix_sort_warp_sort_medium_config_static_selectorELNS0_4arch9wavefront6targetE1EEEvSL_.uses_flat_scratch, or(0, .L_ZN7rocprim17ROCPRIM_400000_NS6detail26segmented_warp_sort_helperINS1_20WarpSortHelperConfigILj16ELj8ELj256EEE12hip_bfloat16lLi256ELb0EvE4sortIPKS5_PS5_PKlPlEEvT_T0_T1_T2_jjjjRNS6_12storage_typeE.uses_flat_scratch)
	.set _ZN7rocprim17ROCPRIM_400000_NS6detail17trampoline_kernelINS0_14default_configENS1_36segmented_radix_sort_config_selectorI12hip_bfloat16lEEZNS1_25segmented_radix_sort_implIS3_Lb0EPKS5_PS5_PKlPlN2at6native12_GLOBAL__N_18offset_tEEE10hipError_tPvRmT1_PNSt15iterator_traitsISL_E10value_typeET2_T3_PNSM_ISR_E10value_typeET4_jRbjT5_SX_jjP12ihipStream_tbEUlT_E0_NS1_11comp_targetILNS1_3genE2ELNS1_11target_archE906ELNS1_3gpuE6ELNS1_3repE0EEENS1_60segmented_radix_sort_warp_sort_medium_config_static_selectorELNS0_4arch9wavefront6targetE1EEEvSL_.has_dyn_sized_stack, or(0, .L_ZN7rocprim17ROCPRIM_400000_NS6detail26segmented_warp_sort_helperINS1_20WarpSortHelperConfigILj16ELj8ELj256EEE12hip_bfloat16lLi256ELb0EvE4sortIPKS5_PS5_PKlPlEEvT_T0_T1_T2_jjjjRNS6_12storage_typeE.has_dyn_sized_stack)
	.set _ZN7rocprim17ROCPRIM_400000_NS6detail17trampoline_kernelINS0_14default_configENS1_36segmented_radix_sort_config_selectorI12hip_bfloat16lEEZNS1_25segmented_radix_sort_implIS3_Lb0EPKS5_PS5_PKlPlN2at6native12_GLOBAL__N_18offset_tEEE10hipError_tPvRmT1_PNSt15iterator_traitsISL_E10value_typeET2_T3_PNSM_ISR_E10value_typeET4_jRbjT5_SX_jjP12ihipStream_tbEUlT_E0_NS1_11comp_targetILNS1_3genE2ELNS1_11target_archE906ELNS1_3gpuE6ELNS1_3repE0EEENS1_60segmented_radix_sort_warp_sort_medium_config_static_selectorELNS0_4arch9wavefront6targetE1EEEvSL_.has_recursion, or(0, .L_ZN7rocprim17ROCPRIM_400000_NS6detail26segmented_warp_sort_helperINS1_20WarpSortHelperConfigILj16ELj8ELj256EEE12hip_bfloat16lLi256ELb0EvE4sortIPKS5_PS5_PKlPlEEvT_T0_T1_T2_jjjjRNS6_12storage_typeE.has_recursion)
	.set _ZN7rocprim17ROCPRIM_400000_NS6detail17trampoline_kernelINS0_14default_configENS1_36segmented_radix_sort_config_selectorI12hip_bfloat16lEEZNS1_25segmented_radix_sort_implIS3_Lb0EPKS5_PS5_PKlPlN2at6native12_GLOBAL__N_18offset_tEEE10hipError_tPvRmT1_PNSt15iterator_traitsISL_E10value_typeET2_T3_PNSM_ISR_E10value_typeET4_jRbjT5_SX_jjP12ihipStream_tbEUlT_E0_NS1_11comp_targetILNS1_3genE2ELNS1_11target_archE906ELNS1_3gpuE6ELNS1_3repE0EEENS1_60segmented_radix_sort_warp_sort_medium_config_static_selectorELNS0_4arch9wavefront6targetE1EEEvSL_.has_indirect_call, or(0, .L_ZN7rocprim17ROCPRIM_400000_NS6detail26segmented_warp_sort_helperINS1_20WarpSortHelperConfigILj16ELj8ELj256EEE12hip_bfloat16lLi256ELb0EvE4sortIPKS5_PS5_PKlPlEEvT_T0_T1_T2_jjjjRNS6_12storage_typeE.has_indirect_call)
	.section	.AMDGPU.csdata,"",@progbits
; Kernel info:
; codeLenInByte = 460
; TotalNumSgprs: 64
; NumVgprs: 71
; ScratchSize: 0
; MemoryBound: 0
; FloatMode: 240
; IeeeMode: 1
; LDSByteSize: 20480 bytes/workgroup (compile time only)
; SGPRBlocks: 12
; VGPRBlocks: 17
; NumSGPRsForWavesPerEU: 102
; NumVGPRsForWavesPerEU: 71
; Occupancy: 3
; WaveLimiterHint : 0
; COMPUTE_PGM_RSRC2:SCRATCH_EN: 0
; COMPUTE_PGM_RSRC2:USER_SGPR: 6
; COMPUTE_PGM_RSRC2:TRAP_HANDLER: 0
; COMPUTE_PGM_RSRC2:TGID_X_EN: 1
; COMPUTE_PGM_RSRC2:TGID_Y_EN: 1
; COMPUTE_PGM_RSRC2:TGID_Z_EN: 0
; COMPUTE_PGM_RSRC2:TIDIG_COMP_CNT: 2
	.section	.text._ZN7rocprim17ROCPRIM_400000_NS6detail17trampoline_kernelINS0_14default_configENS1_36segmented_radix_sort_config_selectorI12hip_bfloat16lEEZNS1_25segmented_radix_sort_implIS3_Lb0EPKS5_PS5_PKlPlN2at6native12_GLOBAL__N_18offset_tEEE10hipError_tPvRmT1_PNSt15iterator_traitsISL_E10value_typeET2_T3_PNSM_ISR_E10value_typeET4_jRbjT5_SX_jjP12ihipStream_tbEUlT_E0_NS1_11comp_targetILNS1_3genE10ELNS1_11target_archE1201ELNS1_3gpuE5ELNS1_3repE0EEENS1_60segmented_radix_sort_warp_sort_medium_config_static_selectorELNS0_4arch9wavefront6targetE1EEEvSL_,"axG",@progbits,_ZN7rocprim17ROCPRIM_400000_NS6detail17trampoline_kernelINS0_14default_configENS1_36segmented_radix_sort_config_selectorI12hip_bfloat16lEEZNS1_25segmented_radix_sort_implIS3_Lb0EPKS5_PS5_PKlPlN2at6native12_GLOBAL__N_18offset_tEEE10hipError_tPvRmT1_PNSt15iterator_traitsISL_E10value_typeET2_T3_PNSM_ISR_E10value_typeET4_jRbjT5_SX_jjP12ihipStream_tbEUlT_E0_NS1_11comp_targetILNS1_3genE10ELNS1_11target_archE1201ELNS1_3gpuE5ELNS1_3repE0EEENS1_60segmented_radix_sort_warp_sort_medium_config_static_selectorELNS0_4arch9wavefront6targetE1EEEvSL_,comdat
	.globl	_ZN7rocprim17ROCPRIM_400000_NS6detail17trampoline_kernelINS0_14default_configENS1_36segmented_radix_sort_config_selectorI12hip_bfloat16lEEZNS1_25segmented_radix_sort_implIS3_Lb0EPKS5_PS5_PKlPlN2at6native12_GLOBAL__N_18offset_tEEE10hipError_tPvRmT1_PNSt15iterator_traitsISL_E10value_typeET2_T3_PNSM_ISR_E10value_typeET4_jRbjT5_SX_jjP12ihipStream_tbEUlT_E0_NS1_11comp_targetILNS1_3genE10ELNS1_11target_archE1201ELNS1_3gpuE5ELNS1_3repE0EEENS1_60segmented_radix_sort_warp_sort_medium_config_static_selectorELNS0_4arch9wavefront6targetE1EEEvSL_ ; -- Begin function _ZN7rocprim17ROCPRIM_400000_NS6detail17trampoline_kernelINS0_14default_configENS1_36segmented_radix_sort_config_selectorI12hip_bfloat16lEEZNS1_25segmented_radix_sort_implIS3_Lb0EPKS5_PS5_PKlPlN2at6native12_GLOBAL__N_18offset_tEEE10hipError_tPvRmT1_PNSt15iterator_traitsISL_E10value_typeET2_T3_PNSM_ISR_E10value_typeET4_jRbjT5_SX_jjP12ihipStream_tbEUlT_E0_NS1_11comp_targetILNS1_3genE10ELNS1_11target_archE1201ELNS1_3gpuE5ELNS1_3repE0EEENS1_60segmented_radix_sort_warp_sort_medium_config_static_selectorELNS0_4arch9wavefront6targetE1EEEvSL_
	.p2align	8
	.type	_ZN7rocprim17ROCPRIM_400000_NS6detail17trampoline_kernelINS0_14default_configENS1_36segmented_radix_sort_config_selectorI12hip_bfloat16lEEZNS1_25segmented_radix_sort_implIS3_Lb0EPKS5_PS5_PKlPlN2at6native12_GLOBAL__N_18offset_tEEE10hipError_tPvRmT1_PNSt15iterator_traitsISL_E10value_typeET2_T3_PNSM_ISR_E10value_typeET4_jRbjT5_SX_jjP12ihipStream_tbEUlT_E0_NS1_11comp_targetILNS1_3genE10ELNS1_11target_archE1201ELNS1_3gpuE5ELNS1_3repE0EEENS1_60segmented_radix_sort_warp_sort_medium_config_static_selectorELNS0_4arch9wavefront6targetE1EEEvSL_,@function
_ZN7rocprim17ROCPRIM_400000_NS6detail17trampoline_kernelINS0_14default_configENS1_36segmented_radix_sort_config_selectorI12hip_bfloat16lEEZNS1_25segmented_radix_sort_implIS3_Lb0EPKS5_PS5_PKlPlN2at6native12_GLOBAL__N_18offset_tEEE10hipError_tPvRmT1_PNSt15iterator_traitsISL_E10value_typeET2_T3_PNSM_ISR_E10value_typeET4_jRbjT5_SX_jjP12ihipStream_tbEUlT_E0_NS1_11comp_targetILNS1_3genE10ELNS1_11target_archE1201ELNS1_3gpuE5ELNS1_3repE0EEENS1_60segmented_radix_sort_warp_sort_medium_config_static_selectorELNS0_4arch9wavefront6targetE1EEEvSL_: ; @_ZN7rocprim17ROCPRIM_400000_NS6detail17trampoline_kernelINS0_14default_configENS1_36segmented_radix_sort_config_selectorI12hip_bfloat16lEEZNS1_25segmented_radix_sort_implIS3_Lb0EPKS5_PS5_PKlPlN2at6native12_GLOBAL__N_18offset_tEEE10hipError_tPvRmT1_PNSt15iterator_traitsISL_E10value_typeET2_T3_PNSM_ISR_E10value_typeET4_jRbjT5_SX_jjP12ihipStream_tbEUlT_E0_NS1_11comp_targetILNS1_3genE10ELNS1_11target_archE1201ELNS1_3gpuE5ELNS1_3repE0EEENS1_60segmented_radix_sort_warp_sort_medium_config_static_selectorELNS0_4arch9wavefront6targetE1EEEvSL_
; %bb.0:
	.section	.rodata,"a",@progbits
	.p2align	6, 0x0
	.amdhsa_kernel _ZN7rocprim17ROCPRIM_400000_NS6detail17trampoline_kernelINS0_14default_configENS1_36segmented_radix_sort_config_selectorI12hip_bfloat16lEEZNS1_25segmented_radix_sort_implIS3_Lb0EPKS5_PS5_PKlPlN2at6native12_GLOBAL__N_18offset_tEEE10hipError_tPvRmT1_PNSt15iterator_traitsISL_E10value_typeET2_T3_PNSM_ISR_E10value_typeET4_jRbjT5_SX_jjP12ihipStream_tbEUlT_E0_NS1_11comp_targetILNS1_3genE10ELNS1_11target_archE1201ELNS1_3gpuE5ELNS1_3repE0EEENS1_60segmented_radix_sort_warp_sort_medium_config_static_selectorELNS0_4arch9wavefront6targetE1EEEvSL_
		.amdhsa_group_segment_fixed_size 0
		.amdhsa_private_segment_fixed_size 0
		.amdhsa_kernarg_size 88
		.amdhsa_user_sgpr_count 6
		.amdhsa_user_sgpr_private_segment_buffer 1
		.amdhsa_user_sgpr_dispatch_ptr 0
		.amdhsa_user_sgpr_queue_ptr 0
		.amdhsa_user_sgpr_kernarg_segment_ptr 1
		.amdhsa_user_sgpr_dispatch_id 0
		.amdhsa_user_sgpr_flat_scratch_init 0
		.amdhsa_user_sgpr_private_segment_size 0
		.amdhsa_uses_dynamic_stack 0
		.amdhsa_system_sgpr_private_segment_wavefront_offset 0
		.amdhsa_system_sgpr_workgroup_id_x 1
		.amdhsa_system_sgpr_workgroup_id_y 0
		.amdhsa_system_sgpr_workgroup_id_z 0
		.amdhsa_system_sgpr_workgroup_info 0
		.amdhsa_system_vgpr_workitem_id 0
		.amdhsa_next_free_vgpr 1
		.amdhsa_next_free_sgpr 0
		.amdhsa_reserve_vcc 0
		.amdhsa_reserve_flat_scratch 0
		.amdhsa_float_round_mode_32 0
		.amdhsa_float_round_mode_16_64 0
		.amdhsa_float_denorm_mode_32 3
		.amdhsa_float_denorm_mode_16_64 3
		.amdhsa_dx10_clamp 1
		.amdhsa_ieee_mode 1
		.amdhsa_fp16_overflow 0
		.amdhsa_exception_fp_ieee_invalid_op 0
		.amdhsa_exception_fp_denorm_src 0
		.amdhsa_exception_fp_ieee_div_zero 0
		.amdhsa_exception_fp_ieee_overflow 0
		.amdhsa_exception_fp_ieee_underflow 0
		.amdhsa_exception_fp_ieee_inexact 0
		.amdhsa_exception_int_div_zero 0
	.end_amdhsa_kernel
	.section	.text._ZN7rocprim17ROCPRIM_400000_NS6detail17trampoline_kernelINS0_14default_configENS1_36segmented_radix_sort_config_selectorI12hip_bfloat16lEEZNS1_25segmented_radix_sort_implIS3_Lb0EPKS5_PS5_PKlPlN2at6native12_GLOBAL__N_18offset_tEEE10hipError_tPvRmT1_PNSt15iterator_traitsISL_E10value_typeET2_T3_PNSM_ISR_E10value_typeET4_jRbjT5_SX_jjP12ihipStream_tbEUlT_E0_NS1_11comp_targetILNS1_3genE10ELNS1_11target_archE1201ELNS1_3gpuE5ELNS1_3repE0EEENS1_60segmented_radix_sort_warp_sort_medium_config_static_selectorELNS0_4arch9wavefront6targetE1EEEvSL_,"axG",@progbits,_ZN7rocprim17ROCPRIM_400000_NS6detail17trampoline_kernelINS0_14default_configENS1_36segmented_radix_sort_config_selectorI12hip_bfloat16lEEZNS1_25segmented_radix_sort_implIS3_Lb0EPKS5_PS5_PKlPlN2at6native12_GLOBAL__N_18offset_tEEE10hipError_tPvRmT1_PNSt15iterator_traitsISL_E10value_typeET2_T3_PNSM_ISR_E10value_typeET4_jRbjT5_SX_jjP12ihipStream_tbEUlT_E0_NS1_11comp_targetILNS1_3genE10ELNS1_11target_archE1201ELNS1_3gpuE5ELNS1_3repE0EEENS1_60segmented_radix_sort_warp_sort_medium_config_static_selectorELNS0_4arch9wavefront6targetE1EEEvSL_,comdat
.Lfunc_end2065:
	.size	_ZN7rocprim17ROCPRIM_400000_NS6detail17trampoline_kernelINS0_14default_configENS1_36segmented_radix_sort_config_selectorI12hip_bfloat16lEEZNS1_25segmented_radix_sort_implIS3_Lb0EPKS5_PS5_PKlPlN2at6native12_GLOBAL__N_18offset_tEEE10hipError_tPvRmT1_PNSt15iterator_traitsISL_E10value_typeET2_T3_PNSM_ISR_E10value_typeET4_jRbjT5_SX_jjP12ihipStream_tbEUlT_E0_NS1_11comp_targetILNS1_3genE10ELNS1_11target_archE1201ELNS1_3gpuE5ELNS1_3repE0EEENS1_60segmented_radix_sort_warp_sort_medium_config_static_selectorELNS0_4arch9wavefront6targetE1EEEvSL_, .Lfunc_end2065-_ZN7rocprim17ROCPRIM_400000_NS6detail17trampoline_kernelINS0_14default_configENS1_36segmented_radix_sort_config_selectorI12hip_bfloat16lEEZNS1_25segmented_radix_sort_implIS3_Lb0EPKS5_PS5_PKlPlN2at6native12_GLOBAL__N_18offset_tEEE10hipError_tPvRmT1_PNSt15iterator_traitsISL_E10value_typeET2_T3_PNSM_ISR_E10value_typeET4_jRbjT5_SX_jjP12ihipStream_tbEUlT_E0_NS1_11comp_targetILNS1_3genE10ELNS1_11target_archE1201ELNS1_3gpuE5ELNS1_3repE0EEENS1_60segmented_radix_sort_warp_sort_medium_config_static_selectorELNS0_4arch9wavefront6targetE1EEEvSL_
                                        ; -- End function
	.set _ZN7rocprim17ROCPRIM_400000_NS6detail17trampoline_kernelINS0_14default_configENS1_36segmented_radix_sort_config_selectorI12hip_bfloat16lEEZNS1_25segmented_radix_sort_implIS3_Lb0EPKS5_PS5_PKlPlN2at6native12_GLOBAL__N_18offset_tEEE10hipError_tPvRmT1_PNSt15iterator_traitsISL_E10value_typeET2_T3_PNSM_ISR_E10value_typeET4_jRbjT5_SX_jjP12ihipStream_tbEUlT_E0_NS1_11comp_targetILNS1_3genE10ELNS1_11target_archE1201ELNS1_3gpuE5ELNS1_3repE0EEENS1_60segmented_radix_sort_warp_sort_medium_config_static_selectorELNS0_4arch9wavefront6targetE1EEEvSL_.num_vgpr, 0
	.set _ZN7rocprim17ROCPRIM_400000_NS6detail17trampoline_kernelINS0_14default_configENS1_36segmented_radix_sort_config_selectorI12hip_bfloat16lEEZNS1_25segmented_radix_sort_implIS3_Lb0EPKS5_PS5_PKlPlN2at6native12_GLOBAL__N_18offset_tEEE10hipError_tPvRmT1_PNSt15iterator_traitsISL_E10value_typeET2_T3_PNSM_ISR_E10value_typeET4_jRbjT5_SX_jjP12ihipStream_tbEUlT_E0_NS1_11comp_targetILNS1_3genE10ELNS1_11target_archE1201ELNS1_3gpuE5ELNS1_3repE0EEENS1_60segmented_radix_sort_warp_sort_medium_config_static_selectorELNS0_4arch9wavefront6targetE1EEEvSL_.num_agpr, 0
	.set _ZN7rocprim17ROCPRIM_400000_NS6detail17trampoline_kernelINS0_14default_configENS1_36segmented_radix_sort_config_selectorI12hip_bfloat16lEEZNS1_25segmented_radix_sort_implIS3_Lb0EPKS5_PS5_PKlPlN2at6native12_GLOBAL__N_18offset_tEEE10hipError_tPvRmT1_PNSt15iterator_traitsISL_E10value_typeET2_T3_PNSM_ISR_E10value_typeET4_jRbjT5_SX_jjP12ihipStream_tbEUlT_E0_NS1_11comp_targetILNS1_3genE10ELNS1_11target_archE1201ELNS1_3gpuE5ELNS1_3repE0EEENS1_60segmented_radix_sort_warp_sort_medium_config_static_selectorELNS0_4arch9wavefront6targetE1EEEvSL_.numbered_sgpr, 0
	.set _ZN7rocprim17ROCPRIM_400000_NS6detail17trampoline_kernelINS0_14default_configENS1_36segmented_radix_sort_config_selectorI12hip_bfloat16lEEZNS1_25segmented_radix_sort_implIS3_Lb0EPKS5_PS5_PKlPlN2at6native12_GLOBAL__N_18offset_tEEE10hipError_tPvRmT1_PNSt15iterator_traitsISL_E10value_typeET2_T3_PNSM_ISR_E10value_typeET4_jRbjT5_SX_jjP12ihipStream_tbEUlT_E0_NS1_11comp_targetILNS1_3genE10ELNS1_11target_archE1201ELNS1_3gpuE5ELNS1_3repE0EEENS1_60segmented_radix_sort_warp_sort_medium_config_static_selectorELNS0_4arch9wavefront6targetE1EEEvSL_.num_named_barrier, 0
	.set _ZN7rocprim17ROCPRIM_400000_NS6detail17trampoline_kernelINS0_14default_configENS1_36segmented_radix_sort_config_selectorI12hip_bfloat16lEEZNS1_25segmented_radix_sort_implIS3_Lb0EPKS5_PS5_PKlPlN2at6native12_GLOBAL__N_18offset_tEEE10hipError_tPvRmT1_PNSt15iterator_traitsISL_E10value_typeET2_T3_PNSM_ISR_E10value_typeET4_jRbjT5_SX_jjP12ihipStream_tbEUlT_E0_NS1_11comp_targetILNS1_3genE10ELNS1_11target_archE1201ELNS1_3gpuE5ELNS1_3repE0EEENS1_60segmented_radix_sort_warp_sort_medium_config_static_selectorELNS0_4arch9wavefront6targetE1EEEvSL_.private_seg_size, 0
	.set _ZN7rocprim17ROCPRIM_400000_NS6detail17trampoline_kernelINS0_14default_configENS1_36segmented_radix_sort_config_selectorI12hip_bfloat16lEEZNS1_25segmented_radix_sort_implIS3_Lb0EPKS5_PS5_PKlPlN2at6native12_GLOBAL__N_18offset_tEEE10hipError_tPvRmT1_PNSt15iterator_traitsISL_E10value_typeET2_T3_PNSM_ISR_E10value_typeET4_jRbjT5_SX_jjP12ihipStream_tbEUlT_E0_NS1_11comp_targetILNS1_3genE10ELNS1_11target_archE1201ELNS1_3gpuE5ELNS1_3repE0EEENS1_60segmented_radix_sort_warp_sort_medium_config_static_selectorELNS0_4arch9wavefront6targetE1EEEvSL_.uses_vcc, 0
	.set _ZN7rocprim17ROCPRIM_400000_NS6detail17trampoline_kernelINS0_14default_configENS1_36segmented_radix_sort_config_selectorI12hip_bfloat16lEEZNS1_25segmented_radix_sort_implIS3_Lb0EPKS5_PS5_PKlPlN2at6native12_GLOBAL__N_18offset_tEEE10hipError_tPvRmT1_PNSt15iterator_traitsISL_E10value_typeET2_T3_PNSM_ISR_E10value_typeET4_jRbjT5_SX_jjP12ihipStream_tbEUlT_E0_NS1_11comp_targetILNS1_3genE10ELNS1_11target_archE1201ELNS1_3gpuE5ELNS1_3repE0EEENS1_60segmented_radix_sort_warp_sort_medium_config_static_selectorELNS0_4arch9wavefront6targetE1EEEvSL_.uses_flat_scratch, 0
	.set _ZN7rocprim17ROCPRIM_400000_NS6detail17trampoline_kernelINS0_14default_configENS1_36segmented_radix_sort_config_selectorI12hip_bfloat16lEEZNS1_25segmented_radix_sort_implIS3_Lb0EPKS5_PS5_PKlPlN2at6native12_GLOBAL__N_18offset_tEEE10hipError_tPvRmT1_PNSt15iterator_traitsISL_E10value_typeET2_T3_PNSM_ISR_E10value_typeET4_jRbjT5_SX_jjP12ihipStream_tbEUlT_E0_NS1_11comp_targetILNS1_3genE10ELNS1_11target_archE1201ELNS1_3gpuE5ELNS1_3repE0EEENS1_60segmented_radix_sort_warp_sort_medium_config_static_selectorELNS0_4arch9wavefront6targetE1EEEvSL_.has_dyn_sized_stack, 0
	.set _ZN7rocprim17ROCPRIM_400000_NS6detail17trampoline_kernelINS0_14default_configENS1_36segmented_radix_sort_config_selectorI12hip_bfloat16lEEZNS1_25segmented_radix_sort_implIS3_Lb0EPKS5_PS5_PKlPlN2at6native12_GLOBAL__N_18offset_tEEE10hipError_tPvRmT1_PNSt15iterator_traitsISL_E10value_typeET2_T3_PNSM_ISR_E10value_typeET4_jRbjT5_SX_jjP12ihipStream_tbEUlT_E0_NS1_11comp_targetILNS1_3genE10ELNS1_11target_archE1201ELNS1_3gpuE5ELNS1_3repE0EEENS1_60segmented_radix_sort_warp_sort_medium_config_static_selectorELNS0_4arch9wavefront6targetE1EEEvSL_.has_recursion, 0
	.set _ZN7rocprim17ROCPRIM_400000_NS6detail17trampoline_kernelINS0_14default_configENS1_36segmented_radix_sort_config_selectorI12hip_bfloat16lEEZNS1_25segmented_radix_sort_implIS3_Lb0EPKS5_PS5_PKlPlN2at6native12_GLOBAL__N_18offset_tEEE10hipError_tPvRmT1_PNSt15iterator_traitsISL_E10value_typeET2_T3_PNSM_ISR_E10value_typeET4_jRbjT5_SX_jjP12ihipStream_tbEUlT_E0_NS1_11comp_targetILNS1_3genE10ELNS1_11target_archE1201ELNS1_3gpuE5ELNS1_3repE0EEENS1_60segmented_radix_sort_warp_sort_medium_config_static_selectorELNS0_4arch9wavefront6targetE1EEEvSL_.has_indirect_call, 0
	.section	.AMDGPU.csdata,"",@progbits
; Kernel info:
; codeLenInByte = 0
; TotalNumSgprs: 4
; NumVgprs: 0
; ScratchSize: 0
; MemoryBound: 0
; FloatMode: 240
; IeeeMode: 1
; LDSByteSize: 0 bytes/workgroup (compile time only)
; SGPRBlocks: 0
; VGPRBlocks: 0
; NumSGPRsForWavesPerEU: 4
; NumVGPRsForWavesPerEU: 1
; Occupancy: 10
; WaveLimiterHint : 0
; COMPUTE_PGM_RSRC2:SCRATCH_EN: 0
; COMPUTE_PGM_RSRC2:USER_SGPR: 6
; COMPUTE_PGM_RSRC2:TRAP_HANDLER: 0
; COMPUTE_PGM_RSRC2:TGID_X_EN: 1
; COMPUTE_PGM_RSRC2:TGID_Y_EN: 0
; COMPUTE_PGM_RSRC2:TGID_Z_EN: 0
; COMPUTE_PGM_RSRC2:TIDIG_COMP_CNT: 0
	.section	.text._ZN7rocprim17ROCPRIM_400000_NS6detail17trampoline_kernelINS0_14default_configENS1_36segmented_radix_sort_config_selectorI12hip_bfloat16lEEZNS1_25segmented_radix_sort_implIS3_Lb0EPKS5_PS5_PKlPlN2at6native12_GLOBAL__N_18offset_tEEE10hipError_tPvRmT1_PNSt15iterator_traitsISL_E10value_typeET2_T3_PNSM_ISR_E10value_typeET4_jRbjT5_SX_jjP12ihipStream_tbEUlT_E0_NS1_11comp_targetILNS1_3genE10ELNS1_11target_archE1200ELNS1_3gpuE4ELNS1_3repE0EEENS1_60segmented_radix_sort_warp_sort_medium_config_static_selectorELNS0_4arch9wavefront6targetE1EEEvSL_,"axG",@progbits,_ZN7rocprim17ROCPRIM_400000_NS6detail17trampoline_kernelINS0_14default_configENS1_36segmented_radix_sort_config_selectorI12hip_bfloat16lEEZNS1_25segmented_radix_sort_implIS3_Lb0EPKS5_PS5_PKlPlN2at6native12_GLOBAL__N_18offset_tEEE10hipError_tPvRmT1_PNSt15iterator_traitsISL_E10value_typeET2_T3_PNSM_ISR_E10value_typeET4_jRbjT5_SX_jjP12ihipStream_tbEUlT_E0_NS1_11comp_targetILNS1_3genE10ELNS1_11target_archE1200ELNS1_3gpuE4ELNS1_3repE0EEENS1_60segmented_radix_sort_warp_sort_medium_config_static_selectorELNS0_4arch9wavefront6targetE1EEEvSL_,comdat
	.globl	_ZN7rocprim17ROCPRIM_400000_NS6detail17trampoline_kernelINS0_14default_configENS1_36segmented_radix_sort_config_selectorI12hip_bfloat16lEEZNS1_25segmented_radix_sort_implIS3_Lb0EPKS5_PS5_PKlPlN2at6native12_GLOBAL__N_18offset_tEEE10hipError_tPvRmT1_PNSt15iterator_traitsISL_E10value_typeET2_T3_PNSM_ISR_E10value_typeET4_jRbjT5_SX_jjP12ihipStream_tbEUlT_E0_NS1_11comp_targetILNS1_3genE10ELNS1_11target_archE1200ELNS1_3gpuE4ELNS1_3repE0EEENS1_60segmented_radix_sort_warp_sort_medium_config_static_selectorELNS0_4arch9wavefront6targetE1EEEvSL_ ; -- Begin function _ZN7rocprim17ROCPRIM_400000_NS6detail17trampoline_kernelINS0_14default_configENS1_36segmented_radix_sort_config_selectorI12hip_bfloat16lEEZNS1_25segmented_radix_sort_implIS3_Lb0EPKS5_PS5_PKlPlN2at6native12_GLOBAL__N_18offset_tEEE10hipError_tPvRmT1_PNSt15iterator_traitsISL_E10value_typeET2_T3_PNSM_ISR_E10value_typeET4_jRbjT5_SX_jjP12ihipStream_tbEUlT_E0_NS1_11comp_targetILNS1_3genE10ELNS1_11target_archE1200ELNS1_3gpuE4ELNS1_3repE0EEENS1_60segmented_radix_sort_warp_sort_medium_config_static_selectorELNS0_4arch9wavefront6targetE1EEEvSL_
	.p2align	8
	.type	_ZN7rocprim17ROCPRIM_400000_NS6detail17trampoline_kernelINS0_14default_configENS1_36segmented_radix_sort_config_selectorI12hip_bfloat16lEEZNS1_25segmented_radix_sort_implIS3_Lb0EPKS5_PS5_PKlPlN2at6native12_GLOBAL__N_18offset_tEEE10hipError_tPvRmT1_PNSt15iterator_traitsISL_E10value_typeET2_T3_PNSM_ISR_E10value_typeET4_jRbjT5_SX_jjP12ihipStream_tbEUlT_E0_NS1_11comp_targetILNS1_3genE10ELNS1_11target_archE1200ELNS1_3gpuE4ELNS1_3repE0EEENS1_60segmented_radix_sort_warp_sort_medium_config_static_selectorELNS0_4arch9wavefront6targetE1EEEvSL_,@function
_ZN7rocprim17ROCPRIM_400000_NS6detail17trampoline_kernelINS0_14default_configENS1_36segmented_radix_sort_config_selectorI12hip_bfloat16lEEZNS1_25segmented_radix_sort_implIS3_Lb0EPKS5_PS5_PKlPlN2at6native12_GLOBAL__N_18offset_tEEE10hipError_tPvRmT1_PNSt15iterator_traitsISL_E10value_typeET2_T3_PNSM_ISR_E10value_typeET4_jRbjT5_SX_jjP12ihipStream_tbEUlT_E0_NS1_11comp_targetILNS1_3genE10ELNS1_11target_archE1200ELNS1_3gpuE4ELNS1_3repE0EEENS1_60segmented_radix_sort_warp_sort_medium_config_static_selectorELNS0_4arch9wavefront6targetE1EEEvSL_: ; @_ZN7rocprim17ROCPRIM_400000_NS6detail17trampoline_kernelINS0_14default_configENS1_36segmented_radix_sort_config_selectorI12hip_bfloat16lEEZNS1_25segmented_radix_sort_implIS3_Lb0EPKS5_PS5_PKlPlN2at6native12_GLOBAL__N_18offset_tEEE10hipError_tPvRmT1_PNSt15iterator_traitsISL_E10value_typeET2_T3_PNSM_ISR_E10value_typeET4_jRbjT5_SX_jjP12ihipStream_tbEUlT_E0_NS1_11comp_targetILNS1_3genE10ELNS1_11target_archE1200ELNS1_3gpuE4ELNS1_3repE0EEENS1_60segmented_radix_sort_warp_sort_medium_config_static_selectorELNS0_4arch9wavefront6targetE1EEEvSL_
; %bb.0:
	.section	.rodata,"a",@progbits
	.p2align	6, 0x0
	.amdhsa_kernel _ZN7rocprim17ROCPRIM_400000_NS6detail17trampoline_kernelINS0_14default_configENS1_36segmented_radix_sort_config_selectorI12hip_bfloat16lEEZNS1_25segmented_radix_sort_implIS3_Lb0EPKS5_PS5_PKlPlN2at6native12_GLOBAL__N_18offset_tEEE10hipError_tPvRmT1_PNSt15iterator_traitsISL_E10value_typeET2_T3_PNSM_ISR_E10value_typeET4_jRbjT5_SX_jjP12ihipStream_tbEUlT_E0_NS1_11comp_targetILNS1_3genE10ELNS1_11target_archE1200ELNS1_3gpuE4ELNS1_3repE0EEENS1_60segmented_radix_sort_warp_sort_medium_config_static_selectorELNS0_4arch9wavefront6targetE1EEEvSL_
		.amdhsa_group_segment_fixed_size 0
		.amdhsa_private_segment_fixed_size 0
		.amdhsa_kernarg_size 88
		.amdhsa_user_sgpr_count 6
		.amdhsa_user_sgpr_private_segment_buffer 1
		.amdhsa_user_sgpr_dispatch_ptr 0
		.amdhsa_user_sgpr_queue_ptr 0
		.amdhsa_user_sgpr_kernarg_segment_ptr 1
		.amdhsa_user_sgpr_dispatch_id 0
		.amdhsa_user_sgpr_flat_scratch_init 0
		.amdhsa_user_sgpr_private_segment_size 0
		.amdhsa_uses_dynamic_stack 0
		.amdhsa_system_sgpr_private_segment_wavefront_offset 0
		.amdhsa_system_sgpr_workgroup_id_x 1
		.amdhsa_system_sgpr_workgroup_id_y 0
		.amdhsa_system_sgpr_workgroup_id_z 0
		.amdhsa_system_sgpr_workgroup_info 0
		.amdhsa_system_vgpr_workitem_id 0
		.amdhsa_next_free_vgpr 1
		.amdhsa_next_free_sgpr 0
		.amdhsa_reserve_vcc 0
		.amdhsa_reserve_flat_scratch 0
		.amdhsa_float_round_mode_32 0
		.amdhsa_float_round_mode_16_64 0
		.amdhsa_float_denorm_mode_32 3
		.amdhsa_float_denorm_mode_16_64 3
		.amdhsa_dx10_clamp 1
		.amdhsa_ieee_mode 1
		.amdhsa_fp16_overflow 0
		.amdhsa_exception_fp_ieee_invalid_op 0
		.amdhsa_exception_fp_denorm_src 0
		.amdhsa_exception_fp_ieee_div_zero 0
		.amdhsa_exception_fp_ieee_overflow 0
		.amdhsa_exception_fp_ieee_underflow 0
		.amdhsa_exception_fp_ieee_inexact 0
		.amdhsa_exception_int_div_zero 0
	.end_amdhsa_kernel
	.section	.text._ZN7rocprim17ROCPRIM_400000_NS6detail17trampoline_kernelINS0_14default_configENS1_36segmented_radix_sort_config_selectorI12hip_bfloat16lEEZNS1_25segmented_radix_sort_implIS3_Lb0EPKS5_PS5_PKlPlN2at6native12_GLOBAL__N_18offset_tEEE10hipError_tPvRmT1_PNSt15iterator_traitsISL_E10value_typeET2_T3_PNSM_ISR_E10value_typeET4_jRbjT5_SX_jjP12ihipStream_tbEUlT_E0_NS1_11comp_targetILNS1_3genE10ELNS1_11target_archE1200ELNS1_3gpuE4ELNS1_3repE0EEENS1_60segmented_radix_sort_warp_sort_medium_config_static_selectorELNS0_4arch9wavefront6targetE1EEEvSL_,"axG",@progbits,_ZN7rocprim17ROCPRIM_400000_NS6detail17trampoline_kernelINS0_14default_configENS1_36segmented_radix_sort_config_selectorI12hip_bfloat16lEEZNS1_25segmented_radix_sort_implIS3_Lb0EPKS5_PS5_PKlPlN2at6native12_GLOBAL__N_18offset_tEEE10hipError_tPvRmT1_PNSt15iterator_traitsISL_E10value_typeET2_T3_PNSM_ISR_E10value_typeET4_jRbjT5_SX_jjP12ihipStream_tbEUlT_E0_NS1_11comp_targetILNS1_3genE10ELNS1_11target_archE1200ELNS1_3gpuE4ELNS1_3repE0EEENS1_60segmented_radix_sort_warp_sort_medium_config_static_selectorELNS0_4arch9wavefront6targetE1EEEvSL_,comdat
.Lfunc_end2066:
	.size	_ZN7rocprim17ROCPRIM_400000_NS6detail17trampoline_kernelINS0_14default_configENS1_36segmented_radix_sort_config_selectorI12hip_bfloat16lEEZNS1_25segmented_radix_sort_implIS3_Lb0EPKS5_PS5_PKlPlN2at6native12_GLOBAL__N_18offset_tEEE10hipError_tPvRmT1_PNSt15iterator_traitsISL_E10value_typeET2_T3_PNSM_ISR_E10value_typeET4_jRbjT5_SX_jjP12ihipStream_tbEUlT_E0_NS1_11comp_targetILNS1_3genE10ELNS1_11target_archE1200ELNS1_3gpuE4ELNS1_3repE0EEENS1_60segmented_radix_sort_warp_sort_medium_config_static_selectorELNS0_4arch9wavefront6targetE1EEEvSL_, .Lfunc_end2066-_ZN7rocprim17ROCPRIM_400000_NS6detail17trampoline_kernelINS0_14default_configENS1_36segmented_radix_sort_config_selectorI12hip_bfloat16lEEZNS1_25segmented_radix_sort_implIS3_Lb0EPKS5_PS5_PKlPlN2at6native12_GLOBAL__N_18offset_tEEE10hipError_tPvRmT1_PNSt15iterator_traitsISL_E10value_typeET2_T3_PNSM_ISR_E10value_typeET4_jRbjT5_SX_jjP12ihipStream_tbEUlT_E0_NS1_11comp_targetILNS1_3genE10ELNS1_11target_archE1200ELNS1_3gpuE4ELNS1_3repE0EEENS1_60segmented_radix_sort_warp_sort_medium_config_static_selectorELNS0_4arch9wavefront6targetE1EEEvSL_
                                        ; -- End function
	.set _ZN7rocprim17ROCPRIM_400000_NS6detail17trampoline_kernelINS0_14default_configENS1_36segmented_radix_sort_config_selectorI12hip_bfloat16lEEZNS1_25segmented_radix_sort_implIS3_Lb0EPKS5_PS5_PKlPlN2at6native12_GLOBAL__N_18offset_tEEE10hipError_tPvRmT1_PNSt15iterator_traitsISL_E10value_typeET2_T3_PNSM_ISR_E10value_typeET4_jRbjT5_SX_jjP12ihipStream_tbEUlT_E0_NS1_11comp_targetILNS1_3genE10ELNS1_11target_archE1200ELNS1_3gpuE4ELNS1_3repE0EEENS1_60segmented_radix_sort_warp_sort_medium_config_static_selectorELNS0_4arch9wavefront6targetE1EEEvSL_.num_vgpr, 0
	.set _ZN7rocprim17ROCPRIM_400000_NS6detail17trampoline_kernelINS0_14default_configENS1_36segmented_radix_sort_config_selectorI12hip_bfloat16lEEZNS1_25segmented_radix_sort_implIS3_Lb0EPKS5_PS5_PKlPlN2at6native12_GLOBAL__N_18offset_tEEE10hipError_tPvRmT1_PNSt15iterator_traitsISL_E10value_typeET2_T3_PNSM_ISR_E10value_typeET4_jRbjT5_SX_jjP12ihipStream_tbEUlT_E0_NS1_11comp_targetILNS1_3genE10ELNS1_11target_archE1200ELNS1_3gpuE4ELNS1_3repE0EEENS1_60segmented_radix_sort_warp_sort_medium_config_static_selectorELNS0_4arch9wavefront6targetE1EEEvSL_.num_agpr, 0
	.set _ZN7rocprim17ROCPRIM_400000_NS6detail17trampoline_kernelINS0_14default_configENS1_36segmented_radix_sort_config_selectorI12hip_bfloat16lEEZNS1_25segmented_radix_sort_implIS3_Lb0EPKS5_PS5_PKlPlN2at6native12_GLOBAL__N_18offset_tEEE10hipError_tPvRmT1_PNSt15iterator_traitsISL_E10value_typeET2_T3_PNSM_ISR_E10value_typeET4_jRbjT5_SX_jjP12ihipStream_tbEUlT_E0_NS1_11comp_targetILNS1_3genE10ELNS1_11target_archE1200ELNS1_3gpuE4ELNS1_3repE0EEENS1_60segmented_radix_sort_warp_sort_medium_config_static_selectorELNS0_4arch9wavefront6targetE1EEEvSL_.numbered_sgpr, 0
	.set _ZN7rocprim17ROCPRIM_400000_NS6detail17trampoline_kernelINS0_14default_configENS1_36segmented_radix_sort_config_selectorI12hip_bfloat16lEEZNS1_25segmented_radix_sort_implIS3_Lb0EPKS5_PS5_PKlPlN2at6native12_GLOBAL__N_18offset_tEEE10hipError_tPvRmT1_PNSt15iterator_traitsISL_E10value_typeET2_T3_PNSM_ISR_E10value_typeET4_jRbjT5_SX_jjP12ihipStream_tbEUlT_E0_NS1_11comp_targetILNS1_3genE10ELNS1_11target_archE1200ELNS1_3gpuE4ELNS1_3repE0EEENS1_60segmented_radix_sort_warp_sort_medium_config_static_selectorELNS0_4arch9wavefront6targetE1EEEvSL_.num_named_barrier, 0
	.set _ZN7rocprim17ROCPRIM_400000_NS6detail17trampoline_kernelINS0_14default_configENS1_36segmented_radix_sort_config_selectorI12hip_bfloat16lEEZNS1_25segmented_radix_sort_implIS3_Lb0EPKS5_PS5_PKlPlN2at6native12_GLOBAL__N_18offset_tEEE10hipError_tPvRmT1_PNSt15iterator_traitsISL_E10value_typeET2_T3_PNSM_ISR_E10value_typeET4_jRbjT5_SX_jjP12ihipStream_tbEUlT_E0_NS1_11comp_targetILNS1_3genE10ELNS1_11target_archE1200ELNS1_3gpuE4ELNS1_3repE0EEENS1_60segmented_radix_sort_warp_sort_medium_config_static_selectorELNS0_4arch9wavefront6targetE1EEEvSL_.private_seg_size, 0
	.set _ZN7rocprim17ROCPRIM_400000_NS6detail17trampoline_kernelINS0_14default_configENS1_36segmented_radix_sort_config_selectorI12hip_bfloat16lEEZNS1_25segmented_radix_sort_implIS3_Lb0EPKS5_PS5_PKlPlN2at6native12_GLOBAL__N_18offset_tEEE10hipError_tPvRmT1_PNSt15iterator_traitsISL_E10value_typeET2_T3_PNSM_ISR_E10value_typeET4_jRbjT5_SX_jjP12ihipStream_tbEUlT_E0_NS1_11comp_targetILNS1_3genE10ELNS1_11target_archE1200ELNS1_3gpuE4ELNS1_3repE0EEENS1_60segmented_radix_sort_warp_sort_medium_config_static_selectorELNS0_4arch9wavefront6targetE1EEEvSL_.uses_vcc, 0
	.set _ZN7rocprim17ROCPRIM_400000_NS6detail17trampoline_kernelINS0_14default_configENS1_36segmented_radix_sort_config_selectorI12hip_bfloat16lEEZNS1_25segmented_radix_sort_implIS3_Lb0EPKS5_PS5_PKlPlN2at6native12_GLOBAL__N_18offset_tEEE10hipError_tPvRmT1_PNSt15iterator_traitsISL_E10value_typeET2_T3_PNSM_ISR_E10value_typeET4_jRbjT5_SX_jjP12ihipStream_tbEUlT_E0_NS1_11comp_targetILNS1_3genE10ELNS1_11target_archE1200ELNS1_3gpuE4ELNS1_3repE0EEENS1_60segmented_radix_sort_warp_sort_medium_config_static_selectorELNS0_4arch9wavefront6targetE1EEEvSL_.uses_flat_scratch, 0
	.set _ZN7rocprim17ROCPRIM_400000_NS6detail17trampoline_kernelINS0_14default_configENS1_36segmented_radix_sort_config_selectorI12hip_bfloat16lEEZNS1_25segmented_radix_sort_implIS3_Lb0EPKS5_PS5_PKlPlN2at6native12_GLOBAL__N_18offset_tEEE10hipError_tPvRmT1_PNSt15iterator_traitsISL_E10value_typeET2_T3_PNSM_ISR_E10value_typeET4_jRbjT5_SX_jjP12ihipStream_tbEUlT_E0_NS1_11comp_targetILNS1_3genE10ELNS1_11target_archE1200ELNS1_3gpuE4ELNS1_3repE0EEENS1_60segmented_radix_sort_warp_sort_medium_config_static_selectorELNS0_4arch9wavefront6targetE1EEEvSL_.has_dyn_sized_stack, 0
	.set _ZN7rocprim17ROCPRIM_400000_NS6detail17trampoline_kernelINS0_14default_configENS1_36segmented_radix_sort_config_selectorI12hip_bfloat16lEEZNS1_25segmented_radix_sort_implIS3_Lb0EPKS5_PS5_PKlPlN2at6native12_GLOBAL__N_18offset_tEEE10hipError_tPvRmT1_PNSt15iterator_traitsISL_E10value_typeET2_T3_PNSM_ISR_E10value_typeET4_jRbjT5_SX_jjP12ihipStream_tbEUlT_E0_NS1_11comp_targetILNS1_3genE10ELNS1_11target_archE1200ELNS1_3gpuE4ELNS1_3repE0EEENS1_60segmented_radix_sort_warp_sort_medium_config_static_selectorELNS0_4arch9wavefront6targetE1EEEvSL_.has_recursion, 0
	.set _ZN7rocprim17ROCPRIM_400000_NS6detail17trampoline_kernelINS0_14default_configENS1_36segmented_radix_sort_config_selectorI12hip_bfloat16lEEZNS1_25segmented_radix_sort_implIS3_Lb0EPKS5_PS5_PKlPlN2at6native12_GLOBAL__N_18offset_tEEE10hipError_tPvRmT1_PNSt15iterator_traitsISL_E10value_typeET2_T3_PNSM_ISR_E10value_typeET4_jRbjT5_SX_jjP12ihipStream_tbEUlT_E0_NS1_11comp_targetILNS1_3genE10ELNS1_11target_archE1200ELNS1_3gpuE4ELNS1_3repE0EEENS1_60segmented_radix_sort_warp_sort_medium_config_static_selectorELNS0_4arch9wavefront6targetE1EEEvSL_.has_indirect_call, 0
	.section	.AMDGPU.csdata,"",@progbits
; Kernel info:
; codeLenInByte = 0
; TotalNumSgprs: 4
; NumVgprs: 0
; ScratchSize: 0
; MemoryBound: 0
; FloatMode: 240
; IeeeMode: 1
; LDSByteSize: 0 bytes/workgroup (compile time only)
; SGPRBlocks: 0
; VGPRBlocks: 0
; NumSGPRsForWavesPerEU: 4
; NumVGPRsForWavesPerEU: 1
; Occupancy: 10
; WaveLimiterHint : 0
; COMPUTE_PGM_RSRC2:SCRATCH_EN: 0
; COMPUTE_PGM_RSRC2:USER_SGPR: 6
; COMPUTE_PGM_RSRC2:TRAP_HANDLER: 0
; COMPUTE_PGM_RSRC2:TGID_X_EN: 1
; COMPUTE_PGM_RSRC2:TGID_Y_EN: 0
; COMPUTE_PGM_RSRC2:TGID_Z_EN: 0
; COMPUTE_PGM_RSRC2:TIDIG_COMP_CNT: 0
	.section	.text._ZN7rocprim17ROCPRIM_400000_NS6detail17trampoline_kernelINS0_14default_configENS1_36segmented_radix_sort_config_selectorI12hip_bfloat16lEEZNS1_25segmented_radix_sort_implIS3_Lb0EPKS5_PS5_PKlPlN2at6native12_GLOBAL__N_18offset_tEEE10hipError_tPvRmT1_PNSt15iterator_traitsISL_E10value_typeET2_T3_PNSM_ISR_E10value_typeET4_jRbjT5_SX_jjP12ihipStream_tbEUlT_E0_NS1_11comp_targetILNS1_3genE9ELNS1_11target_archE1100ELNS1_3gpuE3ELNS1_3repE0EEENS1_60segmented_radix_sort_warp_sort_medium_config_static_selectorELNS0_4arch9wavefront6targetE1EEEvSL_,"axG",@progbits,_ZN7rocprim17ROCPRIM_400000_NS6detail17trampoline_kernelINS0_14default_configENS1_36segmented_radix_sort_config_selectorI12hip_bfloat16lEEZNS1_25segmented_radix_sort_implIS3_Lb0EPKS5_PS5_PKlPlN2at6native12_GLOBAL__N_18offset_tEEE10hipError_tPvRmT1_PNSt15iterator_traitsISL_E10value_typeET2_T3_PNSM_ISR_E10value_typeET4_jRbjT5_SX_jjP12ihipStream_tbEUlT_E0_NS1_11comp_targetILNS1_3genE9ELNS1_11target_archE1100ELNS1_3gpuE3ELNS1_3repE0EEENS1_60segmented_radix_sort_warp_sort_medium_config_static_selectorELNS0_4arch9wavefront6targetE1EEEvSL_,comdat
	.globl	_ZN7rocprim17ROCPRIM_400000_NS6detail17trampoline_kernelINS0_14default_configENS1_36segmented_radix_sort_config_selectorI12hip_bfloat16lEEZNS1_25segmented_radix_sort_implIS3_Lb0EPKS5_PS5_PKlPlN2at6native12_GLOBAL__N_18offset_tEEE10hipError_tPvRmT1_PNSt15iterator_traitsISL_E10value_typeET2_T3_PNSM_ISR_E10value_typeET4_jRbjT5_SX_jjP12ihipStream_tbEUlT_E0_NS1_11comp_targetILNS1_3genE9ELNS1_11target_archE1100ELNS1_3gpuE3ELNS1_3repE0EEENS1_60segmented_radix_sort_warp_sort_medium_config_static_selectorELNS0_4arch9wavefront6targetE1EEEvSL_ ; -- Begin function _ZN7rocprim17ROCPRIM_400000_NS6detail17trampoline_kernelINS0_14default_configENS1_36segmented_radix_sort_config_selectorI12hip_bfloat16lEEZNS1_25segmented_radix_sort_implIS3_Lb0EPKS5_PS5_PKlPlN2at6native12_GLOBAL__N_18offset_tEEE10hipError_tPvRmT1_PNSt15iterator_traitsISL_E10value_typeET2_T3_PNSM_ISR_E10value_typeET4_jRbjT5_SX_jjP12ihipStream_tbEUlT_E0_NS1_11comp_targetILNS1_3genE9ELNS1_11target_archE1100ELNS1_3gpuE3ELNS1_3repE0EEENS1_60segmented_radix_sort_warp_sort_medium_config_static_selectorELNS0_4arch9wavefront6targetE1EEEvSL_
	.p2align	8
	.type	_ZN7rocprim17ROCPRIM_400000_NS6detail17trampoline_kernelINS0_14default_configENS1_36segmented_radix_sort_config_selectorI12hip_bfloat16lEEZNS1_25segmented_radix_sort_implIS3_Lb0EPKS5_PS5_PKlPlN2at6native12_GLOBAL__N_18offset_tEEE10hipError_tPvRmT1_PNSt15iterator_traitsISL_E10value_typeET2_T3_PNSM_ISR_E10value_typeET4_jRbjT5_SX_jjP12ihipStream_tbEUlT_E0_NS1_11comp_targetILNS1_3genE9ELNS1_11target_archE1100ELNS1_3gpuE3ELNS1_3repE0EEENS1_60segmented_radix_sort_warp_sort_medium_config_static_selectorELNS0_4arch9wavefront6targetE1EEEvSL_,@function
_ZN7rocprim17ROCPRIM_400000_NS6detail17trampoline_kernelINS0_14default_configENS1_36segmented_radix_sort_config_selectorI12hip_bfloat16lEEZNS1_25segmented_radix_sort_implIS3_Lb0EPKS5_PS5_PKlPlN2at6native12_GLOBAL__N_18offset_tEEE10hipError_tPvRmT1_PNSt15iterator_traitsISL_E10value_typeET2_T3_PNSM_ISR_E10value_typeET4_jRbjT5_SX_jjP12ihipStream_tbEUlT_E0_NS1_11comp_targetILNS1_3genE9ELNS1_11target_archE1100ELNS1_3gpuE3ELNS1_3repE0EEENS1_60segmented_radix_sort_warp_sort_medium_config_static_selectorELNS0_4arch9wavefront6targetE1EEEvSL_: ; @_ZN7rocprim17ROCPRIM_400000_NS6detail17trampoline_kernelINS0_14default_configENS1_36segmented_radix_sort_config_selectorI12hip_bfloat16lEEZNS1_25segmented_radix_sort_implIS3_Lb0EPKS5_PS5_PKlPlN2at6native12_GLOBAL__N_18offset_tEEE10hipError_tPvRmT1_PNSt15iterator_traitsISL_E10value_typeET2_T3_PNSM_ISR_E10value_typeET4_jRbjT5_SX_jjP12ihipStream_tbEUlT_E0_NS1_11comp_targetILNS1_3genE9ELNS1_11target_archE1100ELNS1_3gpuE3ELNS1_3repE0EEENS1_60segmented_radix_sort_warp_sort_medium_config_static_selectorELNS0_4arch9wavefront6targetE1EEEvSL_
; %bb.0:
	.section	.rodata,"a",@progbits
	.p2align	6, 0x0
	.amdhsa_kernel _ZN7rocprim17ROCPRIM_400000_NS6detail17trampoline_kernelINS0_14default_configENS1_36segmented_radix_sort_config_selectorI12hip_bfloat16lEEZNS1_25segmented_radix_sort_implIS3_Lb0EPKS5_PS5_PKlPlN2at6native12_GLOBAL__N_18offset_tEEE10hipError_tPvRmT1_PNSt15iterator_traitsISL_E10value_typeET2_T3_PNSM_ISR_E10value_typeET4_jRbjT5_SX_jjP12ihipStream_tbEUlT_E0_NS1_11comp_targetILNS1_3genE9ELNS1_11target_archE1100ELNS1_3gpuE3ELNS1_3repE0EEENS1_60segmented_radix_sort_warp_sort_medium_config_static_selectorELNS0_4arch9wavefront6targetE1EEEvSL_
		.amdhsa_group_segment_fixed_size 0
		.amdhsa_private_segment_fixed_size 0
		.amdhsa_kernarg_size 88
		.amdhsa_user_sgpr_count 6
		.amdhsa_user_sgpr_private_segment_buffer 1
		.amdhsa_user_sgpr_dispatch_ptr 0
		.amdhsa_user_sgpr_queue_ptr 0
		.amdhsa_user_sgpr_kernarg_segment_ptr 1
		.amdhsa_user_sgpr_dispatch_id 0
		.amdhsa_user_sgpr_flat_scratch_init 0
		.amdhsa_user_sgpr_private_segment_size 0
		.amdhsa_uses_dynamic_stack 0
		.amdhsa_system_sgpr_private_segment_wavefront_offset 0
		.amdhsa_system_sgpr_workgroup_id_x 1
		.amdhsa_system_sgpr_workgroup_id_y 0
		.amdhsa_system_sgpr_workgroup_id_z 0
		.amdhsa_system_sgpr_workgroup_info 0
		.amdhsa_system_vgpr_workitem_id 0
		.amdhsa_next_free_vgpr 1
		.amdhsa_next_free_sgpr 0
		.amdhsa_reserve_vcc 0
		.amdhsa_reserve_flat_scratch 0
		.amdhsa_float_round_mode_32 0
		.amdhsa_float_round_mode_16_64 0
		.amdhsa_float_denorm_mode_32 3
		.amdhsa_float_denorm_mode_16_64 3
		.amdhsa_dx10_clamp 1
		.amdhsa_ieee_mode 1
		.amdhsa_fp16_overflow 0
		.amdhsa_exception_fp_ieee_invalid_op 0
		.amdhsa_exception_fp_denorm_src 0
		.amdhsa_exception_fp_ieee_div_zero 0
		.amdhsa_exception_fp_ieee_overflow 0
		.amdhsa_exception_fp_ieee_underflow 0
		.amdhsa_exception_fp_ieee_inexact 0
		.amdhsa_exception_int_div_zero 0
	.end_amdhsa_kernel
	.section	.text._ZN7rocprim17ROCPRIM_400000_NS6detail17trampoline_kernelINS0_14default_configENS1_36segmented_radix_sort_config_selectorI12hip_bfloat16lEEZNS1_25segmented_radix_sort_implIS3_Lb0EPKS5_PS5_PKlPlN2at6native12_GLOBAL__N_18offset_tEEE10hipError_tPvRmT1_PNSt15iterator_traitsISL_E10value_typeET2_T3_PNSM_ISR_E10value_typeET4_jRbjT5_SX_jjP12ihipStream_tbEUlT_E0_NS1_11comp_targetILNS1_3genE9ELNS1_11target_archE1100ELNS1_3gpuE3ELNS1_3repE0EEENS1_60segmented_radix_sort_warp_sort_medium_config_static_selectorELNS0_4arch9wavefront6targetE1EEEvSL_,"axG",@progbits,_ZN7rocprim17ROCPRIM_400000_NS6detail17trampoline_kernelINS0_14default_configENS1_36segmented_radix_sort_config_selectorI12hip_bfloat16lEEZNS1_25segmented_radix_sort_implIS3_Lb0EPKS5_PS5_PKlPlN2at6native12_GLOBAL__N_18offset_tEEE10hipError_tPvRmT1_PNSt15iterator_traitsISL_E10value_typeET2_T3_PNSM_ISR_E10value_typeET4_jRbjT5_SX_jjP12ihipStream_tbEUlT_E0_NS1_11comp_targetILNS1_3genE9ELNS1_11target_archE1100ELNS1_3gpuE3ELNS1_3repE0EEENS1_60segmented_radix_sort_warp_sort_medium_config_static_selectorELNS0_4arch9wavefront6targetE1EEEvSL_,comdat
.Lfunc_end2067:
	.size	_ZN7rocprim17ROCPRIM_400000_NS6detail17trampoline_kernelINS0_14default_configENS1_36segmented_radix_sort_config_selectorI12hip_bfloat16lEEZNS1_25segmented_radix_sort_implIS3_Lb0EPKS5_PS5_PKlPlN2at6native12_GLOBAL__N_18offset_tEEE10hipError_tPvRmT1_PNSt15iterator_traitsISL_E10value_typeET2_T3_PNSM_ISR_E10value_typeET4_jRbjT5_SX_jjP12ihipStream_tbEUlT_E0_NS1_11comp_targetILNS1_3genE9ELNS1_11target_archE1100ELNS1_3gpuE3ELNS1_3repE0EEENS1_60segmented_radix_sort_warp_sort_medium_config_static_selectorELNS0_4arch9wavefront6targetE1EEEvSL_, .Lfunc_end2067-_ZN7rocprim17ROCPRIM_400000_NS6detail17trampoline_kernelINS0_14default_configENS1_36segmented_radix_sort_config_selectorI12hip_bfloat16lEEZNS1_25segmented_radix_sort_implIS3_Lb0EPKS5_PS5_PKlPlN2at6native12_GLOBAL__N_18offset_tEEE10hipError_tPvRmT1_PNSt15iterator_traitsISL_E10value_typeET2_T3_PNSM_ISR_E10value_typeET4_jRbjT5_SX_jjP12ihipStream_tbEUlT_E0_NS1_11comp_targetILNS1_3genE9ELNS1_11target_archE1100ELNS1_3gpuE3ELNS1_3repE0EEENS1_60segmented_radix_sort_warp_sort_medium_config_static_selectorELNS0_4arch9wavefront6targetE1EEEvSL_
                                        ; -- End function
	.set _ZN7rocprim17ROCPRIM_400000_NS6detail17trampoline_kernelINS0_14default_configENS1_36segmented_radix_sort_config_selectorI12hip_bfloat16lEEZNS1_25segmented_radix_sort_implIS3_Lb0EPKS5_PS5_PKlPlN2at6native12_GLOBAL__N_18offset_tEEE10hipError_tPvRmT1_PNSt15iterator_traitsISL_E10value_typeET2_T3_PNSM_ISR_E10value_typeET4_jRbjT5_SX_jjP12ihipStream_tbEUlT_E0_NS1_11comp_targetILNS1_3genE9ELNS1_11target_archE1100ELNS1_3gpuE3ELNS1_3repE0EEENS1_60segmented_radix_sort_warp_sort_medium_config_static_selectorELNS0_4arch9wavefront6targetE1EEEvSL_.num_vgpr, 0
	.set _ZN7rocprim17ROCPRIM_400000_NS6detail17trampoline_kernelINS0_14default_configENS1_36segmented_radix_sort_config_selectorI12hip_bfloat16lEEZNS1_25segmented_radix_sort_implIS3_Lb0EPKS5_PS5_PKlPlN2at6native12_GLOBAL__N_18offset_tEEE10hipError_tPvRmT1_PNSt15iterator_traitsISL_E10value_typeET2_T3_PNSM_ISR_E10value_typeET4_jRbjT5_SX_jjP12ihipStream_tbEUlT_E0_NS1_11comp_targetILNS1_3genE9ELNS1_11target_archE1100ELNS1_3gpuE3ELNS1_3repE0EEENS1_60segmented_radix_sort_warp_sort_medium_config_static_selectorELNS0_4arch9wavefront6targetE1EEEvSL_.num_agpr, 0
	.set _ZN7rocprim17ROCPRIM_400000_NS6detail17trampoline_kernelINS0_14default_configENS1_36segmented_radix_sort_config_selectorI12hip_bfloat16lEEZNS1_25segmented_radix_sort_implIS3_Lb0EPKS5_PS5_PKlPlN2at6native12_GLOBAL__N_18offset_tEEE10hipError_tPvRmT1_PNSt15iterator_traitsISL_E10value_typeET2_T3_PNSM_ISR_E10value_typeET4_jRbjT5_SX_jjP12ihipStream_tbEUlT_E0_NS1_11comp_targetILNS1_3genE9ELNS1_11target_archE1100ELNS1_3gpuE3ELNS1_3repE0EEENS1_60segmented_radix_sort_warp_sort_medium_config_static_selectorELNS0_4arch9wavefront6targetE1EEEvSL_.numbered_sgpr, 0
	.set _ZN7rocprim17ROCPRIM_400000_NS6detail17trampoline_kernelINS0_14default_configENS1_36segmented_radix_sort_config_selectorI12hip_bfloat16lEEZNS1_25segmented_radix_sort_implIS3_Lb0EPKS5_PS5_PKlPlN2at6native12_GLOBAL__N_18offset_tEEE10hipError_tPvRmT1_PNSt15iterator_traitsISL_E10value_typeET2_T3_PNSM_ISR_E10value_typeET4_jRbjT5_SX_jjP12ihipStream_tbEUlT_E0_NS1_11comp_targetILNS1_3genE9ELNS1_11target_archE1100ELNS1_3gpuE3ELNS1_3repE0EEENS1_60segmented_radix_sort_warp_sort_medium_config_static_selectorELNS0_4arch9wavefront6targetE1EEEvSL_.num_named_barrier, 0
	.set _ZN7rocprim17ROCPRIM_400000_NS6detail17trampoline_kernelINS0_14default_configENS1_36segmented_radix_sort_config_selectorI12hip_bfloat16lEEZNS1_25segmented_radix_sort_implIS3_Lb0EPKS5_PS5_PKlPlN2at6native12_GLOBAL__N_18offset_tEEE10hipError_tPvRmT1_PNSt15iterator_traitsISL_E10value_typeET2_T3_PNSM_ISR_E10value_typeET4_jRbjT5_SX_jjP12ihipStream_tbEUlT_E0_NS1_11comp_targetILNS1_3genE9ELNS1_11target_archE1100ELNS1_3gpuE3ELNS1_3repE0EEENS1_60segmented_radix_sort_warp_sort_medium_config_static_selectorELNS0_4arch9wavefront6targetE1EEEvSL_.private_seg_size, 0
	.set _ZN7rocprim17ROCPRIM_400000_NS6detail17trampoline_kernelINS0_14default_configENS1_36segmented_radix_sort_config_selectorI12hip_bfloat16lEEZNS1_25segmented_radix_sort_implIS3_Lb0EPKS5_PS5_PKlPlN2at6native12_GLOBAL__N_18offset_tEEE10hipError_tPvRmT1_PNSt15iterator_traitsISL_E10value_typeET2_T3_PNSM_ISR_E10value_typeET4_jRbjT5_SX_jjP12ihipStream_tbEUlT_E0_NS1_11comp_targetILNS1_3genE9ELNS1_11target_archE1100ELNS1_3gpuE3ELNS1_3repE0EEENS1_60segmented_radix_sort_warp_sort_medium_config_static_selectorELNS0_4arch9wavefront6targetE1EEEvSL_.uses_vcc, 0
	.set _ZN7rocprim17ROCPRIM_400000_NS6detail17trampoline_kernelINS0_14default_configENS1_36segmented_radix_sort_config_selectorI12hip_bfloat16lEEZNS1_25segmented_radix_sort_implIS3_Lb0EPKS5_PS5_PKlPlN2at6native12_GLOBAL__N_18offset_tEEE10hipError_tPvRmT1_PNSt15iterator_traitsISL_E10value_typeET2_T3_PNSM_ISR_E10value_typeET4_jRbjT5_SX_jjP12ihipStream_tbEUlT_E0_NS1_11comp_targetILNS1_3genE9ELNS1_11target_archE1100ELNS1_3gpuE3ELNS1_3repE0EEENS1_60segmented_radix_sort_warp_sort_medium_config_static_selectorELNS0_4arch9wavefront6targetE1EEEvSL_.uses_flat_scratch, 0
	.set _ZN7rocprim17ROCPRIM_400000_NS6detail17trampoline_kernelINS0_14default_configENS1_36segmented_radix_sort_config_selectorI12hip_bfloat16lEEZNS1_25segmented_radix_sort_implIS3_Lb0EPKS5_PS5_PKlPlN2at6native12_GLOBAL__N_18offset_tEEE10hipError_tPvRmT1_PNSt15iterator_traitsISL_E10value_typeET2_T3_PNSM_ISR_E10value_typeET4_jRbjT5_SX_jjP12ihipStream_tbEUlT_E0_NS1_11comp_targetILNS1_3genE9ELNS1_11target_archE1100ELNS1_3gpuE3ELNS1_3repE0EEENS1_60segmented_radix_sort_warp_sort_medium_config_static_selectorELNS0_4arch9wavefront6targetE1EEEvSL_.has_dyn_sized_stack, 0
	.set _ZN7rocprim17ROCPRIM_400000_NS6detail17trampoline_kernelINS0_14default_configENS1_36segmented_radix_sort_config_selectorI12hip_bfloat16lEEZNS1_25segmented_radix_sort_implIS3_Lb0EPKS5_PS5_PKlPlN2at6native12_GLOBAL__N_18offset_tEEE10hipError_tPvRmT1_PNSt15iterator_traitsISL_E10value_typeET2_T3_PNSM_ISR_E10value_typeET4_jRbjT5_SX_jjP12ihipStream_tbEUlT_E0_NS1_11comp_targetILNS1_3genE9ELNS1_11target_archE1100ELNS1_3gpuE3ELNS1_3repE0EEENS1_60segmented_radix_sort_warp_sort_medium_config_static_selectorELNS0_4arch9wavefront6targetE1EEEvSL_.has_recursion, 0
	.set _ZN7rocprim17ROCPRIM_400000_NS6detail17trampoline_kernelINS0_14default_configENS1_36segmented_radix_sort_config_selectorI12hip_bfloat16lEEZNS1_25segmented_radix_sort_implIS3_Lb0EPKS5_PS5_PKlPlN2at6native12_GLOBAL__N_18offset_tEEE10hipError_tPvRmT1_PNSt15iterator_traitsISL_E10value_typeET2_T3_PNSM_ISR_E10value_typeET4_jRbjT5_SX_jjP12ihipStream_tbEUlT_E0_NS1_11comp_targetILNS1_3genE9ELNS1_11target_archE1100ELNS1_3gpuE3ELNS1_3repE0EEENS1_60segmented_radix_sort_warp_sort_medium_config_static_selectorELNS0_4arch9wavefront6targetE1EEEvSL_.has_indirect_call, 0
	.section	.AMDGPU.csdata,"",@progbits
; Kernel info:
; codeLenInByte = 0
; TotalNumSgprs: 4
; NumVgprs: 0
; ScratchSize: 0
; MemoryBound: 0
; FloatMode: 240
; IeeeMode: 1
; LDSByteSize: 0 bytes/workgroup (compile time only)
; SGPRBlocks: 0
; VGPRBlocks: 0
; NumSGPRsForWavesPerEU: 4
; NumVGPRsForWavesPerEU: 1
; Occupancy: 10
; WaveLimiterHint : 0
; COMPUTE_PGM_RSRC2:SCRATCH_EN: 0
; COMPUTE_PGM_RSRC2:USER_SGPR: 6
; COMPUTE_PGM_RSRC2:TRAP_HANDLER: 0
; COMPUTE_PGM_RSRC2:TGID_X_EN: 1
; COMPUTE_PGM_RSRC2:TGID_Y_EN: 0
; COMPUTE_PGM_RSRC2:TGID_Z_EN: 0
; COMPUTE_PGM_RSRC2:TIDIG_COMP_CNT: 0
	.section	.text._ZN7rocprim17ROCPRIM_400000_NS6detail17trampoline_kernelINS0_14default_configENS1_36segmented_radix_sort_config_selectorI12hip_bfloat16lEEZNS1_25segmented_radix_sort_implIS3_Lb0EPKS5_PS5_PKlPlN2at6native12_GLOBAL__N_18offset_tEEE10hipError_tPvRmT1_PNSt15iterator_traitsISL_E10value_typeET2_T3_PNSM_ISR_E10value_typeET4_jRbjT5_SX_jjP12ihipStream_tbEUlT_E0_NS1_11comp_targetILNS1_3genE8ELNS1_11target_archE1030ELNS1_3gpuE2ELNS1_3repE0EEENS1_60segmented_radix_sort_warp_sort_medium_config_static_selectorELNS0_4arch9wavefront6targetE1EEEvSL_,"axG",@progbits,_ZN7rocprim17ROCPRIM_400000_NS6detail17trampoline_kernelINS0_14default_configENS1_36segmented_radix_sort_config_selectorI12hip_bfloat16lEEZNS1_25segmented_radix_sort_implIS3_Lb0EPKS5_PS5_PKlPlN2at6native12_GLOBAL__N_18offset_tEEE10hipError_tPvRmT1_PNSt15iterator_traitsISL_E10value_typeET2_T3_PNSM_ISR_E10value_typeET4_jRbjT5_SX_jjP12ihipStream_tbEUlT_E0_NS1_11comp_targetILNS1_3genE8ELNS1_11target_archE1030ELNS1_3gpuE2ELNS1_3repE0EEENS1_60segmented_radix_sort_warp_sort_medium_config_static_selectorELNS0_4arch9wavefront6targetE1EEEvSL_,comdat
	.globl	_ZN7rocprim17ROCPRIM_400000_NS6detail17trampoline_kernelINS0_14default_configENS1_36segmented_radix_sort_config_selectorI12hip_bfloat16lEEZNS1_25segmented_radix_sort_implIS3_Lb0EPKS5_PS5_PKlPlN2at6native12_GLOBAL__N_18offset_tEEE10hipError_tPvRmT1_PNSt15iterator_traitsISL_E10value_typeET2_T3_PNSM_ISR_E10value_typeET4_jRbjT5_SX_jjP12ihipStream_tbEUlT_E0_NS1_11comp_targetILNS1_3genE8ELNS1_11target_archE1030ELNS1_3gpuE2ELNS1_3repE0EEENS1_60segmented_radix_sort_warp_sort_medium_config_static_selectorELNS0_4arch9wavefront6targetE1EEEvSL_ ; -- Begin function _ZN7rocprim17ROCPRIM_400000_NS6detail17trampoline_kernelINS0_14default_configENS1_36segmented_radix_sort_config_selectorI12hip_bfloat16lEEZNS1_25segmented_radix_sort_implIS3_Lb0EPKS5_PS5_PKlPlN2at6native12_GLOBAL__N_18offset_tEEE10hipError_tPvRmT1_PNSt15iterator_traitsISL_E10value_typeET2_T3_PNSM_ISR_E10value_typeET4_jRbjT5_SX_jjP12ihipStream_tbEUlT_E0_NS1_11comp_targetILNS1_3genE8ELNS1_11target_archE1030ELNS1_3gpuE2ELNS1_3repE0EEENS1_60segmented_radix_sort_warp_sort_medium_config_static_selectorELNS0_4arch9wavefront6targetE1EEEvSL_
	.p2align	8
	.type	_ZN7rocprim17ROCPRIM_400000_NS6detail17trampoline_kernelINS0_14default_configENS1_36segmented_radix_sort_config_selectorI12hip_bfloat16lEEZNS1_25segmented_radix_sort_implIS3_Lb0EPKS5_PS5_PKlPlN2at6native12_GLOBAL__N_18offset_tEEE10hipError_tPvRmT1_PNSt15iterator_traitsISL_E10value_typeET2_T3_PNSM_ISR_E10value_typeET4_jRbjT5_SX_jjP12ihipStream_tbEUlT_E0_NS1_11comp_targetILNS1_3genE8ELNS1_11target_archE1030ELNS1_3gpuE2ELNS1_3repE0EEENS1_60segmented_radix_sort_warp_sort_medium_config_static_selectorELNS0_4arch9wavefront6targetE1EEEvSL_,@function
_ZN7rocprim17ROCPRIM_400000_NS6detail17trampoline_kernelINS0_14default_configENS1_36segmented_radix_sort_config_selectorI12hip_bfloat16lEEZNS1_25segmented_radix_sort_implIS3_Lb0EPKS5_PS5_PKlPlN2at6native12_GLOBAL__N_18offset_tEEE10hipError_tPvRmT1_PNSt15iterator_traitsISL_E10value_typeET2_T3_PNSM_ISR_E10value_typeET4_jRbjT5_SX_jjP12ihipStream_tbEUlT_E0_NS1_11comp_targetILNS1_3genE8ELNS1_11target_archE1030ELNS1_3gpuE2ELNS1_3repE0EEENS1_60segmented_radix_sort_warp_sort_medium_config_static_selectorELNS0_4arch9wavefront6targetE1EEEvSL_: ; @_ZN7rocprim17ROCPRIM_400000_NS6detail17trampoline_kernelINS0_14default_configENS1_36segmented_radix_sort_config_selectorI12hip_bfloat16lEEZNS1_25segmented_radix_sort_implIS3_Lb0EPKS5_PS5_PKlPlN2at6native12_GLOBAL__N_18offset_tEEE10hipError_tPvRmT1_PNSt15iterator_traitsISL_E10value_typeET2_T3_PNSM_ISR_E10value_typeET4_jRbjT5_SX_jjP12ihipStream_tbEUlT_E0_NS1_11comp_targetILNS1_3genE8ELNS1_11target_archE1030ELNS1_3gpuE2ELNS1_3repE0EEENS1_60segmented_radix_sort_warp_sort_medium_config_static_selectorELNS0_4arch9wavefront6targetE1EEEvSL_
; %bb.0:
	.section	.rodata,"a",@progbits
	.p2align	6, 0x0
	.amdhsa_kernel _ZN7rocprim17ROCPRIM_400000_NS6detail17trampoline_kernelINS0_14default_configENS1_36segmented_radix_sort_config_selectorI12hip_bfloat16lEEZNS1_25segmented_radix_sort_implIS3_Lb0EPKS5_PS5_PKlPlN2at6native12_GLOBAL__N_18offset_tEEE10hipError_tPvRmT1_PNSt15iterator_traitsISL_E10value_typeET2_T3_PNSM_ISR_E10value_typeET4_jRbjT5_SX_jjP12ihipStream_tbEUlT_E0_NS1_11comp_targetILNS1_3genE8ELNS1_11target_archE1030ELNS1_3gpuE2ELNS1_3repE0EEENS1_60segmented_radix_sort_warp_sort_medium_config_static_selectorELNS0_4arch9wavefront6targetE1EEEvSL_
		.amdhsa_group_segment_fixed_size 0
		.amdhsa_private_segment_fixed_size 0
		.amdhsa_kernarg_size 88
		.amdhsa_user_sgpr_count 6
		.amdhsa_user_sgpr_private_segment_buffer 1
		.amdhsa_user_sgpr_dispatch_ptr 0
		.amdhsa_user_sgpr_queue_ptr 0
		.amdhsa_user_sgpr_kernarg_segment_ptr 1
		.amdhsa_user_sgpr_dispatch_id 0
		.amdhsa_user_sgpr_flat_scratch_init 0
		.amdhsa_user_sgpr_private_segment_size 0
		.amdhsa_uses_dynamic_stack 0
		.amdhsa_system_sgpr_private_segment_wavefront_offset 0
		.amdhsa_system_sgpr_workgroup_id_x 1
		.amdhsa_system_sgpr_workgroup_id_y 0
		.amdhsa_system_sgpr_workgroup_id_z 0
		.amdhsa_system_sgpr_workgroup_info 0
		.amdhsa_system_vgpr_workitem_id 0
		.amdhsa_next_free_vgpr 1
		.amdhsa_next_free_sgpr 0
		.amdhsa_reserve_vcc 0
		.amdhsa_reserve_flat_scratch 0
		.amdhsa_float_round_mode_32 0
		.amdhsa_float_round_mode_16_64 0
		.amdhsa_float_denorm_mode_32 3
		.amdhsa_float_denorm_mode_16_64 3
		.amdhsa_dx10_clamp 1
		.amdhsa_ieee_mode 1
		.amdhsa_fp16_overflow 0
		.amdhsa_exception_fp_ieee_invalid_op 0
		.amdhsa_exception_fp_denorm_src 0
		.amdhsa_exception_fp_ieee_div_zero 0
		.amdhsa_exception_fp_ieee_overflow 0
		.amdhsa_exception_fp_ieee_underflow 0
		.amdhsa_exception_fp_ieee_inexact 0
		.amdhsa_exception_int_div_zero 0
	.end_amdhsa_kernel
	.section	.text._ZN7rocprim17ROCPRIM_400000_NS6detail17trampoline_kernelINS0_14default_configENS1_36segmented_radix_sort_config_selectorI12hip_bfloat16lEEZNS1_25segmented_radix_sort_implIS3_Lb0EPKS5_PS5_PKlPlN2at6native12_GLOBAL__N_18offset_tEEE10hipError_tPvRmT1_PNSt15iterator_traitsISL_E10value_typeET2_T3_PNSM_ISR_E10value_typeET4_jRbjT5_SX_jjP12ihipStream_tbEUlT_E0_NS1_11comp_targetILNS1_3genE8ELNS1_11target_archE1030ELNS1_3gpuE2ELNS1_3repE0EEENS1_60segmented_radix_sort_warp_sort_medium_config_static_selectorELNS0_4arch9wavefront6targetE1EEEvSL_,"axG",@progbits,_ZN7rocprim17ROCPRIM_400000_NS6detail17trampoline_kernelINS0_14default_configENS1_36segmented_radix_sort_config_selectorI12hip_bfloat16lEEZNS1_25segmented_radix_sort_implIS3_Lb0EPKS5_PS5_PKlPlN2at6native12_GLOBAL__N_18offset_tEEE10hipError_tPvRmT1_PNSt15iterator_traitsISL_E10value_typeET2_T3_PNSM_ISR_E10value_typeET4_jRbjT5_SX_jjP12ihipStream_tbEUlT_E0_NS1_11comp_targetILNS1_3genE8ELNS1_11target_archE1030ELNS1_3gpuE2ELNS1_3repE0EEENS1_60segmented_radix_sort_warp_sort_medium_config_static_selectorELNS0_4arch9wavefront6targetE1EEEvSL_,comdat
.Lfunc_end2068:
	.size	_ZN7rocprim17ROCPRIM_400000_NS6detail17trampoline_kernelINS0_14default_configENS1_36segmented_radix_sort_config_selectorI12hip_bfloat16lEEZNS1_25segmented_radix_sort_implIS3_Lb0EPKS5_PS5_PKlPlN2at6native12_GLOBAL__N_18offset_tEEE10hipError_tPvRmT1_PNSt15iterator_traitsISL_E10value_typeET2_T3_PNSM_ISR_E10value_typeET4_jRbjT5_SX_jjP12ihipStream_tbEUlT_E0_NS1_11comp_targetILNS1_3genE8ELNS1_11target_archE1030ELNS1_3gpuE2ELNS1_3repE0EEENS1_60segmented_radix_sort_warp_sort_medium_config_static_selectorELNS0_4arch9wavefront6targetE1EEEvSL_, .Lfunc_end2068-_ZN7rocprim17ROCPRIM_400000_NS6detail17trampoline_kernelINS0_14default_configENS1_36segmented_radix_sort_config_selectorI12hip_bfloat16lEEZNS1_25segmented_radix_sort_implIS3_Lb0EPKS5_PS5_PKlPlN2at6native12_GLOBAL__N_18offset_tEEE10hipError_tPvRmT1_PNSt15iterator_traitsISL_E10value_typeET2_T3_PNSM_ISR_E10value_typeET4_jRbjT5_SX_jjP12ihipStream_tbEUlT_E0_NS1_11comp_targetILNS1_3genE8ELNS1_11target_archE1030ELNS1_3gpuE2ELNS1_3repE0EEENS1_60segmented_radix_sort_warp_sort_medium_config_static_selectorELNS0_4arch9wavefront6targetE1EEEvSL_
                                        ; -- End function
	.set _ZN7rocprim17ROCPRIM_400000_NS6detail17trampoline_kernelINS0_14default_configENS1_36segmented_radix_sort_config_selectorI12hip_bfloat16lEEZNS1_25segmented_radix_sort_implIS3_Lb0EPKS5_PS5_PKlPlN2at6native12_GLOBAL__N_18offset_tEEE10hipError_tPvRmT1_PNSt15iterator_traitsISL_E10value_typeET2_T3_PNSM_ISR_E10value_typeET4_jRbjT5_SX_jjP12ihipStream_tbEUlT_E0_NS1_11comp_targetILNS1_3genE8ELNS1_11target_archE1030ELNS1_3gpuE2ELNS1_3repE0EEENS1_60segmented_radix_sort_warp_sort_medium_config_static_selectorELNS0_4arch9wavefront6targetE1EEEvSL_.num_vgpr, 0
	.set _ZN7rocprim17ROCPRIM_400000_NS6detail17trampoline_kernelINS0_14default_configENS1_36segmented_radix_sort_config_selectorI12hip_bfloat16lEEZNS1_25segmented_radix_sort_implIS3_Lb0EPKS5_PS5_PKlPlN2at6native12_GLOBAL__N_18offset_tEEE10hipError_tPvRmT1_PNSt15iterator_traitsISL_E10value_typeET2_T3_PNSM_ISR_E10value_typeET4_jRbjT5_SX_jjP12ihipStream_tbEUlT_E0_NS1_11comp_targetILNS1_3genE8ELNS1_11target_archE1030ELNS1_3gpuE2ELNS1_3repE0EEENS1_60segmented_radix_sort_warp_sort_medium_config_static_selectorELNS0_4arch9wavefront6targetE1EEEvSL_.num_agpr, 0
	.set _ZN7rocprim17ROCPRIM_400000_NS6detail17trampoline_kernelINS0_14default_configENS1_36segmented_radix_sort_config_selectorI12hip_bfloat16lEEZNS1_25segmented_radix_sort_implIS3_Lb0EPKS5_PS5_PKlPlN2at6native12_GLOBAL__N_18offset_tEEE10hipError_tPvRmT1_PNSt15iterator_traitsISL_E10value_typeET2_T3_PNSM_ISR_E10value_typeET4_jRbjT5_SX_jjP12ihipStream_tbEUlT_E0_NS1_11comp_targetILNS1_3genE8ELNS1_11target_archE1030ELNS1_3gpuE2ELNS1_3repE0EEENS1_60segmented_radix_sort_warp_sort_medium_config_static_selectorELNS0_4arch9wavefront6targetE1EEEvSL_.numbered_sgpr, 0
	.set _ZN7rocprim17ROCPRIM_400000_NS6detail17trampoline_kernelINS0_14default_configENS1_36segmented_radix_sort_config_selectorI12hip_bfloat16lEEZNS1_25segmented_radix_sort_implIS3_Lb0EPKS5_PS5_PKlPlN2at6native12_GLOBAL__N_18offset_tEEE10hipError_tPvRmT1_PNSt15iterator_traitsISL_E10value_typeET2_T3_PNSM_ISR_E10value_typeET4_jRbjT5_SX_jjP12ihipStream_tbEUlT_E0_NS1_11comp_targetILNS1_3genE8ELNS1_11target_archE1030ELNS1_3gpuE2ELNS1_3repE0EEENS1_60segmented_radix_sort_warp_sort_medium_config_static_selectorELNS0_4arch9wavefront6targetE1EEEvSL_.num_named_barrier, 0
	.set _ZN7rocprim17ROCPRIM_400000_NS6detail17trampoline_kernelINS0_14default_configENS1_36segmented_radix_sort_config_selectorI12hip_bfloat16lEEZNS1_25segmented_radix_sort_implIS3_Lb0EPKS5_PS5_PKlPlN2at6native12_GLOBAL__N_18offset_tEEE10hipError_tPvRmT1_PNSt15iterator_traitsISL_E10value_typeET2_T3_PNSM_ISR_E10value_typeET4_jRbjT5_SX_jjP12ihipStream_tbEUlT_E0_NS1_11comp_targetILNS1_3genE8ELNS1_11target_archE1030ELNS1_3gpuE2ELNS1_3repE0EEENS1_60segmented_radix_sort_warp_sort_medium_config_static_selectorELNS0_4arch9wavefront6targetE1EEEvSL_.private_seg_size, 0
	.set _ZN7rocprim17ROCPRIM_400000_NS6detail17trampoline_kernelINS0_14default_configENS1_36segmented_radix_sort_config_selectorI12hip_bfloat16lEEZNS1_25segmented_radix_sort_implIS3_Lb0EPKS5_PS5_PKlPlN2at6native12_GLOBAL__N_18offset_tEEE10hipError_tPvRmT1_PNSt15iterator_traitsISL_E10value_typeET2_T3_PNSM_ISR_E10value_typeET4_jRbjT5_SX_jjP12ihipStream_tbEUlT_E0_NS1_11comp_targetILNS1_3genE8ELNS1_11target_archE1030ELNS1_3gpuE2ELNS1_3repE0EEENS1_60segmented_radix_sort_warp_sort_medium_config_static_selectorELNS0_4arch9wavefront6targetE1EEEvSL_.uses_vcc, 0
	.set _ZN7rocprim17ROCPRIM_400000_NS6detail17trampoline_kernelINS0_14default_configENS1_36segmented_radix_sort_config_selectorI12hip_bfloat16lEEZNS1_25segmented_radix_sort_implIS3_Lb0EPKS5_PS5_PKlPlN2at6native12_GLOBAL__N_18offset_tEEE10hipError_tPvRmT1_PNSt15iterator_traitsISL_E10value_typeET2_T3_PNSM_ISR_E10value_typeET4_jRbjT5_SX_jjP12ihipStream_tbEUlT_E0_NS1_11comp_targetILNS1_3genE8ELNS1_11target_archE1030ELNS1_3gpuE2ELNS1_3repE0EEENS1_60segmented_radix_sort_warp_sort_medium_config_static_selectorELNS0_4arch9wavefront6targetE1EEEvSL_.uses_flat_scratch, 0
	.set _ZN7rocprim17ROCPRIM_400000_NS6detail17trampoline_kernelINS0_14default_configENS1_36segmented_radix_sort_config_selectorI12hip_bfloat16lEEZNS1_25segmented_radix_sort_implIS3_Lb0EPKS5_PS5_PKlPlN2at6native12_GLOBAL__N_18offset_tEEE10hipError_tPvRmT1_PNSt15iterator_traitsISL_E10value_typeET2_T3_PNSM_ISR_E10value_typeET4_jRbjT5_SX_jjP12ihipStream_tbEUlT_E0_NS1_11comp_targetILNS1_3genE8ELNS1_11target_archE1030ELNS1_3gpuE2ELNS1_3repE0EEENS1_60segmented_radix_sort_warp_sort_medium_config_static_selectorELNS0_4arch9wavefront6targetE1EEEvSL_.has_dyn_sized_stack, 0
	.set _ZN7rocprim17ROCPRIM_400000_NS6detail17trampoline_kernelINS0_14default_configENS1_36segmented_radix_sort_config_selectorI12hip_bfloat16lEEZNS1_25segmented_radix_sort_implIS3_Lb0EPKS5_PS5_PKlPlN2at6native12_GLOBAL__N_18offset_tEEE10hipError_tPvRmT1_PNSt15iterator_traitsISL_E10value_typeET2_T3_PNSM_ISR_E10value_typeET4_jRbjT5_SX_jjP12ihipStream_tbEUlT_E0_NS1_11comp_targetILNS1_3genE8ELNS1_11target_archE1030ELNS1_3gpuE2ELNS1_3repE0EEENS1_60segmented_radix_sort_warp_sort_medium_config_static_selectorELNS0_4arch9wavefront6targetE1EEEvSL_.has_recursion, 0
	.set _ZN7rocprim17ROCPRIM_400000_NS6detail17trampoline_kernelINS0_14default_configENS1_36segmented_radix_sort_config_selectorI12hip_bfloat16lEEZNS1_25segmented_radix_sort_implIS3_Lb0EPKS5_PS5_PKlPlN2at6native12_GLOBAL__N_18offset_tEEE10hipError_tPvRmT1_PNSt15iterator_traitsISL_E10value_typeET2_T3_PNSM_ISR_E10value_typeET4_jRbjT5_SX_jjP12ihipStream_tbEUlT_E0_NS1_11comp_targetILNS1_3genE8ELNS1_11target_archE1030ELNS1_3gpuE2ELNS1_3repE0EEENS1_60segmented_radix_sort_warp_sort_medium_config_static_selectorELNS0_4arch9wavefront6targetE1EEEvSL_.has_indirect_call, 0
	.section	.AMDGPU.csdata,"",@progbits
; Kernel info:
; codeLenInByte = 0
; TotalNumSgprs: 4
; NumVgprs: 0
; ScratchSize: 0
; MemoryBound: 0
; FloatMode: 240
; IeeeMode: 1
; LDSByteSize: 0 bytes/workgroup (compile time only)
; SGPRBlocks: 0
; VGPRBlocks: 0
; NumSGPRsForWavesPerEU: 4
; NumVGPRsForWavesPerEU: 1
; Occupancy: 10
; WaveLimiterHint : 0
; COMPUTE_PGM_RSRC2:SCRATCH_EN: 0
; COMPUTE_PGM_RSRC2:USER_SGPR: 6
; COMPUTE_PGM_RSRC2:TRAP_HANDLER: 0
; COMPUTE_PGM_RSRC2:TGID_X_EN: 1
; COMPUTE_PGM_RSRC2:TGID_Y_EN: 0
; COMPUTE_PGM_RSRC2:TGID_Z_EN: 0
; COMPUTE_PGM_RSRC2:TIDIG_COMP_CNT: 0
	.section	.text._ZN7rocprim17ROCPRIM_400000_NS6detail17trampoline_kernelINS0_14default_configENS1_36segmented_radix_sort_config_selectorI12hip_bfloat16lEEZNS1_25segmented_radix_sort_implIS3_Lb0EPKS5_PS5_PKlPlN2at6native12_GLOBAL__N_18offset_tEEE10hipError_tPvRmT1_PNSt15iterator_traitsISL_E10value_typeET2_T3_PNSM_ISR_E10value_typeET4_jRbjT5_SX_jjP12ihipStream_tbEUlT_E1_NS1_11comp_targetILNS1_3genE0ELNS1_11target_archE4294967295ELNS1_3gpuE0ELNS1_3repE0EEENS1_59segmented_radix_sort_warp_sort_small_config_static_selectorELNS0_4arch9wavefront6targetE1EEEvSL_,"axG",@progbits,_ZN7rocprim17ROCPRIM_400000_NS6detail17trampoline_kernelINS0_14default_configENS1_36segmented_radix_sort_config_selectorI12hip_bfloat16lEEZNS1_25segmented_radix_sort_implIS3_Lb0EPKS5_PS5_PKlPlN2at6native12_GLOBAL__N_18offset_tEEE10hipError_tPvRmT1_PNSt15iterator_traitsISL_E10value_typeET2_T3_PNSM_ISR_E10value_typeET4_jRbjT5_SX_jjP12ihipStream_tbEUlT_E1_NS1_11comp_targetILNS1_3genE0ELNS1_11target_archE4294967295ELNS1_3gpuE0ELNS1_3repE0EEENS1_59segmented_radix_sort_warp_sort_small_config_static_selectorELNS0_4arch9wavefront6targetE1EEEvSL_,comdat
	.globl	_ZN7rocprim17ROCPRIM_400000_NS6detail17trampoline_kernelINS0_14default_configENS1_36segmented_radix_sort_config_selectorI12hip_bfloat16lEEZNS1_25segmented_radix_sort_implIS3_Lb0EPKS5_PS5_PKlPlN2at6native12_GLOBAL__N_18offset_tEEE10hipError_tPvRmT1_PNSt15iterator_traitsISL_E10value_typeET2_T3_PNSM_ISR_E10value_typeET4_jRbjT5_SX_jjP12ihipStream_tbEUlT_E1_NS1_11comp_targetILNS1_3genE0ELNS1_11target_archE4294967295ELNS1_3gpuE0ELNS1_3repE0EEENS1_59segmented_radix_sort_warp_sort_small_config_static_selectorELNS0_4arch9wavefront6targetE1EEEvSL_ ; -- Begin function _ZN7rocprim17ROCPRIM_400000_NS6detail17trampoline_kernelINS0_14default_configENS1_36segmented_radix_sort_config_selectorI12hip_bfloat16lEEZNS1_25segmented_radix_sort_implIS3_Lb0EPKS5_PS5_PKlPlN2at6native12_GLOBAL__N_18offset_tEEE10hipError_tPvRmT1_PNSt15iterator_traitsISL_E10value_typeET2_T3_PNSM_ISR_E10value_typeET4_jRbjT5_SX_jjP12ihipStream_tbEUlT_E1_NS1_11comp_targetILNS1_3genE0ELNS1_11target_archE4294967295ELNS1_3gpuE0ELNS1_3repE0EEENS1_59segmented_radix_sort_warp_sort_small_config_static_selectorELNS0_4arch9wavefront6targetE1EEEvSL_
	.p2align	8
	.type	_ZN7rocprim17ROCPRIM_400000_NS6detail17trampoline_kernelINS0_14default_configENS1_36segmented_radix_sort_config_selectorI12hip_bfloat16lEEZNS1_25segmented_radix_sort_implIS3_Lb0EPKS5_PS5_PKlPlN2at6native12_GLOBAL__N_18offset_tEEE10hipError_tPvRmT1_PNSt15iterator_traitsISL_E10value_typeET2_T3_PNSM_ISR_E10value_typeET4_jRbjT5_SX_jjP12ihipStream_tbEUlT_E1_NS1_11comp_targetILNS1_3genE0ELNS1_11target_archE4294967295ELNS1_3gpuE0ELNS1_3repE0EEENS1_59segmented_radix_sort_warp_sort_small_config_static_selectorELNS0_4arch9wavefront6targetE1EEEvSL_,@function
_ZN7rocprim17ROCPRIM_400000_NS6detail17trampoline_kernelINS0_14default_configENS1_36segmented_radix_sort_config_selectorI12hip_bfloat16lEEZNS1_25segmented_radix_sort_implIS3_Lb0EPKS5_PS5_PKlPlN2at6native12_GLOBAL__N_18offset_tEEE10hipError_tPvRmT1_PNSt15iterator_traitsISL_E10value_typeET2_T3_PNSM_ISR_E10value_typeET4_jRbjT5_SX_jjP12ihipStream_tbEUlT_E1_NS1_11comp_targetILNS1_3genE0ELNS1_11target_archE4294967295ELNS1_3gpuE0ELNS1_3repE0EEENS1_59segmented_radix_sort_warp_sort_small_config_static_selectorELNS0_4arch9wavefront6targetE1EEEvSL_: ; @_ZN7rocprim17ROCPRIM_400000_NS6detail17trampoline_kernelINS0_14default_configENS1_36segmented_radix_sort_config_selectorI12hip_bfloat16lEEZNS1_25segmented_radix_sort_implIS3_Lb0EPKS5_PS5_PKlPlN2at6native12_GLOBAL__N_18offset_tEEE10hipError_tPvRmT1_PNSt15iterator_traitsISL_E10value_typeET2_T3_PNSM_ISR_E10value_typeET4_jRbjT5_SX_jjP12ihipStream_tbEUlT_E1_NS1_11comp_targetILNS1_3genE0ELNS1_11target_archE4294967295ELNS1_3gpuE0ELNS1_3repE0EEENS1_59segmented_radix_sort_warp_sort_small_config_static_selectorELNS0_4arch9wavefront6targetE1EEEvSL_
; %bb.0:
	.section	.rodata,"a",@progbits
	.p2align	6, 0x0
	.amdhsa_kernel _ZN7rocprim17ROCPRIM_400000_NS6detail17trampoline_kernelINS0_14default_configENS1_36segmented_radix_sort_config_selectorI12hip_bfloat16lEEZNS1_25segmented_radix_sort_implIS3_Lb0EPKS5_PS5_PKlPlN2at6native12_GLOBAL__N_18offset_tEEE10hipError_tPvRmT1_PNSt15iterator_traitsISL_E10value_typeET2_T3_PNSM_ISR_E10value_typeET4_jRbjT5_SX_jjP12ihipStream_tbEUlT_E1_NS1_11comp_targetILNS1_3genE0ELNS1_11target_archE4294967295ELNS1_3gpuE0ELNS1_3repE0EEENS1_59segmented_radix_sort_warp_sort_small_config_static_selectorELNS0_4arch9wavefront6targetE1EEEvSL_
		.amdhsa_group_segment_fixed_size 0
		.amdhsa_private_segment_fixed_size 0
		.amdhsa_kernarg_size 88
		.amdhsa_user_sgpr_count 6
		.amdhsa_user_sgpr_private_segment_buffer 1
		.amdhsa_user_sgpr_dispatch_ptr 0
		.amdhsa_user_sgpr_queue_ptr 0
		.amdhsa_user_sgpr_kernarg_segment_ptr 1
		.amdhsa_user_sgpr_dispatch_id 0
		.amdhsa_user_sgpr_flat_scratch_init 0
		.amdhsa_user_sgpr_private_segment_size 0
		.amdhsa_uses_dynamic_stack 0
		.amdhsa_system_sgpr_private_segment_wavefront_offset 0
		.amdhsa_system_sgpr_workgroup_id_x 1
		.amdhsa_system_sgpr_workgroup_id_y 0
		.amdhsa_system_sgpr_workgroup_id_z 0
		.amdhsa_system_sgpr_workgroup_info 0
		.amdhsa_system_vgpr_workitem_id 0
		.amdhsa_next_free_vgpr 1
		.amdhsa_next_free_sgpr 0
		.amdhsa_reserve_vcc 0
		.amdhsa_reserve_flat_scratch 0
		.amdhsa_float_round_mode_32 0
		.amdhsa_float_round_mode_16_64 0
		.amdhsa_float_denorm_mode_32 3
		.amdhsa_float_denorm_mode_16_64 3
		.amdhsa_dx10_clamp 1
		.amdhsa_ieee_mode 1
		.amdhsa_fp16_overflow 0
		.amdhsa_exception_fp_ieee_invalid_op 0
		.amdhsa_exception_fp_denorm_src 0
		.amdhsa_exception_fp_ieee_div_zero 0
		.amdhsa_exception_fp_ieee_overflow 0
		.amdhsa_exception_fp_ieee_underflow 0
		.amdhsa_exception_fp_ieee_inexact 0
		.amdhsa_exception_int_div_zero 0
	.end_amdhsa_kernel
	.section	.text._ZN7rocprim17ROCPRIM_400000_NS6detail17trampoline_kernelINS0_14default_configENS1_36segmented_radix_sort_config_selectorI12hip_bfloat16lEEZNS1_25segmented_radix_sort_implIS3_Lb0EPKS5_PS5_PKlPlN2at6native12_GLOBAL__N_18offset_tEEE10hipError_tPvRmT1_PNSt15iterator_traitsISL_E10value_typeET2_T3_PNSM_ISR_E10value_typeET4_jRbjT5_SX_jjP12ihipStream_tbEUlT_E1_NS1_11comp_targetILNS1_3genE0ELNS1_11target_archE4294967295ELNS1_3gpuE0ELNS1_3repE0EEENS1_59segmented_radix_sort_warp_sort_small_config_static_selectorELNS0_4arch9wavefront6targetE1EEEvSL_,"axG",@progbits,_ZN7rocprim17ROCPRIM_400000_NS6detail17trampoline_kernelINS0_14default_configENS1_36segmented_radix_sort_config_selectorI12hip_bfloat16lEEZNS1_25segmented_radix_sort_implIS3_Lb0EPKS5_PS5_PKlPlN2at6native12_GLOBAL__N_18offset_tEEE10hipError_tPvRmT1_PNSt15iterator_traitsISL_E10value_typeET2_T3_PNSM_ISR_E10value_typeET4_jRbjT5_SX_jjP12ihipStream_tbEUlT_E1_NS1_11comp_targetILNS1_3genE0ELNS1_11target_archE4294967295ELNS1_3gpuE0ELNS1_3repE0EEENS1_59segmented_radix_sort_warp_sort_small_config_static_selectorELNS0_4arch9wavefront6targetE1EEEvSL_,comdat
.Lfunc_end2069:
	.size	_ZN7rocprim17ROCPRIM_400000_NS6detail17trampoline_kernelINS0_14default_configENS1_36segmented_radix_sort_config_selectorI12hip_bfloat16lEEZNS1_25segmented_radix_sort_implIS3_Lb0EPKS5_PS5_PKlPlN2at6native12_GLOBAL__N_18offset_tEEE10hipError_tPvRmT1_PNSt15iterator_traitsISL_E10value_typeET2_T3_PNSM_ISR_E10value_typeET4_jRbjT5_SX_jjP12ihipStream_tbEUlT_E1_NS1_11comp_targetILNS1_3genE0ELNS1_11target_archE4294967295ELNS1_3gpuE0ELNS1_3repE0EEENS1_59segmented_radix_sort_warp_sort_small_config_static_selectorELNS0_4arch9wavefront6targetE1EEEvSL_, .Lfunc_end2069-_ZN7rocprim17ROCPRIM_400000_NS6detail17trampoline_kernelINS0_14default_configENS1_36segmented_radix_sort_config_selectorI12hip_bfloat16lEEZNS1_25segmented_radix_sort_implIS3_Lb0EPKS5_PS5_PKlPlN2at6native12_GLOBAL__N_18offset_tEEE10hipError_tPvRmT1_PNSt15iterator_traitsISL_E10value_typeET2_T3_PNSM_ISR_E10value_typeET4_jRbjT5_SX_jjP12ihipStream_tbEUlT_E1_NS1_11comp_targetILNS1_3genE0ELNS1_11target_archE4294967295ELNS1_3gpuE0ELNS1_3repE0EEENS1_59segmented_radix_sort_warp_sort_small_config_static_selectorELNS0_4arch9wavefront6targetE1EEEvSL_
                                        ; -- End function
	.set _ZN7rocprim17ROCPRIM_400000_NS6detail17trampoline_kernelINS0_14default_configENS1_36segmented_radix_sort_config_selectorI12hip_bfloat16lEEZNS1_25segmented_radix_sort_implIS3_Lb0EPKS5_PS5_PKlPlN2at6native12_GLOBAL__N_18offset_tEEE10hipError_tPvRmT1_PNSt15iterator_traitsISL_E10value_typeET2_T3_PNSM_ISR_E10value_typeET4_jRbjT5_SX_jjP12ihipStream_tbEUlT_E1_NS1_11comp_targetILNS1_3genE0ELNS1_11target_archE4294967295ELNS1_3gpuE0ELNS1_3repE0EEENS1_59segmented_radix_sort_warp_sort_small_config_static_selectorELNS0_4arch9wavefront6targetE1EEEvSL_.num_vgpr, 0
	.set _ZN7rocprim17ROCPRIM_400000_NS6detail17trampoline_kernelINS0_14default_configENS1_36segmented_radix_sort_config_selectorI12hip_bfloat16lEEZNS1_25segmented_radix_sort_implIS3_Lb0EPKS5_PS5_PKlPlN2at6native12_GLOBAL__N_18offset_tEEE10hipError_tPvRmT1_PNSt15iterator_traitsISL_E10value_typeET2_T3_PNSM_ISR_E10value_typeET4_jRbjT5_SX_jjP12ihipStream_tbEUlT_E1_NS1_11comp_targetILNS1_3genE0ELNS1_11target_archE4294967295ELNS1_3gpuE0ELNS1_3repE0EEENS1_59segmented_radix_sort_warp_sort_small_config_static_selectorELNS0_4arch9wavefront6targetE1EEEvSL_.num_agpr, 0
	.set _ZN7rocprim17ROCPRIM_400000_NS6detail17trampoline_kernelINS0_14default_configENS1_36segmented_radix_sort_config_selectorI12hip_bfloat16lEEZNS1_25segmented_radix_sort_implIS3_Lb0EPKS5_PS5_PKlPlN2at6native12_GLOBAL__N_18offset_tEEE10hipError_tPvRmT1_PNSt15iterator_traitsISL_E10value_typeET2_T3_PNSM_ISR_E10value_typeET4_jRbjT5_SX_jjP12ihipStream_tbEUlT_E1_NS1_11comp_targetILNS1_3genE0ELNS1_11target_archE4294967295ELNS1_3gpuE0ELNS1_3repE0EEENS1_59segmented_radix_sort_warp_sort_small_config_static_selectorELNS0_4arch9wavefront6targetE1EEEvSL_.numbered_sgpr, 0
	.set _ZN7rocprim17ROCPRIM_400000_NS6detail17trampoline_kernelINS0_14default_configENS1_36segmented_radix_sort_config_selectorI12hip_bfloat16lEEZNS1_25segmented_radix_sort_implIS3_Lb0EPKS5_PS5_PKlPlN2at6native12_GLOBAL__N_18offset_tEEE10hipError_tPvRmT1_PNSt15iterator_traitsISL_E10value_typeET2_T3_PNSM_ISR_E10value_typeET4_jRbjT5_SX_jjP12ihipStream_tbEUlT_E1_NS1_11comp_targetILNS1_3genE0ELNS1_11target_archE4294967295ELNS1_3gpuE0ELNS1_3repE0EEENS1_59segmented_radix_sort_warp_sort_small_config_static_selectorELNS0_4arch9wavefront6targetE1EEEvSL_.num_named_barrier, 0
	.set _ZN7rocprim17ROCPRIM_400000_NS6detail17trampoline_kernelINS0_14default_configENS1_36segmented_radix_sort_config_selectorI12hip_bfloat16lEEZNS1_25segmented_radix_sort_implIS3_Lb0EPKS5_PS5_PKlPlN2at6native12_GLOBAL__N_18offset_tEEE10hipError_tPvRmT1_PNSt15iterator_traitsISL_E10value_typeET2_T3_PNSM_ISR_E10value_typeET4_jRbjT5_SX_jjP12ihipStream_tbEUlT_E1_NS1_11comp_targetILNS1_3genE0ELNS1_11target_archE4294967295ELNS1_3gpuE0ELNS1_3repE0EEENS1_59segmented_radix_sort_warp_sort_small_config_static_selectorELNS0_4arch9wavefront6targetE1EEEvSL_.private_seg_size, 0
	.set _ZN7rocprim17ROCPRIM_400000_NS6detail17trampoline_kernelINS0_14default_configENS1_36segmented_radix_sort_config_selectorI12hip_bfloat16lEEZNS1_25segmented_radix_sort_implIS3_Lb0EPKS5_PS5_PKlPlN2at6native12_GLOBAL__N_18offset_tEEE10hipError_tPvRmT1_PNSt15iterator_traitsISL_E10value_typeET2_T3_PNSM_ISR_E10value_typeET4_jRbjT5_SX_jjP12ihipStream_tbEUlT_E1_NS1_11comp_targetILNS1_3genE0ELNS1_11target_archE4294967295ELNS1_3gpuE0ELNS1_3repE0EEENS1_59segmented_radix_sort_warp_sort_small_config_static_selectorELNS0_4arch9wavefront6targetE1EEEvSL_.uses_vcc, 0
	.set _ZN7rocprim17ROCPRIM_400000_NS6detail17trampoline_kernelINS0_14default_configENS1_36segmented_radix_sort_config_selectorI12hip_bfloat16lEEZNS1_25segmented_radix_sort_implIS3_Lb0EPKS5_PS5_PKlPlN2at6native12_GLOBAL__N_18offset_tEEE10hipError_tPvRmT1_PNSt15iterator_traitsISL_E10value_typeET2_T3_PNSM_ISR_E10value_typeET4_jRbjT5_SX_jjP12ihipStream_tbEUlT_E1_NS1_11comp_targetILNS1_3genE0ELNS1_11target_archE4294967295ELNS1_3gpuE0ELNS1_3repE0EEENS1_59segmented_radix_sort_warp_sort_small_config_static_selectorELNS0_4arch9wavefront6targetE1EEEvSL_.uses_flat_scratch, 0
	.set _ZN7rocprim17ROCPRIM_400000_NS6detail17trampoline_kernelINS0_14default_configENS1_36segmented_radix_sort_config_selectorI12hip_bfloat16lEEZNS1_25segmented_radix_sort_implIS3_Lb0EPKS5_PS5_PKlPlN2at6native12_GLOBAL__N_18offset_tEEE10hipError_tPvRmT1_PNSt15iterator_traitsISL_E10value_typeET2_T3_PNSM_ISR_E10value_typeET4_jRbjT5_SX_jjP12ihipStream_tbEUlT_E1_NS1_11comp_targetILNS1_3genE0ELNS1_11target_archE4294967295ELNS1_3gpuE0ELNS1_3repE0EEENS1_59segmented_radix_sort_warp_sort_small_config_static_selectorELNS0_4arch9wavefront6targetE1EEEvSL_.has_dyn_sized_stack, 0
	.set _ZN7rocprim17ROCPRIM_400000_NS6detail17trampoline_kernelINS0_14default_configENS1_36segmented_radix_sort_config_selectorI12hip_bfloat16lEEZNS1_25segmented_radix_sort_implIS3_Lb0EPKS5_PS5_PKlPlN2at6native12_GLOBAL__N_18offset_tEEE10hipError_tPvRmT1_PNSt15iterator_traitsISL_E10value_typeET2_T3_PNSM_ISR_E10value_typeET4_jRbjT5_SX_jjP12ihipStream_tbEUlT_E1_NS1_11comp_targetILNS1_3genE0ELNS1_11target_archE4294967295ELNS1_3gpuE0ELNS1_3repE0EEENS1_59segmented_radix_sort_warp_sort_small_config_static_selectorELNS0_4arch9wavefront6targetE1EEEvSL_.has_recursion, 0
	.set _ZN7rocprim17ROCPRIM_400000_NS6detail17trampoline_kernelINS0_14default_configENS1_36segmented_radix_sort_config_selectorI12hip_bfloat16lEEZNS1_25segmented_radix_sort_implIS3_Lb0EPKS5_PS5_PKlPlN2at6native12_GLOBAL__N_18offset_tEEE10hipError_tPvRmT1_PNSt15iterator_traitsISL_E10value_typeET2_T3_PNSM_ISR_E10value_typeET4_jRbjT5_SX_jjP12ihipStream_tbEUlT_E1_NS1_11comp_targetILNS1_3genE0ELNS1_11target_archE4294967295ELNS1_3gpuE0ELNS1_3repE0EEENS1_59segmented_radix_sort_warp_sort_small_config_static_selectorELNS0_4arch9wavefront6targetE1EEEvSL_.has_indirect_call, 0
	.section	.AMDGPU.csdata,"",@progbits
; Kernel info:
; codeLenInByte = 0
; TotalNumSgprs: 4
; NumVgprs: 0
; ScratchSize: 0
; MemoryBound: 0
; FloatMode: 240
; IeeeMode: 1
; LDSByteSize: 0 bytes/workgroup (compile time only)
; SGPRBlocks: 0
; VGPRBlocks: 0
; NumSGPRsForWavesPerEU: 4
; NumVGPRsForWavesPerEU: 1
; Occupancy: 10
; WaveLimiterHint : 0
; COMPUTE_PGM_RSRC2:SCRATCH_EN: 0
; COMPUTE_PGM_RSRC2:USER_SGPR: 6
; COMPUTE_PGM_RSRC2:TRAP_HANDLER: 0
; COMPUTE_PGM_RSRC2:TGID_X_EN: 1
; COMPUTE_PGM_RSRC2:TGID_Y_EN: 0
; COMPUTE_PGM_RSRC2:TGID_Z_EN: 0
; COMPUTE_PGM_RSRC2:TIDIG_COMP_CNT: 0
	.section	.text._ZN7rocprim17ROCPRIM_400000_NS6detail17trampoline_kernelINS0_14default_configENS1_36segmented_radix_sort_config_selectorI12hip_bfloat16lEEZNS1_25segmented_radix_sort_implIS3_Lb0EPKS5_PS5_PKlPlN2at6native12_GLOBAL__N_18offset_tEEE10hipError_tPvRmT1_PNSt15iterator_traitsISL_E10value_typeET2_T3_PNSM_ISR_E10value_typeET4_jRbjT5_SX_jjP12ihipStream_tbEUlT_E1_NS1_11comp_targetILNS1_3genE5ELNS1_11target_archE942ELNS1_3gpuE9ELNS1_3repE0EEENS1_59segmented_radix_sort_warp_sort_small_config_static_selectorELNS0_4arch9wavefront6targetE1EEEvSL_,"axG",@progbits,_ZN7rocprim17ROCPRIM_400000_NS6detail17trampoline_kernelINS0_14default_configENS1_36segmented_radix_sort_config_selectorI12hip_bfloat16lEEZNS1_25segmented_radix_sort_implIS3_Lb0EPKS5_PS5_PKlPlN2at6native12_GLOBAL__N_18offset_tEEE10hipError_tPvRmT1_PNSt15iterator_traitsISL_E10value_typeET2_T3_PNSM_ISR_E10value_typeET4_jRbjT5_SX_jjP12ihipStream_tbEUlT_E1_NS1_11comp_targetILNS1_3genE5ELNS1_11target_archE942ELNS1_3gpuE9ELNS1_3repE0EEENS1_59segmented_radix_sort_warp_sort_small_config_static_selectorELNS0_4arch9wavefront6targetE1EEEvSL_,comdat
	.globl	_ZN7rocprim17ROCPRIM_400000_NS6detail17trampoline_kernelINS0_14default_configENS1_36segmented_radix_sort_config_selectorI12hip_bfloat16lEEZNS1_25segmented_radix_sort_implIS3_Lb0EPKS5_PS5_PKlPlN2at6native12_GLOBAL__N_18offset_tEEE10hipError_tPvRmT1_PNSt15iterator_traitsISL_E10value_typeET2_T3_PNSM_ISR_E10value_typeET4_jRbjT5_SX_jjP12ihipStream_tbEUlT_E1_NS1_11comp_targetILNS1_3genE5ELNS1_11target_archE942ELNS1_3gpuE9ELNS1_3repE0EEENS1_59segmented_radix_sort_warp_sort_small_config_static_selectorELNS0_4arch9wavefront6targetE1EEEvSL_ ; -- Begin function _ZN7rocprim17ROCPRIM_400000_NS6detail17trampoline_kernelINS0_14default_configENS1_36segmented_radix_sort_config_selectorI12hip_bfloat16lEEZNS1_25segmented_radix_sort_implIS3_Lb0EPKS5_PS5_PKlPlN2at6native12_GLOBAL__N_18offset_tEEE10hipError_tPvRmT1_PNSt15iterator_traitsISL_E10value_typeET2_T3_PNSM_ISR_E10value_typeET4_jRbjT5_SX_jjP12ihipStream_tbEUlT_E1_NS1_11comp_targetILNS1_3genE5ELNS1_11target_archE942ELNS1_3gpuE9ELNS1_3repE0EEENS1_59segmented_radix_sort_warp_sort_small_config_static_selectorELNS0_4arch9wavefront6targetE1EEEvSL_
	.p2align	8
	.type	_ZN7rocprim17ROCPRIM_400000_NS6detail17trampoline_kernelINS0_14default_configENS1_36segmented_radix_sort_config_selectorI12hip_bfloat16lEEZNS1_25segmented_radix_sort_implIS3_Lb0EPKS5_PS5_PKlPlN2at6native12_GLOBAL__N_18offset_tEEE10hipError_tPvRmT1_PNSt15iterator_traitsISL_E10value_typeET2_T3_PNSM_ISR_E10value_typeET4_jRbjT5_SX_jjP12ihipStream_tbEUlT_E1_NS1_11comp_targetILNS1_3genE5ELNS1_11target_archE942ELNS1_3gpuE9ELNS1_3repE0EEENS1_59segmented_radix_sort_warp_sort_small_config_static_selectorELNS0_4arch9wavefront6targetE1EEEvSL_,@function
_ZN7rocprim17ROCPRIM_400000_NS6detail17trampoline_kernelINS0_14default_configENS1_36segmented_radix_sort_config_selectorI12hip_bfloat16lEEZNS1_25segmented_radix_sort_implIS3_Lb0EPKS5_PS5_PKlPlN2at6native12_GLOBAL__N_18offset_tEEE10hipError_tPvRmT1_PNSt15iterator_traitsISL_E10value_typeET2_T3_PNSM_ISR_E10value_typeET4_jRbjT5_SX_jjP12ihipStream_tbEUlT_E1_NS1_11comp_targetILNS1_3genE5ELNS1_11target_archE942ELNS1_3gpuE9ELNS1_3repE0EEENS1_59segmented_radix_sort_warp_sort_small_config_static_selectorELNS0_4arch9wavefront6targetE1EEEvSL_: ; @_ZN7rocprim17ROCPRIM_400000_NS6detail17trampoline_kernelINS0_14default_configENS1_36segmented_radix_sort_config_selectorI12hip_bfloat16lEEZNS1_25segmented_radix_sort_implIS3_Lb0EPKS5_PS5_PKlPlN2at6native12_GLOBAL__N_18offset_tEEE10hipError_tPvRmT1_PNSt15iterator_traitsISL_E10value_typeET2_T3_PNSM_ISR_E10value_typeET4_jRbjT5_SX_jjP12ihipStream_tbEUlT_E1_NS1_11comp_targetILNS1_3genE5ELNS1_11target_archE942ELNS1_3gpuE9ELNS1_3repE0EEENS1_59segmented_radix_sort_warp_sort_small_config_static_selectorELNS0_4arch9wavefront6targetE1EEEvSL_
; %bb.0:
	.section	.rodata,"a",@progbits
	.p2align	6, 0x0
	.amdhsa_kernel _ZN7rocprim17ROCPRIM_400000_NS6detail17trampoline_kernelINS0_14default_configENS1_36segmented_radix_sort_config_selectorI12hip_bfloat16lEEZNS1_25segmented_radix_sort_implIS3_Lb0EPKS5_PS5_PKlPlN2at6native12_GLOBAL__N_18offset_tEEE10hipError_tPvRmT1_PNSt15iterator_traitsISL_E10value_typeET2_T3_PNSM_ISR_E10value_typeET4_jRbjT5_SX_jjP12ihipStream_tbEUlT_E1_NS1_11comp_targetILNS1_3genE5ELNS1_11target_archE942ELNS1_3gpuE9ELNS1_3repE0EEENS1_59segmented_radix_sort_warp_sort_small_config_static_selectorELNS0_4arch9wavefront6targetE1EEEvSL_
		.amdhsa_group_segment_fixed_size 0
		.amdhsa_private_segment_fixed_size 0
		.amdhsa_kernarg_size 88
		.amdhsa_user_sgpr_count 6
		.amdhsa_user_sgpr_private_segment_buffer 1
		.amdhsa_user_sgpr_dispatch_ptr 0
		.amdhsa_user_sgpr_queue_ptr 0
		.amdhsa_user_sgpr_kernarg_segment_ptr 1
		.amdhsa_user_sgpr_dispatch_id 0
		.amdhsa_user_sgpr_flat_scratch_init 0
		.amdhsa_user_sgpr_private_segment_size 0
		.amdhsa_uses_dynamic_stack 0
		.amdhsa_system_sgpr_private_segment_wavefront_offset 0
		.amdhsa_system_sgpr_workgroup_id_x 1
		.amdhsa_system_sgpr_workgroup_id_y 0
		.amdhsa_system_sgpr_workgroup_id_z 0
		.amdhsa_system_sgpr_workgroup_info 0
		.amdhsa_system_vgpr_workitem_id 0
		.amdhsa_next_free_vgpr 1
		.amdhsa_next_free_sgpr 0
		.amdhsa_reserve_vcc 0
		.amdhsa_reserve_flat_scratch 0
		.amdhsa_float_round_mode_32 0
		.amdhsa_float_round_mode_16_64 0
		.amdhsa_float_denorm_mode_32 3
		.amdhsa_float_denorm_mode_16_64 3
		.amdhsa_dx10_clamp 1
		.amdhsa_ieee_mode 1
		.amdhsa_fp16_overflow 0
		.amdhsa_exception_fp_ieee_invalid_op 0
		.amdhsa_exception_fp_denorm_src 0
		.amdhsa_exception_fp_ieee_div_zero 0
		.amdhsa_exception_fp_ieee_overflow 0
		.amdhsa_exception_fp_ieee_underflow 0
		.amdhsa_exception_fp_ieee_inexact 0
		.amdhsa_exception_int_div_zero 0
	.end_amdhsa_kernel
	.section	.text._ZN7rocprim17ROCPRIM_400000_NS6detail17trampoline_kernelINS0_14default_configENS1_36segmented_radix_sort_config_selectorI12hip_bfloat16lEEZNS1_25segmented_radix_sort_implIS3_Lb0EPKS5_PS5_PKlPlN2at6native12_GLOBAL__N_18offset_tEEE10hipError_tPvRmT1_PNSt15iterator_traitsISL_E10value_typeET2_T3_PNSM_ISR_E10value_typeET4_jRbjT5_SX_jjP12ihipStream_tbEUlT_E1_NS1_11comp_targetILNS1_3genE5ELNS1_11target_archE942ELNS1_3gpuE9ELNS1_3repE0EEENS1_59segmented_radix_sort_warp_sort_small_config_static_selectorELNS0_4arch9wavefront6targetE1EEEvSL_,"axG",@progbits,_ZN7rocprim17ROCPRIM_400000_NS6detail17trampoline_kernelINS0_14default_configENS1_36segmented_radix_sort_config_selectorI12hip_bfloat16lEEZNS1_25segmented_radix_sort_implIS3_Lb0EPKS5_PS5_PKlPlN2at6native12_GLOBAL__N_18offset_tEEE10hipError_tPvRmT1_PNSt15iterator_traitsISL_E10value_typeET2_T3_PNSM_ISR_E10value_typeET4_jRbjT5_SX_jjP12ihipStream_tbEUlT_E1_NS1_11comp_targetILNS1_3genE5ELNS1_11target_archE942ELNS1_3gpuE9ELNS1_3repE0EEENS1_59segmented_radix_sort_warp_sort_small_config_static_selectorELNS0_4arch9wavefront6targetE1EEEvSL_,comdat
.Lfunc_end2070:
	.size	_ZN7rocprim17ROCPRIM_400000_NS6detail17trampoline_kernelINS0_14default_configENS1_36segmented_radix_sort_config_selectorI12hip_bfloat16lEEZNS1_25segmented_radix_sort_implIS3_Lb0EPKS5_PS5_PKlPlN2at6native12_GLOBAL__N_18offset_tEEE10hipError_tPvRmT1_PNSt15iterator_traitsISL_E10value_typeET2_T3_PNSM_ISR_E10value_typeET4_jRbjT5_SX_jjP12ihipStream_tbEUlT_E1_NS1_11comp_targetILNS1_3genE5ELNS1_11target_archE942ELNS1_3gpuE9ELNS1_3repE0EEENS1_59segmented_radix_sort_warp_sort_small_config_static_selectorELNS0_4arch9wavefront6targetE1EEEvSL_, .Lfunc_end2070-_ZN7rocprim17ROCPRIM_400000_NS6detail17trampoline_kernelINS0_14default_configENS1_36segmented_radix_sort_config_selectorI12hip_bfloat16lEEZNS1_25segmented_radix_sort_implIS3_Lb0EPKS5_PS5_PKlPlN2at6native12_GLOBAL__N_18offset_tEEE10hipError_tPvRmT1_PNSt15iterator_traitsISL_E10value_typeET2_T3_PNSM_ISR_E10value_typeET4_jRbjT5_SX_jjP12ihipStream_tbEUlT_E1_NS1_11comp_targetILNS1_3genE5ELNS1_11target_archE942ELNS1_3gpuE9ELNS1_3repE0EEENS1_59segmented_radix_sort_warp_sort_small_config_static_selectorELNS0_4arch9wavefront6targetE1EEEvSL_
                                        ; -- End function
	.set _ZN7rocprim17ROCPRIM_400000_NS6detail17trampoline_kernelINS0_14default_configENS1_36segmented_radix_sort_config_selectorI12hip_bfloat16lEEZNS1_25segmented_radix_sort_implIS3_Lb0EPKS5_PS5_PKlPlN2at6native12_GLOBAL__N_18offset_tEEE10hipError_tPvRmT1_PNSt15iterator_traitsISL_E10value_typeET2_T3_PNSM_ISR_E10value_typeET4_jRbjT5_SX_jjP12ihipStream_tbEUlT_E1_NS1_11comp_targetILNS1_3genE5ELNS1_11target_archE942ELNS1_3gpuE9ELNS1_3repE0EEENS1_59segmented_radix_sort_warp_sort_small_config_static_selectorELNS0_4arch9wavefront6targetE1EEEvSL_.num_vgpr, 0
	.set _ZN7rocprim17ROCPRIM_400000_NS6detail17trampoline_kernelINS0_14default_configENS1_36segmented_radix_sort_config_selectorI12hip_bfloat16lEEZNS1_25segmented_radix_sort_implIS3_Lb0EPKS5_PS5_PKlPlN2at6native12_GLOBAL__N_18offset_tEEE10hipError_tPvRmT1_PNSt15iterator_traitsISL_E10value_typeET2_T3_PNSM_ISR_E10value_typeET4_jRbjT5_SX_jjP12ihipStream_tbEUlT_E1_NS1_11comp_targetILNS1_3genE5ELNS1_11target_archE942ELNS1_3gpuE9ELNS1_3repE0EEENS1_59segmented_radix_sort_warp_sort_small_config_static_selectorELNS0_4arch9wavefront6targetE1EEEvSL_.num_agpr, 0
	.set _ZN7rocprim17ROCPRIM_400000_NS6detail17trampoline_kernelINS0_14default_configENS1_36segmented_radix_sort_config_selectorI12hip_bfloat16lEEZNS1_25segmented_radix_sort_implIS3_Lb0EPKS5_PS5_PKlPlN2at6native12_GLOBAL__N_18offset_tEEE10hipError_tPvRmT1_PNSt15iterator_traitsISL_E10value_typeET2_T3_PNSM_ISR_E10value_typeET4_jRbjT5_SX_jjP12ihipStream_tbEUlT_E1_NS1_11comp_targetILNS1_3genE5ELNS1_11target_archE942ELNS1_3gpuE9ELNS1_3repE0EEENS1_59segmented_radix_sort_warp_sort_small_config_static_selectorELNS0_4arch9wavefront6targetE1EEEvSL_.numbered_sgpr, 0
	.set _ZN7rocprim17ROCPRIM_400000_NS6detail17trampoline_kernelINS0_14default_configENS1_36segmented_radix_sort_config_selectorI12hip_bfloat16lEEZNS1_25segmented_radix_sort_implIS3_Lb0EPKS5_PS5_PKlPlN2at6native12_GLOBAL__N_18offset_tEEE10hipError_tPvRmT1_PNSt15iterator_traitsISL_E10value_typeET2_T3_PNSM_ISR_E10value_typeET4_jRbjT5_SX_jjP12ihipStream_tbEUlT_E1_NS1_11comp_targetILNS1_3genE5ELNS1_11target_archE942ELNS1_3gpuE9ELNS1_3repE0EEENS1_59segmented_radix_sort_warp_sort_small_config_static_selectorELNS0_4arch9wavefront6targetE1EEEvSL_.num_named_barrier, 0
	.set _ZN7rocprim17ROCPRIM_400000_NS6detail17trampoline_kernelINS0_14default_configENS1_36segmented_radix_sort_config_selectorI12hip_bfloat16lEEZNS1_25segmented_radix_sort_implIS3_Lb0EPKS5_PS5_PKlPlN2at6native12_GLOBAL__N_18offset_tEEE10hipError_tPvRmT1_PNSt15iterator_traitsISL_E10value_typeET2_T3_PNSM_ISR_E10value_typeET4_jRbjT5_SX_jjP12ihipStream_tbEUlT_E1_NS1_11comp_targetILNS1_3genE5ELNS1_11target_archE942ELNS1_3gpuE9ELNS1_3repE0EEENS1_59segmented_radix_sort_warp_sort_small_config_static_selectorELNS0_4arch9wavefront6targetE1EEEvSL_.private_seg_size, 0
	.set _ZN7rocprim17ROCPRIM_400000_NS6detail17trampoline_kernelINS0_14default_configENS1_36segmented_radix_sort_config_selectorI12hip_bfloat16lEEZNS1_25segmented_radix_sort_implIS3_Lb0EPKS5_PS5_PKlPlN2at6native12_GLOBAL__N_18offset_tEEE10hipError_tPvRmT1_PNSt15iterator_traitsISL_E10value_typeET2_T3_PNSM_ISR_E10value_typeET4_jRbjT5_SX_jjP12ihipStream_tbEUlT_E1_NS1_11comp_targetILNS1_3genE5ELNS1_11target_archE942ELNS1_3gpuE9ELNS1_3repE0EEENS1_59segmented_radix_sort_warp_sort_small_config_static_selectorELNS0_4arch9wavefront6targetE1EEEvSL_.uses_vcc, 0
	.set _ZN7rocprim17ROCPRIM_400000_NS6detail17trampoline_kernelINS0_14default_configENS1_36segmented_radix_sort_config_selectorI12hip_bfloat16lEEZNS1_25segmented_radix_sort_implIS3_Lb0EPKS5_PS5_PKlPlN2at6native12_GLOBAL__N_18offset_tEEE10hipError_tPvRmT1_PNSt15iterator_traitsISL_E10value_typeET2_T3_PNSM_ISR_E10value_typeET4_jRbjT5_SX_jjP12ihipStream_tbEUlT_E1_NS1_11comp_targetILNS1_3genE5ELNS1_11target_archE942ELNS1_3gpuE9ELNS1_3repE0EEENS1_59segmented_radix_sort_warp_sort_small_config_static_selectorELNS0_4arch9wavefront6targetE1EEEvSL_.uses_flat_scratch, 0
	.set _ZN7rocprim17ROCPRIM_400000_NS6detail17trampoline_kernelINS0_14default_configENS1_36segmented_radix_sort_config_selectorI12hip_bfloat16lEEZNS1_25segmented_radix_sort_implIS3_Lb0EPKS5_PS5_PKlPlN2at6native12_GLOBAL__N_18offset_tEEE10hipError_tPvRmT1_PNSt15iterator_traitsISL_E10value_typeET2_T3_PNSM_ISR_E10value_typeET4_jRbjT5_SX_jjP12ihipStream_tbEUlT_E1_NS1_11comp_targetILNS1_3genE5ELNS1_11target_archE942ELNS1_3gpuE9ELNS1_3repE0EEENS1_59segmented_radix_sort_warp_sort_small_config_static_selectorELNS0_4arch9wavefront6targetE1EEEvSL_.has_dyn_sized_stack, 0
	.set _ZN7rocprim17ROCPRIM_400000_NS6detail17trampoline_kernelINS0_14default_configENS1_36segmented_radix_sort_config_selectorI12hip_bfloat16lEEZNS1_25segmented_radix_sort_implIS3_Lb0EPKS5_PS5_PKlPlN2at6native12_GLOBAL__N_18offset_tEEE10hipError_tPvRmT1_PNSt15iterator_traitsISL_E10value_typeET2_T3_PNSM_ISR_E10value_typeET4_jRbjT5_SX_jjP12ihipStream_tbEUlT_E1_NS1_11comp_targetILNS1_3genE5ELNS1_11target_archE942ELNS1_3gpuE9ELNS1_3repE0EEENS1_59segmented_radix_sort_warp_sort_small_config_static_selectorELNS0_4arch9wavefront6targetE1EEEvSL_.has_recursion, 0
	.set _ZN7rocprim17ROCPRIM_400000_NS6detail17trampoline_kernelINS0_14default_configENS1_36segmented_radix_sort_config_selectorI12hip_bfloat16lEEZNS1_25segmented_radix_sort_implIS3_Lb0EPKS5_PS5_PKlPlN2at6native12_GLOBAL__N_18offset_tEEE10hipError_tPvRmT1_PNSt15iterator_traitsISL_E10value_typeET2_T3_PNSM_ISR_E10value_typeET4_jRbjT5_SX_jjP12ihipStream_tbEUlT_E1_NS1_11comp_targetILNS1_3genE5ELNS1_11target_archE942ELNS1_3gpuE9ELNS1_3repE0EEENS1_59segmented_radix_sort_warp_sort_small_config_static_selectorELNS0_4arch9wavefront6targetE1EEEvSL_.has_indirect_call, 0
	.section	.AMDGPU.csdata,"",@progbits
; Kernel info:
; codeLenInByte = 0
; TotalNumSgprs: 4
; NumVgprs: 0
; ScratchSize: 0
; MemoryBound: 0
; FloatMode: 240
; IeeeMode: 1
; LDSByteSize: 0 bytes/workgroup (compile time only)
; SGPRBlocks: 0
; VGPRBlocks: 0
; NumSGPRsForWavesPerEU: 4
; NumVGPRsForWavesPerEU: 1
; Occupancy: 10
; WaveLimiterHint : 0
; COMPUTE_PGM_RSRC2:SCRATCH_EN: 0
; COMPUTE_PGM_RSRC2:USER_SGPR: 6
; COMPUTE_PGM_RSRC2:TRAP_HANDLER: 0
; COMPUTE_PGM_RSRC2:TGID_X_EN: 1
; COMPUTE_PGM_RSRC2:TGID_Y_EN: 0
; COMPUTE_PGM_RSRC2:TGID_Z_EN: 0
; COMPUTE_PGM_RSRC2:TIDIG_COMP_CNT: 0
	.section	.text._ZN7rocprim17ROCPRIM_400000_NS6detail17trampoline_kernelINS0_14default_configENS1_36segmented_radix_sort_config_selectorI12hip_bfloat16lEEZNS1_25segmented_radix_sort_implIS3_Lb0EPKS5_PS5_PKlPlN2at6native12_GLOBAL__N_18offset_tEEE10hipError_tPvRmT1_PNSt15iterator_traitsISL_E10value_typeET2_T3_PNSM_ISR_E10value_typeET4_jRbjT5_SX_jjP12ihipStream_tbEUlT_E1_NS1_11comp_targetILNS1_3genE4ELNS1_11target_archE910ELNS1_3gpuE8ELNS1_3repE0EEENS1_59segmented_radix_sort_warp_sort_small_config_static_selectorELNS0_4arch9wavefront6targetE1EEEvSL_,"axG",@progbits,_ZN7rocprim17ROCPRIM_400000_NS6detail17trampoline_kernelINS0_14default_configENS1_36segmented_radix_sort_config_selectorI12hip_bfloat16lEEZNS1_25segmented_radix_sort_implIS3_Lb0EPKS5_PS5_PKlPlN2at6native12_GLOBAL__N_18offset_tEEE10hipError_tPvRmT1_PNSt15iterator_traitsISL_E10value_typeET2_T3_PNSM_ISR_E10value_typeET4_jRbjT5_SX_jjP12ihipStream_tbEUlT_E1_NS1_11comp_targetILNS1_3genE4ELNS1_11target_archE910ELNS1_3gpuE8ELNS1_3repE0EEENS1_59segmented_radix_sort_warp_sort_small_config_static_selectorELNS0_4arch9wavefront6targetE1EEEvSL_,comdat
	.globl	_ZN7rocprim17ROCPRIM_400000_NS6detail17trampoline_kernelINS0_14default_configENS1_36segmented_radix_sort_config_selectorI12hip_bfloat16lEEZNS1_25segmented_radix_sort_implIS3_Lb0EPKS5_PS5_PKlPlN2at6native12_GLOBAL__N_18offset_tEEE10hipError_tPvRmT1_PNSt15iterator_traitsISL_E10value_typeET2_T3_PNSM_ISR_E10value_typeET4_jRbjT5_SX_jjP12ihipStream_tbEUlT_E1_NS1_11comp_targetILNS1_3genE4ELNS1_11target_archE910ELNS1_3gpuE8ELNS1_3repE0EEENS1_59segmented_radix_sort_warp_sort_small_config_static_selectorELNS0_4arch9wavefront6targetE1EEEvSL_ ; -- Begin function _ZN7rocprim17ROCPRIM_400000_NS6detail17trampoline_kernelINS0_14default_configENS1_36segmented_radix_sort_config_selectorI12hip_bfloat16lEEZNS1_25segmented_radix_sort_implIS3_Lb0EPKS5_PS5_PKlPlN2at6native12_GLOBAL__N_18offset_tEEE10hipError_tPvRmT1_PNSt15iterator_traitsISL_E10value_typeET2_T3_PNSM_ISR_E10value_typeET4_jRbjT5_SX_jjP12ihipStream_tbEUlT_E1_NS1_11comp_targetILNS1_3genE4ELNS1_11target_archE910ELNS1_3gpuE8ELNS1_3repE0EEENS1_59segmented_radix_sort_warp_sort_small_config_static_selectorELNS0_4arch9wavefront6targetE1EEEvSL_
	.p2align	8
	.type	_ZN7rocprim17ROCPRIM_400000_NS6detail17trampoline_kernelINS0_14default_configENS1_36segmented_radix_sort_config_selectorI12hip_bfloat16lEEZNS1_25segmented_radix_sort_implIS3_Lb0EPKS5_PS5_PKlPlN2at6native12_GLOBAL__N_18offset_tEEE10hipError_tPvRmT1_PNSt15iterator_traitsISL_E10value_typeET2_T3_PNSM_ISR_E10value_typeET4_jRbjT5_SX_jjP12ihipStream_tbEUlT_E1_NS1_11comp_targetILNS1_3genE4ELNS1_11target_archE910ELNS1_3gpuE8ELNS1_3repE0EEENS1_59segmented_radix_sort_warp_sort_small_config_static_selectorELNS0_4arch9wavefront6targetE1EEEvSL_,@function
_ZN7rocprim17ROCPRIM_400000_NS6detail17trampoline_kernelINS0_14default_configENS1_36segmented_radix_sort_config_selectorI12hip_bfloat16lEEZNS1_25segmented_radix_sort_implIS3_Lb0EPKS5_PS5_PKlPlN2at6native12_GLOBAL__N_18offset_tEEE10hipError_tPvRmT1_PNSt15iterator_traitsISL_E10value_typeET2_T3_PNSM_ISR_E10value_typeET4_jRbjT5_SX_jjP12ihipStream_tbEUlT_E1_NS1_11comp_targetILNS1_3genE4ELNS1_11target_archE910ELNS1_3gpuE8ELNS1_3repE0EEENS1_59segmented_radix_sort_warp_sort_small_config_static_selectorELNS0_4arch9wavefront6targetE1EEEvSL_: ; @_ZN7rocprim17ROCPRIM_400000_NS6detail17trampoline_kernelINS0_14default_configENS1_36segmented_radix_sort_config_selectorI12hip_bfloat16lEEZNS1_25segmented_radix_sort_implIS3_Lb0EPKS5_PS5_PKlPlN2at6native12_GLOBAL__N_18offset_tEEE10hipError_tPvRmT1_PNSt15iterator_traitsISL_E10value_typeET2_T3_PNSM_ISR_E10value_typeET4_jRbjT5_SX_jjP12ihipStream_tbEUlT_E1_NS1_11comp_targetILNS1_3genE4ELNS1_11target_archE910ELNS1_3gpuE8ELNS1_3repE0EEENS1_59segmented_radix_sort_warp_sort_small_config_static_selectorELNS0_4arch9wavefront6targetE1EEEvSL_
; %bb.0:
	.section	.rodata,"a",@progbits
	.p2align	6, 0x0
	.amdhsa_kernel _ZN7rocprim17ROCPRIM_400000_NS6detail17trampoline_kernelINS0_14default_configENS1_36segmented_radix_sort_config_selectorI12hip_bfloat16lEEZNS1_25segmented_radix_sort_implIS3_Lb0EPKS5_PS5_PKlPlN2at6native12_GLOBAL__N_18offset_tEEE10hipError_tPvRmT1_PNSt15iterator_traitsISL_E10value_typeET2_T3_PNSM_ISR_E10value_typeET4_jRbjT5_SX_jjP12ihipStream_tbEUlT_E1_NS1_11comp_targetILNS1_3genE4ELNS1_11target_archE910ELNS1_3gpuE8ELNS1_3repE0EEENS1_59segmented_radix_sort_warp_sort_small_config_static_selectorELNS0_4arch9wavefront6targetE1EEEvSL_
		.amdhsa_group_segment_fixed_size 0
		.amdhsa_private_segment_fixed_size 0
		.amdhsa_kernarg_size 88
		.amdhsa_user_sgpr_count 6
		.amdhsa_user_sgpr_private_segment_buffer 1
		.amdhsa_user_sgpr_dispatch_ptr 0
		.amdhsa_user_sgpr_queue_ptr 0
		.amdhsa_user_sgpr_kernarg_segment_ptr 1
		.amdhsa_user_sgpr_dispatch_id 0
		.amdhsa_user_sgpr_flat_scratch_init 0
		.amdhsa_user_sgpr_private_segment_size 0
		.amdhsa_uses_dynamic_stack 0
		.amdhsa_system_sgpr_private_segment_wavefront_offset 0
		.amdhsa_system_sgpr_workgroup_id_x 1
		.amdhsa_system_sgpr_workgroup_id_y 0
		.amdhsa_system_sgpr_workgroup_id_z 0
		.amdhsa_system_sgpr_workgroup_info 0
		.amdhsa_system_vgpr_workitem_id 0
		.amdhsa_next_free_vgpr 1
		.amdhsa_next_free_sgpr 0
		.amdhsa_reserve_vcc 0
		.amdhsa_reserve_flat_scratch 0
		.amdhsa_float_round_mode_32 0
		.amdhsa_float_round_mode_16_64 0
		.amdhsa_float_denorm_mode_32 3
		.amdhsa_float_denorm_mode_16_64 3
		.amdhsa_dx10_clamp 1
		.amdhsa_ieee_mode 1
		.amdhsa_fp16_overflow 0
		.amdhsa_exception_fp_ieee_invalid_op 0
		.amdhsa_exception_fp_denorm_src 0
		.amdhsa_exception_fp_ieee_div_zero 0
		.amdhsa_exception_fp_ieee_overflow 0
		.amdhsa_exception_fp_ieee_underflow 0
		.amdhsa_exception_fp_ieee_inexact 0
		.amdhsa_exception_int_div_zero 0
	.end_amdhsa_kernel
	.section	.text._ZN7rocprim17ROCPRIM_400000_NS6detail17trampoline_kernelINS0_14default_configENS1_36segmented_radix_sort_config_selectorI12hip_bfloat16lEEZNS1_25segmented_radix_sort_implIS3_Lb0EPKS5_PS5_PKlPlN2at6native12_GLOBAL__N_18offset_tEEE10hipError_tPvRmT1_PNSt15iterator_traitsISL_E10value_typeET2_T3_PNSM_ISR_E10value_typeET4_jRbjT5_SX_jjP12ihipStream_tbEUlT_E1_NS1_11comp_targetILNS1_3genE4ELNS1_11target_archE910ELNS1_3gpuE8ELNS1_3repE0EEENS1_59segmented_radix_sort_warp_sort_small_config_static_selectorELNS0_4arch9wavefront6targetE1EEEvSL_,"axG",@progbits,_ZN7rocprim17ROCPRIM_400000_NS6detail17trampoline_kernelINS0_14default_configENS1_36segmented_radix_sort_config_selectorI12hip_bfloat16lEEZNS1_25segmented_radix_sort_implIS3_Lb0EPKS5_PS5_PKlPlN2at6native12_GLOBAL__N_18offset_tEEE10hipError_tPvRmT1_PNSt15iterator_traitsISL_E10value_typeET2_T3_PNSM_ISR_E10value_typeET4_jRbjT5_SX_jjP12ihipStream_tbEUlT_E1_NS1_11comp_targetILNS1_3genE4ELNS1_11target_archE910ELNS1_3gpuE8ELNS1_3repE0EEENS1_59segmented_radix_sort_warp_sort_small_config_static_selectorELNS0_4arch9wavefront6targetE1EEEvSL_,comdat
.Lfunc_end2071:
	.size	_ZN7rocprim17ROCPRIM_400000_NS6detail17trampoline_kernelINS0_14default_configENS1_36segmented_radix_sort_config_selectorI12hip_bfloat16lEEZNS1_25segmented_radix_sort_implIS3_Lb0EPKS5_PS5_PKlPlN2at6native12_GLOBAL__N_18offset_tEEE10hipError_tPvRmT1_PNSt15iterator_traitsISL_E10value_typeET2_T3_PNSM_ISR_E10value_typeET4_jRbjT5_SX_jjP12ihipStream_tbEUlT_E1_NS1_11comp_targetILNS1_3genE4ELNS1_11target_archE910ELNS1_3gpuE8ELNS1_3repE0EEENS1_59segmented_radix_sort_warp_sort_small_config_static_selectorELNS0_4arch9wavefront6targetE1EEEvSL_, .Lfunc_end2071-_ZN7rocprim17ROCPRIM_400000_NS6detail17trampoline_kernelINS0_14default_configENS1_36segmented_radix_sort_config_selectorI12hip_bfloat16lEEZNS1_25segmented_radix_sort_implIS3_Lb0EPKS5_PS5_PKlPlN2at6native12_GLOBAL__N_18offset_tEEE10hipError_tPvRmT1_PNSt15iterator_traitsISL_E10value_typeET2_T3_PNSM_ISR_E10value_typeET4_jRbjT5_SX_jjP12ihipStream_tbEUlT_E1_NS1_11comp_targetILNS1_3genE4ELNS1_11target_archE910ELNS1_3gpuE8ELNS1_3repE0EEENS1_59segmented_radix_sort_warp_sort_small_config_static_selectorELNS0_4arch9wavefront6targetE1EEEvSL_
                                        ; -- End function
	.set _ZN7rocprim17ROCPRIM_400000_NS6detail17trampoline_kernelINS0_14default_configENS1_36segmented_radix_sort_config_selectorI12hip_bfloat16lEEZNS1_25segmented_radix_sort_implIS3_Lb0EPKS5_PS5_PKlPlN2at6native12_GLOBAL__N_18offset_tEEE10hipError_tPvRmT1_PNSt15iterator_traitsISL_E10value_typeET2_T3_PNSM_ISR_E10value_typeET4_jRbjT5_SX_jjP12ihipStream_tbEUlT_E1_NS1_11comp_targetILNS1_3genE4ELNS1_11target_archE910ELNS1_3gpuE8ELNS1_3repE0EEENS1_59segmented_radix_sort_warp_sort_small_config_static_selectorELNS0_4arch9wavefront6targetE1EEEvSL_.num_vgpr, 0
	.set _ZN7rocprim17ROCPRIM_400000_NS6detail17trampoline_kernelINS0_14default_configENS1_36segmented_radix_sort_config_selectorI12hip_bfloat16lEEZNS1_25segmented_radix_sort_implIS3_Lb0EPKS5_PS5_PKlPlN2at6native12_GLOBAL__N_18offset_tEEE10hipError_tPvRmT1_PNSt15iterator_traitsISL_E10value_typeET2_T3_PNSM_ISR_E10value_typeET4_jRbjT5_SX_jjP12ihipStream_tbEUlT_E1_NS1_11comp_targetILNS1_3genE4ELNS1_11target_archE910ELNS1_3gpuE8ELNS1_3repE0EEENS1_59segmented_radix_sort_warp_sort_small_config_static_selectorELNS0_4arch9wavefront6targetE1EEEvSL_.num_agpr, 0
	.set _ZN7rocprim17ROCPRIM_400000_NS6detail17trampoline_kernelINS0_14default_configENS1_36segmented_radix_sort_config_selectorI12hip_bfloat16lEEZNS1_25segmented_radix_sort_implIS3_Lb0EPKS5_PS5_PKlPlN2at6native12_GLOBAL__N_18offset_tEEE10hipError_tPvRmT1_PNSt15iterator_traitsISL_E10value_typeET2_T3_PNSM_ISR_E10value_typeET4_jRbjT5_SX_jjP12ihipStream_tbEUlT_E1_NS1_11comp_targetILNS1_3genE4ELNS1_11target_archE910ELNS1_3gpuE8ELNS1_3repE0EEENS1_59segmented_radix_sort_warp_sort_small_config_static_selectorELNS0_4arch9wavefront6targetE1EEEvSL_.numbered_sgpr, 0
	.set _ZN7rocprim17ROCPRIM_400000_NS6detail17trampoline_kernelINS0_14default_configENS1_36segmented_radix_sort_config_selectorI12hip_bfloat16lEEZNS1_25segmented_radix_sort_implIS3_Lb0EPKS5_PS5_PKlPlN2at6native12_GLOBAL__N_18offset_tEEE10hipError_tPvRmT1_PNSt15iterator_traitsISL_E10value_typeET2_T3_PNSM_ISR_E10value_typeET4_jRbjT5_SX_jjP12ihipStream_tbEUlT_E1_NS1_11comp_targetILNS1_3genE4ELNS1_11target_archE910ELNS1_3gpuE8ELNS1_3repE0EEENS1_59segmented_radix_sort_warp_sort_small_config_static_selectorELNS0_4arch9wavefront6targetE1EEEvSL_.num_named_barrier, 0
	.set _ZN7rocprim17ROCPRIM_400000_NS6detail17trampoline_kernelINS0_14default_configENS1_36segmented_radix_sort_config_selectorI12hip_bfloat16lEEZNS1_25segmented_radix_sort_implIS3_Lb0EPKS5_PS5_PKlPlN2at6native12_GLOBAL__N_18offset_tEEE10hipError_tPvRmT1_PNSt15iterator_traitsISL_E10value_typeET2_T3_PNSM_ISR_E10value_typeET4_jRbjT5_SX_jjP12ihipStream_tbEUlT_E1_NS1_11comp_targetILNS1_3genE4ELNS1_11target_archE910ELNS1_3gpuE8ELNS1_3repE0EEENS1_59segmented_radix_sort_warp_sort_small_config_static_selectorELNS0_4arch9wavefront6targetE1EEEvSL_.private_seg_size, 0
	.set _ZN7rocprim17ROCPRIM_400000_NS6detail17trampoline_kernelINS0_14default_configENS1_36segmented_radix_sort_config_selectorI12hip_bfloat16lEEZNS1_25segmented_radix_sort_implIS3_Lb0EPKS5_PS5_PKlPlN2at6native12_GLOBAL__N_18offset_tEEE10hipError_tPvRmT1_PNSt15iterator_traitsISL_E10value_typeET2_T3_PNSM_ISR_E10value_typeET4_jRbjT5_SX_jjP12ihipStream_tbEUlT_E1_NS1_11comp_targetILNS1_3genE4ELNS1_11target_archE910ELNS1_3gpuE8ELNS1_3repE0EEENS1_59segmented_radix_sort_warp_sort_small_config_static_selectorELNS0_4arch9wavefront6targetE1EEEvSL_.uses_vcc, 0
	.set _ZN7rocprim17ROCPRIM_400000_NS6detail17trampoline_kernelINS0_14default_configENS1_36segmented_radix_sort_config_selectorI12hip_bfloat16lEEZNS1_25segmented_radix_sort_implIS3_Lb0EPKS5_PS5_PKlPlN2at6native12_GLOBAL__N_18offset_tEEE10hipError_tPvRmT1_PNSt15iterator_traitsISL_E10value_typeET2_T3_PNSM_ISR_E10value_typeET4_jRbjT5_SX_jjP12ihipStream_tbEUlT_E1_NS1_11comp_targetILNS1_3genE4ELNS1_11target_archE910ELNS1_3gpuE8ELNS1_3repE0EEENS1_59segmented_radix_sort_warp_sort_small_config_static_selectorELNS0_4arch9wavefront6targetE1EEEvSL_.uses_flat_scratch, 0
	.set _ZN7rocprim17ROCPRIM_400000_NS6detail17trampoline_kernelINS0_14default_configENS1_36segmented_radix_sort_config_selectorI12hip_bfloat16lEEZNS1_25segmented_radix_sort_implIS3_Lb0EPKS5_PS5_PKlPlN2at6native12_GLOBAL__N_18offset_tEEE10hipError_tPvRmT1_PNSt15iterator_traitsISL_E10value_typeET2_T3_PNSM_ISR_E10value_typeET4_jRbjT5_SX_jjP12ihipStream_tbEUlT_E1_NS1_11comp_targetILNS1_3genE4ELNS1_11target_archE910ELNS1_3gpuE8ELNS1_3repE0EEENS1_59segmented_radix_sort_warp_sort_small_config_static_selectorELNS0_4arch9wavefront6targetE1EEEvSL_.has_dyn_sized_stack, 0
	.set _ZN7rocprim17ROCPRIM_400000_NS6detail17trampoline_kernelINS0_14default_configENS1_36segmented_radix_sort_config_selectorI12hip_bfloat16lEEZNS1_25segmented_radix_sort_implIS3_Lb0EPKS5_PS5_PKlPlN2at6native12_GLOBAL__N_18offset_tEEE10hipError_tPvRmT1_PNSt15iterator_traitsISL_E10value_typeET2_T3_PNSM_ISR_E10value_typeET4_jRbjT5_SX_jjP12ihipStream_tbEUlT_E1_NS1_11comp_targetILNS1_3genE4ELNS1_11target_archE910ELNS1_3gpuE8ELNS1_3repE0EEENS1_59segmented_radix_sort_warp_sort_small_config_static_selectorELNS0_4arch9wavefront6targetE1EEEvSL_.has_recursion, 0
	.set _ZN7rocprim17ROCPRIM_400000_NS6detail17trampoline_kernelINS0_14default_configENS1_36segmented_radix_sort_config_selectorI12hip_bfloat16lEEZNS1_25segmented_radix_sort_implIS3_Lb0EPKS5_PS5_PKlPlN2at6native12_GLOBAL__N_18offset_tEEE10hipError_tPvRmT1_PNSt15iterator_traitsISL_E10value_typeET2_T3_PNSM_ISR_E10value_typeET4_jRbjT5_SX_jjP12ihipStream_tbEUlT_E1_NS1_11comp_targetILNS1_3genE4ELNS1_11target_archE910ELNS1_3gpuE8ELNS1_3repE0EEENS1_59segmented_radix_sort_warp_sort_small_config_static_selectorELNS0_4arch9wavefront6targetE1EEEvSL_.has_indirect_call, 0
	.section	.AMDGPU.csdata,"",@progbits
; Kernel info:
; codeLenInByte = 0
; TotalNumSgprs: 4
; NumVgprs: 0
; ScratchSize: 0
; MemoryBound: 0
; FloatMode: 240
; IeeeMode: 1
; LDSByteSize: 0 bytes/workgroup (compile time only)
; SGPRBlocks: 0
; VGPRBlocks: 0
; NumSGPRsForWavesPerEU: 4
; NumVGPRsForWavesPerEU: 1
; Occupancy: 10
; WaveLimiterHint : 0
; COMPUTE_PGM_RSRC2:SCRATCH_EN: 0
; COMPUTE_PGM_RSRC2:USER_SGPR: 6
; COMPUTE_PGM_RSRC2:TRAP_HANDLER: 0
; COMPUTE_PGM_RSRC2:TGID_X_EN: 1
; COMPUTE_PGM_RSRC2:TGID_Y_EN: 0
; COMPUTE_PGM_RSRC2:TGID_Z_EN: 0
; COMPUTE_PGM_RSRC2:TIDIG_COMP_CNT: 0
	.section	.text._ZN7rocprim17ROCPRIM_400000_NS6detail17trampoline_kernelINS0_14default_configENS1_36segmented_radix_sort_config_selectorI12hip_bfloat16lEEZNS1_25segmented_radix_sort_implIS3_Lb0EPKS5_PS5_PKlPlN2at6native12_GLOBAL__N_18offset_tEEE10hipError_tPvRmT1_PNSt15iterator_traitsISL_E10value_typeET2_T3_PNSM_ISR_E10value_typeET4_jRbjT5_SX_jjP12ihipStream_tbEUlT_E1_NS1_11comp_targetILNS1_3genE3ELNS1_11target_archE908ELNS1_3gpuE7ELNS1_3repE0EEENS1_59segmented_radix_sort_warp_sort_small_config_static_selectorELNS0_4arch9wavefront6targetE1EEEvSL_,"axG",@progbits,_ZN7rocprim17ROCPRIM_400000_NS6detail17trampoline_kernelINS0_14default_configENS1_36segmented_radix_sort_config_selectorI12hip_bfloat16lEEZNS1_25segmented_radix_sort_implIS3_Lb0EPKS5_PS5_PKlPlN2at6native12_GLOBAL__N_18offset_tEEE10hipError_tPvRmT1_PNSt15iterator_traitsISL_E10value_typeET2_T3_PNSM_ISR_E10value_typeET4_jRbjT5_SX_jjP12ihipStream_tbEUlT_E1_NS1_11comp_targetILNS1_3genE3ELNS1_11target_archE908ELNS1_3gpuE7ELNS1_3repE0EEENS1_59segmented_radix_sort_warp_sort_small_config_static_selectorELNS0_4arch9wavefront6targetE1EEEvSL_,comdat
	.globl	_ZN7rocprim17ROCPRIM_400000_NS6detail17trampoline_kernelINS0_14default_configENS1_36segmented_radix_sort_config_selectorI12hip_bfloat16lEEZNS1_25segmented_radix_sort_implIS3_Lb0EPKS5_PS5_PKlPlN2at6native12_GLOBAL__N_18offset_tEEE10hipError_tPvRmT1_PNSt15iterator_traitsISL_E10value_typeET2_T3_PNSM_ISR_E10value_typeET4_jRbjT5_SX_jjP12ihipStream_tbEUlT_E1_NS1_11comp_targetILNS1_3genE3ELNS1_11target_archE908ELNS1_3gpuE7ELNS1_3repE0EEENS1_59segmented_radix_sort_warp_sort_small_config_static_selectorELNS0_4arch9wavefront6targetE1EEEvSL_ ; -- Begin function _ZN7rocprim17ROCPRIM_400000_NS6detail17trampoline_kernelINS0_14default_configENS1_36segmented_radix_sort_config_selectorI12hip_bfloat16lEEZNS1_25segmented_radix_sort_implIS3_Lb0EPKS5_PS5_PKlPlN2at6native12_GLOBAL__N_18offset_tEEE10hipError_tPvRmT1_PNSt15iterator_traitsISL_E10value_typeET2_T3_PNSM_ISR_E10value_typeET4_jRbjT5_SX_jjP12ihipStream_tbEUlT_E1_NS1_11comp_targetILNS1_3genE3ELNS1_11target_archE908ELNS1_3gpuE7ELNS1_3repE0EEENS1_59segmented_radix_sort_warp_sort_small_config_static_selectorELNS0_4arch9wavefront6targetE1EEEvSL_
	.p2align	8
	.type	_ZN7rocprim17ROCPRIM_400000_NS6detail17trampoline_kernelINS0_14default_configENS1_36segmented_radix_sort_config_selectorI12hip_bfloat16lEEZNS1_25segmented_radix_sort_implIS3_Lb0EPKS5_PS5_PKlPlN2at6native12_GLOBAL__N_18offset_tEEE10hipError_tPvRmT1_PNSt15iterator_traitsISL_E10value_typeET2_T3_PNSM_ISR_E10value_typeET4_jRbjT5_SX_jjP12ihipStream_tbEUlT_E1_NS1_11comp_targetILNS1_3genE3ELNS1_11target_archE908ELNS1_3gpuE7ELNS1_3repE0EEENS1_59segmented_radix_sort_warp_sort_small_config_static_selectorELNS0_4arch9wavefront6targetE1EEEvSL_,@function
_ZN7rocprim17ROCPRIM_400000_NS6detail17trampoline_kernelINS0_14default_configENS1_36segmented_radix_sort_config_selectorI12hip_bfloat16lEEZNS1_25segmented_radix_sort_implIS3_Lb0EPKS5_PS5_PKlPlN2at6native12_GLOBAL__N_18offset_tEEE10hipError_tPvRmT1_PNSt15iterator_traitsISL_E10value_typeET2_T3_PNSM_ISR_E10value_typeET4_jRbjT5_SX_jjP12ihipStream_tbEUlT_E1_NS1_11comp_targetILNS1_3genE3ELNS1_11target_archE908ELNS1_3gpuE7ELNS1_3repE0EEENS1_59segmented_radix_sort_warp_sort_small_config_static_selectorELNS0_4arch9wavefront6targetE1EEEvSL_: ; @_ZN7rocprim17ROCPRIM_400000_NS6detail17trampoline_kernelINS0_14default_configENS1_36segmented_radix_sort_config_selectorI12hip_bfloat16lEEZNS1_25segmented_radix_sort_implIS3_Lb0EPKS5_PS5_PKlPlN2at6native12_GLOBAL__N_18offset_tEEE10hipError_tPvRmT1_PNSt15iterator_traitsISL_E10value_typeET2_T3_PNSM_ISR_E10value_typeET4_jRbjT5_SX_jjP12ihipStream_tbEUlT_E1_NS1_11comp_targetILNS1_3genE3ELNS1_11target_archE908ELNS1_3gpuE7ELNS1_3repE0EEENS1_59segmented_radix_sort_warp_sort_small_config_static_selectorELNS0_4arch9wavefront6targetE1EEEvSL_
; %bb.0:
	.section	.rodata,"a",@progbits
	.p2align	6, 0x0
	.amdhsa_kernel _ZN7rocprim17ROCPRIM_400000_NS6detail17trampoline_kernelINS0_14default_configENS1_36segmented_radix_sort_config_selectorI12hip_bfloat16lEEZNS1_25segmented_radix_sort_implIS3_Lb0EPKS5_PS5_PKlPlN2at6native12_GLOBAL__N_18offset_tEEE10hipError_tPvRmT1_PNSt15iterator_traitsISL_E10value_typeET2_T3_PNSM_ISR_E10value_typeET4_jRbjT5_SX_jjP12ihipStream_tbEUlT_E1_NS1_11comp_targetILNS1_3genE3ELNS1_11target_archE908ELNS1_3gpuE7ELNS1_3repE0EEENS1_59segmented_radix_sort_warp_sort_small_config_static_selectorELNS0_4arch9wavefront6targetE1EEEvSL_
		.amdhsa_group_segment_fixed_size 0
		.amdhsa_private_segment_fixed_size 0
		.amdhsa_kernarg_size 88
		.amdhsa_user_sgpr_count 6
		.amdhsa_user_sgpr_private_segment_buffer 1
		.amdhsa_user_sgpr_dispatch_ptr 0
		.amdhsa_user_sgpr_queue_ptr 0
		.amdhsa_user_sgpr_kernarg_segment_ptr 1
		.amdhsa_user_sgpr_dispatch_id 0
		.amdhsa_user_sgpr_flat_scratch_init 0
		.amdhsa_user_sgpr_private_segment_size 0
		.amdhsa_uses_dynamic_stack 0
		.amdhsa_system_sgpr_private_segment_wavefront_offset 0
		.amdhsa_system_sgpr_workgroup_id_x 1
		.amdhsa_system_sgpr_workgroup_id_y 0
		.amdhsa_system_sgpr_workgroup_id_z 0
		.amdhsa_system_sgpr_workgroup_info 0
		.amdhsa_system_vgpr_workitem_id 0
		.amdhsa_next_free_vgpr 1
		.amdhsa_next_free_sgpr 0
		.amdhsa_reserve_vcc 0
		.amdhsa_reserve_flat_scratch 0
		.amdhsa_float_round_mode_32 0
		.amdhsa_float_round_mode_16_64 0
		.amdhsa_float_denorm_mode_32 3
		.amdhsa_float_denorm_mode_16_64 3
		.amdhsa_dx10_clamp 1
		.amdhsa_ieee_mode 1
		.amdhsa_fp16_overflow 0
		.amdhsa_exception_fp_ieee_invalid_op 0
		.amdhsa_exception_fp_denorm_src 0
		.amdhsa_exception_fp_ieee_div_zero 0
		.amdhsa_exception_fp_ieee_overflow 0
		.amdhsa_exception_fp_ieee_underflow 0
		.amdhsa_exception_fp_ieee_inexact 0
		.amdhsa_exception_int_div_zero 0
	.end_amdhsa_kernel
	.section	.text._ZN7rocprim17ROCPRIM_400000_NS6detail17trampoline_kernelINS0_14default_configENS1_36segmented_radix_sort_config_selectorI12hip_bfloat16lEEZNS1_25segmented_radix_sort_implIS3_Lb0EPKS5_PS5_PKlPlN2at6native12_GLOBAL__N_18offset_tEEE10hipError_tPvRmT1_PNSt15iterator_traitsISL_E10value_typeET2_T3_PNSM_ISR_E10value_typeET4_jRbjT5_SX_jjP12ihipStream_tbEUlT_E1_NS1_11comp_targetILNS1_3genE3ELNS1_11target_archE908ELNS1_3gpuE7ELNS1_3repE0EEENS1_59segmented_radix_sort_warp_sort_small_config_static_selectorELNS0_4arch9wavefront6targetE1EEEvSL_,"axG",@progbits,_ZN7rocprim17ROCPRIM_400000_NS6detail17trampoline_kernelINS0_14default_configENS1_36segmented_radix_sort_config_selectorI12hip_bfloat16lEEZNS1_25segmented_radix_sort_implIS3_Lb0EPKS5_PS5_PKlPlN2at6native12_GLOBAL__N_18offset_tEEE10hipError_tPvRmT1_PNSt15iterator_traitsISL_E10value_typeET2_T3_PNSM_ISR_E10value_typeET4_jRbjT5_SX_jjP12ihipStream_tbEUlT_E1_NS1_11comp_targetILNS1_3genE3ELNS1_11target_archE908ELNS1_3gpuE7ELNS1_3repE0EEENS1_59segmented_radix_sort_warp_sort_small_config_static_selectorELNS0_4arch9wavefront6targetE1EEEvSL_,comdat
.Lfunc_end2072:
	.size	_ZN7rocprim17ROCPRIM_400000_NS6detail17trampoline_kernelINS0_14default_configENS1_36segmented_radix_sort_config_selectorI12hip_bfloat16lEEZNS1_25segmented_radix_sort_implIS3_Lb0EPKS5_PS5_PKlPlN2at6native12_GLOBAL__N_18offset_tEEE10hipError_tPvRmT1_PNSt15iterator_traitsISL_E10value_typeET2_T3_PNSM_ISR_E10value_typeET4_jRbjT5_SX_jjP12ihipStream_tbEUlT_E1_NS1_11comp_targetILNS1_3genE3ELNS1_11target_archE908ELNS1_3gpuE7ELNS1_3repE0EEENS1_59segmented_radix_sort_warp_sort_small_config_static_selectorELNS0_4arch9wavefront6targetE1EEEvSL_, .Lfunc_end2072-_ZN7rocprim17ROCPRIM_400000_NS6detail17trampoline_kernelINS0_14default_configENS1_36segmented_radix_sort_config_selectorI12hip_bfloat16lEEZNS1_25segmented_radix_sort_implIS3_Lb0EPKS5_PS5_PKlPlN2at6native12_GLOBAL__N_18offset_tEEE10hipError_tPvRmT1_PNSt15iterator_traitsISL_E10value_typeET2_T3_PNSM_ISR_E10value_typeET4_jRbjT5_SX_jjP12ihipStream_tbEUlT_E1_NS1_11comp_targetILNS1_3genE3ELNS1_11target_archE908ELNS1_3gpuE7ELNS1_3repE0EEENS1_59segmented_radix_sort_warp_sort_small_config_static_selectorELNS0_4arch9wavefront6targetE1EEEvSL_
                                        ; -- End function
	.set _ZN7rocprim17ROCPRIM_400000_NS6detail17trampoline_kernelINS0_14default_configENS1_36segmented_radix_sort_config_selectorI12hip_bfloat16lEEZNS1_25segmented_radix_sort_implIS3_Lb0EPKS5_PS5_PKlPlN2at6native12_GLOBAL__N_18offset_tEEE10hipError_tPvRmT1_PNSt15iterator_traitsISL_E10value_typeET2_T3_PNSM_ISR_E10value_typeET4_jRbjT5_SX_jjP12ihipStream_tbEUlT_E1_NS1_11comp_targetILNS1_3genE3ELNS1_11target_archE908ELNS1_3gpuE7ELNS1_3repE0EEENS1_59segmented_radix_sort_warp_sort_small_config_static_selectorELNS0_4arch9wavefront6targetE1EEEvSL_.num_vgpr, 0
	.set _ZN7rocprim17ROCPRIM_400000_NS6detail17trampoline_kernelINS0_14default_configENS1_36segmented_radix_sort_config_selectorI12hip_bfloat16lEEZNS1_25segmented_radix_sort_implIS3_Lb0EPKS5_PS5_PKlPlN2at6native12_GLOBAL__N_18offset_tEEE10hipError_tPvRmT1_PNSt15iterator_traitsISL_E10value_typeET2_T3_PNSM_ISR_E10value_typeET4_jRbjT5_SX_jjP12ihipStream_tbEUlT_E1_NS1_11comp_targetILNS1_3genE3ELNS1_11target_archE908ELNS1_3gpuE7ELNS1_3repE0EEENS1_59segmented_radix_sort_warp_sort_small_config_static_selectorELNS0_4arch9wavefront6targetE1EEEvSL_.num_agpr, 0
	.set _ZN7rocprim17ROCPRIM_400000_NS6detail17trampoline_kernelINS0_14default_configENS1_36segmented_radix_sort_config_selectorI12hip_bfloat16lEEZNS1_25segmented_radix_sort_implIS3_Lb0EPKS5_PS5_PKlPlN2at6native12_GLOBAL__N_18offset_tEEE10hipError_tPvRmT1_PNSt15iterator_traitsISL_E10value_typeET2_T3_PNSM_ISR_E10value_typeET4_jRbjT5_SX_jjP12ihipStream_tbEUlT_E1_NS1_11comp_targetILNS1_3genE3ELNS1_11target_archE908ELNS1_3gpuE7ELNS1_3repE0EEENS1_59segmented_radix_sort_warp_sort_small_config_static_selectorELNS0_4arch9wavefront6targetE1EEEvSL_.numbered_sgpr, 0
	.set _ZN7rocprim17ROCPRIM_400000_NS6detail17trampoline_kernelINS0_14default_configENS1_36segmented_radix_sort_config_selectorI12hip_bfloat16lEEZNS1_25segmented_radix_sort_implIS3_Lb0EPKS5_PS5_PKlPlN2at6native12_GLOBAL__N_18offset_tEEE10hipError_tPvRmT1_PNSt15iterator_traitsISL_E10value_typeET2_T3_PNSM_ISR_E10value_typeET4_jRbjT5_SX_jjP12ihipStream_tbEUlT_E1_NS1_11comp_targetILNS1_3genE3ELNS1_11target_archE908ELNS1_3gpuE7ELNS1_3repE0EEENS1_59segmented_radix_sort_warp_sort_small_config_static_selectorELNS0_4arch9wavefront6targetE1EEEvSL_.num_named_barrier, 0
	.set _ZN7rocprim17ROCPRIM_400000_NS6detail17trampoline_kernelINS0_14default_configENS1_36segmented_radix_sort_config_selectorI12hip_bfloat16lEEZNS1_25segmented_radix_sort_implIS3_Lb0EPKS5_PS5_PKlPlN2at6native12_GLOBAL__N_18offset_tEEE10hipError_tPvRmT1_PNSt15iterator_traitsISL_E10value_typeET2_T3_PNSM_ISR_E10value_typeET4_jRbjT5_SX_jjP12ihipStream_tbEUlT_E1_NS1_11comp_targetILNS1_3genE3ELNS1_11target_archE908ELNS1_3gpuE7ELNS1_3repE0EEENS1_59segmented_radix_sort_warp_sort_small_config_static_selectorELNS0_4arch9wavefront6targetE1EEEvSL_.private_seg_size, 0
	.set _ZN7rocprim17ROCPRIM_400000_NS6detail17trampoline_kernelINS0_14default_configENS1_36segmented_radix_sort_config_selectorI12hip_bfloat16lEEZNS1_25segmented_radix_sort_implIS3_Lb0EPKS5_PS5_PKlPlN2at6native12_GLOBAL__N_18offset_tEEE10hipError_tPvRmT1_PNSt15iterator_traitsISL_E10value_typeET2_T3_PNSM_ISR_E10value_typeET4_jRbjT5_SX_jjP12ihipStream_tbEUlT_E1_NS1_11comp_targetILNS1_3genE3ELNS1_11target_archE908ELNS1_3gpuE7ELNS1_3repE0EEENS1_59segmented_radix_sort_warp_sort_small_config_static_selectorELNS0_4arch9wavefront6targetE1EEEvSL_.uses_vcc, 0
	.set _ZN7rocprim17ROCPRIM_400000_NS6detail17trampoline_kernelINS0_14default_configENS1_36segmented_radix_sort_config_selectorI12hip_bfloat16lEEZNS1_25segmented_radix_sort_implIS3_Lb0EPKS5_PS5_PKlPlN2at6native12_GLOBAL__N_18offset_tEEE10hipError_tPvRmT1_PNSt15iterator_traitsISL_E10value_typeET2_T3_PNSM_ISR_E10value_typeET4_jRbjT5_SX_jjP12ihipStream_tbEUlT_E1_NS1_11comp_targetILNS1_3genE3ELNS1_11target_archE908ELNS1_3gpuE7ELNS1_3repE0EEENS1_59segmented_radix_sort_warp_sort_small_config_static_selectorELNS0_4arch9wavefront6targetE1EEEvSL_.uses_flat_scratch, 0
	.set _ZN7rocprim17ROCPRIM_400000_NS6detail17trampoline_kernelINS0_14default_configENS1_36segmented_radix_sort_config_selectorI12hip_bfloat16lEEZNS1_25segmented_radix_sort_implIS3_Lb0EPKS5_PS5_PKlPlN2at6native12_GLOBAL__N_18offset_tEEE10hipError_tPvRmT1_PNSt15iterator_traitsISL_E10value_typeET2_T3_PNSM_ISR_E10value_typeET4_jRbjT5_SX_jjP12ihipStream_tbEUlT_E1_NS1_11comp_targetILNS1_3genE3ELNS1_11target_archE908ELNS1_3gpuE7ELNS1_3repE0EEENS1_59segmented_radix_sort_warp_sort_small_config_static_selectorELNS0_4arch9wavefront6targetE1EEEvSL_.has_dyn_sized_stack, 0
	.set _ZN7rocprim17ROCPRIM_400000_NS6detail17trampoline_kernelINS0_14default_configENS1_36segmented_radix_sort_config_selectorI12hip_bfloat16lEEZNS1_25segmented_radix_sort_implIS3_Lb0EPKS5_PS5_PKlPlN2at6native12_GLOBAL__N_18offset_tEEE10hipError_tPvRmT1_PNSt15iterator_traitsISL_E10value_typeET2_T3_PNSM_ISR_E10value_typeET4_jRbjT5_SX_jjP12ihipStream_tbEUlT_E1_NS1_11comp_targetILNS1_3genE3ELNS1_11target_archE908ELNS1_3gpuE7ELNS1_3repE0EEENS1_59segmented_radix_sort_warp_sort_small_config_static_selectorELNS0_4arch9wavefront6targetE1EEEvSL_.has_recursion, 0
	.set _ZN7rocprim17ROCPRIM_400000_NS6detail17trampoline_kernelINS0_14default_configENS1_36segmented_radix_sort_config_selectorI12hip_bfloat16lEEZNS1_25segmented_radix_sort_implIS3_Lb0EPKS5_PS5_PKlPlN2at6native12_GLOBAL__N_18offset_tEEE10hipError_tPvRmT1_PNSt15iterator_traitsISL_E10value_typeET2_T3_PNSM_ISR_E10value_typeET4_jRbjT5_SX_jjP12ihipStream_tbEUlT_E1_NS1_11comp_targetILNS1_3genE3ELNS1_11target_archE908ELNS1_3gpuE7ELNS1_3repE0EEENS1_59segmented_radix_sort_warp_sort_small_config_static_selectorELNS0_4arch9wavefront6targetE1EEEvSL_.has_indirect_call, 0
	.section	.AMDGPU.csdata,"",@progbits
; Kernel info:
; codeLenInByte = 0
; TotalNumSgprs: 4
; NumVgprs: 0
; ScratchSize: 0
; MemoryBound: 0
; FloatMode: 240
; IeeeMode: 1
; LDSByteSize: 0 bytes/workgroup (compile time only)
; SGPRBlocks: 0
; VGPRBlocks: 0
; NumSGPRsForWavesPerEU: 4
; NumVGPRsForWavesPerEU: 1
; Occupancy: 10
; WaveLimiterHint : 0
; COMPUTE_PGM_RSRC2:SCRATCH_EN: 0
; COMPUTE_PGM_RSRC2:USER_SGPR: 6
; COMPUTE_PGM_RSRC2:TRAP_HANDLER: 0
; COMPUTE_PGM_RSRC2:TGID_X_EN: 1
; COMPUTE_PGM_RSRC2:TGID_Y_EN: 0
; COMPUTE_PGM_RSRC2:TGID_Z_EN: 0
; COMPUTE_PGM_RSRC2:TIDIG_COMP_CNT: 0
	.text
	.p2align	2                               ; -- Begin function _ZN7rocprim17ROCPRIM_400000_NS6detail26segmented_warp_sort_helperINS1_20WarpSortHelperConfigILj8ELj4ELj256EEE12hip_bfloat16lLi256ELb0EvE4sortIPKS5_PS5_PKlPlEEvT_T0_T1_T2_jjjjRNS6_12storage_typeE
	.type	_ZN7rocprim17ROCPRIM_400000_NS6detail26segmented_warp_sort_helperINS1_20WarpSortHelperConfigILj8ELj4ELj256EEE12hip_bfloat16lLi256ELb0EvE4sortIPKS5_PS5_PKlPlEEvT_T0_T1_T2_jjjjRNS6_12storage_typeE,@function
_ZN7rocprim17ROCPRIM_400000_NS6detail26segmented_warp_sort_helperINS1_20WarpSortHelperConfigILj8ELj4ELj256EEE12hip_bfloat16lLi256ELb0EvE4sortIPKS5_PS5_PKlPlEEvT_T0_T1_T2_jjjjRNS6_12storage_typeE: ; @_ZN7rocprim17ROCPRIM_400000_NS6detail26segmented_warp_sort_helperINS1_20WarpSortHelperConfigILj8ELj4ELj256EEE12hip_bfloat16lLi256ELb0EvE4sortIPKS5_PS5_PKlPlEEvT_T0_T1_T2_jjjjRNS6_12storage_typeE
; %bb.0:
	s_waitcnt vmcnt(0) expcnt(0) lgkmcnt(0)
	v_sub_u32_e32 v12, v9, v8
	v_mov_b32_e32 v9, 0
	v_mbcnt_lo_u32_b32 v13, -1, 0
	v_lshlrev_b64 v[20:21], 1, v[8:9]
	v_mbcnt_hi_u32_b32 v13, -1, v13
	v_lshlrev_b32_e32 v27, 2, v13
	v_add_co_u32_e32 v0, vcc, v0, v20
	v_and_b32_e32 v26, 28, v27
	v_addc_co_u32_e32 v1, vcc, v1, v21, vcc
	v_lshlrev_b32_e32 v24, 1, v26
	v_add_co_u32_e32 v0, vcc, v0, v24
	v_addc_co_u32_e32 v1, vcc, 0, v1, vcc
	v_cmp_lt_u32_e32 vcc, v26, v12
	v_mov_b32_e32 v32, 0x7fff
	v_mov_b32_e32 v35, 0x7fff
	s_and_saveexec_b64 s[4:5], vcc
	s_cbranch_execz .LBB2073_2
; %bb.1:
	flat_load_ushort v35, v[0:1]
.LBB2073_2:
	s_or_b64 exec, exec, s[4:5]
	v_or_b32_e32 v13, 1, v26
	v_cmp_lt_u32_e64 s[4:5], v13, v12
	s_and_saveexec_b64 s[6:7], s[4:5]
	s_cbranch_execz .LBB2073_4
; %bb.3:
	flat_load_ushort v32, v[0:1] offset:2
.LBB2073_4:
	s_or_b64 exec, exec, s[6:7]
	v_or_b32_e32 v13, 2, v26
	v_cmp_lt_u32_e64 s[6:7], v13, v12
	v_mov_b32_e32 v34, 0x7fff
	v_mov_b32_e32 v33, 0x7fff
	s_and_saveexec_b64 s[10:11], s[6:7]
	s_cbranch_execz .LBB2073_6
; %bb.5:
	flat_load_ushort v33, v[0:1] offset:4
.LBB2073_6:
	s_or_b64 exec, exec, s[10:11]
	v_or_b32_e32 v13, 3, v26
	v_cmp_lt_u32_e64 s[16:17], v13, v12
	s_and_saveexec_b64 s[10:11], s[16:17]
	s_cbranch_execz .LBB2073_8
; %bb.7:
	flat_load_ushort v34, v[0:1] offset:6
.LBB2073_8:
	s_or_b64 exec, exec, s[10:11]
	v_lshlrev_b64 v[0:1], 3, v[8:9]
	v_lshlrev_b32_e32 v25, 3, v26
	v_add_co_u32_e64 v4, s[10:11], v4, v0
	v_addc_co_u32_e64 v5, s[10:11], v5, v1, s[10:11]
	v_mov_b32_e32 v12, 0
	v_add_co_u32_e64 v4, s[10:11], v4, v25
	v_addc_co_u32_e64 v5, s[10:11], 0, v5, s[10:11]
	v_mov_b32_e32 v13, v12
	v_mov_b32_e32 v14, v12
	;; [unrolled: 1-line block ×7, first 2 shown]
	; wave barrier
	s_and_saveexec_b64 s[10:11], vcc
	s_cbranch_execnz .LBB2073_76
; %bb.9:
	s_or_b64 exec, exec, s[10:11]
	s_and_saveexec_b64 s[10:11], s[4:5]
	s_cbranch_execnz .LBB2073_77
.LBB2073_10:
	s_or_b64 exec, exec, s[10:11]
	s_and_saveexec_b64 s[10:11], s[6:7]
	s_cbranch_execnz .LBB2073_78
.LBB2073_11:
	s_or_b64 exec, exec, s[10:11]
	s_and_saveexec_b64 s[10:11], s[16:17]
	s_cbranch_execz .LBB2073_13
.LBB2073_12:
	flat_load_dwordx2 v[18:19], v[4:5] offset:24
.LBB2073_13:
	s_or_b64 exec, exec, s[10:11]
	; wave barrier
	s_load_dwordx2 s[10:11], s[8:9], 0x0
	v_mov_b32_e32 v4, 0
	v_bfe_u32 v9, v31, 20, 10
	s_waitcnt lgkmcnt(0)
	s_cmp_lt_u32 s13, s11
	s_cselect_b32 s11, 14, 20
	s_add_u32 s14, s8, s11
	s_addc_u32 s15, s9, 0
	s_cmp_lt_u32 s12, s10
	s_cselect_b32 s10, 12, 18
	s_add_u32 s8, s8, s10
	s_addc_u32 s9, s9, 0
	global_load_ushort v5, v4, s[14:15]
	global_load_ushort v8, v4, s[8:9]
	v_bfe_u32 v4, v31, 10, 10
	s_movk_i32 s8, 0x400
	s_waitcnt vmcnt(0)
	v_mad_u32_u24 v4, v9, v5, v4
	v_mul_lo_u32 v4, v4, v8
	v_and_b32_e32 v5, 0x3ff, v31
	v_add_lshl_u32 v4, v4, v5, 2
	v_cmp_gt_u32_e64 s[8:9], s8, v4
	s_and_saveexec_b64 s[22:23], s[8:9]
	s_cbranch_execz .LBB2073_65
; %bb.14:
	v_lshlrev_b32_e32 v5, 16, v35
	v_add_f32_e32 v8, 0, v5
	s_mov_b32 s8, 0x7f800000
	v_and_b32_e32 v5, 0x7f800000, v8
	v_cmp_ne_u32_e64 s[8:9], s8, v5
                                        ; implicit-def: $vgpr5
	s_and_saveexec_b64 s[10:11], s[8:9]
	s_xor_b64 s[8:9], exec, s[10:11]
; %bb.15:
	v_bfe_u32 v5, v8, 16, 1
	s_movk_i32 s10, 0x7fff
	v_add3_u32 v5, v8, v5, s10
                                        ; implicit-def: $vgpr8
; %bb.16:
	s_andn2_saveexec_b64 s[10:11], s[8:9]
; %bb.17:
	v_mov_b32_e32 v5, 0
	v_or_b32_e32 v9, 0x10000, v8
	v_cmp_eq_u32_sdwa s[8:9], v8, v5 src0_sel:WORD_0 src1_sel:DWORD
	v_cndmask_b32_e64 v5, v9, v8, s[8:9]
; %bb.18:
	s_or_b64 exec, exec, s[10:11]
	v_lshlrev_b32_e32 v8, 16, v32
	v_add_f32_e32 v9, 0, v8
	s_mov_b32 s8, 0x7f800000
	v_and_b32_e32 v8, 0x7f800000, v9
	v_cmp_ne_u32_e64 s[8:9], s8, v8
                                        ; implicit-def: $vgpr8
	s_and_saveexec_b64 s[10:11], s[8:9]
	s_xor_b64 s[8:9], exec, s[10:11]
; %bb.19:
	v_bfe_u32 v8, v9, 16, 1
	s_movk_i32 s10, 0x7fff
	v_add3_u32 v8, v9, v8, s10
                                        ; implicit-def: $vgpr9
; %bb.20:
	s_andn2_saveexec_b64 s[10:11], s[8:9]
; %bb.21:
	v_mov_b32_e32 v8, 0
	v_or_b32_e32 v22, 0x10000, v9
	v_cmp_eq_u32_sdwa s[8:9], v9, v8 src0_sel:WORD_0 src1_sel:DWORD
	v_cndmask_b32_e64 v8, v22, v9, s[8:9]
; %bb.22:
	s_or_b64 exec, exec, s[10:11]
	v_lshlrev_b32_e32 v9, 16, v33
	v_add_f32_e32 v9, 0, v9
	s_mov_b32 s8, 0x7f800000
	v_and_b32_e32 v22, 0x7f800000, v9
	v_cmp_ne_u32_e64 s[8:9], s8, v22
                                        ; implicit-def: $vgpr22
	s_and_saveexec_b64 s[10:11], s[8:9]
	s_xor_b64 s[8:9], exec, s[10:11]
; %bb.23:
	v_bfe_u32 v22, v9, 16, 1
	s_movk_i32 s10, 0x7fff
	v_add3_u32 v22, v9, v22, s10
                                        ; implicit-def: $vgpr9
; %bb.24:
	s_andn2_saveexec_b64 s[10:11], s[8:9]
; %bb.25:
	v_mov_b32_e32 v22, 0
	v_or_b32_e32 v23, 0x10000, v9
	v_cmp_eq_u32_sdwa s[8:9], v9, v22 src0_sel:WORD_0 src1_sel:DWORD
	v_cndmask_b32_e64 v22, v23, v9, s[8:9]
; %bb.26:
	s_or_b64 exec, exec, s[10:11]
	v_lshlrev_b32_e32 v9, 16, v34
	v_add_f32_e32 v9, 0, v9
	s_mov_b32 s8, 0x7f800000
	v_and_b32_e32 v23, 0x7f800000, v9
	v_cmp_ne_u32_e64 s[8:9], s8, v23
                                        ; implicit-def: $vgpr23
	s_and_saveexec_b64 s[10:11], s[8:9]
	s_xor_b64 s[8:9], exec, s[10:11]
; %bb.27:
	v_bfe_u32 v23, v9, 16, 1
	s_movk_i32 s10, 0x7fff
	v_add3_u32 v23, v9, v23, s10
                                        ; implicit-def: $vgpr9
; %bb.28:
	s_andn2_saveexec_b64 s[10:11], s[8:9]
; %bb.29:
	v_mov_b32_e32 v23, 0
	v_or_b32_e32 v28, 0x10000, v9
	v_cmp_eq_u32_sdwa s[8:9], v9, v23 src0_sel:WORD_0 src1_sel:DWORD
	v_cndmask_b32_e64 v23, v28, v9, s[8:9]
; %bb.30:
	s_or_b64 exec, exec, s[10:11]
	s_mov_b32 s8, 0x7060302
	v_perm_b32 v9, v8, v5, s8
	v_mov_b32_e32 v28, 0xffff8000
	v_cmp_lt_i32_e64 s[8:9], -1, v5
	v_cndmask_b32_e64 v5, -1, v28, s[8:9]
	v_cmp_lt_i32_e64 s[8:9], -1, v8
	v_cndmask_b32_e64 v8, -1, v28, s[8:9]
	s_mov_b32 s8, 0x5040100
	v_perm_b32 v5, v8, v5, s8
	v_xor_b32_e32 v5, v5, v9
	v_cmp_gt_u16_sdwa s[10:11], v5, v5 src0_sel:DWORD src1_sel:WORD_1
	v_cndmask_b32_e64 v9, v32, v35, s[10:11]
	v_lshlrev_b32_e32 v5, 16, v9
	v_add_f32_e32 v5, 0, v5
	s_mov_b32 s8, 0x7f800000
	v_and_b32_e32 v8, 0x7f800000, v5
	v_cmp_ne_u32_e64 s[8:9], s8, v8
                                        ; implicit-def: $vgpr8
	s_and_saveexec_b64 s[12:13], s[8:9]
	s_xor_b64 s[8:9], exec, s[12:13]
; %bb.31:
	v_bfe_u32 v8, v5, 16, 1
	s_movk_i32 s12, 0x7fff
	v_add3_u32 v8, v5, v8, s12
                                        ; implicit-def: $vgpr5
; %bb.32:
	s_andn2_saveexec_b64 s[12:13], s[8:9]
; %bb.33:
	v_mov_b32_e32 v8, 0
	v_or_b32_e32 v28, 0x10000, v5
	v_cmp_eq_u32_sdwa s[8:9], v5, v8 src0_sel:WORD_0 src1_sel:DWORD
	v_cndmask_b32_e64 v8, v28, v5, s[8:9]
; %bb.34:
	s_or_b64 exec, exec, s[12:13]
	s_mov_b32 s8, 0x7060302
	v_perm_b32 v5, v23, v22, s8
	v_mov_b32_e32 v28, 0xffff8000
	v_cmp_lt_i32_e64 s[8:9], -1, v22
	v_cndmask_b32_e64 v22, -1, v28, s[8:9]
	v_cmp_lt_i32_e64 s[8:9], -1, v23
	v_cndmask_b32_e64 v23, -1, v28, s[8:9]
	s_mov_b32 s8, 0x5040100
	v_perm_b32 v22, v23, v22, s8
	v_xor_b32_e32 v5, v22, v5
	v_cmp_gt_u16_sdwa s[12:13], v5, v5 src0_sel:DWORD src1_sel:WORD_1
	v_cndmask_b32_e64 v22, v33, v34, s[12:13]
	v_lshlrev_b32_e32 v5, 16, v22
	v_add_f32_e32 v5, 0, v5
	s_mov_b32 s8, 0x7f800000
	v_and_b32_e32 v23, 0x7f800000, v5
	v_cmp_ne_u32_e64 s[8:9], s8, v23
                                        ; implicit-def: $vgpr28
	s_and_saveexec_b64 s[14:15], s[8:9]
	s_xor_b64 s[8:9], exec, s[14:15]
; %bb.35:
	v_bfe_u32 v23, v5, 16, 1
	s_movk_i32 s14, 0x7fff
	v_add3_u32 v28, v5, v23, s14
                                        ; implicit-def: $vgpr5
; %bb.36:
	s_andn2_saveexec_b64 s[14:15], s[8:9]
; %bb.37:
	v_mov_b32_e32 v23, 0
	v_or_b32_e32 v28, 0x10000, v5
	v_cmp_eq_u32_sdwa s[8:9], v5, v23 src0_sel:WORD_0 src1_sel:DWORD
	v_cndmask_b32_e64 v28, v28, v5, s[8:9]
; %bb.38:
	s_or_b64 exec, exec, s[14:15]
	v_cndmask_b32_e64 v5, v35, v32, s[10:11]
	v_lshlrev_b32_e32 v23, 16, v5
	v_add_f32_e32 v29, 0, v23
	s_mov_b32 s8, 0x7f800000
	v_and_b32_e32 v23, 0x7f800000, v29
	v_cmp_ne_u32_e64 s[8:9], s8, v23
                                        ; implicit-def: $vgpr23
	s_and_saveexec_b64 s[14:15], s[8:9]
	s_xor_b64 s[8:9], exec, s[14:15]
; %bb.39:
	v_bfe_u32 v23, v29, 16, 1
	s_movk_i32 s14, 0x7fff
	v_add3_u32 v23, v29, v23, s14
                                        ; implicit-def: $vgpr29
; %bb.40:
	s_andn2_saveexec_b64 s[14:15], s[8:9]
; %bb.41:
	v_mov_b32_e32 v23, 0
	v_or_b32_e32 v30, 0x10000, v29
	v_cmp_eq_u32_sdwa s[8:9], v29, v23 src0_sel:WORD_0 src1_sel:DWORD
	v_cndmask_b32_e64 v23, v30, v29, s[8:9]
; %bb.42:
	s_or_b64 exec, exec, s[14:15]
	s_mov_b32 s8, 0x7060302
	v_perm_b32 v29, v28, v8, s8
	v_mov_b32_e32 v30, 0xffff8000
	v_cmp_lt_i32_e64 s[8:9], -1, v8
	v_cndmask_b32_e64 v8, -1, v30, s[8:9]
	v_cmp_lt_i32_e64 s[8:9], -1, v28
	v_cndmask_b32_e64 v28, -1, v30, s[8:9]
	s_mov_b32 s8, 0x5040100
	v_perm_b32 v8, v28, v8, s8
	v_xor_b32_e32 v8, v8, v29
	v_cmp_gt_u16_sdwa s[14:15], v8, v8 src0_sel:DWORD src1_sel:WORD_1
	v_cndmask_b32_e64 v8, v9, v22, s[14:15]
	v_lshlrev_b32_e32 v28, 16, v8
	v_add_f32_e32 v28, 0, v28
	s_mov_b32 s8, 0x7f800000
	v_and_b32_e32 v29, 0x7f800000, v28
	v_cmp_ne_u32_e64 s[8:9], s8, v29
                                        ; implicit-def: $vgpr29
	s_and_saveexec_b64 s[18:19], s[8:9]
	s_xor_b64 s[8:9], exec, s[18:19]
; %bb.43:
	v_bfe_u32 v29, v28, 16, 1
	s_movk_i32 s18, 0x7fff
	v_add3_u32 v29, v28, v29, s18
                                        ; implicit-def: $vgpr28
; %bb.44:
	s_andn2_saveexec_b64 s[18:19], s[8:9]
; %bb.45:
	v_mov_b32_e32 v29, 0
	v_or_b32_e32 v30, 0x10000, v28
	v_cmp_eq_u32_sdwa s[8:9], v28, v29 src0_sel:WORD_0 src1_sel:DWORD
	v_cndmask_b32_e64 v29, v30, v28, s[8:9]
; %bb.46:
	s_or_b64 exec, exec, s[18:19]
	v_cndmask_b32_e64 v9, v22, v9, s[14:15]
	v_lshlrev_b32_e32 v22, 16, v9
	v_add_f32_e32 v22, 0, v22
	s_mov_b32 s8, 0x7f800000
	v_and_b32_e32 v28, 0x7f800000, v22
	v_cmp_ne_u32_e64 s[8:9], s8, v28
                                        ; implicit-def: $vgpr28
	s_and_saveexec_b64 s[18:19], s[8:9]
	s_xor_b64 s[8:9], exec, s[18:19]
; %bb.47:
	v_bfe_u32 v28, v22, 16, 1
	s_movk_i32 s18, 0x7fff
	v_add3_u32 v28, v22, v28, s18
                                        ; implicit-def: $vgpr22
; %bb.48:
	s_andn2_saveexec_b64 s[18:19], s[8:9]
; %bb.49:
	v_mov_b32_e32 v28, 0
	v_or_b32_e32 v30, 0x10000, v22
	v_cmp_eq_u32_sdwa s[8:9], v22, v28 src0_sel:WORD_0 src1_sel:DWORD
	v_cndmask_b32_e64 v28, v30, v22, s[8:9]
; %bb.50:
	s_or_b64 exec, exec, s[18:19]
	v_cndmask_b32_e64 v22, v34, v33, s[12:13]
	v_lshlrev_b32_e32 v30, 16, v22
	v_add_f32_e32 v31, 0, v30
	s_mov_b32 s8, 0x7f800000
	v_and_b32_e32 v30, 0x7f800000, v31
	v_cmp_ne_u32_e64 s[8:9], s8, v30
                                        ; implicit-def: $vgpr30
	s_and_saveexec_b64 s[18:19], s[8:9]
	s_xor_b64 s[8:9], exec, s[18:19]
; %bb.51:
	v_bfe_u32 v30, v31, 16, 1
	s_movk_i32 s18, 0x7fff
	v_add3_u32 v30, v31, v30, s18
                                        ; implicit-def: $vgpr31
; %bb.52:
	s_andn2_saveexec_b64 s[18:19], s[8:9]
; %bb.53:
	v_mov_b32_e32 v30, 0
	v_or_b32_e32 v32, 0x10000, v31
	v_cmp_eq_u32_sdwa s[8:9], v31, v30 src0_sel:WORD_0 src1_sel:DWORD
	v_cndmask_b32_e64 v30, v32, v31, s[8:9]
; %bb.54:
	s_or_b64 exec, exec, s[18:19]
	s_mov_b32 s8, 0x7060302
	v_perm_b32 v31, v29, v23, s8
	v_mov_b32_e32 v32, 0xffff8000
	v_cmp_lt_i32_e64 s[8:9], -1, v23
	v_cndmask_b32_e64 v23, -1, v32, s[8:9]
	v_cmp_lt_i32_e64 s[8:9], -1, v29
	v_cndmask_b32_e64 v29, -1, v32, s[8:9]
	s_mov_b32 s8, 0x5040100
	v_perm_b32 v23, v29, v23, s8
	v_xor_b32_e32 v23, v23, v31
	v_cmp_gt_u16_sdwa s[8:9], v23, v23 src0_sel:DWORD src1_sel:WORD_1
	v_cndmask_b32_e64 v32, v8, v5, s[8:9]
	v_lshlrev_b32_e32 v23, 16, v32
	v_add_f32_e32 v29, 0, v23
	s_mov_b32 s18, 0x7f800000
	v_and_b32_e32 v23, 0x7f800000, v29
	v_cmp_ne_u32_e64 s[18:19], s18, v23
                                        ; implicit-def: $vgpr23
	s_and_saveexec_b64 s[20:21], s[18:19]
	s_xor_b64 s[18:19], exec, s[20:21]
; %bb.55:
	v_bfe_u32 v23, v29, 16, 1
	s_movk_i32 s20, 0x7fff
	v_add3_u32 v23, v29, v23, s20
                                        ; implicit-def: $vgpr29
; %bb.56:
	s_andn2_saveexec_b64 s[20:21], s[18:19]
; %bb.57:
	v_mov_b32_e32 v23, 0
	v_or_b32_e32 v31, 0x10000, v29
	v_cmp_eq_u32_sdwa s[18:19], v29, v23 src0_sel:WORD_0 src1_sel:DWORD
	v_cndmask_b32_e64 v23, v31, v29, s[18:19]
; %bb.58:
	s_or_b64 exec, exec, s[20:21]
	s_mov_b32 s18, 0x7060302
	v_perm_b32 v29, v30, v28, s18
	v_mov_b32_e32 v31, 0xffff8000
	v_cmp_lt_i32_e64 s[18:19], -1, v28
	v_cndmask_b32_e64 v28, -1, v31, s[18:19]
	v_cmp_lt_i32_e64 s[18:19], -1, v30
	v_cndmask_b32_e64 v30, -1, v31, s[18:19]
	s_mov_b32 s18, 0x5040100
	v_perm_b32 v28, v30, v28, s18
	v_xor_b32_e32 v28, v28, v29
	v_cmp_gt_u16_sdwa s[18:19], v28, v28 src0_sel:DWORD src1_sel:WORD_1
	v_cndmask_b32_e64 v28, v9, v22, s[18:19]
	v_lshlrev_b32_e32 v29, 16, v28
	v_add_f32_e32 v30, 0, v29
	s_mov_b32 s20, 0x7f800000
	v_and_b32_e32 v29, 0x7f800000, v30
	v_cmp_ne_u32_e64 s[20:21], s20, v29
                                        ; implicit-def: $vgpr29
	s_and_saveexec_b64 s[24:25], s[20:21]
	s_xor_b64 s[20:21], exec, s[24:25]
; %bb.59:
	v_bfe_u32 v29, v30, 16, 1
	s_movk_i32 s24, 0x7fff
	v_add3_u32 v29, v30, v29, s24
                                        ; implicit-def: $vgpr30
; %bb.60:
	s_andn2_saveexec_b64 s[24:25], s[20:21]
; %bb.61:
	v_mov_b32_e32 v29, 0
	v_or_b32_e32 v31, 0x10000, v30
	v_cmp_eq_u32_sdwa s[20:21], v30, v29 src0_sel:WORD_0 src1_sel:DWORD
	v_cndmask_b32_e64 v29, v31, v30, s[20:21]
; %bb.62:
	s_or_b64 exec, exec, s[24:25]
	v_cndmask_b32_e64 v30, v12, v14, s[10:11]
	v_cndmask_b32_e64 v31, v13, v15, s[10:11]
	;; [unrolled: 1-line block ×12, first 2 shown]
	s_mov_b32 s10, 0x7060302
	v_cndmask_b32_e64 v15, v13, v31, s[8:9]
	v_cndmask_b32_e64 v14, v12, v30, s[8:9]
	v_cndmask_b32_e64 v13, v31, v13, s[8:9]
	v_cndmask_b32_e64 v12, v30, v12, s[8:9]
	v_perm_b32 v30, v29, v23, s10
	v_mov_b32_e32 v31, 0xffff8000
	v_cmp_lt_i32_e64 s[10:11], -1, v23
	v_cndmask_b32_e64 v23, -1, v31, s[10:11]
	v_cmp_lt_i32_e64 s[10:11], -1, v29
	v_cndmask_b32_e64 v29, -1, v31, s[10:11]
	s_mov_b32 s10, 0x5040100
	v_perm_b32 v23, v29, v23, s10
	v_xor_b32_e32 v23, v23, v30
	v_cndmask_b32_e64 v19, v34, v17, s[18:19]
	v_cndmask_b32_e64 v18, v33, v16, s[18:19]
	;; [unrolled: 1-line block ×4, first 2 shown]
	v_cmp_gt_u16_sdwa s[12:13], v23, v23 src0_sel:DWORD src1_sel:WORD_1
	v_mov_b32_e32 v33, v28
	s_and_saveexec_b64 s[10:11], s[12:13]
	s_cbranch_execz .LBB2073_64
; %bb.63:
	v_mov_b32_e32 v48, v12
	v_mov_b32_e32 v49, v13
	;; [unrolled: 1-line block ×18, first 2 shown]
.LBB2073_64:
	s_or_b64 exec, exec, s[10:11]
	v_cndmask_b32_e64 v34, v22, v9, s[18:19]
	v_cndmask_b32_e64 v35, v5, v8, s[8:9]
.LBB2073_65:
	s_or_b64 exec, exec, s[22:23]
	v_and_b32_e32 v22, 0xffffff00, v4
	v_mov_b32_e32 v23, 0
	v_lshlrev_b64 v[4:5], 1, v[22:23]
	s_movk_i32 s10, 0x400
	v_add_co_u32_e64 v8, s[8:9], v10, v4
	v_addc_co_u32_e64 v9, s[8:9], v11, v5, s[8:9]
	v_mad_u64_u32 v[4:5], s[8:9], v22, 6, v[8:9]
	v_sub_u32_e64 v5, s10, v22 clamp
	v_or_b32_e32 v11, 4, v27
	v_min_u32_e32 v31, v5, v11
	v_add_u32_e32 v11, 4, v31
	v_and_b32_e32 v37, 0x1f8, v27
	v_min_u32_e32 v36, v5, v11
	v_and_b32_e32 v11, 4, v27
	v_min_u32_e32 v39, v5, v11
	v_sub_u32_e32 v11, v31, v37
	v_sub_u32_e32 v22, v36, v31
	v_lshl_add_u32 v30, v27, 3, v4
	v_sub_u32_e64 v48, v39, v22 clamp
	v_min_u32_e32 v11, v39, v11
	v_lshl_add_u32 v9, v27, 1, v8
	v_add_u32_e32 v10, 0x800, v30
	v_cmp_lt_u32_e64 s[8:9], v48, v11
	ds_write_b16 v9, v35
	ds_write_b16 v9, v32 offset:2
	ds_write2_b64 v10, v[12:13], v[14:15] offset1:1
	ds_write_b16 v9, v33 offset:4
	ds_write_b16 v9, v34 offset:6
	ds_write2_b64 v10, v[16:17], v[18:19] offset0:2 offset1:3
	; wave barrier
	s_and_saveexec_b64 s[10:11], s[8:9]
	s_cbranch_execz .LBB2073_80
; %bb.66:
	v_lshlrev_b32_e32 v22, 1, v37
	v_lshlrev_b32_e32 v28, 1, v31
	v_add_co_u32_e64 v22, s[8:9], v8, v22
	v_add_co_u32_e64 v28, s[8:9], v8, v28
	s_mov_b64 s[12:13], 0
	s_mov_b32 s18, 0x7f800000
	s_movk_i32 s19, 0x7fff
	v_mov_b32_e32 v29, 0xffff8000
	s_branch .LBB2073_68
.LBB2073_67:                            ;   in Loop: Header=BB2073_68 Depth=1
	s_or_b64 exec, exec, s[14:15]
	v_cmp_lt_i32_e64 s[8:9], -1, v49
	v_cndmask_b32_e64 v51, -1, v29, s[8:9]
	v_cmp_lt_i32_e64 s[8:9], -1, v50
	v_xor_b32_sdwa v49, v51, v49 dst_sel:DWORD dst_unused:UNUSED_PAD src0_sel:DWORD src1_sel:WORD_1
	v_cndmask_b32_e64 v51, -1, v29, s[8:9]
	v_xor_b32_sdwa v50, v51, v50 dst_sel:DWORD dst_unused:UNUSED_PAD src0_sel:DWORD src1_sel:WORD_1
	v_add_u32_e32 v51, 1, v38
	v_cmp_gt_u16_e64 s[8:9], v49, v50
	v_cndmask_b32_e64 v11, v11, v38, s[8:9]
	v_cndmask_b32_e64 v48, v51, v48, s[8:9]
	v_cmp_ge_u32_e64 s[8:9], v48, v11
	s_or_b64 s[12:13], s[8:9], s[12:13]
	s_andn2_b64 exec, exec, s[12:13]
	s_cbranch_execz .LBB2073_79
.LBB2073_68:                            ; =>This Inner Loop Header: Depth=1
	v_add_u32_e32 v38, v11, v48
	v_and_b32_e32 v49, -2, v38
	v_add_u32_e32 v49, v22, v49
	ds_read_u16 v49, v49
	v_lshrrev_b32_e32 v38, 1, v38
	v_xad_u32 v50, v38, -1, v39
	v_lshl_add_u32 v50, v50, 1, v28
	ds_read_u16 v50, v50
	s_waitcnt lgkmcnt(1)
	v_lshlrev_b32_e32 v49, 16, v49
	v_add_f32_e32 v51, 0, v49
	v_and_b32_e32 v49, 0x7f800000, v51
	v_cmp_ne_u32_e64 s[8:9], s18, v49
                                        ; implicit-def: $vgpr49
	s_and_saveexec_b64 s[14:15], s[8:9]
	s_xor_b64 s[8:9], exec, s[14:15]
; %bb.69:                               ;   in Loop: Header=BB2073_68 Depth=1
	v_bfe_u32 v49, v51, 16, 1
	v_add3_u32 v49, v51, v49, s19
                                        ; implicit-def: $vgpr51
; %bb.70:                               ;   in Loop: Header=BB2073_68 Depth=1
	s_andn2_saveexec_b64 s[14:15], s[8:9]
; %bb.71:                               ;   in Loop: Header=BB2073_68 Depth=1
	v_or_b32_e32 v49, 0x10000, v51
	v_cmp_eq_u32_sdwa s[8:9], v51, v23 src0_sel:WORD_0 src1_sel:DWORD
	v_cndmask_b32_e64 v49, v49, v51, s[8:9]
; %bb.72:                               ;   in Loop: Header=BB2073_68 Depth=1
	s_or_b64 exec, exec, s[14:15]
	s_waitcnt lgkmcnt(0)
	v_lshlrev_b32_e32 v50, 16, v50
	v_add_f32_e32 v51, 0, v50
	v_and_b32_e32 v50, 0x7f800000, v51
	v_cmp_ne_u32_e64 s[8:9], s18, v50
                                        ; implicit-def: $vgpr50
	s_and_saveexec_b64 s[14:15], s[8:9]
	s_xor_b64 s[8:9], exec, s[14:15]
; %bb.73:                               ;   in Loop: Header=BB2073_68 Depth=1
	v_bfe_u32 v50, v51, 16, 1
	v_add3_u32 v50, v51, v50, s19
                                        ; implicit-def: $vgpr51
; %bb.74:                               ;   in Loop: Header=BB2073_68 Depth=1
	s_andn2_saveexec_b64 s[14:15], s[8:9]
	s_cbranch_execz .LBB2073_67
; %bb.75:                               ;   in Loop: Header=BB2073_68 Depth=1
	v_or_b32_e32 v50, 0x10000, v51
	v_cmp_eq_u32_sdwa s[8:9], v51, v23 src0_sel:WORD_0 src1_sel:DWORD
	v_cndmask_b32_e64 v50, v50, v51, s[8:9]
	s_branch .LBB2073_67
.LBB2073_76:
	flat_load_dwordx2 v[48:49], v[4:5]
	v_mov_b32_e32 v50, v12
	v_mov_b32_e32 v51, v12
	v_mov_b32_e32 v52, v12
	v_mov_b32_e32 v53, v12
	v_mov_b32_e32 v54, v12
	v_mov_b32_e32 v55, v12
	s_waitcnt vmcnt(0) lgkmcnt(0)
	v_mov_b32_e32 v12, v48
	v_mov_b32_e32 v13, v49
	;; [unrolled: 1-line block ×8, first 2 shown]
	s_or_b64 exec, exec, s[10:11]
	s_and_saveexec_b64 s[10:11], s[4:5]
	s_cbranch_execz .LBB2073_10
.LBB2073_77:
	flat_load_dwordx2 v[14:15], v[4:5] offset:8
	s_or_b64 exec, exec, s[10:11]
	s_and_saveexec_b64 s[10:11], s[6:7]
	s_cbranch_execz .LBB2073_11
.LBB2073_78:
	flat_load_dwordx2 v[16:17], v[4:5] offset:16
	s_or_b64 exec, exec, s[10:11]
	s_and_saveexec_b64 s[10:11], s[16:17]
	s_cbranch_execnz .LBB2073_12
	s_branch .LBB2073_13
.LBB2073_79:
	s_or_b64 exec, exec, s[12:13]
.LBB2073_80:
	s_or_b64 exec, exec, s[10:11]
	v_add_u32_e32 v38, v48, v37
	v_add_u32_e32 v37, v31, v39
	v_sub_u32_e32 v39, v37, v48
	v_cmp_le_u32_e64 s[8:9], v38, v31
	v_cmp_le_u32_e64 s[10:11], v39, v36
	v_add_u32_e32 v11, 2, v9
	v_add_u32_e32 v22, 0x808, v30
	;; [unrolled: 1-line block ×6, first 2 shown]
	s_or_b64 s[8:9], s[8:9], s[10:11]
	s_and_saveexec_b64 s[12:13], s[8:9]
	s_cbranch_execz .LBB2073_132
; %bb.81:
	v_cmp_ge_u32_e64 s[8:9], v38, v31
	v_cmp_lt_u32_e64 s[10:11], v38, v31
                                        ; implicit-def: $vgpr34
	s_and_saveexec_b64 s[14:15], s[10:11]
; %bb.82:
	v_lshl_add_u32 v12, v38, 1, v8
	ds_read_u16 v34, v12
; %bb.83:
	s_or_b64 exec, exec, s[14:15]
	v_cmp_ge_u32_e64 s[14:15], v39, v36
	v_cmp_lt_u32_e64 s[10:11], v39, v36
                                        ; implicit-def: $vgpr35
	s_and_saveexec_b64 s[18:19], s[10:11]
; %bb.84:
	v_lshl_add_u32 v12, v39, 1, v8
	ds_read_u16 v35, v12
; %bb.85:
	s_or_b64 exec, exec, s[18:19]
	s_nor_b64 s[8:9], s[8:9], s[14:15]
	s_and_saveexec_b64 s[10:11], s[8:9]
	s_cbranch_execz .LBB2073_95
; %bb.86:
	s_waitcnt lgkmcnt(0)
	v_lshlrev_b32_e32 v12, 16, v34
	v_add_f32_e32 v13, 0, v12
	s_mov_b32 s8, 0x7f800000
	v_and_b32_e32 v12, 0x7f800000, v13
	v_cmp_ne_u32_e64 s[8:9], s8, v12
                                        ; implicit-def: $vgpr12
	s_and_saveexec_b64 s[18:19], s[8:9]
	s_xor_b64 s[8:9], exec, s[18:19]
; %bb.87:
	v_bfe_u32 v12, v13, 16, 1
	s_movk_i32 s18, 0x7fff
	v_add3_u32 v12, v13, v12, s18
                                        ; implicit-def: $vgpr13
; %bb.88:
	s_andn2_saveexec_b64 s[18:19], s[8:9]
; %bb.89:
	v_mov_b32_e32 v12, 0
	v_or_b32_e32 v14, 0x10000, v13
	v_cmp_eq_u32_sdwa s[8:9], v13, v12 src0_sel:WORD_0 src1_sel:DWORD
	v_cndmask_b32_e64 v12, v14, v13, s[8:9]
; %bb.90:
	s_or_b64 exec, exec, s[18:19]
	v_lshlrev_b32_e32 v13, 16, v35
	v_add_f32_e32 v14, 0, v13
	s_mov_b32 s8, 0x7f800000
	v_and_b32_e32 v13, 0x7f800000, v14
	v_cmp_ne_u32_e64 s[8:9], s8, v13
                                        ; implicit-def: $vgpr13
	s_and_saveexec_b64 s[18:19], s[8:9]
	s_xor_b64 s[8:9], exec, s[18:19]
; %bb.91:
	v_bfe_u32 v13, v14, 16, 1
	s_movk_i32 s18, 0x7fff
	v_add3_u32 v13, v14, v13, s18
                                        ; implicit-def: $vgpr14
; %bb.92:
	s_andn2_saveexec_b64 s[18:19], s[8:9]
; %bb.93:
	v_mov_b32_e32 v13, 0
	v_or_b32_e32 v15, 0x10000, v14
	v_cmp_eq_u32_sdwa s[8:9], v14, v13 src0_sel:WORD_0 src1_sel:DWORD
	v_cndmask_b32_e64 v13, v15, v14, s[8:9]
; %bb.94:
	s_or_b64 exec, exec, s[18:19]
	s_mov_b32 s8, 0x7060302
	v_perm_b32 v14, v13, v12, s8
	v_mov_b32_e32 v15, 0xffff8000
	v_cmp_lt_i32_e64 s[8:9], -1, v12
	v_cndmask_b32_e64 v12, -1, v15, s[8:9]
	v_cmp_lt_i32_e64 s[8:9], -1, v13
	v_cndmask_b32_e64 v13, -1, v15, s[8:9]
	s_mov_b32 s8, 0x5040100
	v_perm_b32 v12, v13, v12, s8
	v_xor_b32_e32 v12, v12, v14
	v_cmp_le_u16_sdwa s[8:9], v12, v12 src0_sel:DWORD src1_sel:WORD_1
	s_andn2_b64 s[14:15], s[14:15], exec
	s_and_b64 s[8:9], s[8:9], exec
	s_or_b64 s[14:15], s[14:15], s[8:9]
.LBB2073_95:
	s_or_b64 exec, exec, s[10:11]
	v_cndmask_b32_e64 v12, v39, v38, s[14:15]
	v_cndmask_b32_e64 v13, v36, v31, s[14:15]
	v_add_u32_e32 v14, 1, v12
	v_add_u32_e32 v13, -1, v13
	v_min_u32_e32 v13, v14, v13
	v_lshl_add_u32 v13, v13, 1, v8
	ds_read_u16 v15, v13
	v_lshl_add_u32 v12, v12, 3, v4
	ds_read_b64 v[12:13], v12 offset:2048
	v_cndmask_b32_e64 v16, v14, v39, s[14:15]
	v_cndmask_b32_e64 v17, v38, v14, s[14:15]
	s_waitcnt lgkmcnt(1)
	v_cndmask_b32_e64 v32, v15, v35, s[14:15]
	v_cndmask_b32_e64 v37, v34, v15, s[14:15]
	v_cmp_lt_u32_e64 s[8:9], v16, v36
	s_mov_b64 s[18:19], -1
	s_mov_b64 s[10:11], -1
	s_and_saveexec_b64 s[20:21], s[8:9]
	s_cbranch_execz .LBB2073_107
; %bb.96:
	v_cmp_lt_u32_e64 s[8:9], v17, v31
	s_mov_b64 s[22:23], 0
	s_and_saveexec_b64 s[10:11], s[8:9]
	s_cbranch_execz .LBB2073_106
; %bb.97:
	v_lshlrev_b32_e32 v14, 16, v37
	v_add_f32_e32 v15, 0, v14
	s_mov_b32 s8, 0x7f800000
	v_and_b32_e32 v14, 0x7f800000, v15
	v_cmp_ne_u32_e64 s[8:9], s8, v14
                                        ; implicit-def: $vgpr14
	s_and_saveexec_b64 s[22:23], s[8:9]
	s_xor_b64 s[8:9], exec, s[22:23]
; %bb.98:
	v_bfe_u32 v14, v15, 16, 1
	s_movk_i32 s22, 0x7fff
	v_add3_u32 v14, v15, v14, s22
                                        ; implicit-def: $vgpr15
; %bb.99:
	s_andn2_saveexec_b64 s[22:23], s[8:9]
; %bb.100:
	v_mov_b32_e32 v14, 0
	v_or_b32_e32 v18, 0x10000, v15
	v_cmp_eq_u32_sdwa s[8:9], v15, v14 src0_sel:WORD_0 src1_sel:DWORD
	v_cndmask_b32_e64 v14, v18, v15, s[8:9]
; %bb.101:
	s_or_b64 exec, exec, s[22:23]
	v_lshlrev_b32_e32 v15, 16, v32
	v_add_f32_e32 v18, 0, v15
	s_mov_b32 s8, 0x7f800000
	v_and_b32_e32 v15, 0x7f800000, v18
	v_cmp_ne_u32_e64 s[8:9], s8, v15
                                        ; implicit-def: $vgpr15
	s_and_saveexec_b64 s[22:23], s[8:9]
	s_xor_b64 s[8:9], exec, s[22:23]
; %bb.102:
	v_bfe_u32 v15, v18, 16, 1
	s_movk_i32 s22, 0x7fff
	v_add3_u32 v15, v18, v15, s22
                                        ; implicit-def: $vgpr18
; %bb.103:
	s_andn2_saveexec_b64 s[22:23], s[8:9]
; %bb.104:
	v_mov_b32_e32 v15, 0
	v_or_b32_e32 v19, 0x10000, v18
	v_cmp_eq_u32_sdwa s[8:9], v18, v15 src0_sel:WORD_0 src1_sel:DWORD
	v_cndmask_b32_e64 v15, v19, v18, s[8:9]
; %bb.105:
	s_or_b64 exec, exec, s[22:23]
	s_mov_b32 s8, 0x7060302
	v_perm_b32 v18, v15, v14, s8
	v_mov_b32_e32 v19, 0xffff8000
	v_cmp_lt_i32_e64 s[8:9], -1, v14
	v_cndmask_b32_e64 v14, -1, v19, s[8:9]
	v_cmp_lt_i32_e64 s[8:9], -1, v15
	v_cndmask_b32_e64 v15, -1, v19, s[8:9]
	s_mov_b32 s8, 0x5040100
	v_perm_b32 v14, v15, v14, s8
	v_xor_b32_e32 v14, v14, v18
	v_cmp_le_u16_sdwa s[8:9], v14, v14 src0_sel:DWORD src1_sel:WORD_1
	s_and_b64 s[22:23], s[8:9], exec
.LBB2073_106:
	s_or_b64 exec, exec, s[10:11]
	s_orn2_b64 s[10:11], s[22:23], exec
.LBB2073_107:
	s_or_b64 exec, exec, s[20:21]
	v_cndmask_b32_e64 v14, v16, v17, s[10:11]
	v_cndmask_b32_e64 v15, v36, v31, s[10:11]
	v_add_u32_e32 v19, 1, v14
	v_add_u32_e32 v15, -1, v15
	v_min_u32_e32 v15, v19, v15
	v_lshl_add_u32 v15, v15, 1, v8
	ds_read_u16 v18, v15
	v_lshl_add_u32 v14, v14, 3, v4
	ds_read_b64 v[14:15], v14 offset:2048
	s_waitcnt lgkmcnt(1)
	v_cndmask_b32_e64 v33, v18, v32, s[10:11]
	v_cndmask_b32_e64 v38, v37, v18, s[10:11]
	;; [unrolled: 1-line block ×4, first 2 shown]
	v_cmp_lt_u32_e64 s[8:9], v18, v36
	s_and_saveexec_b64 s[20:21], s[8:9]
	s_cbranch_execz .LBB2073_119
; %bb.108:
	v_cmp_lt_u32_e64 s[8:9], v19, v31
	s_mov_b64 s[22:23], 0
	s_and_saveexec_b64 s[18:19], s[8:9]
	s_cbranch_execz .LBB2073_118
; %bb.109:
	v_lshlrev_b32_e32 v16, 16, v38
	v_add_f32_e32 v17, 0, v16
	s_mov_b32 s8, 0x7f800000
	v_and_b32_e32 v16, 0x7f800000, v17
	v_cmp_ne_u32_e64 s[8:9], s8, v16
                                        ; implicit-def: $vgpr16
	s_and_saveexec_b64 s[22:23], s[8:9]
	s_xor_b64 s[8:9], exec, s[22:23]
; %bb.110:
	v_bfe_u32 v16, v17, 16, 1
	s_movk_i32 s22, 0x7fff
	v_add3_u32 v16, v17, v16, s22
                                        ; implicit-def: $vgpr17
; %bb.111:
	s_andn2_saveexec_b64 s[22:23], s[8:9]
; %bb.112:
	v_mov_b32_e32 v16, 0
	v_or_b32_e32 v39, 0x10000, v17
	v_cmp_eq_u32_sdwa s[8:9], v17, v16 src0_sel:WORD_0 src1_sel:DWORD
	v_cndmask_b32_e64 v16, v39, v17, s[8:9]
; %bb.113:
	s_or_b64 exec, exec, s[22:23]
	v_lshlrev_b32_e32 v17, 16, v33
	v_add_f32_e32 v39, 0, v17
	s_mov_b32 s8, 0x7f800000
	v_and_b32_e32 v17, 0x7f800000, v39
	v_cmp_ne_u32_e64 s[8:9], s8, v17
                                        ; implicit-def: $vgpr17
	s_and_saveexec_b64 s[22:23], s[8:9]
	s_xor_b64 s[8:9], exec, s[22:23]
; %bb.114:
	v_bfe_u32 v17, v39, 16, 1
	s_movk_i32 s22, 0x7fff
	v_add3_u32 v17, v39, v17, s22
                                        ; implicit-def: $vgpr39
; %bb.115:
	s_andn2_saveexec_b64 s[22:23], s[8:9]
; %bb.116:
	v_mov_b32_e32 v17, 0
	v_or_b32_e32 v48, 0x10000, v39
	v_cmp_eq_u32_sdwa s[8:9], v39, v17 src0_sel:WORD_0 src1_sel:DWORD
	v_cndmask_b32_e64 v17, v48, v39, s[8:9]
; %bb.117:
	s_or_b64 exec, exec, s[22:23]
	s_mov_b32 s8, 0x7060302
	v_perm_b32 v39, v17, v16, s8
	v_mov_b32_e32 v48, 0xffff8000
	v_cmp_lt_i32_e64 s[8:9], -1, v16
	v_cndmask_b32_e64 v16, -1, v48, s[8:9]
	v_cmp_lt_i32_e64 s[8:9], -1, v17
	v_cndmask_b32_e64 v17, -1, v48, s[8:9]
	s_mov_b32 s8, 0x5040100
	v_perm_b32 v16, v17, v16, s8
	v_xor_b32_e32 v16, v16, v39
	v_cmp_le_u16_sdwa s[8:9], v16, v16 src0_sel:DWORD src1_sel:WORD_1
	s_and_b64 s[22:23], s[8:9], exec
.LBB2073_118:
	s_or_b64 exec, exec, s[18:19]
	s_orn2_b64 s[18:19], s[22:23], exec
.LBB2073_119:
	s_or_b64 exec, exec, s[20:21]
	v_cndmask_b32_e64 v16, v18, v19, s[18:19]
	v_cndmask_b32_e64 v17, v36, v31, s[18:19]
	v_add_u32_e32 v49, 1, v16
	v_add_u32_e32 v17, -1, v17
	v_min_u32_e32 v17, v49, v17
	v_lshl_add_u32 v17, v17, 1, v8
	ds_read_u16 v48, v17
	v_lshl_add_u32 v16, v16, 3, v4
	ds_read_b64 v[16:17], v16 offset:2048
	v_cndmask_b32_e64 v18, v49, v18, s[18:19]
	v_cndmask_b32_e64 v19, v19, v49, s[18:19]
	s_waitcnt lgkmcnt(1)
	v_cndmask_b32_e64 v39, v48, v33, s[18:19]
	v_cndmask_b32_e64 v48, v38, v48, s[18:19]
	v_cmp_lt_u32_e64 s[8:9], v18, v36
	s_mov_b64 s[22:23], -1
	s_and_saveexec_b64 s[20:21], s[8:9]
	s_cbranch_execz .LBB2073_131
; %bb.120:
	v_cmp_lt_u32_e64 s[8:9], v19, v31
	s_mov_b64 s[24:25], 0
	s_and_saveexec_b64 s[22:23], s[8:9]
	s_cbranch_execz .LBB2073_130
; %bb.121:
	v_lshlrev_b32_e32 v31, 16, v48
	v_add_f32_e32 v36, 0, v31
	s_mov_b32 s8, 0x7f800000
	v_and_b32_e32 v31, 0x7f800000, v36
	v_cmp_ne_u32_e64 s[8:9], s8, v31
                                        ; implicit-def: $vgpr31
	s_and_saveexec_b64 s[24:25], s[8:9]
	s_xor_b64 s[8:9], exec, s[24:25]
; %bb.122:
	v_bfe_u32 v31, v36, 16, 1
	s_movk_i32 s24, 0x7fff
	v_add3_u32 v31, v36, v31, s24
                                        ; implicit-def: $vgpr36
; %bb.123:
	s_andn2_saveexec_b64 s[24:25], s[8:9]
; %bb.124:
	v_mov_b32_e32 v31, 0
	v_or_b32_e32 v49, 0x10000, v36
	v_cmp_eq_u32_sdwa s[8:9], v36, v31 src0_sel:WORD_0 src1_sel:DWORD
	v_cndmask_b32_e64 v31, v49, v36, s[8:9]
; %bb.125:
	s_or_b64 exec, exec, s[24:25]
	v_lshlrev_b32_e32 v36, 16, v39
	v_add_f32_e32 v49, 0, v36
	s_mov_b32 s8, 0x7f800000
	v_and_b32_e32 v36, 0x7f800000, v49
	v_cmp_ne_u32_e64 s[8:9], s8, v36
                                        ; implicit-def: $vgpr36
	s_and_saveexec_b64 s[24:25], s[8:9]
	s_xor_b64 s[8:9], exec, s[24:25]
; %bb.126:
	v_bfe_u32 v36, v49, 16, 1
	s_movk_i32 s24, 0x7fff
	v_add3_u32 v36, v49, v36, s24
                                        ; implicit-def: $vgpr49
; %bb.127:
	s_andn2_saveexec_b64 s[24:25], s[8:9]
; %bb.128:
	v_mov_b32_e32 v36, 0
	v_or_b32_e32 v50, 0x10000, v49
	v_cmp_eq_u32_sdwa s[8:9], v49, v36 src0_sel:WORD_0 src1_sel:DWORD
	v_cndmask_b32_e64 v36, v50, v49, s[8:9]
; %bb.129:
	s_or_b64 exec, exec, s[24:25]
	s_mov_b32 s8, 0x7060302
	v_perm_b32 v49, v36, v31, s8
	v_mov_b32_e32 v50, 0xffff8000
	v_cmp_lt_i32_e64 s[8:9], -1, v31
	v_cndmask_b32_e64 v31, -1, v50, s[8:9]
	v_cmp_lt_i32_e64 s[8:9], -1, v36
	v_cndmask_b32_e64 v36, -1, v50, s[8:9]
	s_mov_b32 s8, 0x5040100
	v_perm_b32 v31, v36, v31, s8
	v_xor_b32_e32 v31, v31, v49
	v_cmp_le_u16_sdwa s[8:9], v31, v31 src0_sel:DWORD src1_sel:WORD_1
	s_and_b64 s[24:25], s[8:9], exec
.LBB2073_130:
	s_or_b64 exec, exec, s[22:23]
	s_orn2_b64 s[22:23], s[24:25], exec
.LBB2073_131:
	s_or_b64 exec, exec, s[20:21]
	v_cndmask_b32_e64 v18, v18, v19, s[22:23]
	v_lshl_add_u32 v18, v18, 3, v4
	ds_read_b64 v[18:19], v18 offset:2048
	v_cndmask_b32_e64 v33, v33, v38, s[18:19]
	v_cndmask_b32_e64 v32, v32, v37, s[10:11]
	;; [unrolled: 1-line block ×4, first 2 shown]
.LBB2073_132:
	s_or_b64 exec, exec, s[12:13]
	v_and_b32_e32 v37, 0x1f0, v27
	v_or_b32_e32 v31, 8, v37
	v_min_u32_e32 v31, v5, v31
	v_add_u32_e32 v36, 8, v31
	v_min_u32_e32 v36, v5, v36
	v_and_b32_e32 v38, 12, v27
	v_min_u32_e32 v39, v5, v38
	v_sub_u32_e32 v38, v31, v37
	v_sub_u32_e32 v48, v36, v31
	v_sub_u32_e64 v48, v39, v48 clamp
	v_min_u32_e32 v38, v39, v38
	v_cmp_lt_u32_e64 s[8:9], v48, v38
	; wave barrier
	ds_write_b16 v9, v35
	ds_write_b64 v10, v[12:13]
	ds_write_b16 v11, v32
	ds_write_b64 v22, v[14:15]
	ds_write_b16 v23, v33
	s_waitcnt lgkmcnt(6)
	ds_write_b64 v28, v[16:17]
	ds_write_b16 v29, v34
	s_waitcnt lgkmcnt(7)
	ds_write_b64 v30, v[18:19]
	; wave barrier
	s_and_saveexec_b64 s[10:11], s[8:9]
	s_cbranch_execz .LBB2073_144
; %bb.133:
	v_lshlrev_b32_e32 v49, 1, v37
	v_lshlrev_b32_e32 v50, 1, v31
	v_add_co_u32_e64 v49, s[8:9], v8, v49
	v_add_co_u32_e64 v50, s[8:9], v8, v50
	s_mov_b64 s[12:13], 0
	s_mov_b32 s18, 0x7f800000
	s_movk_i32 s19, 0x7fff
	v_mov_b32_e32 v51, 0
	v_mov_b32_e32 v52, 0xffff8000
	s_branch .LBB2073_135
.LBB2073_134:                           ;   in Loop: Header=BB2073_135 Depth=1
	s_or_b64 exec, exec, s[14:15]
	v_cmp_lt_i32_e64 s[8:9], -1, v54
	v_cndmask_b32_e64 v64, -1, v52, s[8:9]
	v_cmp_lt_i32_e64 s[8:9], -1, v55
	v_xor_b32_sdwa v54, v64, v54 dst_sel:DWORD dst_unused:UNUSED_PAD src0_sel:DWORD src1_sel:WORD_1
	v_cndmask_b32_e64 v64, -1, v52, s[8:9]
	v_xor_b32_sdwa v55, v64, v55 dst_sel:DWORD dst_unused:UNUSED_PAD src0_sel:DWORD src1_sel:WORD_1
	v_add_u32_e32 v64, 1, v53
	v_cmp_gt_u16_e64 s[8:9], v54, v55
	v_cndmask_b32_e64 v38, v38, v53, s[8:9]
	v_cndmask_b32_e64 v48, v64, v48, s[8:9]
	v_cmp_ge_u32_e64 s[8:9], v48, v38
	s_or_b64 s[12:13], s[8:9], s[12:13]
	s_andn2_b64 exec, exec, s[12:13]
	s_cbranch_execz .LBB2073_143
.LBB2073_135:                           ; =>This Inner Loop Header: Depth=1
	v_add_u32_e32 v53, v38, v48
	v_and_b32_e32 v54, -2, v53
	v_add_u32_e32 v54, v49, v54
	ds_read_u16 v54, v54
	v_lshrrev_b32_e32 v53, 1, v53
	v_xad_u32 v55, v53, -1, v39
	v_lshl_add_u32 v55, v55, 1, v50
	ds_read_u16 v55, v55
	s_waitcnt lgkmcnt(1)
	v_lshlrev_b32_e32 v54, 16, v54
	v_add_f32_e32 v64, 0, v54
	v_and_b32_e32 v54, 0x7f800000, v64
	v_cmp_ne_u32_e64 s[8:9], s18, v54
                                        ; implicit-def: $vgpr54
	s_and_saveexec_b64 s[14:15], s[8:9]
	s_xor_b64 s[8:9], exec, s[14:15]
; %bb.136:                              ;   in Loop: Header=BB2073_135 Depth=1
	v_bfe_u32 v54, v64, 16, 1
	v_add3_u32 v54, v64, v54, s19
                                        ; implicit-def: $vgpr64
; %bb.137:                              ;   in Loop: Header=BB2073_135 Depth=1
	s_andn2_saveexec_b64 s[14:15], s[8:9]
; %bb.138:                              ;   in Loop: Header=BB2073_135 Depth=1
	v_or_b32_e32 v54, 0x10000, v64
	v_cmp_eq_u32_sdwa s[8:9], v64, v51 src0_sel:WORD_0 src1_sel:DWORD
	v_cndmask_b32_e64 v54, v54, v64, s[8:9]
; %bb.139:                              ;   in Loop: Header=BB2073_135 Depth=1
	s_or_b64 exec, exec, s[14:15]
	s_waitcnt lgkmcnt(0)
	v_lshlrev_b32_e32 v55, 16, v55
	v_add_f32_e32 v64, 0, v55
	v_and_b32_e32 v55, 0x7f800000, v64
	v_cmp_ne_u32_e64 s[8:9], s18, v55
                                        ; implicit-def: $vgpr55
	s_and_saveexec_b64 s[14:15], s[8:9]
	s_xor_b64 s[8:9], exec, s[14:15]
; %bb.140:                              ;   in Loop: Header=BB2073_135 Depth=1
	v_bfe_u32 v55, v64, 16, 1
	v_add3_u32 v55, v64, v55, s19
                                        ; implicit-def: $vgpr64
; %bb.141:                              ;   in Loop: Header=BB2073_135 Depth=1
	s_andn2_saveexec_b64 s[14:15], s[8:9]
	s_cbranch_execz .LBB2073_134
; %bb.142:                              ;   in Loop: Header=BB2073_135 Depth=1
	v_or_b32_e32 v55, 0x10000, v64
	v_cmp_eq_u32_sdwa s[8:9], v64, v51 src0_sel:WORD_0 src1_sel:DWORD
	v_cndmask_b32_e64 v55, v55, v64, s[8:9]
	s_branch .LBB2073_134
.LBB2073_143:
	s_or_b64 exec, exec, s[12:13]
.LBB2073_144:
	s_or_b64 exec, exec, s[10:11]
	v_add_u32_e32 v38, v48, v37
	v_add_u32_e32 v37, v31, v39
	v_sub_u32_e32 v39, v37, v48
	v_cmp_le_u32_e64 s[8:9], v38, v31
	v_cmp_le_u32_e64 s[10:11], v39, v36
	s_or_b64 s[8:9], s[8:9], s[10:11]
	s_and_saveexec_b64 s[12:13], s[8:9]
	s_cbranch_execz .LBB2073_196
; %bb.145:
	v_cmp_ge_u32_e64 s[8:9], v38, v31
	v_cmp_lt_u32_e64 s[10:11], v38, v31
                                        ; implicit-def: $vgpr34
	s_and_saveexec_b64 s[14:15], s[10:11]
; %bb.146:
	v_lshl_add_u32 v12, v38, 1, v8
	ds_read_u16 v34, v12
; %bb.147:
	s_or_b64 exec, exec, s[14:15]
	v_cmp_ge_u32_e64 s[14:15], v39, v36
	v_cmp_lt_u32_e64 s[10:11], v39, v36
                                        ; implicit-def: $vgpr35
	s_and_saveexec_b64 s[18:19], s[10:11]
; %bb.148:
	v_lshl_add_u32 v12, v39, 1, v8
	ds_read_u16 v35, v12
; %bb.149:
	s_or_b64 exec, exec, s[18:19]
	s_nor_b64 s[8:9], s[8:9], s[14:15]
	s_and_saveexec_b64 s[10:11], s[8:9]
	s_cbranch_execz .LBB2073_159
; %bb.150:
	s_waitcnt lgkmcnt(0)
	v_lshlrev_b32_e32 v12, 16, v34
	v_add_f32_e32 v13, 0, v12
	s_mov_b32 s8, 0x7f800000
	v_and_b32_e32 v12, 0x7f800000, v13
	v_cmp_ne_u32_e64 s[8:9], s8, v12
                                        ; implicit-def: $vgpr12
	s_and_saveexec_b64 s[18:19], s[8:9]
	s_xor_b64 s[8:9], exec, s[18:19]
; %bb.151:
	v_bfe_u32 v12, v13, 16, 1
	s_movk_i32 s18, 0x7fff
	v_add3_u32 v12, v13, v12, s18
                                        ; implicit-def: $vgpr13
; %bb.152:
	s_andn2_saveexec_b64 s[18:19], s[8:9]
; %bb.153:
	v_mov_b32_e32 v12, 0
	v_or_b32_e32 v14, 0x10000, v13
	v_cmp_eq_u32_sdwa s[8:9], v13, v12 src0_sel:WORD_0 src1_sel:DWORD
	v_cndmask_b32_e64 v12, v14, v13, s[8:9]
; %bb.154:
	s_or_b64 exec, exec, s[18:19]
	v_lshlrev_b32_e32 v13, 16, v35
	v_add_f32_e32 v14, 0, v13
	s_mov_b32 s8, 0x7f800000
	v_and_b32_e32 v13, 0x7f800000, v14
	v_cmp_ne_u32_e64 s[8:9], s8, v13
                                        ; implicit-def: $vgpr13
	s_and_saveexec_b64 s[18:19], s[8:9]
	s_xor_b64 s[8:9], exec, s[18:19]
; %bb.155:
	v_bfe_u32 v13, v14, 16, 1
	s_movk_i32 s18, 0x7fff
	v_add3_u32 v13, v14, v13, s18
                                        ; implicit-def: $vgpr14
; %bb.156:
	s_andn2_saveexec_b64 s[18:19], s[8:9]
; %bb.157:
	v_mov_b32_e32 v13, 0
	v_or_b32_e32 v15, 0x10000, v14
	v_cmp_eq_u32_sdwa s[8:9], v14, v13 src0_sel:WORD_0 src1_sel:DWORD
	v_cndmask_b32_e64 v13, v15, v14, s[8:9]
; %bb.158:
	s_or_b64 exec, exec, s[18:19]
	s_mov_b32 s8, 0x7060302
	v_perm_b32 v14, v13, v12, s8
	v_mov_b32_e32 v15, 0xffff8000
	v_cmp_lt_i32_e64 s[8:9], -1, v12
	v_cndmask_b32_e64 v12, -1, v15, s[8:9]
	v_cmp_lt_i32_e64 s[8:9], -1, v13
	v_cndmask_b32_e64 v13, -1, v15, s[8:9]
	s_mov_b32 s8, 0x5040100
	v_perm_b32 v12, v13, v12, s8
	v_xor_b32_e32 v12, v12, v14
	v_cmp_le_u16_sdwa s[8:9], v12, v12 src0_sel:DWORD src1_sel:WORD_1
	s_andn2_b64 s[14:15], s[14:15], exec
	s_and_b64 s[8:9], s[8:9], exec
	s_or_b64 s[14:15], s[14:15], s[8:9]
.LBB2073_159:
	s_or_b64 exec, exec, s[10:11]
	v_cndmask_b32_e64 v12, v39, v38, s[14:15]
	v_cndmask_b32_e64 v13, v36, v31, s[14:15]
	v_add_u32_e32 v14, 1, v12
	v_add_u32_e32 v13, -1, v13
	v_min_u32_e32 v13, v14, v13
	v_lshl_add_u32 v13, v13, 1, v8
	ds_read_u16 v15, v13
	v_lshl_add_u32 v12, v12, 3, v4
	ds_read_b64 v[12:13], v12 offset:2048
	v_cndmask_b32_e64 v16, v14, v39, s[14:15]
	v_cndmask_b32_e64 v17, v38, v14, s[14:15]
	s_waitcnt lgkmcnt(1)
	v_cndmask_b32_e64 v32, v15, v35, s[14:15]
	v_cndmask_b32_e64 v37, v34, v15, s[14:15]
	v_cmp_lt_u32_e64 s[8:9], v16, v36
	s_mov_b64 s[18:19], -1
	s_mov_b64 s[10:11], -1
	s_and_saveexec_b64 s[20:21], s[8:9]
	s_cbranch_execz .LBB2073_171
; %bb.160:
	v_cmp_lt_u32_e64 s[8:9], v17, v31
	s_mov_b64 s[22:23], 0
	s_and_saveexec_b64 s[10:11], s[8:9]
	s_cbranch_execz .LBB2073_170
; %bb.161:
	v_lshlrev_b32_e32 v14, 16, v37
	v_add_f32_e32 v15, 0, v14
	s_mov_b32 s8, 0x7f800000
	v_and_b32_e32 v14, 0x7f800000, v15
	v_cmp_ne_u32_e64 s[8:9], s8, v14
                                        ; implicit-def: $vgpr14
	s_and_saveexec_b64 s[22:23], s[8:9]
	s_xor_b64 s[8:9], exec, s[22:23]
; %bb.162:
	v_bfe_u32 v14, v15, 16, 1
	s_movk_i32 s22, 0x7fff
	v_add3_u32 v14, v15, v14, s22
                                        ; implicit-def: $vgpr15
; %bb.163:
	s_andn2_saveexec_b64 s[22:23], s[8:9]
; %bb.164:
	v_mov_b32_e32 v14, 0
	v_or_b32_e32 v18, 0x10000, v15
	v_cmp_eq_u32_sdwa s[8:9], v15, v14 src0_sel:WORD_0 src1_sel:DWORD
	v_cndmask_b32_e64 v14, v18, v15, s[8:9]
; %bb.165:
	s_or_b64 exec, exec, s[22:23]
	v_lshlrev_b32_e32 v15, 16, v32
	v_add_f32_e32 v18, 0, v15
	s_mov_b32 s8, 0x7f800000
	v_and_b32_e32 v15, 0x7f800000, v18
	v_cmp_ne_u32_e64 s[8:9], s8, v15
                                        ; implicit-def: $vgpr15
	s_and_saveexec_b64 s[22:23], s[8:9]
	s_xor_b64 s[8:9], exec, s[22:23]
; %bb.166:
	v_bfe_u32 v15, v18, 16, 1
	s_movk_i32 s22, 0x7fff
	v_add3_u32 v15, v18, v15, s22
                                        ; implicit-def: $vgpr18
; %bb.167:
	s_andn2_saveexec_b64 s[22:23], s[8:9]
; %bb.168:
	v_mov_b32_e32 v15, 0
	v_or_b32_e32 v19, 0x10000, v18
	v_cmp_eq_u32_sdwa s[8:9], v18, v15 src0_sel:WORD_0 src1_sel:DWORD
	v_cndmask_b32_e64 v15, v19, v18, s[8:9]
; %bb.169:
	s_or_b64 exec, exec, s[22:23]
	s_mov_b32 s8, 0x7060302
	v_perm_b32 v18, v15, v14, s8
	v_mov_b32_e32 v19, 0xffff8000
	v_cmp_lt_i32_e64 s[8:9], -1, v14
	v_cndmask_b32_e64 v14, -1, v19, s[8:9]
	v_cmp_lt_i32_e64 s[8:9], -1, v15
	v_cndmask_b32_e64 v15, -1, v19, s[8:9]
	s_mov_b32 s8, 0x5040100
	v_perm_b32 v14, v15, v14, s8
	v_xor_b32_e32 v14, v14, v18
	v_cmp_le_u16_sdwa s[8:9], v14, v14 src0_sel:DWORD src1_sel:WORD_1
	s_and_b64 s[22:23], s[8:9], exec
.LBB2073_170:
	s_or_b64 exec, exec, s[10:11]
	s_orn2_b64 s[10:11], s[22:23], exec
.LBB2073_171:
	s_or_b64 exec, exec, s[20:21]
	v_cndmask_b32_e64 v14, v16, v17, s[10:11]
	v_cndmask_b32_e64 v15, v36, v31, s[10:11]
	v_add_u32_e32 v19, 1, v14
	v_add_u32_e32 v15, -1, v15
	v_min_u32_e32 v15, v19, v15
	v_lshl_add_u32 v15, v15, 1, v8
	ds_read_u16 v18, v15
	v_lshl_add_u32 v14, v14, 3, v4
	ds_read_b64 v[14:15], v14 offset:2048
	s_waitcnt lgkmcnt(1)
	v_cndmask_b32_e64 v33, v18, v32, s[10:11]
	v_cndmask_b32_e64 v38, v37, v18, s[10:11]
	;; [unrolled: 1-line block ×4, first 2 shown]
	v_cmp_lt_u32_e64 s[8:9], v18, v36
	s_and_saveexec_b64 s[20:21], s[8:9]
	s_cbranch_execz .LBB2073_183
; %bb.172:
	v_cmp_lt_u32_e64 s[8:9], v19, v31
	s_mov_b64 s[22:23], 0
	s_and_saveexec_b64 s[18:19], s[8:9]
	s_cbranch_execz .LBB2073_182
; %bb.173:
	v_lshlrev_b32_e32 v16, 16, v38
	v_add_f32_e32 v17, 0, v16
	s_mov_b32 s8, 0x7f800000
	v_and_b32_e32 v16, 0x7f800000, v17
	v_cmp_ne_u32_e64 s[8:9], s8, v16
                                        ; implicit-def: $vgpr16
	s_and_saveexec_b64 s[22:23], s[8:9]
	s_xor_b64 s[8:9], exec, s[22:23]
; %bb.174:
	v_bfe_u32 v16, v17, 16, 1
	s_movk_i32 s22, 0x7fff
	v_add3_u32 v16, v17, v16, s22
                                        ; implicit-def: $vgpr17
; %bb.175:
	s_andn2_saveexec_b64 s[22:23], s[8:9]
; %bb.176:
	v_mov_b32_e32 v16, 0
	v_or_b32_e32 v39, 0x10000, v17
	v_cmp_eq_u32_sdwa s[8:9], v17, v16 src0_sel:WORD_0 src1_sel:DWORD
	v_cndmask_b32_e64 v16, v39, v17, s[8:9]
; %bb.177:
	s_or_b64 exec, exec, s[22:23]
	v_lshlrev_b32_e32 v17, 16, v33
	v_add_f32_e32 v39, 0, v17
	s_mov_b32 s8, 0x7f800000
	v_and_b32_e32 v17, 0x7f800000, v39
	v_cmp_ne_u32_e64 s[8:9], s8, v17
                                        ; implicit-def: $vgpr17
	s_and_saveexec_b64 s[22:23], s[8:9]
	s_xor_b64 s[8:9], exec, s[22:23]
; %bb.178:
	v_bfe_u32 v17, v39, 16, 1
	s_movk_i32 s22, 0x7fff
	v_add3_u32 v17, v39, v17, s22
                                        ; implicit-def: $vgpr39
; %bb.179:
	s_andn2_saveexec_b64 s[22:23], s[8:9]
; %bb.180:
	v_mov_b32_e32 v17, 0
	v_or_b32_e32 v48, 0x10000, v39
	v_cmp_eq_u32_sdwa s[8:9], v39, v17 src0_sel:WORD_0 src1_sel:DWORD
	v_cndmask_b32_e64 v17, v48, v39, s[8:9]
; %bb.181:
	s_or_b64 exec, exec, s[22:23]
	s_mov_b32 s8, 0x7060302
	v_perm_b32 v39, v17, v16, s8
	v_mov_b32_e32 v48, 0xffff8000
	v_cmp_lt_i32_e64 s[8:9], -1, v16
	v_cndmask_b32_e64 v16, -1, v48, s[8:9]
	v_cmp_lt_i32_e64 s[8:9], -1, v17
	v_cndmask_b32_e64 v17, -1, v48, s[8:9]
	s_mov_b32 s8, 0x5040100
	v_perm_b32 v16, v17, v16, s8
	v_xor_b32_e32 v16, v16, v39
	v_cmp_le_u16_sdwa s[8:9], v16, v16 src0_sel:DWORD src1_sel:WORD_1
	s_and_b64 s[22:23], s[8:9], exec
.LBB2073_182:
	s_or_b64 exec, exec, s[18:19]
	s_orn2_b64 s[18:19], s[22:23], exec
.LBB2073_183:
	s_or_b64 exec, exec, s[20:21]
	v_cndmask_b32_e64 v16, v18, v19, s[18:19]
	v_cndmask_b32_e64 v17, v36, v31, s[18:19]
	v_add_u32_e32 v49, 1, v16
	v_add_u32_e32 v17, -1, v17
	v_min_u32_e32 v17, v49, v17
	v_lshl_add_u32 v17, v17, 1, v8
	ds_read_u16 v48, v17
	v_lshl_add_u32 v16, v16, 3, v4
	ds_read_b64 v[16:17], v16 offset:2048
	v_cndmask_b32_e64 v18, v49, v18, s[18:19]
	v_cndmask_b32_e64 v19, v19, v49, s[18:19]
	s_waitcnt lgkmcnt(1)
	v_cndmask_b32_e64 v39, v48, v33, s[18:19]
	v_cndmask_b32_e64 v48, v38, v48, s[18:19]
	v_cmp_lt_u32_e64 s[8:9], v18, v36
	s_mov_b64 s[22:23], -1
	s_and_saveexec_b64 s[20:21], s[8:9]
	s_cbranch_execz .LBB2073_195
; %bb.184:
	v_cmp_lt_u32_e64 s[8:9], v19, v31
	s_mov_b64 s[24:25], 0
	s_and_saveexec_b64 s[22:23], s[8:9]
	s_cbranch_execz .LBB2073_194
; %bb.185:
	v_lshlrev_b32_e32 v31, 16, v48
	v_add_f32_e32 v36, 0, v31
	s_mov_b32 s8, 0x7f800000
	v_and_b32_e32 v31, 0x7f800000, v36
	v_cmp_ne_u32_e64 s[8:9], s8, v31
                                        ; implicit-def: $vgpr31
	s_and_saveexec_b64 s[24:25], s[8:9]
	s_xor_b64 s[8:9], exec, s[24:25]
; %bb.186:
	v_bfe_u32 v31, v36, 16, 1
	s_movk_i32 s24, 0x7fff
	v_add3_u32 v31, v36, v31, s24
                                        ; implicit-def: $vgpr36
; %bb.187:
	s_andn2_saveexec_b64 s[24:25], s[8:9]
; %bb.188:
	v_mov_b32_e32 v31, 0
	v_or_b32_e32 v49, 0x10000, v36
	v_cmp_eq_u32_sdwa s[8:9], v36, v31 src0_sel:WORD_0 src1_sel:DWORD
	v_cndmask_b32_e64 v31, v49, v36, s[8:9]
; %bb.189:
	s_or_b64 exec, exec, s[24:25]
	v_lshlrev_b32_e32 v36, 16, v39
	v_add_f32_e32 v49, 0, v36
	s_mov_b32 s8, 0x7f800000
	v_and_b32_e32 v36, 0x7f800000, v49
	v_cmp_ne_u32_e64 s[8:9], s8, v36
                                        ; implicit-def: $vgpr36
	s_and_saveexec_b64 s[24:25], s[8:9]
	s_xor_b64 s[8:9], exec, s[24:25]
; %bb.190:
	v_bfe_u32 v36, v49, 16, 1
	s_movk_i32 s24, 0x7fff
	v_add3_u32 v36, v49, v36, s24
                                        ; implicit-def: $vgpr49
; %bb.191:
	s_andn2_saveexec_b64 s[24:25], s[8:9]
; %bb.192:
	v_mov_b32_e32 v36, 0
	v_or_b32_e32 v50, 0x10000, v49
	v_cmp_eq_u32_sdwa s[8:9], v49, v36 src0_sel:WORD_0 src1_sel:DWORD
	v_cndmask_b32_e64 v36, v50, v49, s[8:9]
; %bb.193:
	s_or_b64 exec, exec, s[24:25]
	s_mov_b32 s8, 0x7060302
	v_perm_b32 v49, v36, v31, s8
	v_mov_b32_e32 v50, 0xffff8000
	v_cmp_lt_i32_e64 s[8:9], -1, v31
	v_cndmask_b32_e64 v31, -1, v50, s[8:9]
	v_cmp_lt_i32_e64 s[8:9], -1, v36
	v_cndmask_b32_e64 v36, -1, v50, s[8:9]
	s_mov_b32 s8, 0x5040100
	v_perm_b32 v31, v36, v31, s8
	v_xor_b32_e32 v31, v31, v49
	v_cmp_le_u16_sdwa s[8:9], v31, v31 src0_sel:DWORD src1_sel:WORD_1
	s_and_b64 s[24:25], s[8:9], exec
.LBB2073_194:
	s_or_b64 exec, exec, s[22:23]
	s_orn2_b64 s[22:23], s[24:25], exec
.LBB2073_195:
	s_or_b64 exec, exec, s[20:21]
	v_cndmask_b32_e64 v18, v18, v19, s[22:23]
	v_lshl_add_u32 v18, v18, 3, v4
	ds_read_b64 v[18:19], v18 offset:2048
	v_cndmask_b32_e64 v33, v33, v38, s[18:19]
	v_cndmask_b32_e64 v32, v32, v37, s[10:11]
	v_cndmask_b32_e64 v35, v35, v34, s[14:15]
	v_cndmask_b32_e64 v34, v39, v48, s[22:23]
.LBB2073_196:
	s_or_b64 exec, exec, s[12:13]
	; wave barrier
	ds_write_b16 v9, v35
	ds_write_b64 v10, v[12:13]
	ds_write_b16 v11, v32
	ds_write_b64 v22, v[14:15]
	ds_write_b16 v23, v33
	s_waitcnt lgkmcnt(6)
	ds_write_b64 v28, v[16:17]
	ds_write_b16 v29, v34
	s_waitcnt lgkmcnt(7)
	ds_write_b64 v30, v[18:19]
	v_and_b32_e32 v11, 0x1e0, v27
	v_or_b32_e32 v9, 16, v11
	v_min_u32_e32 v9, v5, v9
	v_add_u32_e32 v10, 16, v9
	v_min_u32_e32 v10, v5, v10
	v_min_u32_e32 v5, v5, v26
	v_sub_u32_e32 v23, v9, v11
	v_sub_u32_e32 v22, v10, v9
	v_sub_u32_e64 v22, v5, v22 clamp
	v_min_u32_e32 v23, v5, v23
	v_cmp_lt_u32_e64 s[8:9], v22, v23
	; wave barrier
	s_and_saveexec_b64 s[10:11], s[8:9]
	s_cbranch_execz .LBB2073_208
; %bb.197:
	v_lshlrev_b32_e32 v26, 1, v11
	v_lshlrev_b32_e32 v27, 1, v9
	v_add_co_u32_e64 v26, s[8:9], v8, v26
	v_add_co_u32_e64 v27, s[8:9], v8, v27
	s_mov_b64 s[12:13], 0
	s_mov_b32 s18, 0x7f800000
	s_movk_i32 s19, 0x7fff
	v_mov_b32_e32 v28, 0
	v_mov_b32_e32 v29, 0xffff8000
	s_branch .LBB2073_199
.LBB2073_198:                           ;   in Loop: Header=BB2073_199 Depth=1
	s_or_b64 exec, exec, s[14:15]
	v_cmp_lt_i32_e64 s[8:9], -1, v31
	v_cndmask_b32_e64 v37, -1, v29, s[8:9]
	v_cmp_lt_i32_e64 s[8:9], -1, v36
	v_xor_b32_sdwa v31, v37, v31 dst_sel:DWORD dst_unused:UNUSED_PAD src0_sel:DWORD src1_sel:WORD_1
	v_cndmask_b32_e64 v37, -1, v29, s[8:9]
	v_xor_b32_sdwa v36, v37, v36 dst_sel:DWORD dst_unused:UNUSED_PAD src0_sel:DWORD src1_sel:WORD_1
	v_add_u32_e32 v37, 1, v30
	v_cmp_gt_u16_e64 s[8:9], v31, v36
	v_cndmask_b32_e64 v23, v23, v30, s[8:9]
	v_cndmask_b32_e64 v22, v37, v22, s[8:9]
	v_cmp_ge_u32_e64 s[8:9], v22, v23
	s_or_b64 s[12:13], s[8:9], s[12:13]
	s_andn2_b64 exec, exec, s[12:13]
	s_cbranch_execz .LBB2073_207
.LBB2073_199:                           ; =>This Inner Loop Header: Depth=1
	v_add_u32_e32 v30, v23, v22
	v_and_b32_e32 v31, -2, v30
	v_add_u32_e32 v31, v26, v31
	ds_read_u16 v31, v31
	v_lshrrev_b32_e32 v30, 1, v30
	v_xad_u32 v36, v30, -1, v5
	v_lshl_add_u32 v36, v36, 1, v27
	ds_read_u16 v36, v36
	s_waitcnt lgkmcnt(1)
	v_lshlrev_b32_e32 v31, 16, v31
	v_add_f32_e32 v37, 0, v31
	v_and_b32_e32 v31, 0x7f800000, v37
	v_cmp_ne_u32_e64 s[8:9], s18, v31
                                        ; implicit-def: $vgpr31
	s_and_saveexec_b64 s[14:15], s[8:9]
	s_xor_b64 s[8:9], exec, s[14:15]
; %bb.200:                              ;   in Loop: Header=BB2073_199 Depth=1
	v_bfe_u32 v31, v37, 16, 1
	v_add3_u32 v31, v37, v31, s19
                                        ; implicit-def: $vgpr37
; %bb.201:                              ;   in Loop: Header=BB2073_199 Depth=1
	s_andn2_saveexec_b64 s[14:15], s[8:9]
; %bb.202:                              ;   in Loop: Header=BB2073_199 Depth=1
	v_or_b32_e32 v31, 0x10000, v37
	v_cmp_eq_u32_sdwa s[8:9], v37, v28 src0_sel:WORD_0 src1_sel:DWORD
	v_cndmask_b32_e64 v31, v31, v37, s[8:9]
; %bb.203:                              ;   in Loop: Header=BB2073_199 Depth=1
	s_or_b64 exec, exec, s[14:15]
	s_waitcnt lgkmcnt(0)
	v_lshlrev_b32_e32 v36, 16, v36
	v_add_f32_e32 v37, 0, v36
	v_and_b32_e32 v36, 0x7f800000, v37
	v_cmp_ne_u32_e64 s[8:9], s18, v36
                                        ; implicit-def: $vgpr36
	s_and_saveexec_b64 s[14:15], s[8:9]
	s_xor_b64 s[8:9], exec, s[14:15]
; %bb.204:                              ;   in Loop: Header=BB2073_199 Depth=1
	v_bfe_u32 v36, v37, 16, 1
	v_add3_u32 v36, v37, v36, s19
                                        ; implicit-def: $vgpr37
; %bb.205:                              ;   in Loop: Header=BB2073_199 Depth=1
	s_andn2_saveexec_b64 s[14:15], s[8:9]
	s_cbranch_execz .LBB2073_198
; %bb.206:                              ;   in Loop: Header=BB2073_199 Depth=1
	v_or_b32_e32 v36, 0x10000, v37
	v_cmp_eq_u32_sdwa s[8:9], v37, v28 src0_sel:WORD_0 src1_sel:DWORD
	v_cndmask_b32_e64 v36, v36, v37, s[8:9]
	s_branch .LBB2073_198
.LBB2073_207:
	s_or_b64 exec, exec, s[12:13]
.LBB2073_208:
	s_or_b64 exec, exec, s[10:11]
	v_add_u32_e32 v5, v9, v5
	v_add_u32_e32 v26, v22, v11
	v_sub_u32_e32 v27, v5, v22
	v_cmp_le_u32_e64 s[8:9], v26, v9
	v_cmp_le_u32_e64 s[10:11], v27, v10
	s_or_b64 s[8:9], s[8:9], s[10:11]
	s_and_saveexec_b64 s[12:13], s[8:9]
	s_cbranch_execz .LBB2073_260
; %bb.209:
	v_cmp_ge_u32_e64 s[8:9], v26, v9
	v_cmp_lt_u32_e64 s[10:11], v26, v9
                                        ; implicit-def: $vgpr5
	s_and_saveexec_b64 s[14:15], s[10:11]
; %bb.210:
	v_lshl_add_u32 v5, v26, 1, v8
	ds_read_u16 v5, v5
; %bb.211:
	s_or_b64 exec, exec, s[14:15]
	v_cmp_ge_u32_e64 s[14:15], v27, v10
	v_cmp_lt_u32_e64 s[10:11], v27, v10
                                        ; implicit-def: $vgpr11
	s_and_saveexec_b64 s[18:19], s[10:11]
; %bb.212:
	v_lshl_add_u32 v11, v27, 1, v8
	ds_read_u16 v11, v11
; %bb.213:
	s_or_b64 exec, exec, s[18:19]
	s_nor_b64 s[8:9], s[8:9], s[14:15]
	s_and_saveexec_b64 s[10:11], s[8:9]
	s_cbranch_execz .LBB2073_223
; %bb.214:
	s_waitcnt lgkmcnt(0)
	v_lshlrev_b32_e32 v12, 16, v5
	v_add_f32_e32 v13, 0, v12
	s_mov_b32 s8, 0x7f800000
	v_and_b32_e32 v12, 0x7f800000, v13
	v_cmp_ne_u32_e64 s[8:9], s8, v12
                                        ; implicit-def: $vgpr12
	s_and_saveexec_b64 s[18:19], s[8:9]
	s_xor_b64 s[8:9], exec, s[18:19]
; %bb.215:
	v_bfe_u32 v12, v13, 16, 1
	s_movk_i32 s18, 0x7fff
	v_add3_u32 v12, v13, v12, s18
                                        ; implicit-def: $vgpr13
; %bb.216:
	s_andn2_saveexec_b64 s[18:19], s[8:9]
; %bb.217:
	v_mov_b32_e32 v12, 0
	v_or_b32_e32 v14, 0x10000, v13
	v_cmp_eq_u32_sdwa s[8:9], v13, v12 src0_sel:WORD_0 src1_sel:DWORD
	v_cndmask_b32_e64 v12, v14, v13, s[8:9]
; %bb.218:
	s_or_b64 exec, exec, s[18:19]
	v_lshlrev_b32_e32 v13, 16, v11
	v_add_f32_e32 v14, 0, v13
	s_mov_b32 s8, 0x7f800000
	v_and_b32_e32 v13, 0x7f800000, v14
	v_cmp_ne_u32_e64 s[8:9], s8, v13
                                        ; implicit-def: $vgpr13
	s_and_saveexec_b64 s[18:19], s[8:9]
	s_xor_b64 s[8:9], exec, s[18:19]
; %bb.219:
	v_bfe_u32 v13, v14, 16, 1
	s_movk_i32 s18, 0x7fff
	v_add3_u32 v13, v14, v13, s18
                                        ; implicit-def: $vgpr14
; %bb.220:
	s_andn2_saveexec_b64 s[18:19], s[8:9]
; %bb.221:
	v_mov_b32_e32 v13, 0
	v_or_b32_e32 v15, 0x10000, v14
	v_cmp_eq_u32_sdwa s[8:9], v14, v13 src0_sel:WORD_0 src1_sel:DWORD
	v_cndmask_b32_e64 v13, v15, v14, s[8:9]
; %bb.222:
	s_or_b64 exec, exec, s[18:19]
	s_mov_b32 s8, 0x7060302
	v_perm_b32 v14, v13, v12, s8
	v_mov_b32_e32 v15, 0xffff8000
	v_cmp_lt_i32_e64 s[8:9], -1, v12
	v_cndmask_b32_e64 v12, -1, v15, s[8:9]
	v_cmp_lt_i32_e64 s[8:9], -1, v13
	v_cndmask_b32_e64 v13, -1, v15, s[8:9]
	s_mov_b32 s8, 0x5040100
	v_perm_b32 v12, v13, v12, s8
	v_xor_b32_e32 v12, v12, v14
	v_cmp_le_u16_sdwa s[8:9], v12, v12 src0_sel:DWORD src1_sel:WORD_1
	s_andn2_b64 s[14:15], s[14:15], exec
	s_and_b64 s[8:9], s[8:9], exec
	s_or_b64 s[14:15], s[14:15], s[8:9]
.LBB2073_223:
	s_or_b64 exec, exec, s[10:11]
	v_cndmask_b32_e64 v12, v27, v26, s[14:15]
	v_cndmask_b32_e64 v13, v10, v9, s[14:15]
	v_add_u32_e32 v14, 1, v12
	v_add_u32_e32 v13, -1, v13
	v_min_u32_e32 v13, v14, v13
	v_lshl_add_u32 v13, v13, 1, v8
	ds_read_u16 v15, v13
	v_lshl_add_u32 v12, v12, 3, v4
	ds_read_b64 v[12:13], v12 offset:2048
	v_cndmask_b32_e64 v16, v14, v27, s[14:15]
	v_cndmask_b32_e64 v17, v26, v14, s[14:15]
	s_waitcnt lgkmcnt(1)
	v_cndmask_b32_e64 v22, v15, v11, s[14:15]
	v_cndmask_b32_e64 v23, v5, v15, s[14:15]
	v_cmp_lt_u32_e64 s[8:9], v16, v10
	s_mov_b64 s[18:19], -1
	s_mov_b64 s[10:11], -1
	s_and_saveexec_b64 s[20:21], s[8:9]
	s_cbranch_execz .LBB2073_235
; %bb.224:
	v_cmp_lt_u32_e64 s[8:9], v17, v9
	s_mov_b64 s[22:23], 0
	s_and_saveexec_b64 s[10:11], s[8:9]
	s_cbranch_execz .LBB2073_234
; %bb.225:
	v_lshlrev_b32_e32 v14, 16, v23
	v_add_f32_e32 v15, 0, v14
	s_mov_b32 s8, 0x7f800000
	v_and_b32_e32 v14, 0x7f800000, v15
	v_cmp_ne_u32_e64 s[8:9], s8, v14
                                        ; implicit-def: $vgpr14
	s_and_saveexec_b64 s[22:23], s[8:9]
	s_xor_b64 s[8:9], exec, s[22:23]
; %bb.226:
	v_bfe_u32 v14, v15, 16, 1
	s_movk_i32 s22, 0x7fff
	v_add3_u32 v14, v15, v14, s22
                                        ; implicit-def: $vgpr15
; %bb.227:
	s_andn2_saveexec_b64 s[22:23], s[8:9]
; %bb.228:
	v_mov_b32_e32 v14, 0
	v_or_b32_e32 v18, 0x10000, v15
	v_cmp_eq_u32_sdwa s[8:9], v15, v14 src0_sel:WORD_0 src1_sel:DWORD
	v_cndmask_b32_e64 v14, v18, v15, s[8:9]
; %bb.229:
	s_or_b64 exec, exec, s[22:23]
	v_lshlrev_b32_e32 v15, 16, v22
	v_add_f32_e32 v18, 0, v15
	s_mov_b32 s8, 0x7f800000
	v_and_b32_e32 v15, 0x7f800000, v18
	v_cmp_ne_u32_e64 s[8:9], s8, v15
                                        ; implicit-def: $vgpr15
	s_and_saveexec_b64 s[22:23], s[8:9]
	s_xor_b64 s[8:9], exec, s[22:23]
; %bb.230:
	v_bfe_u32 v15, v18, 16, 1
	s_movk_i32 s22, 0x7fff
	v_add3_u32 v15, v18, v15, s22
                                        ; implicit-def: $vgpr18
; %bb.231:
	s_andn2_saveexec_b64 s[22:23], s[8:9]
; %bb.232:
	v_mov_b32_e32 v15, 0
	v_or_b32_e32 v19, 0x10000, v18
	v_cmp_eq_u32_sdwa s[8:9], v18, v15 src0_sel:WORD_0 src1_sel:DWORD
	v_cndmask_b32_e64 v15, v19, v18, s[8:9]
; %bb.233:
	s_or_b64 exec, exec, s[22:23]
	s_mov_b32 s8, 0x7060302
	v_perm_b32 v18, v15, v14, s8
	v_mov_b32_e32 v19, 0xffff8000
	v_cmp_lt_i32_e64 s[8:9], -1, v14
	v_cndmask_b32_e64 v14, -1, v19, s[8:9]
	v_cmp_lt_i32_e64 s[8:9], -1, v15
	v_cndmask_b32_e64 v15, -1, v19, s[8:9]
	s_mov_b32 s8, 0x5040100
	v_perm_b32 v14, v15, v14, s8
	v_xor_b32_e32 v14, v14, v18
	v_cmp_le_u16_sdwa s[8:9], v14, v14 src0_sel:DWORD src1_sel:WORD_1
	s_and_b64 s[22:23], s[8:9], exec
.LBB2073_234:
	s_or_b64 exec, exec, s[10:11]
	s_orn2_b64 s[10:11], s[22:23], exec
.LBB2073_235:
	s_or_b64 exec, exec, s[20:21]
	v_cndmask_b32_e64 v14, v16, v17, s[10:11]
	v_cndmask_b32_e64 v15, v10, v9, s[10:11]
	v_add_u32_e32 v19, 1, v14
	v_add_u32_e32 v15, -1, v15
	v_min_u32_e32 v15, v19, v15
	v_lshl_add_u32 v15, v15, 1, v8
	ds_read_u16 v18, v15
	v_lshl_add_u32 v14, v14, 3, v4
	ds_read_b64 v[14:15], v14 offset:2048
	s_waitcnt lgkmcnt(1)
	v_cndmask_b32_e64 v26, v18, v22, s[10:11]
	v_cndmask_b32_e64 v27, v23, v18, s[10:11]
	;; [unrolled: 1-line block ×4, first 2 shown]
	v_cmp_lt_u32_e64 s[8:9], v18, v10
	s_and_saveexec_b64 s[20:21], s[8:9]
	s_cbranch_execz .LBB2073_247
; %bb.236:
	v_cmp_lt_u32_e64 s[8:9], v19, v9
	s_mov_b64 s[22:23], 0
	s_and_saveexec_b64 s[18:19], s[8:9]
	s_cbranch_execz .LBB2073_246
; %bb.237:
	v_lshlrev_b32_e32 v16, 16, v27
	v_add_f32_e32 v17, 0, v16
	s_mov_b32 s8, 0x7f800000
	v_and_b32_e32 v16, 0x7f800000, v17
	v_cmp_ne_u32_e64 s[8:9], s8, v16
                                        ; implicit-def: $vgpr16
	s_and_saveexec_b64 s[22:23], s[8:9]
	s_xor_b64 s[8:9], exec, s[22:23]
; %bb.238:
	v_bfe_u32 v16, v17, 16, 1
	s_movk_i32 s22, 0x7fff
	v_add3_u32 v16, v17, v16, s22
                                        ; implicit-def: $vgpr17
; %bb.239:
	s_andn2_saveexec_b64 s[22:23], s[8:9]
; %bb.240:
	v_mov_b32_e32 v16, 0
	v_or_b32_e32 v28, 0x10000, v17
	v_cmp_eq_u32_sdwa s[8:9], v17, v16 src0_sel:WORD_0 src1_sel:DWORD
	v_cndmask_b32_e64 v16, v28, v17, s[8:9]
; %bb.241:
	s_or_b64 exec, exec, s[22:23]
	v_lshlrev_b32_e32 v17, 16, v26
	v_add_f32_e32 v28, 0, v17
	s_mov_b32 s8, 0x7f800000
	v_and_b32_e32 v17, 0x7f800000, v28
	v_cmp_ne_u32_e64 s[8:9], s8, v17
                                        ; implicit-def: $vgpr17
	s_and_saveexec_b64 s[22:23], s[8:9]
	s_xor_b64 s[8:9], exec, s[22:23]
; %bb.242:
	v_bfe_u32 v17, v28, 16, 1
	s_movk_i32 s22, 0x7fff
	v_add3_u32 v17, v28, v17, s22
                                        ; implicit-def: $vgpr28
; %bb.243:
	s_andn2_saveexec_b64 s[22:23], s[8:9]
; %bb.244:
	v_mov_b32_e32 v17, 0
	v_or_b32_e32 v29, 0x10000, v28
	v_cmp_eq_u32_sdwa s[8:9], v28, v17 src0_sel:WORD_0 src1_sel:DWORD
	v_cndmask_b32_e64 v17, v29, v28, s[8:9]
; %bb.245:
	s_or_b64 exec, exec, s[22:23]
	s_mov_b32 s8, 0x7060302
	v_perm_b32 v28, v17, v16, s8
	v_mov_b32_e32 v29, 0xffff8000
	v_cmp_lt_i32_e64 s[8:9], -1, v16
	v_cndmask_b32_e64 v16, -1, v29, s[8:9]
	v_cmp_lt_i32_e64 s[8:9], -1, v17
	v_cndmask_b32_e64 v17, -1, v29, s[8:9]
	s_mov_b32 s8, 0x5040100
	v_perm_b32 v16, v17, v16, s8
	v_xor_b32_e32 v16, v16, v28
	v_cmp_le_u16_sdwa s[8:9], v16, v16 src0_sel:DWORD src1_sel:WORD_1
	s_and_b64 s[22:23], s[8:9], exec
.LBB2073_246:
	s_or_b64 exec, exec, s[18:19]
	s_orn2_b64 s[18:19], s[22:23], exec
.LBB2073_247:
	s_or_b64 exec, exec, s[20:21]
	v_cndmask_b32_e64 v16, v18, v19, s[18:19]
	v_cndmask_b32_e64 v17, v10, v9, s[18:19]
	v_add_u32_e32 v29, 1, v16
	v_add_u32_e32 v17, -1, v17
	v_min_u32_e32 v17, v29, v17
	v_lshl_add_u32 v8, v17, 1, v8
	ds_read_u16 v28, v8
	v_lshl_add_u32 v8, v16, 3, v4
	ds_read_b64 v[16:17], v8 offset:2048
	v_cndmask_b32_e64 v18, v29, v18, s[18:19]
	v_cndmask_b32_e64 v19, v19, v29, s[18:19]
	s_waitcnt lgkmcnt(1)
	v_cndmask_b32_e64 v8, v28, v26, s[18:19]
	v_cndmask_b32_e64 v28, v27, v28, s[18:19]
	v_cmp_lt_u32_e64 s[8:9], v18, v10
	s_mov_b64 s[22:23], -1
	s_and_saveexec_b64 s[20:21], s[8:9]
	s_cbranch_execz .LBB2073_259
; %bb.248:
	v_cmp_lt_u32_e64 s[8:9], v19, v9
	s_mov_b64 s[24:25], 0
	s_and_saveexec_b64 s[22:23], s[8:9]
	s_cbranch_execz .LBB2073_258
; %bb.249:
	v_lshlrev_b32_e32 v9, 16, v28
	v_add_f32_e32 v10, 0, v9
	s_mov_b32 s8, 0x7f800000
	v_and_b32_e32 v9, 0x7f800000, v10
	v_cmp_ne_u32_e64 s[8:9], s8, v9
                                        ; implicit-def: $vgpr9
	s_and_saveexec_b64 s[24:25], s[8:9]
	s_xor_b64 s[8:9], exec, s[24:25]
; %bb.250:
	v_bfe_u32 v9, v10, 16, 1
	s_movk_i32 s24, 0x7fff
	v_add3_u32 v9, v10, v9, s24
                                        ; implicit-def: $vgpr10
; %bb.251:
	s_andn2_saveexec_b64 s[24:25], s[8:9]
; %bb.252:
	v_mov_b32_e32 v9, 0
	v_or_b32_e32 v29, 0x10000, v10
	v_cmp_eq_u32_sdwa s[8:9], v10, v9 src0_sel:WORD_0 src1_sel:DWORD
	v_cndmask_b32_e64 v9, v29, v10, s[8:9]
; %bb.253:
	s_or_b64 exec, exec, s[24:25]
	v_lshlrev_b32_e32 v10, 16, v8
	v_add_f32_e32 v29, 0, v10
	s_mov_b32 s8, 0x7f800000
	v_and_b32_e32 v10, 0x7f800000, v29
	v_cmp_ne_u32_e64 s[8:9], s8, v10
                                        ; implicit-def: $vgpr10
	s_and_saveexec_b64 s[24:25], s[8:9]
	s_xor_b64 s[8:9], exec, s[24:25]
; %bb.254:
	v_bfe_u32 v10, v29, 16, 1
	s_movk_i32 s24, 0x7fff
	v_add3_u32 v10, v29, v10, s24
                                        ; implicit-def: $vgpr29
; %bb.255:
	s_andn2_saveexec_b64 s[24:25], s[8:9]
; %bb.256:
	v_mov_b32_e32 v10, 0
	v_or_b32_e32 v30, 0x10000, v29
	v_cmp_eq_u32_sdwa s[8:9], v29, v10 src0_sel:WORD_0 src1_sel:DWORD
	v_cndmask_b32_e64 v10, v30, v29, s[8:9]
; %bb.257:
	s_or_b64 exec, exec, s[24:25]
	s_mov_b32 s8, 0x7060302
	v_perm_b32 v29, v10, v9, s8
	v_mov_b32_e32 v30, 0xffff8000
	v_cmp_lt_i32_e64 s[8:9], -1, v9
	v_cndmask_b32_e64 v9, -1, v30, s[8:9]
	v_cmp_lt_i32_e64 s[8:9], -1, v10
	v_cndmask_b32_e64 v10, -1, v30, s[8:9]
	s_mov_b32 s8, 0x5040100
	v_perm_b32 v9, v10, v9, s8
	v_xor_b32_e32 v9, v9, v29
	v_cmp_le_u16_sdwa s[8:9], v9, v9 src0_sel:DWORD src1_sel:WORD_1
	s_and_b64 s[24:25], s[8:9], exec
.LBB2073_258:
	s_or_b64 exec, exec, s[22:23]
	s_orn2_b64 s[22:23], s[24:25], exec
.LBB2073_259:
	s_or_b64 exec, exec, s[20:21]
	v_cndmask_b32_e64 v9, v18, v19, s[22:23]
	v_lshl_add_u32 v4, v9, 3, v4
	ds_read_b64 v[18:19], v4 offset:2048
	v_cndmask_b32_e64 v33, v26, v27, s[18:19]
	v_cndmask_b32_e64 v32, v22, v23, s[10:11]
	;; [unrolled: 1-line block ×4, first 2 shown]
.LBB2073_260:
	s_or_b64 exec, exec, s[12:13]
	v_add_co_u32_e64 v2, s[8:9], v2, v20
	v_addc_co_u32_e64 v3, s[8:9], v3, v21, s[8:9]
	v_add_co_u32_e64 v2, s[8:9], v2, v24
	v_addc_co_u32_e64 v3, s[8:9], 0, v3, s[8:9]
	; wave barrier
	s_waitcnt lgkmcnt(0)
	s_barrier
	; wave barrier
	s_and_saveexec_b64 s[8:9], vcc
	s_cbranch_execnz .LBB2073_270
; %bb.261:
	s_or_b64 exec, exec, s[8:9]
	s_and_saveexec_b64 s[8:9], s[4:5]
	s_cbranch_execnz .LBB2073_271
.LBB2073_262:
	s_or_b64 exec, exec, s[8:9]
	s_and_saveexec_b64 s[8:9], s[6:7]
	s_cbranch_execnz .LBB2073_272
.LBB2073_263:
	s_or_b64 exec, exec, s[8:9]
	s_and_saveexec_b64 s[8:9], s[16:17]
	s_cbranch_execz .LBB2073_265
.LBB2073_264:
	flat_store_short v[2:3], v34 offset:6
.LBB2073_265:
	s_or_b64 exec, exec, s[8:9]
	v_add_co_u32_e64 v0, s[8:9], v6, v0
	v_addc_co_u32_e64 v1, s[8:9], v7, v1, s[8:9]
	v_add_co_u32_e64 v0, s[8:9], v0, v25
	v_addc_co_u32_e64 v1, s[8:9], 0, v1, s[8:9]
	; wave barrier
	s_and_saveexec_b64 s[8:9], vcc
	s_cbranch_execnz .LBB2073_273
; %bb.266:
	s_or_b64 exec, exec, s[8:9]
	s_and_saveexec_b64 s[8:9], s[4:5]
	s_cbranch_execnz .LBB2073_274
.LBB2073_267:
	s_or_b64 exec, exec, s[8:9]
	s_and_saveexec_b64 s[4:5], s[6:7]
	s_cbranch_execnz .LBB2073_275
.LBB2073_268:
	s_or_b64 exec, exec, s[4:5]
	s_and_saveexec_b64 s[4:5], s[16:17]
	s_cbranch_execnz .LBB2073_276
.LBB2073_269:
	s_or_b64 exec, exec, s[4:5]
	s_waitcnt vmcnt(0) lgkmcnt(0)
	s_setpc_b64 s[30:31]
.LBB2073_270:
	flat_store_short v[2:3], v35
	s_or_b64 exec, exec, s[8:9]
	s_and_saveexec_b64 s[8:9], s[4:5]
	s_cbranch_execz .LBB2073_262
.LBB2073_271:
	flat_store_short v[2:3], v32 offset:2
	s_or_b64 exec, exec, s[8:9]
	s_and_saveexec_b64 s[8:9], s[6:7]
	s_cbranch_execz .LBB2073_263
.LBB2073_272:
	flat_store_short v[2:3], v33 offset:4
	s_or_b64 exec, exec, s[8:9]
	s_and_saveexec_b64 s[8:9], s[16:17]
	s_cbranch_execnz .LBB2073_264
	s_branch .LBB2073_265
.LBB2073_273:
	flat_store_dwordx2 v[0:1], v[12:13]
	s_or_b64 exec, exec, s[8:9]
	s_and_saveexec_b64 s[8:9], s[4:5]
	s_cbranch_execz .LBB2073_267
.LBB2073_274:
	flat_store_dwordx2 v[0:1], v[14:15] offset:8
	s_or_b64 exec, exec, s[8:9]
	s_and_saveexec_b64 s[4:5], s[6:7]
	s_cbranch_execz .LBB2073_268
.LBB2073_275:
	flat_store_dwordx2 v[0:1], v[16:17] offset:16
	s_or_b64 exec, exec, s[4:5]
	s_and_saveexec_b64 s[4:5], s[16:17]
	s_cbranch_execz .LBB2073_269
.LBB2073_276:
	flat_store_dwordx2 v[0:1], v[18:19] offset:24
	s_or_b64 exec, exec, s[4:5]
	s_waitcnt vmcnt(0) lgkmcnt(0)
	s_setpc_b64 s[30:31]
.Lfunc_end2073:
	.size	_ZN7rocprim17ROCPRIM_400000_NS6detail26segmented_warp_sort_helperINS1_20WarpSortHelperConfigILj8ELj4ELj256EEE12hip_bfloat16lLi256ELb0EvE4sortIPKS5_PS5_PKlPlEEvT_T0_T1_T2_jjjjRNS6_12storage_typeE, .Lfunc_end2073-_ZN7rocprim17ROCPRIM_400000_NS6detail26segmented_warp_sort_helperINS1_20WarpSortHelperConfigILj8ELj4ELj256EEE12hip_bfloat16lLi256ELb0EvE4sortIPKS5_PS5_PKlPlEEvT_T0_T1_T2_jjjjRNS6_12storage_typeE
                                        ; -- End function
	.set .L_ZN7rocprim17ROCPRIM_400000_NS6detail26segmented_warp_sort_helperINS1_20WarpSortHelperConfigILj8ELj4ELj256EEE12hip_bfloat16lLi256ELb0EvE4sortIPKS5_PS5_PKlPlEEvT_T0_T1_T2_jjjjRNS6_12storage_typeE.num_vgpr, 65
	.set .L_ZN7rocprim17ROCPRIM_400000_NS6detail26segmented_warp_sort_helperINS1_20WarpSortHelperConfigILj8ELj4ELj256EEE12hip_bfloat16lLi256ELb0EvE4sortIPKS5_PS5_PKlPlEEvT_T0_T1_T2_jjjjRNS6_12storage_typeE.num_agpr, 0
	.set .L_ZN7rocprim17ROCPRIM_400000_NS6detail26segmented_warp_sort_helperINS1_20WarpSortHelperConfigILj8ELj4ELj256EEE12hip_bfloat16lLi256ELb0EvE4sortIPKS5_PS5_PKlPlEEvT_T0_T1_T2_jjjjRNS6_12storage_typeE.numbered_sgpr, 32
	.set .L_ZN7rocprim17ROCPRIM_400000_NS6detail26segmented_warp_sort_helperINS1_20WarpSortHelperConfigILj8ELj4ELj256EEE12hip_bfloat16lLi256ELb0EvE4sortIPKS5_PS5_PKlPlEEvT_T0_T1_T2_jjjjRNS6_12storage_typeE.num_named_barrier, 0
	.set .L_ZN7rocprim17ROCPRIM_400000_NS6detail26segmented_warp_sort_helperINS1_20WarpSortHelperConfigILj8ELj4ELj256EEE12hip_bfloat16lLi256ELb0EvE4sortIPKS5_PS5_PKlPlEEvT_T0_T1_T2_jjjjRNS6_12storage_typeE.private_seg_size, 0
	.set .L_ZN7rocprim17ROCPRIM_400000_NS6detail26segmented_warp_sort_helperINS1_20WarpSortHelperConfigILj8ELj4ELj256EEE12hip_bfloat16lLi256ELb0EvE4sortIPKS5_PS5_PKlPlEEvT_T0_T1_T2_jjjjRNS6_12storage_typeE.uses_vcc, 1
	.set .L_ZN7rocprim17ROCPRIM_400000_NS6detail26segmented_warp_sort_helperINS1_20WarpSortHelperConfigILj8ELj4ELj256EEE12hip_bfloat16lLi256ELb0EvE4sortIPKS5_PS5_PKlPlEEvT_T0_T1_T2_jjjjRNS6_12storage_typeE.uses_flat_scratch, 0
	.set .L_ZN7rocprim17ROCPRIM_400000_NS6detail26segmented_warp_sort_helperINS1_20WarpSortHelperConfigILj8ELj4ELj256EEE12hip_bfloat16lLi256ELb0EvE4sortIPKS5_PS5_PKlPlEEvT_T0_T1_T2_jjjjRNS6_12storage_typeE.has_dyn_sized_stack, 0
	.set .L_ZN7rocprim17ROCPRIM_400000_NS6detail26segmented_warp_sort_helperINS1_20WarpSortHelperConfigILj8ELj4ELj256EEE12hip_bfloat16lLi256ELb0EvE4sortIPKS5_PS5_PKlPlEEvT_T0_T1_T2_jjjjRNS6_12storage_typeE.has_recursion, 0
	.set .L_ZN7rocprim17ROCPRIM_400000_NS6detail26segmented_warp_sort_helperINS1_20WarpSortHelperConfigILj8ELj4ELj256EEE12hip_bfloat16lLi256ELb0EvE4sortIPKS5_PS5_PKlPlEEvT_T0_T1_T2_jjjjRNS6_12storage_typeE.has_indirect_call, 0
	.section	.AMDGPU.csdata,"",@progbits
; Function info:
; codeLenInByte = 9896
; TotalNumSgprs: 36
; NumVgprs: 65
; ScratchSize: 0
; MemoryBound: 1
	.section	.text._ZN7rocprim17ROCPRIM_400000_NS6detail17trampoline_kernelINS0_14default_configENS1_36segmented_radix_sort_config_selectorI12hip_bfloat16lEEZNS1_25segmented_radix_sort_implIS3_Lb0EPKS5_PS5_PKlPlN2at6native12_GLOBAL__N_18offset_tEEE10hipError_tPvRmT1_PNSt15iterator_traitsISL_E10value_typeET2_T3_PNSM_ISR_E10value_typeET4_jRbjT5_SX_jjP12ihipStream_tbEUlT_E1_NS1_11comp_targetILNS1_3genE2ELNS1_11target_archE906ELNS1_3gpuE6ELNS1_3repE0EEENS1_59segmented_radix_sort_warp_sort_small_config_static_selectorELNS0_4arch9wavefront6targetE1EEEvSL_,"axG",@progbits,_ZN7rocprim17ROCPRIM_400000_NS6detail17trampoline_kernelINS0_14default_configENS1_36segmented_radix_sort_config_selectorI12hip_bfloat16lEEZNS1_25segmented_radix_sort_implIS3_Lb0EPKS5_PS5_PKlPlN2at6native12_GLOBAL__N_18offset_tEEE10hipError_tPvRmT1_PNSt15iterator_traitsISL_E10value_typeET2_T3_PNSM_ISR_E10value_typeET4_jRbjT5_SX_jjP12ihipStream_tbEUlT_E1_NS1_11comp_targetILNS1_3genE2ELNS1_11target_archE906ELNS1_3gpuE6ELNS1_3repE0EEENS1_59segmented_radix_sort_warp_sort_small_config_static_selectorELNS0_4arch9wavefront6targetE1EEEvSL_,comdat
	.globl	_ZN7rocprim17ROCPRIM_400000_NS6detail17trampoline_kernelINS0_14default_configENS1_36segmented_radix_sort_config_selectorI12hip_bfloat16lEEZNS1_25segmented_radix_sort_implIS3_Lb0EPKS5_PS5_PKlPlN2at6native12_GLOBAL__N_18offset_tEEE10hipError_tPvRmT1_PNSt15iterator_traitsISL_E10value_typeET2_T3_PNSM_ISR_E10value_typeET4_jRbjT5_SX_jjP12ihipStream_tbEUlT_E1_NS1_11comp_targetILNS1_3genE2ELNS1_11target_archE906ELNS1_3gpuE6ELNS1_3repE0EEENS1_59segmented_radix_sort_warp_sort_small_config_static_selectorELNS0_4arch9wavefront6targetE1EEEvSL_ ; -- Begin function _ZN7rocprim17ROCPRIM_400000_NS6detail17trampoline_kernelINS0_14default_configENS1_36segmented_radix_sort_config_selectorI12hip_bfloat16lEEZNS1_25segmented_radix_sort_implIS3_Lb0EPKS5_PS5_PKlPlN2at6native12_GLOBAL__N_18offset_tEEE10hipError_tPvRmT1_PNSt15iterator_traitsISL_E10value_typeET2_T3_PNSM_ISR_E10value_typeET4_jRbjT5_SX_jjP12ihipStream_tbEUlT_E1_NS1_11comp_targetILNS1_3genE2ELNS1_11target_archE906ELNS1_3gpuE6ELNS1_3repE0EEENS1_59segmented_radix_sort_warp_sort_small_config_static_selectorELNS0_4arch9wavefront6targetE1EEEvSL_
	.p2align	8
	.type	_ZN7rocprim17ROCPRIM_400000_NS6detail17trampoline_kernelINS0_14default_configENS1_36segmented_radix_sort_config_selectorI12hip_bfloat16lEEZNS1_25segmented_radix_sort_implIS3_Lb0EPKS5_PS5_PKlPlN2at6native12_GLOBAL__N_18offset_tEEE10hipError_tPvRmT1_PNSt15iterator_traitsISL_E10value_typeET2_T3_PNSM_ISR_E10value_typeET4_jRbjT5_SX_jjP12ihipStream_tbEUlT_E1_NS1_11comp_targetILNS1_3genE2ELNS1_11target_archE906ELNS1_3gpuE6ELNS1_3repE0EEENS1_59segmented_radix_sort_warp_sort_small_config_static_selectorELNS0_4arch9wavefront6targetE1EEEvSL_,@function
_ZN7rocprim17ROCPRIM_400000_NS6detail17trampoline_kernelINS0_14default_configENS1_36segmented_radix_sort_config_selectorI12hip_bfloat16lEEZNS1_25segmented_radix_sort_implIS3_Lb0EPKS5_PS5_PKlPlN2at6native12_GLOBAL__N_18offset_tEEE10hipError_tPvRmT1_PNSt15iterator_traitsISL_E10value_typeET2_T3_PNSM_ISR_E10value_typeET4_jRbjT5_SX_jjP12ihipStream_tbEUlT_E1_NS1_11comp_targetILNS1_3genE2ELNS1_11target_archE906ELNS1_3gpuE6ELNS1_3repE0EEENS1_59segmented_radix_sort_warp_sort_small_config_static_selectorELNS0_4arch9wavefront6targetE1EEEvSL_: ; @_ZN7rocprim17ROCPRIM_400000_NS6detail17trampoline_kernelINS0_14default_configENS1_36segmented_radix_sort_config_selectorI12hip_bfloat16lEEZNS1_25segmented_radix_sort_implIS3_Lb0EPKS5_PS5_PKlPlN2at6native12_GLOBAL__N_18offset_tEEE10hipError_tPvRmT1_PNSt15iterator_traitsISL_E10value_typeET2_T3_PNSM_ISR_E10value_typeET4_jRbjT5_SX_jjP12ihipStream_tbEUlT_E1_NS1_11comp_targetILNS1_3genE2ELNS1_11target_archE906ELNS1_3gpuE6ELNS1_3repE0EEENS1_59segmented_radix_sort_warp_sort_small_config_static_selectorELNS0_4arch9wavefront6targetE1EEEvSL_
; %bb.0:
	s_add_u32 s0, s0, s8
	s_load_dword s8, s[4:5], 0x64
	s_addc_u32 s1, s1, 0
	s_mov_b32 s32, 0
	s_waitcnt lgkmcnt(0)
	s_lshr_b32 s9, s8, 16
	s_and_b32 s8, s8, 0xffff
	v_mad_u32_u24 v3, v2, s9, v1
	v_mad_u64_u32 v[3:4], s[8:9], v3, s8, v[0:1]
	s_load_dword s8, s[4:5], 0x34
	v_lshrrev_b32_e32 v3, 3, v3
	v_lshl_add_u32 v3, s6, 5, v3
	s_waitcnt lgkmcnt(0)
	v_cmp_gt_u32_e32 vcc, s8, v3
	s_and_saveexec_b64 s[8:9], vcc
	s_cbranch_execz .LBB2074_6
; %bb.1:
	s_load_dwordx2 s[12:13], s[4:5], 0x38
	s_load_dwordx4 s[8:11], s[4:5], 0x40
	v_mov_b32_e32 v4, 0
	v_lshlrev_b64 v[3:4], 2, v[3:4]
	s_waitcnt lgkmcnt(0)
	v_mov_b32_e32 v5, s13
	v_sub_co_u32_e32 v3, vcc, s12, v3
	v_subb_co_u32_e32 v4, vcc, v5, v4, vcc
	global_load_dword v3, v[3:4], off offset:-4
	s_waitcnt vmcnt(0)
	v_add_u32_e32 v4, s9, v3
	v_add_u32_e32 v3, s11, v3
	v_mul_lo_u32 v40, v4, s8
	v_mul_lo_u32 v41, v3, s10
	v_cmp_gt_u32_e32 vcc, v41, v40
	s_and_b64 exec, exec, vcc
	s_cbranch_execz .LBB2074_6
; %bb.2:
	s_load_dword s10, s[4:5], 0x30
	s_load_dwordx4 s[44:47], s[4:5], 0x20
	s_load_dwordx8 s[36:43], s[4:5], 0x0
	s_mov_b64 s[8:9], -1
	v_lshlrev_b32_e32 v43, 20, v2
	s_waitcnt lgkmcnt(0)
	s_bitcmp0_b32 s10, 0
	v_lshlrev_b32_e32 v44, 10, v1
	s_cbranch_scc0 .LBB2074_4
; %bb.3:
	s_add_u32 s8, s4, 0x58
	s_mov_b64 s[10:11], src_shared_base
	s_addc_u32 s9, s5, 0
	s_getpc_b64 s[14:15]
	s_add_u32 s14, s14, _ZN7rocprim17ROCPRIM_400000_NS6detail26segmented_warp_sort_helperINS1_20WarpSortHelperConfigILj8ELj4ELj256EEE12hip_bfloat16lLi256ELb0EvE4sortIPKS5_PS5_PKlPlEEvT_T0_T1_T2_jjjjRNS6_12storage_typeE@rel32@lo+4
	s_addc_u32 s15, s15, _ZN7rocprim17ROCPRIM_400000_NS6detail26segmented_warp_sort_helperINS1_20WarpSortHelperConfigILj8ELj4ELj256EEE12hip_bfloat16lLi256ELb0EvE4sortIPKS5_PS5_PKlPlEEvT_T0_T1_T2_jjjjRNS6_12storage_typeE@rel32@hi+12
	v_or3_b32 v31, v0, v44, v43
	s_mov_b32 s12, s6
	s_mov_b32 s13, s7
	v_mov_b32_e32 v42, v0
	v_mov_b32_e32 v0, s36
	v_mov_b32_e32 v1, s37
	v_mov_b32_e32 v2, s38
	v_mov_b32_e32 v3, s39
	v_mov_b32_e32 v4, s42
	v_mov_b32_e32 v5, s43
	v_mov_b32_e32 v6, s44
	v_mov_b32_e32 v7, s45
	v_mov_b32_e32 v8, v40
	v_mov_b32_e32 v9, v41
	v_mov_b32_e32 v10, 0
	v_mov_b32_e32 v11, s11
	s_mov_b64 s[26:27], s[4:5]
	s_mov_b32 s29, s7
	s_mov_b32 s28, s6
	s_swappc_b64 s[30:31], s[14:15]
	v_mov_b32_e32 v0, v42
	s_mov_b32 s6, s28
	s_mov_b32 s7, s29
	s_mov_b64 s[4:5], s[26:27]
	s_mov_b64 s[8:9], 0
.LBB2074_4:
	s_andn2_b64 vcc, exec, s[8:9]
	s_cbranch_vccnz .LBB2074_6
; %bb.5:
	s_add_u32 s8, s4, 0x58
	s_mov_b64 s[10:11], src_shared_base
	s_addc_u32 s9, s5, 0
	s_getpc_b64 s[4:5]
	s_add_u32 s4, s4, _ZN7rocprim17ROCPRIM_400000_NS6detail26segmented_warp_sort_helperINS1_20WarpSortHelperConfigILj8ELj4ELj256EEE12hip_bfloat16lLi256ELb0EvE4sortIPKS5_PS5_PKlPlEEvT_T0_T1_T2_jjjjRNS6_12storage_typeE@rel32@lo+4
	s_addc_u32 s5, s5, _ZN7rocprim17ROCPRIM_400000_NS6detail26segmented_warp_sort_helperINS1_20WarpSortHelperConfigILj8ELj4ELj256EEE12hip_bfloat16lLi256ELb0EvE4sortIPKS5_PS5_PKlPlEEvT_T0_T1_T2_jjjjRNS6_12storage_typeE@rel32@hi+12
	v_or3_b32 v31, v0, v44, v43
	s_mov_b32 s12, s6
	s_mov_b32 s13, s7
	v_mov_b32_e32 v0, s36
	v_mov_b32_e32 v1, s37
	;; [unrolled: 1-line block ×12, first 2 shown]
	s_swappc_b64 s[30:31], s[4:5]
.LBB2074_6:
	s_endpgm
	.section	.rodata,"a",@progbits
	.p2align	6, 0x0
	.amdhsa_kernel _ZN7rocprim17ROCPRIM_400000_NS6detail17trampoline_kernelINS0_14default_configENS1_36segmented_radix_sort_config_selectorI12hip_bfloat16lEEZNS1_25segmented_radix_sort_implIS3_Lb0EPKS5_PS5_PKlPlN2at6native12_GLOBAL__N_18offset_tEEE10hipError_tPvRmT1_PNSt15iterator_traitsISL_E10value_typeET2_T3_PNSM_ISR_E10value_typeET4_jRbjT5_SX_jjP12ihipStream_tbEUlT_E1_NS1_11comp_targetILNS1_3genE2ELNS1_11target_archE906ELNS1_3gpuE6ELNS1_3repE0EEENS1_59segmented_radix_sort_warp_sort_small_config_static_selectorELNS0_4arch9wavefront6targetE1EEEvSL_
		.amdhsa_group_segment_fixed_size 10240
		.amdhsa_private_segment_fixed_size 0
		.amdhsa_kernarg_size 344
		.amdhsa_user_sgpr_count 6
		.amdhsa_user_sgpr_private_segment_buffer 1
		.amdhsa_user_sgpr_dispatch_ptr 0
		.amdhsa_user_sgpr_queue_ptr 0
		.amdhsa_user_sgpr_kernarg_segment_ptr 1
		.amdhsa_user_sgpr_dispatch_id 0
		.amdhsa_user_sgpr_flat_scratch_init 0
		.amdhsa_user_sgpr_private_segment_size 0
		.amdhsa_uses_dynamic_stack 0
		.amdhsa_system_sgpr_private_segment_wavefront_offset 0
		.amdhsa_system_sgpr_workgroup_id_x 1
		.amdhsa_system_sgpr_workgroup_id_y 1
		.amdhsa_system_sgpr_workgroup_id_z 0
		.amdhsa_system_sgpr_workgroup_info 0
		.amdhsa_system_vgpr_workitem_id 2
		.amdhsa_next_free_vgpr 65
		.amdhsa_next_free_sgpr 93
		.amdhsa_reserve_vcc 1
		.amdhsa_reserve_flat_scratch 0
		.amdhsa_float_round_mode_32 0
		.amdhsa_float_round_mode_16_64 0
		.amdhsa_float_denorm_mode_32 3
		.amdhsa_float_denorm_mode_16_64 3
		.amdhsa_dx10_clamp 1
		.amdhsa_ieee_mode 1
		.amdhsa_fp16_overflow 0
		.amdhsa_exception_fp_ieee_invalid_op 0
		.amdhsa_exception_fp_denorm_src 0
		.amdhsa_exception_fp_ieee_div_zero 0
		.amdhsa_exception_fp_ieee_overflow 0
		.amdhsa_exception_fp_ieee_underflow 0
		.amdhsa_exception_fp_ieee_inexact 0
		.amdhsa_exception_int_div_zero 0
	.end_amdhsa_kernel
	.section	.text._ZN7rocprim17ROCPRIM_400000_NS6detail17trampoline_kernelINS0_14default_configENS1_36segmented_radix_sort_config_selectorI12hip_bfloat16lEEZNS1_25segmented_radix_sort_implIS3_Lb0EPKS5_PS5_PKlPlN2at6native12_GLOBAL__N_18offset_tEEE10hipError_tPvRmT1_PNSt15iterator_traitsISL_E10value_typeET2_T3_PNSM_ISR_E10value_typeET4_jRbjT5_SX_jjP12ihipStream_tbEUlT_E1_NS1_11comp_targetILNS1_3genE2ELNS1_11target_archE906ELNS1_3gpuE6ELNS1_3repE0EEENS1_59segmented_radix_sort_warp_sort_small_config_static_selectorELNS0_4arch9wavefront6targetE1EEEvSL_,"axG",@progbits,_ZN7rocprim17ROCPRIM_400000_NS6detail17trampoline_kernelINS0_14default_configENS1_36segmented_radix_sort_config_selectorI12hip_bfloat16lEEZNS1_25segmented_radix_sort_implIS3_Lb0EPKS5_PS5_PKlPlN2at6native12_GLOBAL__N_18offset_tEEE10hipError_tPvRmT1_PNSt15iterator_traitsISL_E10value_typeET2_T3_PNSM_ISR_E10value_typeET4_jRbjT5_SX_jjP12ihipStream_tbEUlT_E1_NS1_11comp_targetILNS1_3genE2ELNS1_11target_archE906ELNS1_3gpuE6ELNS1_3repE0EEENS1_59segmented_radix_sort_warp_sort_small_config_static_selectorELNS0_4arch9wavefront6targetE1EEEvSL_,comdat
.Lfunc_end2074:
	.size	_ZN7rocprim17ROCPRIM_400000_NS6detail17trampoline_kernelINS0_14default_configENS1_36segmented_radix_sort_config_selectorI12hip_bfloat16lEEZNS1_25segmented_radix_sort_implIS3_Lb0EPKS5_PS5_PKlPlN2at6native12_GLOBAL__N_18offset_tEEE10hipError_tPvRmT1_PNSt15iterator_traitsISL_E10value_typeET2_T3_PNSM_ISR_E10value_typeET4_jRbjT5_SX_jjP12ihipStream_tbEUlT_E1_NS1_11comp_targetILNS1_3genE2ELNS1_11target_archE906ELNS1_3gpuE6ELNS1_3repE0EEENS1_59segmented_radix_sort_warp_sort_small_config_static_selectorELNS0_4arch9wavefront6targetE1EEEvSL_, .Lfunc_end2074-_ZN7rocprim17ROCPRIM_400000_NS6detail17trampoline_kernelINS0_14default_configENS1_36segmented_radix_sort_config_selectorI12hip_bfloat16lEEZNS1_25segmented_radix_sort_implIS3_Lb0EPKS5_PS5_PKlPlN2at6native12_GLOBAL__N_18offset_tEEE10hipError_tPvRmT1_PNSt15iterator_traitsISL_E10value_typeET2_T3_PNSM_ISR_E10value_typeET4_jRbjT5_SX_jjP12ihipStream_tbEUlT_E1_NS1_11comp_targetILNS1_3genE2ELNS1_11target_archE906ELNS1_3gpuE6ELNS1_3repE0EEENS1_59segmented_radix_sort_warp_sort_small_config_static_selectorELNS0_4arch9wavefront6targetE1EEEvSL_
                                        ; -- End function
	.set _ZN7rocprim17ROCPRIM_400000_NS6detail17trampoline_kernelINS0_14default_configENS1_36segmented_radix_sort_config_selectorI12hip_bfloat16lEEZNS1_25segmented_radix_sort_implIS3_Lb0EPKS5_PS5_PKlPlN2at6native12_GLOBAL__N_18offset_tEEE10hipError_tPvRmT1_PNSt15iterator_traitsISL_E10value_typeET2_T3_PNSM_ISR_E10value_typeET4_jRbjT5_SX_jjP12ihipStream_tbEUlT_E1_NS1_11comp_targetILNS1_3genE2ELNS1_11target_archE906ELNS1_3gpuE6ELNS1_3repE0EEENS1_59segmented_radix_sort_warp_sort_small_config_static_selectorELNS0_4arch9wavefront6targetE1EEEvSL_.num_vgpr, max(45, .L_ZN7rocprim17ROCPRIM_400000_NS6detail26segmented_warp_sort_helperINS1_20WarpSortHelperConfigILj8ELj4ELj256EEE12hip_bfloat16lLi256ELb0EvE4sortIPKS5_PS5_PKlPlEEvT_T0_T1_T2_jjjjRNS6_12storage_typeE.num_vgpr)
	.set _ZN7rocprim17ROCPRIM_400000_NS6detail17trampoline_kernelINS0_14default_configENS1_36segmented_radix_sort_config_selectorI12hip_bfloat16lEEZNS1_25segmented_radix_sort_implIS3_Lb0EPKS5_PS5_PKlPlN2at6native12_GLOBAL__N_18offset_tEEE10hipError_tPvRmT1_PNSt15iterator_traitsISL_E10value_typeET2_T3_PNSM_ISR_E10value_typeET4_jRbjT5_SX_jjP12ihipStream_tbEUlT_E1_NS1_11comp_targetILNS1_3genE2ELNS1_11target_archE906ELNS1_3gpuE6ELNS1_3repE0EEENS1_59segmented_radix_sort_warp_sort_small_config_static_selectorELNS0_4arch9wavefront6targetE1EEEvSL_.num_agpr, max(0, .L_ZN7rocprim17ROCPRIM_400000_NS6detail26segmented_warp_sort_helperINS1_20WarpSortHelperConfigILj8ELj4ELj256EEE12hip_bfloat16lLi256ELb0EvE4sortIPKS5_PS5_PKlPlEEvT_T0_T1_T2_jjjjRNS6_12storage_typeE.num_agpr)
	.set _ZN7rocprim17ROCPRIM_400000_NS6detail17trampoline_kernelINS0_14default_configENS1_36segmented_radix_sort_config_selectorI12hip_bfloat16lEEZNS1_25segmented_radix_sort_implIS3_Lb0EPKS5_PS5_PKlPlN2at6native12_GLOBAL__N_18offset_tEEE10hipError_tPvRmT1_PNSt15iterator_traitsISL_E10value_typeET2_T3_PNSM_ISR_E10value_typeET4_jRbjT5_SX_jjP12ihipStream_tbEUlT_E1_NS1_11comp_targetILNS1_3genE2ELNS1_11target_archE906ELNS1_3gpuE6ELNS1_3repE0EEENS1_59segmented_radix_sort_warp_sort_small_config_static_selectorELNS0_4arch9wavefront6targetE1EEEvSL_.numbered_sgpr, max(48, .L_ZN7rocprim17ROCPRIM_400000_NS6detail26segmented_warp_sort_helperINS1_20WarpSortHelperConfigILj8ELj4ELj256EEE12hip_bfloat16lLi256ELb0EvE4sortIPKS5_PS5_PKlPlEEvT_T0_T1_T2_jjjjRNS6_12storage_typeE.numbered_sgpr)
	.set _ZN7rocprim17ROCPRIM_400000_NS6detail17trampoline_kernelINS0_14default_configENS1_36segmented_radix_sort_config_selectorI12hip_bfloat16lEEZNS1_25segmented_radix_sort_implIS3_Lb0EPKS5_PS5_PKlPlN2at6native12_GLOBAL__N_18offset_tEEE10hipError_tPvRmT1_PNSt15iterator_traitsISL_E10value_typeET2_T3_PNSM_ISR_E10value_typeET4_jRbjT5_SX_jjP12ihipStream_tbEUlT_E1_NS1_11comp_targetILNS1_3genE2ELNS1_11target_archE906ELNS1_3gpuE6ELNS1_3repE0EEENS1_59segmented_radix_sort_warp_sort_small_config_static_selectorELNS0_4arch9wavefront6targetE1EEEvSL_.num_named_barrier, max(0, .L_ZN7rocprim17ROCPRIM_400000_NS6detail26segmented_warp_sort_helperINS1_20WarpSortHelperConfigILj8ELj4ELj256EEE12hip_bfloat16lLi256ELb0EvE4sortIPKS5_PS5_PKlPlEEvT_T0_T1_T2_jjjjRNS6_12storage_typeE.num_named_barrier)
	.set _ZN7rocprim17ROCPRIM_400000_NS6detail17trampoline_kernelINS0_14default_configENS1_36segmented_radix_sort_config_selectorI12hip_bfloat16lEEZNS1_25segmented_radix_sort_implIS3_Lb0EPKS5_PS5_PKlPlN2at6native12_GLOBAL__N_18offset_tEEE10hipError_tPvRmT1_PNSt15iterator_traitsISL_E10value_typeET2_T3_PNSM_ISR_E10value_typeET4_jRbjT5_SX_jjP12ihipStream_tbEUlT_E1_NS1_11comp_targetILNS1_3genE2ELNS1_11target_archE906ELNS1_3gpuE6ELNS1_3repE0EEENS1_59segmented_radix_sort_warp_sort_small_config_static_selectorELNS0_4arch9wavefront6targetE1EEEvSL_.private_seg_size, 0+max(.L_ZN7rocprim17ROCPRIM_400000_NS6detail26segmented_warp_sort_helperINS1_20WarpSortHelperConfigILj8ELj4ELj256EEE12hip_bfloat16lLi256ELb0EvE4sortIPKS5_PS5_PKlPlEEvT_T0_T1_T2_jjjjRNS6_12storage_typeE.private_seg_size)
	.set _ZN7rocprim17ROCPRIM_400000_NS6detail17trampoline_kernelINS0_14default_configENS1_36segmented_radix_sort_config_selectorI12hip_bfloat16lEEZNS1_25segmented_radix_sort_implIS3_Lb0EPKS5_PS5_PKlPlN2at6native12_GLOBAL__N_18offset_tEEE10hipError_tPvRmT1_PNSt15iterator_traitsISL_E10value_typeET2_T3_PNSM_ISR_E10value_typeET4_jRbjT5_SX_jjP12ihipStream_tbEUlT_E1_NS1_11comp_targetILNS1_3genE2ELNS1_11target_archE906ELNS1_3gpuE6ELNS1_3repE0EEENS1_59segmented_radix_sort_warp_sort_small_config_static_selectorELNS0_4arch9wavefront6targetE1EEEvSL_.uses_vcc, or(1, .L_ZN7rocprim17ROCPRIM_400000_NS6detail26segmented_warp_sort_helperINS1_20WarpSortHelperConfigILj8ELj4ELj256EEE12hip_bfloat16lLi256ELb0EvE4sortIPKS5_PS5_PKlPlEEvT_T0_T1_T2_jjjjRNS6_12storage_typeE.uses_vcc)
	.set _ZN7rocprim17ROCPRIM_400000_NS6detail17trampoline_kernelINS0_14default_configENS1_36segmented_radix_sort_config_selectorI12hip_bfloat16lEEZNS1_25segmented_radix_sort_implIS3_Lb0EPKS5_PS5_PKlPlN2at6native12_GLOBAL__N_18offset_tEEE10hipError_tPvRmT1_PNSt15iterator_traitsISL_E10value_typeET2_T3_PNSM_ISR_E10value_typeET4_jRbjT5_SX_jjP12ihipStream_tbEUlT_E1_NS1_11comp_targetILNS1_3genE2ELNS1_11target_archE906ELNS1_3gpuE6ELNS1_3repE0EEENS1_59segmented_radix_sort_warp_sort_small_config_static_selectorELNS0_4arch9wavefront6targetE1EEEvSL_.uses_flat_scratch, or(0, .L_ZN7rocprim17ROCPRIM_400000_NS6detail26segmented_warp_sort_helperINS1_20WarpSortHelperConfigILj8ELj4ELj256EEE12hip_bfloat16lLi256ELb0EvE4sortIPKS5_PS5_PKlPlEEvT_T0_T1_T2_jjjjRNS6_12storage_typeE.uses_flat_scratch)
	.set _ZN7rocprim17ROCPRIM_400000_NS6detail17trampoline_kernelINS0_14default_configENS1_36segmented_radix_sort_config_selectorI12hip_bfloat16lEEZNS1_25segmented_radix_sort_implIS3_Lb0EPKS5_PS5_PKlPlN2at6native12_GLOBAL__N_18offset_tEEE10hipError_tPvRmT1_PNSt15iterator_traitsISL_E10value_typeET2_T3_PNSM_ISR_E10value_typeET4_jRbjT5_SX_jjP12ihipStream_tbEUlT_E1_NS1_11comp_targetILNS1_3genE2ELNS1_11target_archE906ELNS1_3gpuE6ELNS1_3repE0EEENS1_59segmented_radix_sort_warp_sort_small_config_static_selectorELNS0_4arch9wavefront6targetE1EEEvSL_.has_dyn_sized_stack, or(0, .L_ZN7rocprim17ROCPRIM_400000_NS6detail26segmented_warp_sort_helperINS1_20WarpSortHelperConfigILj8ELj4ELj256EEE12hip_bfloat16lLi256ELb0EvE4sortIPKS5_PS5_PKlPlEEvT_T0_T1_T2_jjjjRNS6_12storage_typeE.has_dyn_sized_stack)
	.set _ZN7rocprim17ROCPRIM_400000_NS6detail17trampoline_kernelINS0_14default_configENS1_36segmented_radix_sort_config_selectorI12hip_bfloat16lEEZNS1_25segmented_radix_sort_implIS3_Lb0EPKS5_PS5_PKlPlN2at6native12_GLOBAL__N_18offset_tEEE10hipError_tPvRmT1_PNSt15iterator_traitsISL_E10value_typeET2_T3_PNSM_ISR_E10value_typeET4_jRbjT5_SX_jjP12ihipStream_tbEUlT_E1_NS1_11comp_targetILNS1_3genE2ELNS1_11target_archE906ELNS1_3gpuE6ELNS1_3repE0EEENS1_59segmented_radix_sort_warp_sort_small_config_static_selectorELNS0_4arch9wavefront6targetE1EEEvSL_.has_recursion, or(0, .L_ZN7rocprim17ROCPRIM_400000_NS6detail26segmented_warp_sort_helperINS1_20WarpSortHelperConfigILj8ELj4ELj256EEE12hip_bfloat16lLi256ELb0EvE4sortIPKS5_PS5_PKlPlEEvT_T0_T1_T2_jjjjRNS6_12storage_typeE.has_recursion)
	.set _ZN7rocprim17ROCPRIM_400000_NS6detail17trampoline_kernelINS0_14default_configENS1_36segmented_radix_sort_config_selectorI12hip_bfloat16lEEZNS1_25segmented_radix_sort_implIS3_Lb0EPKS5_PS5_PKlPlN2at6native12_GLOBAL__N_18offset_tEEE10hipError_tPvRmT1_PNSt15iterator_traitsISL_E10value_typeET2_T3_PNSM_ISR_E10value_typeET4_jRbjT5_SX_jjP12ihipStream_tbEUlT_E1_NS1_11comp_targetILNS1_3genE2ELNS1_11target_archE906ELNS1_3gpuE6ELNS1_3repE0EEENS1_59segmented_radix_sort_warp_sort_small_config_static_selectorELNS0_4arch9wavefront6targetE1EEEvSL_.has_indirect_call, or(0, .L_ZN7rocprim17ROCPRIM_400000_NS6detail26segmented_warp_sort_helperINS1_20WarpSortHelperConfigILj8ELj4ELj256EEE12hip_bfloat16lLi256ELb0EvE4sortIPKS5_PS5_PKlPlEEvT_T0_T1_T2_jjjjRNS6_12storage_typeE.has_indirect_call)
	.section	.AMDGPU.csdata,"",@progbits
; Kernel info:
; codeLenInByte = 484
; TotalNumSgprs: 52
; NumVgprs: 65
; ScratchSize: 0
; MemoryBound: 0
; FloatMode: 240
; IeeeMode: 1
; LDSByteSize: 10240 bytes/workgroup (compile time only)
; SGPRBlocks: 12
; VGPRBlocks: 16
; NumSGPRsForWavesPerEU: 97
; NumVGPRsForWavesPerEU: 65
; Occupancy: 3
; WaveLimiterHint : 0
; COMPUTE_PGM_RSRC2:SCRATCH_EN: 0
; COMPUTE_PGM_RSRC2:USER_SGPR: 6
; COMPUTE_PGM_RSRC2:TRAP_HANDLER: 0
; COMPUTE_PGM_RSRC2:TGID_X_EN: 1
; COMPUTE_PGM_RSRC2:TGID_Y_EN: 1
; COMPUTE_PGM_RSRC2:TGID_Z_EN: 0
; COMPUTE_PGM_RSRC2:TIDIG_COMP_CNT: 2
	.section	.text._ZN7rocprim17ROCPRIM_400000_NS6detail17trampoline_kernelINS0_14default_configENS1_36segmented_radix_sort_config_selectorI12hip_bfloat16lEEZNS1_25segmented_radix_sort_implIS3_Lb0EPKS5_PS5_PKlPlN2at6native12_GLOBAL__N_18offset_tEEE10hipError_tPvRmT1_PNSt15iterator_traitsISL_E10value_typeET2_T3_PNSM_ISR_E10value_typeET4_jRbjT5_SX_jjP12ihipStream_tbEUlT_E1_NS1_11comp_targetILNS1_3genE10ELNS1_11target_archE1201ELNS1_3gpuE5ELNS1_3repE0EEENS1_59segmented_radix_sort_warp_sort_small_config_static_selectorELNS0_4arch9wavefront6targetE1EEEvSL_,"axG",@progbits,_ZN7rocprim17ROCPRIM_400000_NS6detail17trampoline_kernelINS0_14default_configENS1_36segmented_radix_sort_config_selectorI12hip_bfloat16lEEZNS1_25segmented_radix_sort_implIS3_Lb0EPKS5_PS5_PKlPlN2at6native12_GLOBAL__N_18offset_tEEE10hipError_tPvRmT1_PNSt15iterator_traitsISL_E10value_typeET2_T3_PNSM_ISR_E10value_typeET4_jRbjT5_SX_jjP12ihipStream_tbEUlT_E1_NS1_11comp_targetILNS1_3genE10ELNS1_11target_archE1201ELNS1_3gpuE5ELNS1_3repE0EEENS1_59segmented_radix_sort_warp_sort_small_config_static_selectorELNS0_4arch9wavefront6targetE1EEEvSL_,comdat
	.globl	_ZN7rocprim17ROCPRIM_400000_NS6detail17trampoline_kernelINS0_14default_configENS1_36segmented_radix_sort_config_selectorI12hip_bfloat16lEEZNS1_25segmented_radix_sort_implIS3_Lb0EPKS5_PS5_PKlPlN2at6native12_GLOBAL__N_18offset_tEEE10hipError_tPvRmT1_PNSt15iterator_traitsISL_E10value_typeET2_T3_PNSM_ISR_E10value_typeET4_jRbjT5_SX_jjP12ihipStream_tbEUlT_E1_NS1_11comp_targetILNS1_3genE10ELNS1_11target_archE1201ELNS1_3gpuE5ELNS1_3repE0EEENS1_59segmented_radix_sort_warp_sort_small_config_static_selectorELNS0_4arch9wavefront6targetE1EEEvSL_ ; -- Begin function _ZN7rocprim17ROCPRIM_400000_NS6detail17trampoline_kernelINS0_14default_configENS1_36segmented_radix_sort_config_selectorI12hip_bfloat16lEEZNS1_25segmented_radix_sort_implIS3_Lb0EPKS5_PS5_PKlPlN2at6native12_GLOBAL__N_18offset_tEEE10hipError_tPvRmT1_PNSt15iterator_traitsISL_E10value_typeET2_T3_PNSM_ISR_E10value_typeET4_jRbjT5_SX_jjP12ihipStream_tbEUlT_E1_NS1_11comp_targetILNS1_3genE10ELNS1_11target_archE1201ELNS1_3gpuE5ELNS1_3repE0EEENS1_59segmented_radix_sort_warp_sort_small_config_static_selectorELNS0_4arch9wavefront6targetE1EEEvSL_
	.p2align	8
	.type	_ZN7rocprim17ROCPRIM_400000_NS6detail17trampoline_kernelINS0_14default_configENS1_36segmented_radix_sort_config_selectorI12hip_bfloat16lEEZNS1_25segmented_radix_sort_implIS3_Lb0EPKS5_PS5_PKlPlN2at6native12_GLOBAL__N_18offset_tEEE10hipError_tPvRmT1_PNSt15iterator_traitsISL_E10value_typeET2_T3_PNSM_ISR_E10value_typeET4_jRbjT5_SX_jjP12ihipStream_tbEUlT_E1_NS1_11comp_targetILNS1_3genE10ELNS1_11target_archE1201ELNS1_3gpuE5ELNS1_3repE0EEENS1_59segmented_radix_sort_warp_sort_small_config_static_selectorELNS0_4arch9wavefront6targetE1EEEvSL_,@function
_ZN7rocprim17ROCPRIM_400000_NS6detail17trampoline_kernelINS0_14default_configENS1_36segmented_radix_sort_config_selectorI12hip_bfloat16lEEZNS1_25segmented_radix_sort_implIS3_Lb0EPKS5_PS5_PKlPlN2at6native12_GLOBAL__N_18offset_tEEE10hipError_tPvRmT1_PNSt15iterator_traitsISL_E10value_typeET2_T3_PNSM_ISR_E10value_typeET4_jRbjT5_SX_jjP12ihipStream_tbEUlT_E1_NS1_11comp_targetILNS1_3genE10ELNS1_11target_archE1201ELNS1_3gpuE5ELNS1_3repE0EEENS1_59segmented_radix_sort_warp_sort_small_config_static_selectorELNS0_4arch9wavefront6targetE1EEEvSL_: ; @_ZN7rocprim17ROCPRIM_400000_NS6detail17trampoline_kernelINS0_14default_configENS1_36segmented_radix_sort_config_selectorI12hip_bfloat16lEEZNS1_25segmented_radix_sort_implIS3_Lb0EPKS5_PS5_PKlPlN2at6native12_GLOBAL__N_18offset_tEEE10hipError_tPvRmT1_PNSt15iterator_traitsISL_E10value_typeET2_T3_PNSM_ISR_E10value_typeET4_jRbjT5_SX_jjP12ihipStream_tbEUlT_E1_NS1_11comp_targetILNS1_3genE10ELNS1_11target_archE1201ELNS1_3gpuE5ELNS1_3repE0EEENS1_59segmented_radix_sort_warp_sort_small_config_static_selectorELNS0_4arch9wavefront6targetE1EEEvSL_
; %bb.0:
	.section	.rodata,"a",@progbits
	.p2align	6, 0x0
	.amdhsa_kernel _ZN7rocprim17ROCPRIM_400000_NS6detail17trampoline_kernelINS0_14default_configENS1_36segmented_radix_sort_config_selectorI12hip_bfloat16lEEZNS1_25segmented_radix_sort_implIS3_Lb0EPKS5_PS5_PKlPlN2at6native12_GLOBAL__N_18offset_tEEE10hipError_tPvRmT1_PNSt15iterator_traitsISL_E10value_typeET2_T3_PNSM_ISR_E10value_typeET4_jRbjT5_SX_jjP12ihipStream_tbEUlT_E1_NS1_11comp_targetILNS1_3genE10ELNS1_11target_archE1201ELNS1_3gpuE5ELNS1_3repE0EEENS1_59segmented_radix_sort_warp_sort_small_config_static_selectorELNS0_4arch9wavefront6targetE1EEEvSL_
		.amdhsa_group_segment_fixed_size 0
		.amdhsa_private_segment_fixed_size 0
		.amdhsa_kernarg_size 88
		.amdhsa_user_sgpr_count 6
		.amdhsa_user_sgpr_private_segment_buffer 1
		.amdhsa_user_sgpr_dispatch_ptr 0
		.amdhsa_user_sgpr_queue_ptr 0
		.amdhsa_user_sgpr_kernarg_segment_ptr 1
		.amdhsa_user_sgpr_dispatch_id 0
		.amdhsa_user_sgpr_flat_scratch_init 0
		.amdhsa_user_sgpr_private_segment_size 0
		.amdhsa_uses_dynamic_stack 0
		.amdhsa_system_sgpr_private_segment_wavefront_offset 0
		.amdhsa_system_sgpr_workgroup_id_x 1
		.amdhsa_system_sgpr_workgroup_id_y 0
		.amdhsa_system_sgpr_workgroup_id_z 0
		.amdhsa_system_sgpr_workgroup_info 0
		.amdhsa_system_vgpr_workitem_id 0
		.amdhsa_next_free_vgpr 1
		.amdhsa_next_free_sgpr 0
		.amdhsa_reserve_vcc 0
		.amdhsa_reserve_flat_scratch 0
		.amdhsa_float_round_mode_32 0
		.amdhsa_float_round_mode_16_64 0
		.amdhsa_float_denorm_mode_32 3
		.amdhsa_float_denorm_mode_16_64 3
		.amdhsa_dx10_clamp 1
		.amdhsa_ieee_mode 1
		.amdhsa_fp16_overflow 0
		.amdhsa_exception_fp_ieee_invalid_op 0
		.amdhsa_exception_fp_denorm_src 0
		.amdhsa_exception_fp_ieee_div_zero 0
		.amdhsa_exception_fp_ieee_overflow 0
		.amdhsa_exception_fp_ieee_underflow 0
		.amdhsa_exception_fp_ieee_inexact 0
		.amdhsa_exception_int_div_zero 0
	.end_amdhsa_kernel
	.section	.text._ZN7rocprim17ROCPRIM_400000_NS6detail17trampoline_kernelINS0_14default_configENS1_36segmented_radix_sort_config_selectorI12hip_bfloat16lEEZNS1_25segmented_radix_sort_implIS3_Lb0EPKS5_PS5_PKlPlN2at6native12_GLOBAL__N_18offset_tEEE10hipError_tPvRmT1_PNSt15iterator_traitsISL_E10value_typeET2_T3_PNSM_ISR_E10value_typeET4_jRbjT5_SX_jjP12ihipStream_tbEUlT_E1_NS1_11comp_targetILNS1_3genE10ELNS1_11target_archE1201ELNS1_3gpuE5ELNS1_3repE0EEENS1_59segmented_radix_sort_warp_sort_small_config_static_selectorELNS0_4arch9wavefront6targetE1EEEvSL_,"axG",@progbits,_ZN7rocprim17ROCPRIM_400000_NS6detail17trampoline_kernelINS0_14default_configENS1_36segmented_radix_sort_config_selectorI12hip_bfloat16lEEZNS1_25segmented_radix_sort_implIS3_Lb0EPKS5_PS5_PKlPlN2at6native12_GLOBAL__N_18offset_tEEE10hipError_tPvRmT1_PNSt15iterator_traitsISL_E10value_typeET2_T3_PNSM_ISR_E10value_typeET4_jRbjT5_SX_jjP12ihipStream_tbEUlT_E1_NS1_11comp_targetILNS1_3genE10ELNS1_11target_archE1201ELNS1_3gpuE5ELNS1_3repE0EEENS1_59segmented_radix_sort_warp_sort_small_config_static_selectorELNS0_4arch9wavefront6targetE1EEEvSL_,comdat
.Lfunc_end2075:
	.size	_ZN7rocprim17ROCPRIM_400000_NS6detail17trampoline_kernelINS0_14default_configENS1_36segmented_radix_sort_config_selectorI12hip_bfloat16lEEZNS1_25segmented_radix_sort_implIS3_Lb0EPKS5_PS5_PKlPlN2at6native12_GLOBAL__N_18offset_tEEE10hipError_tPvRmT1_PNSt15iterator_traitsISL_E10value_typeET2_T3_PNSM_ISR_E10value_typeET4_jRbjT5_SX_jjP12ihipStream_tbEUlT_E1_NS1_11comp_targetILNS1_3genE10ELNS1_11target_archE1201ELNS1_3gpuE5ELNS1_3repE0EEENS1_59segmented_radix_sort_warp_sort_small_config_static_selectorELNS0_4arch9wavefront6targetE1EEEvSL_, .Lfunc_end2075-_ZN7rocprim17ROCPRIM_400000_NS6detail17trampoline_kernelINS0_14default_configENS1_36segmented_radix_sort_config_selectorI12hip_bfloat16lEEZNS1_25segmented_radix_sort_implIS3_Lb0EPKS5_PS5_PKlPlN2at6native12_GLOBAL__N_18offset_tEEE10hipError_tPvRmT1_PNSt15iterator_traitsISL_E10value_typeET2_T3_PNSM_ISR_E10value_typeET4_jRbjT5_SX_jjP12ihipStream_tbEUlT_E1_NS1_11comp_targetILNS1_3genE10ELNS1_11target_archE1201ELNS1_3gpuE5ELNS1_3repE0EEENS1_59segmented_radix_sort_warp_sort_small_config_static_selectorELNS0_4arch9wavefront6targetE1EEEvSL_
                                        ; -- End function
	.set _ZN7rocprim17ROCPRIM_400000_NS6detail17trampoline_kernelINS0_14default_configENS1_36segmented_radix_sort_config_selectorI12hip_bfloat16lEEZNS1_25segmented_radix_sort_implIS3_Lb0EPKS5_PS5_PKlPlN2at6native12_GLOBAL__N_18offset_tEEE10hipError_tPvRmT1_PNSt15iterator_traitsISL_E10value_typeET2_T3_PNSM_ISR_E10value_typeET4_jRbjT5_SX_jjP12ihipStream_tbEUlT_E1_NS1_11comp_targetILNS1_3genE10ELNS1_11target_archE1201ELNS1_3gpuE5ELNS1_3repE0EEENS1_59segmented_radix_sort_warp_sort_small_config_static_selectorELNS0_4arch9wavefront6targetE1EEEvSL_.num_vgpr, 0
	.set _ZN7rocprim17ROCPRIM_400000_NS6detail17trampoline_kernelINS0_14default_configENS1_36segmented_radix_sort_config_selectorI12hip_bfloat16lEEZNS1_25segmented_radix_sort_implIS3_Lb0EPKS5_PS5_PKlPlN2at6native12_GLOBAL__N_18offset_tEEE10hipError_tPvRmT1_PNSt15iterator_traitsISL_E10value_typeET2_T3_PNSM_ISR_E10value_typeET4_jRbjT5_SX_jjP12ihipStream_tbEUlT_E1_NS1_11comp_targetILNS1_3genE10ELNS1_11target_archE1201ELNS1_3gpuE5ELNS1_3repE0EEENS1_59segmented_radix_sort_warp_sort_small_config_static_selectorELNS0_4arch9wavefront6targetE1EEEvSL_.num_agpr, 0
	.set _ZN7rocprim17ROCPRIM_400000_NS6detail17trampoline_kernelINS0_14default_configENS1_36segmented_radix_sort_config_selectorI12hip_bfloat16lEEZNS1_25segmented_radix_sort_implIS3_Lb0EPKS5_PS5_PKlPlN2at6native12_GLOBAL__N_18offset_tEEE10hipError_tPvRmT1_PNSt15iterator_traitsISL_E10value_typeET2_T3_PNSM_ISR_E10value_typeET4_jRbjT5_SX_jjP12ihipStream_tbEUlT_E1_NS1_11comp_targetILNS1_3genE10ELNS1_11target_archE1201ELNS1_3gpuE5ELNS1_3repE0EEENS1_59segmented_radix_sort_warp_sort_small_config_static_selectorELNS0_4arch9wavefront6targetE1EEEvSL_.numbered_sgpr, 0
	.set _ZN7rocprim17ROCPRIM_400000_NS6detail17trampoline_kernelINS0_14default_configENS1_36segmented_radix_sort_config_selectorI12hip_bfloat16lEEZNS1_25segmented_radix_sort_implIS3_Lb0EPKS5_PS5_PKlPlN2at6native12_GLOBAL__N_18offset_tEEE10hipError_tPvRmT1_PNSt15iterator_traitsISL_E10value_typeET2_T3_PNSM_ISR_E10value_typeET4_jRbjT5_SX_jjP12ihipStream_tbEUlT_E1_NS1_11comp_targetILNS1_3genE10ELNS1_11target_archE1201ELNS1_3gpuE5ELNS1_3repE0EEENS1_59segmented_radix_sort_warp_sort_small_config_static_selectorELNS0_4arch9wavefront6targetE1EEEvSL_.num_named_barrier, 0
	.set _ZN7rocprim17ROCPRIM_400000_NS6detail17trampoline_kernelINS0_14default_configENS1_36segmented_radix_sort_config_selectorI12hip_bfloat16lEEZNS1_25segmented_radix_sort_implIS3_Lb0EPKS5_PS5_PKlPlN2at6native12_GLOBAL__N_18offset_tEEE10hipError_tPvRmT1_PNSt15iterator_traitsISL_E10value_typeET2_T3_PNSM_ISR_E10value_typeET4_jRbjT5_SX_jjP12ihipStream_tbEUlT_E1_NS1_11comp_targetILNS1_3genE10ELNS1_11target_archE1201ELNS1_3gpuE5ELNS1_3repE0EEENS1_59segmented_radix_sort_warp_sort_small_config_static_selectorELNS0_4arch9wavefront6targetE1EEEvSL_.private_seg_size, 0
	.set _ZN7rocprim17ROCPRIM_400000_NS6detail17trampoline_kernelINS0_14default_configENS1_36segmented_radix_sort_config_selectorI12hip_bfloat16lEEZNS1_25segmented_radix_sort_implIS3_Lb0EPKS5_PS5_PKlPlN2at6native12_GLOBAL__N_18offset_tEEE10hipError_tPvRmT1_PNSt15iterator_traitsISL_E10value_typeET2_T3_PNSM_ISR_E10value_typeET4_jRbjT5_SX_jjP12ihipStream_tbEUlT_E1_NS1_11comp_targetILNS1_3genE10ELNS1_11target_archE1201ELNS1_3gpuE5ELNS1_3repE0EEENS1_59segmented_radix_sort_warp_sort_small_config_static_selectorELNS0_4arch9wavefront6targetE1EEEvSL_.uses_vcc, 0
	.set _ZN7rocprim17ROCPRIM_400000_NS6detail17trampoline_kernelINS0_14default_configENS1_36segmented_radix_sort_config_selectorI12hip_bfloat16lEEZNS1_25segmented_radix_sort_implIS3_Lb0EPKS5_PS5_PKlPlN2at6native12_GLOBAL__N_18offset_tEEE10hipError_tPvRmT1_PNSt15iterator_traitsISL_E10value_typeET2_T3_PNSM_ISR_E10value_typeET4_jRbjT5_SX_jjP12ihipStream_tbEUlT_E1_NS1_11comp_targetILNS1_3genE10ELNS1_11target_archE1201ELNS1_3gpuE5ELNS1_3repE0EEENS1_59segmented_radix_sort_warp_sort_small_config_static_selectorELNS0_4arch9wavefront6targetE1EEEvSL_.uses_flat_scratch, 0
	.set _ZN7rocprim17ROCPRIM_400000_NS6detail17trampoline_kernelINS0_14default_configENS1_36segmented_radix_sort_config_selectorI12hip_bfloat16lEEZNS1_25segmented_radix_sort_implIS3_Lb0EPKS5_PS5_PKlPlN2at6native12_GLOBAL__N_18offset_tEEE10hipError_tPvRmT1_PNSt15iterator_traitsISL_E10value_typeET2_T3_PNSM_ISR_E10value_typeET4_jRbjT5_SX_jjP12ihipStream_tbEUlT_E1_NS1_11comp_targetILNS1_3genE10ELNS1_11target_archE1201ELNS1_3gpuE5ELNS1_3repE0EEENS1_59segmented_radix_sort_warp_sort_small_config_static_selectorELNS0_4arch9wavefront6targetE1EEEvSL_.has_dyn_sized_stack, 0
	.set _ZN7rocprim17ROCPRIM_400000_NS6detail17trampoline_kernelINS0_14default_configENS1_36segmented_radix_sort_config_selectorI12hip_bfloat16lEEZNS1_25segmented_radix_sort_implIS3_Lb0EPKS5_PS5_PKlPlN2at6native12_GLOBAL__N_18offset_tEEE10hipError_tPvRmT1_PNSt15iterator_traitsISL_E10value_typeET2_T3_PNSM_ISR_E10value_typeET4_jRbjT5_SX_jjP12ihipStream_tbEUlT_E1_NS1_11comp_targetILNS1_3genE10ELNS1_11target_archE1201ELNS1_3gpuE5ELNS1_3repE0EEENS1_59segmented_radix_sort_warp_sort_small_config_static_selectorELNS0_4arch9wavefront6targetE1EEEvSL_.has_recursion, 0
	.set _ZN7rocprim17ROCPRIM_400000_NS6detail17trampoline_kernelINS0_14default_configENS1_36segmented_radix_sort_config_selectorI12hip_bfloat16lEEZNS1_25segmented_radix_sort_implIS3_Lb0EPKS5_PS5_PKlPlN2at6native12_GLOBAL__N_18offset_tEEE10hipError_tPvRmT1_PNSt15iterator_traitsISL_E10value_typeET2_T3_PNSM_ISR_E10value_typeET4_jRbjT5_SX_jjP12ihipStream_tbEUlT_E1_NS1_11comp_targetILNS1_3genE10ELNS1_11target_archE1201ELNS1_3gpuE5ELNS1_3repE0EEENS1_59segmented_radix_sort_warp_sort_small_config_static_selectorELNS0_4arch9wavefront6targetE1EEEvSL_.has_indirect_call, 0
	.section	.AMDGPU.csdata,"",@progbits
; Kernel info:
; codeLenInByte = 0
; TotalNumSgprs: 4
; NumVgprs: 0
; ScratchSize: 0
; MemoryBound: 0
; FloatMode: 240
; IeeeMode: 1
; LDSByteSize: 0 bytes/workgroup (compile time only)
; SGPRBlocks: 0
; VGPRBlocks: 0
; NumSGPRsForWavesPerEU: 4
; NumVGPRsForWavesPerEU: 1
; Occupancy: 10
; WaveLimiterHint : 0
; COMPUTE_PGM_RSRC2:SCRATCH_EN: 0
; COMPUTE_PGM_RSRC2:USER_SGPR: 6
; COMPUTE_PGM_RSRC2:TRAP_HANDLER: 0
; COMPUTE_PGM_RSRC2:TGID_X_EN: 1
; COMPUTE_PGM_RSRC2:TGID_Y_EN: 0
; COMPUTE_PGM_RSRC2:TGID_Z_EN: 0
; COMPUTE_PGM_RSRC2:TIDIG_COMP_CNT: 0
	.section	.text._ZN7rocprim17ROCPRIM_400000_NS6detail17trampoline_kernelINS0_14default_configENS1_36segmented_radix_sort_config_selectorI12hip_bfloat16lEEZNS1_25segmented_radix_sort_implIS3_Lb0EPKS5_PS5_PKlPlN2at6native12_GLOBAL__N_18offset_tEEE10hipError_tPvRmT1_PNSt15iterator_traitsISL_E10value_typeET2_T3_PNSM_ISR_E10value_typeET4_jRbjT5_SX_jjP12ihipStream_tbEUlT_E1_NS1_11comp_targetILNS1_3genE10ELNS1_11target_archE1200ELNS1_3gpuE4ELNS1_3repE0EEENS1_59segmented_radix_sort_warp_sort_small_config_static_selectorELNS0_4arch9wavefront6targetE1EEEvSL_,"axG",@progbits,_ZN7rocprim17ROCPRIM_400000_NS6detail17trampoline_kernelINS0_14default_configENS1_36segmented_radix_sort_config_selectorI12hip_bfloat16lEEZNS1_25segmented_radix_sort_implIS3_Lb0EPKS5_PS5_PKlPlN2at6native12_GLOBAL__N_18offset_tEEE10hipError_tPvRmT1_PNSt15iterator_traitsISL_E10value_typeET2_T3_PNSM_ISR_E10value_typeET4_jRbjT5_SX_jjP12ihipStream_tbEUlT_E1_NS1_11comp_targetILNS1_3genE10ELNS1_11target_archE1200ELNS1_3gpuE4ELNS1_3repE0EEENS1_59segmented_radix_sort_warp_sort_small_config_static_selectorELNS0_4arch9wavefront6targetE1EEEvSL_,comdat
	.globl	_ZN7rocprim17ROCPRIM_400000_NS6detail17trampoline_kernelINS0_14default_configENS1_36segmented_radix_sort_config_selectorI12hip_bfloat16lEEZNS1_25segmented_radix_sort_implIS3_Lb0EPKS5_PS5_PKlPlN2at6native12_GLOBAL__N_18offset_tEEE10hipError_tPvRmT1_PNSt15iterator_traitsISL_E10value_typeET2_T3_PNSM_ISR_E10value_typeET4_jRbjT5_SX_jjP12ihipStream_tbEUlT_E1_NS1_11comp_targetILNS1_3genE10ELNS1_11target_archE1200ELNS1_3gpuE4ELNS1_3repE0EEENS1_59segmented_radix_sort_warp_sort_small_config_static_selectorELNS0_4arch9wavefront6targetE1EEEvSL_ ; -- Begin function _ZN7rocprim17ROCPRIM_400000_NS6detail17trampoline_kernelINS0_14default_configENS1_36segmented_radix_sort_config_selectorI12hip_bfloat16lEEZNS1_25segmented_radix_sort_implIS3_Lb0EPKS5_PS5_PKlPlN2at6native12_GLOBAL__N_18offset_tEEE10hipError_tPvRmT1_PNSt15iterator_traitsISL_E10value_typeET2_T3_PNSM_ISR_E10value_typeET4_jRbjT5_SX_jjP12ihipStream_tbEUlT_E1_NS1_11comp_targetILNS1_3genE10ELNS1_11target_archE1200ELNS1_3gpuE4ELNS1_3repE0EEENS1_59segmented_radix_sort_warp_sort_small_config_static_selectorELNS0_4arch9wavefront6targetE1EEEvSL_
	.p2align	8
	.type	_ZN7rocprim17ROCPRIM_400000_NS6detail17trampoline_kernelINS0_14default_configENS1_36segmented_radix_sort_config_selectorI12hip_bfloat16lEEZNS1_25segmented_radix_sort_implIS3_Lb0EPKS5_PS5_PKlPlN2at6native12_GLOBAL__N_18offset_tEEE10hipError_tPvRmT1_PNSt15iterator_traitsISL_E10value_typeET2_T3_PNSM_ISR_E10value_typeET4_jRbjT5_SX_jjP12ihipStream_tbEUlT_E1_NS1_11comp_targetILNS1_3genE10ELNS1_11target_archE1200ELNS1_3gpuE4ELNS1_3repE0EEENS1_59segmented_radix_sort_warp_sort_small_config_static_selectorELNS0_4arch9wavefront6targetE1EEEvSL_,@function
_ZN7rocprim17ROCPRIM_400000_NS6detail17trampoline_kernelINS0_14default_configENS1_36segmented_radix_sort_config_selectorI12hip_bfloat16lEEZNS1_25segmented_radix_sort_implIS3_Lb0EPKS5_PS5_PKlPlN2at6native12_GLOBAL__N_18offset_tEEE10hipError_tPvRmT1_PNSt15iterator_traitsISL_E10value_typeET2_T3_PNSM_ISR_E10value_typeET4_jRbjT5_SX_jjP12ihipStream_tbEUlT_E1_NS1_11comp_targetILNS1_3genE10ELNS1_11target_archE1200ELNS1_3gpuE4ELNS1_3repE0EEENS1_59segmented_radix_sort_warp_sort_small_config_static_selectorELNS0_4arch9wavefront6targetE1EEEvSL_: ; @_ZN7rocprim17ROCPRIM_400000_NS6detail17trampoline_kernelINS0_14default_configENS1_36segmented_radix_sort_config_selectorI12hip_bfloat16lEEZNS1_25segmented_radix_sort_implIS3_Lb0EPKS5_PS5_PKlPlN2at6native12_GLOBAL__N_18offset_tEEE10hipError_tPvRmT1_PNSt15iterator_traitsISL_E10value_typeET2_T3_PNSM_ISR_E10value_typeET4_jRbjT5_SX_jjP12ihipStream_tbEUlT_E1_NS1_11comp_targetILNS1_3genE10ELNS1_11target_archE1200ELNS1_3gpuE4ELNS1_3repE0EEENS1_59segmented_radix_sort_warp_sort_small_config_static_selectorELNS0_4arch9wavefront6targetE1EEEvSL_
; %bb.0:
	.section	.rodata,"a",@progbits
	.p2align	6, 0x0
	.amdhsa_kernel _ZN7rocprim17ROCPRIM_400000_NS6detail17trampoline_kernelINS0_14default_configENS1_36segmented_radix_sort_config_selectorI12hip_bfloat16lEEZNS1_25segmented_radix_sort_implIS3_Lb0EPKS5_PS5_PKlPlN2at6native12_GLOBAL__N_18offset_tEEE10hipError_tPvRmT1_PNSt15iterator_traitsISL_E10value_typeET2_T3_PNSM_ISR_E10value_typeET4_jRbjT5_SX_jjP12ihipStream_tbEUlT_E1_NS1_11comp_targetILNS1_3genE10ELNS1_11target_archE1200ELNS1_3gpuE4ELNS1_3repE0EEENS1_59segmented_radix_sort_warp_sort_small_config_static_selectorELNS0_4arch9wavefront6targetE1EEEvSL_
		.amdhsa_group_segment_fixed_size 0
		.amdhsa_private_segment_fixed_size 0
		.amdhsa_kernarg_size 88
		.amdhsa_user_sgpr_count 6
		.amdhsa_user_sgpr_private_segment_buffer 1
		.amdhsa_user_sgpr_dispatch_ptr 0
		.amdhsa_user_sgpr_queue_ptr 0
		.amdhsa_user_sgpr_kernarg_segment_ptr 1
		.amdhsa_user_sgpr_dispatch_id 0
		.amdhsa_user_sgpr_flat_scratch_init 0
		.amdhsa_user_sgpr_private_segment_size 0
		.amdhsa_uses_dynamic_stack 0
		.amdhsa_system_sgpr_private_segment_wavefront_offset 0
		.amdhsa_system_sgpr_workgroup_id_x 1
		.amdhsa_system_sgpr_workgroup_id_y 0
		.amdhsa_system_sgpr_workgroup_id_z 0
		.amdhsa_system_sgpr_workgroup_info 0
		.amdhsa_system_vgpr_workitem_id 0
		.amdhsa_next_free_vgpr 1
		.amdhsa_next_free_sgpr 0
		.amdhsa_reserve_vcc 0
		.amdhsa_reserve_flat_scratch 0
		.amdhsa_float_round_mode_32 0
		.amdhsa_float_round_mode_16_64 0
		.amdhsa_float_denorm_mode_32 3
		.amdhsa_float_denorm_mode_16_64 3
		.amdhsa_dx10_clamp 1
		.amdhsa_ieee_mode 1
		.amdhsa_fp16_overflow 0
		.amdhsa_exception_fp_ieee_invalid_op 0
		.amdhsa_exception_fp_denorm_src 0
		.amdhsa_exception_fp_ieee_div_zero 0
		.amdhsa_exception_fp_ieee_overflow 0
		.amdhsa_exception_fp_ieee_underflow 0
		.amdhsa_exception_fp_ieee_inexact 0
		.amdhsa_exception_int_div_zero 0
	.end_amdhsa_kernel
	.section	.text._ZN7rocprim17ROCPRIM_400000_NS6detail17trampoline_kernelINS0_14default_configENS1_36segmented_radix_sort_config_selectorI12hip_bfloat16lEEZNS1_25segmented_radix_sort_implIS3_Lb0EPKS5_PS5_PKlPlN2at6native12_GLOBAL__N_18offset_tEEE10hipError_tPvRmT1_PNSt15iterator_traitsISL_E10value_typeET2_T3_PNSM_ISR_E10value_typeET4_jRbjT5_SX_jjP12ihipStream_tbEUlT_E1_NS1_11comp_targetILNS1_3genE10ELNS1_11target_archE1200ELNS1_3gpuE4ELNS1_3repE0EEENS1_59segmented_radix_sort_warp_sort_small_config_static_selectorELNS0_4arch9wavefront6targetE1EEEvSL_,"axG",@progbits,_ZN7rocprim17ROCPRIM_400000_NS6detail17trampoline_kernelINS0_14default_configENS1_36segmented_radix_sort_config_selectorI12hip_bfloat16lEEZNS1_25segmented_radix_sort_implIS3_Lb0EPKS5_PS5_PKlPlN2at6native12_GLOBAL__N_18offset_tEEE10hipError_tPvRmT1_PNSt15iterator_traitsISL_E10value_typeET2_T3_PNSM_ISR_E10value_typeET4_jRbjT5_SX_jjP12ihipStream_tbEUlT_E1_NS1_11comp_targetILNS1_3genE10ELNS1_11target_archE1200ELNS1_3gpuE4ELNS1_3repE0EEENS1_59segmented_radix_sort_warp_sort_small_config_static_selectorELNS0_4arch9wavefront6targetE1EEEvSL_,comdat
.Lfunc_end2076:
	.size	_ZN7rocprim17ROCPRIM_400000_NS6detail17trampoline_kernelINS0_14default_configENS1_36segmented_radix_sort_config_selectorI12hip_bfloat16lEEZNS1_25segmented_radix_sort_implIS3_Lb0EPKS5_PS5_PKlPlN2at6native12_GLOBAL__N_18offset_tEEE10hipError_tPvRmT1_PNSt15iterator_traitsISL_E10value_typeET2_T3_PNSM_ISR_E10value_typeET4_jRbjT5_SX_jjP12ihipStream_tbEUlT_E1_NS1_11comp_targetILNS1_3genE10ELNS1_11target_archE1200ELNS1_3gpuE4ELNS1_3repE0EEENS1_59segmented_radix_sort_warp_sort_small_config_static_selectorELNS0_4arch9wavefront6targetE1EEEvSL_, .Lfunc_end2076-_ZN7rocprim17ROCPRIM_400000_NS6detail17trampoline_kernelINS0_14default_configENS1_36segmented_radix_sort_config_selectorI12hip_bfloat16lEEZNS1_25segmented_radix_sort_implIS3_Lb0EPKS5_PS5_PKlPlN2at6native12_GLOBAL__N_18offset_tEEE10hipError_tPvRmT1_PNSt15iterator_traitsISL_E10value_typeET2_T3_PNSM_ISR_E10value_typeET4_jRbjT5_SX_jjP12ihipStream_tbEUlT_E1_NS1_11comp_targetILNS1_3genE10ELNS1_11target_archE1200ELNS1_3gpuE4ELNS1_3repE0EEENS1_59segmented_radix_sort_warp_sort_small_config_static_selectorELNS0_4arch9wavefront6targetE1EEEvSL_
                                        ; -- End function
	.set _ZN7rocprim17ROCPRIM_400000_NS6detail17trampoline_kernelINS0_14default_configENS1_36segmented_radix_sort_config_selectorI12hip_bfloat16lEEZNS1_25segmented_radix_sort_implIS3_Lb0EPKS5_PS5_PKlPlN2at6native12_GLOBAL__N_18offset_tEEE10hipError_tPvRmT1_PNSt15iterator_traitsISL_E10value_typeET2_T3_PNSM_ISR_E10value_typeET4_jRbjT5_SX_jjP12ihipStream_tbEUlT_E1_NS1_11comp_targetILNS1_3genE10ELNS1_11target_archE1200ELNS1_3gpuE4ELNS1_3repE0EEENS1_59segmented_radix_sort_warp_sort_small_config_static_selectorELNS0_4arch9wavefront6targetE1EEEvSL_.num_vgpr, 0
	.set _ZN7rocprim17ROCPRIM_400000_NS6detail17trampoline_kernelINS0_14default_configENS1_36segmented_radix_sort_config_selectorI12hip_bfloat16lEEZNS1_25segmented_radix_sort_implIS3_Lb0EPKS5_PS5_PKlPlN2at6native12_GLOBAL__N_18offset_tEEE10hipError_tPvRmT1_PNSt15iterator_traitsISL_E10value_typeET2_T3_PNSM_ISR_E10value_typeET4_jRbjT5_SX_jjP12ihipStream_tbEUlT_E1_NS1_11comp_targetILNS1_3genE10ELNS1_11target_archE1200ELNS1_3gpuE4ELNS1_3repE0EEENS1_59segmented_radix_sort_warp_sort_small_config_static_selectorELNS0_4arch9wavefront6targetE1EEEvSL_.num_agpr, 0
	.set _ZN7rocprim17ROCPRIM_400000_NS6detail17trampoline_kernelINS0_14default_configENS1_36segmented_radix_sort_config_selectorI12hip_bfloat16lEEZNS1_25segmented_radix_sort_implIS3_Lb0EPKS5_PS5_PKlPlN2at6native12_GLOBAL__N_18offset_tEEE10hipError_tPvRmT1_PNSt15iterator_traitsISL_E10value_typeET2_T3_PNSM_ISR_E10value_typeET4_jRbjT5_SX_jjP12ihipStream_tbEUlT_E1_NS1_11comp_targetILNS1_3genE10ELNS1_11target_archE1200ELNS1_3gpuE4ELNS1_3repE0EEENS1_59segmented_radix_sort_warp_sort_small_config_static_selectorELNS0_4arch9wavefront6targetE1EEEvSL_.numbered_sgpr, 0
	.set _ZN7rocprim17ROCPRIM_400000_NS6detail17trampoline_kernelINS0_14default_configENS1_36segmented_radix_sort_config_selectorI12hip_bfloat16lEEZNS1_25segmented_radix_sort_implIS3_Lb0EPKS5_PS5_PKlPlN2at6native12_GLOBAL__N_18offset_tEEE10hipError_tPvRmT1_PNSt15iterator_traitsISL_E10value_typeET2_T3_PNSM_ISR_E10value_typeET4_jRbjT5_SX_jjP12ihipStream_tbEUlT_E1_NS1_11comp_targetILNS1_3genE10ELNS1_11target_archE1200ELNS1_3gpuE4ELNS1_3repE0EEENS1_59segmented_radix_sort_warp_sort_small_config_static_selectorELNS0_4arch9wavefront6targetE1EEEvSL_.num_named_barrier, 0
	.set _ZN7rocprim17ROCPRIM_400000_NS6detail17trampoline_kernelINS0_14default_configENS1_36segmented_radix_sort_config_selectorI12hip_bfloat16lEEZNS1_25segmented_radix_sort_implIS3_Lb0EPKS5_PS5_PKlPlN2at6native12_GLOBAL__N_18offset_tEEE10hipError_tPvRmT1_PNSt15iterator_traitsISL_E10value_typeET2_T3_PNSM_ISR_E10value_typeET4_jRbjT5_SX_jjP12ihipStream_tbEUlT_E1_NS1_11comp_targetILNS1_3genE10ELNS1_11target_archE1200ELNS1_3gpuE4ELNS1_3repE0EEENS1_59segmented_radix_sort_warp_sort_small_config_static_selectorELNS0_4arch9wavefront6targetE1EEEvSL_.private_seg_size, 0
	.set _ZN7rocprim17ROCPRIM_400000_NS6detail17trampoline_kernelINS0_14default_configENS1_36segmented_radix_sort_config_selectorI12hip_bfloat16lEEZNS1_25segmented_radix_sort_implIS3_Lb0EPKS5_PS5_PKlPlN2at6native12_GLOBAL__N_18offset_tEEE10hipError_tPvRmT1_PNSt15iterator_traitsISL_E10value_typeET2_T3_PNSM_ISR_E10value_typeET4_jRbjT5_SX_jjP12ihipStream_tbEUlT_E1_NS1_11comp_targetILNS1_3genE10ELNS1_11target_archE1200ELNS1_3gpuE4ELNS1_3repE0EEENS1_59segmented_radix_sort_warp_sort_small_config_static_selectorELNS0_4arch9wavefront6targetE1EEEvSL_.uses_vcc, 0
	.set _ZN7rocprim17ROCPRIM_400000_NS6detail17trampoline_kernelINS0_14default_configENS1_36segmented_radix_sort_config_selectorI12hip_bfloat16lEEZNS1_25segmented_radix_sort_implIS3_Lb0EPKS5_PS5_PKlPlN2at6native12_GLOBAL__N_18offset_tEEE10hipError_tPvRmT1_PNSt15iterator_traitsISL_E10value_typeET2_T3_PNSM_ISR_E10value_typeET4_jRbjT5_SX_jjP12ihipStream_tbEUlT_E1_NS1_11comp_targetILNS1_3genE10ELNS1_11target_archE1200ELNS1_3gpuE4ELNS1_3repE0EEENS1_59segmented_radix_sort_warp_sort_small_config_static_selectorELNS0_4arch9wavefront6targetE1EEEvSL_.uses_flat_scratch, 0
	.set _ZN7rocprim17ROCPRIM_400000_NS6detail17trampoline_kernelINS0_14default_configENS1_36segmented_radix_sort_config_selectorI12hip_bfloat16lEEZNS1_25segmented_radix_sort_implIS3_Lb0EPKS5_PS5_PKlPlN2at6native12_GLOBAL__N_18offset_tEEE10hipError_tPvRmT1_PNSt15iterator_traitsISL_E10value_typeET2_T3_PNSM_ISR_E10value_typeET4_jRbjT5_SX_jjP12ihipStream_tbEUlT_E1_NS1_11comp_targetILNS1_3genE10ELNS1_11target_archE1200ELNS1_3gpuE4ELNS1_3repE0EEENS1_59segmented_radix_sort_warp_sort_small_config_static_selectorELNS0_4arch9wavefront6targetE1EEEvSL_.has_dyn_sized_stack, 0
	.set _ZN7rocprim17ROCPRIM_400000_NS6detail17trampoline_kernelINS0_14default_configENS1_36segmented_radix_sort_config_selectorI12hip_bfloat16lEEZNS1_25segmented_radix_sort_implIS3_Lb0EPKS5_PS5_PKlPlN2at6native12_GLOBAL__N_18offset_tEEE10hipError_tPvRmT1_PNSt15iterator_traitsISL_E10value_typeET2_T3_PNSM_ISR_E10value_typeET4_jRbjT5_SX_jjP12ihipStream_tbEUlT_E1_NS1_11comp_targetILNS1_3genE10ELNS1_11target_archE1200ELNS1_3gpuE4ELNS1_3repE0EEENS1_59segmented_radix_sort_warp_sort_small_config_static_selectorELNS0_4arch9wavefront6targetE1EEEvSL_.has_recursion, 0
	.set _ZN7rocprim17ROCPRIM_400000_NS6detail17trampoline_kernelINS0_14default_configENS1_36segmented_radix_sort_config_selectorI12hip_bfloat16lEEZNS1_25segmented_radix_sort_implIS3_Lb0EPKS5_PS5_PKlPlN2at6native12_GLOBAL__N_18offset_tEEE10hipError_tPvRmT1_PNSt15iterator_traitsISL_E10value_typeET2_T3_PNSM_ISR_E10value_typeET4_jRbjT5_SX_jjP12ihipStream_tbEUlT_E1_NS1_11comp_targetILNS1_3genE10ELNS1_11target_archE1200ELNS1_3gpuE4ELNS1_3repE0EEENS1_59segmented_radix_sort_warp_sort_small_config_static_selectorELNS0_4arch9wavefront6targetE1EEEvSL_.has_indirect_call, 0
	.section	.AMDGPU.csdata,"",@progbits
; Kernel info:
; codeLenInByte = 0
; TotalNumSgprs: 4
; NumVgprs: 0
; ScratchSize: 0
; MemoryBound: 0
; FloatMode: 240
; IeeeMode: 1
; LDSByteSize: 0 bytes/workgroup (compile time only)
; SGPRBlocks: 0
; VGPRBlocks: 0
; NumSGPRsForWavesPerEU: 4
; NumVGPRsForWavesPerEU: 1
; Occupancy: 10
; WaveLimiterHint : 0
; COMPUTE_PGM_RSRC2:SCRATCH_EN: 0
; COMPUTE_PGM_RSRC2:USER_SGPR: 6
; COMPUTE_PGM_RSRC2:TRAP_HANDLER: 0
; COMPUTE_PGM_RSRC2:TGID_X_EN: 1
; COMPUTE_PGM_RSRC2:TGID_Y_EN: 0
; COMPUTE_PGM_RSRC2:TGID_Z_EN: 0
; COMPUTE_PGM_RSRC2:TIDIG_COMP_CNT: 0
	.section	.text._ZN7rocprim17ROCPRIM_400000_NS6detail17trampoline_kernelINS0_14default_configENS1_36segmented_radix_sort_config_selectorI12hip_bfloat16lEEZNS1_25segmented_radix_sort_implIS3_Lb0EPKS5_PS5_PKlPlN2at6native12_GLOBAL__N_18offset_tEEE10hipError_tPvRmT1_PNSt15iterator_traitsISL_E10value_typeET2_T3_PNSM_ISR_E10value_typeET4_jRbjT5_SX_jjP12ihipStream_tbEUlT_E1_NS1_11comp_targetILNS1_3genE9ELNS1_11target_archE1100ELNS1_3gpuE3ELNS1_3repE0EEENS1_59segmented_radix_sort_warp_sort_small_config_static_selectorELNS0_4arch9wavefront6targetE1EEEvSL_,"axG",@progbits,_ZN7rocprim17ROCPRIM_400000_NS6detail17trampoline_kernelINS0_14default_configENS1_36segmented_radix_sort_config_selectorI12hip_bfloat16lEEZNS1_25segmented_radix_sort_implIS3_Lb0EPKS5_PS5_PKlPlN2at6native12_GLOBAL__N_18offset_tEEE10hipError_tPvRmT1_PNSt15iterator_traitsISL_E10value_typeET2_T3_PNSM_ISR_E10value_typeET4_jRbjT5_SX_jjP12ihipStream_tbEUlT_E1_NS1_11comp_targetILNS1_3genE9ELNS1_11target_archE1100ELNS1_3gpuE3ELNS1_3repE0EEENS1_59segmented_radix_sort_warp_sort_small_config_static_selectorELNS0_4arch9wavefront6targetE1EEEvSL_,comdat
	.globl	_ZN7rocprim17ROCPRIM_400000_NS6detail17trampoline_kernelINS0_14default_configENS1_36segmented_radix_sort_config_selectorI12hip_bfloat16lEEZNS1_25segmented_radix_sort_implIS3_Lb0EPKS5_PS5_PKlPlN2at6native12_GLOBAL__N_18offset_tEEE10hipError_tPvRmT1_PNSt15iterator_traitsISL_E10value_typeET2_T3_PNSM_ISR_E10value_typeET4_jRbjT5_SX_jjP12ihipStream_tbEUlT_E1_NS1_11comp_targetILNS1_3genE9ELNS1_11target_archE1100ELNS1_3gpuE3ELNS1_3repE0EEENS1_59segmented_radix_sort_warp_sort_small_config_static_selectorELNS0_4arch9wavefront6targetE1EEEvSL_ ; -- Begin function _ZN7rocprim17ROCPRIM_400000_NS6detail17trampoline_kernelINS0_14default_configENS1_36segmented_radix_sort_config_selectorI12hip_bfloat16lEEZNS1_25segmented_radix_sort_implIS3_Lb0EPKS5_PS5_PKlPlN2at6native12_GLOBAL__N_18offset_tEEE10hipError_tPvRmT1_PNSt15iterator_traitsISL_E10value_typeET2_T3_PNSM_ISR_E10value_typeET4_jRbjT5_SX_jjP12ihipStream_tbEUlT_E1_NS1_11comp_targetILNS1_3genE9ELNS1_11target_archE1100ELNS1_3gpuE3ELNS1_3repE0EEENS1_59segmented_radix_sort_warp_sort_small_config_static_selectorELNS0_4arch9wavefront6targetE1EEEvSL_
	.p2align	8
	.type	_ZN7rocprim17ROCPRIM_400000_NS6detail17trampoline_kernelINS0_14default_configENS1_36segmented_radix_sort_config_selectorI12hip_bfloat16lEEZNS1_25segmented_radix_sort_implIS3_Lb0EPKS5_PS5_PKlPlN2at6native12_GLOBAL__N_18offset_tEEE10hipError_tPvRmT1_PNSt15iterator_traitsISL_E10value_typeET2_T3_PNSM_ISR_E10value_typeET4_jRbjT5_SX_jjP12ihipStream_tbEUlT_E1_NS1_11comp_targetILNS1_3genE9ELNS1_11target_archE1100ELNS1_3gpuE3ELNS1_3repE0EEENS1_59segmented_radix_sort_warp_sort_small_config_static_selectorELNS0_4arch9wavefront6targetE1EEEvSL_,@function
_ZN7rocprim17ROCPRIM_400000_NS6detail17trampoline_kernelINS0_14default_configENS1_36segmented_radix_sort_config_selectorI12hip_bfloat16lEEZNS1_25segmented_radix_sort_implIS3_Lb0EPKS5_PS5_PKlPlN2at6native12_GLOBAL__N_18offset_tEEE10hipError_tPvRmT1_PNSt15iterator_traitsISL_E10value_typeET2_T3_PNSM_ISR_E10value_typeET4_jRbjT5_SX_jjP12ihipStream_tbEUlT_E1_NS1_11comp_targetILNS1_3genE9ELNS1_11target_archE1100ELNS1_3gpuE3ELNS1_3repE0EEENS1_59segmented_radix_sort_warp_sort_small_config_static_selectorELNS0_4arch9wavefront6targetE1EEEvSL_: ; @_ZN7rocprim17ROCPRIM_400000_NS6detail17trampoline_kernelINS0_14default_configENS1_36segmented_radix_sort_config_selectorI12hip_bfloat16lEEZNS1_25segmented_radix_sort_implIS3_Lb0EPKS5_PS5_PKlPlN2at6native12_GLOBAL__N_18offset_tEEE10hipError_tPvRmT1_PNSt15iterator_traitsISL_E10value_typeET2_T3_PNSM_ISR_E10value_typeET4_jRbjT5_SX_jjP12ihipStream_tbEUlT_E1_NS1_11comp_targetILNS1_3genE9ELNS1_11target_archE1100ELNS1_3gpuE3ELNS1_3repE0EEENS1_59segmented_radix_sort_warp_sort_small_config_static_selectorELNS0_4arch9wavefront6targetE1EEEvSL_
; %bb.0:
	.section	.rodata,"a",@progbits
	.p2align	6, 0x0
	.amdhsa_kernel _ZN7rocprim17ROCPRIM_400000_NS6detail17trampoline_kernelINS0_14default_configENS1_36segmented_radix_sort_config_selectorI12hip_bfloat16lEEZNS1_25segmented_radix_sort_implIS3_Lb0EPKS5_PS5_PKlPlN2at6native12_GLOBAL__N_18offset_tEEE10hipError_tPvRmT1_PNSt15iterator_traitsISL_E10value_typeET2_T3_PNSM_ISR_E10value_typeET4_jRbjT5_SX_jjP12ihipStream_tbEUlT_E1_NS1_11comp_targetILNS1_3genE9ELNS1_11target_archE1100ELNS1_3gpuE3ELNS1_3repE0EEENS1_59segmented_radix_sort_warp_sort_small_config_static_selectorELNS0_4arch9wavefront6targetE1EEEvSL_
		.amdhsa_group_segment_fixed_size 0
		.amdhsa_private_segment_fixed_size 0
		.amdhsa_kernarg_size 88
		.amdhsa_user_sgpr_count 6
		.amdhsa_user_sgpr_private_segment_buffer 1
		.amdhsa_user_sgpr_dispatch_ptr 0
		.amdhsa_user_sgpr_queue_ptr 0
		.amdhsa_user_sgpr_kernarg_segment_ptr 1
		.amdhsa_user_sgpr_dispatch_id 0
		.amdhsa_user_sgpr_flat_scratch_init 0
		.amdhsa_user_sgpr_private_segment_size 0
		.amdhsa_uses_dynamic_stack 0
		.amdhsa_system_sgpr_private_segment_wavefront_offset 0
		.amdhsa_system_sgpr_workgroup_id_x 1
		.amdhsa_system_sgpr_workgroup_id_y 0
		.amdhsa_system_sgpr_workgroup_id_z 0
		.amdhsa_system_sgpr_workgroup_info 0
		.amdhsa_system_vgpr_workitem_id 0
		.amdhsa_next_free_vgpr 1
		.amdhsa_next_free_sgpr 0
		.amdhsa_reserve_vcc 0
		.amdhsa_reserve_flat_scratch 0
		.amdhsa_float_round_mode_32 0
		.amdhsa_float_round_mode_16_64 0
		.amdhsa_float_denorm_mode_32 3
		.amdhsa_float_denorm_mode_16_64 3
		.amdhsa_dx10_clamp 1
		.amdhsa_ieee_mode 1
		.amdhsa_fp16_overflow 0
		.amdhsa_exception_fp_ieee_invalid_op 0
		.amdhsa_exception_fp_denorm_src 0
		.amdhsa_exception_fp_ieee_div_zero 0
		.amdhsa_exception_fp_ieee_overflow 0
		.amdhsa_exception_fp_ieee_underflow 0
		.amdhsa_exception_fp_ieee_inexact 0
		.amdhsa_exception_int_div_zero 0
	.end_amdhsa_kernel
	.section	.text._ZN7rocprim17ROCPRIM_400000_NS6detail17trampoline_kernelINS0_14default_configENS1_36segmented_radix_sort_config_selectorI12hip_bfloat16lEEZNS1_25segmented_radix_sort_implIS3_Lb0EPKS5_PS5_PKlPlN2at6native12_GLOBAL__N_18offset_tEEE10hipError_tPvRmT1_PNSt15iterator_traitsISL_E10value_typeET2_T3_PNSM_ISR_E10value_typeET4_jRbjT5_SX_jjP12ihipStream_tbEUlT_E1_NS1_11comp_targetILNS1_3genE9ELNS1_11target_archE1100ELNS1_3gpuE3ELNS1_3repE0EEENS1_59segmented_radix_sort_warp_sort_small_config_static_selectorELNS0_4arch9wavefront6targetE1EEEvSL_,"axG",@progbits,_ZN7rocprim17ROCPRIM_400000_NS6detail17trampoline_kernelINS0_14default_configENS1_36segmented_radix_sort_config_selectorI12hip_bfloat16lEEZNS1_25segmented_radix_sort_implIS3_Lb0EPKS5_PS5_PKlPlN2at6native12_GLOBAL__N_18offset_tEEE10hipError_tPvRmT1_PNSt15iterator_traitsISL_E10value_typeET2_T3_PNSM_ISR_E10value_typeET4_jRbjT5_SX_jjP12ihipStream_tbEUlT_E1_NS1_11comp_targetILNS1_3genE9ELNS1_11target_archE1100ELNS1_3gpuE3ELNS1_3repE0EEENS1_59segmented_radix_sort_warp_sort_small_config_static_selectorELNS0_4arch9wavefront6targetE1EEEvSL_,comdat
.Lfunc_end2077:
	.size	_ZN7rocprim17ROCPRIM_400000_NS6detail17trampoline_kernelINS0_14default_configENS1_36segmented_radix_sort_config_selectorI12hip_bfloat16lEEZNS1_25segmented_radix_sort_implIS3_Lb0EPKS5_PS5_PKlPlN2at6native12_GLOBAL__N_18offset_tEEE10hipError_tPvRmT1_PNSt15iterator_traitsISL_E10value_typeET2_T3_PNSM_ISR_E10value_typeET4_jRbjT5_SX_jjP12ihipStream_tbEUlT_E1_NS1_11comp_targetILNS1_3genE9ELNS1_11target_archE1100ELNS1_3gpuE3ELNS1_3repE0EEENS1_59segmented_radix_sort_warp_sort_small_config_static_selectorELNS0_4arch9wavefront6targetE1EEEvSL_, .Lfunc_end2077-_ZN7rocprim17ROCPRIM_400000_NS6detail17trampoline_kernelINS0_14default_configENS1_36segmented_radix_sort_config_selectorI12hip_bfloat16lEEZNS1_25segmented_radix_sort_implIS3_Lb0EPKS5_PS5_PKlPlN2at6native12_GLOBAL__N_18offset_tEEE10hipError_tPvRmT1_PNSt15iterator_traitsISL_E10value_typeET2_T3_PNSM_ISR_E10value_typeET4_jRbjT5_SX_jjP12ihipStream_tbEUlT_E1_NS1_11comp_targetILNS1_3genE9ELNS1_11target_archE1100ELNS1_3gpuE3ELNS1_3repE0EEENS1_59segmented_radix_sort_warp_sort_small_config_static_selectorELNS0_4arch9wavefront6targetE1EEEvSL_
                                        ; -- End function
	.set _ZN7rocprim17ROCPRIM_400000_NS6detail17trampoline_kernelINS0_14default_configENS1_36segmented_radix_sort_config_selectorI12hip_bfloat16lEEZNS1_25segmented_radix_sort_implIS3_Lb0EPKS5_PS5_PKlPlN2at6native12_GLOBAL__N_18offset_tEEE10hipError_tPvRmT1_PNSt15iterator_traitsISL_E10value_typeET2_T3_PNSM_ISR_E10value_typeET4_jRbjT5_SX_jjP12ihipStream_tbEUlT_E1_NS1_11comp_targetILNS1_3genE9ELNS1_11target_archE1100ELNS1_3gpuE3ELNS1_3repE0EEENS1_59segmented_radix_sort_warp_sort_small_config_static_selectorELNS0_4arch9wavefront6targetE1EEEvSL_.num_vgpr, 0
	.set _ZN7rocprim17ROCPRIM_400000_NS6detail17trampoline_kernelINS0_14default_configENS1_36segmented_radix_sort_config_selectorI12hip_bfloat16lEEZNS1_25segmented_radix_sort_implIS3_Lb0EPKS5_PS5_PKlPlN2at6native12_GLOBAL__N_18offset_tEEE10hipError_tPvRmT1_PNSt15iterator_traitsISL_E10value_typeET2_T3_PNSM_ISR_E10value_typeET4_jRbjT5_SX_jjP12ihipStream_tbEUlT_E1_NS1_11comp_targetILNS1_3genE9ELNS1_11target_archE1100ELNS1_3gpuE3ELNS1_3repE0EEENS1_59segmented_radix_sort_warp_sort_small_config_static_selectorELNS0_4arch9wavefront6targetE1EEEvSL_.num_agpr, 0
	.set _ZN7rocprim17ROCPRIM_400000_NS6detail17trampoline_kernelINS0_14default_configENS1_36segmented_radix_sort_config_selectorI12hip_bfloat16lEEZNS1_25segmented_radix_sort_implIS3_Lb0EPKS5_PS5_PKlPlN2at6native12_GLOBAL__N_18offset_tEEE10hipError_tPvRmT1_PNSt15iterator_traitsISL_E10value_typeET2_T3_PNSM_ISR_E10value_typeET4_jRbjT5_SX_jjP12ihipStream_tbEUlT_E1_NS1_11comp_targetILNS1_3genE9ELNS1_11target_archE1100ELNS1_3gpuE3ELNS1_3repE0EEENS1_59segmented_radix_sort_warp_sort_small_config_static_selectorELNS0_4arch9wavefront6targetE1EEEvSL_.numbered_sgpr, 0
	.set _ZN7rocprim17ROCPRIM_400000_NS6detail17trampoline_kernelINS0_14default_configENS1_36segmented_radix_sort_config_selectorI12hip_bfloat16lEEZNS1_25segmented_radix_sort_implIS3_Lb0EPKS5_PS5_PKlPlN2at6native12_GLOBAL__N_18offset_tEEE10hipError_tPvRmT1_PNSt15iterator_traitsISL_E10value_typeET2_T3_PNSM_ISR_E10value_typeET4_jRbjT5_SX_jjP12ihipStream_tbEUlT_E1_NS1_11comp_targetILNS1_3genE9ELNS1_11target_archE1100ELNS1_3gpuE3ELNS1_3repE0EEENS1_59segmented_radix_sort_warp_sort_small_config_static_selectorELNS0_4arch9wavefront6targetE1EEEvSL_.num_named_barrier, 0
	.set _ZN7rocprim17ROCPRIM_400000_NS6detail17trampoline_kernelINS0_14default_configENS1_36segmented_radix_sort_config_selectorI12hip_bfloat16lEEZNS1_25segmented_radix_sort_implIS3_Lb0EPKS5_PS5_PKlPlN2at6native12_GLOBAL__N_18offset_tEEE10hipError_tPvRmT1_PNSt15iterator_traitsISL_E10value_typeET2_T3_PNSM_ISR_E10value_typeET4_jRbjT5_SX_jjP12ihipStream_tbEUlT_E1_NS1_11comp_targetILNS1_3genE9ELNS1_11target_archE1100ELNS1_3gpuE3ELNS1_3repE0EEENS1_59segmented_radix_sort_warp_sort_small_config_static_selectorELNS0_4arch9wavefront6targetE1EEEvSL_.private_seg_size, 0
	.set _ZN7rocprim17ROCPRIM_400000_NS6detail17trampoline_kernelINS0_14default_configENS1_36segmented_radix_sort_config_selectorI12hip_bfloat16lEEZNS1_25segmented_radix_sort_implIS3_Lb0EPKS5_PS5_PKlPlN2at6native12_GLOBAL__N_18offset_tEEE10hipError_tPvRmT1_PNSt15iterator_traitsISL_E10value_typeET2_T3_PNSM_ISR_E10value_typeET4_jRbjT5_SX_jjP12ihipStream_tbEUlT_E1_NS1_11comp_targetILNS1_3genE9ELNS1_11target_archE1100ELNS1_3gpuE3ELNS1_3repE0EEENS1_59segmented_radix_sort_warp_sort_small_config_static_selectorELNS0_4arch9wavefront6targetE1EEEvSL_.uses_vcc, 0
	.set _ZN7rocprim17ROCPRIM_400000_NS6detail17trampoline_kernelINS0_14default_configENS1_36segmented_radix_sort_config_selectorI12hip_bfloat16lEEZNS1_25segmented_radix_sort_implIS3_Lb0EPKS5_PS5_PKlPlN2at6native12_GLOBAL__N_18offset_tEEE10hipError_tPvRmT1_PNSt15iterator_traitsISL_E10value_typeET2_T3_PNSM_ISR_E10value_typeET4_jRbjT5_SX_jjP12ihipStream_tbEUlT_E1_NS1_11comp_targetILNS1_3genE9ELNS1_11target_archE1100ELNS1_3gpuE3ELNS1_3repE0EEENS1_59segmented_radix_sort_warp_sort_small_config_static_selectorELNS0_4arch9wavefront6targetE1EEEvSL_.uses_flat_scratch, 0
	.set _ZN7rocprim17ROCPRIM_400000_NS6detail17trampoline_kernelINS0_14default_configENS1_36segmented_radix_sort_config_selectorI12hip_bfloat16lEEZNS1_25segmented_radix_sort_implIS3_Lb0EPKS5_PS5_PKlPlN2at6native12_GLOBAL__N_18offset_tEEE10hipError_tPvRmT1_PNSt15iterator_traitsISL_E10value_typeET2_T3_PNSM_ISR_E10value_typeET4_jRbjT5_SX_jjP12ihipStream_tbEUlT_E1_NS1_11comp_targetILNS1_3genE9ELNS1_11target_archE1100ELNS1_3gpuE3ELNS1_3repE0EEENS1_59segmented_radix_sort_warp_sort_small_config_static_selectorELNS0_4arch9wavefront6targetE1EEEvSL_.has_dyn_sized_stack, 0
	.set _ZN7rocprim17ROCPRIM_400000_NS6detail17trampoline_kernelINS0_14default_configENS1_36segmented_radix_sort_config_selectorI12hip_bfloat16lEEZNS1_25segmented_radix_sort_implIS3_Lb0EPKS5_PS5_PKlPlN2at6native12_GLOBAL__N_18offset_tEEE10hipError_tPvRmT1_PNSt15iterator_traitsISL_E10value_typeET2_T3_PNSM_ISR_E10value_typeET4_jRbjT5_SX_jjP12ihipStream_tbEUlT_E1_NS1_11comp_targetILNS1_3genE9ELNS1_11target_archE1100ELNS1_3gpuE3ELNS1_3repE0EEENS1_59segmented_radix_sort_warp_sort_small_config_static_selectorELNS0_4arch9wavefront6targetE1EEEvSL_.has_recursion, 0
	.set _ZN7rocprim17ROCPRIM_400000_NS6detail17trampoline_kernelINS0_14default_configENS1_36segmented_radix_sort_config_selectorI12hip_bfloat16lEEZNS1_25segmented_radix_sort_implIS3_Lb0EPKS5_PS5_PKlPlN2at6native12_GLOBAL__N_18offset_tEEE10hipError_tPvRmT1_PNSt15iterator_traitsISL_E10value_typeET2_T3_PNSM_ISR_E10value_typeET4_jRbjT5_SX_jjP12ihipStream_tbEUlT_E1_NS1_11comp_targetILNS1_3genE9ELNS1_11target_archE1100ELNS1_3gpuE3ELNS1_3repE0EEENS1_59segmented_radix_sort_warp_sort_small_config_static_selectorELNS0_4arch9wavefront6targetE1EEEvSL_.has_indirect_call, 0
	.section	.AMDGPU.csdata,"",@progbits
; Kernel info:
; codeLenInByte = 0
; TotalNumSgprs: 4
; NumVgprs: 0
; ScratchSize: 0
; MemoryBound: 0
; FloatMode: 240
; IeeeMode: 1
; LDSByteSize: 0 bytes/workgroup (compile time only)
; SGPRBlocks: 0
; VGPRBlocks: 0
; NumSGPRsForWavesPerEU: 4
; NumVGPRsForWavesPerEU: 1
; Occupancy: 10
; WaveLimiterHint : 0
; COMPUTE_PGM_RSRC2:SCRATCH_EN: 0
; COMPUTE_PGM_RSRC2:USER_SGPR: 6
; COMPUTE_PGM_RSRC2:TRAP_HANDLER: 0
; COMPUTE_PGM_RSRC2:TGID_X_EN: 1
; COMPUTE_PGM_RSRC2:TGID_Y_EN: 0
; COMPUTE_PGM_RSRC2:TGID_Z_EN: 0
; COMPUTE_PGM_RSRC2:TIDIG_COMP_CNT: 0
	.section	.text._ZN7rocprim17ROCPRIM_400000_NS6detail17trampoline_kernelINS0_14default_configENS1_36segmented_radix_sort_config_selectorI12hip_bfloat16lEEZNS1_25segmented_radix_sort_implIS3_Lb0EPKS5_PS5_PKlPlN2at6native12_GLOBAL__N_18offset_tEEE10hipError_tPvRmT1_PNSt15iterator_traitsISL_E10value_typeET2_T3_PNSM_ISR_E10value_typeET4_jRbjT5_SX_jjP12ihipStream_tbEUlT_E1_NS1_11comp_targetILNS1_3genE8ELNS1_11target_archE1030ELNS1_3gpuE2ELNS1_3repE0EEENS1_59segmented_radix_sort_warp_sort_small_config_static_selectorELNS0_4arch9wavefront6targetE1EEEvSL_,"axG",@progbits,_ZN7rocprim17ROCPRIM_400000_NS6detail17trampoline_kernelINS0_14default_configENS1_36segmented_radix_sort_config_selectorI12hip_bfloat16lEEZNS1_25segmented_radix_sort_implIS3_Lb0EPKS5_PS5_PKlPlN2at6native12_GLOBAL__N_18offset_tEEE10hipError_tPvRmT1_PNSt15iterator_traitsISL_E10value_typeET2_T3_PNSM_ISR_E10value_typeET4_jRbjT5_SX_jjP12ihipStream_tbEUlT_E1_NS1_11comp_targetILNS1_3genE8ELNS1_11target_archE1030ELNS1_3gpuE2ELNS1_3repE0EEENS1_59segmented_radix_sort_warp_sort_small_config_static_selectorELNS0_4arch9wavefront6targetE1EEEvSL_,comdat
	.globl	_ZN7rocprim17ROCPRIM_400000_NS6detail17trampoline_kernelINS0_14default_configENS1_36segmented_radix_sort_config_selectorI12hip_bfloat16lEEZNS1_25segmented_radix_sort_implIS3_Lb0EPKS5_PS5_PKlPlN2at6native12_GLOBAL__N_18offset_tEEE10hipError_tPvRmT1_PNSt15iterator_traitsISL_E10value_typeET2_T3_PNSM_ISR_E10value_typeET4_jRbjT5_SX_jjP12ihipStream_tbEUlT_E1_NS1_11comp_targetILNS1_3genE8ELNS1_11target_archE1030ELNS1_3gpuE2ELNS1_3repE0EEENS1_59segmented_radix_sort_warp_sort_small_config_static_selectorELNS0_4arch9wavefront6targetE1EEEvSL_ ; -- Begin function _ZN7rocprim17ROCPRIM_400000_NS6detail17trampoline_kernelINS0_14default_configENS1_36segmented_radix_sort_config_selectorI12hip_bfloat16lEEZNS1_25segmented_radix_sort_implIS3_Lb0EPKS5_PS5_PKlPlN2at6native12_GLOBAL__N_18offset_tEEE10hipError_tPvRmT1_PNSt15iterator_traitsISL_E10value_typeET2_T3_PNSM_ISR_E10value_typeET4_jRbjT5_SX_jjP12ihipStream_tbEUlT_E1_NS1_11comp_targetILNS1_3genE8ELNS1_11target_archE1030ELNS1_3gpuE2ELNS1_3repE0EEENS1_59segmented_radix_sort_warp_sort_small_config_static_selectorELNS0_4arch9wavefront6targetE1EEEvSL_
	.p2align	8
	.type	_ZN7rocprim17ROCPRIM_400000_NS6detail17trampoline_kernelINS0_14default_configENS1_36segmented_radix_sort_config_selectorI12hip_bfloat16lEEZNS1_25segmented_radix_sort_implIS3_Lb0EPKS5_PS5_PKlPlN2at6native12_GLOBAL__N_18offset_tEEE10hipError_tPvRmT1_PNSt15iterator_traitsISL_E10value_typeET2_T3_PNSM_ISR_E10value_typeET4_jRbjT5_SX_jjP12ihipStream_tbEUlT_E1_NS1_11comp_targetILNS1_3genE8ELNS1_11target_archE1030ELNS1_3gpuE2ELNS1_3repE0EEENS1_59segmented_radix_sort_warp_sort_small_config_static_selectorELNS0_4arch9wavefront6targetE1EEEvSL_,@function
_ZN7rocprim17ROCPRIM_400000_NS6detail17trampoline_kernelINS0_14default_configENS1_36segmented_radix_sort_config_selectorI12hip_bfloat16lEEZNS1_25segmented_radix_sort_implIS3_Lb0EPKS5_PS5_PKlPlN2at6native12_GLOBAL__N_18offset_tEEE10hipError_tPvRmT1_PNSt15iterator_traitsISL_E10value_typeET2_T3_PNSM_ISR_E10value_typeET4_jRbjT5_SX_jjP12ihipStream_tbEUlT_E1_NS1_11comp_targetILNS1_3genE8ELNS1_11target_archE1030ELNS1_3gpuE2ELNS1_3repE0EEENS1_59segmented_radix_sort_warp_sort_small_config_static_selectorELNS0_4arch9wavefront6targetE1EEEvSL_: ; @_ZN7rocprim17ROCPRIM_400000_NS6detail17trampoline_kernelINS0_14default_configENS1_36segmented_radix_sort_config_selectorI12hip_bfloat16lEEZNS1_25segmented_radix_sort_implIS3_Lb0EPKS5_PS5_PKlPlN2at6native12_GLOBAL__N_18offset_tEEE10hipError_tPvRmT1_PNSt15iterator_traitsISL_E10value_typeET2_T3_PNSM_ISR_E10value_typeET4_jRbjT5_SX_jjP12ihipStream_tbEUlT_E1_NS1_11comp_targetILNS1_3genE8ELNS1_11target_archE1030ELNS1_3gpuE2ELNS1_3repE0EEENS1_59segmented_radix_sort_warp_sort_small_config_static_selectorELNS0_4arch9wavefront6targetE1EEEvSL_
; %bb.0:
	.section	.rodata,"a",@progbits
	.p2align	6, 0x0
	.amdhsa_kernel _ZN7rocprim17ROCPRIM_400000_NS6detail17trampoline_kernelINS0_14default_configENS1_36segmented_radix_sort_config_selectorI12hip_bfloat16lEEZNS1_25segmented_radix_sort_implIS3_Lb0EPKS5_PS5_PKlPlN2at6native12_GLOBAL__N_18offset_tEEE10hipError_tPvRmT1_PNSt15iterator_traitsISL_E10value_typeET2_T3_PNSM_ISR_E10value_typeET4_jRbjT5_SX_jjP12ihipStream_tbEUlT_E1_NS1_11comp_targetILNS1_3genE8ELNS1_11target_archE1030ELNS1_3gpuE2ELNS1_3repE0EEENS1_59segmented_radix_sort_warp_sort_small_config_static_selectorELNS0_4arch9wavefront6targetE1EEEvSL_
		.amdhsa_group_segment_fixed_size 0
		.amdhsa_private_segment_fixed_size 0
		.amdhsa_kernarg_size 88
		.amdhsa_user_sgpr_count 6
		.amdhsa_user_sgpr_private_segment_buffer 1
		.amdhsa_user_sgpr_dispatch_ptr 0
		.amdhsa_user_sgpr_queue_ptr 0
		.amdhsa_user_sgpr_kernarg_segment_ptr 1
		.amdhsa_user_sgpr_dispatch_id 0
		.amdhsa_user_sgpr_flat_scratch_init 0
		.amdhsa_user_sgpr_private_segment_size 0
		.amdhsa_uses_dynamic_stack 0
		.amdhsa_system_sgpr_private_segment_wavefront_offset 0
		.amdhsa_system_sgpr_workgroup_id_x 1
		.amdhsa_system_sgpr_workgroup_id_y 0
		.amdhsa_system_sgpr_workgroup_id_z 0
		.amdhsa_system_sgpr_workgroup_info 0
		.amdhsa_system_vgpr_workitem_id 0
		.amdhsa_next_free_vgpr 1
		.amdhsa_next_free_sgpr 0
		.amdhsa_reserve_vcc 0
		.amdhsa_reserve_flat_scratch 0
		.amdhsa_float_round_mode_32 0
		.amdhsa_float_round_mode_16_64 0
		.amdhsa_float_denorm_mode_32 3
		.amdhsa_float_denorm_mode_16_64 3
		.amdhsa_dx10_clamp 1
		.amdhsa_ieee_mode 1
		.amdhsa_fp16_overflow 0
		.amdhsa_exception_fp_ieee_invalid_op 0
		.amdhsa_exception_fp_denorm_src 0
		.amdhsa_exception_fp_ieee_div_zero 0
		.amdhsa_exception_fp_ieee_overflow 0
		.amdhsa_exception_fp_ieee_underflow 0
		.amdhsa_exception_fp_ieee_inexact 0
		.amdhsa_exception_int_div_zero 0
	.end_amdhsa_kernel
	.section	.text._ZN7rocprim17ROCPRIM_400000_NS6detail17trampoline_kernelINS0_14default_configENS1_36segmented_radix_sort_config_selectorI12hip_bfloat16lEEZNS1_25segmented_radix_sort_implIS3_Lb0EPKS5_PS5_PKlPlN2at6native12_GLOBAL__N_18offset_tEEE10hipError_tPvRmT1_PNSt15iterator_traitsISL_E10value_typeET2_T3_PNSM_ISR_E10value_typeET4_jRbjT5_SX_jjP12ihipStream_tbEUlT_E1_NS1_11comp_targetILNS1_3genE8ELNS1_11target_archE1030ELNS1_3gpuE2ELNS1_3repE0EEENS1_59segmented_radix_sort_warp_sort_small_config_static_selectorELNS0_4arch9wavefront6targetE1EEEvSL_,"axG",@progbits,_ZN7rocprim17ROCPRIM_400000_NS6detail17trampoline_kernelINS0_14default_configENS1_36segmented_radix_sort_config_selectorI12hip_bfloat16lEEZNS1_25segmented_radix_sort_implIS3_Lb0EPKS5_PS5_PKlPlN2at6native12_GLOBAL__N_18offset_tEEE10hipError_tPvRmT1_PNSt15iterator_traitsISL_E10value_typeET2_T3_PNSM_ISR_E10value_typeET4_jRbjT5_SX_jjP12ihipStream_tbEUlT_E1_NS1_11comp_targetILNS1_3genE8ELNS1_11target_archE1030ELNS1_3gpuE2ELNS1_3repE0EEENS1_59segmented_radix_sort_warp_sort_small_config_static_selectorELNS0_4arch9wavefront6targetE1EEEvSL_,comdat
.Lfunc_end2078:
	.size	_ZN7rocprim17ROCPRIM_400000_NS6detail17trampoline_kernelINS0_14default_configENS1_36segmented_radix_sort_config_selectorI12hip_bfloat16lEEZNS1_25segmented_radix_sort_implIS3_Lb0EPKS5_PS5_PKlPlN2at6native12_GLOBAL__N_18offset_tEEE10hipError_tPvRmT1_PNSt15iterator_traitsISL_E10value_typeET2_T3_PNSM_ISR_E10value_typeET4_jRbjT5_SX_jjP12ihipStream_tbEUlT_E1_NS1_11comp_targetILNS1_3genE8ELNS1_11target_archE1030ELNS1_3gpuE2ELNS1_3repE0EEENS1_59segmented_radix_sort_warp_sort_small_config_static_selectorELNS0_4arch9wavefront6targetE1EEEvSL_, .Lfunc_end2078-_ZN7rocprim17ROCPRIM_400000_NS6detail17trampoline_kernelINS0_14default_configENS1_36segmented_radix_sort_config_selectorI12hip_bfloat16lEEZNS1_25segmented_radix_sort_implIS3_Lb0EPKS5_PS5_PKlPlN2at6native12_GLOBAL__N_18offset_tEEE10hipError_tPvRmT1_PNSt15iterator_traitsISL_E10value_typeET2_T3_PNSM_ISR_E10value_typeET4_jRbjT5_SX_jjP12ihipStream_tbEUlT_E1_NS1_11comp_targetILNS1_3genE8ELNS1_11target_archE1030ELNS1_3gpuE2ELNS1_3repE0EEENS1_59segmented_radix_sort_warp_sort_small_config_static_selectorELNS0_4arch9wavefront6targetE1EEEvSL_
                                        ; -- End function
	.set _ZN7rocprim17ROCPRIM_400000_NS6detail17trampoline_kernelINS0_14default_configENS1_36segmented_radix_sort_config_selectorI12hip_bfloat16lEEZNS1_25segmented_radix_sort_implIS3_Lb0EPKS5_PS5_PKlPlN2at6native12_GLOBAL__N_18offset_tEEE10hipError_tPvRmT1_PNSt15iterator_traitsISL_E10value_typeET2_T3_PNSM_ISR_E10value_typeET4_jRbjT5_SX_jjP12ihipStream_tbEUlT_E1_NS1_11comp_targetILNS1_3genE8ELNS1_11target_archE1030ELNS1_3gpuE2ELNS1_3repE0EEENS1_59segmented_radix_sort_warp_sort_small_config_static_selectorELNS0_4arch9wavefront6targetE1EEEvSL_.num_vgpr, 0
	.set _ZN7rocprim17ROCPRIM_400000_NS6detail17trampoline_kernelINS0_14default_configENS1_36segmented_radix_sort_config_selectorI12hip_bfloat16lEEZNS1_25segmented_radix_sort_implIS3_Lb0EPKS5_PS5_PKlPlN2at6native12_GLOBAL__N_18offset_tEEE10hipError_tPvRmT1_PNSt15iterator_traitsISL_E10value_typeET2_T3_PNSM_ISR_E10value_typeET4_jRbjT5_SX_jjP12ihipStream_tbEUlT_E1_NS1_11comp_targetILNS1_3genE8ELNS1_11target_archE1030ELNS1_3gpuE2ELNS1_3repE0EEENS1_59segmented_radix_sort_warp_sort_small_config_static_selectorELNS0_4arch9wavefront6targetE1EEEvSL_.num_agpr, 0
	.set _ZN7rocprim17ROCPRIM_400000_NS6detail17trampoline_kernelINS0_14default_configENS1_36segmented_radix_sort_config_selectorI12hip_bfloat16lEEZNS1_25segmented_radix_sort_implIS3_Lb0EPKS5_PS5_PKlPlN2at6native12_GLOBAL__N_18offset_tEEE10hipError_tPvRmT1_PNSt15iterator_traitsISL_E10value_typeET2_T3_PNSM_ISR_E10value_typeET4_jRbjT5_SX_jjP12ihipStream_tbEUlT_E1_NS1_11comp_targetILNS1_3genE8ELNS1_11target_archE1030ELNS1_3gpuE2ELNS1_3repE0EEENS1_59segmented_radix_sort_warp_sort_small_config_static_selectorELNS0_4arch9wavefront6targetE1EEEvSL_.numbered_sgpr, 0
	.set _ZN7rocprim17ROCPRIM_400000_NS6detail17trampoline_kernelINS0_14default_configENS1_36segmented_radix_sort_config_selectorI12hip_bfloat16lEEZNS1_25segmented_radix_sort_implIS3_Lb0EPKS5_PS5_PKlPlN2at6native12_GLOBAL__N_18offset_tEEE10hipError_tPvRmT1_PNSt15iterator_traitsISL_E10value_typeET2_T3_PNSM_ISR_E10value_typeET4_jRbjT5_SX_jjP12ihipStream_tbEUlT_E1_NS1_11comp_targetILNS1_3genE8ELNS1_11target_archE1030ELNS1_3gpuE2ELNS1_3repE0EEENS1_59segmented_radix_sort_warp_sort_small_config_static_selectorELNS0_4arch9wavefront6targetE1EEEvSL_.num_named_barrier, 0
	.set _ZN7rocprim17ROCPRIM_400000_NS6detail17trampoline_kernelINS0_14default_configENS1_36segmented_radix_sort_config_selectorI12hip_bfloat16lEEZNS1_25segmented_radix_sort_implIS3_Lb0EPKS5_PS5_PKlPlN2at6native12_GLOBAL__N_18offset_tEEE10hipError_tPvRmT1_PNSt15iterator_traitsISL_E10value_typeET2_T3_PNSM_ISR_E10value_typeET4_jRbjT5_SX_jjP12ihipStream_tbEUlT_E1_NS1_11comp_targetILNS1_3genE8ELNS1_11target_archE1030ELNS1_3gpuE2ELNS1_3repE0EEENS1_59segmented_radix_sort_warp_sort_small_config_static_selectorELNS0_4arch9wavefront6targetE1EEEvSL_.private_seg_size, 0
	.set _ZN7rocprim17ROCPRIM_400000_NS6detail17trampoline_kernelINS0_14default_configENS1_36segmented_radix_sort_config_selectorI12hip_bfloat16lEEZNS1_25segmented_radix_sort_implIS3_Lb0EPKS5_PS5_PKlPlN2at6native12_GLOBAL__N_18offset_tEEE10hipError_tPvRmT1_PNSt15iterator_traitsISL_E10value_typeET2_T3_PNSM_ISR_E10value_typeET4_jRbjT5_SX_jjP12ihipStream_tbEUlT_E1_NS1_11comp_targetILNS1_3genE8ELNS1_11target_archE1030ELNS1_3gpuE2ELNS1_3repE0EEENS1_59segmented_radix_sort_warp_sort_small_config_static_selectorELNS0_4arch9wavefront6targetE1EEEvSL_.uses_vcc, 0
	.set _ZN7rocprim17ROCPRIM_400000_NS6detail17trampoline_kernelINS0_14default_configENS1_36segmented_radix_sort_config_selectorI12hip_bfloat16lEEZNS1_25segmented_radix_sort_implIS3_Lb0EPKS5_PS5_PKlPlN2at6native12_GLOBAL__N_18offset_tEEE10hipError_tPvRmT1_PNSt15iterator_traitsISL_E10value_typeET2_T3_PNSM_ISR_E10value_typeET4_jRbjT5_SX_jjP12ihipStream_tbEUlT_E1_NS1_11comp_targetILNS1_3genE8ELNS1_11target_archE1030ELNS1_3gpuE2ELNS1_3repE0EEENS1_59segmented_radix_sort_warp_sort_small_config_static_selectorELNS0_4arch9wavefront6targetE1EEEvSL_.uses_flat_scratch, 0
	.set _ZN7rocprim17ROCPRIM_400000_NS6detail17trampoline_kernelINS0_14default_configENS1_36segmented_radix_sort_config_selectorI12hip_bfloat16lEEZNS1_25segmented_radix_sort_implIS3_Lb0EPKS5_PS5_PKlPlN2at6native12_GLOBAL__N_18offset_tEEE10hipError_tPvRmT1_PNSt15iterator_traitsISL_E10value_typeET2_T3_PNSM_ISR_E10value_typeET4_jRbjT5_SX_jjP12ihipStream_tbEUlT_E1_NS1_11comp_targetILNS1_3genE8ELNS1_11target_archE1030ELNS1_3gpuE2ELNS1_3repE0EEENS1_59segmented_radix_sort_warp_sort_small_config_static_selectorELNS0_4arch9wavefront6targetE1EEEvSL_.has_dyn_sized_stack, 0
	.set _ZN7rocprim17ROCPRIM_400000_NS6detail17trampoline_kernelINS0_14default_configENS1_36segmented_radix_sort_config_selectorI12hip_bfloat16lEEZNS1_25segmented_radix_sort_implIS3_Lb0EPKS5_PS5_PKlPlN2at6native12_GLOBAL__N_18offset_tEEE10hipError_tPvRmT1_PNSt15iterator_traitsISL_E10value_typeET2_T3_PNSM_ISR_E10value_typeET4_jRbjT5_SX_jjP12ihipStream_tbEUlT_E1_NS1_11comp_targetILNS1_3genE8ELNS1_11target_archE1030ELNS1_3gpuE2ELNS1_3repE0EEENS1_59segmented_radix_sort_warp_sort_small_config_static_selectorELNS0_4arch9wavefront6targetE1EEEvSL_.has_recursion, 0
	.set _ZN7rocprim17ROCPRIM_400000_NS6detail17trampoline_kernelINS0_14default_configENS1_36segmented_radix_sort_config_selectorI12hip_bfloat16lEEZNS1_25segmented_radix_sort_implIS3_Lb0EPKS5_PS5_PKlPlN2at6native12_GLOBAL__N_18offset_tEEE10hipError_tPvRmT1_PNSt15iterator_traitsISL_E10value_typeET2_T3_PNSM_ISR_E10value_typeET4_jRbjT5_SX_jjP12ihipStream_tbEUlT_E1_NS1_11comp_targetILNS1_3genE8ELNS1_11target_archE1030ELNS1_3gpuE2ELNS1_3repE0EEENS1_59segmented_radix_sort_warp_sort_small_config_static_selectorELNS0_4arch9wavefront6targetE1EEEvSL_.has_indirect_call, 0
	.section	.AMDGPU.csdata,"",@progbits
; Kernel info:
; codeLenInByte = 0
; TotalNumSgprs: 4
; NumVgprs: 0
; ScratchSize: 0
; MemoryBound: 0
; FloatMode: 240
; IeeeMode: 1
; LDSByteSize: 0 bytes/workgroup (compile time only)
; SGPRBlocks: 0
; VGPRBlocks: 0
; NumSGPRsForWavesPerEU: 4
; NumVGPRsForWavesPerEU: 1
; Occupancy: 10
; WaveLimiterHint : 0
; COMPUTE_PGM_RSRC2:SCRATCH_EN: 0
; COMPUTE_PGM_RSRC2:USER_SGPR: 6
; COMPUTE_PGM_RSRC2:TRAP_HANDLER: 0
; COMPUTE_PGM_RSRC2:TGID_X_EN: 1
; COMPUTE_PGM_RSRC2:TGID_Y_EN: 0
; COMPUTE_PGM_RSRC2:TGID_Z_EN: 0
; COMPUTE_PGM_RSRC2:TIDIG_COMP_CNT: 0
	.section	.text._ZN7rocprim17ROCPRIM_400000_NS6detail17trampoline_kernelINS0_14default_configENS1_36segmented_radix_sort_config_selectorI12hip_bfloat16lEEZNS1_25segmented_radix_sort_implIS3_Lb0EPKS5_PS5_PKlPlN2at6native12_GLOBAL__N_18offset_tEEE10hipError_tPvRmT1_PNSt15iterator_traitsISL_E10value_typeET2_T3_PNSM_ISR_E10value_typeET4_jRbjT5_SX_jjP12ihipStream_tbEUlT_E2_NS1_11comp_targetILNS1_3genE0ELNS1_11target_archE4294967295ELNS1_3gpuE0ELNS1_3repE0EEENS1_30default_config_static_selectorELNS0_4arch9wavefront6targetE1EEEvSL_,"axG",@progbits,_ZN7rocprim17ROCPRIM_400000_NS6detail17trampoline_kernelINS0_14default_configENS1_36segmented_radix_sort_config_selectorI12hip_bfloat16lEEZNS1_25segmented_radix_sort_implIS3_Lb0EPKS5_PS5_PKlPlN2at6native12_GLOBAL__N_18offset_tEEE10hipError_tPvRmT1_PNSt15iterator_traitsISL_E10value_typeET2_T3_PNSM_ISR_E10value_typeET4_jRbjT5_SX_jjP12ihipStream_tbEUlT_E2_NS1_11comp_targetILNS1_3genE0ELNS1_11target_archE4294967295ELNS1_3gpuE0ELNS1_3repE0EEENS1_30default_config_static_selectorELNS0_4arch9wavefront6targetE1EEEvSL_,comdat
	.globl	_ZN7rocprim17ROCPRIM_400000_NS6detail17trampoline_kernelINS0_14default_configENS1_36segmented_radix_sort_config_selectorI12hip_bfloat16lEEZNS1_25segmented_radix_sort_implIS3_Lb0EPKS5_PS5_PKlPlN2at6native12_GLOBAL__N_18offset_tEEE10hipError_tPvRmT1_PNSt15iterator_traitsISL_E10value_typeET2_T3_PNSM_ISR_E10value_typeET4_jRbjT5_SX_jjP12ihipStream_tbEUlT_E2_NS1_11comp_targetILNS1_3genE0ELNS1_11target_archE4294967295ELNS1_3gpuE0ELNS1_3repE0EEENS1_30default_config_static_selectorELNS0_4arch9wavefront6targetE1EEEvSL_ ; -- Begin function _ZN7rocprim17ROCPRIM_400000_NS6detail17trampoline_kernelINS0_14default_configENS1_36segmented_radix_sort_config_selectorI12hip_bfloat16lEEZNS1_25segmented_radix_sort_implIS3_Lb0EPKS5_PS5_PKlPlN2at6native12_GLOBAL__N_18offset_tEEE10hipError_tPvRmT1_PNSt15iterator_traitsISL_E10value_typeET2_T3_PNSM_ISR_E10value_typeET4_jRbjT5_SX_jjP12ihipStream_tbEUlT_E2_NS1_11comp_targetILNS1_3genE0ELNS1_11target_archE4294967295ELNS1_3gpuE0ELNS1_3repE0EEENS1_30default_config_static_selectorELNS0_4arch9wavefront6targetE1EEEvSL_
	.p2align	8
	.type	_ZN7rocprim17ROCPRIM_400000_NS6detail17trampoline_kernelINS0_14default_configENS1_36segmented_radix_sort_config_selectorI12hip_bfloat16lEEZNS1_25segmented_radix_sort_implIS3_Lb0EPKS5_PS5_PKlPlN2at6native12_GLOBAL__N_18offset_tEEE10hipError_tPvRmT1_PNSt15iterator_traitsISL_E10value_typeET2_T3_PNSM_ISR_E10value_typeET4_jRbjT5_SX_jjP12ihipStream_tbEUlT_E2_NS1_11comp_targetILNS1_3genE0ELNS1_11target_archE4294967295ELNS1_3gpuE0ELNS1_3repE0EEENS1_30default_config_static_selectorELNS0_4arch9wavefront6targetE1EEEvSL_,@function
_ZN7rocprim17ROCPRIM_400000_NS6detail17trampoline_kernelINS0_14default_configENS1_36segmented_radix_sort_config_selectorI12hip_bfloat16lEEZNS1_25segmented_radix_sort_implIS3_Lb0EPKS5_PS5_PKlPlN2at6native12_GLOBAL__N_18offset_tEEE10hipError_tPvRmT1_PNSt15iterator_traitsISL_E10value_typeET2_T3_PNSM_ISR_E10value_typeET4_jRbjT5_SX_jjP12ihipStream_tbEUlT_E2_NS1_11comp_targetILNS1_3genE0ELNS1_11target_archE4294967295ELNS1_3gpuE0ELNS1_3repE0EEENS1_30default_config_static_selectorELNS0_4arch9wavefront6targetE1EEEvSL_: ; @_ZN7rocprim17ROCPRIM_400000_NS6detail17trampoline_kernelINS0_14default_configENS1_36segmented_radix_sort_config_selectorI12hip_bfloat16lEEZNS1_25segmented_radix_sort_implIS3_Lb0EPKS5_PS5_PKlPlN2at6native12_GLOBAL__N_18offset_tEEE10hipError_tPvRmT1_PNSt15iterator_traitsISL_E10value_typeET2_T3_PNSM_ISR_E10value_typeET4_jRbjT5_SX_jjP12ihipStream_tbEUlT_E2_NS1_11comp_targetILNS1_3genE0ELNS1_11target_archE4294967295ELNS1_3gpuE0ELNS1_3repE0EEENS1_30default_config_static_selectorELNS0_4arch9wavefront6targetE1EEEvSL_
; %bb.0:
	.section	.rodata,"a",@progbits
	.p2align	6, 0x0
	.amdhsa_kernel _ZN7rocprim17ROCPRIM_400000_NS6detail17trampoline_kernelINS0_14default_configENS1_36segmented_radix_sort_config_selectorI12hip_bfloat16lEEZNS1_25segmented_radix_sort_implIS3_Lb0EPKS5_PS5_PKlPlN2at6native12_GLOBAL__N_18offset_tEEE10hipError_tPvRmT1_PNSt15iterator_traitsISL_E10value_typeET2_T3_PNSM_ISR_E10value_typeET4_jRbjT5_SX_jjP12ihipStream_tbEUlT_E2_NS1_11comp_targetILNS1_3genE0ELNS1_11target_archE4294967295ELNS1_3gpuE0ELNS1_3repE0EEENS1_30default_config_static_selectorELNS0_4arch9wavefront6targetE1EEEvSL_
		.amdhsa_group_segment_fixed_size 0
		.amdhsa_private_segment_fixed_size 0
		.amdhsa_kernarg_size 80
		.amdhsa_user_sgpr_count 6
		.amdhsa_user_sgpr_private_segment_buffer 1
		.amdhsa_user_sgpr_dispatch_ptr 0
		.amdhsa_user_sgpr_queue_ptr 0
		.amdhsa_user_sgpr_kernarg_segment_ptr 1
		.amdhsa_user_sgpr_dispatch_id 0
		.amdhsa_user_sgpr_flat_scratch_init 0
		.amdhsa_user_sgpr_private_segment_size 0
		.amdhsa_uses_dynamic_stack 0
		.amdhsa_system_sgpr_private_segment_wavefront_offset 0
		.amdhsa_system_sgpr_workgroup_id_x 1
		.amdhsa_system_sgpr_workgroup_id_y 0
		.amdhsa_system_sgpr_workgroup_id_z 0
		.amdhsa_system_sgpr_workgroup_info 0
		.amdhsa_system_vgpr_workitem_id 0
		.amdhsa_next_free_vgpr 1
		.amdhsa_next_free_sgpr 0
		.amdhsa_reserve_vcc 0
		.amdhsa_reserve_flat_scratch 0
		.amdhsa_float_round_mode_32 0
		.amdhsa_float_round_mode_16_64 0
		.amdhsa_float_denorm_mode_32 3
		.amdhsa_float_denorm_mode_16_64 3
		.amdhsa_dx10_clamp 1
		.amdhsa_ieee_mode 1
		.amdhsa_fp16_overflow 0
		.amdhsa_exception_fp_ieee_invalid_op 0
		.amdhsa_exception_fp_denorm_src 0
		.amdhsa_exception_fp_ieee_div_zero 0
		.amdhsa_exception_fp_ieee_overflow 0
		.amdhsa_exception_fp_ieee_underflow 0
		.amdhsa_exception_fp_ieee_inexact 0
		.amdhsa_exception_int_div_zero 0
	.end_amdhsa_kernel
	.section	.text._ZN7rocprim17ROCPRIM_400000_NS6detail17trampoline_kernelINS0_14default_configENS1_36segmented_radix_sort_config_selectorI12hip_bfloat16lEEZNS1_25segmented_radix_sort_implIS3_Lb0EPKS5_PS5_PKlPlN2at6native12_GLOBAL__N_18offset_tEEE10hipError_tPvRmT1_PNSt15iterator_traitsISL_E10value_typeET2_T3_PNSM_ISR_E10value_typeET4_jRbjT5_SX_jjP12ihipStream_tbEUlT_E2_NS1_11comp_targetILNS1_3genE0ELNS1_11target_archE4294967295ELNS1_3gpuE0ELNS1_3repE0EEENS1_30default_config_static_selectorELNS0_4arch9wavefront6targetE1EEEvSL_,"axG",@progbits,_ZN7rocprim17ROCPRIM_400000_NS6detail17trampoline_kernelINS0_14default_configENS1_36segmented_radix_sort_config_selectorI12hip_bfloat16lEEZNS1_25segmented_radix_sort_implIS3_Lb0EPKS5_PS5_PKlPlN2at6native12_GLOBAL__N_18offset_tEEE10hipError_tPvRmT1_PNSt15iterator_traitsISL_E10value_typeET2_T3_PNSM_ISR_E10value_typeET4_jRbjT5_SX_jjP12ihipStream_tbEUlT_E2_NS1_11comp_targetILNS1_3genE0ELNS1_11target_archE4294967295ELNS1_3gpuE0ELNS1_3repE0EEENS1_30default_config_static_selectorELNS0_4arch9wavefront6targetE1EEEvSL_,comdat
.Lfunc_end2079:
	.size	_ZN7rocprim17ROCPRIM_400000_NS6detail17trampoline_kernelINS0_14default_configENS1_36segmented_radix_sort_config_selectorI12hip_bfloat16lEEZNS1_25segmented_radix_sort_implIS3_Lb0EPKS5_PS5_PKlPlN2at6native12_GLOBAL__N_18offset_tEEE10hipError_tPvRmT1_PNSt15iterator_traitsISL_E10value_typeET2_T3_PNSM_ISR_E10value_typeET4_jRbjT5_SX_jjP12ihipStream_tbEUlT_E2_NS1_11comp_targetILNS1_3genE0ELNS1_11target_archE4294967295ELNS1_3gpuE0ELNS1_3repE0EEENS1_30default_config_static_selectorELNS0_4arch9wavefront6targetE1EEEvSL_, .Lfunc_end2079-_ZN7rocprim17ROCPRIM_400000_NS6detail17trampoline_kernelINS0_14default_configENS1_36segmented_radix_sort_config_selectorI12hip_bfloat16lEEZNS1_25segmented_radix_sort_implIS3_Lb0EPKS5_PS5_PKlPlN2at6native12_GLOBAL__N_18offset_tEEE10hipError_tPvRmT1_PNSt15iterator_traitsISL_E10value_typeET2_T3_PNSM_ISR_E10value_typeET4_jRbjT5_SX_jjP12ihipStream_tbEUlT_E2_NS1_11comp_targetILNS1_3genE0ELNS1_11target_archE4294967295ELNS1_3gpuE0ELNS1_3repE0EEENS1_30default_config_static_selectorELNS0_4arch9wavefront6targetE1EEEvSL_
                                        ; -- End function
	.set _ZN7rocprim17ROCPRIM_400000_NS6detail17trampoline_kernelINS0_14default_configENS1_36segmented_radix_sort_config_selectorI12hip_bfloat16lEEZNS1_25segmented_radix_sort_implIS3_Lb0EPKS5_PS5_PKlPlN2at6native12_GLOBAL__N_18offset_tEEE10hipError_tPvRmT1_PNSt15iterator_traitsISL_E10value_typeET2_T3_PNSM_ISR_E10value_typeET4_jRbjT5_SX_jjP12ihipStream_tbEUlT_E2_NS1_11comp_targetILNS1_3genE0ELNS1_11target_archE4294967295ELNS1_3gpuE0ELNS1_3repE0EEENS1_30default_config_static_selectorELNS0_4arch9wavefront6targetE1EEEvSL_.num_vgpr, 0
	.set _ZN7rocprim17ROCPRIM_400000_NS6detail17trampoline_kernelINS0_14default_configENS1_36segmented_radix_sort_config_selectorI12hip_bfloat16lEEZNS1_25segmented_radix_sort_implIS3_Lb0EPKS5_PS5_PKlPlN2at6native12_GLOBAL__N_18offset_tEEE10hipError_tPvRmT1_PNSt15iterator_traitsISL_E10value_typeET2_T3_PNSM_ISR_E10value_typeET4_jRbjT5_SX_jjP12ihipStream_tbEUlT_E2_NS1_11comp_targetILNS1_3genE0ELNS1_11target_archE4294967295ELNS1_3gpuE0ELNS1_3repE0EEENS1_30default_config_static_selectorELNS0_4arch9wavefront6targetE1EEEvSL_.num_agpr, 0
	.set _ZN7rocprim17ROCPRIM_400000_NS6detail17trampoline_kernelINS0_14default_configENS1_36segmented_radix_sort_config_selectorI12hip_bfloat16lEEZNS1_25segmented_radix_sort_implIS3_Lb0EPKS5_PS5_PKlPlN2at6native12_GLOBAL__N_18offset_tEEE10hipError_tPvRmT1_PNSt15iterator_traitsISL_E10value_typeET2_T3_PNSM_ISR_E10value_typeET4_jRbjT5_SX_jjP12ihipStream_tbEUlT_E2_NS1_11comp_targetILNS1_3genE0ELNS1_11target_archE4294967295ELNS1_3gpuE0ELNS1_3repE0EEENS1_30default_config_static_selectorELNS0_4arch9wavefront6targetE1EEEvSL_.numbered_sgpr, 0
	.set _ZN7rocprim17ROCPRIM_400000_NS6detail17trampoline_kernelINS0_14default_configENS1_36segmented_radix_sort_config_selectorI12hip_bfloat16lEEZNS1_25segmented_radix_sort_implIS3_Lb0EPKS5_PS5_PKlPlN2at6native12_GLOBAL__N_18offset_tEEE10hipError_tPvRmT1_PNSt15iterator_traitsISL_E10value_typeET2_T3_PNSM_ISR_E10value_typeET4_jRbjT5_SX_jjP12ihipStream_tbEUlT_E2_NS1_11comp_targetILNS1_3genE0ELNS1_11target_archE4294967295ELNS1_3gpuE0ELNS1_3repE0EEENS1_30default_config_static_selectorELNS0_4arch9wavefront6targetE1EEEvSL_.num_named_barrier, 0
	.set _ZN7rocprim17ROCPRIM_400000_NS6detail17trampoline_kernelINS0_14default_configENS1_36segmented_radix_sort_config_selectorI12hip_bfloat16lEEZNS1_25segmented_radix_sort_implIS3_Lb0EPKS5_PS5_PKlPlN2at6native12_GLOBAL__N_18offset_tEEE10hipError_tPvRmT1_PNSt15iterator_traitsISL_E10value_typeET2_T3_PNSM_ISR_E10value_typeET4_jRbjT5_SX_jjP12ihipStream_tbEUlT_E2_NS1_11comp_targetILNS1_3genE0ELNS1_11target_archE4294967295ELNS1_3gpuE0ELNS1_3repE0EEENS1_30default_config_static_selectorELNS0_4arch9wavefront6targetE1EEEvSL_.private_seg_size, 0
	.set _ZN7rocprim17ROCPRIM_400000_NS6detail17trampoline_kernelINS0_14default_configENS1_36segmented_radix_sort_config_selectorI12hip_bfloat16lEEZNS1_25segmented_radix_sort_implIS3_Lb0EPKS5_PS5_PKlPlN2at6native12_GLOBAL__N_18offset_tEEE10hipError_tPvRmT1_PNSt15iterator_traitsISL_E10value_typeET2_T3_PNSM_ISR_E10value_typeET4_jRbjT5_SX_jjP12ihipStream_tbEUlT_E2_NS1_11comp_targetILNS1_3genE0ELNS1_11target_archE4294967295ELNS1_3gpuE0ELNS1_3repE0EEENS1_30default_config_static_selectorELNS0_4arch9wavefront6targetE1EEEvSL_.uses_vcc, 0
	.set _ZN7rocprim17ROCPRIM_400000_NS6detail17trampoline_kernelINS0_14default_configENS1_36segmented_radix_sort_config_selectorI12hip_bfloat16lEEZNS1_25segmented_radix_sort_implIS3_Lb0EPKS5_PS5_PKlPlN2at6native12_GLOBAL__N_18offset_tEEE10hipError_tPvRmT1_PNSt15iterator_traitsISL_E10value_typeET2_T3_PNSM_ISR_E10value_typeET4_jRbjT5_SX_jjP12ihipStream_tbEUlT_E2_NS1_11comp_targetILNS1_3genE0ELNS1_11target_archE4294967295ELNS1_3gpuE0ELNS1_3repE0EEENS1_30default_config_static_selectorELNS0_4arch9wavefront6targetE1EEEvSL_.uses_flat_scratch, 0
	.set _ZN7rocprim17ROCPRIM_400000_NS6detail17trampoline_kernelINS0_14default_configENS1_36segmented_radix_sort_config_selectorI12hip_bfloat16lEEZNS1_25segmented_radix_sort_implIS3_Lb0EPKS5_PS5_PKlPlN2at6native12_GLOBAL__N_18offset_tEEE10hipError_tPvRmT1_PNSt15iterator_traitsISL_E10value_typeET2_T3_PNSM_ISR_E10value_typeET4_jRbjT5_SX_jjP12ihipStream_tbEUlT_E2_NS1_11comp_targetILNS1_3genE0ELNS1_11target_archE4294967295ELNS1_3gpuE0ELNS1_3repE0EEENS1_30default_config_static_selectorELNS0_4arch9wavefront6targetE1EEEvSL_.has_dyn_sized_stack, 0
	.set _ZN7rocprim17ROCPRIM_400000_NS6detail17trampoline_kernelINS0_14default_configENS1_36segmented_radix_sort_config_selectorI12hip_bfloat16lEEZNS1_25segmented_radix_sort_implIS3_Lb0EPKS5_PS5_PKlPlN2at6native12_GLOBAL__N_18offset_tEEE10hipError_tPvRmT1_PNSt15iterator_traitsISL_E10value_typeET2_T3_PNSM_ISR_E10value_typeET4_jRbjT5_SX_jjP12ihipStream_tbEUlT_E2_NS1_11comp_targetILNS1_3genE0ELNS1_11target_archE4294967295ELNS1_3gpuE0ELNS1_3repE0EEENS1_30default_config_static_selectorELNS0_4arch9wavefront6targetE1EEEvSL_.has_recursion, 0
	.set _ZN7rocprim17ROCPRIM_400000_NS6detail17trampoline_kernelINS0_14default_configENS1_36segmented_radix_sort_config_selectorI12hip_bfloat16lEEZNS1_25segmented_radix_sort_implIS3_Lb0EPKS5_PS5_PKlPlN2at6native12_GLOBAL__N_18offset_tEEE10hipError_tPvRmT1_PNSt15iterator_traitsISL_E10value_typeET2_T3_PNSM_ISR_E10value_typeET4_jRbjT5_SX_jjP12ihipStream_tbEUlT_E2_NS1_11comp_targetILNS1_3genE0ELNS1_11target_archE4294967295ELNS1_3gpuE0ELNS1_3repE0EEENS1_30default_config_static_selectorELNS0_4arch9wavefront6targetE1EEEvSL_.has_indirect_call, 0
	.section	.AMDGPU.csdata,"",@progbits
; Kernel info:
; codeLenInByte = 0
; TotalNumSgprs: 4
; NumVgprs: 0
; ScratchSize: 0
; MemoryBound: 0
; FloatMode: 240
; IeeeMode: 1
; LDSByteSize: 0 bytes/workgroup (compile time only)
; SGPRBlocks: 0
; VGPRBlocks: 0
; NumSGPRsForWavesPerEU: 4
; NumVGPRsForWavesPerEU: 1
; Occupancy: 10
; WaveLimiterHint : 0
; COMPUTE_PGM_RSRC2:SCRATCH_EN: 0
; COMPUTE_PGM_RSRC2:USER_SGPR: 6
; COMPUTE_PGM_RSRC2:TRAP_HANDLER: 0
; COMPUTE_PGM_RSRC2:TGID_X_EN: 1
; COMPUTE_PGM_RSRC2:TGID_Y_EN: 0
; COMPUTE_PGM_RSRC2:TGID_Z_EN: 0
; COMPUTE_PGM_RSRC2:TIDIG_COMP_CNT: 0
	.section	.text._ZN7rocprim17ROCPRIM_400000_NS6detail17trampoline_kernelINS0_14default_configENS1_36segmented_radix_sort_config_selectorI12hip_bfloat16lEEZNS1_25segmented_radix_sort_implIS3_Lb0EPKS5_PS5_PKlPlN2at6native12_GLOBAL__N_18offset_tEEE10hipError_tPvRmT1_PNSt15iterator_traitsISL_E10value_typeET2_T3_PNSM_ISR_E10value_typeET4_jRbjT5_SX_jjP12ihipStream_tbEUlT_E2_NS1_11comp_targetILNS1_3genE5ELNS1_11target_archE942ELNS1_3gpuE9ELNS1_3repE0EEENS1_30default_config_static_selectorELNS0_4arch9wavefront6targetE1EEEvSL_,"axG",@progbits,_ZN7rocprim17ROCPRIM_400000_NS6detail17trampoline_kernelINS0_14default_configENS1_36segmented_radix_sort_config_selectorI12hip_bfloat16lEEZNS1_25segmented_radix_sort_implIS3_Lb0EPKS5_PS5_PKlPlN2at6native12_GLOBAL__N_18offset_tEEE10hipError_tPvRmT1_PNSt15iterator_traitsISL_E10value_typeET2_T3_PNSM_ISR_E10value_typeET4_jRbjT5_SX_jjP12ihipStream_tbEUlT_E2_NS1_11comp_targetILNS1_3genE5ELNS1_11target_archE942ELNS1_3gpuE9ELNS1_3repE0EEENS1_30default_config_static_selectorELNS0_4arch9wavefront6targetE1EEEvSL_,comdat
	.globl	_ZN7rocprim17ROCPRIM_400000_NS6detail17trampoline_kernelINS0_14default_configENS1_36segmented_radix_sort_config_selectorI12hip_bfloat16lEEZNS1_25segmented_radix_sort_implIS3_Lb0EPKS5_PS5_PKlPlN2at6native12_GLOBAL__N_18offset_tEEE10hipError_tPvRmT1_PNSt15iterator_traitsISL_E10value_typeET2_T3_PNSM_ISR_E10value_typeET4_jRbjT5_SX_jjP12ihipStream_tbEUlT_E2_NS1_11comp_targetILNS1_3genE5ELNS1_11target_archE942ELNS1_3gpuE9ELNS1_3repE0EEENS1_30default_config_static_selectorELNS0_4arch9wavefront6targetE1EEEvSL_ ; -- Begin function _ZN7rocprim17ROCPRIM_400000_NS6detail17trampoline_kernelINS0_14default_configENS1_36segmented_radix_sort_config_selectorI12hip_bfloat16lEEZNS1_25segmented_radix_sort_implIS3_Lb0EPKS5_PS5_PKlPlN2at6native12_GLOBAL__N_18offset_tEEE10hipError_tPvRmT1_PNSt15iterator_traitsISL_E10value_typeET2_T3_PNSM_ISR_E10value_typeET4_jRbjT5_SX_jjP12ihipStream_tbEUlT_E2_NS1_11comp_targetILNS1_3genE5ELNS1_11target_archE942ELNS1_3gpuE9ELNS1_3repE0EEENS1_30default_config_static_selectorELNS0_4arch9wavefront6targetE1EEEvSL_
	.p2align	8
	.type	_ZN7rocprim17ROCPRIM_400000_NS6detail17trampoline_kernelINS0_14default_configENS1_36segmented_radix_sort_config_selectorI12hip_bfloat16lEEZNS1_25segmented_radix_sort_implIS3_Lb0EPKS5_PS5_PKlPlN2at6native12_GLOBAL__N_18offset_tEEE10hipError_tPvRmT1_PNSt15iterator_traitsISL_E10value_typeET2_T3_PNSM_ISR_E10value_typeET4_jRbjT5_SX_jjP12ihipStream_tbEUlT_E2_NS1_11comp_targetILNS1_3genE5ELNS1_11target_archE942ELNS1_3gpuE9ELNS1_3repE0EEENS1_30default_config_static_selectorELNS0_4arch9wavefront6targetE1EEEvSL_,@function
_ZN7rocprim17ROCPRIM_400000_NS6detail17trampoline_kernelINS0_14default_configENS1_36segmented_radix_sort_config_selectorI12hip_bfloat16lEEZNS1_25segmented_radix_sort_implIS3_Lb0EPKS5_PS5_PKlPlN2at6native12_GLOBAL__N_18offset_tEEE10hipError_tPvRmT1_PNSt15iterator_traitsISL_E10value_typeET2_T3_PNSM_ISR_E10value_typeET4_jRbjT5_SX_jjP12ihipStream_tbEUlT_E2_NS1_11comp_targetILNS1_3genE5ELNS1_11target_archE942ELNS1_3gpuE9ELNS1_3repE0EEENS1_30default_config_static_selectorELNS0_4arch9wavefront6targetE1EEEvSL_: ; @_ZN7rocprim17ROCPRIM_400000_NS6detail17trampoline_kernelINS0_14default_configENS1_36segmented_radix_sort_config_selectorI12hip_bfloat16lEEZNS1_25segmented_radix_sort_implIS3_Lb0EPKS5_PS5_PKlPlN2at6native12_GLOBAL__N_18offset_tEEE10hipError_tPvRmT1_PNSt15iterator_traitsISL_E10value_typeET2_T3_PNSM_ISR_E10value_typeET4_jRbjT5_SX_jjP12ihipStream_tbEUlT_E2_NS1_11comp_targetILNS1_3genE5ELNS1_11target_archE942ELNS1_3gpuE9ELNS1_3repE0EEENS1_30default_config_static_selectorELNS0_4arch9wavefront6targetE1EEEvSL_
; %bb.0:
	.section	.rodata,"a",@progbits
	.p2align	6, 0x0
	.amdhsa_kernel _ZN7rocprim17ROCPRIM_400000_NS6detail17trampoline_kernelINS0_14default_configENS1_36segmented_radix_sort_config_selectorI12hip_bfloat16lEEZNS1_25segmented_radix_sort_implIS3_Lb0EPKS5_PS5_PKlPlN2at6native12_GLOBAL__N_18offset_tEEE10hipError_tPvRmT1_PNSt15iterator_traitsISL_E10value_typeET2_T3_PNSM_ISR_E10value_typeET4_jRbjT5_SX_jjP12ihipStream_tbEUlT_E2_NS1_11comp_targetILNS1_3genE5ELNS1_11target_archE942ELNS1_3gpuE9ELNS1_3repE0EEENS1_30default_config_static_selectorELNS0_4arch9wavefront6targetE1EEEvSL_
		.amdhsa_group_segment_fixed_size 0
		.amdhsa_private_segment_fixed_size 0
		.amdhsa_kernarg_size 80
		.amdhsa_user_sgpr_count 6
		.amdhsa_user_sgpr_private_segment_buffer 1
		.amdhsa_user_sgpr_dispatch_ptr 0
		.amdhsa_user_sgpr_queue_ptr 0
		.amdhsa_user_sgpr_kernarg_segment_ptr 1
		.amdhsa_user_sgpr_dispatch_id 0
		.amdhsa_user_sgpr_flat_scratch_init 0
		.amdhsa_user_sgpr_private_segment_size 0
		.amdhsa_uses_dynamic_stack 0
		.amdhsa_system_sgpr_private_segment_wavefront_offset 0
		.amdhsa_system_sgpr_workgroup_id_x 1
		.amdhsa_system_sgpr_workgroup_id_y 0
		.amdhsa_system_sgpr_workgroup_id_z 0
		.amdhsa_system_sgpr_workgroup_info 0
		.amdhsa_system_vgpr_workitem_id 0
		.amdhsa_next_free_vgpr 1
		.amdhsa_next_free_sgpr 0
		.amdhsa_reserve_vcc 0
		.amdhsa_reserve_flat_scratch 0
		.amdhsa_float_round_mode_32 0
		.amdhsa_float_round_mode_16_64 0
		.amdhsa_float_denorm_mode_32 3
		.amdhsa_float_denorm_mode_16_64 3
		.amdhsa_dx10_clamp 1
		.amdhsa_ieee_mode 1
		.amdhsa_fp16_overflow 0
		.amdhsa_exception_fp_ieee_invalid_op 0
		.amdhsa_exception_fp_denorm_src 0
		.amdhsa_exception_fp_ieee_div_zero 0
		.amdhsa_exception_fp_ieee_overflow 0
		.amdhsa_exception_fp_ieee_underflow 0
		.amdhsa_exception_fp_ieee_inexact 0
		.amdhsa_exception_int_div_zero 0
	.end_amdhsa_kernel
	.section	.text._ZN7rocprim17ROCPRIM_400000_NS6detail17trampoline_kernelINS0_14default_configENS1_36segmented_radix_sort_config_selectorI12hip_bfloat16lEEZNS1_25segmented_radix_sort_implIS3_Lb0EPKS5_PS5_PKlPlN2at6native12_GLOBAL__N_18offset_tEEE10hipError_tPvRmT1_PNSt15iterator_traitsISL_E10value_typeET2_T3_PNSM_ISR_E10value_typeET4_jRbjT5_SX_jjP12ihipStream_tbEUlT_E2_NS1_11comp_targetILNS1_3genE5ELNS1_11target_archE942ELNS1_3gpuE9ELNS1_3repE0EEENS1_30default_config_static_selectorELNS0_4arch9wavefront6targetE1EEEvSL_,"axG",@progbits,_ZN7rocprim17ROCPRIM_400000_NS6detail17trampoline_kernelINS0_14default_configENS1_36segmented_radix_sort_config_selectorI12hip_bfloat16lEEZNS1_25segmented_radix_sort_implIS3_Lb0EPKS5_PS5_PKlPlN2at6native12_GLOBAL__N_18offset_tEEE10hipError_tPvRmT1_PNSt15iterator_traitsISL_E10value_typeET2_T3_PNSM_ISR_E10value_typeET4_jRbjT5_SX_jjP12ihipStream_tbEUlT_E2_NS1_11comp_targetILNS1_3genE5ELNS1_11target_archE942ELNS1_3gpuE9ELNS1_3repE0EEENS1_30default_config_static_selectorELNS0_4arch9wavefront6targetE1EEEvSL_,comdat
.Lfunc_end2080:
	.size	_ZN7rocprim17ROCPRIM_400000_NS6detail17trampoline_kernelINS0_14default_configENS1_36segmented_radix_sort_config_selectorI12hip_bfloat16lEEZNS1_25segmented_radix_sort_implIS3_Lb0EPKS5_PS5_PKlPlN2at6native12_GLOBAL__N_18offset_tEEE10hipError_tPvRmT1_PNSt15iterator_traitsISL_E10value_typeET2_T3_PNSM_ISR_E10value_typeET4_jRbjT5_SX_jjP12ihipStream_tbEUlT_E2_NS1_11comp_targetILNS1_3genE5ELNS1_11target_archE942ELNS1_3gpuE9ELNS1_3repE0EEENS1_30default_config_static_selectorELNS0_4arch9wavefront6targetE1EEEvSL_, .Lfunc_end2080-_ZN7rocprim17ROCPRIM_400000_NS6detail17trampoline_kernelINS0_14default_configENS1_36segmented_radix_sort_config_selectorI12hip_bfloat16lEEZNS1_25segmented_radix_sort_implIS3_Lb0EPKS5_PS5_PKlPlN2at6native12_GLOBAL__N_18offset_tEEE10hipError_tPvRmT1_PNSt15iterator_traitsISL_E10value_typeET2_T3_PNSM_ISR_E10value_typeET4_jRbjT5_SX_jjP12ihipStream_tbEUlT_E2_NS1_11comp_targetILNS1_3genE5ELNS1_11target_archE942ELNS1_3gpuE9ELNS1_3repE0EEENS1_30default_config_static_selectorELNS0_4arch9wavefront6targetE1EEEvSL_
                                        ; -- End function
	.set _ZN7rocprim17ROCPRIM_400000_NS6detail17trampoline_kernelINS0_14default_configENS1_36segmented_radix_sort_config_selectorI12hip_bfloat16lEEZNS1_25segmented_radix_sort_implIS3_Lb0EPKS5_PS5_PKlPlN2at6native12_GLOBAL__N_18offset_tEEE10hipError_tPvRmT1_PNSt15iterator_traitsISL_E10value_typeET2_T3_PNSM_ISR_E10value_typeET4_jRbjT5_SX_jjP12ihipStream_tbEUlT_E2_NS1_11comp_targetILNS1_3genE5ELNS1_11target_archE942ELNS1_3gpuE9ELNS1_3repE0EEENS1_30default_config_static_selectorELNS0_4arch9wavefront6targetE1EEEvSL_.num_vgpr, 0
	.set _ZN7rocprim17ROCPRIM_400000_NS6detail17trampoline_kernelINS0_14default_configENS1_36segmented_radix_sort_config_selectorI12hip_bfloat16lEEZNS1_25segmented_radix_sort_implIS3_Lb0EPKS5_PS5_PKlPlN2at6native12_GLOBAL__N_18offset_tEEE10hipError_tPvRmT1_PNSt15iterator_traitsISL_E10value_typeET2_T3_PNSM_ISR_E10value_typeET4_jRbjT5_SX_jjP12ihipStream_tbEUlT_E2_NS1_11comp_targetILNS1_3genE5ELNS1_11target_archE942ELNS1_3gpuE9ELNS1_3repE0EEENS1_30default_config_static_selectorELNS0_4arch9wavefront6targetE1EEEvSL_.num_agpr, 0
	.set _ZN7rocprim17ROCPRIM_400000_NS6detail17trampoline_kernelINS0_14default_configENS1_36segmented_radix_sort_config_selectorI12hip_bfloat16lEEZNS1_25segmented_radix_sort_implIS3_Lb0EPKS5_PS5_PKlPlN2at6native12_GLOBAL__N_18offset_tEEE10hipError_tPvRmT1_PNSt15iterator_traitsISL_E10value_typeET2_T3_PNSM_ISR_E10value_typeET4_jRbjT5_SX_jjP12ihipStream_tbEUlT_E2_NS1_11comp_targetILNS1_3genE5ELNS1_11target_archE942ELNS1_3gpuE9ELNS1_3repE0EEENS1_30default_config_static_selectorELNS0_4arch9wavefront6targetE1EEEvSL_.numbered_sgpr, 0
	.set _ZN7rocprim17ROCPRIM_400000_NS6detail17trampoline_kernelINS0_14default_configENS1_36segmented_radix_sort_config_selectorI12hip_bfloat16lEEZNS1_25segmented_radix_sort_implIS3_Lb0EPKS5_PS5_PKlPlN2at6native12_GLOBAL__N_18offset_tEEE10hipError_tPvRmT1_PNSt15iterator_traitsISL_E10value_typeET2_T3_PNSM_ISR_E10value_typeET4_jRbjT5_SX_jjP12ihipStream_tbEUlT_E2_NS1_11comp_targetILNS1_3genE5ELNS1_11target_archE942ELNS1_3gpuE9ELNS1_3repE0EEENS1_30default_config_static_selectorELNS0_4arch9wavefront6targetE1EEEvSL_.num_named_barrier, 0
	.set _ZN7rocprim17ROCPRIM_400000_NS6detail17trampoline_kernelINS0_14default_configENS1_36segmented_radix_sort_config_selectorI12hip_bfloat16lEEZNS1_25segmented_radix_sort_implIS3_Lb0EPKS5_PS5_PKlPlN2at6native12_GLOBAL__N_18offset_tEEE10hipError_tPvRmT1_PNSt15iterator_traitsISL_E10value_typeET2_T3_PNSM_ISR_E10value_typeET4_jRbjT5_SX_jjP12ihipStream_tbEUlT_E2_NS1_11comp_targetILNS1_3genE5ELNS1_11target_archE942ELNS1_3gpuE9ELNS1_3repE0EEENS1_30default_config_static_selectorELNS0_4arch9wavefront6targetE1EEEvSL_.private_seg_size, 0
	.set _ZN7rocprim17ROCPRIM_400000_NS6detail17trampoline_kernelINS0_14default_configENS1_36segmented_radix_sort_config_selectorI12hip_bfloat16lEEZNS1_25segmented_radix_sort_implIS3_Lb0EPKS5_PS5_PKlPlN2at6native12_GLOBAL__N_18offset_tEEE10hipError_tPvRmT1_PNSt15iterator_traitsISL_E10value_typeET2_T3_PNSM_ISR_E10value_typeET4_jRbjT5_SX_jjP12ihipStream_tbEUlT_E2_NS1_11comp_targetILNS1_3genE5ELNS1_11target_archE942ELNS1_3gpuE9ELNS1_3repE0EEENS1_30default_config_static_selectorELNS0_4arch9wavefront6targetE1EEEvSL_.uses_vcc, 0
	.set _ZN7rocprim17ROCPRIM_400000_NS6detail17trampoline_kernelINS0_14default_configENS1_36segmented_radix_sort_config_selectorI12hip_bfloat16lEEZNS1_25segmented_radix_sort_implIS3_Lb0EPKS5_PS5_PKlPlN2at6native12_GLOBAL__N_18offset_tEEE10hipError_tPvRmT1_PNSt15iterator_traitsISL_E10value_typeET2_T3_PNSM_ISR_E10value_typeET4_jRbjT5_SX_jjP12ihipStream_tbEUlT_E2_NS1_11comp_targetILNS1_3genE5ELNS1_11target_archE942ELNS1_3gpuE9ELNS1_3repE0EEENS1_30default_config_static_selectorELNS0_4arch9wavefront6targetE1EEEvSL_.uses_flat_scratch, 0
	.set _ZN7rocprim17ROCPRIM_400000_NS6detail17trampoline_kernelINS0_14default_configENS1_36segmented_radix_sort_config_selectorI12hip_bfloat16lEEZNS1_25segmented_radix_sort_implIS3_Lb0EPKS5_PS5_PKlPlN2at6native12_GLOBAL__N_18offset_tEEE10hipError_tPvRmT1_PNSt15iterator_traitsISL_E10value_typeET2_T3_PNSM_ISR_E10value_typeET4_jRbjT5_SX_jjP12ihipStream_tbEUlT_E2_NS1_11comp_targetILNS1_3genE5ELNS1_11target_archE942ELNS1_3gpuE9ELNS1_3repE0EEENS1_30default_config_static_selectorELNS0_4arch9wavefront6targetE1EEEvSL_.has_dyn_sized_stack, 0
	.set _ZN7rocprim17ROCPRIM_400000_NS6detail17trampoline_kernelINS0_14default_configENS1_36segmented_radix_sort_config_selectorI12hip_bfloat16lEEZNS1_25segmented_radix_sort_implIS3_Lb0EPKS5_PS5_PKlPlN2at6native12_GLOBAL__N_18offset_tEEE10hipError_tPvRmT1_PNSt15iterator_traitsISL_E10value_typeET2_T3_PNSM_ISR_E10value_typeET4_jRbjT5_SX_jjP12ihipStream_tbEUlT_E2_NS1_11comp_targetILNS1_3genE5ELNS1_11target_archE942ELNS1_3gpuE9ELNS1_3repE0EEENS1_30default_config_static_selectorELNS0_4arch9wavefront6targetE1EEEvSL_.has_recursion, 0
	.set _ZN7rocprim17ROCPRIM_400000_NS6detail17trampoline_kernelINS0_14default_configENS1_36segmented_radix_sort_config_selectorI12hip_bfloat16lEEZNS1_25segmented_radix_sort_implIS3_Lb0EPKS5_PS5_PKlPlN2at6native12_GLOBAL__N_18offset_tEEE10hipError_tPvRmT1_PNSt15iterator_traitsISL_E10value_typeET2_T3_PNSM_ISR_E10value_typeET4_jRbjT5_SX_jjP12ihipStream_tbEUlT_E2_NS1_11comp_targetILNS1_3genE5ELNS1_11target_archE942ELNS1_3gpuE9ELNS1_3repE0EEENS1_30default_config_static_selectorELNS0_4arch9wavefront6targetE1EEEvSL_.has_indirect_call, 0
	.section	.AMDGPU.csdata,"",@progbits
; Kernel info:
; codeLenInByte = 0
; TotalNumSgprs: 4
; NumVgprs: 0
; ScratchSize: 0
; MemoryBound: 0
; FloatMode: 240
; IeeeMode: 1
; LDSByteSize: 0 bytes/workgroup (compile time only)
; SGPRBlocks: 0
; VGPRBlocks: 0
; NumSGPRsForWavesPerEU: 4
; NumVGPRsForWavesPerEU: 1
; Occupancy: 10
; WaveLimiterHint : 0
; COMPUTE_PGM_RSRC2:SCRATCH_EN: 0
; COMPUTE_PGM_RSRC2:USER_SGPR: 6
; COMPUTE_PGM_RSRC2:TRAP_HANDLER: 0
; COMPUTE_PGM_RSRC2:TGID_X_EN: 1
; COMPUTE_PGM_RSRC2:TGID_Y_EN: 0
; COMPUTE_PGM_RSRC2:TGID_Z_EN: 0
; COMPUTE_PGM_RSRC2:TIDIG_COMP_CNT: 0
	.section	.text._ZN7rocprim17ROCPRIM_400000_NS6detail17trampoline_kernelINS0_14default_configENS1_36segmented_radix_sort_config_selectorI12hip_bfloat16lEEZNS1_25segmented_radix_sort_implIS3_Lb0EPKS5_PS5_PKlPlN2at6native12_GLOBAL__N_18offset_tEEE10hipError_tPvRmT1_PNSt15iterator_traitsISL_E10value_typeET2_T3_PNSM_ISR_E10value_typeET4_jRbjT5_SX_jjP12ihipStream_tbEUlT_E2_NS1_11comp_targetILNS1_3genE4ELNS1_11target_archE910ELNS1_3gpuE8ELNS1_3repE0EEENS1_30default_config_static_selectorELNS0_4arch9wavefront6targetE1EEEvSL_,"axG",@progbits,_ZN7rocprim17ROCPRIM_400000_NS6detail17trampoline_kernelINS0_14default_configENS1_36segmented_radix_sort_config_selectorI12hip_bfloat16lEEZNS1_25segmented_radix_sort_implIS3_Lb0EPKS5_PS5_PKlPlN2at6native12_GLOBAL__N_18offset_tEEE10hipError_tPvRmT1_PNSt15iterator_traitsISL_E10value_typeET2_T3_PNSM_ISR_E10value_typeET4_jRbjT5_SX_jjP12ihipStream_tbEUlT_E2_NS1_11comp_targetILNS1_3genE4ELNS1_11target_archE910ELNS1_3gpuE8ELNS1_3repE0EEENS1_30default_config_static_selectorELNS0_4arch9wavefront6targetE1EEEvSL_,comdat
	.globl	_ZN7rocprim17ROCPRIM_400000_NS6detail17trampoline_kernelINS0_14default_configENS1_36segmented_radix_sort_config_selectorI12hip_bfloat16lEEZNS1_25segmented_radix_sort_implIS3_Lb0EPKS5_PS5_PKlPlN2at6native12_GLOBAL__N_18offset_tEEE10hipError_tPvRmT1_PNSt15iterator_traitsISL_E10value_typeET2_T3_PNSM_ISR_E10value_typeET4_jRbjT5_SX_jjP12ihipStream_tbEUlT_E2_NS1_11comp_targetILNS1_3genE4ELNS1_11target_archE910ELNS1_3gpuE8ELNS1_3repE0EEENS1_30default_config_static_selectorELNS0_4arch9wavefront6targetE1EEEvSL_ ; -- Begin function _ZN7rocprim17ROCPRIM_400000_NS6detail17trampoline_kernelINS0_14default_configENS1_36segmented_radix_sort_config_selectorI12hip_bfloat16lEEZNS1_25segmented_radix_sort_implIS3_Lb0EPKS5_PS5_PKlPlN2at6native12_GLOBAL__N_18offset_tEEE10hipError_tPvRmT1_PNSt15iterator_traitsISL_E10value_typeET2_T3_PNSM_ISR_E10value_typeET4_jRbjT5_SX_jjP12ihipStream_tbEUlT_E2_NS1_11comp_targetILNS1_3genE4ELNS1_11target_archE910ELNS1_3gpuE8ELNS1_3repE0EEENS1_30default_config_static_selectorELNS0_4arch9wavefront6targetE1EEEvSL_
	.p2align	8
	.type	_ZN7rocprim17ROCPRIM_400000_NS6detail17trampoline_kernelINS0_14default_configENS1_36segmented_radix_sort_config_selectorI12hip_bfloat16lEEZNS1_25segmented_radix_sort_implIS3_Lb0EPKS5_PS5_PKlPlN2at6native12_GLOBAL__N_18offset_tEEE10hipError_tPvRmT1_PNSt15iterator_traitsISL_E10value_typeET2_T3_PNSM_ISR_E10value_typeET4_jRbjT5_SX_jjP12ihipStream_tbEUlT_E2_NS1_11comp_targetILNS1_3genE4ELNS1_11target_archE910ELNS1_3gpuE8ELNS1_3repE0EEENS1_30default_config_static_selectorELNS0_4arch9wavefront6targetE1EEEvSL_,@function
_ZN7rocprim17ROCPRIM_400000_NS6detail17trampoline_kernelINS0_14default_configENS1_36segmented_radix_sort_config_selectorI12hip_bfloat16lEEZNS1_25segmented_radix_sort_implIS3_Lb0EPKS5_PS5_PKlPlN2at6native12_GLOBAL__N_18offset_tEEE10hipError_tPvRmT1_PNSt15iterator_traitsISL_E10value_typeET2_T3_PNSM_ISR_E10value_typeET4_jRbjT5_SX_jjP12ihipStream_tbEUlT_E2_NS1_11comp_targetILNS1_3genE4ELNS1_11target_archE910ELNS1_3gpuE8ELNS1_3repE0EEENS1_30default_config_static_selectorELNS0_4arch9wavefront6targetE1EEEvSL_: ; @_ZN7rocprim17ROCPRIM_400000_NS6detail17trampoline_kernelINS0_14default_configENS1_36segmented_radix_sort_config_selectorI12hip_bfloat16lEEZNS1_25segmented_radix_sort_implIS3_Lb0EPKS5_PS5_PKlPlN2at6native12_GLOBAL__N_18offset_tEEE10hipError_tPvRmT1_PNSt15iterator_traitsISL_E10value_typeET2_T3_PNSM_ISR_E10value_typeET4_jRbjT5_SX_jjP12ihipStream_tbEUlT_E2_NS1_11comp_targetILNS1_3genE4ELNS1_11target_archE910ELNS1_3gpuE8ELNS1_3repE0EEENS1_30default_config_static_selectorELNS0_4arch9wavefront6targetE1EEEvSL_
; %bb.0:
	.section	.rodata,"a",@progbits
	.p2align	6, 0x0
	.amdhsa_kernel _ZN7rocprim17ROCPRIM_400000_NS6detail17trampoline_kernelINS0_14default_configENS1_36segmented_radix_sort_config_selectorI12hip_bfloat16lEEZNS1_25segmented_radix_sort_implIS3_Lb0EPKS5_PS5_PKlPlN2at6native12_GLOBAL__N_18offset_tEEE10hipError_tPvRmT1_PNSt15iterator_traitsISL_E10value_typeET2_T3_PNSM_ISR_E10value_typeET4_jRbjT5_SX_jjP12ihipStream_tbEUlT_E2_NS1_11comp_targetILNS1_3genE4ELNS1_11target_archE910ELNS1_3gpuE8ELNS1_3repE0EEENS1_30default_config_static_selectorELNS0_4arch9wavefront6targetE1EEEvSL_
		.amdhsa_group_segment_fixed_size 0
		.amdhsa_private_segment_fixed_size 0
		.amdhsa_kernarg_size 80
		.amdhsa_user_sgpr_count 6
		.amdhsa_user_sgpr_private_segment_buffer 1
		.amdhsa_user_sgpr_dispatch_ptr 0
		.amdhsa_user_sgpr_queue_ptr 0
		.amdhsa_user_sgpr_kernarg_segment_ptr 1
		.amdhsa_user_sgpr_dispatch_id 0
		.amdhsa_user_sgpr_flat_scratch_init 0
		.amdhsa_user_sgpr_private_segment_size 0
		.amdhsa_uses_dynamic_stack 0
		.amdhsa_system_sgpr_private_segment_wavefront_offset 0
		.amdhsa_system_sgpr_workgroup_id_x 1
		.amdhsa_system_sgpr_workgroup_id_y 0
		.amdhsa_system_sgpr_workgroup_id_z 0
		.amdhsa_system_sgpr_workgroup_info 0
		.amdhsa_system_vgpr_workitem_id 0
		.amdhsa_next_free_vgpr 1
		.amdhsa_next_free_sgpr 0
		.amdhsa_reserve_vcc 0
		.amdhsa_reserve_flat_scratch 0
		.amdhsa_float_round_mode_32 0
		.amdhsa_float_round_mode_16_64 0
		.amdhsa_float_denorm_mode_32 3
		.amdhsa_float_denorm_mode_16_64 3
		.amdhsa_dx10_clamp 1
		.amdhsa_ieee_mode 1
		.amdhsa_fp16_overflow 0
		.amdhsa_exception_fp_ieee_invalid_op 0
		.amdhsa_exception_fp_denorm_src 0
		.amdhsa_exception_fp_ieee_div_zero 0
		.amdhsa_exception_fp_ieee_overflow 0
		.amdhsa_exception_fp_ieee_underflow 0
		.amdhsa_exception_fp_ieee_inexact 0
		.amdhsa_exception_int_div_zero 0
	.end_amdhsa_kernel
	.section	.text._ZN7rocprim17ROCPRIM_400000_NS6detail17trampoline_kernelINS0_14default_configENS1_36segmented_radix_sort_config_selectorI12hip_bfloat16lEEZNS1_25segmented_radix_sort_implIS3_Lb0EPKS5_PS5_PKlPlN2at6native12_GLOBAL__N_18offset_tEEE10hipError_tPvRmT1_PNSt15iterator_traitsISL_E10value_typeET2_T3_PNSM_ISR_E10value_typeET4_jRbjT5_SX_jjP12ihipStream_tbEUlT_E2_NS1_11comp_targetILNS1_3genE4ELNS1_11target_archE910ELNS1_3gpuE8ELNS1_3repE0EEENS1_30default_config_static_selectorELNS0_4arch9wavefront6targetE1EEEvSL_,"axG",@progbits,_ZN7rocprim17ROCPRIM_400000_NS6detail17trampoline_kernelINS0_14default_configENS1_36segmented_radix_sort_config_selectorI12hip_bfloat16lEEZNS1_25segmented_radix_sort_implIS3_Lb0EPKS5_PS5_PKlPlN2at6native12_GLOBAL__N_18offset_tEEE10hipError_tPvRmT1_PNSt15iterator_traitsISL_E10value_typeET2_T3_PNSM_ISR_E10value_typeET4_jRbjT5_SX_jjP12ihipStream_tbEUlT_E2_NS1_11comp_targetILNS1_3genE4ELNS1_11target_archE910ELNS1_3gpuE8ELNS1_3repE0EEENS1_30default_config_static_selectorELNS0_4arch9wavefront6targetE1EEEvSL_,comdat
.Lfunc_end2081:
	.size	_ZN7rocprim17ROCPRIM_400000_NS6detail17trampoline_kernelINS0_14default_configENS1_36segmented_radix_sort_config_selectorI12hip_bfloat16lEEZNS1_25segmented_radix_sort_implIS3_Lb0EPKS5_PS5_PKlPlN2at6native12_GLOBAL__N_18offset_tEEE10hipError_tPvRmT1_PNSt15iterator_traitsISL_E10value_typeET2_T3_PNSM_ISR_E10value_typeET4_jRbjT5_SX_jjP12ihipStream_tbEUlT_E2_NS1_11comp_targetILNS1_3genE4ELNS1_11target_archE910ELNS1_3gpuE8ELNS1_3repE0EEENS1_30default_config_static_selectorELNS0_4arch9wavefront6targetE1EEEvSL_, .Lfunc_end2081-_ZN7rocprim17ROCPRIM_400000_NS6detail17trampoline_kernelINS0_14default_configENS1_36segmented_radix_sort_config_selectorI12hip_bfloat16lEEZNS1_25segmented_radix_sort_implIS3_Lb0EPKS5_PS5_PKlPlN2at6native12_GLOBAL__N_18offset_tEEE10hipError_tPvRmT1_PNSt15iterator_traitsISL_E10value_typeET2_T3_PNSM_ISR_E10value_typeET4_jRbjT5_SX_jjP12ihipStream_tbEUlT_E2_NS1_11comp_targetILNS1_3genE4ELNS1_11target_archE910ELNS1_3gpuE8ELNS1_3repE0EEENS1_30default_config_static_selectorELNS0_4arch9wavefront6targetE1EEEvSL_
                                        ; -- End function
	.set _ZN7rocprim17ROCPRIM_400000_NS6detail17trampoline_kernelINS0_14default_configENS1_36segmented_radix_sort_config_selectorI12hip_bfloat16lEEZNS1_25segmented_radix_sort_implIS3_Lb0EPKS5_PS5_PKlPlN2at6native12_GLOBAL__N_18offset_tEEE10hipError_tPvRmT1_PNSt15iterator_traitsISL_E10value_typeET2_T3_PNSM_ISR_E10value_typeET4_jRbjT5_SX_jjP12ihipStream_tbEUlT_E2_NS1_11comp_targetILNS1_3genE4ELNS1_11target_archE910ELNS1_3gpuE8ELNS1_3repE0EEENS1_30default_config_static_selectorELNS0_4arch9wavefront6targetE1EEEvSL_.num_vgpr, 0
	.set _ZN7rocprim17ROCPRIM_400000_NS6detail17trampoline_kernelINS0_14default_configENS1_36segmented_radix_sort_config_selectorI12hip_bfloat16lEEZNS1_25segmented_radix_sort_implIS3_Lb0EPKS5_PS5_PKlPlN2at6native12_GLOBAL__N_18offset_tEEE10hipError_tPvRmT1_PNSt15iterator_traitsISL_E10value_typeET2_T3_PNSM_ISR_E10value_typeET4_jRbjT5_SX_jjP12ihipStream_tbEUlT_E2_NS1_11comp_targetILNS1_3genE4ELNS1_11target_archE910ELNS1_3gpuE8ELNS1_3repE0EEENS1_30default_config_static_selectorELNS0_4arch9wavefront6targetE1EEEvSL_.num_agpr, 0
	.set _ZN7rocprim17ROCPRIM_400000_NS6detail17trampoline_kernelINS0_14default_configENS1_36segmented_radix_sort_config_selectorI12hip_bfloat16lEEZNS1_25segmented_radix_sort_implIS3_Lb0EPKS5_PS5_PKlPlN2at6native12_GLOBAL__N_18offset_tEEE10hipError_tPvRmT1_PNSt15iterator_traitsISL_E10value_typeET2_T3_PNSM_ISR_E10value_typeET4_jRbjT5_SX_jjP12ihipStream_tbEUlT_E2_NS1_11comp_targetILNS1_3genE4ELNS1_11target_archE910ELNS1_3gpuE8ELNS1_3repE0EEENS1_30default_config_static_selectorELNS0_4arch9wavefront6targetE1EEEvSL_.numbered_sgpr, 0
	.set _ZN7rocprim17ROCPRIM_400000_NS6detail17trampoline_kernelINS0_14default_configENS1_36segmented_radix_sort_config_selectorI12hip_bfloat16lEEZNS1_25segmented_radix_sort_implIS3_Lb0EPKS5_PS5_PKlPlN2at6native12_GLOBAL__N_18offset_tEEE10hipError_tPvRmT1_PNSt15iterator_traitsISL_E10value_typeET2_T3_PNSM_ISR_E10value_typeET4_jRbjT5_SX_jjP12ihipStream_tbEUlT_E2_NS1_11comp_targetILNS1_3genE4ELNS1_11target_archE910ELNS1_3gpuE8ELNS1_3repE0EEENS1_30default_config_static_selectorELNS0_4arch9wavefront6targetE1EEEvSL_.num_named_barrier, 0
	.set _ZN7rocprim17ROCPRIM_400000_NS6detail17trampoline_kernelINS0_14default_configENS1_36segmented_radix_sort_config_selectorI12hip_bfloat16lEEZNS1_25segmented_radix_sort_implIS3_Lb0EPKS5_PS5_PKlPlN2at6native12_GLOBAL__N_18offset_tEEE10hipError_tPvRmT1_PNSt15iterator_traitsISL_E10value_typeET2_T3_PNSM_ISR_E10value_typeET4_jRbjT5_SX_jjP12ihipStream_tbEUlT_E2_NS1_11comp_targetILNS1_3genE4ELNS1_11target_archE910ELNS1_3gpuE8ELNS1_3repE0EEENS1_30default_config_static_selectorELNS0_4arch9wavefront6targetE1EEEvSL_.private_seg_size, 0
	.set _ZN7rocprim17ROCPRIM_400000_NS6detail17trampoline_kernelINS0_14default_configENS1_36segmented_radix_sort_config_selectorI12hip_bfloat16lEEZNS1_25segmented_radix_sort_implIS3_Lb0EPKS5_PS5_PKlPlN2at6native12_GLOBAL__N_18offset_tEEE10hipError_tPvRmT1_PNSt15iterator_traitsISL_E10value_typeET2_T3_PNSM_ISR_E10value_typeET4_jRbjT5_SX_jjP12ihipStream_tbEUlT_E2_NS1_11comp_targetILNS1_3genE4ELNS1_11target_archE910ELNS1_3gpuE8ELNS1_3repE0EEENS1_30default_config_static_selectorELNS0_4arch9wavefront6targetE1EEEvSL_.uses_vcc, 0
	.set _ZN7rocprim17ROCPRIM_400000_NS6detail17trampoline_kernelINS0_14default_configENS1_36segmented_radix_sort_config_selectorI12hip_bfloat16lEEZNS1_25segmented_radix_sort_implIS3_Lb0EPKS5_PS5_PKlPlN2at6native12_GLOBAL__N_18offset_tEEE10hipError_tPvRmT1_PNSt15iterator_traitsISL_E10value_typeET2_T3_PNSM_ISR_E10value_typeET4_jRbjT5_SX_jjP12ihipStream_tbEUlT_E2_NS1_11comp_targetILNS1_3genE4ELNS1_11target_archE910ELNS1_3gpuE8ELNS1_3repE0EEENS1_30default_config_static_selectorELNS0_4arch9wavefront6targetE1EEEvSL_.uses_flat_scratch, 0
	.set _ZN7rocprim17ROCPRIM_400000_NS6detail17trampoline_kernelINS0_14default_configENS1_36segmented_radix_sort_config_selectorI12hip_bfloat16lEEZNS1_25segmented_radix_sort_implIS3_Lb0EPKS5_PS5_PKlPlN2at6native12_GLOBAL__N_18offset_tEEE10hipError_tPvRmT1_PNSt15iterator_traitsISL_E10value_typeET2_T3_PNSM_ISR_E10value_typeET4_jRbjT5_SX_jjP12ihipStream_tbEUlT_E2_NS1_11comp_targetILNS1_3genE4ELNS1_11target_archE910ELNS1_3gpuE8ELNS1_3repE0EEENS1_30default_config_static_selectorELNS0_4arch9wavefront6targetE1EEEvSL_.has_dyn_sized_stack, 0
	.set _ZN7rocprim17ROCPRIM_400000_NS6detail17trampoline_kernelINS0_14default_configENS1_36segmented_radix_sort_config_selectorI12hip_bfloat16lEEZNS1_25segmented_radix_sort_implIS3_Lb0EPKS5_PS5_PKlPlN2at6native12_GLOBAL__N_18offset_tEEE10hipError_tPvRmT1_PNSt15iterator_traitsISL_E10value_typeET2_T3_PNSM_ISR_E10value_typeET4_jRbjT5_SX_jjP12ihipStream_tbEUlT_E2_NS1_11comp_targetILNS1_3genE4ELNS1_11target_archE910ELNS1_3gpuE8ELNS1_3repE0EEENS1_30default_config_static_selectorELNS0_4arch9wavefront6targetE1EEEvSL_.has_recursion, 0
	.set _ZN7rocprim17ROCPRIM_400000_NS6detail17trampoline_kernelINS0_14default_configENS1_36segmented_radix_sort_config_selectorI12hip_bfloat16lEEZNS1_25segmented_radix_sort_implIS3_Lb0EPKS5_PS5_PKlPlN2at6native12_GLOBAL__N_18offset_tEEE10hipError_tPvRmT1_PNSt15iterator_traitsISL_E10value_typeET2_T3_PNSM_ISR_E10value_typeET4_jRbjT5_SX_jjP12ihipStream_tbEUlT_E2_NS1_11comp_targetILNS1_3genE4ELNS1_11target_archE910ELNS1_3gpuE8ELNS1_3repE0EEENS1_30default_config_static_selectorELNS0_4arch9wavefront6targetE1EEEvSL_.has_indirect_call, 0
	.section	.AMDGPU.csdata,"",@progbits
; Kernel info:
; codeLenInByte = 0
; TotalNumSgprs: 4
; NumVgprs: 0
; ScratchSize: 0
; MemoryBound: 0
; FloatMode: 240
; IeeeMode: 1
; LDSByteSize: 0 bytes/workgroup (compile time only)
; SGPRBlocks: 0
; VGPRBlocks: 0
; NumSGPRsForWavesPerEU: 4
; NumVGPRsForWavesPerEU: 1
; Occupancy: 10
; WaveLimiterHint : 0
; COMPUTE_PGM_RSRC2:SCRATCH_EN: 0
; COMPUTE_PGM_RSRC2:USER_SGPR: 6
; COMPUTE_PGM_RSRC2:TRAP_HANDLER: 0
; COMPUTE_PGM_RSRC2:TGID_X_EN: 1
; COMPUTE_PGM_RSRC2:TGID_Y_EN: 0
; COMPUTE_PGM_RSRC2:TGID_Z_EN: 0
; COMPUTE_PGM_RSRC2:TIDIG_COMP_CNT: 0
	.section	.text._ZN7rocprim17ROCPRIM_400000_NS6detail17trampoline_kernelINS0_14default_configENS1_36segmented_radix_sort_config_selectorI12hip_bfloat16lEEZNS1_25segmented_radix_sort_implIS3_Lb0EPKS5_PS5_PKlPlN2at6native12_GLOBAL__N_18offset_tEEE10hipError_tPvRmT1_PNSt15iterator_traitsISL_E10value_typeET2_T3_PNSM_ISR_E10value_typeET4_jRbjT5_SX_jjP12ihipStream_tbEUlT_E2_NS1_11comp_targetILNS1_3genE3ELNS1_11target_archE908ELNS1_3gpuE7ELNS1_3repE0EEENS1_30default_config_static_selectorELNS0_4arch9wavefront6targetE1EEEvSL_,"axG",@progbits,_ZN7rocprim17ROCPRIM_400000_NS6detail17trampoline_kernelINS0_14default_configENS1_36segmented_radix_sort_config_selectorI12hip_bfloat16lEEZNS1_25segmented_radix_sort_implIS3_Lb0EPKS5_PS5_PKlPlN2at6native12_GLOBAL__N_18offset_tEEE10hipError_tPvRmT1_PNSt15iterator_traitsISL_E10value_typeET2_T3_PNSM_ISR_E10value_typeET4_jRbjT5_SX_jjP12ihipStream_tbEUlT_E2_NS1_11comp_targetILNS1_3genE3ELNS1_11target_archE908ELNS1_3gpuE7ELNS1_3repE0EEENS1_30default_config_static_selectorELNS0_4arch9wavefront6targetE1EEEvSL_,comdat
	.globl	_ZN7rocprim17ROCPRIM_400000_NS6detail17trampoline_kernelINS0_14default_configENS1_36segmented_radix_sort_config_selectorI12hip_bfloat16lEEZNS1_25segmented_radix_sort_implIS3_Lb0EPKS5_PS5_PKlPlN2at6native12_GLOBAL__N_18offset_tEEE10hipError_tPvRmT1_PNSt15iterator_traitsISL_E10value_typeET2_T3_PNSM_ISR_E10value_typeET4_jRbjT5_SX_jjP12ihipStream_tbEUlT_E2_NS1_11comp_targetILNS1_3genE3ELNS1_11target_archE908ELNS1_3gpuE7ELNS1_3repE0EEENS1_30default_config_static_selectorELNS0_4arch9wavefront6targetE1EEEvSL_ ; -- Begin function _ZN7rocprim17ROCPRIM_400000_NS6detail17trampoline_kernelINS0_14default_configENS1_36segmented_radix_sort_config_selectorI12hip_bfloat16lEEZNS1_25segmented_radix_sort_implIS3_Lb0EPKS5_PS5_PKlPlN2at6native12_GLOBAL__N_18offset_tEEE10hipError_tPvRmT1_PNSt15iterator_traitsISL_E10value_typeET2_T3_PNSM_ISR_E10value_typeET4_jRbjT5_SX_jjP12ihipStream_tbEUlT_E2_NS1_11comp_targetILNS1_3genE3ELNS1_11target_archE908ELNS1_3gpuE7ELNS1_3repE0EEENS1_30default_config_static_selectorELNS0_4arch9wavefront6targetE1EEEvSL_
	.p2align	8
	.type	_ZN7rocprim17ROCPRIM_400000_NS6detail17trampoline_kernelINS0_14default_configENS1_36segmented_radix_sort_config_selectorI12hip_bfloat16lEEZNS1_25segmented_radix_sort_implIS3_Lb0EPKS5_PS5_PKlPlN2at6native12_GLOBAL__N_18offset_tEEE10hipError_tPvRmT1_PNSt15iterator_traitsISL_E10value_typeET2_T3_PNSM_ISR_E10value_typeET4_jRbjT5_SX_jjP12ihipStream_tbEUlT_E2_NS1_11comp_targetILNS1_3genE3ELNS1_11target_archE908ELNS1_3gpuE7ELNS1_3repE0EEENS1_30default_config_static_selectorELNS0_4arch9wavefront6targetE1EEEvSL_,@function
_ZN7rocprim17ROCPRIM_400000_NS6detail17trampoline_kernelINS0_14default_configENS1_36segmented_radix_sort_config_selectorI12hip_bfloat16lEEZNS1_25segmented_radix_sort_implIS3_Lb0EPKS5_PS5_PKlPlN2at6native12_GLOBAL__N_18offset_tEEE10hipError_tPvRmT1_PNSt15iterator_traitsISL_E10value_typeET2_T3_PNSM_ISR_E10value_typeET4_jRbjT5_SX_jjP12ihipStream_tbEUlT_E2_NS1_11comp_targetILNS1_3genE3ELNS1_11target_archE908ELNS1_3gpuE7ELNS1_3repE0EEENS1_30default_config_static_selectorELNS0_4arch9wavefront6targetE1EEEvSL_: ; @_ZN7rocprim17ROCPRIM_400000_NS6detail17trampoline_kernelINS0_14default_configENS1_36segmented_radix_sort_config_selectorI12hip_bfloat16lEEZNS1_25segmented_radix_sort_implIS3_Lb0EPKS5_PS5_PKlPlN2at6native12_GLOBAL__N_18offset_tEEE10hipError_tPvRmT1_PNSt15iterator_traitsISL_E10value_typeET2_T3_PNSM_ISR_E10value_typeET4_jRbjT5_SX_jjP12ihipStream_tbEUlT_E2_NS1_11comp_targetILNS1_3genE3ELNS1_11target_archE908ELNS1_3gpuE7ELNS1_3repE0EEENS1_30default_config_static_selectorELNS0_4arch9wavefront6targetE1EEEvSL_
; %bb.0:
	.section	.rodata,"a",@progbits
	.p2align	6, 0x0
	.amdhsa_kernel _ZN7rocprim17ROCPRIM_400000_NS6detail17trampoline_kernelINS0_14default_configENS1_36segmented_radix_sort_config_selectorI12hip_bfloat16lEEZNS1_25segmented_radix_sort_implIS3_Lb0EPKS5_PS5_PKlPlN2at6native12_GLOBAL__N_18offset_tEEE10hipError_tPvRmT1_PNSt15iterator_traitsISL_E10value_typeET2_T3_PNSM_ISR_E10value_typeET4_jRbjT5_SX_jjP12ihipStream_tbEUlT_E2_NS1_11comp_targetILNS1_3genE3ELNS1_11target_archE908ELNS1_3gpuE7ELNS1_3repE0EEENS1_30default_config_static_selectorELNS0_4arch9wavefront6targetE1EEEvSL_
		.amdhsa_group_segment_fixed_size 0
		.amdhsa_private_segment_fixed_size 0
		.amdhsa_kernarg_size 80
		.amdhsa_user_sgpr_count 6
		.amdhsa_user_sgpr_private_segment_buffer 1
		.amdhsa_user_sgpr_dispatch_ptr 0
		.amdhsa_user_sgpr_queue_ptr 0
		.amdhsa_user_sgpr_kernarg_segment_ptr 1
		.amdhsa_user_sgpr_dispatch_id 0
		.amdhsa_user_sgpr_flat_scratch_init 0
		.amdhsa_user_sgpr_private_segment_size 0
		.amdhsa_uses_dynamic_stack 0
		.amdhsa_system_sgpr_private_segment_wavefront_offset 0
		.amdhsa_system_sgpr_workgroup_id_x 1
		.amdhsa_system_sgpr_workgroup_id_y 0
		.amdhsa_system_sgpr_workgroup_id_z 0
		.amdhsa_system_sgpr_workgroup_info 0
		.amdhsa_system_vgpr_workitem_id 0
		.amdhsa_next_free_vgpr 1
		.amdhsa_next_free_sgpr 0
		.amdhsa_reserve_vcc 0
		.amdhsa_reserve_flat_scratch 0
		.amdhsa_float_round_mode_32 0
		.amdhsa_float_round_mode_16_64 0
		.amdhsa_float_denorm_mode_32 3
		.amdhsa_float_denorm_mode_16_64 3
		.amdhsa_dx10_clamp 1
		.amdhsa_ieee_mode 1
		.amdhsa_fp16_overflow 0
		.amdhsa_exception_fp_ieee_invalid_op 0
		.amdhsa_exception_fp_denorm_src 0
		.amdhsa_exception_fp_ieee_div_zero 0
		.amdhsa_exception_fp_ieee_overflow 0
		.amdhsa_exception_fp_ieee_underflow 0
		.amdhsa_exception_fp_ieee_inexact 0
		.amdhsa_exception_int_div_zero 0
	.end_amdhsa_kernel
	.section	.text._ZN7rocprim17ROCPRIM_400000_NS6detail17trampoline_kernelINS0_14default_configENS1_36segmented_radix_sort_config_selectorI12hip_bfloat16lEEZNS1_25segmented_radix_sort_implIS3_Lb0EPKS5_PS5_PKlPlN2at6native12_GLOBAL__N_18offset_tEEE10hipError_tPvRmT1_PNSt15iterator_traitsISL_E10value_typeET2_T3_PNSM_ISR_E10value_typeET4_jRbjT5_SX_jjP12ihipStream_tbEUlT_E2_NS1_11comp_targetILNS1_3genE3ELNS1_11target_archE908ELNS1_3gpuE7ELNS1_3repE0EEENS1_30default_config_static_selectorELNS0_4arch9wavefront6targetE1EEEvSL_,"axG",@progbits,_ZN7rocprim17ROCPRIM_400000_NS6detail17trampoline_kernelINS0_14default_configENS1_36segmented_radix_sort_config_selectorI12hip_bfloat16lEEZNS1_25segmented_radix_sort_implIS3_Lb0EPKS5_PS5_PKlPlN2at6native12_GLOBAL__N_18offset_tEEE10hipError_tPvRmT1_PNSt15iterator_traitsISL_E10value_typeET2_T3_PNSM_ISR_E10value_typeET4_jRbjT5_SX_jjP12ihipStream_tbEUlT_E2_NS1_11comp_targetILNS1_3genE3ELNS1_11target_archE908ELNS1_3gpuE7ELNS1_3repE0EEENS1_30default_config_static_selectorELNS0_4arch9wavefront6targetE1EEEvSL_,comdat
.Lfunc_end2082:
	.size	_ZN7rocprim17ROCPRIM_400000_NS6detail17trampoline_kernelINS0_14default_configENS1_36segmented_radix_sort_config_selectorI12hip_bfloat16lEEZNS1_25segmented_radix_sort_implIS3_Lb0EPKS5_PS5_PKlPlN2at6native12_GLOBAL__N_18offset_tEEE10hipError_tPvRmT1_PNSt15iterator_traitsISL_E10value_typeET2_T3_PNSM_ISR_E10value_typeET4_jRbjT5_SX_jjP12ihipStream_tbEUlT_E2_NS1_11comp_targetILNS1_3genE3ELNS1_11target_archE908ELNS1_3gpuE7ELNS1_3repE0EEENS1_30default_config_static_selectorELNS0_4arch9wavefront6targetE1EEEvSL_, .Lfunc_end2082-_ZN7rocprim17ROCPRIM_400000_NS6detail17trampoline_kernelINS0_14default_configENS1_36segmented_radix_sort_config_selectorI12hip_bfloat16lEEZNS1_25segmented_radix_sort_implIS3_Lb0EPKS5_PS5_PKlPlN2at6native12_GLOBAL__N_18offset_tEEE10hipError_tPvRmT1_PNSt15iterator_traitsISL_E10value_typeET2_T3_PNSM_ISR_E10value_typeET4_jRbjT5_SX_jjP12ihipStream_tbEUlT_E2_NS1_11comp_targetILNS1_3genE3ELNS1_11target_archE908ELNS1_3gpuE7ELNS1_3repE0EEENS1_30default_config_static_selectorELNS0_4arch9wavefront6targetE1EEEvSL_
                                        ; -- End function
	.set _ZN7rocprim17ROCPRIM_400000_NS6detail17trampoline_kernelINS0_14default_configENS1_36segmented_radix_sort_config_selectorI12hip_bfloat16lEEZNS1_25segmented_radix_sort_implIS3_Lb0EPKS5_PS5_PKlPlN2at6native12_GLOBAL__N_18offset_tEEE10hipError_tPvRmT1_PNSt15iterator_traitsISL_E10value_typeET2_T3_PNSM_ISR_E10value_typeET4_jRbjT5_SX_jjP12ihipStream_tbEUlT_E2_NS1_11comp_targetILNS1_3genE3ELNS1_11target_archE908ELNS1_3gpuE7ELNS1_3repE0EEENS1_30default_config_static_selectorELNS0_4arch9wavefront6targetE1EEEvSL_.num_vgpr, 0
	.set _ZN7rocprim17ROCPRIM_400000_NS6detail17trampoline_kernelINS0_14default_configENS1_36segmented_radix_sort_config_selectorI12hip_bfloat16lEEZNS1_25segmented_radix_sort_implIS3_Lb0EPKS5_PS5_PKlPlN2at6native12_GLOBAL__N_18offset_tEEE10hipError_tPvRmT1_PNSt15iterator_traitsISL_E10value_typeET2_T3_PNSM_ISR_E10value_typeET4_jRbjT5_SX_jjP12ihipStream_tbEUlT_E2_NS1_11comp_targetILNS1_3genE3ELNS1_11target_archE908ELNS1_3gpuE7ELNS1_3repE0EEENS1_30default_config_static_selectorELNS0_4arch9wavefront6targetE1EEEvSL_.num_agpr, 0
	.set _ZN7rocprim17ROCPRIM_400000_NS6detail17trampoline_kernelINS0_14default_configENS1_36segmented_radix_sort_config_selectorI12hip_bfloat16lEEZNS1_25segmented_radix_sort_implIS3_Lb0EPKS5_PS5_PKlPlN2at6native12_GLOBAL__N_18offset_tEEE10hipError_tPvRmT1_PNSt15iterator_traitsISL_E10value_typeET2_T3_PNSM_ISR_E10value_typeET4_jRbjT5_SX_jjP12ihipStream_tbEUlT_E2_NS1_11comp_targetILNS1_3genE3ELNS1_11target_archE908ELNS1_3gpuE7ELNS1_3repE0EEENS1_30default_config_static_selectorELNS0_4arch9wavefront6targetE1EEEvSL_.numbered_sgpr, 0
	.set _ZN7rocprim17ROCPRIM_400000_NS6detail17trampoline_kernelINS0_14default_configENS1_36segmented_radix_sort_config_selectorI12hip_bfloat16lEEZNS1_25segmented_radix_sort_implIS3_Lb0EPKS5_PS5_PKlPlN2at6native12_GLOBAL__N_18offset_tEEE10hipError_tPvRmT1_PNSt15iterator_traitsISL_E10value_typeET2_T3_PNSM_ISR_E10value_typeET4_jRbjT5_SX_jjP12ihipStream_tbEUlT_E2_NS1_11comp_targetILNS1_3genE3ELNS1_11target_archE908ELNS1_3gpuE7ELNS1_3repE0EEENS1_30default_config_static_selectorELNS0_4arch9wavefront6targetE1EEEvSL_.num_named_barrier, 0
	.set _ZN7rocprim17ROCPRIM_400000_NS6detail17trampoline_kernelINS0_14default_configENS1_36segmented_radix_sort_config_selectorI12hip_bfloat16lEEZNS1_25segmented_radix_sort_implIS3_Lb0EPKS5_PS5_PKlPlN2at6native12_GLOBAL__N_18offset_tEEE10hipError_tPvRmT1_PNSt15iterator_traitsISL_E10value_typeET2_T3_PNSM_ISR_E10value_typeET4_jRbjT5_SX_jjP12ihipStream_tbEUlT_E2_NS1_11comp_targetILNS1_3genE3ELNS1_11target_archE908ELNS1_3gpuE7ELNS1_3repE0EEENS1_30default_config_static_selectorELNS0_4arch9wavefront6targetE1EEEvSL_.private_seg_size, 0
	.set _ZN7rocprim17ROCPRIM_400000_NS6detail17trampoline_kernelINS0_14default_configENS1_36segmented_radix_sort_config_selectorI12hip_bfloat16lEEZNS1_25segmented_radix_sort_implIS3_Lb0EPKS5_PS5_PKlPlN2at6native12_GLOBAL__N_18offset_tEEE10hipError_tPvRmT1_PNSt15iterator_traitsISL_E10value_typeET2_T3_PNSM_ISR_E10value_typeET4_jRbjT5_SX_jjP12ihipStream_tbEUlT_E2_NS1_11comp_targetILNS1_3genE3ELNS1_11target_archE908ELNS1_3gpuE7ELNS1_3repE0EEENS1_30default_config_static_selectorELNS0_4arch9wavefront6targetE1EEEvSL_.uses_vcc, 0
	.set _ZN7rocprim17ROCPRIM_400000_NS6detail17trampoline_kernelINS0_14default_configENS1_36segmented_radix_sort_config_selectorI12hip_bfloat16lEEZNS1_25segmented_radix_sort_implIS3_Lb0EPKS5_PS5_PKlPlN2at6native12_GLOBAL__N_18offset_tEEE10hipError_tPvRmT1_PNSt15iterator_traitsISL_E10value_typeET2_T3_PNSM_ISR_E10value_typeET4_jRbjT5_SX_jjP12ihipStream_tbEUlT_E2_NS1_11comp_targetILNS1_3genE3ELNS1_11target_archE908ELNS1_3gpuE7ELNS1_3repE0EEENS1_30default_config_static_selectorELNS0_4arch9wavefront6targetE1EEEvSL_.uses_flat_scratch, 0
	.set _ZN7rocprim17ROCPRIM_400000_NS6detail17trampoline_kernelINS0_14default_configENS1_36segmented_radix_sort_config_selectorI12hip_bfloat16lEEZNS1_25segmented_radix_sort_implIS3_Lb0EPKS5_PS5_PKlPlN2at6native12_GLOBAL__N_18offset_tEEE10hipError_tPvRmT1_PNSt15iterator_traitsISL_E10value_typeET2_T3_PNSM_ISR_E10value_typeET4_jRbjT5_SX_jjP12ihipStream_tbEUlT_E2_NS1_11comp_targetILNS1_3genE3ELNS1_11target_archE908ELNS1_3gpuE7ELNS1_3repE0EEENS1_30default_config_static_selectorELNS0_4arch9wavefront6targetE1EEEvSL_.has_dyn_sized_stack, 0
	.set _ZN7rocprim17ROCPRIM_400000_NS6detail17trampoline_kernelINS0_14default_configENS1_36segmented_radix_sort_config_selectorI12hip_bfloat16lEEZNS1_25segmented_radix_sort_implIS3_Lb0EPKS5_PS5_PKlPlN2at6native12_GLOBAL__N_18offset_tEEE10hipError_tPvRmT1_PNSt15iterator_traitsISL_E10value_typeET2_T3_PNSM_ISR_E10value_typeET4_jRbjT5_SX_jjP12ihipStream_tbEUlT_E2_NS1_11comp_targetILNS1_3genE3ELNS1_11target_archE908ELNS1_3gpuE7ELNS1_3repE0EEENS1_30default_config_static_selectorELNS0_4arch9wavefront6targetE1EEEvSL_.has_recursion, 0
	.set _ZN7rocprim17ROCPRIM_400000_NS6detail17trampoline_kernelINS0_14default_configENS1_36segmented_radix_sort_config_selectorI12hip_bfloat16lEEZNS1_25segmented_radix_sort_implIS3_Lb0EPKS5_PS5_PKlPlN2at6native12_GLOBAL__N_18offset_tEEE10hipError_tPvRmT1_PNSt15iterator_traitsISL_E10value_typeET2_T3_PNSM_ISR_E10value_typeET4_jRbjT5_SX_jjP12ihipStream_tbEUlT_E2_NS1_11comp_targetILNS1_3genE3ELNS1_11target_archE908ELNS1_3gpuE7ELNS1_3repE0EEENS1_30default_config_static_selectorELNS0_4arch9wavefront6targetE1EEEvSL_.has_indirect_call, 0
	.section	.AMDGPU.csdata,"",@progbits
; Kernel info:
; codeLenInByte = 0
; TotalNumSgprs: 4
; NumVgprs: 0
; ScratchSize: 0
; MemoryBound: 0
; FloatMode: 240
; IeeeMode: 1
; LDSByteSize: 0 bytes/workgroup (compile time only)
; SGPRBlocks: 0
; VGPRBlocks: 0
; NumSGPRsForWavesPerEU: 4
; NumVGPRsForWavesPerEU: 1
; Occupancy: 10
; WaveLimiterHint : 0
; COMPUTE_PGM_RSRC2:SCRATCH_EN: 0
; COMPUTE_PGM_RSRC2:USER_SGPR: 6
; COMPUTE_PGM_RSRC2:TRAP_HANDLER: 0
; COMPUTE_PGM_RSRC2:TGID_X_EN: 1
; COMPUTE_PGM_RSRC2:TGID_Y_EN: 0
; COMPUTE_PGM_RSRC2:TGID_Z_EN: 0
; COMPUTE_PGM_RSRC2:TIDIG_COMP_CNT: 0
	.section	.text._ZN7rocprim17ROCPRIM_400000_NS6detail17trampoline_kernelINS0_14default_configENS1_36segmented_radix_sort_config_selectorI12hip_bfloat16lEEZNS1_25segmented_radix_sort_implIS3_Lb0EPKS5_PS5_PKlPlN2at6native12_GLOBAL__N_18offset_tEEE10hipError_tPvRmT1_PNSt15iterator_traitsISL_E10value_typeET2_T3_PNSM_ISR_E10value_typeET4_jRbjT5_SX_jjP12ihipStream_tbEUlT_E2_NS1_11comp_targetILNS1_3genE2ELNS1_11target_archE906ELNS1_3gpuE6ELNS1_3repE0EEENS1_30default_config_static_selectorELNS0_4arch9wavefront6targetE1EEEvSL_,"axG",@progbits,_ZN7rocprim17ROCPRIM_400000_NS6detail17trampoline_kernelINS0_14default_configENS1_36segmented_radix_sort_config_selectorI12hip_bfloat16lEEZNS1_25segmented_radix_sort_implIS3_Lb0EPKS5_PS5_PKlPlN2at6native12_GLOBAL__N_18offset_tEEE10hipError_tPvRmT1_PNSt15iterator_traitsISL_E10value_typeET2_T3_PNSM_ISR_E10value_typeET4_jRbjT5_SX_jjP12ihipStream_tbEUlT_E2_NS1_11comp_targetILNS1_3genE2ELNS1_11target_archE906ELNS1_3gpuE6ELNS1_3repE0EEENS1_30default_config_static_selectorELNS0_4arch9wavefront6targetE1EEEvSL_,comdat
	.globl	_ZN7rocprim17ROCPRIM_400000_NS6detail17trampoline_kernelINS0_14default_configENS1_36segmented_radix_sort_config_selectorI12hip_bfloat16lEEZNS1_25segmented_radix_sort_implIS3_Lb0EPKS5_PS5_PKlPlN2at6native12_GLOBAL__N_18offset_tEEE10hipError_tPvRmT1_PNSt15iterator_traitsISL_E10value_typeET2_T3_PNSM_ISR_E10value_typeET4_jRbjT5_SX_jjP12ihipStream_tbEUlT_E2_NS1_11comp_targetILNS1_3genE2ELNS1_11target_archE906ELNS1_3gpuE6ELNS1_3repE0EEENS1_30default_config_static_selectorELNS0_4arch9wavefront6targetE1EEEvSL_ ; -- Begin function _ZN7rocprim17ROCPRIM_400000_NS6detail17trampoline_kernelINS0_14default_configENS1_36segmented_radix_sort_config_selectorI12hip_bfloat16lEEZNS1_25segmented_radix_sort_implIS3_Lb0EPKS5_PS5_PKlPlN2at6native12_GLOBAL__N_18offset_tEEE10hipError_tPvRmT1_PNSt15iterator_traitsISL_E10value_typeET2_T3_PNSM_ISR_E10value_typeET4_jRbjT5_SX_jjP12ihipStream_tbEUlT_E2_NS1_11comp_targetILNS1_3genE2ELNS1_11target_archE906ELNS1_3gpuE6ELNS1_3repE0EEENS1_30default_config_static_selectorELNS0_4arch9wavefront6targetE1EEEvSL_
	.p2align	8
	.type	_ZN7rocprim17ROCPRIM_400000_NS6detail17trampoline_kernelINS0_14default_configENS1_36segmented_radix_sort_config_selectorI12hip_bfloat16lEEZNS1_25segmented_radix_sort_implIS3_Lb0EPKS5_PS5_PKlPlN2at6native12_GLOBAL__N_18offset_tEEE10hipError_tPvRmT1_PNSt15iterator_traitsISL_E10value_typeET2_T3_PNSM_ISR_E10value_typeET4_jRbjT5_SX_jjP12ihipStream_tbEUlT_E2_NS1_11comp_targetILNS1_3genE2ELNS1_11target_archE906ELNS1_3gpuE6ELNS1_3repE0EEENS1_30default_config_static_selectorELNS0_4arch9wavefront6targetE1EEEvSL_,@function
_ZN7rocprim17ROCPRIM_400000_NS6detail17trampoline_kernelINS0_14default_configENS1_36segmented_radix_sort_config_selectorI12hip_bfloat16lEEZNS1_25segmented_radix_sort_implIS3_Lb0EPKS5_PS5_PKlPlN2at6native12_GLOBAL__N_18offset_tEEE10hipError_tPvRmT1_PNSt15iterator_traitsISL_E10value_typeET2_T3_PNSM_ISR_E10value_typeET4_jRbjT5_SX_jjP12ihipStream_tbEUlT_E2_NS1_11comp_targetILNS1_3genE2ELNS1_11target_archE906ELNS1_3gpuE6ELNS1_3repE0EEENS1_30default_config_static_selectorELNS0_4arch9wavefront6targetE1EEEvSL_: ; @_ZN7rocprim17ROCPRIM_400000_NS6detail17trampoline_kernelINS0_14default_configENS1_36segmented_radix_sort_config_selectorI12hip_bfloat16lEEZNS1_25segmented_radix_sort_implIS3_Lb0EPKS5_PS5_PKlPlN2at6native12_GLOBAL__N_18offset_tEEE10hipError_tPvRmT1_PNSt15iterator_traitsISL_E10value_typeET2_T3_PNSM_ISR_E10value_typeET4_jRbjT5_SX_jjP12ihipStream_tbEUlT_E2_NS1_11comp_targetILNS1_3genE2ELNS1_11target_archE906ELNS1_3gpuE6ELNS1_3repE0EEENS1_30default_config_static_selectorELNS0_4arch9wavefront6targetE1EEEvSL_
; %bb.0:
	s_add_u32 s0, s0, s8
	s_load_dwordx4 s[8:11], s[4:5], 0x34
	s_addc_u32 s1, s1, 0
	s_mov_b32 s32, 0
	s_waitcnt lgkmcnt(0)
	s_add_i32 s51, s9, s6
	s_add_i32 s80, s11, s6
	s_mul_i32 s51, s51, s8
	s_mul_i32 s80, s80, s10
	s_cmp_le_u32 s80, s51
	s_cbranch_scc1 .LBB2083_678
; %bb.1:
	s_mov_b32 s50, s6
	s_load_dword s6, s[4:5], 0x30
	s_load_dwordx4 s[72:75], s[4:5], 0x20
	s_load_dwordx4 s[76:79], s[4:5], 0x44
	s_load_dwordx8 s[64:71], s[4:5], 0x0
	s_mov_b32 s33, s7
	s_waitcnt lgkmcnt(0)
	s_bitcmp1_b32 s6, 0
	s_cselect_b64 s[54:55], -1, 0
	s_sub_i32 s79, s80, s51
	s_cmpk_lt_u32 s79, 0x801
	s_mov_b64 s[6:7], -1
	s_cbranch_scc0 .LBB2083_15
; %bb.2:
	s_cmp_lt_u32 s79, 33
	s_cbranch_scc0 .LBB2083_9
; %bb.3:
	s_load_dword s6, s[4:5], 0x5c
	s_waitcnt lgkmcnt(0)
	s_lshr_b32 s7, s6, 16
	s_and_b32 s6, s6, 0xffff
	v_mad_u32_u24 v3, v2, s7, v1
	v_mad_u64_u32 v[3:4], s[6:7], v3, s6, v[0:1]
	v_cmp_gt_u32_e32 vcc, 8, v3
	s_and_saveexec_b64 s[26:27], vcc
	s_cbranch_execz .LBB2083_8
; %bb.4:
	s_and_b32 s6, s76, 1
	v_cndmask_b32_e64 v3, 0, 1, s[54:55]
	v_cmp_ne_u32_e32 vcc, s6, v3
	s_mov_b64 s[6:7], -1
	s_cbranch_vccnz .LBB2083_6
; %bb.5:
	s_add_u32 s8, s4, 0x50
	s_mov_b64 s[6:7], src_shared_base
	s_addc_u32 s9, s5, 0
	v_lshlrev_b32_e32 v3, 20, v2
	v_lshlrev_b32_e32 v4, 10, v1
	s_getpc_b64 s[10:11]
	s_add_u32 s10, s10, _ZN7rocprim17ROCPRIM_400000_NS6detail26segmented_warp_sort_helperINS1_20WarpSortHelperConfigILj8ELj4ELj256EEE12hip_bfloat16lLi256ELb0EvE4sortIPKS5_PS5_PKlPlEEvT_T0_T1_T2_jjjjRNS6_12storage_typeE@rel32@lo+4
	s_addc_u32 s11, s11, _ZN7rocprim17ROCPRIM_400000_NS6detail26segmented_warp_sort_helperINS1_20WarpSortHelperConfigILj8ELj4ELj256EEE12hip_bfloat16lLi256ELb0EvE4sortIPKS5_PS5_PKlPlEEvT_T0_T1_T2_jjjjRNS6_12storage_typeE@rel32@hi+12
	v_or3_b32 v31, v0, v4, v3
	s_mov_b32 s12, s50
	s_mov_b32 s13, s33
	v_mov_b32_e32 v40, v0
	v_mov_b32_e32 v0, s64
	;; [unrolled: 1-line block ×15, first 2 shown]
	s_mov_b64 s[28:29], s[4:5]
	s_swappc_b64 s[30:31], s[10:11]
	v_mov_b32_e32 v1, v41
	v_mov_b32_e32 v2, v42
	;; [unrolled: 1-line block ×3, first 2 shown]
	s_mov_b64 s[4:5], s[28:29]
	s_mov_b64 s[6:7], 0
.LBB2083_6:
	s_andn2_b64 vcc, exec, s[6:7]
	s_cbranch_vccnz .LBB2083_8
; %bb.7:
	s_add_u32 s8, s4, 0x50
	s_mov_b64 s[6:7], src_shared_base
	s_addc_u32 s9, s5, 0
	v_lshlrev_b32_e32 v3, 20, v2
	v_lshlrev_b32_e32 v4, 10, v1
	s_getpc_b64 s[10:11]
	s_add_u32 s10, s10, _ZN7rocprim17ROCPRIM_400000_NS6detail26segmented_warp_sort_helperINS1_20WarpSortHelperConfigILj8ELj4ELj256EEE12hip_bfloat16lLi256ELb0EvE4sortIPKS5_PS5_PKlPlEEvT_T0_T1_T2_jjjjRNS6_12storage_typeE@rel32@lo+4
	s_addc_u32 s11, s11, _ZN7rocprim17ROCPRIM_400000_NS6detail26segmented_warp_sort_helperINS1_20WarpSortHelperConfigILj8ELj4ELj256EEE12hip_bfloat16lLi256ELb0EvE4sortIPKS5_PS5_PKlPlEEvT_T0_T1_T2_jjjjRNS6_12storage_typeE@rel32@hi+12
	v_or3_b32 v31, v0, v4, v3
	s_mov_b32 s12, s50
	s_mov_b32 s13, s33
	v_mov_b32_e32 v40, v0
	v_mov_b32_e32 v0, s64
	;; [unrolled: 1-line block ×15, first 2 shown]
	s_mov_b64 s[28:29], s[4:5]
	s_swappc_b64 s[30:31], s[10:11]
	v_mov_b32_e32 v1, v41
	v_mov_b32_e32 v2, v42
	;; [unrolled: 1-line block ×3, first 2 shown]
	s_mov_b64 s[4:5], s[28:29]
.LBB2083_8:
	s_or_b64 exec, exec, s[26:27]
	s_mov_b64 s[6:7], 0
.LBB2083_9:
	s_andn2_b64 vcc, exec, s[6:7]
	s_cbranch_vccnz .LBB2083_14
; %bb.10:
	s_and_b32 s6, s76, 1
	v_cndmask_b32_e64 v3, 0, 1, s[54:55]
	v_cmp_ne_u32_e32 vcc, s6, v3
	s_mov_b64 s[6:7], -1
	v_lshlrev_b32_e32 v41, 20, v2
	v_lshlrev_b32_e32 v42, 10, v1
	s_cbranch_vccnz .LBB2083_12
; %bb.11:
	s_add_u32 s8, s4, 0x50
	s_mov_b64 s[6:7], src_shared_base
	s_addc_u32 s9, s5, 0
	s_getpc_b64 s[10:11]
	s_add_u32 s10, s10, _ZN7rocprim17ROCPRIM_400000_NS6detail40segmented_radix_sort_single_block_helperI12hip_bfloat16lLj256ELj8ELb0EE4sortIPKS3_PS3_PKlPlEEbT_T0_T1_T2_jjjjRNS4_12storage_typeE@rel32@lo+4
	s_addc_u32 s11, s11, _ZN7rocprim17ROCPRIM_400000_NS6detail40segmented_radix_sort_single_block_helperI12hip_bfloat16lLj256ELj8ELb0EE4sortIPKS3_PS3_PKlPlEEbT_T0_T1_T2_jjjjRNS4_12storage_typeE@rel32@hi+12
	v_or3_b32 v31, v0, v42, v41
	s_mov_b32 s12, s50
	s_mov_b32 s13, s33
	v_mov_b32_e32 v40, v0
	v_mov_b32_e32 v0, s64
	;; [unrolled: 1-line block ×17, first 2 shown]
	s_mov_b64 s[34:35], s[4:5]
	s_swappc_b64 s[30:31], s[10:11]
	v_mov_b32_e32 v1, v43
	v_mov_b32_e32 v2, v44
	v_mov_b32_e32 v0, v40
	s_mov_b64 s[4:5], s[34:35]
	s_mov_b64 s[6:7], 0
.LBB2083_12:
	s_andn2_b64 vcc, exec, s[6:7]
	s_cbranch_vccnz .LBB2083_14
; %bb.13:
	s_add_u32 s8, s4, 0x50
	s_mov_b64 s[6:7], src_shared_base
	s_addc_u32 s9, s5, 0
	s_getpc_b64 s[10:11]
	s_add_u32 s10, s10, _ZN7rocprim17ROCPRIM_400000_NS6detail40segmented_radix_sort_single_block_helperI12hip_bfloat16lLj256ELj8ELb0EE4sortIPKS3_PS3_PKlPlEEbT_T0_T1_T2_jjjjRNS4_12storage_typeE@rel32@lo+4
	s_addc_u32 s11, s11, _ZN7rocprim17ROCPRIM_400000_NS6detail40segmented_radix_sort_single_block_helperI12hip_bfloat16lLj256ELj8ELb0EE4sortIPKS3_PS3_PKlPlEEbT_T0_T1_T2_jjjjRNS4_12storage_typeE@rel32@hi+12
	v_or3_b32 v31, v0, v42, v41
	s_mov_b32 s12, s50
	s_mov_b32 s13, s33
	v_mov_b32_e32 v40, v0
	v_mov_b32_e32 v0, s64
	;; [unrolled: 1-line block ×17, first 2 shown]
	s_mov_b64 s[34:35], s[4:5]
	s_swappc_b64 s[30:31], s[10:11]
	v_mov_b32_e32 v1, v41
	v_mov_b32_e32 v2, v42
	;; [unrolled: 1-line block ×3, first 2 shown]
	s_mov_b64 s[4:5], s[34:35]
.LBB2083_14:
	s_mov_b64 s[6:7], 0
.LBB2083_15:
	s_andn2_b64 vcc, exec, s[6:7]
	s_cbranch_vccnz .LBB2083_678
; %bb.16:
	s_cmp_ge_u32 s77, s78
	s_cbranch_scc1 .LBB2083_678
; %bb.17:
	v_and_b32_e32 v4, 3, v0
	s_movk_i32 s6, 0x100
	v_lshlrev_b32_e32 v35, 2, v4
	v_or_b32_e32 v4, 63, v0
	v_lshlrev_b32_e32 v25, 2, v0
	v_lshlrev_b32_e32 v5, 1, v0
	s_mov_b64 s[12:13], s[4:5]
	v_cmp_gt_u32_e64 s[4:5], s6, v0
	v_cmp_eq_u32_e64 s[6:7], v0, v4
	v_lshrrev_b32_e32 v4, 4, v0
	v_mov_b32_e32 v6, s69
	v_add_co_u32_e32 v29, vcc, s68, v5
	v_mad_u32_u24 v36, v0, 12, v25
	v_and_b32_e32 v37, 12, v4
	v_lshlrev_b32_e32 v4, 3, v0
	v_addc_co_u32_e32 v30, vcc, 0, v6, vcc
	v_and_b32_e32 v4, 0x600, v4
	v_add_u32_e32 v41, v36, v25
	v_lshlrev_b32_e32 v6, 4, v0
	v_sub_u32_e32 v42, v41, v6
	v_lshlrev_b32_e32 v6, 3, v4
	v_mov_b32_e32 v7, s75
	v_add_co_u32_e32 v43, vcc, s74, v6
	v_addc_co_u32_e32 v44, vcc, 0, v7, vcc
	v_lshlrev_b32_e32 v7, 1, v4
	v_mov_b32_e32 v8, s69
	v_add_co_u32_e32 v45, vcc, s68, v7
	v_addc_co_u32_e32 v46, vcc, 0, v8, vcc
	v_mov_b32_e32 v8, s67
	v_add_co_u32_e32 v49, vcc, s66, v5
	v_addc_co_u32_e32 v50, vcc, 0, v8, vcc
	v_mov_b32_e32 v8, s73
	v_add_co_u32_e32 v51, vcc, s72, v6
	v_addc_co_u32_e32 v52, vcc, 0, v8, vcc
	v_mov_b32_e32 v8, s67
	v_add_co_u32_e32 v53, vcc, s66, v7
	v_addc_co_u32_e32 v54, vcc, 0, v8, vcc
	v_mov_b32_e32 v8, s65
	v_add_co_u32_e32 v55, vcc, s64, v5
	v_addc_co_u32_e32 v56, vcc, 0, v8, vcc
	v_sub_u32_e32 v47, v42, v5
	v_mov_b32_e32 v5, s71
	v_add_co_u32_e32 v57, vcc, s70, v6
	v_addc_co_u32_e32 v58, vcc, 0, v5, vcc
	v_mov_b32_e32 v5, s65
	v_add_co_u32_e32 v59, vcc, s64, v7
	v_addc_co_u32_e32 v60, vcc, 0, v5, vcc
	v_mbcnt_lo_u32_b32 v5, -1, 0
	v_mbcnt_hi_u32_b32 v66, -1, v5
	v_and_b32_e32 v5, 63, v66
	s_add_u32 s56, s12, 0x50
	s_movk_i32 s14, 0xff
	v_or_b32_e32 v73, v5, v4
	v_mov_b32_e32 v3, 0
	v_or_b32_e32 v26, 0x100, v0
	v_or_b32_e32 v27, 0x200, v0
	;; [unrolled: 1-line block ×8, first 2 shown]
	v_cmp_gt_u32_e64 s[8:9], 4, v0
	v_or_b32_e32 v39, 0x4400, v25
	v_cmp_lt_u32_e64 s[10:11], 63, v0
	v_add_u32_e32 v40, 0x43fc, v37
	s_addc_u32 s57, s13, 0
	s_mov_b32 s59, 0
	v_cmp_eq_u32_e64 s[12:13], 0, v0
	v_cmp_ne_u32_e64 s[14:15], s14, v0
	v_mul_u32_u24_e32 v48, 6, v0
	s_movk_i32 s62, 0x7fff
	v_mov_b32_e32 v61, 1
	v_add_u32_e32 v62, 0x410, v41
	v_add_u32_e32 v63, 0x418, v41
	v_lshlrev_b32_e32 v64, 1, v0
	v_mov_b32_e32 v65, 0xffff8000
	v_and_b32_e32 v67, 15, v66
	v_bfe_i32 v68, v66, 4, 1
	v_and_b32_e32 v69, 16, v66
	v_and_b32_e32 v70, 3, v66
	;; [unrolled: 1-line block ×3, first 2 shown]
	v_lshlrev_b32_e32 v72, 3, v5
	v_or_b32_e32 v74, 64, v73
	v_or_b32_e32 v75, 0x80, v73
	;; [unrolled: 1-line block ×7, first 2 shown]
	v_lshlrev_b32_e32 v81, 1, v5
	s_mov_b32 s63, s77
	s_branch .LBB2083_20
.LBB2083_18:                            ;   in Loop: Header=BB2083_20 Depth=1
	s_waitcnt lgkmcnt(0)
	s_barrier
.LBB2083_19:                            ;   in Loop: Header=BB2083_20 Depth=1
	s_add_i32 s63, s63, 8
	s_cmp_ge_u32 s63, s78
	s_cbranch_scc1 .LBB2083_678
.LBB2083_20:                            ; =>This Loop Header: Depth=1
                                        ;     Child Loop BB2083_24 Depth 2
                                        ;     Child Loop BB2083_72 Depth 2
	;; [unrolled: 1-line block ×8, first 2 shown]
	s_sub_i32 s16, s78, s63
	s_min_u32 s16, s16, 8
	s_lshl_b32 s16, -1, s16
	s_xor_b64 s[54:55], s[54:55], -1
	s_not_b32 s70, s16
	s_cmp_lg_u32 s63, s77
	s_mov_b64 s[16:17], -1
	ds_write2st64_b32 v25, v3, v3 offset1:4
	ds_write2st64_b32 v25, v3, v3 offset0:8 offset1:12
	s_waitcnt lgkmcnt(0)
	s_cbranch_scc0 .LBB2083_350
; %bb.21:                               ;   in Loop: Header=BB2083_20 Depth=1
	s_and_b64 vcc, exec, s[54:55]
	s_cbranch_vccz .LBB2083_185
; %bb.22:                               ;   in Loop: Header=BB2083_20 Depth=1
	s_mov_b32 s20, s79
	s_mov_b32 s58, s51
	s_barrier
                                        ; implicit-def: $vgpr4
                                        ; implicit-def: $vgpr5
                                        ; implicit-def: $vgpr6
                                        ; implicit-def: $vgpr7
                                        ; implicit-def: $vgpr8
                                        ; implicit-def: $vgpr9
                                        ; implicit-def: $vgpr10
                                        ; implicit-def: $vgpr11
	s_branch .LBB2083_24
.LBB2083_23:                            ;   in Loop: Header=BB2083_24 Depth=2
	s_or_b64 exec, exec, s[16:17]
	s_addk_i32 s20, 0xf800
	s_cmp_ge_u32 s21, s80
	s_mov_b32 s58, s21
	s_cbranch_scc1 .LBB2083_60
.LBB2083_24:                            ;   Parent Loop BB2083_20 Depth=1
                                        ; =>  This Inner Loop Header: Depth=2
	s_add_i32 s21, s58, 0x800
	s_cmp_gt_u32 s21, s80
	s_mov_b64 s[16:17], -1
                                        ; implicit-def: $vgpr12
                                        ; implicit-def: $vgpr13
                                        ; implicit-def: $vgpr14
                                        ; implicit-def: $vgpr15
                                        ; implicit-def: $vgpr16
                                        ; implicit-def: $vgpr17
                                        ; implicit-def: $vgpr18
                                        ; implicit-def: $vgpr19
	s_cbranch_scc1 .LBB2083_26
; %bb.25:                               ;   in Loop: Header=BB2083_24 Depth=2
	s_lshl_b64 s[16:17], s[58:59], 1
	v_mov_b32_e32 v12, s17
	v_add_co_u32_e32 v20, vcc, s16, v29
	v_addc_co_u32_e32 v21, vcc, v30, v12, vcc
	global_load_ushort v12, v[20:21], off
	global_load_ushort v13, v[20:21], off offset:512
	global_load_ushort v14, v[20:21], off offset:1024
	;; [unrolled: 1-line block ×7, first 2 shown]
	s_mov_b64 s[16:17], 0
.LBB2083_26:                            ;   in Loop: Header=BB2083_24 Depth=2
	s_andn2_b64 vcc, exec, s[16:17]
	s_movk_i32 s18, 0x800
	s_cbranch_vccnz .LBB2083_37
; %bb.27:                               ;   in Loop: Header=BB2083_24 Depth=2
	s_lshl_b64 s[16:17], s[58:59], 1
	s_add_u32 s16, s68, s16
	s_addc_u32 s17, s69, s17
	v_cmp_gt_u32_e32 vcc, s20, v0
	s_and_saveexec_b64 s[18:19], vcc
	s_cbranch_execnz .LBB2083_53
; %bb.28:                               ;   in Loop: Header=BB2083_24 Depth=2
	s_or_b64 exec, exec, s[18:19]
	v_cmp_gt_u32_e32 vcc, s20, v26
	s_and_saveexec_b64 s[18:19], vcc
	s_cbranch_execnz .LBB2083_54
.LBB2083_29:                            ;   in Loop: Header=BB2083_24 Depth=2
	s_or_b64 exec, exec, s[18:19]
	v_cmp_gt_u32_e32 vcc, s20, v27
	s_and_saveexec_b64 s[18:19], vcc
	s_cbranch_execnz .LBB2083_55
.LBB2083_30:                            ;   in Loop: Header=BB2083_24 Depth=2
	s_or_b64 exec, exec, s[18:19]
	v_cmp_gt_u32_e32 vcc, s20, v28
	s_and_saveexec_b64 s[18:19], vcc
	s_cbranch_execnz .LBB2083_56
.LBB2083_31:                            ;   in Loop: Header=BB2083_24 Depth=2
	s_or_b64 exec, exec, s[18:19]
	v_cmp_gt_u32_e32 vcc, s20, v31
	s_and_saveexec_b64 s[18:19], vcc
	s_cbranch_execnz .LBB2083_57
.LBB2083_32:                            ;   in Loop: Header=BB2083_24 Depth=2
	s_or_b64 exec, exec, s[18:19]
	v_cmp_gt_u32_e32 vcc, s20, v32
	s_and_saveexec_b64 s[18:19], vcc
	s_cbranch_execnz .LBB2083_58
.LBB2083_33:                            ;   in Loop: Header=BB2083_24 Depth=2
	s_or_b64 exec, exec, s[18:19]
	v_cmp_gt_u32_e32 vcc, s20, v33
	s_and_saveexec_b64 s[18:19], vcc
	s_cbranch_execnz .LBB2083_59
.LBB2083_34:                            ;   in Loop: Header=BB2083_24 Depth=2
	s_or_b64 exec, exec, s[18:19]
	v_cmp_gt_u32_e32 vcc, s20, v34
	s_and_saveexec_b64 s[18:19], vcc
	s_cbranch_execz .LBB2083_36
.LBB2083_35:                            ;   in Loop: Header=BB2083_24 Depth=2
	global_load_ushort v4, v64, s[16:17] offset:3584
.LBB2083_36:                            ;   in Loop: Header=BB2083_24 Depth=2
	s_or_b64 exec, exec, s[18:19]
	s_mov_b32 s18, s20
	s_waitcnt vmcnt(0)
	v_mov_b32_e32 v12, v11
	v_mov_b32_e32 v13, v10
	;; [unrolled: 1-line block ×8, first 2 shown]
.LBB2083_37:                            ;   in Loop: Header=BB2083_24 Depth=2
	s_waitcnt vmcnt(0)
	v_mov_b32_e32 v4, v19
	v_mov_b32_e32 v5, v18
	;; [unrolled: 1-line block ×8, first 2 shown]
	v_cmp_gt_u32_e32 vcc, s18, v0
	s_and_saveexec_b64 s[16:17], vcc
	s_cbranch_execnz .LBB2083_45
; %bb.38:                               ;   in Loop: Header=BB2083_24 Depth=2
	s_or_b64 exec, exec, s[16:17]
	v_cmp_gt_u32_e32 vcc, s18, v26
	s_and_saveexec_b64 s[16:17], vcc
	s_cbranch_execnz .LBB2083_46
.LBB2083_39:                            ;   in Loop: Header=BB2083_24 Depth=2
	s_or_b64 exec, exec, s[16:17]
	v_cmp_gt_u32_e32 vcc, s18, v27
	s_and_saveexec_b64 s[16:17], vcc
	s_cbranch_execnz .LBB2083_47
.LBB2083_40:                            ;   in Loop: Header=BB2083_24 Depth=2
	s_or_b64 exec, exec, s[16:17]
	v_cmp_gt_u32_e32 vcc, s18, v28
	s_and_saveexec_b64 s[16:17], vcc
	s_cbranch_execnz .LBB2083_48
.LBB2083_41:                            ;   in Loop: Header=BB2083_24 Depth=2
	s_or_b64 exec, exec, s[16:17]
	v_cmp_gt_u32_e32 vcc, s18, v31
	s_and_saveexec_b64 s[16:17], vcc
	s_cbranch_execnz .LBB2083_49
.LBB2083_42:                            ;   in Loop: Header=BB2083_24 Depth=2
	s_or_b64 exec, exec, s[16:17]
	v_cmp_gt_u32_e32 vcc, s18, v32
	s_and_saveexec_b64 s[16:17], vcc
	s_cbranch_execnz .LBB2083_50
.LBB2083_43:                            ;   in Loop: Header=BB2083_24 Depth=2
	s_or_b64 exec, exec, s[16:17]
	v_cmp_gt_u32_e32 vcc, s18, v33
	s_and_saveexec_b64 s[16:17], vcc
	s_cbranch_execnz .LBB2083_51
.LBB2083_44:                            ;   in Loop: Header=BB2083_24 Depth=2
	s_or_b64 exec, exec, s[16:17]
	v_cmp_gt_u32_e32 vcc, s18, v34
	s_and_saveexec_b64 s[16:17], vcc
	s_cbranch_execz .LBB2083_23
	s_branch .LBB2083_52
.LBB2083_45:                            ;   in Loop: Header=BB2083_24 Depth=2
	v_cmp_lt_i16_e32 vcc, -1, v11
	v_cndmask_b32_e32 v12, -1, v65, vcc
	v_xor_b32_e32 v12, v12, v11
	v_cmp_ne_u16_e32 vcc, s62, v12
	v_cndmask_b32_e32 v12, v65, v12, vcc
	v_lshrrev_b32_sdwa v12, s63, v12 dst_sel:DWORD dst_unused:UNUSED_PAD src0_sel:DWORD src1_sel:WORD_0
	v_and_b32_e32 v12, s70, v12
	v_lshl_or_b32 v12, v12, 4, v35
	ds_add_u32 v12, v61
	s_or_b64 exec, exec, s[16:17]
	v_cmp_gt_u32_e32 vcc, s18, v26
	s_and_saveexec_b64 s[16:17], vcc
	s_cbranch_execz .LBB2083_39
.LBB2083_46:                            ;   in Loop: Header=BB2083_24 Depth=2
	v_cmp_lt_i16_e32 vcc, -1, v10
	v_cndmask_b32_e32 v12, -1, v65, vcc
	v_xor_b32_e32 v12, v12, v10
	v_cmp_ne_u16_e32 vcc, s62, v12
	v_cndmask_b32_e32 v12, v65, v12, vcc
	v_lshrrev_b32_sdwa v12, s63, v12 dst_sel:DWORD dst_unused:UNUSED_PAD src0_sel:DWORD src1_sel:WORD_0
	v_and_b32_e32 v12, s70, v12
	v_lshl_or_b32 v12, v12, 4, v35
	ds_add_u32 v12, v61
	s_or_b64 exec, exec, s[16:17]
	v_cmp_gt_u32_e32 vcc, s18, v27
	s_and_saveexec_b64 s[16:17], vcc
	s_cbranch_execz .LBB2083_40
.LBB2083_47:                            ;   in Loop: Header=BB2083_24 Depth=2
	v_cmp_lt_i16_e32 vcc, -1, v9
	v_cndmask_b32_e32 v12, -1, v65, vcc
	v_xor_b32_e32 v12, v12, v9
	v_cmp_ne_u16_e32 vcc, s62, v12
	v_cndmask_b32_e32 v12, v65, v12, vcc
	v_lshrrev_b32_sdwa v12, s63, v12 dst_sel:DWORD dst_unused:UNUSED_PAD src0_sel:DWORD src1_sel:WORD_0
	v_and_b32_e32 v12, s70, v12
	v_lshl_or_b32 v12, v12, 4, v35
	ds_add_u32 v12, v61
	s_or_b64 exec, exec, s[16:17]
	v_cmp_gt_u32_e32 vcc, s18, v28
	s_and_saveexec_b64 s[16:17], vcc
	s_cbranch_execz .LBB2083_41
.LBB2083_48:                            ;   in Loop: Header=BB2083_24 Depth=2
	v_cmp_lt_i16_e32 vcc, -1, v8
	v_cndmask_b32_e32 v12, -1, v65, vcc
	v_xor_b32_e32 v12, v12, v8
	v_cmp_ne_u16_e32 vcc, s62, v12
	v_cndmask_b32_e32 v12, v65, v12, vcc
	v_lshrrev_b32_sdwa v12, s63, v12 dst_sel:DWORD dst_unused:UNUSED_PAD src0_sel:DWORD src1_sel:WORD_0
	v_and_b32_e32 v12, s70, v12
	v_lshl_or_b32 v12, v12, 4, v35
	ds_add_u32 v12, v61
	s_or_b64 exec, exec, s[16:17]
	v_cmp_gt_u32_e32 vcc, s18, v31
	s_and_saveexec_b64 s[16:17], vcc
	s_cbranch_execz .LBB2083_42
.LBB2083_49:                            ;   in Loop: Header=BB2083_24 Depth=2
	v_cmp_lt_i16_e32 vcc, -1, v7
	v_cndmask_b32_e32 v12, -1, v65, vcc
	v_xor_b32_e32 v12, v12, v7
	v_cmp_ne_u16_e32 vcc, s62, v12
	v_cndmask_b32_e32 v12, v65, v12, vcc
	v_lshrrev_b32_sdwa v12, s63, v12 dst_sel:DWORD dst_unused:UNUSED_PAD src0_sel:DWORD src1_sel:WORD_0
	v_and_b32_e32 v12, s70, v12
	v_lshl_or_b32 v12, v12, 4, v35
	ds_add_u32 v12, v61
	s_or_b64 exec, exec, s[16:17]
	v_cmp_gt_u32_e32 vcc, s18, v32
	s_and_saveexec_b64 s[16:17], vcc
	s_cbranch_execz .LBB2083_43
.LBB2083_50:                            ;   in Loop: Header=BB2083_24 Depth=2
	v_cmp_lt_i16_e32 vcc, -1, v6
	v_cndmask_b32_e32 v12, -1, v65, vcc
	v_xor_b32_e32 v12, v12, v6
	v_cmp_ne_u16_e32 vcc, s62, v12
	v_cndmask_b32_e32 v12, v65, v12, vcc
	v_lshrrev_b32_sdwa v12, s63, v12 dst_sel:DWORD dst_unused:UNUSED_PAD src0_sel:DWORD src1_sel:WORD_0
	v_and_b32_e32 v12, s70, v12
	v_lshl_or_b32 v12, v12, 4, v35
	ds_add_u32 v12, v61
	s_or_b64 exec, exec, s[16:17]
	v_cmp_gt_u32_e32 vcc, s18, v33
	s_and_saveexec_b64 s[16:17], vcc
	s_cbranch_execz .LBB2083_44
.LBB2083_51:                            ;   in Loop: Header=BB2083_24 Depth=2
	v_cmp_lt_i16_e32 vcc, -1, v5
	v_cndmask_b32_e32 v12, -1, v65, vcc
	v_xor_b32_e32 v12, v12, v5
	v_cmp_ne_u16_e32 vcc, s62, v12
	v_cndmask_b32_e32 v12, v65, v12, vcc
	v_lshrrev_b32_sdwa v12, s63, v12 dst_sel:DWORD dst_unused:UNUSED_PAD src0_sel:DWORD src1_sel:WORD_0
	v_and_b32_e32 v12, s70, v12
	v_lshl_or_b32 v12, v12, 4, v35
	ds_add_u32 v12, v61
	s_or_b64 exec, exec, s[16:17]
	v_cmp_gt_u32_e32 vcc, s18, v34
	s_and_saveexec_b64 s[16:17], vcc
	s_cbranch_execz .LBB2083_23
.LBB2083_52:                            ;   in Loop: Header=BB2083_24 Depth=2
	v_cmp_lt_i16_e32 vcc, -1, v4
	v_cndmask_b32_e32 v12, -1, v65, vcc
	v_xor_b32_e32 v12, v12, v4
	v_cmp_ne_u16_e32 vcc, s62, v12
	v_cndmask_b32_e32 v12, v65, v12, vcc
	v_lshrrev_b32_sdwa v12, s63, v12 dst_sel:DWORD dst_unused:UNUSED_PAD src0_sel:DWORD src1_sel:WORD_0
	v_and_b32_e32 v12, s70, v12
	v_lshl_or_b32 v12, v12, 4, v35
	ds_add_u32 v12, v61
	s_branch .LBB2083_23
.LBB2083_53:                            ;   in Loop: Header=BB2083_24 Depth=2
	global_load_ushort v11, v64, s[16:17]
	s_or_b64 exec, exec, s[18:19]
	v_cmp_gt_u32_e32 vcc, s20, v26
	s_and_saveexec_b64 s[18:19], vcc
	s_cbranch_execz .LBB2083_29
.LBB2083_54:                            ;   in Loop: Header=BB2083_24 Depth=2
	global_load_ushort v10, v64, s[16:17] offset:512
	s_or_b64 exec, exec, s[18:19]
	v_cmp_gt_u32_e32 vcc, s20, v27
	s_and_saveexec_b64 s[18:19], vcc
	s_cbranch_execz .LBB2083_30
.LBB2083_55:                            ;   in Loop: Header=BB2083_24 Depth=2
	global_load_ushort v9, v64, s[16:17] offset:1024
	s_or_b64 exec, exec, s[18:19]
	v_cmp_gt_u32_e32 vcc, s20, v28
	s_and_saveexec_b64 s[18:19], vcc
	s_cbranch_execz .LBB2083_31
.LBB2083_56:                            ;   in Loop: Header=BB2083_24 Depth=2
	global_load_ushort v8, v64, s[16:17] offset:1536
	s_or_b64 exec, exec, s[18:19]
	v_cmp_gt_u32_e32 vcc, s20, v31
	s_and_saveexec_b64 s[18:19], vcc
	s_cbranch_execz .LBB2083_32
.LBB2083_57:                            ;   in Loop: Header=BB2083_24 Depth=2
	global_load_ushort v7, v64, s[16:17] offset:2048
	s_or_b64 exec, exec, s[18:19]
	v_cmp_gt_u32_e32 vcc, s20, v32
	s_and_saveexec_b64 s[18:19], vcc
	s_cbranch_execz .LBB2083_33
.LBB2083_58:                            ;   in Loop: Header=BB2083_24 Depth=2
	global_load_ushort v6, v64, s[16:17] offset:2560
	s_or_b64 exec, exec, s[18:19]
	v_cmp_gt_u32_e32 vcc, s20, v33
	s_and_saveexec_b64 s[18:19], vcc
	s_cbranch_execz .LBB2083_34
.LBB2083_59:                            ;   in Loop: Header=BB2083_24 Depth=2
	global_load_ushort v5, v64, s[16:17] offset:3072
	s_or_b64 exec, exec, s[18:19]
	v_cmp_gt_u32_e32 vcc, s20, v34
	s_and_saveexec_b64 s[18:19], vcc
	s_cbranch_execnz .LBB2083_35
	s_branch .LBB2083_36
.LBB2083_60:                            ;   in Loop: Header=BB2083_20 Depth=1
	v_mov_b32_e32 v4, 0
	s_waitcnt lgkmcnt(0)
	s_barrier
	s_and_saveexec_b64 s[16:17], s[4:5]
	s_cbranch_execz .LBB2083_62
; %bb.61:                               ;   in Loop: Header=BB2083_20 Depth=1
	ds_read2_b64 v[4:7], v36 offset1:1
	s_waitcnt lgkmcnt(0)
	v_add_u32_e32 v4, v5, v4
	v_add3_u32 v4, v4, v6, v7
.LBB2083_62:                            ;   in Loop: Header=BB2083_20 Depth=1
	s_or_b64 exec, exec, s[16:17]
	s_nop 0
	v_mov_b32_dpp v5, v4 row_shr:1 row_mask:0xf bank_mask:0xf
	v_cmp_eq_u32_e64 s[16:17], 0, v67
	v_cndmask_b32_e64 v5, v5, 0, s[16:17]
	v_add_u32_e32 v4, v5, v4
	v_cmp_lt_u32_e64 s[18:19], 1, v67
	v_cmp_lt_u32_e64 s[20:21], 3, v67
	v_mov_b32_dpp v5, v4 row_shr:2 row_mask:0xf bank_mask:0xf
	v_cndmask_b32_e64 v5, 0, v5, s[18:19]
	v_add_u32_e32 v4, v4, v5
	v_cmp_lt_u32_e64 s[22:23], 7, v67
	v_cmp_lt_u32_e64 s[26:27], 31, v66
	v_mov_b32_dpp v5, v4 row_shr:4 row_mask:0xf bank_mask:0xf
	v_cndmask_b32_e64 v5, 0, v5, s[20:21]
	v_add_u32_e32 v4, v4, v5
	v_cmp_eq_u32_e64 s[24:25], 0, v69
	s_nop 0
	v_mov_b32_dpp v5, v4 row_shr:8 row_mask:0xf bank_mask:0xf
	v_cndmask_b32_e64 v5, 0, v5, s[22:23]
	v_add_u32_e32 v4, v4, v5
	s_nop 1
	v_mov_b32_dpp v5, v4 row_bcast:15 row_mask:0xf bank_mask:0xf
	v_and_b32_e32 v5, v68, v5
	v_add_u32_e32 v4, v4, v5
	s_nop 1
	v_mov_b32_dpp v5, v4 row_bcast:31 row_mask:0xf bank_mask:0xf
	v_cndmask_b32_e64 v5, 0, v5, s[26:27]
	v_add_u32_e32 v4, v4, v5
	s_and_saveexec_b64 s[28:29], s[6:7]
; %bb.63:                               ;   in Loop: Header=BB2083_20 Depth=1
	ds_write_b32 v38, v4
; %bb.64:                               ;   in Loop: Header=BB2083_20 Depth=1
	s_or_b64 exec, exec, s[28:29]
	s_waitcnt lgkmcnt(0)
	s_barrier
	s_and_saveexec_b64 s[28:29], s[8:9]
	s_cbranch_execz .LBB2083_66
; %bb.65:                               ;   in Loop: Header=BB2083_20 Depth=1
	ds_read_b32 v5, v39
	v_cmp_ne_u32_e32 vcc, 0, v70
	s_waitcnt lgkmcnt(0)
	v_mov_b32_dpp v6, v5 row_shr:1 row_mask:0xf bank_mask:0xf
	v_cndmask_b32_e32 v6, 0, v6, vcc
	v_add_u32_e32 v5, v6, v5
	v_cmp_lt_u32_e32 vcc, 1, v70
	s_nop 0
	v_mov_b32_dpp v6, v5 row_shr:2 row_mask:0xf bank_mask:0xf
	v_cndmask_b32_e32 v6, 0, v6, vcc
	v_add_u32_e32 v5, v5, v6
	ds_write_b32 v39, v5
.LBB2083_66:                            ;   in Loop: Header=BB2083_20 Depth=1
	s_or_b64 exec, exec, s[28:29]
	v_mov_b32_e32 v5, 0
	s_waitcnt lgkmcnt(0)
	s_barrier
	s_and_saveexec_b64 s[28:29], s[10:11]
; %bb.67:                               ;   in Loop: Header=BB2083_20 Depth=1
	ds_read_b32 v5, v40
; %bb.68:                               ;   in Loop: Header=BB2083_20 Depth=1
	s_or_b64 exec, exec, s[28:29]
	v_subrev_co_u32_e64 v6, s[28:29], 1, v66
	v_cmp_lt_i32_e32 vcc, v6, v71
	v_cndmask_b32_e32 v6, v6, v66, vcc
	s_waitcnt lgkmcnt(0)
	v_add_u32_e32 v4, v5, v4
	v_lshlrev_b32_e32 v82, 2, v6
	ds_bpermute_b32 v4, v82, v4
	s_waitcnt lgkmcnt(0)
	s_barrier
	s_and_saveexec_b64 s[30:31], s[4:5]
; %bb.69:                               ;   in Loop: Header=BB2083_20 Depth=1
	v_cndmask_b32_e64 v4, v4, v5, s[28:29]
	v_add_u32_e32 v4, s51, v4
	ds_write_b32 v25, v4
; %bb.70:                               ;   in Loop: Header=BB2083_20 Depth=1
	s_or_b64 exec, exec, s[30:31]
	s_load_dword s30, s[56:57], 0x4
	s_load_dword s36, s[56:57], 0xc
	v_add_co_u32_e32 v83, vcc, v43, v72
	v_addc_co_u32_e32 v84, vcc, 0, v44, vcc
	s_waitcnt lgkmcnt(0)
	s_cmp_lt_u32 s33, s30
	s_cselect_b32 s30, 14, 20
	s_add_u32 s30, s56, s30
	s_addc_u32 s31, s57, 0
	global_load_ushort v4, v3, s[30:31]
	s_and_b32 s36, s36, 0xffff
	v_add_co_u32_e32 v85, vcc, v45, v81
	v_cmp_eq_u32_e64 s[30:31], 0, v70
	v_cmp_lt_u32_e64 s[34:35], 1, v70
	v_addc_co_u32_e32 v86, vcc, 0, v46, vcc
	s_mov_b32 s71, s79
	s_mov_b32 s58, s51
                                        ; implicit-def: $vgpr7_vgpr8
                                        ; implicit-def: $vgpr9_vgpr10
                                        ; implicit-def: $vgpr11_vgpr12
                                        ; implicit-def: $vgpr13_vgpr14
                                        ; implicit-def: $vgpr15_vgpr16
                                        ; implicit-def: $vgpr17_vgpr18
                                        ; implicit-def: $vgpr19_vgpr20
                                        ; implicit-def: $vgpr87
                                        ; implicit-def: $vgpr88
                                        ; implicit-def: $vgpr89
                                        ; implicit-def: $vgpr90
                                        ; implicit-def: $vgpr92
                                        ; implicit-def: $vgpr93
                                        ; implicit-def: $vgpr94
                                        ; implicit-def: $vgpr95
	s_waitcnt vmcnt(0)
	v_mad_u32_u24 v4, v2, v4, v1
	v_mad_u64_u32 v[4:5], s[36:37], v4, s36, v[0:1]
                                        ; implicit-def: $vgpr5_vgpr6
	v_lshrrev_b32_e32 v4, 4, v4
	v_and_b32_e32 v91, 0xffffffc, v4
	s_branch .LBB2083_72
.LBB2083_71:                            ;   in Loop: Header=BB2083_72 Depth=2
	s_or_b64 exec, exec, s[36:37]
	s_addk_i32 s71, 0xf800
	s_cmp_lt_u32 s76, s80
	s_mov_b32 s58, s76
	s_cbranch_scc0 .LBB2083_184
.LBB2083_72:                            ;   Parent Loop BB2083_20 Depth=1
                                        ; =>  This Inner Loop Header: Depth=2
	s_add_i32 s76, s58, 0x800
	s_cmp_gt_u32 s76, s80
	s_cbranch_scc1 .LBB2083_74
; %bb.73:                               ;   in Loop: Header=BB2083_72 Depth=2
	s_lshl_b64 s[36:37], s[58:59], 1
	v_mov_b32_e32 v4, s37
	v_add_co_u32_e32 v21, vcc, s36, v85
	v_addc_co_u32_e32 v22, vcc, v86, v4, vcc
	global_load_ushort v4, v[21:22], off
	global_load_ushort v99, v[21:22], off offset:128
	global_load_ushort v103, v[21:22], off offset:256
	;; [unrolled: 1-line block ×6, first 2 shown]
	s_mov_b64 s[36:37], -1
	s_movk_i32 s40, 0x800
	s_cbranch_execz .LBB2083_75
	s_branch .LBB2083_90
.LBB2083_74:                            ;   in Loop: Header=BB2083_72 Depth=2
	s_mov_b64 s[36:37], 0
                                        ; implicit-def: $vgpr4
                                        ; implicit-def: $vgpr99
                                        ; implicit-def: $vgpr103
                                        ; implicit-def: $vgpr107
                                        ; implicit-def: $vgpr112
                                        ; implicit-def: $vgpr108
                                        ; implicit-def: $vgpr24
	s_movk_i32 s40, 0x800
.LBB2083_75:                            ;   in Loop: Header=BB2083_72 Depth=2
	s_lshl_b64 s[36:37], s[58:59], 1
	s_waitcnt vmcnt(6)
	v_mov_b32_e32 v4, s37
	v_add_co_u32_e32 v21, vcc, s36, v85
	v_addc_co_u32_e32 v22, vcc, v86, v4, vcc
	v_cmp_gt_u32_e32 vcc, s71, v73
	s_waitcnt vmcnt(5)
	v_mov_b32_e32 v99, 0x7fff
	v_mov_b32_e32 v4, 0x7fff
	s_and_saveexec_b64 s[36:37], vcc
	s_cbranch_execz .LBB2083_77
; %bb.76:                               ;   in Loop: Header=BB2083_72 Depth=2
	global_load_ushort v4, v[21:22], off
.LBB2083_77:                            ;   in Loop: Header=BB2083_72 Depth=2
	s_or_b64 exec, exec, s[36:37]
	v_cmp_gt_u32_e32 vcc, s71, v74
	s_and_saveexec_b64 s[36:37], vcc
	s_cbranch_execz .LBB2083_79
; %bb.78:                               ;   in Loop: Header=BB2083_72 Depth=2
	global_load_ushort v99, v[21:22], off offset:128
.LBB2083_79:                            ;   in Loop: Header=BB2083_72 Depth=2
	s_or_b64 exec, exec, s[36:37]
	v_cmp_gt_u32_e32 vcc, s71, v75
	s_waitcnt vmcnt(3)
	v_mov_b32_e32 v107, 0x7fff
	v_mov_b32_e32 v103, 0x7fff
	s_and_saveexec_b64 s[36:37], vcc
	s_cbranch_execz .LBB2083_81
; %bb.80:                               ;   in Loop: Header=BB2083_72 Depth=2
	global_load_ushort v103, v[21:22], off offset:256
.LBB2083_81:                            ;   in Loop: Header=BB2083_72 Depth=2
	s_or_b64 exec, exec, s[36:37]
	v_cmp_gt_u32_e32 vcc, s71, v76
	s_and_saveexec_b64 s[36:37], vcc
	s_cbranch_execz .LBB2083_83
; %bb.82:                               ;   in Loop: Header=BB2083_72 Depth=2
	global_load_ushort v107, v[21:22], off offset:384
.LBB2083_83:                            ;   in Loop: Header=BB2083_72 Depth=2
	s_or_b64 exec, exec, s[36:37]
	v_cmp_gt_u32_e32 vcc, s71, v77
	s_waitcnt vmcnt(1)
	v_mov_b32_e32 v108, 0x7fff
	v_mov_b32_e32 v112, 0x7fff
	s_and_saveexec_b64 s[36:37], vcc
	s_cbranch_execz .LBB2083_85
; %bb.84:                               ;   in Loop: Header=BB2083_72 Depth=2
	global_load_ushort v112, v[21:22], off offset:512
.LBB2083_85:                            ;   in Loop: Header=BB2083_72 Depth=2
	s_or_b64 exec, exec, s[36:37]
	v_cmp_gt_u32_e32 vcc, s71, v78
	s_and_saveexec_b64 s[36:37], vcc
	s_cbranch_execz .LBB2083_87
; %bb.86:                               ;   in Loop: Header=BB2083_72 Depth=2
	global_load_ushort v108, v[21:22], off offset:640
.LBB2083_87:                            ;   in Loop: Header=BB2083_72 Depth=2
	s_or_b64 exec, exec, s[36:37]
	v_cmp_gt_u32_e32 vcc, s71, v79
	s_waitcnt vmcnt(0)
	v_mov_b32_e32 v24, 0x7fff
	s_and_saveexec_b64 s[36:37], vcc
	s_cbranch_execz .LBB2083_89
; %bb.88:                               ;   in Loop: Header=BB2083_72 Depth=2
	global_load_ushort v24, v[21:22], off offset:768
.LBB2083_89:                            ;   in Loop: Header=BB2083_72 Depth=2
	s_or_b64 exec, exec, s[36:37]
	s_sub_i32 s40, s80, s58
	v_cmp_gt_u32_e64 s[36:37], s71, v80
.LBB2083_90:                            ;   in Loop: Header=BB2083_72 Depth=2
	v_mov_b32_e32 v23, 0x7fff
	v_mov_b32_e32 v96, s71
	s_and_saveexec_b64 s[38:39], s[36:37]
	s_cbranch_execz .LBB2083_92
; %bb.91:                               ;   in Loop: Header=BB2083_72 Depth=2
	s_lshl_b64 s[36:37], s[58:59], 1
	v_mov_b32_e32 v22, s37
	v_add_co_u32_e32 v21, vcc, s36, v85
	v_addc_co_u32_e32 v22, vcc, v86, v22, vcc
	global_load_ushort v23, v[21:22], off offset:896
	v_mov_b32_e32 v96, s40
.LBB2083_92:                            ;   in Loop: Header=BB2083_72 Depth=2
	s_or_b64 exec, exec, s[38:39]
	s_waitcnt vmcnt(6)
	v_cmp_lt_i16_e32 vcc, -1, v4
	v_cndmask_b32_e32 v21, -1, v65, vcc
	v_xor_b32_e32 v97, v21, v4
	v_cmp_ne_u16_e32 vcc, s62, v97
	v_cndmask_b32_e32 v4, v65, v97, vcc
	v_lshrrev_b32_sdwa v4, s63, v4 dst_sel:DWORD dst_unused:UNUSED_PAD src0_sel:DWORD src1_sel:WORD_0
	v_and_b32_e32 v21, s70, v4
	v_and_b32_e32 v4, 1, v21
	v_add_co_u32_e32 v22, vcc, -1, v4
	v_addc_co_u32_e64 v98, s[36:37], 0, -1, vcc
	v_cmp_ne_u32_e32 vcc, 0, v4
	v_xor_b32_e32 v4, vcc_hi, v98
	v_and_b32_e32 v98, exec_hi, v4
	v_lshlrev_b32_e32 v4, 30, v21
	v_xor_b32_e32 v22, vcc_lo, v22
	v_cmp_gt_i64_e32 vcc, 0, v[3:4]
	v_not_b32_e32 v4, v4
	v_ashrrev_i32_e32 v4, 31, v4
	v_and_b32_e32 v22, exec_lo, v22
	v_xor_b32_e32 v101, vcc_hi, v4
	v_xor_b32_e32 v4, vcc_lo, v4
	v_and_b32_e32 v22, v22, v4
	v_lshlrev_b32_e32 v4, 29, v21
	v_cmp_gt_i64_e32 vcc, 0, v[3:4]
	v_not_b32_e32 v4, v4
	v_ashrrev_i32_e32 v4, 31, v4
	v_and_b32_e32 v98, v98, v101
	v_xor_b32_e32 v101, vcc_hi, v4
	v_xor_b32_e32 v4, vcc_lo, v4
	v_and_b32_e32 v22, v22, v4
	v_lshlrev_b32_e32 v4, 28, v21
	v_cmp_gt_i64_e32 vcc, 0, v[3:4]
	v_not_b32_e32 v4, v4
	v_ashrrev_i32_e32 v4, 31, v4
	v_and_b32_e32 v98, v98, v101
	;; [unrolled: 8-line block ×5, first 2 shown]
	v_xor_b32_e32 v101, vcc_hi, v4
	v_xor_b32_e32 v4, vcc_lo, v4
	v_and_b32_e32 v98, v98, v101
	v_and_b32_e32 v101, v22, v4
	v_lshlrev_b32_e32 v4, 24, v21
	v_cmp_gt_i64_e32 vcc, 0, v[3:4]
	v_not_b32_e32 v4, v4
	v_ashrrev_i32_e32 v4, 31, v4
	v_mul_u32_u24_e32 v100, 20, v21
	v_xor_b32_e32 v21, vcc_hi, v4
	v_xor_b32_e32 v4, vcc_lo, v4
	v_and_b32_e32 v22, v98, v21
	v_and_b32_e32 v21, v101, v4
	v_mbcnt_lo_u32_b32 v4, v21, 0
	v_mbcnt_hi_u32_b32 v98, v22, v4
	v_cmp_ne_u64_e32 vcc, 0, v[21:22]
	v_cmp_eq_u32_e64 s[36:37], 0, v98
	s_and_b64 s[38:39], vcc, s[36:37]
	v_add_u32_e32 v101, v91, v100
	ds_write2_b32 v62, v3, v3 offset1:1
	ds_write2_b32 v63, v3, v3 offset1:1
	ds_write_b32 v41, v3 offset:1056
	s_waitcnt vmcnt(0) lgkmcnt(0)
	s_barrier
	; wave barrier
	s_and_saveexec_b64 s[36:37], s[38:39]
; %bb.93:                               ;   in Loop: Header=BB2083_72 Depth=2
	v_bcnt_u32_b32 v4, v21, 0
	v_bcnt_u32_b32 v4, v22, v4
	ds_write_b32 v101, v4 offset:1040
; %bb.94:                               ;   in Loop: Header=BB2083_72 Depth=2
	s_or_b64 exec, exec, s[36:37]
	v_cmp_lt_i16_e32 vcc, -1, v99
	v_cndmask_b32_e32 v4, -1, v65, vcc
	v_xor_b32_e32 v99, v4, v99
	v_cmp_ne_u16_e32 vcc, s62, v99
	v_cndmask_b32_e32 v4, v65, v99, vcc
	v_lshrrev_b32_sdwa v4, s63, v4 dst_sel:DWORD dst_unused:UNUSED_PAD src0_sel:DWORD src1_sel:WORD_0
	v_and_b32_e32 v21, s70, v4
	v_mad_u32_u24 v4, v21, 20, v91
	; wave barrier
	ds_read_b32 v100, v4 offset:1040
	v_and_b32_e32 v4, 1, v21
	v_add_co_u32_e32 v22, vcc, -1, v4
	v_addc_co_u32_e64 v102, s[36:37], 0, -1, vcc
	v_cmp_ne_u32_e32 vcc, 0, v4
	v_xor_b32_e32 v4, vcc_hi, v102
	v_and_b32_e32 v102, exec_hi, v4
	v_lshlrev_b32_e32 v4, 30, v21
	v_xor_b32_e32 v22, vcc_lo, v22
	v_cmp_gt_i64_e32 vcc, 0, v[3:4]
	v_not_b32_e32 v4, v4
	v_ashrrev_i32_e32 v4, 31, v4
	v_and_b32_e32 v22, exec_lo, v22
	v_xor_b32_e32 v105, vcc_hi, v4
	v_xor_b32_e32 v4, vcc_lo, v4
	v_and_b32_e32 v22, v22, v4
	v_lshlrev_b32_e32 v4, 29, v21
	v_cmp_gt_i64_e32 vcc, 0, v[3:4]
	v_not_b32_e32 v4, v4
	v_ashrrev_i32_e32 v4, 31, v4
	v_and_b32_e32 v102, v102, v105
	v_xor_b32_e32 v105, vcc_hi, v4
	v_xor_b32_e32 v4, vcc_lo, v4
	v_and_b32_e32 v22, v22, v4
	v_lshlrev_b32_e32 v4, 28, v21
	v_cmp_gt_i64_e32 vcc, 0, v[3:4]
	v_not_b32_e32 v4, v4
	v_ashrrev_i32_e32 v4, 31, v4
	v_and_b32_e32 v102, v102, v105
	;; [unrolled: 8-line block ×5, first 2 shown]
	v_xor_b32_e32 v105, vcc_hi, v4
	v_xor_b32_e32 v4, vcc_lo, v4
	v_and_b32_e32 v102, v102, v105
	v_and_b32_e32 v105, v22, v4
	v_lshlrev_b32_e32 v4, 24, v21
	v_cmp_gt_i64_e32 vcc, 0, v[3:4]
	v_not_b32_e32 v4, v4
	v_ashrrev_i32_e32 v4, 31, v4
	v_mul_u32_u24_e32 v104, 20, v21
	v_xor_b32_e32 v21, vcc_hi, v4
	v_xor_b32_e32 v4, vcc_lo, v4
	v_and_b32_e32 v22, v102, v21
	v_and_b32_e32 v21, v105, v4
	v_mbcnt_lo_u32_b32 v4, v21, 0
	v_mbcnt_hi_u32_b32 v102, v22, v4
	v_cmp_ne_u64_e32 vcc, 0, v[21:22]
	v_cmp_eq_u32_e64 s[36:37], 0, v102
	s_and_b64 s[38:39], vcc, s[36:37]
	v_add_u32_e32 v105, v91, v104
	; wave barrier
	s_and_saveexec_b64 s[36:37], s[38:39]
	s_cbranch_execz .LBB2083_96
; %bb.95:                               ;   in Loop: Header=BB2083_72 Depth=2
	v_bcnt_u32_b32 v4, v21, 0
	v_bcnt_u32_b32 v4, v22, v4
	s_waitcnt lgkmcnt(0)
	v_add_u32_e32 v4, v100, v4
	ds_write_b32 v105, v4 offset:1040
.LBB2083_96:                            ;   in Loop: Header=BB2083_72 Depth=2
	s_or_b64 exec, exec, s[36:37]
	v_cmp_lt_i16_e32 vcc, -1, v103
	v_cndmask_b32_e32 v4, -1, v65, vcc
	v_xor_b32_e32 v103, v4, v103
	v_cmp_ne_u16_e32 vcc, s62, v103
	v_cndmask_b32_e32 v4, v65, v103, vcc
	v_lshrrev_b32_sdwa v4, s63, v4 dst_sel:DWORD dst_unused:UNUSED_PAD src0_sel:DWORD src1_sel:WORD_0
	v_and_b32_e32 v21, s70, v4
	v_mad_u32_u24 v4, v21, 20, v91
	; wave barrier
	ds_read_b32 v104, v4 offset:1040
	v_and_b32_e32 v4, 1, v21
	v_add_co_u32_e32 v22, vcc, -1, v4
	v_addc_co_u32_e64 v106, s[36:37], 0, -1, vcc
	v_cmp_ne_u32_e32 vcc, 0, v4
	v_xor_b32_e32 v4, vcc_hi, v106
	v_and_b32_e32 v106, exec_hi, v4
	v_lshlrev_b32_e32 v4, 30, v21
	v_xor_b32_e32 v22, vcc_lo, v22
	v_cmp_gt_i64_e32 vcc, 0, v[3:4]
	v_not_b32_e32 v4, v4
	v_ashrrev_i32_e32 v4, 31, v4
	v_and_b32_e32 v22, exec_lo, v22
	v_xor_b32_e32 v110, vcc_hi, v4
	v_xor_b32_e32 v4, vcc_lo, v4
	v_and_b32_e32 v22, v22, v4
	v_lshlrev_b32_e32 v4, 29, v21
	v_cmp_gt_i64_e32 vcc, 0, v[3:4]
	v_not_b32_e32 v4, v4
	v_ashrrev_i32_e32 v4, 31, v4
	v_and_b32_e32 v106, v106, v110
	v_xor_b32_e32 v110, vcc_hi, v4
	v_xor_b32_e32 v4, vcc_lo, v4
	v_and_b32_e32 v22, v22, v4
	v_lshlrev_b32_e32 v4, 28, v21
	v_cmp_gt_i64_e32 vcc, 0, v[3:4]
	v_not_b32_e32 v4, v4
	v_ashrrev_i32_e32 v4, 31, v4
	v_and_b32_e32 v106, v106, v110
	;; [unrolled: 8-line block ×5, first 2 shown]
	v_xor_b32_e32 v110, vcc_hi, v4
	v_xor_b32_e32 v4, vcc_lo, v4
	v_and_b32_e32 v106, v106, v110
	v_and_b32_e32 v110, v22, v4
	v_lshlrev_b32_e32 v4, 24, v21
	v_cmp_gt_i64_e32 vcc, 0, v[3:4]
	v_not_b32_e32 v4, v4
	v_ashrrev_i32_e32 v4, 31, v4
	v_mul_u32_u24_e32 v109, 20, v21
	v_xor_b32_e32 v21, vcc_hi, v4
	v_xor_b32_e32 v4, vcc_lo, v4
	v_and_b32_e32 v22, v106, v21
	v_and_b32_e32 v21, v110, v4
	v_mbcnt_lo_u32_b32 v4, v21, 0
	v_mbcnt_hi_u32_b32 v106, v22, v4
	v_cmp_ne_u64_e32 vcc, 0, v[21:22]
	v_cmp_eq_u32_e64 s[36:37], 0, v106
	s_and_b64 s[38:39], vcc, s[36:37]
	v_add_u32_e32 v110, v91, v109
	; wave barrier
	s_and_saveexec_b64 s[36:37], s[38:39]
	s_cbranch_execz .LBB2083_98
; %bb.97:                               ;   in Loop: Header=BB2083_72 Depth=2
	v_bcnt_u32_b32 v4, v21, 0
	v_bcnt_u32_b32 v4, v22, v4
	s_waitcnt lgkmcnt(0)
	v_add_u32_e32 v4, v104, v4
	ds_write_b32 v110, v4 offset:1040
.LBB2083_98:                            ;   in Loop: Header=BB2083_72 Depth=2
	s_or_b64 exec, exec, s[36:37]
	v_cmp_lt_i16_e32 vcc, -1, v107
	v_cndmask_b32_e32 v4, -1, v65, vcc
	v_xor_b32_e32 v107, v4, v107
	v_cmp_ne_u16_e32 vcc, s62, v107
	v_cndmask_b32_e32 v4, v65, v107, vcc
	v_lshrrev_b32_sdwa v4, s63, v4 dst_sel:DWORD dst_unused:UNUSED_PAD src0_sel:DWORD src1_sel:WORD_0
	v_and_b32_e32 v21, s70, v4
	v_mad_u32_u24 v4, v21, 20, v91
	; wave barrier
	ds_read_b32 v109, v4 offset:1040
	v_and_b32_e32 v4, 1, v21
	v_add_co_u32_e32 v22, vcc, -1, v4
	v_addc_co_u32_e64 v111, s[36:37], 0, -1, vcc
	v_cmp_ne_u32_e32 vcc, 0, v4
	v_xor_b32_e32 v4, vcc_hi, v111
	v_and_b32_e32 v111, exec_hi, v4
	v_lshlrev_b32_e32 v4, 30, v21
	v_xor_b32_e32 v22, vcc_lo, v22
	v_cmp_gt_i64_e32 vcc, 0, v[3:4]
	v_not_b32_e32 v4, v4
	v_ashrrev_i32_e32 v4, 31, v4
	v_and_b32_e32 v22, exec_lo, v22
	v_xor_b32_e32 v114, vcc_hi, v4
	v_xor_b32_e32 v4, vcc_lo, v4
	v_and_b32_e32 v22, v22, v4
	v_lshlrev_b32_e32 v4, 29, v21
	v_cmp_gt_i64_e32 vcc, 0, v[3:4]
	v_not_b32_e32 v4, v4
	v_ashrrev_i32_e32 v4, 31, v4
	v_and_b32_e32 v111, v111, v114
	v_xor_b32_e32 v114, vcc_hi, v4
	v_xor_b32_e32 v4, vcc_lo, v4
	v_and_b32_e32 v22, v22, v4
	v_lshlrev_b32_e32 v4, 28, v21
	v_cmp_gt_i64_e32 vcc, 0, v[3:4]
	v_not_b32_e32 v4, v4
	v_ashrrev_i32_e32 v4, 31, v4
	v_and_b32_e32 v111, v111, v114
	;; [unrolled: 8-line block ×5, first 2 shown]
	v_xor_b32_e32 v114, vcc_hi, v4
	v_xor_b32_e32 v4, vcc_lo, v4
	v_and_b32_e32 v111, v111, v114
	v_and_b32_e32 v114, v22, v4
	v_lshlrev_b32_e32 v4, 24, v21
	v_cmp_gt_i64_e32 vcc, 0, v[3:4]
	v_not_b32_e32 v4, v4
	v_ashrrev_i32_e32 v4, 31, v4
	v_mul_u32_u24_e32 v113, 20, v21
	v_xor_b32_e32 v21, vcc_hi, v4
	v_xor_b32_e32 v4, vcc_lo, v4
	v_and_b32_e32 v22, v111, v21
	v_and_b32_e32 v21, v114, v4
	v_mbcnt_lo_u32_b32 v4, v21, 0
	v_mbcnt_hi_u32_b32 v111, v22, v4
	v_cmp_ne_u64_e32 vcc, 0, v[21:22]
	v_cmp_eq_u32_e64 s[36:37], 0, v111
	s_and_b64 s[38:39], vcc, s[36:37]
	v_add_u32_e32 v114, v91, v113
	; wave barrier
	s_and_saveexec_b64 s[36:37], s[38:39]
	s_cbranch_execz .LBB2083_100
; %bb.99:                               ;   in Loop: Header=BB2083_72 Depth=2
	v_bcnt_u32_b32 v4, v21, 0
	v_bcnt_u32_b32 v4, v22, v4
	s_waitcnt lgkmcnt(0)
	v_add_u32_e32 v4, v109, v4
	ds_write_b32 v114, v4 offset:1040
.LBB2083_100:                           ;   in Loop: Header=BB2083_72 Depth=2
	s_or_b64 exec, exec, s[36:37]
	v_cmp_lt_i16_e32 vcc, -1, v112
	v_cndmask_b32_e32 v4, -1, v65, vcc
	v_xor_b32_e32 v112, v4, v112
	v_cmp_ne_u16_e32 vcc, s62, v112
	v_cndmask_b32_e32 v4, v65, v112, vcc
	v_lshrrev_b32_sdwa v4, s63, v4 dst_sel:DWORD dst_unused:UNUSED_PAD src0_sel:DWORD src1_sel:WORD_0
	v_and_b32_e32 v21, s70, v4
	v_mad_u32_u24 v4, v21, 20, v91
	; wave barrier
	ds_read_b32 v113, v4 offset:1040
	v_and_b32_e32 v4, 1, v21
	v_add_co_u32_e32 v22, vcc, -1, v4
	v_addc_co_u32_e64 v115, s[36:37], 0, -1, vcc
	v_cmp_ne_u32_e32 vcc, 0, v4
	v_xor_b32_e32 v4, vcc_hi, v115
	v_and_b32_e32 v115, exec_hi, v4
	v_lshlrev_b32_e32 v4, 30, v21
	v_xor_b32_e32 v22, vcc_lo, v22
	v_cmp_gt_i64_e32 vcc, 0, v[3:4]
	v_not_b32_e32 v4, v4
	v_ashrrev_i32_e32 v4, 31, v4
	v_and_b32_e32 v22, exec_lo, v22
	v_xor_b32_e32 v117, vcc_hi, v4
	v_xor_b32_e32 v4, vcc_lo, v4
	v_and_b32_e32 v22, v22, v4
	v_lshlrev_b32_e32 v4, 29, v21
	v_cmp_gt_i64_e32 vcc, 0, v[3:4]
	v_not_b32_e32 v4, v4
	v_ashrrev_i32_e32 v4, 31, v4
	v_and_b32_e32 v115, v115, v117
	v_xor_b32_e32 v117, vcc_hi, v4
	v_xor_b32_e32 v4, vcc_lo, v4
	v_and_b32_e32 v22, v22, v4
	v_lshlrev_b32_e32 v4, 28, v21
	v_cmp_gt_i64_e32 vcc, 0, v[3:4]
	v_not_b32_e32 v4, v4
	v_ashrrev_i32_e32 v4, 31, v4
	v_and_b32_e32 v115, v115, v117
	;; [unrolled: 8-line block ×5, first 2 shown]
	v_xor_b32_e32 v117, vcc_hi, v4
	v_xor_b32_e32 v4, vcc_lo, v4
	v_and_b32_e32 v115, v115, v117
	v_and_b32_e32 v117, v22, v4
	v_lshlrev_b32_e32 v4, 24, v21
	v_cmp_gt_i64_e32 vcc, 0, v[3:4]
	v_not_b32_e32 v4, v4
	v_ashrrev_i32_e32 v4, 31, v4
	v_mul_u32_u24_e32 v116, 20, v21
	v_xor_b32_e32 v21, vcc_hi, v4
	v_xor_b32_e32 v4, vcc_lo, v4
	v_and_b32_e32 v22, v115, v21
	v_and_b32_e32 v21, v117, v4
	v_mbcnt_lo_u32_b32 v4, v21, 0
	v_mbcnt_hi_u32_b32 v115, v22, v4
	v_cmp_ne_u64_e32 vcc, 0, v[21:22]
	v_cmp_eq_u32_e64 s[36:37], 0, v115
	s_and_b64 s[38:39], vcc, s[36:37]
	v_add_u32_e32 v118, v91, v116
	; wave barrier
	s_and_saveexec_b64 s[36:37], s[38:39]
	s_cbranch_execz .LBB2083_102
; %bb.101:                              ;   in Loop: Header=BB2083_72 Depth=2
	v_bcnt_u32_b32 v4, v21, 0
	v_bcnt_u32_b32 v4, v22, v4
	s_waitcnt lgkmcnt(0)
	v_add_u32_e32 v4, v113, v4
	ds_write_b32 v118, v4 offset:1040
.LBB2083_102:                           ;   in Loop: Header=BB2083_72 Depth=2
	s_or_b64 exec, exec, s[36:37]
	v_cmp_lt_i16_e32 vcc, -1, v108
	v_cndmask_b32_e32 v4, -1, v65, vcc
	v_xor_b32_e32 v116, v4, v108
	v_cmp_ne_u16_e32 vcc, s62, v116
	v_cndmask_b32_e32 v4, v65, v116, vcc
	v_lshrrev_b32_sdwa v4, s63, v4 dst_sel:DWORD dst_unused:UNUSED_PAD src0_sel:DWORD src1_sel:WORD_0
	v_and_b32_e32 v21, s70, v4
	v_mad_u32_u24 v4, v21, 20, v91
	; wave barrier
	ds_read_b32 v117, v4 offset:1040
	v_and_b32_e32 v4, 1, v21
	v_add_co_u32_e32 v22, vcc, -1, v4
	v_addc_co_u32_e64 v119, s[36:37], 0, -1, vcc
	v_cmp_ne_u32_e32 vcc, 0, v4
	v_xor_b32_e32 v4, vcc_hi, v119
	v_and_b32_e32 v119, exec_hi, v4
	v_lshlrev_b32_e32 v4, 30, v21
	v_xor_b32_e32 v22, vcc_lo, v22
	v_cmp_gt_i64_e32 vcc, 0, v[3:4]
	v_not_b32_e32 v4, v4
	v_ashrrev_i32_e32 v4, 31, v4
	v_and_b32_e32 v22, exec_lo, v22
	v_xor_b32_e32 v120, vcc_hi, v4
	v_xor_b32_e32 v4, vcc_lo, v4
	v_and_b32_e32 v22, v22, v4
	v_lshlrev_b32_e32 v4, 29, v21
	v_cmp_gt_i64_e32 vcc, 0, v[3:4]
	v_not_b32_e32 v4, v4
	v_ashrrev_i32_e32 v4, 31, v4
	v_and_b32_e32 v119, v119, v120
	v_xor_b32_e32 v120, vcc_hi, v4
	v_xor_b32_e32 v4, vcc_lo, v4
	v_and_b32_e32 v22, v22, v4
	v_lshlrev_b32_e32 v4, 28, v21
	v_cmp_gt_i64_e32 vcc, 0, v[3:4]
	v_not_b32_e32 v4, v4
	v_ashrrev_i32_e32 v4, 31, v4
	v_and_b32_e32 v119, v119, v120
	;; [unrolled: 8-line block ×5, first 2 shown]
	v_xor_b32_e32 v120, vcc_hi, v4
	v_xor_b32_e32 v4, vcc_lo, v4
	v_and_b32_e32 v119, v119, v120
	v_and_b32_e32 v120, v22, v4
	v_lshlrev_b32_e32 v4, 24, v21
	v_cmp_gt_i64_e32 vcc, 0, v[3:4]
	v_not_b32_e32 v4, v4
	v_ashrrev_i32_e32 v4, 31, v4
	v_mul_u32_u24_e32 v108, 20, v21
	v_xor_b32_e32 v21, vcc_hi, v4
	v_xor_b32_e32 v4, vcc_lo, v4
	v_and_b32_e32 v22, v119, v21
	v_and_b32_e32 v21, v120, v4
	v_mbcnt_lo_u32_b32 v4, v21, 0
	v_mbcnt_hi_u32_b32 v119, v22, v4
	v_cmp_ne_u64_e32 vcc, 0, v[21:22]
	v_cmp_eq_u32_e64 s[36:37], 0, v119
	s_and_b64 s[38:39], vcc, s[36:37]
	v_add_u32_e32 v108, v91, v108
	; wave barrier
	s_and_saveexec_b64 s[36:37], s[38:39]
	s_cbranch_execz .LBB2083_104
; %bb.103:                              ;   in Loop: Header=BB2083_72 Depth=2
	v_bcnt_u32_b32 v4, v21, 0
	v_bcnt_u32_b32 v4, v22, v4
	s_waitcnt lgkmcnt(0)
	v_add_u32_e32 v4, v117, v4
	ds_write_b32 v108, v4 offset:1040
.LBB2083_104:                           ;   in Loop: Header=BB2083_72 Depth=2
	s_or_b64 exec, exec, s[36:37]
	v_cmp_lt_i16_e32 vcc, -1, v24
	v_cndmask_b32_e32 v4, -1, v65, vcc
	v_xor_b32_e32 v120, v4, v24
	v_cmp_ne_u16_e32 vcc, s62, v120
	v_cndmask_b32_e32 v4, v65, v120, vcc
	v_lshrrev_b32_sdwa v4, s63, v4 dst_sel:DWORD dst_unused:UNUSED_PAD src0_sel:DWORD src1_sel:WORD_0
	v_and_b32_e32 v21, s70, v4
	v_mad_u32_u24 v4, v21, 20, v91
	; wave barrier
	ds_read_b32 v121, v4 offset:1040
	v_and_b32_e32 v4, 1, v21
	v_add_co_u32_e32 v22, vcc, -1, v4
	v_addc_co_u32_e64 v122, s[36:37], 0, -1, vcc
	v_cmp_ne_u32_e32 vcc, 0, v4
	v_xor_b32_e32 v4, vcc_hi, v122
	v_and_b32_e32 v122, exec_hi, v4
	v_lshlrev_b32_e32 v4, 30, v21
	v_xor_b32_e32 v22, vcc_lo, v22
	v_cmp_gt_i64_e32 vcc, 0, v[3:4]
	v_not_b32_e32 v4, v4
	v_ashrrev_i32_e32 v4, 31, v4
	v_and_b32_e32 v22, exec_lo, v22
	v_xor_b32_e32 v123, vcc_hi, v4
	v_xor_b32_e32 v4, vcc_lo, v4
	v_and_b32_e32 v22, v22, v4
	v_lshlrev_b32_e32 v4, 29, v21
	v_cmp_gt_i64_e32 vcc, 0, v[3:4]
	v_not_b32_e32 v4, v4
	v_ashrrev_i32_e32 v4, 31, v4
	v_and_b32_e32 v122, v122, v123
	v_xor_b32_e32 v123, vcc_hi, v4
	v_xor_b32_e32 v4, vcc_lo, v4
	v_and_b32_e32 v22, v22, v4
	v_lshlrev_b32_e32 v4, 28, v21
	v_cmp_gt_i64_e32 vcc, 0, v[3:4]
	v_not_b32_e32 v4, v4
	v_ashrrev_i32_e32 v4, 31, v4
	v_and_b32_e32 v122, v122, v123
	;; [unrolled: 8-line block ×5, first 2 shown]
	v_xor_b32_e32 v123, vcc_hi, v4
	v_xor_b32_e32 v4, vcc_lo, v4
	v_and_b32_e32 v122, v122, v123
	v_and_b32_e32 v123, v22, v4
	v_lshlrev_b32_e32 v4, 24, v21
	v_cmp_gt_i64_e32 vcc, 0, v[3:4]
	v_not_b32_e32 v4, v4
	v_ashrrev_i32_e32 v4, 31, v4
	v_mul_u32_u24_e32 v24, 20, v21
	v_xor_b32_e32 v21, vcc_hi, v4
	v_xor_b32_e32 v4, vcc_lo, v4
	v_and_b32_e32 v22, v122, v21
	v_and_b32_e32 v21, v123, v4
	v_mbcnt_lo_u32_b32 v4, v21, 0
	v_mbcnt_hi_u32_b32 v122, v22, v4
	v_cmp_ne_u64_e32 vcc, 0, v[21:22]
	v_cmp_eq_u32_e64 s[36:37], 0, v122
	s_and_b64 s[38:39], vcc, s[36:37]
	v_add_u32_e32 v125, v91, v24
	; wave barrier
	s_and_saveexec_b64 s[36:37], s[38:39]
	s_cbranch_execz .LBB2083_106
; %bb.105:                              ;   in Loop: Header=BB2083_72 Depth=2
	v_bcnt_u32_b32 v4, v21, 0
	v_bcnt_u32_b32 v4, v22, v4
	s_waitcnt lgkmcnt(0)
	v_add_u32_e32 v4, v121, v4
	ds_write_b32 v125, v4 offset:1040
.LBB2083_106:                           ;   in Loop: Header=BB2083_72 Depth=2
	s_or_b64 exec, exec, s[36:37]
	v_cmp_lt_i16_e32 vcc, -1, v23
	v_cndmask_b32_e32 v4, -1, v65, vcc
	v_xor_b32_e32 v123, v4, v23
	v_cmp_ne_u16_e32 vcc, s62, v123
	v_cndmask_b32_e32 v4, v65, v123, vcc
	v_lshrrev_b32_sdwa v4, s63, v4 dst_sel:DWORD dst_unused:UNUSED_PAD src0_sel:DWORD src1_sel:WORD_0
	v_and_b32_e32 v21, s70, v4
	v_mad_u32_u24 v4, v21, 20, v91
	; wave barrier
	ds_read_b32 v124, v4 offset:1040
	v_and_b32_e32 v4, 1, v21
	v_add_co_u32_e32 v22, vcc, -1, v4
	v_addc_co_u32_e64 v24, s[36:37], 0, -1, vcc
	v_cmp_ne_u32_e32 vcc, 0, v4
	v_xor_b32_e32 v4, vcc_hi, v24
	v_and_b32_e32 v24, exec_hi, v4
	v_lshlrev_b32_e32 v4, 30, v21
	v_xor_b32_e32 v22, vcc_lo, v22
	v_cmp_gt_i64_e32 vcc, 0, v[3:4]
	v_not_b32_e32 v4, v4
	v_ashrrev_i32_e32 v4, 31, v4
	v_and_b32_e32 v22, exec_lo, v22
	v_xor_b32_e32 v126, vcc_hi, v4
	v_xor_b32_e32 v4, vcc_lo, v4
	v_and_b32_e32 v22, v22, v4
	v_lshlrev_b32_e32 v4, 29, v21
	v_cmp_gt_i64_e32 vcc, 0, v[3:4]
	v_not_b32_e32 v4, v4
	v_ashrrev_i32_e32 v4, 31, v4
	v_and_b32_e32 v24, v24, v126
	v_xor_b32_e32 v126, vcc_hi, v4
	v_xor_b32_e32 v4, vcc_lo, v4
	v_and_b32_e32 v22, v22, v4
	v_lshlrev_b32_e32 v4, 28, v21
	v_cmp_gt_i64_e32 vcc, 0, v[3:4]
	v_not_b32_e32 v4, v4
	v_ashrrev_i32_e32 v4, 31, v4
	v_and_b32_e32 v24, v24, v126
	;; [unrolled: 8-line block ×5, first 2 shown]
	v_xor_b32_e32 v126, vcc_hi, v4
	v_xor_b32_e32 v4, vcc_lo, v4
	v_and_b32_e32 v24, v24, v126
	v_and_b32_e32 v126, v22, v4
	v_lshlrev_b32_e32 v4, 24, v21
	v_cmp_gt_i64_e32 vcc, 0, v[3:4]
	v_not_b32_e32 v4, v4
	v_ashrrev_i32_e32 v4, 31, v4
	v_mul_u32_u24_e32 v23, 20, v21
	v_xor_b32_e32 v21, vcc_hi, v4
	v_xor_b32_e32 v4, vcc_lo, v4
	v_and_b32_e32 v22, v24, v21
	v_and_b32_e32 v21, v126, v4
	v_mbcnt_lo_u32_b32 v4, v21, 0
	v_mbcnt_hi_u32_b32 v126, v22, v4
	v_cmp_ne_u64_e32 vcc, 0, v[21:22]
	v_cmp_eq_u32_e64 s[36:37], 0, v126
	s_and_b64 s[38:39], vcc, s[36:37]
	v_add_u32_e32 v4, v91, v23
	; wave barrier
	s_and_saveexec_b64 s[36:37], s[38:39]
	s_cbranch_execz .LBB2083_108
; %bb.107:                              ;   in Loop: Header=BB2083_72 Depth=2
	v_bcnt_u32_b32 v21, v21, 0
	v_bcnt_u32_b32 v21, v22, v21
	s_waitcnt lgkmcnt(0)
	v_add_u32_e32 v21, v124, v21
	ds_write_b32 v4, v21 offset:1040
.LBB2083_108:                           ;   in Loop: Header=BB2083_72 Depth=2
	s_or_b64 exec, exec, s[36:37]
	; wave barrier
	s_waitcnt lgkmcnt(0)
	s_barrier
	ds_read2_b32 v[23:24], v62 offset1:1
	ds_read2_b32 v[21:22], v63 offset1:1
	ds_read_b32 v127, v41 offset:1056
	s_waitcnt lgkmcnt(1)
	v_add3_u32 v128, v24, v23, v21
	s_waitcnt lgkmcnt(0)
	v_add3_u32 v127, v128, v22, v127
	s_nop 1
	v_mov_b32_dpp v128, v127 row_shr:1 row_mask:0xf bank_mask:0xf
	v_cndmask_b32_e64 v128, v128, 0, s[16:17]
	v_add_u32_e32 v127, v128, v127
	s_nop 1
	v_mov_b32_dpp v128, v127 row_shr:2 row_mask:0xf bank_mask:0xf
	v_cndmask_b32_e64 v128, 0, v128, s[18:19]
	v_add_u32_e32 v127, v127, v128
	;; [unrolled: 4-line block ×4, first 2 shown]
	s_nop 1
	v_mov_b32_dpp v128, v127 row_bcast:15 row_mask:0xf bank_mask:0xf
	v_cndmask_b32_e64 v128, v128, 0, s[24:25]
	v_add_u32_e32 v127, v127, v128
	s_nop 1
	v_mov_b32_dpp v128, v127 row_bcast:31 row_mask:0xf bank_mask:0xf
	v_cndmask_b32_e64 v128, 0, v128, s[26:27]
	v_add_u32_e32 v127, v127, v128
	s_and_saveexec_b64 s[36:37], s[6:7]
; %bb.109:                              ;   in Loop: Header=BB2083_72 Depth=2
	ds_write_b32 v37, v127 offset:1024
; %bb.110:                              ;   in Loop: Header=BB2083_72 Depth=2
	s_or_b64 exec, exec, s[36:37]
	s_waitcnt lgkmcnt(0)
	s_barrier
	s_and_saveexec_b64 s[36:37], s[8:9]
	s_cbranch_execz .LBB2083_112
; %bb.111:                              ;   in Loop: Header=BB2083_72 Depth=2
	ds_read_b32 v128, v42 offset:1024
	s_waitcnt lgkmcnt(0)
	s_nop 0
	v_mov_b32_dpp v129, v128 row_shr:1 row_mask:0xf bank_mask:0xf
	v_cndmask_b32_e64 v129, v129, 0, s[30:31]
	v_add_u32_e32 v128, v129, v128
	s_nop 1
	v_mov_b32_dpp v129, v128 row_shr:2 row_mask:0xf bank_mask:0xf
	v_cndmask_b32_e64 v129, 0, v129, s[34:35]
	v_add_u32_e32 v128, v128, v129
	ds_write_b32 v42, v128 offset:1024
.LBB2083_112:                           ;   in Loop: Header=BB2083_72 Depth=2
	s_or_b64 exec, exec, s[36:37]
	v_mov_b32_e32 v128, 0
	s_waitcnt lgkmcnt(0)
	s_barrier
	s_and_saveexec_b64 s[36:37], s[10:11]
; %bb.113:                              ;   in Loop: Header=BB2083_72 Depth=2
	ds_read_b32 v128, v37 offset:1020
; %bb.114:                              ;   in Loop: Header=BB2083_72 Depth=2
	s_or_b64 exec, exec, s[36:37]
	s_waitcnt lgkmcnt(0)
	v_add_u32_e32 v127, v128, v127
	ds_bpermute_b32 v127, v82, v127
	s_waitcnt lgkmcnt(0)
	v_cndmask_b32_e64 v127, v127, v128, s[28:29]
	v_cndmask_b32_e64 v127, v127, 0, s[12:13]
	v_add_u32_e32 v23, v127, v23
	v_add_u32_e32 v24, v23, v24
	;; [unrolled: 1-line block ×4, first 2 shown]
	ds_write2_b32 v62, v127, v23 offset1:1
	ds_write2_b32 v63, v24, v21 offset1:1
	ds_write_b32 v41, v22 offset:1056
	s_waitcnt lgkmcnt(0)
	s_barrier
	ds_read_b32 v21, v101 offset:1040
	ds_read_b32 v22, v105 offset:1040
	;; [unrolled: 1-line block ×9, first 2 shown]
	v_mov_b32_e32 v4, 0x800
	s_and_saveexec_b64 s[36:37], s[14:15]
; %bb.115:                              ;   in Loop: Header=BB2083_72 Depth=2
	ds_read_b32 v4, v41 offset:1060
; %bb.116:                              ;   in Loop: Header=BB2083_72 Depth=2
	s_or_b64 exec, exec, s[36:37]
	s_waitcnt lgkmcnt(0)
	s_barrier
	s_and_saveexec_b64 s[36:37], s[4:5]
	s_cbranch_execz .LBB2083_118
; %bb.117:                              ;   in Loop: Header=BB2083_72 Depth=2
	ds_read_b32 v105, v25
	s_waitcnt lgkmcnt(0)
	v_sub_u32_e32 v101, v105, v101
	ds_write_b32 v25, v101
.LBB2083_118:                           ;   in Loop: Header=BB2083_72 Depth=2
	s_or_b64 exec, exec, s[36:37]
	v_add_u32_e32 v108, v21, v98
	v_add3_u32 v105, v102, v100, v22
	v_lshlrev_b32_e32 v21, 1, v108
	v_add3_u32 v102, v106, v104, v23
	ds_write_b16 v21, v97 offset:1024
	v_lshlrev_b32_e32 v21, 1, v105
	v_add3_u32 v101, v111, v109, v24
	ds_write_b16 v21, v99 offset:1024
	;; [unrolled: 3-line block ×6, first 2 shown]
	v_lshlrev_b32_e32 v21, 1, v24
	ds_write_b16 v21, v120 offset:1024
	v_lshlrev_b32_e32 v21, 1, v23
	v_cmp_lt_u32_e32 vcc, v0, v96
	ds_write_b16 v21, v123 offset:1024
	s_waitcnt lgkmcnt(0)
	s_barrier
	s_and_saveexec_b64 s[38:39], vcc
	s_cbranch_execnz .LBB2083_155
; %bb.119:                              ;   in Loop: Header=BB2083_72 Depth=2
	s_or_b64 exec, exec, s[38:39]
	v_cmp_lt_u32_e64 s[36:37], v26, v96
	s_and_saveexec_b64 s[40:41], s[36:37]
	s_cbranch_execnz .LBB2083_156
.LBB2083_120:                           ;   in Loop: Header=BB2083_72 Depth=2
	s_or_b64 exec, exec, s[40:41]
	v_cmp_lt_u32_e64 s[38:39], v27, v96
	s_and_saveexec_b64 s[42:43], s[38:39]
	s_cbranch_execnz .LBB2083_157
.LBB2083_121:                           ;   in Loop: Header=BB2083_72 Depth=2
	s_or_b64 exec, exec, s[42:43]
	v_cmp_lt_u32_e64 s[40:41], v28, v96
	s_and_saveexec_b64 s[44:45], s[40:41]
	s_cbranch_execnz .LBB2083_158
.LBB2083_122:                           ;   in Loop: Header=BB2083_72 Depth=2
	s_or_b64 exec, exec, s[44:45]
	v_cmp_lt_u32_e64 s[42:43], v31, v96
	s_and_saveexec_b64 s[46:47], s[42:43]
	s_cbranch_execnz .LBB2083_159
.LBB2083_123:                           ;   in Loop: Header=BB2083_72 Depth=2
	s_or_b64 exec, exec, s[46:47]
	v_cmp_lt_u32_e64 s[44:45], v32, v96
	s_and_saveexec_b64 s[48:49], s[44:45]
	s_cbranch_execnz .LBB2083_160
.LBB2083_124:                           ;   in Loop: Header=BB2083_72 Depth=2
	s_or_b64 exec, exec, s[48:49]
	v_cmp_lt_u32_e64 s[46:47], v33, v96
	s_and_saveexec_b64 s[52:53], s[46:47]
	s_cbranch_execnz .LBB2083_161
.LBB2083_125:                           ;   in Loop: Header=BB2083_72 Depth=2
	s_or_b64 exec, exec, s[52:53]
	v_cmp_lt_u32_e64 s[48:49], v34, v96
	s_and_saveexec_b64 s[60:61], s[48:49]
	s_cbranch_execz .LBB2083_127
.LBB2083_126:                           ;   in Loop: Header=BB2083_72 Depth=2
	ds_read_u16 v21, v47 offset:4608
	v_mov_b32_e32 v22, v3
	v_mov_b32_e32 v99, s67
	s_waitcnt lgkmcnt(0)
	v_cmp_ne_u16_e64 s[52:53], s62, v21
	v_cndmask_b32_e64 v97, v65, v21, s[52:53]
	v_lshrrev_b32_sdwa v97, s63, v97 dst_sel:DWORD dst_unused:UNUSED_PAD src0_sel:DWORD src1_sel:WORD_0
	v_and_b32_e32 v97, s70, v97
	v_lshlrev_b32_e32 v97, 2, v97
	ds_read_b32 v97, v97
	v_cmp_lt_i16_e64 s[52:53], -1, v21
	v_cndmask_b32_e64 v103, v65, -1, s[52:53]
	v_xor_b32_e32 v103, v103, v21
	s_waitcnt lgkmcnt(0)
	v_add_u32_e32 v21, v97, v34
	v_lshlrev_b64 v[21:22], 1, v[21:22]
	v_add_co_u32_e64 v21, s[52:53], s66, v21
	v_addc_co_u32_e64 v22, s[52:53], v99, v22, s[52:53]
	global_store_short v[21:22], v103, off
.LBB2083_127:                           ;   in Loop: Header=BB2083_72 Depth=2
	s_or_b64 exec, exec, s[60:61]
	s_lshl_b64 s[52:53], s[58:59], 3
	v_mov_b32_e32 v22, s53
	v_add_co_u32_e64 v21, s[52:53], s52, v83
	v_addc_co_u32_e64 v22, s[52:53], v84, v22, s[52:53]
	v_cmp_lt_u32_e64 s[52:53], v73, v96
	s_and_saveexec_b64 s[60:61], s[52:53]
	s_xor_b64 s[52:53], exec, s[60:61]
	s_cbranch_execnz .LBB2083_162
; %bb.128:                              ;   in Loop: Header=BB2083_72 Depth=2
	s_or_b64 exec, exec, s[52:53]
	v_cmp_lt_u32_e64 s[52:53], v74, v96
	s_and_saveexec_b64 s[60:61], s[52:53]
	s_cbranch_execnz .LBB2083_163
.LBB2083_129:                           ;   in Loop: Header=BB2083_72 Depth=2
	s_or_b64 exec, exec, s[60:61]
	v_cmp_lt_u32_e64 s[52:53], v75, v96
	s_and_saveexec_b64 s[60:61], s[52:53]
	s_cbranch_execnz .LBB2083_164
.LBB2083_130:                           ;   in Loop: Header=BB2083_72 Depth=2
	s_or_b64 exec, exec, s[60:61]
	v_cmp_lt_u32_e64 s[52:53], v76, v96
	s_and_saveexec_b64 s[60:61], s[52:53]
	s_cbranch_execnz .LBB2083_165
.LBB2083_131:                           ;   in Loop: Header=BB2083_72 Depth=2
	s_or_b64 exec, exec, s[60:61]
	v_cmp_lt_u32_e64 s[52:53], v77, v96
	s_and_saveexec_b64 s[60:61], s[52:53]
	s_cbranch_execnz .LBB2083_166
.LBB2083_132:                           ;   in Loop: Header=BB2083_72 Depth=2
	s_or_b64 exec, exec, s[60:61]
	v_cmp_lt_u32_e64 s[52:53], v78, v96
	s_and_saveexec_b64 s[60:61], s[52:53]
	s_cbranch_execnz .LBB2083_167
.LBB2083_133:                           ;   in Loop: Header=BB2083_72 Depth=2
	s_or_b64 exec, exec, s[60:61]
	v_cmp_lt_u32_e64 s[52:53], v79, v96
	s_and_saveexec_b64 s[60:61], s[52:53]
	s_cbranch_execnz .LBB2083_168
.LBB2083_134:                           ;   in Loop: Header=BB2083_72 Depth=2
	s_or_b64 exec, exec, s[60:61]
	v_cmp_lt_u32_e64 s[52:53], v80, v96
	s_and_saveexec_b64 s[60:61], s[52:53]
	s_cbranch_execnz .LBB2083_169
.LBB2083_135:                           ;   in Loop: Header=BB2083_72 Depth=2
	s_or_b64 exec, exec, s[60:61]
	s_and_saveexec_b64 s[60:61], vcc
	s_cbranch_execnz .LBB2083_170
.LBB2083_136:                           ;   in Loop: Header=BB2083_72 Depth=2
	s_or_b64 exec, exec, s[60:61]
	s_and_saveexec_b64 s[60:61], s[36:37]
	s_cbranch_execnz .LBB2083_171
.LBB2083_137:                           ;   in Loop: Header=BB2083_72 Depth=2
	s_or_b64 exec, exec, s[60:61]
	s_and_saveexec_b64 s[60:61], s[38:39]
	s_cbranch_execnz .LBB2083_172
.LBB2083_138:                           ;   in Loop: Header=BB2083_72 Depth=2
	s_or_b64 exec, exec, s[60:61]
	s_and_saveexec_b64 s[60:61], s[40:41]
	s_cbranch_execnz .LBB2083_173
.LBB2083_139:                           ;   in Loop: Header=BB2083_72 Depth=2
	s_or_b64 exec, exec, s[60:61]
	s_and_saveexec_b64 s[60:61], s[42:43]
	s_cbranch_execnz .LBB2083_174
.LBB2083_140:                           ;   in Loop: Header=BB2083_72 Depth=2
	s_or_b64 exec, exec, s[60:61]
	s_and_saveexec_b64 s[60:61], s[44:45]
	s_cbranch_execnz .LBB2083_175
.LBB2083_141:                           ;   in Loop: Header=BB2083_72 Depth=2
	s_or_b64 exec, exec, s[60:61]
	s_and_saveexec_b64 s[60:61], s[46:47]
	s_cbranch_execnz .LBB2083_176
.LBB2083_142:                           ;   in Loop: Header=BB2083_72 Depth=2
	s_or_b64 exec, exec, s[60:61]
	s_and_saveexec_b64 s[60:61], s[48:49]
	s_cbranch_execz .LBB2083_144
.LBB2083_143:                           ;   in Loop: Header=BB2083_72 Depth=2
	ds_read_u16 v21, v47 offset:4608
	s_waitcnt lgkmcnt(0)
	v_cmp_ne_u16_e64 s[52:53], s62, v21
	v_cndmask_b32_e64 v21, v65, v21, s[52:53]
	v_lshrrev_b32_sdwa v21, s63, v21 dst_sel:DWORD dst_unused:UNUSED_PAD src0_sel:DWORD src1_sel:WORD_0
	v_and_b32_e32 v87, s70, v21
.LBB2083_144:                           ;   in Loop: Header=BB2083_72 Depth=2
	s_or_b64 exec, exec, s[60:61]
	v_lshlrev_b32_e32 v21, 3, v108
	s_waitcnt vmcnt(0)
	s_barrier
	ds_write_b64 v21, v[19:20] offset:1024
	v_lshlrev_b32_e32 v21, 3, v105
	ds_write_b64 v21, v[17:18] offset:1024
	v_lshlrev_b32_e32 v21, 3, v102
	;; [unrolled: 2-line block ×7, first 2 shown]
	ds_write_b64 v21, v[5:6] offset:1024
	s_waitcnt lgkmcnt(0)
	s_barrier
	s_and_saveexec_b64 s[52:53], vcc
	s_cbranch_execnz .LBB2083_177
; %bb.145:                              ;   in Loop: Header=BB2083_72 Depth=2
	s_or_b64 exec, exec, s[52:53]
	s_and_saveexec_b64 s[52:53], s[36:37]
	s_cbranch_execnz .LBB2083_178
.LBB2083_146:                           ;   in Loop: Header=BB2083_72 Depth=2
	s_or_b64 exec, exec, s[52:53]
	s_and_saveexec_b64 s[36:37], s[38:39]
	s_cbranch_execnz .LBB2083_179
.LBB2083_147:                           ;   in Loop: Header=BB2083_72 Depth=2
	s_or_b64 exec, exec, s[36:37]
	s_and_saveexec_b64 s[36:37], s[40:41]
	s_cbranch_execnz .LBB2083_180
.LBB2083_148:                           ;   in Loop: Header=BB2083_72 Depth=2
	s_or_b64 exec, exec, s[36:37]
	s_and_saveexec_b64 s[36:37], s[42:43]
	s_cbranch_execnz .LBB2083_181
.LBB2083_149:                           ;   in Loop: Header=BB2083_72 Depth=2
	s_or_b64 exec, exec, s[36:37]
	s_and_saveexec_b64 s[36:37], s[44:45]
	s_cbranch_execnz .LBB2083_182
.LBB2083_150:                           ;   in Loop: Header=BB2083_72 Depth=2
	s_or_b64 exec, exec, s[36:37]
	s_and_saveexec_b64 s[36:37], s[46:47]
	s_cbranch_execnz .LBB2083_183
.LBB2083_151:                           ;   in Loop: Header=BB2083_72 Depth=2
	s_or_b64 exec, exec, s[36:37]
	s_and_saveexec_b64 s[36:37], s[48:49]
	s_cbranch_execz .LBB2083_153
.LBB2083_152:                           ;   in Loop: Header=BB2083_72 Depth=2
	v_lshlrev_b32_e32 v21, 2, v87
	ds_read_b32 v23, v21
	v_add_u32_e32 v21, v47, v48
	ds_read_b64 v[21:22], v21 offset:15360
	v_mov_b32_e32 v24, v3
	v_mov_b32_e32 v96, s73
	s_waitcnt lgkmcnt(1)
	v_add_u32_e32 v23, v23, v34
	v_lshlrev_b64 v[23:24], 3, v[23:24]
	v_add_co_u32_e32 v23, vcc, s72, v23
	v_addc_co_u32_e32 v24, vcc, v96, v24, vcc
	s_waitcnt lgkmcnt(0)
	global_store_dwordx2 v[23:24], v[21:22], off
.LBB2083_153:                           ;   in Loop: Header=BB2083_72 Depth=2
	s_or_b64 exec, exec, s[36:37]
	s_waitcnt vmcnt(0)
	s_barrier
	s_and_saveexec_b64 s[36:37], s[4:5]
	s_cbranch_execz .LBB2083_71
; %bb.154:                              ;   in Loop: Header=BB2083_72 Depth=2
	ds_read_b32 v21, v25
	s_waitcnt lgkmcnt(0)
	v_add_u32_e32 v4, v21, v4
	ds_write_b32 v25, v4
	s_branch .LBB2083_71
.LBB2083_155:                           ;   in Loop: Header=BB2083_72 Depth=2
	ds_read_u16 v21, v47 offset:1024
	v_mov_b32_e32 v22, v3
	v_mov_b32_e32 v99, s67
	s_waitcnt lgkmcnt(0)
	v_cmp_ne_u16_e64 s[36:37], s62, v21
	v_cndmask_b32_e64 v97, v65, v21, s[36:37]
	v_lshrrev_b32_sdwa v97, s63, v97 dst_sel:DWORD dst_unused:UNUSED_PAD src0_sel:DWORD src1_sel:WORD_0
	v_and_b32_e32 v97, s70, v97
	v_lshlrev_b32_e32 v97, 2, v97
	ds_read_b32 v97, v97
	v_cmp_lt_i16_e64 s[36:37], -1, v21
	v_cndmask_b32_e64 v103, v65, -1, s[36:37]
	v_xor_b32_e32 v103, v103, v21
	s_waitcnt lgkmcnt(0)
	v_add_u32_e32 v21, v97, v0
	v_lshlrev_b64 v[21:22], 1, v[21:22]
	v_add_co_u32_e64 v21, s[36:37], s66, v21
	v_addc_co_u32_e64 v22, s[36:37], v99, v22, s[36:37]
	global_store_short v[21:22], v103, off
	s_or_b64 exec, exec, s[38:39]
	v_cmp_lt_u32_e64 s[36:37], v26, v96
	s_and_saveexec_b64 s[40:41], s[36:37]
	s_cbranch_execz .LBB2083_120
.LBB2083_156:                           ;   in Loop: Header=BB2083_72 Depth=2
	ds_read_u16 v21, v47 offset:1536
	v_mov_b32_e32 v22, v3
	v_mov_b32_e32 v99, s67
	s_waitcnt lgkmcnt(0)
	v_cmp_ne_u16_e64 s[38:39], s62, v21
	v_cndmask_b32_e64 v97, v65, v21, s[38:39]
	v_lshrrev_b32_sdwa v97, s63, v97 dst_sel:DWORD dst_unused:UNUSED_PAD src0_sel:DWORD src1_sel:WORD_0
	v_and_b32_e32 v97, s70, v97
	v_lshlrev_b32_e32 v97, 2, v97
	ds_read_b32 v97, v97
	v_cmp_lt_i16_e64 s[38:39], -1, v21
	v_cndmask_b32_e64 v103, v65, -1, s[38:39]
	v_xor_b32_e32 v103, v103, v21
	s_waitcnt lgkmcnt(0)
	v_add_u32_e32 v21, v97, v26
	v_lshlrev_b64 v[21:22], 1, v[21:22]
	v_add_co_u32_e64 v21, s[38:39], s66, v21
	v_addc_co_u32_e64 v22, s[38:39], v99, v22, s[38:39]
	global_store_short v[21:22], v103, off
	s_or_b64 exec, exec, s[40:41]
	v_cmp_lt_u32_e64 s[38:39], v27, v96
	s_and_saveexec_b64 s[42:43], s[38:39]
	s_cbranch_execz .LBB2083_121
.LBB2083_157:                           ;   in Loop: Header=BB2083_72 Depth=2
	ds_read_u16 v21, v47 offset:2048
	v_mov_b32_e32 v22, v3
	v_mov_b32_e32 v99, s67
	s_waitcnt lgkmcnt(0)
	v_cmp_ne_u16_e64 s[40:41], s62, v21
	v_cndmask_b32_e64 v97, v65, v21, s[40:41]
	v_lshrrev_b32_sdwa v97, s63, v97 dst_sel:DWORD dst_unused:UNUSED_PAD src0_sel:DWORD src1_sel:WORD_0
	v_and_b32_e32 v97, s70, v97
	v_lshlrev_b32_e32 v97, 2, v97
	ds_read_b32 v97, v97
	v_cmp_lt_i16_e64 s[40:41], -1, v21
	v_cndmask_b32_e64 v103, v65, -1, s[40:41]
	v_xor_b32_e32 v103, v103, v21
	s_waitcnt lgkmcnt(0)
	v_add_u32_e32 v21, v97, v27
	v_lshlrev_b64 v[21:22], 1, v[21:22]
	v_add_co_u32_e64 v21, s[40:41], s66, v21
	v_addc_co_u32_e64 v22, s[40:41], v99, v22, s[40:41]
	global_store_short v[21:22], v103, off
	s_or_b64 exec, exec, s[42:43]
	v_cmp_lt_u32_e64 s[40:41], v28, v96
	s_and_saveexec_b64 s[44:45], s[40:41]
	s_cbranch_execz .LBB2083_122
.LBB2083_158:                           ;   in Loop: Header=BB2083_72 Depth=2
	ds_read_u16 v21, v47 offset:2560
	v_mov_b32_e32 v22, v3
	v_mov_b32_e32 v99, s67
	s_waitcnt lgkmcnt(0)
	v_cmp_ne_u16_e64 s[42:43], s62, v21
	v_cndmask_b32_e64 v97, v65, v21, s[42:43]
	v_lshrrev_b32_sdwa v97, s63, v97 dst_sel:DWORD dst_unused:UNUSED_PAD src0_sel:DWORD src1_sel:WORD_0
	v_and_b32_e32 v97, s70, v97
	v_lshlrev_b32_e32 v97, 2, v97
	ds_read_b32 v97, v97
	v_cmp_lt_i16_e64 s[42:43], -1, v21
	v_cndmask_b32_e64 v103, v65, -1, s[42:43]
	v_xor_b32_e32 v103, v103, v21
	s_waitcnt lgkmcnt(0)
	v_add_u32_e32 v21, v97, v28
	v_lshlrev_b64 v[21:22], 1, v[21:22]
	v_add_co_u32_e64 v21, s[42:43], s66, v21
	v_addc_co_u32_e64 v22, s[42:43], v99, v22, s[42:43]
	global_store_short v[21:22], v103, off
	s_or_b64 exec, exec, s[44:45]
	v_cmp_lt_u32_e64 s[42:43], v31, v96
	s_and_saveexec_b64 s[46:47], s[42:43]
	s_cbranch_execz .LBB2083_123
.LBB2083_159:                           ;   in Loop: Header=BB2083_72 Depth=2
	ds_read_u16 v21, v47 offset:3072
	v_mov_b32_e32 v22, v3
	v_mov_b32_e32 v99, s67
	s_waitcnt lgkmcnt(0)
	v_cmp_ne_u16_e64 s[44:45], s62, v21
	v_cndmask_b32_e64 v97, v65, v21, s[44:45]
	v_lshrrev_b32_sdwa v97, s63, v97 dst_sel:DWORD dst_unused:UNUSED_PAD src0_sel:DWORD src1_sel:WORD_0
	v_and_b32_e32 v97, s70, v97
	v_lshlrev_b32_e32 v97, 2, v97
	ds_read_b32 v97, v97
	v_cmp_lt_i16_e64 s[44:45], -1, v21
	v_cndmask_b32_e64 v103, v65, -1, s[44:45]
	v_xor_b32_e32 v103, v103, v21
	s_waitcnt lgkmcnt(0)
	v_add_u32_e32 v21, v97, v31
	v_lshlrev_b64 v[21:22], 1, v[21:22]
	v_add_co_u32_e64 v21, s[44:45], s66, v21
	v_addc_co_u32_e64 v22, s[44:45], v99, v22, s[44:45]
	global_store_short v[21:22], v103, off
	s_or_b64 exec, exec, s[46:47]
	v_cmp_lt_u32_e64 s[44:45], v32, v96
	s_and_saveexec_b64 s[48:49], s[44:45]
	s_cbranch_execz .LBB2083_124
.LBB2083_160:                           ;   in Loop: Header=BB2083_72 Depth=2
	ds_read_u16 v21, v47 offset:3584
	v_mov_b32_e32 v22, v3
	v_mov_b32_e32 v99, s67
	s_waitcnt lgkmcnt(0)
	v_cmp_ne_u16_e64 s[46:47], s62, v21
	v_cndmask_b32_e64 v97, v65, v21, s[46:47]
	v_lshrrev_b32_sdwa v97, s63, v97 dst_sel:DWORD dst_unused:UNUSED_PAD src0_sel:DWORD src1_sel:WORD_0
	v_and_b32_e32 v97, s70, v97
	v_lshlrev_b32_e32 v97, 2, v97
	ds_read_b32 v97, v97
	v_cmp_lt_i16_e64 s[46:47], -1, v21
	v_cndmask_b32_e64 v103, v65, -1, s[46:47]
	v_xor_b32_e32 v103, v103, v21
	s_waitcnt lgkmcnt(0)
	v_add_u32_e32 v21, v97, v32
	v_lshlrev_b64 v[21:22], 1, v[21:22]
	v_add_co_u32_e64 v21, s[46:47], s66, v21
	v_addc_co_u32_e64 v22, s[46:47], v99, v22, s[46:47]
	global_store_short v[21:22], v103, off
	s_or_b64 exec, exec, s[48:49]
	v_cmp_lt_u32_e64 s[46:47], v33, v96
	s_and_saveexec_b64 s[52:53], s[46:47]
	s_cbranch_execz .LBB2083_125
.LBB2083_161:                           ;   in Loop: Header=BB2083_72 Depth=2
	ds_read_u16 v21, v47 offset:4096
	v_mov_b32_e32 v22, v3
	v_mov_b32_e32 v99, s67
	s_waitcnt lgkmcnt(0)
	v_cmp_ne_u16_e64 s[48:49], s62, v21
	v_cndmask_b32_e64 v97, v65, v21, s[48:49]
	v_lshrrev_b32_sdwa v97, s63, v97 dst_sel:DWORD dst_unused:UNUSED_PAD src0_sel:DWORD src1_sel:WORD_0
	v_and_b32_e32 v97, s70, v97
	v_lshlrev_b32_e32 v97, 2, v97
	ds_read_b32 v97, v97
	v_cmp_lt_i16_e64 s[48:49], -1, v21
	v_cndmask_b32_e64 v103, v65, -1, s[48:49]
	v_xor_b32_e32 v103, v103, v21
	s_waitcnt lgkmcnt(0)
	v_add_u32_e32 v21, v97, v33
	v_lshlrev_b64 v[21:22], 1, v[21:22]
	v_add_co_u32_e64 v21, s[48:49], s66, v21
	v_addc_co_u32_e64 v22, s[48:49], v99, v22, s[48:49]
	global_store_short v[21:22], v103, off
	s_or_b64 exec, exec, s[52:53]
	v_cmp_lt_u32_e64 s[48:49], v34, v96
	s_and_saveexec_b64 s[60:61], s[48:49]
	s_cbranch_execnz .LBB2083_126
	s_branch .LBB2083_127
.LBB2083_162:                           ;   in Loop: Header=BB2083_72 Depth=2
	global_load_dwordx2 v[19:20], v[21:22], off
	s_or_b64 exec, exec, s[52:53]
	v_cmp_lt_u32_e64 s[52:53], v74, v96
	s_and_saveexec_b64 s[60:61], s[52:53]
	s_cbranch_execz .LBB2083_129
.LBB2083_163:                           ;   in Loop: Header=BB2083_72 Depth=2
	global_load_dwordx2 v[17:18], v[21:22], off offset:512
	s_or_b64 exec, exec, s[60:61]
	v_cmp_lt_u32_e64 s[52:53], v75, v96
	s_and_saveexec_b64 s[60:61], s[52:53]
	s_cbranch_execz .LBB2083_130
.LBB2083_164:                           ;   in Loop: Header=BB2083_72 Depth=2
	global_load_dwordx2 v[15:16], v[21:22], off offset:1024
	s_or_b64 exec, exec, s[60:61]
	v_cmp_lt_u32_e64 s[52:53], v76, v96
	s_and_saveexec_b64 s[60:61], s[52:53]
	s_cbranch_execz .LBB2083_131
.LBB2083_165:                           ;   in Loop: Header=BB2083_72 Depth=2
	global_load_dwordx2 v[13:14], v[21:22], off offset:1536
	s_or_b64 exec, exec, s[60:61]
	v_cmp_lt_u32_e64 s[52:53], v77, v96
	s_and_saveexec_b64 s[60:61], s[52:53]
	s_cbranch_execz .LBB2083_132
.LBB2083_166:                           ;   in Loop: Header=BB2083_72 Depth=2
	global_load_dwordx2 v[11:12], v[21:22], off offset:2048
	s_or_b64 exec, exec, s[60:61]
	v_cmp_lt_u32_e64 s[52:53], v78, v96
	s_and_saveexec_b64 s[60:61], s[52:53]
	s_cbranch_execz .LBB2083_133
.LBB2083_167:                           ;   in Loop: Header=BB2083_72 Depth=2
	global_load_dwordx2 v[9:10], v[21:22], off offset:2560
	s_or_b64 exec, exec, s[60:61]
	v_cmp_lt_u32_e64 s[52:53], v79, v96
	s_and_saveexec_b64 s[60:61], s[52:53]
	s_cbranch_execz .LBB2083_134
.LBB2083_168:                           ;   in Loop: Header=BB2083_72 Depth=2
	global_load_dwordx2 v[7:8], v[21:22], off offset:3072
	s_or_b64 exec, exec, s[60:61]
	v_cmp_lt_u32_e64 s[52:53], v80, v96
	s_and_saveexec_b64 s[60:61], s[52:53]
	s_cbranch_execz .LBB2083_135
.LBB2083_169:                           ;   in Loop: Header=BB2083_72 Depth=2
	global_load_dwordx2 v[5:6], v[21:22], off offset:3584
	s_or_b64 exec, exec, s[60:61]
	s_and_saveexec_b64 s[60:61], vcc
	s_cbranch_execz .LBB2083_136
.LBB2083_170:                           ;   in Loop: Header=BB2083_72 Depth=2
	ds_read_u16 v21, v47 offset:1024
	s_waitcnt lgkmcnt(0)
	v_cmp_ne_u16_e64 s[52:53], s62, v21
	v_cndmask_b32_e64 v21, v65, v21, s[52:53]
	v_lshrrev_b32_sdwa v21, s63, v21 dst_sel:DWORD dst_unused:UNUSED_PAD src0_sel:DWORD src1_sel:WORD_0
	v_and_b32_e32 v95, s70, v21
	s_or_b64 exec, exec, s[60:61]
	s_and_saveexec_b64 s[60:61], s[36:37]
	s_cbranch_execz .LBB2083_137
.LBB2083_171:                           ;   in Loop: Header=BB2083_72 Depth=2
	ds_read_u16 v21, v47 offset:1536
	s_waitcnt lgkmcnt(0)
	v_cmp_ne_u16_e64 s[52:53], s62, v21
	v_cndmask_b32_e64 v21, v65, v21, s[52:53]
	v_lshrrev_b32_sdwa v21, s63, v21 dst_sel:DWORD dst_unused:UNUSED_PAD src0_sel:DWORD src1_sel:WORD_0
	v_and_b32_e32 v94, s70, v21
	s_or_b64 exec, exec, s[60:61]
	s_and_saveexec_b64 s[60:61], s[38:39]
	s_cbranch_execz .LBB2083_138
.LBB2083_172:                           ;   in Loop: Header=BB2083_72 Depth=2
	ds_read_u16 v21, v47 offset:2048
	s_waitcnt lgkmcnt(0)
	v_cmp_ne_u16_e64 s[52:53], s62, v21
	v_cndmask_b32_e64 v21, v65, v21, s[52:53]
	v_lshrrev_b32_sdwa v21, s63, v21 dst_sel:DWORD dst_unused:UNUSED_PAD src0_sel:DWORD src1_sel:WORD_0
	v_and_b32_e32 v93, s70, v21
	s_or_b64 exec, exec, s[60:61]
	s_and_saveexec_b64 s[60:61], s[40:41]
	s_cbranch_execz .LBB2083_139
.LBB2083_173:                           ;   in Loop: Header=BB2083_72 Depth=2
	ds_read_u16 v21, v47 offset:2560
	s_waitcnt lgkmcnt(0)
	v_cmp_ne_u16_e64 s[52:53], s62, v21
	v_cndmask_b32_e64 v21, v65, v21, s[52:53]
	v_lshrrev_b32_sdwa v21, s63, v21 dst_sel:DWORD dst_unused:UNUSED_PAD src0_sel:DWORD src1_sel:WORD_0
	v_and_b32_e32 v92, s70, v21
	s_or_b64 exec, exec, s[60:61]
	s_and_saveexec_b64 s[60:61], s[42:43]
	s_cbranch_execz .LBB2083_140
.LBB2083_174:                           ;   in Loop: Header=BB2083_72 Depth=2
	ds_read_u16 v21, v47 offset:3072
	s_waitcnt lgkmcnt(0)
	v_cmp_ne_u16_e64 s[52:53], s62, v21
	v_cndmask_b32_e64 v21, v65, v21, s[52:53]
	v_lshrrev_b32_sdwa v21, s63, v21 dst_sel:DWORD dst_unused:UNUSED_PAD src0_sel:DWORD src1_sel:WORD_0
	v_and_b32_e32 v90, s70, v21
	s_or_b64 exec, exec, s[60:61]
	s_and_saveexec_b64 s[60:61], s[44:45]
	s_cbranch_execz .LBB2083_141
.LBB2083_175:                           ;   in Loop: Header=BB2083_72 Depth=2
	ds_read_u16 v21, v47 offset:3584
	s_waitcnt lgkmcnt(0)
	v_cmp_ne_u16_e64 s[52:53], s62, v21
	v_cndmask_b32_e64 v21, v65, v21, s[52:53]
	v_lshrrev_b32_sdwa v21, s63, v21 dst_sel:DWORD dst_unused:UNUSED_PAD src0_sel:DWORD src1_sel:WORD_0
	v_and_b32_e32 v89, s70, v21
	s_or_b64 exec, exec, s[60:61]
	s_and_saveexec_b64 s[60:61], s[46:47]
	s_cbranch_execz .LBB2083_142
.LBB2083_176:                           ;   in Loop: Header=BB2083_72 Depth=2
	ds_read_u16 v21, v47 offset:4096
	s_waitcnt lgkmcnt(0)
	v_cmp_ne_u16_e64 s[52:53], s62, v21
	v_cndmask_b32_e64 v21, v65, v21, s[52:53]
	v_lshrrev_b32_sdwa v21, s63, v21 dst_sel:DWORD dst_unused:UNUSED_PAD src0_sel:DWORD src1_sel:WORD_0
	v_and_b32_e32 v88, s70, v21
	s_or_b64 exec, exec, s[60:61]
	s_and_saveexec_b64 s[60:61], s[48:49]
	s_cbranch_execnz .LBB2083_143
	s_branch .LBB2083_144
.LBB2083_177:                           ;   in Loop: Header=BB2083_72 Depth=2
	v_lshlrev_b32_e32 v21, 2, v95
	ds_read_b32 v23, v21
	v_add_u32_e32 v21, v47, v48
	ds_read_b64 v[21:22], v21 offset:1024
	v_mov_b32_e32 v24, v3
	v_mov_b32_e32 v96, s73
	s_waitcnt lgkmcnt(1)
	v_add_u32_e32 v23, v23, v0
	v_lshlrev_b64 v[23:24], 3, v[23:24]
	v_add_co_u32_e32 v23, vcc, s72, v23
	v_addc_co_u32_e32 v24, vcc, v96, v24, vcc
	s_waitcnt lgkmcnt(0)
	global_store_dwordx2 v[23:24], v[21:22], off
	s_or_b64 exec, exec, s[52:53]
	s_and_saveexec_b64 s[52:53], s[36:37]
	s_cbranch_execz .LBB2083_146
.LBB2083_178:                           ;   in Loop: Header=BB2083_72 Depth=2
	v_lshlrev_b32_e32 v21, 2, v94
	ds_read_b32 v23, v21
	v_add_u32_e32 v21, v47, v48
	ds_read_b64 v[21:22], v21 offset:3072
	v_mov_b32_e32 v24, v3
	v_mov_b32_e32 v96, s73
	s_waitcnt lgkmcnt(1)
	v_add_u32_e32 v23, v23, v26
	v_lshlrev_b64 v[23:24], 3, v[23:24]
	v_add_co_u32_e32 v23, vcc, s72, v23
	v_addc_co_u32_e32 v24, vcc, v96, v24, vcc
	s_waitcnt lgkmcnt(0)
	global_store_dwordx2 v[23:24], v[21:22], off
	s_or_b64 exec, exec, s[52:53]
	s_and_saveexec_b64 s[36:37], s[38:39]
	s_cbranch_execz .LBB2083_147
.LBB2083_179:                           ;   in Loop: Header=BB2083_72 Depth=2
	v_lshlrev_b32_e32 v21, 2, v93
	ds_read_b32 v23, v21
	v_add_u32_e32 v21, v47, v48
	ds_read_b64 v[21:22], v21 offset:5120
	v_mov_b32_e32 v24, v3
	v_mov_b32_e32 v96, s73
	s_waitcnt lgkmcnt(1)
	v_add_u32_e32 v23, v23, v27
	v_lshlrev_b64 v[23:24], 3, v[23:24]
	v_add_co_u32_e32 v23, vcc, s72, v23
	v_addc_co_u32_e32 v24, vcc, v96, v24, vcc
	s_waitcnt lgkmcnt(0)
	global_store_dwordx2 v[23:24], v[21:22], off
	s_or_b64 exec, exec, s[36:37]
	s_and_saveexec_b64 s[36:37], s[40:41]
	s_cbranch_execz .LBB2083_148
.LBB2083_180:                           ;   in Loop: Header=BB2083_72 Depth=2
	v_lshlrev_b32_e32 v21, 2, v92
	ds_read_b32 v23, v21
	v_add_u32_e32 v21, v47, v48
	ds_read_b64 v[21:22], v21 offset:7168
	v_mov_b32_e32 v24, v3
	v_mov_b32_e32 v96, s73
	s_waitcnt lgkmcnt(1)
	v_add_u32_e32 v23, v23, v28
	v_lshlrev_b64 v[23:24], 3, v[23:24]
	v_add_co_u32_e32 v23, vcc, s72, v23
	v_addc_co_u32_e32 v24, vcc, v96, v24, vcc
	s_waitcnt lgkmcnt(0)
	global_store_dwordx2 v[23:24], v[21:22], off
	s_or_b64 exec, exec, s[36:37]
	s_and_saveexec_b64 s[36:37], s[42:43]
	s_cbranch_execz .LBB2083_149
.LBB2083_181:                           ;   in Loop: Header=BB2083_72 Depth=2
	v_lshlrev_b32_e32 v21, 2, v90
	ds_read_b32 v23, v21
	v_add_u32_e32 v21, v47, v48
	ds_read_b64 v[21:22], v21 offset:9216
	v_mov_b32_e32 v24, v3
	v_mov_b32_e32 v96, s73
	s_waitcnt lgkmcnt(1)
	v_add_u32_e32 v23, v23, v31
	v_lshlrev_b64 v[23:24], 3, v[23:24]
	v_add_co_u32_e32 v23, vcc, s72, v23
	v_addc_co_u32_e32 v24, vcc, v96, v24, vcc
	s_waitcnt lgkmcnt(0)
	global_store_dwordx2 v[23:24], v[21:22], off
	s_or_b64 exec, exec, s[36:37]
	s_and_saveexec_b64 s[36:37], s[44:45]
	s_cbranch_execz .LBB2083_150
.LBB2083_182:                           ;   in Loop: Header=BB2083_72 Depth=2
	v_lshlrev_b32_e32 v21, 2, v89
	ds_read_b32 v23, v21
	v_add_u32_e32 v21, v47, v48
	ds_read_b64 v[21:22], v21 offset:11264
	v_mov_b32_e32 v24, v3
	v_mov_b32_e32 v96, s73
	s_waitcnt lgkmcnt(1)
	v_add_u32_e32 v23, v23, v32
	v_lshlrev_b64 v[23:24], 3, v[23:24]
	v_add_co_u32_e32 v23, vcc, s72, v23
	v_addc_co_u32_e32 v24, vcc, v96, v24, vcc
	s_waitcnt lgkmcnt(0)
	global_store_dwordx2 v[23:24], v[21:22], off
	s_or_b64 exec, exec, s[36:37]
	s_and_saveexec_b64 s[36:37], s[46:47]
	s_cbranch_execz .LBB2083_151
.LBB2083_183:                           ;   in Loop: Header=BB2083_72 Depth=2
	v_lshlrev_b32_e32 v21, 2, v88
	ds_read_b32 v23, v21
	v_add_u32_e32 v21, v47, v48
	ds_read_b64 v[21:22], v21 offset:13312
	v_mov_b32_e32 v24, v3
	v_mov_b32_e32 v96, s73
	s_waitcnt lgkmcnt(1)
	v_add_u32_e32 v23, v23, v33
	v_lshlrev_b64 v[23:24], 3, v[23:24]
	v_add_co_u32_e32 v23, vcc, s72, v23
	v_addc_co_u32_e32 v24, vcc, v96, v24, vcc
	s_waitcnt lgkmcnt(0)
	global_store_dwordx2 v[23:24], v[21:22], off
	s_or_b64 exec, exec, s[36:37]
	s_and_saveexec_b64 s[36:37], s[48:49]
	s_cbranch_execnz .LBB2083_152
	s_branch .LBB2083_153
.LBB2083_184:                           ;   in Loop: Header=BB2083_20 Depth=1
	s_waitcnt lgkmcnt(0)
	s_barrier
	s_mov_b64 s[16:17], 0
.LBB2083_185:                           ;   in Loop: Header=BB2083_20 Depth=1
	s_and_b64 vcc, exec, s[16:17]
	s_cbranch_vccz .LBB2083_349
; %bb.186:                              ;   in Loop: Header=BB2083_20 Depth=1
	s_mov_b32 s20, s79
	s_mov_b32 s58, s51
	s_barrier
                                        ; implicit-def: $vgpr4
                                        ; implicit-def: $vgpr5
                                        ; implicit-def: $vgpr6
                                        ; implicit-def: $vgpr7
                                        ; implicit-def: $vgpr8
                                        ; implicit-def: $vgpr9
                                        ; implicit-def: $vgpr10
                                        ; implicit-def: $vgpr11
	s_branch .LBB2083_188
.LBB2083_187:                           ;   in Loop: Header=BB2083_188 Depth=2
	s_or_b64 exec, exec, s[16:17]
	s_addk_i32 s20, 0xf800
	s_cmp_ge_u32 s21, s80
	s_mov_b32 s58, s21
	s_cbranch_scc1 .LBB2083_224
.LBB2083_188:                           ;   Parent Loop BB2083_20 Depth=1
                                        ; =>  This Inner Loop Header: Depth=2
	s_add_i32 s21, s58, 0x800
	s_cmp_gt_u32 s21, s80
	s_mov_b64 s[16:17], -1
                                        ; implicit-def: $vgpr12
                                        ; implicit-def: $vgpr13
                                        ; implicit-def: $vgpr14
                                        ; implicit-def: $vgpr15
                                        ; implicit-def: $vgpr16
                                        ; implicit-def: $vgpr17
                                        ; implicit-def: $vgpr18
                                        ; implicit-def: $vgpr19
	s_cbranch_scc1 .LBB2083_190
; %bb.189:                              ;   in Loop: Header=BB2083_188 Depth=2
	s_lshl_b64 s[16:17], s[58:59], 1
	v_mov_b32_e32 v12, s17
	v_add_co_u32_e32 v20, vcc, s16, v49
	v_addc_co_u32_e32 v21, vcc, v50, v12, vcc
	global_load_ushort v12, v[20:21], off
	global_load_ushort v13, v[20:21], off offset:512
	global_load_ushort v14, v[20:21], off offset:1024
	;; [unrolled: 1-line block ×7, first 2 shown]
	s_mov_b64 s[16:17], 0
.LBB2083_190:                           ;   in Loop: Header=BB2083_188 Depth=2
	s_andn2_b64 vcc, exec, s[16:17]
	s_movk_i32 s18, 0x800
	s_cbranch_vccnz .LBB2083_201
; %bb.191:                              ;   in Loop: Header=BB2083_188 Depth=2
	s_lshl_b64 s[16:17], s[58:59], 1
	s_add_u32 s16, s66, s16
	s_addc_u32 s17, s67, s17
	v_cmp_gt_u32_e32 vcc, s20, v0
	s_and_saveexec_b64 s[18:19], vcc
	s_cbranch_execnz .LBB2083_217
; %bb.192:                              ;   in Loop: Header=BB2083_188 Depth=2
	s_or_b64 exec, exec, s[18:19]
	v_cmp_gt_u32_e32 vcc, s20, v26
	s_and_saveexec_b64 s[18:19], vcc
	s_cbranch_execnz .LBB2083_218
.LBB2083_193:                           ;   in Loop: Header=BB2083_188 Depth=2
	s_or_b64 exec, exec, s[18:19]
	v_cmp_gt_u32_e32 vcc, s20, v27
	s_and_saveexec_b64 s[18:19], vcc
	s_cbranch_execnz .LBB2083_219
.LBB2083_194:                           ;   in Loop: Header=BB2083_188 Depth=2
	s_or_b64 exec, exec, s[18:19]
	v_cmp_gt_u32_e32 vcc, s20, v28
	s_and_saveexec_b64 s[18:19], vcc
	s_cbranch_execnz .LBB2083_220
.LBB2083_195:                           ;   in Loop: Header=BB2083_188 Depth=2
	s_or_b64 exec, exec, s[18:19]
	v_cmp_gt_u32_e32 vcc, s20, v31
	s_and_saveexec_b64 s[18:19], vcc
	s_cbranch_execnz .LBB2083_221
.LBB2083_196:                           ;   in Loop: Header=BB2083_188 Depth=2
	s_or_b64 exec, exec, s[18:19]
	v_cmp_gt_u32_e32 vcc, s20, v32
	s_and_saveexec_b64 s[18:19], vcc
	s_cbranch_execnz .LBB2083_222
.LBB2083_197:                           ;   in Loop: Header=BB2083_188 Depth=2
	s_or_b64 exec, exec, s[18:19]
	v_cmp_gt_u32_e32 vcc, s20, v33
	s_and_saveexec_b64 s[18:19], vcc
	s_cbranch_execnz .LBB2083_223
.LBB2083_198:                           ;   in Loop: Header=BB2083_188 Depth=2
	s_or_b64 exec, exec, s[18:19]
	v_cmp_gt_u32_e32 vcc, s20, v34
	s_and_saveexec_b64 s[18:19], vcc
	s_cbranch_execz .LBB2083_200
.LBB2083_199:                           ;   in Loop: Header=BB2083_188 Depth=2
	global_load_ushort v4, v64, s[16:17] offset:3584
.LBB2083_200:                           ;   in Loop: Header=BB2083_188 Depth=2
	s_or_b64 exec, exec, s[18:19]
	s_mov_b32 s18, s20
	s_waitcnt vmcnt(0)
	v_mov_b32_e32 v12, v11
	v_mov_b32_e32 v13, v10
	;; [unrolled: 1-line block ×8, first 2 shown]
.LBB2083_201:                           ;   in Loop: Header=BB2083_188 Depth=2
	s_waitcnt vmcnt(0)
	v_mov_b32_e32 v4, v19
	v_mov_b32_e32 v5, v18
	;; [unrolled: 1-line block ×8, first 2 shown]
	v_cmp_gt_u32_e32 vcc, s18, v0
	s_and_saveexec_b64 s[16:17], vcc
	s_cbranch_execnz .LBB2083_209
; %bb.202:                              ;   in Loop: Header=BB2083_188 Depth=2
	s_or_b64 exec, exec, s[16:17]
	v_cmp_gt_u32_e32 vcc, s18, v26
	s_and_saveexec_b64 s[16:17], vcc
	s_cbranch_execnz .LBB2083_210
.LBB2083_203:                           ;   in Loop: Header=BB2083_188 Depth=2
	s_or_b64 exec, exec, s[16:17]
	v_cmp_gt_u32_e32 vcc, s18, v27
	s_and_saveexec_b64 s[16:17], vcc
	s_cbranch_execnz .LBB2083_211
.LBB2083_204:                           ;   in Loop: Header=BB2083_188 Depth=2
	s_or_b64 exec, exec, s[16:17]
	v_cmp_gt_u32_e32 vcc, s18, v28
	s_and_saveexec_b64 s[16:17], vcc
	s_cbranch_execnz .LBB2083_212
.LBB2083_205:                           ;   in Loop: Header=BB2083_188 Depth=2
	s_or_b64 exec, exec, s[16:17]
	v_cmp_gt_u32_e32 vcc, s18, v31
	s_and_saveexec_b64 s[16:17], vcc
	s_cbranch_execnz .LBB2083_213
.LBB2083_206:                           ;   in Loop: Header=BB2083_188 Depth=2
	s_or_b64 exec, exec, s[16:17]
	v_cmp_gt_u32_e32 vcc, s18, v32
	s_and_saveexec_b64 s[16:17], vcc
	s_cbranch_execnz .LBB2083_214
.LBB2083_207:                           ;   in Loop: Header=BB2083_188 Depth=2
	s_or_b64 exec, exec, s[16:17]
	v_cmp_gt_u32_e32 vcc, s18, v33
	s_and_saveexec_b64 s[16:17], vcc
	s_cbranch_execnz .LBB2083_215
.LBB2083_208:                           ;   in Loop: Header=BB2083_188 Depth=2
	s_or_b64 exec, exec, s[16:17]
	v_cmp_gt_u32_e32 vcc, s18, v34
	s_and_saveexec_b64 s[16:17], vcc
	s_cbranch_execz .LBB2083_187
	s_branch .LBB2083_216
.LBB2083_209:                           ;   in Loop: Header=BB2083_188 Depth=2
	v_cmp_lt_i16_e32 vcc, -1, v11
	v_cndmask_b32_e32 v12, -1, v65, vcc
	v_xor_b32_e32 v12, v12, v11
	v_cmp_ne_u16_e32 vcc, s62, v12
	v_cndmask_b32_e32 v12, v65, v12, vcc
	v_lshrrev_b32_sdwa v12, s63, v12 dst_sel:DWORD dst_unused:UNUSED_PAD src0_sel:DWORD src1_sel:WORD_0
	v_and_b32_e32 v12, s70, v12
	v_lshl_or_b32 v12, v12, 4, v35
	ds_add_u32 v12, v61
	s_or_b64 exec, exec, s[16:17]
	v_cmp_gt_u32_e32 vcc, s18, v26
	s_and_saveexec_b64 s[16:17], vcc
	s_cbranch_execz .LBB2083_203
.LBB2083_210:                           ;   in Loop: Header=BB2083_188 Depth=2
	v_cmp_lt_i16_e32 vcc, -1, v10
	v_cndmask_b32_e32 v12, -1, v65, vcc
	v_xor_b32_e32 v12, v12, v10
	v_cmp_ne_u16_e32 vcc, s62, v12
	v_cndmask_b32_e32 v12, v65, v12, vcc
	v_lshrrev_b32_sdwa v12, s63, v12 dst_sel:DWORD dst_unused:UNUSED_PAD src0_sel:DWORD src1_sel:WORD_0
	v_and_b32_e32 v12, s70, v12
	v_lshl_or_b32 v12, v12, 4, v35
	ds_add_u32 v12, v61
	s_or_b64 exec, exec, s[16:17]
	v_cmp_gt_u32_e32 vcc, s18, v27
	s_and_saveexec_b64 s[16:17], vcc
	s_cbranch_execz .LBB2083_204
.LBB2083_211:                           ;   in Loop: Header=BB2083_188 Depth=2
	v_cmp_lt_i16_e32 vcc, -1, v9
	v_cndmask_b32_e32 v12, -1, v65, vcc
	v_xor_b32_e32 v12, v12, v9
	v_cmp_ne_u16_e32 vcc, s62, v12
	v_cndmask_b32_e32 v12, v65, v12, vcc
	v_lshrrev_b32_sdwa v12, s63, v12 dst_sel:DWORD dst_unused:UNUSED_PAD src0_sel:DWORD src1_sel:WORD_0
	v_and_b32_e32 v12, s70, v12
	v_lshl_or_b32 v12, v12, 4, v35
	ds_add_u32 v12, v61
	s_or_b64 exec, exec, s[16:17]
	v_cmp_gt_u32_e32 vcc, s18, v28
	s_and_saveexec_b64 s[16:17], vcc
	s_cbranch_execz .LBB2083_205
.LBB2083_212:                           ;   in Loop: Header=BB2083_188 Depth=2
	v_cmp_lt_i16_e32 vcc, -1, v8
	v_cndmask_b32_e32 v12, -1, v65, vcc
	v_xor_b32_e32 v12, v12, v8
	v_cmp_ne_u16_e32 vcc, s62, v12
	v_cndmask_b32_e32 v12, v65, v12, vcc
	v_lshrrev_b32_sdwa v12, s63, v12 dst_sel:DWORD dst_unused:UNUSED_PAD src0_sel:DWORD src1_sel:WORD_0
	v_and_b32_e32 v12, s70, v12
	v_lshl_or_b32 v12, v12, 4, v35
	ds_add_u32 v12, v61
	s_or_b64 exec, exec, s[16:17]
	v_cmp_gt_u32_e32 vcc, s18, v31
	s_and_saveexec_b64 s[16:17], vcc
	s_cbranch_execz .LBB2083_206
.LBB2083_213:                           ;   in Loop: Header=BB2083_188 Depth=2
	v_cmp_lt_i16_e32 vcc, -1, v7
	v_cndmask_b32_e32 v12, -1, v65, vcc
	v_xor_b32_e32 v12, v12, v7
	v_cmp_ne_u16_e32 vcc, s62, v12
	v_cndmask_b32_e32 v12, v65, v12, vcc
	v_lshrrev_b32_sdwa v12, s63, v12 dst_sel:DWORD dst_unused:UNUSED_PAD src0_sel:DWORD src1_sel:WORD_0
	v_and_b32_e32 v12, s70, v12
	v_lshl_or_b32 v12, v12, 4, v35
	ds_add_u32 v12, v61
	s_or_b64 exec, exec, s[16:17]
	v_cmp_gt_u32_e32 vcc, s18, v32
	s_and_saveexec_b64 s[16:17], vcc
	s_cbranch_execz .LBB2083_207
.LBB2083_214:                           ;   in Loop: Header=BB2083_188 Depth=2
	v_cmp_lt_i16_e32 vcc, -1, v6
	v_cndmask_b32_e32 v12, -1, v65, vcc
	v_xor_b32_e32 v12, v12, v6
	v_cmp_ne_u16_e32 vcc, s62, v12
	v_cndmask_b32_e32 v12, v65, v12, vcc
	v_lshrrev_b32_sdwa v12, s63, v12 dst_sel:DWORD dst_unused:UNUSED_PAD src0_sel:DWORD src1_sel:WORD_0
	v_and_b32_e32 v12, s70, v12
	v_lshl_or_b32 v12, v12, 4, v35
	ds_add_u32 v12, v61
	s_or_b64 exec, exec, s[16:17]
	v_cmp_gt_u32_e32 vcc, s18, v33
	s_and_saveexec_b64 s[16:17], vcc
	s_cbranch_execz .LBB2083_208
.LBB2083_215:                           ;   in Loop: Header=BB2083_188 Depth=2
	v_cmp_lt_i16_e32 vcc, -1, v5
	v_cndmask_b32_e32 v12, -1, v65, vcc
	v_xor_b32_e32 v12, v12, v5
	v_cmp_ne_u16_e32 vcc, s62, v12
	v_cndmask_b32_e32 v12, v65, v12, vcc
	v_lshrrev_b32_sdwa v12, s63, v12 dst_sel:DWORD dst_unused:UNUSED_PAD src0_sel:DWORD src1_sel:WORD_0
	v_and_b32_e32 v12, s70, v12
	v_lshl_or_b32 v12, v12, 4, v35
	ds_add_u32 v12, v61
	s_or_b64 exec, exec, s[16:17]
	v_cmp_gt_u32_e32 vcc, s18, v34
	s_and_saveexec_b64 s[16:17], vcc
	s_cbranch_execz .LBB2083_187
.LBB2083_216:                           ;   in Loop: Header=BB2083_188 Depth=2
	v_cmp_lt_i16_e32 vcc, -1, v4
	v_cndmask_b32_e32 v12, -1, v65, vcc
	v_xor_b32_e32 v12, v12, v4
	v_cmp_ne_u16_e32 vcc, s62, v12
	v_cndmask_b32_e32 v12, v65, v12, vcc
	v_lshrrev_b32_sdwa v12, s63, v12 dst_sel:DWORD dst_unused:UNUSED_PAD src0_sel:DWORD src1_sel:WORD_0
	v_and_b32_e32 v12, s70, v12
	v_lshl_or_b32 v12, v12, 4, v35
	ds_add_u32 v12, v61
	s_branch .LBB2083_187
.LBB2083_217:                           ;   in Loop: Header=BB2083_188 Depth=2
	global_load_ushort v11, v64, s[16:17]
	s_or_b64 exec, exec, s[18:19]
	v_cmp_gt_u32_e32 vcc, s20, v26
	s_and_saveexec_b64 s[18:19], vcc
	s_cbranch_execz .LBB2083_193
.LBB2083_218:                           ;   in Loop: Header=BB2083_188 Depth=2
	global_load_ushort v10, v64, s[16:17] offset:512
	s_or_b64 exec, exec, s[18:19]
	v_cmp_gt_u32_e32 vcc, s20, v27
	s_and_saveexec_b64 s[18:19], vcc
	s_cbranch_execz .LBB2083_194
.LBB2083_219:                           ;   in Loop: Header=BB2083_188 Depth=2
	global_load_ushort v9, v64, s[16:17] offset:1024
	s_or_b64 exec, exec, s[18:19]
	v_cmp_gt_u32_e32 vcc, s20, v28
	s_and_saveexec_b64 s[18:19], vcc
	s_cbranch_execz .LBB2083_195
.LBB2083_220:                           ;   in Loop: Header=BB2083_188 Depth=2
	global_load_ushort v8, v64, s[16:17] offset:1536
	s_or_b64 exec, exec, s[18:19]
	v_cmp_gt_u32_e32 vcc, s20, v31
	s_and_saveexec_b64 s[18:19], vcc
	s_cbranch_execz .LBB2083_196
.LBB2083_221:                           ;   in Loop: Header=BB2083_188 Depth=2
	global_load_ushort v7, v64, s[16:17] offset:2048
	s_or_b64 exec, exec, s[18:19]
	v_cmp_gt_u32_e32 vcc, s20, v32
	s_and_saveexec_b64 s[18:19], vcc
	s_cbranch_execz .LBB2083_197
.LBB2083_222:                           ;   in Loop: Header=BB2083_188 Depth=2
	global_load_ushort v6, v64, s[16:17] offset:2560
	s_or_b64 exec, exec, s[18:19]
	v_cmp_gt_u32_e32 vcc, s20, v33
	s_and_saveexec_b64 s[18:19], vcc
	s_cbranch_execz .LBB2083_198
.LBB2083_223:                           ;   in Loop: Header=BB2083_188 Depth=2
	global_load_ushort v5, v64, s[16:17] offset:3072
	s_or_b64 exec, exec, s[18:19]
	v_cmp_gt_u32_e32 vcc, s20, v34
	s_and_saveexec_b64 s[18:19], vcc
	s_cbranch_execnz .LBB2083_199
	s_branch .LBB2083_200
.LBB2083_224:                           ;   in Loop: Header=BB2083_20 Depth=1
	v_mov_b32_e32 v4, 0
	s_waitcnt lgkmcnt(0)
	s_barrier
	s_and_saveexec_b64 s[16:17], s[4:5]
	s_cbranch_execz .LBB2083_226
; %bb.225:                              ;   in Loop: Header=BB2083_20 Depth=1
	ds_read2_b64 v[4:7], v36 offset1:1
	s_waitcnt lgkmcnt(0)
	v_add_u32_e32 v4, v5, v4
	v_add3_u32 v4, v4, v6, v7
.LBB2083_226:                           ;   in Loop: Header=BB2083_20 Depth=1
	s_or_b64 exec, exec, s[16:17]
	s_nop 0
	v_mov_b32_dpp v5, v4 row_shr:1 row_mask:0xf bank_mask:0xf
	v_cmp_eq_u32_e64 s[16:17], 0, v67
	v_cndmask_b32_e64 v5, v5, 0, s[16:17]
	v_add_u32_e32 v4, v5, v4
	v_cmp_lt_u32_e64 s[18:19], 1, v67
	v_cmp_lt_u32_e64 s[20:21], 3, v67
	v_mov_b32_dpp v5, v4 row_shr:2 row_mask:0xf bank_mask:0xf
	v_cndmask_b32_e64 v5, 0, v5, s[18:19]
	v_add_u32_e32 v4, v4, v5
	v_cmp_lt_u32_e64 s[22:23], 7, v67
	v_cmp_lt_u32_e64 s[26:27], 31, v66
	v_mov_b32_dpp v5, v4 row_shr:4 row_mask:0xf bank_mask:0xf
	v_cndmask_b32_e64 v5, 0, v5, s[20:21]
	v_add_u32_e32 v4, v4, v5
	v_cmp_eq_u32_e64 s[24:25], 0, v69
	s_nop 0
	v_mov_b32_dpp v5, v4 row_shr:8 row_mask:0xf bank_mask:0xf
	v_cndmask_b32_e64 v5, 0, v5, s[22:23]
	v_add_u32_e32 v4, v4, v5
	s_nop 1
	v_mov_b32_dpp v5, v4 row_bcast:15 row_mask:0xf bank_mask:0xf
	v_and_b32_e32 v5, v68, v5
	v_add_u32_e32 v4, v4, v5
	s_nop 1
	v_mov_b32_dpp v5, v4 row_bcast:31 row_mask:0xf bank_mask:0xf
	v_cndmask_b32_e64 v5, 0, v5, s[26:27]
	v_add_u32_e32 v4, v4, v5
	s_and_saveexec_b64 s[28:29], s[6:7]
; %bb.227:                              ;   in Loop: Header=BB2083_20 Depth=1
	ds_write_b32 v38, v4
; %bb.228:                              ;   in Loop: Header=BB2083_20 Depth=1
	s_or_b64 exec, exec, s[28:29]
	s_waitcnt lgkmcnt(0)
	s_barrier
	s_and_saveexec_b64 s[28:29], s[8:9]
	s_cbranch_execz .LBB2083_230
; %bb.229:                              ;   in Loop: Header=BB2083_20 Depth=1
	ds_read_b32 v5, v39
	v_cmp_ne_u32_e32 vcc, 0, v70
	s_waitcnt lgkmcnt(0)
	v_mov_b32_dpp v6, v5 row_shr:1 row_mask:0xf bank_mask:0xf
	v_cndmask_b32_e32 v6, 0, v6, vcc
	v_add_u32_e32 v5, v6, v5
	v_cmp_lt_u32_e32 vcc, 1, v70
	s_nop 0
	v_mov_b32_dpp v6, v5 row_shr:2 row_mask:0xf bank_mask:0xf
	v_cndmask_b32_e32 v6, 0, v6, vcc
	v_add_u32_e32 v5, v5, v6
	ds_write_b32 v39, v5
.LBB2083_230:                           ;   in Loop: Header=BB2083_20 Depth=1
	s_or_b64 exec, exec, s[28:29]
	v_mov_b32_e32 v5, 0
	s_waitcnt lgkmcnt(0)
	s_barrier
	s_and_saveexec_b64 s[28:29], s[10:11]
; %bb.231:                              ;   in Loop: Header=BB2083_20 Depth=1
	ds_read_b32 v5, v40
; %bb.232:                              ;   in Loop: Header=BB2083_20 Depth=1
	s_or_b64 exec, exec, s[28:29]
	v_subrev_co_u32_e64 v6, s[28:29], 1, v66
	v_cmp_lt_i32_e32 vcc, v6, v71
	v_cndmask_b32_e32 v6, v6, v66, vcc
	s_waitcnt lgkmcnt(0)
	v_add_u32_e32 v4, v5, v4
	v_lshlrev_b32_e32 v82, 2, v6
	ds_bpermute_b32 v4, v82, v4
	s_waitcnt lgkmcnt(0)
	s_barrier
	s_and_saveexec_b64 s[30:31], s[4:5]
; %bb.233:                              ;   in Loop: Header=BB2083_20 Depth=1
	v_cndmask_b32_e64 v4, v4, v5, s[28:29]
	v_add_u32_e32 v4, s51, v4
	ds_write_b32 v25, v4
; %bb.234:                              ;   in Loop: Header=BB2083_20 Depth=1
	s_or_b64 exec, exec, s[30:31]
	s_load_dwordx2 s[30:31], s[56:57], 0x0
	v_add_co_u32_e32 v83, vcc, v51, v72
	v_addc_co_u32_e32 v84, vcc, 0, v52, vcc
	s_waitcnt lgkmcnt(0)
	s_cmp_lt_u32 s33, s31
	s_cselect_b32 s31, 14, 20
	s_add_u32 s34, s56, s31
	s_addc_u32 s35, s57, 0
	s_cmp_lt_u32 s50, s30
	s_cselect_b32 s30, 12, 18
	s_add_u32 s30, s56, s30
	global_load_ushort v4, v3, s[34:35]
	s_addc_u32 s31, s57, 0
	global_load_ushort v5, v3, s[30:31]
	v_add_co_u32_e32 v85, vcc, v53, v81
	v_cmp_eq_u32_e64 s[30:31], 0, v70
	v_cmp_lt_u32_e64 s[34:35], 1, v70
	v_addc_co_u32_e32 v86, vcc, 0, v54, vcc
	s_mov_b32 s71, s79
	s_mov_b32 s58, s51
                                        ; implicit-def: $vgpr7_vgpr8
                                        ; implicit-def: $vgpr9_vgpr10
                                        ; implicit-def: $vgpr11_vgpr12
                                        ; implicit-def: $vgpr13_vgpr14
                                        ; implicit-def: $vgpr15_vgpr16
                                        ; implicit-def: $vgpr17_vgpr18
                                        ; implicit-def: $vgpr19_vgpr20
                                        ; implicit-def: $vgpr87
                                        ; implicit-def: $vgpr88
                                        ; implicit-def: $vgpr89
                                        ; implicit-def: $vgpr90
                                        ; implicit-def: $vgpr92
                                        ; implicit-def: $vgpr93
                                        ; implicit-def: $vgpr94
                                        ; implicit-def: $vgpr95
	s_waitcnt vmcnt(1)
	v_mad_u32_u24 v4, v2, v4, v1
	s_waitcnt vmcnt(0)
	v_mad_u64_u32 v[4:5], s[36:37], v4, v5, v[0:1]
                                        ; implicit-def: $vgpr5_vgpr6
	v_lshrrev_b32_e32 v4, 4, v4
	v_and_b32_e32 v91, 0xffffffc, v4
	s_branch .LBB2083_236
.LBB2083_235:                           ;   in Loop: Header=BB2083_236 Depth=2
	s_or_b64 exec, exec, s[36:37]
	s_addk_i32 s71, 0xf800
	s_cmp_lt_u32 s76, s80
	s_mov_b32 s58, s76
	s_cbranch_scc0 .LBB2083_348
.LBB2083_236:                           ;   Parent Loop BB2083_20 Depth=1
                                        ; =>  This Inner Loop Header: Depth=2
	s_add_i32 s76, s58, 0x800
	s_cmp_gt_u32 s76, s80
	s_cbranch_scc1 .LBB2083_238
; %bb.237:                              ;   in Loop: Header=BB2083_236 Depth=2
	s_lshl_b64 s[36:37], s[58:59], 1
	v_mov_b32_e32 v4, s37
	v_add_co_u32_e32 v21, vcc, s36, v85
	v_addc_co_u32_e32 v22, vcc, v86, v4, vcc
	global_load_ushort v4, v[21:22], off
	global_load_ushort v99, v[21:22], off offset:128
	global_load_ushort v103, v[21:22], off offset:256
	;; [unrolled: 1-line block ×6, first 2 shown]
	s_mov_b64 s[36:37], -1
	s_movk_i32 s40, 0x800
	s_cbranch_execz .LBB2083_239
	s_branch .LBB2083_254
.LBB2083_238:                           ;   in Loop: Header=BB2083_236 Depth=2
	s_mov_b64 s[36:37], 0
                                        ; implicit-def: $vgpr4
                                        ; implicit-def: $vgpr99
                                        ; implicit-def: $vgpr103
                                        ; implicit-def: $vgpr107
                                        ; implicit-def: $vgpr112
                                        ; implicit-def: $vgpr108
                                        ; implicit-def: $vgpr24
	s_movk_i32 s40, 0x800
.LBB2083_239:                           ;   in Loop: Header=BB2083_236 Depth=2
	s_lshl_b64 s[36:37], s[58:59], 1
	s_waitcnt vmcnt(6)
	v_mov_b32_e32 v4, s37
	v_add_co_u32_e32 v21, vcc, s36, v85
	v_addc_co_u32_e32 v22, vcc, v86, v4, vcc
	v_cmp_gt_u32_e32 vcc, s71, v73
	s_waitcnt vmcnt(5)
	v_mov_b32_e32 v99, 0x7fff
	v_mov_b32_e32 v4, 0x7fff
	s_and_saveexec_b64 s[36:37], vcc
	s_cbranch_execz .LBB2083_241
; %bb.240:                              ;   in Loop: Header=BB2083_236 Depth=2
	global_load_ushort v4, v[21:22], off
.LBB2083_241:                           ;   in Loop: Header=BB2083_236 Depth=2
	s_or_b64 exec, exec, s[36:37]
	v_cmp_gt_u32_e32 vcc, s71, v74
	s_and_saveexec_b64 s[36:37], vcc
	s_cbranch_execz .LBB2083_243
; %bb.242:                              ;   in Loop: Header=BB2083_236 Depth=2
	global_load_ushort v99, v[21:22], off offset:128
.LBB2083_243:                           ;   in Loop: Header=BB2083_236 Depth=2
	s_or_b64 exec, exec, s[36:37]
	v_cmp_gt_u32_e32 vcc, s71, v75
	s_waitcnt vmcnt(3)
	v_mov_b32_e32 v107, 0x7fff
	v_mov_b32_e32 v103, 0x7fff
	s_and_saveexec_b64 s[36:37], vcc
	s_cbranch_execz .LBB2083_245
; %bb.244:                              ;   in Loop: Header=BB2083_236 Depth=2
	global_load_ushort v103, v[21:22], off offset:256
.LBB2083_245:                           ;   in Loop: Header=BB2083_236 Depth=2
	s_or_b64 exec, exec, s[36:37]
	v_cmp_gt_u32_e32 vcc, s71, v76
	s_and_saveexec_b64 s[36:37], vcc
	s_cbranch_execz .LBB2083_247
; %bb.246:                              ;   in Loop: Header=BB2083_236 Depth=2
	global_load_ushort v107, v[21:22], off offset:384
.LBB2083_247:                           ;   in Loop: Header=BB2083_236 Depth=2
	s_or_b64 exec, exec, s[36:37]
	v_cmp_gt_u32_e32 vcc, s71, v77
	s_waitcnt vmcnt(1)
	v_mov_b32_e32 v108, 0x7fff
	v_mov_b32_e32 v112, 0x7fff
	s_and_saveexec_b64 s[36:37], vcc
	s_cbranch_execz .LBB2083_249
; %bb.248:                              ;   in Loop: Header=BB2083_236 Depth=2
	global_load_ushort v112, v[21:22], off offset:512
.LBB2083_249:                           ;   in Loop: Header=BB2083_236 Depth=2
	s_or_b64 exec, exec, s[36:37]
	v_cmp_gt_u32_e32 vcc, s71, v78
	s_and_saveexec_b64 s[36:37], vcc
	s_cbranch_execz .LBB2083_251
; %bb.250:                              ;   in Loop: Header=BB2083_236 Depth=2
	global_load_ushort v108, v[21:22], off offset:640
.LBB2083_251:                           ;   in Loop: Header=BB2083_236 Depth=2
	s_or_b64 exec, exec, s[36:37]
	v_cmp_gt_u32_e32 vcc, s71, v79
	s_waitcnt vmcnt(0)
	v_mov_b32_e32 v24, 0x7fff
	s_and_saveexec_b64 s[36:37], vcc
	s_cbranch_execz .LBB2083_253
; %bb.252:                              ;   in Loop: Header=BB2083_236 Depth=2
	global_load_ushort v24, v[21:22], off offset:768
.LBB2083_253:                           ;   in Loop: Header=BB2083_236 Depth=2
	s_or_b64 exec, exec, s[36:37]
	s_sub_i32 s40, s80, s58
	v_cmp_gt_u32_e64 s[36:37], s71, v80
.LBB2083_254:                           ;   in Loop: Header=BB2083_236 Depth=2
	v_mov_b32_e32 v23, 0x7fff
	v_mov_b32_e32 v96, s71
	s_and_saveexec_b64 s[38:39], s[36:37]
	s_cbranch_execz .LBB2083_256
; %bb.255:                              ;   in Loop: Header=BB2083_236 Depth=2
	s_lshl_b64 s[36:37], s[58:59], 1
	v_mov_b32_e32 v22, s37
	v_add_co_u32_e32 v21, vcc, s36, v85
	v_addc_co_u32_e32 v22, vcc, v86, v22, vcc
	global_load_ushort v23, v[21:22], off offset:896
	v_mov_b32_e32 v96, s40
.LBB2083_256:                           ;   in Loop: Header=BB2083_236 Depth=2
	s_or_b64 exec, exec, s[38:39]
	s_waitcnt vmcnt(6)
	v_cmp_lt_i16_e32 vcc, -1, v4
	v_cndmask_b32_e32 v21, -1, v65, vcc
	v_xor_b32_e32 v97, v21, v4
	v_cmp_ne_u16_e32 vcc, s62, v97
	v_cndmask_b32_e32 v4, v65, v97, vcc
	v_lshrrev_b32_sdwa v4, s63, v4 dst_sel:DWORD dst_unused:UNUSED_PAD src0_sel:DWORD src1_sel:WORD_0
	v_and_b32_e32 v21, s70, v4
	v_and_b32_e32 v4, 1, v21
	v_add_co_u32_e32 v22, vcc, -1, v4
	v_addc_co_u32_e64 v98, s[36:37], 0, -1, vcc
	v_cmp_ne_u32_e32 vcc, 0, v4
	v_xor_b32_e32 v4, vcc_hi, v98
	v_and_b32_e32 v98, exec_hi, v4
	v_lshlrev_b32_e32 v4, 30, v21
	v_xor_b32_e32 v22, vcc_lo, v22
	v_cmp_gt_i64_e32 vcc, 0, v[3:4]
	v_not_b32_e32 v4, v4
	v_ashrrev_i32_e32 v4, 31, v4
	v_and_b32_e32 v22, exec_lo, v22
	v_xor_b32_e32 v101, vcc_hi, v4
	v_xor_b32_e32 v4, vcc_lo, v4
	v_and_b32_e32 v22, v22, v4
	v_lshlrev_b32_e32 v4, 29, v21
	v_cmp_gt_i64_e32 vcc, 0, v[3:4]
	v_not_b32_e32 v4, v4
	v_ashrrev_i32_e32 v4, 31, v4
	v_and_b32_e32 v98, v98, v101
	v_xor_b32_e32 v101, vcc_hi, v4
	v_xor_b32_e32 v4, vcc_lo, v4
	v_and_b32_e32 v22, v22, v4
	v_lshlrev_b32_e32 v4, 28, v21
	v_cmp_gt_i64_e32 vcc, 0, v[3:4]
	v_not_b32_e32 v4, v4
	v_ashrrev_i32_e32 v4, 31, v4
	v_and_b32_e32 v98, v98, v101
	;; [unrolled: 8-line block ×5, first 2 shown]
	v_xor_b32_e32 v101, vcc_hi, v4
	v_xor_b32_e32 v4, vcc_lo, v4
	v_and_b32_e32 v98, v98, v101
	v_and_b32_e32 v101, v22, v4
	v_lshlrev_b32_e32 v4, 24, v21
	v_cmp_gt_i64_e32 vcc, 0, v[3:4]
	v_not_b32_e32 v4, v4
	v_ashrrev_i32_e32 v4, 31, v4
	v_mul_u32_u24_e32 v100, 20, v21
	v_xor_b32_e32 v21, vcc_hi, v4
	v_xor_b32_e32 v4, vcc_lo, v4
	v_and_b32_e32 v22, v98, v21
	v_and_b32_e32 v21, v101, v4
	v_mbcnt_lo_u32_b32 v4, v21, 0
	v_mbcnt_hi_u32_b32 v98, v22, v4
	v_cmp_ne_u64_e32 vcc, 0, v[21:22]
	v_cmp_eq_u32_e64 s[36:37], 0, v98
	s_and_b64 s[38:39], vcc, s[36:37]
	v_add_u32_e32 v101, v91, v100
	ds_write2_b32 v62, v3, v3 offset1:1
	ds_write2_b32 v63, v3, v3 offset1:1
	ds_write_b32 v41, v3 offset:1056
	s_waitcnt vmcnt(0) lgkmcnt(0)
	s_barrier
	; wave barrier
	s_and_saveexec_b64 s[36:37], s[38:39]
; %bb.257:                              ;   in Loop: Header=BB2083_236 Depth=2
	v_bcnt_u32_b32 v4, v21, 0
	v_bcnt_u32_b32 v4, v22, v4
	ds_write_b32 v101, v4 offset:1040
; %bb.258:                              ;   in Loop: Header=BB2083_236 Depth=2
	s_or_b64 exec, exec, s[36:37]
	v_cmp_lt_i16_e32 vcc, -1, v99
	v_cndmask_b32_e32 v4, -1, v65, vcc
	v_xor_b32_e32 v99, v4, v99
	v_cmp_ne_u16_e32 vcc, s62, v99
	v_cndmask_b32_e32 v4, v65, v99, vcc
	v_lshrrev_b32_sdwa v4, s63, v4 dst_sel:DWORD dst_unused:UNUSED_PAD src0_sel:DWORD src1_sel:WORD_0
	v_and_b32_e32 v21, s70, v4
	v_mad_u32_u24 v4, v21, 20, v91
	; wave barrier
	ds_read_b32 v100, v4 offset:1040
	v_and_b32_e32 v4, 1, v21
	v_add_co_u32_e32 v22, vcc, -1, v4
	v_addc_co_u32_e64 v102, s[36:37], 0, -1, vcc
	v_cmp_ne_u32_e32 vcc, 0, v4
	v_xor_b32_e32 v4, vcc_hi, v102
	v_and_b32_e32 v102, exec_hi, v4
	v_lshlrev_b32_e32 v4, 30, v21
	v_xor_b32_e32 v22, vcc_lo, v22
	v_cmp_gt_i64_e32 vcc, 0, v[3:4]
	v_not_b32_e32 v4, v4
	v_ashrrev_i32_e32 v4, 31, v4
	v_and_b32_e32 v22, exec_lo, v22
	v_xor_b32_e32 v105, vcc_hi, v4
	v_xor_b32_e32 v4, vcc_lo, v4
	v_and_b32_e32 v22, v22, v4
	v_lshlrev_b32_e32 v4, 29, v21
	v_cmp_gt_i64_e32 vcc, 0, v[3:4]
	v_not_b32_e32 v4, v4
	v_ashrrev_i32_e32 v4, 31, v4
	v_and_b32_e32 v102, v102, v105
	v_xor_b32_e32 v105, vcc_hi, v4
	v_xor_b32_e32 v4, vcc_lo, v4
	v_and_b32_e32 v22, v22, v4
	v_lshlrev_b32_e32 v4, 28, v21
	v_cmp_gt_i64_e32 vcc, 0, v[3:4]
	v_not_b32_e32 v4, v4
	v_ashrrev_i32_e32 v4, 31, v4
	v_and_b32_e32 v102, v102, v105
	;; [unrolled: 8-line block ×5, first 2 shown]
	v_xor_b32_e32 v105, vcc_hi, v4
	v_xor_b32_e32 v4, vcc_lo, v4
	v_and_b32_e32 v102, v102, v105
	v_and_b32_e32 v105, v22, v4
	v_lshlrev_b32_e32 v4, 24, v21
	v_cmp_gt_i64_e32 vcc, 0, v[3:4]
	v_not_b32_e32 v4, v4
	v_ashrrev_i32_e32 v4, 31, v4
	v_mul_u32_u24_e32 v104, 20, v21
	v_xor_b32_e32 v21, vcc_hi, v4
	v_xor_b32_e32 v4, vcc_lo, v4
	v_and_b32_e32 v22, v102, v21
	v_and_b32_e32 v21, v105, v4
	v_mbcnt_lo_u32_b32 v4, v21, 0
	v_mbcnt_hi_u32_b32 v102, v22, v4
	v_cmp_ne_u64_e32 vcc, 0, v[21:22]
	v_cmp_eq_u32_e64 s[36:37], 0, v102
	s_and_b64 s[38:39], vcc, s[36:37]
	v_add_u32_e32 v105, v91, v104
	; wave barrier
	s_and_saveexec_b64 s[36:37], s[38:39]
	s_cbranch_execz .LBB2083_260
; %bb.259:                              ;   in Loop: Header=BB2083_236 Depth=2
	v_bcnt_u32_b32 v4, v21, 0
	v_bcnt_u32_b32 v4, v22, v4
	s_waitcnt lgkmcnt(0)
	v_add_u32_e32 v4, v100, v4
	ds_write_b32 v105, v4 offset:1040
.LBB2083_260:                           ;   in Loop: Header=BB2083_236 Depth=2
	s_or_b64 exec, exec, s[36:37]
	v_cmp_lt_i16_e32 vcc, -1, v103
	v_cndmask_b32_e32 v4, -1, v65, vcc
	v_xor_b32_e32 v103, v4, v103
	v_cmp_ne_u16_e32 vcc, s62, v103
	v_cndmask_b32_e32 v4, v65, v103, vcc
	v_lshrrev_b32_sdwa v4, s63, v4 dst_sel:DWORD dst_unused:UNUSED_PAD src0_sel:DWORD src1_sel:WORD_0
	v_and_b32_e32 v21, s70, v4
	v_mad_u32_u24 v4, v21, 20, v91
	; wave barrier
	ds_read_b32 v104, v4 offset:1040
	v_and_b32_e32 v4, 1, v21
	v_add_co_u32_e32 v22, vcc, -1, v4
	v_addc_co_u32_e64 v106, s[36:37], 0, -1, vcc
	v_cmp_ne_u32_e32 vcc, 0, v4
	v_xor_b32_e32 v4, vcc_hi, v106
	v_and_b32_e32 v106, exec_hi, v4
	v_lshlrev_b32_e32 v4, 30, v21
	v_xor_b32_e32 v22, vcc_lo, v22
	v_cmp_gt_i64_e32 vcc, 0, v[3:4]
	v_not_b32_e32 v4, v4
	v_ashrrev_i32_e32 v4, 31, v4
	v_and_b32_e32 v22, exec_lo, v22
	v_xor_b32_e32 v110, vcc_hi, v4
	v_xor_b32_e32 v4, vcc_lo, v4
	v_and_b32_e32 v22, v22, v4
	v_lshlrev_b32_e32 v4, 29, v21
	v_cmp_gt_i64_e32 vcc, 0, v[3:4]
	v_not_b32_e32 v4, v4
	v_ashrrev_i32_e32 v4, 31, v4
	v_and_b32_e32 v106, v106, v110
	v_xor_b32_e32 v110, vcc_hi, v4
	v_xor_b32_e32 v4, vcc_lo, v4
	v_and_b32_e32 v22, v22, v4
	v_lshlrev_b32_e32 v4, 28, v21
	v_cmp_gt_i64_e32 vcc, 0, v[3:4]
	v_not_b32_e32 v4, v4
	v_ashrrev_i32_e32 v4, 31, v4
	v_and_b32_e32 v106, v106, v110
	;; [unrolled: 8-line block ×5, first 2 shown]
	v_xor_b32_e32 v110, vcc_hi, v4
	v_xor_b32_e32 v4, vcc_lo, v4
	v_and_b32_e32 v106, v106, v110
	v_and_b32_e32 v110, v22, v4
	v_lshlrev_b32_e32 v4, 24, v21
	v_cmp_gt_i64_e32 vcc, 0, v[3:4]
	v_not_b32_e32 v4, v4
	v_ashrrev_i32_e32 v4, 31, v4
	v_mul_u32_u24_e32 v109, 20, v21
	v_xor_b32_e32 v21, vcc_hi, v4
	v_xor_b32_e32 v4, vcc_lo, v4
	v_and_b32_e32 v22, v106, v21
	v_and_b32_e32 v21, v110, v4
	v_mbcnt_lo_u32_b32 v4, v21, 0
	v_mbcnt_hi_u32_b32 v106, v22, v4
	v_cmp_ne_u64_e32 vcc, 0, v[21:22]
	v_cmp_eq_u32_e64 s[36:37], 0, v106
	s_and_b64 s[38:39], vcc, s[36:37]
	v_add_u32_e32 v110, v91, v109
	; wave barrier
	s_and_saveexec_b64 s[36:37], s[38:39]
	s_cbranch_execz .LBB2083_262
; %bb.261:                              ;   in Loop: Header=BB2083_236 Depth=2
	v_bcnt_u32_b32 v4, v21, 0
	v_bcnt_u32_b32 v4, v22, v4
	s_waitcnt lgkmcnt(0)
	v_add_u32_e32 v4, v104, v4
	ds_write_b32 v110, v4 offset:1040
.LBB2083_262:                           ;   in Loop: Header=BB2083_236 Depth=2
	s_or_b64 exec, exec, s[36:37]
	v_cmp_lt_i16_e32 vcc, -1, v107
	v_cndmask_b32_e32 v4, -1, v65, vcc
	v_xor_b32_e32 v107, v4, v107
	v_cmp_ne_u16_e32 vcc, s62, v107
	v_cndmask_b32_e32 v4, v65, v107, vcc
	v_lshrrev_b32_sdwa v4, s63, v4 dst_sel:DWORD dst_unused:UNUSED_PAD src0_sel:DWORD src1_sel:WORD_0
	v_and_b32_e32 v21, s70, v4
	v_mad_u32_u24 v4, v21, 20, v91
	; wave barrier
	ds_read_b32 v109, v4 offset:1040
	v_and_b32_e32 v4, 1, v21
	v_add_co_u32_e32 v22, vcc, -1, v4
	v_addc_co_u32_e64 v111, s[36:37], 0, -1, vcc
	v_cmp_ne_u32_e32 vcc, 0, v4
	v_xor_b32_e32 v4, vcc_hi, v111
	v_and_b32_e32 v111, exec_hi, v4
	v_lshlrev_b32_e32 v4, 30, v21
	v_xor_b32_e32 v22, vcc_lo, v22
	v_cmp_gt_i64_e32 vcc, 0, v[3:4]
	v_not_b32_e32 v4, v4
	v_ashrrev_i32_e32 v4, 31, v4
	v_and_b32_e32 v22, exec_lo, v22
	v_xor_b32_e32 v114, vcc_hi, v4
	v_xor_b32_e32 v4, vcc_lo, v4
	v_and_b32_e32 v22, v22, v4
	v_lshlrev_b32_e32 v4, 29, v21
	v_cmp_gt_i64_e32 vcc, 0, v[3:4]
	v_not_b32_e32 v4, v4
	v_ashrrev_i32_e32 v4, 31, v4
	v_and_b32_e32 v111, v111, v114
	v_xor_b32_e32 v114, vcc_hi, v4
	v_xor_b32_e32 v4, vcc_lo, v4
	v_and_b32_e32 v22, v22, v4
	v_lshlrev_b32_e32 v4, 28, v21
	v_cmp_gt_i64_e32 vcc, 0, v[3:4]
	v_not_b32_e32 v4, v4
	v_ashrrev_i32_e32 v4, 31, v4
	v_and_b32_e32 v111, v111, v114
	;; [unrolled: 8-line block ×5, first 2 shown]
	v_xor_b32_e32 v114, vcc_hi, v4
	v_xor_b32_e32 v4, vcc_lo, v4
	v_and_b32_e32 v111, v111, v114
	v_and_b32_e32 v114, v22, v4
	v_lshlrev_b32_e32 v4, 24, v21
	v_cmp_gt_i64_e32 vcc, 0, v[3:4]
	v_not_b32_e32 v4, v4
	v_ashrrev_i32_e32 v4, 31, v4
	v_mul_u32_u24_e32 v113, 20, v21
	v_xor_b32_e32 v21, vcc_hi, v4
	v_xor_b32_e32 v4, vcc_lo, v4
	v_and_b32_e32 v22, v111, v21
	v_and_b32_e32 v21, v114, v4
	v_mbcnt_lo_u32_b32 v4, v21, 0
	v_mbcnt_hi_u32_b32 v111, v22, v4
	v_cmp_ne_u64_e32 vcc, 0, v[21:22]
	v_cmp_eq_u32_e64 s[36:37], 0, v111
	s_and_b64 s[38:39], vcc, s[36:37]
	v_add_u32_e32 v114, v91, v113
	; wave barrier
	s_and_saveexec_b64 s[36:37], s[38:39]
	s_cbranch_execz .LBB2083_264
; %bb.263:                              ;   in Loop: Header=BB2083_236 Depth=2
	v_bcnt_u32_b32 v4, v21, 0
	v_bcnt_u32_b32 v4, v22, v4
	s_waitcnt lgkmcnt(0)
	v_add_u32_e32 v4, v109, v4
	ds_write_b32 v114, v4 offset:1040
.LBB2083_264:                           ;   in Loop: Header=BB2083_236 Depth=2
	s_or_b64 exec, exec, s[36:37]
	v_cmp_lt_i16_e32 vcc, -1, v112
	v_cndmask_b32_e32 v4, -1, v65, vcc
	v_xor_b32_e32 v112, v4, v112
	v_cmp_ne_u16_e32 vcc, s62, v112
	v_cndmask_b32_e32 v4, v65, v112, vcc
	v_lshrrev_b32_sdwa v4, s63, v4 dst_sel:DWORD dst_unused:UNUSED_PAD src0_sel:DWORD src1_sel:WORD_0
	v_and_b32_e32 v21, s70, v4
	v_mad_u32_u24 v4, v21, 20, v91
	; wave barrier
	ds_read_b32 v113, v4 offset:1040
	v_and_b32_e32 v4, 1, v21
	v_add_co_u32_e32 v22, vcc, -1, v4
	v_addc_co_u32_e64 v115, s[36:37], 0, -1, vcc
	v_cmp_ne_u32_e32 vcc, 0, v4
	v_xor_b32_e32 v4, vcc_hi, v115
	v_and_b32_e32 v115, exec_hi, v4
	v_lshlrev_b32_e32 v4, 30, v21
	v_xor_b32_e32 v22, vcc_lo, v22
	v_cmp_gt_i64_e32 vcc, 0, v[3:4]
	v_not_b32_e32 v4, v4
	v_ashrrev_i32_e32 v4, 31, v4
	v_and_b32_e32 v22, exec_lo, v22
	v_xor_b32_e32 v117, vcc_hi, v4
	v_xor_b32_e32 v4, vcc_lo, v4
	v_and_b32_e32 v22, v22, v4
	v_lshlrev_b32_e32 v4, 29, v21
	v_cmp_gt_i64_e32 vcc, 0, v[3:4]
	v_not_b32_e32 v4, v4
	v_ashrrev_i32_e32 v4, 31, v4
	v_and_b32_e32 v115, v115, v117
	v_xor_b32_e32 v117, vcc_hi, v4
	v_xor_b32_e32 v4, vcc_lo, v4
	v_and_b32_e32 v22, v22, v4
	v_lshlrev_b32_e32 v4, 28, v21
	v_cmp_gt_i64_e32 vcc, 0, v[3:4]
	v_not_b32_e32 v4, v4
	v_ashrrev_i32_e32 v4, 31, v4
	v_and_b32_e32 v115, v115, v117
	;; [unrolled: 8-line block ×5, first 2 shown]
	v_xor_b32_e32 v117, vcc_hi, v4
	v_xor_b32_e32 v4, vcc_lo, v4
	v_and_b32_e32 v115, v115, v117
	v_and_b32_e32 v117, v22, v4
	v_lshlrev_b32_e32 v4, 24, v21
	v_cmp_gt_i64_e32 vcc, 0, v[3:4]
	v_not_b32_e32 v4, v4
	v_ashrrev_i32_e32 v4, 31, v4
	v_mul_u32_u24_e32 v116, 20, v21
	v_xor_b32_e32 v21, vcc_hi, v4
	v_xor_b32_e32 v4, vcc_lo, v4
	v_and_b32_e32 v22, v115, v21
	v_and_b32_e32 v21, v117, v4
	v_mbcnt_lo_u32_b32 v4, v21, 0
	v_mbcnt_hi_u32_b32 v115, v22, v4
	v_cmp_ne_u64_e32 vcc, 0, v[21:22]
	v_cmp_eq_u32_e64 s[36:37], 0, v115
	s_and_b64 s[38:39], vcc, s[36:37]
	v_add_u32_e32 v118, v91, v116
	; wave barrier
	s_and_saveexec_b64 s[36:37], s[38:39]
	s_cbranch_execz .LBB2083_266
; %bb.265:                              ;   in Loop: Header=BB2083_236 Depth=2
	v_bcnt_u32_b32 v4, v21, 0
	v_bcnt_u32_b32 v4, v22, v4
	s_waitcnt lgkmcnt(0)
	v_add_u32_e32 v4, v113, v4
	ds_write_b32 v118, v4 offset:1040
.LBB2083_266:                           ;   in Loop: Header=BB2083_236 Depth=2
	s_or_b64 exec, exec, s[36:37]
	v_cmp_lt_i16_e32 vcc, -1, v108
	v_cndmask_b32_e32 v4, -1, v65, vcc
	v_xor_b32_e32 v116, v4, v108
	v_cmp_ne_u16_e32 vcc, s62, v116
	v_cndmask_b32_e32 v4, v65, v116, vcc
	v_lshrrev_b32_sdwa v4, s63, v4 dst_sel:DWORD dst_unused:UNUSED_PAD src0_sel:DWORD src1_sel:WORD_0
	v_and_b32_e32 v21, s70, v4
	v_mad_u32_u24 v4, v21, 20, v91
	; wave barrier
	ds_read_b32 v117, v4 offset:1040
	v_and_b32_e32 v4, 1, v21
	v_add_co_u32_e32 v22, vcc, -1, v4
	v_addc_co_u32_e64 v119, s[36:37], 0, -1, vcc
	v_cmp_ne_u32_e32 vcc, 0, v4
	v_xor_b32_e32 v4, vcc_hi, v119
	v_and_b32_e32 v119, exec_hi, v4
	v_lshlrev_b32_e32 v4, 30, v21
	v_xor_b32_e32 v22, vcc_lo, v22
	v_cmp_gt_i64_e32 vcc, 0, v[3:4]
	v_not_b32_e32 v4, v4
	v_ashrrev_i32_e32 v4, 31, v4
	v_and_b32_e32 v22, exec_lo, v22
	v_xor_b32_e32 v120, vcc_hi, v4
	v_xor_b32_e32 v4, vcc_lo, v4
	v_and_b32_e32 v22, v22, v4
	v_lshlrev_b32_e32 v4, 29, v21
	v_cmp_gt_i64_e32 vcc, 0, v[3:4]
	v_not_b32_e32 v4, v4
	v_ashrrev_i32_e32 v4, 31, v4
	v_and_b32_e32 v119, v119, v120
	v_xor_b32_e32 v120, vcc_hi, v4
	v_xor_b32_e32 v4, vcc_lo, v4
	v_and_b32_e32 v22, v22, v4
	v_lshlrev_b32_e32 v4, 28, v21
	v_cmp_gt_i64_e32 vcc, 0, v[3:4]
	v_not_b32_e32 v4, v4
	v_ashrrev_i32_e32 v4, 31, v4
	v_and_b32_e32 v119, v119, v120
	;; [unrolled: 8-line block ×5, first 2 shown]
	v_xor_b32_e32 v120, vcc_hi, v4
	v_xor_b32_e32 v4, vcc_lo, v4
	v_and_b32_e32 v119, v119, v120
	v_and_b32_e32 v120, v22, v4
	v_lshlrev_b32_e32 v4, 24, v21
	v_cmp_gt_i64_e32 vcc, 0, v[3:4]
	v_not_b32_e32 v4, v4
	v_ashrrev_i32_e32 v4, 31, v4
	v_mul_u32_u24_e32 v108, 20, v21
	v_xor_b32_e32 v21, vcc_hi, v4
	v_xor_b32_e32 v4, vcc_lo, v4
	v_and_b32_e32 v22, v119, v21
	v_and_b32_e32 v21, v120, v4
	v_mbcnt_lo_u32_b32 v4, v21, 0
	v_mbcnt_hi_u32_b32 v119, v22, v4
	v_cmp_ne_u64_e32 vcc, 0, v[21:22]
	v_cmp_eq_u32_e64 s[36:37], 0, v119
	s_and_b64 s[38:39], vcc, s[36:37]
	v_add_u32_e32 v108, v91, v108
	; wave barrier
	s_and_saveexec_b64 s[36:37], s[38:39]
	s_cbranch_execz .LBB2083_268
; %bb.267:                              ;   in Loop: Header=BB2083_236 Depth=2
	v_bcnt_u32_b32 v4, v21, 0
	v_bcnt_u32_b32 v4, v22, v4
	s_waitcnt lgkmcnt(0)
	v_add_u32_e32 v4, v117, v4
	ds_write_b32 v108, v4 offset:1040
.LBB2083_268:                           ;   in Loop: Header=BB2083_236 Depth=2
	s_or_b64 exec, exec, s[36:37]
	v_cmp_lt_i16_e32 vcc, -1, v24
	v_cndmask_b32_e32 v4, -1, v65, vcc
	v_xor_b32_e32 v120, v4, v24
	v_cmp_ne_u16_e32 vcc, s62, v120
	v_cndmask_b32_e32 v4, v65, v120, vcc
	v_lshrrev_b32_sdwa v4, s63, v4 dst_sel:DWORD dst_unused:UNUSED_PAD src0_sel:DWORD src1_sel:WORD_0
	v_and_b32_e32 v21, s70, v4
	v_mad_u32_u24 v4, v21, 20, v91
	; wave barrier
	ds_read_b32 v121, v4 offset:1040
	v_and_b32_e32 v4, 1, v21
	v_add_co_u32_e32 v22, vcc, -1, v4
	v_addc_co_u32_e64 v122, s[36:37], 0, -1, vcc
	v_cmp_ne_u32_e32 vcc, 0, v4
	v_xor_b32_e32 v4, vcc_hi, v122
	v_and_b32_e32 v122, exec_hi, v4
	v_lshlrev_b32_e32 v4, 30, v21
	v_xor_b32_e32 v22, vcc_lo, v22
	v_cmp_gt_i64_e32 vcc, 0, v[3:4]
	v_not_b32_e32 v4, v4
	v_ashrrev_i32_e32 v4, 31, v4
	v_and_b32_e32 v22, exec_lo, v22
	v_xor_b32_e32 v123, vcc_hi, v4
	v_xor_b32_e32 v4, vcc_lo, v4
	v_and_b32_e32 v22, v22, v4
	v_lshlrev_b32_e32 v4, 29, v21
	v_cmp_gt_i64_e32 vcc, 0, v[3:4]
	v_not_b32_e32 v4, v4
	v_ashrrev_i32_e32 v4, 31, v4
	v_and_b32_e32 v122, v122, v123
	v_xor_b32_e32 v123, vcc_hi, v4
	v_xor_b32_e32 v4, vcc_lo, v4
	v_and_b32_e32 v22, v22, v4
	v_lshlrev_b32_e32 v4, 28, v21
	v_cmp_gt_i64_e32 vcc, 0, v[3:4]
	v_not_b32_e32 v4, v4
	v_ashrrev_i32_e32 v4, 31, v4
	v_and_b32_e32 v122, v122, v123
	;; [unrolled: 8-line block ×5, first 2 shown]
	v_xor_b32_e32 v123, vcc_hi, v4
	v_xor_b32_e32 v4, vcc_lo, v4
	v_and_b32_e32 v122, v122, v123
	v_and_b32_e32 v123, v22, v4
	v_lshlrev_b32_e32 v4, 24, v21
	v_cmp_gt_i64_e32 vcc, 0, v[3:4]
	v_not_b32_e32 v4, v4
	v_ashrrev_i32_e32 v4, 31, v4
	v_mul_u32_u24_e32 v24, 20, v21
	v_xor_b32_e32 v21, vcc_hi, v4
	v_xor_b32_e32 v4, vcc_lo, v4
	v_and_b32_e32 v22, v122, v21
	v_and_b32_e32 v21, v123, v4
	v_mbcnt_lo_u32_b32 v4, v21, 0
	v_mbcnt_hi_u32_b32 v122, v22, v4
	v_cmp_ne_u64_e32 vcc, 0, v[21:22]
	v_cmp_eq_u32_e64 s[36:37], 0, v122
	s_and_b64 s[38:39], vcc, s[36:37]
	v_add_u32_e32 v125, v91, v24
	; wave barrier
	s_and_saveexec_b64 s[36:37], s[38:39]
	s_cbranch_execz .LBB2083_270
; %bb.269:                              ;   in Loop: Header=BB2083_236 Depth=2
	v_bcnt_u32_b32 v4, v21, 0
	v_bcnt_u32_b32 v4, v22, v4
	s_waitcnt lgkmcnt(0)
	v_add_u32_e32 v4, v121, v4
	ds_write_b32 v125, v4 offset:1040
.LBB2083_270:                           ;   in Loop: Header=BB2083_236 Depth=2
	s_or_b64 exec, exec, s[36:37]
	v_cmp_lt_i16_e32 vcc, -1, v23
	v_cndmask_b32_e32 v4, -1, v65, vcc
	v_xor_b32_e32 v123, v4, v23
	v_cmp_ne_u16_e32 vcc, s62, v123
	v_cndmask_b32_e32 v4, v65, v123, vcc
	v_lshrrev_b32_sdwa v4, s63, v4 dst_sel:DWORD dst_unused:UNUSED_PAD src0_sel:DWORD src1_sel:WORD_0
	v_and_b32_e32 v21, s70, v4
	v_mad_u32_u24 v4, v21, 20, v91
	; wave barrier
	ds_read_b32 v124, v4 offset:1040
	v_and_b32_e32 v4, 1, v21
	v_add_co_u32_e32 v22, vcc, -1, v4
	v_addc_co_u32_e64 v24, s[36:37], 0, -1, vcc
	v_cmp_ne_u32_e32 vcc, 0, v4
	v_xor_b32_e32 v4, vcc_hi, v24
	v_and_b32_e32 v24, exec_hi, v4
	v_lshlrev_b32_e32 v4, 30, v21
	v_xor_b32_e32 v22, vcc_lo, v22
	v_cmp_gt_i64_e32 vcc, 0, v[3:4]
	v_not_b32_e32 v4, v4
	v_ashrrev_i32_e32 v4, 31, v4
	v_and_b32_e32 v22, exec_lo, v22
	v_xor_b32_e32 v126, vcc_hi, v4
	v_xor_b32_e32 v4, vcc_lo, v4
	v_and_b32_e32 v22, v22, v4
	v_lshlrev_b32_e32 v4, 29, v21
	v_cmp_gt_i64_e32 vcc, 0, v[3:4]
	v_not_b32_e32 v4, v4
	v_ashrrev_i32_e32 v4, 31, v4
	v_and_b32_e32 v24, v24, v126
	v_xor_b32_e32 v126, vcc_hi, v4
	v_xor_b32_e32 v4, vcc_lo, v4
	v_and_b32_e32 v22, v22, v4
	v_lshlrev_b32_e32 v4, 28, v21
	v_cmp_gt_i64_e32 vcc, 0, v[3:4]
	v_not_b32_e32 v4, v4
	v_ashrrev_i32_e32 v4, 31, v4
	v_and_b32_e32 v24, v24, v126
	;; [unrolled: 8-line block ×5, first 2 shown]
	v_xor_b32_e32 v126, vcc_hi, v4
	v_xor_b32_e32 v4, vcc_lo, v4
	v_and_b32_e32 v24, v24, v126
	v_and_b32_e32 v126, v22, v4
	v_lshlrev_b32_e32 v4, 24, v21
	v_cmp_gt_i64_e32 vcc, 0, v[3:4]
	v_not_b32_e32 v4, v4
	v_ashrrev_i32_e32 v4, 31, v4
	v_mul_u32_u24_e32 v23, 20, v21
	v_xor_b32_e32 v21, vcc_hi, v4
	v_xor_b32_e32 v4, vcc_lo, v4
	v_and_b32_e32 v22, v24, v21
	v_and_b32_e32 v21, v126, v4
	v_mbcnt_lo_u32_b32 v4, v21, 0
	v_mbcnt_hi_u32_b32 v126, v22, v4
	v_cmp_ne_u64_e32 vcc, 0, v[21:22]
	v_cmp_eq_u32_e64 s[36:37], 0, v126
	s_and_b64 s[38:39], vcc, s[36:37]
	v_add_u32_e32 v4, v91, v23
	; wave barrier
	s_and_saveexec_b64 s[36:37], s[38:39]
	s_cbranch_execz .LBB2083_272
; %bb.271:                              ;   in Loop: Header=BB2083_236 Depth=2
	v_bcnt_u32_b32 v21, v21, 0
	v_bcnt_u32_b32 v21, v22, v21
	s_waitcnt lgkmcnt(0)
	v_add_u32_e32 v21, v124, v21
	ds_write_b32 v4, v21 offset:1040
.LBB2083_272:                           ;   in Loop: Header=BB2083_236 Depth=2
	s_or_b64 exec, exec, s[36:37]
	; wave barrier
	s_waitcnt lgkmcnt(0)
	s_barrier
	ds_read2_b32 v[23:24], v62 offset1:1
	ds_read2_b32 v[21:22], v63 offset1:1
	ds_read_b32 v127, v41 offset:1056
	s_waitcnt lgkmcnt(1)
	v_add3_u32 v128, v24, v23, v21
	s_waitcnt lgkmcnt(0)
	v_add3_u32 v127, v128, v22, v127
	s_nop 1
	v_mov_b32_dpp v128, v127 row_shr:1 row_mask:0xf bank_mask:0xf
	v_cndmask_b32_e64 v128, v128, 0, s[16:17]
	v_add_u32_e32 v127, v128, v127
	s_nop 1
	v_mov_b32_dpp v128, v127 row_shr:2 row_mask:0xf bank_mask:0xf
	v_cndmask_b32_e64 v128, 0, v128, s[18:19]
	v_add_u32_e32 v127, v127, v128
	;; [unrolled: 4-line block ×4, first 2 shown]
	s_nop 1
	v_mov_b32_dpp v128, v127 row_bcast:15 row_mask:0xf bank_mask:0xf
	v_cndmask_b32_e64 v128, v128, 0, s[24:25]
	v_add_u32_e32 v127, v127, v128
	s_nop 1
	v_mov_b32_dpp v128, v127 row_bcast:31 row_mask:0xf bank_mask:0xf
	v_cndmask_b32_e64 v128, 0, v128, s[26:27]
	v_add_u32_e32 v127, v127, v128
	s_and_saveexec_b64 s[36:37], s[6:7]
; %bb.273:                              ;   in Loop: Header=BB2083_236 Depth=2
	ds_write_b32 v37, v127 offset:1024
; %bb.274:                              ;   in Loop: Header=BB2083_236 Depth=2
	s_or_b64 exec, exec, s[36:37]
	s_waitcnt lgkmcnt(0)
	s_barrier
	s_and_saveexec_b64 s[36:37], s[8:9]
	s_cbranch_execz .LBB2083_276
; %bb.275:                              ;   in Loop: Header=BB2083_236 Depth=2
	ds_read_b32 v128, v42 offset:1024
	s_waitcnt lgkmcnt(0)
	s_nop 0
	v_mov_b32_dpp v129, v128 row_shr:1 row_mask:0xf bank_mask:0xf
	v_cndmask_b32_e64 v129, v129, 0, s[30:31]
	v_add_u32_e32 v128, v129, v128
	s_nop 1
	v_mov_b32_dpp v129, v128 row_shr:2 row_mask:0xf bank_mask:0xf
	v_cndmask_b32_e64 v129, 0, v129, s[34:35]
	v_add_u32_e32 v128, v128, v129
	ds_write_b32 v42, v128 offset:1024
.LBB2083_276:                           ;   in Loop: Header=BB2083_236 Depth=2
	s_or_b64 exec, exec, s[36:37]
	v_mov_b32_e32 v128, 0
	s_waitcnt lgkmcnt(0)
	s_barrier
	s_and_saveexec_b64 s[36:37], s[10:11]
; %bb.277:                              ;   in Loop: Header=BB2083_236 Depth=2
	ds_read_b32 v128, v37 offset:1020
; %bb.278:                              ;   in Loop: Header=BB2083_236 Depth=2
	s_or_b64 exec, exec, s[36:37]
	s_waitcnt lgkmcnt(0)
	v_add_u32_e32 v127, v128, v127
	ds_bpermute_b32 v127, v82, v127
	s_waitcnt lgkmcnt(0)
	v_cndmask_b32_e64 v127, v127, v128, s[28:29]
	v_cndmask_b32_e64 v127, v127, 0, s[12:13]
	v_add_u32_e32 v23, v127, v23
	v_add_u32_e32 v24, v23, v24
	;; [unrolled: 1-line block ×4, first 2 shown]
	ds_write2_b32 v62, v127, v23 offset1:1
	ds_write2_b32 v63, v24, v21 offset1:1
	ds_write_b32 v41, v22 offset:1056
	s_waitcnt lgkmcnt(0)
	s_barrier
	ds_read_b32 v21, v101 offset:1040
	ds_read_b32 v22, v105 offset:1040
	;; [unrolled: 1-line block ×9, first 2 shown]
	v_mov_b32_e32 v4, 0x800
	s_and_saveexec_b64 s[36:37], s[14:15]
; %bb.279:                              ;   in Loop: Header=BB2083_236 Depth=2
	ds_read_b32 v4, v41 offset:1060
; %bb.280:                              ;   in Loop: Header=BB2083_236 Depth=2
	s_or_b64 exec, exec, s[36:37]
	s_waitcnt lgkmcnt(0)
	s_barrier
	s_and_saveexec_b64 s[36:37], s[4:5]
	s_cbranch_execz .LBB2083_282
; %bb.281:                              ;   in Loop: Header=BB2083_236 Depth=2
	ds_read_b32 v105, v25
	s_waitcnt lgkmcnt(0)
	v_sub_u32_e32 v101, v105, v101
	ds_write_b32 v25, v101
.LBB2083_282:                           ;   in Loop: Header=BB2083_236 Depth=2
	s_or_b64 exec, exec, s[36:37]
	v_add_u32_e32 v108, v21, v98
	v_add3_u32 v105, v102, v100, v22
	v_lshlrev_b32_e32 v21, 1, v108
	v_add3_u32 v102, v106, v104, v23
	ds_write_b16 v21, v97 offset:1024
	v_lshlrev_b32_e32 v21, 1, v105
	v_add3_u32 v101, v111, v109, v24
	ds_write_b16 v21, v99 offset:1024
	;; [unrolled: 3-line block ×6, first 2 shown]
	v_lshlrev_b32_e32 v21, 1, v24
	ds_write_b16 v21, v120 offset:1024
	v_lshlrev_b32_e32 v21, 1, v23
	v_cmp_lt_u32_e32 vcc, v0, v96
	ds_write_b16 v21, v123 offset:1024
	s_waitcnt lgkmcnt(0)
	s_barrier
	s_and_saveexec_b64 s[38:39], vcc
	s_cbranch_execnz .LBB2083_319
; %bb.283:                              ;   in Loop: Header=BB2083_236 Depth=2
	s_or_b64 exec, exec, s[38:39]
	v_cmp_lt_u32_e64 s[36:37], v26, v96
	s_and_saveexec_b64 s[40:41], s[36:37]
	s_cbranch_execnz .LBB2083_320
.LBB2083_284:                           ;   in Loop: Header=BB2083_236 Depth=2
	s_or_b64 exec, exec, s[40:41]
	v_cmp_lt_u32_e64 s[38:39], v27, v96
	s_and_saveexec_b64 s[42:43], s[38:39]
	s_cbranch_execnz .LBB2083_321
.LBB2083_285:                           ;   in Loop: Header=BB2083_236 Depth=2
	s_or_b64 exec, exec, s[42:43]
	v_cmp_lt_u32_e64 s[40:41], v28, v96
	s_and_saveexec_b64 s[44:45], s[40:41]
	s_cbranch_execnz .LBB2083_322
.LBB2083_286:                           ;   in Loop: Header=BB2083_236 Depth=2
	s_or_b64 exec, exec, s[44:45]
	v_cmp_lt_u32_e64 s[42:43], v31, v96
	s_and_saveexec_b64 s[46:47], s[42:43]
	s_cbranch_execnz .LBB2083_323
.LBB2083_287:                           ;   in Loop: Header=BB2083_236 Depth=2
	s_or_b64 exec, exec, s[46:47]
	v_cmp_lt_u32_e64 s[44:45], v32, v96
	s_and_saveexec_b64 s[48:49], s[44:45]
	s_cbranch_execnz .LBB2083_324
.LBB2083_288:                           ;   in Loop: Header=BB2083_236 Depth=2
	s_or_b64 exec, exec, s[48:49]
	v_cmp_lt_u32_e64 s[46:47], v33, v96
	s_and_saveexec_b64 s[52:53], s[46:47]
	s_cbranch_execnz .LBB2083_325
.LBB2083_289:                           ;   in Loop: Header=BB2083_236 Depth=2
	s_or_b64 exec, exec, s[52:53]
	v_cmp_lt_u32_e64 s[48:49], v34, v96
	s_and_saveexec_b64 s[60:61], s[48:49]
	s_cbranch_execz .LBB2083_291
.LBB2083_290:                           ;   in Loop: Header=BB2083_236 Depth=2
	ds_read_u16 v21, v47 offset:4608
	v_mov_b32_e32 v22, v3
	v_mov_b32_e32 v99, s69
	s_waitcnt lgkmcnt(0)
	v_cmp_ne_u16_e64 s[52:53], s62, v21
	v_cndmask_b32_e64 v97, v65, v21, s[52:53]
	v_lshrrev_b32_sdwa v97, s63, v97 dst_sel:DWORD dst_unused:UNUSED_PAD src0_sel:DWORD src1_sel:WORD_0
	v_and_b32_e32 v97, s70, v97
	v_lshlrev_b32_e32 v97, 2, v97
	ds_read_b32 v97, v97
	v_cmp_lt_i16_e64 s[52:53], -1, v21
	v_cndmask_b32_e64 v103, v65, -1, s[52:53]
	v_xor_b32_e32 v103, v103, v21
	s_waitcnt lgkmcnt(0)
	v_add_u32_e32 v21, v97, v34
	v_lshlrev_b64 v[21:22], 1, v[21:22]
	v_add_co_u32_e64 v21, s[52:53], s68, v21
	v_addc_co_u32_e64 v22, s[52:53], v99, v22, s[52:53]
	global_store_short v[21:22], v103, off
.LBB2083_291:                           ;   in Loop: Header=BB2083_236 Depth=2
	s_or_b64 exec, exec, s[60:61]
	s_lshl_b64 s[52:53], s[58:59], 3
	v_mov_b32_e32 v22, s53
	v_add_co_u32_e64 v21, s[52:53], s52, v83
	v_addc_co_u32_e64 v22, s[52:53], v84, v22, s[52:53]
	v_cmp_lt_u32_e64 s[52:53], v73, v96
	s_and_saveexec_b64 s[60:61], s[52:53]
	s_xor_b64 s[52:53], exec, s[60:61]
	s_cbranch_execnz .LBB2083_326
; %bb.292:                              ;   in Loop: Header=BB2083_236 Depth=2
	s_or_b64 exec, exec, s[52:53]
	v_cmp_lt_u32_e64 s[52:53], v74, v96
	s_and_saveexec_b64 s[60:61], s[52:53]
	s_cbranch_execnz .LBB2083_327
.LBB2083_293:                           ;   in Loop: Header=BB2083_236 Depth=2
	s_or_b64 exec, exec, s[60:61]
	v_cmp_lt_u32_e64 s[52:53], v75, v96
	s_and_saveexec_b64 s[60:61], s[52:53]
	s_cbranch_execnz .LBB2083_328
.LBB2083_294:                           ;   in Loop: Header=BB2083_236 Depth=2
	s_or_b64 exec, exec, s[60:61]
	v_cmp_lt_u32_e64 s[52:53], v76, v96
	s_and_saveexec_b64 s[60:61], s[52:53]
	s_cbranch_execnz .LBB2083_329
.LBB2083_295:                           ;   in Loop: Header=BB2083_236 Depth=2
	s_or_b64 exec, exec, s[60:61]
	v_cmp_lt_u32_e64 s[52:53], v77, v96
	s_and_saveexec_b64 s[60:61], s[52:53]
	s_cbranch_execnz .LBB2083_330
.LBB2083_296:                           ;   in Loop: Header=BB2083_236 Depth=2
	s_or_b64 exec, exec, s[60:61]
	v_cmp_lt_u32_e64 s[52:53], v78, v96
	s_and_saveexec_b64 s[60:61], s[52:53]
	s_cbranch_execnz .LBB2083_331
.LBB2083_297:                           ;   in Loop: Header=BB2083_236 Depth=2
	s_or_b64 exec, exec, s[60:61]
	v_cmp_lt_u32_e64 s[52:53], v79, v96
	s_and_saveexec_b64 s[60:61], s[52:53]
	s_cbranch_execnz .LBB2083_332
.LBB2083_298:                           ;   in Loop: Header=BB2083_236 Depth=2
	s_or_b64 exec, exec, s[60:61]
	v_cmp_lt_u32_e64 s[52:53], v80, v96
	s_and_saveexec_b64 s[60:61], s[52:53]
	s_cbranch_execnz .LBB2083_333
.LBB2083_299:                           ;   in Loop: Header=BB2083_236 Depth=2
	s_or_b64 exec, exec, s[60:61]
	s_and_saveexec_b64 s[60:61], vcc
	s_cbranch_execnz .LBB2083_334
.LBB2083_300:                           ;   in Loop: Header=BB2083_236 Depth=2
	s_or_b64 exec, exec, s[60:61]
	s_and_saveexec_b64 s[60:61], s[36:37]
	s_cbranch_execnz .LBB2083_335
.LBB2083_301:                           ;   in Loop: Header=BB2083_236 Depth=2
	s_or_b64 exec, exec, s[60:61]
	s_and_saveexec_b64 s[60:61], s[38:39]
	s_cbranch_execnz .LBB2083_336
.LBB2083_302:                           ;   in Loop: Header=BB2083_236 Depth=2
	s_or_b64 exec, exec, s[60:61]
	s_and_saveexec_b64 s[60:61], s[40:41]
	s_cbranch_execnz .LBB2083_337
.LBB2083_303:                           ;   in Loop: Header=BB2083_236 Depth=2
	s_or_b64 exec, exec, s[60:61]
	s_and_saveexec_b64 s[60:61], s[42:43]
	s_cbranch_execnz .LBB2083_338
.LBB2083_304:                           ;   in Loop: Header=BB2083_236 Depth=2
	s_or_b64 exec, exec, s[60:61]
	s_and_saveexec_b64 s[60:61], s[44:45]
	s_cbranch_execnz .LBB2083_339
.LBB2083_305:                           ;   in Loop: Header=BB2083_236 Depth=2
	s_or_b64 exec, exec, s[60:61]
	s_and_saveexec_b64 s[60:61], s[46:47]
	s_cbranch_execnz .LBB2083_340
.LBB2083_306:                           ;   in Loop: Header=BB2083_236 Depth=2
	s_or_b64 exec, exec, s[60:61]
	s_and_saveexec_b64 s[60:61], s[48:49]
	s_cbranch_execz .LBB2083_308
.LBB2083_307:                           ;   in Loop: Header=BB2083_236 Depth=2
	ds_read_u16 v21, v47 offset:4608
	s_waitcnt lgkmcnt(0)
	v_cmp_ne_u16_e64 s[52:53], s62, v21
	v_cndmask_b32_e64 v21, v65, v21, s[52:53]
	v_lshrrev_b32_sdwa v21, s63, v21 dst_sel:DWORD dst_unused:UNUSED_PAD src0_sel:DWORD src1_sel:WORD_0
	v_and_b32_e32 v87, s70, v21
.LBB2083_308:                           ;   in Loop: Header=BB2083_236 Depth=2
	s_or_b64 exec, exec, s[60:61]
	v_lshlrev_b32_e32 v21, 3, v108
	s_waitcnt vmcnt(0)
	s_barrier
	ds_write_b64 v21, v[19:20] offset:1024
	v_lshlrev_b32_e32 v21, 3, v105
	ds_write_b64 v21, v[17:18] offset:1024
	v_lshlrev_b32_e32 v21, 3, v102
	;; [unrolled: 2-line block ×7, first 2 shown]
	ds_write_b64 v21, v[5:6] offset:1024
	s_waitcnt lgkmcnt(0)
	s_barrier
	s_and_saveexec_b64 s[52:53], vcc
	s_cbranch_execnz .LBB2083_341
; %bb.309:                              ;   in Loop: Header=BB2083_236 Depth=2
	s_or_b64 exec, exec, s[52:53]
	s_and_saveexec_b64 s[52:53], s[36:37]
	s_cbranch_execnz .LBB2083_342
.LBB2083_310:                           ;   in Loop: Header=BB2083_236 Depth=2
	s_or_b64 exec, exec, s[52:53]
	s_and_saveexec_b64 s[36:37], s[38:39]
	s_cbranch_execnz .LBB2083_343
.LBB2083_311:                           ;   in Loop: Header=BB2083_236 Depth=2
	s_or_b64 exec, exec, s[36:37]
	s_and_saveexec_b64 s[36:37], s[40:41]
	s_cbranch_execnz .LBB2083_344
.LBB2083_312:                           ;   in Loop: Header=BB2083_236 Depth=2
	s_or_b64 exec, exec, s[36:37]
	s_and_saveexec_b64 s[36:37], s[42:43]
	s_cbranch_execnz .LBB2083_345
.LBB2083_313:                           ;   in Loop: Header=BB2083_236 Depth=2
	s_or_b64 exec, exec, s[36:37]
	s_and_saveexec_b64 s[36:37], s[44:45]
	s_cbranch_execnz .LBB2083_346
.LBB2083_314:                           ;   in Loop: Header=BB2083_236 Depth=2
	s_or_b64 exec, exec, s[36:37]
	s_and_saveexec_b64 s[36:37], s[46:47]
	s_cbranch_execnz .LBB2083_347
.LBB2083_315:                           ;   in Loop: Header=BB2083_236 Depth=2
	s_or_b64 exec, exec, s[36:37]
	s_and_saveexec_b64 s[36:37], s[48:49]
	s_cbranch_execz .LBB2083_317
.LBB2083_316:                           ;   in Loop: Header=BB2083_236 Depth=2
	v_lshlrev_b32_e32 v21, 2, v87
	ds_read_b32 v23, v21
	v_add_u32_e32 v21, v47, v48
	ds_read_b64 v[21:22], v21 offset:15360
	v_mov_b32_e32 v24, v3
	v_mov_b32_e32 v96, s75
	s_waitcnt lgkmcnt(1)
	v_add_u32_e32 v23, v23, v34
	v_lshlrev_b64 v[23:24], 3, v[23:24]
	v_add_co_u32_e32 v23, vcc, s74, v23
	v_addc_co_u32_e32 v24, vcc, v96, v24, vcc
	s_waitcnt lgkmcnt(0)
	global_store_dwordx2 v[23:24], v[21:22], off
.LBB2083_317:                           ;   in Loop: Header=BB2083_236 Depth=2
	s_or_b64 exec, exec, s[36:37]
	s_waitcnt vmcnt(0)
	s_barrier
	s_and_saveexec_b64 s[36:37], s[4:5]
	s_cbranch_execz .LBB2083_235
; %bb.318:                              ;   in Loop: Header=BB2083_236 Depth=2
	ds_read_b32 v21, v25
	s_waitcnt lgkmcnt(0)
	v_add_u32_e32 v4, v21, v4
	ds_write_b32 v25, v4
	s_branch .LBB2083_235
.LBB2083_319:                           ;   in Loop: Header=BB2083_236 Depth=2
	ds_read_u16 v21, v47 offset:1024
	v_mov_b32_e32 v22, v3
	v_mov_b32_e32 v99, s69
	s_waitcnt lgkmcnt(0)
	v_cmp_ne_u16_e64 s[36:37], s62, v21
	v_cndmask_b32_e64 v97, v65, v21, s[36:37]
	v_lshrrev_b32_sdwa v97, s63, v97 dst_sel:DWORD dst_unused:UNUSED_PAD src0_sel:DWORD src1_sel:WORD_0
	v_and_b32_e32 v97, s70, v97
	v_lshlrev_b32_e32 v97, 2, v97
	ds_read_b32 v97, v97
	v_cmp_lt_i16_e64 s[36:37], -1, v21
	v_cndmask_b32_e64 v103, v65, -1, s[36:37]
	v_xor_b32_e32 v103, v103, v21
	s_waitcnt lgkmcnt(0)
	v_add_u32_e32 v21, v97, v0
	v_lshlrev_b64 v[21:22], 1, v[21:22]
	v_add_co_u32_e64 v21, s[36:37], s68, v21
	v_addc_co_u32_e64 v22, s[36:37], v99, v22, s[36:37]
	global_store_short v[21:22], v103, off
	s_or_b64 exec, exec, s[38:39]
	v_cmp_lt_u32_e64 s[36:37], v26, v96
	s_and_saveexec_b64 s[40:41], s[36:37]
	s_cbranch_execz .LBB2083_284
.LBB2083_320:                           ;   in Loop: Header=BB2083_236 Depth=2
	ds_read_u16 v21, v47 offset:1536
	v_mov_b32_e32 v22, v3
	v_mov_b32_e32 v99, s69
	s_waitcnt lgkmcnt(0)
	v_cmp_ne_u16_e64 s[38:39], s62, v21
	v_cndmask_b32_e64 v97, v65, v21, s[38:39]
	v_lshrrev_b32_sdwa v97, s63, v97 dst_sel:DWORD dst_unused:UNUSED_PAD src0_sel:DWORD src1_sel:WORD_0
	v_and_b32_e32 v97, s70, v97
	v_lshlrev_b32_e32 v97, 2, v97
	ds_read_b32 v97, v97
	v_cmp_lt_i16_e64 s[38:39], -1, v21
	v_cndmask_b32_e64 v103, v65, -1, s[38:39]
	v_xor_b32_e32 v103, v103, v21
	s_waitcnt lgkmcnt(0)
	v_add_u32_e32 v21, v97, v26
	v_lshlrev_b64 v[21:22], 1, v[21:22]
	v_add_co_u32_e64 v21, s[38:39], s68, v21
	v_addc_co_u32_e64 v22, s[38:39], v99, v22, s[38:39]
	global_store_short v[21:22], v103, off
	s_or_b64 exec, exec, s[40:41]
	v_cmp_lt_u32_e64 s[38:39], v27, v96
	s_and_saveexec_b64 s[42:43], s[38:39]
	s_cbranch_execz .LBB2083_285
.LBB2083_321:                           ;   in Loop: Header=BB2083_236 Depth=2
	ds_read_u16 v21, v47 offset:2048
	v_mov_b32_e32 v22, v3
	v_mov_b32_e32 v99, s69
	s_waitcnt lgkmcnt(0)
	v_cmp_ne_u16_e64 s[40:41], s62, v21
	v_cndmask_b32_e64 v97, v65, v21, s[40:41]
	v_lshrrev_b32_sdwa v97, s63, v97 dst_sel:DWORD dst_unused:UNUSED_PAD src0_sel:DWORD src1_sel:WORD_0
	v_and_b32_e32 v97, s70, v97
	v_lshlrev_b32_e32 v97, 2, v97
	ds_read_b32 v97, v97
	v_cmp_lt_i16_e64 s[40:41], -1, v21
	v_cndmask_b32_e64 v103, v65, -1, s[40:41]
	v_xor_b32_e32 v103, v103, v21
	s_waitcnt lgkmcnt(0)
	v_add_u32_e32 v21, v97, v27
	v_lshlrev_b64 v[21:22], 1, v[21:22]
	v_add_co_u32_e64 v21, s[40:41], s68, v21
	v_addc_co_u32_e64 v22, s[40:41], v99, v22, s[40:41]
	global_store_short v[21:22], v103, off
	s_or_b64 exec, exec, s[42:43]
	v_cmp_lt_u32_e64 s[40:41], v28, v96
	s_and_saveexec_b64 s[44:45], s[40:41]
	s_cbranch_execz .LBB2083_286
.LBB2083_322:                           ;   in Loop: Header=BB2083_236 Depth=2
	ds_read_u16 v21, v47 offset:2560
	v_mov_b32_e32 v22, v3
	v_mov_b32_e32 v99, s69
	s_waitcnt lgkmcnt(0)
	v_cmp_ne_u16_e64 s[42:43], s62, v21
	v_cndmask_b32_e64 v97, v65, v21, s[42:43]
	v_lshrrev_b32_sdwa v97, s63, v97 dst_sel:DWORD dst_unused:UNUSED_PAD src0_sel:DWORD src1_sel:WORD_0
	v_and_b32_e32 v97, s70, v97
	v_lshlrev_b32_e32 v97, 2, v97
	ds_read_b32 v97, v97
	v_cmp_lt_i16_e64 s[42:43], -1, v21
	v_cndmask_b32_e64 v103, v65, -1, s[42:43]
	v_xor_b32_e32 v103, v103, v21
	s_waitcnt lgkmcnt(0)
	v_add_u32_e32 v21, v97, v28
	v_lshlrev_b64 v[21:22], 1, v[21:22]
	v_add_co_u32_e64 v21, s[42:43], s68, v21
	v_addc_co_u32_e64 v22, s[42:43], v99, v22, s[42:43]
	global_store_short v[21:22], v103, off
	s_or_b64 exec, exec, s[44:45]
	v_cmp_lt_u32_e64 s[42:43], v31, v96
	s_and_saveexec_b64 s[46:47], s[42:43]
	s_cbranch_execz .LBB2083_287
.LBB2083_323:                           ;   in Loop: Header=BB2083_236 Depth=2
	ds_read_u16 v21, v47 offset:3072
	v_mov_b32_e32 v22, v3
	v_mov_b32_e32 v99, s69
	s_waitcnt lgkmcnt(0)
	v_cmp_ne_u16_e64 s[44:45], s62, v21
	v_cndmask_b32_e64 v97, v65, v21, s[44:45]
	v_lshrrev_b32_sdwa v97, s63, v97 dst_sel:DWORD dst_unused:UNUSED_PAD src0_sel:DWORD src1_sel:WORD_0
	v_and_b32_e32 v97, s70, v97
	v_lshlrev_b32_e32 v97, 2, v97
	ds_read_b32 v97, v97
	v_cmp_lt_i16_e64 s[44:45], -1, v21
	v_cndmask_b32_e64 v103, v65, -1, s[44:45]
	v_xor_b32_e32 v103, v103, v21
	s_waitcnt lgkmcnt(0)
	v_add_u32_e32 v21, v97, v31
	v_lshlrev_b64 v[21:22], 1, v[21:22]
	v_add_co_u32_e64 v21, s[44:45], s68, v21
	v_addc_co_u32_e64 v22, s[44:45], v99, v22, s[44:45]
	global_store_short v[21:22], v103, off
	s_or_b64 exec, exec, s[46:47]
	v_cmp_lt_u32_e64 s[44:45], v32, v96
	s_and_saveexec_b64 s[48:49], s[44:45]
	s_cbranch_execz .LBB2083_288
.LBB2083_324:                           ;   in Loop: Header=BB2083_236 Depth=2
	ds_read_u16 v21, v47 offset:3584
	v_mov_b32_e32 v22, v3
	v_mov_b32_e32 v99, s69
	s_waitcnt lgkmcnt(0)
	v_cmp_ne_u16_e64 s[46:47], s62, v21
	v_cndmask_b32_e64 v97, v65, v21, s[46:47]
	v_lshrrev_b32_sdwa v97, s63, v97 dst_sel:DWORD dst_unused:UNUSED_PAD src0_sel:DWORD src1_sel:WORD_0
	v_and_b32_e32 v97, s70, v97
	v_lshlrev_b32_e32 v97, 2, v97
	ds_read_b32 v97, v97
	v_cmp_lt_i16_e64 s[46:47], -1, v21
	v_cndmask_b32_e64 v103, v65, -1, s[46:47]
	v_xor_b32_e32 v103, v103, v21
	s_waitcnt lgkmcnt(0)
	v_add_u32_e32 v21, v97, v32
	v_lshlrev_b64 v[21:22], 1, v[21:22]
	v_add_co_u32_e64 v21, s[46:47], s68, v21
	v_addc_co_u32_e64 v22, s[46:47], v99, v22, s[46:47]
	global_store_short v[21:22], v103, off
	s_or_b64 exec, exec, s[48:49]
	v_cmp_lt_u32_e64 s[46:47], v33, v96
	s_and_saveexec_b64 s[52:53], s[46:47]
	s_cbranch_execz .LBB2083_289
.LBB2083_325:                           ;   in Loop: Header=BB2083_236 Depth=2
	ds_read_u16 v21, v47 offset:4096
	v_mov_b32_e32 v22, v3
	v_mov_b32_e32 v99, s69
	s_waitcnt lgkmcnt(0)
	v_cmp_ne_u16_e64 s[48:49], s62, v21
	v_cndmask_b32_e64 v97, v65, v21, s[48:49]
	v_lshrrev_b32_sdwa v97, s63, v97 dst_sel:DWORD dst_unused:UNUSED_PAD src0_sel:DWORD src1_sel:WORD_0
	v_and_b32_e32 v97, s70, v97
	v_lshlrev_b32_e32 v97, 2, v97
	ds_read_b32 v97, v97
	v_cmp_lt_i16_e64 s[48:49], -1, v21
	v_cndmask_b32_e64 v103, v65, -1, s[48:49]
	v_xor_b32_e32 v103, v103, v21
	s_waitcnt lgkmcnt(0)
	v_add_u32_e32 v21, v97, v33
	v_lshlrev_b64 v[21:22], 1, v[21:22]
	v_add_co_u32_e64 v21, s[48:49], s68, v21
	v_addc_co_u32_e64 v22, s[48:49], v99, v22, s[48:49]
	global_store_short v[21:22], v103, off
	s_or_b64 exec, exec, s[52:53]
	v_cmp_lt_u32_e64 s[48:49], v34, v96
	s_and_saveexec_b64 s[60:61], s[48:49]
	s_cbranch_execnz .LBB2083_290
	s_branch .LBB2083_291
.LBB2083_326:                           ;   in Loop: Header=BB2083_236 Depth=2
	global_load_dwordx2 v[19:20], v[21:22], off
	s_or_b64 exec, exec, s[52:53]
	v_cmp_lt_u32_e64 s[52:53], v74, v96
	s_and_saveexec_b64 s[60:61], s[52:53]
	s_cbranch_execz .LBB2083_293
.LBB2083_327:                           ;   in Loop: Header=BB2083_236 Depth=2
	global_load_dwordx2 v[17:18], v[21:22], off offset:512
	s_or_b64 exec, exec, s[60:61]
	v_cmp_lt_u32_e64 s[52:53], v75, v96
	s_and_saveexec_b64 s[60:61], s[52:53]
	s_cbranch_execz .LBB2083_294
.LBB2083_328:                           ;   in Loop: Header=BB2083_236 Depth=2
	global_load_dwordx2 v[15:16], v[21:22], off offset:1024
	s_or_b64 exec, exec, s[60:61]
	v_cmp_lt_u32_e64 s[52:53], v76, v96
	s_and_saveexec_b64 s[60:61], s[52:53]
	s_cbranch_execz .LBB2083_295
.LBB2083_329:                           ;   in Loop: Header=BB2083_236 Depth=2
	global_load_dwordx2 v[13:14], v[21:22], off offset:1536
	s_or_b64 exec, exec, s[60:61]
	v_cmp_lt_u32_e64 s[52:53], v77, v96
	s_and_saveexec_b64 s[60:61], s[52:53]
	s_cbranch_execz .LBB2083_296
.LBB2083_330:                           ;   in Loop: Header=BB2083_236 Depth=2
	global_load_dwordx2 v[11:12], v[21:22], off offset:2048
	s_or_b64 exec, exec, s[60:61]
	v_cmp_lt_u32_e64 s[52:53], v78, v96
	s_and_saveexec_b64 s[60:61], s[52:53]
	s_cbranch_execz .LBB2083_297
.LBB2083_331:                           ;   in Loop: Header=BB2083_236 Depth=2
	global_load_dwordx2 v[9:10], v[21:22], off offset:2560
	s_or_b64 exec, exec, s[60:61]
	v_cmp_lt_u32_e64 s[52:53], v79, v96
	s_and_saveexec_b64 s[60:61], s[52:53]
	s_cbranch_execz .LBB2083_298
.LBB2083_332:                           ;   in Loop: Header=BB2083_236 Depth=2
	global_load_dwordx2 v[7:8], v[21:22], off offset:3072
	s_or_b64 exec, exec, s[60:61]
	v_cmp_lt_u32_e64 s[52:53], v80, v96
	s_and_saveexec_b64 s[60:61], s[52:53]
	s_cbranch_execz .LBB2083_299
.LBB2083_333:                           ;   in Loop: Header=BB2083_236 Depth=2
	global_load_dwordx2 v[5:6], v[21:22], off offset:3584
	s_or_b64 exec, exec, s[60:61]
	s_and_saveexec_b64 s[60:61], vcc
	s_cbranch_execz .LBB2083_300
.LBB2083_334:                           ;   in Loop: Header=BB2083_236 Depth=2
	ds_read_u16 v21, v47 offset:1024
	s_waitcnt lgkmcnt(0)
	v_cmp_ne_u16_e64 s[52:53], s62, v21
	v_cndmask_b32_e64 v21, v65, v21, s[52:53]
	v_lshrrev_b32_sdwa v21, s63, v21 dst_sel:DWORD dst_unused:UNUSED_PAD src0_sel:DWORD src1_sel:WORD_0
	v_and_b32_e32 v95, s70, v21
	s_or_b64 exec, exec, s[60:61]
	s_and_saveexec_b64 s[60:61], s[36:37]
	s_cbranch_execz .LBB2083_301
.LBB2083_335:                           ;   in Loop: Header=BB2083_236 Depth=2
	ds_read_u16 v21, v47 offset:1536
	s_waitcnt lgkmcnt(0)
	v_cmp_ne_u16_e64 s[52:53], s62, v21
	v_cndmask_b32_e64 v21, v65, v21, s[52:53]
	v_lshrrev_b32_sdwa v21, s63, v21 dst_sel:DWORD dst_unused:UNUSED_PAD src0_sel:DWORD src1_sel:WORD_0
	v_and_b32_e32 v94, s70, v21
	s_or_b64 exec, exec, s[60:61]
	s_and_saveexec_b64 s[60:61], s[38:39]
	s_cbranch_execz .LBB2083_302
.LBB2083_336:                           ;   in Loop: Header=BB2083_236 Depth=2
	ds_read_u16 v21, v47 offset:2048
	s_waitcnt lgkmcnt(0)
	v_cmp_ne_u16_e64 s[52:53], s62, v21
	v_cndmask_b32_e64 v21, v65, v21, s[52:53]
	v_lshrrev_b32_sdwa v21, s63, v21 dst_sel:DWORD dst_unused:UNUSED_PAD src0_sel:DWORD src1_sel:WORD_0
	v_and_b32_e32 v93, s70, v21
	s_or_b64 exec, exec, s[60:61]
	s_and_saveexec_b64 s[60:61], s[40:41]
	s_cbranch_execz .LBB2083_303
.LBB2083_337:                           ;   in Loop: Header=BB2083_236 Depth=2
	ds_read_u16 v21, v47 offset:2560
	s_waitcnt lgkmcnt(0)
	v_cmp_ne_u16_e64 s[52:53], s62, v21
	v_cndmask_b32_e64 v21, v65, v21, s[52:53]
	v_lshrrev_b32_sdwa v21, s63, v21 dst_sel:DWORD dst_unused:UNUSED_PAD src0_sel:DWORD src1_sel:WORD_0
	v_and_b32_e32 v92, s70, v21
	s_or_b64 exec, exec, s[60:61]
	s_and_saveexec_b64 s[60:61], s[42:43]
	s_cbranch_execz .LBB2083_304
.LBB2083_338:                           ;   in Loop: Header=BB2083_236 Depth=2
	ds_read_u16 v21, v47 offset:3072
	s_waitcnt lgkmcnt(0)
	v_cmp_ne_u16_e64 s[52:53], s62, v21
	v_cndmask_b32_e64 v21, v65, v21, s[52:53]
	v_lshrrev_b32_sdwa v21, s63, v21 dst_sel:DWORD dst_unused:UNUSED_PAD src0_sel:DWORD src1_sel:WORD_0
	v_and_b32_e32 v90, s70, v21
	s_or_b64 exec, exec, s[60:61]
	s_and_saveexec_b64 s[60:61], s[44:45]
	s_cbranch_execz .LBB2083_305
.LBB2083_339:                           ;   in Loop: Header=BB2083_236 Depth=2
	ds_read_u16 v21, v47 offset:3584
	s_waitcnt lgkmcnt(0)
	v_cmp_ne_u16_e64 s[52:53], s62, v21
	v_cndmask_b32_e64 v21, v65, v21, s[52:53]
	v_lshrrev_b32_sdwa v21, s63, v21 dst_sel:DWORD dst_unused:UNUSED_PAD src0_sel:DWORD src1_sel:WORD_0
	v_and_b32_e32 v89, s70, v21
	s_or_b64 exec, exec, s[60:61]
	s_and_saveexec_b64 s[60:61], s[46:47]
	s_cbranch_execz .LBB2083_306
.LBB2083_340:                           ;   in Loop: Header=BB2083_236 Depth=2
	ds_read_u16 v21, v47 offset:4096
	s_waitcnt lgkmcnt(0)
	v_cmp_ne_u16_e64 s[52:53], s62, v21
	v_cndmask_b32_e64 v21, v65, v21, s[52:53]
	v_lshrrev_b32_sdwa v21, s63, v21 dst_sel:DWORD dst_unused:UNUSED_PAD src0_sel:DWORD src1_sel:WORD_0
	v_and_b32_e32 v88, s70, v21
	s_or_b64 exec, exec, s[60:61]
	s_and_saveexec_b64 s[60:61], s[48:49]
	s_cbranch_execnz .LBB2083_307
	s_branch .LBB2083_308
.LBB2083_341:                           ;   in Loop: Header=BB2083_236 Depth=2
	v_lshlrev_b32_e32 v21, 2, v95
	ds_read_b32 v23, v21
	v_add_u32_e32 v21, v47, v48
	ds_read_b64 v[21:22], v21 offset:1024
	v_mov_b32_e32 v24, v3
	v_mov_b32_e32 v96, s75
	s_waitcnt lgkmcnt(1)
	v_add_u32_e32 v23, v23, v0
	v_lshlrev_b64 v[23:24], 3, v[23:24]
	v_add_co_u32_e32 v23, vcc, s74, v23
	v_addc_co_u32_e32 v24, vcc, v96, v24, vcc
	s_waitcnt lgkmcnt(0)
	global_store_dwordx2 v[23:24], v[21:22], off
	s_or_b64 exec, exec, s[52:53]
	s_and_saveexec_b64 s[52:53], s[36:37]
	s_cbranch_execz .LBB2083_310
.LBB2083_342:                           ;   in Loop: Header=BB2083_236 Depth=2
	v_lshlrev_b32_e32 v21, 2, v94
	ds_read_b32 v23, v21
	v_add_u32_e32 v21, v47, v48
	ds_read_b64 v[21:22], v21 offset:3072
	v_mov_b32_e32 v24, v3
	v_mov_b32_e32 v96, s75
	s_waitcnt lgkmcnt(1)
	v_add_u32_e32 v23, v23, v26
	v_lshlrev_b64 v[23:24], 3, v[23:24]
	v_add_co_u32_e32 v23, vcc, s74, v23
	v_addc_co_u32_e32 v24, vcc, v96, v24, vcc
	s_waitcnt lgkmcnt(0)
	global_store_dwordx2 v[23:24], v[21:22], off
	s_or_b64 exec, exec, s[52:53]
	s_and_saveexec_b64 s[36:37], s[38:39]
	s_cbranch_execz .LBB2083_311
.LBB2083_343:                           ;   in Loop: Header=BB2083_236 Depth=2
	v_lshlrev_b32_e32 v21, 2, v93
	ds_read_b32 v23, v21
	v_add_u32_e32 v21, v47, v48
	ds_read_b64 v[21:22], v21 offset:5120
	v_mov_b32_e32 v24, v3
	v_mov_b32_e32 v96, s75
	s_waitcnt lgkmcnt(1)
	v_add_u32_e32 v23, v23, v27
	v_lshlrev_b64 v[23:24], 3, v[23:24]
	v_add_co_u32_e32 v23, vcc, s74, v23
	v_addc_co_u32_e32 v24, vcc, v96, v24, vcc
	s_waitcnt lgkmcnt(0)
	global_store_dwordx2 v[23:24], v[21:22], off
	s_or_b64 exec, exec, s[36:37]
	s_and_saveexec_b64 s[36:37], s[40:41]
	s_cbranch_execz .LBB2083_312
.LBB2083_344:                           ;   in Loop: Header=BB2083_236 Depth=2
	v_lshlrev_b32_e32 v21, 2, v92
	ds_read_b32 v23, v21
	v_add_u32_e32 v21, v47, v48
	ds_read_b64 v[21:22], v21 offset:7168
	v_mov_b32_e32 v24, v3
	v_mov_b32_e32 v96, s75
	s_waitcnt lgkmcnt(1)
	v_add_u32_e32 v23, v23, v28
	v_lshlrev_b64 v[23:24], 3, v[23:24]
	v_add_co_u32_e32 v23, vcc, s74, v23
	v_addc_co_u32_e32 v24, vcc, v96, v24, vcc
	s_waitcnt lgkmcnt(0)
	global_store_dwordx2 v[23:24], v[21:22], off
	s_or_b64 exec, exec, s[36:37]
	s_and_saveexec_b64 s[36:37], s[42:43]
	s_cbranch_execz .LBB2083_313
.LBB2083_345:                           ;   in Loop: Header=BB2083_236 Depth=2
	v_lshlrev_b32_e32 v21, 2, v90
	ds_read_b32 v23, v21
	v_add_u32_e32 v21, v47, v48
	ds_read_b64 v[21:22], v21 offset:9216
	v_mov_b32_e32 v24, v3
	v_mov_b32_e32 v96, s75
	s_waitcnt lgkmcnt(1)
	v_add_u32_e32 v23, v23, v31
	v_lshlrev_b64 v[23:24], 3, v[23:24]
	v_add_co_u32_e32 v23, vcc, s74, v23
	v_addc_co_u32_e32 v24, vcc, v96, v24, vcc
	s_waitcnt lgkmcnt(0)
	global_store_dwordx2 v[23:24], v[21:22], off
	s_or_b64 exec, exec, s[36:37]
	s_and_saveexec_b64 s[36:37], s[44:45]
	s_cbranch_execz .LBB2083_314
.LBB2083_346:                           ;   in Loop: Header=BB2083_236 Depth=2
	v_lshlrev_b32_e32 v21, 2, v89
	ds_read_b32 v23, v21
	v_add_u32_e32 v21, v47, v48
	ds_read_b64 v[21:22], v21 offset:11264
	v_mov_b32_e32 v24, v3
	v_mov_b32_e32 v96, s75
	s_waitcnt lgkmcnt(1)
	v_add_u32_e32 v23, v23, v32
	v_lshlrev_b64 v[23:24], 3, v[23:24]
	v_add_co_u32_e32 v23, vcc, s74, v23
	v_addc_co_u32_e32 v24, vcc, v96, v24, vcc
	s_waitcnt lgkmcnt(0)
	global_store_dwordx2 v[23:24], v[21:22], off
	s_or_b64 exec, exec, s[36:37]
	s_and_saveexec_b64 s[36:37], s[46:47]
	s_cbranch_execz .LBB2083_315
.LBB2083_347:                           ;   in Loop: Header=BB2083_236 Depth=2
	v_lshlrev_b32_e32 v21, 2, v88
	ds_read_b32 v23, v21
	v_add_u32_e32 v21, v47, v48
	ds_read_b64 v[21:22], v21 offset:13312
	v_mov_b32_e32 v24, v3
	v_mov_b32_e32 v96, s75
	s_waitcnt lgkmcnt(1)
	v_add_u32_e32 v23, v23, v33
	v_lshlrev_b64 v[23:24], 3, v[23:24]
	v_add_co_u32_e32 v23, vcc, s74, v23
	v_addc_co_u32_e32 v24, vcc, v96, v24, vcc
	s_waitcnt lgkmcnt(0)
	global_store_dwordx2 v[23:24], v[21:22], off
	s_or_b64 exec, exec, s[36:37]
	s_and_saveexec_b64 s[36:37], s[48:49]
	s_cbranch_execnz .LBB2083_316
	s_branch .LBB2083_317
.LBB2083_348:                           ;   in Loop: Header=BB2083_20 Depth=1
	s_waitcnt lgkmcnt(0)
	s_barrier
.LBB2083_349:                           ;   in Loop: Header=BB2083_20 Depth=1
	s_mov_b64 s[16:17], 0
.LBB2083_350:                           ;   in Loop: Header=BB2083_20 Depth=1
	s_andn2_b64 vcc, exec, s[16:17]
	s_cbranch_vccnz .LBB2083_19
; %bb.351:                              ;   in Loop: Header=BB2083_20 Depth=1
	s_mov_b64 s[16:17], -1
	s_and_b64 vcc, exec, s[54:55]
	s_cbranch_vccz .LBB2083_515
; %bb.352:                              ;   in Loop: Header=BB2083_20 Depth=1
	s_mov_b32 s20, s79
	s_mov_b32 s58, s51
	s_barrier
                                        ; implicit-def: $vgpr4
                                        ; implicit-def: $vgpr5
                                        ; implicit-def: $vgpr6
                                        ; implicit-def: $vgpr7
                                        ; implicit-def: $vgpr8
                                        ; implicit-def: $vgpr9
                                        ; implicit-def: $vgpr10
                                        ; implicit-def: $vgpr11
	s_branch .LBB2083_354
.LBB2083_353:                           ;   in Loop: Header=BB2083_354 Depth=2
	s_or_b64 exec, exec, s[16:17]
	s_addk_i32 s20, 0xf800
	s_cmp_ge_u32 s21, s80
	s_mov_b32 s58, s21
	s_cbranch_scc1 .LBB2083_390
.LBB2083_354:                           ;   Parent Loop BB2083_20 Depth=1
                                        ; =>  This Inner Loop Header: Depth=2
	s_add_i32 s21, s58, 0x800
	s_cmp_gt_u32 s21, s80
	s_mov_b64 s[16:17], -1
                                        ; implicit-def: $vgpr12
                                        ; implicit-def: $vgpr13
                                        ; implicit-def: $vgpr14
                                        ; implicit-def: $vgpr15
                                        ; implicit-def: $vgpr16
                                        ; implicit-def: $vgpr17
                                        ; implicit-def: $vgpr18
                                        ; implicit-def: $vgpr19
	s_cbranch_scc1 .LBB2083_356
; %bb.355:                              ;   in Loop: Header=BB2083_354 Depth=2
	s_lshl_b64 s[16:17], s[58:59], 1
	v_mov_b32_e32 v12, s17
	v_add_co_u32_e32 v20, vcc, s16, v55
	v_addc_co_u32_e32 v21, vcc, v56, v12, vcc
	global_load_ushort v12, v[20:21], off
	global_load_ushort v13, v[20:21], off offset:512
	global_load_ushort v14, v[20:21], off offset:1024
	;; [unrolled: 1-line block ×7, first 2 shown]
	s_mov_b64 s[16:17], 0
.LBB2083_356:                           ;   in Loop: Header=BB2083_354 Depth=2
	s_andn2_b64 vcc, exec, s[16:17]
	s_movk_i32 s18, 0x800
	s_cbranch_vccnz .LBB2083_367
; %bb.357:                              ;   in Loop: Header=BB2083_354 Depth=2
	s_lshl_b64 s[16:17], s[58:59], 1
	s_add_u32 s16, s64, s16
	s_addc_u32 s17, s65, s17
	v_cmp_gt_u32_e32 vcc, s20, v0
	s_and_saveexec_b64 s[18:19], vcc
	s_cbranch_execnz .LBB2083_383
; %bb.358:                              ;   in Loop: Header=BB2083_354 Depth=2
	s_or_b64 exec, exec, s[18:19]
	v_cmp_gt_u32_e32 vcc, s20, v26
	s_and_saveexec_b64 s[18:19], vcc
	s_cbranch_execnz .LBB2083_384
.LBB2083_359:                           ;   in Loop: Header=BB2083_354 Depth=2
	s_or_b64 exec, exec, s[18:19]
	v_cmp_gt_u32_e32 vcc, s20, v27
	s_and_saveexec_b64 s[18:19], vcc
	s_cbranch_execnz .LBB2083_385
.LBB2083_360:                           ;   in Loop: Header=BB2083_354 Depth=2
	s_or_b64 exec, exec, s[18:19]
	v_cmp_gt_u32_e32 vcc, s20, v28
	s_and_saveexec_b64 s[18:19], vcc
	s_cbranch_execnz .LBB2083_386
.LBB2083_361:                           ;   in Loop: Header=BB2083_354 Depth=2
	s_or_b64 exec, exec, s[18:19]
	v_cmp_gt_u32_e32 vcc, s20, v31
	s_and_saveexec_b64 s[18:19], vcc
	s_cbranch_execnz .LBB2083_387
.LBB2083_362:                           ;   in Loop: Header=BB2083_354 Depth=2
	s_or_b64 exec, exec, s[18:19]
	v_cmp_gt_u32_e32 vcc, s20, v32
	s_and_saveexec_b64 s[18:19], vcc
	s_cbranch_execnz .LBB2083_388
.LBB2083_363:                           ;   in Loop: Header=BB2083_354 Depth=2
	s_or_b64 exec, exec, s[18:19]
	v_cmp_gt_u32_e32 vcc, s20, v33
	s_and_saveexec_b64 s[18:19], vcc
	s_cbranch_execnz .LBB2083_389
.LBB2083_364:                           ;   in Loop: Header=BB2083_354 Depth=2
	s_or_b64 exec, exec, s[18:19]
	v_cmp_gt_u32_e32 vcc, s20, v34
	s_and_saveexec_b64 s[18:19], vcc
	s_cbranch_execz .LBB2083_366
.LBB2083_365:                           ;   in Loop: Header=BB2083_354 Depth=2
	global_load_ushort v4, v64, s[16:17] offset:3584
.LBB2083_366:                           ;   in Loop: Header=BB2083_354 Depth=2
	s_or_b64 exec, exec, s[18:19]
	s_mov_b32 s18, s20
	s_waitcnt vmcnt(0)
	v_mov_b32_e32 v12, v11
	v_mov_b32_e32 v13, v10
	;; [unrolled: 1-line block ×8, first 2 shown]
.LBB2083_367:                           ;   in Loop: Header=BB2083_354 Depth=2
	s_waitcnt vmcnt(0)
	v_mov_b32_e32 v4, v19
	v_mov_b32_e32 v5, v18
	;; [unrolled: 1-line block ×8, first 2 shown]
	v_cmp_gt_u32_e32 vcc, s18, v0
	s_and_saveexec_b64 s[16:17], vcc
	s_cbranch_execnz .LBB2083_375
; %bb.368:                              ;   in Loop: Header=BB2083_354 Depth=2
	s_or_b64 exec, exec, s[16:17]
	v_cmp_gt_u32_e32 vcc, s18, v26
	s_and_saveexec_b64 s[16:17], vcc
	s_cbranch_execnz .LBB2083_376
.LBB2083_369:                           ;   in Loop: Header=BB2083_354 Depth=2
	s_or_b64 exec, exec, s[16:17]
	v_cmp_gt_u32_e32 vcc, s18, v27
	s_and_saveexec_b64 s[16:17], vcc
	s_cbranch_execnz .LBB2083_377
.LBB2083_370:                           ;   in Loop: Header=BB2083_354 Depth=2
	s_or_b64 exec, exec, s[16:17]
	v_cmp_gt_u32_e32 vcc, s18, v28
	s_and_saveexec_b64 s[16:17], vcc
	s_cbranch_execnz .LBB2083_378
.LBB2083_371:                           ;   in Loop: Header=BB2083_354 Depth=2
	s_or_b64 exec, exec, s[16:17]
	v_cmp_gt_u32_e32 vcc, s18, v31
	s_and_saveexec_b64 s[16:17], vcc
	s_cbranch_execnz .LBB2083_379
.LBB2083_372:                           ;   in Loop: Header=BB2083_354 Depth=2
	s_or_b64 exec, exec, s[16:17]
	v_cmp_gt_u32_e32 vcc, s18, v32
	s_and_saveexec_b64 s[16:17], vcc
	s_cbranch_execnz .LBB2083_380
.LBB2083_373:                           ;   in Loop: Header=BB2083_354 Depth=2
	s_or_b64 exec, exec, s[16:17]
	v_cmp_gt_u32_e32 vcc, s18, v33
	s_and_saveexec_b64 s[16:17], vcc
	s_cbranch_execnz .LBB2083_381
.LBB2083_374:                           ;   in Loop: Header=BB2083_354 Depth=2
	s_or_b64 exec, exec, s[16:17]
	v_cmp_gt_u32_e32 vcc, s18, v34
	s_and_saveexec_b64 s[16:17], vcc
	s_cbranch_execz .LBB2083_353
	s_branch .LBB2083_382
.LBB2083_375:                           ;   in Loop: Header=BB2083_354 Depth=2
	v_cmp_lt_i16_e32 vcc, -1, v11
	v_cndmask_b32_e32 v12, -1, v65, vcc
	v_xor_b32_e32 v12, v12, v11
	v_cmp_ne_u16_e32 vcc, s62, v12
	v_cndmask_b32_e32 v12, v65, v12, vcc
	v_lshrrev_b32_sdwa v12, s77, v12 dst_sel:DWORD dst_unused:UNUSED_PAD src0_sel:DWORD src1_sel:WORD_0
	v_and_b32_e32 v12, s70, v12
	v_lshl_or_b32 v12, v12, 4, v35
	ds_add_u32 v12, v61
	s_or_b64 exec, exec, s[16:17]
	v_cmp_gt_u32_e32 vcc, s18, v26
	s_and_saveexec_b64 s[16:17], vcc
	s_cbranch_execz .LBB2083_369
.LBB2083_376:                           ;   in Loop: Header=BB2083_354 Depth=2
	v_cmp_lt_i16_e32 vcc, -1, v10
	v_cndmask_b32_e32 v12, -1, v65, vcc
	v_xor_b32_e32 v12, v12, v10
	v_cmp_ne_u16_e32 vcc, s62, v12
	v_cndmask_b32_e32 v12, v65, v12, vcc
	v_lshrrev_b32_sdwa v12, s77, v12 dst_sel:DWORD dst_unused:UNUSED_PAD src0_sel:DWORD src1_sel:WORD_0
	v_and_b32_e32 v12, s70, v12
	v_lshl_or_b32 v12, v12, 4, v35
	ds_add_u32 v12, v61
	s_or_b64 exec, exec, s[16:17]
	v_cmp_gt_u32_e32 vcc, s18, v27
	s_and_saveexec_b64 s[16:17], vcc
	s_cbranch_execz .LBB2083_370
.LBB2083_377:                           ;   in Loop: Header=BB2083_354 Depth=2
	v_cmp_lt_i16_e32 vcc, -1, v9
	v_cndmask_b32_e32 v12, -1, v65, vcc
	v_xor_b32_e32 v12, v12, v9
	v_cmp_ne_u16_e32 vcc, s62, v12
	v_cndmask_b32_e32 v12, v65, v12, vcc
	v_lshrrev_b32_sdwa v12, s77, v12 dst_sel:DWORD dst_unused:UNUSED_PAD src0_sel:DWORD src1_sel:WORD_0
	v_and_b32_e32 v12, s70, v12
	v_lshl_or_b32 v12, v12, 4, v35
	ds_add_u32 v12, v61
	s_or_b64 exec, exec, s[16:17]
	v_cmp_gt_u32_e32 vcc, s18, v28
	s_and_saveexec_b64 s[16:17], vcc
	s_cbranch_execz .LBB2083_371
.LBB2083_378:                           ;   in Loop: Header=BB2083_354 Depth=2
	v_cmp_lt_i16_e32 vcc, -1, v8
	v_cndmask_b32_e32 v12, -1, v65, vcc
	v_xor_b32_e32 v12, v12, v8
	v_cmp_ne_u16_e32 vcc, s62, v12
	v_cndmask_b32_e32 v12, v65, v12, vcc
	v_lshrrev_b32_sdwa v12, s77, v12 dst_sel:DWORD dst_unused:UNUSED_PAD src0_sel:DWORD src1_sel:WORD_0
	v_and_b32_e32 v12, s70, v12
	v_lshl_or_b32 v12, v12, 4, v35
	ds_add_u32 v12, v61
	s_or_b64 exec, exec, s[16:17]
	v_cmp_gt_u32_e32 vcc, s18, v31
	s_and_saveexec_b64 s[16:17], vcc
	s_cbranch_execz .LBB2083_372
.LBB2083_379:                           ;   in Loop: Header=BB2083_354 Depth=2
	v_cmp_lt_i16_e32 vcc, -1, v7
	v_cndmask_b32_e32 v12, -1, v65, vcc
	v_xor_b32_e32 v12, v12, v7
	v_cmp_ne_u16_e32 vcc, s62, v12
	v_cndmask_b32_e32 v12, v65, v12, vcc
	v_lshrrev_b32_sdwa v12, s77, v12 dst_sel:DWORD dst_unused:UNUSED_PAD src0_sel:DWORD src1_sel:WORD_0
	v_and_b32_e32 v12, s70, v12
	v_lshl_or_b32 v12, v12, 4, v35
	ds_add_u32 v12, v61
	s_or_b64 exec, exec, s[16:17]
	v_cmp_gt_u32_e32 vcc, s18, v32
	s_and_saveexec_b64 s[16:17], vcc
	s_cbranch_execz .LBB2083_373
.LBB2083_380:                           ;   in Loop: Header=BB2083_354 Depth=2
	v_cmp_lt_i16_e32 vcc, -1, v6
	v_cndmask_b32_e32 v12, -1, v65, vcc
	v_xor_b32_e32 v12, v12, v6
	v_cmp_ne_u16_e32 vcc, s62, v12
	v_cndmask_b32_e32 v12, v65, v12, vcc
	v_lshrrev_b32_sdwa v12, s77, v12 dst_sel:DWORD dst_unused:UNUSED_PAD src0_sel:DWORD src1_sel:WORD_0
	v_and_b32_e32 v12, s70, v12
	v_lshl_or_b32 v12, v12, 4, v35
	ds_add_u32 v12, v61
	s_or_b64 exec, exec, s[16:17]
	v_cmp_gt_u32_e32 vcc, s18, v33
	s_and_saveexec_b64 s[16:17], vcc
	s_cbranch_execz .LBB2083_374
.LBB2083_381:                           ;   in Loop: Header=BB2083_354 Depth=2
	v_cmp_lt_i16_e32 vcc, -1, v5
	v_cndmask_b32_e32 v12, -1, v65, vcc
	v_xor_b32_e32 v12, v12, v5
	v_cmp_ne_u16_e32 vcc, s62, v12
	v_cndmask_b32_e32 v12, v65, v12, vcc
	v_lshrrev_b32_sdwa v12, s77, v12 dst_sel:DWORD dst_unused:UNUSED_PAD src0_sel:DWORD src1_sel:WORD_0
	v_and_b32_e32 v12, s70, v12
	v_lshl_or_b32 v12, v12, 4, v35
	ds_add_u32 v12, v61
	s_or_b64 exec, exec, s[16:17]
	v_cmp_gt_u32_e32 vcc, s18, v34
	s_and_saveexec_b64 s[16:17], vcc
	s_cbranch_execz .LBB2083_353
.LBB2083_382:                           ;   in Loop: Header=BB2083_354 Depth=2
	v_cmp_lt_i16_e32 vcc, -1, v4
	v_cndmask_b32_e32 v12, -1, v65, vcc
	v_xor_b32_e32 v12, v12, v4
	v_cmp_ne_u16_e32 vcc, s62, v12
	v_cndmask_b32_e32 v12, v65, v12, vcc
	v_lshrrev_b32_sdwa v12, s77, v12 dst_sel:DWORD dst_unused:UNUSED_PAD src0_sel:DWORD src1_sel:WORD_0
	v_and_b32_e32 v12, s70, v12
	v_lshl_or_b32 v12, v12, 4, v35
	ds_add_u32 v12, v61
	s_branch .LBB2083_353
.LBB2083_383:                           ;   in Loop: Header=BB2083_354 Depth=2
	global_load_ushort v11, v64, s[16:17]
	s_or_b64 exec, exec, s[18:19]
	v_cmp_gt_u32_e32 vcc, s20, v26
	s_and_saveexec_b64 s[18:19], vcc
	s_cbranch_execz .LBB2083_359
.LBB2083_384:                           ;   in Loop: Header=BB2083_354 Depth=2
	global_load_ushort v10, v64, s[16:17] offset:512
	s_or_b64 exec, exec, s[18:19]
	v_cmp_gt_u32_e32 vcc, s20, v27
	s_and_saveexec_b64 s[18:19], vcc
	s_cbranch_execz .LBB2083_360
.LBB2083_385:                           ;   in Loop: Header=BB2083_354 Depth=2
	global_load_ushort v9, v64, s[16:17] offset:1024
	s_or_b64 exec, exec, s[18:19]
	v_cmp_gt_u32_e32 vcc, s20, v28
	s_and_saveexec_b64 s[18:19], vcc
	s_cbranch_execz .LBB2083_361
.LBB2083_386:                           ;   in Loop: Header=BB2083_354 Depth=2
	global_load_ushort v8, v64, s[16:17] offset:1536
	s_or_b64 exec, exec, s[18:19]
	v_cmp_gt_u32_e32 vcc, s20, v31
	s_and_saveexec_b64 s[18:19], vcc
	s_cbranch_execz .LBB2083_362
.LBB2083_387:                           ;   in Loop: Header=BB2083_354 Depth=2
	global_load_ushort v7, v64, s[16:17] offset:2048
	s_or_b64 exec, exec, s[18:19]
	v_cmp_gt_u32_e32 vcc, s20, v32
	s_and_saveexec_b64 s[18:19], vcc
	s_cbranch_execz .LBB2083_363
.LBB2083_388:                           ;   in Loop: Header=BB2083_354 Depth=2
	global_load_ushort v6, v64, s[16:17] offset:2560
	s_or_b64 exec, exec, s[18:19]
	v_cmp_gt_u32_e32 vcc, s20, v33
	s_and_saveexec_b64 s[18:19], vcc
	s_cbranch_execz .LBB2083_364
.LBB2083_389:                           ;   in Loop: Header=BB2083_354 Depth=2
	global_load_ushort v5, v64, s[16:17] offset:3072
	s_or_b64 exec, exec, s[18:19]
	v_cmp_gt_u32_e32 vcc, s20, v34
	s_and_saveexec_b64 s[18:19], vcc
	s_cbranch_execnz .LBB2083_365
	s_branch .LBB2083_366
.LBB2083_390:                           ;   in Loop: Header=BB2083_20 Depth=1
	v_mov_b32_e32 v4, 0
	s_waitcnt lgkmcnt(0)
	s_barrier
	s_and_saveexec_b64 s[16:17], s[4:5]
	s_cbranch_execz .LBB2083_392
; %bb.391:                              ;   in Loop: Header=BB2083_20 Depth=1
	ds_read2_b64 v[4:7], v36 offset1:1
	s_waitcnt lgkmcnt(0)
	v_add_u32_e32 v4, v5, v4
	v_add3_u32 v4, v4, v6, v7
.LBB2083_392:                           ;   in Loop: Header=BB2083_20 Depth=1
	s_or_b64 exec, exec, s[16:17]
	s_nop 0
	v_mov_b32_dpp v5, v4 row_shr:1 row_mask:0xf bank_mask:0xf
	v_cmp_eq_u32_e64 s[16:17], 0, v67
	v_cndmask_b32_e64 v5, v5, 0, s[16:17]
	v_add_u32_e32 v4, v5, v4
	v_cmp_lt_u32_e64 s[18:19], 1, v67
	v_cmp_lt_u32_e64 s[20:21], 3, v67
	v_mov_b32_dpp v5, v4 row_shr:2 row_mask:0xf bank_mask:0xf
	v_cndmask_b32_e64 v5, 0, v5, s[18:19]
	v_add_u32_e32 v4, v4, v5
	v_cmp_lt_u32_e64 s[22:23], 7, v67
	v_cmp_lt_u32_e64 s[26:27], 31, v66
	v_mov_b32_dpp v5, v4 row_shr:4 row_mask:0xf bank_mask:0xf
	v_cndmask_b32_e64 v5, 0, v5, s[20:21]
	v_add_u32_e32 v4, v4, v5
	v_cmp_eq_u32_e64 s[24:25], 0, v69
	s_nop 0
	v_mov_b32_dpp v5, v4 row_shr:8 row_mask:0xf bank_mask:0xf
	v_cndmask_b32_e64 v5, 0, v5, s[22:23]
	v_add_u32_e32 v4, v4, v5
	s_nop 1
	v_mov_b32_dpp v5, v4 row_bcast:15 row_mask:0xf bank_mask:0xf
	v_and_b32_e32 v5, v68, v5
	v_add_u32_e32 v4, v4, v5
	s_nop 1
	v_mov_b32_dpp v5, v4 row_bcast:31 row_mask:0xf bank_mask:0xf
	v_cndmask_b32_e64 v5, 0, v5, s[26:27]
	v_add_u32_e32 v4, v4, v5
	s_and_saveexec_b64 s[28:29], s[6:7]
; %bb.393:                              ;   in Loop: Header=BB2083_20 Depth=1
	ds_write_b32 v38, v4
; %bb.394:                              ;   in Loop: Header=BB2083_20 Depth=1
	s_or_b64 exec, exec, s[28:29]
	s_waitcnt lgkmcnt(0)
	s_barrier
	s_and_saveexec_b64 s[28:29], s[8:9]
	s_cbranch_execz .LBB2083_396
; %bb.395:                              ;   in Loop: Header=BB2083_20 Depth=1
	ds_read_b32 v5, v39
	v_cmp_ne_u32_e32 vcc, 0, v70
	s_waitcnt lgkmcnt(0)
	v_mov_b32_dpp v6, v5 row_shr:1 row_mask:0xf bank_mask:0xf
	v_cndmask_b32_e32 v6, 0, v6, vcc
	v_add_u32_e32 v5, v6, v5
	v_cmp_lt_u32_e32 vcc, 1, v70
	s_nop 0
	v_mov_b32_dpp v6, v5 row_shr:2 row_mask:0xf bank_mask:0xf
	v_cndmask_b32_e32 v6, 0, v6, vcc
	v_add_u32_e32 v5, v5, v6
	ds_write_b32 v39, v5
.LBB2083_396:                           ;   in Loop: Header=BB2083_20 Depth=1
	s_or_b64 exec, exec, s[28:29]
	v_mov_b32_e32 v5, 0
	s_waitcnt lgkmcnt(0)
	s_barrier
	s_and_saveexec_b64 s[28:29], s[10:11]
; %bb.397:                              ;   in Loop: Header=BB2083_20 Depth=1
	ds_read_b32 v5, v40
; %bb.398:                              ;   in Loop: Header=BB2083_20 Depth=1
	s_or_b64 exec, exec, s[28:29]
	v_subrev_co_u32_e64 v6, s[28:29], 1, v66
	v_cmp_lt_i32_e32 vcc, v6, v71
	v_cndmask_b32_e32 v6, v6, v66, vcc
	s_waitcnt lgkmcnt(0)
	v_add_u32_e32 v4, v5, v4
	v_lshlrev_b32_e32 v82, 2, v6
	ds_bpermute_b32 v4, v82, v4
	s_waitcnt lgkmcnt(0)
	s_barrier
	s_and_saveexec_b64 s[30:31], s[4:5]
; %bb.399:                              ;   in Loop: Header=BB2083_20 Depth=1
	v_cndmask_b32_e64 v4, v4, v5, s[28:29]
	v_add_u32_e32 v4, s51, v4
	ds_write_b32 v25, v4
; %bb.400:                              ;   in Loop: Header=BB2083_20 Depth=1
	s_or_b64 exec, exec, s[30:31]
	s_load_dwordx2 s[30:31], s[56:57], 0x0
	v_add_co_u32_e32 v83, vcc, v57, v72
	v_addc_co_u32_e32 v84, vcc, 0, v58, vcc
	s_waitcnt lgkmcnt(0)
	s_cmp_lt_u32 s33, s31
	s_cselect_b32 s31, 14, 20
	s_add_u32 s34, s56, s31
	s_addc_u32 s35, s57, 0
	s_cmp_lt_u32 s50, s30
	s_cselect_b32 s30, 12, 18
	s_add_u32 s30, s56, s30
	global_load_ushort v4, v3, s[34:35]
	s_addc_u32 s31, s57, 0
	global_load_ushort v5, v3, s[30:31]
	v_add_co_u32_e32 v85, vcc, v59, v81
	v_cmp_eq_u32_e64 s[30:31], 0, v70
	v_cmp_lt_u32_e64 s[34:35], 1, v70
	v_addc_co_u32_e32 v86, vcc, 0, v60, vcc
	s_mov_b32 s71, s79
	s_mov_b32 s58, s51
                                        ; implicit-def: $vgpr7_vgpr8
                                        ; implicit-def: $vgpr9_vgpr10
                                        ; implicit-def: $vgpr11_vgpr12
                                        ; implicit-def: $vgpr13_vgpr14
                                        ; implicit-def: $vgpr15_vgpr16
                                        ; implicit-def: $vgpr17_vgpr18
                                        ; implicit-def: $vgpr19_vgpr20
                                        ; implicit-def: $vgpr87
                                        ; implicit-def: $vgpr88
                                        ; implicit-def: $vgpr89
                                        ; implicit-def: $vgpr90
                                        ; implicit-def: $vgpr92
                                        ; implicit-def: $vgpr93
                                        ; implicit-def: $vgpr94
                                        ; implicit-def: $vgpr95
	s_waitcnt vmcnt(1)
	v_mad_u32_u24 v4, v2, v4, v1
	s_waitcnt vmcnt(0)
	v_mad_u64_u32 v[4:5], s[36:37], v4, v5, v[0:1]
                                        ; implicit-def: $vgpr5_vgpr6
	v_lshrrev_b32_e32 v4, 4, v4
	v_and_b32_e32 v91, 0xffffffc, v4
	s_branch .LBB2083_402
.LBB2083_401:                           ;   in Loop: Header=BB2083_402 Depth=2
	s_or_b64 exec, exec, s[36:37]
	s_addk_i32 s71, 0xf800
	s_cmp_lt_u32 s76, s80
	s_mov_b32 s58, s76
	s_cbranch_scc0 .LBB2083_514
.LBB2083_402:                           ;   Parent Loop BB2083_20 Depth=1
                                        ; =>  This Inner Loop Header: Depth=2
	s_add_i32 s76, s58, 0x800
	s_cmp_gt_u32 s76, s80
	s_cbranch_scc1 .LBB2083_404
; %bb.403:                              ;   in Loop: Header=BB2083_402 Depth=2
	s_lshl_b64 s[36:37], s[58:59], 1
	v_mov_b32_e32 v4, s37
	v_add_co_u32_e32 v21, vcc, s36, v85
	v_addc_co_u32_e32 v22, vcc, v86, v4, vcc
	global_load_ushort v4, v[21:22], off
	global_load_ushort v99, v[21:22], off offset:128
	global_load_ushort v103, v[21:22], off offset:256
	;; [unrolled: 1-line block ×6, first 2 shown]
	s_mov_b64 s[36:37], -1
	s_movk_i32 s40, 0x800
	s_cbranch_execz .LBB2083_405
	s_branch .LBB2083_420
.LBB2083_404:                           ;   in Loop: Header=BB2083_402 Depth=2
	s_mov_b64 s[36:37], 0
                                        ; implicit-def: $vgpr4
                                        ; implicit-def: $vgpr99
                                        ; implicit-def: $vgpr103
                                        ; implicit-def: $vgpr107
                                        ; implicit-def: $vgpr112
                                        ; implicit-def: $vgpr108
                                        ; implicit-def: $vgpr24
	s_movk_i32 s40, 0x800
.LBB2083_405:                           ;   in Loop: Header=BB2083_402 Depth=2
	s_lshl_b64 s[36:37], s[58:59], 1
	s_waitcnt vmcnt(6)
	v_mov_b32_e32 v4, s37
	v_add_co_u32_e32 v21, vcc, s36, v85
	v_addc_co_u32_e32 v22, vcc, v86, v4, vcc
	v_cmp_gt_u32_e32 vcc, s71, v73
	s_waitcnt vmcnt(5)
	v_mov_b32_e32 v99, 0x7fff
	v_mov_b32_e32 v4, 0x7fff
	s_and_saveexec_b64 s[36:37], vcc
	s_cbranch_execz .LBB2083_407
; %bb.406:                              ;   in Loop: Header=BB2083_402 Depth=2
	global_load_ushort v4, v[21:22], off
.LBB2083_407:                           ;   in Loop: Header=BB2083_402 Depth=2
	s_or_b64 exec, exec, s[36:37]
	v_cmp_gt_u32_e32 vcc, s71, v74
	s_and_saveexec_b64 s[36:37], vcc
	s_cbranch_execz .LBB2083_409
; %bb.408:                              ;   in Loop: Header=BB2083_402 Depth=2
	global_load_ushort v99, v[21:22], off offset:128
.LBB2083_409:                           ;   in Loop: Header=BB2083_402 Depth=2
	s_or_b64 exec, exec, s[36:37]
	v_cmp_gt_u32_e32 vcc, s71, v75
	s_waitcnt vmcnt(3)
	v_mov_b32_e32 v107, 0x7fff
	v_mov_b32_e32 v103, 0x7fff
	s_and_saveexec_b64 s[36:37], vcc
	s_cbranch_execz .LBB2083_411
; %bb.410:                              ;   in Loop: Header=BB2083_402 Depth=2
	global_load_ushort v103, v[21:22], off offset:256
.LBB2083_411:                           ;   in Loop: Header=BB2083_402 Depth=2
	s_or_b64 exec, exec, s[36:37]
	v_cmp_gt_u32_e32 vcc, s71, v76
	s_and_saveexec_b64 s[36:37], vcc
	s_cbranch_execz .LBB2083_413
; %bb.412:                              ;   in Loop: Header=BB2083_402 Depth=2
	global_load_ushort v107, v[21:22], off offset:384
.LBB2083_413:                           ;   in Loop: Header=BB2083_402 Depth=2
	s_or_b64 exec, exec, s[36:37]
	v_cmp_gt_u32_e32 vcc, s71, v77
	s_waitcnt vmcnt(1)
	v_mov_b32_e32 v108, 0x7fff
	v_mov_b32_e32 v112, 0x7fff
	s_and_saveexec_b64 s[36:37], vcc
	s_cbranch_execz .LBB2083_415
; %bb.414:                              ;   in Loop: Header=BB2083_402 Depth=2
	global_load_ushort v112, v[21:22], off offset:512
.LBB2083_415:                           ;   in Loop: Header=BB2083_402 Depth=2
	s_or_b64 exec, exec, s[36:37]
	v_cmp_gt_u32_e32 vcc, s71, v78
	s_and_saveexec_b64 s[36:37], vcc
	s_cbranch_execz .LBB2083_417
; %bb.416:                              ;   in Loop: Header=BB2083_402 Depth=2
	global_load_ushort v108, v[21:22], off offset:640
.LBB2083_417:                           ;   in Loop: Header=BB2083_402 Depth=2
	s_or_b64 exec, exec, s[36:37]
	v_cmp_gt_u32_e32 vcc, s71, v79
	s_waitcnt vmcnt(0)
	v_mov_b32_e32 v24, 0x7fff
	s_and_saveexec_b64 s[36:37], vcc
	s_cbranch_execz .LBB2083_419
; %bb.418:                              ;   in Loop: Header=BB2083_402 Depth=2
	global_load_ushort v24, v[21:22], off offset:768
.LBB2083_419:                           ;   in Loop: Header=BB2083_402 Depth=2
	s_or_b64 exec, exec, s[36:37]
	s_sub_i32 s40, s80, s58
	v_cmp_gt_u32_e64 s[36:37], s71, v80
.LBB2083_420:                           ;   in Loop: Header=BB2083_402 Depth=2
	v_mov_b32_e32 v23, 0x7fff
	v_mov_b32_e32 v96, s71
	s_and_saveexec_b64 s[38:39], s[36:37]
	s_cbranch_execz .LBB2083_422
; %bb.421:                              ;   in Loop: Header=BB2083_402 Depth=2
	s_lshl_b64 s[36:37], s[58:59], 1
	v_mov_b32_e32 v22, s37
	v_add_co_u32_e32 v21, vcc, s36, v85
	v_addc_co_u32_e32 v22, vcc, v86, v22, vcc
	global_load_ushort v23, v[21:22], off offset:896
	v_mov_b32_e32 v96, s40
.LBB2083_422:                           ;   in Loop: Header=BB2083_402 Depth=2
	s_or_b64 exec, exec, s[38:39]
	s_waitcnt vmcnt(6)
	v_cmp_lt_i16_e32 vcc, -1, v4
	v_cndmask_b32_e32 v21, -1, v65, vcc
	v_xor_b32_e32 v97, v21, v4
	v_cmp_ne_u16_e32 vcc, s62, v97
	v_cndmask_b32_e32 v4, v65, v97, vcc
	v_lshrrev_b32_sdwa v4, s77, v4 dst_sel:DWORD dst_unused:UNUSED_PAD src0_sel:DWORD src1_sel:WORD_0
	v_and_b32_e32 v21, s70, v4
	v_and_b32_e32 v4, 1, v21
	v_add_co_u32_e32 v22, vcc, -1, v4
	v_addc_co_u32_e64 v98, s[36:37], 0, -1, vcc
	v_cmp_ne_u32_e32 vcc, 0, v4
	v_xor_b32_e32 v4, vcc_hi, v98
	v_and_b32_e32 v98, exec_hi, v4
	v_lshlrev_b32_e32 v4, 30, v21
	v_xor_b32_e32 v22, vcc_lo, v22
	v_cmp_gt_i64_e32 vcc, 0, v[3:4]
	v_not_b32_e32 v4, v4
	v_ashrrev_i32_e32 v4, 31, v4
	v_and_b32_e32 v22, exec_lo, v22
	v_xor_b32_e32 v101, vcc_hi, v4
	v_xor_b32_e32 v4, vcc_lo, v4
	v_and_b32_e32 v22, v22, v4
	v_lshlrev_b32_e32 v4, 29, v21
	v_cmp_gt_i64_e32 vcc, 0, v[3:4]
	v_not_b32_e32 v4, v4
	v_ashrrev_i32_e32 v4, 31, v4
	v_and_b32_e32 v98, v98, v101
	v_xor_b32_e32 v101, vcc_hi, v4
	v_xor_b32_e32 v4, vcc_lo, v4
	v_and_b32_e32 v22, v22, v4
	v_lshlrev_b32_e32 v4, 28, v21
	v_cmp_gt_i64_e32 vcc, 0, v[3:4]
	v_not_b32_e32 v4, v4
	v_ashrrev_i32_e32 v4, 31, v4
	v_and_b32_e32 v98, v98, v101
	;; [unrolled: 8-line block ×5, first 2 shown]
	v_xor_b32_e32 v101, vcc_hi, v4
	v_xor_b32_e32 v4, vcc_lo, v4
	v_and_b32_e32 v98, v98, v101
	v_and_b32_e32 v101, v22, v4
	v_lshlrev_b32_e32 v4, 24, v21
	v_cmp_gt_i64_e32 vcc, 0, v[3:4]
	v_not_b32_e32 v4, v4
	v_ashrrev_i32_e32 v4, 31, v4
	v_mul_u32_u24_e32 v100, 20, v21
	v_xor_b32_e32 v21, vcc_hi, v4
	v_xor_b32_e32 v4, vcc_lo, v4
	v_and_b32_e32 v22, v98, v21
	v_and_b32_e32 v21, v101, v4
	v_mbcnt_lo_u32_b32 v4, v21, 0
	v_mbcnt_hi_u32_b32 v98, v22, v4
	v_cmp_ne_u64_e32 vcc, 0, v[21:22]
	v_cmp_eq_u32_e64 s[36:37], 0, v98
	s_and_b64 s[38:39], vcc, s[36:37]
	v_add_u32_e32 v101, v91, v100
	ds_write2_b32 v62, v3, v3 offset1:1
	ds_write2_b32 v63, v3, v3 offset1:1
	ds_write_b32 v41, v3 offset:1056
	s_waitcnt vmcnt(0) lgkmcnt(0)
	s_barrier
	; wave barrier
	s_and_saveexec_b64 s[36:37], s[38:39]
; %bb.423:                              ;   in Loop: Header=BB2083_402 Depth=2
	v_bcnt_u32_b32 v4, v21, 0
	v_bcnt_u32_b32 v4, v22, v4
	ds_write_b32 v101, v4 offset:1040
; %bb.424:                              ;   in Loop: Header=BB2083_402 Depth=2
	s_or_b64 exec, exec, s[36:37]
	v_cmp_lt_i16_e32 vcc, -1, v99
	v_cndmask_b32_e32 v4, -1, v65, vcc
	v_xor_b32_e32 v99, v4, v99
	v_cmp_ne_u16_e32 vcc, s62, v99
	v_cndmask_b32_e32 v4, v65, v99, vcc
	v_lshrrev_b32_sdwa v4, s77, v4 dst_sel:DWORD dst_unused:UNUSED_PAD src0_sel:DWORD src1_sel:WORD_0
	v_and_b32_e32 v21, s70, v4
	v_mad_u32_u24 v4, v21, 20, v91
	; wave barrier
	ds_read_b32 v100, v4 offset:1040
	v_and_b32_e32 v4, 1, v21
	v_add_co_u32_e32 v22, vcc, -1, v4
	v_addc_co_u32_e64 v102, s[36:37], 0, -1, vcc
	v_cmp_ne_u32_e32 vcc, 0, v4
	v_xor_b32_e32 v4, vcc_hi, v102
	v_and_b32_e32 v102, exec_hi, v4
	v_lshlrev_b32_e32 v4, 30, v21
	v_xor_b32_e32 v22, vcc_lo, v22
	v_cmp_gt_i64_e32 vcc, 0, v[3:4]
	v_not_b32_e32 v4, v4
	v_ashrrev_i32_e32 v4, 31, v4
	v_and_b32_e32 v22, exec_lo, v22
	v_xor_b32_e32 v105, vcc_hi, v4
	v_xor_b32_e32 v4, vcc_lo, v4
	v_and_b32_e32 v22, v22, v4
	v_lshlrev_b32_e32 v4, 29, v21
	v_cmp_gt_i64_e32 vcc, 0, v[3:4]
	v_not_b32_e32 v4, v4
	v_ashrrev_i32_e32 v4, 31, v4
	v_and_b32_e32 v102, v102, v105
	v_xor_b32_e32 v105, vcc_hi, v4
	v_xor_b32_e32 v4, vcc_lo, v4
	v_and_b32_e32 v22, v22, v4
	v_lshlrev_b32_e32 v4, 28, v21
	v_cmp_gt_i64_e32 vcc, 0, v[3:4]
	v_not_b32_e32 v4, v4
	v_ashrrev_i32_e32 v4, 31, v4
	v_and_b32_e32 v102, v102, v105
	;; [unrolled: 8-line block ×5, first 2 shown]
	v_xor_b32_e32 v105, vcc_hi, v4
	v_xor_b32_e32 v4, vcc_lo, v4
	v_and_b32_e32 v102, v102, v105
	v_and_b32_e32 v105, v22, v4
	v_lshlrev_b32_e32 v4, 24, v21
	v_cmp_gt_i64_e32 vcc, 0, v[3:4]
	v_not_b32_e32 v4, v4
	v_ashrrev_i32_e32 v4, 31, v4
	v_mul_u32_u24_e32 v104, 20, v21
	v_xor_b32_e32 v21, vcc_hi, v4
	v_xor_b32_e32 v4, vcc_lo, v4
	v_and_b32_e32 v22, v102, v21
	v_and_b32_e32 v21, v105, v4
	v_mbcnt_lo_u32_b32 v4, v21, 0
	v_mbcnt_hi_u32_b32 v102, v22, v4
	v_cmp_ne_u64_e32 vcc, 0, v[21:22]
	v_cmp_eq_u32_e64 s[36:37], 0, v102
	s_and_b64 s[38:39], vcc, s[36:37]
	v_add_u32_e32 v105, v91, v104
	; wave barrier
	s_and_saveexec_b64 s[36:37], s[38:39]
	s_cbranch_execz .LBB2083_426
; %bb.425:                              ;   in Loop: Header=BB2083_402 Depth=2
	v_bcnt_u32_b32 v4, v21, 0
	v_bcnt_u32_b32 v4, v22, v4
	s_waitcnt lgkmcnt(0)
	v_add_u32_e32 v4, v100, v4
	ds_write_b32 v105, v4 offset:1040
.LBB2083_426:                           ;   in Loop: Header=BB2083_402 Depth=2
	s_or_b64 exec, exec, s[36:37]
	v_cmp_lt_i16_e32 vcc, -1, v103
	v_cndmask_b32_e32 v4, -1, v65, vcc
	v_xor_b32_e32 v103, v4, v103
	v_cmp_ne_u16_e32 vcc, s62, v103
	v_cndmask_b32_e32 v4, v65, v103, vcc
	v_lshrrev_b32_sdwa v4, s77, v4 dst_sel:DWORD dst_unused:UNUSED_PAD src0_sel:DWORD src1_sel:WORD_0
	v_and_b32_e32 v21, s70, v4
	v_mad_u32_u24 v4, v21, 20, v91
	; wave barrier
	ds_read_b32 v104, v4 offset:1040
	v_and_b32_e32 v4, 1, v21
	v_add_co_u32_e32 v22, vcc, -1, v4
	v_addc_co_u32_e64 v106, s[36:37], 0, -1, vcc
	v_cmp_ne_u32_e32 vcc, 0, v4
	v_xor_b32_e32 v4, vcc_hi, v106
	v_and_b32_e32 v106, exec_hi, v4
	v_lshlrev_b32_e32 v4, 30, v21
	v_xor_b32_e32 v22, vcc_lo, v22
	v_cmp_gt_i64_e32 vcc, 0, v[3:4]
	v_not_b32_e32 v4, v4
	v_ashrrev_i32_e32 v4, 31, v4
	v_and_b32_e32 v22, exec_lo, v22
	v_xor_b32_e32 v110, vcc_hi, v4
	v_xor_b32_e32 v4, vcc_lo, v4
	v_and_b32_e32 v22, v22, v4
	v_lshlrev_b32_e32 v4, 29, v21
	v_cmp_gt_i64_e32 vcc, 0, v[3:4]
	v_not_b32_e32 v4, v4
	v_ashrrev_i32_e32 v4, 31, v4
	v_and_b32_e32 v106, v106, v110
	v_xor_b32_e32 v110, vcc_hi, v4
	v_xor_b32_e32 v4, vcc_lo, v4
	v_and_b32_e32 v22, v22, v4
	v_lshlrev_b32_e32 v4, 28, v21
	v_cmp_gt_i64_e32 vcc, 0, v[3:4]
	v_not_b32_e32 v4, v4
	v_ashrrev_i32_e32 v4, 31, v4
	v_and_b32_e32 v106, v106, v110
	;; [unrolled: 8-line block ×5, first 2 shown]
	v_xor_b32_e32 v110, vcc_hi, v4
	v_xor_b32_e32 v4, vcc_lo, v4
	v_and_b32_e32 v106, v106, v110
	v_and_b32_e32 v110, v22, v4
	v_lshlrev_b32_e32 v4, 24, v21
	v_cmp_gt_i64_e32 vcc, 0, v[3:4]
	v_not_b32_e32 v4, v4
	v_ashrrev_i32_e32 v4, 31, v4
	v_mul_u32_u24_e32 v109, 20, v21
	v_xor_b32_e32 v21, vcc_hi, v4
	v_xor_b32_e32 v4, vcc_lo, v4
	v_and_b32_e32 v22, v106, v21
	v_and_b32_e32 v21, v110, v4
	v_mbcnt_lo_u32_b32 v4, v21, 0
	v_mbcnt_hi_u32_b32 v106, v22, v4
	v_cmp_ne_u64_e32 vcc, 0, v[21:22]
	v_cmp_eq_u32_e64 s[36:37], 0, v106
	s_and_b64 s[38:39], vcc, s[36:37]
	v_add_u32_e32 v110, v91, v109
	; wave barrier
	s_and_saveexec_b64 s[36:37], s[38:39]
	s_cbranch_execz .LBB2083_428
; %bb.427:                              ;   in Loop: Header=BB2083_402 Depth=2
	v_bcnt_u32_b32 v4, v21, 0
	v_bcnt_u32_b32 v4, v22, v4
	s_waitcnt lgkmcnt(0)
	v_add_u32_e32 v4, v104, v4
	ds_write_b32 v110, v4 offset:1040
.LBB2083_428:                           ;   in Loop: Header=BB2083_402 Depth=2
	s_or_b64 exec, exec, s[36:37]
	v_cmp_lt_i16_e32 vcc, -1, v107
	v_cndmask_b32_e32 v4, -1, v65, vcc
	v_xor_b32_e32 v107, v4, v107
	v_cmp_ne_u16_e32 vcc, s62, v107
	v_cndmask_b32_e32 v4, v65, v107, vcc
	v_lshrrev_b32_sdwa v4, s77, v4 dst_sel:DWORD dst_unused:UNUSED_PAD src0_sel:DWORD src1_sel:WORD_0
	v_and_b32_e32 v21, s70, v4
	v_mad_u32_u24 v4, v21, 20, v91
	; wave barrier
	ds_read_b32 v109, v4 offset:1040
	v_and_b32_e32 v4, 1, v21
	v_add_co_u32_e32 v22, vcc, -1, v4
	v_addc_co_u32_e64 v111, s[36:37], 0, -1, vcc
	v_cmp_ne_u32_e32 vcc, 0, v4
	v_xor_b32_e32 v4, vcc_hi, v111
	v_and_b32_e32 v111, exec_hi, v4
	v_lshlrev_b32_e32 v4, 30, v21
	v_xor_b32_e32 v22, vcc_lo, v22
	v_cmp_gt_i64_e32 vcc, 0, v[3:4]
	v_not_b32_e32 v4, v4
	v_ashrrev_i32_e32 v4, 31, v4
	v_and_b32_e32 v22, exec_lo, v22
	v_xor_b32_e32 v114, vcc_hi, v4
	v_xor_b32_e32 v4, vcc_lo, v4
	v_and_b32_e32 v22, v22, v4
	v_lshlrev_b32_e32 v4, 29, v21
	v_cmp_gt_i64_e32 vcc, 0, v[3:4]
	v_not_b32_e32 v4, v4
	v_ashrrev_i32_e32 v4, 31, v4
	v_and_b32_e32 v111, v111, v114
	v_xor_b32_e32 v114, vcc_hi, v4
	v_xor_b32_e32 v4, vcc_lo, v4
	v_and_b32_e32 v22, v22, v4
	v_lshlrev_b32_e32 v4, 28, v21
	v_cmp_gt_i64_e32 vcc, 0, v[3:4]
	v_not_b32_e32 v4, v4
	v_ashrrev_i32_e32 v4, 31, v4
	v_and_b32_e32 v111, v111, v114
	;; [unrolled: 8-line block ×5, first 2 shown]
	v_xor_b32_e32 v114, vcc_hi, v4
	v_xor_b32_e32 v4, vcc_lo, v4
	v_and_b32_e32 v111, v111, v114
	v_and_b32_e32 v114, v22, v4
	v_lshlrev_b32_e32 v4, 24, v21
	v_cmp_gt_i64_e32 vcc, 0, v[3:4]
	v_not_b32_e32 v4, v4
	v_ashrrev_i32_e32 v4, 31, v4
	v_mul_u32_u24_e32 v113, 20, v21
	v_xor_b32_e32 v21, vcc_hi, v4
	v_xor_b32_e32 v4, vcc_lo, v4
	v_and_b32_e32 v22, v111, v21
	v_and_b32_e32 v21, v114, v4
	v_mbcnt_lo_u32_b32 v4, v21, 0
	v_mbcnt_hi_u32_b32 v111, v22, v4
	v_cmp_ne_u64_e32 vcc, 0, v[21:22]
	v_cmp_eq_u32_e64 s[36:37], 0, v111
	s_and_b64 s[38:39], vcc, s[36:37]
	v_add_u32_e32 v114, v91, v113
	; wave barrier
	s_and_saveexec_b64 s[36:37], s[38:39]
	s_cbranch_execz .LBB2083_430
; %bb.429:                              ;   in Loop: Header=BB2083_402 Depth=2
	v_bcnt_u32_b32 v4, v21, 0
	v_bcnt_u32_b32 v4, v22, v4
	s_waitcnt lgkmcnt(0)
	v_add_u32_e32 v4, v109, v4
	ds_write_b32 v114, v4 offset:1040
.LBB2083_430:                           ;   in Loop: Header=BB2083_402 Depth=2
	s_or_b64 exec, exec, s[36:37]
	v_cmp_lt_i16_e32 vcc, -1, v112
	v_cndmask_b32_e32 v4, -1, v65, vcc
	v_xor_b32_e32 v112, v4, v112
	v_cmp_ne_u16_e32 vcc, s62, v112
	v_cndmask_b32_e32 v4, v65, v112, vcc
	v_lshrrev_b32_sdwa v4, s77, v4 dst_sel:DWORD dst_unused:UNUSED_PAD src0_sel:DWORD src1_sel:WORD_0
	v_and_b32_e32 v21, s70, v4
	v_mad_u32_u24 v4, v21, 20, v91
	; wave barrier
	ds_read_b32 v113, v4 offset:1040
	v_and_b32_e32 v4, 1, v21
	v_add_co_u32_e32 v22, vcc, -1, v4
	v_addc_co_u32_e64 v115, s[36:37], 0, -1, vcc
	v_cmp_ne_u32_e32 vcc, 0, v4
	v_xor_b32_e32 v4, vcc_hi, v115
	v_and_b32_e32 v115, exec_hi, v4
	v_lshlrev_b32_e32 v4, 30, v21
	v_xor_b32_e32 v22, vcc_lo, v22
	v_cmp_gt_i64_e32 vcc, 0, v[3:4]
	v_not_b32_e32 v4, v4
	v_ashrrev_i32_e32 v4, 31, v4
	v_and_b32_e32 v22, exec_lo, v22
	v_xor_b32_e32 v117, vcc_hi, v4
	v_xor_b32_e32 v4, vcc_lo, v4
	v_and_b32_e32 v22, v22, v4
	v_lshlrev_b32_e32 v4, 29, v21
	v_cmp_gt_i64_e32 vcc, 0, v[3:4]
	v_not_b32_e32 v4, v4
	v_ashrrev_i32_e32 v4, 31, v4
	v_and_b32_e32 v115, v115, v117
	v_xor_b32_e32 v117, vcc_hi, v4
	v_xor_b32_e32 v4, vcc_lo, v4
	v_and_b32_e32 v22, v22, v4
	v_lshlrev_b32_e32 v4, 28, v21
	v_cmp_gt_i64_e32 vcc, 0, v[3:4]
	v_not_b32_e32 v4, v4
	v_ashrrev_i32_e32 v4, 31, v4
	v_and_b32_e32 v115, v115, v117
	;; [unrolled: 8-line block ×5, first 2 shown]
	v_xor_b32_e32 v117, vcc_hi, v4
	v_xor_b32_e32 v4, vcc_lo, v4
	v_and_b32_e32 v115, v115, v117
	v_and_b32_e32 v117, v22, v4
	v_lshlrev_b32_e32 v4, 24, v21
	v_cmp_gt_i64_e32 vcc, 0, v[3:4]
	v_not_b32_e32 v4, v4
	v_ashrrev_i32_e32 v4, 31, v4
	v_mul_u32_u24_e32 v116, 20, v21
	v_xor_b32_e32 v21, vcc_hi, v4
	v_xor_b32_e32 v4, vcc_lo, v4
	v_and_b32_e32 v22, v115, v21
	v_and_b32_e32 v21, v117, v4
	v_mbcnt_lo_u32_b32 v4, v21, 0
	v_mbcnt_hi_u32_b32 v115, v22, v4
	v_cmp_ne_u64_e32 vcc, 0, v[21:22]
	v_cmp_eq_u32_e64 s[36:37], 0, v115
	s_and_b64 s[38:39], vcc, s[36:37]
	v_add_u32_e32 v118, v91, v116
	; wave barrier
	s_and_saveexec_b64 s[36:37], s[38:39]
	s_cbranch_execz .LBB2083_432
; %bb.431:                              ;   in Loop: Header=BB2083_402 Depth=2
	v_bcnt_u32_b32 v4, v21, 0
	v_bcnt_u32_b32 v4, v22, v4
	s_waitcnt lgkmcnt(0)
	v_add_u32_e32 v4, v113, v4
	ds_write_b32 v118, v4 offset:1040
.LBB2083_432:                           ;   in Loop: Header=BB2083_402 Depth=2
	s_or_b64 exec, exec, s[36:37]
	v_cmp_lt_i16_e32 vcc, -1, v108
	v_cndmask_b32_e32 v4, -1, v65, vcc
	v_xor_b32_e32 v116, v4, v108
	v_cmp_ne_u16_e32 vcc, s62, v116
	v_cndmask_b32_e32 v4, v65, v116, vcc
	v_lshrrev_b32_sdwa v4, s77, v4 dst_sel:DWORD dst_unused:UNUSED_PAD src0_sel:DWORD src1_sel:WORD_0
	v_and_b32_e32 v21, s70, v4
	v_mad_u32_u24 v4, v21, 20, v91
	; wave barrier
	ds_read_b32 v117, v4 offset:1040
	v_and_b32_e32 v4, 1, v21
	v_add_co_u32_e32 v22, vcc, -1, v4
	v_addc_co_u32_e64 v119, s[36:37], 0, -1, vcc
	v_cmp_ne_u32_e32 vcc, 0, v4
	v_xor_b32_e32 v4, vcc_hi, v119
	v_and_b32_e32 v119, exec_hi, v4
	v_lshlrev_b32_e32 v4, 30, v21
	v_xor_b32_e32 v22, vcc_lo, v22
	v_cmp_gt_i64_e32 vcc, 0, v[3:4]
	v_not_b32_e32 v4, v4
	v_ashrrev_i32_e32 v4, 31, v4
	v_and_b32_e32 v22, exec_lo, v22
	v_xor_b32_e32 v120, vcc_hi, v4
	v_xor_b32_e32 v4, vcc_lo, v4
	v_and_b32_e32 v22, v22, v4
	v_lshlrev_b32_e32 v4, 29, v21
	v_cmp_gt_i64_e32 vcc, 0, v[3:4]
	v_not_b32_e32 v4, v4
	v_ashrrev_i32_e32 v4, 31, v4
	v_and_b32_e32 v119, v119, v120
	v_xor_b32_e32 v120, vcc_hi, v4
	v_xor_b32_e32 v4, vcc_lo, v4
	v_and_b32_e32 v22, v22, v4
	v_lshlrev_b32_e32 v4, 28, v21
	v_cmp_gt_i64_e32 vcc, 0, v[3:4]
	v_not_b32_e32 v4, v4
	v_ashrrev_i32_e32 v4, 31, v4
	v_and_b32_e32 v119, v119, v120
	;; [unrolled: 8-line block ×5, first 2 shown]
	v_xor_b32_e32 v120, vcc_hi, v4
	v_xor_b32_e32 v4, vcc_lo, v4
	v_and_b32_e32 v119, v119, v120
	v_and_b32_e32 v120, v22, v4
	v_lshlrev_b32_e32 v4, 24, v21
	v_cmp_gt_i64_e32 vcc, 0, v[3:4]
	v_not_b32_e32 v4, v4
	v_ashrrev_i32_e32 v4, 31, v4
	v_mul_u32_u24_e32 v108, 20, v21
	v_xor_b32_e32 v21, vcc_hi, v4
	v_xor_b32_e32 v4, vcc_lo, v4
	v_and_b32_e32 v22, v119, v21
	v_and_b32_e32 v21, v120, v4
	v_mbcnt_lo_u32_b32 v4, v21, 0
	v_mbcnt_hi_u32_b32 v119, v22, v4
	v_cmp_ne_u64_e32 vcc, 0, v[21:22]
	v_cmp_eq_u32_e64 s[36:37], 0, v119
	s_and_b64 s[38:39], vcc, s[36:37]
	v_add_u32_e32 v108, v91, v108
	; wave barrier
	s_and_saveexec_b64 s[36:37], s[38:39]
	s_cbranch_execz .LBB2083_434
; %bb.433:                              ;   in Loop: Header=BB2083_402 Depth=2
	v_bcnt_u32_b32 v4, v21, 0
	v_bcnt_u32_b32 v4, v22, v4
	s_waitcnt lgkmcnt(0)
	v_add_u32_e32 v4, v117, v4
	ds_write_b32 v108, v4 offset:1040
.LBB2083_434:                           ;   in Loop: Header=BB2083_402 Depth=2
	s_or_b64 exec, exec, s[36:37]
	v_cmp_lt_i16_e32 vcc, -1, v24
	v_cndmask_b32_e32 v4, -1, v65, vcc
	v_xor_b32_e32 v120, v4, v24
	v_cmp_ne_u16_e32 vcc, s62, v120
	v_cndmask_b32_e32 v4, v65, v120, vcc
	v_lshrrev_b32_sdwa v4, s77, v4 dst_sel:DWORD dst_unused:UNUSED_PAD src0_sel:DWORD src1_sel:WORD_0
	v_and_b32_e32 v21, s70, v4
	v_mad_u32_u24 v4, v21, 20, v91
	; wave barrier
	ds_read_b32 v121, v4 offset:1040
	v_and_b32_e32 v4, 1, v21
	v_add_co_u32_e32 v22, vcc, -1, v4
	v_addc_co_u32_e64 v122, s[36:37], 0, -1, vcc
	v_cmp_ne_u32_e32 vcc, 0, v4
	v_xor_b32_e32 v4, vcc_hi, v122
	v_and_b32_e32 v122, exec_hi, v4
	v_lshlrev_b32_e32 v4, 30, v21
	v_xor_b32_e32 v22, vcc_lo, v22
	v_cmp_gt_i64_e32 vcc, 0, v[3:4]
	v_not_b32_e32 v4, v4
	v_ashrrev_i32_e32 v4, 31, v4
	v_and_b32_e32 v22, exec_lo, v22
	v_xor_b32_e32 v123, vcc_hi, v4
	v_xor_b32_e32 v4, vcc_lo, v4
	v_and_b32_e32 v22, v22, v4
	v_lshlrev_b32_e32 v4, 29, v21
	v_cmp_gt_i64_e32 vcc, 0, v[3:4]
	v_not_b32_e32 v4, v4
	v_ashrrev_i32_e32 v4, 31, v4
	v_and_b32_e32 v122, v122, v123
	v_xor_b32_e32 v123, vcc_hi, v4
	v_xor_b32_e32 v4, vcc_lo, v4
	v_and_b32_e32 v22, v22, v4
	v_lshlrev_b32_e32 v4, 28, v21
	v_cmp_gt_i64_e32 vcc, 0, v[3:4]
	v_not_b32_e32 v4, v4
	v_ashrrev_i32_e32 v4, 31, v4
	v_and_b32_e32 v122, v122, v123
	;; [unrolled: 8-line block ×5, first 2 shown]
	v_xor_b32_e32 v123, vcc_hi, v4
	v_xor_b32_e32 v4, vcc_lo, v4
	v_and_b32_e32 v122, v122, v123
	v_and_b32_e32 v123, v22, v4
	v_lshlrev_b32_e32 v4, 24, v21
	v_cmp_gt_i64_e32 vcc, 0, v[3:4]
	v_not_b32_e32 v4, v4
	v_ashrrev_i32_e32 v4, 31, v4
	v_mul_u32_u24_e32 v24, 20, v21
	v_xor_b32_e32 v21, vcc_hi, v4
	v_xor_b32_e32 v4, vcc_lo, v4
	v_and_b32_e32 v22, v122, v21
	v_and_b32_e32 v21, v123, v4
	v_mbcnt_lo_u32_b32 v4, v21, 0
	v_mbcnt_hi_u32_b32 v122, v22, v4
	v_cmp_ne_u64_e32 vcc, 0, v[21:22]
	v_cmp_eq_u32_e64 s[36:37], 0, v122
	s_and_b64 s[38:39], vcc, s[36:37]
	v_add_u32_e32 v125, v91, v24
	; wave barrier
	s_and_saveexec_b64 s[36:37], s[38:39]
	s_cbranch_execz .LBB2083_436
; %bb.435:                              ;   in Loop: Header=BB2083_402 Depth=2
	v_bcnt_u32_b32 v4, v21, 0
	v_bcnt_u32_b32 v4, v22, v4
	s_waitcnt lgkmcnt(0)
	v_add_u32_e32 v4, v121, v4
	ds_write_b32 v125, v4 offset:1040
.LBB2083_436:                           ;   in Loop: Header=BB2083_402 Depth=2
	s_or_b64 exec, exec, s[36:37]
	v_cmp_lt_i16_e32 vcc, -1, v23
	v_cndmask_b32_e32 v4, -1, v65, vcc
	v_xor_b32_e32 v123, v4, v23
	v_cmp_ne_u16_e32 vcc, s62, v123
	v_cndmask_b32_e32 v4, v65, v123, vcc
	v_lshrrev_b32_sdwa v4, s77, v4 dst_sel:DWORD dst_unused:UNUSED_PAD src0_sel:DWORD src1_sel:WORD_0
	v_and_b32_e32 v21, s70, v4
	v_mad_u32_u24 v4, v21, 20, v91
	; wave barrier
	ds_read_b32 v124, v4 offset:1040
	v_and_b32_e32 v4, 1, v21
	v_add_co_u32_e32 v22, vcc, -1, v4
	v_addc_co_u32_e64 v24, s[36:37], 0, -1, vcc
	v_cmp_ne_u32_e32 vcc, 0, v4
	v_xor_b32_e32 v4, vcc_hi, v24
	v_and_b32_e32 v24, exec_hi, v4
	v_lshlrev_b32_e32 v4, 30, v21
	v_xor_b32_e32 v22, vcc_lo, v22
	v_cmp_gt_i64_e32 vcc, 0, v[3:4]
	v_not_b32_e32 v4, v4
	v_ashrrev_i32_e32 v4, 31, v4
	v_and_b32_e32 v22, exec_lo, v22
	v_xor_b32_e32 v126, vcc_hi, v4
	v_xor_b32_e32 v4, vcc_lo, v4
	v_and_b32_e32 v22, v22, v4
	v_lshlrev_b32_e32 v4, 29, v21
	v_cmp_gt_i64_e32 vcc, 0, v[3:4]
	v_not_b32_e32 v4, v4
	v_ashrrev_i32_e32 v4, 31, v4
	v_and_b32_e32 v24, v24, v126
	v_xor_b32_e32 v126, vcc_hi, v4
	v_xor_b32_e32 v4, vcc_lo, v4
	v_and_b32_e32 v22, v22, v4
	v_lshlrev_b32_e32 v4, 28, v21
	v_cmp_gt_i64_e32 vcc, 0, v[3:4]
	v_not_b32_e32 v4, v4
	v_ashrrev_i32_e32 v4, 31, v4
	v_and_b32_e32 v24, v24, v126
	;; [unrolled: 8-line block ×5, first 2 shown]
	v_xor_b32_e32 v126, vcc_hi, v4
	v_xor_b32_e32 v4, vcc_lo, v4
	v_and_b32_e32 v24, v24, v126
	v_and_b32_e32 v126, v22, v4
	v_lshlrev_b32_e32 v4, 24, v21
	v_cmp_gt_i64_e32 vcc, 0, v[3:4]
	v_not_b32_e32 v4, v4
	v_ashrrev_i32_e32 v4, 31, v4
	v_mul_u32_u24_e32 v23, 20, v21
	v_xor_b32_e32 v21, vcc_hi, v4
	v_xor_b32_e32 v4, vcc_lo, v4
	v_and_b32_e32 v22, v24, v21
	v_and_b32_e32 v21, v126, v4
	v_mbcnt_lo_u32_b32 v4, v21, 0
	v_mbcnt_hi_u32_b32 v126, v22, v4
	v_cmp_ne_u64_e32 vcc, 0, v[21:22]
	v_cmp_eq_u32_e64 s[36:37], 0, v126
	s_and_b64 s[38:39], vcc, s[36:37]
	v_add_u32_e32 v4, v91, v23
	; wave barrier
	s_and_saveexec_b64 s[36:37], s[38:39]
	s_cbranch_execz .LBB2083_438
; %bb.437:                              ;   in Loop: Header=BB2083_402 Depth=2
	v_bcnt_u32_b32 v21, v21, 0
	v_bcnt_u32_b32 v21, v22, v21
	s_waitcnt lgkmcnt(0)
	v_add_u32_e32 v21, v124, v21
	ds_write_b32 v4, v21 offset:1040
.LBB2083_438:                           ;   in Loop: Header=BB2083_402 Depth=2
	s_or_b64 exec, exec, s[36:37]
	; wave barrier
	s_waitcnt lgkmcnt(0)
	s_barrier
	ds_read2_b32 v[23:24], v62 offset1:1
	ds_read2_b32 v[21:22], v63 offset1:1
	ds_read_b32 v127, v41 offset:1056
	s_waitcnt lgkmcnt(1)
	v_add3_u32 v128, v24, v23, v21
	s_waitcnt lgkmcnt(0)
	v_add3_u32 v127, v128, v22, v127
	s_nop 1
	v_mov_b32_dpp v128, v127 row_shr:1 row_mask:0xf bank_mask:0xf
	v_cndmask_b32_e64 v128, v128, 0, s[16:17]
	v_add_u32_e32 v127, v128, v127
	s_nop 1
	v_mov_b32_dpp v128, v127 row_shr:2 row_mask:0xf bank_mask:0xf
	v_cndmask_b32_e64 v128, 0, v128, s[18:19]
	v_add_u32_e32 v127, v127, v128
	;; [unrolled: 4-line block ×4, first 2 shown]
	s_nop 1
	v_mov_b32_dpp v128, v127 row_bcast:15 row_mask:0xf bank_mask:0xf
	v_cndmask_b32_e64 v128, v128, 0, s[24:25]
	v_add_u32_e32 v127, v127, v128
	s_nop 1
	v_mov_b32_dpp v128, v127 row_bcast:31 row_mask:0xf bank_mask:0xf
	v_cndmask_b32_e64 v128, 0, v128, s[26:27]
	v_add_u32_e32 v127, v127, v128
	s_and_saveexec_b64 s[36:37], s[6:7]
; %bb.439:                              ;   in Loop: Header=BB2083_402 Depth=2
	ds_write_b32 v37, v127 offset:1024
; %bb.440:                              ;   in Loop: Header=BB2083_402 Depth=2
	s_or_b64 exec, exec, s[36:37]
	s_waitcnt lgkmcnt(0)
	s_barrier
	s_and_saveexec_b64 s[36:37], s[8:9]
	s_cbranch_execz .LBB2083_442
; %bb.441:                              ;   in Loop: Header=BB2083_402 Depth=2
	ds_read_b32 v128, v42 offset:1024
	s_waitcnt lgkmcnt(0)
	s_nop 0
	v_mov_b32_dpp v129, v128 row_shr:1 row_mask:0xf bank_mask:0xf
	v_cndmask_b32_e64 v129, v129, 0, s[30:31]
	v_add_u32_e32 v128, v129, v128
	s_nop 1
	v_mov_b32_dpp v129, v128 row_shr:2 row_mask:0xf bank_mask:0xf
	v_cndmask_b32_e64 v129, 0, v129, s[34:35]
	v_add_u32_e32 v128, v128, v129
	ds_write_b32 v42, v128 offset:1024
.LBB2083_442:                           ;   in Loop: Header=BB2083_402 Depth=2
	s_or_b64 exec, exec, s[36:37]
	v_mov_b32_e32 v128, 0
	s_waitcnt lgkmcnt(0)
	s_barrier
	s_and_saveexec_b64 s[36:37], s[10:11]
; %bb.443:                              ;   in Loop: Header=BB2083_402 Depth=2
	ds_read_b32 v128, v37 offset:1020
; %bb.444:                              ;   in Loop: Header=BB2083_402 Depth=2
	s_or_b64 exec, exec, s[36:37]
	s_waitcnt lgkmcnt(0)
	v_add_u32_e32 v127, v128, v127
	ds_bpermute_b32 v127, v82, v127
	s_waitcnt lgkmcnt(0)
	v_cndmask_b32_e64 v127, v127, v128, s[28:29]
	v_cndmask_b32_e64 v127, v127, 0, s[12:13]
	v_add_u32_e32 v23, v127, v23
	v_add_u32_e32 v24, v23, v24
	;; [unrolled: 1-line block ×4, first 2 shown]
	ds_write2_b32 v62, v127, v23 offset1:1
	ds_write2_b32 v63, v24, v21 offset1:1
	ds_write_b32 v41, v22 offset:1056
	s_waitcnt lgkmcnt(0)
	s_barrier
	ds_read_b32 v21, v101 offset:1040
	ds_read_b32 v22, v105 offset:1040
	;; [unrolled: 1-line block ×9, first 2 shown]
	v_mov_b32_e32 v4, 0x800
	s_and_saveexec_b64 s[36:37], s[14:15]
; %bb.445:                              ;   in Loop: Header=BB2083_402 Depth=2
	ds_read_b32 v4, v41 offset:1060
; %bb.446:                              ;   in Loop: Header=BB2083_402 Depth=2
	s_or_b64 exec, exec, s[36:37]
	s_waitcnt lgkmcnt(0)
	s_barrier
	s_and_saveexec_b64 s[36:37], s[4:5]
	s_cbranch_execz .LBB2083_448
; %bb.447:                              ;   in Loop: Header=BB2083_402 Depth=2
	ds_read_b32 v105, v25
	s_waitcnt lgkmcnt(0)
	v_sub_u32_e32 v101, v105, v101
	ds_write_b32 v25, v101
.LBB2083_448:                           ;   in Loop: Header=BB2083_402 Depth=2
	s_or_b64 exec, exec, s[36:37]
	v_add_u32_e32 v108, v21, v98
	v_add3_u32 v105, v102, v100, v22
	v_lshlrev_b32_e32 v21, 1, v108
	v_add3_u32 v102, v106, v104, v23
	ds_write_b16 v21, v97 offset:1024
	v_lshlrev_b32_e32 v21, 1, v105
	v_add3_u32 v101, v111, v109, v24
	ds_write_b16 v21, v99 offset:1024
	;; [unrolled: 3-line block ×6, first 2 shown]
	v_lshlrev_b32_e32 v21, 1, v24
	ds_write_b16 v21, v120 offset:1024
	v_lshlrev_b32_e32 v21, 1, v23
	v_cmp_lt_u32_e32 vcc, v0, v96
	ds_write_b16 v21, v123 offset:1024
	s_waitcnt lgkmcnt(0)
	s_barrier
	s_and_saveexec_b64 s[38:39], vcc
	s_cbranch_execnz .LBB2083_485
; %bb.449:                              ;   in Loop: Header=BB2083_402 Depth=2
	s_or_b64 exec, exec, s[38:39]
	v_cmp_lt_u32_e64 s[36:37], v26, v96
	s_and_saveexec_b64 s[40:41], s[36:37]
	s_cbranch_execnz .LBB2083_486
.LBB2083_450:                           ;   in Loop: Header=BB2083_402 Depth=2
	s_or_b64 exec, exec, s[40:41]
	v_cmp_lt_u32_e64 s[38:39], v27, v96
	s_and_saveexec_b64 s[42:43], s[38:39]
	s_cbranch_execnz .LBB2083_487
.LBB2083_451:                           ;   in Loop: Header=BB2083_402 Depth=2
	s_or_b64 exec, exec, s[42:43]
	v_cmp_lt_u32_e64 s[40:41], v28, v96
	s_and_saveexec_b64 s[44:45], s[40:41]
	s_cbranch_execnz .LBB2083_488
.LBB2083_452:                           ;   in Loop: Header=BB2083_402 Depth=2
	s_or_b64 exec, exec, s[44:45]
	v_cmp_lt_u32_e64 s[42:43], v31, v96
	s_and_saveexec_b64 s[46:47], s[42:43]
	s_cbranch_execnz .LBB2083_489
.LBB2083_453:                           ;   in Loop: Header=BB2083_402 Depth=2
	s_or_b64 exec, exec, s[46:47]
	v_cmp_lt_u32_e64 s[44:45], v32, v96
	s_and_saveexec_b64 s[48:49], s[44:45]
	s_cbranch_execnz .LBB2083_490
.LBB2083_454:                           ;   in Loop: Header=BB2083_402 Depth=2
	s_or_b64 exec, exec, s[48:49]
	v_cmp_lt_u32_e64 s[46:47], v33, v96
	s_and_saveexec_b64 s[52:53], s[46:47]
	s_cbranch_execnz .LBB2083_491
.LBB2083_455:                           ;   in Loop: Header=BB2083_402 Depth=2
	s_or_b64 exec, exec, s[52:53]
	v_cmp_lt_u32_e64 s[48:49], v34, v96
	s_and_saveexec_b64 s[60:61], s[48:49]
	s_cbranch_execz .LBB2083_457
.LBB2083_456:                           ;   in Loop: Header=BB2083_402 Depth=2
	ds_read_u16 v21, v47 offset:4608
	v_mov_b32_e32 v22, v3
	v_mov_b32_e32 v99, s67
	s_waitcnt lgkmcnt(0)
	v_cmp_ne_u16_e64 s[52:53], s62, v21
	v_cndmask_b32_e64 v97, v65, v21, s[52:53]
	v_lshrrev_b32_sdwa v97, s77, v97 dst_sel:DWORD dst_unused:UNUSED_PAD src0_sel:DWORD src1_sel:WORD_0
	v_and_b32_e32 v97, s70, v97
	v_lshlrev_b32_e32 v97, 2, v97
	ds_read_b32 v97, v97
	v_cmp_lt_i16_e64 s[52:53], -1, v21
	v_cndmask_b32_e64 v103, v65, -1, s[52:53]
	v_xor_b32_e32 v103, v103, v21
	s_waitcnt lgkmcnt(0)
	v_add_u32_e32 v21, v97, v34
	v_lshlrev_b64 v[21:22], 1, v[21:22]
	v_add_co_u32_e64 v21, s[52:53], s66, v21
	v_addc_co_u32_e64 v22, s[52:53], v99, v22, s[52:53]
	global_store_short v[21:22], v103, off
.LBB2083_457:                           ;   in Loop: Header=BB2083_402 Depth=2
	s_or_b64 exec, exec, s[60:61]
	s_lshl_b64 s[52:53], s[58:59], 3
	v_mov_b32_e32 v22, s53
	v_add_co_u32_e64 v21, s[52:53], s52, v83
	v_addc_co_u32_e64 v22, s[52:53], v84, v22, s[52:53]
	v_cmp_lt_u32_e64 s[52:53], v73, v96
	s_and_saveexec_b64 s[60:61], s[52:53]
	s_xor_b64 s[52:53], exec, s[60:61]
	s_cbranch_execnz .LBB2083_492
; %bb.458:                              ;   in Loop: Header=BB2083_402 Depth=2
	s_or_b64 exec, exec, s[52:53]
	v_cmp_lt_u32_e64 s[52:53], v74, v96
	s_and_saveexec_b64 s[60:61], s[52:53]
	s_cbranch_execnz .LBB2083_493
.LBB2083_459:                           ;   in Loop: Header=BB2083_402 Depth=2
	s_or_b64 exec, exec, s[60:61]
	v_cmp_lt_u32_e64 s[52:53], v75, v96
	s_and_saveexec_b64 s[60:61], s[52:53]
	s_cbranch_execnz .LBB2083_494
.LBB2083_460:                           ;   in Loop: Header=BB2083_402 Depth=2
	s_or_b64 exec, exec, s[60:61]
	v_cmp_lt_u32_e64 s[52:53], v76, v96
	s_and_saveexec_b64 s[60:61], s[52:53]
	s_cbranch_execnz .LBB2083_495
.LBB2083_461:                           ;   in Loop: Header=BB2083_402 Depth=2
	s_or_b64 exec, exec, s[60:61]
	v_cmp_lt_u32_e64 s[52:53], v77, v96
	s_and_saveexec_b64 s[60:61], s[52:53]
	s_cbranch_execnz .LBB2083_496
.LBB2083_462:                           ;   in Loop: Header=BB2083_402 Depth=2
	s_or_b64 exec, exec, s[60:61]
	v_cmp_lt_u32_e64 s[52:53], v78, v96
	s_and_saveexec_b64 s[60:61], s[52:53]
	s_cbranch_execnz .LBB2083_497
.LBB2083_463:                           ;   in Loop: Header=BB2083_402 Depth=2
	s_or_b64 exec, exec, s[60:61]
	v_cmp_lt_u32_e64 s[52:53], v79, v96
	s_and_saveexec_b64 s[60:61], s[52:53]
	s_cbranch_execnz .LBB2083_498
.LBB2083_464:                           ;   in Loop: Header=BB2083_402 Depth=2
	s_or_b64 exec, exec, s[60:61]
	v_cmp_lt_u32_e64 s[52:53], v80, v96
	s_and_saveexec_b64 s[60:61], s[52:53]
	s_cbranch_execnz .LBB2083_499
.LBB2083_465:                           ;   in Loop: Header=BB2083_402 Depth=2
	s_or_b64 exec, exec, s[60:61]
	s_and_saveexec_b64 s[60:61], vcc
	s_cbranch_execnz .LBB2083_500
.LBB2083_466:                           ;   in Loop: Header=BB2083_402 Depth=2
	s_or_b64 exec, exec, s[60:61]
	s_and_saveexec_b64 s[60:61], s[36:37]
	s_cbranch_execnz .LBB2083_501
.LBB2083_467:                           ;   in Loop: Header=BB2083_402 Depth=2
	s_or_b64 exec, exec, s[60:61]
	s_and_saveexec_b64 s[60:61], s[38:39]
	s_cbranch_execnz .LBB2083_502
.LBB2083_468:                           ;   in Loop: Header=BB2083_402 Depth=2
	s_or_b64 exec, exec, s[60:61]
	s_and_saveexec_b64 s[60:61], s[40:41]
	s_cbranch_execnz .LBB2083_503
.LBB2083_469:                           ;   in Loop: Header=BB2083_402 Depth=2
	s_or_b64 exec, exec, s[60:61]
	s_and_saveexec_b64 s[60:61], s[42:43]
	s_cbranch_execnz .LBB2083_504
.LBB2083_470:                           ;   in Loop: Header=BB2083_402 Depth=2
	s_or_b64 exec, exec, s[60:61]
	s_and_saveexec_b64 s[60:61], s[44:45]
	s_cbranch_execnz .LBB2083_505
.LBB2083_471:                           ;   in Loop: Header=BB2083_402 Depth=2
	s_or_b64 exec, exec, s[60:61]
	s_and_saveexec_b64 s[60:61], s[46:47]
	s_cbranch_execnz .LBB2083_506
.LBB2083_472:                           ;   in Loop: Header=BB2083_402 Depth=2
	s_or_b64 exec, exec, s[60:61]
	s_and_saveexec_b64 s[60:61], s[48:49]
	s_cbranch_execz .LBB2083_474
.LBB2083_473:                           ;   in Loop: Header=BB2083_402 Depth=2
	ds_read_u16 v21, v47 offset:4608
	s_waitcnt lgkmcnt(0)
	v_cmp_ne_u16_e64 s[52:53], s62, v21
	v_cndmask_b32_e64 v21, v65, v21, s[52:53]
	v_lshrrev_b32_sdwa v21, s77, v21 dst_sel:DWORD dst_unused:UNUSED_PAD src0_sel:DWORD src1_sel:WORD_0
	v_and_b32_e32 v87, s70, v21
.LBB2083_474:                           ;   in Loop: Header=BB2083_402 Depth=2
	s_or_b64 exec, exec, s[60:61]
	v_lshlrev_b32_e32 v21, 3, v108
	s_waitcnt vmcnt(0)
	s_barrier
	ds_write_b64 v21, v[19:20] offset:1024
	v_lshlrev_b32_e32 v21, 3, v105
	ds_write_b64 v21, v[17:18] offset:1024
	v_lshlrev_b32_e32 v21, 3, v102
	;; [unrolled: 2-line block ×7, first 2 shown]
	ds_write_b64 v21, v[5:6] offset:1024
	s_waitcnt lgkmcnt(0)
	s_barrier
	s_and_saveexec_b64 s[52:53], vcc
	s_cbranch_execnz .LBB2083_507
; %bb.475:                              ;   in Loop: Header=BB2083_402 Depth=2
	s_or_b64 exec, exec, s[52:53]
	s_and_saveexec_b64 s[52:53], s[36:37]
	s_cbranch_execnz .LBB2083_508
.LBB2083_476:                           ;   in Loop: Header=BB2083_402 Depth=2
	s_or_b64 exec, exec, s[52:53]
	s_and_saveexec_b64 s[36:37], s[38:39]
	s_cbranch_execnz .LBB2083_509
.LBB2083_477:                           ;   in Loop: Header=BB2083_402 Depth=2
	s_or_b64 exec, exec, s[36:37]
	s_and_saveexec_b64 s[36:37], s[40:41]
	s_cbranch_execnz .LBB2083_510
.LBB2083_478:                           ;   in Loop: Header=BB2083_402 Depth=2
	s_or_b64 exec, exec, s[36:37]
	s_and_saveexec_b64 s[36:37], s[42:43]
	s_cbranch_execnz .LBB2083_511
.LBB2083_479:                           ;   in Loop: Header=BB2083_402 Depth=2
	s_or_b64 exec, exec, s[36:37]
	s_and_saveexec_b64 s[36:37], s[44:45]
	s_cbranch_execnz .LBB2083_512
.LBB2083_480:                           ;   in Loop: Header=BB2083_402 Depth=2
	s_or_b64 exec, exec, s[36:37]
	s_and_saveexec_b64 s[36:37], s[46:47]
	s_cbranch_execnz .LBB2083_513
.LBB2083_481:                           ;   in Loop: Header=BB2083_402 Depth=2
	s_or_b64 exec, exec, s[36:37]
	s_and_saveexec_b64 s[36:37], s[48:49]
	s_cbranch_execz .LBB2083_483
.LBB2083_482:                           ;   in Loop: Header=BB2083_402 Depth=2
	v_lshlrev_b32_e32 v21, 2, v87
	ds_read_b32 v23, v21
	v_add_u32_e32 v21, v47, v48
	ds_read_b64 v[21:22], v21 offset:15360
	v_mov_b32_e32 v24, v3
	v_mov_b32_e32 v96, s73
	s_waitcnt lgkmcnt(1)
	v_add_u32_e32 v23, v23, v34
	v_lshlrev_b64 v[23:24], 3, v[23:24]
	v_add_co_u32_e32 v23, vcc, s72, v23
	v_addc_co_u32_e32 v24, vcc, v96, v24, vcc
	s_waitcnt lgkmcnt(0)
	global_store_dwordx2 v[23:24], v[21:22], off
.LBB2083_483:                           ;   in Loop: Header=BB2083_402 Depth=2
	s_or_b64 exec, exec, s[36:37]
	s_waitcnt vmcnt(0)
	s_barrier
	s_and_saveexec_b64 s[36:37], s[4:5]
	s_cbranch_execz .LBB2083_401
; %bb.484:                              ;   in Loop: Header=BB2083_402 Depth=2
	ds_read_b32 v21, v25
	s_waitcnt lgkmcnt(0)
	v_add_u32_e32 v4, v21, v4
	ds_write_b32 v25, v4
	s_branch .LBB2083_401
.LBB2083_485:                           ;   in Loop: Header=BB2083_402 Depth=2
	ds_read_u16 v21, v47 offset:1024
	v_mov_b32_e32 v22, v3
	v_mov_b32_e32 v99, s67
	s_waitcnt lgkmcnt(0)
	v_cmp_ne_u16_e64 s[36:37], s62, v21
	v_cndmask_b32_e64 v97, v65, v21, s[36:37]
	v_lshrrev_b32_sdwa v97, s77, v97 dst_sel:DWORD dst_unused:UNUSED_PAD src0_sel:DWORD src1_sel:WORD_0
	v_and_b32_e32 v97, s70, v97
	v_lshlrev_b32_e32 v97, 2, v97
	ds_read_b32 v97, v97
	v_cmp_lt_i16_e64 s[36:37], -1, v21
	v_cndmask_b32_e64 v103, v65, -1, s[36:37]
	v_xor_b32_e32 v103, v103, v21
	s_waitcnt lgkmcnt(0)
	v_add_u32_e32 v21, v97, v0
	v_lshlrev_b64 v[21:22], 1, v[21:22]
	v_add_co_u32_e64 v21, s[36:37], s66, v21
	v_addc_co_u32_e64 v22, s[36:37], v99, v22, s[36:37]
	global_store_short v[21:22], v103, off
	s_or_b64 exec, exec, s[38:39]
	v_cmp_lt_u32_e64 s[36:37], v26, v96
	s_and_saveexec_b64 s[40:41], s[36:37]
	s_cbranch_execz .LBB2083_450
.LBB2083_486:                           ;   in Loop: Header=BB2083_402 Depth=2
	ds_read_u16 v21, v47 offset:1536
	v_mov_b32_e32 v22, v3
	v_mov_b32_e32 v99, s67
	s_waitcnt lgkmcnt(0)
	v_cmp_ne_u16_e64 s[38:39], s62, v21
	v_cndmask_b32_e64 v97, v65, v21, s[38:39]
	v_lshrrev_b32_sdwa v97, s77, v97 dst_sel:DWORD dst_unused:UNUSED_PAD src0_sel:DWORD src1_sel:WORD_0
	v_and_b32_e32 v97, s70, v97
	v_lshlrev_b32_e32 v97, 2, v97
	ds_read_b32 v97, v97
	v_cmp_lt_i16_e64 s[38:39], -1, v21
	v_cndmask_b32_e64 v103, v65, -1, s[38:39]
	v_xor_b32_e32 v103, v103, v21
	s_waitcnt lgkmcnt(0)
	v_add_u32_e32 v21, v97, v26
	v_lshlrev_b64 v[21:22], 1, v[21:22]
	v_add_co_u32_e64 v21, s[38:39], s66, v21
	v_addc_co_u32_e64 v22, s[38:39], v99, v22, s[38:39]
	global_store_short v[21:22], v103, off
	s_or_b64 exec, exec, s[40:41]
	v_cmp_lt_u32_e64 s[38:39], v27, v96
	s_and_saveexec_b64 s[42:43], s[38:39]
	s_cbranch_execz .LBB2083_451
.LBB2083_487:                           ;   in Loop: Header=BB2083_402 Depth=2
	ds_read_u16 v21, v47 offset:2048
	v_mov_b32_e32 v22, v3
	v_mov_b32_e32 v99, s67
	s_waitcnt lgkmcnt(0)
	v_cmp_ne_u16_e64 s[40:41], s62, v21
	v_cndmask_b32_e64 v97, v65, v21, s[40:41]
	v_lshrrev_b32_sdwa v97, s77, v97 dst_sel:DWORD dst_unused:UNUSED_PAD src0_sel:DWORD src1_sel:WORD_0
	v_and_b32_e32 v97, s70, v97
	v_lshlrev_b32_e32 v97, 2, v97
	ds_read_b32 v97, v97
	v_cmp_lt_i16_e64 s[40:41], -1, v21
	v_cndmask_b32_e64 v103, v65, -1, s[40:41]
	v_xor_b32_e32 v103, v103, v21
	s_waitcnt lgkmcnt(0)
	v_add_u32_e32 v21, v97, v27
	v_lshlrev_b64 v[21:22], 1, v[21:22]
	v_add_co_u32_e64 v21, s[40:41], s66, v21
	v_addc_co_u32_e64 v22, s[40:41], v99, v22, s[40:41]
	global_store_short v[21:22], v103, off
	s_or_b64 exec, exec, s[42:43]
	v_cmp_lt_u32_e64 s[40:41], v28, v96
	s_and_saveexec_b64 s[44:45], s[40:41]
	s_cbranch_execz .LBB2083_452
.LBB2083_488:                           ;   in Loop: Header=BB2083_402 Depth=2
	ds_read_u16 v21, v47 offset:2560
	v_mov_b32_e32 v22, v3
	v_mov_b32_e32 v99, s67
	s_waitcnt lgkmcnt(0)
	v_cmp_ne_u16_e64 s[42:43], s62, v21
	v_cndmask_b32_e64 v97, v65, v21, s[42:43]
	v_lshrrev_b32_sdwa v97, s77, v97 dst_sel:DWORD dst_unused:UNUSED_PAD src0_sel:DWORD src1_sel:WORD_0
	v_and_b32_e32 v97, s70, v97
	v_lshlrev_b32_e32 v97, 2, v97
	ds_read_b32 v97, v97
	v_cmp_lt_i16_e64 s[42:43], -1, v21
	v_cndmask_b32_e64 v103, v65, -1, s[42:43]
	v_xor_b32_e32 v103, v103, v21
	s_waitcnt lgkmcnt(0)
	v_add_u32_e32 v21, v97, v28
	v_lshlrev_b64 v[21:22], 1, v[21:22]
	v_add_co_u32_e64 v21, s[42:43], s66, v21
	v_addc_co_u32_e64 v22, s[42:43], v99, v22, s[42:43]
	global_store_short v[21:22], v103, off
	s_or_b64 exec, exec, s[44:45]
	v_cmp_lt_u32_e64 s[42:43], v31, v96
	s_and_saveexec_b64 s[46:47], s[42:43]
	s_cbranch_execz .LBB2083_453
.LBB2083_489:                           ;   in Loop: Header=BB2083_402 Depth=2
	ds_read_u16 v21, v47 offset:3072
	v_mov_b32_e32 v22, v3
	v_mov_b32_e32 v99, s67
	s_waitcnt lgkmcnt(0)
	v_cmp_ne_u16_e64 s[44:45], s62, v21
	v_cndmask_b32_e64 v97, v65, v21, s[44:45]
	v_lshrrev_b32_sdwa v97, s77, v97 dst_sel:DWORD dst_unused:UNUSED_PAD src0_sel:DWORD src1_sel:WORD_0
	v_and_b32_e32 v97, s70, v97
	v_lshlrev_b32_e32 v97, 2, v97
	ds_read_b32 v97, v97
	v_cmp_lt_i16_e64 s[44:45], -1, v21
	v_cndmask_b32_e64 v103, v65, -1, s[44:45]
	v_xor_b32_e32 v103, v103, v21
	s_waitcnt lgkmcnt(0)
	v_add_u32_e32 v21, v97, v31
	v_lshlrev_b64 v[21:22], 1, v[21:22]
	v_add_co_u32_e64 v21, s[44:45], s66, v21
	v_addc_co_u32_e64 v22, s[44:45], v99, v22, s[44:45]
	global_store_short v[21:22], v103, off
	s_or_b64 exec, exec, s[46:47]
	v_cmp_lt_u32_e64 s[44:45], v32, v96
	s_and_saveexec_b64 s[48:49], s[44:45]
	s_cbranch_execz .LBB2083_454
.LBB2083_490:                           ;   in Loop: Header=BB2083_402 Depth=2
	ds_read_u16 v21, v47 offset:3584
	v_mov_b32_e32 v22, v3
	v_mov_b32_e32 v99, s67
	s_waitcnt lgkmcnt(0)
	v_cmp_ne_u16_e64 s[46:47], s62, v21
	v_cndmask_b32_e64 v97, v65, v21, s[46:47]
	v_lshrrev_b32_sdwa v97, s77, v97 dst_sel:DWORD dst_unused:UNUSED_PAD src0_sel:DWORD src1_sel:WORD_0
	v_and_b32_e32 v97, s70, v97
	v_lshlrev_b32_e32 v97, 2, v97
	ds_read_b32 v97, v97
	v_cmp_lt_i16_e64 s[46:47], -1, v21
	v_cndmask_b32_e64 v103, v65, -1, s[46:47]
	v_xor_b32_e32 v103, v103, v21
	s_waitcnt lgkmcnt(0)
	v_add_u32_e32 v21, v97, v32
	v_lshlrev_b64 v[21:22], 1, v[21:22]
	v_add_co_u32_e64 v21, s[46:47], s66, v21
	v_addc_co_u32_e64 v22, s[46:47], v99, v22, s[46:47]
	global_store_short v[21:22], v103, off
	s_or_b64 exec, exec, s[48:49]
	v_cmp_lt_u32_e64 s[46:47], v33, v96
	s_and_saveexec_b64 s[52:53], s[46:47]
	s_cbranch_execz .LBB2083_455
.LBB2083_491:                           ;   in Loop: Header=BB2083_402 Depth=2
	ds_read_u16 v21, v47 offset:4096
	v_mov_b32_e32 v22, v3
	v_mov_b32_e32 v99, s67
	s_waitcnt lgkmcnt(0)
	v_cmp_ne_u16_e64 s[48:49], s62, v21
	v_cndmask_b32_e64 v97, v65, v21, s[48:49]
	v_lshrrev_b32_sdwa v97, s77, v97 dst_sel:DWORD dst_unused:UNUSED_PAD src0_sel:DWORD src1_sel:WORD_0
	v_and_b32_e32 v97, s70, v97
	v_lshlrev_b32_e32 v97, 2, v97
	ds_read_b32 v97, v97
	v_cmp_lt_i16_e64 s[48:49], -1, v21
	v_cndmask_b32_e64 v103, v65, -1, s[48:49]
	v_xor_b32_e32 v103, v103, v21
	s_waitcnt lgkmcnt(0)
	v_add_u32_e32 v21, v97, v33
	v_lshlrev_b64 v[21:22], 1, v[21:22]
	v_add_co_u32_e64 v21, s[48:49], s66, v21
	v_addc_co_u32_e64 v22, s[48:49], v99, v22, s[48:49]
	global_store_short v[21:22], v103, off
	s_or_b64 exec, exec, s[52:53]
	v_cmp_lt_u32_e64 s[48:49], v34, v96
	s_and_saveexec_b64 s[60:61], s[48:49]
	s_cbranch_execnz .LBB2083_456
	s_branch .LBB2083_457
.LBB2083_492:                           ;   in Loop: Header=BB2083_402 Depth=2
	global_load_dwordx2 v[19:20], v[21:22], off
	s_or_b64 exec, exec, s[52:53]
	v_cmp_lt_u32_e64 s[52:53], v74, v96
	s_and_saveexec_b64 s[60:61], s[52:53]
	s_cbranch_execz .LBB2083_459
.LBB2083_493:                           ;   in Loop: Header=BB2083_402 Depth=2
	global_load_dwordx2 v[17:18], v[21:22], off offset:512
	s_or_b64 exec, exec, s[60:61]
	v_cmp_lt_u32_e64 s[52:53], v75, v96
	s_and_saveexec_b64 s[60:61], s[52:53]
	s_cbranch_execz .LBB2083_460
.LBB2083_494:                           ;   in Loop: Header=BB2083_402 Depth=2
	global_load_dwordx2 v[15:16], v[21:22], off offset:1024
	s_or_b64 exec, exec, s[60:61]
	v_cmp_lt_u32_e64 s[52:53], v76, v96
	s_and_saveexec_b64 s[60:61], s[52:53]
	s_cbranch_execz .LBB2083_461
.LBB2083_495:                           ;   in Loop: Header=BB2083_402 Depth=2
	global_load_dwordx2 v[13:14], v[21:22], off offset:1536
	s_or_b64 exec, exec, s[60:61]
	v_cmp_lt_u32_e64 s[52:53], v77, v96
	s_and_saveexec_b64 s[60:61], s[52:53]
	s_cbranch_execz .LBB2083_462
.LBB2083_496:                           ;   in Loop: Header=BB2083_402 Depth=2
	global_load_dwordx2 v[11:12], v[21:22], off offset:2048
	s_or_b64 exec, exec, s[60:61]
	v_cmp_lt_u32_e64 s[52:53], v78, v96
	s_and_saveexec_b64 s[60:61], s[52:53]
	s_cbranch_execz .LBB2083_463
.LBB2083_497:                           ;   in Loop: Header=BB2083_402 Depth=2
	global_load_dwordx2 v[9:10], v[21:22], off offset:2560
	s_or_b64 exec, exec, s[60:61]
	v_cmp_lt_u32_e64 s[52:53], v79, v96
	s_and_saveexec_b64 s[60:61], s[52:53]
	s_cbranch_execz .LBB2083_464
.LBB2083_498:                           ;   in Loop: Header=BB2083_402 Depth=2
	global_load_dwordx2 v[7:8], v[21:22], off offset:3072
	s_or_b64 exec, exec, s[60:61]
	v_cmp_lt_u32_e64 s[52:53], v80, v96
	s_and_saveexec_b64 s[60:61], s[52:53]
	s_cbranch_execz .LBB2083_465
.LBB2083_499:                           ;   in Loop: Header=BB2083_402 Depth=2
	global_load_dwordx2 v[5:6], v[21:22], off offset:3584
	s_or_b64 exec, exec, s[60:61]
	s_and_saveexec_b64 s[60:61], vcc
	s_cbranch_execz .LBB2083_466
.LBB2083_500:                           ;   in Loop: Header=BB2083_402 Depth=2
	ds_read_u16 v21, v47 offset:1024
	s_waitcnt lgkmcnt(0)
	v_cmp_ne_u16_e64 s[52:53], s62, v21
	v_cndmask_b32_e64 v21, v65, v21, s[52:53]
	v_lshrrev_b32_sdwa v21, s77, v21 dst_sel:DWORD dst_unused:UNUSED_PAD src0_sel:DWORD src1_sel:WORD_0
	v_and_b32_e32 v95, s70, v21
	s_or_b64 exec, exec, s[60:61]
	s_and_saveexec_b64 s[60:61], s[36:37]
	s_cbranch_execz .LBB2083_467
.LBB2083_501:                           ;   in Loop: Header=BB2083_402 Depth=2
	ds_read_u16 v21, v47 offset:1536
	s_waitcnt lgkmcnt(0)
	v_cmp_ne_u16_e64 s[52:53], s62, v21
	v_cndmask_b32_e64 v21, v65, v21, s[52:53]
	v_lshrrev_b32_sdwa v21, s77, v21 dst_sel:DWORD dst_unused:UNUSED_PAD src0_sel:DWORD src1_sel:WORD_0
	v_and_b32_e32 v94, s70, v21
	s_or_b64 exec, exec, s[60:61]
	s_and_saveexec_b64 s[60:61], s[38:39]
	s_cbranch_execz .LBB2083_468
.LBB2083_502:                           ;   in Loop: Header=BB2083_402 Depth=2
	ds_read_u16 v21, v47 offset:2048
	s_waitcnt lgkmcnt(0)
	v_cmp_ne_u16_e64 s[52:53], s62, v21
	v_cndmask_b32_e64 v21, v65, v21, s[52:53]
	v_lshrrev_b32_sdwa v21, s77, v21 dst_sel:DWORD dst_unused:UNUSED_PAD src0_sel:DWORD src1_sel:WORD_0
	v_and_b32_e32 v93, s70, v21
	s_or_b64 exec, exec, s[60:61]
	s_and_saveexec_b64 s[60:61], s[40:41]
	s_cbranch_execz .LBB2083_469
.LBB2083_503:                           ;   in Loop: Header=BB2083_402 Depth=2
	ds_read_u16 v21, v47 offset:2560
	s_waitcnt lgkmcnt(0)
	v_cmp_ne_u16_e64 s[52:53], s62, v21
	v_cndmask_b32_e64 v21, v65, v21, s[52:53]
	v_lshrrev_b32_sdwa v21, s77, v21 dst_sel:DWORD dst_unused:UNUSED_PAD src0_sel:DWORD src1_sel:WORD_0
	v_and_b32_e32 v92, s70, v21
	s_or_b64 exec, exec, s[60:61]
	s_and_saveexec_b64 s[60:61], s[42:43]
	s_cbranch_execz .LBB2083_470
.LBB2083_504:                           ;   in Loop: Header=BB2083_402 Depth=2
	ds_read_u16 v21, v47 offset:3072
	s_waitcnt lgkmcnt(0)
	v_cmp_ne_u16_e64 s[52:53], s62, v21
	v_cndmask_b32_e64 v21, v65, v21, s[52:53]
	v_lshrrev_b32_sdwa v21, s77, v21 dst_sel:DWORD dst_unused:UNUSED_PAD src0_sel:DWORD src1_sel:WORD_0
	v_and_b32_e32 v90, s70, v21
	s_or_b64 exec, exec, s[60:61]
	s_and_saveexec_b64 s[60:61], s[44:45]
	s_cbranch_execz .LBB2083_471
.LBB2083_505:                           ;   in Loop: Header=BB2083_402 Depth=2
	ds_read_u16 v21, v47 offset:3584
	s_waitcnt lgkmcnt(0)
	v_cmp_ne_u16_e64 s[52:53], s62, v21
	v_cndmask_b32_e64 v21, v65, v21, s[52:53]
	v_lshrrev_b32_sdwa v21, s77, v21 dst_sel:DWORD dst_unused:UNUSED_PAD src0_sel:DWORD src1_sel:WORD_0
	v_and_b32_e32 v89, s70, v21
	s_or_b64 exec, exec, s[60:61]
	s_and_saveexec_b64 s[60:61], s[46:47]
	s_cbranch_execz .LBB2083_472
.LBB2083_506:                           ;   in Loop: Header=BB2083_402 Depth=2
	ds_read_u16 v21, v47 offset:4096
	s_waitcnt lgkmcnt(0)
	v_cmp_ne_u16_e64 s[52:53], s62, v21
	v_cndmask_b32_e64 v21, v65, v21, s[52:53]
	v_lshrrev_b32_sdwa v21, s77, v21 dst_sel:DWORD dst_unused:UNUSED_PAD src0_sel:DWORD src1_sel:WORD_0
	v_and_b32_e32 v88, s70, v21
	s_or_b64 exec, exec, s[60:61]
	s_and_saveexec_b64 s[60:61], s[48:49]
	s_cbranch_execnz .LBB2083_473
	s_branch .LBB2083_474
.LBB2083_507:                           ;   in Loop: Header=BB2083_402 Depth=2
	v_lshlrev_b32_e32 v21, 2, v95
	ds_read_b32 v23, v21
	v_add_u32_e32 v21, v47, v48
	ds_read_b64 v[21:22], v21 offset:1024
	v_mov_b32_e32 v24, v3
	v_mov_b32_e32 v96, s73
	s_waitcnt lgkmcnt(1)
	v_add_u32_e32 v23, v23, v0
	v_lshlrev_b64 v[23:24], 3, v[23:24]
	v_add_co_u32_e32 v23, vcc, s72, v23
	v_addc_co_u32_e32 v24, vcc, v96, v24, vcc
	s_waitcnt lgkmcnt(0)
	global_store_dwordx2 v[23:24], v[21:22], off
	s_or_b64 exec, exec, s[52:53]
	s_and_saveexec_b64 s[52:53], s[36:37]
	s_cbranch_execz .LBB2083_476
.LBB2083_508:                           ;   in Loop: Header=BB2083_402 Depth=2
	v_lshlrev_b32_e32 v21, 2, v94
	ds_read_b32 v23, v21
	v_add_u32_e32 v21, v47, v48
	ds_read_b64 v[21:22], v21 offset:3072
	v_mov_b32_e32 v24, v3
	v_mov_b32_e32 v96, s73
	s_waitcnt lgkmcnt(1)
	v_add_u32_e32 v23, v23, v26
	v_lshlrev_b64 v[23:24], 3, v[23:24]
	v_add_co_u32_e32 v23, vcc, s72, v23
	v_addc_co_u32_e32 v24, vcc, v96, v24, vcc
	s_waitcnt lgkmcnt(0)
	global_store_dwordx2 v[23:24], v[21:22], off
	s_or_b64 exec, exec, s[52:53]
	s_and_saveexec_b64 s[36:37], s[38:39]
	s_cbranch_execz .LBB2083_477
.LBB2083_509:                           ;   in Loop: Header=BB2083_402 Depth=2
	v_lshlrev_b32_e32 v21, 2, v93
	ds_read_b32 v23, v21
	v_add_u32_e32 v21, v47, v48
	ds_read_b64 v[21:22], v21 offset:5120
	v_mov_b32_e32 v24, v3
	v_mov_b32_e32 v96, s73
	s_waitcnt lgkmcnt(1)
	v_add_u32_e32 v23, v23, v27
	v_lshlrev_b64 v[23:24], 3, v[23:24]
	v_add_co_u32_e32 v23, vcc, s72, v23
	v_addc_co_u32_e32 v24, vcc, v96, v24, vcc
	s_waitcnt lgkmcnt(0)
	global_store_dwordx2 v[23:24], v[21:22], off
	s_or_b64 exec, exec, s[36:37]
	s_and_saveexec_b64 s[36:37], s[40:41]
	s_cbranch_execz .LBB2083_478
.LBB2083_510:                           ;   in Loop: Header=BB2083_402 Depth=2
	v_lshlrev_b32_e32 v21, 2, v92
	ds_read_b32 v23, v21
	v_add_u32_e32 v21, v47, v48
	ds_read_b64 v[21:22], v21 offset:7168
	v_mov_b32_e32 v24, v3
	v_mov_b32_e32 v96, s73
	s_waitcnt lgkmcnt(1)
	v_add_u32_e32 v23, v23, v28
	v_lshlrev_b64 v[23:24], 3, v[23:24]
	v_add_co_u32_e32 v23, vcc, s72, v23
	v_addc_co_u32_e32 v24, vcc, v96, v24, vcc
	s_waitcnt lgkmcnt(0)
	global_store_dwordx2 v[23:24], v[21:22], off
	s_or_b64 exec, exec, s[36:37]
	s_and_saveexec_b64 s[36:37], s[42:43]
	s_cbranch_execz .LBB2083_479
.LBB2083_511:                           ;   in Loop: Header=BB2083_402 Depth=2
	v_lshlrev_b32_e32 v21, 2, v90
	ds_read_b32 v23, v21
	v_add_u32_e32 v21, v47, v48
	ds_read_b64 v[21:22], v21 offset:9216
	v_mov_b32_e32 v24, v3
	v_mov_b32_e32 v96, s73
	s_waitcnt lgkmcnt(1)
	v_add_u32_e32 v23, v23, v31
	v_lshlrev_b64 v[23:24], 3, v[23:24]
	v_add_co_u32_e32 v23, vcc, s72, v23
	v_addc_co_u32_e32 v24, vcc, v96, v24, vcc
	s_waitcnt lgkmcnt(0)
	global_store_dwordx2 v[23:24], v[21:22], off
	s_or_b64 exec, exec, s[36:37]
	s_and_saveexec_b64 s[36:37], s[44:45]
	s_cbranch_execz .LBB2083_480
.LBB2083_512:                           ;   in Loop: Header=BB2083_402 Depth=2
	v_lshlrev_b32_e32 v21, 2, v89
	ds_read_b32 v23, v21
	v_add_u32_e32 v21, v47, v48
	ds_read_b64 v[21:22], v21 offset:11264
	v_mov_b32_e32 v24, v3
	v_mov_b32_e32 v96, s73
	s_waitcnt lgkmcnt(1)
	v_add_u32_e32 v23, v23, v32
	v_lshlrev_b64 v[23:24], 3, v[23:24]
	v_add_co_u32_e32 v23, vcc, s72, v23
	v_addc_co_u32_e32 v24, vcc, v96, v24, vcc
	s_waitcnt lgkmcnt(0)
	global_store_dwordx2 v[23:24], v[21:22], off
	s_or_b64 exec, exec, s[36:37]
	s_and_saveexec_b64 s[36:37], s[46:47]
	s_cbranch_execz .LBB2083_481
.LBB2083_513:                           ;   in Loop: Header=BB2083_402 Depth=2
	v_lshlrev_b32_e32 v21, 2, v88
	ds_read_b32 v23, v21
	v_add_u32_e32 v21, v47, v48
	ds_read_b64 v[21:22], v21 offset:13312
	v_mov_b32_e32 v24, v3
	v_mov_b32_e32 v96, s73
	s_waitcnt lgkmcnt(1)
	v_add_u32_e32 v23, v23, v33
	v_lshlrev_b64 v[23:24], 3, v[23:24]
	v_add_co_u32_e32 v23, vcc, s72, v23
	v_addc_co_u32_e32 v24, vcc, v96, v24, vcc
	s_waitcnt lgkmcnt(0)
	global_store_dwordx2 v[23:24], v[21:22], off
	s_or_b64 exec, exec, s[36:37]
	s_and_saveexec_b64 s[36:37], s[48:49]
	s_cbranch_execnz .LBB2083_482
	s_branch .LBB2083_483
.LBB2083_514:                           ;   in Loop: Header=BB2083_20 Depth=1
	s_waitcnt lgkmcnt(0)
	s_barrier
	s_mov_b64 s[16:17], 0
.LBB2083_515:                           ;   in Loop: Header=BB2083_20 Depth=1
	s_and_b64 vcc, exec, s[16:17]
	s_cbranch_vccz .LBB2083_19
; %bb.516:                              ;   in Loop: Header=BB2083_20 Depth=1
	s_mov_b32 s20, s79
	s_mov_b32 s58, s51
	s_barrier
                                        ; implicit-def: $vgpr4
                                        ; implicit-def: $vgpr5
                                        ; implicit-def: $vgpr6
                                        ; implicit-def: $vgpr7
                                        ; implicit-def: $vgpr8
                                        ; implicit-def: $vgpr9
                                        ; implicit-def: $vgpr10
                                        ; implicit-def: $vgpr11
	s_branch .LBB2083_518
.LBB2083_517:                           ;   in Loop: Header=BB2083_518 Depth=2
	s_or_b64 exec, exec, s[16:17]
	s_addk_i32 s20, 0xf800
	s_cmp_ge_u32 s21, s80
	s_mov_b32 s58, s21
	s_cbranch_scc1 .LBB2083_554
.LBB2083_518:                           ;   Parent Loop BB2083_20 Depth=1
                                        ; =>  This Inner Loop Header: Depth=2
	s_add_i32 s21, s58, 0x800
	s_cmp_gt_u32 s21, s80
	s_mov_b64 s[16:17], -1
                                        ; implicit-def: $vgpr12
                                        ; implicit-def: $vgpr13
                                        ; implicit-def: $vgpr14
                                        ; implicit-def: $vgpr15
                                        ; implicit-def: $vgpr16
                                        ; implicit-def: $vgpr17
                                        ; implicit-def: $vgpr18
                                        ; implicit-def: $vgpr19
	s_cbranch_scc1 .LBB2083_520
; %bb.519:                              ;   in Loop: Header=BB2083_518 Depth=2
	s_lshl_b64 s[16:17], s[58:59], 1
	v_mov_b32_e32 v12, s17
	v_add_co_u32_e32 v20, vcc, s16, v55
	v_addc_co_u32_e32 v21, vcc, v56, v12, vcc
	global_load_ushort v12, v[20:21], off
	global_load_ushort v13, v[20:21], off offset:512
	global_load_ushort v14, v[20:21], off offset:1024
	;; [unrolled: 1-line block ×7, first 2 shown]
	s_mov_b64 s[16:17], 0
.LBB2083_520:                           ;   in Loop: Header=BB2083_518 Depth=2
	s_andn2_b64 vcc, exec, s[16:17]
	s_movk_i32 s18, 0x800
	s_cbranch_vccnz .LBB2083_531
; %bb.521:                              ;   in Loop: Header=BB2083_518 Depth=2
	s_lshl_b64 s[16:17], s[58:59], 1
	s_add_u32 s16, s64, s16
	s_addc_u32 s17, s65, s17
	v_cmp_gt_u32_e32 vcc, s20, v0
	s_and_saveexec_b64 s[18:19], vcc
	s_cbranch_execnz .LBB2083_547
; %bb.522:                              ;   in Loop: Header=BB2083_518 Depth=2
	s_or_b64 exec, exec, s[18:19]
	v_cmp_gt_u32_e32 vcc, s20, v26
	s_and_saveexec_b64 s[18:19], vcc
	s_cbranch_execnz .LBB2083_548
.LBB2083_523:                           ;   in Loop: Header=BB2083_518 Depth=2
	s_or_b64 exec, exec, s[18:19]
	v_cmp_gt_u32_e32 vcc, s20, v27
	s_and_saveexec_b64 s[18:19], vcc
	s_cbranch_execnz .LBB2083_549
.LBB2083_524:                           ;   in Loop: Header=BB2083_518 Depth=2
	s_or_b64 exec, exec, s[18:19]
	v_cmp_gt_u32_e32 vcc, s20, v28
	s_and_saveexec_b64 s[18:19], vcc
	s_cbranch_execnz .LBB2083_550
.LBB2083_525:                           ;   in Loop: Header=BB2083_518 Depth=2
	s_or_b64 exec, exec, s[18:19]
	v_cmp_gt_u32_e32 vcc, s20, v31
	s_and_saveexec_b64 s[18:19], vcc
	s_cbranch_execnz .LBB2083_551
.LBB2083_526:                           ;   in Loop: Header=BB2083_518 Depth=2
	s_or_b64 exec, exec, s[18:19]
	v_cmp_gt_u32_e32 vcc, s20, v32
	s_and_saveexec_b64 s[18:19], vcc
	s_cbranch_execnz .LBB2083_552
.LBB2083_527:                           ;   in Loop: Header=BB2083_518 Depth=2
	s_or_b64 exec, exec, s[18:19]
	v_cmp_gt_u32_e32 vcc, s20, v33
	s_and_saveexec_b64 s[18:19], vcc
	s_cbranch_execnz .LBB2083_553
.LBB2083_528:                           ;   in Loop: Header=BB2083_518 Depth=2
	s_or_b64 exec, exec, s[18:19]
	v_cmp_gt_u32_e32 vcc, s20, v34
	s_and_saveexec_b64 s[18:19], vcc
	s_cbranch_execz .LBB2083_530
.LBB2083_529:                           ;   in Loop: Header=BB2083_518 Depth=2
	global_load_ushort v4, v64, s[16:17] offset:3584
.LBB2083_530:                           ;   in Loop: Header=BB2083_518 Depth=2
	s_or_b64 exec, exec, s[18:19]
	s_mov_b32 s18, s20
	s_waitcnt vmcnt(0)
	v_mov_b32_e32 v12, v11
	v_mov_b32_e32 v13, v10
	;; [unrolled: 1-line block ×8, first 2 shown]
.LBB2083_531:                           ;   in Loop: Header=BB2083_518 Depth=2
	s_waitcnt vmcnt(0)
	v_mov_b32_e32 v4, v19
	v_mov_b32_e32 v5, v18
	;; [unrolled: 1-line block ×8, first 2 shown]
	v_cmp_gt_u32_e32 vcc, s18, v0
	s_and_saveexec_b64 s[16:17], vcc
	s_cbranch_execnz .LBB2083_539
; %bb.532:                              ;   in Loop: Header=BB2083_518 Depth=2
	s_or_b64 exec, exec, s[16:17]
	v_cmp_gt_u32_e32 vcc, s18, v26
	s_and_saveexec_b64 s[16:17], vcc
	s_cbranch_execnz .LBB2083_540
.LBB2083_533:                           ;   in Loop: Header=BB2083_518 Depth=2
	s_or_b64 exec, exec, s[16:17]
	v_cmp_gt_u32_e32 vcc, s18, v27
	s_and_saveexec_b64 s[16:17], vcc
	s_cbranch_execnz .LBB2083_541
.LBB2083_534:                           ;   in Loop: Header=BB2083_518 Depth=2
	s_or_b64 exec, exec, s[16:17]
	v_cmp_gt_u32_e32 vcc, s18, v28
	s_and_saveexec_b64 s[16:17], vcc
	s_cbranch_execnz .LBB2083_542
.LBB2083_535:                           ;   in Loop: Header=BB2083_518 Depth=2
	s_or_b64 exec, exec, s[16:17]
	v_cmp_gt_u32_e32 vcc, s18, v31
	s_and_saveexec_b64 s[16:17], vcc
	s_cbranch_execnz .LBB2083_543
.LBB2083_536:                           ;   in Loop: Header=BB2083_518 Depth=2
	s_or_b64 exec, exec, s[16:17]
	v_cmp_gt_u32_e32 vcc, s18, v32
	s_and_saveexec_b64 s[16:17], vcc
	s_cbranch_execnz .LBB2083_544
.LBB2083_537:                           ;   in Loop: Header=BB2083_518 Depth=2
	s_or_b64 exec, exec, s[16:17]
	v_cmp_gt_u32_e32 vcc, s18, v33
	s_and_saveexec_b64 s[16:17], vcc
	s_cbranch_execnz .LBB2083_545
.LBB2083_538:                           ;   in Loop: Header=BB2083_518 Depth=2
	s_or_b64 exec, exec, s[16:17]
	v_cmp_gt_u32_e32 vcc, s18, v34
	s_and_saveexec_b64 s[16:17], vcc
	s_cbranch_execz .LBB2083_517
	s_branch .LBB2083_546
.LBB2083_539:                           ;   in Loop: Header=BB2083_518 Depth=2
	v_cmp_lt_i16_e32 vcc, -1, v11
	v_cndmask_b32_e32 v12, -1, v65, vcc
	v_xor_b32_e32 v12, v12, v11
	v_cmp_ne_u16_e32 vcc, s62, v12
	v_cndmask_b32_e32 v12, v65, v12, vcc
	v_lshrrev_b32_sdwa v12, s77, v12 dst_sel:DWORD dst_unused:UNUSED_PAD src0_sel:DWORD src1_sel:WORD_0
	v_and_b32_e32 v12, s70, v12
	v_lshl_or_b32 v12, v12, 4, v35
	ds_add_u32 v12, v61
	s_or_b64 exec, exec, s[16:17]
	v_cmp_gt_u32_e32 vcc, s18, v26
	s_and_saveexec_b64 s[16:17], vcc
	s_cbranch_execz .LBB2083_533
.LBB2083_540:                           ;   in Loop: Header=BB2083_518 Depth=2
	v_cmp_lt_i16_e32 vcc, -1, v10
	v_cndmask_b32_e32 v12, -1, v65, vcc
	v_xor_b32_e32 v12, v12, v10
	v_cmp_ne_u16_e32 vcc, s62, v12
	v_cndmask_b32_e32 v12, v65, v12, vcc
	v_lshrrev_b32_sdwa v12, s77, v12 dst_sel:DWORD dst_unused:UNUSED_PAD src0_sel:DWORD src1_sel:WORD_0
	v_and_b32_e32 v12, s70, v12
	v_lshl_or_b32 v12, v12, 4, v35
	ds_add_u32 v12, v61
	s_or_b64 exec, exec, s[16:17]
	v_cmp_gt_u32_e32 vcc, s18, v27
	s_and_saveexec_b64 s[16:17], vcc
	s_cbranch_execz .LBB2083_534
.LBB2083_541:                           ;   in Loop: Header=BB2083_518 Depth=2
	v_cmp_lt_i16_e32 vcc, -1, v9
	v_cndmask_b32_e32 v12, -1, v65, vcc
	v_xor_b32_e32 v12, v12, v9
	v_cmp_ne_u16_e32 vcc, s62, v12
	v_cndmask_b32_e32 v12, v65, v12, vcc
	v_lshrrev_b32_sdwa v12, s77, v12 dst_sel:DWORD dst_unused:UNUSED_PAD src0_sel:DWORD src1_sel:WORD_0
	v_and_b32_e32 v12, s70, v12
	v_lshl_or_b32 v12, v12, 4, v35
	ds_add_u32 v12, v61
	s_or_b64 exec, exec, s[16:17]
	v_cmp_gt_u32_e32 vcc, s18, v28
	s_and_saveexec_b64 s[16:17], vcc
	s_cbranch_execz .LBB2083_535
.LBB2083_542:                           ;   in Loop: Header=BB2083_518 Depth=2
	v_cmp_lt_i16_e32 vcc, -1, v8
	v_cndmask_b32_e32 v12, -1, v65, vcc
	v_xor_b32_e32 v12, v12, v8
	v_cmp_ne_u16_e32 vcc, s62, v12
	v_cndmask_b32_e32 v12, v65, v12, vcc
	v_lshrrev_b32_sdwa v12, s77, v12 dst_sel:DWORD dst_unused:UNUSED_PAD src0_sel:DWORD src1_sel:WORD_0
	v_and_b32_e32 v12, s70, v12
	v_lshl_or_b32 v12, v12, 4, v35
	ds_add_u32 v12, v61
	s_or_b64 exec, exec, s[16:17]
	v_cmp_gt_u32_e32 vcc, s18, v31
	s_and_saveexec_b64 s[16:17], vcc
	s_cbranch_execz .LBB2083_536
.LBB2083_543:                           ;   in Loop: Header=BB2083_518 Depth=2
	v_cmp_lt_i16_e32 vcc, -1, v7
	v_cndmask_b32_e32 v12, -1, v65, vcc
	v_xor_b32_e32 v12, v12, v7
	v_cmp_ne_u16_e32 vcc, s62, v12
	v_cndmask_b32_e32 v12, v65, v12, vcc
	v_lshrrev_b32_sdwa v12, s77, v12 dst_sel:DWORD dst_unused:UNUSED_PAD src0_sel:DWORD src1_sel:WORD_0
	v_and_b32_e32 v12, s70, v12
	v_lshl_or_b32 v12, v12, 4, v35
	ds_add_u32 v12, v61
	s_or_b64 exec, exec, s[16:17]
	v_cmp_gt_u32_e32 vcc, s18, v32
	s_and_saveexec_b64 s[16:17], vcc
	s_cbranch_execz .LBB2083_537
.LBB2083_544:                           ;   in Loop: Header=BB2083_518 Depth=2
	v_cmp_lt_i16_e32 vcc, -1, v6
	v_cndmask_b32_e32 v12, -1, v65, vcc
	v_xor_b32_e32 v12, v12, v6
	v_cmp_ne_u16_e32 vcc, s62, v12
	v_cndmask_b32_e32 v12, v65, v12, vcc
	v_lshrrev_b32_sdwa v12, s77, v12 dst_sel:DWORD dst_unused:UNUSED_PAD src0_sel:DWORD src1_sel:WORD_0
	v_and_b32_e32 v12, s70, v12
	v_lshl_or_b32 v12, v12, 4, v35
	ds_add_u32 v12, v61
	s_or_b64 exec, exec, s[16:17]
	v_cmp_gt_u32_e32 vcc, s18, v33
	s_and_saveexec_b64 s[16:17], vcc
	s_cbranch_execz .LBB2083_538
.LBB2083_545:                           ;   in Loop: Header=BB2083_518 Depth=2
	v_cmp_lt_i16_e32 vcc, -1, v5
	v_cndmask_b32_e32 v12, -1, v65, vcc
	v_xor_b32_e32 v12, v12, v5
	v_cmp_ne_u16_e32 vcc, s62, v12
	v_cndmask_b32_e32 v12, v65, v12, vcc
	v_lshrrev_b32_sdwa v12, s77, v12 dst_sel:DWORD dst_unused:UNUSED_PAD src0_sel:DWORD src1_sel:WORD_0
	v_and_b32_e32 v12, s70, v12
	v_lshl_or_b32 v12, v12, 4, v35
	ds_add_u32 v12, v61
	s_or_b64 exec, exec, s[16:17]
	v_cmp_gt_u32_e32 vcc, s18, v34
	s_and_saveexec_b64 s[16:17], vcc
	s_cbranch_execz .LBB2083_517
.LBB2083_546:                           ;   in Loop: Header=BB2083_518 Depth=2
	v_cmp_lt_i16_e32 vcc, -1, v4
	v_cndmask_b32_e32 v12, -1, v65, vcc
	v_xor_b32_e32 v12, v12, v4
	v_cmp_ne_u16_e32 vcc, s62, v12
	v_cndmask_b32_e32 v12, v65, v12, vcc
	v_lshrrev_b32_sdwa v12, s77, v12 dst_sel:DWORD dst_unused:UNUSED_PAD src0_sel:DWORD src1_sel:WORD_0
	v_and_b32_e32 v12, s70, v12
	v_lshl_or_b32 v12, v12, 4, v35
	ds_add_u32 v12, v61
	s_branch .LBB2083_517
.LBB2083_547:                           ;   in Loop: Header=BB2083_518 Depth=2
	global_load_ushort v11, v64, s[16:17]
	s_or_b64 exec, exec, s[18:19]
	v_cmp_gt_u32_e32 vcc, s20, v26
	s_and_saveexec_b64 s[18:19], vcc
	s_cbranch_execz .LBB2083_523
.LBB2083_548:                           ;   in Loop: Header=BB2083_518 Depth=2
	global_load_ushort v10, v64, s[16:17] offset:512
	s_or_b64 exec, exec, s[18:19]
	v_cmp_gt_u32_e32 vcc, s20, v27
	s_and_saveexec_b64 s[18:19], vcc
	s_cbranch_execz .LBB2083_524
.LBB2083_549:                           ;   in Loop: Header=BB2083_518 Depth=2
	global_load_ushort v9, v64, s[16:17] offset:1024
	s_or_b64 exec, exec, s[18:19]
	v_cmp_gt_u32_e32 vcc, s20, v28
	s_and_saveexec_b64 s[18:19], vcc
	s_cbranch_execz .LBB2083_525
.LBB2083_550:                           ;   in Loop: Header=BB2083_518 Depth=2
	global_load_ushort v8, v64, s[16:17] offset:1536
	s_or_b64 exec, exec, s[18:19]
	v_cmp_gt_u32_e32 vcc, s20, v31
	s_and_saveexec_b64 s[18:19], vcc
	s_cbranch_execz .LBB2083_526
.LBB2083_551:                           ;   in Loop: Header=BB2083_518 Depth=2
	global_load_ushort v7, v64, s[16:17] offset:2048
	s_or_b64 exec, exec, s[18:19]
	v_cmp_gt_u32_e32 vcc, s20, v32
	s_and_saveexec_b64 s[18:19], vcc
	s_cbranch_execz .LBB2083_527
.LBB2083_552:                           ;   in Loop: Header=BB2083_518 Depth=2
	global_load_ushort v6, v64, s[16:17] offset:2560
	s_or_b64 exec, exec, s[18:19]
	v_cmp_gt_u32_e32 vcc, s20, v33
	s_and_saveexec_b64 s[18:19], vcc
	s_cbranch_execz .LBB2083_528
.LBB2083_553:                           ;   in Loop: Header=BB2083_518 Depth=2
	global_load_ushort v5, v64, s[16:17] offset:3072
	s_or_b64 exec, exec, s[18:19]
	v_cmp_gt_u32_e32 vcc, s20, v34
	s_and_saveexec_b64 s[18:19], vcc
	s_cbranch_execnz .LBB2083_529
	s_branch .LBB2083_530
.LBB2083_554:                           ;   in Loop: Header=BB2083_20 Depth=1
	v_mov_b32_e32 v4, 0
	s_waitcnt lgkmcnt(0)
	s_barrier
	s_and_saveexec_b64 s[16:17], s[4:5]
	s_cbranch_execz .LBB2083_556
; %bb.555:                              ;   in Loop: Header=BB2083_20 Depth=1
	ds_read2_b64 v[4:7], v36 offset1:1
	s_waitcnt lgkmcnt(0)
	v_add_u32_e32 v4, v5, v4
	v_add3_u32 v4, v4, v6, v7
.LBB2083_556:                           ;   in Loop: Header=BB2083_20 Depth=1
	s_or_b64 exec, exec, s[16:17]
	s_nop 0
	v_mov_b32_dpp v5, v4 row_shr:1 row_mask:0xf bank_mask:0xf
	v_cmp_eq_u32_e64 s[16:17], 0, v67
	v_cndmask_b32_e64 v5, v5, 0, s[16:17]
	v_add_u32_e32 v4, v5, v4
	v_cmp_lt_u32_e64 s[18:19], 1, v67
	v_cmp_lt_u32_e64 s[20:21], 3, v67
	v_mov_b32_dpp v5, v4 row_shr:2 row_mask:0xf bank_mask:0xf
	v_cndmask_b32_e64 v5, 0, v5, s[18:19]
	v_add_u32_e32 v4, v4, v5
	v_cmp_lt_u32_e64 s[22:23], 7, v67
	v_cmp_lt_u32_e64 s[26:27], 31, v66
	v_mov_b32_dpp v5, v4 row_shr:4 row_mask:0xf bank_mask:0xf
	v_cndmask_b32_e64 v5, 0, v5, s[20:21]
	v_add_u32_e32 v4, v4, v5
	v_cmp_eq_u32_e64 s[24:25], 0, v69
	s_nop 0
	v_mov_b32_dpp v5, v4 row_shr:8 row_mask:0xf bank_mask:0xf
	v_cndmask_b32_e64 v5, 0, v5, s[22:23]
	v_add_u32_e32 v4, v4, v5
	s_nop 1
	v_mov_b32_dpp v5, v4 row_bcast:15 row_mask:0xf bank_mask:0xf
	v_and_b32_e32 v5, v68, v5
	v_add_u32_e32 v4, v4, v5
	s_nop 1
	v_mov_b32_dpp v5, v4 row_bcast:31 row_mask:0xf bank_mask:0xf
	v_cndmask_b32_e64 v5, 0, v5, s[26:27]
	v_add_u32_e32 v4, v4, v5
	s_and_saveexec_b64 s[28:29], s[6:7]
; %bb.557:                              ;   in Loop: Header=BB2083_20 Depth=1
	ds_write_b32 v38, v4
; %bb.558:                              ;   in Loop: Header=BB2083_20 Depth=1
	s_or_b64 exec, exec, s[28:29]
	s_waitcnt lgkmcnt(0)
	s_barrier
	s_and_saveexec_b64 s[28:29], s[8:9]
	s_cbranch_execz .LBB2083_560
; %bb.559:                              ;   in Loop: Header=BB2083_20 Depth=1
	ds_read_b32 v5, v39
	v_cmp_ne_u32_e32 vcc, 0, v70
	s_waitcnt lgkmcnt(0)
	v_mov_b32_dpp v6, v5 row_shr:1 row_mask:0xf bank_mask:0xf
	v_cndmask_b32_e32 v6, 0, v6, vcc
	v_add_u32_e32 v5, v6, v5
	v_cmp_lt_u32_e32 vcc, 1, v70
	s_nop 0
	v_mov_b32_dpp v6, v5 row_shr:2 row_mask:0xf bank_mask:0xf
	v_cndmask_b32_e32 v6, 0, v6, vcc
	v_add_u32_e32 v5, v5, v6
	ds_write_b32 v39, v5
.LBB2083_560:                           ;   in Loop: Header=BB2083_20 Depth=1
	s_or_b64 exec, exec, s[28:29]
	v_mov_b32_e32 v5, 0
	s_waitcnt lgkmcnt(0)
	s_barrier
	s_and_saveexec_b64 s[28:29], s[10:11]
; %bb.561:                              ;   in Loop: Header=BB2083_20 Depth=1
	ds_read_b32 v5, v40
; %bb.562:                              ;   in Loop: Header=BB2083_20 Depth=1
	s_or_b64 exec, exec, s[28:29]
	v_subrev_co_u32_e64 v6, s[28:29], 1, v66
	v_cmp_lt_i32_e32 vcc, v6, v71
	v_cndmask_b32_e32 v6, v6, v66, vcc
	s_waitcnt lgkmcnt(0)
	v_add_u32_e32 v4, v5, v4
	v_lshlrev_b32_e32 v82, 2, v6
	ds_bpermute_b32 v4, v82, v4
	s_waitcnt lgkmcnt(0)
	s_barrier
	s_and_saveexec_b64 s[30:31], s[4:5]
; %bb.563:                              ;   in Loop: Header=BB2083_20 Depth=1
	v_cndmask_b32_e64 v4, v4, v5, s[28:29]
	v_add_u32_e32 v4, s51, v4
	ds_write_b32 v25, v4
; %bb.564:                              ;   in Loop: Header=BB2083_20 Depth=1
	s_or_b64 exec, exec, s[30:31]
	s_load_dwordx2 s[30:31], s[56:57], 0x0
	v_add_co_u32_e32 v83, vcc, v57, v72
	v_addc_co_u32_e32 v84, vcc, 0, v58, vcc
	s_waitcnt lgkmcnt(0)
	s_cmp_lt_u32 s33, s31
	s_cselect_b32 s31, 14, 20
	s_add_u32 s34, s56, s31
	s_addc_u32 s35, s57, 0
	s_cmp_lt_u32 s50, s30
	s_cselect_b32 s30, 12, 18
	s_add_u32 s30, s56, s30
	global_load_ushort v4, v3, s[34:35]
	s_addc_u32 s31, s57, 0
	global_load_ushort v5, v3, s[30:31]
	v_add_co_u32_e32 v85, vcc, v59, v81
	v_cmp_eq_u32_e64 s[30:31], 0, v70
	v_cmp_lt_u32_e64 s[34:35], 1, v70
	v_addc_co_u32_e32 v86, vcc, 0, v60, vcc
	s_mov_b32 s71, s79
	s_mov_b32 s58, s51
                                        ; implicit-def: $vgpr7_vgpr8
                                        ; implicit-def: $vgpr9_vgpr10
                                        ; implicit-def: $vgpr11_vgpr12
                                        ; implicit-def: $vgpr13_vgpr14
                                        ; implicit-def: $vgpr15_vgpr16
                                        ; implicit-def: $vgpr17_vgpr18
                                        ; implicit-def: $vgpr19_vgpr20
                                        ; implicit-def: $vgpr87
                                        ; implicit-def: $vgpr88
                                        ; implicit-def: $vgpr89
                                        ; implicit-def: $vgpr90
                                        ; implicit-def: $vgpr92
                                        ; implicit-def: $vgpr93
                                        ; implicit-def: $vgpr94
                                        ; implicit-def: $vgpr95
	s_waitcnt vmcnt(1)
	v_mad_u32_u24 v4, v2, v4, v1
	s_waitcnt vmcnt(0)
	v_mad_u64_u32 v[4:5], s[36:37], v4, v5, v[0:1]
                                        ; implicit-def: $vgpr5_vgpr6
	v_lshrrev_b32_e32 v4, 4, v4
	v_and_b32_e32 v91, 0xffffffc, v4
	s_branch .LBB2083_566
.LBB2083_565:                           ;   in Loop: Header=BB2083_566 Depth=2
	s_or_b64 exec, exec, s[36:37]
	s_addk_i32 s71, 0xf800
	s_cmp_lt_u32 s76, s80
	s_mov_b32 s58, s76
	s_cbranch_scc0 .LBB2083_18
.LBB2083_566:                           ;   Parent Loop BB2083_20 Depth=1
                                        ; =>  This Inner Loop Header: Depth=2
	s_add_i32 s76, s58, 0x800
	s_cmp_gt_u32 s76, s80
	s_cbranch_scc1 .LBB2083_568
; %bb.567:                              ;   in Loop: Header=BB2083_566 Depth=2
	s_lshl_b64 s[36:37], s[58:59], 1
	v_mov_b32_e32 v4, s37
	v_add_co_u32_e32 v21, vcc, s36, v85
	v_addc_co_u32_e32 v22, vcc, v86, v4, vcc
	global_load_ushort v4, v[21:22], off
	global_load_ushort v99, v[21:22], off offset:128
	global_load_ushort v103, v[21:22], off offset:256
	;; [unrolled: 1-line block ×6, first 2 shown]
	s_mov_b64 s[36:37], -1
	s_movk_i32 s40, 0x800
	s_cbranch_execz .LBB2083_569
	s_branch .LBB2083_584
.LBB2083_568:                           ;   in Loop: Header=BB2083_566 Depth=2
	s_mov_b64 s[36:37], 0
                                        ; implicit-def: $vgpr4
                                        ; implicit-def: $vgpr99
                                        ; implicit-def: $vgpr103
                                        ; implicit-def: $vgpr107
                                        ; implicit-def: $vgpr112
                                        ; implicit-def: $vgpr108
                                        ; implicit-def: $vgpr24
	s_movk_i32 s40, 0x800
.LBB2083_569:                           ;   in Loop: Header=BB2083_566 Depth=2
	s_lshl_b64 s[36:37], s[58:59], 1
	s_waitcnt vmcnt(6)
	v_mov_b32_e32 v4, s37
	v_add_co_u32_e32 v21, vcc, s36, v85
	v_addc_co_u32_e32 v22, vcc, v86, v4, vcc
	v_cmp_gt_u32_e32 vcc, s71, v73
	s_waitcnt vmcnt(5)
	v_mov_b32_e32 v99, 0x7fff
	v_mov_b32_e32 v4, 0x7fff
	s_and_saveexec_b64 s[36:37], vcc
	s_cbranch_execz .LBB2083_571
; %bb.570:                              ;   in Loop: Header=BB2083_566 Depth=2
	global_load_ushort v4, v[21:22], off
.LBB2083_571:                           ;   in Loop: Header=BB2083_566 Depth=2
	s_or_b64 exec, exec, s[36:37]
	v_cmp_gt_u32_e32 vcc, s71, v74
	s_and_saveexec_b64 s[36:37], vcc
	s_cbranch_execz .LBB2083_573
; %bb.572:                              ;   in Loop: Header=BB2083_566 Depth=2
	global_load_ushort v99, v[21:22], off offset:128
.LBB2083_573:                           ;   in Loop: Header=BB2083_566 Depth=2
	s_or_b64 exec, exec, s[36:37]
	v_cmp_gt_u32_e32 vcc, s71, v75
	s_waitcnt vmcnt(3)
	v_mov_b32_e32 v107, 0x7fff
	v_mov_b32_e32 v103, 0x7fff
	s_and_saveexec_b64 s[36:37], vcc
	s_cbranch_execz .LBB2083_575
; %bb.574:                              ;   in Loop: Header=BB2083_566 Depth=2
	global_load_ushort v103, v[21:22], off offset:256
.LBB2083_575:                           ;   in Loop: Header=BB2083_566 Depth=2
	s_or_b64 exec, exec, s[36:37]
	v_cmp_gt_u32_e32 vcc, s71, v76
	s_and_saveexec_b64 s[36:37], vcc
	s_cbranch_execz .LBB2083_577
; %bb.576:                              ;   in Loop: Header=BB2083_566 Depth=2
	global_load_ushort v107, v[21:22], off offset:384
.LBB2083_577:                           ;   in Loop: Header=BB2083_566 Depth=2
	s_or_b64 exec, exec, s[36:37]
	v_cmp_gt_u32_e32 vcc, s71, v77
	s_waitcnt vmcnt(1)
	v_mov_b32_e32 v108, 0x7fff
	v_mov_b32_e32 v112, 0x7fff
	s_and_saveexec_b64 s[36:37], vcc
	s_cbranch_execz .LBB2083_579
; %bb.578:                              ;   in Loop: Header=BB2083_566 Depth=2
	global_load_ushort v112, v[21:22], off offset:512
.LBB2083_579:                           ;   in Loop: Header=BB2083_566 Depth=2
	s_or_b64 exec, exec, s[36:37]
	v_cmp_gt_u32_e32 vcc, s71, v78
	s_and_saveexec_b64 s[36:37], vcc
	s_cbranch_execz .LBB2083_581
; %bb.580:                              ;   in Loop: Header=BB2083_566 Depth=2
	global_load_ushort v108, v[21:22], off offset:640
.LBB2083_581:                           ;   in Loop: Header=BB2083_566 Depth=2
	s_or_b64 exec, exec, s[36:37]
	v_cmp_gt_u32_e32 vcc, s71, v79
	s_waitcnt vmcnt(0)
	v_mov_b32_e32 v24, 0x7fff
	s_and_saveexec_b64 s[36:37], vcc
	s_cbranch_execz .LBB2083_583
; %bb.582:                              ;   in Loop: Header=BB2083_566 Depth=2
	global_load_ushort v24, v[21:22], off offset:768
.LBB2083_583:                           ;   in Loop: Header=BB2083_566 Depth=2
	s_or_b64 exec, exec, s[36:37]
	s_sub_i32 s40, s80, s58
	v_cmp_gt_u32_e64 s[36:37], s71, v80
.LBB2083_584:                           ;   in Loop: Header=BB2083_566 Depth=2
	v_mov_b32_e32 v23, 0x7fff
	v_mov_b32_e32 v96, s71
	s_and_saveexec_b64 s[38:39], s[36:37]
	s_cbranch_execz .LBB2083_586
; %bb.585:                              ;   in Loop: Header=BB2083_566 Depth=2
	s_lshl_b64 s[36:37], s[58:59], 1
	v_mov_b32_e32 v22, s37
	v_add_co_u32_e32 v21, vcc, s36, v85
	v_addc_co_u32_e32 v22, vcc, v86, v22, vcc
	global_load_ushort v23, v[21:22], off offset:896
	v_mov_b32_e32 v96, s40
.LBB2083_586:                           ;   in Loop: Header=BB2083_566 Depth=2
	s_or_b64 exec, exec, s[38:39]
	s_waitcnt vmcnt(6)
	v_cmp_lt_i16_e32 vcc, -1, v4
	v_cndmask_b32_e32 v21, -1, v65, vcc
	v_xor_b32_e32 v97, v21, v4
	v_cmp_ne_u16_e32 vcc, s62, v97
	v_cndmask_b32_e32 v4, v65, v97, vcc
	v_lshrrev_b32_sdwa v4, s77, v4 dst_sel:DWORD dst_unused:UNUSED_PAD src0_sel:DWORD src1_sel:WORD_0
	v_and_b32_e32 v21, s70, v4
	v_and_b32_e32 v4, 1, v21
	v_add_co_u32_e32 v22, vcc, -1, v4
	v_addc_co_u32_e64 v98, s[36:37], 0, -1, vcc
	v_cmp_ne_u32_e32 vcc, 0, v4
	v_xor_b32_e32 v4, vcc_hi, v98
	v_and_b32_e32 v98, exec_hi, v4
	v_lshlrev_b32_e32 v4, 30, v21
	v_xor_b32_e32 v22, vcc_lo, v22
	v_cmp_gt_i64_e32 vcc, 0, v[3:4]
	v_not_b32_e32 v4, v4
	v_ashrrev_i32_e32 v4, 31, v4
	v_and_b32_e32 v22, exec_lo, v22
	v_xor_b32_e32 v101, vcc_hi, v4
	v_xor_b32_e32 v4, vcc_lo, v4
	v_and_b32_e32 v22, v22, v4
	v_lshlrev_b32_e32 v4, 29, v21
	v_cmp_gt_i64_e32 vcc, 0, v[3:4]
	v_not_b32_e32 v4, v4
	v_ashrrev_i32_e32 v4, 31, v4
	v_and_b32_e32 v98, v98, v101
	v_xor_b32_e32 v101, vcc_hi, v4
	v_xor_b32_e32 v4, vcc_lo, v4
	v_and_b32_e32 v22, v22, v4
	v_lshlrev_b32_e32 v4, 28, v21
	v_cmp_gt_i64_e32 vcc, 0, v[3:4]
	v_not_b32_e32 v4, v4
	v_ashrrev_i32_e32 v4, 31, v4
	v_and_b32_e32 v98, v98, v101
	;; [unrolled: 8-line block ×5, first 2 shown]
	v_xor_b32_e32 v101, vcc_hi, v4
	v_xor_b32_e32 v4, vcc_lo, v4
	v_and_b32_e32 v98, v98, v101
	v_and_b32_e32 v101, v22, v4
	v_lshlrev_b32_e32 v4, 24, v21
	v_cmp_gt_i64_e32 vcc, 0, v[3:4]
	v_not_b32_e32 v4, v4
	v_ashrrev_i32_e32 v4, 31, v4
	v_mul_u32_u24_e32 v100, 20, v21
	v_xor_b32_e32 v21, vcc_hi, v4
	v_xor_b32_e32 v4, vcc_lo, v4
	v_and_b32_e32 v22, v98, v21
	v_and_b32_e32 v21, v101, v4
	v_mbcnt_lo_u32_b32 v4, v21, 0
	v_mbcnt_hi_u32_b32 v98, v22, v4
	v_cmp_ne_u64_e32 vcc, 0, v[21:22]
	v_cmp_eq_u32_e64 s[36:37], 0, v98
	s_and_b64 s[38:39], vcc, s[36:37]
	v_add_u32_e32 v101, v91, v100
	ds_write2_b32 v62, v3, v3 offset1:1
	ds_write2_b32 v63, v3, v3 offset1:1
	ds_write_b32 v41, v3 offset:1056
	s_waitcnt vmcnt(0) lgkmcnt(0)
	s_barrier
	; wave barrier
	s_and_saveexec_b64 s[36:37], s[38:39]
; %bb.587:                              ;   in Loop: Header=BB2083_566 Depth=2
	v_bcnt_u32_b32 v4, v21, 0
	v_bcnt_u32_b32 v4, v22, v4
	ds_write_b32 v101, v4 offset:1040
; %bb.588:                              ;   in Loop: Header=BB2083_566 Depth=2
	s_or_b64 exec, exec, s[36:37]
	v_cmp_lt_i16_e32 vcc, -1, v99
	v_cndmask_b32_e32 v4, -1, v65, vcc
	v_xor_b32_e32 v99, v4, v99
	v_cmp_ne_u16_e32 vcc, s62, v99
	v_cndmask_b32_e32 v4, v65, v99, vcc
	v_lshrrev_b32_sdwa v4, s77, v4 dst_sel:DWORD dst_unused:UNUSED_PAD src0_sel:DWORD src1_sel:WORD_0
	v_and_b32_e32 v21, s70, v4
	v_mad_u32_u24 v4, v21, 20, v91
	; wave barrier
	ds_read_b32 v100, v4 offset:1040
	v_and_b32_e32 v4, 1, v21
	v_add_co_u32_e32 v22, vcc, -1, v4
	v_addc_co_u32_e64 v102, s[36:37], 0, -1, vcc
	v_cmp_ne_u32_e32 vcc, 0, v4
	v_xor_b32_e32 v4, vcc_hi, v102
	v_and_b32_e32 v102, exec_hi, v4
	v_lshlrev_b32_e32 v4, 30, v21
	v_xor_b32_e32 v22, vcc_lo, v22
	v_cmp_gt_i64_e32 vcc, 0, v[3:4]
	v_not_b32_e32 v4, v4
	v_ashrrev_i32_e32 v4, 31, v4
	v_and_b32_e32 v22, exec_lo, v22
	v_xor_b32_e32 v105, vcc_hi, v4
	v_xor_b32_e32 v4, vcc_lo, v4
	v_and_b32_e32 v22, v22, v4
	v_lshlrev_b32_e32 v4, 29, v21
	v_cmp_gt_i64_e32 vcc, 0, v[3:4]
	v_not_b32_e32 v4, v4
	v_ashrrev_i32_e32 v4, 31, v4
	v_and_b32_e32 v102, v102, v105
	v_xor_b32_e32 v105, vcc_hi, v4
	v_xor_b32_e32 v4, vcc_lo, v4
	v_and_b32_e32 v22, v22, v4
	v_lshlrev_b32_e32 v4, 28, v21
	v_cmp_gt_i64_e32 vcc, 0, v[3:4]
	v_not_b32_e32 v4, v4
	v_ashrrev_i32_e32 v4, 31, v4
	v_and_b32_e32 v102, v102, v105
	;; [unrolled: 8-line block ×5, first 2 shown]
	v_xor_b32_e32 v105, vcc_hi, v4
	v_xor_b32_e32 v4, vcc_lo, v4
	v_and_b32_e32 v102, v102, v105
	v_and_b32_e32 v105, v22, v4
	v_lshlrev_b32_e32 v4, 24, v21
	v_cmp_gt_i64_e32 vcc, 0, v[3:4]
	v_not_b32_e32 v4, v4
	v_ashrrev_i32_e32 v4, 31, v4
	v_mul_u32_u24_e32 v104, 20, v21
	v_xor_b32_e32 v21, vcc_hi, v4
	v_xor_b32_e32 v4, vcc_lo, v4
	v_and_b32_e32 v22, v102, v21
	v_and_b32_e32 v21, v105, v4
	v_mbcnt_lo_u32_b32 v4, v21, 0
	v_mbcnt_hi_u32_b32 v102, v22, v4
	v_cmp_ne_u64_e32 vcc, 0, v[21:22]
	v_cmp_eq_u32_e64 s[36:37], 0, v102
	s_and_b64 s[38:39], vcc, s[36:37]
	v_add_u32_e32 v105, v91, v104
	; wave barrier
	s_and_saveexec_b64 s[36:37], s[38:39]
	s_cbranch_execz .LBB2083_590
; %bb.589:                              ;   in Loop: Header=BB2083_566 Depth=2
	v_bcnt_u32_b32 v4, v21, 0
	v_bcnt_u32_b32 v4, v22, v4
	s_waitcnt lgkmcnt(0)
	v_add_u32_e32 v4, v100, v4
	ds_write_b32 v105, v4 offset:1040
.LBB2083_590:                           ;   in Loop: Header=BB2083_566 Depth=2
	s_or_b64 exec, exec, s[36:37]
	v_cmp_lt_i16_e32 vcc, -1, v103
	v_cndmask_b32_e32 v4, -1, v65, vcc
	v_xor_b32_e32 v103, v4, v103
	v_cmp_ne_u16_e32 vcc, s62, v103
	v_cndmask_b32_e32 v4, v65, v103, vcc
	v_lshrrev_b32_sdwa v4, s77, v4 dst_sel:DWORD dst_unused:UNUSED_PAD src0_sel:DWORD src1_sel:WORD_0
	v_and_b32_e32 v21, s70, v4
	v_mad_u32_u24 v4, v21, 20, v91
	; wave barrier
	ds_read_b32 v104, v4 offset:1040
	v_and_b32_e32 v4, 1, v21
	v_add_co_u32_e32 v22, vcc, -1, v4
	v_addc_co_u32_e64 v106, s[36:37], 0, -1, vcc
	v_cmp_ne_u32_e32 vcc, 0, v4
	v_xor_b32_e32 v4, vcc_hi, v106
	v_and_b32_e32 v106, exec_hi, v4
	v_lshlrev_b32_e32 v4, 30, v21
	v_xor_b32_e32 v22, vcc_lo, v22
	v_cmp_gt_i64_e32 vcc, 0, v[3:4]
	v_not_b32_e32 v4, v4
	v_ashrrev_i32_e32 v4, 31, v4
	v_and_b32_e32 v22, exec_lo, v22
	v_xor_b32_e32 v110, vcc_hi, v4
	v_xor_b32_e32 v4, vcc_lo, v4
	v_and_b32_e32 v22, v22, v4
	v_lshlrev_b32_e32 v4, 29, v21
	v_cmp_gt_i64_e32 vcc, 0, v[3:4]
	v_not_b32_e32 v4, v4
	v_ashrrev_i32_e32 v4, 31, v4
	v_and_b32_e32 v106, v106, v110
	v_xor_b32_e32 v110, vcc_hi, v4
	v_xor_b32_e32 v4, vcc_lo, v4
	v_and_b32_e32 v22, v22, v4
	v_lshlrev_b32_e32 v4, 28, v21
	v_cmp_gt_i64_e32 vcc, 0, v[3:4]
	v_not_b32_e32 v4, v4
	v_ashrrev_i32_e32 v4, 31, v4
	v_and_b32_e32 v106, v106, v110
	;; [unrolled: 8-line block ×5, first 2 shown]
	v_xor_b32_e32 v110, vcc_hi, v4
	v_xor_b32_e32 v4, vcc_lo, v4
	v_and_b32_e32 v106, v106, v110
	v_and_b32_e32 v110, v22, v4
	v_lshlrev_b32_e32 v4, 24, v21
	v_cmp_gt_i64_e32 vcc, 0, v[3:4]
	v_not_b32_e32 v4, v4
	v_ashrrev_i32_e32 v4, 31, v4
	v_mul_u32_u24_e32 v109, 20, v21
	v_xor_b32_e32 v21, vcc_hi, v4
	v_xor_b32_e32 v4, vcc_lo, v4
	v_and_b32_e32 v22, v106, v21
	v_and_b32_e32 v21, v110, v4
	v_mbcnt_lo_u32_b32 v4, v21, 0
	v_mbcnt_hi_u32_b32 v106, v22, v4
	v_cmp_ne_u64_e32 vcc, 0, v[21:22]
	v_cmp_eq_u32_e64 s[36:37], 0, v106
	s_and_b64 s[38:39], vcc, s[36:37]
	v_add_u32_e32 v110, v91, v109
	; wave barrier
	s_and_saveexec_b64 s[36:37], s[38:39]
	s_cbranch_execz .LBB2083_592
; %bb.591:                              ;   in Loop: Header=BB2083_566 Depth=2
	v_bcnt_u32_b32 v4, v21, 0
	v_bcnt_u32_b32 v4, v22, v4
	s_waitcnt lgkmcnt(0)
	v_add_u32_e32 v4, v104, v4
	ds_write_b32 v110, v4 offset:1040
.LBB2083_592:                           ;   in Loop: Header=BB2083_566 Depth=2
	s_or_b64 exec, exec, s[36:37]
	v_cmp_lt_i16_e32 vcc, -1, v107
	v_cndmask_b32_e32 v4, -1, v65, vcc
	v_xor_b32_e32 v107, v4, v107
	v_cmp_ne_u16_e32 vcc, s62, v107
	v_cndmask_b32_e32 v4, v65, v107, vcc
	v_lshrrev_b32_sdwa v4, s77, v4 dst_sel:DWORD dst_unused:UNUSED_PAD src0_sel:DWORD src1_sel:WORD_0
	v_and_b32_e32 v21, s70, v4
	v_mad_u32_u24 v4, v21, 20, v91
	; wave barrier
	ds_read_b32 v109, v4 offset:1040
	v_and_b32_e32 v4, 1, v21
	v_add_co_u32_e32 v22, vcc, -1, v4
	v_addc_co_u32_e64 v111, s[36:37], 0, -1, vcc
	v_cmp_ne_u32_e32 vcc, 0, v4
	v_xor_b32_e32 v4, vcc_hi, v111
	v_and_b32_e32 v111, exec_hi, v4
	v_lshlrev_b32_e32 v4, 30, v21
	v_xor_b32_e32 v22, vcc_lo, v22
	v_cmp_gt_i64_e32 vcc, 0, v[3:4]
	v_not_b32_e32 v4, v4
	v_ashrrev_i32_e32 v4, 31, v4
	v_and_b32_e32 v22, exec_lo, v22
	v_xor_b32_e32 v114, vcc_hi, v4
	v_xor_b32_e32 v4, vcc_lo, v4
	v_and_b32_e32 v22, v22, v4
	v_lshlrev_b32_e32 v4, 29, v21
	v_cmp_gt_i64_e32 vcc, 0, v[3:4]
	v_not_b32_e32 v4, v4
	v_ashrrev_i32_e32 v4, 31, v4
	v_and_b32_e32 v111, v111, v114
	v_xor_b32_e32 v114, vcc_hi, v4
	v_xor_b32_e32 v4, vcc_lo, v4
	v_and_b32_e32 v22, v22, v4
	v_lshlrev_b32_e32 v4, 28, v21
	v_cmp_gt_i64_e32 vcc, 0, v[3:4]
	v_not_b32_e32 v4, v4
	v_ashrrev_i32_e32 v4, 31, v4
	v_and_b32_e32 v111, v111, v114
	;; [unrolled: 8-line block ×5, first 2 shown]
	v_xor_b32_e32 v114, vcc_hi, v4
	v_xor_b32_e32 v4, vcc_lo, v4
	v_and_b32_e32 v111, v111, v114
	v_and_b32_e32 v114, v22, v4
	v_lshlrev_b32_e32 v4, 24, v21
	v_cmp_gt_i64_e32 vcc, 0, v[3:4]
	v_not_b32_e32 v4, v4
	v_ashrrev_i32_e32 v4, 31, v4
	v_mul_u32_u24_e32 v113, 20, v21
	v_xor_b32_e32 v21, vcc_hi, v4
	v_xor_b32_e32 v4, vcc_lo, v4
	v_and_b32_e32 v22, v111, v21
	v_and_b32_e32 v21, v114, v4
	v_mbcnt_lo_u32_b32 v4, v21, 0
	v_mbcnt_hi_u32_b32 v111, v22, v4
	v_cmp_ne_u64_e32 vcc, 0, v[21:22]
	v_cmp_eq_u32_e64 s[36:37], 0, v111
	s_and_b64 s[38:39], vcc, s[36:37]
	v_add_u32_e32 v114, v91, v113
	; wave barrier
	s_and_saveexec_b64 s[36:37], s[38:39]
	s_cbranch_execz .LBB2083_594
; %bb.593:                              ;   in Loop: Header=BB2083_566 Depth=2
	v_bcnt_u32_b32 v4, v21, 0
	v_bcnt_u32_b32 v4, v22, v4
	s_waitcnt lgkmcnt(0)
	v_add_u32_e32 v4, v109, v4
	ds_write_b32 v114, v4 offset:1040
.LBB2083_594:                           ;   in Loop: Header=BB2083_566 Depth=2
	s_or_b64 exec, exec, s[36:37]
	v_cmp_lt_i16_e32 vcc, -1, v112
	v_cndmask_b32_e32 v4, -1, v65, vcc
	v_xor_b32_e32 v112, v4, v112
	v_cmp_ne_u16_e32 vcc, s62, v112
	v_cndmask_b32_e32 v4, v65, v112, vcc
	v_lshrrev_b32_sdwa v4, s77, v4 dst_sel:DWORD dst_unused:UNUSED_PAD src0_sel:DWORD src1_sel:WORD_0
	v_and_b32_e32 v21, s70, v4
	v_mad_u32_u24 v4, v21, 20, v91
	; wave barrier
	ds_read_b32 v113, v4 offset:1040
	v_and_b32_e32 v4, 1, v21
	v_add_co_u32_e32 v22, vcc, -1, v4
	v_addc_co_u32_e64 v115, s[36:37], 0, -1, vcc
	v_cmp_ne_u32_e32 vcc, 0, v4
	v_xor_b32_e32 v4, vcc_hi, v115
	v_and_b32_e32 v115, exec_hi, v4
	v_lshlrev_b32_e32 v4, 30, v21
	v_xor_b32_e32 v22, vcc_lo, v22
	v_cmp_gt_i64_e32 vcc, 0, v[3:4]
	v_not_b32_e32 v4, v4
	v_ashrrev_i32_e32 v4, 31, v4
	v_and_b32_e32 v22, exec_lo, v22
	v_xor_b32_e32 v117, vcc_hi, v4
	v_xor_b32_e32 v4, vcc_lo, v4
	v_and_b32_e32 v22, v22, v4
	v_lshlrev_b32_e32 v4, 29, v21
	v_cmp_gt_i64_e32 vcc, 0, v[3:4]
	v_not_b32_e32 v4, v4
	v_ashrrev_i32_e32 v4, 31, v4
	v_and_b32_e32 v115, v115, v117
	v_xor_b32_e32 v117, vcc_hi, v4
	v_xor_b32_e32 v4, vcc_lo, v4
	v_and_b32_e32 v22, v22, v4
	v_lshlrev_b32_e32 v4, 28, v21
	v_cmp_gt_i64_e32 vcc, 0, v[3:4]
	v_not_b32_e32 v4, v4
	v_ashrrev_i32_e32 v4, 31, v4
	v_and_b32_e32 v115, v115, v117
	;; [unrolled: 8-line block ×5, first 2 shown]
	v_xor_b32_e32 v117, vcc_hi, v4
	v_xor_b32_e32 v4, vcc_lo, v4
	v_and_b32_e32 v115, v115, v117
	v_and_b32_e32 v117, v22, v4
	v_lshlrev_b32_e32 v4, 24, v21
	v_cmp_gt_i64_e32 vcc, 0, v[3:4]
	v_not_b32_e32 v4, v4
	v_ashrrev_i32_e32 v4, 31, v4
	v_mul_u32_u24_e32 v116, 20, v21
	v_xor_b32_e32 v21, vcc_hi, v4
	v_xor_b32_e32 v4, vcc_lo, v4
	v_and_b32_e32 v22, v115, v21
	v_and_b32_e32 v21, v117, v4
	v_mbcnt_lo_u32_b32 v4, v21, 0
	v_mbcnt_hi_u32_b32 v115, v22, v4
	v_cmp_ne_u64_e32 vcc, 0, v[21:22]
	v_cmp_eq_u32_e64 s[36:37], 0, v115
	s_and_b64 s[38:39], vcc, s[36:37]
	v_add_u32_e32 v118, v91, v116
	; wave barrier
	s_and_saveexec_b64 s[36:37], s[38:39]
	s_cbranch_execz .LBB2083_596
; %bb.595:                              ;   in Loop: Header=BB2083_566 Depth=2
	v_bcnt_u32_b32 v4, v21, 0
	v_bcnt_u32_b32 v4, v22, v4
	s_waitcnt lgkmcnt(0)
	v_add_u32_e32 v4, v113, v4
	ds_write_b32 v118, v4 offset:1040
.LBB2083_596:                           ;   in Loop: Header=BB2083_566 Depth=2
	s_or_b64 exec, exec, s[36:37]
	v_cmp_lt_i16_e32 vcc, -1, v108
	v_cndmask_b32_e32 v4, -1, v65, vcc
	v_xor_b32_e32 v116, v4, v108
	v_cmp_ne_u16_e32 vcc, s62, v116
	v_cndmask_b32_e32 v4, v65, v116, vcc
	v_lshrrev_b32_sdwa v4, s77, v4 dst_sel:DWORD dst_unused:UNUSED_PAD src0_sel:DWORD src1_sel:WORD_0
	v_and_b32_e32 v21, s70, v4
	v_mad_u32_u24 v4, v21, 20, v91
	; wave barrier
	ds_read_b32 v117, v4 offset:1040
	v_and_b32_e32 v4, 1, v21
	v_add_co_u32_e32 v22, vcc, -1, v4
	v_addc_co_u32_e64 v119, s[36:37], 0, -1, vcc
	v_cmp_ne_u32_e32 vcc, 0, v4
	v_xor_b32_e32 v4, vcc_hi, v119
	v_and_b32_e32 v119, exec_hi, v4
	v_lshlrev_b32_e32 v4, 30, v21
	v_xor_b32_e32 v22, vcc_lo, v22
	v_cmp_gt_i64_e32 vcc, 0, v[3:4]
	v_not_b32_e32 v4, v4
	v_ashrrev_i32_e32 v4, 31, v4
	v_and_b32_e32 v22, exec_lo, v22
	v_xor_b32_e32 v120, vcc_hi, v4
	v_xor_b32_e32 v4, vcc_lo, v4
	v_and_b32_e32 v22, v22, v4
	v_lshlrev_b32_e32 v4, 29, v21
	v_cmp_gt_i64_e32 vcc, 0, v[3:4]
	v_not_b32_e32 v4, v4
	v_ashrrev_i32_e32 v4, 31, v4
	v_and_b32_e32 v119, v119, v120
	v_xor_b32_e32 v120, vcc_hi, v4
	v_xor_b32_e32 v4, vcc_lo, v4
	v_and_b32_e32 v22, v22, v4
	v_lshlrev_b32_e32 v4, 28, v21
	v_cmp_gt_i64_e32 vcc, 0, v[3:4]
	v_not_b32_e32 v4, v4
	v_ashrrev_i32_e32 v4, 31, v4
	v_and_b32_e32 v119, v119, v120
	;; [unrolled: 8-line block ×5, first 2 shown]
	v_xor_b32_e32 v120, vcc_hi, v4
	v_xor_b32_e32 v4, vcc_lo, v4
	v_and_b32_e32 v119, v119, v120
	v_and_b32_e32 v120, v22, v4
	v_lshlrev_b32_e32 v4, 24, v21
	v_cmp_gt_i64_e32 vcc, 0, v[3:4]
	v_not_b32_e32 v4, v4
	v_ashrrev_i32_e32 v4, 31, v4
	v_mul_u32_u24_e32 v108, 20, v21
	v_xor_b32_e32 v21, vcc_hi, v4
	v_xor_b32_e32 v4, vcc_lo, v4
	v_and_b32_e32 v22, v119, v21
	v_and_b32_e32 v21, v120, v4
	v_mbcnt_lo_u32_b32 v4, v21, 0
	v_mbcnt_hi_u32_b32 v119, v22, v4
	v_cmp_ne_u64_e32 vcc, 0, v[21:22]
	v_cmp_eq_u32_e64 s[36:37], 0, v119
	s_and_b64 s[38:39], vcc, s[36:37]
	v_add_u32_e32 v108, v91, v108
	; wave barrier
	s_and_saveexec_b64 s[36:37], s[38:39]
	s_cbranch_execz .LBB2083_598
; %bb.597:                              ;   in Loop: Header=BB2083_566 Depth=2
	v_bcnt_u32_b32 v4, v21, 0
	v_bcnt_u32_b32 v4, v22, v4
	s_waitcnt lgkmcnt(0)
	v_add_u32_e32 v4, v117, v4
	ds_write_b32 v108, v4 offset:1040
.LBB2083_598:                           ;   in Loop: Header=BB2083_566 Depth=2
	s_or_b64 exec, exec, s[36:37]
	v_cmp_lt_i16_e32 vcc, -1, v24
	v_cndmask_b32_e32 v4, -1, v65, vcc
	v_xor_b32_e32 v120, v4, v24
	v_cmp_ne_u16_e32 vcc, s62, v120
	v_cndmask_b32_e32 v4, v65, v120, vcc
	v_lshrrev_b32_sdwa v4, s77, v4 dst_sel:DWORD dst_unused:UNUSED_PAD src0_sel:DWORD src1_sel:WORD_0
	v_and_b32_e32 v21, s70, v4
	v_mad_u32_u24 v4, v21, 20, v91
	; wave barrier
	ds_read_b32 v121, v4 offset:1040
	v_and_b32_e32 v4, 1, v21
	v_add_co_u32_e32 v22, vcc, -1, v4
	v_addc_co_u32_e64 v122, s[36:37], 0, -1, vcc
	v_cmp_ne_u32_e32 vcc, 0, v4
	v_xor_b32_e32 v4, vcc_hi, v122
	v_and_b32_e32 v122, exec_hi, v4
	v_lshlrev_b32_e32 v4, 30, v21
	v_xor_b32_e32 v22, vcc_lo, v22
	v_cmp_gt_i64_e32 vcc, 0, v[3:4]
	v_not_b32_e32 v4, v4
	v_ashrrev_i32_e32 v4, 31, v4
	v_and_b32_e32 v22, exec_lo, v22
	v_xor_b32_e32 v123, vcc_hi, v4
	v_xor_b32_e32 v4, vcc_lo, v4
	v_and_b32_e32 v22, v22, v4
	v_lshlrev_b32_e32 v4, 29, v21
	v_cmp_gt_i64_e32 vcc, 0, v[3:4]
	v_not_b32_e32 v4, v4
	v_ashrrev_i32_e32 v4, 31, v4
	v_and_b32_e32 v122, v122, v123
	v_xor_b32_e32 v123, vcc_hi, v4
	v_xor_b32_e32 v4, vcc_lo, v4
	v_and_b32_e32 v22, v22, v4
	v_lshlrev_b32_e32 v4, 28, v21
	v_cmp_gt_i64_e32 vcc, 0, v[3:4]
	v_not_b32_e32 v4, v4
	v_ashrrev_i32_e32 v4, 31, v4
	v_and_b32_e32 v122, v122, v123
	;; [unrolled: 8-line block ×5, first 2 shown]
	v_xor_b32_e32 v123, vcc_hi, v4
	v_xor_b32_e32 v4, vcc_lo, v4
	v_and_b32_e32 v122, v122, v123
	v_and_b32_e32 v123, v22, v4
	v_lshlrev_b32_e32 v4, 24, v21
	v_cmp_gt_i64_e32 vcc, 0, v[3:4]
	v_not_b32_e32 v4, v4
	v_ashrrev_i32_e32 v4, 31, v4
	v_mul_u32_u24_e32 v24, 20, v21
	v_xor_b32_e32 v21, vcc_hi, v4
	v_xor_b32_e32 v4, vcc_lo, v4
	v_and_b32_e32 v22, v122, v21
	v_and_b32_e32 v21, v123, v4
	v_mbcnt_lo_u32_b32 v4, v21, 0
	v_mbcnt_hi_u32_b32 v122, v22, v4
	v_cmp_ne_u64_e32 vcc, 0, v[21:22]
	v_cmp_eq_u32_e64 s[36:37], 0, v122
	s_and_b64 s[38:39], vcc, s[36:37]
	v_add_u32_e32 v125, v91, v24
	; wave barrier
	s_and_saveexec_b64 s[36:37], s[38:39]
	s_cbranch_execz .LBB2083_600
; %bb.599:                              ;   in Loop: Header=BB2083_566 Depth=2
	v_bcnt_u32_b32 v4, v21, 0
	v_bcnt_u32_b32 v4, v22, v4
	s_waitcnt lgkmcnt(0)
	v_add_u32_e32 v4, v121, v4
	ds_write_b32 v125, v4 offset:1040
.LBB2083_600:                           ;   in Loop: Header=BB2083_566 Depth=2
	s_or_b64 exec, exec, s[36:37]
	v_cmp_lt_i16_e32 vcc, -1, v23
	v_cndmask_b32_e32 v4, -1, v65, vcc
	v_xor_b32_e32 v123, v4, v23
	v_cmp_ne_u16_e32 vcc, s62, v123
	v_cndmask_b32_e32 v4, v65, v123, vcc
	v_lshrrev_b32_sdwa v4, s77, v4 dst_sel:DWORD dst_unused:UNUSED_PAD src0_sel:DWORD src1_sel:WORD_0
	v_and_b32_e32 v21, s70, v4
	v_mad_u32_u24 v4, v21, 20, v91
	; wave barrier
	ds_read_b32 v124, v4 offset:1040
	v_and_b32_e32 v4, 1, v21
	v_add_co_u32_e32 v22, vcc, -1, v4
	v_addc_co_u32_e64 v24, s[36:37], 0, -1, vcc
	v_cmp_ne_u32_e32 vcc, 0, v4
	v_xor_b32_e32 v4, vcc_hi, v24
	v_and_b32_e32 v24, exec_hi, v4
	v_lshlrev_b32_e32 v4, 30, v21
	v_xor_b32_e32 v22, vcc_lo, v22
	v_cmp_gt_i64_e32 vcc, 0, v[3:4]
	v_not_b32_e32 v4, v4
	v_ashrrev_i32_e32 v4, 31, v4
	v_and_b32_e32 v22, exec_lo, v22
	v_xor_b32_e32 v126, vcc_hi, v4
	v_xor_b32_e32 v4, vcc_lo, v4
	v_and_b32_e32 v22, v22, v4
	v_lshlrev_b32_e32 v4, 29, v21
	v_cmp_gt_i64_e32 vcc, 0, v[3:4]
	v_not_b32_e32 v4, v4
	v_ashrrev_i32_e32 v4, 31, v4
	v_and_b32_e32 v24, v24, v126
	v_xor_b32_e32 v126, vcc_hi, v4
	v_xor_b32_e32 v4, vcc_lo, v4
	v_and_b32_e32 v22, v22, v4
	v_lshlrev_b32_e32 v4, 28, v21
	v_cmp_gt_i64_e32 vcc, 0, v[3:4]
	v_not_b32_e32 v4, v4
	v_ashrrev_i32_e32 v4, 31, v4
	v_and_b32_e32 v24, v24, v126
	;; [unrolled: 8-line block ×5, first 2 shown]
	v_xor_b32_e32 v126, vcc_hi, v4
	v_xor_b32_e32 v4, vcc_lo, v4
	v_and_b32_e32 v24, v24, v126
	v_and_b32_e32 v126, v22, v4
	v_lshlrev_b32_e32 v4, 24, v21
	v_cmp_gt_i64_e32 vcc, 0, v[3:4]
	v_not_b32_e32 v4, v4
	v_ashrrev_i32_e32 v4, 31, v4
	v_mul_u32_u24_e32 v23, 20, v21
	v_xor_b32_e32 v21, vcc_hi, v4
	v_xor_b32_e32 v4, vcc_lo, v4
	v_and_b32_e32 v22, v24, v21
	v_and_b32_e32 v21, v126, v4
	v_mbcnt_lo_u32_b32 v4, v21, 0
	v_mbcnt_hi_u32_b32 v126, v22, v4
	v_cmp_ne_u64_e32 vcc, 0, v[21:22]
	v_cmp_eq_u32_e64 s[36:37], 0, v126
	s_and_b64 s[38:39], vcc, s[36:37]
	v_add_u32_e32 v4, v91, v23
	; wave barrier
	s_and_saveexec_b64 s[36:37], s[38:39]
	s_cbranch_execz .LBB2083_602
; %bb.601:                              ;   in Loop: Header=BB2083_566 Depth=2
	v_bcnt_u32_b32 v21, v21, 0
	v_bcnt_u32_b32 v21, v22, v21
	s_waitcnt lgkmcnt(0)
	v_add_u32_e32 v21, v124, v21
	ds_write_b32 v4, v21 offset:1040
.LBB2083_602:                           ;   in Loop: Header=BB2083_566 Depth=2
	s_or_b64 exec, exec, s[36:37]
	; wave barrier
	s_waitcnt lgkmcnt(0)
	s_barrier
	ds_read2_b32 v[23:24], v62 offset1:1
	ds_read2_b32 v[21:22], v63 offset1:1
	ds_read_b32 v127, v41 offset:1056
	s_waitcnt lgkmcnt(1)
	v_add3_u32 v128, v24, v23, v21
	s_waitcnt lgkmcnt(0)
	v_add3_u32 v127, v128, v22, v127
	s_nop 1
	v_mov_b32_dpp v128, v127 row_shr:1 row_mask:0xf bank_mask:0xf
	v_cndmask_b32_e64 v128, v128, 0, s[16:17]
	v_add_u32_e32 v127, v128, v127
	s_nop 1
	v_mov_b32_dpp v128, v127 row_shr:2 row_mask:0xf bank_mask:0xf
	v_cndmask_b32_e64 v128, 0, v128, s[18:19]
	v_add_u32_e32 v127, v127, v128
	;; [unrolled: 4-line block ×4, first 2 shown]
	s_nop 1
	v_mov_b32_dpp v128, v127 row_bcast:15 row_mask:0xf bank_mask:0xf
	v_cndmask_b32_e64 v128, v128, 0, s[24:25]
	v_add_u32_e32 v127, v127, v128
	s_nop 1
	v_mov_b32_dpp v128, v127 row_bcast:31 row_mask:0xf bank_mask:0xf
	v_cndmask_b32_e64 v128, 0, v128, s[26:27]
	v_add_u32_e32 v127, v127, v128
	s_and_saveexec_b64 s[36:37], s[6:7]
; %bb.603:                              ;   in Loop: Header=BB2083_566 Depth=2
	ds_write_b32 v37, v127 offset:1024
; %bb.604:                              ;   in Loop: Header=BB2083_566 Depth=2
	s_or_b64 exec, exec, s[36:37]
	s_waitcnt lgkmcnt(0)
	s_barrier
	s_and_saveexec_b64 s[36:37], s[8:9]
	s_cbranch_execz .LBB2083_606
; %bb.605:                              ;   in Loop: Header=BB2083_566 Depth=2
	ds_read_b32 v128, v42 offset:1024
	s_waitcnt lgkmcnt(0)
	s_nop 0
	v_mov_b32_dpp v129, v128 row_shr:1 row_mask:0xf bank_mask:0xf
	v_cndmask_b32_e64 v129, v129, 0, s[30:31]
	v_add_u32_e32 v128, v129, v128
	s_nop 1
	v_mov_b32_dpp v129, v128 row_shr:2 row_mask:0xf bank_mask:0xf
	v_cndmask_b32_e64 v129, 0, v129, s[34:35]
	v_add_u32_e32 v128, v128, v129
	ds_write_b32 v42, v128 offset:1024
.LBB2083_606:                           ;   in Loop: Header=BB2083_566 Depth=2
	s_or_b64 exec, exec, s[36:37]
	v_mov_b32_e32 v128, 0
	s_waitcnt lgkmcnt(0)
	s_barrier
	s_and_saveexec_b64 s[36:37], s[10:11]
; %bb.607:                              ;   in Loop: Header=BB2083_566 Depth=2
	ds_read_b32 v128, v37 offset:1020
; %bb.608:                              ;   in Loop: Header=BB2083_566 Depth=2
	s_or_b64 exec, exec, s[36:37]
	s_waitcnt lgkmcnt(0)
	v_add_u32_e32 v127, v128, v127
	ds_bpermute_b32 v127, v82, v127
	s_waitcnt lgkmcnt(0)
	v_cndmask_b32_e64 v127, v127, v128, s[28:29]
	v_cndmask_b32_e64 v127, v127, 0, s[12:13]
	v_add_u32_e32 v23, v127, v23
	v_add_u32_e32 v24, v23, v24
	;; [unrolled: 1-line block ×4, first 2 shown]
	ds_write2_b32 v62, v127, v23 offset1:1
	ds_write2_b32 v63, v24, v21 offset1:1
	ds_write_b32 v41, v22 offset:1056
	s_waitcnt lgkmcnt(0)
	s_barrier
	ds_read_b32 v21, v101 offset:1040
	ds_read_b32 v22, v105 offset:1040
	;; [unrolled: 1-line block ×9, first 2 shown]
	v_mov_b32_e32 v4, 0x800
	s_and_saveexec_b64 s[36:37], s[14:15]
; %bb.609:                              ;   in Loop: Header=BB2083_566 Depth=2
	ds_read_b32 v4, v41 offset:1060
; %bb.610:                              ;   in Loop: Header=BB2083_566 Depth=2
	s_or_b64 exec, exec, s[36:37]
	s_waitcnt lgkmcnt(0)
	s_barrier
	s_and_saveexec_b64 s[36:37], s[4:5]
	s_cbranch_execz .LBB2083_612
; %bb.611:                              ;   in Loop: Header=BB2083_566 Depth=2
	ds_read_b32 v105, v25
	s_waitcnt lgkmcnt(0)
	v_sub_u32_e32 v101, v105, v101
	ds_write_b32 v25, v101
.LBB2083_612:                           ;   in Loop: Header=BB2083_566 Depth=2
	s_or_b64 exec, exec, s[36:37]
	v_add_u32_e32 v108, v21, v98
	v_add3_u32 v105, v102, v100, v22
	v_lshlrev_b32_e32 v21, 1, v108
	v_add3_u32 v102, v106, v104, v23
	ds_write_b16 v21, v97 offset:1024
	v_lshlrev_b32_e32 v21, 1, v105
	v_add3_u32 v101, v111, v109, v24
	ds_write_b16 v21, v99 offset:1024
	;; [unrolled: 3-line block ×6, first 2 shown]
	v_lshlrev_b32_e32 v21, 1, v24
	ds_write_b16 v21, v120 offset:1024
	v_lshlrev_b32_e32 v21, 1, v23
	v_cmp_lt_u32_e32 vcc, v0, v96
	ds_write_b16 v21, v123 offset:1024
	s_waitcnt lgkmcnt(0)
	s_barrier
	s_and_saveexec_b64 s[38:39], vcc
	s_cbranch_execnz .LBB2083_649
; %bb.613:                              ;   in Loop: Header=BB2083_566 Depth=2
	s_or_b64 exec, exec, s[38:39]
	v_cmp_lt_u32_e64 s[36:37], v26, v96
	s_and_saveexec_b64 s[40:41], s[36:37]
	s_cbranch_execnz .LBB2083_650
.LBB2083_614:                           ;   in Loop: Header=BB2083_566 Depth=2
	s_or_b64 exec, exec, s[40:41]
	v_cmp_lt_u32_e64 s[38:39], v27, v96
	s_and_saveexec_b64 s[42:43], s[38:39]
	s_cbranch_execnz .LBB2083_651
.LBB2083_615:                           ;   in Loop: Header=BB2083_566 Depth=2
	s_or_b64 exec, exec, s[42:43]
	v_cmp_lt_u32_e64 s[40:41], v28, v96
	s_and_saveexec_b64 s[44:45], s[40:41]
	s_cbranch_execnz .LBB2083_652
.LBB2083_616:                           ;   in Loop: Header=BB2083_566 Depth=2
	s_or_b64 exec, exec, s[44:45]
	v_cmp_lt_u32_e64 s[42:43], v31, v96
	s_and_saveexec_b64 s[46:47], s[42:43]
	s_cbranch_execnz .LBB2083_653
.LBB2083_617:                           ;   in Loop: Header=BB2083_566 Depth=2
	s_or_b64 exec, exec, s[46:47]
	v_cmp_lt_u32_e64 s[44:45], v32, v96
	s_and_saveexec_b64 s[48:49], s[44:45]
	s_cbranch_execnz .LBB2083_654
.LBB2083_618:                           ;   in Loop: Header=BB2083_566 Depth=2
	s_or_b64 exec, exec, s[48:49]
	v_cmp_lt_u32_e64 s[46:47], v33, v96
	s_and_saveexec_b64 s[52:53], s[46:47]
	s_cbranch_execnz .LBB2083_655
.LBB2083_619:                           ;   in Loop: Header=BB2083_566 Depth=2
	s_or_b64 exec, exec, s[52:53]
	v_cmp_lt_u32_e64 s[48:49], v34, v96
	s_and_saveexec_b64 s[60:61], s[48:49]
	s_cbranch_execz .LBB2083_621
.LBB2083_620:                           ;   in Loop: Header=BB2083_566 Depth=2
	ds_read_u16 v21, v47 offset:4608
	v_mov_b32_e32 v22, v3
	v_mov_b32_e32 v99, s69
	s_waitcnt lgkmcnt(0)
	v_cmp_ne_u16_e64 s[52:53], s62, v21
	v_cndmask_b32_e64 v97, v65, v21, s[52:53]
	v_lshrrev_b32_sdwa v97, s77, v97 dst_sel:DWORD dst_unused:UNUSED_PAD src0_sel:DWORD src1_sel:WORD_0
	v_and_b32_e32 v97, s70, v97
	v_lshlrev_b32_e32 v97, 2, v97
	ds_read_b32 v97, v97
	v_cmp_lt_i16_e64 s[52:53], -1, v21
	v_cndmask_b32_e64 v103, v65, -1, s[52:53]
	v_xor_b32_e32 v103, v103, v21
	s_waitcnt lgkmcnt(0)
	v_add_u32_e32 v21, v97, v34
	v_lshlrev_b64 v[21:22], 1, v[21:22]
	v_add_co_u32_e64 v21, s[52:53], s68, v21
	v_addc_co_u32_e64 v22, s[52:53], v99, v22, s[52:53]
	global_store_short v[21:22], v103, off
.LBB2083_621:                           ;   in Loop: Header=BB2083_566 Depth=2
	s_or_b64 exec, exec, s[60:61]
	s_lshl_b64 s[52:53], s[58:59], 3
	v_mov_b32_e32 v22, s53
	v_add_co_u32_e64 v21, s[52:53], s52, v83
	v_addc_co_u32_e64 v22, s[52:53], v84, v22, s[52:53]
	v_cmp_lt_u32_e64 s[52:53], v73, v96
	s_and_saveexec_b64 s[60:61], s[52:53]
	s_xor_b64 s[52:53], exec, s[60:61]
	s_cbranch_execnz .LBB2083_656
; %bb.622:                              ;   in Loop: Header=BB2083_566 Depth=2
	s_or_b64 exec, exec, s[52:53]
	v_cmp_lt_u32_e64 s[52:53], v74, v96
	s_and_saveexec_b64 s[60:61], s[52:53]
	s_cbranch_execnz .LBB2083_657
.LBB2083_623:                           ;   in Loop: Header=BB2083_566 Depth=2
	s_or_b64 exec, exec, s[60:61]
	v_cmp_lt_u32_e64 s[52:53], v75, v96
	s_and_saveexec_b64 s[60:61], s[52:53]
	s_cbranch_execnz .LBB2083_658
.LBB2083_624:                           ;   in Loop: Header=BB2083_566 Depth=2
	s_or_b64 exec, exec, s[60:61]
	v_cmp_lt_u32_e64 s[52:53], v76, v96
	s_and_saveexec_b64 s[60:61], s[52:53]
	s_cbranch_execnz .LBB2083_659
.LBB2083_625:                           ;   in Loop: Header=BB2083_566 Depth=2
	s_or_b64 exec, exec, s[60:61]
	v_cmp_lt_u32_e64 s[52:53], v77, v96
	s_and_saveexec_b64 s[60:61], s[52:53]
	s_cbranch_execnz .LBB2083_660
.LBB2083_626:                           ;   in Loop: Header=BB2083_566 Depth=2
	s_or_b64 exec, exec, s[60:61]
	v_cmp_lt_u32_e64 s[52:53], v78, v96
	s_and_saveexec_b64 s[60:61], s[52:53]
	s_cbranch_execnz .LBB2083_661
.LBB2083_627:                           ;   in Loop: Header=BB2083_566 Depth=2
	s_or_b64 exec, exec, s[60:61]
	v_cmp_lt_u32_e64 s[52:53], v79, v96
	s_and_saveexec_b64 s[60:61], s[52:53]
	s_cbranch_execnz .LBB2083_662
.LBB2083_628:                           ;   in Loop: Header=BB2083_566 Depth=2
	s_or_b64 exec, exec, s[60:61]
	v_cmp_lt_u32_e64 s[52:53], v80, v96
	s_and_saveexec_b64 s[60:61], s[52:53]
	s_cbranch_execnz .LBB2083_663
.LBB2083_629:                           ;   in Loop: Header=BB2083_566 Depth=2
	s_or_b64 exec, exec, s[60:61]
	s_and_saveexec_b64 s[60:61], vcc
	s_cbranch_execnz .LBB2083_664
.LBB2083_630:                           ;   in Loop: Header=BB2083_566 Depth=2
	s_or_b64 exec, exec, s[60:61]
	s_and_saveexec_b64 s[60:61], s[36:37]
	s_cbranch_execnz .LBB2083_665
.LBB2083_631:                           ;   in Loop: Header=BB2083_566 Depth=2
	s_or_b64 exec, exec, s[60:61]
	s_and_saveexec_b64 s[60:61], s[38:39]
	s_cbranch_execnz .LBB2083_666
.LBB2083_632:                           ;   in Loop: Header=BB2083_566 Depth=2
	s_or_b64 exec, exec, s[60:61]
	s_and_saveexec_b64 s[60:61], s[40:41]
	s_cbranch_execnz .LBB2083_667
.LBB2083_633:                           ;   in Loop: Header=BB2083_566 Depth=2
	s_or_b64 exec, exec, s[60:61]
	s_and_saveexec_b64 s[60:61], s[42:43]
	s_cbranch_execnz .LBB2083_668
.LBB2083_634:                           ;   in Loop: Header=BB2083_566 Depth=2
	s_or_b64 exec, exec, s[60:61]
	s_and_saveexec_b64 s[60:61], s[44:45]
	s_cbranch_execnz .LBB2083_669
.LBB2083_635:                           ;   in Loop: Header=BB2083_566 Depth=2
	s_or_b64 exec, exec, s[60:61]
	s_and_saveexec_b64 s[60:61], s[46:47]
	s_cbranch_execnz .LBB2083_670
.LBB2083_636:                           ;   in Loop: Header=BB2083_566 Depth=2
	s_or_b64 exec, exec, s[60:61]
	s_and_saveexec_b64 s[60:61], s[48:49]
	s_cbranch_execz .LBB2083_638
.LBB2083_637:                           ;   in Loop: Header=BB2083_566 Depth=2
	ds_read_u16 v21, v47 offset:4608
	s_waitcnt lgkmcnt(0)
	v_cmp_ne_u16_e64 s[52:53], s62, v21
	v_cndmask_b32_e64 v21, v65, v21, s[52:53]
	v_lshrrev_b32_sdwa v21, s77, v21 dst_sel:DWORD dst_unused:UNUSED_PAD src0_sel:DWORD src1_sel:WORD_0
	v_and_b32_e32 v87, s70, v21
.LBB2083_638:                           ;   in Loop: Header=BB2083_566 Depth=2
	s_or_b64 exec, exec, s[60:61]
	v_lshlrev_b32_e32 v21, 3, v108
	s_waitcnt vmcnt(0)
	s_barrier
	ds_write_b64 v21, v[19:20] offset:1024
	v_lshlrev_b32_e32 v21, 3, v105
	ds_write_b64 v21, v[17:18] offset:1024
	v_lshlrev_b32_e32 v21, 3, v102
	;; [unrolled: 2-line block ×7, first 2 shown]
	ds_write_b64 v21, v[5:6] offset:1024
	v_add_u32_e32 v21, v47, v48
	s_waitcnt lgkmcnt(0)
	s_barrier
	s_and_saveexec_b64 s[52:53], vcc
	s_cbranch_execnz .LBB2083_671
; %bb.639:                              ;   in Loop: Header=BB2083_566 Depth=2
	s_or_b64 exec, exec, s[52:53]
	s_and_saveexec_b64 s[52:53], s[36:37]
	s_cbranch_execnz .LBB2083_672
.LBB2083_640:                           ;   in Loop: Header=BB2083_566 Depth=2
	s_or_b64 exec, exec, s[52:53]
	s_and_saveexec_b64 s[36:37], s[38:39]
	s_cbranch_execnz .LBB2083_673
.LBB2083_641:                           ;   in Loop: Header=BB2083_566 Depth=2
	s_or_b64 exec, exec, s[36:37]
	s_and_saveexec_b64 s[36:37], s[40:41]
	s_cbranch_execnz .LBB2083_674
.LBB2083_642:                           ;   in Loop: Header=BB2083_566 Depth=2
	s_or_b64 exec, exec, s[36:37]
	s_and_saveexec_b64 s[36:37], s[42:43]
	s_cbranch_execnz .LBB2083_675
.LBB2083_643:                           ;   in Loop: Header=BB2083_566 Depth=2
	s_or_b64 exec, exec, s[36:37]
	s_and_saveexec_b64 s[36:37], s[44:45]
	s_cbranch_execnz .LBB2083_676
.LBB2083_644:                           ;   in Loop: Header=BB2083_566 Depth=2
	s_or_b64 exec, exec, s[36:37]
	s_and_saveexec_b64 s[36:37], s[46:47]
	s_cbranch_execnz .LBB2083_677
.LBB2083_645:                           ;   in Loop: Header=BB2083_566 Depth=2
	s_or_b64 exec, exec, s[36:37]
	s_and_saveexec_b64 s[36:37], s[48:49]
	s_cbranch_execz .LBB2083_647
.LBB2083_646:                           ;   in Loop: Header=BB2083_566 Depth=2
	v_lshlrev_b32_e32 v22, 2, v87
	ds_read_b32 v23, v22
	ds_read_b64 v[21:22], v21 offset:15360
	v_mov_b32_e32 v24, v3
	v_mov_b32_e32 v96, s75
	s_waitcnt lgkmcnt(1)
	v_add_u32_e32 v23, v23, v34
	v_lshlrev_b64 v[23:24], 3, v[23:24]
	v_add_co_u32_e32 v23, vcc, s74, v23
	v_addc_co_u32_e32 v24, vcc, v96, v24, vcc
	s_waitcnt lgkmcnt(0)
	global_store_dwordx2 v[23:24], v[21:22], off
.LBB2083_647:                           ;   in Loop: Header=BB2083_566 Depth=2
	s_or_b64 exec, exec, s[36:37]
	s_waitcnt vmcnt(0)
	s_barrier
	s_and_saveexec_b64 s[36:37], s[4:5]
	s_cbranch_execz .LBB2083_565
; %bb.648:                              ;   in Loop: Header=BB2083_566 Depth=2
	ds_read_b32 v21, v25
	s_waitcnt lgkmcnt(0)
	v_add_u32_e32 v4, v21, v4
	ds_write_b32 v25, v4
	s_branch .LBB2083_565
.LBB2083_649:                           ;   in Loop: Header=BB2083_566 Depth=2
	ds_read_u16 v21, v47 offset:1024
	v_mov_b32_e32 v22, v3
	v_mov_b32_e32 v99, s69
	s_waitcnt lgkmcnt(0)
	v_cmp_ne_u16_e64 s[36:37], s62, v21
	v_cndmask_b32_e64 v97, v65, v21, s[36:37]
	v_lshrrev_b32_sdwa v97, s77, v97 dst_sel:DWORD dst_unused:UNUSED_PAD src0_sel:DWORD src1_sel:WORD_0
	v_and_b32_e32 v97, s70, v97
	v_lshlrev_b32_e32 v97, 2, v97
	ds_read_b32 v97, v97
	v_cmp_lt_i16_e64 s[36:37], -1, v21
	v_cndmask_b32_e64 v103, v65, -1, s[36:37]
	v_xor_b32_e32 v103, v103, v21
	s_waitcnt lgkmcnt(0)
	v_add_u32_e32 v21, v97, v0
	v_lshlrev_b64 v[21:22], 1, v[21:22]
	v_add_co_u32_e64 v21, s[36:37], s68, v21
	v_addc_co_u32_e64 v22, s[36:37], v99, v22, s[36:37]
	global_store_short v[21:22], v103, off
	s_or_b64 exec, exec, s[38:39]
	v_cmp_lt_u32_e64 s[36:37], v26, v96
	s_and_saveexec_b64 s[40:41], s[36:37]
	s_cbranch_execz .LBB2083_614
.LBB2083_650:                           ;   in Loop: Header=BB2083_566 Depth=2
	ds_read_u16 v21, v47 offset:1536
	v_mov_b32_e32 v22, v3
	v_mov_b32_e32 v99, s69
	s_waitcnt lgkmcnt(0)
	v_cmp_ne_u16_e64 s[38:39], s62, v21
	v_cndmask_b32_e64 v97, v65, v21, s[38:39]
	v_lshrrev_b32_sdwa v97, s77, v97 dst_sel:DWORD dst_unused:UNUSED_PAD src0_sel:DWORD src1_sel:WORD_0
	v_and_b32_e32 v97, s70, v97
	v_lshlrev_b32_e32 v97, 2, v97
	ds_read_b32 v97, v97
	v_cmp_lt_i16_e64 s[38:39], -1, v21
	v_cndmask_b32_e64 v103, v65, -1, s[38:39]
	v_xor_b32_e32 v103, v103, v21
	s_waitcnt lgkmcnt(0)
	v_add_u32_e32 v21, v97, v26
	v_lshlrev_b64 v[21:22], 1, v[21:22]
	v_add_co_u32_e64 v21, s[38:39], s68, v21
	v_addc_co_u32_e64 v22, s[38:39], v99, v22, s[38:39]
	global_store_short v[21:22], v103, off
	s_or_b64 exec, exec, s[40:41]
	v_cmp_lt_u32_e64 s[38:39], v27, v96
	s_and_saveexec_b64 s[42:43], s[38:39]
	s_cbranch_execz .LBB2083_615
.LBB2083_651:                           ;   in Loop: Header=BB2083_566 Depth=2
	ds_read_u16 v21, v47 offset:2048
	v_mov_b32_e32 v22, v3
	v_mov_b32_e32 v99, s69
	s_waitcnt lgkmcnt(0)
	v_cmp_ne_u16_e64 s[40:41], s62, v21
	v_cndmask_b32_e64 v97, v65, v21, s[40:41]
	v_lshrrev_b32_sdwa v97, s77, v97 dst_sel:DWORD dst_unused:UNUSED_PAD src0_sel:DWORD src1_sel:WORD_0
	v_and_b32_e32 v97, s70, v97
	v_lshlrev_b32_e32 v97, 2, v97
	ds_read_b32 v97, v97
	v_cmp_lt_i16_e64 s[40:41], -1, v21
	v_cndmask_b32_e64 v103, v65, -1, s[40:41]
	v_xor_b32_e32 v103, v103, v21
	s_waitcnt lgkmcnt(0)
	v_add_u32_e32 v21, v97, v27
	v_lshlrev_b64 v[21:22], 1, v[21:22]
	v_add_co_u32_e64 v21, s[40:41], s68, v21
	v_addc_co_u32_e64 v22, s[40:41], v99, v22, s[40:41]
	global_store_short v[21:22], v103, off
	s_or_b64 exec, exec, s[42:43]
	v_cmp_lt_u32_e64 s[40:41], v28, v96
	s_and_saveexec_b64 s[44:45], s[40:41]
	s_cbranch_execz .LBB2083_616
.LBB2083_652:                           ;   in Loop: Header=BB2083_566 Depth=2
	ds_read_u16 v21, v47 offset:2560
	v_mov_b32_e32 v22, v3
	v_mov_b32_e32 v99, s69
	s_waitcnt lgkmcnt(0)
	v_cmp_ne_u16_e64 s[42:43], s62, v21
	v_cndmask_b32_e64 v97, v65, v21, s[42:43]
	v_lshrrev_b32_sdwa v97, s77, v97 dst_sel:DWORD dst_unused:UNUSED_PAD src0_sel:DWORD src1_sel:WORD_0
	v_and_b32_e32 v97, s70, v97
	v_lshlrev_b32_e32 v97, 2, v97
	ds_read_b32 v97, v97
	v_cmp_lt_i16_e64 s[42:43], -1, v21
	v_cndmask_b32_e64 v103, v65, -1, s[42:43]
	v_xor_b32_e32 v103, v103, v21
	s_waitcnt lgkmcnt(0)
	v_add_u32_e32 v21, v97, v28
	v_lshlrev_b64 v[21:22], 1, v[21:22]
	v_add_co_u32_e64 v21, s[42:43], s68, v21
	v_addc_co_u32_e64 v22, s[42:43], v99, v22, s[42:43]
	global_store_short v[21:22], v103, off
	s_or_b64 exec, exec, s[44:45]
	v_cmp_lt_u32_e64 s[42:43], v31, v96
	s_and_saveexec_b64 s[46:47], s[42:43]
	s_cbranch_execz .LBB2083_617
.LBB2083_653:                           ;   in Loop: Header=BB2083_566 Depth=2
	ds_read_u16 v21, v47 offset:3072
	v_mov_b32_e32 v22, v3
	v_mov_b32_e32 v99, s69
	s_waitcnt lgkmcnt(0)
	v_cmp_ne_u16_e64 s[44:45], s62, v21
	v_cndmask_b32_e64 v97, v65, v21, s[44:45]
	v_lshrrev_b32_sdwa v97, s77, v97 dst_sel:DWORD dst_unused:UNUSED_PAD src0_sel:DWORD src1_sel:WORD_0
	v_and_b32_e32 v97, s70, v97
	v_lshlrev_b32_e32 v97, 2, v97
	ds_read_b32 v97, v97
	v_cmp_lt_i16_e64 s[44:45], -1, v21
	v_cndmask_b32_e64 v103, v65, -1, s[44:45]
	v_xor_b32_e32 v103, v103, v21
	s_waitcnt lgkmcnt(0)
	v_add_u32_e32 v21, v97, v31
	v_lshlrev_b64 v[21:22], 1, v[21:22]
	v_add_co_u32_e64 v21, s[44:45], s68, v21
	v_addc_co_u32_e64 v22, s[44:45], v99, v22, s[44:45]
	global_store_short v[21:22], v103, off
	s_or_b64 exec, exec, s[46:47]
	v_cmp_lt_u32_e64 s[44:45], v32, v96
	s_and_saveexec_b64 s[48:49], s[44:45]
	s_cbranch_execz .LBB2083_618
.LBB2083_654:                           ;   in Loop: Header=BB2083_566 Depth=2
	ds_read_u16 v21, v47 offset:3584
	v_mov_b32_e32 v22, v3
	v_mov_b32_e32 v99, s69
	s_waitcnt lgkmcnt(0)
	v_cmp_ne_u16_e64 s[46:47], s62, v21
	v_cndmask_b32_e64 v97, v65, v21, s[46:47]
	v_lshrrev_b32_sdwa v97, s77, v97 dst_sel:DWORD dst_unused:UNUSED_PAD src0_sel:DWORD src1_sel:WORD_0
	v_and_b32_e32 v97, s70, v97
	v_lshlrev_b32_e32 v97, 2, v97
	ds_read_b32 v97, v97
	v_cmp_lt_i16_e64 s[46:47], -1, v21
	v_cndmask_b32_e64 v103, v65, -1, s[46:47]
	v_xor_b32_e32 v103, v103, v21
	s_waitcnt lgkmcnt(0)
	v_add_u32_e32 v21, v97, v32
	v_lshlrev_b64 v[21:22], 1, v[21:22]
	v_add_co_u32_e64 v21, s[46:47], s68, v21
	v_addc_co_u32_e64 v22, s[46:47], v99, v22, s[46:47]
	global_store_short v[21:22], v103, off
	s_or_b64 exec, exec, s[48:49]
	v_cmp_lt_u32_e64 s[46:47], v33, v96
	s_and_saveexec_b64 s[52:53], s[46:47]
	s_cbranch_execz .LBB2083_619
.LBB2083_655:                           ;   in Loop: Header=BB2083_566 Depth=2
	ds_read_u16 v21, v47 offset:4096
	v_mov_b32_e32 v22, v3
	v_mov_b32_e32 v99, s69
	s_waitcnt lgkmcnt(0)
	v_cmp_ne_u16_e64 s[48:49], s62, v21
	v_cndmask_b32_e64 v97, v65, v21, s[48:49]
	v_lshrrev_b32_sdwa v97, s77, v97 dst_sel:DWORD dst_unused:UNUSED_PAD src0_sel:DWORD src1_sel:WORD_0
	v_and_b32_e32 v97, s70, v97
	v_lshlrev_b32_e32 v97, 2, v97
	ds_read_b32 v97, v97
	v_cmp_lt_i16_e64 s[48:49], -1, v21
	v_cndmask_b32_e64 v103, v65, -1, s[48:49]
	v_xor_b32_e32 v103, v103, v21
	s_waitcnt lgkmcnt(0)
	v_add_u32_e32 v21, v97, v33
	v_lshlrev_b64 v[21:22], 1, v[21:22]
	v_add_co_u32_e64 v21, s[48:49], s68, v21
	v_addc_co_u32_e64 v22, s[48:49], v99, v22, s[48:49]
	global_store_short v[21:22], v103, off
	s_or_b64 exec, exec, s[52:53]
	v_cmp_lt_u32_e64 s[48:49], v34, v96
	s_and_saveexec_b64 s[60:61], s[48:49]
	s_cbranch_execnz .LBB2083_620
	s_branch .LBB2083_621
.LBB2083_656:                           ;   in Loop: Header=BB2083_566 Depth=2
	global_load_dwordx2 v[19:20], v[21:22], off
	s_or_b64 exec, exec, s[52:53]
	v_cmp_lt_u32_e64 s[52:53], v74, v96
	s_and_saveexec_b64 s[60:61], s[52:53]
	s_cbranch_execz .LBB2083_623
.LBB2083_657:                           ;   in Loop: Header=BB2083_566 Depth=2
	global_load_dwordx2 v[17:18], v[21:22], off offset:512
	s_or_b64 exec, exec, s[60:61]
	v_cmp_lt_u32_e64 s[52:53], v75, v96
	s_and_saveexec_b64 s[60:61], s[52:53]
	s_cbranch_execz .LBB2083_624
.LBB2083_658:                           ;   in Loop: Header=BB2083_566 Depth=2
	global_load_dwordx2 v[15:16], v[21:22], off offset:1024
	s_or_b64 exec, exec, s[60:61]
	v_cmp_lt_u32_e64 s[52:53], v76, v96
	s_and_saveexec_b64 s[60:61], s[52:53]
	s_cbranch_execz .LBB2083_625
.LBB2083_659:                           ;   in Loop: Header=BB2083_566 Depth=2
	global_load_dwordx2 v[13:14], v[21:22], off offset:1536
	s_or_b64 exec, exec, s[60:61]
	v_cmp_lt_u32_e64 s[52:53], v77, v96
	s_and_saveexec_b64 s[60:61], s[52:53]
	s_cbranch_execz .LBB2083_626
.LBB2083_660:                           ;   in Loop: Header=BB2083_566 Depth=2
	global_load_dwordx2 v[11:12], v[21:22], off offset:2048
	s_or_b64 exec, exec, s[60:61]
	v_cmp_lt_u32_e64 s[52:53], v78, v96
	s_and_saveexec_b64 s[60:61], s[52:53]
	s_cbranch_execz .LBB2083_627
.LBB2083_661:                           ;   in Loop: Header=BB2083_566 Depth=2
	global_load_dwordx2 v[9:10], v[21:22], off offset:2560
	s_or_b64 exec, exec, s[60:61]
	v_cmp_lt_u32_e64 s[52:53], v79, v96
	s_and_saveexec_b64 s[60:61], s[52:53]
	s_cbranch_execz .LBB2083_628
.LBB2083_662:                           ;   in Loop: Header=BB2083_566 Depth=2
	global_load_dwordx2 v[7:8], v[21:22], off offset:3072
	s_or_b64 exec, exec, s[60:61]
	v_cmp_lt_u32_e64 s[52:53], v80, v96
	s_and_saveexec_b64 s[60:61], s[52:53]
	s_cbranch_execz .LBB2083_629
.LBB2083_663:                           ;   in Loop: Header=BB2083_566 Depth=2
	global_load_dwordx2 v[5:6], v[21:22], off offset:3584
	s_or_b64 exec, exec, s[60:61]
	s_and_saveexec_b64 s[60:61], vcc
	s_cbranch_execz .LBB2083_630
.LBB2083_664:                           ;   in Loop: Header=BB2083_566 Depth=2
	ds_read_u16 v21, v47 offset:1024
	s_waitcnt lgkmcnt(0)
	v_cmp_ne_u16_e64 s[52:53], s62, v21
	v_cndmask_b32_e64 v21, v65, v21, s[52:53]
	v_lshrrev_b32_sdwa v21, s77, v21 dst_sel:DWORD dst_unused:UNUSED_PAD src0_sel:DWORD src1_sel:WORD_0
	v_and_b32_e32 v95, s70, v21
	s_or_b64 exec, exec, s[60:61]
	s_and_saveexec_b64 s[60:61], s[36:37]
	s_cbranch_execz .LBB2083_631
.LBB2083_665:                           ;   in Loop: Header=BB2083_566 Depth=2
	ds_read_u16 v21, v47 offset:1536
	s_waitcnt lgkmcnt(0)
	v_cmp_ne_u16_e64 s[52:53], s62, v21
	v_cndmask_b32_e64 v21, v65, v21, s[52:53]
	v_lshrrev_b32_sdwa v21, s77, v21 dst_sel:DWORD dst_unused:UNUSED_PAD src0_sel:DWORD src1_sel:WORD_0
	v_and_b32_e32 v94, s70, v21
	s_or_b64 exec, exec, s[60:61]
	s_and_saveexec_b64 s[60:61], s[38:39]
	s_cbranch_execz .LBB2083_632
.LBB2083_666:                           ;   in Loop: Header=BB2083_566 Depth=2
	ds_read_u16 v21, v47 offset:2048
	s_waitcnt lgkmcnt(0)
	v_cmp_ne_u16_e64 s[52:53], s62, v21
	v_cndmask_b32_e64 v21, v65, v21, s[52:53]
	v_lshrrev_b32_sdwa v21, s77, v21 dst_sel:DWORD dst_unused:UNUSED_PAD src0_sel:DWORD src1_sel:WORD_0
	v_and_b32_e32 v93, s70, v21
	s_or_b64 exec, exec, s[60:61]
	s_and_saveexec_b64 s[60:61], s[40:41]
	s_cbranch_execz .LBB2083_633
.LBB2083_667:                           ;   in Loop: Header=BB2083_566 Depth=2
	ds_read_u16 v21, v47 offset:2560
	s_waitcnt lgkmcnt(0)
	v_cmp_ne_u16_e64 s[52:53], s62, v21
	v_cndmask_b32_e64 v21, v65, v21, s[52:53]
	v_lshrrev_b32_sdwa v21, s77, v21 dst_sel:DWORD dst_unused:UNUSED_PAD src0_sel:DWORD src1_sel:WORD_0
	v_and_b32_e32 v92, s70, v21
	s_or_b64 exec, exec, s[60:61]
	s_and_saveexec_b64 s[60:61], s[42:43]
	s_cbranch_execz .LBB2083_634
.LBB2083_668:                           ;   in Loop: Header=BB2083_566 Depth=2
	ds_read_u16 v21, v47 offset:3072
	s_waitcnt lgkmcnt(0)
	v_cmp_ne_u16_e64 s[52:53], s62, v21
	v_cndmask_b32_e64 v21, v65, v21, s[52:53]
	v_lshrrev_b32_sdwa v21, s77, v21 dst_sel:DWORD dst_unused:UNUSED_PAD src0_sel:DWORD src1_sel:WORD_0
	v_and_b32_e32 v90, s70, v21
	s_or_b64 exec, exec, s[60:61]
	s_and_saveexec_b64 s[60:61], s[44:45]
	s_cbranch_execz .LBB2083_635
.LBB2083_669:                           ;   in Loop: Header=BB2083_566 Depth=2
	ds_read_u16 v21, v47 offset:3584
	s_waitcnt lgkmcnt(0)
	v_cmp_ne_u16_e64 s[52:53], s62, v21
	v_cndmask_b32_e64 v21, v65, v21, s[52:53]
	v_lshrrev_b32_sdwa v21, s77, v21 dst_sel:DWORD dst_unused:UNUSED_PAD src0_sel:DWORD src1_sel:WORD_0
	v_and_b32_e32 v89, s70, v21
	s_or_b64 exec, exec, s[60:61]
	s_and_saveexec_b64 s[60:61], s[46:47]
	s_cbranch_execz .LBB2083_636
.LBB2083_670:                           ;   in Loop: Header=BB2083_566 Depth=2
	ds_read_u16 v21, v47 offset:4096
	s_waitcnt lgkmcnt(0)
	v_cmp_ne_u16_e64 s[52:53], s62, v21
	v_cndmask_b32_e64 v21, v65, v21, s[52:53]
	v_lshrrev_b32_sdwa v21, s77, v21 dst_sel:DWORD dst_unused:UNUSED_PAD src0_sel:DWORD src1_sel:WORD_0
	v_and_b32_e32 v88, s70, v21
	s_or_b64 exec, exec, s[60:61]
	s_and_saveexec_b64 s[60:61], s[48:49]
	s_cbranch_execnz .LBB2083_637
	s_branch .LBB2083_638
.LBB2083_671:                           ;   in Loop: Header=BB2083_566 Depth=2
	v_lshlrev_b32_e32 v22, 2, v95
	ds_read_b32 v24, v22
	ds_read_b64 v[22:23], v21 offset:1024
	v_mov_b32_e32 v97, v3
	v_mov_b32_e32 v98, s75
	s_waitcnt lgkmcnt(1)
	v_add_u32_e32 v96, v24, v0
	v_lshlrev_b64 v[96:97], 3, v[96:97]
	v_add_co_u32_e32 v96, vcc, s74, v96
	v_addc_co_u32_e32 v97, vcc, v98, v97, vcc
	s_waitcnt lgkmcnt(0)
	global_store_dwordx2 v[96:97], v[22:23], off
	s_or_b64 exec, exec, s[52:53]
	s_and_saveexec_b64 s[52:53], s[36:37]
	s_cbranch_execz .LBB2083_640
.LBB2083_672:                           ;   in Loop: Header=BB2083_566 Depth=2
	v_lshlrev_b32_e32 v22, 2, v94
	ds_read_b32 v24, v22
	ds_read_b64 v[22:23], v21 offset:3072
	v_mov_b32_e32 v97, v3
	v_mov_b32_e32 v98, s75
	s_waitcnt lgkmcnt(1)
	v_add_u32_e32 v96, v24, v26
	v_lshlrev_b64 v[96:97], 3, v[96:97]
	v_add_co_u32_e32 v96, vcc, s74, v96
	v_addc_co_u32_e32 v97, vcc, v98, v97, vcc
	s_waitcnt lgkmcnt(0)
	global_store_dwordx2 v[96:97], v[22:23], off
	s_or_b64 exec, exec, s[52:53]
	s_and_saveexec_b64 s[36:37], s[38:39]
	s_cbranch_execz .LBB2083_641
.LBB2083_673:                           ;   in Loop: Header=BB2083_566 Depth=2
	v_lshlrev_b32_e32 v22, 2, v93
	ds_read_b32 v24, v22
	ds_read_b64 v[22:23], v21 offset:5120
	v_mov_b32_e32 v97, v3
	v_mov_b32_e32 v98, s75
	s_waitcnt lgkmcnt(1)
	v_add_u32_e32 v96, v24, v27
	v_lshlrev_b64 v[96:97], 3, v[96:97]
	v_add_co_u32_e32 v96, vcc, s74, v96
	v_addc_co_u32_e32 v97, vcc, v98, v97, vcc
	s_waitcnt lgkmcnt(0)
	global_store_dwordx2 v[96:97], v[22:23], off
	s_or_b64 exec, exec, s[36:37]
	s_and_saveexec_b64 s[36:37], s[40:41]
	s_cbranch_execz .LBB2083_642
.LBB2083_674:                           ;   in Loop: Header=BB2083_566 Depth=2
	v_lshlrev_b32_e32 v22, 2, v92
	ds_read_b32 v24, v22
	ds_read_b64 v[22:23], v21 offset:7168
	v_mov_b32_e32 v97, v3
	v_mov_b32_e32 v98, s75
	s_waitcnt lgkmcnt(1)
	v_add_u32_e32 v96, v24, v28
	v_lshlrev_b64 v[96:97], 3, v[96:97]
	v_add_co_u32_e32 v96, vcc, s74, v96
	v_addc_co_u32_e32 v97, vcc, v98, v97, vcc
	s_waitcnt lgkmcnt(0)
	global_store_dwordx2 v[96:97], v[22:23], off
	s_or_b64 exec, exec, s[36:37]
	s_and_saveexec_b64 s[36:37], s[42:43]
	s_cbranch_execz .LBB2083_643
.LBB2083_675:                           ;   in Loop: Header=BB2083_566 Depth=2
	v_lshlrev_b32_e32 v22, 2, v90
	ds_read_b32 v24, v22
	ds_read_b64 v[22:23], v21 offset:9216
	v_mov_b32_e32 v97, v3
	v_mov_b32_e32 v98, s75
	s_waitcnt lgkmcnt(1)
	v_add_u32_e32 v96, v24, v31
	v_lshlrev_b64 v[96:97], 3, v[96:97]
	v_add_co_u32_e32 v96, vcc, s74, v96
	v_addc_co_u32_e32 v97, vcc, v98, v97, vcc
	s_waitcnt lgkmcnt(0)
	global_store_dwordx2 v[96:97], v[22:23], off
	s_or_b64 exec, exec, s[36:37]
	s_and_saveexec_b64 s[36:37], s[44:45]
	s_cbranch_execz .LBB2083_644
.LBB2083_676:                           ;   in Loop: Header=BB2083_566 Depth=2
	v_lshlrev_b32_e32 v22, 2, v89
	ds_read_b32 v24, v22
	ds_read_b64 v[22:23], v21 offset:11264
	v_mov_b32_e32 v97, v3
	v_mov_b32_e32 v98, s75
	s_waitcnt lgkmcnt(1)
	v_add_u32_e32 v96, v24, v32
	v_lshlrev_b64 v[96:97], 3, v[96:97]
	v_add_co_u32_e32 v96, vcc, s74, v96
	v_addc_co_u32_e32 v97, vcc, v98, v97, vcc
	s_waitcnt lgkmcnt(0)
	global_store_dwordx2 v[96:97], v[22:23], off
	s_or_b64 exec, exec, s[36:37]
	s_and_saveexec_b64 s[36:37], s[46:47]
	s_cbranch_execz .LBB2083_645
.LBB2083_677:                           ;   in Loop: Header=BB2083_566 Depth=2
	v_lshlrev_b32_e32 v22, 2, v88
	ds_read_b32 v24, v22
	ds_read_b64 v[22:23], v21 offset:13312
	v_mov_b32_e32 v97, v3
	v_mov_b32_e32 v98, s75
	s_waitcnt lgkmcnt(1)
	v_add_u32_e32 v96, v24, v33
	v_lshlrev_b64 v[96:97], 3, v[96:97]
	v_add_co_u32_e32 v96, vcc, s74, v96
	v_addc_co_u32_e32 v97, vcc, v98, v97, vcc
	s_waitcnt lgkmcnt(0)
	global_store_dwordx2 v[96:97], v[22:23], off
	s_or_b64 exec, exec, s[36:37]
	s_and_saveexec_b64 s[36:37], s[48:49]
	s_cbranch_execnz .LBB2083_646
	s_branch .LBB2083_647
.LBB2083_678:
	s_endpgm
	.section	.rodata,"a",@progbits
	.p2align	6, 0x0
	.amdhsa_kernel _ZN7rocprim17ROCPRIM_400000_NS6detail17trampoline_kernelINS0_14default_configENS1_36segmented_radix_sort_config_selectorI12hip_bfloat16lEEZNS1_25segmented_radix_sort_implIS3_Lb0EPKS5_PS5_PKlPlN2at6native12_GLOBAL__N_18offset_tEEE10hipError_tPvRmT1_PNSt15iterator_traitsISL_E10value_typeET2_T3_PNSM_ISR_E10value_typeET4_jRbjT5_SX_jjP12ihipStream_tbEUlT_E2_NS1_11comp_targetILNS1_3genE2ELNS1_11target_archE906ELNS1_3gpuE6ELNS1_3repE0EEENS1_30default_config_static_selectorELNS0_4arch9wavefront6targetE1EEEvSL_
		.amdhsa_group_segment_fixed_size 17424
		.amdhsa_private_segment_fixed_size 0
		.amdhsa_kernarg_size 336
		.amdhsa_user_sgpr_count 6
		.amdhsa_user_sgpr_private_segment_buffer 1
		.amdhsa_user_sgpr_dispatch_ptr 0
		.amdhsa_user_sgpr_queue_ptr 0
		.amdhsa_user_sgpr_kernarg_segment_ptr 1
		.amdhsa_user_sgpr_dispatch_id 0
		.amdhsa_user_sgpr_flat_scratch_init 0
		.amdhsa_user_sgpr_private_segment_size 0
		.amdhsa_uses_dynamic_stack 0
		.amdhsa_system_sgpr_private_segment_wavefront_offset 0
		.amdhsa_system_sgpr_workgroup_id_x 1
		.amdhsa_system_sgpr_workgroup_id_y 1
		.amdhsa_system_sgpr_workgroup_id_z 0
		.amdhsa_system_sgpr_workgroup_info 0
		.amdhsa_system_vgpr_workitem_id 2
		.amdhsa_next_free_vgpr 195
		.amdhsa_next_free_sgpr 98
		.amdhsa_reserve_vcc 1
		.amdhsa_reserve_flat_scratch 0
		.amdhsa_float_round_mode_32 0
		.amdhsa_float_round_mode_16_64 0
		.amdhsa_float_denorm_mode_32 3
		.amdhsa_float_denorm_mode_16_64 3
		.amdhsa_dx10_clamp 1
		.amdhsa_ieee_mode 1
		.amdhsa_fp16_overflow 0
		.amdhsa_exception_fp_ieee_invalid_op 0
		.amdhsa_exception_fp_denorm_src 0
		.amdhsa_exception_fp_ieee_div_zero 0
		.amdhsa_exception_fp_ieee_overflow 0
		.amdhsa_exception_fp_ieee_underflow 0
		.amdhsa_exception_fp_ieee_inexact 0
		.amdhsa_exception_int_div_zero 0
	.end_amdhsa_kernel
	.section	.text._ZN7rocprim17ROCPRIM_400000_NS6detail17trampoline_kernelINS0_14default_configENS1_36segmented_radix_sort_config_selectorI12hip_bfloat16lEEZNS1_25segmented_radix_sort_implIS3_Lb0EPKS5_PS5_PKlPlN2at6native12_GLOBAL__N_18offset_tEEE10hipError_tPvRmT1_PNSt15iterator_traitsISL_E10value_typeET2_T3_PNSM_ISR_E10value_typeET4_jRbjT5_SX_jjP12ihipStream_tbEUlT_E2_NS1_11comp_targetILNS1_3genE2ELNS1_11target_archE906ELNS1_3gpuE6ELNS1_3repE0EEENS1_30default_config_static_selectorELNS0_4arch9wavefront6targetE1EEEvSL_,"axG",@progbits,_ZN7rocprim17ROCPRIM_400000_NS6detail17trampoline_kernelINS0_14default_configENS1_36segmented_radix_sort_config_selectorI12hip_bfloat16lEEZNS1_25segmented_radix_sort_implIS3_Lb0EPKS5_PS5_PKlPlN2at6native12_GLOBAL__N_18offset_tEEE10hipError_tPvRmT1_PNSt15iterator_traitsISL_E10value_typeET2_T3_PNSM_ISR_E10value_typeET4_jRbjT5_SX_jjP12ihipStream_tbEUlT_E2_NS1_11comp_targetILNS1_3genE2ELNS1_11target_archE906ELNS1_3gpuE6ELNS1_3repE0EEENS1_30default_config_static_selectorELNS0_4arch9wavefront6targetE1EEEvSL_,comdat
.Lfunc_end2083:
	.size	_ZN7rocprim17ROCPRIM_400000_NS6detail17trampoline_kernelINS0_14default_configENS1_36segmented_radix_sort_config_selectorI12hip_bfloat16lEEZNS1_25segmented_radix_sort_implIS3_Lb0EPKS5_PS5_PKlPlN2at6native12_GLOBAL__N_18offset_tEEE10hipError_tPvRmT1_PNSt15iterator_traitsISL_E10value_typeET2_T3_PNSM_ISR_E10value_typeET4_jRbjT5_SX_jjP12ihipStream_tbEUlT_E2_NS1_11comp_targetILNS1_3genE2ELNS1_11target_archE906ELNS1_3gpuE6ELNS1_3repE0EEENS1_30default_config_static_selectorELNS0_4arch9wavefront6targetE1EEEvSL_, .Lfunc_end2083-_ZN7rocprim17ROCPRIM_400000_NS6detail17trampoline_kernelINS0_14default_configENS1_36segmented_radix_sort_config_selectorI12hip_bfloat16lEEZNS1_25segmented_radix_sort_implIS3_Lb0EPKS5_PS5_PKlPlN2at6native12_GLOBAL__N_18offset_tEEE10hipError_tPvRmT1_PNSt15iterator_traitsISL_E10value_typeET2_T3_PNSM_ISR_E10value_typeET4_jRbjT5_SX_jjP12ihipStream_tbEUlT_E2_NS1_11comp_targetILNS1_3genE2ELNS1_11target_archE906ELNS1_3gpuE6ELNS1_3repE0EEENS1_30default_config_static_selectorELNS0_4arch9wavefront6targetE1EEEvSL_
                                        ; -- End function
	.set _ZN7rocprim17ROCPRIM_400000_NS6detail17trampoline_kernelINS0_14default_configENS1_36segmented_radix_sort_config_selectorI12hip_bfloat16lEEZNS1_25segmented_radix_sort_implIS3_Lb0EPKS5_PS5_PKlPlN2at6native12_GLOBAL__N_18offset_tEEE10hipError_tPvRmT1_PNSt15iterator_traitsISL_E10value_typeET2_T3_PNSM_ISR_E10value_typeET4_jRbjT5_SX_jjP12ihipStream_tbEUlT_E2_NS1_11comp_targetILNS1_3genE2ELNS1_11target_archE906ELNS1_3gpuE6ELNS1_3repE0EEENS1_30default_config_static_selectorELNS0_4arch9wavefront6targetE1EEEvSL_.num_vgpr, max(130, .L_ZN7rocprim17ROCPRIM_400000_NS6detail26segmented_warp_sort_helperINS1_20WarpSortHelperConfigILj8ELj4ELj256EEE12hip_bfloat16lLi256ELb0EvE4sortIPKS5_PS5_PKlPlEEvT_T0_T1_T2_jjjjRNS6_12storage_typeE.num_vgpr, .L_ZN7rocprim17ROCPRIM_400000_NS6detail40segmented_radix_sort_single_block_helperI12hip_bfloat16lLj256ELj8ELb0EE4sortIPKS3_PS3_PKlPlEEbT_T0_T1_T2_jjjjRNS4_12storage_typeE.num_vgpr)
	.set _ZN7rocprim17ROCPRIM_400000_NS6detail17trampoline_kernelINS0_14default_configENS1_36segmented_radix_sort_config_selectorI12hip_bfloat16lEEZNS1_25segmented_radix_sort_implIS3_Lb0EPKS5_PS5_PKlPlN2at6native12_GLOBAL__N_18offset_tEEE10hipError_tPvRmT1_PNSt15iterator_traitsISL_E10value_typeET2_T3_PNSM_ISR_E10value_typeET4_jRbjT5_SX_jjP12ihipStream_tbEUlT_E2_NS1_11comp_targetILNS1_3genE2ELNS1_11target_archE906ELNS1_3gpuE6ELNS1_3repE0EEENS1_30default_config_static_selectorELNS0_4arch9wavefront6targetE1EEEvSL_.num_agpr, max(0, .L_ZN7rocprim17ROCPRIM_400000_NS6detail26segmented_warp_sort_helperINS1_20WarpSortHelperConfigILj8ELj4ELj256EEE12hip_bfloat16lLi256ELb0EvE4sortIPKS5_PS5_PKlPlEEvT_T0_T1_T2_jjjjRNS6_12storage_typeE.num_agpr, .L_ZN7rocprim17ROCPRIM_400000_NS6detail40segmented_radix_sort_single_block_helperI12hip_bfloat16lLj256ELj8ELb0EE4sortIPKS3_PS3_PKlPlEEbT_T0_T1_T2_jjjjRNS4_12storage_typeE.num_agpr)
	.set _ZN7rocprim17ROCPRIM_400000_NS6detail17trampoline_kernelINS0_14default_configENS1_36segmented_radix_sort_config_selectorI12hip_bfloat16lEEZNS1_25segmented_radix_sort_implIS3_Lb0EPKS5_PS5_PKlPlN2at6native12_GLOBAL__N_18offset_tEEE10hipError_tPvRmT1_PNSt15iterator_traitsISL_E10value_typeET2_T3_PNSM_ISR_E10value_typeET4_jRbjT5_SX_jjP12ihipStream_tbEUlT_E2_NS1_11comp_targetILNS1_3genE2ELNS1_11target_archE906ELNS1_3gpuE6ELNS1_3repE0EEENS1_30default_config_static_selectorELNS0_4arch9wavefront6targetE1EEEvSL_.numbered_sgpr, max(81, .L_ZN7rocprim17ROCPRIM_400000_NS6detail26segmented_warp_sort_helperINS1_20WarpSortHelperConfigILj8ELj4ELj256EEE12hip_bfloat16lLi256ELb0EvE4sortIPKS5_PS5_PKlPlEEvT_T0_T1_T2_jjjjRNS6_12storage_typeE.numbered_sgpr, .L_ZN7rocprim17ROCPRIM_400000_NS6detail40segmented_radix_sort_single_block_helperI12hip_bfloat16lLj256ELj8ELb0EE4sortIPKS3_PS3_PKlPlEEbT_T0_T1_T2_jjjjRNS4_12storage_typeE.numbered_sgpr)
	.set _ZN7rocprim17ROCPRIM_400000_NS6detail17trampoline_kernelINS0_14default_configENS1_36segmented_radix_sort_config_selectorI12hip_bfloat16lEEZNS1_25segmented_radix_sort_implIS3_Lb0EPKS5_PS5_PKlPlN2at6native12_GLOBAL__N_18offset_tEEE10hipError_tPvRmT1_PNSt15iterator_traitsISL_E10value_typeET2_T3_PNSM_ISR_E10value_typeET4_jRbjT5_SX_jjP12ihipStream_tbEUlT_E2_NS1_11comp_targetILNS1_3genE2ELNS1_11target_archE906ELNS1_3gpuE6ELNS1_3repE0EEENS1_30default_config_static_selectorELNS0_4arch9wavefront6targetE1EEEvSL_.num_named_barrier, max(0, .L_ZN7rocprim17ROCPRIM_400000_NS6detail26segmented_warp_sort_helperINS1_20WarpSortHelperConfigILj8ELj4ELj256EEE12hip_bfloat16lLi256ELb0EvE4sortIPKS5_PS5_PKlPlEEvT_T0_T1_T2_jjjjRNS6_12storage_typeE.num_named_barrier, .L_ZN7rocprim17ROCPRIM_400000_NS6detail40segmented_radix_sort_single_block_helperI12hip_bfloat16lLj256ELj8ELb0EE4sortIPKS3_PS3_PKlPlEEbT_T0_T1_T2_jjjjRNS4_12storage_typeE.num_named_barrier)
	.set _ZN7rocprim17ROCPRIM_400000_NS6detail17trampoline_kernelINS0_14default_configENS1_36segmented_radix_sort_config_selectorI12hip_bfloat16lEEZNS1_25segmented_radix_sort_implIS3_Lb0EPKS5_PS5_PKlPlN2at6native12_GLOBAL__N_18offset_tEEE10hipError_tPvRmT1_PNSt15iterator_traitsISL_E10value_typeET2_T3_PNSM_ISR_E10value_typeET4_jRbjT5_SX_jjP12ihipStream_tbEUlT_E2_NS1_11comp_targetILNS1_3genE2ELNS1_11target_archE906ELNS1_3gpuE6ELNS1_3repE0EEENS1_30default_config_static_selectorELNS0_4arch9wavefront6targetE1EEEvSL_.private_seg_size, 0+max(.L_ZN7rocprim17ROCPRIM_400000_NS6detail26segmented_warp_sort_helperINS1_20WarpSortHelperConfigILj8ELj4ELj256EEE12hip_bfloat16lLi256ELb0EvE4sortIPKS5_PS5_PKlPlEEvT_T0_T1_T2_jjjjRNS6_12storage_typeE.private_seg_size, .L_ZN7rocprim17ROCPRIM_400000_NS6detail40segmented_radix_sort_single_block_helperI12hip_bfloat16lLj256ELj8ELb0EE4sortIPKS3_PS3_PKlPlEEbT_T0_T1_T2_jjjjRNS4_12storage_typeE.private_seg_size)
	.set _ZN7rocprim17ROCPRIM_400000_NS6detail17trampoline_kernelINS0_14default_configENS1_36segmented_radix_sort_config_selectorI12hip_bfloat16lEEZNS1_25segmented_radix_sort_implIS3_Lb0EPKS5_PS5_PKlPlN2at6native12_GLOBAL__N_18offset_tEEE10hipError_tPvRmT1_PNSt15iterator_traitsISL_E10value_typeET2_T3_PNSM_ISR_E10value_typeET4_jRbjT5_SX_jjP12ihipStream_tbEUlT_E2_NS1_11comp_targetILNS1_3genE2ELNS1_11target_archE906ELNS1_3gpuE6ELNS1_3repE0EEENS1_30default_config_static_selectorELNS0_4arch9wavefront6targetE1EEEvSL_.uses_vcc, or(1, .L_ZN7rocprim17ROCPRIM_400000_NS6detail26segmented_warp_sort_helperINS1_20WarpSortHelperConfigILj8ELj4ELj256EEE12hip_bfloat16lLi256ELb0EvE4sortIPKS5_PS5_PKlPlEEvT_T0_T1_T2_jjjjRNS6_12storage_typeE.uses_vcc, .L_ZN7rocprim17ROCPRIM_400000_NS6detail40segmented_radix_sort_single_block_helperI12hip_bfloat16lLj256ELj8ELb0EE4sortIPKS3_PS3_PKlPlEEbT_T0_T1_T2_jjjjRNS4_12storage_typeE.uses_vcc)
	.set _ZN7rocprim17ROCPRIM_400000_NS6detail17trampoline_kernelINS0_14default_configENS1_36segmented_radix_sort_config_selectorI12hip_bfloat16lEEZNS1_25segmented_radix_sort_implIS3_Lb0EPKS5_PS5_PKlPlN2at6native12_GLOBAL__N_18offset_tEEE10hipError_tPvRmT1_PNSt15iterator_traitsISL_E10value_typeET2_T3_PNSM_ISR_E10value_typeET4_jRbjT5_SX_jjP12ihipStream_tbEUlT_E2_NS1_11comp_targetILNS1_3genE2ELNS1_11target_archE906ELNS1_3gpuE6ELNS1_3repE0EEENS1_30default_config_static_selectorELNS0_4arch9wavefront6targetE1EEEvSL_.uses_flat_scratch, or(0, .L_ZN7rocprim17ROCPRIM_400000_NS6detail26segmented_warp_sort_helperINS1_20WarpSortHelperConfigILj8ELj4ELj256EEE12hip_bfloat16lLi256ELb0EvE4sortIPKS5_PS5_PKlPlEEvT_T0_T1_T2_jjjjRNS6_12storage_typeE.uses_flat_scratch, .L_ZN7rocprim17ROCPRIM_400000_NS6detail40segmented_radix_sort_single_block_helperI12hip_bfloat16lLj256ELj8ELb0EE4sortIPKS3_PS3_PKlPlEEbT_T0_T1_T2_jjjjRNS4_12storage_typeE.uses_flat_scratch)
	.set _ZN7rocprim17ROCPRIM_400000_NS6detail17trampoline_kernelINS0_14default_configENS1_36segmented_radix_sort_config_selectorI12hip_bfloat16lEEZNS1_25segmented_radix_sort_implIS3_Lb0EPKS5_PS5_PKlPlN2at6native12_GLOBAL__N_18offset_tEEE10hipError_tPvRmT1_PNSt15iterator_traitsISL_E10value_typeET2_T3_PNSM_ISR_E10value_typeET4_jRbjT5_SX_jjP12ihipStream_tbEUlT_E2_NS1_11comp_targetILNS1_3genE2ELNS1_11target_archE906ELNS1_3gpuE6ELNS1_3repE0EEENS1_30default_config_static_selectorELNS0_4arch9wavefront6targetE1EEEvSL_.has_dyn_sized_stack, or(0, .L_ZN7rocprim17ROCPRIM_400000_NS6detail26segmented_warp_sort_helperINS1_20WarpSortHelperConfigILj8ELj4ELj256EEE12hip_bfloat16lLi256ELb0EvE4sortIPKS5_PS5_PKlPlEEvT_T0_T1_T2_jjjjRNS6_12storage_typeE.has_dyn_sized_stack, .L_ZN7rocprim17ROCPRIM_400000_NS6detail40segmented_radix_sort_single_block_helperI12hip_bfloat16lLj256ELj8ELb0EE4sortIPKS3_PS3_PKlPlEEbT_T0_T1_T2_jjjjRNS4_12storage_typeE.has_dyn_sized_stack)
	.set _ZN7rocprim17ROCPRIM_400000_NS6detail17trampoline_kernelINS0_14default_configENS1_36segmented_radix_sort_config_selectorI12hip_bfloat16lEEZNS1_25segmented_radix_sort_implIS3_Lb0EPKS5_PS5_PKlPlN2at6native12_GLOBAL__N_18offset_tEEE10hipError_tPvRmT1_PNSt15iterator_traitsISL_E10value_typeET2_T3_PNSM_ISR_E10value_typeET4_jRbjT5_SX_jjP12ihipStream_tbEUlT_E2_NS1_11comp_targetILNS1_3genE2ELNS1_11target_archE906ELNS1_3gpuE6ELNS1_3repE0EEENS1_30default_config_static_selectorELNS0_4arch9wavefront6targetE1EEEvSL_.has_recursion, or(0, .L_ZN7rocprim17ROCPRIM_400000_NS6detail26segmented_warp_sort_helperINS1_20WarpSortHelperConfigILj8ELj4ELj256EEE12hip_bfloat16lLi256ELb0EvE4sortIPKS5_PS5_PKlPlEEvT_T0_T1_T2_jjjjRNS6_12storage_typeE.has_recursion, .L_ZN7rocprim17ROCPRIM_400000_NS6detail40segmented_radix_sort_single_block_helperI12hip_bfloat16lLj256ELj8ELb0EE4sortIPKS3_PS3_PKlPlEEbT_T0_T1_T2_jjjjRNS4_12storage_typeE.has_recursion)
	.set _ZN7rocprim17ROCPRIM_400000_NS6detail17trampoline_kernelINS0_14default_configENS1_36segmented_radix_sort_config_selectorI12hip_bfloat16lEEZNS1_25segmented_radix_sort_implIS3_Lb0EPKS5_PS5_PKlPlN2at6native12_GLOBAL__N_18offset_tEEE10hipError_tPvRmT1_PNSt15iterator_traitsISL_E10value_typeET2_T3_PNSM_ISR_E10value_typeET4_jRbjT5_SX_jjP12ihipStream_tbEUlT_E2_NS1_11comp_targetILNS1_3genE2ELNS1_11target_archE906ELNS1_3gpuE6ELNS1_3repE0EEENS1_30default_config_static_selectorELNS0_4arch9wavefront6targetE1EEEvSL_.has_indirect_call, or(0, .L_ZN7rocprim17ROCPRIM_400000_NS6detail26segmented_warp_sort_helperINS1_20WarpSortHelperConfigILj8ELj4ELj256EEE12hip_bfloat16lLi256ELb0EvE4sortIPKS5_PS5_PKlPlEEvT_T0_T1_T2_jjjjRNS6_12storage_typeE.has_indirect_call, .L_ZN7rocprim17ROCPRIM_400000_NS6detail40segmented_radix_sort_single_block_helperI12hip_bfloat16lLj256ELj8ELb0EE4sortIPKS3_PS3_PKlPlEEbT_T0_T1_T2_jjjjRNS4_12storage_typeE.has_indirect_call)
	.section	.AMDGPU.csdata,"",@progbits
; Kernel info:
; codeLenInByte = 37944
; TotalNumSgprs: 85
; NumVgprs: 195
; ScratchSize: 0
; MemoryBound: 0
; FloatMode: 240
; IeeeMode: 1
; LDSByteSize: 17424 bytes/workgroup (compile time only)
; SGPRBlocks: 12
; VGPRBlocks: 48
; NumSGPRsForWavesPerEU: 102
; NumVGPRsForWavesPerEU: 195
; Occupancy: 1
; WaveLimiterHint : 1
; COMPUTE_PGM_RSRC2:SCRATCH_EN: 0
; COMPUTE_PGM_RSRC2:USER_SGPR: 6
; COMPUTE_PGM_RSRC2:TRAP_HANDLER: 0
; COMPUTE_PGM_RSRC2:TGID_X_EN: 1
; COMPUTE_PGM_RSRC2:TGID_Y_EN: 1
; COMPUTE_PGM_RSRC2:TGID_Z_EN: 0
; COMPUTE_PGM_RSRC2:TIDIG_COMP_CNT: 2
	.section	.text._ZN7rocprim17ROCPRIM_400000_NS6detail17trampoline_kernelINS0_14default_configENS1_36segmented_radix_sort_config_selectorI12hip_bfloat16lEEZNS1_25segmented_radix_sort_implIS3_Lb0EPKS5_PS5_PKlPlN2at6native12_GLOBAL__N_18offset_tEEE10hipError_tPvRmT1_PNSt15iterator_traitsISL_E10value_typeET2_T3_PNSM_ISR_E10value_typeET4_jRbjT5_SX_jjP12ihipStream_tbEUlT_E2_NS1_11comp_targetILNS1_3genE10ELNS1_11target_archE1201ELNS1_3gpuE5ELNS1_3repE0EEENS1_30default_config_static_selectorELNS0_4arch9wavefront6targetE1EEEvSL_,"axG",@progbits,_ZN7rocprim17ROCPRIM_400000_NS6detail17trampoline_kernelINS0_14default_configENS1_36segmented_radix_sort_config_selectorI12hip_bfloat16lEEZNS1_25segmented_radix_sort_implIS3_Lb0EPKS5_PS5_PKlPlN2at6native12_GLOBAL__N_18offset_tEEE10hipError_tPvRmT1_PNSt15iterator_traitsISL_E10value_typeET2_T3_PNSM_ISR_E10value_typeET4_jRbjT5_SX_jjP12ihipStream_tbEUlT_E2_NS1_11comp_targetILNS1_3genE10ELNS1_11target_archE1201ELNS1_3gpuE5ELNS1_3repE0EEENS1_30default_config_static_selectorELNS0_4arch9wavefront6targetE1EEEvSL_,comdat
	.globl	_ZN7rocprim17ROCPRIM_400000_NS6detail17trampoline_kernelINS0_14default_configENS1_36segmented_radix_sort_config_selectorI12hip_bfloat16lEEZNS1_25segmented_radix_sort_implIS3_Lb0EPKS5_PS5_PKlPlN2at6native12_GLOBAL__N_18offset_tEEE10hipError_tPvRmT1_PNSt15iterator_traitsISL_E10value_typeET2_T3_PNSM_ISR_E10value_typeET4_jRbjT5_SX_jjP12ihipStream_tbEUlT_E2_NS1_11comp_targetILNS1_3genE10ELNS1_11target_archE1201ELNS1_3gpuE5ELNS1_3repE0EEENS1_30default_config_static_selectorELNS0_4arch9wavefront6targetE1EEEvSL_ ; -- Begin function _ZN7rocprim17ROCPRIM_400000_NS6detail17trampoline_kernelINS0_14default_configENS1_36segmented_radix_sort_config_selectorI12hip_bfloat16lEEZNS1_25segmented_radix_sort_implIS3_Lb0EPKS5_PS5_PKlPlN2at6native12_GLOBAL__N_18offset_tEEE10hipError_tPvRmT1_PNSt15iterator_traitsISL_E10value_typeET2_T3_PNSM_ISR_E10value_typeET4_jRbjT5_SX_jjP12ihipStream_tbEUlT_E2_NS1_11comp_targetILNS1_3genE10ELNS1_11target_archE1201ELNS1_3gpuE5ELNS1_3repE0EEENS1_30default_config_static_selectorELNS0_4arch9wavefront6targetE1EEEvSL_
	.p2align	8
	.type	_ZN7rocprim17ROCPRIM_400000_NS6detail17trampoline_kernelINS0_14default_configENS1_36segmented_radix_sort_config_selectorI12hip_bfloat16lEEZNS1_25segmented_radix_sort_implIS3_Lb0EPKS5_PS5_PKlPlN2at6native12_GLOBAL__N_18offset_tEEE10hipError_tPvRmT1_PNSt15iterator_traitsISL_E10value_typeET2_T3_PNSM_ISR_E10value_typeET4_jRbjT5_SX_jjP12ihipStream_tbEUlT_E2_NS1_11comp_targetILNS1_3genE10ELNS1_11target_archE1201ELNS1_3gpuE5ELNS1_3repE0EEENS1_30default_config_static_selectorELNS0_4arch9wavefront6targetE1EEEvSL_,@function
_ZN7rocprim17ROCPRIM_400000_NS6detail17trampoline_kernelINS0_14default_configENS1_36segmented_radix_sort_config_selectorI12hip_bfloat16lEEZNS1_25segmented_radix_sort_implIS3_Lb0EPKS5_PS5_PKlPlN2at6native12_GLOBAL__N_18offset_tEEE10hipError_tPvRmT1_PNSt15iterator_traitsISL_E10value_typeET2_T3_PNSM_ISR_E10value_typeET4_jRbjT5_SX_jjP12ihipStream_tbEUlT_E2_NS1_11comp_targetILNS1_3genE10ELNS1_11target_archE1201ELNS1_3gpuE5ELNS1_3repE0EEENS1_30default_config_static_selectorELNS0_4arch9wavefront6targetE1EEEvSL_: ; @_ZN7rocprim17ROCPRIM_400000_NS6detail17trampoline_kernelINS0_14default_configENS1_36segmented_radix_sort_config_selectorI12hip_bfloat16lEEZNS1_25segmented_radix_sort_implIS3_Lb0EPKS5_PS5_PKlPlN2at6native12_GLOBAL__N_18offset_tEEE10hipError_tPvRmT1_PNSt15iterator_traitsISL_E10value_typeET2_T3_PNSM_ISR_E10value_typeET4_jRbjT5_SX_jjP12ihipStream_tbEUlT_E2_NS1_11comp_targetILNS1_3genE10ELNS1_11target_archE1201ELNS1_3gpuE5ELNS1_3repE0EEENS1_30default_config_static_selectorELNS0_4arch9wavefront6targetE1EEEvSL_
; %bb.0:
	.section	.rodata,"a",@progbits
	.p2align	6, 0x0
	.amdhsa_kernel _ZN7rocprim17ROCPRIM_400000_NS6detail17trampoline_kernelINS0_14default_configENS1_36segmented_radix_sort_config_selectorI12hip_bfloat16lEEZNS1_25segmented_radix_sort_implIS3_Lb0EPKS5_PS5_PKlPlN2at6native12_GLOBAL__N_18offset_tEEE10hipError_tPvRmT1_PNSt15iterator_traitsISL_E10value_typeET2_T3_PNSM_ISR_E10value_typeET4_jRbjT5_SX_jjP12ihipStream_tbEUlT_E2_NS1_11comp_targetILNS1_3genE10ELNS1_11target_archE1201ELNS1_3gpuE5ELNS1_3repE0EEENS1_30default_config_static_selectorELNS0_4arch9wavefront6targetE1EEEvSL_
		.amdhsa_group_segment_fixed_size 0
		.amdhsa_private_segment_fixed_size 0
		.amdhsa_kernarg_size 80
		.amdhsa_user_sgpr_count 6
		.amdhsa_user_sgpr_private_segment_buffer 1
		.amdhsa_user_sgpr_dispatch_ptr 0
		.amdhsa_user_sgpr_queue_ptr 0
		.amdhsa_user_sgpr_kernarg_segment_ptr 1
		.amdhsa_user_sgpr_dispatch_id 0
		.amdhsa_user_sgpr_flat_scratch_init 0
		.amdhsa_user_sgpr_private_segment_size 0
		.amdhsa_uses_dynamic_stack 0
		.amdhsa_system_sgpr_private_segment_wavefront_offset 0
		.amdhsa_system_sgpr_workgroup_id_x 1
		.amdhsa_system_sgpr_workgroup_id_y 0
		.amdhsa_system_sgpr_workgroup_id_z 0
		.amdhsa_system_sgpr_workgroup_info 0
		.amdhsa_system_vgpr_workitem_id 0
		.amdhsa_next_free_vgpr 1
		.amdhsa_next_free_sgpr 0
		.amdhsa_reserve_vcc 0
		.amdhsa_reserve_flat_scratch 0
		.amdhsa_float_round_mode_32 0
		.amdhsa_float_round_mode_16_64 0
		.amdhsa_float_denorm_mode_32 3
		.amdhsa_float_denorm_mode_16_64 3
		.amdhsa_dx10_clamp 1
		.amdhsa_ieee_mode 1
		.amdhsa_fp16_overflow 0
		.amdhsa_exception_fp_ieee_invalid_op 0
		.amdhsa_exception_fp_denorm_src 0
		.amdhsa_exception_fp_ieee_div_zero 0
		.amdhsa_exception_fp_ieee_overflow 0
		.amdhsa_exception_fp_ieee_underflow 0
		.amdhsa_exception_fp_ieee_inexact 0
		.amdhsa_exception_int_div_zero 0
	.end_amdhsa_kernel
	.section	.text._ZN7rocprim17ROCPRIM_400000_NS6detail17trampoline_kernelINS0_14default_configENS1_36segmented_radix_sort_config_selectorI12hip_bfloat16lEEZNS1_25segmented_radix_sort_implIS3_Lb0EPKS5_PS5_PKlPlN2at6native12_GLOBAL__N_18offset_tEEE10hipError_tPvRmT1_PNSt15iterator_traitsISL_E10value_typeET2_T3_PNSM_ISR_E10value_typeET4_jRbjT5_SX_jjP12ihipStream_tbEUlT_E2_NS1_11comp_targetILNS1_3genE10ELNS1_11target_archE1201ELNS1_3gpuE5ELNS1_3repE0EEENS1_30default_config_static_selectorELNS0_4arch9wavefront6targetE1EEEvSL_,"axG",@progbits,_ZN7rocprim17ROCPRIM_400000_NS6detail17trampoline_kernelINS0_14default_configENS1_36segmented_radix_sort_config_selectorI12hip_bfloat16lEEZNS1_25segmented_radix_sort_implIS3_Lb0EPKS5_PS5_PKlPlN2at6native12_GLOBAL__N_18offset_tEEE10hipError_tPvRmT1_PNSt15iterator_traitsISL_E10value_typeET2_T3_PNSM_ISR_E10value_typeET4_jRbjT5_SX_jjP12ihipStream_tbEUlT_E2_NS1_11comp_targetILNS1_3genE10ELNS1_11target_archE1201ELNS1_3gpuE5ELNS1_3repE0EEENS1_30default_config_static_selectorELNS0_4arch9wavefront6targetE1EEEvSL_,comdat
.Lfunc_end2084:
	.size	_ZN7rocprim17ROCPRIM_400000_NS6detail17trampoline_kernelINS0_14default_configENS1_36segmented_radix_sort_config_selectorI12hip_bfloat16lEEZNS1_25segmented_radix_sort_implIS3_Lb0EPKS5_PS5_PKlPlN2at6native12_GLOBAL__N_18offset_tEEE10hipError_tPvRmT1_PNSt15iterator_traitsISL_E10value_typeET2_T3_PNSM_ISR_E10value_typeET4_jRbjT5_SX_jjP12ihipStream_tbEUlT_E2_NS1_11comp_targetILNS1_3genE10ELNS1_11target_archE1201ELNS1_3gpuE5ELNS1_3repE0EEENS1_30default_config_static_selectorELNS0_4arch9wavefront6targetE1EEEvSL_, .Lfunc_end2084-_ZN7rocprim17ROCPRIM_400000_NS6detail17trampoline_kernelINS0_14default_configENS1_36segmented_radix_sort_config_selectorI12hip_bfloat16lEEZNS1_25segmented_radix_sort_implIS3_Lb0EPKS5_PS5_PKlPlN2at6native12_GLOBAL__N_18offset_tEEE10hipError_tPvRmT1_PNSt15iterator_traitsISL_E10value_typeET2_T3_PNSM_ISR_E10value_typeET4_jRbjT5_SX_jjP12ihipStream_tbEUlT_E2_NS1_11comp_targetILNS1_3genE10ELNS1_11target_archE1201ELNS1_3gpuE5ELNS1_3repE0EEENS1_30default_config_static_selectorELNS0_4arch9wavefront6targetE1EEEvSL_
                                        ; -- End function
	.set _ZN7rocprim17ROCPRIM_400000_NS6detail17trampoline_kernelINS0_14default_configENS1_36segmented_radix_sort_config_selectorI12hip_bfloat16lEEZNS1_25segmented_radix_sort_implIS3_Lb0EPKS5_PS5_PKlPlN2at6native12_GLOBAL__N_18offset_tEEE10hipError_tPvRmT1_PNSt15iterator_traitsISL_E10value_typeET2_T3_PNSM_ISR_E10value_typeET4_jRbjT5_SX_jjP12ihipStream_tbEUlT_E2_NS1_11comp_targetILNS1_3genE10ELNS1_11target_archE1201ELNS1_3gpuE5ELNS1_3repE0EEENS1_30default_config_static_selectorELNS0_4arch9wavefront6targetE1EEEvSL_.num_vgpr, 0
	.set _ZN7rocprim17ROCPRIM_400000_NS6detail17trampoline_kernelINS0_14default_configENS1_36segmented_radix_sort_config_selectorI12hip_bfloat16lEEZNS1_25segmented_radix_sort_implIS3_Lb0EPKS5_PS5_PKlPlN2at6native12_GLOBAL__N_18offset_tEEE10hipError_tPvRmT1_PNSt15iterator_traitsISL_E10value_typeET2_T3_PNSM_ISR_E10value_typeET4_jRbjT5_SX_jjP12ihipStream_tbEUlT_E2_NS1_11comp_targetILNS1_3genE10ELNS1_11target_archE1201ELNS1_3gpuE5ELNS1_3repE0EEENS1_30default_config_static_selectorELNS0_4arch9wavefront6targetE1EEEvSL_.num_agpr, 0
	.set _ZN7rocprim17ROCPRIM_400000_NS6detail17trampoline_kernelINS0_14default_configENS1_36segmented_radix_sort_config_selectorI12hip_bfloat16lEEZNS1_25segmented_radix_sort_implIS3_Lb0EPKS5_PS5_PKlPlN2at6native12_GLOBAL__N_18offset_tEEE10hipError_tPvRmT1_PNSt15iterator_traitsISL_E10value_typeET2_T3_PNSM_ISR_E10value_typeET4_jRbjT5_SX_jjP12ihipStream_tbEUlT_E2_NS1_11comp_targetILNS1_3genE10ELNS1_11target_archE1201ELNS1_3gpuE5ELNS1_3repE0EEENS1_30default_config_static_selectorELNS0_4arch9wavefront6targetE1EEEvSL_.numbered_sgpr, 0
	.set _ZN7rocprim17ROCPRIM_400000_NS6detail17trampoline_kernelINS0_14default_configENS1_36segmented_radix_sort_config_selectorI12hip_bfloat16lEEZNS1_25segmented_radix_sort_implIS3_Lb0EPKS5_PS5_PKlPlN2at6native12_GLOBAL__N_18offset_tEEE10hipError_tPvRmT1_PNSt15iterator_traitsISL_E10value_typeET2_T3_PNSM_ISR_E10value_typeET4_jRbjT5_SX_jjP12ihipStream_tbEUlT_E2_NS1_11comp_targetILNS1_3genE10ELNS1_11target_archE1201ELNS1_3gpuE5ELNS1_3repE0EEENS1_30default_config_static_selectorELNS0_4arch9wavefront6targetE1EEEvSL_.num_named_barrier, 0
	.set _ZN7rocprim17ROCPRIM_400000_NS6detail17trampoline_kernelINS0_14default_configENS1_36segmented_radix_sort_config_selectorI12hip_bfloat16lEEZNS1_25segmented_radix_sort_implIS3_Lb0EPKS5_PS5_PKlPlN2at6native12_GLOBAL__N_18offset_tEEE10hipError_tPvRmT1_PNSt15iterator_traitsISL_E10value_typeET2_T3_PNSM_ISR_E10value_typeET4_jRbjT5_SX_jjP12ihipStream_tbEUlT_E2_NS1_11comp_targetILNS1_3genE10ELNS1_11target_archE1201ELNS1_3gpuE5ELNS1_3repE0EEENS1_30default_config_static_selectorELNS0_4arch9wavefront6targetE1EEEvSL_.private_seg_size, 0
	.set _ZN7rocprim17ROCPRIM_400000_NS6detail17trampoline_kernelINS0_14default_configENS1_36segmented_radix_sort_config_selectorI12hip_bfloat16lEEZNS1_25segmented_radix_sort_implIS3_Lb0EPKS5_PS5_PKlPlN2at6native12_GLOBAL__N_18offset_tEEE10hipError_tPvRmT1_PNSt15iterator_traitsISL_E10value_typeET2_T3_PNSM_ISR_E10value_typeET4_jRbjT5_SX_jjP12ihipStream_tbEUlT_E2_NS1_11comp_targetILNS1_3genE10ELNS1_11target_archE1201ELNS1_3gpuE5ELNS1_3repE0EEENS1_30default_config_static_selectorELNS0_4arch9wavefront6targetE1EEEvSL_.uses_vcc, 0
	.set _ZN7rocprim17ROCPRIM_400000_NS6detail17trampoline_kernelINS0_14default_configENS1_36segmented_radix_sort_config_selectorI12hip_bfloat16lEEZNS1_25segmented_radix_sort_implIS3_Lb0EPKS5_PS5_PKlPlN2at6native12_GLOBAL__N_18offset_tEEE10hipError_tPvRmT1_PNSt15iterator_traitsISL_E10value_typeET2_T3_PNSM_ISR_E10value_typeET4_jRbjT5_SX_jjP12ihipStream_tbEUlT_E2_NS1_11comp_targetILNS1_3genE10ELNS1_11target_archE1201ELNS1_3gpuE5ELNS1_3repE0EEENS1_30default_config_static_selectorELNS0_4arch9wavefront6targetE1EEEvSL_.uses_flat_scratch, 0
	.set _ZN7rocprim17ROCPRIM_400000_NS6detail17trampoline_kernelINS0_14default_configENS1_36segmented_radix_sort_config_selectorI12hip_bfloat16lEEZNS1_25segmented_radix_sort_implIS3_Lb0EPKS5_PS5_PKlPlN2at6native12_GLOBAL__N_18offset_tEEE10hipError_tPvRmT1_PNSt15iterator_traitsISL_E10value_typeET2_T3_PNSM_ISR_E10value_typeET4_jRbjT5_SX_jjP12ihipStream_tbEUlT_E2_NS1_11comp_targetILNS1_3genE10ELNS1_11target_archE1201ELNS1_3gpuE5ELNS1_3repE0EEENS1_30default_config_static_selectorELNS0_4arch9wavefront6targetE1EEEvSL_.has_dyn_sized_stack, 0
	.set _ZN7rocprim17ROCPRIM_400000_NS6detail17trampoline_kernelINS0_14default_configENS1_36segmented_radix_sort_config_selectorI12hip_bfloat16lEEZNS1_25segmented_radix_sort_implIS3_Lb0EPKS5_PS5_PKlPlN2at6native12_GLOBAL__N_18offset_tEEE10hipError_tPvRmT1_PNSt15iterator_traitsISL_E10value_typeET2_T3_PNSM_ISR_E10value_typeET4_jRbjT5_SX_jjP12ihipStream_tbEUlT_E2_NS1_11comp_targetILNS1_3genE10ELNS1_11target_archE1201ELNS1_3gpuE5ELNS1_3repE0EEENS1_30default_config_static_selectorELNS0_4arch9wavefront6targetE1EEEvSL_.has_recursion, 0
	.set _ZN7rocprim17ROCPRIM_400000_NS6detail17trampoline_kernelINS0_14default_configENS1_36segmented_radix_sort_config_selectorI12hip_bfloat16lEEZNS1_25segmented_radix_sort_implIS3_Lb0EPKS5_PS5_PKlPlN2at6native12_GLOBAL__N_18offset_tEEE10hipError_tPvRmT1_PNSt15iterator_traitsISL_E10value_typeET2_T3_PNSM_ISR_E10value_typeET4_jRbjT5_SX_jjP12ihipStream_tbEUlT_E2_NS1_11comp_targetILNS1_3genE10ELNS1_11target_archE1201ELNS1_3gpuE5ELNS1_3repE0EEENS1_30default_config_static_selectorELNS0_4arch9wavefront6targetE1EEEvSL_.has_indirect_call, 0
	.section	.AMDGPU.csdata,"",@progbits
; Kernel info:
; codeLenInByte = 0
; TotalNumSgprs: 4
; NumVgprs: 0
; ScratchSize: 0
; MemoryBound: 0
; FloatMode: 240
; IeeeMode: 1
; LDSByteSize: 0 bytes/workgroup (compile time only)
; SGPRBlocks: 0
; VGPRBlocks: 0
; NumSGPRsForWavesPerEU: 4
; NumVGPRsForWavesPerEU: 1
; Occupancy: 10
; WaveLimiterHint : 0
; COMPUTE_PGM_RSRC2:SCRATCH_EN: 0
; COMPUTE_PGM_RSRC2:USER_SGPR: 6
; COMPUTE_PGM_RSRC2:TRAP_HANDLER: 0
; COMPUTE_PGM_RSRC2:TGID_X_EN: 1
; COMPUTE_PGM_RSRC2:TGID_Y_EN: 0
; COMPUTE_PGM_RSRC2:TGID_Z_EN: 0
; COMPUTE_PGM_RSRC2:TIDIG_COMP_CNT: 0
	.section	.text._ZN7rocprim17ROCPRIM_400000_NS6detail17trampoline_kernelINS0_14default_configENS1_36segmented_radix_sort_config_selectorI12hip_bfloat16lEEZNS1_25segmented_radix_sort_implIS3_Lb0EPKS5_PS5_PKlPlN2at6native12_GLOBAL__N_18offset_tEEE10hipError_tPvRmT1_PNSt15iterator_traitsISL_E10value_typeET2_T3_PNSM_ISR_E10value_typeET4_jRbjT5_SX_jjP12ihipStream_tbEUlT_E2_NS1_11comp_targetILNS1_3genE10ELNS1_11target_archE1200ELNS1_3gpuE4ELNS1_3repE0EEENS1_30default_config_static_selectorELNS0_4arch9wavefront6targetE1EEEvSL_,"axG",@progbits,_ZN7rocprim17ROCPRIM_400000_NS6detail17trampoline_kernelINS0_14default_configENS1_36segmented_radix_sort_config_selectorI12hip_bfloat16lEEZNS1_25segmented_radix_sort_implIS3_Lb0EPKS5_PS5_PKlPlN2at6native12_GLOBAL__N_18offset_tEEE10hipError_tPvRmT1_PNSt15iterator_traitsISL_E10value_typeET2_T3_PNSM_ISR_E10value_typeET4_jRbjT5_SX_jjP12ihipStream_tbEUlT_E2_NS1_11comp_targetILNS1_3genE10ELNS1_11target_archE1200ELNS1_3gpuE4ELNS1_3repE0EEENS1_30default_config_static_selectorELNS0_4arch9wavefront6targetE1EEEvSL_,comdat
	.globl	_ZN7rocprim17ROCPRIM_400000_NS6detail17trampoline_kernelINS0_14default_configENS1_36segmented_radix_sort_config_selectorI12hip_bfloat16lEEZNS1_25segmented_radix_sort_implIS3_Lb0EPKS5_PS5_PKlPlN2at6native12_GLOBAL__N_18offset_tEEE10hipError_tPvRmT1_PNSt15iterator_traitsISL_E10value_typeET2_T3_PNSM_ISR_E10value_typeET4_jRbjT5_SX_jjP12ihipStream_tbEUlT_E2_NS1_11comp_targetILNS1_3genE10ELNS1_11target_archE1200ELNS1_3gpuE4ELNS1_3repE0EEENS1_30default_config_static_selectorELNS0_4arch9wavefront6targetE1EEEvSL_ ; -- Begin function _ZN7rocprim17ROCPRIM_400000_NS6detail17trampoline_kernelINS0_14default_configENS1_36segmented_radix_sort_config_selectorI12hip_bfloat16lEEZNS1_25segmented_radix_sort_implIS3_Lb0EPKS5_PS5_PKlPlN2at6native12_GLOBAL__N_18offset_tEEE10hipError_tPvRmT1_PNSt15iterator_traitsISL_E10value_typeET2_T3_PNSM_ISR_E10value_typeET4_jRbjT5_SX_jjP12ihipStream_tbEUlT_E2_NS1_11comp_targetILNS1_3genE10ELNS1_11target_archE1200ELNS1_3gpuE4ELNS1_3repE0EEENS1_30default_config_static_selectorELNS0_4arch9wavefront6targetE1EEEvSL_
	.p2align	8
	.type	_ZN7rocprim17ROCPRIM_400000_NS6detail17trampoline_kernelINS0_14default_configENS1_36segmented_radix_sort_config_selectorI12hip_bfloat16lEEZNS1_25segmented_radix_sort_implIS3_Lb0EPKS5_PS5_PKlPlN2at6native12_GLOBAL__N_18offset_tEEE10hipError_tPvRmT1_PNSt15iterator_traitsISL_E10value_typeET2_T3_PNSM_ISR_E10value_typeET4_jRbjT5_SX_jjP12ihipStream_tbEUlT_E2_NS1_11comp_targetILNS1_3genE10ELNS1_11target_archE1200ELNS1_3gpuE4ELNS1_3repE0EEENS1_30default_config_static_selectorELNS0_4arch9wavefront6targetE1EEEvSL_,@function
_ZN7rocprim17ROCPRIM_400000_NS6detail17trampoline_kernelINS0_14default_configENS1_36segmented_radix_sort_config_selectorI12hip_bfloat16lEEZNS1_25segmented_radix_sort_implIS3_Lb0EPKS5_PS5_PKlPlN2at6native12_GLOBAL__N_18offset_tEEE10hipError_tPvRmT1_PNSt15iterator_traitsISL_E10value_typeET2_T3_PNSM_ISR_E10value_typeET4_jRbjT5_SX_jjP12ihipStream_tbEUlT_E2_NS1_11comp_targetILNS1_3genE10ELNS1_11target_archE1200ELNS1_3gpuE4ELNS1_3repE0EEENS1_30default_config_static_selectorELNS0_4arch9wavefront6targetE1EEEvSL_: ; @_ZN7rocprim17ROCPRIM_400000_NS6detail17trampoline_kernelINS0_14default_configENS1_36segmented_radix_sort_config_selectorI12hip_bfloat16lEEZNS1_25segmented_radix_sort_implIS3_Lb0EPKS5_PS5_PKlPlN2at6native12_GLOBAL__N_18offset_tEEE10hipError_tPvRmT1_PNSt15iterator_traitsISL_E10value_typeET2_T3_PNSM_ISR_E10value_typeET4_jRbjT5_SX_jjP12ihipStream_tbEUlT_E2_NS1_11comp_targetILNS1_3genE10ELNS1_11target_archE1200ELNS1_3gpuE4ELNS1_3repE0EEENS1_30default_config_static_selectorELNS0_4arch9wavefront6targetE1EEEvSL_
; %bb.0:
	.section	.rodata,"a",@progbits
	.p2align	6, 0x0
	.amdhsa_kernel _ZN7rocprim17ROCPRIM_400000_NS6detail17trampoline_kernelINS0_14default_configENS1_36segmented_radix_sort_config_selectorI12hip_bfloat16lEEZNS1_25segmented_radix_sort_implIS3_Lb0EPKS5_PS5_PKlPlN2at6native12_GLOBAL__N_18offset_tEEE10hipError_tPvRmT1_PNSt15iterator_traitsISL_E10value_typeET2_T3_PNSM_ISR_E10value_typeET4_jRbjT5_SX_jjP12ihipStream_tbEUlT_E2_NS1_11comp_targetILNS1_3genE10ELNS1_11target_archE1200ELNS1_3gpuE4ELNS1_3repE0EEENS1_30default_config_static_selectorELNS0_4arch9wavefront6targetE1EEEvSL_
		.amdhsa_group_segment_fixed_size 0
		.amdhsa_private_segment_fixed_size 0
		.amdhsa_kernarg_size 80
		.amdhsa_user_sgpr_count 6
		.amdhsa_user_sgpr_private_segment_buffer 1
		.amdhsa_user_sgpr_dispatch_ptr 0
		.amdhsa_user_sgpr_queue_ptr 0
		.amdhsa_user_sgpr_kernarg_segment_ptr 1
		.amdhsa_user_sgpr_dispatch_id 0
		.amdhsa_user_sgpr_flat_scratch_init 0
		.amdhsa_user_sgpr_private_segment_size 0
		.amdhsa_uses_dynamic_stack 0
		.amdhsa_system_sgpr_private_segment_wavefront_offset 0
		.amdhsa_system_sgpr_workgroup_id_x 1
		.amdhsa_system_sgpr_workgroup_id_y 0
		.amdhsa_system_sgpr_workgroup_id_z 0
		.amdhsa_system_sgpr_workgroup_info 0
		.amdhsa_system_vgpr_workitem_id 0
		.amdhsa_next_free_vgpr 1
		.amdhsa_next_free_sgpr 0
		.amdhsa_reserve_vcc 0
		.amdhsa_reserve_flat_scratch 0
		.amdhsa_float_round_mode_32 0
		.amdhsa_float_round_mode_16_64 0
		.amdhsa_float_denorm_mode_32 3
		.amdhsa_float_denorm_mode_16_64 3
		.amdhsa_dx10_clamp 1
		.amdhsa_ieee_mode 1
		.amdhsa_fp16_overflow 0
		.amdhsa_exception_fp_ieee_invalid_op 0
		.amdhsa_exception_fp_denorm_src 0
		.amdhsa_exception_fp_ieee_div_zero 0
		.amdhsa_exception_fp_ieee_overflow 0
		.amdhsa_exception_fp_ieee_underflow 0
		.amdhsa_exception_fp_ieee_inexact 0
		.amdhsa_exception_int_div_zero 0
	.end_amdhsa_kernel
	.section	.text._ZN7rocprim17ROCPRIM_400000_NS6detail17trampoline_kernelINS0_14default_configENS1_36segmented_radix_sort_config_selectorI12hip_bfloat16lEEZNS1_25segmented_radix_sort_implIS3_Lb0EPKS5_PS5_PKlPlN2at6native12_GLOBAL__N_18offset_tEEE10hipError_tPvRmT1_PNSt15iterator_traitsISL_E10value_typeET2_T3_PNSM_ISR_E10value_typeET4_jRbjT5_SX_jjP12ihipStream_tbEUlT_E2_NS1_11comp_targetILNS1_3genE10ELNS1_11target_archE1200ELNS1_3gpuE4ELNS1_3repE0EEENS1_30default_config_static_selectorELNS0_4arch9wavefront6targetE1EEEvSL_,"axG",@progbits,_ZN7rocprim17ROCPRIM_400000_NS6detail17trampoline_kernelINS0_14default_configENS1_36segmented_radix_sort_config_selectorI12hip_bfloat16lEEZNS1_25segmented_radix_sort_implIS3_Lb0EPKS5_PS5_PKlPlN2at6native12_GLOBAL__N_18offset_tEEE10hipError_tPvRmT1_PNSt15iterator_traitsISL_E10value_typeET2_T3_PNSM_ISR_E10value_typeET4_jRbjT5_SX_jjP12ihipStream_tbEUlT_E2_NS1_11comp_targetILNS1_3genE10ELNS1_11target_archE1200ELNS1_3gpuE4ELNS1_3repE0EEENS1_30default_config_static_selectorELNS0_4arch9wavefront6targetE1EEEvSL_,comdat
.Lfunc_end2085:
	.size	_ZN7rocprim17ROCPRIM_400000_NS6detail17trampoline_kernelINS0_14default_configENS1_36segmented_radix_sort_config_selectorI12hip_bfloat16lEEZNS1_25segmented_radix_sort_implIS3_Lb0EPKS5_PS5_PKlPlN2at6native12_GLOBAL__N_18offset_tEEE10hipError_tPvRmT1_PNSt15iterator_traitsISL_E10value_typeET2_T3_PNSM_ISR_E10value_typeET4_jRbjT5_SX_jjP12ihipStream_tbEUlT_E2_NS1_11comp_targetILNS1_3genE10ELNS1_11target_archE1200ELNS1_3gpuE4ELNS1_3repE0EEENS1_30default_config_static_selectorELNS0_4arch9wavefront6targetE1EEEvSL_, .Lfunc_end2085-_ZN7rocprim17ROCPRIM_400000_NS6detail17trampoline_kernelINS0_14default_configENS1_36segmented_radix_sort_config_selectorI12hip_bfloat16lEEZNS1_25segmented_radix_sort_implIS3_Lb0EPKS5_PS5_PKlPlN2at6native12_GLOBAL__N_18offset_tEEE10hipError_tPvRmT1_PNSt15iterator_traitsISL_E10value_typeET2_T3_PNSM_ISR_E10value_typeET4_jRbjT5_SX_jjP12ihipStream_tbEUlT_E2_NS1_11comp_targetILNS1_3genE10ELNS1_11target_archE1200ELNS1_3gpuE4ELNS1_3repE0EEENS1_30default_config_static_selectorELNS0_4arch9wavefront6targetE1EEEvSL_
                                        ; -- End function
	.set _ZN7rocprim17ROCPRIM_400000_NS6detail17trampoline_kernelINS0_14default_configENS1_36segmented_radix_sort_config_selectorI12hip_bfloat16lEEZNS1_25segmented_radix_sort_implIS3_Lb0EPKS5_PS5_PKlPlN2at6native12_GLOBAL__N_18offset_tEEE10hipError_tPvRmT1_PNSt15iterator_traitsISL_E10value_typeET2_T3_PNSM_ISR_E10value_typeET4_jRbjT5_SX_jjP12ihipStream_tbEUlT_E2_NS1_11comp_targetILNS1_3genE10ELNS1_11target_archE1200ELNS1_3gpuE4ELNS1_3repE0EEENS1_30default_config_static_selectorELNS0_4arch9wavefront6targetE1EEEvSL_.num_vgpr, 0
	.set _ZN7rocprim17ROCPRIM_400000_NS6detail17trampoline_kernelINS0_14default_configENS1_36segmented_radix_sort_config_selectorI12hip_bfloat16lEEZNS1_25segmented_radix_sort_implIS3_Lb0EPKS5_PS5_PKlPlN2at6native12_GLOBAL__N_18offset_tEEE10hipError_tPvRmT1_PNSt15iterator_traitsISL_E10value_typeET2_T3_PNSM_ISR_E10value_typeET4_jRbjT5_SX_jjP12ihipStream_tbEUlT_E2_NS1_11comp_targetILNS1_3genE10ELNS1_11target_archE1200ELNS1_3gpuE4ELNS1_3repE0EEENS1_30default_config_static_selectorELNS0_4arch9wavefront6targetE1EEEvSL_.num_agpr, 0
	.set _ZN7rocprim17ROCPRIM_400000_NS6detail17trampoline_kernelINS0_14default_configENS1_36segmented_radix_sort_config_selectorI12hip_bfloat16lEEZNS1_25segmented_radix_sort_implIS3_Lb0EPKS5_PS5_PKlPlN2at6native12_GLOBAL__N_18offset_tEEE10hipError_tPvRmT1_PNSt15iterator_traitsISL_E10value_typeET2_T3_PNSM_ISR_E10value_typeET4_jRbjT5_SX_jjP12ihipStream_tbEUlT_E2_NS1_11comp_targetILNS1_3genE10ELNS1_11target_archE1200ELNS1_3gpuE4ELNS1_3repE0EEENS1_30default_config_static_selectorELNS0_4arch9wavefront6targetE1EEEvSL_.numbered_sgpr, 0
	.set _ZN7rocprim17ROCPRIM_400000_NS6detail17trampoline_kernelINS0_14default_configENS1_36segmented_radix_sort_config_selectorI12hip_bfloat16lEEZNS1_25segmented_radix_sort_implIS3_Lb0EPKS5_PS5_PKlPlN2at6native12_GLOBAL__N_18offset_tEEE10hipError_tPvRmT1_PNSt15iterator_traitsISL_E10value_typeET2_T3_PNSM_ISR_E10value_typeET4_jRbjT5_SX_jjP12ihipStream_tbEUlT_E2_NS1_11comp_targetILNS1_3genE10ELNS1_11target_archE1200ELNS1_3gpuE4ELNS1_3repE0EEENS1_30default_config_static_selectorELNS0_4arch9wavefront6targetE1EEEvSL_.num_named_barrier, 0
	.set _ZN7rocprim17ROCPRIM_400000_NS6detail17trampoline_kernelINS0_14default_configENS1_36segmented_radix_sort_config_selectorI12hip_bfloat16lEEZNS1_25segmented_radix_sort_implIS3_Lb0EPKS5_PS5_PKlPlN2at6native12_GLOBAL__N_18offset_tEEE10hipError_tPvRmT1_PNSt15iterator_traitsISL_E10value_typeET2_T3_PNSM_ISR_E10value_typeET4_jRbjT5_SX_jjP12ihipStream_tbEUlT_E2_NS1_11comp_targetILNS1_3genE10ELNS1_11target_archE1200ELNS1_3gpuE4ELNS1_3repE0EEENS1_30default_config_static_selectorELNS0_4arch9wavefront6targetE1EEEvSL_.private_seg_size, 0
	.set _ZN7rocprim17ROCPRIM_400000_NS6detail17trampoline_kernelINS0_14default_configENS1_36segmented_radix_sort_config_selectorI12hip_bfloat16lEEZNS1_25segmented_radix_sort_implIS3_Lb0EPKS5_PS5_PKlPlN2at6native12_GLOBAL__N_18offset_tEEE10hipError_tPvRmT1_PNSt15iterator_traitsISL_E10value_typeET2_T3_PNSM_ISR_E10value_typeET4_jRbjT5_SX_jjP12ihipStream_tbEUlT_E2_NS1_11comp_targetILNS1_3genE10ELNS1_11target_archE1200ELNS1_3gpuE4ELNS1_3repE0EEENS1_30default_config_static_selectorELNS0_4arch9wavefront6targetE1EEEvSL_.uses_vcc, 0
	.set _ZN7rocprim17ROCPRIM_400000_NS6detail17trampoline_kernelINS0_14default_configENS1_36segmented_radix_sort_config_selectorI12hip_bfloat16lEEZNS1_25segmented_radix_sort_implIS3_Lb0EPKS5_PS5_PKlPlN2at6native12_GLOBAL__N_18offset_tEEE10hipError_tPvRmT1_PNSt15iterator_traitsISL_E10value_typeET2_T3_PNSM_ISR_E10value_typeET4_jRbjT5_SX_jjP12ihipStream_tbEUlT_E2_NS1_11comp_targetILNS1_3genE10ELNS1_11target_archE1200ELNS1_3gpuE4ELNS1_3repE0EEENS1_30default_config_static_selectorELNS0_4arch9wavefront6targetE1EEEvSL_.uses_flat_scratch, 0
	.set _ZN7rocprim17ROCPRIM_400000_NS6detail17trampoline_kernelINS0_14default_configENS1_36segmented_radix_sort_config_selectorI12hip_bfloat16lEEZNS1_25segmented_radix_sort_implIS3_Lb0EPKS5_PS5_PKlPlN2at6native12_GLOBAL__N_18offset_tEEE10hipError_tPvRmT1_PNSt15iterator_traitsISL_E10value_typeET2_T3_PNSM_ISR_E10value_typeET4_jRbjT5_SX_jjP12ihipStream_tbEUlT_E2_NS1_11comp_targetILNS1_3genE10ELNS1_11target_archE1200ELNS1_3gpuE4ELNS1_3repE0EEENS1_30default_config_static_selectorELNS0_4arch9wavefront6targetE1EEEvSL_.has_dyn_sized_stack, 0
	.set _ZN7rocprim17ROCPRIM_400000_NS6detail17trampoline_kernelINS0_14default_configENS1_36segmented_radix_sort_config_selectorI12hip_bfloat16lEEZNS1_25segmented_radix_sort_implIS3_Lb0EPKS5_PS5_PKlPlN2at6native12_GLOBAL__N_18offset_tEEE10hipError_tPvRmT1_PNSt15iterator_traitsISL_E10value_typeET2_T3_PNSM_ISR_E10value_typeET4_jRbjT5_SX_jjP12ihipStream_tbEUlT_E2_NS1_11comp_targetILNS1_3genE10ELNS1_11target_archE1200ELNS1_3gpuE4ELNS1_3repE0EEENS1_30default_config_static_selectorELNS0_4arch9wavefront6targetE1EEEvSL_.has_recursion, 0
	.set _ZN7rocprim17ROCPRIM_400000_NS6detail17trampoline_kernelINS0_14default_configENS1_36segmented_radix_sort_config_selectorI12hip_bfloat16lEEZNS1_25segmented_radix_sort_implIS3_Lb0EPKS5_PS5_PKlPlN2at6native12_GLOBAL__N_18offset_tEEE10hipError_tPvRmT1_PNSt15iterator_traitsISL_E10value_typeET2_T3_PNSM_ISR_E10value_typeET4_jRbjT5_SX_jjP12ihipStream_tbEUlT_E2_NS1_11comp_targetILNS1_3genE10ELNS1_11target_archE1200ELNS1_3gpuE4ELNS1_3repE0EEENS1_30default_config_static_selectorELNS0_4arch9wavefront6targetE1EEEvSL_.has_indirect_call, 0
	.section	.AMDGPU.csdata,"",@progbits
; Kernel info:
; codeLenInByte = 0
; TotalNumSgprs: 4
; NumVgprs: 0
; ScratchSize: 0
; MemoryBound: 0
; FloatMode: 240
; IeeeMode: 1
; LDSByteSize: 0 bytes/workgroup (compile time only)
; SGPRBlocks: 0
; VGPRBlocks: 0
; NumSGPRsForWavesPerEU: 4
; NumVGPRsForWavesPerEU: 1
; Occupancy: 10
; WaveLimiterHint : 0
; COMPUTE_PGM_RSRC2:SCRATCH_EN: 0
; COMPUTE_PGM_RSRC2:USER_SGPR: 6
; COMPUTE_PGM_RSRC2:TRAP_HANDLER: 0
; COMPUTE_PGM_RSRC2:TGID_X_EN: 1
; COMPUTE_PGM_RSRC2:TGID_Y_EN: 0
; COMPUTE_PGM_RSRC2:TGID_Z_EN: 0
; COMPUTE_PGM_RSRC2:TIDIG_COMP_CNT: 0
	.section	.text._ZN7rocprim17ROCPRIM_400000_NS6detail17trampoline_kernelINS0_14default_configENS1_36segmented_radix_sort_config_selectorI12hip_bfloat16lEEZNS1_25segmented_radix_sort_implIS3_Lb0EPKS5_PS5_PKlPlN2at6native12_GLOBAL__N_18offset_tEEE10hipError_tPvRmT1_PNSt15iterator_traitsISL_E10value_typeET2_T3_PNSM_ISR_E10value_typeET4_jRbjT5_SX_jjP12ihipStream_tbEUlT_E2_NS1_11comp_targetILNS1_3genE9ELNS1_11target_archE1100ELNS1_3gpuE3ELNS1_3repE0EEENS1_30default_config_static_selectorELNS0_4arch9wavefront6targetE1EEEvSL_,"axG",@progbits,_ZN7rocprim17ROCPRIM_400000_NS6detail17trampoline_kernelINS0_14default_configENS1_36segmented_radix_sort_config_selectorI12hip_bfloat16lEEZNS1_25segmented_radix_sort_implIS3_Lb0EPKS5_PS5_PKlPlN2at6native12_GLOBAL__N_18offset_tEEE10hipError_tPvRmT1_PNSt15iterator_traitsISL_E10value_typeET2_T3_PNSM_ISR_E10value_typeET4_jRbjT5_SX_jjP12ihipStream_tbEUlT_E2_NS1_11comp_targetILNS1_3genE9ELNS1_11target_archE1100ELNS1_3gpuE3ELNS1_3repE0EEENS1_30default_config_static_selectorELNS0_4arch9wavefront6targetE1EEEvSL_,comdat
	.globl	_ZN7rocprim17ROCPRIM_400000_NS6detail17trampoline_kernelINS0_14default_configENS1_36segmented_radix_sort_config_selectorI12hip_bfloat16lEEZNS1_25segmented_radix_sort_implIS3_Lb0EPKS5_PS5_PKlPlN2at6native12_GLOBAL__N_18offset_tEEE10hipError_tPvRmT1_PNSt15iterator_traitsISL_E10value_typeET2_T3_PNSM_ISR_E10value_typeET4_jRbjT5_SX_jjP12ihipStream_tbEUlT_E2_NS1_11comp_targetILNS1_3genE9ELNS1_11target_archE1100ELNS1_3gpuE3ELNS1_3repE0EEENS1_30default_config_static_selectorELNS0_4arch9wavefront6targetE1EEEvSL_ ; -- Begin function _ZN7rocprim17ROCPRIM_400000_NS6detail17trampoline_kernelINS0_14default_configENS1_36segmented_radix_sort_config_selectorI12hip_bfloat16lEEZNS1_25segmented_radix_sort_implIS3_Lb0EPKS5_PS5_PKlPlN2at6native12_GLOBAL__N_18offset_tEEE10hipError_tPvRmT1_PNSt15iterator_traitsISL_E10value_typeET2_T3_PNSM_ISR_E10value_typeET4_jRbjT5_SX_jjP12ihipStream_tbEUlT_E2_NS1_11comp_targetILNS1_3genE9ELNS1_11target_archE1100ELNS1_3gpuE3ELNS1_3repE0EEENS1_30default_config_static_selectorELNS0_4arch9wavefront6targetE1EEEvSL_
	.p2align	8
	.type	_ZN7rocprim17ROCPRIM_400000_NS6detail17trampoline_kernelINS0_14default_configENS1_36segmented_radix_sort_config_selectorI12hip_bfloat16lEEZNS1_25segmented_radix_sort_implIS3_Lb0EPKS5_PS5_PKlPlN2at6native12_GLOBAL__N_18offset_tEEE10hipError_tPvRmT1_PNSt15iterator_traitsISL_E10value_typeET2_T3_PNSM_ISR_E10value_typeET4_jRbjT5_SX_jjP12ihipStream_tbEUlT_E2_NS1_11comp_targetILNS1_3genE9ELNS1_11target_archE1100ELNS1_3gpuE3ELNS1_3repE0EEENS1_30default_config_static_selectorELNS0_4arch9wavefront6targetE1EEEvSL_,@function
_ZN7rocprim17ROCPRIM_400000_NS6detail17trampoline_kernelINS0_14default_configENS1_36segmented_radix_sort_config_selectorI12hip_bfloat16lEEZNS1_25segmented_radix_sort_implIS3_Lb0EPKS5_PS5_PKlPlN2at6native12_GLOBAL__N_18offset_tEEE10hipError_tPvRmT1_PNSt15iterator_traitsISL_E10value_typeET2_T3_PNSM_ISR_E10value_typeET4_jRbjT5_SX_jjP12ihipStream_tbEUlT_E2_NS1_11comp_targetILNS1_3genE9ELNS1_11target_archE1100ELNS1_3gpuE3ELNS1_3repE0EEENS1_30default_config_static_selectorELNS0_4arch9wavefront6targetE1EEEvSL_: ; @_ZN7rocprim17ROCPRIM_400000_NS6detail17trampoline_kernelINS0_14default_configENS1_36segmented_radix_sort_config_selectorI12hip_bfloat16lEEZNS1_25segmented_radix_sort_implIS3_Lb0EPKS5_PS5_PKlPlN2at6native12_GLOBAL__N_18offset_tEEE10hipError_tPvRmT1_PNSt15iterator_traitsISL_E10value_typeET2_T3_PNSM_ISR_E10value_typeET4_jRbjT5_SX_jjP12ihipStream_tbEUlT_E2_NS1_11comp_targetILNS1_3genE9ELNS1_11target_archE1100ELNS1_3gpuE3ELNS1_3repE0EEENS1_30default_config_static_selectorELNS0_4arch9wavefront6targetE1EEEvSL_
; %bb.0:
	.section	.rodata,"a",@progbits
	.p2align	6, 0x0
	.amdhsa_kernel _ZN7rocprim17ROCPRIM_400000_NS6detail17trampoline_kernelINS0_14default_configENS1_36segmented_radix_sort_config_selectorI12hip_bfloat16lEEZNS1_25segmented_radix_sort_implIS3_Lb0EPKS5_PS5_PKlPlN2at6native12_GLOBAL__N_18offset_tEEE10hipError_tPvRmT1_PNSt15iterator_traitsISL_E10value_typeET2_T3_PNSM_ISR_E10value_typeET4_jRbjT5_SX_jjP12ihipStream_tbEUlT_E2_NS1_11comp_targetILNS1_3genE9ELNS1_11target_archE1100ELNS1_3gpuE3ELNS1_3repE0EEENS1_30default_config_static_selectorELNS0_4arch9wavefront6targetE1EEEvSL_
		.amdhsa_group_segment_fixed_size 0
		.amdhsa_private_segment_fixed_size 0
		.amdhsa_kernarg_size 80
		.amdhsa_user_sgpr_count 6
		.amdhsa_user_sgpr_private_segment_buffer 1
		.amdhsa_user_sgpr_dispatch_ptr 0
		.amdhsa_user_sgpr_queue_ptr 0
		.amdhsa_user_sgpr_kernarg_segment_ptr 1
		.amdhsa_user_sgpr_dispatch_id 0
		.amdhsa_user_sgpr_flat_scratch_init 0
		.amdhsa_user_sgpr_private_segment_size 0
		.amdhsa_uses_dynamic_stack 0
		.amdhsa_system_sgpr_private_segment_wavefront_offset 0
		.amdhsa_system_sgpr_workgroup_id_x 1
		.amdhsa_system_sgpr_workgroup_id_y 0
		.amdhsa_system_sgpr_workgroup_id_z 0
		.amdhsa_system_sgpr_workgroup_info 0
		.amdhsa_system_vgpr_workitem_id 0
		.amdhsa_next_free_vgpr 1
		.amdhsa_next_free_sgpr 0
		.amdhsa_reserve_vcc 0
		.amdhsa_reserve_flat_scratch 0
		.amdhsa_float_round_mode_32 0
		.amdhsa_float_round_mode_16_64 0
		.amdhsa_float_denorm_mode_32 3
		.amdhsa_float_denorm_mode_16_64 3
		.amdhsa_dx10_clamp 1
		.amdhsa_ieee_mode 1
		.amdhsa_fp16_overflow 0
		.amdhsa_exception_fp_ieee_invalid_op 0
		.amdhsa_exception_fp_denorm_src 0
		.amdhsa_exception_fp_ieee_div_zero 0
		.amdhsa_exception_fp_ieee_overflow 0
		.amdhsa_exception_fp_ieee_underflow 0
		.amdhsa_exception_fp_ieee_inexact 0
		.amdhsa_exception_int_div_zero 0
	.end_amdhsa_kernel
	.section	.text._ZN7rocprim17ROCPRIM_400000_NS6detail17trampoline_kernelINS0_14default_configENS1_36segmented_radix_sort_config_selectorI12hip_bfloat16lEEZNS1_25segmented_radix_sort_implIS3_Lb0EPKS5_PS5_PKlPlN2at6native12_GLOBAL__N_18offset_tEEE10hipError_tPvRmT1_PNSt15iterator_traitsISL_E10value_typeET2_T3_PNSM_ISR_E10value_typeET4_jRbjT5_SX_jjP12ihipStream_tbEUlT_E2_NS1_11comp_targetILNS1_3genE9ELNS1_11target_archE1100ELNS1_3gpuE3ELNS1_3repE0EEENS1_30default_config_static_selectorELNS0_4arch9wavefront6targetE1EEEvSL_,"axG",@progbits,_ZN7rocprim17ROCPRIM_400000_NS6detail17trampoline_kernelINS0_14default_configENS1_36segmented_radix_sort_config_selectorI12hip_bfloat16lEEZNS1_25segmented_radix_sort_implIS3_Lb0EPKS5_PS5_PKlPlN2at6native12_GLOBAL__N_18offset_tEEE10hipError_tPvRmT1_PNSt15iterator_traitsISL_E10value_typeET2_T3_PNSM_ISR_E10value_typeET4_jRbjT5_SX_jjP12ihipStream_tbEUlT_E2_NS1_11comp_targetILNS1_3genE9ELNS1_11target_archE1100ELNS1_3gpuE3ELNS1_3repE0EEENS1_30default_config_static_selectorELNS0_4arch9wavefront6targetE1EEEvSL_,comdat
.Lfunc_end2086:
	.size	_ZN7rocprim17ROCPRIM_400000_NS6detail17trampoline_kernelINS0_14default_configENS1_36segmented_radix_sort_config_selectorI12hip_bfloat16lEEZNS1_25segmented_radix_sort_implIS3_Lb0EPKS5_PS5_PKlPlN2at6native12_GLOBAL__N_18offset_tEEE10hipError_tPvRmT1_PNSt15iterator_traitsISL_E10value_typeET2_T3_PNSM_ISR_E10value_typeET4_jRbjT5_SX_jjP12ihipStream_tbEUlT_E2_NS1_11comp_targetILNS1_3genE9ELNS1_11target_archE1100ELNS1_3gpuE3ELNS1_3repE0EEENS1_30default_config_static_selectorELNS0_4arch9wavefront6targetE1EEEvSL_, .Lfunc_end2086-_ZN7rocprim17ROCPRIM_400000_NS6detail17trampoline_kernelINS0_14default_configENS1_36segmented_radix_sort_config_selectorI12hip_bfloat16lEEZNS1_25segmented_radix_sort_implIS3_Lb0EPKS5_PS5_PKlPlN2at6native12_GLOBAL__N_18offset_tEEE10hipError_tPvRmT1_PNSt15iterator_traitsISL_E10value_typeET2_T3_PNSM_ISR_E10value_typeET4_jRbjT5_SX_jjP12ihipStream_tbEUlT_E2_NS1_11comp_targetILNS1_3genE9ELNS1_11target_archE1100ELNS1_3gpuE3ELNS1_3repE0EEENS1_30default_config_static_selectorELNS0_4arch9wavefront6targetE1EEEvSL_
                                        ; -- End function
	.set _ZN7rocprim17ROCPRIM_400000_NS6detail17trampoline_kernelINS0_14default_configENS1_36segmented_radix_sort_config_selectorI12hip_bfloat16lEEZNS1_25segmented_radix_sort_implIS3_Lb0EPKS5_PS5_PKlPlN2at6native12_GLOBAL__N_18offset_tEEE10hipError_tPvRmT1_PNSt15iterator_traitsISL_E10value_typeET2_T3_PNSM_ISR_E10value_typeET4_jRbjT5_SX_jjP12ihipStream_tbEUlT_E2_NS1_11comp_targetILNS1_3genE9ELNS1_11target_archE1100ELNS1_3gpuE3ELNS1_3repE0EEENS1_30default_config_static_selectorELNS0_4arch9wavefront6targetE1EEEvSL_.num_vgpr, 0
	.set _ZN7rocprim17ROCPRIM_400000_NS6detail17trampoline_kernelINS0_14default_configENS1_36segmented_radix_sort_config_selectorI12hip_bfloat16lEEZNS1_25segmented_radix_sort_implIS3_Lb0EPKS5_PS5_PKlPlN2at6native12_GLOBAL__N_18offset_tEEE10hipError_tPvRmT1_PNSt15iterator_traitsISL_E10value_typeET2_T3_PNSM_ISR_E10value_typeET4_jRbjT5_SX_jjP12ihipStream_tbEUlT_E2_NS1_11comp_targetILNS1_3genE9ELNS1_11target_archE1100ELNS1_3gpuE3ELNS1_3repE0EEENS1_30default_config_static_selectorELNS0_4arch9wavefront6targetE1EEEvSL_.num_agpr, 0
	.set _ZN7rocprim17ROCPRIM_400000_NS6detail17trampoline_kernelINS0_14default_configENS1_36segmented_radix_sort_config_selectorI12hip_bfloat16lEEZNS1_25segmented_radix_sort_implIS3_Lb0EPKS5_PS5_PKlPlN2at6native12_GLOBAL__N_18offset_tEEE10hipError_tPvRmT1_PNSt15iterator_traitsISL_E10value_typeET2_T3_PNSM_ISR_E10value_typeET4_jRbjT5_SX_jjP12ihipStream_tbEUlT_E2_NS1_11comp_targetILNS1_3genE9ELNS1_11target_archE1100ELNS1_3gpuE3ELNS1_3repE0EEENS1_30default_config_static_selectorELNS0_4arch9wavefront6targetE1EEEvSL_.numbered_sgpr, 0
	.set _ZN7rocprim17ROCPRIM_400000_NS6detail17trampoline_kernelINS0_14default_configENS1_36segmented_radix_sort_config_selectorI12hip_bfloat16lEEZNS1_25segmented_radix_sort_implIS3_Lb0EPKS5_PS5_PKlPlN2at6native12_GLOBAL__N_18offset_tEEE10hipError_tPvRmT1_PNSt15iterator_traitsISL_E10value_typeET2_T3_PNSM_ISR_E10value_typeET4_jRbjT5_SX_jjP12ihipStream_tbEUlT_E2_NS1_11comp_targetILNS1_3genE9ELNS1_11target_archE1100ELNS1_3gpuE3ELNS1_3repE0EEENS1_30default_config_static_selectorELNS0_4arch9wavefront6targetE1EEEvSL_.num_named_barrier, 0
	.set _ZN7rocprim17ROCPRIM_400000_NS6detail17trampoline_kernelINS0_14default_configENS1_36segmented_radix_sort_config_selectorI12hip_bfloat16lEEZNS1_25segmented_radix_sort_implIS3_Lb0EPKS5_PS5_PKlPlN2at6native12_GLOBAL__N_18offset_tEEE10hipError_tPvRmT1_PNSt15iterator_traitsISL_E10value_typeET2_T3_PNSM_ISR_E10value_typeET4_jRbjT5_SX_jjP12ihipStream_tbEUlT_E2_NS1_11comp_targetILNS1_3genE9ELNS1_11target_archE1100ELNS1_3gpuE3ELNS1_3repE0EEENS1_30default_config_static_selectorELNS0_4arch9wavefront6targetE1EEEvSL_.private_seg_size, 0
	.set _ZN7rocprim17ROCPRIM_400000_NS6detail17trampoline_kernelINS0_14default_configENS1_36segmented_radix_sort_config_selectorI12hip_bfloat16lEEZNS1_25segmented_radix_sort_implIS3_Lb0EPKS5_PS5_PKlPlN2at6native12_GLOBAL__N_18offset_tEEE10hipError_tPvRmT1_PNSt15iterator_traitsISL_E10value_typeET2_T3_PNSM_ISR_E10value_typeET4_jRbjT5_SX_jjP12ihipStream_tbEUlT_E2_NS1_11comp_targetILNS1_3genE9ELNS1_11target_archE1100ELNS1_3gpuE3ELNS1_3repE0EEENS1_30default_config_static_selectorELNS0_4arch9wavefront6targetE1EEEvSL_.uses_vcc, 0
	.set _ZN7rocprim17ROCPRIM_400000_NS6detail17trampoline_kernelINS0_14default_configENS1_36segmented_radix_sort_config_selectorI12hip_bfloat16lEEZNS1_25segmented_radix_sort_implIS3_Lb0EPKS5_PS5_PKlPlN2at6native12_GLOBAL__N_18offset_tEEE10hipError_tPvRmT1_PNSt15iterator_traitsISL_E10value_typeET2_T3_PNSM_ISR_E10value_typeET4_jRbjT5_SX_jjP12ihipStream_tbEUlT_E2_NS1_11comp_targetILNS1_3genE9ELNS1_11target_archE1100ELNS1_3gpuE3ELNS1_3repE0EEENS1_30default_config_static_selectorELNS0_4arch9wavefront6targetE1EEEvSL_.uses_flat_scratch, 0
	.set _ZN7rocprim17ROCPRIM_400000_NS6detail17trampoline_kernelINS0_14default_configENS1_36segmented_radix_sort_config_selectorI12hip_bfloat16lEEZNS1_25segmented_radix_sort_implIS3_Lb0EPKS5_PS5_PKlPlN2at6native12_GLOBAL__N_18offset_tEEE10hipError_tPvRmT1_PNSt15iterator_traitsISL_E10value_typeET2_T3_PNSM_ISR_E10value_typeET4_jRbjT5_SX_jjP12ihipStream_tbEUlT_E2_NS1_11comp_targetILNS1_3genE9ELNS1_11target_archE1100ELNS1_3gpuE3ELNS1_3repE0EEENS1_30default_config_static_selectorELNS0_4arch9wavefront6targetE1EEEvSL_.has_dyn_sized_stack, 0
	.set _ZN7rocprim17ROCPRIM_400000_NS6detail17trampoline_kernelINS0_14default_configENS1_36segmented_radix_sort_config_selectorI12hip_bfloat16lEEZNS1_25segmented_radix_sort_implIS3_Lb0EPKS5_PS5_PKlPlN2at6native12_GLOBAL__N_18offset_tEEE10hipError_tPvRmT1_PNSt15iterator_traitsISL_E10value_typeET2_T3_PNSM_ISR_E10value_typeET4_jRbjT5_SX_jjP12ihipStream_tbEUlT_E2_NS1_11comp_targetILNS1_3genE9ELNS1_11target_archE1100ELNS1_3gpuE3ELNS1_3repE0EEENS1_30default_config_static_selectorELNS0_4arch9wavefront6targetE1EEEvSL_.has_recursion, 0
	.set _ZN7rocprim17ROCPRIM_400000_NS6detail17trampoline_kernelINS0_14default_configENS1_36segmented_radix_sort_config_selectorI12hip_bfloat16lEEZNS1_25segmented_radix_sort_implIS3_Lb0EPKS5_PS5_PKlPlN2at6native12_GLOBAL__N_18offset_tEEE10hipError_tPvRmT1_PNSt15iterator_traitsISL_E10value_typeET2_T3_PNSM_ISR_E10value_typeET4_jRbjT5_SX_jjP12ihipStream_tbEUlT_E2_NS1_11comp_targetILNS1_3genE9ELNS1_11target_archE1100ELNS1_3gpuE3ELNS1_3repE0EEENS1_30default_config_static_selectorELNS0_4arch9wavefront6targetE1EEEvSL_.has_indirect_call, 0
	.section	.AMDGPU.csdata,"",@progbits
; Kernel info:
; codeLenInByte = 0
; TotalNumSgprs: 4
; NumVgprs: 0
; ScratchSize: 0
; MemoryBound: 0
; FloatMode: 240
; IeeeMode: 1
; LDSByteSize: 0 bytes/workgroup (compile time only)
; SGPRBlocks: 0
; VGPRBlocks: 0
; NumSGPRsForWavesPerEU: 4
; NumVGPRsForWavesPerEU: 1
; Occupancy: 10
; WaveLimiterHint : 0
; COMPUTE_PGM_RSRC2:SCRATCH_EN: 0
; COMPUTE_PGM_RSRC2:USER_SGPR: 6
; COMPUTE_PGM_RSRC2:TRAP_HANDLER: 0
; COMPUTE_PGM_RSRC2:TGID_X_EN: 1
; COMPUTE_PGM_RSRC2:TGID_Y_EN: 0
; COMPUTE_PGM_RSRC2:TGID_Z_EN: 0
; COMPUTE_PGM_RSRC2:TIDIG_COMP_CNT: 0
	.section	.text._ZN7rocprim17ROCPRIM_400000_NS6detail17trampoline_kernelINS0_14default_configENS1_36segmented_radix_sort_config_selectorI12hip_bfloat16lEEZNS1_25segmented_radix_sort_implIS3_Lb0EPKS5_PS5_PKlPlN2at6native12_GLOBAL__N_18offset_tEEE10hipError_tPvRmT1_PNSt15iterator_traitsISL_E10value_typeET2_T3_PNSM_ISR_E10value_typeET4_jRbjT5_SX_jjP12ihipStream_tbEUlT_E2_NS1_11comp_targetILNS1_3genE8ELNS1_11target_archE1030ELNS1_3gpuE2ELNS1_3repE0EEENS1_30default_config_static_selectorELNS0_4arch9wavefront6targetE1EEEvSL_,"axG",@progbits,_ZN7rocprim17ROCPRIM_400000_NS6detail17trampoline_kernelINS0_14default_configENS1_36segmented_radix_sort_config_selectorI12hip_bfloat16lEEZNS1_25segmented_radix_sort_implIS3_Lb0EPKS5_PS5_PKlPlN2at6native12_GLOBAL__N_18offset_tEEE10hipError_tPvRmT1_PNSt15iterator_traitsISL_E10value_typeET2_T3_PNSM_ISR_E10value_typeET4_jRbjT5_SX_jjP12ihipStream_tbEUlT_E2_NS1_11comp_targetILNS1_3genE8ELNS1_11target_archE1030ELNS1_3gpuE2ELNS1_3repE0EEENS1_30default_config_static_selectorELNS0_4arch9wavefront6targetE1EEEvSL_,comdat
	.globl	_ZN7rocprim17ROCPRIM_400000_NS6detail17trampoline_kernelINS0_14default_configENS1_36segmented_radix_sort_config_selectorI12hip_bfloat16lEEZNS1_25segmented_radix_sort_implIS3_Lb0EPKS5_PS5_PKlPlN2at6native12_GLOBAL__N_18offset_tEEE10hipError_tPvRmT1_PNSt15iterator_traitsISL_E10value_typeET2_T3_PNSM_ISR_E10value_typeET4_jRbjT5_SX_jjP12ihipStream_tbEUlT_E2_NS1_11comp_targetILNS1_3genE8ELNS1_11target_archE1030ELNS1_3gpuE2ELNS1_3repE0EEENS1_30default_config_static_selectorELNS0_4arch9wavefront6targetE1EEEvSL_ ; -- Begin function _ZN7rocprim17ROCPRIM_400000_NS6detail17trampoline_kernelINS0_14default_configENS1_36segmented_radix_sort_config_selectorI12hip_bfloat16lEEZNS1_25segmented_radix_sort_implIS3_Lb0EPKS5_PS5_PKlPlN2at6native12_GLOBAL__N_18offset_tEEE10hipError_tPvRmT1_PNSt15iterator_traitsISL_E10value_typeET2_T3_PNSM_ISR_E10value_typeET4_jRbjT5_SX_jjP12ihipStream_tbEUlT_E2_NS1_11comp_targetILNS1_3genE8ELNS1_11target_archE1030ELNS1_3gpuE2ELNS1_3repE0EEENS1_30default_config_static_selectorELNS0_4arch9wavefront6targetE1EEEvSL_
	.p2align	8
	.type	_ZN7rocprim17ROCPRIM_400000_NS6detail17trampoline_kernelINS0_14default_configENS1_36segmented_radix_sort_config_selectorI12hip_bfloat16lEEZNS1_25segmented_radix_sort_implIS3_Lb0EPKS5_PS5_PKlPlN2at6native12_GLOBAL__N_18offset_tEEE10hipError_tPvRmT1_PNSt15iterator_traitsISL_E10value_typeET2_T3_PNSM_ISR_E10value_typeET4_jRbjT5_SX_jjP12ihipStream_tbEUlT_E2_NS1_11comp_targetILNS1_3genE8ELNS1_11target_archE1030ELNS1_3gpuE2ELNS1_3repE0EEENS1_30default_config_static_selectorELNS0_4arch9wavefront6targetE1EEEvSL_,@function
_ZN7rocprim17ROCPRIM_400000_NS6detail17trampoline_kernelINS0_14default_configENS1_36segmented_radix_sort_config_selectorI12hip_bfloat16lEEZNS1_25segmented_radix_sort_implIS3_Lb0EPKS5_PS5_PKlPlN2at6native12_GLOBAL__N_18offset_tEEE10hipError_tPvRmT1_PNSt15iterator_traitsISL_E10value_typeET2_T3_PNSM_ISR_E10value_typeET4_jRbjT5_SX_jjP12ihipStream_tbEUlT_E2_NS1_11comp_targetILNS1_3genE8ELNS1_11target_archE1030ELNS1_3gpuE2ELNS1_3repE0EEENS1_30default_config_static_selectorELNS0_4arch9wavefront6targetE1EEEvSL_: ; @_ZN7rocprim17ROCPRIM_400000_NS6detail17trampoline_kernelINS0_14default_configENS1_36segmented_radix_sort_config_selectorI12hip_bfloat16lEEZNS1_25segmented_radix_sort_implIS3_Lb0EPKS5_PS5_PKlPlN2at6native12_GLOBAL__N_18offset_tEEE10hipError_tPvRmT1_PNSt15iterator_traitsISL_E10value_typeET2_T3_PNSM_ISR_E10value_typeET4_jRbjT5_SX_jjP12ihipStream_tbEUlT_E2_NS1_11comp_targetILNS1_3genE8ELNS1_11target_archE1030ELNS1_3gpuE2ELNS1_3repE0EEENS1_30default_config_static_selectorELNS0_4arch9wavefront6targetE1EEEvSL_
; %bb.0:
	.section	.rodata,"a",@progbits
	.p2align	6, 0x0
	.amdhsa_kernel _ZN7rocprim17ROCPRIM_400000_NS6detail17trampoline_kernelINS0_14default_configENS1_36segmented_radix_sort_config_selectorI12hip_bfloat16lEEZNS1_25segmented_radix_sort_implIS3_Lb0EPKS5_PS5_PKlPlN2at6native12_GLOBAL__N_18offset_tEEE10hipError_tPvRmT1_PNSt15iterator_traitsISL_E10value_typeET2_T3_PNSM_ISR_E10value_typeET4_jRbjT5_SX_jjP12ihipStream_tbEUlT_E2_NS1_11comp_targetILNS1_3genE8ELNS1_11target_archE1030ELNS1_3gpuE2ELNS1_3repE0EEENS1_30default_config_static_selectorELNS0_4arch9wavefront6targetE1EEEvSL_
		.amdhsa_group_segment_fixed_size 0
		.amdhsa_private_segment_fixed_size 0
		.amdhsa_kernarg_size 80
		.amdhsa_user_sgpr_count 6
		.amdhsa_user_sgpr_private_segment_buffer 1
		.amdhsa_user_sgpr_dispatch_ptr 0
		.amdhsa_user_sgpr_queue_ptr 0
		.amdhsa_user_sgpr_kernarg_segment_ptr 1
		.amdhsa_user_sgpr_dispatch_id 0
		.amdhsa_user_sgpr_flat_scratch_init 0
		.amdhsa_user_sgpr_private_segment_size 0
		.amdhsa_uses_dynamic_stack 0
		.amdhsa_system_sgpr_private_segment_wavefront_offset 0
		.amdhsa_system_sgpr_workgroup_id_x 1
		.amdhsa_system_sgpr_workgroup_id_y 0
		.amdhsa_system_sgpr_workgroup_id_z 0
		.amdhsa_system_sgpr_workgroup_info 0
		.amdhsa_system_vgpr_workitem_id 0
		.amdhsa_next_free_vgpr 1
		.amdhsa_next_free_sgpr 0
		.amdhsa_reserve_vcc 0
		.amdhsa_reserve_flat_scratch 0
		.amdhsa_float_round_mode_32 0
		.amdhsa_float_round_mode_16_64 0
		.amdhsa_float_denorm_mode_32 3
		.amdhsa_float_denorm_mode_16_64 3
		.amdhsa_dx10_clamp 1
		.amdhsa_ieee_mode 1
		.amdhsa_fp16_overflow 0
		.amdhsa_exception_fp_ieee_invalid_op 0
		.amdhsa_exception_fp_denorm_src 0
		.amdhsa_exception_fp_ieee_div_zero 0
		.amdhsa_exception_fp_ieee_overflow 0
		.amdhsa_exception_fp_ieee_underflow 0
		.amdhsa_exception_fp_ieee_inexact 0
		.amdhsa_exception_int_div_zero 0
	.end_amdhsa_kernel
	.section	.text._ZN7rocprim17ROCPRIM_400000_NS6detail17trampoline_kernelINS0_14default_configENS1_36segmented_radix_sort_config_selectorI12hip_bfloat16lEEZNS1_25segmented_radix_sort_implIS3_Lb0EPKS5_PS5_PKlPlN2at6native12_GLOBAL__N_18offset_tEEE10hipError_tPvRmT1_PNSt15iterator_traitsISL_E10value_typeET2_T3_PNSM_ISR_E10value_typeET4_jRbjT5_SX_jjP12ihipStream_tbEUlT_E2_NS1_11comp_targetILNS1_3genE8ELNS1_11target_archE1030ELNS1_3gpuE2ELNS1_3repE0EEENS1_30default_config_static_selectorELNS0_4arch9wavefront6targetE1EEEvSL_,"axG",@progbits,_ZN7rocprim17ROCPRIM_400000_NS6detail17trampoline_kernelINS0_14default_configENS1_36segmented_radix_sort_config_selectorI12hip_bfloat16lEEZNS1_25segmented_radix_sort_implIS3_Lb0EPKS5_PS5_PKlPlN2at6native12_GLOBAL__N_18offset_tEEE10hipError_tPvRmT1_PNSt15iterator_traitsISL_E10value_typeET2_T3_PNSM_ISR_E10value_typeET4_jRbjT5_SX_jjP12ihipStream_tbEUlT_E2_NS1_11comp_targetILNS1_3genE8ELNS1_11target_archE1030ELNS1_3gpuE2ELNS1_3repE0EEENS1_30default_config_static_selectorELNS0_4arch9wavefront6targetE1EEEvSL_,comdat
.Lfunc_end2087:
	.size	_ZN7rocprim17ROCPRIM_400000_NS6detail17trampoline_kernelINS0_14default_configENS1_36segmented_radix_sort_config_selectorI12hip_bfloat16lEEZNS1_25segmented_radix_sort_implIS3_Lb0EPKS5_PS5_PKlPlN2at6native12_GLOBAL__N_18offset_tEEE10hipError_tPvRmT1_PNSt15iterator_traitsISL_E10value_typeET2_T3_PNSM_ISR_E10value_typeET4_jRbjT5_SX_jjP12ihipStream_tbEUlT_E2_NS1_11comp_targetILNS1_3genE8ELNS1_11target_archE1030ELNS1_3gpuE2ELNS1_3repE0EEENS1_30default_config_static_selectorELNS0_4arch9wavefront6targetE1EEEvSL_, .Lfunc_end2087-_ZN7rocprim17ROCPRIM_400000_NS6detail17trampoline_kernelINS0_14default_configENS1_36segmented_radix_sort_config_selectorI12hip_bfloat16lEEZNS1_25segmented_radix_sort_implIS3_Lb0EPKS5_PS5_PKlPlN2at6native12_GLOBAL__N_18offset_tEEE10hipError_tPvRmT1_PNSt15iterator_traitsISL_E10value_typeET2_T3_PNSM_ISR_E10value_typeET4_jRbjT5_SX_jjP12ihipStream_tbEUlT_E2_NS1_11comp_targetILNS1_3genE8ELNS1_11target_archE1030ELNS1_3gpuE2ELNS1_3repE0EEENS1_30default_config_static_selectorELNS0_4arch9wavefront6targetE1EEEvSL_
                                        ; -- End function
	.set _ZN7rocprim17ROCPRIM_400000_NS6detail17trampoline_kernelINS0_14default_configENS1_36segmented_radix_sort_config_selectorI12hip_bfloat16lEEZNS1_25segmented_radix_sort_implIS3_Lb0EPKS5_PS5_PKlPlN2at6native12_GLOBAL__N_18offset_tEEE10hipError_tPvRmT1_PNSt15iterator_traitsISL_E10value_typeET2_T3_PNSM_ISR_E10value_typeET4_jRbjT5_SX_jjP12ihipStream_tbEUlT_E2_NS1_11comp_targetILNS1_3genE8ELNS1_11target_archE1030ELNS1_3gpuE2ELNS1_3repE0EEENS1_30default_config_static_selectorELNS0_4arch9wavefront6targetE1EEEvSL_.num_vgpr, 0
	.set _ZN7rocprim17ROCPRIM_400000_NS6detail17trampoline_kernelINS0_14default_configENS1_36segmented_radix_sort_config_selectorI12hip_bfloat16lEEZNS1_25segmented_radix_sort_implIS3_Lb0EPKS5_PS5_PKlPlN2at6native12_GLOBAL__N_18offset_tEEE10hipError_tPvRmT1_PNSt15iterator_traitsISL_E10value_typeET2_T3_PNSM_ISR_E10value_typeET4_jRbjT5_SX_jjP12ihipStream_tbEUlT_E2_NS1_11comp_targetILNS1_3genE8ELNS1_11target_archE1030ELNS1_3gpuE2ELNS1_3repE0EEENS1_30default_config_static_selectorELNS0_4arch9wavefront6targetE1EEEvSL_.num_agpr, 0
	.set _ZN7rocprim17ROCPRIM_400000_NS6detail17trampoline_kernelINS0_14default_configENS1_36segmented_radix_sort_config_selectorI12hip_bfloat16lEEZNS1_25segmented_radix_sort_implIS3_Lb0EPKS5_PS5_PKlPlN2at6native12_GLOBAL__N_18offset_tEEE10hipError_tPvRmT1_PNSt15iterator_traitsISL_E10value_typeET2_T3_PNSM_ISR_E10value_typeET4_jRbjT5_SX_jjP12ihipStream_tbEUlT_E2_NS1_11comp_targetILNS1_3genE8ELNS1_11target_archE1030ELNS1_3gpuE2ELNS1_3repE0EEENS1_30default_config_static_selectorELNS0_4arch9wavefront6targetE1EEEvSL_.numbered_sgpr, 0
	.set _ZN7rocprim17ROCPRIM_400000_NS6detail17trampoline_kernelINS0_14default_configENS1_36segmented_radix_sort_config_selectorI12hip_bfloat16lEEZNS1_25segmented_radix_sort_implIS3_Lb0EPKS5_PS5_PKlPlN2at6native12_GLOBAL__N_18offset_tEEE10hipError_tPvRmT1_PNSt15iterator_traitsISL_E10value_typeET2_T3_PNSM_ISR_E10value_typeET4_jRbjT5_SX_jjP12ihipStream_tbEUlT_E2_NS1_11comp_targetILNS1_3genE8ELNS1_11target_archE1030ELNS1_3gpuE2ELNS1_3repE0EEENS1_30default_config_static_selectorELNS0_4arch9wavefront6targetE1EEEvSL_.num_named_barrier, 0
	.set _ZN7rocprim17ROCPRIM_400000_NS6detail17trampoline_kernelINS0_14default_configENS1_36segmented_radix_sort_config_selectorI12hip_bfloat16lEEZNS1_25segmented_radix_sort_implIS3_Lb0EPKS5_PS5_PKlPlN2at6native12_GLOBAL__N_18offset_tEEE10hipError_tPvRmT1_PNSt15iterator_traitsISL_E10value_typeET2_T3_PNSM_ISR_E10value_typeET4_jRbjT5_SX_jjP12ihipStream_tbEUlT_E2_NS1_11comp_targetILNS1_3genE8ELNS1_11target_archE1030ELNS1_3gpuE2ELNS1_3repE0EEENS1_30default_config_static_selectorELNS0_4arch9wavefront6targetE1EEEvSL_.private_seg_size, 0
	.set _ZN7rocprim17ROCPRIM_400000_NS6detail17trampoline_kernelINS0_14default_configENS1_36segmented_radix_sort_config_selectorI12hip_bfloat16lEEZNS1_25segmented_radix_sort_implIS3_Lb0EPKS5_PS5_PKlPlN2at6native12_GLOBAL__N_18offset_tEEE10hipError_tPvRmT1_PNSt15iterator_traitsISL_E10value_typeET2_T3_PNSM_ISR_E10value_typeET4_jRbjT5_SX_jjP12ihipStream_tbEUlT_E2_NS1_11comp_targetILNS1_3genE8ELNS1_11target_archE1030ELNS1_3gpuE2ELNS1_3repE0EEENS1_30default_config_static_selectorELNS0_4arch9wavefront6targetE1EEEvSL_.uses_vcc, 0
	.set _ZN7rocprim17ROCPRIM_400000_NS6detail17trampoline_kernelINS0_14default_configENS1_36segmented_radix_sort_config_selectorI12hip_bfloat16lEEZNS1_25segmented_radix_sort_implIS3_Lb0EPKS5_PS5_PKlPlN2at6native12_GLOBAL__N_18offset_tEEE10hipError_tPvRmT1_PNSt15iterator_traitsISL_E10value_typeET2_T3_PNSM_ISR_E10value_typeET4_jRbjT5_SX_jjP12ihipStream_tbEUlT_E2_NS1_11comp_targetILNS1_3genE8ELNS1_11target_archE1030ELNS1_3gpuE2ELNS1_3repE0EEENS1_30default_config_static_selectorELNS0_4arch9wavefront6targetE1EEEvSL_.uses_flat_scratch, 0
	.set _ZN7rocprim17ROCPRIM_400000_NS6detail17trampoline_kernelINS0_14default_configENS1_36segmented_radix_sort_config_selectorI12hip_bfloat16lEEZNS1_25segmented_radix_sort_implIS3_Lb0EPKS5_PS5_PKlPlN2at6native12_GLOBAL__N_18offset_tEEE10hipError_tPvRmT1_PNSt15iterator_traitsISL_E10value_typeET2_T3_PNSM_ISR_E10value_typeET4_jRbjT5_SX_jjP12ihipStream_tbEUlT_E2_NS1_11comp_targetILNS1_3genE8ELNS1_11target_archE1030ELNS1_3gpuE2ELNS1_3repE0EEENS1_30default_config_static_selectorELNS0_4arch9wavefront6targetE1EEEvSL_.has_dyn_sized_stack, 0
	.set _ZN7rocprim17ROCPRIM_400000_NS6detail17trampoline_kernelINS0_14default_configENS1_36segmented_radix_sort_config_selectorI12hip_bfloat16lEEZNS1_25segmented_radix_sort_implIS3_Lb0EPKS5_PS5_PKlPlN2at6native12_GLOBAL__N_18offset_tEEE10hipError_tPvRmT1_PNSt15iterator_traitsISL_E10value_typeET2_T3_PNSM_ISR_E10value_typeET4_jRbjT5_SX_jjP12ihipStream_tbEUlT_E2_NS1_11comp_targetILNS1_3genE8ELNS1_11target_archE1030ELNS1_3gpuE2ELNS1_3repE0EEENS1_30default_config_static_selectorELNS0_4arch9wavefront6targetE1EEEvSL_.has_recursion, 0
	.set _ZN7rocprim17ROCPRIM_400000_NS6detail17trampoline_kernelINS0_14default_configENS1_36segmented_radix_sort_config_selectorI12hip_bfloat16lEEZNS1_25segmented_radix_sort_implIS3_Lb0EPKS5_PS5_PKlPlN2at6native12_GLOBAL__N_18offset_tEEE10hipError_tPvRmT1_PNSt15iterator_traitsISL_E10value_typeET2_T3_PNSM_ISR_E10value_typeET4_jRbjT5_SX_jjP12ihipStream_tbEUlT_E2_NS1_11comp_targetILNS1_3genE8ELNS1_11target_archE1030ELNS1_3gpuE2ELNS1_3repE0EEENS1_30default_config_static_selectorELNS0_4arch9wavefront6targetE1EEEvSL_.has_indirect_call, 0
	.section	.AMDGPU.csdata,"",@progbits
; Kernel info:
; codeLenInByte = 0
; TotalNumSgprs: 4
; NumVgprs: 0
; ScratchSize: 0
; MemoryBound: 0
; FloatMode: 240
; IeeeMode: 1
; LDSByteSize: 0 bytes/workgroup (compile time only)
; SGPRBlocks: 0
; VGPRBlocks: 0
; NumSGPRsForWavesPerEU: 4
; NumVGPRsForWavesPerEU: 1
; Occupancy: 10
; WaveLimiterHint : 0
; COMPUTE_PGM_RSRC2:SCRATCH_EN: 0
; COMPUTE_PGM_RSRC2:USER_SGPR: 6
; COMPUTE_PGM_RSRC2:TRAP_HANDLER: 0
; COMPUTE_PGM_RSRC2:TGID_X_EN: 1
; COMPUTE_PGM_RSRC2:TGID_Y_EN: 0
; COMPUTE_PGM_RSRC2:TGID_Z_EN: 0
; COMPUTE_PGM_RSRC2:TIDIG_COMP_CNT: 0
	.section	.AMDGPU.gpr_maximums,"",@progbits
	.set amdgpu.max_num_vgpr, 248
	.set amdgpu.max_num_agpr, 0
	.set amdgpu.max_num_sgpr, 96
	.section	.AMDGPU.csdata,"",@progbits
	.protected	_ZN7rocprim17ROCPRIM_400000_NS16block_radix_sortIhLj256ELj1ElLj1ELj1ELj8ELNS0_26block_radix_rank_algorithmE2ELNS0_18block_padding_hintE2ELNS0_4arch9wavefront6targetE1EE19radix_bits_per_passE ; @_ZN7rocprim17ROCPRIM_400000_NS16block_radix_sortIhLj256ELj1ElLj1ELj1ELj8ELNS0_26block_radix_rank_algorithmE2ELNS0_18block_padding_hintE2ELNS0_4arch9wavefront6targetE1EE19radix_bits_per_passE
	.type	_ZN7rocprim17ROCPRIM_400000_NS16block_radix_sortIhLj256ELj1ElLj1ELj1ELj8ELNS0_26block_radix_rank_algorithmE2ELNS0_18block_padding_hintE2ELNS0_4arch9wavefront6targetE1EE19radix_bits_per_passE,@object
	.section	.rodata._ZN7rocprim17ROCPRIM_400000_NS16block_radix_sortIhLj256ELj1ElLj1ELj1ELj8ELNS0_26block_radix_rank_algorithmE2ELNS0_18block_padding_hintE2ELNS0_4arch9wavefront6targetE1EE19radix_bits_per_passE,"aG",@progbits,_ZN7rocprim17ROCPRIM_400000_NS16block_radix_sortIhLj256ELj1ElLj1ELj1ELj8ELNS0_26block_radix_rank_algorithmE2ELNS0_18block_padding_hintE2ELNS0_4arch9wavefront6targetE1EE19radix_bits_per_passE,comdat
	.weak	_ZN7rocprim17ROCPRIM_400000_NS16block_radix_sortIhLj256ELj1ElLj1ELj1ELj8ELNS0_26block_radix_rank_algorithmE2ELNS0_18block_padding_hintE2ELNS0_4arch9wavefront6targetE1EE19radix_bits_per_passE
	.p2align	2, 0x0
_ZN7rocprim17ROCPRIM_400000_NS16block_radix_sortIhLj256ELj1ElLj1ELj1ELj8ELNS0_26block_radix_rank_algorithmE2ELNS0_18block_padding_hintE2ELNS0_4arch9wavefront6targetE1EE19radix_bits_per_passE:
	.long	8                               ; 0x8
	.size	_ZN7rocprim17ROCPRIM_400000_NS16block_radix_sortIhLj256ELj1ElLj1ELj1ELj8ELNS0_26block_radix_rank_algorithmE2ELNS0_18block_padding_hintE2ELNS0_4arch9wavefront6targetE1EE19radix_bits_per_passE, 4

	.protected	_ZN7rocprim17ROCPRIM_400000_NS16block_radix_sortIhLj256ELj2ElLj1ELj1ELj8ELNS0_26block_radix_rank_algorithmE2ELNS0_18block_padding_hintE2ELNS0_4arch9wavefront6targetE1EE19radix_bits_per_passE ; @_ZN7rocprim17ROCPRIM_400000_NS16block_radix_sortIhLj256ELj2ElLj1ELj1ELj8ELNS0_26block_radix_rank_algorithmE2ELNS0_18block_padding_hintE2ELNS0_4arch9wavefront6targetE1EE19radix_bits_per_passE
	.type	_ZN7rocprim17ROCPRIM_400000_NS16block_radix_sortIhLj256ELj2ElLj1ELj1ELj8ELNS0_26block_radix_rank_algorithmE2ELNS0_18block_padding_hintE2ELNS0_4arch9wavefront6targetE1EE19radix_bits_per_passE,@object
	.section	.rodata._ZN7rocprim17ROCPRIM_400000_NS16block_radix_sortIhLj256ELj2ElLj1ELj1ELj8ELNS0_26block_radix_rank_algorithmE2ELNS0_18block_padding_hintE2ELNS0_4arch9wavefront6targetE1EE19radix_bits_per_passE,"aG",@progbits,_ZN7rocprim17ROCPRIM_400000_NS16block_radix_sortIhLj256ELj2ElLj1ELj1ELj8ELNS0_26block_radix_rank_algorithmE2ELNS0_18block_padding_hintE2ELNS0_4arch9wavefront6targetE1EE19radix_bits_per_passE,comdat
	.weak	_ZN7rocprim17ROCPRIM_400000_NS16block_radix_sortIhLj256ELj2ElLj1ELj1ELj8ELNS0_26block_radix_rank_algorithmE2ELNS0_18block_padding_hintE2ELNS0_4arch9wavefront6targetE1EE19radix_bits_per_passE
	.p2align	2, 0x0
_ZN7rocprim17ROCPRIM_400000_NS16block_radix_sortIhLj256ELj2ElLj1ELj1ELj8ELNS0_26block_radix_rank_algorithmE2ELNS0_18block_padding_hintE2ELNS0_4arch9wavefront6targetE1EE19radix_bits_per_passE:
	.long	8                               ; 0x8
	.size	_ZN7rocprim17ROCPRIM_400000_NS16block_radix_sortIhLj256ELj2ElLj1ELj1ELj8ELNS0_26block_radix_rank_algorithmE2ELNS0_18block_padding_hintE2ELNS0_4arch9wavefront6targetE1EE19radix_bits_per_passE, 4

	.protected	_ZN7rocprim17ROCPRIM_400000_NS16block_radix_sortIhLj256ELj4ElLj1ELj1ELj8ELNS0_26block_radix_rank_algorithmE2ELNS0_18block_padding_hintE2ELNS0_4arch9wavefront6targetE1EE19radix_bits_per_passE ; @_ZN7rocprim17ROCPRIM_400000_NS16block_radix_sortIhLj256ELj4ElLj1ELj1ELj8ELNS0_26block_radix_rank_algorithmE2ELNS0_18block_padding_hintE2ELNS0_4arch9wavefront6targetE1EE19radix_bits_per_passE
	.type	_ZN7rocprim17ROCPRIM_400000_NS16block_radix_sortIhLj256ELj4ElLj1ELj1ELj8ELNS0_26block_radix_rank_algorithmE2ELNS0_18block_padding_hintE2ELNS0_4arch9wavefront6targetE1EE19radix_bits_per_passE,@object
	.section	.rodata._ZN7rocprim17ROCPRIM_400000_NS16block_radix_sortIhLj256ELj4ElLj1ELj1ELj8ELNS0_26block_radix_rank_algorithmE2ELNS0_18block_padding_hintE2ELNS0_4arch9wavefront6targetE1EE19radix_bits_per_passE,"aG",@progbits,_ZN7rocprim17ROCPRIM_400000_NS16block_radix_sortIhLj256ELj4ElLj1ELj1ELj8ELNS0_26block_radix_rank_algorithmE2ELNS0_18block_padding_hintE2ELNS0_4arch9wavefront6targetE1EE19radix_bits_per_passE,comdat
	.weak	_ZN7rocprim17ROCPRIM_400000_NS16block_radix_sortIhLj256ELj4ElLj1ELj1ELj8ELNS0_26block_radix_rank_algorithmE2ELNS0_18block_padding_hintE2ELNS0_4arch9wavefront6targetE1EE19radix_bits_per_passE
	.p2align	2, 0x0
_ZN7rocprim17ROCPRIM_400000_NS16block_radix_sortIhLj256ELj4ElLj1ELj1ELj8ELNS0_26block_radix_rank_algorithmE2ELNS0_18block_padding_hintE2ELNS0_4arch9wavefront6targetE1EE19radix_bits_per_passE:
	.long	8                               ; 0x8
	.size	_ZN7rocprim17ROCPRIM_400000_NS16block_radix_sortIhLj256ELj4ElLj1ELj1ELj8ELNS0_26block_radix_rank_algorithmE2ELNS0_18block_padding_hintE2ELNS0_4arch9wavefront6targetE1EE19radix_bits_per_passE, 4

	.protected	_ZN7rocprim17ROCPRIM_400000_NS16block_radix_sortIaLj256ELj1ElLj1ELj1ELj8ELNS0_26block_radix_rank_algorithmE2ELNS0_18block_padding_hintE2ELNS0_4arch9wavefront6targetE1EE19radix_bits_per_passE ; @_ZN7rocprim17ROCPRIM_400000_NS16block_radix_sortIaLj256ELj1ElLj1ELj1ELj8ELNS0_26block_radix_rank_algorithmE2ELNS0_18block_padding_hintE2ELNS0_4arch9wavefront6targetE1EE19radix_bits_per_passE
	.type	_ZN7rocprim17ROCPRIM_400000_NS16block_radix_sortIaLj256ELj1ElLj1ELj1ELj8ELNS0_26block_radix_rank_algorithmE2ELNS0_18block_padding_hintE2ELNS0_4arch9wavefront6targetE1EE19radix_bits_per_passE,@object
	.section	.rodata._ZN7rocprim17ROCPRIM_400000_NS16block_radix_sortIaLj256ELj1ElLj1ELj1ELj8ELNS0_26block_radix_rank_algorithmE2ELNS0_18block_padding_hintE2ELNS0_4arch9wavefront6targetE1EE19radix_bits_per_passE,"aG",@progbits,_ZN7rocprim17ROCPRIM_400000_NS16block_radix_sortIaLj256ELj1ElLj1ELj1ELj8ELNS0_26block_radix_rank_algorithmE2ELNS0_18block_padding_hintE2ELNS0_4arch9wavefront6targetE1EE19radix_bits_per_passE,comdat
	.weak	_ZN7rocprim17ROCPRIM_400000_NS16block_radix_sortIaLj256ELj1ElLj1ELj1ELj8ELNS0_26block_radix_rank_algorithmE2ELNS0_18block_padding_hintE2ELNS0_4arch9wavefront6targetE1EE19radix_bits_per_passE
	.p2align	2, 0x0
_ZN7rocprim17ROCPRIM_400000_NS16block_radix_sortIaLj256ELj1ElLj1ELj1ELj8ELNS0_26block_radix_rank_algorithmE2ELNS0_18block_padding_hintE2ELNS0_4arch9wavefront6targetE1EE19radix_bits_per_passE:
	.long	8                               ; 0x8
	.size	_ZN7rocprim17ROCPRIM_400000_NS16block_radix_sortIaLj256ELj1ElLj1ELj1ELj8ELNS0_26block_radix_rank_algorithmE2ELNS0_18block_padding_hintE2ELNS0_4arch9wavefront6targetE1EE19radix_bits_per_passE, 4

	.protected	_ZN7rocprim17ROCPRIM_400000_NS16block_radix_sortIaLj256ELj2ElLj1ELj1ELj8ELNS0_26block_radix_rank_algorithmE2ELNS0_18block_padding_hintE2ELNS0_4arch9wavefront6targetE1EE19radix_bits_per_passE ; @_ZN7rocprim17ROCPRIM_400000_NS16block_radix_sortIaLj256ELj2ElLj1ELj1ELj8ELNS0_26block_radix_rank_algorithmE2ELNS0_18block_padding_hintE2ELNS0_4arch9wavefront6targetE1EE19radix_bits_per_passE
	.type	_ZN7rocprim17ROCPRIM_400000_NS16block_radix_sortIaLj256ELj2ElLj1ELj1ELj8ELNS0_26block_radix_rank_algorithmE2ELNS0_18block_padding_hintE2ELNS0_4arch9wavefront6targetE1EE19radix_bits_per_passE,@object
	.section	.rodata._ZN7rocprim17ROCPRIM_400000_NS16block_radix_sortIaLj256ELj2ElLj1ELj1ELj8ELNS0_26block_radix_rank_algorithmE2ELNS0_18block_padding_hintE2ELNS0_4arch9wavefront6targetE1EE19radix_bits_per_passE,"aG",@progbits,_ZN7rocprim17ROCPRIM_400000_NS16block_radix_sortIaLj256ELj2ElLj1ELj1ELj8ELNS0_26block_radix_rank_algorithmE2ELNS0_18block_padding_hintE2ELNS0_4arch9wavefront6targetE1EE19radix_bits_per_passE,comdat
	.weak	_ZN7rocprim17ROCPRIM_400000_NS16block_radix_sortIaLj256ELj2ElLj1ELj1ELj8ELNS0_26block_radix_rank_algorithmE2ELNS0_18block_padding_hintE2ELNS0_4arch9wavefront6targetE1EE19radix_bits_per_passE
	.p2align	2, 0x0
_ZN7rocprim17ROCPRIM_400000_NS16block_radix_sortIaLj256ELj2ElLj1ELj1ELj8ELNS0_26block_radix_rank_algorithmE2ELNS0_18block_padding_hintE2ELNS0_4arch9wavefront6targetE1EE19radix_bits_per_passE:
	.long	8                               ; 0x8
	.size	_ZN7rocprim17ROCPRIM_400000_NS16block_radix_sortIaLj256ELj2ElLj1ELj1ELj8ELNS0_26block_radix_rank_algorithmE2ELNS0_18block_padding_hintE2ELNS0_4arch9wavefront6targetE1EE19radix_bits_per_passE, 4

	.protected	_ZN7rocprim17ROCPRIM_400000_NS16block_radix_sortIaLj256ELj4ElLj1ELj1ELj8ELNS0_26block_radix_rank_algorithmE2ELNS0_18block_padding_hintE2ELNS0_4arch9wavefront6targetE1EE19radix_bits_per_passE ; @_ZN7rocprim17ROCPRIM_400000_NS16block_radix_sortIaLj256ELj4ElLj1ELj1ELj8ELNS0_26block_radix_rank_algorithmE2ELNS0_18block_padding_hintE2ELNS0_4arch9wavefront6targetE1EE19radix_bits_per_passE
	.type	_ZN7rocprim17ROCPRIM_400000_NS16block_radix_sortIaLj256ELj4ElLj1ELj1ELj8ELNS0_26block_radix_rank_algorithmE2ELNS0_18block_padding_hintE2ELNS0_4arch9wavefront6targetE1EE19radix_bits_per_passE,@object
	.section	.rodata._ZN7rocprim17ROCPRIM_400000_NS16block_radix_sortIaLj256ELj4ElLj1ELj1ELj8ELNS0_26block_radix_rank_algorithmE2ELNS0_18block_padding_hintE2ELNS0_4arch9wavefront6targetE1EE19radix_bits_per_passE,"aG",@progbits,_ZN7rocprim17ROCPRIM_400000_NS16block_radix_sortIaLj256ELj4ElLj1ELj1ELj8ELNS0_26block_radix_rank_algorithmE2ELNS0_18block_padding_hintE2ELNS0_4arch9wavefront6targetE1EE19radix_bits_per_passE,comdat
	.weak	_ZN7rocprim17ROCPRIM_400000_NS16block_radix_sortIaLj256ELj4ElLj1ELj1ELj8ELNS0_26block_radix_rank_algorithmE2ELNS0_18block_padding_hintE2ELNS0_4arch9wavefront6targetE1EE19radix_bits_per_passE
	.p2align	2, 0x0
_ZN7rocprim17ROCPRIM_400000_NS16block_radix_sortIaLj256ELj4ElLj1ELj1ELj8ELNS0_26block_radix_rank_algorithmE2ELNS0_18block_padding_hintE2ELNS0_4arch9wavefront6targetE1EE19radix_bits_per_passE:
	.long	8                               ; 0x8
	.size	_ZN7rocprim17ROCPRIM_400000_NS16block_radix_sortIaLj256ELj4ElLj1ELj1ELj8ELNS0_26block_radix_rank_algorithmE2ELNS0_18block_padding_hintE2ELNS0_4arch9wavefront6targetE1EE19radix_bits_per_passE, 4

	.protected	_ZN7rocprim17ROCPRIM_400000_NS16block_radix_sortIiLj256ELj1ElLj1ELj1ELj8ELNS0_26block_radix_rank_algorithmE2ELNS0_18block_padding_hintE2ELNS0_4arch9wavefront6targetE1EE19radix_bits_per_passE ; @_ZN7rocprim17ROCPRIM_400000_NS16block_radix_sortIiLj256ELj1ElLj1ELj1ELj8ELNS0_26block_radix_rank_algorithmE2ELNS0_18block_padding_hintE2ELNS0_4arch9wavefront6targetE1EE19radix_bits_per_passE
	.type	_ZN7rocprim17ROCPRIM_400000_NS16block_radix_sortIiLj256ELj1ElLj1ELj1ELj8ELNS0_26block_radix_rank_algorithmE2ELNS0_18block_padding_hintE2ELNS0_4arch9wavefront6targetE1EE19radix_bits_per_passE,@object
	.section	.rodata._ZN7rocprim17ROCPRIM_400000_NS16block_radix_sortIiLj256ELj1ElLj1ELj1ELj8ELNS0_26block_radix_rank_algorithmE2ELNS0_18block_padding_hintE2ELNS0_4arch9wavefront6targetE1EE19radix_bits_per_passE,"aG",@progbits,_ZN7rocprim17ROCPRIM_400000_NS16block_radix_sortIiLj256ELj1ElLj1ELj1ELj8ELNS0_26block_radix_rank_algorithmE2ELNS0_18block_padding_hintE2ELNS0_4arch9wavefront6targetE1EE19radix_bits_per_passE,comdat
	.weak	_ZN7rocprim17ROCPRIM_400000_NS16block_radix_sortIiLj256ELj1ElLj1ELj1ELj8ELNS0_26block_radix_rank_algorithmE2ELNS0_18block_padding_hintE2ELNS0_4arch9wavefront6targetE1EE19radix_bits_per_passE
	.p2align	2, 0x0
_ZN7rocprim17ROCPRIM_400000_NS16block_radix_sortIiLj256ELj1ElLj1ELj1ELj8ELNS0_26block_radix_rank_algorithmE2ELNS0_18block_padding_hintE2ELNS0_4arch9wavefront6targetE1EE19radix_bits_per_passE:
	.long	8                               ; 0x8
	.size	_ZN7rocprim17ROCPRIM_400000_NS16block_radix_sortIiLj256ELj1ElLj1ELj1ELj8ELNS0_26block_radix_rank_algorithmE2ELNS0_18block_padding_hintE2ELNS0_4arch9wavefront6targetE1EE19radix_bits_per_passE, 4

	.protected	_ZN7rocprim17ROCPRIM_400000_NS16block_radix_sortIiLj256ELj2ElLj1ELj1ELj8ELNS0_26block_radix_rank_algorithmE2ELNS0_18block_padding_hintE2ELNS0_4arch9wavefront6targetE1EE19radix_bits_per_passE ; @_ZN7rocprim17ROCPRIM_400000_NS16block_radix_sortIiLj256ELj2ElLj1ELj1ELj8ELNS0_26block_radix_rank_algorithmE2ELNS0_18block_padding_hintE2ELNS0_4arch9wavefront6targetE1EE19radix_bits_per_passE
	.type	_ZN7rocprim17ROCPRIM_400000_NS16block_radix_sortIiLj256ELj2ElLj1ELj1ELj8ELNS0_26block_radix_rank_algorithmE2ELNS0_18block_padding_hintE2ELNS0_4arch9wavefront6targetE1EE19radix_bits_per_passE,@object
	.section	.rodata._ZN7rocprim17ROCPRIM_400000_NS16block_radix_sortIiLj256ELj2ElLj1ELj1ELj8ELNS0_26block_radix_rank_algorithmE2ELNS0_18block_padding_hintE2ELNS0_4arch9wavefront6targetE1EE19radix_bits_per_passE,"aG",@progbits,_ZN7rocprim17ROCPRIM_400000_NS16block_radix_sortIiLj256ELj2ElLj1ELj1ELj8ELNS0_26block_radix_rank_algorithmE2ELNS0_18block_padding_hintE2ELNS0_4arch9wavefront6targetE1EE19radix_bits_per_passE,comdat
	.weak	_ZN7rocprim17ROCPRIM_400000_NS16block_radix_sortIiLj256ELj2ElLj1ELj1ELj8ELNS0_26block_radix_rank_algorithmE2ELNS0_18block_padding_hintE2ELNS0_4arch9wavefront6targetE1EE19radix_bits_per_passE
	.p2align	2, 0x0
_ZN7rocprim17ROCPRIM_400000_NS16block_radix_sortIiLj256ELj2ElLj1ELj1ELj8ELNS0_26block_radix_rank_algorithmE2ELNS0_18block_padding_hintE2ELNS0_4arch9wavefront6targetE1EE19radix_bits_per_passE:
	.long	8                               ; 0x8
	.size	_ZN7rocprim17ROCPRIM_400000_NS16block_radix_sortIiLj256ELj2ElLj1ELj1ELj8ELNS0_26block_radix_rank_algorithmE2ELNS0_18block_padding_hintE2ELNS0_4arch9wavefront6targetE1EE19radix_bits_per_passE, 4

	.protected	_ZN7rocprim17ROCPRIM_400000_NS16block_radix_sortIiLj256ELj4ElLj1ELj1ELj8ELNS0_26block_radix_rank_algorithmE2ELNS0_18block_padding_hintE2ELNS0_4arch9wavefront6targetE1EE19radix_bits_per_passE ; @_ZN7rocprim17ROCPRIM_400000_NS16block_radix_sortIiLj256ELj4ElLj1ELj1ELj8ELNS0_26block_radix_rank_algorithmE2ELNS0_18block_padding_hintE2ELNS0_4arch9wavefront6targetE1EE19radix_bits_per_passE
	.type	_ZN7rocprim17ROCPRIM_400000_NS16block_radix_sortIiLj256ELj4ElLj1ELj1ELj8ELNS0_26block_radix_rank_algorithmE2ELNS0_18block_padding_hintE2ELNS0_4arch9wavefront6targetE1EE19radix_bits_per_passE,@object
	.section	.rodata._ZN7rocprim17ROCPRIM_400000_NS16block_radix_sortIiLj256ELj4ElLj1ELj1ELj8ELNS0_26block_radix_rank_algorithmE2ELNS0_18block_padding_hintE2ELNS0_4arch9wavefront6targetE1EE19radix_bits_per_passE,"aG",@progbits,_ZN7rocprim17ROCPRIM_400000_NS16block_radix_sortIiLj256ELj4ElLj1ELj1ELj8ELNS0_26block_radix_rank_algorithmE2ELNS0_18block_padding_hintE2ELNS0_4arch9wavefront6targetE1EE19radix_bits_per_passE,comdat
	.weak	_ZN7rocprim17ROCPRIM_400000_NS16block_radix_sortIiLj256ELj4ElLj1ELj1ELj8ELNS0_26block_radix_rank_algorithmE2ELNS0_18block_padding_hintE2ELNS0_4arch9wavefront6targetE1EE19radix_bits_per_passE
	.p2align	2, 0x0
_ZN7rocprim17ROCPRIM_400000_NS16block_radix_sortIiLj256ELj4ElLj1ELj1ELj8ELNS0_26block_radix_rank_algorithmE2ELNS0_18block_padding_hintE2ELNS0_4arch9wavefront6targetE1EE19radix_bits_per_passE:
	.long	8                               ; 0x8
	.size	_ZN7rocprim17ROCPRIM_400000_NS16block_radix_sortIiLj256ELj4ElLj1ELj1ELj8ELNS0_26block_radix_rank_algorithmE2ELNS0_18block_padding_hintE2ELNS0_4arch9wavefront6targetE1EE19radix_bits_per_passE, 4

	.protected	_ZN7rocprim17ROCPRIM_400000_NS16block_radix_sortIiLj256ELj8ElLj1ELj1ELj8ELNS0_26block_radix_rank_algorithmE2ELNS0_18block_padding_hintE2ELNS0_4arch9wavefront6targetE1EE19radix_bits_per_passE ; @_ZN7rocprim17ROCPRIM_400000_NS16block_radix_sortIiLj256ELj8ElLj1ELj1ELj8ELNS0_26block_radix_rank_algorithmE2ELNS0_18block_padding_hintE2ELNS0_4arch9wavefront6targetE1EE19radix_bits_per_passE
	.type	_ZN7rocprim17ROCPRIM_400000_NS16block_radix_sortIiLj256ELj8ElLj1ELj1ELj8ELNS0_26block_radix_rank_algorithmE2ELNS0_18block_padding_hintE2ELNS0_4arch9wavefront6targetE1EE19radix_bits_per_passE,@object
	.section	.rodata._ZN7rocprim17ROCPRIM_400000_NS16block_radix_sortIiLj256ELj8ElLj1ELj1ELj8ELNS0_26block_radix_rank_algorithmE2ELNS0_18block_padding_hintE2ELNS0_4arch9wavefront6targetE1EE19radix_bits_per_passE,"aG",@progbits,_ZN7rocprim17ROCPRIM_400000_NS16block_radix_sortIiLj256ELj8ElLj1ELj1ELj8ELNS0_26block_radix_rank_algorithmE2ELNS0_18block_padding_hintE2ELNS0_4arch9wavefront6targetE1EE19radix_bits_per_passE,comdat
	.weak	_ZN7rocprim17ROCPRIM_400000_NS16block_radix_sortIiLj256ELj8ElLj1ELj1ELj8ELNS0_26block_radix_rank_algorithmE2ELNS0_18block_padding_hintE2ELNS0_4arch9wavefront6targetE1EE19radix_bits_per_passE
	.p2align	2, 0x0
_ZN7rocprim17ROCPRIM_400000_NS16block_radix_sortIiLj256ELj8ElLj1ELj1ELj8ELNS0_26block_radix_rank_algorithmE2ELNS0_18block_padding_hintE2ELNS0_4arch9wavefront6targetE1EE19radix_bits_per_passE:
	.long	8                               ; 0x8
	.size	_ZN7rocprim17ROCPRIM_400000_NS16block_radix_sortIiLj256ELj8ElLj1ELj1ELj8ELNS0_26block_radix_rank_algorithmE2ELNS0_18block_padding_hintE2ELNS0_4arch9wavefront6targetE1EE19radix_bits_per_passE, 4

	.protected	_ZN7rocprim17ROCPRIM_400000_NS16block_radix_sortIlLj256ELj1ElLj1ELj1ELj8ELNS0_26block_radix_rank_algorithmE2ELNS0_18block_padding_hintE2ELNS0_4arch9wavefront6targetE1EE19radix_bits_per_passE ; @_ZN7rocprim17ROCPRIM_400000_NS16block_radix_sortIlLj256ELj1ElLj1ELj1ELj8ELNS0_26block_radix_rank_algorithmE2ELNS0_18block_padding_hintE2ELNS0_4arch9wavefront6targetE1EE19radix_bits_per_passE
	.type	_ZN7rocprim17ROCPRIM_400000_NS16block_radix_sortIlLj256ELj1ElLj1ELj1ELj8ELNS0_26block_radix_rank_algorithmE2ELNS0_18block_padding_hintE2ELNS0_4arch9wavefront6targetE1EE19radix_bits_per_passE,@object
	.section	.rodata._ZN7rocprim17ROCPRIM_400000_NS16block_radix_sortIlLj256ELj1ElLj1ELj1ELj8ELNS0_26block_radix_rank_algorithmE2ELNS0_18block_padding_hintE2ELNS0_4arch9wavefront6targetE1EE19radix_bits_per_passE,"aG",@progbits,_ZN7rocprim17ROCPRIM_400000_NS16block_radix_sortIlLj256ELj1ElLj1ELj1ELj8ELNS0_26block_radix_rank_algorithmE2ELNS0_18block_padding_hintE2ELNS0_4arch9wavefront6targetE1EE19radix_bits_per_passE,comdat
	.weak	_ZN7rocprim17ROCPRIM_400000_NS16block_radix_sortIlLj256ELj1ElLj1ELj1ELj8ELNS0_26block_radix_rank_algorithmE2ELNS0_18block_padding_hintE2ELNS0_4arch9wavefront6targetE1EE19radix_bits_per_passE
	.p2align	2, 0x0
_ZN7rocprim17ROCPRIM_400000_NS16block_radix_sortIlLj256ELj1ElLj1ELj1ELj8ELNS0_26block_radix_rank_algorithmE2ELNS0_18block_padding_hintE2ELNS0_4arch9wavefront6targetE1EE19radix_bits_per_passE:
	.long	8                               ; 0x8
	.size	_ZN7rocprim17ROCPRIM_400000_NS16block_radix_sortIlLj256ELj1ElLj1ELj1ELj8ELNS0_26block_radix_rank_algorithmE2ELNS0_18block_padding_hintE2ELNS0_4arch9wavefront6targetE1EE19radix_bits_per_passE, 4

	.protected	_ZN7rocprim17ROCPRIM_400000_NS16block_radix_sortIlLj256ELj2ElLj1ELj1ELj8ELNS0_26block_radix_rank_algorithmE2ELNS0_18block_padding_hintE2ELNS0_4arch9wavefront6targetE1EE19radix_bits_per_passE ; @_ZN7rocprim17ROCPRIM_400000_NS16block_radix_sortIlLj256ELj2ElLj1ELj1ELj8ELNS0_26block_radix_rank_algorithmE2ELNS0_18block_padding_hintE2ELNS0_4arch9wavefront6targetE1EE19radix_bits_per_passE
	.type	_ZN7rocprim17ROCPRIM_400000_NS16block_radix_sortIlLj256ELj2ElLj1ELj1ELj8ELNS0_26block_radix_rank_algorithmE2ELNS0_18block_padding_hintE2ELNS0_4arch9wavefront6targetE1EE19radix_bits_per_passE,@object
	.section	.rodata._ZN7rocprim17ROCPRIM_400000_NS16block_radix_sortIlLj256ELj2ElLj1ELj1ELj8ELNS0_26block_radix_rank_algorithmE2ELNS0_18block_padding_hintE2ELNS0_4arch9wavefront6targetE1EE19radix_bits_per_passE,"aG",@progbits,_ZN7rocprim17ROCPRIM_400000_NS16block_radix_sortIlLj256ELj2ElLj1ELj1ELj8ELNS0_26block_radix_rank_algorithmE2ELNS0_18block_padding_hintE2ELNS0_4arch9wavefront6targetE1EE19radix_bits_per_passE,comdat
	.weak	_ZN7rocprim17ROCPRIM_400000_NS16block_radix_sortIlLj256ELj2ElLj1ELj1ELj8ELNS0_26block_radix_rank_algorithmE2ELNS0_18block_padding_hintE2ELNS0_4arch9wavefront6targetE1EE19radix_bits_per_passE
	.p2align	2, 0x0
_ZN7rocprim17ROCPRIM_400000_NS16block_radix_sortIlLj256ELj2ElLj1ELj1ELj8ELNS0_26block_radix_rank_algorithmE2ELNS0_18block_padding_hintE2ELNS0_4arch9wavefront6targetE1EE19radix_bits_per_passE:
	.long	8                               ; 0x8
	.size	_ZN7rocprim17ROCPRIM_400000_NS16block_radix_sortIlLj256ELj2ElLj1ELj1ELj8ELNS0_26block_radix_rank_algorithmE2ELNS0_18block_padding_hintE2ELNS0_4arch9wavefront6targetE1EE19radix_bits_per_passE, 4

	.protected	_ZN7rocprim17ROCPRIM_400000_NS16block_radix_sortIlLj256ELj4ElLj1ELj1ELj8ELNS0_26block_radix_rank_algorithmE2ELNS0_18block_padding_hintE2ELNS0_4arch9wavefront6targetE1EE19radix_bits_per_passE ; @_ZN7rocprim17ROCPRIM_400000_NS16block_radix_sortIlLj256ELj4ElLj1ELj1ELj8ELNS0_26block_radix_rank_algorithmE2ELNS0_18block_padding_hintE2ELNS0_4arch9wavefront6targetE1EE19radix_bits_per_passE
	.type	_ZN7rocprim17ROCPRIM_400000_NS16block_radix_sortIlLj256ELj4ElLj1ELj1ELj8ELNS0_26block_radix_rank_algorithmE2ELNS0_18block_padding_hintE2ELNS0_4arch9wavefront6targetE1EE19radix_bits_per_passE,@object
	.section	.rodata._ZN7rocprim17ROCPRIM_400000_NS16block_radix_sortIlLj256ELj4ElLj1ELj1ELj8ELNS0_26block_radix_rank_algorithmE2ELNS0_18block_padding_hintE2ELNS0_4arch9wavefront6targetE1EE19radix_bits_per_passE,"aG",@progbits,_ZN7rocprim17ROCPRIM_400000_NS16block_radix_sortIlLj256ELj4ElLj1ELj1ELj8ELNS0_26block_radix_rank_algorithmE2ELNS0_18block_padding_hintE2ELNS0_4arch9wavefront6targetE1EE19radix_bits_per_passE,comdat
	.weak	_ZN7rocprim17ROCPRIM_400000_NS16block_radix_sortIlLj256ELj4ElLj1ELj1ELj8ELNS0_26block_radix_rank_algorithmE2ELNS0_18block_padding_hintE2ELNS0_4arch9wavefront6targetE1EE19radix_bits_per_passE
	.p2align	2, 0x0
_ZN7rocprim17ROCPRIM_400000_NS16block_radix_sortIlLj256ELj4ElLj1ELj1ELj8ELNS0_26block_radix_rank_algorithmE2ELNS0_18block_padding_hintE2ELNS0_4arch9wavefront6targetE1EE19radix_bits_per_passE:
	.long	8                               ; 0x8
	.size	_ZN7rocprim17ROCPRIM_400000_NS16block_radix_sortIlLj256ELj4ElLj1ELj1ELj8ELNS0_26block_radix_rank_algorithmE2ELNS0_18block_padding_hintE2ELNS0_4arch9wavefront6targetE1EE19radix_bits_per_passE, 4

	.protected	_ZN7rocprim17ROCPRIM_400000_NS16block_radix_sortIlLj256ELj8ElLj1ELj1ELj8ELNS0_26block_radix_rank_algorithmE2ELNS0_18block_padding_hintE2ELNS0_4arch9wavefront6targetE1EE19radix_bits_per_passE ; @_ZN7rocprim17ROCPRIM_400000_NS16block_radix_sortIlLj256ELj8ElLj1ELj1ELj8ELNS0_26block_radix_rank_algorithmE2ELNS0_18block_padding_hintE2ELNS0_4arch9wavefront6targetE1EE19radix_bits_per_passE
	.type	_ZN7rocprim17ROCPRIM_400000_NS16block_radix_sortIlLj256ELj8ElLj1ELj1ELj8ELNS0_26block_radix_rank_algorithmE2ELNS0_18block_padding_hintE2ELNS0_4arch9wavefront6targetE1EE19radix_bits_per_passE,@object
	.section	.rodata._ZN7rocprim17ROCPRIM_400000_NS16block_radix_sortIlLj256ELj8ElLj1ELj1ELj8ELNS0_26block_radix_rank_algorithmE2ELNS0_18block_padding_hintE2ELNS0_4arch9wavefront6targetE1EE19radix_bits_per_passE,"aG",@progbits,_ZN7rocprim17ROCPRIM_400000_NS16block_radix_sortIlLj256ELj8ElLj1ELj1ELj8ELNS0_26block_radix_rank_algorithmE2ELNS0_18block_padding_hintE2ELNS0_4arch9wavefront6targetE1EE19radix_bits_per_passE,comdat
	.weak	_ZN7rocprim17ROCPRIM_400000_NS16block_radix_sortIlLj256ELj8ElLj1ELj1ELj8ELNS0_26block_radix_rank_algorithmE2ELNS0_18block_padding_hintE2ELNS0_4arch9wavefront6targetE1EE19radix_bits_per_passE
	.p2align	2, 0x0
_ZN7rocprim17ROCPRIM_400000_NS16block_radix_sortIlLj256ELj8ElLj1ELj1ELj8ELNS0_26block_radix_rank_algorithmE2ELNS0_18block_padding_hintE2ELNS0_4arch9wavefront6targetE1EE19radix_bits_per_passE:
	.long	8                               ; 0x8
	.size	_ZN7rocprim17ROCPRIM_400000_NS16block_radix_sortIlLj256ELj8ElLj1ELj1ELj8ELNS0_26block_radix_rank_algorithmE2ELNS0_18block_padding_hintE2ELNS0_4arch9wavefront6targetE1EE19radix_bits_per_passE, 4

	.protected	_ZN7rocprim17ROCPRIM_400000_NS16block_radix_sortIlLj256ELj16ElLj1ELj1ELj8ELNS0_26block_radix_rank_algorithmE2ELNS0_18block_padding_hintE2ELNS0_4arch9wavefront6targetE1EE19radix_bits_per_passE ; @_ZN7rocprim17ROCPRIM_400000_NS16block_radix_sortIlLj256ELj16ElLj1ELj1ELj8ELNS0_26block_radix_rank_algorithmE2ELNS0_18block_padding_hintE2ELNS0_4arch9wavefront6targetE1EE19radix_bits_per_passE
	.type	_ZN7rocprim17ROCPRIM_400000_NS16block_radix_sortIlLj256ELj16ElLj1ELj1ELj8ELNS0_26block_radix_rank_algorithmE2ELNS0_18block_padding_hintE2ELNS0_4arch9wavefront6targetE1EE19radix_bits_per_passE,@object
	.section	.rodata._ZN7rocprim17ROCPRIM_400000_NS16block_radix_sortIlLj256ELj16ElLj1ELj1ELj8ELNS0_26block_radix_rank_algorithmE2ELNS0_18block_padding_hintE2ELNS0_4arch9wavefront6targetE1EE19radix_bits_per_passE,"aG",@progbits,_ZN7rocprim17ROCPRIM_400000_NS16block_radix_sortIlLj256ELj16ElLj1ELj1ELj8ELNS0_26block_radix_rank_algorithmE2ELNS0_18block_padding_hintE2ELNS0_4arch9wavefront6targetE1EE19radix_bits_per_passE,comdat
	.weak	_ZN7rocprim17ROCPRIM_400000_NS16block_radix_sortIlLj256ELj16ElLj1ELj1ELj8ELNS0_26block_radix_rank_algorithmE2ELNS0_18block_padding_hintE2ELNS0_4arch9wavefront6targetE1EE19radix_bits_per_passE
	.p2align	2, 0x0
_ZN7rocprim17ROCPRIM_400000_NS16block_radix_sortIlLj256ELj16ElLj1ELj1ELj8ELNS0_26block_radix_rank_algorithmE2ELNS0_18block_padding_hintE2ELNS0_4arch9wavefront6targetE1EE19radix_bits_per_passE:
	.long	8                               ; 0x8
	.size	_ZN7rocprim17ROCPRIM_400000_NS16block_radix_sortIlLj256ELj16ElLj1ELj1ELj8ELNS0_26block_radix_rank_algorithmE2ELNS0_18block_padding_hintE2ELNS0_4arch9wavefront6targetE1EE19radix_bits_per_passE, 4

	.protected	_ZN7rocprim17ROCPRIM_400000_NS16block_radix_sortIsLj256ELj1ElLj1ELj1ELj8ELNS0_26block_radix_rank_algorithmE2ELNS0_18block_padding_hintE2ELNS0_4arch9wavefront6targetE1EE19radix_bits_per_passE ; @_ZN7rocprim17ROCPRIM_400000_NS16block_radix_sortIsLj256ELj1ElLj1ELj1ELj8ELNS0_26block_radix_rank_algorithmE2ELNS0_18block_padding_hintE2ELNS0_4arch9wavefront6targetE1EE19radix_bits_per_passE
	.type	_ZN7rocprim17ROCPRIM_400000_NS16block_radix_sortIsLj256ELj1ElLj1ELj1ELj8ELNS0_26block_radix_rank_algorithmE2ELNS0_18block_padding_hintE2ELNS0_4arch9wavefront6targetE1EE19radix_bits_per_passE,@object
	.section	.rodata._ZN7rocprim17ROCPRIM_400000_NS16block_radix_sortIsLj256ELj1ElLj1ELj1ELj8ELNS0_26block_radix_rank_algorithmE2ELNS0_18block_padding_hintE2ELNS0_4arch9wavefront6targetE1EE19radix_bits_per_passE,"aG",@progbits,_ZN7rocprim17ROCPRIM_400000_NS16block_radix_sortIsLj256ELj1ElLj1ELj1ELj8ELNS0_26block_radix_rank_algorithmE2ELNS0_18block_padding_hintE2ELNS0_4arch9wavefront6targetE1EE19radix_bits_per_passE,comdat
	.weak	_ZN7rocprim17ROCPRIM_400000_NS16block_radix_sortIsLj256ELj1ElLj1ELj1ELj8ELNS0_26block_radix_rank_algorithmE2ELNS0_18block_padding_hintE2ELNS0_4arch9wavefront6targetE1EE19radix_bits_per_passE
	.p2align	2, 0x0
_ZN7rocprim17ROCPRIM_400000_NS16block_radix_sortIsLj256ELj1ElLj1ELj1ELj8ELNS0_26block_radix_rank_algorithmE2ELNS0_18block_padding_hintE2ELNS0_4arch9wavefront6targetE1EE19radix_bits_per_passE:
	.long	8                               ; 0x8
	.size	_ZN7rocprim17ROCPRIM_400000_NS16block_radix_sortIsLj256ELj1ElLj1ELj1ELj8ELNS0_26block_radix_rank_algorithmE2ELNS0_18block_padding_hintE2ELNS0_4arch9wavefront6targetE1EE19radix_bits_per_passE, 4

	.protected	_ZN7rocprim17ROCPRIM_400000_NS16block_radix_sortIsLj256ELj2ElLj1ELj1ELj8ELNS0_26block_radix_rank_algorithmE2ELNS0_18block_padding_hintE2ELNS0_4arch9wavefront6targetE1EE19radix_bits_per_passE ; @_ZN7rocprim17ROCPRIM_400000_NS16block_radix_sortIsLj256ELj2ElLj1ELj1ELj8ELNS0_26block_radix_rank_algorithmE2ELNS0_18block_padding_hintE2ELNS0_4arch9wavefront6targetE1EE19radix_bits_per_passE
	.type	_ZN7rocprim17ROCPRIM_400000_NS16block_radix_sortIsLj256ELj2ElLj1ELj1ELj8ELNS0_26block_radix_rank_algorithmE2ELNS0_18block_padding_hintE2ELNS0_4arch9wavefront6targetE1EE19radix_bits_per_passE,@object
	.section	.rodata._ZN7rocprim17ROCPRIM_400000_NS16block_radix_sortIsLj256ELj2ElLj1ELj1ELj8ELNS0_26block_radix_rank_algorithmE2ELNS0_18block_padding_hintE2ELNS0_4arch9wavefront6targetE1EE19radix_bits_per_passE,"aG",@progbits,_ZN7rocprim17ROCPRIM_400000_NS16block_radix_sortIsLj256ELj2ElLj1ELj1ELj8ELNS0_26block_radix_rank_algorithmE2ELNS0_18block_padding_hintE2ELNS0_4arch9wavefront6targetE1EE19radix_bits_per_passE,comdat
	.weak	_ZN7rocprim17ROCPRIM_400000_NS16block_radix_sortIsLj256ELj2ElLj1ELj1ELj8ELNS0_26block_radix_rank_algorithmE2ELNS0_18block_padding_hintE2ELNS0_4arch9wavefront6targetE1EE19radix_bits_per_passE
	.p2align	2, 0x0
_ZN7rocprim17ROCPRIM_400000_NS16block_radix_sortIsLj256ELj2ElLj1ELj1ELj8ELNS0_26block_radix_rank_algorithmE2ELNS0_18block_padding_hintE2ELNS0_4arch9wavefront6targetE1EE19radix_bits_per_passE:
	.long	8                               ; 0x8
	.size	_ZN7rocprim17ROCPRIM_400000_NS16block_radix_sortIsLj256ELj2ElLj1ELj1ELj8ELNS0_26block_radix_rank_algorithmE2ELNS0_18block_padding_hintE2ELNS0_4arch9wavefront6targetE1EE19radix_bits_per_passE, 4

	.protected	_ZN7rocprim17ROCPRIM_400000_NS16block_radix_sortIsLj256ELj4ElLj1ELj1ELj8ELNS0_26block_radix_rank_algorithmE2ELNS0_18block_padding_hintE2ELNS0_4arch9wavefront6targetE1EE19radix_bits_per_passE ; @_ZN7rocprim17ROCPRIM_400000_NS16block_radix_sortIsLj256ELj4ElLj1ELj1ELj8ELNS0_26block_radix_rank_algorithmE2ELNS0_18block_padding_hintE2ELNS0_4arch9wavefront6targetE1EE19radix_bits_per_passE
	.type	_ZN7rocprim17ROCPRIM_400000_NS16block_radix_sortIsLj256ELj4ElLj1ELj1ELj8ELNS0_26block_radix_rank_algorithmE2ELNS0_18block_padding_hintE2ELNS0_4arch9wavefront6targetE1EE19radix_bits_per_passE,@object
	.section	.rodata._ZN7rocprim17ROCPRIM_400000_NS16block_radix_sortIsLj256ELj4ElLj1ELj1ELj8ELNS0_26block_radix_rank_algorithmE2ELNS0_18block_padding_hintE2ELNS0_4arch9wavefront6targetE1EE19radix_bits_per_passE,"aG",@progbits,_ZN7rocprim17ROCPRIM_400000_NS16block_radix_sortIsLj256ELj4ElLj1ELj1ELj8ELNS0_26block_radix_rank_algorithmE2ELNS0_18block_padding_hintE2ELNS0_4arch9wavefront6targetE1EE19radix_bits_per_passE,comdat
	.weak	_ZN7rocprim17ROCPRIM_400000_NS16block_radix_sortIsLj256ELj4ElLj1ELj1ELj8ELNS0_26block_radix_rank_algorithmE2ELNS0_18block_padding_hintE2ELNS0_4arch9wavefront6targetE1EE19radix_bits_per_passE
	.p2align	2, 0x0
_ZN7rocprim17ROCPRIM_400000_NS16block_radix_sortIsLj256ELj4ElLj1ELj1ELj8ELNS0_26block_radix_rank_algorithmE2ELNS0_18block_padding_hintE2ELNS0_4arch9wavefront6targetE1EE19radix_bits_per_passE:
	.long	8                               ; 0x8
	.size	_ZN7rocprim17ROCPRIM_400000_NS16block_radix_sortIsLj256ELj4ElLj1ELj1ELj8ELNS0_26block_radix_rank_algorithmE2ELNS0_18block_padding_hintE2ELNS0_4arch9wavefront6targetE1EE19radix_bits_per_passE, 4

	.protected	_ZN7rocprim17ROCPRIM_400000_NS16block_radix_sortIdLj256ELj1ElLj1ELj1ELj8ELNS0_26block_radix_rank_algorithmE2ELNS0_18block_padding_hintE2ELNS0_4arch9wavefront6targetE1EE19radix_bits_per_passE ; @_ZN7rocprim17ROCPRIM_400000_NS16block_radix_sortIdLj256ELj1ElLj1ELj1ELj8ELNS0_26block_radix_rank_algorithmE2ELNS0_18block_padding_hintE2ELNS0_4arch9wavefront6targetE1EE19radix_bits_per_passE
	.type	_ZN7rocprim17ROCPRIM_400000_NS16block_radix_sortIdLj256ELj1ElLj1ELj1ELj8ELNS0_26block_radix_rank_algorithmE2ELNS0_18block_padding_hintE2ELNS0_4arch9wavefront6targetE1EE19radix_bits_per_passE,@object
	.section	.rodata._ZN7rocprim17ROCPRIM_400000_NS16block_radix_sortIdLj256ELj1ElLj1ELj1ELj8ELNS0_26block_radix_rank_algorithmE2ELNS0_18block_padding_hintE2ELNS0_4arch9wavefront6targetE1EE19radix_bits_per_passE,"aG",@progbits,_ZN7rocprim17ROCPRIM_400000_NS16block_radix_sortIdLj256ELj1ElLj1ELj1ELj8ELNS0_26block_radix_rank_algorithmE2ELNS0_18block_padding_hintE2ELNS0_4arch9wavefront6targetE1EE19radix_bits_per_passE,comdat
	.weak	_ZN7rocprim17ROCPRIM_400000_NS16block_radix_sortIdLj256ELj1ElLj1ELj1ELj8ELNS0_26block_radix_rank_algorithmE2ELNS0_18block_padding_hintE2ELNS0_4arch9wavefront6targetE1EE19radix_bits_per_passE
	.p2align	2, 0x0
_ZN7rocprim17ROCPRIM_400000_NS16block_radix_sortIdLj256ELj1ElLj1ELj1ELj8ELNS0_26block_radix_rank_algorithmE2ELNS0_18block_padding_hintE2ELNS0_4arch9wavefront6targetE1EE19radix_bits_per_passE:
	.long	8                               ; 0x8
	.size	_ZN7rocprim17ROCPRIM_400000_NS16block_radix_sortIdLj256ELj1ElLj1ELj1ELj8ELNS0_26block_radix_rank_algorithmE2ELNS0_18block_padding_hintE2ELNS0_4arch9wavefront6targetE1EE19radix_bits_per_passE, 4

	.protected	_ZN7rocprim17ROCPRIM_400000_NS16block_radix_sortIdLj256ELj2ElLj1ELj1ELj8ELNS0_26block_radix_rank_algorithmE2ELNS0_18block_padding_hintE2ELNS0_4arch9wavefront6targetE1EE19radix_bits_per_passE ; @_ZN7rocprim17ROCPRIM_400000_NS16block_radix_sortIdLj256ELj2ElLj1ELj1ELj8ELNS0_26block_radix_rank_algorithmE2ELNS0_18block_padding_hintE2ELNS0_4arch9wavefront6targetE1EE19radix_bits_per_passE
	.type	_ZN7rocprim17ROCPRIM_400000_NS16block_radix_sortIdLj256ELj2ElLj1ELj1ELj8ELNS0_26block_radix_rank_algorithmE2ELNS0_18block_padding_hintE2ELNS0_4arch9wavefront6targetE1EE19radix_bits_per_passE,@object
	.section	.rodata._ZN7rocprim17ROCPRIM_400000_NS16block_radix_sortIdLj256ELj2ElLj1ELj1ELj8ELNS0_26block_radix_rank_algorithmE2ELNS0_18block_padding_hintE2ELNS0_4arch9wavefront6targetE1EE19radix_bits_per_passE,"aG",@progbits,_ZN7rocprim17ROCPRIM_400000_NS16block_radix_sortIdLj256ELj2ElLj1ELj1ELj8ELNS0_26block_radix_rank_algorithmE2ELNS0_18block_padding_hintE2ELNS0_4arch9wavefront6targetE1EE19radix_bits_per_passE,comdat
	.weak	_ZN7rocprim17ROCPRIM_400000_NS16block_radix_sortIdLj256ELj2ElLj1ELj1ELj8ELNS0_26block_radix_rank_algorithmE2ELNS0_18block_padding_hintE2ELNS0_4arch9wavefront6targetE1EE19radix_bits_per_passE
	.p2align	2, 0x0
_ZN7rocprim17ROCPRIM_400000_NS16block_radix_sortIdLj256ELj2ElLj1ELj1ELj8ELNS0_26block_radix_rank_algorithmE2ELNS0_18block_padding_hintE2ELNS0_4arch9wavefront6targetE1EE19radix_bits_per_passE:
	.long	8                               ; 0x8
	.size	_ZN7rocprim17ROCPRIM_400000_NS16block_radix_sortIdLj256ELj2ElLj1ELj1ELj8ELNS0_26block_radix_rank_algorithmE2ELNS0_18block_padding_hintE2ELNS0_4arch9wavefront6targetE1EE19radix_bits_per_passE, 4

	.protected	_ZN7rocprim17ROCPRIM_400000_NS16block_radix_sortIdLj256ELj4ElLj1ELj1ELj8ELNS0_26block_radix_rank_algorithmE2ELNS0_18block_padding_hintE2ELNS0_4arch9wavefront6targetE1EE19radix_bits_per_passE ; @_ZN7rocprim17ROCPRIM_400000_NS16block_radix_sortIdLj256ELj4ElLj1ELj1ELj8ELNS0_26block_radix_rank_algorithmE2ELNS0_18block_padding_hintE2ELNS0_4arch9wavefront6targetE1EE19radix_bits_per_passE
	.type	_ZN7rocprim17ROCPRIM_400000_NS16block_radix_sortIdLj256ELj4ElLj1ELj1ELj8ELNS0_26block_radix_rank_algorithmE2ELNS0_18block_padding_hintE2ELNS0_4arch9wavefront6targetE1EE19radix_bits_per_passE,@object
	.section	.rodata._ZN7rocprim17ROCPRIM_400000_NS16block_radix_sortIdLj256ELj4ElLj1ELj1ELj8ELNS0_26block_radix_rank_algorithmE2ELNS0_18block_padding_hintE2ELNS0_4arch9wavefront6targetE1EE19radix_bits_per_passE,"aG",@progbits,_ZN7rocprim17ROCPRIM_400000_NS16block_radix_sortIdLj256ELj4ElLj1ELj1ELj8ELNS0_26block_radix_rank_algorithmE2ELNS0_18block_padding_hintE2ELNS0_4arch9wavefront6targetE1EE19radix_bits_per_passE,comdat
	.weak	_ZN7rocprim17ROCPRIM_400000_NS16block_radix_sortIdLj256ELj4ElLj1ELj1ELj8ELNS0_26block_radix_rank_algorithmE2ELNS0_18block_padding_hintE2ELNS0_4arch9wavefront6targetE1EE19radix_bits_per_passE
	.p2align	2, 0x0
_ZN7rocprim17ROCPRIM_400000_NS16block_radix_sortIdLj256ELj4ElLj1ELj1ELj8ELNS0_26block_radix_rank_algorithmE2ELNS0_18block_padding_hintE2ELNS0_4arch9wavefront6targetE1EE19radix_bits_per_passE:
	.long	8                               ; 0x8
	.size	_ZN7rocprim17ROCPRIM_400000_NS16block_radix_sortIdLj256ELj4ElLj1ELj1ELj8ELNS0_26block_radix_rank_algorithmE2ELNS0_18block_padding_hintE2ELNS0_4arch9wavefront6targetE1EE19radix_bits_per_passE, 4

	.protected	_ZN7rocprim17ROCPRIM_400000_NS16block_radix_sortIdLj256ELj8ElLj1ELj1ELj8ELNS0_26block_radix_rank_algorithmE2ELNS0_18block_padding_hintE2ELNS0_4arch9wavefront6targetE1EE19radix_bits_per_passE ; @_ZN7rocprim17ROCPRIM_400000_NS16block_radix_sortIdLj256ELj8ElLj1ELj1ELj8ELNS0_26block_radix_rank_algorithmE2ELNS0_18block_padding_hintE2ELNS0_4arch9wavefront6targetE1EE19radix_bits_per_passE
	.type	_ZN7rocprim17ROCPRIM_400000_NS16block_radix_sortIdLj256ELj8ElLj1ELj1ELj8ELNS0_26block_radix_rank_algorithmE2ELNS0_18block_padding_hintE2ELNS0_4arch9wavefront6targetE1EE19radix_bits_per_passE,@object
	.section	.rodata._ZN7rocprim17ROCPRIM_400000_NS16block_radix_sortIdLj256ELj8ElLj1ELj1ELj8ELNS0_26block_radix_rank_algorithmE2ELNS0_18block_padding_hintE2ELNS0_4arch9wavefront6targetE1EE19radix_bits_per_passE,"aG",@progbits,_ZN7rocprim17ROCPRIM_400000_NS16block_radix_sortIdLj256ELj8ElLj1ELj1ELj8ELNS0_26block_radix_rank_algorithmE2ELNS0_18block_padding_hintE2ELNS0_4arch9wavefront6targetE1EE19radix_bits_per_passE,comdat
	.weak	_ZN7rocprim17ROCPRIM_400000_NS16block_radix_sortIdLj256ELj8ElLj1ELj1ELj8ELNS0_26block_radix_rank_algorithmE2ELNS0_18block_padding_hintE2ELNS0_4arch9wavefront6targetE1EE19radix_bits_per_passE
	.p2align	2, 0x0
_ZN7rocprim17ROCPRIM_400000_NS16block_radix_sortIdLj256ELj8ElLj1ELj1ELj8ELNS0_26block_radix_rank_algorithmE2ELNS0_18block_padding_hintE2ELNS0_4arch9wavefront6targetE1EE19radix_bits_per_passE:
	.long	8                               ; 0x8
	.size	_ZN7rocprim17ROCPRIM_400000_NS16block_radix_sortIdLj256ELj8ElLj1ELj1ELj8ELNS0_26block_radix_rank_algorithmE2ELNS0_18block_padding_hintE2ELNS0_4arch9wavefront6targetE1EE19radix_bits_per_passE, 4

	.protected	_ZN7rocprim17ROCPRIM_400000_NS16block_radix_sortIdLj256ELj16ElLj1ELj1ELj8ELNS0_26block_radix_rank_algorithmE2ELNS0_18block_padding_hintE2ELNS0_4arch9wavefront6targetE1EE19radix_bits_per_passE ; @_ZN7rocprim17ROCPRIM_400000_NS16block_radix_sortIdLj256ELj16ElLj1ELj1ELj8ELNS0_26block_radix_rank_algorithmE2ELNS0_18block_padding_hintE2ELNS0_4arch9wavefront6targetE1EE19radix_bits_per_passE
	.type	_ZN7rocprim17ROCPRIM_400000_NS16block_radix_sortIdLj256ELj16ElLj1ELj1ELj8ELNS0_26block_radix_rank_algorithmE2ELNS0_18block_padding_hintE2ELNS0_4arch9wavefront6targetE1EE19radix_bits_per_passE,@object
	.section	.rodata._ZN7rocprim17ROCPRIM_400000_NS16block_radix_sortIdLj256ELj16ElLj1ELj1ELj8ELNS0_26block_radix_rank_algorithmE2ELNS0_18block_padding_hintE2ELNS0_4arch9wavefront6targetE1EE19radix_bits_per_passE,"aG",@progbits,_ZN7rocprim17ROCPRIM_400000_NS16block_radix_sortIdLj256ELj16ElLj1ELj1ELj8ELNS0_26block_radix_rank_algorithmE2ELNS0_18block_padding_hintE2ELNS0_4arch9wavefront6targetE1EE19radix_bits_per_passE,comdat
	.weak	_ZN7rocprim17ROCPRIM_400000_NS16block_radix_sortIdLj256ELj16ElLj1ELj1ELj8ELNS0_26block_radix_rank_algorithmE2ELNS0_18block_padding_hintE2ELNS0_4arch9wavefront6targetE1EE19radix_bits_per_passE
	.p2align	2, 0x0
_ZN7rocprim17ROCPRIM_400000_NS16block_radix_sortIdLj256ELj16ElLj1ELj1ELj8ELNS0_26block_radix_rank_algorithmE2ELNS0_18block_padding_hintE2ELNS0_4arch9wavefront6targetE1EE19radix_bits_per_passE:
	.long	8                               ; 0x8
	.size	_ZN7rocprim17ROCPRIM_400000_NS16block_radix_sortIdLj256ELj16ElLj1ELj1ELj8ELNS0_26block_radix_rank_algorithmE2ELNS0_18block_padding_hintE2ELNS0_4arch9wavefront6targetE1EE19radix_bits_per_passE, 4

	.protected	_ZN7rocprim17ROCPRIM_400000_NS16block_radix_sortIfLj256ELj1ElLj1ELj1ELj8ELNS0_26block_radix_rank_algorithmE2ELNS0_18block_padding_hintE2ELNS0_4arch9wavefront6targetE1EE19radix_bits_per_passE ; @_ZN7rocprim17ROCPRIM_400000_NS16block_radix_sortIfLj256ELj1ElLj1ELj1ELj8ELNS0_26block_radix_rank_algorithmE2ELNS0_18block_padding_hintE2ELNS0_4arch9wavefront6targetE1EE19radix_bits_per_passE
	.type	_ZN7rocprim17ROCPRIM_400000_NS16block_radix_sortIfLj256ELj1ElLj1ELj1ELj8ELNS0_26block_radix_rank_algorithmE2ELNS0_18block_padding_hintE2ELNS0_4arch9wavefront6targetE1EE19radix_bits_per_passE,@object
	.section	.rodata._ZN7rocprim17ROCPRIM_400000_NS16block_radix_sortIfLj256ELj1ElLj1ELj1ELj8ELNS0_26block_radix_rank_algorithmE2ELNS0_18block_padding_hintE2ELNS0_4arch9wavefront6targetE1EE19radix_bits_per_passE,"aG",@progbits,_ZN7rocprim17ROCPRIM_400000_NS16block_radix_sortIfLj256ELj1ElLj1ELj1ELj8ELNS0_26block_radix_rank_algorithmE2ELNS0_18block_padding_hintE2ELNS0_4arch9wavefront6targetE1EE19radix_bits_per_passE,comdat
	.weak	_ZN7rocprim17ROCPRIM_400000_NS16block_radix_sortIfLj256ELj1ElLj1ELj1ELj8ELNS0_26block_radix_rank_algorithmE2ELNS0_18block_padding_hintE2ELNS0_4arch9wavefront6targetE1EE19radix_bits_per_passE
	.p2align	2, 0x0
_ZN7rocprim17ROCPRIM_400000_NS16block_radix_sortIfLj256ELj1ElLj1ELj1ELj8ELNS0_26block_radix_rank_algorithmE2ELNS0_18block_padding_hintE2ELNS0_4arch9wavefront6targetE1EE19radix_bits_per_passE:
	.long	8                               ; 0x8
	.size	_ZN7rocprim17ROCPRIM_400000_NS16block_radix_sortIfLj256ELj1ElLj1ELj1ELj8ELNS0_26block_radix_rank_algorithmE2ELNS0_18block_padding_hintE2ELNS0_4arch9wavefront6targetE1EE19radix_bits_per_passE, 4

	.protected	_ZN7rocprim17ROCPRIM_400000_NS16block_radix_sortIfLj256ELj2ElLj1ELj1ELj8ELNS0_26block_radix_rank_algorithmE2ELNS0_18block_padding_hintE2ELNS0_4arch9wavefront6targetE1EE19radix_bits_per_passE ; @_ZN7rocprim17ROCPRIM_400000_NS16block_radix_sortIfLj256ELj2ElLj1ELj1ELj8ELNS0_26block_radix_rank_algorithmE2ELNS0_18block_padding_hintE2ELNS0_4arch9wavefront6targetE1EE19radix_bits_per_passE
	.type	_ZN7rocprim17ROCPRIM_400000_NS16block_radix_sortIfLj256ELj2ElLj1ELj1ELj8ELNS0_26block_radix_rank_algorithmE2ELNS0_18block_padding_hintE2ELNS0_4arch9wavefront6targetE1EE19radix_bits_per_passE,@object
	.section	.rodata._ZN7rocprim17ROCPRIM_400000_NS16block_radix_sortIfLj256ELj2ElLj1ELj1ELj8ELNS0_26block_radix_rank_algorithmE2ELNS0_18block_padding_hintE2ELNS0_4arch9wavefront6targetE1EE19radix_bits_per_passE,"aG",@progbits,_ZN7rocprim17ROCPRIM_400000_NS16block_radix_sortIfLj256ELj2ElLj1ELj1ELj8ELNS0_26block_radix_rank_algorithmE2ELNS0_18block_padding_hintE2ELNS0_4arch9wavefront6targetE1EE19radix_bits_per_passE,comdat
	.weak	_ZN7rocprim17ROCPRIM_400000_NS16block_radix_sortIfLj256ELj2ElLj1ELj1ELj8ELNS0_26block_radix_rank_algorithmE2ELNS0_18block_padding_hintE2ELNS0_4arch9wavefront6targetE1EE19radix_bits_per_passE
	.p2align	2, 0x0
_ZN7rocprim17ROCPRIM_400000_NS16block_radix_sortIfLj256ELj2ElLj1ELj1ELj8ELNS0_26block_radix_rank_algorithmE2ELNS0_18block_padding_hintE2ELNS0_4arch9wavefront6targetE1EE19radix_bits_per_passE:
	.long	8                               ; 0x8
	.size	_ZN7rocprim17ROCPRIM_400000_NS16block_radix_sortIfLj256ELj2ElLj1ELj1ELj8ELNS0_26block_radix_rank_algorithmE2ELNS0_18block_padding_hintE2ELNS0_4arch9wavefront6targetE1EE19radix_bits_per_passE, 4

	.protected	_ZN7rocprim17ROCPRIM_400000_NS16block_radix_sortIfLj256ELj4ElLj1ELj1ELj8ELNS0_26block_radix_rank_algorithmE2ELNS0_18block_padding_hintE2ELNS0_4arch9wavefront6targetE1EE19radix_bits_per_passE ; @_ZN7rocprim17ROCPRIM_400000_NS16block_radix_sortIfLj256ELj4ElLj1ELj1ELj8ELNS0_26block_radix_rank_algorithmE2ELNS0_18block_padding_hintE2ELNS0_4arch9wavefront6targetE1EE19radix_bits_per_passE
	.type	_ZN7rocprim17ROCPRIM_400000_NS16block_radix_sortIfLj256ELj4ElLj1ELj1ELj8ELNS0_26block_radix_rank_algorithmE2ELNS0_18block_padding_hintE2ELNS0_4arch9wavefront6targetE1EE19radix_bits_per_passE,@object
	.section	.rodata._ZN7rocprim17ROCPRIM_400000_NS16block_radix_sortIfLj256ELj4ElLj1ELj1ELj8ELNS0_26block_radix_rank_algorithmE2ELNS0_18block_padding_hintE2ELNS0_4arch9wavefront6targetE1EE19radix_bits_per_passE,"aG",@progbits,_ZN7rocprim17ROCPRIM_400000_NS16block_radix_sortIfLj256ELj4ElLj1ELj1ELj8ELNS0_26block_radix_rank_algorithmE2ELNS0_18block_padding_hintE2ELNS0_4arch9wavefront6targetE1EE19radix_bits_per_passE,comdat
	.weak	_ZN7rocprim17ROCPRIM_400000_NS16block_radix_sortIfLj256ELj4ElLj1ELj1ELj8ELNS0_26block_radix_rank_algorithmE2ELNS0_18block_padding_hintE2ELNS0_4arch9wavefront6targetE1EE19radix_bits_per_passE
	.p2align	2, 0x0
_ZN7rocprim17ROCPRIM_400000_NS16block_radix_sortIfLj256ELj4ElLj1ELj1ELj8ELNS0_26block_radix_rank_algorithmE2ELNS0_18block_padding_hintE2ELNS0_4arch9wavefront6targetE1EE19radix_bits_per_passE:
	.long	8                               ; 0x8
	.size	_ZN7rocprim17ROCPRIM_400000_NS16block_radix_sortIfLj256ELj4ElLj1ELj1ELj8ELNS0_26block_radix_rank_algorithmE2ELNS0_18block_padding_hintE2ELNS0_4arch9wavefront6targetE1EE19radix_bits_per_passE, 4

	.protected	_ZN7rocprim17ROCPRIM_400000_NS16block_radix_sortIfLj256ELj8ElLj1ELj1ELj8ELNS0_26block_radix_rank_algorithmE2ELNS0_18block_padding_hintE2ELNS0_4arch9wavefront6targetE1EE19radix_bits_per_passE ; @_ZN7rocprim17ROCPRIM_400000_NS16block_radix_sortIfLj256ELj8ElLj1ELj1ELj8ELNS0_26block_radix_rank_algorithmE2ELNS0_18block_padding_hintE2ELNS0_4arch9wavefront6targetE1EE19radix_bits_per_passE
	.type	_ZN7rocprim17ROCPRIM_400000_NS16block_radix_sortIfLj256ELj8ElLj1ELj1ELj8ELNS0_26block_radix_rank_algorithmE2ELNS0_18block_padding_hintE2ELNS0_4arch9wavefront6targetE1EE19radix_bits_per_passE,@object
	.section	.rodata._ZN7rocprim17ROCPRIM_400000_NS16block_radix_sortIfLj256ELj8ElLj1ELj1ELj8ELNS0_26block_radix_rank_algorithmE2ELNS0_18block_padding_hintE2ELNS0_4arch9wavefront6targetE1EE19radix_bits_per_passE,"aG",@progbits,_ZN7rocprim17ROCPRIM_400000_NS16block_radix_sortIfLj256ELj8ElLj1ELj1ELj8ELNS0_26block_radix_rank_algorithmE2ELNS0_18block_padding_hintE2ELNS0_4arch9wavefront6targetE1EE19radix_bits_per_passE,comdat
	.weak	_ZN7rocprim17ROCPRIM_400000_NS16block_radix_sortIfLj256ELj8ElLj1ELj1ELj8ELNS0_26block_radix_rank_algorithmE2ELNS0_18block_padding_hintE2ELNS0_4arch9wavefront6targetE1EE19radix_bits_per_passE
	.p2align	2, 0x0
_ZN7rocprim17ROCPRIM_400000_NS16block_radix_sortIfLj256ELj8ElLj1ELj1ELj8ELNS0_26block_radix_rank_algorithmE2ELNS0_18block_padding_hintE2ELNS0_4arch9wavefront6targetE1EE19radix_bits_per_passE:
	.long	8                               ; 0x8
	.size	_ZN7rocprim17ROCPRIM_400000_NS16block_radix_sortIfLj256ELj8ElLj1ELj1ELj8ELNS0_26block_radix_rank_algorithmE2ELNS0_18block_padding_hintE2ELNS0_4arch9wavefront6targetE1EE19radix_bits_per_passE, 4

	.protected	_ZN7rocprim17ROCPRIM_400000_NS16block_radix_sortIbLj256ELj1ElLj1ELj1ELj8ELNS0_26block_radix_rank_algorithmE2ELNS0_18block_padding_hintE2ELNS0_4arch9wavefront6targetE1EE19radix_bits_per_passE ; @_ZN7rocprim17ROCPRIM_400000_NS16block_radix_sortIbLj256ELj1ElLj1ELj1ELj8ELNS0_26block_radix_rank_algorithmE2ELNS0_18block_padding_hintE2ELNS0_4arch9wavefront6targetE1EE19radix_bits_per_passE
	.type	_ZN7rocprim17ROCPRIM_400000_NS16block_radix_sortIbLj256ELj1ElLj1ELj1ELj8ELNS0_26block_radix_rank_algorithmE2ELNS0_18block_padding_hintE2ELNS0_4arch9wavefront6targetE1EE19radix_bits_per_passE,@object
	.section	.rodata._ZN7rocprim17ROCPRIM_400000_NS16block_radix_sortIbLj256ELj1ElLj1ELj1ELj8ELNS0_26block_radix_rank_algorithmE2ELNS0_18block_padding_hintE2ELNS0_4arch9wavefront6targetE1EE19radix_bits_per_passE,"aG",@progbits,_ZN7rocprim17ROCPRIM_400000_NS16block_radix_sortIbLj256ELj1ElLj1ELj1ELj8ELNS0_26block_radix_rank_algorithmE2ELNS0_18block_padding_hintE2ELNS0_4arch9wavefront6targetE1EE19radix_bits_per_passE,comdat
	.weak	_ZN7rocprim17ROCPRIM_400000_NS16block_radix_sortIbLj256ELj1ElLj1ELj1ELj8ELNS0_26block_radix_rank_algorithmE2ELNS0_18block_padding_hintE2ELNS0_4arch9wavefront6targetE1EE19radix_bits_per_passE
	.p2align	2, 0x0
_ZN7rocprim17ROCPRIM_400000_NS16block_radix_sortIbLj256ELj1ElLj1ELj1ELj8ELNS0_26block_radix_rank_algorithmE2ELNS0_18block_padding_hintE2ELNS0_4arch9wavefront6targetE1EE19radix_bits_per_passE:
	.long	8                               ; 0x8
	.size	_ZN7rocprim17ROCPRIM_400000_NS16block_radix_sortIbLj256ELj1ElLj1ELj1ELj8ELNS0_26block_radix_rank_algorithmE2ELNS0_18block_padding_hintE2ELNS0_4arch9wavefront6targetE1EE19radix_bits_per_passE, 4

	.protected	_ZN7rocprim17ROCPRIM_400000_NS16block_radix_sortIbLj256ELj2ElLj1ELj1ELj8ELNS0_26block_radix_rank_algorithmE2ELNS0_18block_padding_hintE2ELNS0_4arch9wavefront6targetE1EE19radix_bits_per_passE ; @_ZN7rocprim17ROCPRIM_400000_NS16block_radix_sortIbLj256ELj2ElLj1ELj1ELj8ELNS0_26block_radix_rank_algorithmE2ELNS0_18block_padding_hintE2ELNS0_4arch9wavefront6targetE1EE19radix_bits_per_passE
	.type	_ZN7rocprim17ROCPRIM_400000_NS16block_radix_sortIbLj256ELj2ElLj1ELj1ELj8ELNS0_26block_radix_rank_algorithmE2ELNS0_18block_padding_hintE2ELNS0_4arch9wavefront6targetE1EE19radix_bits_per_passE,@object
	.section	.rodata._ZN7rocprim17ROCPRIM_400000_NS16block_radix_sortIbLj256ELj2ElLj1ELj1ELj8ELNS0_26block_radix_rank_algorithmE2ELNS0_18block_padding_hintE2ELNS0_4arch9wavefront6targetE1EE19radix_bits_per_passE,"aG",@progbits,_ZN7rocprim17ROCPRIM_400000_NS16block_radix_sortIbLj256ELj2ElLj1ELj1ELj8ELNS0_26block_radix_rank_algorithmE2ELNS0_18block_padding_hintE2ELNS0_4arch9wavefront6targetE1EE19radix_bits_per_passE,comdat
	.weak	_ZN7rocprim17ROCPRIM_400000_NS16block_radix_sortIbLj256ELj2ElLj1ELj1ELj8ELNS0_26block_radix_rank_algorithmE2ELNS0_18block_padding_hintE2ELNS0_4arch9wavefront6targetE1EE19radix_bits_per_passE
	.p2align	2, 0x0
_ZN7rocprim17ROCPRIM_400000_NS16block_radix_sortIbLj256ELj2ElLj1ELj1ELj8ELNS0_26block_radix_rank_algorithmE2ELNS0_18block_padding_hintE2ELNS0_4arch9wavefront6targetE1EE19radix_bits_per_passE:
	.long	8                               ; 0x8
	.size	_ZN7rocprim17ROCPRIM_400000_NS16block_radix_sortIbLj256ELj2ElLj1ELj1ELj8ELNS0_26block_radix_rank_algorithmE2ELNS0_18block_padding_hintE2ELNS0_4arch9wavefront6targetE1EE19radix_bits_per_passE, 4

	.protected	_ZN7rocprim17ROCPRIM_400000_NS16block_radix_sortIbLj256ELj4ElLj1ELj1ELj8ELNS0_26block_radix_rank_algorithmE2ELNS0_18block_padding_hintE2ELNS0_4arch9wavefront6targetE1EE19radix_bits_per_passE ; @_ZN7rocprim17ROCPRIM_400000_NS16block_radix_sortIbLj256ELj4ElLj1ELj1ELj8ELNS0_26block_radix_rank_algorithmE2ELNS0_18block_padding_hintE2ELNS0_4arch9wavefront6targetE1EE19radix_bits_per_passE
	.type	_ZN7rocprim17ROCPRIM_400000_NS16block_radix_sortIbLj256ELj4ElLj1ELj1ELj8ELNS0_26block_radix_rank_algorithmE2ELNS0_18block_padding_hintE2ELNS0_4arch9wavefront6targetE1EE19radix_bits_per_passE,@object
	.section	.rodata._ZN7rocprim17ROCPRIM_400000_NS16block_radix_sortIbLj256ELj4ElLj1ELj1ELj8ELNS0_26block_radix_rank_algorithmE2ELNS0_18block_padding_hintE2ELNS0_4arch9wavefront6targetE1EE19radix_bits_per_passE,"aG",@progbits,_ZN7rocprim17ROCPRIM_400000_NS16block_radix_sortIbLj256ELj4ElLj1ELj1ELj8ELNS0_26block_radix_rank_algorithmE2ELNS0_18block_padding_hintE2ELNS0_4arch9wavefront6targetE1EE19radix_bits_per_passE,comdat
	.weak	_ZN7rocprim17ROCPRIM_400000_NS16block_radix_sortIbLj256ELj4ElLj1ELj1ELj8ELNS0_26block_radix_rank_algorithmE2ELNS0_18block_padding_hintE2ELNS0_4arch9wavefront6targetE1EE19radix_bits_per_passE
	.p2align	2, 0x0
_ZN7rocprim17ROCPRIM_400000_NS16block_radix_sortIbLj256ELj4ElLj1ELj1ELj8ELNS0_26block_radix_rank_algorithmE2ELNS0_18block_padding_hintE2ELNS0_4arch9wavefront6targetE1EE19radix_bits_per_passE:
	.long	8                               ; 0x8
	.size	_ZN7rocprim17ROCPRIM_400000_NS16block_radix_sortIbLj256ELj4ElLj1ELj1ELj8ELNS0_26block_radix_rank_algorithmE2ELNS0_18block_padding_hintE2ELNS0_4arch9wavefront6targetE1EE19radix_bits_per_passE, 4

	.protected	_ZN7rocprim17ROCPRIM_400000_NS16block_radix_sortI6__halfLj256ELj1ElLj1ELj1ELj8ELNS0_26block_radix_rank_algorithmE2ELNS0_18block_padding_hintE2ELNS0_4arch9wavefront6targetE1EE19radix_bits_per_passE ; @_ZN7rocprim17ROCPRIM_400000_NS16block_radix_sortI6__halfLj256ELj1ElLj1ELj1ELj8ELNS0_26block_radix_rank_algorithmE2ELNS0_18block_padding_hintE2ELNS0_4arch9wavefront6targetE1EE19radix_bits_per_passE
	.type	_ZN7rocprim17ROCPRIM_400000_NS16block_radix_sortI6__halfLj256ELj1ElLj1ELj1ELj8ELNS0_26block_radix_rank_algorithmE2ELNS0_18block_padding_hintE2ELNS0_4arch9wavefront6targetE1EE19radix_bits_per_passE,@object
	.section	.rodata._ZN7rocprim17ROCPRIM_400000_NS16block_radix_sortI6__halfLj256ELj1ElLj1ELj1ELj8ELNS0_26block_radix_rank_algorithmE2ELNS0_18block_padding_hintE2ELNS0_4arch9wavefront6targetE1EE19radix_bits_per_passE,"aG",@progbits,_ZN7rocprim17ROCPRIM_400000_NS16block_radix_sortI6__halfLj256ELj1ElLj1ELj1ELj8ELNS0_26block_radix_rank_algorithmE2ELNS0_18block_padding_hintE2ELNS0_4arch9wavefront6targetE1EE19radix_bits_per_passE,comdat
	.weak	_ZN7rocprim17ROCPRIM_400000_NS16block_radix_sortI6__halfLj256ELj1ElLj1ELj1ELj8ELNS0_26block_radix_rank_algorithmE2ELNS0_18block_padding_hintE2ELNS0_4arch9wavefront6targetE1EE19radix_bits_per_passE
	.p2align	2, 0x0
_ZN7rocprim17ROCPRIM_400000_NS16block_radix_sortI6__halfLj256ELj1ElLj1ELj1ELj8ELNS0_26block_radix_rank_algorithmE2ELNS0_18block_padding_hintE2ELNS0_4arch9wavefront6targetE1EE19radix_bits_per_passE:
	.long	8                               ; 0x8
	.size	_ZN7rocprim17ROCPRIM_400000_NS16block_radix_sortI6__halfLj256ELj1ElLj1ELj1ELj8ELNS0_26block_radix_rank_algorithmE2ELNS0_18block_padding_hintE2ELNS0_4arch9wavefront6targetE1EE19radix_bits_per_passE, 4

	.protected	_ZN7rocprim17ROCPRIM_400000_NS16block_radix_sortI6__halfLj256ELj2ElLj1ELj1ELj8ELNS0_26block_radix_rank_algorithmE2ELNS0_18block_padding_hintE2ELNS0_4arch9wavefront6targetE1EE19radix_bits_per_passE ; @_ZN7rocprim17ROCPRIM_400000_NS16block_radix_sortI6__halfLj256ELj2ElLj1ELj1ELj8ELNS0_26block_radix_rank_algorithmE2ELNS0_18block_padding_hintE2ELNS0_4arch9wavefront6targetE1EE19radix_bits_per_passE
	.type	_ZN7rocprim17ROCPRIM_400000_NS16block_radix_sortI6__halfLj256ELj2ElLj1ELj1ELj8ELNS0_26block_radix_rank_algorithmE2ELNS0_18block_padding_hintE2ELNS0_4arch9wavefront6targetE1EE19radix_bits_per_passE,@object
	.section	.rodata._ZN7rocprim17ROCPRIM_400000_NS16block_radix_sortI6__halfLj256ELj2ElLj1ELj1ELj8ELNS0_26block_radix_rank_algorithmE2ELNS0_18block_padding_hintE2ELNS0_4arch9wavefront6targetE1EE19radix_bits_per_passE,"aG",@progbits,_ZN7rocprim17ROCPRIM_400000_NS16block_radix_sortI6__halfLj256ELj2ElLj1ELj1ELj8ELNS0_26block_radix_rank_algorithmE2ELNS0_18block_padding_hintE2ELNS0_4arch9wavefront6targetE1EE19radix_bits_per_passE,comdat
	.weak	_ZN7rocprim17ROCPRIM_400000_NS16block_radix_sortI6__halfLj256ELj2ElLj1ELj1ELj8ELNS0_26block_radix_rank_algorithmE2ELNS0_18block_padding_hintE2ELNS0_4arch9wavefront6targetE1EE19radix_bits_per_passE
	.p2align	2, 0x0
_ZN7rocprim17ROCPRIM_400000_NS16block_radix_sortI6__halfLj256ELj2ElLj1ELj1ELj8ELNS0_26block_radix_rank_algorithmE2ELNS0_18block_padding_hintE2ELNS0_4arch9wavefront6targetE1EE19radix_bits_per_passE:
	.long	8                               ; 0x8
	.size	_ZN7rocprim17ROCPRIM_400000_NS16block_radix_sortI6__halfLj256ELj2ElLj1ELj1ELj8ELNS0_26block_radix_rank_algorithmE2ELNS0_18block_padding_hintE2ELNS0_4arch9wavefront6targetE1EE19radix_bits_per_passE, 4

	.protected	_ZN7rocprim17ROCPRIM_400000_NS16block_radix_sortI6__halfLj256ELj4ElLj1ELj1ELj8ELNS0_26block_radix_rank_algorithmE2ELNS0_18block_padding_hintE2ELNS0_4arch9wavefront6targetE1EE19radix_bits_per_passE ; @_ZN7rocprim17ROCPRIM_400000_NS16block_radix_sortI6__halfLj256ELj4ElLj1ELj1ELj8ELNS0_26block_radix_rank_algorithmE2ELNS0_18block_padding_hintE2ELNS0_4arch9wavefront6targetE1EE19radix_bits_per_passE
	.type	_ZN7rocprim17ROCPRIM_400000_NS16block_radix_sortI6__halfLj256ELj4ElLj1ELj1ELj8ELNS0_26block_radix_rank_algorithmE2ELNS0_18block_padding_hintE2ELNS0_4arch9wavefront6targetE1EE19radix_bits_per_passE,@object
	.section	.rodata._ZN7rocprim17ROCPRIM_400000_NS16block_radix_sortI6__halfLj256ELj4ElLj1ELj1ELj8ELNS0_26block_radix_rank_algorithmE2ELNS0_18block_padding_hintE2ELNS0_4arch9wavefront6targetE1EE19radix_bits_per_passE,"aG",@progbits,_ZN7rocprim17ROCPRIM_400000_NS16block_radix_sortI6__halfLj256ELj4ElLj1ELj1ELj8ELNS0_26block_radix_rank_algorithmE2ELNS0_18block_padding_hintE2ELNS0_4arch9wavefront6targetE1EE19radix_bits_per_passE,comdat
	.weak	_ZN7rocprim17ROCPRIM_400000_NS16block_radix_sortI6__halfLj256ELj4ElLj1ELj1ELj8ELNS0_26block_radix_rank_algorithmE2ELNS0_18block_padding_hintE2ELNS0_4arch9wavefront6targetE1EE19radix_bits_per_passE
	.p2align	2, 0x0
_ZN7rocprim17ROCPRIM_400000_NS16block_radix_sortI6__halfLj256ELj4ElLj1ELj1ELj8ELNS0_26block_radix_rank_algorithmE2ELNS0_18block_padding_hintE2ELNS0_4arch9wavefront6targetE1EE19radix_bits_per_passE:
	.long	8                               ; 0x8
	.size	_ZN7rocprim17ROCPRIM_400000_NS16block_radix_sortI6__halfLj256ELj4ElLj1ELj1ELj8ELNS0_26block_radix_rank_algorithmE2ELNS0_18block_padding_hintE2ELNS0_4arch9wavefront6targetE1EE19radix_bits_per_passE, 4

	.protected	_ZN7rocprim17ROCPRIM_400000_NS16block_radix_sortI6__halfLj256ELj8ElLj1ELj1ELj8ELNS0_26block_radix_rank_algorithmE2ELNS0_18block_padding_hintE2ELNS0_4arch9wavefront6targetE1EE19radix_bits_per_passE ; @_ZN7rocprim17ROCPRIM_400000_NS16block_radix_sortI6__halfLj256ELj8ElLj1ELj1ELj8ELNS0_26block_radix_rank_algorithmE2ELNS0_18block_padding_hintE2ELNS0_4arch9wavefront6targetE1EE19radix_bits_per_passE
	.type	_ZN7rocprim17ROCPRIM_400000_NS16block_radix_sortI6__halfLj256ELj8ElLj1ELj1ELj8ELNS0_26block_radix_rank_algorithmE2ELNS0_18block_padding_hintE2ELNS0_4arch9wavefront6targetE1EE19radix_bits_per_passE,@object
	.section	.rodata._ZN7rocprim17ROCPRIM_400000_NS16block_radix_sortI6__halfLj256ELj8ElLj1ELj1ELj8ELNS0_26block_radix_rank_algorithmE2ELNS0_18block_padding_hintE2ELNS0_4arch9wavefront6targetE1EE19radix_bits_per_passE,"aG",@progbits,_ZN7rocprim17ROCPRIM_400000_NS16block_radix_sortI6__halfLj256ELj8ElLj1ELj1ELj8ELNS0_26block_radix_rank_algorithmE2ELNS0_18block_padding_hintE2ELNS0_4arch9wavefront6targetE1EE19radix_bits_per_passE,comdat
	.weak	_ZN7rocprim17ROCPRIM_400000_NS16block_radix_sortI6__halfLj256ELj8ElLj1ELj1ELj8ELNS0_26block_radix_rank_algorithmE2ELNS0_18block_padding_hintE2ELNS0_4arch9wavefront6targetE1EE19radix_bits_per_passE
	.p2align	2, 0x0
_ZN7rocprim17ROCPRIM_400000_NS16block_radix_sortI6__halfLj256ELj8ElLj1ELj1ELj8ELNS0_26block_radix_rank_algorithmE2ELNS0_18block_padding_hintE2ELNS0_4arch9wavefront6targetE1EE19radix_bits_per_passE:
	.long	8                               ; 0x8
	.size	_ZN7rocprim17ROCPRIM_400000_NS16block_radix_sortI6__halfLj256ELj8ElLj1ELj1ELj8ELNS0_26block_radix_rank_algorithmE2ELNS0_18block_padding_hintE2ELNS0_4arch9wavefront6targetE1EE19radix_bits_per_passE, 4

	.protected	_ZN7rocprim17ROCPRIM_400000_NS16block_radix_sortI12hip_bfloat16Lj256ELj1ElLj1ELj1ELj8ELNS0_26block_radix_rank_algorithmE2ELNS0_18block_padding_hintE2ELNS0_4arch9wavefront6targetE1EE19radix_bits_per_passE ; @_ZN7rocprim17ROCPRIM_400000_NS16block_radix_sortI12hip_bfloat16Lj256ELj1ElLj1ELj1ELj8ELNS0_26block_radix_rank_algorithmE2ELNS0_18block_padding_hintE2ELNS0_4arch9wavefront6targetE1EE19radix_bits_per_passE
	.type	_ZN7rocprim17ROCPRIM_400000_NS16block_radix_sortI12hip_bfloat16Lj256ELj1ElLj1ELj1ELj8ELNS0_26block_radix_rank_algorithmE2ELNS0_18block_padding_hintE2ELNS0_4arch9wavefront6targetE1EE19radix_bits_per_passE,@object
	.section	.rodata._ZN7rocprim17ROCPRIM_400000_NS16block_radix_sortI12hip_bfloat16Lj256ELj1ElLj1ELj1ELj8ELNS0_26block_radix_rank_algorithmE2ELNS0_18block_padding_hintE2ELNS0_4arch9wavefront6targetE1EE19radix_bits_per_passE,"aG",@progbits,_ZN7rocprim17ROCPRIM_400000_NS16block_radix_sortI12hip_bfloat16Lj256ELj1ElLj1ELj1ELj8ELNS0_26block_radix_rank_algorithmE2ELNS0_18block_padding_hintE2ELNS0_4arch9wavefront6targetE1EE19radix_bits_per_passE,comdat
	.weak	_ZN7rocprim17ROCPRIM_400000_NS16block_radix_sortI12hip_bfloat16Lj256ELj1ElLj1ELj1ELj8ELNS0_26block_radix_rank_algorithmE2ELNS0_18block_padding_hintE2ELNS0_4arch9wavefront6targetE1EE19radix_bits_per_passE
	.p2align	2, 0x0
_ZN7rocprim17ROCPRIM_400000_NS16block_radix_sortI12hip_bfloat16Lj256ELj1ElLj1ELj1ELj8ELNS0_26block_radix_rank_algorithmE2ELNS0_18block_padding_hintE2ELNS0_4arch9wavefront6targetE1EE19radix_bits_per_passE:
	.long	8                               ; 0x8
	.size	_ZN7rocprim17ROCPRIM_400000_NS16block_radix_sortI12hip_bfloat16Lj256ELj1ElLj1ELj1ELj8ELNS0_26block_radix_rank_algorithmE2ELNS0_18block_padding_hintE2ELNS0_4arch9wavefront6targetE1EE19radix_bits_per_passE, 4

	.protected	_ZN7rocprim17ROCPRIM_400000_NS16block_radix_sortI12hip_bfloat16Lj256ELj2ElLj1ELj1ELj8ELNS0_26block_radix_rank_algorithmE2ELNS0_18block_padding_hintE2ELNS0_4arch9wavefront6targetE1EE19radix_bits_per_passE ; @_ZN7rocprim17ROCPRIM_400000_NS16block_radix_sortI12hip_bfloat16Lj256ELj2ElLj1ELj1ELj8ELNS0_26block_radix_rank_algorithmE2ELNS0_18block_padding_hintE2ELNS0_4arch9wavefront6targetE1EE19radix_bits_per_passE
	.type	_ZN7rocprim17ROCPRIM_400000_NS16block_radix_sortI12hip_bfloat16Lj256ELj2ElLj1ELj1ELj8ELNS0_26block_radix_rank_algorithmE2ELNS0_18block_padding_hintE2ELNS0_4arch9wavefront6targetE1EE19radix_bits_per_passE,@object
	.section	.rodata._ZN7rocprim17ROCPRIM_400000_NS16block_radix_sortI12hip_bfloat16Lj256ELj2ElLj1ELj1ELj8ELNS0_26block_radix_rank_algorithmE2ELNS0_18block_padding_hintE2ELNS0_4arch9wavefront6targetE1EE19radix_bits_per_passE,"aG",@progbits,_ZN7rocprim17ROCPRIM_400000_NS16block_radix_sortI12hip_bfloat16Lj256ELj2ElLj1ELj1ELj8ELNS0_26block_radix_rank_algorithmE2ELNS0_18block_padding_hintE2ELNS0_4arch9wavefront6targetE1EE19radix_bits_per_passE,comdat
	.weak	_ZN7rocprim17ROCPRIM_400000_NS16block_radix_sortI12hip_bfloat16Lj256ELj2ElLj1ELj1ELj8ELNS0_26block_radix_rank_algorithmE2ELNS0_18block_padding_hintE2ELNS0_4arch9wavefront6targetE1EE19radix_bits_per_passE
	.p2align	2, 0x0
_ZN7rocprim17ROCPRIM_400000_NS16block_radix_sortI12hip_bfloat16Lj256ELj2ElLj1ELj1ELj8ELNS0_26block_radix_rank_algorithmE2ELNS0_18block_padding_hintE2ELNS0_4arch9wavefront6targetE1EE19radix_bits_per_passE:
	.long	8                               ; 0x8
	.size	_ZN7rocprim17ROCPRIM_400000_NS16block_radix_sortI12hip_bfloat16Lj256ELj2ElLj1ELj1ELj8ELNS0_26block_radix_rank_algorithmE2ELNS0_18block_padding_hintE2ELNS0_4arch9wavefront6targetE1EE19radix_bits_per_passE, 4

	.protected	_ZN7rocprim17ROCPRIM_400000_NS16block_radix_sortI12hip_bfloat16Lj256ELj4ElLj1ELj1ELj8ELNS0_26block_radix_rank_algorithmE2ELNS0_18block_padding_hintE2ELNS0_4arch9wavefront6targetE1EE19radix_bits_per_passE ; @_ZN7rocprim17ROCPRIM_400000_NS16block_radix_sortI12hip_bfloat16Lj256ELj4ElLj1ELj1ELj8ELNS0_26block_radix_rank_algorithmE2ELNS0_18block_padding_hintE2ELNS0_4arch9wavefront6targetE1EE19radix_bits_per_passE
	.type	_ZN7rocprim17ROCPRIM_400000_NS16block_radix_sortI12hip_bfloat16Lj256ELj4ElLj1ELj1ELj8ELNS0_26block_radix_rank_algorithmE2ELNS0_18block_padding_hintE2ELNS0_4arch9wavefront6targetE1EE19radix_bits_per_passE,@object
	.section	.rodata._ZN7rocprim17ROCPRIM_400000_NS16block_radix_sortI12hip_bfloat16Lj256ELj4ElLj1ELj1ELj8ELNS0_26block_radix_rank_algorithmE2ELNS0_18block_padding_hintE2ELNS0_4arch9wavefront6targetE1EE19radix_bits_per_passE,"aG",@progbits,_ZN7rocprim17ROCPRIM_400000_NS16block_radix_sortI12hip_bfloat16Lj256ELj4ElLj1ELj1ELj8ELNS0_26block_radix_rank_algorithmE2ELNS0_18block_padding_hintE2ELNS0_4arch9wavefront6targetE1EE19radix_bits_per_passE,comdat
	.weak	_ZN7rocprim17ROCPRIM_400000_NS16block_radix_sortI12hip_bfloat16Lj256ELj4ElLj1ELj1ELj8ELNS0_26block_radix_rank_algorithmE2ELNS0_18block_padding_hintE2ELNS0_4arch9wavefront6targetE1EE19radix_bits_per_passE
	.p2align	2, 0x0
_ZN7rocprim17ROCPRIM_400000_NS16block_radix_sortI12hip_bfloat16Lj256ELj4ElLj1ELj1ELj8ELNS0_26block_radix_rank_algorithmE2ELNS0_18block_padding_hintE2ELNS0_4arch9wavefront6targetE1EE19radix_bits_per_passE:
	.long	8                               ; 0x8
	.size	_ZN7rocprim17ROCPRIM_400000_NS16block_radix_sortI12hip_bfloat16Lj256ELj4ElLj1ELj1ELj8ELNS0_26block_radix_rank_algorithmE2ELNS0_18block_padding_hintE2ELNS0_4arch9wavefront6targetE1EE19radix_bits_per_passE, 4

	.protected	_ZN7rocprim17ROCPRIM_400000_NS16block_radix_sortI12hip_bfloat16Lj256ELj8ElLj1ELj1ELj8ELNS0_26block_radix_rank_algorithmE2ELNS0_18block_padding_hintE2ELNS0_4arch9wavefront6targetE1EE19radix_bits_per_passE ; @_ZN7rocprim17ROCPRIM_400000_NS16block_radix_sortI12hip_bfloat16Lj256ELj8ElLj1ELj1ELj8ELNS0_26block_radix_rank_algorithmE2ELNS0_18block_padding_hintE2ELNS0_4arch9wavefront6targetE1EE19radix_bits_per_passE
	.type	_ZN7rocprim17ROCPRIM_400000_NS16block_radix_sortI12hip_bfloat16Lj256ELj8ElLj1ELj1ELj8ELNS0_26block_radix_rank_algorithmE2ELNS0_18block_padding_hintE2ELNS0_4arch9wavefront6targetE1EE19radix_bits_per_passE,@object
	.section	.rodata._ZN7rocprim17ROCPRIM_400000_NS16block_radix_sortI12hip_bfloat16Lj256ELj8ElLj1ELj1ELj8ELNS0_26block_radix_rank_algorithmE2ELNS0_18block_padding_hintE2ELNS0_4arch9wavefront6targetE1EE19radix_bits_per_passE,"aG",@progbits,_ZN7rocprim17ROCPRIM_400000_NS16block_radix_sortI12hip_bfloat16Lj256ELj8ElLj1ELj1ELj8ELNS0_26block_radix_rank_algorithmE2ELNS0_18block_padding_hintE2ELNS0_4arch9wavefront6targetE1EE19radix_bits_per_passE,comdat
	.weak	_ZN7rocprim17ROCPRIM_400000_NS16block_radix_sortI12hip_bfloat16Lj256ELj8ElLj1ELj1ELj8ELNS0_26block_radix_rank_algorithmE2ELNS0_18block_padding_hintE2ELNS0_4arch9wavefront6targetE1EE19radix_bits_per_passE
	.p2align	2, 0x0
_ZN7rocprim17ROCPRIM_400000_NS16block_radix_sortI12hip_bfloat16Lj256ELj8ElLj1ELj1ELj8ELNS0_26block_radix_rank_algorithmE2ELNS0_18block_padding_hintE2ELNS0_4arch9wavefront6targetE1EE19radix_bits_per_passE:
	.long	8                               ; 0x8
	.size	_ZN7rocprim17ROCPRIM_400000_NS16block_radix_sortI12hip_bfloat16Lj256ELj8ElLj1ELj1ELj8ELNS0_26block_radix_rank_algorithmE2ELNS0_18block_padding_hintE2ELNS0_4arch9wavefront6targetE1EE19radix_bits_per_passE, 4

	.type	__hip_cuid_c2f1bcb2e99b9e8,@object ; @__hip_cuid_c2f1bcb2e99b9e8
	.section	.bss,"aw",@nobits
	.globl	__hip_cuid_c2f1bcb2e99b9e8
__hip_cuid_c2f1bcb2e99b9e8:
	.byte	0                               ; 0x0
	.size	__hip_cuid_c2f1bcb2e99b9e8, 1

	.ident	"AMD clang version 22.0.0git (https://github.com/RadeonOpenCompute/llvm-project roc-7.2.4 26084 f58b06dce1f9c15707c5f808fd002e18c2accf7e)"
	.section	".note.GNU-stack","",@progbits
	.addrsig
	.addrsig_sym __hip_cuid_c2f1bcb2e99b9e8
	.amdgpu_metadata
---
amdhsa.kernels:
  - .args:
      - .address_space:  global
        .offset:         0
        .size:           8
        .value_kind:     global_buffer
      - .offset:         8
        .size:           4
        .value_kind:     by_value
      - .offset:         12
        .size:           12
        .value_kind:     by_value
      - .offset:         24
        .size:           4
        .value_kind:     hidden_block_count_x
      - .offset:         28
        .size:           4
        .value_kind:     hidden_block_count_y
      - .offset:         32
        .size:           4
        .value_kind:     hidden_block_count_z
      - .offset:         36
        .size:           2
        .value_kind:     hidden_group_size_x
      - .offset:         38
        .size:           2
        .value_kind:     hidden_group_size_y
      - .offset:         40
        .size:           2
        .value_kind:     hidden_group_size_z
      - .offset:         42
        .size:           2
        .value_kind:     hidden_remainder_x
      - .offset:         44
        .size:           2
        .value_kind:     hidden_remainder_y
      - .offset:         46
        .size:           2
        .value_kind:     hidden_remainder_z
      - .offset:         64
        .size:           8
        .value_kind:     hidden_global_offset_x
      - .offset:         72
        .size:           8
        .value_kind:     hidden_global_offset_y
      - .offset:         80
        .size:           8
        .value_kind:     hidden_global_offset_z
      - .offset:         88
        .size:           2
        .value_kind:     hidden_grid_dims
    .group_segment_fixed_size: 0
    .kernarg_segment_align: 8
    .kernarg_segment_size: 280
    .language:       OpenCL C
    .language_version:
      - 2
      - 0
    .max_flat_workgroup_size: 1024
    .name:           _ZN2at6native12_GLOBAL__N_129fill_index_and_segment_kernelEP15HIP_vector_typeIiLj2EEiNS_4cuda6detail10IntDividerIjEE
    .private_segment_fixed_size: 0
    .sgpr_count:     20
    .sgpr_spill_count: 0
    .symbol:         _ZN2at6native12_GLOBAL__N_129fill_index_and_segment_kernelEP15HIP_vector_typeIiLj2EEiNS_4cuda6detail10IntDividerIjEE.kd
    .uniform_work_group_size: 1
    .uses_dynamic_stack: false
    .vgpr_count:     14
    .vgpr_spill_count: 0
    .wavefront_size: 64
  - .args:
      - .address_space:  global
        .offset:         0
        .size:           8
        .value_kind:     global_buffer
      - .offset:         8
        .size:           4
        .value_kind:     by_value
      - .offset:         12
        .size:           12
        .value_kind:     by_value
      - .offset:         24
        .size:           4
        .value_kind:     hidden_block_count_x
      - .offset:         28
        .size:           4
        .value_kind:     hidden_block_count_y
      - .offset:         32
        .size:           4
        .value_kind:     hidden_block_count_z
      - .offset:         36
        .size:           2
        .value_kind:     hidden_group_size_x
      - .offset:         38
        .size:           2
        .value_kind:     hidden_group_size_y
      - .offset:         40
        .size:           2
        .value_kind:     hidden_group_size_z
      - .offset:         42
        .size:           2
        .value_kind:     hidden_remainder_x
      - .offset:         44
        .size:           2
        .value_kind:     hidden_remainder_y
      - .offset:         46
        .size:           2
        .value_kind:     hidden_remainder_z
      - .offset:         64
        .size:           8
        .value_kind:     hidden_global_offset_x
      - .offset:         72
        .size:           8
        .value_kind:     hidden_global_offset_y
      - .offset:         80
        .size:           8
        .value_kind:     hidden_global_offset_z
      - .offset:         88
        .size:           2
        .value_kind:     hidden_grid_dims
    .group_segment_fixed_size: 0
    .kernarg_segment_align: 8
    .kernarg_segment_size: 280
    .language:       OpenCL C
    .language_version:
      - 2
      - 0
    .max_flat_workgroup_size: 1024
    .name:           _ZN2at6native12_GLOBAL__N_127fill_reverse_indices_kernelEPliNS_4cuda6detail10IntDividerIjEE
    .private_segment_fixed_size: 0
    .sgpr_count:     20
    .sgpr_spill_count: 0
    .symbol:         _ZN2at6native12_GLOBAL__N_127fill_reverse_indices_kernelEPliNS_4cuda6detail10IntDividerIjEE.kd
    .uniform_work_group_size: 1
    .uses_dynamic_stack: false
    .vgpr_count:     15
    .vgpr_spill_count: 0
    .wavefront_size: 64
  - .args:
      - .address_space:  global
        .offset:         0
        .size:           8
        .value_kind:     global_buffer
      - .address_space:  global
        .offset:         8
        .size:           8
        .value_kind:     global_buffer
      - .address_space:  global
        .offset:         16
        .size:           8
        .value_kind:     global_buffer
      - .address_space:  global
        .offset:         24
        .size:           8
        .value_kind:     global_buffer
      - .offset:         32
        .size:           4
        .value_kind:     by_value
      - .offset:         36
        .size:           4
        .value_kind:     by_value
      - .offset:         40
        .size:           4
        .value_kind:     hidden_block_count_x
      - .offset:         44
        .size:           4
        .value_kind:     hidden_block_count_y
      - .offset:         48
        .size:           4
        .value_kind:     hidden_block_count_z
      - .offset:         52
        .size:           2
        .value_kind:     hidden_group_size_x
      - .offset:         54
        .size:           2
        .value_kind:     hidden_group_size_y
      - .offset:         56
        .size:           2
        .value_kind:     hidden_group_size_z
      - .offset:         58
        .size:           2
        .value_kind:     hidden_remainder_x
      - .offset:         60
        .size:           2
        .value_kind:     hidden_remainder_y
      - .offset:         62
        .size:           2
        .value_kind:     hidden_remainder_z
      - .offset:         80
        .size:           8
        .value_kind:     hidden_global_offset_x
      - .offset:         88
        .size:           8
        .value_kind:     hidden_global_offset_y
      - .offset:         96
        .size:           8
        .value_kind:     hidden_global_offset_z
      - .offset:         104
        .size:           2
        .value_kind:     hidden_grid_dims
    .group_segment_fixed_size: 0
    .kernarg_segment_align: 8
    .kernarg_segment_size: 296
    .language:       OpenCL C
    .language_version:
      - 2
      - 0
    .max_flat_workgroup_size: 1024
    .name:           _ZN2at6native12_GLOBAL__N_123sort_postprocess_kernelIhEEvPKT_PS3_PlPK15HIP_vector_typeIiLj2EEii
    .private_segment_fixed_size: 0
    .sgpr_count:     23
    .sgpr_spill_count: 0
    .symbol:         _ZN2at6native12_GLOBAL__N_123sort_postprocess_kernelIhEEvPKT_PS3_PlPK15HIP_vector_typeIiLj2EEii.kd
    .uniform_work_group_size: 1
    .uses_dynamic_stack: false
    .vgpr_count:     19
    .vgpr_spill_count: 0
    .wavefront_size: 64
  - .args:
      - .address_space:  global
        .offset:         0
        .size:           8
        .value_kind:     global_buffer
      - .offset:         8
        .size:           4
        .value_kind:     by_value
      - .offset:         12
        .size:           1
        .value_kind:     by_value
      - .offset:         16
        .size:           4
        .value_kind:     by_value
      - .address_space:  global
        .offset:         24
        .size:           8
        .value_kind:     global_buffer
      - .offset:         32
        .size:           4
        .value_kind:     hidden_block_count_x
      - .offset:         36
        .size:           4
        .value_kind:     hidden_block_count_y
      - .offset:         40
        .size:           4
        .value_kind:     hidden_block_count_z
      - .offset:         44
        .size:           2
        .value_kind:     hidden_group_size_x
      - .offset:         46
        .size:           2
        .value_kind:     hidden_group_size_y
      - .offset:         48
        .size:           2
        .value_kind:     hidden_group_size_z
      - .offset:         50
        .size:           2
        .value_kind:     hidden_remainder_x
      - .offset:         52
        .size:           2
        .value_kind:     hidden_remainder_y
      - .offset:         54
        .size:           2
        .value_kind:     hidden_remainder_z
      - .offset:         72
        .size:           8
        .value_kind:     hidden_global_offset_x
      - .offset:         80
        .size:           8
        .value_kind:     hidden_global_offset_y
      - .offset:         88
        .size:           8
        .value_kind:     hidden_global_offset_z
      - .offset:         96
        .size:           2
        .value_kind:     hidden_grid_dims
    .group_segment_fixed_size: 0
    .kernarg_segment_align: 8
    .kernarg_segment_size: 288
    .language:       OpenCL C
    .language_version:
      - 2
      - 0
    .max_flat_workgroup_size: 256
    .name:           _ZN7rocprim17ROCPRIM_400000_NS6detail31init_lookback_scan_state_kernelINS1_19lookback_scan_stateI15HIP_vector_typeIjLj2EELb0ELb1EEENS1_16block_id_wrapperIjLb0EEEEEvT_jT0_jPNS9_10value_typeE
    .private_segment_fixed_size: 0
    .sgpr_count:     17
    .sgpr_spill_count: 0
    .symbol:         _ZN7rocprim17ROCPRIM_400000_NS6detail31init_lookback_scan_state_kernelINS1_19lookback_scan_stateI15HIP_vector_typeIjLj2EELb0ELb1EEENS1_16block_id_wrapperIjLb0EEEEEvT_jT0_jPNS9_10value_typeE.kd
    .uniform_work_group_size: 1
    .uses_dynamic_stack: false
    .vgpr_count:     8
    .vgpr_spill_count: 0
    .wavefront_size: 64
  - .args:
      - .offset:         0
        .size:           176
        .value_kind:     by_value
    .group_segment_fixed_size: 0
    .kernarg_segment_align: 8
    .kernarg_segment_size: 176
    .language:       OpenCL C
    .language_version:
      - 2
      - 0
    .max_flat_workgroup_size: 256
    .name:           _ZN7rocprim17ROCPRIM_400000_NS6detail17trampoline_kernelINS0_13select_configILj256ELj13ELNS0_17block_load_methodE3ELS4_3ELS4_3ELNS0_20block_scan_algorithmE0ELj4294967295EEENS1_25partition_config_selectorILNS1_17partition_subalgoE4EjNS0_10empty_typeEbEEZZNS1_14partition_implILS8_4ELb0ES6_15HIP_vector_typeIjLj2EENS0_17counting_iteratorIjlEEPS9_SG_NS0_5tupleIJPjSI_NS0_16reverse_iteratorISI_EEEEENSH_IJSG_SG_SG_EEES9_SI_JZNS1_25segmented_radix_sort_implINS0_14default_configELb1EPKhPhPKlPlN2at6native12_GLOBAL__N_18offset_tEEE10hipError_tPvRmT1_PNSt15iterator_traitsIS12_E10value_typeET2_T3_PNS13_IS18_E10value_typeET4_jRbjT5_S1E_jjP12ihipStream_tbEUljE_ZNSN_ISO_Lb1ESQ_SR_ST_SU_SY_EESZ_S10_S11_S12_S16_S17_S18_S1B_S1C_jS1D_jS1E_S1E_jjS1G_bEUljE0_EEESZ_S10_S11_S18_S1C_S1E_T6_T7_T9_mT8_S1G_bDpT10_ENKUlT_T0_E_clISt17integral_constantIbLb0EES1U_EEDaS1P_S1Q_EUlS1P_E_NS1_11comp_targetILNS1_3genE0ELNS1_11target_archE4294967295ELNS1_3gpuE0ELNS1_3repE0EEENS1_30default_config_static_selectorELNS0_4arch9wavefront6targetE1EEEvS12_
    .private_segment_fixed_size: 0
    .sgpr_count:     4
    .sgpr_spill_count: 0
    .symbol:         _ZN7rocprim17ROCPRIM_400000_NS6detail17trampoline_kernelINS0_13select_configILj256ELj13ELNS0_17block_load_methodE3ELS4_3ELS4_3ELNS0_20block_scan_algorithmE0ELj4294967295EEENS1_25partition_config_selectorILNS1_17partition_subalgoE4EjNS0_10empty_typeEbEEZZNS1_14partition_implILS8_4ELb0ES6_15HIP_vector_typeIjLj2EENS0_17counting_iteratorIjlEEPS9_SG_NS0_5tupleIJPjSI_NS0_16reverse_iteratorISI_EEEEENSH_IJSG_SG_SG_EEES9_SI_JZNS1_25segmented_radix_sort_implINS0_14default_configELb1EPKhPhPKlPlN2at6native12_GLOBAL__N_18offset_tEEE10hipError_tPvRmT1_PNSt15iterator_traitsIS12_E10value_typeET2_T3_PNS13_IS18_E10value_typeET4_jRbjT5_S1E_jjP12ihipStream_tbEUljE_ZNSN_ISO_Lb1ESQ_SR_ST_SU_SY_EESZ_S10_S11_S12_S16_S17_S18_S1B_S1C_jS1D_jS1E_S1E_jjS1G_bEUljE0_EEESZ_S10_S11_S18_S1C_S1E_T6_T7_T9_mT8_S1G_bDpT10_ENKUlT_T0_E_clISt17integral_constantIbLb0EES1U_EEDaS1P_S1Q_EUlS1P_E_NS1_11comp_targetILNS1_3genE0ELNS1_11target_archE4294967295ELNS1_3gpuE0ELNS1_3repE0EEENS1_30default_config_static_selectorELNS0_4arch9wavefront6targetE1EEEvS12_.kd
    .uniform_work_group_size: 1
    .uses_dynamic_stack: false
    .vgpr_count:     0
    .vgpr_spill_count: 0
    .wavefront_size: 64
  - .args:
      - .offset:         0
        .size:           176
        .value_kind:     by_value
    .group_segment_fixed_size: 0
    .kernarg_segment_align: 8
    .kernarg_segment_size: 176
    .language:       OpenCL C
    .language_version:
      - 2
      - 0
    .max_flat_workgroup_size: 256
    .name:           _ZN7rocprim17ROCPRIM_400000_NS6detail17trampoline_kernelINS0_13select_configILj256ELj13ELNS0_17block_load_methodE3ELS4_3ELS4_3ELNS0_20block_scan_algorithmE0ELj4294967295EEENS1_25partition_config_selectorILNS1_17partition_subalgoE4EjNS0_10empty_typeEbEEZZNS1_14partition_implILS8_4ELb0ES6_15HIP_vector_typeIjLj2EENS0_17counting_iteratorIjlEEPS9_SG_NS0_5tupleIJPjSI_NS0_16reverse_iteratorISI_EEEEENSH_IJSG_SG_SG_EEES9_SI_JZNS1_25segmented_radix_sort_implINS0_14default_configELb1EPKhPhPKlPlN2at6native12_GLOBAL__N_18offset_tEEE10hipError_tPvRmT1_PNSt15iterator_traitsIS12_E10value_typeET2_T3_PNS13_IS18_E10value_typeET4_jRbjT5_S1E_jjP12ihipStream_tbEUljE_ZNSN_ISO_Lb1ESQ_SR_ST_SU_SY_EESZ_S10_S11_S12_S16_S17_S18_S1B_S1C_jS1D_jS1E_S1E_jjS1G_bEUljE0_EEESZ_S10_S11_S18_S1C_S1E_T6_T7_T9_mT8_S1G_bDpT10_ENKUlT_T0_E_clISt17integral_constantIbLb0EES1U_EEDaS1P_S1Q_EUlS1P_E_NS1_11comp_targetILNS1_3genE5ELNS1_11target_archE942ELNS1_3gpuE9ELNS1_3repE0EEENS1_30default_config_static_selectorELNS0_4arch9wavefront6targetE1EEEvS12_
    .private_segment_fixed_size: 0
    .sgpr_count:     4
    .sgpr_spill_count: 0
    .symbol:         _ZN7rocprim17ROCPRIM_400000_NS6detail17trampoline_kernelINS0_13select_configILj256ELj13ELNS0_17block_load_methodE3ELS4_3ELS4_3ELNS0_20block_scan_algorithmE0ELj4294967295EEENS1_25partition_config_selectorILNS1_17partition_subalgoE4EjNS0_10empty_typeEbEEZZNS1_14partition_implILS8_4ELb0ES6_15HIP_vector_typeIjLj2EENS0_17counting_iteratorIjlEEPS9_SG_NS0_5tupleIJPjSI_NS0_16reverse_iteratorISI_EEEEENSH_IJSG_SG_SG_EEES9_SI_JZNS1_25segmented_radix_sort_implINS0_14default_configELb1EPKhPhPKlPlN2at6native12_GLOBAL__N_18offset_tEEE10hipError_tPvRmT1_PNSt15iterator_traitsIS12_E10value_typeET2_T3_PNS13_IS18_E10value_typeET4_jRbjT5_S1E_jjP12ihipStream_tbEUljE_ZNSN_ISO_Lb1ESQ_SR_ST_SU_SY_EESZ_S10_S11_S12_S16_S17_S18_S1B_S1C_jS1D_jS1E_S1E_jjS1G_bEUljE0_EEESZ_S10_S11_S18_S1C_S1E_T6_T7_T9_mT8_S1G_bDpT10_ENKUlT_T0_E_clISt17integral_constantIbLb0EES1U_EEDaS1P_S1Q_EUlS1P_E_NS1_11comp_targetILNS1_3genE5ELNS1_11target_archE942ELNS1_3gpuE9ELNS1_3repE0EEENS1_30default_config_static_selectorELNS0_4arch9wavefront6targetE1EEEvS12_.kd
    .uniform_work_group_size: 1
    .uses_dynamic_stack: false
    .vgpr_count:     0
    .vgpr_spill_count: 0
    .wavefront_size: 64
  - .args:
      - .offset:         0
        .size:           176
        .value_kind:     by_value
    .group_segment_fixed_size: 0
    .kernarg_segment_align: 8
    .kernarg_segment_size: 176
    .language:       OpenCL C
    .language_version:
      - 2
      - 0
    .max_flat_workgroup_size: 256
    .name:           _ZN7rocprim17ROCPRIM_400000_NS6detail17trampoline_kernelINS0_13select_configILj256ELj13ELNS0_17block_load_methodE3ELS4_3ELS4_3ELNS0_20block_scan_algorithmE0ELj4294967295EEENS1_25partition_config_selectorILNS1_17partition_subalgoE4EjNS0_10empty_typeEbEEZZNS1_14partition_implILS8_4ELb0ES6_15HIP_vector_typeIjLj2EENS0_17counting_iteratorIjlEEPS9_SG_NS0_5tupleIJPjSI_NS0_16reverse_iteratorISI_EEEEENSH_IJSG_SG_SG_EEES9_SI_JZNS1_25segmented_radix_sort_implINS0_14default_configELb1EPKhPhPKlPlN2at6native12_GLOBAL__N_18offset_tEEE10hipError_tPvRmT1_PNSt15iterator_traitsIS12_E10value_typeET2_T3_PNS13_IS18_E10value_typeET4_jRbjT5_S1E_jjP12ihipStream_tbEUljE_ZNSN_ISO_Lb1ESQ_SR_ST_SU_SY_EESZ_S10_S11_S12_S16_S17_S18_S1B_S1C_jS1D_jS1E_S1E_jjS1G_bEUljE0_EEESZ_S10_S11_S18_S1C_S1E_T6_T7_T9_mT8_S1G_bDpT10_ENKUlT_T0_E_clISt17integral_constantIbLb0EES1U_EEDaS1P_S1Q_EUlS1P_E_NS1_11comp_targetILNS1_3genE4ELNS1_11target_archE910ELNS1_3gpuE8ELNS1_3repE0EEENS1_30default_config_static_selectorELNS0_4arch9wavefront6targetE1EEEvS12_
    .private_segment_fixed_size: 0
    .sgpr_count:     4
    .sgpr_spill_count: 0
    .symbol:         _ZN7rocprim17ROCPRIM_400000_NS6detail17trampoline_kernelINS0_13select_configILj256ELj13ELNS0_17block_load_methodE3ELS4_3ELS4_3ELNS0_20block_scan_algorithmE0ELj4294967295EEENS1_25partition_config_selectorILNS1_17partition_subalgoE4EjNS0_10empty_typeEbEEZZNS1_14partition_implILS8_4ELb0ES6_15HIP_vector_typeIjLj2EENS0_17counting_iteratorIjlEEPS9_SG_NS0_5tupleIJPjSI_NS0_16reverse_iteratorISI_EEEEENSH_IJSG_SG_SG_EEES9_SI_JZNS1_25segmented_radix_sort_implINS0_14default_configELb1EPKhPhPKlPlN2at6native12_GLOBAL__N_18offset_tEEE10hipError_tPvRmT1_PNSt15iterator_traitsIS12_E10value_typeET2_T3_PNS13_IS18_E10value_typeET4_jRbjT5_S1E_jjP12ihipStream_tbEUljE_ZNSN_ISO_Lb1ESQ_SR_ST_SU_SY_EESZ_S10_S11_S12_S16_S17_S18_S1B_S1C_jS1D_jS1E_S1E_jjS1G_bEUljE0_EEESZ_S10_S11_S18_S1C_S1E_T6_T7_T9_mT8_S1G_bDpT10_ENKUlT_T0_E_clISt17integral_constantIbLb0EES1U_EEDaS1P_S1Q_EUlS1P_E_NS1_11comp_targetILNS1_3genE4ELNS1_11target_archE910ELNS1_3gpuE8ELNS1_3repE0EEENS1_30default_config_static_selectorELNS0_4arch9wavefront6targetE1EEEvS12_.kd
    .uniform_work_group_size: 1
    .uses_dynamic_stack: false
    .vgpr_count:     0
    .vgpr_spill_count: 0
    .wavefront_size: 64
  - .args:
      - .offset:         0
        .size:           176
        .value_kind:     by_value
    .group_segment_fixed_size: 0
    .kernarg_segment_align: 8
    .kernarg_segment_size: 176
    .language:       OpenCL C
    .language_version:
      - 2
      - 0
    .max_flat_workgroup_size: 256
    .name:           _ZN7rocprim17ROCPRIM_400000_NS6detail17trampoline_kernelINS0_13select_configILj256ELj13ELNS0_17block_load_methodE3ELS4_3ELS4_3ELNS0_20block_scan_algorithmE0ELj4294967295EEENS1_25partition_config_selectorILNS1_17partition_subalgoE4EjNS0_10empty_typeEbEEZZNS1_14partition_implILS8_4ELb0ES6_15HIP_vector_typeIjLj2EENS0_17counting_iteratorIjlEEPS9_SG_NS0_5tupleIJPjSI_NS0_16reverse_iteratorISI_EEEEENSH_IJSG_SG_SG_EEES9_SI_JZNS1_25segmented_radix_sort_implINS0_14default_configELb1EPKhPhPKlPlN2at6native12_GLOBAL__N_18offset_tEEE10hipError_tPvRmT1_PNSt15iterator_traitsIS12_E10value_typeET2_T3_PNS13_IS18_E10value_typeET4_jRbjT5_S1E_jjP12ihipStream_tbEUljE_ZNSN_ISO_Lb1ESQ_SR_ST_SU_SY_EESZ_S10_S11_S12_S16_S17_S18_S1B_S1C_jS1D_jS1E_S1E_jjS1G_bEUljE0_EEESZ_S10_S11_S18_S1C_S1E_T6_T7_T9_mT8_S1G_bDpT10_ENKUlT_T0_E_clISt17integral_constantIbLb0EES1U_EEDaS1P_S1Q_EUlS1P_E_NS1_11comp_targetILNS1_3genE3ELNS1_11target_archE908ELNS1_3gpuE7ELNS1_3repE0EEENS1_30default_config_static_selectorELNS0_4arch9wavefront6targetE1EEEvS12_
    .private_segment_fixed_size: 0
    .sgpr_count:     4
    .sgpr_spill_count: 0
    .symbol:         _ZN7rocprim17ROCPRIM_400000_NS6detail17trampoline_kernelINS0_13select_configILj256ELj13ELNS0_17block_load_methodE3ELS4_3ELS4_3ELNS0_20block_scan_algorithmE0ELj4294967295EEENS1_25partition_config_selectorILNS1_17partition_subalgoE4EjNS0_10empty_typeEbEEZZNS1_14partition_implILS8_4ELb0ES6_15HIP_vector_typeIjLj2EENS0_17counting_iteratorIjlEEPS9_SG_NS0_5tupleIJPjSI_NS0_16reverse_iteratorISI_EEEEENSH_IJSG_SG_SG_EEES9_SI_JZNS1_25segmented_radix_sort_implINS0_14default_configELb1EPKhPhPKlPlN2at6native12_GLOBAL__N_18offset_tEEE10hipError_tPvRmT1_PNSt15iterator_traitsIS12_E10value_typeET2_T3_PNS13_IS18_E10value_typeET4_jRbjT5_S1E_jjP12ihipStream_tbEUljE_ZNSN_ISO_Lb1ESQ_SR_ST_SU_SY_EESZ_S10_S11_S12_S16_S17_S18_S1B_S1C_jS1D_jS1E_S1E_jjS1G_bEUljE0_EEESZ_S10_S11_S18_S1C_S1E_T6_T7_T9_mT8_S1G_bDpT10_ENKUlT_T0_E_clISt17integral_constantIbLb0EES1U_EEDaS1P_S1Q_EUlS1P_E_NS1_11comp_targetILNS1_3genE3ELNS1_11target_archE908ELNS1_3gpuE7ELNS1_3repE0EEENS1_30default_config_static_selectorELNS0_4arch9wavefront6targetE1EEEvS12_.kd
    .uniform_work_group_size: 1
    .uses_dynamic_stack: false
    .vgpr_count:     0
    .vgpr_spill_count: 0
    .wavefront_size: 64
  - .args:
      - .offset:         0
        .size:           176
        .value_kind:     by_value
    .group_segment_fixed_size: 13328
    .kernarg_segment_align: 8
    .kernarg_segment_size: 176
    .language:       OpenCL C
    .language_version:
      - 2
      - 0
    .max_flat_workgroup_size: 256
    .name:           _ZN7rocprim17ROCPRIM_400000_NS6detail17trampoline_kernelINS0_13select_configILj256ELj13ELNS0_17block_load_methodE3ELS4_3ELS4_3ELNS0_20block_scan_algorithmE0ELj4294967295EEENS1_25partition_config_selectorILNS1_17partition_subalgoE4EjNS0_10empty_typeEbEEZZNS1_14partition_implILS8_4ELb0ES6_15HIP_vector_typeIjLj2EENS0_17counting_iteratorIjlEEPS9_SG_NS0_5tupleIJPjSI_NS0_16reverse_iteratorISI_EEEEENSH_IJSG_SG_SG_EEES9_SI_JZNS1_25segmented_radix_sort_implINS0_14default_configELb1EPKhPhPKlPlN2at6native12_GLOBAL__N_18offset_tEEE10hipError_tPvRmT1_PNSt15iterator_traitsIS12_E10value_typeET2_T3_PNS13_IS18_E10value_typeET4_jRbjT5_S1E_jjP12ihipStream_tbEUljE_ZNSN_ISO_Lb1ESQ_SR_ST_SU_SY_EESZ_S10_S11_S12_S16_S17_S18_S1B_S1C_jS1D_jS1E_S1E_jjS1G_bEUljE0_EEESZ_S10_S11_S18_S1C_S1E_T6_T7_T9_mT8_S1G_bDpT10_ENKUlT_T0_E_clISt17integral_constantIbLb0EES1U_EEDaS1P_S1Q_EUlS1P_E_NS1_11comp_targetILNS1_3genE2ELNS1_11target_archE906ELNS1_3gpuE6ELNS1_3repE0EEENS1_30default_config_static_selectorELNS0_4arch9wavefront6targetE1EEEvS12_
    .private_segment_fixed_size: 0
    .sgpr_count:     94
    .sgpr_spill_count: 0
    .symbol:         _ZN7rocprim17ROCPRIM_400000_NS6detail17trampoline_kernelINS0_13select_configILj256ELj13ELNS0_17block_load_methodE3ELS4_3ELS4_3ELNS0_20block_scan_algorithmE0ELj4294967295EEENS1_25partition_config_selectorILNS1_17partition_subalgoE4EjNS0_10empty_typeEbEEZZNS1_14partition_implILS8_4ELb0ES6_15HIP_vector_typeIjLj2EENS0_17counting_iteratorIjlEEPS9_SG_NS0_5tupleIJPjSI_NS0_16reverse_iteratorISI_EEEEENSH_IJSG_SG_SG_EEES9_SI_JZNS1_25segmented_radix_sort_implINS0_14default_configELb1EPKhPhPKlPlN2at6native12_GLOBAL__N_18offset_tEEE10hipError_tPvRmT1_PNSt15iterator_traitsIS12_E10value_typeET2_T3_PNS13_IS18_E10value_typeET4_jRbjT5_S1E_jjP12ihipStream_tbEUljE_ZNSN_ISO_Lb1ESQ_SR_ST_SU_SY_EESZ_S10_S11_S12_S16_S17_S18_S1B_S1C_jS1D_jS1E_S1E_jjS1G_bEUljE0_EEESZ_S10_S11_S18_S1C_S1E_T6_T7_T9_mT8_S1G_bDpT10_ENKUlT_T0_E_clISt17integral_constantIbLb0EES1U_EEDaS1P_S1Q_EUlS1P_E_NS1_11comp_targetILNS1_3genE2ELNS1_11target_archE906ELNS1_3gpuE6ELNS1_3repE0EEENS1_30default_config_static_selectorELNS0_4arch9wavefront6targetE1EEEvS12_.kd
    .uniform_work_group_size: 1
    .uses_dynamic_stack: false
    .vgpr_count:     86
    .vgpr_spill_count: 0
    .wavefront_size: 64
  - .args:
      - .offset:         0
        .size:           176
        .value_kind:     by_value
    .group_segment_fixed_size: 0
    .kernarg_segment_align: 8
    .kernarg_segment_size: 176
    .language:       OpenCL C
    .language_version:
      - 2
      - 0
    .max_flat_workgroup_size: 256
    .name:           _ZN7rocprim17ROCPRIM_400000_NS6detail17trampoline_kernelINS0_13select_configILj256ELj13ELNS0_17block_load_methodE3ELS4_3ELS4_3ELNS0_20block_scan_algorithmE0ELj4294967295EEENS1_25partition_config_selectorILNS1_17partition_subalgoE4EjNS0_10empty_typeEbEEZZNS1_14partition_implILS8_4ELb0ES6_15HIP_vector_typeIjLj2EENS0_17counting_iteratorIjlEEPS9_SG_NS0_5tupleIJPjSI_NS0_16reverse_iteratorISI_EEEEENSH_IJSG_SG_SG_EEES9_SI_JZNS1_25segmented_radix_sort_implINS0_14default_configELb1EPKhPhPKlPlN2at6native12_GLOBAL__N_18offset_tEEE10hipError_tPvRmT1_PNSt15iterator_traitsIS12_E10value_typeET2_T3_PNS13_IS18_E10value_typeET4_jRbjT5_S1E_jjP12ihipStream_tbEUljE_ZNSN_ISO_Lb1ESQ_SR_ST_SU_SY_EESZ_S10_S11_S12_S16_S17_S18_S1B_S1C_jS1D_jS1E_S1E_jjS1G_bEUljE0_EEESZ_S10_S11_S18_S1C_S1E_T6_T7_T9_mT8_S1G_bDpT10_ENKUlT_T0_E_clISt17integral_constantIbLb0EES1U_EEDaS1P_S1Q_EUlS1P_E_NS1_11comp_targetILNS1_3genE10ELNS1_11target_archE1200ELNS1_3gpuE4ELNS1_3repE0EEENS1_30default_config_static_selectorELNS0_4arch9wavefront6targetE1EEEvS12_
    .private_segment_fixed_size: 0
    .sgpr_count:     4
    .sgpr_spill_count: 0
    .symbol:         _ZN7rocprim17ROCPRIM_400000_NS6detail17trampoline_kernelINS0_13select_configILj256ELj13ELNS0_17block_load_methodE3ELS4_3ELS4_3ELNS0_20block_scan_algorithmE0ELj4294967295EEENS1_25partition_config_selectorILNS1_17partition_subalgoE4EjNS0_10empty_typeEbEEZZNS1_14partition_implILS8_4ELb0ES6_15HIP_vector_typeIjLj2EENS0_17counting_iteratorIjlEEPS9_SG_NS0_5tupleIJPjSI_NS0_16reverse_iteratorISI_EEEEENSH_IJSG_SG_SG_EEES9_SI_JZNS1_25segmented_radix_sort_implINS0_14default_configELb1EPKhPhPKlPlN2at6native12_GLOBAL__N_18offset_tEEE10hipError_tPvRmT1_PNSt15iterator_traitsIS12_E10value_typeET2_T3_PNS13_IS18_E10value_typeET4_jRbjT5_S1E_jjP12ihipStream_tbEUljE_ZNSN_ISO_Lb1ESQ_SR_ST_SU_SY_EESZ_S10_S11_S12_S16_S17_S18_S1B_S1C_jS1D_jS1E_S1E_jjS1G_bEUljE0_EEESZ_S10_S11_S18_S1C_S1E_T6_T7_T9_mT8_S1G_bDpT10_ENKUlT_T0_E_clISt17integral_constantIbLb0EES1U_EEDaS1P_S1Q_EUlS1P_E_NS1_11comp_targetILNS1_3genE10ELNS1_11target_archE1200ELNS1_3gpuE4ELNS1_3repE0EEENS1_30default_config_static_selectorELNS0_4arch9wavefront6targetE1EEEvS12_.kd
    .uniform_work_group_size: 1
    .uses_dynamic_stack: false
    .vgpr_count:     0
    .vgpr_spill_count: 0
    .wavefront_size: 64
  - .args:
      - .offset:         0
        .size:           176
        .value_kind:     by_value
    .group_segment_fixed_size: 0
    .kernarg_segment_align: 8
    .kernarg_segment_size: 176
    .language:       OpenCL C
    .language_version:
      - 2
      - 0
    .max_flat_workgroup_size: 256
    .name:           _ZN7rocprim17ROCPRIM_400000_NS6detail17trampoline_kernelINS0_13select_configILj256ELj13ELNS0_17block_load_methodE3ELS4_3ELS4_3ELNS0_20block_scan_algorithmE0ELj4294967295EEENS1_25partition_config_selectorILNS1_17partition_subalgoE4EjNS0_10empty_typeEbEEZZNS1_14partition_implILS8_4ELb0ES6_15HIP_vector_typeIjLj2EENS0_17counting_iteratorIjlEEPS9_SG_NS0_5tupleIJPjSI_NS0_16reverse_iteratorISI_EEEEENSH_IJSG_SG_SG_EEES9_SI_JZNS1_25segmented_radix_sort_implINS0_14default_configELb1EPKhPhPKlPlN2at6native12_GLOBAL__N_18offset_tEEE10hipError_tPvRmT1_PNSt15iterator_traitsIS12_E10value_typeET2_T3_PNS13_IS18_E10value_typeET4_jRbjT5_S1E_jjP12ihipStream_tbEUljE_ZNSN_ISO_Lb1ESQ_SR_ST_SU_SY_EESZ_S10_S11_S12_S16_S17_S18_S1B_S1C_jS1D_jS1E_S1E_jjS1G_bEUljE0_EEESZ_S10_S11_S18_S1C_S1E_T6_T7_T9_mT8_S1G_bDpT10_ENKUlT_T0_E_clISt17integral_constantIbLb0EES1U_EEDaS1P_S1Q_EUlS1P_E_NS1_11comp_targetILNS1_3genE9ELNS1_11target_archE1100ELNS1_3gpuE3ELNS1_3repE0EEENS1_30default_config_static_selectorELNS0_4arch9wavefront6targetE1EEEvS12_
    .private_segment_fixed_size: 0
    .sgpr_count:     4
    .sgpr_spill_count: 0
    .symbol:         _ZN7rocprim17ROCPRIM_400000_NS6detail17trampoline_kernelINS0_13select_configILj256ELj13ELNS0_17block_load_methodE3ELS4_3ELS4_3ELNS0_20block_scan_algorithmE0ELj4294967295EEENS1_25partition_config_selectorILNS1_17partition_subalgoE4EjNS0_10empty_typeEbEEZZNS1_14partition_implILS8_4ELb0ES6_15HIP_vector_typeIjLj2EENS0_17counting_iteratorIjlEEPS9_SG_NS0_5tupleIJPjSI_NS0_16reverse_iteratorISI_EEEEENSH_IJSG_SG_SG_EEES9_SI_JZNS1_25segmented_radix_sort_implINS0_14default_configELb1EPKhPhPKlPlN2at6native12_GLOBAL__N_18offset_tEEE10hipError_tPvRmT1_PNSt15iterator_traitsIS12_E10value_typeET2_T3_PNS13_IS18_E10value_typeET4_jRbjT5_S1E_jjP12ihipStream_tbEUljE_ZNSN_ISO_Lb1ESQ_SR_ST_SU_SY_EESZ_S10_S11_S12_S16_S17_S18_S1B_S1C_jS1D_jS1E_S1E_jjS1G_bEUljE0_EEESZ_S10_S11_S18_S1C_S1E_T6_T7_T9_mT8_S1G_bDpT10_ENKUlT_T0_E_clISt17integral_constantIbLb0EES1U_EEDaS1P_S1Q_EUlS1P_E_NS1_11comp_targetILNS1_3genE9ELNS1_11target_archE1100ELNS1_3gpuE3ELNS1_3repE0EEENS1_30default_config_static_selectorELNS0_4arch9wavefront6targetE1EEEvS12_.kd
    .uniform_work_group_size: 1
    .uses_dynamic_stack: false
    .vgpr_count:     0
    .vgpr_spill_count: 0
    .wavefront_size: 64
  - .args:
      - .offset:         0
        .size:           176
        .value_kind:     by_value
    .group_segment_fixed_size: 0
    .kernarg_segment_align: 8
    .kernarg_segment_size: 176
    .language:       OpenCL C
    .language_version:
      - 2
      - 0
    .max_flat_workgroup_size: 256
    .name:           _ZN7rocprim17ROCPRIM_400000_NS6detail17trampoline_kernelINS0_13select_configILj256ELj13ELNS0_17block_load_methodE3ELS4_3ELS4_3ELNS0_20block_scan_algorithmE0ELj4294967295EEENS1_25partition_config_selectorILNS1_17partition_subalgoE4EjNS0_10empty_typeEbEEZZNS1_14partition_implILS8_4ELb0ES6_15HIP_vector_typeIjLj2EENS0_17counting_iteratorIjlEEPS9_SG_NS0_5tupleIJPjSI_NS0_16reverse_iteratorISI_EEEEENSH_IJSG_SG_SG_EEES9_SI_JZNS1_25segmented_radix_sort_implINS0_14default_configELb1EPKhPhPKlPlN2at6native12_GLOBAL__N_18offset_tEEE10hipError_tPvRmT1_PNSt15iterator_traitsIS12_E10value_typeET2_T3_PNS13_IS18_E10value_typeET4_jRbjT5_S1E_jjP12ihipStream_tbEUljE_ZNSN_ISO_Lb1ESQ_SR_ST_SU_SY_EESZ_S10_S11_S12_S16_S17_S18_S1B_S1C_jS1D_jS1E_S1E_jjS1G_bEUljE0_EEESZ_S10_S11_S18_S1C_S1E_T6_T7_T9_mT8_S1G_bDpT10_ENKUlT_T0_E_clISt17integral_constantIbLb0EES1U_EEDaS1P_S1Q_EUlS1P_E_NS1_11comp_targetILNS1_3genE8ELNS1_11target_archE1030ELNS1_3gpuE2ELNS1_3repE0EEENS1_30default_config_static_selectorELNS0_4arch9wavefront6targetE1EEEvS12_
    .private_segment_fixed_size: 0
    .sgpr_count:     4
    .sgpr_spill_count: 0
    .symbol:         _ZN7rocprim17ROCPRIM_400000_NS6detail17trampoline_kernelINS0_13select_configILj256ELj13ELNS0_17block_load_methodE3ELS4_3ELS4_3ELNS0_20block_scan_algorithmE0ELj4294967295EEENS1_25partition_config_selectorILNS1_17partition_subalgoE4EjNS0_10empty_typeEbEEZZNS1_14partition_implILS8_4ELb0ES6_15HIP_vector_typeIjLj2EENS0_17counting_iteratorIjlEEPS9_SG_NS0_5tupleIJPjSI_NS0_16reverse_iteratorISI_EEEEENSH_IJSG_SG_SG_EEES9_SI_JZNS1_25segmented_radix_sort_implINS0_14default_configELb1EPKhPhPKlPlN2at6native12_GLOBAL__N_18offset_tEEE10hipError_tPvRmT1_PNSt15iterator_traitsIS12_E10value_typeET2_T3_PNS13_IS18_E10value_typeET4_jRbjT5_S1E_jjP12ihipStream_tbEUljE_ZNSN_ISO_Lb1ESQ_SR_ST_SU_SY_EESZ_S10_S11_S12_S16_S17_S18_S1B_S1C_jS1D_jS1E_S1E_jjS1G_bEUljE0_EEESZ_S10_S11_S18_S1C_S1E_T6_T7_T9_mT8_S1G_bDpT10_ENKUlT_T0_E_clISt17integral_constantIbLb0EES1U_EEDaS1P_S1Q_EUlS1P_E_NS1_11comp_targetILNS1_3genE8ELNS1_11target_archE1030ELNS1_3gpuE2ELNS1_3repE0EEENS1_30default_config_static_selectorELNS0_4arch9wavefront6targetE1EEEvS12_.kd
    .uniform_work_group_size: 1
    .uses_dynamic_stack: false
    .vgpr_count:     0
    .vgpr_spill_count: 0
    .wavefront_size: 64
  - .args:
      - .offset:         0
        .size:           40
        .value_kind:     by_value
    .group_segment_fixed_size: 0
    .kernarg_segment_align: 8
    .kernarg_segment_size: 40
    .language:       OpenCL C
    .language_version:
      - 2
      - 0
    .max_flat_workgroup_size: 128
    .name:           _ZN7rocprim17ROCPRIM_400000_NS6detail17trampoline_kernelINS0_14default_configENS1_25transform_config_selectorImLb1EEEZNS1_14transform_implILb1ES3_S5_PmPjNS0_8identityIvEEEE10hipError_tT2_T3_mT4_P12ihipStream_tbEUlT_E_NS1_11comp_targetILNS1_3genE0ELNS1_11target_archE4294967295ELNS1_3gpuE0ELNS1_3repE0EEENS1_30default_config_static_selectorELNS0_4arch9wavefront6targetE1EEEvT1_
    .private_segment_fixed_size: 0
    .sgpr_count:     4
    .sgpr_spill_count: 0
    .symbol:         _ZN7rocprim17ROCPRIM_400000_NS6detail17trampoline_kernelINS0_14default_configENS1_25transform_config_selectorImLb1EEEZNS1_14transform_implILb1ES3_S5_PmPjNS0_8identityIvEEEE10hipError_tT2_T3_mT4_P12ihipStream_tbEUlT_E_NS1_11comp_targetILNS1_3genE0ELNS1_11target_archE4294967295ELNS1_3gpuE0ELNS1_3repE0EEENS1_30default_config_static_selectorELNS0_4arch9wavefront6targetE1EEEvT1_.kd
    .uniform_work_group_size: 1
    .uses_dynamic_stack: false
    .vgpr_count:     0
    .vgpr_spill_count: 0
    .wavefront_size: 64
  - .args:
      - .offset:         0
        .size:           40
        .value_kind:     by_value
    .group_segment_fixed_size: 0
    .kernarg_segment_align: 8
    .kernarg_segment_size: 40
    .language:       OpenCL C
    .language_version:
      - 2
      - 0
    .max_flat_workgroup_size: 1024
    .name:           _ZN7rocprim17ROCPRIM_400000_NS6detail17trampoline_kernelINS0_14default_configENS1_25transform_config_selectorImLb1EEEZNS1_14transform_implILb1ES3_S5_PmPjNS0_8identityIvEEEE10hipError_tT2_T3_mT4_P12ihipStream_tbEUlT_E_NS1_11comp_targetILNS1_3genE10ELNS1_11target_archE1201ELNS1_3gpuE5ELNS1_3repE0EEENS1_30default_config_static_selectorELNS0_4arch9wavefront6targetE1EEEvT1_
    .private_segment_fixed_size: 0
    .sgpr_count:     4
    .sgpr_spill_count: 0
    .symbol:         _ZN7rocprim17ROCPRIM_400000_NS6detail17trampoline_kernelINS0_14default_configENS1_25transform_config_selectorImLb1EEEZNS1_14transform_implILb1ES3_S5_PmPjNS0_8identityIvEEEE10hipError_tT2_T3_mT4_P12ihipStream_tbEUlT_E_NS1_11comp_targetILNS1_3genE10ELNS1_11target_archE1201ELNS1_3gpuE5ELNS1_3repE0EEENS1_30default_config_static_selectorELNS0_4arch9wavefront6targetE1EEEvT1_.kd
    .uniform_work_group_size: 1
    .uses_dynamic_stack: false
    .vgpr_count:     0
    .vgpr_spill_count: 0
    .wavefront_size: 64
  - .args:
      - .offset:         0
        .size:           40
        .value_kind:     by_value
    .group_segment_fixed_size: 0
    .kernarg_segment_align: 8
    .kernarg_segment_size: 40
    .language:       OpenCL C
    .language_version:
      - 2
      - 0
    .max_flat_workgroup_size: 512
    .name:           _ZN7rocprim17ROCPRIM_400000_NS6detail17trampoline_kernelINS0_14default_configENS1_25transform_config_selectorImLb1EEEZNS1_14transform_implILb1ES3_S5_PmPjNS0_8identityIvEEEE10hipError_tT2_T3_mT4_P12ihipStream_tbEUlT_E_NS1_11comp_targetILNS1_3genE5ELNS1_11target_archE942ELNS1_3gpuE9ELNS1_3repE0EEENS1_30default_config_static_selectorELNS0_4arch9wavefront6targetE1EEEvT1_
    .private_segment_fixed_size: 0
    .sgpr_count:     4
    .sgpr_spill_count: 0
    .symbol:         _ZN7rocprim17ROCPRIM_400000_NS6detail17trampoline_kernelINS0_14default_configENS1_25transform_config_selectorImLb1EEEZNS1_14transform_implILb1ES3_S5_PmPjNS0_8identityIvEEEE10hipError_tT2_T3_mT4_P12ihipStream_tbEUlT_E_NS1_11comp_targetILNS1_3genE5ELNS1_11target_archE942ELNS1_3gpuE9ELNS1_3repE0EEENS1_30default_config_static_selectorELNS0_4arch9wavefront6targetE1EEEvT1_.kd
    .uniform_work_group_size: 1
    .uses_dynamic_stack: false
    .vgpr_count:     0
    .vgpr_spill_count: 0
    .wavefront_size: 64
  - .args:
      - .offset:         0
        .size:           40
        .value_kind:     by_value
    .group_segment_fixed_size: 0
    .kernarg_segment_align: 8
    .kernarg_segment_size: 40
    .language:       OpenCL C
    .language_version:
      - 2
      - 0
    .max_flat_workgroup_size: 1024
    .name:           _ZN7rocprim17ROCPRIM_400000_NS6detail17trampoline_kernelINS0_14default_configENS1_25transform_config_selectorImLb1EEEZNS1_14transform_implILb1ES3_S5_PmPjNS0_8identityIvEEEE10hipError_tT2_T3_mT4_P12ihipStream_tbEUlT_E_NS1_11comp_targetILNS1_3genE4ELNS1_11target_archE910ELNS1_3gpuE8ELNS1_3repE0EEENS1_30default_config_static_selectorELNS0_4arch9wavefront6targetE1EEEvT1_
    .private_segment_fixed_size: 0
    .sgpr_count:     4
    .sgpr_spill_count: 0
    .symbol:         _ZN7rocprim17ROCPRIM_400000_NS6detail17trampoline_kernelINS0_14default_configENS1_25transform_config_selectorImLb1EEEZNS1_14transform_implILb1ES3_S5_PmPjNS0_8identityIvEEEE10hipError_tT2_T3_mT4_P12ihipStream_tbEUlT_E_NS1_11comp_targetILNS1_3genE4ELNS1_11target_archE910ELNS1_3gpuE8ELNS1_3repE0EEENS1_30default_config_static_selectorELNS0_4arch9wavefront6targetE1EEEvT1_.kd
    .uniform_work_group_size: 1
    .uses_dynamic_stack: false
    .vgpr_count:     0
    .vgpr_spill_count: 0
    .wavefront_size: 64
  - .args:
      - .offset:         0
        .size:           40
        .value_kind:     by_value
    .group_segment_fixed_size: 0
    .kernarg_segment_align: 8
    .kernarg_segment_size: 40
    .language:       OpenCL C
    .language_version:
      - 2
      - 0
    .max_flat_workgroup_size: 128
    .name:           _ZN7rocprim17ROCPRIM_400000_NS6detail17trampoline_kernelINS0_14default_configENS1_25transform_config_selectorImLb1EEEZNS1_14transform_implILb1ES3_S5_PmPjNS0_8identityIvEEEE10hipError_tT2_T3_mT4_P12ihipStream_tbEUlT_E_NS1_11comp_targetILNS1_3genE3ELNS1_11target_archE908ELNS1_3gpuE7ELNS1_3repE0EEENS1_30default_config_static_selectorELNS0_4arch9wavefront6targetE1EEEvT1_
    .private_segment_fixed_size: 0
    .sgpr_count:     4
    .sgpr_spill_count: 0
    .symbol:         _ZN7rocprim17ROCPRIM_400000_NS6detail17trampoline_kernelINS0_14default_configENS1_25transform_config_selectorImLb1EEEZNS1_14transform_implILb1ES3_S5_PmPjNS0_8identityIvEEEE10hipError_tT2_T3_mT4_P12ihipStream_tbEUlT_E_NS1_11comp_targetILNS1_3genE3ELNS1_11target_archE908ELNS1_3gpuE7ELNS1_3repE0EEENS1_30default_config_static_selectorELNS0_4arch9wavefront6targetE1EEEvT1_.kd
    .uniform_work_group_size: 1
    .uses_dynamic_stack: false
    .vgpr_count:     0
    .vgpr_spill_count: 0
    .wavefront_size: 64
  - .args:
      - .offset:         0
        .size:           40
        .value_kind:     by_value
      - .offset:         40
        .size:           4
        .value_kind:     hidden_block_count_x
      - .offset:         44
        .size:           4
        .value_kind:     hidden_block_count_y
      - .offset:         48
        .size:           4
        .value_kind:     hidden_block_count_z
      - .offset:         52
        .size:           2
        .value_kind:     hidden_group_size_x
      - .offset:         54
        .size:           2
        .value_kind:     hidden_group_size_y
      - .offset:         56
        .size:           2
        .value_kind:     hidden_group_size_z
      - .offset:         58
        .size:           2
        .value_kind:     hidden_remainder_x
      - .offset:         60
        .size:           2
        .value_kind:     hidden_remainder_y
      - .offset:         62
        .size:           2
        .value_kind:     hidden_remainder_z
      - .offset:         80
        .size:           8
        .value_kind:     hidden_global_offset_x
      - .offset:         88
        .size:           8
        .value_kind:     hidden_global_offset_y
      - .offset:         96
        .size:           8
        .value_kind:     hidden_global_offset_z
      - .offset:         104
        .size:           2
        .value_kind:     hidden_grid_dims
    .group_segment_fixed_size: 0
    .kernarg_segment_align: 8
    .kernarg_segment_size: 296
    .language:       OpenCL C
    .language_version:
      - 2
      - 0
    .max_flat_workgroup_size: 512
    .name:           _ZN7rocprim17ROCPRIM_400000_NS6detail17trampoline_kernelINS0_14default_configENS1_25transform_config_selectorImLb1EEEZNS1_14transform_implILb1ES3_S5_PmPjNS0_8identityIvEEEE10hipError_tT2_T3_mT4_P12ihipStream_tbEUlT_E_NS1_11comp_targetILNS1_3genE2ELNS1_11target_archE906ELNS1_3gpuE6ELNS1_3repE0EEENS1_30default_config_static_selectorELNS0_4arch9wavefront6targetE1EEEvT1_
    .private_segment_fixed_size: 0
    .sgpr_count:     16
    .sgpr_spill_count: 0
    .symbol:         _ZN7rocprim17ROCPRIM_400000_NS6detail17trampoline_kernelINS0_14default_configENS1_25transform_config_selectorImLb1EEEZNS1_14transform_implILb1ES3_S5_PmPjNS0_8identityIvEEEE10hipError_tT2_T3_mT4_P12ihipStream_tbEUlT_E_NS1_11comp_targetILNS1_3genE2ELNS1_11target_archE906ELNS1_3gpuE6ELNS1_3repE0EEENS1_30default_config_static_selectorELNS0_4arch9wavefront6targetE1EEEvT1_.kd
    .uniform_work_group_size: 1
    .uses_dynamic_stack: false
    .vgpr_count:     2
    .vgpr_spill_count: 0
    .wavefront_size: 64
  - .args:
      - .offset:         0
        .size:           40
        .value_kind:     by_value
    .group_segment_fixed_size: 0
    .kernarg_segment_align: 8
    .kernarg_segment_size: 40
    .language:       OpenCL C
    .language_version:
      - 2
      - 0
    .max_flat_workgroup_size: 1024
    .name:           _ZN7rocprim17ROCPRIM_400000_NS6detail17trampoline_kernelINS0_14default_configENS1_25transform_config_selectorImLb1EEEZNS1_14transform_implILb1ES3_S5_PmPjNS0_8identityIvEEEE10hipError_tT2_T3_mT4_P12ihipStream_tbEUlT_E_NS1_11comp_targetILNS1_3genE9ELNS1_11target_archE1100ELNS1_3gpuE3ELNS1_3repE0EEENS1_30default_config_static_selectorELNS0_4arch9wavefront6targetE1EEEvT1_
    .private_segment_fixed_size: 0
    .sgpr_count:     4
    .sgpr_spill_count: 0
    .symbol:         _ZN7rocprim17ROCPRIM_400000_NS6detail17trampoline_kernelINS0_14default_configENS1_25transform_config_selectorImLb1EEEZNS1_14transform_implILb1ES3_S5_PmPjNS0_8identityIvEEEE10hipError_tT2_T3_mT4_P12ihipStream_tbEUlT_E_NS1_11comp_targetILNS1_3genE9ELNS1_11target_archE1100ELNS1_3gpuE3ELNS1_3repE0EEENS1_30default_config_static_selectorELNS0_4arch9wavefront6targetE1EEEvT1_.kd
    .uniform_work_group_size: 1
    .uses_dynamic_stack: false
    .vgpr_count:     0
    .vgpr_spill_count: 0
    .wavefront_size: 64
  - .args:
      - .offset:         0
        .size:           40
        .value_kind:     by_value
    .group_segment_fixed_size: 0
    .kernarg_segment_align: 8
    .kernarg_segment_size: 40
    .language:       OpenCL C
    .language_version:
      - 2
      - 0
    .max_flat_workgroup_size: 1024
    .name:           _ZN7rocprim17ROCPRIM_400000_NS6detail17trampoline_kernelINS0_14default_configENS1_25transform_config_selectorImLb1EEEZNS1_14transform_implILb1ES3_S5_PmPjNS0_8identityIvEEEE10hipError_tT2_T3_mT4_P12ihipStream_tbEUlT_E_NS1_11comp_targetILNS1_3genE8ELNS1_11target_archE1030ELNS1_3gpuE2ELNS1_3repE0EEENS1_30default_config_static_selectorELNS0_4arch9wavefront6targetE1EEEvT1_
    .private_segment_fixed_size: 0
    .sgpr_count:     4
    .sgpr_spill_count: 0
    .symbol:         _ZN7rocprim17ROCPRIM_400000_NS6detail17trampoline_kernelINS0_14default_configENS1_25transform_config_selectorImLb1EEEZNS1_14transform_implILb1ES3_S5_PmPjNS0_8identityIvEEEE10hipError_tT2_T3_mT4_P12ihipStream_tbEUlT_E_NS1_11comp_targetILNS1_3genE8ELNS1_11target_archE1030ELNS1_3gpuE2ELNS1_3repE0EEENS1_30default_config_static_selectorELNS0_4arch9wavefront6targetE1EEEvT1_.kd
    .uniform_work_group_size: 1
    .uses_dynamic_stack: false
    .vgpr_count:     0
    .vgpr_spill_count: 0
    .wavefront_size: 64
  - .args:
      - .address_space:  global
        .offset:         0
        .size:           8
        .value_kind:     global_buffer
      - .offset:         8
        .size:           4
        .value_kind:     by_value
      - .address_space:  global
        .offset:         16
        .size:           8
        .value_kind:     global_buffer
      - .offset:         24
        .size:           4
        .value_kind:     by_value
      - .address_space:  global
        .offset:         32
        .size:           8
        .value_kind:     global_buffer
      - .offset:         40
        .size:           4
        .value_kind:     hidden_block_count_x
      - .offset:         44
        .size:           4
        .value_kind:     hidden_block_count_y
      - .offset:         48
        .size:           4
        .value_kind:     hidden_block_count_z
      - .offset:         52
        .size:           2
        .value_kind:     hidden_group_size_x
      - .offset:         54
        .size:           2
        .value_kind:     hidden_group_size_y
      - .offset:         56
        .size:           2
        .value_kind:     hidden_group_size_z
      - .offset:         58
        .size:           2
        .value_kind:     hidden_remainder_x
      - .offset:         60
        .size:           2
        .value_kind:     hidden_remainder_y
      - .offset:         62
        .size:           2
        .value_kind:     hidden_remainder_z
      - .offset:         80
        .size:           8
        .value_kind:     hidden_global_offset_x
      - .offset:         88
        .size:           8
        .value_kind:     hidden_global_offset_y
      - .offset:         96
        .size:           8
        .value_kind:     hidden_global_offset_z
      - .offset:         104
        .size:           2
        .value_kind:     hidden_grid_dims
    .group_segment_fixed_size: 0
    .kernarg_segment_align: 8
    .kernarg_segment_size: 296
    .language:       OpenCL C
    .language_version:
      - 2
      - 0
    .max_flat_workgroup_size: 256
    .name:           _ZN7rocprim17ROCPRIM_400000_NS6detail31init_lookback_scan_state_kernelINS1_19lookback_scan_stateI15HIP_vector_typeIjLj2EELb1ELb1EEENS1_16block_id_wrapperIjLb1EEEEEvT_jT0_jPNS9_10value_typeE
    .private_segment_fixed_size: 0
    .sgpr_count:     20
    .sgpr_spill_count: 0
    .symbol:         _ZN7rocprim17ROCPRIM_400000_NS6detail31init_lookback_scan_state_kernelINS1_19lookback_scan_stateI15HIP_vector_typeIjLj2EELb1ELb1EEENS1_16block_id_wrapperIjLb1EEEEEvT_jT0_jPNS9_10value_typeE.kd
    .uniform_work_group_size: 1
    .uses_dynamic_stack: false
    .vgpr_count:     8
    .vgpr_spill_count: 0
    .wavefront_size: 64
  - .args:
      - .offset:         0
        .size:           184
        .value_kind:     by_value
    .group_segment_fixed_size: 0
    .kernarg_segment_align: 8
    .kernarg_segment_size: 184
    .language:       OpenCL C
    .language_version:
      - 2
      - 0
    .max_flat_workgroup_size: 256
    .name:           _ZN7rocprim17ROCPRIM_400000_NS6detail17trampoline_kernelINS0_13select_configILj256ELj13ELNS0_17block_load_methodE3ELS4_3ELS4_3ELNS0_20block_scan_algorithmE0ELj4294967295EEENS1_25partition_config_selectorILNS1_17partition_subalgoE4EjNS0_10empty_typeEbEEZZNS1_14partition_implILS8_4ELb0ES6_15HIP_vector_typeIjLj2EENS0_17counting_iteratorIjlEEPS9_SG_NS0_5tupleIJPjSI_NS0_16reverse_iteratorISI_EEEEENSH_IJSG_SG_SG_EEES9_SI_JZNS1_25segmented_radix_sort_implINS0_14default_configELb1EPKhPhPKlPlN2at6native12_GLOBAL__N_18offset_tEEE10hipError_tPvRmT1_PNSt15iterator_traitsIS12_E10value_typeET2_T3_PNS13_IS18_E10value_typeET4_jRbjT5_S1E_jjP12ihipStream_tbEUljE_ZNSN_ISO_Lb1ESQ_SR_ST_SU_SY_EESZ_S10_S11_S12_S16_S17_S18_S1B_S1C_jS1D_jS1E_S1E_jjS1G_bEUljE0_EEESZ_S10_S11_S18_S1C_S1E_T6_T7_T9_mT8_S1G_bDpT10_ENKUlT_T0_E_clISt17integral_constantIbLb1EES1U_EEDaS1P_S1Q_EUlS1P_E_NS1_11comp_targetILNS1_3genE0ELNS1_11target_archE4294967295ELNS1_3gpuE0ELNS1_3repE0EEENS1_30default_config_static_selectorELNS0_4arch9wavefront6targetE1EEEvS12_
    .private_segment_fixed_size: 0
    .sgpr_count:     4
    .sgpr_spill_count: 0
    .symbol:         _ZN7rocprim17ROCPRIM_400000_NS6detail17trampoline_kernelINS0_13select_configILj256ELj13ELNS0_17block_load_methodE3ELS4_3ELS4_3ELNS0_20block_scan_algorithmE0ELj4294967295EEENS1_25partition_config_selectorILNS1_17partition_subalgoE4EjNS0_10empty_typeEbEEZZNS1_14partition_implILS8_4ELb0ES6_15HIP_vector_typeIjLj2EENS0_17counting_iteratorIjlEEPS9_SG_NS0_5tupleIJPjSI_NS0_16reverse_iteratorISI_EEEEENSH_IJSG_SG_SG_EEES9_SI_JZNS1_25segmented_radix_sort_implINS0_14default_configELb1EPKhPhPKlPlN2at6native12_GLOBAL__N_18offset_tEEE10hipError_tPvRmT1_PNSt15iterator_traitsIS12_E10value_typeET2_T3_PNS13_IS18_E10value_typeET4_jRbjT5_S1E_jjP12ihipStream_tbEUljE_ZNSN_ISO_Lb1ESQ_SR_ST_SU_SY_EESZ_S10_S11_S12_S16_S17_S18_S1B_S1C_jS1D_jS1E_S1E_jjS1G_bEUljE0_EEESZ_S10_S11_S18_S1C_S1E_T6_T7_T9_mT8_S1G_bDpT10_ENKUlT_T0_E_clISt17integral_constantIbLb1EES1U_EEDaS1P_S1Q_EUlS1P_E_NS1_11comp_targetILNS1_3genE0ELNS1_11target_archE4294967295ELNS1_3gpuE0ELNS1_3repE0EEENS1_30default_config_static_selectorELNS0_4arch9wavefront6targetE1EEEvS12_.kd
    .uniform_work_group_size: 1
    .uses_dynamic_stack: false
    .vgpr_count:     0
    .vgpr_spill_count: 0
    .wavefront_size: 64
  - .args:
      - .offset:         0
        .size:           184
        .value_kind:     by_value
    .group_segment_fixed_size: 0
    .kernarg_segment_align: 8
    .kernarg_segment_size: 184
    .language:       OpenCL C
    .language_version:
      - 2
      - 0
    .max_flat_workgroup_size: 256
    .name:           _ZN7rocprim17ROCPRIM_400000_NS6detail17trampoline_kernelINS0_13select_configILj256ELj13ELNS0_17block_load_methodE3ELS4_3ELS4_3ELNS0_20block_scan_algorithmE0ELj4294967295EEENS1_25partition_config_selectorILNS1_17partition_subalgoE4EjNS0_10empty_typeEbEEZZNS1_14partition_implILS8_4ELb0ES6_15HIP_vector_typeIjLj2EENS0_17counting_iteratorIjlEEPS9_SG_NS0_5tupleIJPjSI_NS0_16reverse_iteratorISI_EEEEENSH_IJSG_SG_SG_EEES9_SI_JZNS1_25segmented_radix_sort_implINS0_14default_configELb1EPKhPhPKlPlN2at6native12_GLOBAL__N_18offset_tEEE10hipError_tPvRmT1_PNSt15iterator_traitsIS12_E10value_typeET2_T3_PNS13_IS18_E10value_typeET4_jRbjT5_S1E_jjP12ihipStream_tbEUljE_ZNSN_ISO_Lb1ESQ_SR_ST_SU_SY_EESZ_S10_S11_S12_S16_S17_S18_S1B_S1C_jS1D_jS1E_S1E_jjS1G_bEUljE0_EEESZ_S10_S11_S18_S1C_S1E_T6_T7_T9_mT8_S1G_bDpT10_ENKUlT_T0_E_clISt17integral_constantIbLb1EES1U_EEDaS1P_S1Q_EUlS1P_E_NS1_11comp_targetILNS1_3genE5ELNS1_11target_archE942ELNS1_3gpuE9ELNS1_3repE0EEENS1_30default_config_static_selectorELNS0_4arch9wavefront6targetE1EEEvS12_
    .private_segment_fixed_size: 0
    .sgpr_count:     4
    .sgpr_spill_count: 0
    .symbol:         _ZN7rocprim17ROCPRIM_400000_NS6detail17trampoline_kernelINS0_13select_configILj256ELj13ELNS0_17block_load_methodE3ELS4_3ELS4_3ELNS0_20block_scan_algorithmE0ELj4294967295EEENS1_25partition_config_selectorILNS1_17partition_subalgoE4EjNS0_10empty_typeEbEEZZNS1_14partition_implILS8_4ELb0ES6_15HIP_vector_typeIjLj2EENS0_17counting_iteratorIjlEEPS9_SG_NS0_5tupleIJPjSI_NS0_16reverse_iteratorISI_EEEEENSH_IJSG_SG_SG_EEES9_SI_JZNS1_25segmented_radix_sort_implINS0_14default_configELb1EPKhPhPKlPlN2at6native12_GLOBAL__N_18offset_tEEE10hipError_tPvRmT1_PNSt15iterator_traitsIS12_E10value_typeET2_T3_PNS13_IS18_E10value_typeET4_jRbjT5_S1E_jjP12ihipStream_tbEUljE_ZNSN_ISO_Lb1ESQ_SR_ST_SU_SY_EESZ_S10_S11_S12_S16_S17_S18_S1B_S1C_jS1D_jS1E_S1E_jjS1G_bEUljE0_EEESZ_S10_S11_S18_S1C_S1E_T6_T7_T9_mT8_S1G_bDpT10_ENKUlT_T0_E_clISt17integral_constantIbLb1EES1U_EEDaS1P_S1Q_EUlS1P_E_NS1_11comp_targetILNS1_3genE5ELNS1_11target_archE942ELNS1_3gpuE9ELNS1_3repE0EEENS1_30default_config_static_selectorELNS0_4arch9wavefront6targetE1EEEvS12_.kd
    .uniform_work_group_size: 1
    .uses_dynamic_stack: false
    .vgpr_count:     0
    .vgpr_spill_count: 0
    .wavefront_size: 64
  - .args:
      - .offset:         0
        .size:           184
        .value_kind:     by_value
    .group_segment_fixed_size: 0
    .kernarg_segment_align: 8
    .kernarg_segment_size: 184
    .language:       OpenCL C
    .language_version:
      - 2
      - 0
    .max_flat_workgroup_size: 256
    .name:           _ZN7rocprim17ROCPRIM_400000_NS6detail17trampoline_kernelINS0_13select_configILj256ELj13ELNS0_17block_load_methodE3ELS4_3ELS4_3ELNS0_20block_scan_algorithmE0ELj4294967295EEENS1_25partition_config_selectorILNS1_17partition_subalgoE4EjNS0_10empty_typeEbEEZZNS1_14partition_implILS8_4ELb0ES6_15HIP_vector_typeIjLj2EENS0_17counting_iteratorIjlEEPS9_SG_NS0_5tupleIJPjSI_NS0_16reverse_iteratorISI_EEEEENSH_IJSG_SG_SG_EEES9_SI_JZNS1_25segmented_radix_sort_implINS0_14default_configELb1EPKhPhPKlPlN2at6native12_GLOBAL__N_18offset_tEEE10hipError_tPvRmT1_PNSt15iterator_traitsIS12_E10value_typeET2_T3_PNS13_IS18_E10value_typeET4_jRbjT5_S1E_jjP12ihipStream_tbEUljE_ZNSN_ISO_Lb1ESQ_SR_ST_SU_SY_EESZ_S10_S11_S12_S16_S17_S18_S1B_S1C_jS1D_jS1E_S1E_jjS1G_bEUljE0_EEESZ_S10_S11_S18_S1C_S1E_T6_T7_T9_mT8_S1G_bDpT10_ENKUlT_T0_E_clISt17integral_constantIbLb1EES1U_EEDaS1P_S1Q_EUlS1P_E_NS1_11comp_targetILNS1_3genE4ELNS1_11target_archE910ELNS1_3gpuE8ELNS1_3repE0EEENS1_30default_config_static_selectorELNS0_4arch9wavefront6targetE1EEEvS12_
    .private_segment_fixed_size: 0
    .sgpr_count:     4
    .sgpr_spill_count: 0
    .symbol:         _ZN7rocprim17ROCPRIM_400000_NS6detail17trampoline_kernelINS0_13select_configILj256ELj13ELNS0_17block_load_methodE3ELS4_3ELS4_3ELNS0_20block_scan_algorithmE0ELj4294967295EEENS1_25partition_config_selectorILNS1_17partition_subalgoE4EjNS0_10empty_typeEbEEZZNS1_14partition_implILS8_4ELb0ES6_15HIP_vector_typeIjLj2EENS0_17counting_iteratorIjlEEPS9_SG_NS0_5tupleIJPjSI_NS0_16reverse_iteratorISI_EEEEENSH_IJSG_SG_SG_EEES9_SI_JZNS1_25segmented_radix_sort_implINS0_14default_configELb1EPKhPhPKlPlN2at6native12_GLOBAL__N_18offset_tEEE10hipError_tPvRmT1_PNSt15iterator_traitsIS12_E10value_typeET2_T3_PNS13_IS18_E10value_typeET4_jRbjT5_S1E_jjP12ihipStream_tbEUljE_ZNSN_ISO_Lb1ESQ_SR_ST_SU_SY_EESZ_S10_S11_S12_S16_S17_S18_S1B_S1C_jS1D_jS1E_S1E_jjS1G_bEUljE0_EEESZ_S10_S11_S18_S1C_S1E_T6_T7_T9_mT8_S1G_bDpT10_ENKUlT_T0_E_clISt17integral_constantIbLb1EES1U_EEDaS1P_S1Q_EUlS1P_E_NS1_11comp_targetILNS1_3genE4ELNS1_11target_archE910ELNS1_3gpuE8ELNS1_3repE0EEENS1_30default_config_static_selectorELNS0_4arch9wavefront6targetE1EEEvS12_.kd
    .uniform_work_group_size: 1
    .uses_dynamic_stack: false
    .vgpr_count:     0
    .vgpr_spill_count: 0
    .wavefront_size: 64
  - .args:
      - .offset:         0
        .size:           184
        .value_kind:     by_value
    .group_segment_fixed_size: 0
    .kernarg_segment_align: 8
    .kernarg_segment_size: 184
    .language:       OpenCL C
    .language_version:
      - 2
      - 0
    .max_flat_workgroup_size: 256
    .name:           _ZN7rocprim17ROCPRIM_400000_NS6detail17trampoline_kernelINS0_13select_configILj256ELj13ELNS0_17block_load_methodE3ELS4_3ELS4_3ELNS0_20block_scan_algorithmE0ELj4294967295EEENS1_25partition_config_selectorILNS1_17partition_subalgoE4EjNS0_10empty_typeEbEEZZNS1_14partition_implILS8_4ELb0ES6_15HIP_vector_typeIjLj2EENS0_17counting_iteratorIjlEEPS9_SG_NS0_5tupleIJPjSI_NS0_16reverse_iteratorISI_EEEEENSH_IJSG_SG_SG_EEES9_SI_JZNS1_25segmented_radix_sort_implINS0_14default_configELb1EPKhPhPKlPlN2at6native12_GLOBAL__N_18offset_tEEE10hipError_tPvRmT1_PNSt15iterator_traitsIS12_E10value_typeET2_T3_PNS13_IS18_E10value_typeET4_jRbjT5_S1E_jjP12ihipStream_tbEUljE_ZNSN_ISO_Lb1ESQ_SR_ST_SU_SY_EESZ_S10_S11_S12_S16_S17_S18_S1B_S1C_jS1D_jS1E_S1E_jjS1G_bEUljE0_EEESZ_S10_S11_S18_S1C_S1E_T6_T7_T9_mT8_S1G_bDpT10_ENKUlT_T0_E_clISt17integral_constantIbLb1EES1U_EEDaS1P_S1Q_EUlS1P_E_NS1_11comp_targetILNS1_3genE3ELNS1_11target_archE908ELNS1_3gpuE7ELNS1_3repE0EEENS1_30default_config_static_selectorELNS0_4arch9wavefront6targetE1EEEvS12_
    .private_segment_fixed_size: 0
    .sgpr_count:     4
    .sgpr_spill_count: 0
    .symbol:         _ZN7rocprim17ROCPRIM_400000_NS6detail17trampoline_kernelINS0_13select_configILj256ELj13ELNS0_17block_load_methodE3ELS4_3ELS4_3ELNS0_20block_scan_algorithmE0ELj4294967295EEENS1_25partition_config_selectorILNS1_17partition_subalgoE4EjNS0_10empty_typeEbEEZZNS1_14partition_implILS8_4ELb0ES6_15HIP_vector_typeIjLj2EENS0_17counting_iteratorIjlEEPS9_SG_NS0_5tupleIJPjSI_NS0_16reverse_iteratorISI_EEEEENSH_IJSG_SG_SG_EEES9_SI_JZNS1_25segmented_radix_sort_implINS0_14default_configELb1EPKhPhPKlPlN2at6native12_GLOBAL__N_18offset_tEEE10hipError_tPvRmT1_PNSt15iterator_traitsIS12_E10value_typeET2_T3_PNS13_IS18_E10value_typeET4_jRbjT5_S1E_jjP12ihipStream_tbEUljE_ZNSN_ISO_Lb1ESQ_SR_ST_SU_SY_EESZ_S10_S11_S12_S16_S17_S18_S1B_S1C_jS1D_jS1E_S1E_jjS1G_bEUljE0_EEESZ_S10_S11_S18_S1C_S1E_T6_T7_T9_mT8_S1G_bDpT10_ENKUlT_T0_E_clISt17integral_constantIbLb1EES1U_EEDaS1P_S1Q_EUlS1P_E_NS1_11comp_targetILNS1_3genE3ELNS1_11target_archE908ELNS1_3gpuE7ELNS1_3repE0EEENS1_30default_config_static_selectorELNS0_4arch9wavefront6targetE1EEEvS12_.kd
    .uniform_work_group_size: 1
    .uses_dynamic_stack: false
    .vgpr_count:     0
    .vgpr_spill_count: 0
    .wavefront_size: 64
  - .args:
      - .offset:         0
        .size:           184
        .value_kind:     by_value
    .group_segment_fixed_size: 0
    .kernarg_segment_align: 8
    .kernarg_segment_size: 184
    .language:       OpenCL C
    .language_version:
      - 2
      - 0
    .max_flat_workgroup_size: 256
    .name:           _ZN7rocprim17ROCPRIM_400000_NS6detail17trampoline_kernelINS0_13select_configILj256ELj13ELNS0_17block_load_methodE3ELS4_3ELS4_3ELNS0_20block_scan_algorithmE0ELj4294967295EEENS1_25partition_config_selectorILNS1_17partition_subalgoE4EjNS0_10empty_typeEbEEZZNS1_14partition_implILS8_4ELb0ES6_15HIP_vector_typeIjLj2EENS0_17counting_iteratorIjlEEPS9_SG_NS0_5tupleIJPjSI_NS0_16reverse_iteratorISI_EEEEENSH_IJSG_SG_SG_EEES9_SI_JZNS1_25segmented_radix_sort_implINS0_14default_configELb1EPKhPhPKlPlN2at6native12_GLOBAL__N_18offset_tEEE10hipError_tPvRmT1_PNSt15iterator_traitsIS12_E10value_typeET2_T3_PNS13_IS18_E10value_typeET4_jRbjT5_S1E_jjP12ihipStream_tbEUljE_ZNSN_ISO_Lb1ESQ_SR_ST_SU_SY_EESZ_S10_S11_S12_S16_S17_S18_S1B_S1C_jS1D_jS1E_S1E_jjS1G_bEUljE0_EEESZ_S10_S11_S18_S1C_S1E_T6_T7_T9_mT8_S1G_bDpT10_ENKUlT_T0_E_clISt17integral_constantIbLb1EES1U_EEDaS1P_S1Q_EUlS1P_E_NS1_11comp_targetILNS1_3genE2ELNS1_11target_archE906ELNS1_3gpuE6ELNS1_3repE0EEENS1_30default_config_static_selectorELNS0_4arch9wavefront6targetE1EEEvS12_
    .private_segment_fixed_size: 0
    .sgpr_count:     4
    .sgpr_spill_count: 0
    .symbol:         _ZN7rocprim17ROCPRIM_400000_NS6detail17trampoline_kernelINS0_13select_configILj256ELj13ELNS0_17block_load_methodE3ELS4_3ELS4_3ELNS0_20block_scan_algorithmE0ELj4294967295EEENS1_25partition_config_selectorILNS1_17partition_subalgoE4EjNS0_10empty_typeEbEEZZNS1_14partition_implILS8_4ELb0ES6_15HIP_vector_typeIjLj2EENS0_17counting_iteratorIjlEEPS9_SG_NS0_5tupleIJPjSI_NS0_16reverse_iteratorISI_EEEEENSH_IJSG_SG_SG_EEES9_SI_JZNS1_25segmented_radix_sort_implINS0_14default_configELb1EPKhPhPKlPlN2at6native12_GLOBAL__N_18offset_tEEE10hipError_tPvRmT1_PNSt15iterator_traitsIS12_E10value_typeET2_T3_PNS13_IS18_E10value_typeET4_jRbjT5_S1E_jjP12ihipStream_tbEUljE_ZNSN_ISO_Lb1ESQ_SR_ST_SU_SY_EESZ_S10_S11_S12_S16_S17_S18_S1B_S1C_jS1D_jS1E_S1E_jjS1G_bEUljE0_EEESZ_S10_S11_S18_S1C_S1E_T6_T7_T9_mT8_S1G_bDpT10_ENKUlT_T0_E_clISt17integral_constantIbLb1EES1U_EEDaS1P_S1Q_EUlS1P_E_NS1_11comp_targetILNS1_3genE2ELNS1_11target_archE906ELNS1_3gpuE6ELNS1_3repE0EEENS1_30default_config_static_selectorELNS0_4arch9wavefront6targetE1EEEvS12_.kd
    .uniform_work_group_size: 1
    .uses_dynamic_stack: false
    .vgpr_count:     0
    .vgpr_spill_count: 0
    .wavefront_size: 64
  - .args:
      - .offset:         0
        .size:           184
        .value_kind:     by_value
    .group_segment_fixed_size: 0
    .kernarg_segment_align: 8
    .kernarg_segment_size: 184
    .language:       OpenCL C
    .language_version:
      - 2
      - 0
    .max_flat_workgroup_size: 256
    .name:           _ZN7rocprim17ROCPRIM_400000_NS6detail17trampoline_kernelINS0_13select_configILj256ELj13ELNS0_17block_load_methodE3ELS4_3ELS4_3ELNS0_20block_scan_algorithmE0ELj4294967295EEENS1_25partition_config_selectorILNS1_17partition_subalgoE4EjNS0_10empty_typeEbEEZZNS1_14partition_implILS8_4ELb0ES6_15HIP_vector_typeIjLj2EENS0_17counting_iteratorIjlEEPS9_SG_NS0_5tupleIJPjSI_NS0_16reverse_iteratorISI_EEEEENSH_IJSG_SG_SG_EEES9_SI_JZNS1_25segmented_radix_sort_implINS0_14default_configELb1EPKhPhPKlPlN2at6native12_GLOBAL__N_18offset_tEEE10hipError_tPvRmT1_PNSt15iterator_traitsIS12_E10value_typeET2_T3_PNS13_IS18_E10value_typeET4_jRbjT5_S1E_jjP12ihipStream_tbEUljE_ZNSN_ISO_Lb1ESQ_SR_ST_SU_SY_EESZ_S10_S11_S12_S16_S17_S18_S1B_S1C_jS1D_jS1E_S1E_jjS1G_bEUljE0_EEESZ_S10_S11_S18_S1C_S1E_T6_T7_T9_mT8_S1G_bDpT10_ENKUlT_T0_E_clISt17integral_constantIbLb1EES1U_EEDaS1P_S1Q_EUlS1P_E_NS1_11comp_targetILNS1_3genE10ELNS1_11target_archE1200ELNS1_3gpuE4ELNS1_3repE0EEENS1_30default_config_static_selectorELNS0_4arch9wavefront6targetE1EEEvS12_
    .private_segment_fixed_size: 0
    .sgpr_count:     4
    .sgpr_spill_count: 0
    .symbol:         _ZN7rocprim17ROCPRIM_400000_NS6detail17trampoline_kernelINS0_13select_configILj256ELj13ELNS0_17block_load_methodE3ELS4_3ELS4_3ELNS0_20block_scan_algorithmE0ELj4294967295EEENS1_25partition_config_selectorILNS1_17partition_subalgoE4EjNS0_10empty_typeEbEEZZNS1_14partition_implILS8_4ELb0ES6_15HIP_vector_typeIjLj2EENS0_17counting_iteratorIjlEEPS9_SG_NS0_5tupleIJPjSI_NS0_16reverse_iteratorISI_EEEEENSH_IJSG_SG_SG_EEES9_SI_JZNS1_25segmented_radix_sort_implINS0_14default_configELb1EPKhPhPKlPlN2at6native12_GLOBAL__N_18offset_tEEE10hipError_tPvRmT1_PNSt15iterator_traitsIS12_E10value_typeET2_T3_PNS13_IS18_E10value_typeET4_jRbjT5_S1E_jjP12ihipStream_tbEUljE_ZNSN_ISO_Lb1ESQ_SR_ST_SU_SY_EESZ_S10_S11_S12_S16_S17_S18_S1B_S1C_jS1D_jS1E_S1E_jjS1G_bEUljE0_EEESZ_S10_S11_S18_S1C_S1E_T6_T7_T9_mT8_S1G_bDpT10_ENKUlT_T0_E_clISt17integral_constantIbLb1EES1U_EEDaS1P_S1Q_EUlS1P_E_NS1_11comp_targetILNS1_3genE10ELNS1_11target_archE1200ELNS1_3gpuE4ELNS1_3repE0EEENS1_30default_config_static_selectorELNS0_4arch9wavefront6targetE1EEEvS12_.kd
    .uniform_work_group_size: 1
    .uses_dynamic_stack: false
    .vgpr_count:     0
    .vgpr_spill_count: 0
    .wavefront_size: 64
  - .args:
      - .offset:         0
        .size:           184
        .value_kind:     by_value
    .group_segment_fixed_size: 0
    .kernarg_segment_align: 8
    .kernarg_segment_size: 184
    .language:       OpenCL C
    .language_version:
      - 2
      - 0
    .max_flat_workgroup_size: 256
    .name:           _ZN7rocprim17ROCPRIM_400000_NS6detail17trampoline_kernelINS0_13select_configILj256ELj13ELNS0_17block_load_methodE3ELS4_3ELS4_3ELNS0_20block_scan_algorithmE0ELj4294967295EEENS1_25partition_config_selectorILNS1_17partition_subalgoE4EjNS0_10empty_typeEbEEZZNS1_14partition_implILS8_4ELb0ES6_15HIP_vector_typeIjLj2EENS0_17counting_iteratorIjlEEPS9_SG_NS0_5tupleIJPjSI_NS0_16reverse_iteratorISI_EEEEENSH_IJSG_SG_SG_EEES9_SI_JZNS1_25segmented_radix_sort_implINS0_14default_configELb1EPKhPhPKlPlN2at6native12_GLOBAL__N_18offset_tEEE10hipError_tPvRmT1_PNSt15iterator_traitsIS12_E10value_typeET2_T3_PNS13_IS18_E10value_typeET4_jRbjT5_S1E_jjP12ihipStream_tbEUljE_ZNSN_ISO_Lb1ESQ_SR_ST_SU_SY_EESZ_S10_S11_S12_S16_S17_S18_S1B_S1C_jS1D_jS1E_S1E_jjS1G_bEUljE0_EEESZ_S10_S11_S18_S1C_S1E_T6_T7_T9_mT8_S1G_bDpT10_ENKUlT_T0_E_clISt17integral_constantIbLb1EES1U_EEDaS1P_S1Q_EUlS1P_E_NS1_11comp_targetILNS1_3genE9ELNS1_11target_archE1100ELNS1_3gpuE3ELNS1_3repE0EEENS1_30default_config_static_selectorELNS0_4arch9wavefront6targetE1EEEvS12_
    .private_segment_fixed_size: 0
    .sgpr_count:     4
    .sgpr_spill_count: 0
    .symbol:         _ZN7rocprim17ROCPRIM_400000_NS6detail17trampoline_kernelINS0_13select_configILj256ELj13ELNS0_17block_load_methodE3ELS4_3ELS4_3ELNS0_20block_scan_algorithmE0ELj4294967295EEENS1_25partition_config_selectorILNS1_17partition_subalgoE4EjNS0_10empty_typeEbEEZZNS1_14partition_implILS8_4ELb0ES6_15HIP_vector_typeIjLj2EENS0_17counting_iteratorIjlEEPS9_SG_NS0_5tupleIJPjSI_NS0_16reverse_iteratorISI_EEEEENSH_IJSG_SG_SG_EEES9_SI_JZNS1_25segmented_radix_sort_implINS0_14default_configELb1EPKhPhPKlPlN2at6native12_GLOBAL__N_18offset_tEEE10hipError_tPvRmT1_PNSt15iterator_traitsIS12_E10value_typeET2_T3_PNS13_IS18_E10value_typeET4_jRbjT5_S1E_jjP12ihipStream_tbEUljE_ZNSN_ISO_Lb1ESQ_SR_ST_SU_SY_EESZ_S10_S11_S12_S16_S17_S18_S1B_S1C_jS1D_jS1E_S1E_jjS1G_bEUljE0_EEESZ_S10_S11_S18_S1C_S1E_T6_T7_T9_mT8_S1G_bDpT10_ENKUlT_T0_E_clISt17integral_constantIbLb1EES1U_EEDaS1P_S1Q_EUlS1P_E_NS1_11comp_targetILNS1_3genE9ELNS1_11target_archE1100ELNS1_3gpuE3ELNS1_3repE0EEENS1_30default_config_static_selectorELNS0_4arch9wavefront6targetE1EEEvS12_.kd
    .uniform_work_group_size: 1
    .uses_dynamic_stack: false
    .vgpr_count:     0
    .vgpr_spill_count: 0
    .wavefront_size: 64
  - .args:
      - .offset:         0
        .size:           184
        .value_kind:     by_value
    .group_segment_fixed_size: 0
    .kernarg_segment_align: 8
    .kernarg_segment_size: 184
    .language:       OpenCL C
    .language_version:
      - 2
      - 0
    .max_flat_workgroup_size: 256
    .name:           _ZN7rocprim17ROCPRIM_400000_NS6detail17trampoline_kernelINS0_13select_configILj256ELj13ELNS0_17block_load_methodE3ELS4_3ELS4_3ELNS0_20block_scan_algorithmE0ELj4294967295EEENS1_25partition_config_selectorILNS1_17partition_subalgoE4EjNS0_10empty_typeEbEEZZNS1_14partition_implILS8_4ELb0ES6_15HIP_vector_typeIjLj2EENS0_17counting_iteratorIjlEEPS9_SG_NS0_5tupleIJPjSI_NS0_16reverse_iteratorISI_EEEEENSH_IJSG_SG_SG_EEES9_SI_JZNS1_25segmented_radix_sort_implINS0_14default_configELb1EPKhPhPKlPlN2at6native12_GLOBAL__N_18offset_tEEE10hipError_tPvRmT1_PNSt15iterator_traitsIS12_E10value_typeET2_T3_PNS13_IS18_E10value_typeET4_jRbjT5_S1E_jjP12ihipStream_tbEUljE_ZNSN_ISO_Lb1ESQ_SR_ST_SU_SY_EESZ_S10_S11_S12_S16_S17_S18_S1B_S1C_jS1D_jS1E_S1E_jjS1G_bEUljE0_EEESZ_S10_S11_S18_S1C_S1E_T6_T7_T9_mT8_S1G_bDpT10_ENKUlT_T0_E_clISt17integral_constantIbLb1EES1U_EEDaS1P_S1Q_EUlS1P_E_NS1_11comp_targetILNS1_3genE8ELNS1_11target_archE1030ELNS1_3gpuE2ELNS1_3repE0EEENS1_30default_config_static_selectorELNS0_4arch9wavefront6targetE1EEEvS12_
    .private_segment_fixed_size: 0
    .sgpr_count:     4
    .sgpr_spill_count: 0
    .symbol:         _ZN7rocprim17ROCPRIM_400000_NS6detail17trampoline_kernelINS0_13select_configILj256ELj13ELNS0_17block_load_methodE3ELS4_3ELS4_3ELNS0_20block_scan_algorithmE0ELj4294967295EEENS1_25partition_config_selectorILNS1_17partition_subalgoE4EjNS0_10empty_typeEbEEZZNS1_14partition_implILS8_4ELb0ES6_15HIP_vector_typeIjLj2EENS0_17counting_iteratorIjlEEPS9_SG_NS0_5tupleIJPjSI_NS0_16reverse_iteratorISI_EEEEENSH_IJSG_SG_SG_EEES9_SI_JZNS1_25segmented_radix_sort_implINS0_14default_configELb1EPKhPhPKlPlN2at6native12_GLOBAL__N_18offset_tEEE10hipError_tPvRmT1_PNSt15iterator_traitsIS12_E10value_typeET2_T3_PNS13_IS18_E10value_typeET4_jRbjT5_S1E_jjP12ihipStream_tbEUljE_ZNSN_ISO_Lb1ESQ_SR_ST_SU_SY_EESZ_S10_S11_S12_S16_S17_S18_S1B_S1C_jS1D_jS1E_S1E_jjS1G_bEUljE0_EEESZ_S10_S11_S18_S1C_S1E_T6_T7_T9_mT8_S1G_bDpT10_ENKUlT_T0_E_clISt17integral_constantIbLb1EES1U_EEDaS1P_S1Q_EUlS1P_E_NS1_11comp_targetILNS1_3genE8ELNS1_11target_archE1030ELNS1_3gpuE2ELNS1_3repE0EEENS1_30default_config_static_selectorELNS0_4arch9wavefront6targetE1EEEvS12_.kd
    .uniform_work_group_size: 1
    .uses_dynamic_stack: false
    .vgpr_count:     0
    .vgpr_spill_count: 0
    .wavefront_size: 64
  - .args:
      - .address_space:  global
        .offset:         0
        .size:           8
        .value_kind:     global_buffer
      - .offset:         8
        .size:           4
        .value_kind:     by_value
      - .offset:         12
        .size:           1
        .value_kind:     by_value
      - .offset:         16
        .size:           4
        .value_kind:     by_value
      - .address_space:  global
        .offset:         24
        .size:           8
        .value_kind:     global_buffer
      - .offset:         32
        .size:           4
        .value_kind:     hidden_block_count_x
      - .offset:         36
        .size:           4
        .value_kind:     hidden_block_count_y
      - .offset:         40
        .size:           4
        .value_kind:     hidden_block_count_z
      - .offset:         44
        .size:           2
        .value_kind:     hidden_group_size_x
      - .offset:         46
        .size:           2
        .value_kind:     hidden_group_size_y
      - .offset:         48
        .size:           2
        .value_kind:     hidden_group_size_z
      - .offset:         50
        .size:           2
        .value_kind:     hidden_remainder_x
      - .offset:         52
        .size:           2
        .value_kind:     hidden_remainder_y
      - .offset:         54
        .size:           2
        .value_kind:     hidden_remainder_z
      - .offset:         72
        .size:           8
        .value_kind:     hidden_global_offset_x
      - .offset:         80
        .size:           8
        .value_kind:     hidden_global_offset_y
      - .offset:         88
        .size:           8
        .value_kind:     hidden_global_offset_z
      - .offset:         96
        .size:           2
        .value_kind:     hidden_grid_dims
    .group_segment_fixed_size: 0
    .kernarg_segment_align: 8
    .kernarg_segment_size: 288
    .language:       OpenCL C
    .language_version:
      - 2
      - 0
    .max_flat_workgroup_size: 256
    .name:           _ZN7rocprim17ROCPRIM_400000_NS6detail31init_lookback_scan_state_kernelINS1_19lookback_scan_stateI15HIP_vector_typeIjLj2EELb1ELb1EEENS1_16block_id_wrapperIjLb0EEEEEvT_jT0_jPNS9_10value_typeE
    .private_segment_fixed_size: 0
    .sgpr_count:     18
    .sgpr_spill_count: 0
    .symbol:         _ZN7rocprim17ROCPRIM_400000_NS6detail31init_lookback_scan_state_kernelINS1_19lookback_scan_stateI15HIP_vector_typeIjLj2EELb1ELb1EEENS1_16block_id_wrapperIjLb0EEEEEvT_jT0_jPNS9_10value_typeE.kd
    .uniform_work_group_size: 1
    .uses_dynamic_stack: false
    .vgpr_count:     8
    .vgpr_spill_count: 0
    .wavefront_size: 64
  - .args:
      - .offset:         0
        .size:           176
        .value_kind:     by_value
    .group_segment_fixed_size: 0
    .kernarg_segment_align: 8
    .kernarg_segment_size: 176
    .language:       OpenCL C
    .language_version:
      - 2
      - 0
    .max_flat_workgroup_size: 256
    .name:           _ZN7rocprim17ROCPRIM_400000_NS6detail17trampoline_kernelINS0_13select_configILj256ELj13ELNS0_17block_load_methodE3ELS4_3ELS4_3ELNS0_20block_scan_algorithmE0ELj4294967295EEENS1_25partition_config_selectorILNS1_17partition_subalgoE4EjNS0_10empty_typeEbEEZZNS1_14partition_implILS8_4ELb0ES6_15HIP_vector_typeIjLj2EENS0_17counting_iteratorIjlEEPS9_SG_NS0_5tupleIJPjSI_NS0_16reverse_iteratorISI_EEEEENSH_IJSG_SG_SG_EEES9_SI_JZNS1_25segmented_radix_sort_implINS0_14default_configELb1EPKhPhPKlPlN2at6native12_GLOBAL__N_18offset_tEEE10hipError_tPvRmT1_PNSt15iterator_traitsIS12_E10value_typeET2_T3_PNS13_IS18_E10value_typeET4_jRbjT5_S1E_jjP12ihipStream_tbEUljE_ZNSN_ISO_Lb1ESQ_SR_ST_SU_SY_EESZ_S10_S11_S12_S16_S17_S18_S1B_S1C_jS1D_jS1E_S1E_jjS1G_bEUljE0_EEESZ_S10_S11_S18_S1C_S1E_T6_T7_T9_mT8_S1G_bDpT10_ENKUlT_T0_E_clISt17integral_constantIbLb1EES1T_IbLb0EEEEDaS1P_S1Q_EUlS1P_E_NS1_11comp_targetILNS1_3genE0ELNS1_11target_archE4294967295ELNS1_3gpuE0ELNS1_3repE0EEENS1_30default_config_static_selectorELNS0_4arch9wavefront6targetE1EEEvS12_
    .private_segment_fixed_size: 0
    .sgpr_count:     4
    .sgpr_spill_count: 0
    .symbol:         _ZN7rocprim17ROCPRIM_400000_NS6detail17trampoline_kernelINS0_13select_configILj256ELj13ELNS0_17block_load_methodE3ELS4_3ELS4_3ELNS0_20block_scan_algorithmE0ELj4294967295EEENS1_25partition_config_selectorILNS1_17partition_subalgoE4EjNS0_10empty_typeEbEEZZNS1_14partition_implILS8_4ELb0ES6_15HIP_vector_typeIjLj2EENS0_17counting_iteratorIjlEEPS9_SG_NS0_5tupleIJPjSI_NS0_16reverse_iteratorISI_EEEEENSH_IJSG_SG_SG_EEES9_SI_JZNS1_25segmented_radix_sort_implINS0_14default_configELb1EPKhPhPKlPlN2at6native12_GLOBAL__N_18offset_tEEE10hipError_tPvRmT1_PNSt15iterator_traitsIS12_E10value_typeET2_T3_PNS13_IS18_E10value_typeET4_jRbjT5_S1E_jjP12ihipStream_tbEUljE_ZNSN_ISO_Lb1ESQ_SR_ST_SU_SY_EESZ_S10_S11_S12_S16_S17_S18_S1B_S1C_jS1D_jS1E_S1E_jjS1G_bEUljE0_EEESZ_S10_S11_S18_S1C_S1E_T6_T7_T9_mT8_S1G_bDpT10_ENKUlT_T0_E_clISt17integral_constantIbLb1EES1T_IbLb0EEEEDaS1P_S1Q_EUlS1P_E_NS1_11comp_targetILNS1_3genE0ELNS1_11target_archE4294967295ELNS1_3gpuE0ELNS1_3repE0EEENS1_30default_config_static_selectorELNS0_4arch9wavefront6targetE1EEEvS12_.kd
    .uniform_work_group_size: 1
    .uses_dynamic_stack: false
    .vgpr_count:     0
    .vgpr_spill_count: 0
    .wavefront_size: 64
  - .args:
      - .offset:         0
        .size:           176
        .value_kind:     by_value
    .group_segment_fixed_size: 0
    .kernarg_segment_align: 8
    .kernarg_segment_size: 176
    .language:       OpenCL C
    .language_version:
      - 2
      - 0
    .max_flat_workgroup_size: 256
    .name:           _ZN7rocprim17ROCPRIM_400000_NS6detail17trampoline_kernelINS0_13select_configILj256ELj13ELNS0_17block_load_methodE3ELS4_3ELS4_3ELNS0_20block_scan_algorithmE0ELj4294967295EEENS1_25partition_config_selectorILNS1_17partition_subalgoE4EjNS0_10empty_typeEbEEZZNS1_14partition_implILS8_4ELb0ES6_15HIP_vector_typeIjLj2EENS0_17counting_iteratorIjlEEPS9_SG_NS0_5tupleIJPjSI_NS0_16reverse_iteratorISI_EEEEENSH_IJSG_SG_SG_EEES9_SI_JZNS1_25segmented_radix_sort_implINS0_14default_configELb1EPKhPhPKlPlN2at6native12_GLOBAL__N_18offset_tEEE10hipError_tPvRmT1_PNSt15iterator_traitsIS12_E10value_typeET2_T3_PNS13_IS18_E10value_typeET4_jRbjT5_S1E_jjP12ihipStream_tbEUljE_ZNSN_ISO_Lb1ESQ_SR_ST_SU_SY_EESZ_S10_S11_S12_S16_S17_S18_S1B_S1C_jS1D_jS1E_S1E_jjS1G_bEUljE0_EEESZ_S10_S11_S18_S1C_S1E_T6_T7_T9_mT8_S1G_bDpT10_ENKUlT_T0_E_clISt17integral_constantIbLb1EES1T_IbLb0EEEEDaS1P_S1Q_EUlS1P_E_NS1_11comp_targetILNS1_3genE5ELNS1_11target_archE942ELNS1_3gpuE9ELNS1_3repE0EEENS1_30default_config_static_selectorELNS0_4arch9wavefront6targetE1EEEvS12_
    .private_segment_fixed_size: 0
    .sgpr_count:     4
    .sgpr_spill_count: 0
    .symbol:         _ZN7rocprim17ROCPRIM_400000_NS6detail17trampoline_kernelINS0_13select_configILj256ELj13ELNS0_17block_load_methodE3ELS4_3ELS4_3ELNS0_20block_scan_algorithmE0ELj4294967295EEENS1_25partition_config_selectorILNS1_17partition_subalgoE4EjNS0_10empty_typeEbEEZZNS1_14partition_implILS8_4ELb0ES6_15HIP_vector_typeIjLj2EENS0_17counting_iteratorIjlEEPS9_SG_NS0_5tupleIJPjSI_NS0_16reverse_iteratorISI_EEEEENSH_IJSG_SG_SG_EEES9_SI_JZNS1_25segmented_radix_sort_implINS0_14default_configELb1EPKhPhPKlPlN2at6native12_GLOBAL__N_18offset_tEEE10hipError_tPvRmT1_PNSt15iterator_traitsIS12_E10value_typeET2_T3_PNS13_IS18_E10value_typeET4_jRbjT5_S1E_jjP12ihipStream_tbEUljE_ZNSN_ISO_Lb1ESQ_SR_ST_SU_SY_EESZ_S10_S11_S12_S16_S17_S18_S1B_S1C_jS1D_jS1E_S1E_jjS1G_bEUljE0_EEESZ_S10_S11_S18_S1C_S1E_T6_T7_T9_mT8_S1G_bDpT10_ENKUlT_T0_E_clISt17integral_constantIbLb1EES1T_IbLb0EEEEDaS1P_S1Q_EUlS1P_E_NS1_11comp_targetILNS1_3genE5ELNS1_11target_archE942ELNS1_3gpuE9ELNS1_3repE0EEENS1_30default_config_static_selectorELNS0_4arch9wavefront6targetE1EEEvS12_.kd
    .uniform_work_group_size: 1
    .uses_dynamic_stack: false
    .vgpr_count:     0
    .vgpr_spill_count: 0
    .wavefront_size: 64
  - .args:
      - .offset:         0
        .size:           176
        .value_kind:     by_value
    .group_segment_fixed_size: 0
    .kernarg_segment_align: 8
    .kernarg_segment_size: 176
    .language:       OpenCL C
    .language_version:
      - 2
      - 0
    .max_flat_workgroup_size: 256
    .name:           _ZN7rocprim17ROCPRIM_400000_NS6detail17trampoline_kernelINS0_13select_configILj256ELj13ELNS0_17block_load_methodE3ELS4_3ELS4_3ELNS0_20block_scan_algorithmE0ELj4294967295EEENS1_25partition_config_selectorILNS1_17partition_subalgoE4EjNS0_10empty_typeEbEEZZNS1_14partition_implILS8_4ELb0ES6_15HIP_vector_typeIjLj2EENS0_17counting_iteratorIjlEEPS9_SG_NS0_5tupleIJPjSI_NS0_16reverse_iteratorISI_EEEEENSH_IJSG_SG_SG_EEES9_SI_JZNS1_25segmented_radix_sort_implINS0_14default_configELb1EPKhPhPKlPlN2at6native12_GLOBAL__N_18offset_tEEE10hipError_tPvRmT1_PNSt15iterator_traitsIS12_E10value_typeET2_T3_PNS13_IS18_E10value_typeET4_jRbjT5_S1E_jjP12ihipStream_tbEUljE_ZNSN_ISO_Lb1ESQ_SR_ST_SU_SY_EESZ_S10_S11_S12_S16_S17_S18_S1B_S1C_jS1D_jS1E_S1E_jjS1G_bEUljE0_EEESZ_S10_S11_S18_S1C_S1E_T6_T7_T9_mT8_S1G_bDpT10_ENKUlT_T0_E_clISt17integral_constantIbLb1EES1T_IbLb0EEEEDaS1P_S1Q_EUlS1P_E_NS1_11comp_targetILNS1_3genE4ELNS1_11target_archE910ELNS1_3gpuE8ELNS1_3repE0EEENS1_30default_config_static_selectorELNS0_4arch9wavefront6targetE1EEEvS12_
    .private_segment_fixed_size: 0
    .sgpr_count:     4
    .sgpr_spill_count: 0
    .symbol:         _ZN7rocprim17ROCPRIM_400000_NS6detail17trampoline_kernelINS0_13select_configILj256ELj13ELNS0_17block_load_methodE3ELS4_3ELS4_3ELNS0_20block_scan_algorithmE0ELj4294967295EEENS1_25partition_config_selectorILNS1_17partition_subalgoE4EjNS0_10empty_typeEbEEZZNS1_14partition_implILS8_4ELb0ES6_15HIP_vector_typeIjLj2EENS0_17counting_iteratorIjlEEPS9_SG_NS0_5tupleIJPjSI_NS0_16reverse_iteratorISI_EEEEENSH_IJSG_SG_SG_EEES9_SI_JZNS1_25segmented_radix_sort_implINS0_14default_configELb1EPKhPhPKlPlN2at6native12_GLOBAL__N_18offset_tEEE10hipError_tPvRmT1_PNSt15iterator_traitsIS12_E10value_typeET2_T3_PNS13_IS18_E10value_typeET4_jRbjT5_S1E_jjP12ihipStream_tbEUljE_ZNSN_ISO_Lb1ESQ_SR_ST_SU_SY_EESZ_S10_S11_S12_S16_S17_S18_S1B_S1C_jS1D_jS1E_S1E_jjS1G_bEUljE0_EEESZ_S10_S11_S18_S1C_S1E_T6_T7_T9_mT8_S1G_bDpT10_ENKUlT_T0_E_clISt17integral_constantIbLb1EES1T_IbLb0EEEEDaS1P_S1Q_EUlS1P_E_NS1_11comp_targetILNS1_3genE4ELNS1_11target_archE910ELNS1_3gpuE8ELNS1_3repE0EEENS1_30default_config_static_selectorELNS0_4arch9wavefront6targetE1EEEvS12_.kd
    .uniform_work_group_size: 1
    .uses_dynamic_stack: false
    .vgpr_count:     0
    .vgpr_spill_count: 0
    .wavefront_size: 64
  - .args:
      - .offset:         0
        .size:           176
        .value_kind:     by_value
    .group_segment_fixed_size: 0
    .kernarg_segment_align: 8
    .kernarg_segment_size: 176
    .language:       OpenCL C
    .language_version:
      - 2
      - 0
    .max_flat_workgroup_size: 256
    .name:           _ZN7rocprim17ROCPRIM_400000_NS6detail17trampoline_kernelINS0_13select_configILj256ELj13ELNS0_17block_load_methodE3ELS4_3ELS4_3ELNS0_20block_scan_algorithmE0ELj4294967295EEENS1_25partition_config_selectorILNS1_17partition_subalgoE4EjNS0_10empty_typeEbEEZZNS1_14partition_implILS8_4ELb0ES6_15HIP_vector_typeIjLj2EENS0_17counting_iteratorIjlEEPS9_SG_NS0_5tupleIJPjSI_NS0_16reverse_iteratorISI_EEEEENSH_IJSG_SG_SG_EEES9_SI_JZNS1_25segmented_radix_sort_implINS0_14default_configELb1EPKhPhPKlPlN2at6native12_GLOBAL__N_18offset_tEEE10hipError_tPvRmT1_PNSt15iterator_traitsIS12_E10value_typeET2_T3_PNS13_IS18_E10value_typeET4_jRbjT5_S1E_jjP12ihipStream_tbEUljE_ZNSN_ISO_Lb1ESQ_SR_ST_SU_SY_EESZ_S10_S11_S12_S16_S17_S18_S1B_S1C_jS1D_jS1E_S1E_jjS1G_bEUljE0_EEESZ_S10_S11_S18_S1C_S1E_T6_T7_T9_mT8_S1G_bDpT10_ENKUlT_T0_E_clISt17integral_constantIbLb1EES1T_IbLb0EEEEDaS1P_S1Q_EUlS1P_E_NS1_11comp_targetILNS1_3genE3ELNS1_11target_archE908ELNS1_3gpuE7ELNS1_3repE0EEENS1_30default_config_static_selectorELNS0_4arch9wavefront6targetE1EEEvS12_
    .private_segment_fixed_size: 0
    .sgpr_count:     4
    .sgpr_spill_count: 0
    .symbol:         _ZN7rocprim17ROCPRIM_400000_NS6detail17trampoline_kernelINS0_13select_configILj256ELj13ELNS0_17block_load_methodE3ELS4_3ELS4_3ELNS0_20block_scan_algorithmE0ELj4294967295EEENS1_25partition_config_selectorILNS1_17partition_subalgoE4EjNS0_10empty_typeEbEEZZNS1_14partition_implILS8_4ELb0ES6_15HIP_vector_typeIjLj2EENS0_17counting_iteratorIjlEEPS9_SG_NS0_5tupleIJPjSI_NS0_16reverse_iteratorISI_EEEEENSH_IJSG_SG_SG_EEES9_SI_JZNS1_25segmented_radix_sort_implINS0_14default_configELb1EPKhPhPKlPlN2at6native12_GLOBAL__N_18offset_tEEE10hipError_tPvRmT1_PNSt15iterator_traitsIS12_E10value_typeET2_T3_PNS13_IS18_E10value_typeET4_jRbjT5_S1E_jjP12ihipStream_tbEUljE_ZNSN_ISO_Lb1ESQ_SR_ST_SU_SY_EESZ_S10_S11_S12_S16_S17_S18_S1B_S1C_jS1D_jS1E_S1E_jjS1G_bEUljE0_EEESZ_S10_S11_S18_S1C_S1E_T6_T7_T9_mT8_S1G_bDpT10_ENKUlT_T0_E_clISt17integral_constantIbLb1EES1T_IbLb0EEEEDaS1P_S1Q_EUlS1P_E_NS1_11comp_targetILNS1_3genE3ELNS1_11target_archE908ELNS1_3gpuE7ELNS1_3repE0EEENS1_30default_config_static_selectorELNS0_4arch9wavefront6targetE1EEEvS12_.kd
    .uniform_work_group_size: 1
    .uses_dynamic_stack: false
    .vgpr_count:     0
    .vgpr_spill_count: 0
    .wavefront_size: 64
  - .args:
      - .offset:         0
        .size:           176
        .value_kind:     by_value
    .group_segment_fixed_size: 0
    .kernarg_segment_align: 8
    .kernarg_segment_size: 176
    .language:       OpenCL C
    .language_version:
      - 2
      - 0
    .max_flat_workgroup_size: 256
    .name:           _ZN7rocprim17ROCPRIM_400000_NS6detail17trampoline_kernelINS0_13select_configILj256ELj13ELNS0_17block_load_methodE3ELS4_3ELS4_3ELNS0_20block_scan_algorithmE0ELj4294967295EEENS1_25partition_config_selectorILNS1_17partition_subalgoE4EjNS0_10empty_typeEbEEZZNS1_14partition_implILS8_4ELb0ES6_15HIP_vector_typeIjLj2EENS0_17counting_iteratorIjlEEPS9_SG_NS0_5tupleIJPjSI_NS0_16reverse_iteratorISI_EEEEENSH_IJSG_SG_SG_EEES9_SI_JZNS1_25segmented_radix_sort_implINS0_14default_configELb1EPKhPhPKlPlN2at6native12_GLOBAL__N_18offset_tEEE10hipError_tPvRmT1_PNSt15iterator_traitsIS12_E10value_typeET2_T3_PNS13_IS18_E10value_typeET4_jRbjT5_S1E_jjP12ihipStream_tbEUljE_ZNSN_ISO_Lb1ESQ_SR_ST_SU_SY_EESZ_S10_S11_S12_S16_S17_S18_S1B_S1C_jS1D_jS1E_S1E_jjS1G_bEUljE0_EEESZ_S10_S11_S18_S1C_S1E_T6_T7_T9_mT8_S1G_bDpT10_ENKUlT_T0_E_clISt17integral_constantIbLb1EES1T_IbLb0EEEEDaS1P_S1Q_EUlS1P_E_NS1_11comp_targetILNS1_3genE2ELNS1_11target_archE906ELNS1_3gpuE6ELNS1_3repE0EEENS1_30default_config_static_selectorELNS0_4arch9wavefront6targetE1EEEvS12_
    .private_segment_fixed_size: 0
    .sgpr_count:     4
    .sgpr_spill_count: 0
    .symbol:         _ZN7rocprim17ROCPRIM_400000_NS6detail17trampoline_kernelINS0_13select_configILj256ELj13ELNS0_17block_load_methodE3ELS4_3ELS4_3ELNS0_20block_scan_algorithmE0ELj4294967295EEENS1_25partition_config_selectorILNS1_17partition_subalgoE4EjNS0_10empty_typeEbEEZZNS1_14partition_implILS8_4ELb0ES6_15HIP_vector_typeIjLj2EENS0_17counting_iteratorIjlEEPS9_SG_NS0_5tupleIJPjSI_NS0_16reverse_iteratorISI_EEEEENSH_IJSG_SG_SG_EEES9_SI_JZNS1_25segmented_radix_sort_implINS0_14default_configELb1EPKhPhPKlPlN2at6native12_GLOBAL__N_18offset_tEEE10hipError_tPvRmT1_PNSt15iterator_traitsIS12_E10value_typeET2_T3_PNS13_IS18_E10value_typeET4_jRbjT5_S1E_jjP12ihipStream_tbEUljE_ZNSN_ISO_Lb1ESQ_SR_ST_SU_SY_EESZ_S10_S11_S12_S16_S17_S18_S1B_S1C_jS1D_jS1E_S1E_jjS1G_bEUljE0_EEESZ_S10_S11_S18_S1C_S1E_T6_T7_T9_mT8_S1G_bDpT10_ENKUlT_T0_E_clISt17integral_constantIbLb1EES1T_IbLb0EEEEDaS1P_S1Q_EUlS1P_E_NS1_11comp_targetILNS1_3genE2ELNS1_11target_archE906ELNS1_3gpuE6ELNS1_3repE0EEENS1_30default_config_static_selectorELNS0_4arch9wavefront6targetE1EEEvS12_.kd
    .uniform_work_group_size: 1
    .uses_dynamic_stack: false
    .vgpr_count:     0
    .vgpr_spill_count: 0
    .wavefront_size: 64
  - .args:
      - .offset:         0
        .size:           176
        .value_kind:     by_value
    .group_segment_fixed_size: 0
    .kernarg_segment_align: 8
    .kernarg_segment_size: 176
    .language:       OpenCL C
    .language_version:
      - 2
      - 0
    .max_flat_workgroup_size: 256
    .name:           _ZN7rocprim17ROCPRIM_400000_NS6detail17trampoline_kernelINS0_13select_configILj256ELj13ELNS0_17block_load_methodE3ELS4_3ELS4_3ELNS0_20block_scan_algorithmE0ELj4294967295EEENS1_25partition_config_selectorILNS1_17partition_subalgoE4EjNS0_10empty_typeEbEEZZNS1_14partition_implILS8_4ELb0ES6_15HIP_vector_typeIjLj2EENS0_17counting_iteratorIjlEEPS9_SG_NS0_5tupleIJPjSI_NS0_16reverse_iteratorISI_EEEEENSH_IJSG_SG_SG_EEES9_SI_JZNS1_25segmented_radix_sort_implINS0_14default_configELb1EPKhPhPKlPlN2at6native12_GLOBAL__N_18offset_tEEE10hipError_tPvRmT1_PNSt15iterator_traitsIS12_E10value_typeET2_T3_PNS13_IS18_E10value_typeET4_jRbjT5_S1E_jjP12ihipStream_tbEUljE_ZNSN_ISO_Lb1ESQ_SR_ST_SU_SY_EESZ_S10_S11_S12_S16_S17_S18_S1B_S1C_jS1D_jS1E_S1E_jjS1G_bEUljE0_EEESZ_S10_S11_S18_S1C_S1E_T6_T7_T9_mT8_S1G_bDpT10_ENKUlT_T0_E_clISt17integral_constantIbLb1EES1T_IbLb0EEEEDaS1P_S1Q_EUlS1P_E_NS1_11comp_targetILNS1_3genE10ELNS1_11target_archE1200ELNS1_3gpuE4ELNS1_3repE0EEENS1_30default_config_static_selectorELNS0_4arch9wavefront6targetE1EEEvS12_
    .private_segment_fixed_size: 0
    .sgpr_count:     4
    .sgpr_spill_count: 0
    .symbol:         _ZN7rocprim17ROCPRIM_400000_NS6detail17trampoline_kernelINS0_13select_configILj256ELj13ELNS0_17block_load_methodE3ELS4_3ELS4_3ELNS0_20block_scan_algorithmE0ELj4294967295EEENS1_25partition_config_selectorILNS1_17partition_subalgoE4EjNS0_10empty_typeEbEEZZNS1_14partition_implILS8_4ELb0ES6_15HIP_vector_typeIjLj2EENS0_17counting_iteratorIjlEEPS9_SG_NS0_5tupleIJPjSI_NS0_16reverse_iteratorISI_EEEEENSH_IJSG_SG_SG_EEES9_SI_JZNS1_25segmented_radix_sort_implINS0_14default_configELb1EPKhPhPKlPlN2at6native12_GLOBAL__N_18offset_tEEE10hipError_tPvRmT1_PNSt15iterator_traitsIS12_E10value_typeET2_T3_PNS13_IS18_E10value_typeET4_jRbjT5_S1E_jjP12ihipStream_tbEUljE_ZNSN_ISO_Lb1ESQ_SR_ST_SU_SY_EESZ_S10_S11_S12_S16_S17_S18_S1B_S1C_jS1D_jS1E_S1E_jjS1G_bEUljE0_EEESZ_S10_S11_S18_S1C_S1E_T6_T7_T9_mT8_S1G_bDpT10_ENKUlT_T0_E_clISt17integral_constantIbLb1EES1T_IbLb0EEEEDaS1P_S1Q_EUlS1P_E_NS1_11comp_targetILNS1_3genE10ELNS1_11target_archE1200ELNS1_3gpuE4ELNS1_3repE0EEENS1_30default_config_static_selectorELNS0_4arch9wavefront6targetE1EEEvS12_.kd
    .uniform_work_group_size: 1
    .uses_dynamic_stack: false
    .vgpr_count:     0
    .vgpr_spill_count: 0
    .wavefront_size: 64
  - .args:
      - .offset:         0
        .size:           176
        .value_kind:     by_value
    .group_segment_fixed_size: 0
    .kernarg_segment_align: 8
    .kernarg_segment_size: 176
    .language:       OpenCL C
    .language_version:
      - 2
      - 0
    .max_flat_workgroup_size: 256
    .name:           _ZN7rocprim17ROCPRIM_400000_NS6detail17trampoline_kernelINS0_13select_configILj256ELj13ELNS0_17block_load_methodE3ELS4_3ELS4_3ELNS0_20block_scan_algorithmE0ELj4294967295EEENS1_25partition_config_selectorILNS1_17partition_subalgoE4EjNS0_10empty_typeEbEEZZNS1_14partition_implILS8_4ELb0ES6_15HIP_vector_typeIjLj2EENS0_17counting_iteratorIjlEEPS9_SG_NS0_5tupleIJPjSI_NS0_16reverse_iteratorISI_EEEEENSH_IJSG_SG_SG_EEES9_SI_JZNS1_25segmented_radix_sort_implINS0_14default_configELb1EPKhPhPKlPlN2at6native12_GLOBAL__N_18offset_tEEE10hipError_tPvRmT1_PNSt15iterator_traitsIS12_E10value_typeET2_T3_PNS13_IS18_E10value_typeET4_jRbjT5_S1E_jjP12ihipStream_tbEUljE_ZNSN_ISO_Lb1ESQ_SR_ST_SU_SY_EESZ_S10_S11_S12_S16_S17_S18_S1B_S1C_jS1D_jS1E_S1E_jjS1G_bEUljE0_EEESZ_S10_S11_S18_S1C_S1E_T6_T7_T9_mT8_S1G_bDpT10_ENKUlT_T0_E_clISt17integral_constantIbLb1EES1T_IbLb0EEEEDaS1P_S1Q_EUlS1P_E_NS1_11comp_targetILNS1_3genE9ELNS1_11target_archE1100ELNS1_3gpuE3ELNS1_3repE0EEENS1_30default_config_static_selectorELNS0_4arch9wavefront6targetE1EEEvS12_
    .private_segment_fixed_size: 0
    .sgpr_count:     4
    .sgpr_spill_count: 0
    .symbol:         _ZN7rocprim17ROCPRIM_400000_NS6detail17trampoline_kernelINS0_13select_configILj256ELj13ELNS0_17block_load_methodE3ELS4_3ELS4_3ELNS0_20block_scan_algorithmE0ELj4294967295EEENS1_25partition_config_selectorILNS1_17partition_subalgoE4EjNS0_10empty_typeEbEEZZNS1_14partition_implILS8_4ELb0ES6_15HIP_vector_typeIjLj2EENS0_17counting_iteratorIjlEEPS9_SG_NS0_5tupleIJPjSI_NS0_16reverse_iteratorISI_EEEEENSH_IJSG_SG_SG_EEES9_SI_JZNS1_25segmented_radix_sort_implINS0_14default_configELb1EPKhPhPKlPlN2at6native12_GLOBAL__N_18offset_tEEE10hipError_tPvRmT1_PNSt15iterator_traitsIS12_E10value_typeET2_T3_PNS13_IS18_E10value_typeET4_jRbjT5_S1E_jjP12ihipStream_tbEUljE_ZNSN_ISO_Lb1ESQ_SR_ST_SU_SY_EESZ_S10_S11_S12_S16_S17_S18_S1B_S1C_jS1D_jS1E_S1E_jjS1G_bEUljE0_EEESZ_S10_S11_S18_S1C_S1E_T6_T7_T9_mT8_S1G_bDpT10_ENKUlT_T0_E_clISt17integral_constantIbLb1EES1T_IbLb0EEEEDaS1P_S1Q_EUlS1P_E_NS1_11comp_targetILNS1_3genE9ELNS1_11target_archE1100ELNS1_3gpuE3ELNS1_3repE0EEENS1_30default_config_static_selectorELNS0_4arch9wavefront6targetE1EEEvS12_.kd
    .uniform_work_group_size: 1
    .uses_dynamic_stack: false
    .vgpr_count:     0
    .vgpr_spill_count: 0
    .wavefront_size: 64
  - .args:
      - .offset:         0
        .size:           176
        .value_kind:     by_value
    .group_segment_fixed_size: 0
    .kernarg_segment_align: 8
    .kernarg_segment_size: 176
    .language:       OpenCL C
    .language_version:
      - 2
      - 0
    .max_flat_workgroup_size: 256
    .name:           _ZN7rocprim17ROCPRIM_400000_NS6detail17trampoline_kernelINS0_13select_configILj256ELj13ELNS0_17block_load_methodE3ELS4_3ELS4_3ELNS0_20block_scan_algorithmE0ELj4294967295EEENS1_25partition_config_selectorILNS1_17partition_subalgoE4EjNS0_10empty_typeEbEEZZNS1_14partition_implILS8_4ELb0ES6_15HIP_vector_typeIjLj2EENS0_17counting_iteratorIjlEEPS9_SG_NS0_5tupleIJPjSI_NS0_16reverse_iteratorISI_EEEEENSH_IJSG_SG_SG_EEES9_SI_JZNS1_25segmented_radix_sort_implINS0_14default_configELb1EPKhPhPKlPlN2at6native12_GLOBAL__N_18offset_tEEE10hipError_tPvRmT1_PNSt15iterator_traitsIS12_E10value_typeET2_T3_PNS13_IS18_E10value_typeET4_jRbjT5_S1E_jjP12ihipStream_tbEUljE_ZNSN_ISO_Lb1ESQ_SR_ST_SU_SY_EESZ_S10_S11_S12_S16_S17_S18_S1B_S1C_jS1D_jS1E_S1E_jjS1G_bEUljE0_EEESZ_S10_S11_S18_S1C_S1E_T6_T7_T9_mT8_S1G_bDpT10_ENKUlT_T0_E_clISt17integral_constantIbLb1EES1T_IbLb0EEEEDaS1P_S1Q_EUlS1P_E_NS1_11comp_targetILNS1_3genE8ELNS1_11target_archE1030ELNS1_3gpuE2ELNS1_3repE0EEENS1_30default_config_static_selectorELNS0_4arch9wavefront6targetE1EEEvS12_
    .private_segment_fixed_size: 0
    .sgpr_count:     4
    .sgpr_spill_count: 0
    .symbol:         _ZN7rocprim17ROCPRIM_400000_NS6detail17trampoline_kernelINS0_13select_configILj256ELj13ELNS0_17block_load_methodE3ELS4_3ELS4_3ELNS0_20block_scan_algorithmE0ELj4294967295EEENS1_25partition_config_selectorILNS1_17partition_subalgoE4EjNS0_10empty_typeEbEEZZNS1_14partition_implILS8_4ELb0ES6_15HIP_vector_typeIjLj2EENS0_17counting_iteratorIjlEEPS9_SG_NS0_5tupleIJPjSI_NS0_16reverse_iteratorISI_EEEEENSH_IJSG_SG_SG_EEES9_SI_JZNS1_25segmented_radix_sort_implINS0_14default_configELb1EPKhPhPKlPlN2at6native12_GLOBAL__N_18offset_tEEE10hipError_tPvRmT1_PNSt15iterator_traitsIS12_E10value_typeET2_T3_PNS13_IS18_E10value_typeET4_jRbjT5_S1E_jjP12ihipStream_tbEUljE_ZNSN_ISO_Lb1ESQ_SR_ST_SU_SY_EESZ_S10_S11_S12_S16_S17_S18_S1B_S1C_jS1D_jS1E_S1E_jjS1G_bEUljE0_EEESZ_S10_S11_S18_S1C_S1E_T6_T7_T9_mT8_S1G_bDpT10_ENKUlT_T0_E_clISt17integral_constantIbLb1EES1T_IbLb0EEEEDaS1P_S1Q_EUlS1P_E_NS1_11comp_targetILNS1_3genE8ELNS1_11target_archE1030ELNS1_3gpuE2ELNS1_3repE0EEENS1_30default_config_static_selectorELNS0_4arch9wavefront6targetE1EEEvS12_.kd
    .uniform_work_group_size: 1
    .uses_dynamic_stack: false
    .vgpr_count:     0
    .vgpr_spill_count: 0
    .wavefront_size: 64
  - .args:
      - .address_space:  global
        .offset:         0
        .size:           8
        .value_kind:     global_buffer
      - .offset:         8
        .size:           4
        .value_kind:     by_value
      - .address_space:  global
        .offset:         16
        .size:           8
        .value_kind:     global_buffer
      - .offset:         24
        .size:           4
        .value_kind:     by_value
      - .address_space:  global
        .offset:         32
        .size:           8
        .value_kind:     global_buffer
      - .offset:         40
        .size:           4
        .value_kind:     hidden_block_count_x
      - .offset:         44
        .size:           4
        .value_kind:     hidden_block_count_y
      - .offset:         48
        .size:           4
        .value_kind:     hidden_block_count_z
      - .offset:         52
        .size:           2
        .value_kind:     hidden_group_size_x
      - .offset:         54
        .size:           2
        .value_kind:     hidden_group_size_y
      - .offset:         56
        .size:           2
        .value_kind:     hidden_group_size_z
      - .offset:         58
        .size:           2
        .value_kind:     hidden_remainder_x
      - .offset:         60
        .size:           2
        .value_kind:     hidden_remainder_y
      - .offset:         62
        .size:           2
        .value_kind:     hidden_remainder_z
      - .offset:         80
        .size:           8
        .value_kind:     hidden_global_offset_x
      - .offset:         88
        .size:           8
        .value_kind:     hidden_global_offset_y
      - .offset:         96
        .size:           8
        .value_kind:     hidden_global_offset_z
      - .offset:         104
        .size:           2
        .value_kind:     hidden_grid_dims
    .group_segment_fixed_size: 0
    .kernarg_segment_align: 8
    .kernarg_segment_size: 296
    .language:       OpenCL C
    .language_version:
      - 2
      - 0
    .max_flat_workgroup_size: 256
    .name:           _ZN7rocprim17ROCPRIM_400000_NS6detail31init_lookback_scan_state_kernelINS1_19lookback_scan_stateI15HIP_vector_typeIjLj2EELb0ELb1EEENS1_16block_id_wrapperIjLb1EEEEEvT_jT0_jPNS9_10value_typeE
    .private_segment_fixed_size: 0
    .sgpr_count:     19
    .sgpr_spill_count: 0
    .symbol:         _ZN7rocprim17ROCPRIM_400000_NS6detail31init_lookback_scan_state_kernelINS1_19lookback_scan_stateI15HIP_vector_typeIjLj2EELb0ELb1EEENS1_16block_id_wrapperIjLb1EEEEEvT_jT0_jPNS9_10value_typeE.kd
    .uniform_work_group_size: 1
    .uses_dynamic_stack: false
    .vgpr_count:     8
    .vgpr_spill_count: 0
    .wavefront_size: 64
  - .args:
      - .offset:         0
        .size:           184
        .value_kind:     by_value
    .group_segment_fixed_size: 0
    .kernarg_segment_align: 8
    .kernarg_segment_size: 184
    .language:       OpenCL C
    .language_version:
      - 2
      - 0
    .max_flat_workgroup_size: 256
    .name:           _ZN7rocprim17ROCPRIM_400000_NS6detail17trampoline_kernelINS0_13select_configILj256ELj13ELNS0_17block_load_methodE3ELS4_3ELS4_3ELNS0_20block_scan_algorithmE0ELj4294967295EEENS1_25partition_config_selectorILNS1_17partition_subalgoE4EjNS0_10empty_typeEbEEZZNS1_14partition_implILS8_4ELb0ES6_15HIP_vector_typeIjLj2EENS0_17counting_iteratorIjlEEPS9_SG_NS0_5tupleIJPjSI_NS0_16reverse_iteratorISI_EEEEENSH_IJSG_SG_SG_EEES9_SI_JZNS1_25segmented_radix_sort_implINS0_14default_configELb1EPKhPhPKlPlN2at6native12_GLOBAL__N_18offset_tEEE10hipError_tPvRmT1_PNSt15iterator_traitsIS12_E10value_typeET2_T3_PNS13_IS18_E10value_typeET4_jRbjT5_S1E_jjP12ihipStream_tbEUljE_ZNSN_ISO_Lb1ESQ_SR_ST_SU_SY_EESZ_S10_S11_S12_S16_S17_S18_S1B_S1C_jS1D_jS1E_S1E_jjS1G_bEUljE0_EEESZ_S10_S11_S18_S1C_S1E_T6_T7_T9_mT8_S1G_bDpT10_ENKUlT_T0_E_clISt17integral_constantIbLb0EES1T_IbLb1EEEEDaS1P_S1Q_EUlS1P_E_NS1_11comp_targetILNS1_3genE0ELNS1_11target_archE4294967295ELNS1_3gpuE0ELNS1_3repE0EEENS1_30default_config_static_selectorELNS0_4arch9wavefront6targetE1EEEvS12_
    .private_segment_fixed_size: 0
    .sgpr_count:     4
    .sgpr_spill_count: 0
    .symbol:         _ZN7rocprim17ROCPRIM_400000_NS6detail17trampoline_kernelINS0_13select_configILj256ELj13ELNS0_17block_load_methodE3ELS4_3ELS4_3ELNS0_20block_scan_algorithmE0ELj4294967295EEENS1_25partition_config_selectorILNS1_17partition_subalgoE4EjNS0_10empty_typeEbEEZZNS1_14partition_implILS8_4ELb0ES6_15HIP_vector_typeIjLj2EENS0_17counting_iteratorIjlEEPS9_SG_NS0_5tupleIJPjSI_NS0_16reverse_iteratorISI_EEEEENSH_IJSG_SG_SG_EEES9_SI_JZNS1_25segmented_radix_sort_implINS0_14default_configELb1EPKhPhPKlPlN2at6native12_GLOBAL__N_18offset_tEEE10hipError_tPvRmT1_PNSt15iterator_traitsIS12_E10value_typeET2_T3_PNS13_IS18_E10value_typeET4_jRbjT5_S1E_jjP12ihipStream_tbEUljE_ZNSN_ISO_Lb1ESQ_SR_ST_SU_SY_EESZ_S10_S11_S12_S16_S17_S18_S1B_S1C_jS1D_jS1E_S1E_jjS1G_bEUljE0_EEESZ_S10_S11_S18_S1C_S1E_T6_T7_T9_mT8_S1G_bDpT10_ENKUlT_T0_E_clISt17integral_constantIbLb0EES1T_IbLb1EEEEDaS1P_S1Q_EUlS1P_E_NS1_11comp_targetILNS1_3genE0ELNS1_11target_archE4294967295ELNS1_3gpuE0ELNS1_3repE0EEENS1_30default_config_static_selectorELNS0_4arch9wavefront6targetE1EEEvS12_.kd
    .uniform_work_group_size: 1
    .uses_dynamic_stack: false
    .vgpr_count:     0
    .vgpr_spill_count: 0
    .wavefront_size: 64
  - .args:
      - .offset:         0
        .size:           184
        .value_kind:     by_value
    .group_segment_fixed_size: 0
    .kernarg_segment_align: 8
    .kernarg_segment_size: 184
    .language:       OpenCL C
    .language_version:
      - 2
      - 0
    .max_flat_workgroup_size: 256
    .name:           _ZN7rocprim17ROCPRIM_400000_NS6detail17trampoline_kernelINS0_13select_configILj256ELj13ELNS0_17block_load_methodE3ELS4_3ELS4_3ELNS0_20block_scan_algorithmE0ELj4294967295EEENS1_25partition_config_selectorILNS1_17partition_subalgoE4EjNS0_10empty_typeEbEEZZNS1_14partition_implILS8_4ELb0ES6_15HIP_vector_typeIjLj2EENS0_17counting_iteratorIjlEEPS9_SG_NS0_5tupleIJPjSI_NS0_16reverse_iteratorISI_EEEEENSH_IJSG_SG_SG_EEES9_SI_JZNS1_25segmented_radix_sort_implINS0_14default_configELb1EPKhPhPKlPlN2at6native12_GLOBAL__N_18offset_tEEE10hipError_tPvRmT1_PNSt15iterator_traitsIS12_E10value_typeET2_T3_PNS13_IS18_E10value_typeET4_jRbjT5_S1E_jjP12ihipStream_tbEUljE_ZNSN_ISO_Lb1ESQ_SR_ST_SU_SY_EESZ_S10_S11_S12_S16_S17_S18_S1B_S1C_jS1D_jS1E_S1E_jjS1G_bEUljE0_EEESZ_S10_S11_S18_S1C_S1E_T6_T7_T9_mT8_S1G_bDpT10_ENKUlT_T0_E_clISt17integral_constantIbLb0EES1T_IbLb1EEEEDaS1P_S1Q_EUlS1P_E_NS1_11comp_targetILNS1_3genE5ELNS1_11target_archE942ELNS1_3gpuE9ELNS1_3repE0EEENS1_30default_config_static_selectorELNS0_4arch9wavefront6targetE1EEEvS12_
    .private_segment_fixed_size: 0
    .sgpr_count:     4
    .sgpr_spill_count: 0
    .symbol:         _ZN7rocprim17ROCPRIM_400000_NS6detail17trampoline_kernelINS0_13select_configILj256ELj13ELNS0_17block_load_methodE3ELS4_3ELS4_3ELNS0_20block_scan_algorithmE0ELj4294967295EEENS1_25partition_config_selectorILNS1_17partition_subalgoE4EjNS0_10empty_typeEbEEZZNS1_14partition_implILS8_4ELb0ES6_15HIP_vector_typeIjLj2EENS0_17counting_iteratorIjlEEPS9_SG_NS0_5tupleIJPjSI_NS0_16reverse_iteratorISI_EEEEENSH_IJSG_SG_SG_EEES9_SI_JZNS1_25segmented_radix_sort_implINS0_14default_configELb1EPKhPhPKlPlN2at6native12_GLOBAL__N_18offset_tEEE10hipError_tPvRmT1_PNSt15iterator_traitsIS12_E10value_typeET2_T3_PNS13_IS18_E10value_typeET4_jRbjT5_S1E_jjP12ihipStream_tbEUljE_ZNSN_ISO_Lb1ESQ_SR_ST_SU_SY_EESZ_S10_S11_S12_S16_S17_S18_S1B_S1C_jS1D_jS1E_S1E_jjS1G_bEUljE0_EEESZ_S10_S11_S18_S1C_S1E_T6_T7_T9_mT8_S1G_bDpT10_ENKUlT_T0_E_clISt17integral_constantIbLb0EES1T_IbLb1EEEEDaS1P_S1Q_EUlS1P_E_NS1_11comp_targetILNS1_3genE5ELNS1_11target_archE942ELNS1_3gpuE9ELNS1_3repE0EEENS1_30default_config_static_selectorELNS0_4arch9wavefront6targetE1EEEvS12_.kd
    .uniform_work_group_size: 1
    .uses_dynamic_stack: false
    .vgpr_count:     0
    .vgpr_spill_count: 0
    .wavefront_size: 64
  - .args:
      - .offset:         0
        .size:           184
        .value_kind:     by_value
    .group_segment_fixed_size: 0
    .kernarg_segment_align: 8
    .kernarg_segment_size: 184
    .language:       OpenCL C
    .language_version:
      - 2
      - 0
    .max_flat_workgroup_size: 256
    .name:           _ZN7rocprim17ROCPRIM_400000_NS6detail17trampoline_kernelINS0_13select_configILj256ELj13ELNS0_17block_load_methodE3ELS4_3ELS4_3ELNS0_20block_scan_algorithmE0ELj4294967295EEENS1_25partition_config_selectorILNS1_17partition_subalgoE4EjNS0_10empty_typeEbEEZZNS1_14partition_implILS8_4ELb0ES6_15HIP_vector_typeIjLj2EENS0_17counting_iteratorIjlEEPS9_SG_NS0_5tupleIJPjSI_NS0_16reverse_iteratorISI_EEEEENSH_IJSG_SG_SG_EEES9_SI_JZNS1_25segmented_radix_sort_implINS0_14default_configELb1EPKhPhPKlPlN2at6native12_GLOBAL__N_18offset_tEEE10hipError_tPvRmT1_PNSt15iterator_traitsIS12_E10value_typeET2_T3_PNS13_IS18_E10value_typeET4_jRbjT5_S1E_jjP12ihipStream_tbEUljE_ZNSN_ISO_Lb1ESQ_SR_ST_SU_SY_EESZ_S10_S11_S12_S16_S17_S18_S1B_S1C_jS1D_jS1E_S1E_jjS1G_bEUljE0_EEESZ_S10_S11_S18_S1C_S1E_T6_T7_T9_mT8_S1G_bDpT10_ENKUlT_T0_E_clISt17integral_constantIbLb0EES1T_IbLb1EEEEDaS1P_S1Q_EUlS1P_E_NS1_11comp_targetILNS1_3genE4ELNS1_11target_archE910ELNS1_3gpuE8ELNS1_3repE0EEENS1_30default_config_static_selectorELNS0_4arch9wavefront6targetE1EEEvS12_
    .private_segment_fixed_size: 0
    .sgpr_count:     4
    .sgpr_spill_count: 0
    .symbol:         _ZN7rocprim17ROCPRIM_400000_NS6detail17trampoline_kernelINS0_13select_configILj256ELj13ELNS0_17block_load_methodE3ELS4_3ELS4_3ELNS0_20block_scan_algorithmE0ELj4294967295EEENS1_25partition_config_selectorILNS1_17partition_subalgoE4EjNS0_10empty_typeEbEEZZNS1_14partition_implILS8_4ELb0ES6_15HIP_vector_typeIjLj2EENS0_17counting_iteratorIjlEEPS9_SG_NS0_5tupleIJPjSI_NS0_16reverse_iteratorISI_EEEEENSH_IJSG_SG_SG_EEES9_SI_JZNS1_25segmented_radix_sort_implINS0_14default_configELb1EPKhPhPKlPlN2at6native12_GLOBAL__N_18offset_tEEE10hipError_tPvRmT1_PNSt15iterator_traitsIS12_E10value_typeET2_T3_PNS13_IS18_E10value_typeET4_jRbjT5_S1E_jjP12ihipStream_tbEUljE_ZNSN_ISO_Lb1ESQ_SR_ST_SU_SY_EESZ_S10_S11_S12_S16_S17_S18_S1B_S1C_jS1D_jS1E_S1E_jjS1G_bEUljE0_EEESZ_S10_S11_S18_S1C_S1E_T6_T7_T9_mT8_S1G_bDpT10_ENKUlT_T0_E_clISt17integral_constantIbLb0EES1T_IbLb1EEEEDaS1P_S1Q_EUlS1P_E_NS1_11comp_targetILNS1_3genE4ELNS1_11target_archE910ELNS1_3gpuE8ELNS1_3repE0EEENS1_30default_config_static_selectorELNS0_4arch9wavefront6targetE1EEEvS12_.kd
    .uniform_work_group_size: 1
    .uses_dynamic_stack: false
    .vgpr_count:     0
    .vgpr_spill_count: 0
    .wavefront_size: 64
  - .args:
      - .offset:         0
        .size:           184
        .value_kind:     by_value
    .group_segment_fixed_size: 0
    .kernarg_segment_align: 8
    .kernarg_segment_size: 184
    .language:       OpenCL C
    .language_version:
      - 2
      - 0
    .max_flat_workgroup_size: 256
    .name:           _ZN7rocprim17ROCPRIM_400000_NS6detail17trampoline_kernelINS0_13select_configILj256ELj13ELNS0_17block_load_methodE3ELS4_3ELS4_3ELNS0_20block_scan_algorithmE0ELj4294967295EEENS1_25partition_config_selectorILNS1_17partition_subalgoE4EjNS0_10empty_typeEbEEZZNS1_14partition_implILS8_4ELb0ES6_15HIP_vector_typeIjLj2EENS0_17counting_iteratorIjlEEPS9_SG_NS0_5tupleIJPjSI_NS0_16reverse_iteratorISI_EEEEENSH_IJSG_SG_SG_EEES9_SI_JZNS1_25segmented_radix_sort_implINS0_14default_configELb1EPKhPhPKlPlN2at6native12_GLOBAL__N_18offset_tEEE10hipError_tPvRmT1_PNSt15iterator_traitsIS12_E10value_typeET2_T3_PNS13_IS18_E10value_typeET4_jRbjT5_S1E_jjP12ihipStream_tbEUljE_ZNSN_ISO_Lb1ESQ_SR_ST_SU_SY_EESZ_S10_S11_S12_S16_S17_S18_S1B_S1C_jS1D_jS1E_S1E_jjS1G_bEUljE0_EEESZ_S10_S11_S18_S1C_S1E_T6_T7_T9_mT8_S1G_bDpT10_ENKUlT_T0_E_clISt17integral_constantIbLb0EES1T_IbLb1EEEEDaS1P_S1Q_EUlS1P_E_NS1_11comp_targetILNS1_3genE3ELNS1_11target_archE908ELNS1_3gpuE7ELNS1_3repE0EEENS1_30default_config_static_selectorELNS0_4arch9wavefront6targetE1EEEvS12_
    .private_segment_fixed_size: 0
    .sgpr_count:     4
    .sgpr_spill_count: 0
    .symbol:         _ZN7rocprim17ROCPRIM_400000_NS6detail17trampoline_kernelINS0_13select_configILj256ELj13ELNS0_17block_load_methodE3ELS4_3ELS4_3ELNS0_20block_scan_algorithmE0ELj4294967295EEENS1_25partition_config_selectorILNS1_17partition_subalgoE4EjNS0_10empty_typeEbEEZZNS1_14partition_implILS8_4ELb0ES6_15HIP_vector_typeIjLj2EENS0_17counting_iteratorIjlEEPS9_SG_NS0_5tupleIJPjSI_NS0_16reverse_iteratorISI_EEEEENSH_IJSG_SG_SG_EEES9_SI_JZNS1_25segmented_radix_sort_implINS0_14default_configELb1EPKhPhPKlPlN2at6native12_GLOBAL__N_18offset_tEEE10hipError_tPvRmT1_PNSt15iterator_traitsIS12_E10value_typeET2_T3_PNS13_IS18_E10value_typeET4_jRbjT5_S1E_jjP12ihipStream_tbEUljE_ZNSN_ISO_Lb1ESQ_SR_ST_SU_SY_EESZ_S10_S11_S12_S16_S17_S18_S1B_S1C_jS1D_jS1E_S1E_jjS1G_bEUljE0_EEESZ_S10_S11_S18_S1C_S1E_T6_T7_T9_mT8_S1G_bDpT10_ENKUlT_T0_E_clISt17integral_constantIbLb0EES1T_IbLb1EEEEDaS1P_S1Q_EUlS1P_E_NS1_11comp_targetILNS1_3genE3ELNS1_11target_archE908ELNS1_3gpuE7ELNS1_3repE0EEENS1_30default_config_static_selectorELNS0_4arch9wavefront6targetE1EEEvS12_.kd
    .uniform_work_group_size: 1
    .uses_dynamic_stack: false
    .vgpr_count:     0
    .vgpr_spill_count: 0
    .wavefront_size: 64
  - .args:
      - .offset:         0
        .size:           184
        .value_kind:     by_value
    .group_segment_fixed_size: 13328
    .kernarg_segment_align: 8
    .kernarg_segment_size: 184
    .language:       OpenCL C
    .language_version:
      - 2
      - 0
    .max_flat_workgroup_size: 256
    .name:           _ZN7rocprim17ROCPRIM_400000_NS6detail17trampoline_kernelINS0_13select_configILj256ELj13ELNS0_17block_load_methodE3ELS4_3ELS4_3ELNS0_20block_scan_algorithmE0ELj4294967295EEENS1_25partition_config_selectorILNS1_17partition_subalgoE4EjNS0_10empty_typeEbEEZZNS1_14partition_implILS8_4ELb0ES6_15HIP_vector_typeIjLj2EENS0_17counting_iteratorIjlEEPS9_SG_NS0_5tupleIJPjSI_NS0_16reverse_iteratorISI_EEEEENSH_IJSG_SG_SG_EEES9_SI_JZNS1_25segmented_radix_sort_implINS0_14default_configELb1EPKhPhPKlPlN2at6native12_GLOBAL__N_18offset_tEEE10hipError_tPvRmT1_PNSt15iterator_traitsIS12_E10value_typeET2_T3_PNS13_IS18_E10value_typeET4_jRbjT5_S1E_jjP12ihipStream_tbEUljE_ZNSN_ISO_Lb1ESQ_SR_ST_SU_SY_EESZ_S10_S11_S12_S16_S17_S18_S1B_S1C_jS1D_jS1E_S1E_jjS1G_bEUljE0_EEESZ_S10_S11_S18_S1C_S1E_T6_T7_T9_mT8_S1G_bDpT10_ENKUlT_T0_E_clISt17integral_constantIbLb0EES1T_IbLb1EEEEDaS1P_S1Q_EUlS1P_E_NS1_11comp_targetILNS1_3genE2ELNS1_11target_archE906ELNS1_3gpuE6ELNS1_3repE0EEENS1_30default_config_static_selectorELNS0_4arch9wavefront6targetE1EEEvS12_
    .private_segment_fixed_size: 0
    .sgpr_count:     91
    .sgpr_spill_count: 0
    .symbol:         _ZN7rocprim17ROCPRIM_400000_NS6detail17trampoline_kernelINS0_13select_configILj256ELj13ELNS0_17block_load_methodE3ELS4_3ELS4_3ELNS0_20block_scan_algorithmE0ELj4294967295EEENS1_25partition_config_selectorILNS1_17partition_subalgoE4EjNS0_10empty_typeEbEEZZNS1_14partition_implILS8_4ELb0ES6_15HIP_vector_typeIjLj2EENS0_17counting_iteratorIjlEEPS9_SG_NS0_5tupleIJPjSI_NS0_16reverse_iteratorISI_EEEEENSH_IJSG_SG_SG_EEES9_SI_JZNS1_25segmented_radix_sort_implINS0_14default_configELb1EPKhPhPKlPlN2at6native12_GLOBAL__N_18offset_tEEE10hipError_tPvRmT1_PNSt15iterator_traitsIS12_E10value_typeET2_T3_PNS13_IS18_E10value_typeET4_jRbjT5_S1E_jjP12ihipStream_tbEUljE_ZNSN_ISO_Lb1ESQ_SR_ST_SU_SY_EESZ_S10_S11_S12_S16_S17_S18_S1B_S1C_jS1D_jS1E_S1E_jjS1G_bEUljE0_EEESZ_S10_S11_S18_S1C_S1E_T6_T7_T9_mT8_S1G_bDpT10_ENKUlT_T0_E_clISt17integral_constantIbLb0EES1T_IbLb1EEEEDaS1P_S1Q_EUlS1P_E_NS1_11comp_targetILNS1_3genE2ELNS1_11target_archE906ELNS1_3gpuE6ELNS1_3repE0EEENS1_30default_config_static_selectorELNS0_4arch9wavefront6targetE1EEEvS12_.kd
    .uniform_work_group_size: 1
    .uses_dynamic_stack: false
    .vgpr_count:     91
    .vgpr_spill_count: 0
    .wavefront_size: 64
  - .args:
      - .offset:         0
        .size:           184
        .value_kind:     by_value
    .group_segment_fixed_size: 0
    .kernarg_segment_align: 8
    .kernarg_segment_size: 184
    .language:       OpenCL C
    .language_version:
      - 2
      - 0
    .max_flat_workgroup_size: 256
    .name:           _ZN7rocprim17ROCPRIM_400000_NS6detail17trampoline_kernelINS0_13select_configILj256ELj13ELNS0_17block_load_methodE3ELS4_3ELS4_3ELNS0_20block_scan_algorithmE0ELj4294967295EEENS1_25partition_config_selectorILNS1_17partition_subalgoE4EjNS0_10empty_typeEbEEZZNS1_14partition_implILS8_4ELb0ES6_15HIP_vector_typeIjLj2EENS0_17counting_iteratorIjlEEPS9_SG_NS0_5tupleIJPjSI_NS0_16reverse_iteratorISI_EEEEENSH_IJSG_SG_SG_EEES9_SI_JZNS1_25segmented_radix_sort_implINS0_14default_configELb1EPKhPhPKlPlN2at6native12_GLOBAL__N_18offset_tEEE10hipError_tPvRmT1_PNSt15iterator_traitsIS12_E10value_typeET2_T3_PNS13_IS18_E10value_typeET4_jRbjT5_S1E_jjP12ihipStream_tbEUljE_ZNSN_ISO_Lb1ESQ_SR_ST_SU_SY_EESZ_S10_S11_S12_S16_S17_S18_S1B_S1C_jS1D_jS1E_S1E_jjS1G_bEUljE0_EEESZ_S10_S11_S18_S1C_S1E_T6_T7_T9_mT8_S1G_bDpT10_ENKUlT_T0_E_clISt17integral_constantIbLb0EES1T_IbLb1EEEEDaS1P_S1Q_EUlS1P_E_NS1_11comp_targetILNS1_3genE10ELNS1_11target_archE1200ELNS1_3gpuE4ELNS1_3repE0EEENS1_30default_config_static_selectorELNS0_4arch9wavefront6targetE1EEEvS12_
    .private_segment_fixed_size: 0
    .sgpr_count:     4
    .sgpr_spill_count: 0
    .symbol:         _ZN7rocprim17ROCPRIM_400000_NS6detail17trampoline_kernelINS0_13select_configILj256ELj13ELNS0_17block_load_methodE3ELS4_3ELS4_3ELNS0_20block_scan_algorithmE0ELj4294967295EEENS1_25partition_config_selectorILNS1_17partition_subalgoE4EjNS0_10empty_typeEbEEZZNS1_14partition_implILS8_4ELb0ES6_15HIP_vector_typeIjLj2EENS0_17counting_iteratorIjlEEPS9_SG_NS0_5tupleIJPjSI_NS0_16reverse_iteratorISI_EEEEENSH_IJSG_SG_SG_EEES9_SI_JZNS1_25segmented_radix_sort_implINS0_14default_configELb1EPKhPhPKlPlN2at6native12_GLOBAL__N_18offset_tEEE10hipError_tPvRmT1_PNSt15iterator_traitsIS12_E10value_typeET2_T3_PNS13_IS18_E10value_typeET4_jRbjT5_S1E_jjP12ihipStream_tbEUljE_ZNSN_ISO_Lb1ESQ_SR_ST_SU_SY_EESZ_S10_S11_S12_S16_S17_S18_S1B_S1C_jS1D_jS1E_S1E_jjS1G_bEUljE0_EEESZ_S10_S11_S18_S1C_S1E_T6_T7_T9_mT8_S1G_bDpT10_ENKUlT_T0_E_clISt17integral_constantIbLb0EES1T_IbLb1EEEEDaS1P_S1Q_EUlS1P_E_NS1_11comp_targetILNS1_3genE10ELNS1_11target_archE1200ELNS1_3gpuE4ELNS1_3repE0EEENS1_30default_config_static_selectorELNS0_4arch9wavefront6targetE1EEEvS12_.kd
    .uniform_work_group_size: 1
    .uses_dynamic_stack: false
    .vgpr_count:     0
    .vgpr_spill_count: 0
    .wavefront_size: 64
  - .args:
      - .offset:         0
        .size:           184
        .value_kind:     by_value
    .group_segment_fixed_size: 0
    .kernarg_segment_align: 8
    .kernarg_segment_size: 184
    .language:       OpenCL C
    .language_version:
      - 2
      - 0
    .max_flat_workgroup_size: 256
    .name:           _ZN7rocprim17ROCPRIM_400000_NS6detail17trampoline_kernelINS0_13select_configILj256ELj13ELNS0_17block_load_methodE3ELS4_3ELS4_3ELNS0_20block_scan_algorithmE0ELj4294967295EEENS1_25partition_config_selectorILNS1_17partition_subalgoE4EjNS0_10empty_typeEbEEZZNS1_14partition_implILS8_4ELb0ES6_15HIP_vector_typeIjLj2EENS0_17counting_iteratorIjlEEPS9_SG_NS0_5tupleIJPjSI_NS0_16reverse_iteratorISI_EEEEENSH_IJSG_SG_SG_EEES9_SI_JZNS1_25segmented_radix_sort_implINS0_14default_configELb1EPKhPhPKlPlN2at6native12_GLOBAL__N_18offset_tEEE10hipError_tPvRmT1_PNSt15iterator_traitsIS12_E10value_typeET2_T3_PNS13_IS18_E10value_typeET4_jRbjT5_S1E_jjP12ihipStream_tbEUljE_ZNSN_ISO_Lb1ESQ_SR_ST_SU_SY_EESZ_S10_S11_S12_S16_S17_S18_S1B_S1C_jS1D_jS1E_S1E_jjS1G_bEUljE0_EEESZ_S10_S11_S18_S1C_S1E_T6_T7_T9_mT8_S1G_bDpT10_ENKUlT_T0_E_clISt17integral_constantIbLb0EES1T_IbLb1EEEEDaS1P_S1Q_EUlS1P_E_NS1_11comp_targetILNS1_3genE9ELNS1_11target_archE1100ELNS1_3gpuE3ELNS1_3repE0EEENS1_30default_config_static_selectorELNS0_4arch9wavefront6targetE1EEEvS12_
    .private_segment_fixed_size: 0
    .sgpr_count:     4
    .sgpr_spill_count: 0
    .symbol:         _ZN7rocprim17ROCPRIM_400000_NS6detail17trampoline_kernelINS0_13select_configILj256ELj13ELNS0_17block_load_methodE3ELS4_3ELS4_3ELNS0_20block_scan_algorithmE0ELj4294967295EEENS1_25partition_config_selectorILNS1_17partition_subalgoE4EjNS0_10empty_typeEbEEZZNS1_14partition_implILS8_4ELb0ES6_15HIP_vector_typeIjLj2EENS0_17counting_iteratorIjlEEPS9_SG_NS0_5tupleIJPjSI_NS0_16reverse_iteratorISI_EEEEENSH_IJSG_SG_SG_EEES9_SI_JZNS1_25segmented_radix_sort_implINS0_14default_configELb1EPKhPhPKlPlN2at6native12_GLOBAL__N_18offset_tEEE10hipError_tPvRmT1_PNSt15iterator_traitsIS12_E10value_typeET2_T3_PNS13_IS18_E10value_typeET4_jRbjT5_S1E_jjP12ihipStream_tbEUljE_ZNSN_ISO_Lb1ESQ_SR_ST_SU_SY_EESZ_S10_S11_S12_S16_S17_S18_S1B_S1C_jS1D_jS1E_S1E_jjS1G_bEUljE0_EEESZ_S10_S11_S18_S1C_S1E_T6_T7_T9_mT8_S1G_bDpT10_ENKUlT_T0_E_clISt17integral_constantIbLb0EES1T_IbLb1EEEEDaS1P_S1Q_EUlS1P_E_NS1_11comp_targetILNS1_3genE9ELNS1_11target_archE1100ELNS1_3gpuE3ELNS1_3repE0EEENS1_30default_config_static_selectorELNS0_4arch9wavefront6targetE1EEEvS12_.kd
    .uniform_work_group_size: 1
    .uses_dynamic_stack: false
    .vgpr_count:     0
    .vgpr_spill_count: 0
    .wavefront_size: 64
  - .args:
      - .offset:         0
        .size:           184
        .value_kind:     by_value
    .group_segment_fixed_size: 0
    .kernarg_segment_align: 8
    .kernarg_segment_size: 184
    .language:       OpenCL C
    .language_version:
      - 2
      - 0
    .max_flat_workgroup_size: 256
    .name:           _ZN7rocprim17ROCPRIM_400000_NS6detail17trampoline_kernelINS0_13select_configILj256ELj13ELNS0_17block_load_methodE3ELS4_3ELS4_3ELNS0_20block_scan_algorithmE0ELj4294967295EEENS1_25partition_config_selectorILNS1_17partition_subalgoE4EjNS0_10empty_typeEbEEZZNS1_14partition_implILS8_4ELb0ES6_15HIP_vector_typeIjLj2EENS0_17counting_iteratorIjlEEPS9_SG_NS0_5tupleIJPjSI_NS0_16reverse_iteratorISI_EEEEENSH_IJSG_SG_SG_EEES9_SI_JZNS1_25segmented_radix_sort_implINS0_14default_configELb1EPKhPhPKlPlN2at6native12_GLOBAL__N_18offset_tEEE10hipError_tPvRmT1_PNSt15iterator_traitsIS12_E10value_typeET2_T3_PNS13_IS18_E10value_typeET4_jRbjT5_S1E_jjP12ihipStream_tbEUljE_ZNSN_ISO_Lb1ESQ_SR_ST_SU_SY_EESZ_S10_S11_S12_S16_S17_S18_S1B_S1C_jS1D_jS1E_S1E_jjS1G_bEUljE0_EEESZ_S10_S11_S18_S1C_S1E_T6_T7_T9_mT8_S1G_bDpT10_ENKUlT_T0_E_clISt17integral_constantIbLb0EES1T_IbLb1EEEEDaS1P_S1Q_EUlS1P_E_NS1_11comp_targetILNS1_3genE8ELNS1_11target_archE1030ELNS1_3gpuE2ELNS1_3repE0EEENS1_30default_config_static_selectorELNS0_4arch9wavefront6targetE1EEEvS12_
    .private_segment_fixed_size: 0
    .sgpr_count:     4
    .sgpr_spill_count: 0
    .symbol:         _ZN7rocprim17ROCPRIM_400000_NS6detail17trampoline_kernelINS0_13select_configILj256ELj13ELNS0_17block_load_methodE3ELS4_3ELS4_3ELNS0_20block_scan_algorithmE0ELj4294967295EEENS1_25partition_config_selectorILNS1_17partition_subalgoE4EjNS0_10empty_typeEbEEZZNS1_14partition_implILS8_4ELb0ES6_15HIP_vector_typeIjLj2EENS0_17counting_iteratorIjlEEPS9_SG_NS0_5tupleIJPjSI_NS0_16reverse_iteratorISI_EEEEENSH_IJSG_SG_SG_EEES9_SI_JZNS1_25segmented_radix_sort_implINS0_14default_configELb1EPKhPhPKlPlN2at6native12_GLOBAL__N_18offset_tEEE10hipError_tPvRmT1_PNSt15iterator_traitsIS12_E10value_typeET2_T3_PNS13_IS18_E10value_typeET4_jRbjT5_S1E_jjP12ihipStream_tbEUljE_ZNSN_ISO_Lb1ESQ_SR_ST_SU_SY_EESZ_S10_S11_S12_S16_S17_S18_S1B_S1C_jS1D_jS1E_S1E_jjS1G_bEUljE0_EEESZ_S10_S11_S18_S1C_S1E_T6_T7_T9_mT8_S1G_bDpT10_ENKUlT_T0_E_clISt17integral_constantIbLb0EES1T_IbLb1EEEEDaS1P_S1Q_EUlS1P_E_NS1_11comp_targetILNS1_3genE8ELNS1_11target_archE1030ELNS1_3gpuE2ELNS1_3repE0EEENS1_30default_config_static_selectorELNS0_4arch9wavefront6targetE1EEEvS12_.kd
    .uniform_work_group_size: 1
    .uses_dynamic_stack: false
    .vgpr_count:     0
    .vgpr_spill_count: 0
    .wavefront_size: 64
  - .args:
      - .address_space:  global
        .offset:         0
        .size:           8
        .value_kind:     global_buffer
      - .offset:         8
        .size:           4
        .value_kind:     by_value
      - .offset:         12
        .size:           1
        .value_kind:     by_value
      - .offset:         16
        .size:           4
        .value_kind:     by_value
      - .address_space:  global
        .offset:         24
        .size:           8
        .value_kind:     global_buffer
      - .offset:         32
        .size:           4
        .value_kind:     hidden_block_count_x
      - .offset:         36
        .size:           4
        .value_kind:     hidden_block_count_y
      - .offset:         40
        .size:           4
        .value_kind:     hidden_block_count_z
      - .offset:         44
        .size:           2
        .value_kind:     hidden_group_size_x
      - .offset:         46
        .size:           2
        .value_kind:     hidden_group_size_y
      - .offset:         48
        .size:           2
        .value_kind:     hidden_group_size_z
      - .offset:         50
        .size:           2
        .value_kind:     hidden_remainder_x
      - .offset:         52
        .size:           2
        .value_kind:     hidden_remainder_y
      - .offset:         54
        .size:           2
        .value_kind:     hidden_remainder_z
      - .offset:         72
        .size:           8
        .value_kind:     hidden_global_offset_x
      - .offset:         80
        .size:           8
        .value_kind:     hidden_global_offset_y
      - .offset:         88
        .size:           8
        .value_kind:     hidden_global_offset_z
      - .offset:         96
        .size:           2
        .value_kind:     hidden_grid_dims
    .group_segment_fixed_size: 0
    .kernarg_segment_align: 8
    .kernarg_segment_size: 288
    .language:       OpenCL C
    .language_version:
      - 2
      - 0
    .max_flat_workgroup_size: 256
    .name:           _ZN7rocprim17ROCPRIM_400000_NS6detail31init_lookback_scan_state_kernelINS1_19lookback_scan_stateIjLb0ELb1EEENS1_16block_id_wrapperIjLb0EEEEEvT_jT0_jPNS7_10value_typeE
    .private_segment_fixed_size: 0
    .sgpr_count:     13
    .sgpr_spill_count: 0
    .symbol:         _ZN7rocprim17ROCPRIM_400000_NS6detail31init_lookback_scan_state_kernelINS1_19lookback_scan_stateIjLb0ELb1EEENS1_16block_id_wrapperIjLb0EEEEEvT_jT0_jPNS7_10value_typeE.kd
    .uniform_work_group_size: 1
    .uses_dynamic_stack: false
    .vgpr_count:     6
    .vgpr_spill_count: 0
    .wavefront_size: 64
  - .args:
      - .offset:         0
        .size:           144
        .value_kind:     by_value
    .group_segment_fixed_size: 0
    .kernarg_segment_align: 8
    .kernarg_segment_size: 144
    .language:       OpenCL C
    .language_version:
      - 2
      - 0
    .max_flat_workgroup_size: 256
    .name:           _ZN7rocprim17ROCPRIM_400000_NS6detail17trampoline_kernelINS0_13select_configILj256ELj13ELNS0_17block_load_methodE3ELS4_3ELS4_3ELNS0_20block_scan_algorithmE0ELj4294967295EEENS1_25partition_config_selectorILNS1_17partition_subalgoE3EjNS0_10empty_typeEbEEZZNS1_14partition_implILS8_3ELb0ES6_jNS0_17counting_iteratorIjlEEPS9_SE_NS0_5tupleIJPjSE_EEENSF_IJSE_SE_EEES9_SG_JZNS1_25segmented_radix_sort_implINS0_14default_configELb1EPKhPhPKlPlN2at6native12_GLOBAL__N_18offset_tEEE10hipError_tPvRmT1_PNSt15iterator_traitsISY_E10value_typeET2_T3_PNSZ_IS14_E10value_typeET4_jRbjT5_S1A_jjP12ihipStream_tbEUljE_EEESV_SW_SX_S14_S18_S1A_T6_T7_T9_mT8_S1C_bDpT10_ENKUlT_T0_E_clISt17integral_constantIbLb0EES1P_EEDaS1K_S1L_EUlS1K_E_NS1_11comp_targetILNS1_3genE0ELNS1_11target_archE4294967295ELNS1_3gpuE0ELNS1_3repE0EEENS1_30default_config_static_selectorELNS0_4arch9wavefront6targetE1EEEvSY_
    .private_segment_fixed_size: 0
    .sgpr_count:     4
    .sgpr_spill_count: 0
    .symbol:         _ZN7rocprim17ROCPRIM_400000_NS6detail17trampoline_kernelINS0_13select_configILj256ELj13ELNS0_17block_load_methodE3ELS4_3ELS4_3ELNS0_20block_scan_algorithmE0ELj4294967295EEENS1_25partition_config_selectorILNS1_17partition_subalgoE3EjNS0_10empty_typeEbEEZZNS1_14partition_implILS8_3ELb0ES6_jNS0_17counting_iteratorIjlEEPS9_SE_NS0_5tupleIJPjSE_EEENSF_IJSE_SE_EEES9_SG_JZNS1_25segmented_radix_sort_implINS0_14default_configELb1EPKhPhPKlPlN2at6native12_GLOBAL__N_18offset_tEEE10hipError_tPvRmT1_PNSt15iterator_traitsISY_E10value_typeET2_T3_PNSZ_IS14_E10value_typeET4_jRbjT5_S1A_jjP12ihipStream_tbEUljE_EEESV_SW_SX_S14_S18_S1A_T6_T7_T9_mT8_S1C_bDpT10_ENKUlT_T0_E_clISt17integral_constantIbLb0EES1P_EEDaS1K_S1L_EUlS1K_E_NS1_11comp_targetILNS1_3genE0ELNS1_11target_archE4294967295ELNS1_3gpuE0ELNS1_3repE0EEENS1_30default_config_static_selectorELNS0_4arch9wavefront6targetE1EEEvSY_.kd
    .uniform_work_group_size: 1
    .uses_dynamic_stack: false
    .vgpr_count:     0
    .vgpr_spill_count: 0
    .wavefront_size: 64
  - .args:
      - .offset:         0
        .size:           144
        .value_kind:     by_value
    .group_segment_fixed_size: 0
    .kernarg_segment_align: 8
    .kernarg_segment_size: 144
    .language:       OpenCL C
    .language_version:
      - 2
      - 0
    .max_flat_workgroup_size: 256
    .name:           _ZN7rocprim17ROCPRIM_400000_NS6detail17trampoline_kernelINS0_13select_configILj256ELj13ELNS0_17block_load_methodE3ELS4_3ELS4_3ELNS0_20block_scan_algorithmE0ELj4294967295EEENS1_25partition_config_selectorILNS1_17partition_subalgoE3EjNS0_10empty_typeEbEEZZNS1_14partition_implILS8_3ELb0ES6_jNS0_17counting_iteratorIjlEEPS9_SE_NS0_5tupleIJPjSE_EEENSF_IJSE_SE_EEES9_SG_JZNS1_25segmented_radix_sort_implINS0_14default_configELb1EPKhPhPKlPlN2at6native12_GLOBAL__N_18offset_tEEE10hipError_tPvRmT1_PNSt15iterator_traitsISY_E10value_typeET2_T3_PNSZ_IS14_E10value_typeET4_jRbjT5_S1A_jjP12ihipStream_tbEUljE_EEESV_SW_SX_S14_S18_S1A_T6_T7_T9_mT8_S1C_bDpT10_ENKUlT_T0_E_clISt17integral_constantIbLb0EES1P_EEDaS1K_S1L_EUlS1K_E_NS1_11comp_targetILNS1_3genE5ELNS1_11target_archE942ELNS1_3gpuE9ELNS1_3repE0EEENS1_30default_config_static_selectorELNS0_4arch9wavefront6targetE1EEEvSY_
    .private_segment_fixed_size: 0
    .sgpr_count:     4
    .sgpr_spill_count: 0
    .symbol:         _ZN7rocprim17ROCPRIM_400000_NS6detail17trampoline_kernelINS0_13select_configILj256ELj13ELNS0_17block_load_methodE3ELS4_3ELS4_3ELNS0_20block_scan_algorithmE0ELj4294967295EEENS1_25partition_config_selectorILNS1_17partition_subalgoE3EjNS0_10empty_typeEbEEZZNS1_14partition_implILS8_3ELb0ES6_jNS0_17counting_iteratorIjlEEPS9_SE_NS0_5tupleIJPjSE_EEENSF_IJSE_SE_EEES9_SG_JZNS1_25segmented_radix_sort_implINS0_14default_configELb1EPKhPhPKlPlN2at6native12_GLOBAL__N_18offset_tEEE10hipError_tPvRmT1_PNSt15iterator_traitsISY_E10value_typeET2_T3_PNSZ_IS14_E10value_typeET4_jRbjT5_S1A_jjP12ihipStream_tbEUljE_EEESV_SW_SX_S14_S18_S1A_T6_T7_T9_mT8_S1C_bDpT10_ENKUlT_T0_E_clISt17integral_constantIbLb0EES1P_EEDaS1K_S1L_EUlS1K_E_NS1_11comp_targetILNS1_3genE5ELNS1_11target_archE942ELNS1_3gpuE9ELNS1_3repE0EEENS1_30default_config_static_selectorELNS0_4arch9wavefront6targetE1EEEvSY_.kd
    .uniform_work_group_size: 1
    .uses_dynamic_stack: false
    .vgpr_count:     0
    .vgpr_spill_count: 0
    .wavefront_size: 64
  - .args:
      - .offset:         0
        .size:           144
        .value_kind:     by_value
    .group_segment_fixed_size: 0
    .kernarg_segment_align: 8
    .kernarg_segment_size: 144
    .language:       OpenCL C
    .language_version:
      - 2
      - 0
    .max_flat_workgroup_size: 256
    .name:           _ZN7rocprim17ROCPRIM_400000_NS6detail17trampoline_kernelINS0_13select_configILj256ELj13ELNS0_17block_load_methodE3ELS4_3ELS4_3ELNS0_20block_scan_algorithmE0ELj4294967295EEENS1_25partition_config_selectorILNS1_17partition_subalgoE3EjNS0_10empty_typeEbEEZZNS1_14partition_implILS8_3ELb0ES6_jNS0_17counting_iteratorIjlEEPS9_SE_NS0_5tupleIJPjSE_EEENSF_IJSE_SE_EEES9_SG_JZNS1_25segmented_radix_sort_implINS0_14default_configELb1EPKhPhPKlPlN2at6native12_GLOBAL__N_18offset_tEEE10hipError_tPvRmT1_PNSt15iterator_traitsISY_E10value_typeET2_T3_PNSZ_IS14_E10value_typeET4_jRbjT5_S1A_jjP12ihipStream_tbEUljE_EEESV_SW_SX_S14_S18_S1A_T6_T7_T9_mT8_S1C_bDpT10_ENKUlT_T0_E_clISt17integral_constantIbLb0EES1P_EEDaS1K_S1L_EUlS1K_E_NS1_11comp_targetILNS1_3genE4ELNS1_11target_archE910ELNS1_3gpuE8ELNS1_3repE0EEENS1_30default_config_static_selectorELNS0_4arch9wavefront6targetE1EEEvSY_
    .private_segment_fixed_size: 0
    .sgpr_count:     4
    .sgpr_spill_count: 0
    .symbol:         _ZN7rocprim17ROCPRIM_400000_NS6detail17trampoline_kernelINS0_13select_configILj256ELj13ELNS0_17block_load_methodE3ELS4_3ELS4_3ELNS0_20block_scan_algorithmE0ELj4294967295EEENS1_25partition_config_selectorILNS1_17partition_subalgoE3EjNS0_10empty_typeEbEEZZNS1_14partition_implILS8_3ELb0ES6_jNS0_17counting_iteratorIjlEEPS9_SE_NS0_5tupleIJPjSE_EEENSF_IJSE_SE_EEES9_SG_JZNS1_25segmented_radix_sort_implINS0_14default_configELb1EPKhPhPKlPlN2at6native12_GLOBAL__N_18offset_tEEE10hipError_tPvRmT1_PNSt15iterator_traitsISY_E10value_typeET2_T3_PNSZ_IS14_E10value_typeET4_jRbjT5_S1A_jjP12ihipStream_tbEUljE_EEESV_SW_SX_S14_S18_S1A_T6_T7_T9_mT8_S1C_bDpT10_ENKUlT_T0_E_clISt17integral_constantIbLb0EES1P_EEDaS1K_S1L_EUlS1K_E_NS1_11comp_targetILNS1_3genE4ELNS1_11target_archE910ELNS1_3gpuE8ELNS1_3repE0EEENS1_30default_config_static_selectorELNS0_4arch9wavefront6targetE1EEEvSY_.kd
    .uniform_work_group_size: 1
    .uses_dynamic_stack: false
    .vgpr_count:     0
    .vgpr_spill_count: 0
    .wavefront_size: 64
  - .args:
      - .offset:         0
        .size:           144
        .value_kind:     by_value
    .group_segment_fixed_size: 0
    .kernarg_segment_align: 8
    .kernarg_segment_size: 144
    .language:       OpenCL C
    .language_version:
      - 2
      - 0
    .max_flat_workgroup_size: 256
    .name:           _ZN7rocprim17ROCPRIM_400000_NS6detail17trampoline_kernelINS0_13select_configILj256ELj13ELNS0_17block_load_methodE3ELS4_3ELS4_3ELNS0_20block_scan_algorithmE0ELj4294967295EEENS1_25partition_config_selectorILNS1_17partition_subalgoE3EjNS0_10empty_typeEbEEZZNS1_14partition_implILS8_3ELb0ES6_jNS0_17counting_iteratorIjlEEPS9_SE_NS0_5tupleIJPjSE_EEENSF_IJSE_SE_EEES9_SG_JZNS1_25segmented_radix_sort_implINS0_14default_configELb1EPKhPhPKlPlN2at6native12_GLOBAL__N_18offset_tEEE10hipError_tPvRmT1_PNSt15iterator_traitsISY_E10value_typeET2_T3_PNSZ_IS14_E10value_typeET4_jRbjT5_S1A_jjP12ihipStream_tbEUljE_EEESV_SW_SX_S14_S18_S1A_T6_T7_T9_mT8_S1C_bDpT10_ENKUlT_T0_E_clISt17integral_constantIbLb0EES1P_EEDaS1K_S1L_EUlS1K_E_NS1_11comp_targetILNS1_3genE3ELNS1_11target_archE908ELNS1_3gpuE7ELNS1_3repE0EEENS1_30default_config_static_selectorELNS0_4arch9wavefront6targetE1EEEvSY_
    .private_segment_fixed_size: 0
    .sgpr_count:     4
    .sgpr_spill_count: 0
    .symbol:         _ZN7rocprim17ROCPRIM_400000_NS6detail17trampoline_kernelINS0_13select_configILj256ELj13ELNS0_17block_load_methodE3ELS4_3ELS4_3ELNS0_20block_scan_algorithmE0ELj4294967295EEENS1_25partition_config_selectorILNS1_17partition_subalgoE3EjNS0_10empty_typeEbEEZZNS1_14partition_implILS8_3ELb0ES6_jNS0_17counting_iteratorIjlEEPS9_SE_NS0_5tupleIJPjSE_EEENSF_IJSE_SE_EEES9_SG_JZNS1_25segmented_radix_sort_implINS0_14default_configELb1EPKhPhPKlPlN2at6native12_GLOBAL__N_18offset_tEEE10hipError_tPvRmT1_PNSt15iterator_traitsISY_E10value_typeET2_T3_PNSZ_IS14_E10value_typeET4_jRbjT5_S1A_jjP12ihipStream_tbEUljE_EEESV_SW_SX_S14_S18_S1A_T6_T7_T9_mT8_S1C_bDpT10_ENKUlT_T0_E_clISt17integral_constantIbLb0EES1P_EEDaS1K_S1L_EUlS1K_E_NS1_11comp_targetILNS1_3genE3ELNS1_11target_archE908ELNS1_3gpuE7ELNS1_3repE0EEENS1_30default_config_static_selectorELNS0_4arch9wavefront6targetE1EEEvSY_.kd
    .uniform_work_group_size: 1
    .uses_dynamic_stack: false
    .vgpr_count:     0
    .vgpr_spill_count: 0
    .wavefront_size: 64
  - .args:
      - .offset:         0
        .size:           144
        .value_kind:     by_value
    .group_segment_fixed_size: 13320
    .kernarg_segment_align: 8
    .kernarg_segment_size: 144
    .language:       OpenCL C
    .language_version:
      - 2
      - 0
    .max_flat_workgroup_size: 256
    .name:           _ZN7rocprim17ROCPRIM_400000_NS6detail17trampoline_kernelINS0_13select_configILj256ELj13ELNS0_17block_load_methodE3ELS4_3ELS4_3ELNS0_20block_scan_algorithmE0ELj4294967295EEENS1_25partition_config_selectorILNS1_17partition_subalgoE3EjNS0_10empty_typeEbEEZZNS1_14partition_implILS8_3ELb0ES6_jNS0_17counting_iteratorIjlEEPS9_SE_NS0_5tupleIJPjSE_EEENSF_IJSE_SE_EEES9_SG_JZNS1_25segmented_radix_sort_implINS0_14default_configELb1EPKhPhPKlPlN2at6native12_GLOBAL__N_18offset_tEEE10hipError_tPvRmT1_PNSt15iterator_traitsISY_E10value_typeET2_T3_PNSZ_IS14_E10value_typeET4_jRbjT5_S1A_jjP12ihipStream_tbEUljE_EEESV_SW_SX_S14_S18_S1A_T6_T7_T9_mT8_S1C_bDpT10_ENKUlT_T0_E_clISt17integral_constantIbLb0EES1P_EEDaS1K_S1L_EUlS1K_E_NS1_11comp_targetILNS1_3genE2ELNS1_11target_archE906ELNS1_3gpuE6ELNS1_3repE0EEENS1_30default_config_static_selectorELNS0_4arch9wavefront6targetE1EEEvSY_
    .private_segment_fixed_size: 0
    .sgpr_count:     52
    .sgpr_spill_count: 0
    .symbol:         _ZN7rocprim17ROCPRIM_400000_NS6detail17trampoline_kernelINS0_13select_configILj256ELj13ELNS0_17block_load_methodE3ELS4_3ELS4_3ELNS0_20block_scan_algorithmE0ELj4294967295EEENS1_25partition_config_selectorILNS1_17partition_subalgoE3EjNS0_10empty_typeEbEEZZNS1_14partition_implILS8_3ELb0ES6_jNS0_17counting_iteratorIjlEEPS9_SE_NS0_5tupleIJPjSE_EEENSF_IJSE_SE_EEES9_SG_JZNS1_25segmented_radix_sort_implINS0_14default_configELb1EPKhPhPKlPlN2at6native12_GLOBAL__N_18offset_tEEE10hipError_tPvRmT1_PNSt15iterator_traitsISY_E10value_typeET2_T3_PNSZ_IS14_E10value_typeET4_jRbjT5_S1A_jjP12ihipStream_tbEUljE_EEESV_SW_SX_S14_S18_S1A_T6_T7_T9_mT8_S1C_bDpT10_ENKUlT_T0_E_clISt17integral_constantIbLb0EES1P_EEDaS1K_S1L_EUlS1K_E_NS1_11comp_targetILNS1_3genE2ELNS1_11target_archE906ELNS1_3gpuE6ELNS1_3repE0EEENS1_30default_config_static_selectorELNS0_4arch9wavefront6targetE1EEEvSY_.kd
    .uniform_work_group_size: 1
    .uses_dynamic_stack: false
    .vgpr_count:     69
    .vgpr_spill_count: 0
    .wavefront_size: 64
  - .args:
      - .offset:         0
        .size:           144
        .value_kind:     by_value
    .group_segment_fixed_size: 0
    .kernarg_segment_align: 8
    .kernarg_segment_size: 144
    .language:       OpenCL C
    .language_version:
      - 2
      - 0
    .max_flat_workgroup_size: 256
    .name:           _ZN7rocprim17ROCPRIM_400000_NS6detail17trampoline_kernelINS0_13select_configILj256ELj13ELNS0_17block_load_methodE3ELS4_3ELS4_3ELNS0_20block_scan_algorithmE0ELj4294967295EEENS1_25partition_config_selectorILNS1_17partition_subalgoE3EjNS0_10empty_typeEbEEZZNS1_14partition_implILS8_3ELb0ES6_jNS0_17counting_iteratorIjlEEPS9_SE_NS0_5tupleIJPjSE_EEENSF_IJSE_SE_EEES9_SG_JZNS1_25segmented_radix_sort_implINS0_14default_configELb1EPKhPhPKlPlN2at6native12_GLOBAL__N_18offset_tEEE10hipError_tPvRmT1_PNSt15iterator_traitsISY_E10value_typeET2_T3_PNSZ_IS14_E10value_typeET4_jRbjT5_S1A_jjP12ihipStream_tbEUljE_EEESV_SW_SX_S14_S18_S1A_T6_T7_T9_mT8_S1C_bDpT10_ENKUlT_T0_E_clISt17integral_constantIbLb0EES1P_EEDaS1K_S1L_EUlS1K_E_NS1_11comp_targetILNS1_3genE10ELNS1_11target_archE1200ELNS1_3gpuE4ELNS1_3repE0EEENS1_30default_config_static_selectorELNS0_4arch9wavefront6targetE1EEEvSY_
    .private_segment_fixed_size: 0
    .sgpr_count:     4
    .sgpr_spill_count: 0
    .symbol:         _ZN7rocprim17ROCPRIM_400000_NS6detail17trampoline_kernelINS0_13select_configILj256ELj13ELNS0_17block_load_methodE3ELS4_3ELS4_3ELNS0_20block_scan_algorithmE0ELj4294967295EEENS1_25partition_config_selectorILNS1_17partition_subalgoE3EjNS0_10empty_typeEbEEZZNS1_14partition_implILS8_3ELb0ES6_jNS0_17counting_iteratorIjlEEPS9_SE_NS0_5tupleIJPjSE_EEENSF_IJSE_SE_EEES9_SG_JZNS1_25segmented_radix_sort_implINS0_14default_configELb1EPKhPhPKlPlN2at6native12_GLOBAL__N_18offset_tEEE10hipError_tPvRmT1_PNSt15iterator_traitsISY_E10value_typeET2_T3_PNSZ_IS14_E10value_typeET4_jRbjT5_S1A_jjP12ihipStream_tbEUljE_EEESV_SW_SX_S14_S18_S1A_T6_T7_T9_mT8_S1C_bDpT10_ENKUlT_T0_E_clISt17integral_constantIbLb0EES1P_EEDaS1K_S1L_EUlS1K_E_NS1_11comp_targetILNS1_3genE10ELNS1_11target_archE1200ELNS1_3gpuE4ELNS1_3repE0EEENS1_30default_config_static_selectorELNS0_4arch9wavefront6targetE1EEEvSY_.kd
    .uniform_work_group_size: 1
    .uses_dynamic_stack: false
    .vgpr_count:     0
    .vgpr_spill_count: 0
    .wavefront_size: 64
  - .args:
      - .offset:         0
        .size:           144
        .value_kind:     by_value
    .group_segment_fixed_size: 0
    .kernarg_segment_align: 8
    .kernarg_segment_size: 144
    .language:       OpenCL C
    .language_version:
      - 2
      - 0
    .max_flat_workgroup_size: 256
    .name:           _ZN7rocprim17ROCPRIM_400000_NS6detail17trampoline_kernelINS0_13select_configILj256ELj13ELNS0_17block_load_methodE3ELS4_3ELS4_3ELNS0_20block_scan_algorithmE0ELj4294967295EEENS1_25partition_config_selectorILNS1_17partition_subalgoE3EjNS0_10empty_typeEbEEZZNS1_14partition_implILS8_3ELb0ES6_jNS0_17counting_iteratorIjlEEPS9_SE_NS0_5tupleIJPjSE_EEENSF_IJSE_SE_EEES9_SG_JZNS1_25segmented_radix_sort_implINS0_14default_configELb1EPKhPhPKlPlN2at6native12_GLOBAL__N_18offset_tEEE10hipError_tPvRmT1_PNSt15iterator_traitsISY_E10value_typeET2_T3_PNSZ_IS14_E10value_typeET4_jRbjT5_S1A_jjP12ihipStream_tbEUljE_EEESV_SW_SX_S14_S18_S1A_T6_T7_T9_mT8_S1C_bDpT10_ENKUlT_T0_E_clISt17integral_constantIbLb0EES1P_EEDaS1K_S1L_EUlS1K_E_NS1_11comp_targetILNS1_3genE9ELNS1_11target_archE1100ELNS1_3gpuE3ELNS1_3repE0EEENS1_30default_config_static_selectorELNS0_4arch9wavefront6targetE1EEEvSY_
    .private_segment_fixed_size: 0
    .sgpr_count:     4
    .sgpr_spill_count: 0
    .symbol:         _ZN7rocprim17ROCPRIM_400000_NS6detail17trampoline_kernelINS0_13select_configILj256ELj13ELNS0_17block_load_methodE3ELS4_3ELS4_3ELNS0_20block_scan_algorithmE0ELj4294967295EEENS1_25partition_config_selectorILNS1_17partition_subalgoE3EjNS0_10empty_typeEbEEZZNS1_14partition_implILS8_3ELb0ES6_jNS0_17counting_iteratorIjlEEPS9_SE_NS0_5tupleIJPjSE_EEENSF_IJSE_SE_EEES9_SG_JZNS1_25segmented_radix_sort_implINS0_14default_configELb1EPKhPhPKlPlN2at6native12_GLOBAL__N_18offset_tEEE10hipError_tPvRmT1_PNSt15iterator_traitsISY_E10value_typeET2_T3_PNSZ_IS14_E10value_typeET4_jRbjT5_S1A_jjP12ihipStream_tbEUljE_EEESV_SW_SX_S14_S18_S1A_T6_T7_T9_mT8_S1C_bDpT10_ENKUlT_T0_E_clISt17integral_constantIbLb0EES1P_EEDaS1K_S1L_EUlS1K_E_NS1_11comp_targetILNS1_3genE9ELNS1_11target_archE1100ELNS1_3gpuE3ELNS1_3repE0EEENS1_30default_config_static_selectorELNS0_4arch9wavefront6targetE1EEEvSY_.kd
    .uniform_work_group_size: 1
    .uses_dynamic_stack: false
    .vgpr_count:     0
    .vgpr_spill_count: 0
    .wavefront_size: 64
  - .args:
      - .offset:         0
        .size:           144
        .value_kind:     by_value
    .group_segment_fixed_size: 0
    .kernarg_segment_align: 8
    .kernarg_segment_size: 144
    .language:       OpenCL C
    .language_version:
      - 2
      - 0
    .max_flat_workgroup_size: 256
    .name:           _ZN7rocprim17ROCPRIM_400000_NS6detail17trampoline_kernelINS0_13select_configILj256ELj13ELNS0_17block_load_methodE3ELS4_3ELS4_3ELNS0_20block_scan_algorithmE0ELj4294967295EEENS1_25partition_config_selectorILNS1_17partition_subalgoE3EjNS0_10empty_typeEbEEZZNS1_14partition_implILS8_3ELb0ES6_jNS0_17counting_iteratorIjlEEPS9_SE_NS0_5tupleIJPjSE_EEENSF_IJSE_SE_EEES9_SG_JZNS1_25segmented_radix_sort_implINS0_14default_configELb1EPKhPhPKlPlN2at6native12_GLOBAL__N_18offset_tEEE10hipError_tPvRmT1_PNSt15iterator_traitsISY_E10value_typeET2_T3_PNSZ_IS14_E10value_typeET4_jRbjT5_S1A_jjP12ihipStream_tbEUljE_EEESV_SW_SX_S14_S18_S1A_T6_T7_T9_mT8_S1C_bDpT10_ENKUlT_T0_E_clISt17integral_constantIbLb0EES1P_EEDaS1K_S1L_EUlS1K_E_NS1_11comp_targetILNS1_3genE8ELNS1_11target_archE1030ELNS1_3gpuE2ELNS1_3repE0EEENS1_30default_config_static_selectorELNS0_4arch9wavefront6targetE1EEEvSY_
    .private_segment_fixed_size: 0
    .sgpr_count:     4
    .sgpr_spill_count: 0
    .symbol:         _ZN7rocprim17ROCPRIM_400000_NS6detail17trampoline_kernelINS0_13select_configILj256ELj13ELNS0_17block_load_methodE3ELS4_3ELS4_3ELNS0_20block_scan_algorithmE0ELj4294967295EEENS1_25partition_config_selectorILNS1_17partition_subalgoE3EjNS0_10empty_typeEbEEZZNS1_14partition_implILS8_3ELb0ES6_jNS0_17counting_iteratorIjlEEPS9_SE_NS0_5tupleIJPjSE_EEENSF_IJSE_SE_EEES9_SG_JZNS1_25segmented_radix_sort_implINS0_14default_configELb1EPKhPhPKlPlN2at6native12_GLOBAL__N_18offset_tEEE10hipError_tPvRmT1_PNSt15iterator_traitsISY_E10value_typeET2_T3_PNSZ_IS14_E10value_typeET4_jRbjT5_S1A_jjP12ihipStream_tbEUljE_EEESV_SW_SX_S14_S18_S1A_T6_T7_T9_mT8_S1C_bDpT10_ENKUlT_T0_E_clISt17integral_constantIbLb0EES1P_EEDaS1K_S1L_EUlS1K_E_NS1_11comp_targetILNS1_3genE8ELNS1_11target_archE1030ELNS1_3gpuE2ELNS1_3repE0EEENS1_30default_config_static_selectorELNS0_4arch9wavefront6targetE1EEEvSY_.kd
    .uniform_work_group_size: 1
    .uses_dynamic_stack: false
    .vgpr_count:     0
    .vgpr_spill_count: 0
    .wavefront_size: 64
  - .args:
      - .address_space:  global
        .offset:         0
        .size:           8
        .value_kind:     global_buffer
      - .offset:         8
        .size:           4
        .value_kind:     by_value
      - .address_space:  global
        .offset:         16
        .size:           8
        .value_kind:     global_buffer
      - .offset:         24
        .size:           4
        .value_kind:     by_value
      - .address_space:  global
        .offset:         32
        .size:           8
        .value_kind:     global_buffer
      - .offset:         40
        .size:           4
        .value_kind:     hidden_block_count_x
      - .offset:         44
        .size:           4
        .value_kind:     hidden_block_count_y
      - .offset:         48
        .size:           4
        .value_kind:     hidden_block_count_z
      - .offset:         52
        .size:           2
        .value_kind:     hidden_group_size_x
      - .offset:         54
        .size:           2
        .value_kind:     hidden_group_size_y
      - .offset:         56
        .size:           2
        .value_kind:     hidden_group_size_z
      - .offset:         58
        .size:           2
        .value_kind:     hidden_remainder_x
      - .offset:         60
        .size:           2
        .value_kind:     hidden_remainder_y
      - .offset:         62
        .size:           2
        .value_kind:     hidden_remainder_z
      - .offset:         80
        .size:           8
        .value_kind:     hidden_global_offset_x
      - .offset:         88
        .size:           8
        .value_kind:     hidden_global_offset_y
      - .offset:         96
        .size:           8
        .value_kind:     hidden_global_offset_z
      - .offset:         104
        .size:           2
        .value_kind:     hidden_grid_dims
    .group_segment_fixed_size: 0
    .kernarg_segment_align: 8
    .kernarg_segment_size: 296
    .language:       OpenCL C
    .language_version:
      - 2
      - 0
    .max_flat_workgroup_size: 256
    .name:           _ZN7rocprim17ROCPRIM_400000_NS6detail31init_lookback_scan_state_kernelINS1_19lookback_scan_stateIjLb1ELb1EEENS1_16block_id_wrapperIjLb1EEEEEvT_jT0_jPNS7_10value_typeE
    .private_segment_fixed_size: 0
    .sgpr_count:     18
    .sgpr_spill_count: 0
    .symbol:         _ZN7rocprim17ROCPRIM_400000_NS6detail31init_lookback_scan_state_kernelINS1_19lookback_scan_stateIjLb1ELb1EEENS1_16block_id_wrapperIjLb1EEEEEvT_jT0_jPNS7_10value_typeE.kd
    .uniform_work_group_size: 1
    .uses_dynamic_stack: false
    .vgpr_count:     6
    .vgpr_spill_count: 0
    .wavefront_size: 64
  - .args:
      - .offset:         0
        .size:           152
        .value_kind:     by_value
    .group_segment_fixed_size: 0
    .kernarg_segment_align: 8
    .kernarg_segment_size: 152
    .language:       OpenCL C
    .language_version:
      - 2
      - 0
    .max_flat_workgroup_size: 256
    .name:           _ZN7rocprim17ROCPRIM_400000_NS6detail17trampoline_kernelINS0_13select_configILj256ELj13ELNS0_17block_load_methodE3ELS4_3ELS4_3ELNS0_20block_scan_algorithmE0ELj4294967295EEENS1_25partition_config_selectorILNS1_17partition_subalgoE3EjNS0_10empty_typeEbEEZZNS1_14partition_implILS8_3ELb0ES6_jNS0_17counting_iteratorIjlEEPS9_SE_NS0_5tupleIJPjSE_EEENSF_IJSE_SE_EEES9_SG_JZNS1_25segmented_radix_sort_implINS0_14default_configELb1EPKhPhPKlPlN2at6native12_GLOBAL__N_18offset_tEEE10hipError_tPvRmT1_PNSt15iterator_traitsISY_E10value_typeET2_T3_PNSZ_IS14_E10value_typeET4_jRbjT5_S1A_jjP12ihipStream_tbEUljE_EEESV_SW_SX_S14_S18_S1A_T6_T7_T9_mT8_S1C_bDpT10_ENKUlT_T0_E_clISt17integral_constantIbLb1EES1P_EEDaS1K_S1L_EUlS1K_E_NS1_11comp_targetILNS1_3genE0ELNS1_11target_archE4294967295ELNS1_3gpuE0ELNS1_3repE0EEENS1_30default_config_static_selectorELNS0_4arch9wavefront6targetE1EEEvSY_
    .private_segment_fixed_size: 0
    .sgpr_count:     4
    .sgpr_spill_count: 0
    .symbol:         _ZN7rocprim17ROCPRIM_400000_NS6detail17trampoline_kernelINS0_13select_configILj256ELj13ELNS0_17block_load_methodE3ELS4_3ELS4_3ELNS0_20block_scan_algorithmE0ELj4294967295EEENS1_25partition_config_selectorILNS1_17partition_subalgoE3EjNS0_10empty_typeEbEEZZNS1_14partition_implILS8_3ELb0ES6_jNS0_17counting_iteratorIjlEEPS9_SE_NS0_5tupleIJPjSE_EEENSF_IJSE_SE_EEES9_SG_JZNS1_25segmented_radix_sort_implINS0_14default_configELb1EPKhPhPKlPlN2at6native12_GLOBAL__N_18offset_tEEE10hipError_tPvRmT1_PNSt15iterator_traitsISY_E10value_typeET2_T3_PNSZ_IS14_E10value_typeET4_jRbjT5_S1A_jjP12ihipStream_tbEUljE_EEESV_SW_SX_S14_S18_S1A_T6_T7_T9_mT8_S1C_bDpT10_ENKUlT_T0_E_clISt17integral_constantIbLb1EES1P_EEDaS1K_S1L_EUlS1K_E_NS1_11comp_targetILNS1_3genE0ELNS1_11target_archE4294967295ELNS1_3gpuE0ELNS1_3repE0EEENS1_30default_config_static_selectorELNS0_4arch9wavefront6targetE1EEEvSY_.kd
    .uniform_work_group_size: 1
    .uses_dynamic_stack: false
    .vgpr_count:     0
    .vgpr_spill_count: 0
    .wavefront_size: 64
  - .args:
      - .offset:         0
        .size:           152
        .value_kind:     by_value
    .group_segment_fixed_size: 0
    .kernarg_segment_align: 8
    .kernarg_segment_size: 152
    .language:       OpenCL C
    .language_version:
      - 2
      - 0
    .max_flat_workgroup_size: 256
    .name:           _ZN7rocprim17ROCPRIM_400000_NS6detail17trampoline_kernelINS0_13select_configILj256ELj13ELNS0_17block_load_methodE3ELS4_3ELS4_3ELNS0_20block_scan_algorithmE0ELj4294967295EEENS1_25partition_config_selectorILNS1_17partition_subalgoE3EjNS0_10empty_typeEbEEZZNS1_14partition_implILS8_3ELb0ES6_jNS0_17counting_iteratorIjlEEPS9_SE_NS0_5tupleIJPjSE_EEENSF_IJSE_SE_EEES9_SG_JZNS1_25segmented_radix_sort_implINS0_14default_configELb1EPKhPhPKlPlN2at6native12_GLOBAL__N_18offset_tEEE10hipError_tPvRmT1_PNSt15iterator_traitsISY_E10value_typeET2_T3_PNSZ_IS14_E10value_typeET4_jRbjT5_S1A_jjP12ihipStream_tbEUljE_EEESV_SW_SX_S14_S18_S1A_T6_T7_T9_mT8_S1C_bDpT10_ENKUlT_T0_E_clISt17integral_constantIbLb1EES1P_EEDaS1K_S1L_EUlS1K_E_NS1_11comp_targetILNS1_3genE5ELNS1_11target_archE942ELNS1_3gpuE9ELNS1_3repE0EEENS1_30default_config_static_selectorELNS0_4arch9wavefront6targetE1EEEvSY_
    .private_segment_fixed_size: 0
    .sgpr_count:     4
    .sgpr_spill_count: 0
    .symbol:         _ZN7rocprim17ROCPRIM_400000_NS6detail17trampoline_kernelINS0_13select_configILj256ELj13ELNS0_17block_load_methodE3ELS4_3ELS4_3ELNS0_20block_scan_algorithmE0ELj4294967295EEENS1_25partition_config_selectorILNS1_17partition_subalgoE3EjNS0_10empty_typeEbEEZZNS1_14partition_implILS8_3ELb0ES6_jNS0_17counting_iteratorIjlEEPS9_SE_NS0_5tupleIJPjSE_EEENSF_IJSE_SE_EEES9_SG_JZNS1_25segmented_radix_sort_implINS0_14default_configELb1EPKhPhPKlPlN2at6native12_GLOBAL__N_18offset_tEEE10hipError_tPvRmT1_PNSt15iterator_traitsISY_E10value_typeET2_T3_PNSZ_IS14_E10value_typeET4_jRbjT5_S1A_jjP12ihipStream_tbEUljE_EEESV_SW_SX_S14_S18_S1A_T6_T7_T9_mT8_S1C_bDpT10_ENKUlT_T0_E_clISt17integral_constantIbLb1EES1P_EEDaS1K_S1L_EUlS1K_E_NS1_11comp_targetILNS1_3genE5ELNS1_11target_archE942ELNS1_3gpuE9ELNS1_3repE0EEENS1_30default_config_static_selectorELNS0_4arch9wavefront6targetE1EEEvSY_.kd
    .uniform_work_group_size: 1
    .uses_dynamic_stack: false
    .vgpr_count:     0
    .vgpr_spill_count: 0
    .wavefront_size: 64
  - .args:
      - .offset:         0
        .size:           152
        .value_kind:     by_value
    .group_segment_fixed_size: 0
    .kernarg_segment_align: 8
    .kernarg_segment_size: 152
    .language:       OpenCL C
    .language_version:
      - 2
      - 0
    .max_flat_workgroup_size: 256
    .name:           _ZN7rocprim17ROCPRIM_400000_NS6detail17trampoline_kernelINS0_13select_configILj256ELj13ELNS0_17block_load_methodE3ELS4_3ELS4_3ELNS0_20block_scan_algorithmE0ELj4294967295EEENS1_25partition_config_selectorILNS1_17partition_subalgoE3EjNS0_10empty_typeEbEEZZNS1_14partition_implILS8_3ELb0ES6_jNS0_17counting_iteratorIjlEEPS9_SE_NS0_5tupleIJPjSE_EEENSF_IJSE_SE_EEES9_SG_JZNS1_25segmented_radix_sort_implINS0_14default_configELb1EPKhPhPKlPlN2at6native12_GLOBAL__N_18offset_tEEE10hipError_tPvRmT1_PNSt15iterator_traitsISY_E10value_typeET2_T3_PNSZ_IS14_E10value_typeET4_jRbjT5_S1A_jjP12ihipStream_tbEUljE_EEESV_SW_SX_S14_S18_S1A_T6_T7_T9_mT8_S1C_bDpT10_ENKUlT_T0_E_clISt17integral_constantIbLb1EES1P_EEDaS1K_S1L_EUlS1K_E_NS1_11comp_targetILNS1_3genE4ELNS1_11target_archE910ELNS1_3gpuE8ELNS1_3repE0EEENS1_30default_config_static_selectorELNS0_4arch9wavefront6targetE1EEEvSY_
    .private_segment_fixed_size: 0
    .sgpr_count:     4
    .sgpr_spill_count: 0
    .symbol:         _ZN7rocprim17ROCPRIM_400000_NS6detail17trampoline_kernelINS0_13select_configILj256ELj13ELNS0_17block_load_methodE3ELS4_3ELS4_3ELNS0_20block_scan_algorithmE0ELj4294967295EEENS1_25partition_config_selectorILNS1_17partition_subalgoE3EjNS0_10empty_typeEbEEZZNS1_14partition_implILS8_3ELb0ES6_jNS0_17counting_iteratorIjlEEPS9_SE_NS0_5tupleIJPjSE_EEENSF_IJSE_SE_EEES9_SG_JZNS1_25segmented_radix_sort_implINS0_14default_configELb1EPKhPhPKlPlN2at6native12_GLOBAL__N_18offset_tEEE10hipError_tPvRmT1_PNSt15iterator_traitsISY_E10value_typeET2_T3_PNSZ_IS14_E10value_typeET4_jRbjT5_S1A_jjP12ihipStream_tbEUljE_EEESV_SW_SX_S14_S18_S1A_T6_T7_T9_mT8_S1C_bDpT10_ENKUlT_T0_E_clISt17integral_constantIbLb1EES1P_EEDaS1K_S1L_EUlS1K_E_NS1_11comp_targetILNS1_3genE4ELNS1_11target_archE910ELNS1_3gpuE8ELNS1_3repE0EEENS1_30default_config_static_selectorELNS0_4arch9wavefront6targetE1EEEvSY_.kd
    .uniform_work_group_size: 1
    .uses_dynamic_stack: false
    .vgpr_count:     0
    .vgpr_spill_count: 0
    .wavefront_size: 64
  - .args:
      - .offset:         0
        .size:           152
        .value_kind:     by_value
    .group_segment_fixed_size: 0
    .kernarg_segment_align: 8
    .kernarg_segment_size: 152
    .language:       OpenCL C
    .language_version:
      - 2
      - 0
    .max_flat_workgroup_size: 256
    .name:           _ZN7rocprim17ROCPRIM_400000_NS6detail17trampoline_kernelINS0_13select_configILj256ELj13ELNS0_17block_load_methodE3ELS4_3ELS4_3ELNS0_20block_scan_algorithmE0ELj4294967295EEENS1_25partition_config_selectorILNS1_17partition_subalgoE3EjNS0_10empty_typeEbEEZZNS1_14partition_implILS8_3ELb0ES6_jNS0_17counting_iteratorIjlEEPS9_SE_NS0_5tupleIJPjSE_EEENSF_IJSE_SE_EEES9_SG_JZNS1_25segmented_radix_sort_implINS0_14default_configELb1EPKhPhPKlPlN2at6native12_GLOBAL__N_18offset_tEEE10hipError_tPvRmT1_PNSt15iterator_traitsISY_E10value_typeET2_T3_PNSZ_IS14_E10value_typeET4_jRbjT5_S1A_jjP12ihipStream_tbEUljE_EEESV_SW_SX_S14_S18_S1A_T6_T7_T9_mT8_S1C_bDpT10_ENKUlT_T0_E_clISt17integral_constantIbLb1EES1P_EEDaS1K_S1L_EUlS1K_E_NS1_11comp_targetILNS1_3genE3ELNS1_11target_archE908ELNS1_3gpuE7ELNS1_3repE0EEENS1_30default_config_static_selectorELNS0_4arch9wavefront6targetE1EEEvSY_
    .private_segment_fixed_size: 0
    .sgpr_count:     4
    .sgpr_spill_count: 0
    .symbol:         _ZN7rocprim17ROCPRIM_400000_NS6detail17trampoline_kernelINS0_13select_configILj256ELj13ELNS0_17block_load_methodE3ELS4_3ELS4_3ELNS0_20block_scan_algorithmE0ELj4294967295EEENS1_25partition_config_selectorILNS1_17partition_subalgoE3EjNS0_10empty_typeEbEEZZNS1_14partition_implILS8_3ELb0ES6_jNS0_17counting_iteratorIjlEEPS9_SE_NS0_5tupleIJPjSE_EEENSF_IJSE_SE_EEES9_SG_JZNS1_25segmented_radix_sort_implINS0_14default_configELb1EPKhPhPKlPlN2at6native12_GLOBAL__N_18offset_tEEE10hipError_tPvRmT1_PNSt15iterator_traitsISY_E10value_typeET2_T3_PNSZ_IS14_E10value_typeET4_jRbjT5_S1A_jjP12ihipStream_tbEUljE_EEESV_SW_SX_S14_S18_S1A_T6_T7_T9_mT8_S1C_bDpT10_ENKUlT_T0_E_clISt17integral_constantIbLb1EES1P_EEDaS1K_S1L_EUlS1K_E_NS1_11comp_targetILNS1_3genE3ELNS1_11target_archE908ELNS1_3gpuE7ELNS1_3repE0EEENS1_30default_config_static_selectorELNS0_4arch9wavefront6targetE1EEEvSY_.kd
    .uniform_work_group_size: 1
    .uses_dynamic_stack: false
    .vgpr_count:     0
    .vgpr_spill_count: 0
    .wavefront_size: 64
  - .args:
      - .offset:         0
        .size:           152
        .value_kind:     by_value
    .group_segment_fixed_size: 0
    .kernarg_segment_align: 8
    .kernarg_segment_size: 152
    .language:       OpenCL C
    .language_version:
      - 2
      - 0
    .max_flat_workgroup_size: 256
    .name:           _ZN7rocprim17ROCPRIM_400000_NS6detail17trampoline_kernelINS0_13select_configILj256ELj13ELNS0_17block_load_methodE3ELS4_3ELS4_3ELNS0_20block_scan_algorithmE0ELj4294967295EEENS1_25partition_config_selectorILNS1_17partition_subalgoE3EjNS0_10empty_typeEbEEZZNS1_14partition_implILS8_3ELb0ES6_jNS0_17counting_iteratorIjlEEPS9_SE_NS0_5tupleIJPjSE_EEENSF_IJSE_SE_EEES9_SG_JZNS1_25segmented_radix_sort_implINS0_14default_configELb1EPKhPhPKlPlN2at6native12_GLOBAL__N_18offset_tEEE10hipError_tPvRmT1_PNSt15iterator_traitsISY_E10value_typeET2_T3_PNSZ_IS14_E10value_typeET4_jRbjT5_S1A_jjP12ihipStream_tbEUljE_EEESV_SW_SX_S14_S18_S1A_T6_T7_T9_mT8_S1C_bDpT10_ENKUlT_T0_E_clISt17integral_constantIbLb1EES1P_EEDaS1K_S1L_EUlS1K_E_NS1_11comp_targetILNS1_3genE2ELNS1_11target_archE906ELNS1_3gpuE6ELNS1_3repE0EEENS1_30default_config_static_selectorELNS0_4arch9wavefront6targetE1EEEvSY_
    .private_segment_fixed_size: 0
    .sgpr_count:     4
    .sgpr_spill_count: 0
    .symbol:         _ZN7rocprim17ROCPRIM_400000_NS6detail17trampoline_kernelINS0_13select_configILj256ELj13ELNS0_17block_load_methodE3ELS4_3ELS4_3ELNS0_20block_scan_algorithmE0ELj4294967295EEENS1_25partition_config_selectorILNS1_17partition_subalgoE3EjNS0_10empty_typeEbEEZZNS1_14partition_implILS8_3ELb0ES6_jNS0_17counting_iteratorIjlEEPS9_SE_NS0_5tupleIJPjSE_EEENSF_IJSE_SE_EEES9_SG_JZNS1_25segmented_radix_sort_implINS0_14default_configELb1EPKhPhPKlPlN2at6native12_GLOBAL__N_18offset_tEEE10hipError_tPvRmT1_PNSt15iterator_traitsISY_E10value_typeET2_T3_PNSZ_IS14_E10value_typeET4_jRbjT5_S1A_jjP12ihipStream_tbEUljE_EEESV_SW_SX_S14_S18_S1A_T6_T7_T9_mT8_S1C_bDpT10_ENKUlT_T0_E_clISt17integral_constantIbLb1EES1P_EEDaS1K_S1L_EUlS1K_E_NS1_11comp_targetILNS1_3genE2ELNS1_11target_archE906ELNS1_3gpuE6ELNS1_3repE0EEENS1_30default_config_static_selectorELNS0_4arch9wavefront6targetE1EEEvSY_.kd
    .uniform_work_group_size: 1
    .uses_dynamic_stack: false
    .vgpr_count:     0
    .vgpr_spill_count: 0
    .wavefront_size: 64
  - .args:
      - .offset:         0
        .size:           152
        .value_kind:     by_value
    .group_segment_fixed_size: 0
    .kernarg_segment_align: 8
    .kernarg_segment_size: 152
    .language:       OpenCL C
    .language_version:
      - 2
      - 0
    .max_flat_workgroup_size: 256
    .name:           _ZN7rocprim17ROCPRIM_400000_NS6detail17trampoline_kernelINS0_13select_configILj256ELj13ELNS0_17block_load_methodE3ELS4_3ELS4_3ELNS0_20block_scan_algorithmE0ELj4294967295EEENS1_25partition_config_selectorILNS1_17partition_subalgoE3EjNS0_10empty_typeEbEEZZNS1_14partition_implILS8_3ELb0ES6_jNS0_17counting_iteratorIjlEEPS9_SE_NS0_5tupleIJPjSE_EEENSF_IJSE_SE_EEES9_SG_JZNS1_25segmented_radix_sort_implINS0_14default_configELb1EPKhPhPKlPlN2at6native12_GLOBAL__N_18offset_tEEE10hipError_tPvRmT1_PNSt15iterator_traitsISY_E10value_typeET2_T3_PNSZ_IS14_E10value_typeET4_jRbjT5_S1A_jjP12ihipStream_tbEUljE_EEESV_SW_SX_S14_S18_S1A_T6_T7_T9_mT8_S1C_bDpT10_ENKUlT_T0_E_clISt17integral_constantIbLb1EES1P_EEDaS1K_S1L_EUlS1K_E_NS1_11comp_targetILNS1_3genE10ELNS1_11target_archE1200ELNS1_3gpuE4ELNS1_3repE0EEENS1_30default_config_static_selectorELNS0_4arch9wavefront6targetE1EEEvSY_
    .private_segment_fixed_size: 0
    .sgpr_count:     4
    .sgpr_spill_count: 0
    .symbol:         _ZN7rocprim17ROCPRIM_400000_NS6detail17trampoline_kernelINS0_13select_configILj256ELj13ELNS0_17block_load_methodE3ELS4_3ELS4_3ELNS0_20block_scan_algorithmE0ELj4294967295EEENS1_25partition_config_selectorILNS1_17partition_subalgoE3EjNS0_10empty_typeEbEEZZNS1_14partition_implILS8_3ELb0ES6_jNS0_17counting_iteratorIjlEEPS9_SE_NS0_5tupleIJPjSE_EEENSF_IJSE_SE_EEES9_SG_JZNS1_25segmented_radix_sort_implINS0_14default_configELb1EPKhPhPKlPlN2at6native12_GLOBAL__N_18offset_tEEE10hipError_tPvRmT1_PNSt15iterator_traitsISY_E10value_typeET2_T3_PNSZ_IS14_E10value_typeET4_jRbjT5_S1A_jjP12ihipStream_tbEUljE_EEESV_SW_SX_S14_S18_S1A_T6_T7_T9_mT8_S1C_bDpT10_ENKUlT_T0_E_clISt17integral_constantIbLb1EES1P_EEDaS1K_S1L_EUlS1K_E_NS1_11comp_targetILNS1_3genE10ELNS1_11target_archE1200ELNS1_3gpuE4ELNS1_3repE0EEENS1_30default_config_static_selectorELNS0_4arch9wavefront6targetE1EEEvSY_.kd
    .uniform_work_group_size: 1
    .uses_dynamic_stack: false
    .vgpr_count:     0
    .vgpr_spill_count: 0
    .wavefront_size: 64
  - .args:
      - .offset:         0
        .size:           152
        .value_kind:     by_value
    .group_segment_fixed_size: 0
    .kernarg_segment_align: 8
    .kernarg_segment_size: 152
    .language:       OpenCL C
    .language_version:
      - 2
      - 0
    .max_flat_workgroup_size: 256
    .name:           _ZN7rocprim17ROCPRIM_400000_NS6detail17trampoline_kernelINS0_13select_configILj256ELj13ELNS0_17block_load_methodE3ELS4_3ELS4_3ELNS0_20block_scan_algorithmE0ELj4294967295EEENS1_25partition_config_selectorILNS1_17partition_subalgoE3EjNS0_10empty_typeEbEEZZNS1_14partition_implILS8_3ELb0ES6_jNS0_17counting_iteratorIjlEEPS9_SE_NS0_5tupleIJPjSE_EEENSF_IJSE_SE_EEES9_SG_JZNS1_25segmented_radix_sort_implINS0_14default_configELb1EPKhPhPKlPlN2at6native12_GLOBAL__N_18offset_tEEE10hipError_tPvRmT1_PNSt15iterator_traitsISY_E10value_typeET2_T3_PNSZ_IS14_E10value_typeET4_jRbjT5_S1A_jjP12ihipStream_tbEUljE_EEESV_SW_SX_S14_S18_S1A_T6_T7_T9_mT8_S1C_bDpT10_ENKUlT_T0_E_clISt17integral_constantIbLb1EES1P_EEDaS1K_S1L_EUlS1K_E_NS1_11comp_targetILNS1_3genE9ELNS1_11target_archE1100ELNS1_3gpuE3ELNS1_3repE0EEENS1_30default_config_static_selectorELNS0_4arch9wavefront6targetE1EEEvSY_
    .private_segment_fixed_size: 0
    .sgpr_count:     4
    .sgpr_spill_count: 0
    .symbol:         _ZN7rocprim17ROCPRIM_400000_NS6detail17trampoline_kernelINS0_13select_configILj256ELj13ELNS0_17block_load_methodE3ELS4_3ELS4_3ELNS0_20block_scan_algorithmE0ELj4294967295EEENS1_25partition_config_selectorILNS1_17partition_subalgoE3EjNS0_10empty_typeEbEEZZNS1_14partition_implILS8_3ELb0ES6_jNS0_17counting_iteratorIjlEEPS9_SE_NS0_5tupleIJPjSE_EEENSF_IJSE_SE_EEES9_SG_JZNS1_25segmented_radix_sort_implINS0_14default_configELb1EPKhPhPKlPlN2at6native12_GLOBAL__N_18offset_tEEE10hipError_tPvRmT1_PNSt15iterator_traitsISY_E10value_typeET2_T3_PNSZ_IS14_E10value_typeET4_jRbjT5_S1A_jjP12ihipStream_tbEUljE_EEESV_SW_SX_S14_S18_S1A_T6_T7_T9_mT8_S1C_bDpT10_ENKUlT_T0_E_clISt17integral_constantIbLb1EES1P_EEDaS1K_S1L_EUlS1K_E_NS1_11comp_targetILNS1_3genE9ELNS1_11target_archE1100ELNS1_3gpuE3ELNS1_3repE0EEENS1_30default_config_static_selectorELNS0_4arch9wavefront6targetE1EEEvSY_.kd
    .uniform_work_group_size: 1
    .uses_dynamic_stack: false
    .vgpr_count:     0
    .vgpr_spill_count: 0
    .wavefront_size: 64
  - .args:
      - .offset:         0
        .size:           152
        .value_kind:     by_value
    .group_segment_fixed_size: 0
    .kernarg_segment_align: 8
    .kernarg_segment_size: 152
    .language:       OpenCL C
    .language_version:
      - 2
      - 0
    .max_flat_workgroup_size: 256
    .name:           _ZN7rocprim17ROCPRIM_400000_NS6detail17trampoline_kernelINS0_13select_configILj256ELj13ELNS0_17block_load_methodE3ELS4_3ELS4_3ELNS0_20block_scan_algorithmE0ELj4294967295EEENS1_25partition_config_selectorILNS1_17partition_subalgoE3EjNS0_10empty_typeEbEEZZNS1_14partition_implILS8_3ELb0ES6_jNS0_17counting_iteratorIjlEEPS9_SE_NS0_5tupleIJPjSE_EEENSF_IJSE_SE_EEES9_SG_JZNS1_25segmented_radix_sort_implINS0_14default_configELb1EPKhPhPKlPlN2at6native12_GLOBAL__N_18offset_tEEE10hipError_tPvRmT1_PNSt15iterator_traitsISY_E10value_typeET2_T3_PNSZ_IS14_E10value_typeET4_jRbjT5_S1A_jjP12ihipStream_tbEUljE_EEESV_SW_SX_S14_S18_S1A_T6_T7_T9_mT8_S1C_bDpT10_ENKUlT_T0_E_clISt17integral_constantIbLb1EES1P_EEDaS1K_S1L_EUlS1K_E_NS1_11comp_targetILNS1_3genE8ELNS1_11target_archE1030ELNS1_3gpuE2ELNS1_3repE0EEENS1_30default_config_static_selectorELNS0_4arch9wavefront6targetE1EEEvSY_
    .private_segment_fixed_size: 0
    .sgpr_count:     4
    .sgpr_spill_count: 0
    .symbol:         _ZN7rocprim17ROCPRIM_400000_NS6detail17trampoline_kernelINS0_13select_configILj256ELj13ELNS0_17block_load_methodE3ELS4_3ELS4_3ELNS0_20block_scan_algorithmE0ELj4294967295EEENS1_25partition_config_selectorILNS1_17partition_subalgoE3EjNS0_10empty_typeEbEEZZNS1_14partition_implILS8_3ELb0ES6_jNS0_17counting_iteratorIjlEEPS9_SE_NS0_5tupleIJPjSE_EEENSF_IJSE_SE_EEES9_SG_JZNS1_25segmented_radix_sort_implINS0_14default_configELb1EPKhPhPKlPlN2at6native12_GLOBAL__N_18offset_tEEE10hipError_tPvRmT1_PNSt15iterator_traitsISY_E10value_typeET2_T3_PNSZ_IS14_E10value_typeET4_jRbjT5_S1A_jjP12ihipStream_tbEUljE_EEESV_SW_SX_S14_S18_S1A_T6_T7_T9_mT8_S1C_bDpT10_ENKUlT_T0_E_clISt17integral_constantIbLb1EES1P_EEDaS1K_S1L_EUlS1K_E_NS1_11comp_targetILNS1_3genE8ELNS1_11target_archE1030ELNS1_3gpuE2ELNS1_3repE0EEENS1_30default_config_static_selectorELNS0_4arch9wavefront6targetE1EEEvSY_.kd
    .uniform_work_group_size: 1
    .uses_dynamic_stack: false
    .vgpr_count:     0
    .vgpr_spill_count: 0
    .wavefront_size: 64
  - .args:
      - .address_space:  global
        .offset:         0
        .size:           8
        .value_kind:     global_buffer
      - .offset:         8
        .size:           4
        .value_kind:     by_value
      - .offset:         12
        .size:           1
        .value_kind:     by_value
      - .offset:         16
        .size:           4
        .value_kind:     by_value
      - .address_space:  global
        .offset:         24
        .size:           8
        .value_kind:     global_buffer
      - .offset:         32
        .size:           4
        .value_kind:     hidden_block_count_x
      - .offset:         36
        .size:           4
        .value_kind:     hidden_block_count_y
      - .offset:         40
        .size:           4
        .value_kind:     hidden_block_count_z
      - .offset:         44
        .size:           2
        .value_kind:     hidden_group_size_x
      - .offset:         46
        .size:           2
        .value_kind:     hidden_group_size_y
      - .offset:         48
        .size:           2
        .value_kind:     hidden_group_size_z
      - .offset:         50
        .size:           2
        .value_kind:     hidden_remainder_x
      - .offset:         52
        .size:           2
        .value_kind:     hidden_remainder_y
      - .offset:         54
        .size:           2
        .value_kind:     hidden_remainder_z
      - .offset:         72
        .size:           8
        .value_kind:     hidden_global_offset_x
      - .offset:         80
        .size:           8
        .value_kind:     hidden_global_offset_y
      - .offset:         88
        .size:           8
        .value_kind:     hidden_global_offset_z
      - .offset:         96
        .size:           2
        .value_kind:     hidden_grid_dims
    .group_segment_fixed_size: 0
    .kernarg_segment_align: 8
    .kernarg_segment_size: 288
    .language:       OpenCL C
    .language_version:
      - 2
      - 0
    .max_flat_workgroup_size: 256
    .name:           _ZN7rocprim17ROCPRIM_400000_NS6detail31init_lookback_scan_state_kernelINS1_19lookback_scan_stateIjLb1ELb1EEENS1_16block_id_wrapperIjLb0EEEEEvT_jT0_jPNS7_10value_typeE
    .private_segment_fixed_size: 0
    .sgpr_count:     16
    .sgpr_spill_count: 0
    .symbol:         _ZN7rocprim17ROCPRIM_400000_NS6detail31init_lookback_scan_state_kernelINS1_19lookback_scan_stateIjLb1ELb1EEENS1_16block_id_wrapperIjLb0EEEEEvT_jT0_jPNS7_10value_typeE.kd
    .uniform_work_group_size: 1
    .uses_dynamic_stack: false
    .vgpr_count:     6
    .vgpr_spill_count: 0
    .wavefront_size: 64
  - .args:
      - .offset:         0
        .size:           144
        .value_kind:     by_value
    .group_segment_fixed_size: 0
    .kernarg_segment_align: 8
    .kernarg_segment_size: 144
    .language:       OpenCL C
    .language_version:
      - 2
      - 0
    .max_flat_workgroup_size: 256
    .name:           _ZN7rocprim17ROCPRIM_400000_NS6detail17trampoline_kernelINS0_13select_configILj256ELj13ELNS0_17block_load_methodE3ELS4_3ELS4_3ELNS0_20block_scan_algorithmE0ELj4294967295EEENS1_25partition_config_selectorILNS1_17partition_subalgoE3EjNS0_10empty_typeEbEEZZNS1_14partition_implILS8_3ELb0ES6_jNS0_17counting_iteratorIjlEEPS9_SE_NS0_5tupleIJPjSE_EEENSF_IJSE_SE_EEES9_SG_JZNS1_25segmented_radix_sort_implINS0_14default_configELb1EPKhPhPKlPlN2at6native12_GLOBAL__N_18offset_tEEE10hipError_tPvRmT1_PNSt15iterator_traitsISY_E10value_typeET2_T3_PNSZ_IS14_E10value_typeET4_jRbjT5_S1A_jjP12ihipStream_tbEUljE_EEESV_SW_SX_S14_S18_S1A_T6_T7_T9_mT8_S1C_bDpT10_ENKUlT_T0_E_clISt17integral_constantIbLb1EES1O_IbLb0EEEEDaS1K_S1L_EUlS1K_E_NS1_11comp_targetILNS1_3genE0ELNS1_11target_archE4294967295ELNS1_3gpuE0ELNS1_3repE0EEENS1_30default_config_static_selectorELNS0_4arch9wavefront6targetE1EEEvSY_
    .private_segment_fixed_size: 0
    .sgpr_count:     4
    .sgpr_spill_count: 0
    .symbol:         _ZN7rocprim17ROCPRIM_400000_NS6detail17trampoline_kernelINS0_13select_configILj256ELj13ELNS0_17block_load_methodE3ELS4_3ELS4_3ELNS0_20block_scan_algorithmE0ELj4294967295EEENS1_25partition_config_selectorILNS1_17partition_subalgoE3EjNS0_10empty_typeEbEEZZNS1_14partition_implILS8_3ELb0ES6_jNS0_17counting_iteratorIjlEEPS9_SE_NS0_5tupleIJPjSE_EEENSF_IJSE_SE_EEES9_SG_JZNS1_25segmented_radix_sort_implINS0_14default_configELb1EPKhPhPKlPlN2at6native12_GLOBAL__N_18offset_tEEE10hipError_tPvRmT1_PNSt15iterator_traitsISY_E10value_typeET2_T3_PNSZ_IS14_E10value_typeET4_jRbjT5_S1A_jjP12ihipStream_tbEUljE_EEESV_SW_SX_S14_S18_S1A_T6_T7_T9_mT8_S1C_bDpT10_ENKUlT_T0_E_clISt17integral_constantIbLb1EES1O_IbLb0EEEEDaS1K_S1L_EUlS1K_E_NS1_11comp_targetILNS1_3genE0ELNS1_11target_archE4294967295ELNS1_3gpuE0ELNS1_3repE0EEENS1_30default_config_static_selectorELNS0_4arch9wavefront6targetE1EEEvSY_.kd
    .uniform_work_group_size: 1
    .uses_dynamic_stack: false
    .vgpr_count:     0
    .vgpr_spill_count: 0
    .wavefront_size: 64
  - .args:
      - .offset:         0
        .size:           144
        .value_kind:     by_value
    .group_segment_fixed_size: 0
    .kernarg_segment_align: 8
    .kernarg_segment_size: 144
    .language:       OpenCL C
    .language_version:
      - 2
      - 0
    .max_flat_workgroup_size: 256
    .name:           _ZN7rocprim17ROCPRIM_400000_NS6detail17trampoline_kernelINS0_13select_configILj256ELj13ELNS0_17block_load_methodE3ELS4_3ELS4_3ELNS0_20block_scan_algorithmE0ELj4294967295EEENS1_25partition_config_selectorILNS1_17partition_subalgoE3EjNS0_10empty_typeEbEEZZNS1_14partition_implILS8_3ELb0ES6_jNS0_17counting_iteratorIjlEEPS9_SE_NS0_5tupleIJPjSE_EEENSF_IJSE_SE_EEES9_SG_JZNS1_25segmented_radix_sort_implINS0_14default_configELb1EPKhPhPKlPlN2at6native12_GLOBAL__N_18offset_tEEE10hipError_tPvRmT1_PNSt15iterator_traitsISY_E10value_typeET2_T3_PNSZ_IS14_E10value_typeET4_jRbjT5_S1A_jjP12ihipStream_tbEUljE_EEESV_SW_SX_S14_S18_S1A_T6_T7_T9_mT8_S1C_bDpT10_ENKUlT_T0_E_clISt17integral_constantIbLb1EES1O_IbLb0EEEEDaS1K_S1L_EUlS1K_E_NS1_11comp_targetILNS1_3genE5ELNS1_11target_archE942ELNS1_3gpuE9ELNS1_3repE0EEENS1_30default_config_static_selectorELNS0_4arch9wavefront6targetE1EEEvSY_
    .private_segment_fixed_size: 0
    .sgpr_count:     4
    .sgpr_spill_count: 0
    .symbol:         _ZN7rocprim17ROCPRIM_400000_NS6detail17trampoline_kernelINS0_13select_configILj256ELj13ELNS0_17block_load_methodE3ELS4_3ELS4_3ELNS0_20block_scan_algorithmE0ELj4294967295EEENS1_25partition_config_selectorILNS1_17partition_subalgoE3EjNS0_10empty_typeEbEEZZNS1_14partition_implILS8_3ELb0ES6_jNS0_17counting_iteratorIjlEEPS9_SE_NS0_5tupleIJPjSE_EEENSF_IJSE_SE_EEES9_SG_JZNS1_25segmented_radix_sort_implINS0_14default_configELb1EPKhPhPKlPlN2at6native12_GLOBAL__N_18offset_tEEE10hipError_tPvRmT1_PNSt15iterator_traitsISY_E10value_typeET2_T3_PNSZ_IS14_E10value_typeET4_jRbjT5_S1A_jjP12ihipStream_tbEUljE_EEESV_SW_SX_S14_S18_S1A_T6_T7_T9_mT8_S1C_bDpT10_ENKUlT_T0_E_clISt17integral_constantIbLb1EES1O_IbLb0EEEEDaS1K_S1L_EUlS1K_E_NS1_11comp_targetILNS1_3genE5ELNS1_11target_archE942ELNS1_3gpuE9ELNS1_3repE0EEENS1_30default_config_static_selectorELNS0_4arch9wavefront6targetE1EEEvSY_.kd
    .uniform_work_group_size: 1
    .uses_dynamic_stack: false
    .vgpr_count:     0
    .vgpr_spill_count: 0
    .wavefront_size: 64
  - .args:
      - .offset:         0
        .size:           144
        .value_kind:     by_value
    .group_segment_fixed_size: 0
    .kernarg_segment_align: 8
    .kernarg_segment_size: 144
    .language:       OpenCL C
    .language_version:
      - 2
      - 0
    .max_flat_workgroup_size: 256
    .name:           _ZN7rocprim17ROCPRIM_400000_NS6detail17trampoline_kernelINS0_13select_configILj256ELj13ELNS0_17block_load_methodE3ELS4_3ELS4_3ELNS0_20block_scan_algorithmE0ELj4294967295EEENS1_25partition_config_selectorILNS1_17partition_subalgoE3EjNS0_10empty_typeEbEEZZNS1_14partition_implILS8_3ELb0ES6_jNS0_17counting_iteratorIjlEEPS9_SE_NS0_5tupleIJPjSE_EEENSF_IJSE_SE_EEES9_SG_JZNS1_25segmented_radix_sort_implINS0_14default_configELb1EPKhPhPKlPlN2at6native12_GLOBAL__N_18offset_tEEE10hipError_tPvRmT1_PNSt15iterator_traitsISY_E10value_typeET2_T3_PNSZ_IS14_E10value_typeET4_jRbjT5_S1A_jjP12ihipStream_tbEUljE_EEESV_SW_SX_S14_S18_S1A_T6_T7_T9_mT8_S1C_bDpT10_ENKUlT_T0_E_clISt17integral_constantIbLb1EES1O_IbLb0EEEEDaS1K_S1L_EUlS1K_E_NS1_11comp_targetILNS1_3genE4ELNS1_11target_archE910ELNS1_3gpuE8ELNS1_3repE0EEENS1_30default_config_static_selectorELNS0_4arch9wavefront6targetE1EEEvSY_
    .private_segment_fixed_size: 0
    .sgpr_count:     4
    .sgpr_spill_count: 0
    .symbol:         _ZN7rocprim17ROCPRIM_400000_NS6detail17trampoline_kernelINS0_13select_configILj256ELj13ELNS0_17block_load_methodE3ELS4_3ELS4_3ELNS0_20block_scan_algorithmE0ELj4294967295EEENS1_25partition_config_selectorILNS1_17partition_subalgoE3EjNS0_10empty_typeEbEEZZNS1_14partition_implILS8_3ELb0ES6_jNS0_17counting_iteratorIjlEEPS9_SE_NS0_5tupleIJPjSE_EEENSF_IJSE_SE_EEES9_SG_JZNS1_25segmented_radix_sort_implINS0_14default_configELb1EPKhPhPKlPlN2at6native12_GLOBAL__N_18offset_tEEE10hipError_tPvRmT1_PNSt15iterator_traitsISY_E10value_typeET2_T3_PNSZ_IS14_E10value_typeET4_jRbjT5_S1A_jjP12ihipStream_tbEUljE_EEESV_SW_SX_S14_S18_S1A_T6_T7_T9_mT8_S1C_bDpT10_ENKUlT_T0_E_clISt17integral_constantIbLb1EES1O_IbLb0EEEEDaS1K_S1L_EUlS1K_E_NS1_11comp_targetILNS1_3genE4ELNS1_11target_archE910ELNS1_3gpuE8ELNS1_3repE0EEENS1_30default_config_static_selectorELNS0_4arch9wavefront6targetE1EEEvSY_.kd
    .uniform_work_group_size: 1
    .uses_dynamic_stack: false
    .vgpr_count:     0
    .vgpr_spill_count: 0
    .wavefront_size: 64
  - .args:
      - .offset:         0
        .size:           144
        .value_kind:     by_value
    .group_segment_fixed_size: 0
    .kernarg_segment_align: 8
    .kernarg_segment_size: 144
    .language:       OpenCL C
    .language_version:
      - 2
      - 0
    .max_flat_workgroup_size: 256
    .name:           _ZN7rocprim17ROCPRIM_400000_NS6detail17trampoline_kernelINS0_13select_configILj256ELj13ELNS0_17block_load_methodE3ELS4_3ELS4_3ELNS0_20block_scan_algorithmE0ELj4294967295EEENS1_25partition_config_selectorILNS1_17partition_subalgoE3EjNS0_10empty_typeEbEEZZNS1_14partition_implILS8_3ELb0ES6_jNS0_17counting_iteratorIjlEEPS9_SE_NS0_5tupleIJPjSE_EEENSF_IJSE_SE_EEES9_SG_JZNS1_25segmented_radix_sort_implINS0_14default_configELb1EPKhPhPKlPlN2at6native12_GLOBAL__N_18offset_tEEE10hipError_tPvRmT1_PNSt15iterator_traitsISY_E10value_typeET2_T3_PNSZ_IS14_E10value_typeET4_jRbjT5_S1A_jjP12ihipStream_tbEUljE_EEESV_SW_SX_S14_S18_S1A_T6_T7_T9_mT8_S1C_bDpT10_ENKUlT_T0_E_clISt17integral_constantIbLb1EES1O_IbLb0EEEEDaS1K_S1L_EUlS1K_E_NS1_11comp_targetILNS1_3genE3ELNS1_11target_archE908ELNS1_3gpuE7ELNS1_3repE0EEENS1_30default_config_static_selectorELNS0_4arch9wavefront6targetE1EEEvSY_
    .private_segment_fixed_size: 0
    .sgpr_count:     4
    .sgpr_spill_count: 0
    .symbol:         _ZN7rocprim17ROCPRIM_400000_NS6detail17trampoline_kernelINS0_13select_configILj256ELj13ELNS0_17block_load_methodE3ELS4_3ELS4_3ELNS0_20block_scan_algorithmE0ELj4294967295EEENS1_25partition_config_selectorILNS1_17partition_subalgoE3EjNS0_10empty_typeEbEEZZNS1_14partition_implILS8_3ELb0ES6_jNS0_17counting_iteratorIjlEEPS9_SE_NS0_5tupleIJPjSE_EEENSF_IJSE_SE_EEES9_SG_JZNS1_25segmented_radix_sort_implINS0_14default_configELb1EPKhPhPKlPlN2at6native12_GLOBAL__N_18offset_tEEE10hipError_tPvRmT1_PNSt15iterator_traitsISY_E10value_typeET2_T3_PNSZ_IS14_E10value_typeET4_jRbjT5_S1A_jjP12ihipStream_tbEUljE_EEESV_SW_SX_S14_S18_S1A_T6_T7_T9_mT8_S1C_bDpT10_ENKUlT_T0_E_clISt17integral_constantIbLb1EES1O_IbLb0EEEEDaS1K_S1L_EUlS1K_E_NS1_11comp_targetILNS1_3genE3ELNS1_11target_archE908ELNS1_3gpuE7ELNS1_3repE0EEENS1_30default_config_static_selectorELNS0_4arch9wavefront6targetE1EEEvSY_.kd
    .uniform_work_group_size: 1
    .uses_dynamic_stack: false
    .vgpr_count:     0
    .vgpr_spill_count: 0
    .wavefront_size: 64
  - .args:
      - .offset:         0
        .size:           144
        .value_kind:     by_value
    .group_segment_fixed_size: 0
    .kernarg_segment_align: 8
    .kernarg_segment_size: 144
    .language:       OpenCL C
    .language_version:
      - 2
      - 0
    .max_flat_workgroup_size: 256
    .name:           _ZN7rocprim17ROCPRIM_400000_NS6detail17trampoline_kernelINS0_13select_configILj256ELj13ELNS0_17block_load_methodE3ELS4_3ELS4_3ELNS0_20block_scan_algorithmE0ELj4294967295EEENS1_25partition_config_selectorILNS1_17partition_subalgoE3EjNS0_10empty_typeEbEEZZNS1_14partition_implILS8_3ELb0ES6_jNS0_17counting_iteratorIjlEEPS9_SE_NS0_5tupleIJPjSE_EEENSF_IJSE_SE_EEES9_SG_JZNS1_25segmented_radix_sort_implINS0_14default_configELb1EPKhPhPKlPlN2at6native12_GLOBAL__N_18offset_tEEE10hipError_tPvRmT1_PNSt15iterator_traitsISY_E10value_typeET2_T3_PNSZ_IS14_E10value_typeET4_jRbjT5_S1A_jjP12ihipStream_tbEUljE_EEESV_SW_SX_S14_S18_S1A_T6_T7_T9_mT8_S1C_bDpT10_ENKUlT_T0_E_clISt17integral_constantIbLb1EES1O_IbLb0EEEEDaS1K_S1L_EUlS1K_E_NS1_11comp_targetILNS1_3genE2ELNS1_11target_archE906ELNS1_3gpuE6ELNS1_3repE0EEENS1_30default_config_static_selectorELNS0_4arch9wavefront6targetE1EEEvSY_
    .private_segment_fixed_size: 0
    .sgpr_count:     4
    .sgpr_spill_count: 0
    .symbol:         _ZN7rocprim17ROCPRIM_400000_NS6detail17trampoline_kernelINS0_13select_configILj256ELj13ELNS0_17block_load_methodE3ELS4_3ELS4_3ELNS0_20block_scan_algorithmE0ELj4294967295EEENS1_25partition_config_selectorILNS1_17partition_subalgoE3EjNS0_10empty_typeEbEEZZNS1_14partition_implILS8_3ELb0ES6_jNS0_17counting_iteratorIjlEEPS9_SE_NS0_5tupleIJPjSE_EEENSF_IJSE_SE_EEES9_SG_JZNS1_25segmented_radix_sort_implINS0_14default_configELb1EPKhPhPKlPlN2at6native12_GLOBAL__N_18offset_tEEE10hipError_tPvRmT1_PNSt15iterator_traitsISY_E10value_typeET2_T3_PNSZ_IS14_E10value_typeET4_jRbjT5_S1A_jjP12ihipStream_tbEUljE_EEESV_SW_SX_S14_S18_S1A_T6_T7_T9_mT8_S1C_bDpT10_ENKUlT_T0_E_clISt17integral_constantIbLb1EES1O_IbLb0EEEEDaS1K_S1L_EUlS1K_E_NS1_11comp_targetILNS1_3genE2ELNS1_11target_archE906ELNS1_3gpuE6ELNS1_3repE0EEENS1_30default_config_static_selectorELNS0_4arch9wavefront6targetE1EEEvSY_.kd
    .uniform_work_group_size: 1
    .uses_dynamic_stack: false
    .vgpr_count:     0
    .vgpr_spill_count: 0
    .wavefront_size: 64
  - .args:
      - .offset:         0
        .size:           144
        .value_kind:     by_value
    .group_segment_fixed_size: 0
    .kernarg_segment_align: 8
    .kernarg_segment_size: 144
    .language:       OpenCL C
    .language_version:
      - 2
      - 0
    .max_flat_workgroup_size: 256
    .name:           _ZN7rocprim17ROCPRIM_400000_NS6detail17trampoline_kernelINS0_13select_configILj256ELj13ELNS0_17block_load_methodE3ELS4_3ELS4_3ELNS0_20block_scan_algorithmE0ELj4294967295EEENS1_25partition_config_selectorILNS1_17partition_subalgoE3EjNS0_10empty_typeEbEEZZNS1_14partition_implILS8_3ELb0ES6_jNS0_17counting_iteratorIjlEEPS9_SE_NS0_5tupleIJPjSE_EEENSF_IJSE_SE_EEES9_SG_JZNS1_25segmented_radix_sort_implINS0_14default_configELb1EPKhPhPKlPlN2at6native12_GLOBAL__N_18offset_tEEE10hipError_tPvRmT1_PNSt15iterator_traitsISY_E10value_typeET2_T3_PNSZ_IS14_E10value_typeET4_jRbjT5_S1A_jjP12ihipStream_tbEUljE_EEESV_SW_SX_S14_S18_S1A_T6_T7_T9_mT8_S1C_bDpT10_ENKUlT_T0_E_clISt17integral_constantIbLb1EES1O_IbLb0EEEEDaS1K_S1L_EUlS1K_E_NS1_11comp_targetILNS1_3genE10ELNS1_11target_archE1200ELNS1_3gpuE4ELNS1_3repE0EEENS1_30default_config_static_selectorELNS0_4arch9wavefront6targetE1EEEvSY_
    .private_segment_fixed_size: 0
    .sgpr_count:     4
    .sgpr_spill_count: 0
    .symbol:         _ZN7rocprim17ROCPRIM_400000_NS6detail17trampoline_kernelINS0_13select_configILj256ELj13ELNS0_17block_load_methodE3ELS4_3ELS4_3ELNS0_20block_scan_algorithmE0ELj4294967295EEENS1_25partition_config_selectorILNS1_17partition_subalgoE3EjNS0_10empty_typeEbEEZZNS1_14partition_implILS8_3ELb0ES6_jNS0_17counting_iteratorIjlEEPS9_SE_NS0_5tupleIJPjSE_EEENSF_IJSE_SE_EEES9_SG_JZNS1_25segmented_radix_sort_implINS0_14default_configELb1EPKhPhPKlPlN2at6native12_GLOBAL__N_18offset_tEEE10hipError_tPvRmT1_PNSt15iterator_traitsISY_E10value_typeET2_T3_PNSZ_IS14_E10value_typeET4_jRbjT5_S1A_jjP12ihipStream_tbEUljE_EEESV_SW_SX_S14_S18_S1A_T6_T7_T9_mT8_S1C_bDpT10_ENKUlT_T0_E_clISt17integral_constantIbLb1EES1O_IbLb0EEEEDaS1K_S1L_EUlS1K_E_NS1_11comp_targetILNS1_3genE10ELNS1_11target_archE1200ELNS1_3gpuE4ELNS1_3repE0EEENS1_30default_config_static_selectorELNS0_4arch9wavefront6targetE1EEEvSY_.kd
    .uniform_work_group_size: 1
    .uses_dynamic_stack: false
    .vgpr_count:     0
    .vgpr_spill_count: 0
    .wavefront_size: 64
  - .args:
      - .offset:         0
        .size:           144
        .value_kind:     by_value
    .group_segment_fixed_size: 0
    .kernarg_segment_align: 8
    .kernarg_segment_size: 144
    .language:       OpenCL C
    .language_version:
      - 2
      - 0
    .max_flat_workgroup_size: 256
    .name:           _ZN7rocprim17ROCPRIM_400000_NS6detail17trampoline_kernelINS0_13select_configILj256ELj13ELNS0_17block_load_methodE3ELS4_3ELS4_3ELNS0_20block_scan_algorithmE0ELj4294967295EEENS1_25partition_config_selectorILNS1_17partition_subalgoE3EjNS0_10empty_typeEbEEZZNS1_14partition_implILS8_3ELb0ES6_jNS0_17counting_iteratorIjlEEPS9_SE_NS0_5tupleIJPjSE_EEENSF_IJSE_SE_EEES9_SG_JZNS1_25segmented_radix_sort_implINS0_14default_configELb1EPKhPhPKlPlN2at6native12_GLOBAL__N_18offset_tEEE10hipError_tPvRmT1_PNSt15iterator_traitsISY_E10value_typeET2_T3_PNSZ_IS14_E10value_typeET4_jRbjT5_S1A_jjP12ihipStream_tbEUljE_EEESV_SW_SX_S14_S18_S1A_T6_T7_T9_mT8_S1C_bDpT10_ENKUlT_T0_E_clISt17integral_constantIbLb1EES1O_IbLb0EEEEDaS1K_S1L_EUlS1K_E_NS1_11comp_targetILNS1_3genE9ELNS1_11target_archE1100ELNS1_3gpuE3ELNS1_3repE0EEENS1_30default_config_static_selectorELNS0_4arch9wavefront6targetE1EEEvSY_
    .private_segment_fixed_size: 0
    .sgpr_count:     4
    .sgpr_spill_count: 0
    .symbol:         _ZN7rocprim17ROCPRIM_400000_NS6detail17trampoline_kernelINS0_13select_configILj256ELj13ELNS0_17block_load_methodE3ELS4_3ELS4_3ELNS0_20block_scan_algorithmE0ELj4294967295EEENS1_25partition_config_selectorILNS1_17partition_subalgoE3EjNS0_10empty_typeEbEEZZNS1_14partition_implILS8_3ELb0ES6_jNS0_17counting_iteratorIjlEEPS9_SE_NS0_5tupleIJPjSE_EEENSF_IJSE_SE_EEES9_SG_JZNS1_25segmented_radix_sort_implINS0_14default_configELb1EPKhPhPKlPlN2at6native12_GLOBAL__N_18offset_tEEE10hipError_tPvRmT1_PNSt15iterator_traitsISY_E10value_typeET2_T3_PNSZ_IS14_E10value_typeET4_jRbjT5_S1A_jjP12ihipStream_tbEUljE_EEESV_SW_SX_S14_S18_S1A_T6_T7_T9_mT8_S1C_bDpT10_ENKUlT_T0_E_clISt17integral_constantIbLb1EES1O_IbLb0EEEEDaS1K_S1L_EUlS1K_E_NS1_11comp_targetILNS1_3genE9ELNS1_11target_archE1100ELNS1_3gpuE3ELNS1_3repE0EEENS1_30default_config_static_selectorELNS0_4arch9wavefront6targetE1EEEvSY_.kd
    .uniform_work_group_size: 1
    .uses_dynamic_stack: false
    .vgpr_count:     0
    .vgpr_spill_count: 0
    .wavefront_size: 64
  - .args:
      - .offset:         0
        .size:           144
        .value_kind:     by_value
    .group_segment_fixed_size: 0
    .kernarg_segment_align: 8
    .kernarg_segment_size: 144
    .language:       OpenCL C
    .language_version:
      - 2
      - 0
    .max_flat_workgroup_size: 256
    .name:           _ZN7rocprim17ROCPRIM_400000_NS6detail17trampoline_kernelINS0_13select_configILj256ELj13ELNS0_17block_load_methodE3ELS4_3ELS4_3ELNS0_20block_scan_algorithmE0ELj4294967295EEENS1_25partition_config_selectorILNS1_17partition_subalgoE3EjNS0_10empty_typeEbEEZZNS1_14partition_implILS8_3ELb0ES6_jNS0_17counting_iteratorIjlEEPS9_SE_NS0_5tupleIJPjSE_EEENSF_IJSE_SE_EEES9_SG_JZNS1_25segmented_radix_sort_implINS0_14default_configELb1EPKhPhPKlPlN2at6native12_GLOBAL__N_18offset_tEEE10hipError_tPvRmT1_PNSt15iterator_traitsISY_E10value_typeET2_T3_PNSZ_IS14_E10value_typeET4_jRbjT5_S1A_jjP12ihipStream_tbEUljE_EEESV_SW_SX_S14_S18_S1A_T6_T7_T9_mT8_S1C_bDpT10_ENKUlT_T0_E_clISt17integral_constantIbLb1EES1O_IbLb0EEEEDaS1K_S1L_EUlS1K_E_NS1_11comp_targetILNS1_3genE8ELNS1_11target_archE1030ELNS1_3gpuE2ELNS1_3repE0EEENS1_30default_config_static_selectorELNS0_4arch9wavefront6targetE1EEEvSY_
    .private_segment_fixed_size: 0
    .sgpr_count:     4
    .sgpr_spill_count: 0
    .symbol:         _ZN7rocprim17ROCPRIM_400000_NS6detail17trampoline_kernelINS0_13select_configILj256ELj13ELNS0_17block_load_methodE3ELS4_3ELS4_3ELNS0_20block_scan_algorithmE0ELj4294967295EEENS1_25partition_config_selectorILNS1_17partition_subalgoE3EjNS0_10empty_typeEbEEZZNS1_14partition_implILS8_3ELb0ES6_jNS0_17counting_iteratorIjlEEPS9_SE_NS0_5tupleIJPjSE_EEENSF_IJSE_SE_EEES9_SG_JZNS1_25segmented_radix_sort_implINS0_14default_configELb1EPKhPhPKlPlN2at6native12_GLOBAL__N_18offset_tEEE10hipError_tPvRmT1_PNSt15iterator_traitsISY_E10value_typeET2_T3_PNSZ_IS14_E10value_typeET4_jRbjT5_S1A_jjP12ihipStream_tbEUljE_EEESV_SW_SX_S14_S18_S1A_T6_T7_T9_mT8_S1C_bDpT10_ENKUlT_T0_E_clISt17integral_constantIbLb1EES1O_IbLb0EEEEDaS1K_S1L_EUlS1K_E_NS1_11comp_targetILNS1_3genE8ELNS1_11target_archE1030ELNS1_3gpuE2ELNS1_3repE0EEENS1_30default_config_static_selectorELNS0_4arch9wavefront6targetE1EEEvSY_.kd
    .uniform_work_group_size: 1
    .uses_dynamic_stack: false
    .vgpr_count:     0
    .vgpr_spill_count: 0
    .wavefront_size: 64
  - .args:
      - .address_space:  global
        .offset:         0
        .size:           8
        .value_kind:     global_buffer
      - .offset:         8
        .size:           4
        .value_kind:     by_value
      - .address_space:  global
        .offset:         16
        .size:           8
        .value_kind:     global_buffer
      - .offset:         24
        .size:           4
        .value_kind:     by_value
      - .address_space:  global
        .offset:         32
        .size:           8
        .value_kind:     global_buffer
      - .offset:         40
        .size:           4
        .value_kind:     hidden_block_count_x
      - .offset:         44
        .size:           4
        .value_kind:     hidden_block_count_y
      - .offset:         48
        .size:           4
        .value_kind:     hidden_block_count_z
      - .offset:         52
        .size:           2
        .value_kind:     hidden_group_size_x
      - .offset:         54
        .size:           2
        .value_kind:     hidden_group_size_y
      - .offset:         56
        .size:           2
        .value_kind:     hidden_group_size_z
      - .offset:         58
        .size:           2
        .value_kind:     hidden_remainder_x
      - .offset:         60
        .size:           2
        .value_kind:     hidden_remainder_y
      - .offset:         62
        .size:           2
        .value_kind:     hidden_remainder_z
      - .offset:         80
        .size:           8
        .value_kind:     hidden_global_offset_x
      - .offset:         88
        .size:           8
        .value_kind:     hidden_global_offset_y
      - .offset:         96
        .size:           8
        .value_kind:     hidden_global_offset_z
      - .offset:         104
        .size:           2
        .value_kind:     hidden_grid_dims
    .group_segment_fixed_size: 0
    .kernarg_segment_align: 8
    .kernarg_segment_size: 296
    .language:       OpenCL C
    .language_version:
      - 2
      - 0
    .max_flat_workgroup_size: 256
    .name:           _ZN7rocprim17ROCPRIM_400000_NS6detail31init_lookback_scan_state_kernelINS1_19lookback_scan_stateIjLb0ELb1EEENS1_16block_id_wrapperIjLb1EEEEEvT_jT0_jPNS7_10value_typeE
    .private_segment_fixed_size: 0
    .sgpr_count:     15
    .sgpr_spill_count: 0
    .symbol:         _ZN7rocprim17ROCPRIM_400000_NS6detail31init_lookback_scan_state_kernelINS1_19lookback_scan_stateIjLb0ELb1EEENS1_16block_id_wrapperIjLb1EEEEEvT_jT0_jPNS7_10value_typeE.kd
    .uniform_work_group_size: 1
    .uses_dynamic_stack: false
    .vgpr_count:     6
    .vgpr_spill_count: 0
    .wavefront_size: 64
  - .args:
      - .offset:         0
        .size:           152
        .value_kind:     by_value
    .group_segment_fixed_size: 0
    .kernarg_segment_align: 8
    .kernarg_segment_size: 152
    .language:       OpenCL C
    .language_version:
      - 2
      - 0
    .max_flat_workgroup_size: 256
    .name:           _ZN7rocprim17ROCPRIM_400000_NS6detail17trampoline_kernelINS0_13select_configILj256ELj13ELNS0_17block_load_methodE3ELS4_3ELS4_3ELNS0_20block_scan_algorithmE0ELj4294967295EEENS1_25partition_config_selectorILNS1_17partition_subalgoE3EjNS0_10empty_typeEbEEZZNS1_14partition_implILS8_3ELb0ES6_jNS0_17counting_iteratorIjlEEPS9_SE_NS0_5tupleIJPjSE_EEENSF_IJSE_SE_EEES9_SG_JZNS1_25segmented_radix_sort_implINS0_14default_configELb1EPKhPhPKlPlN2at6native12_GLOBAL__N_18offset_tEEE10hipError_tPvRmT1_PNSt15iterator_traitsISY_E10value_typeET2_T3_PNSZ_IS14_E10value_typeET4_jRbjT5_S1A_jjP12ihipStream_tbEUljE_EEESV_SW_SX_S14_S18_S1A_T6_T7_T9_mT8_S1C_bDpT10_ENKUlT_T0_E_clISt17integral_constantIbLb0EES1O_IbLb1EEEEDaS1K_S1L_EUlS1K_E_NS1_11comp_targetILNS1_3genE0ELNS1_11target_archE4294967295ELNS1_3gpuE0ELNS1_3repE0EEENS1_30default_config_static_selectorELNS0_4arch9wavefront6targetE1EEEvSY_
    .private_segment_fixed_size: 0
    .sgpr_count:     4
    .sgpr_spill_count: 0
    .symbol:         _ZN7rocprim17ROCPRIM_400000_NS6detail17trampoline_kernelINS0_13select_configILj256ELj13ELNS0_17block_load_methodE3ELS4_3ELS4_3ELNS0_20block_scan_algorithmE0ELj4294967295EEENS1_25partition_config_selectorILNS1_17partition_subalgoE3EjNS0_10empty_typeEbEEZZNS1_14partition_implILS8_3ELb0ES6_jNS0_17counting_iteratorIjlEEPS9_SE_NS0_5tupleIJPjSE_EEENSF_IJSE_SE_EEES9_SG_JZNS1_25segmented_radix_sort_implINS0_14default_configELb1EPKhPhPKlPlN2at6native12_GLOBAL__N_18offset_tEEE10hipError_tPvRmT1_PNSt15iterator_traitsISY_E10value_typeET2_T3_PNSZ_IS14_E10value_typeET4_jRbjT5_S1A_jjP12ihipStream_tbEUljE_EEESV_SW_SX_S14_S18_S1A_T6_T7_T9_mT8_S1C_bDpT10_ENKUlT_T0_E_clISt17integral_constantIbLb0EES1O_IbLb1EEEEDaS1K_S1L_EUlS1K_E_NS1_11comp_targetILNS1_3genE0ELNS1_11target_archE4294967295ELNS1_3gpuE0ELNS1_3repE0EEENS1_30default_config_static_selectorELNS0_4arch9wavefront6targetE1EEEvSY_.kd
    .uniform_work_group_size: 1
    .uses_dynamic_stack: false
    .vgpr_count:     0
    .vgpr_spill_count: 0
    .wavefront_size: 64
  - .args:
      - .offset:         0
        .size:           152
        .value_kind:     by_value
    .group_segment_fixed_size: 0
    .kernarg_segment_align: 8
    .kernarg_segment_size: 152
    .language:       OpenCL C
    .language_version:
      - 2
      - 0
    .max_flat_workgroup_size: 256
    .name:           _ZN7rocprim17ROCPRIM_400000_NS6detail17trampoline_kernelINS0_13select_configILj256ELj13ELNS0_17block_load_methodE3ELS4_3ELS4_3ELNS0_20block_scan_algorithmE0ELj4294967295EEENS1_25partition_config_selectorILNS1_17partition_subalgoE3EjNS0_10empty_typeEbEEZZNS1_14partition_implILS8_3ELb0ES6_jNS0_17counting_iteratorIjlEEPS9_SE_NS0_5tupleIJPjSE_EEENSF_IJSE_SE_EEES9_SG_JZNS1_25segmented_radix_sort_implINS0_14default_configELb1EPKhPhPKlPlN2at6native12_GLOBAL__N_18offset_tEEE10hipError_tPvRmT1_PNSt15iterator_traitsISY_E10value_typeET2_T3_PNSZ_IS14_E10value_typeET4_jRbjT5_S1A_jjP12ihipStream_tbEUljE_EEESV_SW_SX_S14_S18_S1A_T6_T7_T9_mT8_S1C_bDpT10_ENKUlT_T0_E_clISt17integral_constantIbLb0EES1O_IbLb1EEEEDaS1K_S1L_EUlS1K_E_NS1_11comp_targetILNS1_3genE5ELNS1_11target_archE942ELNS1_3gpuE9ELNS1_3repE0EEENS1_30default_config_static_selectorELNS0_4arch9wavefront6targetE1EEEvSY_
    .private_segment_fixed_size: 0
    .sgpr_count:     4
    .sgpr_spill_count: 0
    .symbol:         _ZN7rocprim17ROCPRIM_400000_NS6detail17trampoline_kernelINS0_13select_configILj256ELj13ELNS0_17block_load_methodE3ELS4_3ELS4_3ELNS0_20block_scan_algorithmE0ELj4294967295EEENS1_25partition_config_selectorILNS1_17partition_subalgoE3EjNS0_10empty_typeEbEEZZNS1_14partition_implILS8_3ELb0ES6_jNS0_17counting_iteratorIjlEEPS9_SE_NS0_5tupleIJPjSE_EEENSF_IJSE_SE_EEES9_SG_JZNS1_25segmented_radix_sort_implINS0_14default_configELb1EPKhPhPKlPlN2at6native12_GLOBAL__N_18offset_tEEE10hipError_tPvRmT1_PNSt15iterator_traitsISY_E10value_typeET2_T3_PNSZ_IS14_E10value_typeET4_jRbjT5_S1A_jjP12ihipStream_tbEUljE_EEESV_SW_SX_S14_S18_S1A_T6_T7_T9_mT8_S1C_bDpT10_ENKUlT_T0_E_clISt17integral_constantIbLb0EES1O_IbLb1EEEEDaS1K_S1L_EUlS1K_E_NS1_11comp_targetILNS1_3genE5ELNS1_11target_archE942ELNS1_3gpuE9ELNS1_3repE0EEENS1_30default_config_static_selectorELNS0_4arch9wavefront6targetE1EEEvSY_.kd
    .uniform_work_group_size: 1
    .uses_dynamic_stack: false
    .vgpr_count:     0
    .vgpr_spill_count: 0
    .wavefront_size: 64
  - .args:
      - .offset:         0
        .size:           152
        .value_kind:     by_value
    .group_segment_fixed_size: 0
    .kernarg_segment_align: 8
    .kernarg_segment_size: 152
    .language:       OpenCL C
    .language_version:
      - 2
      - 0
    .max_flat_workgroup_size: 256
    .name:           _ZN7rocprim17ROCPRIM_400000_NS6detail17trampoline_kernelINS0_13select_configILj256ELj13ELNS0_17block_load_methodE3ELS4_3ELS4_3ELNS0_20block_scan_algorithmE0ELj4294967295EEENS1_25partition_config_selectorILNS1_17partition_subalgoE3EjNS0_10empty_typeEbEEZZNS1_14partition_implILS8_3ELb0ES6_jNS0_17counting_iteratorIjlEEPS9_SE_NS0_5tupleIJPjSE_EEENSF_IJSE_SE_EEES9_SG_JZNS1_25segmented_radix_sort_implINS0_14default_configELb1EPKhPhPKlPlN2at6native12_GLOBAL__N_18offset_tEEE10hipError_tPvRmT1_PNSt15iterator_traitsISY_E10value_typeET2_T3_PNSZ_IS14_E10value_typeET4_jRbjT5_S1A_jjP12ihipStream_tbEUljE_EEESV_SW_SX_S14_S18_S1A_T6_T7_T9_mT8_S1C_bDpT10_ENKUlT_T0_E_clISt17integral_constantIbLb0EES1O_IbLb1EEEEDaS1K_S1L_EUlS1K_E_NS1_11comp_targetILNS1_3genE4ELNS1_11target_archE910ELNS1_3gpuE8ELNS1_3repE0EEENS1_30default_config_static_selectorELNS0_4arch9wavefront6targetE1EEEvSY_
    .private_segment_fixed_size: 0
    .sgpr_count:     4
    .sgpr_spill_count: 0
    .symbol:         _ZN7rocprim17ROCPRIM_400000_NS6detail17trampoline_kernelINS0_13select_configILj256ELj13ELNS0_17block_load_methodE3ELS4_3ELS4_3ELNS0_20block_scan_algorithmE0ELj4294967295EEENS1_25partition_config_selectorILNS1_17partition_subalgoE3EjNS0_10empty_typeEbEEZZNS1_14partition_implILS8_3ELb0ES6_jNS0_17counting_iteratorIjlEEPS9_SE_NS0_5tupleIJPjSE_EEENSF_IJSE_SE_EEES9_SG_JZNS1_25segmented_radix_sort_implINS0_14default_configELb1EPKhPhPKlPlN2at6native12_GLOBAL__N_18offset_tEEE10hipError_tPvRmT1_PNSt15iterator_traitsISY_E10value_typeET2_T3_PNSZ_IS14_E10value_typeET4_jRbjT5_S1A_jjP12ihipStream_tbEUljE_EEESV_SW_SX_S14_S18_S1A_T6_T7_T9_mT8_S1C_bDpT10_ENKUlT_T0_E_clISt17integral_constantIbLb0EES1O_IbLb1EEEEDaS1K_S1L_EUlS1K_E_NS1_11comp_targetILNS1_3genE4ELNS1_11target_archE910ELNS1_3gpuE8ELNS1_3repE0EEENS1_30default_config_static_selectorELNS0_4arch9wavefront6targetE1EEEvSY_.kd
    .uniform_work_group_size: 1
    .uses_dynamic_stack: false
    .vgpr_count:     0
    .vgpr_spill_count: 0
    .wavefront_size: 64
  - .args:
      - .offset:         0
        .size:           152
        .value_kind:     by_value
    .group_segment_fixed_size: 0
    .kernarg_segment_align: 8
    .kernarg_segment_size: 152
    .language:       OpenCL C
    .language_version:
      - 2
      - 0
    .max_flat_workgroup_size: 256
    .name:           _ZN7rocprim17ROCPRIM_400000_NS6detail17trampoline_kernelINS0_13select_configILj256ELj13ELNS0_17block_load_methodE3ELS4_3ELS4_3ELNS0_20block_scan_algorithmE0ELj4294967295EEENS1_25partition_config_selectorILNS1_17partition_subalgoE3EjNS0_10empty_typeEbEEZZNS1_14partition_implILS8_3ELb0ES6_jNS0_17counting_iteratorIjlEEPS9_SE_NS0_5tupleIJPjSE_EEENSF_IJSE_SE_EEES9_SG_JZNS1_25segmented_radix_sort_implINS0_14default_configELb1EPKhPhPKlPlN2at6native12_GLOBAL__N_18offset_tEEE10hipError_tPvRmT1_PNSt15iterator_traitsISY_E10value_typeET2_T3_PNSZ_IS14_E10value_typeET4_jRbjT5_S1A_jjP12ihipStream_tbEUljE_EEESV_SW_SX_S14_S18_S1A_T6_T7_T9_mT8_S1C_bDpT10_ENKUlT_T0_E_clISt17integral_constantIbLb0EES1O_IbLb1EEEEDaS1K_S1L_EUlS1K_E_NS1_11comp_targetILNS1_3genE3ELNS1_11target_archE908ELNS1_3gpuE7ELNS1_3repE0EEENS1_30default_config_static_selectorELNS0_4arch9wavefront6targetE1EEEvSY_
    .private_segment_fixed_size: 0
    .sgpr_count:     4
    .sgpr_spill_count: 0
    .symbol:         _ZN7rocprim17ROCPRIM_400000_NS6detail17trampoline_kernelINS0_13select_configILj256ELj13ELNS0_17block_load_methodE3ELS4_3ELS4_3ELNS0_20block_scan_algorithmE0ELj4294967295EEENS1_25partition_config_selectorILNS1_17partition_subalgoE3EjNS0_10empty_typeEbEEZZNS1_14partition_implILS8_3ELb0ES6_jNS0_17counting_iteratorIjlEEPS9_SE_NS0_5tupleIJPjSE_EEENSF_IJSE_SE_EEES9_SG_JZNS1_25segmented_radix_sort_implINS0_14default_configELb1EPKhPhPKlPlN2at6native12_GLOBAL__N_18offset_tEEE10hipError_tPvRmT1_PNSt15iterator_traitsISY_E10value_typeET2_T3_PNSZ_IS14_E10value_typeET4_jRbjT5_S1A_jjP12ihipStream_tbEUljE_EEESV_SW_SX_S14_S18_S1A_T6_T7_T9_mT8_S1C_bDpT10_ENKUlT_T0_E_clISt17integral_constantIbLb0EES1O_IbLb1EEEEDaS1K_S1L_EUlS1K_E_NS1_11comp_targetILNS1_3genE3ELNS1_11target_archE908ELNS1_3gpuE7ELNS1_3repE0EEENS1_30default_config_static_selectorELNS0_4arch9wavefront6targetE1EEEvSY_.kd
    .uniform_work_group_size: 1
    .uses_dynamic_stack: false
    .vgpr_count:     0
    .vgpr_spill_count: 0
    .wavefront_size: 64
  - .args:
      - .offset:         0
        .size:           152
        .value_kind:     by_value
    .group_segment_fixed_size: 13320
    .kernarg_segment_align: 8
    .kernarg_segment_size: 152
    .language:       OpenCL C
    .language_version:
      - 2
      - 0
    .max_flat_workgroup_size: 256
    .name:           _ZN7rocprim17ROCPRIM_400000_NS6detail17trampoline_kernelINS0_13select_configILj256ELj13ELNS0_17block_load_methodE3ELS4_3ELS4_3ELNS0_20block_scan_algorithmE0ELj4294967295EEENS1_25partition_config_selectorILNS1_17partition_subalgoE3EjNS0_10empty_typeEbEEZZNS1_14partition_implILS8_3ELb0ES6_jNS0_17counting_iteratorIjlEEPS9_SE_NS0_5tupleIJPjSE_EEENSF_IJSE_SE_EEES9_SG_JZNS1_25segmented_radix_sort_implINS0_14default_configELb1EPKhPhPKlPlN2at6native12_GLOBAL__N_18offset_tEEE10hipError_tPvRmT1_PNSt15iterator_traitsISY_E10value_typeET2_T3_PNSZ_IS14_E10value_typeET4_jRbjT5_S1A_jjP12ihipStream_tbEUljE_EEESV_SW_SX_S14_S18_S1A_T6_T7_T9_mT8_S1C_bDpT10_ENKUlT_T0_E_clISt17integral_constantIbLb0EES1O_IbLb1EEEEDaS1K_S1L_EUlS1K_E_NS1_11comp_targetILNS1_3genE2ELNS1_11target_archE906ELNS1_3gpuE6ELNS1_3repE0EEENS1_30default_config_static_selectorELNS0_4arch9wavefront6targetE1EEEvSY_
    .private_segment_fixed_size: 0
    .sgpr_count:     50
    .sgpr_spill_count: 0
    .symbol:         _ZN7rocprim17ROCPRIM_400000_NS6detail17trampoline_kernelINS0_13select_configILj256ELj13ELNS0_17block_load_methodE3ELS4_3ELS4_3ELNS0_20block_scan_algorithmE0ELj4294967295EEENS1_25partition_config_selectorILNS1_17partition_subalgoE3EjNS0_10empty_typeEbEEZZNS1_14partition_implILS8_3ELb0ES6_jNS0_17counting_iteratorIjlEEPS9_SE_NS0_5tupleIJPjSE_EEENSF_IJSE_SE_EEES9_SG_JZNS1_25segmented_radix_sort_implINS0_14default_configELb1EPKhPhPKlPlN2at6native12_GLOBAL__N_18offset_tEEE10hipError_tPvRmT1_PNSt15iterator_traitsISY_E10value_typeET2_T3_PNSZ_IS14_E10value_typeET4_jRbjT5_S1A_jjP12ihipStream_tbEUljE_EEESV_SW_SX_S14_S18_S1A_T6_T7_T9_mT8_S1C_bDpT10_ENKUlT_T0_E_clISt17integral_constantIbLb0EES1O_IbLb1EEEEDaS1K_S1L_EUlS1K_E_NS1_11comp_targetILNS1_3genE2ELNS1_11target_archE906ELNS1_3gpuE6ELNS1_3repE0EEENS1_30default_config_static_selectorELNS0_4arch9wavefront6targetE1EEEvSY_.kd
    .uniform_work_group_size: 1
    .uses_dynamic_stack: false
    .vgpr_count:     71
    .vgpr_spill_count: 0
    .wavefront_size: 64
  - .args:
      - .offset:         0
        .size:           152
        .value_kind:     by_value
    .group_segment_fixed_size: 0
    .kernarg_segment_align: 8
    .kernarg_segment_size: 152
    .language:       OpenCL C
    .language_version:
      - 2
      - 0
    .max_flat_workgroup_size: 256
    .name:           _ZN7rocprim17ROCPRIM_400000_NS6detail17trampoline_kernelINS0_13select_configILj256ELj13ELNS0_17block_load_methodE3ELS4_3ELS4_3ELNS0_20block_scan_algorithmE0ELj4294967295EEENS1_25partition_config_selectorILNS1_17partition_subalgoE3EjNS0_10empty_typeEbEEZZNS1_14partition_implILS8_3ELb0ES6_jNS0_17counting_iteratorIjlEEPS9_SE_NS0_5tupleIJPjSE_EEENSF_IJSE_SE_EEES9_SG_JZNS1_25segmented_radix_sort_implINS0_14default_configELb1EPKhPhPKlPlN2at6native12_GLOBAL__N_18offset_tEEE10hipError_tPvRmT1_PNSt15iterator_traitsISY_E10value_typeET2_T3_PNSZ_IS14_E10value_typeET4_jRbjT5_S1A_jjP12ihipStream_tbEUljE_EEESV_SW_SX_S14_S18_S1A_T6_T7_T9_mT8_S1C_bDpT10_ENKUlT_T0_E_clISt17integral_constantIbLb0EES1O_IbLb1EEEEDaS1K_S1L_EUlS1K_E_NS1_11comp_targetILNS1_3genE10ELNS1_11target_archE1200ELNS1_3gpuE4ELNS1_3repE0EEENS1_30default_config_static_selectorELNS0_4arch9wavefront6targetE1EEEvSY_
    .private_segment_fixed_size: 0
    .sgpr_count:     4
    .sgpr_spill_count: 0
    .symbol:         _ZN7rocprim17ROCPRIM_400000_NS6detail17trampoline_kernelINS0_13select_configILj256ELj13ELNS0_17block_load_methodE3ELS4_3ELS4_3ELNS0_20block_scan_algorithmE0ELj4294967295EEENS1_25partition_config_selectorILNS1_17partition_subalgoE3EjNS0_10empty_typeEbEEZZNS1_14partition_implILS8_3ELb0ES6_jNS0_17counting_iteratorIjlEEPS9_SE_NS0_5tupleIJPjSE_EEENSF_IJSE_SE_EEES9_SG_JZNS1_25segmented_radix_sort_implINS0_14default_configELb1EPKhPhPKlPlN2at6native12_GLOBAL__N_18offset_tEEE10hipError_tPvRmT1_PNSt15iterator_traitsISY_E10value_typeET2_T3_PNSZ_IS14_E10value_typeET4_jRbjT5_S1A_jjP12ihipStream_tbEUljE_EEESV_SW_SX_S14_S18_S1A_T6_T7_T9_mT8_S1C_bDpT10_ENKUlT_T0_E_clISt17integral_constantIbLb0EES1O_IbLb1EEEEDaS1K_S1L_EUlS1K_E_NS1_11comp_targetILNS1_3genE10ELNS1_11target_archE1200ELNS1_3gpuE4ELNS1_3repE0EEENS1_30default_config_static_selectorELNS0_4arch9wavefront6targetE1EEEvSY_.kd
    .uniform_work_group_size: 1
    .uses_dynamic_stack: false
    .vgpr_count:     0
    .vgpr_spill_count: 0
    .wavefront_size: 64
  - .args:
      - .offset:         0
        .size:           152
        .value_kind:     by_value
    .group_segment_fixed_size: 0
    .kernarg_segment_align: 8
    .kernarg_segment_size: 152
    .language:       OpenCL C
    .language_version:
      - 2
      - 0
    .max_flat_workgroup_size: 256
    .name:           _ZN7rocprim17ROCPRIM_400000_NS6detail17trampoline_kernelINS0_13select_configILj256ELj13ELNS0_17block_load_methodE3ELS4_3ELS4_3ELNS0_20block_scan_algorithmE0ELj4294967295EEENS1_25partition_config_selectorILNS1_17partition_subalgoE3EjNS0_10empty_typeEbEEZZNS1_14partition_implILS8_3ELb0ES6_jNS0_17counting_iteratorIjlEEPS9_SE_NS0_5tupleIJPjSE_EEENSF_IJSE_SE_EEES9_SG_JZNS1_25segmented_radix_sort_implINS0_14default_configELb1EPKhPhPKlPlN2at6native12_GLOBAL__N_18offset_tEEE10hipError_tPvRmT1_PNSt15iterator_traitsISY_E10value_typeET2_T3_PNSZ_IS14_E10value_typeET4_jRbjT5_S1A_jjP12ihipStream_tbEUljE_EEESV_SW_SX_S14_S18_S1A_T6_T7_T9_mT8_S1C_bDpT10_ENKUlT_T0_E_clISt17integral_constantIbLb0EES1O_IbLb1EEEEDaS1K_S1L_EUlS1K_E_NS1_11comp_targetILNS1_3genE9ELNS1_11target_archE1100ELNS1_3gpuE3ELNS1_3repE0EEENS1_30default_config_static_selectorELNS0_4arch9wavefront6targetE1EEEvSY_
    .private_segment_fixed_size: 0
    .sgpr_count:     4
    .sgpr_spill_count: 0
    .symbol:         _ZN7rocprim17ROCPRIM_400000_NS6detail17trampoline_kernelINS0_13select_configILj256ELj13ELNS0_17block_load_methodE3ELS4_3ELS4_3ELNS0_20block_scan_algorithmE0ELj4294967295EEENS1_25partition_config_selectorILNS1_17partition_subalgoE3EjNS0_10empty_typeEbEEZZNS1_14partition_implILS8_3ELb0ES6_jNS0_17counting_iteratorIjlEEPS9_SE_NS0_5tupleIJPjSE_EEENSF_IJSE_SE_EEES9_SG_JZNS1_25segmented_radix_sort_implINS0_14default_configELb1EPKhPhPKlPlN2at6native12_GLOBAL__N_18offset_tEEE10hipError_tPvRmT1_PNSt15iterator_traitsISY_E10value_typeET2_T3_PNSZ_IS14_E10value_typeET4_jRbjT5_S1A_jjP12ihipStream_tbEUljE_EEESV_SW_SX_S14_S18_S1A_T6_T7_T9_mT8_S1C_bDpT10_ENKUlT_T0_E_clISt17integral_constantIbLb0EES1O_IbLb1EEEEDaS1K_S1L_EUlS1K_E_NS1_11comp_targetILNS1_3genE9ELNS1_11target_archE1100ELNS1_3gpuE3ELNS1_3repE0EEENS1_30default_config_static_selectorELNS0_4arch9wavefront6targetE1EEEvSY_.kd
    .uniform_work_group_size: 1
    .uses_dynamic_stack: false
    .vgpr_count:     0
    .vgpr_spill_count: 0
    .wavefront_size: 64
  - .args:
      - .offset:         0
        .size:           152
        .value_kind:     by_value
    .group_segment_fixed_size: 0
    .kernarg_segment_align: 8
    .kernarg_segment_size: 152
    .language:       OpenCL C
    .language_version:
      - 2
      - 0
    .max_flat_workgroup_size: 256
    .name:           _ZN7rocprim17ROCPRIM_400000_NS6detail17trampoline_kernelINS0_13select_configILj256ELj13ELNS0_17block_load_methodE3ELS4_3ELS4_3ELNS0_20block_scan_algorithmE0ELj4294967295EEENS1_25partition_config_selectorILNS1_17partition_subalgoE3EjNS0_10empty_typeEbEEZZNS1_14partition_implILS8_3ELb0ES6_jNS0_17counting_iteratorIjlEEPS9_SE_NS0_5tupleIJPjSE_EEENSF_IJSE_SE_EEES9_SG_JZNS1_25segmented_radix_sort_implINS0_14default_configELb1EPKhPhPKlPlN2at6native12_GLOBAL__N_18offset_tEEE10hipError_tPvRmT1_PNSt15iterator_traitsISY_E10value_typeET2_T3_PNSZ_IS14_E10value_typeET4_jRbjT5_S1A_jjP12ihipStream_tbEUljE_EEESV_SW_SX_S14_S18_S1A_T6_T7_T9_mT8_S1C_bDpT10_ENKUlT_T0_E_clISt17integral_constantIbLb0EES1O_IbLb1EEEEDaS1K_S1L_EUlS1K_E_NS1_11comp_targetILNS1_3genE8ELNS1_11target_archE1030ELNS1_3gpuE2ELNS1_3repE0EEENS1_30default_config_static_selectorELNS0_4arch9wavefront6targetE1EEEvSY_
    .private_segment_fixed_size: 0
    .sgpr_count:     4
    .sgpr_spill_count: 0
    .symbol:         _ZN7rocprim17ROCPRIM_400000_NS6detail17trampoline_kernelINS0_13select_configILj256ELj13ELNS0_17block_load_methodE3ELS4_3ELS4_3ELNS0_20block_scan_algorithmE0ELj4294967295EEENS1_25partition_config_selectorILNS1_17partition_subalgoE3EjNS0_10empty_typeEbEEZZNS1_14partition_implILS8_3ELb0ES6_jNS0_17counting_iteratorIjlEEPS9_SE_NS0_5tupleIJPjSE_EEENSF_IJSE_SE_EEES9_SG_JZNS1_25segmented_radix_sort_implINS0_14default_configELb1EPKhPhPKlPlN2at6native12_GLOBAL__N_18offset_tEEE10hipError_tPvRmT1_PNSt15iterator_traitsISY_E10value_typeET2_T3_PNSZ_IS14_E10value_typeET4_jRbjT5_S1A_jjP12ihipStream_tbEUljE_EEESV_SW_SX_S14_S18_S1A_T6_T7_T9_mT8_S1C_bDpT10_ENKUlT_T0_E_clISt17integral_constantIbLb0EES1O_IbLb1EEEEDaS1K_S1L_EUlS1K_E_NS1_11comp_targetILNS1_3genE8ELNS1_11target_archE1030ELNS1_3gpuE2ELNS1_3repE0EEENS1_30default_config_static_selectorELNS0_4arch9wavefront6targetE1EEEvSY_.kd
    .uniform_work_group_size: 1
    .uses_dynamic_stack: false
    .vgpr_count:     0
    .vgpr_spill_count: 0
    .wavefront_size: 64
  - .args:
      - .offset:         0
        .size:           96
        .value_kind:     by_value
    .group_segment_fixed_size: 0
    .kernarg_segment_align: 8
    .kernarg_segment_size: 96
    .language:       OpenCL C
    .language_version:
      - 2
      - 0
    .max_flat_workgroup_size: 256
    .name:           _ZN7rocprim17ROCPRIM_400000_NS6detail17trampoline_kernelINS0_14default_configENS1_36segmented_radix_sort_config_selectorIhlEEZNS1_25segmented_radix_sort_implIS3_Lb1EPKhPhPKlPlN2at6native12_GLOBAL__N_18offset_tEEE10hipError_tPvRmT1_PNSt15iterator_traitsISK_E10value_typeET2_T3_PNSL_ISQ_E10value_typeET4_jRbjT5_SW_jjP12ihipStream_tbEUlT_E_NS1_11comp_targetILNS1_3genE0ELNS1_11target_archE4294967295ELNS1_3gpuE0ELNS1_3repE0EEENS1_30default_config_static_selectorELNS0_4arch9wavefront6targetE1EEEvSK_
    .private_segment_fixed_size: 0
    .sgpr_count:     4
    .sgpr_spill_count: 0
    .symbol:         _ZN7rocprim17ROCPRIM_400000_NS6detail17trampoline_kernelINS0_14default_configENS1_36segmented_radix_sort_config_selectorIhlEEZNS1_25segmented_radix_sort_implIS3_Lb1EPKhPhPKlPlN2at6native12_GLOBAL__N_18offset_tEEE10hipError_tPvRmT1_PNSt15iterator_traitsISK_E10value_typeET2_T3_PNSL_ISQ_E10value_typeET4_jRbjT5_SW_jjP12ihipStream_tbEUlT_E_NS1_11comp_targetILNS1_3genE0ELNS1_11target_archE4294967295ELNS1_3gpuE0ELNS1_3repE0EEENS1_30default_config_static_selectorELNS0_4arch9wavefront6targetE1EEEvSK_.kd
    .uniform_work_group_size: 1
    .uses_dynamic_stack: false
    .vgpr_count:     0
    .vgpr_spill_count: 0
    .wavefront_size: 64
  - .args:
      - .offset:         0
        .size:           96
        .value_kind:     by_value
    .group_segment_fixed_size: 0
    .kernarg_segment_align: 8
    .kernarg_segment_size: 96
    .language:       OpenCL C
    .language_version:
      - 2
      - 0
    .max_flat_workgroup_size: 256
    .name:           _ZN7rocprim17ROCPRIM_400000_NS6detail17trampoline_kernelINS0_14default_configENS1_36segmented_radix_sort_config_selectorIhlEEZNS1_25segmented_radix_sort_implIS3_Lb1EPKhPhPKlPlN2at6native12_GLOBAL__N_18offset_tEEE10hipError_tPvRmT1_PNSt15iterator_traitsISK_E10value_typeET2_T3_PNSL_ISQ_E10value_typeET4_jRbjT5_SW_jjP12ihipStream_tbEUlT_E_NS1_11comp_targetILNS1_3genE5ELNS1_11target_archE942ELNS1_3gpuE9ELNS1_3repE0EEENS1_30default_config_static_selectorELNS0_4arch9wavefront6targetE1EEEvSK_
    .private_segment_fixed_size: 0
    .sgpr_count:     4
    .sgpr_spill_count: 0
    .symbol:         _ZN7rocprim17ROCPRIM_400000_NS6detail17trampoline_kernelINS0_14default_configENS1_36segmented_radix_sort_config_selectorIhlEEZNS1_25segmented_radix_sort_implIS3_Lb1EPKhPhPKlPlN2at6native12_GLOBAL__N_18offset_tEEE10hipError_tPvRmT1_PNSt15iterator_traitsISK_E10value_typeET2_T3_PNSL_ISQ_E10value_typeET4_jRbjT5_SW_jjP12ihipStream_tbEUlT_E_NS1_11comp_targetILNS1_3genE5ELNS1_11target_archE942ELNS1_3gpuE9ELNS1_3repE0EEENS1_30default_config_static_selectorELNS0_4arch9wavefront6targetE1EEEvSK_.kd
    .uniform_work_group_size: 1
    .uses_dynamic_stack: false
    .vgpr_count:     0
    .vgpr_spill_count: 0
    .wavefront_size: 64
  - .args:
      - .offset:         0
        .size:           96
        .value_kind:     by_value
    .group_segment_fixed_size: 0
    .kernarg_segment_align: 8
    .kernarg_segment_size: 96
    .language:       OpenCL C
    .language_version:
      - 2
      - 0
    .max_flat_workgroup_size: 256
    .name:           _ZN7rocprim17ROCPRIM_400000_NS6detail17trampoline_kernelINS0_14default_configENS1_36segmented_radix_sort_config_selectorIhlEEZNS1_25segmented_radix_sort_implIS3_Lb1EPKhPhPKlPlN2at6native12_GLOBAL__N_18offset_tEEE10hipError_tPvRmT1_PNSt15iterator_traitsISK_E10value_typeET2_T3_PNSL_ISQ_E10value_typeET4_jRbjT5_SW_jjP12ihipStream_tbEUlT_E_NS1_11comp_targetILNS1_3genE4ELNS1_11target_archE910ELNS1_3gpuE8ELNS1_3repE0EEENS1_30default_config_static_selectorELNS0_4arch9wavefront6targetE1EEEvSK_
    .private_segment_fixed_size: 0
    .sgpr_count:     4
    .sgpr_spill_count: 0
    .symbol:         _ZN7rocprim17ROCPRIM_400000_NS6detail17trampoline_kernelINS0_14default_configENS1_36segmented_radix_sort_config_selectorIhlEEZNS1_25segmented_radix_sort_implIS3_Lb1EPKhPhPKlPlN2at6native12_GLOBAL__N_18offset_tEEE10hipError_tPvRmT1_PNSt15iterator_traitsISK_E10value_typeET2_T3_PNSL_ISQ_E10value_typeET4_jRbjT5_SW_jjP12ihipStream_tbEUlT_E_NS1_11comp_targetILNS1_3genE4ELNS1_11target_archE910ELNS1_3gpuE8ELNS1_3repE0EEENS1_30default_config_static_selectorELNS0_4arch9wavefront6targetE1EEEvSK_.kd
    .uniform_work_group_size: 1
    .uses_dynamic_stack: false
    .vgpr_count:     0
    .vgpr_spill_count: 0
    .wavefront_size: 64
  - .args:
      - .offset:         0
        .size:           96
        .value_kind:     by_value
    .group_segment_fixed_size: 0
    .kernarg_segment_align: 8
    .kernarg_segment_size: 96
    .language:       OpenCL C
    .language_version:
      - 2
      - 0
    .max_flat_workgroup_size: 256
    .name:           _ZN7rocprim17ROCPRIM_400000_NS6detail17trampoline_kernelINS0_14default_configENS1_36segmented_radix_sort_config_selectorIhlEEZNS1_25segmented_radix_sort_implIS3_Lb1EPKhPhPKlPlN2at6native12_GLOBAL__N_18offset_tEEE10hipError_tPvRmT1_PNSt15iterator_traitsISK_E10value_typeET2_T3_PNSL_ISQ_E10value_typeET4_jRbjT5_SW_jjP12ihipStream_tbEUlT_E_NS1_11comp_targetILNS1_3genE3ELNS1_11target_archE908ELNS1_3gpuE7ELNS1_3repE0EEENS1_30default_config_static_selectorELNS0_4arch9wavefront6targetE1EEEvSK_
    .private_segment_fixed_size: 0
    .sgpr_count:     4
    .sgpr_spill_count: 0
    .symbol:         _ZN7rocprim17ROCPRIM_400000_NS6detail17trampoline_kernelINS0_14default_configENS1_36segmented_radix_sort_config_selectorIhlEEZNS1_25segmented_radix_sort_implIS3_Lb1EPKhPhPKlPlN2at6native12_GLOBAL__N_18offset_tEEE10hipError_tPvRmT1_PNSt15iterator_traitsISK_E10value_typeET2_T3_PNSL_ISQ_E10value_typeET4_jRbjT5_SW_jjP12ihipStream_tbEUlT_E_NS1_11comp_targetILNS1_3genE3ELNS1_11target_archE908ELNS1_3gpuE7ELNS1_3repE0EEENS1_30default_config_static_selectorELNS0_4arch9wavefront6targetE1EEEvSK_.kd
    .uniform_work_group_size: 1
    .uses_dynamic_stack: false
    .vgpr_count:     0
    .vgpr_spill_count: 0
    .wavefront_size: 64
  - .args:
      - .offset:         0
        .size:           96
        .value_kind:     by_value
      - .offset:         96
        .size:           4
        .value_kind:     hidden_block_count_x
      - .offset:         100
        .size:           4
        .value_kind:     hidden_block_count_y
      - .offset:         104
        .size:           4
        .value_kind:     hidden_block_count_z
      - .offset:         108
        .size:           2
        .value_kind:     hidden_group_size_x
      - .offset:         110
        .size:           2
        .value_kind:     hidden_group_size_y
      - .offset:         112
        .size:           2
        .value_kind:     hidden_group_size_z
      - .offset:         114
        .size:           2
        .value_kind:     hidden_remainder_x
      - .offset:         116
        .size:           2
        .value_kind:     hidden_remainder_y
      - .offset:         118
        .size:           2
        .value_kind:     hidden_remainder_z
      - .offset:         136
        .size:           8
        .value_kind:     hidden_global_offset_x
      - .offset:         144
        .size:           8
        .value_kind:     hidden_global_offset_y
      - .offset:         152
        .size:           8
        .value_kind:     hidden_global_offset_z
      - .offset:         160
        .size:           2
        .value_kind:     hidden_grid_dims
    .group_segment_fixed_size: 9232
    .kernarg_segment_align: 8
    .kernarg_segment_size: 352
    .language:       OpenCL C
    .language_version:
      - 2
      - 0
    .max_flat_workgroup_size: 256
    .name:           _ZN7rocprim17ROCPRIM_400000_NS6detail17trampoline_kernelINS0_14default_configENS1_36segmented_radix_sort_config_selectorIhlEEZNS1_25segmented_radix_sort_implIS3_Lb1EPKhPhPKlPlN2at6native12_GLOBAL__N_18offset_tEEE10hipError_tPvRmT1_PNSt15iterator_traitsISK_E10value_typeET2_T3_PNSL_ISQ_E10value_typeET4_jRbjT5_SW_jjP12ihipStream_tbEUlT_E_NS1_11comp_targetILNS1_3genE2ELNS1_11target_archE906ELNS1_3gpuE6ELNS1_3repE0EEENS1_30default_config_static_selectorELNS0_4arch9wavefront6targetE1EEEvSK_
    .private_segment_fixed_size: 0
    .sgpr_count:     80
    .sgpr_spill_count: 0
    .symbol:         _ZN7rocprim17ROCPRIM_400000_NS6detail17trampoline_kernelINS0_14default_configENS1_36segmented_radix_sort_config_selectorIhlEEZNS1_25segmented_radix_sort_implIS3_Lb1EPKhPhPKlPlN2at6native12_GLOBAL__N_18offset_tEEE10hipError_tPvRmT1_PNSt15iterator_traitsISK_E10value_typeET2_T3_PNSL_ISQ_E10value_typeET4_jRbjT5_SW_jjP12ihipStream_tbEUlT_E_NS1_11comp_targetILNS1_3genE2ELNS1_11target_archE906ELNS1_3gpuE6ELNS1_3repE0EEENS1_30default_config_static_selectorELNS0_4arch9wavefront6targetE1EEEvSK_.kd
    .uniform_work_group_size: 1
    .uses_dynamic_stack: false
    .vgpr_count:     97
    .vgpr_spill_count: 0
    .wavefront_size: 64
  - .args:
      - .offset:         0
        .size:           96
        .value_kind:     by_value
    .group_segment_fixed_size: 0
    .kernarg_segment_align: 8
    .kernarg_segment_size: 96
    .language:       OpenCL C
    .language_version:
      - 2
      - 0
    .max_flat_workgroup_size: 256
    .name:           _ZN7rocprim17ROCPRIM_400000_NS6detail17trampoline_kernelINS0_14default_configENS1_36segmented_radix_sort_config_selectorIhlEEZNS1_25segmented_radix_sort_implIS3_Lb1EPKhPhPKlPlN2at6native12_GLOBAL__N_18offset_tEEE10hipError_tPvRmT1_PNSt15iterator_traitsISK_E10value_typeET2_T3_PNSL_ISQ_E10value_typeET4_jRbjT5_SW_jjP12ihipStream_tbEUlT_E_NS1_11comp_targetILNS1_3genE10ELNS1_11target_archE1201ELNS1_3gpuE5ELNS1_3repE0EEENS1_30default_config_static_selectorELNS0_4arch9wavefront6targetE1EEEvSK_
    .private_segment_fixed_size: 0
    .sgpr_count:     4
    .sgpr_spill_count: 0
    .symbol:         _ZN7rocprim17ROCPRIM_400000_NS6detail17trampoline_kernelINS0_14default_configENS1_36segmented_radix_sort_config_selectorIhlEEZNS1_25segmented_radix_sort_implIS3_Lb1EPKhPhPKlPlN2at6native12_GLOBAL__N_18offset_tEEE10hipError_tPvRmT1_PNSt15iterator_traitsISK_E10value_typeET2_T3_PNSL_ISQ_E10value_typeET4_jRbjT5_SW_jjP12ihipStream_tbEUlT_E_NS1_11comp_targetILNS1_3genE10ELNS1_11target_archE1201ELNS1_3gpuE5ELNS1_3repE0EEENS1_30default_config_static_selectorELNS0_4arch9wavefront6targetE1EEEvSK_.kd
    .uniform_work_group_size: 1
    .uses_dynamic_stack: false
    .vgpr_count:     0
    .vgpr_spill_count: 0
    .wavefront_size: 64
  - .args:
      - .offset:         0
        .size:           96
        .value_kind:     by_value
    .group_segment_fixed_size: 0
    .kernarg_segment_align: 8
    .kernarg_segment_size: 96
    .language:       OpenCL C
    .language_version:
      - 2
      - 0
    .max_flat_workgroup_size: 128
    .name:           _ZN7rocprim17ROCPRIM_400000_NS6detail17trampoline_kernelINS0_14default_configENS1_36segmented_radix_sort_config_selectorIhlEEZNS1_25segmented_radix_sort_implIS3_Lb1EPKhPhPKlPlN2at6native12_GLOBAL__N_18offset_tEEE10hipError_tPvRmT1_PNSt15iterator_traitsISK_E10value_typeET2_T3_PNSL_ISQ_E10value_typeET4_jRbjT5_SW_jjP12ihipStream_tbEUlT_E_NS1_11comp_targetILNS1_3genE10ELNS1_11target_archE1200ELNS1_3gpuE4ELNS1_3repE0EEENS1_30default_config_static_selectorELNS0_4arch9wavefront6targetE1EEEvSK_
    .private_segment_fixed_size: 0
    .sgpr_count:     4
    .sgpr_spill_count: 0
    .symbol:         _ZN7rocprim17ROCPRIM_400000_NS6detail17trampoline_kernelINS0_14default_configENS1_36segmented_radix_sort_config_selectorIhlEEZNS1_25segmented_radix_sort_implIS3_Lb1EPKhPhPKlPlN2at6native12_GLOBAL__N_18offset_tEEE10hipError_tPvRmT1_PNSt15iterator_traitsISK_E10value_typeET2_T3_PNSL_ISQ_E10value_typeET4_jRbjT5_SW_jjP12ihipStream_tbEUlT_E_NS1_11comp_targetILNS1_3genE10ELNS1_11target_archE1200ELNS1_3gpuE4ELNS1_3repE0EEENS1_30default_config_static_selectorELNS0_4arch9wavefront6targetE1EEEvSK_.kd
    .uniform_work_group_size: 1
    .uses_dynamic_stack: false
    .vgpr_count:     0
    .vgpr_spill_count: 0
    .wavefront_size: 64
  - .args:
      - .offset:         0
        .size:           96
        .value_kind:     by_value
    .group_segment_fixed_size: 0
    .kernarg_segment_align: 8
    .kernarg_segment_size: 96
    .language:       OpenCL C
    .language_version:
      - 2
      - 0
    .max_flat_workgroup_size: 256
    .name:           _ZN7rocprim17ROCPRIM_400000_NS6detail17trampoline_kernelINS0_14default_configENS1_36segmented_radix_sort_config_selectorIhlEEZNS1_25segmented_radix_sort_implIS3_Lb1EPKhPhPKlPlN2at6native12_GLOBAL__N_18offset_tEEE10hipError_tPvRmT1_PNSt15iterator_traitsISK_E10value_typeET2_T3_PNSL_ISQ_E10value_typeET4_jRbjT5_SW_jjP12ihipStream_tbEUlT_E_NS1_11comp_targetILNS1_3genE9ELNS1_11target_archE1100ELNS1_3gpuE3ELNS1_3repE0EEENS1_30default_config_static_selectorELNS0_4arch9wavefront6targetE1EEEvSK_
    .private_segment_fixed_size: 0
    .sgpr_count:     4
    .sgpr_spill_count: 0
    .symbol:         _ZN7rocprim17ROCPRIM_400000_NS6detail17trampoline_kernelINS0_14default_configENS1_36segmented_radix_sort_config_selectorIhlEEZNS1_25segmented_radix_sort_implIS3_Lb1EPKhPhPKlPlN2at6native12_GLOBAL__N_18offset_tEEE10hipError_tPvRmT1_PNSt15iterator_traitsISK_E10value_typeET2_T3_PNSL_ISQ_E10value_typeET4_jRbjT5_SW_jjP12ihipStream_tbEUlT_E_NS1_11comp_targetILNS1_3genE9ELNS1_11target_archE1100ELNS1_3gpuE3ELNS1_3repE0EEENS1_30default_config_static_selectorELNS0_4arch9wavefront6targetE1EEEvSK_.kd
    .uniform_work_group_size: 1
    .uses_dynamic_stack: false
    .vgpr_count:     0
    .vgpr_spill_count: 0
    .wavefront_size: 64
  - .args:
      - .offset:         0
        .size:           96
        .value_kind:     by_value
    .group_segment_fixed_size: 0
    .kernarg_segment_align: 8
    .kernarg_segment_size: 96
    .language:       OpenCL C
    .language_version:
      - 2
      - 0
    .max_flat_workgroup_size: 256
    .name:           _ZN7rocprim17ROCPRIM_400000_NS6detail17trampoline_kernelINS0_14default_configENS1_36segmented_radix_sort_config_selectorIhlEEZNS1_25segmented_radix_sort_implIS3_Lb1EPKhPhPKlPlN2at6native12_GLOBAL__N_18offset_tEEE10hipError_tPvRmT1_PNSt15iterator_traitsISK_E10value_typeET2_T3_PNSL_ISQ_E10value_typeET4_jRbjT5_SW_jjP12ihipStream_tbEUlT_E_NS1_11comp_targetILNS1_3genE8ELNS1_11target_archE1030ELNS1_3gpuE2ELNS1_3repE0EEENS1_30default_config_static_selectorELNS0_4arch9wavefront6targetE1EEEvSK_
    .private_segment_fixed_size: 0
    .sgpr_count:     4
    .sgpr_spill_count: 0
    .symbol:         _ZN7rocprim17ROCPRIM_400000_NS6detail17trampoline_kernelINS0_14default_configENS1_36segmented_radix_sort_config_selectorIhlEEZNS1_25segmented_radix_sort_implIS3_Lb1EPKhPhPKlPlN2at6native12_GLOBAL__N_18offset_tEEE10hipError_tPvRmT1_PNSt15iterator_traitsISK_E10value_typeET2_T3_PNSL_ISQ_E10value_typeET4_jRbjT5_SW_jjP12ihipStream_tbEUlT_E_NS1_11comp_targetILNS1_3genE8ELNS1_11target_archE1030ELNS1_3gpuE2ELNS1_3repE0EEENS1_30default_config_static_selectorELNS0_4arch9wavefront6targetE1EEEvSK_.kd
    .uniform_work_group_size: 1
    .uses_dynamic_stack: false
    .vgpr_count:     0
    .vgpr_spill_count: 0
    .wavefront_size: 64
  - .args:
      - .offset:         0
        .size:           88
        .value_kind:     by_value
    .group_segment_fixed_size: 0
    .kernarg_segment_align: 8
    .kernarg_segment_size: 88
    .language:       OpenCL C
    .language_version:
      - 2
      - 0
    .max_flat_workgroup_size: 256
    .name:           _ZN7rocprim17ROCPRIM_400000_NS6detail17trampoline_kernelINS0_14default_configENS1_36segmented_radix_sort_config_selectorIhlEEZNS1_25segmented_radix_sort_implIS3_Lb1EPKhPhPKlPlN2at6native12_GLOBAL__N_18offset_tEEE10hipError_tPvRmT1_PNSt15iterator_traitsISK_E10value_typeET2_T3_PNSL_ISQ_E10value_typeET4_jRbjT5_SW_jjP12ihipStream_tbEUlT_E0_NS1_11comp_targetILNS1_3genE0ELNS1_11target_archE4294967295ELNS1_3gpuE0ELNS1_3repE0EEENS1_60segmented_radix_sort_warp_sort_medium_config_static_selectorELNS0_4arch9wavefront6targetE1EEEvSK_
    .private_segment_fixed_size: 0
    .sgpr_count:     4
    .sgpr_spill_count: 0
    .symbol:         _ZN7rocprim17ROCPRIM_400000_NS6detail17trampoline_kernelINS0_14default_configENS1_36segmented_radix_sort_config_selectorIhlEEZNS1_25segmented_radix_sort_implIS3_Lb1EPKhPhPKlPlN2at6native12_GLOBAL__N_18offset_tEEE10hipError_tPvRmT1_PNSt15iterator_traitsISK_E10value_typeET2_T3_PNSL_ISQ_E10value_typeET4_jRbjT5_SW_jjP12ihipStream_tbEUlT_E0_NS1_11comp_targetILNS1_3genE0ELNS1_11target_archE4294967295ELNS1_3gpuE0ELNS1_3repE0EEENS1_60segmented_radix_sort_warp_sort_medium_config_static_selectorELNS0_4arch9wavefront6targetE1EEEvSK_.kd
    .uniform_work_group_size: 1
    .uses_dynamic_stack: false
    .vgpr_count:     0
    .vgpr_spill_count: 0
    .wavefront_size: 64
  - .args:
      - .offset:         0
        .size:           88
        .value_kind:     by_value
    .group_segment_fixed_size: 0
    .kernarg_segment_align: 8
    .kernarg_segment_size: 88
    .language:       OpenCL C
    .language_version:
      - 2
      - 0
    .max_flat_workgroup_size: 256
    .name:           _ZN7rocprim17ROCPRIM_400000_NS6detail17trampoline_kernelINS0_14default_configENS1_36segmented_radix_sort_config_selectorIhlEEZNS1_25segmented_radix_sort_implIS3_Lb1EPKhPhPKlPlN2at6native12_GLOBAL__N_18offset_tEEE10hipError_tPvRmT1_PNSt15iterator_traitsISK_E10value_typeET2_T3_PNSL_ISQ_E10value_typeET4_jRbjT5_SW_jjP12ihipStream_tbEUlT_E0_NS1_11comp_targetILNS1_3genE5ELNS1_11target_archE942ELNS1_3gpuE9ELNS1_3repE0EEENS1_60segmented_radix_sort_warp_sort_medium_config_static_selectorELNS0_4arch9wavefront6targetE1EEEvSK_
    .private_segment_fixed_size: 0
    .sgpr_count:     4
    .sgpr_spill_count: 0
    .symbol:         _ZN7rocprim17ROCPRIM_400000_NS6detail17trampoline_kernelINS0_14default_configENS1_36segmented_radix_sort_config_selectorIhlEEZNS1_25segmented_radix_sort_implIS3_Lb1EPKhPhPKlPlN2at6native12_GLOBAL__N_18offset_tEEE10hipError_tPvRmT1_PNSt15iterator_traitsISK_E10value_typeET2_T3_PNSL_ISQ_E10value_typeET4_jRbjT5_SW_jjP12ihipStream_tbEUlT_E0_NS1_11comp_targetILNS1_3genE5ELNS1_11target_archE942ELNS1_3gpuE9ELNS1_3repE0EEENS1_60segmented_radix_sort_warp_sort_medium_config_static_selectorELNS0_4arch9wavefront6targetE1EEEvSK_.kd
    .uniform_work_group_size: 1
    .uses_dynamic_stack: false
    .vgpr_count:     0
    .vgpr_spill_count: 0
    .wavefront_size: 64
  - .args:
      - .offset:         0
        .size:           88
        .value_kind:     by_value
    .group_segment_fixed_size: 0
    .kernarg_segment_align: 8
    .kernarg_segment_size: 88
    .language:       OpenCL C
    .language_version:
      - 2
      - 0
    .max_flat_workgroup_size: 256
    .name:           _ZN7rocprim17ROCPRIM_400000_NS6detail17trampoline_kernelINS0_14default_configENS1_36segmented_radix_sort_config_selectorIhlEEZNS1_25segmented_radix_sort_implIS3_Lb1EPKhPhPKlPlN2at6native12_GLOBAL__N_18offset_tEEE10hipError_tPvRmT1_PNSt15iterator_traitsISK_E10value_typeET2_T3_PNSL_ISQ_E10value_typeET4_jRbjT5_SW_jjP12ihipStream_tbEUlT_E0_NS1_11comp_targetILNS1_3genE4ELNS1_11target_archE910ELNS1_3gpuE8ELNS1_3repE0EEENS1_60segmented_radix_sort_warp_sort_medium_config_static_selectorELNS0_4arch9wavefront6targetE1EEEvSK_
    .private_segment_fixed_size: 0
    .sgpr_count:     4
    .sgpr_spill_count: 0
    .symbol:         _ZN7rocprim17ROCPRIM_400000_NS6detail17trampoline_kernelINS0_14default_configENS1_36segmented_radix_sort_config_selectorIhlEEZNS1_25segmented_radix_sort_implIS3_Lb1EPKhPhPKlPlN2at6native12_GLOBAL__N_18offset_tEEE10hipError_tPvRmT1_PNSt15iterator_traitsISK_E10value_typeET2_T3_PNSL_ISQ_E10value_typeET4_jRbjT5_SW_jjP12ihipStream_tbEUlT_E0_NS1_11comp_targetILNS1_3genE4ELNS1_11target_archE910ELNS1_3gpuE8ELNS1_3repE0EEENS1_60segmented_radix_sort_warp_sort_medium_config_static_selectorELNS0_4arch9wavefront6targetE1EEEvSK_.kd
    .uniform_work_group_size: 1
    .uses_dynamic_stack: false
    .vgpr_count:     0
    .vgpr_spill_count: 0
    .wavefront_size: 64
  - .args:
      - .offset:         0
        .size:           88
        .value_kind:     by_value
    .group_segment_fixed_size: 0
    .kernarg_segment_align: 8
    .kernarg_segment_size: 88
    .language:       OpenCL C
    .language_version:
      - 2
      - 0
    .max_flat_workgroup_size: 256
    .name:           _ZN7rocprim17ROCPRIM_400000_NS6detail17trampoline_kernelINS0_14default_configENS1_36segmented_radix_sort_config_selectorIhlEEZNS1_25segmented_radix_sort_implIS3_Lb1EPKhPhPKlPlN2at6native12_GLOBAL__N_18offset_tEEE10hipError_tPvRmT1_PNSt15iterator_traitsISK_E10value_typeET2_T3_PNSL_ISQ_E10value_typeET4_jRbjT5_SW_jjP12ihipStream_tbEUlT_E0_NS1_11comp_targetILNS1_3genE3ELNS1_11target_archE908ELNS1_3gpuE7ELNS1_3repE0EEENS1_60segmented_radix_sort_warp_sort_medium_config_static_selectorELNS0_4arch9wavefront6targetE1EEEvSK_
    .private_segment_fixed_size: 0
    .sgpr_count:     4
    .sgpr_spill_count: 0
    .symbol:         _ZN7rocprim17ROCPRIM_400000_NS6detail17trampoline_kernelINS0_14default_configENS1_36segmented_radix_sort_config_selectorIhlEEZNS1_25segmented_radix_sort_implIS3_Lb1EPKhPhPKlPlN2at6native12_GLOBAL__N_18offset_tEEE10hipError_tPvRmT1_PNSt15iterator_traitsISK_E10value_typeET2_T3_PNSL_ISQ_E10value_typeET4_jRbjT5_SW_jjP12ihipStream_tbEUlT_E0_NS1_11comp_targetILNS1_3genE3ELNS1_11target_archE908ELNS1_3gpuE7ELNS1_3repE0EEENS1_60segmented_radix_sort_warp_sort_medium_config_static_selectorELNS0_4arch9wavefront6targetE1EEEvSK_.kd
    .uniform_work_group_size: 1
    .uses_dynamic_stack: false
    .vgpr_count:     0
    .vgpr_spill_count: 0
    .wavefront_size: 64
  - .args:
      - .offset:         0
        .size:           88
        .value_kind:     by_value
      - .offset:         88
        .size:           4
        .value_kind:     hidden_block_count_x
      - .offset:         92
        .size:           4
        .value_kind:     hidden_block_count_y
      - .offset:         96
        .size:           4
        .value_kind:     hidden_block_count_z
      - .offset:         100
        .size:           2
        .value_kind:     hidden_group_size_x
      - .offset:         102
        .size:           2
        .value_kind:     hidden_group_size_y
      - .offset:         104
        .size:           2
        .value_kind:     hidden_group_size_z
      - .offset:         106
        .size:           2
        .value_kind:     hidden_remainder_x
      - .offset:         108
        .size:           2
        .value_kind:     hidden_remainder_y
      - .offset:         110
        .size:           2
        .value_kind:     hidden_remainder_z
      - .offset:         128
        .size:           8
        .value_kind:     hidden_global_offset_x
      - .offset:         136
        .size:           8
        .value_kind:     hidden_global_offset_y
      - .offset:         144
        .size:           8
        .value_kind:     hidden_global_offset_z
      - .offset:         152
        .size:           2
        .value_kind:     hidden_grid_dims
    .group_segment_fixed_size: 18432
    .kernarg_segment_align: 8
    .kernarg_segment_size: 344
    .language:       OpenCL C
    .language_version:
      - 2
      - 0
    .max_flat_workgroup_size: 256
    .name:           _ZN7rocprim17ROCPRIM_400000_NS6detail17trampoline_kernelINS0_14default_configENS1_36segmented_radix_sort_config_selectorIhlEEZNS1_25segmented_radix_sort_implIS3_Lb1EPKhPhPKlPlN2at6native12_GLOBAL__N_18offset_tEEE10hipError_tPvRmT1_PNSt15iterator_traitsISK_E10value_typeET2_T3_PNSL_ISQ_E10value_typeET4_jRbjT5_SW_jjP12ihipStream_tbEUlT_E0_NS1_11comp_targetILNS1_3genE2ELNS1_11target_archE906ELNS1_3gpuE6ELNS1_3repE0EEENS1_60segmented_radix_sort_warp_sort_medium_config_static_selectorELNS0_4arch9wavefront6targetE1EEEvSK_
    .private_segment_fixed_size: 0
    .sgpr_count:     64
    .sgpr_spill_count: 0
    .symbol:         _ZN7rocprim17ROCPRIM_400000_NS6detail17trampoline_kernelINS0_14default_configENS1_36segmented_radix_sort_config_selectorIhlEEZNS1_25segmented_radix_sort_implIS3_Lb1EPKhPhPKlPlN2at6native12_GLOBAL__N_18offset_tEEE10hipError_tPvRmT1_PNSt15iterator_traitsISK_E10value_typeET2_T3_PNSL_ISQ_E10value_typeET4_jRbjT5_SW_jjP12ihipStream_tbEUlT_E0_NS1_11comp_targetILNS1_3genE2ELNS1_11target_archE906ELNS1_3gpuE6ELNS1_3repE0EEENS1_60segmented_radix_sort_warp_sort_medium_config_static_selectorELNS0_4arch9wavefront6targetE1EEEvSK_.kd
    .uniform_work_group_size: 1
    .uses_dynamic_stack: false
    .vgpr_count:     70
    .vgpr_spill_count: 0
    .wavefront_size: 64
  - .args:
      - .offset:         0
        .size:           88
        .value_kind:     by_value
    .group_segment_fixed_size: 0
    .kernarg_segment_align: 8
    .kernarg_segment_size: 88
    .language:       OpenCL C
    .language_version:
      - 2
      - 0
    .max_flat_workgroup_size: 256
    .name:           _ZN7rocprim17ROCPRIM_400000_NS6detail17trampoline_kernelINS0_14default_configENS1_36segmented_radix_sort_config_selectorIhlEEZNS1_25segmented_radix_sort_implIS3_Lb1EPKhPhPKlPlN2at6native12_GLOBAL__N_18offset_tEEE10hipError_tPvRmT1_PNSt15iterator_traitsISK_E10value_typeET2_T3_PNSL_ISQ_E10value_typeET4_jRbjT5_SW_jjP12ihipStream_tbEUlT_E0_NS1_11comp_targetILNS1_3genE10ELNS1_11target_archE1201ELNS1_3gpuE5ELNS1_3repE0EEENS1_60segmented_radix_sort_warp_sort_medium_config_static_selectorELNS0_4arch9wavefront6targetE1EEEvSK_
    .private_segment_fixed_size: 0
    .sgpr_count:     4
    .sgpr_spill_count: 0
    .symbol:         _ZN7rocprim17ROCPRIM_400000_NS6detail17trampoline_kernelINS0_14default_configENS1_36segmented_radix_sort_config_selectorIhlEEZNS1_25segmented_radix_sort_implIS3_Lb1EPKhPhPKlPlN2at6native12_GLOBAL__N_18offset_tEEE10hipError_tPvRmT1_PNSt15iterator_traitsISK_E10value_typeET2_T3_PNSL_ISQ_E10value_typeET4_jRbjT5_SW_jjP12ihipStream_tbEUlT_E0_NS1_11comp_targetILNS1_3genE10ELNS1_11target_archE1201ELNS1_3gpuE5ELNS1_3repE0EEENS1_60segmented_radix_sort_warp_sort_medium_config_static_selectorELNS0_4arch9wavefront6targetE1EEEvSK_.kd
    .uniform_work_group_size: 1
    .uses_dynamic_stack: false
    .vgpr_count:     0
    .vgpr_spill_count: 0
    .wavefront_size: 64
  - .args:
      - .offset:         0
        .size:           88
        .value_kind:     by_value
    .group_segment_fixed_size: 0
    .kernarg_segment_align: 8
    .kernarg_segment_size: 88
    .language:       OpenCL C
    .language_version:
      - 2
      - 0
    .max_flat_workgroup_size: 256
    .name:           _ZN7rocprim17ROCPRIM_400000_NS6detail17trampoline_kernelINS0_14default_configENS1_36segmented_radix_sort_config_selectorIhlEEZNS1_25segmented_radix_sort_implIS3_Lb1EPKhPhPKlPlN2at6native12_GLOBAL__N_18offset_tEEE10hipError_tPvRmT1_PNSt15iterator_traitsISK_E10value_typeET2_T3_PNSL_ISQ_E10value_typeET4_jRbjT5_SW_jjP12ihipStream_tbEUlT_E0_NS1_11comp_targetILNS1_3genE10ELNS1_11target_archE1200ELNS1_3gpuE4ELNS1_3repE0EEENS1_60segmented_radix_sort_warp_sort_medium_config_static_selectorELNS0_4arch9wavefront6targetE1EEEvSK_
    .private_segment_fixed_size: 0
    .sgpr_count:     4
    .sgpr_spill_count: 0
    .symbol:         _ZN7rocprim17ROCPRIM_400000_NS6detail17trampoline_kernelINS0_14default_configENS1_36segmented_radix_sort_config_selectorIhlEEZNS1_25segmented_radix_sort_implIS3_Lb1EPKhPhPKlPlN2at6native12_GLOBAL__N_18offset_tEEE10hipError_tPvRmT1_PNSt15iterator_traitsISK_E10value_typeET2_T3_PNSL_ISQ_E10value_typeET4_jRbjT5_SW_jjP12ihipStream_tbEUlT_E0_NS1_11comp_targetILNS1_3genE10ELNS1_11target_archE1200ELNS1_3gpuE4ELNS1_3repE0EEENS1_60segmented_radix_sort_warp_sort_medium_config_static_selectorELNS0_4arch9wavefront6targetE1EEEvSK_.kd
    .uniform_work_group_size: 1
    .uses_dynamic_stack: false
    .vgpr_count:     0
    .vgpr_spill_count: 0
    .wavefront_size: 64
  - .args:
      - .offset:         0
        .size:           88
        .value_kind:     by_value
    .group_segment_fixed_size: 0
    .kernarg_segment_align: 8
    .kernarg_segment_size: 88
    .language:       OpenCL C
    .language_version:
      - 2
      - 0
    .max_flat_workgroup_size: 256
    .name:           _ZN7rocprim17ROCPRIM_400000_NS6detail17trampoline_kernelINS0_14default_configENS1_36segmented_radix_sort_config_selectorIhlEEZNS1_25segmented_radix_sort_implIS3_Lb1EPKhPhPKlPlN2at6native12_GLOBAL__N_18offset_tEEE10hipError_tPvRmT1_PNSt15iterator_traitsISK_E10value_typeET2_T3_PNSL_ISQ_E10value_typeET4_jRbjT5_SW_jjP12ihipStream_tbEUlT_E0_NS1_11comp_targetILNS1_3genE9ELNS1_11target_archE1100ELNS1_3gpuE3ELNS1_3repE0EEENS1_60segmented_radix_sort_warp_sort_medium_config_static_selectorELNS0_4arch9wavefront6targetE1EEEvSK_
    .private_segment_fixed_size: 0
    .sgpr_count:     4
    .sgpr_spill_count: 0
    .symbol:         _ZN7rocprim17ROCPRIM_400000_NS6detail17trampoline_kernelINS0_14default_configENS1_36segmented_radix_sort_config_selectorIhlEEZNS1_25segmented_radix_sort_implIS3_Lb1EPKhPhPKlPlN2at6native12_GLOBAL__N_18offset_tEEE10hipError_tPvRmT1_PNSt15iterator_traitsISK_E10value_typeET2_T3_PNSL_ISQ_E10value_typeET4_jRbjT5_SW_jjP12ihipStream_tbEUlT_E0_NS1_11comp_targetILNS1_3genE9ELNS1_11target_archE1100ELNS1_3gpuE3ELNS1_3repE0EEENS1_60segmented_radix_sort_warp_sort_medium_config_static_selectorELNS0_4arch9wavefront6targetE1EEEvSK_.kd
    .uniform_work_group_size: 1
    .uses_dynamic_stack: false
    .vgpr_count:     0
    .vgpr_spill_count: 0
    .wavefront_size: 64
  - .args:
      - .offset:         0
        .size:           88
        .value_kind:     by_value
    .group_segment_fixed_size: 0
    .kernarg_segment_align: 8
    .kernarg_segment_size: 88
    .language:       OpenCL C
    .language_version:
      - 2
      - 0
    .max_flat_workgroup_size: 256
    .name:           _ZN7rocprim17ROCPRIM_400000_NS6detail17trampoline_kernelINS0_14default_configENS1_36segmented_radix_sort_config_selectorIhlEEZNS1_25segmented_radix_sort_implIS3_Lb1EPKhPhPKlPlN2at6native12_GLOBAL__N_18offset_tEEE10hipError_tPvRmT1_PNSt15iterator_traitsISK_E10value_typeET2_T3_PNSL_ISQ_E10value_typeET4_jRbjT5_SW_jjP12ihipStream_tbEUlT_E0_NS1_11comp_targetILNS1_3genE8ELNS1_11target_archE1030ELNS1_3gpuE2ELNS1_3repE0EEENS1_60segmented_radix_sort_warp_sort_medium_config_static_selectorELNS0_4arch9wavefront6targetE1EEEvSK_
    .private_segment_fixed_size: 0
    .sgpr_count:     4
    .sgpr_spill_count: 0
    .symbol:         _ZN7rocprim17ROCPRIM_400000_NS6detail17trampoline_kernelINS0_14default_configENS1_36segmented_radix_sort_config_selectorIhlEEZNS1_25segmented_radix_sort_implIS3_Lb1EPKhPhPKlPlN2at6native12_GLOBAL__N_18offset_tEEE10hipError_tPvRmT1_PNSt15iterator_traitsISK_E10value_typeET2_T3_PNSL_ISQ_E10value_typeET4_jRbjT5_SW_jjP12ihipStream_tbEUlT_E0_NS1_11comp_targetILNS1_3genE8ELNS1_11target_archE1030ELNS1_3gpuE2ELNS1_3repE0EEENS1_60segmented_radix_sort_warp_sort_medium_config_static_selectorELNS0_4arch9wavefront6targetE1EEEvSK_.kd
    .uniform_work_group_size: 1
    .uses_dynamic_stack: false
    .vgpr_count:     0
    .vgpr_spill_count: 0
    .wavefront_size: 64
  - .args:
      - .offset:         0
        .size:           88
        .value_kind:     by_value
    .group_segment_fixed_size: 0
    .kernarg_segment_align: 8
    .kernarg_segment_size: 88
    .language:       OpenCL C
    .language_version:
      - 2
      - 0
    .max_flat_workgroup_size: 256
    .name:           _ZN7rocprim17ROCPRIM_400000_NS6detail17trampoline_kernelINS0_14default_configENS1_36segmented_radix_sort_config_selectorIhlEEZNS1_25segmented_radix_sort_implIS3_Lb1EPKhPhPKlPlN2at6native12_GLOBAL__N_18offset_tEEE10hipError_tPvRmT1_PNSt15iterator_traitsISK_E10value_typeET2_T3_PNSL_ISQ_E10value_typeET4_jRbjT5_SW_jjP12ihipStream_tbEUlT_E1_NS1_11comp_targetILNS1_3genE0ELNS1_11target_archE4294967295ELNS1_3gpuE0ELNS1_3repE0EEENS1_59segmented_radix_sort_warp_sort_small_config_static_selectorELNS0_4arch9wavefront6targetE1EEEvSK_
    .private_segment_fixed_size: 0
    .sgpr_count:     4
    .sgpr_spill_count: 0
    .symbol:         _ZN7rocprim17ROCPRIM_400000_NS6detail17trampoline_kernelINS0_14default_configENS1_36segmented_radix_sort_config_selectorIhlEEZNS1_25segmented_radix_sort_implIS3_Lb1EPKhPhPKlPlN2at6native12_GLOBAL__N_18offset_tEEE10hipError_tPvRmT1_PNSt15iterator_traitsISK_E10value_typeET2_T3_PNSL_ISQ_E10value_typeET4_jRbjT5_SW_jjP12ihipStream_tbEUlT_E1_NS1_11comp_targetILNS1_3genE0ELNS1_11target_archE4294967295ELNS1_3gpuE0ELNS1_3repE0EEENS1_59segmented_radix_sort_warp_sort_small_config_static_selectorELNS0_4arch9wavefront6targetE1EEEvSK_.kd
    .uniform_work_group_size: 1
    .uses_dynamic_stack: false
    .vgpr_count:     0
    .vgpr_spill_count: 0
    .wavefront_size: 64
  - .args:
      - .offset:         0
        .size:           88
        .value_kind:     by_value
    .group_segment_fixed_size: 0
    .kernarg_segment_align: 8
    .kernarg_segment_size: 88
    .language:       OpenCL C
    .language_version:
      - 2
      - 0
    .max_flat_workgroup_size: 256
    .name:           _ZN7rocprim17ROCPRIM_400000_NS6detail17trampoline_kernelINS0_14default_configENS1_36segmented_radix_sort_config_selectorIhlEEZNS1_25segmented_radix_sort_implIS3_Lb1EPKhPhPKlPlN2at6native12_GLOBAL__N_18offset_tEEE10hipError_tPvRmT1_PNSt15iterator_traitsISK_E10value_typeET2_T3_PNSL_ISQ_E10value_typeET4_jRbjT5_SW_jjP12ihipStream_tbEUlT_E1_NS1_11comp_targetILNS1_3genE5ELNS1_11target_archE942ELNS1_3gpuE9ELNS1_3repE0EEENS1_59segmented_radix_sort_warp_sort_small_config_static_selectorELNS0_4arch9wavefront6targetE1EEEvSK_
    .private_segment_fixed_size: 0
    .sgpr_count:     4
    .sgpr_spill_count: 0
    .symbol:         _ZN7rocprim17ROCPRIM_400000_NS6detail17trampoline_kernelINS0_14default_configENS1_36segmented_radix_sort_config_selectorIhlEEZNS1_25segmented_radix_sort_implIS3_Lb1EPKhPhPKlPlN2at6native12_GLOBAL__N_18offset_tEEE10hipError_tPvRmT1_PNSt15iterator_traitsISK_E10value_typeET2_T3_PNSL_ISQ_E10value_typeET4_jRbjT5_SW_jjP12ihipStream_tbEUlT_E1_NS1_11comp_targetILNS1_3genE5ELNS1_11target_archE942ELNS1_3gpuE9ELNS1_3repE0EEENS1_59segmented_radix_sort_warp_sort_small_config_static_selectorELNS0_4arch9wavefront6targetE1EEEvSK_.kd
    .uniform_work_group_size: 1
    .uses_dynamic_stack: false
    .vgpr_count:     0
    .vgpr_spill_count: 0
    .wavefront_size: 64
  - .args:
      - .offset:         0
        .size:           88
        .value_kind:     by_value
    .group_segment_fixed_size: 0
    .kernarg_segment_align: 8
    .kernarg_segment_size: 88
    .language:       OpenCL C
    .language_version:
      - 2
      - 0
    .max_flat_workgroup_size: 256
    .name:           _ZN7rocprim17ROCPRIM_400000_NS6detail17trampoline_kernelINS0_14default_configENS1_36segmented_radix_sort_config_selectorIhlEEZNS1_25segmented_radix_sort_implIS3_Lb1EPKhPhPKlPlN2at6native12_GLOBAL__N_18offset_tEEE10hipError_tPvRmT1_PNSt15iterator_traitsISK_E10value_typeET2_T3_PNSL_ISQ_E10value_typeET4_jRbjT5_SW_jjP12ihipStream_tbEUlT_E1_NS1_11comp_targetILNS1_3genE4ELNS1_11target_archE910ELNS1_3gpuE8ELNS1_3repE0EEENS1_59segmented_radix_sort_warp_sort_small_config_static_selectorELNS0_4arch9wavefront6targetE1EEEvSK_
    .private_segment_fixed_size: 0
    .sgpr_count:     4
    .sgpr_spill_count: 0
    .symbol:         _ZN7rocprim17ROCPRIM_400000_NS6detail17trampoline_kernelINS0_14default_configENS1_36segmented_radix_sort_config_selectorIhlEEZNS1_25segmented_radix_sort_implIS3_Lb1EPKhPhPKlPlN2at6native12_GLOBAL__N_18offset_tEEE10hipError_tPvRmT1_PNSt15iterator_traitsISK_E10value_typeET2_T3_PNSL_ISQ_E10value_typeET4_jRbjT5_SW_jjP12ihipStream_tbEUlT_E1_NS1_11comp_targetILNS1_3genE4ELNS1_11target_archE910ELNS1_3gpuE8ELNS1_3repE0EEENS1_59segmented_radix_sort_warp_sort_small_config_static_selectorELNS0_4arch9wavefront6targetE1EEEvSK_.kd
    .uniform_work_group_size: 1
    .uses_dynamic_stack: false
    .vgpr_count:     0
    .vgpr_spill_count: 0
    .wavefront_size: 64
  - .args:
      - .offset:         0
        .size:           88
        .value_kind:     by_value
    .group_segment_fixed_size: 0
    .kernarg_segment_align: 8
    .kernarg_segment_size: 88
    .language:       OpenCL C
    .language_version:
      - 2
      - 0
    .max_flat_workgroup_size: 256
    .name:           _ZN7rocprim17ROCPRIM_400000_NS6detail17trampoline_kernelINS0_14default_configENS1_36segmented_radix_sort_config_selectorIhlEEZNS1_25segmented_radix_sort_implIS3_Lb1EPKhPhPKlPlN2at6native12_GLOBAL__N_18offset_tEEE10hipError_tPvRmT1_PNSt15iterator_traitsISK_E10value_typeET2_T3_PNSL_ISQ_E10value_typeET4_jRbjT5_SW_jjP12ihipStream_tbEUlT_E1_NS1_11comp_targetILNS1_3genE3ELNS1_11target_archE908ELNS1_3gpuE7ELNS1_3repE0EEENS1_59segmented_radix_sort_warp_sort_small_config_static_selectorELNS0_4arch9wavefront6targetE1EEEvSK_
    .private_segment_fixed_size: 0
    .sgpr_count:     4
    .sgpr_spill_count: 0
    .symbol:         _ZN7rocprim17ROCPRIM_400000_NS6detail17trampoline_kernelINS0_14default_configENS1_36segmented_radix_sort_config_selectorIhlEEZNS1_25segmented_radix_sort_implIS3_Lb1EPKhPhPKlPlN2at6native12_GLOBAL__N_18offset_tEEE10hipError_tPvRmT1_PNSt15iterator_traitsISK_E10value_typeET2_T3_PNSL_ISQ_E10value_typeET4_jRbjT5_SW_jjP12ihipStream_tbEUlT_E1_NS1_11comp_targetILNS1_3genE3ELNS1_11target_archE908ELNS1_3gpuE7ELNS1_3repE0EEENS1_59segmented_radix_sort_warp_sort_small_config_static_selectorELNS0_4arch9wavefront6targetE1EEEvSK_.kd
    .uniform_work_group_size: 1
    .uses_dynamic_stack: false
    .vgpr_count:     0
    .vgpr_spill_count: 0
    .wavefront_size: 64
  - .args:
      - .offset:         0
        .size:           88
        .value_kind:     by_value
      - .offset:         88
        .size:           4
        .value_kind:     hidden_block_count_x
      - .offset:         92
        .size:           4
        .value_kind:     hidden_block_count_y
      - .offset:         96
        .size:           4
        .value_kind:     hidden_block_count_z
      - .offset:         100
        .size:           2
        .value_kind:     hidden_group_size_x
      - .offset:         102
        .size:           2
        .value_kind:     hidden_group_size_y
      - .offset:         104
        .size:           2
        .value_kind:     hidden_group_size_z
      - .offset:         106
        .size:           2
        .value_kind:     hidden_remainder_x
      - .offset:         108
        .size:           2
        .value_kind:     hidden_remainder_y
      - .offset:         110
        .size:           2
        .value_kind:     hidden_remainder_z
      - .offset:         128
        .size:           8
        .value_kind:     hidden_global_offset_x
      - .offset:         136
        .size:           8
        .value_kind:     hidden_global_offset_y
      - .offset:         144
        .size:           8
        .value_kind:     hidden_global_offset_z
      - .offset:         152
        .size:           2
        .value_kind:     hidden_grid_dims
    .group_segment_fixed_size: 9216
    .kernarg_segment_align: 8
    .kernarg_segment_size: 344
    .language:       OpenCL C
    .language_version:
      - 2
      - 0
    .max_flat_workgroup_size: 256
    .name:           _ZN7rocprim17ROCPRIM_400000_NS6detail17trampoline_kernelINS0_14default_configENS1_36segmented_radix_sort_config_selectorIhlEEZNS1_25segmented_radix_sort_implIS3_Lb1EPKhPhPKlPlN2at6native12_GLOBAL__N_18offset_tEEE10hipError_tPvRmT1_PNSt15iterator_traitsISK_E10value_typeET2_T3_PNSL_ISQ_E10value_typeET4_jRbjT5_SW_jjP12ihipStream_tbEUlT_E1_NS1_11comp_targetILNS1_3genE2ELNS1_11target_archE906ELNS1_3gpuE6ELNS1_3repE0EEENS1_59segmented_radix_sort_warp_sort_small_config_static_selectorELNS0_4arch9wavefront6targetE1EEEvSK_
    .private_segment_fixed_size: 0
    .sgpr_count:     52
    .sgpr_spill_count: 0
    .symbol:         _ZN7rocprim17ROCPRIM_400000_NS6detail17trampoline_kernelINS0_14default_configENS1_36segmented_radix_sort_config_selectorIhlEEZNS1_25segmented_radix_sort_implIS3_Lb1EPKhPhPKlPlN2at6native12_GLOBAL__N_18offset_tEEE10hipError_tPvRmT1_PNSt15iterator_traitsISK_E10value_typeET2_T3_PNSL_ISQ_E10value_typeET4_jRbjT5_SW_jjP12ihipStream_tbEUlT_E1_NS1_11comp_targetILNS1_3genE2ELNS1_11target_archE906ELNS1_3gpuE6ELNS1_3repE0EEENS1_59segmented_radix_sort_warp_sort_small_config_static_selectorELNS0_4arch9wavefront6targetE1EEEvSK_.kd
    .uniform_work_group_size: 1
    .uses_dynamic_stack: false
    .vgpr_count:     52
    .vgpr_spill_count: 0
    .wavefront_size: 64
  - .args:
      - .offset:         0
        .size:           88
        .value_kind:     by_value
    .group_segment_fixed_size: 0
    .kernarg_segment_align: 8
    .kernarg_segment_size: 88
    .language:       OpenCL C
    .language_version:
      - 2
      - 0
    .max_flat_workgroup_size: 256
    .name:           _ZN7rocprim17ROCPRIM_400000_NS6detail17trampoline_kernelINS0_14default_configENS1_36segmented_radix_sort_config_selectorIhlEEZNS1_25segmented_radix_sort_implIS3_Lb1EPKhPhPKlPlN2at6native12_GLOBAL__N_18offset_tEEE10hipError_tPvRmT1_PNSt15iterator_traitsISK_E10value_typeET2_T3_PNSL_ISQ_E10value_typeET4_jRbjT5_SW_jjP12ihipStream_tbEUlT_E1_NS1_11comp_targetILNS1_3genE10ELNS1_11target_archE1201ELNS1_3gpuE5ELNS1_3repE0EEENS1_59segmented_radix_sort_warp_sort_small_config_static_selectorELNS0_4arch9wavefront6targetE1EEEvSK_
    .private_segment_fixed_size: 0
    .sgpr_count:     4
    .sgpr_spill_count: 0
    .symbol:         _ZN7rocprim17ROCPRIM_400000_NS6detail17trampoline_kernelINS0_14default_configENS1_36segmented_radix_sort_config_selectorIhlEEZNS1_25segmented_radix_sort_implIS3_Lb1EPKhPhPKlPlN2at6native12_GLOBAL__N_18offset_tEEE10hipError_tPvRmT1_PNSt15iterator_traitsISK_E10value_typeET2_T3_PNSL_ISQ_E10value_typeET4_jRbjT5_SW_jjP12ihipStream_tbEUlT_E1_NS1_11comp_targetILNS1_3genE10ELNS1_11target_archE1201ELNS1_3gpuE5ELNS1_3repE0EEENS1_59segmented_radix_sort_warp_sort_small_config_static_selectorELNS0_4arch9wavefront6targetE1EEEvSK_.kd
    .uniform_work_group_size: 1
    .uses_dynamic_stack: false
    .vgpr_count:     0
    .vgpr_spill_count: 0
    .wavefront_size: 64
  - .args:
      - .offset:         0
        .size:           88
        .value_kind:     by_value
    .group_segment_fixed_size: 0
    .kernarg_segment_align: 8
    .kernarg_segment_size: 88
    .language:       OpenCL C
    .language_version:
      - 2
      - 0
    .max_flat_workgroup_size: 256
    .name:           _ZN7rocprim17ROCPRIM_400000_NS6detail17trampoline_kernelINS0_14default_configENS1_36segmented_radix_sort_config_selectorIhlEEZNS1_25segmented_radix_sort_implIS3_Lb1EPKhPhPKlPlN2at6native12_GLOBAL__N_18offset_tEEE10hipError_tPvRmT1_PNSt15iterator_traitsISK_E10value_typeET2_T3_PNSL_ISQ_E10value_typeET4_jRbjT5_SW_jjP12ihipStream_tbEUlT_E1_NS1_11comp_targetILNS1_3genE10ELNS1_11target_archE1200ELNS1_3gpuE4ELNS1_3repE0EEENS1_59segmented_radix_sort_warp_sort_small_config_static_selectorELNS0_4arch9wavefront6targetE1EEEvSK_
    .private_segment_fixed_size: 0
    .sgpr_count:     4
    .sgpr_spill_count: 0
    .symbol:         _ZN7rocprim17ROCPRIM_400000_NS6detail17trampoline_kernelINS0_14default_configENS1_36segmented_radix_sort_config_selectorIhlEEZNS1_25segmented_radix_sort_implIS3_Lb1EPKhPhPKlPlN2at6native12_GLOBAL__N_18offset_tEEE10hipError_tPvRmT1_PNSt15iterator_traitsISK_E10value_typeET2_T3_PNSL_ISQ_E10value_typeET4_jRbjT5_SW_jjP12ihipStream_tbEUlT_E1_NS1_11comp_targetILNS1_3genE10ELNS1_11target_archE1200ELNS1_3gpuE4ELNS1_3repE0EEENS1_59segmented_radix_sort_warp_sort_small_config_static_selectorELNS0_4arch9wavefront6targetE1EEEvSK_.kd
    .uniform_work_group_size: 1
    .uses_dynamic_stack: false
    .vgpr_count:     0
    .vgpr_spill_count: 0
    .wavefront_size: 64
  - .args:
      - .offset:         0
        .size:           88
        .value_kind:     by_value
    .group_segment_fixed_size: 0
    .kernarg_segment_align: 8
    .kernarg_segment_size: 88
    .language:       OpenCL C
    .language_version:
      - 2
      - 0
    .max_flat_workgroup_size: 256
    .name:           _ZN7rocprim17ROCPRIM_400000_NS6detail17trampoline_kernelINS0_14default_configENS1_36segmented_radix_sort_config_selectorIhlEEZNS1_25segmented_radix_sort_implIS3_Lb1EPKhPhPKlPlN2at6native12_GLOBAL__N_18offset_tEEE10hipError_tPvRmT1_PNSt15iterator_traitsISK_E10value_typeET2_T3_PNSL_ISQ_E10value_typeET4_jRbjT5_SW_jjP12ihipStream_tbEUlT_E1_NS1_11comp_targetILNS1_3genE9ELNS1_11target_archE1100ELNS1_3gpuE3ELNS1_3repE0EEENS1_59segmented_radix_sort_warp_sort_small_config_static_selectorELNS0_4arch9wavefront6targetE1EEEvSK_
    .private_segment_fixed_size: 0
    .sgpr_count:     4
    .sgpr_spill_count: 0
    .symbol:         _ZN7rocprim17ROCPRIM_400000_NS6detail17trampoline_kernelINS0_14default_configENS1_36segmented_radix_sort_config_selectorIhlEEZNS1_25segmented_radix_sort_implIS3_Lb1EPKhPhPKlPlN2at6native12_GLOBAL__N_18offset_tEEE10hipError_tPvRmT1_PNSt15iterator_traitsISK_E10value_typeET2_T3_PNSL_ISQ_E10value_typeET4_jRbjT5_SW_jjP12ihipStream_tbEUlT_E1_NS1_11comp_targetILNS1_3genE9ELNS1_11target_archE1100ELNS1_3gpuE3ELNS1_3repE0EEENS1_59segmented_radix_sort_warp_sort_small_config_static_selectorELNS0_4arch9wavefront6targetE1EEEvSK_.kd
    .uniform_work_group_size: 1
    .uses_dynamic_stack: false
    .vgpr_count:     0
    .vgpr_spill_count: 0
    .wavefront_size: 64
  - .args:
      - .offset:         0
        .size:           88
        .value_kind:     by_value
    .group_segment_fixed_size: 0
    .kernarg_segment_align: 8
    .kernarg_segment_size: 88
    .language:       OpenCL C
    .language_version:
      - 2
      - 0
    .max_flat_workgroup_size: 256
    .name:           _ZN7rocprim17ROCPRIM_400000_NS6detail17trampoline_kernelINS0_14default_configENS1_36segmented_radix_sort_config_selectorIhlEEZNS1_25segmented_radix_sort_implIS3_Lb1EPKhPhPKlPlN2at6native12_GLOBAL__N_18offset_tEEE10hipError_tPvRmT1_PNSt15iterator_traitsISK_E10value_typeET2_T3_PNSL_ISQ_E10value_typeET4_jRbjT5_SW_jjP12ihipStream_tbEUlT_E1_NS1_11comp_targetILNS1_3genE8ELNS1_11target_archE1030ELNS1_3gpuE2ELNS1_3repE0EEENS1_59segmented_radix_sort_warp_sort_small_config_static_selectorELNS0_4arch9wavefront6targetE1EEEvSK_
    .private_segment_fixed_size: 0
    .sgpr_count:     4
    .sgpr_spill_count: 0
    .symbol:         _ZN7rocprim17ROCPRIM_400000_NS6detail17trampoline_kernelINS0_14default_configENS1_36segmented_radix_sort_config_selectorIhlEEZNS1_25segmented_radix_sort_implIS3_Lb1EPKhPhPKlPlN2at6native12_GLOBAL__N_18offset_tEEE10hipError_tPvRmT1_PNSt15iterator_traitsISK_E10value_typeET2_T3_PNSL_ISQ_E10value_typeET4_jRbjT5_SW_jjP12ihipStream_tbEUlT_E1_NS1_11comp_targetILNS1_3genE8ELNS1_11target_archE1030ELNS1_3gpuE2ELNS1_3repE0EEENS1_59segmented_radix_sort_warp_sort_small_config_static_selectorELNS0_4arch9wavefront6targetE1EEEvSK_.kd
    .uniform_work_group_size: 1
    .uses_dynamic_stack: false
    .vgpr_count:     0
    .vgpr_spill_count: 0
    .wavefront_size: 64
  - .args:
      - .offset:         0
        .size:           80
        .value_kind:     by_value
    .group_segment_fixed_size: 0
    .kernarg_segment_align: 8
    .kernarg_segment_size: 80
    .language:       OpenCL C
    .language_version:
      - 2
      - 0
    .max_flat_workgroup_size: 256
    .name:           _ZN7rocprim17ROCPRIM_400000_NS6detail17trampoline_kernelINS0_14default_configENS1_36segmented_radix_sort_config_selectorIhlEEZNS1_25segmented_radix_sort_implIS3_Lb1EPKhPhPKlPlN2at6native12_GLOBAL__N_18offset_tEEE10hipError_tPvRmT1_PNSt15iterator_traitsISK_E10value_typeET2_T3_PNSL_ISQ_E10value_typeET4_jRbjT5_SW_jjP12ihipStream_tbEUlT_E2_NS1_11comp_targetILNS1_3genE0ELNS1_11target_archE4294967295ELNS1_3gpuE0ELNS1_3repE0EEENS1_30default_config_static_selectorELNS0_4arch9wavefront6targetE1EEEvSK_
    .private_segment_fixed_size: 0
    .sgpr_count:     4
    .sgpr_spill_count: 0
    .symbol:         _ZN7rocprim17ROCPRIM_400000_NS6detail17trampoline_kernelINS0_14default_configENS1_36segmented_radix_sort_config_selectorIhlEEZNS1_25segmented_radix_sort_implIS3_Lb1EPKhPhPKlPlN2at6native12_GLOBAL__N_18offset_tEEE10hipError_tPvRmT1_PNSt15iterator_traitsISK_E10value_typeET2_T3_PNSL_ISQ_E10value_typeET4_jRbjT5_SW_jjP12ihipStream_tbEUlT_E2_NS1_11comp_targetILNS1_3genE0ELNS1_11target_archE4294967295ELNS1_3gpuE0ELNS1_3repE0EEENS1_30default_config_static_selectorELNS0_4arch9wavefront6targetE1EEEvSK_.kd
    .uniform_work_group_size: 1
    .uses_dynamic_stack: false
    .vgpr_count:     0
    .vgpr_spill_count: 0
    .wavefront_size: 64
  - .args:
      - .offset:         0
        .size:           80
        .value_kind:     by_value
    .group_segment_fixed_size: 0
    .kernarg_segment_align: 8
    .kernarg_segment_size: 80
    .language:       OpenCL C
    .language_version:
      - 2
      - 0
    .max_flat_workgroup_size: 256
    .name:           _ZN7rocprim17ROCPRIM_400000_NS6detail17trampoline_kernelINS0_14default_configENS1_36segmented_radix_sort_config_selectorIhlEEZNS1_25segmented_radix_sort_implIS3_Lb1EPKhPhPKlPlN2at6native12_GLOBAL__N_18offset_tEEE10hipError_tPvRmT1_PNSt15iterator_traitsISK_E10value_typeET2_T3_PNSL_ISQ_E10value_typeET4_jRbjT5_SW_jjP12ihipStream_tbEUlT_E2_NS1_11comp_targetILNS1_3genE5ELNS1_11target_archE942ELNS1_3gpuE9ELNS1_3repE0EEENS1_30default_config_static_selectorELNS0_4arch9wavefront6targetE1EEEvSK_
    .private_segment_fixed_size: 0
    .sgpr_count:     4
    .sgpr_spill_count: 0
    .symbol:         _ZN7rocprim17ROCPRIM_400000_NS6detail17trampoline_kernelINS0_14default_configENS1_36segmented_radix_sort_config_selectorIhlEEZNS1_25segmented_radix_sort_implIS3_Lb1EPKhPhPKlPlN2at6native12_GLOBAL__N_18offset_tEEE10hipError_tPvRmT1_PNSt15iterator_traitsISK_E10value_typeET2_T3_PNSL_ISQ_E10value_typeET4_jRbjT5_SW_jjP12ihipStream_tbEUlT_E2_NS1_11comp_targetILNS1_3genE5ELNS1_11target_archE942ELNS1_3gpuE9ELNS1_3repE0EEENS1_30default_config_static_selectorELNS0_4arch9wavefront6targetE1EEEvSK_.kd
    .uniform_work_group_size: 1
    .uses_dynamic_stack: false
    .vgpr_count:     0
    .vgpr_spill_count: 0
    .wavefront_size: 64
  - .args:
      - .offset:         0
        .size:           80
        .value_kind:     by_value
    .group_segment_fixed_size: 0
    .kernarg_segment_align: 8
    .kernarg_segment_size: 80
    .language:       OpenCL C
    .language_version:
      - 2
      - 0
    .max_flat_workgroup_size: 256
    .name:           _ZN7rocprim17ROCPRIM_400000_NS6detail17trampoline_kernelINS0_14default_configENS1_36segmented_radix_sort_config_selectorIhlEEZNS1_25segmented_radix_sort_implIS3_Lb1EPKhPhPKlPlN2at6native12_GLOBAL__N_18offset_tEEE10hipError_tPvRmT1_PNSt15iterator_traitsISK_E10value_typeET2_T3_PNSL_ISQ_E10value_typeET4_jRbjT5_SW_jjP12ihipStream_tbEUlT_E2_NS1_11comp_targetILNS1_3genE4ELNS1_11target_archE910ELNS1_3gpuE8ELNS1_3repE0EEENS1_30default_config_static_selectorELNS0_4arch9wavefront6targetE1EEEvSK_
    .private_segment_fixed_size: 0
    .sgpr_count:     4
    .sgpr_spill_count: 0
    .symbol:         _ZN7rocprim17ROCPRIM_400000_NS6detail17trampoline_kernelINS0_14default_configENS1_36segmented_radix_sort_config_selectorIhlEEZNS1_25segmented_radix_sort_implIS3_Lb1EPKhPhPKlPlN2at6native12_GLOBAL__N_18offset_tEEE10hipError_tPvRmT1_PNSt15iterator_traitsISK_E10value_typeET2_T3_PNSL_ISQ_E10value_typeET4_jRbjT5_SW_jjP12ihipStream_tbEUlT_E2_NS1_11comp_targetILNS1_3genE4ELNS1_11target_archE910ELNS1_3gpuE8ELNS1_3repE0EEENS1_30default_config_static_selectorELNS0_4arch9wavefront6targetE1EEEvSK_.kd
    .uniform_work_group_size: 1
    .uses_dynamic_stack: false
    .vgpr_count:     0
    .vgpr_spill_count: 0
    .wavefront_size: 64
  - .args:
      - .offset:         0
        .size:           80
        .value_kind:     by_value
    .group_segment_fixed_size: 0
    .kernarg_segment_align: 8
    .kernarg_segment_size: 80
    .language:       OpenCL C
    .language_version:
      - 2
      - 0
    .max_flat_workgroup_size: 256
    .name:           _ZN7rocprim17ROCPRIM_400000_NS6detail17trampoline_kernelINS0_14default_configENS1_36segmented_radix_sort_config_selectorIhlEEZNS1_25segmented_radix_sort_implIS3_Lb1EPKhPhPKlPlN2at6native12_GLOBAL__N_18offset_tEEE10hipError_tPvRmT1_PNSt15iterator_traitsISK_E10value_typeET2_T3_PNSL_ISQ_E10value_typeET4_jRbjT5_SW_jjP12ihipStream_tbEUlT_E2_NS1_11comp_targetILNS1_3genE3ELNS1_11target_archE908ELNS1_3gpuE7ELNS1_3repE0EEENS1_30default_config_static_selectorELNS0_4arch9wavefront6targetE1EEEvSK_
    .private_segment_fixed_size: 0
    .sgpr_count:     4
    .sgpr_spill_count: 0
    .symbol:         _ZN7rocprim17ROCPRIM_400000_NS6detail17trampoline_kernelINS0_14default_configENS1_36segmented_radix_sort_config_selectorIhlEEZNS1_25segmented_radix_sort_implIS3_Lb1EPKhPhPKlPlN2at6native12_GLOBAL__N_18offset_tEEE10hipError_tPvRmT1_PNSt15iterator_traitsISK_E10value_typeET2_T3_PNSL_ISQ_E10value_typeET4_jRbjT5_SW_jjP12ihipStream_tbEUlT_E2_NS1_11comp_targetILNS1_3genE3ELNS1_11target_archE908ELNS1_3gpuE7ELNS1_3repE0EEENS1_30default_config_static_selectorELNS0_4arch9wavefront6targetE1EEEvSK_.kd
    .uniform_work_group_size: 1
    .uses_dynamic_stack: false
    .vgpr_count:     0
    .vgpr_spill_count: 0
    .wavefront_size: 64
  - .args:
      - .offset:         0
        .size:           80
        .value_kind:     by_value
      - .offset:         80
        .size:           4
        .value_kind:     hidden_block_count_x
      - .offset:         84
        .size:           4
        .value_kind:     hidden_block_count_y
      - .offset:         88
        .size:           4
        .value_kind:     hidden_block_count_z
      - .offset:         92
        .size:           2
        .value_kind:     hidden_group_size_x
      - .offset:         94
        .size:           2
        .value_kind:     hidden_group_size_y
      - .offset:         96
        .size:           2
        .value_kind:     hidden_group_size_z
      - .offset:         98
        .size:           2
        .value_kind:     hidden_remainder_x
      - .offset:         100
        .size:           2
        .value_kind:     hidden_remainder_y
      - .offset:         102
        .size:           2
        .value_kind:     hidden_remainder_z
      - .offset:         120
        .size:           8
        .value_kind:     hidden_global_offset_x
      - .offset:         128
        .size:           8
        .value_kind:     hidden_global_offset_y
      - .offset:         136
        .size:           8
        .value_kind:     hidden_global_offset_z
      - .offset:         144
        .size:           2
        .value_kind:     hidden_grid_dims
    .group_segment_fixed_size: 9232
    .kernarg_segment_align: 8
    .kernarg_segment_size: 336
    .language:       OpenCL C
    .language_version:
      - 2
      - 0
    .max_flat_workgroup_size: 256
    .name:           _ZN7rocprim17ROCPRIM_400000_NS6detail17trampoline_kernelINS0_14default_configENS1_36segmented_radix_sort_config_selectorIhlEEZNS1_25segmented_radix_sort_implIS3_Lb1EPKhPhPKlPlN2at6native12_GLOBAL__N_18offset_tEEE10hipError_tPvRmT1_PNSt15iterator_traitsISK_E10value_typeET2_T3_PNSL_ISQ_E10value_typeET4_jRbjT5_SW_jjP12ihipStream_tbEUlT_E2_NS1_11comp_targetILNS1_3genE2ELNS1_11target_archE906ELNS1_3gpuE6ELNS1_3repE0EEENS1_30default_config_static_selectorELNS0_4arch9wavefront6targetE1EEEvSK_
    .private_segment_fixed_size: 0
    .sgpr_count:     81
    .sgpr_spill_count: 0
    .symbol:         _ZN7rocprim17ROCPRIM_400000_NS6detail17trampoline_kernelINS0_14default_configENS1_36segmented_radix_sort_config_selectorIhlEEZNS1_25segmented_radix_sort_implIS3_Lb1EPKhPhPKlPlN2at6native12_GLOBAL__N_18offset_tEEE10hipError_tPvRmT1_PNSt15iterator_traitsISK_E10value_typeET2_T3_PNSL_ISQ_E10value_typeET4_jRbjT5_SW_jjP12ihipStream_tbEUlT_E2_NS1_11comp_targetILNS1_3genE2ELNS1_11target_archE906ELNS1_3gpuE6ELNS1_3repE0EEENS1_30default_config_static_selectorELNS0_4arch9wavefront6targetE1EEEvSK_.kd
    .uniform_work_group_size: 1
    .uses_dynamic_stack: false
    .vgpr_count:     97
    .vgpr_spill_count: 0
    .wavefront_size: 64
  - .args:
      - .offset:         0
        .size:           80
        .value_kind:     by_value
    .group_segment_fixed_size: 0
    .kernarg_segment_align: 8
    .kernarg_segment_size: 80
    .language:       OpenCL C
    .language_version:
      - 2
      - 0
    .max_flat_workgroup_size: 256
    .name:           _ZN7rocprim17ROCPRIM_400000_NS6detail17trampoline_kernelINS0_14default_configENS1_36segmented_radix_sort_config_selectorIhlEEZNS1_25segmented_radix_sort_implIS3_Lb1EPKhPhPKlPlN2at6native12_GLOBAL__N_18offset_tEEE10hipError_tPvRmT1_PNSt15iterator_traitsISK_E10value_typeET2_T3_PNSL_ISQ_E10value_typeET4_jRbjT5_SW_jjP12ihipStream_tbEUlT_E2_NS1_11comp_targetILNS1_3genE10ELNS1_11target_archE1201ELNS1_3gpuE5ELNS1_3repE0EEENS1_30default_config_static_selectorELNS0_4arch9wavefront6targetE1EEEvSK_
    .private_segment_fixed_size: 0
    .sgpr_count:     4
    .sgpr_spill_count: 0
    .symbol:         _ZN7rocprim17ROCPRIM_400000_NS6detail17trampoline_kernelINS0_14default_configENS1_36segmented_radix_sort_config_selectorIhlEEZNS1_25segmented_radix_sort_implIS3_Lb1EPKhPhPKlPlN2at6native12_GLOBAL__N_18offset_tEEE10hipError_tPvRmT1_PNSt15iterator_traitsISK_E10value_typeET2_T3_PNSL_ISQ_E10value_typeET4_jRbjT5_SW_jjP12ihipStream_tbEUlT_E2_NS1_11comp_targetILNS1_3genE10ELNS1_11target_archE1201ELNS1_3gpuE5ELNS1_3repE0EEENS1_30default_config_static_selectorELNS0_4arch9wavefront6targetE1EEEvSK_.kd
    .uniform_work_group_size: 1
    .uses_dynamic_stack: false
    .vgpr_count:     0
    .vgpr_spill_count: 0
    .wavefront_size: 64
  - .args:
      - .offset:         0
        .size:           80
        .value_kind:     by_value
    .group_segment_fixed_size: 0
    .kernarg_segment_align: 8
    .kernarg_segment_size: 80
    .language:       OpenCL C
    .language_version:
      - 2
      - 0
    .max_flat_workgroup_size: 128
    .name:           _ZN7rocprim17ROCPRIM_400000_NS6detail17trampoline_kernelINS0_14default_configENS1_36segmented_radix_sort_config_selectorIhlEEZNS1_25segmented_radix_sort_implIS3_Lb1EPKhPhPKlPlN2at6native12_GLOBAL__N_18offset_tEEE10hipError_tPvRmT1_PNSt15iterator_traitsISK_E10value_typeET2_T3_PNSL_ISQ_E10value_typeET4_jRbjT5_SW_jjP12ihipStream_tbEUlT_E2_NS1_11comp_targetILNS1_3genE10ELNS1_11target_archE1200ELNS1_3gpuE4ELNS1_3repE0EEENS1_30default_config_static_selectorELNS0_4arch9wavefront6targetE1EEEvSK_
    .private_segment_fixed_size: 0
    .sgpr_count:     4
    .sgpr_spill_count: 0
    .symbol:         _ZN7rocprim17ROCPRIM_400000_NS6detail17trampoline_kernelINS0_14default_configENS1_36segmented_radix_sort_config_selectorIhlEEZNS1_25segmented_radix_sort_implIS3_Lb1EPKhPhPKlPlN2at6native12_GLOBAL__N_18offset_tEEE10hipError_tPvRmT1_PNSt15iterator_traitsISK_E10value_typeET2_T3_PNSL_ISQ_E10value_typeET4_jRbjT5_SW_jjP12ihipStream_tbEUlT_E2_NS1_11comp_targetILNS1_3genE10ELNS1_11target_archE1200ELNS1_3gpuE4ELNS1_3repE0EEENS1_30default_config_static_selectorELNS0_4arch9wavefront6targetE1EEEvSK_.kd
    .uniform_work_group_size: 1
    .uses_dynamic_stack: false
    .vgpr_count:     0
    .vgpr_spill_count: 0
    .wavefront_size: 64
  - .args:
      - .offset:         0
        .size:           80
        .value_kind:     by_value
    .group_segment_fixed_size: 0
    .kernarg_segment_align: 8
    .kernarg_segment_size: 80
    .language:       OpenCL C
    .language_version:
      - 2
      - 0
    .max_flat_workgroup_size: 256
    .name:           _ZN7rocprim17ROCPRIM_400000_NS6detail17trampoline_kernelINS0_14default_configENS1_36segmented_radix_sort_config_selectorIhlEEZNS1_25segmented_radix_sort_implIS3_Lb1EPKhPhPKlPlN2at6native12_GLOBAL__N_18offset_tEEE10hipError_tPvRmT1_PNSt15iterator_traitsISK_E10value_typeET2_T3_PNSL_ISQ_E10value_typeET4_jRbjT5_SW_jjP12ihipStream_tbEUlT_E2_NS1_11comp_targetILNS1_3genE9ELNS1_11target_archE1100ELNS1_3gpuE3ELNS1_3repE0EEENS1_30default_config_static_selectorELNS0_4arch9wavefront6targetE1EEEvSK_
    .private_segment_fixed_size: 0
    .sgpr_count:     4
    .sgpr_spill_count: 0
    .symbol:         _ZN7rocprim17ROCPRIM_400000_NS6detail17trampoline_kernelINS0_14default_configENS1_36segmented_radix_sort_config_selectorIhlEEZNS1_25segmented_radix_sort_implIS3_Lb1EPKhPhPKlPlN2at6native12_GLOBAL__N_18offset_tEEE10hipError_tPvRmT1_PNSt15iterator_traitsISK_E10value_typeET2_T3_PNSL_ISQ_E10value_typeET4_jRbjT5_SW_jjP12ihipStream_tbEUlT_E2_NS1_11comp_targetILNS1_3genE9ELNS1_11target_archE1100ELNS1_3gpuE3ELNS1_3repE0EEENS1_30default_config_static_selectorELNS0_4arch9wavefront6targetE1EEEvSK_.kd
    .uniform_work_group_size: 1
    .uses_dynamic_stack: false
    .vgpr_count:     0
    .vgpr_spill_count: 0
    .wavefront_size: 64
  - .args:
      - .offset:         0
        .size:           80
        .value_kind:     by_value
    .group_segment_fixed_size: 0
    .kernarg_segment_align: 8
    .kernarg_segment_size: 80
    .language:       OpenCL C
    .language_version:
      - 2
      - 0
    .max_flat_workgroup_size: 256
    .name:           _ZN7rocprim17ROCPRIM_400000_NS6detail17trampoline_kernelINS0_14default_configENS1_36segmented_radix_sort_config_selectorIhlEEZNS1_25segmented_radix_sort_implIS3_Lb1EPKhPhPKlPlN2at6native12_GLOBAL__N_18offset_tEEE10hipError_tPvRmT1_PNSt15iterator_traitsISK_E10value_typeET2_T3_PNSL_ISQ_E10value_typeET4_jRbjT5_SW_jjP12ihipStream_tbEUlT_E2_NS1_11comp_targetILNS1_3genE8ELNS1_11target_archE1030ELNS1_3gpuE2ELNS1_3repE0EEENS1_30default_config_static_selectorELNS0_4arch9wavefront6targetE1EEEvSK_
    .private_segment_fixed_size: 0
    .sgpr_count:     4
    .sgpr_spill_count: 0
    .symbol:         _ZN7rocprim17ROCPRIM_400000_NS6detail17trampoline_kernelINS0_14default_configENS1_36segmented_radix_sort_config_selectorIhlEEZNS1_25segmented_radix_sort_implIS3_Lb1EPKhPhPKlPlN2at6native12_GLOBAL__N_18offset_tEEE10hipError_tPvRmT1_PNSt15iterator_traitsISK_E10value_typeET2_T3_PNSL_ISQ_E10value_typeET4_jRbjT5_SW_jjP12ihipStream_tbEUlT_E2_NS1_11comp_targetILNS1_3genE8ELNS1_11target_archE1030ELNS1_3gpuE2ELNS1_3repE0EEENS1_30default_config_static_selectorELNS0_4arch9wavefront6targetE1EEEvSK_.kd
    .uniform_work_group_size: 1
    .uses_dynamic_stack: false
    .vgpr_count:     0
    .vgpr_spill_count: 0
    .wavefront_size: 64
  - .args:
      - .offset:         0
        .size:           176
        .value_kind:     by_value
    .group_segment_fixed_size: 0
    .kernarg_segment_align: 8
    .kernarg_segment_size: 176
    .language:       OpenCL C
    .language_version:
      - 2
      - 0
    .max_flat_workgroup_size: 256
    .name:           _ZN7rocprim17ROCPRIM_400000_NS6detail17trampoline_kernelINS0_13select_configILj256ELj13ELNS0_17block_load_methodE3ELS4_3ELS4_3ELNS0_20block_scan_algorithmE0ELj4294967295EEENS1_25partition_config_selectorILNS1_17partition_subalgoE4EjNS0_10empty_typeEbEEZZNS1_14partition_implILS8_4ELb0ES6_15HIP_vector_typeIjLj2EENS0_17counting_iteratorIjlEEPS9_SG_NS0_5tupleIJPjSI_NS0_16reverse_iteratorISI_EEEEENSH_IJSG_SG_SG_EEES9_SI_JZNS1_25segmented_radix_sort_implINS0_14default_configELb0EPKhPhPKlPlN2at6native12_GLOBAL__N_18offset_tEEE10hipError_tPvRmT1_PNSt15iterator_traitsIS12_E10value_typeET2_T3_PNS13_IS18_E10value_typeET4_jRbjT5_S1E_jjP12ihipStream_tbEUljE_ZNSN_ISO_Lb0ESQ_SR_ST_SU_SY_EESZ_S10_S11_S12_S16_S17_S18_S1B_S1C_jS1D_jS1E_S1E_jjS1G_bEUljE0_EEESZ_S10_S11_S18_S1C_S1E_T6_T7_T9_mT8_S1G_bDpT10_ENKUlT_T0_E_clISt17integral_constantIbLb0EES1U_EEDaS1P_S1Q_EUlS1P_E_NS1_11comp_targetILNS1_3genE0ELNS1_11target_archE4294967295ELNS1_3gpuE0ELNS1_3repE0EEENS1_30default_config_static_selectorELNS0_4arch9wavefront6targetE1EEEvS12_
    .private_segment_fixed_size: 0
    .sgpr_count:     4
    .sgpr_spill_count: 0
    .symbol:         _ZN7rocprim17ROCPRIM_400000_NS6detail17trampoline_kernelINS0_13select_configILj256ELj13ELNS0_17block_load_methodE3ELS4_3ELS4_3ELNS0_20block_scan_algorithmE0ELj4294967295EEENS1_25partition_config_selectorILNS1_17partition_subalgoE4EjNS0_10empty_typeEbEEZZNS1_14partition_implILS8_4ELb0ES6_15HIP_vector_typeIjLj2EENS0_17counting_iteratorIjlEEPS9_SG_NS0_5tupleIJPjSI_NS0_16reverse_iteratorISI_EEEEENSH_IJSG_SG_SG_EEES9_SI_JZNS1_25segmented_radix_sort_implINS0_14default_configELb0EPKhPhPKlPlN2at6native12_GLOBAL__N_18offset_tEEE10hipError_tPvRmT1_PNSt15iterator_traitsIS12_E10value_typeET2_T3_PNS13_IS18_E10value_typeET4_jRbjT5_S1E_jjP12ihipStream_tbEUljE_ZNSN_ISO_Lb0ESQ_SR_ST_SU_SY_EESZ_S10_S11_S12_S16_S17_S18_S1B_S1C_jS1D_jS1E_S1E_jjS1G_bEUljE0_EEESZ_S10_S11_S18_S1C_S1E_T6_T7_T9_mT8_S1G_bDpT10_ENKUlT_T0_E_clISt17integral_constantIbLb0EES1U_EEDaS1P_S1Q_EUlS1P_E_NS1_11comp_targetILNS1_3genE0ELNS1_11target_archE4294967295ELNS1_3gpuE0ELNS1_3repE0EEENS1_30default_config_static_selectorELNS0_4arch9wavefront6targetE1EEEvS12_.kd
    .uniform_work_group_size: 1
    .uses_dynamic_stack: false
    .vgpr_count:     0
    .vgpr_spill_count: 0
    .wavefront_size: 64
  - .args:
      - .offset:         0
        .size:           176
        .value_kind:     by_value
    .group_segment_fixed_size: 0
    .kernarg_segment_align: 8
    .kernarg_segment_size: 176
    .language:       OpenCL C
    .language_version:
      - 2
      - 0
    .max_flat_workgroup_size: 256
    .name:           _ZN7rocprim17ROCPRIM_400000_NS6detail17trampoline_kernelINS0_13select_configILj256ELj13ELNS0_17block_load_methodE3ELS4_3ELS4_3ELNS0_20block_scan_algorithmE0ELj4294967295EEENS1_25partition_config_selectorILNS1_17partition_subalgoE4EjNS0_10empty_typeEbEEZZNS1_14partition_implILS8_4ELb0ES6_15HIP_vector_typeIjLj2EENS0_17counting_iteratorIjlEEPS9_SG_NS0_5tupleIJPjSI_NS0_16reverse_iteratorISI_EEEEENSH_IJSG_SG_SG_EEES9_SI_JZNS1_25segmented_radix_sort_implINS0_14default_configELb0EPKhPhPKlPlN2at6native12_GLOBAL__N_18offset_tEEE10hipError_tPvRmT1_PNSt15iterator_traitsIS12_E10value_typeET2_T3_PNS13_IS18_E10value_typeET4_jRbjT5_S1E_jjP12ihipStream_tbEUljE_ZNSN_ISO_Lb0ESQ_SR_ST_SU_SY_EESZ_S10_S11_S12_S16_S17_S18_S1B_S1C_jS1D_jS1E_S1E_jjS1G_bEUljE0_EEESZ_S10_S11_S18_S1C_S1E_T6_T7_T9_mT8_S1G_bDpT10_ENKUlT_T0_E_clISt17integral_constantIbLb0EES1U_EEDaS1P_S1Q_EUlS1P_E_NS1_11comp_targetILNS1_3genE5ELNS1_11target_archE942ELNS1_3gpuE9ELNS1_3repE0EEENS1_30default_config_static_selectorELNS0_4arch9wavefront6targetE1EEEvS12_
    .private_segment_fixed_size: 0
    .sgpr_count:     4
    .sgpr_spill_count: 0
    .symbol:         _ZN7rocprim17ROCPRIM_400000_NS6detail17trampoline_kernelINS0_13select_configILj256ELj13ELNS0_17block_load_methodE3ELS4_3ELS4_3ELNS0_20block_scan_algorithmE0ELj4294967295EEENS1_25partition_config_selectorILNS1_17partition_subalgoE4EjNS0_10empty_typeEbEEZZNS1_14partition_implILS8_4ELb0ES6_15HIP_vector_typeIjLj2EENS0_17counting_iteratorIjlEEPS9_SG_NS0_5tupleIJPjSI_NS0_16reverse_iteratorISI_EEEEENSH_IJSG_SG_SG_EEES9_SI_JZNS1_25segmented_radix_sort_implINS0_14default_configELb0EPKhPhPKlPlN2at6native12_GLOBAL__N_18offset_tEEE10hipError_tPvRmT1_PNSt15iterator_traitsIS12_E10value_typeET2_T3_PNS13_IS18_E10value_typeET4_jRbjT5_S1E_jjP12ihipStream_tbEUljE_ZNSN_ISO_Lb0ESQ_SR_ST_SU_SY_EESZ_S10_S11_S12_S16_S17_S18_S1B_S1C_jS1D_jS1E_S1E_jjS1G_bEUljE0_EEESZ_S10_S11_S18_S1C_S1E_T6_T7_T9_mT8_S1G_bDpT10_ENKUlT_T0_E_clISt17integral_constantIbLb0EES1U_EEDaS1P_S1Q_EUlS1P_E_NS1_11comp_targetILNS1_3genE5ELNS1_11target_archE942ELNS1_3gpuE9ELNS1_3repE0EEENS1_30default_config_static_selectorELNS0_4arch9wavefront6targetE1EEEvS12_.kd
    .uniform_work_group_size: 1
    .uses_dynamic_stack: false
    .vgpr_count:     0
    .vgpr_spill_count: 0
    .wavefront_size: 64
  - .args:
      - .offset:         0
        .size:           176
        .value_kind:     by_value
    .group_segment_fixed_size: 0
    .kernarg_segment_align: 8
    .kernarg_segment_size: 176
    .language:       OpenCL C
    .language_version:
      - 2
      - 0
    .max_flat_workgroup_size: 256
    .name:           _ZN7rocprim17ROCPRIM_400000_NS6detail17trampoline_kernelINS0_13select_configILj256ELj13ELNS0_17block_load_methodE3ELS4_3ELS4_3ELNS0_20block_scan_algorithmE0ELj4294967295EEENS1_25partition_config_selectorILNS1_17partition_subalgoE4EjNS0_10empty_typeEbEEZZNS1_14partition_implILS8_4ELb0ES6_15HIP_vector_typeIjLj2EENS0_17counting_iteratorIjlEEPS9_SG_NS0_5tupleIJPjSI_NS0_16reverse_iteratorISI_EEEEENSH_IJSG_SG_SG_EEES9_SI_JZNS1_25segmented_radix_sort_implINS0_14default_configELb0EPKhPhPKlPlN2at6native12_GLOBAL__N_18offset_tEEE10hipError_tPvRmT1_PNSt15iterator_traitsIS12_E10value_typeET2_T3_PNS13_IS18_E10value_typeET4_jRbjT5_S1E_jjP12ihipStream_tbEUljE_ZNSN_ISO_Lb0ESQ_SR_ST_SU_SY_EESZ_S10_S11_S12_S16_S17_S18_S1B_S1C_jS1D_jS1E_S1E_jjS1G_bEUljE0_EEESZ_S10_S11_S18_S1C_S1E_T6_T7_T9_mT8_S1G_bDpT10_ENKUlT_T0_E_clISt17integral_constantIbLb0EES1U_EEDaS1P_S1Q_EUlS1P_E_NS1_11comp_targetILNS1_3genE4ELNS1_11target_archE910ELNS1_3gpuE8ELNS1_3repE0EEENS1_30default_config_static_selectorELNS0_4arch9wavefront6targetE1EEEvS12_
    .private_segment_fixed_size: 0
    .sgpr_count:     4
    .sgpr_spill_count: 0
    .symbol:         _ZN7rocprim17ROCPRIM_400000_NS6detail17trampoline_kernelINS0_13select_configILj256ELj13ELNS0_17block_load_methodE3ELS4_3ELS4_3ELNS0_20block_scan_algorithmE0ELj4294967295EEENS1_25partition_config_selectorILNS1_17partition_subalgoE4EjNS0_10empty_typeEbEEZZNS1_14partition_implILS8_4ELb0ES6_15HIP_vector_typeIjLj2EENS0_17counting_iteratorIjlEEPS9_SG_NS0_5tupleIJPjSI_NS0_16reverse_iteratorISI_EEEEENSH_IJSG_SG_SG_EEES9_SI_JZNS1_25segmented_radix_sort_implINS0_14default_configELb0EPKhPhPKlPlN2at6native12_GLOBAL__N_18offset_tEEE10hipError_tPvRmT1_PNSt15iterator_traitsIS12_E10value_typeET2_T3_PNS13_IS18_E10value_typeET4_jRbjT5_S1E_jjP12ihipStream_tbEUljE_ZNSN_ISO_Lb0ESQ_SR_ST_SU_SY_EESZ_S10_S11_S12_S16_S17_S18_S1B_S1C_jS1D_jS1E_S1E_jjS1G_bEUljE0_EEESZ_S10_S11_S18_S1C_S1E_T6_T7_T9_mT8_S1G_bDpT10_ENKUlT_T0_E_clISt17integral_constantIbLb0EES1U_EEDaS1P_S1Q_EUlS1P_E_NS1_11comp_targetILNS1_3genE4ELNS1_11target_archE910ELNS1_3gpuE8ELNS1_3repE0EEENS1_30default_config_static_selectorELNS0_4arch9wavefront6targetE1EEEvS12_.kd
    .uniform_work_group_size: 1
    .uses_dynamic_stack: false
    .vgpr_count:     0
    .vgpr_spill_count: 0
    .wavefront_size: 64
  - .args:
      - .offset:         0
        .size:           176
        .value_kind:     by_value
    .group_segment_fixed_size: 0
    .kernarg_segment_align: 8
    .kernarg_segment_size: 176
    .language:       OpenCL C
    .language_version:
      - 2
      - 0
    .max_flat_workgroup_size: 256
    .name:           _ZN7rocprim17ROCPRIM_400000_NS6detail17trampoline_kernelINS0_13select_configILj256ELj13ELNS0_17block_load_methodE3ELS4_3ELS4_3ELNS0_20block_scan_algorithmE0ELj4294967295EEENS1_25partition_config_selectorILNS1_17partition_subalgoE4EjNS0_10empty_typeEbEEZZNS1_14partition_implILS8_4ELb0ES6_15HIP_vector_typeIjLj2EENS0_17counting_iteratorIjlEEPS9_SG_NS0_5tupleIJPjSI_NS0_16reverse_iteratorISI_EEEEENSH_IJSG_SG_SG_EEES9_SI_JZNS1_25segmented_radix_sort_implINS0_14default_configELb0EPKhPhPKlPlN2at6native12_GLOBAL__N_18offset_tEEE10hipError_tPvRmT1_PNSt15iterator_traitsIS12_E10value_typeET2_T3_PNS13_IS18_E10value_typeET4_jRbjT5_S1E_jjP12ihipStream_tbEUljE_ZNSN_ISO_Lb0ESQ_SR_ST_SU_SY_EESZ_S10_S11_S12_S16_S17_S18_S1B_S1C_jS1D_jS1E_S1E_jjS1G_bEUljE0_EEESZ_S10_S11_S18_S1C_S1E_T6_T7_T9_mT8_S1G_bDpT10_ENKUlT_T0_E_clISt17integral_constantIbLb0EES1U_EEDaS1P_S1Q_EUlS1P_E_NS1_11comp_targetILNS1_3genE3ELNS1_11target_archE908ELNS1_3gpuE7ELNS1_3repE0EEENS1_30default_config_static_selectorELNS0_4arch9wavefront6targetE1EEEvS12_
    .private_segment_fixed_size: 0
    .sgpr_count:     4
    .sgpr_spill_count: 0
    .symbol:         _ZN7rocprim17ROCPRIM_400000_NS6detail17trampoline_kernelINS0_13select_configILj256ELj13ELNS0_17block_load_methodE3ELS4_3ELS4_3ELNS0_20block_scan_algorithmE0ELj4294967295EEENS1_25partition_config_selectorILNS1_17partition_subalgoE4EjNS0_10empty_typeEbEEZZNS1_14partition_implILS8_4ELb0ES6_15HIP_vector_typeIjLj2EENS0_17counting_iteratorIjlEEPS9_SG_NS0_5tupleIJPjSI_NS0_16reverse_iteratorISI_EEEEENSH_IJSG_SG_SG_EEES9_SI_JZNS1_25segmented_radix_sort_implINS0_14default_configELb0EPKhPhPKlPlN2at6native12_GLOBAL__N_18offset_tEEE10hipError_tPvRmT1_PNSt15iterator_traitsIS12_E10value_typeET2_T3_PNS13_IS18_E10value_typeET4_jRbjT5_S1E_jjP12ihipStream_tbEUljE_ZNSN_ISO_Lb0ESQ_SR_ST_SU_SY_EESZ_S10_S11_S12_S16_S17_S18_S1B_S1C_jS1D_jS1E_S1E_jjS1G_bEUljE0_EEESZ_S10_S11_S18_S1C_S1E_T6_T7_T9_mT8_S1G_bDpT10_ENKUlT_T0_E_clISt17integral_constantIbLb0EES1U_EEDaS1P_S1Q_EUlS1P_E_NS1_11comp_targetILNS1_3genE3ELNS1_11target_archE908ELNS1_3gpuE7ELNS1_3repE0EEENS1_30default_config_static_selectorELNS0_4arch9wavefront6targetE1EEEvS12_.kd
    .uniform_work_group_size: 1
    .uses_dynamic_stack: false
    .vgpr_count:     0
    .vgpr_spill_count: 0
    .wavefront_size: 64
  - .args:
      - .offset:         0
        .size:           176
        .value_kind:     by_value
    .group_segment_fixed_size: 13328
    .kernarg_segment_align: 8
    .kernarg_segment_size: 176
    .language:       OpenCL C
    .language_version:
      - 2
      - 0
    .max_flat_workgroup_size: 256
    .name:           _ZN7rocprim17ROCPRIM_400000_NS6detail17trampoline_kernelINS0_13select_configILj256ELj13ELNS0_17block_load_methodE3ELS4_3ELS4_3ELNS0_20block_scan_algorithmE0ELj4294967295EEENS1_25partition_config_selectorILNS1_17partition_subalgoE4EjNS0_10empty_typeEbEEZZNS1_14partition_implILS8_4ELb0ES6_15HIP_vector_typeIjLj2EENS0_17counting_iteratorIjlEEPS9_SG_NS0_5tupleIJPjSI_NS0_16reverse_iteratorISI_EEEEENSH_IJSG_SG_SG_EEES9_SI_JZNS1_25segmented_radix_sort_implINS0_14default_configELb0EPKhPhPKlPlN2at6native12_GLOBAL__N_18offset_tEEE10hipError_tPvRmT1_PNSt15iterator_traitsIS12_E10value_typeET2_T3_PNS13_IS18_E10value_typeET4_jRbjT5_S1E_jjP12ihipStream_tbEUljE_ZNSN_ISO_Lb0ESQ_SR_ST_SU_SY_EESZ_S10_S11_S12_S16_S17_S18_S1B_S1C_jS1D_jS1E_S1E_jjS1G_bEUljE0_EEESZ_S10_S11_S18_S1C_S1E_T6_T7_T9_mT8_S1G_bDpT10_ENKUlT_T0_E_clISt17integral_constantIbLb0EES1U_EEDaS1P_S1Q_EUlS1P_E_NS1_11comp_targetILNS1_3genE2ELNS1_11target_archE906ELNS1_3gpuE6ELNS1_3repE0EEENS1_30default_config_static_selectorELNS0_4arch9wavefront6targetE1EEEvS12_
    .private_segment_fixed_size: 0
    .sgpr_count:     94
    .sgpr_spill_count: 0
    .symbol:         _ZN7rocprim17ROCPRIM_400000_NS6detail17trampoline_kernelINS0_13select_configILj256ELj13ELNS0_17block_load_methodE3ELS4_3ELS4_3ELNS0_20block_scan_algorithmE0ELj4294967295EEENS1_25partition_config_selectorILNS1_17partition_subalgoE4EjNS0_10empty_typeEbEEZZNS1_14partition_implILS8_4ELb0ES6_15HIP_vector_typeIjLj2EENS0_17counting_iteratorIjlEEPS9_SG_NS0_5tupleIJPjSI_NS0_16reverse_iteratorISI_EEEEENSH_IJSG_SG_SG_EEES9_SI_JZNS1_25segmented_radix_sort_implINS0_14default_configELb0EPKhPhPKlPlN2at6native12_GLOBAL__N_18offset_tEEE10hipError_tPvRmT1_PNSt15iterator_traitsIS12_E10value_typeET2_T3_PNS13_IS18_E10value_typeET4_jRbjT5_S1E_jjP12ihipStream_tbEUljE_ZNSN_ISO_Lb0ESQ_SR_ST_SU_SY_EESZ_S10_S11_S12_S16_S17_S18_S1B_S1C_jS1D_jS1E_S1E_jjS1G_bEUljE0_EEESZ_S10_S11_S18_S1C_S1E_T6_T7_T9_mT8_S1G_bDpT10_ENKUlT_T0_E_clISt17integral_constantIbLb0EES1U_EEDaS1P_S1Q_EUlS1P_E_NS1_11comp_targetILNS1_3genE2ELNS1_11target_archE906ELNS1_3gpuE6ELNS1_3repE0EEENS1_30default_config_static_selectorELNS0_4arch9wavefront6targetE1EEEvS12_.kd
    .uniform_work_group_size: 1
    .uses_dynamic_stack: false
    .vgpr_count:     86
    .vgpr_spill_count: 0
    .wavefront_size: 64
  - .args:
      - .offset:         0
        .size:           176
        .value_kind:     by_value
    .group_segment_fixed_size: 0
    .kernarg_segment_align: 8
    .kernarg_segment_size: 176
    .language:       OpenCL C
    .language_version:
      - 2
      - 0
    .max_flat_workgroup_size: 256
    .name:           _ZN7rocprim17ROCPRIM_400000_NS6detail17trampoline_kernelINS0_13select_configILj256ELj13ELNS0_17block_load_methodE3ELS4_3ELS4_3ELNS0_20block_scan_algorithmE0ELj4294967295EEENS1_25partition_config_selectorILNS1_17partition_subalgoE4EjNS0_10empty_typeEbEEZZNS1_14partition_implILS8_4ELb0ES6_15HIP_vector_typeIjLj2EENS0_17counting_iteratorIjlEEPS9_SG_NS0_5tupleIJPjSI_NS0_16reverse_iteratorISI_EEEEENSH_IJSG_SG_SG_EEES9_SI_JZNS1_25segmented_radix_sort_implINS0_14default_configELb0EPKhPhPKlPlN2at6native12_GLOBAL__N_18offset_tEEE10hipError_tPvRmT1_PNSt15iterator_traitsIS12_E10value_typeET2_T3_PNS13_IS18_E10value_typeET4_jRbjT5_S1E_jjP12ihipStream_tbEUljE_ZNSN_ISO_Lb0ESQ_SR_ST_SU_SY_EESZ_S10_S11_S12_S16_S17_S18_S1B_S1C_jS1D_jS1E_S1E_jjS1G_bEUljE0_EEESZ_S10_S11_S18_S1C_S1E_T6_T7_T9_mT8_S1G_bDpT10_ENKUlT_T0_E_clISt17integral_constantIbLb0EES1U_EEDaS1P_S1Q_EUlS1P_E_NS1_11comp_targetILNS1_3genE10ELNS1_11target_archE1200ELNS1_3gpuE4ELNS1_3repE0EEENS1_30default_config_static_selectorELNS0_4arch9wavefront6targetE1EEEvS12_
    .private_segment_fixed_size: 0
    .sgpr_count:     4
    .sgpr_spill_count: 0
    .symbol:         _ZN7rocprim17ROCPRIM_400000_NS6detail17trampoline_kernelINS0_13select_configILj256ELj13ELNS0_17block_load_methodE3ELS4_3ELS4_3ELNS0_20block_scan_algorithmE0ELj4294967295EEENS1_25partition_config_selectorILNS1_17partition_subalgoE4EjNS0_10empty_typeEbEEZZNS1_14partition_implILS8_4ELb0ES6_15HIP_vector_typeIjLj2EENS0_17counting_iteratorIjlEEPS9_SG_NS0_5tupleIJPjSI_NS0_16reverse_iteratorISI_EEEEENSH_IJSG_SG_SG_EEES9_SI_JZNS1_25segmented_radix_sort_implINS0_14default_configELb0EPKhPhPKlPlN2at6native12_GLOBAL__N_18offset_tEEE10hipError_tPvRmT1_PNSt15iterator_traitsIS12_E10value_typeET2_T3_PNS13_IS18_E10value_typeET4_jRbjT5_S1E_jjP12ihipStream_tbEUljE_ZNSN_ISO_Lb0ESQ_SR_ST_SU_SY_EESZ_S10_S11_S12_S16_S17_S18_S1B_S1C_jS1D_jS1E_S1E_jjS1G_bEUljE0_EEESZ_S10_S11_S18_S1C_S1E_T6_T7_T9_mT8_S1G_bDpT10_ENKUlT_T0_E_clISt17integral_constantIbLb0EES1U_EEDaS1P_S1Q_EUlS1P_E_NS1_11comp_targetILNS1_3genE10ELNS1_11target_archE1200ELNS1_3gpuE4ELNS1_3repE0EEENS1_30default_config_static_selectorELNS0_4arch9wavefront6targetE1EEEvS12_.kd
    .uniform_work_group_size: 1
    .uses_dynamic_stack: false
    .vgpr_count:     0
    .vgpr_spill_count: 0
    .wavefront_size: 64
  - .args:
      - .offset:         0
        .size:           176
        .value_kind:     by_value
    .group_segment_fixed_size: 0
    .kernarg_segment_align: 8
    .kernarg_segment_size: 176
    .language:       OpenCL C
    .language_version:
      - 2
      - 0
    .max_flat_workgroup_size: 256
    .name:           _ZN7rocprim17ROCPRIM_400000_NS6detail17trampoline_kernelINS0_13select_configILj256ELj13ELNS0_17block_load_methodE3ELS4_3ELS4_3ELNS0_20block_scan_algorithmE0ELj4294967295EEENS1_25partition_config_selectorILNS1_17partition_subalgoE4EjNS0_10empty_typeEbEEZZNS1_14partition_implILS8_4ELb0ES6_15HIP_vector_typeIjLj2EENS0_17counting_iteratorIjlEEPS9_SG_NS0_5tupleIJPjSI_NS0_16reverse_iteratorISI_EEEEENSH_IJSG_SG_SG_EEES9_SI_JZNS1_25segmented_radix_sort_implINS0_14default_configELb0EPKhPhPKlPlN2at6native12_GLOBAL__N_18offset_tEEE10hipError_tPvRmT1_PNSt15iterator_traitsIS12_E10value_typeET2_T3_PNS13_IS18_E10value_typeET4_jRbjT5_S1E_jjP12ihipStream_tbEUljE_ZNSN_ISO_Lb0ESQ_SR_ST_SU_SY_EESZ_S10_S11_S12_S16_S17_S18_S1B_S1C_jS1D_jS1E_S1E_jjS1G_bEUljE0_EEESZ_S10_S11_S18_S1C_S1E_T6_T7_T9_mT8_S1G_bDpT10_ENKUlT_T0_E_clISt17integral_constantIbLb0EES1U_EEDaS1P_S1Q_EUlS1P_E_NS1_11comp_targetILNS1_3genE9ELNS1_11target_archE1100ELNS1_3gpuE3ELNS1_3repE0EEENS1_30default_config_static_selectorELNS0_4arch9wavefront6targetE1EEEvS12_
    .private_segment_fixed_size: 0
    .sgpr_count:     4
    .sgpr_spill_count: 0
    .symbol:         _ZN7rocprim17ROCPRIM_400000_NS6detail17trampoline_kernelINS0_13select_configILj256ELj13ELNS0_17block_load_methodE3ELS4_3ELS4_3ELNS0_20block_scan_algorithmE0ELj4294967295EEENS1_25partition_config_selectorILNS1_17partition_subalgoE4EjNS0_10empty_typeEbEEZZNS1_14partition_implILS8_4ELb0ES6_15HIP_vector_typeIjLj2EENS0_17counting_iteratorIjlEEPS9_SG_NS0_5tupleIJPjSI_NS0_16reverse_iteratorISI_EEEEENSH_IJSG_SG_SG_EEES9_SI_JZNS1_25segmented_radix_sort_implINS0_14default_configELb0EPKhPhPKlPlN2at6native12_GLOBAL__N_18offset_tEEE10hipError_tPvRmT1_PNSt15iterator_traitsIS12_E10value_typeET2_T3_PNS13_IS18_E10value_typeET4_jRbjT5_S1E_jjP12ihipStream_tbEUljE_ZNSN_ISO_Lb0ESQ_SR_ST_SU_SY_EESZ_S10_S11_S12_S16_S17_S18_S1B_S1C_jS1D_jS1E_S1E_jjS1G_bEUljE0_EEESZ_S10_S11_S18_S1C_S1E_T6_T7_T9_mT8_S1G_bDpT10_ENKUlT_T0_E_clISt17integral_constantIbLb0EES1U_EEDaS1P_S1Q_EUlS1P_E_NS1_11comp_targetILNS1_3genE9ELNS1_11target_archE1100ELNS1_3gpuE3ELNS1_3repE0EEENS1_30default_config_static_selectorELNS0_4arch9wavefront6targetE1EEEvS12_.kd
    .uniform_work_group_size: 1
    .uses_dynamic_stack: false
    .vgpr_count:     0
    .vgpr_spill_count: 0
    .wavefront_size: 64
  - .args:
      - .offset:         0
        .size:           176
        .value_kind:     by_value
    .group_segment_fixed_size: 0
    .kernarg_segment_align: 8
    .kernarg_segment_size: 176
    .language:       OpenCL C
    .language_version:
      - 2
      - 0
    .max_flat_workgroup_size: 256
    .name:           _ZN7rocprim17ROCPRIM_400000_NS6detail17trampoline_kernelINS0_13select_configILj256ELj13ELNS0_17block_load_methodE3ELS4_3ELS4_3ELNS0_20block_scan_algorithmE0ELj4294967295EEENS1_25partition_config_selectorILNS1_17partition_subalgoE4EjNS0_10empty_typeEbEEZZNS1_14partition_implILS8_4ELb0ES6_15HIP_vector_typeIjLj2EENS0_17counting_iteratorIjlEEPS9_SG_NS0_5tupleIJPjSI_NS0_16reverse_iteratorISI_EEEEENSH_IJSG_SG_SG_EEES9_SI_JZNS1_25segmented_radix_sort_implINS0_14default_configELb0EPKhPhPKlPlN2at6native12_GLOBAL__N_18offset_tEEE10hipError_tPvRmT1_PNSt15iterator_traitsIS12_E10value_typeET2_T3_PNS13_IS18_E10value_typeET4_jRbjT5_S1E_jjP12ihipStream_tbEUljE_ZNSN_ISO_Lb0ESQ_SR_ST_SU_SY_EESZ_S10_S11_S12_S16_S17_S18_S1B_S1C_jS1D_jS1E_S1E_jjS1G_bEUljE0_EEESZ_S10_S11_S18_S1C_S1E_T6_T7_T9_mT8_S1G_bDpT10_ENKUlT_T0_E_clISt17integral_constantIbLb0EES1U_EEDaS1P_S1Q_EUlS1P_E_NS1_11comp_targetILNS1_3genE8ELNS1_11target_archE1030ELNS1_3gpuE2ELNS1_3repE0EEENS1_30default_config_static_selectorELNS0_4arch9wavefront6targetE1EEEvS12_
    .private_segment_fixed_size: 0
    .sgpr_count:     4
    .sgpr_spill_count: 0
    .symbol:         _ZN7rocprim17ROCPRIM_400000_NS6detail17trampoline_kernelINS0_13select_configILj256ELj13ELNS0_17block_load_methodE3ELS4_3ELS4_3ELNS0_20block_scan_algorithmE0ELj4294967295EEENS1_25partition_config_selectorILNS1_17partition_subalgoE4EjNS0_10empty_typeEbEEZZNS1_14partition_implILS8_4ELb0ES6_15HIP_vector_typeIjLj2EENS0_17counting_iteratorIjlEEPS9_SG_NS0_5tupleIJPjSI_NS0_16reverse_iteratorISI_EEEEENSH_IJSG_SG_SG_EEES9_SI_JZNS1_25segmented_radix_sort_implINS0_14default_configELb0EPKhPhPKlPlN2at6native12_GLOBAL__N_18offset_tEEE10hipError_tPvRmT1_PNSt15iterator_traitsIS12_E10value_typeET2_T3_PNS13_IS18_E10value_typeET4_jRbjT5_S1E_jjP12ihipStream_tbEUljE_ZNSN_ISO_Lb0ESQ_SR_ST_SU_SY_EESZ_S10_S11_S12_S16_S17_S18_S1B_S1C_jS1D_jS1E_S1E_jjS1G_bEUljE0_EEESZ_S10_S11_S18_S1C_S1E_T6_T7_T9_mT8_S1G_bDpT10_ENKUlT_T0_E_clISt17integral_constantIbLb0EES1U_EEDaS1P_S1Q_EUlS1P_E_NS1_11comp_targetILNS1_3genE8ELNS1_11target_archE1030ELNS1_3gpuE2ELNS1_3repE0EEENS1_30default_config_static_selectorELNS0_4arch9wavefront6targetE1EEEvS12_.kd
    .uniform_work_group_size: 1
    .uses_dynamic_stack: false
    .vgpr_count:     0
    .vgpr_spill_count: 0
    .wavefront_size: 64
  - .args:
      - .offset:         0
        .size:           184
        .value_kind:     by_value
    .group_segment_fixed_size: 0
    .kernarg_segment_align: 8
    .kernarg_segment_size: 184
    .language:       OpenCL C
    .language_version:
      - 2
      - 0
    .max_flat_workgroup_size: 256
    .name:           _ZN7rocprim17ROCPRIM_400000_NS6detail17trampoline_kernelINS0_13select_configILj256ELj13ELNS0_17block_load_methodE3ELS4_3ELS4_3ELNS0_20block_scan_algorithmE0ELj4294967295EEENS1_25partition_config_selectorILNS1_17partition_subalgoE4EjNS0_10empty_typeEbEEZZNS1_14partition_implILS8_4ELb0ES6_15HIP_vector_typeIjLj2EENS0_17counting_iteratorIjlEEPS9_SG_NS0_5tupleIJPjSI_NS0_16reverse_iteratorISI_EEEEENSH_IJSG_SG_SG_EEES9_SI_JZNS1_25segmented_radix_sort_implINS0_14default_configELb0EPKhPhPKlPlN2at6native12_GLOBAL__N_18offset_tEEE10hipError_tPvRmT1_PNSt15iterator_traitsIS12_E10value_typeET2_T3_PNS13_IS18_E10value_typeET4_jRbjT5_S1E_jjP12ihipStream_tbEUljE_ZNSN_ISO_Lb0ESQ_SR_ST_SU_SY_EESZ_S10_S11_S12_S16_S17_S18_S1B_S1C_jS1D_jS1E_S1E_jjS1G_bEUljE0_EEESZ_S10_S11_S18_S1C_S1E_T6_T7_T9_mT8_S1G_bDpT10_ENKUlT_T0_E_clISt17integral_constantIbLb1EES1U_EEDaS1P_S1Q_EUlS1P_E_NS1_11comp_targetILNS1_3genE0ELNS1_11target_archE4294967295ELNS1_3gpuE0ELNS1_3repE0EEENS1_30default_config_static_selectorELNS0_4arch9wavefront6targetE1EEEvS12_
    .private_segment_fixed_size: 0
    .sgpr_count:     4
    .sgpr_spill_count: 0
    .symbol:         _ZN7rocprim17ROCPRIM_400000_NS6detail17trampoline_kernelINS0_13select_configILj256ELj13ELNS0_17block_load_methodE3ELS4_3ELS4_3ELNS0_20block_scan_algorithmE0ELj4294967295EEENS1_25partition_config_selectorILNS1_17partition_subalgoE4EjNS0_10empty_typeEbEEZZNS1_14partition_implILS8_4ELb0ES6_15HIP_vector_typeIjLj2EENS0_17counting_iteratorIjlEEPS9_SG_NS0_5tupleIJPjSI_NS0_16reverse_iteratorISI_EEEEENSH_IJSG_SG_SG_EEES9_SI_JZNS1_25segmented_radix_sort_implINS0_14default_configELb0EPKhPhPKlPlN2at6native12_GLOBAL__N_18offset_tEEE10hipError_tPvRmT1_PNSt15iterator_traitsIS12_E10value_typeET2_T3_PNS13_IS18_E10value_typeET4_jRbjT5_S1E_jjP12ihipStream_tbEUljE_ZNSN_ISO_Lb0ESQ_SR_ST_SU_SY_EESZ_S10_S11_S12_S16_S17_S18_S1B_S1C_jS1D_jS1E_S1E_jjS1G_bEUljE0_EEESZ_S10_S11_S18_S1C_S1E_T6_T7_T9_mT8_S1G_bDpT10_ENKUlT_T0_E_clISt17integral_constantIbLb1EES1U_EEDaS1P_S1Q_EUlS1P_E_NS1_11comp_targetILNS1_3genE0ELNS1_11target_archE4294967295ELNS1_3gpuE0ELNS1_3repE0EEENS1_30default_config_static_selectorELNS0_4arch9wavefront6targetE1EEEvS12_.kd
    .uniform_work_group_size: 1
    .uses_dynamic_stack: false
    .vgpr_count:     0
    .vgpr_spill_count: 0
    .wavefront_size: 64
  - .args:
      - .offset:         0
        .size:           184
        .value_kind:     by_value
    .group_segment_fixed_size: 0
    .kernarg_segment_align: 8
    .kernarg_segment_size: 184
    .language:       OpenCL C
    .language_version:
      - 2
      - 0
    .max_flat_workgroup_size: 256
    .name:           _ZN7rocprim17ROCPRIM_400000_NS6detail17trampoline_kernelINS0_13select_configILj256ELj13ELNS0_17block_load_methodE3ELS4_3ELS4_3ELNS0_20block_scan_algorithmE0ELj4294967295EEENS1_25partition_config_selectorILNS1_17partition_subalgoE4EjNS0_10empty_typeEbEEZZNS1_14partition_implILS8_4ELb0ES6_15HIP_vector_typeIjLj2EENS0_17counting_iteratorIjlEEPS9_SG_NS0_5tupleIJPjSI_NS0_16reverse_iteratorISI_EEEEENSH_IJSG_SG_SG_EEES9_SI_JZNS1_25segmented_radix_sort_implINS0_14default_configELb0EPKhPhPKlPlN2at6native12_GLOBAL__N_18offset_tEEE10hipError_tPvRmT1_PNSt15iterator_traitsIS12_E10value_typeET2_T3_PNS13_IS18_E10value_typeET4_jRbjT5_S1E_jjP12ihipStream_tbEUljE_ZNSN_ISO_Lb0ESQ_SR_ST_SU_SY_EESZ_S10_S11_S12_S16_S17_S18_S1B_S1C_jS1D_jS1E_S1E_jjS1G_bEUljE0_EEESZ_S10_S11_S18_S1C_S1E_T6_T7_T9_mT8_S1G_bDpT10_ENKUlT_T0_E_clISt17integral_constantIbLb1EES1U_EEDaS1P_S1Q_EUlS1P_E_NS1_11comp_targetILNS1_3genE5ELNS1_11target_archE942ELNS1_3gpuE9ELNS1_3repE0EEENS1_30default_config_static_selectorELNS0_4arch9wavefront6targetE1EEEvS12_
    .private_segment_fixed_size: 0
    .sgpr_count:     4
    .sgpr_spill_count: 0
    .symbol:         _ZN7rocprim17ROCPRIM_400000_NS6detail17trampoline_kernelINS0_13select_configILj256ELj13ELNS0_17block_load_methodE3ELS4_3ELS4_3ELNS0_20block_scan_algorithmE0ELj4294967295EEENS1_25partition_config_selectorILNS1_17partition_subalgoE4EjNS0_10empty_typeEbEEZZNS1_14partition_implILS8_4ELb0ES6_15HIP_vector_typeIjLj2EENS0_17counting_iteratorIjlEEPS9_SG_NS0_5tupleIJPjSI_NS0_16reverse_iteratorISI_EEEEENSH_IJSG_SG_SG_EEES9_SI_JZNS1_25segmented_radix_sort_implINS0_14default_configELb0EPKhPhPKlPlN2at6native12_GLOBAL__N_18offset_tEEE10hipError_tPvRmT1_PNSt15iterator_traitsIS12_E10value_typeET2_T3_PNS13_IS18_E10value_typeET4_jRbjT5_S1E_jjP12ihipStream_tbEUljE_ZNSN_ISO_Lb0ESQ_SR_ST_SU_SY_EESZ_S10_S11_S12_S16_S17_S18_S1B_S1C_jS1D_jS1E_S1E_jjS1G_bEUljE0_EEESZ_S10_S11_S18_S1C_S1E_T6_T7_T9_mT8_S1G_bDpT10_ENKUlT_T0_E_clISt17integral_constantIbLb1EES1U_EEDaS1P_S1Q_EUlS1P_E_NS1_11comp_targetILNS1_3genE5ELNS1_11target_archE942ELNS1_3gpuE9ELNS1_3repE0EEENS1_30default_config_static_selectorELNS0_4arch9wavefront6targetE1EEEvS12_.kd
    .uniform_work_group_size: 1
    .uses_dynamic_stack: false
    .vgpr_count:     0
    .vgpr_spill_count: 0
    .wavefront_size: 64
  - .args:
      - .offset:         0
        .size:           184
        .value_kind:     by_value
    .group_segment_fixed_size: 0
    .kernarg_segment_align: 8
    .kernarg_segment_size: 184
    .language:       OpenCL C
    .language_version:
      - 2
      - 0
    .max_flat_workgroup_size: 256
    .name:           _ZN7rocprim17ROCPRIM_400000_NS6detail17trampoline_kernelINS0_13select_configILj256ELj13ELNS0_17block_load_methodE3ELS4_3ELS4_3ELNS0_20block_scan_algorithmE0ELj4294967295EEENS1_25partition_config_selectorILNS1_17partition_subalgoE4EjNS0_10empty_typeEbEEZZNS1_14partition_implILS8_4ELb0ES6_15HIP_vector_typeIjLj2EENS0_17counting_iteratorIjlEEPS9_SG_NS0_5tupleIJPjSI_NS0_16reverse_iteratorISI_EEEEENSH_IJSG_SG_SG_EEES9_SI_JZNS1_25segmented_radix_sort_implINS0_14default_configELb0EPKhPhPKlPlN2at6native12_GLOBAL__N_18offset_tEEE10hipError_tPvRmT1_PNSt15iterator_traitsIS12_E10value_typeET2_T3_PNS13_IS18_E10value_typeET4_jRbjT5_S1E_jjP12ihipStream_tbEUljE_ZNSN_ISO_Lb0ESQ_SR_ST_SU_SY_EESZ_S10_S11_S12_S16_S17_S18_S1B_S1C_jS1D_jS1E_S1E_jjS1G_bEUljE0_EEESZ_S10_S11_S18_S1C_S1E_T6_T7_T9_mT8_S1G_bDpT10_ENKUlT_T0_E_clISt17integral_constantIbLb1EES1U_EEDaS1P_S1Q_EUlS1P_E_NS1_11comp_targetILNS1_3genE4ELNS1_11target_archE910ELNS1_3gpuE8ELNS1_3repE0EEENS1_30default_config_static_selectorELNS0_4arch9wavefront6targetE1EEEvS12_
    .private_segment_fixed_size: 0
    .sgpr_count:     4
    .sgpr_spill_count: 0
    .symbol:         _ZN7rocprim17ROCPRIM_400000_NS6detail17trampoline_kernelINS0_13select_configILj256ELj13ELNS0_17block_load_methodE3ELS4_3ELS4_3ELNS0_20block_scan_algorithmE0ELj4294967295EEENS1_25partition_config_selectorILNS1_17partition_subalgoE4EjNS0_10empty_typeEbEEZZNS1_14partition_implILS8_4ELb0ES6_15HIP_vector_typeIjLj2EENS0_17counting_iteratorIjlEEPS9_SG_NS0_5tupleIJPjSI_NS0_16reverse_iteratorISI_EEEEENSH_IJSG_SG_SG_EEES9_SI_JZNS1_25segmented_radix_sort_implINS0_14default_configELb0EPKhPhPKlPlN2at6native12_GLOBAL__N_18offset_tEEE10hipError_tPvRmT1_PNSt15iterator_traitsIS12_E10value_typeET2_T3_PNS13_IS18_E10value_typeET4_jRbjT5_S1E_jjP12ihipStream_tbEUljE_ZNSN_ISO_Lb0ESQ_SR_ST_SU_SY_EESZ_S10_S11_S12_S16_S17_S18_S1B_S1C_jS1D_jS1E_S1E_jjS1G_bEUljE0_EEESZ_S10_S11_S18_S1C_S1E_T6_T7_T9_mT8_S1G_bDpT10_ENKUlT_T0_E_clISt17integral_constantIbLb1EES1U_EEDaS1P_S1Q_EUlS1P_E_NS1_11comp_targetILNS1_3genE4ELNS1_11target_archE910ELNS1_3gpuE8ELNS1_3repE0EEENS1_30default_config_static_selectorELNS0_4arch9wavefront6targetE1EEEvS12_.kd
    .uniform_work_group_size: 1
    .uses_dynamic_stack: false
    .vgpr_count:     0
    .vgpr_spill_count: 0
    .wavefront_size: 64
  - .args:
      - .offset:         0
        .size:           184
        .value_kind:     by_value
    .group_segment_fixed_size: 0
    .kernarg_segment_align: 8
    .kernarg_segment_size: 184
    .language:       OpenCL C
    .language_version:
      - 2
      - 0
    .max_flat_workgroup_size: 256
    .name:           _ZN7rocprim17ROCPRIM_400000_NS6detail17trampoline_kernelINS0_13select_configILj256ELj13ELNS0_17block_load_methodE3ELS4_3ELS4_3ELNS0_20block_scan_algorithmE0ELj4294967295EEENS1_25partition_config_selectorILNS1_17partition_subalgoE4EjNS0_10empty_typeEbEEZZNS1_14partition_implILS8_4ELb0ES6_15HIP_vector_typeIjLj2EENS0_17counting_iteratorIjlEEPS9_SG_NS0_5tupleIJPjSI_NS0_16reverse_iteratorISI_EEEEENSH_IJSG_SG_SG_EEES9_SI_JZNS1_25segmented_radix_sort_implINS0_14default_configELb0EPKhPhPKlPlN2at6native12_GLOBAL__N_18offset_tEEE10hipError_tPvRmT1_PNSt15iterator_traitsIS12_E10value_typeET2_T3_PNS13_IS18_E10value_typeET4_jRbjT5_S1E_jjP12ihipStream_tbEUljE_ZNSN_ISO_Lb0ESQ_SR_ST_SU_SY_EESZ_S10_S11_S12_S16_S17_S18_S1B_S1C_jS1D_jS1E_S1E_jjS1G_bEUljE0_EEESZ_S10_S11_S18_S1C_S1E_T6_T7_T9_mT8_S1G_bDpT10_ENKUlT_T0_E_clISt17integral_constantIbLb1EES1U_EEDaS1P_S1Q_EUlS1P_E_NS1_11comp_targetILNS1_3genE3ELNS1_11target_archE908ELNS1_3gpuE7ELNS1_3repE0EEENS1_30default_config_static_selectorELNS0_4arch9wavefront6targetE1EEEvS12_
    .private_segment_fixed_size: 0
    .sgpr_count:     4
    .sgpr_spill_count: 0
    .symbol:         _ZN7rocprim17ROCPRIM_400000_NS6detail17trampoline_kernelINS0_13select_configILj256ELj13ELNS0_17block_load_methodE3ELS4_3ELS4_3ELNS0_20block_scan_algorithmE0ELj4294967295EEENS1_25partition_config_selectorILNS1_17partition_subalgoE4EjNS0_10empty_typeEbEEZZNS1_14partition_implILS8_4ELb0ES6_15HIP_vector_typeIjLj2EENS0_17counting_iteratorIjlEEPS9_SG_NS0_5tupleIJPjSI_NS0_16reverse_iteratorISI_EEEEENSH_IJSG_SG_SG_EEES9_SI_JZNS1_25segmented_radix_sort_implINS0_14default_configELb0EPKhPhPKlPlN2at6native12_GLOBAL__N_18offset_tEEE10hipError_tPvRmT1_PNSt15iterator_traitsIS12_E10value_typeET2_T3_PNS13_IS18_E10value_typeET4_jRbjT5_S1E_jjP12ihipStream_tbEUljE_ZNSN_ISO_Lb0ESQ_SR_ST_SU_SY_EESZ_S10_S11_S12_S16_S17_S18_S1B_S1C_jS1D_jS1E_S1E_jjS1G_bEUljE0_EEESZ_S10_S11_S18_S1C_S1E_T6_T7_T9_mT8_S1G_bDpT10_ENKUlT_T0_E_clISt17integral_constantIbLb1EES1U_EEDaS1P_S1Q_EUlS1P_E_NS1_11comp_targetILNS1_3genE3ELNS1_11target_archE908ELNS1_3gpuE7ELNS1_3repE0EEENS1_30default_config_static_selectorELNS0_4arch9wavefront6targetE1EEEvS12_.kd
    .uniform_work_group_size: 1
    .uses_dynamic_stack: false
    .vgpr_count:     0
    .vgpr_spill_count: 0
    .wavefront_size: 64
  - .args:
      - .offset:         0
        .size:           184
        .value_kind:     by_value
    .group_segment_fixed_size: 0
    .kernarg_segment_align: 8
    .kernarg_segment_size: 184
    .language:       OpenCL C
    .language_version:
      - 2
      - 0
    .max_flat_workgroup_size: 256
    .name:           _ZN7rocprim17ROCPRIM_400000_NS6detail17trampoline_kernelINS0_13select_configILj256ELj13ELNS0_17block_load_methodE3ELS4_3ELS4_3ELNS0_20block_scan_algorithmE0ELj4294967295EEENS1_25partition_config_selectorILNS1_17partition_subalgoE4EjNS0_10empty_typeEbEEZZNS1_14partition_implILS8_4ELb0ES6_15HIP_vector_typeIjLj2EENS0_17counting_iteratorIjlEEPS9_SG_NS0_5tupleIJPjSI_NS0_16reverse_iteratorISI_EEEEENSH_IJSG_SG_SG_EEES9_SI_JZNS1_25segmented_radix_sort_implINS0_14default_configELb0EPKhPhPKlPlN2at6native12_GLOBAL__N_18offset_tEEE10hipError_tPvRmT1_PNSt15iterator_traitsIS12_E10value_typeET2_T3_PNS13_IS18_E10value_typeET4_jRbjT5_S1E_jjP12ihipStream_tbEUljE_ZNSN_ISO_Lb0ESQ_SR_ST_SU_SY_EESZ_S10_S11_S12_S16_S17_S18_S1B_S1C_jS1D_jS1E_S1E_jjS1G_bEUljE0_EEESZ_S10_S11_S18_S1C_S1E_T6_T7_T9_mT8_S1G_bDpT10_ENKUlT_T0_E_clISt17integral_constantIbLb1EES1U_EEDaS1P_S1Q_EUlS1P_E_NS1_11comp_targetILNS1_3genE2ELNS1_11target_archE906ELNS1_3gpuE6ELNS1_3repE0EEENS1_30default_config_static_selectorELNS0_4arch9wavefront6targetE1EEEvS12_
    .private_segment_fixed_size: 0
    .sgpr_count:     4
    .sgpr_spill_count: 0
    .symbol:         _ZN7rocprim17ROCPRIM_400000_NS6detail17trampoline_kernelINS0_13select_configILj256ELj13ELNS0_17block_load_methodE3ELS4_3ELS4_3ELNS0_20block_scan_algorithmE0ELj4294967295EEENS1_25partition_config_selectorILNS1_17partition_subalgoE4EjNS0_10empty_typeEbEEZZNS1_14partition_implILS8_4ELb0ES6_15HIP_vector_typeIjLj2EENS0_17counting_iteratorIjlEEPS9_SG_NS0_5tupleIJPjSI_NS0_16reverse_iteratorISI_EEEEENSH_IJSG_SG_SG_EEES9_SI_JZNS1_25segmented_radix_sort_implINS0_14default_configELb0EPKhPhPKlPlN2at6native12_GLOBAL__N_18offset_tEEE10hipError_tPvRmT1_PNSt15iterator_traitsIS12_E10value_typeET2_T3_PNS13_IS18_E10value_typeET4_jRbjT5_S1E_jjP12ihipStream_tbEUljE_ZNSN_ISO_Lb0ESQ_SR_ST_SU_SY_EESZ_S10_S11_S12_S16_S17_S18_S1B_S1C_jS1D_jS1E_S1E_jjS1G_bEUljE0_EEESZ_S10_S11_S18_S1C_S1E_T6_T7_T9_mT8_S1G_bDpT10_ENKUlT_T0_E_clISt17integral_constantIbLb1EES1U_EEDaS1P_S1Q_EUlS1P_E_NS1_11comp_targetILNS1_3genE2ELNS1_11target_archE906ELNS1_3gpuE6ELNS1_3repE0EEENS1_30default_config_static_selectorELNS0_4arch9wavefront6targetE1EEEvS12_.kd
    .uniform_work_group_size: 1
    .uses_dynamic_stack: false
    .vgpr_count:     0
    .vgpr_spill_count: 0
    .wavefront_size: 64
  - .args:
      - .offset:         0
        .size:           184
        .value_kind:     by_value
    .group_segment_fixed_size: 0
    .kernarg_segment_align: 8
    .kernarg_segment_size: 184
    .language:       OpenCL C
    .language_version:
      - 2
      - 0
    .max_flat_workgroup_size: 256
    .name:           _ZN7rocprim17ROCPRIM_400000_NS6detail17trampoline_kernelINS0_13select_configILj256ELj13ELNS0_17block_load_methodE3ELS4_3ELS4_3ELNS0_20block_scan_algorithmE0ELj4294967295EEENS1_25partition_config_selectorILNS1_17partition_subalgoE4EjNS0_10empty_typeEbEEZZNS1_14partition_implILS8_4ELb0ES6_15HIP_vector_typeIjLj2EENS0_17counting_iteratorIjlEEPS9_SG_NS0_5tupleIJPjSI_NS0_16reverse_iteratorISI_EEEEENSH_IJSG_SG_SG_EEES9_SI_JZNS1_25segmented_radix_sort_implINS0_14default_configELb0EPKhPhPKlPlN2at6native12_GLOBAL__N_18offset_tEEE10hipError_tPvRmT1_PNSt15iterator_traitsIS12_E10value_typeET2_T3_PNS13_IS18_E10value_typeET4_jRbjT5_S1E_jjP12ihipStream_tbEUljE_ZNSN_ISO_Lb0ESQ_SR_ST_SU_SY_EESZ_S10_S11_S12_S16_S17_S18_S1B_S1C_jS1D_jS1E_S1E_jjS1G_bEUljE0_EEESZ_S10_S11_S18_S1C_S1E_T6_T7_T9_mT8_S1G_bDpT10_ENKUlT_T0_E_clISt17integral_constantIbLb1EES1U_EEDaS1P_S1Q_EUlS1P_E_NS1_11comp_targetILNS1_3genE10ELNS1_11target_archE1200ELNS1_3gpuE4ELNS1_3repE0EEENS1_30default_config_static_selectorELNS0_4arch9wavefront6targetE1EEEvS12_
    .private_segment_fixed_size: 0
    .sgpr_count:     4
    .sgpr_spill_count: 0
    .symbol:         _ZN7rocprim17ROCPRIM_400000_NS6detail17trampoline_kernelINS0_13select_configILj256ELj13ELNS0_17block_load_methodE3ELS4_3ELS4_3ELNS0_20block_scan_algorithmE0ELj4294967295EEENS1_25partition_config_selectorILNS1_17partition_subalgoE4EjNS0_10empty_typeEbEEZZNS1_14partition_implILS8_4ELb0ES6_15HIP_vector_typeIjLj2EENS0_17counting_iteratorIjlEEPS9_SG_NS0_5tupleIJPjSI_NS0_16reverse_iteratorISI_EEEEENSH_IJSG_SG_SG_EEES9_SI_JZNS1_25segmented_radix_sort_implINS0_14default_configELb0EPKhPhPKlPlN2at6native12_GLOBAL__N_18offset_tEEE10hipError_tPvRmT1_PNSt15iterator_traitsIS12_E10value_typeET2_T3_PNS13_IS18_E10value_typeET4_jRbjT5_S1E_jjP12ihipStream_tbEUljE_ZNSN_ISO_Lb0ESQ_SR_ST_SU_SY_EESZ_S10_S11_S12_S16_S17_S18_S1B_S1C_jS1D_jS1E_S1E_jjS1G_bEUljE0_EEESZ_S10_S11_S18_S1C_S1E_T6_T7_T9_mT8_S1G_bDpT10_ENKUlT_T0_E_clISt17integral_constantIbLb1EES1U_EEDaS1P_S1Q_EUlS1P_E_NS1_11comp_targetILNS1_3genE10ELNS1_11target_archE1200ELNS1_3gpuE4ELNS1_3repE0EEENS1_30default_config_static_selectorELNS0_4arch9wavefront6targetE1EEEvS12_.kd
    .uniform_work_group_size: 1
    .uses_dynamic_stack: false
    .vgpr_count:     0
    .vgpr_spill_count: 0
    .wavefront_size: 64
  - .args:
      - .offset:         0
        .size:           184
        .value_kind:     by_value
    .group_segment_fixed_size: 0
    .kernarg_segment_align: 8
    .kernarg_segment_size: 184
    .language:       OpenCL C
    .language_version:
      - 2
      - 0
    .max_flat_workgroup_size: 256
    .name:           _ZN7rocprim17ROCPRIM_400000_NS6detail17trampoline_kernelINS0_13select_configILj256ELj13ELNS0_17block_load_methodE3ELS4_3ELS4_3ELNS0_20block_scan_algorithmE0ELj4294967295EEENS1_25partition_config_selectorILNS1_17partition_subalgoE4EjNS0_10empty_typeEbEEZZNS1_14partition_implILS8_4ELb0ES6_15HIP_vector_typeIjLj2EENS0_17counting_iteratorIjlEEPS9_SG_NS0_5tupleIJPjSI_NS0_16reverse_iteratorISI_EEEEENSH_IJSG_SG_SG_EEES9_SI_JZNS1_25segmented_radix_sort_implINS0_14default_configELb0EPKhPhPKlPlN2at6native12_GLOBAL__N_18offset_tEEE10hipError_tPvRmT1_PNSt15iterator_traitsIS12_E10value_typeET2_T3_PNS13_IS18_E10value_typeET4_jRbjT5_S1E_jjP12ihipStream_tbEUljE_ZNSN_ISO_Lb0ESQ_SR_ST_SU_SY_EESZ_S10_S11_S12_S16_S17_S18_S1B_S1C_jS1D_jS1E_S1E_jjS1G_bEUljE0_EEESZ_S10_S11_S18_S1C_S1E_T6_T7_T9_mT8_S1G_bDpT10_ENKUlT_T0_E_clISt17integral_constantIbLb1EES1U_EEDaS1P_S1Q_EUlS1P_E_NS1_11comp_targetILNS1_3genE9ELNS1_11target_archE1100ELNS1_3gpuE3ELNS1_3repE0EEENS1_30default_config_static_selectorELNS0_4arch9wavefront6targetE1EEEvS12_
    .private_segment_fixed_size: 0
    .sgpr_count:     4
    .sgpr_spill_count: 0
    .symbol:         _ZN7rocprim17ROCPRIM_400000_NS6detail17trampoline_kernelINS0_13select_configILj256ELj13ELNS0_17block_load_methodE3ELS4_3ELS4_3ELNS0_20block_scan_algorithmE0ELj4294967295EEENS1_25partition_config_selectorILNS1_17partition_subalgoE4EjNS0_10empty_typeEbEEZZNS1_14partition_implILS8_4ELb0ES6_15HIP_vector_typeIjLj2EENS0_17counting_iteratorIjlEEPS9_SG_NS0_5tupleIJPjSI_NS0_16reverse_iteratorISI_EEEEENSH_IJSG_SG_SG_EEES9_SI_JZNS1_25segmented_radix_sort_implINS0_14default_configELb0EPKhPhPKlPlN2at6native12_GLOBAL__N_18offset_tEEE10hipError_tPvRmT1_PNSt15iterator_traitsIS12_E10value_typeET2_T3_PNS13_IS18_E10value_typeET4_jRbjT5_S1E_jjP12ihipStream_tbEUljE_ZNSN_ISO_Lb0ESQ_SR_ST_SU_SY_EESZ_S10_S11_S12_S16_S17_S18_S1B_S1C_jS1D_jS1E_S1E_jjS1G_bEUljE0_EEESZ_S10_S11_S18_S1C_S1E_T6_T7_T9_mT8_S1G_bDpT10_ENKUlT_T0_E_clISt17integral_constantIbLb1EES1U_EEDaS1P_S1Q_EUlS1P_E_NS1_11comp_targetILNS1_3genE9ELNS1_11target_archE1100ELNS1_3gpuE3ELNS1_3repE0EEENS1_30default_config_static_selectorELNS0_4arch9wavefront6targetE1EEEvS12_.kd
    .uniform_work_group_size: 1
    .uses_dynamic_stack: false
    .vgpr_count:     0
    .vgpr_spill_count: 0
    .wavefront_size: 64
  - .args:
      - .offset:         0
        .size:           184
        .value_kind:     by_value
    .group_segment_fixed_size: 0
    .kernarg_segment_align: 8
    .kernarg_segment_size: 184
    .language:       OpenCL C
    .language_version:
      - 2
      - 0
    .max_flat_workgroup_size: 256
    .name:           _ZN7rocprim17ROCPRIM_400000_NS6detail17trampoline_kernelINS0_13select_configILj256ELj13ELNS0_17block_load_methodE3ELS4_3ELS4_3ELNS0_20block_scan_algorithmE0ELj4294967295EEENS1_25partition_config_selectorILNS1_17partition_subalgoE4EjNS0_10empty_typeEbEEZZNS1_14partition_implILS8_4ELb0ES6_15HIP_vector_typeIjLj2EENS0_17counting_iteratorIjlEEPS9_SG_NS0_5tupleIJPjSI_NS0_16reverse_iteratorISI_EEEEENSH_IJSG_SG_SG_EEES9_SI_JZNS1_25segmented_radix_sort_implINS0_14default_configELb0EPKhPhPKlPlN2at6native12_GLOBAL__N_18offset_tEEE10hipError_tPvRmT1_PNSt15iterator_traitsIS12_E10value_typeET2_T3_PNS13_IS18_E10value_typeET4_jRbjT5_S1E_jjP12ihipStream_tbEUljE_ZNSN_ISO_Lb0ESQ_SR_ST_SU_SY_EESZ_S10_S11_S12_S16_S17_S18_S1B_S1C_jS1D_jS1E_S1E_jjS1G_bEUljE0_EEESZ_S10_S11_S18_S1C_S1E_T6_T7_T9_mT8_S1G_bDpT10_ENKUlT_T0_E_clISt17integral_constantIbLb1EES1U_EEDaS1P_S1Q_EUlS1P_E_NS1_11comp_targetILNS1_3genE8ELNS1_11target_archE1030ELNS1_3gpuE2ELNS1_3repE0EEENS1_30default_config_static_selectorELNS0_4arch9wavefront6targetE1EEEvS12_
    .private_segment_fixed_size: 0
    .sgpr_count:     4
    .sgpr_spill_count: 0
    .symbol:         _ZN7rocprim17ROCPRIM_400000_NS6detail17trampoline_kernelINS0_13select_configILj256ELj13ELNS0_17block_load_methodE3ELS4_3ELS4_3ELNS0_20block_scan_algorithmE0ELj4294967295EEENS1_25partition_config_selectorILNS1_17partition_subalgoE4EjNS0_10empty_typeEbEEZZNS1_14partition_implILS8_4ELb0ES6_15HIP_vector_typeIjLj2EENS0_17counting_iteratorIjlEEPS9_SG_NS0_5tupleIJPjSI_NS0_16reverse_iteratorISI_EEEEENSH_IJSG_SG_SG_EEES9_SI_JZNS1_25segmented_radix_sort_implINS0_14default_configELb0EPKhPhPKlPlN2at6native12_GLOBAL__N_18offset_tEEE10hipError_tPvRmT1_PNSt15iterator_traitsIS12_E10value_typeET2_T3_PNS13_IS18_E10value_typeET4_jRbjT5_S1E_jjP12ihipStream_tbEUljE_ZNSN_ISO_Lb0ESQ_SR_ST_SU_SY_EESZ_S10_S11_S12_S16_S17_S18_S1B_S1C_jS1D_jS1E_S1E_jjS1G_bEUljE0_EEESZ_S10_S11_S18_S1C_S1E_T6_T7_T9_mT8_S1G_bDpT10_ENKUlT_T0_E_clISt17integral_constantIbLb1EES1U_EEDaS1P_S1Q_EUlS1P_E_NS1_11comp_targetILNS1_3genE8ELNS1_11target_archE1030ELNS1_3gpuE2ELNS1_3repE0EEENS1_30default_config_static_selectorELNS0_4arch9wavefront6targetE1EEEvS12_.kd
    .uniform_work_group_size: 1
    .uses_dynamic_stack: false
    .vgpr_count:     0
    .vgpr_spill_count: 0
    .wavefront_size: 64
  - .args:
      - .offset:         0
        .size:           176
        .value_kind:     by_value
    .group_segment_fixed_size: 0
    .kernarg_segment_align: 8
    .kernarg_segment_size: 176
    .language:       OpenCL C
    .language_version:
      - 2
      - 0
    .max_flat_workgroup_size: 256
    .name:           _ZN7rocprim17ROCPRIM_400000_NS6detail17trampoline_kernelINS0_13select_configILj256ELj13ELNS0_17block_load_methodE3ELS4_3ELS4_3ELNS0_20block_scan_algorithmE0ELj4294967295EEENS1_25partition_config_selectorILNS1_17partition_subalgoE4EjNS0_10empty_typeEbEEZZNS1_14partition_implILS8_4ELb0ES6_15HIP_vector_typeIjLj2EENS0_17counting_iteratorIjlEEPS9_SG_NS0_5tupleIJPjSI_NS0_16reverse_iteratorISI_EEEEENSH_IJSG_SG_SG_EEES9_SI_JZNS1_25segmented_radix_sort_implINS0_14default_configELb0EPKhPhPKlPlN2at6native12_GLOBAL__N_18offset_tEEE10hipError_tPvRmT1_PNSt15iterator_traitsIS12_E10value_typeET2_T3_PNS13_IS18_E10value_typeET4_jRbjT5_S1E_jjP12ihipStream_tbEUljE_ZNSN_ISO_Lb0ESQ_SR_ST_SU_SY_EESZ_S10_S11_S12_S16_S17_S18_S1B_S1C_jS1D_jS1E_S1E_jjS1G_bEUljE0_EEESZ_S10_S11_S18_S1C_S1E_T6_T7_T9_mT8_S1G_bDpT10_ENKUlT_T0_E_clISt17integral_constantIbLb1EES1T_IbLb0EEEEDaS1P_S1Q_EUlS1P_E_NS1_11comp_targetILNS1_3genE0ELNS1_11target_archE4294967295ELNS1_3gpuE0ELNS1_3repE0EEENS1_30default_config_static_selectorELNS0_4arch9wavefront6targetE1EEEvS12_
    .private_segment_fixed_size: 0
    .sgpr_count:     4
    .sgpr_spill_count: 0
    .symbol:         _ZN7rocprim17ROCPRIM_400000_NS6detail17trampoline_kernelINS0_13select_configILj256ELj13ELNS0_17block_load_methodE3ELS4_3ELS4_3ELNS0_20block_scan_algorithmE0ELj4294967295EEENS1_25partition_config_selectorILNS1_17partition_subalgoE4EjNS0_10empty_typeEbEEZZNS1_14partition_implILS8_4ELb0ES6_15HIP_vector_typeIjLj2EENS0_17counting_iteratorIjlEEPS9_SG_NS0_5tupleIJPjSI_NS0_16reverse_iteratorISI_EEEEENSH_IJSG_SG_SG_EEES9_SI_JZNS1_25segmented_radix_sort_implINS0_14default_configELb0EPKhPhPKlPlN2at6native12_GLOBAL__N_18offset_tEEE10hipError_tPvRmT1_PNSt15iterator_traitsIS12_E10value_typeET2_T3_PNS13_IS18_E10value_typeET4_jRbjT5_S1E_jjP12ihipStream_tbEUljE_ZNSN_ISO_Lb0ESQ_SR_ST_SU_SY_EESZ_S10_S11_S12_S16_S17_S18_S1B_S1C_jS1D_jS1E_S1E_jjS1G_bEUljE0_EEESZ_S10_S11_S18_S1C_S1E_T6_T7_T9_mT8_S1G_bDpT10_ENKUlT_T0_E_clISt17integral_constantIbLb1EES1T_IbLb0EEEEDaS1P_S1Q_EUlS1P_E_NS1_11comp_targetILNS1_3genE0ELNS1_11target_archE4294967295ELNS1_3gpuE0ELNS1_3repE0EEENS1_30default_config_static_selectorELNS0_4arch9wavefront6targetE1EEEvS12_.kd
    .uniform_work_group_size: 1
    .uses_dynamic_stack: false
    .vgpr_count:     0
    .vgpr_spill_count: 0
    .wavefront_size: 64
  - .args:
      - .offset:         0
        .size:           176
        .value_kind:     by_value
    .group_segment_fixed_size: 0
    .kernarg_segment_align: 8
    .kernarg_segment_size: 176
    .language:       OpenCL C
    .language_version:
      - 2
      - 0
    .max_flat_workgroup_size: 256
    .name:           _ZN7rocprim17ROCPRIM_400000_NS6detail17trampoline_kernelINS0_13select_configILj256ELj13ELNS0_17block_load_methodE3ELS4_3ELS4_3ELNS0_20block_scan_algorithmE0ELj4294967295EEENS1_25partition_config_selectorILNS1_17partition_subalgoE4EjNS0_10empty_typeEbEEZZNS1_14partition_implILS8_4ELb0ES6_15HIP_vector_typeIjLj2EENS0_17counting_iteratorIjlEEPS9_SG_NS0_5tupleIJPjSI_NS0_16reverse_iteratorISI_EEEEENSH_IJSG_SG_SG_EEES9_SI_JZNS1_25segmented_radix_sort_implINS0_14default_configELb0EPKhPhPKlPlN2at6native12_GLOBAL__N_18offset_tEEE10hipError_tPvRmT1_PNSt15iterator_traitsIS12_E10value_typeET2_T3_PNS13_IS18_E10value_typeET4_jRbjT5_S1E_jjP12ihipStream_tbEUljE_ZNSN_ISO_Lb0ESQ_SR_ST_SU_SY_EESZ_S10_S11_S12_S16_S17_S18_S1B_S1C_jS1D_jS1E_S1E_jjS1G_bEUljE0_EEESZ_S10_S11_S18_S1C_S1E_T6_T7_T9_mT8_S1G_bDpT10_ENKUlT_T0_E_clISt17integral_constantIbLb1EES1T_IbLb0EEEEDaS1P_S1Q_EUlS1P_E_NS1_11comp_targetILNS1_3genE5ELNS1_11target_archE942ELNS1_3gpuE9ELNS1_3repE0EEENS1_30default_config_static_selectorELNS0_4arch9wavefront6targetE1EEEvS12_
    .private_segment_fixed_size: 0
    .sgpr_count:     4
    .sgpr_spill_count: 0
    .symbol:         _ZN7rocprim17ROCPRIM_400000_NS6detail17trampoline_kernelINS0_13select_configILj256ELj13ELNS0_17block_load_methodE3ELS4_3ELS4_3ELNS0_20block_scan_algorithmE0ELj4294967295EEENS1_25partition_config_selectorILNS1_17partition_subalgoE4EjNS0_10empty_typeEbEEZZNS1_14partition_implILS8_4ELb0ES6_15HIP_vector_typeIjLj2EENS0_17counting_iteratorIjlEEPS9_SG_NS0_5tupleIJPjSI_NS0_16reverse_iteratorISI_EEEEENSH_IJSG_SG_SG_EEES9_SI_JZNS1_25segmented_radix_sort_implINS0_14default_configELb0EPKhPhPKlPlN2at6native12_GLOBAL__N_18offset_tEEE10hipError_tPvRmT1_PNSt15iterator_traitsIS12_E10value_typeET2_T3_PNS13_IS18_E10value_typeET4_jRbjT5_S1E_jjP12ihipStream_tbEUljE_ZNSN_ISO_Lb0ESQ_SR_ST_SU_SY_EESZ_S10_S11_S12_S16_S17_S18_S1B_S1C_jS1D_jS1E_S1E_jjS1G_bEUljE0_EEESZ_S10_S11_S18_S1C_S1E_T6_T7_T9_mT8_S1G_bDpT10_ENKUlT_T0_E_clISt17integral_constantIbLb1EES1T_IbLb0EEEEDaS1P_S1Q_EUlS1P_E_NS1_11comp_targetILNS1_3genE5ELNS1_11target_archE942ELNS1_3gpuE9ELNS1_3repE0EEENS1_30default_config_static_selectorELNS0_4arch9wavefront6targetE1EEEvS12_.kd
    .uniform_work_group_size: 1
    .uses_dynamic_stack: false
    .vgpr_count:     0
    .vgpr_spill_count: 0
    .wavefront_size: 64
  - .args:
      - .offset:         0
        .size:           176
        .value_kind:     by_value
    .group_segment_fixed_size: 0
    .kernarg_segment_align: 8
    .kernarg_segment_size: 176
    .language:       OpenCL C
    .language_version:
      - 2
      - 0
    .max_flat_workgroup_size: 256
    .name:           _ZN7rocprim17ROCPRIM_400000_NS6detail17trampoline_kernelINS0_13select_configILj256ELj13ELNS0_17block_load_methodE3ELS4_3ELS4_3ELNS0_20block_scan_algorithmE0ELj4294967295EEENS1_25partition_config_selectorILNS1_17partition_subalgoE4EjNS0_10empty_typeEbEEZZNS1_14partition_implILS8_4ELb0ES6_15HIP_vector_typeIjLj2EENS0_17counting_iteratorIjlEEPS9_SG_NS0_5tupleIJPjSI_NS0_16reverse_iteratorISI_EEEEENSH_IJSG_SG_SG_EEES9_SI_JZNS1_25segmented_radix_sort_implINS0_14default_configELb0EPKhPhPKlPlN2at6native12_GLOBAL__N_18offset_tEEE10hipError_tPvRmT1_PNSt15iterator_traitsIS12_E10value_typeET2_T3_PNS13_IS18_E10value_typeET4_jRbjT5_S1E_jjP12ihipStream_tbEUljE_ZNSN_ISO_Lb0ESQ_SR_ST_SU_SY_EESZ_S10_S11_S12_S16_S17_S18_S1B_S1C_jS1D_jS1E_S1E_jjS1G_bEUljE0_EEESZ_S10_S11_S18_S1C_S1E_T6_T7_T9_mT8_S1G_bDpT10_ENKUlT_T0_E_clISt17integral_constantIbLb1EES1T_IbLb0EEEEDaS1P_S1Q_EUlS1P_E_NS1_11comp_targetILNS1_3genE4ELNS1_11target_archE910ELNS1_3gpuE8ELNS1_3repE0EEENS1_30default_config_static_selectorELNS0_4arch9wavefront6targetE1EEEvS12_
    .private_segment_fixed_size: 0
    .sgpr_count:     4
    .sgpr_spill_count: 0
    .symbol:         _ZN7rocprim17ROCPRIM_400000_NS6detail17trampoline_kernelINS0_13select_configILj256ELj13ELNS0_17block_load_methodE3ELS4_3ELS4_3ELNS0_20block_scan_algorithmE0ELj4294967295EEENS1_25partition_config_selectorILNS1_17partition_subalgoE4EjNS0_10empty_typeEbEEZZNS1_14partition_implILS8_4ELb0ES6_15HIP_vector_typeIjLj2EENS0_17counting_iteratorIjlEEPS9_SG_NS0_5tupleIJPjSI_NS0_16reverse_iteratorISI_EEEEENSH_IJSG_SG_SG_EEES9_SI_JZNS1_25segmented_radix_sort_implINS0_14default_configELb0EPKhPhPKlPlN2at6native12_GLOBAL__N_18offset_tEEE10hipError_tPvRmT1_PNSt15iterator_traitsIS12_E10value_typeET2_T3_PNS13_IS18_E10value_typeET4_jRbjT5_S1E_jjP12ihipStream_tbEUljE_ZNSN_ISO_Lb0ESQ_SR_ST_SU_SY_EESZ_S10_S11_S12_S16_S17_S18_S1B_S1C_jS1D_jS1E_S1E_jjS1G_bEUljE0_EEESZ_S10_S11_S18_S1C_S1E_T6_T7_T9_mT8_S1G_bDpT10_ENKUlT_T0_E_clISt17integral_constantIbLb1EES1T_IbLb0EEEEDaS1P_S1Q_EUlS1P_E_NS1_11comp_targetILNS1_3genE4ELNS1_11target_archE910ELNS1_3gpuE8ELNS1_3repE0EEENS1_30default_config_static_selectorELNS0_4arch9wavefront6targetE1EEEvS12_.kd
    .uniform_work_group_size: 1
    .uses_dynamic_stack: false
    .vgpr_count:     0
    .vgpr_spill_count: 0
    .wavefront_size: 64
  - .args:
      - .offset:         0
        .size:           176
        .value_kind:     by_value
    .group_segment_fixed_size: 0
    .kernarg_segment_align: 8
    .kernarg_segment_size: 176
    .language:       OpenCL C
    .language_version:
      - 2
      - 0
    .max_flat_workgroup_size: 256
    .name:           _ZN7rocprim17ROCPRIM_400000_NS6detail17trampoline_kernelINS0_13select_configILj256ELj13ELNS0_17block_load_methodE3ELS4_3ELS4_3ELNS0_20block_scan_algorithmE0ELj4294967295EEENS1_25partition_config_selectorILNS1_17partition_subalgoE4EjNS0_10empty_typeEbEEZZNS1_14partition_implILS8_4ELb0ES6_15HIP_vector_typeIjLj2EENS0_17counting_iteratorIjlEEPS9_SG_NS0_5tupleIJPjSI_NS0_16reverse_iteratorISI_EEEEENSH_IJSG_SG_SG_EEES9_SI_JZNS1_25segmented_radix_sort_implINS0_14default_configELb0EPKhPhPKlPlN2at6native12_GLOBAL__N_18offset_tEEE10hipError_tPvRmT1_PNSt15iterator_traitsIS12_E10value_typeET2_T3_PNS13_IS18_E10value_typeET4_jRbjT5_S1E_jjP12ihipStream_tbEUljE_ZNSN_ISO_Lb0ESQ_SR_ST_SU_SY_EESZ_S10_S11_S12_S16_S17_S18_S1B_S1C_jS1D_jS1E_S1E_jjS1G_bEUljE0_EEESZ_S10_S11_S18_S1C_S1E_T6_T7_T9_mT8_S1G_bDpT10_ENKUlT_T0_E_clISt17integral_constantIbLb1EES1T_IbLb0EEEEDaS1P_S1Q_EUlS1P_E_NS1_11comp_targetILNS1_3genE3ELNS1_11target_archE908ELNS1_3gpuE7ELNS1_3repE0EEENS1_30default_config_static_selectorELNS0_4arch9wavefront6targetE1EEEvS12_
    .private_segment_fixed_size: 0
    .sgpr_count:     4
    .sgpr_spill_count: 0
    .symbol:         _ZN7rocprim17ROCPRIM_400000_NS6detail17trampoline_kernelINS0_13select_configILj256ELj13ELNS0_17block_load_methodE3ELS4_3ELS4_3ELNS0_20block_scan_algorithmE0ELj4294967295EEENS1_25partition_config_selectorILNS1_17partition_subalgoE4EjNS0_10empty_typeEbEEZZNS1_14partition_implILS8_4ELb0ES6_15HIP_vector_typeIjLj2EENS0_17counting_iteratorIjlEEPS9_SG_NS0_5tupleIJPjSI_NS0_16reverse_iteratorISI_EEEEENSH_IJSG_SG_SG_EEES9_SI_JZNS1_25segmented_radix_sort_implINS0_14default_configELb0EPKhPhPKlPlN2at6native12_GLOBAL__N_18offset_tEEE10hipError_tPvRmT1_PNSt15iterator_traitsIS12_E10value_typeET2_T3_PNS13_IS18_E10value_typeET4_jRbjT5_S1E_jjP12ihipStream_tbEUljE_ZNSN_ISO_Lb0ESQ_SR_ST_SU_SY_EESZ_S10_S11_S12_S16_S17_S18_S1B_S1C_jS1D_jS1E_S1E_jjS1G_bEUljE0_EEESZ_S10_S11_S18_S1C_S1E_T6_T7_T9_mT8_S1G_bDpT10_ENKUlT_T0_E_clISt17integral_constantIbLb1EES1T_IbLb0EEEEDaS1P_S1Q_EUlS1P_E_NS1_11comp_targetILNS1_3genE3ELNS1_11target_archE908ELNS1_3gpuE7ELNS1_3repE0EEENS1_30default_config_static_selectorELNS0_4arch9wavefront6targetE1EEEvS12_.kd
    .uniform_work_group_size: 1
    .uses_dynamic_stack: false
    .vgpr_count:     0
    .vgpr_spill_count: 0
    .wavefront_size: 64
  - .args:
      - .offset:         0
        .size:           176
        .value_kind:     by_value
    .group_segment_fixed_size: 0
    .kernarg_segment_align: 8
    .kernarg_segment_size: 176
    .language:       OpenCL C
    .language_version:
      - 2
      - 0
    .max_flat_workgroup_size: 256
    .name:           _ZN7rocprim17ROCPRIM_400000_NS6detail17trampoline_kernelINS0_13select_configILj256ELj13ELNS0_17block_load_methodE3ELS4_3ELS4_3ELNS0_20block_scan_algorithmE0ELj4294967295EEENS1_25partition_config_selectorILNS1_17partition_subalgoE4EjNS0_10empty_typeEbEEZZNS1_14partition_implILS8_4ELb0ES6_15HIP_vector_typeIjLj2EENS0_17counting_iteratorIjlEEPS9_SG_NS0_5tupleIJPjSI_NS0_16reverse_iteratorISI_EEEEENSH_IJSG_SG_SG_EEES9_SI_JZNS1_25segmented_radix_sort_implINS0_14default_configELb0EPKhPhPKlPlN2at6native12_GLOBAL__N_18offset_tEEE10hipError_tPvRmT1_PNSt15iterator_traitsIS12_E10value_typeET2_T3_PNS13_IS18_E10value_typeET4_jRbjT5_S1E_jjP12ihipStream_tbEUljE_ZNSN_ISO_Lb0ESQ_SR_ST_SU_SY_EESZ_S10_S11_S12_S16_S17_S18_S1B_S1C_jS1D_jS1E_S1E_jjS1G_bEUljE0_EEESZ_S10_S11_S18_S1C_S1E_T6_T7_T9_mT8_S1G_bDpT10_ENKUlT_T0_E_clISt17integral_constantIbLb1EES1T_IbLb0EEEEDaS1P_S1Q_EUlS1P_E_NS1_11comp_targetILNS1_3genE2ELNS1_11target_archE906ELNS1_3gpuE6ELNS1_3repE0EEENS1_30default_config_static_selectorELNS0_4arch9wavefront6targetE1EEEvS12_
    .private_segment_fixed_size: 0
    .sgpr_count:     4
    .sgpr_spill_count: 0
    .symbol:         _ZN7rocprim17ROCPRIM_400000_NS6detail17trampoline_kernelINS0_13select_configILj256ELj13ELNS0_17block_load_methodE3ELS4_3ELS4_3ELNS0_20block_scan_algorithmE0ELj4294967295EEENS1_25partition_config_selectorILNS1_17partition_subalgoE4EjNS0_10empty_typeEbEEZZNS1_14partition_implILS8_4ELb0ES6_15HIP_vector_typeIjLj2EENS0_17counting_iteratorIjlEEPS9_SG_NS0_5tupleIJPjSI_NS0_16reverse_iteratorISI_EEEEENSH_IJSG_SG_SG_EEES9_SI_JZNS1_25segmented_radix_sort_implINS0_14default_configELb0EPKhPhPKlPlN2at6native12_GLOBAL__N_18offset_tEEE10hipError_tPvRmT1_PNSt15iterator_traitsIS12_E10value_typeET2_T3_PNS13_IS18_E10value_typeET4_jRbjT5_S1E_jjP12ihipStream_tbEUljE_ZNSN_ISO_Lb0ESQ_SR_ST_SU_SY_EESZ_S10_S11_S12_S16_S17_S18_S1B_S1C_jS1D_jS1E_S1E_jjS1G_bEUljE0_EEESZ_S10_S11_S18_S1C_S1E_T6_T7_T9_mT8_S1G_bDpT10_ENKUlT_T0_E_clISt17integral_constantIbLb1EES1T_IbLb0EEEEDaS1P_S1Q_EUlS1P_E_NS1_11comp_targetILNS1_3genE2ELNS1_11target_archE906ELNS1_3gpuE6ELNS1_3repE0EEENS1_30default_config_static_selectorELNS0_4arch9wavefront6targetE1EEEvS12_.kd
    .uniform_work_group_size: 1
    .uses_dynamic_stack: false
    .vgpr_count:     0
    .vgpr_spill_count: 0
    .wavefront_size: 64
  - .args:
      - .offset:         0
        .size:           176
        .value_kind:     by_value
    .group_segment_fixed_size: 0
    .kernarg_segment_align: 8
    .kernarg_segment_size: 176
    .language:       OpenCL C
    .language_version:
      - 2
      - 0
    .max_flat_workgroup_size: 256
    .name:           _ZN7rocprim17ROCPRIM_400000_NS6detail17trampoline_kernelINS0_13select_configILj256ELj13ELNS0_17block_load_methodE3ELS4_3ELS4_3ELNS0_20block_scan_algorithmE0ELj4294967295EEENS1_25partition_config_selectorILNS1_17partition_subalgoE4EjNS0_10empty_typeEbEEZZNS1_14partition_implILS8_4ELb0ES6_15HIP_vector_typeIjLj2EENS0_17counting_iteratorIjlEEPS9_SG_NS0_5tupleIJPjSI_NS0_16reverse_iteratorISI_EEEEENSH_IJSG_SG_SG_EEES9_SI_JZNS1_25segmented_radix_sort_implINS0_14default_configELb0EPKhPhPKlPlN2at6native12_GLOBAL__N_18offset_tEEE10hipError_tPvRmT1_PNSt15iterator_traitsIS12_E10value_typeET2_T3_PNS13_IS18_E10value_typeET4_jRbjT5_S1E_jjP12ihipStream_tbEUljE_ZNSN_ISO_Lb0ESQ_SR_ST_SU_SY_EESZ_S10_S11_S12_S16_S17_S18_S1B_S1C_jS1D_jS1E_S1E_jjS1G_bEUljE0_EEESZ_S10_S11_S18_S1C_S1E_T6_T7_T9_mT8_S1G_bDpT10_ENKUlT_T0_E_clISt17integral_constantIbLb1EES1T_IbLb0EEEEDaS1P_S1Q_EUlS1P_E_NS1_11comp_targetILNS1_3genE10ELNS1_11target_archE1200ELNS1_3gpuE4ELNS1_3repE0EEENS1_30default_config_static_selectorELNS0_4arch9wavefront6targetE1EEEvS12_
    .private_segment_fixed_size: 0
    .sgpr_count:     4
    .sgpr_spill_count: 0
    .symbol:         _ZN7rocprim17ROCPRIM_400000_NS6detail17trampoline_kernelINS0_13select_configILj256ELj13ELNS0_17block_load_methodE3ELS4_3ELS4_3ELNS0_20block_scan_algorithmE0ELj4294967295EEENS1_25partition_config_selectorILNS1_17partition_subalgoE4EjNS0_10empty_typeEbEEZZNS1_14partition_implILS8_4ELb0ES6_15HIP_vector_typeIjLj2EENS0_17counting_iteratorIjlEEPS9_SG_NS0_5tupleIJPjSI_NS0_16reverse_iteratorISI_EEEEENSH_IJSG_SG_SG_EEES9_SI_JZNS1_25segmented_radix_sort_implINS0_14default_configELb0EPKhPhPKlPlN2at6native12_GLOBAL__N_18offset_tEEE10hipError_tPvRmT1_PNSt15iterator_traitsIS12_E10value_typeET2_T3_PNS13_IS18_E10value_typeET4_jRbjT5_S1E_jjP12ihipStream_tbEUljE_ZNSN_ISO_Lb0ESQ_SR_ST_SU_SY_EESZ_S10_S11_S12_S16_S17_S18_S1B_S1C_jS1D_jS1E_S1E_jjS1G_bEUljE0_EEESZ_S10_S11_S18_S1C_S1E_T6_T7_T9_mT8_S1G_bDpT10_ENKUlT_T0_E_clISt17integral_constantIbLb1EES1T_IbLb0EEEEDaS1P_S1Q_EUlS1P_E_NS1_11comp_targetILNS1_3genE10ELNS1_11target_archE1200ELNS1_3gpuE4ELNS1_3repE0EEENS1_30default_config_static_selectorELNS0_4arch9wavefront6targetE1EEEvS12_.kd
    .uniform_work_group_size: 1
    .uses_dynamic_stack: false
    .vgpr_count:     0
    .vgpr_spill_count: 0
    .wavefront_size: 64
  - .args:
      - .offset:         0
        .size:           176
        .value_kind:     by_value
    .group_segment_fixed_size: 0
    .kernarg_segment_align: 8
    .kernarg_segment_size: 176
    .language:       OpenCL C
    .language_version:
      - 2
      - 0
    .max_flat_workgroup_size: 256
    .name:           _ZN7rocprim17ROCPRIM_400000_NS6detail17trampoline_kernelINS0_13select_configILj256ELj13ELNS0_17block_load_methodE3ELS4_3ELS4_3ELNS0_20block_scan_algorithmE0ELj4294967295EEENS1_25partition_config_selectorILNS1_17partition_subalgoE4EjNS0_10empty_typeEbEEZZNS1_14partition_implILS8_4ELb0ES6_15HIP_vector_typeIjLj2EENS0_17counting_iteratorIjlEEPS9_SG_NS0_5tupleIJPjSI_NS0_16reverse_iteratorISI_EEEEENSH_IJSG_SG_SG_EEES9_SI_JZNS1_25segmented_radix_sort_implINS0_14default_configELb0EPKhPhPKlPlN2at6native12_GLOBAL__N_18offset_tEEE10hipError_tPvRmT1_PNSt15iterator_traitsIS12_E10value_typeET2_T3_PNS13_IS18_E10value_typeET4_jRbjT5_S1E_jjP12ihipStream_tbEUljE_ZNSN_ISO_Lb0ESQ_SR_ST_SU_SY_EESZ_S10_S11_S12_S16_S17_S18_S1B_S1C_jS1D_jS1E_S1E_jjS1G_bEUljE0_EEESZ_S10_S11_S18_S1C_S1E_T6_T7_T9_mT8_S1G_bDpT10_ENKUlT_T0_E_clISt17integral_constantIbLb1EES1T_IbLb0EEEEDaS1P_S1Q_EUlS1P_E_NS1_11comp_targetILNS1_3genE9ELNS1_11target_archE1100ELNS1_3gpuE3ELNS1_3repE0EEENS1_30default_config_static_selectorELNS0_4arch9wavefront6targetE1EEEvS12_
    .private_segment_fixed_size: 0
    .sgpr_count:     4
    .sgpr_spill_count: 0
    .symbol:         _ZN7rocprim17ROCPRIM_400000_NS6detail17trampoline_kernelINS0_13select_configILj256ELj13ELNS0_17block_load_methodE3ELS4_3ELS4_3ELNS0_20block_scan_algorithmE0ELj4294967295EEENS1_25partition_config_selectorILNS1_17partition_subalgoE4EjNS0_10empty_typeEbEEZZNS1_14partition_implILS8_4ELb0ES6_15HIP_vector_typeIjLj2EENS0_17counting_iteratorIjlEEPS9_SG_NS0_5tupleIJPjSI_NS0_16reverse_iteratorISI_EEEEENSH_IJSG_SG_SG_EEES9_SI_JZNS1_25segmented_radix_sort_implINS0_14default_configELb0EPKhPhPKlPlN2at6native12_GLOBAL__N_18offset_tEEE10hipError_tPvRmT1_PNSt15iterator_traitsIS12_E10value_typeET2_T3_PNS13_IS18_E10value_typeET4_jRbjT5_S1E_jjP12ihipStream_tbEUljE_ZNSN_ISO_Lb0ESQ_SR_ST_SU_SY_EESZ_S10_S11_S12_S16_S17_S18_S1B_S1C_jS1D_jS1E_S1E_jjS1G_bEUljE0_EEESZ_S10_S11_S18_S1C_S1E_T6_T7_T9_mT8_S1G_bDpT10_ENKUlT_T0_E_clISt17integral_constantIbLb1EES1T_IbLb0EEEEDaS1P_S1Q_EUlS1P_E_NS1_11comp_targetILNS1_3genE9ELNS1_11target_archE1100ELNS1_3gpuE3ELNS1_3repE0EEENS1_30default_config_static_selectorELNS0_4arch9wavefront6targetE1EEEvS12_.kd
    .uniform_work_group_size: 1
    .uses_dynamic_stack: false
    .vgpr_count:     0
    .vgpr_spill_count: 0
    .wavefront_size: 64
  - .args:
      - .offset:         0
        .size:           176
        .value_kind:     by_value
    .group_segment_fixed_size: 0
    .kernarg_segment_align: 8
    .kernarg_segment_size: 176
    .language:       OpenCL C
    .language_version:
      - 2
      - 0
    .max_flat_workgroup_size: 256
    .name:           _ZN7rocprim17ROCPRIM_400000_NS6detail17trampoline_kernelINS0_13select_configILj256ELj13ELNS0_17block_load_methodE3ELS4_3ELS4_3ELNS0_20block_scan_algorithmE0ELj4294967295EEENS1_25partition_config_selectorILNS1_17partition_subalgoE4EjNS0_10empty_typeEbEEZZNS1_14partition_implILS8_4ELb0ES6_15HIP_vector_typeIjLj2EENS0_17counting_iteratorIjlEEPS9_SG_NS0_5tupleIJPjSI_NS0_16reverse_iteratorISI_EEEEENSH_IJSG_SG_SG_EEES9_SI_JZNS1_25segmented_radix_sort_implINS0_14default_configELb0EPKhPhPKlPlN2at6native12_GLOBAL__N_18offset_tEEE10hipError_tPvRmT1_PNSt15iterator_traitsIS12_E10value_typeET2_T3_PNS13_IS18_E10value_typeET4_jRbjT5_S1E_jjP12ihipStream_tbEUljE_ZNSN_ISO_Lb0ESQ_SR_ST_SU_SY_EESZ_S10_S11_S12_S16_S17_S18_S1B_S1C_jS1D_jS1E_S1E_jjS1G_bEUljE0_EEESZ_S10_S11_S18_S1C_S1E_T6_T7_T9_mT8_S1G_bDpT10_ENKUlT_T0_E_clISt17integral_constantIbLb1EES1T_IbLb0EEEEDaS1P_S1Q_EUlS1P_E_NS1_11comp_targetILNS1_3genE8ELNS1_11target_archE1030ELNS1_3gpuE2ELNS1_3repE0EEENS1_30default_config_static_selectorELNS0_4arch9wavefront6targetE1EEEvS12_
    .private_segment_fixed_size: 0
    .sgpr_count:     4
    .sgpr_spill_count: 0
    .symbol:         _ZN7rocprim17ROCPRIM_400000_NS6detail17trampoline_kernelINS0_13select_configILj256ELj13ELNS0_17block_load_methodE3ELS4_3ELS4_3ELNS0_20block_scan_algorithmE0ELj4294967295EEENS1_25partition_config_selectorILNS1_17partition_subalgoE4EjNS0_10empty_typeEbEEZZNS1_14partition_implILS8_4ELb0ES6_15HIP_vector_typeIjLj2EENS0_17counting_iteratorIjlEEPS9_SG_NS0_5tupleIJPjSI_NS0_16reverse_iteratorISI_EEEEENSH_IJSG_SG_SG_EEES9_SI_JZNS1_25segmented_radix_sort_implINS0_14default_configELb0EPKhPhPKlPlN2at6native12_GLOBAL__N_18offset_tEEE10hipError_tPvRmT1_PNSt15iterator_traitsIS12_E10value_typeET2_T3_PNS13_IS18_E10value_typeET4_jRbjT5_S1E_jjP12ihipStream_tbEUljE_ZNSN_ISO_Lb0ESQ_SR_ST_SU_SY_EESZ_S10_S11_S12_S16_S17_S18_S1B_S1C_jS1D_jS1E_S1E_jjS1G_bEUljE0_EEESZ_S10_S11_S18_S1C_S1E_T6_T7_T9_mT8_S1G_bDpT10_ENKUlT_T0_E_clISt17integral_constantIbLb1EES1T_IbLb0EEEEDaS1P_S1Q_EUlS1P_E_NS1_11comp_targetILNS1_3genE8ELNS1_11target_archE1030ELNS1_3gpuE2ELNS1_3repE0EEENS1_30default_config_static_selectorELNS0_4arch9wavefront6targetE1EEEvS12_.kd
    .uniform_work_group_size: 1
    .uses_dynamic_stack: false
    .vgpr_count:     0
    .vgpr_spill_count: 0
    .wavefront_size: 64
  - .args:
      - .offset:         0
        .size:           184
        .value_kind:     by_value
    .group_segment_fixed_size: 0
    .kernarg_segment_align: 8
    .kernarg_segment_size: 184
    .language:       OpenCL C
    .language_version:
      - 2
      - 0
    .max_flat_workgroup_size: 256
    .name:           _ZN7rocprim17ROCPRIM_400000_NS6detail17trampoline_kernelINS0_13select_configILj256ELj13ELNS0_17block_load_methodE3ELS4_3ELS4_3ELNS0_20block_scan_algorithmE0ELj4294967295EEENS1_25partition_config_selectorILNS1_17partition_subalgoE4EjNS0_10empty_typeEbEEZZNS1_14partition_implILS8_4ELb0ES6_15HIP_vector_typeIjLj2EENS0_17counting_iteratorIjlEEPS9_SG_NS0_5tupleIJPjSI_NS0_16reverse_iteratorISI_EEEEENSH_IJSG_SG_SG_EEES9_SI_JZNS1_25segmented_radix_sort_implINS0_14default_configELb0EPKhPhPKlPlN2at6native12_GLOBAL__N_18offset_tEEE10hipError_tPvRmT1_PNSt15iterator_traitsIS12_E10value_typeET2_T3_PNS13_IS18_E10value_typeET4_jRbjT5_S1E_jjP12ihipStream_tbEUljE_ZNSN_ISO_Lb0ESQ_SR_ST_SU_SY_EESZ_S10_S11_S12_S16_S17_S18_S1B_S1C_jS1D_jS1E_S1E_jjS1G_bEUljE0_EEESZ_S10_S11_S18_S1C_S1E_T6_T7_T9_mT8_S1G_bDpT10_ENKUlT_T0_E_clISt17integral_constantIbLb0EES1T_IbLb1EEEEDaS1P_S1Q_EUlS1P_E_NS1_11comp_targetILNS1_3genE0ELNS1_11target_archE4294967295ELNS1_3gpuE0ELNS1_3repE0EEENS1_30default_config_static_selectorELNS0_4arch9wavefront6targetE1EEEvS12_
    .private_segment_fixed_size: 0
    .sgpr_count:     4
    .sgpr_spill_count: 0
    .symbol:         _ZN7rocprim17ROCPRIM_400000_NS6detail17trampoline_kernelINS0_13select_configILj256ELj13ELNS0_17block_load_methodE3ELS4_3ELS4_3ELNS0_20block_scan_algorithmE0ELj4294967295EEENS1_25partition_config_selectorILNS1_17partition_subalgoE4EjNS0_10empty_typeEbEEZZNS1_14partition_implILS8_4ELb0ES6_15HIP_vector_typeIjLj2EENS0_17counting_iteratorIjlEEPS9_SG_NS0_5tupleIJPjSI_NS0_16reverse_iteratorISI_EEEEENSH_IJSG_SG_SG_EEES9_SI_JZNS1_25segmented_radix_sort_implINS0_14default_configELb0EPKhPhPKlPlN2at6native12_GLOBAL__N_18offset_tEEE10hipError_tPvRmT1_PNSt15iterator_traitsIS12_E10value_typeET2_T3_PNS13_IS18_E10value_typeET4_jRbjT5_S1E_jjP12ihipStream_tbEUljE_ZNSN_ISO_Lb0ESQ_SR_ST_SU_SY_EESZ_S10_S11_S12_S16_S17_S18_S1B_S1C_jS1D_jS1E_S1E_jjS1G_bEUljE0_EEESZ_S10_S11_S18_S1C_S1E_T6_T7_T9_mT8_S1G_bDpT10_ENKUlT_T0_E_clISt17integral_constantIbLb0EES1T_IbLb1EEEEDaS1P_S1Q_EUlS1P_E_NS1_11comp_targetILNS1_3genE0ELNS1_11target_archE4294967295ELNS1_3gpuE0ELNS1_3repE0EEENS1_30default_config_static_selectorELNS0_4arch9wavefront6targetE1EEEvS12_.kd
    .uniform_work_group_size: 1
    .uses_dynamic_stack: false
    .vgpr_count:     0
    .vgpr_spill_count: 0
    .wavefront_size: 64
  - .args:
      - .offset:         0
        .size:           184
        .value_kind:     by_value
    .group_segment_fixed_size: 0
    .kernarg_segment_align: 8
    .kernarg_segment_size: 184
    .language:       OpenCL C
    .language_version:
      - 2
      - 0
    .max_flat_workgroup_size: 256
    .name:           _ZN7rocprim17ROCPRIM_400000_NS6detail17trampoline_kernelINS0_13select_configILj256ELj13ELNS0_17block_load_methodE3ELS4_3ELS4_3ELNS0_20block_scan_algorithmE0ELj4294967295EEENS1_25partition_config_selectorILNS1_17partition_subalgoE4EjNS0_10empty_typeEbEEZZNS1_14partition_implILS8_4ELb0ES6_15HIP_vector_typeIjLj2EENS0_17counting_iteratorIjlEEPS9_SG_NS0_5tupleIJPjSI_NS0_16reverse_iteratorISI_EEEEENSH_IJSG_SG_SG_EEES9_SI_JZNS1_25segmented_radix_sort_implINS0_14default_configELb0EPKhPhPKlPlN2at6native12_GLOBAL__N_18offset_tEEE10hipError_tPvRmT1_PNSt15iterator_traitsIS12_E10value_typeET2_T3_PNS13_IS18_E10value_typeET4_jRbjT5_S1E_jjP12ihipStream_tbEUljE_ZNSN_ISO_Lb0ESQ_SR_ST_SU_SY_EESZ_S10_S11_S12_S16_S17_S18_S1B_S1C_jS1D_jS1E_S1E_jjS1G_bEUljE0_EEESZ_S10_S11_S18_S1C_S1E_T6_T7_T9_mT8_S1G_bDpT10_ENKUlT_T0_E_clISt17integral_constantIbLb0EES1T_IbLb1EEEEDaS1P_S1Q_EUlS1P_E_NS1_11comp_targetILNS1_3genE5ELNS1_11target_archE942ELNS1_3gpuE9ELNS1_3repE0EEENS1_30default_config_static_selectorELNS0_4arch9wavefront6targetE1EEEvS12_
    .private_segment_fixed_size: 0
    .sgpr_count:     4
    .sgpr_spill_count: 0
    .symbol:         _ZN7rocprim17ROCPRIM_400000_NS6detail17trampoline_kernelINS0_13select_configILj256ELj13ELNS0_17block_load_methodE3ELS4_3ELS4_3ELNS0_20block_scan_algorithmE0ELj4294967295EEENS1_25partition_config_selectorILNS1_17partition_subalgoE4EjNS0_10empty_typeEbEEZZNS1_14partition_implILS8_4ELb0ES6_15HIP_vector_typeIjLj2EENS0_17counting_iteratorIjlEEPS9_SG_NS0_5tupleIJPjSI_NS0_16reverse_iteratorISI_EEEEENSH_IJSG_SG_SG_EEES9_SI_JZNS1_25segmented_radix_sort_implINS0_14default_configELb0EPKhPhPKlPlN2at6native12_GLOBAL__N_18offset_tEEE10hipError_tPvRmT1_PNSt15iterator_traitsIS12_E10value_typeET2_T3_PNS13_IS18_E10value_typeET4_jRbjT5_S1E_jjP12ihipStream_tbEUljE_ZNSN_ISO_Lb0ESQ_SR_ST_SU_SY_EESZ_S10_S11_S12_S16_S17_S18_S1B_S1C_jS1D_jS1E_S1E_jjS1G_bEUljE0_EEESZ_S10_S11_S18_S1C_S1E_T6_T7_T9_mT8_S1G_bDpT10_ENKUlT_T0_E_clISt17integral_constantIbLb0EES1T_IbLb1EEEEDaS1P_S1Q_EUlS1P_E_NS1_11comp_targetILNS1_3genE5ELNS1_11target_archE942ELNS1_3gpuE9ELNS1_3repE0EEENS1_30default_config_static_selectorELNS0_4arch9wavefront6targetE1EEEvS12_.kd
    .uniform_work_group_size: 1
    .uses_dynamic_stack: false
    .vgpr_count:     0
    .vgpr_spill_count: 0
    .wavefront_size: 64
  - .args:
      - .offset:         0
        .size:           184
        .value_kind:     by_value
    .group_segment_fixed_size: 0
    .kernarg_segment_align: 8
    .kernarg_segment_size: 184
    .language:       OpenCL C
    .language_version:
      - 2
      - 0
    .max_flat_workgroup_size: 256
    .name:           _ZN7rocprim17ROCPRIM_400000_NS6detail17trampoline_kernelINS0_13select_configILj256ELj13ELNS0_17block_load_methodE3ELS4_3ELS4_3ELNS0_20block_scan_algorithmE0ELj4294967295EEENS1_25partition_config_selectorILNS1_17partition_subalgoE4EjNS0_10empty_typeEbEEZZNS1_14partition_implILS8_4ELb0ES6_15HIP_vector_typeIjLj2EENS0_17counting_iteratorIjlEEPS9_SG_NS0_5tupleIJPjSI_NS0_16reverse_iteratorISI_EEEEENSH_IJSG_SG_SG_EEES9_SI_JZNS1_25segmented_radix_sort_implINS0_14default_configELb0EPKhPhPKlPlN2at6native12_GLOBAL__N_18offset_tEEE10hipError_tPvRmT1_PNSt15iterator_traitsIS12_E10value_typeET2_T3_PNS13_IS18_E10value_typeET4_jRbjT5_S1E_jjP12ihipStream_tbEUljE_ZNSN_ISO_Lb0ESQ_SR_ST_SU_SY_EESZ_S10_S11_S12_S16_S17_S18_S1B_S1C_jS1D_jS1E_S1E_jjS1G_bEUljE0_EEESZ_S10_S11_S18_S1C_S1E_T6_T7_T9_mT8_S1G_bDpT10_ENKUlT_T0_E_clISt17integral_constantIbLb0EES1T_IbLb1EEEEDaS1P_S1Q_EUlS1P_E_NS1_11comp_targetILNS1_3genE4ELNS1_11target_archE910ELNS1_3gpuE8ELNS1_3repE0EEENS1_30default_config_static_selectorELNS0_4arch9wavefront6targetE1EEEvS12_
    .private_segment_fixed_size: 0
    .sgpr_count:     4
    .sgpr_spill_count: 0
    .symbol:         _ZN7rocprim17ROCPRIM_400000_NS6detail17trampoline_kernelINS0_13select_configILj256ELj13ELNS0_17block_load_methodE3ELS4_3ELS4_3ELNS0_20block_scan_algorithmE0ELj4294967295EEENS1_25partition_config_selectorILNS1_17partition_subalgoE4EjNS0_10empty_typeEbEEZZNS1_14partition_implILS8_4ELb0ES6_15HIP_vector_typeIjLj2EENS0_17counting_iteratorIjlEEPS9_SG_NS0_5tupleIJPjSI_NS0_16reverse_iteratorISI_EEEEENSH_IJSG_SG_SG_EEES9_SI_JZNS1_25segmented_radix_sort_implINS0_14default_configELb0EPKhPhPKlPlN2at6native12_GLOBAL__N_18offset_tEEE10hipError_tPvRmT1_PNSt15iterator_traitsIS12_E10value_typeET2_T3_PNS13_IS18_E10value_typeET4_jRbjT5_S1E_jjP12ihipStream_tbEUljE_ZNSN_ISO_Lb0ESQ_SR_ST_SU_SY_EESZ_S10_S11_S12_S16_S17_S18_S1B_S1C_jS1D_jS1E_S1E_jjS1G_bEUljE0_EEESZ_S10_S11_S18_S1C_S1E_T6_T7_T9_mT8_S1G_bDpT10_ENKUlT_T0_E_clISt17integral_constantIbLb0EES1T_IbLb1EEEEDaS1P_S1Q_EUlS1P_E_NS1_11comp_targetILNS1_3genE4ELNS1_11target_archE910ELNS1_3gpuE8ELNS1_3repE0EEENS1_30default_config_static_selectorELNS0_4arch9wavefront6targetE1EEEvS12_.kd
    .uniform_work_group_size: 1
    .uses_dynamic_stack: false
    .vgpr_count:     0
    .vgpr_spill_count: 0
    .wavefront_size: 64
  - .args:
      - .offset:         0
        .size:           184
        .value_kind:     by_value
    .group_segment_fixed_size: 0
    .kernarg_segment_align: 8
    .kernarg_segment_size: 184
    .language:       OpenCL C
    .language_version:
      - 2
      - 0
    .max_flat_workgroup_size: 256
    .name:           _ZN7rocprim17ROCPRIM_400000_NS6detail17trampoline_kernelINS0_13select_configILj256ELj13ELNS0_17block_load_methodE3ELS4_3ELS4_3ELNS0_20block_scan_algorithmE0ELj4294967295EEENS1_25partition_config_selectorILNS1_17partition_subalgoE4EjNS0_10empty_typeEbEEZZNS1_14partition_implILS8_4ELb0ES6_15HIP_vector_typeIjLj2EENS0_17counting_iteratorIjlEEPS9_SG_NS0_5tupleIJPjSI_NS0_16reverse_iteratorISI_EEEEENSH_IJSG_SG_SG_EEES9_SI_JZNS1_25segmented_radix_sort_implINS0_14default_configELb0EPKhPhPKlPlN2at6native12_GLOBAL__N_18offset_tEEE10hipError_tPvRmT1_PNSt15iterator_traitsIS12_E10value_typeET2_T3_PNS13_IS18_E10value_typeET4_jRbjT5_S1E_jjP12ihipStream_tbEUljE_ZNSN_ISO_Lb0ESQ_SR_ST_SU_SY_EESZ_S10_S11_S12_S16_S17_S18_S1B_S1C_jS1D_jS1E_S1E_jjS1G_bEUljE0_EEESZ_S10_S11_S18_S1C_S1E_T6_T7_T9_mT8_S1G_bDpT10_ENKUlT_T0_E_clISt17integral_constantIbLb0EES1T_IbLb1EEEEDaS1P_S1Q_EUlS1P_E_NS1_11comp_targetILNS1_3genE3ELNS1_11target_archE908ELNS1_3gpuE7ELNS1_3repE0EEENS1_30default_config_static_selectorELNS0_4arch9wavefront6targetE1EEEvS12_
    .private_segment_fixed_size: 0
    .sgpr_count:     4
    .sgpr_spill_count: 0
    .symbol:         _ZN7rocprim17ROCPRIM_400000_NS6detail17trampoline_kernelINS0_13select_configILj256ELj13ELNS0_17block_load_methodE3ELS4_3ELS4_3ELNS0_20block_scan_algorithmE0ELj4294967295EEENS1_25partition_config_selectorILNS1_17partition_subalgoE4EjNS0_10empty_typeEbEEZZNS1_14partition_implILS8_4ELb0ES6_15HIP_vector_typeIjLj2EENS0_17counting_iteratorIjlEEPS9_SG_NS0_5tupleIJPjSI_NS0_16reverse_iteratorISI_EEEEENSH_IJSG_SG_SG_EEES9_SI_JZNS1_25segmented_radix_sort_implINS0_14default_configELb0EPKhPhPKlPlN2at6native12_GLOBAL__N_18offset_tEEE10hipError_tPvRmT1_PNSt15iterator_traitsIS12_E10value_typeET2_T3_PNS13_IS18_E10value_typeET4_jRbjT5_S1E_jjP12ihipStream_tbEUljE_ZNSN_ISO_Lb0ESQ_SR_ST_SU_SY_EESZ_S10_S11_S12_S16_S17_S18_S1B_S1C_jS1D_jS1E_S1E_jjS1G_bEUljE0_EEESZ_S10_S11_S18_S1C_S1E_T6_T7_T9_mT8_S1G_bDpT10_ENKUlT_T0_E_clISt17integral_constantIbLb0EES1T_IbLb1EEEEDaS1P_S1Q_EUlS1P_E_NS1_11comp_targetILNS1_3genE3ELNS1_11target_archE908ELNS1_3gpuE7ELNS1_3repE0EEENS1_30default_config_static_selectorELNS0_4arch9wavefront6targetE1EEEvS12_.kd
    .uniform_work_group_size: 1
    .uses_dynamic_stack: false
    .vgpr_count:     0
    .vgpr_spill_count: 0
    .wavefront_size: 64
  - .args:
      - .offset:         0
        .size:           184
        .value_kind:     by_value
    .group_segment_fixed_size: 13328
    .kernarg_segment_align: 8
    .kernarg_segment_size: 184
    .language:       OpenCL C
    .language_version:
      - 2
      - 0
    .max_flat_workgroup_size: 256
    .name:           _ZN7rocprim17ROCPRIM_400000_NS6detail17trampoline_kernelINS0_13select_configILj256ELj13ELNS0_17block_load_methodE3ELS4_3ELS4_3ELNS0_20block_scan_algorithmE0ELj4294967295EEENS1_25partition_config_selectorILNS1_17partition_subalgoE4EjNS0_10empty_typeEbEEZZNS1_14partition_implILS8_4ELb0ES6_15HIP_vector_typeIjLj2EENS0_17counting_iteratorIjlEEPS9_SG_NS0_5tupleIJPjSI_NS0_16reverse_iteratorISI_EEEEENSH_IJSG_SG_SG_EEES9_SI_JZNS1_25segmented_radix_sort_implINS0_14default_configELb0EPKhPhPKlPlN2at6native12_GLOBAL__N_18offset_tEEE10hipError_tPvRmT1_PNSt15iterator_traitsIS12_E10value_typeET2_T3_PNS13_IS18_E10value_typeET4_jRbjT5_S1E_jjP12ihipStream_tbEUljE_ZNSN_ISO_Lb0ESQ_SR_ST_SU_SY_EESZ_S10_S11_S12_S16_S17_S18_S1B_S1C_jS1D_jS1E_S1E_jjS1G_bEUljE0_EEESZ_S10_S11_S18_S1C_S1E_T6_T7_T9_mT8_S1G_bDpT10_ENKUlT_T0_E_clISt17integral_constantIbLb0EES1T_IbLb1EEEEDaS1P_S1Q_EUlS1P_E_NS1_11comp_targetILNS1_3genE2ELNS1_11target_archE906ELNS1_3gpuE6ELNS1_3repE0EEENS1_30default_config_static_selectorELNS0_4arch9wavefront6targetE1EEEvS12_
    .private_segment_fixed_size: 0
    .sgpr_count:     91
    .sgpr_spill_count: 0
    .symbol:         _ZN7rocprim17ROCPRIM_400000_NS6detail17trampoline_kernelINS0_13select_configILj256ELj13ELNS0_17block_load_methodE3ELS4_3ELS4_3ELNS0_20block_scan_algorithmE0ELj4294967295EEENS1_25partition_config_selectorILNS1_17partition_subalgoE4EjNS0_10empty_typeEbEEZZNS1_14partition_implILS8_4ELb0ES6_15HIP_vector_typeIjLj2EENS0_17counting_iteratorIjlEEPS9_SG_NS0_5tupleIJPjSI_NS0_16reverse_iteratorISI_EEEEENSH_IJSG_SG_SG_EEES9_SI_JZNS1_25segmented_radix_sort_implINS0_14default_configELb0EPKhPhPKlPlN2at6native12_GLOBAL__N_18offset_tEEE10hipError_tPvRmT1_PNSt15iterator_traitsIS12_E10value_typeET2_T3_PNS13_IS18_E10value_typeET4_jRbjT5_S1E_jjP12ihipStream_tbEUljE_ZNSN_ISO_Lb0ESQ_SR_ST_SU_SY_EESZ_S10_S11_S12_S16_S17_S18_S1B_S1C_jS1D_jS1E_S1E_jjS1G_bEUljE0_EEESZ_S10_S11_S18_S1C_S1E_T6_T7_T9_mT8_S1G_bDpT10_ENKUlT_T0_E_clISt17integral_constantIbLb0EES1T_IbLb1EEEEDaS1P_S1Q_EUlS1P_E_NS1_11comp_targetILNS1_3genE2ELNS1_11target_archE906ELNS1_3gpuE6ELNS1_3repE0EEENS1_30default_config_static_selectorELNS0_4arch9wavefront6targetE1EEEvS12_.kd
    .uniform_work_group_size: 1
    .uses_dynamic_stack: false
    .vgpr_count:     91
    .vgpr_spill_count: 0
    .wavefront_size: 64
  - .args:
      - .offset:         0
        .size:           184
        .value_kind:     by_value
    .group_segment_fixed_size: 0
    .kernarg_segment_align: 8
    .kernarg_segment_size: 184
    .language:       OpenCL C
    .language_version:
      - 2
      - 0
    .max_flat_workgroup_size: 256
    .name:           _ZN7rocprim17ROCPRIM_400000_NS6detail17trampoline_kernelINS0_13select_configILj256ELj13ELNS0_17block_load_methodE3ELS4_3ELS4_3ELNS0_20block_scan_algorithmE0ELj4294967295EEENS1_25partition_config_selectorILNS1_17partition_subalgoE4EjNS0_10empty_typeEbEEZZNS1_14partition_implILS8_4ELb0ES6_15HIP_vector_typeIjLj2EENS0_17counting_iteratorIjlEEPS9_SG_NS0_5tupleIJPjSI_NS0_16reverse_iteratorISI_EEEEENSH_IJSG_SG_SG_EEES9_SI_JZNS1_25segmented_radix_sort_implINS0_14default_configELb0EPKhPhPKlPlN2at6native12_GLOBAL__N_18offset_tEEE10hipError_tPvRmT1_PNSt15iterator_traitsIS12_E10value_typeET2_T3_PNS13_IS18_E10value_typeET4_jRbjT5_S1E_jjP12ihipStream_tbEUljE_ZNSN_ISO_Lb0ESQ_SR_ST_SU_SY_EESZ_S10_S11_S12_S16_S17_S18_S1B_S1C_jS1D_jS1E_S1E_jjS1G_bEUljE0_EEESZ_S10_S11_S18_S1C_S1E_T6_T7_T9_mT8_S1G_bDpT10_ENKUlT_T0_E_clISt17integral_constantIbLb0EES1T_IbLb1EEEEDaS1P_S1Q_EUlS1P_E_NS1_11comp_targetILNS1_3genE10ELNS1_11target_archE1200ELNS1_3gpuE4ELNS1_3repE0EEENS1_30default_config_static_selectorELNS0_4arch9wavefront6targetE1EEEvS12_
    .private_segment_fixed_size: 0
    .sgpr_count:     4
    .sgpr_spill_count: 0
    .symbol:         _ZN7rocprim17ROCPRIM_400000_NS6detail17trampoline_kernelINS0_13select_configILj256ELj13ELNS0_17block_load_methodE3ELS4_3ELS4_3ELNS0_20block_scan_algorithmE0ELj4294967295EEENS1_25partition_config_selectorILNS1_17partition_subalgoE4EjNS0_10empty_typeEbEEZZNS1_14partition_implILS8_4ELb0ES6_15HIP_vector_typeIjLj2EENS0_17counting_iteratorIjlEEPS9_SG_NS0_5tupleIJPjSI_NS0_16reverse_iteratorISI_EEEEENSH_IJSG_SG_SG_EEES9_SI_JZNS1_25segmented_radix_sort_implINS0_14default_configELb0EPKhPhPKlPlN2at6native12_GLOBAL__N_18offset_tEEE10hipError_tPvRmT1_PNSt15iterator_traitsIS12_E10value_typeET2_T3_PNS13_IS18_E10value_typeET4_jRbjT5_S1E_jjP12ihipStream_tbEUljE_ZNSN_ISO_Lb0ESQ_SR_ST_SU_SY_EESZ_S10_S11_S12_S16_S17_S18_S1B_S1C_jS1D_jS1E_S1E_jjS1G_bEUljE0_EEESZ_S10_S11_S18_S1C_S1E_T6_T7_T9_mT8_S1G_bDpT10_ENKUlT_T0_E_clISt17integral_constantIbLb0EES1T_IbLb1EEEEDaS1P_S1Q_EUlS1P_E_NS1_11comp_targetILNS1_3genE10ELNS1_11target_archE1200ELNS1_3gpuE4ELNS1_3repE0EEENS1_30default_config_static_selectorELNS0_4arch9wavefront6targetE1EEEvS12_.kd
    .uniform_work_group_size: 1
    .uses_dynamic_stack: false
    .vgpr_count:     0
    .vgpr_spill_count: 0
    .wavefront_size: 64
  - .args:
      - .offset:         0
        .size:           184
        .value_kind:     by_value
    .group_segment_fixed_size: 0
    .kernarg_segment_align: 8
    .kernarg_segment_size: 184
    .language:       OpenCL C
    .language_version:
      - 2
      - 0
    .max_flat_workgroup_size: 256
    .name:           _ZN7rocprim17ROCPRIM_400000_NS6detail17trampoline_kernelINS0_13select_configILj256ELj13ELNS0_17block_load_methodE3ELS4_3ELS4_3ELNS0_20block_scan_algorithmE0ELj4294967295EEENS1_25partition_config_selectorILNS1_17partition_subalgoE4EjNS0_10empty_typeEbEEZZNS1_14partition_implILS8_4ELb0ES6_15HIP_vector_typeIjLj2EENS0_17counting_iteratorIjlEEPS9_SG_NS0_5tupleIJPjSI_NS0_16reverse_iteratorISI_EEEEENSH_IJSG_SG_SG_EEES9_SI_JZNS1_25segmented_radix_sort_implINS0_14default_configELb0EPKhPhPKlPlN2at6native12_GLOBAL__N_18offset_tEEE10hipError_tPvRmT1_PNSt15iterator_traitsIS12_E10value_typeET2_T3_PNS13_IS18_E10value_typeET4_jRbjT5_S1E_jjP12ihipStream_tbEUljE_ZNSN_ISO_Lb0ESQ_SR_ST_SU_SY_EESZ_S10_S11_S12_S16_S17_S18_S1B_S1C_jS1D_jS1E_S1E_jjS1G_bEUljE0_EEESZ_S10_S11_S18_S1C_S1E_T6_T7_T9_mT8_S1G_bDpT10_ENKUlT_T0_E_clISt17integral_constantIbLb0EES1T_IbLb1EEEEDaS1P_S1Q_EUlS1P_E_NS1_11comp_targetILNS1_3genE9ELNS1_11target_archE1100ELNS1_3gpuE3ELNS1_3repE0EEENS1_30default_config_static_selectorELNS0_4arch9wavefront6targetE1EEEvS12_
    .private_segment_fixed_size: 0
    .sgpr_count:     4
    .sgpr_spill_count: 0
    .symbol:         _ZN7rocprim17ROCPRIM_400000_NS6detail17trampoline_kernelINS0_13select_configILj256ELj13ELNS0_17block_load_methodE3ELS4_3ELS4_3ELNS0_20block_scan_algorithmE0ELj4294967295EEENS1_25partition_config_selectorILNS1_17partition_subalgoE4EjNS0_10empty_typeEbEEZZNS1_14partition_implILS8_4ELb0ES6_15HIP_vector_typeIjLj2EENS0_17counting_iteratorIjlEEPS9_SG_NS0_5tupleIJPjSI_NS0_16reverse_iteratorISI_EEEEENSH_IJSG_SG_SG_EEES9_SI_JZNS1_25segmented_radix_sort_implINS0_14default_configELb0EPKhPhPKlPlN2at6native12_GLOBAL__N_18offset_tEEE10hipError_tPvRmT1_PNSt15iterator_traitsIS12_E10value_typeET2_T3_PNS13_IS18_E10value_typeET4_jRbjT5_S1E_jjP12ihipStream_tbEUljE_ZNSN_ISO_Lb0ESQ_SR_ST_SU_SY_EESZ_S10_S11_S12_S16_S17_S18_S1B_S1C_jS1D_jS1E_S1E_jjS1G_bEUljE0_EEESZ_S10_S11_S18_S1C_S1E_T6_T7_T9_mT8_S1G_bDpT10_ENKUlT_T0_E_clISt17integral_constantIbLb0EES1T_IbLb1EEEEDaS1P_S1Q_EUlS1P_E_NS1_11comp_targetILNS1_3genE9ELNS1_11target_archE1100ELNS1_3gpuE3ELNS1_3repE0EEENS1_30default_config_static_selectorELNS0_4arch9wavefront6targetE1EEEvS12_.kd
    .uniform_work_group_size: 1
    .uses_dynamic_stack: false
    .vgpr_count:     0
    .vgpr_spill_count: 0
    .wavefront_size: 64
  - .args:
      - .offset:         0
        .size:           184
        .value_kind:     by_value
    .group_segment_fixed_size: 0
    .kernarg_segment_align: 8
    .kernarg_segment_size: 184
    .language:       OpenCL C
    .language_version:
      - 2
      - 0
    .max_flat_workgroup_size: 256
    .name:           _ZN7rocprim17ROCPRIM_400000_NS6detail17trampoline_kernelINS0_13select_configILj256ELj13ELNS0_17block_load_methodE3ELS4_3ELS4_3ELNS0_20block_scan_algorithmE0ELj4294967295EEENS1_25partition_config_selectorILNS1_17partition_subalgoE4EjNS0_10empty_typeEbEEZZNS1_14partition_implILS8_4ELb0ES6_15HIP_vector_typeIjLj2EENS0_17counting_iteratorIjlEEPS9_SG_NS0_5tupleIJPjSI_NS0_16reverse_iteratorISI_EEEEENSH_IJSG_SG_SG_EEES9_SI_JZNS1_25segmented_radix_sort_implINS0_14default_configELb0EPKhPhPKlPlN2at6native12_GLOBAL__N_18offset_tEEE10hipError_tPvRmT1_PNSt15iterator_traitsIS12_E10value_typeET2_T3_PNS13_IS18_E10value_typeET4_jRbjT5_S1E_jjP12ihipStream_tbEUljE_ZNSN_ISO_Lb0ESQ_SR_ST_SU_SY_EESZ_S10_S11_S12_S16_S17_S18_S1B_S1C_jS1D_jS1E_S1E_jjS1G_bEUljE0_EEESZ_S10_S11_S18_S1C_S1E_T6_T7_T9_mT8_S1G_bDpT10_ENKUlT_T0_E_clISt17integral_constantIbLb0EES1T_IbLb1EEEEDaS1P_S1Q_EUlS1P_E_NS1_11comp_targetILNS1_3genE8ELNS1_11target_archE1030ELNS1_3gpuE2ELNS1_3repE0EEENS1_30default_config_static_selectorELNS0_4arch9wavefront6targetE1EEEvS12_
    .private_segment_fixed_size: 0
    .sgpr_count:     4
    .sgpr_spill_count: 0
    .symbol:         _ZN7rocprim17ROCPRIM_400000_NS6detail17trampoline_kernelINS0_13select_configILj256ELj13ELNS0_17block_load_methodE3ELS4_3ELS4_3ELNS0_20block_scan_algorithmE0ELj4294967295EEENS1_25partition_config_selectorILNS1_17partition_subalgoE4EjNS0_10empty_typeEbEEZZNS1_14partition_implILS8_4ELb0ES6_15HIP_vector_typeIjLj2EENS0_17counting_iteratorIjlEEPS9_SG_NS0_5tupleIJPjSI_NS0_16reverse_iteratorISI_EEEEENSH_IJSG_SG_SG_EEES9_SI_JZNS1_25segmented_radix_sort_implINS0_14default_configELb0EPKhPhPKlPlN2at6native12_GLOBAL__N_18offset_tEEE10hipError_tPvRmT1_PNSt15iterator_traitsIS12_E10value_typeET2_T3_PNS13_IS18_E10value_typeET4_jRbjT5_S1E_jjP12ihipStream_tbEUljE_ZNSN_ISO_Lb0ESQ_SR_ST_SU_SY_EESZ_S10_S11_S12_S16_S17_S18_S1B_S1C_jS1D_jS1E_S1E_jjS1G_bEUljE0_EEESZ_S10_S11_S18_S1C_S1E_T6_T7_T9_mT8_S1G_bDpT10_ENKUlT_T0_E_clISt17integral_constantIbLb0EES1T_IbLb1EEEEDaS1P_S1Q_EUlS1P_E_NS1_11comp_targetILNS1_3genE8ELNS1_11target_archE1030ELNS1_3gpuE2ELNS1_3repE0EEENS1_30default_config_static_selectorELNS0_4arch9wavefront6targetE1EEEvS12_.kd
    .uniform_work_group_size: 1
    .uses_dynamic_stack: false
    .vgpr_count:     0
    .vgpr_spill_count: 0
    .wavefront_size: 64
  - .args:
      - .offset:         0
        .size:           144
        .value_kind:     by_value
    .group_segment_fixed_size: 0
    .kernarg_segment_align: 8
    .kernarg_segment_size: 144
    .language:       OpenCL C
    .language_version:
      - 2
      - 0
    .max_flat_workgroup_size: 256
    .name:           _ZN7rocprim17ROCPRIM_400000_NS6detail17trampoline_kernelINS0_13select_configILj256ELj13ELNS0_17block_load_methodE3ELS4_3ELS4_3ELNS0_20block_scan_algorithmE0ELj4294967295EEENS1_25partition_config_selectorILNS1_17partition_subalgoE3EjNS0_10empty_typeEbEEZZNS1_14partition_implILS8_3ELb0ES6_jNS0_17counting_iteratorIjlEEPS9_SE_NS0_5tupleIJPjSE_EEENSF_IJSE_SE_EEES9_SG_JZNS1_25segmented_radix_sort_implINS0_14default_configELb0EPKhPhPKlPlN2at6native12_GLOBAL__N_18offset_tEEE10hipError_tPvRmT1_PNSt15iterator_traitsISY_E10value_typeET2_T3_PNSZ_IS14_E10value_typeET4_jRbjT5_S1A_jjP12ihipStream_tbEUljE_EEESV_SW_SX_S14_S18_S1A_T6_T7_T9_mT8_S1C_bDpT10_ENKUlT_T0_E_clISt17integral_constantIbLb0EES1P_EEDaS1K_S1L_EUlS1K_E_NS1_11comp_targetILNS1_3genE0ELNS1_11target_archE4294967295ELNS1_3gpuE0ELNS1_3repE0EEENS1_30default_config_static_selectorELNS0_4arch9wavefront6targetE1EEEvSY_
    .private_segment_fixed_size: 0
    .sgpr_count:     4
    .sgpr_spill_count: 0
    .symbol:         _ZN7rocprim17ROCPRIM_400000_NS6detail17trampoline_kernelINS0_13select_configILj256ELj13ELNS0_17block_load_methodE3ELS4_3ELS4_3ELNS0_20block_scan_algorithmE0ELj4294967295EEENS1_25partition_config_selectorILNS1_17partition_subalgoE3EjNS0_10empty_typeEbEEZZNS1_14partition_implILS8_3ELb0ES6_jNS0_17counting_iteratorIjlEEPS9_SE_NS0_5tupleIJPjSE_EEENSF_IJSE_SE_EEES9_SG_JZNS1_25segmented_radix_sort_implINS0_14default_configELb0EPKhPhPKlPlN2at6native12_GLOBAL__N_18offset_tEEE10hipError_tPvRmT1_PNSt15iterator_traitsISY_E10value_typeET2_T3_PNSZ_IS14_E10value_typeET4_jRbjT5_S1A_jjP12ihipStream_tbEUljE_EEESV_SW_SX_S14_S18_S1A_T6_T7_T9_mT8_S1C_bDpT10_ENKUlT_T0_E_clISt17integral_constantIbLb0EES1P_EEDaS1K_S1L_EUlS1K_E_NS1_11comp_targetILNS1_3genE0ELNS1_11target_archE4294967295ELNS1_3gpuE0ELNS1_3repE0EEENS1_30default_config_static_selectorELNS0_4arch9wavefront6targetE1EEEvSY_.kd
    .uniform_work_group_size: 1
    .uses_dynamic_stack: false
    .vgpr_count:     0
    .vgpr_spill_count: 0
    .wavefront_size: 64
  - .args:
      - .offset:         0
        .size:           144
        .value_kind:     by_value
    .group_segment_fixed_size: 0
    .kernarg_segment_align: 8
    .kernarg_segment_size: 144
    .language:       OpenCL C
    .language_version:
      - 2
      - 0
    .max_flat_workgroup_size: 256
    .name:           _ZN7rocprim17ROCPRIM_400000_NS6detail17trampoline_kernelINS0_13select_configILj256ELj13ELNS0_17block_load_methodE3ELS4_3ELS4_3ELNS0_20block_scan_algorithmE0ELj4294967295EEENS1_25partition_config_selectorILNS1_17partition_subalgoE3EjNS0_10empty_typeEbEEZZNS1_14partition_implILS8_3ELb0ES6_jNS0_17counting_iteratorIjlEEPS9_SE_NS0_5tupleIJPjSE_EEENSF_IJSE_SE_EEES9_SG_JZNS1_25segmented_radix_sort_implINS0_14default_configELb0EPKhPhPKlPlN2at6native12_GLOBAL__N_18offset_tEEE10hipError_tPvRmT1_PNSt15iterator_traitsISY_E10value_typeET2_T3_PNSZ_IS14_E10value_typeET4_jRbjT5_S1A_jjP12ihipStream_tbEUljE_EEESV_SW_SX_S14_S18_S1A_T6_T7_T9_mT8_S1C_bDpT10_ENKUlT_T0_E_clISt17integral_constantIbLb0EES1P_EEDaS1K_S1L_EUlS1K_E_NS1_11comp_targetILNS1_3genE5ELNS1_11target_archE942ELNS1_3gpuE9ELNS1_3repE0EEENS1_30default_config_static_selectorELNS0_4arch9wavefront6targetE1EEEvSY_
    .private_segment_fixed_size: 0
    .sgpr_count:     4
    .sgpr_spill_count: 0
    .symbol:         _ZN7rocprim17ROCPRIM_400000_NS6detail17trampoline_kernelINS0_13select_configILj256ELj13ELNS0_17block_load_methodE3ELS4_3ELS4_3ELNS0_20block_scan_algorithmE0ELj4294967295EEENS1_25partition_config_selectorILNS1_17partition_subalgoE3EjNS0_10empty_typeEbEEZZNS1_14partition_implILS8_3ELb0ES6_jNS0_17counting_iteratorIjlEEPS9_SE_NS0_5tupleIJPjSE_EEENSF_IJSE_SE_EEES9_SG_JZNS1_25segmented_radix_sort_implINS0_14default_configELb0EPKhPhPKlPlN2at6native12_GLOBAL__N_18offset_tEEE10hipError_tPvRmT1_PNSt15iterator_traitsISY_E10value_typeET2_T3_PNSZ_IS14_E10value_typeET4_jRbjT5_S1A_jjP12ihipStream_tbEUljE_EEESV_SW_SX_S14_S18_S1A_T6_T7_T9_mT8_S1C_bDpT10_ENKUlT_T0_E_clISt17integral_constantIbLb0EES1P_EEDaS1K_S1L_EUlS1K_E_NS1_11comp_targetILNS1_3genE5ELNS1_11target_archE942ELNS1_3gpuE9ELNS1_3repE0EEENS1_30default_config_static_selectorELNS0_4arch9wavefront6targetE1EEEvSY_.kd
    .uniform_work_group_size: 1
    .uses_dynamic_stack: false
    .vgpr_count:     0
    .vgpr_spill_count: 0
    .wavefront_size: 64
  - .args:
      - .offset:         0
        .size:           144
        .value_kind:     by_value
    .group_segment_fixed_size: 0
    .kernarg_segment_align: 8
    .kernarg_segment_size: 144
    .language:       OpenCL C
    .language_version:
      - 2
      - 0
    .max_flat_workgroup_size: 256
    .name:           _ZN7rocprim17ROCPRIM_400000_NS6detail17trampoline_kernelINS0_13select_configILj256ELj13ELNS0_17block_load_methodE3ELS4_3ELS4_3ELNS0_20block_scan_algorithmE0ELj4294967295EEENS1_25partition_config_selectorILNS1_17partition_subalgoE3EjNS0_10empty_typeEbEEZZNS1_14partition_implILS8_3ELb0ES6_jNS0_17counting_iteratorIjlEEPS9_SE_NS0_5tupleIJPjSE_EEENSF_IJSE_SE_EEES9_SG_JZNS1_25segmented_radix_sort_implINS0_14default_configELb0EPKhPhPKlPlN2at6native12_GLOBAL__N_18offset_tEEE10hipError_tPvRmT1_PNSt15iterator_traitsISY_E10value_typeET2_T3_PNSZ_IS14_E10value_typeET4_jRbjT5_S1A_jjP12ihipStream_tbEUljE_EEESV_SW_SX_S14_S18_S1A_T6_T7_T9_mT8_S1C_bDpT10_ENKUlT_T0_E_clISt17integral_constantIbLb0EES1P_EEDaS1K_S1L_EUlS1K_E_NS1_11comp_targetILNS1_3genE4ELNS1_11target_archE910ELNS1_3gpuE8ELNS1_3repE0EEENS1_30default_config_static_selectorELNS0_4arch9wavefront6targetE1EEEvSY_
    .private_segment_fixed_size: 0
    .sgpr_count:     4
    .sgpr_spill_count: 0
    .symbol:         _ZN7rocprim17ROCPRIM_400000_NS6detail17trampoline_kernelINS0_13select_configILj256ELj13ELNS0_17block_load_methodE3ELS4_3ELS4_3ELNS0_20block_scan_algorithmE0ELj4294967295EEENS1_25partition_config_selectorILNS1_17partition_subalgoE3EjNS0_10empty_typeEbEEZZNS1_14partition_implILS8_3ELb0ES6_jNS0_17counting_iteratorIjlEEPS9_SE_NS0_5tupleIJPjSE_EEENSF_IJSE_SE_EEES9_SG_JZNS1_25segmented_radix_sort_implINS0_14default_configELb0EPKhPhPKlPlN2at6native12_GLOBAL__N_18offset_tEEE10hipError_tPvRmT1_PNSt15iterator_traitsISY_E10value_typeET2_T3_PNSZ_IS14_E10value_typeET4_jRbjT5_S1A_jjP12ihipStream_tbEUljE_EEESV_SW_SX_S14_S18_S1A_T6_T7_T9_mT8_S1C_bDpT10_ENKUlT_T0_E_clISt17integral_constantIbLb0EES1P_EEDaS1K_S1L_EUlS1K_E_NS1_11comp_targetILNS1_3genE4ELNS1_11target_archE910ELNS1_3gpuE8ELNS1_3repE0EEENS1_30default_config_static_selectorELNS0_4arch9wavefront6targetE1EEEvSY_.kd
    .uniform_work_group_size: 1
    .uses_dynamic_stack: false
    .vgpr_count:     0
    .vgpr_spill_count: 0
    .wavefront_size: 64
  - .args:
      - .offset:         0
        .size:           144
        .value_kind:     by_value
    .group_segment_fixed_size: 0
    .kernarg_segment_align: 8
    .kernarg_segment_size: 144
    .language:       OpenCL C
    .language_version:
      - 2
      - 0
    .max_flat_workgroup_size: 256
    .name:           _ZN7rocprim17ROCPRIM_400000_NS6detail17trampoline_kernelINS0_13select_configILj256ELj13ELNS0_17block_load_methodE3ELS4_3ELS4_3ELNS0_20block_scan_algorithmE0ELj4294967295EEENS1_25partition_config_selectorILNS1_17partition_subalgoE3EjNS0_10empty_typeEbEEZZNS1_14partition_implILS8_3ELb0ES6_jNS0_17counting_iteratorIjlEEPS9_SE_NS0_5tupleIJPjSE_EEENSF_IJSE_SE_EEES9_SG_JZNS1_25segmented_radix_sort_implINS0_14default_configELb0EPKhPhPKlPlN2at6native12_GLOBAL__N_18offset_tEEE10hipError_tPvRmT1_PNSt15iterator_traitsISY_E10value_typeET2_T3_PNSZ_IS14_E10value_typeET4_jRbjT5_S1A_jjP12ihipStream_tbEUljE_EEESV_SW_SX_S14_S18_S1A_T6_T7_T9_mT8_S1C_bDpT10_ENKUlT_T0_E_clISt17integral_constantIbLb0EES1P_EEDaS1K_S1L_EUlS1K_E_NS1_11comp_targetILNS1_3genE3ELNS1_11target_archE908ELNS1_3gpuE7ELNS1_3repE0EEENS1_30default_config_static_selectorELNS0_4arch9wavefront6targetE1EEEvSY_
    .private_segment_fixed_size: 0
    .sgpr_count:     4
    .sgpr_spill_count: 0
    .symbol:         _ZN7rocprim17ROCPRIM_400000_NS6detail17trampoline_kernelINS0_13select_configILj256ELj13ELNS0_17block_load_methodE3ELS4_3ELS4_3ELNS0_20block_scan_algorithmE0ELj4294967295EEENS1_25partition_config_selectorILNS1_17partition_subalgoE3EjNS0_10empty_typeEbEEZZNS1_14partition_implILS8_3ELb0ES6_jNS0_17counting_iteratorIjlEEPS9_SE_NS0_5tupleIJPjSE_EEENSF_IJSE_SE_EEES9_SG_JZNS1_25segmented_radix_sort_implINS0_14default_configELb0EPKhPhPKlPlN2at6native12_GLOBAL__N_18offset_tEEE10hipError_tPvRmT1_PNSt15iterator_traitsISY_E10value_typeET2_T3_PNSZ_IS14_E10value_typeET4_jRbjT5_S1A_jjP12ihipStream_tbEUljE_EEESV_SW_SX_S14_S18_S1A_T6_T7_T9_mT8_S1C_bDpT10_ENKUlT_T0_E_clISt17integral_constantIbLb0EES1P_EEDaS1K_S1L_EUlS1K_E_NS1_11comp_targetILNS1_3genE3ELNS1_11target_archE908ELNS1_3gpuE7ELNS1_3repE0EEENS1_30default_config_static_selectorELNS0_4arch9wavefront6targetE1EEEvSY_.kd
    .uniform_work_group_size: 1
    .uses_dynamic_stack: false
    .vgpr_count:     0
    .vgpr_spill_count: 0
    .wavefront_size: 64
  - .args:
      - .offset:         0
        .size:           144
        .value_kind:     by_value
    .group_segment_fixed_size: 13320
    .kernarg_segment_align: 8
    .kernarg_segment_size: 144
    .language:       OpenCL C
    .language_version:
      - 2
      - 0
    .max_flat_workgroup_size: 256
    .name:           _ZN7rocprim17ROCPRIM_400000_NS6detail17trampoline_kernelINS0_13select_configILj256ELj13ELNS0_17block_load_methodE3ELS4_3ELS4_3ELNS0_20block_scan_algorithmE0ELj4294967295EEENS1_25partition_config_selectorILNS1_17partition_subalgoE3EjNS0_10empty_typeEbEEZZNS1_14partition_implILS8_3ELb0ES6_jNS0_17counting_iteratorIjlEEPS9_SE_NS0_5tupleIJPjSE_EEENSF_IJSE_SE_EEES9_SG_JZNS1_25segmented_radix_sort_implINS0_14default_configELb0EPKhPhPKlPlN2at6native12_GLOBAL__N_18offset_tEEE10hipError_tPvRmT1_PNSt15iterator_traitsISY_E10value_typeET2_T3_PNSZ_IS14_E10value_typeET4_jRbjT5_S1A_jjP12ihipStream_tbEUljE_EEESV_SW_SX_S14_S18_S1A_T6_T7_T9_mT8_S1C_bDpT10_ENKUlT_T0_E_clISt17integral_constantIbLb0EES1P_EEDaS1K_S1L_EUlS1K_E_NS1_11comp_targetILNS1_3genE2ELNS1_11target_archE906ELNS1_3gpuE6ELNS1_3repE0EEENS1_30default_config_static_selectorELNS0_4arch9wavefront6targetE1EEEvSY_
    .private_segment_fixed_size: 0
    .sgpr_count:     52
    .sgpr_spill_count: 0
    .symbol:         _ZN7rocprim17ROCPRIM_400000_NS6detail17trampoline_kernelINS0_13select_configILj256ELj13ELNS0_17block_load_methodE3ELS4_3ELS4_3ELNS0_20block_scan_algorithmE0ELj4294967295EEENS1_25partition_config_selectorILNS1_17partition_subalgoE3EjNS0_10empty_typeEbEEZZNS1_14partition_implILS8_3ELb0ES6_jNS0_17counting_iteratorIjlEEPS9_SE_NS0_5tupleIJPjSE_EEENSF_IJSE_SE_EEES9_SG_JZNS1_25segmented_radix_sort_implINS0_14default_configELb0EPKhPhPKlPlN2at6native12_GLOBAL__N_18offset_tEEE10hipError_tPvRmT1_PNSt15iterator_traitsISY_E10value_typeET2_T3_PNSZ_IS14_E10value_typeET4_jRbjT5_S1A_jjP12ihipStream_tbEUljE_EEESV_SW_SX_S14_S18_S1A_T6_T7_T9_mT8_S1C_bDpT10_ENKUlT_T0_E_clISt17integral_constantIbLb0EES1P_EEDaS1K_S1L_EUlS1K_E_NS1_11comp_targetILNS1_3genE2ELNS1_11target_archE906ELNS1_3gpuE6ELNS1_3repE0EEENS1_30default_config_static_selectorELNS0_4arch9wavefront6targetE1EEEvSY_.kd
    .uniform_work_group_size: 1
    .uses_dynamic_stack: false
    .vgpr_count:     69
    .vgpr_spill_count: 0
    .wavefront_size: 64
  - .args:
      - .offset:         0
        .size:           144
        .value_kind:     by_value
    .group_segment_fixed_size: 0
    .kernarg_segment_align: 8
    .kernarg_segment_size: 144
    .language:       OpenCL C
    .language_version:
      - 2
      - 0
    .max_flat_workgroup_size: 256
    .name:           _ZN7rocprim17ROCPRIM_400000_NS6detail17trampoline_kernelINS0_13select_configILj256ELj13ELNS0_17block_load_methodE3ELS4_3ELS4_3ELNS0_20block_scan_algorithmE0ELj4294967295EEENS1_25partition_config_selectorILNS1_17partition_subalgoE3EjNS0_10empty_typeEbEEZZNS1_14partition_implILS8_3ELb0ES6_jNS0_17counting_iteratorIjlEEPS9_SE_NS0_5tupleIJPjSE_EEENSF_IJSE_SE_EEES9_SG_JZNS1_25segmented_radix_sort_implINS0_14default_configELb0EPKhPhPKlPlN2at6native12_GLOBAL__N_18offset_tEEE10hipError_tPvRmT1_PNSt15iterator_traitsISY_E10value_typeET2_T3_PNSZ_IS14_E10value_typeET4_jRbjT5_S1A_jjP12ihipStream_tbEUljE_EEESV_SW_SX_S14_S18_S1A_T6_T7_T9_mT8_S1C_bDpT10_ENKUlT_T0_E_clISt17integral_constantIbLb0EES1P_EEDaS1K_S1L_EUlS1K_E_NS1_11comp_targetILNS1_3genE10ELNS1_11target_archE1200ELNS1_3gpuE4ELNS1_3repE0EEENS1_30default_config_static_selectorELNS0_4arch9wavefront6targetE1EEEvSY_
    .private_segment_fixed_size: 0
    .sgpr_count:     4
    .sgpr_spill_count: 0
    .symbol:         _ZN7rocprim17ROCPRIM_400000_NS6detail17trampoline_kernelINS0_13select_configILj256ELj13ELNS0_17block_load_methodE3ELS4_3ELS4_3ELNS0_20block_scan_algorithmE0ELj4294967295EEENS1_25partition_config_selectorILNS1_17partition_subalgoE3EjNS0_10empty_typeEbEEZZNS1_14partition_implILS8_3ELb0ES6_jNS0_17counting_iteratorIjlEEPS9_SE_NS0_5tupleIJPjSE_EEENSF_IJSE_SE_EEES9_SG_JZNS1_25segmented_radix_sort_implINS0_14default_configELb0EPKhPhPKlPlN2at6native12_GLOBAL__N_18offset_tEEE10hipError_tPvRmT1_PNSt15iterator_traitsISY_E10value_typeET2_T3_PNSZ_IS14_E10value_typeET4_jRbjT5_S1A_jjP12ihipStream_tbEUljE_EEESV_SW_SX_S14_S18_S1A_T6_T7_T9_mT8_S1C_bDpT10_ENKUlT_T0_E_clISt17integral_constantIbLb0EES1P_EEDaS1K_S1L_EUlS1K_E_NS1_11comp_targetILNS1_3genE10ELNS1_11target_archE1200ELNS1_3gpuE4ELNS1_3repE0EEENS1_30default_config_static_selectorELNS0_4arch9wavefront6targetE1EEEvSY_.kd
    .uniform_work_group_size: 1
    .uses_dynamic_stack: false
    .vgpr_count:     0
    .vgpr_spill_count: 0
    .wavefront_size: 64
  - .args:
      - .offset:         0
        .size:           144
        .value_kind:     by_value
    .group_segment_fixed_size: 0
    .kernarg_segment_align: 8
    .kernarg_segment_size: 144
    .language:       OpenCL C
    .language_version:
      - 2
      - 0
    .max_flat_workgroup_size: 256
    .name:           _ZN7rocprim17ROCPRIM_400000_NS6detail17trampoline_kernelINS0_13select_configILj256ELj13ELNS0_17block_load_methodE3ELS4_3ELS4_3ELNS0_20block_scan_algorithmE0ELj4294967295EEENS1_25partition_config_selectorILNS1_17partition_subalgoE3EjNS0_10empty_typeEbEEZZNS1_14partition_implILS8_3ELb0ES6_jNS0_17counting_iteratorIjlEEPS9_SE_NS0_5tupleIJPjSE_EEENSF_IJSE_SE_EEES9_SG_JZNS1_25segmented_radix_sort_implINS0_14default_configELb0EPKhPhPKlPlN2at6native12_GLOBAL__N_18offset_tEEE10hipError_tPvRmT1_PNSt15iterator_traitsISY_E10value_typeET2_T3_PNSZ_IS14_E10value_typeET4_jRbjT5_S1A_jjP12ihipStream_tbEUljE_EEESV_SW_SX_S14_S18_S1A_T6_T7_T9_mT8_S1C_bDpT10_ENKUlT_T0_E_clISt17integral_constantIbLb0EES1P_EEDaS1K_S1L_EUlS1K_E_NS1_11comp_targetILNS1_3genE9ELNS1_11target_archE1100ELNS1_3gpuE3ELNS1_3repE0EEENS1_30default_config_static_selectorELNS0_4arch9wavefront6targetE1EEEvSY_
    .private_segment_fixed_size: 0
    .sgpr_count:     4
    .sgpr_spill_count: 0
    .symbol:         _ZN7rocprim17ROCPRIM_400000_NS6detail17trampoline_kernelINS0_13select_configILj256ELj13ELNS0_17block_load_methodE3ELS4_3ELS4_3ELNS0_20block_scan_algorithmE0ELj4294967295EEENS1_25partition_config_selectorILNS1_17partition_subalgoE3EjNS0_10empty_typeEbEEZZNS1_14partition_implILS8_3ELb0ES6_jNS0_17counting_iteratorIjlEEPS9_SE_NS0_5tupleIJPjSE_EEENSF_IJSE_SE_EEES9_SG_JZNS1_25segmented_radix_sort_implINS0_14default_configELb0EPKhPhPKlPlN2at6native12_GLOBAL__N_18offset_tEEE10hipError_tPvRmT1_PNSt15iterator_traitsISY_E10value_typeET2_T3_PNSZ_IS14_E10value_typeET4_jRbjT5_S1A_jjP12ihipStream_tbEUljE_EEESV_SW_SX_S14_S18_S1A_T6_T7_T9_mT8_S1C_bDpT10_ENKUlT_T0_E_clISt17integral_constantIbLb0EES1P_EEDaS1K_S1L_EUlS1K_E_NS1_11comp_targetILNS1_3genE9ELNS1_11target_archE1100ELNS1_3gpuE3ELNS1_3repE0EEENS1_30default_config_static_selectorELNS0_4arch9wavefront6targetE1EEEvSY_.kd
    .uniform_work_group_size: 1
    .uses_dynamic_stack: false
    .vgpr_count:     0
    .vgpr_spill_count: 0
    .wavefront_size: 64
  - .args:
      - .offset:         0
        .size:           144
        .value_kind:     by_value
    .group_segment_fixed_size: 0
    .kernarg_segment_align: 8
    .kernarg_segment_size: 144
    .language:       OpenCL C
    .language_version:
      - 2
      - 0
    .max_flat_workgroup_size: 256
    .name:           _ZN7rocprim17ROCPRIM_400000_NS6detail17trampoline_kernelINS0_13select_configILj256ELj13ELNS0_17block_load_methodE3ELS4_3ELS4_3ELNS0_20block_scan_algorithmE0ELj4294967295EEENS1_25partition_config_selectorILNS1_17partition_subalgoE3EjNS0_10empty_typeEbEEZZNS1_14partition_implILS8_3ELb0ES6_jNS0_17counting_iteratorIjlEEPS9_SE_NS0_5tupleIJPjSE_EEENSF_IJSE_SE_EEES9_SG_JZNS1_25segmented_radix_sort_implINS0_14default_configELb0EPKhPhPKlPlN2at6native12_GLOBAL__N_18offset_tEEE10hipError_tPvRmT1_PNSt15iterator_traitsISY_E10value_typeET2_T3_PNSZ_IS14_E10value_typeET4_jRbjT5_S1A_jjP12ihipStream_tbEUljE_EEESV_SW_SX_S14_S18_S1A_T6_T7_T9_mT8_S1C_bDpT10_ENKUlT_T0_E_clISt17integral_constantIbLb0EES1P_EEDaS1K_S1L_EUlS1K_E_NS1_11comp_targetILNS1_3genE8ELNS1_11target_archE1030ELNS1_3gpuE2ELNS1_3repE0EEENS1_30default_config_static_selectorELNS0_4arch9wavefront6targetE1EEEvSY_
    .private_segment_fixed_size: 0
    .sgpr_count:     4
    .sgpr_spill_count: 0
    .symbol:         _ZN7rocprim17ROCPRIM_400000_NS6detail17trampoline_kernelINS0_13select_configILj256ELj13ELNS0_17block_load_methodE3ELS4_3ELS4_3ELNS0_20block_scan_algorithmE0ELj4294967295EEENS1_25partition_config_selectorILNS1_17partition_subalgoE3EjNS0_10empty_typeEbEEZZNS1_14partition_implILS8_3ELb0ES6_jNS0_17counting_iteratorIjlEEPS9_SE_NS0_5tupleIJPjSE_EEENSF_IJSE_SE_EEES9_SG_JZNS1_25segmented_radix_sort_implINS0_14default_configELb0EPKhPhPKlPlN2at6native12_GLOBAL__N_18offset_tEEE10hipError_tPvRmT1_PNSt15iterator_traitsISY_E10value_typeET2_T3_PNSZ_IS14_E10value_typeET4_jRbjT5_S1A_jjP12ihipStream_tbEUljE_EEESV_SW_SX_S14_S18_S1A_T6_T7_T9_mT8_S1C_bDpT10_ENKUlT_T0_E_clISt17integral_constantIbLb0EES1P_EEDaS1K_S1L_EUlS1K_E_NS1_11comp_targetILNS1_3genE8ELNS1_11target_archE1030ELNS1_3gpuE2ELNS1_3repE0EEENS1_30default_config_static_selectorELNS0_4arch9wavefront6targetE1EEEvSY_.kd
    .uniform_work_group_size: 1
    .uses_dynamic_stack: false
    .vgpr_count:     0
    .vgpr_spill_count: 0
    .wavefront_size: 64
  - .args:
      - .offset:         0
        .size:           152
        .value_kind:     by_value
    .group_segment_fixed_size: 0
    .kernarg_segment_align: 8
    .kernarg_segment_size: 152
    .language:       OpenCL C
    .language_version:
      - 2
      - 0
    .max_flat_workgroup_size: 256
    .name:           _ZN7rocprim17ROCPRIM_400000_NS6detail17trampoline_kernelINS0_13select_configILj256ELj13ELNS0_17block_load_methodE3ELS4_3ELS4_3ELNS0_20block_scan_algorithmE0ELj4294967295EEENS1_25partition_config_selectorILNS1_17partition_subalgoE3EjNS0_10empty_typeEbEEZZNS1_14partition_implILS8_3ELb0ES6_jNS0_17counting_iteratorIjlEEPS9_SE_NS0_5tupleIJPjSE_EEENSF_IJSE_SE_EEES9_SG_JZNS1_25segmented_radix_sort_implINS0_14default_configELb0EPKhPhPKlPlN2at6native12_GLOBAL__N_18offset_tEEE10hipError_tPvRmT1_PNSt15iterator_traitsISY_E10value_typeET2_T3_PNSZ_IS14_E10value_typeET4_jRbjT5_S1A_jjP12ihipStream_tbEUljE_EEESV_SW_SX_S14_S18_S1A_T6_T7_T9_mT8_S1C_bDpT10_ENKUlT_T0_E_clISt17integral_constantIbLb1EES1P_EEDaS1K_S1L_EUlS1K_E_NS1_11comp_targetILNS1_3genE0ELNS1_11target_archE4294967295ELNS1_3gpuE0ELNS1_3repE0EEENS1_30default_config_static_selectorELNS0_4arch9wavefront6targetE1EEEvSY_
    .private_segment_fixed_size: 0
    .sgpr_count:     4
    .sgpr_spill_count: 0
    .symbol:         _ZN7rocprim17ROCPRIM_400000_NS6detail17trampoline_kernelINS0_13select_configILj256ELj13ELNS0_17block_load_methodE3ELS4_3ELS4_3ELNS0_20block_scan_algorithmE0ELj4294967295EEENS1_25partition_config_selectorILNS1_17partition_subalgoE3EjNS0_10empty_typeEbEEZZNS1_14partition_implILS8_3ELb0ES6_jNS0_17counting_iteratorIjlEEPS9_SE_NS0_5tupleIJPjSE_EEENSF_IJSE_SE_EEES9_SG_JZNS1_25segmented_radix_sort_implINS0_14default_configELb0EPKhPhPKlPlN2at6native12_GLOBAL__N_18offset_tEEE10hipError_tPvRmT1_PNSt15iterator_traitsISY_E10value_typeET2_T3_PNSZ_IS14_E10value_typeET4_jRbjT5_S1A_jjP12ihipStream_tbEUljE_EEESV_SW_SX_S14_S18_S1A_T6_T7_T9_mT8_S1C_bDpT10_ENKUlT_T0_E_clISt17integral_constantIbLb1EES1P_EEDaS1K_S1L_EUlS1K_E_NS1_11comp_targetILNS1_3genE0ELNS1_11target_archE4294967295ELNS1_3gpuE0ELNS1_3repE0EEENS1_30default_config_static_selectorELNS0_4arch9wavefront6targetE1EEEvSY_.kd
    .uniform_work_group_size: 1
    .uses_dynamic_stack: false
    .vgpr_count:     0
    .vgpr_spill_count: 0
    .wavefront_size: 64
  - .args:
      - .offset:         0
        .size:           152
        .value_kind:     by_value
    .group_segment_fixed_size: 0
    .kernarg_segment_align: 8
    .kernarg_segment_size: 152
    .language:       OpenCL C
    .language_version:
      - 2
      - 0
    .max_flat_workgroup_size: 256
    .name:           _ZN7rocprim17ROCPRIM_400000_NS6detail17trampoline_kernelINS0_13select_configILj256ELj13ELNS0_17block_load_methodE3ELS4_3ELS4_3ELNS0_20block_scan_algorithmE0ELj4294967295EEENS1_25partition_config_selectorILNS1_17partition_subalgoE3EjNS0_10empty_typeEbEEZZNS1_14partition_implILS8_3ELb0ES6_jNS0_17counting_iteratorIjlEEPS9_SE_NS0_5tupleIJPjSE_EEENSF_IJSE_SE_EEES9_SG_JZNS1_25segmented_radix_sort_implINS0_14default_configELb0EPKhPhPKlPlN2at6native12_GLOBAL__N_18offset_tEEE10hipError_tPvRmT1_PNSt15iterator_traitsISY_E10value_typeET2_T3_PNSZ_IS14_E10value_typeET4_jRbjT5_S1A_jjP12ihipStream_tbEUljE_EEESV_SW_SX_S14_S18_S1A_T6_T7_T9_mT8_S1C_bDpT10_ENKUlT_T0_E_clISt17integral_constantIbLb1EES1P_EEDaS1K_S1L_EUlS1K_E_NS1_11comp_targetILNS1_3genE5ELNS1_11target_archE942ELNS1_3gpuE9ELNS1_3repE0EEENS1_30default_config_static_selectorELNS0_4arch9wavefront6targetE1EEEvSY_
    .private_segment_fixed_size: 0
    .sgpr_count:     4
    .sgpr_spill_count: 0
    .symbol:         _ZN7rocprim17ROCPRIM_400000_NS6detail17trampoline_kernelINS0_13select_configILj256ELj13ELNS0_17block_load_methodE3ELS4_3ELS4_3ELNS0_20block_scan_algorithmE0ELj4294967295EEENS1_25partition_config_selectorILNS1_17partition_subalgoE3EjNS0_10empty_typeEbEEZZNS1_14partition_implILS8_3ELb0ES6_jNS0_17counting_iteratorIjlEEPS9_SE_NS0_5tupleIJPjSE_EEENSF_IJSE_SE_EEES9_SG_JZNS1_25segmented_radix_sort_implINS0_14default_configELb0EPKhPhPKlPlN2at6native12_GLOBAL__N_18offset_tEEE10hipError_tPvRmT1_PNSt15iterator_traitsISY_E10value_typeET2_T3_PNSZ_IS14_E10value_typeET4_jRbjT5_S1A_jjP12ihipStream_tbEUljE_EEESV_SW_SX_S14_S18_S1A_T6_T7_T9_mT8_S1C_bDpT10_ENKUlT_T0_E_clISt17integral_constantIbLb1EES1P_EEDaS1K_S1L_EUlS1K_E_NS1_11comp_targetILNS1_3genE5ELNS1_11target_archE942ELNS1_3gpuE9ELNS1_3repE0EEENS1_30default_config_static_selectorELNS0_4arch9wavefront6targetE1EEEvSY_.kd
    .uniform_work_group_size: 1
    .uses_dynamic_stack: false
    .vgpr_count:     0
    .vgpr_spill_count: 0
    .wavefront_size: 64
  - .args:
      - .offset:         0
        .size:           152
        .value_kind:     by_value
    .group_segment_fixed_size: 0
    .kernarg_segment_align: 8
    .kernarg_segment_size: 152
    .language:       OpenCL C
    .language_version:
      - 2
      - 0
    .max_flat_workgroup_size: 256
    .name:           _ZN7rocprim17ROCPRIM_400000_NS6detail17trampoline_kernelINS0_13select_configILj256ELj13ELNS0_17block_load_methodE3ELS4_3ELS4_3ELNS0_20block_scan_algorithmE0ELj4294967295EEENS1_25partition_config_selectorILNS1_17partition_subalgoE3EjNS0_10empty_typeEbEEZZNS1_14partition_implILS8_3ELb0ES6_jNS0_17counting_iteratorIjlEEPS9_SE_NS0_5tupleIJPjSE_EEENSF_IJSE_SE_EEES9_SG_JZNS1_25segmented_radix_sort_implINS0_14default_configELb0EPKhPhPKlPlN2at6native12_GLOBAL__N_18offset_tEEE10hipError_tPvRmT1_PNSt15iterator_traitsISY_E10value_typeET2_T3_PNSZ_IS14_E10value_typeET4_jRbjT5_S1A_jjP12ihipStream_tbEUljE_EEESV_SW_SX_S14_S18_S1A_T6_T7_T9_mT8_S1C_bDpT10_ENKUlT_T0_E_clISt17integral_constantIbLb1EES1P_EEDaS1K_S1L_EUlS1K_E_NS1_11comp_targetILNS1_3genE4ELNS1_11target_archE910ELNS1_3gpuE8ELNS1_3repE0EEENS1_30default_config_static_selectorELNS0_4arch9wavefront6targetE1EEEvSY_
    .private_segment_fixed_size: 0
    .sgpr_count:     4
    .sgpr_spill_count: 0
    .symbol:         _ZN7rocprim17ROCPRIM_400000_NS6detail17trampoline_kernelINS0_13select_configILj256ELj13ELNS0_17block_load_methodE3ELS4_3ELS4_3ELNS0_20block_scan_algorithmE0ELj4294967295EEENS1_25partition_config_selectorILNS1_17partition_subalgoE3EjNS0_10empty_typeEbEEZZNS1_14partition_implILS8_3ELb0ES6_jNS0_17counting_iteratorIjlEEPS9_SE_NS0_5tupleIJPjSE_EEENSF_IJSE_SE_EEES9_SG_JZNS1_25segmented_radix_sort_implINS0_14default_configELb0EPKhPhPKlPlN2at6native12_GLOBAL__N_18offset_tEEE10hipError_tPvRmT1_PNSt15iterator_traitsISY_E10value_typeET2_T3_PNSZ_IS14_E10value_typeET4_jRbjT5_S1A_jjP12ihipStream_tbEUljE_EEESV_SW_SX_S14_S18_S1A_T6_T7_T9_mT8_S1C_bDpT10_ENKUlT_T0_E_clISt17integral_constantIbLb1EES1P_EEDaS1K_S1L_EUlS1K_E_NS1_11comp_targetILNS1_3genE4ELNS1_11target_archE910ELNS1_3gpuE8ELNS1_3repE0EEENS1_30default_config_static_selectorELNS0_4arch9wavefront6targetE1EEEvSY_.kd
    .uniform_work_group_size: 1
    .uses_dynamic_stack: false
    .vgpr_count:     0
    .vgpr_spill_count: 0
    .wavefront_size: 64
  - .args:
      - .offset:         0
        .size:           152
        .value_kind:     by_value
    .group_segment_fixed_size: 0
    .kernarg_segment_align: 8
    .kernarg_segment_size: 152
    .language:       OpenCL C
    .language_version:
      - 2
      - 0
    .max_flat_workgroup_size: 256
    .name:           _ZN7rocprim17ROCPRIM_400000_NS6detail17trampoline_kernelINS0_13select_configILj256ELj13ELNS0_17block_load_methodE3ELS4_3ELS4_3ELNS0_20block_scan_algorithmE0ELj4294967295EEENS1_25partition_config_selectorILNS1_17partition_subalgoE3EjNS0_10empty_typeEbEEZZNS1_14partition_implILS8_3ELb0ES6_jNS0_17counting_iteratorIjlEEPS9_SE_NS0_5tupleIJPjSE_EEENSF_IJSE_SE_EEES9_SG_JZNS1_25segmented_radix_sort_implINS0_14default_configELb0EPKhPhPKlPlN2at6native12_GLOBAL__N_18offset_tEEE10hipError_tPvRmT1_PNSt15iterator_traitsISY_E10value_typeET2_T3_PNSZ_IS14_E10value_typeET4_jRbjT5_S1A_jjP12ihipStream_tbEUljE_EEESV_SW_SX_S14_S18_S1A_T6_T7_T9_mT8_S1C_bDpT10_ENKUlT_T0_E_clISt17integral_constantIbLb1EES1P_EEDaS1K_S1L_EUlS1K_E_NS1_11comp_targetILNS1_3genE3ELNS1_11target_archE908ELNS1_3gpuE7ELNS1_3repE0EEENS1_30default_config_static_selectorELNS0_4arch9wavefront6targetE1EEEvSY_
    .private_segment_fixed_size: 0
    .sgpr_count:     4
    .sgpr_spill_count: 0
    .symbol:         _ZN7rocprim17ROCPRIM_400000_NS6detail17trampoline_kernelINS0_13select_configILj256ELj13ELNS0_17block_load_methodE3ELS4_3ELS4_3ELNS0_20block_scan_algorithmE0ELj4294967295EEENS1_25partition_config_selectorILNS1_17partition_subalgoE3EjNS0_10empty_typeEbEEZZNS1_14partition_implILS8_3ELb0ES6_jNS0_17counting_iteratorIjlEEPS9_SE_NS0_5tupleIJPjSE_EEENSF_IJSE_SE_EEES9_SG_JZNS1_25segmented_radix_sort_implINS0_14default_configELb0EPKhPhPKlPlN2at6native12_GLOBAL__N_18offset_tEEE10hipError_tPvRmT1_PNSt15iterator_traitsISY_E10value_typeET2_T3_PNSZ_IS14_E10value_typeET4_jRbjT5_S1A_jjP12ihipStream_tbEUljE_EEESV_SW_SX_S14_S18_S1A_T6_T7_T9_mT8_S1C_bDpT10_ENKUlT_T0_E_clISt17integral_constantIbLb1EES1P_EEDaS1K_S1L_EUlS1K_E_NS1_11comp_targetILNS1_3genE3ELNS1_11target_archE908ELNS1_3gpuE7ELNS1_3repE0EEENS1_30default_config_static_selectorELNS0_4arch9wavefront6targetE1EEEvSY_.kd
    .uniform_work_group_size: 1
    .uses_dynamic_stack: false
    .vgpr_count:     0
    .vgpr_spill_count: 0
    .wavefront_size: 64
  - .args:
      - .offset:         0
        .size:           152
        .value_kind:     by_value
    .group_segment_fixed_size: 0
    .kernarg_segment_align: 8
    .kernarg_segment_size: 152
    .language:       OpenCL C
    .language_version:
      - 2
      - 0
    .max_flat_workgroup_size: 256
    .name:           _ZN7rocprim17ROCPRIM_400000_NS6detail17trampoline_kernelINS0_13select_configILj256ELj13ELNS0_17block_load_methodE3ELS4_3ELS4_3ELNS0_20block_scan_algorithmE0ELj4294967295EEENS1_25partition_config_selectorILNS1_17partition_subalgoE3EjNS0_10empty_typeEbEEZZNS1_14partition_implILS8_3ELb0ES6_jNS0_17counting_iteratorIjlEEPS9_SE_NS0_5tupleIJPjSE_EEENSF_IJSE_SE_EEES9_SG_JZNS1_25segmented_radix_sort_implINS0_14default_configELb0EPKhPhPKlPlN2at6native12_GLOBAL__N_18offset_tEEE10hipError_tPvRmT1_PNSt15iterator_traitsISY_E10value_typeET2_T3_PNSZ_IS14_E10value_typeET4_jRbjT5_S1A_jjP12ihipStream_tbEUljE_EEESV_SW_SX_S14_S18_S1A_T6_T7_T9_mT8_S1C_bDpT10_ENKUlT_T0_E_clISt17integral_constantIbLb1EES1P_EEDaS1K_S1L_EUlS1K_E_NS1_11comp_targetILNS1_3genE2ELNS1_11target_archE906ELNS1_3gpuE6ELNS1_3repE0EEENS1_30default_config_static_selectorELNS0_4arch9wavefront6targetE1EEEvSY_
    .private_segment_fixed_size: 0
    .sgpr_count:     4
    .sgpr_spill_count: 0
    .symbol:         _ZN7rocprim17ROCPRIM_400000_NS6detail17trampoline_kernelINS0_13select_configILj256ELj13ELNS0_17block_load_methodE3ELS4_3ELS4_3ELNS0_20block_scan_algorithmE0ELj4294967295EEENS1_25partition_config_selectorILNS1_17partition_subalgoE3EjNS0_10empty_typeEbEEZZNS1_14partition_implILS8_3ELb0ES6_jNS0_17counting_iteratorIjlEEPS9_SE_NS0_5tupleIJPjSE_EEENSF_IJSE_SE_EEES9_SG_JZNS1_25segmented_radix_sort_implINS0_14default_configELb0EPKhPhPKlPlN2at6native12_GLOBAL__N_18offset_tEEE10hipError_tPvRmT1_PNSt15iterator_traitsISY_E10value_typeET2_T3_PNSZ_IS14_E10value_typeET4_jRbjT5_S1A_jjP12ihipStream_tbEUljE_EEESV_SW_SX_S14_S18_S1A_T6_T7_T9_mT8_S1C_bDpT10_ENKUlT_T0_E_clISt17integral_constantIbLb1EES1P_EEDaS1K_S1L_EUlS1K_E_NS1_11comp_targetILNS1_3genE2ELNS1_11target_archE906ELNS1_3gpuE6ELNS1_3repE0EEENS1_30default_config_static_selectorELNS0_4arch9wavefront6targetE1EEEvSY_.kd
    .uniform_work_group_size: 1
    .uses_dynamic_stack: false
    .vgpr_count:     0
    .vgpr_spill_count: 0
    .wavefront_size: 64
  - .args:
      - .offset:         0
        .size:           152
        .value_kind:     by_value
    .group_segment_fixed_size: 0
    .kernarg_segment_align: 8
    .kernarg_segment_size: 152
    .language:       OpenCL C
    .language_version:
      - 2
      - 0
    .max_flat_workgroup_size: 256
    .name:           _ZN7rocprim17ROCPRIM_400000_NS6detail17trampoline_kernelINS0_13select_configILj256ELj13ELNS0_17block_load_methodE3ELS4_3ELS4_3ELNS0_20block_scan_algorithmE0ELj4294967295EEENS1_25partition_config_selectorILNS1_17partition_subalgoE3EjNS0_10empty_typeEbEEZZNS1_14partition_implILS8_3ELb0ES6_jNS0_17counting_iteratorIjlEEPS9_SE_NS0_5tupleIJPjSE_EEENSF_IJSE_SE_EEES9_SG_JZNS1_25segmented_radix_sort_implINS0_14default_configELb0EPKhPhPKlPlN2at6native12_GLOBAL__N_18offset_tEEE10hipError_tPvRmT1_PNSt15iterator_traitsISY_E10value_typeET2_T3_PNSZ_IS14_E10value_typeET4_jRbjT5_S1A_jjP12ihipStream_tbEUljE_EEESV_SW_SX_S14_S18_S1A_T6_T7_T9_mT8_S1C_bDpT10_ENKUlT_T0_E_clISt17integral_constantIbLb1EES1P_EEDaS1K_S1L_EUlS1K_E_NS1_11comp_targetILNS1_3genE10ELNS1_11target_archE1200ELNS1_3gpuE4ELNS1_3repE0EEENS1_30default_config_static_selectorELNS0_4arch9wavefront6targetE1EEEvSY_
    .private_segment_fixed_size: 0
    .sgpr_count:     4
    .sgpr_spill_count: 0
    .symbol:         _ZN7rocprim17ROCPRIM_400000_NS6detail17trampoline_kernelINS0_13select_configILj256ELj13ELNS0_17block_load_methodE3ELS4_3ELS4_3ELNS0_20block_scan_algorithmE0ELj4294967295EEENS1_25partition_config_selectorILNS1_17partition_subalgoE3EjNS0_10empty_typeEbEEZZNS1_14partition_implILS8_3ELb0ES6_jNS0_17counting_iteratorIjlEEPS9_SE_NS0_5tupleIJPjSE_EEENSF_IJSE_SE_EEES9_SG_JZNS1_25segmented_radix_sort_implINS0_14default_configELb0EPKhPhPKlPlN2at6native12_GLOBAL__N_18offset_tEEE10hipError_tPvRmT1_PNSt15iterator_traitsISY_E10value_typeET2_T3_PNSZ_IS14_E10value_typeET4_jRbjT5_S1A_jjP12ihipStream_tbEUljE_EEESV_SW_SX_S14_S18_S1A_T6_T7_T9_mT8_S1C_bDpT10_ENKUlT_T0_E_clISt17integral_constantIbLb1EES1P_EEDaS1K_S1L_EUlS1K_E_NS1_11comp_targetILNS1_3genE10ELNS1_11target_archE1200ELNS1_3gpuE4ELNS1_3repE0EEENS1_30default_config_static_selectorELNS0_4arch9wavefront6targetE1EEEvSY_.kd
    .uniform_work_group_size: 1
    .uses_dynamic_stack: false
    .vgpr_count:     0
    .vgpr_spill_count: 0
    .wavefront_size: 64
  - .args:
      - .offset:         0
        .size:           152
        .value_kind:     by_value
    .group_segment_fixed_size: 0
    .kernarg_segment_align: 8
    .kernarg_segment_size: 152
    .language:       OpenCL C
    .language_version:
      - 2
      - 0
    .max_flat_workgroup_size: 256
    .name:           _ZN7rocprim17ROCPRIM_400000_NS6detail17trampoline_kernelINS0_13select_configILj256ELj13ELNS0_17block_load_methodE3ELS4_3ELS4_3ELNS0_20block_scan_algorithmE0ELj4294967295EEENS1_25partition_config_selectorILNS1_17partition_subalgoE3EjNS0_10empty_typeEbEEZZNS1_14partition_implILS8_3ELb0ES6_jNS0_17counting_iteratorIjlEEPS9_SE_NS0_5tupleIJPjSE_EEENSF_IJSE_SE_EEES9_SG_JZNS1_25segmented_radix_sort_implINS0_14default_configELb0EPKhPhPKlPlN2at6native12_GLOBAL__N_18offset_tEEE10hipError_tPvRmT1_PNSt15iterator_traitsISY_E10value_typeET2_T3_PNSZ_IS14_E10value_typeET4_jRbjT5_S1A_jjP12ihipStream_tbEUljE_EEESV_SW_SX_S14_S18_S1A_T6_T7_T9_mT8_S1C_bDpT10_ENKUlT_T0_E_clISt17integral_constantIbLb1EES1P_EEDaS1K_S1L_EUlS1K_E_NS1_11comp_targetILNS1_3genE9ELNS1_11target_archE1100ELNS1_3gpuE3ELNS1_3repE0EEENS1_30default_config_static_selectorELNS0_4arch9wavefront6targetE1EEEvSY_
    .private_segment_fixed_size: 0
    .sgpr_count:     4
    .sgpr_spill_count: 0
    .symbol:         _ZN7rocprim17ROCPRIM_400000_NS6detail17trampoline_kernelINS0_13select_configILj256ELj13ELNS0_17block_load_methodE3ELS4_3ELS4_3ELNS0_20block_scan_algorithmE0ELj4294967295EEENS1_25partition_config_selectorILNS1_17partition_subalgoE3EjNS0_10empty_typeEbEEZZNS1_14partition_implILS8_3ELb0ES6_jNS0_17counting_iteratorIjlEEPS9_SE_NS0_5tupleIJPjSE_EEENSF_IJSE_SE_EEES9_SG_JZNS1_25segmented_radix_sort_implINS0_14default_configELb0EPKhPhPKlPlN2at6native12_GLOBAL__N_18offset_tEEE10hipError_tPvRmT1_PNSt15iterator_traitsISY_E10value_typeET2_T3_PNSZ_IS14_E10value_typeET4_jRbjT5_S1A_jjP12ihipStream_tbEUljE_EEESV_SW_SX_S14_S18_S1A_T6_T7_T9_mT8_S1C_bDpT10_ENKUlT_T0_E_clISt17integral_constantIbLb1EES1P_EEDaS1K_S1L_EUlS1K_E_NS1_11comp_targetILNS1_3genE9ELNS1_11target_archE1100ELNS1_3gpuE3ELNS1_3repE0EEENS1_30default_config_static_selectorELNS0_4arch9wavefront6targetE1EEEvSY_.kd
    .uniform_work_group_size: 1
    .uses_dynamic_stack: false
    .vgpr_count:     0
    .vgpr_spill_count: 0
    .wavefront_size: 64
  - .args:
      - .offset:         0
        .size:           152
        .value_kind:     by_value
    .group_segment_fixed_size: 0
    .kernarg_segment_align: 8
    .kernarg_segment_size: 152
    .language:       OpenCL C
    .language_version:
      - 2
      - 0
    .max_flat_workgroup_size: 256
    .name:           _ZN7rocprim17ROCPRIM_400000_NS6detail17trampoline_kernelINS0_13select_configILj256ELj13ELNS0_17block_load_methodE3ELS4_3ELS4_3ELNS0_20block_scan_algorithmE0ELj4294967295EEENS1_25partition_config_selectorILNS1_17partition_subalgoE3EjNS0_10empty_typeEbEEZZNS1_14partition_implILS8_3ELb0ES6_jNS0_17counting_iteratorIjlEEPS9_SE_NS0_5tupleIJPjSE_EEENSF_IJSE_SE_EEES9_SG_JZNS1_25segmented_radix_sort_implINS0_14default_configELb0EPKhPhPKlPlN2at6native12_GLOBAL__N_18offset_tEEE10hipError_tPvRmT1_PNSt15iterator_traitsISY_E10value_typeET2_T3_PNSZ_IS14_E10value_typeET4_jRbjT5_S1A_jjP12ihipStream_tbEUljE_EEESV_SW_SX_S14_S18_S1A_T6_T7_T9_mT8_S1C_bDpT10_ENKUlT_T0_E_clISt17integral_constantIbLb1EES1P_EEDaS1K_S1L_EUlS1K_E_NS1_11comp_targetILNS1_3genE8ELNS1_11target_archE1030ELNS1_3gpuE2ELNS1_3repE0EEENS1_30default_config_static_selectorELNS0_4arch9wavefront6targetE1EEEvSY_
    .private_segment_fixed_size: 0
    .sgpr_count:     4
    .sgpr_spill_count: 0
    .symbol:         _ZN7rocprim17ROCPRIM_400000_NS6detail17trampoline_kernelINS0_13select_configILj256ELj13ELNS0_17block_load_methodE3ELS4_3ELS4_3ELNS0_20block_scan_algorithmE0ELj4294967295EEENS1_25partition_config_selectorILNS1_17partition_subalgoE3EjNS0_10empty_typeEbEEZZNS1_14partition_implILS8_3ELb0ES6_jNS0_17counting_iteratorIjlEEPS9_SE_NS0_5tupleIJPjSE_EEENSF_IJSE_SE_EEES9_SG_JZNS1_25segmented_radix_sort_implINS0_14default_configELb0EPKhPhPKlPlN2at6native12_GLOBAL__N_18offset_tEEE10hipError_tPvRmT1_PNSt15iterator_traitsISY_E10value_typeET2_T3_PNSZ_IS14_E10value_typeET4_jRbjT5_S1A_jjP12ihipStream_tbEUljE_EEESV_SW_SX_S14_S18_S1A_T6_T7_T9_mT8_S1C_bDpT10_ENKUlT_T0_E_clISt17integral_constantIbLb1EES1P_EEDaS1K_S1L_EUlS1K_E_NS1_11comp_targetILNS1_3genE8ELNS1_11target_archE1030ELNS1_3gpuE2ELNS1_3repE0EEENS1_30default_config_static_selectorELNS0_4arch9wavefront6targetE1EEEvSY_.kd
    .uniform_work_group_size: 1
    .uses_dynamic_stack: false
    .vgpr_count:     0
    .vgpr_spill_count: 0
    .wavefront_size: 64
  - .args:
      - .offset:         0
        .size:           144
        .value_kind:     by_value
    .group_segment_fixed_size: 0
    .kernarg_segment_align: 8
    .kernarg_segment_size: 144
    .language:       OpenCL C
    .language_version:
      - 2
      - 0
    .max_flat_workgroup_size: 256
    .name:           _ZN7rocprim17ROCPRIM_400000_NS6detail17trampoline_kernelINS0_13select_configILj256ELj13ELNS0_17block_load_methodE3ELS4_3ELS4_3ELNS0_20block_scan_algorithmE0ELj4294967295EEENS1_25partition_config_selectorILNS1_17partition_subalgoE3EjNS0_10empty_typeEbEEZZNS1_14partition_implILS8_3ELb0ES6_jNS0_17counting_iteratorIjlEEPS9_SE_NS0_5tupleIJPjSE_EEENSF_IJSE_SE_EEES9_SG_JZNS1_25segmented_radix_sort_implINS0_14default_configELb0EPKhPhPKlPlN2at6native12_GLOBAL__N_18offset_tEEE10hipError_tPvRmT1_PNSt15iterator_traitsISY_E10value_typeET2_T3_PNSZ_IS14_E10value_typeET4_jRbjT5_S1A_jjP12ihipStream_tbEUljE_EEESV_SW_SX_S14_S18_S1A_T6_T7_T9_mT8_S1C_bDpT10_ENKUlT_T0_E_clISt17integral_constantIbLb1EES1O_IbLb0EEEEDaS1K_S1L_EUlS1K_E_NS1_11comp_targetILNS1_3genE0ELNS1_11target_archE4294967295ELNS1_3gpuE0ELNS1_3repE0EEENS1_30default_config_static_selectorELNS0_4arch9wavefront6targetE1EEEvSY_
    .private_segment_fixed_size: 0
    .sgpr_count:     4
    .sgpr_spill_count: 0
    .symbol:         _ZN7rocprim17ROCPRIM_400000_NS6detail17trampoline_kernelINS0_13select_configILj256ELj13ELNS0_17block_load_methodE3ELS4_3ELS4_3ELNS0_20block_scan_algorithmE0ELj4294967295EEENS1_25partition_config_selectorILNS1_17partition_subalgoE3EjNS0_10empty_typeEbEEZZNS1_14partition_implILS8_3ELb0ES6_jNS0_17counting_iteratorIjlEEPS9_SE_NS0_5tupleIJPjSE_EEENSF_IJSE_SE_EEES9_SG_JZNS1_25segmented_radix_sort_implINS0_14default_configELb0EPKhPhPKlPlN2at6native12_GLOBAL__N_18offset_tEEE10hipError_tPvRmT1_PNSt15iterator_traitsISY_E10value_typeET2_T3_PNSZ_IS14_E10value_typeET4_jRbjT5_S1A_jjP12ihipStream_tbEUljE_EEESV_SW_SX_S14_S18_S1A_T6_T7_T9_mT8_S1C_bDpT10_ENKUlT_T0_E_clISt17integral_constantIbLb1EES1O_IbLb0EEEEDaS1K_S1L_EUlS1K_E_NS1_11comp_targetILNS1_3genE0ELNS1_11target_archE4294967295ELNS1_3gpuE0ELNS1_3repE0EEENS1_30default_config_static_selectorELNS0_4arch9wavefront6targetE1EEEvSY_.kd
    .uniform_work_group_size: 1
    .uses_dynamic_stack: false
    .vgpr_count:     0
    .vgpr_spill_count: 0
    .wavefront_size: 64
  - .args:
      - .offset:         0
        .size:           144
        .value_kind:     by_value
    .group_segment_fixed_size: 0
    .kernarg_segment_align: 8
    .kernarg_segment_size: 144
    .language:       OpenCL C
    .language_version:
      - 2
      - 0
    .max_flat_workgroup_size: 256
    .name:           _ZN7rocprim17ROCPRIM_400000_NS6detail17trampoline_kernelINS0_13select_configILj256ELj13ELNS0_17block_load_methodE3ELS4_3ELS4_3ELNS0_20block_scan_algorithmE0ELj4294967295EEENS1_25partition_config_selectorILNS1_17partition_subalgoE3EjNS0_10empty_typeEbEEZZNS1_14partition_implILS8_3ELb0ES6_jNS0_17counting_iteratorIjlEEPS9_SE_NS0_5tupleIJPjSE_EEENSF_IJSE_SE_EEES9_SG_JZNS1_25segmented_radix_sort_implINS0_14default_configELb0EPKhPhPKlPlN2at6native12_GLOBAL__N_18offset_tEEE10hipError_tPvRmT1_PNSt15iterator_traitsISY_E10value_typeET2_T3_PNSZ_IS14_E10value_typeET4_jRbjT5_S1A_jjP12ihipStream_tbEUljE_EEESV_SW_SX_S14_S18_S1A_T6_T7_T9_mT8_S1C_bDpT10_ENKUlT_T0_E_clISt17integral_constantIbLb1EES1O_IbLb0EEEEDaS1K_S1L_EUlS1K_E_NS1_11comp_targetILNS1_3genE5ELNS1_11target_archE942ELNS1_3gpuE9ELNS1_3repE0EEENS1_30default_config_static_selectorELNS0_4arch9wavefront6targetE1EEEvSY_
    .private_segment_fixed_size: 0
    .sgpr_count:     4
    .sgpr_spill_count: 0
    .symbol:         _ZN7rocprim17ROCPRIM_400000_NS6detail17trampoline_kernelINS0_13select_configILj256ELj13ELNS0_17block_load_methodE3ELS4_3ELS4_3ELNS0_20block_scan_algorithmE0ELj4294967295EEENS1_25partition_config_selectorILNS1_17partition_subalgoE3EjNS0_10empty_typeEbEEZZNS1_14partition_implILS8_3ELb0ES6_jNS0_17counting_iteratorIjlEEPS9_SE_NS0_5tupleIJPjSE_EEENSF_IJSE_SE_EEES9_SG_JZNS1_25segmented_radix_sort_implINS0_14default_configELb0EPKhPhPKlPlN2at6native12_GLOBAL__N_18offset_tEEE10hipError_tPvRmT1_PNSt15iterator_traitsISY_E10value_typeET2_T3_PNSZ_IS14_E10value_typeET4_jRbjT5_S1A_jjP12ihipStream_tbEUljE_EEESV_SW_SX_S14_S18_S1A_T6_T7_T9_mT8_S1C_bDpT10_ENKUlT_T0_E_clISt17integral_constantIbLb1EES1O_IbLb0EEEEDaS1K_S1L_EUlS1K_E_NS1_11comp_targetILNS1_3genE5ELNS1_11target_archE942ELNS1_3gpuE9ELNS1_3repE0EEENS1_30default_config_static_selectorELNS0_4arch9wavefront6targetE1EEEvSY_.kd
    .uniform_work_group_size: 1
    .uses_dynamic_stack: false
    .vgpr_count:     0
    .vgpr_spill_count: 0
    .wavefront_size: 64
  - .args:
      - .offset:         0
        .size:           144
        .value_kind:     by_value
    .group_segment_fixed_size: 0
    .kernarg_segment_align: 8
    .kernarg_segment_size: 144
    .language:       OpenCL C
    .language_version:
      - 2
      - 0
    .max_flat_workgroup_size: 256
    .name:           _ZN7rocprim17ROCPRIM_400000_NS6detail17trampoline_kernelINS0_13select_configILj256ELj13ELNS0_17block_load_methodE3ELS4_3ELS4_3ELNS0_20block_scan_algorithmE0ELj4294967295EEENS1_25partition_config_selectorILNS1_17partition_subalgoE3EjNS0_10empty_typeEbEEZZNS1_14partition_implILS8_3ELb0ES6_jNS0_17counting_iteratorIjlEEPS9_SE_NS0_5tupleIJPjSE_EEENSF_IJSE_SE_EEES9_SG_JZNS1_25segmented_radix_sort_implINS0_14default_configELb0EPKhPhPKlPlN2at6native12_GLOBAL__N_18offset_tEEE10hipError_tPvRmT1_PNSt15iterator_traitsISY_E10value_typeET2_T3_PNSZ_IS14_E10value_typeET4_jRbjT5_S1A_jjP12ihipStream_tbEUljE_EEESV_SW_SX_S14_S18_S1A_T6_T7_T9_mT8_S1C_bDpT10_ENKUlT_T0_E_clISt17integral_constantIbLb1EES1O_IbLb0EEEEDaS1K_S1L_EUlS1K_E_NS1_11comp_targetILNS1_3genE4ELNS1_11target_archE910ELNS1_3gpuE8ELNS1_3repE0EEENS1_30default_config_static_selectorELNS0_4arch9wavefront6targetE1EEEvSY_
    .private_segment_fixed_size: 0
    .sgpr_count:     4
    .sgpr_spill_count: 0
    .symbol:         _ZN7rocprim17ROCPRIM_400000_NS6detail17trampoline_kernelINS0_13select_configILj256ELj13ELNS0_17block_load_methodE3ELS4_3ELS4_3ELNS0_20block_scan_algorithmE0ELj4294967295EEENS1_25partition_config_selectorILNS1_17partition_subalgoE3EjNS0_10empty_typeEbEEZZNS1_14partition_implILS8_3ELb0ES6_jNS0_17counting_iteratorIjlEEPS9_SE_NS0_5tupleIJPjSE_EEENSF_IJSE_SE_EEES9_SG_JZNS1_25segmented_radix_sort_implINS0_14default_configELb0EPKhPhPKlPlN2at6native12_GLOBAL__N_18offset_tEEE10hipError_tPvRmT1_PNSt15iterator_traitsISY_E10value_typeET2_T3_PNSZ_IS14_E10value_typeET4_jRbjT5_S1A_jjP12ihipStream_tbEUljE_EEESV_SW_SX_S14_S18_S1A_T6_T7_T9_mT8_S1C_bDpT10_ENKUlT_T0_E_clISt17integral_constantIbLb1EES1O_IbLb0EEEEDaS1K_S1L_EUlS1K_E_NS1_11comp_targetILNS1_3genE4ELNS1_11target_archE910ELNS1_3gpuE8ELNS1_3repE0EEENS1_30default_config_static_selectorELNS0_4arch9wavefront6targetE1EEEvSY_.kd
    .uniform_work_group_size: 1
    .uses_dynamic_stack: false
    .vgpr_count:     0
    .vgpr_spill_count: 0
    .wavefront_size: 64
  - .args:
      - .offset:         0
        .size:           144
        .value_kind:     by_value
    .group_segment_fixed_size: 0
    .kernarg_segment_align: 8
    .kernarg_segment_size: 144
    .language:       OpenCL C
    .language_version:
      - 2
      - 0
    .max_flat_workgroup_size: 256
    .name:           _ZN7rocprim17ROCPRIM_400000_NS6detail17trampoline_kernelINS0_13select_configILj256ELj13ELNS0_17block_load_methodE3ELS4_3ELS4_3ELNS0_20block_scan_algorithmE0ELj4294967295EEENS1_25partition_config_selectorILNS1_17partition_subalgoE3EjNS0_10empty_typeEbEEZZNS1_14partition_implILS8_3ELb0ES6_jNS0_17counting_iteratorIjlEEPS9_SE_NS0_5tupleIJPjSE_EEENSF_IJSE_SE_EEES9_SG_JZNS1_25segmented_radix_sort_implINS0_14default_configELb0EPKhPhPKlPlN2at6native12_GLOBAL__N_18offset_tEEE10hipError_tPvRmT1_PNSt15iterator_traitsISY_E10value_typeET2_T3_PNSZ_IS14_E10value_typeET4_jRbjT5_S1A_jjP12ihipStream_tbEUljE_EEESV_SW_SX_S14_S18_S1A_T6_T7_T9_mT8_S1C_bDpT10_ENKUlT_T0_E_clISt17integral_constantIbLb1EES1O_IbLb0EEEEDaS1K_S1L_EUlS1K_E_NS1_11comp_targetILNS1_3genE3ELNS1_11target_archE908ELNS1_3gpuE7ELNS1_3repE0EEENS1_30default_config_static_selectorELNS0_4arch9wavefront6targetE1EEEvSY_
    .private_segment_fixed_size: 0
    .sgpr_count:     4
    .sgpr_spill_count: 0
    .symbol:         _ZN7rocprim17ROCPRIM_400000_NS6detail17trampoline_kernelINS0_13select_configILj256ELj13ELNS0_17block_load_methodE3ELS4_3ELS4_3ELNS0_20block_scan_algorithmE0ELj4294967295EEENS1_25partition_config_selectorILNS1_17partition_subalgoE3EjNS0_10empty_typeEbEEZZNS1_14partition_implILS8_3ELb0ES6_jNS0_17counting_iteratorIjlEEPS9_SE_NS0_5tupleIJPjSE_EEENSF_IJSE_SE_EEES9_SG_JZNS1_25segmented_radix_sort_implINS0_14default_configELb0EPKhPhPKlPlN2at6native12_GLOBAL__N_18offset_tEEE10hipError_tPvRmT1_PNSt15iterator_traitsISY_E10value_typeET2_T3_PNSZ_IS14_E10value_typeET4_jRbjT5_S1A_jjP12ihipStream_tbEUljE_EEESV_SW_SX_S14_S18_S1A_T6_T7_T9_mT8_S1C_bDpT10_ENKUlT_T0_E_clISt17integral_constantIbLb1EES1O_IbLb0EEEEDaS1K_S1L_EUlS1K_E_NS1_11comp_targetILNS1_3genE3ELNS1_11target_archE908ELNS1_3gpuE7ELNS1_3repE0EEENS1_30default_config_static_selectorELNS0_4arch9wavefront6targetE1EEEvSY_.kd
    .uniform_work_group_size: 1
    .uses_dynamic_stack: false
    .vgpr_count:     0
    .vgpr_spill_count: 0
    .wavefront_size: 64
  - .args:
      - .offset:         0
        .size:           144
        .value_kind:     by_value
    .group_segment_fixed_size: 0
    .kernarg_segment_align: 8
    .kernarg_segment_size: 144
    .language:       OpenCL C
    .language_version:
      - 2
      - 0
    .max_flat_workgroup_size: 256
    .name:           _ZN7rocprim17ROCPRIM_400000_NS6detail17trampoline_kernelINS0_13select_configILj256ELj13ELNS0_17block_load_methodE3ELS4_3ELS4_3ELNS0_20block_scan_algorithmE0ELj4294967295EEENS1_25partition_config_selectorILNS1_17partition_subalgoE3EjNS0_10empty_typeEbEEZZNS1_14partition_implILS8_3ELb0ES6_jNS0_17counting_iteratorIjlEEPS9_SE_NS0_5tupleIJPjSE_EEENSF_IJSE_SE_EEES9_SG_JZNS1_25segmented_radix_sort_implINS0_14default_configELb0EPKhPhPKlPlN2at6native12_GLOBAL__N_18offset_tEEE10hipError_tPvRmT1_PNSt15iterator_traitsISY_E10value_typeET2_T3_PNSZ_IS14_E10value_typeET4_jRbjT5_S1A_jjP12ihipStream_tbEUljE_EEESV_SW_SX_S14_S18_S1A_T6_T7_T9_mT8_S1C_bDpT10_ENKUlT_T0_E_clISt17integral_constantIbLb1EES1O_IbLb0EEEEDaS1K_S1L_EUlS1K_E_NS1_11comp_targetILNS1_3genE2ELNS1_11target_archE906ELNS1_3gpuE6ELNS1_3repE0EEENS1_30default_config_static_selectorELNS0_4arch9wavefront6targetE1EEEvSY_
    .private_segment_fixed_size: 0
    .sgpr_count:     4
    .sgpr_spill_count: 0
    .symbol:         _ZN7rocprim17ROCPRIM_400000_NS6detail17trampoline_kernelINS0_13select_configILj256ELj13ELNS0_17block_load_methodE3ELS4_3ELS4_3ELNS0_20block_scan_algorithmE0ELj4294967295EEENS1_25partition_config_selectorILNS1_17partition_subalgoE3EjNS0_10empty_typeEbEEZZNS1_14partition_implILS8_3ELb0ES6_jNS0_17counting_iteratorIjlEEPS9_SE_NS0_5tupleIJPjSE_EEENSF_IJSE_SE_EEES9_SG_JZNS1_25segmented_radix_sort_implINS0_14default_configELb0EPKhPhPKlPlN2at6native12_GLOBAL__N_18offset_tEEE10hipError_tPvRmT1_PNSt15iterator_traitsISY_E10value_typeET2_T3_PNSZ_IS14_E10value_typeET4_jRbjT5_S1A_jjP12ihipStream_tbEUljE_EEESV_SW_SX_S14_S18_S1A_T6_T7_T9_mT8_S1C_bDpT10_ENKUlT_T0_E_clISt17integral_constantIbLb1EES1O_IbLb0EEEEDaS1K_S1L_EUlS1K_E_NS1_11comp_targetILNS1_3genE2ELNS1_11target_archE906ELNS1_3gpuE6ELNS1_3repE0EEENS1_30default_config_static_selectorELNS0_4arch9wavefront6targetE1EEEvSY_.kd
    .uniform_work_group_size: 1
    .uses_dynamic_stack: false
    .vgpr_count:     0
    .vgpr_spill_count: 0
    .wavefront_size: 64
  - .args:
      - .offset:         0
        .size:           144
        .value_kind:     by_value
    .group_segment_fixed_size: 0
    .kernarg_segment_align: 8
    .kernarg_segment_size: 144
    .language:       OpenCL C
    .language_version:
      - 2
      - 0
    .max_flat_workgroup_size: 256
    .name:           _ZN7rocprim17ROCPRIM_400000_NS6detail17trampoline_kernelINS0_13select_configILj256ELj13ELNS0_17block_load_methodE3ELS4_3ELS4_3ELNS0_20block_scan_algorithmE0ELj4294967295EEENS1_25partition_config_selectorILNS1_17partition_subalgoE3EjNS0_10empty_typeEbEEZZNS1_14partition_implILS8_3ELb0ES6_jNS0_17counting_iteratorIjlEEPS9_SE_NS0_5tupleIJPjSE_EEENSF_IJSE_SE_EEES9_SG_JZNS1_25segmented_radix_sort_implINS0_14default_configELb0EPKhPhPKlPlN2at6native12_GLOBAL__N_18offset_tEEE10hipError_tPvRmT1_PNSt15iterator_traitsISY_E10value_typeET2_T3_PNSZ_IS14_E10value_typeET4_jRbjT5_S1A_jjP12ihipStream_tbEUljE_EEESV_SW_SX_S14_S18_S1A_T6_T7_T9_mT8_S1C_bDpT10_ENKUlT_T0_E_clISt17integral_constantIbLb1EES1O_IbLb0EEEEDaS1K_S1L_EUlS1K_E_NS1_11comp_targetILNS1_3genE10ELNS1_11target_archE1200ELNS1_3gpuE4ELNS1_3repE0EEENS1_30default_config_static_selectorELNS0_4arch9wavefront6targetE1EEEvSY_
    .private_segment_fixed_size: 0
    .sgpr_count:     4
    .sgpr_spill_count: 0
    .symbol:         _ZN7rocprim17ROCPRIM_400000_NS6detail17trampoline_kernelINS0_13select_configILj256ELj13ELNS0_17block_load_methodE3ELS4_3ELS4_3ELNS0_20block_scan_algorithmE0ELj4294967295EEENS1_25partition_config_selectorILNS1_17partition_subalgoE3EjNS0_10empty_typeEbEEZZNS1_14partition_implILS8_3ELb0ES6_jNS0_17counting_iteratorIjlEEPS9_SE_NS0_5tupleIJPjSE_EEENSF_IJSE_SE_EEES9_SG_JZNS1_25segmented_radix_sort_implINS0_14default_configELb0EPKhPhPKlPlN2at6native12_GLOBAL__N_18offset_tEEE10hipError_tPvRmT1_PNSt15iterator_traitsISY_E10value_typeET2_T3_PNSZ_IS14_E10value_typeET4_jRbjT5_S1A_jjP12ihipStream_tbEUljE_EEESV_SW_SX_S14_S18_S1A_T6_T7_T9_mT8_S1C_bDpT10_ENKUlT_T0_E_clISt17integral_constantIbLb1EES1O_IbLb0EEEEDaS1K_S1L_EUlS1K_E_NS1_11comp_targetILNS1_3genE10ELNS1_11target_archE1200ELNS1_3gpuE4ELNS1_3repE0EEENS1_30default_config_static_selectorELNS0_4arch9wavefront6targetE1EEEvSY_.kd
    .uniform_work_group_size: 1
    .uses_dynamic_stack: false
    .vgpr_count:     0
    .vgpr_spill_count: 0
    .wavefront_size: 64
  - .args:
      - .offset:         0
        .size:           144
        .value_kind:     by_value
    .group_segment_fixed_size: 0
    .kernarg_segment_align: 8
    .kernarg_segment_size: 144
    .language:       OpenCL C
    .language_version:
      - 2
      - 0
    .max_flat_workgroup_size: 256
    .name:           _ZN7rocprim17ROCPRIM_400000_NS6detail17trampoline_kernelINS0_13select_configILj256ELj13ELNS0_17block_load_methodE3ELS4_3ELS4_3ELNS0_20block_scan_algorithmE0ELj4294967295EEENS1_25partition_config_selectorILNS1_17partition_subalgoE3EjNS0_10empty_typeEbEEZZNS1_14partition_implILS8_3ELb0ES6_jNS0_17counting_iteratorIjlEEPS9_SE_NS0_5tupleIJPjSE_EEENSF_IJSE_SE_EEES9_SG_JZNS1_25segmented_radix_sort_implINS0_14default_configELb0EPKhPhPKlPlN2at6native12_GLOBAL__N_18offset_tEEE10hipError_tPvRmT1_PNSt15iterator_traitsISY_E10value_typeET2_T3_PNSZ_IS14_E10value_typeET4_jRbjT5_S1A_jjP12ihipStream_tbEUljE_EEESV_SW_SX_S14_S18_S1A_T6_T7_T9_mT8_S1C_bDpT10_ENKUlT_T0_E_clISt17integral_constantIbLb1EES1O_IbLb0EEEEDaS1K_S1L_EUlS1K_E_NS1_11comp_targetILNS1_3genE9ELNS1_11target_archE1100ELNS1_3gpuE3ELNS1_3repE0EEENS1_30default_config_static_selectorELNS0_4arch9wavefront6targetE1EEEvSY_
    .private_segment_fixed_size: 0
    .sgpr_count:     4
    .sgpr_spill_count: 0
    .symbol:         _ZN7rocprim17ROCPRIM_400000_NS6detail17trampoline_kernelINS0_13select_configILj256ELj13ELNS0_17block_load_methodE3ELS4_3ELS4_3ELNS0_20block_scan_algorithmE0ELj4294967295EEENS1_25partition_config_selectorILNS1_17partition_subalgoE3EjNS0_10empty_typeEbEEZZNS1_14partition_implILS8_3ELb0ES6_jNS0_17counting_iteratorIjlEEPS9_SE_NS0_5tupleIJPjSE_EEENSF_IJSE_SE_EEES9_SG_JZNS1_25segmented_radix_sort_implINS0_14default_configELb0EPKhPhPKlPlN2at6native12_GLOBAL__N_18offset_tEEE10hipError_tPvRmT1_PNSt15iterator_traitsISY_E10value_typeET2_T3_PNSZ_IS14_E10value_typeET4_jRbjT5_S1A_jjP12ihipStream_tbEUljE_EEESV_SW_SX_S14_S18_S1A_T6_T7_T9_mT8_S1C_bDpT10_ENKUlT_T0_E_clISt17integral_constantIbLb1EES1O_IbLb0EEEEDaS1K_S1L_EUlS1K_E_NS1_11comp_targetILNS1_3genE9ELNS1_11target_archE1100ELNS1_3gpuE3ELNS1_3repE0EEENS1_30default_config_static_selectorELNS0_4arch9wavefront6targetE1EEEvSY_.kd
    .uniform_work_group_size: 1
    .uses_dynamic_stack: false
    .vgpr_count:     0
    .vgpr_spill_count: 0
    .wavefront_size: 64
  - .args:
      - .offset:         0
        .size:           144
        .value_kind:     by_value
    .group_segment_fixed_size: 0
    .kernarg_segment_align: 8
    .kernarg_segment_size: 144
    .language:       OpenCL C
    .language_version:
      - 2
      - 0
    .max_flat_workgroup_size: 256
    .name:           _ZN7rocprim17ROCPRIM_400000_NS6detail17trampoline_kernelINS0_13select_configILj256ELj13ELNS0_17block_load_methodE3ELS4_3ELS4_3ELNS0_20block_scan_algorithmE0ELj4294967295EEENS1_25partition_config_selectorILNS1_17partition_subalgoE3EjNS0_10empty_typeEbEEZZNS1_14partition_implILS8_3ELb0ES6_jNS0_17counting_iteratorIjlEEPS9_SE_NS0_5tupleIJPjSE_EEENSF_IJSE_SE_EEES9_SG_JZNS1_25segmented_radix_sort_implINS0_14default_configELb0EPKhPhPKlPlN2at6native12_GLOBAL__N_18offset_tEEE10hipError_tPvRmT1_PNSt15iterator_traitsISY_E10value_typeET2_T3_PNSZ_IS14_E10value_typeET4_jRbjT5_S1A_jjP12ihipStream_tbEUljE_EEESV_SW_SX_S14_S18_S1A_T6_T7_T9_mT8_S1C_bDpT10_ENKUlT_T0_E_clISt17integral_constantIbLb1EES1O_IbLb0EEEEDaS1K_S1L_EUlS1K_E_NS1_11comp_targetILNS1_3genE8ELNS1_11target_archE1030ELNS1_3gpuE2ELNS1_3repE0EEENS1_30default_config_static_selectorELNS0_4arch9wavefront6targetE1EEEvSY_
    .private_segment_fixed_size: 0
    .sgpr_count:     4
    .sgpr_spill_count: 0
    .symbol:         _ZN7rocprim17ROCPRIM_400000_NS6detail17trampoline_kernelINS0_13select_configILj256ELj13ELNS0_17block_load_methodE3ELS4_3ELS4_3ELNS0_20block_scan_algorithmE0ELj4294967295EEENS1_25partition_config_selectorILNS1_17partition_subalgoE3EjNS0_10empty_typeEbEEZZNS1_14partition_implILS8_3ELb0ES6_jNS0_17counting_iteratorIjlEEPS9_SE_NS0_5tupleIJPjSE_EEENSF_IJSE_SE_EEES9_SG_JZNS1_25segmented_radix_sort_implINS0_14default_configELb0EPKhPhPKlPlN2at6native12_GLOBAL__N_18offset_tEEE10hipError_tPvRmT1_PNSt15iterator_traitsISY_E10value_typeET2_T3_PNSZ_IS14_E10value_typeET4_jRbjT5_S1A_jjP12ihipStream_tbEUljE_EEESV_SW_SX_S14_S18_S1A_T6_T7_T9_mT8_S1C_bDpT10_ENKUlT_T0_E_clISt17integral_constantIbLb1EES1O_IbLb0EEEEDaS1K_S1L_EUlS1K_E_NS1_11comp_targetILNS1_3genE8ELNS1_11target_archE1030ELNS1_3gpuE2ELNS1_3repE0EEENS1_30default_config_static_selectorELNS0_4arch9wavefront6targetE1EEEvSY_.kd
    .uniform_work_group_size: 1
    .uses_dynamic_stack: false
    .vgpr_count:     0
    .vgpr_spill_count: 0
    .wavefront_size: 64
  - .args:
      - .offset:         0
        .size:           152
        .value_kind:     by_value
    .group_segment_fixed_size: 0
    .kernarg_segment_align: 8
    .kernarg_segment_size: 152
    .language:       OpenCL C
    .language_version:
      - 2
      - 0
    .max_flat_workgroup_size: 256
    .name:           _ZN7rocprim17ROCPRIM_400000_NS6detail17trampoline_kernelINS0_13select_configILj256ELj13ELNS0_17block_load_methodE3ELS4_3ELS4_3ELNS0_20block_scan_algorithmE0ELj4294967295EEENS1_25partition_config_selectorILNS1_17partition_subalgoE3EjNS0_10empty_typeEbEEZZNS1_14partition_implILS8_3ELb0ES6_jNS0_17counting_iteratorIjlEEPS9_SE_NS0_5tupleIJPjSE_EEENSF_IJSE_SE_EEES9_SG_JZNS1_25segmented_radix_sort_implINS0_14default_configELb0EPKhPhPKlPlN2at6native12_GLOBAL__N_18offset_tEEE10hipError_tPvRmT1_PNSt15iterator_traitsISY_E10value_typeET2_T3_PNSZ_IS14_E10value_typeET4_jRbjT5_S1A_jjP12ihipStream_tbEUljE_EEESV_SW_SX_S14_S18_S1A_T6_T7_T9_mT8_S1C_bDpT10_ENKUlT_T0_E_clISt17integral_constantIbLb0EES1O_IbLb1EEEEDaS1K_S1L_EUlS1K_E_NS1_11comp_targetILNS1_3genE0ELNS1_11target_archE4294967295ELNS1_3gpuE0ELNS1_3repE0EEENS1_30default_config_static_selectorELNS0_4arch9wavefront6targetE1EEEvSY_
    .private_segment_fixed_size: 0
    .sgpr_count:     4
    .sgpr_spill_count: 0
    .symbol:         _ZN7rocprim17ROCPRIM_400000_NS6detail17trampoline_kernelINS0_13select_configILj256ELj13ELNS0_17block_load_methodE3ELS4_3ELS4_3ELNS0_20block_scan_algorithmE0ELj4294967295EEENS1_25partition_config_selectorILNS1_17partition_subalgoE3EjNS0_10empty_typeEbEEZZNS1_14partition_implILS8_3ELb0ES6_jNS0_17counting_iteratorIjlEEPS9_SE_NS0_5tupleIJPjSE_EEENSF_IJSE_SE_EEES9_SG_JZNS1_25segmented_radix_sort_implINS0_14default_configELb0EPKhPhPKlPlN2at6native12_GLOBAL__N_18offset_tEEE10hipError_tPvRmT1_PNSt15iterator_traitsISY_E10value_typeET2_T3_PNSZ_IS14_E10value_typeET4_jRbjT5_S1A_jjP12ihipStream_tbEUljE_EEESV_SW_SX_S14_S18_S1A_T6_T7_T9_mT8_S1C_bDpT10_ENKUlT_T0_E_clISt17integral_constantIbLb0EES1O_IbLb1EEEEDaS1K_S1L_EUlS1K_E_NS1_11comp_targetILNS1_3genE0ELNS1_11target_archE4294967295ELNS1_3gpuE0ELNS1_3repE0EEENS1_30default_config_static_selectorELNS0_4arch9wavefront6targetE1EEEvSY_.kd
    .uniform_work_group_size: 1
    .uses_dynamic_stack: false
    .vgpr_count:     0
    .vgpr_spill_count: 0
    .wavefront_size: 64
  - .args:
      - .offset:         0
        .size:           152
        .value_kind:     by_value
    .group_segment_fixed_size: 0
    .kernarg_segment_align: 8
    .kernarg_segment_size: 152
    .language:       OpenCL C
    .language_version:
      - 2
      - 0
    .max_flat_workgroup_size: 256
    .name:           _ZN7rocprim17ROCPRIM_400000_NS6detail17trampoline_kernelINS0_13select_configILj256ELj13ELNS0_17block_load_methodE3ELS4_3ELS4_3ELNS0_20block_scan_algorithmE0ELj4294967295EEENS1_25partition_config_selectorILNS1_17partition_subalgoE3EjNS0_10empty_typeEbEEZZNS1_14partition_implILS8_3ELb0ES6_jNS0_17counting_iteratorIjlEEPS9_SE_NS0_5tupleIJPjSE_EEENSF_IJSE_SE_EEES9_SG_JZNS1_25segmented_radix_sort_implINS0_14default_configELb0EPKhPhPKlPlN2at6native12_GLOBAL__N_18offset_tEEE10hipError_tPvRmT1_PNSt15iterator_traitsISY_E10value_typeET2_T3_PNSZ_IS14_E10value_typeET4_jRbjT5_S1A_jjP12ihipStream_tbEUljE_EEESV_SW_SX_S14_S18_S1A_T6_T7_T9_mT8_S1C_bDpT10_ENKUlT_T0_E_clISt17integral_constantIbLb0EES1O_IbLb1EEEEDaS1K_S1L_EUlS1K_E_NS1_11comp_targetILNS1_3genE5ELNS1_11target_archE942ELNS1_3gpuE9ELNS1_3repE0EEENS1_30default_config_static_selectorELNS0_4arch9wavefront6targetE1EEEvSY_
    .private_segment_fixed_size: 0
    .sgpr_count:     4
    .sgpr_spill_count: 0
    .symbol:         _ZN7rocprim17ROCPRIM_400000_NS6detail17trampoline_kernelINS0_13select_configILj256ELj13ELNS0_17block_load_methodE3ELS4_3ELS4_3ELNS0_20block_scan_algorithmE0ELj4294967295EEENS1_25partition_config_selectorILNS1_17partition_subalgoE3EjNS0_10empty_typeEbEEZZNS1_14partition_implILS8_3ELb0ES6_jNS0_17counting_iteratorIjlEEPS9_SE_NS0_5tupleIJPjSE_EEENSF_IJSE_SE_EEES9_SG_JZNS1_25segmented_radix_sort_implINS0_14default_configELb0EPKhPhPKlPlN2at6native12_GLOBAL__N_18offset_tEEE10hipError_tPvRmT1_PNSt15iterator_traitsISY_E10value_typeET2_T3_PNSZ_IS14_E10value_typeET4_jRbjT5_S1A_jjP12ihipStream_tbEUljE_EEESV_SW_SX_S14_S18_S1A_T6_T7_T9_mT8_S1C_bDpT10_ENKUlT_T0_E_clISt17integral_constantIbLb0EES1O_IbLb1EEEEDaS1K_S1L_EUlS1K_E_NS1_11comp_targetILNS1_3genE5ELNS1_11target_archE942ELNS1_3gpuE9ELNS1_3repE0EEENS1_30default_config_static_selectorELNS0_4arch9wavefront6targetE1EEEvSY_.kd
    .uniform_work_group_size: 1
    .uses_dynamic_stack: false
    .vgpr_count:     0
    .vgpr_spill_count: 0
    .wavefront_size: 64
  - .args:
      - .offset:         0
        .size:           152
        .value_kind:     by_value
    .group_segment_fixed_size: 0
    .kernarg_segment_align: 8
    .kernarg_segment_size: 152
    .language:       OpenCL C
    .language_version:
      - 2
      - 0
    .max_flat_workgroup_size: 256
    .name:           _ZN7rocprim17ROCPRIM_400000_NS6detail17trampoline_kernelINS0_13select_configILj256ELj13ELNS0_17block_load_methodE3ELS4_3ELS4_3ELNS0_20block_scan_algorithmE0ELj4294967295EEENS1_25partition_config_selectorILNS1_17partition_subalgoE3EjNS0_10empty_typeEbEEZZNS1_14partition_implILS8_3ELb0ES6_jNS0_17counting_iteratorIjlEEPS9_SE_NS0_5tupleIJPjSE_EEENSF_IJSE_SE_EEES9_SG_JZNS1_25segmented_radix_sort_implINS0_14default_configELb0EPKhPhPKlPlN2at6native12_GLOBAL__N_18offset_tEEE10hipError_tPvRmT1_PNSt15iterator_traitsISY_E10value_typeET2_T3_PNSZ_IS14_E10value_typeET4_jRbjT5_S1A_jjP12ihipStream_tbEUljE_EEESV_SW_SX_S14_S18_S1A_T6_T7_T9_mT8_S1C_bDpT10_ENKUlT_T0_E_clISt17integral_constantIbLb0EES1O_IbLb1EEEEDaS1K_S1L_EUlS1K_E_NS1_11comp_targetILNS1_3genE4ELNS1_11target_archE910ELNS1_3gpuE8ELNS1_3repE0EEENS1_30default_config_static_selectorELNS0_4arch9wavefront6targetE1EEEvSY_
    .private_segment_fixed_size: 0
    .sgpr_count:     4
    .sgpr_spill_count: 0
    .symbol:         _ZN7rocprim17ROCPRIM_400000_NS6detail17trampoline_kernelINS0_13select_configILj256ELj13ELNS0_17block_load_methodE3ELS4_3ELS4_3ELNS0_20block_scan_algorithmE0ELj4294967295EEENS1_25partition_config_selectorILNS1_17partition_subalgoE3EjNS0_10empty_typeEbEEZZNS1_14partition_implILS8_3ELb0ES6_jNS0_17counting_iteratorIjlEEPS9_SE_NS0_5tupleIJPjSE_EEENSF_IJSE_SE_EEES9_SG_JZNS1_25segmented_radix_sort_implINS0_14default_configELb0EPKhPhPKlPlN2at6native12_GLOBAL__N_18offset_tEEE10hipError_tPvRmT1_PNSt15iterator_traitsISY_E10value_typeET2_T3_PNSZ_IS14_E10value_typeET4_jRbjT5_S1A_jjP12ihipStream_tbEUljE_EEESV_SW_SX_S14_S18_S1A_T6_T7_T9_mT8_S1C_bDpT10_ENKUlT_T0_E_clISt17integral_constantIbLb0EES1O_IbLb1EEEEDaS1K_S1L_EUlS1K_E_NS1_11comp_targetILNS1_3genE4ELNS1_11target_archE910ELNS1_3gpuE8ELNS1_3repE0EEENS1_30default_config_static_selectorELNS0_4arch9wavefront6targetE1EEEvSY_.kd
    .uniform_work_group_size: 1
    .uses_dynamic_stack: false
    .vgpr_count:     0
    .vgpr_spill_count: 0
    .wavefront_size: 64
  - .args:
      - .offset:         0
        .size:           152
        .value_kind:     by_value
    .group_segment_fixed_size: 0
    .kernarg_segment_align: 8
    .kernarg_segment_size: 152
    .language:       OpenCL C
    .language_version:
      - 2
      - 0
    .max_flat_workgroup_size: 256
    .name:           _ZN7rocprim17ROCPRIM_400000_NS6detail17trampoline_kernelINS0_13select_configILj256ELj13ELNS0_17block_load_methodE3ELS4_3ELS4_3ELNS0_20block_scan_algorithmE0ELj4294967295EEENS1_25partition_config_selectorILNS1_17partition_subalgoE3EjNS0_10empty_typeEbEEZZNS1_14partition_implILS8_3ELb0ES6_jNS0_17counting_iteratorIjlEEPS9_SE_NS0_5tupleIJPjSE_EEENSF_IJSE_SE_EEES9_SG_JZNS1_25segmented_radix_sort_implINS0_14default_configELb0EPKhPhPKlPlN2at6native12_GLOBAL__N_18offset_tEEE10hipError_tPvRmT1_PNSt15iterator_traitsISY_E10value_typeET2_T3_PNSZ_IS14_E10value_typeET4_jRbjT5_S1A_jjP12ihipStream_tbEUljE_EEESV_SW_SX_S14_S18_S1A_T6_T7_T9_mT8_S1C_bDpT10_ENKUlT_T0_E_clISt17integral_constantIbLb0EES1O_IbLb1EEEEDaS1K_S1L_EUlS1K_E_NS1_11comp_targetILNS1_3genE3ELNS1_11target_archE908ELNS1_3gpuE7ELNS1_3repE0EEENS1_30default_config_static_selectorELNS0_4arch9wavefront6targetE1EEEvSY_
    .private_segment_fixed_size: 0
    .sgpr_count:     4
    .sgpr_spill_count: 0
    .symbol:         _ZN7rocprim17ROCPRIM_400000_NS6detail17trampoline_kernelINS0_13select_configILj256ELj13ELNS0_17block_load_methodE3ELS4_3ELS4_3ELNS0_20block_scan_algorithmE0ELj4294967295EEENS1_25partition_config_selectorILNS1_17partition_subalgoE3EjNS0_10empty_typeEbEEZZNS1_14partition_implILS8_3ELb0ES6_jNS0_17counting_iteratorIjlEEPS9_SE_NS0_5tupleIJPjSE_EEENSF_IJSE_SE_EEES9_SG_JZNS1_25segmented_radix_sort_implINS0_14default_configELb0EPKhPhPKlPlN2at6native12_GLOBAL__N_18offset_tEEE10hipError_tPvRmT1_PNSt15iterator_traitsISY_E10value_typeET2_T3_PNSZ_IS14_E10value_typeET4_jRbjT5_S1A_jjP12ihipStream_tbEUljE_EEESV_SW_SX_S14_S18_S1A_T6_T7_T9_mT8_S1C_bDpT10_ENKUlT_T0_E_clISt17integral_constantIbLb0EES1O_IbLb1EEEEDaS1K_S1L_EUlS1K_E_NS1_11comp_targetILNS1_3genE3ELNS1_11target_archE908ELNS1_3gpuE7ELNS1_3repE0EEENS1_30default_config_static_selectorELNS0_4arch9wavefront6targetE1EEEvSY_.kd
    .uniform_work_group_size: 1
    .uses_dynamic_stack: false
    .vgpr_count:     0
    .vgpr_spill_count: 0
    .wavefront_size: 64
  - .args:
      - .offset:         0
        .size:           152
        .value_kind:     by_value
    .group_segment_fixed_size: 13320
    .kernarg_segment_align: 8
    .kernarg_segment_size: 152
    .language:       OpenCL C
    .language_version:
      - 2
      - 0
    .max_flat_workgroup_size: 256
    .name:           _ZN7rocprim17ROCPRIM_400000_NS6detail17trampoline_kernelINS0_13select_configILj256ELj13ELNS0_17block_load_methodE3ELS4_3ELS4_3ELNS0_20block_scan_algorithmE0ELj4294967295EEENS1_25partition_config_selectorILNS1_17partition_subalgoE3EjNS0_10empty_typeEbEEZZNS1_14partition_implILS8_3ELb0ES6_jNS0_17counting_iteratorIjlEEPS9_SE_NS0_5tupleIJPjSE_EEENSF_IJSE_SE_EEES9_SG_JZNS1_25segmented_radix_sort_implINS0_14default_configELb0EPKhPhPKlPlN2at6native12_GLOBAL__N_18offset_tEEE10hipError_tPvRmT1_PNSt15iterator_traitsISY_E10value_typeET2_T3_PNSZ_IS14_E10value_typeET4_jRbjT5_S1A_jjP12ihipStream_tbEUljE_EEESV_SW_SX_S14_S18_S1A_T6_T7_T9_mT8_S1C_bDpT10_ENKUlT_T0_E_clISt17integral_constantIbLb0EES1O_IbLb1EEEEDaS1K_S1L_EUlS1K_E_NS1_11comp_targetILNS1_3genE2ELNS1_11target_archE906ELNS1_3gpuE6ELNS1_3repE0EEENS1_30default_config_static_selectorELNS0_4arch9wavefront6targetE1EEEvSY_
    .private_segment_fixed_size: 0
    .sgpr_count:     50
    .sgpr_spill_count: 0
    .symbol:         _ZN7rocprim17ROCPRIM_400000_NS6detail17trampoline_kernelINS0_13select_configILj256ELj13ELNS0_17block_load_methodE3ELS4_3ELS4_3ELNS0_20block_scan_algorithmE0ELj4294967295EEENS1_25partition_config_selectorILNS1_17partition_subalgoE3EjNS0_10empty_typeEbEEZZNS1_14partition_implILS8_3ELb0ES6_jNS0_17counting_iteratorIjlEEPS9_SE_NS0_5tupleIJPjSE_EEENSF_IJSE_SE_EEES9_SG_JZNS1_25segmented_radix_sort_implINS0_14default_configELb0EPKhPhPKlPlN2at6native12_GLOBAL__N_18offset_tEEE10hipError_tPvRmT1_PNSt15iterator_traitsISY_E10value_typeET2_T3_PNSZ_IS14_E10value_typeET4_jRbjT5_S1A_jjP12ihipStream_tbEUljE_EEESV_SW_SX_S14_S18_S1A_T6_T7_T9_mT8_S1C_bDpT10_ENKUlT_T0_E_clISt17integral_constantIbLb0EES1O_IbLb1EEEEDaS1K_S1L_EUlS1K_E_NS1_11comp_targetILNS1_3genE2ELNS1_11target_archE906ELNS1_3gpuE6ELNS1_3repE0EEENS1_30default_config_static_selectorELNS0_4arch9wavefront6targetE1EEEvSY_.kd
    .uniform_work_group_size: 1
    .uses_dynamic_stack: false
    .vgpr_count:     71
    .vgpr_spill_count: 0
    .wavefront_size: 64
  - .args:
      - .offset:         0
        .size:           152
        .value_kind:     by_value
    .group_segment_fixed_size: 0
    .kernarg_segment_align: 8
    .kernarg_segment_size: 152
    .language:       OpenCL C
    .language_version:
      - 2
      - 0
    .max_flat_workgroup_size: 256
    .name:           _ZN7rocprim17ROCPRIM_400000_NS6detail17trampoline_kernelINS0_13select_configILj256ELj13ELNS0_17block_load_methodE3ELS4_3ELS4_3ELNS0_20block_scan_algorithmE0ELj4294967295EEENS1_25partition_config_selectorILNS1_17partition_subalgoE3EjNS0_10empty_typeEbEEZZNS1_14partition_implILS8_3ELb0ES6_jNS0_17counting_iteratorIjlEEPS9_SE_NS0_5tupleIJPjSE_EEENSF_IJSE_SE_EEES9_SG_JZNS1_25segmented_radix_sort_implINS0_14default_configELb0EPKhPhPKlPlN2at6native12_GLOBAL__N_18offset_tEEE10hipError_tPvRmT1_PNSt15iterator_traitsISY_E10value_typeET2_T3_PNSZ_IS14_E10value_typeET4_jRbjT5_S1A_jjP12ihipStream_tbEUljE_EEESV_SW_SX_S14_S18_S1A_T6_T7_T9_mT8_S1C_bDpT10_ENKUlT_T0_E_clISt17integral_constantIbLb0EES1O_IbLb1EEEEDaS1K_S1L_EUlS1K_E_NS1_11comp_targetILNS1_3genE10ELNS1_11target_archE1200ELNS1_3gpuE4ELNS1_3repE0EEENS1_30default_config_static_selectorELNS0_4arch9wavefront6targetE1EEEvSY_
    .private_segment_fixed_size: 0
    .sgpr_count:     4
    .sgpr_spill_count: 0
    .symbol:         _ZN7rocprim17ROCPRIM_400000_NS6detail17trampoline_kernelINS0_13select_configILj256ELj13ELNS0_17block_load_methodE3ELS4_3ELS4_3ELNS0_20block_scan_algorithmE0ELj4294967295EEENS1_25partition_config_selectorILNS1_17partition_subalgoE3EjNS0_10empty_typeEbEEZZNS1_14partition_implILS8_3ELb0ES6_jNS0_17counting_iteratorIjlEEPS9_SE_NS0_5tupleIJPjSE_EEENSF_IJSE_SE_EEES9_SG_JZNS1_25segmented_radix_sort_implINS0_14default_configELb0EPKhPhPKlPlN2at6native12_GLOBAL__N_18offset_tEEE10hipError_tPvRmT1_PNSt15iterator_traitsISY_E10value_typeET2_T3_PNSZ_IS14_E10value_typeET4_jRbjT5_S1A_jjP12ihipStream_tbEUljE_EEESV_SW_SX_S14_S18_S1A_T6_T7_T9_mT8_S1C_bDpT10_ENKUlT_T0_E_clISt17integral_constantIbLb0EES1O_IbLb1EEEEDaS1K_S1L_EUlS1K_E_NS1_11comp_targetILNS1_3genE10ELNS1_11target_archE1200ELNS1_3gpuE4ELNS1_3repE0EEENS1_30default_config_static_selectorELNS0_4arch9wavefront6targetE1EEEvSY_.kd
    .uniform_work_group_size: 1
    .uses_dynamic_stack: false
    .vgpr_count:     0
    .vgpr_spill_count: 0
    .wavefront_size: 64
  - .args:
      - .offset:         0
        .size:           152
        .value_kind:     by_value
    .group_segment_fixed_size: 0
    .kernarg_segment_align: 8
    .kernarg_segment_size: 152
    .language:       OpenCL C
    .language_version:
      - 2
      - 0
    .max_flat_workgroup_size: 256
    .name:           _ZN7rocprim17ROCPRIM_400000_NS6detail17trampoline_kernelINS0_13select_configILj256ELj13ELNS0_17block_load_methodE3ELS4_3ELS4_3ELNS0_20block_scan_algorithmE0ELj4294967295EEENS1_25partition_config_selectorILNS1_17partition_subalgoE3EjNS0_10empty_typeEbEEZZNS1_14partition_implILS8_3ELb0ES6_jNS0_17counting_iteratorIjlEEPS9_SE_NS0_5tupleIJPjSE_EEENSF_IJSE_SE_EEES9_SG_JZNS1_25segmented_radix_sort_implINS0_14default_configELb0EPKhPhPKlPlN2at6native12_GLOBAL__N_18offset_tEEE10hipError_tPvRmT1_PNSt15iterator_traitsISY_E10value_typeET2_T3_PNSZ_IS14_E10value_typeET4_jRbjT5_S1A_jjP12ihipStream_tbEUljE_EEESV_SW_SX_S14_S18_S1A_T6_T7_T9_mT8_S1C_bDpT10_ENKUlT_T0_E_clISt17integral_constantIbLb0EES1O_IbLb1EEEEDaS1K_S1L_EUlS1K_E_NS1_11comp_targetILNS1_3genE9ELNS1_11target_archE1100ELNS1_3gpuE3ELNS1_3repE0EEENS1_30default_config_static_selectorELNS0_4arch9wavefront6targetE1EEEvSY_
    .private_segment_fixed_size: 0
    .sgpr_count:     4
    .sgpr_spill_count: 0
    .symbol:         _ZN7rocprim17ROCPRIM_400000_NS6detail17trampoline_kernelINS0_13select_configILj256ELj13ELNS0_17block_load_methodE3ELS4_3ELS4_3ELNS0_20block_scan_algorithmE0ELj4294967295EEENS1_25partition_config_selectorILNS1_17partition_subalgoE3EjNS0_10empty_typeEbEEZZNS1_14partition_implILS8_3ELb0ES6_jNS0_17counting_iteratorIjlEEPS9_SE_NS0_5tupleIJPjSE_EEENSF_IJSE_SE_EEES9_SG_JZNS1_25segmented_radix_sort_implINS0_14default_configELb0EPKhPhPKlPlN2at6native12_GLOBAL__N_18offset_tEEE10hipError_tPvRmT1_PNSt15iterator_traitsISY_E10value_typeET2_T3_PNSZ_IS14_E10value_typeET4_jRbjT5_S1A_jjP12ihipStream_tbEUljE_EEESV_SW_SX_S14_S18_S1A_T6_T7_T9_mT8_S1C_bDpT10_ENKUlT_T0_E_clISt17integral_constantIbLb0EES1O_IbLb1EEEEDaS1K_S1L_EUlS1K_E_NS1_11comp_targetILNS1_3genE9ELNS1_11target_archE1100ELNS1_3gpuE3ELNS1_3repE0EEENS1_30default_config_static_selectorELNS0_4arch9wavefront6targetE1EEEvSY_.kd
    .uniform_work_group_size: 1
    .uses_dynamic_stack: false
    .vgpr_count:     0
    .vgpr_spill_count: 0
    .wavefront_size: 64
  - .args:
      - .offset:         0
        .size:           152
        .value_kind:     by_value
    .group_segment_fixed_size: 0
    .kernarg_segment_align: 8
    .kernarg_segment_size: 152
    .language:       OpenCL C
    .language_version:
      - 2
      - 0
    .max_flat_workgroup_size: 256
    .name:           _ZN7rocprim17ROCPRIM_400000_NS6detail17trampoline_kernelINS0_13select_configILj256ELj13ELNS0_17block_load_methodE3ELS4_3ELS4_3ELNS0_20block_scan_algorithmE0ELj4294967295EEENS1_25partition_config_selectorILNS1_17partition_subalgoE3EjNS0_10empty_typeEbEEZZNS1_14partition_implILS8_3ELb0ES6_jNS0_17counting_iteratorIjlEEPS9_SE_NS0_5tupleIJPjSE_EEENSF_IJSE_SE_EEES9_SG_JZNS1_25segmented_radix_sort_implINS0_14default_configELb0EPKhPhPKlPlN2at6native12_GLOBAL__N_18offset_tEEE10hipError_tPvRmT1_PNSt15iterator_traitsISY_E10value_typeET2_T3_PNSZ_IS14_E10value_typeET4_jRbjT5_S1A_jjP12ihipStream_tbEUljE_EEESV_SW_SX_S14_S18_S1A_T6_T7_T9_mT8_S1C_bDpT10_ENKUlT_T0_E_clISt17integral_constantIbLb0EES1O_IbLb1EEEEDaS1K_S1L_EUlS1K_E_NS1_11comp_targetILNS1_3genE8ELNS1_11target_archE1030ELNS1_3gpuE2ELNS1_3repE0EEENS1_30default_config_static_selectorELNS0_4arch9wavefront6targetE1EEEvSY_
    .private_segment_fixed_size: 0
    .sgpr_count:     4
    .sgpr_spill_count: 0
    .symbol:         _ZN7rocprim17ROCPRIM_400000_NS6detail17trampoline_kernelINS0_13select_configILj256ELj13ELNS0_17block_load_methodE3ELS4_3ELS4_3ELNS0_20block_scan_algorithmE0ELj4294967295EEENS1_25partition_config_selectorILNS1_17partition_subalgoE3EjNS0_10empty_typeEbEEZZNS1_14partition_implILS8_3ELb0ES6_jNS0_17counting_iteratorIjlEEPS9_SE_NS0_5tupleIJPjSE_EEENSF_IJSE_SE_EEES9_SG_JZNS1_25segmented_radix_sort_implINS0_14default_configELb0EPKhPhPKlPlN2at6native12_GLOBAL__N_18offset_tEEE10hipError_tPvRmT1_PNSt15iterator_traitsISY_E10value_typeET2_T3_PNSZ_IS14_E10value_typeET4_jRbjT5_S1A_jjP12ihipStream_tbEUljE_EEESV_SW_SX_S14_S18_S1A_T6_T7_T9_mT8_S1C_bDpT10_ENKUlT_T0_E_clISt17integral_constantIbLb0EES1O_IbLb1EEEEDaS1K_S1L_EUlS1K_E_NS1_11comp_targetILNS1_3genE8ELNS1_11target_archE1030ELNS1_3gpuE2ELNS1_3repE0EEENS1_30default_config_static_selectorELNS0_4arch9wavefront6targetE1EEEvSY_.kd
    .uniform_work_group_size: 1
    .uses_dynamic_stack: false
    .vgpr_count:     0
    .vgpr_spill_count: 0
    .wavefront_size: 64
  - .args:
      - .offset:         0
        .size:           96
        .value_kind:     by_value
    .group_segment_fixed_size: 0
    .kernarg_segment_align: 8
    .kernarg_segment_size: 96
    .language:       OpenCL C
    .language_version:
      - 2
      - 0
    .max_flat_workgroup_size: 256
    .name:           _ZN7rocprim17ROCPRIM_400000_NS6detail17trampoline_kernelINS0_14default_configENS1_36segmented_radix_sort_config_selectorIhlEEZNS1_25segmented_radix_sort_implIS3_Lb0EPKhPhPKlPlN2at6native12_GLOBAL__N_18offset_tEEE10hipError_tPvRmT1_PNSt15iterator_traitsISK_E10value_typeET2_T3_PNSL_ISQ_E10value_typeET4_jRbjT5_SW_jjP12ihipStream_tbEUlT_E_NS1_11comp_targetILNS1_3genE0ELNS1_11target_archE4294967295ELNS1_3gpuE0ELNS1_3repE0EEENS1_30default_config_static_selectorELNS0_4arch9wavefront6targetE1EEEvSK_
    .private_segment_fixed_size: 0
    .sgpr_count:     4
    .sgpr_spill_count: 0
    .symbol:         _ZN7rocprim17ROCPRIM_400000_NS6detail17trampoline_kernelINS0_14default_configENS1_36segmented_radix_sort_config_selectorIhlEEZNS1_25segmented_radix_sort_implIS3_Lb0EPKhPhPKlPlN2at6native12_GLOBAL__N_18offset_tEEE10hipError_tPvRmT1_PNSt15iterator_traitsISK_E10value_typeET2_T3_PNSL_ISQ_E10value_typeET4_jRbjT5_SW_jjP12ihipStream_tbEUlT_E_NS1_11comp_targetILNS1_3genE0ELNS1_11target_archE4294967295ELNS1_3gpuE0ELNS1_3repE0EEENS1_30default_config_static_selectorELNS0_4arch9wavefront6targetE1EEEvSK_.kd
    .uniform_work_group_size: 1
    .uses_dynamic_stack: false
    .vgpr_count:     0
    .vgpr_spill_count: 0
    .wavefront_size: 64
  - .args:
      - .offset:         0
        .size:           96
        .value_kind:     by_value
    .group_segment_fixed_size: 0
    .kernarg_segment_align: 8
    .kernarg_segment_size: 96
    .language:       OpenCL C
    .language_version:
      - 2
      - 0
    .max_flat_workgroup_size: 256
    .name:           _ZN7rocprim17ROCPRIM_400000_NS6detail17trampoline_kernelINS0_14default_configENS1_36segmented_radix_sort_config_selectorIhlEEZNS1_25segmented_radix_sort_implIS3_Lb0EPKhPhPKlPlN2at6native12_GLOBAL__N_18offset_tEEE10hipError_tPvRmT1_PNSt15iterator_traitsISK_E10value_typeET2_T3_PNSL_ISQ_E10value_typeET4_jRbjT5_SW_jjP12ihipStream_tbEUlT_E_NS1_11comp_targetILNS1_3genE5ELNS1_11target_archE942ELNS1_3gpuE9ELNS1_3repE0EEENS1_30default_config_static_selectorELNS0_4arch9wavefront6targetE1EEEvSK_
    .private_segment_fixed_size: 0
    .sgpr_count:     4
    .sgpr_spill_count: 0
    .symbol:         _ZN7rocprim17ROCPRIM_400000_NS6detail17trampoline_kernelINS0_14default_configENS1_36segmented_radix_sort_config_selectorIhlEEZNS1_25segmented_radix_sort_implIS3_Lb0EPKhPhPKlPlN2at6native12_GLOBAL__N_18offset_tEEE10hipError_tPvRmT1_PNSt15iterator_traitsISK_E10value_typeET2_T3_PNSL_ISQ_E10value_typeET4_jRbjT5_SW_jjP12ihipStream_tbEUlT_E_NS1_11comp_targetILNS1_3genE5ELNS1_11target_archE942ELNS1_3gpuE9ELNS1_3repE0EEENS1_30default_config_static_selectorELNS0_4arch9wavefront6targetE1EEEvSK_.kd
    .uniform_work_group_size: 1
    .uses_dynamic_stack: false
    .vgpr_count:     0
    .vgpr_spill_count: 0
    .wavefront_size: 64
  - .args:
      - .offset:         0
        .size:           96
        .value_kind:     by_value
    .group_segment_fixed_size: 0
    .kernarg_segment_align: 8
    .kernarg_segment_size: 96
    .language:       OpenCL C
    .language_version:
      - 2
      - 0
    .max_flat_workgroup_size: 256
    .name:           _ZN7rocprim17ROCPRIM_400000_NS6detail17trampoline_kernelINS0_14default_configENS1_36segmented_radix_sort_config_selectorIhlEEZNS1_25segmented_radix_sort_implIS3_Lb0EPKhPhPKlPlN2at6native12_GLOBAL__N_18offset_tEEE10hipError_tPvRmT1_PNSt15iterator_traitsISK_E10value_typeET2_T3_PNSL_ISQ_E10value_typeET4_jRbjT5_SW_jjP12ihipStream_tbEUlT_E_NS1_11comp_targetILNS1_3genE4ELNS1_11target_archE910ELNS1_3gpuE8ELNS1_3repE0EEENS1_30default_config_static_selectorELNS0_4arch9wavefront6targetE1EEEvSK_
    .private_segment_fixed_size: 0
    .sgpr_count:     4
    .sgpr_spill_count: 0
    .symbol:         _ZN7rocprim17ROCPRIM_400000_NS6detail17trampoline_kernelINS0_14default_configENS1_36segmented_radix_sort_config_selectorIhlEEZNS1_25segmented_radix_sort_implIS3_Lb0EPKhPhPKlPlN2at6native12_GLOBAL__N_18offset_tEEE10hipError_tPvRmT1_PNSt15iterator_traitsISK_E10value_typeET2_T3_PNSL_ISQ_E10value_typeET4_jRbjT5_SW_jjP12ihipStream_tbEUlT_E_NS1_11comp_targetILNS1_3genE4ELNS1_11target_archE910ELNS1_3gpuE8ELNS1_3repE0EEENS1_30default_config_static_selectorELNS0_4arch9wavefront6targetE1EEEvSK_.kd
    .uniform_work_group_size: 1
    .uses_dynamic_stack: false
    .vgpr_count:     0
    .vgpr_spill_count: 0
    .wavefront_size: 64
  - .args:
      - .offset:         0
        .size:           96
        .value_kind:     by_value
    .group_segment_fixed_size: 0
    .kernarg_segment_align: 8
    .kernarg_segment_size: 96
    .language:       OpenCL C
    .language_version:
      - 2
      - 0
    .max_flat_workgroup_size: 256
    .name:           _ZN7rocprim17ROCPRIM_400000_NS6detail17trampoline_kernelINS0_14default_configENS1_36segmented_radix_sort_config_selectorIhlEEZNS1_25segmented_radix_sort_implIS3_Lb0EPKhPhPKlPlN2at6native12_GLOBAL__N_18offset_tEEE10hipError_tPvRmT1_PNSt15iterator_traitsISK_E10value_typeET2_T3_PNSL_ISQ_E10value_typeET4_jRbjT5_SW_jjP12ihipStream_tbEUlT_E_NS1_11comp_targetILNS1_3genE3ELNS1_11target_archE908ELNS1_3gpuE7ELNS1_3repE0EEENS1_30default_config_static_selectorELNS0_4arch9wavefront6targetE1EEEvSK_
    .private_segment_fixed_size: 0
    .sgpr_count:     4
    .sgpr_spill_count: 0
    .symbol:         _ZN7rocprim17ROCPRIM_400000_NS6detail17trampoline_kernelINS0_14default_configENS1_36segmented_radix_sort_config_selectorIhlEEZNS1_25segmented_radix_sort_implIS3_Lb0EPKhPhPKlPlN2at6native12_GLOBAL__N_18offset_tEEE10hipError_tPvRmT1_PNSt15iterator_traitsISK_E10value_typeET2_T3_PNSL_ISQ_E10value_typeET4_jRbjT5_SW_jjP12ihipStream_tbEUlT_E_NS1_11comp_targetILNS1_3genE3ELNS1_11target_archE908ELNS1_3gpuE7ELNS1_3repE0EEENS1_30default_config_static_selectorELNS0_4arch9wavefront6targetE1EEEvSK_.kd
    .uniform_work_group_size: 1
    .uses_dynamic_stack: false
    .vgpr_count:     0
    .vgpr_spill_count: 0
    .wavefront_size: 64
  - .args:
      - .offset:         0
        .size:           96
        .value_kind:     by_value
      - .offset:         96
        .size:           4
        .value_kind:     hidden_block_count_x
      - .offset:         100
        .size:           4
        .value_kind:     hidden_block_count_y
      - .offset:         104
        .size:           4
        .value_kind:     hidden_block_count_z
      - .offset:         108
        .size:           2
        .value_kind:     hidden_group_size_x
      - .offset:         110
        .size:           2
        .value_kind:     hidden_group_size_y
      - .offset:         112
        .size:           2
        .value_kind:     hidden_group_size_z
      - .offset:         114
        .size:           2
        .value_kind:     hidden_remainder_x
      - .offset:         116
        .size:           2
        .value_kind:     hidden_remainder_y
      - .offset:         118
        .size:           2
        .value_kind:     hidden_remainder_z
      - .offset:         136
        .size:           8
        .value_kind:     hidden_global_offset_x
      - .offset:         144
        .size:           8
        .value_kind:     hidden_global_offset_y
      - .offset:         152
        .size:           8
        .value_kind:     hidden_global_offset_z
      - .offset:         160
        .size:           2
        .value_kind:     hidden_grid_dims
    .group_segment_fixed_size: 9232
    .kernarg_segment_align: 8
    .kernarg_segment_size: 352
    .language:       OpenCL C
    .language_version:
      - 2
      - 0
    .max_flat_workgroup_size: 256
    .name:           _ZN7rocprim17ROCPRIM_400000_NS6detail17trampoline_kernelINS0_14default_configENS1_36segmented_radix_sort_config_selectorIhlEEZNS1_25segmented_radix_sort_implIS3_Lb0EPKhPhPKlPlN2at6native12_GLOBAL__N_18offset_tEEE10hipError_tPvRmT1_PNSt15iterator_traitsISK_E10value_typeET2_T3_PNSL_ISQ_E10value_typeET4_jRbjT5_SW_jjP12ihipStream_tbEUlT_E_NS1_11comp_targetILNS1_3genE2ELNS1_11target_archE906ELNS1_3gpuE6ELNS1_3repE0EEENS1_30default_config_static_selectorELNS0_4arch9wavefront6targetE1EEEvSK_
    .private_segment_fixed_size: 0
    .sgpr_count:     79
    .sgpr_spill_count: 0
    .symbol:         _ZN7rocprim17ROCPRIM_400000_NS6detail17trampoline_kernelINS0_14default_configENS1_36segmented_radix_sort_config_selectorIhlEEZNS1_25segmented_radix_sort_implIS3_Lb0EPKhPhPKlPlN2at6native12_GLOBAL__N_18offset_tEEE10hipError_tPvRmT1_PNSt15iterator_traitsISK_E10value_typeET2_T3_PNSL_ISQ_E10value_typeET4_jRbjT5_SW_jjP12ihipStream_tbEUlT_E_NS1_11comp_targetILNS1_3genE2ELNS1_11target_archE906ELNS1_3gpuE6ELNS1_3repE0EEENS1_30default_config_static_selectorELNS0_4arch9wavefront6targetE1EEEvSK_.kd
    .uniform_work_group_size: 1
    .uses_dynamic_stack: false
    .vgpr_count:     97
    .vgpr_spill_count: 0
    .wavefront_size: 64
  - .args:
      - .offset:         0
        .size:           96
        .value_kind:     by_value
    .group_segment_fixed_size: 0
    .kernarg_segment_align: 8
    .kernarg_segment_size: 96
    .language:       OpenCL C
    .language_version:
      - 2
      - 0
    .max_flat_workgroup_size: 256
    .name:           _ZN7rocprim17ROCPRIM_400000_NS6detail17trampoline_kernelINS0_14default_configENS1_36segmented_radix_sort_config_selectorIhlEEZNS1_25segmented_radix_sort_implIS3_Lb0EPKhPhPKlPlN2at6native12_GLOBAL__N_18offset_tEEE10hipError_tPvRmT1_PNSt15iterator_traitsISK_E10value_typeET2_T3_PNSL_ISQ_E10value_typeET4_jRbjT5_SW_jjP12ihipStream_tbEUlT_E_NS1_11comp_targetILNS1_3genE10ELNS1_11target_archE1201ELNS1_3gpuE5ELNS1_3repE0EEENS1_30default_config_static_selectorELNS0_4arch9wavefront6targetE1EEEvSK_
    .private_segment_fixed_size: 0
    .sgpr_count:     4
    .sgpr_spill_count: 0
    .symbol:         _ZN7rocprim17ROCPRIM_400000_NS6detail17trampoline_kernelINS0_14default_configENS1_36segmented_radix_sort_config_selectorIhlEEZNS1_25segmented_radix_sort_implIS3_Lb0EPKhPhPKlPlN2at6native12_GLOBAL__N_18offset_tEEE10hipError_tPvRmT1_PNSt15iterator_traitsISK_E10value_typeET2_T3_PNSL_ISQ_E10value_typeET4_jRbjT5_SW_jjP12ihipStream_tbEUlT_E_NS1_11comp_targetILNS1_3genE10ELNS1_11target_archE1201ELNS1_3gpuE5ELNS1_3repE0EEENS1_30default_config_static_selectorELNS0_4arch9wavefront6targetE1EEEvSK_.kd
    .uniform_work_group_size: 1
    .uses_dynamic_stack: false
    .vgpr_count:     0
    .vgpr_spill_count: 0
    .wavefront_size: 64
  - .args:
      - .offset:         0
        .size:           96
        .value_kind:     by_value
    .group_segment_fixed_size: 0
    .kernarg_segment_align: 8
    .kernarg_segment_size: 96
    .language:       OpenCL C
    .language_version:
      - 2
      - 0
    .max_flat_workgroup_size: 128
    .name:           _ZN7rocprim17ROCPRIM_400000_NS6detail17trampoline_kernelINS0_14default_configENS1_36segmented_radix_sort_config_selectorIhlEEZNS1_25segmented_radix_sort_implIS3_Lb0EPKhPhPKlPlN2at6native12_GLOBAL__N_18offset_tEEE10hipError_tPvRmT1_PNSt15iterator_traitsISK_E10value_typeET2_T3_PNSL_ISQ_E10value_typeET4_jRbjT5_SW_jjP12ihipStream_tbEUlT_E_NS1_11comp_targetILNS1_3genE10ELNS1_11target_archE1200ELNS1_3gpuE4ELNS1_3repE0EEENS1_30default_config_static_selectorELNS0_4arch9wavefront6targetE1EEEvSK_
    .private_segment_fixed_size: 0
    .sgpr_count:     4
    .sgpr_spill_count: 0
    .symbol:         _ZN7rocprim17ROCPRIM_400000_NS6detail17trampoline_kernelINS0_14default_configENS1_36segmented_radix_sort_config_selectorIhlEEZNS1_25segmented_radix_sort_implIS3_Lb0EPKhPhPKlPlN2at6native12_GLOBAL__N_18offset_tEEE10hipError_tPvRmT1_PNSt15iterator_traitsISK_E10value_typeET2_T3_PNSL_ISQ_E10value_typeET4_jRbjT5_SW_jjP12ihipStream_tbEUlT_E_NS1_11comp_targetILNS1_3genE10ELNS1_11target_archE1200ELNS1_3gpuE4ELNS1_3repE0EEENS1_30default_config_static_selectorELNS0_4arch9wavefront6targetE1EEEvSK_.kd
    .uniform_work_group_size: 1
    .uses_dynamic_stack: false
    .vgpr_count:     0
    .vgpr_spill_count: 0
    .wavefront_size: 64
  - .args:
      - .offset:         0
        .size:           96
        .value_kind:     by_value
    .group_segment_fixed_size: 0
    .kernarg_segment_align: 8
    .kernarg_segment_size: 96
    .language:       OpenCL C
    .language_version:
      - 2
      - 0
    .max_flat_workgroup_size: 256
    .name:           _ZN7rocprim17ROCPRIM_400000_NS6detail17trampoline_kernelINS0_14default_configENS1_36segmented_radix_sort_config_selectorIhlEEZNS1_25segmented_radix_sort_implIS3_Lb0EPKhPhPKlPlN2at6native12_GLOBAL__N_18offset_tEEE10hipError_tPvRmT1_PNSt15iterator_traitsISK_E10value_typeET2_T3_PNSL_ISQ_E10value_typeET4_jRbjT5_SW_jjP12ihipStream_tbEUlT_E_NS1_11comp_targetILNS1_3genE9ELNS1_11target_archE1100ELNS1_3gpuE3ELNS1_3repE0EEENS1_30default_config_static_selectorELNS0_4arch9wavefront6targetE1EEEvSK_
    .private_segment_fixed_size: 0
    .sgpr_count:     4
    .sgpr_spill_count: 0
    .symbol:         _ZN7rocprim17ROCPRIM_400000_NS6detail17trampoline_kernelINS0_14default_configENS1_36segmented_radix_sort_config_selectorIhlEEZNS1_25segmented_radix_sort_implIS3_Lb0EPKhPhPKlPlN2at6native12_GLOBAL__N_18offset_tEEE10hipError_tPvRmT1_PNSt15iterator_traitsISK_E10value_typeET2_T3_PNSL_ISQ_E10value_typeET4_jRbjT5_SW_jjP12ihipStream_tbEUlT_E_NS1_11comp_targetILNS1_3genE9ELNS1_11target_archE1100ELNS1_3gpuE3ELNS1_3repE0EEENS1_30default_config_static_selectorELNS0_4arch9wavefront6targetE1EEEvSK_.kd
    .uniform_work_group_size: 1
    .uses_dynamic_stack: false
    .vgpr_count:     0
    .vgpr_spill_count: 0
    .wavefront_size: 64
  - .args:
      - .offset:         0
        .size:           96
        .value_kind:     by_value
    .group_segment_fixed_size: 0
    .kernarg_segment_align: 8
    .kernarg_segment_size: 96
    .language:       OpenCL C
    .language_version:
      - 2
      - 0
    .max_flat_workgroup_size: 256
    .name:           _ZN7rocprim17ROCPRIM_400000_NS6detail17trampoline_kernelINS0_14default_configENS1_36segmented_radix_sort_config_selectorIhlEEZNS1_25segmented_radix_sort_implIS3_Lb0EPKhPhPKlPlN2at6native12_GLOBAL__N_18offset_tEEE10hipError_tPvRmT1_PNSt15iterator_traitsISK_E10value_typeET2_T3_PNSL_ISQ_E10value_typeET4_jRbjT5_SW_jjP12ihipStream_tbEUlT_E_NS1_11comp_targetILNS1_3genE8ELNS1_11target_archE1030ELNS1_3gpuE2ELNS1_3repE0EEENS1_30default_config_static_selectorELNS0_4arch9wavefront6targetE1EEEvSK_
    .private_segment_fixed_size: 0
    .sgpr_count:     4
    .sgpr_spill_count: 0
    .symbol:         _ZN7rocprim17ROCPRIM_400000_NS6detail17trampoline_kernelINS0_14default_configENS1_36segmented_radix_sort_config_selectorIhlEEZNS1_25segmented_radix_sort_implIS3_Lb0EPKhPhPKlPlN2at6native12_GLOBAL__N_18offset_tEEE10hipError_tPvRmT1_PNSt15iterator_traitsISK_E10value_typeET2_T3_PNSL_ISQ_E10value_typeET4_jRbjT5_SW_jjP12ihipStream_tbEUlT_E_NS1_11comp_targetILNS1_3genE8ELNS1_11target_archE1030ELNS1_3gpuE2ELNS1_3repE0EEENS1_30default_config_static_selectorELNS0_4arch9wavefront6targetE1EEEvSK_.kd
    .uniform_work_group_size: 1
    .uses_dynamic_stack: false
    .vgpr_count:     0
    .vgpr_spill_count: 0
    .wavefront_size: 64
  - .args:
      - .offset:         0
        .size:           88
        .value_kind:     by_value
    .group_segment_fixed_size: 0
    .kernarg_segment_align: 8
    .kernarg_segment_size: 88
    .language:       OpenCL C
    .language_version:
      - 2
      - 0
    .max_flat_workgroup_size: 256
    .name:           _ZN7rocprim17ROCPRIM_400000_NS6detail17trampoline_kernelINS0_14default_configENS1_36segmented_radix_sort_config_selectorIhlEEZNS1_25segmented_radix_sort_implIS3_Lb0EPKhPhPKlPlN2at6native12_GLOBAL__N_18offset_tEEE10hipError_tPvRmT1_PNSt15iterator_traitsISK_E10value_typeET2_T3_PNSL_ISQ_E10value_typeET4_jRbjT5_SW_jjP12ihipStream_tbEUlT_E0_NS1_11comp_targetILNS1_3genE0ELNS1_11target_archE4294967295ELNS1_3gpuE0ELNS1_3repE0EEENS1_60segmented_radix_sort_warp_sort_medium_config_static_selectorELNS0_4arch9wavefront6targetE1EEEvSK_
    .private_segment_fixed_size: 0
    .sgpr_count:     4
    .sgpr_spill_count: 0
    .symbol:         _ZN7rocprim17ROCPRIM_400000_NS6detail17trampoline_kernelINS0_14default_configENS1_36segmented_radix_sort_config_selectorIhlEEZNS1_25segmented_radix_sort_implIS3_Lb0EPKhPhPKlPlN2at6native12_GLOBAL__N_18offset_tEEE10hipError_tPvRmT1_PNSt15iterator_traitsISK_E10value_typeET2_T3_PNSL_ISQ_E10value_typeET4_jRbjT5_SW_jjP12ihipStream_tbEUlT_E0_NS1_11comp_targetILNS1_3genE0ELNS1_11target_archE4294967295ELNS1_3gpuE0ELNS1_3repE0EEENS1_60segmented_radix_sort_warp_sort_medium_config_static_selectorELNS0_4arch9wavefront6targetE1EEEvSK_.kd
    .uniform_work_group_size: 1
    .uses_dynamic_stack: false
    .vgpr_count:     0
    .vgpr_spill_count: 0
    .wavefront_size: 64
  - .args:
      - .offset:         0
        .size:           88
        .value_kind:     by_value
    .group_segment_fixed_size: 0
    .kernarg_segment_align: 8
    .kernarg_segment_size: 88
    .language:       OpenCL C
    .language_version:
      - 2
      - 0
    .max_flat_workgroup_size: 256
    .name:           _ZN7rocprim17ROCPRIM_400000_NS6detail17trampoline_kernelINS0_14default_configENS1_36segmented_radix_sort_config_selectorIhlEEZNS1_25segmented_radix_sort_implIS3_Lb0EPKhPhPKlPlN2at6native12_GLOBAL__N_18offset_tEEE10hipError_tPvRmT1_PNSt15iterator_traitsISK_E10value_typeET2_T3_PNSL_ISQ_E10value_typeET4_jRbjT5_SW_jjP12ihipStream_tbEUlT_E0_NS1_11comp_targetILNS1_3genE5ELNS1_11target_archE942ELNS1_3gpuE9ELNS1_3repE0EEENS1_60segmented_radix_sort_warp_sort_medium_config_static_selectorELNS0_4arch9wavefront6targetE1EEEvSK_
    .private_segment_fixed_size: 0
    .sgpr_count:     4
    .sgpr_spill_count: 0
    .symbol:         _ZN7rocprim17ROCPRIM_400000_NS6detail17trampoline_kernelINS0_14default_configENS1_36segmented_radix_sort_config_selectorIhlEEZNS1_25segmented_radix_sort_implIS3_Lb0EPKhPhPKlPlN2at6native12_GLOBAL__N_18offset_tEEE10hipError_tPvRmT1_PNSt15iterator_traitsISK_E10value_typeET2_T3_PNSL_ISQ_E10value_typeET4_jRbjT5_SW_jjP12ihipStream_tbEUlT_E0_NS1_11comp_targetILNS1_3genE5ELNS1_11target_archE942ELNS1_3gpuE9ELNS1_3repE0EEENS1_60segmented_radix_sort_warp_sort_medium_config_static_selectorELNS0_4arch9wavefront6targetE1EEEvSK_.kd
    .uniform_work_group_size: 1
    .uses_dynamic_stack: false
    .vgpr_count:     0
    .vgpr_spill_count: 0
    .wavefront_size: 64
  - .args:
      - .offset:         0
        .size:           88
        .value_kind:     by_value
    .group_segment_fixed_size: 0
    .kernarg_segment_align: 8
    .kernarg_segment_size: 88
    .language:       OpenCL C
    .language_version:
      - 2
      - 0
    .max_flat_workgroup_size: 256
    .name:           _ZN7rocprim17ROCPRIM_400000_NS6detail17trampoline_kernelINS0_14default_configENS1_36segmented_radix_sort_config_selectorIhlEEZNS1_25segmented_radix_sort_implIS3_Lb0EPKhPhPKlPlN2at6native12_GLOBAL__N_18offset_tEEE10hipError_tPvRmT1_PNSt15iterator_traitsISK_E10value_typeET2_T3_PNSL_ISQ_E10value_typeET4_jRbjT5_SW_jjP12ihipStream_tbEUlT_E0_NS1_11comp_targetILNS1_3genE4ELNS1_11target_archE910ELNS1_3gpuE8ELNS1_3repE0EEENS1_60segmented_radix_sort_warp_sort_medium_config_static_selectorELNS0_4arch9wavefront6targetE1EEEvSK_
    .private_segment_fixed_size: 0
    .sgpr_count:     4
    .sgpr_spill_count: 0
    .symbol:         _ZN7rocprim17ROCPRIM_400000_NS6detail17trampoline_kernelINS0_14default_configENS1_36segmented_radix_sort_config_selectorIhlEEZNS1_25segmented_radix_sort_implIS3_Lb0EPKhPhPKlPlN2at6native12_GLOBAL__N_18offset_tEEE10hipError_tPvRmT1_PNSt15iterator_traitsISK_E10value_typeET2_T3_PNSL_ISQ_E10value_typeET4_jRbjT5_SW_jjP12ihipStream_tbEUlT_E0_NS1_11comp_targetILNS1_3genE4ELNS1_11target_archE910ELNS1_3gpuE8ELNS1_3repE0EEENS1_60segmented_radix_sort_warp_sort_medium_config_static_selectorELNS0_4arch9wavefront6targetE1EEEvSK_.kd
    .uniform_work_group_size: 1
    .uses_dynamic_stack: false
    .vgpr_count:     0
    .vgpr_spill_count: 0
    .wavefront_size: 64
  - .args:
      - .offset:         0
        .size:           88
        .value_kind:     by_value
    .group_segment_fixed_size: 0
    .kernarg_segment_align: 8
    .kernarg_segment_size: 88
    .language:       OpenCL C
    .language_version:
      - 2
      - 0
    .max_flat_workgroup_size: 256
    .name:           _ZN7rocprim17ROCPRIM_400000_NS6detail17trampoline_kernelINS0_14default_configENS1_36segmented_radix_sort_config_selectorIhlEEZNS1_25segmented_radix_sort_implIS3_Lb0EPKhPhPKlPlN2at6native12_GLOBAL__N_18offset_tEEE10hipError_tPvRmT1_PNSt15iterator_traitsISK_E10value_typeET2_T3_PNSL_ISQ_E10value_typeET4_jRbjT5_SW_jjP12ihipStream_tbEUlT_E0_NS1_11comp_targetILNS1_3genE3ELNS1_11target_archE908ELNS1_3gpuE7ELNS1_3repE0EEENS1_60segmented_radix_sort_warp_sort_medium_config_static_selectorELNS0_4arch9wavefront6targetE1EEEvSK_
    .private_segment_fixed_size: 0
    .sgpr_count:     4
    .sgpr_spill_count: 0
    .symbol:         _ZN7rocprim17ROCPRIM_400000_NS6detail17trampoline_kernelINS0_14default_configENS1_36segmented_radix_sort_config_selectorIhlEEZNS1_25segmented_radix_sort_implIS3_Lb0EPKhPhPKlPlN2at6native12_GLOBAL__N_18offset_tEEE10hipError_tPvRmT1_PNSt15iterator_traitsISK_E10value_typeET2_T3_PNSL_ISQ_E10value_typeET4_jRbjT5_SW_jjP12ihipStream_tbEUlT_E0_NS1_11comp_targetILNS1_3genE3ELNS1_11target_archE908ELNS1_3gpuE7ELNS1_3repE0EEENS1_60segmented_radix_sort_warp_sort_medium_config_static_selectorELNS0_4arch9wavefront6targetE1EEEvSK_.kd
    .uniform_work_group_size: 1
    .uses_dynamic_stack: false
    .vgpr_count:     0
    .vgpr_spill_count: 0
    .wavefront_size: 64
  - .args:
      - .offset:         0
        .size:           88
        .value_kind:     by_value
      - .offset:         88
        .size:           4
        .value_kind:     hidden_block_count_x
      - .offset:         92
        .size:           4
        .value_kind:     hidden_block_count_y
      - .offset:         96
        .size:           4
        .value_kind:     hidden_block_count_z
      - .offset:         100
        .size:           2
        .value_kind:     hidden_group_size_x
      - .offset:         102
        .size:           2
        .value_kind:     hidden_group_size_y
      - .offset:         104
        .size:           2
        .value_kind:     hidden_group_size_z
      - .offset:         106
        .size:           2
        .value_kind:     hidden_remainder_x
      - .offset:         108
        .size:           2
        .value_kind:     hidden_remainder_y
      - .offset:         110
        .size:           2
        .value_kind:     hidden_remainder_z
      - .offset:         128
        .size:           8
        .value_kind:     hidden_global_offset_x
      - .offset:         136
        .size:           8
        .value_kind:     hidden_global_offset_y
      - .offset:         144
        .size:           8
        .value_kind:     hidden_global_offset_z
      - .offset:         152
        .size:           2
        .value_kind:     hidden_grid_dims
    .group_segment_fixed_size: 18432
    .kernarg_segment_align: 8
    .kernarg_segment_size: 344
    .language:       OpenCL C
    .language_version:
      - 2
      - 0
    .max_flat_workgroup_size: 256
    .name:           _ZN7rocprim17ROCPRIM_400000_NS6detail17trampoline_kernelINS0_14default_configENS1_36segmented_radix_sort_config_selectorIhlEEZNS1_25segmented_radix_sort_implIS3_Lb0EPKhPhPKlPlN2at6native12_GLOBAL__N_18offset_tEEE10hipError_tPvRmT1_PNSt15iterator_traitsISK_E10value_typeET2_T3_PNSL_ISQ_E10value_typeET4_jRbjT5_SW_jjP12ihipStream_tbEUlT_E0_NS1_11comp_targetILNS1_3genE2ELNS1_11target_archE906ELNS1_3gpuE6ELNS1_3repE0EEENS1_60segmented_radix_sort_warp_sort_medium_config_static_selectorELNS0_4arch9wavefront6targetE1EEEvSK_
    .private_segment_fixed_size: 0
    .sgpr_count:     66
    .sgpr_spill_count: 0
    .symbol:         _ZN7rocprim17ROCPRIM_400000_NS6detail17trampoline_kernelINS0_14default_configENS1_36segmented_radix_sort_config_selectorIhlEEZNS1_25segmented_radix_sort_implIS3_Lb0EPKhPhPKlPlN2at6native12_GLOBAL__N_18offset_tEEE10hipError_tPvRmT1_PNSt15iterator_traitsISK_E10value_typeET2_T3_PNSL_ISQ_E10value_typeET4_jRbjT5_SW_jjP12ihipStream_tbEUlT_E0_NS1_11comp_targetILNS1_3genE2ELNS1_11target_archE906ELNS1_3gpuE6ELNS1_3repE0EEENS1_60segmented_radix_sort_warp_sort_medium_config_static_selectorELNS0_4arch9wavefront6targetE1EEEvSK_.kd
    .uniform_work_group_size: 1
    .uses_dynamic_stack: false
    .vgpr_count:     68
    .vgpr_spill_count: 0
    .wavefront_size: 64
  - .args:
      - .offset:         0
        .size:           88
        .value_kind:     by_value
    .group_segment_fixed_size: 0
    .kernarg_segment_align: 8
    .kernarg_segment_size: 88
    .language:       OpenCL C
    .language_version:
      - 2
      - 0
    .max_flat_workgroup_size: 256
    .name:           _ZN7rocprim17ROCPRIM_400000_NS6detail17trampoline_kernelINS0_14default_configENS1_36segmented_radix_sort_config_selectorIhlEEZNS1_25segmented_radix_sort_implIS3_Lb0EPKhPhPKlPlN2at6native12_GLOBAL__N_18offset_tEEE10hipError_tPvRmT1_PNSt15iterator_traitsISK_E10value_typeET2_T3_PNSL_ISQ_E10value_typeET4_jRbjT5_SW_jjP12ihipStream_tbEUlT_E0_NS1_11comp_targetILNS1_3genE10ELNS1_11target_archE1201ELNS1_3gpuE5ELNS1_3repE0EEENS1_60segmented_radix_sort_warp_sort_medium_config_static_selectorELNS0_4arch9wavefront6targetE1EEEvSK_
    .private_segment_fixed_size: 0
    .sgpr_count:     4
    .sgpr_spill_count: 0
    .symbol:         _ZN7rocprim17ROCPRIM_400000_NS6detail17trampoline_kernelINS0_14default_configENS1_36segmented_radix_sort_config_selectorIhlEEZNS1_25segmented_radix_sort_implIS3_Lb0EPKhPhPKlPlN2at6native12_GLOBAL__N_18offset_tEEE10hipError_tPvRmT1_PNSt15iterator_traitsISK_E10value_typeET2_T3_PNSL_ISQ_E10value_typeET4_jRbjT5_SW_jjP12ihipStream_tbEUlT_E0_NS1_11comp_targetILNS1_3genE10ELNS1_11target_archE1201ELNS1_3gpuE5ELNS1_3repE0EEENS1_60segmented_radix_sort_warp_sort_medium_config_static_selectorELNS0_4arch9wavefront6targetE1EEEvSK_.kd
    .uniform_work_group_size: 1
    .uses_dynamic_stack: false
    .vgpr_count:     0
    .vgpr_spill_count: 0
    .wavefront_size: 64
  - .args:
      - .offset:         0
        .size:           88
        .value_kind:     by_value
    .group_segment_fixed_size: 0
    .kernarg_segment_align: 8
    .kernarg_segment_size: 88
    .language:       OpenCL C
    .language_version:
      - 2
      - 0
    .max_flat_workgroup_size: 256
    .name:           _ZN7rocprim17ROCPRIM_400000_NS6detail17trampoline_kernelINS0_14default_configENS1_36segmented_radix_sort_config_selectorIhlEEZNS1_25segmented_radix_sort_implIS3_Lb0EPKhPhPKlPlN2at6native12_GLOBAL__N_18offset_tEEE10hipError_tPvRmT1_PNSt15iterator_traitsISK_E10value_typeET2_T3_PNSL_ISQ_E10value_typeET4_jRbjT5_SW_jjP12ihipStream_tbEUlT_E0_NS1_11comp_targetILNS1_3genE10ELNS1_11target_archE1200ELNS1_3gpuE4ELNS1_3repE0EEENS1_60segmented_radix_sort_warp_sort_medium_config_static_selectorELNS0_4arch9wavefront6targetE1EEEvSK_
    .private_segment_fixed_size: 0
    .sgpr_count:     4
    .sgpr_spill_count: 0
    .symbol:         _ZN7rocprim17ROCPRIM_400000_NS6detail17trampoline_kernelINS0_14default_configENS1_36segmented_radix_sort_config_selectorIhlEEZNS1_25segmented_radix_sort_implIS3_Lb0EPKhPhPKlPlN2at6native12_GLOBAL__N_18offset_tEEE10hipError_tPvRmT1_PNSt15iterator_traitsISK_E10value_typeET2_T3_PNSL_ISQ_E10value_typeET4_jRbjT5_SW_jjP12ihipStream_tbEUlT_E0_NS1_11comp_targetILNS1_3genE10ELNS1_11target_archE1200ELNS1_3gpuE4ELNS1_3repE0EEENS1_60segmented_radix_sort_warp_sort_medium_config_static_selectorELNS0_4arch9wavefront6targetE1EEEvSK_.kd
    .uniform_work_group_size: 1
    .uses_dynamic_stack: false
    .vgpr_count:     0
    .vgpr_spill_count: 0
    .wavefront_size: 64
  - .args:
      - .offset:         0
        .size:           88
        .value_kind:     by_value
    .group_segment_fixed_size: 0
    .kernarg_segment_align: 8
    .kernarg_segment_size: 88
    .language:       OpenCL C
    .language_version:
      - 2
      - 0
    .max_flat_workgroup_size: 256
    .name:           _ZN7rocprim17ROCPRIM_400000_NS6detail17trampoline_kernelINS0_14default_configENS1_36segmented_radix_sort_config_selectorIhlEEZNS1_25segmented_radix_sort_implIS3_Lb0EPKhPhPKlPlN2at6native12_GLOBAL__N_18offset_tEEE10hipError_tPvRmT1_PNSt15iterator_traitsISK_E10value_typeET2_T3_PNSL_ISQ_E10value_typeET4_jRbjT5_SW_jjP12ihipStream_tbEUlT_E0_NS1_11comp_targetILNS1_3genE9ELNS1_11target_archE1100ELNS1_3gpuE3ELNS1_3repE0EEENS1_60segmented_radix_sort_warp_sort_medium_config_static_selectorELNS0_4arch9wavefront6targetE1EEEvSK_
    .private_segment_fixed_size: 0
    .sgpr_count:     4
    .sgpr_spill_count: 0
    .symbol:         _ZN7rocprim17ROCPRIM_400000_NS6detail17trampoline_kernelINS0_14default_configENS1_36segmented_radix_sort_config_selectorIhlEEZNS1_25segmented_radix_sort_implIS3_Lb0EPKhPhPKlPlN2at6native12_GLOBAL__N_18offset_tEEE10hipError_tPvRmT1_PNSt15iterator_traitsISK_E10value_typeET2_T3_PNSL_ISQ_E10value_typeET4_jRbjT5_SW_jjP12ihipStream_tbEUlT_E0_NS1_11comp_targetILNS1_3genE9ELNS1_11target_archE1100ELNS1_3gpuE3ELNS1_3repE0EEENS1_60segmented_radix_sort_warp_sort_medium_config_static_selectorELNS0_4arch9wavefront6targetE1EEEvSK_.kd
    .uniform_work_group_size: 1
    .uses_dynamic_stack: false
    .vgpr_count:     0
    .vgpr_spill_count: 0
    .wavefront_size: 64
  - .args:
      - .offset:         0
        .size:           88
        .value_kind:     by_value
    .group_segment_fixed_size: 0
    .kernarg_segment_align: 8
    .kernarg_segment_size: 88
    .language:       OpenCL C
    .language_version:
      - 2
      - 0
    .max_flat_workgroup_size: 256
    .name:           _ZN7rocprim17ROCPRIM_400000_NS6detail17trampoline_kernelINS0_14default_configENS1_36segmented_radix_sort_config_selectorIhlEEZNS1_25segmented_radix_sort_implIS3_Lb0EPKhPhPKlPlN2at6native12_GLOBAL__N_18offset_tEEE10hipError_tPvRmT1_PNSt15iterator_traitsISK_E10value_typeET2_T3_PNSL_ISQ_E10value_typeET4_jRbjT5_SW_jjP12ihipStream_tbEUlT_E0_NS1_11comp_targetILNS1_3genE8ELNS1_11target_archE1030ELNS1_3gpuE2ELNS1_3repE0EEENS1_60segmented_radix_sort_warp_sort_medium_config_static_selectorELNS0_4arch9wavefront6targetE1EEEvSK_
    .private_segment_fixed_size: 0
    .sgpr_count:     4
    .sgpr_spill_count: 0
    .symbol:         _ZN7rocprim17ROCPRIM_400000_NS6detail17trampoline_kernelINS0_14default_configENS1_36segmented_radix_sort_config_selectorIhlEEZNS1_25segmented_radix_sort_implIS3_Lb0EPKhPhPKlPlN2at6native12_GLOBAL__N_18offset_tEEE10hipError_tPvRmT1_PNSt15iterator_traitsISK_E10value_typeET2_T3_PNSL_ISQ_E10value_typeET4_jRbjT5_SW_jjP12ihipStream_tbEUlT_E0_NS1_11comp_targetILNS1_3genE8ELNS1_11target_archE1030ELNS1_3gpuE2ELNS1_3repE0EEENS1_60segmented_radix_sort_warp_sort_medium_config_static_selectorELNS0_4arch9wavefront6targetE1EEEvSK_.kd
    .uniform_work_group_size: 1
    .uses_dynamic_stack: false
    .vgpr_count:     0
    .vgpr_spill_count: 0
    .wavefront_size: 64
  - .args:
      - .offset:         0
        .size:           88
        .value_kind:     by_value
    .group_segment_fixed_size: 0
    .kernarg_segment_align: 8
    .kernarg_segment_size: 88
    .language:       OpenCL C
    .language_version:
      - 2
      - 0
    .max_flat_workgroup_size: 256
    .name:           _ZN7rocprim17ROCPRIM_400000_NS6detail17trampoline_kernelINS0_14default_configENS1_36segmented_radix_sort_config_selectorIhlEEZNS1_25segmented_radix_sort_implIS3_Lb0EPKhPhPKlPlN2at6native12_GLOBAL__N_18offset_tEEE10hipError_tPvRmT1_PNSt15iterator_traitsISK_E10value_typeET2_T3_PNSL_ISQ_E10value_typeET4_jRbjT5_SW_jjP12ihipStream_tbEUlT_E1_NS1_11comp_targetILNS1_3genE0ELNS1_11target_archE4294967295ELNS1_3gpuE0ELNS1_3repE0EEENS1_59segmented_radix_sort_warp_sort_small_config_static_selectorELNS0_4arch9wavefront6targetE1EEEvSK_
    .private_segment_fixed_size: 0
    .sgpr_count:     4
    .sgpr_spill_count: 0
    .symbol:         _ZN7rocprim17ROCPRIM_400000_NS6detail17trampoline_kernelINS0_14default_configENS1_36segmented_radix_sort_config_selectorIhlEEZNS1_25segmented_radix_sort_implIS3_Lb0EPKhPhPKlPlN2at6native12_GLOBAL__N_18offset_tEEE10hipError_tPvRmT1_PNSt15iterator_traitsISK_E10value_typeET2_T3_PNSL_ISQ_E10value_typeET4_jRbjT5_SW_jjP12ihipStream_tbEUlT_E1_NS1_11comp_targetILNS1_3genE0ELNS1_11target_archE4294967295ELNS1_3gpuE0ELNS1_3repE0EEENS1_59segmented_radix_sort_warp_sort_small_config_static_selectorELNS0_4arch9wavefront6targetE1EEEvSK_.kd
    .uniform_work_group_size: 1
    .uses_dynamic_stack: false
    .vgpr_count:     0
    .vgpr_spill_count: 0
    .wavefront_size: 64
  - .args:
      - .offset:         0
        .size:           88
        .value_kind:     by_value
    .group_segment_fixed_size: 0
    .kernarg_segment_align: 8
    .kernarg_segment_size: 88
    .language:       OpenCL C
    .language_version:
      - 2
      - 0
    .max_flat_workgroup_size: 256
    .name:           _ZN7rocprim17ROCPRIM_400000_NS6detail17trampoline_kernelINS0_14default_configENS1_36segmented_radix_sort_config_selectorIhlEEZNS1_25segmented_radix_sort_implIS3_Lb0EPKhPhPKlPlN2at6native12_GLOBAL__N_18offset_tEEE10hipError_tPvRmT1_PNSt15iterator_traitsISK_E10value_typeET2_T3_PNSL_ISQ_E10value_typeET4_jRbjT5_SW_jjP12ihipStream_tbEUlT_E1_NS1_11comp_targetILNS1_3genE5ELNS1_11target_archE942ELNS1_3gpuE9ELNS1_3repE0EEENS1_59segmented_radix_sort_warp_sort_small_config_static_selectorELNS0_4arch9wavefront6targetE1EEEvSK_
    .private_segment_fixed_size: 0
    .sgpr_count:     4
    .sgpr_spill_count: 0
    .symbol:         _ZN7rocprim17ROCPRIM_400000_NS6detail17trampoline_kernelINS0_14default_configENS1_36segmented_radix_sort_config_selectorIhlEEZNS1_25segmented_radix_sort_implIS3_Lb0EPKhPhPKlPlN2at6native12_GLOBAL__N_18offset_tEEE10hipError_tPvRmT1_PNSt15iterator_traitsISK_E10value_typeET2_T3_PNSL_ISQ_E10value_typeET4_jRbjT5_SW_jjP12ihipStream_tbEUlT_E1_NS1_11comp_targetILNS1_3genE5ELNS1_11target_archE942ELNS1_3gpuE9ELNS1_3repE0EEENS1_59segmented_radix_sort_warp_sort_small_config_static_selectorELNS0_4arch9wavefront6targetE1EEEvSK_.kd
    .uniform_work_group_size: 1
    .uses_dynamic_stack: false
    .vgpr_count:     0
    .vgpr_spill_count: 0
    .wavefront_size: 64
  - .args:
      - .offset:         0
        .size:           88
        .value_kind:     by_value
    .group_segment_fixed_size: 0
    .kernarg_segment_align: 8
    .kernarg_segment_size: 88
    .language:       OpenCL C
    .language_version:
      - 2
      - 0
    .max_flat_workgroup_size: 256
    .name:           _ZN7rocprim17ROCPRIM_400000_NS6detail17trampoline_kernelINS0_14default_configENS1_36segmented_radix_sort_config_selectorIhlEEZNS1_25segmented_radix_sort_implIS3_Lb0EPKhPhPKlPlN2at6native12_GLOBAL__N_18offset_tEEE10hipError_tPvRmT1_PNSt15iterator_traitsISK_E10value_typeET2_T3_PNSL_ISQ_E10value_typeET4_jRbjT5_SW_jjP12ihipStream_tbEUlT_E1_NS1_11comp_targetILNS1_3genE4ELNS1_11target_archE910ELNS1_3gpuE8ELNS1_3repE0EEENS1_59segmented_radix_sort_warp_sort_small_config_static_selectorELNS0_4arch9wavefront6targetE1EEEvSK_
    .private_segment_fixed_size: 0
    .sgpr_count:     4
    .sgpr_spill_count: 0
    .symbol:         _ZN7rocprim17ROCPRIM_400000_NS6detail17trampoline_kernelINS0_14default_configENS1_36segmented_radix_sort_config_selectorIhlEEZNS1_25segmented_radix_sort_implIS3_Lb0EPKhPhPKlPlN2at6native12_GLOBAL__N_18offset_tEEE10hipError_tPvRmT1_PNSt15iterator_traitsISK_E10value_typeET2_T3_PNSL_ISQ_E10value_typeET4_jRbjT5_SW_jjP12ihipStream_tbEUlT_E1_NS1_11comp_targetILNS1_3genE4ELNS1_11target_archE910ELNS1_3gpuE8ELNS1_3repE0EEENS1_59segmented_radix_sort_warp_sort_small_config_static_selectorELNS0_4arch9wavefront6targetE1EEEvSK_.kd
    .uniform_work_group_size: 1
    .uses_dynamic_stack: false
    .vgpr_count:     0
    .vgpr_spill_count: 0
    .wavefront_size: 64
  - .args:
      - .offset:         0
        .size:           88
        .value_kind:     by_value
    .group_segment_fixed_size: 0
    .kernarg_segment_align: 8
    .kernarg_segment_size: 88
    .language:       OpenCL C
    .language_version:
      - 2
      - 0
    .max_flat_workgroup_size: 256
    .name:           _ZN7rocprim17ROCPRIM_400000_NS6detail17trampoline_kernelINS0_14default_configENS1_36segmented_radix_sort_config_selectorIhlEEZNS1_25segmented_radix_sort_implIS3_Lb0EPKhPhPKlPlN2at6native12_GLOBAL__N_18offset_tEEE10hipError_tPvRmT1_PNSt15iterator_traitsISK_E10value_typeET2_T3_PNSL_ISQ_E10value_typeET4_jRbjT5_SW_jjP12ihipStream_tbEUlT_E1_NS1_11comp_targetILNS1_3genE3ELNS1_11target_archE908ELNS1_3gpuE7ELNS1_3repE0EEENS1_59segmented_radix_sort_warp_sort_small_config_static_selectorELNS0_4arch9wavefront6targetE1EEEvSK_
    .private_segment_fixed_size: 0
    .sgpr_count:     4
    .sgpr_spill_count: 0
    .symbol:         _ZN7rocprim17ROCPRIM_400000_NS6detail17trampoline_kernelINS0_14default_configENS1_36segmented_radix_sort_config_selectorIhlEEZNS1_25segmented_radix_sort_implIS3_Lb0EPKhPhPKlPlN2at6native12_GLOBAL__N_18offset_tEEE10hipError_tPvRmT1_PNSt15iterator_traitsISK_E10value_typeET2_T3_PNSL_ISQ_E10value_typeET4_jRbjT5_SW_jjP12ihipStream_tbEUlT_E1_NS1_11comp_targetILNS1_3genE3ELNS1_11target_archE908ELNS1_3gpuE7ELNS1_3repE0EEENS1_59segmented_radix_sort_warp_sort_small_config_static_selectorELNS0_4arch9wavefront6targetE1EEEvSK_.kd
    .uniform_work_group_size: 1
    .uses_dynamic_stack: false
    .vgpr_count:     0
    .vgpr_spill_count: 0
    .wavefront_size: 64
  - .args:
      - .offset:         0
        .size:           88
        .value_kind:     by_value
      - .offset:         88
        .size:           4
        .value_kind:     hidden_block_count_x
      - .offset:         92
        .size:           4
        .value_kind:     hidden_block_count_y
      - .offset:         96
        .size:           4
        .value_kind:     hidden_block_count_z
      - .offset:         100
        .size:           2
        .value_kind:     hidden_group_size_x
      - .offset:         102
        .size:           2
        .value_kind:     hidden_group_size_y
      - .offset:         104
        .size:           2
        .value_kind:     hidden_group_size_z
      - .offset:         106
        .size:           2
        .value_kind:     hidden_remainder_x
      - .offset:         108
        .size:           2
        .value_kind:     hidden_remainder_y
      - .offset:         110
        .size:           2
        .value_kind:     hidden_remainder_z
      - .offset:         128
        .size:           8
        .value_kind:     hidden_global_offset_x
      - .offset:         136
        .size:           8
        .value_kind:     hidden_global_offset_y
      - .offset:         144
        .size:           8
        .value_kind:     hidden_global_offset_z
      - .offset:         152
        .size:           2
        .value_kind:     hidden_grid_dims
    .group_segment_fixed_size: 9216
    .kernarg_segment_align: 8
    .kernarg_segment_size: 344
    .language:       OpenCL C
    .language_version:
      - 2
      - 0
    .max_flat_workgroup_size: 256
    .name:           _ZN7rocprim17ROCPRIM_400000_NS6detail17trampoline_kernelINS0_14default_configENS1_36segmented_radix_sort_config_selectorIhlEEZNS1_25segmented_radix_sort_implIS3_Lb0EPKhPhPKlPlN2at6native12_GLOBAL__N_18offset_tEEE10hipError_tPvRmT1_PNSt15iterator_traitsISK_E10value_typeET2_T3_PNSL_ISQ_E10value_typeET4_jRbjT5_SW_jjP12ihipStream_tbEUlT_E1_NS1_11comp_targetILNS1_3genE2ELNS1_11target_archE906ELNS1_3gpuE6ELNS1_3repE0EEENS1_59segmented_radix_sort_warp_sort_small_config_static_selectorELNS0_4arch9wavefront6targetE1EEEvSK_
    .private_segment_fixed_size: 0
    .sgpr_count:     52
    .sgpr_spill_count: 0
    .symbol:         _ZN7rocprim17ROCPRIM_400000_NS6detail17trampoline_kernelINS0_14default_configENS1_36segmented_radix_sort_config_selectorIhlEEZNS1_25segmented_radix_sort_implIS3_Lb0EPKhPhPKlPlN2at6native12_GLOBAL__N_18offset_tEEE10hipError_tPvRmT1_PNSt15iterator_traitsISK_E10value_typeET2_T3_PNSL_ISQ_E10value_typeET4_jRbjT5_SW_jjP12ihipStream_tbEUlT_E1_NS1_11comp_targetILNS1_3genE2ELNS1_11target_archE906ELNS1_3gpuE6ELNS1_3repE0EEENS1_59segmented_radix_sort_warp_sort_small_config_static_selectorELNS0_4arch9wavefront6targetE1EEEvSK_.kd
    .uniform_work_group_size: 1
    .uses_dynamic_stack: false
    .vgpr_count:     51
    .vgpr_spill_count: 0
    .wavefront_size: 64
  - .args:
      - .offset:         0
        .size:           88
        .value_kind:     by_value
    .group_segment_fixed_size: 0
    .kernarg_segment_align: 8
    .kernarg_segment_size: 88
    .language:       OpenCL C
    .language_version:
      - 2
      - 0
    .max_flat_workgroup_size: 256
    .name:           _ZN7rocprim17ROCPRIM_400000_NS6detail17trampoline_kernelINS0_14default_configENS1_36segmented_radix_sort_config_selectorIhlEEZNS1_25segmented_radix_sort_implIS3_Lb0EPKhPhPKlPlN2at6native12_GLOBAL__N_18offset_tEEE10hipError_tPvRmT1_PNSt15iterator_traitsISK_E10value_typeET2_T3_PNSL_ISQ_E10value_typeET4_jRbjT5_SW_jjP12ihipStream_tbEUlT_E1_NS1_11comp_targetILNS1_3genE10ELNS1_11target_archE1201ELNS1_3gpuE5ELNS1_3repE0EEENS1_59segmented_radix_sort_warp_sort_small_config_static_selectorELNS0_4arch9wavefront6targetE1EEEvSK_
    .private_segment_fixed_size: 0
    .sgpr_count:     4
    .sgpr_spill_count: 0
    .symbol:         _ZN7rocprim17ROCPRIM_400000_NS6detail17trampoline_kernelINS0_14default_configENS1_36segmented_radix_sort_config_selectorIhlEEZNS1_25segmented_radix_sort_implIS3_Lb0EPKhPhPKlPlN2at6native12_GLOBAL__N_18offset_tEEE10hipError_tPvRmT1_PNSt15iterator_traitsISK_E10value_typeET2_T3_PNSL_ISQ_E10value_typeET4_jRbjT5_SW_jjP12ihipStream_tbEUlT_E1_NS1_11comp_targetILNS1_3genE10ELNS1_11target_archE1201ELNS1_3gpuE5ELNS1_3repE0EEENS1_59segmented_radix_sort_warp_sort_small_config_static_selectorELNS0_4arch9wavefront6targetE1EEEvSK_.kd
    .uniform_work_group_size: 1
    .uses_dynamic_stack: false
    .vgpr_count:     0
    .vgpr_spill_count: 0
    .wavefront_size: 64
  - .args:
      - .offset:         0
        .size:           88
        .value_kind:     by_value
    .group_segment_fixed_size: 0
    .kernarg_segment_align: 8
    .kernarg_segment_size: 88
    .language:       OpenCL C
    .language_version:
      - 2
      - 0
    .max_flat_workgroup_size: 256
    .name:           _ZN7rocprim17ROCPRIM_400000_NS6detail17trampoline_kernelINS0_14default_configENS1_36segmented_radix_sort_config_selectorIhlEEZNS1_25segmented_radix_sort_implIS3_Lb0EPKhPhPKlPlN2at6native12_GLOBAL__N_18offset_tEEE10hipError_tPvRmT1_PNSt15iterator_traitsISK_E10value_typeET2_T3_PNSL_ISQ_E10value_typeET4_jRbjT5_SW_jjP12ihipStream_tbEUlT_E1_NS1_11comp_targetILNS1_3genE10ELNS1_11target_archE1200ELNS1_3gpuE4ELNS1_3repE0EEENS1_59segmented_radix_sort_warp_sort_small_config_static_selectorELNS0_4arch9wavefront6targetE1EEEvSK_
    .private_segment_fixed_size: 0
    .sgpr_count:     4
    .sgpr_spill_count: 0
    .symbol:         _ZN7rocprim17ROCPRIM_400000_NS6detail17trampoline_kernelINS0_14default_configENS1_36segmented_radix_sort_config_selectorIhlEEZNS1_25segmented_radix_sort_implIS3_Lb0EPKhPhPKlPlN2at6native12_GLOBAL__N_18offset_tEEE10hipError_tPvRmT1_PNSt15iterator_traitsISK_E10value_typeET2_T3_PNSL_ISQ_E10value_typeET4_jRbjT5_SW_jjP12ihipStream_tbEUlT_E1_NS1_11comp_targetILNS1_3genE10ELNS1_11target_archE1200ELNS1_3gpuE4ELNS1_3repE0EEENS1_59segmented_radix_sort_warp_sort_small_config_static_selectorELNS0_4arch9wavefront6targetE1EEEvSK_.kd
    .uniform_work_group_size: 1
    .uses_dynamic_stack: false
    .vgpr_count:     0
    .vgpr_spill_count: 0
    .wavefront_size: 64
  - .args:
      - .offset:         0
        .size:           88
        .value_kind:     by_value
    .group_segment_fixed_size: 0
    .kernarg_segment_align: 8
    .kernarg_segment_size: 88
    .language:       OpenCL C
    .language_version:
      - 2
      - 0
    .max_flat_workgroup_size: 256
    .name:           _ZN7rocprim17ROCPRIM_400000_NS6detail17trampoline_kernelINS0_14default_configENS1_36segmented_radix_sort_config_selectorIhlEEZNS1_25segmented_radix_sort_implIS3_Lb0EPKhPhPKlPlN2at6native12_GLOBAL__N_18offset_tEEE10hipError_tPvRmT1_PNSt15iterator_traitsISK_E10value_typeET2_T3_PNSL_ISQ_E10value_typeET4_jRbjT5_SW_jjP12ihipStream_tbEUlT_E1_NS1_11comp_targetILNS1_3genE9ELNS1_11target_archE1100ELNS1_3gpuE3ELNS1_3repE0EEENS1_59segmented_radix_sort_warp_sort_small_config_static_selectorELNS0_4arch9wavefront6targetE1EEEvSK_
    .private_segment_fixed_size: 0
    .sgpr_count:     4
    .sgpr_spill_count: 0
    .symbol:         _ZN7rocprim17ROCPRIM_400000_NS6detail17trampoline_kernelINS0_14default_configENS1_36segmented_radix_sort_config_selectorIhlEEZNS1_25segmented_radix_sort_implIS3_Lb0EPKhPhPKlPlN2at6native12_GLOBAL__N_18offset_tEEE10hipError_tPvRmT1_PNSt15iterator_traitsISK_E10value_typeET2_T3_PNSL_ISQ_E10value_typeET4_jRbjT5_SW_jjP12ihipStream_tbEUlT_E1_NS1_11comp_targetILNS1_3genE9ELNS1_11target_archE1100ELNS1_3gpuE3ELNS1_3repE0EEENS1_59segmented_radix_sort_warp_sort_small_config_static_selectorELNS0_4arch9wavefront6targetE1EEEvSK_.kd
    .uniform_work_group_size: 1
    .uses_dynamic_stack: false
    .vgpr_count:     0
    .vgpr_spill_count: 0
    .wavefront_size: 64
  - .args:
      - .offset:         0
        .size:           88
        .value_kind:     by_value
    .group_segment_fixed_size: 0
    .kernarg_segment_align: 8
    .kernarg_segment_size: 88
    .language:       OpenCL C
    .language_version:
      - 2
      - 0
    .max_flat_workgroup_size: 256
    .name:           _ZN7rocprim17ROCPRIM_400000_NS6detail17trampoline_kernelINS0_14default_configENS1_36segmented_radix_sort_config_selectorIhlEEZNS1_25segmented_radix_sort_implIS3_Lb0EPKhPhPKlPlN2at6native12_GLOBAL__N_18offset_tEEE10hipError_tPvRmT1_PNSt15iterator_traitsISK_E10value_typeET2_T3_PNSL_ISQ_E10value_typeET4_jRbjT5_SW_jjP12ihipStream_tbEUlT_E1_NS1_11comp_targetILNS1_3genE8ELNS1_11target_archE1030ELNS1_3gpuE2ELNS1_3repE0EEENS1_59segmented_radix_sort_warp_sort_small_config_static_selectorELNS0_4arch9wavefront6targetE1EEEvSK_
    .private_segment_fixed_size: 0
    .sgpr_count:     4
    .sgpr_spill_count: 0
    .symbol:         _ZN7rocprim17ROCPRIM_400000_NS6detail17trampoline_kernelINS0_14default_configENS1_36segmented_radix_sort_config_selectorIhlEEZNS1_25segmented_radix_sort_implIS3_Lb0EPKhPhPKlPlN2at6native12_GLOBAL__N_18offset_tEEE10hipError_tPvRmT1_PNSt15iterator_traitsISK_E10value_typeET2_T3_PNSL_ISQ_E10value_typeET4_jRbjT5_SW_jjP12ihipStream_tbEUlT_E1_NS1_11comp_targetILNS1_3genE8ELNS1_11target_archE1030ELNS1_3gpuE2ELNS1_3repE0EEENS1_59segmented_radix_sort_warp_sort_small_config_static_selectorELNS0_4arch9wavefront6targetE1EEEvSK_.kd
    .uniform_work_group_size: 1
    .uses_dynamic_stack: false
    .vgpr_count:     0
    .vgpr_spill_count: 0
    .wavefront_size: 64
  - .args:
      - .offset:         0
        .size:           80
        .value_kind:     by_value
    .group_segment_fixed_size: 0
    .kernarg_segment_align: 8
    .kernarg_segment_size: 80
    .language:       OpenCL C
    .language_version:
      - 2
      - 0
    .max_flat_workgroup_size: 256
    .name:           _ZN7rocprim17ROCPRIM_400000_NS6detail17trampoline_kernelINS0_14default_configENS1_36segmented_radix_sort_config_selectorIhlEEZNS1_25segmented_radix_sort_implIS3_Lb0EPKhPhPKlPlN2at6native12_GLOBAL__N_18offset_tEEE10hipError_tPvRmT1_PNSt15iterator_traitsISK_E10value_typeET2_T3_PNSL_ISQ_E10value_typeET4_jRbjT5_SW_jjP12ihipStream_tbEUlT_E2_NS1_11comp_targetILNS1_3genE0ELNS1_11target_archE4294967295ELNS1_3gpuE0ELNS1_3repE0EEENS1_30default_config_static_selectorELNS0_4arch9wavefront6targetE1EEEvSK_
    .private_segment_fixed_size: 0
    .sgpr_count:     4
    .sgpr_spill_count: 0
    .symbol:         _ZN7rocprim17ROCPRIM_400000_NS6detail17trampoline_kernelINS0_14default_configENS1_36segmented_radix_sort_config_selectorIhlEEZNS1_25segmented_radix_sort_implIS3_Lb0EPKhPhPKlPlN2at6native12_GLOBAL__N_18offset_tEEE10hipError_tPvRmT1_PNSt15iterator_traitsISK_E10value_typeET2_T3_PNSL_ISQ_E10value_typeET4_jRbjT5_SW_jjP12ihipStream_tbEUlT_E2_NS1_11comp_targetILNS1_3genE0ELNS1_11target_archE4294967295ELNS1_3gpuE0ELNS1_3repE0EEENS1_30default_config_static_selectorELNS0_4arch9wavefront6targetE1EEEvSK_.kd
    .uniform_work_group_size: 1
    .uses_dynamic_stack: false
    .vgpr_count:     0
    .vgpr_spill_count: 0
    .wavefront_size: 64
  - .args:
      - .offset:         0
        .size:           80
        .value_kind:     by_value
    .group_segment_fixed_size: 0
    .kernarg_segment_align: 8
    .kernarg_segment_size: 80
    .language:       OpenCL C
    .language_version:
      - 2
      - 0
    .max_flat_workgroup_size: 256
    .name:           _ZN7rocprim17ROCPRIM_400000_NS6detail17trampoline_kernelINS0_14default_configENS1_36segmented_radix_sort_config_selectorIhlEEZNS1_25segmented_radix_sort_implIS3_Lb0EPKhPhPKlPlN2at6native12_GLOBAL__N_18offset_tEEE10hipError_tPvRmT1_PNSt15iterator_traitsISK_E10value_typeET2_T3_PNSL_ISQ_E10value_typeET4_jRbjT5_SW_jjP12ihipStream_tbEUlT_E2_NS1_11comp_targetILNS1_3genE5ELNS1_11target_archE942ELNS1_3gpuE9ELNS1_3repE0EEENS1_30default_config_static_selectorELNS0_4arch9wavefront6targetE1EEEvSK_
    .private_segment_fixed_size: 0
    .sgpr_count:     4
    .sgpr_spill_count: 0
    .symbol:         _ZN7rocprim17ROCPRIM_400000_NS6detail17trampoline_kernelINS0_14default_configENS1_36segmented_radix_sort_config_selectorIhlEEZNS1_25segmented_radix_sort_implIS3_Lb0EPKhPhPKlPlN2at6native12_GLOBAL__N_18offset_tEEE10hipError_tPvRmT1_PNSt15iterator_traitsISK_E10value_typeET2_T3_PNSL_ISQ_E10value_typeET4_jRbjT5_SW_jjP12ihipStream_tbEUlT_E2_NS1_11comp_targetILNS1_3genE5ELNS1_11target_archE942ELNS1_3gpuE9ELNS1_3repE0EEENS1_30default_config_static_selectorELNS0_4arch9wavefront6targetE1EEEvSK_.kd
    .uniform_work_group_size: 1
    .uses_dynamic_stack: false
    .vgpr_count:     0
    .vgpr_spill_count: 0
    .wavefront_size: 64
  - .args:
      - .offset:         0
        .size:           80
        .value_kind:     by_value
    .group_segment_fixed_size: 0
    .kernarg_segment_align: 8
    .kernarg_segment_size: 80
    .language:       OpenCL C
    .language_version:
      - 2
      - 0
    .max_flat_workgroup_size: 256
    .name:           _ZN7rocprim17ROCPRIM_400000_NS6detail17trampoline_kernelINS0_14default_configENS1_36segmented_radix_sort_config_selectorIhlEEZNS1_25segmented_radix_sort_implIS3_Lb0EPKhPhPKlPlN2at6native12_GLOBAL__N_18offset_tEEE10hipError_tPvRmT1_PNSt15iterator_traitsISK_E10value_typeET2_T3_PNSL_ISQ_E10value_typeET4_jRbjT5_SW_jjP12ihipStream_tbEUlT_E2_NS1_11comp_targetILNS1_3genE4ELNS1_11target_archE910ELNS1_3gpuE8ELNS1_3repE0EEENS1_30default_config_static_selectorELNS0_4arch9wavefront6targetE1EEEvSK_
    .private_segment_fixed_size: 0
    .sgpr_count:     4
    .sgpr_spill_count: 0
    .symbol:         _ZN7rocprim17ROCPRIM_400000_NS6detail17trampoline_kernelINS0_14default_configENS1_36segmented_radix_sort_config_selectorIhlEEZNS1_25segmented_radix_sort_implIS3_Lb0EPKhPhPKlPlN2at6native12_GLOBAL__N_18offset_tEEE10hipError_tPvRmT1_PNSt15iterator_traitsISK_E10value_typeET2_T3_PNSL_ISQ_E10value_typeET4_jRbjT5_SW_jjP12ihipStream_tbEUlT_E2_NS1_11comp_targetILNS1_3genE4ELNS1_11target_archE910ELNS1_3gpuE8ELNS1_3repE0EEENS1_30default_config_static_selectorELNS0_4arch9wavefront6targetE1EEEvSK_.kd
    .uniform_work_group_size: 1
    .uses_dynamic_stack: false
    .vgpr_count:     0
    .vgpr_spill_count: 0
    .wavefront_size: 64
  - .args:
      - .offset:         0
        .size:           80
        .value_kind:     by_value
    .group_segment_fixed_size: 0
    .kernarg_segment_align: 8
    .kernarg_segment_size: 80
    .language:       OpenCL C
    .language_version:
      - 2
      - 0
    .max_flat_workgroup_size: 256
    .name:           _ZN7rocprim17ROCPRIM_400000_NS6detail17trampoline_kernelINS0_14default_configENS1_36segmented_radix_sort_config_selectorIhlEEZNS1_25segmented_radix_sort_implIS3_Lb0EPKhPhPKlPlN2at6native12_GLOBAL__N_18offset_tEEE10hipError_tPvRmT1_PNSt15iterator_traitsISK_E10value_typeET2_T3_PNSL_ISQ_E10value_typeET4_jRbjT5_SW_jjP12ihipStream_tbEUlT_E2_NS1_11comp_targetILNS1_3genE3ELNS1_11target_archE908ELNS1_3gpuE7ELNS1_3repE0EEENS1_30default_config_static_selectorELNS0_4arch9wavefront6targetE1EEEvSK_
    .private_segment_fixed_size: 0
    .sgpr_count:     4
    .sgpr_spill_count: 0
    .symbol:         _ZN7rocprim17ROCPRIM_400000_NS6detail17trampoline_kernelINS0_14default_configENS1_36segmented_radix_sort_config_selectorIhlEEZNS1_25segmented_radix_sort_implIS3_Lb0EPKhPhPKlPlN2at6native12_GLOBAL__N_18offset_tEEE10hipError_tPvRmT1_PNSt15iterator_traitsISK_E10value_typeET2_T3_PNSL_ISQ_E10value_typeET4_jRbjT5_SW_jjP12ihipStream_tbEUlT_E2_NS1_11comp_targetILNS1_3genE3ELNS1_11target_archE908ELNS1_3gpuE7ELNS1_3repE0EEENS1_30default_config_static_selectorELNS0_4arch9wavefront6targetE1EEEvSK_.kd
    .uniform_work_group_size: 1
    .uses_dynamic_stack: false
    .vgpr_count:     0
    .vgpr_spill_count: 0
    .wavefront_size: 64
  - .args:
      - .offset:         0
        .size:           80
        .value_kind:     by_value
      - .offset:         80
        .size:           4
        .value_kind:     hidden_block_count_x
      - .offset:         84
        .size:           4
        .value_kind:     hidden_block_count_y
      - .offset:         88
        .size:           4
        .value_kind:     hidden_block_count_z
      - .offset:         92
        .size:           2
        .value_kind:     hidden_group_size_x
      - .offset:         94
        .size:           2
        .value_kind:     hidden_group_size_y
      - .offset:         96
        .size:           2
        .value_kind:     hidden_group_size_z
      - .offset:         98
        .size:           2
        .value_kind:     hidden_remainder_x
      - .offset:         100
        .size:           2
        .value_kind:     hidden_remainder_y
      - .offset:         102
        .size:           2
        .value_kind:     hidden_remainder_z
      - .offset:         120
        .size:           8
        .value_kind:     hidden_global_offset_x
      - .offset:         128
        .size:           8
        .value_kind:     hidden_global_offset_y
      - .offset:         136
        .size:           8
        .value_kind:     hidden_global_offset_z
      - .offset:         144
        .size:           2
        .value_kind:     hidden_grid_dims
    .group_segment_fixed_size: 9232
    .kernarg_segment_align: 8
    .kernarg_segment_size: 336
    .language:       OpenCL C
    .language_version:
      - 2
      - 0
    .max_flat_workgroup_size: 256
    .name:           _ZN7rocprim17ROCPRIM_400000_NS6detail17trampoline_kernelINS0_14default_configENS1_36segmented_radix_sort_config_selectorIhlEEZNS1_25segmented_radix_sort_implIS3_Lb0EPKhPhPKlPlN2at6native12_GLOBAL__N_18offset_tEEE10hipError_tPvRmT1_PNSt15iterator_traitsISK_E10value_typeET2_T3_PNSL_ISQ_E10value_typeET4_jRbjT5_SW_jjP12ihipStream_tbEUlT_E2_NS1_11comp_targetILNS1_3genE2ELNS1_11target_archE906ELNS1_3gpuE6ELNS1_3repE0EEENS1_30default_config_static_selectorELNS0_4arch9wavefront6targetE1EEEvSK_
    .private_segment_fixed_size: 0
    .sgpr_count:     80
    .sgpr_spill_count: 0
    .symbol:         _ZN7rocprim17ROCPRIM_400000_NS6detail17trampoline_kernelINS0_14default_configENS1_36segmented_radix_sort_config_selectorIhlEEZNS1_25segmented_radix_sort_implIS3_Lb0EPKhPhPKlPlN2at6native12_GLOBAL__N_18offset_tEEE10hipError_tPvRmT1_PNSt15iterator_traitsISK_E10value_typeET2_T3_PNSL_ISQ_E10value_typeET4_jRbjT5_SW_jjP12ihipStream_tbEUlT_E2_NS1_11comp_targetILNS1_3genE2ELNS1_11target_archE906ELNS1_3gpuE6ELNS1_3repE0EEENS1_30default_config_static_selectorELNS0_4arch9wavefront6targetE1EEEvSK_.kd
    .uniform_work_group_size: 1
    .uses_dynamic_stack: false
    .vgpr_count:     97
    .vgpr_spill_count: 0
    .wavefront_size: 64
  - .args:
      - .offset:         0
        .size:           80
        .value_kind:     by_value
    .group_segment_fixed_size: 0
    .kernarg_segment_align: 8
    .kernarg_segment_size: 80
    .language:       OpenCL C
    .language_version:
      - 2
      - 0
    .max_flat_workgroup_size: 256
    .name:           _ZN7rocprim17ROCPRIM_400000_NS6detail17trampoline_kernelINS0_14default_configENS1_36segmented_radix_sort_config_selectorIhlEEZNS1_25segmented_radix_sort_implIS3_Lb0EPKhPhPKlPlN2at6native12_GLOBAL__N_18offset_tEEE10hipError_tPvRmT1_PNSt15iterator_traitsISK_E10value_typeET2_T3_PNSL_ISQ_E10value_typeET4_jRbjT5_SW_jjP12ihipStream_tbEUlT_E2_NS1_11comp_targetILNS1_3genE10ELNS1_11target_archE1201ELNS1_3gpuE5ELNS1_3repE0EEENS1_30default_config_static_selectorELNS0_4arch9wavefront6targetE1EEEvSK_
    .private_segment_fixed_size: 0
    .sgpr_count:     4
    .sgpr_spill_count: 0
    .symbol:         _ZN7rocprim17ROCPRIM_400000_NS6detail17trampoline_kernelINS0_14default_configENS1_36segmented_radix_sort_config_selectorIhlEEZNS1_25segmented_radix_sort_implIS3_Lb0EPKhPhPKlPlN2at6native12_GLOBAL__N_18offset_tEEE10hipError_tPvRmT1_PNSt15iterator_traitsISK_E10value_typeET2_T3_PNSL_ISQ_E10value_typeET4_jRbjT5_SW_jjP12ihipStream_tbEUlT_E2_NS1_11comp_targetILNS1_3genE10ELNS1_11target_archE1201ELNS1_3gpuE5ELNS1_3repE0EEENS1_30default_config_static_selectorELNS0_4arch9wavefront6targetE1EEEvSK_.kd
    .uniform_work_group_size: 1
    .uses_dynamic_stack: false
    .vgpr_count:     0
    .vgpr_spill_count: 0
    .wavefront_size: 64
  - .args:
      - .offset:         0
        .size:           80
        .value_kind:     by_value
    .group_segment_fixed_size: 0
    .kernarg_segment_align: 8
    .kernarg_segment_size: 80
    .language:       OpenCL C
    .language_version:
      - 2
      - 0
    .max_flat_workgroup_size: 128
    .name:           _ZN7rocprim17ROCPRIM_400000_NS6detail17trampoline_kernelINS0_14default_configENS1_36segmented_radix_sort_config_selectorIhlEEZNS1_25segmented_radix_sort_implIS3_Lb0EPKhPhPKlPlN2at6native12_GLOBAL__N_18offset_tEEE10hipError_tPvRmT1_PNSt15iterator_traitsISK_E10value_typeET2_T3_PNSL_ISQ_E10value_typeET4_jRbjT5_SW_jjP12ihipStream_tbEUlT_E2_NS1_11comp_targetILNS1_3genE10ELNS1_11target_archE1200ELNS1_3gpuE4ELNS1_3repE0EEENS1_30default_config_static_selectorELNS0_4arch9wavefront6targetE1EEEvSK_
    .private_segment_fixed_size: 0
    .sgpr_count:     4
    .sgpr_spill_count: 0
    .symbol:         _ZN7rocprim17ROCPRIM_400000_NS6detail17trampoline_kernelINS0_14default_configENS1_36segmented_radix_sort_config_selectorIhlEEZNS1_25segmented_radix_sort_implIS3_Lb0EPKhPhPKlPlN2at6native12_GLOBAL__N_18offset_tEEE10hipError_tPvRmT1_PNSt15iterator_traitsISK_E10value_typeET2_T3_PNSL_ISQ_E10value_typeET4_jRbjT5_SW_jjP12ihipStream_tbEUlT_E2_NS1_11comp_targetILNS1_3genE10ELNS1_11target_archE1200ELNS1_3gpuE4ELNS1_3repE0EEENS1_30default_config_static_selectorELNS0_4arch9wavefront6targetE1EEEvSK_.kd
    .uniform_work_group_size: 1
    .uses_dynamic_stack: false
    .vgpr_count:     0
    .vgpr_spill_count: 0
    .wavefront_size: 64
  - .args:
      - .offset:         0
        .size:           80
        .value_kind:     by_value
    .group_segment_fixed_size: 0
    .kernarg_segment_align: 8
    .kernarg_segment_size: 80
    .language:       OpenCL C
    .language_version:
      - 2
      - 0
    .max_flat_workgroup_size: 256
    .name:           _ZN7rocprim17ROCPRIM_400000_NS6detail17trampoline_kernelINS0_14default_configENS1_36segmented_radix_sort_config_selectorIhlEEZNS1_25segmented_radix_sort_implIS3_Lb0EPKhPhPKlPlN2at6native12_GLOBAL__N_18offset_tEEE10hipError_tPvRmT1_PNSt15iterator_traitsISK_E10value_typeET2_T3_PNSL_ISQ_E10value_typeET4_jRbjT5_SW_jjP12ihipStream_tbEUlT_E2_NS1_11comp_targetILNS1_3genE9ELNS1_11target_archE1100ELNS1_3gpuE3ELNS1_3repE0EEENS1_30default_config_static_selectorELNS0_4arch9wavefront6targetE1EEEvSK_
    .private_segment_fixed_size: 0
    .sgpr_count:     4
    .sgpr_spill_count: 0
    .symbol:         _ZN7rocprim17ROCPRIM_400000_NS6detail17trampoline_kernelINS0_14default_configENS1_36segmented_radix_sort_config_selectorIhlEEZNS1_25segmented_radix_sort_implIS3_Lb0EPKhPhPKlPlN2at6native12_GLOBAL__N_18offset_tEEE10hipError_tPvRmT1_PNSt15iterator_traitsISK_E10value_typeET2_T3_PNSL_ISQ_E10value_typeET4_jRbjT5_SW_jjP12ihipStream_tbEUlT_E2_NS1_11comp_targetILNS1_3genE9ELNS1_11target_archE1100ELNS1_3gpuE3ELNS1_3repE0EEENS1_30default_config_static_selectorELNS0_4arch9wavefront6targetE1EEEvSK_.kd
    .uniform_work_group_size: 1
    .uses_dynamic_stack: false
    .vgpr_count:     0
    .vgpr_spill_count: 0
    .wavefront_size: 64
  - .args:
      - .offset:         0
        .size:           80
        .value_kind:     by_value
    .group_segment_fixed_size: 0
    .kernarg_segment_align: 8
    .kernarg_segment_size: 80
    .language:       OpenCL C
    .language_version:
      - 2
      - 0
    .max_flat_workgroup_size: 256
    .name:           _ZN7rocprim17ROCPRIM_400000_NS6detail17trampoline_kernelINS0_14default_configENS1_36segmented_radix_sort_config_selectorIhlEEZNS1_25segmented_radix_sort_implIS3_Lb0EPKhPhPKlPlN2at6native12_GLOBAL__N_18offset_tEEE10hipError_tPvRmT1_PNSt15iterator_traitsISK_E10value_typeET2_T3_PNSL_ISQ_E10value_typeET4_jRbjT5_SW_jjP12ihipStream_tbEUlT_E2_NS1_11comp_targetILNS1_3genE8ELNS1_11target_archE1030ELNS1_3gpuE2ELNS1_3repE0EEENS1_30default_config_static_selectorELNS0_4arch9wavefront6targetE1EEEvSK_
    .private_segment_fixed_size: 0
    .sgpr_count:     4
    .sgpr_spill_count: 0
    .symbol:         _ZN7rocprim17ROCPRIM_400000_NS6detail17trampoline_kernelINS0_14default_configENS1_36segmented_radix_sort_config_selectorIhlEEZNS1_25segmented_radix_sort_implIS3_Lb0EPKhPhPKlPlN2at6native12_GLOBAL__N_18offset_tEEE10hipError_tPvRmT1_PNSt15iterator_traitsISK_E10value_typeET2_T3_PNSL_ISQ_E10value_typeET4_jRbjT5_SW_jjP12ihipStream_tbEUlT_E2_NS1_11comp_targetILNS1_3genE8ELNS1_11target_archE1030ELNS1_3gpuE2ELNS1_3repE0EEENS1_30default_config_static_selectorELNS0_4arch9wavefront6targetE1EEEvSK_.kd
    .uniform_work_group_size: 1
    .uses_dynamic_stack: false
    .vgpr_count:     0
    .vgpr_spill_count: 0
    .wavefront_size: 64
  - .args:
      - .address_space:  global
        .offset:         0
        .size:           8
        .value_kind:     global_buffer
      - .address_space:  global
        .offset:         8
        .size:           8
        .value_kind:     global_buffer
      - .address_space:  global
        .offset:         16
        .size:           8
        .value_kind:     global_buffer
      - .address_space:  global
        .offset:         24
        .size:           8
        .value_kind:     global_buffer
      - .offset:         32
        .size:           4
        .value_kind:     by_value
      - .offset:         36
        .size:           4
        .value_kind:     by_value
      - .offset:         40
        .size:           4
        .value_kind:     hidden_block_count_x
      - .offset:         44
        .size:           4
        .value_kind:     hidden_block_count_y
      - .offset:         48
        .size:           4
        .value_kind:     hidden_block_count_z
      - .offset:         52
        .size:           2
        .value_kind:     hidden_group_size_x
      - .offset:         54
        .size:           2
        .value_kind:     hidden_group_size_y
      - .offset:         56
        .size:           2
        .value_kind:     hidden_group_size_z
      - .offset:         58
        .size:           2
        .value_kind:     hidden_remainder_x
      - .offset:         60
        .size:           2
        .value_kind:     hidden_remainder_y
      - .offset:         62
        .size:           2
        .value_kind:     hidden_remainder_z
      - .offset:         80
        .size:           8
        .value_kind:     hidden_global_offset_x
      - .offset:         88
        .size:           8
        .value_kind:     hidden_global_offset_y
      - .offset:         96
        .size:           8
        .value_kind:     hidden_global_offset_z
      - .offset:         104
        .size:           2
        .value_kind:     hidden_grid_dims
    .group_segment_fixed_size: 0
    .kernarg_segment_align: 8
    .kernarg_segment_size: 296
    .language:       OpenCL C
    .language_version:
      - 2
      - 0
    .max_flat_workgroup_size: 1024
    .name:           _ZN2at6native12_GLOBAL__N_123sort_postprocess_kernelIaEEvPKT_PS3_PlPK15HIP_vector_typeIiLj2EEii
    .private_segment_fixed_size: 0
    .sgpr_count:     23
    .sgpr_spill_count: 0
    .symbol:         _ZN2at6native12_GLOBAL__N_123sort_postprocess_kernelIaEEvPKT_PS3_PlPK15HIP_vector_typeIiLj2EEii.kd
    .uniform_work_group_size: 1
    .uses_dynamic_stack: false
    .vgpr_count:     19
    .vgpr_spill_count: 0
    .wavefront_size: 64
  - .args:
      - .offset:         0
        .size:           176
        .value_kind:     by_value
    .group_segment_fixed_size: 0
    .kernarg_segment_align: 8
    .kernarg_segment_size: 176
    .language:       OpenCL C
    .language_version:
      - 2
      - 0
    .max_flat_workgroup_size: 256
    .name:           _ZN7rocprim17ROCPRIM_400000_NS6detail17trampoline_kernelINS0_13select_configILj256ELj13ELNS0_17block_load_methodE3ELS4_3ELS4_3ELNS0_20block_scan_algorithmE0ELj4294967295EEENS1_25partition_config_selectorILNS1_17partition_subalgoE4EjNS0_10empty_typeEbEEZZNS1_14partition_implILS8_4ELb0ES6_15HIP_vector_typeIjLj2EENS0_17counting_iteratorIjlEEPS9_SG_NS0_5tupleIJPjSI_NS0_16reverse_iteratorISI_EEEEENSH_IJSG_SG_SG_EEES9_SI_JZNS1_25segmented_radix_sort_implINS0_14default_configELb1EPKaPaPKlPlN2at6native12_GLOBAL__N_18offset_tEEE10hipError_tPvRmT1_PNSt15iterator_traitsIS12_E10value_typeET2_T3_PNS13_IS18_E10value_typeET4_jRbjT5_S1E_jjP12ihipStream_tbEUljE_ZNSN_ISO_Lb1ESQ_SR_ST_SU_SY_EESZ_S10_S11_S12_S16_S17_S18_S1B_S1C_jS1D_jS1E_S1E_jjS1G_bEUljE0_EEESZ_S10_S11_S18_S1C_S1E_T6_T7_T9_mT8_S1G_bDpT10_ENKUlT_T0_E_clISt17integral_constantIbLb0EES1U_EEDaS1P_S1Q_EUlS1P_E_NS1_11comp_targetILNS1_3genE0ELNS1_11target_archE4294967295ELNS1_3gpuE0ELNS1_3repE0EEENS1_30default_config_static_selectorELNS0_4arch9wavefront6targetE1EEEvS12_
    .private_segment_fixed_size: 0
    .sgpr_count:     4
    .sgpr_spill_count: 0
    .symbol:         _ZN7rocprim17ROCPRIM_400000_NS6detail17trampoline_kernelINS0_13select_configILj256ELj13ELNS0_17block_load_methodE3ELS4_3ELS4_3ELNS0_20block_scan_algorithmE0ELj4294967295EEENS1_25partition_config_selectorILNS1_17partition_subalgoE4EjNS0_10empty_typeEbEEZZNS1_14partition_implILS8_4ELb0ES6_15HIP_vector_typeIjLj2EENS0_17counting_iteratorIjlEEPS9_SG_NS0_5tupleIJPjSI_NS0_16reverse_iteratorISI_EEEEENSH_IJSG_SG_SG_EEES9_SI_JZNS1_25segmented_radix_sort_implINS0_14default_configELb1EPKaPaPKlPlN2at6native12_GLOBAL__N_18offset_tEEE10hipError_tPvRmT1_PNSt15iterator_traitsIS12_E10value_typeET2_T3_PNS13_IS18_E10value_typeET4_jRbjT5_S1E_jjP12ihipStream_tbEUljE_ZNSN_ISO_Lb1ESQ_SR_ST_SU_SY_EESZ_S10_S11_S12_S16_S17_S18_S1B_S1C_jS1D_jS1E_S1E_jjS1G_bEUljE0_EEESZ_S10_S11_S18_S1C_S1E_T6_T7_T9_mT8_S1G_bDpT10_ENKUlT_T0_E_clISt17integral_constantIbLb0EES1U_EEDaS1P_S1Q_EUlS1P_E_NS1_11comp_targetILNS1_3genE0ELNS1_11target_archE4294967295ELNS1_3gpuE0ELNS1_3repE0EEENS1_30default_config_static_selectorELNS0_4arch9wavefront6targetE1EEEvS12_.kd
    .uniform_work_group_size: 1
    .uses_dynamic_stack: false
    .vgpr_count:     0
    .vgpr_spill_count: 0
    .wavefront_size: 64
  - .args:
      - .offset:         0
        .size:           176
        .value_kind:     by_value
    .group_segment_fixed_size: 0
    .kernarg_segment_align: 8
    .kernarg_segment_size: 176
    .language:       OpenCL C
    .language_version:
      - 2
      - 0
    .max_flat_workgroup_size: 256
    .name:           _ZN7rocprim17ROCPRIM_400000_NS6detail17trampoline_kernelINS0_13select_configILj256ELj13ELNS0_17block_load_methodE3ELS4_3ELS4_3ELNS0_20block_scan_algorithmE0ELj4294967295EEENS1_25partition_config_selectorILNS1_17partition_subalgoE4EjNS0_10empty_typeEbEEZZNS1_14partition_implILS8_4ELb0ES6_15HIP_vector_typeIjLj2EENS0_17counting_iteratorIjlEEPS9_SG_NS0_5tupleIJPjSI_NS0_16reverse_iteratorISI_EEEEENSH_IJSG_SG_SG_EEES9_SI_JZNS1_25segmented_radix_sort_implINS0_14default_configELb1EPKaPaPKlPlN2at6native12_GLOBAL__N_18offset_tEEE10hipError_tPvRmT1_PNSt15iterator_traitsIS12_E10value_typeET2_T3_PNS13_IS18_E10value_typeET4_jRbjT5_S1E_jjP12ihipStream_tbEUljE_ZNSN_ISO_Lb1ESQ_SR_ST_SU_SY_EESZ_S10_S11_S12_S16_S17_S18_S1B_S1C_jS1D_jS1E_S1E_jjS1G_bEUljE0_EEESZ_S10_S11_S18_S1C_S1E_T6_T7_T9_mT8_S1G_bDpT10_ENKUlT_T0_E_clISt17integral_constantIbLb0EES1U_EEDaS1P_S1Q_EUlS1P_E_NS1_11comp_targetILNS1_3genE5ELNS1_11target_archE942ELNS1_3gpuE9ELNS1_3repE0EEENS1_30default_config_static_selectorELNS0_4arch9wavefront6targetE1EEEvS12_
    .private_segment_fixed_size: 0
    .sgpr_count:     4
    .sgpr_spill_count: 0
    .symbol:         _ZN7rocprim17ROCPRIM_400000_NS6detail17trampoline_kernelINS0_13select_configILj256ELj13ELNS0_17block_load_methodE3ELS4_3ELS4_3ELNS0_20block_scan_algorithmE0ELj4294967295EEENS1_25partition_config_selectorILNS1_17partition_subalgoE4EjNS0_10empty_typeEbEEZZNS1_14partition_implILS8_4ELb0ES6_15HIP_vector_typeIjLj2EENS0_17counting_iteratorIjlEEPS9_SG_NS0_5tupleIJPjSI_NS0_16reverse_iteratorISI_EEEEENSH_IJSG_SG_SG_EEES9_SI_JZNS1_25segmented_radix_sort_implINS0_14default_configELb1EPKaPaPKlPlN2at6native12_GLOBAL__N_18offset_tEEE10hipError_tPvRmT1_PNSt15iterator_traitsIS12_E10value_typeET2_T3_PNS13_IS18_E10value_typeET4_jRbjT5_S1E_jjP12ihipStream_tbEUljE_ZNSN_ISO_Lb1ESQ_SR_ST_SU_SY_EESZ_S10_S11_S12_S16_S17_S18_S1B_S1C_jS1D_jS1E_S1E_jjS1G_bEUljE0_EEESZ_S10_S11_S18_S1C_S1E_T6_T7_T9_mT8_S1G_bDpT10_ENKUlT_T0_E_clISt17integral_constantIbLb0EES1U_EEDaS1P_S1Q_EUlS1P_E_NS1_11comp_targetILNS1_3genE5ELNS1_11target_archE942ELNS1_3gpuE9ELNS1_3repE0EEENS1_30default_config_static_selectorELNS0_4arch9wavefront6targetE1EEEvS12_.kd
    .uniform_work_group_size: 1
    .uses_dynamic_stack: false
    .vgpr_count:     0
    .vgpr_spill_count: 0
    .wavefront_size: 64
  - .args:
      - .offset:         0
        .size:           176
        .value_kind:     by_value
    .group_segment_fixed_size: 0
    .kernarg_segment_align: 8
    .kernarg_segment_size: 176
    .language:       OpenCL C
    .language_version:
      - 2
      - 0
    .max_flat_workgroup_size: 256
    .name:           _ZN7rocprim17ROCPRIM_400000_NS6detail17trampoline_kernelINS0_13select_configILj256ELj13ELNS0_17block_load_methodE3ELS4_3ELS4_3ELNS0_20block_scan_algorithmE0ELj4294967295EEENS1_25partition_config_selectorILNS1_17partition_subalgoE4EjNS0_10empty_typeEbEEZZNS1_14partition_implILS8_4ELb0ES6_15HIP_vector_typeIjLj2EENS0_17counting_iteratorIjlEEPS9_SG_NS0_5tupleIJPjSI_NS0_16reverse_iteratorISI_EEEEENSH_IJSG_SG_SG_EEES9_SI_JZNS1_25segmented_radix_sort_implINS0_14default_configELb1EPKaPaPKlPlN2at6native12_GLOBAL__N_18offset_tEEE10hipError_tPvRmT1_PNSt15iterator_traitsIS12_E10value_typeET2_T3_PNS13_IS18_E10value_typeET4_jRbjT5_S1E_jjP12ihipStream_tbEUljE_ZNSN_ISO_Lb1ESQ_SR_ST_SU_SY_EESZ_S10_S11_S12_S16_S17_S18_S1B_S1C_jS1D_jS1E_S1E_jjS1G_bEUljE0_EEESZ_S10_S11_S18_S1C_S1E_T6_T7_T9_mT8_S1G_bDpT10_ENKUlT_T0_E_clISt17integral_constantIbLb0EES1U_EEDaS1P_S1Q_EUlS1P_E_NS1_11comp_targetILNS1_3genE4ELNS1_11target_archE910ELNS1_3gpuE8ELNS1_3repE0EEENS1_30default_config_static_selectorELNS0_4arch9wavefront6targetE1EEEvS12_
    .private_segment_fixed_size: 0
    .sgpr_count:     4
    .sgpr_spill_count: 0
    .symbol:         _ZN7rocprim17ROCPRIM_400000_NS6detail17trampoline_kernelINS0_13select_configILj256ELj13ELNS0_17block_load_methodE3ELS4_3ELS4_3ELNS0_20block_scan_algorithmE0ELj4294967295EEENS1_25partition_config_selectorILNS1_17partition_subalgoE4EjNS0_10empty_typeEbEEZZNS1_14partition_implILS8_4ELb0ES6_15HIP_vector_typeIjLj2EENS0_17counting_iteratorIjlEEPS9_SG_NS0_5tupleIJPjSI_NS0_16reverse_iteratorISI_EEEEENSH_IJSG_SG_SG_EEES9_SI_JZNS1_25segmented_radix_sort_implINS0_14default_configELb1EPKaPaPKlPlN2at6native12_GLOBAL__N_18offset_tEEE10hipError_tPvRmT1_PNSt15iterator_traitsIS12_E10value_typeET2_T3_PNS13_IS18_E10value_typeET4_jRbjT5_S1E_jjP12ihipStream_tbEUljE_ZNSN_ISO_Lb1ESQ_SR_ST_SU_SY_EESZ_S10_S11_S12_S16_S17_S18_S1B_S1C_jS1D_jS1E_S1E_jjS1G_bEUljE0_EEESZ_S10_S11_S18_S1C_S1E_T6_T7_T9_mT8_S1G_bDpT10_ENKUlT_T0_E_clISt17integral_constantIbLb0EES1U_EEDaS1P_S1Q_EUlS1P_E_NS1_11comp_targetILNS1_3genE4ELNS1_11target_archE910ELNS1_3gpuE8ELNS1_3repE0EEENS1_30default_config_static_selectorELNS0_4arch9wavefront6targetE1EEEvS12_.kd
    .uniform_work_group_size: 1
    .uses_dynamic_stack: false
    .vgpr_count:     0
    .vgpr_spill_count: 0
    .wavefront_size: 64
  - .args:
      - .offset:         0
        .size:           176
        .value_kind:     by_value
    .group_segment_fixed_size: 0
    .kernarg_segment_align: 8
    .kernarg_segment_size: 176
    .language:       OpenCL C
    .language_version:
      - 2
      - 0
    .max_flat_workgroup_size: 256
    .name:           _ZN7rocprim17ROCPRIM_400000_NS6detail17trampoline_kernelINS0_13select_configILj256ELj13ELNS0_17block_load_methodE3ELS4_3ELS4_3ELNS0_20block_scan_algorithmE0ELj4294967295EEENS1_25partition_config_selectorILNS1_17partition_subalgoE4EjNS0_10empty_typeEbEEZZNS1_14partition_implILS8_4ELb0ES6_15HIP_vector_typeIjLj2EENS0_17counting_iteratorIjlEEPS9_SG_NS0_5tupleIJPjSI_NS0_16reverse_iteratorISI_EEEEENSH_IJSG_SG_SG_EEES9_SI_JZNS1_25segmented_radix_sort_implINS0_14default_configELb1EPKaPaPKlPlN2at6native12_GLOBAL__N_18offset_tEEE10hipError_tPvRmT1_PNSt15iterator_traitsIS12_E10value_typeET2_T3_PNS13_IS18_E10value_typeET4_jRbjT5_S1E_jjP12ihipStream_tbEUljE_ZNSN_ISO_Lb1ESQ_SR_ST_SU_SY_EESZ_S10_S11_S12_S16_S17_S18_S1B_S1C_jS1D_jS1E_S1E_jjS1G_bEUljE0_EEESZ_S10_S11_S18_S1C_S1E_T6_T7_T9_mT8_S1G_bDpT10_ENKUlT_T0_E_clISt17integral_constantIbLb0EES1U_EEDaS1P_S1Q_EUlS1P_E_NS1_11comp_targetILNS1_3genE3ELNS1_11target_archE908ELNS1_3gpuE7ELNS1_3repE0EEENS1_30default_config_static_selectorELNS0_4arch9wavefront6targetE1EEEvS12_
    .private_segment_fixed_size: 0
    .sgpr_count:     4
    .sgpr_spill_count: 0
    .symbol:         _ZN7rocprim17ROCPRIM_400000_NS6detail17trampoline_kernelINS0_13select_configILj256ELj13ELNS0_17block_load_methodE3ELS4_3ELS4_3ELNS0_20block_scan_algorithmE0ELj4294967295EEENS1_25partition_config_selectorILNS1_17partition_subalgoE4EjNS0_10empty_typeEbEEZZNS1_14partition_implILS8_4ELb0ES6_15HIP_vector_typeIjLj2EENS0_17counting_iteratorIjlEEPS9_SG_NS0_5tupleIJPjSI_NS0_16reverse_iteratorISI_EEEEENSH_IJSG_SG_SG_EEES9_SI_JZNS1_25segmented_radix_sort_implINS0_14default_configELb1EPKaPaPKlPlN2at6native12_GLOBAL__N_18offset_tEEE10hipError_tPvRmT1_PNSt15iterator_traitsIS12_E10value_typeET2_T3_PNS13_IS18_E10value_typeET4_jRbjT5_S1E_jjP12ihipStream_tbEUljE_ZNSN_ISO_Lb1ESQ_SR_ST_SU_SY_EESZ_S10_S11_S12_S16_S17_S18_S1B_S1C_jS1D_jS1E_S1E_jjS1G_bEUljE0_EEESZ_S10_S11_S18_S1C_S1E_T6_T7_T9_mT8_S1G_bDpT10_ENKUlT_T0_E_clISt17integral_constantIbLb0EES1U_EEDaS1P_S1Q_EUlS1P_E_NS1_11comp_targetILNS1_3genE3ELNS1_11target_archE908ELNS1_3gpuE7ELNS1_3repE0EEENS1_30default_config_static_selectorELNS0_4arch9wavefront6targetE1EEEvS12_.kd
    .uniform_work_group_size: 1
    .uses_dynamic_stack: false
    .vgpr_count:     0
    .vgpr_spill_count: 0
    .wavefront_size: 64
  - .args:
      - .offset:         0
        .size:           176
        .value_kind:     by_value
    .group_segment_fixed_size: 13328
    .kernarg_segment_align: 8
    .kernarg_segment_size: 176
    .language:       OpenCL C
    .language_version:
      - 2
      - 0
    .max_flat_workgroup_size: 256
    .name:           _ZN7rocprim17ROCPRIM_400000_NS6detail17trampoline_kernelINS0_13select_configILj256ELj13ELNS0_17block_load_methodE3ELS4_3ELS4_3ELNS0_20block_scan_algorithmE0ELj4294967295EEENS1_25partition_config_selectorILNS1_17partition_subalgoE4EjNS0_10empty_typeEbEEZZNS1_14partition_implILS8_4ELb0ES6_15HIP_vector_typeIjLj2EENS0_17counting_iteratorIjlEEPS9_SG_NS0_5tupleIJPjSI_NS0_16reverse_iteratorISI_EEEEENSH_IJSG_SG_SG_EEES9_SI_JZNS1_25segmented_radix_sort_implINS0_14default_configELb1EPKaPaPKlPlN2at6native12_GLOBAL__N_18offset_tEEE10hipError_tPvRmT1_PNSt15iterator_traitsIS12_E10value_typeET2_T3_PNS13_IS18_E10value_typeET4_jRbjT5_S1E_jjP12ihipStream_tbEUljE_ZNSN_ISO_Lb1ESQ_SR_ST_SU_SY_EESZ_S10_S11_S12_S16_S17_S18_S1B_S1C_jS1D_jS1E_S1E_jjS1G_bEUljE0_EEESZ_S10_S11_S18_S1C_S1E_T6_T7_T9_mT8_S1G_bDpT10_ENKUlT_T0_E_clISt17integral_constantIbLb0EES1U_EEDaS1P_S1Q_EUlS1P_E_NS1_11comp_targetILNS1_3genE2ELNS1_11target_archE906ELNS1_3gpuE6ELNS1_3repE0EEENS1_30default_config_static_selectorELNS0_4arch9wavefront6targetE1EEEvS12_
    .private_segment_fixed_size: 0
    .sgpr_count:     94
    .sgpr_spill_count: 0
    .symbol:         _ZN7rocprim17ROCPRIM_400000_NS6detail17trampoline_kernelINS0_13select_configILj256ELj13ELNS0_17block_load_methodE3ELS4_3ELS4_3ELNS0_20block_scan_algorithmE0ELj4294967295EEENS1_25partition_config_selectorILNS1_17partition_subalgoE4EjNS0_10empty_typeEbEEZZNS1_14partition_implILS8_4ELb0ES6_15HIP_vector_typeIjLj2EENS0_17counting_iteratorIjlEEPS9_SG_NS0_5tupleIJPjSI_NS0_16reverse_iteratorISI_EEEEENSH_IJSG_SG_SG_EEES9_SI_JZNS1_25segmented_radix_sort_implINS0_14default_configELb1EPKaPaPKlPlN2at6native12_GLOBAL__N_18offset_tEEE10hipError_tPvRmT1_PNSt15iterator_traitsIS12_E10value_typeET2_T3_PNS13_IS18_E10value_typeET4_jRbjT5_S1E_jjP12ihipStream_tbEUljE_ZNSN_ISO_Lb1ESQ_SR_ST_SU_SY_EESZ_S10_S11_S12_S16_S17_S18_S1B_S1C_jS1D_jS1E_S1E_jjS1G_bEUljE0_EEESZ_S10_S11_S18_S1C_S1E_T6_T7_T9_mT8_S1G_bDpT10_ENKUlT_T0_E_clISt17integral_constantIbLb0EES1U_EEDaS1P_S1Q_EUlS1P_E_NS1_11comp_targetILNS1_3genE2ELNS1_11target_archE906ELNS1_3gpuE6ELNS1_3repE0EEENS1_30default_config_static_selectorELNS0_4arch9wavefront6targetE1EEEvS12_.kd
    .uniform_work_group_size: 1
    .uses_dynamic_stack: false
    .vgpr_count:     86
    .vgpr_spill_count: 0
    .wavefront_size: 64
  - .args:
      - .offset:         0
        .size:           176
        .value_kind:     by_value
    .group_segment_fixed_size: 0
    .kernarg_segment_align: 8
    .kernarg_segment_size: 176
    .language:       OpenCL C
    .language_version:
      - 2
      - 0
    .max_flat_workgroup_size: 256
    .name:           _ZN7rocprim17ROCPRIM_400000_NS6detail17trampoline_kernelINS0_13select_configILj256ELj13ELNS0_17block_load_methodE3ELS4_3ELS4_3ELNS0_20block_scan_algorithmE0ELj4294967295EEENS1_25partition_config_selectorILNS1_17partition_subalgoE4EjNS0_10empty_typeEbEEZZNS1_14partition_implILS8_4ELb0ES6_15HIP_vector_typeIjLj2EENS0_17counting_iteratorIjlEEPS9_SG_NS0_5tupleIJPjSI_NS0_16reverse_iteratorISI_EEEEENSH_IJSG_SG_SG_EEES9_SI_JZNS1_25segmented_radix_sort_implINS0_14default_configELb1EPKaPaPKlPlN2at6native12_GLOBAL__N_18offset_tEEE10hipError_tPvRmT1_PNSt15iterator_traitsIS12_E10value_typeET2_T3_PNS13_IS18_E10value_typeET4_jRbjT5_S1E_jjP12ihipStream_tbEUljE_ZNSN_ISO_Lb1ESQ_SR_ST_SU_SY_EESZ_S10_S11_S12_S16_S17_S18_S1B_S1C_jS1D_jS1E_S1E_jjS1G_bEUljE0_EEESZ_S10_S11_S18_S1C_S1E_T6_T7_T9_mT8_S1G_bDpT10_ENKUlT_T0_E_clISt17integral_constantIbLb0EES1U_EEDaS1P_S1Q_EUlS1P_E_NS1_11comp_targetILNS1_3genE10ELNS1_11target_archE1200ELNS1_3gpuE4ELNS1_3repE0EEENS1_30default_config_static_selectorELNS0_4arch9wavefront6targetE1EEEvS12_
    .private_segment_fixed_size: 0
    .sgpr_count:     4
    .sgpr_spill_count: 0
    .symbol:         _ZN7rocprim17ROCPRIM_400000_NS6detail17trampoline_kernelINS0_13select_configILj256ELj13ELNS0_17block_load_methodE3ELS4_3ELS4_3ELNS0_20block_scan_algorithmE0ELj4294967295EEENS1_25partition_config_selectorILNS1_17partition_subalgoE4EjNS0_10empty_typeEbEEZZNS1_14partition_implILS8_4ELb0ES6_15HIP_vector_typeIjLj2EENS0_17counting_iteratorIjlEEPS9_SG_NS0_5tupleIJPjSI_NS0_16reverse_iteratorISI_EEEEENSH_IJSG_SG_SG_EEES9_SI_JZNS1_25segmented_radix_sort_implINS0_14default_configELb1EPKaPaPKlPlN2at6native12_GLOBAL__N_18offset_tEEE10hipError_tPvRmT1_PNSt15iterator_traitsIS12_E10value_typeET2_T3_PNS13_IS18_E10value_typeET4_jRbjT5_S1E_jjP12ihipStream_tbEUljE_ZNSN_ISO_Lb1ESQ_SR_ST_SU_SY_EESZ_S10_S11_S12_S16_S17_S18_S1B_S1C_jS1D_jS1E_S1E_jjS1G_bEUljE0_EEESZ_S10_S11_S18_S1C_S1E_T6_T7_T9_mT8_S1G_bDpT10_ENKUlT_T0_E_clISt17integral_constantIbLb0EES1U_EEDaS1P_S1Q_EUlS1P_E_NS1_11comp_targetILNS1_3genE10ELNS1_11target_archE1200ELNS1_3gpuE4ELNS1_3repE0EEENS1_30default_config_static_selectorELNS0_4arch9wavefront6targetE1EEEvS12_.kd
    .uniform_work_group_size: 1
    .uses_dynamic_stack: false
    .vgpr_count:     0
    .vgpr_spill_count: 0
    .wavefront_size: 64
  - .args:
      - .offset:         0
        .size:           176
        .value_kind:     by_value
    .group_segment_fixed_size: 0
    .kernarg_segment_align: 8
    .kernarg_segment_size: 176
    .language:       OpenCL C
    .language_version:
      - 2
      - 0
    .max_flat_workgroup_size: 256
    .name:           _ZN7rocprim17ROCPRIM_400000_NS6detail17trampoline_kernelINS0_13select_configILj256ELj13ELNS0_17block_load_methodE3ELS4_3ELS4_3ELNS0_20block_scan_algorithmE0ELj4294967295EEENS1_25partition_config_selectorILNS1_17partition_subalgoE4EjNS0_10empty_typeEbEEZZNS1_14partition_implILS8_4ELb0ES6_15HIP_vector_typeIjLj2EENS0_17counting_iteratorIjlEEPS9_SG_NS0_5tupleIJPjSI_NS0_16reverse_iteratorISI_EEEEENSH_IJSG_SG_SG_EEES9_SI_JZNS1_25segmented_radix_sort_implINS0_14default_configELb1EPKaPaPKlPlN2at6native12_GLOBAL__N_18offset_tEEE10hipError_tPvRmT1_PNSt15iterator_traitsIS12_E10value_typeET2_T3_PNS13_IS18_E10value_typeET4_jRbjT5_S1E_jjP12ihipStream_tbEUljE_ZNSN_ISO_Lb1ESQ_SR_ST_SU_SY_EESZ_S10_S11_S12_S16_S17_S18_S1B_S1C_jS1D_jS1E_S1E_jjS1G_bEUljE0_EEESZ_S10_S11_S18_S1C_S1E_T6_T7_T9_mT8_S1G_bDpT10_ENKUlT_T0_E_clISt17integral_constantIbLb0EES1U_EEDaS1P_S1Q_EUlS1P_E_NS1_11comp_targetILNS1_3genE9ELNS1_11target_archE1100ELNS1_3gpuE3ELNS1_3repE0EEENS1_30default_config_static_selectorELNS0_4arch9wavefront6targetE1EEEvS12_
    .private_segment_fixed_size: 0
    .sgpr_count:     4
    .sgpr_spill_count: 0
    .symbol:         _ZN7rocprim17ROCPRIM_400000_NS6detail17trampoline_kernelINS0_13select_configILj256ELj13ELNS0_17block_load_methodE3ELS4_3ELS4_3ELNS0_20block_scan_algorithmE0ELj4294967295EEENS1_25partition_config_selectorILNS1_17partition_subalgoE4EjNS0_10empty_typeEbEEZZNS1_14partition_implILS8_4ELb0ES6_15HIP_vector_typeIjLj2EENS0_17counting_iteratorIjlEEPS9_SG_NS0_5tupleIJPjSI_NS0_16reverse_iteratorISI_EEEEENSH_IJSG_SG_SG_EEES9_SI_JZNS1_25segmented_radix_sort_implINS0_14default_configELb1EPKaPaPKlPlN2at6native12_GLOBAL__N_18offset_tEEE10hipError_tPvRmT1_PNSt15iterator_traitsIS12_E10value_typeET2_T3_PNS13_IS18_E10value_typeET4_jRbjT5_S1E_jjP12ihipStream_tbEUljE_ZNSN_ISO_Lb1ESQ_SR_ST_SU_SY_EESZ_S10_S11_S12_S16_S17_S18_S1B_S1C_jS1D_jS1E_S1E_jjS1G_bEUljE0_EEESZ_S10_S11_S18_S1C_S1E_T6_T7_T9_mT8_S1G_bDpT10_ENKUlT_T0_E_clISt17integral_constantIbLb0EES1U_EEDaS1P_S1Q_EUlS1P_E_NS1_11comp_targetILNS1_3genE9ELNS1_11target_archE1100ELNS1_3gpuE3ELNS1_3repE0EEENS1_30default_config_static_selectorELNS0_4arch9wavefront6targetE1EEEvS12_.kd
    .uniform_work_group_size: 1
    .uses_dynamic_stack: false
    .vgpr_count:     0
    .vgpr_spill_count: 0
    .wavefront_size: 64
  - .args:
      - .offset:         0
        .size:           176
        .value_kind:     by_value
    .group_segment_fixed_size: 0
    .kernarg_segment_align: 8
    .kernarg_segment_size: 176
    .language:       OpenCL C
    .language_version:
      - 2
      - 0
    .max_flat_workgroup_size: 256
    .name:           _ZN7rocprim17ROCPRIM_400000_NS6detail17trampoline_kernelINS0_13select_configILj256ELj13ELNS0_17block_load_methodE3ELS4_3ELS4_3ELNS0_20block_scan_algorithmE0ELj4294967295EEENS1_25partition_config_selectorILNS1_17partition_subalgoE4EjNS0_10empty_typeEbEEZZNS1_14partition_implILS8_4ELb0ES6_15HIP_vector_typeIjLj2EENS0_17counting_iteratorIjlEEPS9_SG_NS0_5tupleIJPjSI_NS0_16reverse_iteratorISI_EEEEENSH_IJSG_SG_SG_EEES9_SI_JZNS1_25segmented_radix_sort_implINS0_14default_configELb1EPKaPaPKlPlN2at6native12_GLOBAL__N_18offset_tEEE10hipError_tPvRmT1_PNSt15iterator_traitsIS12_E10value_typeET2_T3_PNS13_IS18_E10value_typeET4_jRbjT5_S1E_jjP12ihipStream_tbEUljE_ZNSN_ISO_Lb1ESQ_SR_ST_SU_SY_EESZ_S10_S11_S12_S16_S17_S18_S1B_S1C_jS1D_jS1E_S1E_jjS1G_bEUljE0_EEESZ_S10_S11_S18_S1C_S1E_T6_T7_T9_mT8_S1G_bDpT10_ENKUlT_T0_E_clISt17integral_constantIbLb0EES1U_EEDaS1P_S1Q_EUlS1P_E_NS1_11comp_targetILNS1_3genE8ELNS1_11target_archE1030ELNS1_3gpuE2ELNS1_3repE0EEENS1_30default_config_static_selectorELNS0_4arch9wavefront6targetE1EEEvS12_
    .private_segment_fixed_size: 0
    .sgpr_count:     4
    .sgpr_spill_count: 0
    .symbol:         _ZN7rocprim17ROCPRIM_400000_NS6detail17trampoline_kernelINS0_13select_configILj256ELj13ELNS0_17block_load_methodE3ELS4_3ELS4_3ELNS0_20block_scan_algorithmE0ELj4294967295EEENS1_25partition_config_selectorILNS1_17partition_subalgoE4EjNS0_10empty_typeEbEEZZNS1_14partition_implILS8_4ELb0ES6_15HIP_vector_typeIjLj2EENS0_17counting_iteratorIjlEEPS9_SG_NS0_5tupleIJPjSI_NS0_16reverse_iteratorISI_EEEEENSH_IJSG_SG_SG_EEES9_SI_JZNS1_25segmented_radix_sort_implINS0_14default_configELb1EPKaPaPKlPlN2at6native12_GLOBAL__N_18offset_tEEE10hipError_tPvRmT1_PNSt15iterator_traitsIS12_E10value_typeET2_T3_PNS13_IS18_E10value_typeET4_jRbjT5_S1E_jjP12ihipStream_tbEUljE_ZNSN_ISO_Lb1ESQ_SR_ST_SU_SY_EESZ_S10_S11_S12_S16_S17_S18_S1B_S1C_jS1D_jS1E_S1E_jjS1G_bEUljE0_EEESZ_S10_S11_S18_S1C_S1E_T6_T7_T9_mT8_S1G_bDpT10_ENKUlT_T0_E_clISt17integral_constantIbLb0EES1U_EEDaS1P_S1Q_EUlS1P_E_NS1_11comp_targetILNS1_3genE8ELNS1_11target_archE1030ELNS1_3gpuE2ELNS1_3repE0EEENS1_30default_config_static_selectorELNS0_4arch9wavefront6targetE1EEEvS12_.kd
    .uniform_work_group_size: 1
    .uses_dynamic_stack: false
    .vgpr_count:     0
    .vgpr_spill_count: 0
    .wavefront_size: 64
  - .args:
      - .offset:         0
        .size:           184
        .value_kind:     by_value
    .group_segment_fixed_size: 0
    .kernarg_segment_align: 8
    .kernarg_segment_size: 184
    .language:       OpenCL C
    .language_version:
      - 2
      - 0
    .max_flat_workgroup_size: 256
    .name:           _ZN7rocprim17ROCPRIM_400000_NS6detail17trampoline_kernelINS0_13select_configILj256ELj13ELNS0_17block_load_methodE3ELS4_3ELS4_3ELNS0_20block_scan_algorithmE0ELj4294967295EEENS1_25partition_config_selectorILNS1_17partition_subalgoE4EjNS0_10empty_typeEbEEZZNS1_14partition_implILS8_4ELb0ES6_15HIP_vector_typeIjLj2EENS0_17counting_iteratorIjlEEPS9_SG_NS0_5tupleIJPjSI_NS0_16reverse_iteratorISI_EEEEENSH_IJSG_SG_SG_EEES9_SI_JZNS1_25segmented_radix_sort_implINS0_14default_configELb1EPKaPaPKlPlN2at6native12_GLOBAL__N_18offset_tEEE10hipError_tPvRmT1_PNSt15iterator_traitsIS12_E10value_typeET2_T3_PNS13_IS18_E10value_typeET4_jRbjT5_S1E_jjP12ihipStream_tbEUljE_ZNSN_ISO_Lb1ESQ_SR_ST_SU_SY_EESZ_S10_S11_S12_S16_S17_S18_S1B_S1C_jS1D_jS1E_S1E_jjS1G_bEUljE0_EEESZ_S10_S11_S18_S1C_S1E_T6_T7_T9_mT8_S1G_bDpT10_ENKUlT_T0_E_clISt17integral_constantIbLb1EES1U_EEDaS1P_S1Q_EUlS1P_E_NS1_11comp_targetILNS1_3genE0ELNS1_11target_archE4294967295ELNS1_3gpuE0ELNS1_3repE0EEENS1_30default_config_static_selectorELNS0_4arch9wavefront6targetE1EEEvS12_
    .private_segment_fixed_size: 0
    .sgpr_count:     4
    .sgpr_spill_count: 0
    .symbol:         _ZN7rocprim17ROCPRIM_400000_NS6detail17trampoline_kernelINS0_13select_configILj256ELj13ELNS0_17block_load_methodE3ELS4_3ELS4_3ELNS0_20block_scan_algorithmE0ELj4294967295EEENS1_25partition_config_selectorILNS1_17partition_subalgoE4EjNS0_10empty_typeEbEEZZNS1_14partition_implILS8_4ELb0ES6_15HIP_vector_typeIjLj2EENS0_17counting_iteratorIjlEEPS9_SG_NS0_5tupleIJPjSI_NS0_16reverse_iteratorISI_EEEEENSH_IJSG_SG_SG_EEES9_SI_JZNS1_25segmented_radix_sort_implINS0_14default_configELb1EPKaPaPKlPlN2at6native12_GLOBAL__N_18offset_tEEE10hipError_tPvRmT1_PNSt15iterator_traitsIS12_E10value_typeET2_T3_PNS13_IS18_E10value_typeET4_jRbjT5_S1E_jjP12ihipStream_tbEUljE_ZNSN_ISO_Lb1ESQ_SR_ST_SU_SY_EESZ_S10_S11_S12_S16_S17_S18_S1B_S1C_jS1D_jS1E_S1E_jjS1G_bEUljE0_EEESZ_S10_S11_S18_S1C_S1E_T6_T7_T9_mT8_S1G_bDpT10_ENKUlT_T0_E_clISt17integral_constantIbLb1EES1U_EEDaS1P_S1Q_EUlS1P_E_NS1_11comp_targetILNS1_3genE0ELNS1_11target_archE4294967295ELNS1_3gpuE0ELNS1_3repE0EEENS1_30default_config_static_selectorELNS0_4arch9wavefront6targetE1EEEvS12_.kd
    .uniform_work_group_size: 1
    .uses_dynamic_stack: false
    .vgpr_count:     0
    .vgpr_spill_count: 0
    .wavefront_size: 64
  - .args:
      - .offset:         0
        .size:           184
        .value_kind:     by_value
    .group_segment_fixed_size: 0
    .kernarg_segment_align: 8
    .kernarg_segment_size: 184
    .language:       OpenCL C
    .language_version:
      - 2
      - 0
    .max_flat_workgroup_size: 256
    .name:           _ZN7rocprim17ROCPRIM_400000_NS6detail17trampoline_kernelINS0_13select_configILj256ELj13ELNS0_17block_load_methodE3ELS4_3ELS4_3ELNS0_20block_scan_algorithmE0ELj4294967295EEENS1_25partition_config_selectorILNS1_17partition_subalgoE4EjNS0_10empty_typeEbEEZZNS1_14partition_implILS8_4ELb0ES6_15HIP_vector_typeIjLj2EENS0_17counting_iteratorIjlEEPS9_SG_NS0_5tupleIJPjSI_NS0_16reverse_iteratorISI_EEEEENSH_IJSG_SG_SG_EEES9_SI_JZNS1_25segmented_radix_sort_implINS0_14default_configELb1EPKaPaPKlPlN2at6native12_GLOBAL__N_18offset_tEEE10hipError_tPvRmT1_PNSt15iterator_traitsIS12_E10value_typeET2_T3_PNS13_IS18_E10value_typeET4_jRbjT5_S1E_jjP12ihipStream_tbEUljE_ZNSN_ISO_Lb1ESQ_SR_ST_SU_SY_EESZ_S10_S11_S12_S16_S17_S18_S1B_S1C_jS1D_jS1E_S1E_jjS1G_bEUljE0_EEESZ_S10_S11_S18_S1C_S1E_T6_T7_T9_mT8_S1G_bDpT10_ENKUlT_T0_E_clISt17integral_constantIbLb1EES1U_EEDaS1P_S1Q_EUlS1P_E_NS1_11comp_targetILNS1_3genE5ELNS1_11target_archE942ELNS1_3gpuE9ELNS1_3repE0EEENS1_30default_config_static_selectorELNS0_4arch9wavefront6targetE1EEEvS12_
    .private_segment_fixed_size: 0
    .sgpr_count:     4
    .sgpr_spill_count: 0
    .symbol:         _ZN7rocprim17ROCPRIM_400000_NS6detail17trampoline_kernelINS0_13select_configILj256ELj13ELNS0_17block_load_methodE3ELS4_3ELS4_3ELNS0_20block_scan_algorithmE0ELj4294967295EEENS1_25partition_config_selectorILNS1_17partition_subalgoE4EjNS0_10empty_typeEbEEZZNS1_14partition_implILS8_4ELb0ES6_15HIP_vector_typeIjLj2EENS0_17counting_iteratorIjlEEPS9_SG_NS0_5tupleIJPjSI_NS0_16reverse_iteratorISI_EEEEENSH_IJSG_SG_SG_EEES9_SI_JZNS1_25segmented_radix_sort_implINS0_14default_configELb1EPKaPaPKlPlN2at6native12_GLOBAL__N_18offset_tEEE10hipError_tPvRmT1_PNSt15iterator_traitsIS12_E10value_typeET2_T3_PNS13_IS18_E10value_typeET4_jRbjT5_S1E_jjP12ihipStream_tbEUljE_ZNSN_ISO_Lb1ESQ_SR_ST_SU_SY_EESZ_S10_S11_S12_S16_S17_S18_S1B_S1C_jS1D_jS1E_S1E_jjS1G_bEUljE0_EEESZ_S10_S11_S18_S1C_S1E_T6_T7_T9_mT8_S1G_bDpT10_ENKUlT_T0_E_clISt17integral_constantIbLb1EES1U_EEDaS1P_S1Q_EUlS1P_E_NS1_11comp_targetILNS1_3genE5ELNS1_11target_archE942ELNS1_3gpuE9ELNS1_3repE0EEENS1_30default_config_static_selectorELNS0_4arch9wavefront6targetE1EEEvS12_.kd
    .uniform_work_group_size: 1
    .uses_dynamic_stack: false
    .vgpr_count:     0
    .vgpr_spill_count: 0
    .wavefront_size: 64
  - .args:
      - .offset:         0
        .size:           184
        .value_kind:     by_value
    .group_segment_fixed_size: 0
    .kernarg_segment_align: 8
    .kernarg_segment_size: 184
    .language:       OpenCL C
    .language_version:
      - 2
      - 0
    .max_flat_workgroup_size: 256
    .name:           _ZN7rocprim17ROCPRIM_400000_NS6detail17trampoline_kernelINS0_13select_configILj256ELj13ELNS0_17block_load_methodE3ELS4_3ELS4_3ELNS0_20block_scan_algorithmE0ELj4294967295EEENS1_25partition_config_selectorILNS1_17partition_subalgoE4EjNS0_10empty_typeEbEEZZNS1_14partition_implILS8_4ELb0ES6_15HIP_vector_typeIjLj2EENS0_17counting_iteratorIjlEEPS9_SG_NS0_5tupleIJPjSI_NS0_16reverse_iteratorISI_EEEEENSH_IJSG_SG_SG_EEES9_SI_JZNS1_25segmented_radix_sort_implINS0_14default_configELb1EPKaPaPKlPlN2at6native12_GLOBAL__N_18offset_tEEE10hipError_tPvRmT1_PNSt15iterator_traitsIS12_E10value_typeET2_T3_PNS13_IS18_E10value_typeET4_jRbjT5_S1E_jjP12ihipStream_tbEUljE_ZNSN_ISO_Lb1ESQ_SR_ST_SU_SY_EESZ_S10_S11_S12_S16_S17_S18_S1B_S1C_jS1D_jS1E_S1E_jjS1G_bEUljE0_EEESZ_S10_S11_S18_S1C_S1E_T6_T7_T9_mT8_S1G_bDpT10_ENKUlT_T0_E_clISt17integral_constantIbLb1EES1U_EEDaS1P_S1Q_EUlS1P_E_NS1_11comp_targetILNS1_3genE4ELNS1_11target_archE910ELNS1_3gpuE8ELNS1_3repE0EEENS1_30default_config_static_selectorELNS0_4arch9wavefront6targetE1EEEvS12_
    .private_segment_fixed_size: 0
    .sgpr_count:     4
    .sgpr_spill_count: 0
    .symbol:         _ZN7rocprim17ROCPRIM_400000_NS6detail17trampoline_kernelINS0_13select_configILj256ELj13ELNS0_17block_load_methodE3ELS4_3ELS4_3ELNS0_20block_scan_algorithmE0ELj4294967295EEENS1_25partition_config_selectorILNS1_17partition_subalgoE4EjNS0_10empty_typeEbEEZZNS1_14partition_implILS8_4ELb0ES6_15HIP_vector_typeIjLj2EENS0_17counting_iteratorIjlEEPS9_SG_NS0_5tupleIJPjSI_NS0_16reverse_iteratorISI_EEEEENSH_IJSG_SG_SG_EEES9_SI_JZNS1_25segmented_radix_sort_implINS0_14default_configELb1EPKaPaPKlPlN2at6native12_GLOBAL__N_18offset_tEEE10hipError_tPvRmT1_PNSt15iterator_traitsIS12_E10value_typeET2_T3_PNS13_IS18_E10value_typeET4_jRbjT5_S1E_jjP12ihipStream_tbEUljE_ZNSN_ISO_Lb1ESQ_SR_ST_SU_SY_EESZ_S10_S11_S12_S16_S17_S18_S1B_S1C_jS1D_jS1E_S1E_jjS1G_bEUljE0_EEESZ_S10_S11_S18_S1C_S1E_T6_T7_T9_mT8_S1G_bDpT10_ENKUlT_T0_E_clISt17integral_constantIbLb1EES1U_EEDaS1P_S1Q_EUlS1P_E_NS1_11comp_targetILNS1_3genE4ELNS1_11target_archE910ELNS1_3gpuE8ELNS1_3repE0EEENS1_30default_config_static_selectorELNS0_4arch9wavefront6targetE1EEEvS12_.kd
    .uniform_work_group_size: 1
    .uses_dynamic_stack: false
    .vgpr_count:     0
    .vgpr_spill_count: 0
    .wavefront_size: 64
  - .args:
      - .offset:         0
        .size:           184
        .value_kind:     by_value
    .group_segment_fixed_size: 0
    .kernarg_segment_align: 8
    .kernarg_segment_size: 184
    .language:       OpenCL C
    .language_version:
      - 2
      - 0
    .max_flat_workgroup_size: 256
    .name:           _ZN7rocprim17ROCPRIM_400000_NS6detail17trampoline_kernelINS0_13select_configILj256ELj13ELNS0_17block_load_methodE3ELS4_3ELS4_3ELNS0_20block_scan_algorithmE0ELj4294967295EEENS1_25partition_config_selectorILNS1_17partition_subalgoE4EjNS0_10empty_typeEbEEZZNS1_14partition_implILS8_4ELb0ES6_15HIP_vector_typeIjLj2EENS0_17counting_iteratorIjlEEPS9_SG_NS0_5tupleIJPjSI_NS0_16reverse_iteratorISI_EEEEENSH_IJSG_SG_SG_EEES9_SI_JZNS1_25segmented_radix_sort_implINS0_14default_configELb1EPKaPaPKlPlN2at6native12_GLOBAL__N_18offset_tEEE10hipError_tPvRmT1_PNSt15iterator_traitsIS12_E10value_typeET2_T3_PNS13_IS18_E10value_typeET4_jRbjT5_S1E_jjP12ihipStream_tbEUljE_ZNSN_ISO_Lb1ESQ_SR_ST_SU_SY_EESZ_S10_S11_S12_S16_S17_S18_S1B_S1C_jS1D_jS1E_S1E_jjS1G_bEUljE0_EEESZ_S10_S11_S18_S1C_S1E_T6_T7_T9_mT8_S1G_bDpT10_ENKUlT_T0_E_clISt17integral_constantIbLb1EES1U_EEDaS1P_S1Q_EUlS1P_E_NS1_11comp_targetILNS1_3genE3ELNS1_11target_archE908ELNS1_3gpuE7ELNS1_3repE0EEENS1_30default_config_static_selectorELNS0_4arch9wavefront6targetE1EEEvS12_
    .private_segment_fixed_size: 0
    .sgpr_count:     4
    .sgpr_spill_count: 0
    .symbol:         _ZN7rocprim17ROCPRIM_400000_NS6detail17trampoline_kernelINS0_13select_configILj256ELj13ELNS0_17block_load_methodE3ELS4_3ELS4_3ELNS0_20block_scan_algorithmE0ELj4294967295EEENS1_25partition_config_selectorILNS1_17partition_subalgoE4EjNS0_10empty_typeEbEEZZNS1_14partition_implILS8_4ELb0ES6_15HIP_vector_typeIjLj2EENS0_17counting_iteratorIjlEEPS9_SG_NS0_5tupleIJPjSI_NS0_16reverse_iteratorISI_EEEEENSH_IJSG_SG_SG_EEES9_SI_JZNS1_25segmented_radix_sort_implINS0_14default_configELb1EPKaPaPKlPlN2at6native12_GLOBAL__N_18offset_tEEE10hipError_tPvRmT1_PNSt15iterator_traitsIS12_E10value_typeET2_T3_PNS13_IS18_E10value_typeET4_jRbjT5_S1E_jjP12ihipStream_tbEUljE_ZNSN_ISO_Lb1ESQ_SR_ST_SU_SY_EESZ_S10_S11_S12_S16_S17_S18_S1B_S1C_jS1D_jS1E_S1E_jjS1G_bEUljE0_EEESZ_S10_S11_S18_S1C_S1E_T6_T7_T9_mT8_S1G_bDpT10_ENKUlT_T0_E_clISt17integral_constantIbLb1EES1U_EEDaS1P_S1Q_EUlS1P_E_NS1_11comp_targetILNS1_3genE3ELNS1_11target_archE908ELNS1_3gpuE7ELNS1_3repE0EEENS1_30default_config_static_selectorELNS0_4arch9wavefront6targetE1EEEvS12_.kd
    .uniform_work_group_size: 1
    .uses_dynamic_stack: false
    .vgpr_count:     0
    .vgpr_spill_count: 0
    .wavefront_size: 64
  - .args:
      - .offset:         0
        .size:           184
        .value_kind:     by_value
    .group_segment_fixed_size: 0
    .kernarg_segment_align: 8
    .kernarg_segment_size: 184
    .language:       OpenCL C
    .language_version:
      - 2
      - 0
    .max_flat_workgroup_size: 256
    .name:           _ZN7rocprim17ROCPRIM_400000_NS6detail17trampoline_kernelINS0_13select_configILj256ELj13ELNS0_17block_load_methodE3ELS4_3ELS4_3ELNS0_20block_scan_algorithmE0ELj4294967295EEENS1_25partition_config_selectorILNS1_17partition_subalgoE4EjNS0_10empty_typeEbEEZZNS1_14partition_implILS8_4ELb0ES6_15HIP_vector_typeIjLj2EENS0_17counting_iteratorIjlEEPS9_SG_NS0_5tupleIJPjSI_NS0_16reverse_iteratorISI_EEEEENSH_IJSG_SG_SG_EEES9_SI_JZNS1_25segmented_radix_sort_implINS0_14default_configELb1EPKaPaPKlPlN2at6native12_GLOBAL__N_18offset_tEEE10hipError_tPvRmT1_PNSt15iterator_traitsIS12_E10value_typeET2_T3_PNS13_IS18_E10value_typeET4_jRbjT5_S1E_jjP12ihipStream_tbEUljE_ZNSN_ISO_Lb1ESQ_SR_ST_SU_SY_EESZ_S10_S11_S12_S16_S17_S18_S1B_S1C_jS1D_jS1E_S1E_jjS1G_bEUljE0_EEESZ_S10_S11_S18_S1C_S1E_T6_T7_T9_mT8_S1G_bDpT10_ENKUlT_T0_E_clISt17integral_constantIbLb1EES1U_EEDaS1P_S1Q_EUlS1P_E_NS1_11comp_targetILNS1_3genE2ELNS1_11target_archE906ELNS1_3gpuE6ELNS1_3repE0EEENS1_30default_config_static_selectorELNS0_4arch9wavefront6targetE1EEEvS12_
    .private_segment_fixed_size: 0
    .sgpr_count:     4
    .sgpr_spill_count: 0
    .symbol:         _ZN7rocprim17ROCPRIM_400000_NS6detail17trampoline_kernelINS0_13select_configILj256ELj13ELNS0_17block_load_methodE3ELS4_3ELS4_3ELNS0_20block_scan_algorithmE0ELj4294967295EEENS1_25partition_config_selectorILNS1_17partition_subalgoE4EjNS0_10empty_typeEbEEZZNS1_14partition_implILS8_4ELb0ES6_15HIP_vector_typeIjLj2EENS0_17counting_iteratorIjlEEPS9_SG_NS0_5tupleIJPjSI_NS0_16reverse_iteratorISI_EEEEENSH_IJSG_SG_SG_EEES9_SI_JZNS1_25segmented_radix_sort_implINS0_14default_configELb1EPKaPaPKlPlN2at6native12_GLOBAL__N_18offset_tEEE10hipError_tPvRmT1_PNSt15iterator_traitsIS12_E10value_typeET2_T3_PNS13_IS18_E10value_typeET4_jRbjT5_S1E_jjP12ihipStream_tbEUljE_ZNSN_ISO_Lb1ESQ_SR_ST_SU_SY_EESZ_S10_S11_S12_S16_S17_S18_S1B_S1C_jS1D_jS1E_S1E_jjS1G_bEUljE0_EEESZ_S10_S11_S18_S1C_S1E_T6_T7_T9_mT8_S1G_bDpT10_ENKUlT_T0_E_clISt17integral_constantIbLb1EES1U_EEDaS1P_S1Q_EUlS1P_E_NS1_11comp_targetILNS1_3genE2ELNS1_11target_archE906ELNS1_3gpuE6ELNS1_3repE0EEENS1_30default_config_static_selectorELNS0_4arch9wavefront6targetE1EEEvS12_.kd
    .uniform_work_group_size: 1
    .uses_dynamic_stack: false
    .vgpr_count:     0
    .vgpr_spill_count: 0
    .wavefront_size: 64
  - .args:
      - .offset:         0
        .size:           184
        .value_kind:     by_value
    .group_segment_fixed_size: 0
    .kernarg_segment_align: 8
    .kernarg_segment_size: 184
    .language:       OpenCL C
    .language_version:
      - 2
      - 0
    .max_flat_workgroup_size: 256
    .name:           _ZN7rocprim17ROCPRIM_400000_NS6detail17trampoline_kernelINS0_13select_configILj256ELj13ELNS0_17block_load_methodE3ELS4_3ELS4_3ELNS0_20block_scan_algorithmE0ELj4294967295EEENS1_25partition_config_selectorILNS1_17partition_subalgoE4EjNS0_10empty_typeEbEEZZNS1_14partition_implILS8_4ELb0ES6_15HIP_vector_typeIjLj2EENS0_17counting_iteratorIjlEEPS9_SG_NS0_5tupleIJPjSI_NS0_16reverse_iteratorISI_EEEEENSH_IJSG_SG_SG_EEES9_SI_JZNS1_25segmented_radix_sort_implINS0_14default_configELb1EPKaPaPKlPlN2at6native12_GLOBAL__N_18offset_tEEE10hipError_tPvRmT1_PNSt15iterator_traitsIS12_E10value_typeET2_T3_PNS13_IS18_E10value_typeET4_jRbjT5_S1E_jjP12ihipStream_tbEUljE_ZNSN_ISO_Lb1ESQ_SR_ST_SU_SY_EESZ_S10_S11_S12_S16_S17_S18_S1B_S1C_jS1D_jS1E_S1E_jjS1G_bEUljE0_EEESZ_S10_S11_S18_S1C_S1E_T6_T7_T9_mT8_S1G_bDpT10_ENKUlT_T0_E_clISt17integral_constantIbLb1EES1U_EEDaS1P_S1Q_EUlS1P_E_NS1_11comp_targetILNS1_3genE10ELNS1_11target_archE1200ELNS1_3gpuE4ELNS1_3repE0EEENS1_30default_config_static_selectorELNS0_4arch9wavefront6targetE1EEEvS12_
    .private_segment_fixed_size: 0
    .sgpr_count:     4
    .sgpr_spill_count: 0
    .symbol:         _ZN7rocprim17ROCPRIM_400000_NS6detail17trampoline_kernelINS0_13select_configILj256ELj13ELNS0_17block_load_methodE3ELS4_3ELS4_3ELNS0_20block_scan_algorithmE0ELj4294967295EEENS1_25partition_config_selectorILNS1_17partition_subalgoE4EjNS0_10empty_typeEbEEZZNS1_14partition_implILS8_4ELb0ES6_15HIP_vector_typeIjLj2EENS0_17counting_iteratorIjlEEPS9_SG_NS0_5tupleIJPjSI_NS0_16reverse_iteratorISI_EEEEENSH_IJSG_SG_SG_EEES9_SI_JZNS1_25segmented_radix_sort_implINS0_14default_configELb1EPKaPaPKlPlN2at6native12_GLOBAL__N_18offset_tEEE10hipError_tPvRmT1_PNSt15iterator_traitsIS12_E10value_typeET2_T3_PNS13_IS18_E10value_typeET4_jRbjT5_S1E_jjP12ihipStream_tbEUljE_ZNSN_ISO_Lb1ESQ_SR_ST_SU_SY_EESZ_S10_S11_S12_S16_S17_S18_S1B_S1C_jS1D_jS1E_S1E_jjS1G_bEUljE0_EEESZ_S10_S11_S18_S1C_S1E_T6_T7_T9_mT8_S1G_bDpT10_ENKUlT_T0_E_clISt17integral_constantIbLb1EES1U_EEDaS1P_S1Q_EUlS1P_E_NS1_11comp_targetILNS1_3genE10ELNS1_11target_archE1200ELNS1_3gpuE4ELNS1_3repE0EEENS1_30default_config_static_selectorELNS0_4arch9wavefront6targetE1EEEvS12_.kd
    .uniform_work_group_size: 1
    .uses_dynamic_stack: false
    .vgpr_count:     0
    .vgpr_spill_count: 0
    .wavefront_size: 64
  - .args:
      - .offset:         0
        .size:           184
        .value_kind:     by_value
    .group_segment_fixed_size: 0
    .kernarg_segment_align: 8
    .kernarg_segment_size: 184
    .language:       OpenCL C
    .language_version:
      - 2
      - 0
    .max_flat_workgroup_size: 256
    .name:           _ZN7rocprim17ROCPRIM_400000_NS6detail17trampoline_kernelINS0_13select_configILj256ELj13ELNS0_17block_load_methodE3ELS4_3ELS4_3ELNS0_20block_scan_algorithmE0ELj4294967295EEENS1_25partition_config_selectorILNS1_17partition_subalgoE4EjNS0_10empty_typeEbEEZZNS1_14partition_implILS8_4ELb0ES6_15HIP_vector_typeIjLj2EENS0_17counting_iteratorIjlEEPS9_SG_NS0_5tupleIJPjSI_NS0_16reverse_iteratorISI_EEEEENSH_IJSG_SG_SG_EEES9_SI_JZNS1_25segmented_radix_sort_implINS0_14default_configELb1EPKaPaPKlPlN2at6native12_GLOBAL__N_18offset_tEEE10hipError_tPvRmT1_PNSt15iterator_traitsIS12_E10value_typeET2_T3_PNS13_IS18_E10value_typeET4_jRbjT5_S1E_jjP12ihipStream_tbEUljE_ZNSN_ISO_Lb1ESQ_SR_ST_SU_SY_EESZ_S10_S11_S12_S16_S17_S18_S1B_S1C_jS1D_jS1E_S1E_jjS1G_bEUljE0_EEESZ_S10_S11_S18_S1C_S1E_T6_T7_T9_mT8_S1G_bDpT10_ENKUlT_T0_E_clISt17integral_constantIbLb1EES1U_EEDaS1P_S1Q_EUlS1P_E_NS1_11comp_targetILNS1_3genE9ELNS1_11target_archE1100ELNS1_3gpuE3ELNS1_3repE0EEENS1_30default_config_static_selectorELNS0_4arch9wavefront6targetE1EEEvS12_
    .private_segment_fixed_size: 0
    .sgpr_count:     4
    .sgpr_spill_count: 0
    .symbol:         _ZN7rocprim17ROCPRIM_400000_NS6detail17trampoline_kernelINS0_13select_configILj256ELj13ELNS0_17block_load_methodE3ELS4_3ELS4_3ELNS0_20block_scan_algorithmE0ELj4294967295EEENS1_25partition_config_selectorILNS1_17partition_subalgoE4EjNS0_10empty_typeEbEEZZNS1_14partition_implILS8_4ELb0ES6_15HIP_vector_typeIjLj2EENS0_17counting_iteratorIjlEEPS9_SG_NS0_5tupleIJPjSI_NS0_16reverse_iteratorISI_EEEEENSH_IJSG_SG_SG_EEES9_SI_JZNS1_25segmented_radix_sort_implINS0_14default_configELb1EPKaPaPKlPlN2at6native12_GLOBAL__N_18offset_tEEE10hipError_tPvRmT1_PNSt15iterator_traitsIS12_E10value_typeET2_T3_PNS13_IS18_E10value_typeET4_jRbjT5_S1E_jjP12ihipStream_tbEUljE_ZNSN_ISO_Lb1ESQ_SR_ST_SU_SY_EESZ_S10_S11_S12_S16_S17_S18_S1B_S1C_jS1D_jS1E_S1E_jjS1G_bEUljE0_EEESZ_S10_S11_S18_S1C_S1E_T6_T7_T9_mT8_S1G_bDpT10_ENKUlT_T0_E_clISt17integral_constantIbLb1EES1U_EEDaS1P_S1Q_EUlS1P_E_NS1_11comp_targetILNS1_3genE9ELNS1_11target_archE1100ELNS1_3gpuE3ELNS1_3repE0EEENS1_30default_config_static_selectorELNS0_4arch9wavefront6targetE1EEEvS12_.kd
    .uniform_work_group_size: 1
    .uses_dynamic_stack: false
    .vgpr_count:     0
    .vgpr_spill_count: 0
    .wavefront_size: 64
  - .args:
      - .offset:         0
        .size:           184
        .value_kind:     by_value
    .group_segment_fixed_size: 0
    .kernarg_segment_align: 8
    .kernarg_segment_size: 184
    .language:       OpenCL C
    .language_version:
      - 2
      - 0
    .max_flat_workgroup_size: 256
    .name:           _ZN7rocprim17ROCPRIM_400000_NS6detail17trampoline_kernelINS0_13select_configILj256ELj13ELNS0_17block_load_methodE3ELS4_3ELS4_3ELNS0_20block_scan_algorithmE0ELj4294967295EEENS1_25partition_config_selectorILNS1_17partition_subalgoE4EjNS0_10empty_typeEbEEZZNS1_14partition_implILS8_4ELb0ES6_15HIP_vector_typeIjLj2EENS0_17counting_iteratorIjlEEPS9_SG_NS0_5tupleIJPjSI_NS0_16reverse_iteratorISI_EEEEENSH_IJSG_SG_SG_EEES9_SI_JZNS1_25segmented_radix_sort_implINS0_14default_configELb1EPKaPaPKlPlN2at6native12_GLOBAL__N_18offset_tEEE10hipError_tPvRmT1_PNSt15iterator_traitsIS12_E10value_typeET2_T3_PNS13_IS18_E10value_typeET4_jRbjT5_S1E_jjP12ihipStream_tbEUljE_ZNSN_ISO_Lb1ESQ_SR_ST_SU_SY_EESZ_S10_S11_S12_S16_S17_S18_S1B_S1C_jS1D_jS1E_S1E_jjS1G_bEUljE0_EEESZ_S10_S11_S18_S1C_S1E_T6_T7_T9_mT8_S1G_bDpT10_ENKUlT_T0_E_clISt17integral_constantIbLb1EES1U_EEDaS1P_S1Q_EUlS1P_E_NS1_11comp_targetILNS1_3genE8ELNS1_11target_archE1030ELNS1_3gpuE2ELNS1_3repE0EEENS1_30default_config_static_selectorELNS0_4arch9wavefront6targetE1EEEvS12_
    .private_segment_fixed_size: 0
    .sgpr_count:     4
    .sgpr_spill_count: 0
    .symbol:         _ZN7rocprim17ROCPRIM_400000_NS6detail17trampoline_kernelINS0_13select_configILj256ELj13ELNS0_17block_load_methodE3ELS4_3ELS4_3ELNS0_20block_scan_algorithmE0ELj4294967295EEENS1_25partition_config_selectorILNS1_17partition_subalgoE4EjNS0_10empty_typeEbEEZZNS1_14partition_implILS8_4ELb0ES6_15HIP_vector_typeIjLj2EENS0_17counting_iteratorIjlEEPS9_SG_NS0_5tupleIJPjSI_NS0_16reverse_iteratorISI_EEEEENSH_IJSG_SG_SG_EEES9_SI_JZNS1_25segmented_radix_sort_implINS0_14default_configELb1EPKaPaPKlPlN2at6native12_GLOBAL__N_18offset_tEEE10hipError_tPvRmT1_PNSt15iterator_traitsIS12_E10value_typeET2_T3_PNS13_IS18_E10value_typeET4_jRbjT5_S1E_jjP12ihipStream_tbEUljE_ZNSN_ISO_Lb1ESQ_SR_ST_SU_SY_EESZ_S10_S11_S12_S16_S17_S18_S1B_S1C_jS1D_jS1E_S1E_jjS1G_bEUljE0_EEESZ_S10_S11_S18_S1C_S1E_T6_T7_T9_mT8_S1G_bDpT10_ENKUlT_T0_E_clISt17integral_constantIbLb1EES1U_EEDaS1P_S1Q_EUlS1P_E_NS1_11comp_targetILNS1_3genE8ELNS1_11target_archE1030ELNS1_3gpuE2ELNS1_3repE0EEENS1_30default_config_static_selectorELNS0_4arch9wavefront6targetE1EEEvS12_.kd
    .uniform_work_group_size: 1
    .uses_dynamic_stack: false
    .vgpr_count:     0
    .vgpr_spill_count: 0
    .wavefront_size: 64
  - .args:
      - .offset:         0
        .size:           176
        .value_kind:     by_value
    .group_segment_fixed_size: 0
    .kernarg_segment_align: 8
    .kernarg_segment_size: 176
    .language:       OpenCL C
    .language_version:
      - 2
      - 0
    .max_flat_workgroup_size: 256
    .name:           _ZN7rocprim17ROCPRIM_400000_NS6detail17trampoline_kernelINS0_13select_configILj256ELj13ELNS0_17block_load_methodE3ELS4_3ELS4_3ELNS0_20block_scan_algorithmE0ELj4294967295EEENS1_25partition_config_selectorILNS1_17partition_subalgoE4EjNS0_10empty_typeEbEEZZNS1_14partition_implILS8_4ELb0ES6_15HIP_vector_typeIjLj2EENS0_17counting_iteratorIjlEEPS9_SG_NS0_5tupleIJPjSI_NS0_16reverse_iteratorISI_EEEEENSH_IJSG_SG_SG_EEES9_SI_JZNS1_25segmented_radix_sort_implINS0_14default_configELb1EPKaPaPKlPlN2at6native12_GLOBAL__N_18offset_tEEE10hipError_tPvRmT1_PNSt15iterator_traitsIS12_E10value_typeET2_T3_PNS13_IS18_E10value_typeET4_jRbjT5_S1E_jjP12ihipStream_tbEUljE_ZNSN_ISO_Lb1ESQ_SR_ST_SU_SY_EESZ_S10_S11_S12_S16_S17_S18_S1B_S1C_jS1D_jS1E_S1E_jjS1G_bEUljE0_EEESZ_S10_S11_S18_S1C_S1E_T6_T7_T9_mT8_S1G_bDpT10_ENKUlT_T0_E_clISt17integral_constantIbLb1EES1T_IbLb0EEEEDaS1P_S1Q_EUlS1P_E_NS1_11comp_targetILNS1_3genE0ELNS1_11target_archE4294967295ELNS1_3gpuE0ELNS1_3repE0EEENS1_30default_config_static_selectorELNS0_4arch9wavefront6targetE1EEEvS12_
    .private_segment_fixed_size: 0
    .sgpr_count:     4
    .sgpr_spill_count: 0
    .symbol:         _ZN7rocprim17ROCPRIM_400000_NS6detail17trampoline_kernelINS0_13select_configILj256ELj13ELNS0_17block_load_methodE3ELS4_3ELS4_3ELNS0_20block_scan_algorithmE0ELj4294967295EEENS1_25partition_config_selectorILNS1_17partition_subalgoE4EjNS0_10empty_typeEbEEZZNS1_14partition_implILS8_4ELb0ES6_15HIP_vector_typeIjLj2EENS0_17counting_iteratorIjlEEPS9_SG_NS0_5tupleIJPjSI_NS0_16reverse_iteratorISI_EEEEENSH_IJSG_SG_SG_EEES9_SI_JZNS1_25segmented_radix_sort_implINS0_14default_configELb1EPKaPaPKlPlN2at6native12_GLOBAL__N_18offset_tEEE10hipError_tPvRmT1_PNSt15iterator_traitsIS12_E10value_typeET2_T3_PNS13_IS18_E10value_typeET4_jRbjT5_S1E_jjP12ihipStream_tbEUljE_ZNSN_ISO_Lb1ESQ_SR_ST_SU_SY_EESZ_S10_S11_S12_S16_S17_S18_S1B_S1C_jS1D_jS1E_S1E_jjS1G_bEUljE0_EEESZ_S10_S11_S18_S1C_S1E_T6_T7_T9_mT8_S1G_bDpT10_ENKUlT_T0_E_clISt17integral_constantIbLb1EES1T_IbLb0EEEEDaS1P_S1Q_EUlS1P_E_NS1_11comp_targetILNS1_3genE0ELNS1_11target_archE4294967295ELNS1_3gpuE0ELNS1_3repE0EEENS1_30default_config_static_selectorELNS0_4arch9wavefront6targetE1EEEvS12_.kd
    .uniform_work_group_size: 1
    .uses_dynamic_stack: false
    .vgpr_count:     0
    .vgpr_spill_count: 0
    .wavefront_size: 64
  - .args:
      - .offset:         0
        .size:           176
        .value_kind:     by_value
    .group_segment_fixed_size: 0
    .kernarg_segment_align: 8
    .kernarg_segment_size: 176
    .language:       OpenCL C
    .language_version:
      - 2
      - 0
    .max_flat_workgroup_size: 256
    .name:           _ZN7rocprim17ROCPRIM_400000_NS6detail17trampoline_kernelINS0_13select_configILj256ELj13ELNS0_17block_load_methodE3ELS4_3ELS4_3ELNS0_20block_scan_algorithmE0ELj4294967295EEENS1_25partition_config_selectorILNS1_17partition_subalgoE4EjNS0_10empty_typeEbEEZZNS1_14partition_implILS8_4ELb0ES6_15HIP_vector_typeIjLj2EENS0_17counting_iteratorIjlEEPS9_SG_NS0_5tupleIJPjSI_NS0_16reverse_iteratorISI_EEEEENSH_IJSG_SG_SG_EEES9_SI_JZNS1_25segmented_radix_sort_implINS0_14default_configELb1EPKaPaPKlPlN2at6native12_GLOBAL__N_18offset_tEEE10hipError_tPvRmT1_PNSt15iterator_traitsIS12_E10value_typeET2_T3_PNS13_IS18_E10value_typeET4_jRbjT5_S1E_jjP12ihipStream_tbEUljE_ZNSN_ISO_Lb1ESQ_SR_ST_SU_SY_EESZ_S10_S11_S12_S16_S17_S18_S1B_S1C_jS1D_jS1E_S1E_jjS1G_bEUljE0_EEESZ_S10_S11_S18_S1C_S1E_T6_T7_T9_mT8_S1G_bDpT10_ENKUlT_T0_E_clISt17integral_constantIbLb1EES1T_IbLb0EEEEDaS1P_S1Q_EUlS1P_E_NS1_11comp_targetILNS1_3genE5ELNS1_11target_archE942ELNS1_3gpuE9ELNS1_3repE0EEENS1_30default_config_static_selectorELNS0_4arch9wavefront6targetE1EEEvS12_
    .private_segment_fixed_size: 0
    .sgpr_count:     4
    .sgpr_spill_count: 0
    .symbol:         _ZN7rocprim17ROCPRIM_400000_NS6detail17trampoline_kernelINS0_13select_configILj256ELj13ELNS0_17block_load_methodE3ELS4_3ELS4_3ELNS0_20block_scan_algorithmE0ELj4294967295EEENS1_25partition_config_selectorILNS1_17partition_subalgoE4EjNS0_10empty_typeEbEEZZNS1_14partition_implILS8_4ELb0ES6_15HIP_vector_typeIjLj2EENS0_17counting_iteratorIjlEEPS9_SG_NS0_5tupleIJPjSI_NS0_16reverse_iteratorISI_EEEEENSH_IJSG_SG_SG_EEES9_SI_JZNS1_25segmented_radix_sort_implINS0_14default_configELb1EPKaPaPKlPlN2at6native12_GLOBAL__N_18offset_tEEE10hipError_tPvRmT1_PNSt15iterator_traitsIS12_E10value_typeET2_T3_PNS13_IS18_E10value_typeET4_jRbjT5_S1E_jjP12ihipStream_tbEUljE_ZNSN_ISO_Lb1ESQ_SR_ST_SU_SY_EESZ_S10_S11_S12_S16_S17_S18_S1B_S1C_jS1D_jS1E_S1E_jjS1G_bEUljE0_EEESZ_S10_S11_S18_S1C_S1E_T6_T7_T9_mT8_S1G_bDpT10_ENKUlT_T0_E_clISt17integral_constantIbLb1EES1T_IbLb0EEEEDaS1P_S1Q_EUlS1P_E_NS1_11comp_targetILNS1_3genE5ELNS1_11target_archE942ELNS1_3gpuE9ELNS1_3repE0EEENS1_30default_config_static_selectorELNS0_4arch9wavefront6targetE1EEEvS12_.kd
    .uniform_work_group_size: 1
    .uses_dynamic_stack: false
    .vgpr_count:     0
    .vgpr_spill_count: 0
    .wavefront_size: 64
  - .args:
      - .offset:         0
        .size:           176
        .value_kind:     by_value
    .group_segment_fixed_size: 0
    .kernarg_segment_align: 8
    .kernarg_segment_size: 176
    .language:       OpenCL C
    .language_version:
      - 2
      - 0
    .max_flat_workgroup_size: 256
    .name:           _ZN7rocprim17ROCPRIM_400000_NS6detail17trampoline_kernelINS0_13select_configILj256ELj13ELNS0_17block_load_methodE3ELS4_3ELS4_3ELNS0_20block_scan_algorithmE0ELj4294967295EEENS1_25partition_config_selectorILNS1_17partition_subalgoE4EjNS0_10empty_typeEbEEZZNS1_14partition_implILS8_4ELb0ES6_15HIP_vector_typeIjLj2EENS0_17counting_iteratorIjlEEPS9_SG_NS0_5tupleIJPjSI_NS0_16reverse_iteratorISI_EEEEENSH_IJSG_SG_SG_EEES9_SI_JZNS1_25segmented_radix_sort_implINS0_14default_configELb1EPKaPaPKlPlN2at6native12_GLOBAL__N_18offset_tEEE10hipError_tPvRmT1_PNSt15iterator_traitsIS12_E10value_typeET2_T3_PNS13_IS18_E10value_typeET4_jRbjT5_S1E_jjP12ihipStream_tbEUljE_ZNSN_ISO_Lb1ESQ_SR_ST_SU_SY_EESZ_S10_S11_S12_S16_S17_S18_S1B_S1C_jS1D_jS1E_S1E_jjS1G_bEUljE0_EEESZ_S10_S11_S18_S1C_S1E_T6_T7_T9_mT8_S1G_bDpT10_ENKUlT_T0_E_clISt17integral_constantIbLb1EES1T_IbLb0EEEEDaS1P_S1Q_EUlS1P_E_NS1_11comp_targetILNS1_3genE4ELNS1_11target_archE910ELNS1_3gpuE8ELNS1_3repE0EEENS1_30default_config_static_selectorELNS0_4arch9wavefront6targetE1EEEvS12_
    .private_segment_fixed_size: 0
    .sgpr_count:     4
    .sgpr_spill_count: 0
    .symbol:         _ZN7rocprim17ROCPRIM_400000_NS6detail17trampoline_kernelINS0_13select_configILj256ELj13ELNS0_17block_load_methodE3ELS4_3ELS4_3ELNS0_20block_scan_algorithmE0ELj4294967295EEENS1_25partition_config_selectorILNS1_17partition_subalgoE4EjNS0_10empty_typeEbEEZZNS1_14partition_implILS8_4ELb0ES6_15HIP_vector_typeIjLj2EENS0_17counting_iteratorIjlEEPS9_SG_NS0_5tupleIJPjSI_NS0_16reverse_iteratorISI_EEEEENSH_IJSG_SG_SG_EEES9_SI_JZNS1_25segmented_radix_sort_implINS0_14default_configELb1EPKaPaPKlPlN2at6native12_GLOBAL__N_18offset_tEEE10hipError_tPvRmT1_PNSt15iterator_traitsIS12_E10value_typeET2_T3_PNS13_IS18_E10value_typeET4_jRbjT5_S1E_jjP12ihipStream_tbEUljE_ZNSN_ISO_Lb1ESQ_SR_ST_SU_SY_EESZ_S10_S11_S12_S16_S17_S18_S1B_S1C_jS1D_jS1E_S1E_jjS1G_bEUljE0_EEESZ_S10_S11_S18_S1C_S1E_T6_T7_T9_mT8_S1G_bDpT10_ENKUlT_T0_E_clISt17integral_constantIbLb1EES1T_IbLb0EEEEDaS1P_S1Q_EUlS1P_E_NS1_11comp_targetILNS1_3genE4ELNS1_11target_archE910ELNS1_3gpuE8ELNS1_3repE0EEENS1_30default_config_static_selectorELNS0_4arch9wavefront6targetE1EEEvS12_.kd
    .uniform_work_group_size: 1
    .uses_dynamic_stack: false
    .vgpr_count:     0
    .vgpr_spill_count: 0
    .wavefront_size: 64
  - .args:
      - .offset:         0
        .size:           176
        .value_kind:     by_value
    .group_segment_fixed_size: 0
    .kernarg_segment_align: 8
    .kernarg_segment_size: 176
    .language:       OpenCL C
    .language_version:
      - 2
      - 0
    .max_flat_workgroup_size: 256
    .name:           _ZN7rocprim17ROCPRIM_400000_NS6detail17trampoline_kernelINS0_13select_configILj256ELj13ELNS0_17block_load_methodE3ELS4_3ELS4_3ELNS0_20block_scan_algorithmE0ELj4294967295EEENS1_25partition_config_selectorILNS1_17partition_subalgoE4EjNS0_10empty_typeEbEEZZNS1_14partition_implILS8_4ELb0ES6_15HIP_vector_typeIjLj2EENS0_17counting_iteratorIjlEEPS9_SG_NS0_5tupleIJPjSI_NS0_16reverse_iteratorISI_EEEEENSH_IJSG_SG_SG_EEES9_SI_JZNS1_25segmented_radix_sort_implINS0_14default_configELb1EPKaPaPKlPlN2at6native12_GLOBAL__N_18offset_tEEE10hipError_tPvRmT1_PNSt15iterator_traitsIS12_E10value_typeET2_T3_PNS13_IS18_E10value_typeET4_jRbjT5_S1E_jjP12ihipStream_tbEUljE_ZNSN_ISO_Lb1ESQ_SR_ST_SU_SY_EESZ_S10_S11_S12_S16_S17_S18_S1B_S1C_jS1D_jS1E_S1E_jjS1G_bEUljE0_EEESZ_S10_S11_S18_S1C_S1E_T6_T7_T9_mT8_S1G_bDpT10_ENKUlT_T0_E_clISt17integral_constantIbLb1EES1T_IbLb0EEEEDaS1P_S1Q_EUlS1P_E_NS1_11comp_targetILNS1_3genE3ELNS1_11target_archE908ELNS1_3gpuE7ELNS1_3repE0EEENS1_30default_config_static_selectorELNS0_4arch9wavefront6targetE1EEEvS12_
    .private_segment_fixed_size: 0
    .sgpr_count:     4
    .sgpr_spill_count: 0
    .symbol:         _ZN7rocprim17ROCPRIM_400000_NS6detail17trampoline_kernelINS0_13select_configILj256ELj13ELNS0_17block_load_methodE3ELS4_3ELS4_3ELNS0_20block_scan_algorithmE0ELj4294967295EEENS1_25partition_config_selectorILNS1_17partition_subalgoE4EjNS0_10empty_typeEbEEZZNS1_14partition_implILS8_4ELb0ES6_15HIP_vector_typeIjLj2EENS0_17counting_iteratorIjlEEPS9_SG_NS0_5tupleIJPjSI_NS0_16reverse_iteratorISI_EEEEENSH_IJSG_SG_SG_EEES9_SI_JZNS1_25segmented_radix_sort_implINS0_14default_configELb1EPKaPaPKlPlN2at6native12_GLOBAL__N_18offset_tEEE10hipError_tPvRmT1_PNSt15iterator_traitsIS12_E10value_typeET2_T3_PNS13_IS18_E10value_typeET4_jRbjT5_S1E_jjP12ihipStream_tbEUljE_ZNSN_ISO_Lb1ESQ_SR_ST_SU_SY_EESZ_S10_S11_S12_S16_S17_S18_S1B_S1C_jS1D_jS1E_S1E_jjS1G_bEUljE0_EEESZ_S10_S11_S18_S1C_S1E_T6_T7_T9_mT8_S1G_bDpT10_ENKUlT_T0_E_clISt17integral_constantIbLb1EES1T_IbLb0EEEEDaS1P_S1Q_EUlS1P_E_NS1_11comp_targetILNS1_3genE3ELNS1_11target_archE908ELNS1_3gpuE7ELNS1_3repE0EEENS1_30default_config_static_selectorELNS0_4arch9wavefront6targetE1EEEvS12_.kd
    .uniform_work_group_size: 1
    .uses_dynamic_stack: false
    .vgpr_count:     0
    .vgpr_spill_count: 0
    .wavefront_size: 64
  - .args:
      - .offset:         0
        .size:           176
        .value_kind:     by_value
    .group_segment_fixed_size: 0
    .kernarg_segment_align: 8
    .kernarg_segment_size: 176
    .language:       OpenCL C
    .language_version:
      - 2
      - 0
    .max_flat_workgroup_size: 256
    .name:           _ZN7rocprim17ROCPRIM_400000_NS6detail17trampoline_kernelINS0_13select_configILj256ELj13ELNS0_17block_load_methodE3ELS4_3ELS4_3ELNS0_20block_scan_algorithmE0ELj4294967295EEENS1_25partition_config_selectorILNS1_17partition_subalgoE4EjNS0_10empty_typeEbEEZZNS1_14partition_implILS8_4ELb0ES6_15HIP_vector_typeIjLj2EENS0_17counting_iteratorIjlEEPS9_SG_NS0_5tupleIJPjSI_NS0_16reverse_iteratorISI_EEEEENSH_IJSG_SG_SG_EEES9_SI_JZNS1_25segmented_radix_sort_implINS0_14default_configELb1EPKaPaPKlPlN2at6native12_GLOBAL__N_18offset_tEEE10hipError_tPvRmT1_PNSt15iterator_traitsIS12_E10value_typeET2_T3_PNS13_IS18_E10value_typeET4_jRbjT5_S1E_jjP12ihipStream_tbEUljE_ZNSN_ISO_Lb1ESQ_SR_ST_SU_SY_EESZ_S10_S11_S12_S16_S17_S18_S1B_S1C_jS1D_jS1E_S1E_jjS1G_bEUljE0_EEESZ_S10_S11_S18_S1C_S1E_T6_T7_T9_mT8_S1G_bDpT10_ENKUlT_T0_E_clISt17integral_constantIbLb1EES1T_IbLb0EEEEDaS1P_S1Q_EUlS1P_E_NS1_11comp_targetILNS1_3genE2ELNS1_11target_archE906ELNS1_3gpuE6ELNS1_3repE0EEENS1_30default_config_static_selectorELNS0_4arch9wavefront6targetE1EEEvS12_
    .private_segment_fixed_size: 0
    .sgpr_count:     4
    .sgpr_spill_count: 0
    .symbol:         _ZN7rocprim17ROCPRIM_400000_NS6detail17trampoline_kernelINS0_13select_configILj256ELj13ELNS0_17block_load_methodE3ELS4_3ELS4_3ELNS0_20block_scan_algorithmE0ELj4294967295EEENS1_25partition_config_selectorILNS1_17partition_subalgoE4EjNS0_10empty_typeEbEEZZNS1_14partition_implILS8_4ELb0ES6_15HIP_vector_typeIjLj2EENS0_17counting_iteratorIjlEEPS9_SG_NS0_5tupleIJPjSI_NS0_16reverse_iteratorISI_EEEEENSH_IJSG_SG_SG_EEES9_SI_JZNS1_25segmented_radix_sort_implINS0_14default_configELb1EPKaPaPKlPlN2at6native12_GLOBAL__N_18offset_tEEE10hipError_tPvRmT1_PNSt15iterator_traitsIS12_E10value_typeET2_T3_PNS13_IS18_E10value_typeET4_jRbjT5_S1E_jjP12ihipStream_tbEUljE_ZNSN_ISO_Lb1ESQ_SR_ST_SU_SY_EESZ_S10_S11_S12_S16_S17_S18_S1B_S1C_jS1D_jS1E_S1E_jjS1G_bEUljE0_EEESZ_S10_S11_S18_S1C_S1E_T6_T7_T9_mT8_S1G_bDpT10_ENKUlT_T0_E_clISt17integral_constantIbLb1EES1T_IbLb0EEEEDaS1P_S1Q_EUlS1P_E_NS1_11comp_targetILNS1_3genE2ELNS1_11target_archE906ELNS1_3gpuE6ELNS1_3repE0EEENS1_30default_config_static_selectorELNS0_4arch9wavefront6targetE1EEEvS12_.kd
    .uniform_work_group_size: 1
    .uses_dynamic_stack: false
    .vgpr_count:     0
    .vgpr_spill_count: 0
    .wavefront_size: 64
  - .args:
      - .offset:         0
        .size:           176
        .value_kind:     by_value
    .group_segment_fixed_size: 0
    .kernarg_segment_align: 8
    .kernarg_segment_size: 176
    .language:       OpenCL C
    .language_version:
      - 2
      - 0
    .max_flat_workgroup_size: 256
    .name:           _ZN7rocprim17ROCPRIM_400000_NS6detail17trampoline_kernelINS0_13select_configILj256ELj13ELNS0_17block_load_methodE3ELS4_3ELS4_3ELNS0_20block_scan_algorithmE0ELj4294967295EEENS1_25partition_config_selectorILNS1_17partition_subalgoE4EjNS0_10empty_typeEbEEZZNS1_14partition_implILS8_4ELb0ES6_15HIP_vector_typeIjLj2EENS0_17counting_iteratorIjlEEPS9_SG_NS0_5tupleIJPjSI_NS0_16reverse_iteratorISI_EEEEENSH_IJSG_SG_SG_EEES9_SI_JZNS1_25segmented_radix_sort_implINS0_14default_configELb1EPKaPaPKlPlN2at6native12_GLOBAL__N_18offset_tEEE10hipError_tPvRmT1_PNSt15iterator_traitsIS12_E10value_typeET2_T3_PNS13_IS18_E10value_typeET4_jRbjT5_S1E_jjP12ihipStream_tbEUljE_ZNSN_ISO_Lb1ESQ_SR_ST_SU_SY_EESZ_S10_S11_S12_S16_S17_S18_S1B_S1C_jS1D_jS1E_S1E_jjS1G_bEUljE0_EEESZ_S10_S11_S18_S1C_S1E_T6_T7_T9_mT8_S1G_bDpT10_ENKUlT_T0_E_clISt17integral_constantIbLb1EES1T_IbLb0EEEEDaS1P_S1Q_EUlS1P_E_NS1_11comp_targetILNS1_3genE10ELNS1_11target_archE1200ELNS1_3gpuE4ELNS1_3repE0EEENS1_30default_config_static_selectorELNS0_4arch9wavefront6targetE1EEEvS12_
    .private_segment_fixed_size: 0
    .sgpr_count:     4
    .sgpr_spill_count: 0
    .symbol:         _ZN7rocprim17ROCPRIM_400000_NS6detail17trampoline_kernelINS0_13select_configILj256ELj13ELNS0_17block_load_methodE3ELS4_3ELS4_3ELNS0_20block_scan_algorithmE0ELj4294967295EEENS1_25partition_config_selectorILNS1_17partition_subalgoE4EjNS0_10empty_typeEbEEZZNS1_14partition_implILS8_4ELb0ES6_15HIP_vector_typeIjLj2EENS0_17counting_iteratorIjlEEPS9_SG_NS0_5tupleIJPjSI_NS0_16reverse_iteratorISI_EEEEENSH_IJSG_SG_SG_EEES9_SI_JZNS1_25segmented_radix_sort_implINS0_14default_configELb1EPKaPaPKlPlN2at6native12_GLOBAL__N_18offset_tEEE10hipError_tPvRmT1_PNSt15iterator_traitsIS12_E10value_typeET2_T3_PNS13_IS18_E10value_typeET4_jRbjT5_S1E_jjP12ihipStream_tbEUljE_ZNSN_ISO_Lb1ESQ_SR_ST_SU_SY_EESZ_S10_S11_S12_S16_S17_S18_S1B_S1C_jS1D_jS1E_S1E_jjS1G_bEUljE0_EEESZ_S10_S11_S18_S1C_S1E_T6_T7_T9_mT8_S1G_bDpT10_ENKUlT_T0_E_clISt17integral_constantIbLb1EES1T_IbLb0EEEEDaS1P_S1Q_EUlS1P_E_NS1_11comp_targetILNS1_3genE10ELNS1_11target_archE1200ELNS1_3gpuE4ELNS1_3repE0EEENS1_30default_config_static_selectorELNS0_4arch9wavefront6targetE1EEEvS12_.kd
    .uniform_work_group_size: 1
    .uses_dynamic_stack: false
    .vgpr_count:     0
    .vgpr_spill_count: 0
    .wavefront_size: 64
  - .args:
      - .offset:         0
        .size:           176
        .value_kind:     by_value
    .group_segment_fixed_size: 0
    .kernarg_segment_align: 8
    .kernarg_segment_size: 176
    .language:       OpenCL C
    .language_version:
      - 2
      - 0
    .max_flat_workgroup_size: 256
    .name:           _ZN7rocprim17ROCPRIM_400000_NS6detail17trampoline_kernelINS0_13select_configILj256ELj13ELNS0_17block_load_methodE3ELS4_3ELS4_3ELNS0_20block_scan_algorithmE0ELj4294967295EEENS1_25partition_config_selectorILNS1_17partition_subalgoE4EjNS0_10empty_typeEbEEZZNS1_14partition_implILS8_4ELb0ES6_15HIP_vector_typeIjLj2EENS0_17counting_iteratorIjlEEPS9_SG_NS0_5tupleIJPjSI_NS0_16reverse_iteratorISI_EEEEENSH_IJSG_SG_SG_EEES9_SI_JZNS1_25segmented_radix_sort_implINS0_14default_configELb1EPKaPaPKlPlN2at6native12_GLOBAL__N_18offset_tEEE10hipError_tPvRmT1_PNSt15iterator_traitsIS12_E10value_typeET2_T3_PNS13_IS18_E10value_typeET4_jRbjT5_S1E_jjP12ihipStream_tbEUljE_ZNSN_ISO_Lb1ESQ_SR_ST_SU_SY_EESZ_S10_S11_S12_S16_S17_S18_S1B_S1C_jS1D_jS1E_S1E_jjS1G_bEUljE0_EEESZ_S10_S11_S18_S1C_S1E_T6_T7_T9_mT8_S1G_bDpT10_ENKUlT_T0_E_clISt17integral_constantIbLb1EES1T_IbLb0EEEEDaS1P_S1Q_EUlS1P_E_NS1_11comp_targetILNS1_3genE9ELNS1_11target_archE1100ELNS1_3gpuE3ELNS1_3repE0EEENS1_30default_config_static_selectorELNS0_4arch9wavefront6targetE1EEEvS12_
    .private_segment_fixed_size: 0
    .sgpr_count:     4
    .sgpr_spill_count: 0
    .symbol:         _ZN7rocprim17ROCPRIM_400000_NS6detail17trampoline_kernelINS0_13select_configILj256ELj13ELNS0_17block_load_methodE3ELS4_3ELS4_3ELNS0_20block_scan_algorithmE0ELj4294967295EEENS1_25partition_config_selectorILNS1_17partition_subalgoE4EjNS0_10empty_typeEbEEZZNS1_14partition_implILS8_4ELb0ES6_15HIP_vector_typeIjLj2EENS0_17counting_iteratorIjlEEPS9_SG_NS0_5tupleIJPjSI_NS0_16reverse_iteratorISI_EEEEENSH_IJSG_SG_SG_EEES9_SI_JZNS1_25segmented_radix_sort_implINS0_14default_configELb1EPKaPaPKlPlN2at6native12_GLOBAL__N_18offset_tEEE10hipError_tPvRmT1_PNSt15iterator_traitsIS12_E10value_typeET2_T3_PNS13_IS18_E10value_typeET4_jRbjT5_S1E_jjP12ihipStream_tbEUljE_ZNSN_ISO_Lb1ESQ_SR_ST_SU_SY_EESZ_S10_S11_S12_S16_S17_S18_S1B_S1C_jS1D_jS1E_S1E_jjS1G_bEUljE0_EEESZ_S10_S11_S18_S1C_S1E_T6_T7_T9_mT8_S1G_bDpT10_ENKUlT_T0_E_clISt17integral_constantIbLb1EES1T_IbLb0EEEEDaS1P_S1Q_EUlS1P_E_NS1_11comp_targetILNS1_3genE9ELNS1_11target_archE1100ELNS1_3gpuE3ELNS1_3repE0EEENS1_30default_config_static_selectorELNS0_4arch9wavefront6targetE1EEEvS12_.kd
    .uniform_work_group_size: 1
    .uses_dynamic_stack: false
    .vgpr_count:     0
    .vgpr_spill_count: 0
    .wavefront_size: 64
  - .args:
      - .offset:         0
        .size:           176
        .value_kind:     by_value
    .group_segment_fixed_size: 0
    .kernarg_segment_align: 8
    .kernarg_segment_size: 176
    .language:       OpenCL C
    .language_version:
      - 2
      - 0
    .max_flat_workgroup_size: 256
    .name:           _ZN7rocprim17ROCPRIM_400000_NS6detail17trampoline_kernelINS0_13select_configILj256ELj13ELNS0_17block_load_methodE3ELS4_3ELS4_3ELNS0_20block_scan_algorithmE0ELj4294967295EEENS1_25partition_config_selectorILNS1_17partition_subalgoE4EjNS0_10empty_typeEbEEZZNS1_14partition_implILS8_4ELb0ES6_15HIP_vector_typeIjLj2EENS0_17counting_iteratorIjlEEPS9_SG_NS0_5tupleIJPjSI_NS0_16reverse_iteratorISI_EEEEENSH_IJSG_SG_SG_EEES9_SI_JZNS1_25segmented_radix_sort_implINS0_14default_configELb1EPKaPaPKlPlN2at6native12_GLOBAL__N_18offset_tEEE10hipError_tPvRmT1_PNSt15iterator_traitsIS12_E10value_typeET2_T3_PNS13_IS18_E10value_typeET4_jRbjT5_S1E_jjP12ihipStream_tbEUljE_ZNSN_ISO_Lb1ESQ_SR_ST_SU_SY_EESZ_S10_S11_S12_S16_S17_S18_S1B_S1C_jS1D_jS1E_S1E_jjS1G_bEUljE0_EEESZ_S10_S11_S18_S1C_S1E_T6_T7_T9_mT8_S1G_bDpT10_ENKUlT_T0_E_clISt17integral_constantIbLb1EES1T_IbLb0EEEEDaS1P_S1Q_EUlS1P_E_NS1_11comp_targetILNS1_3genE8ELNS1_11target_archE1030ELNS1_3gpuE2ELNS1_3repE0EEENS1_30default_config_static_selectorELNS0_4arch9wavefront6targetE1EEEvS12_
    .private_segment_fixed_size: 0
    .sgpr_count:     4
    .sgpr_spill_count: 0
    .symbol:         _ZN7rocprim17ROCPRIM_400000_NS6detail17trampoline_kernelINS0_13select_configILj256ELj13ELNS0_17block_load_methodE3ELS4_3ELS4_3ELNS0_20block_scan_algorithmE0ELj4294967295EEENS1_25partition_config_selectorILNS1_17partition_subalgoE4EjNS0_10empty_typeEbEEZZNS1_14partition_implILS8_4ELb0ES6_15HIP_vector_typeIjLj2EENS0_17counting_iteratorIjlEEPS9_SG_NS0_5tupleIJPjSI_NS0_16reverse_iteratorISI_EEEEENSH_IJSG_SG_SG_EEES9_SI_JZNS1_25segmented_radix_sort_implINS0_14default_configELb1EPKaPaPKlPlN2at6native12_GLOBAL__N_18offset_tEEE10hipError_tPvRmT1_PNSt15iterator_traitsIS12_E10value_typeET2_T3_PNS13_IS18_E10value_typeET4_jRbjT5_S1E_jjP12ihipStream_tbEUljE_ZNSN_ISO_Lb1ESQ_SR_ST_SU_SY_EESZ_S10_S11_S12_S16_S17_S18_S1B_S1C_jS1D_jS1E_S1E_jjS1G_bEUljE0_EEESZ_S10_S11_S18_S1C_S1E_T6_T7_T9_mT8_S1G_bDpT10_ENKUlT_T0_E_clISt17integral_constantIbLb1EES1T_IbLb0EEEEDaS1P_S1Q_EUlS1P_E_NS1_11comp_targetILNS1_3genE8ELNS1_11target_archE1030ELNS1_3gpuE2ELNS1_3repE0EEENS1_30default_config_static_selectorELNS0_4arch9wavefront6targetE1EEEvS12_.kd
    .uniform_work_group_size: 1
    .uses_dynamic_stack: false
    .vgpr_count:     0
    .vgpr_spill_count: 0
    .wavefront_size: 64
  - .args:
      - .offset:         0
        .size:           184
        .value_kind:     by_value
    .group_segment_fixed_size: 0
    .kernarg_segment_align: 8
    .kernarg_segment_size: 184
    .language:       OpenCL C
    .language_version:
      - 2
      - 0
    .max_flat_workgroup_size: 256
    .name:           _ZN7rocprim17ROCPRIM_400000_NS6detail17trampoline_kernelINS0_13select_configILj256ELj13ELNS0_17block_load_methodE3ELS4_3ELS4_3ELNS0_20block_scan_algorithmE0ELj4294967295EEENS1_25partition_config_selectorILNS1_17partition_subalgoE4EjNS0_10empty_typeEbEEZZNS1_14partition_implILS8_4ELb0ES6_15HIP_vector_typeIjLj2EENS0_17counting_iteratorIjlEEPS9_SG_NS0_5tupleIJPjSI_NS0_16reverse_iteratorISI_EEEEENSH_IJSG_SG_SG_EEES9_SI_JZNS1_25segmented_radix_sort_implINS0_14default_configELb1EPKaPaPKlPlN2at6native12_GLOBAL__N_18offset_tEEE10hipError_tPvRmT1_PNSt15iterator_traitsIS12_E10value_typeET2_T3_PNS13_IS18_E10value_typeET4_jRbjT5_S1E_jjP12ihipStream_tbEUljE_ZNSN_ISO_Lb1ESQ_SR_ST_SU_SY_EESZ_S10_S11_S12_S16_S17_S18_S1B_S1C_jS1D_jS1E_S1E_jjS1G_bEUljE0_EEESZ_S10_S11_S18_S1C_S1E_T6_T7_T9_mT8_S1G_bDpT10_ENKUlT_T0_E_clISt17integral_constantIbLb0EES1T_IbLb1EEEEDaS1P_S1Q_EUlS1P_E_NS1_11comp_targetILNS1_3genE0ELNS1_11target_archE4294967295ELNS1_3gpuE0ELNS1_3repE0EEENS1_30default_config_static_selectorELNS0_4arch9wavefront6targetE1EEEvS12_
    .private_segment_fixed_size: 0
    .sgpr_count:     4
    .sgpr_spill_count: 0
    .symbol:         _ZN7rocprim17ROCPRIM_400000_NS6detail17trampoline_kernelINS0_13select_configILj256ELj13ELNS0_17block_load_methodE3ELS4_3ELS4_3ELNS0_20block_scan_algorithmE0ELj4294967295EEENS1_25partition_config_selectorILNS1_17partition_subalgoE4EjNS0_10empty_typeEbEEZZNS1_14partition_implILS8_4ELb0ES6_15HIP_vector_typeIjLj2EENS0_17counting_iteratorIjlEEPS9_SG_NS0_5tupleIJPjSI_NS0_16reverse_iteratorISI_EEEEENSH_IJSG_SG_SG_EEES9_SI_JZNS1_25segmented_radix_sort_implINS0_14default_configELb1EPKaPaPKlPlN2at6native12_GLOBAL__N_18offset_tEEE10hipError_tPvRmT1_PNSt15iterator_traitsIS12_E10value_typeET2_T3_PNS13_IS18_E10value_typeET4_jRbjT5_S1E_jjP12ihipStream_tbEUljE_ZNSN_ISO_Lb1ESQ_SR_ST_SU_SY_EESZ_S10_S11_S12_S16_S17_S18_S1B_S1C_jS1D_jS1E_S1E_jjS1G_bEUljE0_EEESZ_S10_S11_S18_S1C_S1E_T6_T7_T9_mT8_S1G_bDpT10_ENKUlT_T0_E_clISt17integral_constantIbLb0EES1T_IbLb1EEEEDaS1P_S1Q_EUlS1P_E_NS1_11comp_targetILNS1_3genE0ELNS1_11target_archE4294967295ELNS1_3gpuE0ELNS1_3repE0EEENS1_30default_config_static_selectorELNS0_4arch9wavefront6targetE1EEEvS12_.kd
    .uniform_work_group_size: 1
    .uses_dynamic_stack: false
    .vgpr_count:     0
    .vgpr_spill_count: 0
    .wavefront_size: 64
  - .args:
      - .offset:         0
        .size:           184
        .value_kind:     by_value
    .group_segment_fixed_size: 0
    .kernarg_segment_align: 8
    .kernarg_segment_size: 184
    .language:       OpenCL C
    .language_version:
      - 2
      - 0
    .max_flat_workgroup_size: 256
    .name:           _ZN7rocprim17ROCPRIM_400000_NS6detail17trampoline_kernelINS0_13select_configILj256ELj13ELNS0_17block_load_methodE3ELS4_3ELS4_3ELNS0_20block_scan_algorithmE0ELj4294967295EEENS1_25partition_config_selectorILNS1_17partition_subalgoE4EjNS0_10empty_typeEbEEZZNS1_14partition_implILS8_4ELb0ES6_15HIP_vector_typeIjLj2EENS0_17counting_iteratorIjlEEPS9_SG_NS0_5tupleIJPjSI_NS0_16reverse_iteratorISI_EEEEENSH_IJSG_SG_SG_EEES9_SI_JZNS1_25segmented_radix_sort_implINS0_14default_configELb1EPKaPaPKlPlN2at6native12_GLOBAL__N_18offset_tEEE10hipError_tPvRmT1_PNSt15iterator_traitsIS12_E10value_typeET2_T3_PNS13_IS18_E10value_typeET4_jRbjT5_S1E_jjP12ihipStream_tbEUljE_ZNSN_ISO_Lb1ESQ_SR_ST_SU_SY_EESZ_S10_S11_S12_S16_S17_S18_S1B_S1C_jS1D_jS1E_S1E_jjS1G_bEUljE0_EEESZ_S10_S11_S18_S1C_S1E_T6_T7_T9_mT8_S1G_bDpT10_ENKUlT_T0_E_clISt17integral_constantIbLb0EES1T_IbLb1EEEEDaS1P_S1Q_EUlS1P_E_NS1_11comp_targetILNS1_3genE5ELNS1_11target_archE942ELNS1_3gpuE9ELNS1_3repE0EEENS1_30default_config_static_selectorELNS0_4arch9wavefront6targetE1EEEvS12_
    .private_segment_fixed_size: 0
    .sgpr_count:     4
    .sgpr_spill_count: 0
    .symbol:         _ZN7rocprim17ROCPRIM_400000_NS6detail17trampoline_kernelINS0_13select_configILj256ELj13ELNS0_17block_load_methodE3ELS4_3ELS4_3ELNS0_20block_scan_algorithmE0ELj4294967295EEENS1_25partition_config_selectorILNS1_17partition_subalgoE4EjNS0_10empty_typeEbEEZZNS1_14partition_implILS8_4ELb0ES6_15HIP_vector_typeIjLj2EENS0_17counting_iteratorIjlEEPS9_SG_NS0_5tupleIJPjSI_NS0_16reverse_iteratorISI_EEEEENSH_IJSG_SG_SG_EEES9_SI_JZNS1_25segmented_radix_sort_implINS0_14default_configELb1EPKaPaPKlPlN2at6native12_GLOBAL__N_18offset_tEEE10hipError_tPvRmT1_PNSt15iterator_traitsIS12_E10value_typeET2_T3_PNS13_IS18_E10value_typeET4_jRbjT5_S1E_jjP12ihipStream_tbEUljE_ZNSN_ISO_Lb1ESQ_SR_ST_SU_SY_EESZ_S10_S11_S12_S16_S17_S18_S1B_S1C_jS1D_jS1E_S1E_jjS1G_bEUljE0_EEESZ_S10_S11_S18_S1C_S1E_T6_T7_T9_mT8_S1G_bDpT10_ENKUlT_T0_E_clISt17integral_constantIbLb0EES1T_IbLb1EEEEDaS1P_S1Q_EUlS1P_E_NS1_11comp_targetILNS1_3genE5ELNS1_11target_archE942ELNS1_3gpuE9ELNS1_3repE0EEENS1_30default_config_static_selectorELNS0_4arch9wavefront6targetE1EEEvS12_.kd
    .uniform_work_group_size: 1
    .uses_dynamic_stack: false
    .vgpr_count:     0
    .vgpr_spill_count: 0
    .wavefront_size: 64
  - .args:
      - .offset:         0
        .size:           184
        .value_kind:     by_value
    .group_segment_fixed_size: 0
    .kernarg_segment_align: 8
    .kernarg_segment_size: 184
    .language:       OpenCL C
    .language_version:
      - 2
      - 0
    .max_flat_workgroup_size: 256
    .name:           _ZN7rocprim17ROCPRIM_400000_NS6detail17trampoline_kernelINS0_13select_configILj256ELj13ELNS0_17block_load_methodE3ELS4_3ELS4_3ELNS0_20block_scan_algorithmE0ELj4294967295EEENS1_25partition_config_selectorILNS1_17partition_subalgoE4EjNS0_10empty_typeEbEEZZNS1_14partition_implILS8_4ELb0ES6_15HIP_vector_typeIjLj2EENS0_17counting_iteratorIjlEEPS9_SG_NS0_5tupleIJPjSI_NS0_16reverse_iteratorISI_EEEEENSH_IJSG_SG_SG_EEES9_SI_JZNS1_25segmented_radix_sort_implINS0_14default_configELb1EPKaPaPKlPlN2at6native12_GLOBAL__N_18offset_tEEE10hipError_tPvRmT1_PNSt15iterator_traitsIS12_E10value_typeET2_T3_PNS13_IS18_E10value_typeET4_jRbjT5_S1E_jjP12ihipStream_tbEUljE_ZNSN_ISO_Lb1ESQ_SR_ST_SU_SY_EESZ_S10_S11_S12_S16_S17_S18_S1B_S1C_jS1D_jS1E_S1E_jjS1G_bEUljE0_EEESZ_S10_S11_S18_S1C_S1E_T6_T7_T9_mT8_S1G_bDpT10_ENKUlT_T0_E_clISt17integral_constantIbLb0EES1T_IbLb1EEEEDaS1P_S1Q_EUlS1P_E_NS1_11comp_targetILNS1_3genE4ELNS1_11target_archE910ELNS1_3gpuE8ELNS1_3repE0EEENS1_30default_config_static_selectorELNS0_4arch9wavefront6targetE1EEEvS12_
    .private_segment_fixed_size: 0
    .sgpr_count:     4
    .sgpr_spill_count: 0
    .symbol:         _ZN7rocprim17ROCPRIM_400000_NS6detail17trampoline_kernelINS0_13select_configILj256ELj13ELNS0_17block_load_methodE3ELS4_3ELS4_3ELNS0_20block_scan_algorithmE0ELj4294967295EEENS1_25partition_config_selectorILNS1_17partition_subalgoE4EjNS0_10empty_typeEbEEZZNS1_14partition_implILS8_4ELb0ES6_15HIP_vector_typeIjLj2EENS0_17counting_iteratorIjlEEPS9_SG_NS0_5tupleIJPjSI_NS0_16reverse_iteratorISI_EEEEENSH_IJSG_SG_SG_EEES9_SI_JZNS1_25segmented_radix_sort_implINS0_14default_configELb1EPKaPaPKlPlN2at6native12_GLOBAL__N_18offset_tEEE10hipError_tPvRmT1_PNSt15iterator_traitsIS12_E10value_typeET2_T3_PNS13_IS18_E10value_typeET4_jRbjT5_S1E_jjP12ihipStream_tbEUljE_ZNSN_ISO_Lb1ESQ_SR_ST_SU_SY_EESZ_S10_S11_S12_S16_S17_S18_S1B_S1C_jS1D_jS1E_S1E_jjS1G_bEUljE0_EEESZ_S10_S11_S18_S1C_S1E_T6_T7_T9_mT8_S1G_bDpT10_ENKUlT_T0_E_clISt17integral_constantIbLb0EES1T_IbLb1EEEEDaS1P_S1Q_EUlS1P_E_NS1_11comp_targetILNS1_3genE4ELNS1_11target_archE910ELNS1_3gpuE8ELNS1_3repE0EEENS1_30default_config_static_selectorELNS0_4arch9wavefront6targetE1EEEvS12_.kd
    .uniform_work_group_size: 1
    .uses_dynamic_stack: false
    .vgpr_count:     0
    .vgpr_spill_count: 0
    .wavefront_size: 64
  - .args:
      - .offset:         0
        .size:           184
        .value_kind:     by_value
    .group_segment_fixed_size: 0
    .kernarg_segment_align: 8
    .kernarg_segment_size: 184
    .language:       OpenCL C
    .language_version:
      - 2
      - 0
    .max_flat_workgroup_size: 256
    .name:           _ZN7rocprim17ROCPRIM_400000_NS6detail17trampoline_kernelINS0_13select_configILj256ELj13ELNS0_17block_load_methodE3ELS4_3ELS4_3ELNS0_20block_scan_algorithmE0ELj4294967295EEENS1_25partition_config_selectorILNS1_17partition_subalgoE4EjNS0_10empty_typeEbEEZZNS1_14partition_implILS8_4ELb0ES6_15HIP_vector_typeIjLj2EENS0_17counting_iteratorIjlEEPS9_SG_NS0_5tupleIJPjSI_NS0_16reverse_iteratorISI_EEEEENSH_IJSG_SG_SG_EEES9_SI_JZNS1_25segmented_radix_sort_implINS0_14default_configELb1EPKaPaPKlPlN2at6native12_GLOBAL__N_18offset_tEEE10hipError_tPvRmT1_PNSt15iterator_traitsIS12_E10value_typeET2_T3_PNS13_IS18_E10value_typeET4_jRbjT5_S1E_jjP12ihipStream_tbEUljE_ZNSN_ISO_Lb1ESQ_SR_ST_SU_SY_EESZ_S10_S11_S12_S16_S17_S18_S1B_S1C_jS1D_jS1E_S1E_jjS1G_bEUljE0_EEESZ_S10_S11_S18_S1C_S1E_T6_T7_T9_mT8_S1G_bDpT10_ENKUlT_T0_E_clISt17integral_constantIbLb0EES1T_IbLb1EEEEDaS1P_S1Q_EUlS1P_E_NS1_11comp_targetILNS1_3genE3ELNS1_11target_archE908ELNS1_3gpuE7ELNS1_3repE0EEENS1_30default_config_static_selectorELNS0_4arch9wavefront6targetE1EEEvS12_
    .private_segment_fixed_size: 0
    .sgpr_count:     4
    .sgpr_spill_count: 0
    .symbol:         _ZN7rocprim17ROCPRIM_400000_NS6detail17trampoline_kernelINS0_13select_configILj256ELj13ELNS0_17block_load_methodE3ELS4_3ELS4_3ELNS0_20block_scan_algorithmE0ELj4294967295EEENS1_25partition_config_selectorILNS1_17partition_subalgoE4EjNS0_10empty_typeEbEEZZNS1_14partition_implILS8_4ELb0ES6_15HIP_vector_typeIjLj2EENS0_17counting_iteratorIjlEEPS9_SG_NS0_5tupleIJPjSI_NS0_16reverse_iteratorISI_EEEEENSH_IJSG_SG_SG_EEES9_SI_JZNS1_25segmented_radix_sort_implINS0_14default_configELb1EPKaPaPKlPlN2at6native12_GLOBAL__N_18offset_tEEE10hipError_tPvRmT1_PNSt15iterator_traitsIS12_E10value_typeET2_T3_PNS13_IS18_E10value_typeET4_jRbjT5_S1E_jjP12ihipStream_tbEUljE_ZNSN_ISO_Lb1ESQ_SR_ST_SU_SY_EESZ_S10_S11_S12_S16_S17_S18_S1B_S1C_jS1D_jS1E_S1E_jjS1G_bEUljE0_EEESZ_S10_S11_S18_S1C_S1E_T6_T7_T9_mT8_S1G_bDpT10_ENKUlT_T0_E_clISt17integral_constantIbLb0EES1T_IbLb1EEEEDaS1P_S1Q_EUlS1P_E_NS1_11comp_targetILNS1_3genE3ELNS1_11target_archE908ELNS1_3gpuE7ELNS1_3repE0EEENS1_30default_config_static_selectorELNS0_4arch9wavefront6targetE1EEEvS12_.kd
    .uniform_work_group_size: 1
    .uses_dynamic_stack: false
    .vgpr_count:     0
    .vgpr_spill_count: 0
    .wavefront_size: 64
  - .args:
      - .offset:         0
        .size:           184
        .value_kind:     by_value
    .group_segment_fixed_size: 13328
    .kernarg_segment_align: 8
    .kernarg_segment_size: 184
    .language:       OpenCL C
    .language_version:
      - 2
      - 0
    .max_flat_workgroup_size: 256
    .name:           _ZN7rocprim17ROCPRIM_400000_NS6detail17trampoline_kernelINS0_13select_configILj256ELj13ELNS0_17block_load_methodE3ELS4_3ELS4_3ELNS0_20block_scan_algorithmE0ELj4294967295EEENS1_25partition_config_selectorILNS1_17partition_subalgoE4EjNS0_10empty_typeEbEEZZNS1_14partition_implILS8_4ELb0ES6_15HIP_vector_typeIjLj2EENS0_17counting_iteratorIjlEEPS9_SG_NS0_5tupleIJPjSI_NS0_16reverse_iteratorISI_EEEEENSH_IJSG_SG_SG_EEES9_SI_JZNS1_25segmented_radix_sort_implINS0_14default_configELb1EPKaPaPKlPlN2at6native12_GLOBAL__N_18offset_tEEE10hipError_tPvRmT1_PNSt15iterator_traitsIS12_E10value_typeET2_T3_PNS13_IS18_E10value_typeET4_jRbjT5_S1E_jjP12ihipStream_tbEUljE_ZNSN_ISO_Lb1ESQ_SR_ST_SU_SY_EESZ_S10_S11_S12_S16_S17_S18_S1B_S1C_jS1D_jS1E_S1E_jjS1G_bEUljE0_EEESZ_S10_S11_S18_S1C_S1E_T6_T7_T9_mT8_S1G_bDpT10_ENKUlT_T0_E_clISt17integral_constantIbLb0EES1T_IbLb1EEEEDaS1P_S1Q_EUlS1P_E_NS1_11comp_targetILNS1_3genE2ELNS1_11target_archE906ELNS1_3gpuE6ELNS1_3repE0EEENS1_30default_config_static_selectorELNS0_4arch9wavefront6targetE1EEEvS12_
    .private_segment_fixed_size: 0
    .sgpr_count:     91
    .sgpr_spill_count: 0
    .symbol:         _ZN7rocprim17ROCPRIM_400000_NS6detail17trampoline_kernelINS0_13select_configILj256ELj13ELNS0_17block_load_methodE3ELS4_3ELS4_3ELNS0_20block_scan_algorithmE0ELj4294967295EEENS1_25partition_config_selectorILNS1_17partition_subalgoE4EjNS0_10empty_typeEbEEZZNS1_14partition_implILS8_4ELb0ES6_15HIP_vector_typeIjLj2EENS0_17counting_iteratorIjlEEPS9_SG_NS0_5tupleIJPjSI_NS0_16reverse_iteratorISI_EEEEENSH_IJSG_SG_SG_EEES9_SI_JZNS1_25segmented_radix_sort_implINS0_14default_configELb1EPKaPaPKlPlN2at6native12_GLOBAL__N_18offset_tEEE10hipError_tPvRmT1_PNSt15iterator_traitsIS12_E10value_typeET2_T3_PNS13_IS18_E10value_typeET4_jRbjT5_S1E_jjP12ihipStream_tbEUljE_ZNSN_ISO_Lb1ESQ_SR_ST_SU_SY_EESZ_S10_S11_S12_S16_S17_S18_S1B_S1C_jS1D_jS1E_S1E_jjS1G_bEUljE0_EEESZ_S10_S11_S18_S1C_S1E_T6_T7_T9_mT8_S1G_bDpT10_ENKUlT_T0_E_clISt17integral_constantIbLb0EES1T_IbLb1EEEEDaS1P_S1Q_EUlS1P_E_NS1_11comp_targetILNS1_3genE2ELNS1_11target_archE906ELNS1_3gpuE6ELNS1_3repE0EEENS1_30default_config_static_selectorELNS0_4arch9wavefront6targetE1EEEvS12_.kd
    .uniform_work_group_size: 1
    .uses_dynamic_stack: false
    .vgpr_count:     91
    .vgpr_spill_count: 0
    .wavefront_size: 64
  - .args:
      - .offset:         0
        .size:           184
        .value_kind:     by_value
    .group_segment_fixed_size: 0
    .kernarg_segment_align: 8
    .kernarg_segment_size: 184
    .language:       OpenCL C
    .language_version:
      - 2
      - 0
    .max_flat_workgroup_size: 256
    .name:           _ZN7rocprim17ROCPRIM_400000_NS6detail17trampoline_kernelINS0_13select_configILj256ELj13ELNS0_17block_load_methodE3ELS4_3ELS4_3ELNS0_20block_scan_algorithmE0ELj4294967295EEENS1_25partition_config_selectorILNS1_17partition_subalgoE4EjNS0_10empty_typeEbEEZZNS1_14partition_implILS8_4ELb0ES6_15HIP_vector_typeIjLj2EENS0_17counting_iteratorIjlEEPS9_SG_NS0_5tupleIJPjSI_NS0_16reverse_iteratorISI_EEEEENSH_IJSG_SG_SG_EEES9_SI_JZNS1_25segmented_radix_sort_implINS0_14default_configELb1EPKaPaPKlPlN2at6native12_GLOBAL__N_18offset_tEEE10hipError_tPvRmT1_PNSt15iterator_traitsIS12_E10value_typeET2_T3_PNS13_IS18_E10value_typeET4_jRbjT5_S1E_jjP12ihipStream_tbEUljE_ZNSN_ISO_Lb1ESQ_SR_ST_SU_SY_EESZ_S10_S11_S12_S16_S17_S18_S1B_S1C_jS1D_jS1E_S1E_jjS1G_bEUljE0_EEESZ_S10_S11_S18_S1C_S1E_T6_T7_T9_mT8_S1G_bDpT10_ENKUlT_T0_E_clISt17integral_constantIbLb0EES1T_IbLb1EEEEDaS1P_S1Q_EUlS1P_E_NS1_11comp_targetILNS1_3genE10ELNS1_11target_archE1200ELNS1_3gpuE4ELNS1_3repE0EEENS1_30default_config_static_selectorELNS0_4arch9wavefront6targetE1EEEvS12_
    .private_segment_fixed_size: 0
    .sgpr_count:     4
    .sgpr_spill_count: 0
    .symbol:         _ZN7rocprim17ROCPRIM_400000_NS6detail17trampoline_kernelINS0_13select_configILj256ELj13ELNS0_17block_load_methodE3ELS4_3ELS4_3ELNS0_20block_scan_algorithmE0ELj4294967295EEENS1_25partition_config_selectorILNS1_17partition_subalgoE4EjNS0_10empty_typeEbEEZZNS1_14partition_implILS8_4ELb0ES6_15HIP_vector_typeIjLj2EENS0_17counting_iteratorIjlEEPS9_SG_NS0_5tupleIJPjSI_NS0_16reverse_iteratorISI_EEEEENSH_IJSG_SG_SG_EEES9_SI_JZNS1_25segmented_radix_sort_implINS0_14default_configELb1EPKaPaPKlPlN2at6native12_GLOBAL__N_18offset_tEEE10hipError_tPvRmT1_PNSt15iterator_traitsIS12_E10value_typeET2_T3_PNS13_IS18_E10value_typeET4_jRbjT5_S1E_jjP12ihipStream_tbEUljE_ZNSN_ISO_Lb1ESQ_SR_ST_SU_SY_EESZ_S10_S11_S12_S16_S17_S18_S1B_S1C_jS1D_jS1E_S1E_jjS1G_bEUljE0_EEESZ_S10_S11_S18_S1C_S1E_T6_T7_T9_mT8_S1G_bDpT10_ENKUlT_T0_E_clISt17integral_constantIbLb0EES1T_IbLb1EEEEDaS1P_S1Q_EUlS1P_E_NS1_11comp_targetILNS1_3genE10ELNS1_11target_archE1200ELNS1_3gpuE4ELNS1_3repE0EEENS1_30default_config_static_selectorELNS0_4arch9wavefront6targetE1EEEvS12_.kd
    .uniform_work_group_size: 1
    .uses_dynamic_stack: false
    .vgpr_count:     0
    .vgpr_spill_count: 0
    .wavefront_size: 64
  - .args:
      - .offset:         0
        .size:           184
        .value_kind:     by_value
    .group_segment_fixed_size: 0
    .kernarg_segment_align: 8
    .kernarg_segment_size: 184
    .language:       OpenCL C
    .language_version:
      - 2
      - 0
    .max_flat_workgroup_size: 256
    .name:           _ZN7rocprim17ROCPRIM_400000_NS6detail17trampoline_kernelINS0_13select_configILj256ELj13ELNS0_17block_load_methodE3ELS4_3ELS4_3ELNS0_20block_scan_algorithmE0ELj4294967295EEENS1_25partition_config_selectorILNS1_17partition_subalgoE4EjNS0_10empty_typeEbEEZZNS1_14partition_implILS8_4ELb0ES6_15HIP_vector_typeIjLj2EENS0_17counting_iteratorIjlEEPS9_SG_NS0_5tupleIJPjSI_NS0_16reverse_iteratorISI_EEEEENSH_IJSG_SG_SG_EEES9_SI_JZNS1_25segmented_radix_sort_implINS0_14default_configELb1EPKaPaPKlPlN2at6native12_GLOBAL__N_18offset_tEEE10hipError_tPvRmT1_PNSt15iterator_traitsIS12_E10value_typeET2_T3_PNS13_IS18_E10value_typeET4_jRbjT5_S1E_jjP12ihipStream_tbEUljE_ZNSN_ISO_Lb1ESQ_SR_ST_SU_SY_EESZ_S10_S11_S12_S16_S17_S18_S1B_S1C_jS1D_jS1E_S1E_jjS1G_bEUljE0_EEESZ_S10_S11_S18_S1C_S1E_T6_T7_T9_mT8_S1G_bDpT10_ENKUlT_T0_E_clISt17integral_constantIbLb0EES1T_IbLb1EEEEDaS1P_S1Q_EUlS1P_E_NS1_11comp_targetILNS1_3genE9ELNS1_11target_archE1100ELNS1_3gpuE3ELNS1_3repE0EEENS1_30default_config_static_selectorELNS0_4arch9wavefront6targetE1EEEvS12_
    .private_segment_fixed_size: 0
    .sgpr_count:     4
    .sgpr_spill_count: 0
    .symbol:         _ZN7rocprim17ROCPRIM_400000_NS6detail17trampoline_kernelINS0_13select_configILj256ELj13ELNS0_17block_load_methodE3ELS4_3ELS4_3ELNS0_20block_scan_algorithmE0ELj4294967295EEENS1_25partition_config_selectorILNS1_17partition_subalgoE4EjNS0_10empty_typeEbEEZZNS1_14partition_implILS8_4ELb0ES6_15HIP_vector_typeIjLj2EENS0_17counting_iteratorIjlEEPS9_SG_NS0_5tupleIJPjSI_NS0_16reverse_iteratorISI_EEEEENSH_IJSG_SG_SG_EEES9_SI_JZNS1_25segmented_radix_sort_implINS0_14default_configELb1EPKaPaPKlPlN2at6native12_GLOBAL__N_18offset_tEEE10hipError_tPvRmT1_PNSt15iterator_traitsIS12_E10value_typeET2_T3_PNS13_IS18_E10value_typeET4_jRbjT5_S1E_jjP12ihipStream_tbEUljE_ZNSN_ISO_Lb1ESQ_SR_ST_SU_SY_EESZ_S10_S11_S12_S16_S17_S18_S1B_S1C_jS1D_jS1E_S1E_jjS1G_bEUljE0_EEESZ_S10_S11_S18_S1C_S1E_T6_T7_T9_mT8_S1G_bDpT10_ENKUlT_T0_E_clISt17integral_constantIbLb0EES1T_IbLb1EEEEDaS1P_S1Q_EUlS1P_E_NS1_11comp_targetILNS1_3genE9ELNS1_11target_archE1100ELNS1_3gpuE3ELNS1_3repE0EEENS1_30default_config_static_selectorELNS0_4arch9wavefront6targetE1EEEvS12_.kd
    .uniform_work_group_size: 1
    .uses_dynamic_stack: false
    .vgpr_count:     0
    .vgpr_spill_count: 0
    .wavefront_size: 64
  - .args:
      - .offset:         0
        .size:           184
        .value_kind:     by_value
    .group_segment_fixed_size: 0
    .kernarg_segment_align: 8
    .kernarg_segment_size: 184
    .language:       OpenCL C
    .language_version:
      - 2
      - 0
    .max_flat_workgroup_size: 256
    .name:           _ZN7rocprim17ROCPRIM_400000_NS6detail17trampoline_kernelINS0_13select_configILj256ELj13ELNS0_17block_load_methodE3ELS4_3ELS4_3ELNS0_20block_scan_algorithmE0ELj4294967295EEENS1_25partition_config_selectorILNS1_17partition_subalgoE4EjNS0_10empty_typeEbEEZZNS1_14partition_implILS8_4ELb0ES6_15HIP_vector_typeIjLj2EENS0_17counting_iteratorIjlEEPS9_SG_NS0_5tupleIJPjSI_NS0_16reverse_iteratorISI_EEEEENSH_IJSG_SG_SG_EEES9_SI_JZNS1_25segmented_radix_sort_implINS0_14default_configELb1EPKaPaPKlPlN2at6native12_GLOBAL__N_18offset_tEEE10hipError_tPvRmT1_PNSt15iterator_traitsIS12_E10value_typeET2_T3_PNS13_IS18_E10value_typeET4_jRbjT5_S1E_jjP12ihipStream_tbEUljE_ZNSN_ISO_Lb1ESQ_SR_ST_SU_SY_EESZ_S10_S11_S12_S16_S17_S18_S1B_S1C_jS1D_jS1E_S1E_jjS1G_bEUljE0_EEESZ_S10_S11_S18_S1C_S1E_T6_T7_T9_mT8_S1G_bDpT10_ENKUlT_T0_E_clISt17integral_constantIbLb0EES1T_IbLb1EEEEDaS1P_S1Q_EUlS1P_E_NS1_11comp_targetILNS1_3genE8ELNS1_11target_archE1030ELNS1_3gpuE2ELNS1_3repE0EEENS1_30default_config_static_selectorELNS0_4arch9wavefront6targetE1EEEvS12_
    .private_segment_fixed_size: 0
    .sgpr_count:     4
    .sgpr_spill_count: 0
    .symbol:         _ZN7rocprim17ROCPRIM_400000_NS6detail17trampoline_kernelINS0_13select_configILj256ELj13ELNS0_17block_load_methodE3ELS4_3ELS4_3ELNS0_20block_scan_algorithmE0ELj4294967295EEENS1_25partition_config_selectorILNS1_17partition_subalgoE4EjNS0_10empty_typeEbEEZZNS1_14partition_implILS8_4ELb0ES6_15HIP_vector_typeIjLj2EENS0_17counting_iteratorIjlEEPS9_SG_NS0_5tupleIJPjSI_NS0_16reverse_iteratorISI_EEEEENSH_IJSG_SG_SG_EEES9_SI_JZNS1_25segmented_radix_sort_implINS0_14default_configELb1EPKaPaPKlPlN2at6native12_GLOBAL__N_18offset_tEEE10hipError_tPvRmT1_PNSt15iterator_traitsIS12_E10value_typeET2_T3_PNS13_IS18_E10value_typeET4_jRbjT5_S1E_jjP12ihipStream_tbEUljE_ZNSN_ISO_Lb1ESQ_SR_ST_SU_SY_EESZ_S10_S11_S12_S16_S17_S18_S1B_S1C_jS1D_jS1E_S1E_jjS1G_bEUljE0_EEESZ_S10_S11_S18_S1C_S1E_T6_T7_T9_mT8_S1G_bDpT10_ENKUlT_T0_E_clISt17integral_constantIbLb0EES1T_IbLb1EEEEDaS1P_S1Q_EUlS1P_E_NS1_11comp_targetILNS1_3genE8ELNS1_11target_archE1030ELNS1_3gpuE2ELNS1_3repE0EEENS1_30default_config_static_selectorELNS0_4arch9wavefront6targetE1EEEvS12_.kd
    .uniform_work_group_size: 1
    .uses_dynamic_stack: false
    .vgpr_count:     0
    .vgpr_spill_count: 0
    .wavefront_size: 64
  - .args:
      - .offset:         0
        .size:           144
        .value_kind:     by_value
    .group_segment_fixed_size: 0
    .kernarg_segment_align: 8
    .kernarg_segment_size: 144
    .language:       OpenCL C
    .language_version:
      - 2
      - 0
    .max_flat_workgroup_size: 256
    .name:           _ZN7rocprim17ROCPRIM_400000_NS6detail17trampoline_kernelINS0_13select_configILj256ELj13ELNS0_17block_load_methodE3ELS4_3ELS4_3ELNS0_20block_scan_algorithmE0ELj4294967295EEENS1_25partition_config_selectorILNS1_17partition_subalgoE3EjNS0_10empty_typeEbEEZZNS1_14partition_implILS8_3ELb0ES6_jNS0_17counting_iteratorIjlEEPS9_SE_NS0_5tupleIJPjSE_EEENSF_IJSE_SE_EEES9_SG_JZNS1_25segmented_radix_sort_implINS0_14default_configELb1EPKaPaPKlPlN2at6native12_GLOBAL__N_18offset_tEEE10hipError_tPvRmT1_PNSt15iterator_traitsISY_E10value_typeET2_T3_PNSZ_IS14_E10value_typeET4_jRbjT5_S1A_jjP12ihipStream_tbEUljE_EEESV_SW_SX_S14_S18_S1A_T6_T7_T9_mT8_S1C_bDpT10_ENKUlT_T0_E_clISt17integral_constantIbLb0EES1P_EEDaS1K_S1L_EUlS1K_E_NS1_11comp_targetILNS1_3genE0ELNS1_11target_archE4294967295ELNS1_3gpuE0ELNS1_3repE0EEENS1_30default_config_static_selectorELNS0_4arch9wavefront6targetE1EEEvSY_
    .private_segment_fixed_size: 0
    .sgpr_count:     4
    .sgpr_spill_count: 0
    .symbol:         _ZN7rocprim17ROCPRIM_400000_NS6detail17trampoline_kernelINS0_13select_configILj256ELj13ELNS0_17block_load_methodE3ELS4_3ELS4_3ELNS0_20block_scan_algorithmE0ELj4294967295EEENS1_25partition_config_selectorILNS1_17partition_subalgoE3EjNS0_10empty_typeEbEEZZNS1_14partition_implILS8_3ELb0ES6_jNS0_17counting_iteratorIjlEEPS9_SE_NS0_5tupleIJPjSE_EEENSF_IJSE_SE_EEES9_SG_JZNS1_25segmented_radix_sort_implINS0_14default_configELb1EPKaPaPKlPlN2at6native12_GLOBAL__N_18offset_tEEE10hipError_tPvRmT1_PNSt15iterator_traitsISY_E10value_typeET2_T3_PNSZ_IS14_E10value_typeET4_jRbjT5_S1A_jjP12ihipStream_tbEUljE_EEESV_SW_SX_S14_S18_S1A_T6_T7_T9_mT8_S1C_bDpT10_ENKUlT_T0_E_clISt17integral_constantIbLb0EES1P_EEDaS1K_S1L_EUlS1K_E_NS1_11comp_targetILNS1_3genE0ELNS1_11target_archE4294967295ELNS1_3gpuE0ELNS1_3repE0EEENS1_30default_config_static_selectorELNS0_4arch9wavefront6targetE1EEEvSY_.kd
    .uniform_work_group_size: 1
    .uses_dynamic_stack: false
    .vgpr_count:     0
    .vgpr_spill_count: 0
    .wavefront_size: 64
  - .args:
      - .offset:         0
        .size:           144
        .value_kind:     by_value
    .group_segment_fixed_size: 0
    .kernarg_segment_align: 8
    .kernarg_segment_size: 144
    .language:       OpenCL C
    .language_version:
      - 2
      - 0
    .max_flat_workgroup_size: 256
    .name:           _ZN7rocprim17ROCPRIM_400000_NS6detail17trampoline_kernelINS0_13select_configILj256ELj13ELNS0_17block_load_methodE3ELS4_3ELS4_3ELNS0_20block_scan_algorithmE0ELj4294967295EEENS1_25partition_config_selectorILNS1_17partition_subalgoE3EjNS0_10empty_typeEbEEZZNS1_14partition_implILS8_3ELb0ES6_jNS0_17counting_iteratorIjlEEPS9_SE_NS0_5tupleIJPjSE_EEENSF_IJSE_SE_EEES9_SG_JZNS1_25segmented_radix_sort_implINS0_14default_configELb1EPKaPaPKlPlN2at6native12_GLOBAL__N_18offset_tEEE10hipError_tPvRmT1_PNSt15iterator_traitsISY_E10value_typeET2_T3_PNSZ_IS14_E10value_typeET4_jRbjT5_S1A_jjP12ihipStream_tbEUljE_EEESV_SW_SX_S14_S18_S1A_T6_T7_T9_mT8_S1C_bDpT10_ENKUlT_T0_E_clISt17integral_constantIbLb0EES1P_EEDaS1K_S1L_EUlS1K_E_NS1_11comp_targetILNS1_3genE5ELNS1_11target_archE942ELNS1_3gpuE9ELNS1_3repE0EEENS1_30default_config_static_selectorELNS0_4arch9wavefront6targetE1EEEvSY_
    .private_segment_fixed_size: 0
    .sgpr_count:     4
    .sgpr_spill_count: 0
    .symbol:         _ZN7rocprim17ROCPRIM_400000_NS6detail17trampoline_kernelINS0_13select_configILj256ELj13ELNS0_17block_load_methodE3ELS4_3ELS4_3ELNS0_20block_scan_algorithmE0ELj4294967295EEENS1_25partition_config_selectorILNS1_17partition_subalgoE3EjNS0_10empty_typeEbEEZZNS1_14partition_implILS8_3ELb0ES6_jNS0_17counting_iteratorIjlEEPS9_SE_NS0_5tupleIJPjSE_EEENSF_IJSE_SE_EEES9_SG_JZNS1_25segmented_radix_sort_implINS0_14default_configELb1EPKaPaPKlPlN2at6native12_GLOBAL__N_18offset_tEEE10hipError_tPvRmT1_PNSt15iterator_traitsISY_E10value_typeET2_T3_PNSZ_IS14_E10value_typeET4_jRbjT5_S1A_jjP12ihipStream_tbEUljE_EEESV_SW_SX_S14_S18_S1A_T6_T7_T9_mT8_S1C_bDpT10_ENKUlT_T0_E_clISt17integral_constantIbLb0EES1P_EEDaS1K_S1L_EUlS1K_E_NS1_11comp_targetILNS1_3genE5ELNS1_11target_archE942ELNS1_3gpuE9ELNS1_3repE0EEENS1_30default_config_static_selectorELNS0_4arch9wavefront6targetE1EEEvSY_.kd
    .uniform_work_group_size: 1
    .uses_dynamic_stack: false
    .vgpr_count:     0
    .vgpr_spill_count: 0
    .wavefront_size: 64
  - .args:
      - .offset:         0
        .size:           144
        .value_kind:     by_value
    .group_segment_fixed_size: 0
    .kernarg_segment_align: 8
    .kernarg_segment_size: 144
    .language:       OpenCL C
    .language_version:
      - 2
      - 0
    .max_flat_workgroup_size: 256
    .name:           _ZN7rocprim17ROCPRIM_400000_NS6detail17trampoline_kernelINS0_13select_configILj256ELj13ELNS0_17block_load_methodE3ELS4_3ELS4_3ELNS0_20block_scan_algorithmE0ELj4294967295EEENS1_25partition_config_selectorILNS1_17partition_subalgoE3EjNS0_10empty_typeEbEEZZNS1_14partition_implILS8_3ELb0ES6_jNS0_17counting_iteratorIjlEEPS9_SE_NS0_5tupleIJPjSE_EEENSF_IJSE_SE_EEES9_SG_JZNS1_25segmented_radix_sort_implINS0_14default_configELb1EPKaPaPKlPlN2at6native12_GLOBAL__N_18offset_tEEE10hipError_tPvRmT1_PNSt15iterator_traitsISY_E10value_typeET2_T3_PNSZ_IS14_E10value_typeET4_jRbjT5_S1A_jjP12ihipStream_tbEUljE_EEESV_SW_SX_S14_S18_S1A_T6_T7_T9_mT8_S1C_bDpT10_ENKUlT_T0_E_clISt17integral_constantIbLb0EES1P_EEDaS1K_S1L_EUlS1K_E_NS1_11comp_targetILNS1_3genE4ELNS1_11target_archE910ELNS1_3gpuE8ELNS1_3repE0EEENS1_30default_config_static_selectorELNS0_4arch9wavefront6targetE1EEEvSY_
    .private_segment_fixed_size: 0
    .sgpr_count:     4
    .sgpr_spill_count: 0
    .symbol:         _ZN7rocprim17ROCPRIM_400000_NS6detail17trampoline_kernelINS0_13select_configILj256ELj13ELNS0_17block_load_methodE3ELS4_3ELS4_3ELNS0_20block_scan_algorithmE0ELj4294967295EEENS1_25partition_config_selectorILNS1_17partition_subalgoE3EjNS0_10empty_typeEbEEZZNS1_14partition_implILS8_3ELb0ES6_jNS0_17counting_iteratorIjlEEPS9_SE_NS0_5tupleIJPjSE_EEENSF_IJSE_SE_EEES9_SG_JZNS1_25segmented_radix_sort_implINS0_14default_configELb1EPKaPaPKlPlN2at6native12_GLOBAL__N_18offset_tEEE10hipError_tPvRmT1_PNSt15iterator_traitsISY_E10value_typeET2_T3_PNSZ_IS14_E10value_typeET4_jRbjT5_S1A_jjP12ihipStream_tbEUljE_EEESV_SW_SX_S14_S18_S1A_T6_T7_T9_mT8_S1C_bDpT10_ENKUlT_T0_E_clISt17integral_constantIbLb0EES1P_EEDaS1K_S1L_EUlS1K_E_NS1_11comp_targetILNS1_3genE4ELNS1_11target_archE910ELNS1_3gpuE8ELNS1_3repE0EEENS1_30default_config_static_selectorELNS0_4arch9wavefront6targetE1EEEvSY_.kd
    .uniform_work_group_size: 1
    .uses_dynamic_stack: false
    .vgpr_count:     0
    .vgpr_spill_count: 0
    .wavefront_size: 64
  - .args:
      - .offset:         0
        .size:           144
        .value_kind:     by_value
    .group_segment_fixed_size: 0
    .kernarg_segment_align: 8
    .kernarg_segment_size: 144
    .language:       OpenCL C
    .language_version:
      - 2
      - 0
    .max_flat_workgroup_size: 256
    .name:           _ZN7rocprim17ROCPRIM_400000_NS6detail17trampoline_kernelINS0_13select_configILj256ELj13ELNS0_17block_load_methodE3ELS4_3ELS4_3ELNS0_20block_scan_algorithmE0ELj4294967295EEENS1_25partition_config_selectorILNS1_17partition_subalgoE3EjNS0_10empty_typeEbEEZZNS1_14partition_implILS8_3ELb0ES6_jNS0_17counting_iteratorIjlEEPS9_SE_NS0_5tupleIJPjSE_EEENSF_IJSE_SE_EEES9_SG_JZNS1_25segmented_radix_sort_implINS0_14default_configELb1EPKaPaPKlPlN2at6native12_GLOBAL__N_18offset_tEEE10hipError_tPvRmT1_PNSt15iterator_traitsISY_E10value_typeET2_T3_PNSZ_IS14_E10value_typeET4_jRbjT5_S1A_jjP12ihipStream_tbEUljE_EEESV_SW_SX_S14_S18_S1A_T6_T7_T9_mT8_S1C_bDpT10_ENKUlT_T0_E_clISt17integral_constantIbLb0EES1P_EEDaS1K_S1L_EUlS1K_E_NS1_11comp_targetILNS1_3genE3ELNS1_11target_archE908ELNS1_3gpuE7ELNS1_3repE0EEENS1_30default_config_static_selectorELNS0_4arch9wavefront6targetE1EEEvSY_
    .private_segment_fixed_size: 0
    .sgpr_count:     4
    .sgpr_spill_count: 0
    .symbol:         _ZN7rocprim17ROCPRIM_400000_NS6detail17trampoline_kernelINS0_13select_configILj256ELj13ELNS0_17block_load_methodE3ELS4_3ELS4_3ELNS0_20block_scan_algorithmE0ELj4294967295EEENS1_25partition_config_selectorILNS1_17partition_subalgoE3EjNS0_10empty_typeEbEEZZNS1_14partition_implILS8_3ELb0ES6_jNS0_17counting_iteratorIjlEEPS9_SE_NS0_5tupleIJPjSE_EEENSF_IJSE_SE_EEES9_SG_JZNS1_25segmented_radix_sort_implINS0_14default_configELb1EPKaPaPKlPlN2at6native12_GLOBAL__N_18offset_tEEE10hipError_tPvRmT1_PNSt15iterator_traitsISY_E10value_typeET2_T3_PNSZ_IS14_E10value_typeET4_jRbjT5_S1A_jjP12ihipStream_tbEUljE_EEESV_SW_SX_S14_S18_S1A_T6_T7_T9_mT8_S1C_bDpT10_ENKUlT_T0_E_clISt17integral_constantIbLb0EES1P_EEDaS1K_S1L_EUlS1K_E_NS1_11comp_targetILNS1_3genE3ELNS1_11target_archE908ELNS1_3gpuE7ELNS1_3repE0EEENS1_30default_config_static_selectorELNS0_4arch9wavefront6targetE1EEEvSY_.kd
    .uniform_work_group_size: 1
    .uses_dynamic_stack: false
    .vgpr_count:     0
    .vgpr_spill_count: 0
    .wavefront_size: 64
  - .args:
      - .offset:         0
        .size:           144
        .value_kind:     by_value
    .group_segment_fixed_size: 13320
    .kernarg_segment_align: 8
    .kernarg_segment_size: 144
    .language:       OpenCL C
    .language_version:
      - 2
      - 0
    .max_flat_workgroup_size: 256
    .name:           _ZN7rocprim17ROCPRIM_400000_NS6detail17trampoline_kernelINS0_13select_configILj256ELj13ELNS0_17block_load_methodE3ELS4_3ELS4_3ELNS0_20block_scan_algorithmE0ELj4294967295EEENS1_25partition_config_selectorILNS1_17partition_subalgoE3EjNS0_10empty_typeEbEEZZNS1_14partition_implILS8_3ELb0ES6_jNS0_17counting_iteratorIjlEEPS9_SE_NS0_5tupleIJPjSE_EEENSF_IJSE_SE_EEES9_SG_JZNS1_25segmented_radix_sort_implINS0_14default_configELb1EPKaPaPKlPlN2at6native12_GLOBAL__N_18offset_tEEE10hipError_tPvRmT1_PNSt15iterator_traitsISY_E10value_typeET2_T3_PNSZ_IS14_E10value_typeET4_jRbjT5_S1A_jjP12ihipStream_tbEUljE_EEESV_SW_SX_S14_S18_S1A_T6_T7_T9_mT8_S1C_bDpT10_ENKUlT_T0_E_clISt17integral_constantIbLb0EES1P_EEDaS1K_S1L_EUlS1K_E_NS1_11comp_targetILNS1_3genE2ELNS1_11target_archE906ELNS1_3gpuE6ELNS1_3repE0EEENS1_30default_config_static_selectorELNS0_4arch9wavefront6targetE1EEEvSY_
    .private_segment_fixed_size: 0
    .sgpr_count:     52
    .sgpr_spill_count: 0
    .symbol:         _ZN7rocprim17ROCPRIM_400000_NS6detail17trampoline_kernelINS0_13select_configILj256ELj13ELNS0_17block_load_methodE3ELS4_3ELS4_3ELNS0_20block_scan_algorithmE0ELj4294967295EEENS1_25partition_config_selectorILNS1_17partition_subalgoE3EjNS0_10empty_typeEbEEZZNS1_14partition_implILS8_3ELb0ES6_jNS0_17counting_iteratorIjlEEPS9_SE_NS0_5tupleIJPjSE_EEENSF_IJSE_SE_EEES9_SG_JZNS1_25segmented_radix_sort_implINS0_14default_configELb1EPKaPaPKlPlN2at6native12_GLOBAL__N_18offset_tEEE10hipError_tPvRmT1_PNSt15iterator_traitsISY_E10value_typeET2_T3_PNSZ_IS14_E10value_typeET4_jRbjT5_S1A_jjP12ihipStream_tbEUljE_EEESV_SW_SX_S14_S18_S1A_T6_T7_T9_mT8_S1C_bDpT10_ENKUlT_T0_E_clISt17integral_constantIbLb0EES1P_EEDaS1K_S1L_EUlS1K_E_NS1_11comp_targetILNS1_3genE2ELNS1_11target_archE906ELNS1_3gpuE6ELNS1_3repE0EEENS1_30default_config_static_selectorELNS0_4arch9wavefront6targetE1EEEvSY_.kd
    .uniform_work_group_size: 1
    .uses_dynamic_stack: false
    .vgpr_count:     69
    .vgpr_spill_count: 0
    .wavefront_size: 64
  - .args:
      - .offset:         0
        .size:           144
        .value_kind:     by_value
    .group_segment_fixed_size: 0
    .kernarg_segment_align: 8
    .kernarg_segment_size: 144
    .language:       OpenCL C
    .language_version:
      - 2
      - 0
    .max_flat_workgroup_size: 256
    .name:           _ZN7rocprim17ROCPRIM_400000_NS6detail17trampoline_kernelINS0_13select_configILj256ELj13ELNS0_17block_load_methodE3ELS4_3ELS4_3ELNS0_20block_scan_algorithmE0ELj4294967295EEENS1_25partition_config_selectorILNS1_17partition_subalgoE3EjNS0_10empty_typeEbEEZZNS1_14partition_implILS8_3ELb0ES6_jNS0_17counting_iteratorIjlEEPS9_SE_NS0_5tupleIJPjSE_EEENSF_IJSE_SE_EEES9_SG_JZNS1_25segmented_radix_sort_implINS0_14default_configELb1EPKaPaPKlPlN2at6native12_GLOBAL__N_18offset_tEEE10hipError_tPvRmT1_PNSt15iterator_traitsISY_E10value_typeET2_T3_PNSZ_IS14_E10value_typeET4_jRbjT5_S1A_jjP12ihipStream_tbEUljE_EEESV_SW_SX_S14_S18_S1A_T6_T7_T9_mT8_S1C_bDpT10_ENKUlT_T0_E_clISt17integral_constantIbLb0EES1P_EEDaS1K_S1L_EUlS1K_E_NS1_11comp_targetILNS1_3genE10ELNS1_11target_archE1200ELNS1_3gpuE4ELNS1_3repE0EEENS1_30default_config_static_selectorELNS0_4arch9wavefront6targetE1EEEvSY_
    .private_segment_fixed_size: 0
    .sgpr_count:     4
    .sgpr_spill_count: 0
    .symbol:         _ZN7rocprim17ROCPRIM_400000_NS6detail17trampoline_kernelINS0_13select_configILj256ELj13ELNS0_17block_load_methodE3ELS4_3ELS4_3ELNS0_20block_scan_algorithmE0ELj4294967295EEENS1_25partition_config_selectorILNS1_17partition_subalgoE3EjNS0_10empty_typeEbEEZZNS1_14partition_implILS8_3ELb0ES6_jNS0_17counting_iteratorIjlEEPS9_SE_NS0_5tupleIJPjSE_EEENSF_IJSE_SE_EEES9_SG_JZNS1_25segmented_radix_sort_implINS0_14default_configELb1EPKaPaPKlPlN2at6native12_GLOBAL__N_18offset_tEEE10hipError_tPvRmT1_PNSt15iterator_traitsISY_E10value_typeET2_T3_PNSZ_IS14_E10value_typeET4_jRbjT5_S1A_jjP12ihipStream_tbEUljE_EEESV_SW_SX_S14_S18_S1A_T6_T7_T9_mT8_S1C_bDpT10_ENKUlT_T0_E_clISt17integral_constantIbLb0EES1P_EEDaS1K_S1L_EUlS1K_E_NS1_11comp_targetILNS1_3genE10ELNS1_11target_archE1200ELNS1_3gpuE4ELNS1_3repE0EEENS1_30default_config_static_selectorELNS0_4arch9wavefront6targetE1EEEvSY_.kd
    .uniform_work_group_size: 1
    .uses_dynamic_stack: false
    .vgpr_count:     0
    .vgpr_spill_count: 0
    .wavefront_size: 64
  - .args:
      - .offset:         0
        .size:           144
        .value_kind:     by_value
    .group_segment_fixed_size: 0
    .kernarg_segment_align: 8
    .kernarg_segment_size: 144
    .language:       OpenCL C
    .language_version:
      - 2
      - 0
    .max_flat_workgroup_size: 256
    .name:           _ZN7rocprim17ROCPRIM_400000_NS6detail17trampoline_kernelINS0_13select_configILj256ELj13ELNS0_17block_load_methodE3ELS4_3ELS4_3ELNS0_20block_scan_algorithmE0ELj4294967295EEENS1_25partition_config_selectorILNS1_17partition_subalgoE3EjNS0_10empty_typeEbEEZZNS1_14partition_implILS8_3ELb0ES6_jNS0_17counting_iteratorIjlEEPS9_SE_NS0_5tupleIJPjSE_EEENSF_IJSE_SE_EEES9_SG_JZNS1_25segmented_radix_sort_implINS0_14default_configELb1EPKaPaPKlPlN2at6native12_GLOBAL__N_18offset_tEEE10hipError_tPvRmT1_PNSt15iterator_traitsISY_E10value_typeET2_T3_PNSZ_IS14_E10value_typeET4_jRbjT5_S1A_jjP12ihipStream_tbEUljE_EEESV_SW_SX_S14_S18_S1A_T6_T7_T9_mT8_S1C_bDpT10_ENKUlT_T0_E_clISt17integral_constantIbLb0EES1P_EEDaS1K_S1L_EUlS1K_E_NS1_11comp_targetILNS1_3genE9ELNS1_11target_archE1100ELNS1_3gpuE3ELNS1_3repE0EEENS1_30default_config_static_selectorELNS0_4arch9wavefront6targetE1EEEvSY_
    .private_segment_fixed_size: 0
    .sgpr_count:     4
    .sgpr_spill_count: 0
    .symbol:         _ZN7rocprim17ROCPRIM_400000_NS6detail17trampoline_kernelINS0_13select_configILj256ELj13ELNS0_17block_load_methodE3ELS4_3ELS4_3ELNS0_20block_scan_algorithmE0ELj4294967295EEENS1_25partition_config_selectorILNS1_17partition_subalgoE3EjNS0_10empty_typeEbEEZZNS1_14partition_implILS8_3ELb0ES6_jNS0_17counting_iteratorIjlEEPS9_SE_NS0_5tupleIJPjSE_EEENSF_IJSE_SE_EEES9_SG_JZNS1_25segmented_radix_sort_implINS0_14default_configELb1EPKaPaPKlPlN2at6native12_GLOBAL__N_18offset_tEEE10hipError_tPvRmT1_PNSt15iterator_traitsISY_E10value_typeET2_T3_PNSZ_IS14_E10value_typeET4_jRbjT5_S1A_jjP12ihipStream_tbEUljE_EEESV_SW_SX_S14_S18_S1A_T6_T7_T9_mT8_S1C_bDpT10_ENKUlT_T0_E_clISt17integral_constantIbLb0EES1P_EEDaS1K_S1L_EUlS1K_E_NS1_11comp_targetILNS1_3genE9ELNS1_11target_archE1100ELNS1_3gpuE3ELNS1_3repE0EEENS1_30default_config_static_selectorELNS0_4arch9wavefront6targetE1EEEvSY_.kd
    .uniform_work_group_size: 1
    .uses_dynamic_stack: false
    .vgpr_count:     0
    .vgpr_spill_count: 0
    .wavefront_size: 64
  - .args:
      - .offset:         0
        .size:           144
        .value_kind:     by_value
    .group_segment_fixed_size: 0
    .kernarg_segment_align: 8
    .kernarg_segment_size: 144
    .language:       OpenCL C
    .language_version:
      - 2
      - 0
    .max_flat_workgroup_size: 256
    .name:           _ZN7rocprim17ROCPRIM_400000_NS6detail17trampoline_kernelINS0_13select_configILj256ELj13ELNS0_17block_load_methodE3ELS4_3ELS4_3ELNS0_20block_scan_algorithmE0ELj4294967295EEENS1_25partition_config_selectorILNS1_17partition_subalgoE3EjNS0_10empty_typeEbEEZZNS1_14partition_implILS8_3ELb0ES6_jNS0_17counting_iteratorIjlEEPS9_SE_NS0_5tupleIJPjSE_EEENSF_IJSE_SE_EEES9_SG_JZNS1_25segmented_radix_sort_implINS0_14default_configELb1EPKaPaPKlPlN2at6native12_GLOBAL__N_18offset_tEEE10hipError_tPvRmT1_PNSt15iterator_traitsISY_E10value_typeET2_T3_PNSZ_IS14_E10value_typeET4_jRbjT5_S1A_jjP12ihipStream_tbEUljE_EEESV_SW_SX_S14_S18_S1A_T6_T7_T9_mT8_S1C_bDpT10_ENKUlT_T0_E_clISt17integral_constantIbLb0EES1P_EEDaS1K_S1L_EUlS1K_E_NS1_11comp_targetILNS1_3genE8ELNS1_11target_archE1030ELNS1_3gpuE2ELNS1_3repE0EEENS1_30default_config_static_selectorELNS0_4arch9wavefront6targetE1EEEvSY_
    .private_segment_fixed_size: 0
    .sgpr_count:     4
    .sgpr_spill_count: 0
    .symbol:         _ZN7rocprim17ROCPRIM_400000_NS6detail17trampoline_kernelINS0_13select_configILj256ELj13ELNS0_17block_load_methodE3ELS4_3ELS4_3ELNS0_20block_scan_algorithmE0ELj4294967295EEENS1_25partition_config_selectorILNS1_17partition_subalgoE3EjNS0_10empty_typeEbEEZZNS1_14partition_implILS8_3ELb0ES6_jNS0_17counting_iteratorIjlEEPS9_SE_NS0_5tupleIJPjSE_EEENSF_IJSE_SE_EEES9_SG_JZNS1_25segmented_radix_sort_implINS0_14default_configELb1EPKaPaPKlPlN2at6native12_GLOBAL__N_18offset_tEEE10hipError_tPvRmT1_PNSt15iterator_traitsISY_E10value_typeET2_T3_PNSZ_IS14_E10value_typeET4_jRbjT5_S1A_jjP12ihipStream_tbEUljE_EEESV_SW_SX_S14_S18_S1A_T6_T7_T9_mT8_S1C_bDpT10_ENKUlT_T0_E_clISt17integral_constantIbLb0EES1P_EEDaS1K_S1L_EUlS1K_E_NS1_11comp_targetILNS1_3genE8ELNS1_11target_archE1030ELNS1_3gpuE2ELNS1_3repE0EEENS1_30default_config_static_selectorELNS0_4arch9wavefront6targetE1EEEvSY_.kd
    .uniform_work_group_size: 1
    .uses_dynamic_stack: false
    .vgpr_count:     0
    .vgpr_spill_count: 0
    .wavefront_size: 64
  - .args:
      - .offset:         0
        .size:           152
        .value_kind:     by_value
    .group_segment_fixed_size: 0
    .kernarg_segment_align: 8
    .kernarg_segment_size: 152
    .language:       OpenCL C
    .language_version:
      - 2
      - 0
    .max_flat_workgroup_size: 256
    .name:           _ZN7rocprim17ROCPRIM_400000_NS6detail17trampoline_kernelINS0_13select_configILj256ELj13ELNS0_17block_load_methodE3ELS4_3ELS4_3ELNS0_20block_scan_algorithmE0ELj4294967295EEENS1_25partition_config_selectorILNS1_17partition_subalgoE3EjNS0_10empty_typeEbEEZZNS1_14partition_implILS8_3ELb0ES6_jNS0_17counting_iteratorIjlEEPS9_SE_NS0_5tupleIJPjSE_EEENSF_IJSE_SE_EEES9_SG_JZNS1_25segmented_radix_sort_implINS0_14default_configELb1EPKaPaPKlPlN2at6native12_GLOBAL__N_18offset_tEEE10hipError_tPvRmT1_PNSt15iterator_traitsISY_E10value_typeET2_T3_PNSZ_IS14_E10value_typeET4_jRbjT5_S1A_jjP12ihipStream_tbEUljE_EEESV_SW_SX_S14_S18_S1A_T6_T7_T9_mT8_S1C_bDpT10_ENKUlT_T0_E_clISt17integral_constantIbLb1EES1P_EEDaS1K_S1L_EUlS1K_E_NS1_11comp_targetILNS1_3genE0ELNS1_11target_archE4294967295ELNS1_3gpuE0ELNS1_3repE0EEENS1_30default_config_static_selectorELNS0_4arch9wavefront6targetE1EEEvSY_
    .private_segment_fixed_size: 0
    .sgpr_count:     4
    .sgpr_spill_count: 0
    .symbol:         _ZN7rocprim17ROCPRIM_400000_NS6detail17trampoline_kernelINS0_13select_configILj256ELj13ELNS0_17block_load_methodE3ELS4_3ELS4_3ELNS0_20block_scan_algorithmE0ELj4294967295EEENS1_25partition_config_selectorILNS1_17partition_subalgoE3EjNS0_10empty_typeEbEEZZNS1_14partition_implILS8_3ELb0ES6_jNS0_17counting_iteratorIjlEEPS9_SE_NS0_5tupleIJPjSE_EEENSF_IJSE_SE_EEES9_SG_JZNS1_25segmented_radix_sort_implINS0_14default_configELb1EPKaPaPKlPlN2at6native12_GLOBAL__N_18offset_tEEE10hipError_tPvRmT1_PNSt15iterator_traitsISY_E10value_typeET2_T3_PNSZ_IS14_E10value_typeET4_jRbjT5_S1A_jjP12ihipStream_tbEUljE_EEESV_SW_SX_S14_S18_S1A_T6_T7_T9_mT8_S1C_bDpT10_ENKUlT_T0_E_clISt17integral_constantIbLb1EES1P_EEDaS1K_S1L_EUlS1K_E_NS1_11comp_targetILNS1_3genE0ELNS1_11target_archE4294967295ELNS1_3gpuE0ELNS1_3repE0EEENS1_30default_config_static_selectorELNS0_4arch9wavefront6targetE1EEEvSY_.kd
    .uniform_work_group_size: 1
    .uses_dynamic_stack: false
    .vgpr_count:     0
    .vgpr_spill_count: 0
    .wavefront_size: 64
  - .args:
      - .offset:         0
        .size:           152
        .value_kind:     by_value
    .group_segment_fixed_size: 0
    .kernarg_segment_align: 8
    .kernarg_segment_size: 152
    .language:       OpenCL C
    .language_version:
      - 2
      - 0
    .max_flat_workgroup_size: 256
    .name:           _ZN7rocprim17ROCPRIM_400000_NS6detail17trampoline_kernelINS0_13select_configILj256ELj13ELNS0_17block_load_methodE3ELS4_3ELS4_3ELNS0_20block_scan_algorithmE0ELj4294967295EEENS1_25partition_config_selectorILNS1_17partition_subalgoE3EjNS0_10empty_typeEbEEZZNS1_14partition_implILS8_3ELb0ES6_jNS0_17counting_iteratorIjlEEPS9_SE_NS0_5tupleIJPjSE_EEENSF_IJSE_SE_EEES9_SG_JZNS1_25segmented_radix_sort_implINS0_14default_configELb1EPKaPaPKlPlN2at6native12_GLOBAL__N_18offset_tEEE10hipError_tPvRmT1_PNSt15iterator_traitsISY_E10value_typeET2_T3_PNSZ_IS14_E10value_typeET4_jRbjT5_S1A_jjP12ihipStream_tbEUljE_EEESV_SW_SX_S14_S18_S1A_T6_T7_T9_mT8_S1C_bDpT10_ENKUlT_T0_E_clISt17integral_constantIbLb1EES1P_EEDaS1K_S1L_EUlS1K_E_NS1_11comp_targetILNS1_3genE5ELNS1_11target_archE942ELNS1_3gpuE9ELNS1_3repE0EEENS1_30default_config_static_selectorELNS0_4arch9wavefront6targetE1EEEvSY_
    .private_segment_fixed_size: 0
    .sgpr_count:     4
    .sgpr_spill_count: 0
    .symbol:         _ZN7rocprim17ROCPRIM_400000_NS6detail17trampoline_kernelINS0_13select_configILj256ELj13ELNS0_17block_load_methodE3ELS4_3ELS4_3ELNS0_20block_scan_algorithmE0ELj4294967295EEENS1_25partition_config_selectorILNS1_17partition_subalgoE3EjNS0_10empty_typeEbEEZZNS1_14partition_implILS8_3ELb0ES6_jNS0_17counting_iteratorIjlEEPS9_SE_NS0_5tupleIJPjSE_EEENSF_IJSE_SE_EEES9_SG_JZNS1_25segmented_radix_sort_implINS0_14default_configELb1EPKaPaPKlPlN2at6native12_GLOBAL__N_18offset_tEEE10hipError_tPvRmT1_PNSt15iterator_traitsISY_E10value_typeET2_T3_PNSZ_IS14_E10value_typeET4_jRbjT5_S1A_jjP12ihipStream_tbEUljE_EEESV_SW_SX_S14_S18_S1A_T6_T7_T9_mT8_S1C_bDpT10_ENKUlT_T0_E_clISt17integral_constantIbLb1EES1P_EEDaS1K_S1L_EUlS1K_E_NS1_11comp_targetILNS1_3genE5ELNS1_11target_archE942ELNS1_3gpuE9ELNS1_3repE0EEENS1_30default_config_static_selectorELNS0_4arch9wavefront6targetE1EEEvSY_.kd
    .uniform_work_group_size: 1
    .uses_dynamic_stack: false
    .vgpr_count:     0
    .vgpr_spill_count: 0
    .wavefront_size: 64
  - .args:
      - .offset:         0
        .size:           152
        .value_kind:     by_value
    .group_segment_fixed_size: 0
    .kernarg_segment_align: 8
    .kernarg_segment_size: 152
    .language:       OpenCL C
    .language_version:
      - 2
      - 0
    .max_flat_workgroup_size: 256
    .name:           _ZN7rocprim17ROCPRIM_400000_NS6detail17trampoline_kernelINS0_13select_configILj256ELj13ELNS0_17block_load_methodE3ELS4_3ELS4_3ELNS0_20block_scan_algorithmE0ELj4294967295EEENS1_25partition_config_selectorILNS1_17partition_subalgoE3EjNS0_10empty_typeEbEEZZNS1_14partition_implILS8_3ELb0ES6_jNS0_17counting_iteratorIjlEEPS9_SE_NS0_5tupleIJPjSE_EEENSF_IJSE_SE_EEES9_SG_JZNS1_25segmented_radix_sort_implINS0_14default_configELb1EPKaPaPKlPlN2at6native12_GLOBAL__N_18offset_tEEE10hipError_tPvRmT1_PNSt15iterator_traitsISY_E10value_typeET2_T3_PNSZ_IS14_E10value_typeET4_jRbjT5_S1A_jjP12ihipStream_tbEUljE_EEESV_SW_SX_S14_S18_S1A_T6_T7_T9_mT8_S1C_bDpT10_ENKUlT_T0_E_clISt17integral_constantIbLb1EES1P_EEDaS1K_S1L_EUlS1K_E_NS1_11comp_targetILNS1_3genE4ELNS1_11target_archE910ELNS1_3gpuE8ELNS1_3repE0EEENS1_30default_config_static_selectorELNS0_4arch9wavefront6targetE1EEEvSY_
    .private_segment_fixed_size: 0
    .sgpr_count:     4
    .sgpr_spill_count: 0
    .symbol:         _ZN7rocprim17ROCPRIM_400000_NS6detail17trampoline_kernelINS0_13select_configILj256ELj13ELNS0_17block_load_methodE3ELS4_3ELS4_3ELNS0_20block_scan_algorithmE0ELj4294967295EEENS1_25partition_config_selectorILNS1_17partition_subalgoE3EjNS0_10empty_typeEbEEZZNS1_14partition_implILS8_3ELb0ES6_jNS0_17counting_iteratorIjlEEPS9_SE_NS0_5tupleIJPjSE_EEENSF_IJSE_SE_EEES9_SG_JZNS1_25segmented_radix_sort_implINS0_14default_configELb1EPKaPaPKlPlN2at6native12_GLOBAL__N_18offset_tEEE10hipError_tPvRmT1_PNSt15iterator_traitsISY_E10value_typeET2_T3_PNSZ_IS14_E10value_typeET4_jRbjT5_S1A_jjP12ihipStream_tbEUljE_EEESV_SW_SX_S14_S18_S1A_T6_T7_T9_mT8_S1C_bDpT10_ENKUlT_T0_E_clISt17integral_constantIbLb1EES1P_EEDaS1K_S1L_EUlS1K_E_NS1_11comp_targetILNS1_3genE4ELNS1_11target_archE910ELNS1_3gpuE8ELNS1_3repE0EEENS1_30default_config_static_selectorELNS0_4arch9wavefront6targetE1EEEvSY_.kd
    .uniform_work_group_size: 1
    .uses_dynamic_stack: false
    .vgpr_count:     0
    .vgpr_spill_count: 0
    .wavefront_size: 64
  - .args:
      - .offset:         0
        .size:           152
        .value_kind:     by_value
    .group_segment_fixed_size: 0
    .kernarg_segment_align: 8
    .kernarg_segment_size: 152
    .language:       OpenCL C
    .language_version:
      - 2
      - 0
    .max_flat_workgroup_size: 256
    .name:           _ZN7rocprim17ROCPRIM_400000_NS6detail17trampoline_kernelINS0_13select_configILj256ELj13ELNS0_17block_load_methodE3ELS4_3ELS4_3ELNS0_20block_scan_algorithmE0ELj4294967295EEENS1_25partition_config_selectorILNS1_17partition_subalgoE3EjNS0_10empty_typeEbEEZZNS1_14partition_implILS8_3ELb0ES6_jNS0_17counting_iteratorIjlEEPS9_SE_NS0_5tupleIJPjSE_EEENSF_IJSE_SE_EEES9_SG_JZNS1_25segmented_radix_sort_implINS0_14default_configELb1EPKaPaPKlPlN2at6native12_GLOBAL__N_18offset_tEEE10hipError_tPvRmT1_PNSt15iterator_traitsISY_E10value_typeET2_T3_PNSZ_IS14_E10value_typeET4_jRbjT5_S1A_jjP12ihipStream_tbEUljE_EEESV_SW_SX_S14_S18_S1A_T6_T7_T9_mT8_S1C_bDpT10_ENKUlT_T0_E_clISt17integral_constantIbLb1EES1P_EEDaS1K_S1L_EUlS1K_E_NS1_11comp_targetILNS1_3genE3ELNS1_11target_archE908ELNS1_3gpuE7ELNS1_3repE0EEENS1_30default_config_static_selectorELNS0_4arch9wavefront6targetE1EEEvSY_
    .private_segment_fixed_size: 0
    .sgpr_count:     4
    .sgpr_spill_count: 0
    .symbol:         _ZN7rocprim17ROCPRIM_400000_NS6detail17trampoline_kernelINS0_13select_configILj256ELj13ELNS0_17block_load_methodE3ELS4_3ELS4_3ELNS0_20block_scan_algorithmE0ELj4294967295EEENS1_25partition_config_selectorILNS1_17partition_subalgoE3EjNS0_10empty_typeEbEEZZNS1_14partition_implILS8_3ELb0ES6_jNS0_17counting_iteratorIjlEEPS9_SE_NS0_5tupleIJPjSE_EEENSF_IJSE_SE_EEES9_SG_JZNS1_25segmented_radix_sort_implINS0_14default_configELb1EPKaPaPKlPlN2at6native12_GLOBAL__N_18offset_tEEE10hipError_tPvRmT1_PNSt15iterator_traitsISY_E10value_typeET2_T3_PNSZ_IS14_E10value_typeET4_jRbjT5_S1A_jjP12ihipStream_tbEUljE_EEESV_SW_SX_S14_S18_S1A_T6_T7_T9_mT8_S1C_bDpT10_ENKUlT_T0_E_clISt17integral_constantIbLb1EES1P_EEDaS1K_S1L_EUlS1K_E_NS1_11comp_targetILNS1_3genE3ELNS1_11target_archE908ELNS1_3gpuE7ELNS1_3repE0EEENS1_30default_config_static_selectorELNS0_4arch9wavefront6targetE1EEEvSY_.kd
    .uniform_work_group_size: 1
    .uses_dynamic_stack: false
    .vgpr_count:     0
    .vgpr_spill_count: 0
    .wavefront_size: 64
  - .args:
      - .offset:         0
        .size:           152
        .value_kind:     by_value
    .group_segment_fixed_size: 0
    .kernarg_segment_align: 8
    .kernarg_segment_size: 152
    .language:       OpenCL C
    .language_version:
      - 2
      - 0
    .max_flat_workgroup_size: 256
    .name:           _ZN7rocprim17ROCPRIM_400000_NS6detail17trampoline_kernelINS0_13select_configILj256ELj13ELNS0_17block_load_methodE3ELS4_3ELS4_3ELNS0_20block_scan_algorithmE0ELj4294967295EEENS1_25partition_config_selectorILNS1_17partition_subalgoE3EjNS0_10empty_typeEbEEZZNS1_14partition_implILS8_3ELb0ES6_jNS0_17counting_iteratorIjlEEPS9_SE_NS0_5tupleIJPjSE_EEENSF_IJSE_SE_EEES9_SG_JZNS1_25segmented_radix_sort_implINS0_14default_configELb1EPKaPaPKlPlN2at6native12_GLOBAL__N_18offset_tEEE10hipError_tPvRmT1_PNSt15iterator_traitsISY_E10value_typeET2_T3_PNSZ_IS14_E10value_typeET4_jRbjT5_S1A_jjP12ihipStream_tbEUljE_EEESV_SW_SX_S14_S18_S1A_T6_T7_T9_mT8_S1C_bDpT10_ENKUlT_T0_E_clISt17integral_constantIbLb1EES1P_EEDaS1K_S1L_EUlS1K_E_NS1_11comp_targetILNS1_3genE2ELNS1_11target_archE906ELNS1_3gpuE6ELNS1_3repE0EEENS1_30default_config_static_selectorELNS0_4arch9wavefront6targetE1EEEvSY_
    .private_segment_fixed_size: 0
    .sgpr_count:     4
    .sgpr_spill_count: 0
    .symbol:         _ZN7rocprim17ROCPRIM_400000_NS6detail17trampoline_kernelINS0_13select_configILj256ELj13ELNS0_17block_load_methodE3ELS4_3ELS4_3ELNS0_20block_scan_algorithmE0ELj4294967295EEENS1_25partition_config_selectorILNS1_17partition_subalgoE3EjNS0_10empty_typeEbEEZZNS1_14partition_implILS8_3ELb0ES6_jNS0_17counting_iteratorIjlEEPS9_SE_NS0_5tupleIJPjSE_EEENSF_IJSE_SE_EEES9_SG_JZNS1_25segmented_radix_sort_implINS0_14default_configELb1EPKaPaPKlPlN2at6native12_GLOBAL__N_18offset_tEEE10hipError_tPvRmT1_PNSt15iterator_traitsISY_E10value_typeET2_T3_PNSZ_IS14_E10value_typeET4_jRbjT5_S1A_jjP12ihipStream_tbEUljE_EEESV_SW_SX_S14_S18_S1A_T6_T7_T9_mT8_S1C_bDpT10_ENKUlT_T0_E_clISt17integral_constantIbLb1EES1P_EEDaS1K_S1L_EUlS1K_E_NS1_11comp_targetILNS1_3genE2ELNS1_11target_archE906ELNS1_3gpuE6ELNS1_3repE0EEENS1_30default_config_static_selectorELNS0_4arch9wavefront6targetE1EEEvSY_.kd
    .uniform_work_group_size: 1
    .uses_dynamic_stack: false
    .vgpr_count:     0
    .vgpr_spill_count: 0
    .wavefront_size: 64
  - .args:
      - .offset:         0
        .size:           152
        .value_kind:     by_value
    .group_segment_fixed_size: 0
    .kernarg_segment_align: 8
    .kernarg_segment_size: 152
    .language:       OpenCL C
    .language_version:
      - 2
      - 0
    .max_flat_workgroup_size: 256
    .name:           _ZN7rocprim17ROCPRIM_400000_NS6detail17trampoline_kernelINS0_13select_configILj256ELj13ELNS0_17block_load_methodE3ELS4_3ELS4_3ELNS0_20block_scan_algorithmE0ELj4294967295EEENS1_25partition_config_selectorILNS1_17partition_subalgoE3EjNS0_10empty_typeEbEEZZNS1_14partition_implILS8_3ELb0ES6_jNS0_17counting_iteratorIjlEEPS9_SE_NS0_5tupleIJPjSE_EEENSF_IJSE_SE_EEES9_SG_JZNS1_25segmented_radix_sort_implINS0_14default_configELb1EPKaPaPKlPlN2at6native12_GLOBAL__N_18offset_tEEE10hipError_tPvRmT1_PNSt15iterator_traitsISY_E10value_typeET2_T3_PNSZ_IS14_E10value_typeET4_jRbjT5_S1A_jjP12ihipStream_tbEUljE_EEESV_SW_SX_S14_S18_S1A_T6_T7_T9_mT8_S1C_bDpT10_ENKUlT_T0_E_clISt17integral_constantIbLb1EES1P_EEDaS1K_S1L_EUlS1K_E_NS1_11comp_targetILNS1_3genE10ELNS1_11target_archE1200ELNS1_3gpuE4ELNS1_3repE0EEENS1_30default_config_static_selectorELNS0_4arch9wavefront6targetE1EEEvSY_
    .private_segment_fixed_size: 0
    .sgpr_count:     4
    .sgpr_spill_count: 0
    .symbol:         _ZN7rocprim17ROCPRIM_400000_NS6detail17trampoline_kernelINS0_13select_configILj256ELj13ELNS0_17block_load_methodE3ELS4_3ELS4_3ELNS0_20block_scan_algorithmE0ELj4294967295EEENS1_25partition_config_selectorILNS1_17partition_subalgoE3EjNS0_10empty_typeEbEEZZNS1_14partition_implILS8_3ELb0ES6_jNS0_17counting_iteratorIjlEEPS9_SE_NS0_5tupleIJPjSE_EEENSF_IJSE_SE_EEES9_SG_JZNS1_25segmented_radix_sort_implINS0_14default_configELb1EPKaPaPKlPlN2at6native12_GLOBAL__N_18offset_tEEE10hipError_tPvRmT1_PNSt15iterator_traitsISY_E10value_typeET2_T3_PNSZ_IS14_E10value_typeET4_jRbjT5_S1A_jjP12ihipStream_tbEUljE_EEESV_SW_SX_S14_S18_S1A_T6_T7_T9_mT8_S1C_bDpT10_ENKUlT_T0_E_clISt17integral_constantIbLb1EES1P_EEDaS1K_S1L_EUlS1K_E_NS1_11comp_targetILNS1_3genE10ELNS1_11target_archE1200ELNS1_3gpuE4ELNS1_3repE0EEENS1_30default_config_static_selectorELNS0_4arch9wavefront6targetE1EEEvSY_.kd
    .uniform_work_group_size: 1
    .uses_dynamic_stack: false
    .vgpr_count:     0
    .vgpr_spill_count: 0
    .wavefront_size: 64
  - .args:
      - .offset:         0
        .size:           152
        .value_kind:     by_value
    .group_segment_fixed_size: 0
    .kernarg_segment_align: 8
    .kernarg_segment_size: 152
    .language:       OpenCL C
    .language_version:
      - 2
      - 0
    .max_flat_workgroup_size: 256
    .name:           _ZN7rocprim17ROCPRIM_400000_NS6detail17trampoline_kernelINS0_13select_configILj256ELj13ELNS0_17block_load_methodE3ELS4_3ELS4_3ELNS0_20block_scan_algorithmE0ELj4294967295EEENS1_25partition_config_selectorILNS1_17partition_subalgoE3EjNS0_10empty_typeEbEEZZNS1_14partition_implILS8_3ELb0ES6_jNS0_17counting_iteratorIjlEEPS9_SE_NS0_5tupleIJPjSE_EEENSF_IJSE_SE_EEES9_SG_JZNS1_25segmented_radix_sort_implINS0_14default_configELb1EPKaPaPKlPlN2at6native12_GLOBAL__N_18offset_tEEE10hipError_tPvRmT1_PNSt15iterator_traitsISY_E10value_typeET2_T3_PNSZ_IS14_E10value_typeET4_jRbjT5_S1A_jjP12ihipStream_tbEUljE_EEESV_SW_SX_S14_S18_S1A_T6_T7_T9_mT8_S1C_bDpT10_ENKUlT_T0_E_clISt17integral_constantIbLb1EES1P_EEDaS1K_S1L_EUlS1K_E_NS1_11comp_targetILNS1_3genE9ELNS1_11target_archE1100ELNS1_3gpuE3ELNS1_3repE0EEENS1_30default_config_static_selectorELNS0_4arch9wavefront6targetE1EEEvSY_
    .private_segment_fixed_size: 0
    .sgpr_count:     4
    .sgpr_spill_count: 0
    .symbol:         _ZN7rocprim17ROCPRIM_400000_NS6detail17trampoline_kernelINS0_13select_configILj256ELj13ELNS0_17block_load_methodE3ELS4_3ELS4_3ELNS0_20block_scan_algorithmE0ELj4294967295EEENS1_25partition_config_selectorILNS1_17partition_subalgoE3EjNS0_10empty_typeEbEEZZNS1_14partition_implILS8_3ELb0ES6_jNS0_17counting_iteratorIjlEEPS9_SE_NS0_5tupleIJPjSE_EEENSF_IJSE_SE_EEES9_SG_JZNS1_25segmented_radix_sort_implINS0_14default_configELb1EPKaPaPKlPlN2at6native12_GLOBAL__N_18offset_tEEE10hipError_tPvRmT1_PNSt15iterator_traitsISY_E10value_typeET2_T3_PNSZ_IS14_E10value_typeET4_jRbjT5_S1A_jjP12ihipStream_tbEUljE_EEESV_SW_SX_S14_S18_S1A_T6_T7_T9_mT8_S1C_bDpT10_ENKUlT_T0_E_clISt17integral_constantIbLb1EES1P_EEDaS1K_S1L_EUlS1K_E_NS1_11comp_targetILNS1_3genE9ELNS1_11target_archE1100ELNS1_3gpuE3ELNS1_3repE0EEENS1_30default_config_static_selectorELNS0_4arch9wavefront6targetE1EEEvSY_.kd
    .uniform_work_group_size: 1
    .uses_dynamic_stack: false
    .vgpr_count:     0
    .vgpr_spill_count: 0
    .wavefront_size: 64
  - .args:
      - .offset:         0
        .size:           152
        .value_kind:     by_value
    .group_segment_fixed_size: 0
    .kernarg_segment_align: 8
    .kernarg_segment_size: 152
    .language:       OpenCL C
    .language_version:
      - 2
      - 0
    .max_flat_workgroup_size: 256
    .name:           _ZN7rocprim17ROCPRIM_400000_NS6detail17trampoline_kernelINS0_13select_configILj256ELj13ELNS0_17block_load_methodE3ELS4_3ELS4_3ELNS0_20block_scan_algorithmE0ELj4294967295EEENS1_25partition_config_selectorILNS1_17partition_subalgoE3EjNS0_10empty_typeEbEEZZNS1_14partition_implILS8_3ELb0ES6_jNS0_17counting_iteratorIjlEEPS9_SE_NS0_5tupleIJPjSE_EEENSF_IJSE_SE_EEES9_SG_JZNS1_25segmented_radix_sort_implINS0_14default_configELb1EPKaPaPKlPlN2at6native12_GLOBAL__N_18offset_tEEE10hipError_tPvRmT1_PNSt15iterator_traitsISY_E10value_typeET2_T3_PNSZ_IS14_E10value_typeET4_jRbjT5_S1A_jjP12ihipStream_tbEUljE_EEESV_SW_SX_S14_S18_S1A_T6_T7_T9_mT8_S1C_bDpT10_ENKUlT_T0_E_clISt17integral_constantIbLb1EES1P_EEDaS1K_S1L_EUlS1K_E_NS1_11comp_targetILNS1_3genE8ELNS1_11target_archE1030ELNS1_3gpuE2ELNS1_3repE0EEENS1_30default_config_static_selectorELNS0_4arch9wavefront6targetE1EEEvSY_
    .private_segment_fixed_size: 0
    .sgpr_count:     4
    .sgpr_spill_count: 0
    .symbol:         _ZN7rocprim17ROCPRIM_400000_NS6detail17trampoline_kernelINS0_13select_configILj256ELj13ELNS0_17block_load_methodE3ELS4_3ELS4_3ELNS0_20block_scan_algorithmE0ELj4294967295EEENS1_25partition_config_selectorILNS1_17partition_subalgoE3EjNS0_10empty_typeEbEEZZNS1_14partition_implILS8_3ELb0ES6_jNS0_17counting_iteratorIjlEEPS9_SE_NS0_5tupleIJPjSE_EEENSF_IJSE_SE_EEES9_SG_JZNS1_25segmented_radix_sort_implINS0_14default_configELb1EPKaPaPKlPlN2at6native12_GLOBAL__N_18offset_tEEE10hipError_tPvRmT1_PNSt15iterator_traitsISY_E10value_typeET2_T3_PNSZ_IS14_E10value_typeET4_jRbjT5_S1A_jjP12ihipStream_tbEUljE_EEESV_SW_SX_S14_S18_S1A_T6_T7_T9_mT8_S1C_bDpT10_ENKUlT_T0_E_clISt17integral_constantIbLb1EES1P_EEDaS1K_S1L_EUlS1K_E_NS1_11comp_targetILNS1_3genE8ELNS1_11target_archE1030ELNS1_3gpuE2ELNS1_3repE0EEENS1_30default_config_static_selectorELNS0_4arch9wavefront6targetE1EEEvSY_.kd
    .uniform_work_group_size: 1
    .uses_dynamic_stack: false
    .vgpr_count:     0
    .vgpr_spill_count: 0
    .wavefront_size: 64
  - .args:
      - .offset:         0
        .size:           144
        .value_kind:     by_value
    .group_segment_fixed_size: 0
    .kernarg_segment_align: 8
    .kernarg_segment_size: 144
    .language:       OpenCL C
    .language_version:
      - 2
      - 0
    .max_flat_workgroup_size: 256
    .name:           _ZN7rocprim17ROCPRIM_400000_NS6detail17trampoline_kernelINS0_13select_configILj256ELj13ELNS0_17block_load_methodE3ELS4_3ELS4_3ELNS0_20block_scan_algorithmE0ELj4294967295EEENS1_25partition_config_selectorILNS1_17partition_subalgoE3EjNS0_10empty_typeEbEEZZNS1_14partition_implILS8_3ELb0ES6_jNS0_17counting_iteratorIjlEEPS9_SE_NS0_5tupleIJPjSE_EEENSF_IJSE_SE_EEES9_SG_JZNS1_25segmented_radix_sort_implINS0_14default_configELb1EPKaPaPKlPlN2at6native12_GLOBAL__N_18offset_tEEE10hipError_tPvRmT1_PNSt15iterator_traitsISY_E10value_typeET2_T3_PNSZ_IS14_E10value_typeET4_jRbjT5_S1A_jjP12ihipStream_tbEUljE_EEESV_SW_SX_S14_S18_S1A_T6_T7_T9_mT8_S1C_bDpT10_ENKUlT_T0_E_clISt17integral_constantIbLb1EES1O_IbLb0EEEEDaS1K_S1L_EUlS1K_E_NS1_11comp_targetILNS1_3genE0ELNS1_11target_archE4294967295ELNS1_3gpuE0ELNS1_3repE0EEENS1_30default_config_static_selectorELNS0_4arch9wavefront6targetE1EEEvSY_
    .private_segment_fixed_size: 0
    .sgpr_count:     4
    .sgpr_spill_count: 0
    .symbol:         _ZN7rocprim17ROCPRIM_400000_NS6detail17trampoline_kernelINS0_13select_configILj256ELj13ELNS0_17block_load_methodE3ELS4_3ELS4_3ELNS0_20block_scan_algorithmE0ELj4294967295EEENS1_25partition_config_selectorILNS1_17partition_subalgoE3EjNS0_10empty_typeEbEEZZNS1_14partition_implILS8_3ELb0ES6_jNS0_17counting_iteratorIjlEEPS9_SE_NS0_5tupleIJPjSE_EEENSF_IJSE_SE_EEES9_SG_JZNS1_25segmented_radix_sort_implINS0_14default_configELb1EPKaPaPKlPlN2at6native12_GLOBAL__N_18offset_tEEE10hipError_tPvRmT1_PNSt15iterator_traitsISY_E10value_typeET2_T3_PNSZ_IS14_E10value_typeET4_jRbjT5_S1A_jjP12ihipStream_tbEUljE_EEESV_SW_SX_S14_S18_S1A_T6_T7_T9_mT8_S1C_bDpT10_ENKUlT_T0_E_clISt17integral_constantIbLb1EES1O_IbLb0EEEEDaS1K_S1L_EUlS1K_E_NS1_11comp_targetILNS1_3genE0ELNS1_11target_archE4294967295ELNS1_3gpuE0ELNS1_3repE0EEENS1_30default_config_static_selectorELNS0_4arch9wavefront6targetE1EEEvSY_.kd
    .uniform_work_group_size: 1
    .uses_dynamic_stack: false
    .vgpr_count:     0
    .vgpr_spill_count: 0
    .wavefront_size: 64
  - .args:
      - .offset:         0
        .size:           144
        .value_kind:     by_value
    .group_segment_fixed_size: 0
    .kernarg_segment_align: 8
    .kernarg_segment_size: 144
    .language:       OpenCL C
    .language_version:
      - 2
      - 0
    .max_flat_workgroup_size: 256
    .name:           _ZN7rocprim17ROCPRIM_400000_NS6detail17trampoline_kernelINS0_13select_configILj256ELj13ELNS0_17block_load_methodE3ELS4_3ELS4_3ELNS0_20block_scan_algorithmE0ELj4294967295EEENS1_25partition_config_selectorILNS1_17partition_subalgoE3EjNS0_10empty_typeEbEEZZNS1_14partition_implILS8_3ELb0ES6_jNS0_17counting_iteratorIjlEEPS9_SE_NS0_5tupleIJPjSE_EEENSF_IJSE_SE_EEES9_SG_JZNS1_25segmented_radix_sort_implINS0_14default_configELb1EPKaPaPKlPlN2at6native12_GLOBAL__N_18offset_tEEE10hipError_tPvRmT1_PNSt15iterator_traitsISY_E10value_typeET2_T3_PNSZ_IS14_E10value_typeET4_jRbjT5_S1A_jjP12ihipStream_tbEUljE_EEESV_SW_SX_S14_S18_S1A_T6_T7_T9_mT8_S1C_bDpT10_ENKUlT_T0_E_clISt17integral_constantIbLb1EES1O_IbLb0EEEEDaS1K_S1L_EUlS1K_E_NS1_11comp_targetILNS1_3genE5ELNS1_11target_archE942ELNS1_3gpuE9ELNS1_3repE0EEENS1_30default_config_static_selectorELNS0_4arch9wavefront6targetE1EEEvSY_
    .private_segment_fixed_size: 0
    .sgpr_count:     4
    .sgpr_spill_count: 0
    .symbol:         _ZN7rocprim17ROCPRIM_400000_NS6detail17trampoline_kernelINS0_13select_configILj256ELj13ELNS0_17block_load_methodE3ELS4_3ELS4_3ELNS0_20block_scan_algorithmE0ELj4294967295EEENS1_25partition_config_selectorILNS1_17partition_subalgoE3EjNS0_10empty_typeEbEEZZNS1_14partition_implILS8_3ELb0ES6_jNS0_17counting_iteratorIjlEEPS9_SE_NS0_5tupleIJPjSE_EEENSF_IJSE_SE_EEES9_SG_JZNS1_25segmented_radix_sort_implINS0_14default_configELb1EPKaPaPKlPlN2at6native12_GLOBAL__N_18offset_tEEE10hipError_tPvRmT1_PNSt15iterator_traitsISY_E10value_typeET2_T3_PNSZ_IS14_E10value_typeET4_jRbjT5_S1A_jjP12ihipStream_tbEUljE_EEESV_SW_SX_S14_S18_S1A_T6_T7_T9_mT8_S1C_bDpT10_ENKUlT_T0_E_clISt17integral_constantIbLb1EES1O_IbLb0EEEEDaS1K_S1L_EUlS1K_E_NS1_11comp_targetILNS1_3genE5ELNS1_11target_archE942ELNS1_3gpuE9ELNS1_3repE0EEENS1_30default_config_static_selectorELNS0_4arch9wavefront6targetE1EEEvSY_.kd
    .uniform_work_group_size: 1
    .uses_dynamic_stack: false
    .vgpr_count:     0
    .vgpr_spill_count: 0
    .wavefront_size: 64
  - .args:
      - .offset:         0
        .size:           144
        .value_kind:     by_value
    .group_segment_fixed_size: 0
    .kernarg_segment_align: 8
    .kernarg_segment_size: 144
    .language:       OpenCL C
    .language_version:
      - 2
      - 0
    .max_flat_workgroup_size: 256
    .name:           _ZN7rocprim17ROCPRIM_400000_NS6detail17trampoline_kernelINS0_13select_configILj256ELj13ELNS0_17block_load_methodE3ELS4_3ELS4_3ELNS0_20block_scan_algorithmE0ELj4294967295EEENS1_25partition_config_selectorILNS1_17partition_subalgoE3EjNS0_10empty_typeEbEEZZNS1_14partition_implILS8_3ELb0ES6_jNS0_17counting_iteratorIjlEEPS9_SE_NS0_5tupleIJPjSE_EEENSF_IJSE_SE_EEES9_SG_JZNS1_25segmented_radix_sort_implINS0_14default_configELb1EPKaPaPKlPlN2at6native12_GLOBAL__N_18offset_tEEE10hipError_tPvRmT1_PNSt15iterator_traitsISY_E10value_typeET2_T3_PNSZ_IS14_E10value_typeET4_jRbjT5_S1A_jjP12ihipStream_tbEUljE_EEESV_SW_SX_S14_S18_S1A_T6_T7_T9_mT8_S1C_bDpT10_ENKUlT_T0_E_clISt17integral_constantIbLb1EES1O_IbLb0EEEEDaS1K_S1L_EUlS1K_E_NS1_11comp_targetILNS1_3genE4ELNS1_11target_archE910ELNS1_3gpuE8ELNS1_3repE0EEENS1_30default_config_static_selectorELNS0_4arch9wavefront6targetE1EEEvSY_
    .private_segment_fixed_size: 0
    .sgpr_count:     4
    .sgpr_spill_count: 0
    .symbol:         _ZN7rocprim17ROCPRIM_400000_NS6detail17trampoline_kernelINS0_13select_configILj256ELj13ELNS0_17block_load_methodE3ELS4_3ELS4_3ELNS0_20block_scan_algorithmE0ELj4294967295EEENS1_25partition_config_selectorILNS1_17partition_subalgoE3EjNS0_10empty_typeEbEEZZNS1_14partition_implILS8_3ELb0ES6_jNS0_17counting_iteratorIjlEEPS9_SE_NS0_5tupleIJPjSE_EEENSF_IJSE_SE_EEES9_SG_JZNS1_25segmented_radix_sort_implINS0_14default_configELb1EPKaPaPKlPlN2at6native12_GLOBAL__N_18offset_tEEE10hipError_tPvRmT1_PNSt15iterator_traitsISY_E10value_typeET2_T3_PNSZ_IS14_E10value_typeET4_jRbjT5_S1A_jjP12ihipStream_tbEUljE_EEESV_SW_SX_S14_S18_S1A_T6_T7_T9_mT8_S1C_bDpT10_ENKUlT_T0_E_clISt17integral_constantIbLb1EES1O_IbLb0EEEEDaS1K_S1L_EUlS1K_E_NS1_11comp_targetILNS1_3genE4ELNS1_11target_archE910ELNS1_3gpuE8ELNS1_3repE0EEENS1_30default_config_static_selectorELNS0_4arch9wavefront6targetE1EEEvSY_.kd
    .uniform_work_group_size: 1
    .uses_dynamic_stack: false
    .vgpr_count:     0
    .vgpr_spill_count: 0
    .wavefront_size: 64
  - .args:
      - .offset:         0
        .size:           144
        .value_kind:     by_value
    .group_segment_fixed_size: 0
    .kernarg_segment_align: 8
    .kernarg_segment_size: 144
    .language:       OpenCL C
    .language_version:
      - 2
      - 0
    .max_flat_workgroup_size: 256
    .name:           _ZN7rocprim17ROCPRIM_400000_NS6detail17trampoline_kernelINS0_13select_configILj256ELj13ELNS0_17block_load_methodE3ELS4_3ELS4_3ELNS0_20block_scan_algorithmE0ELj4294967295EEENS1_25partition_config_selectorILNS1_17partition_subalgoE3EjNS0_10empty_typeEbEEZZNS1_14partition_implILS8_3ELb0ES6_jNS0_17counting_iteratorIjlEEPS9_SE_NS0_5tupleIJPjSE_EEENSF_IJSE_SE_EEES9_SG_JZNS1_25segmented_radix_sort_implINS0_14default_configELb1EPKaPaPKlPlN2at6native12_GLOBAL__N_18offset_tEEE10hipError_tPvRmT1_PNSt15iterator_traitsISY_E10value_typeET2_T3_PNSZ_IS14_E10value_typeET4_jRbjT5_S1A_jjP12ihipStream_tbEUljE_EEESV_SW_SX_S14_S18_S1A_T6_T7_T9_mT8_S1C_bDpT10_ENKUlT_T0_E_clISt17integral_constantIbLb1EES1O_IbLb0EEEEDaS1K_S1L_EUlS1K_E_NS1_11comp_targetILNS1_3genE3ELNS1_11target_archE908ELNS1_3gpuE7ELNS1_3repE0EEENS1_30default_config_static_selectorELNS0_4arch9wavefront6targetE1EEEvSY_
    .private_segment_fixed_size: 0
    .sgpr_count:     4
    .sgpr_spill_count: 0
    .symbol:         _ZN7rocprim17ROCPRIM_400000_NS6detail17trampoline_kernelINS0_13select_configILj256ELj13ELNS0_17block_load_methodE3ELS4_3ELS4_3ELNS0_20block_scan_algorithmE0ELj4294967295EEENS1_25partition_config_selectorILNS1_17partition_subalgoE3EjNS0_10empty_typeEbEEZZNS1_14partition_implILS8_3ELb0ES6_jNS0_17counting_iteratorIjlEEPS9_SE_NS0_5tupleIJPjSE_EEENSF_IJSE_SE_EEES9_SG_JZNS1_25segmented_radix_sort_implINS0_14default_configELb1EPKaPaPKlPlN2at6native12_GLOBAL__N_18offset_tEEE10hipError_tPvRmT1_PNSt15iterator_traitsISY_E10value_typeET2_T3_PNSZ_IS14_E10value_typeET4_jRbjT5_S1A_jjP12ihipStream_tbEUljE_EEESV_SW_SX_S14_S18_S1A_T6_T7_T9_mT8_S1C_bDpT10_ENKUlT_T0_E_clISt17integral_constantIbLb1EES1O_IbLb0EEEEDaS1K_S1L_EUlS1K_E_NS1_11comp_targetILNS1_3genE3ELNS1_11target_archE908ELNS1_3gpuE7ELNS1_3repE0EEENS1_30default_config_static_selectorELNS0_4arch9wavefront6targetE1EEEvSY_.kd
    .uniform_work_group_size: 1
    .uses_dynamic_stack: false
    .vgpr_count:     0
    .vgpr_spill_count: 0
    .wavefront_size: 64
  - .args:
      - .offset:         0
        .size:           144
        .value_kind:     by_value
    .group_segment_fixed_size: 0
    .kernarg_segment_align: 8
    .kernarg_segment_size: 144
    .language:       OpenCL C
    .language_version:
      - 2
      - 0
    .max_flat_workgroup_size: 256
    .name:           _ZN7rocprim17ROCPRIM_400000_NS6detail17trampoline_kernelINS0_13select_configILj256ELj13ELNS0_17block_load_methodE3ELS4_3ELS4_3ELNS0_20block_scan_algorithmE0ELj4294967295EEENS1_25partition_config_selectorILNS1_17partition_subalgoE3EjNS0_10empty_typeEbEEZZNS1_14partition_implILS8_3ELb0ES6_jNS0_17counting_iteratorIjlEEPS9_SE_NS0_5tupleIJPjSE_EEENSF_IJSE_SE_EEES9_SG_JZNS1_25segmented_radix_sort_implINS0_14default_configELb1EPKaPaPKlPlN2at6native12_GLOBAL__N_18offset_tEEE10hipError_tPvRmT1_PNSt15iterator_traitsISY_E10value_typeET2_T3_PNSZ_IS14_E10value_typeET4_jRbjT5_S1A_jjP12ihipStream_tbEUljE_EEESV_SW_SX_S14_S18_S1A_T6_T7_T9_mT8_S1C_bDpT10_ENKUlT_T0_E_clISt17integral_constantIbLb1EES1O_IbLb0EEEEDaS1K_S1L_EUlS1K_E_NS1_11comp_targetILNS1_3genE2ELNS1_11target_archE906ELNS1_3gpuE6ELNS1_3repE0EEENS1_30default_config_static_selectorELNS0_4arch9wavefront6targetE1EEEvSY_
    .private_segment_fixed_size: 0
    .sgpr_count:     4
    .sgpr_spill_count: 0
    .symbol:         _ZN7rocprim17ROCPRIM_400000_NS6detail17trampoline_kernelINS0_13select_configILj256ELj13ELNS0_17block_load_methodE3ELS4_3ELS4_3ELNS0_20block_scan_algorithmE0ELj4294967295EEENS1_25partition_config_selectorILNS1_17partition_subalgoE3EjNS0_10empty_typeEbEEZZNS1_14partition_implILS8_3ELb0ES6_jNS0_17counting_iteratorIjlEEPS9_SE_NS0_5tupleIJPjSE_EEENSF_IJSE_SE_EEES9_SG_JZNS1_25segmented_radix_sort_implINS0_14default_configELb1EPKaPaPKlPlN2at6native12_GLOBAL__N_18offset_tEEE10hipError_tPvRmT1_PNSt15iterator_traitsISY_E10value_typeET2_T3_PNSZ_IS14_E10value_typeET4_jRbjT5_S1A_jjP12ihipStream_tbEUljE_EEESV_SW_SX_S14_S18_S1A_T6_T7_T9_mT8_S1C_bDpT10_ENKUlT_T0_E_clISt17integral_constantIbLb1EES1O_IbLb0EEEEDaS1K_S1L_EUlS1K_E_NS1_11comp_targetILNS1_3genE2ELNS1_11target_archE906ELNS1_3gpuE6ELNS1_3repE0EEENS1_30default_config_static_selectorELNS0_4arch9wavefront6targetE1EEEvSY_.kd
    .uniform_work_group_size: 1
    .uses_dynamic_stack: false
    .vgpr_count:     0
    .vgpr_spill_count: 0
    .wavefront_size: 64
  - .args:
      - .offset:         0
        .size:           144
        .value_kind:     by_value
    .group_segment_fixed_size: 0
    .kernarg_segment_align: 8
    .kernarg_segment_size: 144
    .language:       OpenCL C
    .language_version:
      - 2
      - 0
    .max_flat_workgroup_size: 256
    .name:           _ZN7rocprim17ROCPRIM_400000_NS6detail17trampoline_kernelINS0_13select_configILj256ELj13ELNS0_17block_load_methodE3ELS4_3ELS4_3ELNS0_20block_scan_algorithmE0ELj4294967295EEENS1_25partition_config_selectorILNS1_17partition_subalgoE3EjNS0_10empty_typeEbEEZZNS1_14partition_implILS8_3ELb0ES6_jNS0_17counting_iteratorIjlEEPS9_SE_NS0_5tupleIJPjSE_EEENSF_IJSE_SE_EEES9_SG_JZNS1_25segmented_radix_sort_implINS0_14default_configELb1EPKaPaPKlPlN2at6native12_GLOBAL__N_18offset_tEEE10hipError_tPvRmT1_PNSt15iterator_traitsISY_E10value_typeET2_T3_PNSZ_IS14_E10value_typeET4_jRbjT5_S1A_jjP12ihipStream_tbEUljE_EEESV_SW_SX_S14_S18_S1A_T6_T7_T9_mT8_S1C_bDpT10_ENKUlT_T0_E_clISt17integral_constantIbLb1EES1O_IbLb0EEEEDaS1K_S1L_EUlS1K_E_NS1_11comp_targetILNS1_3genE10ELNS1_11target_archE1200ELNS1_3gpuE4ELNS1_3repE0EEENS1_30default_config_static_selectorELNS0_4arch9wavefront6targetE1EEEvSY_
    .private_segment_fixed_size: 0
    .sgpr_count:     4
    .sgpr_spill_count: 0
    .symbol:         _ZN7rocprim17ROCPRIM_400000_NS6detail17trampoline_kernelINS0_13select_configILj256ELj13ELNS0_17block_load_methodE3ELS4_3ELS4_3ELNS0_20block_scan_algorithmE0ELj4294967295EEENS1_25partition_config_selectorILNS1_17partition_subalgoE3EjNS0_10empty_typeEbEEZZNS1_14partition_implILS8_3ELb0ES6_jNS0_17counting_iteratorIjlEEPS9_SE_NS0_5tupleIJPjSE_EEENSF_IJSE_SE_EEES9_SG_JZNS1_25segmented_radix_sort_implINS0_14default_configELb1EPKaPaPKlPlN2at6native12_GLOBAL__N_18offset_tEEE10hipError_tPvRmT1_PNSt15iterator_traitsISY_E10value_typeET2_T3_PNSZ_IS14_E10value_typeET4_jRbjT5_S1A_jjP12ihipStream_tbEUljE_EEESV_SW_SX_S14_S18_S1A_T6_T7_T9_mT8_S1C_bDpT10_ENKUlT_T0_E_clISt17integral_constantIbLb1EES1O_IbLb0EEEEDaS1K_S1L_EUlS1K_E_NS1_11comp_targetILNS1_3genE10ELNS1_11target_archE1200ELNS1_3gpuE4ELNS1_3repE0EEENS1_30default_config_static_selectorELNS0_4arch9wavefront6targetE1EEEvSY_.kd
    .uniform_work_group_size: 1
    .uses_dynamic_stack: false
    .vgpr_count:     0
    .vgpr_spill_count: 0
    .wavefront_size: 64
  - .args:
      - .offset:         0
        .size:           144
        .value_kind:     by_value
    .group_segment_fixed_size: 0
    .kernarg_segment_align: 8
    .kernarg_segment_size: 144
    .language:       OpenCL C
    .language_version:
      - 2
      - 0
    .max_flat_workgroup_size: 256
    .name:           _ZN7rocprim17ROCPRIM_400000_NS6detail17trampoline_kernelINS0_13select_configILj256ELj13ELNS0_17block_load_methodE3ELS4_3ELS4_3ELNS0_20block_scan_algorithmE0ELj4294967295EEENS1_25partition_config_selectorILNS1_17partition_subalgoE3EjNS0_10empty_typeEbEEZZNS1_14partition_implILS8_3ELb0ES6_jNS0_17counting_iteratorIjlEEPS9_SE_NS0_5tupleIJPjSE_EEENSF_IJSE_SE_EEES9_SG_JZNS1_25segmented_radix_sort_implINS0_14default_configELb1EPKaPaPKlPlN2at6native12_GLOBAL__N_18offset_tEEE10hipError_tPvRmT1_PNSt15iterator_traitsISY_E10value_typeET2_T3_PNSZ_IS14_E10value_typeET4_jRbjT5_S1A_jjP12ihipStream_tbEUljE_EEESV_SW_SX_S14_S18_S1A_T6_T7_T9_mT8_S1C_bDpT10_ENKUlT_T0_E_clISt17integral_constantIbLb1EES1O_IbLb0EEEEDaS1K_S1L_EUlS1K_E_NS1_11comp_targetILNS1_3genE9ELNS1_11target_archE1100ELNS1_3gpuE3ELNS1_3repE0EEENS1_30default_config_static_selectorELNS0_4arch9wavefront6targetE1EEEvSY_
    .private_segment_fixed_size: 0
    .sgpr_count:     4
    .sgpr_spill_count: 0
    .symbol:         _ZN7rocprim17ROCPRIM_400000_NS6detail17trampoline_kernelINS0_13select_configILj256ELj13ELNS0_17block_load_methodE3ELS4_3ELS4_3ELNS0_20block_scan_algorithmE0ELj4294967295EEENS1_25partition_config_selectorILNS1_17partition_subalgoE3EjNS0_10empty_typeEbEEZZNS1_14partition_implILS8_3ELb0ES6_jNS0_17counting_iteratorIjlEEPS9_SE_NS0_5tupleIJPjSE_EEENSF_IJSE_SE_EEES9_SG_JZNS1_25segmented_radix_sort_implINS0_14default_configELb1EPKaPaPKlPlN2at6native12_GLOBAL__N_18offset_tEEE10hipError_tPvRmT1_PNSt15iterator_traitsISY_E10value_typeET2_T3_PNSZ_IS14_E10value_typeET4_jRbjT5_S1A_jjP12ihipStream_tbEUljE_EEESV_SW_SX_S14_S18_S1A_T6_T7_T9_mT8_S1C_bDpT10_ENKUlT_T0_E_clISt17integral_constantIbLb1EES1O_IbLb0EEEEDaS1K_S1L_EUlS1K_E_NS1_11comp_targetILNS1_3genE9ELNS1_11target_archE1100ELNS1_3gpuE3ELNS1_3repE0EEENS1_30default_config_static_selectorELNS0_4arch9wavefront6targetE1EEEvSY_.kd
    .uniform_work_group_size: 1
    .uses_dynamic_stack: false
    .vgpr_count:     0
    .vgpr_spill_count: 0
    .wavefront_size: 64
  - .args:
      - .offset:         0
        .size:           144
        .value_kind:     by_value
    .group_segment_fixed_size: 0
    .kernarg_segment_align: 8
    .kernarg_segment_size: 144
    .language:       OpenCL C
    .language_version:
      - 2
      - 0
    .max_flat_workgroup_size: 256
    .name:           _ZN7rocprim17ROCPRIM_400000_NS6detail17trampoline_kernelINS0_13select_configILj256ELj13ELNS0_17block_load_methodE3ELS4_3ELS4_3ELNS0_20block_scan_algorithmE0ELj4294967295EEENS1_25partition_config_selectorILNS1_17partition_subalgoE3EjNS0_10empty_typeEbEEZZNS1_14partition_implILS8_3ELb0ES6_jNS0_17counting_iteratorIjlEEPS9_SE_NS0_5tupleIJPjSE_EEENSF_IJSE_SE_EEES9_SG_JZNS1_25segmented_radix_sort_implINS0_14default_configELb1EPKaPaPKlPlN2at6native12_GLOBAL__N_18offset_tEEE10hipError_tPvRmT1_PNSt15iterator_traitsISY_E10value_typeET2_T3_PNSZ_IS14_E10value_typeET4_jRbjT5_S1A_jjP12ihipStream_tbEUljE_EEESV_SW_SX_S14_S18_S1A_T6_T7_T9_mT8_S1C_bDpT10_ENKUlT_T0_E_clISt17integral_constantIbLb1EES1O_IbLb0EEEEDaS1K_S1L_EUlS1K_E_NS1_11comp_targetILNS1_3genE8ELNS1_11target_archE1030ELNS1_3gpuE2ELNS1_3repE0EEENS1_30default_config_static_selectorELNS0_4arch9wavefront6targetE1EEEvSY_
    .private_segment_fixed_size: 0
    .sgpr_count:     4
    .sgpr_spill_count: 0
    .symbol:         _ZN7rocprim17ROCPRIM_400000_NS6detail17trampoline_kernelINS0_13select_configILj256ELj13ELNS0_17block_load_methodE3ELS4_3ELS4_3ELNS0_20block_scan_algorithmE0ELj4294967295EEENS1_25partition_config_selectorILNS1_17partition_subalgoE3EjNS0_10empty_typeEbEEZZNS1_14partition_implILS8_3ELb0ES6_jNS0_17counting_iteratorIjlEEPS9_SE_NS0_5tupleIJPjSE_EEENSF_IJSE_SE_EEES9_SG_JZNS1_25segmented_radix_sort_implINS0_14default_configELb1EPKaPaPKlPlN2at6native12_GLOBAL__N_18offset_tEEE10hipError_tPvRmT1_PNSt15iterator_traitsISY_E10value_typeET2_T3_PNSZ_IS14_E10value_typeET4_jRbjT5_S1A_jjP12ihipStream_tbEUljE_EEESV_SW_SX_S14_S18_S1A_T6_T7_T9_mT8_S1C_bDpT10_ENKUlT_T0_E_clISt17integral_constantIbLb1EES1O_IbLb0EEEEDaS1K_S1L_EUlS1K_E_NS1_11comp_targetILNS1_3genE8ELNS1_11target_archE1030ELNS1_3gpuE2ELNS1_3repE0EEENS1_30default_config_static_selectorELNS0_4arch9wavefront6targetE1EEEvSY_.kd
    .uniform_work_group_size: 1
    .uses_dynamic_stack: false
    .vgpr_count:     0
    .vgpr_spill_count: 0
    .wavefront_size: 64
  - .args:
      - .offset:         0
        .size:           152
        .value_kind:     by_value
    .group_segment_fixed_size: 0
    .kernarg_segment_align: 8
    .kernarg_segment_size: 152
    .language:       OpenCL C
    .language_version:
      - 2
      - 0
    .max_flat_workgroup_size: 256
    .name:           _ZN7rocprim17ROCPRIM_400000_NS6detail17trampoline_kernelINS0_13select_configILj256ELj13ELNS0_17block_load_methodE3ELS4_3ELS4_3ELNS0_20block_scan_algorithmE0ELj4294967295EEENS1_25partition_config_selectorILNS1_17partition_subalgoE3EjNS0_10empty_typeEbEEZZNS1_14partition_implILS8_3ELb0ES6_jNS0_17counting_iteratorIjlEEPS9_SE_NS0_5tupleIJPjSE_EEENSF_IJSE_SE_EEES9_SG_JZNS1_25segmented_radix_sort_implINS0_14default_configELb1EPKaPaPKlPlN2at6native12_GLOBAL__N_18offset_tEEE10hipError_tPvRmT1_PNSt15iterator_traitsISY_E10value_typeET2_T3_PNSZ_IS14_E10value_typeET4_jRbjT5_S1A_jjP12ihipStream_tbEUljE_EEESV_SW_SX_S14_S18_S1A_T6_T7_T9_mT8_S1C_bDpT10_ENKUlT_T0_E_clISt17integral_constantIbLb0EES1O_IbLb1EEEEDaS1K_S1L_EUlS1K_E_NS1_11comp_targetILNS1_3genE0ELNS1_11target_archE4294967295ELNS1_3gpuE0ELNS1_3repE0EEENS1_30default_config_static_selectorELNS0_4arch9wavefront6targetE1EEEvSY_
    .private_segment_fixed_size: 0
    .sgpr_count:     4
    .sgpr_spill_count: 0
    .symbol:         _ZN7rocprim17ROCPRIM_400000_NS6detail17trampoline_kernelINS0_13select_configILj256ELj13ELNS0_17block_load_methodE3ELS4_3ELS4_3ELNS0_20block_scan_algorithmE0ELj4294967295EEENS1_25partition_config_selectorILNS1_17partition_subalgoE3EjNS0_10empty_typeEbEEZZNS1_14partition_implILS8_3ELb0ES6_jNS0_17counting_iteratorIjlEEPS9_SE_NS0_5tupleIJPjSE_EEENSF_IJSE_SE_EEES9_SG_JZNS1_25segmented_radix_sort_implINS0_14default_configELb1EPKaPaPKlPlN2at6native12_GLOBAL__N_18offset_tEEE10hipError_tPvRmT1_PNSt15iterator_traitsISY_E10value_typeET2_T3_PNSZ_IS14_E10value_typeET4_jRbjT5_S1A_jjP12ihipStream_tbEUljE_EEESV_SW_SX_S14_S18_S1A_T6_T7_T9_mT8_S1C_bDpT10_ENKUlT_T0_E_clISt17integral_constantIbLb0EES1O_IbLb1EEEEDaS1K_S1L_EUlS1K_E_NS1_11comp_targetILNS1_3genE0ELNS1_11target_archE4294967295ELNS1_3gpuE0ELNS1_3repE0EEENS1_30default_config_static_selectorELNS0_4arch9wavefront6targetE1EEEvSY_.kd
    .uniform_work_group_size: 1
    .uses_dynamic_stack: false
    .vgpr_count:     0
    .vgpr_spill_count: 0
    .wavefront_size: 64
  - .args:
      - .offset:         0
        .size:           152
        .value_kind:     by_value
    .group_segment_fixed_size: 0
    .kernarg_segment_align: 8
    .kernarg_segment_size: 152
    .language:       OpenCL C
    .language_version:
      - 2
      - 0
    .max_flat_workgroup_size: 256
    .name:           _ZN7rocprim17ROCPRIM_400000_NS6detail17trampoline_kernelINS0_13select_configILj256ELj13ELNS0_17block_load_methodE3ELS4_3ELS4_3ELNS0_20block_scan_algorithmE0ELj4294967295EEENS1_25partition_config_selectorILNS1_17partition_subalgoE3EjNS0_10empty_typeEbEEZZNS1_14partition_implILS8_3ELb0ES6_jNS0_17counting_iteratorIjlEEPS9_SE_NS0_5tupleIJPjSE_EEENSF_IJSE_SE_EEES9_SG_JZNS1_25segmented_radix_sort_implINS0_14default_configELb1EPKaPaPKlPlN2at6native12_GLOBAL__N_18offset_tEEE10hipError_tPvRmT1_PNSt15iterator_traitsISY_E10value_typeET2_T3_PNSZ_IS14_E10value_typeET4_jRbjT5_S1A_jjP12ihipStream_tbEUljE_EEESV_SW_SX_S14_S18_S1A_T6_T7_T9_mT8_S1C_bDpT10_ENKUlT_T0_E_clISt17integral_constantIbLb0EES1O_IbLb1EEEEDaS1K_S1L_EUlS1K_E_NS1_11comp_targetILNS1_3genE5ELNS1_11target_archE942ELNS1_3gpuE9ELNS1_3repE0EEENS1_30default_config_static_selectorELNS0_4arch9wavefront6targetE1EEEvSY_
    .private_segment_fixed_size: 0
    .sgpr_count:     4
    .sgpr_spill_count: 0
    .symbol:         _ZN7rocprim17ROCPRIM_400000_NS6detail17trampoline_kernelINS0_13select_configILj256ELj13ELNS0_17block_load_methodE3ELS4_3ELS4_3ELNS0_20block_scan_algorithmE0ELj4294967295EEENS1_25partition_config_selectorILNS1_17partition_subalgoE3EjNS0_10empty_typeEbEEZZNS1_14partition_implILS8_3ELb0ES6_jNS0_17counting_iteratorIjlEEPS9_SE_NS0_5tupleIJPjSE_EEENSF_IJSE_SE_EEES9_SG_JZNS1_25segmented_radix_sort_implINS0_14default_configELb1EPKaPaPKlPlN2at6native12_GLOBAL__N_18offset_tEEE10hipError_tPvRmT1_PNSt15iterator_traitsISY_E10value_typeET2_T3_PNSZ_IS14_E10value_typeET4_jRbjT5_S1A_jjP12ihipStream_tbEUljE_EEESV_SW_SX_S14_S18_S1A_T6_T7_T9_mT8_S1C_bDpT10_ENKUlT_T0_E_clISt17integral_constantIbLb0EES1O_IbLb1EEEEDaS1K_S1L_EUlS1K_E_NS1_11comp_targetILNS1_3genE5ELNS1_11target_archE942ELNS1_3gpuE9ELNS1_3repE0EEENS1_30default_config_static_selectorELNS0_4arch9wavefront6targetE1EEEvSY_.kd
    .uniform_work_group_size: 1
    .uses_dynamic_stack: false
    .vgpr_count:     0
    .vgpr_spill_count: 0
    .wavefront_size: 64
  - .args:
      - .offset:         0
        .size:           152
        .value_kind:     by_value
    .group_segment_fixed_size: 0
    .kernarg_segment_align: 8
    .kernarg_segment_size: 152
    .language:       OpenCL C
    .language_version:
      - 2
      - 0
    .max_flat_workgroup_size: 256
    .name:           _ZN7rocprim17ROCPRIM_400000_NS6detail17trampoline_kernelINS0_13select_configILj256ELj13ELNS0_17block_load_methodE3ELS4_3ELS4_3ELNS0_20block_scan_algorithmE0ELj4294967295EEENS1_25partition_config_selectorILNS1_17partition_subalgoE3EjNS0_10empty_typeEbEEZZNS1_14partition_implILS8_3ELb0ES6_jNS0_17counting_iteratorIjlEEPS9_SE_NS0_5tupleIJPjSE_EEENSF_IJSE_SE_EEES9_SG_JZNS1_25segmented_radix_sort_implINS0_14default_configELb1EPKaPaPKlPlN2at6native12_GLOBAL__N_18offset_tEEE10hipError_tPvRmT1_PNSt15iterator_traitsISY_E10value_typeET2_T3_PNSZ_IS14_E10value_typeET4_jRbjT5_S1A_jjP12ihipStream_tbEUljE_EEESV_SW_SX_S14_S18_S1A_T6_T7_T9_mT8_S1C_bDpT10_ENKUlT_T0_E_clISt17integral_constantIbLb0EES1O_IbLb1EEEEDaS1K_S1L_EUlS1K_E_NS1_11comp_targetILNS1_3genE4ELNS1_11target_archE910ELNS1_3gpuE8ELNS1_3repE0EEENS1_30default_config_static_selectorELNS0_4arch9wavefront6targetE1EEEvSY_
    .private_segment_fixed_size: 0
    .sgpr_count:     4
    .sgpr_spill_count: 0
    .symbol:         _ZN7rocprim17ROCPRIM_400000_NS6detail17trampoline_kernelINS0_13select_configILj256ELj13ELNS0_17block_load_methodE3ELS4_3ELS4_3ELNS0_20block_scan_algorithmE0ELj4294967295EEENS1_25partition_config_selectorILNS1_17partition_subalgoE3EjNS0_10empty_typeEbEEZZNS1_14partition_implILS8_3ELb0ES6_jNS0_17counting_iteratorIjlEEPS9_SE_NS0_5tupleIJPjSE_EEENSF_IJSE_SE_EEES9_SG_JZNS1_25segmented_radix_sort_implINS0_14default_configELb1EPKaPaPKlPlN2at6native12_GLOBAL__N_18offset_tEEE10hipError_tPvRmT1_PNSt15iterator_traitsISY_E10value_typeET2_T3_PNSZ_IS14_E10value_typeET4_jRbjT5_S1A_jjP12ihipStream_tbEUljE_EEESV_SW_SX_S14_S18_S1A_T6_T7_T9_mT8_S1C_bDpT10_ENKUlT_T0_E_clISt17integral_constantIbLb0EES1O_IbLb1EEEEDaS1K_S1L_EUlS1K_E_NS1_11comp_targetILNS1_3genE4ELNS1_11target_archE910ELNS1_3gpuE8ELNS1_3repE0EEENS1_30default_config_static_selectorELNS0_4arch9wavefront6targetE1EEEvSY_.kd
    .uniform_work_group_size: 1
    .uses_dynamic_stack: false
    .vgpr_count:     0
    .vgpr_spill_count: 0
    .wavefront_size: 64
  - .args:
      - .offset:         0
        .size:           152
        .value_kind:     by_value
    .group_segment_fixed_size: 0
    .kernarg_segment_align: 8
    .kernarg_segment_size: 152
    .language:       OpenCL C
    .language_version:
      - 2
      - 0
    .max_flat_workgroup_size: 256
    .name:           _ZN7rocprim17ROCPRIM_400000_NS6detail17trampoline_kernelINS0_13select_configILj256ELj13ELNS0_17block_load_methodE3ELS4_3ELS4_3ELNS0_20block_scan_algorithmE0ELj4294967295EEENS1_25partition_config_selectorILNS1_17partition_subalgoE3EjNS0_10empty_typeEbEEZZNS1_14partition_implILS8_3ELb0ES6_jNS0_17counting_iteratorIjlEEPS9_SE_NS0_5tupleIJPjSE_EEENSF_IJSE_SE_EEES9_SG_JZNS1_25segmented_radix_sort_implINS0_14default_configELb1EPKaPaPKlPlN2at6native12_GLOBAL__N_18offset_tEEE10hipError_tPvRmT1_PNSt15iterator_traitsISY_E10value_typeET2_T3_PNSZ_IS14_E10value_typeET4_jRbjT5_S1A_jjP12ihipStream_tbEUljE_EEESV_SW_SX_S14_S18_S1A_T6_T7_T9_mT8_S1C_bDpT10_ENKUlT_T0_E_clISt17integral_constantIbLb0EES1O_IbLb1EEEEDaS1K_S1L_EUlS1K_E_NS1_11comp_targetILNS1_3genE3ELNS1_11target_archE908ELNS1_3gpuE7ELNS1_3repE0EEENS1_30default_config_static_selectorELNS0_4arch9wavefront6targetE1EEEvSY_
    .private_segment_fixed_size: 0
    .sgpr_count:     4
    .sgpr_spill_count: 0
    .symbol:         _ZN7rocprim17ROCPRIM_400000_NS6detail17trampoline_kernelINS0_13select_configILj256ELj13ELNS0_17block_load_methodE3ELS4_3ELS4_3ELNS0_20block_scan_algorithmE0ELj4294967295EEENS1_25partition_config_selectorILNS1_17partition_subalgoE3EjNS0_10empty_typeEbEEZZNS1_14partition_implILS8_3ELb0ES6_jNS0_17counting_iteratorIjlEEPS9_SE_NS0_5tupleIJPjSE_EEENSF_IJSE_SE_EEES9_SG_JZNS1_25segmented_radix_sort_implINS0_14default_configELb1EPKaPaPKlPlN2at6native12_GLOBAL__N_18offset_tEEE10hipError_tPvRmT1_PNSt15iterator_traitsISY_E10value_typeET2_T3_PNSZ_IS14_E10value_typeET4_jRbjT5_S1A_jjP12ihipStream_tbEUljE_EEESV_SW_SX_S14_S18_S1A_T6_T7_T9_mT8_S1C_bDpT10_ENKUlT_T0_E_clISt17integral_constantIbLb0EES1O_IbLb1EEEEDaS1K_S1L_EUlS1K_E_NS1_11comp_targetILNS1_3genE3ELNS1_11target_archE908ELNS1_3gpuE7ELNS1_3repE0EEENS1_30default_config_static_selectorELNS0_4arch9wavefront6targetE1EEEvSY_.kd
    .uniform_work_group_size: 1
    .uses_dynamic_stack: false
    .vgpr_count:     0
    .vgpr_spill_count: 0
    .wavefront_size: 64
  - .args:
      - .offset:         0
        .size:           152
        .value_kind:     by_value
    .group_segment_fixed_size: 13320
    .kernarg_segment_align: 8
    .kernarg_segment_size: 152
    .language:       OpenCL C
    .language_version:
      - 2
      - 0
    .max_flat_workgroup_size: 256
    .name:           _ZN7rocprim17ROCPRIM_400000_NS6detail17trampoline_kernelINS0_13select_configILj256ELj13ELNS0_17block_load_methodE3ELS4_3ELS4_3ELNS0_20block_scan_algorithmE0ELj4294967295EEENS1_25partition_config_selectorILNS1_17partition_subalgoE3EjNS0_10empty_typeEbEEZZNS1_14partition_implILS8_3ELb0ES6_jNS0_17counting_iteratorIjlEEPS9_SE_NS0_5tupleIJPjSE_EEENSF_IJSE_SE_EEES9_SG_JZNS1_25segmented_radix_sort_implINS0_14default_configELb1EPKaPaPKlPlN2at6native12_GLOBAL__N_18offset_tEEE10hipError_tPvRmT1_PNSt15iterator_traitsISY_E10value_typeET2_T3_PNSZ_IS14_E10value_typeET4_jRbjT5_S1A_jjP12ihipStream_tbEUljE_EEESV_SW_SX_S14_S18_S1A_T6_T7_T9_mT8_S1C_bDpT10_ENKUlT_T0_E_clISt17integral_constantIbLb0EES1O_IbLb1EEEEDaS1K_S1L_EUlS1K_E_NS1_11comp_targetILNS1_3genE2ELNS1_11target_archE906ELNS1_3gpuE6ELNS1_3repE0EEENS1_30default_config_static_selectorELNS0_4arch9wavefront6targetE1EEEvSY_
    .private_segment_fixed_size: 0
    .sgpr_count:     50
    .sgpr_spill_count: 0
    .symbol:         _ZN7rocprim17ROCPRIM_400000_NS6detail17trampoline_kernelINS0_13select_configILj256ELj13ELNS0_17block_load_methodE3ELS4_3ELS4_3ELNS0_20block_scan_algorithmE0ELj4294967295EEENS1_25partition_config_selectorILNS1_17partition_subalgoE3EjNS0_10empty_typeEbEEZZNS1_14partition_implILS8_3ELb0ES6_jNS0_17counting_iteratorIjlEEPS9_SE_NS0_5tupleIJPjSE_EEENSF_IJSE_SE_EEES9_SG_JZNS1_25segmented_radix_sort_implINS0_14default_configELb1EPKaPaPKlPlN2at6native12_GLOBAL__N_18offset_tEEE10hipError_tPvRmT1_PNSt15iterator_traitsISY_E10value_typeET2_T3_PNSZ_IS14_E10value_typeET4_jRbjT5_S1A_jjP12ihipStream_tbEUljE_EEESV_SW_SX_S14_S18_S1A_T6_T7_T9_mT8_S1C_bDpT10_ENKUlT_T0_E_clISt17integral_constantIbLb0EES1O_IbLb1EEEEDaS1K_S1L_EUlS1K_E_NS1_11comp_targetILNS1_3genE2ELNS1_11target_archE906ELNS1_3gpuE6ELNS1_3repE0EEENS1_30default_config_static_selectorELNS0_4arch9wavefront6targetE1EEEvSY_.kd
    .uniform_work_group_size: 1
    .uses_dynamic_stack: false
    .vgpr_count:     71
    .vgpr_spill_count: 0
    .wavefront_size: 64
  - .args:
      - .offset:         0
        .size:           152
        .value_kind:     by_value
    .group_segment_fixed_size: 0
    .kernarg_segment_align: 8
    .kernarg_segment_size: 152
    .language:       OpenCL C
    .language_version:
      - 2
      - 0
    .max_flat_workgroup_size: 256
    .name:           _ZN7rocprim17ROCPRIM_400000_NS6detail17trampoline_kernelINS0_13select_configILj256ELj13ELNS0_17block_load_methodE3ELS4_3ELS4_3ELNS0_20block_scan_algorithmE0ELj4294967295EEENS1_25partition_config_selectorILNS1_17partition_subalgoE3EjNS0_10empty_typeEbEEZZNS1_14partition_implILS8_3ELb0ES6_jNS0_17counting_iteratorIjlEEPS9_SE_NS0_5tupleIJPjSE_EEENSF_IJSE_SE_EEES9_SG_JZNS1_25segmented_radix_sort_implINS0_14default_configELb1EPKaPaPKlPlN2at6native12_GLOBAL__N_18offset_tEEE10hipError_tPvRmT1_PNSt15iterator_traitsISY_E10value_typeET2_T3_PNSZ_IS14_E10value_typeET4_jRbjT5_S1A_jjP12ihipStream_tbEUljE_EEESV_SW_SX_S14_S18_S1A_T6_T7_T9_mT8_S1C_bDpT10_ENKUlT_T0_E_clISt17integral_constantIbLb0EES1O_IbLb1EEEEDaS1K_S1L_EUlS1K_E_NS1_11comp_targetILNS1_3genE10ELNS1_11target_archE1200ELNS1_3gpuE4ELNS1_3repE0EEENS1_30default_config_static_selectorELNS0_4arch9wavefront6targetE1EEEvSY_
    .private_segment_fixed_size: 0
    .sgpr_count:     4
    .sgpr_spill_count: 0
    .symbol:         _ZN7rocprim17ROCPRIM_400000_NS6detail17trampoline_kernelINS0_13select_configILj256ELj13ELNS0_17block_load_methodE3ELS4_3ELS4_3ELNS0_20block_scan_algorithmE0ELj4294967295EEENS1_25partition_config_selectorILNS1_17partition_subalgoE3EjNS0_10empty_typeEbEEZZNS1_14partition_implILS8_3ELb0ES6_jNS0_17counting_iteratorIjlEEPS9_SE_NS0_5tupleIJPjSE_EEENSF_IJSE_SE_EEES9_SG_JZNS1_25segmented_radix_sort_implINS0_14default_configELb1EPKaPaPKlPlN2at6native12_GLOBAL__N_18offset_tEEE10hipError_tPvRmT1_PNSt15iterator_traitsISY_E10value_typeET2_T3_PNSZ_IS14_E10value_typeET4_jRbjT5_S1A_jjP12ihipStream_tbEUljE_EEESV_SW_SX_S14_S18_S1A_T6_T7_T9_mT8_S1C_bDpT10_ENKUlT_T0_E_clISt17integral_constantIbLb0EES1O_IbLb1EEEEDaS1K_S1L_EUlS1K_E_NS1_11comp_targetILNS1_3genE10ELNS1_11target_archE1200ELNS1_3gpuE4ELNS1_3repE0EEENS1_30default_config_static_selectorELNS0_4arch9wavefront6targetE1EEEvSY_.kd
    .uniform_work_group_size: 1
    .uses_dynamic_stack: false
    .vgpr_count:     0
    .vgpr_spill_count: 0
    .wavefront_size: 64
  - .args:
      - .offset:         0
        .size:           152
        .value_kind:     by_value
    .group_segment_fixed_size: 0
    .kernarg_segment_align: 8
    .kernarg_segment_size: 152
    .language:       OpenCL C
    .language_version:
      - 2
      - 0
    .max_flat_workgroup_size: 256
    .name:           _ZN7rocprim17ROCPRIM_400000_NS6detail17trampoline_kernelINS0_13select_configILj256ELj13ELNS0_17block_load_methodE3ELS4_3ELS4_3ELNS0_20block_scan_algorithmE0ELj4294967295EEENS1_25partition_config_selectorILNS1_17partition_subalgoE3EjNS0_10empty_typeEbEEZZNS1_14partition_implILS8_3ELb0ES6_jNS0_17counting_iteratorIjlEEPS9_SE_NS0_5tupleIJPjSE_EEENSF_IJSE_SE_EEES9_SG_JZNS1_25segmented_radix_sort_implINS0_14default_configELb1EPKaPaPKlPlN2at6native12_GLOBAL__N_18offset_tEEE10hipError_tPvRmT1_PNSt15iterator_traitsISY_E10value_typeET2_T3_PNSZ_IS14_E10value_typeET4_jRbjT5_S1A_jjP12ihipStream_tbEUljE_EEESV_SW_SX_S14_S18_S1A_T6_T7_T9_mT8_S1C_bDpT10_ENKUlT_T0_E_clISt17integral_constantIbLb0EES1O_IbLb1EEEEDaS1K_S1L_EUlS1K_E_NS1_11comp_targetILNS1_3genE9ELNS1_11target_archE1100ELNS1_3gpuE3ELNS1_3repE0EEENS1_30default_config_static_selectorELNS0_4arch9wavefront6targetE1EEEvSY_
    .private_segment_fixed_size: 0
    .sgpr_count:     4
    .sgpr_spill_count: 0
    .symbol:         _ZN7rocprim17ROCPRIM_400000_NS6detail17trampoline_kernelINS0_13select_configILj256ELj13ELNS0_17block_load_methodE3ELS4_3ELS4_3ELNS0_20block_scan_algorithmE0ELj4294967295EEENS1_25partition_config_selectorILNS1_17partition_subalgoE3EjNS0_10empty_typeEbEEZZNS1_14partition_implILS8_3ELb0ES6_jNS0_17counting_iteratorIjlEEPS9_SE_NS0_5tupleIJPjSE_EEENSF_IJSE_SE_EEES9_SG_JZNS1_25segmented_radix_sort_implINS0_14default_configELb1EPKaPaPKlPlN2at6native12_GLOBAL__N_18offset_tEEE10hipError_tPvRmT1_PNSt15iterator_traitsISY_E10value_typeET2_T3_PNSZ_IS14_E10value_typeET4_jRbjT5_S1A_jjP12ihipStream_tbEUljE_EEESV_SW_SX_S14_S18_S1A_T6_T7_T9_mT8_S1C_bDpT10_ENKUlT_T0_E_clISt17integral_constantIbLb0EES1O_IbLb1EEEEDaS1K_S1L_EUlS1K_E_NS1_11comp_targetILNS1_3genE9ELNS1_11target_archE1100ELNS1_3gpuE3ELNS1_3repE0EEENS1_30default_config_static_selectorELNS0_4arch9wavefront6targetE1EEEvSY_.kd
    .uniform_work_group_size: 1
    .uses_dynamic_stack: false
    .vgpr_count:     0
    .vgpr_spill_count: 0
    .wavefront_size: 64
  - .args:
      - .offset:         0
        .size:           152
        .value_kind:     by_value
    .group_segment_fixed_size: 0
    .kernarg_segment_align: 8
    .kernarg_segment_size: 152
    .language:       OpenCL C
    .language_version:
      - 2
      - 0
    .max_flat_workgroup_size: 256
    .name:           _ZN7rocprim17ROCPRIM_400000_NS6detail17trampoline_kernelINS0_13select_configILj256ELj13ELNS0_17block_load_methodE3ELS4_3ELS4_3ELNS0_20block_scan_algorithmE0ELj4294967295EEENS1_25partition_config_selectorILNS1_17partition_subalgoE3EjNS0_10empty_typeEbEEZZNS1_14partition_implILS8_3ELb0ES6_jNS0_17counting_iteratorIjlEEPS9_SE_NS0_5tupleIJPjSE_EEENSF_IJSE_SE_EEES9_SG_JZNS1_25segmented_radix_sort_implINS0_14default_configELb1EPKaPaPKlPlN2at6native12_GLOBAL__N_18offset_tEEE10hipError_tPvRmT1_PNSt15iterator_traitsISY_E10value_typeET2_T3_PNSZ_IS14_E10value_typeET4_jRbjT5_S1A_jjP12ihipStream_tbEUljE_EEESV_SW_SX_S14_S18_S1A_T6_T7_T9_mT8_S1C_bDpT10_ENKUlT_T0_E_clISt17integral_constantIbLb0EES1O_IbLb1EEEEDaS1K_S1L_EUlS1K_E_NS1_11comp_targetILNS1_3genE8ELNS1_11target_archE1030ELNS1_3gpuE2ELNS1_3repE0EEENS1_30default_config_static_selectorELNS0_4arch9wavefront6targetE1EEEvSY_
    .private_segment_fixed_size: 0
    .sgpr_count:     4
    .sgpr_spill_count: 0
    .symbol:         _ZN7rocprim17ROCPRIM_400000_NS6detail17trampoline_kernelINS0_13select_configILj256ELj13ELNS0_17block_load_methodE3ELS4_3ELS4_3ELNS0_20block_scan_algorithmE0ELj4294967295EEENS1_25partition_config_selectorILNS1_17partition_subalgoE3EjNS0_10empty_typeEbEEZZNS1_14partition_implILS8_3ELb0ES6_jNS0_17counting_iteratorIjlEEPS9_SE_NS0_5tupleIJPjSE_EEENSF_IJSE_SE_EEES9_SG_JZNS1_25segmented_radix_sort_implINS0_14default_configELb1EPKaPaPKlPlN2at6native12_GLOBAL__N_18offset_tEEE10hipError_tPvRmT1_PNSt15iterator_traitsISY_E10value_typeET2_T3_PNSZ_IS14_E10value_typeET4_jRbjT5_S1A_jjP12ihipStream_tbEUljE_EEESV_SW_SX_S14_S18_S1A_T6_T7_T9_mT8_S1C_bDpT10_ENKUlT_T0_E_clISt17integral_constantIbLb0EES1O_IbLb1EEEEDaS1K_S1L_EUlS1K_E_NS1_11comp_targetILNS1_3genE8ELNS1_11target_archE1030ELNS1_3gpuE2ELNS1_3repE0EEENS1_30default_config_static_selectorELNS0_4arch9wavefront6targetE1EEEvSY_.kd
    .uniform_work_group_size: 1
    .uses_dynamic_stack: false
    .vgpr_count:     0
    .vgpr_spill_count: 0
    .wavefront_size: 64
  - .args:
      - .offset:         0
        .size:           96
        .value_kind:     by_value
    .group_segment_fixed_size: 0
    .kernarg_segment_align: 8
    .kernarg_segment_size: 96
    .language:       OpenCL C
    .language_version:
      - 2
      - 0
    .max_flat_workgroup_size: 256
    .name:           _ZN7rocprim17ROCPRIM_400000_NS6detail17trampoline_kernelINS0_14default_configENS1_36segmented_radix_sort_config_selectorIalEEZNS1_25segmented_radix_sort_implIS3_Lb1EPKaPaPKlPlN2at6native12_GLOBAL__N_18offset_tEEE10hipError_tPvRmT1_PNSt15iterator_traitsISK_E10value_typeET2_T3_PNSL_ISQ_E10value_typeET4_jRbjT5_SW_jjP12ihipStream_tbEUlT_E_NS1_11comp_targetILNS1_3genE0ELNS1_11target_archE4294967295ELNS1_3gpuE0ELNS1_3repE0EEENS1_30default_config_static_selectorELNS0_4arch9wavefront6targetE1EEEvSK_
    .private_segment_fixed_size: 0
    .sgpr_count:     4
    .sgpr_spill_count: 0
    .symbol:         _ZN7rocprim17ROCPRIM_400000_NS6detail17trampoline_kernelINS0_14default_configENS1_36segmented_radix_sort_config_selectorIalEEZNS1_25segmented_radix_sort_implIS3_Lb1EPKaPaPKlPlN2at6native12_GLOBAL__N_18offset_tEEE10hipError_tPvRmT1_PNSt15iterator_traitsISK_E10value_typeET2_T3_PNSL_ISQ_E10value_typeET4_jRbjT5_SW_jjP12ihipStream_tbEUlT_E_NS1_11comp_targetILNS1_3genE0ELNS1_11target_archE4294967295ELNS1_3gpuE0ELNS1_3repE0EEENS1_30default_config_static_selectorELNS0_4arch9wavefront6targetE1EEEvSK_.kd
    .uniform_work_group_size: 1
    .uses_dynamic_stack: false
    .vgpr_count:     0
    .vgpr_spill_count: 0
    .wavefront_size: 64
  - .args:
      - .offset:         0
        .size:           96
        .value_kind:     by_value
    .group_segment_fixed_size: 0
    .kernarg_segment_align: 8
    .kernarg_segment_size: 96
    .language:       OpenCL C
    .language_version:
      - 2
      - 0
    .max_flat_workgroup_size: 256
    .name:           _ZN7rocprim17ROCPRIM_400000_NS6detail17trampoline_kernelINS0_14default_configENS1_36segmented_radix_sort_config_selectorIalEEZNS1_25segmented_radix_sort_implIS3_Lb1EPKaPaPKlPlN2at6native12_GLOBAL__N_18offset_tEEE10hipError_tPvRmT1_PNSt15iterator_traitsISK_E10value_typeET2_T3_PNSL_ISQ_E10value_typeET4_jRbjT5_SW_jjP12ihipStream_tbEUlT_E_NS1_11comp_targetILNS1_3genE5ELNS1_11target_archE942ELNS1_3gpuE9ELNS1_3repE0EEENS1_30default_config_static_selectorELNS0_4arch9wavefront6targetE1EEEvSK_
    .private_segment_fixed_size: 0
    .sgpr_count:     4
    .sgpr_spill_count: 0
    .symbol:         _ZN7rocprim17ROCPRIM_400000_NS6detail17trampoline_kernelINS0_14default_configENS1_36segmented_radix_sort_config_selectorIalEEZNS1_25segmented_radix_sort_implIS3_Lb1EPKaPaPKlPlN2at6native12_GLOBAL__N_18offset_tEEE10hipError_tPvRmT1_PNSt15iterator_traitsISK_E10value_typeET2_T3_PNSL_ISQ_E10value_typeET4_jRbjT5_SW_jjP12ihipStream_tbEUlT_E_NS1_11comp_targetILNS1_3genE5ELNS1_11target_archE942ELNS1_3gpuE9ELNS1_3repE0EEENS1_30default_config_static_selectorELNS0_4arch9wavefront6targetE1EEEvSK_.kd
    .uniform_work_group_size: 1
    .uses_dynamic_stack: false
    .vgpr_count:     0
    .vgpr_spill_count: 0
    .wavefront_size: 64
  - .args:
      - .offset:         0
        .size:           96
        .value_kind:     by_value
    .group_segment_fixed_size: 0
    .kernarg_segment_align: 8
    .kernarg_segment_size: 96
    .language:       OpenCL C
    .language_version:
      - 2
      - 0
    .max_flat_workgroup_size: 256
    .name:           _ZN7rocprim17ROCPRIM_400000_NS6detail17trampoline_kernelINS0_14default_configENS1_36segmented_radix_sort_config_selectorIalEEZNS1_25segmented_radix_sort_implIS3_Lb1EPKaPaPKlPlN2at6native12_GLOBAL__N_18offset_tEEE10hipError_tPvRmT1_PNSt15iterator_traitsISK_E10value_typeET2_T3_PNSL_ISQ_E10value_typeET4_jRbjT5_SW_jjP12ihipStream_tbEUlT_E_NS1_11comp_targetILNS1_3genE4ELNS1_11target_archE910ELNS1_3gpuE8ELNS1_3repE0EEENS1_30default_config_static_selectorELNS0_4arch9wavefront6targetE1EEEvSK_
    .private_segment_fixed_size: 0
    .sgpr_count:     4
    .sgpr_spill_count: 0
    .symbol:         _ZN7rocprim17ROCPRIM_400000_NS6detail17trampoline_kernelINS0_14default_configENS1_36segmented_radix_sort_config_selectorIalEEZNS1_25segmented_radix_sort_implIS3_Lb1EPKaPaPKlPlN2at6native12_GLOBAL__N_18offset_tEEE10hipError_tPvRmT1_PNSt15iterator_traitsISK_E10value_typeET2_T3_PNSL_ISQ_E10value_typeET4_jRbjT5_SW_jjP12ihipStream_tbEUlT_E_NS1_11comp_targetILNS1_3genE4ELNS1_11target_archE910ELNS1_3gpuE8ELNS1_3repE0EEENS1_30default_config_static_selectorELNS0_4arch9wavefront6targetE1EEEvSK_.kd
    .uniform_work_group_size: 1
    .uses_dynamic_stack: false
    .vgpr_count:     0
    .vgpr_spill_count: 0
    .wavefront_size: 64
  - .args:
      - .offset:         0
        .size:           96
        .value_kind:     by_value
    .group_segment_fixed_size: 0
    .kernarg_segment_align: 8
    .kernarg_segment_size: 96
    .language:       OpenCL C
    .language_version:
      - 2
      - 0
    .max_flat_workgroup_size: 256
    .name:           _ZN7rocprim17ROCPRIM_400000_NS6detail17trampoline_kernelINS0_14default_configENS1_36segmented_radix_sort_config_selectorIalEEZNS1_25segmented_radix_sort_implIS3_Lb1EPKaPaPKlPlN2at6native12_GLOBAL__N_18offset_tEEE10hipError_tPvRmT1_PNSt15iterator_traitsISK_E10value_typeET2_T3_PNSL_ISQ_E10value_typeET4_jRbjT5_SW_jjP12ihipStream_tbEUlT_E_NS1_11comp_targetILNS1_3genE3ELNS1_11target_archE908ELNS1_3gpuE7ELNS1_3repE0EEENS1_30default_config_static_selectorELNS0_4arch9wavefront6targetE1EEEvSK_
    .private_segment_fixed_size: 0
    .sgpr_count:     4
    .sgpr_spill_count: 0
    .symbol:         _ZN7rocprim17ROCPRIM_400000_NS6detail17trampoline_kernelINS0_14default_configENS1_36segmented_radix_sort_config_selectorIalEEZNS1_25segmented_radix_sort_implIS3_Lb1EPKaPaPKlPlN2at6native12_GLOBAL__N_18offset_tEEE10hipError_tPvRmT1_PNSt15iterator_traitsISK_E10value_typeET2_T3_PNSL_ISQ_E10value_typeET4_jRbjT5_SW_jjP12ihipStream_tbEUlT_E_NS1_11comp_targetILNS1_3genE3ELNS1_11target_archE908ELNS1_3gpuE7ELNS1_3repE0EEENS1_30default_config_static_selectorELNS0_4arch9wavefront6targetE1EEEvSK_.kd
    .uniform_work_group_size: 1
    .uses_dynamic_stack: false
    .vgpr_count:     0
    .vgpr_spill_count: 0
    .wavefront_size: 64
  - .args:
      - .offset:         0
        .size:           96
        .value_kind:     by_value
      - .offset:         96
        .size:           4
        .value_kind:     hidden_block_count_x
      - .offset:         100
        .size:           4
        .value_kind:     hidden_block_count_y
      - .offset:         104
        .size:           4
        .value_kind:     hidden_block_count_z
      - .offset:         108
        .size:           2
        .value_kind:     hidden_group_size_x
      - .offset:         110
        .size:           2
        .value_kind:     hidden_group_size_y
      - .offset:         112
        .size:           2
        .value_kind:     hidden_group_size_z
      - .offset:         114
        .size:           2
        .value_kind:     hidden_remainder_x
      - .offset:         116
        .size:           2
        .value_kind:     hidden_remainder_y
      - .offset:         118
        .size:           2
        .value_kind:     hidden_remainder_z
      - .offset:         136
        .size:           8
        .value_kind:     hidden_global_offset_x
      - .offset:         144
        .size:           8
        .value_kind:     hidden_global_offset_y
      - .offset:         152
        .size:           8
        .value_kind:     hidden_global_offset_z
      - .offset:         160
        .size:           2
        .value_kind:     hidden_grid_dims
    .group_segment_fixed_size: 9232
    .kernarg_segment_align: 8
    .kernarg_segment_size: 352
    .language:       OpenCL C
    .language_version:
      - 2
      - 0
    .max_flat_workgroup_size: 256
    .name:           _ZN7rocprim17ROCPRIM_400000_NS6detail17trampoline_kernelINS0_14default_configENS1_36segmented_radix_sort_config_selectorIalEEZNS1_25segmented_radix_sort_implIS3_Lb1EPKaPaPKlPlN2at6native12_GLOBAL__N_18offset_tEEE10hipError_tPvRmT1_PNSt15iterator_traitsISK_E10value_typeET2_T3_PNSL_ISQ_E10value_typeET4_jRbjT5_SW_jjP12ihipStream_tbEUlT_E_NS1_11comp_targetILNS1_3genE2ELNS1_11target_archE906ELNS1_3gpuE6ELNS1_3repE0EEENS1_30default_config_static_selectorELNS0_4arch9wavefront6targetE1EEEvSK_
    .private_segment_fixed_size: 0
    .sgpr_count:     80
    .sgpr_spill_count: 0
    .symbol:         _ZN7rocprim17ROCPRIM_400000_NS6detail17trampoline_kernelINS0_14default_configENS1_36segmented_radix_sort_config_selectorIalEEZNS1_25segmented_radix_sort_implIS3_Lb1EPKaPaPKlPlN2at6native12_GLOBAL__N_18offset_tEEE10hipError_tPvRmT1_PNSt15iterator_traitsISK_E10value_typeET2_T3_PNSL_ISQ_E10value_typeET4_jRbjT5_SW_jjP12ihipStream_tbEUlT_E_NS1_11comp_targetILNS1_3genE2ELNS1_11target_archE906ELNS1_3gpuE6ELNS1_3repE0EEENS1_30default_config_static_selectorELNS0_4arch9wavefront6targetE1EEEvSK_.kd
    .uniform_work_group_size: 1
    .uses_dynamic_stack: false
    .vgpr_count:     97
    .vgpr_spill_count: 0
    .wavefront_size: 64
  - .args:
      - .offset:         0
        .size:           96
        .value_kind:     by_value
    .group_segment_fixed_size: 0
    .kernarg_segment_align: 8
    .kernarg_segment_size: 96
    .language:       OpenCL C
    .language_version:
      - 2
      - 0
    .max_flat_workgroup_size: 256
    .name:           _ZN7rocprim17ROCPRIM_400000_NS6detail17trampoline_kernelINS0_14default_configENS1_36segmented_radix_sort_config_selectorIalEEZNS1_25segmented_radix_sort_implIS3_Lb1EPKaPaPKlPlN2at6native12_GLOBAL__N_18offset_tEEE10hipError_tPvRmT1_PNSt15iterator_traitsISK_E10value_typeET2_T3_PNSL_ISQ_E10value_typeET4_jRbjT5_SW_jjP12ihipStream_tbEUlT_E_NS1_11comp_targetILNS1_3genE10ELNS1_11target_archE1201ELNS1_3gpuE5ELNS1_3repE0EEENS1_30default_config_static_selectorELNS0_4arch9wavefront6targetE1EEEvSK_
    .private_segment_fixed_size: 0
    .sgpr_count:     4
    .sgpr_spill_count: 0
    .symbol:         _ZN7rocprim17ROCPRIM_400000_NS6detail17trampoline_kernelINS0_14default_configENS1_36segmented_radix_sort_config_selectorIalEEZNS1_25segmented_radix_sort_implIS3_Lb1EPKaPaPKlPlN2at6native12_GLOBAL__N_18offset_tEEE10hipError_tPvRmT1_PNSt15iterator_traitsISK_E10value_typeET2_T3_PNSL_ISQ_E10value_typeET4_jRbjT5_SW_jjP12ihipStream_tbEUlT_E_NS1_11comp_targetILNS1_3genE10ELNS1_11target_archE1201ELNS1_3gpuE5ELNS1_3repE0EEENS1_30default_config_static_selectorELNS0_4arch9wavefront6targetE1EEEvSK_.kd
    .uniform_work_group_size: 1
    .uses_dynamic_stack: false
    .vgpr_count:     0
    .vgpr_spill_count: 0
    .wavefront_size: 64
  - .args:
      - .offset:         0
        .size:           96
        .value_kind:     by_value
    .group_segment_fixed_size: 0
    .kernarg_segment_align: 8
    .kernarg_segment_size: 96
    .language:       OpenCL C
    .language_version:
      - 2
      - 0
    .max_flat_workgroup_size: 128
    .name:           _ZN7rocprim17ROCPRIM_400000_NS6detail17trampoline_kernelINS0_14default_configENS1_36segmented_radix_sort_config_selectorIalEEZNS1_25segmented_radix_sort_implIS3_Lb1EPKaPaPKlPlN2at6native12_GLOBAL__N_18offset_tEEE10hipError_tPvRmT1_PNSt15iterator_traitsISK_E10value_typeET2_T3_PNSL_ISQ_E10value_typeET4_jRbjT5_SW_jjP12ihipStream_tbEUlT_E_NS1_11comp_targetILNS1_3genE10ELNS1_11target_archE1200ELNS1_3gpuE4ELNS1_3repE0EEENS1_30default_config_static_selectorELNS0_4arch9wavefront6targetE1EEEvSK_
    .private_segment_fixed_size: 0
    .sgpr_count:     4
    .sgpr_spill_count: 0
    .symbol:         _ZN7rocprim17ROCPRIM_400000_NS6detail17trampoline_kernelINS0_14default_configENS1_36segmented_radix_sort_config_selectorIalEEZNS1_25segmented_radix_sort_implIS3_Lb1EPKaPaPKlPlN2at6native12_GLOBAL__N_18offset_tEEE10hipError_tPvRmT1_PNSt15iterator_traitsISK_E10value_typeET2_T3_PNSL_ISQ_E10value_typeET4_jRbjT5_SW_jjP12ihipStream_tbEUlT_E_NS1_11comp_targetILNS1_3genE10ELNS1_11target_archE1200ELNS1_3gpuE4ELNS1_3repE0EEENS1_30default_config_static_selectorELNS0_4arch9wavefront6targetE1EEEvSK_.kd
    .uniform_work_group_size: 1
    .uses_dynamic_stack: false
    .vgpr_count:     0
    .vgpr_spill_count: 0
    .wavefront_size: 64
  - .args:
      - .offset:         0
        .size:           96
        .value_kind:     by_value
    .group_segment_fixed_size: 0
    .kernarg_segment_align: 8
    .kernarg_segment_size: 96
    .language:       OpenCL C
    .language_version:
      - 2
      - 0
    .max_flat_workgroup_size: 256
    .name:           _ZN7rocprim17ROCPRIM_400000_NS6detail17trampoline_kernelINS0_14default_configENS1_36segmented_radix_sort_config_selectorIalEEZNS1_25segmented_radix_sort_implIS3_Lb1EPKaPaPKlPlN2at6native12_GLOBAL__N_18offset_tEEE10hipError_tPvRmT1_PNSt15iterator_traitsISK_E10value_typeET2_T3_PNSL_ISQ_E10value_typeET4_jRbjT5_SW_jjP12ihipStream_tbEUlT_E_NS1_11comp_targetILNS1_3genE9ELNS1_11target_archE1100ELNS1_3gpuE3ELNS1_3repE0EEENS1_30default_config_static_selectorELNS0_4arch9wavefront6targetE1EEEvSK_
    .private_segment_fixed_size: 0
    .sgpr_count:     4
    .sgpr_spill_count: 0
    .symbol:         _ZN7rocprim17ROCPRIM_400000_NS6detail17trampoline_kernelINS0_14default_configENS1_36segmented_radix_sort_config_selectorIalEEZNS1_25segmented_radix_sort_implIS3_Lb1EPKaPaPKlPlN2at6native12_GLOBAL__N_18offset_tEEE10hipError_tPvRmT1_PNSt15iterator_traitsISK_E10value_typeET2_T3_PNSL_ISQ_E10value_typeET4_jRbjT5_SW_jjP12ihipStream_tbEUlT_E_NS1_11comp_targetILNS1_3genE9ELNS1_11target_archE1100ELNS1_3gpuE3ELNS1_3repE0EEENS1_30default_config_static_selectorELNS0_4arch9wavefront6targetE1EEEvSK_.kd
    .uniform_work_group_size: 1
    .uses_dynamic_stack: false
    .vgpr_count:     0
    .vgpr_spill_count: 0
    .wavefront_size: 64
  - .args:
      - .offset:         0
        .size:           96
        .value_kind:     by_value
    .group_segment_fixed_size: 0
    .kernarg_segment_align: 8
    .kernarg_segment_size: 96
    .language:       OpenCL C
    .language_version:
      - 2
      - 0
    .max_flat_workgroup_size: 256
    .name:           _ZN7rocprim17ROCPRIM_400000_NS6detail17trampoline_kernelINS0_14default_configENS1_36segmented_radix_sort_config_selectorIalEEZNS1_25segmented_radix_sort_implIS3_Lb1EPKaPaPKlPlN2at6native12_GLOBAL__N_18offset_tEEE10hipError_tPvRmT1_PNSt15iterator_traitsISK_E10value_typeET2_T3_PNSL_ISQ_E10value_typeET4_jRbjT5_SW_jjP12ihipStream_tbEUlT_E_NS1_11comp_targetILNS1_3genE8ELNS1_11target_archE1030ELNS1_3gpuE2ELNS1_3repE0EEENS1_30default_config_static_selectorELNS0_4arch9wavefront6targetE1EEEvSK_
    .private_segment_fixed_size: 0
    .sgpr_count:     4
    .sgpr_spill_count: 0
    .symbol:         _ZN7rocprim17ROCPRIM_400000_NS6detail17trampoline_kernelINS0_14default_configENS1_36segmented_radix_sort_config_selectorIalEEZNS1_25segmented_radix_sort_implIS3_Lb1EPKaPaPKlPlN2at6native12_GLOBAL__N_18offset_tEEE10hipError_tPvRmT1_PNSt15iterator_traitsISK_E10value_typeET2_T3_PNSL_ISQ_E10value_typeET4_jRbjT5_SW_jjP12ihipStream_tbEUlT_E_NS1_11comp_targetILNS1_3genE8ELNS1_11target_archE1030ELNS1_3gpuE2ELNS1_3repE0EEENS1_30default_config_static_selectorELNS0_4arch9wavefront6targetE1EEEvSK_.kd
    .uniform_work_group_size: 1
    .uses_dynamic_stack: false
    .vgpr_count:     0
    .vgpr_spill_count: 0
    .wavefront_size: 64
  - .args:
      - .offset:         0
        .size:           88
        .value_kind:     by_value
    .group_segment_fixed_size: 0
    .kernarg_segment_align: 8
    .kernarg_segment_size: 88
    .language:       OpenCL C
    .language_version:
      - 2
      - 0
    .max_flat_workgroup_size: 256
    .name:           _ZN7rocprim17ROCPRIM_400000_NS6detail17trampoline_kernelINS0_14default_configENS1_36segmented_radix_sort_config_selectorIalEEZNS1_25segmented_radix_sort_implIS3_Lb1EPKaPaPKlPlN2at6native12_GLOBAL__N_18offset_tEEE10hipError_tPvRmT1_PNSt15iterator_traitsISK_E10value_typeET2_T3_PNSL_ISQ_E10value_typeET4_jRbjT5_SW_jjP12ihipStream_tbEUlT_E0_NS1_11comp_targetILNS1_3genE0ELNS1_11target_archE4294967295ELNS1_3gpuE0ELNS1_3repE0EEENS1_60segmented_radix_sort_warp_sort_medium_config_static_selectorELNS0_4arch9wavefront6targetE1EEEvSK_
    .private_segment_fixed_size: 0
    .sgpr_count:     4
    .sgpr_spill_count: 0
    .symbol:         _ZN7rocprim17ROCPRIM_400000_NS6detail17trampoline_kernelINS0_14default_configENS1_36segmented_radix_sort_config_selectorIalEEZNS1_25segmented_radix_sort_implIS3_Lb1EPKaPaPKlPlN2at6native12_GLOBAL__N_18offset_tEEE10hipError_tPvRmT1_PNSt15iterator_traitsISK_E10value_typeET2_T3_PNSL_ISQ_E10value_typeET4_jRbjT5_SW_jjP12ihipStream_tbEUlT_E0_NS1_11comp_targetILNS1_3genE0ELNS1_11target_archE4294967295ELNS1_3gpuE0ELNS1_3repE0EEENS1_60segmented_radix_sort_warp_sort_medium_config_static_selectorELNS0_4arch9wavefront6targetE1EEEvSK_.kd
    .uniform_work_group_size: 1
    .uses_dynamic_stack: false
    .vgpr_count:     0
    .vgpr_spill_count: 0
    .wavefront_size: 64
  - .args:
      - .offset:         0
        .size:           88
        .value_kind:     by_value
    .group_segment_fixed_size: 0
    .kernarg_segment_align: 8
    .kernarg_segment_size: 88
    .language:       OpenCL C
    .language_version:
      - 2
      - 0
    .max_flat_workgroup_size: 256
    .name:           _ZN7rocprim17ROCPRIM_400000_NS6detail17trampoline_kernelINS0_14default_configENS1_36segmented_radix_sort_config_selectorIalEEZNS1_25segmented_radix_sort_implIS3_Lb1EPKaPaPKlPlN2at6native12_GLOBAL__N_18offset_tEEE10hipError_tPvRmT1_PNSt15iterator_traitsISK_E10value_typeET2_T3_PNSL_ISQ_E10value_typeET4_jRbjT5_SW_jjP12ihipStream_tbEUlT_E0_NS1_11comp_targetILNS1_3genE5ELNS1_11target_archE942ELNS1_3gpuE9ELNS1_3repE0EEENS1_60segmented_radix_sort_warp_sort_medium_config_static_selectorELNS0_4arch9wavefront6targetE1EEEvSK_
    .private_segment_fixed_size: 0
    .sgpr_count:     4
    .sgpr_spill_count: 0
    .symbol:         _ZN7rocprim17ROCPRIM_400000_NS6detail17trampoline_kernelINS0_14default_configENS1_36segmented_radix_sort_config_selectorIalEEZNS1_25segmented_radix_sort_implIS3_Lb1EPKaPaPKlPlN2at6native12_GLOBAL__N_18offset_tEEE10hipError_tPvRmT1_PNSt15iterator_traitsISK_E10value_typeET2_T3_PNSL_ISQ_E10value_typeET4_jRbjT5_SW_jjP12ihipStream_tbEUlT_E0_NS1_11comp_targetILNS1_3genE5ELNS1_11target_archE942ELNS1_3gpuE9ELNS1_3repE0EEENS1_60segmented_radix_sort_warp_sort_medium_config_static_selectorELNS0_4arch9wavefront6targetE1EEEvSK_.kd
    .uniform_work_group_size: 1
    .uses_dynamic_stack: false
    .vgpr_count:     0
    .vgpr_spill_count: 0
    .wavefront_size: 64
  - .args:
      - .offset:         0
        .size:           88
        .value_kind:     by_value
    .group_segment_fixed_size: 0
    .kernarg_segment_align: 8
    .kernarg_segment_size: 88
    .language:       OpenCL C
    .language_version:
      - 2
      - 0
    .max_flat_workgroup_size: 256
    .name:           _ZN7rocprim17ROCPRIM_400000_NS6detail17trampoline_kernelINS0_14default_configENS1_36segmented_radix_sort_config_selectorIalEEZNS1_25segmented_radix_sort_implIS3_Lb1EPKaPaPKlPlN2at6native12_GLOBAL__N_18offset_tEEE10hipError_tPvRmT1_PNSt15iterator_traitsISK_E10value_typeET2_T3_PNSL_ISQ_E10value_typeET4_jRbjT5_SW_jjP12ihipStream_tbEUlT_E0_NS1_11comp_targetILNS1_3genE4ELNS1_11target_archE910ELNS1_3gpuE8ELNS1_3repE0EEENS1_60segmented_radix_sort_warp_sort_medium_config_static_selectorELNS0_4arch9wavefront6targetE1EEEvSK_
    .private_segment_fixed_size: 0
    .sgpr_count:     4
    .sgpr_spill_count: 0
    .symbol:         _ZN7rocprim17ROCPRIM_400000_NS6detail17trampoline_kernelINS0_14default_configENS1_36segmented_radix_sort_config_selectorIalEEZNS1_25segmented_radix_sort_implIS3_Lb1EPKaPaPKlPlN2at6native12_GLOBAL__N_18offset_tEEE10hipError_tPvRmT1_PNSt15iterator_traitsISK_E10value_typeET2_T3_PNSL_ISQ_E10value_typeET4_jRbjT5_SW_jjP12ihipStream_tbEUlT_E0_NS1_11comp_targetILNS1_3genE4ELNS1_11target_archE910ELNS1_3gpuE8ELNS1_3repE0EEENS1_60segmented_radix_sort_warp_sort_medium_config_static_selectorELNS0_4arch9wavefront6targetE1EEEvSK_.kd
    .uniform_work_group_size: 1
    .uses_dynamic_stack: false
    .vgpr_count:     0
    .vgpr_spill_count: 0
    .wavefront_size: 64
  - .args:
      - .offset:         0
        .size:           88
        .value_kind:     by_value
    .group_segment_fixed_size: 0
    .kernarg_segment_align: 8
    .kernarg_segment_size: 88
    .language:       OpenCL C
    .language_version:
      - 2
      - 0
    .max_flat_workgroup_size: 256
    .name:           _ZN7rocprim17ROCPRIM_400000_NS6detail17trampoline_kernelINS0_14default_configENS1_36segmented_radix_sort_config_selectorIalEEZNS1_25segmented_radix_sort_implIS3_Lb1EPKaPaPKlPlN2at6native12_GLOBAL__N_18offset_tEEE10hipError_tPvRmT1_PNSt15iterator_traitsISK_E10value_typeET2_T3_PNSL_ISQ_E10value_typeET4_jRbjT5_SW_jjP12ihipStream_tbEUlT_E0_NS1_11comp_targetILNS1_3genE3ELNS1_11target_archE908ELNS1_3gpuE7ELNS1_3repE0EEENS1_60segmented_radix_sort_warp_sort_medium_config_static_selectorELNS0_4arch9wavefront6targetE1EEEvSK_
    .private_segment_fixed_size: 0
    .sgpr_count:     4
    .sgpr_spill_count: 0
    .symbol:         _ZN7rocprim17ROCPRIM_400000_NS6detail17trampoline_kernelINS0_14default_configENS1_36segmented_radix_sort_config_selectorIalEEZNS1_25segmented_radix_sort_implIS3_Lb1EPKaPaPKlPlN2at6native12_GLOBAL__N_18offset_tEEE10hipError_tPvRmT1_PNSt15iterator_traitsISK_E10value_typeET2_T3_PNSL_ISQ_E10value_typeET4_jRbjT5_SW_jjP12ihipStream_tbEUlT_E0_NS1_11comp_targetILNS1_3genE3ELNS1_11target_archE908ELNS1_3gpuE7ELNS1_3repE0EEENS1_60segmented_radix_sort_warp_sort_medium_config_static_selectorELNS0_4arch9wavefront6targetE1EEEvSK_.kd
    .uniform_work_group_size: 1
    .uses_dynamic_stack: false
    .vgpr_count:     0
    .vgpr_spill_count: 0
    .wavefront_size: 64
  - .args:
      - .offset:         0
        .size:           88
        .value_kind:     by_value
      - .offset:         88
        .size:           4
        .value_kind:     hidden_block_count_x
      - .offset:         92
        .size:           4
        .value_kind:     hidden_block_count_y
      - .offset:         96
        .size:           4
        .value_kind:     hidden_block_count_z
      - .offset:         100
        .size:           2
        .value_kind:     hidden_group_size_x
      - .offset:         102
        .size:           2
        .value_kind:     hidden_group_size_y
      - .offset:         104
        .size:           2
        .value_kind:     hidden_group_size_z
      - .offset:         106
        .size:           2
        .value_kind:     hidden_remainder_x
      - .offset:         108
        .size:           2
        .value_kind:     hidden_remainder_y
      - .offset:         110
        .size:           2
        .value_kind:     hidden_remainder_z
      - .offset:         128
        .size:           8
        .value_kind:     hidden_global_offset_x
      - .offset:         136
        .size:           8
        .value_kind:     hidden_global_offset_y
      - .offset:         144
        .size:           8
        .value_kind:     hidden_global_offset_z
      - .offset:         152
        .size:           2
        .value_kind:     hidden_grid_dims
    .group_segment_fixed_size: 18432
    .kernarg_segment_align: 8
    .kernarg_segment_size: 344
    .language:       OpenCL C
    .language_version:
      - 2
      - 0
    .max_flat_workgroup_size: 256
    .name:           _ZN7rocprim17ROCPRIM_400000_NS6detail17trampoline_kernelINS0_14default_configENS1_36segmented_radix_sort_config_selectorIalEEZNS1_25segmented_radix_sort_implIS3_Lb1EPKaPaPKlPlN2at6native12_GLOBAL__N_18offset_tEEE10hipError_tPvRmT1_PNSt15iterator_traitsISK_E10value_typeET2_T3_PNSL_ISQ_E10value_typeET4_jRbjT5_SW_jjP12ihipStream_tbEUlT_E0_NS1_11comp_targetILNS1_3genE2ELNS1_11target_archE906ELNS1_3gpuE6ELNS1_3repE0EEENS1_60segmented_radix_sort_warp_sort_medium_config_static_selectorELNS0_4arch9wavefront6targetE1EEEvSK_
    .private_segment_fixed_size: 0
    .sgpr_count:     66
    .sgpr_spill_count: 0
    .symbol:         _ZN7rocprim17ROCPRIM_400000_NS6detail17trampoline_kernelINS0_14default_configENS1_36segmented_radix_sort_config_selectorIalEEZNS1_25segmented_radix_sort_implIS3_Lb1EPKaPaPKlPlN2at6native12_GLOBAL__N_18offset_tEEE10hipError_tPvRmT1_PNSt15iterator_traitsISK_E10value_typeET2_T3_PNSL_ISQ_E10value_typeET4_jRbjT5_SW_jjP12ihipStream_tbEUlT_E0_NS1_11comp_targetILNS1_3genE2ELNS1_11target_archE906ELNS1_3gpuE6ELNS1_3repE0EEENS1_60segmented_radix_sort_warp_sort_medium_config_static_selectorELNS0_4arch9wavefront6targetE1EEEvSK_.kd
    .uniform_work_group_size: 1
    .uses_dynamic_stack: false
    .vgpr_count:     68
    .vgpr_spill_count: 0
    .wavefront_size: 64
  - .args:
      - .offset:         0
        .size:           88
        .value_kind:     by_value
    .group_segment_fixed_size: 0
    .kernarg_segment_align: 8
    .kernarg_segment_size: 88
    .language:       OpenCL C
    .language_version:
      - 2
      - 0
    .max_flat_workgroup_size: 256
    .name:           _ZN7rocprim17ROCPRIM_400000_NS6detail17trampoline_kernelINS0_14default_configENS1_36segmented_radix_sort_config_selectorIalEEZNS1_25segmented_radix_sort_implIS3_Lb1EPKaPaPKlPlN2at6native12_GLOBAL__N_18offset_tEEE10hipError_tPvRmT1_PNSt15iterator_traitsISK_E10value_typeET2_T3_PNSL_ISQ_E10value_typeET4_jRbjT5_SW_jjP12ihipStream_tbEUlT_E0_NS1_11comp_targetILNS1_3genE10ELNS1_11target_archE1201ELNS1_3gpuE5ELNS1_3repE0EEENS1_60segmented_radix_sort_warp_sort_medium_config_static_selectorELNS0_4arch9wavefront6targetE1EEEvSK_
    .private_segment_fixed_size: 0
    .sgpr_count:     4
    .sgpr_spill_count: 0
    .symbol:         _ZN7rocprim17ROCPRIM_400000_NS6detail17trampoline_kernelINS0_14default_configENS1_36segmented_radix_sort_config_selectorIalEEZNS1_25segmented_radix_sort_implIS3_Lb1EPKaPaPKlPlN2at6native12_GLOBAL__N_18offset_tEEE10hipError_tPvRmT1_PNSt15iterator_traitsISK_E10value_typeET2_T3_PNSL_ISQ_E10value_typeET4_jRbjT5_SW_jjP12ihipStream_tbEUlT_E0_NS1_11comp_targetILNS1_3genE10ELNS1_11target_archE1201ELNS1_3gpuE5ELNS1_3repE0EEENS1_60segmented_radix_sort_warp_sort_medium_config_static_selectorELNS0_4arch9wavefront6targetE1EEEvSK_.kd
    .uniform_work_group_size: 1
    .uses_dynamic_stack: false
    .vgpr_count:     0
    .vgpr_spill_count: 0
    .wavefront_size: 64
  - .args:
      - .offset:         0
        .size:           88
        .value_kind:     by_value
    .group_segment_fixed_size: 0
    .kernarg_segment_align: 8
    .kernarg_segment_size: 88
    .language:       OpenCL C
    .language_version:
      - 2
      - 0
    .max_flat_workgroup_size: 256
    .name:           _ZN7rocprim17ROCPRIM_400000_NS6detail17trampoline_kernelINS0_14default_configENS1_36segmented_radix_sort_config_selectorIalEEZNS1_25segmented_radix_sort_implIS3_Lb1EPKaPaPKlPlN2at6native12_GLOBAL__N_18offset_tEEE10hipError_tPvRmT1_PNSt15iterator_traitsISK_E10value_typeET2_T3_PNSL_ISQ_E10value_typeET4_jRbjT5_SW_jjP12ihipStream_tbEUlT_E0_NS1_11comp_targetILNS1_3genE10ELNS1_11target_archE1200ELNS1_3gpuE4ELNS1_3repE0EEENS1_60segmented_radix_sort_warp_sort_medium_config_static_selectorELNS0_4arch9wavefront6targetE1EEEvSK_
    .private_segment_fixed_size: 0
    .sgpr_count:     4
    .sgpr_spill_count: 0
    .symbol:         _ZN7rocprim17ROCPRIM_400000_NS6detail17trampoline_kernelINS0_14default_configENS1_36segmented_radix_sort_config_selectorIalEEZNS1_25segmented_radix_sort_implIS3_Lb1EPKaPaPKlPlN2at6native12_GLOBAL__N_18offset_tEEE10hipError_tPvRmT1_PNSt15iterator_traitsISK_E10value_typeET2_T3_PNSL_ISQ_E10value_typeET4_jRbjT5_SW_jjP12ihipStream_tbEUlT_E0_NS1_11comp_targetILNS1_3genE10ELNS1_11target_archE1200ELNS1_3gpuE4ELNS1_3repE0EEENS1_60segmented_radix_sort_warp_sort_medium_config_static_selectorELNS0_4arch9wavefront6targetE1EEEvSK_.kd
    .uniform_work_group_size: 1
    .uses_dynamic_stack: false
    .vgpr_count:     0
    .vgpr_spill_count: 0
    .wavefront_size: 64
  - .args:
      - .offset:         0
        .size:           88
        .value_kind:     by_value
    .group_segment_fixed_size: 0
    .kernarg_segment_align: 8
    .kernarg_segment_size: 88
    .language:       OpenCL C
    .language_version:
      - 2
      - 0
    .max_flat_workgroup_size: 256
    .name:           _ZN7rocprim17ROCPRIM_400000_NS6detail17trampoline_kernelINS0_14default_configENS1_36segmented_radix_sort_config_selectorIalEEZNS1_25segmented_radix_sort_implIS3_Lb1EPKaPaPKlPlN2at6native12_GLOBAL__N_18offset_tEEE10hipError_tPvRmT1_PNSt15iterator_traitsISK_E10value_typeET2_T3_PNSL_ISQ_E10value_typeET4_jRbjT5_SW_jjP12ihipStream_tbEUlT_E0_NS1_11comp_targetILNS1_3genE9ELNS1_11target_archE1100ELNS1_3gpuE3ELNS1_3repE0EEENS1_60segmented_radix_sort_warp_sort_medium_config_static_selectorELNS0_4arch9wavefront6targetE1EEEvSK_
    .private_segment_fixed_size: 0
    .sgpr_count:     4
    .sgpr_spill_count: 0
    .symbol:         _ZN7rocprim17ROCPRIM_400000_NS6detail17trampoline_kernelINS0_14default_configENS1_36segmented_radix_sort_config_selectorIalEEZNS1_25segmented_radix_sort_implIS3_Lb1EPKaPaPKlPlN2at6native12_GLOBAL__N_18offset_tEEE10hipError_tPvRmT1_PNSt15iterator_traitsISK_E10value_typeET2_T3_PNSL_ISQ_E10value_typeET4_jRbjT5_SW_jjP12ihipStream_tbEUlT_E0_NS1_11comp_targetILNS1_3genE9ELNS1_11target_archE1100ELNS1_3gpuE3ELNS1_3repE0EEENS1_60segmented_radix_sort_warp_sort_medium_config_static_selectorELNS0_4arch9wavefront6targetE1EEEvSK_.kd
    .uniform_work_group_size: 1
    .uses_dynamic_stack: false
    .vgpr_count:     0
    .vgpr_spill_count: 0
    .wavefront_size: 64
  - .args:
      - .offset:         0
        .size:           88
        .value_kind:     by_value
    .group_segment_fixed_size: 0
    .kernarg_segment_align: 8
    .kernarg_segment_size: 88
    .language:       OpenCL C
    .language_version:
      - 2
      - 0
    .max_flat_workgroup_size: 256
    .name:           _ZN7rocprim17ROCPRIM_400000_NS6detail17trampoline_kernelINS0_14default_configENS1_36segmented_radix_sort_config_selectorIalEEZNS1_25segmented_radix_sort_implIS3_Lb1EPKaPaPKlPlN2at6native12_GLOBAL__N_18offset_tEEE10hipError_tPvRmT1_PNSt15iterator_traitsISK_E10value_typeET2_T3_PNSL_ISQ_E10value_typeET4_jRbjT5_SW_jjP12ihipStream_tbEUlT_E0_NS1_11comp_targetILNS1_3genE8ELNS1_11target_archE1030ELNS1_3gpuE2ELNS1_3repE0EEENS1_60segmented_radix_sort_warp_sort_medium_config_static_selectorELNS0_4arch9wavefront6targetE1EEEvSK_
    .private_segment_fixed_size: 0
    .sgpr_count:     4
    .sgpr_spill_count: 0
    .symbol:         _ZN7rocprim17ROCPRIM_400000_NS6detail17trampoline_kernelINS0_14default_configENS1_36segmented_radix_sort_config_selectorIalEEZNS1_25segmented_radix_sort_implIS3_Lb1EPKaPaPKlPlN2at6native12_GLOBAL__N_18offset_tEEE10hipError_tPvRmT1_PNSt15iterator_traitsISK_E10value_typeET2_T3_PNSL_ISQ_E10value_typeET4_jRbjT5_SW_jjP12ihipStream_tbEUlT_E0_NS1_11comp_targetILNS1_3genE8ELNS1_11target_archE1030ELNS1_3gpuE2ELNS1_3repE0EEENS1_60segmented_radix_sort_warp_sort_medium_config_static_selectorELNS0_4arch9wavefront6targetE1EEEvSK_.kd
    .uniform_work_group_size: 1
    .uses_dynamic_stack: false
    .vgpr_count:     0
    .vgpr_spill_count: 0
    .wavefront_size: 64
  - .args:
      - .offset:         0
        .size:           88
        .value_kind:     by_value
    .group_segment_fixed_size: 0
    .kernarg_segment_align: 8
    .kernarg_segment_size: 88
    .language:       OpenCL C
    .language_version:
      - 2
      - 0
    .max_flat_workgroup_size: 256
    .name:           _ZN7rocprim17ROCPRIM_400000_NS6detail17trampoline_kernelINS0_14default_configENS1_36segmented_radix_sort_config_selectorIalEEZNS1_25segmented_radix_sort_implIS3_Lb1EPKaPaPKlPlN2at6native12_GLOBAL__N_18offset_tEEE10hipError_tPvRmT1_PNSt15iterator_traitsISK_E10value_typeET2_T3_PNSL_ISQ_E10value_typeET4_jRbjT5_SW_jjP12ihipStream_tbEUlT_E1_NS1_11comp_targetILNS1_3genE0ELNS1_11target_archE4294967295ELNS1_3gpuE0ELNS1_3repE0EEENS1_59segmented_radix_sort_warp_sort_small_config_static_selectorELNS0_4arch9wavefront6targetE1EEEvSK_
    .private_segment_fixed_size: 0
    .sgpr_count:     4
    .sgpr_spill_count: 0
    .symbol:         _ZN7rocprim17ROCPRIM_400000_NS6detail17trampoline_kernelINS0_14default_configENS1_36segmented_radix_sort_config_selectorIalEEZNS1_25segmented_radix_sort_implIS3_Lb1EPKaPaPKlPlN2at6native12_GLOBAL__N_18offset_tEEE10hipError_tPvRmT1_PNSt15iterator_traitsISK_E10value_typeET2_T3_PNSL_ISQ_E10value_typeET4_jRbjT5_SW_jjP12ihipStream_tbEUlT_E1_NS1_11comp_targetILNS1_3genE0ELNS1_11target_archE4294967295ELNS1_3gpuE0ELNS1_3repE0EEENS1_59segmented_radix_sort_warp_sort_small_config_static_selectorELNS0_4arch9wavefront6targetE1EEEvSK_.kd
    .uniform_work_group_size: 1
    .uses_dynamic_stack: false
    .vgpr_count:     0
    .vgpr_spill_count: 0
    .wavefront_size: 64
  - .args:
      - .offset:         0
        .size:           88
        .value_kind:     by_value
    .group_segment_fixed_size: 0
    .kernarg_segment_align: 8
    .kernarg_segment_size: 88
    .language:       OpenCL C
    .language_version:
      - 2
      - 0
    .max_flat_workgroup_size: 256
    .name:           _ZN7rocprim17ROCPRIM_400000_NS6detail17trampoline_kernelINS0_14default_configENS1_36segmented_radix_sort_config_selectorIalEEZNS1_25segmented_radix_sort_implIS3_Lb1EPKaPaPKlPlN2at6native12_GLOBAL__N_18offset_tEEE10hipError_tPvRmT1_PNSt15iterator_traitsISK_E10value_typeET2_T3_PNSL_ISQ_E10value_typeET4_jRbjT5_SW_jjP12ihipStream_tbEUlT_E1_NS1_11comp_targetILNS1_3genE5ELNS1_11target_archE942ELNS1_3gpuE9ELNS1_3repE0EEENS1_59segmented_radix_sort_warp_sort_small_config_static_selectorELNS0_4arch9wavefront6targetE1EEEvSK_
    .private_segment_fixed_size: 0
    .sgpr_count:     4
    .sgpr_spill_count: 0
    .symbol:         _ZN7rocprim17ROCPRIM_400000_NS6detail17trampoline_kernelINS0_14default_configENS1_36segmented_radix_sort_config_selectorIalEEZNS1_25segmented_radix_sort_implIS3_Lb1EPKaPaPKlPlN2at6native12_GLOBAL__N_18offset_tEEE10hipError_tPvRmT1_PNSt15iterator_traitsISK_E10value_typeET2_T3_PNSL_ISQ_E10value_typeET4_jRbjT5_SW_jjP12ihipStream_tbEUlT_E1_NS1_11comp_targetILNS1_3genE5ELNS1_11target_archE942ELNS1_3gpuE9ELNS1_3repE0EEENS1_59segmented_radix_sort_warp_sort_small_config_static_selectorELNS0_4arch9wavefront6targetE1EEEvSK_.kd
    .uniform_work_group_size: 1
    .uses_dynamic_stack: false
    .vgpr_count:     0
    .vgpr_spill_count: 0
    .wavefront_size: 64
  - .args:
      - .offset:         0
        .size:           88
        .value_kind:     by_value
    .group_segment_fixed_size: 0
    .kernarg_segment_align: 8
    .kernarg_segment_size: 88
    .language:       OpenCL C
    .language_version:
      - 2
      - 0
    .max_flat_workgroup_size: 256
    .name:           _ZN7rocprim17ROCPRIM_400000_NS6detail17trampoline_kernelINS0_14default_configENS1_36segmented_radix_sort_config_selectorIalEEZNS1_25segmented_radix_sort_implIS3_Lb1EPKaPaPKlPlN2at6native12_GLOBAL__N_18offset_tEEE10hipError_tPvRmT1_PNSt15iterator_traitsISK_E10value_typeET2_T3_PNSL_ISQ_E10value_typeET4_jRbjT5_SW_jjP12ihipStream_tbEUlT_E1_NS1_11comp_targetILNS1_3genE4ELNS1_11target_archE910ELNS1_3gpuE8ELNS1_3repE0EEENS1_59segmented_radix_sort_warp_sort_small_config_static_selectorELNS0_4arch9wavefront6targetE1EEEvSK_
    .private_segment_fixed_size: 0
    .sgpr_count:     4
    .sgpr_spill_count: 0
    .symbol:         _ZN7rocprim17ROCPRIM_400000_NS6detail17trampoline_kernelINS0_14default_configENS1_36segmented_radix_sort_config_selectorIalEEZNS1_25segmented_radix_sort_implIS3_Lb1EPKaPaPKlPlN2at6native12_GLOBAL__N_18offset_tEEE10hipError_tPvRmT1_PNSt15iterator_traitsISK_E10value_typeET2_T3_PNSL_ISQ_E10value_typeET4_jRbjT5_SW_jjP12ihipStream_tbEUlT_E1_NS1_11comp_targetILNS1_3genE4ELNS1_11target_archE910ELNS1_3gpuE8ELNS1_3repE0EEENS1_59segmented_radix_sort_warp_sort_small_config_static_selectorELNS0_4arch9wavefront6targetE1EEEvSK_.kd
    .uniform_work_group_size: 1
    .uses_dynamic_stack: false
    .vgpr_count:     0
    .vgpr_spill_count: 0
    .wavefront_size: 64
  - .args:
      - .offset:         0
        .size:           88
        .value_kind:     by_value
    .group_segment_fixed_size: 0
    .kernarg_segment_align: 8
    .kernarg_segment_size: 88
    .language:       OpenCL C
    .language_version:
      - 2
      - 0
    .max_flat_workgroup_size: 256
    .name:           _ZN7rocprim17ROCPRIM_400000_NS6detail17trampoline_kernelINS0_14default_configENS1_36segmented_radix_sort_config_selectorIalEEZNS1_25segmented_radix_sort_implIS3_Lb1EPKaPaPKlPlN2at6native12_GLOBAL__N_18offset_tEEE10hipError_tPvRmT1_PNSt15iterator_traitsISK_E10value_typeET2_T3_PNSL_ISQ_E10value_typeET4_jRbjT5_SW_jjP12ihipStream_tbEUlT_E1_NS1_11comp_targetILNS1_3genE3ELNS1_11target_archE908ELNS1_3gpuE7ELNS1_3repE0EEENS1_59segmented_radix_sort_warp_sort_small_config_static_selectorELNS0_4arch9wavefront6targetE1EEEvSK_
    .private_segment_fixed_size: 0
    .sgpr_count:     4
    .sgpr_spill_count: 0
    .symbol:         _ZN7rocprim17ROCPRIM_400000_NS6detail17trampoline_kernelINS0_14default_configENS1_36segmented_radix_sort_config_selectorIalEEZNS1_25segmented_radix_sort_implIS3_Lb1EPKaPaPKlPlN2at6native12_GLOBAL__N_18offset_tEEE10hipError_tPvRmT1_PNSt15iterator_traitsISK_E10value_typeET2_T3_PNSL_ISQ_E10value_typeET4_jRbjT5_SW_jjP12ihipStream_tbEUlT_E1_NS1_11comp_targetILNS1_3genE3ELNS1_11target_archE908ELNS1_3gpuE7ELNS1_3repE0EEENS1_59segmented_radix_sort_warp_sort_small_config_static_selectorELNS0_4arch9wavefront6targetE1EEEvSK_.kd
    .uniform_work_group_size: 1
    .uses_dynamic_stack: false
    .vgpr_count:     0
    .vgpr_spill_count: 0
    .wavefront_size: 64
  - .args:
      - .offset:         0
        .size:           88
        .value_kind:     by_value
      - .offset:         88
        .size:           4
        .value_kind:     hidden_block_count_x
      - .offset:         92
        .size:           4
        .value_kind:     hidden_block_count_y
      - .offset:         96
        .size:           4
        .value_kind:     hidden_block_count_z
      - .offset:         100
        .size:           2
        .value_kind:     hidden_group_size_x
      - .offset:         102
        .size:           2
        .value_kind:     hidden_group_size_y
      - .offset:         104
        .size:           2
        .value_kind:     hidden_group_size_z
      - .offset:         106
        .size:           2
        .value_kind:     hidden_remainder_x
      - .offset:         108
        .size:           2
        .value_kind:     hidden_remainder_y
      - .offset:         110
        .size:           2
        .value_kind:     hidden_remainder_z
      - .offset:         128
        .size:           8
        .value_kind:     hidden_global_offset_x
      - .offset:         136
        .size:           8
        .value_kind:     hidden_global_offset_y
      - .offset:         144
        .size:           8
        .value_kind:     hidden_global_offset_z
      - .offset:         152
        .size:           2
        .value_kind:     hidden_grid_dims
    .group_segment_fixed_size: 9216
    .kernarg_segment_align: 8
    .kernarg_segment_size: 344
    .language:       OpenCL C
    .language_version:
      - 2
      - 0
    .max_flat_workgroup_size: 256
    .name:           _ZN7rocprim17ROCPRIM_400000_NS6detail17trampoline_kernelINS0_14default_configENS1_36segmented_radix_sort_config_selectorIalEEZNS1_25segmented_radix_sort_implIS3_Lb1EPKaPaPKlPlN2at6native12_GLOBAL__N_18offset_tEEE10hipError_tPvRmT1_PNSt15iterator_traitsISK_E10value_typeET2_T3_PNSL_ISQ_E10value_typeET4_jRbjT5_SW_jjP12ihipStream_tbEUlT_E1_NS1_11comp_targetILNS1_3genE2ELNS1_11target_archE906ELNS1_3gpuE6ELNS1_3repE0EEENS1_59segmented_radix_sort_warp_sort_small_config_static_selectorELNS0_4arch9wavefront6targetE1EEEvSK_
    .private_segment_fixed_size: 0
    .sgpr_count:     52
    .sgpr_spill_count: 0
    .symbol:         _ZN7rocprim17ROCPRIM_400000_NS6detail17trampoline_kernelINS0_14default_configENS1_36segmented_radix_sort_config_selectorIalEEZNS1_25segmented_radix_sort_implIS3_Lb1EPKaPaPKlPlN2at6native12_GLOBAL__N_18offset_tEEE10hipError_tPvRmT1_PNSt15iterator_traitsISK_E10value_typeET2_T3_PNSL_ISQ_E10value_typeET4_jRbjT5_SW_jjP12ihipStream_tbEUlT_E1_NS1_11comp_targetILNS1_3genE2ELNS1_11target_archE906ELNS1_3gpuE6ELNS1_3repE0EEENS1_59segmented_radix_sort_warp_sort_small_config_static_selectorELNS0_4arch9wavefront6targetE1EEEvSK_.kd
    .uniform_work_group_size: 1
    .uses_dynamic_stack: false
    .vgpr_count:     51
    .vgpr_spill_count: 0
    .wavefront_size: 64
  - .args:
      - .offset:         0
        .size:           88
        .value_kind:     by_value
    .group_segment_fixed_size: 0
    .kernarg_segment_align: 8
    .kernarg_segment_size: 88
    .language:       OpenCL C
    .language_version:
      - 2
      - 0
    .max_flat_workgroup_size: 256
    .name:           _ZN7rocprim17ROCPRIM_400000_NS6detail17trampoline_kernelINS0_14default_configENS1_36segmented_radix_sort_config_selectorIalEEZNS1_25segmented_radix_sort_implIS3_Lb1EPKaPaPKlPlN2at6native12_GLOBAL__N_18offset_tEEE10hipError_tPvRmT1_PNSt15iterator_traitsISK_E10value_typeET2_T3_PNSL_ISQ_E10value_typeET4_jRbjT5_SW_jjP12ihipStream_tbEUlT_E1_NS1_11comp_targetILNS1_3genE10ELNS1_11target_archE1201ELNS1_3gpuE5ELNS1_3repE0EEENS1_59segmented_radix_sort_warp_sort_small_config_static_selectorELNS0_4arch9wavefront6targetE1EEEvSK_
    .private_segment_fixed_size: 0
    .sgpr_count:     4
    .sgpr_spill_count: 0
    .symbol:         _ZN7rocprim17ROCPRIM_400000_NS6detail17trampoline_kernelINS0_14default_configENS1_36segmented_radix_sort_config_selectorIalEEZNS1_25segmented_radix_sort_implIS3_Lb1EPKaPaPKlPlN2at6native12_GLOBAL__N_18offset_tEEE10hipError_tPvRmT1_PNSt15iterator_traitsISK_E10value_typeET2_T3_PNSL_ISQ_E10value_typeET4_jRbjT5_SW_jjP12ihipStream_tbEUlT_E1_NS1_11comp_targetILNS1_3genE10ELNS1_11target_archE1201ELNS1_3gpuE5ELNS1_3repE0EEENS1_59segmented_radix_sort_warp_sort_small_config_static_selectorELNS0_4arch9wavefront6targetE1EEEvSK_.kd
    .uniform_work_group_size: 1
    .uses_dynamic_stack: false
    .vgpr_count:     0
    .vgpr_spill_count: 0
    .wavefront_size: 64
  - .args:
      - .offset:         0
        .size:           88
        .value_kind:     by_value
    .group_segment_fixed_size: 0
    .kernarg_segment_align: 8
    .kernarg_segment_size: 88
    .language:       OpenCL C
    .language_version:
      - 2
      - 0
    .max_flat_workgroup_size: 256
    .name:           _ZN7rocprim17ROCPRIM_400000_NS6detail17trampoline_kernelINS0_14default_configENS1_36segmented_radix_sort_config_selectorIalEEZNS1_25segmented_radix_sort_implIS3_Lb1EPKaPaPKlPlN2at6native12_GLOBAL__N_18offset_tEEE10hipError_tPvRmT1_PNSt15iterator_traitsISK_E10value_typeET2_T3_PNSL_ISQ_E10value_typeET4_jRbjT5_SW_jjP12ihipStream_tbEUlT_E1_NS1_11comp_targetILNS1_3genE10ELNS1_11target_archE1200ELNS1_3gpuE4ELNS1_3repE0EEENS1_59segmented_radix_sort_warp_sort_small_config_static_selectorELNS0_4arch9wavefront6targetE1EEEvSK_
    .private_segment_fixed_size: 0
    .sgpr_count:     4
    .sgpr_spill_count: 0
    .symbol:         _ZN7rocprim17ROCPRIM_400000_NS6detail17trampoline_kernelINS0_14default_configENS1_36segmented_radix_sort_config_selectorIalEEZNS1_25segmented_radix_sort_implIS3_Lb1EPKaPaPKlPlN2at6native12_GLOBAL__N_18offset_tEEE10hipError_tPvRmT1_PNSt15iterator_traitsISK_E10value_typeET2_T3_PNSL_ISQ_E10value_typeET4_jRbjT5_SW_jjP12ihipStream_tbEUlT_E1_NS1_11comp_targetILNS1_3genE10ELNS1_11target_archE1200ELNS1_3gpuE4ELNS1_3repE0EEENS1_59segmented_radix_sort_warp_sort_small_config_static_selectorELNS0_4arch9wavefront6targetE1EEEvSK_.kd
    .uniform_work_group_size: 1
    .uses_dynamic_stack: false
    .vgpr_count:     0
    .vgpr_spill_count: 0
    .wavefront_size: 64
  - .args:
      - .offset:         0
        .size:           88
        .value_kind:     by_value
    .group_segment_fixed_size: 0
    .kernarg_segment_align: 8
    .kernarg_segment_size: 88
    .language:       OpenCL C
    .language_version:
      - 2
      - 0
    .max_flat_workgroup_size: 256
    .name:           _ZN7rocprim17ROCPRIM_400000_NS6detail17trampoline_kernelINS0_14default_configENS1_36segmented_radix_sort_config_selectorIalEEZNS1_25segmented_radix_sort_implIS3_Lb1EPKaPaPKlPlN2at6native12_GLOBAL__N_18offset_tEEE10hipError_tPvRmT1_PNSt15iterator_traitsISK_E10value_typeET2_T3_PNSL_ISQ_E10value_typeET4_jRbjT5_SW_jjP12ihipStream_tbEUlT_E1_NS1_11comp_targetILNS1_3genE9ELNS1_11target_archE1100ELNS1_3gpuE3ELNS1_3repE0EEENS1_59segmented_radix_sort_warp_sort_small_config_static_selectorELNS0_4arch9wavefront6targetE1EEEvSK_
    .private_segment_fixed_size: 0
    .sgpr_count:     4
    .sgpr_spill_count: 0
    .symbol:         _ZN7rocprim17ROCPRIM_400000_NS6detail17trampoline_kernelINS0_14default_configENS1_36segmented_radix_sort_config_selectorIalEEZNS1_25segmented_radix_sort_implIS3_Lb1EPKaPaPKlPlN2at6native12_GLOBAL__N_18offset_tEEE10hipError_tPvRmT1_PNSt15iterator_traitsISK_E10value_typeET2_T3_PNSL_ISQ_E10value_typeET4_jRbjT5_SW_jjP12ihipStream_tbEUlT_E1_NS1_11comp_targetILNS1_3genE9ELNS1_11target_archE1100ELNS1_3gpuE3ELNS1_3repE0EEENS1_59segmented_radix_sort_warp_sort_small_config_static_selectorELNS0_4arch9wavefront6targetE1EEEvSK_.kd
    .uniform_work_group_size: 1
    .uses_dynamic_stack: false
    .vgpr_count:     0
    .vgpr_spill_count: 0
    .wavefront_size: 64
  - .args:
      - .offset:         0
        .size:           88
        .value_kind:     by_value
    .group_segment_fixed_size: 0
    .kernarg_segment_align: 8
    .kernarg_segment_size: 88
    .language:       OpenCL C
    .language_version:
      - 2
      - 0
    .max_flat_workgroup_size: 256
    .name:           _ZN7rocprim17ROCPRIM_400000_NS6detail17trampoline_kernelINS0_14default_configENS1_36segmented_radix_sort_config_selectorIalEEZNS1_25segmented_radix_sort_implIS3_Lb1EPKaPaPKlPlN2at6native12_GLOBAL__N_18offset_tEEE10hipError_tPvRmT1_PNSt15iterator_traitsISK_E10value_typeET2_T3_PNSL_ISQ_E10value_typeET4_jRbjT5_SW_jjP12ihipStream_tbEUlT_E1_NS1_11comp_targetILNS1_3genE8ELNS1_11target_archE1030ELNS1_3gpuE2ELNS1_3repE0EEENS1_59segmented_radix_sort_warp_sort_small_config_static_selectorELNS0_4arch9wavefront6targetE1EEEvSK_
    .private_segment_fixed_size: 0
    .sgpr_count:     4
    .sgpr_spill_count: 0
    .symbol:         _ZN7rocprim17ROCPRIM_400000_NS6detail17trampoline_kernelINS0_14default_configENS1_36segmented_radix_sort_config_selectorIalEEZNS1_25segmented_radix_sort_implIS3_Lb1EPKaPaPKlPlN2at6native12_GLOBAL__N_18offset_tEEE10hipError_tPvRmT1_PNSt15iterator_traitsISK_E10value_typeET2_T3_PNSL_ISQ_E10value_typeET4_jRbjT5_SW_jjP12ihipStream_tbEUlT_E1_NS1_11comp_targetILNS1_3genE8ELNS1_11target_archE1030ELNS1_3gpuE2ELNS1_3repE0EEENS1_59segmented_radix_sort_warp_sort_small_config_static_selectorELNS0_4arch9wavefront6targetE1EEEvSK_.kd
    .uniform_work_group_size: 1
    .uses_dynamic_stack: false
    .vgpr_count:     0
    .vgpr_spill_count: 0
    .wavefront_size: 64
  - .args:
      - .offset:         0
        .size:           80
        .value_kind:     by_value
    .group_segment_fixed_size: 0
    .kernarg_segment_align: 8
    .kernarg_segment_size: 80
    .language:       OpenCL C
    .language_version:
      - 2
      - 0
    .max_flat_workgroup_size: 256
    .name:           _ZN7rocprim17ROCPRIM_400000_NS6detail17trampoline_kernelINS0_14default_configENS1_36segmented_radix_sort_config_selectorIalEEZNS1_25segmented_radix_sort_implIS3_Lb1EPKaPaPKlPlN2at6native12_GLOBAL__N_18offset_tEEE10hipError_tPvRmT1_PNSt15iterator_traitsISK_E10value_typeET2_T3_PNSL_ISQ_E10value_typeET4_jRbjT5_SW_jjP12ihipStream_tbEUlT_E2_NS1_11comp_targetILNS1_3genE0ELNS1_11target_archE4294967295ELNS1_3gpuE0ELNS1_3repE0EEENS1_30default_config_static_selectorELNS0_4arch9wavefront6targetE1EEEvSK_
    .private_segment_fixed_size: 0
    .sgpr_count:     4
    .sgpr_spill_count: 0
    .symbol:         _ZN7rocprim17ROCPRIM_400000_NS6detail17trampoline_kernelINS0_14default_configENS1_36segmented_radix_sort_config_selectorIalEEZNS1_25segmented_radix_sort_implIS3_Lb1EPKaPaPKlPlN2at6native12_GLOBAL__N_18offset_tEEE10hipError_tPvRmT1_PNSt15iterator_traitsISK_E10value_typeET2_T3_PNSL_ISQ_E10value_typeET4_jRbjT5_SW_jjP12ihipStream_tbEUlT_E2_NS1_11comp_targetILNS1_3genE0ELNS1_11target_archE4294967295ELNS1_3gpuE0ELNS1_3repE0EEENS1_30default_config_static_selectorELNS0_4arch9wavefront6targetE1EEEvSK_.kd
    .uniform_work_group_size: 1
    .uses_dynamic_stack: false
    .vgpr_count:     0
    .vgpr_spill_count: 0
    .wavefront_size: 64
  - .args:
      - .offset:         0
        .size:           80
        .value_kind:     by_value
    .group_segment_fixed_size: 0
    .kernarg_segment_align: 8
    .kernarg_segment_size: 80
    .language:       OpenCL C
    .language_version:
      - 2
      - 0
    .max_flat_workgroup_size: 256
    .name:           _ZN7rocprim17ROCPRIM_400000_NS6detail17trampoline_kernelINS0_14default_configENS1_36segmented_radix_sort_config_selectorIalEEZNS1_25segmented_radix_sort_implIS3_Lb1EPKaPaPKlPlN2at6native12_GLOBAL__N_18offset_tEEE10hipError_tPvRmT1_PNSt15iterator_traitsISK_E10value_typeET2_T3_PNSL_ISQ_E10value_typeET4_jRbjT5_SW_jjP12ihipStream_tbEUlT_E2_NS1_11comp_targetILNS1_3genE5ELNS1_11target_archE942ELNS1_3gpuE9ELNS1_3repE0EEENS1_30default_config_static_selectorELNS0_4arch9wavefront6targetE1EEEvSK_
    .private_segment_fixed_size: 0
    .sgpr_count:     4
    .sgpr_spill_count: 0
    .symbol:         _ZN7rocprim17ROCPRIM_400000_NS6detail17trampoline_kernelINS0_14default_configENS1_36segmented_radix_sort_config_selectorIalEEZNS1_25segmented_radix_sort_implIS3_Lb1EPKaPaPKlPlN2at6native12_GLOBAL__N_18offset_tEEE10hipError_tPvRmT1_PNSt15iterator_traitsISK_E10value_typeET2_T3_PNSL_ISQ_E10value_typeET4_jRbjT5_SW_jjP12ihipStream_tbEUlT_E2_NS1_11comp_targetILNS1_3genE5ELNS1_11target_archE942ELNS1_3gpuE9ELNS1_3repE0EEENS1_30default_config_static_selectorELNS0_4arch9wavefront6targetE1EEEvSK_.kd
    .uniform_work_group_size: 1
    .uses_dynamic_stack: false
    .vgpr_count:     0
    .vgpr_spill_count: 0
    .wavefront_size: 64
  - .args:
      - .offset:         0
        .size:           80
        .value_kind:     by_value
    .group_segment_fixed_size: 0
    .kernarg_segment_align: 8
    .kernarg_segment_size: 80
    .language:       OpenCL C
    .language_version:
      - 2
      - 0
    .max_flat_workgroup_size: 256
    .name:           _ZN7rocprim17ROCPRIM_400000_NS6detail17trampoline_kernelINS0_14default_configENS1_36segmented_radix_sort_config_selectorIalEEZNS1_25segmented_radix_sort_implIS3_Lb1EPKaPaPKlPlN2at6native12_GLOBAL__N_18offset_tEEE10hipError_tPvRmT1_PNSt15iterator_traitsISK_E10value_typeET2_T3_PNSL_ISQ_E10value_typeET4_jRbjT5_SW_jjP12ihipStream_tbEUlT_E2_NS1_11comp_targetILNS1_3genE4ELNS1_11target_archE910ELNS1_3gpuE8ELNS1_3repE0EEENS1_30default_config_static_selectorELNS0_4arch9wavefront6targetE1EEEvSK_
    .private_segment_fixed_size: 0
    .sgpr_count:     4
    .sgpr_spill_count: 0
    .symbol:         _ZN7rocprim17ROCPRIM_400000_NS6detail17trampoline_kernelINS0_14default_configENS1_36segmented_radix_sort_config_selectorIalEEZNS1_25segmented_radix_sort_implIS3_Lb1EPKaPaPKlPlN2at6native12_GLOBAL__N_18offset_tEEE10hipError_tPvRmT1_PNSt15iterator_traitsISK_E10value_typeET2_T3_PNSL_ISQ_E10value_typeET4_jRbjT5_SW_jjP12ihipStream_tbEUlT_E2_NS1_11comp_targetILNS1_3genE4ELNS1_11target_archE910ELNS1_3gpuE8ELNS1_3repE0EEENS1_30default_config_static_selectorELNS0_4arch9wavefront6targetE1EEEvSK_.kd
    .uniform_work_group_size: 1
    .uses_dynamic_stack: false
    .vgpr_count:     0
    .vgpr_spill_count: 0
    .wavefront_size: 64
  - .args:
      - .offset:         0
        .size:           80
        .value_kind:     by_value
    .group_segment_fixed_size: 0
    .kernarg_segment_align: 8
    .kernarg_segment_size: 80
    .language:       OpenCL C
    .language_version:
      - 2
      - 0
    .max_flat_workgroup_size: 256
    .name:           _ZN7rocprim17ROCPRIM_400000_NS6detail17trampoline_kernelINS0_14default_configENS1_36segmented_radix_sort_config_selectorIalEEZNS1_25segmented_radix_sort_implIS3_Lb1EPKaPaPKlPlN2at6native12_GLOBAL__N_18offset_tEEE10hipError_tPvRmT1_PNSt15iterator_traitsISK_E10value_typeET2_T3_PNSL_ISQ_E10value_typeET4_jRbjT5_SW_jjP12ihipStream_tbEUlT_E2_NS1_11comp_targetILNS1_3genE3ELNS1_11target_archE908ELNS1_3gpuE7ELNS1_3repE0EEENS1_30default_config_static_selectorELNS0_4arch9wavefront6targetE1EEEvSK_
    .private_segment_fixed_size: 0
    .sgpr_count:     4
    .sgpr_spill_count: 0
    .symbol:         _ZN7rocprim17ROCPRIM_400000_NS6detail17trampoline_kernelINS0_14default_configENS1_36segmented_radix_sort_config_selectorIalEEZNS1_25segmented_radix_sort_implIS3_Lb1EPKaPaPKlPlN2at6native12_GLOBAL__N_18offset_tEEE10hipError_tPvRmT1_PNSt15iterator_traitsISK_E10value_typeET2_T3_PNSL_ISQ_E10value_typeET4_jRbjT5_SW_jjP12ihipStream_tbEUlT_E2_NS1_11comp_targetILNS1_3genE3ELNS1_11target_archE908ELNS1_3gpuE7ELNS1_3repE0EEENS1_30default_config_static_selectorELNS0_4arch9wavefront6targetE1EEEvSK_.kd
    .uniform_work_group_size: 1
    .uses_dynamic_stack: false
    .vgpr_count:     0
    .vgpr_spill_count: 0
    .wavefront_size: 64
  - .args:
      - .offset:         0
        .size:           80
        .value_kind:     by_value
      - .offset:         80
        .size:           4
        .value_kind:     hidden_block_count_x
      - .offset:         84
        .size:           4
        .value_kind:     hidden_block_count_y
      - .offset:         88
        .size:           4
        .value_kind:     hidden_block_count_z
      - .offset:         92
        .size:           2
        .value_kind:     hidden_group_size_x
      - .offset:         94
        .size:           2
        .value_kind:     hidden_group_size_y
      - .offset:         96
        .size:           2
        .value_kind:     hidden_group_size_z
      - .offset:         98
        .size:           2
        .value_kind:     hidden_remainder_x
      - .offset:         100
        .size:           2
        .value_kind:     hidden_remainder_y
      - .offset:         102
        .size:           2
        .value_kind:     hidden_remainder_z
      - .offset:         120
        .size:           8
        .value_kind:     hidden_global_offset_x
      - .offset:         128
        .size:           8
        .value_kind:     hidden_global_offset_y
      - .offset:         136
        .size:           8
        .value_kind:     hidden_global_offset_z
      - .offset:         144
        .size:           2
        .value_kind:     hidden_grid_dims
    .group_segment_fixed_size: 9232
    .kernarg_segment_align: 8
    .kernarg_segment_size: 336
    .language:       OpenCL C
    .language_version:
      - 2
      - 0
    .max_flat_workgroup_size: 256
    .name:           _ZN7rocprim17ROCPRIM_400000_NS6detail17trampoline_kernelINS0_14default_configENS1_36segmented_radix_sort_config_selectorIalEEZNS1_25segmented_radix_sort_implIS3_Lb1EPKaPaPKlPlN2at6native12_GLOBAL__N_18offset_tEEE10hipError_tPvRmT1_PNSt15iterator_traitsISK_E10value_typeET2_T3_PNSL_ISQ_E10value_typeET4_jRbjT5_SW_jjP12ihipStream_tbEUlT_E2_NS1_11comp_targetILNS1_3genE2ELNS1_11target_archE906ELNS1_3gpuE6ELNS1_3repE0EEENS1_30default_config_static_selectorELNS0_4arch9wavefront6targetE1EEEvSK_
    .private_segment_fixed_size: 0
    .sgpr_count:     81
    .sgpr_spill_count: 0
    .symbol:         _ZN7rocprim17ROCPRIM_400000_NS6detail17trampoline_kernelINS0_14default_configENS1_36segmented_radix_sort_config_selectorIalEEZNS1_25segmented_radix_sort_implIS3_Lb1EPKaPaPKlPlN2at6native12_GLOBAL__N_18offset_tEEE10hipError_tPvRmT1_PNSt15iterator_traitsISK_E10value_typeET2_T3_PNSL_ISQ_E10value_typeET4_jRbjT5_SW_jjP12ihipStream_tbEUlT_E2_NS1_11comp_targetILNS1_3genE2ELNS1_11target_archE906ELNS1_3gpuE6ELNS1_3repE0EEENS1_30default_config_static_selectorELNS0_4arch9wavefront6targetE1EEEvSK_.kd
    .uniform_work_group_size: 1
    .uses_dynamic_stack: false
    .vgpr_count:     97
    .vgpr_spill_count: 0
    .wavefront_size: 64
  - .args:
      - .offset:         0
        .size:           80
        .value_kind:     by_value
    .group_segment_fixed_size: 0
    .kernarg_segment_align: 8
    .kernarg_segment_size: 80
    .language:       OpenCL C
    .language_version:
      - 2
      - 0
    .max_flat_workgroup_size: 256
    .name:           _ZN7rocprim17ROCPRIM_400000_NS6detail17trampoline_kernelINS0_14default_configENS1_36segmented_radix_sort_config_selectorIalEEZNS1_25segmented_radix_sort_implIS3_Lb1EPKaPaPKlPlN2at6native12_GLOBAL__N_18offset_tEEE10hipError_tPvRmT1_PNSt15iterator_traitsISK_E10value_typeET2_T3_PNSL_ISQ_E10value_typeET4_jRbjT5_SW_jjP12ihipStream_tbEUlT_E2_NS1_11comp_targetILNS1_3genE10ELNS1_11target_archE1201ELNS1_3gpuE5ELNS1_3repE0EEENS1_30default_config_static_selectorELNS0_4arch9wavefront6targetE1EEEvSK_
    .private_segment_fixed_size: 0
    .sgpr_count:     4
    .sgpr_spill_count: 0
    .symbol:         _ZN7rocprim17ROCPRIM_400000_NS6detail17trampoline_kernelINS0_14default_configENS1_36segmented_radix_sort_config_selectorIalEEZNS1_25segmented_radix_sort_implIS3_Lb1EPKaPaPKlPlN2at6native12_GLOBAL__N_18offset_tEEE10hipError_tPvRmT1_PNSt15iterator_traitsISK_E10value_typeET2_T3_PNSL_ISQ_E10value_typeET4_jRbjT5_SW_jjP12ihipStream_tbEUlT_E2_NS1_11comp_targetILNS1_3genE10ELNS1_11target_archE1201ELNS1_3gpuE5ELNS1_3repE0EEENS1_30default_config_static_selectorELNS0_4arch9wavefront6targetE1EEEvSK_.kd
    .uniform_work_group_size: 1
    .uses_dynamic_stack: false
    .vgpr_count:     0
    .vgpr_spill_count: 0
    .wavefront_size: 64
  - .args:
      - .offset:         0
        .size:           80
        .value_kind:     by_value
    .group_segment_fixed_size: 0
    .kernarg_segment_align: 8
    .kernarg_segment_size: 80
    .language:       OpenCL C
    .language_version:
      - 2
      - 0
    .max_flat_workgroup_size: 128
    .name:           _ZN7rocprim17ROCPRIM_400000_NS6detail17trampoline_kernelINS0_14default_configENS1_36segmented_radix_sort_config_selectorIalEEZNS1_25segmented_radix_sort_implIS3_Lb1EPKaPaPKlPlN2at6native12_GLOBAL__N_18offset_tEEE10hipError_tPvRmT1_PNSt15iterator_traitsISK_E10value_typeET2_T3_PNSL_ISQ_E10value_typeET4_jRbjT5_SW_jjP12ihipStream_tbEUlT_E2_NS1_11comp_targetILNS1_3genE10ELNS1_11target_archE1200ELNS1_3gpuE4ELNS1_3repE0EEENS1_30default_config_static_selectorELNS0_4arch9wavefront6targetE1EEEvSK_
    .private_segment_fixed_size: 0
    .sgpr_count:     4
    .sgpr_spill_count: 0
    .symbol:         _ZN7rocprim17ROCPRIM_400000_NS6detail17trampoline_kernelINS0_14default_configENS1_36segmented_radix_sort_config_selectorIalEEZNS1_25segmented_radix_sort_implIS3_Lb1EPKaPaPKlPlN2at6native12_GLOBAL__N_18offset_tEEE10hipError_tPvRmT1_PNSt15iterator_traitsISK_E10value_typeET2_T3_PNSL_ISQ_E10value_typeET4_jRbjT5_SW_jjP12ihipStream_tbEUlT_E2_NS1_11comp_targetILNS1_3genE10ELNS1_11target_archE1200ELNS1_3gpuE4ELNS1_3repE0EEENS1_30default_config_static_selectorELNS0_4arch9wavefront6targetE1EEEvSK_.kd
    .uniform_work_group_size: 1
    .uses_dynamic_stack: false
    .vgpr_count:     0
    .vgpr_spill_count: 0
    .wavefront_size: 64
  - .args:
      - .offset:         0
        .size:           80
        .value_kind:     by_value
    .group_segment_fixed_size: 0
    .kernarg_segment_align: 8
    .kernarg_segment_size: 80
    .language:       OpenCL C
    .language_version:
      - 2
      - 0
    .max_flat_workgroup_size: 256
    .name:           _ZN7rocprim17ROCPRIM_400000_NS6detail17trampoline_kernelINS0_14default_configENS1_36segmented_radix_sort_config_selectorIalEEZNS1_25segmented_radix_sort_implIS3_Lb1EPKaPaPKlPlN2at6native12_GLOBAL__N_18offset_tEEE10hipError_tPvRmT1_PNSt15iterator_traitsISK_E10value_typeET2_T3_PNSL_ISQ_E10value_typeET4_jRbjT5_SW_jjP12ihipStream_tbEUlT_E2_NS1_11comp_targetILNS1_3genE9ELNS1_11target_archE1100ELNS1_3gpuE3ELNS1_3repE0EEENS1_30default_config_static_selectorELNS0_4arch9wavefront6targetE1EEEvSK_
    .private_segment_fixed_size: 0
    .sgpr_count:     4
    .sgpr_spill_count: 0
    .symbol:         _ZN7rocprim17ROCPRIM_400000_NS6detail17trampoline_kernelINS0_14default_configENS1_36segmented_radix_sort_config_selectorIalEEZNS1_25segmented_radix_sort_implIS3_Lb1EPKaPaPKlPlN2at6native12_GLOBAL__N_18offset_tEEE10hipError_tPvRmT1_PNSt15iterator_traitsISK_E10value_typeET2_T3_PNSL_ISQ_E10value_typeET4_jRbjT5_SW_jjP12ihipStream_tbEUlT_E2_NS1_11comp_targetILNS1_3genE9ELNS1_11target_archE1100ELNS1_3gpuE3ELNS1_3repE0EEENS1_30default_config_static_selectorELNS0_4arch9wavefront6targetE1EEEvSK_.kd
    .uniform_work_group_size: 1
    .uses_dynamic_stack: false
    .vgpr_count:     0
    .vgpr_spill_count: 0
    .wavefront_size: 64
  - .args:
      - .offset:         0
        .size:           80
        .value_kind:     by_value
    .group_segment_fixed_size: 0
    .kernarg_segment_align: 8
    .kernarg_segment_size: 80
    .language:       OpenCL C
    .language_version:
      - 2
      - 0
    .max_flat_workgroup_size: 256
    .name:           _ZN7rocprim17ROCPRIM_400000_NS6detail17trampoline_kernelINS0_14default_configENS1_36segmented_radix_sort_config_selectorIalEEZNS1_25segmented_radix_sort_implIS3_Lb1EPKaPaPKlPlN2at6native12_GLOBAL__N_18offset_tEEE10hipError_tPvRmT1_PNSt15iterator_traitsISK_E10value_typeET2_T3_PNSL_ISQ_E10value_typeET4_jRbjT5_SW_jjP12ihipStream_tbEUlT_E2_NS1_11comp_targetILNS1_3genE8ELNS1_11target_archE1030ELNS1_3gpuE2ELNS1_3repE0EEENS1_30default_config_static_selectorELNS0_4arch9wavefront6targetE1EEEvSK_
    .private_segment_fixed_size: 0
    .sgpr_count:     4
    .sgpr_spill_count: 0
    .symbol:         _ZN7rocprim17ROCPRIM_400000_NS6detail17trampoline_kernelINS0_14default_configENS1_36segmented_radix_sort_config_selectorIalEEZNS1_25segmented_radix_sort_implIS3_Lb1EPKaPaPKlPlN2at6native12_GLOBAL__N_18offset_tEEE10hipError_tPvRmT1_PNSt15iterator_traitsISK_E10value_typeET2_T3_PNSL_ISQ_E10value_typeET4_jRbjT5_SW_jjP12ihipStream_tbEUlT_E2_NS1_11comp_targetILNS1_3genE8ELNS1_11target_archE1030ELNS1_3gpuE2ELNS1_3repE0EEENS1_30default_config_static_selectorELNS0_4arch9wavefront6targetE1EEEvSK_.kd
    .uniform_work_group_size: 1
    .uses_dynamic_stack: false
    .vgpr_count:     0
    .vgpr_spill_count: 0
    .wavefront_size: 64
  - .args:
      - .offset:         0
        .size:           176
        .value_kind:     by_value
    .group_segment_fixed_size: 0
    .kernarg_segment_align: 8
    .kernarg_segment_size: 176
    .language:       OpenCL C
    .language_version:
      - 2
      - 0
    .max_flat_workgroup_size: 256
    .name:           _ZN7rocprim17ROCPRIM_400000_NS6detail17trampoline_kernelINS0_13select_configILj256ELj13ELNS0_17block_load_methodE3ELS4_3ELS4_3ELNS0_20block_scan_algorithmE0ELj4294967295EEENS1_25partition_config_selectorILNS1_17partition_subalgoE4EjNS0_10empty_typeEbEEZZNS1_14partition_implILS8_4ELb0ES6_15HIP_vector_typeIjLj2EENS0_17counting_iteratorIjlEEPS9_SG_NS0_5tupleIJPjSI_NS0_16reverse_iteratorISI_EEEEENSH_IJSG_SG_SG_EEES9_SI_JZNS1_25segmented_radix_sort_implINS0_14default_configELb0EPKaPaPKlPlN2at6native12_GLOBAL__N_18offset_tEEE10hipError_tPvRmT1_PNSt15iterator_traitsIS12_E10value_typeET2_T3_PNS13_IS18_E10value_typeET4_jRbjT5_S1E_jjP12ihipStream_tbEUljE_ZNSN_ISO_Lb0ESQ_SR_ST_SU_SY_EESZ_S10_S11_S12_S16_S17_S18_S1B_S1C_jS1D_jS1E_S1E_jjS1G_bEUljE0_EEESZ_S10_S11_S18_S1C_S1E_T6_T7_T9_mT8_S1G_bDpT10_ENKUlT_T0_E_clISt17integral_constantIbLb0EES1U_EEDaS1P_S1Q_EUlS1P_E_NS1_11comp_targetILNS1_3genE0ELNS1_11target_archE4294967295ELNS1_3gpuE0ELNS1_3repE0EEENS1_30default_config_static_selectorELNS0_4arch9wavefront6targetE1EEEvS12_
    .private_segment_fixed_size: 0
    .sgpr_count:     4
    .sgpr_spill_count: 0
    .symbol:         _ZN7rocprim17ROCPRIM_400000_NS6detail17trampoline_kernelINS0_13select_configILj256ELj13ELNS0_17block_load_methodE3ELS4_3ELS4_3ELNS0_20block_scan_algorithmE0ELj4294967295EEENS1_25partition_config_selectorILNS1_17partition_subalgoE4EjNS0_10empty_typeEbEEZZNS1_14partition_implILS8_4ELb0ES6_15HIP_vector_typeIjLj2EENS0_17counting_iteratorIjlEEPS9_SG_NS0_5tupleIJPjSI_NS0_16reverse_iteratorISI_EEEEENSH_IJSG_SG_SG_EEES9_SI_JZNS1_25segmented_radix_sort_implINS0_14default_configELb0EPKaPaPKlPlN2at6native12_GLOBAL__N_18offset_tEEE10hipError_tPvRmT1_PNSt15iterator_traitsIS12_E10value_typeET2_T3_PNS13_IS18_E10value_typeET4_jRbjT5_S1E_jjP12ihipStream_tbEUljE_ZNSN_ISO_Lb0ESQ_SR_ST_SU_SY_EESZ_S10_S11_S12_S16_S17_S18_S1B_S1C_jS1D_jS1E_S1E_jjS1G_bEUljE0_EEESZ_S10_S11_S18_S1C_S1E_T6_T7_T9_mT8_S1G_bDpT10_ENKUlT_T0_E_clISt17integral_constantIbLb0EES1U_EEDaS1P_S1Q_EUlS1P_E_NS1_11comp_targetILNS1_3genE0ELNS1_11target_archE4294967295ELNS1_3gpuE0ELNS1_3repE0EEENS1_30default_config_static_selectorELNS0_4arch9wavefront6targetE1EEEvS12_.kd
    .uniform_work_group_size: 1
    .uses_dynamic_stack: false
    .vgpr_count:     0
    .vgpr_spill_count: 0
    .wavefront_size: 64
  - .args:
      - .offset:         0
        .size:           176
        .value_kind:     by_value
    .group_segment_fixed_size: 0
    .kernarg_segment_align: 8
    .kernarg_segment_size: 176
    .language:       OpenCL C
    .language_version:
      - 2
      - 0
    .max_flat_workgroup_size: 256
    .name:           _ZN7rocprim17ROCPRIM_400000_NS6detail17trampoline_kernelINS0_13select_configILj256ELj13ELNS0_17block_load_methodE3ELS4_3ELS4_3ELNS0_20block_scan_algorithmE0ELj4294967295EEENS1_25partition_config_selectorILNS1_17partition_subalgoE4EjNS0_10empty_typeEbEEZZNS1_14partition_implILS8_4ELb0ES6_15HIP_vector_typeIjLj2EENS0_17counting_iteratorIjlEEPS9_SG_NS0_5tupleIJPjSI_NS0_16reverse_iteratorISI_EEEEENSH_IJSG_SG_SG_EEES9_SI_JZNS1_25segmented_radix_sort_implINS0_14default_configELb0EPKaPaPKlPlN2at6native12_GLOBAL__N_18offset_tEEE10hipError_tPvRmT1_PNSt15iterator_traitsIS12_E10value_typeET2_T3_PNS13_IS18_E10value_typeET4_jRbjT5_S1E_jjP12ihipStream_tbEUljE_ZNSN_ISO_Lb0ESQ_SR_ST_SU_SY_EESZ_S10_S11_S12_S16_S17_S18_S1B_S1C_jS1D_jS1E_S1E_jjS1G_bEUljE0_EEESZ_S10_S11_S18_S1C_S1E_T6_T7_T9_mT8_S1G_bDpT10_ENKUlT_T0_E_clISt17integral_constantIbLb0EES1U_EEDaS1P_S1Q_EUlS1P_E_NS1_11comp_targetILNS1_3genE5ELNS1_11target_archE942ELNS1_3gpuE9ELNS1_3repE0EEENS1_30default_config_static_selectorELNS0_4arch9wavefront6targetE1EEEvS12_
    .private_segment_fixed_size: 0
    .sgpr_count:     4
    .sgpr_spill_count: 0
    .symbol:         _ZN7rocprim17ROCPRIM_400000_NS6detail17trampoline_kernelINS0_13select_configILj256ELj13ELNS0_17block_load_methodE3ELS4_3ELS4_3ELNS0_20block_scan_algorithmE0ELj4294967295EEENS1_25partition_config_selectorILNS1_17partition_subalgoE4EjNS0_10empty_typeEbEEZZNS1_14partition_implILS8_4ELb0ES6_15HIP_vector_typeIjLj2EENS0_17counting_iteratorIjlEEPS9_SG_NS0_5tupleIJPjSI_NS0_16reverse_iteratorISI_EEEEENSH_IJSG_SG_SG_EEES9_SI_JZNS1_25segmented_radix_sort_implINS0_14default_configELb0EPKaPaPKlPlN2at6native12_GLOBAL__N_18offset_tEEE10hipError_tPvRmT1_PNSt15iterator_traitsIS12_E10value_typeET2_T3_PNS13_IS18_E10value_typeET4_jRbjT5_S1E_jjP12ihipStream_tbEUljE_ZNSN_ISO_Lb0ESQ_SR_ST_SU_SY_EESZ_S10_S11_S12_S16_S17_S18_S1B_S1C_jS1D_jS1E_S1E_jjS1G_bEUljE0_EEESZ_S10_S11_S18_S1C_S1E_T6_T7_T9_mT8_S1G_bDpT10_ENKUlT_T0_E_clISt17integral_constantIbLb0EES1U_EEDaS1P_S1Q_EUlS1P_E_NS1_11comp_targetILNS1_3genE5ELNS1_11target_archE942ELNS1_3gpuE9ELNS1_3repE0EEENS1_30default_config_static_selectorELNS0_4arch9wavefront6targetE1EEEvS12_.kd
    .uniform_work_group_size: 1
    .uses_dynamic_stack: false
    .vgpr_count:     0
    .vgpr_spill_count: 0
    .wavefront_size: 64
  - .args:
      - .offset:         0
        .size:           176
        .value_kind:     by_value
    .group_segment_fixed_size: 0
    .kernarg_segment_align: 8
    .kernarg_segment_size: 176
    .language:       OpenCL C
    .language_version:
      - 2
      - 0
    .max_flat_workgroup_size: 256
    .name:           _ZN7rocprim17ROCPRIM_400000_NS6detail17trampoline_kernelINS0_13select_configILj256ELj13ELNS0_17block_load_methodE3ELS4_3ELS4_3ELNS0_20block_scan_algorithmE0ELj4294967295EEENS1_25partition_config_selectorILNS1_17partition_subalgoE4EjNS0_10empty_typeEbEEZZNS1_14partition_implILS8_4ELb0ES6_15HIP_vector_typeIjLj2EENS0_17counting_iteratorIjlEEPS9_SG_NS0_5tupleIJPjSI_NS0_16reverse_iteratorISI_EEEEENSH_IJSG_SG_SG_EEES9_SI_JZNS1_25segmented_radix_sort_implINS0_14default_configELb0EPKaPaPKlPlN2at6native12_GLOBAL__N_18offset_tEEE10hipError_tPvRmT1_PNSt15iterator_traitsIS12_E10value_typeET2_T3_PNS13_IS18_E10value_typeET4_jRbjT5_S1E_jjP12ihipStream_tbEUljE_ZNSN_ISO_Lb0ESQ_SR_ST_SU_SY_EESZ_S10_S11_S12_S16_S17_S18_S1B_S1C_jS1D_jS1E_S1E_jjS1G_bEUljE0_EEESZ_S10_S11_S18_S1C_S1E_T6_T7_T9_mT8_S1G_bDpT10_ENKUlT_T0_E_clISt17integral_constantIbLb0EES1U_EEDaS1P_S1Q_EUlS1P_E_NS1_11comp_targetILNS1_3genE4ELNS1_11target_archE910ELNS1_3gpuE8ELNS1_3repE0EEENS1_30default_config_static_selectorELNS0_4arch9wavefront6targetE1EEEvS12_
    .private_segment_fixed_size: 0
    .sgpr_count:     4
    .sgpr_spill_count: 0
    .symbol:         _ZN7rocprim17ROCPRIM_400000_NS6detail17trampoline_kernelINS0_13select_configILj256ELj13ELNS0_17block_load_methodE3ELS4_3ELS4_3ELNS0_20block_scan_algorithmE0ELj4294967295EEENS1_25partition_config_selectorILNS1_17partition_subalgoE4EjNS0_10empty_typeEbEEZZNS1_14partition_implILS8_4ELb0ES6_15HIP_vector_typeIjLj2EENS0_17counting_iteratorIjlEEPS9_SG_NS0_5tupleIJPjSI_NS0_16reverse_iteratorISI_EEEEENSH_IJSG_SG_SG_EEES9_SI_JZNS1_25segmented_radix_sort_implINS0_14default_configELb0EPKaPaPKlPlN2at6native12_GLOBAL__N_18offset_tEEE10hipError_tPvRmT1_PNSt15iterator_traitsIS12_E10value_typeET2_T3_PNS13_IS18_E10value_typeET4_jRbjT5_S1E_jjP12ihipStream_tbEUljE_ZNSN_ISO_Lb0ESQ_SR_ST_SU_SY_EESZ_S10_S11_S12_S16_S17_S18_S1B_S1C_jS1D_jS1E_S1E_jjS1G_bEUljE0_EEESZ_S10_S11_S18_S1C_S1E_T6_T7_T9_mT8_S1G_bDpT10_ENKUlT_T0_E_clISt17integral_constantIbLb0EES1U_EEDaS1P_S1Q_EUlS1P_E_NS1_11comp_targetILNS1_3genE4ELNS1_11target_archE910ELNS1_3gpuE8ELNS1_3repE0EEENS1_30default_config_static_selectorELNS0_4arch9wavefront6targetE1EEEvS12_.kd
    .uniform_work_group_size: 1
    .uses_dynamic_stack: false
    .vgpr_count:     0
    .vgpr_spill_count: 0
    .wavefront_size: 64
  - .args:
      - .offset:         0
        .size:           176
        .value_kind:     by_value
    .group_segment_fixed_size: 0
    .kernarg_segment_align: 8
    .kernarg_segment_size: 176
    .language:       OpenCL C
    .language_version:
      - 2
      - 0
    .max_flat_workgroup_size: 256
    .name:           _ZN7rocprim17ROCPRIM_400000_NS6detail17trampoline_kernelINS0_13select_configILj256ELj13ELNS0_17block_load_methodE3ELS4_3ELS4_3ELNS0_20block_scan_algorithmE0ELj4294967295EEENS1_25partition_config_selectorILNS1_17partition_subalgoE4EjNS0_10empty_typeEbEEZZNS1_14partition_implILS8_4ELb0ES6_15HIP_vector_typeIjLj2EENS0_17counting_iteratorIjlEEPS9_SG_NS0_5tupleIJPjSI_NS0_16reverse_iteratorISI_EEEEENSH_IJSG_SG_SG_EEES9_SI_JZNS1_25segmented_radix_sort_implINS0_14default_configELb0EPKaPaPKlPlN2at6native12_GLOBAL__N_18offset_tEEE10hipError_tPvRmT1_PNSt15iterator_traitsIS12_E10value_typeET2_T3_PNS13_IS18_E10value_typeET4_jRbjT5_S1E_jjP12ihipStream_tbEUljE_ZNSN_ISO_Lb0ESQ_SR_ST_SU_SY_EESZ_S10_S11_S12_S16_S17_S18_S1B_S1C_jS1D_jS1E_S1E_jjS1G_bEUljE0_EEESZ_S10_S11_S18_S1C_S1E_T6_T7_T9_mT8_S1G_bDpT10_ENKUlT_T0_E_clISt17integral_constantIbLb0EES1U_EEDaS1P_S1Q_EUlS1P_E_NS1_11comp_targetILNS1_3genE3ELNS1_11target_archE908ELNS1_3gpuE7ELNS1_3repE0EEENS1_30default_config_static_selectorELNS0_4arch9wavefront6targetE1EEEvS12_
    .private_segment_fixed_size: 0
    .sgpr_count:     4
    .sgpr_spill_count: 0
    .symbol:         _ZN7rocprim17ROCPRIM_400000_NS6detail17trampoline_kernelINS0_13select_configILj256ELj13ELNS0_17block_load_methodE3ELS4_3ELS4_3ELNS0_20block_scan_algorithmE0ELj4294967295EEENS1_25partition_config_selectorILNS1_17partition_subalgoE4EjNS0_10empty_typeEbEEZZNS1_14partition_implILS8_4ELb0ES6_15HIP_vector_typeIjLj2EENS0_17counting_iteratorIjlEEPS9_SG_NS0_5tupleIJPjSI_NS0_16reverse_iteratorISI_EEEEENSH_IJSG_SG_SG_EEES9_SI_JZNS1_25segmented_radix_sort_implINS0_14default_configELb0EPKaPaPKlPlN2at6native12_GLOBAL__N_18offset_tEEE10hipError_tPvRmT1_PNSt15iterator_traitsIS12_E10value_typeET2_T3_PNS13_IS18_E10value_typeET4_jRbjT5_S1E_jjP12ihipStream_tbEUljE_ZNSN_ISO_Lb0ESQ_SR_ST_SU_SY_EESZ_S10_S11_S12_S16_S17_S18_S1B_S1C_jS1D_jS1E_S1E_jjS1G_bEUljE0_EEESZ_S10_S11_S18_S1C_S1E_T6_T7_T9_mT8_S1G_bDpT10_ENKUlT_T0_E_clISt17integral_constantIbLb0EES1U_EEDaS1P_S1Q_EUlS1P_E_NS1_11comp_targetILNS1_3genE3ELNS1_11target_archE908ELNS1_3gpuE7ELNS1_3repE0EEENS1_30default_config_static_selectorELNS0_4arch9wavefront6targetE1EEEvS12_.kd
    .uniform_work_group_size: 1
    .uses_dynamic_stack: false
    .vgpr_count:     0
    .vgpr_spill_count: 0
    .wavefront_size: 64
  - .args:
      - .offset:         0
        .size:           176
        .value_kind:     by_value
    .group_segment_fixed_size: 13328
    .kernarg_segment_align: 8
    .kernarg_segment_size: 176
    .language:       OpenCL C
    .language_version:
      - 2
      - 0
    .max_flat_workgroup_size: 256
    .name:           _ZN7rocprim17ROCPRIM_400000_NS6detail17trampoline_kernelINS0_13select_configILj256ELj13ELNS0_17block_load_methodE3ELS4_3ELS4_3ELNS0_20block_scan_algorithmE0ELj4294967295EEENS1_25partition_config_selectorILNS1_17partition_subalgoE4EjNS0_10empty_typeEbEEZZNS1_14partition_implILS8_4ELb0ES6_15HIP_vector_typeIjLj2EENS0_17counting_iteratorIjlEEPS9_SG_NS0_5tupleIJPjSI_NS0_16reverse_iteratorISI_EEEEENSH_IJSG_SG_SG_EEES9_SI_JZNS1_25segmented_radix_sort_implINS0_14default_configELb0EPKaPaPKlPlN2at6native12_GLOBAL__N_18offset_tEEE10hipError_tPvRmT1_PNSt15iterator_traitsIS12_E10value_typeET2_T3_PNS13_IS18_E10value_typeET4_jRbjT5_S1E_jjP12ihipStream_tbEUljE_ZNSN_ISO_Lb0ESQ_SR_ST_SU_SY_EESZ_S10_S11_S12_S16_S17_S18_S1B_S1C_jS1D_jS1E_S1E_jjS1G_bEUljE0_EEESZ_S10_S11_S18_S1C_S1E_T6_T7_T9_mT8_S1G_bDpT10_ENKUlT_T0_E_clISt17integral_constantIbLb0EES1U_EEDaS1P_S1Q_EUlS1P_E_NS1_11comp_targetILNS1_3genE2ELNS1_11target_archE906ELNS1_3gpuE6ELNS1_3repE0EEENS1_30default_config_static_selectorELNS0_4arch9wavefront6targetE1EEEvS12_
    .private_segment_fixed_size: 0
    .sgpr_count:     94
    .sgpr_spill_count: 0
    .symbol:         _ZN7rocprim17ROCPRIM_400000_NS6detail17trampoline_kernelINS0_13select_configILj256ELj13ELNS0_17block_load_methodE3ELS4_3ELS4_3ELNS0_20block_scan_algorithmE0ELj4294967295EEENS1_25partition_config_selectorILNS1_17partition_subalgoE4EjNS0_10empty_typeEbEEZZNS1_14partition_implILS8_4ELb0ES6_15HIP_vector_typeIjLj2EENS0_17counting_iteratorIjlEEPS9_SG_NS0_5tupleIJPjSI_NS0_16reverse_iteratorISI_EEEEENSH_IJSG_SG_SG_EEES9_SI_JZNS1_25segmented_radix_sort_implINS0_14default_configELb0EPKaPaPKlPlN2at6native12_GLOBAL__N_18offset_tEEE10hipError_tPvRmT1_PNSt15iterator_traitsIS12_E10value_typeET2_T3_PNS13_IS18_E10value_typeET4_jRbjT5_S1E_jjP12ihipStream_tbEUljE_ZNSN_ISO_Lb0ESQ_SR_ST_SU_SY_EESZ_S10_S11_S12_S16_S17_S18_S1B_S1C_jS1D_jS1E_S1E_jjS1G_bEUljE0_EEESZ_S10_S11_S18_S1C_S1E_T6_T7_T9_mT8_S1G_bDpT10_ENKUlT_T0_E_clISt17integral_constantIbLb0EES1U_EEDaS1P_S1Q_EUlS1P_E_NS1_11comp_targetILNS1_3genE2ELNS1_11target_archE906ELNS1_3gpuE6ELNS1_3repE0EEENS1_30default_config_static_selectorELNS0_4arch9wavefront6targetE1EEEvS12_.kd
    .uniform_work_group_size: 1
    .uses_dynamic_stack: false
    .vgpr_count:     86
    .vgpr_spill_count: 0
    .wavefront_size: 64
  - .args:
      - .offset:         0
        .size:           176
        .value_kind:     by_value
    .group_segment_fixed_size: 0
    .kernarg_segment_align: 8
    .kernarg_segment_size: 176
    .language:       OpenCL C
    .language_version:
      - 2
      - 0
    .max_flat_workgroup_size: 256
    .name:           _ZN7rocprim17ROCPRIM_400000_NS6detail17trampoline_kernelINS0_13select_configILj256ELj13ELNS0_17block_load_methodE3ELS4_3ELS4_3ELNS0_20block_scan_algorithmE0ELj4294967295EEENS1_25partition_config_selectorILNS1_17partition_subalgoE4EjNS0_10empty_typeEbEEZZNS1_14partition_implILS8_4ELb0ES6_15HIP_vector_typeIjLj2EENS0_17counting_iteratorIjlEEPS9_SG_NS0_5tupleIJPjSI_NS0_16reverse_iteratorISI_EEEEENSH_IJSG_SG_SG_EEES9_SI_JZNS1_25segmented_radix_sort_implINS0_14default_configELb0EPKaPaPKlPlN2at6native12_GLOBAL__N_18offset_tEEE10hipError_tPvRmT1_PNSt15iterator_traitsIS12_E10value_typeET2_T3_PNS13_IS18_E10value_typeET4_jRbjT5_S1E_jjP12ihipStream_tbEUljE_ZNSN_ISO_Lb0ESQ_SR_ST_SU_SY_EESZ_S10_S11_S12_S16_S17_S18_S1B_S1C_jS1D_jS1E_S1E_jjS1G_bEUljE0_EEESZ_S10_S11_S18_S1C_S1E_T6_T7_T9_mT8_S1G_bDpT10_ENKUlT_T0_E_clISt17integral_constantIbLb0EES1U_EEDaS1P_S1Q_EUlS1P_E_NS1_11comp_targetILNS1_3genE10ELNS1_11target_archE1200ELNS1_3gpuE4ELNS1_3repE0EEENS1_30default_config_static_selectorELNS0_4arch9wavefront6targetE1EEEvS12_
    .private_segment_fixed_size: 0
    .sgpr_count:     4
    .sgpr_spill_count: 0
    .symbol:         _ZN7rocprim17ROCPRIM_400000_NS6detail17trampoline_kernelINS0_13select_configILj256ELj13ELNS0_17block_load_methodE3ELS4_3ELS4_3ELNS0_20block_scan_algorithmE0ELj4294967295EEENS1_25partition_config_selectorILNS1_17partition_subalgoE4EjNS0_10empty_typeEbEEZZNS1_14partition_implILS8_4ELb0ES6_15HIP_vector_typeIjLj2EENS0_17counting_iteratorIjlEEPS9_SG_NS0_5tupleIJPjSI_NS0_16reverse_iteratorISI_EEEEENSH_IJSG_SG_SG_EEES9_SI_JZNS1_25segmented_radix_sort_implINS0_14default_configELb0EPKaPaPKlPlN2at6native12_GLOBAL__N_18offset_tEEE10hipError_tPvRmT1_PNSt15iterator_traitsIS12_E10value_typeET2_T3_PNS13_IS18_E10value_typeET4_jRbjT5_S1E_jjP12ihipStream_tbEUljE_ZNSN_ISO_Lb0ESQ_SR_ST_SU_SY_EESZ_S10_S11_S12_S16_S17_S18_S1B_S1C_jS1D_jS1E_S1E_jjS1G_bEUljE0_EEESZ_S10_S11_S18_S1C_S1E_T6_T7_T9_mT8_S1G_bDpT10_ENKUlT_T0_E_clISt17integral_constantIbLb0EES1U_EEDaS1P_S1Q_EUlS1P_E_NS1_11comp_targetILNS1_3genE10ELNS1_11target_archE1200ELNS1_3gpuE4ELNS1_3repE0EEENS1_30default_config_static_selectorELNS0_4arch9wavefront6targetE1EEEvS12_.kd
    .uniform_work_group_size: 1
    .uses_dynamic_stack: false
    .vgpr_count:     0
    .vgpr_spill_count: 0
    .wavefront_size: 64
  - .args:
      - .offset:         0
        .size:           176
        .value_kind:     by_value
    .group_segment_fixed_size: 0
    .kernarg_segment_align: 8
    .kernarg_segment_size: 176
    .language:       OpenCL C
    .language_version:
      - 2
      - 0
    .max_flat_workgroup_size: 256
    .name:           _ZN7rocprim17ROCPRIM_400000_NS6detail17trampoline_kernelINS0_13select_configILj256ELj13ELNS0_17block_load_methodE3ELS4_3ELS4_3ELNS0_20block_scan_algorithmE0ELj4294967295EEENS1_25partition_config_selectorILNS1_17partition_subalgoE4EjNS0_10empty_typeEbEEZZNS1_14partition_implILS8_4ELb0ES6_15HIP_vector_typeIjLj2EENS0_17counting_iteratorIjlEEPS9_SG_NS0_5tupleIJPjSI_NS0_16reverse_iteratorISI_EEEEENSH_IJSG_SG_SG_EEES9_SI_JZNS1_25segmented_radix_sort_implINS0_14default_configELb0EPKaPaPKlPlN2at6native12_GLOBAL__N_18offset_tEEE10hipError_tPvRmT1_PNSt15iterator_traitsIS12_E10value_typeET2_T3_PNS13_IS18_E10value_typeET4_jRbjT5_S1E_jjP12ihipStream_tbEUljE_ZNSN_ISO_Lb0ESQ_SR_ST_SU_SY_EESZ_S10_S11_S12_S16_S17_S18_S1B_S1C_jS1D_jS1E_S1E_jjS1G_bEUljE0_EEESZ_S10_S11_S18_S1C_S1E_T6_T7_T9_mT8_S1G_bDpT10_ENKUlT_T0_E_clISt17integral_constantIbLb0EES1U_EEDaS1P_S1Q_EUlS1P_E_NS1_11comp_targetILNS1_3genE9ELNS1_11target_archE1100ELNS1_3gpuE3ELNS1_3repE0EEENS1_30default_config_static_selectorELNS0_4arch9wavefront6targetE1EEEvS12_
    .private_segment_fixed_size: 0
    .sgpr_count:     4
    .sgpr_spill_count: 0
    .symbol:         _ZN7rocprim17ROCPRIM_400000_NS6detail17trampoline_kernelINS0_13select_configILj256ELj13ELNS0_17block_load_methodE3ELS4_3ELS4_3ELNS0_20block_scan_algorithmE0ELj4294967295EEENS1_25partition_config_selectorILNS1_17partition_subalgoE4EjNS0_10empty_typeEbEEZZNS1_14partition_implILS8_4ELb0ES6_15HIP_vector_typeIjLj2EENS0_17counting_iteratorIjlEEPS9_SG_NS0_5tupleIJPjSI_NS0_16reverse_iteratorISI_EEEEENSH_IJSG_SG_SG_EEES9_SI_JZNS1_25segmented_radix_sort_implINS0_14default_configELb0EPKaPaPKlPlN2at6native12_GLOBAL__N_18offset_tEEE10hipError_tPvRmT1_PNSt15iterator_traitsIS12_E10value_typeET2_T3_PNS13_IS18_E10value_typeET4_jRbjT5_S1E_jjP12ihipStream_tbEUljE_ZNSN_ISO_Lb0ESQ_SR_ST_SU_SY_EESZ_S10_S11_S12_S16_S17_S18_S1B_S1C_jS1D_jS1E_S1E_jjS1G_bEUljE0_EEESZ_S10_S11_S18_S1C_S1E_T6_T7_T9_mT8_S1G_bDpT10_ENKUlT_T0_E_clISt17integral_constantIbLb0EES1U_EEDaS1P_S1Q_EUlS1P_E_NS1_11comp_targetILNS1_3genE9ELNS1_11target_archE1100ELNS1_3gpuE3ELNS1_3repE0EEENS1_30default_config_static_selectorELNS0_4arch9wavefront6targetE1EEEvS12_.kd
    .uniform_work_group_size: 1
    .uses_dynamic_stack: false
    .vgpr_count:     0
    .vgpr_spill_count: 0
    .wavefront_size: 64
  - .args:
      - .offset:         0
        .size:           176
        .value_kind:     by_value
    .group_segment_fixed_size: 0
    .kernarg_segment_align: 8
    .kernarg_segment_size: 176
    .language:       OpenCL C
    .language_version:
      - 2
      - 0
    .max_flat_workgroup_size: 256
    .name:           _ZN7rocprim17ROCPRIM_400000_NS6detail17trampoline_kernelINS0_13select_configILj256ELj13ELNS0_17block_load_methodE3ELS4_3ELS4_3ELNS0_20block_scan_algorithmE0ELj4294967295EEENS1_25partition_config_selectorILNS1_17partition_subalgoE4EjNS0_10empty_typeEbEEZZNS1_14partition_implILS8_4ELb0ES6_15HIP_vector_typeIjLj2EENS0_17counting_iteratorIjlEEPS9_SG_NS0_5tupleIJPjSI_NS0_16reverse_iteratorISI_EEEEENSH_IJSG_SG_SG_EEES9_SI_JZNS1_25segmented_radix_sort_implINS0_14default_configELb0EPKaPaPKlPlN2at6native12_GLOBAL__N_18offset_tEEE10hipError_tPvRmT1_PNSt15iterator_traitsIS12_E10value_typeET2_T3_PNS13_IS18_E10value_typeET4_jRbjT5_S1E_jjP12ihipStream_tbEUljE_ZNSN_ISO_Lb0ESQ_SR_ST_SU_SY_EESZ_S10_S11_S12_S16_S17_S18_S1B_S1C_jS1D_jS1E_S1E_jjS1G_bEUljE0_EEESZ_S10_S11_S18_S1C_S1E_T6_T7_T9_mT8_S1G_bDpT10_ENKUlT_T0_E_clISt17integral_constantIbLb0EES1U_EEDaS1P_S1Q_EUlS1P_E_NS1_11comp_targetILNS1_3genE8ELNS1_11target_archE1030ELNS1_3gpuE2ELNS1_3repE0EEENS1_30default_config_static_selectorELNS0_4arch9wavefront6targetE1EEEvS12_
    .private_segment_fixed_size: 0
    .sgpr_count:     4
    .sgpr_spill_count: 0
    .symbol:         _ZN7rocprim17ROCPRIM_400000_NS6detail17trampoline_kernelINS0_13select_configILj256ELj13ELNS0_17block_load_methodE3ELS4_3ELS4_3ELNS0_20block_scan_algorithmE0ELj4294967295EEENS1_25partition_config_selectorILNS1_17partition_subalgoE4EjNS0_10empty_typeEbEEZZNS1_14partition_implILS8_4ELb0ES6_15HIP_vector_typeIjLj2EENS0_17counting_iteratorIjlEEPS9_SG_NS0_5tupleIJPjSI_NS0_16reverse_iteratorISI_EEEEENSH_IJSG_SG_SG_EEES9_SI_JZNS1_25segmented_radix_sort_implINS0_14default_configELb0EPKaPaPKlPlN2at6native12_GLOBAL__N_18offset_tEEE10hipError_tPvRmT1_PNSt15iterator_traitsIS12_E10value_typeET2_T3_PNS13_IS18_E10value_typeET4_jRbjT5_S1E_jjP12ihipStream_tbEUljE_ZNSN_ISO_Lb0ESQ_SR_ST_SU_SY_EESZ_S10_S11_S12_S16_S17_S18_S1B_S1C_jS1D_jS1E_S1E_jjS1G_bEUljE0_EEESZ_S10_S11_S18_S1C_S1E_T6_T7_T9_mT8_S1G_bDpT10_ENKUlT_T0_E_clISt17integral_constantIbLb0EES1U_EEDaS1P_S1Q_EUlS1P_E_NS1_11comp_targetILNS1_3genE8ELNS1_11target_archE1030ELNS1_3gpuE2ELNS1_3repE0EEENS1_30default_config_static_selectorELNS0_4arch9wavefront6targetE1EEEvS12_.kd
    .uniform_work_group_size: 1
    .uses_dynamic_stack: false
    .vgpr_count:     0
    .vgpr_spill_count: 0
    .wavefront_size: 64
  - .args:
      - .offset:         0
        .size:           184
        .value_kind:     by_value
    .group_segment_fixed_size: 0
    .kernarg_segment_align: 8
    .kernarg_segment_size: 184
    .language:       OpenCL C
    .language_version:
      - 2
      - 0
    .max_flat_workgroup_size: 256
    .name:           _ZN7rocprim17ROCPRIM_400000_NS6detail17trampoline_kernelINS0_13select_configILj256ELj13ELNS0_17block_load_methodE3ELS4_3ELS4_3ELNS0_20block_scan_algorithmE0ELj4294967295EEENS1_25partition_config_selectorILNS1_17partition_subalgoE4EjNS0_10empty_typeEbEEZZNS1_14partition_implILS8_4ELb0ES6_15HIP_vector_typeIjLj2EENS0_17counting_iteratorIjlEEPS9_SG_NS0_5tupleIJPjSI_NS0_16reverse_iteratorISI_EEEEENSH_IJSG_SG_SG_EEES9_SI_JZNS1_25segmented_radix_sort_implINS0_14default_configELb0EPKaPaPKlPlN2at6native12_GLOBAL__N_18offset_tEEE10hipError_tPvRmT1_PNSt15iterator_traitsIS12_E10value_typeET2_T3_PNS13_IS18_E10value_typeET4_jRbjT5_S1E_jjP12ihipStream_tbEUljE_ZNSN_ISO_Lb0ESQ_SR_ST_SU_SY_EESZ_S10_S11_S12_S16_S17_S18_S1B_S1C_jS1D_jS1E_S1E_jjS1G_bEUljE0_EEESZ_S10_S11_S18_S1C_S1E_T6_T7_T9_mT8_S1G_bDpT10_ENKUlT_T0_E_clISt17integral_constantIbLb1EES1U_EEDaS1P_S1Q_EUlS1P_E_NS1_11comp_targetILNS1_3genE0ELNS1_11target_archE4294967295ELNS1_3gpuE0ELNS1_3repE0EEENS1_30default_config_static_selectorELNS0_4arch9wavefront6targetE1EEEvS12_
    .private_segment_fixed_size: 0
    .sgpr_count:     4
    .sgpr_spill_count: 0
    .symbol:         _ZN7rocprim17ROCPRIM_400000_NS6detail17trampoline_kernelINS0_13select_configILj256ELj13ELNS0_17block_load_methodE3ELS4_3ELS4_3ELNS0_20block_scan_algorithmE0ELj4294967295EEENS1_25partition_config_selectorILNS1_17partition_subalgoE4EjNS0_10empty_typeEbEEZZNS1_14partition_implILS8_4ELb0ES6_15HIP_vector_typeIjLj2EENS0_17counting_iteratorIjlEEPS9_SG_NS0_5tupleIJPjSI_NS0_16reverse_iteratorISI_EEEEENSH_IJSG_SG_SG_EEES9_SI_JZNS1_25segmented_radix_sort_implINS0_14default_configELb0EPKaPaPKlPlN2at6native12_GLOBAL__N_18offset_tEEE10hipError_tPvRmT1_PNSt15iterator_traitsIS12_E10value_typeET2_T3_PNS13_IS18_E10value_typeET4_jRbjT5_S1E_jjP12ihipStream_tbEUljE_ZNSN_ISO_Lb0ESQ_SR_ST_SU_SY_EESZ_S10_S11_S12_S16_S17_S18_S1B_S1C_jS1D_jS1E_S1E_jjS1G_bEUljE0_EEESZ_S10_S11_S18_S1C_S1E_T6_T7_T9_mT8_S1G_bDpT10_ENKUlT_T0_E_clISt17integral_constantIbLb1EES1U_EEDaS1P_S1Q_EUlS1P_E_NS1_11comp_targetILNS1_3genE0ELNS1_11target_archE4294967295ELNS1_3gpuE0ELNS1_3repE0EEENS1_30default_config_static_selectorELNS0_4arch9wavefront6targetE1EEEvS12_.kd
    .uniform_work_group_size: 1
    .uses_dynamic_stack: false
    .vgpr_count:     0
    .vgpr_spill_count: 0
    .wavefront_size: 64
  - .args:
      - .offset:         0
        .size:           184
        .value_kind:     by_value
    .group_segment_fixed_size: 0
    .kernarg_segment_align: 8
    .kernarg_segment_size: 184
    .language:       OpenCL C
    .language_version:
      - 2
      - 0
    .max_flat_workgroup_size: 256
    .name:           _ZN7rocprim17ROCPRIM_400000_NS6detail17trampoline_kernelINS0_13select_configILj256ELj13ELNS0_17block_load_methodE3ELS4_3ELS4_3ELNS0_20block_scan_algorithmE0ELj4294967295EEENS1_25partition_config_selectorILNS1_17partition_subalgoE4EjNS0_10empty_typeEbEEZZNS1_14partition_implILS8_4ELb0ES6_15HIP_vector_typeIjLj2EENS0_17counting_iteratorIjlEEPS9_SG_NS0_5tupleIJPjSI_NS0_16reverse_iteratorISI_EEEEENSH_IJSG_SG_SG_EEES9_SI_JZNS1_25segmented_radix_sort_implINS0_14default_configELb0EPKaPaPKlPlN2at6native12_GLOBAL__N_18offset_tEEE10hipError_tPvRmT1_PNSt15iterator_traitsIS12_E10value_typeET2_T3_PNS13_IS18_E10value_typeET4_jRbjT5_S1E_jjP12ihipStream_tbEUljE_ZNSN_ISO_Lb0ESQ_SR_ST_SU_SY_EESZ_S10_S11_S12_S16_S17_S18_S1B_S1C_jS1D_jS1E_S1E_jjS1G_bEUljE0_EEESZ_S10_S11_S18_S1C_S1E_T6_T7_T9_mT8_S1G_bDpT10_ENKUlT_T0_E_clISt17integral_constantIbLb1EES1U_EEDaS1P_S1Q_EUlS1P_E_NS1_11comp_targetILNS1_3genE5ELNS1_11target_archE942ELNS1_3gpuE9ELNS1_3repE0EEENS1_30default_config_static_selectorELNS0_4arch9wavefront6targetE1EEEvS12_
    .private_segment_fixed_size: 0
    .sgpr_count:     4
    .sgpr_spill_count: 0
    .symbol:         _ZN7rocprim17ROCPRIM_400000_NS6detail17trampoline_kernelINS0_13select_configILj256ELj13ELNS0_17block_load_methodE3ELS4_3ELS4_3ELNS0_20block_scan_algorithmE0ELj4294967295EEENS1_25partition_config_selectorILNS1_17partition_subalgoE4EjNS0_10empty_typeEbEEZZNS1_14partition_implILS8_4ELb0ES6_15HIP_vector_typeIjLj2EENS0_17counting_iteratorIjlEEPS9_SG_NS0_5tupleIJPjSI_NS0_16reverse_iteratorISI_EEEEENSH_IJSG_SG_SG_EEES9_SI_JZNS1_25segmented_radix_sort_implINS0_14default_configELb0EPKaPaPKlPlN2at6native12_GLOBAL__N_18offset_tEEE10hipError_tPvRmT1_PNSt15iterator_traitsIS12_E10value_typeET2_T3_PNS13_IS18_E10value_typeET4_jRbjT5_S1E_jjP12ihipStream_tbEUljE_ZNSN_ISO_Lb0ESQ_SR_ST_SU_SY_EESZ_S10_S11_S12_S16_S17_S18_S1B_S1C_jS1D_jS1E_S1E_jjS1G_bEUljE0_EEESZ_S10_S11_S18_S1C_S1E_T6_T7_T9_mT8_S1G_bDpT10_ENKUlT_T0_E_clISt17integral_constantIbLb1EES1U_EEDaS1P_S1Q_EUlS1P_E_NS1_11comp_targetILNS1_3genE5ELNS1_11target_archE942ELNS1_3gpuE9ELNS1_3repE0EEENS1_30default_config_static_selectorELNS0_4arch9wavefront6targetE1EEEvS12_.kd
    .uniform_work_group_size: 1
    .uses_dynamic_stack: false
    .vgpr_count:     0
    .vgpr_spill_count: 0
    .wavefront_size: 64
  - .args:
      - .offset:         0
        .size:           184
        .value_kind:     by_value
    .group_segment_fixed_size: 0
    .kernarg_segment_align: 8
    .kernarg_segment_size: 184
    .language:       OpenCL C
    .language_version:
      - 2
      - 0
    .max_flat_workgroup_size: 256
    .name:           _ZN7rocprim17ROCPRIM_400000_NS6detail17trampoline_kernelINS0_13select_configILj256ELj13ELNS0_17block_load_methodE3ELS4_3ELS4_3ELNS0_20block_scan_algorithmE0ELj4294967295EEENS1_25partition_config_selectorILNS1_17partition_subalgoE4EjNS0_10empty_typeEbEEZZNS1_14partition_implILS8_4ELb0ES6_15HIP_vector_typeIjLj2EENS0_17counting_iteratorIjlEEPS9_SG_NS0_5tupleIJPjSI_NS0_16reverse_iteratorISI_EEEEENSH_IJSG_SG_SG_EEES9_SI_JZNS1_25segmented_radix_sort_implINS0_14default_configELb0EPKaPaPKlPlN2at6native12_GLOBAL__N_18offset_tEEE10hipError_tPvRmT1_PNSt15iterator_traitsIS12_E10value_typeET2_T3_PNS13_IS18_E10value_typeET4_jRbjT5_S1E_jjP12ihipStream_tbEUljE_ZNSN_ISO_Lb0ESQ_SR_ST_SU_SY_EESZ_S10_S11_S12_S16_S17_S18_S1B_S1C_jS1D_jS1E_S1E_jjS1G_bEUljE0_EEESZ_S10_S11_S18_S1C_S1E_T6_T7_T9_mT8_S1G_bDpT10_ENKUlT_T0_E_clISt17integral_constantIbLb1EES1U_EEDaS1P_S1Q_EUlS1P_E_NS1_11comp_targetILNS1_3genE4ELNS1_11target_archE910ELNS1_3gpuE8ELNS1_3repE0EEENS1_30default_config_static_selectorELNS0_4arch9wavefront6targetE1EEEvS12_
    .private_segment_fixed_size: 0
    .sgpr_count:     4
    .sgpr_spill_count: 0
    .symbol:         _ZN7rocprim17ROCPRIM_400000_NS6detail17trampoline_kernelINS0_13select_configILj256ELj13ELNS0_17block_load_methodE3ELS4_3ELS4_3ELNS0_20block_scan_algorithmE0ELj4294967295EEENS1_25partition_config_selectorILNS1_17partition_subalgoE4EjNS0_10empty_typeEbEEZZNS1_14partition_implILS8_4ELb0ES6_15HIP_vector_typeIjLj2EENS0_17counting_iteratorIjlEEPS9_SG_NS0_5tupleIJPjSI_NS0_16reverse_iteratorISI_EEEEENSH_IJSG_SG_SG_EEES9_SI_JZNS1_25segmented_radix_sort_implINS0_14default_configELb0EPKaPaPKlPlN2at6native12_GLOBAL__N_18offset_tEEE10hipError_tPvRmT1_PNSt15iterator_traitsIS12_E10value_typeET2_T3_PNS13_IS18_E10value_typeET4_jRbjT5_S1E_jjP12ihipStream_tbEUljE_ZNSN_ISO_Lb0ESQ_SR_ST_SU_SY_EESZ_S10_S11_S12_S16_S17_S18_S1B_S1C_jS1D_jS1E_S1E_jjS1G_bEUljE0_EEESZ_S10_S11_S18_S1C_S1E_T6_T7_T9_mT8_S1G_bDpT10_ENKUlT_T0_E_clISt17integral_constantIbLb1EES1U_EEDaS1P_S1Q_EUlS1P_E_NS1_11comp_targetILNS1_3genE4ELNS1_11target_archE910ELNS1_3gpuE8ELNS1_3repE0EEENS1_30default_config_static_selectorELNS0_4arch9wavefront6targetE1EEEvS12_.kd
    .uniform_work_group_size: 1
    .uses_dynamic_stack: false
    .vgpr_count:     0
    .vgpr_spill_count: 0
    .wavefront_size: 64
  - .args:
      - .offset:         0
        .size:           184
        .value_kind:     by_value
    .group_segment_fixed_size: 0
    .kernarg_segment_align: 8
    .kernarg_segment_size: 184
    .language:       OpenCL C
    .language_version:
      - 2
      - 0
    .max_flat_workgroup_size: 256
    .name:           _ZN7rocprim17ROCPRIM_400000_NS6detail17trampoline_kernelINS0_13select_configILj256ELj13ELNS0_17block_load_methodE3ELS4_3ELS4_3ELNS0_20block_scan_algorithmE0ELj4294967295EEENS1_25partition_config_selectorILNS1_17partition_subalgoE4EjNS0_10empty_typeEbEEZZNS1_14partition_implILS8_4ELb0ES6_15HIP_vector_typeIjLj2EENS0_17counting_iteratorIjlEEPS9_SG_NS0_5tupleIJPjSI_NS0_16reverse_iteratorISI_EEEEENSH_IJSG_SG_SG_EEES9_SI_JZNS1_25segmented_radix_sort_implINS0_14default_configELb0EPKaPaPKlPlN2at6native12_GLOBAL__N_18offset_tEEE10hipError_tPvRmT1_PNSt15iterator_traitsIS12_E10value_typeET2_T3_PNS13_IS18_E10value_typeET4_jRbjT5_S1E_jjP12ihipStream_tbEUljE_ZNSN_ISO_Lb0ESQ_SR_ST_SU_SY_EESZ_S10_S11_S12_S16_S17_S18_S1B_S1C_jS1D_jS1E_S1E_jjS1G_bEUljE0_EEESZ_S10_S11_S18_S1C_S1E_T6_T7_T9_mT8_S1G_bDpT10_ENKUlT_T0_E_clISt17integral_constantIbLb1EES1U_EEDaS1P_S1Q_EUlS1P_E_NS1_11comp_targetILNS1_3genE3ELNS1_11target_archE908ELNS1_3gpuE7ELNS1_3repE0EEENS1_30default_config_static_selectorELNS0_4arch9wavefront6targetE1EEEvS12_
    .private_segment_fixed_size: 0
    .sgpr_count:     4
    .sgpr_spill_count: 0
    .symbol:         _ZN7rocprim17ROCPRIM_400000_NS6detail17trampoline_kernelINS0_13select_configILj256ELj13ELNS0_17block_load_methodE3ELS4_3ELS4_3ELNS0_20block_scan_algorithmE0ELj4294967295EEENS1_25partition_config_selectorILNS1_17partition_subalgoE4EjNS0_10empty_typeEbEEZZNS1_14partition_implILS8_4ELb0ES6_15HIP_vector_typeIjLj2EENS0_17counting_iteratorIjlEEPS9_SG_NS0_5tupleIJPjSI_NS0_16reverse_iteratorISI_EEEEENSH_IJSG_SG_SG_EEES9_SI_JZNS1_25segmented_radix_sort_implINS0_14default_configELb0EPKaPaPKlPlN2at6native12_GLOBAL__N_18offset_tEEE10hipError_tPvRmT1_PNSt15iterator_traitsIS12_E10value_typeET2_T3_PNS13_IS18_E10value_typeET4_jRbjT5_S1E_jjP12ihipStream_tbEUljE_ZNSN_ISO_Lb0ESQ_SR_ST_SU_SY_EESZ_S10_S11_S12_S16_S17_S18_S1B_S1C_jS1D_jS1E_S1E_jjS1G_bEUljE0_EEESZ_S10_S11_S18_S1C_S1E_T6_T7_T9_mT8_S1G_bDpT10_ENKUlT_T0_E_clISt17integral_constantIbLb1EES1U_EEDaS1P_S1Q_EUlS1P_E_NS1_11comp_targetILNS1_3genE3ELNS1_11target_archE908ELNS1_3gpuE7ELNS1_3repE0EEENS1_30default_config_static_selectorELNS0_4arch9wavefront6targetE1EEEvS12_.kd
    .uniform_work_group_size: 1
    .uses_dynamic_stack: false
    .vgpr_count:     0
    .vgpr_spill_count: 0
    .wavefront_size: 64
  - .args:
      - .offset:         0
        .size:           184
        .value_kind:     by_value
    .group_segment_fixed_size: 0
    .kernarg_segment_align: 8
    .kernarg_segment_size: 184
    .language:       OpenCL C
    .language_version:
      - 2
      - 0
    .max_flat_workgroup_size: 256
    .name:           _ZN7rocprim17ROCPRIM_400000_NS6detail17trampoline_kernelINS0_13select_configILj256ELj13ELNS0_17block_load_methodE3ELS4_3ELS4_3ELNS0_20block_scan_algorithmE0ELj4294967295EEENS1_25partition_config_selectorILNS1_17partition_subalgoE4EjNS0_10empty_typeEbEEZZNS1_14partition_implILS8_4ELb0ES6_15HIP_vector_typeIjLj2EENS0_17counting_iteratorIjlEEPS9_SG_NS0_5tupleIJPjSI_NS0_16reverse_iteratorISI_EEEEENSH_IJSG_SG_SG_EEES9_SI_JZNS1_25segmented_radix_sort_implINS0_14default_configELb0EPKaPaPKlPlN2at6native12_GLOBAL__N_18offset_tEEE10hipError_tPvRmT1_PNSt15iterator_traitsIS12_E10value_typeET2_T3_PNS13_IS18_E10value_typeET4_jRbjT5_S1E_jjP12ihipStream_tbEUljE_ZNSN_ISO_Lb0ESQ_SR_ST_SU_SY_EESZ_S10_S11_S12_S16_S17_S18_S1B_S1C_jS1D_jS1E_S1E_jjS1G_bEUljE0_EEESZ_S10_S11_S18_S1C_S1E_T6_T7_T9_mT8_S1G_bDpT10_ENKUlT_T0_E_clISt17integral_constantIbLb1EES1U_EEDaS1P_S1Q_EUlS1P_E_NS1_11comp_targetILNS1_3genE2ELNS1_11target_archE906ELNS1_3gpuE6ELNS1_3repE0EEENS1_30default_config_static_selectorELNS0_4arch9wavefront6targetE1EEEvS12_
    .private_segment_fixed_size: 0
    .sgpr_count:     4
    .sgpr_spill_count: 0
    .symbol:         _ZN7rocprim17ROCPRIM_400000_NS6detail17trampoline_kernelINS0_13select_configILj256ELj13ELNS0_17block_load_methodE3ELS4_3ELS4_3ELNS0_20block_scan_algorithmE0ELj4294967295EEENS1_25partition_config_selectorILNS1_17partition_subalgoE4EjNS0_10empty_typeEbEEZZNS1_14partition_implILS8_4ELb0ES6_15HIP_vector_typeIjLj2EENS0_17counting_iteratorIjlEEPS9_SG_NS0_5tupleIJPjSI_NS0_16reverse_iteratorISI_EEEEENSH_IJSG_SG_SG_EEES9_SI_JZNS1_25segmented_radix_sort_implINS0_14default_configELb0EPKaPaPKlPlN2at6native12_GLOBAL__N_18offset_tEEE10hipError_tPvRmT1_PNSt15iterator_traitsIS12_E10value_typeET2_T3_PNS13_IS18_E10value_typeET4_jRbjT5_S1E_jjP12ihipStream_tbEUljE_ZNSN_ISO_Lb0ESQ_SR_ST_SU_SY_EESZ_S10_S11_S12_S16_S17_S18_S1B_S1C_jS1D_jS1E_S1E_jjS1G_bEUljE0_EEESZ_S10_S11_S18_S1C_S1E_T6_T7_T9_mT8_S1G_bDpT10_ENKUlT_T0_E_clISt17integral_constantIbLb1EES1U_EEDaS1P_S1Q_EUlS1P_E_NS1_11comp_targetILNS1_3genE2ELNS1_11target_archE906ELNS1_3gpuE6ELNS1_3repE0EEENS1_30default_config_static_selectorELNS0_4arch9wavefront6targetE1EEEvS12_.kd
    .uniform_work_group_size: 1
    .uses_dynamic_stack: false
    .vgpr_count:     0
    .vgpr_spill_count: 0
    .wavefront_size: 64
  - .args:
      - .offset:         0
        .size:           184
        .value_kind:     by_value
    .group_segment_fixed_size: 0
    .kernarg_segment_align: 8
    .kernarg_segment_size: 184
    .language:       OpenCL C
    .language_version:
      - 2
      - 0
    .max_flat_workgroup_size: 256
    .name:           _ZN7rocprim17ROCPRIM_400000_NS6detail17trampoline_kernelINS0_13select_configILj256ELj13ELNS0_17block_load_methodE3ELS4_3ELS4_3ELNS0_20block_scan_algorithmE0ELj4294967295EEENS1_25partition_config_selectorILNS1_17partition_subalgoE4EjNS0_10empty_typeEbEEZZNS1_14partition_implILS8_4ELb0ES6_15HIP_vector_typeIjLj2EENS0_17counting_iteratorIjlEEPS9_SG_NS0_5tupleIJPjSI_NS0_16reverse_iteratorISI_EEEEENSH_IJSG_SG_SG_EEES9_SI_JZNS1_25segmented_radix_sort_implINS0_14default_configELb0EPKaPaPKlPlN2at6native12_GLOBAL__N_18offset_tEEE10hipError_tPvRmT1_PNSt15iterator_traitsIS12_E10value_typeET2_T3_PNS13_IS18_E10value_typeET4_jRbjT5_S1E_jjP12ihipStream_tbEUljE_ZNSN_ISO_Lb0ESQ_SR_ST_SU_SY_EESZ_S10_S11_S12_S16_S17_S18_S1B_S1C_jS1D_jS1E_S1E_jjS1G_bEUljE0_EEESZ_S10_S11_S18_S1C_S1E_T6_T7_T9_mT8_S1G_bDpT10_ENKUlT_T0_E_clISt17integral_constantIbLb1EES1U_EEDaS1P_S1Q_EUlS1P_E_NS1_11comp_targetILNS1_3genE10ELNS1_11target_archE1200ELNS1_3gpuE4ELNS1_3repE0EEENS1_30default_config_static_selectorELNS0_4arch9wavefront6targetE1EEEvS12_
    .private_segment_fixed_size: 0
    .sgpr_count:     4
    .sgpr_spill_count: 0
    .symbol:         _ZN7rocprim17ROCPRIM_400000_NS6detail17trampoline_kernelINS0_13select_configILj256ELj13ELNS0_17block_load_methodE3ELS4_3ELS4_3ELNS0_20block_scan_algorithmE0ELj4294967295EEENS1_25partition_config_selectorILNS1_17partition_subalgoE4EjNS0_10empty_typeEbEEZZNS1_14partition_implILS8_4ELb0ES6_15HIP_vector_typeIjLj2EENS0_17counting_iteratorIjlEEPS9_SG_NS0_5tupleIJPjSI_NS0_16reverse_iteratorISI_EEEEENSH_IJSG_SG_SG_EEES9_SI_JZNS1_25segmented_radix_sort_implINS0_14default_configELb0EPKaPaPKlPlN2at6native12_GLOBAL__N_18offset_tEEE10hipError_tPvRmT1_PNSt15iterator_traitsIS12_E10value_typeET2_T3_PNS13_IS18_E10value_typeET4_jRbjT5_S1E_jjP12ihipStream_tbEUljE_ZNSN_ISO_Lb0ESQ_SR_ST_SU_SY_EESZ_S10_S11_S12_S16_S17_S18_S1B_S1C_jS1D_jS1E_S1E_jjS1G_bEUljE0_EEESZ_S10_S11_S18_S1C_S1E_T6_T7_T9_mT8_S1G_bDpT10_ENKUlT_T0_E_clISt17integral_constantIbLb1EES1U_EEDaS1P_S1Q_EUlS1P_E_NS1_11comp_targetILNS1_3genE10ELNS1_11target_archE1200ELNS1_3gpuE4ELNS1_3repE0EEENS1_30default_config_static_selectorELNS0_4arch9wavefront6targetE1EEEvS12_.kd
    .uniform_work_group_size: 1
    .uses_dynamic_stack: false
    .vgpr_count:     0
    .vgpr_spill_count: 0
    .wavefront_size: 64
  - .args:
      - .offset:         0
        .size:           184
        .value_kind:     by_value
    .group_segment_fixed_size: 0
    .kernarg_segment_align: 8
    .kernarg_segment_size: 184
    .language:       OpenCL C
    .language_version:
      - 2
      - 0
    .max_flat_workgroup_size: 256
    .name:           _ZN7rocprim17ROCPRIM_400000_NS6detail17trampoline_kernelINS0_13select_configILj256ELj13ELNS0_17block_load_methodE3ELS4_3ELS4_3ELNS0_20block_scan_algorithmE0ELj4294967295EEENS1_25partition_config_selectorILNS1_17partition_subalgoE4EjNS0_10empty_typeEbEEZZNS1_14partition_implILS8_4ELb0ES6_15HIP_vector_typeIjLj2EENS0_17counting_iteratorIjlEEPS9_SG_NS0_5tupleIJPjSI_NS0_16reverse_iteratorISI_EEEEENSH_IJSG_SG_SG_EEES9_SI_JZNS1_25segmented_radix_sort_implINS0_14default_configELb0EPKaPaPKlPlN2at6native12_GLOBAL__N_18offset_tEEE10hipError_tPvRmT1_PNSt15iterator_traitsIS12_E10value_typeET2_T3_PNS13_IS18_E10value_typeET4_jRbjT5_S1E_jjP12ihipStream_tbEUljE_ZNSN_ISO_Lb0ESQ_SR_ST_SU_SY_EESZ_S10_S11_S12_S16_S17_S18_S1B_S1C_jS1D_jS1E_S1E_jjS1G_bEUljE0_EEESZ_S10_S11_S18_S1C_S1E_T6_T7_T9_mT8_S1G_bDpT10_ENKUlT_T0_E_clISt17integral_constantIbLb1EES1U_EEDaS1P_S1Q_EUlS1P_E_NS1_11comp_targetILNS1_3genE9ELNS1_11target_archE1100ELNS1_3gpuE3ELNS1_3repE0EEENS1_30default_config_static_selectorELNS0_4arch9wavefront6targetE1EEEvS12_
    .private_segment_fixed_size: 0
    .sgpr_count:     4
    .sgpr_spill_count: 0
    .symbol:         _ZN7rocprim17ROCPRIM_400000_NS6detail17trampoline_kernelINS0_13select_configILj256ELj13ELNS0_17block_load_methodE3ELS4_3ELS4_3ELNS0_20block_scan_algorithmE0ELj4294967295EEENS1_25partition_config_selectorILNS1_17partition_subalgoE4EjNS0_10empty_typeEbEEZZNS1_14partition_implILS8_4ELb0ES6_15HIP_vector_typeIjLj2EENS0_17counting_iteratorIjlEEPS9_SG_NS0_5tupleIJPjSI_NS0_16reverse_iteratorISI_EEEEENSH_IJSG_SG_SG_EEES9_SI_JZNS1_25segmented_radix_sort_implINS0_14default_configELb0EPKaPaPKlPlN2at6native12_GLOBAL__N_18offset_tEEE10hipError_tPvRmT1_PNSt15iterator_traitsIS12_E10value_typeET2_T3_PNS13_IS18_E10value_typeET4_jRbjT5_S1E_jjP12ihipStream_tbEUljE_ZNSN_ISO_Lb0ESQ_SR_ST_SU_SY_EESZ_S10_S11_S12_S16_S17_S18_S1B_S1C_jS1D_jS1E_S1E_jjS1G_bEUljE0_EEESZ_S10_S11_S18_S1C_S1E_T6_T7_T9_mT8_S1G_bDpT10_ENKUlT_T0_E_clISt17integral_constantIbLb1EES1U_EEDaS1P_S1Q_EUlS1P_E_NS1_11comp_targetILNS1_3genE9ELNS1_11target_archE1100ELNS1_3gpuE3ELNS1_3repE0EEENS1_30default_config_static_selectorELNS0_4arch9wavefront6targetE1EEEvS12_.kd
    .uniform_work_group_size: 1
    .uses_dynamic_stack: false
    .vgpr_count:     0
    .vgpr_spill_count: 0
    .wavefront_size: 64
  - .args:
      - .offset:         0
        .size:           184
        .value_kind:     by_value
    .group_segment_fixed_size: 0
    .kernarg_segment_align: 8
    .kernarg_segment_size: 184
    .language:       OpenCL C
    .language_version:
      - 2
      - 0
    .max_flat_workgroup_size: 256
    .name:           _ZN7rocprim17ROCPRIM_400000_NS6detail17trampoline_kernelINS0_13select_configILj256ELj13ELNS0_17block_load_methodE3ELS4_3ELS4_3ELNS0_20block_scan_algorithmE0ELj4294967295EEENS1_25partition_config_selectorILNS1_17partition_subalgoE4EjNS0_10empty_typeEbEEZZNS1_14partition_implILS8_4ELb0ES6_15HIP_vector_typeIjLj2EENS0_17counting_iteratorIjlEEPS9_SG_NS0_5tupleIJPjSI_NS0_16reverse_iteratorISI_EEEEENSH_IJSG_SG_SG_EEES9_SI_JZNS1_25segmented_radix_sort_implINS0_14default_configELb0EPKaPaPKlPlN2at6native12_GLOBAL__N_18offset_tEEE10hipError_tPvRmT1_PNSt15iterator_traitsIS12_E10value_typeET2_T3_PNS13_IS18_E10value_typeET4_jRbjT5_S1E_jjP12ihipStream_tbEUljE_ZNSN_ISO_Lb0ESQ_SR_ST_SU_SY_EESZ_S10_S11_S12_S16_S17_S18_S1B_S1C_jS1D_jS1E_S1E_jjS1G_bEUljE0_EEESZ_S10_S11_S18_S1C_S1E_T6_T7_T9_mT8_S1G_bDpT10_ENKUlT_T0_E_clISt17integral_constantIbLb1EES1U_EEDaS1P_S1Q_EUlS1P_E_NS1_11comp_targetILNS1_3genE8ELNS1_11target_archE1030ELNS1_3gpuE2ELNS1_3repE0EEENS1_30default_config_static_selectorELNS0_4arch9wavefront6targetE1EEEvS12_
    .private_segment_fixed_size: 0
    .sgpr_count:     4
    .sgpr_spill_count: 0
    .symbol:         _ZN7rocprim17ROCPRIM_400000_NS6detail17trampoline_kernelINS0_13select_configILj256ELj13ELNS0_17block_load_methodE3ELS4_3ELS4_3ELNS0_20block_scan_algorithmE0ELj4294967295EEENS1_25partition_config_selectorILNS1_17partition_subalgoE4EjNS0_10empty_typeEbEEZZNS1_14partition_implILS8_4ELb0ES6_15HIP_vector_typeIjLj2EENS0_17counting_iteratorIjlEEPS9_SG_NS0_5tupleIJPjSI_NS0_16reverse_iteratorISI_EEEEENSH_IJSG_SG_SG_EEES9_SI_JZNS1_25segmented_radix_sort_implINS0_14default_configELb0EPKaPaPKlPlN2at6native12_GLOBAL__N_18offset_tEEE10hipError_tPvRmT1_PNSt15iterator_traitsIS12_E10value_typeET2_T3_PNS13_IS18_E10value_typeET4_jRbjT5_S1E_jjP12ihipStream_tbEUljE_ZNSN_ISO_Lb0ESQ_SR_ST_SU_SY_EESZ_S10_S11_S12_S16_S17_S18_S1B_S1C_jS1D_jS1E_S1E_jjS1G_bEUljE0_EEESZ_S10_S11_S18_S1C_S1E_T6_T7_T9_mT8_S1G_bDpT10_ENKUlT_T0_E_clISt17integral_constantIbLb1EES1U_EEDaS1P_S1Q_EUlS1P_E_NS1_11comp_targetILNS1_3genE8ELNS1_11target_archE1030ELNS1_3gpuE2ELNS1_3repE0EEENS1_30default_config_static_selectorELNS0_4arch9wavefront6targetE1EEEvS12_.kd
    .uniform_work_group_size: 1
    .uses_dynamic_stack: false
    .vgpr_count:     0
    .vgpr_spill_count: 0
    .wavefront_size: 64
  - .args:
      - .offset:         0
        .size:           176
        .value_kind:     by_value
    .group_segment_fixed_size: 0
    .kernarg_segment_align: 8
    .kernarg_segment_size: 176
    .language:       OpenCL C
    .language_version:
      - 2
      - 0
    .max_flat_workgroup_size: 256
    .name:           _ZN7rocprim17ROCPRIM_400000_NS6detail17trampoline_kernelINS0_13select_configILj256ELj13ELNS0_17block_load_methodE3ELS4_3ELS4_3ELNS0_20block_scan_algorithmE0ELj4294967295EEENS1_25partition_config_selectorILNS1_17partition_subalgoE4EjNS0_10empty_typeEbEEZZNS1_14partition_implILS8_4ELb0ES6_15HIP_vector_typeIjLj2EENS0_17counting_iteratorIjlEEPS9_SG_NS0_5tupleIJPjSI_NS0_16reverse_iteratorISI_EEEEENSH_IJSG_SG_SG_EEES9_SI_JZNS1_25segmented_radix_sort_implINS0_14default_configELb0EPKaPaPKlPlN2at6native12_GLOBAL__N_18offset_tEEE10hipError_tPvRmT1_PNSt15iterator_traitsIS12_E10value_typeET2_T3_PNS13_IS18_E10value_typeET4_jRbjT5_S1E_jjP12ihipStream_tbEUljE_ZNSN_ISO_Lb0ESQ_SR_ST_SU_SY_EESZ_S10_S11_S12_S16_S17_S18_S1B_S1C_jS1D_jS1E_S1E_jjS1G_bEUljE0_EEESZ_S10_S11_S18_S1C_S1E_T6_T7_T9_mT8_S1G_bDpT10_ENKUlT_T0_E_clISt17integral_constantIbLb1EES1T_IbLb0EEEEDaS1P_S1Q_EUlS1P_E_NS1_11comp_targetILNS1_3genE0ELNS1_11target_archE4294967295ELNS1_3gpuE0ELNS1_3repE0EEENS1_30default_config_static_selectorELNS0_4arch9wavefront6targetE1EEEvS12_
    .private_segment_fixed_size: 0
    .sgpr_count:     4
    .sgpr_spill_count: 0
    .symbol:         _ZN7rocprim17ROCPRIM_400000_NS6detail17trampoline_kernelINS0_13select_configILj256ELj13ELNS0_17block_load_methodE3ELS4_3ELS4_3ELNS0_20block_scan_algorithmE0ELj4294967295EEENS1_25partition_config_selectorILNS1_17partition_subalgoE4EjNS0_10empty_typeEbEEZZNS1_14partition_implILS8_4ELb0ES6_15HIP_vector_typeIjLj2EENS0_17counting_iteratorIjlEEPS9_SG_NS0_5tupleIJPjSI_NS0_16reverse_iteratorISI_EEEEENSH_IJSG_SG_SG_EEES9_SI_JZNS1_25segmented_radix_sort_implINS0_14default_configELb0EPKaPaPKlPlN2at6native12_GLOBAL__N_18offset_tEEE10hipError_tPvRmT1_PNSt15iterator_traitsIS12_E10value_typeET2_T3_PNS13_IS18_E10value_typeET4_jRbjT5_S1E_jjP12ihipStream_tbEUljE_ZNSN_ISO_Lb0ESQ_SR_ST_SU_SY_EESZ_S10_S11_S12_S16_S17_S18_S1B_S1C_jS1D_jS1E_S1E_jjS1G_bEUljE0_EEESZ_S10_S11_S18_S1C_S1E_T6_T7_T9_mT8_S1G_bDpT10_ENKUlT_T0_E_clISt17integral_constantIbLb1EES1T_IbLb0EEEEDaS1P_S1Q_EUlS1P_E_NS1_11comp_targetILNS1_3genE0ELNS1_11target_archE4294967295ELNS1_3gpuE0ELNS1_3repE0EEENS1_30default_config_static_selectorELNS0_4arch9wavefront6targetE1EEEvS12_.kd
    .uniform_work_group_size: 1
    .uses_dynamic_stack: false
    .vgpr_count:     0
    .vgpr_spill_count: 0
    .wavefront_size: 64
  - .args:
      - .offset:         0
        .size:           176
        .value_kind:     by_value
    .group_segment_fixed_size: 0
    .kernarg_segment_align: 8
    .kernarg_segment_size: 176
    .language:       OpenCL C
    .language_version:
      - 2
      - 0
    .max_flat_workgroup_size: 256
    .name:           _ZN7rocprim17ROCPRIM_400000_NS6detail17trampoline_kernelINS0_13select_configILj256ELj13ELNS0_17block_load_methodE3ELS4_3ELS4_3ELNS0_20block_scan_algorithmE0ELj4294967295EEENS1_25partition_config_selectorILNS1_17partition_subalgoE4EjNS0_10empty_typeEbEEZZNS1_14partition_implILS8_4ELb0ES6_15HIP_vector_typeIjLj2EENS0_17counting_iteratorIjlEEPS9_SG_NS0_5tupleIJPjSI_NS0_16reverse_iteratorISI_EEEEENSH_IJSG_SG_SG_EEES9_SI_JZNS1_25segmented_radix_sort_implINS0_14default_configELb0EPKaPaPKlPlN2at6native12_GLOBAL__N_18offset_tEEE10hipError_tPvRmT1_PNSt15iterator_traitsIS12_E10value_typeET2_T3_PNS13_IS18_E10value_typeET4_jRbjT5_S1E_jjP12ihipStream_tbEUljE_ZNSN_ISO_Lb0ESQ_SR_ST_SU_SY_EESZ_S10_S11_S12_S16_S17_S18_S1B_S1C_jS1D_jS1E_S1E_jjS1G_bEUljE0_EEESZ_S10_S11_S18_S1C_S1E_T6_T7_T9_mT8_S1G_bDpT10_ENKUlT_T0_E_clISt17integral_constantIbLb1EES1T_IbLb0EEEEDaS1P_S1Q_EUlS1P_E_NS1_11comp_targetILNS1_3genE5ELNS1_11target_archE942ELNS1_3gpuE9ELNS1_3repE0EEENS1_30default_config_static_selectorELNS0_4arch9wavefront6targetE1EEEvS12_
    .private_segment_fixed_size: 0
    .sgpr_count:     4
    .sgpr_spill_count: 0
    .symbol:         _ZN7rocprim17ROCPRIM_400000_NS6detail17trampoline_kernelINS0_13select_configILj256ELj13ELNS0_17block_load_methodE3ELS4_3ELS4_3ELNS0_20block_scan_algorithmE0ELj4294967295EEENS1_25partition_config_selectorILNS1_17partition_subalgoE4EjNS0_10empty_typeEbEEZZNS1_14partition_implILS8_4ELb0ES6_15HIP_vector_typeIjLj2EENS0_17counting_iteratorIjlEEPS9_SG_NS0_5tupleIJPjSI_NS0_16reverse_iteratorISI_EEEEENSH_IJSG_SG_SG_EEES9_SI_JZNS1_25segmented_radix_sort_implINS0_14default_configELb0EPKaPaPKlPlN2at6native12_GLOBAL__N_18offset_tEEE10hipError_tPvRmT1_PNSt15iterator_traitsIS12_E10value_typeET2_T3_PNS13_IS18_E10value_typeET4_jRbjT5_S1E_jjP12ihipStream_tbEUljE_ZNSN_ISO_Lb0ESQ_SR_ST_SU_SY_EESZ_S10_S11_S12_S16_S17_S18_S1B_S1C_jS1D_jS1E_S1E_jjS1G_bEUljE0_EEESZ_S10_S11_S18_S1C_S1E_T6_T7_T9_mT8_S1G_bDpT10_ENKUlT_T0_E_clISt17integral_constantIbLb1EES1T_IbLb0EEEEDaS1P_S1Q_EUlS1P_E_NS1_11comp_targetILNS1_3genE5ELNS1_11target_archE942ELNS1_3gpuE9ELNS1_3repE0EEENS1_30default_config_static_selectorELNS0_4arch9wavefront6targetE1EEEvS12_.kd
    .uniform_work_group_size: 1
    .uses_dynamic_stack: false
    .vgpr_count:     0
    .vgpr_spill_count: 0
    .wavefront_size: 64
  - .args:
      - .offset:         0
        .size:           176
        .value_kind:     by_value
    .group_segment_fixed_size: 0
    .kernarg_segment_align: 8
    .kernarg_segment_size: 176
    .language:       OpenCL C
    .language_version:
      - 2
      - 0
    .max_flat_workgroup_size: 256
    .name:           _ZN7rocprim17ROCPRIM_400000_NS6detail17trampoline_kernelINS0_13select_configILj256ELj13ELNS0_17block_load_methodE3ELS4_3ELS4_3ELNS0_20block_scan_algorithmE0ELj4294967295EEENS1_25partition_config_selectorILNS1_17partition_subalgoE4EjNS0_10empty_typeEbEEZZNS1_14partition_implILS8_4ELb0ES6_15HIP_vector_typeIjLj2EENS0_17counting_iteratorIjlEEPS9_SG_NS0_5tupleIJPjSI_NS0_16reverse_iteratorISI_EEEEENSH_IJSG_SG_SG_EEES9_SI_JZNS1_25segmented_radix_sort_implINS0_14default_configELb0EPKaPaPKlPlN2at6native12_GLOBAL__N_18offset_tEEE10hipError_tPvRmT1_PNSt15iterator_traitsIS12_E10value_typeET2_T3_PNS13_IS18_E10value_typeET4_jRbjT5_S1E_jjP12ihipStream_tbEUljE_ZNSN_ISO_Lb0ESQ_SR_ST_SU_SY_EESZ_S10_S11_S12_S16_S17_S18_S1B_S1C_jS1D_jS1E_S1E_jjS1G_bEUljE0_EEESZ_S10_S11_S18_S1C_S1E_T6_T7_T9_mT8_S1G_bDpT10_ENKUlT_T0_E_clISt17integral_constantIbLb1EES1T_IbLb0EEEEDaS1P_S1Q_EUlS1P_E_NS1_11comp_targetILNS1_3genE4ELNS1_11target_archE910ELNS1_3gpuE8ELNS1_3repE0EEENS1_30default_config_static_selectorELNS0_4arch9wavefront6targetE1EEEvS12_
    .private_segment_fixed_size: 0
    .sgpr_count:     4
    .sgpr_spill_count: 0
    .symbol:         _ZN7rocprim17ROCPRIM_400000_NS6detail17trampoline_kernelINS0_13select_configILj256ELj13ELNS0_17block_load_methodE3ELS4_3ELS4_3ELNS0_20block_scan_algorithmE0ELj4294967295EEENS1_25partition_config_selectorILNS1_17partition_subalgoE4EjNS0_10empty_typeEbEEZZNS1_14partition_implILS8_4ELb0ES6_15HIP_vector_typeIjLj2EENS0_17counting_iteratorIjlEEPS9_SG_NS0_5tupleIJPjSI_NS0_16reverse_iteratorISI_EEEEENSH_IJSG_SG_SG_EEES9_SI_JZNS1_25segmented_radix_sort_implINS0_14default_configELb0EPKaPaPKlPlN2at6native12_GLOBAL__N_18offset_tEEE10hipError_tPvRmT1_PNSt15iterator_traitsIS12_E10value_typeET2_T3_PNS13_IS18_E10value_typeET4_jRbjT5_S1E_jjP12ihipStream_tbEUljE_ZNSN_ISO_Lb0ESQ_SR_ST_SU_SY_EESZ_S10_S11_S12_S16_S17_S18_S1B_S1C_jS1D_jS1E_S1E_jjS1G_bEUljE0_EEESZ_S10_S11_S18_S1C_S1E_T6_T7_T9_mT8_S1G_bDpT10_ENKUlT_T0_E_clISt17integral_constantIbLb1EES1T_IbLb0EEEEDaS1P_S1Q_EUlS1P_E_NS1_11comp_targetILNS1_3genE4ELNS1_11target_archE910ELNS1_3gpuE8ELNS1_3repE0EEENS1_30default_config_static_selectorELNS0_4arch9wavefront6targetE1EEEvS12_.kd
    .uniform_work_group_size: 1
    .uses_dynamic_stack: false
    .vgpr_count:     0
    .vgpr_spill_count: 0
    .wavefront_size: 64
  - .args:
      - .offset:         0
        .size:           176
        .value_kind:     by_value
    .group_segment_fixed_size: 0
    .kernarg_segment_align: 8
    .kernarg_segment_size: 176
    .language:       OpenCL C
    .language_version:
      - 2
      - 0
    .max_flat_workgroup_size: 256
    .name:           _ZN7rocprim17ROCPRIM_400000_NS6detail17trampoline_kernelINS0_13select_configILj256ELj13ELNS0_17block_load_methodE3ELS4_3ELS4_3ELNS0_20block_scan_algorithmE0ELj4294967295EEENS1_25partition_config_selectorILNS1_17partition_subalgoE4EjNS0_10empty_typeEbEEZZNS1_14partition_implILS8_4ELb0ES6_15HIP_vector_typeIjLj2EENS0_17counting_iteratorIjlEEPS9_SG_NS0_5tupleIJPjSI_NS0_16reverse_iteratorISI_EEEEENSH_IJSG_SG_SG_EEES9_SI_JZNS1_25segmented_radix_sort_implINS0_14default_configELb0EPKaPaPKlPlN2at6native12_GLOBAL__N_18offset_tEEE10hipError_tPvRmT1_PNSt15iterator_traitsIS12_E10value_typeET2_T3_PNS13_IS18_E10value_typeET4_jRbjT5_S1E_jjP12ihipStream_tbEUljE_ZNSN_ISO_Lb0ESQ_SR_ST_SU_SY_EESZ_S10_S11_S12_S16_S17_S18_S1B_S1C_jS1D_jS1E_S1E_jjS1G_bEUljE0_EEESZ_S10_S11_S18_S1C_S1E_T6_T7_T9_mT8_S1G_bDpT10_ENKUlT_T0_E_clISt17integral_constantIbLb1EES1T_IbLb0EEEEDaS1P_S1Q_EUlS1P_E_NS1_11comp_targetILNS1_3genE3ELNS1_11target_archE908ELNS1_3gpuE7ELNS1_3repE0EEENS1_30default_config_static_selectorELNS0_4arch9wavefront6targetE1EEEvS12_
    .private_segment_fixed_size: 0
    .sgpr_count:     4
    .sgpr_spill_count: 0
    .symbol:         _ZN7rocprim17ROCPRIM_400000_NS6detail17trampoline_kernelINS0_13select_configILj256ELj13ELNS0_17block_load_methodE3ELS4_3ELS4_3ELNS0_20block_scan_algorithmE0ELj4294967295EEENS1_25partition_config_selectorILNS1_17partition_subalgoE4EjNS0_10empty_typeEbEEZZNS1_14partition_implILS8_4ELb0ES6_15HIP_vector_typeIjLj2EENS0_17counting_iteratorIjlEEPS9_SG_NS0_5tupleIJPjSI_NS0_16reverse_iteratorISI_EEEEENSH_IJSG_SG_SG_EEES9_SI_JZNS1_25segmented_radix_sort_implINS0_14default_configELb0EPKaPaPKlPlN2at6native12_GLOBAL__N_18offset_tEEE10hipError_tPvRmT1_PNSt15iterator_traitsIS12_E10value_typeET2_T3_PNS13_IS18_E10value_typeET4_jRbjT5_S1E_jjP12ihipStream_tbEUljE_ZNSN_ISO_Lb0ESQ_SR_ST_SU_SY_EESZ_S10_S11_S12_S16_S17_S18_S1B_S1C_jS1D_jS1E_S1E_jjS1G_bEUljE0_EEESZ_S10_S11_S18_S1C_S1E_T6_T7_T9_mT8_S1G_bDpT10_ENKUlT_T0_E_clISt17integral_constantIbLb1EES1T_IbLb0EEEEDaS1P_S1Q_EUlS1P_E_NS1_11comp_targetILNS1_3genE3ELNS1_11target_archE908ELNS1_3gpuE7ELNS1_3repE0EEENS1_30default_config_static_selectorELNS0_4arch9wavefront6targetE1EEEvS12_.kd
    .uniform_work_group_size: 1
    .uses_dynamic_stack: false
    .vgpr_count:     0
    .vgpr_spill_count: 0
    .wavefront_size: 64
  - .args:
      - .offset:         0
        .size:           176
        .value_kind:     by_value
    .group_segment_fixed_size: 0
    .kernarg_segment_align: 8
    .kernarg_segment_size: 176
    .language:       OpenCL C
    .language_version:
      - 2
      - 0
    .max_flat_workgroup_size: 256
    .name:           _ZN7rocprim17ROCPRIM_400000_NS6detail17trampoline_kernelINS0_13select_configILj256ELj13ELNS0_17block_load_methodE3ELS4_3ELS4_3ELNS0_20block_scan_algorithmE0ELj4294967295EEENS1_25partition_config_selectorILNS1_17partition_subalgoE4EjNS0_10empty_typeEbEEZZNS1_14partition_implILS8_4ELb0ES6_15HIP_vector_typeIjLj2EENS0_17counting_iteratorIjlEEPS9_SG_NS0_5tupleIJPjSI_NS0_16reverse_iteratorISI_EEEEENSH_IJSG_SG_SG_EEES9_SI_JZNS1_25segmented_radix_sort_implINS0_14default_configELb0EPKaPaPKlPlN2at6native12_GLOBAL__N_18offset_tEEE10hipError_tPvRmT1_PNSt15iterator_traitsIS12_E10value_typeET2_T3_PNS13_IS18_E10value_typeET4_jRbjT5_S1E_jjP12ihipStream_tbEUljE_ZNSN_ISO_Lb0ESQ_SR_ST_SU_SY_EESZ_S10_S11_S12_S16_S17_S18_S1B_S1C_jS1D_jS1E_S1E_jjS1G_bEUljE0_EEESZ_S10_S11_S18_S1C_S1E_T6_T7_T9_mT8_S1G_bDpT10_ENKUlT_T0_E_clISt17integral_constantIbLb1EES1T_IbLb0EEEEDaS1P_S1Q_EUlS1P_E_NS1_11comp_targetILNS1_3genE2ELNS1_11target_archE906ELNS1_3gpuE6ELNS1_3repE0EEENS1_30default_config_static_selectorELNS0_4arch9wavefront6targetE1EEEvS12_
    .private_segment_fixed_size: 0
    .sgpr_count:     4
    .sgpr_spill_count: 0
    .symbol:         _ZN7rocprim17ROCPRIM_400000_NS6detail17trampoline_kernelINS0_13select_configILj256ELj13ELNS0_17block_load_methodE3ELS4_3ELS4_3ELNS0_20block_scan_algorithmE0ELj4294967295EEENS1_25partition_config_selectorILNS1_17partition_subalgoE4EjNS0_10empty_typeEbEEZZNS1_14partition_implILS8_4ELb0ES6_15HIP_vector_typeIjLj2EENS0_17counting_iteratorIjlEEPS9_SG_NS0_5tupleIJPjSI_NS0_16reverse_iteratorISI_EEEEENSH_IJSG_SG_SG_EEES9_SI_JZNS1_25segmented_radix_sort_implINS0_14default_configELb0EPKaPaPKlPlN2at6native12_GLOBAL__N_18offset_tEEE10hipError_tPvRmT1_PNSt15iterator_traitsIS12_E10value_typeET2_T3_PNS13_IS18_E10value_typeET4_jRbjT5_S1E_jjP12ihipStream_tbEUljE_ZNSN_ISO_Lb0ESQ_SR_ST_SU_SY_EESZ_S10_S11_S12_S16_S17_S18_S1B_S1C_jS1D_jS1E_S1E_jjS1G_bEUljE0_EEESZ_S10_S11_S18_S1C_S1E_T6_T7_T9_mT8_S1G_bDpT10_ENKUlT_T0_E_clISt17integral_constantIbLb1EES1T_IbLb0EEEEDaS1P_S1Q_EUlS1P_E_NS1_11comp_targetILNS1_3genE2ELNS1_11target_archE906ELNS1_3gpuE6ELNS1_3repE0EEENS1_30default_config_static_selectorELNS0_4arch9wavefront6targetE1EEEvS12_.kd
    .uniform_work_group_size: 1
    .uses_dynamic_stack: false
    .vgpr_count:     0
    .vgpr_spill_count: 0
    .wavefront_size: 64
  - .args:
      - .offset:         0
        .size:           176
        .value_kind:     by_value
    .group_segment_fixed_size: 0
    .kernarg_segment_align: 8
    .kernarg_segment_size: 176
    .language:       OpenCL C
    .language_version:
      - 2
      - 0
    .max_flat_workgroup_size: 256
    .name:           _ZN7rocprim17ROCPRIM_400000_NS6detail17trampoline_kernelINS0_13select_configILj256ELj13ELNS0_17block_load_methodE3ELS4_3ELS4_3ELNS0_20block_scan_algorithmE0ELj4294967295EEENS1_25partition_config_selectorILNS1_17partition_subalgoE4EjNS0_10empty_typeEbEEZZNS1_14partition_implILS8_4ELb0ES6_15HIP_vector_typeIjLj2EENS0_17counting_iteratorIjlEEPS9_SG_NS0_5tupleIJPjSI_NS0_16reverse_iteratorISI_EEEEENSH_IJSG_SG_SG_EEES9_SI_JZNS1_25segmented_radix_sort_implINS0_14default_configELb0EPKaPaPKlPlN2at6native12_GLOBAL__N_18offset_tEEE10hipError_tPvRmT1_PNSt15iterator_traitsIS12_E10value_typeET2_T3_PNS13_IS18_E10value_typeET4_jRbjT5_S1E_jjP12ihipStream_tbEUljE_ZNSN_ISO_Lb0ESQ_SR_ST_SU_SY_EESZ_S10_S11_S12_S16_S17_S18_S1B_S1C_jS1D_jS1E_S1E_jjS1G_bEUljE0_EEESZ_S10_S11_S18_S1C_S1E_T6_T7_T9_mT8_S1G_bDpT10_ENKUlT_T0_E_clISt17integral_constantIbLb1EES1T_IbLb0EEEEDaS1P_S1Q_EUlS1P_E_NS1_11comp_targetILNS1_3genE10ELNS1_11target_archE1200ELNS1_3gpuE4ELNS1_3repE0EEENS1_30default_config_static_selectorELNS0_4arch9wavefront6targetE1EEEvS12_
    .private_segment_fixed_size: 0
    .sgpr_count:     4
    .sgpr_spill_count: 0
    .symbol:         _ZN7rocprim17ROCPRIM_400000_NS6detail17trampoline_kernelINS0_13select_configILj256ELj13ELNS0_17block_load_methodE3ELS4_3ELS4_3ELNS0_20block_scan_algorithmE0ELj4294967295EEENS1_25partition_config_selectorILNS1_17partition_subalgoE4EjNS0_10empty_typeEbEEZZNS1_14partition_implILS8_4ELb0ES6_15HIP_vector_typeIjLj2EENS0_17counting_iteratorIjlEEPS9_SG_NS0_5tupleIJPjSI_NS0_16reverse_iteratorISI_EEEEENSH_IJSG_SG_SG_EEES9_SI_JZNS1_25segmented_radix_sort_implINS0_14default_configELb0EPKaPaPKlPlN2at6native12_GLOBAL__N_18offset_tEEE10hipError_tPvRmT1_PNSt15iterator_traitsIS12_E10value_typeET2_T3_PNS13_IS18_E10value_typeET4_jRbjT5_S1E_jjP12ihipStream_tbEUljE_ZNSN_ISO_Lb0ESQ_SR_ST_SU_SY_EESZ_S10_S11_S12_S16_S17_S18_S1B_S1C_jS1D_jS1E_S1E_jjS1G_bEUljE0_EEESZ_S10_S11_S18_S1C_S1E_T6_T7_T9_mT8_S1G_bDpT10_ENKUlT_T0_E_clISt17integral_constantIbLb1EES1T_IbLb0EEEEDaS1P_S1Q_EUlS1P_E_NS1_11comp_targetILNS1_3genE10ELNS1_11target_archE1200ELNS1_3gpuE4ELNS1_3repE0EEENS1_30default_config_static_selectorELNS0_4arch9wavefront6targetE1EEEvS12_.kd
    .uniform_work_group_size: 1
    .uses_dynamic_stack: false
    .vgpr_count:     0
    .vgpr_spill_count: 0
    .wavefront_size: 64
  - .args:
      - .offset:         0
        .size:           176
        .value_kind:     by_value
    .group_segment_fixed_size: 0
    .kernarg_segment_align: 8
    .kernarg_segment_size: 176
    .language:       OpenCL C
    .language_version:
      - 2
      - 0
    .max_flat_workgroup_size: 256
    .name:           _ZN7rocprim17ROCPRIM_400000_NS6detail17trampoline_kernelINS0_13select_configILj256ELj13ELNS0_17block_load_methodE3ELS4_3ELS4_3ELNS0_20block_scan_algorithmE0ELj4294967295EEENS1_25partition_config_selectorILNS1_17partition_subalgoE4EjNS0_10empty_typeEbEEZZNS1_14partition_implILS8_4ELb0ES6_15HIP_vector_typeIjLj2EENS0_17counting_iteratorIjlEEPS9_SG_NS0_5tupleIJPjSI_NS0_16reverse_iteratorISI_EEEEENSH_IJSG_SG_SG_EEES9_SI_JZNS1_25segmented_radix_sort_implINS0_14default_configELb0EPKaPaPKlPlN2at6native12_GLOBAL__N_18offset_tEEE10hipError_tPvRmT1_PNSt15iterator_traitsIS12_E10value_typeET2_T3_PNS13_IS18_E10value_typeET4_jRbjT5_S1E_jjP12ihipStream_tbEUljE_ZNSN_ISO_Lb0ESQ_SR_ST_SU_SY_EESZ_S10_S11_S12_S16_S17_S18_S1B_S1C_jS1D_jS1E_S1E_jjS1G_bEUljE0_EEESZ_S10_S11_S18_S1C_S1E_T6_T7_T9_mT8_S1G_bDpT10_ENKUlT_T0_E_clISt17integral_constantIbLb1EES1T_IbLb0EEEEDaS1P_S1Q_EUlS1P_E_NS1_11comp_targetILNS1_3genE9ELNS1_11target_archE1100ELNS1_3gpuE3ELNS1_3repE0EEENS1_30default_config_static_selectorELNS0_4arch9wavefront6targetE1EEEvS12_
    .private_segment_fixed_size: 0
    .sgpr_count:     4
    .sgpr_spill_count: 0
    .symbol:         _ZN7rocprim17ROCPRIM_400000_NS6detail17trampoline_kernelINS0_13select_configILj256ELj13ELNS0_17block_load_methodE3ELS4_3ELS4_3ELNS0_20block_scan_algorithmE0ELj4294967295EEENS1_25partition_config_selectorILNS1_17partition_subalgoE4EjNS0_10empty_typeEbEEZZNS1_14partition_implILS8_4ELb0ES6_15HIP_vector_typeIjLj2EENS0_17counting_iteratorIjlEEPS9_SG_NS0_5tupleIJPjSI_NS0_16reverse_iteratorISI_EEEEENSH_IJSG_SG_SG_EEES9_SI_JZNS1_25segmented_radix_sort_implINS0_14default_configELb0EPKaPaPKlPlN2at6native12_GLOBAL__N_18offset_tEEE10hipError_tPvRmT1_PNSt15iterator_traitsIS12_E10value_typeET2_T3_PNS13_IS18_E10value_typeET4_jRbjT5_S1E_jjP12ihipStream_tbEUljE_ZNSN_ISO_Lb0ESQ_SR_ST_SU_SY_EESZ_S10_S11_S12_S16_S17_S18_S1B_S1C_jS1D_jS1E_S1E_jjS1G_bEUljE0_EEESZ_S10_S11_S18_S1C_S1E_T6_T7_T9_mT8_S1G_bDpT10_ENKUlT_T0_E_clISt17integral_constantIbLb1EES1T_IbLb0EEEEDaS1P_S1Q_EUlS1P_E_NS1_11comp_targetILNS1_3genE9ELNS1_11target_archE1100ELNS1_3gpuE3ELNS1_3repE0EEENS1_30default_config_static_selectorELNS0_4arch9wavefront6targetE1EEEvS12_.kd
    .uniform_work_group_size: 1
    .uses_dynamic_stack: false
    .vgpr_count:     0
    .vgpr_spill_count: 0
    .wavefront_size: 64
  - .args:
      - .offset:         0
        .size:           176
        .value_kind:     by_value
    .group_segment_fixed_size: 0
    .kernarg_segment_align: 8
    .kernarg_segment_size: 176
    .language:       OpenCL C
    .language_version:
      - 2
      - 0
    .max_flat_workgroup_size: 256
    .name:           _ZN7rocprim17ROCPRIM_400000_NS6detail17trampoline_kernelINS0_13select_configILj256ELj13ELNS0_17block_load_methodE3ELS4_3ELS4_3ELNS0_20block_scan_algorithmE0ELj4294967295EEENS1_25partition_config_selectorILNS1_17partition_subalgoE4EjNS0_10empty_typeEbEEZZNS1_14partition_implILS8_4ELb0ES6_15HIP_vector_typeIjLj2EENS0_17counting_iteratorIjlEEPS9_SG_NS0_5tupleIJPjSI_NS0_16reverse_iteratorISI_EEEEENSH_IJSG_SG_SG_EEES9_SI_JZNS1_25segmented_radix_sort_implINS0_14default_configELb0EPKaPaPKlPlN2at6native12_GLOBAL__N_18offset_tEEE10hipError_tPvRmT1_PNSt15iterator_traitsIS12_E10value_typeET2_T3_PNS13_IS18_E10value_typeET4_jRbjT5_S1E_jjP12ihipStream_tbEUljE_ZNSN_ISO_Lb0ESQ_SR_ST_SU_SY_EESZ_S10_S11_S12_S16_S17_S18_S1B_S1C_jS1D_jS1E_S1E_jjS1G_bEUljE0_EEESZ_S10_S11_S18_S1C_S1E_T6_T7_T9_mT8_S1G_bDpT10_ENKUlT_T0_E_clISt17integral_constantIbLb1EES1T_IbLb0EEEEDaS1P_S1Q_EUlS1P_E_NS1_11comp_targetILNS1_3genE8ELNS1_11target_archE1030ELNS1_3gpuE2ELNS1_3repE0EEENS1_30default_config_static_selectorELNS0_4arch9wavefront6targetE1EEEvS12_
    .private_segment_fixed_size: 0
    .sgpr_count:     4
    .sgpr_spill_count: 0
    .symbol:         _ZN7rocprim17ROCPRIM_400000_NS6detail17trampoline_kernelINS0_13select_configILj256ELj13ELNS0_17block_load_methodE3ELS4_3ELS4_3ELNS0_20block_scan_algorithmE0ELj4294967295EEENS1_25partition_config_selectorILNS1_17partition_subalgoE4EjNS0_10empty_typeEbEEZZNS1_14partition_implILS8_4ELb0ES6_15HIP_vector_typeIjLj2EENS0_17counting_iteratorIjlEEPS9_SG_NS0_5tupleIJPjSI_NS0_16reverse_iteratorISI_EEEEENSH_IJSG_SG_SG_EEES9_SI_JZNS1_25segmented_radix_sort_implINS0_14default_configELb0EPKaPaPKlPlN2at6native12_GLOBAL__N_18offset_tEEE10hipError_tPvRmT1_PNSt15iterator_traitsIS12_E10value_typeET2_T3_PNS13_IS18_E10value_typeET4_jRbjT5_S1E_jjP12ihipStream_tbEUljE_ZNSN_ISO_Lb0ESQ_SR_ST_SU_SY_EESZ_S10_S11_S12_S16_S17_S18_S1B_S1C_jS1D_jS1E_S1E_jjS1G_bEUljE0_EEESZ_S10_S11_S18_S1C_S1E_T6_T7_T9_mT8_S1G_bDpT10_ENKUlT_T0_E_clISt17integral_constantIbLb1EES1T_IbLb0EEEEDaS1P_S1Q_EUlS1P_E_NS1_11comp_targetILNS1_3genE8ELNS1_11target_archE1030ELNS1_3gpuE2ELNS1_3repE0EEENS1_30default_config_static_selectorELNS0_4arch9wavefront6targetE1EEEvS12_.kd
    .uniform_work_group_size: 1
    .uses_dynamic_stack: false
    .vgpr_count:     0
    .vgpr_spill_count: 0
    .wavefront_size: 64
  - .args:
      - .offset:         0
        .size:           184
        .value_kind:     by_value
    .group_segment_fixed_size: 0
    .kernarg_segment_align: 8
    .kernarg_segment_size: 184
    .language:       OpenCL C
    .language_version:
      - 2
      - 0
    .max_flat_workgroup_size: 256
    .name:           _ZN7rocprim17ROCPRIM_400000_NS6detail17trampoline_kernelINS0_13select_configILj256ELj13ELNS0_17block_load_methodE3ELS4_3ELS4_3ELNS0_20block_scan_algorithmE0ELj4294967295EEENS1_25partition_config_selectorILNS1_17partition_subalgoE4EjNS0_10empty_typeEbEEZZNS1_14partition_implILS8_4ELb0ES6_15HIP_vector_typeIjLj2EENS0_17counting_iteratorIjlEEPS9_SG_NS0_5tupleIJPjSI_NS0_16reverse_iteratorISI_EEEEENSH_IJSG_SG_SG_EEES9_SI_JZNS1_25segmented_radix_sort_implINS0_14default_configELb0EPKaPaPKlPlN2at6native12_GLOBAL__N_18offset_tEEE10hipError_tPvRmT1_PNSt15iterator_traitsIS12_E10value_typeET2_T3_PNS13_IS18_E10value_typeET4_jRbjT5_S1E_jjP12ihipStream_tbEUljE_ZNSN_ISO_Lb0ESQ_SR_ST_SU_SY_EESZ_S10_S11_S12_S16_S17_S18_S1B_S1C_jS1D_jS1E_S1E_jjS1G_bEUljE0_EEESZ_S10_S11_S18_S1C_S1E_T6_T7_T9_mT8_S1G_bDpT10_ENKUlT_T0_E_clISt17integral_constantIbLb0EES1T_IbLb1EEEEDaS1P_S1Q_EUlS1P_E_NS1_11comp_targetILNS1_3genE0ELNS1_11target_archE4294967295ELNS1_3gpuE0ELNS1_3repE0EEENS1_30default_config_static_selectorELNS0_4arch9wavefront6targetE1EEEvS12_
    .private_segment_fixed_size: 0
    .sgpr_count:     4
    .sgpr_spill_count: 0
    .symbol:         _ZN7rocprim17ROCPRIM_400000_NS6detail17trampoline_kernelINS0_13select_configILj256ELj13ELNS0_17block_load_methodE3ELS4_3ELS4_3ELNS0_20block_scan_algorithmE0ELj4294967295EEENS1_25partition_config_selectorILNS1_17partition_subalgoE4EjNS0_10empty_typeEbEEZZNS1_14partition_implILS8_4ELb0ES6_15HIP_vector_typeIjLj2EENS0_17counting_iteratorIjlEEPS9_SG_NS0_5tupleIJPjSI_NS0_16reverse_iteratorISI_EEEEENSH_IJSG_SG_SG_EEES9_SI_JZNS1_25segmented_radix_sort_implINS0_14default_configELb0EPKaPaPKlPlN2at6native12_GLOBAL__N_18offset_tEEE10hipError_tPvRmT1_PNSt15iterator_traitsIS12_E10value_typeET2_T3_PNS13_IS18_E10value_typeET4_jRbjT5_S1E_jjP12ihipStream_tbEUljE_ZNSN_ISO_Lb0ESQ_SR_ST_SU_SY_EESZ_S10_S11_S12_S16_S17_S18_S1B_S1C_jS1D_jS1E_S1E_jjS1G_bEUljE0_EEESZ_S10_S11_S18_S1C_S1E_T6_T7_T9_mT8_S1G_bDpT10_ENKUlT_T0_E_clISt17integral_constantIbLb0EES1T_IbLb1EEEEDaS1P_S1Q_EUlS1P_E_NS1_11comp_targetILNS1_3genE0ELNS1_11target_archE4294967295ELNS1_3gpuE0ELNS1_3repE0EEENS1_30default_config_static_selectorELNS0_4arch9wavefront6targetE1EEEvS12_.kd
    .uniform_work_group_size: 1
    .uses_dynamic_stack: false
    .vgpr_count:     0
    .vgpr_spill_count: 0
    .wavefront_size: 64
  - .args:
      - .offset:         0
        .size:           184
        .value_kind:     by_value
    .group_segment_fixed_size: 0
    .kernarg_segment_align: 8
    .kernarg_segment_size: 184
    .language:       OpenCL C
    .language_version:
      - 2
      - 0
    .max_flat_workgroup_size: 256
    .name:           _ZN7rocprim17ROCPRIM_400000_NS6detail17trampoline_kernelINS0_13select_configILj256ELj13ELNS0_17block_load_methodE3ELS4_3ELS4_3ELNS0_20block_scan_algorithmE0ELj4294967295EEENS1_25partition_config_selectorILNS1_17partition_subalgoE4EjNS0_10empty_typeEbEEZZNS1_14partition_implILS8_4ELb0ES6_15HIP_vector_typeIjLj2EENS0_17counting_iteratorIjlEEPS9_SG_NS0_5tupleIJPjSI_NS0_16reverse_iteratorISI_EEEEENSH_IJSG_SG_SG_EEES9_SI_JZNS1_25segmented_radix_sort_implINS0_14default_configELb0EPKaPaPKlPlN2at6native12_GLOBAL__N_18offset_tEEE10hipError_tPvRmT1_PNSt15iterator_traitsIS12_E10value_typeET2_T3_PNS13_IS18_E10value_typeET4_jRbjT5_S1E_jjP12ihipStream_tbEUljE_ZNSN_ISO_Lb0ESQ_SR_ST_SU_SY_EESZ_S10_S11_S12_S16_S17_S18_S1B_S1C_jS1D_jS1E_S1E_jjS1G_bEUljE0_EEESZ_S10_S11_S18_S1C_S1E_T6_T7_T9_mT8_S1G_bDpT10_ENKUlT_T0_E_clISt17integral_constantIbLb0EES1T_IbLb1EEEEDaS1P_S1Q_EUlS1P_E_NS1_11comp_targetILNS1_3genE5ELNS1_11target_archE942ELNS1_3gpuE9ELNS1_3repE0EEENS1_30default_config_static_selectorELNS0_4arch9wavefront6targetE1EEEvS12_
    .private_segment_fixed_size: 0
    .sgpr_count:     4
    .sgpr_spill_count: 0
    .symbol:         _ZN7rocprim17ROCPRIM_400000_NS6detail17trampoline_kernelINS0_13select_configILj256ELj13ELNS0_17block_load_methodE3ELS4_3ELS4_3ELNS0_20block_scan_algorithmE0ELj4294967295EEENS1_25partition_config_selectorILNS1_17partition_subalgoE4EjNS0_10empty_typeEbEEZZNS1_14partition_implILS8_4ELb0ES6_15HIP_vector_typeIjLj2EENS0_17counting_iteratorIjlEEPS9_SG_NS0_5tupleIJPjSI_NS0_16reverse_iteratorISI_EEEEENSH_IJSG_SG_SG_EEES9_SI_JZNS1_25segmented_radix_sort_implINS0_14default_configELb0EPKaPaPKlPlN2at6native12_GLOBAL__N_18offset_tEEE10hipError_tPvRmT1_PNSt15iterator_traitsIS12_E10value_typeET2_T3_PNS13_IS18_E10value_typeET4_jRbjT5_S1E_jjP12ihipStream_tbEUljE_ZNSN_ISO_Lb0ESQ_SR_ST_SU_SY_EESZ_S10_S11_S12_S16_S17_S18_S1B_S1C_jS1D_jS1E_S1E_jjS1G_bEUljE0_EEESZ_S10_S11_S18_S1C_S1E_T6_T7_T9_mT8_S1G_bDpT10_ENKUlT_T0_E_clISt17integral_constantIbLb0EES1T_IbLb1EEEEDaS1P_S1Q_EUlS1P_E_NS1_11comp_targetILNS1_3genE5ELNS1_11target_archE942ELNS1_3gpuE9ELNS1_3repE0EEENS1_30default_config_static_selectorELNS0_4arch9wavefront6targetE1EEEvS12_.kd
    .uniform_work_group_size: 1
    .uses_dynamic_stack: false
    .vgpr_count:     0
    .vgpr_spill_count: 0
    .wavefront_size: 64
  - .args:
      - .offset:         0
        .size:           184
        .value_kind:     by_value
    .group_segment_fixed_size: 0
    .kernarg_segment_align: 8
    .kernarg_segment_size: 184
    .language:       OpenCL C
    .language_version:
      - 2
      - 0
    .max_flat_workgroup_size: 256
    .name:           _ZN7rocprim17ROCPRIM_400000_NS6detail17trampoline_kernelINS0_13select_configILj256ELj13ELNS0_17block_load_methodE3ELS4_3ELS4_3ELNS0_20block_scan_algorithmE0ELj4294967295EEENS1_25partition_config_selectorILNS1_17partition_subalgoE4EjNS0_10empty_typeEbEEZZNS1_14partition_implILS8_4ELb0ES6_15HIP_vector_typeIjLj2EENS0_17counting_iteratorIjlEEPS9_SG_NS0_5tupleIJPjSI_NS0_16reverse_iteratorISI_EEEEENSH_IJSG_SG_SG_EEES9_SI_JZNS1_25segmented_radix_sort_implINS0_14default_configELb0EPKaPaPKlPlN2at6native12_GLOBAL__N_18offset_tEEE10hipError_tPvRmT1_PNSt15iterator_traitsIS12_E10value_typeET2_T3_PNS13_IS18_E10value_typeET4_jRbjT5_S1E_jjP12ihipStream_tbEUljE_ZNSN_ISO_Lb0ESQ_SR_ST_SU_SY_EESZ_S10_S11_S12_S16_S17_S18_S1B_S1C_jS1D_jS1E_S1E_jjS1G_bEUljE0_EEESZ_S10_S11_S18_S1C_S1E_T6_T7_T9_mT8_S1G_bDpT10_ENKUlT_T0_E_clISt17integral_constantIbLb0EES1T_IbLb1EEEEDaS1P_S1Q_EUlS1P_E_NS1_11comp_targetILNS1_3genE4ELNS1_11target_archE910ELNS1_3gpuE8ELNS1_3repE0EEENS1_30default_config_static_selectorELNS0_4arch9wavefront6targetE1EEEvS12_
    .private_segment_fixed_size: 0
    .sgpr_count:     4
    .sgpr_spill_count: 0
    .symbol:         _ZN7rocprim17ROCPRIM_400000_NS6detail17trampoline_kernelINS0_13select_configILj256ELj13ELNS0_17block_load_methodE3ELS4_3ELS4_3ELNS0_20block_scan_algorithmE0ELj4294967295EEENS1_25partition_config_selectorILNS1_17partition_subalgoE4EjNS0_10empty_typeEbEEZZNS1_14partition_implILS8_4ELb0ES6_15HIP_vector_typeIjLj2EENS0_17counting_iteratorIjlEEPS9_SG_NS0_5tupleIJPjSI_NS0_16reverse_iteratorISI_EEEEENSH_IJSG_SG_SG_EEES9_SI_JZNS1_25segmented_radix_sort_implINS0_14default_configELb0EPKaPaPKlPlN2at6native12_GLOBAL__N_18offset_tEEE10hipError_tPvRmT1_PNSt15iterator_traitsIS12_E10value_typeET2_T3_PNS13_IS18_E10value_typeET4_jRbjT5_S1E_jjP12ihipStream_tbEUljE_ZNSN_ISO_Lb0ESQ_SR_ST_SU_SY_EESZ_S10_S11_S12_S16_S17_S18_S1B_S1C_jS1D_jS1E_S1E_jjS1G_bEUljE0_EEESZ_S10_S11_S18_S1C_S1E_T6_T7_T9_mT8_S1G_bDpT10_ENKUlT_T0_E_clISt17integral_constantIbLb0EES1T_IbLb1EEEEDaS1P_S1Q_EUlS1P_E_NS1_11comp_targetILNS1_3genE4ELNS1_11target_archE910ELNS1_3gpuE8ELNS1_3repE0EEENS1_30default_config_static_selectorELNS0_4arch9wavefront6targetE1EEEvS12_.kd
    .uniform_work_group_size: 1
    .uses_dynamic_stack: false
    .vgpr_count:     0
    .vgpr_spill_count: 0
    .wavefront_size: 64
  - .args:
      - .offset:         0
        .size:           184
        .value_kind:     by_value
    .group_segment_fixed_size: 0
    .kernarg_segment_align: 8
    .kernarg_segment_size: 184
    .language:       OpenCL C
    .language_version:
      - 2
      - 0
    .max_flat_workgroup_size: 256
    .name:           _ZN7rocprim17ROCPRIM_400000_NS6detail17trampoline_kernelINS0_13select_configILj256ELj13ELNS0_17block_load_methodE3ELS4_3ELS4_3ELNS0_20block_scan_algorithmE0ELj4294967295EEENS1_25partition_config_selectorILNS1_17partition_subalgoE4EjNS0_10empty_typeEbEEZZNS1_14partition_implILS8_4ELb0ES6_15HIP_vector_typeIjLj2EENS0_17counting_iteratorIjlEEPS9_SG_NS0_5tupleIJPjSI_NS0_16reverse_iteratorISI_EEEEENSH_IJSG_SG_SG_EEES9_SI_JZNS1_25segmented_radix_sort_implINS0_14default_configELb0EPKaPaPKlPlN2at6native12_GLOBAL__N_18offset_tEEE10hipError_tPvRmT1_PNSt15iterator_traitsIS12_E10value_typeET2_T3_PNS13_IS18_E10value_typeET4_jRbjT5_S1E_jjP12ihipStream_tbEUljE_ZNSN_ISO_Lb0ESQ_SR_ST_SU_SY_EESZ_S10_S11_S12_S16_S17_S18_S1B_S1C_jS1D_jS1E_S1E_jjS1G_bEUljE0_EEESZ_S10_S11_S18_S1C_S1E_T6_T7_T9_mT8_S1G_bDpT10_ENKUlT_T0_E_clISt17integral_constantIbLb0EES1T_IbLb1EEEEDaS1P_S1Q_EUlS1P_E_NS1_11comp_targetILNS1_3genE3ELNS1_11target_archE908ELNS1_3gpuE7ELNS1_3repE0EEENS1_30default_config_static_selectorELNS0_4arch9wavefront6targetE1EEEvS12_
    .private_segment_fixed_size: 0
    .sgpr_count:     4
    .sgpr_spill_count: 0
    .symbol:         _ZN7rocprim17ROCPRIM_400000_NS6detail17trampoline_kernelINS0_13select_configILj256ELj13ELNS0_17block_load_methodE3ELS4_3ELS4_3ELNS0_20block_scan_algorithmE0ELj4294967295EEENS1_25partition_config_selectorILNS1_17partition_subalgoE4EjNS0_10empty_typeEbEEZZNS1_14partition_implILS8_4ELb0ES6_15HIP_vector_typeIjLj2EENS0_17counting_iteratorIjlEEPS9_SG_NS0_5tupleIJPjSI_NS0_16reverse_iteratorISI_EEEEENSH_IJSG_SG_SG_EEES9_SI_JZNS1_25segmented_radix_sort_implINS0_14default_configELb0EPKaPaPKlPlN2at6native12_GLOBAL__N_18offset_tEEE10hipError_tPvRmT1_PNSt15iterator_traitsIS12_E10value_typeET2_T3_PNS13_IS18_E10value_typeET4_jRbjT5_S1E_jjP12ihipStream_tbEUljE_ZNSN_ISO_Lb0ESQ_SR_ST_SU_SY_EESZ_S10_S11_S12_S16_S17_S18_S1B_S1C_jS1D_jS1E_S1E_jjS1G_bEUljE0_EEESZ_S10_S11_S18_S1C_S1E_T6_T7_T9_mT8_S1G_bDpT10_ENKUlT_T0_E_clISt17integral_constantIbLb0EES1T_IbLb1EEEEDaS1P_S1Q_EUlS1P_E_NS1_11comp_targetILNS1_3genE3ELNS1_11target_archE908ELNS1_3gpuE7ELNS1_3repE0EEENS1_30default_config_static_selectorELNS0_4arch9wavefront6targetE1EEEvS12_.kd
    .uniform_work_group_size: 1
    .uses_dynamic_stack: false
    .vgpr_count:     0
    .vgpr_spill_count: 0
    .wavefront_size: 64
  - .args:
      - .offset:         0
        .size:           184
        .value_kind:     by_value
    .group_segment_fixed_size: 13328
    .kernarg_segment_align: 8
    .kernarg_segment_size: 184
    .language:       OpenCL C
    .language_version:
      - 2
      - 0
    .max_flat_workgroup_size: 256
    .name:           _ZN7rocprim17ROCPRIM_400000_NS6detail17trampoline_kernelINS0_13select_configILj256ELj13ELNS0_17block_load_methodE3ELS4_3ELS4_3ELNS0_20block_scan_algorithmE0ELj4294967295EEENS1_25partition_config_selectorILNS1_17partition_subalgoE4EjNS0_10empty_typeEbEEZZNS1_14partition_implILS8_4ELb0ES6_15HIP_vector_typeIjLj2EENS0_17counting_iteratorIjlEEPS9_SG_NS0_5tupleIJPjSI_NS0_16reverse_iteratorISI_EEEEENSH_IJSG_SG_SG_EEES9_SI_JZNS1_25segmented_radix_sort_implINS0_14default_configELb0EPKaPaPKlPlN2at6native12_GLOBAL__N_18offset_tEEE10hipError_tPvRmT1_PNSt15iterator_traitsIS12_E10value_typeET2_T3_PNS13_IS18_E10value_typeET4_jRbjT5_S1E_jjP12ihipStream_tbEUljE_ZNSN_ISO_Lb0ESQ_SR_ST_SU_SY_EESZ_S10_S11_S12_S16_S17_S18_S1B_S1C_jS1D_jS1E_S1E_jjS1G_bEUljE0_EEESZ_S10_S11_S18_S1C_S1E_T6_T7_T9_mT8_S1G_bDpT10_ENKUlT_T0_E_clISt17integral_constantIbLb0EES1T_IbLb1EEEEDaS1P_S1Q_EUlS1P_E_NS1_11comp_targetILNS1_3genE2ELNS1_11target_archE906ELNS1_3gpuE6ELNS1_3repE0EEENS1_30default_config_static_selectorELNS0_4arch9wavefront6targetE1EEEvS12_
    .private_segment_fixed_size: 0
    .sgpr_count:     91
    .sgpr_spill_count: 0
    .symbol:         _ZN7rocprim17ROCPRIM_400000_NS6detail17trampoline_kernelINS0_13select_configILj256ELj13ELNS0_17block_load_methodE3ELS4_3ELS4_3ELNS0_20block_scan_algorithmE0ELj4294967295EEENS1_25partition_config_selectorILNS1_17partition_subalgoE4EjNS0_10empty_typeEbEEZZNS1_14partition_implILS8_4ELb0ES6_15HIP_vector_typeIjLj2EENS0_17counting_iteratorIjlEEPS9_SG_NS0_5tupleIJPjSI_NS0_16reverse_iteratorISI_EEEEENSH_IJSG_SG_SG_EEES9_SI_JZNS1_25segmented_radix_sort_implINS0_14default_configELb0EPKaPaPKlPlN2at6native12_GLOBAL__N_18offset_tEEE10hipError_tPvRmT1_PNSt15iterator_traitsIS12_E10value_typeET2_T3_PNS13_IS18_E10value_typeET4_jRbjT5_S1E_jjP12ihipStream_tbEUljE_ZNSN_ISO_Lb0ESQ_SR_ST_SU_SY_EESZ_S10_S11_S12_S16_S17_S18_S1B_S1C_jS1D_jS1E_S1E_jjS1G_bEUljE0_EEESZ_S10_S11_S18_S1C_S1E_T6_T7_T9_mT8_S1G_bDpT10_ENKUlT_T0_E_clISt17integral_constantIbLb0EES1T_IbLb1EEEEDaS1P_S1Q_EUlS1P_E_NS1_11comp_targetILNS1_3genE2ELNS1_11target_archE906ELNS1_3gpuE6ELNS1_3repE0EEENS1_30default_config_static_selectorELNS0_4arch9wavefront6targetE1EEEvS12_.kd
    .uniform_work_group_size: 1
    .uses_dynamic_stack: false
    .vgpr_count:     91
    .vgpr_spill_count: 0
    .wavefront_size: 64
  - .args:
      - .offset:         0
        .size:           184
        .value_kind:     by_value
    .group_segment_fixed_size: 0
    .kernarg_segment_align: 8
    .kernarg_segment_size: 184
    .language:       OpenCL C
    .language_version:
      - 2
      - 0
    .max_flat_workgroup_size: 256
    .name:           _ZN7rocprim17ROCPRIM_400000_NS6detail17trampoline_kernelINS0_13select_configILj256ELj13ELNS0_17block_load_methodE3ELS4_3ELS4_3ELNS0_20block_scan_algorithmE0ELj4294967295EEENS1_25partition_config_selectorILNS1_17partition_subalgoE4EjNS0_10empty_typeEbEEZZNS1_14partition_implILS8_4ELb0ES6_15HIP_vector_typeIjLj2EENS0_17counting_iteratorIjlEEPS9_SG_NS0_5tupleIJPjSI_NS0_16reverse_iteratorISI_EEEEENSH_IJSG_SG_SG_EEES9_SI_JZNS1_25segmented_radix_sort_implINS0_14default_configELb0EPKaPaPKlPlN2at6native12_GLOBAL__N_18offset_tEEE10hipError_tPvRmT1_PNSt15iterator_traitsIS12_E10value_typeET2_T3_PNS13_IS18_E10value_typeET4_jRbjT5_S1E_jjP12ihipStream_tbEUljE_ZNSN_ISO_Lb0ESQ_SR_ST_SU_SY_EESZ_S10_S11_S12_S16_S17_S18_S1B_S1C_jS1D_jS1E_S1E_jjS1G_bEUljE0_EEESZ_S10_S11_S18_S1C_S1E_T6_T7_T9_mT8_S1G_bDpT10_ENKUlT_T0_E_clISt17integral_constantIbLb0EES1T_IbLb1EEEEDaS1P_S1Q_EUlS1P_E_NS1_11comp_targetILNS1_3genE10ELNS1_11target_archE1200ELNS1_3gpuE4ELNS1_3repE0EEENS1_30default_config_static_selectorELNS0_4arch9wavefront6targetE1EEEvS12_
    .private_segment_fixed_size: 0
    .sgpr_count:     4
    .sgpr_spill_count: 0
    .symbol:         _ZN7rocprim17ROCPRIM_400000_NS6detail17trampoline_kernelINS0_13select_configILj256ELj13ELNS0_17block_load_methodE3ELS4_3ELS4_3ELNS0_20block_scan_algorithmE0ELj4294967295EEENS1_25partition_config_selectorILNS1_17partition_subalgoE4EjNS0_10empty_typeEbEEZZNS1_14partition_implILS8_4ELb0ES6_15HIP_vector_typeIjLj2EENS0_17counting_iteratorIjlEEPS9_SG_NS0_5tupleIJPjSI_NS0_16reverse_iteratorISI_EEEEENSH_IJSG_SG_SG_EEES9_SI_JZNS1_25segmented_radix_sort_implINS0_14default_configELb0EPKaPaPKlPlN2at6native12_GLOBAL__N_18offset_tEEE10hipError_tPvRmT1_PNSt15iterator_traitsIS12_E10value_typeET2_T3_PNS13_IS18_E10value_typeET4_jRbjT5_S1E_jjP12ihipStream_tbEUljE_ZNSN_ISO_Lb0ESQ_SR_ST_SU_SY_EESZ_S10_S11_S12_S16_S17_S18_S1B_S1C_jS1D_jS1E_S1E_jjS1G_bEUljE0_EEESZ_S10_S11_S18_S1C_S1E_T6_T7_T9_mT8_S1G_bDpT10_ENKUlT_T0_E_clISt17integral_constantIbLb0EES1T_IbLb1EEEEDaS1P_S1Q_EUlS1P_E_NS1_11comp_targetILNS1_3genE10ELNS1_11target_archE1200ELNS1_3gpuE4ELNS1_3repE0EEENS1_30default_config_static_selectorELNS0_4arch9wavefront6targetE1EEEvS12_.kd
    .uniform_work_group_size: 1
    .uses_dynamic_stack: false
    .vgpr_count:     0
    .vgpr_spill_count: 0
    .wavefront_size: 64
  - .args:
      - .offset:         0
        .size:           184
        .value_kind:     by_value
    .group_segment_fixed_size: 0
    .kernarg_segment_align: 8
    .kernarg_segment_size: 184
    .language:       OpenCL C
    .language_version:
      - 2
      - 0
    .max_flat_workgroup_size: 256
    .name:           _ZN7rocprim17ROCPRIM_400000_NS6detail17trampoline_kernelINS0_13select_configILj256ELj13ELNS0_17block_load_methodE3ELS4_3ELS4_3ELNS0_20block_scan_algorithmE0ELj4294967295EEENS1_25partition_config_selectorILNS1_17partition_subalgoE4EjNS0_10empty_typeEbEEZZNS1_14partition_implILS8_4ELb0ES6_15HIP_vector_typeIjLj2EENS0_17counting_iteratorIjlEEPS9_SG_NS0_5tupleIJPjSI_NS0_16reverse_iteratorISI_EEEEENSH_IJSG_SG_SG_EEES9_SI_JZNS1_25segmented_radix_sort_implINS0_14default_configELb0EPKaPaPKlPlN2at6native12_GLOBAL__N_18offset_tEEE10hipError_tPvRmT1_PNSt15iterator_traitsIS12_E10value_typeET2_T3_PNS13_IS18_E10value_typeET4_jRbjT5_S1E_jjP12ihipStream_tbEUljE_ZNSN_ISO_Lb0ESQ_SR_ST_SU_SY_EESZ_S10_S11_S12_S16_S17_S18_S1B_S1C_jS1D_jS1E_S1E_jjS1G_bEUljE0_EEESZ_S10_S11_S18_S1C_S1E_T6_T7_T9_mT8_S1G_bDpT10_ENKUlT_T0_E_clISt17integral_constantIbLb0EES1T_IbLb1EEEEDaS1P_S1Q_EUlS1P_E_NS1_11comp_targetILNS1_3genE9ELNS1_11target_archE1100ELNS1_3gpuE3ELNS1_3repE0EEENS1_30default_config_static_selectorELNS0_4arch9wavefront6targetE1EEEvS12_
    .private_segment_fixed_size: 0
    .sgpr_count:     4
    .sgpr_spill_count: 0
    .symbol:         _ZN7rocprim17ROCPRIM_400000_NS6detail17trampoline_kernelINS0_13select_configILj256ELj13ELNS0_17block_load_methodE3ELS4_3ELS4_3ELNS0_20block_scan_algorithmE0ELj4294967295EEENS1_25partition_config_selectorILNS1_17partition_subalgoE4EjNS0_10empty_typeEbEEZZNS1_14partition_implILS8_4ELb0ES6_15HIP_vector_typeIjLj2EENS0_17counting_iteratorIjlEEPS9_SG_NS0_5tupleIJPjSI_NS0_16reverse_iteratorISI_EEEEENSH_IJSG_SG_SG_EEES9_SI_JZNS1_25segmented_radix_sort_implINS0_14default_configELb0EPKaPaPKlPlN2at6native12_GLOBAL__N_18offset_tEEE10hipError_tPvRmT1_PNSt15iterator_traitsIS12_E10value_typeET2_T3_PNS13_IS18_E10value_typeET4_jRbjT5_S1E_jjP12ihipStream_tbEUljE_ZNSN_ISO_Lb0ESQ_SR_ST_SU_SY_EESZ_S10_S11_S12_S16_S17_S18_S1B_S1C_jS1D_jS1E_S1E_jjS1G_bEUljE0_EEESZ_S10_S11_S18_S1C_S1E_T6_T7_T9_mT8_S1G_bDpT10_ENKUlT_T0_E_clISt17integral_constantIbLb0EES1T_IbLb1EEEEDaS1P_S1Q_EUlS1P_E_NS1_11comp_targetILNS1_3genE9ELNS1_11target_archE1100ELNS1_3gpuE3ELNS1_3repE0EEENS1_30default_config_static_selectorELNS0_4arch9wavefront6targetE1EEEvS12_.kd
    .uniform_work_group_size: 1
    .uses_dynamic_stack: false
    .vgpr_count:     0
    .vgpr_spill_count: 0
    .wavefront_size: 64
  - .args:
      - .offset:         0
        .size:           184
        .value_kind:     by_value
    .group_segment_fixed_size: 0
    .kernarg_segment_align: 8
    .kernarg_segment_size: 184
    .language:       OpenCL C
    .language_version:
      - 2
      - 0
    .max_flat_workgroup_size: 256
    .name:           _ZN7rocprim17ROCPRIM_400000_NS6detail17trampoline_kernelINS0_13select_configILj256ELj13ELNS0_17block_load_methodE3ELS4_3ELS4_3ELNS0_20block_scan_algorithmE0ELj4294967295EEENS1_25partition_config_selectorILNS1_17partition_subalgoE4EjNS0_10empty_typeEbEEZZNS1_14partition_implILS8_4ELb0ES6_15HIP_vector_typeIjLj2EENS0_17counting_iteratorIjlEEPS9_SG_NS0_5tupleIJPjSI_NS0_16reverse_iteratorISI_EEEEENSH_IJSG_SG_SG_EEES9_SI_JZNS1_25segmented_radix_sort_implINS0_14default_configELb0EPKaPaPKlPlN2at6native12_GLOBAL__N_18offset_tEEE10hipError_tPvRmT1_PNSt15iterator_traitsIS12_E10value_typeET2_T3_PNS13_IS18_E10value_typeET4_jRbjT5_S1E_jjP12ihipStream_tbEUljE_ZNSN_ISO_Lb0ESQ_SR_ST_SU_SY_EESZ_S10_S11_S12_S16_S17_S18_S1B_S1C_jS1D_jS1E_S1E_jjS1G_bEUljE0_EEESZ_S10_S11_S18_S1C_S1E_T6_T7_T9_mT8_S1G_bDpT10_ENKUlT_T0_E_clISt17integral_constantIbLb0EES1T_IbLb1EEEEDaS1P_S1Q_EUlS1P_E_NS1_11comp_targetILNS1_3genE8ELNS1_11target_archE1030ELNS1_3gpuE2ELNS1_3repE0EEENS1_30default_config_static_selectorELNS0_4arch9wavefront6targetE1EEEvS12_
    .private_segment_fixed_size: 0
    .sgpr_count:     4
    .sgpr_spill_count: 0
    .symbol:         _ZN7rocprim17ROCPRIM_400000_NS6detail17trampoline_kernelINS0_13select_configILj256ELj13ELNS0_17block_load_methodE3ELS4_3ELS4_3ELNS0_20block_scan_algorithmE0ELj4294967295EEENS1_25partition_config_selectorILNS1_17partition_subalgoE4EjNS0_10empty_typeEbEEZZNS1_14partition_implILS8_4ELb0ES6_15HIP_vector_typeIjLj2EENS0_17counting_iteratorIjlEEPS9_SG_NS0_5tupleIJPjSI_NS0_16reverse_iteratorISI_EEEEENSH_IJSG_SG_SG_EEES9_SI_JZNS1_25segmented_radix_sort_implINS0_14default_configELb0EPKaPaPKlPlN2at6native12_GLOBAL__N_18offset_tEEE10hipError_tPvRmT1_PNSt15iterator_traitsIS12_E10value_typeET2_T3_PNS13_IS18_E10value_typeET4_jRbjT5_S1E_jjP12ihipStream_tbEUljE_ZNSN_ISO_Lb0ESQ_SR_ST_SU_SY_EESZ_S10_S11_S12_S16_S17_S18_S1B_S1C_jS1D_jS1E_S1E_jjS1G_bEUljE0_EEESZ_S10_S11_S18_S1C_S1E_T6_T7_T9_mT8_S1G_bDpT10_ENKUlT_T0_E_clISt17integral_constantIbLb0EES1T_IbLb1EEEEDaS1P_S1Q_EUlS1P_E_NS1_11comp_targetILNS1_3genE8ELNS1_11target_archE1030ELNS1_3gpuE2ELNS1_3repE0EEENS1_30default_config_static_selectorELNS0_4arch9wavefront6targetE1EEEvS12_.kd
    .uniform_work_group_size: 1
    .uses_dynamic_stack: false
    .vgpr_count:     0
    .vgpr_spill_count: 0
    .wavefront_size: 64
  - .args:
      - .offset:         0
        .size:           144
        .value_kind:     by_value
    .group_segment_fixed_size: 0
    .kernarg_segment_align: 8
    .kernarg_segment_size: 144
    .language:       OpenCL C
    .language_version:
      - 2
      - 0
    .max_flat_workgroup_size: 256
    .name:           _ZN7rocprim17ROCPRIM_400000_NS6detail17trampoline_kernelINS0_13select_configILj256ELj13ELNS0_17block_load_methodE3ELS4_3ELS4_3ELNS0_20block_scan_algorithmE0ELj4294967295EEENS1_25partition_config_selectorILNS1_17partition_subalgoE3EjNS0_10empty_typeEbEEZZNS1_14partition_implILS8_3ELb0ES6_jNS0_17counting_iteratorIjlEEPS9_SE_NS0_5tupleIJPjSE_EEENSF_IJSE_SE_EEES9_SG_JZNS1_25segmented_radix_sort_implINS0_14default_configELb0EPKaPaPKlPlN2at6native12_GLOBAL__N_18offset_tEEE10hipError_tPvRmT1_PNSt15iterator_traitsISY_E10value_typeET2_T3_PNSZ_IS14_E10value_typeET4_jRbjT5_S1A_jjP12ihipStream_tbEUljE_EEESV_SW_SX_S14_S18_S1A_T6_T7_T9_mT8_S1C_bDpT10_ENKUlT_T0_E_clISt17integral_constantIbLb0EES1P_EEDaS1K_S1L_EUlS1K_E_NS1_11comp_targetILNS1_3genE0ELNS1_11target_archE4294967295ELNS1_3gpuE0ELNS1_3repE0EEENS1_30default_config_static_selectorELNS0_4arch9wavefront6targetE1EEEvSY_
    .private_segment_fixed_size: 0
    .sgpr_count:     4
    .sgpr_spill_count: 0
    .symbol:         _ZN7rocprim17ROCPRIM_400000_NS6detail17trampoline_kernelINS0_13select_configILj256ELj13ELNS0_17block_load_methodE3ELS4_3ELS4_3ELNS0_20block_scan_algorithmE0ELj4294967295EEENS1_25partition_config_selectorILNS1_17partition_subalgoE3EjNS0_10empty_typeEbEEZZNS1_14partition_implILS8_3ELb0ES6_jNS0_17counting_iteratorIjlEEPS9_SE_NS0_5tupleIJPjSE_EEENSF_IJSE_SE_EEES9_SG_JZNS1_25segmented_radix_sort_implINS0_14default_configELb0EPKaPaPKlPlN2at6native12_GLOBAL__N_18offset_tEEE10hipError_tPvRmT1_PNSt15iterator_traitsISY_E10value_typeET2_T3_PNSZ_IS14_E10value_typeET4_jRbjT5_S1A_jjP12ihipStream_tbEUljE_EEESV_SW_SX_S14_S18_S1A_T6_T7_T9_mT8_S1C_bDpT10_ENKUlT_T0_E_clISt17integral_constantIbLb0EES1P_EEDaS1K_S1L_EUlS1K_E_NS1_11comp_targetILNS1_3genE0ELNS1_11target_archE4294967295ELNS1_3gpuE0ELNS1_3repE0EEENS1_30default_config_static_selectorELNS0_4arch9wavefront6targetE1EEEvSY_.kd
    .uniform_work_group_size: 1
    .uses_dynamic_stack: false
    .vgpr_count:     0
    .vgpr_spill_count: 0
    .wavefront_size: 64
  - .args:
      - .offset:         0
        .size:           144
        .value_kind:     by_value
    .group_segment_fixed_size: 0
    .kernarg_segment_align: 8
    .kernarg_segment_size: 144
    .language:       OpenCL C
    .language_version:
      - 2
      - 0
    .max_flat_workgroup_size: 256
    .name:           _ZN7rocprim17ROCPRIM_400000_NS6detail17trampoline_kernelINS0_13select_configILj256ELj13ELNS0_17block_load_methodE3ELS4_3ELS4_3ELNS0_20block_scan_algorithmE0ELj4294967295EEENS1_25partition_config_selectorILNS1_17partition_subalgoE3EjNS0_10empty_typeEbEEZZNS1_14partition_implILS8_3ELb0ES6_jNS0_17counting_iteratorIjlEEPS9_SE_NS0_5tupleIJPjSE_EEENSF_IJSE_SE_EEES9_SG_JZNS1_25segmented_radix_sort_implINS0_14default_configELb0EPKaPaPKlPlN2at6native12_GLOBAL__N_18offset_tEEE10hipError_tPvRmT1_PNSt15iterator_traitsISY_E10value_typeET2_T3_PNSZ_IS14_E10value_typeET4_jRbjT5_S1A_jjP12ihipStream_tbEUljE_EEESV_SW_SX_S14_S18_S1A_T6_T7_T9_mT8_S1C_bDpT10_ENKUlT_T0_E_clISt17integral_constantIbLb0EES1P_EEDaS1K_S1L_EUlS1K_E_NS1_11comp_targetILNS1_3genE5ELNS1_11target_archE942ELNS1_3gpuE9ELNS1_3repE0EEENS1_30default_config_static_selectorELNS0_4arch9wavefront6targetE1EEEvSY_
    .private_segment_fixed_size: 0
    .sgpr_count:     4
    .sgpr_spill_count: 0
    .symbol:         _ZN7rocprim17ROCPRIM_400000_NS6detail17trampoline_kernelINS0_13select_configILj256ELj13ELNS0_17block_load_methodE3ELS4_3ELS4_3ELNS0_20block_scan_algorithmE0ELj4294967295EEENS1_25partition_config_selectorILNS1_17partition_subalgoE3EjNS0_10empty_typeEbEEZZNS1_14partition_implILS8_3ELb0ES6_jNS0_17counting_iteratorIjlEEPS9_SE_NS0_5tupleIJPjSE_EEENSF_IJSE_SE_EEES9_SG_JZNS1_25segmented_radix_sort_implINS0_14default_configELb0EPKaPaPKlPlN2at6native12_GLOBAL__N_18offset_tEEE10hipError_tPvRmT1_PNSt15iterator_traitsISY_E10value_typeET2_T3_PNSZ_IS14_E10value_typeET4_jRbjT5_S1A_jjP12ihipStream_tbEUljE_EEESV_SW_SX_S14_S18_S1A_T6_T7_T9_mT8_S1C_bDpT10_ENKUlT_T0_E_clISt17integral_constantIbLb0EES1P_EEDaS1K_S1L_EUlS1K_E_NS1_11comp_targetILNS1_3genE5ELNS1_11target_archE942ELNS1_3gpuE9ELNS1_3repE0EEENS1_30default_config_static_selectorELNS0_4arch9wavefront6targetE1EEEvSY_.kd
    .uniform_work_group_size: 1
    .uses_dynamic_stack: false
    .vgpr_count:     0
    .vgpr_spill_count: 0
    .wavefront_size: 64
  - .args:
      - .offset:         0
        .size:           144
        .value_kind:     by_value
    .group_segment_fixed_size: 0
    .kernarg_segment_align: 8
    .kernarg_segment_size: 144
    .language:       OpenCL C
    .language_version:
      - 2
      - 0
    .max_flat_workgroup_size: 256
    .name:           _ZN7rocprim17ROCPRIM_400000_NS6detail17trampoline_kernelINS0_13select_configILj256ELj13ELNS0_17block_load_methodE3ELS4_3ELS4_3ELNS0_20block_scan_algorithmE0ELj4294967295EEENS1_25partition_config_selectorILNS1_17partition_subalgoE3EjNS0_10empty_typeEbEEZZNS1_14partition_implILS8_3ELb0ES6_jNS0_17counting_iteratorIjlEEPS9_SE_NS0_5tupleIJPjSE_EEENSF_IJSE_SE_EEES9_SG_JZNS1_25segmented_radix_sort_implINS0_14default_configELb0EPKaPaPKlPlN2at6native12_GLOBAL__N_18offset_tEEE10hipError_tPvRmT1_PNSt15iterator_traitsISY_E10value_typeET2_T3_PNSZ_IS14_E10value_typeET4_jRbjT5_S1A_jjP12ihipStream_tbEUljE_EEESV_SW_SX_S14_S18_S1A_T6_T7_T9_mT8_S1C_bDpT10_ENKUlT_T0_E_clISt17integral_constantIbLb0EES1P_EEDaS1K_S1L_EUlS1K_E_NS1_11comp_targetILNS1_3genE4ELNS1_11target_archE910ELNS1_3gpuE8ELNS1_3repE0EEENS1_30default_config_static_selectorELNS0_4arch9wavefront6targetE1EEEvSY_
    .private_segment_fixed_size: 0
    .sgpr_count:     4
    .sgpr_spill_count: 0
    .symbol:         _ZN7rocprim17ROCPRIM_400000_NS6detail17trampoline_kernelINS0_13select_configILj256ELj13ELNS0_17block_load_methodE3ELS4_3ELS4_3ELNS0_20block_scan_algorithmE0ELj4294967295EEENS1_25partition_config_selectorILNS1_17partition_subalgoE3EjNS0_10empty_typeEbEEZZNS1_14partition_implILS8_3ELb0ES6_jNS0_17counting_iteratorIjlEEPS9_SE_NS0_5tupleIJPjSE_EEENSF_IJSE_SE_EEES9_SG_JZNS1_25segmented_radix_sort_implINS0_14default_configELb0EPKaPaPKlPlN2at6native12_GLOBAL__N_18offset_tEEE10hipError_tPvRmT1_PNSt15iterator_traitsISY_E10value_typeET2_T3_PNSZ_IS14_E10value_typeET4_jRbjT5_S1A_jjP12ihipStream_tbEUljE_EEESV_SW_SX_S14_S18_S1A_T6_T7_T9_mT8_S1C_bDpT10_ENKUlT_T0_E_clISt17integral_constantIbLb0EES1P_EEDaS1K_S1L_EUlS1K_E_NS1_11comp_targetILNS1_3genE4ELNS1_11target_archE910ELNS1_3gpuE8ELNS1_3repE0EEENS1_30default_config_static_selectorELNS0_4arch9wavefront6targetE1EEEvSY_.kd
    .uniform_work_group_size: 1
    .uses_dynamic_stack: false
    .vgpr_count:     0
    .vgpr_spill_count: 0
    .wavefront_size: 64
  - .args:
      - .offset:         0
        .size:           144
        .value_kind:     by_value
    .group_segment_fixed_size: 0
    .kernarg_segment_align: 8
    .kernarg_segment_size: 144
    .language:       OpenCL C
    .language_version:
      - 2
      - 0
    .max_flat_workgroup_size: 256
    .name:           _ZN7rocprim17ROCPRIM_400000_NS6detail17trampoline_kernelINS0_13select_configILj256ELj13ELNS0_17block_load_methodE3ELS4_3ELS4_3ELNS0_20block_scan_algorithmE0ELj4294967295EEENS1_25partition_config_selectorILNS1_17partition_subalgoE3EjNS0_10empty_typeEbEEZZNS1_14partition_implILS8_3ELb0ES6_jNS0_17counting_iteratorIjlEEPS9_SE_NS0_5tupleIJPjSE_EEENSF_IJSE_SE_EEES9_SG_JZNS1_25segmented_radix_sort_implINS0_14default_configELb0EPKaPaPKlPlN2at6native12_GLOBAL__N_18offset_tEEE10hipError_tPvRmT1_PNSt15iterator_traitsISY_E10value_typeET2_T3_PNSZ_IS14_E10value_typeET4_jRbjT5_S1A_jjP12ihipStream_tbEUljE_EEESV_SW_SX_S14_S18_S1A_T6_T7_T9_mT8_S1C_bDpT10_ENKUlT_T0_E_clISt17integral_constantIbLb0EES1P_EEDaS1K_S1L_EUlS1K_E_NS1_11comp_targetILNS1_3genE3ELNS1_11target_archE908ELNS1_3gpuE7ELNS1_3repE0EEENS1_30default_config_static_selectorELNS0_4arch9wavefront6targetE1EEEvSY_
    .private_segment_fixed_size: 0
    .sgpr_count:     4
    .sgpr_spill_count: 0
    .symbol:         _ZN7rocprim17ROCPRIM_400000_NS6detail17trampoline_kernelINS0_13select_configILj256ELj13ELNS0_17block_load_methodE3ELS4_3ELS4_3ELNS0_20block_scan_algorithmE0ELj4294967295EEENS1_25partition_config_selectorILNS1_17partition_subalgoE3EjNS0_10empty_typeEbEEZZNS1_14partition_implILS8_3ELb0ES6_jNS0_17counting_iteratorIjlEEPS9_SE_NS0_5tupleIJPjSE_EEENSF_IJSE_SE_EEES9_SG_JZNS1_25segmented_radix_sort_implINS0_14default_configELb0EPKaPaPKlPlN2at6native12_GLOBAL__N_18offset_tEEE10hipError_tPvRmT1_PNSt15iterator_traitsISY_E10value_typeET2_T3_PNSZ_IS14_E10value_typeET4_jRbjT5_S1A_jjP12ihipStream_tbEUljE_EEESV_SW_SX_S14_S18_S1A_T6_T7_T9_mT8_S1C_bDpT10_ENKUlT_T0_E_clISt17integral_constantIbLb0EES1P_EEDaS1K_S1L_EUlS1K_E_NS1_11comp_targetILNS1_3genE3ELNS1_11target_archE908ELNS1_3gpuE7ELNS1_3repE0EEENS1_30default_config_static_selectorELNS0_4arch9wavefront6targetE1EEEvSY_.kd
    .uniform_work_group_size: 1
    .uses_dynamic_stack: false
    .vgpr_count:     0
    .vgpr_spill_count: 0
    .wavefront_size: 64
  - .args:
      - .offset:         0
        .size:           144
        .value_kind:     by_value
    .group_segment_fixed_size: 13320
    .kernarg_segment_align: 8
    .kernarg_segment_size: 144
    .language:       OpenCL C
    .language_version:
      - 2
      - 0
    .max_flat_workgroup_size: 256
    .name:           _ZN7rocprim17ROCPRIM_400000_NS6detail17trampoline_kernelINS0_13select_configILj256ELj13ELNS0_17block_load_methodE3ELS4_3ELS4_3ELNS0_20block_scan_algorithmE0ELj4294967295EEENS1_25partition_config_selectorILNS1_17partition_subalgoE3EjNS0_10empty_typeEbEEZZNS1_14partition_implILS8_3ELb0ES6_jNS0_17counting_iteratorIjlEEPS9_SE_NS0_5tupleIJPjSE_EEENSF_IJSE_SE_EEES9_SG_JZNS1_25segmented_radix_sort_implINS0_14default_configELb0EPKaPaPKlPlN2at6native12_GLOBAL__N_18offset_tEEE10hipError_tPvRmT1_PNSt15iterator_traitsISY_E10value_typeET2_T3_PNSZ_IS14_E10value_typeET4_jRbjT5_S1A_jjP12ihipStream_tbEUljE_EEESV_SW_SX_S14_S18_S1A_T6_T7_T9_mT8_S1C_bDpT10_ENKUlT_T0_E_clISt17integral_constantIbLb0EES1P_EEDaS1K_S1L_EUlS1K_E_NS1_11comp_targetILNS1_3genE2ELNS1_11target_archE906ELNS1_3gpuE6ELNS1_3repE0EEENS1_30default_config_static_selectorELNS0_4arch9wavefront6targetE1EEEvSY_
    .private_segment_fixed_size: 0
    .sgpr_count:     52
    .sgpr_spill_count: 0
    .symbol:         _ZN7rocprim17ROCPRIM_400000_NS6detail17trampoline_kernelINS0_13select_configILj256ELj13ELNS0_17block_load_methodE3ELS4_3ELS4_3ELNS0_20block_scan_algorithmE0ELj4294967295EEENS1_25partition_config_selectorILNS1_17partition_subalgoE3EjNS0_10empty_typeEbEEZZNS1_14partition_implILS8_3ELb0ES6_jNS0_17counting_iteratorIjlEEPS9_SE_NS0_5tupleIJPjSE_EEENSF_IJSE_SE_EEES9_SG_JZNS1_25segmented_radix_sort_implINS0_14default_configELb0EPKaPaPKlPlN2at6native12_GLOBAL__N_18offset_tEEE10hipError_tPvRmT1_PNSt15iterator_traitsISY_E10value_typeET2_T3_PNSZ_IS14_E10value_typeET4_jRbjT5_S1A_jjP12ihipStream_tbEUljE_EEESV_SW_SX_S14_S18_S1A_T6_T7_T9_mT8_S1C_bDpT10_ENKUlT_T0_E_clISt17integral_constantIbLb0EES1P_EEDaS1K_S1L_EUlS1K_E_NS1_11comp_targetILNS1_3genE2ELNS1_11target_archE906ELNS1_3gpuE6ELNS1_3repE0EEENS1_30default_config_static_selectorELNS0_4arch9wavefront6targetE1EEEvSY_.kd
    .uniform_work_group_size: 1
    .uses_dynamic_stack: false
    .vgpr_count:     69
    .vgpr_spill_count: 0
    .wavefront_size: 64
  - .args:
      - .offset:         0
        .size:           144
        .value_kind:     by_value
    .group_segment_fixed_size: 0
    .kernarg_segment_align: 8
    .kernarg_segment_size: 144
    .language:       OpenCL C
    .language_version:
      - 2
      - 0
    .max_flat_workgroup_size: 256
    .name:           _ZN7rocprim17ROCPRIM_400000_NS6detail17trampoline_kernelINS0_13select_configILj256ELj13ELNS0_17block_load_methodE3ELS4_3ELS4_3ELNS0_20block_scan_algorithmE0ELj4294967295EEENS1_25partition_config_selectorILNS1_17partition_subalgoE3EjNS0_10empty_typeEbEEZZNS1_14partition_implILS8_3ELb0ES6_jNS0_17counting_iteratorIjlEEPS9_SE_NS0_5tupleIJPjSE_EEENSF_IJSE_SE_EEES9_SG_JZNS1_25segmented_radix_sort_implINS0_14default_configELb0EPKaPaPKlPlN2at6native12_GLOBAL__N_18offset_tEEE10hipError_tPvRmT1_PNSt15iterator_traitsISY_E10value_typeET2_T3_PNSZ_IS14_E10value_typeET4_jRbjT5_S1A_jjP12ihipStream_tbEUljE_EEESV_SW_SX_S14_S18_S1A_T6_T7_T9_mT8_S1C_bDpT10_ENKUlT_T0_E_clISt17integral_constantIbLb0EES1P_EEDaS1K_S1L_EUlS1K_E_NS1_11comp_targetILNS1_3genE10ELNS1_11target_archE1200ELNS1_3gpuE4ELNS1_3repE0EEENS1_30default_config_static_selectorELNS0_4arch9wavefront6targetE1EEEvSY_
    .private_segment_fixed_size: 0
    .sgpr_count:     4
    .sgpr_spill_count: 0
    .symbol:         _ZN7rocprim17ROCPRIM_400000_NS6detail17trampoline_kernelINS0_13select_configILj256ELj13ELNS0_17block_load_methodE3ELS4_3ELS4_3ELNS0_20block_scan_algorithmE0ELj4294967295EEENS1_25partition_config_selectorILNS1_17partition_subalgoE3EjNS0_10empty_typeEbEEZZNS1_14partition_implILS8_3ELb0ES6_jNS0_17counting_iteratorIjlEEPS9_SE_NS0_5tupleIJPjSE_EEENSF_IJSE_SE_EEES9_SG_JZNS1_25segmented_radix_sort_implINS0_14default_configELb0EPKaPaPKlPlN2at6native12_GLOBAL__N_18offset_tEEE10hipError_tPvRmT1_PNSt15iterator_traitsISY_E10value_typeET2_T3_PNSZ_IS14_E10value_typeET4_jRbjT5_S1A_jjP12ihipStream_tbEUljE_EEESV_SW_SX_S14_S18_S1A_T6_T7_T9_mT8_S1C_bDpT10_ENKUlT_T0_E_clISt17integral_constantIbLb0EES1P_EEDaS1K_S1L_EUlS1K_E_NS1_11comp_targetILNS1_3genE10ELNS1_11target_archE1200ELNS1_3gpuE4ELNS1_3repE0EEENS1_30default_config_static_selectorELNS0_4arch9wavefront6targetE1EEEvSY_.kd
    .uniform_work_group_size: 1
    .uses_dynamic_stack: false
    .vgpr_count:     0
    .vgpr_spill_count: 0
    .wavefront_size: 64
  - .args:
      - .offset:         0
        .size:           144
        .value_kind:     by_value
    .group_segment_fixed_size: 0
    .kernarg_segment_align: 8
    .kernarg_segment_size: 144
    .language:       OpenCL C
    .language_version:
      - 2
      - 0
    .max_flat_workgroup_size: 256
    .name:           _ZN7rocprim17ROCPRIM_400000_NS6detail17trampoline_kernelINS0_13select_configILj256ELj13ELNS0_17block_load_methodE3ELS4_3ELS4_3ELNS0_20block_scan_algorithmE0ELj4294967295EEENS1_25partition_config_selectorILNS1_17partition_subalgoE3EjNS0_10empty_typeEbEEZZNS1_14partition_implILS8_3ELb0ES6_jNS0_17counting_iteratorIjlEEPS9_SE_NS0_5tupleIJPjSE_EEENSF_IJSE_SE_EEES9_SG_JZNS1_25segmented_radix_sort_implINS0_14default_configELb0EPKaPaPKlPlN2at6native12_GLOBAL__N_18offset_tEEE10hipError_tPvRmT1_PNSt15iterator_traitsISY_E10value_typeET2_T3_PNSZ_IS14_E10value_typeET4_jRbjT5_S1A_jjP12ihipStream_tbEUljE_EEESV_SW_SX_S14_S18_S1A_T6_T7_T9_mT8_S1C_bDpT10_ENKUlT_T0_E_clISt17integral_constantIbLb0EES1P_EEDaS1K_S1L_EUlS1K_E_NS1_11comp_targetILNS1_3genE9ELNS1_11target_archE1100ELNS1_3gpuE3ELNS1_3repE0EEENS1_30default_config_static_selectorELNS0_4arch9wavefront6targetE1EEEvSY_
    .private_segment_fixed_size: 0
    .sgpr_count:     4
    .sgpr_spill_count: 0
    .symbol:         _ZN7rocprim17ROCPRIM_400000_NS6detail17trampoline_kernelINS0_13select_configILj256ELj13ELNS0_17block_load_methodE3ELS4_3ELS4_3ELNS0_20block_scan_algorithmE0ELj4294967295EEENS1_25partition_config_selectorILNS1_17partition_subalgoE3EjNS0_10empty_typeEbEEZZNS1_14partition_implILS8_3ELb0ES6_jNS0_17counting_iteratorIjlEEPS9_SE_NS0_5tupleIJPjSE_EEENSF_IJSE_SE_EEES9_SG_JZNS1_25segmented_radix_sort_implINS0_14default_configELb0EPKaPaPKlPlN2at6native12_GLOBAL__N_18offset_tEEE10hipError_tPvRmT1_PNSt15iterator_traitsISY_E10value_typeET2_T3_PNSZ_IS14_E10value_typeET4_jRbjT5_S1A_jjP12ihipStream_tbEUljE_EEESV_SW_SX_S14_S18_S1A_T6_T7_T9_mT8_S1C_bDpT10_ENKUlT_T0_E_clISt17integral_constantIbLb0EES1P_EEDaS1K_S1L_EUlS1K_E_NS1_11comp_targetILNS1_3genE9ELNS1_11target_archE1100ELNS1_3gpuE3ELNS1_3repE0EEENS1_30default_config_static_selectorELNS0_4arch9wavefront6targetE1EEEvSY_.kd
    .uniform_work_group_size: 1
    .uses_dynamic_stack: false
    .vgpr_count:     0
    .vgpr_spill_count: 0
    .wavefront_size: 64
  - .args:
      - .offset:         0
        .size:           144
        .value_kind:     by_value
    .group_segment_fixed_size: 0
    .kernarg_segment_align: 8
    .kernarg_segment_size: 144
    .language:       OpenCL C
    .language_version:
      - 2
      - 0
    .max_flat_workgroup_size: 256
    .name:           _ZN7rocprim17ROCPRIM_400000_NS6detail17trampoline_kernelINS0_13select_configILj256ELj13ELNS0_17block_load_methodE3ELS4_3ELS4_3ELNS0_20block_scan_algorithmE0ELj4294967295EEENS1_25partition_config_selectorILNS1_17partition_subalgoE3EjNS0_10empty_typeEbEEZZNS1_14partition_implILS8_3ELb0ES6_jNS0_17counting_iteratorIjlEEPS9_SE_NS0_5tupleIJPjSE_EEENSF_IJSE_SE_EEES9_SG_JZNS1_25segmented_radix_sort_implINS0_14default_configELb0EPKaPaPKlPlN2at6native12_GLOBAL__N_18offset_tEEE10hipError_tPvRmT1_PNSt15iterator_traitsISY_E10value_typeET2_T3_PNSZ_IS14_E10value_typeET4_jRbjT5_S1A_jjP12ihipStream_tbEUljE_EEESV_SW_SX_S14_S18_S1A_T6_T7_T9_mT8_S1C_bDpT10_ENKUlT_T0_E_clISt17integral_constantIbLb0EES1P_EEDaS1K_S1L_EUlS1K_E_NS1_11comp_targetILNS1_3genE8ELNS1_11target_archE1030ELNS1_3gpuE2ELNS1_3repE0EEENS1_30default_config_static_selectorELNS0_4arch9wavefront6targetE1EEEvSY_
    .private_segment_fixed_size: 0
    .sgpr_count:     4
    .sgpr_spill_count: 0
    .symbol:         _ZN7rocprim17ROCPRIM_400000_NS6detail17trampoline_kernelINS0_13select_configILj256ELj13ELNS0_17block_load_methodE3ELS4_3ELS4_3ELNS0_20block_scan_algorithmE0ELj4294967295EEENS1_25partition_config_selectorILNS1_17partition_subalgoE3EjNS0_10empty_typeEbEEZZNS1_14partition_implILS8_3ELb0ES6_jNS0_17counting_iteratorIjlEEPS9_SE_NS0_5tupleIJPjSE_EEENSF_IJSE_SE_EEES9_SG_JZNS1_25segmented_radix_sort_implINS0_14default_configELb0EPKaPaPKlPlN2at6native12_GLOBAL__N_18offset_tEEE10hipError_tPvRmT1_PNSt15iterator_traitsISY_E10value_typeET2_T3_PNSZ_IS14_E10value_typeET4_jRbjT5_S1A_jjP12ihipStream_tbEUljE_EEESV_SW_SX_S14_S18_S1A_T6_T7_T9_mT8_S1C_bDpT10_ENKUlT_T0_E_clISt17integral_constantIbLb0EES1P_EEDaS1K_S1L_EUlS1K_E_NS1_11comp_targetILNS1_3genE8ELNS1_11target_archE1030ELNS1_3gpuE2ELNS1_3repE0EEENS1_30default_config_static_selectorELNS0_4arch9wavefront6targetE1EEEvSY_.kd
    .uniform_work_group_size: 1
    .uses_dynamic_stack: false
    .vgpr_count:     0
    .vgpr_spill_count: 0
    .wavefront_size: 64
  - .args:
      - .offset:         0
        .size:           152
        .value_kind:     by_value
    .group_segment_fixed_size: 0
    .kernarg_segment_align: 8
    .kernarg_segment_size: 152
    .language:       OpenCL C
    .language_version:
      - 2
      - 0
    .max_flat_workgroup_size: 256
    .name:           _ZN7rocprim17ROCPRIM_400000_NS6detail17trampoline_kernelINS0_13select_configILj256ELj13ELNS0_17block_load_methodE3ELS4_3ELS4_3ELNS0_20block_scan_algorithmE0ELj4294967295EEENS1_25partition_config_selectorILNS1_17partition_subalgoE3EjNS0_10empty_typeEbEEZZNS1_14partition_implILS8_3ELb0ES6_jNS0_17counting_iteratorIjlEEPS9_SE_NS0_5tupleIJPjSE_EEENSF_IJSE_SE_EEES9_SG_JZNS1_25segmented_radix_sort_implINS0_14default_configELb0EPKaPaPKlPlN2at6native12_GLOBAL__N_18offset_tEEE10hipError_tPvRmT1_PNSt15iterator_traitsISY_E10value_typeET2_T3_PNSZ_IS14_E10value_typeET4_jRbjT5_S1A_jjP12ihipStream_tbEUljE_EEESV_SW_SX_S14_S18_S1A_T6_T7_T9_mT8_S1C_bDpT10_ENKUlT_T0_E_clISt17integral_constantIbLb1EES1P_EEDaS1K_S1L_EUlS1K_E_NS1_11comp_targetILNS1_3genE0ELNS1_11target_archE4294967295ELNS1_3gpuE0ELNS1_3repE0EEENS1_30default_config_static_selectorELNS0_4arch9wavefront6targetE1EEEvSY_
    .private_segment_fixed_size: 0
    .sgpr_count:     4
    .sgpr_spill_count: 0
    .symbol:         _ZN7rocprim17ROCPRIM_400000_NS6detail17trampoline_kernelINS0_13select_configILj256ELj13ELNS0_17block_load_methodE3ELS4_3ELS4_3ELNS0_20block_scan_algorithmE0ELj4294967295EEENS1_25partition_config_selectorILNS1_17partition_subalgoE3EjNS0_10empty_typeEbEEZZNS1_14partition_implILS8_3ELb0ES6_jNS0_17counting_iteratorIjlEEPS9_SE_NS0_5tupleIJPjSE_EEENSF_IJSE_SE_EEES9_SG_JZNS1_25segmented_radix_sort_implINS0_14default_configELb0EPKaPaPKlPlN2at6native12_GLOBAL__N_18offset_tEEE10hipError_tPvRmT1_PNSt15iterator_traitsISY_E10value_typeET2_T3_PNSZ_IS14_E10value_typeET4_jRbjT5_S1A_jjP12ihipStream_tbEUljE_EEESV_SW_SX_S14_S18_S1A_T6_T7_T9_mT8_S1C_bDpT10_ENKUlT_T0_E_clISt17integral_constantIbLb1EES1P_EEDaS1K_S1L_EUlS1K_E_NS1_11comp_targetILNS1_3genE0ELNS1_11target_archE4294967295ELNS1_3gpuE0ELNS1_3repE0EEENS1_30default_config_static_selectorELNS0_4arch9wavefront6targetE1EEEvSY_.kd
    .uniform_work_group_size: 1
    .uses_dynamic_stack: false
    .vgpr_count:     0
    .vgpr_spill_count: 0
    .wavefront_size: 64
  - .args:
      - .offset:         0
        .size:           152
        .value_kind:     by_value
    .group_segment_fixed_size: 0
    .kernarg_segment_align: 8
    .kernarg_segment_size: 152
    .language:       OpenCL C
    .language_version:
      - 2
      - 0
    .max_flat_workgroup_size: 256
    .name:           _ZN7rocprim17ROCPRIM_400000_NS6detail17trampoline_kernelINS0_13select_configILj256ELj13ELNS0_17block_load_methodE3ELS4_3ELS4_3ELNS0_20block_scan_algorithmE0ELj4294967295EEENS1_25partition_config_selectorILNS1_17partition_subalgoE3EjNS0_10empty_typeEbEEZZNS1_14partition_implILS8_3ELb0ES6_jNS0_17counting_iteratorIjlEEPS9_SE_NS0_5tupleIJPjSE_EEENSF_IJSE_SE_EEES9_SG_JZNS1_25segmented_radix_sort_implINS0_14default_configELb0EPKaPaPKlPlN2at6native12_GLOBAL__N_18offset_tEEE10hipError_tPvRmT1_PNSt15iterator_traitsISY_E10value_typeET2_T3_PNSZ_IS14_E10value_typeET4_jRbjT5_S1A_jjP12ihipStream_tbEUljE_EEESV_SW_SX_S14_S18_S1A_T6_T7_T9_mT8_S1C_bDpT10_ENKUlT_T0_E_clISt17integral_constantIbLb1EES1P_EEDaS1K_S1L_EUlS1K_E_NS1_11comp_targetILNS1_3genE5ELNS1_11target_archE942ELNS1_3gpuE9ELNS1_3repE0EEENS1_30default_config_static_selectorELNS0_4arch9wavefront6targetE1EEEvSY_
    .private_segment_fixed_size: 0
    .sgpr_count:     4
    .sgpr_spill_count: 0
    .symbol:         _ZN7rocprim17ROCPRIM_400000_NS6detail17trampoline_kernelINS0_13select_configILj256ELj13ELNS0_17block_load_methodE3ELS4_3ELS4_3ELNS0_20block_scan_algorithmE0ELj4294967295EEENS1_25partition_config_selectorILNS1_17partition_subalgoE3EjNS0_10empty_typeEbEEZZNS1_14partition_implILS8_3ELb0ES6_jNS0_17counting_iteratorIjlEEPS9_SE_NS0_5tupleIJPjSE_EEENSF_IJSE_SE_EEES9_SG_JZNS1_25segmented_radix_sort_implINS0_14default_configELb0EPKaPaPKlPlN2at6native12_GLOBAL__N_18offset_tEEE10hipError_tPvRmT1_PNSt15iterator_traitsISY_E10value_typeET2_T3_PNSZ_IS14_E10value_typeET4_jRbjT5_S1A_jjP12ihipStream_tbEUljE_EEESV_SW_SX_S14_S18_S1A_T6_T7_T9_mT8_S1C_bDpT10_ENKUlT_T0_E_clISt17integral_constantIbLb1EES1P_EEDaS1K_S1L_EUlS1K_E_NS1_11comp_targetILNS1_3genE5ELNS1_11target_archE942ELNS1_3gpuE9ELNS1_3repE0EEENS1_30default_config_static_selectorELNS0_4arch9wavefront6targetE1EEEvSY_.kd
    .uniform_work_group_size: 1
    .uses_dynamic_stack: false
    .vgpr_count:     0
    .vgpr_spill_count: 0
    .wavefront_size: 64
  - .args:
      - .offset:         0
        .size:           152
        .value_kind:     by_value
    .group_segment_fixed_size: 0
    .kernarg_segment_align: 8
    .kernarg_segment_size: 152
    .language:       OpenCL C
    .language_version:
      - 2
      - 0
    .max_flat_workgroup_size: 256
    .name:           _ZN7rocprim17ROCPRIM_400000_NS6detail17trampoline_kernelINS0_13select_configILj256ELj13ELNS0_17block_load_methodE3ELS4_3ELS4_3ELNS0_20block_scan_algorithmE0ELj4294967295EEENS1_25partition_config_selectorILNS1_17partition_subalgoE3EjNS0_10empty_typeEbEEZZNS1_14partition_implILS8_3ELb0ES6_jNS0_17counting_iteratorIjlEEPS9_SE_NS0_5tupleIJPjSE_EEENSF_IJSE_SE_EEES9_SG_JZNS1_25segmented_radix_sort_implINS0_14default_configELb0EPKaPaPKlPlN2at6native12_GLOBAL__N_18offset_tEEE10hipError_tPvRmT1_PNSt15iterator_traitsISY_E10value_typeET2_T3_PNSZ_IS14_E10value_typeET4_jRbjT5_S1A_jjP12ihipStream_tbEUljE_EEESV_SW_SX_S14_S18_S1A_T6_T7_T9_mT8_S1C_bDpT10_ENKUlT_T0_E_clISt17integral_constantIbLb1EES1P_EEDaS1K_S1L_EUlS1K_E_NS1_11comp_targetILNS1_3genE4ELNS1_11target_archE910ELNS1_3gpuE8ELNS1_3repE0EEENS1_30default_config_static_selectorELNS0_4arch9wavefront6targetE1EEEvSY_
    .private_segment_fixed_size: 0
    .sgpr_count:     4
    .sgpr_spill_count: 0
    .symbol:         _ZN7rocprim17ROCPRIM_400000_NS6detail17trampoline_kernelINS0_13select_configILj256ELj13ELNS0_17block_load_methodE3ELS4_3ELS4_3ELNS0_20block_scan_algorithmE0ELj4294967295EEENS1_25partition_config_selectorILNS1_17partition_subalgoE3EjNS0_10empty_typeEbEEZZNS1_14partition_implILS8_3ELb0ES6_jNS0_17counting_iteratorIjlEEPS9_SE_NS0_5tupleIJPjSE_EEENSF_IJSE_SE_EEES9_SG_JZNS1_25segmented_radix_sort_implINS0_14default_configELb0EPKaPaPKlPlN2at6native12_GLOBAL__N_18offset_tEEE10hipError_tPvRmT1_PNSt15iterator_traitsISY_E10value_typeET2_T3_PNSZ_IS14_E10value_typeET4_jRbjT5_S1A_jjP12ihipStream_tbEUljE_EEESV_SW_SX_S14_S18_S1A_T6_T7_T9_mT8_S1C_bDpT10_ENKUlT_T0_E_clISt17integral_constantIbLb1EES1P_EEDaS1K_S1L_EUlS1K_E_NS1_11comp_targetILNS1_3genE4ELNS1_11target_archE910ELNS1_3gpuE8ELNS1_3repE0EEENS1_30default_config_static_selectorELNS0_4arch9wavefront6targetE1EEEvSY_.kd
    .uniform_work_group_size: 1
    .uses_dynamic_stack: false
    .vgpr_count:     0
    .vgpr_spill_count: 0
    .wavefront_size: 64
  - .args:
      - .offset:         0
        .size:           152
        .value_kind:     by_value
    .group_segment_fixed_size: 0
    .kernarg_segment_align: 8
    .kernarg_segment_size: 152
    .language:       OpenCL C
    .language_version:
      - 2
      - 0
    .max_flat_workgroup_size: 256
    .name:           _ZN7rocprim17ROCPRIM_400000_NS6detail17trampoline_kernelINS0_13select_configILj256ELj13ELNS0_17block_load_methodE3ELS4_3ELS4_3ELNS0_20block_scan_algorithmE0ELj4294967295EEENS1_25partition_config_selectorILNS1_17partition_subalgoE3EjNS0_10empty_typeEbEEZZNS1_14partition_implILS8_3ELb0ES6_jNS0_17counting_iteratorIjlEEPS9_SE_NS0_5tupleIJPjSE_EEENSF_IJSE_SE_EEES9_SG_JZNS1_25segmented_radix_sort_implINS0_14default_configELb0EPKaPaPKlPlN2at6native12_GLOBAL__N_18offset_tEEE10hipError_tPvRmT1_PNSt15iterator_traitsISY_E10value_typeET2_T3_PNSZ_IS14_E10value_typeET4_jRbjT5_S1A_jjP12ihipStream_tbEUljE_EEESV_SW_SX_S14_S18_S1A_T6_T7_T9_mT8_S1C_bDpT10_ENKUlT_T0_E_clISt17integral_constantIbLb1EES1P_EEDaS1K_S1L_EUlS1K_E_NS1_11comp_targetILNS1_3genE3ELNS1_11target_archE908ELNS1_3gpuE7ELNS1_3repE0EEENS1_30default_config_static_selectorELNS0_4arch9wavefront6targetE1EEEvSY_
    .private_segment_fixed_size: 0
    .sgpr_count:     4
    .sgpr_spill_count: 0
    .symbol:         _ZN7rocprim17ROCPRIM_400000_NS6detail17trampoline_kernelINS0_13select_configILj256ELj13ELNS0_17block_load_methodE3ELS4_3ELS4_3ELNS0_20block_scan_algorithmE0ELj4294967295EEENS1_25partition_config_selectorILNS1_17partition_subalgoE3EjNS0_10empty_typeEbEEZZNS1_14partition_implILS8_3ELb0ES6_jNS0_17counting_iteratorIjlEEPS9_SE_NS0_5tupleIJPjSE_EEENSF_IJSE_SE_EEES9_SG_JZNS1_25segmented_radix_sort_implINS0_14default_configELb0EPKaPaPKlPlN2at6native12_GLOBAL__N_18offset_tEEE10hipError_tPvRmT1_PNSt15iterator_traitsISY_E10value_typeET2_T3_PNSZ_IS14_E10value_typeET4_jRbjT5_S1A_jjP12ihipStream_tbEUljE_EEESV_SW_SX_S14_S18_S1A_T6_T7_T9_mT8_S1C_bDpT10_ENKUlT_T0_E_clISt17integral_constantIbLb1EES1P_EEDaS1K_S1L_EUlS1K_E_NS1_11comp_targetILNS1_3genE3ELNS1_11target_archE908ELNS1_3gpuE7ELNS1_3repE0EEENS1_30default_config_static_selectorELNS0_4arch9wavefront6targetE1EEEvSY_.kd
    .uniform_work_group_size: 1
    .uses_dynamic_stack: false
    .vgpr_count:     0
    .vgpr_spill_count: 0
    .wavefront_size: 64
  - .args:
      - .offset:         0
        .size:           152
        .value_kind:     by_value
    .group_segment_fixed_size: 0
    .kernarg_segment_align: 8
    .kernarg_segment_size: 152
    .language:       OpenCL C
    .language_version:
      - 2
      - 0
    .max_flat_workgroup_size: 256
    .name:           _ZN7rocprim17ROCPRIM_400000_NS6detail17trampoline_kernelINS0_13select_configILj256ELj13ELNS0_17block_load_methodE3ELS4_3ELS4_3ELNS0_20block_scan_algorithmE0ELj4294967295EEENS1_25partition_config_selectorILNS1_17partition_subalgoE3EjNS0_10empty_typeEbEEZZNS1_14partition_implILS8_3ELb0ES6_jNS0_17counting_iteratorIjlEEPS9_SE_NS0_5tupleIJPjSE_EEENSF_IJSE_SE_EEES9_SG_JZNS1_25segmented_radix_sort_implINS0_14default_configELb0EPKaPaPKlPlN2at6native12_GLOBAL__N_18offset_tEEE10hipError_tPvRmT1_PNSt15iterator_traitsISY_E10value_typeET2_T3_PNSZ_IS14_E10value_typeET4_jRbjT5_S1A_jjP12ihipStream_tbEUljE_EEESV_SW_SX_S14_S18_S1A_T6_T7_T9_mT8_S1C_bDpT10_ENKUlT_T0_E_clISt17integral_constantIbLb1EES1P_EEDaS1K_S1L_EUlS1K_E_NS1_11comp_targetILNS1_3genE2ELNS1_11target_archE906ELNS1_3gpuE6ELNS1_3repE0EEENS1_30default_config_static_selectorELNS0_4arch9wavefront6targetE1EEEvSY_
    .private_segment_fixed_size: 0
    .sgpr_count:     4
    .sgpr_spill_count: 0
    .symbol:         _ZN7rocprim17ROCPRIM_400000_NS6detail17trampoline_kernelINS0_13select_configILj256ELj13ELNS0_17block_load_methodE3ELS4_3ELS4_3ELNS0_20block_scan_algorithmE0ELj4294967295EEENS1_25partition_config_selectorILNS1_17partition_subalgoE3EjNS0_10empty_typeEbEEZZNS1_14partition_implILS8_3ELb0ES6_jNS0_17counting_iteratorIjlEEPS9_SE_NS0_5tupleIJPjSE_EEENSF_IJSE_SE_EEES9_SG_JZNS1_25segmented_radix_sort_implINS0_14default_configELb0EPKaPaPKlPlN2at6native12_GLOBAL__N_18offset_tEEE10hipError_tPvRmT1_PNSt15iterator_traitsISY_E10value_typeET2_T3_PNSZ_IS14_E10value_typeET4_jRbjT5_S1A_jjP12ihipStream_tbEUljE_EEESV_SW_SX_S14_S18_S1A_T6_T7_T9_mT8_S1C_bDpT10_ENKUlT_T0_E_clISt17integral_constantIbLb1EES1P_EEDaS1K_S1L_EUlS1K_E_NS1_11comp_targetILNS1_3genE2ELNS1_11target_archE906ELNS1_3gpuE6ELNS1_3repE0EEENS1_30default_config_static_selectorELNS0_4arch9wavefront6targetE1EEEvSY_.kd
    .uniform_work_group_size: 1
    .uses_dynamic_stack: false
    .vgpr_count:     0
    .vgpr_spill_count: 0
    .wavefront_size: 64
  - .args:
      - .offset:         0
        .size:           152
        .value_kind:     by_value
    .group_segment_fixed_size: 0
    .kernarg_segment_align: 8
    .kernarg_segment_size: 152
    .language:       OpenCL C
    .language_version:
      - 2
      - 0
    .max_flat_workgroup_size: 256
    .name:           _ZN7rocprim17ROCPRIM_400000_NS6detail17trampoline_kernelINS0_13select_configILj256ELj13ELNS0_17block_load_methodE3ELS4_3ELS4_3ELNS0_20block_scan_algorithmE0ELj4294967295EEENS1_25partition_config_selectorILNS1_17partition_subalgoE3EjNS0_10empty_typeEbEEZZNS1_14partition_implILS8_3ELb0ES6_jNS0_17counting_iteratorIjlEEPS9_SE_NS0_5tupleIJPjSE_EEENSF_IJSE_SE_EEES9_SG_JZNS1_25segmented_radix_sort_implINS0_14default_configELb0EPKaPaPKlPlN2at6native12_GLOBAL__N_18offset_tEEE10hipError_tPvRmT1_PNSt15iterator_traitsISY_E10value_typeET2_T3_PNSZ_IS14_E10value_typeET4_jRbjT5_S1A_jjP12ihipStream_tbEUljE_EEESV_SW_SX_S14_S18_S1A_T6_T7_T9_mT8_S1C_bDpT10_ENKUlT_T0_E_clISt17integral_constantIbLb1EES1P_EEDaS1K_S1L_EUlS1K_E_NS1_11comp_targetILNS1_3genE10ELNS1_11target_archE1200ELNS1_3gpuE4ELNS1_3repE0EEENS1_30default_config_static_selectorELNS0_4arch9wavefront6targetE1EEEvSY_
    .private_segment_fixed_size: 0
    .sgpr_count:     4
    .sgpr_spill_count: 0
    .symbol:         _ZN7rocprim17ROCPRIM_400000_NS6detail17trampoline_kernelINS0_13select_configILj256ELj13ELNS0_17block_load_methodE3ELS4_3ELS4_3ELNS0_20block_scan_algorithmE0ELj4294967295EEENS1_25partition_config_selectorILNS1_17partition_subalgoE3EjNS0_10empty_typeEbEEZZNS1_14partition_implILS8_3ELb0ES6_jNS0_17counting_iteratorIjlEEPS9_SE_NS0_5tupleIJPjSE_EEENSF_IJSE_SE_EEES9_SG_JZNS1_25segmented_radix_sort_implINS0_14default_configELb0EPKaPaPKlPlN2at6native12_GLOBAL__N_18offset_tEEE10hipError_tPvRmT1_PNSt15iterator_traitsISY_E10value_typeET2_T3_PNSZ_IS14_E10value_typeET4_jRbjT5_S1A_jjP12ihipStream_tbEUljE_EEESV_SW_SX_S14_S18_S1A_T6_T7_T9_mT8_S1C_bDpT10_ENKUlT_T0_E_clISt17integral_constantIbLb1EES1P_EEDaS1K_S1L_EUlS1K_E_NS1_11comp_targetILNS1_3genE10ELNS1_11target_archE1200ELNS1_3gpuE4ELNS1_3repE0EEENS1_30default_config_static_selectorELNS0_4arch9wavefront6targetE1EEEvSY_.kd
    .uniform_work_group_size: 1
    .uses_dynamic_stack: false
    .vgpr_count:     0
    .vgpr_spill_count: 0
    .wavefront_size: 64
  - .args:
      - .offset:         0
        .size:           152
        .value_kind:     by_value
    .group_segment_fixed_size: 0
    .kernarg_segment_align: 8
    .kernarg_segment_size: 152
    .language:       OpenCL C
    .language_version:
      - 2
      - 0
    .max_flat_workgroup_size: 256
    .name:           _ZN7rocprim17ROCPRIM_400000_NS6detail17trampoline_kernelINS0_13select_configILj256ELj13ELNS0_17block_load_methodE3ELS4_3ELS4_3ELNS0_20block_scan_algorithmE0ELj4294967295EEENS1_25partition_config_selectorILNS1_17partition_subalgoE3EjNS0_10empty_typeEbEEZZNS1_14partition_implILS8_3ELb0ES6_jNS0_17counting_iteratorIjlEEPS9_SE_NS0_5tupleIJPjSE_EEENSF_IJSE_SE_EEES9_SG_JZNS1_25segmented_radix_sort_implINS0_14default_configELb0EPKaPaPKlPlN2at6native12_GLOBAL__N_18offset_tEEE10hipError_tPvRmT1_PNSt15iterator_traitsISY_E10value_typeET2_T3_PNSZ_IS14_E10value_typeET4_jRbjT5_S1A_jjP12ihipStream_tbEUljE_EEESV_SW_SX_S14_S18_S1A_T6_T7_T9_mT8_S1C_bDpT10_ENKUlT_T0_E_clISt17integral_constantIbLb1EES1P_EEDaS1K_S1L_EUlS1K_E_NS1_11comp_targetILNS1_3genE9ELNS1_11target_archE1100ELNS1_3gpuE3ELNS1_3repE0EEENS1_30default_config_static_selectorELNS0_4arch9wavefront6targetE1EEEvSY_
    .private_segment_fixed_size: 0
    .sgpr_count:     4
    .sgpr_spill_count: 0
    .symbol:         _ZN7rocprim17ROCPRIM_400000_NS6detail17trampoline_kernelINS0_13select_configILj256ELj13ELNS0_17block_load_methodE3ELS4_3ELS4_3ELNS0_20block_scan_algorithmE0ELj4294967295EEENS1_25partition_config_selectorILNS1_17partition_subalgoE3EjNS0_10empty_typeEbEEZZNS1_14partition_implILS8_3ELb0ES6_jNS0_17counting_iteratorIjlEEPS9_SE_NS0_5tupleIJPjSE_EEENSF_IJSE_SE_EEES9_SG_JZNS1_25segmented_radix_sort_implINS0_14default_configELb0EPKaPaPKlPlN2at6native12_GLOBAL__N_18offset_tEEE10hipError_tPvRmT1_PNSt15iterator_traitsISY_E10value_typeET2_T3_PNSZ_IS14_E10value_typeET4_jRbjT5_S1A_jjP12ihipStream_tbEUljE_EEESV_SW_SX_S14_S18_S1A_T6_T7_T9_mT8_S1C_bDpT10_ENKUlT_T0_E_clISt17integral_constantIbLb1EES1P_EEDaS1K_S1L_EUlS1K_E_NS1_11comp_targetILNS1_3genE9ELNS1_11target_archE1100ELNS1_3gpuE3ELNS1_3repE0EEENS1_30default_config_static_selectorELNS0_4arch9wavefront6targetE1EEEvSY_.kd
    .uniform_work_group_size: 1
    .uses_dynamic_stack: false
    .vgpr_count:     0
    .vgpr_spill_count: 0
    .wavefront_size: 64
  - .args:
      - .offset:         0
        .size:           152
        .value_kind:     by_value
    .group_segment_fixed_size: 0
    .kernarg_segment_align: 8
    .kernarg_segment_size: 152
    .language:       OpenCL C
    .language_version:
      - 2
      - 0
    .max_flat_workgroup_size: 256
    .name:           _ZN7rocprim17ROCPRIM_400000_NS6detail17trampoline_kernelINS0_13select_configILj256ELj13ELNS0_17block_load_methodE3ELS4_3ELS4_3ELNS0_20block_scan_algorithmE0ELj4294967295EEENS1_25partition_config_selectorILNS1_17partition_subalgoE3EjNS0_10empty_typeEbEEZZNS1_14partition_implILS8_3ELb0ES6_jNS0_17counting_iteratorIjlEEPS9_SE_NS0_5tupleIJPjSE_EEENSF_IJSE_SE_EEES9_SG_JZNS1_25segmented_radix_sort_implINS0_14default_configELb0EPKaPaPKlPlN2at6native12_GLOBAL__N_18offset_tEEE10hipError_tPvRmT1_PNSt15iterator_traitsISY_E10value_typeET2_T3_PNSZ_IS14_E10value_typeET4_jRbjT5_S1A_jjP12ihipStream_tbEUljE_EEESV_SW_SX_S14_S18_S1A_T6_T7_T9_mT8_S1C_bDpT10_ENKUlT_T0_E_clISt17integral_constantIbLb1EES1P_EEDaS1K_S1L_EUlS1K_E_NS1_11comp_targetILNS1_3genE8ELNS1_11target_archE1030ELNS1_3gpuE2ELNS1_3repE0EEENS1_30default_config_static_selectorELNS0_4arch9wavefront6targetE1EEEvSY_
    .private_segment_fixed_size: 0
    .sgpr_count:     4
    .sgpr_spill_count: 0
    .symbol:         _ZN7rocprim17ROCPRIM_400000_NS6detail17trampoline_kernelINS0_13select_configILj256ELj13ELNS0_17block_load_methodE3ELS4_3ELS4_3ELNS0_20block_scan_algorithmE0ELj4294967295EEENS1_25partition_config_selectorILNS1_17partition_subalgoE3EjNS0_10empty_typeEbEEZZNS1_14partition_implILS8_3ELb0ES6_jNS0_17counting_iteratorIjlEEPS9_SE_NS0_5tupleIJPjSE_EEENSF_IJSE_SE_EEES9_SG_JZNS1_25segmented_radix_sort_implINS0_14default_configELb0EPKaPaPKlPlN2at6native12_GLOBAL__N_18offset_tEEE10hipError_tPvRmT1_PNSt15iterator_traitsISY_E10value_typeET2_T3_PNSZ_IS14_E10value_typeET4_jRbjT5_S1A_jjP12ihipStream_tbEUljE_EEESV_SW_SX_S14_S18_S1A_T6_T7_T9_mT8_S1C_bDpT10_ENKUlT_T0_E_clISt17integral_constantIbLb1EES1P_EEDaS1K_S1L_EUlS1K_E_NS1_11comp_targetILNS1_3genE8ELNS1_11target_archE1030ELNS1_3gpuE2ELNS1_3repE0EEENS1_30default_config_static_selectorELNS0_4arch9wavefront6targetE1EEEvSY_.kd
    .uniform_work_group_size: 1
    .uses_dynamic_stack: false
    .vgpr_count:     0
    .vgpr_spill_count: 0
    .wavefront_size: 64
  - .args:
      - .offset:         0
        .size:           144
        .value_kind:     by_value
    .group_segment_fixed_size: 0
    .kernarg_segment_align: 8
    .kernarg_segment_size: 144
    .language:       OpenCL C
    .language_version:
      - 2
      - 0
    .max_flat_workgroup_size: 256
    .name:           _ZN7rocprim17ROCPRIM_400000_NS6detail17trampoline_kernelINS0_13select_configILj256ELj13ELNS0_17block_load_methodE3ELS4_3ELS4_3ELNS0_20block_scan_algorithmE0ELj4294967295EEENS1_25partition_config_selectorILNS1_17partition_subalgoE3EjNS0_10empty_typeEbEEZZNS1_14partition_implILS8_3ELb0ES6_jNS0_17counting_iteratorIjlEEPS9_SE_NS0_5tupleIJPjSE_EEENSF_IJSE_SE_EEES9_SG_JZNS1_25segmented_radix_sort_implINS0_14default_configELb0EPKaPaPKlPlN2at6native12_GLOBAL__N_18offset_tEEE10hipError_tPvRmT1_PNSt15iterator_traitsISY_E10value_typeET2_T3_PNSZ_IS14_E10value_typeET4_jRbjT5_S1A_jjP12ihipStream_tbEUljE_EEESV_SW_SX_S14_S18_S1A_T6_T7_T9_mT8_S1C_bDpT10_ENKUlT_T0_E_clISt17integral_constantIbLb1EES1O_IbLb0EEEEDaS1K_S1L_EUlS1K_E_NS1_11comp_targetILNS1_3genE0ELNS1_11target_archE4294967295ELNS1_3gpuE0ELNS1_3repE0EEENS1_30default_config_static_selectorELNS0_4arch9wavefront6targetE1EEEvSY_
    .private_segment_fixed_size: 0
    .sgpr_count:     4
    .sgpr_spill_count: 0
    .symbol:         _ZN7rocprim17ROCPRIM_400000_NS6detail17trampoline_kernelINS0_13select_configILj256ELj13ELNS0_17block_load_methodE3ELS4_3ELS4_3ELNS0_20block_scan_algorithmE0ELj4294967295EEENS1_25partition_config_selectorILNS1_17partition_subalgoE3EjNS0_10empty_typeEbEEZZNS1_14partition_implILS8_3ELb0ES6_jNS0_17counting_iteratorIjlEEPS9_SE_NS0_5tupleIJPjSE_EEENSF_IJSE_SE_EEES9_SG_JZNS1_25segmented_radix_sort_implINS0_14default_configELb0EPKaPaPKlPlN2at6native12_GLOBAL__N_18offset_tEEE10hipError_tPvRmT1_PNSt15iterator_traitsISY_E10value_typeET2_T3_PNSZ_IS14_E10value_typeET4_jRbjT5_S1A_jjP12ihipStream_tbEUljE_EEESV_SW_SX_S14_S18_S1A_T6_T7_T9_mT8_S1C_bDpT10_ENKUlT_T0_E_clISt17integral_constantIbLb1EES1O_IbLb0EEEEDaS1K_S1L_EUlS1K_E_NS1_11comp_targetILNS1_3genE0ELNS1_11target_archE4294967295ELNS1_3gpuE0ELNS1_3repE0EEENS1_30default_config_static_selectorELNS0_4arch9wavefront6targetE1EEEvSY_.kd
    .uniform_work_group_size: 1
    .uses_dynamic_stack: false
    .vgpr_count:     0
    .vgpr_spill_count: 0
    .wavefront_size: 64
  - .args:
      - .offset:         0
        .size:           144
        .value_kind:     by_value
    .group_segment_fixed_size: 0
    .kernarg_segment_align: 8
    .kernarg_segment_size: 144
    .language:       OpenCL C
    .language_version:
      - 2
      - 0
    .max_flat_workgroup_size: 256
    .name:           _ZN7rocprim17ROCPRIM_400000_NS6detail17trampoline_kernelINS0_13select_configILj256ELj13ELNS0_17block_load_methodE3ELS4_3ELS4_3ELNS0_20block_scan_algorithmE0ELj4294967295EEENS1_25partition_config_selectorILNS1_17partition_subalgoE3EjNS0_10empty_typeEbEEZZNS1_14partition_implILS8_3ELb0ES6_jNS0_17counting_iteratorIjlEEPS9_SE_NS0_5tupleIJPjSE_EEENSF_IJSE_SE_EEES9_SG_JZNS1_25segmented_radix_sort_implINS0_14default_configELb0EPKaPaPKlPlN2at6native12_GLOBAL__N_18offset_tEEE10hipError_tPvRmT1_PNSt15iterator_traitsISY_E10value_typeET2_T3_PNSZ_IS14_E10value_typeET4_jRbjT5_S1A_jjP12ihipStream_tbEUljE_EEESV_SW_SX_S14_S18_S1A_T6_T7_T9_mT8_S1C_bDpT10_ENKUlT_T0_E_clISt17integral_constantIbLb1EES1O_IbLb0EEEEDaS1K_S1L_EUlS1K_E_NS1_11comp_targetILNS1_3genE5ELNS1_11target_archE942ELNS1_3gpuE9ELNS1_3repE0EEENS1_30default_config_static_selectorELNS0_4arch9wavefront6targetE1EEEvSY_
    .private_segment_fixed_size: 0
    .sgpr_count:     4
    .sgpr_spill_count: 0
    .symbol:         _ZN7rocprim17ROCPRIM_400000_NS6detail17trampoline_kernelINS0_13select_configILj256ELj13ELNS0_17block_load_methodE3ELS4_3ELS4_3ELNS0_20block_scan_algorithmE0ELj4294967295EEENS1_25partition_config_selectorILNS1_17partition_subalgoE3EjNS0_10empty_typeEbEEZZNS1_14partition_implILS8_3ELb0ES6_jNS0_17counting_iteratorIjlEEPS9_SE_NS0_5tupleIJPjSE_EEENSF_IJSE_SE_EEES9_SG_JZNS1_25segmented_radix_sort_implINS0_14default_configELb0EPKaPaPKlPlN2at6native12_GLOBAL__N_18offset_tEEE10hipError_tPvRmT1_PNSt15iterator_traitsISY_E10value_typeET2_T3_PNSZ_IS14_E10value_typeET4_jRbjT5_S1A_jjP12ihipStream_tbEUljE_EEESV_SW_SX_S14_S18_S1A_T6_T7_T9_mT8_S1C_bDpT10_ENKUlT_T0_E_clISt17integral_constantIbLb1EES1O_IbLb0EEEEDaS1K_S1L_EUlS1K_E_NS1_11comp_targetILNS1_3genE5ELNS1_11target_archE942ELNS1_3gpuE9ELNS1_3repE0EEENS1_30default_config_static_selectorELNS0_4arch9wavefront6targetE1EEEvSY_.kd
    .uniform_work_group_size: 1
    .uses_dynamic_stack: false
    .vgpr_count:     0
    .vgpr_spill_count: 0
    .wavefront_size: 64
  - .args:
      - .offset:         0
        .size:           144
        .value_kind:     by_value
    .group_segment_fixed_size: 0
    .kernarg_segment_align: 8
    .kernarg_segment_size: 144
    .language:       OpenCL C
    .language_version:
      - 2
      - 0
    .max_flat_workgroup_size: 256
    .name:           _ZN7rocprim17ROCPRIM_400000_NS6detail17trampoline_kernelINS0_13select_configILj256ELj13ELNS0_17block_load_methodE3ELS4_3ELS4_3ELNS0_20block_scan_algorithmE0ELj4294967295EEENS1_25partition_config_selectorILNS1_17partition_subalgoE3EjNS0_10empty_typeEbEEZZNS1_14partition_implILS8_3ELb0ES6_jNS0_17counting_iteratorIjlEEPS9_SE_NS0_5tupleIJPjSE_EEENSF_IJSE_SE_EEES9_SG_JZNS1_25segmented_radix_sort_implINS0_14default_configELb0EPKaPaPKlPlN2at6native12_GLOBAL__N_18offset_tEEE10hipError_tPvRmT1_PNSt15iterator_traitsISY_E10value_typeET2_T3_PNSZ_IS14_E10value_typeET4_jRbjT5_S1A_jjP12ihipStream_tbEUljE_EEESV_SW_SX_S14_S18_S1A_T6_T7_T9_mT8_S1C_bDpT10_ENKUlT_T0_E_clISt17integral_constantIbLb1EES1O_IbLb0EEEEDaS1K_S1L_EUlS1K_E_NS1_11comp_targetILNS1_3genE4ELNS1_11target_archE910ELNS1_3gpuE8ELNS1_3repE0EEENS1_30default_config_static_selectorELNS0_4arch9wavefront6targetE1EEEvSY_
    .private_segment_fixed_size: 0
    .sgpr_count:     4
    .sgpr_spill_count: 0
    .symbol:         _ZN7rocprim17ROCPRIM_400000_NS6detail17trampoline_kernelINS0_13select_configILj256ELj13ELNS0_17block_load_methodE3ELS4_3ELS4_3ELNS0_20block_scan_algorithmE0ELj4294967295EEENS1_25partition_config_selectorILNS1_17partition_subalgoE3EjNS0_10empty_typeEbEEZZNS1_14partition_implILS8_3ELb0ES6_jNS0_17counting_iteratorIjlEEPS9_SE_NS0_5tupleIJPjSE_EEENSF_IJSE_SE_EEES9_SG_JZNS1_25segmented_radix_sort_implINS0_14default_configELb0EPKaPaPKlPlN2at6native12_GLOBAL__N_18offset_tEEE10hipError_tPvRmT1_PNSt15iterator_traitsISY_E10value_typeET2_T3_PNSZ_IS14_E10value_typeET4_jRbjT5_S1A_jjP12ihipStream_tbEUljE_EEESV_SW_SX_S14_S18_S1A_T6_T7_T9_mT8_S1C_bDpT10_ENKUlT_T0_E_clISt17integral_constantIbLb1EES1O_IbLb0EEEEDaS1K_S1L_EUlS1K_E_NS1_11comp_targetILNS1_3genE4ELNS1_11target_archE910ELNS1_3gpuE8ELNS1_3repE0EEENS1_30default_config_static_selectorELNS0_4arch9wavefront6targetE1EEEvSY_.kd
    .uniform_work_group_size: 1
    .uses_dynamic_stack: false
    .vgpr_count:     0
    .vgpr_spill_count: 0
    .wavefront_size: 64
  - .args:
      - .offset:         0
        .size:           144
        .value_kind:     by_value
    .group_segment_fixed_size: 0
    .kernarg_segment_align: 8
    .kernarg_segment_size: 144
    .language:       OpenCL C
    .language_version:
      - 2
      - 0
    .max_flat_workgroup_size: 256
    .name:           _ZN7rocprim17ROCPRIM_400000_NS6detail17trampoline_kernelINS0_13select_configILj256ELj13ELNS0_17block_load_methodE3ELS4_3ELS4_3ELNS0_20block_scan_algorithmE0ELj4294967295EEENS1_25partition_config_selectorILNS1_17partition_subalgoE3EjNS0_10empty_typeEbEEZZNS1_14partition_implILS8_3ELb0ES6_jNS0_17counting_iteratorIjlEEPS9_SE_NS0_5tupleIJPjSE_EEENSF_IJSE_SE_EEES9_SG_JZNS1_25segmented_radix_sort_implINS0_14default_configELb0EPKaPaPKlPlN2at6native12_GLOBAL__N_18offset_tEEE10hipError_tPvRmT1_PNSt15iterator_traitsISY_E10value_typeET2_T3_PNSZ_IS14_E10value_typeET4_jRbjT5_S1A_jjP12ihipStream_tbEUljE_EEESV_SW_SX_S14_S18_S1A_T6_T7_T9_mT8_S1C_bDpT10_ENKUlT_T0_E_clISt17integral_constantIbLb1EES1O_IbLb0EEEEDaS1K_S1L_EUlS1K_E_NS1_11comp_targetILNS1_3genE3ELNS1_11target_archE908ELNS1_3gpuE7ELNS1_3repE0EEENS1_30default_config_static_selectorELNS0_4arch9wavefront6targetE1EEEvSY_
    .private_segment_fixed_size: 0
    .sgpr_count:     4
    .sgpr_spill_count: 0
    .symbol:         _ZN7rocprim17ROCPRIM_400000_NS6detail17trampoline_kernelINS0_13select_configILj256ELj13ELNS0_17block_load_methodE3ELS4_3ELS4_3ELNS0_20block_scan_algorithmE0ELj4294967295EEENS1_25partition_config_selectorILNS1_17partition_subalgoE3EjNS0_10empty_typeEbEEZZNS1_14partition_implILS8_3ELb0ES6_jNS0_17counting_iteratorIjlEEPS9_SE_NS0_5tupleIJPjSE_EEENSF_IJSE_SE_EEES9_SG_JZNS1_25segmented_radix_sort_implINS0_14default_configELb0EPKaPaPKlPlN2at6native12_GLOBAL__N_18offset_tEEE10hipError_tPvRmT1_PNSt15iterator_traitsISY_E10value_typeET2_T3_PNSZ_IS14_E10value_typeET4_jRbjT5_S1A_jjP12ihipStream_tbEUljE_EEESV_SW_SX_S14_S18_S1A_T6_T7_T9_mT8_S1C_bDpT10_ENKUlT_T0_E_clISt17integral_constantIbLb1EES1O_IbLb0EEEEDaS1K_S1L_EUlS1K_E_NS1_11comp_targetILNS1_3genE3ELNS1_11target_archE908ELNS1_3gpuE7ELNS1_3repE0EEENS1_30default_config_static_selectorELNS0_4arch9wavefront6targetE1EEEvSY_.kd
    .uniform_work_group_size: 1
    .uses_dynamic_stack: false
    .vgpr_count:     0
    .vgpr_spill_count: 0
    .wavefront_size: 64
  - .args:
      - .offset:         0
        .size:           144
        .value_kind:     by_value
    .group_segment_fixed_size: 0
    .kernarg_segment_align: 8
    .kernarg_segment_size: 144
    .language:       OpenCL C
    .language_version:
      - 2
      - 0
    .max_flat_workgroup_size: 256
    .name:           _ZN7rocprim17ROCPRIM_400000_NS6detail17trampoline_kernelINS0_13select_configILj256ELj13ELNS0_17block_load_methodE3ELS4_3ELS4_3ELNS0_20block_scan_algorithmE0ELj4294967295EEENS1_25partition_config_selectorILNS1_17partition_subalgoE3EjNS0_10empty_typeEbEEZZNS1_14partition_implILS8_3ELb0ES6_jNS0_17counting_iteratorIjlEEPS9_SE_NS0_5tupleIJPjSE_EEENSF_IJSE_SE_EEES9_SG_JZNS1_25segmented_radix_sort_implINS0_14default_configELb0EPKaPaPKlPlN2at6native12_GLOBAL__N_18offset_tEEE10hipError_tPvRmT1_PNSt15iterator_traitsISY_E10value_typeET2_T3_PNSZ_IS14_E10value_typeET4_jRbjT5_S1A_jjP12ihipStream_tbEUljE_EEESV_SW_SX_S14_S18_S1A_T6_T7_T9_mT8_S1C_bDpT10_ENKUlT_T0_E_clISt17integral_constantIbLb1EES1O_IbLb0EEEEDaS1K_S1L_EUlS1K_E_NS1_11comp_targetILNS1_3genE2ELNS1_11target_archE906ELNS1_3gpuE6ELNS1_3repE0EEENS1_30default_config_static_selectorELNS0_4arch9wavefront6targetE1EEEvSY_
    .private_segment_fixed_size: 0
    .sgpr_count:     4
    .sgpr_spill_count: 0
    .symbol:         _ZN7rocprim17ROCPRIM_400000_NS6detail17trampoline_kernelINS0_13select_configILj256ELj13ELNS0_17block_load_methodE3ELS4_3ELS4_3ELNS0_20block_scan_algorithmE0ELj4294967295EEENS1_25partition_config_selectorILNS1_17partition_subalgoE3EjNS0_10empty_typeEbEEZZNS1_14partition_implILS8_3ELb0ES6_jNS0_17counting_iteratorIjlEEPS9_SE_NS0_5tupleIJPjSE_EEENSF_IJSE_SE_EEES9_SG_JZNS1_25segmented_radix_sort_implINS0_14default_configELb0EPKaPaPKlPlN2at6native12_GLOBAL__N_18offset_tEEE10hipError_tPvRmT1_PNSt15iterator_traitsISY_E10value_typeET2_T3_PNSZ_IS14_E10value_typeET4_jRbjT5_S1A_jjP12ihipStream_tbEUljE_EEESV_SW_SX_S14_S18_S1A_T6_T7_T9_mT8_S1C_bDpT10_ENKUlT_T0_E_clISt17integral_constantIbLb1EES1O_IbLb0EEEEDaS1K_S1L_EUlS1K_E_NS1_11comp_targetILNS1_3genE2ELNS1_11target_archE906ELNS1_3gpuE6ELNS1_3repE0EEENS1_30default_config_static_selectorELNS0_4arch9wavefront6targetE1EEEvSY_.kd
    .uniform_work_group_size: 1
    .uses_dynamic_stack: false
    .vgpr_count:     0
    .vgpr_spill_count: 0
    .wavefront_size: 64
  - .args:
      - .offset:         0
        .size:           144
        .value_kind:     by_value
    .group_segment_fixed_size: 0
    .kernarg_segment_align: 8
    .kernarg_segment_size: 144
    .language:       OpenCL C
    .language_version:
      - 2
      - 0
    .max_flat_workgroup_size: 256
    .name:           _ZN7rocprim17ROCPRIM_400000_NS6detail17trampoline_kernelINS0_13select_configILj256ELj13ELNS0_17block_load_methodE3ELS4_3ELS4_3ELNS0_20block_scan_algorithmE0ELj4294967295EEENS1_25partition_config_selectorILNS1_17partition_subalgoE3EjNS0_10empty_typeEbEEZZNS1_14partition_implILS8_3ELb0ES6_jNS0_17counting_iteratorIjlEEPS9_SE_NS0_5tupleIJPjSE_EEENSF_IJSE_SE_EEES9_SG_JZNS1_25segmented_radix_sort_implINS0_14default_configELb0EPKaPaPKlPlN2at6native12_GLOBAL__N_18offset_tEEE10hipError_tPvRmT1_PNSt15iterator_traitsISY_E10value_typeET2_T3_PNSZ_IS14_E10value_typeET4_jRbjT5_S1A_jjP12ihipStream_tbEUljE_EEESV_SW_SX_S14_S18_S1A_T6_T7_T9_mT8_S1C_bDpT10_ENKUlT_T0_E_clISt17integral_constantIbLb1EES1O_IbLb0EEEEDaS1K_S1L_EUlS1K_E_NS1_11comp_targetILNS1_3genE10ELNS1_11target_archE1200ELNS1_3gpuE4ELNS1_3repE0EEENS1_30default_config_static_selectorELNS0_4arch9wavefront6targetE1EEEvSY_
    .private_segment_fixed_size: 0
    .sgpr_count:     4
    .sgpr_spill_count: 0
    .symbol:         _ZN7rocprim17ROCPRIM_400000_NS6detail17trampoline_kernelINS0_13select_configILj256ELj13ELNS0_17block_load_methodE3ELS4_3ELS4_3ELNS0_20block_scan_algorithmE0ELj4294967295EEENS1_25partition_config_selectorILNS1_17partition_subalgoE3EjNS0_10empty_typeEbEEZZNS1_14partition_implILS8_3ELb0ES6_jNS0_17counting_iteratorIjlEEPS9_SE_NS0_5tupleIJPjSE_EEENSF_IJSE_SE_EEES9_SG_JZNS1_25segmented_radix_sort_implINS0_14default_configELb0EPKaPaPKlPlN2at6native12_GLOBAL__N_18offset_tEEE10hipError_tPvRmT1_PNSt15iterator_traitsISY_E10value_typeET2_T3_PNSZ_IS14_E10value_typeET4_jRbjT5_S1A_jjP12ihipStream_tbEUljE_EEESV_SW_SX_S14_S18_S1A_T6_T7_T9_mT8_S1C_bDpT10_ENKUlT_T0_E_clISt17integral_constantIbLb1EES1O_IbLb0EEEEDaS1K_S1L_EUlS1K_E_NS1_11comp_targetILNS1_3genE10ELNS1_11target_archE1200ELNS1_3gpuE4ELNS1_3repE0EEENS1_30default_config_static_selectorELNS0_4arch9wavefront6targetE1EEEvSY_.kd
    .uniform_work_group_size: 1
    .uses_dynamic_stack: false
    .vgpr_count:     0
    .vgpr_spill_count: 0
    .wavefront_size: 64
  - .args:
      - .offset:         0
        .size:           144
        .value_kind:     by_value
    .group_segment_fixed_size: 0
    .kernarg_segment_align: 8
    .kernarg_segment_size: 144
    .language:       OpenCL C
    .language_version:
      - 2
      - 0
    .max_flat_workgroup_size: 256
    .name:           _ZN7rocprim17ROCPRIM_400000_NS6detail17trampoline_kernelINS0_13select_configILj256ELj13ELNS0_17block_load_methodE3ELS4_3ELS4_3ELNS0_20block_scan_algorithmE0ELj4294967295EEENS1_25partition_config_selectorILNS1_17partition_subalgoE3EjNS0_10empty_typeEbEEZZNS1_14partition_implILS8_3ELb0ES6_jNS0_17counting_iteratorIjlEEPS9_SE_NS0_5tupleIJPjSE_EEENSF_IJSE_SE_EEES9_SG_JZNS1_25segmented_radix_sort_implINS0_14default_configELb0EPKaPaPKlPlN2at6native12_GLOBAL__N_18offset_tEEE10hipError_tPvRmT1_PNSt15iterator_traitsISY_E10value_typeET2_T3_PNSZ_IS14_E10value_typeET4_jRbjT5_S1A_jjP12ihipStream_tbEUljE_EEESV_SW_SX_S14_S18_S1A_T6_T7_T9_mT8_S1C_bDpT10_ENKUlT_T0_E_clISt17integral_constantIbLb1EES1O_IbLb0EEEEDaS1K_S1L_EUlS1K_E_NS1_11comp_targetILNS1_3genE9ELNS1_11target_archE1100ELNS1_3gpuE3ELNS1_3repE0EEENS1_30default_config_static_selectorELNS0_4arch9wavefront6targetE1EEEvSY_
    .private_segment_fixed_size: 0
    .sgpr_count:     4
    .sgpr_spill_count: 0
    .symbol:         _ZN7rocprim17ROCPRIM_400000_NS6detail17trampoline_kernelINS0_13select_configILj256ELj13ELNS0_17block_load_methodE3ELS4_3ELS4_3ELNS0_20block_scan_algorithmE0ELj4294967295EEENS1_25partition_config_selectorILNS1_17partition_subalgoE3EjNS0_10empty_typeEbEEZZNS1_14partition_implILS8_3ELb0ES6_jNS0_17counting_iteratorIjlEEPS9_SE_NS0_5tupleIJPjSE_EEENSF_IJSE_SE_EEES9_SG_JZNS1_25segmented_radix_sort_implINS0_14default_configELb0EPKaPaPKlPlN2at6native12_GLOBAL__N_18offset_tEEE10hipError_tPvRmT1_PNSt15iterator_traitsISY_E10value_typeET2_T3_PNSZ_IS14_E10value_typeET4_jRbjT5_S1A_jjP12ihipStream_tbEUljE_EEESV_SW_SX_S14_S18_S1A_T6_T7_T9_mT8_S1C_bDpT10_ENKUlT_T0_E_clISt17integral_constantIbLb1EES1O_IbLb0EEEEDaS1K_S1L_EUlS1K_E_NS1_11comp_targetILNS1_3genE9ELNS1_11target_archE1100ELNS1_3gpuE3ELNS1_3repE0EEENS1_30default_config_static_selectorELNS0_4arch9wavefront6targetE1EEEvSY_.kd
    .uniform_work_group_size: 1
    .uses_dynamic_stack: false
    .vgpr_count:     0
    .vgpr_spill_count: 0
    .wavefront_size: 64
  - .args:
      - .offset:         0
        .size:           144
        .value_kind:     by_value
    .group_segment_fixed_size: 0
    .kernarg_segment_align: 8
    .kernarg_segment_size: 144
    .language:       OpenCL C
    .language_version:
      - 2
      - 0
    .max_flat_workgroup_size: 256
    .name:           _ZN7rocprim17ROCPRIM_400000_NS6detail17trampoline_kernelINS0_13select_configILj256ELj13ELNS0_17block_load_methodE3ELS4_3ELS4_3ELNS0_20block_scan_algorithmE0ELj4294967295EEENS1_25partition_config_selectorILNS1_17partition_subalgoE3EjNS0_10empty_typeEbEEZZNS1_14partition_implILS8_3ELb0ES6_jNS0_17counting_iteratorIjlEEPS9_SE_NS0_5tupleIJPjSE_EEENSF_IJSE_SE_EEES9_SG_JZNS1_25segmented_radix_sort_implINS0_14default_configELb0EPKaPaPKlPlN2at6native12_GLOBAL__N_18offset_tEEE10hipError_tPvRmT1_PNSt15iterator_traitsISY_E10value_typeET2_T3_PNSZ_IS14_E10value_typeET4_jRbjT5_S1A_jjP12ihipStream_tbEUljE_EEESV_SW_SX_S14_S18_S1A_T6_T7_T9_mT8_S1C_bDpT10_ENKUlT_T0_E_clISt17integral_constantIbLb1EES1O_IbLb0EEEEDaS1K_S1L_EUlS1K_E_NS1_11comp_targetILNS1_3genE8ELNS1_11target_archE1030ELNS1_3gpuE2ELNS1_3repE0EEENS1_30default_config_static_selectorELNS0_4arch9wavefront6targetE1EEEvSY_
    .private_segment_fixed_size: 0
    .sgpr_count:     4
    .sgpr_spill_count: 0
    .symbol:         _ZN7rocprim17ROCPRIM_400000_NS6detail17trampoline_kernelINS0_13select_configILj256ELj13ELNS0_17block_load_methodE3ELS4_3ELS4_3ELNS0_20block_scan_algorithmE0ELj4294967295EEENS1_25partition_config_selectorILNS1_17partition_subalgoE3EjNS0_10empty_typeEbEEZZNS1_14partition_implILS8_3ELb0ES6_jNS0_17counting_iteratorIjlEEPS9_SE_NS0_5tupleIJPjSE_EEENSF_IJSE_SE_EEES9_SG_JZNS1_25segmented_radix_sort_implINS0_14default_configELb0EPKaPaPKlPlN2at6native12_GLOBAL__N_18offset_tEEE10hipError_tPvRmT1_PNSt15iterator_traitsISY_E10value_typeET2_T3_PNSZ_IS14_E10value_typeET4_jRbjT5_S1A_jjP12ihipStream_tbEUljE_EEESV_SW_SX_S14_S18_S1A_T6_T7_T9_mT8_S1C_bDpT10_ENKUlT_T0_E_clISt17integral_constantIbLb1EES1O_IbLb0EEEEDaS1K_S1L_EUlS1K_E_NS1_11comp_targetILNS1_3genE8ELNS1_11target_archE1030ELNS1_3gpuE2ELNS1_3repE0EEENS1_30default_config_static_selectorELNS0_4arch9wavefront6targetE1EEEvSY_.kd
    .uniform_work_group_size: 1
    .uses_dynamic_stack: false
    .vgpr_count:     0
    .vgpr_spill_count: 0
    .wavefront_size: 64
  - .args:
      - .offset:         0
        .size:           152
        .value_kind:     by_value
    .group_segment_fixed_size: 0
    .kernarg_segment_align: 8
    .kernarg_segment_size: 152
    .language:       OpenCL C
    .language_version:
      - 2
      - 0
    .max_flat_workgroup_size: 256
    .name:           _ZN7rocprim17ROCPRIM_400000_NS6detail17trampoline_kernelINS0_13select_configILj256ELj13ELNS0_17block_load_methodE3ELS4_3ELS4_3ELNS0_20block_scan_algorithmE0ELj4294967295EEENS1_25partition_config_selectorILNS1_17partition_subalgoE3EjNS0_10empty_typeEbEEZZNS1_14partition_implILS8_3ELb0ES6_jNS0_17counting_iteratorIjlEEPS9_SE_NS0_5tupleIJPjSE_EEENSF_IJSE_SE_EEES9_SG_JZNS1_25segmented_radix_sort_implINS0_14default_configELb0EPKaPaPKlPlN2at6native12_GLOBAL__N_18offset_tEEE10hipError_tPvRmT1_PNSt15iterator_traitsISY_E10value_typeET2_T3_PNSZ_IS14_E10value_typeET4_jRbjT5_S1A_jjP12ihipStream_tbEUljE_EEESV_SW_SX_S14_S18_S1A_T6_T7_T9_mT8_S1C_bDpT10_ENKUlT_T0_E_clISt17integral_constantIbLb0EES1O_IbLb1EEEEDaS1K_S1L_EUlS1K_E_NS1_11comp_targetILNS1_3genE0ELNS1_11target_archE4294967295ELNS1_3gpuE0ELNS1_3repE0EEENS1_30default_config_static_selectorELNS0_4arch9wavefront6targetE1EEEvSY_
    .private_segment_fixed_size: 0
    .sgpr_count:     4
    .sgpr_spill_count: 0
    .symbol:         _ZN7rocprim17ROCPRIM_400000_NS6detail17trampoline_kernelINS0_13select_configILj256ELj13ELNS0_17block_load_methodE3ELS4_3ELS4_3ELNS0_20block_scan_algorithmE0ELj4294967295EEENS1_25partition_config_selectorILNS1_17partition_subalgoE3EjNS0_10empty_typeEbEEZZNS1_14partition_implILS8_3ELb0ES6_jNS0_17counting_iteratorIjlEEPS9_SE_NS0_5tupleIJPjSE_EEENSF_IJSE_SE_EEES9_SG_JZNS1_25segmented_radix_sort_implINS0_14default_configELb0EPKaPaPKlPlN2at6native12_GLOBAL__N_18offset_tEEE10hipError_tPvRmT1_PNSt15iterator_traitsISY_E10value_typeET2_T3_PNSZ_IS14_E10value_typeET4_jRbjT5_S1A_jjP12ihipStream_tbEUljE_EEESV_SW_SX_S14_S18_S1A_T6_T7_T9_mT8_S1C_bDpT10_ENKUlT_T0_E_clISt17integral_constantIbLb0EES1O_IbLb1EEEEDaS1K_S1L_EUlS1K_E_NS1_11comp_targetILNS1_3genE0ELNS1_11target_archE4294967295ELNS1_3gpuE0ELNS1_3repE0EEENS1_30default_config_static_selectorELNS0_4arch9wavefront6targetE1EEEvSY_.kd
    .uniform_work_group_size: 1
    .uses_dynamic_stack: false
    .vgpr_count:     0
    .vgpr_spill_count: 0
    .wavefront_size: 64
  - .args:
      - .offset:         0
        .size:           152
        .value_kind:     by_value
    .group_segment_fixed_size: 0
    .kernarg_segment_align: 8
    .kernarg_segment_size: 152
    .language:       OpenCL C
    .language_version:
      - 2
      - 0
    .max_flat_workgroup_size: 256
    .name:           _ZN7rocprim17ROCPRIM_400000_NS6detail17trampoline_kernelINS0_13select_configILj256ELj13ELNS0_17block_load_methodE3ELS4_3ELS4_3ELNS0_20block_scan_algorithmE0ELj4294967295EEENS1_25partition_config_selectorILNS1_17partition_subalgoE3EjNS0_10empty_typeEbEEZZNS1_14partition_implILS8_3ELb0ES6_jNS0_17counting_iteratorIjlEEPS9_SE_NS0_5tupleIJPjSE_EEENSF_IJSE_SE_EEES9_SG_JZNS1_25segmented_radix_sort_implINS0_14default_configELb0EPKaPaPKlPlN2at6native12_GLOBAL__N_18offset_tEEE10hipError_tPvRmT1_PNSt15iterator_traitsISY_E10value_typeET2_T3_PNSZ_IS14_E10value_typeET4_jRbjT5_S1A_jjP12ihipStream_tbEUljE_EEESV_SW_SX_S14_S18_S1A_T6_T7_T9_mT8_S1C_bDpT10_ENKUlT_T0_E_clISt17integral_constantIbLb0EES1O_IbLb1EEEEDaS1K_S1L_EUlS1K_E_NS1_11comp_targetILNS1_3genE5ELNS1_11target_archE942ELNS1_3gpuE9ELNS1_3repE0EEENS1_30default_config_static_selectorELNS0_4arch9wavefront6targetE1EEEvSY_
    .private_segment_fixed_size: 0
    .sgpr_count:     4
    .sgpr_spill_count: 0
    .symbol:         _ZN7rocprim17ROCPRIM_400000_NS6detail17trampoline_kernelINS0_13select_configILj256ELj13ELNS0_17block_load_methodE3ELS4_3ELS4_3ELNS0_20block_scan_algorithmE0ELj4294967295EEENS1_25partition_config_selectorILNS1_17partition_subalgoE3EjNS0_10empty_typeEbEEZZNS1_14partition_implILS8_3ELb0ES6_jNS0_17counting_iteratorIjlEEPS9_SE_NS0_5tupleIJPjSE_EEENSF_IJSE_SE_EEES9_SG_JZNS1_25segmented_radix_sort_implINS0_14default_configELb0EPKaPaPKlPlN2at6native12_GLOBAL__N_18offset_tEEE10hipError_tPvRmT1_PNSt15iterator_traitsISY_E10value_typeET2_T3_PNSZ_IS14_E10value_typeET4_jRbjT5_S1A_jjP12ihipStream_tbEUljE_EEESV_SW_SX_S14_S18_S1A_T6_T7_T9_mT8_S1C_bDpT10_ENKUlT_T0_E_clISt17integral_constantIbLb0EES1O_IbLb1EEEEDaS1K_S1L_EUlS1K_E_NS1_11comp_targetILNS1_3genE5ELNS1_11target_archE942ELNS1_3gpuE9ELNS1_3repE0EEENS1_30default_config_static_selectorELNS0_4arch9wavefront6targetE1EEEvSY_.kd
    .uniform_work_group_size: 1
    .uses_dynamic_stack: false
    .vgpr_count:     0
    .vgpr_spill_count: 0
    .wavefront_size: 64
  - .args:
      - .offset:         0
        .size:           152
        .value_kind:     by_value
    .group_segment_fixed_size: 0
    .kernarg_segment_align: 8
    .kernarg_segment_size: 152
    .language:       OpenCL C
    .language_version:
      - 2
      - 0
    .max_flat_workgroup_size: 256
    .name:           _ZN7rocprim17ROCPRIM_400000_NS6detail17trampoline_kernelINS0_13select_configILj256ELj13ELNS0_17block_load_methodE3ELS4_3ELS4_3ELNS0_20block_scan_algorithmE0ELj4294967295EEENS1_25partition_config_selectorILNS1_17partition_subalgoE3EjNS0_10empty_typeEbEEZZNS1_14partition_implILS8_3ELb0ES6_jNS0_17counting_iteratorIjlEEPS9_SE_NS0_5tupleIJPjSE_EEENSF_IJSE_SE_EEES9_SG_JZNS1_25segmented_radix_sort_implINS0_14default_configELb0EPKaPaPKlPlN2at6native12_GLOBAL__N_18offset_tEEE10hipError_tPvRmT1_PNSt15iterator_traitsISY_E10value_typeET2_T3_PNSZ_IS14_E10value_typeET4_jRbjT5_S1A_jjP12ihipStream_tbEUljE_EEESV_SW_SX_S14_S18_S1A_T6_T7_T9_mT8_S1C_bDpT10_ENKUlT_T0_E_clISt17integral_constantIbLb0EES1O_IbLb1EEEEDaS1K_S1L_EUlS1K_E_NS1_11comp_targetILNS1_3genE4ELNS1_11target_archE910ELNS1_3gpuE8ELNS1_3repE0EEENS1_30default_config_static_selectorELNS0_4arch9wavefront6targetE1EEEvSY_
    .private_segment_fixed_size: 0
    .sgpr_count:     4
    .sgpr_spill_count: 0
    .symbol:         _ZN7rocprim17ROCPRIM_400000_NS6detail17trampoline_kernelINS0_13select_configILj256ELj13ELNS0_17block_load_methodE3ELS4_3ELS4_3ELNS0_20block_scan_algorithmE0ELj4294967295EEENS1_25partition_config_selectorILNS1_17partition_subalgoE3EjNS0_10empty_typeEbEEZZNS1_14partition_implILS8_3ELb0ES6_jNS0_17counting_iteratorIjlEEPS9_SE_NS0_5tupleIJPjSE_EEENSF_IJSE_SE_EEES9_SG_JZNS1_25segmented_radix_sort_implINS0_14default_configELb0EPKaPaPKlPlN2at6native12_GLOBAL__N_18offset_tEEE10hipError_tPvRmT1_PNSt15iterator_traitsISY_E10value_typeET2_T3_PNSZ_IS14_E10value_typeET4_jRbjT5_S1A_jjP12ihipStream_tbEUljE_EEESV_SW_SX_S14_S18_S1A_T6_T7_T9_mT8_S1C_bDpT10_ENKUlT_T0_E_clISt17integral_constantIbLb0EES1O_IbLb1EEEEDaS1K_S1L_EUlS1K_E_NS1_11comp_targetILNS1_3genE4ELNS1_11target_archE910ELNS1_3gpuE8ELNS1_3repE0EEENS1_30default_config_static_selectorELNS0_4arch9wavefront6targetE1EEEvSY_.kd
    .uniform_work_group_size: 1
    .uses_dynamic_stack: false
    .vgpr_count:     0
    .vgpr_spill_count: 0
    .wavefront_size: 64
  - .args:
      - .offset:         0
        .size:           152
        .value_kind:     by_value
    .group_segment_fixed_size: 0
    .kernarg_segment_align: 8
    .kernarg_segment_size: 152
    .language:       OpenCL C
    .language_version:
      - 2
      - 0
    .max_flat_workgroup_size: 256
    .name:           _ZN7rocprim17ROCPRIM_400000_NS6detail17trampoline_kernelINS0_13select_configILj256ELj13ELNS0_17block_load_methodE3ELS4_3ELS4_3ELNS0_20block_scan_algorithmE0ELj4294967295EEENS1_25partition_config_selectorILNS1_17partition_subalgoE3EjNS0_10empty_typeEbEEZZNS1_14partition_implILS8_3ELb0ES6_jNS0_17counting_iteratorIjlEEPS9_SE_NS0_5tupleIJPjSE_EEENSF_IJSE_SE_EEES9_SG_JZNS1_25segmented_radix_sort_implINS0_14default_configELb0EPKaPaPKlPlN2at6native12_GLOBAL__N_18offset_tEEE10hipError_tPvRmT1_PNSt15iterator_traitsISY_E10value_typeET2_T3_PNSZ_IS14_E10value_typeET4_jRbjT5_S1A_jjP12ihipStream_tbEUljE_EEESV_SW_SX_S14_S18_S1A_T6_T7_T9_mT8_S1C_bDpT10_ENKUlT_T0_E_clISt17integral_constantIbLb0EES1O_IbLb1EEEEDaS1K_S1L_EUlS1K_E_NS1_11comp_targetILNS1_3genE3ELNS1_11target_archE908ELNS1_3gpuE7ELNS1_3repE0EEENS1_30default_config_static_selectorELNS0_4arch9wavefront6targetE1EEEvSY_
    .private_segment_fixed_size: 0
    .sgpr_count:     4
    .sgpr_spill_count: 0
    .symbol:         _ZN7rocprim17ROCPRIM_400000_NS6detail17trampoline_kernelINS0_13select_configILj256ELj13ELNS0_17block_load_methodE3ELS4_3ELS4_3ELNS0_20block_scan_algorithmE0ELj4294967295EEENS1_25partition_config_selectorILNS1_17partition_subalgoE3EjNS0_10empty_typeEbEEZZNS1_14partition_implILS8_3ELb0ES6_jNS0_17counting_iteratorIjlEEPS9_SE_NS0_5tupleIJPjSE_EEENSF_IJSE_SE_EEES9_SG_JZNS1_25segmented_radix_sort_implINS0_14default_configELb0EPKaPaPKlPlN2at6native12_GLOBAL__N_18offset_tEEE10hipError_tPvRmT1_PNSt15iterator_traitsISY_E10value_typeET2_T3_PNSZ_IS14_E10value_typeET4_jRbjT5_S1A_jjP12ihipStream_tbEUljE_EEESV_SW_SX_S14_S18_S1A_T6_T7_T9_mT8_S1C_bDpT10_ENKUlT_T0_E_clISt17integral_constantIbLb0EES1O_IbLb1EEEEDaS1K_S1L_EUlS1K_E_NS1_11comp_targetILNS1_3genE3ELNS1_11target_archE908ELNS1_3gpuE7ELNS1_3repE0EEENS1_30default_config_static_selectorELNS0_4arch9wavefront6targetE1EEEvSY_.kd
    .uniform_work_group_size: 1
    .uses_dynamic_stack: false
    .vgpr_count:     0
    .vgpr_spill_count: 0
    .wavefront_size: 64
  - .args:
      - .offset:         0
        .size:           152
        .value_kind:     by_value
    .group_segment_fixed_size: 13320
    .kernarg_segment_align: 8
    .kernarg_segment_size: 152
    .language:       OpenCL C
    .language_version:
      - 2
      - 0
    .max_flat_workgroup_size: 256
    .name:           _ZN7rocprim17ROCPRIM_400000_NS6detail17trampoline_kernelINS0_13select_configILj256ELj13ELNS0_17block_load_methodE3ELS4_3ELS4_3ELNS0_20block_scan_algorithmE0ELj4294967295EEENS1_25partition_config_selectorILNS1_17partition_subalgoE3EjNS0_10empty_typeEbEEZZNS1_14partition_implILS8_3ELb0ES6_jNS0_17counting_iteratorIjlEEPS9_SE_NS0_5tupleIJPjSE_EEENSF_IJSE_SE_EEES9_SG_JZNS1_25segmented_radix_sort_implINS0_14default_configELb0EPKaPaPKlPlN2at6native12_GLOBAL__N_18offset_tEEE10hipError_tPvRmT1_PNSt15iterator_traitsISY_E10value_typeET2_T3_PNSZ_IS14_E10value_typeET4_jRbjT5_S1A_jjP12ihipStream_tbEUljE_EEESV_SW_SX_S14_S18_S1A_T6_T7_T9_mT8_S1C_bDpT10_ENKUlT_T0_E_clISt17integral_constantIbLb0EES1O_IbLb1EEEEDaS1K_S1L_EUlS1K_E_NS1_11comp_targetILNS1_3genE2ELNS1_11target_archE906ELNS1_3gpuE6ELNS1_3repE0EEENS1_30default_config_static_selectorELNS0_4arch9wavefront6targetE1EEEvSY_
    .private_segment_fixed_size: 0
    .sgpr_count:     50
    .sgpr_spill_count: 0
    .symbol:         _ZN7rocprim17ROCPRIM_400000_NS6detail17trampoline_kernelINS0_13select_configILj256ELj13ELNS0_17block_load_methodE3ELS4_3ELS4_3ELNS0_20block_scan_algorithmE0ELj4294967295EEENS1_25partition_config_selectorILNS1_17partition_subalgoE3EjNS0_10empty_typeEbEEZZNS1_14partition_implILS8_3ELb0ES6_jNS0_17counting_iteratorIjlEEPS9_SE_NS0_5tupleIJPjSE_EEENSF_IJSE_SE_EEES9_SG_JZNS1_25segmented_radix_sort_implINS0_14default_configELb0EPKaPaPKlPlN2at6native12_GLOBAL__N_18offset_tEEE10hipError_tPvRmT1_PNSt15iterator_traitsISY_E10value_typeET2_T3_PNSZ_IS14_E10value_typeET4_jRbjT5_S1A_jjP12ihipStream_tbEUljE_EEESV_SW_SX_S14_S18_S1A_T6_T7_T9_mT8_S1C_bDpT10_ENKUlT_T0_E_clISt17integral_constantIbLb0EES1O_IbLb1EEEEDaS1K_S1L_EUlS1K_E_NS1_11comp_targetILNS1_3genE2ELNS1_11target_archE906ELNS1_3gpuE6ELNS1_3repE0EEENS1_30default_config_static_selectorELNS0_4arch9wavefront6targetE1EEEvSY_.kd
    .uniform_work_group_size: 1
    .uses_dynamic_stack: false
    .vgpr_count:     71
    .vgpr_spill_count: 0
    .wavefront_size: 64
  - .args:
      - .offset:         0
        .size:           152
        .value_kind:     by_value
    .group_segment_fixed_size: 0
    .kernarg_segment_align: 8
    .kernarg_segment_size: 152
    .language:       OpenCL C
    .language_version:
      - 2
      - 0
    .max_flat_workgroup_size: 256
    .name:           _ZN7rocprim17ROCPRIM_400000_NS6detail17trampoline_kernelINS0_13select_configILj256ELj13ELNS0_17block_load_methodE3ELS4_3ELS4_3ELNS0_20block_scan_algorithmE0ELj4294967295EEENS1_25partition_config_selectorILNS1_17partition_subalgoE3EjNS0_10empty_typeEbEEZZNS1_14partition_implILS8_3ELb0ES6_jNS0_17counting_iteratorIjlEEPS9_SE_NS0_5tupleIJPjSE_EEENSF_IJSE_SE_EEES9_SG_JZNS1_25segmented_radix_sort_implINS0_14default_configELb0EPKaPaPKlPlN2at6native12_GLOBAL__N_18offset_tEEE10hipError_tPvRmT1_PNSt15iterator_traitsISY_E10value_typeET2_T3_PNSZ_IS14_E10value_typeET4_jRbjT5_S1A_jjP12ihipStream_tbEUljE_EEESV_SW_SX_S14_S18_S1A_T6_T7_T9_mT8_S1C_bDpT10_ENKUlT_T0_E_clISt17integral_constantIbLb0EES1O_IbLb1EEEEDaS1K_S1L_EUlS1K_E_NS1_11comp_targetILNS1_3genE10ELNS1_11target_archE1200ELNS1_3gpuE4ELNS1_3repE0EEENS1_30default_config_static_selectorELNS0_4arch9wavefront6targetE1EEEvSY_
    .private_segment_fixed_size: 0
    .sgpr_count:     4
    .sgpr_spill_count: 0
    .symbol:         _ZN7rocprim17ROCPRIM_400000_NS6detail17trampoline_kernelINS0_13select_configILj256ELj13ELNS0_17block_load_methodE3ELS4_3ELS4_3ELNS0_20block_scan_algorithmE0ELj4294967295EEENS1_25partition_config_selectorILNS1_17partition_subalgoE3EjNS0_10empty_typeEbEEZZNS1_14partition_implILS8_3ELb0ES6_jNS0_17counting_iteratorIjlEEPS9_SE_NS0_5tupleIJPjSE_EEENSF_IJSE_SE_EEES9_SG_JZNS1_25segmented_radix_sort_implINS0_14default_configELb0EPKaPaPKlPlN2at6native12_GLOBAL__N_18offset_tEEE10hipError_tPvRmT1_PNSt15iterator_traitsISY_E10value_typeET2_T3_PNSZ_IS14_E10value_typeET4_jRbjT5_S1A_jjP12ihipStream_tbEUljE_EEESV_SW_SX_S14_S18_S1A_T6_T7_T9_mT8_S1C_bDpT10_ENKUlT_T0_E_clISt17integral_constantIbLb0EES1O_IbLb1EEEEDaS1K_S1L_EUlS1K_E_NS1_11comp_targetILNS1_3genE10ELNS1_11target_archE1200ELNS1_3gpuE4ELNS1_3repE0EEENS1_30default_config_static_selectorELNS0_4arch9wavefront6targetE1EEEvSY_.kd
    .uniform_work_group_size: 1
    .uses_dynamic_stack: false
    .vgpr_count:     0
    .vgpr_spill_count: 0
    .wavefront_size: 64
  - .args:
      - .offset:         0
        .size:           152
        .value_kind:     by_value
    .group_segment_fixed_size: 0
    .kernarg_segment_align: 8
    .kernarg_segment_size: 152
    .language:       OpenCL C
    .language_version:
      - 2
      - 0
    .max_flat_workgroup_size: 256
    .name:           _ZN7rocprim17ROCPRIM_400000_NS6detail17trampoline_kernelINS0_13select_configILj256ELj13ELNS0_17block_load_methodE3ELS4_3ELS4_3ELNS0_20block_scan_algorithmE0ELj4294967295EEENS1_25partition_config_selectorILNS1_17partition_subalgoE3EjNS0_10empty_typeEbEEZZNS1_14partition_implILS8_3ELb0ES6_jNS0_17counting_iteratorIjlEEPS9_SE_NS0_5tupleIJPjSE_EEENSF_IJSE_SE_EEES9_SG_JZNS1_25segmented_radix_sort_implINS0_14default_configELb0EPKaPaPKlPlN2at6native12_GLOBAL__N_18offset_tEEE10hipError_tPvRmT1_PNSt15iterator_traitsISY_E10value_typeET2_T3_PNSZ_IS14_E10value_typeET4_jRbjT5_S1A_jjP12ihipStream_tbEUljE_EEESV_SW_SX_S14_S18_S1A_T6_T7_T9_mT8_S1C_bDpT10_ENKUlT_T0_E_clISt17integral_constantIbLb0EES1O_IbLb1EEEEDaS1K_S1L_EUlS1K_E_NS1_11comp_targetILNS1_3genE9ELNS1_11target_archE1100ELNS1_3gpuE3ELNS1_3repE0EEENS1_30default_config_static_selectorELNS0_4arch9wavefront6targetE1EEEvSY_
    .private_segment_fixed_size: 0
    .sgpr_count:     4
    .sgpr_spill_count: 0
    .symbol:         _ZN7rocprim17ROCPRIM_400000_NS6detail17trampoline_kernelINS0_13select_configILj256ELj13ELNS0_17block_load_methodE3ELS4_3ELS4_3ELNS0_20block_scan_algorithmE0ELj4294967295EEENS1_25partition_config_selectorILNS1_17partition_subalgoE3EjNS0_10empty_typeEbEEZZNS1_14partition_implILS8_3ELb0ES6_jNS0_17counting_iteratorIjlEEPS9_SE_NS0_5tupleIJPjSE_EEENSF_IJSE_SE_EEES9_SG_JZNS1_25segmented_radix_sort_implINS0_14default_configELb0EPKaPaPKlPlN2at6native12_GLOBAL__N_18offset_tEEE10hipError_tPvRmT1_PNSt15iterator_traitsISY_E10value_typeET2_T3_PNSZ_IS14_E10value_typeET4_jRbjT5_S1A_jjP12ihipStream_tbEUljE_EEESV_SW_SX_S14_S18_S1A_T6_T7_T9_mT8_S1C_bDpT10_ENKUlT_T0_E_clISt17integral_constantIbLb0EES1O_IbLb1EEEEDaS1K_S1L_EUlS1K_E_NS1_11comp_targetILNS1_3genE9ELNS1_11target_archE1100ELNS1_3gpuE3ELNS1_3repE0EEENS1_30default_config_static_selectorELNS0_4arch9wavefront6targetE1EEEvSY_.kd
    .uniform_work_group_size: 1
    .uses_dynamic_stack: false
    .vgpr_count:     0
    .vgpr_spill_count: 0
    .wavefront_size: 64
  - .args:
      - .offset:         0
        .size:           152
        .value_kind:     by_value
    .group_segment_fixed_size: 0
    .kernarg_segment_align: 8
    .kernarg_segment_size: 152
    .language:       OpenCL C
    .language_version:
      - 2
      - 0
    .max_flat_workgroup_size: 256
    .name:           _ZN7rocprim17ROCPRIM_400000_NS6detail17trampoline_kernelINS0_13select_configILj256ELj13ELNS0_17block_load_methodE3ELS4_3ELS4_3ELNS0_20block_scan_algorithmE0ELj4294967295EEENS1_25partition_config_selectorILNS1_17partition_subalgoE3EjNS0_10empty_typeEbEEZZNS1_14partition_implILS8_3ELb0ES6_jNS0_17counting_iteratorIjlEEPS9_SE_NS0_5tupleIJPjSE_EEENSF_IJSE_SE_EEES9_SG_JZNS1_25segmented_radix_sort_implINS0_14default_configELb0EPKaPaPKlPlN2at6native12_GLOBAL__N_18offset_tEEE10hipError_tPvRmT1_PNSt15iterator_traitsISY_E10value_typeET2_T3_PNSZ_IS14_E10value_typeET4_jRbjT5_S1A_jjP12ihipStream_tbEUljE_EEESV_SW_SX_S14_S18_S1A_T6_T7_T9_mT8_S1C_bDpT10_ENKUlT_T0_E_clISt17integral_constantIbLb0EES1O_IbLb1EEEEDaS1K_S1L_EUlS1K_E_NS1_11comp_targetILNS1_3genE8ELNS1_11target_archE1030ELNS1_3gpuE2ELNS1_3repE0EEENS1_30default_config_static_selectorELNS0_4arch9wavefront6targetE1EEEvSY_
    .private_segment_fixed_size: 0
    .sgpr_count:     4
    .sgpr_spill_count: 0
    .symbol:         _ZN7rocprim17ROCPRIM_400000_NS6detail17trampoline_kernelINS0_13select_configILj256ELj13ELNS0_17block_load_methodE3ELS4_3ELS4_3ELNS0_20block_scan_algorithmE0ELj4294967295EEENS1_25partition_config_selectorILNS1_17partition_subalgoE3EjNS0_10empty_typeEbEEZZNS1_14partition_implILS8_3ELb0ES6_jNS0_17counting_iteratorIjlEEPS9_SE_NS0_5tupleIJPjSE_EEENSF_IJSE_SE_EEES9_SG_JZNS1_25segmented_radix_sort_implINS0_14default_configELb0EPKaPaPKlPlN2at6native12_GLOBAL__N_18offset_tEEE10hipError_tPvRmT1_PNSt15iterator_traitsISY_E10value_typeET2_T3_PNSZ_IS14_E10value_typeET4_jRbjT5_S1A_jjP12ihipStream_tbEUljE_EEESV_SW_SX_S14_S18_S1A_T6_T7_T9_mT8_S1C_bDpT10_ENKUlT_T0_E_clISt17integral_constantIbLb0EES1O_IbLb1EEEEDaS1K_S1L_EUlS1K_E_NS1_11comp_targetILNS1_3genE8ELNS1_11target_archE1030ELNS1_3gpuE2ELNS1_3repE0EEENS1_30default_config_static_selectorELNS0_4arch9wavefront6targetE1EEEvSY_.kd
    .uniform_work_group_size: 1
    .uses_dynamic_stack: false
    .vgpr_count:     0
    .vgpr_spill_count: 0
    .wavefront_size: 64
  - .args:
      - .offset:         0
        .size:           96
        .value_kind:     by_value
    .group_segment_fixed_size: 0
    .kernarg_segment_align: 8
    .kernarg_segment_size: 96
    .language:       OpenCL C
    .language_version:
      - 2
      - 0
    .max_flat_workgroup_size: 256
    .name:           _ZN7rocprim17ROCPRIM_400000_NS6detail17trampoline_kernelINS0_14default_configENS1_36segmented_radix_sort_config_selectorIalEEZNS1_25segmented_radix_sort_implIS3_Lb0EPKaPaPKlPlN2at6native12_GLOBAL__N_18offset_tEEE10hipError_tPvRmT1_PNSt15iterator_traitsISK_E10value_typeET2_T3_PNSL_ISQ_E10value_typeET4_jRbjT5_SW_jjP12ihipStream_tbEUlT_E_NS1_11comp_targetILNS1_3genE0ELNS1_11target_archE4294967295ELNS1_3gpuE0ELNS1_3repE0EEENS1_30default_config_static_selectorELNS0_4arch9wavefront6targetE1EEEvSK_
    .private_segment_fixed_size: 0
    .sgpr_count:     4
    .sgpr_spill_count: 0
    .symbol:         _ZN7rocprim17ROCPRIM_400000_NS6detail17trampoline_kernelINS0_14default_configENS1_36segmented_radix_sort_config_selectorIalEEZNS1_25segmented_radix_sort_implIS3_Lb0EPKaPaPKlPlN2at6native12_GLOBAL__N_18offset_tEEE10hipError_tPvRmT1_PNSt15iterator_traitsISK_E10value_typeET2_T3_PNSL_ISQ_E10value_typeET4_jRbjT5_SW_jjP12ihipStream_tbEUlT_E_NS1_11comp_targetILNS1_3genE0ELNS1_11target_archE4294967295ELNS1_3gpuE0ELNS1_3repE0EEENS1_30default_config_static_selectorELNS0_4arch9wavefront6targetE1EEEvSK_.kd
    .uniform_work_group_size: 1
    .uses_dynamic_stack: false
    .vgpr_count:     0
    .vgpr_spill_count: 0
    .wavefront_size: 64
  - .args:
      - .offset:         0
        .size:           96
        .value_kind:     by_value
    .group_segment_fixed_size: 0
    .kernarg_segment_align: 8
    .kernarg_segment_size: 96
    .language:       OpenCL C
    .language_version:
      - 2
      - 0
    .max_flat_workgroup_size: 256
    .name:           _ZN7rocprim17ROCPRIM_400000_NS6detail17trampoline_kernelINS0_14default_configENS1_36segmented_radix_sort_config_selectorIalEEZNS1_25segmented_radix_sort_implIS3_Lb0EPKaPaPKlPlN2at6native12_GLOBAL__N_18offset_tEEE10hipError_tPvRmT1_PNSt15iterator_traitsISK_E10value_typeET2_T3_PNSL_ISQ_E10value_typeET4_jRbjT5_SW_jjP12ihipStream_tbEUlT_E_NS1_11comp_targetILNS1_3genE5ELNS1_11target_archE942ELNS1_3gpuE9ELNS1_3repE0EEENS1_30default_config_static_selectorELNS0_4arch9wavefront6targetE1EEEvSK_
    .private_segment_fixed_size: 0
    .sgpr_count:     4
    .sgpr_spill_count: 0
    .symbol:         _ZN7rocprim17ROCPRIM_400000_NS6detail17trampoline_kernelINS0_14default_configENS1_36segmented_radix_sort_config_selectorIalEEZNS1_25segmented_radix_sort_implIS3_Lb0EPKaPaPKlPlN2at6native12_GLOBAL__N_18offset_tEEE10hipError_tPvRmT1_PNSt15iterator_traitsISK_E10value_typeET2_T3_PNSL_ISQ_E10value_typeET4_jRbjT5_SW_jjP12ihipStream_tbEUlT_E_NS1_11comp_targetILNS1_3genE5ELNS1_11target_archE942ELNS1_3gpuE9ELNS1_3repE0EEENS1_30default_config_static_selectorELNS0_4arch9wavefront6targetE1EEEvSK_.kd
    .uniform_work_group_size: 1
    .uses_dynamic_stack: false
    .vgpr_count:     0
    .vgpr_spill_count: 0
    .wavefront_size: 64
  - .args:
      - .offset:         0
        .size:           96
        .value_kind:     by_value
    .group_segment_fixed_size: 0
    .kernarg_segment_align: 8
    .kernarg_segment_size: 96
    .language:       OpenCL C
    .language_version:
      - 2
      - 0
    .max_flat_workgroup_size: 256
    .name:           _ZN7rocprim17ROCPRIM_400000_NS6detail17trampoline_kernelINS0_14default_configENS1_36segmented_radix_sort_config_selectorIalEEZNS1_25segmented_radix_sort_implIS3_Lb0EPKaPaPKlPlN2at6native12_GLOBAL__N_18offset_tEEE10hipError_tPvRmT1_PNSt15iterator_traitsISK_E10value_typeET2_T3_PNSL_ISQ_E10value_typeET4_jRbjT5_SW_jjP12ihipStream_tbEUlT_E_NS1_11comp_targetILNS1_3genE4ELNS1_11target_archE910ELNS1_3gpuE8ELNS1_3repE0EEENS1_30default_config_static_selectorELNS0_4arch9wavefront6targetE1EEEvSK_
    .private_segment_fixed_size: 0
    .sgpr_count:     4
    .sgpr_spill_count: 0
    .symbol:         _ZN7rocprim17ROCPRIM_400000_NS6detail17trampoline_kernelINS0_14default_configENS1_36segmented_radix_sort_config_selectorIalEEZNS1_25segmented_radix_sort_implIS3_Lb0EPKaPaPKlPlN2at6native12_GLOBAL__N_18offset_tEEE10hipError_tPvRmT1_PNSt15iterator_traitsISK_E10value_typeET2_T3_PNSL_ISQ_E10value_typeET4_jRbjT5_SW_jjP12ihipStream_tbEUlT_E_NS1_11comp_targetILNS1_3genE4ELNS1_11target_archE910ELNS1_3gpuE8ELNS1_3repE0EEENS1_30default_config_static_selectorELNS0_4arch9wavefront6targetE1EEEvSK_.kd
    .uniform_work_group_size: 1
    .uses_dynamic_stack: false
    .vgpr_count:     0
    .vgpr_spill_count: 0
    .wavefront_size: 64
  - .args:
      - .offset:         0
        .size:           96
        .value_kind:     by_value
    .group_segment_fixed_size: 0
    .kernarg_segment_align: 8
    .kernarg_segment_size: 96
    .language:       OpenCL C
    .language_version:
      - 2
      - 0
    .max_flat_workgroup_size: 256
    .name:           _ZN7rocprim17ROCPRIM_400000_NS6detail17trampoline_kernelINS0_14default_configENS1_36segmented_radix_sort_config_selectorIalEEZNS1_25segmented_radix_sort_implIS3_Lb0EPKaPaPKlPlN2at6native12_GLOBAL__N_18offset_tEEE10hipError_tPvRmT1_PNSt15iterator_traitsISK_E10value_typeET2_T3_PNSL_ISQ_E10value_typeET4_jRbjT5_SW_jjP12ihipStream_tbEUlT_E_NS1_11comp_targetILNS1_3genE3ELNS1_11target_archE908ELNS1_3gpuE7ELNS1_3repE0EEENS1_30default_config_static_selectorELNS0_4arch9wavefront6targetE1EEEvSK_
    .private_segment_fixed_size: 0
    .sgpr_count:     4
    .sgpr_spill_count: 0
    .symbol:         _ZN7rocprim17ROCPRIM_400000_NS6detail17trampoline_kernelINS0_14default_configENS1_36segmented_radix_sort_config_selectorIalEEZNS1_25segmented_radix_sort_implIS3_Lb0EPKaPaPKlPlN2at6native12_GLOBAL__N_18offset_tEEE10hipError_tPvRmT1_PNSt15iterator_traitsISK_E10value_typeET2_T3_PNSL_ISQ_E10value_typeET4_jRbjT5_SW_jjP12ihipStream_tbEUlT_E_NS1_11comp_targetILNS1_3genE3ELNS1_11target_archE908ELNS1_3gpuE7ELNS1_3repE0EEENS1_30default_config_static_selectorELNS0_4arch9wavefront6targetE1EEEvSK_.kd
    .uniform_work_group_size: 1
    .uses_dynamic_stack: false
    .vgpr_count:     0
    .vgpr_spill_count: 0
    .wavefront_size: 64
  - .args:
      - .offset:         0
        .size:           96
        .value_kind:     by_value
      - .offset:         96
        .size:           4
        .value_kind:     hidden_block_count_x
      - .offset:         100
        .size:           4
        .value_kind:     hidden_block_count_y
      - .offset:         104
        .size:           4
        .value_kind:     hidden_block_count_z
      - .offset:         108
        .size:           2
        .value_kind:     hidden_group_size_x
      - .offset:         110
        .size:           2
        .value_kind:     hidden_group_size_y
      - .offset:         112
        .size:           2
        .value_kind:     hidden_group_size_z
      - .offset:         114
        .size:           2
        .value_kind:     hidden_remainder_x
      - .offset:         116
        .size:           2
        .value_kind:     hidden_remainder_y
      - .offset:         118
        .size:           2
        .value_kind:     hidden_remainder_z
      - .offset:         136
        .size:           8
        .value_kind:     hidden_global_offset_x
      - .offset:         144
        .size:           8
        .value_kind:     hidden_global_offset_y
      - .offset:         152
        .size:           8
        .value_kind:     hidden_global_offset_z
      - .offset:         160
        .size:           2
        .value_kind:     hidden_grid_dims
    .group_segment_fixed_size: 9232
    .kernarg_segment_align: 8
    .kernarg_segment_size: 352
    .language:       OpenCL C
    .language_version:
      - 2
      - 0
    .max_flat_workgroup_size: 256
    .name:           _ZN7rocprim17ROCPRIM_400000_NS6detail17trampoline_kernelINS0_14default_configENS1_36segmented_radix_sort_config_selectorIalEEZNS1_25segmented_radix_sort_implIS3_Lb0EPKaPaPKlPlN2at6native12_GLOBAL__N_18offset_tEEE10hipError_tPvRmT1_PNSt15iterator_traitsISK_E10value_typeET2_T3_PNSL_ISQ_E10value_typeET4_jRbjT5_SW_jjP12ihipStream_tbEUlT_E_NS1_11comp_targetILNS1_3genE2ELNS1_11target_archE906ELNS1_3gpuE6ELNS1_3repE0EEENS1_30default_config_static_selectorELNS0_4arch9wavefront6targetE1EEEvSK_
    .private_segment_fixed_size: 0
    .sgpr_count:     80
    .sgpr_spill_count: 0
    .symbol:         _ZN7rocprim17ROCPRIM_400000_NS6detail17trampoline_kernelINS0_14default_configENS1_36segmented_radix_sort_config_selectorIalEEZNS1_25segmented_radix_sort_implIS3_Lb0EPKaPaPKlPlN2at6native12_GLOBAL__N_18offset_tEEE10hipError_tPvRmT1_PNSt15iterator_traitsISK_E10value_typeET2_T3_PNSL_ISQ_E10value_typeET4_jRbjT5_SW_jjP12ihipStream_tbEUlT_E_NS1_11comp_targetILNS1_3genE2ELNS1_11target_archE906ELNS1_3gpuE6ELNS1_3repE0EEENS1_30default_config_static_selectorELNS0_4arch9wavefront6targetE1EEEvSK_.kd
    .uniform_work_group_size: 1
    .uses_dynamic_stack: false
    .vgpr_count:     97
    .vgpr_spill_count: 0
    .wavefront_size: 64
  - .args:
      - .offset:         0
        .size:           96
        .value_kind:     by_value
    .group_segment_fixed_size: 0
    .kernarg_segment_align: 8
    .kernarg_segment_size: 96
    .language:       OpenCL C
    .language_version:
      - 2
      - 0
    .max_flat_workgroup_size: 256
    .name:           _ZN7rocprim17ROCPRIM_400000_NS6detail17trampoline_kernelINS0_14default_configENS1_36segmented_radix_sort_config_selectorIalEEZNS1_25segmented_radix_sort_implIS3_Lb0EPKaPaPKlPlN2at6native12_GLOBAL__N_18offset_tEEE10hipError_tPvRmT1_PNSt15iterator_traitsISK_E10value_typeET2_T3_PNSL_ISQ_E10value_typeET4_jRbjT5_SW_jjP12ihipStream_tbEUlT_E_NS1_11comp_targetILNS1_3genE10ELNS1_11target_archE1201ELNS1_3gpuE5ELNS1_3repE0EEENS1_30default_config_static_selectorELNS0_4arch9wavefront6targetE1EEEvSK_
    .private_segment_fixed_size: 0
    .sgpr_count:     4
    .sgpr_spill_count: 0
    .symbol:         _ZN7rocprim17ROCPRIM_400000_NS6detail17trampoline_kernelINS0_14default_configENS1_36segmented_radix_sort_config_selectorIalEEZNS1_25segmented_radix_sort_implIS3_Lb0EPKaPaPKlPlN2at6native12_GLOBAL__N_18offset_tEEE10hipError_tPvRmT1_PNSt15iterator_traitsISK_E10value_typeET2_T3_PNSL_ISQ_E10value_typeET4_jRbjT5_SW_jjP12ihipStream_tbEUlT_E_NS1_11comp_targetILNS1_3genE10ELNS1_11target_archE1201ELNS1_3gpuE5ELNS1_3repE0EEENS1_30default_config_static_selectorELNS0_4arch9wavefront6targetE1EEEvSK_.kd
    .uniform_work_group_size: 1
    .uses_dynamic_stack: false
    .vgpr_count:     0
    .vgpr_spill_count: 0
    .wavefront_size: 64
  - .args:
      - .offset:         0
        .size:           96
        .value_kind:     by_value
    .group_segment_fixed_size: 0
    .kernarg_segment_align: 8
    .kernarg_segment_size: 96
    .language:       OpenCL C
    .language_version:
      - 2
      - 0
    .max_flat_workgroup_size: 128
    .name:           _ZN7rocprim17ROCPRIM_400000_NS6detail17trampoline_kernelINS0_14default_configENS1_36segmented_radix_sort_config_selectorIalEEZNS1_25segmented_radix_sort_implIS3_Lb0EPKaPaPKlPlN2at6native12_GLOBAL__N_18offset_tEEE10hipError_tPvRmT1_PNSt15iterator_traitsISK_E10value_typeET2_T3_PNSL_ISQ_E10value_typeET4_jRbjT5_SW_jjP12ihipStream_tbEUlT_E_NS1_11comp_targetILNS1_3genE10ELNS1_11target_archE1200ELNS1_3gpuE4ELNS1_3repE0EEENS1_30default_config_static_selectorELNS0_4arch9wavefront6targetE1EEEvSK_
    .private_segment_fixed_size: 0
    .sgpr_count:     4
    .sgpr_spill_count: 0
    .symbol:         _ZN7rocprim17ROCPRIM_400000_NS6detail17trampoline_kernelINS0_14default_configENS1_36segmented_radix_sort_config_selectorIalEEZNS1_25segmented_radix_sort_implIS3_Lb0EPKaPaPKlPlN2at6native12_GLOBAL__N_18offset_tEEE10hipError_tPvRmT1_PNSt15iterator_traitsISK_E10value_typeET2_T3_PNSL_ISQ_E10value_typeET4_jRbjT5_SW_jjP12ihipStream_tbEUlT_E_NS1_11comp_targetILNS1_3genE10ELNS1_11target_archE1200ELNS1_3gpuE4ELNS1_3repE0EEENS1_30default_config_static_selectorELNS0_4arch9wavefront6targetE1EEEvSK_.kd
    .uniform_work_group_size: 1
    .uses_dynamic_stack: false
    .vgpr_count:     0
    .vgpr_spill_count: 0
    .wavefront_size: 64
  - .args:
      - .offset:         0
        .size:           96
        .value_kind:     by_value
    .group_segment_fixed_size: 0
    .kernarg_segment_align: 8
    .kernarg_segment_size: 96
    .language:       OpenCL C
    .language_version:
      - 2
      - 0
    .max_flat_workgroup_size: 256
    .name:           _ZN7rocprim17ROCPRIM_400000_NS6detail17trampoline_kernelINS0_14default_configENS1_36segmented_radix_sort_config_selectorIalEEZNS1_25segmented_radix_sort_implIS3_Lb0EPKaPaPKlPlN2at6native12_GLOBAL__N_18offset_tEEE10hipError_tPvRmT1_PNSt15iterator_traitsISK_E10value_typeET2_T3_PNSL_ISQ_E10value_typeET4_jRbjT5_SW_jjP12ihipStream_tbEUlT_E_NS1_11comp_targetILNS1_3genE9ELNS1_11target_archE1100ELNS1_3gpuE3ELNS1_3repE0EEENS1_30default_config_static_selectorELNS0_4arch9wavefront6targetE1EEEvSK_
    .private_segment_fixed_size: 0
    .sgpr_count:     4
    .sgpr_spill_count: 0
    .symbol:         _ZN7rocprim17ROCPRIM_400000_NS6detail17trampoline_kernelINS0_14default_configENS1_36segmented_radix_sort_config_selectorIalEEZNS1_25segmented_radix_sort_implIS3_Lb0EPKaPaPKlPlN2at6native12_GLOBAL__N_18offset_tEEE10hipError_tPvRmT1_PNSt15iterator_traitsISK_E10value_typeET2_T3_PNSL_ISQ_E10value_typeET4_jRbjT5_SW_jjP12ihipStream_tbEUlT_E_NS1_11comp_targetILNS1_3genE9ELNS1_11target_archE1100ELNS1_3gpuE3ELNS1_3repE0EEENS1_30default_config_static_selectorELNS0_4arch9wavefront6targetE1EEEvSK_.kd
    .uniform_work_group_size: 1
    .uses_dynamic_stack: false
    .vgpr_count:     0
    .vgpr_spill_count: 0
    .wavefront_size: 64
  - .args:
      - .offset:         0
        .size:           96
        .value_kind:     by_value
    .group_segment_fixed_size: 0
    .kernarg_segment_align: 8
    .kernarg_segment_size: 96
    .language:       OpenCL C
    .language_version:
      - 2
      - 0
    .max_flat_workgroup_size: 256
    .name:           _ZN7rocprim17ROCPRIM_400000_NS6detail17trampoline_kernelINS0_14default_configENS1_36segmented_radix_sort_config_selectorIalEEZNS1_25segmented_radix_sort_implIS3_Lb0EPKaPaPKlPlN2at6native12_GLOBAL__N_18offset_tEEE10hipError_tPvRmT1_PNSt15iterator_traitsISK_E10value_typeET2_T3_PNSL_ISQ_E10value_typeET4_jRbjT5_SW_jjP12ihipStream_tbEUlT_E_NS1_11comp_targetILNS1_3genE8ELNS1_11target_archE1030ELNS1_3gpuE2ELNS1_3repE0EEENS1_30default_config_static_selectorELNS0_4arch9wavefront6targetE1EEEvSK_
    .private_segment_fixed_size: 0
    .sgpr_count:     4
    .sgpr_spill_count: 0
    .symbol:         _ZN7rocprim17ROCPRIM_400000_NS6detail17trampoline_kernelINS0_14default_configENS1_36segmented_radix_sort_config_selectorIalEEZNS1_25segmented_radix_sort_implIS3_Lb0EPKaPaPKlPlN2at6native12_GLOBAL__N_18offset_tEEE10hipError_tPvRmT1_PNSt15iterator_traitsISK_E10value_typeET2_T3_PNSL_ISQ_E10value_typeET4_jRbjT5_SW_jjP12ihipStream_tbEUlT_E_NS1_11comp_targetILNS1_3genE8ELNS1_11target_archE1030ELNS1_3gpuE2ELNS1_3repE0EEENS1_30default_config_static_selectorELNS0_4arch9wavefront6targetE1EEEvSK_.kd
    .uniform_work_group_size: 1
    .uses_dynamic_stack: false
    .vgpr_count:     0
    .vgpr_spill_count: 0
    .wavefront_size: 64
  - .args:
      - .offset:         0
        .size:           88
        .value_kind:     by_value
    .group_segment_fixed_size: 0
    .kernarg_segment_align: 8
    .kernarg_segment_size: 88
    .language:       OpenCL C
    .language_version:
      - 2
      - 0
    .max_flat_workgroup_size: 256
    .name:           _ZN7rocprim17ROCPRIM_400000_NS6detail17trampoline_kernelINS0_14default_configENS1_36segmented_radix_sort_config_selectorIalEEZNS1_25segmented_radix_sort_implIS3_Lb0EPKaPaPKlPlN2at6native12_GLOBAL__N_18offset_tEEE10hipError_tPvRmT1_PNSt15iterator_traitsISK_E10value_typeET2_T3_PNSL_ISQ_E10value_typeET4_jRbjT5_SW_jjP12ihipStream_tbEUlT_E0_NS1_11comp_targetILNS1_3genE0ELNS1_11target_archE4294967295ELNS1_3gpuE0ELNS1_3repE0EEENS1_60segmented_radix_sort_warp_sort_medium_config_static_selectorELNS0_4arch9wavefront6targetE1EEEvSK_
    .private_segment_fixed_size: 0
    .sgpr_count:     4
    .sgpr_spill_count: 0
    .symbol:         _ZN7rocprim17ROCPRIM_400000_NS6detail17trampoline_kernelINS0_14default_configENS1_36segmented_radix_sort_config_selectorIalEEZNS1_25segmented_radix_sort_implIS3_Lb0EPKaPaPKlPlN2at6native12_GLOBAL__N_18offset_tEEE10hipError_tPvRmT1_PNSt15iterator_traitsISK_E10value_typeET2_T3_PNSL_ISQ_E10value_typeET4_jRbjT5_SW_jjP12ihipStream_tbEUlT_E0_NS1_11comp_targetILNS1_3genE0ELNS1_11target_archE4294967295ELNS1_3gpuE0ELNS1_3repE0EEENS1_60segmented_radix_sort_warp_sort_medium_config_static_selectorELNS0_4arch9wavefront6targetE1EEEvSK_.kd
    .uniform_work_group_size: 1
    .uses_dynamic_stack: false
    .vgpr_count:     0
    .vgpr_spill_count: 0
    .wavefront_size: 64
  - .args:
      - .offset:         0
        .size:           88
        .value_kind:     by_value
    .group_segment_fixed_size: 0
    .kernarg_segment_align: 8
    .kernarg_segment_size: 88
    .language:       OpenCL C
    .language_version:
      - 2
      - 0
    .max_flat_workgroup_size: 256
    .name:           _ZN7rocprim17ROCPRIM_400000_NS6detail17trampoline_kernelINS0_14default_configENS1_36segmented_radix_sort_config_selectorIalEEZNS1_25segmented_radix_sort_implIS3_Lb0EPKaPaPKlPlN2at6native12_GLOBAL__N_18offset_tEEE10hipError_tPvRmT1_PNSt15iterator_traitsISK_E10value_typeET2_T3_PNSL_ISQ_E10value_typeET4_jRbjT5_SW_jjP12ihipStream_tbEUlT_E0_NS1_11comp_targetILNS1_3genE5ELNS1_11target_archE942ELNS1_3gpuE9ELNS1_3repE0EEENS1_60segmented_radix_sort_warp_sort_medium_config_static_selectorELNS0_4arch9wavefront6targetE1EEEvSK_
    .private_segment_fixed_size: 0
    .sgpr_count:     4
    .sgpr_spill_count: 0
    .symbol:         _ZN7rocprim17ROCPRIM_400000_NS6detail17trampoline_kernelINS0_14default_configENS1_36segmented_radix_sort_config_selectorIalEEZNS1_25segmented_radix_sort_implIS3_Lb0EPKaPaPKlPlN2at6native12_GLOBAL__N_18offset_tEEE10hipError_tPvRmT1_PNSt15iterator_traitsISK_E10value_typeET2_T3_PNSL_ISQ_E10value_typeET4_jRbjT5_SW_jjP12ihipStream_tbEUlT_E0_NS1_11comp_targetILNS1_3genE5ELNS1_11target_archE942ELNS1_3gpuE9ELNS1_3repE0EEENS1_60segmented_radix_sort_warp_sort_medium_config_static_selectorELNS0_4arch9wavefront6targetE1EEEvSK_.kd
    .uniform_work_group_size: 1
    .uses_dynamic_stack: false
    .vgpr_count:     0
    .vgpr_spill_count: 0
    .wavefront_size: 64
  - .args:
      - .offset:         0
        .size:           88
        .value_kind:     by_value
    .group_segment_fixed_size: 0
    .kernarg_segment_align: 8
    .kernarg_segment_size: 88
    .language:       OpenCL C
    .language_version:
      - 2
      - 0
    .max_flat_workgroup_size: 256
    .name:           _ZN7rocprim17ROCPRIM_400000_NS6detail17trampoline_kernelINS0_14default_configENS1_36segmented_radix_sort_config_selectorIalEEZNS1_25segmented_radix_sort_implIS3_Lb0EPKaPaPKlPlN2at6native12_GLOBAL__N_18offset_tEEE10hipError_tPvRmT1_PNSt15iterator_traitsISK_E10value_typeET2_T3_PNSL_ISQ_E10value_typeET4_jRbjT5_SW_jjP12ihipStream_tbEUlT_E0_NS1_11comp_targetILNS1_3genE4ELNS1_11target_archE910ELNS1_3gpuE8ELNS1_3repE0EEENS1_60segmented_radix_sort_warp_sort_medium_config_static_selectorELNS0_4arch9wavefront6targetE1EEEvSK_
    .private_segment_fixed_size: 0
    .sgpr_count:     4
    .sgpr_spill_count: 0
    .symbol:         _ZN7rocprim17ROCPRIM_400000_NS6detail17trampoline_kernelINS0_14default_configENS1_36segmented_radix_sort_config_selectorIalEEZNS1_25segmented_radix_sort_implIS3_Lb0EPKaPaPKlPlN2at6native12_GLOBAL__N_18offset_tEEE10hipError_tPvRmT1_PNSt15iterator_traitsISK_E10value_typeET2_T3_PNSL_ISQ_E10value_typeET4_jRbjT5_SW_jjP12ihipStream_tbEUlT_E0_NS1_11comp_targetILNS1_3genE4ELNS1_11target_archE910ELNS1_3gpuE8ELNS1_3repE0EEENS1_60segmented_radix_sort_warp_sort_medium_config_static_selectorELNS0_4arch9wavefront6targetE1EEEvSK_.kd
    .uniform_work_group_size: 1
    .uses_dynamic_stack: false
    .vgpr_count:     0
    .vgpr_spill_count: 0
    .wavefront_size: 64
  - .args:
      - .offset:         0
        .size:           88
        .value_kind:     by_value
    .group_segment_fixed_size: 0
    .kernarg_segment_align: 8
    .kernarg_segment_size: 88
    .language:       OpenCL C
    .language_version:
      - 2
      - 0
    .max_flat_workgroup_size: 256
    .name:           _ZN7rocprim17ROCPRIM_400000_NS6detail17trampoline_kernelINS0_14default_configENS1_36segmented_radix_sort_config_selectorIalEEZNS1_25segmented_radix_sort_implIS3_Lb0EPKaPaPKlPlN2at6native12_GLOBAL__N_18offset_tEEE10hipError_tPvRmT1_PNSt15iterator_traitsISK_E10value_typeET2_T3_PNSL_ISQ_E10value_typeET4_jRbjT5_SW_jjP12ihipStream_tbEUlT_E0_NS1_11comp_targetILNS1_3genE3ELNS1_11target_archE908ELNS1_3gpuE7ELNS1_3repE0EEENS1_60segmented_radix_sort_warp_sort_medium_config_static_selectorELNS0_4arch9wavefront6targetE1EEEvSK_
    .private_segment_fixed_size: 0
    .sgpr_count:     4
    .sgpr_spill_count: 0
    .symbol:         _ZN7rocprim17ROCPRIM_400000_NS6detail17trampoline_kernelINS0_14default_configENS1_36segmented_radix_sort_config_selectorIalEEZNS1_25segmented_radix_sort_implIS3_Lb0EPKaPaPKlPlN2at6native12_GLOBAL__N_18offset_tEEE10hipError_tPvRmT1_PNSt15iterator_traitsISK_E10value_typeET2_T3_PNSL_ISQ_E10value_typeET4_jRbjT5_SW_jjP12ihipStream_tbEUlT_E0_NS1_11comp_targetILNS1_3genE3ELNS1_11target_archE908ELNS1_3gpuE7ELNS1_3repE0EEENS1_60segmented_radix_sort_warp_sort_medium_config_static_selectorELNS0_4arch9wavefront6targetE1EEEvSK_.kd
    .uniform_work_group_size: 1
    .uses_dynamic_stack: false
    .vgpr_count:     0
    .vgpr_spill_count: 0
    .wavefront_size: 64
  - .args:
      - .offset:         0
        .size:           88
        .value_kind:     by_value
      - .offset:         88
        .size:           4
        .value_kind:     hidden_block_count_x
      - .offset:         92
        .size:           4
        .value_kind:     hidden_block_count_y
      - .offset:         96
        .size:           4
        .value_kind:     hidden_block_count_z
      - .offset:         100
        .size:           2
        .value_kind:     hidden_group_size_x
      - .offset:         102
        .size:           2
        .value_kind:     hidden_group_size_y
      - .offset:         104
        .size:           2
        .value_kind:     hidden_group_size_z
      - .offset:         106
        .size:           2
        .value_kind:     hidden_remainder_x
      - .offset:         108
        .size:           2
        .value_kind:     hidden_remainder_y
      - .offset:         110
        .size:           2
        .value_kind:     hidden_remainder_z
      - .offset:         128
        .size:           8
        .value_kind:     hidden_global_offset_x
      - .offset:         136
        .size:           8
        .value_kind:     hidden_global_offset_y
      - .offset:         144
        .size:           8
        .value_kind:     hidden_global_offset_z
      - .offset:         152
        .size:           2
        .value_kind:     hidden_grid_dims
    .group_segment_fixed_size: 18432
    .kernarg_segment_align: 8
    .kernarg_segment_size: 344
    .language:       OpenCL C
    .language_version:
      - 2
      - 0
    .max_flat_workgroup_size: 256
    .name:           _ZN7rocprim17ROCPRIM_400000_NS6detail17trampoline_kernelINS0_14default_configENS1_36segmented_radix_sort_config_selectorIalEEZNS1_25segmented_radix_sort_implIS3_Lb0EPKaPaPKlPlN2at6native12_GLOBAL__N_18offset_tEEE10hipError_tPvRmT1_PNSt15iterator_traitsISK_E10value_typeET2_T3_PNSL_ISQ_E10value_typeET4_jRbjT5_SW_jjP12ihipStream_tbEUlT_E0_NS1_11comp_targetILNS1_3genE2ELNS1_11target_archE906ELNS1_3gpuE6ELNS1_3repE0EEENS1_60segmented_radix_sort_warp_sort_medium_config_static_selectorELNS0_4arch9wavefront6targetE1EEEvSK_
    .private_segment_fixed_size: 0
    .sgpr_count:     66
    .sgpr_spill_count: 0
    .symbol:         _ZN7rocprim17ROCPRIM_400000_NS6detail17trampoline_kernelINS0_14default_configENS1_36segmented_radix_sort_config_selectorIalEEZNS1_25segmented_radix_sort_implIS3_Lb0EPKaPaPKlPlN2at6native12_GLOBAL__N_18offset_tEEE10hipError_tPvRmT1_PNSt15iterator_traitsISK_E10value_typeET2_T3_PNSL_ISQ_E10value_typeET4_jRbjT5_SW_jjP12ihipStream_tbEUlT_E0_NS1_11comp_targetILNS1_3genE2ELNS1_11target_archE906ELNS1_3gpuE6ELNS1_3repE0EEENS1_60segmented_radix_sort_warp_sort_medium_config_static_selectorELNS0_4arch9wavefront6targetE1EEEvSK_.kd
    .uniform_work_group_size: 1
    .uses_dynamic_stack: false
    .vgpr_count:     68
    .vgpr_spill_count: 0
    .wavefront_size: 64
  - .args:
      - .offset:         0
        .size:           88
        .value_kind:     by_value
    .group_segment_fixed_size: 0
    .kernarg_segment_align: 8
    .kernarg_segment_size: 88
    .language:       OpenCL C
    .language_version:
      - 2
      - 0
    .max_flat_workgroup_size: 256
    .name:           _ZN7rocprim17ROCPRIM_400000_NS6detail17trampoline_kernelINS0_14default_configENS1_36segmented_radix_sort_config_selectorIalEEZNS1_25segmented_radix_sort_implIS3_Lb0EPKaPaPKlPlN2at6native12_GLOBAL__N_18offset_tEEE10hipError_tPvRmT1_PNSt15iterator_traitsISK_E10value_typeET2_T3_PNSL_ISQ_E10value_typeET4_jRbjT5_SW_jjP12ihipStream_tbEUlT_E0_NS1_11comp_targetILNS1_3genE10ELNS1_11target_archE1201ELNS1_3gpuE5ELNS1_3repE0EEENS1_60segmented_radix_sort_warp_sort_medium_config_static_selectorELNS0_4arch9wavefront6targetE1EEEvSK_
    .private_segment_fixed_size: 0
    .sgpr_count:     4
    .sgpr_spill_count: 0
    .symbol:         _ZN7rocprim17ROCPRIM_400000_NS6detail17trampoline_kernelINS0_14default_configENS1_36segmented_radix_sort_config_selectorIalEEZNS1_25segmented_radix_sort_implIS3_Lb0EPKaPaPKlPlN2at6native12_GLOBAL__N_18offset_tEEE10hipError_tPvRmT1_PNSt15iterator_traitsISK_E10value_typeET2_T3_PNSL_ISQ_E10value_typeET4_jRbjT5_SW_jjP12ihipStream_tbEUlT_E0_NS1_11comp_targetILNS1_3genE10ELNS1_11target_archE1201ELNS1_3gpuE5ELNS1_3repE0EEENS1_60segmented_radix_sort_warp_sort_medium_config_static_selectorELNS0_4arch9wavefront6targetE1EEEvSK_.kd
    .uniform_work_group_size: 1
    .uses_dynamic_stack: false
    .vgpr_count:     0
    .vgpr_spill_count: 0
    .wavefront_size: 64
  - .args:
      - .offset:         0
        .size:           88
        .value_kind:     by_value
    .group_segment_fixed_size: 0
    .kernarg_segment_align: 8
    .kernarg_segment_size: 88
    .language:       OpenCL C
    .language_version:
      - 2
      - 0
    .max_flat_workgroup_size: 256
    .name:           _ZN7rocprim17ROCPRIM_400000_NS6detail17trampoline_kernelINS0_14default_configENS1_36segmented_radix_sort_config_selectorIalEEZNS1_25segmented_radix_sort_implIS3_Lb0EPKaPaPKlPlN2at6native12_GLOBAL__N_18offset_tEEE10hipError_tPvRmT1_PNSt15iterator_traitsISK_E10value_typeET2_T3_PNSL_ISQ_E10value_typeET4_jRbjT5_SW_jjP12ihipStream_tbEUlT_E0_NS1_11comp_targetILNS1_3genE10ELNS1_11target_archE1200ELNS1_3gpuE4ELNS1_3repE0EEENS1_60segmented_radix_sort_warp_sort_medium_config_static_selectorELNS0_4arch9wavefront6targetE1EEEvSK_
    .private_segment_fixed_size: 0
    .sgpr_count:     4
    .sgpr_spill_count: 0
    .symbol:         _ZN7rocprim17ROCPRIM_400000_NS6detail17trampoline_kernelINS0_14default_configENS1_36segmented_radix_sort_config_selectorIalEEZNS1_25segmented_radix_sort_implIS3_Lb0EPKaPaPKlPlN2at6native12_GLOBAL__N_18offset_tEEE10hipError_tPvRmT1_PNSt15iterator_traitsISK_E10value_typeET2_T3_PNSL_ISQ_E10value_typeET4_jRbjT5_SW_jjP12ihipStream_tbEUlT_E0_NS1_11comp_targetILNS1_3genE10ELNS1_11target_archE1200ELNS1_3gpuE4ELNS1_3repE0EEENS1_60segmented_radix_sort_warp_sort_medium_config_static_selectorELNS0_4arch9wavefront6targetE1EEEvSK_.kd
    .uniform_work_group_size: 1
    .uses_dynamic_stack: false
    .vgpr_count:     0
    .vgpr_spill_count: 0
    .wavefront_size: 64
  - .args:
      - .offset:         0
        .size:           88
        .value_kind:     by_value
    .group_segment_fixed_size: 0
    .kernarg_segment_align: 8
    .kernarg_segment_size: 88
    .language:       OpenCL C
    .language_version:
      - 2
      - 0
    .max_flat_workgroup_size: 256
    .name:           _ZN7rocprim17ROCPRIM_400000_NS6detail17trampoline_kernelINS0_14default_configENS1_36segmented_radix_sort_config_selectorIalEEZNS1_25segmented_radix_sort_implIS3_Lb0EPKaPaPKlPlN2at6native12_GLOBAL__N_18offset_tEEE10hipError_tPvRmT1_PNSt15iterator_traitsISK_E10value_typeET2_T3_PNSL_ISQ_E10value_typeET4_jRbjT5_SW_jjP12ihipStream_tbEUlT_E0_NS1_11comp_targetILNS1_3genE9ELNS1_11target_archE1100ELNS1_3gpuE3ELNS1_3repE0EEENS1_60segmented_radix_sort_warp_sort_medium_config_static_selectorELNS0_4arch9wavefront6targetE1EEEvSK_
    .private_segment_fixed_size: 0
    .sgpr_count:     4
    .sgpr_spill_count: 0
    .symbol:         _ZN7rocprim17ROCPRIM_400000_NS6detail17trampoline_kernelINS0_14default_configENS1_36segmented_radix_sort_config_selectorIalEEZNS1_25segmented_radix_sort_implIS3_Lb0EPKaPaPKlPlN2at6native12_GLOBAL__N_18offset_tEEE10hipError_tPvRmT1_PNSt15iterator_traitsISK_E10value_typeET2_T3_PNSL_ISQ_E10value_typeET4_jRbjT5_SW_jjP12ihipStream_tbEUlT_E0_NS1_11comp_targetILNS1_3genE9ELNS1_11target_archE1100ELNS1_3gpuE3ELNS1_3repE0EEENS1_60segmented_radix_sort_warp_sort_medium_config_static_selectorELNS0_4arch9wavefront6targetE1EEEvSK_.kd
    .uniform_work_group_size: 1
    .uses_dynamic_stack: false
    .vgpr_count:     0
    .vgpr_spill_count: 0
    .wavefront_size: 64
  - .args:
      - .offset:         0
        .size:           88
        .value_kind:     by_value
    .group_segment_fixed_size: 0
    .kernarg_segment_align: 8
    .kernarg_segment_size: 88
    .language:       OpenCL C
    .language_version:
      - 2
      - 0
    .max_flat_workgroup_size: 256
    .name:           _ZN7rocprim17ROCPRIM_400000_NS6detail17trampoline_kernelINS0_14default_configENS1_36segmented_radix_sort_config_selectorIalEEZNS1_25segmented_radix_sort_implIS3_Lb0EPKaPaPKlPlN2at6native12_GLOBAL__N_18offset_tEEE10hipError_tPvRmT1_PNSt15iterator_traitsISK_E10value_typeET2_T3_PNSL_ISQ_E10value_typeET4_jRbjT5_SW_jjP12ihipStream_tbEUlT_E0_NS1_11comp_targetILNS1_3genE8ELNS1_11target_archE1030ELNS1_3gpuE2ELNS1_3repE0EEENS1_60segmented_radix_sort_warp_sort_medium_config_static_selectorELNS0_4arch9wavefront6targetE1EEEvSK_
    .private_segment_fixed_size: 0
    .sgpr_count:     4
    .sgpr_spill_count: 0
    .symbol:         _ZN7rocprim17ROCPRIM_400000_NS6detail17trampoline_kernelINS0_14default_configENS1_36segmented_radix_sort_config_selectorIalEEZNS1_25segmented_radix_sort_implIS3_Lb0EPKaPaPKlPlN2at6native12_GLOBAL__N_18offset_tEEE10hipError_tPvRmT1_PNSt15iterator_traitsISK_E10value_typeET2_T3_PNSL_ISQ_E10value_typeET4_jRbjT5_SW_jjP12ihipStream_tbEUlT_E0_NS1_11comp_targetILNS1_3genE8ELNS1_11target_archE1030ELNS1_3gpuE2ELNS1_3repE0EEENS1_60segmented_radix_sort_warp_sort_medium_config_static_selectorELNS0_4arch9wavefront6targetE1EEEvSK_.kd
    .uniform_work_group_size: 1
    .uses_dynamic_stack: false
    .vgpr_count:     0
    .vgpr_spill_count: 0
    .wavefront_size: 64
  - .args:
      - .offset:         0
        .size:           88
        .value_kind:     by_value
    .group_segment_fixed_size: 0
    .kernarg_segment_align: 8
    .kernarg_segment_size: 88
    .language:       OpenCL C
    .language_version:
      - 2
      - 0
    .max_flat_workgroup_size: 256
    .name:           _ZN7rocprim17ROCPRIM_400000_NS6detail17trampoline_kernelINS0_14default_configENS1_36segmented_radix_sort_config_selectorIalEEZNS1_25segmented_radix_sort_implIS3_Lb0EPKaPaPKlPlN2at6native12_GLOBAL__N_18offset_tEEE10hipError_tPvRmT1_PNSt15iterator_traitsISK_E10value_typeET2_T3_PNSL_ISQ_E10value_typeET4_jRbjT5_SW_jjP12ihipStream_tbEUlT_E1_NS1_11comp_targetILNS1_3genE0ELNS1_11target_archE4294967295ELNS1_3gpuE0ELNS1_3repE0EEENS1_59segmented_radix_sort_warp_sort_small_config_static_selectorELNS0_4arch9wavefront6targetE1EEEvSK_
    .private_segment_fixed_size: 0
    .sgpr_count:     4
    .sgpr_spill_count: 0
    .symbol:         _ZN7rocprim17ROCPRIM_400000_NS6detail17trampoline_kernelINS0_14default_configENS1_36segmented_radix_sort_config_selectorIalEEZNS1_25segmented_radix_sort_implIS3_Lb0EPKaPaPKlPlN2at6native12_GLOBAL__N_18offset_tEEE10hipError_tPvRmT1_PNSt15iterator_traitsISK_E10value_typeET2_T3_PNSL_ISQ_E10value_typeET4_jRbjT5_SW_jjP12ihipStream_tbEUlT_E1_NS1_11comp_targetILNS1_3genE0ELNS1_11target_archE4294967295ELNS1_3gpuE0ELNS1_3repE0EEENS1_59segmented_radix_sort_warp_sort_small_config_static_selectorELNS0_4arch9wavefront6targetE1EEEvSK_.kd
    .uniform_work_group_size: 1
    .uses_dynamic_stack: false
    .vgpr_count:     0
    .vgpr_spill_count: 0
    .wavefront_size: 64
  - .args:
      - .offset:         0
        .size:           88
        .value_kind:     by_value
    .group_segment_fixed_size: 0
    .kernarg_segment_align: 8
    .kernarg_segment_size: 88
    .language:       OpenCL C
    .language_version:
      - 2
      - 0
    .max_flat_workgroup_size: 256
    .name:           _ZN7rocprim17ROCPRIM_400000_NS6detail17trampoline_kernelINS0_14default_configENS1_36segmented_radix_sort_config_selectorIalEEZNS1_25segmented_radix_sort_implIS3_Lb0EPKaPaPKlPlN2at6native12_GLOBAL__N_18offset_tEEE10hipError_tPvRmT1_PNSt15iterator_traitsISK_E10value_typeET2_T3_PNSL_ISQ_E10value_typeET4_jRbjT5_SW_jjP12ihipStream_tbEUlT_E1_NS1_11comp_targetILNS1_3genE5ELNS1_11target_archE942ELNS1_3gpuE9ELNS1_3repE0EEENS1_59segmented_radix_sort_warp_sort_small_config_static_selectorELNS0_4arch9wavefront6targetE1EEEvSK_
    .private_segment_fixed_size: 0
    .sgpr_count:     4
    .sgpr_spill_count: 0
    .symbol:         _ZN7rocprim17ROCPRIM_400000_NS6detail17trampoline_kernelINS0_14default_configENS1_36segmented_radix_sort_config_selectorIalEEZNS1_25segmented_radix_sort_implIS3_Lb0EPKaPaPKlPlN2at6native12_GLOBAL__N_18offset_tEEE10hipError_tPvRmT1_PNSt15iterator_traitsISK_E10value_typeET2_T3_PNSL_ISQ_E10value_typeET4_jRbjT5_SW_jjP12ihipStream_tbEUlT_E1_NS1_11comp_targetILNS1_3genE5ELNS1_11target_archE942ELNS1_3gpuE9ELNS1_3repE0EEENS1_59segmented_radix_sort_warp_sort_small_config_static_selectorELNS0_4arch9wavefront6targetE1EEEvSK_.kd
    .uniform_work_group_size: 1
    .uses_dynamic_stack: false
    .vgpr_count:     0
    .vgpr_spill_count: 0
    .wavefront_size: 64
  - .args:
      - .offset:         0
        .size:           88
        .value_kind:     by_value
    .group_segment_fixed_size: 0
    .kernarg_segment_align: 8
    .kernarg_segment_size: 88
    .language:       OpenCL C
    .language_version:
      - 2
      - 0
    .max_flat_workgroup_size: 256
    .name:           _ZN7rocprim17ROCPRIM_400000_NS6detail17trampoline_kernelINS0_14default_configENS1_36segmented_radix_sort_config_selectorIalEEZNS1_25segmented_radix_sort_implIS3_Lb0EPKaPaPKlPlN2at6native12_GLOBAL__N_18offset_tEEE10hipError_tPvRmT1_PNSt15iterator_traitsISK_E10value_typeET2_T3_PNSL_ISQ_E10value_typeET4_jRbjT5_SW_jjP12ihipStream_tbEUlT_E1_NS1_11comp_targetILNS1_3genE4ELNS1_11target_archE910ELNS1_3gpuE8ELNS1_3repE0EEENS1_59segmented_radix_sort_warp_sort_small_config_static_selectorELNS0_4arch9wavefront6targetE1EEEvSK_
    .private_segment_fixed_size: 0
    .sgpr_count:     4
    .sgpr_spill_count: 0
    .symbol:         _ZN7rocprim17ROCPRIM_400000_NS6detail17trampoline_kernelINS0_14default_configENS1_36segmented_radix_sort_config_selectorIalEEZNS1_25segmented_radix_sort_implIS3_Lb0EPKaPaPKlPlN2at6native12_GLOBAL__N_18offset_tEEE10hipError_tPvRmT1_PNSt15iterator_traitsISK_E10value_typeET2_T3_PNSL_ISQ_E10value_typeET4_jRbjT5_SW_jjP12ihipStream_tbEUlT_E1_NS1_11comp_targetILNS1_3genE4ELNS1_11target_archE910ELNS1_3gpuE8ELNS1_3repE0EEENS1_59segmented_radix_sort_warp_sort_small_config_static_selectorELNS0_4arch9wavefront6targetE1EEEvSK_.kd
    .uniform_work_group_size: 1
    .uses_dynamic_stack: false
    .vgpr_count:     0
    .vgpr_spill_count: 0
    .wavefront_size: 64
  - .args:
      - .offset:         0
        .size:           88
        .value_kind:     by_value
    .group_segment_fixed_size: 0
    .kernarg_segment_align: 8
    .kernarg_segment_size: 88
    .language:       OpenCL C
    .language_version:
      - 2
      - 0
    .max_flat_workgroup_size: 256
    .name:           _ZN7rocprim17ROCPRIM_400000_NS6detail17trampoline_kernelINS0_14default_configENS1_36segmented_radix_sort_config_selectorIalEEZNS1_25segmented_radix_sort_implIS3_Lb0EPKaPaPKlPlN2at6native12_GLOBAL__N_18offset_tEEE10hipError_tPvRmT1_PNSt15iterator_traitsISK_E10value_typeET2_T3_PNSL_ISQ_E10value_typeET4_jRbjT5_SW_jjP12ihipStream_tbEUlT_E1_NS1_11comp_targetILNS1_3genE3ELNS1_11target_archE908ELNS1_3gpuE7ELNS1_3repE0EEENS1_59segmented_radix_sort_warp_sort_small_config_static_selectorELNS0_4arch9wavefront6targetE1EEEvSK_
    .private_segment_fixed_size: 0
    .sgpr_count:     4
    .sgpr_spill_count: 0
    .symbol:         _ZN7rocprim17ROCPRIM_400000_NS6detail17trampoline_kernelINS0_14default_configENS1_36segmented_radix_sort_config_selectorIalEEZNS1_25segmented_radix_sort_implIS3_Lb0EPKaPaPKlPlN2at6native12_GLOBAL__N_18offset_tEEE10hipError_tPvRmT1_PNSt15iterator_traitsISK_E10value_typeET2_T3_PNSL_ISQ_E10value_typeET4_jRbjT5_SW_jjP12ihipStream_tbEUlT_E1_NS1_11comp_targetILNS1_3genE3ELNS1_11target_archE908ELNS1_3gpuE7ELNS1_3repE0EEENS1_59segmented_radix_sort_warp_sort_small_config_static_selectorELNS0_4arch9wavefront6targetE1EEEvSK_.kd
    .uniform_work_group_size: 1
    .uses_dynamic_stack: false
    .vgpr_count:     0
    .vgpr_spill_count: 0
    .wavefront_size: 64
  - .args:
      - .offset:         0
        .size:           88
        .value_kind:     by_value
      - .offset:         88
        .size:           4
        .value_kind:     hidden_block_count_x
      - .offset:         92
        .size:           4
        .value_kind:     hidden_block_count_y
      - .offset:         96
        .size:           4
        .value_kind:     hidden_block_count_z
      - .offset:         100
        .size:           2
        .value_kind:     hidden_group_size_x
      - .offset:         102
        .size:           2
        .value_kind:     hidden_group_size_y
      - .offset:         104
        .size:           2
        .value_kind:     hidden_group_size_z
      - .offset:         106
        .size:           2
        .value_kind:     hidden_remainder_x
      - .offset:         108
        .size:           2
        .value_kind:     hidden_remainder_y
      - .offset:         110
        .size:           2
        .value_kind:     hidden_remainder_z
      - .offset:         128
        .size:           8
        .value_kind:     hidden_global_offset_x
      - .offset:         136
        .size:           8
        .value_kind:     hidden_global_offset_y
      - .offset:         144
        .size:           8
        .value_kind:     hidden_global_offset_z
      - .offset:         152
        .size:           2
        .value_kind:     hidden_grid_dims
    .group_segment_fixed_size: 9216
    .kernarg_segment_align: 8
    .kernarg_segment_size: 344
    .language:       OpenCL C
    .language_version:
      - 2
      - 0
    .max_flat_workgroup_size: 256
    .name:           _ZN7rocprim17ROCPRIM_400000_NS6detail17trampoline_kernelINS0_14default_configENS1_36segmented_radix_sort_config_selectorIalEEZNS1_25segmented_radix_sort_implIS3_Lb0EPKaPaPKlPlN2at6native12_GLOBAL__N_18offset_tEEE10hipError_tPvRmT1_PNSt15iterator_traitsISK_E10value_typeET2_T3_PNSL_ISQ_E10value_typeET4_jRbjT5_SW_jjP12ihipStream_tbEUlT_E1_NS1_11comp_targetILNS1_3genE2ELNS1_11target_archE906ELNS1_3gpuE6ELNS1_3repE0EEENS1_59segmented_radix_sort_warp_sort_small_config_static_selectorELNS0_4arch9wavefront6targetE1EEEvSK_
    .private_segment_fixed_size: 0
    .sgpr_count:     52
    .sgpr_spill_count: 0
    .symbol:         _ZN7rocprim17ROCPRIM_400000_NS6detail17trampoline_kernelINS0_14default_configENS1_36segmented_radix_sort_config_selectorIalEEZNS1_25segmented_radix_sort_implIS3_Lb0EPKaPaPKlPlN2at6native12_GLOBAL__N_18offset_tEEE10hipError_tPvRmT1_PNSt15iterator_traitsISK_E10value_typeET2_T3_PNSL_ISQ_E10value_typeET4_jRbjT5_SW_jjP12ihipStream_tbEUlT_E1_NS1_11comp_targetILNS1_3genE2ELNS1_11target_archE906ELNS1_3gpuE6ELNS1_3repE0EEENS1_59segmented_radix_sort_warp_sort_small_config_static_selectorELNS0_4arch9wavefront6targetE1EEEvSK_.kd
    .uniform_work_group_size: 1
    .uses_dynamic_stack: false
    .vgpr_count:     51
    .vgpr_spill_count: 0
    .wavefront_size: 64
  - .args:
      - .offset:         0
        .size:           88
        .value_kind:     by_value
    .group_segment_fixed_size: 0
    .kernarg_segment_align: 8
    .kernarg_segment_size: 88
    .language:       OpenCL C
    .language_version:
      - 2
      - 0
    .max_flat_workgroup_size: 256
    .name:           _ZN7rocprim17ROCPRIM_400000_NS6detail17trampoline_kernelINS0_14default_configENS1_36segmented_radix_sort_config_selectorIalEEZNS1_25segmented_radix_sort_implIS3_Lb0EPKaPaPKlPlN2at6native12_GLOBAL__N_18offset_tEEE10hipError_tPvRmT1_PNSt15iterator_traitsISK_E10value_typeET2_T3_PNSL_ISQ_E10value_typeET4_jRbjT5_SW_jjP12ihipStream_tbEUlT_E1_NS1_11comp_targetILNS1_3genE10ELNS1_11target_archE1201ELNS1_3gpuE5ELNS1_3repE0EEENS1_59segmented_radix_sort_warp_sort_small_config_static_selectorELNS0_4arch9wavefront6targetE1EEEvSK_
    .private_segment_fixed_size: 0
    .sgpr_count:     4
    .sgpr_spill_count: 0
    .symbol:         _ZN7rocprim17ROCPRIM_400000_NS6detail17trampoline_kernelINS0_14default_configENS1_36segmented_radix_sort_config_selectorIalEEZNS1_25segmented_radix_sort_implIS3_Lb0EPKaPaPKlPlN2at6native12_GLOBAL__N_18offset_tEEE10hipError_tPvRmT1_PNSt15iterator_traitsISK_E10value_typeET2_T3_PNSL_ISQ_E10value_typeET4_jRbjT5_SW_jjP12ihipStream_tbEUlT_E1_NS1_11comp_targetILNS1_3genE10ELNS1_11target_archE1201ELNS1_3gpuE5ELNS1_3repE0EEENS1_59segmented_radix_sort_warp_sort_small_config_static_selectorELNS0_4arch9wavefront6targetE1EEEvSK_.kd
    .uniform_work_group_size: 1
    .uses_dynamic_stack: false
    .vgpr_count:     0
    .vgpr_spill_count: 0
    .wavefront_size: 64
  - .args:
      - .offset:         0
        .size:           88
        .value_kind:     by_value
    .group_segment_fixed_size: 0
    .kernarg_segment_align: 8
    .kernarg_segment_size: 88
    .language:       OpenCL C
    .language_version:
      - 2
      - 0
    .max_flat_workgroup_size: 256
    .name:           _ZN7rocprim17ROCPRIM_400000_NS6detail17trampoline_kernelINS0_14default_configENS1_36segmented_radix_sort_config_selectorIalEEZNS1_25segmented_radix_sort_implIS3_Lb0EPKaPaPKlPlN2at6native12_GLOBAL__N_18offset_tEEE10hipError_tPvRmT1_PNSt15iterator_traitsISK_E10value_typeET2_T3_PNSL_ISQ_E10value_typeET4_jRbjT5_SW_jjP12ihipStream_tbEUlT_E1_NS1_11comp_targetILNS1_3genE10ELNS1_11target_archE1200ELNS1_3gpuE4ELNS1_3repE0EEENS1_59segmented_radix_sort_warp_sort_small_config_static_selectorELNS0_4arch9wavefront6targetE1EEEvSK_
    .private_segment_fixed_size: 0
    .sgpr_count:     4
    .sgpr_spill_count: 0
    .symbol:         _ZN7rocprim17ROCPRIM_400000_NS6detail17trampoline_kernelINS0_14default_configENS1_36segmented_radix_sort_config_selectorIalEEZNS1_25segmented_radix_sort_implIS3_Lb0EPKaPaPKlPlN2at6native12_GLOBAL__N_18offset_tEEE10hipError_tPvRmT1_PNSt15iterator_traitsISK_E10value_typeET2_T3_PNSL_ISQ_E10value_typeET4_jRbjT5_SW_jjP12ihipStream_tbEUlT_E1_NS1_11comp_targetILNS1_3genE10ELNS1_11target_archE1200ELNS1_3gpuE4ELNS1_3repE0EEENS1_59segmented_radix_sort_warp_sort_small_config_static_selectorELNS0_4arch9wavefront6targetE1EEEvSK_.kd
    .uniform_work_group_size: 1
    .uses_dynamic_stack: false
    .vgpr_count:     0
    .vgpr_spill_count: 0
    .wavefront_size: 64
  - .args:
      - .offset:         0
        .size:           88
        .value_kind:     by_value
    .group_segment_fixed_size: 0
    .kernarg_segment_align: 8
    .kernarg_segment_size: 88
    .language:       OpenCL C
    .language_version:
      - 2
      - 0
    .max_flat_workgroup_size: 256
    .name:           _ZN7rocprim17ROCPRIM_400000_NS6detail17trampoline_kernelINS0_14default_configENS1_36segmented_radix_sort_config_selectorIalEEZNS1_25segmented_radix_sort_implIS3_Lb0EPKaPaPKlPlN2at6native12_GLOBAL__N_18offset_tEEE10hipError_tPvRmT1_PNSt15iterator_traitsISK_E10value_typeET2_T3_PNSL_ISQ_E10value_typeET4_jRbjT5_SW_jjP12ihipStream_tbEUlT_E1_NS1_11comp_targetILNS1_3genE9ELNS1_11target_archE1100ELNS1_3gpuE3ELNS1_3repE0EEENS1_59segmented_radix_sort_warp_sort_small_config_static_selectorELNS0_4arch9wavefront6targetE1EEEvSK_
    .private_segment_fixed_size: 0
    .sgpr_count:     4
    .sgpr_spill_count: 0
    .symbol:         _ZN7rocprim17ROCPRIM_400000_NS6detail17trampoline_kernelINS0_14default_configENS1_36segmented_radix_sort_config_selectorIalEEZNS1_25segmented_radix_sort_implIS3_Lb0EPKaPaPKlPlN2at6native12_GLOBAL__N_18offset_tEEE10hipError_tPvRmT1_PNSt15iterator_traitsISK_E10value_typeET2_T3_PNSL_ISQ_E10value_typeET4_jRbjT5_SW_jjP12ihipStream_tbEUlT_E1_NS1_11comp_targetILNS1_3genE9ELNS1_11target_archE1100ELNS1_3gpuE3ELNS1_3repE0EEENS1_59segmented_radix_sort_warp_sort_small_config_static_selectorELNS0_4arch9wavefront6targetE1EEEvSK_.kd
    .uniform_work_group_size: 1
    .uses_dynamic_stack: false
    .vgpr_count:     0
    .vgpr_spill_count: 0
    .wavefront_size: 64
  - .args:
      - .offset:         0
        .size:           88
        .value_kind:     by_value
    .group_segment_fixed_size: 0
    .kernarg_segment_align: 8
    .kernarg_segment_size: 88
    .language:       OpenCL C
    .language_version:
      - 2
      - 0
    .max_flat_workgroup_size: 256
    .name:           _ZN7rocprim17ROCPRIM_400000_NS6detail17trampoline_kernelINS0_14default_configENS1_36segmented_radix_sort_config_selectorIalEEZNS1_25segmented_radix_sort_implIS3_Lb0EPKaPaPKlPlN2at6native12_GLOBAL__N_18offset_tEEE10hipError_tPvRmT1_PNSt15iterator_traitsISK_E10value_typeET2_T3_PNSL_ISQ_E10value_typeET4_jRbjT5_SW_jjP12ihipStream_tbEUlT_E1_NS1_11comp_targetILNS1_3genE8ELNS1_11target_archE1030ELNS1_3gpuE2ELNS1_3repE0EEENS1_59segmented_radix_sort_warp_sort_small_config_static_selectorELNS0_4arch9wavefront6targetE1EEEvSK_
    .private_segment_fixed_size: 0
    .sgpr_count:     4
    .sgpr_spill_count: 0
    .symbol:         _ZN7rocprim17ROCPRIM_400000_NS6detail17trampoline_kernelINS0_14default_configENS1_36segmented_radix_sort_config_selectorIalEEZNS1_25segmented_radix_sort_implIS3_Lb0EPKaPaPKlPlN2at6native12_GLOBAL__N_18offset_tEEE10hipError_tPvRmT1_PNSt15iterator_traitsISK_E10value_typeET2_T3_PNSL_ISQ_E10value_typeET4_jRbjT5_SW_jjP12ihipStream_tbEUlT_E1_NS1_11comp_targetILNS1_3genE8ELNS1_11target_archE1030ELNS1_3gpuE2ELNS1_3repE0EEENS1_59segmented_radix_sort_warp_sort_small_config_static_selectorELNS0_4arch9wavefront6targetE1EEEvSK_.kd
    .uniform_work_group_size: 1
    .uses_dynamic_stack: false
    .vgpr_count:     0
    .vgpr_spill_count: 0
    .wavefront_size: 64
  - .args:
      - .offset:         0
        .size:           80
        .value_kind:     by_value
    .group_segment_fixed_size: 0
    .kernarg_segment_align: 8
    .kernarg_segment_size: 80
    .language:       OpenCL C
    .language_version:
      - 2
      - 0
    .max_flat_workgroup_size: 256
    .name:           _ZN7rocprim17ROCPRIM_400000_NS6detail17trampoline_kernelINS0_14default_configENS1_36segmented_radix_sort_config_selectorIalEEZNS1_25segmented_radix_sort_implIS3_Lb0EPKaPaPKlPlN2at6native12_GLOBAL__N_18offset_tEEE10hipError_tPvRmT1_PNSt15iterator_traitsISK_E10value_typeET2_T3_PNSL_ISQ_E10value_typeET4_jRbjT5_SW_jjP12ihipStream_tbEUlT_E2_NS1_11comp_targetILNS1_3genE0ELNS1_11target_archE4294967295ELNS1_3gpuE0ELNS1_3repE0EEENS1_30default_config_static_selectorELNS0_4arch9wavefront6targetE1EEEvSK_
    .private_segment_fixed_size: 0
    .sgpr_count:     4
    .sgpr_spill_count: 0
    .symbol:         _ZN7rocprim17ROCPRIM_400000_NS6detail17trampoline_kernelINS0_14default_configENS1_36segmented_radix_sort_config_selectorIalEEZNS1_25segmented_radix_sort_implIS3_Lb0EPKaPaPKlPlN2at6native12_GLOBAL__N_18offset_tEEE10hipError_tPvRmT1_PNSt15iterator_traitsISK_E10value_typeET2_T3_PNSL_ISQ_E10value_typeET4_jRbjT5_SW_jjP12ihipStream_tbEUlT_E2_NS1_11comp_targetILNS1_3genE0ELNS1_11target_archE4294967295ELNS1_3gpuE0ELNS1_3repE0EEENS1_30default_config_static_selectorELNS0_4arch9wavefront6targetE1EEEvSK_.kd
    .uniform_work_group_size: 1
    .uses_dynamic_stack: false
    .vgpr_count:     0
    .vgpr_spill_count: 0
    .wavefront_size: 64
  - .args:
      - .offset:         0
        .size:           80
        .value_kind:     by_value
    .group_segment_fixed_size: 0
    .kernarg_segment_align: 8
    .kernarg_segment_size: 80
    .language:       OpenCL C
    .language_version:
      - 2
      - 0
    .max_flat_workgroup_size: 256
    .name:           _ZN7rocprim17ROCPRIM_400000_NS6detail17trampoline_kernelINS0_14default_configENS1_36segmented_radix_sort_config_selectorIalEEZNS1_25segmented_radix_sort_implIS3_Lb0EPKaPaPKlPlN2at6native12_GLOBAL__N_18offset_tEEE10hipError_tPvRmT1_PNSt15iterator_traitsISK_E10value_typeET2_T3_PNSL_ISQ_E10value_typeET4_jRbjT5_SW_jjP12ihipStream_tbEUlT_E2_NS1_11comp_targetILNS1_3genE5ELNS1_11target_archE942ELNS1_3gpuE9ELNS1_3repE0EEENS1_30default_config_static_selectorELNS0_4arch9wavefront6targetE1EEEvSK_
    .private_segment_fixed_size: 0
    .sgpr_count:     4
    .sgpr_spill_count: 0
    .symbol:         _ZN7rocprim17ROCPRIM_400000_NS6detail17trampoline_kernelINS0_14default_configENS1_36segmented_radix_sort_config_selectorIalEEZNS1_25segmented_radix_sort_implIS3_Lb0EPKaPaPKlPlN2at6native12_GLOBAL__N_18offset_tEEE10hipError_tPvRmT1_PNSt15iterator_traitsISK_E10value_typeET2_T3_PNSL_ISQ_E10value_typeET4_jRbjT5_SW_jjP12ihipStream_tbEUlT_E2_NS1_11comp_targetILNS1_3genE5ELNS1_11target_archE942ELNS1_3gpuE9ELNS1_3repE0EEENS1_30default_config_static_selectorELNS0_4arch9wavefront6targetE1EEEvSK_.kd
    .uniform_work_group_size: 1
    .uses_dynamic_stack: false
    .vgpr_count:     0
    .vgpr_spill_count: 0
    .wavefront_size: 64
  - .args:
      - .offset:         0
        .size:           80
        .value_kind:     by_value
    .group_segment_fixed_size: 0
    .kernarg_segment_align: 8
    .kernarg_segment_size: 80
    .language:       OpenCL C
    .language_version:
      - 2
      - 0
    .max_flat_workgroup_size: 256
    .name:           _ZN7rocprim17ROCPRIM_400000_NS6detail17trampoline_kernelINS0_14default_configENS1_36segmented_radix_sort_config_selectorIalEEZNS1_25segmented_radix_sort_implIS3_Lb0EPKaPaPKlPlN2at6native12_GLOBAL__N_18offset_tEEE10hipError_tPvRmT1_PNSt15iterator_traitsISK_E10value_typeET2_T3_PNSL_ISQ_E10value_typeET4_jRbjT5_SW_jjP12ihipStream_tbEUlT_E2_NS1_11comp_targetILNS1_3genE4ELNS1_11target_archE910ELNS1_3gpuE8ELNS1_3repE0EEENS1_30default_config_static_selectorELNS0_4arch9wavefront6targetE1EEEvSK_
    .private_segment_fixed_size: 0
    .sgpr_count:     4
    .sgpr_spill_count: 0
    .symbol:         _ZN7rocprim17ROCPRIM_400000_NS6detail17trampoline_kernelINS0_14default_configENS1_36segmented_radix_sort_config_selectorIalEEZNS1_25segmented_radix_sort_implIS3_Lb0EPKaPaPKlPlN2at6native12_GLOBAL__N_18offset_tEEE10hipError_tPvRmT1_PNSt15iterator_traitsISK_E10value_typeET2_T3_PNSL_ISQ_E10value_typeET4_jRbjT5_SW_jjP12ihipStream_tbEUlT_E2_NS1_11comp_targetILNS1_3genE4ELNS1_11target_archE910ELNS1_3gpuE8ELNS1_3repE0EEENS1_30default_config_static_selectorELNS0_4arch9wavefront6targetE1EEEvSK_.kd
    .uniform_work_group_size: 1
    .uses_dynamic_stack: false
    .vgpr_count:     0
    .vgpr_spill_count: 0
    .wavefront_size: 64
  - .args:
      - .offset:         0
        .size:           80
        .value_kind:     by_value
    .group_segment_fixed_size: 0
    .kernarg_segment_align: 8
    .kernarg_segment_size: 80
    .language:       OpenCL C
    .language_version:
      - 2
      - 0
    .max_flat_workgroup_size: 256
    .name:           _ZN7rocprim17ROCPRIM_400000_NS6detail17trampoline_kernelINS0_14default_configENS1_36segmented_radix_sort_config_selectorIalEEZNS1_25segmented_radix_sort_implIS3_Lb0EPKaPaPKlPlN2at6native12_GLOBAL__N_18offset_tEEE10hipError_tPvRmT1_PNSt15iterator_traitsISK_E10value_typeET2_T3_PNSL_ISQ_E10value_typeET4_jRbjT5_SW_jjP12ihipStream_tbEUlT_E2_NS1_11comp_targetILNS1_3genE3ELNS1_11target_archE908ELNS1_3gpuE7ELNS1_3repE0EEENS1_30default_config_static_selectorELNS0_4arch9wavefront6targetE1EEEvSK_
    .private_segment_fixed_size: 0
    .sgpr_count:     4
    .sgpr_spill_count: 0
    .symbol:         _ZN7rocprim17ROCPRIM_400000_NS6detail17trampoline_kernelINS0_14default_configENS1_36segmented_radix_sort_config_selectorIalEEZNS1_25segmented_radix_sort_implIS3_Lb0EPKaPaPKlPlN2at6native12_GLOBAL__N_18offset_tEEE10hipError_tPvRmT1_PNSt15iterator_traitsISK_E10value_typeET2_T3_PNSL_ISQ_E10value_typeET4_jRbjT5_SW_jjP12ihipStream_tbEUlT_E2_NS1_11comp_targetILNS1_3genE3ELNS1_11target_archE908ELNS1_3gpuE7ELNS1_3repE0EEENS1_30default_config_static_selectorELNS0_4arch9wavefront6targetE1EEEvSK_.kd
    .uniform_work_group_size: 1
    .uses_dynamic_stack: false
    .vgpr_count:     0
    .vgpr_spill_count: 0
    .wavefront_size: 64
  - .args:
      - .offset:         0
        .size:           80
        .value_kind:     by_value
      - .offset:         80
        .size:           4
        .value_kind:     hidden_block_count_x
      - .offset:         84
        .size:           4
        .value_kind:     hidden_block_count_y
      - .offset:         88
        .size:           4
        .value_kind:     hidden_block_count_z
      - .offset:         92
        .size:           2
        .value_kind:     hidden_group_size_x
      - .offset:         94
        .size:           2
        .value_kind:     hidden_group_size_y
      - .offset:         96
        .size:           2
        .value_kind:     hidden_group_size_z
      - .offset:         98
        .size:           2
        .value_kind:     hidden_remainder_x
      - .offset:         100
        .size:           2
        .value_kind:     hidden_remainder_y
      - .offset:         102
        .size:           2
        .value_kind:     hidden_remainder_z
      - .offset:         120
        .size:           8
        .value_kind:     hidden_global_offset_x
      - .offset:         128
        .size:           8
        .value_kind:     hidden_global_offset_y
      - .offset:         136
        .size:           8
        .value_kind:     hidden_global_offset_z
      - .offset:         144
        .size:           2
        .value_kind:     hidden_grid_dims
    .group_segment_fixed_size: 9232
    .kernarg_segment_align: 8
    .kernarg_segment_size: 336
    .language:       OpenCL C
    .language_version:
      - 2
      - 0
    .max_flat_workgroup_size: 256
    .name:           _ZN7rocprim17ROCPRIM_400000_NS6detail17trampoline_kernelINS0_14default_configENS1_36segmented_radix_sort_config_selectorIalEEZNS1_25segmented_radix_sort_implIS3_Lb0EPKaPaPKlPlN2at6native12_GLOBAL__N_18offset_tEEE10hipError_tPvRmT1_PNSt15iterator_traitsISK_E10value_typeET2_T3_PNSL_ISQ_E10value_typeET4_jRbjT5_SW_jjP12ihipStream_tbEUlT_E2_NS1_11comp_targetILNS1_3genE2ELNS1_11target_archE906ELNS1_3gpuE6ELNS1_3repE0EEENS1_30default_config_static_selectorELNS0_4arch9wavefront6targetE1EEEvSK_
    .private_segment_fixed_size: 0
    .sgpr_count:     81
    .sgpr_spill_count: 0
    .symbol:         _ZN7rocprim17ROCPRIM_400000_NS6detail17trampoline_kernelINS0_14default_configENS1_36segmented_radix_sort_config_selectorIalEEZNS1_25segmented_radix_sort_implIS3_Lb0EPKaPaPKlPlN2at6native12_GLOBAL__N_18offset_tEEE10hipError_tPvRmT1_PNSt15iterator_traitsISK_E10value_typeET2_T3_PNSL_ISQ_E10value_typeET4_jRbjT5_SW_jjP12ihipStream_tbEUlT_E2_NS1_11comp_targetILNS1_3genE2ELNS1_11target_archE906ELNS1_3gpuE6ELNS1_3repE0EEENS1_30default_config_static_selectorELNS0_4arch9wavefront6targetE1EEEvSK_.kd
    .uniform_work_group_size: 1
    .uses_dynamic_stack: false
    .vgpr_count:     97
    .vgpr_spill_count: 0
    .wavefront_size: 64
  - .args:
      - .offset:         0
        .size:           80
        .value_kind:     by_value
    .group_segment_fixed_size: 0
    .kernarg_segment_align: 8
    .kernarg_segment_size: 80
    .language:       OpenCL C
    .language_version:
      - 2
      - 0
    .max_flat_workgroup_size: 256
    .name:           _ZN7rocprim17ROCPRIM_400000_NS6detail17trampoline_kernelINS0_14default_configENS1_36segmented_radix_sort_config_selectorIalEEZNS1_25segmented_radix_sort_implIS3_Lb0EPKaPaPKlPlN2at6native12_GLOBAL__N_18offset_tEEE10hipError_tPvRmT1_PNSt15iterator_traitsISK_E10value_typeET2_T3_PNSL_ISQ_E10value_typeET4_jRbjT5_SW_jjP12ihipStream_tbEUlT_E2_NS1_11comp_targetILNS1_3genE10ELNS1_11target_archE1201ELNS1_3gpuE5ELNS1_3repE0EEENS1_30default_config_static_selectorELNS0_4arch9wavefront6targetE1EEEvSK_
    .private_segment_fixed_size: 0
    .sgpr_count:     4
    .sgpr_spill_count: 0
    .symbol:         _ZN7rocprim17ROCPRIM_400000_NS6detail17trampoline_kernelINS0_14default_configENS1_36segmented_radix_sort_config_selectorIalEEZNS1_25segmented_radix_sort_implIS3_Lb0EPKaPaPKlPlN2at6native12_GLOBAL__N_18offset_tEEE10hipError_tPvRmT1_PNSt15iterator_traitsISK_E10value_typeET2_T3_PNSL_ISQ_E10value_typeET4_jRbjT5_SW_jjP12ihipStream_tbEUlT_E2_NS1_11comp_targetILNS1_3genE10ELNS1_11target_archE1201ELNS1_3gpuE5ELNS1_3repE0EEENS1_30default_config_static_selectorELNS0_4arch9wavefront6targetE1EEEvSK_.kd
    .uniform_work_group_size: 1
    .uses_dynamic_stack: false
    .vgpr_count:     0
    .vgpr_spill_count: 0
    .wavefront_size: 64
  - .args:
      - .offset:         0
        .size:           80
        .value_kind:     by_value
    .group_segment_fixed_size: 0
    .kernarg_segment_align: 8
    .kernarg_segment_size: 80
    .language:       OpenCL C
    .language_version:
      - 2
      - 0
    .max_flat_workgroup_size: 128
    .name:           _ZN7rocprim17ROCPRIM_400000_NS6detail17trampoline_kernelINS0_14default_configENS1_36segmented_radix_sort_config_selectorIalEEZNS1_25segmented_radix_sort_implIS3_Lb0EPKaPaPKlPlN2at6native12_GLOBAL__N_18offset_tEEE10hipError_tPvRmT1_PNSt15iterator_traitsISK_E10value_typeET2_T3_PNSL_ISQ_E10value_typeET4_jRbjT5_SW_jjP12ihipStream_tbEUlT_E2_NS1_11comp_targetILNS1_3genE10ELNS1_11target_archE1200ELNS1_3gpuE4ELNS1_3repE0EEENS1_30default_config_static_selectorELNS0_4arch9wavefront6targetE1EEEvSK_
    .private_segment_fixed_size: 0
    .sgpr_count:     4
    .sgpr_spill_count: 0
    .symbol:         _ZN7rocprim17ROCPRIM_400000_NS6detail17trampoline_kernelINS0_14default_configENS1_36segmented_radix_sort_config_selectorIalEEZNS1_25segmented_radix_sort_implIS3_Lb0EPKaPaPKlPlN2at6native12_GLOBAL__N_18offset_tEEE10hipError_tPvRmT1_PNSt15iterator_traitsISK_E10value_typeET2_T3_PNSL_ISQ_E10value_typeET4_jRbjT5_SW_jjP12ihipStream_tbEUlT_E2_NS1_11comp_targetILNS1_3genE10ELNS1_11target_archE1200ELNS1_3gpuE4ELNS1_3repE0EEENS1_30default_config_static_selectorELNS0_4arch9wavefront6targetE1EEEvSK_.kd
    .uniform_work_group_size: 1
    .uses_dynamic_stack: false
    .vgpr_count:     0
    .vgpr_spill_count: 0
    .wavefront_size: 64
  - .args:
      - .offset:         0
        .size:           80
        .value_kind:     by_value
    .group_segment_fixed_size: 0
    .kernarg_segment_align: 8
    .kernarg_segment_size: 80
    .language:       OpenCL C
    .language_version:
      - 2
      - 0
    .max_flat_workgroup_size: 256
    .name:           _ZN7rocprim17ROCPRIM_400000_NS6detail17trampoline_kernelINS0_14default_configENS1_36segmented_radix_sort_config_selectorIalEEZNS1_25segmented_radix_sort_implIS3_Lb0EPKaPaPKlPlN2at6native12_GLOBAL__N_18offset_tEEE10hipError_tPvRmT1_PNSt15iterator_traitsISK_E10value_typeET2_T3_PNSL_ISQ_E10value_typeET4_jRbjT5_SW_jjP12ihipStream_tbEUlT_E2_NS1_11comp_targetILNS1_3genE9ELNS1_11target_archE1100ELNS1_3gpuE3ELNS1_3repE0EEENS1_30default_config_static_selectorELNS0_4arch9wavefront6targetE1EEEvSK_
    .private_segment_fixed_size: 0
    .sgpr_count:     4
    .sgpr_spill_count: 0
    .symbol:         _ZN7rocprim17ROCPRIM_400000_NS6detail17trampoline_kernelINS0_14default_configENS1_36segmented_radix_sort_config_selectorIalEEZNS1_25segmented_radix_sort_implIS3_Lb0EPKaPaPKlPlN2at6native12_GLOBAL__N_18offset_tEEE10hipError_tPvRmT1_PNSt15iterator_traitsISK_E10value_typeET2_T3_PNSL_ISQ_E10value_typeET4_jRbjT5_SW_jjP12ihipStream_tbEUlT_E2_NS1_11comp_targetILNS1_3genE9ELNS1_11target_archE1100ELNS1_3gpuE3ELNS1_3repE0EEENS1_30default_config_static_selectorELNS0_4arch9wavefront6targetE1EEEvSK_.kd
    .uniform_work_group_size: 1
    .uses_dynamic_stack: false
    .vgpr_count:     0
    .vgpr_spill_count: 0
    .wavefront_size: 64
  - .args:
      - .offset:         0
        .size:           80
        .value_kind:     by_value
    .group_segment_fixed_size: 0
    .kernarg_segment_align: 8
    .kernarg_segment_size: 80
    .language:       OpenCL C
    .language_version:
      - 2
      - 0
    .max_flat_workgroup_size: 256
    .name:           _ZN7rocprim17ROCPRIM_400000_NS6detail17trampoline_kernelINS0_14default_configENS1_36segmented_radix_sort_config_selectorIalEEZNS1_25segmented_radix_sort_implIS3_Lb0EPKaPaPKlPlN2at6native12_GLOBAL__N_18offset_tEEE10hipError_tPvRmT1_PNSt15iterator_traitsISK_E10value_typeET2_T3_PNSL_ISQ_E10value_typeET4_jRbjT5_SW_jjP12ihipStream_tbEUlT_E2_NS1_11comp_targetILNS1_3genE8ELNS1_11target_archE1030ELNS1_3gpuE2ELNS1_3repE0EEENS1_30default_config_static_selectorELNS0_4arch9wavefront6targetE1EEEvSK_
    .private_segment_fixed_size: 0
    .sgpr_count:     4
    .sgpr_spill_count: 0
    .symbol:         _ZN7rocprim17ROCPRIM_400000_NS6detail17trampoline_kernelINS0_14default_configENS1_36segmented_radix_sort_config_selectorIalEEZNS1_25segmented_radix_sort_implIS3_Lb0EPKaPaPKlPlN2at6native12_GLOBAL__N_18offset_tEEE10hipError_tPvRmT1_PNSt15iterator_traitsISK_E10value_typeET2_T3_PNSL_ISQ_E10value_typeET4_jRbjT5_SW_jjP12ihipStream_tbEUlT_E2_NS1_11comp_targetILNS1_3genE8ELNS1_11target_archE1030ELNS1_3gpuE2ELNS1_3repE0EEENS1_30default_config_static_selectorELNS0_4arch9wavefront6targetE1EEEvSK_.kd
    .uniform_work_group_size: 1
    .uses_dynamic_stack: false
    .vgpr_count:     0
    .vgpr_spill_count: 0
    .wavefront_size: 64
  - .args:
      - .address_space:  global
        .offset:         0
        .size:           8
        .value_kind:     global_buffer
      - .address_space:  global
        .offset:         8
        .size:           8
        .value_kind:     global_buffer
      - .address_space:  global
        .offset:         16
        .size:           8
        .value_kind:     global_buffer
      - .address_space:  global
        .offset:         24
        .size:           8
        .value_kind:     global_buffer
      - .offset:         32
        .size:           4
        .value_kind:     by_value
      - .offset:         36
        .size:           4
        .value_kind:     by_value
      - .offset:         40
        .size:           4
        .value_kind:     hidden_block_count_x
      - .offset:         44
        .size:           4
        .value_kind:     hidden_block_count_y
      - .offset:         48
        .size:           4
        .value_kind:     hidden_block_count_z
      - .offset:         52
        .size:           2
        .value_kind:     hidden_group_size_x
      - .offset:         54
        .size:           2
        .value_kind:     hidden_group_size_y
      - .offset:         56
        .size:           2
        .value_kind:     hidden_group_size_z
      - .offset:         58
        .size:           2
        .value_kind:     hidden_remainder_x
      - .offset:         60
        .size:           2
        .value_kind:     hidden_remainder_y
      - .offset:         62
        .size:           2
        .value_kind:     hidden_remainder_z
      - .offset:         80
        .size:           8
        .value_kind:     hidden_global_offset_x
      - .offset:         88
        .size:           8
        .value_kind:     hidden_global_offset_y
      - .offset:         96
        .size:           8
        .value_kind:     hidden_global_offset_z
      - .offset:         104
        .size:           2
        .value_kind:     hidden_grid_dims
    .group_segment_fixed_size: 0
    .kernarg_segment_align: 8
    .kernarg_segment_size: 296
    .language:       OpenCL C
    .language_version:
      - 2
      - 0
    .max_flat_workgroup_size: 1024
    .name:           _ZN2at6native12_GLOBAL__N_123sort_postprocess_kernelIiEEvPKT_PS3_PlPK15HIP_vector_typeIiLj2EEii
    .private_segment_fixed_size: 0
    .sgpr_count:     23
    .sgpr_spill_count: 0
    .symbol:         _ZN2at6native12_GLOBAL__N_123sort_postprocess_kernelIiEEvPKT_PS3_PlPK15HIP_vector_typeIiLj2EEii.kd
    .uniform_work_group_size: 1
    .uses_dynamic_stack: false
    .vgpr_count:     22
    .vgpr_spill_count: 0
    .wavefront_size: 64
  - .args:
      - .offset:         0
        .size:           176
        .value_kind:     by_value
    .group_segment_fixed_size: 0
    .kernarg_segment_align: 8
    .kernarg_segment_size: 176
    .language:       OpenCL C
    .language_version:
      - 2
      - 0
    .max_flat_workgroup_size: 256
    .name:           _ZN7rocprim17ROCPRIM_400000_NS6detail17trampoline_kernelINS0_13select_configILj256ELj13ELNS0_17block_load_methodE3ELS4_3ELS4_3ELNS0_20block_scan_algorithmE0ELj4294967295EEENS1_25partition_config_selectorILNS1_17partition_subalgoE4EjNS0_10empty_typeEbEEZZNS1_14partition_implILS8_4ELb0ES6_15HIP_vector_typeIjLj2EENS0_17counting_iteratorIjlEEPS9_SG_NS0_5tupleIJPjSI_NS0_16reverse_iteratorISI_EEEEENSH_IJSG_SG_SG_EEES9_SI_JZNS1_25segmented_radix_sort_implINS0_14default_configELb1EPKiPiPKlPlN2at6native12_GLOBAL__N_18offset_tEEE10hipError_tPvRmT1_PNSt15iterator_traitsIS12_E10value_typeET2_T3_PNS13_IS18_E10value_typeET4_jRbjT5_S1E_jjP12ihipStream_tbEUljE_ZNSN_ISO_Lb1ESQ_SR_ST_SU_SY_EESZ_S10_S11_S12_S16_S17_S18_S1B_S1C_jS1D_jS1E_S1E_jjS1G_bEUljE0_EEESZ_S10_S11_S18_S1C_S1E_T6_T7_T9_mT8_S1G_bDpT10_ENKUlT_T0_E_clISt17integral_constantIbLb0EES1U_EEDaS1P_S1Q_EUlS1P_E_NS1_11comp_targetILNS1_3genE0ELNS1_11target_archE4294967295ELNS1_3gpuE0ELNS1_3repE0EEENS1_30default_config_static_selectorELNS0_4arch9wavefront6targetE1EEEvS12_
    .private_segment_fixed_size: 0
    .sgpr_count:     4
    .sgpr_spill_count: 0
    .symbol:         _ZN7rocprim17ROCPRIM_400000_NS6detail17trampoline_kernelINS0_13select_configILj256ELj13ELNS0_17block_load_methodE3ELS4_3ELS4_3ELNS0_20block_scan_algorithmE0ELj4294967295EEENS1_25partition_config_selectorILNS1_17partition_subalgoE4EjNS0_10empty_typeEbEEZZNS1_14partition_implILS8_4ELb0ES6_15HIP_vector_typeIjLj2EENS0_17counting_iteratorIjlEEPS9_SG_NS0_5tupleIJPjSI_NS0_16reverse_iteratorISI_EEEEENSH_IJSG_SG_SG_EEES9_SI_JZNS1_25segmented_radix_sort_implINS0_14default_configELb1EPKiPiPKlPlN2at6native12_GLOBAL__N_18offset_tEEE10hipError_tPvRmT1_PNSt15iterator_traitsIS12_E10value_typeET2_T3_PNS13_IS18_E10value_typeET4_jRbjT5_S1E_jjP12ihipStream_tbEUljE_ZNSN_ISO_Lb1ESQ_SR_ST_SU_SY_EESZ_S10_S11_S12_S16_S17_S18_S1B_S1C_jS1D_jS1E_S1E_jjS1G_bEUljE0_EEESZ_S10_S11_S18_S1C_S1E_T6_T7_T9_mT8_S1G_bDpT10_ENKUlT_T0_E_clISt17integral_constantIbLb0EES1U_EEDaS1P_S1Q_EUlS1P_E_NS1_11comp_targetILNS1_3genE0ELNS1_11target_archE4294967295ELNS1_3gpuE0ELNS1_3repE0EEENS1_30default_config_static_selectorELNS0_4arch9wavefront6targetE1EEEvS12_.kd
    .uniform_work_group_size: 1
    .uses_dynamic_stack: false
    .vgpr_count:     0
    .vgpr_spill_count: 0
    .wavefront_size: 64
  - .args:
      - .offset:         0
        .size:           176
        .value_kind:     by_value
    .group_segment_fixed_size: 0
    .kernarg_segment_align: 8
    .kernarg_segment_size: 176
    .language:       OpenCL C
    .language_version:
      - 2
      - 0
    .max_flat_workgroup_size: 256
    .name:           _ZN7rocprim17ROCPRIM_400000_NS6detail17trampoline_kernelINS0_13select_configILj256ELj13ELNS0_17block_load_methodE3ELS4_3ELS4_3ELNS0_20block_scan_algorithmE0ELj4294967295EEENS1_25partition_config_selectorILNS1_17partition_subalgoE4EjNS0_10empty_typeEbEEZZNS1_14partition_implILS8_4ELb0ES6_15HIP_vector_typeIjLj2EENS0_17counting_iteratorIjlEEPS9_SG_NS0_5tupleIJPjSI_NS0_16reverse_iteratorISI_EEEEENSH_IJSG_SG_SG_EEES9_SI_JZNS1_25segmented_radix_sort_implINS0_14default_configELb1EPKiPiPKlPlN2at6native12_GLOBAL__N_18offset_tEEE10hipError_tPvRmT1_PNSt15iterator_traitsIS12_E10value_typeET2_T3_PNS13_IS18_E10value_typeET4_jRbjT5_S1E_jjP12ihipStream_tbEUljE_ZNSN_ISO_Lb1ESQ_SR_ST_SU_SY_EESZ_S10_S11_S12_S16_S17_S18_S1B_S1C_jS1D_jS1E_S1E_jjS1G_bEUljE0_EEESZ_S10_S11_S18_S1C_S1E_T6_T7_T9_mT8_S1G_bDpT10_ENKUlT_T0_E_clISt17integral_constantIbLb0EES1U_EEDaS1P_S1Q_EUlS1P_E_NS1_11comp_targetILNS1_3genE5ELNS1_11target_archE942ELNS1_3gpuE9ELNS1_3repE0EEENS1_30default_config_static_selectorELNS0_4arch9wavefront6targetE1EEEvS12_
    .private_segment_fixed_size: 0
    .sgpr_count:     4
    .sgpr_spill_count: 0
    .symbol:         _ZN7rocprim17ROCPRIM_400000_NS6detail17trampoline_kernelINS0_13select_configILj256ELj13ELNS0_17block_load_methodE3ELS4_3ELS4_3ELNS0_20block_scan_algorithmE0ELj4294967295EEENS1_25partition_config_selectorILNS1_17partition_subalgoE4EjNS0_10empty_typeEbEEZZNS1_14partition_implILS8_4ELb0ES6_15HIP_vector_typeIjLj2EENS0_17counting_iteratorIjlEEPS9_SG_NS0_5tupleIJPjSI_NS0_16reverse_iteratorISI_EEEEENSH_IJSG_SG_SG_EEES9_SI_JZNS1_25segmented_radix_sort_implINS0_14default_configELb1EPKiPiPKlPlN2at6native12_GLOBAL__N_18offset_tEEE10hipError_tPvRmT1_PNSt15iterator_traitsIS12_E10value_typeET2_T3_PNS13_IS18_E10value_typeET4_jRbjT5_S1E_jjP12ihipStream_tbEUljE_ZNSN_ISO_Lb1ESQ_SR_ST_SU_SY_EESZ_S10_S11_S12_S16_S17_S18_S1B_S1C_jS1D_jS1E_S1E_jjS1G_bEUljE0_EEESZ_S10_S11_S18_S1C_S1E_T6_T7_T9_mT8_S1G_bDpT10_ENKUlT_T0_E_clISt17integral_constantIbLb0EES1U_EEDaS1P_S1Q_EUlS1P_E_NS1_11comp_targetILNS1_3genE5ELNS1_11target_archE942ELNS1_3gpuE9ELNS1_3repE0EEENS1_30default_config_static_selectorELNS0_4arch9wavefront6targetE1EEEvS12_.kd
    .uniform_work_group_size: 1
    .uses_dynamic_stack: false
    .vgpr_count:     0
    .vgpr_spill_count: 0
    .wavefront_size: 64
  - .args:
      - .offset:         0
        .size:           176
        .value_kind:     by_value
    .group_segment_fixed_size: 0
    .kernarg_segment_align: 8
    .kernarg_segment_size: 176
    .language:       OpenCL C
    .language_version:
      - 2
      - 0
    .max_flat_workgroup_size: 256
    .name:           _ZN7rocprim17ROCPRIM_400000_NS6detail17trampoline_kernelINS0_13select_configILj256ELj13ELNS0_17block_load_methodE3ELS4_3ELS4_3ELNS0_20block_scan_algorithmE0ELj4294967295EEENS1_25partition_config_selectorILNS1_17partition_subalgoE4EjNS0_10empty_typeEbEEZZNS1_14partition_implILS8_4ELb0ES6_15HIP_vector_typeIjLj2EENS0_17counting_iteratorIjlEEPS9_SG_NS0_5tupleIJPjSI_NS0_16reverse_iteratorISI_EEEEENSH_IJSG_SG_SG_EEES9_SI_JZNS1_25segmented_radix_sort_implINS0_14default_configELb1EPKiPiPKlPlN2at6native12_GLOBAL__N_18offset_tEEE10hipError_tPvRmT1_PNSt15iterator_traitsIS12_E10value_typeET2_T3_PNS13_IS18_E10value_typeET4_jRbjT5_S1E_jjP12ihipStream_tbEUljE_ZNSN_ISO_Lb1ESQ_SR_ST_SU_SY_EESZ_S10_S11_S12_S16_S17_S18_S1B_S1C_jS1D_jS1E_S1E_jjS1G_bEUljE0_EEESZ_S10_S11_S18_S1C_S1E_T6_T7_T9_mT8_S1G_bDpT10_ENKUlT_T0_E_clISt17integral_constantIbLb0EES1U_EEDaS1P_S1Q_EUlS1P_E_NS1_11comp_targetILNS1_3genE4ELNS1_11target_archE910ELNS1_3gpuE8ELNS1_3repE0EEENS1_30default_config_static_selectorELNS0_4arch9wavefront6targetE1EEEvS12_
    .private_segment_fixed_size: 0
    .sgpr_count:     4
    .sgpr_spill_count: 0
    .symbol:         _ZN7rocprim17ROCPRIM_400000_NS6detail17trampoline_kernelINS0_13select_configILj256ELj13ELNS0_17block_load_methodE3ELS4_3ELS4_3ELNS0_20block_scan_algorithmE0ELj4294967295EEENS1_25partition_config_selectorILNS1_17partition_subalgoE4EjNS0_10empty_typeEbEEZZNS1_14partition_implILS8_4ELb0ES6_15HIP_vector_typeIjLj2EENS0_17counting_iteratorIjlEEPS9_SG_NS0_5tupleIJPjSI_NS0_16reverse_iteratorISI_EEEEENSH_IJSG_SG_SG_EEES9_SI_JZNS1_25segmented_radix_sort_implINS0_14default_configELb1EPKiPiPKlPlN2at6native12_GLOBAL__N_18offset_tEEE10hipError_tPvRmT1_PNSt15iterator_traitsIS12_E10value_typeET2_T3_PNS13_IS18_E10value_typeET4_jRbjT5_S1E_jjP12ihipStream_tbEUljE_ZNSN_ISO_Lb1ESQ_SR_ST_SU_SY_EESZ_S10_S11_S12_S16_S17_S18_S1B_S1C_jS1D_jS1E_S1E_jjS1G_bEUljE0_EEESZ_S10_S11_S18_S1C_S1E_T6_T7_T9_mT8_S1G_bDpT10_ENKUlT_T0_E_clISt17integral_constantIbLb0EES1U_EEDaS1P_S1Q_EUlS1P_E_NS1_11comp_targetILNS1_3genE4ELNS1_11target_archE910ELNS1_3gpuE8ELNS1_3repE0EEENS1_30default_config_static_selectorELNS0_4arch9wavefront6targetE1EEEvS12_.kd
    .uniform_work_group_size: 1
    .uses_dynamic_stack: false
    .vgpr_count:     0
    .vgpr_spill_count: 0
    .wavefront_size: 64
  - .args:
      - .offset:         0
        .size:           176
        .value_kind:     by_value
    .group_segment_fixed_size: 0
    .kernarg_segment_align: 8
    .kernarg_segment_size: 176
    .language:       OpenCL C
    .language_version:
      - 2
      - 0
    .max_flat_workgroup_size: 256
    .name:           _ZN7rocprim17ROCPRIM_400000_NS6detail17trampoline_kernelINS0_13select_configILj256ELj13ELNS0_17block_load_methodE3ELS4_3ELS4_3ELNS0_20block_scan_algorithmE0ELj4294967295EEENS1_25partition_config_selectorILNS1_17partition_subalgoE4EjNS0_10empty_typeEbEEZZNS1_14partition_implILS8_4ELb0ES6_15HIP_vector_typeIjLj2EENS0_17counting_iteratorIjlEEPS9_SG_NS0_5tupleIJPjSI_NS0_16reverse_iteratorISI_EEEEENSH_IJSG_SG_SG_EEES9_SI_JZNS1_25segmented_radix_sort_implINS0_14default_configELb1EPKiPiPKlPlN2at6native12_GLOBAL__N_18offset_tEEE10hipError_tPvRmT1_PNSt15iterator_traitsIS12_E10value_typeET2_T3_PNS13_IS18_E10value_typeET4_jRbjT5_S1E_jjP12ihipStream_tbEUljE_ZNSN_ISO_Lb1ESQ_SR_ST_SU_SY_EESZ_S10_S11_S12_S16_S17_S18_S1B_S1C_jS1D_jS1E_S1E_jjS1G_bEUljE0_EEESZ_S10_S11_S18_S1C_S1E_T6_T7_T9_mT8_S1G_bDpT10_ENKUlT_T0_E_clISt17integral_constantIbLb0EES1U_EEDaS1P_S1Q_EUlS1P_E_NS1_11comp_targetILNS1_3genE3ELNS1_11target_archE908ELNS1_3gpuE7ELNS1_3repE0EEENS1_30default_config_static_selectorELNS0_4arch9wavefront6targetE1EEEvS12_
    .private_segment_fixed_size: 0
    .sgpr_count:     4
    .sgpr_spill_count: 0
    .symbol:         _ZN7rocprim17ROCPRIM_400000_NS6detail17trampoline_kernelINS0_13select_configILj256ELj13ELNS0_17block_load_methodE3ELS4_3ELS4_3ELNS0_20block_scan_algorithmE0ELj4294967295EEENS1_25partition_config_selectorILNS1_17partition_subalgoE4EjNS0_10empty_typeEbEEZZNS1_14partition_implILS8_4ELb0ES6_15HIP_vector_typeIjLj2EENS0_17counting_iteratorIjlEEPS9_SG_NS0_5tupleIJPjSI_NS0_16reverse_iteratorISI_EEEEENSH_IJSG_SG_SG_EEES9_SI_JZNS1_25segmented_radix_sort_implINS0_14default_configELb1EPKiPiPKlPlN2at6native12_GLOBAL__N_18offset_tEEE10hipError_tPvRmT1_PNSt15iterator_traitsIS12_E10value_typeET2_T3_PNS13_IS18_E10value_typeET4_jRbjT5_S1E_jjP12ihipStream_tbEUljE_ZNSN_ISO_Lb1ESQ_SR_ST_SU_SY_EESZ_S10_S11_S12_S16_S17_S18_S1B_S1C_jS1D_jS1E_S1E_jjS1G_bEUljE0_EEESZ_S10_S11_S18_S1C_S1E_T6_T7_T9_mT8_S1G_bDpT10_ENKUlT_T0_E_clISt17integral_constantIbLb0EES1U_EEDaS1P_S1Q_EUlS1P_E_NS1_11comp_targetILNS1_3genE3ELNS1_11target_archE908ELNS1_3gpuE7ELNS1_3repE0EEENS1_30default_config_static_selectorELNS0_4arch9wavefront6targetE1EEEvS12_.kd
    .uniform_work_group_size: 1
    .uses_dynamic_stack: false
    .vgpr_count:     0
    .vgpr_spill_count: 0
    .wavefront_size: 64
  - .args:
      - .offset:         0
        .size:           176
        .value_kind:     by_value
    .group_segment_fixed_size: 13328
    .kernarg_segment_align: 8
    .kernarg_segment_size: 176
    .language:       OpenCL C
    .language_version:
      - 2
      - 0
    .max_flat_workgroup_size: 256
    .name:           _ZN7rocprim17ROCPRIM_400000_NS6detail17trampoline_kernelINS0_13select_configILj256ELj13ELNS0_17block_load_methodE3ELS4_3ELS4_3ELNS0_20block_scan_algorithmE0ELj4294967295EEENS1_25partition_config_selectorILNS1_17partition_subalgoE4EjNS0_10empty_typeEbEEZZNS1_14partition_implILS8_4ELb0ES6_15HIP_vector_typeIjLj2EENS0_17counting_iteratorIjlEEPS9_SG_NS0_5tupleIJPjSI_NS0_16reverse_iteratorISI_EEEEENSH_IJSG_SG_SG_EEES9_SI_JZNS1_25segmented_radix_sort_implINS0_14default_configELb1EPKiPiPKlPlN2at6native12_GLOBAL__N_18offset_tEEE10hipError_tPvRmT1_PNSt15iterator_traitsIS12_E10value_typeET2_T3_PNS13_IS18_E10value_typeET4_jRbjT5_S1E_jjP12ihipStream_tbEUljE_ZNSN_ISO_Lb1ESQ_SR_ST_SU_SY_EESZ_S10_S11_S12_S16_S17_S18_S1B_S1C_jS1D_jS1E_S1E_jjS1G_bEUljE0_EEESZ_S10_S11_S18_S1C_S1E_T6_T7_T9_mT8_S1G_bDpT10_ENKUlT_T0_E_clISt17integral_constantIbLb0EES1U_EEDaS1P_S1Q_EUlS1P_E_NS1_11comp_targetILNS1_3genE2ELNS1_11target_archE906ELNS1_3gpuE6ELNS1_3repE0EEENS1_30default_config_static_selectorELNS0_4arch9wavefront6targetE1EEEvS12_
    .private_segment_fixed_size: 0
    .sgpr_count:     94
    .sgpr_spill_count: 0
    .symbol:         _ZN7rocprim17ROCPRIM_400000_NS6detail17trampoline_kernelINS0_13select_configILj256ELj13ELNS0_17block_load_methodE3ELS4_3ELS4_3ELNS0_20block_scan_algorithmE0ELj4294967295EEENS1_25partition_config_selectorILNS1_17partition_subalgoE4EjNS0_10empty_typeEbEEZZNS1_14partition_implILS8_4ELb0ES6_15HIP_vector_typeIjLj2EENS0_17counting_iteratorIjlEEPS9_SG_NS0_5tupleIJPjSI_NS0_16reverse_iteratorISI_EEEEENSH_IJSG_SG_SG_EEES9_SI_JZNS1_25segmented_radix_sort_implINS0_14default_configELb1EPKiPiPKlPlN2at6native12_GLOBAL__N_18offset_tEEE10hipError_tPvRmT1_PNSt15iterator_traitsIS12_E10value_typeET2_T3_PNS13_IS18_E10value_typeET4_jRbjT5_S1E_jjP12ihipStream_tbEUljE_ZNSN_ISO_Lb1ESQ_SR_ST_SU_SY_EESZ_S10_S11_S12_S16_S17_S18_S1B_S1C_jS1D_jS1E_S1E_jjS1G_bEUljE0_EEESZ_S10_S11_S18_S1C_S1E_T6_T7_T9_mT8_S1G_bDpT10_ENKUlT_T0_E_clISt17integral_constantIbLb0EES1U_EEDaS1P_S1Q_EUlS1P_E_NS1_11comp_targetILNS1_3genE2ELNS1_11target_archE906ELNS1_3gpuE6ELNS1_3repE0EEENS1_30default_config_static_selectorELNS0_4arch9wavefront6targetE1EEEvS12_.kd
    .uniform_work_group_size: 1
    .uses_dynamic_stack: false
    .vgpr_count:     86
    .vgpr_spill_count: 0
    .wavefront_size: 64
  - .args:
      - .offset:         0
        .size:           176
        .value_kind:     by_value
    .group_segment_fixed_size: 0
    .kernarg_segment_align: 8
    .kernarg_segment_size: 176
    .language:       OpenCL C
    .language_version:
      - 2
      - 0
    .max_flat_workgroup_size: 256
    .name:           _ZN7rocprim17ROCPRIM_400000_NS6detail17trampoline_kernelINS0_13select_configILj256ELj13ELNS0_17block_load_methodE3ELS4_3ELS4_3ELNS0_20block_scan_algorithmE0ELj4294967295EEENS1_25partition_config_selectorILNS1_17partition_subalgoE4EjNS0_10empty_typeEbEEZZNS1_14partition_implILS8_4ELb0ES6_15HIP_vector_typeIjLj2EENS0_17counting_iteratorIjlEEPS9_SG_NS0_5tupleIJPjSI_NS0_16reverse_iteratorISI_EEEEENSH_IJSG_SG_SG_EEES9_SI_JZNS1_25segmented_radix_sort_implINS0_14default_configELb1EPKiPiPKlPlN2at6native12_GLOBAL__N_18offset_tEEE10hipError_tPvRmT1_PNSt15iterator_traitsIS12_E10value_typeET2_T3_PNS13_IS18_E10value_typeET4_jRbjT5_S1E_jjP12ihipStream_tbEUljE_ZNSN_ISO_Lb1ESQ_SR_ST_SU_SY_EESZ_S10_S11_S12_S16_S17_S18_S1B_S1C_jS1D_jS1E_S1E_jjS1G_bEUljE0_EEESZ_S10_S11_S18_S1C_S1E_T6_T7_T9_mT8_S1G_bDpT10_ENKUlT_T0_E_clISt17integral_constantIbLb0EES1U_EEDaS1P_S1Q_EUlS1P_E_NS1_11comp_targetILNS1_3genE10ELNS1_11target_archE1200ELNS1_3gpuE4ELNS1_3repE0EEENS1_30default_config_static_selectorELNS0_4arch9wavefront6targetE1EEEvS12_
    .private_segment_fixed_size: 0
    .sgpr_count:     4
    .sgpr_spill_count: 0
    .symbol:         _ZN7rocprim17ROCPRIM_400000_NS6detail17trampoline_kernelINS0_13select_configILj256ELj13ELNS0_17block_load_methodE3ELS4_3ELS4_3ELNS0_20block_scan_algorithmE0ELj4294967295EEENS1_25partition_config_selectorILNS1_17partition_subalgoE4EjNS0_10empty_typeEbEEZZNS1_14partition_implILS8_4ELb0ES6_15HIP_vector_typeIjLj2EENS0_17counting_iteratorIjlEEPS9_SG_NS0_5tupleIJPjSI_NS0_16reverse_iteratorISI_EEEEENSH_IJSG_SG_SG_EEES9_SI_JZNS1_25segmented_radix_sort_implINS0_14default_configELb1EPKiPiPKlPlN2at6native12_GLOBAL__N_18offset_tEEE10hipError_tPvRmT1_PNSt15iterator_traitsIS12_E10value_typeET2_T3_PNS13_IS18_E10value_typeET4_jRbjT5_S1E_jjP12ihipStream_tbEUljE_ZNSN_ISO_Lb1ESQ_SR_ST_SU_SY_EESZ_S10_S11_S12_S16_S17_S18_S1B_S1C_jS1D_jS1E_S1E_jjS1G_bEUljE0_EEESZ_S10_S11_S18_S1C_S1E_T6_T7_T9_mT8_S1G_bDpT10_ENKUlT_T0_E_clISt17integral_constantIbLb0EES1U_EEDaS1P_S1Q_EUlS1P_E_NS1_11comp_targetILNS1_3genE10ELNS1_11target_archE1200ELNS1_3gpuE4ELNS1_3repE0EEENS1_30default_config_static_selectorELNS0_4arch9wavefront6targetE1EEEvS12_.kd
    .uniform_work_group_size: 1
    .uses_dynamic_stack: false
    .vgpr_count:     0
    .vgpr_spill_count: 0
    .wavefront_size: 64
  - .args:
      - .offset:         0
        .size:           176
        .value_kind:     by_value
    .group_segment_fixed_size: 0
    .kernarg_segment_align: 8
    .kernarg_segment_size: 176
    .language:       OpenCL C
    .language_version:
      - 2
      - 0
    .max_flat_workgroup_size: 256
    .name:           _ZN7rocprim17ROCPRIM_400000_NS6detail17trampoline_kernelINS0_13select_configILj256ELj13ELNS0_17block_load_methodE3ELS4_3ELS4_3ELNS0_20block_scan_algorithmE0ELj4294967295EEENS1_25partition_config_selectorILNS1_17partition_subalgoE4EjNS0_10empty_typeEbEEZZNS1_14partition_implILS8_4ELb0ES6_15HIP_vector_typeIjLj2EENS0_17counting_iteratorIjlEEPS9_SG_NS0_5tupleIJPjSI_NS0_16reverse_iteratorISI_EEEEENSH_IJSG_SG_SG_EEES9_SI_JZNS1_25segmented_radix_sort_implINS0_14default_configELb1EPKiPiPKlPlN2at6native12_GLOBAL__N_18offset_tEEE10hipError_tPvRmT1_PNSt15iterator_traitsIS12_E10value_typeET2_T3_PNS13_IS18_E10value_typeET4_jRbjT5_S1E_jjP12ihipStream_tbEUljE_ZNSN_ISO_Lb1ESQ_SR_ST_SU_SY_EESZ_S10_S11_S12_S16_S17_S18_S1B_S1C_jS1D_jS1E_S1E_jjS1G_bEUljE0_EEESZ_S10_S11_S18_S1C_S1E_T6_T7_T9_mT8_S1G_bDpT10_ENKUlT_T0_E_clISt17integral_constantIbLb0EES1U_EEDaS1P_S1Q_EUlS1P_E_NS1_11comp_targetILNS1_3genE9ELNS1_11target_archE1100ELNS1_3gpuE3ELNS1_3repE0EEENS1_30default_config_static_selectorELNS0_4arch9wavefront6targetE1EEEvS12_
    .private_segment_fixed_size: 0
    .sgpr_count:     4
    .sgpr_spill_count: 0
    .symbol:         _ZN7rocprim17ROCPRIM_400000_NS6detail17trampoline_kernelINS0_13select_configILj256ELj13ELNS0_17block_load_methodE3ELS4_3ELS4_3ELNS0_20block_scan_algorithmE0ELj4294967295EEENS1_25partition_config_selectorILNS1_17partition_subalgoE4EjNS0_10empty_typeEbEEZZNS1_14partition_implILS8_4ELb0ES6_15HIP_vector_typeIjLj2EENS0_17counting_iteratorIjlEEPS9_SG_NS0_5tupleIJPjSI_NS0_16reverse_iteratorISI_EEEEENSH_IJSG_SG_SG_EEES9_SI_JZNS1_25segmented_radix_sort_implINS0_14default_configELb1EPKiPiPKlPlN2at6native12_GLOBAL__N_18offset_tEEE10hipError_tPvRmT1_PNSt15iterator_traitsIS12_E10value_typeET2_T3_PNS13_IS18_E10value_typeET4_jRbjT5_S1E_jjP12ihipStream_tbEUljE_ZNSN_ISO_Lb1ESQ_SR_ST_SU_SY_EESZ_S10_S11_S12_S16_S17_S18_S1B_S1C_jS1D_jS1E_S1E_jjS1G_bEUljE0_EEESZ_S10_S11_S18_S1C_S1E_T6_T7_T9_mT8_S1G_bDpT10_ENKUlT_T0_E_clISt17integral_constantIbLb0EES1U_EEDaS1P_S1Q_EUlS1P_E_NS1_11comp_targetILNS1_3genE9ELNS1_11target_archE1100ELNS1_3gpuE3ELNS1_3repE0EEENS1_30default_config_static_selectorELNS0_4arch9wavefront6targetE1EEEvS12_.kd
    .uniform_work_group_size: 1
    .uses_dynamic_stack: false
    .vgpr_count:     0
    .vgpr_spill_count: 0
    .wavefront_size: 64
  - .args:
      - .offset:         0
        .size:           176
        .value_kind:     by_value
    .group_segment_fixed_size: 0
    .kernarg_segment_align: 8
    .kernarg_segment_size: 176
    .language:       OpenCL C
    .language_version:
      - 2
      - 0
    .max_flat_workgroup_size: 256
    .name:           _ZN7rocprim17ROCPRIM_400000_NS6detail17trampoline_kernelINS0_13select_configILj256ELj13ELNS0_17block_load_methodE3ELS4_3ELS4_3ELNS0_20block_scan_algorithmE0ELj4294967295EEENS1_25partition_config_selectorILNS1_17partition_subalgoE4EjNS0_10empty_typeEbEEZZNS1_14partition_implILS8_4ELb0ES6_15HIP_vector_typeIjLj2EENS0_17counting_iteratorIjlEEPS9_SG_NS0_5tupleIJPjSI_NS0_16reverse_iteratorISI_EEEEENSH_IJSG_SG_SG_EEES9_SI_JZNS1_25segmented_radix_sort_implINS0_14default_configELb1EPKiPiPKlPlN2at6native12_GLOBAL__N_18offset_tEEE10hipError_tPvRmT1_PNSt15iterator_traitsIS12_E10value_typeET2_T3_PNS13_IS18_E10value_typeET4_jRbjT5_S1E_jjP12ihipStream_tbEUljE_ZNSN_ISO_Lb1ESQ_SR_ST_SU_SY_EESZ_S10_S11_S12_S16_S17_S18_S1B_S1C_jS1D_jS1E_S1E_jjS1G_bEUljE0_EEESZ_S10_S11_S18_S1C_S1E_T6_T7_T9_mT8_S1G_bDpT10_ENKUlT_T0_E_clISt17integral_constantIbLb0EES1U_EEDaS1P_S1Q_EUlS1P_E_NS1_11comp_targetILNS1_3genE8ELNS1_11target_archE1030ELNS1_3gpuE2ELNS1_3repE0EEENS1_30default_config_static_selectorELNS0_4arch9wavefront6targetE1EEEvS12_
    .private_segment_fixed_size: 0
    .sgpr_count:     4
    .sgpr_spill_count: 0
    .symbol:         _ZN7rocprim17ROCPRIM_400000_NS6detail17trampoline_kernelINS0_13select_configILj256ELj13ELNS0_17block_load_methodE3ELS4_3ELS4_3ELNS0_20block_scan_algorithmE0ELj4294967295EEENS1_25partition_config_selectorILNS1_17partition_subalgoE4EjNS0_10empty_typeEbEEZZNS1_14partition_implILS8_4ELb0ES6_15HIP_vector_typeIjLj2EENS0_17counting_iteratorIjlEEPS9_SG_NS0_5tupleIJPjSI_NS0_16reverse_iteratorISI_EEEEENSH_IJSG_SG_SG_EEES9_SI_JZNS1_25segmented_radix_sort_implINS0_14default_configELb1EPKiPiPKlPlN2at6native12_GLOBAL__N_18offset_tEEE10hipError_tPvRmT1_PNSt15iterator_traitsIS12_E10value_typeET2_T3_PNS13_IS18_E10value_typeET4_jRbjT5_S1E_jjP12ihipStream_tbEUljE_ZNSN_ISO_Lb1ESQ_SR_ST_SU_SY_EESZ_S10_S11_S12_S16_S17_S18_S1B_S1C_jS1D_jS1E_S1E_jjS1G_bEUljE0_EEESZ_S10_S11_S18_S1C_S1E_T6_T7_T9_mT8_S1G_bDpT10_ENKUlT_T0_E_clISt17integral_constantIbLb0EES1U_EEDaS1P_S1Q_EUlS1P_E_NS1_11comp_targetILNS1_3genE8ELNS1_11target_archE1030ELNS1_3gpuE2ELNS1_3repE0EEENS1_30default_config_static_selectorELNS0_4arch9wavefront6targetE1EEEvS12_.kd
    .uniform_work_group_size: 1
    .uses_dynamic_stack: false
    .vgpr_count:     0
    .vgpr_spill_count: 0
    .wavefront_size: 64
  - .args:
      - .offset:         0
        .size:           184
        .value_kind:     by_value
    .group_segment_fixed_size: 0
    .kernarg_segment_align: 8
    .kernarg_segment_size: 184
    .language:       OpenCL C
    .language_version:
      - 2
      - 0
    .max_flat_workgroup_size: 256
    .name:           _ZN7rocprim17ROCPRIM_400000_NS6detail17trampoline_kernelINS0_13select_configILj256ELj13ELNS0_17block_load_methodE3ELS4_3ELS4_3ELNS0_20block_scan_algorithmE0ELj4294967295EEENS1_25partition_config_selectorILNS1_17partition_subalgoE4EjNS0_10empty_typeEbEEZZNS1_14partition_implILS8_4ELb0ES6_15HIP_vector_typeIjLj2EENS0_17counting_iteratorIjlEEPS9_SG_NS0_5tupleIJPjSI_NS0_16reverse_iteratorISI_EEEEENSH_IJSG_SG_SG_EEES9_SI_JZNS1_25segmented_radix_sort_implINS0_14default_configELb1EPKiPiPKlPlN2at6native12_GLOBAL__N_18offset_tEEE10hipError_tPvRmT1_PNSt15iterator_traitsIS12_E10value_typeET2_T3_PNS13_IS18_E10value_typeET4_jRbjT5_S1E_jjP12ihipStream_tbEUljE_ZNSN_ISO_Lb1ESQ_SR_ST_SU_SY_EESZ_S10_S11_S12_S16_S17_S18_S1B_S1C_jS1D_jS1E_S1E_jjS1G_bEUljE0_EEESZ_S10_S11_S18_S1C_S1E_T6_T7_T9_mT8_S1G_bDpT10_ENKUlT_T0_E_clISt17integral_constantIbLb1EES1U_EEDaS1P_S1Q_EUlS1P_E_NS1_11comp_targetILNS1_3genE0ELNS1_11target_archE4294967295ELNS1_3gpuE0ELNS1_3repE0EEENS1_30default_config_static_selectorELNS0_4arch9wavefront6targetE1EEEvS12_
    .private_segment_fixed_size: 0
    .sgpr_count:     4
    .sgpr_spill_count: 0
    .symbol:         _ZN7rocprim17ROCPRIM_400000_NS6detail17trampoline_kernelINS0_13select_configILj256ELj13ELNS0_17block_load_methodE3ELS4_3ELS4_3ELNS0_20block_scan_algorithmE0ELj4294967295EEENS1_25partition_config_selectorILNS1_17partition_subalgoE4EjNS0_10empty_typeEbEEZZNS1_14partition_implILS8_4ELb0ES6_15HIP_vector_typeIjLj2EENS0_17counting_iteratorIjlEEPS9_SG_NS0_5tupleIJPjSI_NS0_16reverse_iteratorISI_EEEEENSH_IJSG_SG_SG_EEES9_SI_JZNS1_25segmented_radix_sort_implINS0_14default_configELb1EPKiPiPKlPlN2at6native12_GLOBAL__N_18offset_tEEE10hipError_tPvRmT1_PNSt15iterator_traitsIS12_E10value_typeET2_T3_PNS13_IS18_E10value_typeET4_jRbjT5_S1E_jjP12ihipStream_tbEUljE_ZNSN_ISO_Lb1ESQ_SR_ST_SU_SY_EESZ_S10_S11_S12_S16_S17_S18_S1B_S1C_jS1D_jS1E_S1E_jjS1G_bEUljE0_EEESZ_S10_S11_S18_S1C_S1E_T6_T7_T9_mT8_S1G_bDpT10_ENKUlT_T0_E_clISt17integral_constantIbLb1EES1U_EEDaS1P_S1Q_EUlS1P_E_NS1_11comp_targetILNS1_3genE0ELNS1_11target_archE4294967295ELNS1_3gpuE0ELNS1_3repE0EEENS1_30default_config_static_selectorELNS0_4arch9wavefront6targetE1EEEvS12_.kd
    .uniform_work_group_size: 1
    .uses_dynamic_stack: false
    .vgpr_count:     0
    .vgpr_spill_count: 0
    .wavefront_size: 64
  - .args:
      - .offset:         0
        .size:           184
        .value_kind:     by_value
    .group_segment_fixed_size: 0
    .kernarg_segment_align: 8
    .kernarg_segment_size: 184
    .language:       OpenCL C
    .language_version:
      - 2
      - 0
    .max_flat_workgroup_size: 256
    .name:           _ZN7rocprim17ROCPRIM_400000_NS6detail17trampoline_kernelINS0_13select_configILj256ELj13ELNS0_17block_load_methodE3ELS4_3ELS4_3ELNS0_20block_scan_algorithmE0ELj4294967295EEENS1_25partition_config_selectorILNS1_17partition_subalgoE4EjNS0_10empty_typeEbEEZZNS1_14partition_implILS8_4ELb0ES6_15HIP_vector_typeIjLj2EENS0_17counting_iteratorIjlEEPS9_SG_NS0_5tupleIJPjSI_NS0_16reverse_iteratorISI_EEEEENSH_IJSG_SG_SG_EEES9_SI_JZNS1_25segmented_radix_sort_implINS0_14default_configELb1EPKiPiPKlPlN2at6native12_GLOBAL__N_18offset_tEEE10hipError_tPvRmT1_PNSt15iterator_traitsIS12_E10value_typeET2_T3_PNS13_IS18_E10value_typeET4_jRbjT5_S1E_jjP12ihipStream_tbEUljE_ZNSN_ISO_Lb1ESQ_SR_ST_SU_SY_EESZ_S10_S11_S12_S16_S17_S18_S1B_S1C_jS1D_jS1E_S1E_jjS1G_bEUljE0_EEESZ_S10_S11_S18_S1C_S1E_T6_T7_T9_mT8_S1G_bDpT10_ENKUlT_T0_E_clISt17integral_constantIbLb1EES1U_EEDaS1P_S1Q_EUlS1P_E_NS1_11comp_targetILNS1_3genE5ELNS1_11target_archE942ELNS1_3gpuE9ELNS1_3repE0EEENS1_30default_config_static_selectorELNS0_4arch9wavefront6targetE1EEEvS12_
    .private_segment_fixed_size: 0
    .sgpr_count:     4
    .sgpr_spill_count: 0
    .symbol:         _ZN7rocprim17ROCPRIM_400000_NS6detail17trampoline_kernelINS0_13select_configILj256ELj13ELNS0_17block_load_methodE3ELS4_3ELS4_3ELNS0_20block_scan_algorithmE0ELj4294967295EEENS1_25partition_config_selectorILNS1_17partition_subalgoE4EjNS0_10empty_typeEbEEZZNS1_14partition_implILS8_4ELb0ES6_15HIP_vector_typeIjLj2EENS0_17counting_iteratorIjlEEPS9_SG_NS0_5tupleIJPjSI_NS0_16reverse_iteratorISI_EEEEENSH_IJSG_SG_SG_EEES9_SI_JZNS1_25segmented_radix_sort_implINS0_14default_configELb1EPKiPiPKlPlN2at6native12_GLOBAL__N_18offset_tEEE10hipError_tPvRmT1_PNSt15iterator_traitsIS12_E10value_typeET2_T3_PNS13_IS18_E10value_typeET4_jRbjT5_S1E_jjP12ihipStream_tbEUljE_ZNSN_ISO_Lb1ESQ_SR_ST_SU_SY_EESZ_S10_S11_S12_S16_S17_S18_S1B_S1C_jS1D_jS1E_S1E_jjS1G_bEUljE0_EEESZ_S10_S11_S18_S1C_S1E_T6_T7_T9_mT8_S1G_bDpT10_ENKUlT_T0_E_clISt17integral_constantIbLb1EES1U_EEDaS1P_S1Q_EUlS1P_E_NS1_11comp_targetILNS1_3genE5ELNS1_11target_archE942ELNS1_3gpuE9ELNS1_3repE0EEENS1_30default_config_static_selectorELNS0_4arch9wavefront6targetE1EEEvS12_.kd
    .uniform_work_group_size: 1
    .uses_dynamic_stack: false
    .vgpr_count:     0
    .vgpr_spill_count: 0
    .wavefront_size: 64
  - .args:
      - .offset:         0
        .size:           184
        .value_kind:     by_value
    .group_segment_fixed_size: 0
    .kernarg_segment_align: 8
    .kernarg_segment_size: 184
    .language:       OpenCL C
    .language_version:
      - 2
      - 0
    .max_flat_workgroup_size: 256
    .name:           _ZN7rocprim17ROCPRIM_400000_NS6detail17trampoline_kernelINS0_13select_configILj256ELj13ELNS0_17block_load_methodE3ELS4_3ELS4_3ELNS0_20block_scan_algorithmE0ELj4294967295EEENS1_25partition_config_selectorILNS1_17partition_subalgoE4EjNS0_10empty_typeEbEEZZNS1_14partition_implILS8_4ELb0ES6_15HIP_vector_typeIjLj2EENS0_17counting_iteratorIjlEEPS9_SG_NS0_5tupleIJPjSI_NS0_16reverse_iteratorISI_EEEEENSH_IJSG_SG_SG_EEES9_SI_JZNS1_25segmented_radix_sort_implINS0_14default_configELb1EPKiPiPKlPlN2at6native12_GLOBAL__N_18offset_tEEE10hipError_tPvRmT1_PNSt15iterator_traitsIS12_E10value_typeET2_T3_PNS13_IS18_E10value_typeET4_jRbjT5_S1E_jjP12ihipStream_tbEUljE_ZNSN_ISO_Lb1ESQ_SR_ST_SU_SY_EESZ_S10_S11_S12_S16_S17_S18_S1B_S1C_jS1D_jS1E_S1E_jjS1G_bEUljE0_EEESZ_S10_S11_S18_S1C_S1E_T6_T7_T9_mT8_S1G_bDpT10_ENKUlT_T0_E_clISt17integral_constantIbLb1EES1U_EEDaS1P_S1Q_EUlS1P_E_NS1_11comp_targetILNS1_3genE4ELNS1_11target_archE910ELNS1_3gpuE8ELNS1_3repE0EEENS1_30default_config_static_selectorELNS0_4arch9wavefront6targetE1EEEvS12_
    .private_segment_fixed_size: 0
    .sgpr_count:     4
    .sgpr_spill_count: 0
    .symbol:         _ZN7rocprim17ROCPRIM_400000_NS6detail17trampoline_kernelINS0_13select_configILj256ELj13ELNS0_17block_load_methodE3ELS4_3ELS4_3ELNS0_20block_scan_algorithmE0ELj4294967295EEENS1_25partition_config_selectorILNS1_17partition_subalgoE4EjNS0_10empty_typeEbEEZZNS1_14partition_implILS8_4ELb0ES6_15HIP_vector_typeIjLj2EENS0_17counting_iteratorIjlEEPS9_SG_NS0_5tupleIJPjSI_NS0_16reverse_iteratorISI_EEEEENSH_IJSG_SG_SG_EEES9_SI_JZNS1_25segmented_radix_sort_implINS0_14default_configELb1EPKiPiPKlPlN2at6native12_GLOBAL__N_18offset_tEEE10hipError_tPvRmT1_PNSt15iterator_traitsIS12_E10value_typeET2_T3_PNS13_IS18_E10value_typeET4_jRbjT5_S1E_jjP12ihipStream_tbEUljE_ZNSN_ISO_Lb1ESQ_SR_ST_SU_SY_EESZ_S10_S11_S12_S16_S17_S18_S1B_S1C_jS1D_jS1E_S1E_jjS1G_bEUljE0_EEESZ_S10_S11_S18_S1C_S1E_T6_T7_T9_mT8_S1G_bDpT10_ENKUlT_T0_E_clISt17integral_constantIbLb1EES1U_EEDaS1P_S1Q_EUlS1P_E_NS1_11comp_targetILNS1_3genE4ELNS1_11target_archE910ELNS1_3gpuE8ELNS1_3repE0EEENS1_30default_config_static_selectorELNS0_4arch9wavefront6targetE1EEEvS12_.kd
    .uniform_work_group_size: 1
    .uses_dynamic_stack: false
    .vgpr_count:     0
    .vgpr_spill_count: 0
    .wavefront_size: 64
  - .args:
      - .offset:         0
        .size:           184
        .value_kind:     by_value
    .group_segment_fixed_size: 0
    .kernarg_segment_align: 8
    .kernarg_segment_size: 184
    .language:       OpenCL C
    .language_version:
      - 2
      - 0
    .max_flat_workgroup_size: 256
    .name:           _ZN7rocprim17ROCPRIM_400000_NS6detail17trampoline_kernelINS0_13select_configILj256ELj13ELNS0_17block_load_methodE3ELS4_3ELS4_3ELNS0_20block_scan_algorithmE0ELj4294967295EEENS1_25partition_config_selectorILNS1_17partition_subalgoE4EjNS0_10empty_typeEbEEZZNS1_14partition_implILS8_4ELb0ES6_15HIP_vector_typeIjLj2EENS0_17counting_iteratorIjlEEPS9_SG_NS0_5tupleIJPjSI_NS0_16reverse_iteratorISI_EEEEENSH_IJSG_SG_SG_EEES9_SI_JZNS1_25segmented_radix_sort_implINS0_14default_configELb1EPKiPiPKlPlN2at6native12_GLOBAL__N_18offset_tEEE10hipError_tPvRmT1_PNSt15iterator_traitsIS12_E10value_typeET2_T3_PNS13_IS18_E10value_typeET4_jRbjT5_S1E_jjP12ihipStream_tbEUljE_ZNSN_ISO_Lb1ESQ_SR_ST_SU_SY_EESZ_S10_S11_S12_S16_S17_S18_S1B_S1C_jS1D_jS1E_S1E_jjS1G_bEUljE0_EEESZ_S10_S11_S18_S1C_S1E_T6_T7_T9_mT8_S1G_bDpT10_ENKUlT_T0_E_clISt17integral_constantIbLb1EES1U_EEDaS1P_S1Q_EUlS1P_E_NS1_11comp_targetILNS1_3genE3ELNS1_11target_archE908ELNS1_3gpuE7ELNS1_3repE0EEENS1_30default_config_static_selectorELNS0_4arch9wavefront6targetE1EEEvS12_
    .private_segment_fixed_size: 0
    .sgpr_count:     4
    .sgpr_spill_count: 0
    .symbol:         _ZN7rocprim17ROCPRIM_400000_NS6detail17trampoline_kernelINS0_13select_configILj256ELj13ELNS0_17block_load_methodE3ELS4_3ELS4_3ELNS0_20block_scan_algorithmE0ELj4294967295EEENS1_25partition_config_selectorILNS1_17partition_subalgoE4EjNS0_10empty_typeEbEEZZNS1_14partition_implILS8_4ELb0ES6_15HIP_vector_typeIjLj2EENS0_17counting_iteratorIjlEEPS9_SG_NS0_5tupleIJPjSI_NS0_16reverse_iteratorISI_EEEEENSH_IJSG_SG_SG_EEES9_SI_JZNS1_25segmented_radix_sort_implINS0_14default_configELb1EPKiPiPKlPlN2at6native12_GLOBAL__N_18offset_tEEE10hipError_tPvRmT1_PNSt15iterator_traitsIS12_E10value_typeET2_T3_PNS13_IS18_E10value_typeET4_jRbjT5_S1E_jjP12ihipStream_tbEUljE_ZNSN_ISO_Lb1ESQ_SR_ST_SU_SY_EESZ_S10_S11_S12_S16_S17_S18_S1B_S1C_jS1D_jS1E_S1E_jjS1G_bEUljE0_EEESZ_S10_S11_S18_S1C_S1E_T6_T7_T9_mT8_S1G_bDpT10_ENKUlT_T0_E_clISt17integral_constantIbLb1EES1U_EEDaS1P_S1Q_EUlS1P_E_NS1_11comp_targetILNS1_3genE3ELNS1_11target_archE908ELNS1_3gpuE7ELNS1_3repE0EEENS1_30default_config_static_selectorELNS0_4arch9wavefront6targetE1EEEvS12_.kd
    .uniform_work_group_size: 1
    .uses_dynamic_stack: false
    .vgpr_count:     0
    .vgpr_spill_count: 0
    .wavefront_size: 64
  - .args:
      - .offset:         0
        .size:           184
        .value_kind:     by_value
    .group_segment_fixed_size: 0
    .kernarg_segment_align: 8
    .kernarg_segment_size: 184
    .language:       OpenCL C
    .language_version:
      - 2
      - 0
    .max_flat_workgroup_size: 256
    .name:           _ZN7rocprim17ROCPRIM_400000_NS6detail17trampoline_kernelINS0_13select_configILj256ELj13ELNS0_17block_load_methodE3ELS4_3ELS4_3ELNS0_20block_scan_algorithmE0ELj4294967295EEENS1_25partition_config_selectorILNS1_17partition_subalgoE4EjNS0_10empty_typeEbEEZZNS1_14partition_implILS8_4ELb0ES6_15HIP_vector_typeIjLj2EENS0_17counting_iteratorIjlEEPS9_SG_NS0_5tupleIJPjSI_NS0_16reverse_iteratorISI_EEEEENSH_IJSG_SG_SG_EEES9_SI_JZNS1_25segmented_radix_sort_implINS0_14default_configELb1EPKiPiPKlPlN2at6native12_GLOBAL__N_18offset_tEEE10hipError_tPvRmT1_PNSt15iterator_traitsIS12_E10value_typeET2_T3_PNS13_IS18_E10value_typeET4_jRbjT5_S1E_jjP12ihipStream_tbEUljE_ZNSN_ISO_Lb1ESQ_SR_ST_SU_SY_EESZ_S10_S11_S12_S16_S17_S18_S1B_S1C_jS1D_jS1E_S1E_jjS1G_bEUljE0_EEESZ_S10_S11_S18_S1C_S1E_T6_T7_T9_mT8_S1G_bDpT10_ENKUlT_T0_E_clISt17integral_constantIbLb1EES1U_EEDaS1P_S1Q_EUlS1P_E_NS1_11comp_targetILNS1_3genE2ELNS1_11target_archE906ELNS1_3gpuE6ELNS1_3repE0EEENS1_30default_config_static_selectorELNS0_4arch9wavefront6targetE1EEEvS12_
    .private_segment_fixed_size: 0
    .sgpr_count:     4
    .sgpr_spill_count: 0
    .symbol:         _ZN7rocprim17ROCPRIM_400000_NS6detail17trampoline_kernelINS0_13select_configILj256ELj13ELNS0_17block_load_methodE3ELS4_3ELS4_3ELNS0_20block_scan_algorithmE0ELj4294967295EEENS1_25partition_config_selectorILNS1_17partition_subalgoE4EjNS0_10empty_typeEbEEZZNS1_14partition_implILS8_4ELb0ES6_15HIP_vector_typeIjLj2EENS0_17counting_iteratorIjlEEPS9_SG_NS0_5tupleIJPjSI_NS0_16reverse_iteratorISI_EEEEENSH_IJSG_SG_SG_EEES9_SI_JZNS1_25segmented_radix_sort_implINS0_14default_configELb1EPKiPiPKlPlN2at6native12_GLOBAL__N_18offset_tEEE10hipError_tPvRmT1_PNSt15iterator_traitsIS12_E10value_typeET2_T3_PNS13_IS18_E10value_typeET4_jRbjT5_S1E_jjP12ihipStream_tbEUljE_ZNSN_ISO_Lb1ESQ_SR_ST_SU_SY_EESZ_S10_S11_S12_S16_S17_S18_S1B_S1C_jS1D_jS1E_S1E_jjS1G_bEUljE0_EEESZ_S10_S11_S18_S1C_S1E_T6_T7_T9_mT8_S1G_bDpT10_ENKUlT_T0_E_clISt17integral_constantIbLb1EES1U_EEDaS1P_S1Q_EUlS1P_E_NS1_11comp_targetILNS1_3genE2ELNS1_11target_archE906ELNS1_3gpuE6ELNS1_3repE0EEENS1_30default_config_static_selectorELNS0_4arch9wavefront6targetE1EEEvS12_.kd
    .uniform_work_group_size: 1
    .uses_dynamic_stack: false
    .vgpr_count:     0
    .vgpr_spill_count: 0
    .wavefront_size: 64
  - .args:
      - .offset:         0
        .size:           184
        .value_kind:     by_value
    .group_segment_fixed_size: 0
    .kernarg_segment_align: 8
    .kernarg_segment_size: 184
    .language:       OpenCL C
    .language_version:
      - 2
      - 0
    .max_flat_workgroup_size: 256
    .name:           _ZN7rocprim17ROCPRIM_400000_NS6detail17trampoline_kernelINS0_13select_configILj256ELj13ELNS0_17block_load_methodE3ELS4_3ELS4_3ELNS0_20block_scan_algorithmE0ELj4294967295EEENS1_25partition_config_selectorILNS1_17partition_subalgoE4EjNS0_10empty_typeEbEEZZNS1_14partition_implILS8_4ELb0ES6_15HIP_vector_typeIjLj2EENS0_17counting_iteratorIjlEEPS9_SG_NS0_5tupleIJPjSI_NS0_16reverse_iteratorISI_EEEEENSH_IJSG_SG_SG_EEES9_SI_JZNS1_25segmented_radix_sort_implINS0_14default_configELb1EPKiPiPKlPlN2at6native12_GLOBAL__N_18offset_tEEE10hipError_tPvRmT1_PNSt15iterator_traitsIS12_E10value_typeET2_T3_PNS13_IS18_E10value_typeET4_jRbjT5_S1E_jjP12ihipStream_tbEUljE_ZNSN_ISO_Lb1ESQ_SR_ST_SU_SY_EESZ_S10_S11_S12_S16_S17_S18_S1B_S1C_jS1D_jS1E_S1E_jjS1G_bEUljE0_EEESZ_S10_S11_S18_S1C_S1E_T6_T7_T9_mT8_S1G_bDpT10_ENKUlT_T0_E_clISt17integral_constantIbLb1EES1U_EEDaS1P_S1Q_EUlS1P_E_NS1_11comp_targetILNS1_3genE10ELNS1_11target_archE1200ELNS1_3gpuE4ELNS1_3repE0EEENS1_30default_config_static_selectorELNS0_4arch9wavefront6targetE1EEEvS12_
    .private_segment_fixed_size: 0
    .sgpr_count:     4
    .sgpr_spill_count: 0
    .symbol:         _ZN7rocprim17ROCPRIM_400000_NS6detail17trampoline_kernelINS0_13select_configILj256ELj13ELNS0_17block_load_methodE3ELS4_3ELS4_3ELNS0_20block_scan_algorithmE0ELj4294967295EEENS1_25partition_config_selectorILNS1_17partition_subalgoE4EjNS0_10empty_typeEbEEZZNS1_14partition_implILS8_4ELb0ES6_15HIP_vector_typeIjLj2EENS0_17counting_iteratorIjlEEPS9_SG_NS0_5tupleIJPjSI_NS0_16reverse_iteratorISI_EEEEENSH_IJSG_SG_SG_EEES9_SI_JZNS1_25segmented_radix_sort_implINS0_14default_configELb1EPKiPiPKlPlN2at6native12_GLOBAL__N_18offset_tEEE10hipError_tPvRmT1_PNSt15iterator_traitsIS12_E10value_typeET2_T3_PNS13_IS18_E10value_typeET4_jRbjT5_S1E_jjP12ihipStream_tbEUljE_ZNSN_ISO_Lb1ESQ_SR_ST_SU_SY_EESZ_S10_S11_S12_S16_S17_S18_S1B_S1C_jS1D_jS1E_S1E_jjS1G_bEUljE0_EEESZ_S10_S11_S18_S1C_S1E_T6_T7_T9_mT8_S1G_bDpT10_ENKUlT_T0_E_clISt17integral_constantIbLb1EES1U_EEDaS1P_S1Q_EUlS1P_E_NS1_11comp_targetILNS1_3genE10ELNS1_11target_archE1200ELNS1_3gpuE4ELNS1_3repE0EEENS1_30default_config_static_selectorELNS0_4arch9wavefront6targetE1EEEvS12_.kd
    .uniform_work_group_size: 1
    .uses_dynamic_stack: false
    .vgpr_count:     0
    .vgpr_spill_count: 0
    .wavefront_size: 64
  - .args:
      - .offset:         0
        .size:           184
        .value_kind:     by_value
    .group_segment_fixed_size: 0
    .kernarg_segment_align: 8
    .kernarg_segment_size: 184
    .language:       OpenCL C
    .language_version:
      - 2
      - 0
    .max_flat_workgroup_size: 256
    .name:           _ZN7rocprim17ROCPRIM_400000_NS6detail17trampoline_kernelINS0_13select_configILj256ELj13ELNS0_17block_load_methodE3ELS4_3ELS4_3ELNS0_20block_scan_algorithmE0ELj4294967295EEENS1_25partition_config_selectorILNS1_17partition_subalgoE4EjNS0_10empty_typeEbEEZZNS1_14partition_implILS8_4ELb0ES6_15HIP_vector_typeIjLj2EENS0_17counting_iteratorIjlEEPS9_SG_NS0_5tupleIJPjSI_NS0_16reverse_iteratorISI_EEEEENSH_IJSG_SG_SG_EEES9_SI_JZNS1_25segmented_radix_sort_implINS0_14default_configELb1EPKiPiPKlPlN2at6native12_GLOBAL__N_18offset_tEEE10hipError_tPvRmT1_PNSt15iterator_traitsIS12_E10value_typeET2_T3_PNS13_IS18_E10value_typeET4_jRbjT5_S1E_jjP12ihipStream_tbEUljE_ZNSN_ISO_Lb1ESQ_SR_ST_SU_SY_EESZ_S10_S11_S12_S16_S17_S18_S1B_S1C_jS1D_jS1E_S1E_jjS1G_bEUljE0_EEESZ_S10_S11_S18_S1C_S1E_T6_T7_T9_mT8_S1G_bDpT10_ENKUlT_T0_E_clISt17integral_constantIbLb1EES1U_EEDaS1P_S1Q_EUlS1P_E_NS1_11comp_targetILNS1_3genE9ELNS1_11target_archE1100ELNS1_3gpuE3ELNS1_3repE0EEENS1_30default_config_static_selectorELNS0_4arch9wavefront6targetE1EEEvS12_
    .private_segment_fixed_size: 0
    .sgpr_count:     4
    .sgpr_spill_count: 0
    .symbol:         _ZN7rocprim17ROCPRIM_400000_NS6detail17trampoline_kernelINS0_13select_configILj256ELj13ELNS0_17block_load_methodE3ELS4_3ELS4_3ELNS0_20block_scan_algorithmE0ELj4294967295EEENS1_25partition_config_selectorILNS1_17partition_subalgoE4EjNS0_10empty_typeEbEEZZNS1_14partition_implILS8_4ELb0ES6_15HIP_vector_typeIjLj2EENS0_17counting_iteratorIjlEEPS9_SG_NS0_5tupleIJPjSI_NS0_16reverse_iteratorISI_EEEEENSH_IJSG_SG_SG_EEES9_SI_JZNS1_25segmented_radix_sort_implINS0_14default_configELb1EPKiPiPKlPlN2at6native12_GLOBAL__N_18offset_tEEE10hipError_tPvRmT1_PNSt15iterator_traitsIS12_E10value_typeET2_T3_PNS13_IS18_E10value_typeET4_jRbjT5_S1E_jjP12ihipStream_tbEUljE_ZNSN_ISO_Lb1ESQ_SR_ST_SU_SY_EESZ_S10_S11_S12_S16_S17_S18_S1B_S1C_jS1D_jS1E_S1E_jjS1G_bEUljE0_EEESZ_S10_S11_S18_S1C_S1E_T6_T7_T9_mT8_S1G_bDpT10_ENKUlT_T0_E_clISt17integral_constantIbLb1EES1U_EEDaS1P_S1Q_EUlS1P_E_NS1_11comp_targetILNS1_3genE9ELNS1_11target_archE1100ELNS1_3gpuE3ELNS1_3repE0EEENS1_30default_config_static_selectorELNS0_4arch9wavefront6targetE1EEEvS12_.kd
    .uniform_work_group_size: 1
    .uses_dynamic_stack: false
    .vgpr_count:     0
    .vgpr_spill_count: 0
    .wavefront_size: 64
  - .args:
      - .offset:         0
        .size:           184
        .value_kind:     by_value
    .group_segment_fixed_size: 0
    .kernarg_segment_align: 8
    .kernarg_segment_size: 184
    .language:       OpenCL C
    .language_version:
      - 2
      - 0
    .max_flat_workgroup_size: 256
    .name:           _ZN7rocprim17ROCPRIM_400000_NS6detail17trampoline_kernelINS0_13select_configILj256ELj13ELNS0_17block_load_methodE3ELS4_3ELS4_3ELNS0_20block_scan_algorithmE0ELj4294967295EEENS1_25partition_config_selectorILNS1_17partition_subalgoE4EjNS0_10empty_typeEbEEZZNS1_14partition_implILS8_4ELb0ES6_15HIP_vector_typeIjLj2EENS0_17counting_iteratorIjlEEPS9_SG_NS0_5tupleIJPjSI_NS0_16reverse_iteratorISI_EEEEENSH_IJSG_SG_SG_EEES9_SI_JZNS1_25segmented_radix_sort_implINS0_14default_configELb1EPKiPiPKlPlN2at6native12_GLOBAL__N_18offset_tEEE10hipError_tPvRmT1_PNSt15iterator_traitsIS12_E10value_typeET2_T3_PNS13_IS18_E10value_typeET4_jRbjT5_S1E_jjP12ihipStream_tbEUljE_ZNSN_ISO_Lb1ESQ_SR_ST_SU_SY_EESZ_S10_S11_S12_S16_S17_S18_S1B_S1C_jS1D_jS1E_S1E_jjS1G_bEUljE0_EEESZ_S10_S11_S18_S1C_S1E_T6_T7_T9_mT8_S1G_bDpT10_ENKUlT_T0_E_clISt17integral_constantIbLb1EES1U_EEDaS1P_S1Q_EUlS1P_E_NS1_11comp_targetILNS1_3genE8ELNS1_11target_archE1030ELNS1_3gpuE2ELNS1_3repE0EEENS1_30default_config_static_selectorELNS0_4arch9wavefront6targetE1EEEvS12_
    .private_segment_fixed_size: 0
    .sgpr_count:     4
    .sgpr_spill_count: 0
    .symbol:         _ZN7rocprim17ROCPRIM_400000_NS6detail17trampoline_kernelINS0_13select_configILj256ELj13ELNS0_17block_load_methodE3ELS4_3ELS4_3ELNS0_20block_scan_algorithmE0ELj4294967295EEENS1_25partition_config_selectorILNS1_17partition_subalgoE4EjNS0_10empty_typeEbEEZZNS1_14partition_implILS8_4ELb0ES6_15HIP_vector_typeIjLj2EENS0_17counting_iteratorIjlEEPS9_SG_NS0_5tupleIJPjSI_NS0_16reverse_iteratorISI_EEEEENSH_IJSG_SG_SG_EEES9_SI_JZNS1_25segmented_radix_sort_implINS0_14default_configELb1EPKiPiPKlPlN2at6native12_GLOBAL__N_18offset_tEEE10hipError_tPvRmT1_PNSt15iterator_traitsIS12_E10value_typeET2_T3_PNS13_IS18_E10value_typeET4_jRbjT5_S1E_jjP12ihipStream_tbEUljE_ZNSN_ISO_Lb1ESQ_SR_ST_SU_SY_EESZ_S10_S11_S12_S16_S17_S18_S1B_S1C_jS1D_jS1E_S1E_jjS1G_bEUljE0_EEESZ_S10_S11_S18_S1C_S1E_T6_T7_T9_mT8_S1G_bDpT10_ENKUlT_T0_E_clISt17integral_constantIbLb1EES1U_EEDaS1P_S1Q_EUlS1P_E_NS1_11comp_targetILNS1_3genE8ELNS1_11target_archE1030ELNS1_3gpuE2ELNS1_3repE0EEENS1_30default_config_static_selectorELNS0_4arch9wavefront6targetE1EEEvS12_.kd
    .uniform_work_group_size: 1
    .uses_dynamic_stack: false
    .vgpr_count:     0
    .vgpr_spill_count: 0
    .wavefront_size: 64
  - .args:
      - .offset:         0
        .size:           176
        .value_kind:     by_value
    .group_segment_fixed_size: 0
    .kernarg_segment_align: 8
    .kernarg_segment_size: 176
    .language:       OpenCL C
    .language_version:
      - 2
      - 0
    .max_flat_workgroup_size: 256
    .name:           _ZN7rocprim17ROCPRIM_400000_NS6detail17trampoline_kernelINS0_13select_configILj256ELj13ELNS0_17block_load_methodE3ELS4_3ELS4_3ELNS0_20block_scan_algorithmE0ELj4294967295EEENS1_25partition_config_selectorILNS1_17partition_subalgoE4EjNS0_10empty_typeEbEEZZNS1_14partition_implILS8_4ELb0ES6_15HIP_vector_typeIjLj2EENS0_17counting_iteratorIjlEEPS9_SG_NS0_5tupleIJPjSI_NS0_16reverse_iteratorISI_EEEEENSH_IJSG_SG_SG_EEES9_SI_JZNS1_25segmented_radix_sort_implINS0_14default_configELb1EPKiPiPKlPlN2at6native12_GLOBAL__N_18offset_tEEE10hipError_tPvRmT1_PNSt15iterator_traitsIS12_E10value_typeET2_T3_PNS13_IS18_E10value_typeET4_jRbjT5_S1E_jjP12ihipStream_tbEUljE_ZNSN_ISO_Lb1ESQ_SR_ST_SU_SY_EESZ_S10_S11_S12_S16_S17_S18_S1B_S1C_jS1D_jS1E_S1E_jjS1G_bEUljE0_EEESZ_S10_S11_S18_S1C_S1E_T6_T7_T9_mT8_S1G_bDpT10_ENKUlT_T0_E_clISt17integral_constantIbLb1EES1T_IbLb0EEEEDaS1P_S1Q_EUlS1P_E_NS1_11comp_targetILNS1_3genE0ELNS1_11target_archE4294967295ELNS1_3gpuE0ELNS1_3repE0EEENS1_30default_config_static_selectorELNS0_4arch9wavefront6targetE1EEEvS12_
    .private_segment_fixed_size: 0
    .sgpr_count:     4
    .sgpr_spill_count: 0
    .symbol:         _ZN7rocprim17ROCPRIM_400000_NS6detail17trampoline_kernelINS0_13select_configILj256ELj13ELNS0_17block_load_methodE3ELS4_3ELS4_3ELNS0_20block_scan_algorithmE0ELj4294967295EEENS1_25partition_config_selectorILNS1_17partition_subalgoE4EjNS0_10empty_typeEbEEZZNS1_14partition_implILS8_4ELb0ES6_15HIP_vector_typeIjLj2EENS0_17counting_iteratorIjlEEPS9_SG_NS0_5tupleIJPjSI_NS0_16reverse_iteratorISI_EEEEENSH_IJSG_SG_SG_EEES9_SI_JZNS1_25segmented_radix_sort_implINS0_14default_configELb1EPKiPiPKlPlN2at6native12_GLOBAL__N_18offset_tEEE10hipError_tPvRmT1_PNSt15iterator_traitsIS12_E10value_typeET2_T3_PNS13_IS18_E10value_typeET4_jRbjT5_S1E_jjP12ihipStream_tbEUljE_ZNSN_ISO_Lb1ESQ_SR_ST_SU_SY_EESZ_S10_S11_S12_S16_S17_S18_S1B_S1C_jS1D_jS1E_S1E_jjS1G_bEUljE0_EEESZ_S10_S11_S18_S1C_S1E_T6_T7_T9_mT8_S1G_bDpT10_ENKUlT_T0_E_clISt17integral_constantIbLb1EES1T_IbLb0EEEEDaS1P_S1Q_EUlS1P_E_NS1_11comp_targetILNS1_3genE0ELNS1_11target_archE4294967295ELNS1_3gpuE0ELNS1_3repE0EEENS1_30default_config_static_selectorELNS0_4arch9wavefront6targetE1EEEvS12_.kd
    .uniform_work_group_size: 1
    .uses_dynamic_stack: false
    .vgpr_count:     0
    .vgpr_spill_count: 0
    .wavefront_size: 64
  - .args:
      - .offset:         0
        .size:           176
        .value_kind:     by_value
    .group_segment_fixed_size: 0
    .kernarg_segment_align: 8
    .kernarg_segment_size: 176
    .language:       OpenCL C
    .language_version:
      - 2
      - 0
    .max_flat_workgroup_size: 256
    .name:           _ZN7rocprim17ROCPRIM_400000_NS6detail17trampoline_kernelINS0_13select_configILj256ELj13ELNS0_17block_load_methodE3ELS4_3ELS4_3ELNS0_20block_scan_algorithmE0ELj4294967295EEENS1_25partition_config_selectorILNS1_17partition_subalgoE4EjNS0_10empty_typeEbEEZZNS1_14partition_implILS8_4ELb0ES6_15HIP_vector_typeIjLj2EENS0_17counting_iteratorIjlEEPS9_SG_NS0_5tupleIJPjSI_NS0_16reverse_iteratorISI_EEEEENSH_IJSG_SG_SG_EEES9_SI_JZNS1_25segmented_radix_sort_implINS0_14default_configELb1EPKiPiPKlPlN2at6native12_GLOBAL__N_18offset_tEEE10hipError_tPvRmT1_PNSt15iterator_traitsIS12_E10value_typeET2_T3_PNS13_IS18_E10value_typeET4_jRbjT5_S1E_jjP12ihipStream_tbEUljE_ZNSN_ISO_Lb1ESQ_SR_ST_SU_SY_EESZ_S10_S11_S12_S16_S17_S18_S1B_S1C_jS1D_jS1E_S1E_jjS1G_bEUljE0_EEESZ_S10_S11_S18_S1C_S1E_T6_T7_T9_mT8_S1G_bDpT10_ENKUlT_T0_E_clISt17integral_constantIbLb1EES1T_IbLb0EEEEDaS1P_S1Q_EUlS1P_E_NS1_11comp_targetILNS1_3genE5ELNS1_11target_archE942ELNS1_3gpuE9ELNS1_3repE0EEENS1_30default_config_static_selectorELNS0_4arch9wavefront6targetE1EEEvS12_
    .private_segment_fixed_size: 0
    .sgpr_count:     4
    .sgpr_spill_count: 0
    .symbol:         _ZN7rocprim17ROCPRIM_400000_NS6detail17trampoline_kernelINS0_13select_configILj256ELj13ELNS0_17block_load_methodE3ELS4_3ELS4_3ELNS0_20block_scan_algorithmE0ELj4294967295EEENS1_25partition_config_selectorILNS1_17partition_subalgoE4EjNS0_10empty_typeEbEEZZNS1_14partition_implILS8_4ELb0ES6_15HIP_vector_typeIjLj2EENS0_17counting_iteratorIjlEEPS9_SG_NS0_5tupleIJPjSI_NS0_16reverse_iteratorISI_EEEEENSH_IJSG_SG_SG_EEES9_SI_JZNS1_25segmented_radix_sort_implINS0_14default_configELb1EPKiPiPKlPlN2at6native12_GLOBAL__N_18offset_tEEE10hipError_tPvRmT1_PNSt15iterator_traitsIS12_E10value_typeET2_T3_PNS13_IS18_E10value_typeET4_jRbjT5_S1E_jjP12ihipStream_tbEUljE_ZNSN_ISO_Lb1ESQ_SR_ST_SU_SY_EESZ_S10_S11_S12_S16_S17_S18_S1B_S1C_jS1D_jS1E_S1E_jjS1G_bEUljE0_EEESZ_S10_S11_S18_S1C_S1E_T6_T7_T9_mT8_S1G_bDpT10_ENKUlT_T0_E_clISt17integral_constantIbLb1EES1T_IbLb0EEEEDaS1P_S1Q_EUlS1P_E_NS1_11comp_targetILNS1_3genE5ELNS1_11target_archE942ELNS1_3gpuE9ELNS1_3repE0EEENS1_30default_config_static_selectorELNS0_4arch9wavefront6targetE1EEEvS12_.kd
    .uniform_work_group_size: 1
    .uses_dynamic_stack: false
    .vgpr_count:     0
    .vgpr_spill_count: 0
    .wavefront_size: 64
  - .args:
      - .offset:         0
        .size:           176
        .value_kind:     by_value
    .group_segment_fixed_size: 0
    .kernarg_segment_align: 8
    .kernarg_segment_size: 176
    .language:       OpenCL C
    .language_version:
      - 2
      - 0
    .max_flat_workgroup_size: 256
    .name:           _ZN7rocprim17ROCPRIM_400000_NS6detail17trampoline_kernelINS0_13select_configILj256ELj13ELNS0_17block_load_methodE3ELS4_3ELS4_3ELNS0_20block_scan_algorithmE0ELj4294967295EEENS1_25partition_config_selectorILNS1_17partition_subalgoE4EjNS0_10empty_typeEbEEZZNS1_14partition_implILS8_4ELb0ES6_15HIP_vector_typeIjLj2EENS0_17counting_iteratorIjlEEPS9_SG_NS0_5tupleIJPjSI_NS0_16reverse_iteratorISI_EEEEENSH_IJSG_SG_SG_EEES9_SI_JZNS1_25segmented_radix_sort_implINS0_14default_configELb1EPKiPiPKlPlN2at6native12_GLOBAL__N_18offset_tEEE10hipError_tPvRmT1_PNSt15iterator_traitsIS12_E10value_typeET2_T3_PNS13_IS18_E10value_typeET4_jRbjT5_S1E_jjP12ihipStream_tbEUljE_ZNSN_ISO_Lb1ESQ_SR_ST_SU_SY_EESZ_S10_S11_S12_S16_S17_S18_S1B_S1C_jS1D_jS1E_S1E_jjS1G_bEUljE0_EEESZ_S10_S11_S18_S1C_S1E_T6_T7_T9_mT8_S1G_bDpT10_ENKUlT_T0_E_clISt17integral_constantIbLb1EES1T_IbLb0EEEEDaS1P_S1Q_EUlS1P_E_NS1_11comp_targetILNS1_3genE4ELNS1_11target_archE910ELNS1_3gpuE8ELNS1_3repE0EEENS1_30default_config_static_selectorELNS0_4arch9wavefront6targetE1EEEvS12_
    .private_segment_fixed_size: 0
    .sgpr_count:     4
    .sgpr_spill_count: 0
    .symbol:         _ZN7rocprim17ROCPRIM_400000_NS6detail17trampoline_kernelINS0_13select_configILj256ELj13ELNS0_17block_load_methodE3ELS4_3ELS4_3ELNS0_20block_scan_algorithmE0ELj4294967295EEENS1_25partition_config_selectorILNS1_17partition_subalgoE4EjNS0_10empty_typeEbEEZZNS1_14partition_implILS8_4ELb0ES6_15HIP_vector_typeIjLj2EENS0_17counting_iteratorIjlEEPS9_SG_NS0_5tupleIJPjSI_NS0_16reverse_iteratorISI_EEEEENSH_IJSG_SG_SG_EEES9_SI_JZNS1_25segmented_radix_sort_implINS0_14default_configELb1EPKiPiPKlPlN2at6native12_GLOBAL__N_18offset_tEEE10hipError_tPvRmT1_PNSt15iterator_traitsIS12_E10value_typeET2_T3_PNS13_IS18_E10value_typeET4_jRbjT5_S1E_jjP12ihipStream_tbEUljE_ZNSN_ISO_Lb1ESQ_SR_ST_SU_SY_EESZ_S10_S11_S12_S16_S17_S18_S1B_S1C_jS1D_jS1E_S1E_jjS1G_bEUljE0_EEESZ_S10_S11_S18_S1C_S1E_T6_T7_T9_mT8_S1G_bDpT10_ENKUlT_T0_E_clISt17integral_constantIbLb1EES1T_IbLb0EEEEDaS1P_S1Q_EUlS1P_E_NS1_11comp_targetILNS1_3genE4ELNS1_11target_archE910ELNS1_3gpuE8ELNS1_3repE0EEENS1_30default_config_static_selectorELNS0_4arch9wavefront6targetE1EEEvS12_.kd
    .uniform_work_group_size: 1
    .uses_dynamic_stack: false
    .vgpr_count:     0
    .vgpr_spill_count: 0
    .wavefront_size: 64
  - .args:
      - .offset:         0
        .size:           176
        .value_kind:     by_value
    .group_segment_fixed_size: 0
    .kernarg_segment_align: 8
    .kernarg_segment_size: 176
    .language:       OpenCL C
    .language_version:
      - 2
      - 0
    .max_flat_workgroup_size: 256
    .name:           _ZN7rocprim17ROCPRIM_400000_NS6detail17trampoline_kernelINS0_13select_configILj256ELj13ELNS0_17block_load_methodE3ELS4_3ELS4_3ELNS0_20block_scan_algorithmE0ELj4294967295EEENS1_25partition_config_selectorILNS1_17partition_subalgoE4EjNS0_10empty_typeEbEEZZNS1_14partition_implILS8_4ELb0ES6_15HIP_vector_typeIjLj2EENS0_17counting_iteratorIjlEEPS9_SG_NS0_5tupleIJPjSI_NS0_16reverse_iteratorISI_EEEEENSH_IJSG_SG_SG_EEES9_SI_JZNS1_25segmented_radix_sort_implINS0_14default_configELb1EPKiPiPKlPlN2at6native12_GLOBAL__N_18offset_tEEE10hipError_tPvRmT1_PNSt15iterator_traitsIS12_E10value_typeET2_T3_PNS13_IS18_E10value_typeET4_jRbjT5_S1E_jjP12ihipStream_tbEUljE_ZNSN_ISO_Lb1ESQ_SR_ST_SU_SY_EESZ_S10_S11_S12_S16_S17_S18_S1B_S1C_jS1D_jS1E_S1E_jjS1G_bEUljE0_EEESZ_S10_S11_S18_S1C_S1E_T6_T7_T9_mT8_S1G_bDpT10_ENKUlT_T0_E_clISt17integral_constantIbLb1EES1T_IbLb0EEEEDaS1P_S1Q_EUlS1P_E_NS1_11comp_targetILNS1_3genE3ELNS1_11target_archE908ELNS1_3gpuE7ELNS1_3repE0EEENS1_30default_config_static_selectorELNS0_4arch9wavefront6targetE1EEEvS12_
    .private_segment_fixed_size: 0
    .sgpr_count:     4
    .sgpr_spill_count: 0
    .symbol:         _ZN7rocprim17ROCPRIM_400000_NS6detail17trampoline_kernelINS0_13select_configILj256ELj13ELNS0_17block_load_methodE3ELS4_3ELS4_3ELNS0_20block_scan_algorithmE0ELj4294967295EEENS1_25partition_config_selectorILNS1_17partition_subalgoE4EjNS0_10empty_typeEbEEZZNS1_14partition_implILS8_4ELb0ES6_15HIP_vector_typeIjLj2EENS0_17counting_iteratorIjlEEPS9_SG_NS0_5tupleIJPjSI_NS0_16reverse_iteratorISI_EEEEENSH_IJSG_SG_SG_EEES9_SI_JZNS1_25segmented_radix_sort_implINS0_14default_configELb1EPKiPiPKlPlN2at6native12_GLOBAL__N_18offset_tEEE10hipError_tPvRmT1_PNSt15iterator_traitsIS12_E10value_typeET2_T3_PNS13_IS18_E10value_typeET4_jRbjT5_S1E_jjP12ihipStream_tbEUljE_ZNSN_ISO_Lb1ESQ_SR_ST_SU_SY_EESZ_S10_S11_S12_S16_S17_S18_S1B_S1C_jS1D_jS1E_S1E_jjS1G_bEUljE0_EEESZ_S10_S11_S18_S1C_S1E_T6_T7_T9_mT8_S1G_bDpT10_ENKUlT_T0_E_clISt17integral_constantIbLb1EES1T_IbLb0EEEEDaS1P_S1Q_EUlS1P_E_NS1_11comp_targetILNS1_3genE3ELNS1_11target_archE908ELNS1_3gpuE7ELNS1_3repE0EEENS1_30default_config_static_selectorELNS0_4arch9wavefront6targetE1EEEvS12_.kd
    .uniform_work_group_size: 1
    .uses_dynamic_stack: false
    .vgpr_count:     0
    .vgpr_spill_count: 0
    .wavefront_size: 64
  - .args:
      - .offset:         0
        .size:           176
        .value_kind:     by_value
    .group_segment_fixed_size: 0
    .kernarg_segment_align: 8
    .kernarg_segment_size: 176
    .language:       OpenCL C
    .language_version:
      - 2
      - 0
    .max_flat_workgroup_size: 256
    .name:           _ZN7rocprim17ROCPRIM_400000_NS6detail17trampoline_kernelINS0_13select_configILj256ELj13ELNS0_17block_load_methodE3ELS4_3ELS4_3ELNS0_20block_scan_algorithmE0ELj4294967295EEENS1_25partition_config_selectorILNS1_17partition_subalgoE4EjNS0_10empty_typeEbEEZZNS1_14partition_implILS8_4ELb0ES6_15HIP_vector_typeIjLj2EENS0_17counting_iteratorIjlEEPS9_SG_NS0_5tupleIJPjSI_NS0_16reverse_iteratorISI_EEEEENSH_IJSG_SG_SG_EEES9_SI_JZNS1_25segmented_radix_sort_implINS0_14default_configELb1EPKiPiPKlPlN2at6native12_GLOBAL__N_18offset_tEEE10hipError_tPvRmT1_PNSt15iterator_traitsIS12_E10value_typeET2_T3_PNS13_IS18_E10value_typeET4_jRbjT5_S1E_jjP12ihipStream_tbEUljE_ZNSN_ISO_Lb1ESQ_SR_ST_SU_SY_EESZ_S10_S11_S12_S16_S17_S18_S1B_S1C_jS1D_jS1E_S1E_jjS1G_bEUljE0_EEESZ_S10_S11_S18_S1C_S1E_T6_T7_T9_mT8_S1G_bDpT10_ENKUlT_T0_E_clISt17integral_constantIbLb1EES1T_IbLb0EEEEDaS1P_S1Q_EUlS1P_E_NS1_11comp_targetILNS1_3genE2ELNS1_11target_archE906ELNS1_3gpuE6ELNS1_3repE0EEENS1_30default_config_static_selectorELNS0_4arch9wavefront6targetE1EEEvS12_
    .private_segment_fixed_size: 0
    .sgpr_count:     4
    .sgpr_spill_count: 0
    .symbol:         _ZN7rocprim17ROCPRIM_400000_NS6detail17trampoline_kernelINS0_13select_configILj256ELj13ELNS0_17block_load_methodE3ELS4_3ELS4_3ELNS0_20block_scan_algorithmE0ELj4294967295EEENS1_25partition_config_selectorILNS1_17partition_subalgoE4EjNS0_10empty_typeEbEEZZNS1_14partition_implILS8_4ELb0ES6_15HIP_vector_typeIjLj2EENS0_17counting_iteratorIjlEEPS9_SG_NS0_5tupleIJPjSI_NS0_16reverse_iteratorISI_EEEEENSH_IJSG_SG_SG_EEES9_SI_JZNS1_25segmented_radix_sort_implINS0_14default_configELb1EPKiPiPKlPlN2at6native12_GLOBAL__N_18offset_tEEE10hipError_tPvRmT1_PNSt15iterator_traitsIS12_E10value_typeET2_T3_PNS13_IS18_E10value_typeET4_jRbjT5_S1E_jjP12ihipStream_tbEUljE_ZNSN_ISO_Lb1ESQ_SR_ST_SU_SY_EESZ_S10_S11_S12_S16_S17_S18_S1B_S1C_jS1D_jS1E_S1E_jjS1G_bEUljE0_EEESZ_S10_S11_S18_S1C_S1E_T6_T7_T9_mT8_S1G_bDpT10_ENKUlT_T0_E_clISt17integral_constantIbLb1EES1T_IbLb0EEEEDaS1P_S1Q_EUlS1P_E_NS1_11comp_targetILNS1_3genE2ELNS1_11target_archE906ELNS1_3gpuE6ELNS1_3repE0EEENS1_30default_config_static_selectorELNS0_4arch9wavefront6targetE1EEEvS12_.kd
    .uniform_work_group_size: 1
    .uses_dynamic_stack: false
    .vgpr_count:     0
    .vgpr_spill_count: 0
    .wavefront_size: 64
  - .args:
      - .offset:         0
        .size:           176
        .value_kind:     by_value
    .group_segment_fixed_size: 0
    .kernarg_segment_align: 8
    .kernarg_segment_size: 176
    .language:       OpenCL C
    .language_version:
      - 2
      - 0
    .max_flat_workgroup_size: 256
    .name:           _ZN7rocprim17ROCPRIM_400000_NS6detail17trampoline_kernelINS0_13select_configILj256ELj13ELNS0_17block_load_methodE3ELS4_3ELS4_3ELNS0_20block_scan_algorithmE0ELj4294967295EEENS1_25partition_config_selectorILNS1_17partition_subalgoE4EjNS0_10empty_typeEbEEZZNS1_14partition_implILS8_4ELb0ES6_15HIP_vector_typeIjLj2EENS0_17counting_iteratorIjlEEPS9_SG_NS0_5tupleIJPjSI_NS0_16reverse_iteratorISI_EEEEENSH_IJSG_SG_SG_EEES9_SI_JZNS1_25segmented_radix_sort_implINS0_14default_configELb1EPKiPiPKlPlN2at6native12_GLOBAL__N_18offset_tEEE10hipError_tPvRmT1_PNSt15iterator_traitsIS12_E10value_typeET2_T3_PNS13_IS18_E10value_typeET4_jRbjT5_S1E_jjP12ihipStream_tbEUljE_ZNSN_ISO_Lb1ESQ_SR_ST_SU_SY_EESZ_S10_S11_S12_S16_S17_S18_S1B_S1C_jS1D_jS1E_S1E_jjS1G_bEUljE0_EEESZ_S10_S11_S18_S1C_S1E_T6_T7_T9_mT8_S1G_bDpT10_ENKUlT_T0_E_clISt17integral_constantIbLb1EES1T_IbLb0EEEEDaS1P_S1Q_EUlS1P_E_NS1_11comp_targetILNS1_3genE10ELNS1_11target_archE1200ELNS1_3gpuE4ELNS1_3repE0EEENS1_30default_config_static_selectorELNS0_4arch9wavefront6targetE1EEEvS12_
    .private_segment_fixed_size: 0
    .sgpr_count:     4
    .sgpr_spill_count: 0
    .symbol:         _ZN7rocprim17ROCPRIM_400000_NS6detail17trampoline_kernelINS0_13select_configILj256ELj13ELNS0_17block_load_methodE3ELS4_3ELS4_3ELNS0_20block_scan_algorithmE0ELj4294967295EEENS1_25partition_config_selectorILNS1_17partition_subalgoE4EjNS0_10empty_typeEbEEZZNS1_14partition_implILS8_4ELb0ES6_15HIP_vector_typeIjLj2EENS0_17counting_iteratorIjlEEPS9_SG_NS0_5tupleIJPjSI_NS0_16reverse_iteratorISI_EEEEENSH_IJSG_SG_SG_EEES9_SI_JZNS1_25segmented_radix_sort_implINS0_14default_configELb1EPKiPiPKlPlN2at6native12_GLOBAL__N_18offset_tEEE10hipError_tPvRmT1_PNSt15iterator_traitsIS12_E10value_typeET2_T3_PNS13_IS18_E10value_typeET4_jRbjT5_S1E_jjP12ihipStream_tbEUljE_ZNSN_ISO_Lb1ESQ_SR_ST_SU_SY_EESZ_S10_S11_S12_S16_S17_S18_S1B_S1C_jS1D_jS1E_S1E_jjS1G_bEUljE0_EEESZ_S10_S11_S18_S1C_S1E_T6_T7_T9_mT8_S1G_bDpT10_ENKUlT_T0_E_clISt17integral_constantIbLb1EES1T_IbLb0EEEEDaS1P_S1Q_EUlS1P_E_NS1_11comp_targetILNS1_3genE10ELNS1_11target_archE1200ELNS1_3gpuE4ELNS1_3repE0EEENS1_30default_config_static_selectorELNS0_4arch9wavefront6targetE1EEEvS12_.kd
    .uniform_work_group_size: 1
    .uses_dynamic_stack: false
    .vgpr_count:     0
    .vgpr_spill_count: 0
    .wavefront_size: 64
  - .args:
      - .offset:         0
        .size:           176
        .value_kind:     by_value
    .group_segment_fixed_size: 0
    .kernarg_segment_align: 8
    .kernarg_segment_size: 176
    .language:       OpenCL C
    .language_version:
      - 2
      - 0
    .max_flat_workgroup_size: 256
    .name:           _ZN7rocprim17ROCPRIM_400000_NS6detail17trampoline_kernelINS0_13select_configILj256ELj13ELNS0_17block_load_methodE3ELS4_3ELS4_3ELNS0_20block_scan_algorithmE0ELj4294967295EEENS1_25partition_config_selectorILNS1_17partition_subalgoE4EjNS0_10empty_typeEbEEZZNS1_14partition_implILS8_4ELb0ES6_15HIP_vector_typeIjLj2EENS0_17counting_iteratorIjlEEPS9_SG_NS0_5tupleIJPjSI_NS0_16reverse_iteratorISI_EEEEENSH_IJSG_SG_SG_EEES9_SI_JZNS1_25segmented_radix_sort_implINS0_14default_configELb1EPKiPiPKlPlN2at6native12_GLOBAL__N_18offset_tEEE10hipError_tPvRmT1_PNSt15iterator_traitsIS12_E10value_typeET2_T3_PNS13_IS18_E10value_typeET4_jRbjT5_S1E_jjP12ihipStream_tbEUljE_ZNSN_ISO_Lb1ESQ_SR_ST_SU_SY_EESZ_S10_S11_S12_S16_S17_S18_S1B_S1C_jS1D_jS1E_S1E_jjS1G_bEUljE0_EEESZ_S10_S11_S18_S1C_S1E_T6_T7_T9_mT8_S1G_bDpT10_ENKUlT_T0_E_clISt17integral_constantIbLb1EES1T_IbLb0EEEEDaS1P_S1Q_EUlS1P_E_NS1_11comp_targetILNS1_3genE9ELNS1_11target_archE1100ELNS1_3gpuE3ELNS1_3repE0EEENS1_30default_config_static_selectorELNS0_4arch9wavefront6targetE1EEEvS12_
    .private_segment_fixed_size: 0
    .sgpr_count:     4
    .sgpr_spill_count: 0
    .symbol:         _ZN7rocprim17ROCPRIM_400000_NS6detail17trampoline_kernelINS0_13select_configILj256ELj13ELNS0_17block_load_methodE3ELS4_3ELS4_3ELNS0_20block_scan_algorithmE0ELj4294967295EEENS1_25partition_config_selectorILNS1_17partition_subalgoE4EjNS0_10empty_typeEbEEZZNS1_14partition_implILS8_4ELb0ES6_15HIP_vector_typeIjLj2EENS0_17counting_iteratorIjlEEPS9_SG_NS0_5tupleIJPjSI_NS0_16reverse_iteratorISI_EEEEENSH_IJSG_SG_SG_EEES9_SI_JZNS1_25segmented_radix_sort_implINS0_14default_configELb1EPKiPiPKlPlN2at6native12_GLOBAL__N_18offset_tEEE10hipError_tPvRmT1_PNSt15iterator_traitsIS12_E10value_typeET2_T3_PNS13_IS18_E10value_typeET4_jRbjT5_S1E_jjP12ihipStream_tbEUljE_ZNSN_ISO_Lb1ESQ_SR_ST_SU_SY_EESZ_S10_S11_S12_S16_S17_S18_S1B_S1C_jS1D_jS1E_S1E_jjS1G_bEUljE0_EEESZ_S10_S11_S18_S1C_S1E_T6_T7_T9_mT8_S1G_bDpT10_ENKUlT_T0_E_clISt17integral_constantIbLb1EES1T_IbLb0EEEEDaS1P_S1Q_EUlS1P_E_NS1_11comp_targetILNS1_3genE9ELNS1_11target_archE1100ELNS1_3gpuE3ELNS1_3repE0EEENS1_30default_config_static_selectorELNS0_4arch9wavefront6targetE1EEEvS12_.kd
    .uniform_work_group_size: 1
    .uses_dynamic_stack: false
    .vgpr_count:     0
    .vgpr_spill_count: 0
    .wavefront_size: 64
  - .args:
      - .offset:         0
        .size:           176
        .value_kind:     by_value
    .group_segment_fixed_size: 0
    .kernarg_segment_align: 8
    .kernarg_segment_size: 176
    .language:       OpenCL C
    .language_version:
      - 2
      - 0
    .max_flat_workgroup_size: 256
    .name:           _ZN7rocprim17ROCPRIM_400000_NS6detail17trampoline_kernelINS0_13select_configILj256ELj13ELNS0_17block_load_methodE3ELS4_3ELS4_3ELNS0_20block_scan_algorithmE0ELj4294967295EEENS1_25partition_config_selectorILNS1_17partition_subalgoE4EjNS0_10empty_typeEbEEZZNS1_14partition_implILS8_4ELb0ES6_15HIP_vector_typeIjLj2EENS0_17counting_iteratorIjlEEPS9_SG_NS0_5tupleIJPjSI_NS0_16reverse_iteratorISI_EEEEENSH_IJSG_SG_SG_EEES9_SI_JZNS1_25segmented_radix_sort_implINS0_14default_configELb1EPKiPiPKlPlN2at6native12_GLOBAL__N_18offset_tEEE10hipError_tPvRmT1_PNSt15iterator_traitsIS12_E10value_typeET2_T3_PNS13_IS18_E10value_typeET4_jRbjT5_S1E_jjP12ihipStream_tbEUljE_ZNSN_ISO_Lb1ESQ_SR_ST_SU_SY_EESZ_S10_S11_S12_S16_S17_S18_S1B_S1C_jS1D_jS1E_S1E_jjS1G_bEUljE0_EEESZ_S10_S11_S18_S1C_S1E_T6_T7_T9_mT8_S1G_bDpT10_ENKUlT_T0_E_clISt17integral_constantIbLb1EES1T_IbLb0EEEEDaS1P_S1Q_EUlS1P_E_NS1_11comp_targetILNS1_3genE8ELNS1_11target_archE1030ELNS1_3gpuE2ELNS1_3repE0EEENS1_30default_config_static_selectorELNS0_4arch9wavefront6targetE1EEEvS12_
    .private_segment_fixed_size: 0
    .sgpr_count:     4
    .sgpr_spill_count: 0
    .symbol:         _ZN7rocprim17ROCPRIM_400000_NS6detail17trampoline_kernelINS0_13select_configILj256ELj13ELNS0_17block_load_methodE3ELS4_3ELS4_3ELNS0_20block_scan_algorithmE0ELj4294967295EEENS1_25partition_config_selectorILNS1_17partition_subalgoE4EjNS0_10empty_typeEbEEZZNS1_14partition_implILS8_4ELb0ES6_15HIP_vector_typeIjLj2EENS0_17counting_iteratorIjlEEPS9_SG_NS0_5tupleIJPjSI_NS0_16reverse_iteratorISI_EEEEENSH_IJSG_SG_SG_EEES9_SI_JZNS1_25segmented_radix_sort_implINS0_14default_configELb1EPKiPiPKlPlN2at6native12_GLOBAL__N_18offset_tEEE10hipError_tPvRmT1_PNSt15iterator_traitsIS12_E10value_typeET2_T3_PNS13_IS18_E10value_typeET4_jRbjT5_S1E_jjP12ihipStream_tbEUljE_ZNSN_ISO_Lb1ESQ_SR_ST_SU_SY_EESZ_S10_S11_S12_S16_S17_S18_S1B_S1C_jS1D_jS1E_S1E_jjS1G_bEUljE0_EEESZ_S10_S11_S18_S1C_S1E_T6_T7_T9_mT8_S1G_bDpT10_ENKUlT_T0_E_clISt17integral_constantIbLb1EES1T_IbLb0EEEEDaS1P_S1Q_EUlS1P_E_NS1_11comp_targetILNS1_3genE8ELNS1_11target_archE1030ELNS1_3gpuE2ELNS1_3repE0EEENS1_30default_config_static_selectorELNS0_4arch9wavefront6targetE1EEEvS12_.kd
    .uniform_work_group_size: 1
    .uses_dynamic_stack: false
    .vgpr_count:     0
    .vgpr_spill_count: 0
    .wavefront_size: 64
  - .args:
      - .offset:         0
        .size:           184
        .value_kind:     by_value
    .group_segment_fixed_size: 0
    .kernarg_segment_align: 8
    .kernarg_segment_size: 184
    .language:       OpenCL C
    .language_version:
      - 2
      - 0
    .max_flat_workgroup_size: 256
    .name:           _ZN7rocprim17ROCPRIM_400000_NS6detail17trampoline_kernelINS0_13select_configILj256ELj13ELNS0_17block_load_methodE3ELS4_3ELS4_3ELNS0_20block_scan_algorithmE0ELj4294967295EEENS1_25partition_config_selectorILNS1_17partition_subalgoE4EjNS0_10empty_typeEbEEZZNS1_14partition_implILS8_4ELb0ES6_15HIP_vector_typeIjLj2EENS0_17counting_iteratorIjlEEPS9_SG_NS0_5tupleIJPjSI_NS0_16reverse_iteratorISI_EEEEENSH_IJSG_SG_SG_EEES9_SI_JZNS1_25segmented_radix_sort_implINS0_14default_configELb1EPKiPiPKlPlN2at6native12_GLOBAL__N_18offset_tEEE10hipError_tPvRmT1_PNSt15iterator_traitsIS12_E10value_typeET2_T3_PNS13_IS18_E10value_typeET4_jRbjT5_S1E_jjP12ihipStream_tbEUljE_ZNSN_ISO_Lb1ESQ_SR_ST_SU_SY_EESZ_S10_S11_S12_S16_S17_S18_S1B_S1C_jS1D_jS1E_S1E_jjS1G_bEUljE0_EEESZ_S10_S11_S18_S1C_S1E_T6_T7_T9_mT8_S1G_bDpT10_ENKUlT_T0_E_clISt17integral_constantIbLb0EES1T_IbLb1EEEEDaS1P_S1Q_EUlS1P_E_NS1_11comp_targetILNS1_3genE0ELNS1_11target_archE4294967295ELNS1_3gpuE0ELNS1_3repE0EEENS1_30default_config_static_selectorELNS0_4arch9wavefront6targetE1EEEvS12_
    .private_segment_fixed_size: 0
    .sgpr_count:     4
    .sgpr_spill_count: 0
    .symbol:         _ZN7rocprim17ROCPRIM_400000_NS6detail17trampoline_kernelINS0_13select_configILj256ELj13ELNS0_17block_load_methodE3ELS4_3ELS4_3ELNS0_20block_scan_algorithmE0ELj4294967295EEENS1_25partition_config_selectorILNS1_17partition_subalgoE4EjNS0_10empty_typeEbEEZZNS1_14partition_implILS8_4ELb0ES6_15HIP_vector_typeIjLj2EENS0_17counting_iteratorIjlEEPS9_SG_NS0_5tupleIJPjSI_NS0_16reverse_iteratorISI_EEEEENSH_IJSG_SG_SG_EEES9_SI_JZNS1_25segmented_radix_sort_implINS0_14default_configELb1EPKiPiPKlPlN2at6native12_GLOBAL__N_18offset_tEEE10hipError_tPvRmT1_PNSt15iterator_traitsIS12_E10value_typeET2_T3_PNS13_IS18_E10value_typeET4_jRbjT5_S1E_jjP12ihipStream_tbEUljE_ZNSN_ISO_Lb1ESQ_SR_ST_SU_SY_EESZ_S10_S11_S12_S16_S17_S18_S1B_S1C_jS1D_jS1E_S1E_jjS1G_bEUljE0_EEESZ_S10_S11_S18_S1C_S1E_T6_T7_T9_mT8_S1G_bDpT10_ENKUlT_T0_E_clISt17integral_constantIbLb0EES1T_IbLb1EEEEDaS1P_S1Q_EUlS1P_E_NS1_11comp_targetILNS1_3genE0ELNS1_11target_archE4294967295ELNS1_3gpuE0ELNS1_3repE0EEENS1_30default_config_static_selectorELNS0_4arch9wavefront6targetE1EEEvS12_.kd
    .uniform_work_group_size: 1
    .uses_dynamic_stack: false
    .vgpr_count:     0
    .vgpr_spill_count: 0
    .wavefront_size: 64
  - .args:
      - .offset:         0
        .size:           184
        .value_kind:     by_value
    .group_segment_fixed_size: 0
    .kernarg_segment_align: 8
    .kernarg_segment_size: 184
    .language:       OpenCL C
    .language_version:
      - 2
      - 0
    .max_flat_workgroup_size: 256
    .name:           _ZN7rocprim17ROCPRIM_400000_NS6detail17trampoline_kernelINS0_13select_configILj256ELj13ELNS0_17block_load_methodE3ELS4_3ELS4_3ELNS0_20block_scan_algorithmE0ELj4294967295EEENS1_25partition_config_selectorILNS1_17partition_subalgoE4EjNS0_10empty_typeEbEEZZNS1_14partition_implILS8_4ELb0ES6_15HIP_vector_typeIjLj2EENS0_17counting_iteratorIjlEEPS9_SG_NS0_5tupleIJPjSI_NS0_16reverse_iteratorISI_EEEEENSH_IJSG_SG_SG_EEES9_SI_JZNS1_25segmented_radix_sort_implINS0_14default_configELb1EPKiPiPKlPlN2at6native12_GLOBAL__N_18offset_tEEE10hipError_tPvRmT1_PNSt15iterator_traitsIS12_E10value_typeET2_T3_PNS13_IS18_E10value_typeET4_jRbjT5_S1E_jjP12ihipStream_tbEUljE_ZNSN_ISO_Lb1ESQ_SR_ST_SU_SY_EESZ_S10_S11_S12_S16_S17_S18_S1B_S1C_jS1D_jS1E_S1E_jjS1G_bEUljE0_EEESZ_S10_S11_S18_S1C_S1E_T6_T7_T9_mT8_S1G_bDpT10_ENKUlT_T0_E_clISt17integral_constantIbLb0EES1T_IbLb1EEEEDaS1P_S1Q_EUlS1P_E_NS1_11comp_targetILNS1_3genE5ELNS1_11target_archE942ELNS1_3gpuE9ELNS1_3repE0EEENS1_30default_config_static_selectorELNS0_4arch9wavefront6targetE1EEEvS12_
    .private_segment_fixed_size: 0
    .sgpr_count:     4
    .sgpr_spill_count: 0
    .symbol:         _ZN7rocprim17ROCPRIM_400000_NS6detail17trampoline_kernelINS0_13select_configILj256ELj13ELNS0_17block_load_methodE3ELS4_3ELS4_3ELNS0_20block_scan_algorithmE0ELj4294967295EEENS1_25partition_config_selectorILNS1_17partition_subalgoE4EjNS0_10empty_typeEbEEZZNS1_14partition_implILS8_4ELb0ES6_15HIP_vector_typeIjLj2EENS0_17counting_iteratorIjlEEPS9_SG_NS0_5tupleIJPjSI_NS0_16reverse_iteratorISI_EEEEENSH_IJSG_SG_SG_EEES9_SI_JZNS1_25segmented_radix_sort_implINS0_14default_configELb1EPKiPiPKlPlN2at6native12_GLOBAL__N_18offset_tEEE10hipError_tPvRmT1_PNSt15iterator_traitsIS12_E10value_typeET2_T3_PNS13_IS18_E10value_typeET4_jRbjT5_S1E_jjP12ihipStream_tbEUljE_ZNSN_ISO_Lb1ESQ_SR_ST_SU_SY_EESZ_S10_S11_S12_S16_S17_S18_S1B_S1C_jS1D_jS1E_S1E_jjS1G_bEUljE0_EEESZ_S10_S11_S18_S1C_S1E_T6_T7_T9_mT8_S1G_bDpT10_ENKUlT_T0_E_clISt17integral_constantIbLb0EES1T_IbLb1EEEEDaS1P_S1Q_EUlS1P_E_NS1_11comp_targetILNS1_3genE5ELNS1_11target_archE942ELNS1_3gpuE9ELNS1_3repE0EEENS1_30default_config_static_selectorELNS0_4arch9wavefront6targetE1EEEvS12_.kd
    .uniform_work_group_size: 1
    .uses_dynamic_stack: false
    .vgpr_count:     0
    .vgpr_spill_count: 0
    .wavefront_size: 64
  - .args:
      - .offset:         0
        .size:           184
        .value_kind:     by_value
    .group_segment_fixed_size: 0
    .kernarg_segment_align: 8
    .kernarg_segment_size: 184
    .language:       OpenCL C
    .language_version:
      - 2
      - 0
    .max_flat_workgroup_size: 256
    .name:           _ZN7rocprim17ROCPRIM_400000_NS6detail17trampoline_kernelINS0_13select_configILj256ELj13ELNS0_17block_load_methodE3ELS4_3ELS4_3ELNS0_20block_scan_algorithmE0ELj4294967295EEENS1_25partition_config_selectorILNS1_17partition_subalgoE4EjNS0_10empty_typeEbEEZZNS1_14partition_implILS8_4ELb0ES6_15HIP_vector_typeIjLj2EENS0_17counting_iteratorIjlEEPS9_SG_NS0_5tupleIJPjSI_NS0_16reverse_iteratorISI_EEEEENSH_IJSG_SG_SG_EEES9_SI_JZNS1_25segmented_radix_sort_implINS0_14default_configELb1EPKiPiPKlPlN2at6native12_GLOBAL__N_18offset_tEEE10hipError_tPvRmT1_PNSt15iterator_traitsIS12_E10value_typeET2_T3_PNS13_IS18_E10value_typeET4_jRbjT5_S1E_jjP12ihipStream_tbEUljE_ZNSN_ISO_Lb1ESQ_SR_ST_SU_SY_EESZ_S10_S11_S12_S16_S17_S18_S1B_S1C_jS1D_jS1E_S1E_jjS1G_bEUljE0_EEESZ_S10_S11_S18_S1C_S1E_T6_T7_T9_mT8_S1G_bDpT10_ENKUlT_T0_E_clISt17integral_constantIbLb0EES1T_IbLb1EEEEDaS1P_S1Q_EUlS1P_E_NS1_11comp_targetILNS1_3genE4ELNS1_11target_archE910ELNS1_3gpuE8ELNS1_3repE0EEENS1_30default_config_static_selectorELNS0_4arch9wavefront6targetE1EEEvS12_
    .private_segment_fixed_size: 0
    .sgpr_count:     4
    .sgpr_spill_count: 0
    .symbol:         _ZN7rocprim17ROCPRIM_400000_NS6detail17trampoline_kernelINS0_13select_configILj256ELj13ELNS0_17block_load_methodE3ELS4_3ELS4_3ELNS0_20block_scan_algorithmE0ELj4294967295EEENS1_25partition_config_selectorILNS1_17partition_subalgoE4EjNS0_10empty_typeEbEEZZNS1_14partition_implILS8_4ELb0ES6_15HIP_vector_typeIjLj2EENS0_17counting_iteratorIjlEEPS9_SG_NS0_5tupleIJPjSI_NS0_16reverse_iteratorISI_EEEEENSH_IJSG_SG_SG_EEES9_SI_JZNS1_25segmented_radix_sort_implINS0_14default_configELb1EPKiPiPKlPlN2at6native12_GLOBAL__N_18offset_tEEE10hipError_tPvRmT1_PNSt15iterator_traitsIS12_E10value_typeET2_T3_PNS13_IS18_E10value_typeET4_jRbjT5_S1E_jjP12ihipStream_tbEUljE_ZNSN_ISO_Lb1ESQ_SR_ST_SU_SY_EESZ_S10_S11_S12_S16_S17_S18_S1B_S1C_jS1D_jS1E_S1E_jjS1G_bEUljE0_EEESZ_S10_S11_S18_S1C_S1E_T6_T7_T9_mT8_S1G_bDpT10_ENKUlT_T0_E_clISt17integral_constantIbLb0EES1T_IbLb1EEEEDaS1P_S1Q_EUlS1P_E_NS1_11comp_targetILNS1_3genE4ELNS1_11target_archE910ELNS1_3gpuE8ELNS1_3repE0EEENS1_30default_config_static_selectorELNS0_4arch9wavefront6targetE1EEEvS12_.kd
    .uniform_work_group_size: 1
    .uses_dynamic_stack: false
    .vgpr_count:     0
    .vgpr_spill_count: 0
    .wavefront_size: 64
  - .args:
      - .offset:         0
        .size:           184
        .value_kind:     by_value
    .group_segment_fixed_size: 0
    .kernarg_segment_align: 8
    .kernarg_segment_size: 184
    .language:       OpenCL C
    .language_version:
      - 2
      - 0
    .max_flat_workgroup_size: 256
    .name:           _ZN7rocprim17ROCPRIM_400000_NS6detail17trampoline_kernelINS0_13select_configILj256ELj13ELNS0_17block_load_methodE3ELS4_3ELS4_3ELNS0_20block_scan_algorithmE0ELj4294967295EEENS1_25partition_config_selectorILNS1_17partition_subalgoE4EjNS0_10empty_typeEbEEZZNS1_14partition_implILS8_4ELb0ES6_15HIP_vector_typeIjLj2EENS0_17counting_iteratorIjlEEPS9_SG_NS0_5tupleIJPjSI_NS0_16reverse_iteratorISI_EEEEENSH_IJSG_SG_SG_EEES9_SI_JZNS1_25segmented_radix_sort_implINS0_14default_configELb1EPKiPiPKlPlN2at6native12_GLOBAL__N_18offset_tEEE10hipError_tPvRmT1_PNSt15iterator_traitsIS12_E10value_typeET2_T3_PNS13_IS18_E10value_typeET4_jRbjT5_S1E_jjP12ihipStream_tbEUljE_ZNSN_ISO_Lb1ESQ_SR_ST_SU_SY_EESZ_S10_S11_S12_S16_S17_S18_S1B_S1C_jS1D_jS1E_S1E_jjS1G_bEUljE0_EEESZ_S10_S11_S18_S1C_S1E_T6_T7_T9_mT8_S1G_bDpT10_ENKUlT_T0_E_clISt17integral_constantIbLb0EES1T_IbLb1EEEEDaS1P_S1Q_EUlS1P_E_NS1_11comp_targetILNS1_3genE3ELNS1_11target_archE908ELNS1_3gpuE7ELNS1_3repE0EEENS1_30default_config_static_selectorELNS0_4arch9wavefront6targetE1EEEvS12_
    .private_segment_fixed_size: 0
    .sgpr_count:     4
    .sgpr_spill_count: 0
    .symbol:         _ZN7rocprim17ROCPRIM_400000_NS6detail17trampoline_kernelINS0_13select_configILj256ELj13ELNS0_17block_load_methodE3ELS4_3ELS4_3ELNS0_20block_scan_algorithmE0ELj4294967295EEENS1_25partition_config_selectorILNS1_17partition_subalgoE4EjNS0_10empty_typeEbEEZZNS1_14partition_implILS8_4ELb0ES6_15HIP_vector_typeIjLj2EENS0_17counting_iteratorIjlEEPS9_SG_NS0_5tupleIJPjSI_NS0_16reverse_iteratorISI_EEEEENSH_IJSG_SG_SG_EEES9_SI_JZNS1_25segmented_radix_sort_implINS0_14default_configELb1EPKiPiPKlPlN2at6native12_GLOBAL__N_18offset_tEEE10hipError_tPvRmT1_PNSt15iterator_traitsIS12_E10value_typeET2_T3_PNS13_IS18_E10value_typeET4_jRbjT5_S1E_jjP12ihipStream_tbEUljE_ZNSN_ISO_Lb1ESQ_SR_ST_SU_SY_EESZ_S10_S11_S12_S16_S17_S18_S1B_S1C_jS1D_jS1E_S1E_jjS1G_bEUljE0_EEESZ_S10_S11_S18_S1C_S1E_T6_T7_T9_mT8_S1G_bDpT10_ENKUlT_T0_E_clISt17integral_constantIbLb0EES1T_IbLb1EEEEDaS1P_S1Q_EUlS1P_E_NS1_11comp_targetILNS1_3genE3ELNS1_11target_archE908ELNS1_3gpuE7ELNS1_3repE0EEENS1_30default_config_static_selectorELNS0_4arch9wavefront6targetE1EEEvS12_.kd
    .uniform_work_group_size: 1
    .uses_dynamic_stack: false
    .vgpr_count:     0
    .vgpr_spill_count: 0
    .wavefront_size: 64
  - .args:
      - .offset:         0
        .size:           184
        .value_kind:     by_value
    .group_segment_fixed_size: 13328
    .kernarg_segment_align: 8
    .kernarg_segment_size: 184
    .language:       OpenCL C
    .language_version:
      - 2
      - 0
    .max_flat_workgroup_size: 256
    .name:           _ZN7rocprim17ROCPRIM_400000_NS6detail17trampoline_kernelINS0_13select_configILj256ELj13ELNS0_17block_load_methodE3ELS4_3ELS4_3ELNS0_20block_scan_algorithmE0ELj4294967295EEENS1_25partition_config_selectorILNS1_17partition_subalgoE4EjNS0_10empty_typeEbEEZZNS1_14partition_implILS8_4ELb0ES6_15HIP_vector_typeIjLj2EENS0_17counting_iteratorIjlEEPS9_SG_NS0_5tupleIJPjSI_NS0_16reverse_iteratorISI_EEEEENSH_IJSG_SG_SG_EEES9_SI_JZNS1_25segmented_radix_sort_implINS0_14default_configELb1EPKiPiPKlPlN2at6native12_GLOBAL__N_18offset_tEEE10hipError_tPvRmT1_PNSt15iterator_traitsIS12_E10value_typeET2_T3_PNS13_IS18_E10value_typeET4_jRbjT5_S1E_jjP12ihipStream_tbEUljE_ZNSN_ISO_Lb1ESQ_SR_ST_SU_SY_EESZ_S10_S11_S12_S16_S17_S18_S1B_S1C_jS1D_jS1E_S1E_jjS1G_bEUljE0_EEESZ_S10_S11_S18_S1C_S1E_T6_T7_T9_mT8_S1G_bDpT10_ENKUlT_T0_E_clISt17integral_constantIbLb0EES1T_IbLb1EEEEDaS1P_S1Q_EUlS1P_E_NS1_11comp_targetILNS1_3genE2ELNS1_11target_archE906ELNS1_3gpuE6ELNS1_3repE0EEENS1_30default_config_static_selectorELNS0_4arch9wavefront6targetE1EEEvS12_
    .private_segment_fixed_size: 0
    .sgpr_count:     91
    .sgpr_spill_count: 0
    .symbol:         _ZN7rocprim17ROCPRIM_400000_NS6detail17trampoline_kernelINS0_13select_configILj256ELj13ELNS0_17block_load_methodE3ELS4_3ELS4_3ELNS0_20block_scan_algorithmE0ELj4294967295EEENS1_25partition_config_selectorILNS1_17partition_subalgoE4EjNS0_10empty_typeEbEEZZNS1_14partition_implILS8_4ELb0ES6_15HIP_vector_typeIjLj2EENS0_17counting_iteratorIjlEEPS9_SG_NS0_5tupleIJPjSI_NS0_16reverse_iteratorISI_EEEEENSH_IJSG_SG_SG_EEES9_SI_JZNS1_25segmented_radix_sort_implINS0_14default_configELb1EPKiPiPKlPlN2at6native12_GLOBAL__N_18offset_tEEE10hipError_tPvRmT1_PNSt15iterator_traitsIS12_E10value_typeET2_T3_PNS13_IS18_E10value_typeET4_jRbjT5_S1E_jjP12ihipStream_tbEUljE_ZNSN_ISO_Lb1ESQ_SR_ST_SU_SY_EESZ_S10_S11_S12_S16_S17_S18_S1B_S1C_jS1D_jS1E_S1E_jjS1G_bEUljE0_EEESZ_S10_S11_S18_S1C_S1E_T6_T7_T9_mT8_S1G_bDpT10_ENKUlT_T0_E_clISt17integral_constantIbLb0EES1T_IbLb1EEEEDaS1P_S1Q_EUlS1P_E_NS1_11comp_targetILNS1_3genE2ELNS1_11target_archE906ELNS1_3gpuE6ELNS1_3repE0EEENS1_30default_config_static_selectorELNS0_4arch9wavefront6targetE1EEEvS12_.kd
    .uniform_work_group_size: 1
    .uses_dynamic_stack: false
    .vgpr_count:     91
    .vgpr_spill_count: 0
    .wavefront_size: 64
  - .args:
      - .offset:         0
        .size:           184
        .value_kind:     by_value
    .group_segment_fixed_size: 0
    .kernarg_segment_align: 8
    .kernarg_segment_size: 184
    .language:       OpenCL C
    .language_version:
      - 2
      - 0
    .max_flat_workgroup_size: 256
    .name:           _ZN7rocprim17ROCPRIM_400000_NS6detail17trampoline_kernelINS0_13select_configILj256ELj13ELNS0_17block_load_methodE3ELS4_3ELS4_3ELNS0_20block_scan_algorithmE0ELj4294967295EEENS1_25partition_config_selectorILNS1_17partition_subalgoE4EjNS0_10empty_typeEbEEZZNS1_14partition_implILS8_4ELb0ES6_15HIP_vector_typeIjLj2EENS0_17counting_iteratorIjlEEPS9_SG_NS0_5tupleIJPjSI_NS0_16reverse_iteratorISI_EEEEENSH_IJSG_SG_SG_EEES9_SI_JZNS1_25segmented_radix_sort_implINS0_14default_configELb1EPKiPiPKlPlN2at6native12_GLOBAL__N_18offset_tEEE10hipError_tPvRmT1_PNSt15iterator_traitsIS12_E10value_typeET2_T3_PNS13_IS18_E10value_typeET4_jRbjT5_S1E_jjP12ihipStream_tbEUljE_ZNSN_ISO_Lb1ESQ_SR_ST_SU_SY_EESZ_S10_S11_S12_S16_S17_S18_S1B_S1C_jS1D_jS1E_S1E_jjS1G_bEUljE0_EEESZ_S10_S11_S18_S1C_S1E_T6_T7_T9_mT8_S1G_bDpT10_ENKUlT_T0_E_clISt17integral_constantIbLb0EES1T_IbLb1EEEEDaS1P_S1Q_EUlS1P_E_NS1_11comp_targetILNS1_3genE10ELNS1_11target_archE1200ELNS1_3gpuE4ELNS1_3repE0EEENS1_30default_config_static_selectorELNS0_4arch9wavefront6targetE1EEEvS12_
    .private_segment_fixed_size: 0
    .sgpr_count:     4
    .sgpr_spill_count: 0
    .symbol:         _ZN7rocprim17ROCPRIM_400000_NS6detail17trampoline_kernelINS0_13select_configILj256ELj13ELNS0_17block_load_methodE3ELS4_3ELS4_3ELNS0_20block_scan_algorithmE0ELj4294967295EEENS1_25partition_config_selectorILNS1_17partition_subalgoE4EjNS0_10empty_typeEbEEZZNS1_14partition_implILS8_4ELb0ES6_15HIP_vector_typeIjLj2EENS0_17counting_iteratorIjlEEPS9_SG_NS0_5tupleIJPjSI_NS0_16reverse_iteratorISI_EEEEENSH_IJSG_SG_SG_EEES9_SI_JZNS1_25segmented_radix_sort_implINS0_14default_configELb1EPKiPiPKlPlN2at6native12_GLOBAL__N_18offset_tEEE10hipError_tPvRmT1_PNSt15iterator_traitsIS12_E10value_typeET2_T3_PNS13_IS18_E10value_typeET4_jRbjT5_S1E_jjP12ihipStream_tbEUljE_ZNSN_ISO_Lb1ESQ_SR_ST_SU_SY_EESZ_S10_S11_S12_S16_S17_S18_S1B_S1C_jS1D_jS1E_S1E_jjS1G_bEUljE0_EEESZ_S10_S11_S18_S1C_S1E_T6_T7_T9_mT8_S1G_bDpT10_ENKUlT_T0_E_clISt17integral_constantIbLb0EES1T_IbLb1EEEEDaS1P_S1Q_EUlS1P_E_NS1_11comp_targetILNS1_3genE10ELNS1_11target_archE1200ELNS1_3gpuE4ELNS1_3repE0EEENS1_30default_config_static_selectorELNS0_4arch9wavefront6targetE1EEEvS12_.kd
    .uniform_work_group_size: 1
    .uses_dynamic_stack: false
    .vgpr_count:     0
    .vgpr_spill_count: 0
    .wavefront_size: 64
  - .args:
      - .offset:         0
        .size:           184
        .value_kind:     by_value
    .group_segment_fixed_size: 0
    .kernarg_segment_align: 8
    .kernarg_segment_size: 184
    .language:       OpenCL C
    .language_version:
      - 2
      - 0
    .max_flat_workgroup_size: 256
    .name:           _ZN7rocprim17ROCPRIM_400000_NS6detail17trampoline_kernelINS0_13select_configILj256ELj13ELNS0_17block_load_methodE3ELS4_3ELS4_3ELNS0_20block_scan_algorithmE0ELj4294967295EEENS1_25partition_config_selectorILNS1_17partition_subalgoE4EjNS0_10empty_typeEbEEZZNS1_14partition_implILS8_4ELb0ES6_15HIP_vector_typeIjLj2EENS0_17counting_iteratorIjlEEPS9_SG_NS0_5tupleIJPjSI_NS0_16reverse_iteratorISI_EEEEENSH_IJSG_SG_SG_EEES9_SI_JZNS1_25segmented_radix_sort_implINS0_14default_configELb1EPKiPiPKlPlN2at6native12_GLOBAL__N_18offset_tEEE10hipError_tPvRmT1_PNSt15iterator_traitsIS12_E10value_typeET2_T3_PNS13_IS18_E10value_typeET4_jRbjT5_S1E_jjP12ihipStream_tbEUljE_ZNSN_ISO_Lb1ESQ_SR_ST_SU_SY_EESZ_S10_S11_S12_S16_S17_S18_S1B_S1C_jS1D_jS1E_S1E_jjS1G_bEUljE0_EEESZ_S10_S11_S18_S1C_S1E_T6_T7_T9_mT8_S1G_bDpT10_ENKUlT_T0_E_clISt17integral_constantIbLb0EES1T_IbLb1EEEEDaS1P_S1Q_EUlS1P_E_NS1_11comp_targetILNS1_3genE9ELNS1_11target_archE1100ELNS1_3gpuE3ELNS1_3repE0EEENS1_30default_config_static_selectorELNS0_4arch9wavefront6targetE1EEEvS12_
    .private_segment_fixed_size: 0
    .sgpr_count:     4
    .sgpr_spill_count: 0
    .symbol:         _ZN7rocprim17ROCPRIM_400000_NS6detail17trampoline_kernelINS0_13select_configILj256ELj13ELNS0_17block_load_methodE3ELS4_3ELS4_3ELNS0_20block_scan_algorithmE0ELj4294967295EEENS1_25partition_config_selectorILNS1_17partition_subalgoE4EjNS0_10empty_typeEbEEZZNS1_14partition_implILS8_4ELb0ES6_15HIP_vector_typeIjLj2EENS0_17counting_iteratorIjlEEPS9_SG_NS0_5tupleIJPjSI_NS0_16reverse_iteratorISI_EEEEENSH_IJSG_SG_SG_EEES9_SI_JZNS1_25segmented_radix_sort_implINS0_14default_configELb1EPKiPiPKlPlN2at6native12_GLOBAL__N_18offset_tEEE10hipError_tPvRmT1_PNSt15iterator_traitsIS12_E10value_typeET2_T3_PNS13_IS18_E10value_typeET4_jRbjT5_S1E_jjP12ihipStream_tbEUljE_ZNSN_ISO_Lb1ESQ_SR_ST_SU_SY_EESZ_S10_S11_S12_S16_S17_S18_S1B_S1C_jS1D_jS1E_S1E_jjS1G_bEUljE0_EEESZ_S10_S11_S18_S1C_S1E_T6_T7_T9_mT8_S1G_bDpT10_ENKUlT_T0_E_clISt17integral_constantIbLb0EES1T_IbLb1EEEEDaS1P_S1Q_EUlS1P_E_NS1_11comp_targetILNS1_3genE9ELNS1_11target_archE1100ELNS1_3gpuE3ELNS1_3repE0EEENS1_30default_config_static_selectorELNS0_4arch9wavefront6targetE1EEEvS12_.kd
    .uniform_work_group_size: 1
    .uses_dynamic_stack: false
    .vgpr_count:     0
    .vgpr_spill_count: 0
    .wavefront_size: 64
  - .args:
      - .offset:         0
        .size:           184
        .value_kind:     by_value
    .group_segment_fixed_size: 0
    .kernarg_segment_align: 8
    .kernarg_segment_size: 184
    .language:       OpenCL C
    .language_version:
      - 2
      - 0
    .max_flat_workgroup_size: 256
    .name:           _ZN7rocprim17ROCPRIM_400000_NS6detail17trampoline_kernelINS0_13select_configILj256ELj13ELNS0_17block_load_methodE3ELS4_3ELS4_3ELNS0_20block_scan_algorithmE0ELj4294967295EEENS1_25partition_config_selectorILNS1_17partition_subalgoE4EjNS0_10empty_typeEbEEZZNS1_14partition_implILS8_4ELb0ES6_15HIP_vector_typeIjLj2EENS0_17counting_iteratorIjlEEPS9_SG_NS0_5tupleIJPjSI_NS0_16reverse_iteratorISI_EEEEENSH_IJSG_SG_SG_EEES9_SI_JZNS1_25segmented_radix_sort_implINS0_14default_configELb1EPKiPiPKlPlN2at6native12_GLOBAL__N_18offset_tEEE10hipError_tPvRmT1_PNSt15iterator_traitsIS12_E10value_typeET2_T3_PNS13_IS18_E10value_typeET4_jRbjT5_S1E_jjP12ihipStream_tbEUljE_ZNSN_ISO_Lb1ESQ_SR_ST_SU_SY_EESZ_S10_S11_S12_S16_S17_S18_S1B_S1C_jS1D_jS1E_S1E_jjS1G_bEUljE0_EEESZ_S10_S11_S18_S1C_S1E_T6_T7_T9_mT8_S1G_bDpT10_ENKUlT_T0_E_clISt17integral_constantIbLb0EES1T_IbLb1EEEEDaS1P_S1Q_EUlS1P_E_NS1_11comp_targetILNS1_3genE8ELNS1_11target_archE1030ELNS1_3gpuE2ELNS1_3repE0EEENS1_30default_config_static_selectorELNS0_4arch9wavefront6targetE1EEEvS12_
    .private_segment_fixed_size: 0
    .sgpr_count:     4
    .sgpr_spill_count: 0
    .symbol:         _ZN7rocprim17ROCPRIM_400000_NS6detail17trampoline_kernelINS0_13select_configILj256ELj13ELNS0_17block_load_methodE3ELS4_3ELS4_3ELNS0_20block_scan_algorithmE0ELj4294967295EEENS1_25partition_config_selectorILNS1_17partition_subalgoE4EjNS0_10empty_typeEbEEZZNS1_14partition_implILS8_4ELb0ES6_15HIP_vector_typeIjLj2EENS0_17counting_iteratorIjlEEPS9_SG_NS0_5tupleIJPjSI_NS0_16reverse_iteratorISI_EEEEENSH_IJSG_SG_SG_EEES9_SI_JZNS1_25segmented_radix_sort_implINS0_14default_configELb1EPKiPiPKlPlN2at6native12_GLOBAL__N_18offset_tEEE10hipError_tPvRmT1_PNSt15iterator_traitsIS12_E10value_typeET2_T3_PNS13_IS18_E10value_typeET4_jRbjT5_S1E_jjP12ihipStream_tbEUljE_ZNSN_ISO_Lb1ESQ_SR_ST_SU_SY_EESZ_S10_S11_S12_S16_S17_S18_S1B_S1C_jS1D_jS1E_S1E_jjS1G_bEUljE0_EEESZ_S10_S11_S18_S1C_S1E_T6_T7_T9_mT8_S1G_bDpT10_ENKUlT_T0_E_clISt17integral_constantIbLb0EES1T_IbLb1EEEEDaS1P_S1Q_EUlS1P_E_NS1_11comp_targetILNS1_3genE8ELNS1_11target_archE1030ELNS1_3gpuE2ELNS1_3repE0EEENS1_30default_config_static_selectorELNS0_4arch9wavefront6targetE1EEEvS12_.kd
    .uniform_work_group_size: 1
    .uses_dynamic_stack: false
    .vgpr_count:     0
    .vgpr_spill_count: 0
    .wavefront_size: 64
  - .args:
      - .offset:         0
        .size:           144
        .value_kind:     by_value
    .group_segment_fixed_size: 0
    .kernarg_segment_align: 8
    .kernarg_segment_size: 144
    .language:       OpenCL C
    .language_version:
      - 2
      - 0
    .max_flat_workgroup_size: 256
    .name:           _ZN7rocprim17ROCPRIM_400000_NS6detail17trampoline_kernelINS0_13select_configILj256ELj13ELNS0_17block_load_methodE3ELS4_3ELS4_3ELNS0_20block_scan_algorithmE0ELj4294967295EEENS1_25partition_config_selectorILNS1_17partition_subalgoE3EjNS0_10empty_typeEbEEZZNS1_14partition_implILS8_3ELb0ES6_jNS0_17counting_iteratorIjlEEPS9_SE_NS0_5tupleIJPjSE_EEENSF_IJSE_SE_EEES9_SG_JZNS1_25segmented_radix_sort_implINS0_14default_configELb1EPKiPiPKlPlN2at6native12_GLOBAL__N_18offset_tEEE10hipError_tPvRmT1_PNSt15iterator_traitsISY_E10value_typeET2_T3_PNSZ_IS14_E10value_typeET4_jRbjT5_S1A_jjP12ihipStream_tbEUljE_EEESV_SW_SX_S14_S18_S1A_T6_T7_T9_mT8_S1C_bDpT10_ENKUlT_T0_E_clISt17integral_constantIbLb0EES1P_EEDaS1K_S1L_EUlS1K_E_NS1_11comp_targetILNS1_3genE0ELNS1_11target_archE4294967295ELNS1_3gpuE0ELNS1_3repE0EEENS1_30default_config_static_selectorELNS0_4arch9wavefront6targetE1EEEvSY_
    .private_segment_fixed_size: 0
    .sgpr_count:     4
    .sgpr_spill_count: 0
    .symbol:         _ZN7rocprim17ROCPRIM_400000_NS6detail17trampoline_kernelINS0_13select_configILj256ELj13ELNS0_17block_load_methodE3ELS4_3ELS4_3ELNS0_20block_scan_algorithmE0ELj4294967295EEENS1_25partition_config_selectorILNS1_17partition_subalgoE3EjNS0_10empty_typeEbEEZZNS1_14partition_implILS8_3ELb0ES6_jNS0_17counting_iteratorIjlEEPS9_SE_NS0_5tupleIJPjSE_EEENSF_IJSE_SE_EEES9_SG_JZNS1_25segmented_radix_sort_implINS0_14default_configELb1EPKiPiPKlPlN2at6native12_GLOBAL__N_18offset_tEEE10hipError_tPvRmT1_PNSt15iterator_traitsISY_E10value_typeET2_T3_PNSZ_IS14_E10value_typeET4_jRbjT5_S1A_jjP12ihipStream_tbEUljE_EEESV_SW_SX_S14_S18_S1A_T6_T7_T9_mT8_S1C_bDpT10_ENKUlT_T0_E_clISt17integral_constantIbLb0EES1P_EEDaS1K_S1L_EUlS1K_E_NS1_11comp_targetILNS1_3genE0ELNS1_11target_archE4294967295ELNS1_3gpuE0ELNS1_3repE0EEENS1_30default_config_static_selectorELNS0_4arch9wavefront6targetE1EEEvSY_.kd
    .uniform_work_group_size: 1
    .uses_dynamic_stack: false
    .vgpr_count:     0
    .vgpr_spill_count: 0
    .wavefront_size: 64
  - .args:
      - .offset:         0
        .size:           144
        .value_kind:     by_value
    .group_segment_fixed_size: 0
    .kernarg_segment_align: 8
    .kernarg_segment_size: 144
    .language:       OpenCL C
    .language_version:
      - 2
      - 0
    .max_flat_workgroup_size: 256
    .name:           _ZN7rocprim17ROCPRIM_400000_NS6detail17trampoline_kernelINS0_13select_configILj256ELj13ELNS0_17block_load_methodE3ELS4_3ELS4_3ELNS0_20block_scan_algorithmE0ELj4294967295EEENS1_25partition_config_selectorILNS1_17partition_subalgoE3EjNS0_10empty_typeEbEEZZNS1_14partition_implILS8_3ELb0ES6_jNS0_17counting_iteratorIjlEEPS9_SE_NS0_5tupleIJPjSE_EEENSF_IJSE_SE_EEES9_SG_JZNS1_25segmented_radix_sort_implINS0_14default_configELb1EPKiPiPKlPlN2at6native12_GLOBAL__N_18offset_tEEE10hipError_tPvRmT1_PNSt15iterator_traitsISY_E10value_typeET2_T3_PNSZ_IS14_E10value_typeET4_jRbjT5_S1A_jjP12ihipStream_tbEUljE_EEESV_SW_SX_S14_S18_S1A_T6_T7_T9_mT8_S1C_bDpT10_ENKUlT_T0_E_clISt17integral_constantIbLb0EES1P_EEDaS1K_S1L_EUlS1K_E_NS1_11comp_targetILNS1_3genE5ELNS1_11target_archE942ELNS1_3gpuE9ELNS1_3repE0EEENS1_30default_config_static_selectorELNS0_4arch9wavefront6targetE1EEEvSY_
    .private_segment_fixed_size: 0
    .sgpr_count:     4
    .sgpr_spill_count: 0
    .symbol:         _ZN7rocprim17ROCPRIM_400000_NS6detail17trampoline_kernelINS0_13select_configILj256ELj13ELNS0_17block_load_methodE3ELS4_3ELS4_3ELNS0_20block_scan_algorithmE0ELj4294967295EEENS1_25partition_config_selectorILNS1_17partition_subalgoE3EjNS0_10empty_typeEbEEZZNS1_14partition_implILS8_3ELb0ES6_jNS0_17counting_iteratorIjlEEPS9_SE_NS0_5tupleIJPjSE_EEENSF_IJSE_SE_EEES9_SG_JZNS1_25segmented_radix_sort_implINS0_14default_configELb1EPKiPiPKlPlN2at6native12_GLOBAL__N_18offset_tEEE10hipError_tPvRmT1_PNSt15iterator_traitsISY_E10value_typeET2_T3_PNSZ_IS14_E10value_typeET4_jRbjT5_S1A_jjP12ihipStream_tbEUljE_EEESV_SW_SX_S14_S18_S1A_T6_T7_T9_mT8_S1C_bDpT10_ENKUlT_T0_E_clISt17integral_constantIbLb0EES1P_EEDaS1K_S1L_EUlS1K_E_NS1_11comp_targetILNS1_3genE5ELNS1_11target_archE942ELNS1_3gpuE9ELNS1_3repE0EEENS1_30default_config_static_selectorELNS0_4arch9wavefront6targetE1EEEvSY_.kd
    .uniform_work_group_size: 1
    .uses_dynamic_stack: false
    .vgpr_count:     0
    .vgpr_spill_count: 0
    .wavefront_size: 64
  - .args:
      - .offset:         0
        .size:           144
        .value_kind:     by_value
    .group_segment_fixed_size: 0
    .kernarg_segment_align: 8
    .kernarg_segment_size: 144
    .language:       OpenCL C
    .language_version:
      - 2
      - 0
    .max_flat_workgroup_size: 256
    .name:           _ZN7rocprim17ROCPRIM_400000_NS6detail17trampoline_kernelINS0_13select_configILj256ELj13ELNS0_17block_load_methodE3ELS4_3ELS4_3ELNS0_20block_scan_algorithmE0ELj4294967295EEENS1_25partition_config_selectorILNS1_17partition_subalgoE3EjNS0_10empty_typeEbEEZZNS1_14partition_implILS8_3ELb0ES6_jNS0_17counting_iteratorIjlEEPS9_SE_NS0_5tupleIJPjSE_EEENSF_IJSE_SE_EEES9_SG_JZNS1_25segmented_radix_sort_implINS0_14default_configELb1EPKiPiPKlPlN2at6native12_GLOBAL__N_18offset_tEEE10hipError_tPvRmT1_PNSt15iterator_traitsISY_E10value_typeET2_T3_PNSZ_IS14_E10value_typeET4_jRbjT5_S1A_jjP12ihipStream_tbEUljE_EEESV_SW_SX_S14_S18_S1A_T6_T7_T9_mT8_S1C_bDpT10_ENKUlT_T0_E_clISt17integral_constantIbLb0EES1P_EEDaS1K_S1L_EUlS1K_E_NS1_11comp_targetILNS1_3genE4ELNS1_11target_archE910ELNS1_3gpuE8ELNS1_3repE0EEENS1_30default_config_static_selectorELNS0_4arch9wavefront6targetE1EEEvSY_
    .private_segment_fixed_size: 0
    .sgpr_count:     4
    .sgpr_spill_count: 0
    .symbol:         _ZN7rocprim17ROCPRIM_400000_NS6detail17trampoline_kernelINS0_13select_configILj256ELj13ELNS0_17block_load_methodE3ELS4_3ELS4_3ELNS0_20block_scan_algorithmE0ELj4294967295EEENS1_25partition_config_selectorILNS1_17partition_subalgoE3EjNS0_10empty_typeEbEEZZNS1_14partition_implILS8_3ELb0ES6_jNS0_17counting_iteratorIjlEEPS9_SE_NS0_5tupleIJPjSE_EEENSF_IJSE_SE_EEES9_SG_JZNS1_25segmented_radix_sort_implINS0_14default_configELb1EPKiPiPKlPlN2at6native12_GLOBAL__N_18offset_tEEE10hipError_tPvRmT1_PNSt15iterator_traitsISY_E10value_typeET2_T3_PNSZ_IS14_E10value_typeET4_jRbjT5_S1A_jjP12ihipStream_tbEUljE_EEESV_SW_SX_S14_S18_S1A_T6_T7_T9_mT8_S1C_bDpT10_ENKUlT_T0_E_clISt17integral_constantIbLb0EES1P_EEDaS1K_S1L_EUlS1K_E_NS1_11comp_targetILNS1_3genE4ELNS1_11target_archE910ELNS1_3gpuE8ELNS1_3repE0EEENS1_30default_config_static_selectorELNS0_4arch9wavefront6targetE1EEEvSY_.kd
    .uniform_work_group_size: 1
    .uses_dynamic_stack: false
    .vgpr_count:     0
    .vgpr_spill_count: 0
    .wavefront_size: 64
  - .args:
      - .offset:         0
        .size:           144
        .value_kind:     by_value
    .group_segment_fixed_size: 0
    .kernarg_segment_align: 8
    .kernarg_segment_size: 144
    .language:       OpenCL C
    .language_version:
      - 2
      - 0
    .max_flat_workgroup_size: 256
    .name:           _ZN7rocprim17ROCPRIM_400000_NS6detail17trampoline_kernelINS0_13select_configILj256ELj13ELNS0_17block_load_methodE3ELS4_3ELS4_3ELNS0_20block_scan_algorithmE0ELj4294967295EEENS1_25partition_config_selectorILNS1_17partition_subalgoE3EjNS0_10empty_typeEbEEZZNS1_14partition_implILS8_3ELb0ES6_jNS0_17counting_iteratorIjlEEPS9_SE_NS0_5tupleIJPjSE_EEENSF_IJSE_SE_EEES9_SG_JZNS1_25segmented_radix_sort_implINS0_14default_configELb1EPKiPiPKlPlN2at6native12_GLOBAL__N_18offset_tEEE10hipError_tPvRmT1_PNSt15iterator_traitsISY_E10value_typeET2_T3_PNSZ_IS14_E10value_typeET4_jRbjT5_S1A_jjP12ihipStream_tbEUljE_EEESV_SW_SX_S14_S18_S1A_T6_T7_T9_mT8_S1C_bDpT10_ENKUlT_T0_E_clISt17integral_constantIbLb0EES1P_EEDaS1K_S1L_EUlS1K_E_NS1_11comp_targetILNS1_3genE3ELNS1_11target_archE908ELNS1_3gpuE7ELNS1_3repE0EEENS1_30default_config_static_selectorELNS0_4arch9wavefront6targetE1EEEvSY_
    .private_segment_fixed_size: 0
    .sgpr_count:     4
    .sgpr_spill_count: 0
    .symbol:         _ZN7rocprim17ROCPRIM_400000_NS6detail17trampoline_kernelINS0_13select_configILj256ELj13ELNS0_17block_load_methodE3ELS4_3ELS4_3ELNS0_20block_scan_algorithmE0ELj4294967295EEENS1_25partition_config_selectorILNS1_17partition_subalgoE3EjNS0_10empty_typeEbEEZZNS1_14partition_implILS8_3ELb0ES6_jNS0_17counting_iteratorIjlEEPS9_SE_NS0_5tupleIJPjSE_EEENSF_IJSE_SE_EEES9_SG_JZNS1_25segmented_radix_sort_implINS0_14default_configELb1EPKiPiPKlPlN2at6native12_GLOBAL__N_18offset_tEEE10hipError_tPvRmT1_PNSt15iterator_traitsISY_E10value_typeET2_T3_PNSZ_IS14_E10value_typeET4_jRbjT5_S1A_jjP12ihipStream_tbEUljE_EEESV_SW_SX_S14_S18_S1A_T6_T7_T9_mT8_S1C_bDpT10_ENKUlT_T0_E_clISt17integral_constantIbLb0EES1P_EEDaS1K_S1L_EUlS1K_E_NS1_11comp_targetILNS1_3genE3ELNS1_11target_archE908ELNS1_3gpuE7ELNS1_3repE0EEENS1_30default_config_static_selectorELNS0_4arch9wavefront6targetE1EEEvSY_.kd
    .uniform_work_group_size: 1
    .uses_dynamic_stack: false
    .vgpr_count:     0
    .vgpr_spill_count: 0
    .wavefront_size: 64
  - .args:
      - .offset:         0
        .size:           144
        .value_kind:     by_value
    .group_segment_fixed_size: 13320
    .kernarg_segment_align: 8
    .kernarg_segment_size: 144
    .language:       OpenCL C
    .language_version:
      - 2
      - 0
    .max_flat_workgroup_size: 256
    .name:           _ZN7rocprim17ROCPRIM_400000_NS6detail17trampoline_kernelINS0_13select_configILj256ELj13ELNS0_17block_load_methodE3ELS4_3ELS4_3ELNS0_20block_scan_algorithmE0ELj4294967295EEENS1_25partition_config_selectorILNS1_17partition_subalgoE3EjNS0_10empty_typeEbEEZZNS1_14partition_implILS8_3ELb0ES6_jNS0_17counting_iteratorIjlEEPS9_SE_NS0_5tupleIJPjSE_EEENSF_IJSE_SE_EEES9_SG_JZNS1_25segmented_radix_sort_implINS0_14default_configELb1EPKiPiPKlPlN2at6native12_GLOBAL__N_18offset_tEEE10hipError_tPvRmT1_PNSt15iterator_traitsISY_E10value_typeET2_T3_PNSZ_IS14_E10value_typeET4_jRbjT5_S1A_jjP12ihipStream_tbEUljE_EEESV_SW_SX_S14_S18_S1A_T6_T7_T9_mT8_S1C_bDpT10_ENKUlT_T0_E_clISt17integral_constantIbLb0EES1P_EEDaS1K_S1L_EUlS1K_E_NS1_11comp_targetILNS1_3genE2ELNS1_11target_archE906ELNS1_3gpuE6ELNS1_3repE0EEENS1_30default_config_static_selectorELNS0_4arch9wavefront6targetE1EEEvSY_
    .private_segment_fixed_size: 0
    .sgpr_count:     52
    .sgpr_spill_count: 0
    .symbol:         _ZN7rocprim17ROCPRIM_400000_NS6detail17trampoline_kernelINS0_13select_configILj256ELj13ELNS0_17block_load_methodE3ELS4_3ELS4_3ELNS0_20block_scan_algorithmE0ELj4294967295EEENS1_25partition_config_selectorILNS1_17partition_subalgoE3EjNS0_10empty_typeEbEEZZNS1_14partition_implILS8_3ELb0ES6_jNS0_17counting_iteratorIjlEEPS9_SE_NS0_5tupleIJPjSE_EEENSF_IJSE_SE_EEES9_SG_JZNS1_25segmented_radix_sort_implINS0_14default_configELb1EPKiPiPKlPlN2at6native12_GLOBAL__N_18offset_tEEE10hipError_tPvRmT1_PNSt15iterator_traitsISY_E10value_typeET2_T3_PNSZ_IS14_E10value_typeET4_jRbjT5_S1A_jjP12ihipStream_tbEUljE_EEESV_SW_SX_S14_S18_S1A_T6_T7_T9_mT8_S1C_bDpT10_ENKUlT_T0_E_clISt17integral_constantIbLb0EES1P_EEDaS1K_S1L_EUlS1K_E_NS1_11comp_targetILNS1_3genE2ELNS1_11target_archE906ELNS1_3gpuE6ELNS1_3repE0EEENS1_30default_config_static_selectorELNS0_4arch9wavefront6targetE1EEEvSY_.kd
    .uniform_work_group_size: 1
    .uses_dynamic_stack: false
    .vgpr_count:     69
    .vgpr_spill_count: 0
    .wavefront_size: 64
  - .args:
      - .offset:         0
        .size:           144
        .value_kind:     by_value
    .group_segment_fixed_size: 0
    .kernarg_segment_align: 8
    .kernarg_segment_size: 144
    .language:       OpenCL C
    .language_version:
      - 2
      - 0
    .max_flat_workgroup_size: 256
    .name:           _ZN7rocprim17ROCPRIM_400000_NS6detail17trampoline_kernelINS0_13select_configILj256ELj13ELNS0_17block_load_methodE3ELS4_3ELS4_3ELNS0_20block_scan_algorithmE0ELj4294967295EEENS1_25partition_config_selectorILNS1_17partition_subalgoE3EjNS0_10empty_typeEbEEZZNS1_14partition_implILS8_3ELb0ES6_jNS0_17counting_iteratorIjlEEPS9_SE_NS0_5tupleIJPjSE_EEENSF_IJSE_SE_EEES9_SG_JZNS1_25segmented_radix_sort_implINS0_14default_configELb1EPKiPiPKlPlN2at6native12_GLOBAL__N_18offset_tEEE10hipError_tPvRmT1_PNSt15iterator_traitsISY_E10value_typeET2_T3_PNSZ_IS14_E10value_typeET4_jRbjT5_S1A_jjP12ihipStream_tbEUljE_EEESV_SW_SX_S14_S18_S1A_T6_T7_T9_mT8_S1C_bDpT10_ENKUlT_T0_E_clISt17integral_constantIbLb0EES1P_EEDaS1K_S1L_EUlS1K_E_NS1_11comp_targetILNS1_3genE10ELNS1_11target_archE1200ELNS1_3gpuE4ELNS1_3repE0EEENS1_30default_config_static_selectorELNS0_4arch9wavefront6targetE1EEEvSY_
    .private_segment_fixed_size: 0
    .sgpr_count:     4
    .sgpr_spill_count: 0
    .symbol:         _ZN7rocprim17ROCPRIM_400000_NS6detail17trampoline_kernelINS0_13select_configILj256ELj13ELNS0_17block_load_methodE3ELS4_3ELS4_3ELNS0_20block_scan_algorithmE0ELj4294967295EEENS1_25partition_config_selectorILNS1_17partition_subalgoE3EjNS0_10empty_typeEbEEZZNS1_14partition_implILS8_3ELb0ES6_jNS0_17counting_iteratorIjlEEPS9_SE_NS0_5tupleIJPjSE_EEENSF_IJSE_SE_EEES9_SG_JZNS1_25segmented_radix_sort_implINS0_14default_configELb1EPKiPiPKlPlN2at6native12_GLOBAL__N_18offset_tEEE10hipError_tPvRmT1_PNSt15iterator_traitsISY_E10value_typeET2_T3_PNSZ_IS14_E10value_typeET4_jRbjT5_S1A_jjP12ihipStream_tbEUljE_EEESV_SW_SX_S14_S18_S1A_T6_T7_T9_mT8_S1C_bDpT10_ENKUlT_T0_E_clISt17integral_constantIbLb0EES1P_EEDaS1K_S1L_EUlS1K_E_NS1_11comp_targetILNS1_3genE10ELNS1_11target_archE1200ELNS1_3gpuE4ELNS1_3repE0EEENS1_30default_config_static_selectorELNS0_4arch9wavefront6targetE1EEEvSY_.kd
    .uniform_work_group_size: 1
    .uses_dynamic_stack: false
    .vgpr_count:     0
    .vgpr_spill_count: 0
    .wavefront_size: 64
  - .args:
      - .offset:         0
        .size:           144
        .value_kind:     by_value
    .group_segment_fixed_size: 0
    .kernarg_segment_align: 8
    .kernarg_segment_size: 144
    .language:       OpenCL C
    .language_version:
      - 2
      - 0
    .max_flat_workgroup_size: 256
    .name:           _ZN7rocprim17ROCPRIM_400000_NS6detail17trampoline_kernelINS0_13select_configILj256ELj13ELNS0_17block_load_methodE3ELS4_3ELS4_3ELNS0_20block_scan_algorithmE0ELj4294967295EEENS1_25partition_config_selectorILNS1_17partition_subalgoE3EjNS0_10empty_typeEbEEZZNS1_14partition_implILS8_3ELb0ES6_jNS0_17counting_iteratorIjlEEPS9_SE_NS0_5tupleIJPjSE_EEENSF_IJSE_SE_EEES9_SG_JZNS1_25segmented_radix_sort_implINS0_14default_configELb1EPKiPiPKlPlN2at6native12_GLOBAL__N_18offset_tEEE10hipError_tPvRmT1_PNSt15iterator_traitsISY_E10value_typeET2_T3_PNSZ_IS14_E10value_typeET4_jRbjT5_S1A_jjP12ihipStream_tbEUljE_EEESV_SW_SX_S14_S18_S1A_T6_T7_T9_mT8_S1C_bDpT10_ENKUlT_T0_E_clISt17integral_constantIbLb0EES1P_EEDaS1K_S1L_EUlS1K_E_NS1_11comp_targetILNS1_3genE9ELNS1_11target_archE1100ELNS1_3gpuE3ELNS1_3repE0EEENS1_30default_config_static_selectorELNS0_4arch9wavefront6targetE1EEEvSY_
    .private_segment_fixed_size: 0
    .sgpr_count:     4
    .sgpr_spill_count: 0
    .symbol:         _ZN7rocprim17ROCPRIM_400000_NS6detail17trampoline_kernelINS0_13select_configILj256ELj13ELNS0_17block_load_methodE3ELS4_3ELS4_3ELNS0_20block_scan_algorithmE0ELj4294967295EEENS1_25partition_config_selectorILNS1_17partition_subalgoE3EjNS0_10empty_typeEbEEZZNS1_14partition_implILS8_3ELb0ES6_jNS0_17counting_iteratorIjlEEPS9_SE_NS0_5tupleIJPjSE_EEENSF_IJSE_SE_EEES9_SG_JZNS1_25segmented_radix_sort_implINS0_14default_configELb1EPKiPiPKlPlN2at6native12_GLOBAL__N_18offset_tEEE10hipError_tPvRmT1_PNSt15iterator_traitsISY_E10value_typeET2_T3_PNSZ_IS14_E10value_typeET4_jRbjT5_S1A_jjP12ihipStream_tbEUljE_EEESV_SW_SX_S14_S18_S1A_T6_T7_T9_mT8_S1C_bDpT10_ENKUlT_T0_E_clISt17integral_constantIbLb0EES1P_EEDaS1K_S1L_EUlS1K_E_NS1_11comp_targetILNS1_3genE9ELNS1_11target_archE1100ELNS1_3gpuE3ELNS1_3repE0EEENS1_30default_config_static_selectorELNS0_4arch9wavefront6targetE1EEEvSY_.kd
    .uniform_work_group_size: 1
    .uses_dynamic_stack: false
    .vgpr_count:     0
    .vgpr_spill_count: 0
    .wavefront_size: 64
  - .args:
      - .offset:         0
        .size:           144
        .value_kind:     by_value
    .group_segment_fixed_size: 0
    .kernarg_segment_align: 8
    .kernarg_segment_size: 144
    .language:       OpenCL C
    .language_version:
      - 2
      - 0
    .max_flat_workgroup_size: 256
    .name:           _ZN7rocprim17ROCPRIM_400000_NS6detail17trampoline_kernelINS0_13select_configILj256ELj13ELNS0_17block_load_methodE3ELS4_3ELS4_3ELNS0_20block_scan_algorithmE0ELj4294967295EEENS1_25partition_config_selectorILNS1_17partition_subalgoE3EjNS0_10empty_typeEbEEZZNS1_14partition_implILS8_3ELb0ES6_jNS0_17counting_iteratorIjlEEPS9_SE_NS0_5tupleIJPjSE_EEENSF_IJSE_SE_EEES9_SG_JZNS1_25segmented_radix_sort_implINS0_14default_configELb1EPKiPiPKlPlN2at6native12_GLOBAL__N_18offset_tEEE10hipError_tPvRmT1_PNSt15iterator_traitsISY_E10value_typeET2_T3_PNSZ_IS14_E10value_typeET4_jRbjT5_S1A_jjP12ihipStream_tbEUljE_EEESV_SW_SX_S14_S18_S1A_T6_T7_T9_mT8_S1C_bDpT10_ENKUlT_T0_E_clISt17integral_constantIbLb0EES1P_EEDaS1K_S1L_EUlS1K_E_NS1_11comp_targetILNS1_3genE8ELNS1_11target_archE1030ELNS1_3gpuE2ELNS1_3repE0EEENS1_30default_config_static_selectorELNS0_4arch9wavefront6targetE1EEEvSY_
    .private_segment_fixed_size: 0
    .sgpr_count:     4
    .sgpr_spill_count: 0
    .symbol:         _ZN7rocprim17ROCPRIM_400000_NS6detail17trampoline_kernelINS0_13select_configILj256ELj13ELNS0_17block_load_methodE3ELS4_3ELS4_3ELNS0_20block_scan_algorithmE0ELj4294967295EEENS1_25partition_config_selectorILNS1_17partition_subalgoE3EjNS0_10empty_typeEbEEZZNS1_14partition_implILS8_3ELb0ES6_jNS0_17counting_iteratorIjlEEPS9_SE_NS0_5tupleIJPjSE_EEENSF_IJSE_SE_EEES9_SG_JZNS1_25segmented_radix_sort_implINS0_14default_configELb1EPKiPiPKlPlN2at6native12_GLOBAL__N_18offset_tEEE10hipError_tPvRmT1_PNSt15iterator_traitsISY_E10value_typeET2_T3_PNSZ_IS14_E10value_typeET4_jRbjT5_S1A_jjP12ihipStream_tbEUljE_EEESV_SW_SX_S14_S18_S1A_T6_T7_T9_mT8_S1C_bDpT10_ENKUlT_T0_E_clISt17integral_constantIbLb0EES1P_EEDaS1K_S1L_EUlS1K_E_NS1_11comp_targetILNS1_3genE8ELNS1_11target_archE1030ELNS1_3gpuE2ELNS1_3repE0EEENS1_30default_config_static_selectorELNS0_4arch9wavefront6targetE1EEEvSY_.kd
    .uniform_work_group_size: 1
    .uses_dynamic_stack: false
    .vgpr_count:     0
    .vgpr_spill_count: 0
    .wavefront_size: 64
  - .args:
      - .offset:         0
        .size:           152
        .value_kind:     by_value
    .group_segment_fixed_size: 0
    .kernarg_segment_align: 8
    .kernarg_segment_size: 152
    .language:       OpenCL C
    .language_version:
      - 2
      - 0
    .max_flat_workgroup_size: 256
    .name:           _ZN7rocprim17ROCPRIM_400000_NS6detail17trampoline_kernelINS0_13select_configILj256ELj13ELNS0_17block_load_methodE3ELS4_3ELS4_3ELNS0_20block_scan_algorithmE0ELj4294967295EEENS1_25partition_config_selectorILNS1_17partition_subalgoE3EjNS0_10empty_typeEbEEZZNS1_14partition_implILS8_3ELb0ES6_jNS0_17counting_iteratorIjlEEPS9_SE_NS0_5tupleIJPjSE_EEENSF_IJSE_SE_EEES9_SG_JZNS1_25segmented_radix_sort_implINS0_14default_configELb1EPKiPiPKlPlN2at6native12_GLOBAL__N_18offset_tEEE10hipError_tPvRmT1_PNSt15iterator_traitsISY_E10value_typeET2_T3_PNSZ_IS14_E10value_typeET4_jRbjT5_S1A_jjP12ihipStream_tbEUljE_EEESV_SW_SX_S14_S18_S1A_T6_T7_T9_mT8_S1C_bDpT10_ENKUlT_T0_E_clISt17integral_constantIbLb1EES1P_EEDaS1K_S1L_EUlS1K_E_NS1_11comp_targetILNS1_3genE0ELNS1_11target_archE4294967295ELNS1_3gpuE0ELNS1_3repE0EEENS1_30default_config_static_selectorELNS0_4arch9wavefront6targetE1EEEvSY_
    .private_segment_fixed_size: 0
    .sgpr_count:     4
    .sgpr_spill_count: 0
    .symbol:         _ZN7rocprim17ROCPRIM_400000_NS6detail17trampoline_kernelINS0_13select_configILj256ELj13ELNS0_17block_load_methodE3ELS4_3ELS4_3ELNS0_20block_scan_algorithmE0ELj4294967295EEENS1_25partition_config_selectorILNS1_17partition_subalgoE3EjNS0_10empty_typeEbEEZZNS1_14partition_implILS8_3ELb0ES6_jNS0_17counting_iteratorIjlEEPS9_SE_NS0_5tupleIJPjSE_EEENSF_IJSE_SE_EEES9_SG_JZNS1_25segmented_radix_sort_implINS0_14default_configELb1EPKiPiPKlPlN2at6native12_GLOBAL__N_18offset_tEEE10hipError_tPvRmT1_PNSt15iterator_traitsISY_E10value_typeET2_T3_PNSZ_IS14_E10value_typeET4_jRbjT5_S1A_jjP12ihipStream_tbEUljE_EEESV_SW_SX_S14_S18_S1A_T6_T7_T9_mT8_S1C_bDpT10_ENKUlT_T0_E_clISt17integral_constantIbLb1EES1P_EEDaS1K_S1L_EUlS1K_E_NS1_11comp_targetILNS1_3genE0ELNS1_11target_archE4294967295ELNS1_3gpuE0ELNS1_3repE0EEENS1_30default_config_static_selectorELNS0_4arch9wavefront6targetE1EEEvSY_.kd
    .uniform_work_group_size: 1
    .uses_dynamic_stack: false
    .vgpr_count:     0
    .vgpr_spill_count: 0
    .wavefront_size: 64
  - .args:
      - .offset:         0
        .size:           152
        .value_kind:     by_value
    .group_segment_fixed_size: 0
    .kernarg_segment_align: 8
    .kernarg_segment_size: 152
    .language:       OpenCL C
    .language_version:
      - 2
      - 0
    .max_flat_workgroup_size: 256
    .name:           _ZN7rocprim17ROCPRIM_400000_NS6detail17trampoline_kernelINS0_13select_configILj256ELj13ELNS0_17block_load_methodE3ELS4_3ELS4_3ELNS0_20block_scan_algorithmE0ELj4294967295EEENS1_25partition_config_selectorILNS1_17partition_subalgoE3EjNS0_10empty_typeEbEEZZNS1_14partition_implILS8_3ELb0ES6_jNS0_17counting_iteratorIjlEEPS9_SE_NS0_5tupleIJPjSE_EEENSF_IJSE_SE_EEES9_SG_JZNS1_25segmented_radix_sort_implINS0_14default_configELb1EPKiPiPKlPlN2at6native12_GLOBAL__N_18offset_tEEE10hipError_tPvRmT1_PNSt15iterator_traitsISY_E10value_typeET2_T3_PNSZ_IS14_E10value_typeET4_jRbjT5_S1A_jjP12ihipStream_tbEUljE_EEESV_SW_SX_S14_S18_S1A_T6_T7_T9_mT8_S1C_bDpT10_ENKUlT_T0_E_clISt17integral_constantIbLb1EES1P_EEDaS1K_S1L_EUlS1K_E_NS1_11comp_targetILNS1_3genE5ELNS1_11target_archE942ELNS1_3gpuE9ELNS1_3repE0EEENS1_30default_config_static_selectorELNS0_4arch9wavefront6targetE1EEEvSY_
    .private_segment_fixed_size: 0
    .sgpr_count:     4
    .sgpr_spill_count: 0
    .symbol:         _ZN7rocprim17ROCPRIM_400000_NS6detail17trampoline_kernelINS0_13select_configILj256ELj13ELNS0_17block_load_methodE3ELS4_3ELS4_3ELNS0_20block_scan_algorithmE0ELj4294967295EEENS1_25partition_config_selectorILNS1_17partition_subalgoE3EjNS0_10empty_typeEbEEZZNS1_14partition_implILS8_3ELb0ES6_jNS0_17counting_iteratorIjlEEPS9_SE_NS0_5tupleIJPjSE_EEENSF_IJSE_SE_EEES9_SG_JZNS1_25segmented_radix_sort_implINS0_14default_configELb1EPKiPiPKlPlN2at6native12_GLOBAL__N_18offset_tEEE10hipError_tPvRmT1_PNSt15iterator_traitsISY_E10value_typeET2_T3_PNSZ_IS14_E10value_typeET4_jRbjT5_S1A_jjP12ihipStream_tbEUljE_EEESV_SW_SX_S14_S18_S1A_T6_T7_T9_mT8_S1C_bDpT10_ENKUlT_T0_E_clISt17integral_constantIbLb1EES1P_EEDaS1K_S1L_EUlS1K_E_NS1_11comp_targetILNS1_3genE5ELNS1_11target_archE942ELNS1_3gpuE9ELNS1_3repE0EEENS1_30default_config_static_selectorELNS0_4arch9wavefront6targetE1EEEvSY_.kd
    .uniform_work_group_size: 1
    .uses_dynamic_stack: false
    .vgpr_count:     0
    .vgpr_spill_count: 0
    .wavefront_size: 64
  - .args:
      - .offset:         0
        .size:           152
        .value_kind:     by_value
    .group_segment_fixed_size: 0
    .kernarg_segment_align: 8
    .kernarg_segment_size: 152
    .language:       OpenCL C
    .language_version:
      - 2
      - 0
    .max_flat_workgroup_size: 256
    .name:           _ZN7rocprim17ROCPRIM_400000_NS6detail17trampoline_kernelINS0_13select_configILj256ELj13ELNS0_17block_load_methodE3ELS4_3ELS4_3ELNS0_20block_scan_algorithmE0ELj4294967295EEENS1_25partition_config_selectorILNS1_17partition_subalgoE3EjNS0_10empty_typeEbEEZZNS1_14partition_implILS8_3ELb0ES6_jNS0_17counting_iteratorIjlEEPS9_SE_NS0_5tupleIJPjSE_EEENSF_IJSE_SE_EEES9_SG_JZNS1_25segmented_radix_sort_implINS0_14default_configELb1EPKiPiPKlPlN2at6native12_GLOBAL__N_18offset_tEEE10hipError_tPvRmT1_PNSt15iterator_traitsISY_E10value_typeET2_T3_PNSZ_IS14_E10value_typeET4_jRbjT5_S1A_jjP12ihipStream_tbEUljE_EEESV_SW_SX_S14_S18_S1A_T6_T7_T9_mT8_S1C_bDpT10_ENKUlT_T0_E_clISt17integral_constantIbLb1EES1P_EEDaS1K_S1L_EUlS1K_E_NS1_11comp_targetILNS1_3genE4ELNS1_11target_archE910ELNS1_3gpuE8ELNS1_3repE0EEENS1_30default_config_static_selectorELNS0_4arch9wavefront6targetE1EEEvSY_
    .private_segment_fixed_size: 0
    .sgpr_count:     4
    .sgpr_spill_count: 0
    .symbol:         _ZN7rocprim17ROCPRIM_400000_NS6detail17trampoline_kernelINS0_13select_configILj256ELj13ELNS0_17block_load_methodE3ELS4_3ELS4_3ELNS0_20block_scan_algorithmE0ELj4294967295EEENS1_25partition_config_selectorILNS1_17partition_subalgoE3EjNS0_10empty_typeEbEEZZNS1_14partition_implILS8_3ELb0ES6_jNS0_17counting_iteratorIjlEEPS9_SE_NS0_5tupleIJPjSE_EEENSF_IJSE_SE_EEES9_SG_JZNS1_25segmented_radix_sort_implINS0_14default_configELb1EPKiPiPKlPlN2at6native12_GLOBAL__N_18offset_tEEE10hipError_tPvRmT1_PNSt15iterator_traitsISY_E10value_typeET2_T3_PNSZ_IS14_E10value_typeET4_jRbjT5_S1A_jjP12ihipStream_tbEUljE_EEESV_SW_SX_S14_S18_S1A_T6_T7_T9_mT8_S1C_bDpT10_ENKUlT_T0_E_clISt17integral_constantIbLb1EES1P_EEDaS1K_S1L_EUlS1K_E_NS1_11comp_targetILNS1_3genE4ELNS1_11target_archE910ELNS1_3gpuE8ELNS1_3repE0EEENS1_30default_config_static_selectorELNS0_4arch9wavefront6targetE1EEEvSY_.kd
    .uniform_work_group_size: 1
    .uses_dynamic_stack: false
    .vgpr_count:     0
    .vgpr_spill_count: 0
    .wavefront_size: 64
  - .args:
      - .offset:         0
        .size:           152
        .value_kind:     by_value
    .group_segment_fixed_size: 0
    .kernarg_segment_align: 8
    .kernarg_segment_size: 152
    .language:       OpenCL C
    .language_version:
      - 2
      - 0
    .max_flat_workgroup_size: 256
    .name:           _ZN7rocprim17ROCPRIM_400000_NS6detail17trampoline_kernelINS0_13select_configILj256ELj13ELNS0_17block_load_methodE3ELS4_3ELS4_3ELNS0_20block_scan_algorithmE0ELj4294967295EEENS1_25partition_config_selectorILNS1_17partition_subalgoE3EjNS0_10empty_typeEbEEZZNS1_14partition_implILS8_3ELb0ES6_jNS0_17counting_iteratorIjlEEPS9_SE_NS0_5tupleIJPjSE_EEENSF_IJSE_SE_EEES9_SG_JZNS1_25segmented_radix_sort_implINS0_14default_configELb1EPKiPiPKlPlN2at6native12_GLOBAL__N_18offset_tEEE10hipError_tPvRmT1_PNSt15iterator_traitsISY_E10value_typeET2_T3_PNSZ_IS14_E10value_typeET4_jRbjT5_S1A_jjP12ihipStream_tbEUljE_EEESV_SW_SX_S14_S18_S1A_T6_T7_T9_mT8_S1C_bDpT10_ENKUlT_T0_E_clISt17integral_constantIbLb1EES1P_EEDaS1K_S1L_EUlS1K_E_NS1_11comp_targetILNS1_3genE3ELNS1_11target_archE908ELNS1_3gpuE7ELNS1_3repE0EEENS1_30default_config_static_selectorELNS0_4arch9wavefront6targetE1EEEvSY_
    .private_segment_fixed_size: 0
    .sgpr_count:     4
    .sgpr_spill_count: 0
    .symbol:         _ZN7rocprim17ROCPRIM_400000_NS6detail17trampoline_kernelINS0_13select_configILj256ELj13ELNS0_17block_load_methodE3ELS4_3ELS4_3ELNS0_20block_scan_algorithmE0ELj4294967295EEENS1_25partition_config_selectorILNS1_17partition_subalgoE3EjNS0_10empty_typeEbEEZZNS1_14partition_implILS8_3ELb0ES6_jNS0_17counting_iteratorIjlEEPS9_SE_NS0_5tupleIJPjSE_EEENSF_IJSE_SE_EEES9_SG_JZNS1_25segmented_radix_sort_implINS0_14default_configELb1EPKiPiPKlPlN2at6native12_GLOBAL__N_18offset_tEEE10hipError_tPvRmT1_PNSt15iterator_traitsISY_E10value_typeET2_T3_PNSZ_IS14_E10value_typeET4_jRbjT5_S1A_jjP12ihipStream_tbEUljE_EEESV_SW_SX_S14_S18_S1A_T6_T7_T9_mT8_S1C_bDpT10_ENKUlT_T0_E_clISt17integral_constantIbLb1EES1P_EEDaS1K_S1L_EUlS1K_E_NS1_11comp_targetILNS1_3genE3ELNS1_11target_archE908ELNS1_3gpuE7ELNS1_3repE0EEENS1_30default_config_static_selectorELNS0_4arch9wavefront6targetE1EEEvSY_.kd
    .uniform_work_group_size: 1
    .uses_dynamic_stack: false
    .vgpr_count:     0
    .vgpr_spill_count: 0
    .wavefront_size: 64
  - .args:
      - .offset:         0
        .size:           152
        .value_kind:     by_value
    .group_segment_fixed_size: 0
    .kernarg_segment_align: 8
    .kernarg_segment_size: 152
    .language:       OpenCL C
    .language_version:
      - 2
      - 0
    .max_flat_workgroup_size: 256
    .name:           _ZN7rocprim17ROCPRIM_400000_NS6detail17trampoline_kernelINS0_13select_configILj256ELj13ELNS0_17block_load_methodE3ELS4_3ELS4_3ELNS0_20block_scan_algorithmE0ELj4294967295EEENS1_25partition_config_selectorILNS1_17partition_subalgoE3EjNS0_10empty_typeEbEEZZNS1_14partition_implILS8_3ELb0ES6_jNS0_17counting_iteratorIjlEEPS9_SE_NS0_5tupleIJPjSE_EEENSF_IJSE_SE_EEES9_SG_JZNS1_25segmented_radix_sort_implINS0_14default_configELb1EPKiPiPKlPlN2at6native12_GLOBAL__N_18offset_tEEE10hipError_tPvRmT1_PNSt15iterator_traitsISY_E10value_typeET2_T3_PNSZ_IS14_E10value_typeET4_jRbjT5_S1A_jjP12ihipStream_tbEUljE_EEESV_SW_SX_S14_S18_S1A_T6_T7_T9_mT8_S1C_bDpT10_ENKUlT_T0_E_clISt17integral_constantIbLb1EES1P_EEDaS1K_S1L_EUlS1K_E_NS1_11comp_targetILNS1_3genE2ELNS1_11target_archE906ELNS1_3gpuE6ELNS1_3repE0EEENS1_30default_config_static_selectorELNS0_4arch9wavefront6targetE1EEEvSY_
    .private_segment_fixed_size: 0
    .sgpr_count:     4
    .sgpr_spill_count: 0
    .symbol:         _ZN7rocprim17ROCPRIM_400000_NS6detail17trampoline_kernelINS0_13select_configILj256ELj13ELNS0_17block_load_methodE3ELS4_3ELS4_3ELNS0_20block_scan_algorithmE0ELj4294967295EEENS1_25partition_config_selectorILNS1_17partition_subalgoE3EjNS0_10empty_typeEbEEZZNS1_14partition_implILS8_3ELb0ES6_jNS0_17counting_iteratorIjlEEPS9_SE_NS0_5tupleIJPjSE_EEENSF_IJSE_SE_EEES9_SG_JZNS1_25segmented_radix_sort_implINS0_14default_configELb1EPKiPiPKlPlN2at6native12_GLOBAL__N_18offset_tEEE10hipError_tPvRmT1_PNSt15iterator_traitsISY_E10value_typeET2_T3_PNSZ_IS14_E10value_typeET4_jRbjT5_S1A_jjP12ihipStream_tbEUljE_EEESV_SW_SX_S14_S18_S1A_T6_T7_T9_mT8_S1C_bDpT10_ENKUlT_T0_E_clISt17integral_constantIbLb1EES1P_EEDaS1K_S1L_EUlS1K_E_NS1_11comp_targetILNS1_3genE2ELNS1_11target_archE906ELNS1_3gpuE6ELNS1_3repE0EEENS1_30default_config_static_selectorELNS0_4arch9wavefront6targetE1EEEvSY_.kd
    .uniform_work_group_size: 1
    .uses_dynamic_stack: false
    .vgpr_count:     0
    .vgpr_spill_count: 0
    .wavefront_size: 64
  - .args:
      - .offset:         0
        .size:           152
        .value_kind:     by_value
    .group_segment_fixed_size: 0
    .kernarg_segment_align: 8
    .kernarg_segment_size: 152
    .language:       OpenCL C
    .language_version:
      - 2
      - 0
    .max_flat_workgroup_size: 256
    .name:           _ZN7rocprim17ROCPRIM_400000_NS6detail17trampoline_kernelINS0_13select_configILj256ELj13ELNS0_17block_load_methodE3ELS4_3ELS4_3ELNS0_20block_scan_algorithmE0ELj4294967295EEENS1_25partition_config_selectorILNS1_17partition_subalgoE3EjNS0_10empty_typeEbEEZZNS1_14partition_implILS8_3ELb0ES6_jNS0_17counting_iteratorIjlEEPS9_SE_NS0_5tupleIJPjSE_EEENSF_IJSE_SE_EEES9_SG_JZNS1_25segmented_radix_sort_implINS0_14default_configELb1EPKiPiPKlPlN2at6native12_GLOBAL__N_18offset_tEEE10hipError_tPvRmT1_PNSt15iterator_traitsISY_E10value_typeET2_T3_PNSZ_IS14_E10value_typeET4_jRbjT5_S1A_jjP12ihipStream_tbEUljE_EEESV_SW_SX_S14_S18_S1A_T6_T7_T9_mT8_S1C_bDpT10_ENKUlT_T0_E_clISt17integral_constantIbLb1EES1P_EEDaS1K_S1L_EUlS1K_E_NS1_11comp_targetILNS1_3genE10ELNS1_11target_archE1200ELNS1_3gpuE4ELNS1_3repE0EEENS1_30default_config_static_selectorELNS0_4arch9wavefront6targetE1EEEvSY_
    .private_segment_fixed_size: 0
    .sgpr_count:     4
    .sgpr_spill_count: 0
    .symbol:         _ZN7rocprim17ROCPRIM_400000_NS6detail17trampoline_kernelINS0_13select_configILj256ELj13ELNS0_17block_load_methodE3ELS4_3ELS4_3ELNS0_20block_scan_algorithmE0ELj4294967295EEENS1_25partition_config_selectorILNS1_17partition_subalgoE3EjNS0_10empty_typeEbEEZZNS1_14partition_implILS8_3ELb0ES6_jNS0_17counting_iteratorIjlEEPS9_SE_NS0_5tupleIJPjSE_EEENSF_IJSE_SE_EEES9_SG_JZNS1_25segmented_radix_sort_implINS0_14default_configELb1EPKiPiPKlPlN2at6native12_GLOBAL__N_18offset_tEEE10hipError_tPvRmT1_PNSt15iterator_traitsISY_E10value_typeET2_T3_PNSZ_IS14_E10value_typeET4_jRbjT5_S1A_jjP12ihipStream_tbEUljE_EEESV_SW_SX_S14_S18_S1A_T6_T7_T9_mT8_S1C_bDpT10_ENKUlT_T0_E_clISt17integral_constantIbLb1EES1P_EEDaS1K_S1L_EUlS1K_E_NS1_11comp_targetILNS1_3genE10ELNS1_11target_archE1200ELNS1_3gpuE4ELNS1_3repE0EEENS1_30default_config_static_selectorELNS0_4arch9wavefront6targetE1EEEvSY_.kd
    .uniform_work_group_size: 1
    .uses_dynamic_stack: false
    .vgpr_count:     0
    .vgpr_spill_count: 0
    .wavefront_size: 64
  - .args:
      - .offset:         0
        .size:           152
        .value_kind:     by_value
    .group_segment_fixed_size: 0
    .kernarg_segment_align: 8
    .kernarg_segment_size: 152
    .language:       OpenCL C
    .language_version:
      - 2
      - 0
    .max_flat_workgroup_size: 256
    .name:           _ZN7rocprim17ROCPRIM_400000_NS6detail17trampoline_kernelINS0_13select_configILj256ELj13ELNS0_17block_load_methodE3ELS4_3ELS4_3ELNS0_20block_scan_algorithmE0ELj4294967295EEENS1_25partition_config_selectorILNS1_17partition_subalgoE3EjNS0_10empty_typeEbEEZZNS1_14partition_implILS8_3ELb0ES6_jNS0_17counting_iteratorIjlEEPS9_SE_NS0_5tupleIJPjSE_EEENSF_IJSE_SE_EEES9_SG_JZNS1_25segmented_radix_sort_implINS0_14default_configELb1EPKiPiPKlPlN2at6native12_GLOBAL__N_18offset_tEEE10hipError_tPvRmT1_PNSt15iterator_traitsISY_E10value_typeET2_T3_PNSZ_IS14_E10value_typeET4_jRbjT5_S1A_jjP12ihipStream_tbEUljE_EEESV_SW_SX_S14_S18_S1A_T6_T7_T9_mT8_S1C_bDpT10_ENKUlT_T0_E_clISt17integral_constantIbLb1EES1P_EEDaS1K_S1L_EUlS1K_E_NS1_11comp_targetILNS1_3genE9ELNS1_11target_archE1100ELNS1_3gpuE3ELNS1_3repE0EEENS1_30default_config_static_selectorELNS0_4arch9wavefront6targetE1EEEvSY_
    .private_segment_fixed_size: 0
    .sgpr_count:     4
    .sgpr_spill_count: 0
    .symbol:         _ZN7rocprim17ROCPRIM_400000_NS6detail17trampoline_kernelINS0_13select_configILj256ELj13ELNS0_17block_load_methodE3ELS4_3ELS4_3ELNS0_20block_scan_algorithmE0ELj4294967295EEENS1_25partition_config_selectorILNS1_17partition_subalgoE3EjNS0_10empty_typeEbEEZZNS1_14partition_implILS8_3ELb0ES6_jNS0_17counting_iteratorIjlEEPS9_SE_NS0_5tupleIJPjSE_EEENSF_IJSE_SE_EEES9_SG_JZNS1_25segmented_radix_sort_implINS0_14default_configELb1EPKiPiPKlPlN2at6native12_GLOBAL__N_18offset_tEEE10hipError_tPvRmT1_PNSt15iterator_traitsISY_E10value_typeET2_T3_PNSZ_IS14_E10value_typeET4_jRbjT5_S1A_jjP12ihipStream_tbEUljE_EEESV_SW_SX_S14_S18_S1A_T6_T7_T9_mT8_S1C_bDpT10_ENKUlT_T0_E_clISt17integral_constantIbLb1EES1P_EEDaS1K_S1L_EUlS1K_E_NS1_11comp_targetILNS1_3genE9ELNS1_11target_archE1100ELNS1_3gpuE3ELNS1_3repE0EEENS1_30default_config_static_selectorELNS0_4arch9wavefront6targetE1EEEvSY_.kd
    .uniform_work_group_size: 1
    .uses_dynamic_stack: false
    .vgpr_count:     0
    .vgpr_spill_count: 0
    .wavefront_size: 64
  - .args:
      - .offset:         0
        .size:           152
        .value_kind:     by_value
    .group_segment_fixed_size: 0
    .kernarg_segment_align: 8
    .kernarg_segment_size: 152
    .language:       OpenCL C
    .language_version:
      - 2
      - 0
    .max_flat_workgroup_size: 256
    .name:           _ZN7rocprim17ROCPRIM_400000_NS6detail17trampoline_kernelINS0_13select_configILj256ELj13ELNS0_17block_load_methodE3ELS4_3ELS4_3ELNS0_20block_scan_algorithmE0ELj4294967295EEENS1_25partition_config_selectorILNS1_17partition_subalgoE3EjNS0_10empty_typeEbEEZZNS1_14partition_implILS8_3ELb0ES6_jNS0_17counting_iteratorIjlEEPS9_SE_NS0_5tupleIJPjSE_EEENSF_IJSE_SE_EEES9_SG_JZNS1_25segmented_radix_sort_implINS0_14default_configELb1EPKiPiPKlPlN2at6native12_GLOBAL__N_18offset_tEEE10hipError_tPvRmT1_PNSt15iterator_traitsISY_E10value_typeET2_T3_PNSZ_IS14_E10value_typeET4_jRbjT5_S1A_jjP12ihipStream_tbEUljE_EEESV_SW_SX_S14_S18_S1A_T6_T7_T9_mT8_S1C_bDpT10_ENKUlT_T0_E_clISt17integral_constantIbLb1EES1P_EEDaS1K_S1L_EUlS1K_E_NS1_11comp_targetILNS1_3genE8ELNS1_11target_archE1030ELNS1_3gpuE2ELNS1_3repE0EEENS1_30default_config_static_selectorELNS0_4arch9wavefront6targetE1EEEvSY_
    .private_segment_fixed_size: 0
    .sgpr_count:     4
    .sgpr_spill_count: 0
    .symbol:         _ZN7rocprim17ROCPRIM_400000_NS6detail17trampoline_kernelINS0_13select_configILj256ELj13ELNS0_17block_load_methodE3ELS4_3ELS4_3ELNS0_20block_scan_algorithmE0ELj4294967295EEENS1_25partition_config_selectorILNS1_17partition_subalgoE3EjNS0_10empty_typeEbEEZZNS1_14partition_implILS8_3ELb0ES6_jNS0_17counting_iteratorIjlEEPS9_SE_NS0_5tupleIJPjSE_EEENSF_IJSE_SE_EEES9_SG_JZNS1_25segmented_radix_sort_implINS0_14default_configELb1EPKiPiPKlPlN2at6native12_GLOBAL__N_18offset_tEEE10hipError_tPvRmT1_PNSt15iterator_traitsISY_E10value_typeET2_T3_PNSZ_IS14_E10value_typeET4_jRbjT5_S1A_jjP12ihipStream_tbEUljE_EEESV_SW_SX_S14_S18_S1A_T6_T7_T9_mT8_S1C_bDpT10_ENKUlT_T0_E_clISt17integral_constantIbLb1EES1P_EEDaS1K_S1L_EUlS1K_E_NS1_11comp_targetILNS1_3genE8ELNS1_11target_archE1030ELNS1_3gpuE2ELNS1_3repE0EEENS1_30default_config_static_selectorELNS0_4arch9wavefront6targetE1EEEvSY_.kd
    .uniform_work_group_size: 1
    .uses_dynamic_stack: false
    .vgpr_count:     0
    .vgpr_spill_count: 0
    .wavefront_size: 64
  - .args:
      - .offset:         0
        .size:           144
        .value_kind:     by_value
    .group_segment_fixed_size: 0
    .kernarg_segment_align: 8
    .kernarg_segment_size: 144
    .language:       OpenCL C
    .language_version:
      - 2
      - 0
    .max_flat_workgroup_size: 256
    .name:           _ZN7rocprim17ROCPRIM_400000_NS6detail17trampoline_kernelINS0_13select_configILj256ELj13ELNS0_17block_load_methodE3ELS4_3ELS4_3ELNS0_20block_scan_algorithmE0ELj4294967295EEENS1_25partition_config_selectorILNS1_17partition_subalgoE3EjNS0_10empty_typeEbEEZZNS1_14partition_implILS8_3ELb0ES6_jNS0_17counting_iteratorIjlEEPS9_SE_NS0_5tupleIJPjSE_EEENSF_IJSE_SE_EEES9_SG_JZNS1_25segmented_radix_sort_implINS0_14default_configELb1EPKiPiPKlPlN2at6native12_GLOBAL__N_18offset_tEEE10hipError_tPvRmT1_PNSt15iterator_traitsISY_E10value_typeET2_T3_PNSZ_IS14_E10value_typeET4_jRbjT5_S1A_jjP12ihipStream_tbEUljE_EEESV_SW_SX_S14_S18_S1A_T6_T7_T9_mT8_S1C_bDpT10_ENKUlT_T0_E_clISt17integral_constantIbLb1EES1O_IbLb0EEEEDaS1K_S1L_EUlS1K_E_NS1_11comp_targetILNS1_3genE0ELNS1_11target_archE4294967295ELNS1_3gpuE0ELNS1_3repE0EEENS1_30default_config_static_selectorELNS0_4arch9wavefront6targetE1EEEvSY_
    .private_segment_fixed_size: 0
    .sgpr_count:     4
    .sgpr_spill_count: 0
    .symbol:         _ZN7rocprim17ROCPRIM_400000_NS6detail17trampoline_kernelINS0_13select_configILj256ELj13ELNS0_17block_load_methodE3ELS4_3ELS4_3ELNS0_20block_scan_algorithmE0ELj4294967295EEENS1_25partition_config_selectorILNS1_17partition_subalgoE3EjNS0_10empty_typeEbEEZZNS1_14partition_implILS8_3ELb0ES6_jNS0_17counting_iteratorIjlEEPS9_SE_NS0_5tupleIJPjSE_EEENSF_IJSE_SE_EEES9_SG_JZNS1_25segmented_radix_sort_implINS0_14default_configELb1EPKiPiPKlPlN2at6native12_GLOBAL__N_18offset_tEEE10hipError_tPvRmT1_PNSt15iterator_traitsISY_E10value_typeET2_T3_PNSZ_IS14_E10value_typeET4_jRbjT5_S1A_jjP12ihipStream_tbEUljE_EEESV_SW_SX_S14_S18_S1A_T6_T7_T9_mT8_S1C_bDpT10_ENKUlT_T0_E_clISt17integral_constantIbLb1EES1O_IbLb0EEEEDaS1K_S1L_EUlS1K_E_NS1_11comp_targetILNS1_3genE0ELNS1_11target_archE4294967295ELNS1_3gpuE0ELNS1_3repE0EEENS1_30default_config_static_selectorELNS0_4arch9wavefront6targetE1EEEvSY_.kd
    .uniform_work_group_size: 1
    .uses_dynamic_stack: false
    .vgpr_count:     0
    .vgpr_spill_count: 0
    .wavefront_size: 64
  - .args:
      - .offset:         0
        .size:           144
        .value_kind:     by_value
    .group_segment_fixed_size: 0
    .kernarg_segment_align: 8
    .kernarg_segment_size: 144
    .language:       OpenCL C
    .language_version:
      - 2
      - 0
    .max_flat_workgroup_size: 256
    .name:           _ZN7rocprim17ROCPRIM_400000_NS6detail17trampoline_kernelINS0_13select_configILj256ELj13ELNS0_17block_load_methodE3ELS4_3ELS4_3ELNS0_20block_scan_algorithmE0ELj4294967295EEENS1_25partition_config_selectorILNS1_17partition_subalgoE3EjNS0_10empty_typeEbEEZZNS1_14partition_implILS8_3ELb0ES6_jNS0_17counting_iteratorIjlEEPS9_SE_NS0_5tupleIJPjSE_EEENSF_IJSE_SE_EEES9_SG_JZNS1_25segmented_radix_sort_implINS0_14default_configELb1EPKiPiPKlPlN2at6native12_GLOBAL__N_18offset_tEEE10hipError_tPvRmT1_PNSt15iterator_traitsISY_E10value_typeET2_T3_PNSZ_IS14_E10value_typeET4_jRbjT5_S1A_jjP12ihipStream_tbEUljE_EEESV_SW_SX_S14_S18_S1A_T6_T7_T9_mT8_S1C_bDpT10_ENKUlT_T0_E_clISt17integral_constantIbLb1EES1O_IbLb0EEEEDaS1K_S1L_EUlS1K_E_NS1_11comp_targetILNS1_3genE5ELNS1_11target_archE942ELNS1_3gpuE9ELNS1_3repE0EEENS1_30default_config_static_selectorELNS0_4arch9wavefront6targetE1EEEvSY_
    .private_segment_fixed_size: 0
    .sgpr_count:     4
    .sgpr_spill_count: 0
    .symbol:         _ZN7rocprim17ROCPRIM_400000_NS6detail17trampoline_kernelINS0_13select_configILj256ELj13ELNS0_17block_load_methodE3ELS4_3ELS4_3ELNS0_20block_scan_algorithmE0ELj4294967295EEENS1_25partition_config_selectorILNS1_17partition_subalgoE3EjNS0_10empty_typeEbEEZZNS1_14partition_implILS8_3ELb0ES6_jNS0_17counting_iteratorIjlEEPS9_SE_NS0_5tupleIJPjSE_EEENSF_IJSE_SE_EEES9_SG_JZNS1_25segmented_radix_sort_implINS0_14default_configELb1EPKiPiPKlPlN2at6native12_GLOBAL__N_18offset_tEEE10hipError_tPvRmT1_PNSt15iterator_traitsISY_E10value_typeET2_T3_PNSZ_IS14_E10value_typeET4_jRbjT5_S1A_jjP12ihipStream_tbEUljE_EEESV_SW_SX_S14_S18_S1A_T6_T7_T9_mT8_S1C_bDpT10_ENKUlT_T0_E_clISt17integral_constantIbLb1EES1O_IbLb0EEEEDaS1K_S1L_EUlS1K_E_NS1_11comp_targetILNS1_3genE5ELNS1_11target_archE942ELNS1_3gpuE9ELNS1_3repE0EEENS1_30default_config_static_selectorELNS0_4arch9wavefront6targetE1EEEvSY_.kd
    .uniform_work_group_size: 1
    .uses_dynamic_stack: false
    .vgpr_count:     0
    .vgpr_spill_count: 0
    .wavefront_size: 64
  - .args:
      - .offset:         0
        .size:           144
        .value_kind:     by_value
    .group_segment_fixed_size: 0
    .kernarg_segment_align: 8
    .kernarg_segment_size: 144
    .language:       OpenCL C
    .language_version:
      - 2
      - 0
    .max_flat_workgroup_size: 256
    .name:           _ZN7rocprim17ROCPRIM_400000_NS6detail17trampoline_kernelINS0_13select_configILj256ELj13ELNS0_17block_load_methodE3ELS4_3ELS4_3ELNS0_20block_scan_algorithmE0ELj4294967295EEENS1_25partition_config_selectorILNS1_17partition_subalgoE3EjNS0_10empty_typeEbEEZZNS1_14partition_implILS8_3ELb0ES6_jNS0_17counting_iteratorIjlEEPS9_SE_NS0_5tupleIJPjSE_EEENSF_IJSE_SE_EEES9_SG_JZNS1_25segmented_radix_sort_implINS0_14default_configELb1EPKiPiPKlPlN2at6native12_GLOBAL__N_18offset_tEEE10hipError_tPvRmT1_PNSt15iterator_traitsISY_E10value_typeET2_T3_PNSZ_IS14_E10value_typeET4_jRbjT5_S1A_jjP12ihipStream_tbEUljE_EEESV_SW_SX_S14_S18_S1A_T6_T7_T9_mT8_S1C_bDpT10_ENKUlT_T0_E_clISt17integral_constantIbLb1EES1O_IbLb0EEEEDaS1K_S1L_EUlS1K_E_NS1_11comp_targetILNS1_3genE4ELNS1_11target_archE910ELNS1_3gpuE8ELNS1_3repE0EEENS1_30default_config_static_selectorELNS0_4arch9wavefront6targetE1EEEvSY_
    .private_segment_fixed_size: 0
    .sgpr_count:     4
    .sgpr_spill_count: 0
    .symbol:         _ZN7rocprim17ROCPRIM_400000_NS6detail17trampoline_kernelINS0_13select_configILj256ELj13ELNS0_17block_load_methodE3ELS4_3ELS4_3ELNS0_20block_scan_algorithmE0ELj4294967295EEENS1_25partition_config_selectorILNS1_17partition_subalgoE3EjNS0_10empty_typeEbEEZZNS1_14partition_implILS8_3ELb0ES6_jNS0_17counting_iteratorIjlEEPS9_SE_NS0_5tupleIJPjSE_EEENSF_IJSE_SE_EEES9_SG_JZNS1_25segmented_radix_sort_implINS0_14default_configELb1EPKiPiPKlPlN2at6native12_GLOBAL__N_18offset_tEEE10hipError_tPvRmT1_PNSt15iterator_traitsISY_E10value_typeET2_T3_PNSZ_IS14_E10value_typeET4_jRbjT5_S1A_jjP12ihipStream_tbEUljE_EEESV_SW_SX_S14_S18_S1A_T6_T7_T9_mT8_S1C_bDpT10_ENKUlT_T0_E_clISt17integral_constantIbLb1EES1O_IbLb0EEEEDaS1K_S1L_EUlS1K_E_NS1_11comp_targetILNS1_3genE4ELNS1_11target_archE910ELNS1_3gpuE8ELNS1_3repE0EEENS1_30default_config_static_selectorELNS0_4arch9wavefront6targetE1EEEvSY_.kd
    .uniform_work_group_size: 1
    .uses_dynamic_stack: false
    .vgpr_count:     0
    .vgpr_spill_count: 0
    .wavefront_size: 64
  - .args:
      - .offset:         0
        .size:           144
        .value_kind:     by_value
    .group_segment_fixed_size: 0
    .kernarg_segment_align: 8
    .kernarg_segment_size: 144
    .language:       OpenCL C
    .language_version:
      - 2
      - 0
    .max_flat_workgroup_size: 256
    .name:           _ZN7rocprim17ROCPRIM_400000_NS6detail17trampoline_kernelINS0_13select_configILj256ELj13ELNS0_17block_load_methodE3ELS4_3ELS4_3ELNS0_20block_scan_algorithmE0ELj4294967295EEENS1_25partition_config_selectorILNS1_17partition_subalgoE3EjNS0_10empty_typeEbEEZZNS1_14partition_implILS8_3ELb0ES6_jNS0_17counting_iteratorIjlEEPS9_SE_NS0_5tupleIJPjSE_EEENSF_IJSE_SE_EEES9_SG_JZNS1_25segmented_radix_sort_implINS0_14default_configELb1EPKiPiPKlPlN2at6native12_GLOBAL__N_18offset_tEEE10hipError_tPvRmT1_PNSt15iterator_traitsISY_E10value_typeET2_T3_PNSZ_IS14_E10value_typeET4_jRbjT5_S1A_jjP12ihipStream_tbEUljE_EEESV_SW_SX_S14_S18_S1A_T6_T7_T9_mT8_S1C_bDpT10_ENKUlT_T0_E_clISt17integral_constantIbLb1EES1O_IbLb0EEEEDaS1K_S1L_EUlS1K_E_NS1_11comp_targetILNS1_3genE3ELNS1_11target_archE908ELNS1_3gpuE7ELNS1_3repE0EEENS1_30default_config_static_selectorELNS0_4arch9wavefront6targetE1EEEvSY_
    .private_segment_fixed_size: 0
    .sgpr_count:     4
    .sgpr_spill_count: 0
    .symbol:         _ZN7rocprim17ROCPRIM_400000_NS6detail17trampoline_kernelINS0_13select_configILj256ELj13ELNS0_17block_load_methodE3ELS4_3ELS4_3ELNS0_20block_scan_algorithmE0ELj4294967295EEENS1_25partition_config_selectorILNS1_17partition_subalgoE3EjNS0_10empty_typeEbEEZZNS1_14partition_implILS8_3ELb0ES6_jNS0_17counting_iteratorIjlEEPS9_SE_NS0_5tupleIJPjSE_EEENSF_IJSE_SE_EEES9_SG_JZNS1_25segmented_radix_sort_implINS0_14default_configELb1EPKiPiPKlPlN2at6native12_GLOBAL__N_18offset_tEEE10hipError_tPvRmT1_PNSt15iterator_traitsISY_E10value_typeET2_T3_PNSZ_IS14_E10value_typeET4_jRbjT5_S1A_jjP12ihipStream_tbEUljE_EEESV_SW_SX_S14_S18_S1A_T6_T7_T9_mT8_S1C_bDpT10_ENKUlT_T0_E_clISt17integral_constantIbLb1EES1O_IbLb0EEEEDaS1K_S1L_EUlS1K_E_NS1_11comp_targetILNS1_3genE3ELNS1_11target_archE908ELNS1_3gpuE7ELNS1_3repE0EEENS1_30default_config_static_selectorELNS0_4arch9wavefront6targetE1EEEvSY_.kd
    .uniform_work_group_size: 1
    .uses_dynamic_stack: false
    .vgpr_count:     0
    .vgpr_spill_count: 0
    .wavefront_size: 64
  - .args:
      - .offset:         0
        .size:           144
        .value_kind:     by_value
    .group_segment_fixed_size: 0
    .kernarg_segment_align: 8
    .kernarg_segment_size: 144
    .language:       OpenCL C
    .language_version:
      - 2
      - 0
    .max_flat_workgroup_size: 256
    .name:           _ZN7rocprim17ROCPRIM_400000_NS6detail17trampoline_kernelINS0_13select_configILj256ELj13ELNS0_17block_load_methodE3ELS4_3ELS4_3ELNS0_20block_scan_algorithmE0ELj4294967295EEENS1_25partition_config_selectorILNS1_17partition_subalgoE3EjNS0_10empty_typeEbEEZZNS1_14partition_implILS8_3ELb0ES6_jNS0_17counting_iteratorIjlEEPS9_SE_NS0_5tupleIJPjSE_EEENSF_IJSE_SE_EEES9_SG_JZNS1_25segmented_radix_sort_implINS0_14default_configELb1EPKiPiPKlPlN2at6native12_GLOBAL__N_18offset_tEEE10hipError_tPvRmT1_PNSt15iterator_traitsISY_E10value_typeET2_T3_PNSZ_IS14_E10value_typeET4_jRbjT5_S1A_jjP12ihipStream_tbEUljE_EEESV_SW_SX_S14_S18_S1A_T6_T7_T9_mT8_S1C_bDpT10_ENKUlT_T0_E_clISt17integral_constantIbLb1EES1O_IbLb0EEEEDaS1K_S1L_EUlS1K_E_NS1_11comp_targetILNS1_3genE2ELNS1_11target_archE906ELNS1_3gpuE6ELNS1_3repE0EEENS1_30default_config_static_selectorELNS0_4arch9wavefront6targetE1EEEvSY_
    .private_segment_fixed_size: 0
    .sgpr_count:     4
    .sgpr_spill_count: 0
    .symbol:         _ZN7rocprim17ROCPRIM_400000_NS6detail17trampoline_kernelINS0_13select_configILj256ELj13ELNS0_17block_load_methodE3ELS4_3ELS4_3ELNS0_20block_scan_algorithmE0ELj4294967295EEENS1_25partition_config_selectorILNS1_17partition_subalgoE3EjNS0_10empty_typeEbEEZZNS1_14partition_implILS8_3ELb0ES6_jNS0_17counting_iteratorIjlEEPS9_SE_NS0_5tupleIJPjSE_EEENSF_IJSE_SE_EEES9_SG_JZNS1_25segmented_radix_sort_implINS0_14default_configELb1EPKiPiPKlPlN2at6native12_GLOBAL__N_18offset_tEEE10hipError_tPvRmT1_PNSt15iterator_traitsISY_E10value_typeET2_T3_PNSZ_IS14_E10value_typeET4_jRbjT5_S1A_jjP12ihipStream_tbEUljE_EEESV_SW_SX_S14_S18_S1A_T6_T7_T9_mT8_S1C_bDpT10_ENKUlT_T0_E_clISt17integral_constantIbLb1EES1O_IbLb0EEEEDaS1K_S1L_EUlS1K_E_NS1_11comp_targetILNS1_3genE2ELNS1_11target_archE906ELNS1_3gpuE6ELNS1_3repE0EEENS1_30default_config_static_selectorELNS0_4arch9wavefront6targetE1EEEvSY_.kd
    .uniform_work_group_size: 1
    .uses_dynamic_stack: false
    .vgpr_count:     0
    .vgpr_spill_count: 0
    .wavefront_size: 64
  - .args:
      - .offset:         0
        .size:           144
        .value_kind:     by_value
    .group_segment_fixed_size: 0
    .kernarg_segment_align: 8
    .kernarg_segment_size: 144
    .language:       OpenCL C
    .language_version:
      - 2
      - 0
    .max_flat_workgroup_size: 256
    .name:           _ZN7rocprim17ROCPRIM_400000_NS6detail17trampoline_kernelINS0_13select_configILj256ELj13ELNS0_17block_load_methodE3ELS4_3ELS4_3ELNS0_20block_scan_algorithmE0ELj4294967295EEENS1_25partition_config_selectorILNS1_17partition_subalgoE3EjNS0_10empty_typeEbEEZZNS1_14partition_implILS8_3ELb0ES6_jNS0_17counting_iteratorIjlEEPS9_SE_NS0_5tupleIJPjSE_EEENSF_IJSE_SE_EEES9_SG_JZNS1_25segmented_radix_sort_implINS0_14default_configELb1EPKiPiPKlPlN2at6native12_GLOBAL__N_18offset_tEEE10hipError_tPvRmT1_PNSt15iterator_traitsISY_E10value_typeET2_T3_PNSZ_IS14_E10value_typeET4_jRbjT5_S1A_jjP12ihipStream_tbEUljE_EEESV_SW_SX_S14_S18_S1A_T6_T7_T9_mT8_S1C_bDpT10_ENKUlT_T0_E_clISt17integral_constantIbLb1EES1O_IbLb0EEEEDaS1K_S1L_EUlS1K_E_NS1_11comp_targetILNS1_3genE10ELNS1_11target_archE1200ELNS1_3gpuE4ELNS1_3repE0EEENS1_30default_config_static_selectorELNS0_4arch9wavefront6targetE1EEEvSY_
    .private_segment_fixed_size: 0
    .sgpr_count:     4
    .sgpr_spill_count: 0
    .symbol:         _ZN7rocprim17ROCPRIM_400000_NS6detail17trampoline_kernelINS0_13select_configILj256ELj13ELNS0_17block_load_methodE3ELS4_3ELS4_3ELNS0_20block_scan_algorithmE0ELj4294967295EEENS1_25partition_config_selectorILNS1_17partition_subalgoE3EjNS0_10empty_typeEbEEZZNS1_14partition_implILS8_3ELb0ES6_jNS0_17counting_iteratorIjlEEPS9_SE_NS0_5tupleIJPjSE_EEENSF_IJSE_SE_EEES9_SG_JZNS1_25segmented_radix_sort_implINS0_14default_configELb1EPKiPiPKlPlN2at6native12_GLOBAL__N_18offset_tEEE10hipError_tPvRmT1_PNSt15iterator_traitsISY_E10value_typeET2_T3_PNSZ_IS14_E10value_typeET4_jRbjT5_S1A_jjP12ihipStream_tbEUljE_EEESV_SW_SX_S14_S18_S1A_T6_T7_T9_mT8_S1C_bDpT10_ENKUlT_T0_E_clISt17integral_constantIbLb1EES1O_IbLb0EEEEDaS1K_S1L_EUlS1K_E_NS1_11comp_targetILNS1_3genE10ELNS1_11target_archE1200ELNS1_3gpuE4ELNS1_3repE0EEENS1_30default_config_static_selectorELNS0_4arch9wavefront6targetE1EEEvSY_.kd
    .uniform_work_group_size: 1
    .uses_dynamic_stack: false
    .vgpr_count:     0
    .vgpr_spill_count: 0
    .wavefront_size: 64
  - .args:
      - .offset:         0
        .size:           144
        .value_kind:     by_value
    .group_segment_fixed_size: 0
    .kernarg_segment_align: 8
    .kernarg_segment_size: 144
    .language:       OpenCL C
    .language_version:
      - 2
      - 0
    .max_flat_workgroup_size: 256
    .name:           _ZN7rocprim17ROCPRIM_400000_NS6detail17trampoline_kernelINS0_13select_configILj256ELj13ELNS0_17block_load_methodE3ELS4_3ELS4_3ELNS0_20block_scan_algorithmE0ELj4294967295EEENS1_25partition_config_selectorILNS1_17partition_subalgoE3EjNS0_10empty_typeEbEEZZNS1_14partition_implILS8_3ELb0ES6_jNS0_17counting_iteratorIjlEEPS9_SE_NS0_5tupleIJPjSE_EEENSF_IJSE_SE_EEES9_SG_JZNS1_25segmented_radix_sort_implINS0_14default_configELb1EPKiPiPKlPlN2at6native12_GLOBAL__N_18offset_tEEE10hipError_tPvRmT1_PNSt15iterator_traitsISY_E10value_typeET2_T3_PNSZ_IS14_E10value_typeET4_jRbjT5_S1A_jjP12ihipStream_tbEUljE_EEESV_SW_SX_S14_S18_S1A_T6_T7_T9_mT8_S1C_bDpT10_ENKUlT_T0_E_clISt17integral_constantIbLb1EES1O_IbLb0EEEEDaS1K_S1L_EUlS1K_E_NS1_11comp_targetILNS1_3genE9ELNS1_11target_archE1100ELNS1_3gpuE3ELNS1_3repE0EEENS1_30default_config_static_selectorELNS0_4arch9wavefront6targetE1EEEvSY_
    .private_segment_fixed_size: 0
    .sgpr_count:     4
    .sgpr_spill_count: 0
    .symbol:         _ZN7rocprim17ROCPRIM_400000_NS6detail17trampoline_kernelINS0_13select_configILj256ELj13ELNS0_17block_load_methodE3ELS4_3ELS4_3ELNS0_20block_scan_algorithmE0ELj4294967295EEENS1_25partition_config_selectorILNS1_17partition_subalgoE3EjNS0_10empty_typeEbEEZZNS1_14partition_implILS8_3ELb0ES6_jNS0_17counting_iteratorIjlEEPS9_SE_NS0_5tupleIJPjSE_EEENSF_IJSE_SE_EEES9_SG_JZNS1_25segmented_radix_sort_implINS0_14default_configELb1EPKiPiPKlPlN2at6native12_GLOBAL__N_18offset_tEEE10hipError_tPvRmT1_PNSt15iterator_traitsISY_E10value_typeET2_T3_PNSZ_IS14_E10value_typeET4_jRbjT5_S1A_jjP12ihipStream_tbEUljE_EEESV_SW_SX_S14_S18_S1A_T6_T7_T9_mT8_S1C_bDpT10_ENKUlT_T0_E_clISt17integral_constantIbLb1EES1O_IbLb0EEEEDaS1K_S1L_EUlS1K_E_NS1_11comp_targetILNS1_3genE9ELNS1_11target_archE1100ELNS1_3gpuE3ELNS1_3repE0EEENS1_30default_config_static_selectorELNS0_4arch9wavefront6targetE1EEEvSY_.kd
    .uniform_work_group_size: 1
    .uses_dynamic_stack: false
    .vgpr_count:     0
    .vgpr_spill_count: 0
    .wavefront_size: 64
  - .args:
      - .offset:         0
        .size:           144
        .value_kind:     by_value
    .group_segment_fixed_size: 0
    .kernarg_segment_align: 8
    .kernarg_segment_size: 144
    .language:       OpenCL C
    .language_version:
      - 2
      - 0
    .max_flat_workgroup_size: 256
    .name:           _ZN7rocprim17ROCPRIM_400000_NS6detail17trampoline_kernelINS0_13select_configILj256ELj13ELNS0_17block_load_methodE3ELS4_3ELS4_3ELNS0_20block_scan_algorithmE0ELj4294967295EEENS1_25partition_config_selectorILNS1_17partition_subalgoE3EjNS0_10empty_typeEbEEZZNS1_14partition_implILS8_3ELb0ES6_jNS0_17counting_iteratorIjlEEPS9_SE_NS0_5tupleIJPjSE_EEENSF_IJSE_SE_EEES9_SG_JZNS1_25segmented_radix_sort_implINS0_14default_configELb1EPKiPiPKlPlN2at6native12_GLOBAL__N_18offset_tEEE10hipError_tPvRmT1_PNSt15iterator_traitsISY_E10value_typeET2_T3_PNSZ_IS14_E10value_typeET4_jRbjT5_S1A_jjP12ihipStream_tbEUljE_EEESV_SW_SX_S14_S18_S1A_T6_T7_T9_mT8_S1C_bDpT10_ENKUlT_T0_E_clISt17integral_constantIbLb1EES1O_IbLb0EEEEDaS1K_S1L_EUlS1K_E_NS1_11comp_targetILNS1_3genE8ELNS1_11target_archE1030ELNS1_3gpuE2ELNS1_3repE0EEENS1_30default_config_static_selectorELNS0_4arch9wavefront6targetE1EEEvSY_
    .private_segment_fixed_size: 0
    .sgpr_count:     4
    .sgpr_spill_count: 0
    .symbol:         _ZN7rocprim17ROCPRIM_400000_NS6detail17trampoline_kernelINS0_13select_configILj256ELj13ELNS0_17block_load_methodE3ELS4_3ELS4_3ELNS0_20block_scan_algorithmE0ELj4294967295EEENS1_25partition_config_selectorILNS1_17partition_subalgoE3EjNS0_10empty_typeEbEEZZNS1_14partition_implILS8_3ELb0ES6_jNS0_17counting_iteratorIjlEEPS9_SE_NS0_5tupleIJPjSE_EEENSF_IJSE_SE_EEES9_SG_JZNS1_25segmented_radix_sort_implINS0_14default_configELb1EPKiPiPKlPlN2at6native12_GLOBAL__N_18offset_tEEE10hipError_tPvRmT1_PNSt15iterator_traitsISY_E10value_typeET2_T3_PNSZ_IS14_E10value_typeET4_jRbjT5_S1A_jjP12ihipStream_tbEUljE_EEESV_SW_SX_S14_S18_S1A_T6_T7_T9_mT8_S1C_bDpT10_ENKUlT_T0_E_clISt17integral_constantIbLb1EES1O_IbLb0EEEEDaS1K_S1L_EUlS1K_E_NS1_11comp_targetILNS1_3genE8ELNS1_11target_archE1030ELNS1_3gpuE2ELNS1_3repE0EEENS1_30default_config_static_selectorELNS0_4arch9wavefront6targetE1EEEvSY_.kd
    .uniform_work_group_size: 1
    .uses_dynamic_stack: false
    .vgpr_count:     0
    .vgpr_spill_count: 0
    .wavefront_size: 64
  - .args:
      - .offset:         0
        .size:           152
        .value_kind:     by_value
    .group_segment_fixed_size: 0
    .kernarg_segment_align: 8
    .kernarg_segment_size: 152
    .language:       OpenCL C
    .language_version:
      - 2
      - 0
    .max_flat_workgroup_size: 256
    .name:           _ZN7rocprim17ROCPRIM_400000_NS6detail17trampoline_kernelINS0_13select_configILj256ELj13ELNS0_17block_load_methodE3ELS4_3ELS4_3ELNS0_20block_scan_algorithmE0ELj4294967295EEENS1_25partition_config_selectorILNS1_17partition_subalgoE3EjNS0_10empty_typeEbEEZZNS1_14partition_implILS8_3ELb0ES6_jNS0_17counting_iteratorIjlEEPS9_SE_NS0_5tupleIJPjSE_EEENSF_IJSE_SE_EEES9_SG_JZNS1_25segmented_radix_sort_implINS0_14default_configELb1EPKiPiPKlPlN2at6native12_GLOBAL__N_18offset_tEEE10hipError_tPvRmT1_PNSt15iterator_traitsISY_E10value_typeET2_T3_PNSZ_IS14_E10value_typeET4_jRbjT5_S1A_jjP12ihipStream_tbEUljE_EEESV_SW_SX_S14_S18_S1A_T6_T7_T9_mT8_S1C_bDpT10_ENKUlT_T0_E_clISt17integral_constantIbLb0EES1O_IbLb1EEEEDaS1K_S1L_EUlS1K_E_NS1_11comp_targetILNS1_3genE0ELNS1_11target_archE4294967295ELNS1_3gpuE0ELNS1_3repE0EEENS1_30default_config_static_selectorELNS0_4arch9wavefront6targetE1EEEvSY_
    .private_segment_fixed_size: 0
    .sgpr_count:     4
    .sgpr_spill_count: 0
    .symbol:         _ZN7rocprim17ROCPRIM_400000_NS6detail17trampoline_kernelINS0_13select_configILj256ELj13ELNS0_17block_load_methodE3ELS4_3ELS4_3ELNS0_20block_scan_algorithmE0ELj4294967295EEENS1_25partition_config_selectorILNS1_17partition_subalgoE3EjNS0_10empty_typeEbEEZZNS1_14partition_implILS8_3ELb0ES6_jNS0_17counting_iteratorIjlEEPS9_SE_NS0_5tupleIJPjSE_EEENSF_IJSE_SE_EEES9_SG_JZNS1_25segmented_radix_sort_implINS0_14default_configELb1EPKiPiPKlPlN2at6native12_GLOBAL__N_18offset_tEEE10hipError_tPvRmT1_PNSt15iterator_traitsISY_E10value_typeET2_T3_PNSZ_IS14_E10value_typeET4_jRbjT5_S1A_jjP12ihipStream_tbEUljE_EEESV_SW_SX_S14_S18_S1A_T6_T7_T9_mT8_S1C_bDpT10_ENKUlT_T0_E_clISt17integral_constantIbLb0EES1O_IbLb1EEEEDaS1K_S1L_EUlS1K_E_NS1_11comp_targetILNS1_3genE0ELNS1_11target_archE4294967295ELNS1_3gpuE0ELNS1_3repE0EEENS1_30default_config_static_selectorELNS0_4arch9wavefront6targetE1EEEvSY_.kd
    .uniform_work_group_size: 1
    .uses_dynamic_stack: false
    .vgpr_count:     0
    .vgpr_spill_count: 0
    .wavefront_size: 64
  - .args:
      - .offset:         0
        .size:           152
        .value_kind:     by_value
    .group_segment_fixed_size: 0
    .kernarg_segment_align: 8
    .kernarg_segment_size: 152
    .language:       OpenCL C
    .language_version:
      - 2
      - 0
    .max_flat_workgroup_size: 256
    .name:           _ZN7rocprim17ROCPRIM_400000_NS6detail17trampoline_kernelINS0_13select_configILj256ELj13ELNS0_17block_load_methodE3ELS4_3ELS4_3ELNS0_20block_scan_algorithmE0ELj4294967295EEENS1_25partition_config_selectorILNS1_17partition_subalgoE3EjNS0_10empty_typeEbEEZZNS1_14partition_implILS8_3ELb0ES6_jNS0_17counting_iteratorIjlEEPS9_SE_NS0_5tupleIJPjSE_EEENSF_IJSE_SE_EEES9_SG_JZNS1_25segmented_radix_sort_implINS0_14default_configELb1EPKiPiPKlPlN2at6native12_GLOBAL__N_18offset_tEEE10hipError_tPvRmT1_PNSt15iterator_traitsISY_E10value_typeET2_T3_PNSZ_IS14_E10value_typeET4_jRbjT5_S1A_jjP12ihipStream_tbEUljE_EEESV_SW_SX_S14_S18_S1A_T6_T7_T9_mT8_S1C_bDpT10_ENKUlT_T0_E_clISt17integral_constantIbLb0EES1O_IbLb1EEEEDaS1K_S1L_EUlS1K_E_NS1_11comp_targetILNS1_3genE5ELNS1_11target_archE942ELNS1_3gpuE9ELNS1_3repE0EEENS1_30default_config_static_selectorELNS0_4arch9wavefront6targetE1EEEvSY_
    .private_segment_fixed_size: 0
    .sgpr_count:     4
    .sgpr_spill_count: 0
    .symbol:         _ZN7rocprim17ROCPRIM_400000_NS6detail17trampoline_kernelINS0_13select_configILj256ELj13ELNS0_17block_load_methodE3ELS4_3ELS4_3ELNS0_20block_scan_algorithmE0ELj4294967295EEENS1_25partition_config_selectorILNS1_17partition_subalgoE3EjNS0_10empty_typeEbEEZZNS1_14partition_implILS8_3ELb0ES6_jNS0_17counting_iteratorIjlEEPS9_SE_NS0_5tupleIJPjSE_EEENSF_IJSE_SE_EEES9_SG_JZNS1_25segmented_radix_sort_implINS0_14default_configELb1EPKiPiPKlPlN2at6native12_GLOBAL__N_18offset_tEEE10hipError_tPvRmT1_PNSt15iterator_traitsISY_E10value_typeET2_T3_PNSZ_IS14_E10value_typeET4_jRbjT5_S1A_jjP12ihipStream_tbEUljE_EEESV_SW_SX_S14_S18_S1A_T6_T7_T9_mT8_S1C_bDpT10_ENKUlT_T0_E_clISt17integral_constantIbLb0EES1O_IbLb1EEEEDaS1K_S1L_EUlS1K_E_NS1_11comp_targetILNS1_3genE5ELNS1_11target_archE942ELNS1_3gpuE9ELNS1_3repE0EEENS1_30default_config_static_selectorELNS0_4arch9wavefront6targetE1EEEvSY_.kd
    .uniform_work_group_size: 1
    .uses_dynamic_stack: false
    .vgpr_count:     0
    .vgpr_spill_count: 0
    .wavefront_size: 64
  - .args:
      - .offset:         0
        .size:           152
        .value_kind:     by_value
    .group_segment_fixed_size: 0
    .kernarg_segment_align: 8
    .kernarg_segment_size: 152
    .language:       OpenCL C
    .language_version:
      - 2
      - 0
    .max_flat_workgroup_size: 256
    .name:           _ZN7rocprim17ROCPRIM_400000_NS6detail17trampoline_kernelINS0_13select_configILj256ELj13ELNS0_17block_load_methodE3ELS4_3ELS4_3ELNS0_20block_scan_algorithmE0ELj4294967295EEENS1_25partition_config_selectorILNS1_17partition_subalgoE3EjNS0_10empty_typeEbEEZZNS1_14partition_implILS8_3ELb0ES6_jNS0_17counting_iteratorIjlEEPS9_SE_NS0_5tupleIJPjSE_EEENSF_IJSE_SE_EEES9_SG_JZNS1_25segmented_radix_sort_implINS0_14default_configELb1EPKiPiPKlPlN2at6native12_GLOBAL__N_18offset_tEEE10hipError_tPvRmT1_PNSt15iterator_traitsISY_E10value_typeET2_T3_PNSZ_IS14_E10value_typeET4_jRbjT5_S1A_jjP12ihipStream_tbEUljE_EEESV_SW_SX_S14_S18_S1A_T6_T7_T9_mT8_S1C_bDpT10_ENKUlT_T0_E_clISt17integral_constantIbLb0EES1O_IbLb1EEEEDaS1K_S1L_EUlS1K_E_NS1_11comp_targetILNS1_3genE4ELNS1_11target_archE910ELNS1_3gpuE8ELNS1_3repE0EEENS1_30default_config_static_selectorELNS0_4arch9wavefront6targetE1EEEvSY_
    .private_segment_fixed_size: 0
    .sgpr_count:     4
    .sgpr_spill_count: 0
    .symbol:         _ZN7rocprim17ROCPRIM_400000_NS6detail17trampoline_kernelINS0_13select_configILj256ELj13ELNS0_17block_load_methodE3ELS4_3ELS4_3ELNS0_20block_scan_algorithmE0ELj4294967295EEENS1_25partition_config_selectorILNS1_17partition_subalgoE3EjNS0_10empty_typeEbEEZZNS1_14partition_implILS8_3ELb0ES6_jNS0_17counting_iteratorIjlEEPS9_SE_NS0_5tupleIJPjSE_EEENSF_IJSE_SE_EEES9_SG_JZNS1_25segmented_radix_sort_implINS0_14default_configELb1EPKiPiPKlPlN2at6native12_GLOBAL__N_18offset_tEEE10hipError_tPvRmT1_PNSt15iterator_traitsISY_E10value_typeET2_T3_PNSZ_IS14_E10value_typeET4_jRbjT5_S1A_jjP12ihipStream_tbEUljE_EEESV_SW_SX_S14_S18_S1A_T6_T7_T9_mT8_S1C_bDpT10_ENKUlT_T0_E_clISt17integral_constantIbLb0EES1O_IbLb1EEEEDaS1K_S1L_EUlS1K_E_NS1_11comp_targetILNS1_3genE4ELNS1_11target_archE910ELNS1_3gpuE8ELNS1_3repE0EEENS1_30default_config_static_selectorELNS0_4arch9wavefront6targetE1EEEvSY_.kd
    .uniform_work_group_size: 1
    .uses_dynamic_stack: false
    .vgpr_count:     0
    .vgpr_spill_count: 0
    .wavefront_size: 64
  - .args:
      - .offset:         0
        .size:           152
        .value_kind:     by_value
    .group_segment_fixed_size: 0
    .kernarg_segment_align: 8
    .kernarg_segment_size: 152
    .language:       OpenCL C
    .language_version:
      - 2
      - 0
    .max_flat_workgroup_size: 256
    .name:           _ZN7rocprim17ROCPRIM_400000_NS6detail17trampoline_kernelINS0_13select_configILj256ELj13ELNS0_17block_load_methodE3ELS4_3ELS4_3ELNS0_20block_scan_algorithmE0ELj4294967295EEENS1_25partition_config_selectorILNS1_17partition_subalgoE3EjNS0_10empty_typeEbEEZZNS1_14partition_implILS8_3ELb0ES6_jNS0_17counting_iteratorIjlEEPS9_SE_NS0_5tupleIJPjSE_EEENSF_IJSE_SE_EEES9_SG_JZNS1_25segmented_radix_sort_implINS0_14default_configELb1EPKiPiPKlPlN2at6native12_GLOBAL__N_18offset_tEEE10hipError_tPvRmT1_PNSt15iterator_traitsISY_E10value_typeET2_T3_PNSZ_IS14_E10value_typeET4_jRbjT5_S1A_jjP12ihipStream_tbEUljE_EEESV_SW_SX_S14_S18_S1A_T6_T7_T9_mT8_S1C_bDpT10_ENKUlT_T0_E_clISt17integral_constantIbLb0EES1O_IbLb1EEEEDaS1K_S1L_EUlS1K_E_NS1_11comp_targetILNS1_3genE3ELNS1_11target_archE908ELNS1_3gpuE7ELNS1_3repE0EEENS1_30default_config_static_selectorELNS0_4arch9wavefront6targetE1EEEvSY_
    .private_segment_fixed_size: 0
    .sgpr_count:     4
    .sgpr_spill_count: 0
    .symbol:         _ZN7rocprim17ROCPRIM_400000_NS6detail17trampoline_kernelINS0_13select_configILj256ELj13ELNS0_17block_load_methodE3ELS4_3ELS4_3ELNS0_20block_scan_algorithmE0ELj4294967295EEENS1_25partition_config_selectorILNS1_17partition_subalgoE3EjNS0_10empty_typeEbEEZZNS1_14partition_implILS8_3ELb0ES6_jNS0_17counting_iteratorIjlEEPS9_SE_NS0_5tupleIJPjSE_EEENSF_IJSE_SE_EEES9_SG_JZNS1_25segmented_radix_sort_implINS0_14default_configELb1EPKiPiPKlPlN2at6native12_GLOBAL__N_18offset_tEEE10hipError_tPvRmT1_PNSt15iterator_traitsISY_E10value_typeET2_T3_PNSZ_IS14_E10value_typeET4_jRbjT5_S1A_jjP12ihipStream_tbEUljE_EEESV_SW_SX_S14_S18_S1A_T6_T7_T9_mT8_S1C_bDpT10_ENKUlT_T0_E_clISt17integral_constantIbLb0EES1O_IbLb1EEEEDaS1K_S1L_EUlS1K_E_NS1_11comp_targetILNS1_3genE3ELNS1_11target_archE908ELNS1_3gpuE7ELNS1_3repE0EEENS1_30default_config_static_selectorELNS0_4arch9wavefront6targetE1EEEvSY_.kd
    .uniform_work_group_size: 1
    .uses_dynamic_stack: false
    .vgpr_count:     0
    .vgpr_spill_count: 0
    .wavefront_size: 64
  - .args:
      - .offset:         0
        .size:           152
        .value_kind:     by_value
    .group_segment_fixed_size: 13320
    .kernarg_segment_align: 8
    .kernarg_segment_size: 152
    .language:       OpenCL C
    .language_version:
      - 2
      - 0
    .max_flat_workgroup_size: 256
    .name:           _ZN7rocprim17ROCPRIM_400000_NS6detail17trampoline_kernelINS0_13select_configILj256ELj13ELNS0_17block_load_methodE3ELS4_3ELS4_3ELNS0_20block_scan_algorithmE0ELj4294967295EEENS1_25partition_config_selectorILNS1_17partition_subalgoE3EjNS0_10empty_typeEbEEZZNS1_14partition_implILS8_3ELb0ES6_jNS0_17counting_iteratorIjlEEPS9_SE_NS0_5tupleIJPjSE_EEENSF_IJSE_SE_EEES9_SG_JZNS1_25segmented_radix_sort_implINS0_14default_configELb1EPKiPiPKlPlN2at6native12_GLOBAL__N_18offset_tEEE10hipError_tPvRmT1_PNSt15iterator_traitsISY_E10value_typeET2_T3_PNSZ_IS14_E10value_typeET4_jRbjT5_S1A_jjP12ihipStream_tbEUljE_EEESV_SW_SX_S14_S18_S1A_T6_T7_T9_mT8_S1C_bDpT10_ENKUlT_T0_E_clISt17integral_constantIbLb0EES1O_IbLb1EEEEDaS1K_S1L_EUlS1K_E_NS1_11comp_targetILNS1_3genE2ELNS1_11target_archE906ELNS1_3gpuE6ELNS1_3repE0EEENS1_30default_config_static_selectorELNS0_4arch9wavefront6targetE1EEEvSY_
    .private_segment_fixed_size: 0
    .sgpr_count:     50
    .sgpr_spill_count: 0
    .symbol:         _ZN7rocprim17ROCPRIM_400000_NS6detail17trampoline_kernelINS0_13select_configILj256ELj13ELNS0_17block_load_methodE3ELS4_3ELS4_3ELNS0_20block_scan_algorithmE0ELj4294967295EEENS1_25partition_config_selectorILNS1_17partition_subalgoE3EjNS0_10empty_typeEbEEZZNS1_14partition_implILS8_3ELb0ES6_jNS0_17counting_iteratorIjlEEPS9_SE_NS0_5tupleIJPjSE_EEENSF_IJSE_SE_EEES9_SG_JZNS1_25segmented_radix_sort_implINS0_14default_configELb1EPKiPiPKlPlN2at6native12_GLOBAL__N_18offset_tEEE10hipError_tPvRmT1_PNSt15iterator_traitsISY_E10value_typeET2_T3_PNSZ_IS14_E10value_typeET4_jRbjT5_S1A_jjP12ihipStream_tbEUljE_EEESV_SW_SX_S14_S18_S1A_T6_T7_T9_mT8_S1C_bDpT10_ENKUlT_T0_E_clISt17integral_constantIbLb0EES1O_IbLb1EEEEDaS1K_S1L_EUlS1K_E_NS1_11comp_targetILNS1_3genE2ELNS1_11target_archE906ELNS1_3gpuE6ELNS1_3repE0EEENS1_30default_config_static_selectorELNS0_4arch9wavefront6targetE1EEEvSY_.kd
    .uniform_work_group_size: 1
    .uses_dynamic_stack: false
    .vgpr_count:     71
    .vgpr_spill_count: 0
    .wavefront_size: 64
  - .args:
      - .offset:         0
        .size:           152
        .value_kind:     by_value
    .group_segment_fixed_size: 0
    .kernarg_segment_align: 8
    .kernarg_segment_size: 152
    .language:       OpenCL C
    .language_version:
      - 2
      - 0
    .max_flat_workgroup_size: 256
    .name:           _ZN7rocprim17ROCPRIM_400000_NS6detail17trampoline_kernelINS0_13select_configILj256ELj13ELNS0_17block_load_methodE3ELS4_3ELS4_3ELNS0_20block_scan_algorithmE0ELj4294967295EEENS1_25partition_config_selectorILNS1_17partition_subalgoE3EjNS0_10empty_typeEbEEZZNS1_14partition_implILS8_3ELb0ES6_jNS0_17counting_iteratorIjlEEPS9_SE_NS0_5tupleIJPjSE_EEENSF_IJSE_SE_EEES9_SG_JZNS1_25segmented_radix_sort_implINS0_14default_configELb1EPKiPiPKlPlN2at6native12_GLOBAL__N_18offset_tEEE10hipError_tPvRmT1_PNSt15iterator_traitsISY_E10value_typeET2_T3_PNSZ_IS14_E10value_typeET4_jRbjT5_S1A_jjP12ihipStream_tbEUljE_EEESV_SW_SX_S14_S18_S1A_T6_T7_T9_mT8_S1C_bDpT10_ENKUlT_T0_E_clISt17integral_constantIbLb0EES1O_IbLb1EEEEDaS1K_S1L_EUlS1K_E_NS1_11comp_targetILNS1_3genE10ELNS1_11target_archE1200ELNS1_3gpuE4ELNS1_3repE0EEENS1_30default_config_static_selectorELNS0_4arch9wavefront6targetE1EEEvSY_
    .private_segment_fixed_size: 0
    .sgpr_count:     4
    .sgpr_spill_count: 0
    .symbol:         _ZN7rocprim17ROCPRIM_400000_NS6detail17trampoline_kernelINS0_13select_configILj256ELj13ELNS0_17block_load_methodE3ELS4_3ELS4_3ELNS0_20block_scan_algorithmE0ELj4294967295EEENS1_25partition_config_selectorILNS1_17partition_subalgoE3EjNS0_10empty_typeEbEEZZNS1_14partition_implILS8_3ELb0ES6_jNS0_17counting_iteratorIjlEEPS9_SE_NS0_5tupleIJPjSE_EEENSF_IJSE_SE_EEES9_SG_JZNS1_25segmented_radix_sort_implINS0_14default_configELb1EPKiPiPKlPlN2at6native12_GLOBAL__N_18offset_tEEE10hipError_tPvRmT1_PNSt15iterator_traitsISY_E10value_typeET2_T3_PNSZ_IS14_E10value_typeET4_jRbjT5_S1A_jjP12ihipStream_tbEUljE_EEESV_SW_SX_S14_S18_S1A_T6_T7_T9_mT8_S1C_bDpT10_ENKUlT_T0_E_clISt17integral_constantIbLb0EES1O_IbLb1EEEEDaS1K_S1L_EUlS1K_E_NS1_11comp_targetILNS1_3genE10ELNS1_11target_archE1200ELNS1_3gpuE4ELNS1_3repE0EEENS1_30default_config_static_selectorELNS0_4arch9wavefront6targetE1EEEvSY_.kd
    .uniform_work_group_size: 1
    .uses_dynamic_stack: false
    .vgpr_count:     0
    .vgpr_spill_count: 0
    .wavefront_size: 64
  - .args:
      - .offset:         0
        .size:           152
        .value_kind:     by_value
    .group_segment_fixed_size: 0
    .kernarg_segment_align: 8
    .kernarg_segment_size: 152
    .language:       OpenCL C
    .language_version:
      - 2
      - 0
    .max_flat_workgroup_size: 256
    .name:           _ZN7rocprim17ROCPRIM_400000_NS6detail17trampoline_kernelINS0_13select_configILj256ELj13ELNS0_17block_load_methodE3ELS4_3ELS4_3ELNS0_20block_scan_algorithmE0ELj4294967295EEENS1_25partition_config_selectorILNS1_17partition_subalgoE3EjNS0_10empty_typeEbEEZZNS1_14partition_implILS8_3ELb0ES6_jNS0_17counting_iteratorIjlEEPS9_SE_NS0_5tupleIJPjSE_EEENSF_IJSE_SE_EEES9_SG_JZNS1_25segmented_radix_sort_implINS0_14default_configELb1EPKiPiPKlPlN2at6native12_GLOBAL__N_18offset_tEEE10hipError_tPvRmT1_PNSt15iterator_traitsISY_E10value_typeET2_T3_PNSZ_IS14_E10value_typeET4_jRbjT5_S1A_jjP12ihipStream_tbEUljE_EEESV_SW_SX_S14_S18_S1A_T6_T7_T9_mT8_S1C_bDpT10_ENKUlT_T0_E_clISt17integral_constantIbLb0EES1O_IbLb1EEEEDaS1K_S1L_EUlS1K_E_NS1_11comp_targetILNS1_3genE9ELNS1_11target_archE1100ELNS1_3gpuE3ELNS1_3repE0EEENS1_30default_config_static_selectorELNS0_4arch9wavefront6targetE1EEEvSY_
    .private_segment_fixed_size: 0
    .sgpr_count:     4
    .sgpr_spill_count: 0
    .symbol:         _ZN7rocprim17ROCPRIM_400000_NS6detail17trampoline_kernelINS0_13select_configILj256ELj13ELNS0_17block_load_methodE3ELS4_3ELS4_3ELNS0_20block_scan_algorithmE0ELj4294967295EEENS1_25partition_config_selectorILNS1_17partition_subalgoE3EjNS0_10empty_typeEbEEZZNS1_14partition_implILS8_3ELb0ES6_jNS0_17counting_iteratorIjlEEPS9_SE_NS0_5tupleIJPjSE_EEENSF_IJSE_SE_EEES9_SG_JZNS1_25segmented_radix_sort_implINS0_14default_configELb1EPKiPiPKlPlN2at6native12_GLOBAL__N_18offset_tEEE10hipError_tPvRmT1_PNSt15iterator_traitsISY_E10value_typeET2_T3_PNSZ_IS14_E10value_typeET4_jRbjT5_S1A_jjP12ihipStream_tbEUljE_EEESV_SW_SX_S14_S18_S1A_T6_T7_T9_mT8_S1C_bDpT10_ENKUlT_T0_E_clISt17integral_constantIbLb0EES1O_IbLb1EEEEDaS1K_S1L_EUlS1K_E_NS1_11comp_targetILNS1_3genE9ELNS1_11target_archE1100ELNS1_3gpuE3ELNS1_3repE0EEENS1_30default_config_static_selectorELNS0_4arch9wavefront6targetE1EEEvSY_.kd
    .uniform_work_group_size: 1
    .uses_dynamic_stack: false
    .vgpr_count:     0
    .vgpr_spill_count: 0
    .wavefront_size: 64
  - .args:
      - .offset:         0
        .size:           152
        .value_kind:     by_value
    .group_segment_fixed_size: 0
    .kernarg_segment_align: 8
    .kernarg_segment_size: 152
    .language:       OpenCL C
    .language_version:
      - 2
      - 0
    .max_flat_workgroup_size: 256
    .name:           _ZN7rocprim17ROCPRIM_400000_NS6detail17trampoline_kernelINS0_13select_configILj256ELj13ELNS0_17block_load_methodE3ELS4_3ELS4_3ELNS0_20block_scan_algorithmE0ELj4294967295EEENS1_25partition_config_selectorILNS1_17partition_subalgoE3EjNS0_10empty_typeEbEEZZNS1_14partition_implILS8_3ELb0ES6_jNS0_17counting_iteratorIjlEEPS9_SE_NS0_5tupleIJPjSE_EEENSF_IJSE_SE_EEES9_SG_JZNS1_25segmented_radix_sort_implINS0_14default_configELb1EPKiPiPKlPlN2at6native12_GLOBAL__N_18offset_tEEE10hipError_tPvRmT1_PNSt15iterator_traitsISY_E10value_typeET2_T3_PNSZ_IS14_E10value_typeET4_jRbjT5_S1A_jjP12ihipStream_tbEUljE_EEESV_SW_SX_S14_S18_S1A_T6_T7_T9_mT8_S1C_bDpT10_ENKUlT_T0_E_clISt17integral_constantIbLb0EES1O_IbLb1EEEEDaS1K_S1L_EUlS1K_E_NS1_11comp_targetILNS1_3genE8ELNS1_11target_archE1030ELNS1_3gpuE2ELNS1_3repE0EEENS1_30default_config_static_selectorELNS0_4arch9wavefront6targetE1EEEvSY_
    .private_segment_fixed_size: 0
    .sgpr_count:     4
    .sgpr_spill_count: 0
    .symbol:         _ZN7rocprim17ROCPRIM_400000_NS6detail17trampoline_kernelINS0_13select_configILj256ELj13ELNS0_17block_load_methodE3ELS4_3ELS4_3ELNS0_20block_scan_algorithmE0ELj4294967295EEENS1_25partition_config_selectorILNS1_17partition_subalgoE3EjNS0_10empty_typeEbEEZZNS1_14partition_implILS8_3ELb0ES6_jNS0_17counting_iteratorIjlEEPS9_SE_NS0_5tupleIJPjSE_EEENSF_IJSE_SE_EEES9_SG_JZNS1_25segmented_radix_sort_implINS0_14default_configELb1EPKiPiPKlPlN2at6native12_GLOBAL__N_18offset_tEEE10hipError_tPvRmT1_PNSt15iterator_traitsISY_E10value_typeET2_T3_PNSZ_IS14_E10value_typeET4_jRbjT5_S1A_jjP12ihipStream_tbEUljE_EEESV_SW_SX_S14_S18_S1A_T6_T7_T9_mT8_S1C_bDpT10_ENKUlT_T0_E_clISt17integral_constantIbLb0EES1O_IbLb1EEEEDaS1K_S1L_EUlS1K_E_NS1_11comp_targetILNS1_3genE8ELNS1_11target_archE1030ELNS1_3gpuE2ELNS1_3repE0EEENS1_30default_config_static_selectorELNS0_4arch9wavefront6targetE1EEEvSY_.kd
    .uniform_work_group_size: 1
    .uses_dynamic_stack: false
    .vgpr_count:     0
    .vgpr_spill_count: 0
    .wavefront_size: 64
  - .args:
      - .offset:         0
        .size:           96
        .value_kind:     by_value
    .group_segment_fixed_size: 0
    .kernarg_segment_align: 8
    .kernarg_segment_size: 96
    .language:       OpenCL C
    .language_version:
      - 2
      - 0
    .max_flat_workgroup_size: 256
    .name:           _ZN7rocprim17ROCPRIM_400000_NS6detail17trampoline_kernelINS0_14default_configENS1_36segmented_radix_sort_config_selectorIilEEZNS1_25segmented_radix_sort_implIS3_Lb1EPKiPiPKlPlN2at6native12_GLOBAL__N_18offset_tEEE10hipError_tPvRmT1_PNSt15iterator_traitsISK_E10value_typeET2_T3_PNSL_ISQ_E10value_typeET4_jRbjT5_SW_jjP12ihipStream_tbEUlT_E_NS1_11comp_targetILNS1_3genE0ELNS1_11target_archE4294967295ELNS1_3gpuE0ELNS1_3repE0EEENS1_30default_config_static_selectorELNS0_4arch9wavefront6targetE1EEEvSK_
    .private_segment_fixed_size: 0
    .sgpr_count:     4
    .sgpr_spill_count: 0
    .symbol:         _ZN7rocprim17ROCPRIM_400000_NS6detail17trampoline_kernelINS0_14default_configENS1_36segmented_radix_sort_config_selectorIilEEZNS1_25segmented_radix_sort_implIS3_Lb1EPKiPiPKlPlN2at6native12_GLOBAL__N_18offset_tEEE10hipError_tPvRmT1_PNSt15iterator_traitsISK_E10value_typeET2_T3_PNSL_ISQ_E10value_typeET4_jRbjT5_SW_jjP12ihipStream_tbEUlT_E_NS1_11comp_targetILNS1_3genE0ELNS1_11target_archE4294967295ELNS1_3gpuE0ELNS1_3repE0EEENS1_30default_config_static_selectorELNS0_4arch9wavefront6targetE1EEEvSK_.kd
    .uniform_work_group_size: 1
    .uses_dynamic_stack: false
    .vgpr_count:     0
    .vgpr_spill_count: 0
    .wavefront_size: 64
  - .args:
      - .offset:         0
        .size:           96
        .value_kind:     by_value
    .group_segment_fixed_size: 0
    .kernarg_segment_align: 8
    .kernarg_segment_size: 96
    .language:       OpenCL C
    .language_version:
      - 2
      - 0
    .max_flat_workgroup_size: 256
    .name:           _ZN7rocprim17ROCPRIM_400000_NS6detail17trampoline_kernelINS0_14default_configENS1_36segmented_radix_sort_config_selectorIilEEZNS1_25segmented_radix_sort_implIS3_Lb1EPKiPiPKlPlN2at6native12_GLOBAL__N_18offset_tEEE10hipError_tPvRmT1_PNSt15iterator_traitsISK_E10value_typeET2_T3_PNSL_ISQ_E10value_typeET4_jRbjT5_SW_jjP12ihipStream_tbEUlT_E_NS1_11comp_targetILNS1_3genE5ELNS1_11target_archE942ELNS1_3gpuE9ELNS1_3repE0EEENS1_30default_config_static_selectorELNS0_4arch9wavefront6targetE1EEEvSK_
    .private_segment_fixed_size: 0
    .sgpr_count:     4
    .sgpr_spill_count: 0
    .symbol:         _ZN7rocprim17ROCPRIM_400000_NS6detail17trampoline_kernelINS0_14default_configENS1_36segmented_radix_sort_config_selectorIilEEZNS1_25segmented_radix_sort_implIS3_Lb1EPKiPiPKlPlN2at6native12_GLOBAL__N_18offset_tEEE10hipError_tPvRmT1_PNSt15iterator_traitsISK_E10value_typeET2_T3_PNSL_ISQ_E10value_typeET4_jRbjT5_SW_jjP12ihipStream_tbEUlT_E_NS1_11comp_targetILNS1_3genE5ELNS1_11target_archE942ELNS1_3gpuE9ELNS1_3repE0EEENS1_30default_config_static_selectorELNS0_4arch9wavefront6targetE1EEEvSK_.kd
    .uniform_work_group_size: 1
    .uses_dynamic_stack: false
    .vgpr_count:     0
    .vgpr_spill_count: 0
    .wavefront_size: 64
  - .args:
      - .offset:         0
        .size:           96
        .value_kind:     by_value
    .group_segment_fixed_size: 0
    .kernarg_segment_align: 8
    .kernarg_segment_size: 96
    .language:       OpenCL C
    .language_version:
      - 2
      - 0
    .max_flat_workgroup_size: 256
    .name:           _ZN7rocprim17ROCPRIM_400000_NS6detail17trampoline_kernelINS0_14default_configENS1_36segmented_radix_sort_config_selectorIilEEZNS1_25segmented_radix_sort_implIS3_Lb1EPKiPiPKlPlN2at6native12_GLOBAL__N_18offset_tEEE10hipError_tPvRmT1_PNSt15iterator_traitsISK_E10value_typeET2_T3_PNSL_ISQ_E10value_typeET4_jRbjT5_SW_jjP12ihipStream_tbEUlT_E_NS1_11comp_targetILNS1_3genE4ELNS1_11target_archE910ELNS1_3gpuE8ELNS1_3repE0EEENS1_30default_config_static_selectorELNS0_4arch9wavefront6targetE1EEEvSK_
    .private_segment_fixed_size: 0
    .sgpr_count:     4
    .sgpr_spill_count: 0
    .symbol:         _ZN7rocprim17ROCPRIM_400000_NS6detail17trampoline_kernelINS0_14default_configENS1_36segmented_radix_sort_config_selectorIilEEZNS1_25segmented_radix_sort_implIS3_Lb1EPKiPiPKlPlN2at6native12_GLOBAL__N_18offset_tEEE10hipError_tPvRmT1_PNSt15iterator_traitsISK_E10value_typeET2_T3_PNSL_ISQ_E10value_typeET4_jRbjT5_SW_jjP12ihipStream_tbEUlT_E_NS1_11comp_targetILNS1_3genE4ELNS1_11target_archE910ELNS1_3gpuE8ELNS1_3repE0EEENS1_30default_config_static_selectorELNS0_4arch9wavefront6targetE1EEEvSK_.kd
    .uniform_work_group_size: 1
    .uses_dynamic_stack: false
    .vgpr_count:     0
    .vgpr_spill_count: 0
    .wavefront_size: 64
  - .args:
      - .offset:         0
        .size:           96
        .value_kind:     by_value
    .group_segment_fixed_size: 0
    .kernarg_segment_align: 8
    .kernarg_segment_size: 96
    .language:       OpenCL C
    .language_version:
      - 2
      - 0
    .max_flat_workgroup_size: 256
    .name:           _ZN7rocprim17ROCPRIM_400000_NS6detail17trampoline_kernelINS0_14default_configENS1_36segmented_radix_sort_config_selectorIilEEZNS1_25segmented_radix_sort_implIS3_Lb1EPKiPiPKlPlN2at6native12_GLOBAL__N_18offset_tEEE10hipError_tPvRmT1_PNSt15iterator_traitsISK_E10value_typeET2_T3_PNSL_ISQ_E10value_typeET4_jRbjT5_SW_jjP12ihipStream_tbEUlT_E_NS1_11comp_targetILNS1_3genE3ELNS1_11target_archE908ELNS1_3gpuE7ELNS1_3repE0EEENS1_30default_config_static_selectorELNS0_4arch9wavefront6targetE1EEEvSK_
    .private_segment_fixed_size: 0
    .sgpr_count:     4
    .sgpr_spill_count: 0
    .symbol:         _ZN7rocprim17ROCPRIM_400000_NS6detail17trampoline_kernelINS0_14default_configENS1_36segmented_radix_sort_config_selectorIilEEZNS1_25segmented_radix_sort_implIS3_Lb1EPKiPiPKlPlN2at6native12_GLOBAL__N_18offset_tEEE10hipError_tPvRmT1_PNSt15iterator_traitsISK_E10value_typeET2_T3_PNSL_ISQ_E10value_typeET4_jRbjT5_SW_jjP12ihipStream_tbEUlT_E_NS1_11comp_targetILNS1_3genE3ELNS1_11target_archE908ELNS1_3gpuE7ELNS1_3repE0EEENS1_30default_config_static_selectorELNS0_4arch9wavefront6targetE1EEEvSK_.kd
    .uniform_work_group_size: 1
    .uses_dynamic_stack: false
    .vgpr_count:     0
    .vgpr_spill_count: 0
    .wavefront_size: 64
  - .args:
      - .offset:         0
        .size:           96
        .value_kind:     by_value
      - .offset:         96
        .size:           4
        .value_kind:     hidden_block_count_x
      - .offset:         100
        .size:           4
        .value_kind:     hidden_block_count_y
      - .offset:         104
        .size:           4
        .value_kind:     hidden_block_count_z
      - .offset:         108
        .size:           2
        .value_kind:     hidden_group_size_x
      - .offset:         110
        .size:           2
        .value_kind:     hidden_group_size_y
      - .offset:         112
        .size:           2
        .value_kind:     hidden_group_size_z
      - .offset:         114
        .size:           2
        .value_kind:     hidden_remainder_x
      - .offset:         116
        .size:           2
        .value_kind:     hidden_remainder_y
      - .offset:         118
        .size:           2
        .value_kind:     hidden_remainder_z
      - .offset:         136
        .size:           8
        .value_kind:     hidden_global_offset_x
      - .offset:         144
        .size:           8
        .value_kind:     hidden_global_offset_y
      - .offset:         152
        .size:           8
        .value_kind:     hidden_global_offset_z
      - .offset:         160
        .size:           2
        .value_kind:     hidden_grid_dims
    .group_segment_fixed_size: 17424
    .kernarg_segment_align: 8
    .kernarg_segment_size: 352
    .language:       OpenCL C
    .language_version:
      - 2
      - 0
    .max_flat_workgroup_size: 256
    .name:           _ZN7rocprim17ROCPRIM_400000_NS6detail17trampoline_kernelINS0_14default_configENS1_36segmented_radix_sort_config_selectorIilEEZNS1_25segmented_radix_sort_implIS3_Lb1EPKiPiPKlPlN2at6native12_GLOBAL__N_18offset_tEEE10hipError_tPvRmT1_PNSt15iterator_traitsISK_E10value_typeET2_T3_PNSL_ISQ_E10value_typeET4_jRbjT5_SW_jjP12ihipStream_tbEUlT_E_NS1_11comp_targetILNS1_3genE2ELNS1_11target_archE906ELNS1_3gpuE6ELNS1_3repE0EEENS1_30default_config_static_selectorELNS0_4arch9wavefront6targetE1EEEvSK_
    .private_segment_fixed_size: 0
    .sgpr_count:     85
    .sgpr_spill_count: 0
    .symbol:         _ZN7rocprim17ROCPRIM_400000_NS6detail17trampoline_kernelINS0_14default_configENS1_36segmented_radix_sort_config_selectorIilEEZNS1_25segmented_radix_sort_implIS3_Lb1EPKiPiPKlPlN2at6native12_GLOBAL__N_18offset_tEEE10hipError_tPvRmT1_PNSt15iterator_traitsISK_E10value_typeET2_T3_PNSL_ISQ_E10value_typeET4_jRbjT5_SW_jjP12ihipStream_tbEUlT_E_NS1_11comp_targetILNS1_3genE2ELNS1_11target_archE906ELNS1_3gpuE6ELNS1_3repE0EEENS1_30default_config_static_selectorELNS0_4arch9wavefront6targetE1EEEvSK_.kd
    .uniform_work_group_size: 1
    .uses_dynamic_stack: false
    .vgpr_count:     177
    .vgpr_spill_count: 0
    .wavefront_size: 64
  - .args:
      - .offset:         0
        .size:           96
        .value_kind:     by_value
    .group_segment_fixed_size: 0
    .kernarg_segment_align: 8
    .kernarg_segment_size: 96
    .language:       OpenCL C
    .language_version:
      - 2
      - 0
    .max_flat_workgroup_size: 256
    .name:           _ZN7rocprim17ROCPRIM_400000_NS6detail17trampoline_kernelINS0_14default_configENS1_36segmented_radix_sort_config_selectorIilEEZNS1_25segmented_radix_sort_implIS3_Lb1EPKiPiPKlPlN2at6native12_GLOBAL__N_18offset_tEEE10hipError_tPvRmT1_PNSt15iterator_traitsISK_E10value_typeET2_T3_PNSL_ISQ_E10value_typeET4_jRbjT5_SW_jjP12ihipStream_tbEUlT_E_NS1_11comp_targetILNS1_3genE10ELNS1_11target_archE1201ELNS1_3gpuE5ELNS1_3repE0EEENS1_30default_config_static_selectorELNS0_4arch9wavefront6targetE1EEEvSK_
    .private_segment_fixed_size: 0
    .sgpr_count:     4
    .sgpr_spill_count: 0
    .symbol:         _ZN7rocprim17ROCPRIM_400000_NS6detail17trampoline_kernelINS0_14default_configENS1_36segmented_radix_sort_config_selectorIilEEZNS1_25segmented_radix_sort_implIS3_Lb1EPKiPiPKlPlN2at6native12_GLOBAL__N_18offset_tEEE10hipError_tPvRmT1_PNSt15iterator_traitsISK_E10value_typeET2_T3_PNSL_ISQ_E10value_typeET4_jRbjT5_SW_jjP12ihipStream_tbEUlT_E_NS1_11comp_targetILNS1_3genE10ELNS1_11target_archE1201ELNS1_3gpuE5ELNS1_3repE0EEENS1_30default_config_static_selectorELNS0_4arch9wavefront6targetE1EEEvSK_.kd
    .uniform_work_group_size: 1
    .uses_dynamic_stack: false
    .vgpr_count:     0
    .vgpr_spill_count: 0
    .wavefront_size: 64
  - .args:
      - .offset:         0
        .size:           96
        .value_kind:     by_value
    .group_segment_fixed_size: 0
    .kernarg_segment_align: 8
    .kernarg_segment_size: 96
    .language:       OpenCL C
    .language_version:
      - 2
      - 0
    .max_flat_workgroup_size: 128
    .name:           _ZN7rocprim17ROCPRIM_400000_NS6detail17trampoline_kernelINS0_14default_configENS1_36segmented_radix_sort_config_selectorIilEEZNS1_25segmented_radix_sort_implIS3_Lb1EPKiPiPKlPlN2at6native12_GLOBAL__N_18offset_tEEE10hipError_tPvRmT1_PNSt15iterator_traitsISK_E10value_typeET2_T3_PNSL_ISQ_E10value_typeET4_jRbjT5_SW_jjP12ihipStream_tbEUlT_E_NS1_11comp_targetILNS1_3genE10ELNS1_11target_archE1200ELNS1_3gpuE4ELNS1_3repE0EEENS1_30default_config_static_selectorELNS0_4arch9wavefront6targetE1EEEvSK_
    .private_segment_fixed_size: 0
    .sgpr_count:     4
    .sgpr_spill_count: 0
    .symbol:         _ZN7rocprim17ROCPRIM_400000_NS6detail17trampoline_kernelINS0_14default_configENS1_36segmented_radix_sort_config_selectorIilEEZNS1_25segmented_radix_sort_implIS3_Lb1EPKiPiPKlPlN2at6native12_GLOBAL__N_18offset_tEEE10hipError_tPvRmT1_PNSt15iterator_traitsISK_E10value_typeET2_T3_PNSL_ISQ_E10value_typeET4_jRbjT5_SW_jjP12ihipStream_tbEUlT_E_NS1_11comp_targetILNS1_3genE10ELNS1_11target_archE1200ELNS1_3gpuE4ELNS1_3repE0EEENS1_30default_config_static_selectorELNS0_4arch9wavefront6targetE1EEEvSK_.kd
    .uniform_work_group_size: 1
    .uses_dynamic_stack: false
    .vgpr_count:     0
    .vgpr_spill_count: 0
    .wavefront_size: 64
  - .args:
      - .offset:         0
        .size:           96
        .value_kind:     by_value
    .group_segment_fixed_size: 0
    .kernarg_segment_align: 8
    .kernarg_segment_size: 96
    .language:       OpenCL C
    .language_version:
      - 2
      - 0
    .max_flat_workgroup_size: 256
    .name:           _ZN7rocprim17ROCPRIM_400000_NS6detail17trampoline_kernelINS0_14default_configENS1_36segmented_radix_sort_config_selectorIilEEZNS1_25segmented_radix_sort_implIS3_Lb1EPKiPiPKlPlN2at6native12_GLOBAL__N_18offset_tEEE10hipError_tPvRmT1_PNSt15iterator_traitsISK_E10value_typeET2_T3_PNSL_ISQ_E10value_typeET4_jRbjT5_SW_jjP12ihipStream_tbEUlT_E_NS1_11comp_targetILNS1_3genE9ELNS1_11target_archE1100ELNS1_3gpuE3ELNS1_3repE0EEENS1_30default_config_static_selectorELNS0_4arch9wavefront6targetE1EEEvSK_
    .private_segment_fixed_size: 0
    .sgpr_count:     4
    .sgpr_spill_count: 0
    .symbol:         _ZN7rocprim17ROCPRIM_400000_NS6detail17trampoline_kernelINS0_14default_configENS1_36segmented_radix_sort_config_selectorIilEEZNS1_25segmented_radix_sort_implIS3_Lb1EPKiPiPKlPlN2at6native12_GLOBAL__N_18offset_tEEE10hipError_tPvRmT1_PNSt15iterator_traitsISK_E10value_typeET2_T3_PNSL_ISQ_E10value_typeET4_jRbjT5_SW_jjP12ihipStream_tbEUlT_E_NS1_11comp_targetILNS1_3genE9ELNS1_11target_archE1100ELNS1_3gpuE3ELNS1_3repE0EEENS1_30default_config_static_selectorELNS0_4arch9wavefront6targetE1EEEvSK_.kd
    .uniform_work_group_size: 1
    .uses_dynamic_stack: false
    .vgpr_count:     0
    .vgpr_spill_count: 0
    .wavefront_size: 64
  - .args:
      - .offset:         0
        .size:           96
        .value_kind:     by_value
    .group_segment_fixed_size: 0
    .kernarg_segment_align: 8
    .kernarg_segment_size: 96
    .language:       OpenCL C
    .language_version:
      - 2
      - 0
    .max_flat_workgroup_size: 256
    .name:           _ZN7rocprim17ROCPRIM_400000_NS6detail17trampoline_kernelINS0_14default_configENS1_36segmented_radix_sort_config_selectorIilEEZNS1_25segmented_radix_sort_implIS3_Lb1EPKiPiPKlPlN2at6native12_GLOBAL__N_18offset_tEEE10hipError_tPvRmT1_PNSt15iterator_traitsISK_E10value_typeET2_T3_PNSL_ISQ_E10value_typeET4_jRbjT5_SW_jjP12ihipStream_tbEUlT_E_NS1_11comp_targetILNS1_3genE8ELNS1_11target_archE1030ELNS1_3gpuE2ELNS1_3repE0EEENS1_30default_config_static_selectorELNS0_4arch9wavefront6targetE1EEEvSK_
    .private_segment_fixed_size: 0
    .sgpr_count:     4
    .sgpr_spill_count: 0
    .symbol:         _ZN7rocprim17ROCPRIM_400000_NS6detail17trampoline_kernelINS0_14default_configENS1_36segmented_radix_sort_config_selectorIilEEZNS1_25segmented_radix_sort_implIS3_Lb1EPKiPiPKlPlN2at6native12_GLOBAL__N_18offset_tEEE10hipError_tPvRmT1_PNSt15iterator_traitsISK_E10value_typeET2_T3_PNSL_ISQ_E10value_typeET4_jRbjT5_SW_jjP12ihipStream_tbEUlT_E_NS1_11comp_targetILNS1_3genE8ELNS1_11target_archE1030ELNS1_3gpuE2ELNS1_3repE0EEENS1_30default_config_static_selectorELNS0_4arch9wavefront6targetE1EEEvSK_.kd
    .uniform_work_group_size: 1
    .uses_dynamic_stack: false
    .vgpr_count:     0
    .vgpr_spill_count: 0
    .wavefront_size: 64
  - .args:
      - .offset:         0
        .size:           88
        .value_kind:     by_value
    .group_segment_fixed_size: 0
    .kernarg_segment_align: 8
    .kernarg_segment_size: 88
    .language:       OpenCL C
    .language_version:
      - 2
      - 0
    .max_flat_workgroup_size: 256
    .name:           _ZN7rocprim17ROCPRIM_400000_NS6detail17trampoline_kernelINS0_14default_configENS1_36segmented_radix_sort_config_selectorIilEEZNS1_25segmented_radix_sort_implIS3_Lb1EPKiPiPKlPlN2at6native12_GLOBAL__N_18offset_tEEE10hipError_tPvRmT1_PNSt15iterator_traitsISK_E10value_typeET2_T3_PNSL_ISQ_E10value_typeET4_jRbjT5_SW_jjP12ihipStream_tbEUlT_E0_NS1_11comp_targetILNS1_3genE0ELNS1_11target_archE4294967295ELNS1_3gpuE0ELNS1_3repE0EEENS1_60segmented_radix_sort_warp_sort_medium_config_static_selectorELNS0_4arch9wavefront6targetE1EEEvSK_
    .private_segment_fixed_size: 0
    .sgpr_count:     4
    .sgpr_spill_count: 0
    .symbol:         _ZN7rocprim17ROCPRIM_400000_NS6detail17trampoline_kernelINS0_14default_configENS1_36segmented_radix_sort_config_selectorIilEEZNS1_25segmented_radix_sort_implIS3_Lb1EPKiPiPKlPlN2at6native12_GLOBAL__N_18offset_tEEE10hipError_tPvRmT1_PNSt15iterator_traitsISK_E10value_typeET2_T3_PNSL_ISQ_E10value_typeET4_jRbjT5_SW_jjP12ihipStream_tbEUlT_E0_NS1_11comp_targetILNS1_3genE0ELNS1_11target_archE4294967295ELNS1_3gpuE0ELNS1_3repE0EEENS1_60segmented_radix_sort_warp_sort_medium_config_static_selectorELNS0_4arch9wavefront6targetE1EEEvSK_.kd
    .uniform_work_group_size: 1
    .uses_dynamic_stack: false
    .vgpr_count:     0
    .vgpr_spill_count: 0
    .wavefront_size: 64
  - .args:
      - .offset:         0
        .size:           88
        .value_kind:     by_value
    .group_segment_fixed_size: 0
    .kernarg_segment_align: 8
    .kernarg_segment_size: 88
    .language:       OpenCL C
    .language_version:
      - 2
      - 0
    .max_flat_workgroup_size: 256
    .name:           _ZN7rocprim17ROCPRIM_400000_NS6detail17trampoline_kernelINS0_14default_configENS1_36segmented_radix_sort_config_selectorIilEEZNS1_25segmented_radix_sort_implIS3_Lb1EPKiPiPKlPlN2at6native12_GLOBAL__N_18offset_tEEE10hipError_tPvRmT1_PNSt15iterator_traitsISK_E10value_typeET2_T3_PNSL_ISQ_E10value_typeET4_jRbjT5_SW_jjP12ihipStream_tbEUlT_E0_NS1_11comp_targetILNS1_3genE5ELNS1_11target_archE942ELNS1_3gpuE9ELNS1_3repE0EEENS1_60segmented_radix_sort_warp_sort_medium_config_static_selectorELNS0_4arch9wavefront6targetE1EEEvSK_
    .private_segment_fixed_size: 0
    .sgpr_count:     4
    .sgpr_spill_count: 0
    .symbol:         _ZN7rocprim17ROCPRIM_400000_NS6detail17trampoline_kernelINS0_14default_configENS1_36segmented_radix_sort_config_selectorIilEEZNS1_25segmented_radix_sort_implIS3_Lb1EPKiPiPKlPlN2at6native12_GLOBAL__N_18offset_tEEE10hipError_tPvRmT1_PNSt15iterator_traitsISK_E10value_typeET2_T3_PNSL_ISQ_E10value_typeET4_jRbjT5_SW_jjP12ihipStream_tbEUlT_E0_NS1_11comp_targetILNS1_3genE5ELNS1_11target_archE942ELNS1_3gpuE9ELNS1_3repE0EEENS1_60segmented_radix_sort_warp_sort_medium_config_static_selectorELNS0_4arch9wavefront6targetE1EEEvSK_.kd
    .uniform_work_group_size: 1
    .uses_dynamic_stack: false
    .vgpr_count:     0
    .vgpr_spill_count: 0
    .wavefront_size: 64
  - .args:
      - .offset:         0
        .size:           88
        .value_kind:     by_value
    .group_segment_fixed_size: 0
    .kernarg_segment_align: 8
    .kernarg_segment_size: 88
    .language:       OpenCL C
    .language_version:
      - 2
      - 0
    .max_flat_workgroup_size: 256
    .name:           _ZN7rocprim17ROCPRIM_400000_NS6detail17trampoline_kernelINS0_14default_configENS1_36segmented_radix_sort_config_selectorIilEEZNS1_25segmented_radix_sort_implIS3_Lb1EPKiPiPKlPlN2at6native12_GLOBAL__N_18offset_tEEE10hipError_tPvRmT1_PNSt15iterator_traitsISK_E10value_typeET2_T3_PNSL_ISQ_E10value_typeET4_jRbjT5_SW_jjP12ihipStream_tbEUlT_E0_NS1_11comp_targetILNS1_3genE4ELNS1_11target_archE910ELNS1_3gpuE8ELNS1_3repE0EEENS1_60segmented_radix_sort_warp_sort_medium_config_static_selectorELNS0_4arch9wavefront6targetE1EEEvSK_
    .private_segment_fixed_size: 0
    .sgpr_count:     4
    .sgpr_spill_count: 0
    .symbol:         _ZN7rocprim17ROCPRIM_400000_NS6detail17trampoline_kernelINS0_14default_configENS1_36segmented_radix_sort_config_selectorIilEEZNS1_25segmented_radix_sort_implIS3_Lb1EPKiPiPKlPlN2at6native12_GLOBAL__N_18offset_tEEE10hipError_tPvRmT1_PNSt15iterator_traitsISK_E10value_typeET2_T3_PNSL_ISQ_E10value_typeET4_jRbjT5_SW_jjP12ihipStream_tbEUlT_E0_NS1_11comp_targetILNS1_3genE4ELNS1_11target_archE910ELNS1_3gpuE8ELNS1_3repE0EEENS1_60segmented_radix_sort_warp_sort_medium_config_static_selectorELNS0_4arch9wavefront6targetE1EEEvSK_.kd
    .uniform_work_group_size: 1
    .uses_dynamic_stack: false
    .vgpr_count:     0
    .vgpr_spill_count: 0
    .wavefront_size: 64
  - .args:
      - .offset:         0
        .size:           88
        .value_kind:     by_value
    .group_segment_fixed_size: 0
    .kernarg_segment_align: 8
    .kernarg_segment_size: 88
    .language:       OpenCL C
    .language_version:
      - 2
      - 0
    .max_flat_workgroup_size: 256
    .name:           _ZN7rocprim17ROCPRIM_400000_NS6detail17trampoline_kernelINS0_14default_configENS1_36segmented_radix_sort_config_selectorIilEEZNS1_25segmented_radix_sort_implIS3_Lb1EPKiPiPKlPlN2at6native12_GLOBAL__N_18offset_tEEE10hipError_tPvRmT1_PNSt15iterator_traitsISK_E10value_typeET2_T3_PNSL_ISQ_E10value_typeET4_jRbjT5_SW_jjP12ihipStream_tbEUlT_E0_NS1_11comp_targetILNS1_3genE3ELNS1_11target_archE908ELNS1_3gpuE7ELNS1_3repE0EEENS1_60segmented_radix_sort_warp_sort_medium_config_static_selectorELNS0_4arch9wavefront6targetE1EEEvSK_
    .private_segment_fixed_size: 0
    .sgpr_count:     4
    .sgpr_spill_count: 0
    .symbol:         _ZN7rocprim17ROCPRIM_400000_NS6detail17trampoline_kernelINS0_14default_configENS1_36segmented_radix_sort_config_selectorIilEEZNS1_25segmented_radix_sort_implIS3_Lb1EPKiPiPKlPlN2at6native12_GLOBAL__N_18offset_tEEE10hipError_tPvRmT1_PNSt15iterator_traitsISK_E10value_typeET2_T3_PNSL_ISQ_E10value_typeET4_jRbjT5_SW_jjP12ihipStream_tbEUlT_E0_NS1_11comp_targetILNS1_3genE3ELNS1_11target_archE908ELNS1_3gpuE7ELNS1_3repE0EEENS1_60segmented_radix_sort_warp_sort_medium_config_static_selectorELNS0_4arch9wavefront6targetE1EEEvSK_.kd
    .uniform_work_group_size: 1
    .uses_dynamic_stack: false
    .vgpr_count:     0
    .vgpr_spill_count: 0
    .wavefront_size: 64
  - .args:
      - .offset:         0
        .size:           88
        .value_kind:     by_value
      - .offset:         88
        .size:           4
        .value_kind:     hidden_block_count_x
      - .offset:         92
        .size:           4
        .value_kind:     hidden_block_count_y
      - .offset:         96
        .size:           4
        .value_kind:     hidden_block_count_z
      - .offset:         100
        .size:           2
        .value_kind:     hidden_group_size_x
      - .offset:         102
        .size:           2
        .value_kind:     hidden_group_size_y
      - .offset:         104
        .size:           2
        .value_kind:     hidden_group_size_z
      - .offset:         106
        .size:           2
        .value_kind:     hidden_remainder_x
      - .offset:         108
        .size:           2
        .value_kind:     hidden_remainder_y
      - .offset:         110
        .size:           2
        .value_kind:     hidden_remainder_z
      - .offset:         128
        .size:           8
        .value_kind:     hidden_global_offset_x
      - .offset:         136
        .size:           8
        .value_kind:     hidden_global_offset_y
      - .offset:         144
        .size:           8
        .value_kind:     hidden_global_offset_z
      - .offset:         152
        .size:           2
        .value_kind:     hidden_grid_dims
    .group_segment_fixed_size: 24576
    .kernarg_segment_align: 8
    .kernarg_segment_size: 344
    .language:       OpenCL C
    .language_version:
      - 2
      - 0
    .max_flat_workgroup_size: 256
    .name:           _ZN7rocprim17ROCPRIM_400000_NS6detail17trampoline_kernelINS0_14default_configENS1_36segmented_radix_sort_config_selectorIilEEZNS1_25segmented_radix_sort_implIS3_Lb1EPKiPiPKlPlN2at6native12_GLOBAL__N_18offset_tEEE10hipError_tPvRmT1_PNSt15iterator_traitsISK_E10value_typeET2_T3_PNSL_ISQ_E10value_typeET4_jRbjT5_SW_jjP12ihipStream_tbEUlT_E0_NS1_11comp_targetILNS1_3genE2ELNS1_11target_archE906ELNS1_3gpuE6ELNS1_3repE0EEENS1_60segmented_radix_sort_warp_sort_medium_config_static_selectorELNS0_4arch9wavefront6targetE1EEEvSK_
    .private_segment_fixed_size: 0
    .sgpr_count:     66
    .sgpr_spill_count: 0
    .symbol:         _ZN7rocprim17ROCPRIM_400000_NS6detail17trampoline_kernelINS0_14default_configENS1_36segmented_radix_sort_config_selectorIilEEZNS1_25segmented_radix_sort_implIS3_Lb1EPKiPiPKlPlN2at6native12_GLOBAL__N_18offset_tEEE10hipError_tPvRmT1_PNSt15iterator_traitsISK_E10value_typeET2_T3_PNSL_ISQ_E10value_typeET4_jRbjT5_SW_jjP12ihipStream_tbEUlT_E0_NS1_11comp_targetILNS1_3genE2ELNS1_11target_archE906ELNS1_3gpuE6ELNS1_3repE0EEENS1_60segmented_radix_sort_warp_sort_medium_config_static_selectorELNS0_4arch9wavefront6targetE1EEEvSK_.kd
    .uniform_work_group_size: 1
    .uses_dynamic_stack: false
    .vgpr_count:     70
    .vgpr_spill_count: 0
    .wavefront_size: 64
  - .args:
      - .offset:         0
        .size:           88
        .value_kind:     by_value
    .group_segment_fixed_size: 0
    .kernarg_segment_align: 8
    .kernarg_segment_size: 88
    .language:       OpenCL C
    .language_version:
      - 2
      - 0
    .max_flat_workgroup_size: 256
    .name:           _ZN7rocprim17ROCPRIM_400000_NS6detail17trampoline_kernelINS0_14default_configENS1_36segmented_radix_sort_config_selectorIilEEZNS1_25segmented_radix_sort_implIS3_Lb1EPKiPiPKlPlN2at6native12_GLOBAL__N_18offset_tEEE10hipError_tPvRmT1_PNSt15iterator_traitsISK_E10value_typeET2_T3_PNSL_ISQ_E10value_typeET4_jRbjT5_SW_jjP12ihipStream_tbEUlT_E0_NS1_11comp_targetILNS1_3genE10ELNS1_11target_archE1201ELNS1_3gpuE5ELNS1_3repE0EEENS1_60segmented_radix_sort_warp_sort_medium_config_static_selectorELNS0_4arch9wavefront6targetE1EEEvSK_
    .private_segment_fixed_size: 0
    .sgpr_count:     4
    .sgpr_spill_count: 0
    .symbol:         _ZN7rocprim17ROCPRIM_400000_NS6detail17trampoline_kernelINS0_14default_configENS1_36segmented_radix_sort_config_selectorIilEEZNS1_25segmented_radix_sort_implIS3_Lb1EPKiPiPKlPlN2at6native12_GLOBAL__N_18offset_tEEE10hipError_tPvRmT1_PNSt15iterator_traitsISK_E10value_typeET2_T3_PNSL_ISQ_E10value_typeET4_jRbjT5_SW_jjP12ihipStream_tbEUlT_E0_NS1_11comp_targetILNS1_3genE10ELNS1_11target_archE1201ELNS1_3gpuE5ELNS1_3repE0EEENS1_60segmented_radix_sort_warp_sort_medium_config_static_selectorELNS0_4arch9wavefront6targetE1EEEvSK_.kd
    .uniform_work_group_size: 1
    .uses_dynamic_stack: false
    .vgpr_count:     0
    .vgpr_spill_count: 0
    .wavefront_size: 64
  - .args:
      - .offset:         0
        .size:           88
        .value_kind:     by_value
    .group_segment_fixed_size: 0
    .kernarg_segment_align: 8
    .kernarg_segment_size: 88
    .language:       OpenCL C
    .language_version:
      - 2
      - 0
    .max_flat_workgroup_size: 256
    .name:           _ZN7rocprim17ROCPRIM_400000_NS6detail17trampoline_kernelINS0_14default_configENS1_36segmented_radix_sort_config_selectorIilEEZNS1_25segmented_radix_sort_implIS3_Lb1EPKiPiPKlPlN2at6native12_GLOBAL__N_18offset_tEEE10hipError_tPvRmT1_PNSt15iterator_traitsISK_E10value_typeET2_T3_PNSL_ISQ_E10value_typeET4_jRbjT5_SW_jjP12ihipStream_tbEUlT_E0_NS1_11comp_targetILNS1_3genE10ELNS1_11target_archE1200ELNS1_3gpuE4ELNS1_3repE0EEENS1_60segmented_radix_sort_warp_sort_medium_config_static_selectorELNS0_4arch9wavefront6targetE1EEEvSK_
    .private_segment_fixed_size: 0
    .sgpr_count:     4
    .sgpr_spill_count: 0
    .symbol:         _ZN7rocprim17ROCPRIM_400000_NS6detail17trampoline_kernelINS0_14default_configENS1_36segmented_radix_sort_config_selectorIilEEZNS1_25segmented_radix_sort_implIS3_Lb1EPKiPiPKlPlN2at6native12_GLOBAL__N_18offset_tEEE10hipError_tPvRmT1_PNSt15iterator_traitsISK_E10value_typeET2_T3_PNSL_ISQ_E10value_typeET4_jRbjT5_SW_jjP12ihipStream_tbEUlT_E0_NS1_11comp_targetILNS1_3genE10ELNS1_11target_archE1200ELNS1_3gpuE4ELNS1_3repE0EEENS1_60segmented_radix_sort_warp_sort_medium_config_static_selectorELNS0_4arch9wavefront6targetE1EEEvSK_.kd
    .uniform_work_group_size: 1
    .uses_dynamic_stack: false
    .vgpr_count:     0
    .vgpr_spill_count: 0
    .wavefront_size: 64
  - .args:
      - .offset:         0
        .size:           88
        .value_kind:     by_value
    .group_segment_fixed_size: 0
    .kernarg_segment_align: 8
    .kernarg_segment_size: 88
    .language:       OpenCL C
    .language_version:
      - 2
      - 0
    .max_flat_workgroup_size: 256
    .name:           _ZN7rocprim17ROCPRIM_400000_NS6detail17trampoline_kernelINS0_14default_configENS1_36segmented_radix_sort_config_selectorIilEEZNS1_25segmented_radix_sort_implIS3_Lb1EPKiPiPKlPlN2at6native12_GLOBAL__N_18offset_tEEE10hipError_tPvRmT1_PNSt15iterator_traitsISK_E10value_typeET2_T3_PNSL_ISQ_E10value_typeET4_jRbjT5_SW_jjP12ihipStream_tbEUlT_E0_NS1_11comp_targetILNS1_3genE9ELNS1_11target_archE1100ELNS1_3gpuE3ELNS1_3repE0EEENS1_60segmented_radix_sort_warp_sort_medium_config_static_selectorELNS0_4arch9wavefront6targetE1EEEvSK_
    .private_segment_fixed_size: 0
    .sgpr_count:     4
    .sgpr_spill_count: 0
    .symbol:         _ZN7rocprim17ROCPRIM_400000_NS6detail17trampoline_kernelINS0_14default_configENS1_36segmented_radix_sort_config_selectorIilEEZNS1_25segmented_radix_sort_implIS3_Lb1EPKiPiPKlPlN2at6native12_GLOBAL__N_18offset_tEEE10hipError_tPvRmT1_PNSt15iterator_traitsISK_E10value_typeET2_T3_PNSL_ISQ_E10value_typeET4_jRbjT5_SW_jjP12ihipStream_tbEUlT_E0_NS1_11comp_targetILNS1_3genE9ELNS1_11target_archE1100ELNS1_3gpuE3ELNS1_3repE0EEENS1_60segmented_radix_sort_warp_sort_medium_config_static_selectorELNS0_4arch9wavefront6targetE1EEEvSK_.kd
    .uniform_work_group_size: 1
    .uses_dynamic_stack: false
    .vgpr_count:     0
    .vgpr_spill_count: 0
    .wavefront_size: 64
  - .args:
      - .offset:         0
        .size:           88
        .value_kind:     by_value
    .group_segment_fixed_size: 0
    .kernarg_segment_align: 8
    .kernarg_segment_size: 88
    .language:       OpenCL C
    .language_version:
      - 2
      - 0
    .max_flat_workgroup_size: 256
    .name:           _ZN7rocprim17ROCPRIM_400000_NS6detail17trampoline_kernelINS0_14default_configENS1_36segmented_radix_sort_config_selectorIilEEZNS1_25segmented_radix_sort_implIS3_Lb1EPKiPiPKlPlN2at6native12_GLOBAL__N_18offset_tEEE10hipError_tPvRmT1_PNSt15iterator_traitsISK_E10value_typeET2_T3_PNSL_ISQ_E10value_typeET4_jRbjT5_SW_jjP12ihipStream_tbEUlT_E0_NS1_11comp_targetILNS1_3genE8ELNS1_11target_archE1030ELNS1_3gpuE2ELNS1_3repE0EEENS1_60segmented_radix_sort_warp_sort_medium_config_static_selectorELNS0_4arch9wavefront6targetE1EEEvSK_
    .private_segment_fixed_size: 0
    .sgpr_count:     4
    .sgpr_spill_count: 0
    .symbol:         _ZN7rocprim17ROCPRIM_400000_NS6detail17trampoline_kernelINS0_14default_configENS1_36segmented_radix_sort_config_selectorIilEEZNS1_25segmented_radix_sort_implIS3_Lb1EPKiPiPKlPlN2at6native12_GLOBAL__N_18offset_tEEE10hipError_tPvRmT1_PNSt15iterator_traitsISK_E10value_typeET2_T3_PNSL_ISQ_E10value_typeET4_jRbjT5_SW_jjP12ihipStream_tbEUlT_E0_NS1_11comp_targetILNS1_3genE8ELNS1_11target_archE1030ELNS1_3gpuE2ELNS1_3repE0EEENS1_60segmented_radix_sort_warp_sort_medium_config_static_selectorELNS0_4arch9wavefront6targetE1EEEvSK_.kd
    .uniform_work_group_size: 1
    .uses_dynamic_stack: false
    .vgpr_count:     0
    .vgpr_spill_count: 0
    .wavefront_size: 64
  - .args:
      - .offset:         0
        .size:           88
        .value_kind:     by_value
    .group_segment_fixed_size: 0
    .kernarg_segment_align: 8
    .kernarg_segment_size: 88
    .language:       OpenCL C
    .language_version:
      - 2
      - 0
    .max_flat_workgroup_size: 256
    .name:           _ZN7rocprim17ROCPRIM_400000_NS6detail17trampoline_kernelINS0_14default_configENS1_36segmented_radix_sort_config_selectorIilEEZNS1_25segmented_radix_sort_implIS3_Lb1EPKiPiPKlPlN2at6native12_GLOBAL__N_18offset_tEEE10hipError_tPvRmT1_PNSt15iterator_traitsISK_E10value_typeET2_T3_PNSL_ISQ_E10value_typeET4_jRbjT5_SW_jjP12ihipStream_tbEUlT_E1_NS1_11comp_targetILNS1_3genE0ELNS1_11target_archE4294967295ELNS1_3gpuE0ELNS1_3repE0EEENS1_59segmented_radix_sort_warp_sort_small_config_static_selectorELNS0_4arch9wavefront6targetE1EEEvSK_
    .private_segment_fixed_size: 0
    .sgpr_count:     4
    .sgpr_spill_count: 0
    .symbol:         _ZN7rocprim17ROCPRIM_400000_NS6detail17trampoline_kernelINS0_14default_configENS1_36segmented_radix_sort_config_selectorIilEEZNS1_25segmented_radix_sort_implIS3_Lb1EPKiPiPKlPlN2at6native12_GLOBAL__N_18offset_tEEE10hipError_tPvRmT1_PNSt15iterator_traitsISK_E10value_typeET2_T3_PNSL_ISQ_E10value_typeET4_jRbjT5_SW_jjP12ihipStream_tbEUlT_E1_NS1_11comp_targetILNS1_3genE0ELNS1_11target_archE4294967295ELNS1_3gpuE0ELNS1_3repE0EEENS1_59segmented_radix_sort_warp_sort_small_config_static_selectorELNS0_4arch9wavefront6targetE1EEEvSK_.kd
    .uniform_work_group_size: 1
    .uses_dynamic_stack: false
    .vgpr_count:     0
    .vgpr_spill_count: 0
    .wavefront_size: 64
  - .args:
      - .offset:         0
        .size:           88
        .value_kind:     by_value
    .group_segment_fixed_size: 0
    .kernarg_segment_align: 8
    .kernarg_segment_size: 88
    .language:       OpenCL C
    .language_version:
      - 2
      - 0
    .max_flat_workgroup_size: 256
    .name:           _ZN7rocprim17ROCPRIM_400000_NS6detail17trampoline_kernelINS0_14default_configENS1_36segmented_radix_sort_config_selectorIilEEZNS1_25segmented_radix_sort_implIS3_Lb1EPKiPiPKlPlN2at6native12_GLOBAL__N_18offset_tEEE10hipError_tPvRmT1_PNSt15iterator_traitsISK_E10value_typeET2_T3_PNSL_ISQ_E10value_typeET4_jRbjT5_SW_jjP12ihipStream_tbEUlT_E1_NS1_11comp_targetILNS1_3genE5ELNS1_11target_archE942ELNS1_3gpuE9ELNS1_3repE0EEENS1_59segmented_radix_sort_warp_sort_small_config_static_selectorELNS0_4arch9wavefront6targetE1EEEvSK_
    .private_segment_fixed_size: 0
    .sgpr_count:     4
    .sgpr_spill_count: 0
    .symbol:         _ZN7rocprim17ROCPRIM_400000_NS6detail17trampoline_kernelINS0_14default_configENS1_36segmented_radix_sort_config_selectorIilEEZNS1_25segmented_radix_sort_implIS3_Lb1EPKiPiPKlPlN2at6native12_GLOBAL__N_18offset_tEEE10hipError_tPvRmT1_PNSt15iterator_traitsISK_E10value_typeET2_T3_PNSL_ISQ_E10value_typeET4_jRbjT5_SW_jjP12ihipStream_tbEUlT_E1_NS1_11comp_targetILNS1_3genE5ELNS1_11target_archE942ELNS1_3gpuE9ELNS1_3repE0EEENS1_59segmented_radix_sort_warp_sort_small_config_static_selectorELNS0_4arch9wavefront6targetE1EEEvSK_.kd
    .uniform_work_group_size: 1
    .uses_dynamic_stack: false
    .vgpr_count:     0
    .vgpr_spill_count: 0
    .wavefront_size: 64
  - .args:
      - .offset:         0
        .size:           88
        .value_kind:     by_value
    .group_segment_fixed_size: 0
    .kernarg_segment_align: 8
    .kernarg_segment_size: 88
    .language:       OpenCL C
    .language_version:
      - 2
      - 0
    .max_flat_workgroup_size: 256
    .name:           _ZN7rocprim17ROCPRIM_400000_NS6detail17trampoline_kernelINS0_14default_configENS1_36segmented_radix_sort_config_selectorIilEEZNS1_25segmented_radix_sort_implIS3_Lb1EPKiPiPKlPlN2at6native12_GLOBAL__N_18offset_tEEE10hipError_tPvRmT1_PNSt15iterator_traitsISK_E10value_typeET2_T3_PNSL_ISQ_E10value_typeET4_jRbjT5_SW_jjP12ihipStream_tbEUlT_E1_NS1_11comp_targetILNS1_3genE4ELNS1_11target_archE910ELNS1_3gpuE8ELNS1_3repE0EEENS1_59segmented_radix_sort_warp_sort_small_config_static_selectorELNS0_4arch9wavefront6targetE1EEEvSK_
    .private_segment_fixed_size: 0
    .sgpr_count:     4
    .sgpr_spill_count: 0
    .symbol:         _ZN7rocprim17ROCPRIM_400000_NS6detail17trampoline_kernelINS0_14default_configENS1_36segmented_radix_sort_config_selectorIilEEZNS1_25segmented_radix_sort_implIS3_Lb1EPKiPiPKlPlN2at6native12_GLOBAL__N_18offset_tEEE10hipError_tPvRmT1_PNSt15iterator_traitsISK_E10value_typeET2_T3_PNSL_ISQ_E10value_typeET4_jRbjT5_SW_jjP12ihipStream_tbEUlT_E1_NS1_11comp_targetILNS1_3genE4ELNS1_11target_archE910ELNS1_3gpuE8ELNS1_3repE0EEENS1_59segmented_radix_sort_warp_sort_small_config_static_selectorELNS0_4arch9wavefront6targetE1EEEvSK_.kd
    .uniform_work_group_size: 1
    .uses_dynamic_stack: false
    .vgpr_count:     0
    .vgpr_spill_count: 0
    .wavefront_size: 64
  - .args:
      - .offset:         0
        .size:           88
        .value_kind:     by_value
    .group_segment_fixed_size: 0
    .kernarg_segment_align: 8
    .kernarg_segment_size: 88
    .language:       OpenCL C
    .language_version:
      - 2
      - 0
    .max_flat_workgroup_size: 256
    .name:           _ZN7rocprim17ROCPRIM_400000_NS6detail17trampoline_kernelINS0_14default_configENS1_36segmented_radix_sort_config_selectorIilEEZNS1_25segmented_radix_sort_implIS3_Lb1EPKiPiPKlPlN2at6native12_GLOBAL__N_18offset_tEEE10hipError_tPvRmT1_PNSt15iterator_traitsISK_E10value_typeET2_T3_PNSL_ISQ_E10value_typeET4_jRbjT5_SW_jjP12ihipStream_tbEUlT_E1_NS1_11comp_targetILNS1_3genE3ELNS1_11target_archE908ELNS1_3gpuE7ELNS1_3repE0EEENS1_59segmented_radix_sort_warp_sort_small_config_static_selectorELNS0_4arch9wavefront6targetE1EEEvSK_
    .private_segment_fixed_size: 0
    .sgpr_count:     4
    .sgpr_spill_count: 0
    .symbol:         _ZN7rocprim17ROCPRIM_400000_NS6detail17trampoline_kernelINS0_14default_configENS1_36segmented_radix_sort_config_selectorIilEEZNS1_25segmented_radix_sort_implIS3_Lb1EPKiPiPKlPlN2at6native12_GLOBAL__N_18offset_tEEE10hipError_tPvRmT1_PNSt15iterator_traitsISK_E10value_typeET2_T3_PNSL_ISQ_E10value_typeET4_jRbjT5_SW_jjP12ihipStream_tbEUlT_E1_NS1_11comp_targetILNS1_3genE3ELNS1_11target_archE908ELNS1_3gpuE7ELNS1_3repE0EEENS1_59segmented_radix_sort_warp_sort_small_config_static_selectorELNS0_4arch9wavefront6targetE1EEEvSK_.kd
    .uniform_work_group_size: 1
    .uses_dynamic_stack: false
    .vgpr_count:     0
    .vgpr_spill_count: 0
    .wavefront_size: 64
  - .args:
      - .offset:         0
        .size:           88
        .value_kind:     by_value
      - .offset:         88
        .size:           4
        .value_kind:     hidden_block_count_x
      - .offset:         92
        .size:           4
        .value_kind:     hidden_block_count_y
      - .offset:         96
        .size:           4
        .value_kind:     hidden_block_count_z
      - .offset:         100
        .size:           2
        .value_kind:     hidden_group_size_x
      - .offset:         102
        .size:           2
        .value_kind:     hidden_group_size_y
      - .offset:         104
        .size:           2
        .value_kind:     hidden_group_size_z
      - .offset:         106
        .size:           2
        .value_kind:     hidden_remainder_x
      - .offset:         108
        .size:           2
        .value_kind:     hidden_remainder_y
      - .offset:         110
        .size:           2
        .value_kind:     hidden_remainder_z
      - .offset:         128
        .size:           8
        .value_kind:     hidden_global_offset_x
      - .offset:         136
        .size:           8
        .value_kind:     hidden_global_offset_y
      - .offset:         144
        .size:           8
        .value_kind:     hidden_global_offset_z
      - .offset:         152
        .size:           2
        .value_kind:     hidden_grid_dims
    .group_segment_fixed_size: 12288
    .kernarg_segment_align: 8
    .kernarg_segment_size: 344
    .language:       OpenCL C
    .language_version:
      - 2
      - 0
    .max_flat_workgroup_size: 256
    .name:           _ZN7rocprim17ROCPRIM_400000_NS6detail17trampoline_kernelINS0_14default_configENS1_36segmented_radix_sort_config_selectorIilEEZNS1_25segmented_radix_sort_implIS3_Lb1EPKiPiPKlPlN2at6native12_GLOBAL__N_18offset_tEEE10hipError_tPvRmT1_PNSt15iterator_traitsISK_E10value_typeET2_T3_PNSL_ISQ_E10value_typeET4_jRbjT5_SW_jjP12ihipStream_tbEUlT_E1_NS1_11comp_targetILNS1_3genE2ELNS1_11target_archE906ELNS1_3gpuE6ELNS1_3repE0EEENS1_59segmented_radix_sort_warp_sort_small_config_static_selectorELNS0_4arch9wavefront6targetE1EEEvSK_
    .private_segment_fixed_size: 0
    .sgpr_count:     52
    .sgpr_spill_count: 0
    .symbol:         _ZN7rocprim17ROCPRIM_400000_NS6detail17trampoline_kernelINS0_14default_configENS1_36segmented_radix_sort_config_selectorIilEEZNS1_25segmented_radix_sort_implIS3_Lb1EPKiPiPKlPlN2at6native12_GLOBAL__N_18offset_tEEE10hipError_tPvRmT1_PNSt15iterator_traitsISK_E10value_typeET2_T3_PNSL_ISQ_E10value_typeET4_jRbjT5_SW_jjP12ihipStream_tbEUlT_E1_NS1_11comp_targetILNS1_3genE2ELNS1_11target_archE906ELNS1_3gpuE6ELNS1_3repE0EEENS1_59segmented_radix_sort_warp_sort_small_config_static_selectorELNS0_4arch9wavefront6targetE1EEEvSK_.kd
    .uniform_work_group_size: 1
    .uses_dynamic_stack: false
    .vgpr_count:     56
    .vgpr_spill_count: 0
    .wavefront_size: 64
  - .args:
      - .offset:         0
        .size:           88
        .value_kind:     by_value
    .group_segment_fixed_size: 0
    .kernarg_segment_align: 8
    .kernarg_segment_size: 88
    .language:       OpenCL C
    .language_version:
      - 2
      - 0
    .max_flat_workgroup_size: 256
    .name:           _ZN7rocprim17ROCPRIM_400000_NS6detail17trampoline_kernelINS0_14default_configENS1_36segmented_radix_sort_config_selectorIilEEZNS1_25segmented_radix_sort_implIS3_Lb1EPKiPiPKlPlN2at6native12_GLOBAL__N_18offset_tEEE10hipError_tPvRmT1_PNSt15iterator_traitsISK_E10value_typeET2_T3_PNSL_ISQ_E10value_typeET4_jRbjT5_SW_jjP12ihipStream_tbEUlT_E1_NS1_11comp_targetILNS1_3genE10ELNS1_11target_archE1201ELNS1_3gpuE5ELNS1_3repE0EEENS1_59segmented_radix_sort_warp_sort_small_config_static_selectorELNS0_4arch9wavefront6targetE1EEEvSK_
    .private_segment_fixed_size: 0
    .sgpr_count:     4
    .sgpr_spill_count: 0
    .symbol:         _ZN7rocprim17ROCPRIM_400000_NS6detail17trampoline_kernelINS0_14default_configENS1_36segmented_radix_sort_config_selectorIilEEZNS1_25segmented_radix_sort_implIS3_Lb1EPKiPiPKlPlN2at6native12_GLOBAL__N_18offset_tEEE10hipError_tPvRmT1_PNSt15iterator_traitsISK_E10value_typeET2_T3_PNSL_ISQ_E10value_typeET4_jRbjT5_SW_jjP12ihipStream_tbEUlT_E1_NS1_11comp_targetILNS1_3genE10ELNS1_11target_archE1201ELNS1_3gpuE5ELNS1_3repE0EEENS1_59segmented_radix_sort_warp_sort_small_config_static_selectorELNS0_4arch9wavefront6targetE1EEEvSK_.kd
    .uniform_work_group_size: 1
    .uses_dynamic_stack: false
    .vgpr_count:     0
    .vgpr_spill_count: 0
    .wavefront_size: 64
  - .args:
      - .offset:         0
        .size:           88
        .value_kind:     by_value
    .group_segment_fixed_size: 0
    .kernarg_segment_align: 8
    .kernarg_segment_size: 88
    .language:       OpenCL C
    .language_version:
      - 2
      - 0
    .max_flat_workgroup_size: 256
    .name:           _ZN7rocprim17ROCPRIM_400000_NS6detail17trampoline_kernelINS0_14default_configENS1_36segmented_radix_sort_config_selectorIilEEZNS1_25segmented_radix_sort_implIS3_Lb1EPKiPiPKlPlN2at6native12_GLOBAL__N_18offset_tEEE10hipError_tPvRmT1_PNSt15iterator_traitsISK_E10value_typeET2_T3_PNSL_ISQ_E10value_typeET4_jRbjT5_SW_jjP12ihipStream_tbEUlT_E1_NS1_11comp_targetILNS1_3genE10ELNS1_11target_archE1200ELNS1_3gpuE4ELNS1_3repE0EEENS1_59segmented_radix_sort_warp_sort_small_config_static_selectorELNS0_4arch9wavefront6targetE1EEEvSK_
    .private_segment_fixed_size: 0
    .sgpr_count:     4
    .sgpr_spill_count: 0
    .symbol:         _ZN7rocprim17ROCPRIM_400000_NS6detail17trampoline_kernelINS0_14default_configENS1_36segmented_radix_sort_config_selectorIilEEZNS1_25segmented_radix_sort_implIS3_Lb1EPKiPiPKlPlN2at6native12_GLOBAL__N_18offset_tEEE10hipError_tPvRmT1_PNSt15iterator_traitsISK_E10value_typeET2_T3_PNSL_ISQ_E10value_typeET4_jRbjT5_SW_jjP12ihipStream_tbEUlT_E1_NS1_11comp_targetILNS1_3genE10ELNS1_11target_archE1200ELNS1_3gpuE4ELNS1_3repE0EEENS1_59segmented_radix_sort_warp_sort_small_config_static_selectorELNS0_4arch9wavefront6targetE1EEEvSK_.kd
    .uniform_work_group_size: 1
    .uses_dynamic_stack: false
    .vgpr_count:     0
    .vgpr_spill_count: 0
    .wavefront_size: 64
  - .args:
      - .offset:         0
        .size:           88
        .value_kind:     by_value
    .group_segment_fixed_size: 0
    .kernarg_segment_align: 8
    .kernarg_segment_size: 88
    .language:       OpenCL C
    .language_version:
      - 2
      - 0
    .max_flat_workgroup_size: 256
    .name:           _ZN7rocprim17ROCPRIM_400000_NS6detail17trampoline_kernelINS0_14default_configENS1_36segmented_radix_sort_config_selectorIilEEZNS1_25segmented_radix_sort_implIS3_Lb1EPKiPiPKlPlN2at6native12_GLOBAL__N_18offset_tEEE10hipError_tPvRmT1_PNSt15iterator_traitsISK_E10value_typeET2_T3_PNSL_ISQ_E10value_typeET4_jRbjT5_SW_jjP12ihipStream_tbEUlT_E1_NS1_11comp_targetILNS1_3genE9ELNS1_11target_archE1100ELNS1_3gpuE3ELNS1_3repE0EEENS1_59segmented_radix_sort_warp_sort_small_config_static_selectorELNS0_4arch9wavefront6targetE1EEEvSK_
    .private_segment_fixed_size: 0
    .sgpr_count:     4
    .sgpr_spill_count: 0
    .symbol:         _ZN7rocprim17ROCPRIM_400000_NS6detail17trampoline_kernelINS0_14default_configENS1_36segmented_radix_sort_config_selectorIilEEZNS1_25segmented_radix_sort_implIS3_Lb1EPKiPiPKlPlN2at6native12_GLOBAL__N_18offset_tEEE10hipError_tPvRmT1_PNSt15iterator_traitsISK_E10value_typeET2_T3_PNSL_ISQ_E10value_typeET4_jRbjT5_SW_jjP12ihipStream_tbEUlT_E1_NS1_11comp_targetILNS1_3genE9ELNS1_11target_archE1100ELNS1_3gpuE3ELNS1_3repE0EEENS1_59segmented_radix_sort_warp_sort_small_config_static_selectorELNS0_4arch9wavefront6targetE1EEEvSK_.kd
    .uniform_work_group_size: 1
    .uses_dynamic_stack: false
    .vgpr_count:     0
    .vgpr_spill_count: 0
    .wavefront_size: 64
  - .args:
      - .offset:         0
        .size:           88
        .value_kind:     by_value
    .group_segment_fixed_size: 0
    .kernarg_segment_align: 8
    .kernarg_segment_size: 88
    .language:       OpenCL C
    .language_version:
      - 2
      - 0
    .max_flat_workgroup_size: 256
    .name:           _ZN7rocprim17ROCPRIM_400000_NS6detail17trampoline_kernelINS0_14default_configENS1_36segmented_radix_sort_config_selectorIilEEZNS1_25segmented_radix_sort_implIS3_Lb1EPKiPiPKlPlN2at6native12_GLOBAL__N_18offset_tEEE10hipError_tPvRmT1_PNSt15iterator_traitsISK_E10value_typeET2_T3_PNSL_ISQ_E10value_typeET4_jRbjT5_SW_jjP12ihipStream_tbEUlT_E1_NS1_11comp_targetILNS1_3genE8ELNS1_11target_archE1030ELNS1_3gpuE2ELNS1_3repE0EEENS1_59segmented_radix_sort_warp_sort_small_config_static_selectorELNS0_4arch9wavefront6targetE1EEEvSK_
    .private_segment_fixed_size: 0
    .sgpr_count:     4
    .sgpr_spill_count: 0
    .symbol:         _ZN7rocprim17ROCPRIM_400000_NS6detail17trampoline_kernelINS0_14default_configENS1_36segmented_radix_sort_config_selectorIilEEZNS1_25segmented_radix_sort_implIS3_Lb1EPKiPiPKlPlN2at6native12_GLOBAL__N_18offset_tEEE10hipError_tPvRmT1_PNSt15iterator_traitsISK_E10value_typeET2_T3_PNSL_ISQ_E10value_typeET4_jRbjT5_SW_jjP12ihipStream_tbEUlT_E1_NS1_11comp_targetILNS1_3genE8ELNS1_11target_archE1030ELNS1_3gpuE2ELNS1_3repE0EEENS1_59segmented_radix_sort_warp_sort_small_config_static_selectorELNS0_4arch9wavefront6targetE1EEEvSK_.kd
    .uniform_work_group_size: 1
    .uses_dynamic_stack: false
    .vgpr_count:     0
    .vgpr_spill_count: 0
    .wavefront_size: 64
  - .args:
      - .offset:         0
        .size:           80
        .value_kind:     by_value
    .group_segment_fixed_size: 0
    .kernarg_segment_align: 8
    .kernarg_segment_size: 80
    .language:       OpenCL C
    .language_version:
      - 2
      - 0
    .max_flat_workgroup_size: 256
    .name:           _ZN7rocprim17ROCPRIM_400000_NS6detail17trampoline_kernelINS0_14default_configENS1_36segmented_radix_sort_config_selectorIilEEZNS1_25segmented_radix_sort_implIS3_Lb1EPKiPiPKlPlN2at6native12_GLOBAL__N_18offset_tEEE10hipError_tPvRmT1_PNSt15iterator_traitsISK_E10value_typeET2_T3_PNSL_ISQ_E10value_typeET4_jRbjT5_SW_jjP12ihipStream_tbEUlT_E2_NS1_11comp_targetILNS1_3genE0ELNS1_11target_archE4294967295ELNS1_3gpuE0ELNS1_3repE0EEENS1_30default_config_static_selectorELNS0_4arch9wavefront6targetE1EEEvSK_
    .private_segment_fixed_size: 0
    .sgpr_count:     4
    .sgpr_spill_count: 0
    .symbol:         _ZN7rocprim17ROCPRIM_400000_NS6detail17trampoline_kernelINS0_14default_configENS1_36segmented_radix_sort_config_selectorIilEEZNS1_25segmented_radix_sort_implIS3_Lb1EPKiPiPKlPlN2at6native12_GLOBAL__N_18offset_tEEE10hipError_tPvRmT1_PNSt15iterator_traitsISK_E10value_typeET2_T3_PNSL_ISQ_E10value_typeET4_jRbjT5_SW_jjP12ihipStream_tbEUlT_E2_NS1_11comp_targetILNS1_3genE0ELNS1_11target_archE4294967295ELNS1_3gpuE0ELNS1_3repE0EEENS1_30default_config_static_selectorELNS0_4arch9wavefront6targetE1EEEvSK_.kd
    .uniform_work_group_size: 1
    .uses_dynamic_stack: false
    .vgpr_count:     0
    .vgpr_spill_count: 0
    .wavefront_size: 64
  - .args:
      - .offset:         0
        .size:           80
        .value_kind:     by_value
    .group_segment_fixed_size: 0
    .kernarg_segment_align: 8
    .kernarg_segment_size: 80
    .language:       OpenCL C
    .language_version:
      - 2
      - 0
    .max_flat_workgroup_size: 256
    .name:           _ZN7rocprim17ROCPRIM_400000_NS6detail17trampoline_kernelINS0_14default_configENS1_36segmented_radix_sort_config_selectorIilEEZNS1_25segmented_radix_sort_implIS3_Lb1EPKiPiPKlPlN2at6native12_GLOBAL__N_18offset_tEEE10hipError_tPvRmT1_PNSt15iterator_traitsISK_E10value_typeET2_T3_PNSL_ISQ_E10value_typeET4_jRbjT5_SW_jjP12ihipStream_tbEUlT_E2_NS1_11comp_targetILNS1_3genE5ELNS1_11target_archE942ELNS1_3gpuE9ELNS1_3repE0EEENS1_30default_config_static_selectorELNS0_4arch9wavefront6targetE1EEEvSK_
    .private_segment_fixed_size: 0
    .sgpr_count:     4
    .sgpr_spill_count: 0
    .symbol:         _ZN7rocprim17ROCPRIM_400000_NS6detail17trampoline_kernelINS0_14default_configENS1_36segmented_radix_sort_config_selectorIilEEZNS1_25segmented_radix_sort_implIS3_Lb1EPKiPiPKlPlN2at6native12_GLOBAL__N_18offset_tEEE10hipError_tPvRmT1_PNSt15iterator_traitsISK_E10value_typeET2_T3_PNSL_ISQ_E10value_typeET4_jRbjT5_SW_jjP12ihipStream_tbEUlT_E2_NS1_11comp_targetILNS1_3genE5ELNS1_11target_archE942ELNS1_3gpuE9ELNS1_3repE0EEENS1_30default_config_static_selectorELNS0_4arch9wavefront6targetE1EEEvSK_.kd
    .uniform_work_group_size: 1
    .uses_dynamic_stack: false
    .vgpr_count:     0
    .vgpr_spill_count: 0
    .wavefront_size: 64
  - .args:
      - .offset:         0
        .size:           80
        .value_kind:     by_value
    .group_segment_fixed_size: 0
    .kernarg_segment_align: 8
    .kernarg_segment_size: 80
    .language:       OpenCL C
    .language_version:
      - 2
      - 0
    .max_flat_workgroup_size: 256
    .name:           _ZN7rocprim17ROCPRIM_400000_NS6detail17trampoline_kernelINS0_14default_configENS1_36segmented_radix_sort_config_selectorIilEEZNS1_25segmented_radix_sort_implIS3_Lb1EPKiPiPKlPlN2at6native12_GLOBAL__N_18offset_tEEE10hipError_tPvRmT1_PNSt15iterator_traitsISK_E10value_typeET2_T3_PNSL_ISQ_E10value_typeET4_jRbjT5_SW_jjP12ihipStream_tbEUlT_E2_NS1_11comp_targetILNS1_3genE4ELNS1_11target_archE910ELNS1_3gpuE8ELNS1_3repE0EEENS1_30default_config_static_selectorELNS0_4arch9wavefront6targetE1EEEvSK_
    .private_segment_fixed_size: 0
    .sgpr_count:     4
    .sgpr_spill_count: 0
    .symbol:         _ZN7rocprim17ROCPRIM_400000_NS6detail17trampoline_kernelINS0_14default_configENS1_36segmented_radix_sort_config_selectorIilEEZNS1_25segmented_radix_sort_implIS3_Lb1EPKiPiPKlPlN2at6native12_GLOBAL__N_18offset_tEEE10hipError_tPvRmT1_PNSt15iterator_traitsISK_E10value_typeET2_T3_PNSL_ISQ_E10value_typeET4_jRbjT5_SW_jjP12ihipStream_tbEUlT_E2_NS1_11comp_targetILNS1_3genE4ELNS1_11target_archE910ELNS1_3gpuE8ELNS1_3repE0EEENS1_30default_config_static_selectorELNS0_4arch9wavefront6targetE1EEEvSK_.kd
    .uniform_work_group_size: 1
    .uses_dynamic_stack: false
    .vgpr_count:     0
    .vgpr_spill_count: 0
    .wavefront_size: 64
  - .args:
      - .offset:         0
        .size:           80
        .value_kind:     by_value
    .group_segment_fixed_size: 0
    .kernarg_segment_align: 8
    .kernarg_segment_size: 80
    .language:       OpenCL C
    .language_version:
      - 2
      - 0
    .max_flat_workgroup_size: 256
    .name:           _ZN7rocprim17ROCPRIM_400000_NS6detail17trampoline_kernelINS0_14default_configENS1_36segmented_radix_sort_config_selectorIilEEZNS1_25segmented_radix_sort_implIS3_Lb1EPKiPiPKlPlN2at6native12_GLOBAL__N_18offset_tEEE10hipError_tPvRmT1_PNSt15iterator_traitsISK_E10value_typeET2_T3_PNSL_ISQ_E10value_typeET4_jRbjT5_SW_jjP12ihipStream_tbEUlT_E2_NS1_11comp_targetILNS1_3genE3ELNS1_11target_archE908ELNS1_3gpuE7ELNS1_3repE0EEENS1_30default_config_static_selectorELNS0_4arch9wavefront6targetE1EEEvSK_
    .private_segment_fixed_size: 0
    .sgpr_count:     4
    .sgpr_spill_count: 0
    .symbol:         _ZN7rocprim17ROCPRIM_400000_NS6detail17trampoline_kernelINS0_14default_configENS1_36segmented_radix_sort_config_selectorIilEEZNS1_25segmented_radix_sort_implIS3_Lb1EPKiPiPKlPlN2at6native12_GLOBAL__N_18offset_tEEE10hipError_tPvRmT1_PNSt15iterator_traitsISK_E10value_typeET2_T3_PNSL_ISQ_E10value_typeET4_jRbjT5_SW_jjP12ihipStream_tbEUlT_E2_NS1_11comp_targetILNS1_3genE3ELNS1_11target_archE908ELNS1_3gpuE7ELNS1_3repE0EEENS1_30default_config_static_selectorELNS0_4arch9wavefront6targetE1EEEvSK_.kd
    .uniform_work_group_size: 1
    .uses_dynamic_stack: false
    .vgpr_count:     0
    .vgpr_spill_count: 0
    .wavefront_size: 64
  - .args:
      - .offset:         0
        .size:           80
        .value_kind:     by_value
      - .offset:         80
        .size:           4
        .value_kind:     hidden_block_count_x
      - .offset:         84
        .size:           4
        .value_kind:     hidden_block_count_y
      - .offset:         88
        .size:           4
        .value_kind:     hidden_block_count_z
      - .offset:         92
        .size:           2
        .value_kind:     hidden_group_size_x
      - .offset:         94
        .size:           2
        .value_kind:     hidden_group_size_y
      - .offset:         96
        .size:           2
        .value_kind:     hidden_group_size_z
      - .offset:         98
        .size:           2
        .value_kind:     hidden_remainder_x
      - .offset:         100
        .size:           2
        .value_kind:     hidden_remainder_y
      - .offset:         102
        .size:           2
        .value_kind:     hidden_remainder_z
      - .offset:         120
        .size:           8
        .value_kind:     hidden_global_offset_x
      - .offset:         128
        .size:           8
        .value_kind:     hidden_global_offset_y
      - .offset:         136
        .size:           8
        .value_kind:     hidden_global_offset_z
      - .offset:         144
        .size:           2
        .value_kind:     hidden_grid_dims
    .group_segment_fixed_size: 17424
    .kernarg_segment_align: 8
    .kernarg_segment_size: 336
    .language:       OpenCL C
    .language_version:
      - 2
      - 0
    .max_flat_workgroup_size: 256
    .name:           _ZN7rocprim17ROCPRIM_400000_NS6detail17trampoline_kernelINS0_14default_configENS1_36segmented_radix_sort_config_selectorIilEEZNS1_25segmented_radix_sort_implIS3_Lb1EPKiPiPKlPlN2at6native12_GLOBAL__N_18offset_tEEE10hipError_tPvRmT1_PNSt15iterator_traitsISK_E10value_typeET2_T3_PNSL_ISQ_E10value_typeET4_jRbjT5_SW_jjP12ihipStream_tbEUlT_E2_NS1_11comp_targetILNS1_3genE2ELNS1_11target_archE906ELNS1_3gpuE6ELNS1_3repE0EEENS1_30default_config_static_selectorELNS0_4arch9wavefront6targetE1EEEvSK_
    .private_segment_fixed_size: 0
    .sgpr_count:     84
    .sgpr_spill_count: 0
    .symbol:         _ZN7rocprim17ROCPRIM_400000_NS6detail17trampoline_kernelINS0_14default_configENS1_36segmented_radix_sort_config_selectorIilEEZNS1_25segmented_radix_sort_implIS3_Lb1EPKiPiPKlPlN2at6native12_GLOBAL__N_18offset_tEEE10hipError_tPvRmT1_PNSt15iterator_traitsISK_E10value_typeET2_T3_PNSL_ISQ_E10value_typeET4_jRbjT5_SW_jjP12ihipStream_tbEUlT_E2_NS1_11comp_targetILNS1_3genE2ELNS1_11target_archE906ELNS1_3gpuE6ELNS1_3repE0EEENS1_30default_config_static_selectorELNS0_4arch9wavefront6targetE1EEEvSK_.kd
    .uniform_work_group_size: 1
    .uses_dynamic_stack: false
    .vgpr_count:     177
    .vgpr_spill_count: 0
    .wavefront_size: 64
  - .args:
      - .offset:         0
        .size:           80
        .value_kind:     by_value
    .group_segment_fixed_size: 0
    .kernarg_segment_align: 8
    .kernarg_segment_size: 80
    .language:       OpenCL C
    .language_version:
      - 2
      - 0
    .max_flat_workgroup_size: 256
    .name:           _ZN7rocprim17ROCPRIM_400000_NS6detail17trampoline_kernelINS0_14default_configENS1_36segmented_radix_sort_config_selectorIilEEZNS1_25segmented_radix_sort_implIS3_Lb1EPKiPiPKlPlN2at6native12_GLOBAL__N_18offset_tEEE10hipError_tPvRmT1_PNSt15iterator_traitsISK_E10value_typeET2_T3_PNSL_ISQ_E10value_typeET4_jRbjT5_SW_jjP12ihipStream_tbEUlT_E2_NS1_11comp_targetILNS1_3genE10ELNS1_11target_archE1201ELNS1_3gpuE5ELNS1_3repE0EEENS1_30default_config_static_selectorELNS0_4arch9wavefront6targetE1EEEvSK_
    .private_segment_fixed_size: 0
    .sgpr_count:     4
    .sgpr_spill_count: 0
    .symbol:         _ZN7rocprim17ROCPRIM_400000_NS6detail17trampoline_kernelINS0_14default_configENS1_36segmented_radix_sort_config_selectorIilEEZNS1_25segmented_radix_sort_implIS3_Lb1EPKiPiPKlPlN2at6native12_GLOBAL__N_18offset_tEEE10hipError_tPvRmT1_PNSt15iterator_traitsISK_E10value_typeET2_T3_PNSL_ISQ_E10value_typeET4_jRbjT5_SW_jjP12ihipStream_tbEUlT_E2_NS1_11comp_targetILNS1_3genE10ELNS1_11target_archE1201ELNS1_3gpuE5ELNS1_3repE0EEENS1_30default_config_static_selectorELNS0_4arch9wavefront6targetE1EEEvSK_.kd
    .uniform_work_group_size: 1
    .uses_dynamic_stack: false
    .vgpr_count:     0
    .vgpr_spill_count: 0
    .wavefront_size: 64
  - .args:
      - .offset:         0
        .size:           80
        .value_kind:     by_value
    .group_segment_fixed_size: 0
    .kernarg_segment_align: 8
    .kernarg_segment_size: 80
    .language:       OpenCL C
    .language_version:
      - 2
      - 0
    .max_flat_workgroup_size: 128
    .name:           _ZN7rocprim17ROCPRIM_400000_NS6detail17trampoline_kernelINS0_14default_configENS1_36segmented_radix_sort_config_selectorIilEEZNS1_25segmented_radix_sort_implIS3_Lb1EPKiPiPKlPlN2at6native12_GLOBAL__N_18offset_tEEE10hipError_tPvRmT1_PNSt15iterator_traitsISK_E10value_typeET2_T3_PNSL_ISQ_E10value_typeET4_jRbjT5_SW_jjP12ihipStream_tbEUlT_E2_NS1_11comp_targetILNS1_3genE10ELNS1_11target_archE1200ELNS1_3gpuE4ELNS1_3repE0EEENS1_30default_config_static_selectorELNS0_4arch9wavefront6targetE1EEEvSK_
    .private_segment_fixed_size: 0
    .sgpr_count:     4
    .sgpr_spill_count: 0
    .symbol:         _ZN7rocprim17ROCPRIM_400000_NS6detail17trampoline_kernelINS0_14default_configENS1_36segmented_radix_sort_config_selectorIilEEZNS1_25segmented_radix_sort_implIS3_Lb1EPKiPiPKlPlN2at6native12_GLOBAL__N_18offset_tEEE10hipError_tPvRmT1_PNSt15iterator_traitsISK_E10value_typeET2_T3_PNSL_ISQ_E10value_typeET4_jRbjT5_SW_jjP12ihipStream_tbEUlT_E2_NS1_11comp_targetILNS1_3genE10ELNS1_11target_archE1200ELNS1_3gpuE4ELNS1_3repE0EEENS1_30default_config_static_selectorELNS0_4arch9wavefront6targetE1EEEvSK_.kd
    .uniform_work_group_size: 1
    .uses_dynamic_stack: false
    .vgpr_count:     0
    .vgpr_spill_count: 0
    .wavefront_size: 64
  - .args:
      - .offset:         0
        .size:           80
        .value_kind:     by_value
    .group_segment_fixed_size: 0
    .kernarg_segment_align: 8
    .kernarg_segment_size: 80
    .language:       OpenCL C
    .language_version:
      - 2
      - 0
    .max_flat_workgroup_size: 256
    .name:           _ZN7rocprim17ROCPRIM_400000_NS6detail17trampoline_kernelINS0_14default_configENS1_36segmented_radix_sort_config_selectorIilEEZNS1_25segmented_radix_sort_implIS3_Lb1EPKiPiPKlPlN2at6native12_GLOBAL__N_18offset_tEEE10hipError_tPvRmT1_PNSt15iterator_traitsISK_E10value_typeET2_T3_PNSL_ISQ_E10value_typeET4_jRbjT5_SW_jjP12ihipStream_tbEUlT_E2_NS1_11comp_targetILNS1_3genE9ELNS1_11target_archE1100ELNS1_3gpuE3ELNS1_3repE0EEENS1_30default_config_static_selectorELNS0_4arch9wavefront6targetE1EEEvSK_
    .private_segment_fixed_size: 0
    .sgpr_count:     4
    .sgpr_spill_count: 0
    .symbol:         _ZN7rocprim17ROCPRIM_400000_NS6detail17trampoline_kernelINS0_14default_configENS1_36segmented_radix_sort_config_selectorIilEEZNS1_25segmented_radix_sort_implIS3_Lb1EPKiPiPKlPlN2at6native12_GLOBAL__N_18offset_tEEE10hipError_tPvRmT1_PNSt15iterator_traitsISK_E10value_typeET2_T3_PNSL_ISQ_E10value_typeET4_jRbjT5_SW_jjP12ihipStream_tbEUlT_E2_NS1_11comp_targetILNS1_3genE9ELNS1_11target_archE1100ELNS1_3gpuE3ELNS1_3repE0EEENS1_30default_config_static_selectorELNS0_4arch9wavefront6targetE1EEEvSK_.kd
    .uniform_work_group_size: 1
    .uses_dynamic_stack: false
    .vgpr_count:     0
    .vgpr_spill_count: 0
    .wavefront_size: 64
  - .args:
      - .offset:         0
        .size:           80
        .value_kind:     by_value
    .group_segment_fixed_size: 0
    .kernarg_segment_align: 8
    .kernarg_segment_size: 80
    .language:       OpenCL C
    .language_version:
      - 2
      - 0
    .max_flat_workgroup_size: 256
    .name:           _ZN7rocprim17ROCPRIM_400000_NS6detail17trampoline_kernelINS0_14default_configENS1_36segmented_radix_sort_config_selectorIilEEZNS1_25segmented_radix_sort_implIS3_Lb1EPKiPiPKlPlN2at6native12_GLOBAL__N_18offset_tEEE10hipError_tPvRmT1_PNSt15iterator_traitsISK_E10value_typeET2_T3_PNSL_ISQ_E10value_typeET4_jRbjT5_SW_jjP12ihipStream_tbEUlT_E2_NS1_11comp_targetILNS1_3genE8ELNS1_11target_archE1030ELNS1_3gpuE2ELNS1_3repE0EEENS1_30default_config_static_selectorELNS0_4arch9wavefront6targetE1EEEvSK_
    .private_segment_fixed_size: 0
    .sgpr_count:     4
    .sgpr_spill_count: 0
    .symbol:         _ZN7rocprim17ROCPRIM_400000_NS6detail17trampoline_kernelINS0_14default_configENS1_36segmented_radix_sort_config_selectorIilEEZNS1_25segmented_radix_sort_implIS3_Lb1EPKiPiPKlPlN2at6native12_GLOBAL__N_18offset_tEEE10hipError_tPvRmT1_PNSt15iterator_traitsISK_E10value_typeET2_T3_PNSL_ISQ_E10value_typeET4_jRbjT5_SW_jjP12ihipStream_tbEUlT_E2_NS1_11comp_targetILNS1_3genE8ELNS1_11target_archE1030ELNS1_3gpuE2ELNS1_3repE0EEENS1_30default_config_static_selectorELNS0_4arch9wavefront6targetE1EEEvSK_.kd
    .uniform_work_group_size: 1
    .uses_dynamic_stack: false
    .vgpr_count:     0
    .vgpr_spill_count: 0
    .wavefront_size: 64
  - .args:
      - .offset:         0
        .size:           176
        .value_kind:     by_value
    .group_segment_fixed_size: 0
    .kernarg_segment_align: 8
    .kernarg_segment_size: 176
    .language:       OpenCL C
    .language_version:
      - 2
      - 0
    .max_flat_workgroup_size: 256
    .name:           _ZN7rocprim17ROCPRIM_400000_NS6detail17trampoline_kernelINS0_13select_configILj256ELj13ELNS0_17block_load_methodE3ELS4_3ELS4_3ELNS0_20block_scan_algorithmE0ELj4294967295EEENS1_25partition_config_selectorILNS1_17partition_subalgoE4EjNS0_10empty_typeEbEEZZNS1_14partition_implILS8_4ELb0ES6_15HIP_vector_typeIjLj2EENS0_17counting_iteratorIjlEEPS9_SG_NS0_5tupleIJPjSI_NS0_16reverse_iteratorISI_EEEEENSH_IJSG_SG_SG_EEES9_SI_JZNS1_25segmented_radix_sort_implINS0_14default_configELb0EPKiPiPKlPlN2at6native12_GLOBAL__N_18offset_tEEE10hipError_tPvRmT1_PNSt15iterator_traitsIS12_E10value_typeET2_T3_PNS13_IS18_E10value_typeET4_jRbjT5_S1E_jjP12ihipStream_tbEUljE_ZNSN_ISO_Lb0ESQ_SR_ST_SU_SY_EESZ_S10_S11_S12_S16_S17_S18_S1B_S1C_jS1D_jS1E_S1E_jjS1G_bEUljE0_EEESZ_S10_S11_S18_S1C_S1E_T6_T7_T9_mT8_S1G_bDpT10_ENKUlT_T0_E_clISt17integral_constantIbLb0EES1U_EEDaS1P_S1Q_EUlS1P_E_NS1_11comp_targetILNS1_3genE0ELNS1_11target_archE4294967295ELNS1_3gpuE0ELNS1_3repE0EEENS1_30default_config_static_selectorELNS0_4arch9wavefront6targetE1EEEvS12_
    .private_segment_fixed_size: 0
    .sgpr_count:     4
    .sgpr_spill_count: 0
    .symbol:         _ZN7rocprim17ROCPRIM_400000_NS6detail17trampoline_kernelINS0_13select_configILj256ELj13ELNS0_17block_load_methodE3ELS4_3ELS4_3ELNS0_20block_scan_algorithmE0ELj4294967295EEENS1_25partition_config_selectorILNS1_17partition_subalgoE4EjNS0_10empty_typeEbEEZZNS1_14partition_implILS8_4ELb0ES6_15HIP_vector_typeIjLj2EENS0_17counting_iteratorIjlEEPS9_SG_NS0_5tupleIJPjSI_NS0_16reverse_iteratorISI_EEEEENSH_IJSG_SG_SG_EEES9_SI_JZNS1_25segmented_radix_sort_implINS0_14default_configELb0EPKiPiPKlPlN2at6native12_GLOBAL__N_18offset_tEEE10hipError_tPvRmT1_PNSt15iterator_traitsIS12_E10value_typeET2_T3_PNS13_IS18_E10value_typeET4_jRbjT5_S1E_jjP12ihipStream_tbEUljE_ZNSN_ISO_Lb0ESQ_SR_ST_SU_SY_EESZ_S10_S11_S12_S16_S17_S18_S1B_S1C_jS1D_jS1E_S1E_jjS1G_bEUljE0_EEESZ_S10_S11_S18_S1C_S1E_T6_T7_T9_mT8_S1G_bDpT10_ENKUlT_T0_E_clISt17integral_constantIbLb0EES1U_EEDaS1P_S1Q_EUlS1P_E_NS1_11comp_targetILNS1_3genE0ELNS1_11target_archE4294967295ELNS1_3gpuE0ELNS1_3repE0EEENS1_30default_config_static_selectorELNS0_4arch9wavefront6targetE1EEEvS12_.kd
    .uniform_work_group_size: 1
    .uses_dynamic_stack: false
    .vgpr_count:     0
    .vgpr_spill_count: 0
    .wavefront_size: 64
  - .args:
      - .offset:         0
        .size:           176
        .value_kind:     by_value
    .group_segment_fixed_size: 0
    .kernarg_segment_align: 8
    .kernarg_segment_size: 176
    .language:       OpenCL C
    .language_version:
      - 2
      - 0
    .max_flat_workgroup_size: 256
    .name:           _ZN7rocprim17ROCPRIM_400000_NS6detail17trampoline_kernelINS0_13select_configILj256ELj13ELNS0_17block_load_methodE3ELS4_3ELS4_3ELNS0_20block_scan_algorithmE0ELj4294967295EEENS1_25partition_config_selectorILNS1_17partition_subalgoE4EjNS0_10empty_typeEbEEZZNS1_14partition_implILS8_4ELb0ES6_15HIP_vector_typeIjLj2EENS0_17counting_iteratorIjlEEPS9_SG_NS0_5tupleIJPjSI_NS0_16reverse_iteratorISI_EEEEENSH_IJSG_SG_SG_EEES9_SI_JZNS1_25segmented_radix_sort_implINS0_14default_configELb0EPKiPiPKlPlN2at6native12_GLOBAL__N_18offset_tEEE10hipError_tPvRmT1_PNSt15iterator_traitsIS12_E10value_typeET2_T3_PNS13_IS18_E10value_typeET4_jRbjT5_S1E_jjP12ihipStream_tbEUljE_ZNSN_ISO_Lb0ESQ_SR_ST_SU_SY_EESZ_S10_S11_S12_S16_S17_S18_S1B_S1C_jS1D_jS1E_S1E_jjS1G_bEUljE0_EEESZ_S10_S11_S18_S1C_S1E_T6_T7_T9_mT8_S1G_bDpT10_ENKUlT_T0_E_clISt17integral_constantIbLb0EES1U_EEDaS1P_S1Q_EUlS1P_E_NS1_11comp_targetILNS1_3genE5ELNS1_11target_archE942ELNS1_3gpuE9ELNS1_3repE0EEENS1_30default_config_static_selectorELNS0_4arch9wavefront6targetE1EEEvS12_
    .private_segment_fixed_size: 0
    .sgpr_count:     4
    .sgpr_spill_count: 0
    .symbol:         _ZN7rocprim17ROCPRIM_400000_NS6detail17trampoline_kernelINS0_13select_configILj256ELj13ELNS0_17block_load_methodE3ELS4_3ELS4_3ELNS0_20block_scan_algorithmE0ELj4294967295EEENS1_25partition_config_selectorILNS1_17partition_subalgoE4EjNS0_10empty_typeEbEEZZNS1_14partition_implILS8_4ELb0ES6_15HIP_vector_typeIjLj2EENS0_17counting_iteratorIjlEEPS9_SG_NS0_5tupleIJPjSI_NS0_16reverse_iteratorISI_EEEEENSH_IJSG_SG_SG_EEES9_SI_JZNS1_25segmented_radix_sort_implINS0_14default_configELb0EPKiPiPKlPlN2at6native12_GLOBAL__N_18offset_tEEE10hipError_tPvRmT1_PNSt15iterator_traitsIS12_E10value_typeET2_T3_PNS13_IS18_E10value_typeET4_jRbjT5_S1E_jjP12ihipStream_tbEUljE_ZNSN_ISO_Lb0ESQ_SR_ST_SU_SY_EESZ_S10_S11_S12_S16_S17_S18_S1B_S1C_jS1D_jS1E_S1E_jjS1G_bEUljE0_EEESZ_S10_S11_S18_S1C_S1E_T6_T7_T9_mT8_S1G_bDpT10_ENKUlT_T0_E_clISt17integral_constantIbLb0EES1U_EEDaS1P_S1Q_EUlS1P_E_NS1_11comp_targetILNS1_3genE5ELNS1_11target_archE942ELNS1_3gpuE9ELNS1_3repE0EEENS1_30default_config_static_selectorELNS0_4arch9wavefront6targetE1EEEvS12_.kd
    .uniform_work_group_size: 1
    .uses_dynamic_stack: false
    .vgpr_count:     0
    .vgpr_spill_count: 0
    .wavefront_size: 64
  - .args:
      - .offset:         0
        .size:           176
        .value_kind:     by_value
    .group_segment_fixed_size: 0
    .kernarg_segment_align: 8
    .kernarg_segment_size: 176
    .language:       OpenCL C
    .language_version:
      - 2
      - 0
    .max_flat_workgroup_size: 256
    .name:           _ZN7rocprim17ROCPRIM_400000_NS6detail17trampoline_kernelINS0_13select_configILj256ELj13ELNS0_17block_load_methodE3ELS4_3ELS4_3ELNS0_20block_scan_algorithmE0ELj4294967295EEENS1_25partition_config_selectorILNS1_17partition_subalgoE4EjNS0_10empty_typeEbEEZZNS1_14partition_implILS8_4ELb0ES6_15HIP_vector_typeIjLj2EENS0_17counting_iteratorIjlEEPS9_SG_NS0_5tupleIJPjSI_NS0_16reverse_iteratorISI_EEEEENSH_IJSG_SG_SG_EEES9_SI_JZNS1_25segmented_radix_sort_implINS0_14default_configELb0EPKiPiPKlPlN2at6native12_GLOBAL__N_18offset_tEEE10hipError_tPvRmT1_PNSt15iterator_traitsIS12_E10value_typeET2_T3_PNS13_IS18_E10value_typeET4_jRbjT5_S1E_jjP12ihipStream_tbEUljE_ZNSN_ISO_Lb0ESQ_SR_ST_SU_SY_EESZ_S10_S11_S12_S16_S17_S18_S1B_S1C_jS1D_jS1E_S1E_jjS1G_bEUljE0_EEESZ_S10_S11_S18_S1C_S1E_T6_T7_T9_mT8_S1G_bDpT10_ENKUlT_T0_E_clISt17integral_constantIbLb0EES1U_EEDaS1P_S1Q_EUlS1P_E_NS1_11comp_targetILNS1_3genE4ELNS1_11target_archE910ELNS1_3gpuE8ELNS1_3repE0EEENS1_30default_config_static_selectorELNS0_4arch9wavefront6targetE1EEEvS12_
    .private_segment_fixed_size: 0
    .sgpr_count:     4
    .sgpr_spill_count: 0
    .symbol:         _ZN7rocprim17ROCPRIM_400000_NS6detail17trampoline_kernelINS0_13select_configILj256ELj13ELNS0_17block_load_methodE3ELS4_3ELS4_3ELNS0_20block_scan_algorithmE0ELj4294967295EEENS1_25partition_config_selectorILNS1_17partition_subalgoE4EjNS0_10empty_typeEbEEZZNS1_14partition_implILS8_4ELb0ES6_15HIP_vector_typeIjLj2EENS0_17counting_iteratorIjlEEPS9_SG_NS0_5tupleIJPjSI_NS0_16reverse_iteratorISI_EEEEENSH_IJSG_SG_SG_EEES9_SI_JZNS1_25segmented_radix_sort_implINS0_14default_configELb0EPKiPiPKlPlN2at6native12_GLOBAL__N_18offset_tEEE10hipError_tPvRmT1_PNSt15iterator_traitsIS12_E10value_typeET2_T3_PNS13_IS18_E10value_typeET4_jRbjT5_S1E_jjP12ihipStream_tbEUljE_ZNSN_ISO_Lb0ESQ_SR_ST_SU_SY_EESZ_S10_S11_S12_S16_S17_S18_S1B_S1C_jS1D_jS1E_S1E_jjS1G_bEUljE0_EEESZ_S10_S11_S18_S1C_S1E_T6_T7_T9_mT8_S1G_bDpT10_ENKUlT_T0_E_clISt17integral_constantIbLb0EES1U_EEDaS1P_S1Q_EUlS1P_E_NS1_11comp_targetILNS1_3genE4ELNS1_11target_archE910ELNS1_3gpuE8ELNS1_3repE0EEENS1_30default_config_static_selectorELNS0_4arch9wavefront6targetE1EEEvS12_.kd
    .uniform_work_group_size: 1
    .uses_dynamic_stack: false
    .vgpr_count:     0
    .vgpr_spill_count: 0
    .wavefront_size: 64
  - .args:
      - .offset:         0
        .size:           176
        .value_kind:     by_value
    .group_segment_fixed_size: 0
    .kernarg_segment_align: 8
    .kernarg_segment_size: 176
    .language:       OpenCL C
    .language_version:
      - 2
      - 0
    .max_flat_workgroup_size: 256
    .name:           _ZN7rocprim17ROCPRIM_400000_NS6detail17trampoline_kernelINS0_13select_configILj256ELj13ELNS0_17block_load_methodE3ELS4_3ELS4_3ELNS0_20block_scan_algorithmE0ELj4294967295EEENS1_25partition_config_selectorILNS1_17partition_subalgoE4EjNS0_10empty_typeEbEEZZNS1_14partition_implILS8_4ELb0ES6_15HIP_vector_typeIjLj2EENS0_17counting_iteratorIjlEEPS9_SG_NS0_5tupleIJPjSI_NS0_16reverse_iteratorISI_EEEEENSH_IJSG_SG_SG_EEES9_SI_JZNS1_25segmented_radix_sort_implINS0_14default_configELb0EPKiPiPKlPlN2at6native12_GLOBAL__N_18offset_tEEE10hipError_tPvRmT1_PNSt15iterator_traitsIS12_E10value_typeET2_T3_PNS13_IS18_E10value_typeET4_jRbjT5_S1E_jjP12ihipStream_tbEUljE_ZNSN_ISO_Lb0ESQ_SR_ST_SU_SY_EESZ_S10_S11_S12_S16_S17_S18_S1B_S1C_jS1D_jS1E_S1E_jjS1G_bEUljE0_EEESZ_S10_S11_S18_S1C_S1E_T6_T7_T9_mT8_S1G_bDpT10_ENKUlT_T0_E_clISt17integral_constantIbLb0EES1U_EEDaS1P_S1Q_EUlS1P_E_NS1_11comp_targetILNS1_3genE3ELNS1_11target_archE908ELNS1_3gpuE7ELNS1_3repE0EEENS1_30default_config_static_selectorELNS0_4arch9wavefront6targetE1EEEvS12_
    .private_segment_fixed_size: 0
    .sgpr_count:     4
    .sgpr_spill_count: 0
    .symbol:         _ZN7rocprim17ROCPRIM_400000_NS6detail17trampoline_kernelINS0_13select_configILj256ELj13ELNS0_17block_load_methodE3ELS4_3ELS4_3ELNS0_20block_scan_algorithmE0ELj4294967295EEENS1_25partition_config_selectorILNS1_17partition_subalgoE4EjNS0_10empty_typeEbEEZZNS1_14partition_implILS8_4ELb0ES6_15HIP_vector_typeIjLj2EENS0_17counting_iteratorIjlEEPS9_SG_NS0_5tupleIJPjSI_NS0_16reverse_iteratorISI_EEEEENSH_IJSG_SG_SG_EEES9_SI_JZNS1_25segmented_radix_sort_implINS0_14default_configELb0EPKiPiPKlPlN2at6native12_GLOBAL__N_18offset_tEEE10hipError_tPvRmT1_PNSt15iterator_traitsIS12_E10value_typeET2_T3_PNS13_IS18_E10value_typeET4_jRbjT5_S1E_jjP12ihipStream_tbEUljE_ZNSN_ISO_Lb0ESQ_SR_ST_SU_SY_EESZ_S10_S11_S12_S16_S17_S18_S1B_S1C_jS1D_jS1E_S1E_jjS1G_bEUljE0_EEESZ_S10_S11_S18_S1C_S1E_T6_T7_T9_mT8_S1G_bDpT10_ENKUlT_T0_E_clISt17integral_constantIbLb0EES1U_EEDaS1P_S1Q_EUlS1P_E_NS1_11comp_targetILNS1_3genE3ELNS1_11target_archE908ELNS1_3gpuE7ELNS1_3repE0EEENS1_30default_config_static_selectorELNS0_4arch9wavefront6targetE1EEEvS12_.kd
    .uniform_work_group_size: 1
    .uses_dynamic_stack: false
    .vgpr_count:     0
    .vgpr_spill_count: 0
    .wavefront_size: 64
  - .args:
      - .offset:         0
        .size:           176
        .value_kind:     by_value
    .group_segment_fixed_size: 13328
    .kernarg_segment_align: 8
    .kernarg_segment_size: 176
    .language:       OpenCL C
    .language_version:
      - 2
      - 0
    .max_flat_workgroup_size: 256
    .name:           _ZN7rocprim17ROCPRIM_400000_NS6detail17trampoline_kernelINS0_13select_configILj256ELj13ELNS0_17block_load_methodE3ELS4_3ELS4_3ELNS0_20block_scan_algorithmE0ELj4294967295EEENS1_25partition_config_selectorILNS1_17partition_subalgoE4EjNS0_10empty_typeEbEEZZNS1_14partition_implILS8_4ELb0ES6_15HIP_vector_typeIjLj2EENS0_17counting_iteratorIjlEEPS9_SG_NS0_5tupleIJPjSI_NS0_16reverse_iteratorISI_EEEEENSH_IJSG_SG_SG_EEES9_SI_JZNS1_25segmented_radix_sort_implINS0_14default_configELb0EPKiPiPKlPlN2at6native12_GLOBAL__N_18offset_tEEE10hipError_tPvRmT1_PNSt15iterator_traitsIS12_E10value_typeET2_T3_PNS13_IS18_E10value_typeET4_jRbjT5_S1E_jjP12ihipStream_tbEUljE_ZNSN_ISO_Lb0ESQ_SR_ST_SU_SY_EESZ_S10_S11_S12_S16_S17_S18_S1B_S1C_jS1D_jS1E_S1E_jjS1G_bEUljE0_EEESZ_S10_S11_S18_S1C_S1E_T6_T7_T9_mT8_S1G_bDpT10_ENKUlT_T0_E_clISt17integral_constantIbLb0EES1U_EEDaS1P_S1Q_EUlS1P_E_NS1_11comp_targetILNS1_3genE2ELNS1_11target_archE906ELNS1_3gpuE6ELNS1_3repE0EEENS1_30default_config_static_selectorELNS0_4arch9wavefront6targetE1EEEvS12_
    .private_segment_fixed_size: 0
    .sgpr_count:     94
    .sgpr_spill_count: 0
    .symbol:         _ZN7rocprim17ROCPRIM_400000_NS6detail17trampoline_kernelINS0_13select_configILj256ELj13ELNS0_17block_load_methodE3ELS4_3ELS4_3ELNS0_20block_scan_algorithmE0ELj4294967295EEENS1_25partition_config_selectorILNS1_17partition_subalgoE4EjNS0_10empty_typeEbEEZZNS1_14partition_implILS8_4ELb0ES6_15HIP_vector_typeIjLj2EENS0_17counting_iteratorIjlEEPS9_SG_NS0_5tupleIJPjSI_NS0_16reverse_iteratorISI_EEEEENSH_IJSG_SG_SG_EEES9_SI_JZNS1_25segmented_radix_sort_implINS0_14default_configELb0EPKiPiPKlPlN2at6native12_GLOBAL__N_18offset_tEEE10hipError_tPvRmT1_PNSt15iterator_traitsIS12_E10value_typeET2_T3_PNS13_IS18_E10value_typeET4_jRbjT5_S1E_jjP12ihipStream_tbEUljE_ZNSN_ISO_Lb0ESQ_SR_ST_SU_SY_EESZ_S10_S11_S12_S16_S17_S18_S1B_S1C_jS1D_jS1E_S1E_jjS1G_bEUljE0_EEESZ_S10_S11_S18_S1C_S1E_T6_T7_T9_mT8_S1G_bDpT10_ENKUlT_T0_E_clISt17integral_constantIbLb0EES1U_EEDaS1P_S1Q_EUlS1P_E_NS1_11comp_targetILNS1_3genE2ELNS1_11target_archE906ELNS1_3gpuE6ELNS1_3repE0EEENS1_30default_config_static_selectorELNS0_4arch9wavefront6targetE1EEEvS12_.kd
    .uniform_work_group_size: 1
    .uses_dynamic_stack: false
    .vgpr_count:     86
    .vgpr_spill_count: 0
    .wavefront_size: 64
  - .args:
      - .offset:         0
        .size:           176
        .value_kind:     by_value
    .group_segment_fixed_size: 0
    .kernarg_segment_align: 8
    .kernarg_segment_size: 176
    .language:       OpenCL C
    .language_version:
      - 2
      - 0
    .max_flat_workgroup_size: 256
    .name:           _ZN7rocprim17ROCPRIM_400000_NS6detail17trampoline_kernelINS0_13select_configILj256ELj13ELNS0_17block_load_methodE3ELS4_3ELS4_3ELNS0_20block_scan_algorithmE0ELj4294967295EEENS1_25partition_config_selectorILNS1_17partition_subalgoE4EjNS0_10empty_typeEbEEZZNS1_14partition_implILS8_4ELb0ES6_15HIP_vector_typeIjLj2EENS0_17counting_iteratorIjlEEPS9_SG_NS0_5tupleIJPjSI_NS0_16reverse_iteratorISI_EEEEENSH_IJSG_SG_SG_EEES9_SI_JZNS1_25segmented_radix_sort_implINS0_14default_configELb0EPKiPiPKlPlN2at6native12_GLOBAL__N_18offset_tEEE10hipError_tPvRmT1_PNSt15iterator_traitsIS12_E10value_typeET2_T3_PNS13_IS18_E10value_typeET4_jRbjT5_S1E_jjP12ihipStream_tbEUljE_ZNSN_ISO_Lb0ESQ_SR_ST_SU_SY_EESZ_S10_S11_S12_S16_S17_S18_S1B_S1C_jS1D_jS1E_S1E_jjS1G_bEUljE0_EEESZ_S10_S11_S18_S1C_S1E_T6_T7_T9_mT8_S1G_bDpT10_ENKUlT_T0_E_clISt17integral_constantIbLb0EES1U_EEDaS1P_S1Q_EUlS1P_E_NS1_11comp_targetILNS1_3genE10ELNS1_11target_archE1200ELNS1_3gpuE4ELNS1_3repE0EEENS1_30default_config_static_selectorELNS0_4arch9wavefront6targetE1EEEvS12_
    .private_segment_fixed_size: 0
    .sgpr_count:     4
    .sgpr_spill_count: 0
    .symbol:         _ZN7rocprim17ROCPRIM_400000_NS6detail17trampoline_kernelINS0_13select_configILj256ELj13ELNS0_17block_load_methodE3ELS4_3ELS4_3ELNS0_20block_scan_algorithmE0ELj4294967295EEENS1_25partition_config_selectorILNS1_17partition_subalgoE4EjNS0_10empty_typeEbEEZZNS1_14partition_implILS8_4ELb0ES6_15HIP_vector_typeIjLj2EENS0_17counting_iteratorIjlEEPS9_SG_NS0_5tupleIJPjSI_NS0_16reverse_iteratorISI_EEEEENSH_IJSG_SG_SG_EEES9_SI_JZNS1_25segmented_radix_sort_implINS0_14default_configELb0EPKiPiPKlPlN2at6native12_GLOBAL__N_18offset_tEEE10hipError_tPvRmT1_PNSt15iterator_traitsIS12_E10value_typeET2_T3_PNS13_IS18_E10value_typeET4_jRbjT5_S1E_jjP12ihipStream_tbEUljE_ZNSN_ISO_Lb0ESQ_SR_ST_SU_SY_EESZ_S10_S11_S12_S16_S17_S18_S1B_S1C_jS1D_jS1E_S1E_jjS1G_bEUljE0_EEESZ_S10_S11_S18_S1C_S1E_T6_T7_T9_mT8_S1G_bDpT10_ENKUlT_T0_E_clISt17integral_constantIbLb0EES1U_EEDaS1P_S1Q_EUlS1P_E_NS1_11comp_targetILNS1_3genE10ELNS1_11target_archE1200ELNS1_3gpuE4ELNS1_3repE0EEENS1_30default_config_static_selectorELNS0_4arch9wavefront6targetE1EEEvS12_.kd
    .uniform_work_group_size: 1
    .uses_dynamic_stack: false
    .vgpr_count:     0
    .vgpr_spill_count: 0
    .wavefront_size: 64
  - .args:
      - .offset:         0
        .size:           176
        .value_kind:     by_value
    .group_segment_fixed_size: 0
    .kernarg_segment_align: 8
    .kernarg_segment_size: 176
    .language:       OpenCL C
    .language_version:
      - 2
      - 0
    .max_flat_workgroup_size: 256
    .name:           _ZN7rocprim17ROCPRIM_400000_NS6detail17trampoline_kernelINS0_13select_configILj256ELj13ELNS0_17block_load_methodE3ELS4_3ELS4_3ELNS0_20block_scan_algorithmE0ELj4294967295EEENS1_25partition_config_selectorILNS1_17partition_subalgoE4EjNS0_10empty_typeEbEEZZNS1_14partition_implILS8_4ELb0ES6_15HIP_vector_typeIjLj2EENS0_17counting_iteratorIjlEEPS9_SG_NS0_5tupleIJPjSI_NS0_16reverse_iteratorISI_EEEEENSH_IJSG_SG_SG_EEES9_SI_JZNS1_25segmented_radix_sort_implINS0_14default_configELb0EPKiPiPKlPlN2at6native12_GLOBAL__N_18offset_tEEE10hipError_tPvRmT1_PNSt15iterator_traitsIS12_E10value_typeET2_T3_PNS13_IS18_E10value_typeET4_jRbjT5_S1E_jjP12ihipStream_tbEUljE_ZNSN_ISO_Lb0ESQ_SR_ST_SU_SY_EESZ_S10_S11_S12_S16_S17_S18_S1B_S1C_jS1D_jS1E_S1E_jjS1G_bEUljE0_EEESZ_S10_S11_S18_S1C_S1E_T6_T7_T9_mT8_S1G_bDpT10_ENKUlT_T0_E_clISt17integral_constantIbLb0EES1U_EEDaS1P_S1Q_EUlS1P_E_NS1_11comp_targetILNS1_3genE9ELNS1_11target_archE1100ELNS1_3gpuE3ELNS1_3repE0EEENS1_30default_config_static_selectorELNS0_4arch9wavefront6targetE1EEEvS12_
    .private_segment_fixed_size: 0
    .sgpr_count:     4
    .sgpr_spill_count: 0
    .symbol:         _ZN7rocprim17ROCPRIM_400000_NS6detail17trampoline_kernelINS0_13select_configILj256ELj13ELNS0_17block_load_methodE3ELS4_3ELS4_3ELNS0_20block_scan_algorithmE0ELj4294967295EEENS1_25partition_config_selectorILNS1_17partition_subalgoE4EjNS0_10empty_typeEbEEZZNS1_14partition_implILS8_4ELb0ES6_15HIP_vector_typeIjLj2EENS0_17counting_iteratorIjlEEPS9_SG_NS0_5tupleIJPjSI_NS0_16reverse_iteratorISI_EEEEENSH_IJSG_SG_SG_EEES9_SI_JZNS1_25segmented_radix_sort_implINS0_14default_configELb0EPKiPiPKlPlN2at6native12_GLOBAL__N_18offset_tEEE10hipError_tPvRmT1_PNSt15iterator_traitsIS12_E10value_typeET2_T3_PNS13_IS18_E10value_typeET4_jRbjT5_S1E_jjP12ihipStream_tbEUljE_ZNSN_ISO_Lb0ESQ_SR_ST_SU_SY_EESZ_S10_S11_S12_S16_S17_S18_S1B_S1C_jS1D_jS1E_S1E_jjS1G_bEUljE0_EEESZ_S10_S11_S18_S1C_S1E_T6_T7_T9_mT8_S1G_bDpT10_ENKUlT_T0_E_clISt17integral_constantIbLb0EES1U_EEDaS1P_S1Q_EUlS1P_E_NS1_11comp_targetILNS1_3genE9ELNS1_11target_archE1100ELNS1_3gpuE3ELNS1_3repE0EEENS1_30default_config_static_selectorELNS0_4arch9wavefront6targetE1EEEvS12_.kd
    .uniform_work_group_size: 1
    .uses_dynamic_stack: false
    .vgpr_count:     0
    .vgpr_spill_count: 0
    .wavefront_size: 64
  - .args:
      - .offset:         0
        .size:           176
        .value_kind:     by_value
    .group_segment_fixed_size: 0
    .kernarg_segment_align: 8
    .kernarg_segment_size: 176
    .language:       OpenCL C
    .language_version:
      - 2
      - 0
    .max_flat_workgroup_size: 256
    .name:           _ZN7rocprim17ROCPRIM_400000_NS6detail17trampoline_kernelINS0_13select_configILj256ELj13ELNS0_17block_load_methodE3ELS4_3ELS4_3ELNS0_20block_scan_algorithmE0ELj4294967295EEENS1_25partition_config_selectorILNS1_17partition_subalgoE4EjNS0_10empty_typeEbEEZZNS1_14partition_implILS8_4ELb0ES6_15HIP_vector_typeIjLj2EENS0_17counting_iteratorIjlEEPS9_SG_NS0_5tupleIJPjSI_NS0_16reverse_iteratorISI_EEEEENSH_IJSG_SG_SG_EEES9_SI_JZNS1_25segmented_radix_sort_implINS0_14default_configELb0EPKiPiPKlPlN2at6native12_GLOBAL__N_18offset_tEEE10hipError_tPvRmT1_PNSt15iterator_traitsIS12_E10value_typeET2_T3_PNS13_IS18_E10value_typeET4_jRbjT5_S1E_jjP12ihipStream_tbEUljE_ZNSN_ISO_Lb0ESQ_SR_ST_SU_SY_EESZ_S10_S11_S12_S16_S17_S18_S1B_S1C_jS1D_jS1E_S1E_jjS1G_bEUljE0_EEESZ_S10_S11_S18_S1C_S1E_T6_T7_T9_mT8_S1G_bDpT10_ENKUlT_T0_E_clISt17integral_constantIbLb0EES1U_EEDaS1P_S1Q_EUlS1P_E_NS1_11comp_targetILNS1_3genE8ELNS1_11target_archE1030ELNS1_3gpuE2ELNS1_3repE0EEENS1_30default_config_static_selectorELNS0_4arch9wavefront6targetE1EEEvS12_
    .private_segment_fixed_size: 0
    .sgpr_count:     4
    .sgpr_spill_count: 0
    .symbol:         _ZN7rocprim17ROCPRIM_400000_NS6detail17trampoline_kernelINS0_13select_configILj256ELj13ELNS0_17block_load_methodE3ELS4_3ELS4_3ELNS0_20block_scan_algorithmE0ELj4294967295EEENS1_25partition_config_selectorILNS1_17partition_subalgoE4EjNS0_10empty_typeEbEEZZNS1_14partition_implILS8_4ELb0ES6_15HIP_vector_typeIjLj2EENS0_17counting_iteratorIjlEEPS9_SG_NS0_5tupleIJPjSI_NS0_16reverse_iteratorISI_EEEEENSH_IJSG_SG_SG_EEES9_SI_JZNS1_25segmented_radix_sort_implINS0_14default_configELb0EPKiPiPKlPlN2at6native12_GLOBAL__N_18offset_tEEE10hipError_tPvRmT1_PNSt15iterator_traitsIS12_E10value_typeET2_T3_PNS13_IS18_E10value_typeET4_jRbjT5_S1E_jjP12ihipStream_tbEUljE_ZNSN_ISO_Lb0ESQ_SR_ST_SU_SY_EESZ_S10_S11_S12_S16_S17_S18_S1B_S1C_jS1D_jS1E_S1E_jjS1G_bEUljE0_EEESZ_S10_S11_S18_S1C_S1E_T6_T7_T9_mT8_S1G_bDpT10_ENKUlT_T0_E_clISt17integral_constantIbLb0EES1U_EEDaS1P_S1Q_EUlS1P_E_NS1_11comp_targetILNS1_3genE8ELNS1_11target_archE1030ELNS1_3gpuE2ELNS1_3repE0EEENS1_30default_config_static_selectorELNS0_4arch9wavefront6targetE1EEEvS12_.kd
    .uniform_work_group_size: 1
    .uses_dynamic_stack: false
    .vgpr_count:     0
    .vgpr_spill_count: 0
    .wavefront_size: 64
  - .args:
      - .offset:         0
        .size:           184
        .value_kind:     by_value
    .group_segment_fixed_size: 0
    .kernarg_segment_align: 8
    .kernarg_segment_size: 184
    .language:       OpenCL C
    .language_version:
      - 2
      - 0
    .max_flat_workgroup_size: 256
    .name:           _ZN7rocprim17ROCPRIM_400000_NS6detail17trampoline_kernelINS0_13select_configILj256ELj13ELNS0_17block_load_methodE3ELS4_3ELS4_3ELNS0_20block_scan_algorithmE0ELj4294967295EEENS1_25partition_config_selectorILNS1_17partition_subalgoE4EjNS0_10empty_typeEbEEZZNS1_14partition_implILS8_4ELb0ES6_15HIP_vector_typeIjLj2EENS0_17counting_iteratorIjlEEPS9_SG_NS0_5tupleIJPjSI_NS0_16reverse_iteratorISI_EEEEENSH_IJSG_SG_SG_EEES9_SI_JZNS1_25segmented_radix_sort_implINS0_14default_configELb0EPKiPiPKlPlN2at6native12_GLOBAL__N_18offset_tEEE10hipError_tPvRmT1_PNSt15iterator_traitsIS12_E10value_typeET2_T3_PNS13_IS18_E10value_typeET4_jRbjT5_S1E_jjP12ihipStream_tbEUljE_ZNSN_ISO_Lb0ESQ_SR_ST_SU_SY_EESZ_S10_S11_S12_S16_S17_S18_S1B_S1C_jS1D_jS1E_S1E_jjS1G_bEUljE0_EEESZ_S10_S11_S18_S1C_S1E_T6_T7_T9_mT8_S1G_bDpT10_ENKUlT_T0_E_clISt17integral_constantIbLb1EES1U_EEDaS1P_S1Q_EUlS1P_E_NS1_11comp_targetILNS1_3genE0ELNS1_11target_archE4294967295ELNS1_3gpuE0ELNS1_3repE0EEENS1_30default_config_static_selectorELNS0_4arch9wavefront6targetE1EEEvS12_
    .private_segment_fixed_size: 0
    .sgpr_count:     4
    .sgpr_spill_count: 0
    .symbol:         _ZN7rocprim17ROCPRIM_400000_NS6detail17trampoline_kernelINS0_13select_configILj256ELj13ELNS0_17block_load_methodE3ELS4_3ELS4_3ELNS0_20block_scan_algorithmE0ELj4294967295EEENS1_25partition_config_selectorILNS1_17partition_subalgoE4EjNS0_10empty_typeEbEEZZNS1_14partition_implILS8_4ELb0ES6_15HIP_vector_typeIjLj2EENS0_17counting_iteratorIjlEEPS9_SG_NS0_5tupleIJPjSI_NS0_16reverse_iteratorISI_EEEEENSH_IJSG_SG_SG_EEES9_SI_JZNS1_25segmented_radix_sort_implINS0_14default_configELb0EPKiPiPKlPlN2at6native12_GLOBAL__N_18offset_tEEE10hipError_tPvRmT1_PNSt15iterator_traitsIS12_E10value_typeET2_T3_PNS13_IS18_E10value_typeET4_jRbjT5_S1E_jjP12ihipStream_tbEUljE_ZNSN_ISO_Lb0ESQ_SR_ST_SU_SY_EESZ_S10_S11_S12_S16_S17_S18_S1B_S1C_jS1D_jS1E_S1E_jjS1G_bEUljE0_EEESZ_S10_S11_S18_S1C_S1E_T6_T7_T9_mT8_S1G_bDpT10_ENKUlT_T0_E_clISt17integral_constantIbLb1EES1U_EEDaS1P_S1Q_EUlS1P_E_NS1_11comp_targetILNS1_3genE0ELNS1_11target_archE4294967295ELNS1_3gpuE0ELNS1_3repE0EEENS1_30default_config_static_selectorELNS0_4arch9wavefront6targetE1EEEvS12_.kd
    .uniform_work_group_size: 1
    .uses_dynamic_stack: false
    .vgpr_count:     0
    .vgpr_spill_count: 0
    .wavefront_size: 64
  - .args:
      - .offset:         0
        .size:           184
        .value_kind:     by_value
    .group_segment_fixed_size: 0
    .kernarg_segment_align: 8
    .kernarg_segment_size: 184
    .language:       OpenCL C
    .language_version:
      - 2
      - 0
    .max_flat_workgroup_size: 256
    .name:           _ZN7rocprim17ROCPRIM_400000_NS6detail17trampoline_kernelINS0_13select_configILj256ELj13ELNS0_17block_load_methodE3ELS4_3ELS4_3ELNS0_20block_scan_algorithmE0ELj4294967295EEENS1_25partition_config_selectorILNS1_17partition_subalgoE4EjNS0_10empty_typeEbEEZZNS1_14partition_implILS8_4ELb0ES6_15HIP_vector_typeIjLj2EENS0_17counting_iteratorIjlEEPS9_SG_NS0_5tupleIJPjSI_NS0_16reverse_iteratorISI_EEEEENSH_IJSG_SG_SG_EEES9_SI_JZNS1_25segmented_radix_sort_implINS0_14default_configELb0EPKiPiPKlPlN2at6native12_GLOBAL__N_18offset_tEEE10hipError_tPvRmT1_PNSt15iterator_traitsIS12_E10value_typeET2_T3_PNS13_IS18_E10value_typeET4_jRbjT5_S1E_jjP12ihipStream_tbEUljE_ZNSN_ISO_Lb0ESQ_SR_ST_SU_SY_EESZ_S10_S11_S12_S16_S17_S18_S1B_S1C_jS1D_jS1E_S1E_jjS1G_bEUljE0_EEESZ_S10_S11_S18_S1C_S1E_T6_T7_T9_mT8_S1G_bDpT10_ENKUlT_T0_E_clISt17integral_constantIbLb1EES1U_EEDaS1P_S1Q_EUlS1P_E_NS1_11comp_targetILNS1_3genE5ELNS1_11target_archE942ELNS1_3gpuE9ELNS1_3repE0EEENS1_30default_config_static_selectorELNS0_4arch9wavefront6targetE1EEEvS12_
    .private_segment_fixed_size: 0
    .sgpr_count:     4
    .sgpr_spill_count: 0
    .symbol:         _ZN7rocprim17ROCPRIM_400000_NS6detail17trampoline_kernelINS0_13select_configILj256ELj13ELNS0_17block_load_methodE3ELS4_3ELS4_3ELNS0_20block_scan_algorithmE0ELj4294967295EEENS1_25partition_config_selectorILNS1_17partition_subalgoE4EjNS0_10empty_typeEbEEZZNS1_14partition_implILS8_4ELb0ES6_15HIP_vector_typeIjLj2EENS0_17counting_iteratorIjlEEPS9_SG_NS0_5tupleIJPjSI_NS0_16reverse_iteratorISI_EEEEENSH_IJSG_SG_SG_EEES9_SI_JZNS1_25segmented_radix_sort_implINS0_14default_configELb0EPKiPiPKlPlN2at6native12_GLOBAL__N_18offset_tEEE10hipError_tPvRmT1_PNSt15iterator_traitsIS12_E10value_typeET2_T3_PNS13_IS18_E10value_typeET4_jRbjT5_S1E_jjP12ihipStream_tbEUljE_ZNSN_ISO_Lb0ESQ_SR_ST_SU_SY_EESZ_S10_S11_S12_S16_S17_S18_S1B_S1C_jS1D_jS1E_S1E_jjS1G_bEUljE0_EEESZ_S10_S11_S18_S1C_S1E_T6_T7_T9_mT8_S1G_bDpT10_ENKUlT_T0_E_clISt17integral_constantIbLb1EES1U_EEDaS1P_S1Q_EUlS1P_E_NS1_11comp_targetILNS1_3genE5ELNS1_11target_archE942ELNS1_3gpuE9ELNS1_3repE0EEENS1_30default_config_static_selectorELNS0_4arch9wavefront6targetE1EEEvS12_.kd
    .uniform_work_group_size: 1
    .uses_dynamic_stack: false
    .vgpr_count:     0
    .vgpr_spill_count: 0
    .wavefront_size: 64
  - .args:
      - .offset:         0
        .size:           184
        .value_kind:     by_value
    .group_segment_fixed_size: 0
    .kernarg_segment_align: 8
    .kernarg_segment_size: 184
    .language:       OpenCL C
    .language_version:
      - 2
      - 0
    .max_flat_workgroup_size: 256
    .name:           _ZN7rocprim17ROCPRIM_400000_NS6detail17trampoline_kernelINS0_13select_configILj256ELj13ELNS0_17block_load_methodE3ELS4_3ELS4_3ELNS0_20block_scan_algorithmE0ELj4294967295EEENS1_25partition_config_selectorILNS1_17partition_subalgoE4EjNS0_10empty_typeEbEEZZNS1_14partition_implILS8_4ELb0ES6_15HIP_vector_typeIjLj2EENS0_17counting_iteratorIjlEEPS9_SG_NS0_5tupleIJPjSI_NS0_16reverse_iteratorISI_EEEEENSH_IJSG_SG_SG_EEES9_SI_JZNS1_25segmented_radix_sort_implINS0_14default_configELb0EPKiPiPKlPlN2at6native12_GLOBAL__N_18offset_tEEE10hipError_tPvRmT1_PNSt15iterator_traitsIS12_E10value_typeET2_T3_PNS13_IS18_E10value_typeET4_jRbjT5_S1E_jjP12ihipStream_tbEUljE_ZNSN_ISO_Lb0ESQ_SR_ST_SU_SY_EESZ_S10_S11_S12_S16_S17_S18_S1B_S1C_jS1D_jS1E_S1E_jjS1G_bEUljE0_EEESZ_S10_S11_S18_S1C_S1E_T6_T7_T9_mT8_S1G_bDpT10_ENKUlT_T0_E_clISt17integral_constantIbLb1EES1U_EEDaS1P_S1Q_EUlS1P_E_NS1_11comp_targetILNS1_3genE4ELNS1_11target_archE910ELNS1_3gpuE8ELNS1_3repE0EEENS1_30default_config_static_selectorELNS0_4arch9wavefront6targetE1EEEvS12_
    .private_segment_fixed_size: 0
    .sgpr_count:     4
    .sgpr_spill_count: 0
    .symbol:         _ZN7rocprim17ROCPRIM_400000_NS6detail17trampoline_kernelINS0_13select_configILj256ELj13ELNS0_17block_load_methodE3ELS4_3ELS4_3ELNS0_20block_scan_algorithmE0ELj4294967295EEENS1_25partition_config_selectorILNS1_17partition_subalgoE4EjNS0_10empty_typeEbEEZZNS1_14partition_implILS8_4ELb0ES6_15HIP_vector_typeIjLj2EENS0_17counting_iteratorIjlEEPS9_SG_NS0_5tupleIJPjSI_NS0_16reverse_iteratorISI_EEEEENSH_IJSG_SG_SG_EEES9_SI_JZNS1_25segmented_radix_sort_implINS0_14default_configELb0EPKiPiPKlPlN2at6native12_GLOBAL__N_18offset_tEEE10hipError_tPvRmT1_PNSt15iterator_traitsIS12_E10value_typeET2_T3_PNS13_IS18_E10value_typeET4_jRbjT5_S1E_jjP12ihipStream_tbEUljE_ZNSN_ISO_Lb0ESQ_SR_ST_SU_SY_EESZ_S10_S11_S12_S16_S17_S18_S1B_S1C_jS1D_jS1E_S1E_jjS1G_bEUljE0_EEESZ_S10_S11_S18_S1C_S1E_T6_T7_T9_mT8_S1G_bDpT10_ENKUlT_T0_E_clISt17integral_constantIbLb1EES1U_EEDaS1P_S1Q_EUlS1P_E_NS1_11comp_targetILNS1_3genE4ELNS1_11target_archE910ELNS1_3gpuE8ELNS1_3repE0EEENS1_30default_config_static_selectorELNS0_4arch9wavefront6targetE1EEEvS12_.kd
    .uniform_work_group_size: 1
    .uses_dynamic_stack: false
    .vgpr_count:     0
    .vgpr_spill_count: 0
    .wavefront_size: 64
  - .args:
      - .offset:         0
        .size:           184
        .value_kind:     by_value
    .group_segment_fixed_size: 0
    .kernarg_segment_align: 8
    .kernarg_segment_size: 184
    .language:       OpenCL C
    .language_version:
      - 2
      - 0
    .max_flat_workgroup_size: 256
    .name:           _ZN7rocprim17ROCPRIM_400000_NS6detail17trampoline_kernelINS0_13select_configILj256ELj13ELNS0_17block_load_methodE3ELS4_3ELS4_3ELNS0_20block_scan_algorithmE0ELj4294967295EEENS1_25partition_config_selectorILNS1_17partition_subalgoE4EjNS0_10empty_typeEbEEZZNS1_14partition_implILS8_4ELb0ES6_15HIP_vector_typeIjLj2EENS0_17counting_iteratorIjlEEPS9_SG_NS0_5tupleIJPjSI_NS0_16reverse_iteratorISI_EEEEENSH_IJSG_SG_SG_EEES9_SI_JZNS1_25segmented_radix_sort_implINS0_14default_configELb0EPKiPiPKlPlN2at6native12_GLOBAL__N_18offset_tEEE10hipError_tPvRmT1_PNSt15iterator_traitsIS12_E10value_typeET2_T3_PNS13_IS18_E10value_typeET4_jRbjT5_S1E_jjP12ihipStream_tbEUljE_ZNSN_ISO_Lb0ESQ_SR_ST_SU_SY_EESZ_S10_S11_S12_S16_S17_S18_S1B_S1C_jS1D_jS1E_S1E_jjS1G_bEUljE0_EEESZ_S10_S11_S18_S1C_S1E_T6_T7_T9_mT8_S1G_bDpT10_ENKUlT_T0_E_clISt17integral_constantIbLb1EES1U_EEDaS1P_S1Q_EUlS1P_E_NS1_11comp_targetILNS1_3genE3ELNS1_11target_archE908ELNS1_3gpuE7ELNS1_3repE0EEENS1_30default_config_static_selectorELNS0_4arch9wavefront6targetE1EEEvS12_
    .private_segment_fixed_size: 0
    .sgpr_count:     4
    .sgpr_spill_count: 0
    .symbol:         _ZN7rocprim17ROCPRIM_400000_NS6detail17trampoline_kernelINS0_13select_configILj256ELj13ELNS0_17block_load_methodE3ELS4_3ELS4_3ELNS0_20block_scan_algorithmE0ELj4294967295EEENS1_25partition_config_selectorILNS1_17partition_subalgoE4EjNS0_10empty_typeEbEEZZNS1_14partition_implILS8_4ELb0ES6_15HIP_vector_typeIjLj2EENS0_17counting_iteratorIjlEEPS9_SG_NS0_5tupleIJPjSI_NS0_16reverse_iteratorISI_EEEEENSH_IJSG_SG_SG_EEES9_SI_JZNS1_25segmented_radix_sort_implINS0_14default_configELb0EPKiPiPKlPlN2at6native12_GLOBAL__N_18offset_tEEE10hipError_tPvRmT1_PNSt15iterator_traitsIS12_E10value_typeET2_T3_PNS13_IS18_E10value_typeET4_jRbjT5_S1E_jjP12ihipStream_tbEUljE_ZNSN_ISO_Lb0ESQ_SR_ST_SU_SY_EESZ_S10_S11_S12_S16_S17_S18_S1B_S1C_jS1D_jS1E_S1E_jjS1G_bEUljE0_EEESZ_S10_S11_S18_S1C_S1E_T6_T7_T9_mT8_S1G_bDpT10_ENKUlT_T0_E_clISt17integral_constantIbLb1EES1U_EEDaS1P_S1Q_EUlS1P_E_NS1_11comp_targetILNS1_3genE3ELNS1_11target_archE908ELNS1_3gpuE7ELNS1_3repE0EEENS1_30default_config_static_selectorELNS0_4arch9wavefront6targetE1EEEvS12_.kd
    .uniform_work_group_size: 1
    .uses_dynamic_stack: false
    .vgpr_count:     0
    .vgpr_spill_count: 0
    .wavefront_size: 64
  - .args:
      - .offset:         0
        .size:           184
        .value_kind:     by_value
    .group_segment_fixed_size: 0
    .kernarg_segment_align: 8
    .kernarg_segment_size: 184
    .language:       OpenCL C
    .language_version:
      - 2
      - 0
    .max_flat_workgroup_size: 256
    .name:           _ZN7rocprim17ROCPRIM_400000_NS6detail17trampoline_kernelINS0_13select_configILj256ELj13ELNS0_17block_load_methodE3ELS4_3ELS4_3ELNS0_20block_scan_algorithmE0ELj4294967295EEENS1_25partition_config_selectorILNS1_17partition_subalgoE4EjNS0_10empty_typeEbEEZZNS1_14partition_implILS8_4ELb0ES6_15HIP_vector_typeIjLj2EENS0_17counting_iteratorIjlEEPS9_SG_NS0_5tupleIJPjSI_NS0_16reverse_iteratorISI_EEEEENSH_IJSG_SG_SG_EEES9_SI_JZNS1_25segmented_radix_sort_implINS0_14default_configELb0EPKiPiPKlPlN2at6native12_GLOBAL__N_18offset_tEEE10hipError_tPvRmT1_PNSt15iterator_traitsIS12_E10value_typeET2_T3_PNS13_IS18_E10value_typeET4_jRbjT5_S1E_jjP12ihipStream_tbEUljE_ZNSN_ISO_Lb0ESQ_SR_ST_SU_SY_EESZ_S10_S11_S12_S16_S17_S18_S1B_S1C_jS1D_jS1E_S1E_jjS1G_bEUljE0_EEESZ_S10_S11_S18_S1C_S1E_T6_T7_T9_mT8_S1G_bDpT10_ENKUlT_T0_E_clISt17integral_constantIbLb1EES1U_EEDaS1P_S1Q_EUlS1P_E_NS1_11comp_targetILNS1_3genE2ELNS1_11target_archE906ELNS1_3gpuE6ELNS1_3repE0EEENS1_30default_config_static_selectorELNS0_4arch9wavefront6targetE1EEEvS12_
    .private_segment_fixed_size: 0
    .sgpr_count:     4
    .sgpr_spill_count: 0
    .symbol:         _ZN7rocprim17ROCPRIM_400000_NS6detail17trampoline_kernelINS0_13select_configILj256ELj13ELNS0_17block_load_methodE3ELS4_3ELS4_3ELNS0_20block_scan_algorithmE0ELj4294967295EEENS1_25partition_config_selectorILNS1_17partition_subalgoE4EjNS0_10empty_typeEbEEZZNS1_14partition_implILS8_4ELb0ES6_15HIP_vector_typeIjLj2EENS0_17counting_iteratorIjlEEPS9_SG_NS0_5tupleIJPjSI_NS0_16reverse_iteratorISI_EEEEENSH_IJSG_SG_SG_EEES9_SI_JZNS1_25segmented_radix_sort_implINS0_14default_configELb0EPKiPiPKlPlN2at6native12_GLOBAL__N_18offset_tEEE10hipError_tPvRmT1_PNSt15iterator_traitsIS12_E10value_typeET2_T3_PNS13_IS18_E10value_typeET4_jRbjT5_S1E_jjP12ihipStream_tbEUljE_ZNSN_ISO_Lb0ESQ_SR_ST_SU_SY_EESZ_S10_S11_S12_S16_S17_S18_S1B_S1C_jS1D_jS1E_S1E_jjS1G_bEUljE0_EEESZ_S10_S11_S18_S1C_S1E_T6_T7_T9_mT8_S1G_bDpT10_ENKUlT_T0_E_clISt17integral_constantIbLb1EES1U_EEDaS1P_S1Q_EUlS1P_E_NS1_11comp_targetILNS1_3genE2ELNS1_11target_archE906ELNS1_3gpuE6ELNS1_3repE0EEENS1_30default_config_static_selectorELNS0_4arch9wavefront6targetE1EEEvS12_.kd
    .uniform_work_group_size: 1
    .uses_dynamic_stack: false
    .vgpr_count:     0
    .vgpr_spill_count: 0
    .wavefront_size: 64
  - .args:
      - .offset:         0
        .size:           184
        .value_kind:     by_value
    .group_segment_fixed_size: 0
    .kernarg_segment_align: 8
    .kernarg_segment_size: 184
    .language:       OpenCL C
    .language_version:
      - 2
      - 0
    .max_flat_workgroup_size: 256
    .name:           _ZN7rocprim17ROCPRIM_400000_NS6detail17trampoline_kernelINS0_13select_configILj256ELj13ELNS0_17block_load_methodE3ELS4_3ELS4_3ELNS0_20block_scan_algorithmE0ELj4294967295EEENS1_25partition_config_selectorILNS1_17partition_subalgoE4EjNS0_10empty_typeEbEEZZNS1_14partition_implILS8_4ELb0ES6_15HIP_vector_typeIjLj2EENS0_17counting_iteratorIjlEEPS9_SG_NS0_5tupleIJPjSI_NS0_16reverse_iteratorISI_EEEEENSH_IJSG_SG_SG_EEES9_SI_JZNS1_25segmented_radix_sort_implINS0_14default_configELb0EPKiPiPKlPlN2at6native12_GLOBAL__N_18offset_tEEE10hipError_tPvRmT1_PNSt15iterator_traitsIS12_E10value_typeET2_T3_PNS13_IS18_E10value_typeET4_jRbjT5_S1E_jjP12ihipStream_tbEUljE_ZNSN_ISO_Lb0ESQ_SR_ST_SU_SY_EESZ_S10_S11_S12_S16_S17_S18_S1B_S1C_jS1D_jS1E_S1E_jjS1G_bEUljE0_EEESZ_S10_S11_S18_S1C_S1E_T6_T7_T9_mT8_S1G_bDpT10_ENKUlT_T0_E_clISt17integral_constantIbLb1EES1U_EEDaS1P_S1Q_EUlS1P_E_NS1_11comp_targetILNS1_3genE10ELNS1_11target_archE1200ELNS1_3gpuE4ELNS1_3repE0EEENS1_30default_config_static_selectorELNS0_4arch9wavefront6targetE1EEEvS12_
    .private_segment_fixed_size: 0
    .sgpr_count:     4
    .sgpr_spill_count: 0
    .symbol:         _ZN7rocprim17ROCPRIM_400000_NS6detail17trampoline_kernelINS0_13select_configILj256ELj13ELNS0_17block_load_methodE3ELS4_3ELS4_3ELNS0_20block_scan_algorithmE0ELj4294967295EEENS1_25partition_config_selectorILNS1_17partition_subalgoE4EjNS0_10empty_typeEbEEZZNS1_14partition_implILS8_4ELb0ES6_15HIP_vector_typeIjLj2EENS0_17counting_iteratorIjlEEPS9_SG_NS0_5tupleIJPjSI_NS0_16reverse_iteratorISI_EEEEENSH_IJSG_SG_SG_EEES9_SI_JZNS1_25segmented_radix_sort_implINS0_14default_configELb0EPKiPiPKlPlN2at6native12_GLOBAL__N_18offset_tEEE10hipError_tPvRmT1_PNSt15iterator_traitsIS12_E10value_typeET2_T3_PNS13_IS18_E10value_typeET4_jRbjT5_S1E_jjP12ihipStream_tbEUljE_ZNSN_ISO_Lb0ESQ_SR_ST_SU_SY_EESZ_S10_S11_S12_S16_S17_S18_S1B_S1C_jS1D_jS1E_S1E_jjS1G_bEUljE0_EEESZ_S10_S11_S18_S1C_S1E_T6_T7_T9_mT8_S1G_bDpT10_ENKUlT_T0_E_clISt17integral_constantIbLb1EES1U_EEDaS1P_S1Q_EUlS1P_E_NS1_11comp_targetILNS1_3genE10ELNS1_11target_archE1200ELNS1_3gpuE4ELNS1_3repE0EEENS1_30default_config_static_selectorELNS0_4arch9wavefront6targetE1EEEvS12_.kd
    .uniform_work_group_size: 1
    .uses_dynamic_stack: false
    .vgpr_count:     0
    .vgpr_spill_count: 0
    .wavefront_size: 64
  - .args:
      - .offset:         0
        .size:           184
        .value_kind:     by_value
    .group_segment_fixed_size: 0
    .kernarg_segment_align: 8
    .kernarg_segment_size: 184
    .language:       OpenCL C
    .language_version:
      - 2
      - 0
    .max_flat_workgroup_size: 256
    .name:           _ZN7rocprim17ROCPRIM_400000_NS6detail17trampoline_kernelINS0_13select_configILj256ELj13ELNS0_17block_load_methodE3ELS4_3ELS4_3ELNS0_20block_scan_algorithmE0ELj4294967295EEENS1_25partition_config_selectorILNS1_17partition_subalgoE4EjNS0_10empty_typeEbEEZZNS1_14partition_implILS8_4ELb0ES6_15HIP_vector_typeIjLj2EENS0_17counting_iteratorIjlEEPS9_SG_NS0_5tupleIJPjSI_NS0_16reverse_iteratorISI_EEEEENSH_IJSG_SG_SG_EEES9_SI_JZNS1_25segmented_radix_sort_implINS0_14default_configELb0EPKiPiPKlPlN2at6native12_GLOBAL__N_18offset_tEEE10hipError_tPvRmT1_PNSt15iterator_traitsIS12_E10value_typeET2_T3_PNS13_IS18_E10value_typeET4_jRbjT5_S1E_jjP12ihipStream_tbEUljE_ZNSN_ISO_Lb0ESQ_SR_ST_SU_SY_EESZ_S10_S11_S12_S16_S17_S18_S1B_S1C_jS1D_jS1E_S1E_jjS1G_bEUljE0_EEESZ_S10_S11_S18_S1C_S1E_T6_T7_T9_mT8_S1G_bDpT10_ENKUlT_T0_E_clISt17integral_constantIbLb1EES1U_EEDaS1P_S1Q_EUlS1P_E_NS1_11comp_targetILNS1_3genE9ELNS1_11target_archE1100ELNS1_3gpuE3ELNS1_3repE0EEENS1_30default_config_static_selectorELNS0_4arch9wavefront6targetE1EEEvS12_
    .private_segment_fixed_size: 0
    .sgpr_count:     4
    .sgpr_spill_count: 0
    .symbol:         _ZN7rocprim17ROCPRIM_400000_NS6detail17trampoline_kernelINS0_13select_configILj256ELj13ELNS0_17block_load_methodE3ELS4_3ELS4_3ELNS0_20block_scan_algorithmE0ELj4294967295EEENS1_25partition_config_selectorILNS1_17partition_subalgoE4EjNS0_10empty_typeEbEEZZNS1_14partition_implILS8_4ELb0ES6_15HIP_vector_typeIjLj2EENS0_17counting_iteratorIjlEEPS9_SG_NS0_5tupleIJPjSI_NS0_16reverse_iteratorISI_EEEEENSH_IJSG_SG_SG_EEES9_SI_JZNS1_25segmented_radix_sort_implINS0_14default_configELb0EPKiPiPKlPlN2at6native12_GLOBAL__N_18offset_tEEE10hipError_tPvRmT1_PNSt15iterator_traitsIS12_E10value_typeET2_T3_PNS13_IS18_E10value_typeET4_jRbjT5_S1E_jjP12ihipStream_tbEUljE_ZNSN_ISO_Lb0ESQ_SR_ST_SU_SY_EESZ_S10_S11_S12_S16_S17_S18_S1B_S1C_jS1D_jS1E_S1E_jjS1G_bEUljE0_EEESZ_S10_S11_S18_S1C_S1E_T6_T7_T9_mT8_S1G_bDpT10_ENKUlT_T0_E_clISt17integral_constantIbLb1EES1U_EEDaS1P_S1Q_EUlS1P_E_NS1_11comp_targetILNS1_3genE9ELNS1_11target_archE1100ELNS1_3gpuE3ELNS1_3repE0EEENS1_30default_config_static_selectorELNS0_4arch9wavefront6targetE1EEEvS12_.kd
    .uniform_work_group_size: 1
    .uses_dynamic_stack: false
    .vgpr_count:     0
    .vgpr_spill_count: 0
    .wavefront_size: 64
  - .args:
      - .offset:         0
        .size:           184
        .value_kind:     by_value
    .group_segment_fixed_size: 0
    .kernarg_segment_align: 8
    .kernarg_segment_size: 184
    .language:       OpenCL C
    .language_version:
      - 2
      - 0
    .max_flat_workgroup_size: 256
    .name:           _ZN7rocprim17ROCPRIM_400000_NS6detail17trampoline_kernelINS0_13select_configILj256ELj13ELNS0_17block_load_methodE3ELS4_3ELS4_3ELNS0_20block_scan_algorithmE0ELj4294967295EEENS1_25partition_config_selectorILNS1_17partition_subalgoE4EjNS0_10empty_typeEbEEZZNS1_14partition_implILS8_4ELb0ES6_15HIP_vector_typeIjLj2EENS0_17counting_iteratorIjlEEPS9_SG_NS0_5tupleIJPjSI_NS0_16reverse_iteratorISI_EEEEENSH_IJSG_SG_SG_EEES9_SI_JZNS1_25segmented_radix_sort_implINS0_14default_configELb0EPKiPiPKlPlN2at6native12_GLOBAL__N_18offset_tEEE10hipError_tPvRmT1_PNSt15iterator_traitsIS12_E10value_typeET2_T3_PNS13_IS18_E10value_typeET4_jRbjT5_S1E_jjP12ihipStream_tbEUljE_ZNSN_ISO_Lb0ESQ_SR_ST_SU_SY_EESZ_S10_S11_S12_S16_S17_S18_S1B_S1C_jS1D_jS1E_S1E_jjS1G_bEUljE0_EEESZ_S10_S11_S18_S1C_S1E_T6_T7_T9_mT8_S1G_bDpT10_ENKUlT_T0_E_clISt17integral_constantIbLb1EES1U_EEDaS1P_S1Q_EUlS1P_E_NS1_11comp_targetILNS1_3genE8ELNS1_11target_archE1030ELNS1_3gpuE2ELNS1_3repE0EEENS1_30default_config_static_selectorELNS0_4arch9wavefront6targetE1EEEvS12_
    .private_segment_fixed_size: 0
    .sgpr_count:     4
    .sgpr_spill_count: 0
    .symbol:         _ZN7rocprim17ROCPRIM_400000_NS6detail17trampoline_kernelINS0_13select_configILj256ELj13ELNS0_17block_load_methodE3ELS4_3ELS4_3ELNS0_20block_scan_algorithmE0ELj4294967295EEENS1_25partition_config_selectorILNS1_17partition_subalgoE4EjNS0_10empty_typeEbEEZZNS1_14partition_implILS8_4ELb0ES6_15HIP_vector_typeIjLj2EENS0_17counting_iteratorIjlEEPS9_SG_NS0_5tupleIJPjSI_NS0_16reverse_iteratorISI_EEEEENSH_IJSG_SG_SG_EEES9_SI_JZNS1_25segmented_radix_sort_implINS0_14default_configELb0EPKiPiPKlPlN2at6native12_GLOBAL__N_18offset_tEEE10hipError_tPvRmT1_PNSt15iterator_traitsIS12_E10value_typeET2_T3_PNS13_IS18_E10value_typeET4_jRbjT5_S1E_jjP12ihipStream_tbEUljE_ZNSN_ISO_Lb0ESQ_SR_ST_SU_SY_EESZ_S10_S11_S12_S16_S17_S18_S1B_S1C_jS1D_jS1E_S1E_jjS1G_bEUljE0_EEESZ_S10_S11_S18_S1C_S1E_T6_T7_T9_mT8_S1G_bDpT10_ENKUlT_T0_E_clISt17integral_constantIbLb1EES1U_EEDaS1P_S1Q_EUlS1P_E_NS1_11comp_targetILNS1_3genE8ELNS1_11target_archE1030ELNS1_3gpuE2ELNS1_3repE0EEENS1_30default_config_static_selectorELNS0_4arch9wavefront6targetE1EEEvS12_.kd
    .uniform_work_group_size: 1
    .uses_dynamic_stack: false
    .vgpr_count:     0
    .vgpr_spill_count: 0
    .wavefront_size: 64
  - .args:
      - .offset:         0
        .size:           176
        .value_kind:     by_value
    .group_segment_fixed_size: 0
    .kernarg_segment_align: 8
    .kernarg_segment_size: 176
    .language:       OpenCL C
    .language_version:
      - 2
      - 0
    .max_flat_workgroup_size: 256
    .name:           _ZN7rocprim17ROCPRIM_400000_NS6detail17trampoline_kernelINS0_13select_configILj256ELj13ELNS0_17block_load_methodE3ELS4_3ELS4_3ELNS0_20block_scan_algorithmE0ELj4294967295EEENS1_25partition_config_selectorILNS1_17partition_subalgoE4EjNS0_10empty_typeEbEEZZNS1_14partition_implILS8_4ELb0ES6_15HIP_vector_typeIjLj2EENS0_17counting_iteratorIjlEEPS9_SG_NS0_5tupleIJPjSI_NS0_16reverse_iteratorISI_EEEEENSH_IJSG_SG_SG_EEES9_SI_JZNS1_25segmented_radix_sort_implINS0_14default_configELb0EPKiPiPKlPlN2at6native12_GLOBAL__N_18offset_tEEE10hipError_tPvRmT1_PNSt15iterator_traitsIS12_E10value_typeET2_T3_PNS13_IS18_E10value_typeET4_jRbjT5_S1E_jjP12ihipStream_tbEUljE_ZNSN_ISO_Lb0ESQ_SR_ST_SU_SY_EESZ_S10_S11_S12_S16_S17_S18_S1B_S1C_jS1D_jS1E_S1E_jjS1G_bEUljE0_EEESZ_S10_S11_S18_S1C_S1E_T6_T7_T9_mT8_S1G_bDpT10_ENKUlT_T0_E_clISt17integral_constantIbLb1EES1T_IbLb0EEEEDaS1P_S1Q_EUlS1P_E_NS1_11comp_targetILNS1_3genE0ELNS1_11target_archE4294967295ELNS1_3gpuE0ELNS1_3repE0EEENS1_30default_config_static_selectorELNS0_4arch9wavefront6targetE1EEEvS12_
    .private_segment_fixed_size: 0
    .sgpr_count:     4
    .sgpr_spill_count: 0
    .symbol:         _ZN7rocprim17ROCPRIM_400000_NS6detail17trampoline_kernelINS0_13select_configILj256ELj13ELNS0_17block_load_methodE3ELS4_3ELS4_3ELNS0_20block_scan_algorithmE0ELj4294967295EEENS1_25partition_config_selectorILNS1_17partition_subalgoE4EjNS0_10empty_typeEbEEZZNS1_14partition_implILS8_4ELb0ES6_15HIP_vector_typeIjLj2EENS0_17counting_iteratorIjlEEPS9_SG_NS0_5tupleIJPjSI_NS0_16reverse_iteratorISI_EEEEENSH_IJSG_SG_SG_EEES9_SI_JZNS1_25segmented_radix_sort_implINS0_14default_configELb0EPKiPiPKlPlN2at6native12_GLOBAL__N_18offset_tEEE10hipError_tPvRmT1_PNSt15iterator_traitsIS12_E10value_typeET2_T3_PNS13_IS18_E10value_typeET4_jRbjT5_S1E_jjP12ihipStream_tbEUljE_ZNSN_ISO_Lb0ESQ_SR_ST_SU_SY_EESZ_S10_S11_S12_S16_S17_S18_S1B_S1C_jS1D_jS1E_S1E_jjS1G_bEUljE0_EEESZ_S10_S11_S18_S1C_S1E_T6_T7_T9_mT8_S1G_bDpT10_ENKUlT_T0_E_clISt17integral_constantIbLb1EES1T_IbLb0EEEEDaS1P_S1Q_EUlS1P_E_NS1_11comp_targetILNS1_3genE0ELNS1_11target_archE4294967295ELNS1_3gpuE0ELNS1_3repE0EEENS1_30default_config_static_selectorELNS0_4arch9wavefront6targetE1EEEvS12_.kd
    .uniform_work_group_size: 1
    .uses_dynamic_stack: false
    .vgpr_count:     0
    .vgpr_spill_count: 0
    .wavefront_size: 64
  - .args:
      - .offset:         0
        .size:           176
        .value_kind:     by_value
    .group_segment_fixed_size: 0
    .kernarg_segment_align: 8
    .kernarg_segment_size: 176
    .language:       OpenCL C
    .language_version:
      - 2
      - 0
    .max_flat_workgroup_size: 256
    .name:           _ZN7rocprim17ROCPRIM_400000_NS6detail17trampoline_kernelINS0_13select_configILj256ELj13ELNS0_17block_load_methodE3ELS4_3ELS4_3ELNS0_20block_scan_algorithmE0ELj4294967295EEENS1_25partition_config_selectorILNS1_17partition_subalgoE4EjNS0_10empty_typeEbEEZZNS1_14partition_implILS8_4ELb0ES6_15HIP_vector_typeIjLj2EENS0_17counting_iteratorIjlEEPS9_SG_NS0_5tupleIJPjSI_NS0_16reverse_iteratorISI_EEEEENSH_IJSG_SG_SG_EEES9_SI_JZNS1_25segmented_radix_sort_implINS0_14default_configELb0EPKiPiPKlPlN2at6native12_GLOBAL__N_18offset_tEEE10hipError_tPvRmT1_PNSt15iterator_traitsIS12_E10value_typeET2_T3_PNS13_IS18_E10value_typeET4_jRbjT5_S1E_jjP12ihipStream_tbEUljE_ZNSN_ISO_Lb0ESQ_SR_ST_SU_SY_EESZ_S10_S11_S12_S16_S17_S18_S1B_S1C_jS1D_jS1E_S1E_jjS1G_bEUljE0_EEESZ_S10_S11_S18_S1C_S1E_T6_T7_T9_mT8_S1G_bDpT10_ENKUlT_T0_E_clISt17integral_constantIbLb1EES1T_IbLb0EEEEDaS1P_S1Q_EUlS1P_E_NS1_11comp_targetILNS1_3genE5ELNS1_11target_archE942ELNS1_3gpuE9ELNS1_3repE0EEENS1_30default_config_static_selectorELNS0_4arch9wavefront6targetE1EEEvS12_
    .private_segment_fixed_size: 0
    .sgpr_count:     4
    .sgpr_spill_count: 0
    .symbol:         _ZN7rocprim17ROCPRIM_400000_NS6detail17trampoline_kernelINS0_13select_configILj256ELj13ELNS0_17block_load_methodE3ELS4_3ELS4_3ELNS0_20block_scan_algorithmE0ELj4294967295EEENS1_25partition_config_selectorILNS1_17partition_subalgoE4EjNS0_10empty_typeEbEEZZNS1_14partition_implILS8_4ELb0ES6_15HIP_vector_typeIjLj2EENS0_17counting_iteratorIjlEEPS9_SG_NS0_5tupleIJPjSI_NS0_16reverse_iteratorISI_EEEEENSH_IJSG_SG_SG_EEES9_SI_JZNS1_25segmented_radix_sort_implINS0_14default_configELb0EPKiPiPKlPlN2at6native12_GLOBAL__N_18offset_tEEE10hipError_tPvRmT1_PNSt15iterator_traitsIS12_E10value_typeET2_T3_PNS13_IS18_E10value_typeET4_jRbjT5_S1E_jjP12ihipStream_tbEUljE_ZNSN_ISO_Lb0ESQ_SR_ST_SU_SY_EESZ_S10_S11_S12_S16_S17_S18_S1B_S1C_jS1D_jS1E_S1E_jjS1G_bEUljE0_EEESZ_S10_S11_S18_S1C_S1E_T6_T7_T9_mT8_S1G_bDpT10_ENKUlT_T0_E_clISt17integral_constantIbLb1EES1T_IbLb0EEEEDaS1P_S1Q_EUlS1P_E_NS1_11comp_targetILNS1_3genE5ELNS1_11target_archE942ELNS1_3gpuE9ELNS1_3repE0EEENS1_30default_config_static_selectorELNS0_4arch9wavefront6targetE1EEEvS12_.kd
    .uniform_work_group_size: 1
    .uses_dynamic_stack: false
    .vgpr_count:     0
    .vgpr_spill_count: 0
    .wavefront_size: 64
  - .args:
      - .offset:         0
        .size:           176
        .value_kind:     by_value
    .group_segment_fixed_size: 0
    .kernarg_segment_align: 8
    .kernarg_segment_size: 176
    .language:       OpenCL C
    .language_version:
      - 2
      - 0
    .max_flat_workgroup_size: 256
    .name:           _ZN7rocprim17ROCPRIM_400000_NS6detail17trampoline_kernelINS0_13select_configILj256ELj13ELNS0_17block_load_methodE3ELS4_3ELS4_3ELNS0_20block_scan_algorithmE0ELj4294967295EEENS1_25partition_config_selectorILNS1_17partition_subalgoE4EjNS0_10empty_typeEbEEZZNS1_14partition_implILS8_4ELb0ES6_15HIP_vector_typeIjLj2EENS0_17counting_iteratorIjlEEPS9_SG_NS0_5tupleIJPjSI_NS0_16reverse_iteratorISI_EEEEENSH_IJSG_SG_SG_EEES9_SI_JZNS1_25segmented_radix_sort_implINS0_14default_configELb0EPKiPiPKlPlN2at6native12_GLOBAL__N_18offset_tEEE10hipError_tPvRmT1_PNSt15iterator_traitsIS12_E10value_typeET2_T3_PNS13_IS18_E10value_typeET4_jRbjT5_S1E_jjP12ihipStream_tbEUljE_ZNSN_ISO_Lb0ESQ_SR_ST_SU_SY_EESZ_S10_S11_S12_S16_S17_S18_S1B_S1C_jS1D_jS1E_S1E_jjS1G_bEUljE0_EEESZ_S10_S11_S18_S1C_S1E_T6_T7_T9_mT8_S1G_bDpT10_ENKUlT_T0_E_clISt17integral_constantIbLb1EES1T_IbLb0EEEEDaS1P_S1Q_EUlS1P_E_NS1_11comp_targetILNS1_3genE4ELNS1_11target_archE910ELNS1_3gpuE8ELNS1_3repE0EEENS1_30default_config_static_selectorELNS0_4arch9wavefront6targetE1EEEvS12_
    .private_segment_fixed_size: 0
    .sgpr_count:     4
    .sgpr_spill_count: 0
    .symbol:         _ZN7rocprim17ROCPRIM_400000_NS6detail17trampoline_kernelINS0_13select_configILj256ELj13ELNS0_17block_load_methodE3ELS4_3ELS4_3ELNS0_20block_scan_algorithmE0ELj4294967295EEENS1_25partition_config_selectorILNS1_17partition_subalgoE4EjNS0_10empty_typeEbEEZZNS1_14partition_implILS8_4ELb0ES6_15HIP_vector_typeIjLj2EENS0_17counting_iteratorIjlEEPS9_SG_NS0_5tupleIJPjSI_NS0_16reverse_iteratorISI_EEEEENSH_IJSG_SG_SG_EEES9_SI_JZNS1_25segmented_radix_sort_implINS0_14default_configELb0EPKiPiPKlPlN2at6native12_GLOBAL__N_18offset_tEEE10hipError_tPvRmT1_PNSt15iterator_traitsIS12_E10value_typeET2_T3_PNS13_IS18_E10value_typeET4_jRbjT5_S1E_jjP12ihipStream_tbEUljE_ZNSN_ISO_Lb0ESQ_SR_ST_SU_SY_EESZ_S10_S11_S12_S16_S17_S18_S1B_S1C_jS1D_jS1E_S1E_jjS1G_bEUljE0_EEESZ_S10_S11_S18_S1C_S1E_T6_T7_T9_mT8_S1G_bDpT10_ENKUlT_T0_E_clISt17integral_constantIbLb1EES1T_IbLb0EEEEDaS1P_S1Q_EUlS1P_E_NS1_11comp_targetILNS1_3genE4ELNS1_11target_archE910ELNS1_3gpuE8ELNS1_3repE0EEENS1_30default_config_static_selectorELNS0_4arch9wavefront6targetE1EEEvS12_.kd
    .uniform_work_group_size: 1
    .uses_dynamic_stack: false
    .vgpr_count:     0
    .vgpr_spill_count: 0
    .wavefront_size: 64
  - .args:
      - .offset:         0
        .size:           176
        .value_kind:     by_value
    .group_segment_fixed_size: 0
    .kernarg_segment_align: 8
    .kernarg_segment_size: 176
    .language:       OpenCL C
    .language_version:
      - 2
      - 0
    .max_flat_workgroup_size: 256
    .name:           _ZN7rocprim17ROCPRIM_400000_NS6detail17trampoline_kernelINS0_13select_configILj256ELj13ELNS0_17block_load_methodE3ELS4_3ELS4_3ELNS0_20block_scan_algorithmE0ELj4294967295EEENS1_25partition_config_selectorILNS1_17partition_subalgoE4EjNS0_10empty_typeEbEEZZNS1_14partition_implILS8_4ELb0ES6_15HIP_vector_typeIjLj2EENS0_17counting_iteratorIjlEEPS9_SG_NS0_5tupleIJPjSI_NS0_16reverse_iteratorISI_EEEEENSH_IJSG_SG_SG_EEES9_SI_JZNS1_25segmented_radix_sort_implINS0_14default_configELb0EPKiPiPKlPlN2at6native12_GLOBAL__N_18offset_tEEE10hipError_tPvRmT1_PNSt15iterator_traitsIS12_E10value_typeET2_T3_PNS13_IS18_E10value_typeET4_jRbjT5_S1E_jjP12ihipStream_tbEUljE_ZNSN_ISO_Lb0ESQ_SR_ST_SU_SY_EESZ_S10_S11_S12_S16_S17_S18_S1B_S1C_jS1D_jS1E_S1E_jjS1G_bEUljE0_EEESZ_S10_S11_S18_S1C_S1E_T6_T7_T9_mT8_S1G_bDpT10_ENKUlT_T0_E_clISt17integral_constantIbLb1EES1T_IbLb0EEEEDaS1P_S1Q_EUlS1P_E_NS1_11comp_targetILNS1_3genE3ELNS1_11target_archE908ELNS1_3gpuE7ELNS1_3repE0EEENS1_30default_config_static_selectorELNS0_4arch9wavefront6targetE1EEEvS12_
    .private_segment_fixed_size: 0
    .sgpr_count:     4
    .sgpr_spill_count: 0
    .symbol:         _ZN7rocprim17ROCPRIM_400000_NS6detail17trampoline_kernelINS0_13select_configILj256ELj13ELNS0_17block_load_methodE3ELS4_3ELS4_3ELNS0_20block_scan_algorithmE0ELj4294967295EEENS1_25partition_config_selectorILNS1_17partition_subalgoE4EjNS0_10empty_typeEbEEZZNS1_14partition_implILS8_4ELb0ES6_15HIP_vector_typeIjLj2EENS0_17counting_iteratorIjlEEPS9_SG_NS0_5tupleIJPjSI_NS0_16reverse_iteratorISI_EEEEENSH_IJSG_SG_SG_EEES9_SI_JZNS1_25segmented_radix_sort_implINS0_14default_configELb0EPKiPiPKlPlN2at6native12_GLOBAL__N_18offset_tEEE10hipError_tPvRmT1_PNSt15iterator_traitsIS12_E10value_typeET2_T3_PNS13_IS18_E10value_typeET4_jRbjT5_S1E_jjP12ihipStream_tbEUljE_ZNSN_ISO_Lb0ESQ_SR_ST_SU_SY_EESZ_S10_S11_S12_S16_S17_S18_S1B_S1C_jS1D_jS1E_S1E_jjS1G_bEUljE0_EEESZ_S10_S11_S18_S1C_S1E_T6_T7_T9_mT8_S1G_bDpT10_ENKUlT_T0_E_clISt17integral_constantIbLb1EES1T_IbLb0EEEEDaS1P_S1Q_EUlS1P_E_NS1_11comp_targetILNS1_3genE3ELNS1_11target_archE908ELNS1_3gpuE7ELNS1_3repE0EEENS1_30default_config_static_selectorELNS0_4arch9wavefront6targetE1EEEvS12_.kd
    .uniform_work_group_size: 1
    .uses_dynamic_stack: false
    .vgpr_count:     0
    .vgpr_spill_count: 0
    .wavefront_size: 64
  - .args:
      - .offset:         0
        .size:           176
        .value_kind:     by_value
    .group_segment_fixed_size: 0
    .kernarg_segment_align: 8
    .kernarg_segment_size: 176
    .language:       OpenCL C
    .language_version:
      - 2
      - 0
    .max_flat_workgroup_size: 256
    .name:           _ZN7rocprim17ROCPRIM_400000_NS6detail17trampoline_kernelINS0_13select_configILj256ELj13ELNS0_17block_load_methodE3ELS4_3ELS4_3ELNS0_20block_scan_algorithmE0ELj4294967295EEENS1_25partition_config_selectorILNS1_17partition_subalgoE4EjNS0_10empty_typeEbEEZZNS1_14partition_implILS8_4ELb0ES6_15HIP_vector_typeIjLj2EENS0_17counting_iteratorIjlEEPS9_SG_NS0_5tupleIJPjSI_NS0_16reverse_iteratorISI_EEEEENSH_IJSG_SG_SG_EEES9_SI_JZNS1_25segmented_radix_sort_implINS0_14default_configELb0EPKiPiPKlPlN2at6native12_GLOBAL__N_18offset_tEEE10hipError_tPvRmT1_PNSt15iterator_traitsIS12_E10value_typeET2_T3_PNS13_IS18_E10value_typeET4_jRbjT5_S1E_jjP12ihipStream_tbEUljE_ZNSN_ISO_Lb0ESQ_SR_ST_SU_SY_EESZ_S10_S11_S12_S16_S17_S18_S1B_S1C_jS1D_jS1E_S1E_jjS1G_bEUljE0_EEESZ_S10_S11_S18_S1C_S1E_T6_T7_T9_mT8_S1G_bDpT10_ENKUlT_T0_E_clISt17integral_constantIbLb1EES1T_IbLb0EEEEDaS1P_S1Q_EUlS1P_E_NS1_11comp_targetILNS1_3genE2ELNS1_11target_archE906ELNS1_3gpuE6ELNS1_3repE0EEENS1_30default_config_static_selectorELNS0_4arch9wavefront6targetE1EEEvS12_
    .private_segment_fixed_size: 0
    .sgpr_count:     4
    .sgpr_spill_count: 0
    .symbol:         _ZN7rocprim17ROCPRIM_400000_NS6detail17trampoline_kernelINS0_13select_configILj256ELj13ELNS0_17block_load_methodE3ELS4_3ELS4_3ELNS0_20block_scan_algorithmE0ELj4294967295EEENS1_25partition_config_selectorILNS1_17partition_subalgoE4EjNS0_10empty_typeEbEEZZNS1_14partition_implILS8_4ELb0ES6_15HIP_vector_typeIjLj2EENS0_17counting_iteratorIjlEEPS9_SG_NS0_5tupleIJPjSI_NS0_16reverse_iteratorISI_EEEEENSH_IJSG_SG_SG_EEES9_SI_JZNS1_25segmented_radix_sort_implINS0_14default_configELb0EPKiPiPKlPlN2at6native12_GLOBAL__N_18offset_tEEE10hipError_tPvRmT1_PNSt15iterator_traitsIS12_E10value_typeET2_T3_PNS13_IS18_E10value_typeET4_jRbjT5_S1E_jjP12ihipStream_tbEUljE_ZNSN_ISO_Lb0ESQ_SR_ST_SU_SY_EESZ_S10_S11_S12_S16_S17_S18_S1B_S1C_jS1D_jS1E_S1E_jjS1G_bEUljE0_EEESZ_S10_S11_S18_S1C_S1E_T6_T7_T9_mT8_S1G_bDpT10_ENKUlT_T0_E_clISt17integral_constantIbLb1EES1T_IbLb0EEEEDaS1P_S1Q_EUlS1P_E_NS1_11comp_targetILNS1_3genE2ELNS1_11target_archE906ELNS1_3gpuE6ELNS1_3repE0EEENS1_30default_config_static_selectorELNS0_4arch9wavefront6targetE1EEEvS12_.kd
    .uniform_work_group_size: 1
    .uses_dynamic_stack: false
    .vgpr_count:     0
    .vgpr_spill_count: 0
    .wavefront_size: 64
  - .args:
      - .offset:         0
        .size:           176
        .value_kind:     by_value
    .group_segment_fixed_size: 0
    .kernarg_segment_align: 8
    .kernarg_segment_size: 176
    .language:       OpenCL C
    .language_version:
      - 2
      - 0
    .max_flat_workgroup_size: 256
    .name:           _ZN7rocprim17ROCPRIM_400000_NS6detail17trampoline_kernelINS0_13select_configILj256ELj13ELNS0_17block_load_methodE3ELS4_3ELS4_3ELNS0_20block_scan_algorithmE0ELj4294967295EEENS1_25partition_config_selectorILNS1_17partition_subalgoE4EjNS0_10empty_typeEbEEZZNS1_14partition_implILS8_4ELb0ES6_15HIP_vector_typeIjLj2EENS0_17counting_iteratorIjlEEPS9_SG_NS0_5tupleIJPjSI_NS0_16reverse_iteratorISI_EEEEENSH_IJSG_SG_SG_EEES9_SI_JZNS1_25segmented_radix_sort_implINS0_14default_configELb0EPKiPiPKlPlN2at6native12_GLOBAL__N_18offset_tEEE10hipError_tPvRmT1_PNSt15iterator_traitsIS12_E10value_typeET2_T3_PNS13_IS18_E10value_typeET4_jRbjT5_S1E_jjP12ihipStream_tbEUljE_ZNSN_ISO_Lb0ESQ_SR_ST_SU_SY_EESZ_S10_S11_S12_S16_S17_S18_S1B_S1C_jS1D_jS1E_S1E_jjS1G_bEUljE0_EEESZ_S10_S11_S18_S1C_S1E_T6_T7_T9_mT8_S1G_bDpT10_ENKUlT_T0_E_clISt17integral_constantIbLb1EES1T_IbLb0EEEEDaS1P_S1Q_EUlS1P_E_NS1_11comp_targetILNS1_3genE10ELNS1_11target_archE1200ELNS1_3gpuE4ELNS1_3repE0EEENS1_30default_config_static_selectorELNS0_4arch9wavefront6targetE1EEEvS12_
    .private_segment_fixed_size: 0
    .sgpr_count:     4
    .sgpr_spill_count: 0
    .symbol:         _ZN7rocprim17ROCPRIM_400000_NS6detail17trampoline_kernelINS0_13select_configILj256ELj13ELNS0_17block_load_methodE3ELS4_3ELS4_3ELNS0_20block_scan_algorithmE0ELj4294967295EEENS1_25partition_config_selectorILNS1_17partition_subalgoE4EjNS0_10empty_typeEbEEZZNS1_14partition_implILS8_4ELb0ES6_15HIP_vector_typeIjLj2EENS0_17counting_iteratorIjlEEPS9_SG_NS0_5tupleIJPjSI_NS0_16reverse_iteratorISI_EEEEENSH_IJSG_SG_SG_EEES9_SI_JZNS1_25segmented_radix_sort_implINS0_14default_configELb0EPKiPiPKlPlN2at6native12_GLOBAL__N_18offset_tEEE10hipError_tPvRmT1_PNSt15iterator_traitsIS12_E10value_typeET2_T3_PNS13_IS18_E10value_typeET4_jRbjT5_S1E_jjP12ihipStream_tbEUljE_ZNSN_ISO_Lb0ESQ_SR_ST_SU_SY_EESZ_S10_S11_S12_S16_S17_S18_S1B_S1C_jS1D_jS1E_S1E_jjS1G_bEUljE0_EEESZ_S10_S11_S18_S1C_S1E_T6_T7_T9_mT8_S1G_bDpT10_ENKUlT_T0_E_clISt17integral_constantIbLb1EES1T_IbLb0EEEEDaS1P_S1Q_EUlS1P_E_NS1_11comp_targetILNS1_3genE10ELNS1_11target_archE1200ELNS1_3gpuE4ELNS1_3repE0EEENS1_30default_config_static_selectorELNS0_4arch9wavefront6targetE1EEEvS12_.kd
    .uniform_work_group_size: 1
    .uses_dynamic_stack: false
    .vgpr_count:     0
    .vgpr_spill_count: 0
    .wavefront_size: 64
  - .args:
      - .offset:         0
        .size:           176
        .value_kind:     by_value
    .group_segment_fixed_size: 0
    .kernarg_segment_align: 8
    .kernarg_segment_size: 176
    .language:       OpenCL C
    .language_version:
      - 2
      - 0
    .max_flat_workgroup_size: 256
    .name:           _ZN7rocprim17ROCPRIM_400000_NS6detail17trampoline_kernelINS0_13select_configILj256ELj13ELNS0_17block_load_methodE3ELS4_3ELS4_3ELNS0_20block_scan_algorithmE0ELj4294967295EEENS1_25partition_config_selectorILNS1_17partition_subalgoE4EjNS0_10empty_typeEbEEZZNS1_14partition_implILS8_4ELb0ES6_15HIP_vector_typeIjLj2EENS0_17counting_iteratorIjlEEPS9_SG_NS0_5tupleIJPjSI_NS0_16reverse_iteratorISI_EEEEENSH_IJSG_SG_SG_EEES9_SI_JZNS1_25segmented_radix_sort_implINS0_14default_configELb0EPKiPiPKlPlN2at6native12_GLOBAL__N_18offset_tEEE10hipError_tPvRmT1_PNSt15iterator_traitsIS12_E10value_typeET2_T3_PNS13_IS18_E10value_typeET4_jRbjT5_S1E_jjP12ihipStream_tbEUljE_ZNSN_ISO_Lb0ESQ_SR_ST_SU_SY_EESZ_S10_S11_S12_S16_S17_S18_S1B_S1C_jS1D_jS1E_S1E_jjS1G_bEUljE0_EEESZ_S10_S11_S18_S1C_S1E_T6_T7_T9_mT8_S1G_bDpT10_ENKUlT_T0_E_clISt17integral_constantIbLb1EES1T_IbLb0EEEEDaS1P_S1Q_EUlS1P_E_NS1_11comp_targetILNS1_3genE9ELNS1_11target_archE1100ELNS1_3gpuE3ELNS1_3repE0EEENS1_30default_config_static_selectorELNS0_4arch9wavefront6targetE1EEEvS12_
    .private_segment_fixed_size: 0
    .sgpr_count:     4
    .sgpr_spill_count: 0
    .symbol:         _ZN7rocprim17ROCPRIM_400000_NS6detail17trampoline_kernelINS0_13select_configILj256ELj13ELNS0_17block_load_methodE3ELS4_3ELS4_3ELNS0_20block_scan_algorithmE0ELj4294967295EEENS1_25partition_config_selectorILNS1_17partition_subalgoE4EjNS0_10empty_typeEbEEZZNS1_14partition_implILS8_4ELb0ES6_15HIP_vector_typeIjLj2EENS0_17counting_iteratorIjlEEPS9_SG_NS0_5tupleIJPjSI_NS0_16reverse_iteratorISI_EEEEENSH_IJSG_SG_SG_EEES9_SI_JZNS1_25segmented_radix_sort_implINS0_14default_configELb0EPKiPiPKlPlN2at6native12_GLOBAL__N_18offset_tEEE10hipError_tPvRmT1_PNSt15iterator_traitsIS12_E10value_typeET2_T3_PNS13_IS18_E10value_typeET4_jRbjT5_S1E_jjP12ihipStream_tbEUljE_ZNSN_ISO_Lb0ESQ_SR_ST_SU_SY_EESZ_S10_S11_S12_S16_S17_S18_S1B_S1C_jS1D_jS1E_S1E_jjS1G_bEUljE0_EEESZ_S10_S11_S18_S1C_S1E_T6_T7_T9_mT8_S1G_bDpT10_ENKUlT_T0_E_clISt17integral_constantIbLb1EES1T_IbLb0EEEEDaS1P_S1Q_EUlS1P_E_NS1_11comp_targetILNS1_3genE9ELNS1_11target_archE1100ELNS1_3gpuE3ELNS1_3repE0EEENS1_30default_config_static_selectorELNS0_4arch9wavefront6targetE1EEEvS12_.kd
    .uniform_work_group_size: 1
    .uses_dynamic_stack: false
    .vgpr_count:     0
    .vgpr_spill_count: 0
    .wavefront_size: 64
  - .args:
      - .offset:         0
        .size:           176
        .value_kind:     by_value
    .group_segment_fixed_size: 0
    .kernarg_segment_align: 8
    .kernarg_segment_size: 176
    .language:       OpenCL C
    .language_version:
      - 2
      - 0
    .max_flat_workgroup_size: 256
    .name:           _ZN7rocprim17ROCPRIM_400000_NS6detail17trampoline_kernelINS0_13select_configILj256ELj13ELNS0_17block_load_methodE3ELS4_3ELS4_3ELNS0_20block_scan_algorithmE0ELj4294967295EEENS1_25partition_config_selectorILNS1_17partition_subalgoE4EjNS0_10empty_typeEbEEZZNS1_14partition_implILS8_4ELb0ES6_15HIP_vector_typeIjLj2EENS0_17counting_iteratorIjlEEPS9_SG_NS0_5tupleIJPjSI_NS0_16reverse_iteratorISI_EEEEENSH_IJSG_SG_SG_EEES9_SI_JZNS1_25segmented_radix_sort_implINS0_14default_configELb0EPKiPiPKlPlN2at6native12_GLOBAL__N_18offset_tEEE10hipError_tPvRmT1_PNSt15iterator_traitsIS12_E10value_typeET2_T3_PNS13_IS18_E10value_typeET4_jRbjT5_S1E_jjP12ihipStream_tbEUljE_ZNSN_ISO_Lb0ESQ_SR_ST_SU_SY_EESZ_S10_S11_S12_S16_S17_S18_S1B_S1C_jS1D_jS1E_S1E_jjS1G_bEUljE0_EEESZ_S10_S11_S18_S1C_S1E_T6_T7_T9_mT8_S1G_bDpT10_ENKUlT_T0_E_clISt17integral_constantIbLb1EES1T_IbLb0EEEEDaS1P_S1Q_EUlS1P_E_NS1_11comp_targetILNS1_3genE8ELNS1_11target_archE1030ELNS1_3gpuE2ELNS1_3repE0EEENS1_30default_config_static_selectorELNS0_4arch9wavefront6targetE1EEEvS12_
    .private_segment_fixed_size: 0
    .sgpr_count:     4
    .sgpr_spill_count: 0
    .symbol:         _ZN7rocprim17ROCPRIM_400000_NS6detail17trampoline_kernelINS0_13select_configILj256ELj13ELNS0_17block_load_methodE3ELS4_3ELS4_3ELNS0_20block_scan_algorithmE0ELj4294967295EEENS1_25partition_config_selectorILNS1_17partition_subalgoE4EjNS0_10empty_typeEbEEZZNS1_14partition_implILS8_4ELb0ES6_15HIP_vector_typeIjLj2EENS0_17counting_iteratorIjlEEPS9_SG_NS0_5tupleIJPjSI_NS0_16reverse_iteratorISI_EEEEENSH_IJSG_SG_SG_EEES9_SI_JZNS1_25segmented_radix_sort_implINS0_14default_configELb0EPKiPiPKlPlN2at6native12_GLOBAL__N_18offset_tEEE10hipError_tPvRmT1_PNSt15iterator_traitsIS12_E10value_typeET2_T3_PNS13_IS18_E10value_typeET4_jRbjT5_S1E_jjP12ihipStream_tbEUljE_ZNSN_ISO_Lb0ESQ_SR_ST_SU_SY_EESZ_S10_S11_S12_S16_S17_S18_S1B_S1C_jS1D_jS1E_S1E_jjS1G_bEUljE0_EEESZ_S10_S11_S18_S1C_S1E_T6_T7_T9_mT8_S1G_bDpT10_ENKUlT_T0_E_clISt17integral_constantIbLb1EES1T_IbLb0EEEEDaS1P_S1Q_EUlS1P_E_NS1_11comp_targetILNS1_3genE8ELNS1_11target_archE1030ELNS1_3gpuE2ELNS1_3repE0EEENS1_30default_config_static_selectorELNS0_4arch9wavefront6targetE1EEEvS12_.kd
    .uniform_work_group_size: 1
    .uses_dynamic_stack: false
    .vgpr_count:     0
    .vgpr_spill_count: 0
    .wavefront_size: 64
  - .args:
      - .offset:         0
        .size:           184
        .value_kind:     by_value
    .group_segment_fixed_size: 0
    .kernarg_segment_align: 8
    .kernarg_segment_size: 184
    .language:       OpenCL C
    .language_version:
      - 2
      - 0
    .max_flat_workgroup_size: 256
    .name:           _ZN7rocprim17ROCPRIM_400000_NS6detail17trampoline_kernelINS0_13select_configILj256ELj13ELNS0_17block_load_methodE3ELS4_3ELS4_3ELNS0_20block_scan_algorithmE0ELj4294967295EEENS1_25partition_config_selectorILNS1_17partition_subalgoE4EjNS0_10empty_typeEbEEZZNS1_14partition_implILS8_4ELb0ES6_15HIP_vector_typeIjLj2EENS0_17counting_iteratorIjlEEPS9_SG_NS0_5tupleIJPjSI_NS0_16reverse_iteratorISI_EEEEENSH_IJSG_SG_SG_EEES9_SI_JZNS1_25segmented_radix_sort_implINS0_14default_configELb0EPKiPiPKlPlN2at6native12_GLOBAL__N_18offset_tEEE10hipError_tPvRmT1_PNSt15iterator_traitsIS12_E10value_typeET2_T3_PNS13_IS18_E10value_typeET4_jRbjT5_S1E_jjP12ihipStream_tbEUljE_ZNSN_ISO_Lb0ESQ_SR_ST_SU_SY_EESZ_S10_S11_S12_S16_S17_S18_S1B_S1C_jS1D_jS1E_S1E_jjS1G_bEUljE0_EEESZ_S10_S11_S18_S1C_S1E_T6_T7_T9_mT8_S1G_bDpT10_ENKUlT_T0_E_clISt17integral_constantIbLb0EES1T_IbLb1EEEEDaS1P_S1Q_EUlS1P_E_NS1_11comp_targetILNS1_3genE0ELNS1_11target_archE4294967295ELNS1_3gpuE0ELNS1_3repE0EEENS1_30default_config_static_selectorELNS0_4arch9wavefront6targetE1EEEvS12_
    .private_segment_fixed_size: 0
    .sgpr_count:     4
    .sgpr_spill_count: 0
    .symbol:         _ZN7rocprim17ROCPRIM_400000_NS6detail17trampoline_kernelINS0_13select_configILj256ELj13ELNS0_17block_load_methodE3ELS4_3ELS4_3ELNS0_20block_scan_algorithmE0ELj4294967295EEENS1_25partition_config_selectorILNS1_17partition_subalgoE4EjNS0_10empty_typeEbEEZZNS1_14partition_implILS8_4ELb0ES6_15HIP_vector_typeIjLj2EENS0_17counting_iteratorIjlEEPS9_SG_NS0_5tupleIJPjSI_NS0_16reverse_iteratorISI_EEEEENSH_IJSG_SG_SG_EEES9_SI_JZNS1_25segmented_radix_sort_implINS0_14default_configELb0EPKiPiPKlPlN2at6native12_GLOBAL__N_18offset_tEEE10hipError_tPvRmT1_PNSt15iterator_traitsIS12_E10value_typeET2_T3_PNS13_IS18_E10value_typeET4_jRbjT5_S1E_jjP12ihipStream_tbEUljE_ZNSN_ISO_Lb0ESQ_SR_ST_SU_SY_EESZ_S10_S11_S12_S16_S17_S18_S1B_S1C_jS1D_jS1E_S1E_jjS1G_bEUljE0_EEESZ_S10_S11_S18_S1C_S1E_T6_T7_T9_mT8_S1G_bDpT10_ENKUlT_T0_E_clISt17integral_constantIbLb0EES1T_IbLb1EEEEDaS1P_S1Q_EUlS1P_E_NS1_11comp_targetILNS1_3genE0ELNS1_11target_archE4294967295ELNS1_3gpuE0ELNS1_3repE0EEENS1_30default_config_static_selectorELNS0_4arch9wavefront6targetE1EEEvS12_.kd
    .uniform_work_group_size: 1
    .uses_dynamic_stack: false
    .vgpr_count:     0
    .vgpr_spill_count: 0
    .wavefront_size: 64
  - .args:
      - .offset:         0
        .size:           184
        .value_kind:     by_value
    .group_segment_fixed_size: 0
    .kernarg_segment_align: 8
    .kernarg_segment_size: 184
    .language:       OpenCL C
    .language_version:
      - 2
      - 0
    .max_flat_workgroup_size: 256
    .name:           _ZN7rocprim17ROCPRIM_400000_NS6detail17trampoline_kernelINS0_13select_configILj256ELj13ELNS0_17block_load_methodE3ELS4_3ELS4_3ELNS0_20block_scan_algorithmE0ELj4294967295EEENS1_25partition_config_selectorILNS1_17partition_subalgoE4EjNS0_10empty_typeEbEEZZNS1_14partition_implILS8_4ELb0ES6_15HIP_vector_typeIjLj2EENS0_17counting_iteratorIjlEEPS9_SG_NS0_5tupleIJPjSI_NS0_16reverse_iteratorISI_EEEEENSH_IJSG_SG_SG_EEES9_SI_JZNS1_25segmented_radix_sort_implINS0_14default_configELb0EPKiPiPKlPlN2at6native12_GLOBAL__N_18offset_tEEE10hipError_tPvRmT1_PNSt15iterator_traitsIS12_E10value_typeET2_T3_PNS13_IS18_E10value_typeET4_jRbjT5_S1E_jjP12ihipStream_tbEUljE_ZNSN_ISO_Lb0ESQ_SR_ST_SU_SY_EESZ_S10_S11_S12_S16_S17_S18_S1B_S1C_jS1D_jS1E_S1E_jjS1G_bEUljE0_EEESZ_S10_S11_S18_S1C_S1E_T6_T7_T9_mT8_S1G_bDpT10_ENKUlT_T0_E_clISt17integral_constantIbLb0EES1T_IbLb1EEEEDaS1P_S1Q_EUlS1P_E_NS1_11comp_targetILNS1_3genE5ELNS1_11target_archE942ELNS1_3gpuE9ELNS1_3repE0EEENS1_30default_config_static_selectorELNS0_4arch9wavefront6targetE1EEEvS12_
    .private_segment_fixed_size: 0
    .sgpr_count:     4
    .sgpr_spill_count: 0
    .symbol:         _ZN7rocprim17ROCPRIM_400000_NS6detail17trampoline_kernelINS0_13select_configILj256ELj13ELNS0_17block_load_methodE3ELS4_3ELS4_3ELNS0_20block_scan_algorithmE0ELj4294967295EEENS1_25partition_config_selectorILNS1_17partition_subalgoE4EjNS0_10empty_typeEbEEZZNS1_14partition_implILS8_4ELb0ES6_15HIP_vector_typeIjLj2EENS0_17counting_iteratorIjlEEPS9_SG_NS0_5tupleIJPjSI_NS0_16reverse_iteratorISI_EEEEENSH_IJSG_SG_SG_EEES9_SI_JZNS1_25segmented_radix_sort_implINS0_14default_configELb0EPKiPiPKlPlN2at6native12_GLOBAL__N_18offset_tEEE10hipError_tPvRmT1_PNSt15iterator_traitsIS12_E10value_typeET2_T3_PNS13_IS18_E10value_typeET4_jRbjT5_S1E_jjP12ihipStream_tbEUljE_ZNSN_ISO_Lb0ESQ_SR_ST_SU_SY_EESZ_S10_S11_S12_S16_S17_S18_S1B_S1C_jS1D_jS1E_S1E_jjS1G_bEUljE0_EEESZ_S10_S11_S18_S1C_S1E_T6_T7_T9_mT8_S1G_bDpT10_ENKUlT_T0_E_clISt17integral_constantIbLb0EES1T_IbLb1EEEEDaS1P_S1Q_EUlS1P_E_NS1_11comp_targetILNS1_3genE5ELNS1_11target_archE942ELNS1_3gpuE9ELNS1_3repE0EEENS1_30default_config_static_selectorELNS0_4arch9wavefront6targetE1EEEvS12_.kd
    .uniform_work_group_size: 1
    .uses_dynamic_stack: false
    .vgpr_count:     0
    .vgpr_spill_count: 0
    .wavefront_size: 64
  - .args:
      - .offset:         0
        .size:           184
        .value_kind:     by_value
    .group_segment_fixed_size: 0
    .kernarg_segment_align: 8
    .kernarg_segment_size: 184
    .language:       OpenCL C
    .language_version:
      - 2
      - 0
    .max_flat_workgroup_size: 256
    .name:           _ZN7rocprim17ROCPRIM_400000_NS6detail17trampoline_kernelINS0_13select_configILj256ELj13ELNS0_17block_load_methodE3ELS4_3ELS4_3ELNS0_20block_scan_algorithmE0ELj4294967295EEENS1_25partition_config_selectorILNS1_17partition_subalgoE4EjNS0_10empty_typeEbEEZZNS1_14partition_implILS8_4ELb0ES6_15HIP_vector_typeIjLj2EENS0_17counting_iteratorIjlEEPS9_SG_NS0_5tupleIJPjSI_NS0_16reverse_iteratorISI_EEEEENSH_IJSG_SG_SG_EEES9_SI_JZNS1_25segmented_radix_sort_implINS0_14default_configELb0EPKiPiPKlPlN2at6native12_GLOBAL__N_18offset_tEEE10hipError_tPvRmT1_PNSt15iterator_traitsIS12_E10value_typeET2_T3_PNS13_IS18_E10value_typeET4_jRbjT5_S1E_jjP12ihipStream_tbEUljE_ZNSN_ISO_Lb0ESQ_SR_ST_SU_SY_EESZ_S10_S11_S12_S16_S17_S18_S1B_S1C_jS1D_jS1E_S1E_jjS1G_bEUljE0_EEESZ_S10_S11_S18_S1C_S1E_T6_T7_T9_mT8_S1G_bDpT10_ENKUlT_T0_E_clISt17integral_constantIbLb0EES1T_IbLb1EEEEDaS1P_S1Q_EUlS1P_E_NS1_11comp_targetILNS1_3genE4ELNS1_11target_archE910ELNS1_3gpuE8ELNS1_3repE0EEENS1_30default_config_static_selectorELNS0_4arch9wavefront6targetE1EEEvS12_
    .private_segment_fixed_size: 0
    .sgpr_count:     4
    .sgpr_spill_count: 0
    .symbol:         _ZN7rocprim17ROCPRIM_400000_NS6detail17trampoline_kernelINS0_13select_configILj256ELj13ELNS0_17block_load_methodE3ELS4_3ELS4_3ELNS0_20block_scan_algorithmE0ELj4294967295EEENS1_25partition_config_selectorILNS1_17partition_subalgoE4EjNS0_10empty_typeEbEEZZNS1_14partition_implILS8_4ELb0ES6_15HIP_vector_typeIjLj2EENS0_17counting_iteratorIjlEEPS9_SG_NS0_5tupleIJPjSI_NS0_16reverse_iteratorISI_EEEEENSH_IJSG_SG_SG_EEES9_SI_JZNS1_25segmented_radix_sort_implINS0_14default_configELb0EPKiPiPKlPlN2at6native12_GLOBAL__N_18offset_tEEE10hipError_tPvRmT1_PNSt15iterator_traitsIS12_E10value_typeET2_T3_PNS13_IS18_E10value_typeET4_jRbjT5_S1E_jjP12ihipStream_tbEUljE_ZNSN_ISO_Lb0ESQ_SR_ST_SU_SY_EESZ_S10_S11_S12_S16_S17_S18_S1B_S1C_jS1D_jS1E_S1E_jjS1G_bEUljE0_EEESZ_S10_S11_S18_S1C_S1E_T6_T7_T9_mT8_S1G_bDpT10_ENKUlT_T0_E_clISt17integral_constantIbLb0EES1T_IbLb1EEEEDaS1P_S1Q_EUlS1P_E_NS1_11comp_targetILNS1_3genE4ELNS1_11target_archE910ELNS1_3gpuE8ELNS1_3repE0EEENS1_30default_config_static_selectorELNS0_4arch9wavefront6targetE1EEEvS12_.kd
    .uniform_work_group_size: 1
    .uses_dynamic_stack: false
    .vgpr_count:     0
    .vgpr_spill_count: 0
    .wavefront_size: 64
  - .args:
      - .offset:         0
        .size:           184
        .value_kind:     by_value
    .group_segment_fixed_size: 0
    .kernarg_segment_align: 8
    .kernarg_segment_size: 184
    .language:       OpenCL C
    .language_version:
      - 2
      - 0
    .max_flat_workgroup_size: 256
    .name:           _ZN7rocprim17ROCPRIM_400000_NS6detail17trampoline_kernelINS0_13select_configILj256ELj13ELNS0_17block_load_methodE3ELS4_3ELS4_3ELNS0_20block_scan_algorithmE0ELj4294967295EEENS1_25partition_config_selectorILNS1_17partition_subalgoE4EjNS0_10empty_typeEbEEZZNS1_14partition_implILS8_4ELb0ES6_15HIP_vector_typeIjLj2EENS0_17counting_iteratorIjlEEPS9_SG_NS0_5tupleIJPjSI_NS0_16reverse_iteratorISI_EEEEENSH_IJSG_SG_SG_EEES9_SI_JZNS1_25segmented_radix_sort_implINS0_14default_configELb0EPKiPiPKlPlN2at6native12_GLOBAL__N_18offset_tEEE10hipError_tPvRmT1_PNSt15iterator_traitsIS12_E10value_typeET2_T3_PNS13_IS18_E10value_typeET4_jRbjT5_S1E_jjP12ihipStream_tbEUljE_ZNSN_ISO_Lb0ESQ_SR_ST_SU_SY_EESZ_S10_S11_S12_S16_S17_S18_S1B_S1C_jS1D_jS1E_S1E_jjS1G_bEUljE0_EEESZ_S10_S11_S18_S1C_S1E_T6_T7_T9_mT8_S1G_bDpT10_ENKUlT_T0_E_clISt17integral_constantIbLb0EES1T_IbLb1EEEEDaS1P_S1Q_EUlS1P_E_NS1_11comp_targetILNS1_3genE3ELNS1_11target_archE908ELNS1_3gpuE7ELNS1_3repE0EEENS1_30default_config_static_selectorELNS0_4arch9wavefront6targetE1EEEvS12_
    .private_segment_fixed_size: 0
    .sgpr_count:     4
    .sgpr_spill_count: 0
    .symbol:         _ZN7rocprim17ROCPRIM_400000_NS6detail17trampoline_kernelINS0_13select_configILj256ELj13ELNS0_17block_load_methodE3ELS4_3ELS4_3ELNS0_20block_scan_algorithmE0ELj4294967295EEENS1_25partition_config_selectorILNS1_17partition_subalgoE4EjNS0_10empty_typeEbEEZZNS1_14partition_implILS8_4ELb0ES6_15HIP_vector_typeIjLj2EENS0_17counting_iteratorIjlEEPS9_SG_NS0_5tupleIJPjSI_NS0_16reverse_iteratorISI_EEEEENSH_IJSG_SG_SG_EEES9_SI_JZNS1_25segmented_radix_sort_implINS0_14default_configELb0EPKiPiPKlPlN2at6native12_GLOBAL__N_18offset_tEEE10hipError_tPvRmT1_PNSt15iterator_traitsIS12_E10value_typeET2_T3_PNS13_IS18_E10value_typeET4_jRbjT5_S1E_jjP12ihipStream_tbEUljE_ZNSN_ISO_Lb0ESQ_SR_ST_SU_SY_EESZ_S10_S11_S12_S16_S17_S18_S1B_S1C_jS1D_jS1E_S1E_jjS1G_bEUljE0_EEESZ_S10_S11_S18_S1C_S1E_T6_T7_T9_mT8_S1G_bDpT10_ENKUlT_T0_E_clISt17integral_constantIbLb0EES1T_IbLb1EEEEDaS1P_S1Q_EUlS1P_E_NS1_11comp_targetILNS1_3genE3ELNS1_11target_archE908ELNS1_3gpuE7ELNS1_3repE0EEENS1_30default_config_static_selectorELNS0_4arch9wavefront6targetE1EEEvS12_.kd
    .uniform_work_group_size: 1
    .uses_dynamic_stack: false
    .vgpr_count:     0
    .vgpr_spill_count: 0
    .wavefront_size: 64
  - .args:
      - .offset:         0
        .size:           184
        .value_kind:     by_value
    .group_segment_fixed_size: 13328
    .kernarg_segment_align: 8
    .kernarg_segment_size: 184
    .language:       OpenCL C
    .language_version:
      - 2
      - 0
    .max_flat_workgroup_size: 256
    .name:           _ZN7rocprim17ROCPRIM_400000_NS6detail17trampoline_kernelINS0_13select_configILj256ELj13ELNS0_17block_load_methodE3ELS4_3ELS4_3ELNS0_20block_scan_algorithmE0ELj4294967295EEENS1_25partition_config_selectorILNS1_17partition_subalgoE4EjNS0_10empty_typeEbEEZZNS1_14partition_implILS8_4ELb0ES6_15HIP_vector_typeIjLj2EENS0_17counting_iteratorIjlEEPS9_SG_NS0_5tupleIJPjSI_NS0_16reverse_iteratorISI_EEEEENSH_IJSG_SG_SG_EEES9_SI_JZNS1_25segmented_radix_sort_implINS0_14default_configELb0EPKiPiPKlPlN2at6native12_GLOBAL__N_18offset_tEEE10hipError_tPvRmT1_PNSt15iterator_traitsIS12_E10value_typeET2_T3_PNS13_IS18_E10value_typeET4_jRbjT5_S1E_jjP12ihipStream_tbEUljE_ZNSN_ISO_Lb0ESQ_SR_ST_SU_SY_EESZ_S10_S11_S12_S16_S17_S18_S1B_S1C_jS1D_jS1E_S1E_jjS1G_bEUljE0_EEESZ_S10_S11_S18_S1C_S1E_T6_T7_T9_mT8_S1G_bDpT10_ENKUlT_T0_E_clISt17integral_constantIbLb0EES1T_IbLb1EEEEDaS1P_S1Q_EUlS1P_E_NS1_11comp_targetILNS1_3genE2ELNS1_11target_archE906ELNS1_3gpuE6ELNS1_3repE0EEENS1_30default_config_static_selectorELNS0_4arch9wavefront6targetE1EEEvS12_
    .private_segment_fixed_size: 0
    .sgpr_count:     91
    .sgpr_spill_count: 0
    .symbol:         _ZN7rocprim17ROCPRIM_400000_NS6detail17trampoline_kernelINS0_13select_configILj256ELj13ELNS0_17block_load_methodE3ELS4_3ELS4_3ELNS0_20block_scan_algorithmE0ELj4294967295EEENS1_25partition_config_selectorILNS1_17partition_subalgoE4EjNS0_10empty_typeEbEEZZNS1_14partition_implILS8_4ELb0ES6_15HIP_vector_typeIjLj2EENS0_17counting_iteratorIjlEEPS9_SG_NS0_5tupleIJPjSI_NS0_16reverse_iteratorISI_EEEEENSH_IJSG_SG_SG_EEES9_SI_JZNS1_25segmented_radix_sort_implINS0_14default_configELb0EPKiPiPKlPlN2at6native12_GLOBAL__N_18offset_tEEE10hipError_tPvRmT1_PNSt15iterator_traitsIS12_E10value_typeET2_T3_PNS13_IS18_E10value_typeET4_jRbjT5_S1E_jjP12ihipStream_tbEUljE_ZNSN_ISO_Lb0ESQ_SR_ST_SU_SY_EESZ_S10_S11_S12_S16_S17_S18_S1B_S1C_jS1D_jS1E_S1E_jjS1G_bEUljE0_EEESZ_S10_S11_S18_S1C_S1E_T6_T7_T9_mT8_S1G_bDpT10_ENKUlT_T0_E_clISt17integral_constantIbLb0EES1T_IbLb1EEEEDaS1P_S1Q_EUlS1P_E_NS1_11comp_targetILNS1_3genE2ELNS1_11target_archE906ELNS1_3gpuE6ELNS1_3repE0EEENS1_30default_config_static_selectorELNS0_4arch9wavefront6targetE1EEEvS12_.kd
    .uniform_work_group_size: 1
    .uses_dynamic_stack: false
    .vgpr_count:     91
    .vgpr_spill_count: 0
    .wavefront_size: 64
  - .args:
      - .offset:         0
        .size:           184
        .value_kind:     by_value
    .group_segment_fixed_size: 0
    .kernarg_segment_align: 8
    .kernarg_segment_size: 184
    .language:       OpenCL C
    .language_version:
      - 2
      - 0
    .max_flat_workgroup_size: 256
    .name:           _ZN7rocprim17ROCPRIM_400000_NS6detail17trampoline_kernelINS0_13select_configILj256ELj13ELNS0_17block_load_methodE3ELS4_3ELS4_3ELNS0_20block_scan_algorithmE0ELj4294967295EEENS1_25partition_config_selectorILNS1_17partition_subalgoE4EjNS0_10empty_typeEbEEZZNS1_14partition_implILS8_4ELb0ES6_15HIP_vector_typeIjLj2EENS0_17counting_iteratorIjlEEPS9_SG_NS0_5tupleIJPjSI_NS0_16reverse_iteratorISI_EEEEENSH_IJSG_SG_SG_EEES9_SI_JZNS1_25segmented_radix_sort_implINS0_14default_configELb0EPKiPiPKlPlN2at6native12_GLOBAL__N_18offset_tEEE10hipError_tPvRmT1_PNSt15iterator_traitsIS12_E10value_typeET2_T3_PNS13_IS18_E10value_typeET4_jRbjT5_S1E_jjP12ihipStream_tbEUljE_ZNSN_ISO_Lb0ESQ_SR_ST_SU_SY_EESZ_S10_S11_S12_S16_S17_S18_S1B_S1C_jS1D_jS1E_S1E_jjS1G_bEUljE0_EEESZ_S10_S11_S18_S1C_S1E_T6_T7_T9_mT8_S1G_bDpT10_ENKUlT_T0_E_clISt17integral_constantIbLb0EES1T_IbLb1EEEEDaS1P_S1Q_EUlS1P_E_NS1_11comp_targetILNS1_3genE10ELNS1_11target_archE1200ELNS1_3gpuE4ELNS1_3repE0EEENS1_30default_config_static_selectorELNS0_4arch9wavefront6targetE1EEEvS12_
    .private_segment_fixed_size: 0
    .sgpr_count:     4
    .sgpr_spill_count: 0
    .symbol:         _ZN7rocprim17ROCPRIM_400000_NS6detail17trampoline_kernelINS0_13select_configILj256ELj13ELNS0_17block_load_methodE3ELS4_3ELS4_3ELNS0_20block_scan_algorithmE0ELj4294967295EEENS1_25partition_config_selectorILNS1_17partition_subalgoE4EjNS0_10empty_typeEbEEZZNS1_14partition_implILS8_4ELb0ES6_15HIP_vector_typeIjLj2EENS0_17counting_iteratorIjlEEPS9_SG_NS0_5tupleIJPjSI_NS0_16reverse_iteratorISI_EEEEENSH_IJSG_SG_SG_EEES9_SI_JZNS1_25segmented_radix_sort_implINS0_14default_configELb0EPKiPiPKlPlN2at6native12_GLOBAL__N_18offset_tEEE10hipError_tPvRmT1_PNSt15iterator_traitsIS12_E10value_typeET2_T3_PNS13_IS18_E10value_typeET4_jRbjT5_S1E_jjP12ihipStream_tbEUljE_ZNSN_ISO_Lb0ESQ_SR_ST_SU_SY_EESZ_S10_S11_S12_S16_S17_S18_S1B_S1C_jS1D_jS1E_S1E_jjS1G_bEUljE0_EEESZ_S10_S11_S18_S1C_S1E_T6_T7_T9_mT8_S1G_bDpT10_ENKUlT_T0_E_clISt17integral_constantIbLb0EES1T_IbLb1EEEEDaS1P_S1Q_EUlS1P_E_NS1_11comp_targetILNS1_3genE10ELNS1_11target_archE1200ELNS1_3gpuE4ELNS1_3repE0EEENS1_30default_config_static_selectorELNS0_4arch9wavefront6targetE1EEEvS12_.kd
    .uniform_work_group_size: 1
    .uses_dynamic_stack: false
    .vgpr_count:     0
    .vgpr_spill_count: 0
    .wavefront_size: 64
  - .args:
      - .offset:         0
        .size:           184
        .value_kind:     by_value
    .group_segment_fixed_size: 0
    .kernarg_segment_align: 8
    .kernarg_segment_size: 184
    .language:       OpenCL C
    .language_version:
      - 2
      - 0
    .max_flat_workgroup_size: 256
    .name:           _ZN7rocprim17ROCPRIM_400000_NS6detail17trampoline_kernelINS0_13select_configILj256ELj13ELNS0_17block_load_methodE3ELS4_3ELS4_3ELNS0_20block_scan_algorithmE0ELj4294967295EEENS1_25partition_config_selectorILNS1_17partition_subalgoE4EjNS0_10empty_typeEbEEZZNS1_14partition_implILS8_4ELb0ES6_15HIP_vector_typeIjLj2EENS0_17counting_iteratorIjlEEPS9_SG_NS0_5tupleIJPjSI_NS0_16reverse_iteratorISI_EEEEENSH_IJSG_SG_SG_EEES9_SI_JZNS1_25segmented_radix_sort_implINS0_14default_configELb0EPKiPiPKlPlN2at6native12_GLOBAL__N_18offset_tEEE10hipError_tPvRmT1_PNSt15iterator_traitsIS12_E10value_typeET2_T3_PNS13_IS18_E10value_typeET4_jRbjT5_S1E_jjP12ihipStream_tbEUljE_ZNSN_ISO_Lb0ESQ_SR_ST_SU_SY_EESZ_S10_S11_S12_S16_S17_S18_S1B_S1C_jS1D_jS1E_S1E_jjS1G_bEUljE0_EEESZ_S10_S11_S18_S1C_S1E_T6_T7_T9_mT8_S1G_bDpT10_ENKUlT_T0_E_clISt17integral_constantIbLb0EES1T_IbLb1EEEEDaS1P_S1Q_EUlS1P_E_NS1_11comp_targetILNS1_3genE9ELNS1_11target_archE1100ELNS1_3gpuE3ELNS1_3repE0EEENS1_30default_config_static_selectorELNS0_4arch9wavefront6targetE1EEEvS12_
    .private_segment_fixed_size: 0
    .sgpr_count:     4
    .sgpr_spill_count: 0
    .symbol:         _ZN7rocprim17ROCPRIM_400000_NS6detail17trampoline_kernelINS0_13select_configILj256ELj13ELNS0_17block_load_methodE3ELS4_3ELS4_3ELNS0_20block_scan_algorithmE0ELj4294967295EEENS1_25partition_config_selectorILNS1_17partition_subalgoE4EjNS0_10empty_typeEbEEZZNS1_14partition_implILS8_4ELb0ES6_15HIP_vector_typeIjLj2EENS0_17counting_iteratorIjlEEPS9_SG_NS0_5tupleIJPjSI_NS0_16reverse_iteratorISI_EEEEENSH_IJSG_SG_SG_EEES9_SI_JZNS1_25segmented_radix_sort_implINS0_14default_configELb0EPKiPiPKlPlN2at6native12_GLOBAL__N_18offset_tEEE10hipError_tPvRmT1_PNSt15iterator_traitsIS12_E10value_typeET2_T3_PNS13_IS18_E10value_typeET4_jRbjT5_S1E_jjP12ihipStream_tbEUljE_ZNSN_ISO_Lb0ESQ_SR_ST_SU_SY_EESZ_S10_S11_S12_S16_S17_S18_S1B_S1C_jS1D_jS1E_S1E_jjS1G_bEUljE0_EEESZ_S10_S11_S18_S1C_S1E_T6_T7_T9_mT8_S1G_bDpT10_ENKUlT_T0_E_clISt17integral_constantIbLb0EES1T_IbLb1EEEEDaS1P_S1Q_EUlS1P_E_NS1_11comp_targetILNS1_3genE9ELNS1_11target_archE1100ELNS1_3gpuE3ELNS1_3repE0EEENS1_30default_config_static_selectorELNS0_4arch9wavefront6targetE1EEEvS12_.kd
    .uniform_work_group_size: 1
    .uses_dynamic_stack: false
    .vgpr_count:     0
    .vgpr_spill_count: 0
    .wavefront_size: 64
  - .args:
      - .offset:         0
        .size:           184
        .value_kind:     by_value
    .group_segment_fixed_size: 0
    .kernarg_segment_align: 8
    .kernarg_segment_size: 184
    .language:       OpenCL C
    .language_version:
      - 2
      - 0
    .max_flat_workgroup_size: 256
    .name:           _ZN7rocprim17ROCPRIM_400000_NS6detail17trampoline_kernelINS0_13select_configILj256ELj13ELNS0_17block_load_methodE3ELS4_3ELS4_3ELNS0_20block_scan_algorithmE0ELj4294967295EEENS1_25partition_config_selectorILNS1_17partition_subalgoE4EjNS0_10empty_typeEbEEZZNS1_14partition_implILS8_4ELb0ES6_15HIP_vector_typeIjLj2EENS0_17counting_iteratorIjlEEPS9_SG_NS0_5tupleIJPjSI_NS0_16reverse_iteratorISI_EEEEENSH_IJSG_SG_SG_EEES9_SI_JZNS1_25segmented_radix_sort_implINS0_14default_configELb0EPKiPiPKlPlN2at6native12_GLOBAL__N_18offset_tEEE10hipError_tPvRmT1_PNSt15iterator_traitsIS12_E10value_typeET2_T3_PNS13_IS18_E10value_typeET4_jRbjT5_S1E_jjP12ihipStream_tbEUljE_ZNSN_ISO_Lb0ESQ_SR_ST_SU_SY_EESZ_S10_S11_S12_S16_S17_S18_S1B_S1C_jS1D_jS1E_S1E_jjS1G_bEUljE0_EEESZ_S10_S11_S18_S1C_S1E_T6_T7_T9_mT8_S1G_bDpT10_ENKUlT_T0_E_clISt17integral_constantIbLb0EES1T_IbLb1EEEEDaS1P_S1Q_EUlS1P_E_NS1_11comp_targetILNS1_3genE8ELNS1_11target_archE1030ELNS1_3gpuE2ELNS1_3repE0EEENS1_30default_config_static_selectorELNS0_4arch9wavefront6targetE1EEEvS12_
    .private_segment_fixed_size: 0
    .sgpr_count:     4
    .sgpr_spill_count: 0
    .symbol:         _ZN7rocprim17ROCPRIM_400000_NS6detail17trampoline_kernelINS0_13select_configILj256ELj13ELNS0_17block_load_methodE3ELS4_3ELS4_3ELNS0_20block_scan_algorithmE0ELj4294967295EEENS1_25partition_config_selectorILNS1_17partition_subalgoE4EjNS0_10empty_typeEbEEZZNS1_14partition_implILS8_4ELb0ES6_15HIP_vector_typeIjLj2EENS0_17counting_iteratorIjlEEPS9_SG_NS0_5tupleIJPjSI_NS0_16reverse_iteratorISI_EEEEENSH_IJSG_SG_SG_EEES9_SI_JZNS1_25segmented_radix_sort_implINS0_14default_configELb0EPKiPiPKlPlN2at6native12_GLOBAL__N_18offset_tEEE10hipError_tPvRmT1_PNSt15iterator_traitsIS12_E10value_typeET2_T3_PNS13_IS18_E10value_typeET4_jRbjT5_S1E_jjP12ihipStream_tbEUljE_ZNSN_ISO_Lb0ESQ_SR_ST_SU_SY_EESZ_S10_S11_S12_S16_S17_S18_S1B_S1C_jS1D_jS1E_S1E_jjS1G_bEUljE0_EEESZ_S10_S11_S18_S1C_S1E_T6_T7_T9_mT8_S1G_bDpT10_ENKUlT_T0_E_clISt17integral_constantIbLb0EES1T_IbLb1EEEEDaS1P_S1Q_EUlS1P_E_NS1_11comp_targetILNS1_3genE8ELNS1_11target_archE1030ELNS1_3gpuE2ELNS1_3repE0EEENS1_30default_config_static_selectorELNS0_4arch9wavefront6targetE1EEEvS12_.kd
    .uniform_work_group_size: 1
    .uses_dynamic_stack: false
    .vgpr_count:     0
    .vgpr_spill_count: 0
    .wavefront_size: 64
  - .args:
      - .offset:         0
        .size:           144
        .value_kind:     by_value
    .group_segment_fixed_size: 0
    .kernarg_segment_align: 8
    .kernarg_segment_size: 144
    .language:       OpenCL C
    .language_version:
      - 2
      - 0
    .max_flat_workgroup_size: 256
    .name:           _ZN7rocprim17ROCPRIM_400000_NS6detail17trampoline_kernelINS0_13select_configILj256ELj13ELNS0_17block_load_methodE3ELS4_3ELS4_3ELNS0_20block_scan_algorithmE0ELj4294967295EEENS1_25partition_config_selectorILNS1_17partition_subalgoE3EjNS0_10empty_typeEbEEZZNS1_14partition_implILS8_3ELb0ES6_jNS0_17counting_iteratorIjlEEPS9_SE_NS0_5tupleIJPjSE_EEENSF_IJSE_SE_EEES9_SG_JZNS1_25segmented_radix_sort_implINS0_14default_configELb0EPKiPiPKlPlN2at6native12_GLOBAL__N_18offset_tEEE10hipError_tPvRmT1_PNSt15iterator_traitsISY_E10value_typeET2_T3_PNSZ_IS14_E10value_typeET4_jRbjT5_S1A_jjP12ihipStream_tbEUljE_EEESV_SW_SX_S14_S18_S1A_T6_T7_T9_mT8_S1C_bDpT10_ENKUlT_T0_E_clISt17integral_constantIbLb0EES1P_EEDaS1K_S1L_EUlS1K_E_NS1_11comp_targetILNS1_3genE0ELNS1_11target_archE4294967295ELNS1_3gpuE0ELNS1_3repE0EEENS1_30default_config_static_selectorELNS0_4arch9wavefront6targetE1EEEvSY_
    .private_segment_fixed_size: 0
    .sgpr_count:     4
    .sgpr_spill_count: 0
    .symbol:         _ZN7rocprim17ROCPRIM_400000_NS6detail17trampoline_kernelINS0_13select_configILj256ELj13ELNS0_17block_load_methodE3ELS4_3ELS4_3ELNS0_20block_scan_algorithmE0ELj4294967295EEENS1_25partition_config_selectorILNS1_17partition_subalgoE3EjNS0_10empty_typeEbEEZZNS1_14partition_implILS8_3ELb0ES6_jNS0_17counting_iteratorIjlEEPS9_SE_NS0_5tupleIJPjSE_EEENSF_IJSE_SE_EEES9_SG_JZNS1_25segmented_radix_sort_implINS0_14default_configELb0EPKiPiPKlPlN2at6native12_GLOBAL__N_18offset_tEEE10hipError_tPvRmT1_PNSt15iterator_traitsISY_E10value_typeET2_T3_PNSZ_IS14_E10value_typeET4_jRbjT5_S1A_jjP12ihipStream_tbEUljE_EEESV_SW_SX_S14_S18_S1A_T6_T7_T9_mT8_S1C_bDpT10_ENKUlT_T0_E_clISt17integral_constantIbLb0EES1P_EEDaS1K_S1L_EUlS1K_E_NS1_11comp_targetILNS1_3genE0ELNS1_11target_archE4294967295ELNS1_3gpuE0ELNS1_3repE0EEENS1_30default_config_static_selectorELNS0_4arch9wavefront6targetE1EEEvSY_.kd
    .uniform_work_group_size: 1
    .uses_dynamic_stack: false
    .vgpr_count:     0
    .vgpr_spill_count: 0
    .wavefront_size: 64
  - .args:
      - .offset:         0
        .size:           144
        .value_kind:     by_value
    .group_segment_fixed_size: 0
    .kernarg_segment_align: 8
    .kernarg_segment_size: 144
    .language:       OpenCL C
    .language_version:
      - 2
      - 0
    .max_flat_workgroup_size: 256
    .name:           _ZN7rocprim17ROCPRIM_400000_NS6detail17trampoline_kernelINS0_13select_configILj256ELj13ELNS0_17block_load_methodE3ELS4_3ELS4_3ELNS0_20block_scan_algorithmE0ELj4294967295EEENS1_25partition_config_selectorILNS1_17partition_subalgoE3EjNS0_10empty_typeEbEEZZNS1_14partition_implILS8_3ELb0ES6_jNS0_17counting_iteratorIjlEEPS9_SE_NS0_5tupleIJPjSE_EEENSF_IJSE_SE_EEES9_SG_JZNS1_25segmented_radix_sort_implINS0_14default_configELb0EPKiPiPKlPlN2at6native12_GLOBAL__N_18offset_tEEE10hipError_tPvRmT1_PNSt15iterator_traitsISY_E10value_typeET2_T3_PNSZ_IS14_E10value_typeET4_jRbjT5_S1A_jjP12ihipStream_tbEUljE_EEESV_SW_SX_S14_S18_S1A_T6_T7_T9_mT8_S1C_bDpT10_ENKUlT_T0_E_clISt17integral_constantIbLb0EES1P_EEDaS1K_S1L_EUlS1K_E_NS1_11comp_targetILNS1_3genE5ELNS1_11target_archE942ELNS1_3gpuE9ELNS1_3repE0EEENS1_30default_config_static_selectorELNS0_4arch9wavefront6targetE1EEEvSY_
    .private_segment_fixed_size: 0
    .sgpr_count:     4
    .sgpr_spill_count: 0
    .symbol:         _ZN7rocprim17ROCPRIM_400000_NS6detail17trampoline_kernelINS0_13select_configILj256ELj13ELNS0_17block_load_methodE3ELS4_3ELS4_3ELNS0_20block_scan_algorithmE0ELj4294967295EEENS1_25partition_config_selectorILNS1_17partition_subalgoE3EjNS0_10empty_typeEbEEZZNS1_14partition_implILS8_3ELb0ES6_jNS0_17counting_iteratorIjlEEPS9_SE_NS0_5tupleIJPjSE_EEENSF_IJSE_SE_EEES9_SG_JZNS1_25segmented_radix_sort_implINS0_14default_configELb0EPKiPiPKlPlN2at6native12_GLOBAL__N_18offset_tEEE10hipError_tPvRmT1_PNSt15iterator_traitsISY_E10value_typeET2_T3_PNSZ_IS14_E10value_typeET4_jRbjT5_S1A_jjP12ihipStream_tbEUljE_EEESV_SW_SX_S14_S18_S1A_T6_T7_T9_mT8_S1C_bDpT10_ENKUlT_T0_E_clISt17integral_constantIbLb0EES1P_EEDaS1K_S1L_EUlS1K_E_NS1_11comp_targetILNS1_3genE5ELNS1_11target_archE942ELNS1_3gpuE9ELNS1_3repE0EEENS1_30default_config_static_selectorELNS0_4arch9wavefront6targetE1EEEvSY_.kd
    .uniform_work_group_size: 1
    .uses_dynamic_stack: false
    .vgpr_count:     0
    .vgpr_spill_count: 0
    .wavefront_size: 64
  - .args:
      - .offset:         0
        .size:           144
        .value_kind:     by_value
    .group_segment_fixed_size: 0
    .kernarg_segment_align: 8
    .kernarg_segment_size: 144
    .language:       OpenCL C
    .language_version:
      - 2
      - 0
    .max_flat_workgroup_size: 256
    .name:           _ZN7rocprim17ROCPRIM_400000_NS6detail17trampoline_kernelINS0_13select_configILj256ELj13ELNS0_17block_load_methodE3ELS4_3ELS4_3ELNS0_20block_scan_algorithmE0ELj4294967295EEENS1_25partition_config_selectorILNS1_17partition_subalgoE3EjNS0_10empty_typeEbEEZZNS1_14partition_implILS8_3ELb0ES6_jNS0_17counting_iteratorIjlEEPS9_SE_NS0_5tupleIJPjSE_EEENSF_IJSE_SE_EEES9_SG_JZNS1_25segmented_radix_sort_implINS0_14default_configELb0EPKiPiPKlPlN2at6native12_GLOBAL__N_18offset_tEEE10hipError_tPvRmT1_PNSt15iterator_traitsISY_E10value_typeET2_T3_PNSZ_IS14_E10value_typeET4_jRbjT5_S1A_jjP12ihipStream_tbEUljE_EEESV_SW_SX_S14_S18_S1A_T6_T7_T9_mT8_S1C_bDpT10_ENKUlT_T0_E_clISt17integral_constantIbLb0EES1P_EEDaS1K_S1L_EUlS1K_E_NS1_11comp_targetILNS1_3genE4ELNS1_11target_archE910ELNS1_3gpuE8ELNS1_3repE0EEENS1_30default_config_static_selectorELNS0_4arch9wavefront6targetE1EEEvSY_
    .private_segment_fixed_size: 0
    .sgpr_count:     4
    .sgpr_spill_count: 0
    .symbol:         _ZN7rocprim17ROCPRIM_400000_NS6detail17trampoline_kernelINS0_13select_configILj256ELj13ELNS0_17block_load_methodE3ELS4_3ELS4_3ELNS0_20block_scan_algorithmE0ELj4294967295EEENS1_25partition_config_selectorILNS1_17partition_subalgoE3EjNS0_10empty_typeEbEEZZNS1_14partition_implILS8_3ELb0ES6_jNS0_17counting_iteratorIjlEEPS9_SE_NS0_5tupleIJPjSE_EEENSF_IJSE_SE_EEES9_SG_JZNS1_25segmented_radix_sort_implINS0_14default_configELb0EPKiPiPKlPlN2at6native12_GLOBAL__N_18offset_tEEE10hipError_tPvRmT1_PNSt15iterator_traitsISY_E10value_typeET2_T3_PNSZ_IS14_E10value_typeET4_jRbjT5_S1A_jjP12ihipStream_tbEUljE_EEESV_SW_SX_S14_S18_S1A_T6_T7_T9_mT8_S1C_bDpT10_ENKUlT_T0_E_clISt17integral_constantIbLb0EES1P_EEDaS1K_S1L_EUlS1K_E_NS1_11comp_targetILNS1_3genE4ELNS1_11target_archE910ELNS1_3gpuE8ELNS1_3repE0EEENS1_30default_config_static_selectorELNS0_4arch9wavefront6targetE1EEEvSY_.kd
    .uniform_work_group_size: 1
    .uses_dynamic_stack: false
    .vgpr_count:     0
    .vgpr_spill_count: 0
    .wavefront_size: 64
  - .args:
      - .offset:         0
        .size:           144
        .value_kind:     by_value
    .group_segment_fixed_size: 0
    .kernarg_segment_align: 8
    .kernarg_segment_size: 144
    .language:       OpenCL C
    .language_version:
      - 2
      - 0
    .max_flat_workgroup_size: 256
    .name:           _ZN7rocprim17ROCPRIM_400000_NS6detail17trampoline_kernelINS0_13select_configILj256ELj13ELNS0_17block_load_methodE3ELS4_3ELS4_3ELNS0_20block_scan_algorithmE0ELj4294967295EEENS1_25partition_config_selectorILNS1_17partition_subalgoE3EjNS0_10empty_typeEbEEZZNS1_14partition_implILS8_3ELb0ES6_jNS0_17counting_iteratorIjlEEPS9_SE_NS0_5tupleIJPjSE_EEENSF_IJSE_SE_EEES9_SG_JZNS1_25segmented_radix_sort_implINS0_14default_configELb0EPKiPiPKlPlN2at6native12_GLOBAL__N_18offset_tEEE10hipError_tPvRmT1_PNSt15iterator_traitsISY_E10value_typeET2_T3_PNSZ_IS14_E10value_typeET4_jRbjT5_S1A_jjP12ihipStream_tbEUljE_EEESV_SW_SX_S14_S18_S1A_T6_T7_T9_mT8_S1C_bDpT10_ENKUlT_T0_E_clISt17integral_constantIbLb0EES1P_EEDaS1K_S1L_EUlS1K_E_NS1_11comp_targetILNS1_3genE3ELNS1_11target_archE908ELNS1_3gpuE7ELNS1_3repE0EEENS1_30default_config_static_selectorELNS0_4arch9wavefront6targetE1EEEvSY_
    .private_segment_fixed_size: 0
    .sgpr_count:     4
    .sgpr_spill_count: 0
    .symbol:         _ZN7rocprim17ROCPRIM_400000_NS6detail17trampoline_kernelINS0_13select_configILj256ELj13ELNS0_17block_load_methodE3ELS4_3ELS4_3ELNS0_20block_scan_algorithmE0ELj4294967295EEENS1_25partition_config_selectorILNS1_17partition_subalgoE3EjNS0_10empty_typeEbEEZZNS1_14partition_implILS8_3ELb0ES6_jNS0_17counting_iteratorIjlEEPS9_SE_NS0_5tupleIJPjSE_EEENSF_IJSE_SE_EEES9_SG_JZNS1_25segmented_radix_sort_implINS0_14default_configELb0EPKiPiPKlPlN2at6native12_GLOBAL__N_18offset_tEEE10hipError_tPvRmT1_PNSt15iterator_traitsISY_E10value_typeET2_T3_PNSZ_IS14_E10value_typeET4_jRbjT5_S1A_jjP12ihipStream_tbEUljE_EEESV_SW_SX_S14_S18_S1A_T6_T7_T9_mT8_S1C_bDpT10_ENKUlT_T0_E_clISt17integral_constantIbLb0EES1P_EEDaS1K_S1L_EUlS1K_E_NS1_11comp_targetILNS1_3genE3ELNS1_11target_archE908ELNS1_3gpuE7ELNS1_3repE0EEENS1_30default_config_static_selectorELNS0_4arch9wavefront6targetE1EEEvSY_.kd
    .uniform_work_group_size: 1
    .uses_dynamic_stack: false
    .vgpr_count:     0
    .vgpr_spill_count: 0
    .wavefront_size: 64
  - .args:
      - .offset:         0
        .size:           144
        .value_kind:     by_value
    .group_segment_fixed_size: 13320
    .kernarg_segment_align: 8
    .kernarg_segment_size: 144
    .language:       OpenCL C
    .language_version:
      - 2
      - 0
    .max_flat_workgroup_size: 256
    .name:           _ZN7rocprim17ROCPRIM_400000_NS6detail17trampoline_kernelINS0_13select_configILj256ELj13ELNS0_17block_load_methodE3ELS4_3ELS4_3ELNS0_20block_scan_algorithmE0ELj4294967295EEENS1_25partition_config_selectorILNS1_17partition_subalgoE3EjNS0_10empty_typeEbEEZZNS1_14partition_implILS8_3ELb0ES6_jNS0_17counting_iteratorIjlEEPS9_SE_NS0_5tupleIJPjSE_EEENSF_IJSE_SE_EEES9_SG_JZNS1_25segmented_radix_sort_implINS0_14default_configELb0EPKiPiPKlPlN2at6native12_GLOBAL__N_18offset_tEEE10hipError_tPvRmT1_PNSt15iterator_traitsISY_E10value_typeET2_T3_PNSZ_IS14_E10value_typeET4_jRbjT5_S1A_jjP12ihipStream_tbEUljE_EEESV_SW_SX_S14_S18_S1A_T6_T7_T9_mT8_S1C_bDpT10_ENKUlT_T0_E_clISt17integral_constantIbLb0EES1P_EEDaS1K_S1L_EUlS1K_E_NS1_11comp_targetILNS1_3genE2ELNS1_11target_archE906ELNS1_3gpuE6ELNS1_3repE0EEENS1_30default_config_static_selectorELNS0_4arch9wavefront6targetE1EEEvSY_
    .private_segment_fixed_size: 0
    .sgpr_count:     52
    .sgpr_spill_count: 0
    .symbol:         _ZN7rocprim17ROCPRIM_400000_NS6detail17trampoline_kernelINS0_13select_configILj256ELj13ELNS0_17block_load_methodE3ELS4_3ELS4_3ELNS0_20block_scan_algorithmE0ELj4294967295EEENS1_25partition_config_selectorILNS1_17partition_subalgoE3EjNS0_10empty_typeEbEEZZNS1_14partition_implILS8_3ELb0ES6_jNS0_17counting_iteratorIjlEEPS9_SE_NS0_5tupleIJPjSE_EEENSF_IJSE_SE_EEES9_SG_JZNS1_25segmented_radix_sort_implINS0_14default_configELb0EPKiPiPKlPlN2at6native12_GLOBAL__N_18offset_tEEE10hipError_tPvRmT1_PNSt15iterator_traitsISY_E10value_typeET2_T3_PNSZ_IS14_E10value_typeET4_jRbjT5_S1A_jjP12ihipStream_tbEUljE_EEESV_SW_SX_S14_S18_S1A_T6_T7_T9_mT8_S1C_bDpT10_ENKUlT_T0_E_clISt17integral_constantIbLb0EES1P_EEDaS1K_S1L_EUlS1K_E_NS1_11comp_targetILNS1_3genE2ELNS1_11target_archE906ELNS1_3gpuE6ELNS1_3repE0EEENS1_30default_config_static_selectorELNS0_4arch9wavefront6targetE1EEEvSY_.kd
    .uniform_work_group_size: 1
    .uses_dynamic_stack: false
    .vgpr_count:     69
    .vgpr_spill_count: 0
    .wavefront_size: 64
  - .args:
      - .offset:         0
        .size:           144
        .value_kind:     by_value
    .group_segment_fixed_size: 0
    .kernarg_segment_align: 8
    .kernarg_segment_size: 144
    .language:       OpenCL C
    .language_version:
      - 2
      - 0
    .max_flat_workgroup_size: 256
    .name:           _ZN7rocprim17ROCPRIM_400000_NS6detail17trampoline_kernelINS0_13select_configILj256ELj13ELNS0_17block_load_methodE3ELS4_3ELS4_3ELNS0_20block_scan_algorithmE0ELj4294967295EEENS1_25partition_config_selectorILNS1_17partition_subalgoE3EjNS0_10empty_typeEbEEZZNS1_14partition_implILS8_3ELb0ES6_jNS0_17counting_iteratorIjlEEPS9_SE_NS0_5tupleIJPjSE_EEENSF_IJSE_SE_EEES9_SG_JZNS1_25segmented_radix_sort_implINS0_14default_configELb0EPKiPiPKlPlN2at6native12_GLOBAL__N_18offset_tEEE10hipError_tPvRmT1_PNSt15iterator_traitsISY_E10value_typeET2_T3_PNSZ_IS14_E10value_typeET4_jRbjT5_S1A_jjP12ihipStream_tbEUljE_EEESV_SW_SX_S14_S18_S1A_T6_T7_T9_mT8_S1C_bDpT10_ENKUlT_T0_E_clISt17integral_constantIbLb0EES1P_EEDaS1K_S1L_EUlS1K_E_NS1_11comp_targetILNS1_3genE10ELNS1_11target_archE1200ELNS1_3gpuE4ELNS1_3repE0EEENS1_30default_config_static_selectorELNS0_4arch9wavefront6targetE1EEEvSY_
    .private_segment_fixed_size: 0
    .sgpr_count:     4
    .sgpr_spill_count: 0
    .symbol:         _ZN7rocprim17ROCPRIM_400000_NS6detail17trampoline_kernelINS0_13select_configILj256ELj13ELNS0_17block_load_methodE3ELS4_3ELS4_3ELNS0_20block_scan_algorithmE0ELj4294967295EEENS1_25partition_config_selectorILNS1_17partition_subalgoE3EjNS0_10empty_typeEbEEZZNS1_14partition_implILS8_3ELb0ES6_jNS0_17counting_iteratorIjlEEPS9_SE_NS0_5tupleIJPjSE_EEENSF_IJSE_SE_EEES9_SG_JZNS1_25segmented_radix_sort_implINS0_14default_configELb0EPKiPiPKlPlN2at6native12_GLOBAL__N_18offset_tEEE10hipError_tPvRmT1_PNSt15iterator_traitsISY_E10value_typeET2_T3_PNSZ_IS14_E10value_typeET4_jRbjT5_S1A_jjP12ihipStream_tbEUljE_EEESV_SW_SX_S14_S18_S1A_T6_T7_T9_mT8_S1C_bDpT10_ENKUlT_T0_E_clISt17integral_constantIbLb0EES1P_EEDaS1K_S1L_EUlS1K_E_NS1_11comp_targetILNS1_3genE10ELNS1_11target_archE1200ELNS1_3gpuE4ELNS1_3repE0EEENS1_30default_config_static_selectorELNS0_4arch9wavefront6targetE1EEEvSY_.kd
    .uniform_work_group_size: 1
    .uses_dynamic_stack: false
    .vgpr_count:     0
    .vgpr_spill_count: 0
    .wavefront_size: 64
  - .args:
      - .offset:         0
        .size:           144
        .value_kind:     by_value
    .group_segment_fixed_size: 0
    .kernarg_segment_align: 8
    .kernarg_segment_size: 144
    .language:       OpenCL C
    .language_version:
      - 2
      - 0
    .max_flat_workgroup_size: 256
    .name:           _ZN7rocprim17ROCPRIM_400000_NS6detail17trampoline_kernelINS0_13select_configILj256ELj13ELNS0_17block_load_methodE3ELS4_3ELS4_3ELNS0_20block_scan_algorithmE0ELj4294967295EEENS1_25partition_config_selectorILNS1_17partition_subalgoE3EjNS0_10empty_typeEbEEZZNS1_14partition_implILS8_3ELb0ES6_jNS0_17counting_iteratorIjlEEPS9_SE_NS0_5tupleIJPjSE_EEENSF_IJSE_SE_EEES9_SG_JZNS1_25segmented_radix_sort_implINS0_14default_configELb0EPKiPiPKlPlN2at6native12_GLOBAL__N_18offset_tEEE10hipError_tPvRmT1_PNSt15iterator_traitsISY_E10value_typeET2_T3_PNSZ_IS14_E10value_typeET4_jRbjT5_S1A_jjP12ihipStream_tbEUljE_EEESV_SW_SX_S14_S18_S1A_T6_T7_T9_mT8_S1C_bDpT10_ENKUlT_T0_E_clISt17integral_constantIbLb0EES1P_EEDaS1K_S1L_EUlS1K_E_NS1_11comp_targetILNS1_3genE9ELNS1_11target_archE1100ELNS1_3gpuE3ELNS1_3repE0EEENS1_30default_config_static_selectorELNS0_4arch9wavefront6targetE1EEEvSY_
    .private_segment_fixed_size: 0
    .sgpr_count:     4
    .sgpr_spill_count: 0
    .symbol:         _ZN7rocprim17ROCPRIM_400000_NS6detail17trampoline_kernelINS0_13select_configILj256ELj13ELNS0_17block_load_methodE3ELS4_3ELS4_3ELNS0_20block_scan_algorithmE0ELj4294967295EEENS1_25partition_config_selectorILNS1_17partition_subalgoE3EjNS0_10empty_typeEbEEZZNS1_14partition_implILS8_3ELb0ES6_jNS0_17counting_iteratorIjlEEPS9_SE_NS0_5tupleIJPjSE_EEENSF_IJSE_SE_EEES9_SG_JZNS1_25segmented_radix_sort_implINS0_14default_configELb0EPKiPiPKlPlN2at6native12_GLOBAL__N_18offset_tEEE10hipError_tPvRmT1_PNSt15iterator_traitsISY_E10value_typeET2_T3_PNSZ_IS14_E10value_typeET4_jRbjT5_S1A_jjP12ihipStream_tbEUljE_EEESV_SW_SX_S14_S18_S1A_T6_T7_T9_mT8_S1C_bDpT10_ENKUlT_T0_E_clISt17integral_constantIbLb0EES1P_EEDaS1K_S1L_EUlS1K_E_NS1_11comp_targetILNS1_3genE9ELNS1_11target_archE1100ELNS1_3gpuE3ELNS1_3repE0EEENS1_30default_config_static_selectorELNS0_4arch9wavefront6targetE1EEEvSY_.kd
    .uniform_work_group_size: 1
    .uses_dynamic_stack: false
    .vgpr_count:     0
    .vgpr_spill_count: 0
    .wavefront_size: 64
  - .args:
      - .offset:         0
        .size:           144
        .value_kind:     by_value
    .group_segment_fixed_size: 0
    .kernarg_segment_align: 8
    .kernarg_segment_size: 144
    .language:       OpenCL C
    .language_version:
      - 2
      - 0
    .max_flat_workgroup_size: 256
    .name:           _ZN7rocprim17ROCPRIM_400000_NS6detail17trampoline_kernelINS0_13select_configILj256ELj13ELNS0_17block_load_methodE3ELS4_3ELS4_3ELNS0_20block_scan_algorithmE0ELj4294967295EEENS1_25partition_config_selectorILNS1_17partition_subalgoE3EjNS0_10empty_typeEbEEZZNS1_14partition_implILS8_3ELb0ES6_jNS0_17counting_iteratorIjlEEPS9_SE_NS0_5tupleIJPjSE_EEENSF_IJSE_SE_EEES9_SG_JZNS1_25segmented_radix_sort_implINS0_14default_configELb0EPKiPiPKlPlN2at6native12_GLOBAL__N_18offset_tEEE10hipError_tPvRmT1_PNSt15iterator_traitsISY_E10value_typeET2_T3_PNSZ_IS14_E10value_typeET4_jRbjT5_S1A_jjP12ihipStream_tbEUljE_EEESV_SW_SX_S14_S18_S1A_T6_T7_T9_mT8_S1C_bDpT10_ENKUlT_T0_E_clISt17integral_constantIbLb0EES1P_EEDaS1K_S1L_EUlS1K_E_NS1_11comp_targetILNS1_3genE8ELNS1_11target_archE1030ELNS1_3gpuE2ELNS1_3repE0EEENS1_30default_config_static_selectorELNS0_4arch9wavefront6targetE1EEEvSY_
    .private_segment_fixed_size: 0
    .sgpr_count:     4
    .sgpr_spill_count: 0
    .symbol:         _ZN7rocprim17ROCPRIM_400000_NS6detail17trampoline_kernelINS0_13select_configILj256ELj13ELNS0_17block_load_methodE3ELS4_3ELS4_3ELNS0_20block_scan_algorithmE0ELj4294967295EEENS1_25partition_config_selectorILNS1_17partition_subalgoE3EjNS0_10empty_typeEbEEZZNS1_14partition_implILS8_3ELb0ES6_jNS0_17counting_iteratorIjlEEPS9_SE_NS0_5tupleIJPjSE_EEENSF_IJSE_SE_EEES9_SG_JZNS1_25segmented_radix_sort_implINS0_14default_configELb0EPKiPiPKlPlN2at6native12_GLOBAL__N_18offset_tEEE10hipError_tPvRmT1_PNSt15iterator_traitsISY_E10value_typeET2_T3_PNSZ_IS14_E10value_typeET4_jRbjT5_S1A_jjP12ihipStream_tbEUljE_EEESV_SW_SX_S14_S18_S1A_T6_T7_T9_mT8_S1C_bDpT10_ENKUlT_T0_E_clISt17integral_constantIbLb0EES1P_EEDaS1K_S1L_EUlS1K_E_NS1_11comp_targetILNS1_3genE8ELNS1_11target_archE1030ELNS1_3gpuE2ELNS1_3repE0EEENS1_30default_config_static_selectorELNS0_4arch9wavefront6targetE1EEEvSY_.kd
    .uniform_work_group_size: 1
    .uses_dynamic_stack: false
    .vgpr_count:     0
    .vgpr_spill_count: 0
    .wavefront_size: 64
  - .args:
      - .offset:         0
        .size:           152
        .value_kind:     by_value
    .group_segment_fixed_size: 0
    .kernarg_segment_align: 8
    .kernarg_segment_size: 152
    .language:       OpenCL C
    .language_version:
      - 2
      - 0
    .max_flat_workgroup_size: 256
    .name:           _ZN7rocprim17ROCPRIM_400000_NS6detail17trampoline_kernelINS0_13select_configILj256ELj13ELNS0_17block_load_methodE3ELS4_3ELS4_3ELNS0_20block_scan_algorithmE0ELj4294967295EEENS1_25partition_config_selectorILNS1_17partition_subalgoE3EjNS0_10empty_typeEbEEZZNS1_14partition_implILS8_3ELb0ES6_jNS0_17counting_iteratorIjlEEPS9_SE_NS0_5tupleIJPjSE_EEENSF_IJSE_SE_EEES9_SG_JZNS1_25segmented_radix_sort_implINS0_14default_configELb0EPKiPiPKlPlN2at6native12_GLOBAL__N_18offset_tEEE10hipError_tPvRmT1_PNSt15iterator_traitsISY_E10value_typeET2_T3_PNSZ_IS14_E10value_typeET4_jRbjT5_S1A_jjP12ihipStream_tbEUljE_EEESV_SW_SX_S14_S18_S1A_T6_T7_T9_mT8_S1C_bDpT10_ENKUlT_T0_E_clISt17integral_constantIbLb1EES1P_EEDaS1K_S1L_EUlS1K_E_NS1_11comp_targetILNS1_3genE0ELNS1_11target_archE4294967295ELNS1_3gpuE0ELNS1_3repE0EEENS1_30default_config_static_selectorELNS0_4arch9wavefront6targetE1EEEvSY_
    .private_segment_fixed_size: 0
    .sgpr_count:     4
    .sgpr_spill_count: 0
    .symbol:         _ZN7rocprim17ROCPRIM_400000_NS6detail17trampoline_kernelINS0_13select_configILj256ELj13ELNS0_17block_load_methodE3ELS4_3ELS4_3ELNS0_20block_scan_algorithmE0ELj4294967295EEENS1_25partition_config_selectorILNS1_17partition_subalgoE3EjNS0_10empty_typeEbEEZZNS1_14partition_implILS8_3ELb0ES6_jNS0_17counting_iteratorIjlEEPS9_SE_NS0_5tupleIJPjSE_EEENSF_IJSE_SE_EEES9_SG_JZNS1_25segmented_radix_sort_implINS0_14default_configELb0EPKiPiPKlPlN2at6native12_GLOBAL__N_18offset_tEEE10hipError_tPvRmT1_PNSt15iterator_traitsISY_E10value_typeET2_T3_PNSZ_IS14_E10value_typeET4_jRbjT5_S1A_jjP12ihipStream_tbEUljE_EEESV_SW_SX_S14_S18_S1A_T6_T7_T9_mT8_S1C_bDpT10_ENKUlT_T0_E_clISt17integral_constantIbLb1EES1P_EEDaS1K_S1L_EUlS1K_E_NS1_11comp_targetILNS1_3genE0ELNS1_11target_archE4294967295ELNS1_3gpuE0ELNS1_3repE0EEENS1_30default_config_static_selectorELNS0_4arch9wavefront6targetE1EEEvSY_.kd
    .uniform_work_group_size: 1
    .uses_dynamic_stack: false
    .vgpr_count:     0
    .vgpr_spill_count: 0
    .wavefront_size: 64
  - .args:
      - .offset:         0
        .size:           152
        .value_kind:     by_value
    .group_segment_fixed_size: 0
    .kernarg_segment_align: 8
    .kernarg_segment_size: 152
    .language:       OpenCL C
    .language_version:
      - 2
      - 0
    .max_flat_workgroup_size: 256
    .name:           _ZN7rocprim17ROCPRIM_400000_NS6detail17trampoline_kernelINS0_13select_configILj256ELj13ELNS0_17block_load_methodE3ELS4_3ELS4_3ELNS0_20block_scan_algorithmE0ELj4294967295EEENS1_25partition_config_selectorILNS1_17partition_subalgoE3EjNS0_10empty_typeEbEEZZNS1_14partition_implILS8_3ELb0ES6_jNS0_17counting_iteratorIjlEEPS9_SE_NS0_5tupleIJPjSE_EEENSF_IJSE_SE_EEES9_SG_JZNS1_25segmented_radix_sort_implINS0_14default_configELb0EPKiPiPKlPlN2at6native12_GLOBAL__N_18offset_tEEE10hipError_tPvRmT1_PNSt15iterator_traitsISY_E10value_typeET2_T3_PNSZ_IS14_E10value_typeET4_jRbjT5_S1A_jjP12ihipStream_tbEUljE_EEESV_SW_SX_S14_S18_S1A_T6_T7_T9_mT8_S1C_bDpT10_ENKUlT_T0_E_clISt17integral_constantIbLb1EES1P_EEDaS1K_S1L_EUlS1K_E_NS1_11comp_targetILNS1_3genE5ELNS1_11target_archE942ELNS1_3gpuE9ELNS1_3repE0EEENS1_30default_config_static_selectorELNS0_4arch9wavefront6targetE1EEEvSY_
    .private_segment_fixed_size: 0
    .sgpr_count:     4
    .sgpr_spill_count: 0
    .symbol:         _ZN7rocprim17ROCPRIM_400000_NS6detail17trampoline_kernelINS0_13select_configILj256ELj13ELNS0_17block_load_methodE3ELS4_3ELS4_3ELNS0_20block_scan_algorithmE0ELj4294967295EEENS1_25partition_config_selectorILNS1_17partition_subalgoE3EjNS0_10empty_typeEbEEZZNS1_14partition_implILS8_3ELb0ES6_jNS0_17counting_iteratorIjlEEPS9_SE_NS0_5tupleIJPjSE_EEENSF_IJSE_SE_EEES9_SG_JZNS1_25segmented_radix_sort_implINS0_14default_configELb0EPKiPiPKlPlN2at6native12_GLOBAL__N_18offset_tEEE10hipError_tPvRmT1_PNSt15iterator_traitsISY_E10value_typeET2_T3_PNSZ_IS14_E10value_typeET4_jRbjT5_S1A_jjP12ihipStream_tbEUljE_EEESV_SW_SX_S14_S18_S1A_T6_T7_T9_mT8_S1C_bDpT10_ENKUlT_T0_E_clISt17integral_constantIbLb1EES1P_EEDaS1K_S1L_EUlS1K_E_NS1_11comp_targetILNS1_3genE5ELNS1_11target_archE942ELNS1_3gpuE9ELNS1_3repE0EEENS1_30default_config_static_selectorELNS0_4arch9wavefront6targetE1EEEvSY_.kd
    .uniform_work_group_size: 1
    .uses_dynamic_stack: false
    .vgpr_count:     0
    .vgpr_spill_count: 0
    .wavefront_size: 64
  - .args:
      - .offset:         0
        .size:           152
        .value_kind:     by_value
    .group_segment_fixed_size: 0
    .kernarg_segment_align: 8
    .kernarg_segment_size: 152
    .language:       OpenCL C
    .language_version:
      - 2
      - 0
    .max_flat_workgroup_size: 256
    .name:           _ZN7rocprim17ROCPRIM_400000_NS6detail17trampoline_kernelINS0_13select_configILj256ELj13ELNS0_17block_load_methodE3ELS4_3ELS4_3ELNS0_20block_scan_algorithmE0ELj4294967295EEENS1_25partition_config_selectorILNS1_17partition_subalgoE3EjNS0_10empty_typeEbEEZZNS1_14partition_implILS8_3ELb0ES6_jNS0_17counting_iteratorIjlEEPS9_SE_NS0_5tupleIJPjSE_EEENSF_IJSE_SE_EEES9_SG_JZNS1_25segmented_radix_sort_implINS0_14default_configELb0EPKiPiPKlPlN2at6native12_GLOBAL__N_18offset_tEEE10hipError_tPvRmT1_PNSt15iterator_traitsISY_E10value_typeET2_T3_PNSZ_IS14_E10value_typeET4_jRbjT5_S1A_jjP12ihipStream_tbEUljE_EEESV_SW_SX_S14_S18_S1A_T6_T7_T9_mT8_S1C_bDpT10_ENKUlT_T0_E_clISt17integral_constantIbLb1EES1P_EEDaS1K_S1L_EUlS1K_E_NS1_11comp_targetILNS1_3genE4ELNS1_11target_archE910ELNS1_3gpuE8ELNS1_3repE0EEENS1_30default_config_static_selectorELNS0_4arch9wavefront6targetE1EEEvSY_
    .private_segment_fixed_size: 0
    .sgpr_count:     4
    .sgpr_spill_count: 0
    .symbol:         _ZN7rocprim17ROCPRIM_400000_NS6detail17trampoline_kernelINS0_13select_configILj256ELj13ELNS0_17block_load_methodE3ELS4_3ELS4_3ELNS0_20block_scan_algorithmE0ELj4294967295EEENS1_25partition_config_selectorILNS1_17partition_subalgoE3EjNS0_10empty_typeEbEEZZNS1_14partition_implILS8_3ELb0ES6_jNS0_17counting_iteratorIjlEEPS9_SE_NS0_5tupleIJPjSE_EEENSF_IJSE_SE_EEES9_SG_JZNS1_25segmented_radix_sort_implINS0_14default_configELb0EPKiPiPKlPlN2at6native12_GLOBAL__N_18offset_tEEE10hipError_tPvRmT1_PNSt15iterator_traitsISY_E10value_typeET2_T3_PNSZ_IS14_E10value_typeET4_jRbjT5_S1A_jjP12ihipStream_tbEUljE_EEESV_SW_SX_S14_S18_S1A_T6_T7_T9_mT8_S1C_bDpT10_ENKUlT_T0_E_clISt17integral_constantIbLb1EES1P_EEDaS1K_S1L_EUlS1K_E_NS1_11comp_targetILNS1_3genE4ELNS1_11target_archE910ELNS1_3gpuE8ELNS1_3repE0EEENS1_30default_config_static_selectorELNS0_4arch9wavefront6targetE1EEEvSY_.kd
    .uniform_work_group_size: 1
    .uses_dynamic_stack: false
    .vgpr_count:     0
    .vgpr_spill_count: 0
    .wavefront_size: 64
  - .args:
      - .offset:         0
        .size:           152
        .value_kind:     by_value
    .group_segment_fixed_size: 0
    .kernarg_segment_align: 8
    .kernarg_segment_size: 152
    .language:       OpenCL C
    .language_version:
      - 2
      - 0
    .max_flat_workgroup_size: 256
    .name:           _ZN7rocprim17ROCPRIM_400000_NS6detail17trampoline_kernelINS0_13select_configILj256ELj13ELNS0_17block_load_methodE3ELS4_3ELS4_3ELNS0_20block_scan_algorithmE0ELj4294967295EEENS1_25partition_config_selectorILNS1_17partition_subalgoE3EjNS0_10empty_typeEbEEZZNS1_14partition_implILS8_3ELb0ES6_jNS0_17counting_iteratorIjlEEPS9_SE_NS0_5tupleIJPjSE_EEENSF_IJSE_SE_EEES9_SG_JZNS1_25segmented_radix_sort_implINS0_14default_configELb0EPKiPiPKlPlN2at6native12_GLOBAL__N_18offset_tEEE10hipError_tPvRmT1_PNSt15iterator_traitsISY_E10value_typeET2_T3_PNSZ_IS14_E10value_typeET4_jRbjT5_S1A_jjP12ihipStream_tbEUljE_EEESV_SW_SX_S14_S18_S1A_T6_T7_T9_mT8_S1C_bDpT10_ENKUlT_T0_E_clISt17integral_constantIbLb1EES1P_EEDaS1K_S1L_EUlS1K_E_NS1_11comp_targetILNS1_3genE3ELNS1_11target_archE908ELNS1_3gpuE7ELNS1_3repE0EEENS1_30default_config_static_selectorELNS0_4arch9wavefront6targetE1EEEvSY_
    .private_segment_fixed_size: 0
    .sgpr_count:     4
    .sgpr_spill_count: 0
    .symbol:         _ZN7rocprim17ROCPRIM_400000_NS6detail17trampoline_kernelINS0_13select_configILj256ELj13ELNS0_17block_load_methodE3ELS4_3ELS4_3ELNS0_20block_scan_algorithmE0ELj4294967295EEENS1_25partition_config_selectorILNS1_17partition_subalgoE3EjNS0_10empty_typeEbEEZZNS1_14partition_implILS8_3ELb0ES6_jNS0_17counting_iteratorIjlEEPS9_SE_NS0_5tupleIJPjSE_EEENSF_IJSE_SE_EEES9_SG_JZNS1_25segmented_radix_sort_implINS0_14default_configELb0EPKiPiPKlPlN2at6native12_GLOBAL__N_18offset_tEEE10hipError_tPvRmT1_PNSt15iterator_traitsISY_E10value_typeET2_T3_PNSZ_IS14_E10value_typeET4_jRbjT5_S1A_jjP12ihipStream_tbEUljE_EEESV_SW_SX_S14_S18_S1A_T6_T7_T9_mT8_S1C_bDpT10_ENKUlT_T0_E_clISt17integral_constantIbLb1EES1P_EEDaS1K_S1L_EUlS1K_E_NS1_11comp_targetILNS1_3genE3ELNS1_11target_archE908ELNS1_3gpuE7ELNS1_3repE0EEENS1_30default_config_static_selectorELNS0_4arch9wavefront6targetE1EEEvSY_.kd
    .uniform_work_group_size: 1
    .uses_dynamic_stack: false
    .vgpr_count:     0
    .vgpr_spill_count: 0
    .wavefront_size: 64
  - .args:
      - .offset:         0
        .size:           152
        .value_kind:     by_value
    .group_segment_fixed_size: 0
    .kernarg_segment_align: 8
    .kernarg_segment_size: 152
    .language:       OpenCL C
    .language_version:
      - 2
      - 0
    .max_flat_workgroup_size: 256
    .name:           _ZN7rocprim17ROCPRIM_400000_NS6detail17trampoline_kernelINS0_13select_configILj256ELj13ELNS0_17block_load_methodE3ELS4_3ELS4_3ELNS0_20block_scan_algorithmE0ELj4294967295EEENS1_25partition_config_selectorILNS1_17partition_subalgoE3EjNS0_10empty_typeEbEEZZNS1_14partition_implILS8_3ELb0ES6_jNS0_17counting_iteratorIjlEEPS9_SE_NS0_5tupleIJPjSE_EEENSF_IJSE_SE_EEES9_SG_JZNS1_25segmented_radix_sort_implINS0_14default_configELb0EPKiPiPKlPlN2at6native12_GLOBAL__N_18offset_tEEE10hipError_tPvRmT1_PNSt15iterator_traitsISY_E10value_typeET2_T3_PNSZ_IS14_E10value_typeET4_jRbjT5_S1A_jjP12ihipStream_tbEUljE_EEESV_SW_SX_S14_S18_S1A_T6_T7_T9_mT8_S1C_bDpT10_ENKUlT_T0_E_clISt17integral_constantIbLb1EES1P_EEDaS1K_S1L_EUlS1K_E_NS1_11comp_targetILNS1_3genE2ELNS1_11target_archE906ELNS1_3gpuE6ELNS1_3repE0EEENS1_30default_config_static_selectorELNS0_4arch9wavefront6targetE1EEEvSY_
    .private_segment_fixed_size: 0
    .sgpr_count:     4
    .sgpr_spill_count: 0
    .symbol:         _ZN7rocprim17ROCPRIM_400000_NS6detail17trampoline_kernelINS0_13select_configILj256ELj13ELNS0_17block_load_methodE3ELS4_3ELS4_3ELNS0_20block_scan_algorithmE0ELj4294967295EEENS1_25partition_config_selectorILNS1_17partition_subalgoE3EjNS0_10empty_typeEbEEZZNS1_14partition_implILS8_3ELb0ES6_jNS0_17counting_iteratorIjlEEPS9_SE_NS0_5tupleIJPjSE_EEENSF_IJSE_SE_EEES9_SG_JZNS1_25segmented_radix_sort_implINS0_14default_configELb0EPKiPiPKlPlN2at6native12_GLOBAL__N_18offset_tEEE10hipError_tPvRmT1_PNSt15iterator_traitsISY_E10value_typeET2_T3_PNSZ_IS14_E10value_typeET4_jRbjT5_S1A_jjP12ihipStream_tbEUljE_EEESV_SW_SX_S14_S18_S1A_T6_T7_T9_mT8_S1C_bDpT10_ENKUlT_T0_E_clISt17integral_constantIbLb1EES1P_EEDaS1K_S1L_EUlS1K_E_NS1_11comp_targetILNS1_3genE2ELNS1_11target_archE906ELNS1_3gpuE6ELNS1_3repE0EEENS1_30default_config_static_selectorELNS0_4arch9wavefront6targetE1EEEvSY_.kd
    .uniform_work_group_size: 1
    .uses_dynamic_stack: false
    .vgpr_count:     0
    .vgpr_spill_count: 0
    .wavefront_size: 64
  - .args:
      - .offset:         0
        .size:           152
        .value_kind:     by_value
    .group_segment_fixed_size: 0
    .kernarg_segment_align: 8
    .kernarg_segment_size: 152
    .language:       OpenCL C
    .language_version:
      - 2
      - 0
    .max_flat_workgroup_size: 256
    .name:           _ZN7rocprim17ROCPRIM_400000_NS6detail17trampoline_kernelINS0_13select_configILj256ELj13ELNS0_17block_load_methodE3ELS4_3ELS4_3ELNS0_20block_scan_algorithmE0ELj4294967295EEENS1_25partition_config_selectorILNS1_17partition_subalgoE3EjNS0_10empty_typeEbEEZZNS1_14partition_implILS8_3ELb0ES6_jNS0_17counting_iteratorIjlEEPS9_SE_NS0_5tupleIJPjSE_EEENSF_IJSE_SE_EEES9_SG_JZNS1_25segmented_radix_sort_implINS0_14default_configELb0EPKiPiPKlPlN2at6native12_GLOBAL__N_18offset_tEEE10hipError_tPvRmT1_PNSt15iterator_traitsISY_E10value_typeET2_T3_PNSZ_IS14_E10value_typeET4_jRbjT5_S1A_jjP12ihipStream_tbEUljE_EEESV_SW_SX_S14_S18_S1A_T6_T7_T9_mT8_S1C_bDpT10_ENKUlT_T0_E_clISt17integral_constantIbLb1EES1P_EEDaS1K_S1L_EUlS1K_E_NS1_11comp_targetILNS1_3genE10ELNS1_11target_archE1200ELNS1_3gpuE4ELNS1_3repE0EEENS1_30default_config_static_selectorELNS0_4arch9wavefront6targetE1EEEvSY_
    .private_segment_fixed_size: 0
    .sgpr_count:     4
    .sgpr_spill_count: 0
    .symbol:         _ZN7rocprim17ROCPRIM_400000_NS6detail17trampoline_kernelINS0_13select_configILj256ELj13ELNS0_17block_load_methodE3ELS4_3ELS4_3ELNS0_20block_scan_algorithmE0ELj4294967295EEENS1_25partition_config_selectorILNS1_17partition_subalgoE3EjNS0_10empty_typeEbEEZZNS1_14partition_implILS8_3ELb0ES6_jNS0_17counting_iteratorIjlEEPS9_SE_NS0_5tupleIJPjSE_EEENSF_IJSE_SE_EEES9_SG_JZNS1_25segmented_radix_sort_implINS0_14default_configELb0EPKiPiPKlPlN2at6native12_GLOBAL__N_18offset_tEEE10hipError_tPvRmT1_PNSt15iterator_traitsISY_E10value_typeET2_T3_PNSZ_IS14_E10value_typeET4_jRbjT5_S1A_jjP12ihipStream_tbEUljE_EEESV_SW_SX_S14_S18_S1A_T6_T7_T9_mT8_S1C_bDpT10_ENKUlT_T0_E_clISt17integral_constantIbLb1EES1P_EEDaS1K_S1L_EUlS1K_E_NS1_11comp_targetILNS1_3genE10ELNS1_11target_archE1200ELNS1_3gpuE4ELNS1_3repE0EEENS1_30default_config_static_selectorELNS0_4arch9wavefront6targetE1EEEvSY_.kd
    .uniform_work_group_size: 1
    .uses_dynamic_stack: false
    .vgpr_count:     0
    .vgpr_spill_count: 0
    .wavefront_size: 64
  - .args:
      - .offset:         0
        .size:           152
        .value_kind:     by_value
    .group_segment_fixed_size: 0
    .kernarg_segment_align: 8
    .kernarg_segment_size: 152
    .language:       OpenCL C
    .language_version:
      - 2
      - 0
    .max_flat_workgroup_size: 256
    .name:           _ZN7rocprim17ROCPRIM_400000_NS6detail17trampoline_kernelINS0_13select_configILj256ELj13ELNS0_17block_load_methodE3ELS4_3ELS4_3ELNS0_20block_scan_algorithmE0ELj4294967295EEENS1_25partition_config_selectorILNS1_17partition_subalgoE3EjNS0_10empty_typeEbEEZZNS1_14partition_implILS8_3ELb0ES6_jNS0_17counting_iteratorIjlEEPS9_SE_NS0_5tupleIJPjSE_EEENSF_IJSE_SE_EEES9_SG_JZNS1_25segmented_radix_sort_implINS0_14default_configELb0EPKiPiPKlPlN2at6native12_GLOBAL__N_18offset_tEEE10hipError_tPvRmT1_PNSt15iterator_traitsISY_E10value_typeET2_T3_PNSZ_IS14_E10value_typeET4_jRbjT5_S1A_jjP12ihipStream_tbEUljE_EEESV_SW_SX_S14_S18_S1A_T6_T7_T9_mT8_S1C_bDpT10_ENKUlT_T0_E_clISt17integral_constantIbLb1EES1P_EEDaS1K_S1L_EUlS1K_E_NS1_11comp_targetILNS1_3genE9ELNS1_11target_archE1100ELNS1_3gpuE3ELNS1_3repE0EEENS1_30default_config_static_selectorELNS0_4arch9wavefront6targetE1EEEvSY_
    .private_segment_fixed_size: 0
    .sgpr_count:     4
    .sgpr_spill_count: 0
    .symbol:         _ZN7rocprim17ROCPRIM_400000_NS6detail17trampoline_kernelINS0_13select_configILj256ELj13ELNS0_17block_load_methodE3ELS4_3ELS4_3ELNS0_20block_scan_algorithmE0ELj4294967295EEENS1_25partition_config_selectorILNS1_17partition_subalgoE3EjNS0_10empty_typeEbEEZZNS1_14partition_implILS8_3ELb0ES6_jNS0_17counting_iteratorIjlEEPS9_SE_NS0_5tupleIJPjSE_EEENSF_IJSE_SE_EEES9_SG_JZNS1_25segmented_radix_sort_implINS0_14default_configELb0EPKiPiPKlPlN2at6native12_GLOBAL__N_18offset_tEEE10hipError_tPvRmT1_PNSt15iterator_traitsISY_E10value_typeET2_T3_PNSZ_IS14_E10value_typeET4_jRbjT5_S1A_jjP12ihipStream_tbEUljE_EEESV_SW_SX_S14_S18_S1A_T6_T7_T9_mT8_S1C_bDpT10_ENKUlT_T0_E_clISt17integral_constantIbLb1EES1P_EEDaS1K_S1L_EUlS1K_E_NS1_11comp_targetILNS1_3genE9ELNS1_11target_archE1100ELNS1_3gpuE3ELNS1_3repE0EEENS1_30default_config_static_selectorELNS0_4arch9wavefront6targetE1EEEvSY_.kd
    .uniform_work_group_size: 1
    .uses_dynamic_stack: false
    .vgpr_count:     0
    .vgpr_spill_count: 0
    .wavefront_size: 64
  - .args:
      - .offset:         0
        .size:           152
        .value_kind:     by_value
    .group_segment_fixed_size: 0
    .kernarg_segment_align: 8
    .kernarg_segment_size: 152
    .language:       OpenCL C
    .language_version:
      - 2
      - 0
    .max_flat_workgroup_size: 256
    .name:           _ZN7rocprim17ROCPRIM_400000_NS6detail17trampoline_kernelINS0_13select_configILj256ELj13ELNS0_17block_load_methodE3ELS4_3ELS4_3ELNS0_20block_scan_algorithmE0ELj4294967295EEENS1_25partition_config_selectorILNS1_17partition_subalgoE3EjNS0_10empty_typeEbEEZZNS1_14partition_implILS8_3ELb0ES6_jNS0_17counting_iteratorIjlEEPS9_SE_NS0_5tupleIJPjSE_EEENSF_IJSE_SE_EEES9_SG_JZNS1_25segmented_radix_sort_implINS0_14default_configELb0EPKiPiPKlPlN2at6native12_GLOBAL__N_18offset_tEEE10hipError_tPvRmT1_PNSt15iterator_traitsISY_E10value_typeET2_T3_PNSZ_IS14_E10value_typeET4_jRbjT5_S1A_jjP12ihipStream_tbEUljE_EEESV_SW_SX_S14_S18_S1A_T6_T7_T9_mT8_S1C_bDpT10_ENKUlT_T0_E_clISt17integral_constantIbLb1EES1P_EEDaS1K_S1L_EUlS1K_E_NS1_11comp_targetILNS1_3genE8ELNS1_11target_archE1030ELNS1_3gpuE2ELNS1_3repE0EEENS1_30default_config_static_selectorELNS0_4arch9wavefront6targetE1EEEvSY_
    .private_segment_fixed_size: 0
    .sgpr_count:     4
    .sgpr_spill_count: 0
    .symbol:         _ZN7rocprim17ROCPRIM_400000_NS6detail17trampoline_kernelINS0_13select_configILj256ELj13ELNS0_17block_load_methodE3ELS4_3ELS4_3ELNS0_20block_scan_algorithmE0ELj4294967295EEENS1_25partition_config_selectorILNS1_17partition_subalgoE3EjNS0_10empty_typeEbEEZZNS1_14partition_implILS8_3ELb0ES6_jNS0_17counting_iteratorIjlEEPS9_SE_NS0_5tupleIJPjSE_EEENSF_IJSE_SE_EEES9_SG_JZNS1_25segmented_radix_sort_implINS0_14default_configELb0EPKiPiPKlPlN2at6native12_GLOBAL__N_18offset_tEEE10hipError_tPvRmT1_PNSt15iterator_traitsISY_E10value_typeET2_T3_PNSZ_IS14_E10value_typeET4_jRbjT5_S1A_jjP12ihipStream_tbEUljE_EEESV_SW_SX_S14_S18_S1A_T6_T7_T9_mT8_S1C_bDpT10_ENKUlT_T0_E_clISt17integral_constantIbLb1EES1P_EEDaS1K_S1L_EUlS1K_E_NS1_11comp_targetILNS1_3genE8ELNS1_11target_archE1030ELNS1_3gpuE2ELNS1_3repE0EEENS1_30default_config_static_selectorELNS0_4arch9wavefront6targetE1EEEvSY_.kd
    .uniform_work_group_size: 1
    .uses_dynamic_stack: false
    .vgpr_count:     0
    .vgpr_spill_count: 0
    .wavefront_size: 64
  - .args:
      - .offset:         0
        .size:           144
        .value_kind:     by_value
    .group_segment_fixed_size: 0
    .kernarg_segment_align: 8
    .kernarg_segment_size: 144
    .language:       OpenCL C
    .language_version:
      - 2
      - 0
    .max_flat_workgroup_size: 256
    .name:           _ZN7rocprim17ROCPRIM_400000_NS6detail17trampoline_kernelINS0_13select_configILj256ELj13ELNS0_17block_load_methodE3ELS4_3ELS4_3ELNS0_20block_scan_algorithmE0ELj4294967295EEENS1_25partition_config_selectorILNS1_17partition_subalgoE3EjNS0_10empty_typeEbEEZZNS1_14partition_implILS8_3ELb0ES6_jNS0_17counting_iteratorIjlEEPS9_SE_NS0_5tupleIJPjSE_EEENSF_IJSE_SE_EEES9_SG_JZNS1_25segmented_radix_sort_implINS0_14default_configELb0EPKiPiPKlPlN2at6native12_GLOBAL__N_18offset_tEEE10hipError_tPvRmT1_PNSt15iterator_traitsISY_E10value_typeET2_T3_PNSZ_IS14_E10value_typeET4_jRbjT5_S1A_jjP12ihipStream_tbEUljE_EEESV_SW_SX_S14_S18_S1A_T6_T7_T9_mT8_S1C_bDpT10_ENKUlT_T0_E_clISt17integral_constantIbLb1EES1O_IbLb0EEEEDaS1K_S1L_EUlS1K_E_NS1_11comp_targetILNS1_3genE0ELNS1_11target_archE4294967295ELNS1_3gpuE0ELNS1_3repE0EEENS1_30default_config_static_selectorELNS0_4arch9wavefront6targetE1EEEvSY_
    .private_segment_fixed_size: 0
    .sgpr_count:     4
    .sgpr_spill_count: 0
    .symbol:         _ZN7rocprim17ROCPRIM_400000_NS6detail17trampoline_kernelINS0_13select_configILj256ELj13ELNS0_17block_load_methodE3ELS4_3ELS4_3ELNS0_20block_scan_algorithmE0ELj4294967295EEENS1_25partition_config_selectorILNS1_17partition_subalgoE3EjNS0_10empty_typeEbEEZZNS1_14partition_implILS8_3ELb0ES6_jNS0_17counting_iteratorIjlEEPS9_SE_NS0_5tupleIJPjSE_EEENSF_IJSE_SE_EEES9_SG_JZNS1_25segmented_radix_sort_implINS0_14default_configELb0EPKiPiPKlPlN2at6native12_GLOBAL__N_18offset_tEEE10hipError_tPvRmT1_PNSt15iterator_traitsISY_E10value_typeET2_T3_PNSZ_IS14_E10value_typeET4_jRbjT5_S1A_jjP12ihipStream_tbEUljE_EEESV_SW_SX_S14_S18_S1A_T6_T7_T9_mT8_S1C_bDpT10_ENKUlT_T0_E_clISt17integral_constantIbLb1EES1O_IbLb0EEEEDaS1K_S1L_EUlS1K_E_NS1_11comp_targetILNS1_3genE0ELNS1_11target_archE4294967295ELNS1_3gpuE0ELNS1_3repE0EEENS1_30default_config_static_selectorELNS0_4arch9wavefront6targetE1EEEvSY_.kd
    .uniform_work_group_size: 1
    .uses_dynamic_stack: false
    .vgpr_count:     0
    .vgpr_spill_count: 0
    .wavefront_size: 64
  - .args:
      - .offset:         0
        .size:           144
        .value_kind:     by_value
    .group_segment_fixed_size: 0
    .kernarg_segment_align: 8
    .kernarg_segment_size: 144
    .language:       OpenCL C
    .language_version:
      - 2
      - 0
    .max_flat_workgroup_size: 256
    .name:           _ZN7rocprim17ROCPRIM_400000_NS6detail17trampoline_kernelINS0_13select_configILj256ELj13ELNS0_17block_load_methodE3ELS4_3ELS4_3ELNS0_20block_scan_algorithmE0ELj4294967295EEENS1_25partition_config_selectorILNS1_17partition_subalgoE3EjNS0_10empty_typeEbEEZZNS1_14partition_implILS8_3ELb0ES6_jNS0_17counting_iteratorIjlEEPS9_SE_NS0_5tupleIJPjSE_EEENSF_IJSE_SE_EEES9_SG_JZNS1_25segmented_radix_sort_implINS0_14default_configELb0EPKiPiPKlPlN2at6native12_GLOBAL__N_18offset_tEEE10hipError_tPvRmT1_PNSt15iterator_traitsISY_E10value_typeET2_T3_PNSZ_IS14_E10value_typeET4_jRbjT5_S1A_jjP12ihipStream_tbEUljE_EEESV_SW_SX_S14_S18_S1A_T6_T7_T9_mT8_S1C_bDpT10_ENKUlT_T0_E_clISt17integral_constantIbLb1EES1O_IbLb0EEEEDaS1K_S1L_EUlS1K_E_NS1_11comp_targetILNS1_3genE5ELNS1_11target_archE942ELNS1_3gpuE9ELNS1_3repE0EEENS1_30default_config_static_selectorELNS0_4arch9wavefront6targetE1EEEvSY_
    .private_segment_fixed_size: 0
    .sgpr_count:     4
    .sgpr_spill_count: 0
    .symbol:         _ZN7rocprim17ROCPRIM_400000_NS6detail17trampoline_kernelINS0_13select_configILj256ELj13ELNS0_17block_load_methodE3ELS4_3ELS4_3ELNS0_20block_scan_algorithmE0ELj4294967295EEENS1_25partition_config_selectorILNS1_17partition_subalgoE3EjNS0_10empty_typeEbEEZZNS1_14partition_implILS8_3ELb0ES6_jNS0_17counting_iteratorIjlEEPS9_SE_NS0_5tupleIJPjSE_EEENSF_IJSE_SE_EEES9_SG_JZNS1_25segmented_radix_sort_implINS0_14default_configELb0EPKiPiPKlPlN2at6native12_GLOBAL__N_18offset_tEEE10hipError_tPvRmT1_PNSt15iterator_traitsISY_E10value_typeET2_T3_PNSZ_IS14_E10value_typeET4_jRbjT5_S1A_jjP12ihipStream_tbEUljE_EEESV_SW_SX_S14_S18_S1A_T6_T7_T9_mT8_S1C_bDpT10_ENKUlT_T0_E_clISt17integral_constantIbLb1EES1O_IbLb0EEEEDaS1K_S1L_EUlS1K_E_NS1_11comp_targetILNS1_3genE5ELNS1_11target_archE942ELNS1_3gpuE9ELNS1_3repE0EEENS1_30default_config_static_selectorELNS0_4arch9wavefront6targetE1EEEvSY_.kd
    .uniform_work_group_size: 1
    .uses_dynamic_stack: false
    .vgpr_count:     0
    .vgpr_spill_count: 0
    .wavefront_size: 64
  - .args:
      - .offset:         0
        .size:           144
        .value_kind:     by_value
    .group_segment_fixed_size: 0
    .kernarg_segment_align: 8
    .kernarg_segment_size: 144
    .language:       OpenCL C
    .language_version:
      - 2
      - 0
    .max_flat_workgroup_size: 256
    .name:           _ZN7rocprim17ROCPRIM_400000_NS6detail17trampoline_kernelINS0_13select_configILj256ELj13ELNS0_17block_load_methodE3ELS4_3ELS4_3ELNS0_20block_scan_algorithmE0ELj4294967295EEENS1_25partition_config_selectorILNS1_17partition_subalgoE3EjNS0_10empty_typeEbEEZZNS1_14partition_implILS8_3ELb0ES6_jNS0_17counting_iteratorIjlEEPS9_SE_NS0_5tupleIJPjSE_EEENSF_IJSE_SE_EEES9_SG_JZNS1_25segmented_radix_sort_implINS0_14default_configELb0EPKiPiPKlPlN2at6native12_GLOBAL__N_18offset_tEEE10hipError_tPvRmT1_PNSt15iterator_traitsISY_E10value_typeET2_T3_PNSZ_IS14_E10value_typeET4_jRbjT5_S1A_jjP12ihipStream_tbEUljE_EEESV_SW_SX_S14_S18_S1A_T6_T7_T9_mT8_S1C_bDpT10_ENKUlT_T0_E_clISt17integral_constantIbLb1EES1O_IbLb0EEEEDaS1K_S1L_EUlS1K_E_NS1_11comp_targetILNS1_3genE4ELNS1_11target_archE910ELNS1_3gpuE8ELNS1_3repE0EEENS1_30default_config_static_selectorELNS0_4arch9wavefront6targetE1EEEvSY_
    .private_segment_fixed_size: 0
    .sgpr_count:     4
    .sgpr_spill_count: 0
    .symbol:         _ZN7rocprim17ROCPRIM_400000_NS6detail17trampoline_kernelINS0_13select_configILj256ELj13ELNS0_17block_load_methodE3ELS4_3ELS4_3ELNS0_20block_scan_algorithmE0ELj4294967295EEENS1_25partition_config_selectorILNS1_17partition_subalgoE3EjNS0_10empty_typeEbEEZZNS1_14partition_implILS8_3ELb0ES6_jNS0_17counting_iteratorIjlEEPS9_SE_NS0_5tupleIJPjSE_EEENSF_IJSE_SE_EEES9_SG_JZNS1_25segmented_radix_sort_implINS0_14default_configELb0EPKiPiPKlPlN2at6native12_GLOBAL__N_18offset_tEEE10hipError_tPvRmT1_PNSt15iterator_traitsISY_E10value_typeET2_T3_PNSZ_IS14_E10value_typeET4_jRbjT5_S1A_jjP12ihipStream_tbEUljE_EEESV_SW_SX_S14_S18_S1A_T6_T7_T9_mT8_S1C_bDpT10_ENKUlT_T0_E_clISt17integral_constantIbLb1EES1O_IbLb0EEEEDaS1K_S1L_EUlS1K_E_NS1_11comp_targetILNS1_3genE4ELNS1_11target_archE910ELNS1_3gpuE8ELNS1_3repE0EEENS1_30default_config_static_selectorELNS0_4arch9wavefront6targetE1EEEvSY_.kd
    .uniform_work_group_size: 1
    .uses_dynamic_stack: false
    .vgpr_count:     0
    .vgpr_spill_count: 0
    .wavefront_size: 64
  - .args:
      - .offset:         0
        .size:           144
        .value_kind:     by_value
    .group_segment_fixed_size: 0
    .kernarg_segment_align: 8
    .kernarg_segment_size: 144
    .language:       OpenCL C
    .language_version:
      - 2
      - 0
    .max_flat_workgroup_size: 256
    .name:           _ZN7rocprim17ROCPRIM_400000_NS6detail17trampoline_kernelINS0_13select_configILj256ELj13ELNS0_17block_load_methodE3ELS4_3ELS4_3ELNS0_20block_scan_algorithmE0ELj4294967295EEENS1_25partition_config_selectorILNS1_17partition_subalgoE3EjNS0_10empty_typeEbEEZZNS1_14partition_implILS8_3ELb0ES6_jNS0_17counting_iteratorIjlEEPS9_SE_NS0_5tupleIJPjSE_EEENSF_IJSE_SE_EEES9_SG_JZNS1_25segmented_radix_sort_implINS0_14default_configELb0EPKiPiPKlPlN2at6native12_GLOBAL__N_18offset_tEEE10hipError_tPvRmT1_PNSt15iterator_traitsISY_E10value_typeET2_T3_PNSZ_IS14_E10value_typeET4_jRbjT5_S1A_jjP12ihipStream_tbEUljE_EEESV_SW_SX_S14_S18_S1A_T6_T7_T9_mT8_S1C_bDpT10_ENKUlT_T0_E_clISt17integral_constantIbLb1EES1O_IbLb0EEEEDaS1K_S1L_EUlS1K_E_NS1_11comp_targetILNS1_3genE3ELNS1_11target_archE908ELNS1_3gpuE7ELNS1_3repE0EEENS1_30default_config_static_selectorELNS0_4arch9wavefront6targetE1EEEvSY_
    .private_segment_fixed_size: 0
    .sgpr_count:     4
    .sgpr_spill_count: 0
    .symbol:         _ZN7rocprim17ROCPRIM_400000_NS6detail17trampoline_kernelINS0_13select_configILj256ELj13ELNS0_17block_load_methodE3ELS4_3ELS4_3ELNS0_20block_scan_algorithmE0ELj4294967295EEENS1_25partition_config_selectorILNS1_17partition_subalgoE3EjNS0_10empty_typeEbEEZZNS1_14partition_implILS8_3ELb0ES6_jNS0_17counting_iteratorIjlEEPS9_SE_NS0_5tupleIJPjSE_EEENSF_IJSE_SE_EEES9_SG_JZNS1_25segmented_radix_sort_implINS0_14default_configELb0EPKiPiPKlPlN2at6native12_GLOBAL__N_18offset_tEEE10hipError_tPvRmT1_PNSt15iterator_traitsISY_E10value_typeET2_T3_PNSZ_IS14_E10value_typeET4_jRbjT5_S1A_jjP12ihipStream_tbEUljE_EEESV_SW_SX_S14_S18_S1A_T6_T7_T9_mT8_S1C_bDpT10_ENKUlT_T0_E_clISt17integral_constantIbLb1EES1O_IbLb0EEEEDaS1K_S1L_EUlS1K_E_NS1_11comp_targetILNS1_3genE3ELNS1_11target_archE908ELNS1_3gpuE7ELNS1_3repE0EEENS1_30default_config_static_selectorELNS0_4arch9wavefront6targetE1EEEvSY_.kd
    .uniform_work_group_size: 1
    .uses_dynamic_stack: false
    .vgpr_count:     0
    .vgpr_spill_count: 0
    .wavefront_size: 64
  - .args:
      - .offset:         0
        .size:           144
        .value_kind:     by_value
    .group_segment_fixed_size: 0
    .kernarg_segment_align: 8
    .kernarg_segment_size: 144
    .language:       OpenCL C
    .language_version:
      - 2
      - 0
    .max_flat_workgroup_size: 256
    .name:           _ZN7rocprim17ROCPRIM_400000_NS6detail17trampoline_kernelINS0_13select_configILj256ELj13ELNS0_17block_load_methodE3ELS4_3ELS4_3ELNS0_20block_scan_algorithmE0ELj4294967295EEENS1_25partition_config_selectorILNS1_17partition_subalgoE3EjNS0_10empty_typeEbEEZZNS1_14partition_implILS8_3ELb0ES6_jNS0_17counting_iteratorIjlEEPS9_SE_NS0_5tupleIJPjSE_EEENSF_IJSE_SE_EEES9_SG_JZNS1_25segmented_radix_sort_implINS0_14default_configELb0EPKiPiPKlPlN2at6native12_GLOBAL__N_18offset_tEEE10hipError_tPvRmT1_PNSt15iterator_traitsISY_E10value_typeET2_T3_PNSZ_IS14_E10value_typeET4_jRbjT5_S1A_jjP12ihipStream_tbEUljE_EEESV_SW_SX_S14_S18_S1A_T6_T7_T9_mT8_S1C_bDpT10_ENKUlT_T0_E_clISt17integral_constantIbLb1EES1O_IbLb0EEEEDaS1K_S1L_EUlS1K_E_NS1_11comp_targetILNS1_3genE2ELNS1_11target_archE906ELNS1_3gpuE6ELNS1_3repE0EEENS1_30default_config_static_selectorELNS0_4arch9wavefront6targetE1EEEvSY_
    .private_segment_fixed_size: 0
    .sgpr_count:     4
    .sgpr_spill_count: 0
    .symbol:         _ZN7rocprim17ROCPRIM_400000_NS6detail17trampoline_kernelINS0_13select_configILj256ELj13ELNS0_17block_load_methodE3ELS4_3ELS4_3ELNS0_20block_scan_algorithmE0ELj4294967295EEENS1_25partition_config_selectorILNS1_17partition_subalgoE3EjNS0_10empty_typeEbEEZZNS1_14partition_implILS8_3ELb0ES6_jNS0_17counting_iteratorIjlEEPS9_SE_NS0_5tupleIJPjSE_EEENSF_IJSE_SE_EEES9_SG_JZNS1_25segmented_radix_sort_implINS0_14default_configELb0EPKiPiPKlPlN2at6native12_GLOBAL__N_18offset_tEEE10hipError_tPvRmT1_PNSt15iterator_traitsISY_E10value_typeET2_T3_PNSZ_IS14_E10value_typeET4_jRbjT5_S1A_jjP12ihipStream_tbEUljE_EEESV_SW_SX_S14_S18_S1A_T6_T7_T9_mT8_S1C_bDpT10_ENKUlT_T0_E_clISt17integral_constantIbLb1EES1O_IbLb0EEEEDaS1K_S1L_EUlS1K_E_NS1_11comp_targetILNS1_3genE2ELNS1_11target_archE906ELNS1_3gpuE6ELNS1_3repE0EEENS1_30default_config_static_selectorELNS0_4arch9wavefront6targetE1EEEvSY_.kd
    .uniform_work_group_size: 1
    .uses_dynamic_stack: false
    .vgpr_count:     0
    .vgpr_spill_count: 0
    .wavefront_size: 64
  - .args:
      - .offset:         0
        .size:           144
        .value_kind:     by_value
    .group_segment_fixed_size: 0
    .kernarg_segment_align: 8
    .kernarg_segment_size: 144
    .language:       OpenCL C
    .language_version:
      - 2
      - 0
    .max_flat_workgroup_size: 256
    .name:           _ZN7rocprim17ROCPRIM_400000_NS6detail17trampoline_kernelINS0_13select_configILj256ELj13ELNS0_17block_load_methodE3ELS4_3ELS4_3ELNS0_20block_scan_algorithmE0ELj4294967295EEENS1_25partition_config_selectorILNS1_17partition_subalgoE3EjNS0_10empty_typeEbEEZZNS1_14partition_implILS8_3ELb0ES6_jNS0_17counting_iteratorIjlEEPS9_SE_NS0_5tupleIJPjSE_EEENSF_IJSE_SE_EEES9_SG_JZNS1_25segmented_radix_sort_implINS0_14default_configELb0EPKiPiPKlPlN2at6native12_GLOBAL__N_18offset_tEEE10hipError_tPvRmT1_PNSt15iterator_traitsISY_E10value_typeET2_T3_PNSZ_IS14_E10value_typeET4_jRbjT5_S1A_jjP12ihipStream_tbEUljE_EEESV_SW_SX_S14_S18_S1A_T6_T7_T9_mT8_S1C_bDpT10_ENKUlT_T0_E_clISt17integral_constantIbLb1EES1O_IbLb0EEEEDaS1K_S1L_EUlS1K_E_NS1_11comp_targetILNS1_3genE10ELNS1_11target_archE1200ELNS1_3gpuE4ELNS1_3repE0EEENS1_30default_config_static_selectorELNS0_4arch9wavefront6targetE1EEEvSY_
    .private_segment_fixed_size: 0
    .sgpr_count:     4
    .sgpr_spill_count: 0
    .symbol:         _ZN7rocprim17ROCPRIM_400000_NS6detail17trampoline_kernelINS0_13select_configILj256ELj13ELNS0_17block_load_methodE3ELS4_3ELS4_3ELNS0_20block_scan_algorithmE0ELj4294967295EEENS1_25partition_config_selectorILNS1_17partition_subalgoE3EjNS0_10empty_typeEbEEZZNS1_14partition_implILS8_3ELb0ES6_jNS0_17counting_iteratorIjlEEPS9_SE_NS0_5tupleIJPjSE_EEENSF_IJSE_SE_EEES9_SG_JZNS1_25segmented_radix_sort_implINS0_14default_configELb0EPKiPiPKlPlN2at6native12_GLOBAL__N_18offset_tEEE10hipError_tPvRmT1_PNSt15iterator_traitsISY_E10value_typeET2_T3_PNSZ_IS14_E10value_typeET4_jRbjT5_S1A_jjP12ihipStream_tbEUljE_EEESV_SW_SX_S14_S18_S1A_T6_T7_T9_mT8_S1C_bDpT10_ENKUlT_T0_E_clISt17integral_constantIbLb1EES1O_IbLb0EEEEDaS1K_S1L_EUlS1K_E_NS1_11comp_targetILNS1_3genE10ELNS1_11target_archE1200ELNS1_3gpuE4ELNS1_3repE0EEENS1_30default_config_static_selectorELNS0_4arch9wavefront6targetE1EEEvSY_.kd
    .uniform_work_group_size: 1
    .uses_dynamic_stack: false
    .vgpr_count:     0
    .vgpr_spill_count: 0
    .wavefront_size: 64
  - .args:
      - .offset:         0
        .size:           144
        .value_kind:     by_value
    .group_segment_fixed_size: 0
    .kernarg_segment_align: 8
    .kernarg_segment_size: 144
    .language:       OpenCL C
    .language_version:
      - 2
      - 0
    .max_flat_workgroup_size: 256
    .name:           _ZN7rocprim17ROCPRIM_400000_NS6detail17trampoline_kernelINS0_13select_configILj256ELj13ELNS0_17block_load_methodE3ELS4_3ELS4_3ELNS0_20block_scan_algorithmE0ELj4294967295EEENS1_25partition_config_selectorILNS1_17partition_subalgoE3EjNS0_10empty_typeEbEEZZNS1_14partition_implILS8_3ELb0ES6_jNS0_17counting_iteratorIjlEEPS9_SE_NS0_5tupleIJPjSE_EEENSF_IJSE_SE_EEES9_SG_JZNS1_25segmented_radix_sort_implINS0_14default_configELb0EPKiPiPKlPlN2at6native12_GLOBAL__N_18offset_tEEE10hipError_tPvRmT1_PNSt15iterator_traitsISY_E10value_typeET2_T3_PNSZ_IS14_E10value_typeET4_jRbjT5_S1A_jjP12ihipStream_tbEUljE_EEESV_SW_SX_S14_S18_S1A_T6_T7_T9_mT8_S1C_bDpT10_ENKUlT_T0_E_clISt17integral_constantIbLb1EES1O_IbLb0EEEEDaS1K_S1L_EUlS1K_E_NS1_11comp_targetILNS1_3genE9ELNS1_11target_archE1100ELNS1_3gpuE3ELNS1_3repE0EEENS1_30default_config_static_selectorELNS0_4arch9wavefront6targetE1EEEvSY_
    .private_segment_fixed_size: 0
    .sgpr_count:     4
    .sgpr_spill_count: 0
    .symbol:         _ZN7rocprim17ROCPRIM_400000_NS6detail17trampoline_kernelINS0_13select_configILj256ELj13ELNS0_17block_load_methodE3ELS4_3ELS4_3ELNS0_20block_scan_algorithmE0ELj4294967295EEENS1_25partition_config_selectorILNS1_17partition_subalgoE3EjNS0_10empty_typeEbEEZZNS1_14partition_implILS8_3ELb0ES6_jNS0_17counting_iteratorIjlEEPS9_SE_NS0_5tupleIJPjSE_EEENSF_IJSE_SE_EEES9_SG_JZNS1_25segmented_radix_sort_implINS0_14default_configELb0EPKiPiPKlPlN2at6native12_GLOBAL__N_18offset_tEEE10hipError_tPvRmT1_PNSt15iterator_traitsISY_E10value_typeET2_T3_PNSZ_IS14_E10value_typeET4_jRbjT5_S1A_jjP12ihipStream_tbEUljE_EEESV_SW_SX_S14_S18_S1A_T6_T7_T9_mT8_S1C_bDpT10_ENKUlT_T0_E_clISt17integral_constantIbLb1EES1O_IbLb0EEEEDaS1K_S1L_EUlS1K_E_NS1_11comp_targetILNS1_3genE9ELNS1_11target_archE1100ELNS1_3gpuE3ELNS1_3repE0EEENS1_30default_config_static_selectorELNS0_4arch9wavefront6targetE1EEEvSY_.kd
    .uniform_work_group_size: 1
    .uses_dynamic_stack: false
    .vgpr_count:     0
    .vgpr_spill_count: 0
    .wavefront_size: 64
  - .args:
      - .offset:         0
        .size:           144
        .value_kind:     by_value
    .group_segment_fixed_size: 0
    .kernarg_segment_align: 8
    .kernarg_segment_size: 144
    .language:       OpenCL C
    .language_version:
      - 2
      - 0
    .max_flat_workgroup_size: 256
    .name:           _ZN7rocprim17ROCPRIM_400000_NS6detail17trampoline_kernelINS0_13select_configILj256ELj13ELNS0_17block_load_methodE3ELS4_3ELS4_3ELNS0_20block_scan_algorithmE0ELj4294967295EEENS1_25partition_config_selectorILNS1_17partition_subalgoE3EjNS0_10empty_typeEbEEZZNS1_14partition_implILS8_3ELb0ES6_jNS0_17counting_iteratorIjlEEPS9_SE_NS0_5tupleIJPjSE_EEENSF_IJSE_SE_EEES9_SG_JZNS1_25segmented_radix_sort_implINS0_14default_configELb0EPKiPiPKlPlN2at6native12_GLOBAL__N_18offset_tEEE10hipError_tPvRmT1_PNSt15iterator_traitsISY_E10value_typeET2_T3_PNSZ_IS14_E10value_typeET4_jRbjT5_S1A_jjP12ihipStream_tbEUljE_EEESV_SW_SX_S14_S18_S1A_T6_T7_T9_mT8_S1C_bDpT10_ENKUlT_T0_E_clISt17integral_constantIbLb1EES1O_IbLb0EEEEDaS1K_S1L_EUlS1K_E_NS1_11comp_targetILNS1_3genE8ELNS1_11target_archE1030ELNS1_3gpuE2ELNS1_3repE0EEENS1_30default_config_static_selectorELNS0_4arch9wavefront6targetE1EEEvSY_
    .private_segment_fixed_size: 0
    .sgpr_count:     4
    .sgpr_spill_count: 0
    .symbol:         _ZN7rocprim17ROCPRIM_400000_NS6detail17trampoline_kernelINS0_13select_configILj256ELj13ELNS0_17block_load_methodE3ELS4_3ELS4_3ELNS0_20block_scan_algorithmE0ELj4294967295EEENS1_25partition_config_selectorILNS1_17partition_subalgoE3EjNS0_10empty_typeEbEEZZNS1_14partition_implILS8_3ELb0ES6_jNS0_17counting_iteratorIjlEEPS9_SE_NS0_5tupleIJPjSE_EEENSF_IJSE_SE_EEES9_SG_JZNS1_25segmented_radix_sort_implINS0_14default_configELb0EPKiPiPKlPlN2at6native12_GLOBAL__N_18offset_tEEE10hipError_tPvRmT1_PNSt15iterator_traitsISY_E10value_typeET2_T3_PNSZ_IS14_E10value_typeET4_jRbjT5_S1A_jjP12ihipStream_tbEUljE_EEESV_SW_SX_S14_S18_S1A_T6_T7_T9_mT8_S1C_bDpT10_ENKUlT_T0_E_clISt17integral_constantIbLb1EES1O_IbLb0EEEEDaS1K_S1L_EUlS1K_E_NS1_11comp_targetILNS1_3genE8ELNS1_11target_archE1030ELNS1_3gpuE2ELNS1_3repE0EEENS1_30default_config_static_selectorELNS0_4arch9wavefront6targetE1EEEvSY_.kd
    .uniform_work_group_size: 1
    .uses_dynamic_stack: false
    .vgpr_count:     0
    .vgpr_spill_count: 0
    .wavefront_size: 64
  - .args:
      - .offset:         0
        .size:           152
        .value_kind:     by_value
    .group_segment_fixed_size: 0
    .kernarg_segment_align: 8
    .kernarg_segment_size: 152
    .language:       OpenCL C
    .language_version:
      - 2
      - 0
    .max_flat_workgroup_size: 256
    .name:           _ZN7rocprim17ROCPRIM_400000_NS6detail17trampoline_kernelINS0_13select_configILj256ELj13ELNS0_17block_load_methodE3ELS4_3ELS4_3ELNS0_20block_scan_algorithmE0ELj4294967295EEENS1_25partition_config_selectorILNS1_17partition_subalgoE3EjNS0_10empty_typeEbEEZZNS1_14partition_implILS8_3ELb0ES6_jNS0_17counting_iteratorIjlEEPS9_SE_NS0_5tupleIJPjSE_EEENSF_IJSE_SE_EEES9_SG_JZNS1_25segmented_radix_sort_implINS0_14default_configELb0EPKiPiPKlPlN2at6native12_GLOBAL__N_18offset_tEEE10hipError_tPvRmT1_PNSt15iterator_traitsISY_E10value_typeET2_T3_PNSZ_IS14_E10value_typeET4_jRbjT5_S1A_jjP12ihipStream_tbEUljE_EEESV_SW_SX_S14_S18_S1A_T6_T7_T9_mT8_S1C_bDpT10_ENKUlT_T0_E_clISt17integral_constantIbLb0EES1O_IbLb1EEEEDaS1K_S1L_EUlS1K_E_NS1_11comp_targetILNS1_3genE0ELNS1_11target_archE4294967295ELNS1_3gpuE0ELNS1_3repE0EEENS1_30default_config_static_selectorELNS0_4arch9wavefront6targetE1EEEvSY_
    .private_segment_fixed_size: 0
    .sgpr_count:     4
    .sgpr_spill_count: 0
    .symbol:         _ZN7rocprim17ROCPRIM_400000_NS6detail17trampoline_kernelINS0_13select_configILj256ELj13ELNS0_17block_load_methodE3ELS4_3ELS4_3ELNS0_20block_scan_algorithmE0ELj4294967295EEENS1_25partition_config_selectorILNS1_17partition_subalgoE3EjNS0_10empty_typeEbEEZZNS1_14partition_implILS8_3ELb0ES6_jNS0_17counting_iteratorIjlEEPS9_SE_NS0_5tupleIJPjSE_EEENSF_IJSE_SE_EEES9_SG_JZNS1_25segmented_radix_sort_implINS0_14default_configELb0EPKiPiPKlPlN2at6native12_GLOBAL__N_18offset_tEEE10hipError_tPvRmT1_PNSt15iterator_traitsISY_E10value_typeET2_T3_PNSZ_IS14_E10value_typeET4_jRbjT5_S1A_jjP12ihipStream_tbEUljE_EEESV_SW_SX_S14_S18_S1A_T6_T7_T9_mT8_S1C_bDpT10_ENKUlT_T0_E_clISt17integral_constantIbLb0EES1O_IbLb1EEEEDaS1K_S1L_EUlS1K_E_NS1_11comp_targetILNS1_3genE0ELNS1_11target_archE4294967295ELNS1_3gpuE0ELNS1_3repE0EEENS1_30default_config_static_selectorELNS0_4arch9wavefront6targetE1EEEvSY_.kd
    .uniform_work_group_size: 1
    .uses_dynamic_stack: false
    .vgpr_count:     0
    .vgpr_spill_count: 0
    .wavefront_size: 64
  - .args:
      - .offset:         0
        .size:           152
        .value_kind:     by_value
    .group_segment_fixed_size: 0
    .kernarg_segment_align: 8
    .kernarg_segment_size: 152
    .language:       OpenCL C
    .language_version:
      - 2
      - 0
    .max_flat_workgroup_size: 256
    .name:           _ZN7rocprim17ROCPRIM_400000_NS6detail17trampoline_kernelINS0_13select_configILj256ELj13ELNS0_17block_load_methodE3ELS4_3ELS4_3ELNS0_20block_scan_algorithmE0ELj4294967295EEENS1_25partition_config_selectorILNS1_17partition_subalgoE3EjNS0_10empty_typeEbEEZZNS1_14partition_implILS8_3ELb0ES6_jNS0_17counting_iteratorIjlEEPS9_SE_NS0_5tupleIJPjSE_EEENSF_IJSE_SE_EEES9_SG_JZNS1_25segmented_radix_sort_implINS0_14default_configELb0EPKiPiPKlPlN2at6native12_GLOBAL__N_18offset_tEEE10hipError_tPvRmT1_PNSt15iterator_traitsISY_E10value_typeET2_T3_PNSZ_IS14_E10value_typeET4_jRbjT5_S1A_jjP12ihipStream_tbEUljE_EEESV_SW_SX_S14_S18_S1A_T6_T7_T9_mT8_S1C_bDpT10_ENKUlT_T0_E_clISt17integral_constantIbLb0EES1O_IbLb1EEEEDaS1K_S1L_EUlS1K_E_NS1_11comp_targetILNS1_3genE5ELNS1_11target_archE942ELNS1_3gpuE9ELNS1_3repE0EEENS1_30default_config_static_selectorELNS0_4arch9wavefront6targetE1EEEvSY_
    .private_segment_fixed_size: 0
    .sgpr_count:     4
    .sgpr_spill_count: 0
    .symbol:         _ZN7rocprim17ROCPRIM_400000_NS6detail17trampoline_kernelINS0_13select_configILj256ELj13ELNS0_17block_load_methodE3ELS4_3ELS4_3ELNS0_20block_scan_algorithmE0ELj4294967295EEENS1_25partition_config_selectorILNS1_17partition_subalgoE3EjNS0_10empty_typeEbEEZZNS1_14partition_implILS8_3ELb0ES6_jNS0_17counting_iteratorIjlEEPS9_SE_NS0_5tupleIJPjSE_EEENSF_IJSE_SE_EEES9_SG_JZNS1_25segmented_radix_sort_implINS0_14default_configELb0EPKiPiPKlPlN2at6native12_GLOBAL__N_18offset_tEEE10hipError_tPvRmT1_PNSt15iterator_traitsISY_E10value_typeET2_T3_PNSZ_IS14_E10value_typeET4_jRbjT5_S1A_jjP12ihipStream_tbEUljE_EEESV_SW_SX_S14_S18_S1A_T6_T7_T9_mT8_S1C_bDpT10_ENKUlT_T0_E_clISt17integral_constantIbLb0EES1O_IbLb1EEEEDaS1K_S1L_EUlS1K_E_NS1_11comp_targetILNS1_3genE5ELNS1_11target_archE942ELNS1_3gpuE9ELNS1_3repE0EEENS1_30default_config_static_selectorELNS0_4arch9wavefront6targetE1EEEvSY_.kd
    .uniform_work_group_size: 1
    .uses_dynamic_stack: false
    .vgpr_count:     0
    .vgpr_spill_count: 0
    .wavefront_size: 64
  - .args:
      - .offset:         0
        .size:           152
        .value_kind:     by_value
    .group_segment_fixed_size: 0
    .kernarg_segment_align: 8
    .kernarg_segment_size: 152
    .language:       OpenCL C
    .language_version:
      - 2
      - 0
    .max_flat_workgroup_size: 256
    .name:           _ZN7rocprim17ROCPRIM_400000_NS6detail17trampoline_kernelINS0_13select_configILj256ELj13ELNS0_17block_load_methodE3ELS4_3ELS4_3ELNS0_20block_scan_algorithmE0ELj4294967295EEENS1_25partition_config_selectorILNS1_17partition_subalgoE3EjNS0_10empty_typeEbEEZZNS1_14partition_implILS8_3ELb0ES6_jNS0_17counting_iteratorIjlEEPS9_SE_NS0_5tupleIJPjSE_EEENSF_IJSE_SE_EEES9_SG_JZNS1_25segmented_radix_sort_implINS0_14default_configELb0EPKiPiPKlPlN2at6native12_GLOBAL__N_18offset_tEEE10hipError_tPvRmT1_PNSt15iterator_traitsISY_E10value_typeET2_T3_PNSZ_IS14_E10value_typeET4_jRbjT5_S1A_jjP12ihipStream_tbEUljE_EEESV_SW_SX_S14_S18_S1A_T6_T7_T9_mT8_S1C_bDpT10_ENKUlT_T0_E_clISt17integral_constantIbLb0EES1O_IbLb1EEEEDaS1K_S1L_EUlS1K_E_NS1_11comp_targetILNS1_3genE4ELNS1_11target_archE910ELNS1_3gpuE8ELNS1_3repE0EEENS1_30default_config_static_selectorELNS0_4arch9wavefront6targetE1EEEvSY_
    .private_segment_fixed_size: 0
    .sgpr_count:     4
    .sgpr_spill_count: 0
    .symbol:         _ZN7rocprim17ROCPRIM_400000_NS6detail17trampoline_kernelINS0_13select_configILj256ELj13ELNS0_17block_load_methodE3ELS4_3ELS4_3ELNS0_20block_scan_algorithmE0ELj4294967295EEENS1_25partition_config_selectorILNS1_17partition_subalgoE3EjNS0_10empty_typeEbEEZZNS1_14partition_implILS8_3ELb0ES6_jNS0_17counting_iteratorIjlEEPS9_SE_NS0_5tupleIJPjSE_EEENSF_IJSE_SE_EEES9_SG_JZNS1_25segmented_radix_sort_implINS0_14default_configELb0EPKiPiPKlPlN2at6native12_GLOBAL__N_18offset_tEEE10hipError_tPvRmT1_PNSt15iterator_traitsISY_E10value_typeET2_T3_PNSZ_IS14_E10value_typeET4_jRbjT5_S1A_jjP12ihipStream_tbEUljE_EEESV_SW_SX_S14_S18_S1A_T6_T7_T9_mT8_S1C_bDpT10_ENKUlT_T0_E_clISt17integral_constantIbLb0EES1O_IbLb1EEEEDaS1K_S1L_EUlS1K_E_NS1_11comp_targetILNS1_3genE4ELNS1_11target_archE910ELNS1_3gpuE8ELNS1_3repE0EEENS1_30default_config_static_selectorELNS0_4arch9wavefront6targetE1EEEvSY_.kd
    .uniform_work_group_size: 1
    .uses_dynamic_stack: false
    .vgpr_count:     0
    .vgpr_spill_count: 0
    .wavefront_size: 64
  - .args:
      - .offset:         0
        .size:           152
        .value_kind:     by_value
    .group_segment_fixed_size: 0
    .kernarg_segment_align: 8
    .kernarg_segment_size: 152
    .language:       OpenCL C
    .language_version:
      - 2
      - 0
    .max_flat_workgroup_size: 256
    .name:           _ZN7rocprim17ROCPRIM_400000_NS6detail17trampoline_kernelINS0_13select_configILj256ELj13ELNS0_17block_load_methodE3ELS4_3ELS4_3ELNS0_20block_scan_algorithmE0ELj4294967295EEENS1_25partition_config_selectorILNS1_17partition_subalgoE3EjNS0_10empty_typeEbEEZZNS1_14partition_implILS8_3ELb0ES6_jNS0_17counting_iteratorIjlEEPS9_SE_NS0_5tupleIJPjSE_EEENSF_IJSE_SE_EEES9_SG_JZNS1_25segmented_radix_sort_implINS0_14default_configELb0EPKiPiPKlPlN2at6native12_GLOBAL__N_18offset_tEEE10hipError_tPvRmT1_PNSt15iterator_traitsISY_E10value_typeET2_T3_PNSZ_IS14_E10value_typeET4_jRbjT5_S1A_jjP12ihipStream_tbEUljE_EEESV_SW_SX_S14_S18_S1A_T6_T7_T9_mT8_S1C_bDpT10_ENKUlT_T0_E_clISt17integral_constantIbLb0EES1O_IbLb1EEEEDaS1K_S1L_EUlS1K_E_NS1_11comp_targetILNS1_3genE3ELNS1_11target_archE908ELNS1_3gpuE7ELNS1_3repE0EEENS1_30default_config_static_selectorELNS0_4arch9wavefront6targetE1EEEvSY_
    .private_segment_fixed_size: 0
    .sgpr_count:     4
    .sgpr_spill_count: 0
    .symbol:         _ZN7rocprim17ROCPRIM_400000_NS6detail17trampoline_kernelINS0_13select_configILj256ELj13ELNS0_17block_load_methodE3ELS4_3ELS4_3ELNS0_20block_scan_algorithmE0ELj4294967295EEENS1_25partition_config_selectorILNS1_17partition_subalgoE3EjNS0_10empty_typeEbEEZZNS1_14partition_implILS8_3ELb0ES6_jNS0_17counting_iteratorIjlEEPS9_SE_NS0_5tupleIJPjSE_EEENSF_IJSE_SE_EEES9_SG_JZNS1_25segmented_radix_sort_implINS0_14default_configELb0EPKiPiPKlPlN2at6native12_GLOBAL__N_18offset_tEEE10hipError_tPvRmT1_PNSt15iterator_traitsISY_E10value_typeET2_T3_PNSZ_IS14_E10value_typeET4_jRbjT5_S1A_jjP12ihipStream_tbEUljE_EEESV_SW_SX_S14_S18_S1A_T6_T7_T9_mT8_S1C_bDpT10_ENKUlT_T0_E_clISt17integral_constantIbLb0EES1O_IbLb1EEEEDaS1K_S1L_EUlS1K_E_NS1_11comp_targetILNS1_3genE3ELNS1_11target_archE908ELNS1_3gpuE7ELNS1_3repE0EEENS1_30default_config_static_selectorELNS0_4arch9wavefront6targetE1EEEvSY_.kd
    .uniform_work_group_size: 1
    .uses_dynamic_stack: false
    .vgpr_count:     0
    .vgpr_spill_count: 0
    .wavefront_size: 64
  - .args:
      - .offset:         0
        .size:           152
        .value_kind:     by_value
    .group_segment_fixed_size: 13320
    .kernarg_segment_align: 8
    .kernarg_segment_size: 152
    .language:       OpenCL C
    .language_version:
      - 2
      - 0
    .max_flat_workgroup_size: 256
    .name:           _ZN7rocprim17ROCPRIM_400000_NS6detail17trampoline_kernelINS0_13select_configILj256ELj13ELNS0_17block_load_methodE3ELS4_3ELS4_3ELNS0_20block_scan_algorithmE0ELj4294967295EEENS1_25partition_config_selectorILNS1_17partition_subalgoE3EjNS0_10empty_typeEbEEZZNS1_14partition_implILS8_3ELb0ES6_jNS0_17counting_iteratorIjlEEPS9_SE_NS0_5tupleIJPjSE_EEENSF_IJSE_SE_EEES9_SG_JZNS1_25segmented_radix_sort_implINS0_14default_configELb0EPKiPiPKlPlN2at6native12_GLOBAL__N_18offset_tEEE10hipError_tPvRmT1_PNSt15iterator_traitsISY_E10value_typeET2_T3_PNSZ_IS14_E10value_typeET4_jRbjT5_S1A_jjP12ihipStream_tbEUljE_EEESV_SW_SX_S14_S18_S1A_T6_T7_T9_mT8_S1C_bDpT10_ENKUlT_T0_E_clISt17integral_constantIbLb0EES1O_IbLb1EEEEDaS1K_S1L_EUlS1K_E_NS1_11comp_targetILNS1_3genE2ELNS1_11target_archE906ELNS1_3gpuE6ELNS1_3repE0EEENS1_30default_config_static_selectorELNS0_4arch9wavefront6targetE1EEEvSY_
    .private_segment_fixed_size: 0
    .sgpr_count:     50
    .sgpr_spill_count: 0
    .symbol:         _ZN7rocprim17ROCPRIM_400000_NS6detail17trampoline_kernelINS0_13select_configILj256ELj13ELNS0_17block_load_methodE3ELS4_3ELS4_3ELNS0_20block_scan_algorithmE0ELj4294967295EEENS1_25partition_config_selectorILNS1_17partition_subalgoE3EjNS0_10empty_typeEbEEZZNS1_14partition_implILS8_3ELb0ES6_jNS0_17counting_iteratorIjlEEPS9_SE_NS0_5tupleIJPjSE_EEENSF_IJSE_SE_EEES9_SG_JZNS1_25segmented_radix_sort_implINS0_14default_configELb0EPKiPiPKlPlN2at6native12_GLOBAL__N_18offset_tEEE10hipError_tPvRmT1_PNSt15iterator_traitsISY_E10value_typeET2_T3_PNSZ_IS14_E10value_typeET4_jRbjT5_S1A_jjP12ihipStream_tbEUljE_EEESV_SW_SX_S14_S18_S1A_T6_T7_T9_mT8_S1C_bDpT10_ENKUlT_T0_E_clISt17integral_constantIbLb0EES1O_IbLb1EEEEDaS1K_S1L_EUlS1K_E_NS1_11comp_targetILNS1_3genE2ELNS1_11target_archE906ELNS1_3gpuE6ELNS1_3repE0EEENS1_30default_config_static_selectorELNS0_4arch9wavefront6targetE1EEEvSY_.kd
    .uniform_work_group_size: 1
    .uses_dynamic_stack: false
    .vgpr_count:     71
    .vgpr_spill_count: 0
    .wavefront_size: 64
  - .args:
      - .offset:         0
        .size:           152
        .value_kind:     by_value
    .group_segment_fixed_size: 0
    .kernarg_segment_align: 8
    .kernarg_segment_size: 152
    .language:       OpenCL C
    .language_version:
      - 2
      - 0
    .max_flat_workgroup_size: 256
    .name:           _ZN7rocprim17ROCPRIM_400000_NS6detail17trampoline_kernelINS0_13select_configILj256ELj13ELNS0_17block_load_methodE3ELS4_3ELS4_3ELNS0_20block_scan_algorithmE0ELj4294967295EEENS1_25partition_config_selectorILNS1_17partition_subalgoE3EjNS0_10empty_typeEbEEZZNS1_14partition_implILS8_3ELb0ES6_jNS0_17counting_iteratorIjlEEPS9_SE_NS0_5tupleIJPjSE_EEENSF_IJSE_SE_EEES9_SG_JZNS1_25segmented_radix_sort_implINS0_14default_configELb0EPKiPiPKlPlN2at6native12_GLOBAL__N_18offset_tEEE10hipError_tPvRmT1_PNSt15iterator_traitsISY_E10value_typeET2_T3_PNSZ_IS14_E10value_typeET4_jRbjT5_S1A_jjP12ihipStream_tbEUljE_EEESV_SW_SX_S14_S18_S1A_T6_T7_T9_mT8_S1C_bDpT10_ENKUlT_T0_E_clISt17integral_constantIbLb0EES1O_IbLb1EEEEDaS1K_S1L_EUlS1K_E_NS1_11comp_targetILNS1_3genE10ELNS1_11target_archE1200ELNS1_3gpuE4ELNS1_3repE0EEENS1_30default_config_static_selectorELNS0_4arch9wavefront6targetE1EEEvSY_
    .private_segment_fixed_size: 0
    .sgpr_count:     4
    .sgpr_spill_count: 0
    .symbol:         _ZN7rocprim17ROCPRIM_400000_NS6detail17trampoline_kernelINS0_13select_configILj256ELj13ELNS0_17block_load_methodE3ELS4_3ELS4_3ELNS0_20block_scan_algorithmE0ELj4294967295EEENS1_25partition_config_selectorILNS1_17partition_subalgoE3EjNS0_10empty_typeEbEEZZNS1_14partition_implILS8_3ELb0ES6_jNS0_17counting_iteratorIjlEEPS9_SE_NS0_5tupleIJPjSE_EEENSF_IJSE_SE_EEES9_SG_JZNS1_25segmented_radix_sort_implINS0_14default_configELb0EPKiPiPKlPlN2at6native12_GLOBAL__N_18offset_tEEE10hipError_tPvRmT1_PNSt15iterator_traitsISY_E10value_typeET2_T3_PNSZ_IS14_E10value_typeET4_jRbjT5_S1A_jjP12ihipStream_tbEUljE_EEESV_SW_SX_S14_S18_S1A_T6_T7_T9_mT8_S1C_bDpT10_ENKUlT_T0_E_clISt17integral_constantIbLb0EES1O_IbLb1EEEEDaS1K_S1L_EUlS1K_E_NS1_11comp_targetILNS1_3genE10ELNS1_11target_archE1200ELNS1_3gpuE4ELNS1_3repE0EEENS1_30default_config_static_selectorELNS0_4arch9wavefront6targetE1EEEvSY_.kd
    .uniform_work_group_size: 1
    .uses_dynamic_stack: false
    .vgpr_count:     0
    .vgpr_spill_count: 0
    .wavefront_size: 64
  - .args:
      - .offset:         0
        .size:           152
        .value_kind:     by_value
    .group_segment_fixed_size: 0
    .kernarg_segment_align: 8
    .kernarg_segment_size: 152
    .language:       OpenCL C
    .language_version:
      - 2
      - 0
    .max_flat_workgroup_size: 256
    .name:           _ZN7rocprim17ROCPRIM_400000_NS6detail17trampoline_kernelINS0_13select_configILj256ELj13ELNS0_17block_load_methodE3ELS4_3ELS4_3ELNS0_20block_scan_algorithmE0ELj4294967295EEENS1_25partition_config_selectorILNS1_17partition_subalgoE3EjNS0_10empty_typeEbEEZZNS1_14partition_implILS8_3ELb0ES6_jNS0_17counting_iteratorIjlEEPS9_SE_NS0_5tupleIJPjSE_EEENSF_IJSE_SE_EEES9_SG_JZNS1_25segmented_radix_sort_implINS0_14default_configELb0EPKiPiPKlPlN2at6native12_GLOBAL__N_18offset_tEEE10hipError_tPvRmT1_PNSt15iterator_traitsISY_E10value_typeET2_T3_PNSZ_IS14_E10value_typeET4_jRbjT5_S1A_jjP12ihipStream_tbEUljE_EEESV_SW_SX_S14_S18_S1A_T6_T7_T9_mT8_S1C_bDpT10_ENKUlT_T0_E_clISt17integral_constantIbLb0EES1O_IbLb1EEEEDaS1K_S1L_EUlS1K_E_NS1_11comp_targetILNS1_3genE9ELNS1_11target_archE1100ELNS1_3gpuE3ELNS1_3repE0EEENS1_30default_config_static_selectorELNS0_4arch9wavefront6targetE1EEEvSY_
    .private_segment_fixed_size: 0
    .sgpr_count:     4
    .sgpr_spill_count: 0
    .symbol:         _ZN7rocprim17ROCPRIM_400000_NS6detail17trampoline_kernelINS0_13select_configILj256ELj13ELNS0_17block_load_methodE3ELS4_3ELS4_3ELNS0_20block_scan_algorithmE0ELj4294967295EEENS1_25partition_config_selectorILNS1_17partition_subalgoE3EjNS0_10empty_typeEbEEZZNS1_14partition_implILS8_3ELb0ES6_jNS0_17counting_iteratorIjlEEPS9_SE_NS0_5tupleIJPjSE_EEENSF_IJSE_SE_EEES9_SG_JZNS1_25segmented_radix_sort_implINS0_14default_configELb0EPKiPiPKlPlN2at6native12_GLOBAL__N_18offset_tEEE10hipError_tPvRmT1_PNSt15iterator_traitsISY_E10value_typeET2_T3_PNSZ_IS14_E10value_typeET4_jRbjT5_S1A_jjP12ihipStream_tbEUljE_EEESV_SW_SX_S14_S18_S1A_T6_T7_T9_mT8_S1C_bDpT10_ENKUlT_T0_E_clISt17integral_constantIbLb0EES1O_IbLb1EEEEDaS1K_S1L_EUlS1K_E_NS1_11comp_targetILNS1_3genE9ELNS1_11target_archE1100ELNS1_3gpuE3ELNS1_3repE0EEENS1_30default_config_static_selectorELNS0_4arch9wavefront6targetE1EEEvSY_.kd
    .uniform_work_group_size: 1
    .uses_dynamic_stack: false
    .vgpr_count:     0
    .vgpr_spill_count: 0
    .wavefront_size: 64
  - .args:
      - .offset:         0
        .size:           152
        .value_kind:     by_value
    .group_segment_fixed_size: 0
    .kernarg_segment_align: 8
    .kernarg_segment_size: 152
    .language:       OpenCL C
    .language_version:
      - 2
      - 0
    .max_flat_workgroup_size: 256
    .name:           _ZN7rocprim17ROCPRIM_400000_NS6detail17trampoline_kernelINS0_13select_configILj256ELj13ELNS0_17block_load_methodE3ELS4_3ELS4_3ELNS0_20block_scan_algorithmE0ELj4294967295EEENS1_25partition_config_selectorILNS1_17partition_subalgoE3EjNS0_10empty_typeEbEEZZNS1_14partition_implILS8_3ELb0ES6_jNS0_17counting_iteratorIjlEEPS9_SE_NS0_5tupleIJPjSE_EEENSF_IJSE_SE_EEES9_SG_JZNS1_25segmented_radix_sort_implINS0_14default_configELb0EPKiPiPKlPlN2at6native12_GLOBAL__N_18offset_tEEE10hipError_tPvRmT1_PNSt15iterator_traitsISY_E10value_typeET2_T3_PNSZ_IS14_E10value_typeET4_jRbjT5_S1A_jjP12ihipStream_tbEUljE_EEESV_SW_SX_S14_S18_S1A_T6_T7_T9_mT8_S1C_bDpT10_ENKUlT_T0_E_clISt17integral_constantIbLb0EES1O_IbLb1EEEEDaS1K_S1L_EUlS1K_E_NS1_11comp_targetILNS1_3genE8ELNS1_11target_archE1030ELNS1_3gpuE2ELNS1_3repE0EEENS1_30default_config_static_selectorELNS0_4arch9wavefront6targetE1EEEvSY_
    .private_segment_fixed_size: 0
    .sgpr_count:     4
    .sgpr_spill_count: 0
    .symbol:         _ZN7rocprim17ROCPRIM_400000_NS6detail17trampoline_kernelINS0_13select_configILj256ELj13ELNS0_17block_load_methodE3ELS4_3ELS4_3ELNS0_20block_scan_algorithmE0ELj4294967295EEENS1_25partition_config_selectorILNS1_17partition_subalgoE3EjNS0_10empty_typeEbEEZZNS1_14partition_implILS8_3ELb0ES6_jNS0_17counting_iteratorIjlEEPS9_SE_NS0_5tupleIJPjSE_EEENSF_IJSE_SE_EEES9_SG_JZNS1_25segmented_radix_sort_implINS0_14default_configELb0EPKiPiPKlPlN2at6native12_GLOBAL__N_18offset_tEEE10hipError_tPvRmT1_PNSt15iterator_traitsISY_E10value_typeET2_T3_PNSZ_IS14_E10value_typeET4_jRbjT5_S1A_jjP12ihipStream_tbEUljE_EEESV_SW_SX_S14_S18_S1A_T6_T7_T9_mT8_S1C_bDpT10_ENKUlT_T0_E_clISt17integral_constantIbLb0EES1O_IbLb1EEEEDaS1K_S1L_EUlS1K_E_NS1_11comp_targetILNS1_3genE8ELNS1_11target_archE1030ELNS1_3gpuE2ELNS1_3repE0EEENS1_30default_config_static_selectorELNS0_4arch9wavefront6targetE1EEEvSY_.kd
    .uniform_work_group_size: 1
    .uses_dynamic_stack: false
    .vgpr_count:     0
    .vgpr_spill_count: 0
    .wavefront_size: 64
  - .args:
      - .offset:         0
        .size:           96
        .value_kind:     by_value
    .group_segment_fixed_size: 0
    .kernarg_segment_align: 8
    .kernarg_segment_size: 96
    .language:       OpenCL C
    .language_version:
      - 2
      - 0
    .max_flat_workgroup_size: 256
    .name:           _ZN7rocprim17ROCPRIM_400000_NS6detail17trampoline_kernelINS0_14default_configENS1_36segmented_radix_sort_config_selectorIilEEZNS1_25segmented_radix_sort_implIS3_Lb0EPKiPiPKlPlN2at6native12_GLOBAL__N_18offset_tEEE10hipError_tPvRmT1_PNSt15iterator_traitsISK_E10value_typeET2_T3_PNSL_ISQ_E10value_typeET4_jRbjT5_SW_jjP12ihipStream_tbEUlT_E_NS1_11comp_targetILNS1_3genE0ELNS1_11target_archE4294967295ELNS1_3gpuE0ELNS1_3repE0EEENS1_30default_config_static_selectorELNS0_4arch9wavefront6targetE1EEEvSK_
    .private_segment_fixed_size: 0
    .sgpr_count:     4
    .sgpr_spill_count: 0
    .symbol:         _ZN7rocprim17ROCPRIM_400000_NS6detail17trampoline_kernelINS0_14default_configENS1_36segmented_radix_sort_config_selectorIilEEZNS1_25segmented_radix_sort_implIS3_Lb0EPKiPiPKlPlN2at6native12_GLOBAL__N_18offset_tEEE10hipError_tPvRmT1_PNSt15iterator_traitsISK_E10value_typeET2_T3_PNSL_ISQ_E10value_typeET4_jRbjT5_SW_jjP12ihipStream_tbEUlT_E_NS1_11comp_targetILNS1_3genE0ELNS1_11target_archE4294967295ELNS1_3gpuE0ELNS1_3repE0EEENS1_30default_config_static_selectorELNS0_4arch9wavefront6targetE1EEEvSK_.kd
    .uniform_work_group_size: 1
    .uses_dynamic_stack: false
    .vgpr_count:     0
    .vgpr_spill_count: 0
    .wavefront_size: 64
  - .args:
      - .offset:         0
        .size:           96
        .value_kind:     by_value
    .group_segment_fixed_size: 0
    .kernarg_segment_align: 8
    .kernarg_segment_size: 96
    .language:       OpenCL C
    .language_version:
      - 2
      - 0
    .max_flat_workgroup_size: 256
    .name:           _ZN7rocprim17ROCPRIM_400000_NS6detail17trampoline_kernelINS0_14default_configENS1_36segmented_radix_sort_config_selectorIilEEZNS1_25segmented_radix_sort_implIS3_Lb0EPKiPiPKlPlN2at6native12_GLOBAL__N_18offset_tEEE10hipError_tPvRmT1_PNSt15iterator_traitsISK_E10value_typeET2_T3_PNSL_ISQ_E10value_typeET4_jRbjT5_SW_jjP12ihipStream_tbEUlT_E_NS1_11comp_targetILNS1_3genE5ELNS1_11target_archE942ELNS1_3gpuE9ELNS1_3repE0EEENS1_30default_config_static_selectorELNS0_4arch9wavefront6targetE1EEEvSK_
    .private_segment_fixed_size: 0
    .sgpr_count:     4
    .sgpr_spill_count: 0
    .symbol:         _ZN7rocprim17ROCPRIM_400000_NS6detail17trampoline_kernelINS0_14default_configENS1_36segmented_radix_sort_config_selectorIilEEZNS1_25segmented_radix_sort_implIS3_Lb0EPKiPiPKlPlN2at6native12_GLOBAL__N_18offset_tEEE10hipError_tPvRmT1_PNSt15iterator_traitsISK_E10value_typeET2_T3_PNSL_ISQ_E10value_typeET4_jRbjT5_SW_jjP12ihipStream_tbEUlT_E_NS1_11comp_targetILNS1_3genE5ELNS1_11target_archE942ELNS1_3gpuE9ELNS1_3repE0EEENS1_30default_config_static_selectorELNS0_4arch9wavefront6targetE1EEEvSK_.kd
    .uniform_work_group_size: 1
    .uses_dynamic_stack: false
    .vgpr_count:     0
    .vgpr_spill_count: 0
    .wavefront_size: 64
  - .args:
      - .offset:         0
        .size:           96
        .value_kind:     by_value
    .group_segment_fixed_size: 0
    .kernarg_segment_align: 8
    .kernarg_segment_size: 96
    .language:       OpenCL C
    .language_version:
      - 2
      - 0
    .max_flat_workgroup_size: 256
    .name:           _ZN7rocprim17ROCPRIM_400000_NS6detail17trampoline_kernelINS0_14default_configENS1_36segmented_radix_sort_config_selectorIilEEZNS1_25segmented_radix_sort_implIS3_Lb0EPKiPiPKlPlN2at6native12_GLOBAL__N_18offset_tEEE10hipError_tPvRmT1_PNSt15iterator_traitsISK_E10value_typeET2_T3_PNSL_ISQ_E10value_typeET4_jRbjT5_SW_jjP12ihipStream_tbEUlT_E_NS1_11comp_targetILNS1_3genE4ELNS1_11target_archE910ELNS1_3gpuE8ELNS1_3repE0EEENS1_30default_config_static_selectorELNS0_4arch9wavefront6targetE1EEEvSK_
    .private_segment_fixed_size: 0
    .sgpr_count:     4
    .sgpr_spill_count: 0
    .symbol:         _ZN7rocprim17ROCPRIM_400000_NS6detail17trampoline_kernelINS0_14default_configENS1_36segmented_radix_sort_config_selectorIilEEZNS1_25segmented_radix_sort_implIS3_Lb0EPKiPiPKlPlN2at6native12_GLOBAL__N_18offset_tEEE10hipError_tPvRmT1_PNSt15iterator_traitsISK_E10value_typeET2_T3_PNSL_ISQ_E10value_typeET4_jRbjT5_SW_jjP12ihipStream_tbEUlT_E_NS1_11comp_targetILNS1_3genE4ELNS1_11target_archE910ELNS1_3gpuE8ELNS1_3repE0EEENS1_30default_config_static_selectorELNS0_4arch9wavefront6targetE1EEEvSK_.kd
    .uniform_work_group_size: 1
    .uses_dynamic_stack: false
    .vgpr_count:     0
    .vgpr_spill_count: 0
    .wavefront_size: 64
  - .args:
      - .offset:         0
        .size:           96
        .value_kind:     by_value
    .group_segment_fixed_size: 0
    .kernarg_segment_align: 8
    .kernarg_segment_size: 96
    .language:       OpenCL C
    .language_version:
      - 2
      - 0
    .max_flat_workgroup_size: 256
    .name:           _ZN7rocprim17ROCPRIM_400000_NS6detail17trampoline_kernelINS0_14default_configENS1_36segmented_radix_sort_config_selectorIilEEZNS1_25segmented_radix_sort_implIS3_Lb0EPKiPiPKlPlN2at6native12_GLOBAL__N_18offset_tEEE10hipError_tPvRmT1_PNSt15iterator_traitsISK_E10value_typeET2_T3_PNSL_ISQ_E10value_typeET4_jRbjT5_SW_jjP12ihipStream_tbEUlT_E_NS1_11comp_targetILNS1_3genE3ELNS1_11target_archE908ELNS1_3gpuE7ELNS1_3repE0EEENS1_30default_config_static_selectorELNS0_4arch9wavefront6targetE1EEEvSK_
    .private_segment_fixed_size: 0
    .sgpr_count:     4
    .sgpr_spill_count: 0
    .symbol:         _ZN7rocprim17ROCPRIM_400000_NS6detail17trampoline_kernelINS0_14default_configENS1_36segmented_radix_sort_config_selectorIilEEZNS1_25segmented_radix_sort_implIS3_Lb0EPKiPiPKlPlN2at6native12_GLOBAL__N_18offset_tEEE10hipError_tPvRmT1_PNSt15iterator_traitsISK_E10value_typeET2_T3_PNSL_ISQ_E10value_typeET4_jRbjT5_SW_jjP12ihipStream_tbEUlT_E_NS1_11comp_targetILNS1_3genE3ELNS1_11target_archE908ELNS1_3gpuE7ELNS1_3repE0EEENS1_30default_config_static_selectorELNS0_4arch9wavefront6targetE1EEEvSK_.kd
    .uniform_work_group_size: 1
    .uses_dynamic_stack: false
    .vgpr_count:     0
    .vgpr_spill_count: 0
    .wavefront_size: 64
  - .args:
      - .offset:         0
        .size:           96
        .value_kind:     by_value
      - .offset:         96
        .size:           4
        .value_kind:     hidden_block_count_x
      - .offset:         100
        .size:           4
        .value_kind:     hidden_block_count_y
      - .offset:         104
        .size:           4
        .value_kind:     hidden_block_count_z
      - .offset:         108
        .size:           2
        .value_kind:     hidden_group_size_x
      - .offset:         110
        .size:           2
        .value_kind:     hidden_group_size_y
      - .offset:         112
        .size:           2
        .value_kind:     hidden_group_size_z
      - .offset:         114
        .size:           2
        .value_kind:     hidden_remainder_x
      - .offset:         116
        .size:           2
        .value_kind:     hidden_remainder_y
      - .offset:         118
        .size:           2
        .value_kind:     hidden_remainder_z
      - .offset:         136
        .size:           8
        .value_kind:     hidden_global_offset_x
      - .offset:         144
        .size:           8
        .value_kind:     hidden_global_offset_y
      - .offset:         152
        .size:           8
        .value_kind:     hidden_global_offset_z
      - .offset:         160
        .size:           2
        .value_kind:     hidden_grid_dims
    .group_segment_fixed_size: 17424
    .kernarg_segment_align: 8
    .kernarg_segment_size: 352
    .language:       OpenCL C
    .language_version:
      - 2
      - 0
    .max_flat_workgroup_size: 256
    .name:           _ZN7rocprim17ROCPRIM_400000_NS6detail17trampoline_kernelINS0_14default_configENS1_36segmented_radix_sort_config_selectorIilEEZNS1_25segmented_radix_sort_implIS3_Lb0EPKiPiPKlPlN2at6native12_GLOBAL__N_18offset_tEEE10hipError_tPvRmT1_PNSt15iterator_traitsISK_E10value_typeET2_T3_PNSL_ISQ_E10value_typeET4_jRbjT5_SW_jjP12ihipStream_tbEUlT_E_NS1_11comp_targetILNS1_3genE2ELNS1_11target_archE906ELNS1_3gpuE6ELNS1_3repE0EEENS1_30default_config_static_selectorELNS0_4arch9wavefront6targetE1EEEvSK_
    .private_segment_fixed_size: 0
    .sgpr_count:     85
    .sgpr_spill_count: 0
    .symbol:         _ZN7rocprim17ROCPRIM_400000_NS6detail17trampoline_kernelINS0_14default_configENS1_36segmented_radix_sort_config_selectorIilEEZNS1_25segmented_radix_sort_implIS3_Lb0EPKiPiPKlPlN2at6native12_GLOBAL__N_18offset_tEEE10hipError_tPvRmT1_PNSt15iterator_traitsISK_E10value_typeET2_T3_PNSL_ISQ_E10value_typeET4_jRbjT5_SW_jjP12ihipStream_tbEUlT_E_NS1_11comp_targetILNS1_3genE2ELNS1_11target_archE906ELNS1_3gpuE6ELNS1_3repE0EEENS1_30default_config_static_selectorELNS0_4arch9wavefront6targetE1EEEvSK_.kd
    .uniform_work_group_size: 1
    .uses_dynamic_stack: false
    .vgpr_count:     177
    .vgpr_spill_count: 0
    .wavefront_size: 64
  - .args:
      - .offset:         0
        .size:           96
        .value_kind:     by_value
    .group_segment_fixed_size: 0
    .kernarg_segment_align: 8
    .kernarg_segment_size: 96
    .language:       OpenCL C
    .language_version:
      - 2
      - 0
    .max_flat_workgroup_size: 256
    .name:           _ZN7rocprim17ROCPRIM_400000_NS6detail17trampoline_kernelINS0_14default_configENS1_36segmented_radix_sort_config_selectorIilEEZNS1_25segmented_radix_sort_implIS3_Lb0EPKiPiPKlPlN2at6native12_GLOBAL__N_18offset_tEEE10hipError_tPvRmT1_PNSt15iterator_traitsISK_E10value_typeET2_T3_PNSL_ISQ_E10value_typeET4_jRbjT5_SW_jjP12ihipStream_tbEUlT_E_NS1_11comp_targetILNS1_3genE10ELNS1_11target_archE1201ELNS1_3gpuE5ELNS1_3repE0EEENS1_30default_config_static_selectorELNS0_4arch9wavefront6targetE1EEEvSK_
    .private_segment_fixed_size: 0
    .sgpr_count:     4
    .sgpr_spill_count: 0
    .symbol:         _ZN7rocprim17ROCPRIM_400000_NS6detail17trampoline_kernelINS0_14default_configENS1_36segmented_radix_sort_config_selectorIilEEZNS1_25segmented_radix_sort_implIS3_Lb0EPKiPiPKlPlN2at6native12_GLOBAL__N_18offset_tEEE10hipError_tPvRmT1_PNSt15iterator_traitsISK_E10value_typeET2_T3_PNSL_ISQ_E10value_typeET4_jRbjT5_SW_jjP12ihipStream_tbEUlT_E_NS1_11comp_targetILNS1_3genE10ELNS1_11target_archE1201ELNS1_3gpuE5ELNS1_3repE0EEENS1_30default_config_static_selectorELNS0_4arch9wavefront6targetE1EEEvSK_.kd
    .uniform_work_group_size: 1
    .uses_dynamic_stack: false
    .vgpr_count:     0
    .vgpr_spill_count: 0
    .wavefront_size: 64
  - .args:
      - .offset:         0
        .size:           96
        .value_kind:     by_value
    .group_segment_fixed_size: 0
    .kernarg_segment_align: 8
    .kernarg_segment_size: 96
    .language:       OpenCL C
    .language_version:
      - 2
      - 0
    .max_flat_workgroup_size: 128
    .name:           _ZN7rocprim17ROCPRIM_400000_NS6detail17trampoline_kernelINS0_14default_configENS1_36segmented_radix_sort_config_selectorIilEEZNS1_25segmented_radix_sort_implIS3_Lb0EPKiPiPKlPlN2at6native12_GLOBAL__N_18offset_tEEE10hipError_tPvRmT1_PNSt15iterator_traitsISK_E10value_typeET2_T3_PNSL_ISQ_E10value_typeET4_jRbjT5_SW_jjP12ihipStream_tbEUlT_E_NS1_11comp_targetILNS1_3genE10ELNS1_11target_archE1200ELNS1_3gpuE4ELNS1_3repE0EEENS1_30default_config_static_selectorELNS0_4arch9wavefront6targetE1EEEvSK_
    .private_segment_fixed_size: 0
    .sgpr_count:     4
    .sgpr_spill_count: 0
    .symbol:         _ZN7rocprim17ROCPRIM_400000_NS6detail17trampoline_kernelINS0_14default_configENS1_36segmented_radix_sort_config_selectorIilEEZNS1_25segmented_radix_sort_implIS3_Lb0EPKiPiPKlPlN2at6native12_GLOBAL__N_18offset_tEEE10hipError_tPvRmT1_PNSt15iterator_traitsISK_E10value_typeET2_T3_PNSL_ISQ_E10value_typeET4_jRbjT5_SW_jjP12ihipStream_tbEUlT_E_NS1_11comp_targetILNS1_3genE10ELNS1_11target_archE1200ELNS1_3gpuE4ELNS1_3repE0EEENS1_30default_config_static_selectorELNS0_4arch9wavefront6targetE1EEEvSK_.kd
    .uniform_work_group_size: 1
    .uses_dynamic_stack: false
    .vgpr_count:     0
    .vgpr_spill_count: 0
    .wavefront_size: 64
  - .args:
      - .offset:         0
        .size:           96
        .value_kind:     by_value
    .group_segment_fixed_size: 0
    .kernarg_segment_align: 8
    .kernarg_segment_size: 96
    .language:       OpenCL C
    .language_version:
      - 2
      - 0
    .max_flat_workgroup_size: 256
    .name:           _ZN7rocprim17ROCPRIM_400000_NS6detail17trampoline_kernelINS0_14default_configENS1_36segmented_radix_sort_config_selectorIilEEZNS1_25segmented_radix_sort_implIS3_Lb0EPKiPiPKlPlN2at6native12_GLOBAL__N_18offset_tEEE10hipError_tPvRmT1_PNSt15iterator_traitsISK_E10value_typeET2_T3_PNSL_ISQ_E10value_typeET4_jRbjT5_SW_jjP12ihipStream_tbEUlT_E_NS1_11comp_targetILNS1_3genE9ELNS1_11target_archE1100ELNS1_3gpuE3ELNS1_3repE0EEENS1_30default_config_static_selectorELNS0_4arch9wavefront6targetE1EEEvSK_
    .private_segment_fixed_size: 0
    .sgpr_count:     4
    .sgpr_spill_count: 0
    .symbol:         _ZN7rocprim17ROCPRIM_400000_NS6detail17trampoline_kernelINS0_14default_configENS1_36segmented_radix_sort_config_selectorIilEEZNS1_25segmented_radix_sort_implIS3_Lb0EPKiPiPKlPlN2at6native12_GLOBAL__N_18offset_tEEE10hipError_tPvRmT1_PNSt15iterator_traitsISK_E10value_typeET2_T3_PNSL_ISQ_E10value_typeET4_jRbjT5_SW_jjP12ihipStream_tbEUlT_E_NS1_11comp_targetILNS1_3genE9ELNS1_11target_archE1100ELNS1_3gpuE3ELNS1_3repE0EEENS1_30default_config_static_selectorELNS0_4arch9wavefront6targetE1EEEvSK_.kd
    .uniform_work_group_size: 1
    .uses_dynamic_stack: false
    .vgpr_count:     0
    .vgpr_spill_count: 0
    .wavefront_size: 64
  - .args:
      - .offset:         0
        .size:           96
        .value_kind:     by_value
    .group_segment_fixed_size: 0
    .kernarg_segment_align: 8
    .kernarg_segment_size: 96
    .language:       OpenCL C
    .language_version:
      - 2
      - 0
    .max_flat_workgroup_size: 256
    .name:           _ZN7rocprim17ROCPRIM_400000_NS6detail17trampoline_kernelINS0_14default_configENS1_36segmented_radix_sort_config_selectorIilEEZNS1_25segmented_radix_sort_implIS3_Lb0EPKiPiPKlPlN2at6native12_GLOBAL__N_18offset_tEEE10hipError_tPvRmT1_PNSt15iterator_traitsISK_E10value_typeET2_T3_PNSL_ISQ_E10value_typeET4_jRbjT5_SW_jjP12ihipStream_tbEUlT_E_NS1_11comp_targetILNS1_3genE8ELNS1_11target_archE1030ELNS1_3gpuE2ELNS1_3repE0EEENS1_30default_config_static_selectorELNS0_4arch9wavefront6targetE1EEEvSK_
    .private_segment_fixed_size: 0
    .sgpr_count:     4
    .sgpr_spill_count: 0
    .symbol:         _ZN7rocprim17ROCPRIM_400000_NS6detail17trampoline_kernelINS0_14default_configENS1_36segmented_radix_sort_config_selectorIilEEZNS1_25segmented_radix_sort_implIS3_Lb0EPKiPiPKlPlN2at6native12_GLOBAL__N_18offset_tEEE10hipError_tPvRmT1_PNSt15iterator_traitsISK_E10value_typeET2_T3_PNSL_ISQ_E10value_typeET4_jRbjT5_SW_jjP12ihipStream_tbEUlT_E_NS1_11comp_targetILNS1_3genE8ELNS1_11target_archE1030ELNS1_3gpuE2ELNS1_3repE0EEENS1_30default_config_static_selectorELNS0_4arch9wavefront6targetE1EEEvSK_.kd
    .uniform_work_group_size: 1
    .uses_dynamic_stack: false
    .vgpr_count:     0
    .vgpr_spill_count: 0
    .wavefront_size: 64
  - .args:
      - .offset:         0
        .size:           88
        .value_kind:     by_value
    .group_segment_fixed_size: 0
    .kernarg_segment_align: 8
    .kernarg_segment_size: 88
    .language:       OpenCL C
    .language_version:
      - 2
      - 0
    .max_flat_workgroup_size: 256
    .name:           _ZN7rocprim17ROCPRIM_400000_NS6detail17trampoline_kernelINS0_14default_configENS1_36segmented_radix_sort_config_selectorIilEEZNS1_25segmented_radix_sort_implIS3_Lb0EPKiPiPKlPlN2at6native12_GLOBAL__N_18offset_tEEE10hipError_tPvRmT1_PNSt15iterator_traitsISK_E10value_typeET2_T3_PNSL_ISQ_E10value_typeET4_jRbjT5_SW_jjP12ihipStream_tbEUlT_E0_NS1_11comp_targetILNS1_3genE0ELNS1_11target_archE4294967295ELNS1_3gpuE0ELNS1_3repE0EEENS1_60segmented_radix_sort_warp_sort_medium_config_static_selectorELNS0_4arch9wavefront6targetE1EEEvSK_
    .private_segment_fixed_size: 0
    .sgpr_count:     4
    .sgpr_spill_count: 0
    .symbol:         _ZN7rocprim17ROCPRIM_400000_NS6detail17trampoline_kernelINS0_14default_configENS1_36segmented_radix_sort_config_selectorIilEEZNS1_25segmented_radix_sort_implIS3_Lb0EPKiPiPKlPlN2at6native12_GLOBAL__N_18offset_tEEE10hipError_tPvRmT1_PNSt15iterator_traitsISK_E10value_typeET2_T3_PNSL_ISQ_E10value_typeET4_jRbjT5_SW_jjP12ihipStream_tbEUlT_E0_NS1_11comp_targetILNS1_3genE0ELNS1_11target_archE4294967295ELNS1_3gpuE0ELNS1_3repE0EEENS1_60segmented_radix_sort_warp_sort_medium_config_static_selectorELNS0_4arch9wavefront6targetE1EEEvSK_.kd
    .uniform_work_group_size: 1
    .uses_dynamic_stack: false
    .vgpr_count:     0
    .vgpr_spill_count: 0
    .wavefront_size: 64
  - .args:
      - .offset:         0
        .size:           88
        .value_kind:     by_value
    .group_segment_fixed_size: 0
    .kernarg_segment_align: 8
    .kernarg_segment_size: 88
    .language:       OpenCL C
    .language_version:
      - 2
      - 0
    .max_flat_workgroup_size: 256
    .name:           _ZN7rocprim17ROCPRIM_400000_NS6detail17trampoline_kernelINS0_14default_configENS1_36segmented_radix_sort_config_selectorIilEEZNS1_25segmented_radix_sort_implIS3_Lb0EPKiPiPKlPlN2at6native12_GLOBAL__N_18offset_tEEE10hipError_tPvRmT1_PNSt15iterator_traitsISK_E10value_typeET2_T3_PNSL_ISQ_E10value_typeET4_jRbjT5_SW_jjP12ihipStream_tbEUlT_E0_NS1_11comp_targetILNS1_3genE5ELNS1_11target_archE942ELNS1_3gpuE9ELNS1_3repE0EEENS1_60segmented_radix_sort_warp_sort_medium_config_static_selectorELNS0_4arch9wavefront6targetE1EEEvSK_
    .private_segment_fixed_size: 0
    .sgpr_count:     4
    .sgpr_spill_count: 0
    .symbol:         _ZN7rocprim17ROCPRIM_400000_NS6detail17trampoline_kernelINS0_14default_configENS1_36segmented_radix_sort_config_selectorIilEEZNS1_25segmented_radix_sort_implIS3_Lb0EPKiPiPKlPlN2at6native12_GLOBAL__N_18offset_tEEE10hipError_tPvRmT1_PNSt15iterator_traitsISK_E10value_typeET2_T3_PNSL_ISQ_E10value_typeET4_jRbjT5_SW_jjP12ihipStream_tbEUlT_E0_NS1_11comp_targetILNS1_3genE5ELNS1_11target_archE942ELNS1_3gpuE9ELNS1_3repE0EEENS1_60segmented_radix_sort_warp_sort_medium_config_static_selectorELNS0_4arch9wavefront6targetE1EEEvSK_.kd
    .uniform_work_group_size: 1
    .uses_dynamic_stack: false
    .vgpr_count:     0
    .vgpr_spill_count: 0
    .wavefront_size: 64
  - .args:
      - .offset:         0
        .size:           88
        .value_kind:     by_value
    .group_segment_fixed_size: 0
    .kernarg_segment_align: 8
    .kernarg_segment_size: 88
    .language:       OpenCL C
    .language_version:
      - 2
      - 0
    .max_flat_workgroup_size: 256
    .name:           _ZN7rocprim17ROCPRIM_400000_NS6detail17trampoline_kernelINS0_14default_configENS1_36segmented_radix_sort_config_selectorIilEEZNS1_25segmented_radix_sort_implIS3_Lb0EPKiPiPKlPlN2at6native12_GLOBAL__N_18offset_tEEE10hipError_tPvRmT1_PNSt15iterator_traitsISK_E10value_typeET2_T3_PNSL_ISQ_E10value_typeET4_jRbjT5_SW_jjP12ihipStream_tbEUlT_E0_NS1_11comp_targetILNS1_3genE4ELNS1_11target_archE910ELNS1_3gpuE8ELNS1_3repE0EEENS1_60segmented_radix_sort_warp_sort_medium_config_static_selectorELNS0_4arch9wavefront6targetE1EEEvSK_
    .private_segment_fixed_size: 0
    .sgpr_count:     4
    .sgpr_spill_count: 0
    .symbol:         _ZN7rocprim17ROCPRIM_400000_NS6detail17trampoline_kernelINS0_14default_configENS1_36segmented_radix_sort_config_selectorIilEEZNS1_25segmented_radix_sort_implIS3_Lb0EPKiPiPKlPlN2at6native12_GLOBAL__N_18offset_tEEE10hipError_tPvRmT1_PNSt15iterator_traitsISK_E10value_typeET2_T3_PNSL_ISQ_E10value_typeET4_jRbjT5_SW_jjP12ihipStream_tbEUlT_E0_NS1_11comp_targetILNS1_3genE4ELNS1_11target_archE910ELNS1_3gpuE8ELNS1_3repE0EEENS1_60segmented_radix_sort_warp_sort_medium_config_static_selectorELNS0_4arch9wavefront6targetE1EEEvSK_.kd
    .uniform_work_group_size: 1
    .uses_dynamic_stack: false
    .vgpr_count:     0
    .vgpr_spill_count: 0
    .wavefront_size: 64
  - .args:
      - .offset:         0
        .size:           88
        .value_kind:     by_value
    .group_segment_fixed_size: 0
    .kernarg_segment_align: 8
    .kernarg_segment_size: 88
    .language:       OpenCL C
    .language_version:
      - 2
      - 0
    .max_flat_workgroup_size: 256
    .name:           _ZN7rocprim17ROCPRIM_400000_NS6detail17trampoline_kernelINS0_14default_configENS1_36segmented_radix_sort_config_selectorIilEEZNS1_25segmented_radix_sort_implIS3_Lb0EPKiPiPKlPlN2at6native12_GLOBAL__N_18offset_tEEE10hipError_tPvRmT1_PNSt15iterator_traitsISK_E10value_typeET2_T3_PNSL_ISQ_E10value_typeET4_jRbjT5_SW_jjP12ihipStream_tbEUlT_E0_NS1_11comp_targetILNS1_3genE3ELNS1_11target_archE908ELNS1_3gpuE7ELNS1_3repE0EEENS1_60segmented_radix_sort_warp_sort_medium_config_static_selectorELNS0_4arch9wavefront6targetE1EEEvSK_
    .private_segment_fixed_size: 0
    .sgpr_count:     4
    .sgpr_spill_count: 0
    .symbol:         _ZN7rocprim17ROCPRIM_400000_NS6detail17trampoline_kernelINS0_14default_configENS1_36segmented_radix_sort_config_selectorIilEEZNS1_25segmented_radix_sort_implIS3_Lb0EPKiPiPKlPlN2at6native12_GLOBAL__N_18offset_tEEE10hipError_tPvRmT1_PNSt15iterator_traitsISK_E10value_typeET2_T3_PNSL_ISQ_E10value_typeET4_jRbjT5_SW_jjP12ihipStream_tbEUlT_E0_NS1_11comp_targetILNS1_3genE3ELNS1_11target_archE908ELNS1_3gpuE7ELNS1_3repE0EEENS1_60segmented_radix_sort_warp_sort_medium_config_static_selectorELNS0_4arch9wavefront6targetE1EEEvSK_.kd
    .uniform_work_group_size: 1
    .uses_dynamic_stack: false
    .vgpr_count:     0
    .vgpr_spill_count: 0
    .wavefront_size: 64
  - .args:
      - .offset:         0
        .size:           88
        .value_kind:     by_value
      - .offset:         88
        .size:           4
        .value_kind:     hidden_block_count_x
      - .offset:         92
        .size:           4
        .value_kind:     hidden_block_count_y
      - .offset:         96
        .size:           4
        .value_kind:     hidden_block_count_z
      - .offset:         100
        .size:           2
        .value_kind:     hidden_group_size_x
      - .offset:         102
        .size:           2
        .value_kind:     hidden_group_size_y
      - .offset:         104
        .size:           2
        .value_kind:     hidden_group_size_z
      - .offset:         106
        .size:           2
        .value_kind:     hidden_remainder_x
      - .offset:         108
        .size:           2
        .value_kind:     hidden_remainder_y
      - .offset:         110
        .size:           2
        .value_kind:     hidden_remainder_z
      - .offset:         128
        .size:           8
        .value_kind:     hidden_global_offset_x
      - .offset:         136
        .size:           8
        .value_kind:     hidden_global_offset_y
      - .offset:         144
        .size:           8
        .value_kind:     hidden_global_offset_z
      - .offset:         152
        .size:           2
        .value_kind:     hidden_grid_dims
    .group_segment_fixed_size: 24576
    .kernarg_segment_align: 8
    .kernarg_segment_size: 344
    .language:       OpenCL C
    .language_version:
      - 2
      - 0
    .max_flat_workgroup_size: 256
    .name:           _ZN7rocprim17ROCPRIM_400000_NS6detail17trampoline_kernelINS0_14default_configENS1_36segmented_radix_sort_config_selectorIilEEZNS1_25segmented_radix_sort_implIS3_Lb0EPKiPiPKlPlN2at6native12_GLOBAL__N_18offset_tEEE10hipError_tPvRmT1_PNSt15iterator_traitsISK_E10value_typeET2_T3_PNSL_ISQ_E10value_typeET4_jRbjT5_SW_jjP12ihipStream_tbEUlT_E0_NS1_11comp_targetILNS1_3genE2ELNS1_11target_archE906ELNS1_3gpuE6ELNS1_3repE0EEENS1_60segmented_radix_sort_warp_sort_medium_config_static_selectorELNS0_4arch9wavefront6targetE1EEEvSK_
    .private_segment_fixed_size: 0
    .sgpr_count:     66
    .sgpr_spill_count: 0
    .symbol:         _ZN7rocprim17ROCPRIM_400000_NS6detail17trampoline_kernelINS0_14default_configENS1_36segmented_radix_sort_config_selectorIilEEZNS1_25segmented_radix_sort_implIS3_Lb0EPKiPiPKlPlN2at6native12_GLOBAL__N_18offset_tEEE10hipError_tPvRmT1_PNSt15iterator_traitsISK_E10value_typeET2_T3_PNSL_ISQ_E10value_typeET4_jRbjT5_SW_jjP12ihipStream_tbEUlT_E0_NS1_11comp_targetILNS1_3genE2ELNS1_11target_archE906ELNS1_3gpuE6ELNS1_3repE0EEENS1_60segmented_radix_sort_warp_sort_medium_config_static_selectorELNS0_4arch9wavefront6targetE1EEEvSK_.kd
    .uniform_work_group_size: 1
    .uses_dynamic_stack: false
    .vgpr_count:     70
    .vgpr_spill_count: 0
    .wavefront_size: 64
  - .args:
      - .offset:         0
        .size:           88
        .value_kind:     by_value
    .group_segment_fixed_size: 0
    .kernarg_segment_align: 8
    .kernarg_segment_size: 88
    .language:       OpenCL C
    .language_version:
      - 2
      - 0
    .max_flat_workgroup_size: 256
    .name:           _ZN7rocprim17ROCPRIM_400000_NS6detail17trampoline_kernelINS0_14default_configENS1_36segmented_radix_sort_config_selectorIilEEZNS1_25segmented_radix_sort_implIS3_Lb0EPKiPiPKlPlN2at6native12_GLOBAL__N_18offset_tEEE10hipError_tPvRmT1_PNSt15iterator_traitsISK_E10value_typeET2_T3_PNSL_ISQ_E10value_typeET4_jRbjT5_SW_jjP12ihipStream_tbEUlT_E0_NS1_11comp_targetILNS1_3genE10ELNS1_11target_archE1201ELNS1_3gpuE5ELNS1_3repE0EEENS1_60segmented_radix_sort_warp_sort_medium_config_static_selectorELNS0_4arch9wavefront6targetE1EEEvSK_
    .private_segment_fixed_size: 0
    .sgpr_count:     4
    .sgpr_spill_count: 0
    .symbol:         _ZN7rocprim17ROCPRIM_400000_NS6detail17trampoline_kernelINS0_14default_configENS1_36segmented_radix_sort_config_selectorIilEEZNS1_25segmented_radix_sort_implIS3_Lb0EPKiPiPKlPlN2at6native12_GLOBAL__N_18offset_tEEE10hipError_tPvRmT1_PNSt15iterator_traitsISK_E10value_typeET2_T3_PNSL_ISQ_E10value_typeET4_jRbjT5_SW_jjP12ihipStream_tbEUlT_E0_NS1_11comp_targetILNS1_3genE10ELNS1_11target_archE1201ELNS1_3gpuE5ELNS1_3repE0EEENS1_60segmented_radix_sort_warp_sort_medium_config_static_selectorELNS0_4arch9wavefront6targetE1EEEvSK_.kd
    .uniform_work_group_size: 1
    .uses_dynamic_stack: false
    .vgpr_count:     0
    .vgpr_spill_count: 0
    .wavefront_size: 64
  - .args:
      - .offset:         0
        .size:           88
        .value_kind:     by_value
    .group_segment_fixed_size: 0
    .kernarg_segment_align: 8
    .kernarg_segment_size: 88
    .language:       OpenCL C
    .language_version:
      - 2
      - 0
    .max_flat_workgroup_size: 256
    .name:           _ZN7rocprim17ROCPRIM_400000_NS6detail17trampoline_kernelINS0_14default_configENS1_36segmented_radix_sort_config_selectorIilEEZNS1_25segmented_radix_sort_implIS3_Lb0EPKiPiPKlPlN2at6native12_GLOBAL__N_18offset_tEEE10hipError_tPvRmT1_PNSt15iterator_traitsISK_E10value_typeET2_T3_PNSL_ISQ_E10value_typeET4_jRbjT5_SW_jjP12ihipStream_tbEUlT_E0_NS1_11comp_targetILNS1_3genE10ELNS1_11target_archE1200ELNS1_3gpuE4ELNS1_3repE0EEENS1_60segmented_radix_sort_warp_sort_medium_config_static_selectorELNS0_4arch9wavefront6targetE1EEEvSK_
    .private_segment_fixed_size: 0
    .sgpr_count:     4
    .sgpr_spill_count: 0
    .symbol:         _ZN7rocprim17ROCPRIM_400000_NS6detail17trampoline_kernelINS0_14default_configENS1_36segmented_radix_sort_config_selectorIilEEZNS1_25segmented_radix_sort_implIS3_Lb0EPKiPiPKlPlN2at6native12_GLOBAL__N_18offset_tEEE10hipError_tPvRmT1_PNSt15iterator_traitsISK_E10value_typeET2_T3_PNSL_ISQ_E10value_typeET4_jRbjT5_SW_jjP12ihipStream_tbEUlT_E0_NS1_11comp_targetILNS1_3genE10ELNS1_11target_archE1200ELNS1_3gpuE4ELNS1_3repE0EEENS1_60segmented_radix_sort_warp_sort_medium_config_static_selectorELNS0_4arch9wavefront6targetE1EEEvSK_.kd
    .uniform_work_group_size: 1
    .uses_dynamic_stack: false
    .vgpr_count:     0
    .vgpr_spill_count: 0
    .wavefront_size: 64
  - .args:
      - .offset:         0
        .size:           88
        .value_kind:     by_value
    .group_segment_fixed_size: 0
    .kernarg_segment_align: 8
    .kernarg_segment_size: 88
    .language:       OpenCL C
    .language_version:
      - 2
      - 0
    .max_flat_workgroup_size: 256
    .name:           _ZN7rocprim17ROCPRIM_400000_NS6detail17trampoline_kernelINS0_14default_configENS1_36segmented_radix_sort_config_selectorIilEEZNS1_25segmented_radix_sort_implIS3_Lb0EPKiPiPKlPlN2at6native12_GLOBAL__N_18offset_tEEE10hipError_tPvRmT1_PNSt15iterator_traitsISK_E10value_typeET2_T3_PNSL_ISQ_E10value_typeET4_jRbjT5_SW_jjP12ihipStream_tbEUlT_E0_NS1_11comp_targetILNS1_3genE9ELNS1_11target_archE1100ELNS1_3gpuE3ELNS1_3repE0EEENS1_60segmented_radix_sort_warp_sort_medium_config_static_selectorELNS0_4arch9wavefront6targetE1EEEvSK_
    .private_segment_fixed_size: 0
    .sgpr_count:     4
    .sgpr_spill_count: 0
    .symbol:         _ZN7rocprim17ROCPRIM_400000_NS6detail17trampoline_kernelINS0_14default_configENS1_36segmented_radix_sort_config_selectorIilEEZNS1_25segmented_radix_sort_implIS3_Lb0EPKiPiPKlPlN2at6native12_GLOBAL__N_18offset_tEEE10hipError_tPvRmT1_PNSt15iterator_traitsISK_E10value_typeET2_T3_PNSL_ISQ_E10value_typeET4_jRbjT5_SW_jjP12ihipStream_tbEUlT_E0_NS1_11comp_targetILNS1_3genE9ELNS1_11target_archE1100ELNS1_3gpuE3ELNS1_3repE0EEENS1_60segmented_radix_sort_warp_sort_medium_config_static_selectorELNS0_4arch9wavefront6targetE1EEEvSK_.kd
    .uniform_work_group_size: 1
    .uses_dynamic_stack: false
    .vgpr_count:     0
    .vgpr_spill_count: 0
    .wavefront_size: 64
  - .args:
      - .offset:         0
        .size:           88
        .value_kind:     by_value
    .group_segment_fixed_size: 0
    .kernarg_segment_align: 8
    .kernarg_segment_size: 88
    .language:       OpenCL C
    .language_version:
      - 2
      - 0
    .max_flat_workgroup_size: 256
    .name:           _ZN7rocprim17ROCPRIM_400000_NS6detail17trampoline_kernelINS0_14default_configENS1_36segmented_radix_sort_config_selectorIilEEZNS1_25segmented_radix_sort_implIS3_Lb0EPKiPiPKlPlN2at6native12_GLOBAL__N_18offset_tEEE10hipError_tPvRmT1_PNSt15iterator_traitsISK_E10value_typeET2_T3_PNSL_ISQ_E10value_typeET4_jRbjT5_SW_jjP12ihipStream_tbEUlT_E0_NS1_11comp_targetILNS1_3genE8ELNS1_11target_archE1030ELNS1_3gpuE2ELNS1_3repE0EEENS1_60segmented_radix_sort_warp_sort_medium_config_static_selectorELNS0_4arch9wavefront6targetE1EEEvSK_
    .private_segment_fixed_size: 0
    .sgpr_count:     4
    .sgpr_spill_count: 0
    .symbol:         _ZN7rocprim17ROCPRIM_400000_NS6detail17trampoline_kernelINS0_14default_configENS1_36segmented_radix_sort_config_selectorIilEEZNS1_25segmented_radix_sort_implIS3_Lb0EPKiPiPKlPlN2at6native12_GLOBAL__N_18offset_tEEE10hipError_tPvRmT1_PNSt15iterator_traitsISK_E10value_typeET2_T3_PNSL_ISQ_E10value_typeET4_jRbjT5_SW_jjP12ihipStream_tbEUlT_E0_NS1_11comp_targetILNS1_3genE8ELNS1_11target_archE1030ELNS1_3gpuE2ELNS1_3repE0EEENS1_60segmented_radix_sort_warp_sort_medium_config_static_selectorELNS0_4arch9wavefront6targetE1EEEvSK_.kd
    .uniform_work_group_size: 1
    .uses_dynamic_stack: false
    .vgpr_count:     0
    .vgpr_spill_count: 0
    .wavefront_size: 64
  - .args:
      - .offset:         0
        .size:           88
        .value_kind:     by_value
    .group_segment_fixed_size: 0
    .kernarg_segment_align: 8
    .kernarg_segment_size: 88
    .language:       OpenCL C
    .language_version:
      - 2
      - 0
    .max_flat_workgroup_size: 256
    .name:           _ZN7rocprim17ROCPRIM_400000_NS6detail17trampoline_kernelINS0_14default_configENS1_36segmented_radix_sort_config_selectorIilEEZNS1_25segmented_radix_sort_implIS3_Lb0EPKiPiPKlPlN2at6native12_GLOBAL__N_18offset_tEEE10hipError_tPvRmT1_PNSt15iterator_traitsISK_E10value_typeET2_T3_PNSL_ISQ_E10value_typeET4_jRbjT5_SW_jjP12ihipStream_tbEUlT_E1_NS1_11comp_targetILNS1_3genE0ELNS1_11target_archE4294967295ELNS1_3gpuE0ELNS1_3repE0EEENS1_59segmented_radix_sort_warp_sort_small_config_static_selectorELNS0_4arch9wavefront6targetE1EEEvSK_
    .private_segment_fixed_size: 0
    .sgpr_count:     4
    .sgpr_spill_count: 0
    .symbol:         _ZN7rocprim17ROCPRIM_400000_NS6detail17trampoline_kernelINS0_14default_configENS1_36segmented_radix_sort_config_selectorIilEEZNS1_25segmented_radix_sort_implIS3_Lb0EPKiPiPKlPlN2at6native12_GLOBAL__N_18offset_tEEE10hipError_tPvRmT1_PNSt15iterator_traitsISK_E10value_typeET2_T3_PNSL_ISQ_E10value_typeET4_jRbjT5_SW_jjP12ihipStream_tbEUlT_E1_NS1_11comp_targetILNS1_3genE0ELNS1_11target_archE4294967295ELNS1_3gpuE0ELNS1_3repE0EEENS1_59segmented_radix_sort_warp_sort_small_config_static_selectorELNS0_4arch9wavefront6targetE1EEEvSK_.kd
    .uniform_work_group_size: 1
    .uses_dynamic_stack: false
    .vgpr_count:     0
    .vgpr_spill_count: 0
    .wavefront_size: 64
  - .args:
      - .offset:         0
        .size:           88
        .value_kind:     by_value
    .group_segment_fixed_size: 0
    .kernarg_segment_align: 8
    .kernarg_segment_size: 88
    .language:       OpenCL C
    .language_version:
      - 2
      - 0
    .max_flat_workgroup_size: 256
    .name:           _ZN7rocprim17ROCPRIM_400000_NS6detail17trampoline_kernelINS0_14default_configENS1_36segmented_radix_sort_config_selectorIilEEZNS1_25segmented_radix_sort_implIS3_Lb0EPKiPiPKlPlN2at6native12_GLOBAL__N_18offset_tEEE10hipError_tPvRmT1_PNSt15iterator_traitsISK_E10value_typeET2_T3_PNSL_ISQ_E10value_typeET4_jRbjT5_SW_jjP12ihipStream_tbEUlT_E1_NS1_11comp_targetILNS1_3genE5ELNS1_11target_archE942ELNS1_3gpuE9ELNS1_3repE0EEENS1_59segmented_radix_sort_warp_sort_small_config_static_selectorELNS0_4arch9wavefront6targetE1EEEvSK_
    .private_segment_fixed_size: 0
    .sgpr_count:     4
    .sgpr_spill_count: 0
    .symbol:         _ZN7rocprim17ROCPRIM_400000_NS6detail17trampoline_kernelINS0_14default_configENS1_36segmented_radix_sort_config_selectorIilEEZNS1_25segmented_radix_sort_implIS3_Lb0EPKiPiPKlPlN2at6native12_GLOBAL__N_18offset_tEEE10hipError_tPvRmT1_PNSt15iterator_traitsISK_E10value_typeET2_T3_PNSL_ISQ_E10value_typeET4_jRbjT5_SW_jjP12ihipStream_tbEUlT_E1_NS1_11comp_targetILNS1_3genE5ELNS1_11target_archE942ELNS1_3gpuE9ELNS1_3repE0EEENS1_59segmented_radix_sort_warp_sort_small_config_static_selectorELNS0_4arch9wavefront6targetE1EEEvSK_.kd
    .uniform_work_group_size: 1
    .uses_dynamic_stack: false
    .vgpr_count:     0
    .vgpr_spill_count: 0
    .wavefront_size: 64
  - .args:
      - .offset:         0
        .size:           88
        .value_kind:     by_value
    .group_segment_fixed_size: 0
    .kernarg_segment_align: 8
    .kernarg_segment_size: 88
    .language:       OpenCL C
    .language_version:
      - 2
      - 0
    .max_flat_workgroup_size: 256
    .name:           _ZN7rocprim17ROCPRIM_400000_NS6detail17trampoline_kernelINS0_14default_configENS1_36segmented_radix_sort_config_selectorIilEEZNS1_25segmented_radix_sort_implIS3_Lb0EPKiPiPKlPlN2at6native12_GLOBAL__N_18offset_tEEE10hipError_tPvRmT1_PNSt15iterator_traitsISK_E10value_typeET2_T3_PNSL_ISQ_E10value_typeET4_jRbjT5_SW_jjP12ihipStream_tbEUlT_E1_NS1_11comp_targetILNS1_3genE4ELNS1_11target_archE910ELNS1_3gpuE8ELNS1_3repE0EEENS1_59segmented_radix_sort_warp_sort_small_config_static_selectorELNS0_4arch9wavefront6targetE1EEEvSK_
    .private_segment_fixed_size: 0
    .sgpr_count:     4
    .sgpr_spill_count: 0
    .symbol:         _ZN7rocprim17ROCPRIM_400000_NS6detail17trampoline_kernelINS0_14default_configENS1_36segmented_radix_sort_config_selectorIilEEZNS1_25segmented_radix_sort_implIS3_Lb0EPKiPiPKlPlN2at6native12_GLOBAL__N_18offset_tEEE10hipError_tPvRmT1_PNSt15iterator_traitsISK_E10value_typeET2_T3_PNSL_ISQ_E10value_typeET4_jRbjT5_SW_jjP12ihipStream_tbEUlT_E1_NS1_11comp_targetILNS1_3genE4ELNS1_11target_archE910ELNS1_3gpuE8ELNS1_3repE0EEENS1_59segmented_radix_sort_warp_sort_small_config_static_selectorELNS0_4arch9wavefront6targetE1EEEvSK_.kd
    .uniform_work_group_size: 1
    .uses_dynamic_stack: false
    .vgpr_count:     0
    .vgpr_spill_count: 0
    .wavefront_size: 64
  - .args:
      - .offset:         0
        .size:           88
        .value_kind:     by_value
    .group_segment_fixed_size: 0
    .kernarg_segment_align: 8
    .kernarg_segment_size: 88
    .language:       OpenCL C
    .language_version:
      - 2
      - 0
    .max_flat_workgroup_size: 256
    .name:           _ZN7rocprim17ROCPRIM_400000_NS6detail17trampoline_kernelINS0_14default_configENS1_36segmented_radix_sort_config_selectorIilEEZNS1_25segmented_radix_sort_implIS3_Lb0EPKiPiPKlPlN2at6native12_GLOBAL__N_18offset_tEEE10hipError_tPvRmT1_PNSt15iterator_traitsISK_E10value_typeET2_T3_PNSL_ISQ_E10value_typeET4_jRbjT5_SW_jjP12ihipStream_tbEUlT_E1_NS1_11comp_targetILNS1_3genE3ELNS1_11target_archE908ELNS1_3gpuE7ELNS1_3repE0EEENS1_59segmented_radix_sort_warp_sort_small_config_static_selectorELNS0_4arch9wavefront6targetE1EEEvSK_
    .private_segment_fixed_size: 0
    .sgpr_count:     4
    .sgpr_spill_count: 0
    .symbol:         _ZN7rocprim17ROCPRIM_400000_NS6detail17trampoline_kernelINS0_14default_configENS1_36segmented_radix_sort_config_selectorIilEEZNS1_25segmented_radix_sort_implIS3_Lb0EPKiPiPKlPlN2at6native12_GLOBAL__N_18offset_tEEE10hipError_tPvRmT1_PNSt15iterator_traitsISK_E10value_typeET2_T3_PNSL_ISQ_E10value_typeET4_jRbjT5_SW_jjP12ihipStream_tbEUlT_E1_NS1_11comp_targetILNS1_3genE3ELNS1_11target_archE908ELNS1_3gpuE7ELNS1_3repE0EEENS1_59segmented_radix_sort_warp_sort_small_config_static_selectorELNS0_4arch9wavefront6targetE1EEEvSK_.kd
    .uniform_work_group_size: 1
    .uses_dynamic_stack: false
    .vgpr_count:     0
    .vgpr_spill_count: 0
    .wavefront_size: 64
  - .args:
      - .offset:         0
        .size:           88
        .value_kind:     by_value
      - .offset:         88
        .size:           4
        .value_kind:     hidden_block_count_x
      - .offset:         92
        .size:           4
        .value_kind:     hidden_block_count_y
      - .offset:         96
        .size:           4
        .value_kind:     hidden_block_count_z
      - .offset:         100
        .size:           2
        .value_kind:     hidden_group_size_x
      - .offset:         102
        .size:           2
        .value_kind:     hidden_group_size_y
      - .offset:         104
        .size:           2
        .value_kind:     hidden_group_size_z
      - .offset:         106
        .size:           2
        .value_kind:     hidden_remainder_x
      - .offset:         108
        .size:           2
        .value_kind:     hidden_remainder_y
      - .offset:         110
        .size:           2
        .value_kind:     hidden_remainder_z
      - .offset:         128
        .size:           8
        .value_kind:     hidden_global_offset_x
      - .offset:         136
        .size:           8
        .value_kind:     hidden_global_offset_y
      - .offset:         144
        .size:           8
        .value_kind:     hidden_global_offset_z
      - .offset:         152
        .size:           2
        .value_kind:     hidden_grid_dims
    .group_segment_fixed_size: 12288
    .kernarg_segment_align: 8
    .kernarg_segment_size: 344
    .language:       OpenCL C
    .language_version:
      - 2
      - 0
    .max_flat_workgroup_size: 256
    .name:           _ZN7rocprim17ROCPRIM_400000_NS6detail17trampoline_kernelINS0_14default_configENS1_36segmented_radix_sort_config_selectorIilEEZNS1_25segmented_radix_sort_implIS3_Lb0EPKiPiPKlPlN2at6native12_GLOBAL__N_18offset_tEEE10hipError_tPvRmT1_PNSt15iterator_traitsISK_E10value_typeET2_T3_PNSL_ISQ_E10value_typeET4_jRbjT5_SW_jjP12ihipStream_tbEUlT_E1_NS1_11comp_targetILNS1_3genE2ELNS1_11target_archE906ELNS1_3gpuE6ELNS1_3repE0EEENS1_59segmented_radix_sort_warp_sort_small_config_static_selectorELNS0_4arch9wavefront6targetE1EEEvSK_
    .private_segment_fixed_size: 0
    .sgpr_count:     52
    .sgpr_spill_count: 0
    .symbol:         _ZN7rocprim17ROCPRIM_400000_NS6detail17trampoline_kernelINS0_14default_configENS1_36segmented_radix_sort_config_selectorIilEEZNS1_25segmented_radix_sort_implIS3_Lb0EPKiPiPKlPlN2at6native12_GLOBAL__N_18offset_tEEE10hipError_tPvRmT1_PNSt15iterator_traitsISK_E10value_typeET2_T3_PNSL_ISQ_E10value_typeET4_jRbjT5_SW_jjP12ihipStream_tbEUlT_E1_NS1_11comp_targetILNS1_3genE2ELNS1_11target_archE906ELNS1_3gpuE6ELNS1_3repE0EEENS1_59segmented_radix_sort_warp_sort_small_config_static_selectorELNS0_4arch9wavefront6targetE1EEEvSK_.kd
    .uniform_work_group_size: 1
    .uses_dynamic_stack: false
    .vgpr_count:     56
    .vgpr_spill_count: 0
    .wavefront_size: 64
  - .args:
      - .offset:         0
        .size:           88
        .value_kind:     by_value
    .group_segment_fixed_size: 0
    .kernarg_segment_align: 8
    .kernarg_segment_size: 88
    .language:       OpenCL C
    .language_version:
      - 2
      - 0
    .max_flat_workgroup_size: 256
    .name:           _ZN7rocprim17ROCPRIM_400000_NS6detail17trampoline_kernelINS0_14default_configENS1_36segmented_radix_sort_config_selectorIilEEZNS1_25segmented_radix_sort_implIS3_Lb0EPKiPiPKlPlN2at6native12_GLOBAL__N_18offset_tEEE10hipError_tPvRmT1_PNSt15iterator_traitsISK_E10value_typeET2_T3_PNSL_ISQ_E10value_typeET4_jRbjT5_SW_jjP12ihipStream_tbEUlT_E1_NS1_11comp_targetILNS1_3genE10ELNS1_11target_archE1201ELNS1_3gpuE5ELNS1_3repE0EEENS1_59segmented_radix_sort_warp_sort_small_config_static_selectorELNS0_4arch9wavefront6targetE1EEEvSK_
    .private_segment_fixed_size: 0
    .sgpr_count:     4
    .sgpr_spill_count: 0
    .symbol:         _ZN7rocprim17ROCPRIM_400000_NS6detail17trampoline_kernelINS0_14default_configENS1_36segmented_radix_sort_config_selectorIilEEZNS1_25segmented_radix_sort_implIS3_Lb0EPKiPiPKlPlN2at6native12_GLOBAL__N_18offset_tEEE10hipError_tPvRmT1_PNSt15iterator_traitsISK_E10value_typeET2_T3_PNSL_ISQ_E10value_typeET4_jRbjT5_SW_jjP12ihipStream_tbEUlT_E1_NS1_11comp_targetILNS1_3genE10ELNS1_11target_archE1201ELNS1_3gpuE5ELNS1_3repE0EEENS1_59segmented_radix_sort_warp_sort_small_config_static_selectorELNS0_4arch9wavefront6targetE1EEEvSK_.kd
    .uniform_work_group_size: 1
    .uses_dynamic_stack: false
    .vgpr_count:     0
    .vgpr_spill_count: 0
    .wavefront_size: 64
  - .args:
      - .offset:         0
        .size:           88
        .value_kind:     by_value
    .group_segment_fixed_size: 0
    .kernarg_segment_align: 8
    .kernarg_segment_size: 88
    .language:       OpenCL C
    .language_version:
      - 2
      - 0
    .max_flat_workgroup_size: 256
    .name:           _ZN7rocprim17ROCPRIM_400000_NS6detail17trampoline_kernelINS0_14default_configENS1_36segmented_radix_sort_config_selectorIilEEZNS1_25segmented_radix_sort_implIS3_Lb0EPKiPiPKlPlN2at6native12_GLOBAL__N_18offset_tEEE10hipError_tPvRmT1_PNSt15iterator_traitsISK_E10value_typeET2_T3_PNSL_ISQ_E10value_typeET4_jRbjT5_SW_jjP12ihipStream_tbEUlT_E1_NS1_11comp_targetILNS1_3genE10ELNS1_11target_archE1200ELNS1_3gpuE4ELNS1_3repE0EEENS1_59segmented_radix_sort_warp_sort_small_config_static_selectorELNS0_4arch9wavefront6targetE1EEEvSK_
    .private_segment_fixed_size: 0
    .sgpr_count:     4
    .sgpr_spill_count: 0
    .symbol:         _ZN7rocprim17ROCPRIM_400000_NS6detail17trampoline_kernelINS0_14default_configENS1_36segmented_radix_sort_config_selectorIilEEZNS1_25segmented_radix_sort_implIS3_Lb0EPKiPiPKlPlN2at6native12_GLOBAL__N_18offset_tEEE10hipError_tPvRmT1_PNSt15iterator_traitsISK_E10value_typeET2_T3_PNSL_ISQ_E10value_typeET4_jRbjT5_SW_jjP12ihipStream_tbEUlT_E1_NS1_11comp_targetILNS1_3genE10ELNS1_11target_archE1200ELNS1_3gpuE4ELNS1_3repE0EEENS1_59segmented_radix_sort_warp_sort_small_config_static_selectorELNS0_4arch9wavefront6targetE1EEEvSK_.kd
    .uniform_work_group_size: 1
    .uses_dynamic_stack: false
    .vgpr_count:     0
    .vgpr_spill_count: 0
    .wavefront_size: 64
  - .args:
      - .offset:         0
        .size:           88
        .value_kind:     by_value
    .group_segment_fixed_size: 0
    .kernarg_segment_align: 8
    .kernarg_segment_size: 88
    .language:       OpenCL C
    .language_version:
      - 2
      - 0
    .max_flat_workgroup_size: 256
    .name:           _ZN7rocprim17ROCPRIM_400000_NS6detail17trampoline_kernelINS0_14default_configENS1_36segmented_radix_sort_config_selectorIilEEZNS1_25segmented_radix_sort_implIS3_Lb0EPKiPiPKlPlN2at6native12_GLOBAL__N_18offset_tEEE10hipError_tPvRmT1_PNSt15iterator_traitsISK_E10value_typeET2_T3_PNSL_ISQ_E10value_typeET4_jRbjT5_SW_jjP12ihipStream_tbEUlT_E1_NS1_11comp_targetILNS1_3genE9ELNS1_11target_archE1100ELNS1_3gpuE3ELNS1_3repE0EEENS1_59segmented_radix_sort_warp_sort_small_config_static_selectorELNS0_4arch9wavefront6targetE1EEEvSK_
    .private_segment_fixed_size: 0
    .sgpr_count:     4
    .sgpr_spill_count: 0
    .symbol:         _ZN7rocprim17ROCPRIM_400000_NS6detail17trampoline_kernelINS0_14default_configENS1_36segmented_radix_sort_config_selectorIilEEZNS1_25segmented_radix_sort_implIS3_Lb0EPKiPiPKlPlN2at6native12_GLOBAL__N_18offset_tEEE10hipError_tPvRmT1_PNSt15iterator_traitsISK_E10value_typeET2_T3_PNSL_ISQ_E10value_typeET4_jRbjT5_SW_jjP12ihipStream_tbEUlT_E1_NS1_11comp_targetILNS1_3genE9ELNS1_11target_archE1100ELNS1_3gpuE3ELNS1_3repE0EEENS1_59segmented_radix_sort_warp_sort_small_config_static_selectorELNS0_4arch9wavefront6targetE1EEEvSK_.kd
    .uniform_work_group_size: 1
    .uses_dynamic_stack: false
    .vgpr_count:     0
    .vgpr_spill_count: 0
    .wavefront_size: 64
  - .args:
      - .offset:         0
        .size:           88
        .value_kind:     by_value
    .group_segment_fixed_size: 0
    .kernarg_segment_align: 8
    .kernarg_segment_size: 88
    .language:       OpenCL C
    .language_version:
      - 2
      - 0
    .max_flat_workgroup_size: 256
    .name:           _ZN7rocprim17ROCPRIM_400000_NS6detail17trampoline_kernelINS0_14default_configENS1_36segmented_radix_sort_config_selectorIilEEZNS1_25segmented_radix_sort_implIS3_Lb0EPKiPiPKlPlN2at6native12_GLOBAL__N_18offset_tEEE10hipError_tPvRmT1_PNSt15iterator_traitsISK_E10value_typeET2_T3_PNSL_ISQ_E10value_typeET4_jRbjT5_SW_jjP12ihipStream_tbEUlT_E1_NS1_11comp_targetILNS1_3genE8ELNS1_11target_archE1030ELNS1_3gpuE2ELNS1_3repE0EEENS1_59segmented_radix_sort_warp_sort_small_config_static_selectorELNS0_4arch9wavefront6targetE1EEEvSK_
    .private_segment_fixed_size: 0
    .sgpr_count:     4
    .sgpr_spill_count: 0
    .symbol:         _ZN7rocprim17ROCPRIM_400000_NS6detail17trampoline_kernelINS0_14default_configENS1_36segmented_radix_sort_config_selectorIilEEZNS1_25segmented_radix_sort_implIS3_Lb0EPKiPiPKlPlN2at6native12_GLOBAL__N_18offset_tEEE10hipError_tPvRmT1_PNSt15iterator_traitsISK_E10value_typeET2_T3_PNSL_ISQ_E10value_typeET4_jRbjT5_SW_jjP12ihipStream_tbEUlT_E1_NS1_11comp_targetILNS1_3genE8ELNS1_11target_archE1030ELNS1_3gpuE2ELNS1_3repE0EEENS1_59segmented_radix_sort_warp_sort_small_config_static_selectorELNS0_4arch9wavefront6targetE1EEEvSK_.kd
    .uniform_work_group_size: 1
    .uses_dynamic_stack: false
    .vgpr_count:     0
    .vgpr_spill_count: 0
    .wavefront_size: 64
  - .args:
      - .offset:         0
        .size:           80
        .value_kind:     by_value
    .group_segment_fixed_size: 0
    .kernarg_segment_align: 8
    .kernarg_segment_size: 80
    .language:       OpenCL C
    .language_version:
      - 2
      - 0
    .max_flat_workgroup_size: 256
    .name:           _ZN7rocprim17ROCPRIM_400000_NS6detail17trampoline_kernelINS0_14default_configENS1_36segmented_radix_sort_config_selectorIilEEZNS1_25segmented_radix_sort_implIS3_Lb0EPKiPiPKlPlN2at6native12_GLOBAL__N_18offset_tEEE10hipError_tPvRmT1_PNSt15iterator_traitsISK_E10value_typeET2_T3_PNSL_ISQ_E10value_typeET4_jRbjT5_SW_jjP12ihipStream_tbEUlT_E2_NS1_11comp_targetILNS1_3genE0ELNS1_11target_archE4294967295ELNS1_3gpuE0ELNS1_3repE0EEENS1_30default_config_static_selectorELNS0_4arch9wavefront6targetE1EEEvSK_
    .private_segment_fixed_size: 0
    .sgpr_count:     4
    .sgpr_spill_count: 0
    .symbol:         _ZN7rocprim17ROCPRIM_400000_NS6detail17trampoline_kernelINS0_14default_configENS1_36segmented_radix_sort_config_selectorIilEEZNS1_25segmented_radix_sort_implIS3_Lb0EPKiPiPKlPlN2at6native12_GLOBAL__N_18offset_tEEE10hipError_tPvRmT1_PNSt15iterator_traitsISK_E10value_typeET2_T3_PNSL_ISQ_E10value_typeET4_jRbjT5_SW_jjP12ihipStream_tbEUlT_E2_NS1_11comp_targetILNS1_3genE0ELNS1_11target_archE4294967295ELNS1_3gpuE0ELNS1_3repE0EEENS1_30default_config_static_selectorELNS0_4arch9wavefront6targetE1EEEvSK_.kd
    .uniform_work_group_size: 1
    .uses_dynamic_stack: false
    .vgpr_count:     0
    .vgpr_spill_count: 0
    .wavefront_size: 64
  - .args:
      - .offset:         0
        .size:           80
        .value_kind:     by_value
    .group_segment_fixed_size: 0
    .kernarg_segment_align: 8
    .kernarg_segment_size: 80
    .language:       OpenCL C
    .language_version:
      - 2
      - 0
    .max_flat_workgroup_size: 256
    .name:           _ZN7rocprim17ROCPRIM_400000_NS6detail17trampoline_kernelINS0_14default_configENS1_36segmented_radix_sort_config_selectorIilEEZNS1_25segmented_radix_sort_implIS3_Lb0EPKiPiPKlPlN2at6native12_GLOBAL__N_18offset_tEEE10hipError_tPvRmT1_PNSt15iterator_traitsISK_E10value_typeET2_T3_PNSL_ISQ_E10value_typeET4_jRbjT5_SW_jjP12ihipStream_tbEUlT_E2_NS1_11comp_targetILNS1_3genE5ELNS1_11target_archE942ELNS1_3gpuE9ELNS1_3repE0EEENS1_30default_config_static_selectorELNS0_4arch9wavefront6targetE1EEEvSK_
    .private_segment_fixed_size: 0
    .sgpr_count:     4
    .sgpr_spill_count: 0
    .symbol:         _ZN7rocprim17ROCPRIM_400000_NS6detail17trampoline_kernelINS0_14default_configENS1_36segmented_radix_sort_config_selectorIilEEZNS1_25segmented_radix_sort_implIS3_Lb0EPKiPiPKlPlN2at6native12_GLOBAL__N_18offset_tEEE10hipError_tPvRmT1_PNSt15iterator_traitsISK_E10value_typeET2_T3_PNSL_ISQ_E10value_typeET4_jRbjT5_SW_jjP12ihipStream_tbEUlT_E2_NS1_11comp_targetILNS1_3genE5ELNS1_11target_archE942ELNS1_3gpuE9ELNS1_3repE0EEENS1_30default_config_static_selectorELNS0_4arch9wavefront6targetE1EEEvSK_.kd
    .uniform_work_group_size: 1
    .uses_dynamic_stack: false
    .vgpr_count:     0
    .vgpr_spill_count: 0
    .wavefront_size: 64
  - .args:
      - .offset:         0
        .size:           80
        .value_kind:     by_value
    .group_segment_fixed_size: 0
    .kernarg_segment_align: 8
    .kernarg_segment_size: 80
    .language:       OpenCL C
    .language_version:
      - 2
      - 0
    .max_flat_workgroup_size: 256
    .name:           _ZN7rocprim17ROCPRIM_400000_NS6detail17trampoline_kernelINS0_14default_configENS1_36segmented_radix_sort_config_selectorIilEEZNS1_25segmented_radix_sort_implIS3_Lb0EPKiPiPKlPlN2at6native12_GLOBAL__N_18offset_tEEE10hipError_tPvRmT1_PNSt15iterator_traitsISK_E10value_typeET2_T3_PNSL_ISQ_E10value_typeET4_jRbjT5_SW_jjP12ihipStream_tbEUlT_E2_NS1_11comp_targetILNS1_3genE4ELNS1_11target_archE910ELNS1_3gpuE8ELNS1_3repE0EEENS1_30default_config_static_selectorELNS0_4arch9wavefront6targetE1EEEvSK_
    .private_segment_fixed_size: 0
    .sgpr_count:     4
    .sgpr_spill_count: 0
    .symbol:         _ZN7rocprim17ROCPRIM_400000_NS6detail17trampoline_kernelINS0_14default_configENS1_36segmented_radix_sort_config_selectorIilEEZNS1_25segmented_radix_sort_implIS3_Lb0EPKiPiPKlPlN2at6native12_GLOBAL__N_18offset_tEEE10hipError_tPvRmT1_PNSt15iterator_traitsISK_E10value_typeET2_T3_PNSL_ISQ_E10value_typeET4_jRbjT5_SW_jjP12ihipStream_tbEUlT_E2_NS1_11comp_targetILNS1_3genE4ELNS1_11target_archE910ELNS1_3gpuE8ELNS1_3repE0EEENS1_30default_config_static_selectorELNS0_4arch9wavefront6targetE1EEEvSK_.kd
    .uniform_work_group_size: 1
    .uses_dynamic_stack: false
    .vgpr_count:     0
    .vgpr_spill_count: 0
    .wavefront_size: 64
  - .args:
      - .offset:         0
        .size:           80
        .value_kind:     by_value
    .group_segment_fixed_size: 0
    .kernarg_segment_align: 8
    .kernarg_segment_size: 80
    .language:       OpenCL C
    .language_version:
      - 2
      - 0
    .max_flat_workgroup_size: 256
    .name:           _ZN7rocprim17ROCPRIM_400000_NS6detail17trampoline_kernelINS0_14default_configENS1_36segmented_radix_sort_config_selectorIilEEZNS1_25segmented_radix_sort_implIS3_Lb0EPKiPiPKlPlN2at6native12_GLOBAL__N_18offset_tEEE10hipError_tPvRmT1_PNSt15iterator_traitsISK_E10value_typeET2_T3_PNSL_ISQ_E10value_typeET4_jRbjT5_SW_jjP12ihipStream_tbEUlT_E2_NS1_11comp_targetILNS1_3genE3ELNS1_11target_archE908ELNS1_3gpuE7ELNS1_3repE0EEENS1_30default_config_static_selectorELNS0_4arch9wavefront6targetE1EEEvSK_
    .private_segment_fixed_size: 0
    .sgpr_count:     4
    .sgpr_spill_count: 0
    .symbol:         _ZN7rocprim17ROCPRIM_400000_NS6detail17trampoline_kernelINS0_14default_configENS1_36segmented_radix_sort_config_selectorIilEEZNS1_25segmented_radix_sort_implIS3_Lb0EPKiPiPKlPlN2at6native12_GLOBAL__N_18offset_tEEE10hipError_tPvRmT1_PNSt15iterator_traitsISK_E10value_typeET2_T3_PNSL_ISQ_E10value_typeET4_jRbjT5_SW_jjP12ihipStream_tbEUlT_E2_NS1_11comp_targetILNS1_3genE3ELNS1_11target_archE908ELNS1_3gpuE7ELNS1_3repE0EEENS1_30default_config_static_selectorELNS0_4arch9wavefront6targetE1EEEvSK_.kd
    .uniform_work_group_size: 1
    .uses_dynamic_stack: false
    .vgpr_count:     0
    .vgpr_spill_count: 0
    .wavefront_size: 64
  - .args:
      - .offset:         0
        .size:           80
        .value_kind:     by_value
      - .offset:         80
        .size:           4
        .value_kind:     hidden_block_count_x
      - .offset:         84
        .size:           4
        .value_kind:     hidden_block_count_y
      - .offset:         88
        .size:           4
        .value_kind:     hidden_block_count_z
      - .offset:         92
        .size:           2
        .value_kind:     hidden_group_size_x
      - .offset:         94
        .size:           2
        .value_kind:     hidden_group_size_y
      - .offset:         96
        .size:           2
        .value_kind:     hidden_group_size_z
      - .offset:         98
        .size:           2
        .value_kind:     hidden_remainder_x
      - .offset:         100
        .size:           2
        .value_kind:     hidden_remainder_y
      - .offset:         102
        .size:           2
        .value_kind:     hidden_remainder_z
      - .offset:         120
        .size:           8
        .value_kind:     hidden_global_offset_x
      - .offset:         128
        .size:           8
        .value_kind:     hidden_global_offset_y
      - .offset:         136
        .size:           8
        .value_kind:     hidden_global_offset_z
      - .offset:         144
        .size:           2
        .value_kind:     hidden_grid_dims
    .group_segment_fixed_size: 17424
    .kernarg_segment_align: 8
    .kernarg_segment_size: 336
    .language:       OpenCL C
    .language_version:
      - 2
      - 0
    .max_flat_workgroup_size: 256
    .name:           _ZN7rocprim17ROCPRIM_400000_NS6detail17trampoline_kernelINS0_14default_configENS1_36segmented_radix_sort_config_selectorIilEEZNS1_25segmented_radix_sort_implIS3_Lb0EPKiPiPKlPlN2at6native12_GLOBAL__N_18offset_tEEE10hipError_tPvRmT1_PNSt15iterator_traitsISK_E10value_typeET2_T3_PNSL_ISQ_E10value_typeET4_jRbjT5_SW_jjP12ihipStream_tbEUlT_E2_NS1_11comp_targetILNS1_3genE2ELNS1_11target_archE906ELNS1_3gpuE6ELNS1_3repE0EEENS1_30default_config_static_selectorELNS0_4arch9wavefront6targetE1EEEvSK_
    .private_segment_fixed_size: 0
    .sgpr_count:     84
    .sgpr_spill_count: 0
    .symbol:         _ZN7rocprim17ROCPRIM_400000_NS6detail17trampoline_kernelINS0_14default_configENS1_36segmented_radix_sort_config_selectorIilEEZNS1_25segmented_radix_sort_implIS3_Lb0EPKiPiPKlPlN2at6native12_GLOBAL__N_18offset_tEEE10hipError_tPvRmT1_PNSt15iterator_traitsISK_E10value_typeET2_T3_PNSL_ISQ_E10value_typeET4_jRbjT5_SW_jjP12ihipStream_tbEUlT_E2_NS1_11comp_targetILNS1_3genE2ELNS1_11target_archE906ELNS1_3gpuE6ELNS1_3repE0EEENS1_30default_config_static_selectorELNS0_4arch9wavefront6targetE1EEEvSK_.kd
    .uniform_work_group_size: 1
    .uses_dynamic_stack: false
    .vgpr_count:     177
    .vgpr_spill_count: 0
    .wavefront_size: 64
  - .args:
      - .offset:         0
        .size:           80
        .value_kind:     by_value
    .group_segment_fixed_size: 0
    .kernarg_segment_align: 8
    .kernarg_segment_size: 80
    .language:       OpenCL C
    .language_version:
      - 2
      - 0
    .max_flat_workgroup_size: 256
    .name:           _ZN7rocprim17ROCPRIM_400000_NS6detail17trampoline_kernelINS0_14default_configENS1_36segmented_radix_sort_config_selectorIilEEZNS1_25segmented_radix_sort_implIS3_Lb0EPKiPiPKlPlN2at6native12_GLOBAL__N_18offset_tEEE10hipError_tPvRmT1_PNSt15iterator_traitsISK_E10value_typeET2_T3_PNSL_ISQ_E10value_typeET4_jRbjT5_SW_jjP12ihipStream_tbEUlT_E2_NS1_11comp_targetILNS1_3genE10ELNS1_11target_archE1201ELNS1_3gpuE5ELNS1_3repE0EEENS1_30default_config_static_selectorELNS0_4arch9wavefront6targetE1EEEvSK_
    .private_segment_fixed_size: 0
    .sgpr_count:     4
    .sgpr_spill_count: 0
    .symbol:         _ZN7rocprim17ROCPRIM_400000_NS6detail17trampoline_kernelINS0_14default_configENS1_36segmented_radix_sort_config_selectorIilEEZNS1_25segmented_radix_sort_implIS3_Lb0EPKiPiPKlPlN2at6native12_GLOBAL__N_18offset_tEEE10hipError_tPvRmT1_PNSt15iterator_traitsISK_E10value_typeET2_T3_PNSL_ISQ_E10value_typeET4_jRbjT5_SW_jjP12ihipStream_tbEUlT_E2_NS1_11comp_targetILNS1_3genE10ELNS1_11target_archE1201ELNS1_3gpuE5ELNS1_3repE0EEENS1_30default_config_static_selectorELNS0_4arch9wavefront6targetE1EEEvSK_.kd
    .uniform_work_group_size: 1
    .uses_dynamic_stack: false
    .vgpr_count:     0
    .vgpr_spill_count: 0
    .wavefront_size: 64
  - .args:
      - .offset:         0
        .size:           80
        .value_kind:     by_value
    .group_segment_fixed_size: 0
    .kernarg_segment_align: 8
    .kernarg_segment_size: 80
    .language:       OpenCL C
    .language_version:
      - 2
      - 0
    .max_flat_workgroup_size: 128
    .name:           _ZN7rocprim17ROCPRIM_400000_NS6detail17trampoline_kernelINS0_14default_configENS1_36segmented_radix_sort_config_selectorIilEEZNS1_25segmented_radix_sort_implIS3_Lb0EPKiPiPKlPlN2at6native12_GLOBAL__N_18offset_tEEE10hipError_tPvRmT1_PNSt15iterator_traitsISK_E10value_typeET2_T3_PNSL_ISQ_E10value_typeET4_jRbjT5_SW_jjP12ihipStream_tbEUlT_E2_NS1_11comp_targetILNS1_3genE10ELNS1_11target_archE1200ELNS1_3gpuE4ELNS1_3repE0EEENS1_30default_config_static_selectorELNS0_4arch9wavefront6targetE1EEEvSK_
    .private_segment_fixed_size: 0
    .sgpr_count:     4
    .sgpr_spill_count: 0
    .symbol:         _ZN7rocprim17ROCPRIM_400000_NS6detail17trampoline_kernelINS0_14default_configENS1_36segmented_radix_sort_config_selectorIilEEZNS1_25segmented_radix_sort_implIS3_Lb0EPKiPiPKlPlN2at6native12_GLOBAL__N_18offset_tEEE10hipError_tPvRmT1_PNSt15iterator_traitsISK_E10value_typeET2_T3_PNSL_ISQ_E10value_typeET4_jRbjT5_SW_jjP12ihipStream_tbEUlT_E2_NS1_11comp_targetILNS1_3genE10ELNS1_11target_archE1200ELNS1_3gpuE4ELNS1_3repE0EEENS1_30default_config_static_selectorELNS0_4arch9wavefront6targetE1EEEvSK_.kd
    .uniform_work_group_size: 1
    .uses_dynamic_stack: false
    .vgpr_count:     0
    .vgpr_spill_count: 0
    .wavefront_size: 64
  - .args:
      - .offset:         0
        .size:           80
        .value_kind:     by_value
    .group_segment_fixed_size: 0
    .kernarg_segment_align: 8
    .kernarg_segment_size: 80
    .language:       OpenCL C
    .language_version:
      - 2
      - 0
    .max_flat_workgroup_size: 256
    .name:           _ZN7rocprim17ROCPRIM_400000_NS6detail17trampoline_kernelINS0_14default_configENS1_36segmented_radix_sort_config_selectorIilEEZNS1_25segmented_radix_sort_implIS3_Lb0EPKiPiPKlPlN2at6native12_GLOBAL__N_18offset_tEEE10hipError_tPvRmT1_PNSt15iterator_traitsISK_E10value_typeET2_T3_PNSL_ISQ_E10value_typeET4_jRbjT5_SW_jjP12ihipStream_tbEUlT_E2_NS1_11comp_targetILNS1_3genE9ELNS1_11target_archE1100ELNS1_3gpuE3ELNS1_3repE0EEENS1_30default_config_static_selectorELNS0_4arch9wavefront6targetE1EEEvSK_
    .private_segment_fixed_size: 0
    .sgpr_count:     4
    .sgpr_spill_count: 0
    .symbol:         _ZN7rocprim17ROCPRIM_400000_NS6detail17trampoline_kernelINS0_14default_configENS1_36segmented_radix_sort_config_selectorIilEEZNS1_25segmented_radix_sort_implIS3_Lb0EPKiPiPKlPlN2at6native12_GLOBAL__N_18offset_tEEE10hipError_tPvRmT1_PNSt15iterator_traitsISK_E10value_typeET2_T3_PNSL_ISQ_E10value_typeET4_jRbjT5_SW_jjP12ihipStream_tbEUlT_E2_NS1_11comp_targetILNS1_3genE9ELNS1_11target_archE1100ELNS1_3gpuE3ELNS1_3repE0EEENS1_30default_config_static_selectorELNS0_4arch9wavefront6targetE1EEEvSK_.kd
    .uniform_work_group_size: 1
    .uses_dynamic_stack: false
    .vgpr_count:     0
    .vgpr_spill_count: 0
    .wavefront_size: 64
  - .args:
      - .offset:         0
        .size:           80
        .value_kind:     by_value
    .group_segment_fixed_size: 0
    .kernarg_segment_align: 8
    .kernarg_segment_size: 80
    .language:       OpenCL C
    .language_version:
      - 2
      - 0
    .max_flat_workgroup_size: 256
    .name:           _ZN7rocprim17ROCPRIM_400000_NS6detail17trampoline_kernelINS0_14default_configENS1_36segmented_radix_sort_config_selectorIilEEZNS1_25segmented_radix_sort_implIS3_Lb0EPKiPiPKlPlN2at6native12_GLOBAL__N_18offset_tEEE10hipError_tPvRmT1_PNSt15iterator_traitsISK_E10value_typeET2_T3_PNSL_ISQ_E10value_typeET4_jRbjT5_SW_jjP12ihipStream_tbEUlT_E2_NS1_11comp_targetILNS1_3genE8ELNS1_11target_archE1030ELNS1_3gpuE2ELNS1_3repE0EEENS1_30default_config_static_selectorELNS0_4arch9wavefront6targetE1EEEvSK_
    .private_segment_fixed_size: 0
    .sgpr_count:     4
    .sgpr_spill_count: 0
    .symbol:         _ZN7rocprim17ROCPRIM_400000_NS6detail17trampoline_kernelINS0_14default_configENS1_36segmented_radix_sort_config_selectorIilEEZNS1_25segmented_radix_sort_implIS3_Lb0EPKiPiPKlPlN2at6native12_GLOBAL__N_18offset_tEEE10hipError_tPvRmT1_PNSt15iterator_traitsISK_E10value_typeET2_T3_PNSL_ISQ_E10value_typeET4_jRbjT5_SW_jjP12ihipStream_tbEUlT_E2_NS1_11comp_targetILNS1_3genE8ELNS1_11target_archE1030ELNS1_3gpuE2ELNS1_3repE0EEENS1_30default_config_static_selectorELNS0_4arch9wavefront6targetE1EEEvSK_.kd
    .uniform_work_group_size: 1
    .uses_dynamic_stack: false
    .vgpr_count:     0
    .vgpr_spill_count: 0
    .wavefront_size: 64
  - .args:
      - .address_space:  global
        .offset:         0
        .size:           8
        .value_kind:     global_buffer
      - .address_space:  global
        .offset:         8
        .size:           8
        .value_kind:     global_buffer
      - .address_space:  global
        .offset:         16
        .size:           8
        .value_kind:     global_buffer
      - .address_space:  global
        .offset:         24
        .size:           8
        .value_kind:     global_buffer
      - .offset:         32
        .size:           4
        .value_kind:     by_value
      - .offset:         36
        .size:           4
        .value_kind:     by_value
      - .offset:         40
        .size:           4
        .value_kind:     hidden_block_count_x
      - .offset:         44
        .size:           4
        .value_kind:     hidden_block_count_y
      - .offset:         48
        .size:           4
        .value_kind:     hidden_block_count_z
      - .offset:         52
        .size:           2
        .value_kind:     hidden_group_size_x
      - .offset:         54
        .size:           2
        .value_kind:     hidden_group_size_y
      - .offset:         56
        .size:           2
        .value_kind:     hidden_group_size_z
      - .offset:         58
        .size:           2
        .value_kind:     hidden_remainder_x
      - .offset:         60
        .size:           2
        .value_kind:     hidden_remainder_y
      - .offset:         62
        .size:           2
        .value_kind:     hidden_remainder_z
      - .offset:         80
        .size:           8
        .value_kind:     hidden_global_offset_x
      - .offset:         88
        .size:           8
        .value_kind:     hidden_global_offset_y
      - .offset:         96
        .size:           8
        .value_kind:     hidden_global_offset_z
      - .offset:         104
        .size:           2
        .value_kind:     hidden_grid_dims
    .group_segment_fixed_size: 0
    .kernarg_segment_align: 8
    .kernarg_segment_size: 296
    .language:       OpenCL C
    .language_version:
      - 2
      - 0
    .max_flat_workgroup_size: 1024
    .name:           _ZN2at6native12_GLOBAL__N_123sort_postprocess_kernelIlEEvPKT_PS3_PlPK15HIP_vector_typeIiLj2EEii
    .private_segment_fixed_size: 0
    .sgpr_count:     23
    .sgpr_spill_count: 0
    .symbol:         _ZN2at6native12_GLOBAL__N_123sort_postprocess_kernelIlEEvPKT_PS3_PlPK15HIP_vector_typeIiLj2EEii.kd
    .uniform_work_group_size: 1
    .uses_dynamic_stack: false
    .vgpr_count:     18
    .vgpr_spill_count: 0
    .wavefront_size: 64
  - .args:
      - .offset:         0
        .size:           176
        .value_kind:     by_value
    .group_segment_fixed_size: 0
    .kernarg_segment_align: 8
    .kernarg_segment_size: 176
    .language:       OpenCL C
    .language_version:
      - 2
      - 0
    .max_flat_workgroup_size: 256
    .name:           _ZN7rocprim17ROCPRIM_400000_NS6detail17trampoline_kernelINS0_13select_configILj256ELj13ELNS0_17block_load_methodE3ELS4_3ELS4_3ELNS0_20block_scan_algorithmE0ELj4294967295EEENS1_25partition_config_selectorILNS1_17partition_subalgoE4EjNS0_10empty_typeEbEEZZNS1_14partition_implILS8_4ELb0ES6_15HIP_vector_typeIjLj2EENS0_17counting_iteratorIjlEEPS9_SG_NS0_5tupleIJPjSI_NS0_16reverse_iteratorISI_EEEEENSH_IJSG_SG_SG_EEES9_SI_JZNS1_25segmented_radix_sort_implINS0_14default_configELb1EPKlPlSQ_SR_N2at6native12_GLOBAL__N_18offset_tEEE10hipError_tPvRmT1_PNSt15iterator_traitsISZ_E10value_typeET2_T3_PNS10_IS15_E10value_typeET4_jRbjT5_S1B_jjP12ihipStream_tbEUljE_ZNSN_ISO_Lb1ESQ_SR_SQ_SR_SV_EESW_SX_SY_SZ_S13_S14_S15_S18_S19_jS1A_jS1B_S1B_jjS1D_bEUljE0_EEESW_SX_SY_S15_S19_S1B_T6_T7_T9_mT8_S1D_bDpT10_ENKUlT_T0_E_clISt17integral_constantIbLb0EES1R_EEDaS1M_S1N_EUlS1M_E_NS1_11comp_targetILNS1_3genE0ELNS1_11target_archE4294967295ELNS1_3gpuE0ELNS1_3repE0EEENS1_30default_config_static_selectorELNS0_4arch9wavefront6targetE1EEEvSZ_
    .private_segment_fixed_size: 0
    .sgpr_count:     4
    .sgpr_spill_count: 0
    .symbol:         _ZN7rocprim17ROCPRIM_400000_NS6detail17trampoline_kernelINS0_13select_configILj256ELj13ELNS0_17block_load_methodE3ELS4_3ELS4_3ELNS0_20block_scan_algorithmE0ELj4294967295EEENS1_25partition_config_selectorILNS1_17partition_subalgoE4EjNS0_10empty_typeEbEEZZNS1_14partition_implILS8_4ELb0ES6_15HIP_vector_typeIjLj2EENS0_17counting_iteratorIjlEEPS9_SG_NS0_5tupleIJPjSI_NS0_16reverse_iteratorISI_EEEEENSH_IJSG_SG_SG_EEES9_SI_JZNS1_25segmented_radix_sort_implINS0_14default_configELb1EPKlPlSQ_SR_N2at6native12_GLOBAL__N_18offset_tEEE10hipError_tPvRmT1_PNSt15iterator_traitsISZ_E10value_typeET2_T3_PNS10_IS15_E10value_typeET4_jRbjT5_S1B_jjP12ihipStream_tbEUljE_ZNSN_ISO_Lb1ESQ_SR_SQ_SR_SV_EESW_SX_SY_SZ_S13_S14_S15_S18_S19_jS1A_jS1B_S1B_jjS1D_bEUljE0_EEESW_SX_SY_S15_S19_S1B_T6_T7_T9_mT8_S1D_bDpT10_ENKUlT_T0_E_clISt17integral_constantIbLb0EES1R_EEDaS1M_S1N_EUlS1M_E_NS1_11comp_targetILNS1_3genE0ELNS1_11target_archE4294967295ELNS1_3gpuE0ELNS1_3repE0EEENS1_30default_config_static_selectorELNS0_4arch9wavefront6targetE1EEEvSZ_.kd
    .uniform_work_group_size: 1
    .uses_dynamic_stack: false
    .vgpr_count:     0
    .vgpr_spill_count: 0
    .wavefront_size: 64
  - .args:
      - .offset:         0
        .size:           176
        .value_kind:     by_value
    .group_segment_fixed_size: 0
    .kernarg_segment_align: 8
    .kernarg_segment_size: 176
    .language:       OpenCL C
    .language_version:
      - 2
      - 0
    .max_flat_workgroup_size: 256
    .name:           _ZN7rocprim17ROCPRIM_400000_NS6detail17trampoline_kernelINS0_13select_configILj256ELj13ELNS0_17block_load_methodE3ELS4_3ELS4_3ELNS0_20block_scan_algorithmE0ELj4294967295EEENS1_25partition_config_selectorILNS1_17partition_subalgoE4EjNS0_10empty_typeEbEEZZNS1_14partition_implILS8_4ELb0ES6_15HIP_vector_typeIjLj2EENS0_17counting_iteratorIjlEEPS9_SG_NS0_5tupleIJPjSI_NS0_16reverse_iteratorISI_EEEEENSH_IJSG_SG_SG_EEES9_SI_JZNS1_25segmented_radix_sort_implINS0_14default_configELb1EPKlPlSQ_SR_N2at6native12_GLOBAL__N_18offset_tEEE10hipError_tPvRmT1_PNSt15iterator_traitsISZ_E10value_typeET2_T3_PNS10_IS15_E10value_typeET4_jRbjT5_S1B_jjP12ihipStream_tbEUljE_ZNSN_ISO_Lb1ESQ_SR_SQ_SR_SV_EESW_SX_SY_SZ_S13_S14_S15_S18_S19_jS1A_jS1B_S1B_jjS1D_bEUljE0_EEESW_SX_SY_S15_S19_S1B_T6_T7_T9_mT8_S1D_bDpT10_ENKUlT_T0_E_clISt17integral_constantIbLb0EES1R_EEDaS1M_S1N_EUlS1M_E_NS1_11comp_targetILNS1_3genE5ELNS1_11target_archE942ELNS1_3gpuE9ELNS1_3repE0EEENS1_30default_config_static_selectorELNS0_4arch9wavefront6targetE1EEEvSZ_
    .private_segment_fixed_size: 0
    .sgpr_count:     4
    .sgpr_spill_count: 0
    .symbol:         _ZN7rocprim17ROCPRIM_400000_NS6detail17trampoline_kernelINS0_13select_configILj256ELj13ELNS0_17block_load_methodE3ELS4_3ELS4_3ELNS0_20block_scan_algorithmE0ELj4294967295EEENS1_25partition_config_selectorILNS1_17partition_subalgoE4EjNS0_10empty_typeEbEEZZNS1_14partition_implILS8_4ELb0ES6_15HIP_vector_typeIjLj2EENS0_17counting_iteratorIjlEEPS9_SG_NS0_5tupleIJPjSI_NS0_16reverse_iteratorISI_EEEEENSH_IJSG_SG_SG_EEES9_SI_JZNS1_25segmented_radix_sort_implINS0_14default_configELb1EPKlPlSQ_SR_N2at6native12_GLOBAL__N_18offset_tEEE10hipError_tPvRmT1_PNSt15iterator_traitsISZ_E10value_typeET2_T3_PNS10_IS15_E10value_typeET4_jRbjT5_S1B_jjP12ihipStream_tbEUljE_ZNSN_ISO_Lb1ESQ_SR_SQ_SR_SV_EESW_SX_SY_SZ_S13_S14_S15_S18_S19_jS1A_jS1B_S1B_jjS1D_bEUljE0_EEESW_SX_SY_S15_S19_S1B_T6_T7_T9_mT8_S1D_bDpT10_ENKUlT_T0_E_clISt17integral_constantIbLb0EES1R_EEDaS1M_S1N_EUlS1M_E_NS1_11comp_targetILNS1_3genE5ELNS1_11target_archE942ELNS1_3gpuE9ELNS1_3repE0EEENS1_30default_config_static_selectorELNS0_4arch9wavefront6targetE1EEEvSZ_.kd
    .uniform_work_group_size: 1
    .uses_dynamic_stack: false
    .vgpr_count:     0
    .vgpr_spill_count: 0
    .wavefront_size: 64
  - .args:
      - .offset:         0
        .size:           176
        .value_kind:     by_value
    .group_segment_fixed_size: 0
    .kernarg_segment_align: 8
    .kernarg_segment_size: 176
    .language:       OpenCL C
    .language_version:
      - 2
      - 0
    .max_flat_workgroup_size: 256
    .name:           _ZN7rocprim17ROCPRIM_400000_NS6detail17trampoline_kernelINS0_13select_configILj256ELj13ELNS0_17block_load_methodE3ELS4_3ELS4_3ELNS0_20block_scan_algorithmE0ELj4294967295EEENS1_25partition_config_selectorILNS1_17partition_subalgoE4EjNS0_10empty_typeEbEEZZNS1_14partition_implILS8_4ELb0ES6_15HIP_vector_typeIjLj2EENS0_17counting_iteratorIjlEEPS9_SG_NS0_5tupleIJPjSI_NS0_16reverse_iteratorISI_EEEEENSH_IJSG_SG_SG_EEES9_SI_JZNS1_25segmented_radix_sort_implINS0_14default_configELb1EPKlPlSQ_SR_N2at6native12_GLOBAL__N_18offset_tEEE10hipError_tPvRmT1_PNSt15iterator_traitsISZ_E10value_typeET2_T3_PNS10_IS15_E10value_typeET4_jRbjT5_S1B_jjP12ihipStream_tbEUljE_ZNSN_ISO_Lb1ESQ_SR_SQ_SR_SV_EESW_SX_SY_SZ_S13_S14_S15_S18_S19_jS1A_jS1B_S1B_jjS1D_bEUljE0_EEESW_SX_SY_S15_S19_S1B_T6_T7_T9_mT8_S1D_bDpT10_ENKUlT_T0_E_clISt17integral_constantIbLb0EES1R_EEDaS1M_S1N_EUlS1M_E_NS1_11comp_targetILNS1_3genE4ELNS1_11target_archE910ELNS1_3gpuE8ELNS1_3repE0EEENS1_30default_config_static_selectorELNS0_4arch9wavefront6targetE1EEEvSZ_
    .private_segment_fixed_size: 0
    .sgpr_count:     4
    .sgpr_spill_count: 0
    .symbol:         _ZN7rocprim17ROCPRIM_400000_NS6detail17trampoline_kernelINS0_13select_configILj256ELj13ELNS0_17block_load_methodE3ELS4_3ELS4_3ELNS0_20block_scan_algorithmE0ELj4294967295EEENS1_25partition_config_selectorILNS1_17partition_subalgoE4EjNS0_10empty_typeEbEEZZNS1_14partition_implILS8_4ELb0ES6_15HIP_vector_typeIjLj2EENS0_17counting_iteratorIjlEEPS9_SG_NS0_5tupleIJPjSI_NS0_16reverse_iteratorISI_EEEEENSH_IJSG_SG_SG_EEES9_SI_JZNS1_25segmented_radix_sort_implINS0_14default_configELb1EPKlPlSQ_SR_N2at6native12_GLOBAL__N_18offset_tEEE10hipError_tPvRmT1_PNSt15iterator_traitsISZ_E10value_typeET2_T3_PNS10_IS15_E10value_typeET4_jRbjT5_S1B_jjP12ihipStream_tbEUljE_ZNSN_ISO_Lb1ESQ_SR_SQ_SR_SV_EESW_SX_SY_SZ_S13_S14_S15_S18_S19_jS1A_jS1B_S1B_jjS1D_bEUljE0_EEESW_SX_SY_S15_S19_S1B_T6_T7_T9_mT8_S1D_bDpT10_ENKUlT_T0_E_clISt17integral_constantIbLb0EES1R_EEDaS1M_S1N_EUlS1M_E_NS1_11comp_targetILNS1_3genE4ELNS1_11target_archE910ELNS1_3gpuE8ELNS1_3repE0EEENS1_30default_config_static_selectorELNS0_4arch9wavefront6targetE1EEEvSZ_.kd
    .uniform_work_group_size: 1
    .uses_dynamic_stack: false
    .vgpr_count:     0
    .vgpr_spill_count: 0
    .wavefront_size: 64
  - .args:
      - .offset:         0
        .size:           176
        .value_kind:     by_value
    .group_segment_fixed_size: 0
    .kernarg_segment_align: 8
    .kernarg_segment_size: 176
    .language:       OpenCL C
    .language_version:
      - 2
      - 0
    .max_flat_workgroup_size: 256
    .name:           _ZN7rocprim17ROCPRIM_400000_NS6detail17trampoline_kernelINS0_13select_configILj256ELj13ELNS0_17block_load_methodE3ELS4_3ELS4_3ELNS0_20block_scan_algorithmE0ELj4294967295EEENS1_25partition_config_selectorILNS1_17partition_subalgoE4EjNS0_10empty_typeEbEEZZNS1_14partition_implILS8_4ELb0ES6_15HIP_vector_typeIjLj2EENS0_17counting_iteratorIjlEEPS9_SG_NS0_5tupleIJPjSI_NS0_16reverse_iteratorISI_EEEEENSH_IJSG_SG_SG_EEES9_SI_JZNS1_25segmented_radix_sort_implINS0_14default_configELb1EPKlPlSQ_SR_N2at6native12_GLOBAL__N_18offset_tEEE10hipError_tPvRmT1_PNSt15iterator_traitsISZ_E10value_typeET2_T3_PNS10_IS15_E10value_typeET4_jRbjT5_S1B_jjP12ihipStream_tbEUljE_ZNSN_ISO_Lb1ESQ_SR_SQ_SR_SV_EESW_SX_SY_SZ_S13_S14_S15_S18_S19_jS1A_jS1B_S1B_jjS1D_bEUljE0_EEESW_SX_SY_S15_S19_S1B_T6_T7_T9_mT8_S1D_bDpT10_ENKUlT_T0_E_clISt17integral_constantIbLb0EES1R_EEDaS1M_S1N_EUlS1M_E_NS1_11comp_targetILNS1_3genE3ELNS1_11target_archE908ELNS1_3gpuE7ELNS1_3repE0EEENS1_30default_config_static_selectorELNS0_4arch9wavefront6targetE1EEEvSZ_
    .private_segment_fixed_size: 0
    .sgpr_count:     4
    .sgpr_spill_count: 0
    .symbol:         _ZN7rocprim17ROCPRIM_400000_NS6detail17trampoline_kernelINS0_13select_configILj256ELj13ELNS0_17block_load_methodE3ELS4_3ELS4_3ELNS0_20block_scan_algorithmE0ELj4294967295EEENS1_25partition_config_selectorILNS1_17partition_subalgoE4EjNS0_10empty_typeEbEEZZNS1_14partition_implILS8_4ELb0ES6_15HIP_vector_typeIjLj2EENS0_17counting_iteratorIjlEEPS9_SG_NS0_5tupleIJPjSI_NS0_16reverse_iteratorISI_EEEEENSH_IJSG_SG_SG_EEES9_SI_JZNS1_25segmented_radix_sort_implINS0_14default_configELb1EPKlPlSQ_SR_N2at6native12_GLOBAL__N_18offset_tEEE10hipError_tPvRmT1_PNSt15iterator_traitsISZ_E10value_typeET2_T3_PNS10_IS15_E10value_typeET4_jRbjT5_S1B_jjP12ihipStream_tbEUljE_ZNSN_ISO_Lb1ESQ_SR_SQ_SR_SV_EESW_SX_SY_SZ_S13_S14_S15_S18_S19_jS1A_jS1B_S1B_jjS1D_bEUljE0_EEESW_SX_SY_S15_S19_S1B_T6_T7_T9_mT8_S1D_bDpT10_ENKUlT_T0_E_clISt17integral_constantIbLb0EES1R_EEDaS1M_S1N_EUlS1M_E_NS1_11comp_targetILNS1_3genE3ELNS1_11target_archE908ELNS1_3gpuE7ELNS1_3repE0EEENS1_30default_config_static_selectorELNS0_4arch9wavefront6targetE1EEEvSZ_.kd
    .uniform_work_group_size: 1
    .uses_dynamic_stack: false
    .vgpr_count:     0
    .vgpr_spill_count: 0
    .wavefront_size: 64
  - .args:
      - .offset:         0
        .size:           176
        .value_kind:     by_value
    .group_segment_fixed_size: 13328
    .kernarg_segment_align: 8
    .kernarg_segment_size: 176
    .language:       OpenCL C
    .language_version:
      - 2
      - 0
    .max_flat_workgroup_size: 256
    .name:           _ZN7rocprim17ROCPRIM_400000_NS6detail17trampoline_kernelINS0_13select_configILj256ELj13ELNS0_17block_load_methodE3ELS4_3ELS4_3ELNS0_20block_scan_algorithmE0ELj4294967295EEENS1_25partition_config_selectorILNS1_17partition_subalgoE4EjNS0_10empty_typeEbEEZZNS1_14partition_implILS8_4ELb0ES6_15HIP_vector_typeIjLj2EENS0_17counting_iteratorIjlEEPS9_SG_NS0_5tupleIJPjSI_NS0_16reverse_iteratorISI_EEEEENSH_IJSG_SG_SG_EEES9_SI_JZNS1_25segmented_radix_sort_implINS0_14default_configELb1EPKlPlSQ_SR_N2at6native12_GLOBAL__N_18offset_tEEE10hipError_tPvRmT1_PNSt15iterator_traitsISZ_E10value_typeET2_T3_PNS10_IS15_E10value_typeET4_jRbjT5_S1B_jjP12ihipStream_tbEUljE_ZNSN_ISO_Lb1ESQ_SR_SQ_SR_SV_EESW_SX_SY_SZ_S13_S14_S15_S18_S19_jS1A_jS1B_S1B_jjS1D_bEUljE0_EEESW_SX_SY_S15_S19_S1B_T6_T7_T9_mT8_S1D_bDpT10_ENKUlT_T0_E_clISt17integral_constantIbLb0EES1R_EEDaS1M_S1N_EUlS1M_E_NS1_11comp_targetILNS1_3genE2ELNS1_11target_archE906ELNS1_3gpuE6ELNS1_3repE0EEENS1_30default_config_static_selectorELNS0_4arch9wavefront6targetE1EEEvSZ_
    .private_segment_fixed_size: 0
    .sgpr_count:     94
    .sgpr_spill_count: 0
    .symbol:         _ZN7rocprim17ROCPRIM_400000_NS6detail17trampoline_kernelINS0_13select_configILj256ELj13ELNS0_17block_load_methodE3ELS4_3ELS4_3ELNS0_20block_scan_algorithmE0ELj4294967295EEENS1_25partition_config_selectorILNS1_17partition_subalgoE4EjNS0_10empty_typeEbEEZZNS1_14partition_implILS8_4ELb0ES6_15HIP_vector_typeIjLj2EENS0_17counting_iteratorIjlEEPS9_SG_NS0_5tupleIJPjSI_NS0_16reverse_iteratorISI_EEEEENSH_IJSG_SG_SG_EEES9_SI_JZNS1_25segmented_radix_sort_implINS0_14default_configELb1EPKlPlSQ_SR_N2at6native12_GLOBAL__N_18offset_tEEE10hipError_tPvRmT1_PNSt15iterator_traitsISZ_E10value_typeET2_T3_PNS10_IS15_E10value_typeET4_jRbjT5_S1B_jjP12ihipStream_tbEUljE_ZNSN_ISO_Lb1ESQ_SR_SQ_SR_SV_EESW_SX_SY_SZ_S13_S14_S15_S18_S19_jS1A_jS1B_S1B_jjS1D_bEUljE0_EEESW_SX_SY_S15_S19_S1B_T6_T7_T9_mT8_S1D_bDpT10_ENKUlT_T0_E_clISt17integral_constantIbLb0EES1R_EEDaS1M_S1N_EUlS1M_E_NS1_11comp_targetILNS1_3genE2ELNS1_11target_archE906ELNS1_3gpuE6ELNS1_3repE0EEENS1_30default_config_static_selectorELNS0_4arch9wavefront6targetE1EEEvSZ_.kd
    .uniform_work_group_size: 1
    .uses_dynamic_stack: false
    .vgpr_count:     86
    .vgpr_spill_count: 0
    .wavefront_size: 64
  - .args:
      - .offset:         0
        .size:           176
        .value_kind:     by_value
    .group_segment_fixed_size: 0
    .kernarg_segment_align: 8
    .kernarg_segment_size: 176
    .language:       OpenCL C
    .language_version:
      - 2
      - 0
    .max_flat_workgroup_size: 256
    .name:           _ZN7rocprim17ROCPRIM_400000_NS6detail17trampoline_kernelINS0_13select_configILj256ELj13ELNS0_17block_load_methodE3ELS4_3ELS4_3ELNS0_20block_scan_algorithmE0ELj4294967295EEENS1_25partition_config_selectorILNS1_17partition_subalgoE4EjNS0_10empty_typeEbEEZZNS1_14partition_implILS8_4ELb0ES6_15HIP_vector_typeIjLj2EENS0_17counting_iteratorIjlEEPS9_SG_NS0_5tupleIJPjSI_NS0_16reverse_iteratorISI_EEEEENSH_IJSG_SG_SG_EEES9_SI_JZNS1_25segmented_radix_sort_implINS0_14default_configELb1EPKlPlSQ_SR_N2at6native12_GLOBAL__N_18offset_tEEE10hipError_tPvRmT1_PNSt15iterator_traitsISZ_E10value_typeET2_T3_PNS10_IS15_E10value_typeET4_jRbjT5_S1B_jjP12ihipStream_tbEUljE_ZNSN_ISO_Lb1ESQ_SR_SQ_SR_SV_EESW_SX_SY_SZ_S13_S14_S15_S18_S19_jS1A_jS1B_S1B_jjS1D_bEUljE0_EEESW_SX_SY_S15_S19_S1B_T6_T7_T9_mT8_S1D_bDpT10_ENKUlT_T0_E_clISt17integral_constantIbLb0EES1R_EEDaS1M_S1N_EUlS1M_E_NS1_11comp_targetILNS1_3genE10ELNS1_11target_archE1200ELNS1_3gpuE4ELNS1_3repE0EEENS1_30default_config_static_selectorELNS0_4arch9wavefront6targetE1EEEvSZ_
    .private_segment_fixed_size: 0
    .sgpr_count:     4
    .sgpr_spill_count: 0
    .symbol:         _ZN7rocprim17ROCPRIM_400000_NS6detail17trampoline_kernelINS0_13select_configILj256ELj13ELNS0_17block_load_methodE3ELS4_3ELS4_3ELNS0_20block_scan_algorithmE0ELj4294967295EEENS1_25partition_config_selectorILNS1_17partition_subalgoE4EjNS0_10empty_typeEbEEZZNS1_14partition_implILS8_4ELb0ES6_15HIP_vector_typeIjLj2EENS0_17counting_iteratorIjlEEPS9_SG_NS0_5tupleIJPjSI_NS0_16reverse_iteratorISI_EEEEENSH_IJSG_SG_SG_EEES9_SI_JZNS1_25segmented_radix_sort_implINS0_14default_configELb1EPKlPlSQ_SR_N2at6native12_GLOBAL__N_18offset_tEEE10hipError_tPvRmT1_PNSt15iterator_traitsISZ_E10value_typeET2_T3_PNS10_IS15_E10value_typeET4_jRbjT5_S1B_jjP12ihipStream_tbEUljE_ZNSN_ISO_Lb1ESQ_SR_SQ_SR_SV_EESW_SX_SY_SZ_S13_S14_S15_S18_S19_jS1A_jS1B_S1B_jjS1D_bEUljE0_EEESW_SX_SY_S15_S19_S1B_T6_T7_T9_mT8_S1D_bDpT10_ENKUlT_T0_E_clISt17integral_constantIbLb0EES1R_EEDaS1M_S1N_EUlS1M_E_NS1_11comp_targetILNS1_3genE10ELNS1_11target_archE1200ELNS1_3gpuE4ELNS1_3repE0EEENS1_30default_config_static_selectorELNS0_4arch9wavefront6targetE1EEEvSZ_.kd
    .uniform_work_group_size: 1
    .uses_dynamic_stack: false
    .vgpr_count:     0
    .vgpr_spill_count: 0
    .wavefront_size: 64
  - .args:
      - .offset:         0
        .size:           176
        .value_kind:     by_value
    .group_segment_fixed_size: 0
    .kernarg_segment_align: 8
    .kernarg_segment_size: 176
    .language:       OpenCL C
    .language_version:
      - 2
      - 0
    .max_flat_workgroup_size: 256
    .name:           _ZN7rocprim17ROCPRIM_400000_NS6detail17trampoline_kernelINS0_13select_configILj256ELj13ELNS0_17block_load_methodE3ELS4_3ELS4_3ELNS0_20block_scan_algorithmE0ELj4294967295EEENS1_25partition_config_selectorILNS1_17partition_subalgoE4EjNS0_10empty_typeEbEEZZNS1_14partition_implILS8_4ELb0ES6_15HIP_vector_typeIjLj2EENS0_17counting_iteratorIjlEEPS9_SG_NS0_5tupleIJPjSI_NS0_16reverse_iteratorISI_EEEEENSH_IJSG_SG_SG_EEES9_SI_JZNS1_25segmented_radix_sort_implINS0_14default_configELb1EPKlPlSQ_SR_N2at6native12_GLOBAL__N_18offset_tEEE10hipError_tPvRmT1_PNSt15iterator_traitsISZ_E10value_typeET2_T3_PNS10_IS15_E10value_typeET4_jRbjT5_S1B_jjP12ihipStream_tbEUljE_ZNSN_ISO_Lb1ESQ_SR_SQ_SR_SV_EESW_SX_SY_SZ_S13_S14_S15_S18_S19_jS1A_jS1B_S1B_jjS1D_bEUljE0_EEESW_SX_SY_S15_S19_S1B_T6_T7_T9_mT8_S1D_bDpT10_ENKUlT_T0_E_clISt17integral_constantIbLb0EES1R_EEDaS1M_S1N_EUlS1M_E_NS1_11comp_targetILNS1_3genE9ELNS1_11target_archE1100ELNS1_3gpuE3ELNS1_3repE0EEENS1_30default_config_static_selectorELNS0_4arch9wavefront6targetE1EEEvSZ_
    .private_segment_fixed_size: 0
    .sgpr_count:     4
    .sgpr_spill_count: 0
    .symbol:         _ZN7rocprim17ROCPRIM_400000_NS6detail17trampoline_kernelINS0_13select_configILj256ELj13ELNS0_17block_load_methodE3ELS4_3ELS4_3ELNS0_20block_scan_algorithmE0ELj4294967295EEENS1_25partition_config_selectorILNS1_17partition_subalgoE4EjNS0_10empty_typeEbEEZZNS1_14partition_implILS8_4ELb0ES6_15HIP_vector_typeIjLj2EENS0_17counting_iteratorIjlEEPS9_SG_NS0_5tupleIJPjSI_NS0_16reverse_iteratorISI_EEEEENSH_IJSG_SG_SG_EEES9_SI_JZNS1_25segmented_radix_sort_implINS0_14default_configELb1EPKlPlSQ_SR_N2at6native12_GLOBAL__N_18offset_tEEE10hipError_tPvRmT1_PNSt15iterator_traitsISZ_E10value_typeET2_T3_PNS10_IS15_E10value_typeET4_jRbjT5_S1B_jjP12ihipStream_tbEUljE_ZNSN_ISO_Lb1ESQ_SR_SQ_SR_SV_EESW_SX_SY_SZ_S13_S14_S15_S18_S19_jS1A_jS1B_S1B_jjS1D_bEUljE0_EEESW_SX_SY_S15_S19_S1B_T6_T7_T9_mT8_S1D_bDpT10_ENKUlT_T0_E_clISt17integral_constantIbLb0EES1R_EEDaS1M_S1N_EUlS1M_E_NS1_11comp_targetILNS1_3genE9ELNS1_11target_archE1100ELNS1_3gpuE3ELNS1_3repE0EEENS1_30default_config_static_selectorELNS0_4arch9wavefront6targetE1EEEvSZ_.kd
    .uniform_work_group_size: 1
    .uses_dynamic_stack: false
    .vgpr_count:     0
    .vgpr_spill_count: 0
    .wavefront_size: 64
  - .args:
      - .offset:         0
        .size:           176
        .value_kind:     by_value
    .group_segment_fixed_size: 0
    .kernarg_segment_align: 8
    .kernarg_segment_size: 176
    .language:       OpenCL C
    .language_version:
      - 2
      - 0
    .max_flat_workgroup_size: 256
    .name:           _ZN7rocprim17ROCPRIM_400000_NS6detail17trampoline_kernelINS0_13select_configILj256ELj13ELNS0_17block_load_methodE3ELS4_3ELS4_3ELNS0_20block_scan_algorithmE0ELj4294967295EEENS1_25partition_config_selectorILNS1_17partition_subalgoE4EjNS0_10empty_typeEbEEZZNS1_14partition_implILS8_4ELb0ES6_15HIP_vector_typeIjLj2EENS0_17counting_iteratorIjlEEPS9_SG_NS0_5tupleIJPjSI_NS0_16reverse_iteratorISI_EEEEENSH_IJSG_SG_SG_EEES9_SI_JZNS1_25segmented_radix_sort_implINS0_14default_configELb1EPKlPlSQ_SR_N2at6native12_GLOBAL__N_18offset_tEEE10hipError_tPvRmT1_PNSt15iterator_traitsISZ_E10value_typeET2_T3_PNS10_IS15_E10value_typeET4_jRbjT5_S1B_jjP12ihipStream_tbEUljE_ZNSN_ISO_Lb1ESQ_SR_SQ_SR_SV_EESW_SX_SY_SZ_S13_S14_S15_S18_S19_jS1A_jS1B_S1B_jjS1D_bEUljE0_EEESW_SX_SY_S15_S19_S1B_T6_T7_T9_mT8_S1D_bDpT10_ENKUlT_T0_E_clISt17integral_constantIbLb0EES1R_EEDaS1M_S1N_EUlS1M_E_NS1_11comp_targetILNS1_3genE8ELNS1_11target_archE1030ELNS1_3gpuE2ELNS1_3repE0EEENS1_30default_config_static_selectorELNS0_4arch9wavefront6targetE1EEEvSZ_
    .private_segment_fixed_size: 0
    .sgpr_count:     4
    .sgpr_spill_count: 0
    .symbol:         _ZN7rocprim17ROCPRIM_400000_NS6detail17trampoline_kernelINS0_13select_configILj256ELj13ELNS0_17block_load_methodE3ELS4_3ELS4_3ELNS0_20block_scan_algorithmE0ELj4294967295EEENS1_25partition_config_selectorILNS1_17partition_subalgoE4EjNS0_10empty_typeEbEEZZNS1_14partition_implILS8_4ELb0ES6_15HIP_vector_typeIjLj2EENS0_17counting_iteratorIjlEEPS9_SG_NS0_5tupleIJPjSI_NS0_16reverse_iteratorISI_EEEEENSH_IJSG_SG_SG_EEES9_SI_JZNS1_25segmented_radix_sort_implINS0_14default_configELb1EPKlPlSQ_SR_N2at6native12_GLOBAL__N_18offset_tEEE10hipError_tPvRmT1_PNSt15iterator_traitsISZ_E10value_typeET2_T3_PNS10_IS15_E10value_typeET4_jRbjT5_S1B_jjP12ihipStream_tbEUljE_ZNSN_ISO_Lb1ESQ_SR_SQ_SR_SV_EESW_SX_SY_SZ_S13_S14_S15_S18_S19_jS1A_jS1B_S1B_jjS1D_bEUljE0_EEESW_SX_SY_S15_S19_S1B_T6_T7_T9_mT8_S1D_bDpT10_ENKUlT_T0_E_clISt17integral_constantIbLb0EES1R_EEDaS1M_S1N_EUlS1M_E_NS1_11comp_targetILNS1_3genE8ELNS1_11target_archE1030ELNS1_3gpuE2ELNS1_3repE0EEENS1_30default_config_static_selectorELNS0_4arch9wavefront6targetE1EEEvSZ_.kd
    .uniform_work_group_size: 1
    .uses_dynamic_stack: false
    .vgpr_count:     0
    .vgpr_spill_count: 0
    .wavefront_size: 64
  - .args:
      - .offset:         0
        .size:           184
        .value_kind:     by_value
    .group_segment_fixed_size: 0
    .kernarg_segment_align: 8
    .kernarg_segment_size: 184
    .language:       OpenCL C
    .language_version:
      - 2
      - 0
    .max_flat_workgroup_size: 256
    .name:           _ZN7rocprim17ROCPRIM_400000_NS6detail17trampoline_kernelINS0_13select_configILj256ELj13ELNS0_17block_load_methodE3ELS4_3ELS4_3ELNS0_20block_scan_algorithmE0ELj4294967295EEENS1_25partition_config_selectorILNS1_17partition_subalgoE4EjNS0_10empty_typeEbEEZZNS1_14partition_implILS8_4ELb0ES6_15HIP_vector_typeIjLj2EENS0_17counting_iteratorIjlEEPS9_SG_NS0_5tupleIJPjSI_NS0_16reverse_iteratorISI_EEEEENSH_IJSG_SG_SG_EEES9_SI_JZNS1_25segmented_radix_sort_implINS0_14default_configELb1EPKlPlSQ_SR_N2at6native12_GLOBAL__N_18offset_tEEE10hipError_tPvRmT1_PNSt15iterator_traitsISZ_E10value_typeET2_T3_PNS10_IS15_E10value_typeET4_jRbjT5_S1B_jjP12ihipStream_tbEUljE_ZNSN_ISO_Lb1ESQ_SR_SQ_SR_SV_EESW_SX_SY_SZ_S13_S14_S15_S18_S19_jS1A_jS1B_S1B_jjS1D_bEUljE0_EEESW_SX_SY_S15_S19_S1B_T6_T7_T9_mT8_S1D_bDpT10_ENKUlT_T0_E_clISt17integral_constantIbLb1EES1R_EEDaS1M_S1N_EUlS1M_E_NS1_11comp_targetILNS1_3genE0ELNS1_11target_archE4294967295ELNS1_3gpuE0ELNS1_3repE0EEENS1_30default_config_static_selectorELNS0_4arch9wavefront6targetE1EEEvSZ_
    .private_segment_fixed_size: 0
    .sgpr_count:     4
    .sgpr_spill_count: 0
    .symbol:         _ZN7rocprim17ROCPRIM_400000_NS6detail17trampoline_kernelINS0_13select_configILj256ELj13ELNS0_17block_load_methodE3ELS4_3ELS4_3ELNS0_20block_scan_algorithmE0ELj4294967295EEENS1_25partition_config_selectorILNS1_17partition_subalgoE4EjNS0_10empty_typeEbEEZZNS1_14partition_implILS8_4ELb0ES6_15HIP_vector_typeIjLj2EENS0_17counting_iteratorIjlEEPS9_SG_NS0_5tupleIJPjSI_NS0_16reverse_iteratorISI_EEEEENSH_IJSG_SG_SG_EEES9_SI_JZNS1_25segmented_radix_sort_implINS0_14default_configELb1EPKlPlSQ_SR_N2at6native12_GLOBAL__N_18offset_tEEE10hipError_tPvRmT1_PNSt15iterator_traitsISZ_E10value_typeET2_T3_PNS10_IS15_E10value_typeET4_jRbjT5_S1B_jjP12ihipStream_tbEUljE_ZNSN_ISO_Lb1ESQ_SR_SQ_SR_SV_EESW_SX_SY_SZ_S13_S14_S15_S18_S19_jS1A_jS1B_S1B_jjS1D_bEUljE0_EEESW_SX_SY_S15_S19_S1B_T6_T7_T9_mT8_S1D_bDpT10_ENKUlT_T0_E_clISt17integral_constantIbLb1EES1R_EEDaS1M_S1N_EUlS1M_E_NS1_11comp_targetILNS1_3genE0ELNS1_11target_archE4294967295ELNS1_3gpuE0ELNS1_3repE0EEENS1_30default_config_static_selectorELNS0_4arch9wavefront6targetE1EEEvSZ_.kd
    .uniform_work_group_size: 1
    .uses_dynamic_stack: false
    .vgpr_count:     0
    .vgpr_spill_count: 0
    .wavefront_size: 64
  - .args:
      - .offset:         0
        .size:           184
        .value_kind:     by_value
    .group_segment_fixed_size: 0
    .kernarg_segment_align: 8
    .kernarg_segment_size: 184
    .language:       OpenCL C
    .language_version:
      - 2
      - 0
    .max_flat_workgroup_size: 256
    .name:           _ZN7rocprim17ROCPRIM_400000_NS6detail17trampoline_kernelINS0_13select_configILj256ELj13ELNS0_17block_load_methodE3ELS4_3ELS4_3ELNS0_20block_scan_algorithmE0ELj4294967295EEENS1_25partition_config_selectorILNS1_17partition_subalgoE4EjNS0_10empty_typeEbEEZZNS1_14partition_implILS8_4ELb0ES6_15HIP_vector_typeIjLj2EENS0_17counting_iteratorIjlEEPS9_SG_NS0_5tupleIJPjSI_NS0_16reverse_iteratorISI_EEEEENSH_IJSG_SG_SG_EEES9_SI_JZNS1_25segmented_radix_sort_implINS0_14default_configELb1EPKlPlSQ_SR_N2at6native12_GLOBAL__N_18offset_tEEE10hipError_tPvRmT1_PNSt15iterator_traitsISZ_E10value_typeET2_T3_PNS10_IS15_E10value_typeET4_jRbjT5_S1B_jjP12ihipStream_tbEUljE_ZNSN_ISO_Lb1ESQ_SR_SQ_SR_SV_EESW_SX_SY_SZ_S13_S14_S15_S18_S19_jS1A_jS1B_S1B_jjS1D_bEUljE0_EEESW_SX_SY_S15_S19_S1B_T6_T7_T9_mT8_S1D_bDpT10_ENKUlT_T0_E_clISt17integral_constantIbLb1EES1R_EEDaS1M_S1N_EUlS1M_E_NS1_11comp_targetILNS1_3genE5ELNS1_11target_archE942ELNS1_3gpuE9ELNS1_3repE0EEENS1_30default_config_static_selectorELNS0_4arch9wavefront6targetE1EEEvSZ_
    .private_segment_fixed_size: 0
    .sgpr_count:     4
    .sgpr_spill_count: 0
    .symbol:         _ZN7rocprim17ROCPRIM_400000_NS6detail17trampoline_kernelINS0_13select_configILj256ELj13ELNS0_17block_load_methodE3ELS4_3ELS4_3ELNS0_20block_scan_algorithmE0ELj4294967295EEENS1_25partition_config_selectorILNS1_17partition_subalgoE4EjNS0_10empty_typeEbEEZZNS1_14partition_implILS8_4ELb0ES6_15HIP_vector_typeIjLj2EENS0_17counting_iteratorIjlEEPS9_SG_NS0_5tupleIJPjSI_NS0_16reverse_iteratorISI_EEEEENSH_IJSG_SG_SG_EEES9_SI_JZNS1_25segmented_radix_sort_implINS0_14default_configELb1EPKlPlSQ_SR_N2at6native12_GLOBAL__N_18offset_tEEE10hipError_tPvRmT1_PNSt15iterator_traitsISZ_E10value_typeET2_T3_PNS10_IS15_E10value_typeET4_jRbjT5_S1B_jjP12ihipStream_tbEUljE_ZNSN_ISO_Lb1ESQ_SR_SQ_SR_SV_EESW_SX_SY_SZ_S13_S14_S15_S18_S19_jS1A_jS1B_S1B_jjS1D_bEUljE0_EEESW_SX_SY_S15_S19_S1B_T6_T7_T9_mT8_S1D_bDpT10_ENKUlT_T0_E_clISt17integral_constantIbLb1EES1R_EEDaS1M_S1N_EUlS1M_E_NS1_11comp_targetILNS1_3genE5ELNS1_11target_archE942ELNS1_3gpuE9ELNS1_3repE0EEENS1_30default_config_static_selectorELNS0_4arch9wavefront6targetE1EEEvSZ_.kd
    .uniform_work_group_size: 1
    .uses_dynamic_stack: false
    .vgpr_count:     0
    .vgpr_spill_count: 0
    .wavefront_size: 64
  - .args:
      - .offset:         0
        .size:           184
        .value_kind:     by_value
    .group_segment_fixed_size: 0
    .kernarg_segment_align: 8
    .kernarg_segment_size: 184
    .language:       OpenCL C
    .language_version:
      - 2
      - 0
    .max_flat_workgroup_size: 256
    .name:           _ZN7rocprim17ROCPRIM_400000_NS6detail17trampoline_kernelINS0_13select_configILj256ELj13ELNS0_17block_load_methodE3ELS4_3ELS4_3ELNS0_20block_scan_algorithmE0ELj4294967295EEENS1_25partition_config_selectorILNS1_17partition_subalgoE4EjNS0_10empty_typeEbEEZZNS1_14partition_implILS8_4ELb0ES6_15HIP_vector_typeIjLj2EENS0_17counting_iteratorIjlEEPS9_SG_NS0_5tupleIJPjSI_NS0_16reverse_iteratorISI_EEEEENSH_IJSG_SG_SG_EEES9_SI_JZNS1_25segmented_radix_sort_implINS0_14default_configELb1EPKlPlSQ_SR_N2at6native12_GLOBAL__N_18offset_tEEE10hipError_tPvRmT1_PNSt15iterator_traitsISZ_E10value_typeET2_T3_PNS10_IS15_E10value_typeET4_jRbjT5_S1B_jjP12ihipStream_tbEUljE_ZNSN_ISO_Lb1ESQ_SR_SQ_SR_SV_EESW_SX_SY_SZ_S13_S14_S15_S18_S19_jS1A_jS1B_S1B_jjS1D_bEUljE0_EEESW_SX_SY_S15_S19_S1B_T6_T7_T9_mT8_S1D_bDpT10_ENKUlT_T0_E_clISt17integral_constantIbLb1EES1R_EEDaS1M_S1N_EUlS1M_E_NS1_11comp_targetILNS1_3genE4ELNS1_11target_archE910ELNS1_3gpuE8ELNS1_3repE0EEENS1_30default_config_static_selectorELNS0_4arch9wavefront6targetE1EEEvSZ_
    .private_segment_fixed_size: 0
    .sgpr_count:     4
    .sgpr_spill_count: 0
    .symbol:         _ZN7rocprim17ROCPRIM_400000_NS6detail17trampoline_kernelINS0_13select_configILj256ELj13ELNS0_17block_load_methodE3ELS4_3ELS4_3ELNS0_20block_scan_algorithmE0ELj4294967295EEENS1_25partition_config_selectorILNS1_17partition_subalgoE4EjNS0_10empty_typeEbEEZZNS1_14partition_implILS8_4ELb0ES6_15HIP_vector_typeIjLj2EENS0_17counting_iteratorIjlEEPS9_SG_NS0_5tupleIJPjSI_NS0_16reverse_iteratorISI_EEEEENSH_IJSG_SG_SG_EEES9_SI_JZNS1_25segmented_radix_sort_implINS0_14default_configELb1EPKlPlSQ_SR_N2at6native12_GLOBAL__N_18offset_tEEE10hipError_tPvRmT1_PNSt15iterator_traitsISZ_E10value_typeET2_T3_PNS10_IS15_E10value_typeET4_jRbjT5_S1B_jjP12ihipStream_tbEUljE_ZNSN_ISO_Lb1ESQ_SR_SQ_SR_SV_EESW_SX_SY_SZ_S13_S14_S15_S18_S19_jS1A_jS1B_S1B_jjS1D_bEUljE0_EEESW_SX_SY_S15_S19_S1B_T6_T7_T9_mT8_S1D_bDpT10_ENKUlT_T0_E_clISt17integral_constantIbLb1EES1R_EEDaS1M_S1N_EUlS1M_E_NS1_11comp_targetILNS1_3genE4ELNS1_11target_archE910ELNS1_3gpuE8ELNS1_3repE0EEENS1_30default_config_static_selectorELNS0_4arch9wavefront6targetE1EEEvSZ_.kd
    .uniform_work_group_size: 1
    .uses_dynamic_stack: false
    .vgpr_count:     0
    .vgpr_spill_count: 0
    .wavefront_size: 64
  - .args:
      - .offset:         0
        .size:           184
        .value_kind:     by_value
    .group_segment_fixed_size: 0
    .kernarg_segment_align: 8
    .kernarg_segment_size: 184
    .language:       OpenCL C
    .language_version:
      - 2
      - 0
    .max_flat_workgroup_size: 256
    .name:           _ZN7rocprim17ROCPRIM_400000_NS6detail17trampoline_kernelINS0_13select_configILj256ELj13ELNS0_17block_load_methodE3ELS4_3ELS4_3ELNS0_20block_scan_algorithmE0ELj4294967295EEENS1_25partition_config_selectorILNS1_17partition_subalgoE4EjNS0_10empty_typeEbEEZZNS1_14partition_implILS8_4ELb0ES6_15HIP_vector_typeIjLj2EENS0_17counting_iteratorIjlEEPS9_SG_NS0_5tupleIJPjSI_NS0_16reverse_iteratorISI_EEEEENSH_IJSG_SG_SG_EEES9_SI_JZNS1_25segmented_radix_sort_implINS0_14default_configELb1EPKlPlSQ_SR_N2at6native12_GLOBAL__N_18offset_tEEE10hipError_tPvRmT1_PNSt15iterator_traitsISZ_E10value_typeET2_T3_PNS10_IS15_E10value_typeET4_jRbjT5_S1B_jjP12ihipStream_tbEUljE_ZNSN_ISO_Lb1ESQ_SR_SQ_SR_SV_EESW_SX_SY_SZ_S13_S14_S15_S18_S19_jS1A_jS1B_S1B_jjS1D_bEUljE0_EEESW_SX_SY_S15_S19_S1B_T6_T7_T9_mT8_S1D_bDpT10_ENKUlT_T0_E_clISt17integral_constantIbLb1EES1R_EEDaS1M_S1N_EUlS1M_E_NS1_11comp_targetILNS1_3genE3ELNS1_11target_archE908ELNS1_3gpuE7ELNS1_3repE0EEENS1_30default_config_static_selectorELNS0_4arch9wavefront6targetE1EEEvSZ_
    .private_segment_fixed_size: 0
    .sgpr_count:     4
    .sgpr_spill_count: 0
    .symbol:         _ZN7rocprim17ROCPRIM_400000_NS6detail17trampoline_kernelINS0_13select_configILj256ELj13ELNS0_17block_load_methodE3ELS4_3ELS4_3ELNS0_20block_scan_algorithmE0ELj4294967295EEENS1_25partition_config_selectorILNS1_17partition_subalgoE4EjNS0_10empty_typeEbEEZZNS1_14partition_implILS8_4ELb0ES6_15HIP_vector_typeIjLj2EENS0_17counting_iteratorIjlEEPS9_SG_NS0_5tupleIJPjSI_NS0_16reverse_iteratorISI_EEEEENSH_IJSG_SG_SG_EEES9_SI_JZNS1_25segmented_radix_sort_implINS0_14default_configELb1EPKlPlSQ_SR_N2at6native12_GLOBAL__N_18offset_tEEE10hipError_tPvRmT1_PNSt15iterator_traitsISZ_E10value_typeET2_T3_PNS10_IS15_E10value_typeET4_jRbjT5_S1B_jjP12ihipStream_tbEUljE_ZNSN_ISO_Lb1ESQ_SR_SQ_SR_SV_EESW_SX_SY_SZ_S13_S14_S15_S18_S19_jS1A_jS1B_S1B_jjS1D_bEUljE0_EEESW_SX_SY_S15_S19_S1B_T6_T7_T9_mT8_S1D_bDpT10_ENKUlT_T0_E_clISt17integral_constantIbLb1EES1R_EEDaS1M_S1N_EUlS1M_E_NS1_11comp_targetILNS1_3genE3ELNS1_11target_archE908ELNS1_3gpuE7ELNS1_3repE0EEENS1_30default_config_static_selectorELNS0_4arch9wavefront6targetE1EEEvSZ_.kd
    .uniform_work_group_size: 1
    .uses_dynamic_stack: false
    .vgpr_count:     0
    .vgpr_spill_count: 0
    .wavefront_size: 64
  - .args:
      - .offset:         0
        .size:           184
        .value_kind:     by_value
    .group_segment_fixed_size: 0
    .kernarg_segment_align: 8
    .kernarg_segment_size: 184
    .language:       OpenCL C
    .language_version:
      - 2
      - 0
    .max_flat_workgroup_size: 256
    .name:           _ZN7rocprim17ROCPRIM_400000_NS6detail17trampoline_kernelINS0_13select_configILj256ELj13ELNS0_17block_load_methodE3ELS4_3ELS4_3ELNS0_20block_scan_algorithmE0ELj4294967295EEENS1_25partition_config_selectorILNS1_17partition_subalgoE4EjNS0_10empty_typeEbEEZZNS1_14partition_implILS8_4ELb0ES6_15HIP_vector_typeIjLj2EENS0_17counting_iteratorIjlEEPS9_SG_NS0_5tupleIJPjSI_NS0_16reverse_iteratorISI_EEEEENSH_IJSG_SG_SG_EEES9_SI_JZNS1_25segmented_radix_sort_implINS0_14default_configELb1EPKlPlSQ_SR_N2at6native12_GLOBAL__N_18offset_tEEE10hipError_tPvRmT1_PNSt15iterator_traitsISZ_E10value_typeET2_T3_PNS10_IS15_E10value_typeET4_jRbjT5_S1B_jjP12ihipStream_tbEUljE_ZNSN_ISO_Lb1ESQ_SR_SQ_SR_SV_EESW_SX_SY_SZ_S13_S14_S15_S18_S19_jS1A_jS1B_S1B_jjS1D_bEUljE0_EEESW_SX_SY_S15_S19_S1B_T6_T7_T9_mT8_S1D_bDpT10_ENKUlT_T0_E_clISt17integral_constantIbLb1EES1R_EEDaS1M_S1N_EUlS1M_E_NS1_11comp_targetILNS1_3genE2ELNS1_11target_archE906ELNS1_3gpuE6ELNS1_3repE0EEENS1_30default_config_static_selectorELNS0_4arch9wavefront6targetE1EEEvSZ_
    .private_segment_fixed_size: 0
    .sgpr_count:     4
    .sgpr_spill_count: 0
    .symbol:         _ZN7rocprim17ROCPRIM_400000_NS6detail17trampoline_kernelINS0_13select_configILj256ELj13ELNS0_17block_load_methodE3ELS4_3ELS4_3ELNS0_20block_scan_algorithmE0ELj4294967295EEENS1_25partition_config_selectorILNS1_17partition_subalgoE4EjNS0_10empty_typeEbEEZZNS1_14partition_implILS8_4ELb0ES6_15HIP_vector_typeIjLj2EENS0_17counting_iteratorIjlEEPS9_SG_NS0_5tupleIJPjSI_NS0_16reverse_iteratorISI_EEEEENSH_IJSG_SG_SG_EEES9_SI_JZNS1_25segmented_radix_sort_implINS0_14default_configELb1EPKlPlSQ_SR_N2at6native12_GLOBAL__N_18offset_tEEE10hipError_tPvRmT1_PNSt15iterator_traitsISZ_E10value_typeET2_T3_PNS10_IS15_E10value_typeET4_jRbjT5_S1B_jjP12ihipStream_tbEUljE_ZNSN_ISO_Lb1ESQ_SR_SQ_SR_SV_EESW_SX_SY_SZ_S13_S14_S15_S18_S19_jS1A_jS1B_S1B_jjS1D_bEUljE0_EEESW_SX_SY_S15_S19_S1B_T6_T7_T9_mT8_S1D_bDpT10_ENKUlT_T0_E_clISt17integral_constantIbLb1EES1R_EEDaS1M_S1N_EUlS1M_E_NS1_11comp_targetILNS1_3genE2ELNS1_11target_archE906ELNS1_3gpuE6ELNS1_3repE0EEENS1_30default_config_static_selectorELNS0_4arch9wavefront6targetE1EEEvSZ_.kd
    .uniform_work_group_size: 1
    .uses_dynamic_stack: false
    .vgpr_count:     0
    .vgpr_spill_count: 0
    .wavefront_size: 64
  - .args:
      - .offset:         0
        .size:           184
        .value_kind:     by_value
    .group_segment_fixed_size: 0
    .kernarg_segment_align: 8
    .kernarg_segment_size: 184
    .language:       OpenCL C
    .language_version:
      - 2
      - 0
    .max_flat_workgroup_size: 256
    .name:           _ZN7rocprim17ROCPRIM_400000_NS6detail17trampoline_kernelINS0_13select_configILj256ELj13ELNS0_17block_load_methodE3ELS4_3ELS4_3ELNS0_20block_scan_algorithmE0ELj4294967295EEENS1_25partition_config_selectorILNS1_17partition_subalgoE4EjNS0_10empty_typeEbEEZZNS1_14partition_implILS8_4ELb0ES6_15HIP_vector_typeIjLj2EENS0_17counting_iteratorIjlEEPS9_SG_NS0_5tupleIJPjSI_NS0_16reverse_iteratorISI_EEEEENSH_IJSG_SG_SG_EEES9_SI_JZNS1_25segmented_radix_sort_implINS0_14default_configELb1EPKlPlSQ_SR_N2at6native12_GLOBAL__N_18offset_tEEE10hipError_tPvRmT1_PNSt15iterator_traitsISZ_E10value_typeET2_T3_PNS10_IS15_E10value_typeET4_jRbjT5_S1B_jjP12ihipStream_tbEUljE_ZNSN_ISO_Lb1ESQ_SR_SQ_SR_SV_EESW_SX_SY_SZ_S13_S14_S15_S18_S19_jS1A_jS1B_S1B_jjS1D_bEUljE0_EEESW_SX_SY_S15_S19_S1B_T6_T7_T9_mT8_S1D_bDpT10_ENKUlT_T0_E_clISt17integral_constantIbLb1EES1R_EEDaS1M_S1N_EUlS1M_E_NS1_11comp_targetILNS1_3genE10ELNS1_11target_archE1200ELNS1_3gpuE4ELNS1_3repE0EEENS1_30default_config_static_selectorELNS0_4arch9wavefront6targetE1EEEvSZ_
    .private_segment_fixed_size: 0
    .sgpr_count:     4
    .sgpr_spill_count: 0
    .symbol:         _ZN7rocprim17ROCPRIM_400000_NS6detail17trampoline_kernelINS0_13select_configILj256ELj13ELNS0_17block_load_methodE3ELS4_3ELS4_3ELNS0_20block_scan_algorithmE0ELj4294967295EEENS1_25partition_config_selectorILNS1_17partition_subalgoE4EjNS0_10empty_typeEbEEZZNS1_14partition_implILS8_4ELb0ES6_15HIP_vector_typeIjLj2EENS0_17counting_iteratorIjlEEPS9_SG_NS0_5tupleIJPjSI_NS0_16reverse_iteratorISI_EEEEENSH_IJSG_SG_SG_EEES9_SI_JZNS1_25segmented_radix_sort_implINS0_14default_configELb1EPKlPlSQ_SR_N2at6native12_GLOBAL__N_18offset_tEEE10hipError_tPvRmT1_PNSt15iterator_traitsISZ_E10value_typeET2_T3_PNS10_IS15_E10value_typeET4_jRbjT5_S1B_jjP12ihipStream_tbEUljE_ZNSN_ISO_Lb1ESQ_SR_SQ_SR_SV_EESW_SX_SY_SZ_S13_S14_S15_S18_S19_jS1A_jS1B_S1B_jjS1D_bEUljE0_EEESW_SX_SY_S15_S19_S1B_T6_T7_T9_mT8_S1D_bDpT10_ENKUlT_T0_E_clISt17integral_constantIbLb1EES1R_EEDaS1M_S1N_EUlS1M_E_NS1_11comp_targetILNS1_3genE10ELNS1_11target_archE1200ELNS1_3gpuE4ELNS1_3repE0EEENS1_30default_config_static_selectorELNS0_4arch9wavefront6targetE1EEEvSZ_.kd
    .uniform_work_group_size: 1
    .uses_dynamic_stack: false
    .vgpr_count:     0
    .vgpr_spill_count: 0
    .wavefront_size: 64
  - .args:
      - .offset:         0
        .size:           184
        .value_kind:     by_value
    .group_segment_fixed_size: 0
    .kernarg_segment_align: 8
    .kernarg_segment_size: 184
    .language:       OpenCL C
    .language_version:
      - 2
      - 0
    .max_flat_workgroup_size: 256
    .name:           _ZN7rocprim17ROCPRIM_400000_NS6detail17trampoline_kernelINS0_13select_configILj256ELj13ELNS0_17block_load_methodE3ELS4_3ELS4_3ELNS0_20block_scan_algorithmE0ELj4294967295EEENS1_25partition_config_selectorILNS1_17partition_subalgoE4EjNS0_10empty_typeEbEEZZNS1_14partition_implILS8_4ELb0ES6_15HIP_vector_typeIjLj2EENS0_17counting_iteratorIjlEEPS9_SG_NS0_5tupleIJPjSI_NS0_16reverse_iteratorISI_EEEEENSH_IJSG_SG_SG_EEES9_SI_JZNS1_25segmented_radix_sort_implINS0_14default_configELb1EPKlPlSQ_SR_N2at6native12_GLOBAL__N_18offset_tEEE10hipError_tPvRmT1_PNSt15iterator_traitsISZ_E10value_typeET2_T3_PNS10_IS15_E10value_typeET4_jRbjT5_S1B_jjP12ihipStream_tbEUljE_ZNSN_ISO_Lb1ESQ_SR_SQ_SR_SV_EESW_SX_SY_SZ_S13_S14_S15_S18_S19_jS1A_jS1B_S1B_jjS1D_bEUljE0_EEESW_SX_SY_S15_S19_S1B_T6_T7_T9_mT8_S1D_bDpT10_ENKUlT_T0_E_clISt17integral_constantIbLb1EES1R_EEDaS1M_S1N_EUlS1M_E_NS1_11comp_targetILNS1_3genE9ELNS1_11target_archE1100ELNS1_3gpuE3ELNS1_3repE0EEENS1_30default_config_static_selectorELNS0_4arch9wavefront6targetE1EEEvSZ_
    .private_segment_fixed_size: 0
    .sgpr_count:     4
    .sgpr_spill_count: 0
    .symbol:         _ZN7rocprim17ROCPRIM_400000_NS6detail17trampoline_kernelINS0_13select_configILj256ELj13ELNS0_17block_load_methodE3ELS4_3ELS4_3ELNS0_20block_scan_algorithmE0ELj4294967295EEENS1_25partition_config_selectorILNS1_17partition_subalgoE4EjNS0_10empty_typeEbEEZZNS1_14partition_implILS8_4ELb0ES6_15HIP_vector_typeIjLj2EENS0_17counting_iteratorIjlEEPS9_SG_NS0_5tupleIJPjSI_NS0_16reverse_iteratorISI_EEEEENSH_IJSG_SG_SG_EEES9_SI_JZNS1_25segmented_radix_sort_implINS0_14default_configELb1EPKlPlSQ_SR_N2at6native12_GLOBAL__N_18offset_tEEE10hipError_tPvRmT1_PNSt15iterator_traitsISZ_E10value_typeET2_T3_PNS10_IS15_E10value_typeET4_jRbjT5_S1B_jjP12ihipStream_tbEUljE_ZNSN_ISO_Lb1ESQ_SR_SQ_SR_SV_EESW_SX_SY_SZ_S13_S14_S15_S18_S19_jS1A_jS1B_S1B_jjS1D_bEUljE0_EEESW_SX_SY_S15_S19_S1B_T6_T7_T9_mT8_S1D_bDpT10_ENKUlT_T0_E_clISt17integral_constantIbLb1EES1R_EEDaS1M_S1N_EUlS1M_E_NS1_11comp_targetILNS1_3genE9ELNS1_11target_archE1100ELNS1_3gpuE3ELNS1_3repE0EEENS1_30default_config_static_selectorELNS0_4arch9wavefront6targetE1EEEvSZ_.kd
    .uniform_work_group_size: 1
    .uses_dynamic_stack: false
    .vgpr_count:     0
    .vgpr_spill_count: 0
    .wavefront_size: 64
  - .args:
      - .offset:         0
        .size:           184
        .value_kind:     by_value
    .group_segment_fixed_size: 0
    .kernarg_segment_align: 8
    .kernarg_segment_size: 184
    .language:       OpenCL C
    .language_version:
      - 2
      - 0
    .max_flat_workgroup_size: 256
    .name:           _ZN7rocprim17ROCPRIM_400000_NS6detail17trampoline_kernelINS0_13select_configILj256ELj13ELNS0_17block_load_methodE3ELS4_3ELS4_3ELNS0_20block_scan_algorithmE0ELj4294967295EEENS1_25partition_config_selectorILNS1_17partition_subalgoE4EjNS0_10empty_typeEbEEZZNS1_14partition_implILS8_4ELb0ES6_15HIP_vector_typeIjLj2EENS0_17counting_iteratorIjlEEPS9_SG_NS0_5tupleIJPjSI_NS0_16reverse_iteratorISI_EEEEENSH_IJSG_SG_SG_EEES9_SI_JZNS1_25segmented_radix_sort_implINS0_14default_configELb1EPKlPlSQ_SR_N2at6native12_GLOBAL__N_18offset_tEEE10hipError_tPvRmT1_PNSt15iterator_traitsISZ_E10value_typeET2_T3_PNS10_IS15_E10value_typeET4_jRbjT5_S1B_jjP12ihipStream_tbEUljE_ZNSN_ISO_Lb1ESQ_SR_SQ_SR_SV_EESW_SX_SY_SZ_S13_S14_S15_S18_S19_jS1A_jS1B_S1B_jjS1D_bEUljE0_EEESW_SX_SY_S15_S19_S1B_T6_T7_T9_mT8_S1D_bDpT10_ENKUlT_T0_E_clISt17integral_constantIbLb1EES1R_EEDaS1M_S1N_EUlS1M_E_NS1_11comp_targetILNS1_3genE8ELNS1_11target_archE1030ELNS1_3gpuE2ELNS1_3repE0EEENS1_30default_config_static_selectorELNS0_4arch9wavefront6targetE1EEEvSZ_
    .private_segment_fixed_size: 0
    .sgpr_count:     4
    .sgpr_spill_count: 0
    .symbol:         _ZN7rocprim17ROCPRIM_400000_NS6detail17trampoline_kernelINS0_13select_configILj256ELj13ELNS0_17block_load_methodE3ELS4_3ELS4_3ELNS0_20block_scan_algorithmE0ELj4294967295EEENS1_25partition_config_selectorILNS1_17partition_subalgoE4EjNS0_10empty_typeEbEEZZNS1_14partition_implILS8_4ELb0ES6_15HIP_vector_typeIjLj2EENS0_17counting_iteratorIjlEEPS9_SG_NS0_5tupleIJPjSI_NS0_16reverse_iteratorISI_EEEEENSH_IJSG_SG_SG_EEES9_SI_JZNS1_25segmented_radix_sort_implINS0_14default_configELb1EPKlPlSQ_SR_N2at6native12_GLOBAL__N_18offset_tEEE10hipError_tPvRmT1_PNSt15iterator_traitsISZ_E10value_typeET2_T3_PNS10_IS15_E10value_typeET4_jRbjT5_S1B_jjP12ihipStream_tbEUljE_ZNSN_ISO_Lb1ESQ_SR_SQ_SR_SV_EESW_SX_SY_SZ_S13_S14_S15_S18_S19_jS1A_jS1B_S1B_jjS1D_bEUljE0_EEESW_SX_SY_S15_S19_S1B_T6_T7_T9_mT8_S1D_bDpT10_ENKUlT_T0_E_clISt17integral_constantIbLb1EES1R_EEDaS1M_S1N_EUlS1M_E_NS1_11comp_targetILNS1_3genE8ELNS1_11target_archE1030ELNS1_3gpuE2ELNS1_3repE0EEENS1_30default_config_static_selectorELNS0_4arch9wavefront6targetE1EEEvSZ_.kd
    .uniform_work_group_size: 1
    .uses_dynamic_stack: false
    .vgpr_count:     0
    .vgpr_spill_count: 0
    .wavefront_size: 64
  - .args:
      - .offset:         0
        .size:           176
        .value_kind:     by_value
    .group_segment_fixed_size: 0
    .kernarg_segment_align: 8
    .kernarg_segment_size: 176
    .language:       OpenCL C
    .language_version:
      - 2
      - 0
    .max_flat_workgroup_size: 256
    .name:           _ZN7rocprim17ROCPRIM_400000_NS6detail17trampoline_kernelINS0_13select_configILj256ELj13ELNS0_17block_load_methodE3ELS4_3ELS4_3ELNS0_20block_scan_algorithmE0ELj4294967295EEENS1_25partition_config_selectorILNS1_17partition_subalgoE4EjNS0_10empty_typeEbEEZZNS1_14partition_implILS8_4ELb0ES6_15HIP_vector_typeIjLj2EENS0_17counting_iteratorIjlEEPS9_SG_NS0_5tupleIJPjSI_NS0_16reverse_iteratorISI_EEEEENSH_IJSG_SG_SG_EEES9_SI_JZNS1_25segmented_radix_sort_implINS0_14default_configELb1EPKlPlSQ_SR_N2at6native12_GLOBAL__N_18offset_tEEE10hipError_tPvRmT1_PNSt15iterator_traitsISZ_E10value_typeET2_T3_PNS10_IS15_E10value_typeET4_jRbjT5_S1B_jjP12ihipStream_tbEUljE_ZNSN_ISO_Lb1ESQ_SR_SQ_SR_SV_EESW_SX_SY_SZ_S13_S14_S15_S18_S19_jS1A_jS1B_S1B_jjS1D_bEUljE0_EEESW_SX_SY_S15_S19_S1B_T6_T7_T9_mT8_S1D_bDpT10_ENKUlT_T0_E_clISt17integral_constantIbLb1EES1Q_IbLb0EEEEDaS1M_S1N_EUlS1M_E_NS1_11comp_targetILNS1_3genE0ELNS1_11target_archE4294967295ELNS1_3gpuE0ELNS1_3repE0EEENS1_30default_config_static_selectorELNS0_4arch9wavefront6targetE1EEEvSZ_
    .private_segment_fixed_size: 0
    .sgpr_count:     4
    .sgpr_spill_count: 0
    .symbol:         _ZN7rocprim17ROCPRIM_400000_NS6detail17trampoline_kernelINS0_13select_configILj256ELj13ELNS0_17block_load_methodE3ELS4_3ELS4_3ELNS0_20block_scan_algorithmE0ELj4294967295EEENS1_25partition_config_selectorILNS1_17partition_subalgoE4EjNS0_10empty_typeEbEEZZNS1_14partition_implILS8_4ELb0ES6_15HIP_vector_typeIjLj2EENS0_17counting_iteratorIjlEEPS9_SG_NS0_5tupleIJPjSI_NS0_16reverse_iteratorISI_EEEEENSH_IJSG_SG_SG_EEES9_SI_JZNS1_25segmented_radix_sort_implINS0_14default_configELb1EPKlPlSQ_SR_N2at6native12_GLOBAL__N_18offset_tEEE10hipError_tPvRmT1_PNSt15iterator_traitsISZ_E10value_typeET2_T3_PNS10_IS15_E10value_typeET4_jRbjT5_S1B_jjP12ihipStream_tbEUljE_ZNSN_ISO_Lb1ESQ_SR_SQ_SR_SV_EESW_SX_SY_SZ_S13_S14_S15_S18_S19_jS1A_jS1B_S1B_jjS1D_bEUljE0_EEESW_SX_SY_S15_S19_S1B_T6_T7_T9_mT8_S1D_bDpT10_ENKUlT_T0_E_clISt17integral_constantIbLb1EES1Q_IbLb0EEEEDaS1M_S1N_EUlS1M_E_NS1_11comp_targetILNS1_3genE0ELNS1_11target_archE4294967295ELNS1_3gpuE0ELNS1_3repE0EEENS1_30default_config_static_selectorELNS0_4arch9wavefront6targetE1EEEvSZ_.kd
    .uniform_work_group_size: 1
    .uses_dynamic_stack: false
    .vgpr_count:     0
    .vgpr_spill_count: 0
    .wavefront_size: 64
  - .args:
      - .offset:         0
        .size:           176
        .value_kind:     by_value
    .group_segment_fixed_size: 0
    .kernarg_segment_align: 8
    .kernarg_segment_size: 176
    .language:       OpenCL C
    .language_version:
      - 2
      - 0
    .max_flat_workgroup_size: 256
    .name:           _ZN7rocprim17ROCPRIM_400000_NS6detail17trampoline_kernelINS0_13select_configILj256ELj13ELNS0_17block_load_methodE3ELS4_3ELS4_3ELNS0_20block_scan_algorithmE0ELj4294967295EEENS1_25partition_config_selectorILNS1_17partition_subalgoE4EjNS0_10empty_typeEbEEZZNS1_14partition_implILS8_4ELb0ES6_15HIP_vector_typeIjLj2EENS0_17counting_iteratorIjlEEPS9_SG_NS0_5tupleIJPjSI_NS0_16reverse_iteratorISI_EEEEENSH_IJSG_SG_SG_EEES9_SI_JZNS1_25segmented_radix_sort_implINS0_14default_configELb1EPKlPlSQ_SR_N2at6native12_GLOBAL__N_18offset_tEEE10hipError_tPvRmT1_PNSt15iterator_traitsISZ_E10value_typeET2_T3_PNS10_IS15_E10value_typeET4_jRbjT5_S1B_jjP12ihipStream_tbEUljE_ZNSN_ISO_Lb1ESQ_SR_SQ_SR_SV_EESW_SX_SY_SZ_S13_S14_S15_S18_S19_jS1A_jS1B_S1B_jjS1D_bEUljE0_EEESW_SX_SY_S15_S19_S1B_T6_T7_T9_mT8_S1D_bDpT10_ENKUlT_T0_E_clISt17integral_constantIbLb1EES1Q_IbLb0EEEEDaS1M_S1N_EUlS1M_E_NS1_11comp_targetILNS1_3genE5ELNS1_11target_archE942ELNS1_3gpuE9ELNS1_3repE0EEENS1_30default_config_static_selectorELNS0_4arch9wavefront6targetE1EEEvSZ_
    .private_segment_fixed_size: 0
    .sgpr_count:     4
    .sgpr_spill_count: 0
    .symbol:         _ZN7rocprim17ROCPRIM_400000_NS6detail17trampoline_kernelINS0_13select_configILj256ELj13ELNS0_17block_load_methodE3ELS4_3ELS4_3ELNS0_20block_scan_algorithmE0ELj4294967295EEENS1_25partition_config_selectorILNS1_17partition_subalgoE4EjNS0_10empty_typeEbEEZZNS1_14partition_implILS8_4ELb0ES6_15HIP_vector_typeIjLj2EENS0_17counting_iteratorIjlEEPS9_SG_NS0_5tupleIJPjSI_NS0_16reverse_iteratorISI_EEEEENSH_IJSG_SG_SG_EEES9_SI_JZNS1_25segmented_radix_sort_implINS0_14default_configELb1EPKlPlSQ_SR_N2at6native12_GLOBAL__N_18offset_tEEE10hipError_tPvRmT1_PNSt15iterator_traitsISZ_E10value_typeET2_T3_PNS10_IS15_E10value_typeET4_jRbjT5_S1B_jjP12ihipStream_tbEUljE_ZNSN_ISO_Lb1ESQ_SR_SQ_SR_SV_EESW_SX_SY_SZ_S13_S14_S15_S18_S19_jS1A_jS1B_S1B_jjS1D_bEUljE0_EEESW_SX_SY_S15_S19_S1B_T6_T7_T9_mT8_S1D_bDpT10_ENKUlT_T0_E_clISt17integral_constantIbLb1EES1Q_IbLb0EEEEDaS1M_S1N_EUlS1M_E_NS1_11comp_targetILNS1_3genE5ELNS1_11target_archE942ELNS1_3gpuE9ELNS1_3repE0EEENS1_30default_config_static_selectorELNS0_4arch9wavefront6targetE1EEEvSZ_.kd
    .uniform_work_group_size: 1
    .uses_dynamic_stack: false
    .vgpr_count:     0
    .vgpr_spill_count: 0
    .wavefront_size: 64
  - .args:
      - .offset:         0
        .size:           176
        .value_kind:     by_value
    .group_segment_fixed_size: 0
    .kernarg_segment_align: 8
    .kernarg_segment_size: 176
    .language:       OpenCL C
    .language_version:
      - 2
      - 0
    .max_flat_workgroup_size: 256
    .name:           _ZN7rocprim17ROCPRIM_400000_NS6detail17trampoline_kernelINS0_13select_configILj256ELj13ELNS0_17block_load_methodE3ELS4_3ELS4_3ELNS0_20block_scan_algorithmE0ELj4294967295EEENS1_25partition_config_selectorILNS1_17partition_subalgoE4EjNS0_10empty_typeEbEEZZNS1_14partition_implILS8_4ELb0ES6_15HIP_vector_typeIjLj2EENS0_17counting_iteratorIjlEEPS9_SG_NS0_5tupleIJPjSI_NS0_16reverse_iteratorISI_EEEEENSH_IJSG_SG_SG_EEES9_SI_JZNS1_25segmented_radix_sort_implINS0_14default_configELb1EPKlPlSQ_SR_N2at6native12_GLOBAL__N_18offset_tEEE10hipError_tPvRmT1_PNSt15iterator_traitsISZ_E10value_typeET2_T3_PNS10_IS15_E10value_typeET4_jRbjT5_S1B_jjP12ihipStream_tbEUljE_ZNSN_ISO_Lb1ESQ_SR_SQ_SR_SV_EESW_SX_SY_SZ_S13_S14_S15_S18_S19_jS1A_jS1B_S1B_jjS1D_bEUljE0_EEESW_SX_SY_S15_S19_S1B_T6_T7_T9_mT8_S1D_bDpT10_ENKUlT_T0_E_clISt17integral_constantIbLb1EES1Q_IbLb0EEEEDaS1M_S1N_EUlS1M_E_NS1_11comp_targetILNS1_3genE4ELNS1_11target_archE910ELNS1_3gpuE8ELNS1_3repE0EEENS1_30default_config_static_selectorELNS0_4arch9wavefront6targetE1EEEvSZ_
    .private_segment_fixed_size: 0
    .sgpr_count:     4
    .sgpr_spill_count: 0
    .symbol:         _ZN7rocprim17ROCPRIM_400000_NS6detail17trampoline_kernelINS0_13select_configILj256ELj13ELNS0_17block_load_methodE3ELS4_3ELS4_3ELNS0_20block_scan_algorithmE0ELj4294967295EEENS1_25partition_config_selectorILNS1_17partition_subalgoE4EjNS0_10empty_typeEbEEZZNS1_14partition_implILS8_4ELb0ES6_15HIP_vector_typeIjLj2EENS0_17counting_iteratorIjlEEPS9_SG_NS0_5tupleIJPjSI_NS0_16reverse_iteratorISI_EEEEENSH_IJSG_SG_SG_EEES9_SI_JZNS1_25segmented_radix_sort_implINS0_14default_configELb1EPKlPlSQ_SR_N2at6native12_GLOBAL__N_18offset_tEEE10hipError_tPvRmT1_PNSt15iterator_traitsISZ_E10value_typeET2_T3_PNS10_IS15_E10value_typeET4_jRbjT5_S1B_jjP12ihipStream_tbEUljE_ZNSN_ISO_Lb1ESQ_SR_SQ_SR_SV_EESW_SX_SY_SZ_S13_S14_S15_S18_S19_jS1A_jS1B_S1B_jjS1D_bEUljE0_EEESW_SX_SY_S15_S19_S1B_T6_T7_T9_mT8_S1D_bDpT10_ENKUlT_T0_E_clISt17integral_constantIbLb1EES1Q_IbLb0EEEEDaS1M_S1N_EUlS1M_E_NS1_11comp_targetILNS1_3genE4ELNS1_11target_archE910ELNS1_3gpuE8ELNS1_3repE0EEENS1_30default_config_static_selectorELNS0_4arch9wavefront6targetE1EEEvSZ_.kd
    .uniform_work_group_size: 1
    .uses_dynamic_stack: false
    .vgpr_count:     0
    .vgpr_spill_count: 0
    .wavefront_size: 64
  - .args:
      - .offset:         0
        .size:           176
        .value_kind:     by_value
    .group_segment_fixed_size: 0
    .kernarg_segment_align: 8
    .kernarg_segment_size: 176
    .language:       OpenCL C
    .language_version:
      - 2
      - 0
    .max_flat_workgroup_size: 256
    .name:           _ZN7rocprim17ROCPRIM_400000_NS6detail17trampoline_kernelINS0_13select_configILj256ELj13ELNS0_17block_load_methodE3ELS4_3ELS4_3ELNS0_20block_scan_algorithmE0ELj4294967295EEENS1_25partition_config_selectorILNS1_17partition_subalgoE4EjNS0_10empty_typeEbEEZZNS1_14partition_implILS8_4ELb0ES6_15HIP_vector_typeIjLj2EENS0_17counting_iteratorIjlEEPS9_SG_NS0_5tupleIJPjSI_NS0_16reverse_iteratorISI_EEEEENSH_IJSG_SG_SG_EEES9_SI_JZNS1_25segmented_radix_sort_implINS0_14default_configELb1EPKlPlSQ_SR_N2at6native12_GLOBAL__N_18offset_tEEE10hipError_tPvRmT1_PNSt15iterator_traitsISZ_E10value_typeET2_T3_PNS10_IS15_E10value_typeET4_jRbjT5_S1B_jjP12ihipStream_tbEUljE_ZNSN_ISO_Lb1ESQ_SR_SQ_SR_SV_EESW_SX_SY_SZ_S13_S14_S15_S18_S19_jS1A_jS1B_S1B_jjS1D_bEUljE0_EEESW_SX_SY_S15_S19_S1B_T6_T7_T9_mT8_S1D_bDpT10_ENKUlT_T0_E_clISt17integral_constantIbLb1EES1Q_IbLb0EEEEDaS1M_S1N_EUlS1M_E_NS1_11comp_targetILNS1_3genE3ELNS1_11target_archE908ELNS1_3gpuE7ELNS1_3repE0EEENS1_30default_config_static_selectorELNS0_4arch9wavefront6targetE1EEEvSZ_
    .private_segment_fixed_size: 0
    .sgpr_count:     4
    .sgpr_spill_count: 0
    .symbol:         _ZN7rocprim17ROCPRIM_400000_NS6detail17trampoline_kernelINS0_13select_configILj256ELj13ELNS0_17block_load_methodE3ELS4_3ELS4_3ELNS0_20block_scan_algorithmE0ELj4294967295EEENS1_25partition_config_selectorILNS1_17partition_subalgoE4EjNS0_10empty_typeEbEEZZNS1_14partition_implILS8_4ELb0ES6_15HIP_vector_typeIjLj2EENS0_17counting_iteratorIjlEEPS9_SG_NS0_5tupleIJPjSI_NS0_16reverse_iteratorISI_EEEEENSH_IJSG_SG_SG_EEES9_SI_JZNS1_25segmented_radix_sort_implINS0_14default_configELb1EPKlPlSQ_SR_N2at6native12_GLOBAL__N_18offset_tEEE10hipError_tPvRmT1_PNSt15iterator_traitsISZ_E10value_typeET2_T3_PNS10_IS15_E10value_typeET4_jRbjT5_S1B_jjP12ihipStream_tbEUljE_ZNSN_ISO_Lb1ESQ_SR_SQ_SR_SV_EESW_SX_SY_SZ_S13_S14_S15_S18_S19_jS1A_jS1B_S1B_jjS1D_bEUljE0_EEESW_SX_SY_S15_S19_S1B_T6_T7_T9_mT8_S1D_bDpT10_ENKUlT_T0_E_clISt17integral_constantIbLb1EES1Q_IbLb0EEEEDaS1M_S1N_EUlS1M_E_NS1_11comp_targetILNS1_3genE3ELNS1_11target_archE908ELNS1_3gpuE7ELNS1_3repE0EEENS1_30default_config_static_selectorELNS0_4arch9wavefront6targetE1EEEvSZ_.kd
    .uniform_work_group_size: 1
    .uses_dynamic_stack: false
    .vgpr_count:     0
    .vgpr_spill_count: 0
    .wavefront_size: 64
  - .args:
      - .offset:         0
        .size:           176
        .value_kind:     by_value
    .group_segment_fixed_size: 0
    .kernarg_segment_align: 8
    .kernarg_segment_size: 176
    .language:       OpenCL C
    .language_version:
      - 2
      - 0
    .max_flat_workgroup_size: 256
    .name:           _ZN7rocprim17ROCPRIM_400000_NS6detail17trampoline_kernelINS0_13select_configILj256ELj13ELNS0_17block_load_methodE3ELS4_3ELS4_3ELNS0_20block_scan_algorithmE0ELj4294967295EEENS1_25partition_config_selectorILNS1_17partition_subalgoE4EjNS0_10empty_typeEbEEZZNS1_14partition_implILS8_4ELb0ES6_15HIP_vector_typeIjLj2EENS0_17counting_iteratorIjlEEPS9_SG_NS0_5tupleIJPjSI_NS0_16reverse_iteratorISI_EEEEENSH_IJSG_SG_SG_EEES9_SI_JZNS1_25segmented_radix_sort_implINS0_14default_configELb1EPKlPlSQ_SR_N2at6native12_GLOBAL__N_18offset_tEEE10hipError_tPvRmT1_PNSt15iterator_traitsISZ_E10value_typeET2_T3_PNS10_IS15_E10value_typeET4_jRbjT5_S1B_jjP12ihipStream_tbEUljE_ZNSN_ISO_Lb1ESQ_SR_SQ_SR_SV_EESW_SX_SY_SZ_S13_S14_S15_S18_S19_jS1A_jS1B_S1B_jjS1D_bEUljE0_EEESW_SX_SY_S15_S19_S1B_T6_T7_T9_mT8_S1D_bDpT10_ENKUlT_T0_E_clISt17integral_constantIbLb1EES1Q_IbLb0EEEEDaS1M_S1N_EUlS1M_E_NS1_11comp_targetILNS1_3genE2ELNS1_11target_archE906ELNS1_3gpuE6ELNS1_3repE0EEENS1_30default_config_static_selectorELNS0_4arch9wavefront6targetE1EEEvSZ_
    .private_segment_fixed_size: 0
    .sgpr_count:     4
    .sgpr_spill_count: 0
    .symbol:         _ZN7rocprim17ROCPRIM_400000_NS6detail17trampoline_kernelINS0_13select_configILj256ELj13ELNS0_17block_load_methodE3ELS4_3ELS4_3ELNS0_20block_scan_algorithmE0ELj4294967295EEENS1_25partition_config_selectorILNS1_17partition_subalgoE4EjNS0_10empty_typeEbEEZZNS1_14partition_implILS8_4ELb0ES6_15HIP_vector_typeIjLj2EENS0_17counting_iteratorIjlEEPS9_SG_NS0_5tupleIJPjSI_NS0_16reverse_iteratorISI_EEEEENSH_IJSG_SG_SG_EEES9_SI_JZNS1_25segmented_radix_sort_implINS0_14default_configELb1EPKlPlSQ_SR_N2at6native12_GLOBAL__N_18offset_tEEE10hipError_tPvRmT1_PNSt15iterator_traitsISZ_E10value_typeET2_T3_PNS10_IS15_E10value_typeET4_jRbjT5_S1B_jjP12ihipStream_tbEUljE_ZNSN_ISO_Lb1ESQ_SR_SQ_SR_SV_EESW_SX_SY_SZ_S13_S14_S15_S18_S19_jS1A_jS1B_S1B_jjS1D_bEUljE0_EEESW_SX_SY_S15_S19_S1B_T6_T7_T9_mT8_S1D_bDpT10_ENKUlT_T0_E_clISt17integral_constantIbLb1EES1Q_IbLb0EEEEDaS1M_S1N_EUlS1M_E_NS1_11comp_targetILNS1_3genE2ELNS1_11target_archE906ELNS1_3gpuE6ELNS1_3repE0EEENS1_30default_config_static_selectorELNS0_4arch9wavefront6targetE1EEEvSZ_.kd
    .uniform_work_group_size: 1
    .uses_dynamic_stack: false
    .vgpr_count:     0
    .vgpr_spill_count: 0
    .wavefront_size: 64
  - .args:
      - .offset:         0
        .size:           176
        .value_kind:     by_value
    .group_segment_fixed_size: 0
    .kernarg_segment_align: 8
    .kernarg_segment_size: 176
    .language:       OpenCL C
    .language_version:
      - 2
      - 0
    .max_flat_workgroup_size: 256
    .name:           _ZN7rocprim17ROCPRIM_400000_NS6detail17trampoline_kernelINS0_13select_configILj256ELj13ELNS0_17block_load_methodE3ELS4_3ELS4_3ELNS0_20block_scan_algorithmE0ELj4294967295EEENS1_25partition_config_selectorILNS1_17partition_subalgoE4EjNS0_10empty_typeEbEEZZNS1_14partition_implILS8_4ELb0ES6_15HIP_vector_typeIjLj2EENS0_17counting_iteratorIjlEEPS9_SG_NS0_5tupleIJPjSI_NS0_16reverse_iteratorISI_EEEEENSH_IJSG_SG_SG_EEES9_SI_JZNS1_25segmented_radix_sort_implINS0_14default_configELb1EPKlPlSQ_SR_N2at6native12_GLOBAL__N_18offset_tEEE10hipError_tPvRmT1_PNSt15iterator_traitsISZ_E10value_typeET2_T3_PNS10_IS15_E10value_typeET4_jRbjT5_S1B_jjP12ihipStream_tbEUljE_ZNSN_ISO_Lb1ESQ_SR_SQ_SR_SV_EESW_SX_SY_SZ_S13_S14_S15_S18_S19_jS1A_jS1B_S1B_jjS1D_bEUljE0_EEESW_SX_SY_S15_S19_S1B_T6_T7_T9_mT8_S1D_bDpT10_ENKUlT_T0_E_clISt17integral_constantIbLb1EES1Q_IbLb0EEEEDaS1M_S1N_EUlS1M_E_NS1_11comp_targetILNS1_3genE10ELNS1_11target_archE1200ELNS1_3gpuE4ELNS1_3repE0EEENS1_30default_config_static_selectorELNS0_4arch9wavefront6targetE1EEEvSZ_
    .private_segment_fixed_size: 0
    .sgpr_count:     4
    .sgpr_spill_count: 0
    .symbol:         _ZN7rocprim17ROCPRIM_400000_NS6detail17trampoline_kernelINS0_13select_configILj256ELj13ELNS0_17block_load_methodE3ELS4_3ELS4_3ELNS0_20block_scan_algorithmE0ELj4294967295EEENS1_25partition_config_selectorILNS1_17partition_subalgoE4EjNS0_10empty_typeEbEEZZNS1_14partition_implILS8_4ELb0ES6_15HIP_vector_typeIjLj2EENS0_17counting_iteratorIjlEEPS9_SG_NS0_5tupleIJPjSI_NS0_16reverse_iteratorISI_EEEEENSH_IJSG_SG_SG_EEES9_SI_JZNS1_25segmented_radix_sort_implINS0_14default_configELb1EPKlPlSQ_SR_N2at6native12_GLOBAL__N_18offset_tEEE10hipError_tPvRmT1_PNSt15iterator_traitsISZ_E10value_typeET2_T3_PNS10_IS15_E10value_typeET4_jRbjT5_S1B_jjP12ihipStream_tbEUljE_ZNSN_ISO_Lb1ESQ_SR_SQ_SR_SV_EESW_SX_SY_SZ_S13_S14_S15_S18_S19_jS1A_jS1B_S1B_jjS1D_bEUljE0_EEESW_SX_SY_S15_S19_S1B_T6_T7_T9_mT8_S1D_bDpT10_ENKUlT_T0_E_clISt17integral_constantIbLb1EES1Q_IbLb0EEEEDaS1M_S1N_EUlS1M_E_NS1_11comp_targetILNS1_3genE10ELNS1_11target_archE1200ELNS1_3gpuE4ELNS1_3repE0EEENS1_30default_config_static_selectorELNS0_4arch9wavefront6targetE1EEEvSZ_.kd
    .uniform_work_group_size: 1
    .uses_dynamic_stack: false
    .vgpr_count:     0
    .vgpr_spill_count: 0
    .wavefront_size: 64
  - .args:
      - .offset:         0
        .size:           176
        .value_kind:     by_value
    .group_segment_fixed_size: 0
    .kernarg_segment_align: 8
    .kernarg_segment_size: 176
    .language:       OpenCL C
    .language_version:
      - 2
      - 0
    .max_flat_workgroup_size: 256
    .name:           _ZN7rocprim17ROCPRIM_400000_NS6detail17trampoline_kernelINS0_13select_configILj256ELj13ELNS0_17block_load_methodE3ELS4_3ELS4_3ELNS0_20block_scan_algorithmE0ELj4294967295EEENS1_25partition_config_selectorILNS1_17partition_subalgoE4EjNS0_10empty_typeEbEEZZNS1_14partition_implILS8_4ELb0ES6_15HIP_vector_typeIjLj2EENS0_17counting_iteratorIjlEEPS9_SG_NS0_5tupleIJPjSI_NS0_16reverse_iteratorISI_EEEEENSH_IJSG_SG_SG_EEES9_SI_JZNS1_25segmented_radix_sort_implINS0_14default_configELb1EPKlPlSQ_SR_N2at6native12_GLOBAL__N_18offset_tEEE10hipError_tPvRmT1_PNSt15iterator_traitsISZ_E10value_typeET2_T3_PNS10_IS15_E10value_typeET4_jRbjT5_S1B_jjP12ihipStream_tbEUljE_ZNSN_ISO_Lb1ESQ_SR_SQ_SR_SV_EESW_SX_SY_SZ_S13_S14_S15_S18_S19_jS1A_jS1B_S1B_jjS1D_bEUljE0_EEESW_SX_SY_S15_S19_S1B_T6_T7_T9_mT8_S1D_bDpT10_ENKUlT_T0_E_clISt17integral_constantIbLb1EES1Q_IbLb0EEEEDaS1M_S1N_EUlS1M_E_NS1_11comp_targetILNS1_3genE9ELNS1_11target_archE1100ELNS1_3gpuE3ELNS1_3repE0EEENS1_30default_config_static_selectorELNS0_4arch9wavefront6targetE1EEEvSZ_
    .private_segment_fixed_size: 0
    .sgpr_count:     4
    .sgpr_spill_count: 0
    .symbol:         _ZN7rocprim17ROCPRIM_400000_NS6detail17trampoline_kernelINS0_13select_configILj256ELj13ELNS0_17block_load_methodE3ELS4_3ELS4_3ELNS0_20block_scan_algorithmE0ELj4294967295EEENS1_25partition_config_selectorILNS1_17partition_subalgoE4EjNS0_10empty_typeEbEEZZNS1_14partition_implILS8_4ELb0ES6_15HIP_vector_typeIjLj2EENS0_17counting_iteratorIjlEEPS9_SG_NS0_5tupleIJPjSI_NS0_16reverse_iteratorISI_EEEEENSH_IJSG_SG_SG_EEES9_SI_JZNS1_25segmented_radix_sort_implINS0_14default_configELb1EPKlPlSQ_SR_N2at6native12_GLOBAL__N_18offset_tEEE10hipError_tPvRmT1_PNSt15iterator_traitsISZ_E10value_typeET2_T3_PNS10_IS15_E10value_typeET4_jRbjT5_S1B_jjP12ihipStream_tbEUljE_ZNSN_ISO_Lb1ESQ_SR_SQ_SR_SV_EESW_SX_SY_SZ_S13_S14_S15_S18_S19_jS1A_jS1B_S1B_jjS1D_bEUljE0_EEESW_SX_SY_S15_S19_S1B_T6_T7_T9_mT8_S1D_bDpT10_ENKUlT_T0_E_clISt17integral_constantIbLb1EES1Q_IbLb0EEEEDaS1M_S1N_EUlS1M_E_NS1_11comp_targetILNS1_3genE9ELNS1_11target_archE1100ELNS1_3gpuE3ELNS1_3repE0EEENS1_30default_config_static_selectorELNS0_4arch9wavefront6targetE1EEEvSZ_.kd
    .uniform_work_group_size: 1
    .uses_dynamic_stack: false
    .vgpr_count:     0
    .vgpr_spill_count: 0
    .wavefront_size: 64
  - .args:
      - .offset:         0
        .size:           176
        .value_kind:     by_value
    .group_segment_fixed_size: 0
    .kernarg_segment_align: 8
    .kernarg_segment_size: 176
    .language:       OpenCL C
    .language_version:
      - 2
      - 0
    .max_flat_workgroup_size: 256
    .name:           _ZN7rocprim17ROCPRIM_400000_NS6detail17trampoline_kernelINS0_13select_configILj256ELj13ELNS0_17block_load_methodE3ELS4_3ELS4_3ELNS0_20block_scan_algorithmE0ELj4294967295EEENS1_25partition_config_selectorILNS1_17partition_subalgoE4EjNS0_10empty_typeEbEEZZNS1_14partition_implILS8_4ELb0ES6_15HIP_vector_typeIjLj2EENS0_17counting_iteratorIjlEEPS9_SG_NS0_5tupleIJPjSI_NS0_16reverse_iteratorISI_EEEEENSH_IJSG_SG_SG_EEES9_SI_JZNS1_25segmented_radix_sort_implINS0_14default_configELb1EPKlPlSQ_SR_N2at6native12_GLOBAL__N_18offset_tEEE10hipError_tPvRmT1_PNSt15iterator_traitsISZ_E10value_typeET2_T3_PNS10_IS15_E10value_typeET4_jRbjT5_S1B_jjP12ihipStream_tbEUljE_ZNSN_ISO_Lb1ESQ_SR_SQ_SR_SV_EESW_SX_SY_SZ_S13_S14_S15_S18_S19_jS1A_jS1B_S1B_jjS1D_bEUljE0_EEESW_SX_SY_S15_S19_S1B_T6_T7_T9_mT8_S1D_bDpT10_ENKUlT_T0_E_clISt17integral_constantIbLb1EES1Q_IbLb0EEEEDaS1M_S1N_EUlS1M_E_NS1_11comp_targetILNS1_3genE8ELNS1_11target_archE1030ELNS1_3gpuE2ELNS1_3repE0EEENS1_30default_config_static_selectorELNS0_4arch9wavefront6targetE1EEEvSZ_
    .private_segment_fixed_size: 0
    .sgpr_count:     4
    .sgpr_spill_count: 0
    .symbol:         _ZN7rocprim17ROCPRIM_400000_NS6detail17trampoline_kernelINS0_13select_configILj256ELj13ELNS0_17block_load_methodE3ELS4_3ELS4_3ELNS0_20block_scan_algorithmE0ELj4294967295EEENS1_25partition_config_selectorILNS1_17partition_subalgoE4EjNS0_10empty_typeEbEEZZNS1_14partition_implILS8_4ELb0ES6_15HIP_vector_typeIjLj2EENS0_17counting_iteratorIjlEEPS9_SG_NS0_5tupleIJPjSI_NS0_16reverse_iteratorISI_EEEEENSH_IJSG_SG_SG_EEES9_SI_JZNS1_25segmented_radix_sort_implINS0_14default_configELb1EPKlPlSQ_SR_N2at6native12_GLOBAL__N_18offset_tEEE10hipError_tPvRmT1_PNSt15iterator_traitsISZ_E10value_typeET2_T3_PNS10_IS15_E10value_typeET4_jRbjT5_S1B_jjP12ihipStream_tbEUljE_ZNSN_ISO_Lb1ESQ_SR_SQ_SR_SV_EESW_SX_SY_SZ_S13_S14_S15_S18_S19_jS1A_jS1B_S1B_jjS1D_bEUljE0_EEESW_SX_SY_S15_S19_S1B_T6_T7_T9_mT8_S1D_bDpT10_ENKUlT_T0_E_clISt17integral_constantIbLb1EES1Q_IbLb0EEEEDaS1M_S1N_EUlS1M_E_NS1_11comp_targetILNS1_3genE8ELNS1_11target_archE1030ELNS1_3gpuE2ELNS1_3repE0EEENS1_30default_config_static_selectorELNS0_4arch9wavefront6targetE1EEEvSZ_.kd
    .uniform_work_group_size: 1
    .uses_dynamic_stack: false
    .vgpr_count:     0
    .vgpr_spill_count: 0
    .wavefront_size: 64
  - .args:
      - .offset:         0
        .size:           184
        .value_kind:     by_value
    .group_segment_fixed_size: 0
    .kernarg_segment_align: 8
    .kernarg_segment_size: 184
    .language:       OpenCL C
    .language_version:
      - 2
      - 0
    .max_flat_workgroup_size: 256
    .name:           _ZN7rocprim17ROCPRIM_400000_NS6detail17trampoline_kernelINS0_13select_configILj256ELj13ELNS0_17block_load_methodE3ELS4_3ELS4_3ELNS0_20block_scan_algorithmE0ELj4294967295EEENS1_25partition_config_selectorILNS1_17partition_subalgoE4EjNS0_10empty_typeEbEEZZNS1_14partition_implILS8_4ELb0ES6_15HIP_vector_typeIjLj2EENS0_17counting_iteratorIjlEEPS9_SG_NS0_5tupleIJPjSI_NS0_16reverse_iteratorISI_EEEEENSH_IJSG_SG_SG_EEES9_SI_JZNS1_25segmented_radix_sort_implINS0_14default_configELb1EPKlPlSQ_SR_N2at6native12_GLOBAL__N_18offset_tEEE10hipError_tPvRmT1_PNSt15iterator_traitsISZ_E10value_typeET2_T3_PNS10_IS15_E10value_typeET4_jRbjT5_S1B_jjP12ihipStream_tbEUljE_ZNSN_ISO_Lb1ESQ_SR_SQ_SR_SV_EESW_SX_SY_SZ_S13_S14_S15_S18_S19_jS1A_jS1B_S1B_jjS1D_bEUljE0_EEESW_SX_SY_S15_S19_S1B_T6_T7_T9_mT8_S1D_bDpT10_ENKUlT_T0_E_clISt17integral_constantIbLb0EES1Q_IbLb1EEEEDaS1M_S1N_EUlS1M_E_NS1_11comp_targetILNS1_3genE0ELNS1_11target_archE4294967295ELNS1_3gpuE0ELNS1_3repE0EEENS1_30default_config_static_selectorELNS0_4arch9wavefront6targetE1EEEvSZ_
    .private_segment_fixed_size: 0
    .sgpr_count:     4
    .sgpr_spill_count: 0
    .symbol:         _ZN7rocprim17ROCPRIM_400000_NS6detail17trampoline_kernelINS0_13select_configILj256ELj13ELNS0_17block_load_methodE3ELS4_3ELS4_3ELNS0_20block_scan_algorithmE0ELj4294967295EEENS1_25partition_config_selectorILNS1_17partition_subalgoE4EjNS0_10empty_typeEbEEZZNS1_14partition_implILS8_4ELb0ES6_15HIP_vector_typeIjLj2EENS0_17counting_iteratorIjlEEPS9_SG_NS0_5tupleIJPjSI_NS0_16reverse_iteratorISI_EEEEENSH_IJSG_SG_SG_EEES9_SI_JZNS1_25segmented_radix_sort_implINS0_14default_configELb1EPKlPlSQ_SR_N2at6native12_GLOBAL__N_18offset_tEEE10hipError_tPvRmT1_PNSt15iterator_traitsISZ_E10value_typeET2_T3_PNS10_IS15_E10value_typeET4_jRbjT5_S1B_jjP12ihipStream_tbEUljE_ZNSN_ISO_Lb1ESQ_SR_SQ_SR_SV_EESW_SX_SY_SZ_S13_S14_S15_S18_S19_jS1A_jS1B_S1B_jjS1D_bEUljE0_EEESW_SX_SY_S15_S19_S1B_T6_T7_T9_mT8_S1D_bDpT10_ENKUlT_T0_E_clISt17integral_constantIbLb0EES1Q_IbLb1EEEEDaS1M_S1N_EUlS1M_E_NS1_11comp_targetILNS1_3genE0ELNS1_11target_archE4294967295ELNS1_3gpuE0ELNS1_3repE0EEENS1_30default_config_static_selectorELNS0_4arch9wavefront6targetE1EEEvSZ_.kd
    .uniform_work_group_size: 1
    .uses_dynamic_stack: false
    .vgpr_count:     0
    .vgpr_spill_count: 0
    .wavefront_size: 64
  - .args:
      - .offset:         0
        .size:           184
        .value_kind:     by_value
    .group_segment_fixed_size: 0
    .kernarg_segment_align: 8
    .kernarg_segment_size: 184
    .language:       OpenCL C
    .language_version:
      - 2
      - 0
    .max_flat_workgroup_size: 256
    .name:           _ZN7rocprim17ROCPRIM_400000_NS6detail17trampoline_kernelINS0_13select_configILj256ELj13ELNS0_17block_load_methodE3ELS4_3ELS4_3ELNS0_20block_scan_algorithmE0ELj4294967295EEENS1_25partition_config_selectorILNS1_17partition_subalgoE4EjNS0_10empty_typeEbEEZZNS1_14partition_implILS8_4ELb0ES6_15HIP_vector_typeIjLj2EENS0_17counting_iteratorIjlEEPS9_SG_NS0_5tupleIJPjSI_NS0_16reverse_iteratorISI_EEEEENSH_IJSG_SG_SG_EEES9_SI_JZNS1_25segmented_radix_sort_implINS0_14default_configELb1EPKlPlSQ_SR_N2at6native12_GLOBAL__N_18offset_tEEE10hipError_tPvRmT1_PNSt15iterator_traitsISZ_E10value_typeET2_T3_PNS10_IS15_E10value_typeET4_jRbjT5_S1B_jjP12ihipStream_tbEUljE_ZNSN_ISO_Lb1ESQ_SR_SQ_SR_SV_EESW_SX_SY_SZ_S13_S14_S15_S18_S19_jS1A_jS1B_S1B_jjS1D_bEUljE0_EEESW_SX_SY_S15_S19_S1B_T6_T7_T9_mT8_S1D_bDpT10_ENKUlT_T0_E_clISt17integral_constantIbLb0EES1Q_IbLb1EEEEDaS1M_S1N_EUlS1M_E_NS1_11comp_targetILNS1_3genE5ELNS1_11target_archE942ELNS1_3gpuE9ELNS1_3repE0EEENS1_30default_config_static_selectorELNS0_4arch9wavefront6targetE1EEEvSZ_
    .private_segment_fixed_size: 0
    .sgpr_count:     4
    .sgpr_spill_count: 0
    .symbol:         _ZN7rocprim17ROCPRIM_400000_NS6detail17trampoline_kernelINS0_13select_configILj256ELj13ELNS0_17block_load_methodE3ELS4_3ELS4_3ELNS0_20block_scan_algorithmE0ELj4294967295EEENS1_25partition_config_selectorILNS1_17partition_subalgoE4EjNS0_10empty_typeEbEEZZNS1_14partition_implILS8_4ELb0ES6_15HIP_vector_typeIjLj2EENS0_17counting_iteratorIjlEEPS9_SG_NS0_5tupleIJPjSI_NS0_16reverse_iteratorISI_EEEEENSH_IJSG_SG_SG_EEES9_SI_JZNS1_25segmented_radix_sort_implINS0_14default_configELb1EPKlPlSQ_SR_N2at6native12_GLOBAL__N_18offset_tEEE10hipError_tPvRmT1_PNSt15iterator_traitsISZ_E10value_typeET2_T3_PNS10_IS15_E10value_typeET4_jRbjT5_S1B_jjP12ihipStream_tbEUljE_ZNSN_ISO_Lb1ESQ_SR_SQ_SR_SV_EESW_SX_SY_SZ_S13_S14_S15_S18_S19_jS1A_jS1B_S1B_jjS1D_bEUljE0_EEESW_SX_SY_S15_S19_S1B_T6_T7_T9_mT8_S1D_bDpT10_ENKUlT_T0_E_clISt17integral_constantIbLb0EES1Q_IbLb1EEEEDaS1M_S1N_EUlS1M_E_NS1_11comp_targetILNS1_3genE5ELNS1_11target_archE942ELNS1_3gpuE9ELNS1_3repE0EEENS1_30default_config_static_selectorELNS0_4arch9wavefront6targetE1EEEvSZ_.kd
    .uniform_work_group_size: 1
    .uses_dynamic_stack: false
    .vgpr_count:     0
    .vgpr_spill_count: 0
    .wavefront_size: 64
  - .args:
      - .offset:         0
        .size:           184
        .value_kind:     by_value
    .group_segment_fixed_size: 0
    .kernarg_segment_align: 8
    .kernarg_segment_size: 184
    .language:       OpenCL C
    .language_version:
      - 2
      - 0
    .max_flat_workgroup_size: 256
    .name:           _ZN7rocprim17ROCPRIM_400000_NS6detail17trampoline_kernelINS0_13select_configILj256ELj13ELNS0_17block_load_methodE3ELS4_3ELS4_3ELNS0_20block_scan_algorithmE0ELj4294967295EEENS1_25partition_config_selectorILNS1_17partition_subalgoE4EjNS0_10empty_typeEbEEZZNS1_14partition_implILS8_4ELb0ES6_15HIP_vector_typeIjLj2EENS0_17counting_iteratorIjlEEPS9_SG_NS0_5tupleIJPjSI_NS0_16reverse_iteratorISI_EEEEENSH_IJSG_SG_SG_EEES9_SI_JZNS1_25segmented_radix_sort_implINS0_14default_configELb1EPKlPlSQ_SR_N2at6native12_GLOBAL__N_18offset_tEEE10hipError_tPvRmT1_PNSt15iterator_traitsISZ_E10value_typeET2_T3_PNS10_IS15_E10value_typeET4_jRbjT5_S1B_jjP12ihipStream_tbEUljE_ZNSN_ISO_Lb1ESQ_SR_SQ_SR_SV_EESW_SX_SY_SZ_S13_S14_S15_S18_S19_jS1A_jS1B_S1B_jjS1D_bEUljE0_EEESW_SX_SY_S15_S19_S1B_T6_T7_T9_mT8_S1D_bDpT10_ENKUlT_T0_E_clISt17integral_constantIbLb0EES1Q_IbLb1EEEEDaS1M_S1N_EUlS1M_E_NS1_11comp_targetILNS1_3genE4ELNS1_11target_archE910ELNS1_3gpuE8ELNS1_3repE0EEENS1_30default_config_static_selectorELNS0_4arch9wavefront6targetE1EEEvSZ_
    .private_segment_fixed_size: 0
    .sgpr_count:     4
    .sgpr_spill_count: 0
    .symbol:         _ZN7rocprim17ROCPRIM_400000_NS6detail17trampoline_kernelINS0_13select_configILj256ELj13ELNS0_17block_load_methodE3ELS4_3ELS4_3ELNS0_20block_scan_algorithmE0ELj4294967295EEENS1_25partition_config_selectorILNS1_17partition_subalgoE4EjNS0_10empty_typeEbEEZZNS1_14partition_implILS8_4ELb0ES6_15HIP_vector_typeIjLj2EENS0_17counting_iteratorIjlEEPS9_SG_NS0_5tupleIJPjSI_NS0_16reverse_iteratorISI_EEEEENSH_IJSG_SG_SG_EEES9_SI_JZNS1_25segmented_radix_sort_implINS0_14default_configELb1EPKlPlSQ_SR_N2at6native12_GLOBAL__N_18offset_tEEE10hipError_tPvRmT1_PNSt15iterator_traitsISZ_E10value_typeET2_T3_PNS10_IS15_E10value_typeET4_jRbjT5_S1B_jjP12ihipStream_tbEUljE_ZNSN_ISO_Lb1ESQ_SR_SQ_SR_SV_EESW_SX_SY_SZ_S13_S14_S15_S18_S19_jS1A_jS1B_S1B_jjS1D_bEUljE0_EEESW_SX_SY_S15_S19_S1B_T6_T7_T9_mT8_S1D_bDpT10_ENKUlT_T0_E_clISt17integral_constantIbLb0EES1Q_IbLb1EEEEDaS1M_S1N_EUlS1M_E_NS1_11comp_targetILNS1_3genE4ELNS1_11target_archE910ELNS1_3gpuE8ELNS1_3repE0EEENS1_30default_config_static_selectorELNS0_4arch9wavefront6targetE1EEEvSZ_.kd
    .uniform_work_group_size: 1
    .uses_dynamic_stack: false
    .vgpr_count:     0
    .vgpr_spill_count: 0
    .wavefront_size: 64
  - .args:
      - .offset:         0
        .size:           184
        .value_kind:     by_value
    .group_segment_fixed_size: 0
    .kernarg_segment_align: 8
    .kernarg_segment_size: 184
    .language:       OpenCL C
    .language_version:
      - 2
      - 0
    .max_flat_workgroup_size: 256
    .name:           _ZN7rocprim17ROCPRIM_400000_NS6detail17trampoline_kernelINS0_13select_configILj256ELj13ELNS0_17block_load_methodE3ELS4_3ELS4_3ELNS0_20block_scan_algorithmE0ELj4294967295EEENS1_25partition_config_selectorILNS1_17partition_subalgoE4EjNS0_10empty_typeEbEEZZNS1_14partition_implILS8_4ELb0ES6_15HIP_vector_typeIjLj2EENS0_17counting_iteratorIjlEEPS9_SG_NS0_5tupleIJPjSI_NS0_16reverse_iteratorISI_EEEEENSH_IJSG_SG_SG_EEES9_SI_JZNS1_25segmented_radix_sort_implINS0_14default_configELb1EPKlPlSQ_SR_N2at6native12_GLOBAL__N_18offset_tEEE10hipError_tPvRmT1_PNSt15iterator_traitsISZ_E10value_typeET2_T3_PNS10_IS15_E10value_typeET4_jRbjT5_S1B_jjP12ihipStream_tbEUljE_ZNSN_ISO_Lb1ESQ_SR_SQ_SR_SV_EESW_SX_SY_SZ_S13_S14_S15_S18_S19_jS1A_jS1B_S1B_jjS1D_bEUljE0_EEESW_SX_SY_S15_S19_S1B_T6_T7_T9_mT8_S1D_bDpT10_ENKUlT_T0_E_clISt17integral_constantIbLb0EES1Q_IbLb1EEEEDaS1M_S1N_EUlS1M_E_NS1_11comp_targetILNS1_3genE3ELNS1_11target_archE908ELNS1_3gpuE7ELNS1_3repE0EEENS1_30default_config_static_selectorELNS0_4arch9wavefront6targetE1EEEvSZ_
    .private_segment_fixed_size: 0
    .sgpr_count:     4
    .sgpr_spill_count: 0
    .symbol:         _ZN7rocprim17ROCPRIM_400000_NS6detail17trampoline_kernelINS0_13select_configILj256ELj13ELNS0_17block_load_methodE3ELS4_3ELS4_3ELNS0_20block_scan_algorithmE0ELj4294967295EEENS1_25partition_config_selectorILNS1_17partition_subalgoE4EjNS0_10empty_typeEbEEZZNS1_14partition_implILS8_4ELb0ES6_15HIP_vector_typeIjLj2EENS0_17counting_iteratorIjlEEPS9_SG_NS0_5tupleIJPjSI_NS0_16reverse_iteratorISI_EEEEENSH_IJSG_SG_SG_EEES9_SI_JZNS1_25segmented_radix_sort_implINS0_14default_configELb1EPKlPlSQ_SR_N2at6native12_GLOBAL__N_18offset_tEEE10hipError_tPvRmT1_PNSt15iterator_traitsISZ_E10value_typeET2_T3_PNS10_IS15_E10value_typeET4_jRbjT5_S1B_jjP12ihipStream_tbEUljE_ZNSN_ISO_Lb1ESQ_SR_SQ_SR_SV_EESW_SX_SY_SZ_S13_S14_S15_S18_S19_jS1A_jS1B_S1B_jjS1D_bEUljE0_EEESW_SX_SY_S15_S19_S1B_T6_T7_T9_mT8_S1D_bDpT10_ENKUlT_T0_E_clISt17integral_constantIbLb0EES1Q_IbLb1EEEEDaS1M_S1N_EUlS1M_E_NS1_11comp_targetILNS1_3genE3ELNS1_11target_archE908ELNS1_3gpuE7ELNS1_3repE0EEENS1_30default_config_static_selectorELNS0_4arch9wavefront6targetE1EEEvSZ_.kd
    .uniform_work_group_size: 1
    .uses_dynamic_stack: false
    .vgpr_count:     0
    .vgpr_spill_count: 0
    .wavefront_size: 64
  - .args:
      - .offset:         0
        .size:           184
        .value_kind:     by_value
    .group_segment_fixed_size: 13328
    .kernarg_segment_align: 8
    .kernarg_segment_size: 184
    .language:       OpenCL C
    .language_version:
      - 2
      - 0
    .max_flat_workgroup_size: 256
    .name:           _ZN7rocprim17ROCPRIM_400000_NS6detail17trampoline_kernelINS0_13select_configILj256ELj13ELNS0_17block_load_methodE3ELS4_3ELS4_3ELNS0_20block_scan_algorithmE0ELj4294967295EEENS1_25partition_config_selectorILNS1_17partition_subalgoE4EjNS0_10empty_typeEbEEZZNS1_14partition_implILS8_4ELb0ES6_15HIP_vector_typeIjLj2EENS0_17counting_iteratorIjlEEPS9_SG_NS0_5tupleIJPjSI_NS0_16reverse_iteratorISI_EEEEENSH_IJSG_SG_SG_EEES9_SI_JZNS1_25segmented_radix_sort_implINS0_14default_configELb1EPKlPlSQ_SR_N2at6native12_GLOBAL__N_18offset_tEEE10hipError_tPvRmT1_PNSt15iterator_traitsISZ_E10value_typeET2_T3_PNS10_IS15_E10value_typeET4_jRbjT5_S1B_jjP12ihipStream_tbEUljE_ZNSN_ISO_Lb1ESQ_SR_SQ_SR_SV_EESW_SX_SY_SZ_S13_S14_S15_S18_S19_jS1A_jS1B_S1B_jjS1D_bEUljE0_EEESW_SX_SY_S15_S19_S1B_T6_T7_T9_mT8_S1D_bDpT10_ENKUlT_T0_E_clISt17integral_constantIbLb0EES1Q_IbLb1EEEEDaS1M_S1N_EUlS1M_E_NS1_11comp_targetILNS1_3genE2ELNS1_11target_archE906ELNS1_3gpuE6ELNS1_3repE0EEENS1_30default_config_static_selectorELNS0_4arch9wavefront6targetE1EEEvSZ_
    .private_segment_fixed_size: 0
    .sgpr_count:     91
    .sgpr_spill_count: 0
    .symbol:         _ZN7rocprim17ROCPRIM_400000_NS6detail17trampoline_kernelINS0_13select_configILj256ELj13ELNS0_17block_load_methodE3ELS4_3ELS4_3ELNS0_20block_scan_algorithmE0ELj4294967295EEENS1_25partition_config_selectorILNS1_17partition_subalgoE4EjNS0_10empty_typeEbEEZZNS1_14partition_implILS8_4ELb0ES6_15HIP_vector_typeIjLj2EENS0_17counting_iteratorIjlEEPS9_SG_NS0_5tupleIJPjSI_NS0_16reverse_iteratorISI_EEEEENSH_IJSG_SG_SG_EEES9_SI_JZNS1_25segmented_radix_sort_implINS0_14default_configELb1EPKlPlSQ_SR_N2at6native12_GLOBAL__N_18offset_tEEE10hipError_tPvRmT1_PNSt15iterator_traitsISZ_E10value_typeET2_T3_PNS10_IS15_E10value_typeET4_jRbjT5_S1B_jjP12ihipStream_tbEUljE_ZNSN_ISO_Lb1ESQ_SR_SQ_SR_SV_EESW_SX_SY_SZ_S13_S14_S15_S18_S19_jS1A_jS1B_S1B_jjS1D_bEUljE0_EEESW_SX_SY_S15_S19_S1B_T6_T7_T9_mT8_S1D_bDpT10_ENKUlT_T0_E_clISt17integral_constantIbLb0EES1Q_IbLb1EEEEDaS1M_S1N_EUlS1M_E_NS1_11comp_targetILNS1_3genE2ELNS1_11target_archE906ELNS1_3gpuE6ELNS1_3repE0EEENS1_30default_config_static_selectorELNS0_4arch9wavefront6targetE1EEEvSZ_.kd
    .uniform_work_group_size: 1
    .uses_dynamic_stack: false
    .vgpr_count:     91
    .vgpr_spill_count: 0
    .wavefront_size: 64
  - .args:
      - .offset:         0
        .size:           184
        .value_kind:     by_value
    .group_segment_fixed_size: 0
    .kernarg_segment_align: 8
    .kernarg_segment_size: 184
    .language:       OpenCL C
    .language_version:
      - 2
      - 0
    .max_flat_workgroup_size: 256
    .name:           _ZN7rocprim17ROCPRIM_400000_NS6detail17trampoline_kernelINS0_13select_configILj256ELj13ELNS0_17block_load_methodE3ELS4_3ELS4_3ELNS0_20block_scan_algorithmE0ELj4294967295EEENS1_25partition_config_selectorILNS1_17partition_subalgoE4EjNS0_10empty_typeEbEEZZNS1_14partition_implILS8_4ELb0ES6_15HIP_vector_typeIjLj2EENS0_17counting_iteratorIjlEEPS9_SG_NS0_5tupleIJPjSI_NS0_16reverse_iteratorISI_EEEEENSH_IJSG_SG_SG_EEES9_SI_JZNS1_25segmented_radix_sort_implINS0_14default_configELb1EPKlPlSQ_SR_N2at6native12_GLOBAL__N_18offset_tEEE10hipError_tPvRmT1_PNSt15iterator_traitsISZ_E10value_typeET2_T3_PNS10_IS15_E10value_typeET4_jRbjT5_S1B_jjP12ihipStream_tbEUljE_ZNSN_ISO_Lb1ESQ_SR_SQ_SR_SV_EESW_SX_SY_SZ_S13_S14_S15_S18_S19_jS1A_jS1B_S1B_jjS1D_bEUljE0_EEESW_SX_SY_S15_S19_S1B_T6_T7_T9_mT8_S1D_bDpT10_ENKUlT_T0_E_clISt17integral_constantIbLb0EES1Q_IbLb1EEEEDaS1M_S1N_EUlS1M_E_NS1_11comp_targetILNS1_3genE10ELNS1_11target_archE1200ELNS1_3gpuE4ELNS1_3repE0EEENS1_30default_config_static_selectorELNS0_4arch9wavefront6targetE1EEEvSZ_
    .private_segment_fixed_size: 0
    .sgpr_count:     4
    .sgpr_spill_count: 0
    .symbol:         _ZN7rocprim17ROCPRIM_400000_NS6detail17trampoline_kernelINS0_13select_configILj256ELj13ELNS0_17block_load_methodE3ELS4_3ELS4_3ELNS0_20block_scan_algorithmE0ELj4294967295EEENS1_25partition_config_selectorILNS1_17partition_subalgoE4EjNS0_10empty_typeEbEEZZNS1_14partition_implILS8_4ELb0ES6_15HIP_vector_typeIjLj2EENS0_17counting_iteratorIjlEEPS9_SG_NS0_5tupleIJPjSI_NS0_16reverse_iteratorISI_EEEEENSH_IJSG_SG_SG_EEES9_SI_JZNS1_25segmented_radix_sort_implINS0_14default_configELb1EPKlPlSQ_SR_N2at6native12_GLOBAL__N_18offset_tEEE10hipError_tPvRmT1_PNSt15iterator_traitsISZ_E10value_typeET2_T3_PNS10_IS15_E10value_typeET4_jRbjT5_S1B_jjP12ihipStream_tbEUljE_ZNSN_ISO_Lb1ESQ_SR_SQ_SR_SV_EESW_SX_SY_SZ_S13_S14_S15_S18_S19_jS1A_jS1B_S1B_jjS1D_bEUljE0_EEESW_SX_SY_S15_S19_S1B_T6_T7_T9_mT8_S1D_bDpT10_ENKUlT_T0_E_clISt17integral_constantIbLb0EES1Q_IbLb1EEEEDaS1M_S1N_EUlS1M_E_NS1_11comp_targetILNS1_3genE10ELNS1_11target_archE1200ELNS1_3gpuE4ELNS1_3repE0EEENS1_30default_config_static_selectorELNS0_4arch9wavefront6targetE1EEEvSZ_.kd
    .uniform_work_group_size: 1
    .uses_dynamic_stack: false
    .vgpr_count:     0
    .vgpr_spill_count: 0
    .wavefront_size: 64
  - .args:
      - .offset:         0
        .size:           184
        .value_kind:     by_value
    .group_segment_fixed_size: 0
    .kernarg_segment_align: 8
    .kernarg_segment_size: 184
    .language:       OpenCL C
    .language_version:
      - 2
      - 0
    .max_flat_workgroup_size: 256
    .name:           _ZN7rocprim17ROCPRIM_400000_NS6detail17trampoline_kernelINS0_13select_configILj256ELj13ELNS0_17block_load_methodE3ELS4_3ELS4_3ELNS0_20block_scan_algorithmE0ELj4294967295EEENS1_25partition_config_selectorILNS1_17partition_subalgoE4EjNS0_10empty_typeEbEEZZNS1_14partition_implILS8_4ELb0ES6_15HIP_vector_typeIjLj2EENS0_17counting_iteratorIjlEEPS9_SG_NS0_5tupleIJPjSI_NS0_16reverse_iteratorISI_EEEEENSH_IJSG_SG_SG_EEES9_SI_JZNS1_25segmented_radix_sort_implINS0_14default_configELb1EPKlPlSQ_SR_N2at6native12_GLOBAL__N_18offset_tEEE10hipError_tPvRmT1_PNSt15iterator_traitsISZ_E10value_typeET2_T3_PNS10_IS15_E10value_typeET4_jRbjT5_S1B_jjP12ihipStream_tbEUljE_ZNSN_ISO_Lb1ESQ_SR_SQ_SR_SV_EESW_SX_SY_SZ_S13_S14_S15_S18_S19_jS1A_jS1B_S1B_jjS1D_bEUljE0_EEESW_SX_SY_S15_S19_S1B_T6_T7_T9_mT8_S1D_bDpT10_ENKUlT_T0_E_clISt17integral_constantIbLb0EES1Q_IbLb1EEEEDaS1M_S1N_EUlS1M_E_NS1_11comp_targetILNS1_3genE9ELNS1_11target_archE1100ELNS1_3gpuE3ELNS1_3repE0EEENS1_30default_config_static_selectorELNS0_4arch9wavefront6targetE1EEEvSZ_
    .private_segment_fixed_size: 0
    .sgpr_count:     4
    .sgpr_spill_count: 0
    .symbol:         _ZN7rocprim17ROCPRIM_400000_NS6detail17trampoline_kernelINS0_13select_configILj256ELj13ELNS0_17block_load_methodE3ELS4_3ELS4_3ELNS0_20block_scan_algorithmE0ELj4294967295EEENS1_25partition_config_selectorILNS1_17partition_subalgoE4EjNS0_10empty_typeEbEEZZNS1_14partition_implILS8_4ELb0ES6_15HIP_vector_typeIjLj2EENS0_17counting_iteratorIjlEEPS9_SG_NS0_5tupleIJPjSI_NS0_16reverse_iteratorISI_EEEEENSH_IJSG_SG_SG_EEES9_SI_JZNS1_25segmented_radix_sort_implINS0_14default_configELb1EPKlPlSQ_SR_N2at6native12_GLOBAL__N_18offset_tEEE10hipError_tPvRmT1_PNSt15iterator_traitsISZ_E10value_typeET2_T3_PNS10_IS15_E10value_typeET4_jRbjT5_S1B_jjP12ihipStream_tbEUljE_ZNSN_ISO_Lb1ESQ_SR_SQ_SR_SV_EESW_SX_SY_SZ_S13_S14_S15_S18_S19_jS1A_jS1B_S1B_jjS1D_bEUljE0_EEESW_SX_SY_S15_S19_S1B_T6_T7_T9_mT8_S1D_bDpT10_ENKUlT_T0_E_clISt17integral_constantIbLb0EES1Q_IbLb1EEEEDaS1M_S1N_EUlS1M_E_NS1_11comp_targetILNS1_3genE9ELNS1_11target_archE1100ELNS1_3gpuE3ELNS1_3repE0EEENS1_30default_config_static_selectorELNS0_4arch9wavefront6targetE1EEEvSZ_.kd
    .uniform_work_group_size: 1
    .uses_dynamic_stack: false
    .vgpr_count:     0
    .vgpr_spill_count: 0
    .wavefront_size: 64
  - .args:
      - .offset:         0
        .size:           184
        .value_kind:     by_value
    .group_segment_fixed_size: 0
    .kernarg_segment_align: 8
    .kernarg_segment_size: 184
    .language:       OpenCL C
    .language_version:
      - 2
      - 0
    .max_flat_workgroup_size: 256
    .name:           _ZN7rocprim17ROCPRIM_400000_NS6detail17trampoline_kernelINS0_13select_configILj256ELj13ELNS0_17block_load_methodE3ELS4_3ELS4_3ELNS0_20block_scan_algorithmE0ELj4294967295EEENS1_25partition_config_selectorILNS1_17partition_subalgoE4EjNS0_10empty_typeEbEEZZNS1_14partition_implILS8_4ELb0ES6_15HIP_vector_typeIjLj2EENS0_17counting_iteratorIjlEEPS9_SG_NS0_5tupleIJPjSI_NS0_16reverse_iteratorISI_EEEEENSH_IJSG_SG_SG_EEES9_SI_JZNS1_25segmented_radix_sort_implINS0_14default_configELb1EPKlPlSQ_SR_N2at6native12_GLOBAL__N_18offset_tEEE10hipError_tPvRmT1_PNSt15iterator_traitsISZ_E10value_typeET2_T3_PNS10_IS15_E10value_typeET4_jRbjT5_S1B_jjP12ihipStream_tbEUljE_ZNSN_ISO_Lb1ESQ_SR_SQ_SR_SV_EESW_SX_SY_SZ_S13_S14_S15_S18_S19_jS1A_jS1B_S1B_jjS1D_bEUljE0_EEESW_SX_SY_S15_S19_S1B_T6_T7_T9_mT8_S1D_bDpT10_ENKUlT_T0_E_clISt17integral_constantIbLb0EES1Q_IbLb1EEEEDaS1M_S1N_EUlS1M_E_NS1_11comp_targetILNS1_3genE8ELNS1_11target_archE1030ELNS1_3gpuE2ELNS1_3repE0EEENS1_30default_config_static_selectorELNS0_4arch9wavefront6targetE1EEEvSZ_
    .private_segment_fixed_size: 0
    .sgpr_count:     4
    .sgpr_spill_count: 0
    .symbol:         _ZN7rocprim17ROCPRIM_400000_NS6detail17trampoline_kernelINS0_13select_configILj256ELj13ELNS0_17block_load_methodE3ELS4_3ELS4_3ELNS0_20block_scan_algorithmE0ELj4294967295EEENS1_25partition_config_selectorILNS1_17partition_subalgoE4EjNS0_10empty_typeEbEEZZNS1_14partition_implILS8_4ELb0ES6_15HIP_vector_typeIjLj2EENS0_17counting_iteratorIjlEEPS9_SG_NS0_5tupleIJPjSI_NS0_16reverse_iteratorISI_EEEEENSH_IJSG_SG_SG_EEES9_SI_JZNS1_25segmented_radix_sort_implINS0_14default_configELb1EPKlPlSQ_SR_N2at6native12_GLOBAL__N_18offset_tEEE10hipError_tPvRmT1_PNSt15iterator_traitsISZ_E10value_typeET2_T3_PNS10_IS15_E10value_typeET4_jRbjT5_S1B_jjP12ihipStream_tbEUljE_ZNSN_ISO_Lb1ESQ_SR_SQ_SR_SV_EESW_SX_SY_SZ_S13_S14_S15_S18_S19_jS1A_jS1B_S1B_jjS1D_bEUljE0_EEESW_SX_SY_S15_S19_S1B_T6_T7_T9_mT8_S1D_bDpT10_ENKUlT_T0_E_clISt17integral_constantIbLb0EES1Q_IbLb1EEEEDaS1M_S1N_EUlS1M_E_NS1_11comp_targetILNS1_3genE8ELNS1_11target_archE1030ELNS1_3gpuE2ELNS1_3repE0EEENS1_30default_config_static_selectorELNS0_4arch9wavefront6targetE1EEEvSZ_.kd
    .uniform_work_group_size: 1
    .uses_dynamic_stack: false
    .vgpr_count:     0
    .vgpr_spill_count: 0
    .wavefront_size: 64
  - .args:
      - .offset:         0
        .size:           144
        .value_kind:     by_value
    .group_segment_fixed_size: 0
    .kernarg_segment_align: 8
    .kernarg_segment_size: 144
    .language:       OpenCL C
    .language_version:
      - 2
      - 0
    .max_flat_workgroup_size: 256
    .name:           _ZN7rocprim17ROCPRIM_400000_NS6detail17trampoline_kernelINS0_13select_configILj256ELj13ELNS0_17block_load_methodE3ELS4_3ELS4_3ELNS0_20block_scan_algorithmE0ELj4294967295EEENS1_25partition_config_selectorILNS1_17partition_subalgoE3EjNS0_10empty_typeEbEEZZNS1_14partition_implILS8_3ELb0ES6_jNS0_17counting_iteratorIjlEEPS9_SE_NS0_5tupleIJPjSE_EEENSF_IJSE_SE_EEES9_SG_JZNS1_25segmented_radix_sort_implINS0_14default_configELb1EPKlPlSM_SN_N2at6native12_GLOBAL__N_18offset_tEEE10hipError_tPvRmT1_PNSt15iterator_traitsISV_E10value_typeET2_T3_PNSW_IS11_E10value_typeET4_jRbjT5_S17_jjP12ihipStream_tbEUljE_EEESS_ST_SU_S11_S15_S17_T6_T7_T9_mT8_S19_bDpT10_ENKUlT_T0_E_clISt17integral_constantIbLb0EES1M_EEDaS1H_S1I_EUlS1H_E_NS1_11comp_targetILNS1_3genE0ELNS1_11target_archE4294967295ELNS1_3gpuE0ELNS1_3repE0EEENS1_30default_config_static_selectorELNS0_4arch9wavefront6targetE1EEEvSV_
    .private_segment_fixed_size: 0
    .sgpr_count:     4
    .sgpr_spill_count: 0
    .symbol:         _ZN7rocprim17ROCPRIM_400000_NS6detail17trampoline_kernelINS0_13select_configILj256ELj13ELNS0_17block_load_methodE3ELS4_3ELS4_3ELNS0_20block_scan_algorithmE0ELj4294967295EEENS1_25partition_config_selectorILNS1_17partition_subalgoE3EjNS0_10empty_typeEbEEZZNS1_14partition_implILS8_3ELb0ES6_jNS0_17counting_iteratorIjlEEPS9_SE_NS0_5tupleIJPjSE_EEENSF_IJSE_SE_EEES9_SG_JZNS1_25segmented_radix_sort_implINS0_14default_configELb1EPKlPlSM_SN_N2at6native12_GLOBAL__N_18offset_tEEE10hipError_tPvRmT1_PNSt15iterator_traitsISV_E10value_typeET2_T3_PNSW_IS11_E10value_typeET4_jRbjT5_S17_jjP12ihipStream_tbEUljE_EEESS_ST_SU_S11_S15_S17_T6_T7_T9_mT8_S19_bDpT10_ENKUlT_T0_E_clISt17integral_constantIbLb0EES1M_EEDaS1H_S1I_EUlS1H_E_NS1_11comp_targetILNS1_3genE0ELNS1_11target_archE4294967295ELNS1_3gpuE0ELNS1_3repE0EEENS1_30default_config_static_selectorELNS0_4arch9wavefront6targetE1EEEvSV_.kd
    .uniform_work_group_size: 1
    .uses_dynamic_stack: false
    .vgpr_count:     0
    .vgpr_spill_count: 0
    .wavefront_size: 64
  - .args:
      - .offset:         0
        .size:           144
        .value_kind:     by_value
    .group_segment_fixed_size: 0
    .kernarg_segment_align: 8
    .kernarg_segment_size: 144
    .language:       OpenCL C
    .language_version:
      - 2
      - 0
    .max_flat_workgroup_size: 256
    .name:           _ZN7rocprim17ROCPRIM_400000_NS6detail17trampoline_kernelINS0_13select_configILj256ELj13ELNS0_17block_load_methodE3ELS4_3ELS4_3ELNS0_20block_scan_algorithmE0ELj4294967295EEENS1_25partition_config_selectorILNS1_17partition_subalgoE3EjNS0_10empty_typeEbEEZZNS1_14partition_implILS8_3ELb0ES6_jNS0_17counting_iteratorIjlEEPS9_SE_NS0_5tupleIJPjSE_EEENSF_IJSE_SE_EEES9_SG_JZNS1_25segmented_radix_sort_implINS0_14default_configELb1EPKlPlSM_SN_N2at6native12_GLOBAL__N_18offset_tEEE10hipError_tPvRmT1_PNSt15iterator_traitsISV_E10value_typeET2_T3_PNSW_IS11_E10value_typeET4_jRbjT5_S17_jjP12ihipStream_tbEUljE_EEESS_ST_SU_S11_S15_S17_T6_T7_T9_mT8_S19_bDpT10_ENKUlT_T0_E_clISt17integral_constantIbLb0EES1M_EEDaS1H_S1I_EUlS1H_E_NS1_11comp_targetILNS1_3genE5ELNS1_11target_archE942ELNS1_3gpuE9ELNS1_3repE0EEENS1_30default_config_static_selectorELNS0_4arch9wavefront6targetE1EEEvSV_
    .private_segment_fixed_size: 0
    .sgpr_count:     4
    .sgpr_spill_count: 0
    .symbol:         _ZN7rocprim17ROCPRIM_400000_NS6detail17trampoline_kernelINS0_13select_configILj256ELj13ELNS0_17block_load_methodE3ELS4_3ELS4_3ELNS0_20block_scan_algorithmE0ELj4294967295EEENS1_25partition_config_selectorILNS1_17partition_subalgoE3EjNS0_10empty_typeEbEEZZNS1_14partition_implILS8_3ELb0ES6_jNS0_17counting_iteratorIjlEEPS9_SE_NS0_5tupleIJPjSE_EEENSF_IJSE_SE_EEES9_SG_JZNS1_25segmented_radix_sort_implINS0_14default_configELb1EPKlPlSM_SN_N2at6native12_GLOBAL__N_18offset_tEEE10hipError_tPvRmT1_PNSt15iterator_traitsISV_E10value_typeET2_T3_PNSW_IS11_E10value_typeET4_jRbjT5_S17_jjP12ihipStream_tbEUljE_EEESS_ST_SU_S11_S15_S17_T6_T7_T9_mT8_S19_bDpT10_ENKUlT_T0_E_clISt17integral_constantIbLb0EES1M_EEDaS1H_S1I_EUlS1H_E_NS1_11comp_targetILNS1_3genE5ELNS1_11target_archE942ELNS1_3gpuE9ELNS1_3repE0EEENS1_30default_config_static_selectorELNS0_4arch9wavefront6targetE1EEEvSV_.kd
    .uniform_work_group_size: 1
    .uses_dynamic_stack: false
    .vgpr_count:     0
    .vgpr_spill_count: 0
    .wavefront_size: 64
  - .args:
      - .offset:         0
        .size:           144
        .value_kind:     by_value
    .group_segment_fixed_size: 0
    .kernarg_segment_align: 8
    .kernarg_segment_size: 144
    .language:       OpenCL C
    .language_version:
      - 2
      - 0
    .max_flat_workgroup_size: 256
    .name:           _ZN7rocprim17ROCPRIM_400000_NS6detail17trampoline_kernelINS0_13select_configILj256ELj13ELNS0_17block_load_methodE3ELS4_3ELS4_3ELNS0_20block_scan_algorithmE0ELj4294967295EEENS1_25partition_config_selectorILNS1_17partition_subalgoE3EjNS0_10empty_typeEbEEZZNS1_14partition_implILS8_3ELb0ES6_jNS0_17counting_iteratorIjlEEPS9_SE_NS0_5tupleIJPjSE_EEENSF_IJSE_SE_EEES9_SG_JZNS1_25segmented_radix_sort_implINS0_14default_configELb1EPKlPlSM_SN_N2at6native12_GLOBAL__N_18offset_tEEE10hipError_tPvRmT1_PNSt15iterator_traitsISV_E10value_typeET2_T3_PNSW_IS11_E10value_typeET4_jRbjT5_S17_jjP12ihipStream_tbEUljE_EEESS_ST_SU_S11_S15_S17_T6_T7_T9_mT8_S19_bDpT10_ENKUlT_T0_E_clISt17integral_constantIbLb0EES1M_EEDaS1H_S1I_EUlS1H_E_NS1_11comp_targetILNS1_3genE4ELNS1_11target_archE910ELNS1_3gpuE8ELNS1_3repE0EEENS1_30default_config_static_selectorELNS0_4arch9wavefront6targetE1EEEvSV_
    .private_segment_fixed_size: 0
    .sgpr_count:     4
    .sgpr_spill_count: 0
    .symbol:         _ZN7rocprim17ROCPRIM_400000_NS6detail17trampoline_kernelINS0_13select_configILj256ELj13ELNS0_17block_load_methodE3ELS4_3ELS4_3ELNS0_20block_scan_algorithmE0ELj4294967295EEENS1_25partition_config_selectorILNS1_17partition_subalgoE3EjNS0_10empty_typeEbEEZZNS1_14partition_implILS8_3ELb0ES6_jNS0_17counting_iteratorIjlEEPS9_SE_NS0_5tupleIJPjSE_EEENSF_IJSE_SE_EEES9_SG_JZNS1_25segmented_radix_sort_implINS0_14default_configELb1EPKlPlSM_SN_N2at6native12_GLOBAL__N_18offset_tEEE10hipError_tPvRmT1_PNSt15iterator_traitsISV_E10value_typeET2_T3_PNSW_IS11_E10value_typeET4_jRbjT5_S17_jjP12ihipStream_tbEUljE_EEESS_ST_SU_S11_S15_S17_T6_T7_T9_mT8_S19_bDpT10_ENKUlT_T0_E_clISt17integral_constantIbLb0EES1M_EEDaS1H_S1I_EUlS1H_E_NS1_11comp_targetILNS1_3genE4ELNS1_11target_archE910ELNS1_3gpuE8ELNS1_3repE0EEENS1_30default_config_static_selectorELNS0_4arch9wavefront6targetE1EEEvSV_.kd
    .uniform_work_group_size: 1
    .uses_dynamic_stack: false
    .vgpr_count:     0
    .vgpr_spill_count: 0
    .wavefront_size: 64
  - .args:
      - .offset:         0
        .size:           144
        .value_kind:     by_value
    .group_segment_fixed_size: 0
    .kernarg_segment_align: 8
    .kernarg_segment_size: 144
    .language:       OpenCL C
    .language_version:
      - 2
      - 0
    .max_flat_workgroup_size: 256
    .name:           _ZN7rocprim17ROCPRIM_400000_NS6detail17trampoline_kernelINS0_13select_configILj256ELj13ELNS0_17block_load_methodE3ELS4_3ELS4_3ELNS0_20block_scan_algorithmE0ELj4294967295EEENS1_25partition_config_selectorILNS1_17partition_subalgoE3EjNS0_10empty_typeEbEEZZNS1_14partition_implILS8_3ELb0ES6_jNS0_17counting_iteratorIjlEEPS9_SE_NS0_5tupleIJPjSE_EEENSF_IJSE_SE_EEES9_SG_JZNS1_25segmented_radix_sort_implINS0_14default_configELb1EPKlPlSM_SN_N2at6native12_GLOBAL__N_18offset_tEEE10hipError_tPvRmT1_PNSt15iterator_traitsISV_E10value_typeET2_T3_PNSW_IS11_E10value_typeET4_jRbjT5_S17_jjP12ihipStream_tbEUljE_EEESS_ST_SU_S11_S15_S17_T6_T7_T9_mT8_S19_bDpT10_ENKUlT_T0_E_clISt17integral_constantIbLb0EES1M_EEDaS1H_S1I_EUlS1H_E_NS1_11comp_targetILNS1_3genE3ELNS1_11target_archE908ELNS1_3gpuE7ELNS1_3repE0EEENS1_30default_config_static_selectorELNS0_4arch9wavefront6targetE1EEEvSV_
    .private_segment_fixed_size: 0
    .sgpr_count:     4
    .sgpr_spill_count: 0
    .symbol:         _ZN7rocprim17ROCPRIM_400000_NS6detail17trampoline_kernelINS0_13select_configILj256ELj13ELNS0_17block_load_methodE3ELS4_3ELS4_3ELNS0_20block_scan_algorithmE0ELj4294967295EEENS1_25partition_config_selectorILNS1_17partition_subalgoE3EjNS0_10empty_typeEbEEZZNS1_14partition_implILS8_3ELb0ES6_jNS0_17counting_iteratorIjlEEPS9_SE_NS0_5tupleIJPjSE_EEENSF_IJSE_SE_EEES9_SG_JZNS1_25segmented_radix_sort_implINS0_14default_configELb1EPKlPlSM_SN_N2at6native12_GLOBAL__N_18offset_tEEE10hipError_tPvRmT1_PNSt15iterator_traitsISV_E10value_typeET2_T3_PNSW_IS11_E10value_typeET4_jRbjT5_S17_jjP12ihipStream_tbEUljE_EEESS_ST_SU_S11_S15_S17_T6_T7_T9_mT8_S19_bDpT10_ENKUlT_T0_E_clISt17integral_constantIbLb0EES1M_EEDaS1H_S1I_EUlS1H_E_NS1_11comp_targetILNS1_3genE3ELNS1_11target_archE908ELNS1_3gpuE7ELNS1_3repE0EEENS1_30default_config_static_selectorELNS0_4arch9wavefront6targetE1EEEvSV_.kd
    .uniform_work_group_size: 1
    .uses_dynamic_stack: false
    .vgpr_count:     0
    .vgpr_spill_count: 0
    .wavefront_size: 64
  - .args:
      - .offset:         0
        .size:           144
        .value_kind:     by_value
    .group_segment_fixed_size: 13320
    .kernarg_segment_align: 8
    .kernarg_segment_size: 144
    .language:       OpenCL C
    .language_version:
      - 2
      - 0
    .max_flat_workgroup_size: 256
    .name:           _ZN7rocprim17ROCPRIM_400000_NS6detail17trampoline_kernelINS0_13select_configILj256ELj13ELNS0_17block_load_methodE3ELS4_3ELS4_3ELNS0_20block_scan_algorithmE0ELj4294967295EEENS1_25partition_config_selectorILNS1_17partition_subalgoE3EjNS0_10empty_typeEbEEZZNS1_14partition_implILS8_3ELb0ES6_jNS0_17counting_iteratorIjlEEPS9_SE_NS0_5tupleIJPjSE_EEENSF_IJSE_SE_EEES9_SG_JZNS1_25segmented_radix_sort_implINS0_14default_configELb1EPKlPlSM_SN_N2at6native12_GLOBAL__N_18offset_tEEE10hipError_tPvRmT1_PNSt15iterator_traitsISV_E10value_typeET2_T3_PNSW_IS11_E10value_typeET4_jRbjT5_S17_jjP12ihipStream_tbEUljE_EEESS_ST_SU_S11_S15_S17_T6_T7_T9_mT8_S19_bDpT10_ENKUlT_T0_E_clISt17integral_constantIbLb0EES1M_EEDaS1H_S1I_EUlS1H_E_NS1_11comp_targetILNS1_3genE2ELNS1_11target_archE906ELNS1_3gpuE6ELNS1_3repE0EEENS1_30default_config_static_selectorELNS0_4arch9wavefront6targetE1EEEvSV_
    .private_segment_fixed_size: 0
    .sgpr_count:     52
    .sgpr_spill_count: 0
    .symbol:         _ZN7rocprim17ROCPRIM_400000_NS6detail17trampoline_kernelINS0_13select_configILj256ELj13ELNS0_17block_load_methodE3ELS4_3ELS4_3ELNS0_20block_scan_algorithmE0ELj4294967295EEENS1_25partition_config_selectorILNS1_17partition_subalgoE3EjNS0_10empty_typeEbEEZZNS1_14partition_implILS8_3ELb0ES6_jNS0_17counting_iteratorIjlEEPS9_SE_NS0_5tupleIJPjSE_EEENSF_IJSE_SE_EEES9_SG_JZNS1_25segmented_radix_sort_implINS0_14default_configELb1EPKlPlSM_SN_N2at6native12_GLOBAL__N_18offset_tEEE10hipError_tPvRmT1_PNSt15iterator_traitsISV_E10value_typeET2_T3_PNSW_IS11_E10value_typeET4_jRbjT5_S17_jjP12ihipStream_tbEUljE_EEESS_ST_SU_S11_S15_S17_T6_T7_T9_mT8_S19_bDpT10_ENKUlT_T0_E_clISt17integral_constantIbLb0EES1M_EEDaS1H_S1I_EUlS1H_E_NS1_11comp_targetILNS1_3genE2ELNS1_11target_archE906ELNS1_3gpuE6ELNS1_3repE0EEENS1_30default_config_static_selectorELNS0_4arch9wavefront6targetE1EEEvSV_.kd
    .uniform_work_group_size: 1
    .uses_dynamic_stack: false
    .vgpr_count:     69
    .vgpr_spill_count: 0
    .wavefront_size: 64
  - .args:
      - .offset:         0
        .size:           144
        .value_kind:     by_value
    .group_segment_fixed_size: 0
    .kernarg_segment_align: 8
    .kernarg_segment_size: 144
    .language:       OpenCL C
    .language_version:
      - 2
      - 0
    .max_flat_workgroup_size: 256
    .name:           _ZN7rocprim17ROCPRIM_400000_NS6detail17trampoline_kernelINS0_13select_configILj256ELj13ELNS0_17block_load_methodE3ELS4_3ELS4_3ELNS0_20block_scan_algorithmE0ELj4294967295EEENS1_25partition_config_selectorILNS1_17partition_subalgoE3EjNS0_10empty_typeEbEEZZNS1_14partition_implILS8_3ELb0ES6_jNS0_17counting_iteratorIjlEEPS9_SE_NS0_5tupleIJPjSE_EEENSF_IJSE_SE_EEES9_SG_JZNS1_25segmented_radix_sort_implINS0_14default_configELb1EPKlPlSM_SN_N2at6native12_GLOBAL__N_18offset_tEEE10hipError_tPvRmT1_PNSt15iterator_traitsISV_E10value_typeET2_T3_PNSW_IS11_E10value_typeET4_jRbjT5_S17_jjP12ihipStream_tbEUljE_EEESS_ST_SU_S11_S15_S17_T6_T7_T9_mT8_S19_bDpT10_ENKUlT_T0_E_clISt17integral_constantIbLb0EES1M_EEDaS1H_S1I_EUlS1H_E_NS1_11comp_targetILNS1_3genE10ELNS1_11target_archE1200ELNS1_3gpuE4ELNS1_3repE0EEENS1_30default_config_static_selectorELNS0_4arch9wavefront6targetE1EEEvSV_
    .private_segment_fixed_size: 0
    .sgpr_count:     4
    .sgpr_spill_count: 0
    .symbol:         _ZN7rocprim17ROCPRIM_400000_NS6detail17trampoline_kernelINS0_13select_configILj256ELj13ELNS0_17block_load_methodE3ELS4_3ELS4_3ELNS0_20block_scan_algorithmE0ELj4294967295EEENS1_25partition_config_selectorILNS1_17partition_subalgoE3EjNS0_10empty_typeEbEEZZNS1_14partition_implILS8_3ELb0ES6_jNS0_17counting_iteratorIjlEEPS9_SE_NS0_5tupleIJPjSE_EEENSF_IJSE_SE_EEES9_SG_JZNS1_25segmented_radix_sort_implINS0_14default_configELb1EPKlPlSM_SN_N2at6native12_GLOBAL__N_18offset_tEEE10hipError_tPvRmT1_PNSt15iterator_traitsISV_E10value_typeET2_T3_PNSW_IS11_E10value_typeET4_jRbjT5_S17_jjP12ihipStream_tbEUljE_EEESS_ST_SU_S11_S15_S17_T6_T7_T9_mT8_S19_bDpT10_ENKUlT_T0_E_clISt17integral_constantIbLb0EES1M_EEDaS1H_S1I_EUlS1H_E_NS1_11comp_targetILNS1_3genE10ELNS1_11target_archE1200ELNS1_3gpuE4ELNS1_3repE0EEENS1_30default_config_static_selectorELNS0_4arch9wavefront6targetE1EEEvSV_.kd
    .uniform_work_group_size: 1
    .uses_dynamic_stack: false
    .vgpr_count:     0
    .vgpr_spill_count: 0
    .wavefront_size: 64
  - .args:
      - .offset:         0
        .size:           144
        .value_kind:     by_value
    .group_segment_fixed_size: 0
    .kernarg_segment_align: 8
    .kernarg_segment_size: 144
    .language:       OpenCL C
    .language_version:
      - 2
      - 0
    .max_flat_workgroup_size: 256
    .name:           _ZN7rocprim17ROCPRIM_400000_NS6detail17trampoline_kernelINS0_13select_configILj256ELj13ELNS0_17block_load_methodE3ELS4_3ELS4_3ELNS0_20block_scan_algorithmE0ELj4294967295EEENS1_25partition_config_selectorILNS1_17partition_subalgoE3EjNS0_10empty_typeEbEEZZNS1_14partition_implILS8_3ELb0ES6_jNS0_17counting_iteratorIjlEEPS9_SE_NS0_5tupleIJPjSE_EEENSF_IJSE_SE_EEES9_SG_JZNS1_25segmented_radix_sort_implINS0_14default_configELb1EPKlPlSM_SN_N2at6native12_GLOBAL__N_18offset_tEEE10hipError_tPvRmT1_PNSt15iterator_traitsISV_E10value_typeET2_T3_PNSW_IS11_E10value_typeET4_jRbjT5_S17_jjP12ihipStream_tbEUljE_EEESS_ST_SU_S11_S15_S17_T6_T7_T9_mT8_S19_bDpT10_ENKUlT_T0_E_clISt17integral_constantIbLb0EES1M_EEDaS1H_S1I_EUlS1H_E_NS1_11comp_targetILNS1_3genE9ELNS1_11target_archE1100ELNS1_3gpuE3ELNS1_3repE0EEENS1_30default_config_static_selectorELNS0_4arch9wavefront6targetE1EEEvSV_
    .private_segment_fixed_size: 0
    .sgpr_count:     4
    .sgpr_spill_count: 0
    .symbol:         _ZN7rocprim17ROCPRIM_400000_NS6detail17trampoline_kernelINS0_13select_configILj256ELj13ELNS0_17block_load_methodE3ELS4_3ELS4_3ELNS0_20block_scan_algorithmE0ELj4294967295EEENS1_25partition_config_selectorILNS1_17partition_subalgoE3EjNS0_10empty_typeEbEEZZNS1_14partition_implILS8_3ELb0ES6_jNS0_17counting_iteratorIjlEEPS9_SE_NS0_5tupleIJPjSE_EEENSF_IJSE_SE_EEES9_SG_JZNS1_25segmented_radix_sort_implINS0_14default_configELb1EPKlPlSM_SN_N2at6native12_GLOBAL__N_18offset_tEEE10hipError_tPvRmT1_PNSt15iterator_traitsISV_E10value_typeET2_T3_PNSW_IS11_E10value_typeET4_jRbjT5_S17_jjP12ihipStream_tbEUljE_EEESS_ST_SU_S11_S15_S17_T6_T7_T9_mT8_S19_bDpT10_ENKUlT_T0_E_clISt17integral_constantIbLb0EES1M_EEDaS1H_S1I_EUlS1H_E_NS1_11comp_targetILNS1_3genE9ELNS1_11target_archE1100ELNS1_3gpuE3ELNS1_3repE0EEENS1_30default_config_static_selectorELNS0_4arch9wavefront6targetE1EEEvSV_.kd
    .uniform_work_group_size: 1
    .uses_dynamic_stack: false
    .vgpr_count:     0
    .vgpr_spill_count: 0
    .wavefront_size: 64
  - .args:
      - .offset:         0
        .size:           144
        .value_kind:     by_value
    .group_segment_fixed_size: 0
    .kernarg_segment_align: 8
    .kernarg_segment_size: 144
    .language:       OpenCL C
    .language_version:
      - 2
      - 0
    .max_flat_workgroup_size: 256
    .name:           _ZN7rocprim17ROCPRIM_400000_NS6detail17trampoline_kernelINS0_13select_configILj256ELj13ELNS0_17block_load_methodE3ELS4_3ELS4_3ELNS0_20block_scan_algorithmE0ELj4294967295EEENS1_25partition_config_selectorILNS1_17partition_subalgoE3EjNS0_10empty_typeEbEEZZNS1_14partition_implILS8_3ELb0ES6_jNS0_17counting_iteratorIjlEEPS9_SE_NS0_5tupleIJPjSE_EEENSF_IJSE_SE_EEES9_SG_JZNS1_25segmented_radix_sort_implINS0_14default_configELb1EPKlPlSM_SN_N2at6native12_GLOBAL__N_18offset_tEEE10hipError_tPvRmT1_PNSt15iterator_traitsISV_E10value_typeET2_T3_PNSW_IS11_E10value_typeET4_jRbjT5_S17_jjP12ihipStream_tbEUljE_EEESS_ST_SU_S11_S15_S17_T6_T7_T9_mT8_S19_bDpT10_ENKUlT_T0_E_clISt17integral_constantIbLb0EES1M_EEDaS1H_S1I_EUlS1H_E_NS1_11comp_targetILNS1_3genE8ELNS1_11target_archE1030ELNS1_3gpuE2ELNS1_3repE0EEENS1_30default_config_static_selectorELNS0_4arch9wavefront6targetE1EEEvSV_
    .private_segment_fixed_size: 0
    .sgpr_count:     4
    .sgpr_spill_count: 0
    .symbol:         _ZN7rocprim17ROCPRIM_400000_NS6detail17trampoline_kernelINS0_13select_configILj256ELj13ELNS0_17block_load_methodE3ELS4_3ELS4_3ELNS0_20block_scan_algorithmE0ELj4294967295EEENS1_25partition_config_selectorILNS1_17partition_subalgoE3EjNS0_10empty_typeEbEEZZNS1_14partition_implILS8_3ELb0ES6_jNS0_17counting_iteratorIjlEEPS9_SE_NS0_5tupleIJPjSE_EEENSF_IJSE_SE_EEES9_SG_JZNS1_25segmented_radix_sort_implINS0_14default_configELb1EPKlPlSM_SN_N2at6native12_GLOBAL__N_18offset_tEEE10hipError_tPvRmT1_PNSt15iterator_traitsISV_E10value_typeET2_T3_PNSW_IS11_E10value_typeET4_jRbjT5_S17_jjP12ihipStream_tbEUljE_EEESS_ST_SU_S11_S15_S17_T6_T7_T9_mT8_S19_bDpT10_ENKUlT_T0_E_clISt17integral_constantIbLb0EES1M_EEDaS1H_S1I_EUlS1H_E_NS1_11comp_targetILNS1_3genE8ELNS1_11target_archE1030ELNS1_3gpuE2ELNS1_3repE0EEENS1_30default_config_static_selectorELNS0_4arch9wavefront6targetE1EEEvSV_.kd
    .uniform_work_group_size: 1
    .uses_dynamic_stack: false
    .vgpr_count:     0
    .vgpr_spill_count: 0
    .wavefront_size: 64
  - .args:
      - .offset:         0
        .size:           152
        .value_kind:     by_value
    .group_segment_fixed_size: 0
    .kernarg_segment_align: 8
    .kernarg_segment_size: 152
    .language:       OpenCL C
    .language_version:
      - 2
      - 0
    .max_flat_workgroup_size: 256
    .name:           _ZN7rocprim17ROCPRIM_400000_NS6detail17trampoline_kernelINS0_13select_configILj256ELj13ELNS0_17block_load_methodE3ELS4_3ELS4_3ELNS0_20block_scan_algorithmE0ELj4294967295EEENS1_25partition_config_selectorILNS1_17partition_subalgoE3EjNS0_10empty_typeEbEEZZNS1_14partition_implILS8_3ELb0ES6_jNS0_17counting_iteratorIjlEEPS9_SE_NS0_5tupleIJPjSE_EEENSF_IJSE_SE_EEES9_SG_JZNS1_25segmented_radix_sort_implINS0_14default_configELb1EPKlPlSM_SN_N2at6native12_GLOBAL__N_18offset_tEEE10hipError_tPvRmT1_PNSt15iterator_traitsISV_E10value_typeET2_T3_PNSW_IS11_E10value_typeET4_jRbjT5_S17_jjP12ihipStream_tbEUljE_EEESS_ST_SU_S11_S15_S17_T6_T7_T9_mT8_S19_bDpT10_ENKUlT_T0_E_clISt17integral_constantIbLb1EES1M_EEDaS1H_S1I_EUlS1H_E_NS1_11comp_targetILNS1_3genE0ELNS1_11target_archE4294967295ELNS1_3gpuE0ELNS1_3repE0EEENS1_30default_config_static_selectorELNS0_4arch9wavefront6targetE1EEEvSV_
    .private_segment_fixed_size: 0
    .sgpr_count:     4
    .sgpr_spill_count: 0
    .symbol:         _ZN7rocprim17ROCPRIM_400000_NS6detail17trampoline_kernelINS0_13select_configILj256ELj13ELNS0_17block_load_methodE3ELS4_3ELS4_3ELNS0_20block_scan_algorithmE0ELj4294967295EEENS1_25partition_config_selectorILNS1_17partition_subalgoE3EjNS0_10empty_typeEbEEZZNS1_14partition_implILS8_3ELb0ES6_jNS0_17counting_iteratorIjlEEPS9_SE_NS0_5tupleIJPjSE_EEENSF_IJSE_SE_EEES9_SG_JZNS1_25segmented_radix_sort_implINS0_14default_configELb1EPKlPlSM_SN_N2at6native12_GLOBAL__N_18offset_tEEE10hipError_tPvRmT1_PNSt15iterator_traitsISV_E10value_typeET2_T3_PNSW_IS11_E10value_typeET4_jRbjT5_S17_jjP12ihipStream_tbEUljE_EEESS_ST_SU_S11_S15_S17_T6_T7_T9_mT8_S19_bDpT10_ENKUlT_T0_E_clISt17integral_constantIbLb1EES1M_EEDaS1H_S1I_EUlS1H_E_NS1_11comp_targetILNS1_3genE0ELNS1_11target_archE4294967295ELNS1_3gpuE0ELNS1_3repE0EEENS1_30default_config_static_selectorELNS0_4arch9wavefront6targetE1EEEvSV_.kd
    .uniform_work_group_size: 1
    .uses_dynamic_stack: false
    .vgpr_count:     0
    .vgpr_spill_count: 0
    .wavefront_size: 64
  - .args:
      - .offset:         0
        .size:           152
        .value_kind:     by_value
    .group_segment_fixed_size: 0
    .kernarg_segment_align: 8
    .kernarg_segment_size: 152
    .language:       OpenCL C
    .language_version:
      - 2
      - 0
    .max_flat_workgroup_size: 256
    .name:           _ZN7rocprim17ROCPRIM_400000_NS6detail17trampoline_kernelINS0_13select_configILj256ELj13ELNS0_17block_load_methodE3ELS4_3ELS4_3ELNS0_20block_scan_algorithmE0ELj4294967295EEENS1_25partition_config_selectorILNS1_17partition_subalgoE3EjNS0_10empty_typeEbEEZZNS1_14partition_implILS8_3ELb0ES6_jNS0_17counting_iteratorIjlEEPS9_SE_NS0_5tupleIJPjSE_EEENSF_IJSE_SE_EEES9_SG_JZNS1_25segmented_radix_sort_implINS0_14default_configELb1EPKlPlSM_SN_N2at6native12_GLOBAL__N_18offset_tEEE10hipError_tPvRmT1_PNSt15iterator_traitsISV_E10value_typeET2_T3_PNSW_IS11_E10value_typeET4_jRbjT5_S17_jjP12ihipStream_tbEUljE_EEESS_ST_SU_S11_S15_S17_T6_T7_T9_mT8_S19_bDpT10_ENKUlT_T0_E_clISt17integral_constantIbLb1EES1M_EEDaS1H_S1I_EUlS1H_E_NS1_11comp_targetILNS1_3genE5ELNS1_11target_archE942ELNS1_3gpuE9ELNS1_3repE0EEENS1_30default_config_static_selectorELNS0_4arch9wavefront6targetE1EEEvSV_
    .private_segment_fixed_size: 0
    .sgpr_count:     4
    .sgpr_spill_count: 0
    .symbol:         _ZN7rocprim17ROCPRIM_400000_NS6detail17trampoline_kernelINS0_13select_configILj256ELj13ELNS0_17block_load_methodE3ELS4_3ELS4_3ELNS0_20block_scan_algorithmE0ELj4294967295EEENS1_25partition_config_selectorILNS1_17partition_subalgoE3EjNS0_10empty_typeEbEEZZNS1_14partition_implILS8_3ELb0ES6_jNS0_17counting_iteratorIjlEEPS9_SE_NS0_5tupleIJPjSE_EEENSF_IJSE_SE_EEES9_SG_JZNS1_25segmented_radix_sort_implINS0_14default_configELb1EPKlPlSM_SN_N2at6native12_GLOBAL__N_18offset_tEEE10hipError_tPvRmT1_PNSt15iterator_traitsISV_E10value_typeET2_T3_PNSW_IS11_E10value_typeET4_jRbjT5_S17_jjP12ihipStream_tbEUljE_EEESS_ST_SU_S11_S15_S17_T6_T7_T9_mT8_S19_bDpT10_ENKUlT_T0_E_clISt17integral_constantIbLb1EES1M_EEDaS1H_S1I_EUlS1H_E_NS1_11comp_targetILNS1_3genE5ELNS1_11target_archE942ELNS1_3gpuE9ELNS1_3repE0EEENS1_30default_config_static_selectorELNS0_4arch9wavefront6targetE1EEEvSV_.kd
    .uniform_work_group_size: 1
    .uses_dynamic_stack: false
    .vgpr_count:     0
    .vgpr_spill_count: 0
    .wavefront_size: 64
  - .args:
      - .offset:         0
        .size:           152
        .value_kind:     by_value
    .group_segment_fixed_size: 0
    .kernarg_segment_align: 8
    .kernarg_segment_size: 152
    .language:       OpenCL C
    .language_version:
      - 2
      - 0
    .max_flat_workgroup_size: 256
    .name:           _ZN7rocprim17ROCPRIM_400000_NS6detail17trampoline_kernelINS0_13select_configILj256ELj13ELNS0_17block_load_methodE3ELS4_3ELS4_3ELNS0_20block_scan_algorithmE0ELj4294967295EEENS1_25partition_config_selectorILNS1_17partition_subalgoE3EjNS0_10empty_typeEbEEZZNS1_14partition_implILS8_3ELb0ES6_jNS0_17counting_iteratorIjlEEPS9_SE_NS0_5tupleIJPjSE_EEENSF_IJSE_SE_EEES9_SG_JZNS1_25segmented_radix_sort_implINS0_14default_configELb1EPKlPlSM_SN_N2at6native12_GLOBAL__N_18offset_tEEE10hipError_tPvRmT1_PNSt15iterator_traitsISV_E10value_typeET2_T3_PNSW_IS11_E10value_typeET4_jRbjT5_S17_jjP12ihipStream_tbEUljE_EEESS_ST_SU_S11_S15_S17_T6_T7_T9_mT8_S19_bDpT10_ENKUlT_T0_E_clISt17integral_constantIbLb1EES1M_EEDaS1H_S1I_EUlS1H_E_NS1_11comp_targetILNS1_3genE4ELNS1_11target_archE910ELNS1_3gpuE8ELNS1_3repE0EEENS1_30default_config_static_selectorELNS0_4arch9wavefront6targetE1EEEvSV_
    .private_segment_fixed_size: 0
    .sgpr_count:     4
    .sgpr_spill_count: 0
    .symbol:         _ZN7rocprim17ROCPRIM_400000_NS6detail17trampoline_kernelINS0_13select_configILj256ELj13ELNS0_17block_load_methodE3ELS4_3ELS4_3ELNS0_20block_scan_algorithmE0ELj4294967295EEENS1_25partition_config_selectorILNS1_17partition_subalgoE3EjNS0_10empty_typeEbEEZZNS1_14partition_implILS8_3ELb0ES6_jNS0_17counting_iteratorIjlEEPS9_SE_NS0_5tupleIJPjSE_EEENSF_IJSE_SE_EEES9_SG_JZNS1_25segmented_radix_sort_implINS0_14default_configELb1EPKlPlSM_SN_N2at6native12_GLOBAL__N_18offset_tEEE10hipError_tPvRmT1_PNSt15iterator_traitsISV_E10value_typeET2_T3_PNSW_IS11_E10value_typeET4_jRbjT5_S17_jjP12ihipStream_tbEUljE_EEESS_ST_SU_S11_S15_S17_T6_T7_T9_mT8_S19_bDpT10_ENKUlT_T0_E_clISt17integral_constantIbLb1EES1M_EEDaS1H_S1I_EUlS1H_E_NS1_11comp_targetILNS1_3genE4ELNS1_11target_archE910ELNS1_3gpuE8ELNS1_3repE0EEENS1_30default_config_static_selectorELNS0_4arch9wavefront6targetE1EEEvSV_.kd
    .uniform_work_group_size: 1
    .uses_dynamic_stack: false
    .vgpr_count:     0
    .vgpr_spill_count: 0
    .wavefront_size: 64
  - .args:
      - .offset:         0
        .size:           152
        .value_kind:     by_value
    .group_segment_fixed_size: 0
    .kernarg_segment_align: 8
    .kernarg_segment_size: 152
    .language:       OpenCL C
    .language_version:
      - 2
      - 0
    .max_flat_workgroup_size: 256
    .name:           _ZN7rocprim17ROCPRIM_400000_NS6detail17trampoline_kernelINS0_13select_configILj256ELj13ELNS0_17block_load_methodE3ELS4_3ELS4_3ELNS0_20block_scan_algorithmE0ELj4294967295EEENS1_25partition_config_selectorILNS1_17partition_subalgoE3EjNS0_10empty_typeEbEEZZNS1_14partition_implILS8_3ELb0ES6_jNS0_17counting_iteratorIjlEEPS9_SE_NS0_5tupleIJPjSE_EEENSF_IJSE_SE_EEES9_SG_JZNS1_25segmented_radix_sort_implINS0_14default_configELb1EPKlPlSM_SN_N2at6native12_GLOBAL__N_18offset_tEEE10hipError_tPvRmT1_PNSt15iterator_traitsISV_E10value_typeET2_T3_PNSW_IS11_E10value_typeET4_jRbjT5_S17_jjP12ihipStream_tbEUljE_EEESS_ST_SU_S11_S15_S17_T6_T7_T9_mT8_S19_bDpT10_ENKUlT_T0_E_clISt17integral_constantIbLb1EES1M_EEDaS1H_S1I_EUlS1H_E_NS1_11comp_targetILNS1_3genE3ELNS1_11target_archE908ELNS1_3gpuE7ELNS1_3repE0EEENS1_30default_config_static_selectorELNS0_4arch9wavefront6targetE1EEEvSV_
    .private_segment_fixed_size: 0
    .sgpr_count:     4
    .sgpr_spill_count: 0
    .symbol:         _ZN7rocprim17ROCPRIM_400000_NS6detail17trampoline_kernelINS0_13select_configILj256ELj13ELNS0_17block_load_methodE3ELS4_3ELS4_3ELNS0_20block_scan_algorithmE0ELj4294967295EEENS1_25partition_config_selectorILNS1_17partition_subalgoE3EjNS0_10empty_typeEbEEZZNS1_14partition_implILS8_3ELb0ES6_jNS0_17counting_iteratorIjlEEPS9_SE_NS0_5tupleIJPjSE_EEENSF_IJSE_SE_EEES9_SG_JZNS1_25segmented_radix_sort_implINS0_14default_configELb1EPKlPlSM_SN_N2at6native12_GLOBAL__N_18offset_tEEE10hipError_tPvRmT1_PNSt15iterator_traitsISV_E10value_typeET2_T3_PNSW_IS11_E10value_typeET4_jRbjT5_S17_jjP12ihipStream_tbEUljE_EEESS_ST_SU_S11_S15_S17_T6_T7_T9_mT8_S19_bDpT10_ENKUlT_T0_E_clISt17integral_constantIbLb1EES1M_EEDaS1H_S1I_EUlS1H_E_NS1_11comp_targetILNS1_3genE3ELNS1_11target_archE908ELNS1_3gpuE7ELNS1_3repE0EEENS1_30default_config_static_selectorELNS0_4arch9wavefront6targetE1EEEvSV_.kd
    .uniform_work_group_size: 1
    .uses_dynamic_stack: false
    .vgpr_count:     0
    .vgpr_spill_count: 0
    .wavefront_size: 64
  - .args:
      - .offset:         0
        .size:           152
        .value_kind:     by_value
    .group_segment_fixed_size: 0
    .kernarg_segment_align: 8
    .kernarg_segment_size: 152
    .language:       OpenCL C
    .language_version:
      - 2
      - 0
    .max_flat_workgroup_size: 256
    .name:           _ZN7rocprim17ROCPRIM_400000_NS6detail17trampoline_kernelINS0_13select_configILj256ELj13ELNS0_17block_load_methodE3ELS4_3ELS4_3ELNS0_20block_scan_algorithmE0ELj4294967295EEENS1_25partition_config_selectorILNS1_17partition_subalgoE3EjNS0_10empty_typeEbEEZZNS1_14partition_implILS8_3ELb0ES6_jNS0_17counting_iteratorIjlEEPS9_SE_NS0_5tupleIJPjSE_EEENSF_IJSE_SE_EEES9_SG_JZNS1_25segmented_radix_sort_implINS0_14default_configELb1EPKlPlSM_SN_N2at6native12_GLOBAL__N_18offset_tEEE10hipError_tPvRmT1_PNSt15iterator_traitsISV_E10value_typeET2_T3_PNSW_IS11_E10value_typeET4_jRbjT5_S17_jjP12ihipStream_tbEUljE_EEESS_ST_SU_S11_S15_S17_T6_T7_T9_mT8_S19_bDpT10_ENKUlT_T0_E_clISt17integral_constantIbLb1EES1M_EEDaS1H_S1I_EUlS1H_E_NS1_11comp_targetILNS1_3genE2ELNS1_11target_archE906ELNS1_3gpuE6ELNS1_3repE0EEENS1_30default_config_static_selectorELNS0_4arch9wavefront6targetE1EEEvSV_
    .private_segment_fixed_size: 0
    .sgpr_count:     4
    .sgpr_spill_count: 0
    .symbol:         _ZN7rocprim17ROCPRIM_400000_NS6detail17trampoline_kernelINS0_13select_configILj256ELj13ELNS0_17block_load_methodE3ELS4_3ELS4_3ELNS0_20block_scan_algorithmE0ELj4294967295EEENS1_25partition_config_selectorILNS1_17partition_subalgoE3EjNS0_10empty_typeEbEEZZNS1_14partition_implILS8_3ELb0ES6_jNS0_17counting_iteratorIjlEEPS9_SE_NS0_5tupleIJPjSE_EEENSF_IJSE_SE_EEES9_SG_JZNS1_25segmented_radix_sort_implINS0_14default_configELb1EPKlPlSM_SN_N2at6native12_GLOBAL__N_18offset_tEEE10hipError_tPvRmT1_PNSt15iterator_traitsISV_E10value_typeET2_T3_PNSW_IS11_E10value_typeET4_jRbjT5_S17_jjP12ihipStream_tbEUljE_EEESS_ST_SU_S11_S15_S17_T6_T7_T9_mT8_S19_bDpT10_ENKUlT_T0_E_clISt17integral_constantIbLb1EES1M_EEDaS1H_S1I_EUlS1H_E_NS1_11comp_targetILNS1_3genE2ELNS1_11target_archE906ELNS1_3gpuE6ELNS1_3repE0EEENS1_30default_config_static_selectorELNS0_4arch9wavefront6targetE1EEEvSV_.kd
    .uniform_work_group_size: 1
    .uses_dynamic_stack: false
    .vgpr_count:     0
    .vgpr_spill_count: 0
    .wavefront_size: 64
  - .args:
      - .offset:         0
        .size:           152
        .value_kind:     by_value
    .group_segment_fixed_size: 0
    .kernarg_segment_align: 8
    .kernarg_segment_size: 152
    .language:       OpenCL C
    .language_version:
      - 2
      - 0
    .max_flat_workgroup_size: 256
    .name:           _ZN7rocprim17ROCPRIM_400000_NS6detail17trampoline_kernelINS0_13select_configILj256ELj13ELNS0_17block_load_methodE3ELS4_3ELS4_3ELNS0_20block_scan_algorithmE0ELj4294967295EEENS1_25partition_config_selectorILNS1_17partition_subalgoE3EjNS0_10empty_typeEbEEZZNS1_14partition_implILS8_3ELb0ES6_jNS0_17counting_iteratorIjlEEPS9_SE_NS0_5tupleIJPjSE_EEENSF_IJSE_SE_EEES9_SG_JZNS1_25segmented_radix_sort_implINS0_14default_configELb1EPKlPlSM_SN_N2at6native12_GLOBAL__N_18offset_tEEE10hipError_tPvRmT1_PNSt15iterator_traitsISV_E10value_typeET2_T3_PNSW_IS11_E10value_typeET4_jRbjT5_S17_jjP12ihipStream_tbEUljE_EEESS_ST_SU_S11_S15_S17_T6_T7_T9_mT8_S19_bDpT10_ENKUlT_T0_E_clISt17integral_constantIbLb1EES1M_EEDaS1H_S1I_EUlS1H_E_NS1_11comp_targetILNS1_3genE10ELNS1_11target_archE1200ELNS1_3gpuE4ELNS1_3repE0EEENS1_30default_config_static_selectorELNS0_4arch9wavefront6targetE1EEEvSV_
    .private_segment_fixed_size: 0
    .sgpr_count:     4
    .sgpr_spill_count: 0
    .symbol:         _ZN7rocprim17ROCPRIM_400000_NS6detail17trampoline_kernelINS0_13select_configILj256ELj13ELNS0_17block_load_methodE3ELS4_3ELS4_3ELNS0_20block_scan_algorithmE0ELj4294967295EEENS1_25partition_config_selectorILNS1_17partition_subalgoE3EjNS0_10empty_typeEbEEZZNS1_14partition_implILS8_3ELb0ES6_jNS0_17counting_iteratorIjlEEPS9_SE_NS0_5tupleIJPjSE_EEENSF_IJSE_SE_EEES9_SG_JZNS1_25segmented_radix_sort_implINS0_14default_configELb1EPKlPlSM_SN_N2at6native12_GLOBAL__N_18offset_tEEE10hipError_tPvRmT1_PNSt15iterator_traitsISV_E10value_typeET2_T3_PNSW_IS11_E10value_typeET4_jRbjT5_S17_jjP12ihipStream_tbEUljE_EEESS_ST_SU_S11_S15_S17_T6_T7_T9_mT8_S19_bDpT10_ENKUlT_T0_E_clISt17integral_constantIbLb1EES1M_EEDaS1H_S1I_EUlS1H_E_NS1_11comp_targetILNS1_3genE10ELNS1_11target_archE1200ELNS1_3gpuE4ELNS1_3repE0EEENS1_30default_config_static_selectorELNS0_4arch9wavefront6targetE1EEEvSV_.kd
    .uniform_work_group_size: 1
    .uses_dynamic_stack: false
    .vgpr_count:     0
    .vgpr_spill_count: 0
    .wavefront_size: 64
  - .args:
      - .offset:         0
        .size:           152
        .value_kind:     by_value
    .group_segment_fixed_size: 0
    .kernarg_segment_align: 8
    .kernarg_segment_size: 152
    .language:       OpenCL C
    .language_version:
      - 2
      - 0
    .max_flat_workgroup_size: 256
    .name:           _ZN7rocprim17ROCPRIM_400000_NS6detail17trampoline_kernelINS0_13select_configILj256ELj13ELNS0_17block_load_methodE3ELS4_3ELS4_3ELNS0_20block_scan_algorithmE0ELj4294967295EEENS1_25partition_config_selectorILNS1_17partition_subalgoE3EjNS0_10empty_typeEbEEZZNS1_14partition_implILS8_3ELb0ES6_jNS0_17counting_iteratorIjlEEPS9_SE_NS0_5tupleIJPjSE_EEENSF_IJSE_SE_EEES9_SG_JZNS1_25segmented_radix_sort_implINS0_14default_configELb1EPKlPlSM_SN_N2at6native12_GLOBAL__N_18offset_tEEE10hipError_tPvRmT1_PNSt15iterator_traitsISV_E10value_typeET2_T3_PNSW_IS11_E10value_typeET4_jRbjT5_S17_jjP12ihipStream_tbEUljE_EEESS_ST_SU_S11_S15_S17_T6_T7_T9_mT8_S19_bDpT10_ENKUlT_T0_E_clISt17integral_constantIbLb1EES1M_EEDaS1H_S1I_EUlS1H_E_NS1_11comp_targetILNS1_3genE9ELNS1_11target_archE1100ELNS1_3gpuE3ELNS1_3repE0EEENS1_30default_config_static_selectorELNS0_4arch9wavefront6targetE1EEEvSV_
    .private_segment_fixed_size: 0
    .sgpr_count:     4
    .sgpr_spill_count: 0
    .symbol:         _ZN7rocprim17ROCPRIM_400000_NS6detail17trampoline_kernelINS0_13select_configILj256ELj13ELNS0_17block_load_methodE3ELS4_3ELS4_3ELNS0_20block_scan_algorithmE0ELj4294967295EEENS1_25partition_config_selectorILNS1_17partition_subalgoE3EjNS0_10empty_typeEbEEZZNS1_14partition_implILS8_3ELb0ES6_jNS0_17counting_iteratorIjlEEPS9_SE_NS0_5tupleIJPjSE_EEENSF_IJSE_SE_EEES9_SG_JZNS1_25segmented_radix_sort_implINS0_14default_configELb1EPKlPlSM_SN_N2at6native12_GLOBAL__N_18offset_tEEE10hipError_tPvRmT1_PNSt15iterator_traitsISV_E10value_typeET2_T3_PNSW_IS11_E10value_typeET4_jRbjT5_S17_jjP12ihipStream_tbEUljE_EEESS_ST_SU_S11_S15_S17_T6_T7_T9_mT8_S19_bDpT10_ENKUlT_T0_E_clISt17integral_constantIbLb1EES1M_EEDaS1H_S1I_EUlS1H_E_NS1_11comp_targetILNS1_3genE9ELNS1_11target_archE1100ELNS1_3gpuE3ELNS1_3repE0EEENS1_30default_config_static_selectorELNS0_4arch9wavefront6targetE1EEEvSV_.kd
    .uniform_work_group_size: 1
    .uses_dynamic_stack: false
    .vgpr_count:     0
    .vgpr_spill_count: 0
    .wavefront_size: 64
  - .args:
      - .offset:         0
        .size:           152
        .value_kind:     by_value
    .group_segment_fixed_size: 0
    .kernarg_segment_align: 8
    .kernarg_segment_size: 152
    .language:       OpenCL C
    .language_version:
      - 2
      - 0
    .max_flat_workgroup_size: 256
    .name:           _ZN7rocprim17ROCPRIM_400000_NS6detail17trampoline_kernelINS0_13select_configILj256ELj13ELNS0_17block_load_methodE3ELS4_3ELS4_3ELNS0_20block_scan_algorithmE0ELj4294967295EEENS1_25partition_config_selectorILNS1_17partition_subalgoE3EjNS0_10empty_typeEbEEZZNS1_14partition_implILS8_3ELb0ES6_jNS0_17counting_iteratorIjlEEPS9_SE_NS0_5tupleIJPjSE_EEENSF_IJSE_SE_EEES9_SG_JZNS1_25segmented_radix_sort_implINS0_14default_configELb1EPKlPlSM_SN_N2at6native12_GLOBAL__N_18offset_tEEE10hipError_tPvRmT1_PNSt15iterator_traitsISV_E10value_typeET2_T3_PNSW_IS11_E10value_typeET4_jRbjT5_S17_jjP12ihipStream_tbEUljE_EEESS_ST_SU_S11_S15_S17_T6_T7_T9_mT8_S19_bDpT10_ENKUlT_T0_E_clISt17integral_constantIbLb1EES1M_EEDaS1H_S1I_EUlS1H_E_NS1_11comp_targetILNS1_3genE8ELNS1_11target_archE1030ELNS1_3gpuE2ELNS1_3repE0EEENS1_30default_config_static_selectorELNS0_4arch9wavefront6targetE1EEEvSV_
    .private_segment_fixed_size: 0
    .sgpr_count:     4
    .sgpr_spill_count: 0
    .symbol:         _ZN7rocprim17ROCPRIM_400000_NS6detail17trampoline_kernelINS0_13select_configILj256ELj13ELNS0_17block_load_methodE3ELS4_3ELS4_3ELNS0_20block_scan_algorithmE0ELj4294967295EEENS1_25partition_config_selectorILNS1_17partition_subalgoE3EjNS0_10empty_typeEbEEZZNS1_14partition_implILS8_3ELb0ES6_jNS0_17counting_iteratorIjlEEPS9_SE_NS0_5tupleIJPjSE_EEENSF_IJSE_SE_EEES9_SG_JZNS1_25segmented_radix_sort_implINS0_14default_configELb1EPKlPlSM_SN_N2at6native12_GLOBAL__N_18offset_tEEE10hipError_tPvRmT1_PNSt15iterator_traitsISV_E10value_typeET2_T3_PNSW_IS11_E10value_typeET4_jRbjT5_S17_jjP12ihipStream_tbEUljE_EEESS_ST_SU_S11_S15_S17_T6_T7_T9_mT8_S19_bDpT10_ENKUlT_T0_E_clISt17integral_constantIbLb1EES1M_EEDaS1H_S1I_EUlS1H_E_NS1_11comp_targetILNS1_3genE8ELNS1_11target_archE1030ELNS1_3gpuE2ELNS1_3repE0EEENS1_30default_config_static_selectorELNS0_4arch9wavefront6targetE1EEEvSV_.kd
    .uniform_work_group_size: 1
    .uses_dynamic_stack: false
    .vgpr_count:     0
    .vgpr_spill_count: 0
    .wavefront_size: 64
  - .args:
      - .offset:         0
        .size:           144
        .value_kind:     by_value
    .group_segment_fixed_size: 0
    .kernarg_segment_align: 8
    .kernarg_segment_size: 144
    .language:       OpenCL C
    .language_version:
      - 2
      - 0
    .max_flat_workgroup_size: 256
    .name:           _ZN7rocprim17ROCPRIM_400000_NS6detail17trampoline_kernelINS0_13select_configILj256ELj13ELNS0_17block_load_methodE3ELS4_3ELS4_3ELNS0_20block_scan_algorithmE0ELj4294967295EEENS1_25partition_config_selectorILNS1_17partition_subalgoE3EjNS0_10empty_typeEbEEZZNS1_14partition_implILS8_3ELb0ES6_jNS0_17counting_iteratorIjlEEPS9_SE_NS0_5tupleIJPjSE_EEENSF_IJSE_SE_EEES9_SG_JZNS1_25segmented_radix_sort_implINS0_14default_configELb1EPKlPlSM_SN_N2at6native12_GLOBAL__N_18offset_tEEE10hipError_tPvRmT1_PNSt15iterator_traitsISV_E10value_typeET2_T3_PNSW_IS11_E10value_typeET4_jRbjT5_S17_jjP12ihipStream_tbEUljE_EEESS_ST_SU_S11_S15_S17_T6_T7_T9_mT8_S19_bDpT10_ENKUlT_T0_E_clISt17integral_constantIbLb1EES1L_IbLb0EEEEDaS1H_S1I_EUlS1H_E_NS1_11comp_targetILNS1_3genE0ELNS1_11target_archE4294967295ELNS1_3gpuE0ELNS1_3repE0EEENS1_30default_config_static_selectorELNS0_4arch9wavefront6targetE1EEEvSV_
    .private_segment_fixed_size: 0
    .sgpr_count:     4
    .sgpr_spill_count: 0
    .symbol:         _ZN7rocprim17ROCPRIM_400000_NS6detail17trampoline_kernelINS0_13select_configILj256ELj13ELNS0_17block_load_methodE3ELS4_3ELS4_3ELNS0_20block_scan_algorithmE0ELj4294967295EEENS1_25partition_config_selectorILNS1_17partition_subalgoE3EjNS0_10empty_typeEbEEZZNS1_14partition_implILS8_3ELb0ES6_jNS0_17counting_iteratorIjlEEPS9_SE_NS0_5tupleIJPjSE_EEENSF_IJSE_SE_EEES9_SG_JZNS1_25segmented_radix_sort_implINS0_14default_configELb1EPKlPlSM_SN_N2at6native12_GLOBAL__N_18offset_tEEE10hipError_tPvRmT1_PNSt15iterator_traitsISV_E10value_typeET2_T3_PNSW_IS11_E10value_typeET4_jRbjT5_S17_jjP12ihipStream_tbEUljE_EEESS_ST_SU_S11_S15_S17_T6_T7_T9_mT8_S19_bDpT10_ENKUlT_T0_E_clISt17integral_constantIbLb1EES1L_IbLb0EEEEDaS1H_S1I_EUlS1H_E_NS1_11comp_targetILNS1_3genE0ELNS1_11target_archE4294967295ELNS1_3gpuE0ELNS1_3repE0EEENS1_30default_config_static_selectorELNS0_4arch9wavefront6targetE1EEEvSV_.kd
    .uniform_work_group_size: 1
    .uses_dynamic_stack: false
    .vgpr_count:     0
    .vgpr_spill_count: 0
    .wavefront_size: 64
  - .args:
      - .offset:         0
        .size:           144
        .value_kind:     by_value
    .group_segment_fixed_size: 0
    .kernarg_segment_align: 8
    .kernarg_segment_size: 144
    .language:       OpenCL C
    .language_version:
      - 2
      - 0
    .max_flat_workgroup_size: 256
    .name:           _ZN7rocprim17ROCPRIM_400000_NS6detail17trampoline_kernelINS0_13select_configILj256ELj13ELNS0_17block_load_methodE3ELS4_3ELS4_3ELNS0_20block_scan_algorithmE0ELj4294967295EEENS1_25partition_config_selectorILNS1_17partition_subalgoE3EjNS0_10empty_typeEbEEZZNS1_14partition_implILS8_3ELb0ES6_jNS0_17counting_iteratorIjlEEPS9_SE_NS0_5tupleIJPjSE_EEENSF_IJSE_SE_EEES9_SG_JZNS1_25segmented_radix_sort_implINS0_14default_configELb1EPKlPlSM_SN_N2at6native12_GLOBAL__N_18offset_tEEE10hipError_tPvRmT1_PNSt15iterator_traitsISV_E10value_typeET2_T3_PNSW_IS11_E10value_typeET4_jRbjT5_S17_jjP12ihipStream_tbEUljE_EEESS_ST_SU_S11_S15_S17_T6_T7_T9_mT8_S19_bDpT10_ENKUlT_T0_E_clISt17integral_constantIbLb1EES1L_IbLb0EEEEDaS1H_S1I_EUlS1H_E_NS1_11comp_targetILNS1_3genE5ELNS1_11target_archE942ELNS1_3gpuE9ELNS1_3repE0EEENS1_30default_config_static_selectorELNS0_4arch9wavefront6targetE1EEEvSV_
    .private_segment_fixed_size: 0
    .sgpr_count:     4
    .sgpr_spill_count: 0
    .symbol:         _ZN7rocprim17ROCPRIM_400000_NS6detail17trampoline_kernelINS0_13select_configILj256ELj13ELNS0_17block_load_methodE3ELS4_3ELS4_3ELNS0_20block_scan_algorithmE0ELj4294967295EEENS1_25partition_config_selectorILNS1_17partition_subalgoE3EjNS0_10empty_typeEbEEZZNS1_14partition_implILS8_3ELb0ES6_jNS0_17counting_iteratorIjlEEPS9_SE_NS0_5tupleIJPjSE_EEENSF_IJSE_SE_EEES9_SG_JZNS1_25segmented_radix_sort_implINS0_14default_configELb1EPKlPlSM_SN_N2at6native12_GLOBAL__N_18offset_tEEE10hipError_tPvRmT1_PNSt15iterator_traitsISV_E10value_typeET2_T3_PNSW_IS11_E10value_typeET4_jRbjT5_S17_jjP12ihipStream_tbEUljE_EEESS_ST_SU_S11_S15_S17_T6_T7_T9_mT8_S19_bDpT10_ENKUlT_T0_E_clISt17integral_constantIbLb1EES1L_IbLb0EEEEDaS1H_S1I_EUlS1H_E_NS1_11comp_targetILNS1_3genE5ELNS1_11target_archE942ELNS1_3gpuE9ELNS1_3repE0EEENS1_30default_config_static_selectorELNS0_4arch9wavefront6targetE1EEEvSV_.kd
    .uniform_work_group_size: 1
    .uses_dynamic_stack: false
    .vgpr_count:     0
    .vgpr_spill_count: 0
    .wavefront_size: 64
  - .args:
      - .offset:         0
        .size:           144
        .value_kind:     by_value
    .group_segment_fixed_size: 0
    .kernarg_segment_align: 8
    .kernarg_segment_size: 144
    .language:       OpenCL C
    .language_version:
      - 2
      - 0
    .max_flat_workgroup_size: 256
    .name:           _ZN7rocprim17ROCPRIM_400000_NS6detail17trampoline_kernelINS0_13select_configILj256ELj13ELNS0_17block_load_methodE3ELS4_3ELS4_3ELNS0_20block_scan_algorithmE0ELj4294967295EEENS1_25partition_config_selectorILNS1_17partition_subalgoE3EjNS0_10empty_typeEbEEZZNS1_14partition_implILS8_3ELb0ES6_jNS0_17counting_iteratorIjlEEPS9_SE_NS0_5tupleIJPjSE_EEENSF_IJSE_SE_EEES9_SG_JZNS1_25segmented_radix_sort_implINS0_14default_configELb1EPKlPlSM_SN_N2at6native12_GLOBAL__N_18offset_tEEE10hipError_tPvRmT1_PNSt15iterator_traitsISV_E10value_typeET2_T3_PNSW_IS11_E10value_typeET4_jRbjT5_S17_jjP12ihipStream_tbEUljE_EEESS_ST_SU_S11_S15_S17_T6_T7_T9_mT8_S19_bDpT10_ENKUlT_T0_E_clISt17integral_constantIbLb1EES1L_IbLb0EEEEDaS1H_S1I_EUlS1H_E_NS1_11comp_targetILNS1_3genE4ELNS1_11target_archE910ELNS1_3gpuE8ELNS1_3repE0EEENS1_30default_config_static_selectorELNS0_4arch9wavefront6targetE1EEEvSV_
    .private_segment_fixed_size: 0
    .sgpr_count:     4
    .sgpr_spill_count: 0
    .symbol:         _ZN7rocprim17ROCPRIM_400000_NS6detail17trampoline_kernelINS0_13select_configILj256ELj13ELNS0_17block_load_methodE3ELS4_3ELS4_3ELNS0_20block_scan_algorithmE0ELj4294967295EEENS1_25partition_config_selectorILNS1_17partition_subalgoE3EjNS0_10empty_typeEbEEZZNS1_14partition_implILS8_3ELb0ES6_jNS0_17counting_iteratorIjlEEPS9_SE_NS0_5tupleIJPjSE_EEENSF_IJSE_SE_EEES9_SG_JZNS1_25segmented_radix_sort_implINS0_14default_configELb1EPKlPlSM_SN_N2at6native12_GLOBAL__N_18offset_tEEE10hipError_tPvRmT1_PNSt15iterator_traitsISV_E10value_typeET2_T3_PNSW_IS11_E10value_typeET4_jRbjT5_S17_jjP12ihipStream_tbEUljE_EEESS_ST_SU_S11_S15_S17_T6_T7_T9_mT8_S19_bDpT10_ENKUlT_T0_E_clISt17integral_constantIbLb1EES1L_IbLb0EEEEDaS1H_S1I_EUlS1H_E_NS1_11comp_targetILNS1_3genE4ELNS1_11target_archE910ELNS1_3gpuE8ELNS1_3repE0EEENS1_30default_config_static_selectorELNS0_4arch9wavefront6targetE1EEEvSV_.kd
    .uniform_work_group_size: 1
    .uses_dynamic_stack: false
    .vgpr_count:     0
    .vgpr_spill_count: 0
    .wavefront_size: 64
  - .args:
      - .offset:         0
        .size:           144
        .value_kind:     by_value
    .group_segment_fixed_size: 0
    .kernarg_segment_align: 8
    .kernarg_segment_size: 144
    .language:       OpenCL C
    .language_version:
      - 2
      - 0
    .max_flat_workgroup_size: 256
    .name:           _ZN7rocprim17ROCPRIM_400000_NS6detail17trampoline_kernelINS0_13select_configILj256ELj13ELNS0_17block_load_methodE3ELS4_3ELS4_3ELNS0_20block_scan_algorithmE0ELj4294967295EEENS1_25partition_config_selectorILNS1_17partition_subalgoE3EjNS0_10empty_typeEbEEZZNS1_14partition_implILS8_3ELb0ES6_jNS0_17counting_iteratorIjlEEPS9_SE_NS0_5tupleIJPjSE_EEENSF_IJSE_SE_EEES9_SG_JZNS1_25segmented_radix_sort_implINS0_14default_configELb1EPKlPlSM_SN_N2at6native12_GLOBAL__N_18offset_tEEE10hipError_tPvRmT1_PNSt15iterator_traitsISV_E10value_typeET2_T3_PNSW_IS11_E10value_typeET4_jRbjT5_S17_jjP12ihipStream_tbEUljE_EEESS_ST_SU_S11_S15_S17_T6_T7_T9_mT8_S19_bDpT10_ENKUlT_T0_E_clISt17integral_constantIbLb1EES1L_IbLb0EEEEDaS1H_S1I_EUlS1H_E_NS1_11comp_targetILNS1_3genE3ELNS1_11target_archE908ELNS1_3gpuE7ELNS1_3repE0EEENS1_30default_config_static_selectorELNS0_4arch9wavefront6targetE1EEEvSV_
    .private_segment_fixed_size: 0
    .sgpr_count:     4
    .sgpr_spill_count: 0
    .symbol:         _ZN7rocprim17ROCPRIM_400000_NS6detail17trampoline_kernelINS0_13select_configILj256ELj13ELNS0_17block_load_methodE3ELS4_3ELS4_3ELNS0_20block_scan_algorithmE0ELj4294967295EEENS1_25partition_config_selectorILNS1_17partition_subalgoE3EjNS0_10empty_typeEbEEZZNS1_14partition_implILS8_3ELb0ES6_jNS0_17counting_iteratorIjlEEPS9_SE_NS0_5tupleIJPjSE_EEENSF_IJSE_SE_EEES9_SG_JZNS1_25segmented_radix_sort_implINS0_14default_configELb1EPKlPlSM_SN_N2at6native12_GLOBAL__N_18offset_tEEE10hipError_tPvRmT1_PNSt15iterator_traitsISV_E10value_typeET2_T3_PNSW_IS11_E10value_typeET4_jRbjT5_S17_jjP12ihipStream_tbEUljE_EEESS_ST_SU_S11_S15_S17_T6_T7_T9_mT8_S19_bDpT10_ENKUlT_T0_E_clISt17integral_constantIbLb1EES1L_IbLb0EEEEDaS1H_S1I_EUlS1H_E_NS1_11comp_targetILNS1_3genE3ELNS1_11target_archE908ELNS1_3gpuE7ELNS1_3repE0EEENS1_30default_config_static_selectorELNS0_4arch9wavefront6targetE1EEEvSV_.kd
    .uniform_work_group_size: 1
    .uses_dynamic_stack: false
    .vgpr_count:     0
    .vgpr_spill_count: 0
    .wavefront_size: 64
  - .args:
      - .offset:         0
        .size:           144
        .value_kind:     by_value
    .group_segment_fixed_size: 0
    .kernarg_segment_align: 8
    .kernarg_segment_size: 144
    .language:       OpenCL C
    .language_version:
      - 2
      - 0
    .max_flat_workgroup_size: 256
    .name:           _ZN7rocprim17ROCPRIM_400000_NS6detail17trampoline_kernelINS0_13select_configILj256ELj13ELNS0_17block_load_methodE3ELS4_3ELS4_3ELNS0_20block_scan_algorithmE0ELj4294967295EEENS1_25partition_config_selectorILNS1_17partition_subalgoE3EjNS0_10empty_typeEbEEZZNS1_14partition_implILS8_3ELb0ES6_jNS0_17counting_iteratorIjlEEPS9_SE_NS0_5tupleIJPjSE_EEENSF_IJSE_SE_EEES9_SG_JZNS1_25segmented_radix_sort_implINS0_14default_configELb1EPKlPlSM_SN_N2at6native12_GLOBAL__N_18offset_tEEE10hipError_tPvRmT1_PNSt15iterator_traitsISV_E10value_typeET2_T3_PNSW_IS11_E10value_typeET4_jRbjT5_S17_jjP12ihipStream_tbEUljE_EEESS_ST_SU_S11_S15_S17_T6_T7_T9_mT8_S19_bDpT10_ENKUlT_T0_E_clISt17integral_constantIbLb1EES1L_IbLb0EEEEDaS1H_S1I_EUlS1H_E_NS1_11comp_targetILNS1_3genE2ELNS1_11target_archE906ELNS1_3gpuE6ELNS1_3repE0EEENS1_30default_config_static_selectorELNS0_4arch9wavefront6targetE1EEEvSV_
    .private_segment_fixed_size: 0
    .sgpr_count:     4
    .sgpr_spill_count: 0
    .symbol:         _ZN7rocprim17ROCPRIM_400000_NS6detail17trampoline_kernelINS0_13select_configILj256ELj13ELNS0_17block_load_methodE3ELS4_3ELS4_3ELNS0_20block_scan_algorithmE0ELj4294967295EEENS1_25partition_config_selectorILNS1_17partition_subalgoE3EjNS0_10empty_typeEbEEZZNS1_14partition_implILS8_3ELb0ES6_jNS0_17counting_iteratorIjlEEPS9_SE_NS0_5tupleIJPjSE_EEENSF_IJSE_SE_EEES9_SG_JZNS1_25segmented_radix_sort_implINS0_14default_configELb1EPKlPlSM_SN_N2at6native12_GLOBAL__N_18offset_tEEE10hipError_tPvRmT1_PNSt15iterator_traitsISV_E10value_typeET2_T3_PNSW_IS11_E10value_typeET4_jRbjT5_S17_jjP12ihipStream_tbEUljE_EEESS_ST_SU_S11_S15_S17_T6_T7_T9_mT8_S19_bDpT10_ENKUlT_T0_E_clISt17integral_constantIbLb1EES1L_IbLb0EEEEDaS1H_S1I_EUlS1H_E_NS1_11comp_targetILNS1_3genE2ELNS1_11target_archE906ELNS1_3gpuE6ELNS1_3repE0EEENS1_30default_config_static_selectorELNS0_4arch9wavefront6targetE1EEEvSV_.kd
    .uniform_work_group_size: 1
    .uses_dynamic_stack: false
    .vgpr_count:     0
    .vgpr_spill_count: 0
    .wavefront_size: 64
  - .args:
      - .offset:         0
        .size:           144
        .value_kind:     by_value
    .group_segment_fixed_size: 0
    .kernarg_segment_align: 8
    .kernarg_segment_size: 144
    .language:       OpenCL C
    .language_version:
      - 2
      - 0
    .max_flat_workgroup_size: 256
    .name:           _ZN7rocprim17ROCPRIM_400000_NS6detail17trampoline_kernelINS0_13select_configILj256ELj13ELNS0_17block_load_methodE3ELS4_3ELS4_3ELNS0_20block_scan_algorithmE0ELj4294967295EEENS1_25partition_config_selectorILNS1_17partition_subalgoE3EjNS0_10empty_typeEbEEZZNS1_14partition_implILS8_3ELb0ES6_jNS0_17counting_iteratorIjlEEPS9_SE_NS0_5tupleIJPjSE_EEENSF_IJSE_SE_EEES9_SG_JZNS1_25segmented_radix_sort_implINS0_14default_configELb1EPKlPlSM_SN_N2at6native12_GLOBAL__N_18offset_tEEE10hipError_tPvRmT1_PNSt15iterator_traitsISV_E10value_typeET2_T3_PNSW_IS11_E10value_typeET4_jRbjT5_S17_jjP12ihipStream_tbEUljE_EEESS_ST_SU_S11_S15_S17_T6_T7_T9_mT8_S19_bDpT10_ENKUlT_T0_E_clISt17integral_constantIbLb1EES1L_IbLb0EEEEDaS1H_S1I_EUlS1H_E_NS1_11comp_targetILNS1_3genE10ELNS1_11target_archE1200ELNS1_3gpuE4ELNS1_3repE0EEENS1_30default_config_static_selectorELNS0_4arch9wavefront6targetE1EEEvSV_
    .private_segment_fixed_size: 0
    .sgpr_count:     4
    .sgpr_spill_count: 0
    .symbol:         _ZN7rocprim17ROCPRIM_400000_NS6detail17trampoline_kernelINS0_13select_configILj256ELj13ELNS0_17block_load_methodE3ELS4_3ELS4_3ELNS0_20block_scan_algorithmE0ELj4294967295EEENS1_25partition_config_selectorILNS1_17partition_subalgoE3EjNS0_10empty_typeEbEEZZNS1_14partition_implILS8_3ELb0ES6_jNS0_17counting_iteratorIjlEEPS9_SE_NS0_5tupleIJPjSE_EEENSF_IJSE_SE_EEES9_SG_JZNS1_25segmented_radix_sort_implINS0_14default_configELb1EPKlPlSM_SN_N2at6native12_GLOBAL__N_18offset_tEEE10hipError_tPvRmT1_PNSt15iterator_traitsISV_E10value_typeET2_T3_PNSW_IS11_E10value_typeET4_jRbjT5_S17_jjP12ihipStream_tbEUljE_EEESS_ST_SU_S11_S15_S17_T6_T7_T9_mT8_S19_bDpT10_ENKUlT_T0_E_clISt17integral_constantIbLb1EES1L_IbLb0EEEEDaS1H_S1I_EUlS1H_E_NS1_11comp_targetILNS1_3genE10ELNS1_11target_archE1200ELNS1_3gpuE4ELNS1_3repE0EEENS1_30default_config_static_selectorELNS0_4arch9wavefront6targetE1EEEvSV_.kd
    .uniform_work_group_size: 1
    .uses_dynamic_stack: false
    .vgpr_count:     0
    .vgpr_spill_count: 0
    .wavefront_size: 64
  - .args:
      - .offset:         0
        .size:           144
        .value_kind:     by_value
    .group_segment_fixed_size: 0
    .kernarg_segment_align: 8
    .kernarg_segment_size: 144
    .language:       OpenCL C
    .language_version:
      - 2
      - 0
    .max_flat_workgroup_size: 256
    .name:           _ZN7rocprim17ROCPRIM_400000_NS6detail17trampoline_kernelINS0_13select_configILj256ELj13ELNS0_17block_load_methodE3ELS4_3ELS4_3ELNS0_20block_scan_algorithmE0ELj4294967295EEENS1_25partition_config_selectorILNS1_17partition_subalgoE3EjNS0_10empty_typeEbEEZZNS1_14partition_implILS8_3ELb0ES6_jNS0_17counting_iteratorIjlEEPS9_SE_NS0_5tupleIJPjSE_EEENSF_IJSE_SE_EEES9_SG_JZNS1_25segmented_radix_sort_implINS0_14default_configELb1EPKlPlSM_SN_N2at6native12_GLOBAL__N_18offset_tEEE10hipError_tPvRmT1_PNSt15iterator_traitsISV_E10value_typeET2_T3_PNSW_IS11_E10value_typeET4_jRbjT5_S17_jjP12ihipStream_tbEUljE_EEESS_ST_SU_S11_S15_S17_T6_T7_T9_mT8_S19_bDpT10_ENKUlT_T0_E_clISt17integral_constantIbLb1EES1L_IbLb0EEEEDaS1H_S1I_EUlS1H_E_NS1_11comp_targetILNS1_3genE9ELNS1_11target_archE1100ELNS1_3gpuE3ELNS1_3repE0EEENS1_30default_config_static_selectorELNS0_4arch9wavefront6targetE1EEEvSV_
    .private_segment_fixed_size: 0
    .sgpr_count:     4
    .sgpr_spill_count: 0
    .symbol:         _ZN7rocprim17ROCPRIM_400000_NS6detail17trampoline_kernelINS0_13select_configILj256ELj13ELNS0_17block_load_methodE3ELS4_3ELS4_3ELNS0_20block_scan_algorithmE0ELj4294967295EEENS1_25partition_config_selectorILNS1_17partition_subalgoE3EjNS0_10empty_typeEbEEZZNS1_14partition_implILS8_3ELb0ES6_jNS0_17counting_iteratorIjlEEPS9_SE_NS0_5tupleIJPjSE_EEENSF_IJSE_SE_EEES9_SG_JZNS1_25segmented_radix_sort_implINS0_14default_configELb1EPKlPlSM_SN_N2at6native12_GLOBAL__N_18offset_tEEE10hipError_tPvRmT1_PNSt15iterator_traitsISV_E10value_typeET2_T3_PNSW_IS11_E10value_typeET4_jRbjT5_S17_jjP12ihipStream_tbEUljE_EEESS_ST_SU_S11_S15_S17_T6_T7_T9_mT8_S19_bDpT10_ENKUlT_T0_E_clISt17integral_constantIbLb1EES1L_IbLb0EEEEDaS1H_S1I_EUlS1H_E_NS1_11comp_targetILNS1_3genE9ELNS1_11target_archE1100ELNS1_3gpuE3ELNS1_3repE0EEENS1_30default_config_static_selectorELNS0_4arch9wavefront6targetE1EEEvSV_.kd
    .uniform_work_group_size: 1
    .uses_dynamic_stack: false
    .vgpr_count:     0
    .vgpr_spill_count: 0
    .wavefront_size: 64
  - .args:
      - .offset:         0
        .size:           144
        .value_kind:     by_value
    .group_segment_fixed_size: 0
    .kernarg_segment_align: 8
    .kernarg_segment_size: 144
    .language:       OpenCL C
    .language_version:
      - 2
      - 0
    .max_flat_workgroup_size: 256
    .name:           _ZN7rocprim17ROCPRIM_400000_NS6detail17trampoline_kernelINS0_13select_configILj256ELj13ELNS0_17block_load_methodE3ELS4_3ELS4_3ELNS0_20block_scan_algorithmE0ELj4294967295EEENS1_25partition_config_selectorILNS1_17partition_subalgoE3EjNS0_10empty_typeEbEEZZNS1_14partition_implILS8_3ELb0ES6_jNS0_17counting_iteratorIjlEEPS9_SE_NS0_5tupleIJPjSE_EEENSF_IJSE_SE_EEES9_SG_JZNS1_25segmented_radix_sort_implINS0_14default_configELb1EPKlPlSM_SN_N2at6native12_GLOBAL__N_18offset_tEEE10hipError_tPvRmT1_PNSt15iterator_traitsISV_E10value_typeET2_T3_PNSW_IS11_E10value_typeET4_jRbjT5_S17_jjP12ihipStream_tbEUljE_EEESS_ST_SU_S11_S15_S17_T6_T7_T9_mT8_S19_bDpT10_ENKUlT_T0_E_clISt17integral_constantIbLb1EES1L_IbLb0EEEEDaS1H_S1I_EUlS1H_E_NS1_11comp_targetILNS1_3genE8ELNS1_11target_archE1030ELNS1_3gpuE2ELNS1_3repE0EEENS1_30default_config_static_selectorELNS0_4arch9wavefront6targetE1EEEvSV_
    .private_segment_fixed_size: 0
    .sgpr_count:     4
    .sgpr_spill_count: 0
    .symbol:         _ZN7rocprim17ROCPRIM_400000_NS6detail17trampoline_kernelINS0_13select_configILj256ELj13ELNS0_17block_load_methodE3ELS4_3ELS4_3ELNS0_20block_scan_algorithmE0ELj4294967295EEENS1_25partition_config_selectorILNS1_17partition_subalgoE3EjNS0_10empty_typeEbEEZZNS1_14partition_implILS8_3ELb0ES6_jNS0_17counting_iteratorIjlEEPS9_SE_NS0_5tupleIJPjSE_EEENSF_IJSE_SE_EEES9_SG_JZNS1_25segmented_radix_sort_implINS0_14default_configELb1EPKlPlSM_SN_N2at6native12_GLOBAL__N_18offset_tEEE10hipError_tPvRmT1_PNSt15iterator_traitsISV_E10value_typeET2_T3_PNSW_IS11_E10value_typeET4_jRbjT5_S17_jjP12ihipStream_tbEUljE_EEESS_ST_SU_S11_S15_S17_T6_T7_T9_mT8_S19_bDpT10_ENKUlT_T0_E_clISt17integral_constantIbLb1EES1L_IbLb0EEEEDaS1H_S1I_EUlS1H_E_NS1_11comp_targetILNS1_3genE8ELNS1_11target_archE1030ELNS1_3gpuE2ELNS1_3repE0EEENS1_30default_config_static_selectorELNS0_4arch9wavefront6targetE1EEEvSV_.kd
    .uniform_work_group_size: 1
    .uses_dynamic_stack: false
    .vgpr_count:     0
    .vgpr_spill_count: 0
    .wavefront_size: 64
  - .args:
      - .offset:         0
        .size:           152
        .value_kind:     by_value
    .group_segment_fixed_size: 0
    .kernarg_segment_align: 8
    .kernarg_segment_size: 152
    .language:       OpenCL C
    .language_version:
      - 2
      - 0
    .max_flat_workgroup_size: 256
    .name:           _ZN7rocprim17ROCPRIM_400000_NS6detail17trampoline_kernelINS0_13select_configILj256ELj13ELNS0_17block_load_methodE3ELS4_3ELS4_3ELNS0_20block_scan_algorithmE0ELj4294967295EEENS1_25partition_config_selectorILNS1_17partition_subalgoE3EjNS0_10empty_typeEbEEZZNS1_14partition_implILS8_3ELb0ES6_jNS0_17counting_iteratorIjlEEPS9_SE_NS0_5tupleIJPjSE_EEENSF_IJSE_SE_EEES9_SG_JZNS1_25segmented_radix_sort_implINS0_14default_configELb1EPKlPlSM_SN_N2at6native12_GLOBAL__N_18offset_tEEE10hipError_tPvRmT1_PNSt15iterator_traitsISV_E10value_typeET2_T3_PNSW_IS11_E10value_typeET4_jRbjT5_S17_jjP12ihipStream_tbEUljE_EEESS_ST_SU_S11_S15_S17_T6_T7_T9_mT8_S19_bDpT10_ENKUlT_T0_E_clISt17integral_constantIbLb0EES1L_IbLb1EEEEDaS1H_S1I_EUlS1H_E_NS1_11comp_targetILNS1_3genE0ELNS1_11target_archE4294967295ELNS1_3gpuE0ELNS1_3repE0EEENS1_30default_config_static_selectorELNS0_4arch9wavefront6targetE1EEEvSV_
    .private_segment_fixed_size: 0
    .sgpr_count:     4
    .sgpr_spill_count: 0
    .symbol:         _ZN7rocprim17ROCPRIM_400000_NS6detail17trampoline_kernelINS0_13select_configILj256ELj13ELNS0_17block_load_methodE3ELS4_3ELS4_3ELNS0_20block_scan_algorithmE0ELj4294967295EEENS1_25partition_config_selectorILNS1_17partition_subalgoE3EjNS0_10empty_typeEbEEZZNS1_14partition_implILS8_3ELb0ES6_jNS0_17counting_iteratorIjlEEPS9_SE_NS0_5tupleIJPjSE_EEENSF_IJSE_SE_EEES9_SG_JZNS1_25segmented_radix_sort_implINS0_14default_configELb1EPKlPlSM_SN_N2at6native12_GLOBAL__N_18offset_tEEE10hipError_tPvRmT1_PNSt15iterator_traitsISV_E10value_typeET2_T3_PNSW_IS11_E10value_typeET4_jRbjT5_S17_jjP12ihipStream_tbEUljE_EEESS_ST_SU_S11_S15_S17_T6_T7_T9_mT8_S19_bDpT10_ENKUlT_T0_E_clISt17integral_constantIbLb0EES1L_IbLb1EEEEDaS1H_S1I_EUlS1H_E_NS1_11comp_targetILNS1_3genE0ELNS1_11target_archE4294967295ELNS1_3gpuE0ELNS1_3repE0EEENS1_30default_config_static_selectorELNS0_4arch9wavefront6targetE1EEEvSV_.kd
    .uniform_work_group_size: 1
    .uses_dynamic_stack: false
    .vgpr_count:     0
    .vgpr_spill_count: 0
    .wavefront_size: 64
  - .args:
      - .offset:         0
        .size:           152
        .value_kind:     by_value
    .group_segment_fixed_size: 0
    .kernarg_segment_align: 8
    .kernarg_segment_size: 152
    .language:       OpenCL C
    .language_version:
      - 2
      - 0
    .max_flat_workgroup_size: 256
    .name:           _ZN7rocprim17ROCPRIM_400000_NS6detail17trampoline_kernelINS0_13select_configILj256ELj13ELNS0_17block_load_methodE3ELS4_3ELS4_3ELNS0_20block_scan_algorithmE0ELj4294967295EEENS1_25partition_config_selectorILNS1_17partition_subalgoE3EjNS0_10empty_typeEbEEZZNS1_14partition_implILS8_3ELb0ES6_jNS0_17counting_iteratorIjlEEPS9_SE_NS0_5tupleIJPjSE_EEENSF_IJSE_SE_EEES9_SG_JZNS1_25segmented_radix_sort_implINS0_14default_configELb1EPKlPlSM_SN_N2at6native12_GLOBAL__N_18offset_tEEE10hipError_tPvRmT1_PNSt15iterator_traitsISV_E10value_typeET2_T3_PNSW_IS11_E10value_typeET4_jRbjT5_S17_jjP12ihipStream_tbEUljE_EEESS_ST_SU_S11_S15_S17_T6_T7_T9_mT8_S19_bDpT10_ENKUlT_T0_E_clISt17integral_constantIbLb0EES1L_IbLb1EEEEDaS1H_S1I_EUlS1H_E_NS1_11comp_targetILNS1_3genE5ELNS1_11target_archE942ELNS1_3gpuE9ELNS1_3repE0EEENS1_30default_config_static_selectorELNS0_4arch9wavefront6targetE1EEEvSV_
    .private_segment_fixed_size: 0
    .sgpr_count:     4
    .sgpr_spill_count: 0
    .symbol:         _ZN7rocprim17ROCPRIM_400000_NS6detail17trampoline_kernelINS0_13select_configILj256ELj13ELNS0_17block_load_methodE3ELS4_3ELS4_3ELNS0_20block_scan_algorithmE0ELj4294967295EEENS1_25partition_config_selectorILNS1_17partition_subalgoE3EjNS0_10empty_typeEbEEZZNS1_14partition_implILS8_3ELb0ES6_jNS0_17counting_iteratorIjlEEPS9_SE_NS0_5tupleIJPjSE_EEENSF_IJSE_SE_EEES9_SG_JZNS1_25segmented_radix_sort_implINS0_14default_configELb1EPKlPlSM_SN_N2at6native12_GLOBAL__N_18offset_tEEE10hipError_tPvRmT1_PNSt15iterator_traitsISV_E10value_typeET2_T3_PNSW_IS11_E10value_typeET4_jRbjT5_S17_jjP12ihipStream_tbEUljE_EEESS_ST_SU_S11_S15_S17_T6_T7_T9_mT8_S19_bDpT10_ENKUlT_T0_E_clISt17integral_constantIbLb0EES1L_IbLb1EEEEDaS1H_S1I_EUlS1H_E_NS1_11comp_targetILNS1_3genE5ELNS1_11target_archE942ELNS1_3gpuE9ELNS1_3repE0EEENS1_30default_config_static_selectorELNS0_4arch9wavefront6targetE1EEEvSV_.kd
    .uniform_work_group_size: 1
    .uses_dynamic_stack: false
    .vgpr_count:     0
    .vgpr_spill_count: 0
    .wavefront_size: 64
  - .args:
      - .offset:         0
        .size:           152
        .value_kind:     by_value
    .group_segment_fixed_size: 0
    .kernarg_segment_align: 8
    .kernarg_segment_size: 152
    .language:       OpenCL C
    .language_version:
      - 2
      - 0
    .max_flat_workgroup_size: 256
    .name:           _ZN7rocprim17ROCPRIM_400000_NS6detail17trampoline_kernelINS0_13select_configILj256ELj13ELNS0_17block_load_methodE3ELS4_3ELS4_3ELNS0_20block_scan_algorithmE0ELj4294967295EEENS1_25partition_config_selectorILNS1_17partition_subalgoE3EjNS0_10empty_typeEbEEZZNS1_14partition_implILS8_3ELb0ES6_jNS0_17counting_iteratorIjlEEPS9_SE_NS0_5tupleIJPjSE_EEENSF_IJSE_SE_EEES9_SG_JZNS1_25segmented_radix_sort_implINS0_14default_configELb1EPKlPlSM_SN_N2at6native12_GLOBAL__N_18offset_tEEE10hipError_tPvRmT1_PNSt15iterator_traitsISV_E10value_typeET2_T3_PNSW_IS11_E10value_typeET4_jRbjT5_S17_jjP12ihipStream_tbEUljE_EEESS_ST_SU_S11_S15_S17_T6_T7_T9_mT8_S19_bDpT10_ENKUlT_T0_E_clISt17integral_constantIbLb0EES1L_IbLb1EEEEDaS1H_S1I_EUlS1H_E_NS1_11comp_targetILNS1_3genE4ELNS1_11target_archE910ELNS1_3gpuE8ELNS1_3repE0EEENS1_30default_config_static_selectorELNS0_4arch9wavefront6targetE1EEEvSV_
    .private_segment_fixed_size: 0
    .sgpr_count:     4
    .sgpr_spill_count: 0
    .symbol:         _ZN7rocprim17ROCPRIM_400000_NS6detail17trampoline_kernelINS0_13select_configILj256ELj13ELNS0_17block_load_methodE3ELS4_3ELS4_3ELNS0_20block_scan_algorithmE0ELj4294967295EEENS1_25partition_config_selectorILNS1_17partition_subalgoE3EjNS0_10empty_typeEbEEZZNS1_14partition_implILS8_3ELb0ES6_jNS0_17counting_iteratorIjlEEPS9_SE_NS0_5tupleIJPjSE_EEENSF_IJSE_SE_EEES9_SG_JZNS1_25segmented_radix_sort_implINS0_14default_configELb1EPKlPlSM_SN_N2at6native12_GLOBAL__N_18offset_tEEE10hipError_tPvRmT1_PNSt15iterator_traitsISV_E10value_typeET2_T3_PNSW_IS11_E10value_typeET4_jRbjT5_S17_jjP12ihipStream_tbEUljE_EEESS_ST_SU_S11_S15_S17_T6_T7_T9_mT8_S19_bDpT10_ENKUlT_T0_E_clISt17integral_constantIbLb0EES1L_IbLb1EEEEDaS1H_S1I_EUlS1H_E_NS1_11comp_targetILNS1_3genE4ELNS1_11target_archE910ELNS1_3gpuE8ELNS1_3repE0EEENS1_30default_config_static_selectorELNS0_4arch9wavefront6targetE1EEEvSV_.kd
    .uniform_work_group_size: 1
    .uses_dynamic_stack: false
    .vgpr_count:     0
    .vgpr_spill_count: 0
    .wavefront_size: 64
  - .args:
      - .offset:         0
        .size:           152
        .value_kind:     by_value
    .group_segment_fixed_size: 0
    .kernarg_segment_align: 8
    .kernarg_segment_size: 152
    .language:       OpenCL C
    .language_version:
      - 2
      - 0
    .max_flat_workgroup_size: 256
    .name:           _ZN7rocprim17ROCPRIM_400000_NS6detail17trampoline_kernelINS0_13select_configILj256ELj13ELNS0_17block_load_methodE3ELS4_3ELS4_3ELNS0_20block_scan_algorithmE0ELj4294967295EEENS1_25partition_config_selectorILNS1_17partition_subalgoE3EjNS0_10empty_typeEbEEZZNS1_14partition_implILS8_3ELb0ES6_jNS0_17counting_iteratorIjlEEPS9_SE_NS0_5tupleIJPjSE_EEENSF_IJSE_SE_EEES9_SG_JZNS1_25segmented_radix_sort_implINS0_14default_configELb1EPKlPlSM_SN_N2at6native12_GLOBAL__N_18offset_tEEE10hipError_tPvRmT1_PNSt15iterator_traitsISV_E10value_typeET2_T3_PNSW_IS11_E10value_typeET4_jRbjT5_S17_jjP12ihipStream_tbEUljE_EEESS_ST_SU_S11_S15_S17_T6_T7_T9_mT8_S19_bDpT10_ENKUlT_T0_E_clISt17integral_constantIbLb0EES1L_IbLb1EEEEDaS1H_S1I_EUlS1H_E_NS1_11comp_targetILNS1_3genE3ELNS1_11target_archE908ELNS1_3gpuE7ELNS1_3repE0EEENS1_30default_config_static_selectorELNS0_4arch9wavefront6targetE1EEEvSV_
    .private_segment_fixed_size: 0
    .sgpr_count:     4
    .sgpr_spill_count: 0
    .symbol:         _ZN7rocprim17ROCPRIM_400000_NS6detail17trampoline_kernelINS0_13select_configILj256ELj13ELNS0_17block_load_methodE3ELS4_3ELS4_3ELNS0_20block_scan_algorithmE0ELj4294967295EEENS1_25partition_config_selectorILNS1_17partition_subalgoE3EjNS0_10empty_typeEbEEZZNS1_14partition_implILS8_3ELb0ES6_jNS0_17counting_iteratorIjlEEPS9_SE_NS0_5tupleIJPjSE_EEENSF_IJSE_SE_EEES9_SG_JZNS1_25segmented_radix_sort_implINS0_14default_configELb1EPKlPlSM_SN_N2at6native12_GLOBAL__N_18offset_tEEE10hipError_tPvRmT1_PNSt15iterator_traitsISV_E10value_typeET2_T3_PNSW_IS11_E10value_typeET4_jRbjT5_S17_jjP12ihipStream_tbEUljE_EEESS_ST_SU_S11_S15_S17_T6_T7_T9_mT8_S19_bDpT10_ENKUlT_T0_E_clISt17integral_constantIbLb0EES1L_IbLb1EEEEDaS1H_S1I_EUlS1H_E_NS1_11comp_targetILNS1_3genE3ELNS1_11target_archE908ELNS1_3gpuE7ELNS1_3repE0EEENS1_30default_config_static_selectorELNS0_4arch9wavefront6targetE1EEEvSV_.kd
    .uniform_work_group_size: 1
    .uses_dynamic_stack: false
    .vgpr_count:     0
    .vgpr_spill_count: 0
    .wavefront_size: 64
  - .args:
      - .offset:         0
        .size:           152
        .value_kind:     by_value
    .group_segment_fixed_size: 13320
    .kernarg_segment_align: 8
    .kernarg_segment_size: 152
    .language:       OpenCL C
    .language_version:
      - 2
      - 0
    .max_flat_workgroup_size: 256
    .name:           _ZN7rocprim17ROCPRIM_400000_NS6detail17trampoline_kernelINS0_13select_configILj256ELj13ELNS0_17block_load_methodE3ELS4_3ELS4_3ELNS0_20block_scan_algorithmE0ELj4294967295EEENS1_25partition_config_selectorILNS1_17partition_subalgoE3EjNS0_10empty_typeEbEEZZNS1_14partition_implILS8_3ELb0ES6_jNS0_17counting_iteratorIjlEEPS9_SE_NS0_5tupleIJPjSE_EEENSF_IJSE_SE_EEES9_SG_JZNS1_25segmented_radix_sort_implINS0_14default_configELb1EPKlPlSM_SN_N2at6native12_GLOBAL__N_18offset_tEEE10hipError_tPvRmT1_PNSt15iterator_traitsISV_E10value_typeET2_T3_PNSW_IS11_E10value_typeET4_jRbjT5_S17_jjP12ihipStream_tbEUljE_EEESS_ST_SU_S11_S15_S17_T6_T7_T9_mT8_S19_bDpT10_ENKUlT_T0_E_clISt17integral_constantIbLb0EES1L_IbLb1EEEEDaS1H_S1I_EUlS1H_E_NS1_11comp_targetILNS1_3genE2ELNS1_11target_archE906ELNS1_3gpuE6ELNS1_3repE0EEENS1_30default_config_static_selectorELNS0_4arch9wavefront6targetE1EEEvSV_
    .private_segment_fixed_size: 0
    .sgpr_count:     50
    .sgpr_spill_count: 0
    .symbol:         _ZN7rocprim17ROCPRIM_400000_NS6detail17trampoline_kernelINS0_13select_configILj256ELj13ELNS0_17block_load_methodE3ELS4_3ELS4_3ELNS0_20block_scan_algorithmE0ELj4294967295EEENS1_25partition_config_selectorILNS1_17partition_subalgoE3EjNS0_10empty_typeEbEEZZNS1_14partition_implILS8_3ELb0ES6_jNS0_17counting_iteratorIjlEEPS9_SE_NS0_5tupleIJPjSE_EEENSF_IJSE_SE_EEES9_SG_JZNS1_25segmented_radix_sort_implINS0_14default_configELb1EPKlPlSM_SN_N2at6native12_GLOBAL__N_18offset_tEEE10hipError_tPvRmT1_PNSt15iterator_traitsISV_E10value_typeET2_T3_PNSW_IS11_E10value_typeET4_jRbjT5_S17_jjP12ihipStream_tbEUljE_EEESS_ST_SU_S11_S15_S17_T6_T7_T9_mT8_S19_bDpT10_ENKUlT_T0_E_clISt17integral_constantIbLb0EES1L_IbLb1EEEEDaS1H_S1I_EUlS1H_E_NS1_11comp_targetILNS1_3genE2ELNS1_11target_archE906ELNS1_3gpuE6ELNS1_3repE0EEENS1_30default_config_static_selectorELNS0_4arch9wavefront6targetE1EEEvSV_.kd
    .uniform_work_group_size: 1
    .uses_dynamic_stack: false
    .vgpr_count:     71
    .vgpr_spill_count: 0
    .wavefront_size: 64
  - .args:
      - .offset:         0
        .size:           152
        .value_kind:     by_value
    .group_segment_fixed_size: 0
    .kernarg_segment_align: 8
    .kernarg_segment_size: 152
    .language:       OpenCL C
    .language_version:
      - 2
      - 0
    .max_flat_workgroup_size: 256
    .name:           _ZN7rocprim17ROCPRIM_400000_NS6detail17trampoline_kernelINS0_13select_configILj256ELj13ELNS0_17block_load_methodE3ELS4_3ELS4_3ELNS0_20block_scan_algorithmE0ELj4294967295EEENS1_25partition_config_selectorILNS1_17partition_subalgoE3EjNS0_10empty_typeEbEEZZNS1_14partition_implILS8_3ELb0ES6_jNS0_17counting_iteratorIjlEEPS9_SE_NS0_5tupleIJPjSE_EEENSF_IJSE_SE_EEES9_SG_JZNS1_25segmented_radix_sort_implINS0_14default_configELb1EPKlPlSM_SN_N2at6native12_GLOBAL__N_18offset_tEEE10hipError_tPvRmT1_PNSt15iterator_traitsISV_E10value_typeET2_T3_PNSW_IS11_E10value_typeET4_jRbjT5_S17_jjP12ihipStream_tbEUljE_EEESS_ST_SU_S11_S15_S17_T6_T7_T9_mT8_S19_bDpT10_ENKUlT_T0_E_clISt17integral_constantIbLb0EES1L_IbLb1EEEEDaS1H_S1I_EUlS1H_E_NS1_11comp_targetILNS1_3genE10ELNS1_11target_archE1200ELNS1_3gpuE4ELNS1_3repE0EEENS1_30default_config_static_selectorELNS0_4arch9wavefront6targetE1EEEvSV_
    .private_segment_fixed_size: 0
    .sgpr_count:     4
    .sgpr_spill_count: 0
    .symbol:         _ZN7rocprim17ROCPRIM_400000_NS6detail17trampoline_kernelINS0_13select_configILj256ELj13ELNS0_17block_load_methodE3ELS4_3ELS4_3ELNS0_20block_scan_algorithmE0ELj4294967295EEENS1_25partition_config_selectorILNS1_17partition_subalgoE3EjNS0_10empty_typeEbEEZZNS1_14partition_implILS8_3ELb0ES6_jNS0_17counting_iteratorIjlEEPS9_SE_NS0_5tupleIJPjSE_EEENSF_IJSE_SE_EEES9_SG_JZNS1_25segmented_radix_sort_implINS0_14default_configELb1EPKlPlSM_SN_N2at6native12_GLOBAL__N_18offset_tEEE10hipError_tPvRmT1_PNSt15iterator_traitsISV_E10value_typeET2_T3_PNSW_IS11_E10value_typeET4_jRbjT5_S17_jjP12ihipStream_tbEUljE_EEESS_ST_SU_S11_S15_S17_T6_T7_T9_mT8_S19_bDpT10_ENKUlT_T0_E_clISt17integral_constantIbLb0EES1L_IbLb1EEEEDaS1H_S1I_EUlS1H_E_NS1_11comp_targetILNS1_3genE10ELNS1_11target_archE1200ELNS1_3gpuE4ELNS1_3repE0EEENS1_30default_config_static_selectorELNS0_4arch9wavefront6targetE1EEEvSV_.kd
    .uniform_work_group_size: 1
    .uses_dynamic_stack: false
    .vgpr_count:     0
    .vgpr_spill_count: 0
    .wavefront_size: 64
  - .args:
      - .offset:         0
        .size:           152
        .value_kind:     by_value
    .group_segment_fixed_size: 0
    .kernarg_segment_align: 8
    .kernarg_segment_size: 152
    .language:       OpenCL C
    .language_version:
      - 2
      - 0
    .max_flat_workgroup_size: 256
    .name:           _ZN7rocprim17ROCPRIM_400000_NS6detail17trampoline_kernelINS0_13select_configILj256ELj13ELNS0_17block_load_methodE3ELS4_3ELS4_3ELNS0_20block_scan_algorithmE0ELj4294967295EEENS1_25partition_config_selectorILNS1_17partition_subalgoE3EjNS0_10empty_typeEbEEZZNS1_14partition_implILS8_3ELb0ES6_jNS0_17counting_iteratorIjlEEPS9_SE_NS0_5tupleIJPjSE_EEENSF_IJSE_SE_EEES9_SG_JZNS1_25segmented_radix_sort_implINS0_14default_configELb1EPKlPlSM_SN_N2at6native12_GLOBAL__N_18offset_tEEE10hipError_tPvRmT1_PNSt15iterator_traitsISV_E10value_typeET2_T3_PNSW_IS11_E10value_typeET4_jRbjT5_S17_jjP12ihipStream_tbEUljE_EEESS_ST_SU_S11_S15_S17_T6_T7_T9_mT8_S19_bDpT10_ENKUlT_T0_E_clISt17integral_constantIbLb0EES1L_IbLb1EEEEDaS1H_S1I_EUlS1H_E_NS1_11comp_targetILNS1_3genE9ELNS1_11target_archE1100ELNS1_3gpuE3ELNS1_3repE0EEENS1_30default_config_static_selectorELNS0_4arch9wavefront6targetE1EEEvSV_
    .private_segment_fixed_size: 0
    .sgpr_count:     4
    .sgpr_spill_count: 0
    .symbol:         _ZN7rocprim17ROCPRIM_400000_NS6detail17trampoline_kernelINS0_13select_configILj256ELj13ELNS0_17block_load_methodE3ELS4_3ELS4_3ELNS0_20block_scan_algorithmE0ELj4294967295EEENS1_25partition_config_selectorILNS1_17partition_subalgoE3EjNS0_10empty_typeEbEEZZNS1_14partition_implILS8_3ELb0ES6_jNS0_17counting_iteratorIjlEEPS9_SE_NS0_5tupleIJPjSE_EEENSF_IJSE_SE_EEES9_SG_JZNS1_25segmented_radix_sort_implINS0_14default_configELb1EPKlPlSM_SN_N2at6native12_GLOBAL__N_18offset_tEEE10hipError_tPvRmT1_PNSt15iterator_traitsISV_E10value_typeET2_T3_PNSW_IS11_E10value_typeET4_jRbjT5_S17_jjP12ihipStream_tbEUljE_EEESS_ST_SU_S11_S15_S17_T6_T7_T9_mT8_S19_bDpT10_ENKUlT_T0_E_clISt17integral_constantIbLb0EES1L_IbLb1EEEEDaS1H_S1I_EUlS1H_E_NS1_11comp_targetILNS1_3genE9ELNS1_11target_archE1100ELNS1_3gpuE3ELNS1_3repE0EEENS1_30default_config_static_selectorELNS0_4arch9wavefront6targetE1EEEvSV_.kd
    .uniform_work_group_size: 1
    .uses_dynamic_stack: false
    .vgpr_count:     0
    .vgpr_spill_count: 0
    .wavefront_size: 64
  - .args:
      - .offset:         0
        .size:           152
        .value_kind:     by_value
    .group_segment_fixed_size: 0
    .kernarg_segment_align: 8
    .kernarg_segment_size: 152
    .language:       OpenCL C
    .language_version:
      - 2
      - 0
    .max_flat_workgroup_size: 256
    .name:           _ZN7rocprim17ROCPRIM_400000_NS6detail17trampoline_kernelINS0_13select_configILj256ELj13ELNS0_17block_load_methodE3ELS4_3ELS4_3ELNS0_20block_scan_algorithmE0ELj4294967295EEENS1_25partition_config_selectorILNS1_17partition_subalgoE3EjNS0_10empty_typeEbEEZZNS1_14partition_implILS8_3ELb0ES6_jNS0_17counting_iteratorIjlEEPS9_SE_NS0_5tupleIJPjSE_EEENSF_IJSE_SE_EEES9_SG_JZNS1_25segmented_radix_sort_implINS0_14default_configELb1EPKlPlSM_SN_N2at6native12_GLOBAL__N_18offset_tEEE10hipError_tPvRmT1_PNSt15iterator_traitsISV_E10value_typeET2_T3_PNSW_IS11_E10value_typeET4_jRbjT5_S17_jjP12ihipStream_tbEUljE_EEESS_ST_SU_S11_S15_S17_T6_T7_T9_mT8_S19_bDpT10_ENKUlT_T0_E_clISt17integral_constantIbLb0EES1L_IbLb1EEEEDaS1H_S1I_EUlS1H_E_NS1_11comp_targetILNS1_3genE8ELNS1_11target_archE1030ELNS1_3gpuE2ELNS1_3repE0EEENS1_30default_config_static_selectorELNS0_4arch9wavefront6targetE1EEEvSV_
    .private_segment_fixed_size: 0
    .sgpr_count:     4
    .sgpr_spill_count: 0
    .symbol:         _ZN7rocprim17ROCPRIM_400000_NS6detail17trampoline_kernelINS0_13select_configILj256ELj13ELNS0_17block_load_methodE3ELS4_3ELS4_3ELNS0_20block_scan_algorithmE0ELj4294967295EEENS1_25partition_config_selectorILNS1_17partition_subalgoE3EjNS0_10empty_typeEbEEZZNS1_14partition_implILS8_3ELb0ES6_jNS0_17counting_iteratorIjlEEPS9_SE_NS0_5tupleIJPjSE_EEENSF_IJSE_SE_EEES9_SG_JZNS1_25segmented_radix_sort_implINS0_14default_configELb1EPKlPlSM_SN_N2at6native12_GLOBAL__N_18offset_tEEE10hipError_tPvRmT1_PNSt15iterator_traitsISV_E10value_typeET2_T3_PNSW_IS11_E10value_typeET4_jRbjT5_S17_jjP12ihipStream_tbEUljE_EEESS_ST_SU_S11_S15_S17_T6_T7_T9_mT8_S19_bDpT10_ENKUlT_T0_E_clISt17integral_constantIbLb0EES1L_IbLb1EEEEDaS1H_S1I_EUlS1H_E_NS1_11comp_targetILNS1_3genE8ELNS1_11target_archE1030ELNS1_3gpuE2ELNS1_3repE0EEENS1_30default_config_static_selectorELNS0_4arch9wavefront6targetE1EEEvSV_.kd
    .uniform_work_group_size: 1
    .uses_dynamic_stack: false
    .vgpr_count:     0
    .vgpr_spill_count: 0
    .wavefront_size: 64
  - .args:
      - .offset:         0
        .size:           96
        .value_kind:     by_value
    .group_segment_fixed_size: 0
    .kernarg_segment_align: 8
    .kernarg_segment_size: 96
    .language:       OpenCL C
    .language_version:
      - 2
      - 0
    .max_flat_workgroup_size: 256
    .name:           _ZN7rocprim17ROCPRIM_400000_NS6detail17trampoline_kernelINS0_14default_configENS1_36segmented_radix_sort_config_selectorIllEEZNS1_25segmented_radix_sort_implIS3_Lb1EPKlPlS8_S9_N2at6native12_GLOBAL__N_18offset_tEEE10hipError_tPvRmT1_PNSt15iterator_traitsISH_E10value_typeET2_T3_PNSI_ISN_E10value_typeET4_jRbjT5_ST_jjP12ihipStream_tbEUlT_E_NS1_11comp_targetILNS1_3genE0ELNS1_11target_archE4294967295ELNS1_3gpuE0ELNS1_3repE0EEENS1_30default_config_static_selectorELNS0_4arch9wavefront6targetE1EEEvSH_
    .private_segment_fixed_size: 0
    .sgpr_count:     4
    .sgpr_spill_count: 0
    .symbol:         _ZN7rocprim17ROCPRIM_400000_NS6detail17trampoline_kernelINS0_14default_configENS1_36segmented_radix_sort_config_selectorIllEEZNS1_25segmented_radix_sort_implIS3_Lb1EPKlPlS8_S9_N2at6native12_GLOBAL__N_18offset_tEEE10hipError_tPvRmT1_PNSt15iterator_traitsISH_E10value_typeET2_T3_PNSI_ISN_E10value_typeET4_jRbjT5_ST_jjP12ihipStream_tbEUlT_E_NS1_11comp_targetILNS1_3genE0ELNS1_11target_archE4294967295ELNS1_3gpuE0ELNS1_3repE0EEENS1_30default_config_static_selectorELNS0_4arch9wavefront6targetE1EEEvSH_.kd
    .uniform_work_group_size: 1
    .uses_dynamic_stack: false
    .vgpr_count:     0
    .vgpr_spill_count: 0
    .wavefront_size: 64
  - .args:
      - .offset:         0
        .size:           96
        .value_kind:     by_value
    .group_segment_fixed_size: 0
    .kernarg_segment_align: 8
    .kernarg_segment_size: 96
    .language:       OpenCL C
    .language_version:
      - 2
      - 0
    .max_flat_workgroup_size: 256
    .name:           _ZN7rocprim17ROCPRIM_400000_NS6detail17trampoline_kernelINS0_14default_configENS1_36segmented_radix_sort_config_selectorIllEEZNS1_25segmented_radix_sort_implIS3_Lb1EPKlPlS8_S9_N2at6native12_GLOBAL__N_18offset_tEEE10hipError_tPvRmT1_PNSt15iterator_traitsISH_E10value_typeET2_T3_PNSI_ISN_E10value_typeET4_jRbjT5_ST_jjP12ihipStream_tbEUlT_E_NS1_11comp_targetILNS1_3genE5ELNS1_11target_archE942ELNS1_3gpuE9ELNS1_3repE0EEENS1_30default_config_static_selectorELNS0_4arch9wavefront6targetE1EEEvSH_
    .private_segment_fixed_size: 0
    .sgpr_count:     4
    .sgpr_spill_count: 0
    .symbol:         _ZN7rocprim17ROCPRIM_400000_NS6detail17trampoline_kernelINS0_14default_configENS1_36segmented_radix_sort_config_selectorIllEEZNS1_25segmented_radix_sort_implIS3_Lb1EPKlPlS8_S9_N2at6native12_GLOBAL__N_18offset_tEEE10hipError_tPvRmT1_PNSt15iterator_traitsISH_E10value_typeET2_T3_PNSI_ISN_E10value_typeET4_jRbjT5_ST_jjP12ihipStream_tbEUlT_E_NS1_11comp_targetILNS1_3genE5ELNS1_11target_archE942ELNS1_3gpuE9ELNS1_3repE0EEENS1_30default_config_static_selectorELNS0_4arch9wavefront6targetE1EEEvSH_.kd
    .uniform_work_group_size: 1
    .uses_dynamic_stack: false
    .vgpr_count:     0
    .vgpr_spill_count: 0
    .wavefront_size: 64
  - .args:
      - .offset:         0
        .size:           96
        .value_kind:     by_value
    .group_segment_fixed_size: 0
    .kernarg_segment_align: 8
    .kernarg_segment_size: 96
    .language:       OpenCL C
    .language_version:
      - 2
      - 0
    .max_flat_workgroup_size: 256
    .name:           _ZN7rocprim17ROCPRIM_400000_NS6detail17trampoline_kernelINS0_14default_configENS1_36segmented_radix_sort_config_selectorIllEEZNS1_25segmented_radix_sort_implIS3_Lb1EPKlPlS8_S9_N2at6native12_GLOBAL__N_18offset_tEEE10hipError_tPvRmT1_PNSt15iterator_traitsISH_E10value_typeET2_T3_PNSI_ISN_E10value_typeET4_jRbjT5_ST_jjP12ihipStream_tbEUlT_E_NS1_11comp_targetILNS1_3genE4ELNS1_11target_archE910ELNS1_3gpuE8ELNS1_3repE0EEENS1_30default_config_static_selectorELNS0_4arch9wavefront6targetE1EEEvSH_
    .private_segment_fixed_size: 0
    .sgpr_count:     4
    .sgpr_spill_count: 0
    .symbol:         _ZN7rocprim17ROCPRIM_400000_NS6detail17trampoline_kernelINS0_14default_configENS1_36segmented_radix_sort_config_selectorIllEEZNS1_25segmented_radix_sort_implIS3_Lb1EPKlPlS8_S9_N2at6native12_GLOBAL__N_18offset_tEEE10hipError_tPvRmT1_PNSt15iterator_traitsISH_E10value_typeET2_T3_PNSI_ISN_E10value_typeET4_jRbjT5_ST_jjP12ihipStream_tbEUlT_E_NS1_11comp_targetILNS1_3genE4ELNS1_11target_archE910ELNS1_3gpuE8ELNS1_3repE0EEENS1_30default_config_static_selectorELNS0_4arch9wavefront6targetE1EEEvSH_.kd
    .uniform_work_group_size: 1
    .uses_dynamic_stack: false
    .vgpr_count:     0
    .vgpr_spill_count: 0
    .wavefront_size: 64
  - .args:
      - .offset:         0
        .size:           96
        .value_kind:     by_value
    .group_segment_fixed_size: 0
    .kernarg_segment_align: 8
    .kernarg_segment_size: 96
    .language:       OpenCL C
    .language_version:
      - 2
      - 0
    .max_flat_workgroup_size: 256
    .name:           _ZN7rocprim17ROCPRIM_400000_NS6detail17trampoline_kernelINS0_14default_configENS1_36segmented_radix_sort_config_selectorIllEEZNS1_25segmented_radix_sort_implIS3_Lb1EPKlPlS8_S9_N2at6native12_GLOBAL__N_18offset_tEEE10hipError_tPvRmT1_PNSt15iterator_traitsISH_E10value_typeET2_T3_PNSI_ISN_E10value_typeET4_jRbjT5_ST_jjP12ihipStream_tbEUlT_E_NS1_11comp_targetILNS1_3genE3ELNS1_11target_archE908ELNS1_3gpuE7ELNS1_3repE0EEENS1_30default_config_static_selectorELNS0_4arch9wavefront6targetE1EEEvSH_
    .private_segment_fixed_size: 0
    .sgpr_count:     4
    .sgpr_spill_count: 0
    .symbol:         _ZN7rocprim17ROCPRIM_400000_NS6detail17trampoline_kernelINS0_14default_configENS1_36segmented_radix_sort_config_selectorIllEEZNS1_25segmented_radix_sort_implIS3_Lb1EPKlPlS8_S9_N2at6native12_GLOBAL__N_18offset_tEEE10hipError_tPvRmT1_PNSt15iterator_traitsISH_E10value_typeET2_T3_PNSI_ISN_E10value_typeET4_jRbjT5_ST_jjP12ihipStream_tbEUlT_E_NS1_11comp_targetILNS1_3genE3ELNS1_11target_archE908ELNS1_3gpuE7ELNS1_3repE0EEENS1_30default_config_static_selectorELNS0_4arch9wavefront6targetE1EEEvSH_.kd
    .uniform_work_group_size: 1
    .uses_dynamic_stack: false
    .vgpr_count:     0
    .vgpr_spill_count: 0
    .wavefront_size: 64
  - .args:
      - .offset:         0
        .size:           96
        .value_kind:     by_value
      - .offset:         96
        .size:           4
        .value_kind:     hidden_block_count_x
      - .offset:         100
        .size:           4
        .value_kind:     hidden_block_count_y
      - .offset:         104
        .size:           4
        .value_kind:     hidden_block_count_z
      - .offset:         108
        .size:           2
        .value_kind:     hidden_group_size_x
      - .offset:         110
        .size:           2
        .value_kind:     hidden_group_size_y
      - .offset:         112
        .size:           2
        .value_kind:     hidden_group_size_z
      - .offset:         114
        .size:           2
        .value_kind:     hidden_remainder_x
      - .offset:         116
        .size:           2
        .value_kind:     hidden_remainder_y
      - .offset:         118
        .size:           2
        .value_kind:     hidden_remainder_z
      - .offset:         136
        .size:           8
        .value_kind:     hidden_global_offset_x
      - .offset:         144
        .size:           8
        .value_kind:     hidden_global_offset_y
      - .offset:         152
        .size:           8
        .value_kind:     hidden_global_offset_z
      - .offset:         160
        .size:           2
        .value_kind:     hidden_grid_dims
    .group_segment_fixed_size: 33288
    .kernarg_segment_align: 8
    .kernarg_segment_size: 352
    .language:       OpenCL C
    .language_version:
      - 2
      - 0
    .max_flat_workgroup_size: 256
    .name:           _ZN7rocprim17ROCPRIM_400000_NS6detail17trampoline_kernelINS0_14default_configENS1_36segmented_radix_sort_config_selectorIllEEZNS1_25segmented_radix_sort_implIS3_Lb1EPKlPlS8_S9_N2at6native12_GLOBAL__N_18offset_tEEE10hipError_tPvRmT1_PNSt15iterator_traitsISH_E10value_typeET2_T3_PNSI_ISN_E10value_typeET4_jRbjT5_ST_jjP12ihipStream_tbEUlT_E_NS1_11comp_targetILNS1_3genE2ELNS1_11target_archE906ELNS1_3gpuE6ELNS1_3repE0EEENS1_30default_config_static_selectorELNS0_4arch9wavefront6targetE1EEEvSH_
    .private_segment_fixed_size: 160
    .sgpr_count:     104
    .sgpr_spill_count: 3
    .symbol:         _ZN7rocprim17ROCPRIM_400000_NS6detail17trampoline_kernelINS0_14default_configENS1_36segmented_radix_sort_config_selectorIllEEZNS1_25segmented_radix_sort_implIS3_Lb1EPKlPlS8_S9_N2at6native12_GLOBAL__N_18offset_tEEE10hipError_tPvRmT1_PNSt15iterator_traitsISH_E10value_typeET2_T3_PNSI_ISN_E10value_typeET4_jRbjT5_ST_jjP12ihipStream_tbEUlT_E_NS1_11comp_targetILNS1_3genE2ELNS1_11target_archE906ELNS1_3gpuE6ELNS1_3repE0EEENS1_30default_config_static_selectorELNS0_4arch9wavefront6targetE1EEEvSH_.kd
    .uniform_work_group_size: 1
    .uses_dynamic_stack: false
    .vgpr_count:     248
    .vgpr_spill_count: 0
    .wavefront_size: 64
  - .args:
      - .offset:         0
        .size:           96
        .value_kind:     by_value
    .group_segment_fixed_size: 0
    .kernarg_segment_align: 8
    .kernarg_segment_size: 96
    .language:       OpenCL C
    .language_version:
      - 2
      - 0
    .max_flat_workgroup_size: 256
    .name:           _ZN7rocprim17ROCPRIM_400000_NS6detail17trampoline_kernelINS0_14default_configENS1_36segmented_radix_sort_config_selectorIllEEZNS1_25segmented_radix_sort_implIS3_Lb1EPKlPlS8_S9_N2at6native12_GLOBAL__N_18offset_tEEE10hipError_tPvRmT1_PNSt15iterator_traitsISH_E10value_typeET2_T3_PNSI_ISN_E10value_typeET4_jRbjT5_ST_jjP12ihipStream_tbEUlT_E_NS1_11comp_targetILNS1_3genE10ELNS1_11target_archE1201ELNS1_3gpuE5ELNS1_3repE0EEENS1_30default_config_static_selectorELNS0_4arch9wavefront6targetE1EEEvSH_
    .private_segment_fixed_size: 0
    .sgpr_count:     4
    .sgpr_spill_count: 0
    .symbol:         _ZN7rocprim17ROCPRIM_400000_NS6detail17trampoline_kernelINS0_14default_configENS1_36segmented_radix_sort_config_selectorIllEEZNS1_25segmented_radix_sort_implIS3_Lb1EPKlPlS8_S9_N2at6native12_GLOBAL__N_18offset_tEEE10hipError_tPvRmT1_PNSt15iterator_traitsISH_E10value_typeET2_T3_PNSI_ISN_E10value_typeET4_jRbjT5_ST_jjP12ihipStream_tbEUlT_E_NS1_11comp_targetILNS1_3genE10ELNS1_11target_archE1201ELNS1_3gpuE5ELNS1_3repE0EEENS1_30default_config_static_selectorELNS0_4arch9wavefront6targetE1EEEvSH_.kd
    .uniform_work_group_size: 1
    .uses_dynamic_stack: false
    .vgpr_count:     0
    .vgpr_spill_count: 0
    .wavefront_size: 64
  - .args:
      - .offset:         0
        .size:           96
        .value_kind:     by_value
    .group_segment_fixed_size: 0
    .kernarg_segment_align: 8
    .kernarg_segment_size: 96
    .language:       OpenCL C
    .language_version:
      - 2
      - 0
    .max_flat_workgroup_size: 128
    .name:           _ZN7rocprim17ROCPRIM_400000_NS6detail17trampoline_kernelINS0_14default_configENS1_36segmented_radix_sort_config_selectorIllEEZNS1_25segmented_radix_sort_implIS3_Lb1EPKlPlS8_S9_N2at6native12_GLOBAL__N_18offset_tEEE10hipError_tPvRmT1_PNSt15iterator_traitsISH_E10value_typeET2_T3_PNSI_ISN_E10value_typeET4_jRbjT5_ST_jjP12ihipStream_tbEUlT_E_NS1_11comp_targetILNS1_3genE10ELNS1_11target_archE1200ELNS1_3gpuE4ELNS1_3repE0EEENS1_30default_config_static_selectorELNS0_4arch9wavefront6targetE1EEEvSH_
    .private_segment_fixed_size: 0
    .sgpr_count:     4
    .sgpr_spill_count: 0
    .symbol:         _ZN7rocprim17ROCPRIM_400000_NS6detail17trampoline_kernelINS0_14default_configENS1_36segmented_radix_sort_config_selectorIllEEZNS1_25segmented_radix_sort_implIS3_Lb1EPKlPlS8_S9_N2at6native12_GLOBAL__N_18offset_tEEE10hipError_tPvRmT1_PNSt15iterator_traitsISH_E10value_typeET2_T3_PNSI_ISN_E10value_typeET4_jRbjT5_ST_jjP12ihipStream_tbEUlT_E_NS1_11comp_targetILNS1_3genE10ELNS1_11target_archE1200ELNS1_3gpuE4ELNS1_3repE0EEENS1_30default_config_static_selectorELNS0_4arch9wavefront6targetE1EEEvSH_.kd
    .uniform_work_group_size: 1
    .uses_dynamic_stack: false
    .vgpr_count:     0
    .vgpr_spill_count: 0
    .wavefront_size: 64
  - .args:
      - .offset:         0
        .size:           96
        .value_kind:     by_value
    .group_segment_fixed_size: 0
    .kernarg_segment_align: 8
    .kernarg_segment_size: 96
    .language:       OpenCL C
    .language_version:
      - 2
      - 0
    .max_flat_workgroup_size: 256
    .name:           _ZN7rocprim17ROCPRIM_400000_NS6detail17trampoline_kernelINS0_14default_configENS1_36segmented_radix_sort_config_selectorIllEEZNS1_25segmented_radix_sort_implIS3_Lb1EPKlPlS8_S9_N2at6native12_GLOBAL__N_18offset_tEEE10hipError_tPvRmT1_PNSt15iterator_traitsISH_E10value_typeET2_T3_PNSI_ISN_E10value_typeET4_jRbjT5_ST_jjP12ihipStream_tbEUlT_E_NS1_11comp_targetILNS1_3genE9ELNS1_11target_archE1100ELNS1_3gpuE3ELNS1_3repE0EEENS1_30default_config_static_selectorELNS0_4arch9wavefront6targetE1EEEvSH_
    .private_segment_fixed_size: 0
    .sgpr_count:     4
    .sgpr_spill_count: 0
    .symbol:         _ZN7rocprim17ROCPRIM_400000_NS6detail17trampoline_kernelINS0_14default_configENS1_36segmented_radix_sort_config_selectorIllEEZNS1_25segmented_radix_sort_implIS3_Lb1EPKlPlS8_S9_N2at6native12_GLOBAL__N_18offset_tEEE10hipError_tPvRmT1_PNSt15iterator_traitsISH_E10value_typeET2_T3_PNSI_ISN_E10value_typeET4_jRbjT5_ST_jjP12ihipStream_tbEUlT_E_NS1_11comp_targetILNS1_3genE9ELNS1_11target_archE1100ELNS1_3gpuE3ELNS1_3repE0EEENS1_30default_config_static_selectorELNS0_4arch9wavefront6targetE1EEEvSH_.kd
    .uniform_work_group_size: 1
    .uses_dynamic_stack: false
    .vgpr_count:     0
    .vgpr_spill_count: 0
    .wavefront_size: 64
  - .args:
      - .offset:         0
        .size:           96
        .value_kind:     by_value
    .group_segment_fixed_size: 0
    .kernarg_segment_align: 8
    .kernarg_segment_size: 96
    .language:       OpenCL C
    .language_version:
      - 2
      - 0
    .max_flat_workgroup_size: 256
    .name:           _ZN7rocprim17ROCPRIM_400000_NS6detail17trampoline_kernelINS0_14default_configENS1_36segmented_radix_sort_config_selectorIllEEZNS1_25segmented_radix_sort_implIS3_Lb1EPKlPlS8_S9_N2at6native12_GLOBAL__N_18offset_tEEE10hipError_tPvRmT1_PNSt15iterator_traitsISH_E10value_typeET2_T3_PNSI_ISN_E10value_typeET4_jRbjT5_ST_jjP12ihipStream_tbEUlT_E_NS1_11comp_targetILNS1_3genE8ELNS1_11target_archE1030ELNS1_3gpuE2ELNS1_3repE0EEENS1_30default_config_static_selectorELNS0_4arch9wavefront6targetE1EEEvSH_
    .private_segment_fixed_size: 0
    .sgpr_count:     4
    .sgpr_spill_count: 0
    .symbol:         _ZN7rocprim17ROCPRIM_400000_NS6detail17trampoline_kernelINS0_14default_configENS1_36segmented_radix_sort_config_selectorIllEEZNS1_25segmented_radix_sort_implIS3_Lb1EPKlPlS8_S9_N2at6native12_GLOBAL__N_18offset_tEEE10hipError_tPvRmT1_PNSt15iterator_traitsISH_E10value_typeET2_T3_PNSI_ISN_E10value_typeET4_jRbjT5_ST_jjP12ihipStream_tbEUlT_E_NS1_11comp_targetILNS1_3genE8ELNS1_11target_archE1030ELNS1_3gpuE2ELNS1_3repE0EEENS1_30default_config_static_selectorELNS0_4arch9wavefront6targetE1EEEvSH_.kd
    .uniform_work_group_size: 1
    .uses_dynamic_stack: false
    .vgpr_count:     0
    .vgpr_spill_count: 0
    .wavefront_size: 64
  - .args:
      - .offset:         0
        .size:           88
        .value_kind:     by_value
    .group_segment_fixed_size: 0
    .kernarg_segment_align: 8
    .kernarg_segment_size: 88
    .language:       OpenCL C
    .language_version:
      - 2
      - 0
    .max_flat_workgroup_size: 256
    .name:           _ZN7rocprim17ROCPRIM_400000_NS6detail17trampoline_kernelINS0_14default_configENS1_36segmented_radix_sort_config_selectorIllEEZNS1_25segmented_radix_sort_implIS3_Lb1EPKlPlS8_S9_N2at6native12_GLOBAL__N_18offset_tEEE10hipError_tPvRmT1_PNSt15iterator_traitsISH_E10value_typeET2_T3_PNSI_ISN_E10value_typeET4_jRbjT5_ST_jjP12ihipStream_tbEUlT_E0_NS1_11comp_targetILNS1_3genE0ELNS1_11target_archE4294967295ELNS1_3gpuE0ELNS1_3repE0EEENS1_60segmented_radix_sort_warp_sort_medium_config_static_selectorELNS0_4arch9wavefront6targetE1EEEvSH_
    .private_segment_fixed_size: 0
    .sgpr_count:     4
    .sgpr_spill_count: 0
    .symbol:         _ZN7rocprim17ROCPRIM_400000_NS6detail17trampoline_kernelINS0_14default_configENS1_36segmented_radix_sort_config_selectorIllEEZNS1_25segmented_radix_sort_implIS3_Lb1EPKlPlS8_S9_N2at6native12_GLOBAL__N_18offset_tEEE10hipError_tPvRmT1_PNSt15iterator_traitsISH_E10value_typeET2_T3_PNSI_ISN_E10value_typeET4_jRbjT5_ST_jjP12ihipStream_tbEUlT_E0_NS1_11comp_targetILNS1_3genE0ELNS1_11target_archE4294967295ELNS1_3gpuE0ELNS1_3repE0EEENS1_60segmented_radix_sort_warp_sort_medium_config_static_selectorELNS0_4arch9wavefront6targetE1EEEvSH_.kd
    .uniform_work_group_size: 1
    .uses_dynamic_stack: false
    .vgpr_count:     0
    .vgpr_spill_count: 0
    .wavefront_size: 64
  - .args:
      - .offset:         0
        .size:           88
        .value_kind:     by_value
    .group_segment_fixed_size: 0
    .kernarg_segment_align: 8
    .kernarg_segment_size: 88
    .language:       OpenCL C
    .language_version:
      - 2
      - 0
    .max_flat_workgroup_size: 256
    .name:           _ZN7rocprim17ROCPRIM_400000_NS6detail17trampoline_kernelINS0_14default_configENS1_36segmented_radix_sort_config_selectorIllEEZNS1_25segmented_radix_sort_implIS3_Lb1EPKlPlS8_S9_N2at6native12_GLOBAL__N_18offset_tEEE10hipError_tPvRmT1_PNSt15iterator_traitsISH_E10value_typeET2_T3_PNSI_ISN_E10value_typeET4_jRbjT5_ST_jjP12ihipStream_tbEUlT_E0_NS1_11comp_targetILNS1_3genE5ELNS1_11target_archE942ELNS1_3gpuE9ELNS1_3repE0EEENS1_60segmented_radix_sort_warp_sort_medium_config_static_selectorELNS0_4arch9wavefront6targetE1EEEvSH_
    .private_segment_fixed_size: 0
    .sgpr_count:     4
    .sgpr_spill_count: 0
    .symbol:         _ZN7rocprim17ROCPRIM_400000_NS6detail17trampoline_kernelINS0_14default_configENS1_36segmented_radix_sort_config_selectorIllEEZNS1_25segmented_radix_sort_implIS3_Lb1EPKlPlS8_S9_N2at6native12_GLOBAL__N_18offset_tEEE10hipError_tPvRmT1_PNSt15iterator_traitsISH_E10value_typeET2_T3_PNSI_ISN_E10value_typeET4_jRbjT5_ST_jjP12ihipStream_tbEUlT_E0_NS1_11comp_targetILNS1_3genE5ELNS1_11target_archE942ELNS1_3gpuE9ELNS1_3repE0EEENS1_60segmented_radix_sort_warp_sort_medium_config_static_selectorELNS0_4arch9wavefront6targetE1EEEvSH_.kd
    .uniform_work_group_size: 1
    .uses_dynamic_stack: false
    .vgpr_count:     0
    .vgpr_spill_count: 0
    .wavefront_size: 64
  - .args:
      - .offset:         0
        .size:           88
        .value_kind:     by_value
    .group_segment_fixed_size: 0
    .kernarg_segment_align: 8
    .kernarg_segment_size: 88
    .language:       OpenCL C
    .language_version:
      - 2
      - 0
    .max_flat_workgroup_size: 256
    .name:           _ZN7rocprim17ROCPRIM_400000_NS6detail17trampoline_kernelINS0_14default_configENS1_36segmented_radix_sort_config_selectorIllEEZNS1_25segmented_radix_sort_implIS3_Lb1EPKlPlS8_S9_N2at6native12_GLOBAL__N_18offset_tEEE10hipError_tPvRmT1_PNSt15iterator_traitsISH_E10value_typeET2_T3_PNSI_ISN_E10value_typeET4_jRbjT5_ST_jjP12ihipStream_tbEUlT_E0_NS1_11comp_targetILNS1_3genE4ELNS1_11target_archE910ELNS1_3gpuE8ELNS1_3repE0EEENS1_60segmented_radix_sort_warp_sort_medium_config_static_selectorELNS0_4arch9wavefront6targetE1EEEvSH_
    .private_segment_fixed_size: 0
    .sgpr_count:     4
    .sgpr_spill_count: 0
    .symbol:         _ZN7rocprim17ROCPRIM_400000_NS6detail17trampoline_kernelINS0_14default_configENS1_36segmented_radix_sort_config_selectorIllEEZNS1_25segmented_radix_sort_implIS3_Lb1EPKlPlS8_S9_N2at6native12_GLOBAL__N_18offset_tEEE10hipError_tPvRmT1_PNSt15iterator_traitsISH_E10value_typeET2_T3_PNSI_ISN_E10value_typeET4_jRbjT5_ST_jjP12ihipStream_tbEUlT_E0_NS1_11comp_targetILNS1_3genE4ELNS1_11target_archE910ELNS1_3gpuE8ELNS1_3repE0EEENS1_60segmented_radix_sort_warp_sort_medium_config_static_selectorELNS0_4arch9wavefront6targetE1EEEvSH_.kd
    .uniform_work_group_size: 1
    .uses_dynamic_stack: false
    .vgpr_count:     0
    .vgpr_spill_count: 0
    .wavefront_size: 64
  - .args:
      - .offset:         0
        .size:           88
        .value_kind:     by_value
    .group_segment_fixed_size: 0
    .kernarg_segment_align: 8
    .kernarg_segment_size: 88
    .language:       OpenCL C
    .language_version:
      - 2
      - 0
    .max_flat_workgroup_size: 256
    .name:           _ZN7rocprim17ROCPRIM_400000_NS6detail17trampoline_kernelINS0_14default_configENS1_36segmented_radix_sort_config_selectorIllEEZNS1_25segmented_radix_sort_implIS3_Lb1EPKlPlS8_S9_N2at6native12_GLOBAL__N_18offset_tEEE10hipError_tPvRmT1_PNSt15iterator_traitsISH_E10value_typeET2_T3_PNSI_ISN_E10value_typeET4_jRbjT5_ST_jjP12ihipStream_tbEUlT_E0_NS1_11comp_targetILNS1_3genE3ELNS1_11target_archE908ELNS1_3gpuE7ELNS1_3repE0EEENS1_60segmented_radix_sort_warp_sort_medium_config_static_selectorELNS0_4arch9wavefront6targetE1EEEvSH_
    .private_segment_fixed_size: 0
    .sgpr_count:     4
    .sgpr_spill_count: 0
    .symbol:         _ZN7rocprim17ROCPRIM_400000_NS6detail17trampoline_kernelINS0_14default_configENS1_36segmented_radix_sort_config_selectorIllEEZNS1_25segmented_radix_sort_implIS3_Lb1EPKlPlS8_S9_N2at6native12_GLOBAL__N_18offset_tEEE10hipError_tPvRmT1_PNSt15iterator_traitsISH_E10value_typeET2_T3_PNSI_ISN_E10value_typeET4_jRbjT5_ST_jjP12ihipStream_tbEUlT_E0_NS1_11comp_targetILNS1_3genE3ELNS1_11target_archE908ELNS1_3gpuE7ELNS1_3repE0EEENS1_60segmented_radix_sort_warp_sort_medium_config_static_selectorELNS0_4arch9wavefront6targetE1EEEvSH_.kd
    .uniform_work_group_size: 1
    .uses_dynamic_stack: false
    .vgpr_count:     0
    .vgpr_spill_count: 0
    .wavefront_size: 64
  - .args:
      - .offset:         0
        .size:           88
        .value_kind:     by_value
      - .offset:         88
        .size:           4
        .value_kind:     hidden_block_count_x
      - .offset:         92
        .size:           4
        .value_kind:     hidden_block_count_y
      - .offset:         96
        .size:           4
        .value_kind:     hidden_block_count_z
      - .offset:         100
        .size:           2
        .value_kind:     hidden_group_size_x
      - .offset:         102
        .size:           2
        .value_kind:     hidden_group_size_y
      - .offset:         104
        .size:           2
        .value_kind:     hidden_group_size_z
      - .offset:         106
        .size:           2
        .value_kind:     hidden_remainder_x
      - .offset:         108
        .size:           2
        .value_kind:     hidden_remainder_y
      - .offset:         110
        .size:           2
        .value_kind:     hidden_remainder_z
      - .offset:         128
        .size:           8
        .value_kind:     hidden_global_offset_x
      - .offset:         136
        .size:           8
        .value_kind:     hidden_global_offset_y
      - .offset:         144
        .size:           8
        .value_kind:     hidden_global_offset_z
      - .offset:         152
        .size:           2
        .value_kind:     hidden_grid_dims
    .group_segment_fixed_size: 65536
    .kernarg_segment_align: 8
    .kernarg_segment_size: 344
    .language:       OpenCL C
    .language_version:
      - 2
      - 0
    .max_flat_workgroup_size: 256
    .name:           _ZN7rocprim17ROCPRIM_400000_NS6detail17trampoline_kernelINS0_14default_configENS1_36segmented_radix_sort_config_selectorIllEEZNS1_25segmented_radix_sort_implIS3_Lb1EPKlPlS8_S9_N2at6native12_GLOBAL__N_18offset_tEEE10hipError_tPvRmT1_PNSt15iterator_traitsISH_E10value_typeET2_T3_PNSI_ISN_E10value_typeET4_jRbjT5_ST_jjP12ihipStream_tbEUlT_E0_NS1_11comp_targetILNS1_3genE2ELNS1_11target_archE906ELNS1_3gpuE6ELNS1_3repE0EEENS1_60segmented_radix_sort_warp_sort_medium_config_static_selectorELNS0_4arch9wavefront6targetE1EEEvSH_
    .private_segment_fixed_size: 8
    .sgpr_count:     100
    .sgpr_spill_count: 0
    .symbol:         _ZN7rocprim17ROCPRIM_400000_NS6detail17trampoline_kernelINS0_14default_configENS1_36segmented_radix_sort_config_selectorIllEEZNS1_25segmented_radix_sort_implIS3_Lb1EPKlPlS8_S9_N2at6native12_GLOBAL__N_18offset_tEEE10hipError_tPvRmT1_PNSt15iterator_traitsISH_E10value_typeET2_T3_PNSI_ISN_E10value_typeET4_jRbjT5_ST_jjP12ihipStream_tbEUlT_E0_NS1_11comp_targetILNS1_3genE2ELNS1_11target_archE906ELNS1_3gpuE6ELNS1_3repE0EEENS1_60segmented_radix_sort_warp_sort_medium_config_static_selectorELNS0_4arch9wavefront6targetE1EEEvSH_.kd
    .uniform_work_group_size: 1
    .uses_dynamic_stack: false
    .vgpr_count:     166
    .vgpr_spill_count: 0
    .wavefront_size: 64
  - .args:
      - .offset:         0
        .size:           88
        .value_kind:     by_value
    .group_segment_fixed_size: 0
    .kernarg_segment_align: 8
    .kernarg_segment_size: 88
    .language:       OpenCL C
    .language_version:
      - 2
      - 0
    .max_flat_workgroup_size: 256
    .name:           _ZN7rocprim17ROCPRIM_400000_NS6detail17trampoline_kernelINS0_14default_configENS1_36segmented_radix_sort_config_selectorIllEEZNS1_25segmented_radix_sort_implIS3_Lb1EPKlPlS8_S9_N2at6native12_GLOBAL__N_18offset_tEEE10hipError_tPvRmT1_PNSt15iterator_traitsISH_E10value_typeET2_T3_PNSI_ISN_E10value_typeET4_jRbjT5_ST_jjP12ihipStream_tbEUlT_E0_NS1_11comp_targetILNS1_3genE10ELNS1_11target_archE1201ELNS1_3gpuE5ELNS1_3repE0EEENS1_60segmented_radix_sort_warp_sort_medium_config_static_selectorELNS0_4arch9wavefront6targetE1EEEvSH_
    .private_segment_fixed_size: 0
    .sgpr_count:     4
    .sgpr_spill_count: 0
    .symbol:         _ZN7rocprim17ROCPRIM_400000_NS6detail17trampoline_kernelINS0_14default_configENS1_36segmented_radix_sort_config_selectorIllEEZNS1_25segmented_radix_sort_implIS3_Lb1EPKlPlS8_S9_N2at6native12_GLOBAL__N_18offset_tEEE10hipError_tPvRmT1_PNSt15iterator_traitsISH_E10value_typeET2_T3_PNSI_ISN_E10value_typeET4_jRbjT5_ST_jjP12ihipStream_tbEUlT_E0_NS1_11comp_targetILNS1_3genE10ELNS1_11target_archE1201ELNS1_3gpuE5ELNS1_3repE0EEENS1_60segmented_radix_sort_warp_sort_medium_config_static_selectorELNS0_4arch9wavefront6targetE1EEEvSH_.kd
    .uniform_work_group_size: 1
    .uses_dynamic_stack: false
    .vgpr_count:     0
    .vgpr_spill_count: 0
    .wavefront_size: 64
  - .args:
      - .offset:         0
        .size:           88
        .value_kind:     by_value
    .group_segment_fixed_size: 0
    .kernarg_segment_align: 8
    .kernarg_segment_size: 88
    .language:       OpenCL C
    .language_version:
      - 2
      - 0
    .max_flat_workgroup_size: 256
    .name:           _ZN7rocprim17ROCPRIM_400000_NS6detail17trampoline_kernelINS0_14default_configENS1_36segmented_radix_sort_config_selectorIllEEZNS1_25segmented_radix_sort_implIS3_Lb1EPKlPlS8_S9_N2at6native12_GLOBAL__N_18offset_tEEE10hipError_tPvRmT1_PNSt15iterator_traitsISH_E10value_typeET2_T3_PNSI_ISN_E10value_typeET4_jRbjT5_ST_jjP12ihipStream_tbEUlT_E0_NS1_11comp_targetILNS1_3genE10ELNS1_11target_archE1200ELNS1_3gpuE4ELNS1_3repE0EEENS1_60segmented_radix_sort_warp_sort_medium_config_static_selectorELNS0_4arch9wavefront6targetE1EEEvSH_
    .private_segment_fixed_size: 0
    .sgpr_count:     4
    .sgpr_spill_count: 0
    .symbol:         _ZN7rocprim17ROCPRIM_400000_NS6detail17trampoline_kernelINS0_14default_configENS1_36segmented_radix_sort_config_selectorIllEEZNS1_25segmented_radix_sort_implIS3_Lb1EPKlPlS8_S9_N2at6native12_GLOBAL__N_18offset_tEEE10hipError_tPvRmT1_PNSt15iterator_traitsISH_E10value_typeET2_T3_PNSI_ISN_E10value_typeET4_jRbjT5_ST_jjP12ihipStream_tbEUlT_E0_NS1_11comp_targetILNS1_3genE10ELNS1_11target_archE1200ELNS1_3gpuE4ELNS1_3repE0EEENS1_60segmented_radix_sort_warp_sort_medium_config_static_selectorELNS0_4arch9wavefront6targetE1EEEvSH_.kd
    .uniform_work_group_size: 1
    .uses_dynamic_stack: false
    .vgpr_count:     0
    .vgpr_spill_count: 0
    .wavefront_size: 64
  - .args:
      - .offset:         0
        .size:           88
        .value_kind:     by_value
    .group_segment_fixed_size: 0
    .kernarg_segment_align: 8
    .kernarg_segment_size: 88
    .language:       OpenCL C
    .language_version:
      - 2
      - 0
    .max_flat_workgroup_size: 256
    .name:           _ZN7rocprim17ROCPRIM_400000_NS6detail17trampoline_kernelINS0_14default_configENS1_36segmented_radix_sort_config_selectorIllEEZNS1_25segmented_radix_sort_implIS3_Lb1EPKlPlS8_S9_N2at6native12_GLOBAL__N_18offset_tEEE10hipError_tPvRmT1_PNSt15iterator_traitsISH_E10value_typeET2_T3_PNSI_ISN_E10value_typeET4_jRbjT5_ST_jjP12ihipStream_tbEUlT_E0_NS1_11comp_targetILNS1_3genE9ELNS1_11target_archE1100ELNS1_3gpuE3ELNS1_3repE0EEENS1_60segmented_radix_sort_warp_sort_medium_config_static_selectorELNS0_4arch9wavefront6targetE1EEEvSH_
    .private_segment_fixed_size: 0
    .sgpr_count:     4
    .sgpr_spill_count: 0
    .symbol:         _ZN7rocprim17ROCPRIM_400000_NS6detail17trampoline_kernelINS0_14default_configENS1_36segmented_radix_sort_config_selectorIllEEZNS1_25segmented_radix_sort_implIS3_Lb1EPKlPlS8_S9_N2at6native12_GLOBAL__N_18offset_tEEE10hipError_tPvRmT1_PNSt15iterator_traitsISH_E10value_typeET2_T3_PNSI_ISN_E10value_typeET4_jRbjT5_ST_jjP12ihipStream_tbEUlT_E0_NS1_11comp_targetILNS1_3genE9ELNS1_11target_archE1100ELNS1_3gpuE3ELNS1_3repE0EEENS1_60segmented_radix_sort_warp_sort_medium_config_static_selectorELNS0_4arch9wavefront6targetE1EEEvSH_.kd
    .uniform_work_group_size: 1
    .uses_dynamic_stack: false
    .vgpr_count:     0
    .vgpr_spill_count: 0
    .wavefront_size: 64
  - .args:
      - .offset:         0
        .size:           88
        .value_kind:     by_value
    .group_segment_fixed_size: 0
    .kernarg_segment_align: 8
    .kernarg_segment_size: 88
    .language:       OpenCL C
    .language_version:
      - 2
      - 0
    .max_flat_workgroup_size: 256
    .name:           _ZN7rocprim17ROCPRIM_400000_NS6detail17trampoline_kernelINS0_14default_configENS1_36segmented_radix_sort_config_selectorIllEEZNS1_25segmented_radix_sort_implIS3_Lb1EPKlPlS8_S9_N2at6native12_GLOBAL__N_18offset_tEEE10hipError_tPvRmT1_PNSt15iterator_traitsISH_E10value_typeET2_T3_PNSI_ISN_E10value_typeET4_jRbjT5_ST_jjP12ihipStream_tbEUlT_E0_NS1_11comp_targetILNS1_3genE8ELNS1_11target_archE1030ELNS1_3gpuE2ELNS1_3repE0EEENS1_60segmented_radix_sort_warp_sort_medium_config_static_selectorELNS0_4arch9wavefront6targetE1EEEvSH_
    .private_segment_fixed_size: 0
    .sgpr_count:     4
    .sgpr_spill_count: 0
    .symbol:         _ZN7rocprim17ROCPRIM_400000_NS6detail17trampoline_kernelINS0_14default_configENS1_36segmented_radix_sort_config_selectorIllEEZNS1_25segmented_radix_sort_implIS3_Lb1EPKlPlS8_S9_N2at6native12_GLOBAL__N_18offset_tEEE10hipError_tPvRmT1_PNSt15iterator_traitsISH_E10value_typeET2_T3_PNSI_ISN_E10value_typeET4_jRbjT5_ST_jjP12ihipStream_tbEUlT_E0_NS1_11comp_targetILNS1_3genE8ELNS1_11target_archE1030ELNS1_3gpuE2ELNS1_3repE0EEENS1_60segmented_radix_sort_warp_sort_medium_config_static_selectorELNS0_4arch9wavefront6targetE1EEEvSH_.kd
    .uniform_work_group_size: 1
    .uses_dynamic_stack: false
    .vgpr_count:     0
    .vgpr_spill_count: 0
    .wavefront_size: 64
  - .args:
      - .offset:         0
        .size:           88
        .value_kind:     by_value
    .group_segment_fixed_size: 0
    .kernarg_segment_align: 8
    .kernarg_segment_size: 88
    .language:       OpenCL C
    .language_version:
      - 2
      - 0
    .max_flat_workgroup_size: 256
    .name:           _ZN7rocprim17ROCPRIM_400000_NS6detail17trampoline_kernelINS0_14default_configENS1_36segmented_radix_sort_config_selectorIllEEZNS1_25segmented_radix_sort_implIS3_Lb1EPKlPlS8_S9_N2at6native12_GLOBAL__N_18offset_tEEE10hipError_tPvRmT1_PNSt15iterator_traitsISH_E10value_typeET2_T3_PNSI_ISN_E10value_typeET4_jRbjT5_ST_jjP12ihipStream_tbEUlT_E1_NS1_11comp_targetILNS1_3genE0ELNS1_11target_archE4294967295ELNS1_3gpuE0ELNS1_3repE0EEENS1_59segmented_radix_sort_warp_sort_small_config_static_selectorELNS0_4arch9wavefront6targetE1EEEvSH_
    .private_segment_fixed_size: 0
    .sgpr_count:     4
    .sgpr_spill_count: 0
    .symbol:         _ZN7rocprim17ROCPRIM_400000_NS6detail17trampoline_kernelINS0_14default_configENS1_36segmented_radix_sort_config_selectorIllEEZNS1_25segmented_radix_sort_implIS3_Lb1EPKlPlS8_S9_N2at6native12_GLOBAL__N_18offset_tEEE10hipError_tPvRmT1_PNSt15iterator_traitsISH_E10value_typeET2_T3_PNSI_ISN_E10value_typeET4_jRbjT5_ST_jjP12ihipStream_tbEUlT_E1_NS1_11comp_targetILNS1_3genE0ELNS1_11target_archE4294967295ELNS1_3gpuE0ELNS1_3repE0EEENS1_59segmented_radix_sort_warp_sort_small_config_static_selectorELNS0_4arch9wavefront6targetE1EEEvSH_.kd
    .uniform_work_group_size: 1
    .uses_dynamic_stack: false
    .vgpr_count:     0
    .vgpr_spill_count: 0
    .wavefront_size: 64
  - .args:
      - .offset:         0
        .size:           88
        .value_kind:     by_value
    .group_segment_fixed_size: 0
    .kernarg_segment_align: 8
    .kernarg_segment_size: 88
    .language:       OpenCL C
    .language_version:
      - 2
      - 0
    .max_flat_workgroup_size: 256
    .name:           _ZN7rocprim17ROCPRIM_400000_NS6detail17trampoline_kernelINS0_14default_configENS1_36segmented_radix_sort_config_selectorIllEEZNS1_25segmented_radix_sort_implIS3_Lb1EPKlPlS8_S9_N2at6native12_GLOBAL__N_18offset_tEEE10hipError_tPvRmT1_PNSt15iterator_traitsISH_E10value_typeET2_T3_PNSI_ISN_E10value_typeET4_jRbjT5_ST_jjP12ihipStream_tbEUlT_E1_NS1_11comp_targetILNS1_3genE5ELNS1_11target_archE942ELNS1_3gpuE9ELNS1_3repE0EEENS1_59segmented_radix_sort_warp_sort_small_config_static_selectorELNS0_4arch9wavefront6targetE1EEEvSH_
    .private_segment_fixed_size: 0
    .sgpr_count:     4
    .sgpr_spill_count: 0
    .symbol:         _ZN7rocprim17ROCPRIM_400000_NS6detail17trampoline_kernelINS0_14default_configENS1_36segmented_radix_sort_config_selectorIllEEZNS1_25segmented_radix_sort_implIS3_Lb1EPKlPlS8_S9_N2at6native12_GLOBAL__N_18offset_tEEE10hipError_tPvRmT1_PNSt15iterator_traitsISH_E10value_typeET2_T3_PNSI_ISN_E10value_typeET4_jRbjT5_ST_jjP12ihipStream_tbEUlT_E1_NS1_11comp_targetILNS1_3genE5ELNS1_11target_archE942ELNS1_3gpuE9ELNS1_3repE0EEENS1_59segmented_radix_sort_warp_sort_small_config_static_selectorELNS0_4arch9wavefront6targetE1EEEvSH_.kd
    .uniform_work_group_size: 1
    .uses_dynamic_stack: false
    .vgpr_count:     0
    .vgpr_spill_count: 0
    .wavefront_size: 64
  - .args:
      - .offset:         0
        .size:           88
        .value_kind:     by_value
    .group_segment_fixed_size: 0
    .kernarg_segment_align: 8
    .kernarg_segment_size: 88
    .language:       OpenCL C
    .language_version:
      - 2
      - 0
    .max_flat_workgroup_size: 256
    .name:           _ZN7rocprim17ROCPRIM_400000_NS6detail17trampoline_kernelINS0_14default_configENS1_36segmented_radix_sort_config_selectorIllEEZNS1_25segmented_radix_sort_implIS3_Lb1EPKlPlS8_S9_N2at6native12_GLOBAL__N_18offset_tEEE10hipError_tPvRmT1_PNSt15iterator_traitsISH_E10value_typeET2_T3_PNSI_ISN_E10value_typeET4_jRbjT5_ST_jjP12ihipStream_tbEUlT_E1_NS1_11comp_targetILNS1_3genE4ELNS1_11target_archE910ELNS1_3gpuE8ELNS1_3repE0EEENS1_59segmented_radix_sort_warp_sort_small_config_static_selectorELNS0_4arch9wavefront6targetE1EEEvSH_
    .private_segment_fixed_size: 0
    .sgpr_count:     4
    .sgpr_spill_count: 0
    .symbol:         _ZN7rocprim17ROCPRIM_400000_NS6detail17trampoline_kernelINS0_14default_configENS1_36segmented_radix_sort_config_selectorIllEEZNS1_25segmented_radix_sort_implIS3_Lb1EPKlPlS8_S9_N2at6native12_GLOBAL__N_18offset_tEEE10hipError_tPvRmT1_PNSt15iterator_traitsISH_E10value_typeET2_T3_PNSI_ISN_E10value_typeET4_jRbjT5_ST_jjP12ihipStream_tbEUlT_E1_NS1_11comp_targetILNS1_3genE4ELNS1_11target_archE910ELNS1_3gpuE8ELNS1_3repE0EEENS1_59segmented_radix_sort_warp_sort_small_config_static_selectorELNS0_4arch9wavefront6targetE1EEEvSH_.kd
    .uniform_work_group_size: 1
    .uses_dynamic_stack: false
    .vgpr_count:     0
    .vgpr_spill_count: 0
    .wavefront_size: 64
  - .args:
      - .offset:         0
        .size:           88
        .value_kind:     by_value
    .group_segment_fixed_size: 0
    .kernarg_segment_align: 8
    .kernarg_segment_size: 88
    .language:       OpenCL C
    .language_version:
      - 2
      - 0
    .max_flat_workgroup_size: 256
    .name:           _ZN7rocprim17ROCPRIM_400000_NS6detail17trampoline_kernelINS0_14default_configENS1_36segmented_radix_sort_config_selectorIllEEZNS1_25segmented_radix_sort_implIS3_Lb1EPKlPlS8_S9_N2at6native12_GLOBAL__N_18offset_tEEE10hipError_tPvRmT1_PNSt15iterator_traitsISH_E10value_typeET2_T3_PNSI_ISN_E10value_typeET4_jRbjT5_ST_jjP12ihipStream_tbEUlT_E1_NS1_11comp_targetILNS1_3genE3ELNS1_11target_archE908ELNS1_3gpuE7ELNS1_3repE0EEENS1_59segmented_radix_sort_warp_sort_small_config_static_selectorELNS0_4arch9wavefront6targetE1EEEvSH_
    .private_segment_fixed_size: 0
    .sgpr_count:     4
    .sgpr_spill_count: 0
    .symbol:         _ZN7rocprim17ROCPRIM_400000_NS6detail17trampoline_kernelINS0_14default_configENS1_36segmented_radix_sort_config_selectorIllEEZNS1_25segmented_radix_sort_implIS3_Lb1EPKlPlS8_S9_N2at6native12_GLOBAL__N_18offset_tEEE10hipError_tPvRmT1_PNSt15iterator_traitsISH_E10value_typeET2_T3_PNSI_ISN_E10value_typeET4_jRbjT5_ST_jjP12ihipStream_tbEUlT_E1_NS1_11comp_targetILNS1_3genE3ELNS1_11target_archE908ELNS1_3gpuE7ELNS1_3repE0EEENS1_59segmented_radix_sort_warp_sort_small_config_static_selectorELNS0_4arch9wavefront6targetE1EEEvSH_.kd
    .uniform_work_group_size: 1
    .uses_dynamic_stack: false
    .vgpr_count:     0
    .vgpr_spill_count: 0
    .wavefront_size: 64
  - .args:
      - .offset:         0
        .size:           88
        .value_kind:     by_value
      - .offset:         88
        .size:           4
        .value_kind:     hidden_block_count_x
      - .offset:         92
        .size:           4
        .value_kind:     hidden_block_count_y
      - .offset:         96
        .size:           4
        .value_kind:     hidden_block_count_z
      - .offset:         100
        .size:           2
        .value_kind:     hidden_group_size_x
      - .offset:         102
        .size:           2
        .value_kind:     hidden_group_size_y
      - .offset:         104
        .size:           2
        .value_kind:     hidden_group_size_z
      - .offset:         106
        .size:           2
        .value_kind:     hidden_remainder_x
      - .offset:         108
        .size:           2
        .value_kind:     hidden_remainder_y
      - .offset:         110
        .size:           2
        .value_kind:     hidden_remainder_z
      - .offset:         128
        .size:           8
        .value_kind:     hidden_global_offset_x
      - .offset:         136
        .size:           8
        .value_kind:     hidden_global_offset_y
      - .offset:         144
        .size:           8
        .value_kind:     hidden_global_offset_z
      - .offset:         152
        .size:           2
        .value_kind:     hidden_grid_dims
    .group_segment_fixed_size: 32768
    .kernarg_segment_align: 8
    .kernarg_segment_size: 344
    .language:       OpenCL C
    .language_version:
      - 2
      - 0
    .max_flat_workgroup_size: 256
    .name:           _ZN7rocprim17ROCPRIM_400000_NS6detail17trampoline_kernelINS0_14default_configENS1_36segmented_radix_sort_config_selectorIllEEZNS1_25segmented_radix_sort_implIS3_Lb1EPKlPlS8_S9_N2at6native12_GLOBAL__N_18offset_tEEE10hipError_tPvRmT1_PNSt15iterator_traitsISH_E10value_typeET2_T3_PNSI_ISN_E10value_typeET4_jRbjT5_ST_jjP12ihipStream_tbEUlT_E1_NS1_11comp_targetILNS1_3genE2ELNS1_11target_archE906ELNS1_3gpuE6ELNS1_3repE0EEENS1_59segmented_radix_sort_warp_sort_small_config_static_selectorELNS0_4arch9wavefront6targetE1EEEvSH_
    .private_segment_fixed_size: 0
    .sgpr_count:     56
    .sgpr_spill_count: 0
    .symbol:         _ZN7rocprim17ROCPRIM_400000_NS6detail17trampoline_kernelINS0_14default_configENS1_36segmented_radix_sort_config_selectorIllEEZNS1_25segmented_radix_sort_implIS3_Lb1EPKlPlS8_S9_N2at6native12_GLOBAL__N_18offset_tEEE10hipError_tPvRmT1_PNSt15iterator_traitsISH_E10value_typeET2_T3_PNSI_ISN_E10value_typeET4_jRbjT5_ST_jjP12ihipStream_tbEUlT_E1_NS1_11comp_targetILNS1_3genE2ELNS1_11target_archE906ELNS1_3gpuE6ELNS1_3repE0EEENS1_59segmented_radix_sort_warp_sort_small_config_static_selectorELNS0_4arch9wavefront6targetE1EEEvSH_.kd
    .uniform_work_group_size: 1
    .uses_dynamic_stack: false
    .vgpr_count:     116
    .vgpr_spill_count: 0
    .wavefront_size: 64
  - .args:
      - .offset:         0
        .size:           88
        .value_kind:     by_value
    .group_segment_fixed_size: 0
    .kernarg_segment_align: 8
    .kernarg_segment_size: 88
    .language:       OpenCL C
    .language_version:
      - 2
      - 0
    .max_flat_workgroup_size: 256
    .name:           _ZN7rocprim17ROCPRIM_400000_NS6detail17trampoline_kernelINS0_14default_configENS1_36segmented_radix_sort_config_selectorIllEEZNS1_25segmented_radix_sort_implIS3_Lb1EPKlPlS8_S9_N2at6native12_GLOBAL__N_18offset_tEEE10hipError_tPvRmT1_PNSt15iterator_traitsISH_E10value_typeET2_T3_PNSI_ISN_E10value_typeET4_jRbjT5_ST_jjP12ihipStream_tbEUlT_E1_NS1_11comp_targetILNS1_3genE10ELNS1_11target_archE1201ELNS1_3gpuE5ELNS1_3repE0EEENS1_59segmented_radix_sort_warp_sort_small_config_static_selectorELNS0_4arch9wavefront6targetE1EEEvSH_
    .private_segment_fixed_size: 0
    .sgpr_count:     4
    .sgpr_spill_count: 0
    .symbol:         _ZN7rocprim17ROCPRIM_400000_NS6detail17trampoline_kernelINS0_14default_configENS1_36segmented_radix_sort_config_selectorIllEEZNS1_25segmented_radix_sort_implIS3_Lb1EPKlPlS8_S9_N2at6native12_GLOBAL__N_18offset_tEEE10hipError_tPvRmT1_PNSt15iterator_traitsISH_E10value_typeET2_T3_PNSI_ISN_E10value_typeET4_jRbjT5_ST_jjP12ihipStream_tbEUlT_E1_NS1_11comp_targetILNS1_3genE10ELNS1_11target_archE1201ELNS1_3gpuE5ELNS1_3repE0EEENS1_59segmented_radix_sort_warp_sort_small_config_static_selectorELNS0_4arch9wavefront6targetE1EEEvSH_.kd
    .uniform_work_group_size: 1
    .uses_dynamic_stack: false
    .vgpr_count:     0
    .vgpr_spill_count: 0
    .wavefront_size: 64
  - .args:
      - .offset:         0
        .size:           88
        .value_kind:     by_value
    .group_segment_fixed_size: 0
    .kernarg_segment_align: 8
    .kernarg_segment_size: 88
    .language:       OpenCL C
    .language_version:
      - 2
      - 0
    .max_flat_workgroup_size: 256
    .name:           _ZN7rocprim17ROCPRIM_400000_NS6detail17trampoline_kernelINS0_14default_configENS1_36segmented_radix_sort_config_selectorIllEEZNS1_25segmented_radix_sort_implIS3_Lb1EPKlPlS8_S9_N2at6native12_GLOBAL__N_18offset_tEEE10hipError_tPvRmT1_PNSt15iterator_traitsISH_E10value_typeET2_T3_PNSI_ISN_E10value_typeET4_jRbjT5_ST_jjP12ihipStream_tbEUlT_E1_NS1_11comp_targetILNS1_3genE10ELNS1_11target_archE1200ELNS1_3gpuE4ELNS1_3repE0EEENS1_59segmented_radix_sort_warp_sort_small_config_static_selectorELNS0_4arch9wavefront6targetE1EEEvSH_
    .private_segment_fixed_size: 0
    .sgpr_count:     4
    .sgpr_spill_count: 0
    .symbol:         _ZN7rocprim17ROCPRIM_400000_NS6detail17trampoline_kernelINS0_14default_configENS1_36segmented_radix_sort_config_selectorIllEEZNS1_25segmented_radix_sort_implIS3_Lb1EPKlPlS8_S9_N2at6native12_GLOBAL__N_18offset_tEEE10hipError_tPvRmT1_PNSt15iterator_traitsISH_E10value_typeET2_T3_PNSI_ISN_E10value_typeET4_jRbjT5_ST_jjP12ihipStream_tbEUlT_E1_NS1_11comp_targetILNS1_3genE10ELNS1_11target_archE1200ELNS1_3gpuE4ELNS1_3repE0EEENS1_59segmented_radix_sort_warp_sort_small_config_static_selectorELNS0_4arch9wavefront6targetE1EEEvSH_.kd
    .uniform_work_group_size: 1
    .uses_dynamic_stack: false
    .vgpr_count:     0
    .vgpr_spill_count: 0
    .wavefront_size: 64
  - .args:
      - .offset:         0
        .size:           88
        .value_kind:     by_value
    .group_segment_fixed_size: 0
    .kernarg_segment_align: 8
    .kernarg_segment_size: 88
    .language:       OpenCL C
    .language_version:
      - 2
      - 0
    .max_flat_workgroup_size: 256
    .name:           _ZN7rocprim17ROCPRIM_400000_NS6detail17trampoline_kernelINS0_14default_configENS1_36segmented_radix_sort_config_selectorIllEEZNS1_25segmented_radix_sort_implIS3_Lb1EPKlPlS8_S9_N2at6native12_GLOBAL__N_18offset_tEEE10hipError_tPvRmT1_PNSt15iterator_traitsISH_E10value_typeET2_T3_PNSI_ISN_E10value_typeET4_jRbjT5_ST_jjP12ihipStream_tbEUlT_E1_NS1_11comp_targetILNS1_3genE9ELNS1_11target_archE1100ELNS1_3gpuE3ELNS1_3repE0EEENS1_59segmented_radix_sort_warp_sort_small_config_static_selectorELNS0_4arch9wavefront6targetE1EEEvSH_
    .private_segment_fixed_size: 0
    .sgpr_count:     4
    .sgpr_spill_count: 0
    .symbol:         _ZN7rocprim17ROCPRIM_400000_NS6detail17trampoline_kernelINS0_14default_configENS1_36segmented_radix_sort_config_selectorIllEEZNS1_25segmented_radix_sort_implIS3_Lb1EPKlPlS8_S9_N2at6native12_GLOBAL__N_18offset_tEEE10hipError_tPvRmT1_PNSt15iterator_traitsISH_E10value_typeET2_T3_PNSI_ISN_E10value_typeET4_jRbjT5_ST_jjP12ihipStream_tbEUlT_E1_NS1_11comp_targetILNS1_3genE9ELNS1_11target_archE1100ELNS1_3gpuE3ELNS1_3repE0EEENS1_59segmented_radix_sort_warp_sort_small_config_static_selectorELNS0_4arch9wavefront6targetE1EEEvSH_.kd
    .uniform_work_group_size: 1
    .uses_dynamic_stack: false
    .vgpr_count:     0
    .vgpr_spill_count: 0
    .wavefront_size: 64
  - .args:
      - .offset:         0
        .size:           88
        .value_kind:     by_value
    .group_segment_fixed_size: 0
    .kernarg_segment_align: 8
    .kernarg_segment_size: 88
    .language:       OpenCL C
    .language_version:
      - 2
      - 0
    .max_flat_workgroup_size: 256
    .name:           _ZN7rocprim17ROCPRIM_400000_NS6detail17trampoline_kernelINS0_14default_configENS1_36segmented_radix_sort_config_selectorIllEEZNS1_25segmented_radix_sort_implIS3_Lb1EPKlPlS8_S9_N2at6native12_GLOBAL__N_18offset_tEEE10hipError_tPvRmT1_PNSt15iterator_traitsISH_E10value_typeET2_T3_PNSI_ISN_E10value_typeET4_jRbjT5_ST_jjP12ihipStream_tbEUlT_E1_NS1_11comp_targetILNS1_3genE8ELNS1_11target_archE1030ELNS1_3gpuE2ELNS1_3repE0EEENS1_59segmented_radix_sort_warp_sort_small_config_static_selectorELNS0_4arch9wavefront6targetE1EEEvSH_
    .private_segment_fixed_size: 0
    .sgpr_count:     4
    .sgpr_spill_count: 0
    .symbol:         _ZN7rocprim17ROCPRIM_400000_NS6detail17trampoline_kernelINS0_14default_configENS1_36segmented_radix_sort_config_selectorIllEEZNS1_25segmented_radix_sort_implIS3_Lb1EPKlPlS8_S9_N2at6native12_GLOBAL__N_18offset_tEEE10hipError_tPvRmT1_PNSt15iterator_traitsISH_E10value_typeET2_T3_PNSI_ISN_E10value_typeET4_jRbjT5_ST_jjP12ihipStream_tbEUlT_E1_NS1_11comp_targetILNS1_3genE8ELNS1_11target_archE1030ELNS1_3gpuE2ELNS1_3repE0EEENS1_59segmented_radix_sort_warp_sort_small_config_static_selectorELNS0_4arch9wavefront6targetE1EEEvSH_.kd
    .uniform_work_group_size: 1
    .uses_dynamic_stack: false
    .vgpr_count:     0
    .vgpr_spill_count: 0
    .wavefront_size: 64
  - .args:
      - .offset:         0
        .size:           80
        .value_kind:     by_value
    .group_segment_fixed_size: 0
    .kernarg_segment_align: 8
    .kernarg_segment_size: 80
    .language:       OpenCL C
    .language_version:
      - 2
      - 0
    .max_flat_workgroup_size: 256
    .name:           _ZN7rocprim17ROCPRIM_400000_NS6detail17trampoline_kernelINS0_14default_configENS1_36segmented_radix_sort_config_selectorIllEEZNS1_25segmented_radix_sort_implIS3_Lb1EPKlPlS8_S9_N2at6native12_GLOBAL__N_18offset_tEEE10hipError_tPvRmT1_PNSt15iterator_traitsISH_E10value_typeET2_T3_PNSI_ISN_E10value_typeET4_jRbjT5_ST_jjP12ihipStream_tbEUlT_E2_NS1_11comp_targetILNS1_3genE0ELNS1_11target_archE4294967295ELNS1_3gpuE0ELNS1_3repE0EEENS1_30default_config_static_selectorELNS0_4arch9wavefront6targetE1EEEvSH_
    .private_segment_fixed_size: 0
    .sgpr_count:     4
    .sgpr_spill_count: 0
    .symbol:         _ZN7rocprim17ROCPRIM_400000_NS6detail17trampoline_kernelINS0_14default_configENS1_36segmented_radix_sort_config_selectorIllEEZNS1_25segmented_radix_sort_implIS3_Lb1EPKlPlS8_S9_N2at6native12_GLOBAL__N_18offset_tEEE10hipError_tPvRmT1_PNSt15iterator_traitsISH_E10value_typeET2_T3_PNSI_ISN_E10value_typeET4_jRbjT5_ST_jjP12ihipStream_tbEUlT_E2_NS1_11comp_targetILNS1_3genE0ELNS1_11target_archE4294967295ELNS1_3gpuE0ELNS1_3repE0EEENS1_30default_config_static_selectorELNS0_4arch9wavefront6targetE1EEEvSH_.kd
    .uniform_work_group_size: 1
    .uses_dynamic_stack: false
    .vgpr_count:     0
    .vgpr_spill_count: 0
    .wavefront_size: 64
  - .args:
      - .offset:         0
        .size:           80
        .value_kind:     by_value
    .group_segment_fixed_size: 0
    .kernarg_segment_align: 8
    .kernarg_segment_size: 80
    .language:       OpenCL C
    .language_version:
      - 2
      - 0
    .max_flat_workgroup_size: 256
    .name:           _ZN7rocprim17ROCPRIM_400000_NS6detail17trampoline_kernelINS0_14default_configENS1_36segmented_radix_sort_config_selectorIllEEZNS1_25segmented_radix_sort_implIS3_Lb1EPKlPlS8_S9_N2at6native12_GLOBAL__N_18offset_tEEE10hipError_tPvRmT1_PNSt15iterator_traitsISH_E10value_typeET2_T3_PNSI_ISN_E10value_typeET4_jRbjT5_ST_jjP12ihipStream_tbEUlT_E2_NS1_11comp_targetILNS1_3genE5ELNS1_11target_archE942ELNS1_3gpuE9ELNS1_3repE0EEENS1_30default_config_static_selectorELNS0_4arch9wavefront6targetE1EEEvSH_
    .private_segment_fixed_size: 0
    .sgpr_count:     4
    .sgpr_spill_count: 0
    .symbol:         _ZN7rocprim17ROCPRIM_400000_NS6detail17trampoline_kernelINS0_14default_configENS1_36segmented_radix_sort_config_selectorIllEEZNS1_25segmented_radix_sort_implIS3_Lb1EPKlPlS8_S9_N2at6native12_GLOBAL__N_18offset_tEEE10hipError_tPvRmT1_PNSt15iterator_traitsISH_E10value_typeET2_T3_PNSI_ISN_E10value_typeET4_jRbjT5_ST_jjP12ihipStream_tbEUlT_E2_NS1_11comp_targetILNS1_3genE5ELNS1_11target_archE942ELNS1_3gpuE9ELNS1_3repE0EEENS1_30default_config_static_selectorELNS0_4arch9wavefront6targetE1EEEvSH_.kd
    .uniform_work_group_size: 1
    .uses_dynamic_stack: false
    .vgpr_count:     0
    .vgpr_spill_count: 0
    .wavefront_size: 64
  - .args:
      - .offset:         0
        .size:           80
        .value_kind:     by_value
    .group_segment_fixed_size: 0
    .kernarg_segment_align: 8
    .kernarg_segment_size: 80
    .language:       OpenCL C
    .language_version:
      - 2
      - 0
    .max_flat_workgroup_size: 256
    .name:           _ZN7rocprim17ROCPRIM_400000_NS6detail17trampoline_kernelINS0_14default_configENS1_36segmented_radix_sort_config_selectorIllEEZNS1_25segmented_radix_sort_implIS3_Lb1EPKlPlS8_S9_N2at6native12_GLOBAL__N_18offset_tEEE10hipError_tPvRmT1_PNSt15iterator_traitsISH_E10value_typeET2_T3_PNSI_ISN_E10value_typeET4_jRbjT5_ST_jjP12ihipStream_tbEUlT_E2_NS1_11comp_targetILNS1_3genE4ELNS1_11target_archE910ELNS1_3gpuE8ELNS1_3repE0EEENS1_30default_config_static_selectorELNS0_4arch9wavefront6targetE1EEEvSH_
    .private_segment_fixed_size: 0
    .sgpr_count:     4
    .sgpr_spill_count: 0
    .symbol:         _ZN7rocprim17ROCPRIM_400000_NS6detail17trampoline_kernelINS0_14default_configENS1_36segmented_radix_sort_config_selectorIllEEZNS1_25segmented_radix_sort_implIS3_Lb1EPKlPlS8_S9_N2at6native12_GLOBAL__N_18offset_tEEE10hipError_tPvRmT1_PNSt15iterator_traitsISH_E10value_typeET2_T3_PNSI_ISN_E10value_typeET4_jRbjT5_ST_jjP12ihipStream_tbEUlT_E2_NS1_11comp_targetILNS1_3genE4ELNS1_11target_archE910ELNS1_3gpuE8ELNS1_3repE0EEENS1_30default_config_static_selectorELNS0_4arch9wavefront6targetE1EEEvSH_.kd
    .uniform_work_group_size: 1
    .uses_dynamic_stack: false
    .vgpr_count:     0
    .vgpr_spill_count: 0
    .wavefront_size: 64
  - .args:
      - .offset:         0
        .size:           80
        .value_kind:     by_value
    .group_segment_fixed_size: 0
    .kernarg_segment_align: 8
    .kernarg_segment_size: 80
    .language:       OpenCL C
    .language_version:
      - 2
      - 0
    .max_flat_workgroup_size: 256
    .name:           _ZN7rocprim17ROCPRIM_400000_NS6detail17trampoline_kernelINS0_14default_configENS1_36segmented_radix_sort_config_selectorIllEEZNS1_25segmented_radix_sort_implIS3_Lb1EPKlPlS8_S9_N2at6native12_GLOBAL__N_18offset_tEEE10hipError_tPvRmT1_PNSt15iterator_traitsISH_E10value_typeET2_T3_PNSI_ISN_E10value_typeET4_jRbjT5_ST_jjP12ihipStream_tbEUlT_E2_NS1_11comp_targetILNS1_3genE3ELNS1_11target_archE908ELNS1_3gpuE7ELNS1_3repE0EEENS1_30default_config_static_selectorELNS0_4arch9wavefront6targetE1EEEvSH_
    .private_segment_fixed_size: 0
    .sgpr_count:     4
    .sgpr_spill_count: 0
    .symbol:         _ZN7rocprim17ROCPRIM_400000_NS6detail17trampoline_kernelINS0_14default_configENS1_36segmented_radix_sort_config_selectorIllEEZNS1_25segmented_radix_sort_implIS3_Lb1EPKlPlS8_S9_N2at6native12_GLOBAL__N_18offset_tEEE10hipError_tPvRmT1_PNSt15iterator_traitsISH_E10value_typeET2_T3_PNSI_ISN_E10value_typeET4_jRbjT5_ST_jjP12ihipStream_tbEUlT_E2_NS1_11comp_targetILNS1_3genE3ELNS1_11target_archE908ELNS1_3gpuE7ELNS1_3repE0EEENS1_30default_config_static_selectorELNS0_4arch9wavefront6targetE1EEEvSH_.kd
    .uniform_work_group_size: 1
    .uses_dynamic_stack: false
    .vgpr_count:     0
    .vgpr_spill_count: 0
    .wavefront_size: 64
  - .args:
      - .offset:         0
        .size:           80
        .value_kind:     by_value
      - .offset:         80
        .size:           4
        .value_kind:     hidden_block_count_x
      - .offset:         84
        .size:           4
        .value_kind:     hidden_block_count_y
      - .offset:         88
        .size:           4
        .value_kind:     hidden_block_count_z
      - .offset:         92
        .size:           2
        .value_kind:     hidden_group_size_x
      - .offset:         94
        .size:           2
        .value_kind:     hidden_group_size_y
      - .offset:         96
        .size:           2
        .value_kind:     hidden_group_size_z
      - .offset:         98
        .size:           2
        .value_kind:     hidden_remainder_x
      - .offset:         100
        .size:           2
        .value_kind:     hidden_remainder_y
      - .offset:         102
        .size:           2
        .value_kind:     hidden_remainder_z
      - .offset:         120
        .size:           8
        .value_kind:     hidden_global_offset_x
      - .offset:         128
        .size:           8
        .value_kind:     hidden_global_offset_y
      - .offset:         136
        .size:           8
        .value_kind:     hidden_global_offset_z
      - .offset:         144
        .size:           2
        .value_kind:     hidden_grid_dims
    .group_segment_fixed_size: 33288
    .kernarg_segment_align: 8
    .kernarg_segment_size: 336
    .language:       OpenCL C
    .language_version:
      - 2
      - 0
    .max_flat_workgroup_size: 256
    .name:           _ZN7rocprim17ROCPRIM_400000_NS6detail17trampoline_kernelINS0_14default_configENS1_36segmented_radix_sort_config_selectorIllEEZNS1_25segmented_radix_sort_implIS3_Lb1EPKlPlS8_S9_N2at6native12_GLOBAL__N_18offset_tEEE10hipError_tPvRmT1_PNSt15iterator_traitsISH_E10value_typeET2_T3_PNSI_ISN_E10value_typeET4_jRbjT5_ST_jjP12ihipStream_tbEUlT_E2_NS1_11comp_targetILNS1_3genE2ELNS1_11target_archE906ELNS1_3gpuE6ELNS1_3repE0EEENS1_30default_config_static_selectorELNS0_4arch9wavefront6targetE1EEEvSH_
    .private_segment_fixed_size: 160
    .sgpr_count:     104
    .sgpr_spill_count: 3
    .symbol:         _ZN7rocprim17ROCPRIM_400000_NS6detail17trampoline_kernelINS0_14default_configENS1_36segmented_radix_sort_config_selectorIllEEZNS1_25segmented_radix_sort_implIS3_Lb1EPKlPlS8_S9_N2at6native12_GLOBAL__N_18offset_tEEE10hipError_tPvRmT1_PNSt15iterator_traitsISH_E10value_typeET2_T3_PNSI_ISN_E10value_typeET4_jRbjT5_ST_jjP12ihipStream_tbEUlT_E2_NS1_11comp_targetILNS1_3genE2ELNS1_11target_archE906ELNS1_3gpuE6ELNS1_3repE0EEENS1_30default_config_static_selectorELNS0_4arch9wavefront6targetE1EEEvSH_.kd
    .uniform_work_group_size: 1
    .uses_dynamic_stack: false
    .vgpr_count:     248
    .vgpr_spill_count: 0
    .wavefront_size: 64
  - .args:
      - .offset:         0
        .size:           80
        .value_kind:     by_value
    .group_segment_fixed_size: 0
    .kernarg_segment_align: 8
    .kernarg_segment_size: 80
    .language:       OpenCL C
    .language_version:
      - 2
      - 0
    .max_flat_workgroup_size: 256
    .name:           _ZN7rocprim17ROCPRIM_400000_NS6detail17trampoline_kernelINS0_14default_configENS1_36segmented_radix_sort_config_selectorIllEEZNS1_25segmented_radix_sort_implIS3_Lb1EPKlPlS8_S9_N2at6native12_GLOBAL__N_18offset_tEEE10hipError_tPvRmT1_PNSt15iterator_traitsISH_E10value_typeET2_T3_PNSI_ISN_E10value_typeET4_jRbjT5_ST_jjP12ihipStream_tbEUlT_E2_NS1_11comp_targetILNS1_3genE10ELNS1_11target_archE1201ELNS1_3gpuE5ELNS1_3repE0EEENS1_30default_config_static_selectorELNS0_4arch9wavefront6targetE1EEEvSH_
    .private_segment_fixed_size: 0
    .sgpr_count:     4
    .sgpr_spill_count: 0
    .symbol:         _ZN7rocprim17ROCPRIM_400000_NS6detail17trampoline_kernelINS0_14default_configENS1_36segmented_radix_sort_config_selectorIllEEZNS1_25segmented_radix_sort_implIS3_Lb1EPKlPlS8_S9_N2at6native12_GLOBAL__N_18offset_tEEE10hipError_tPvRmT1_PNSt15iterator_traitsISH_E10value_typeET2_T3_PNSI_ISN_E10value_typeET4_jRbjT5_ST_jjP12ihipStream_tbEUlT_E2_NS1_11comp_targetILNS1_3genE10ELNS1_11target_archE1201ELNS1_3gpuE5ELNS1_3repE0EEENS1_30default_config_static_selectorELNS0_4arch9wavefront6targetE1EEEvSH_.kd
    .uniform_work_group_size: 1
    .uses_dynamic_stack: false
    .vgpr_count:     0
    .vgpr_spill_count: 0
    .wavefront_size: 64
  - .args:
      - .offset:         0
        .size:           80
        .value_kind:     by_value
    .group_segment_fixed_size: 0
    .kernarg_segment_align: 8
    .kernarg_segment_size: 80
    .language:       OpenCL C
    .language_version:
      - 2
      - 0
    .max_flat_workgroup_size: 128
    .name:           _ZN7rocprim17ROCPRIM_400000_NS6detail17trampoline_kernelINS0_14default_configENS1_36segmented_radix_sort_config_selectorIllEEZNS1_25segmented_radix_sort_implIS3_Lb1EPKlPlS8_S9_N2at6native12_GLOBAL__N_18offset_tEEE10hipError_tPvRmT1_PNSt15iterator_traitsISH_E10value_typeET2_T3_PNSI_ISN_E10value_typeET4_jRbjT5_ST_jjP12ihipStream_tbEUlT_E2_NS1_11comp_targetILNS1_3genE10ELNS1_11target_archE1200ELNS1_3gpuE4ELNS1_3repE0EEENS1_30default_config_static_selectorELNS0_4arch9wavefront6targetE1EEEvSH_
    .private_segment_fixed_size: 0
    .sgpr_count:     4
    .sgpr_spill_count: 0
    .symbol:         _ZN7rocprim17ROCPRIM_400000_NS6detail17trampoline_kernelINS0_14default_configENS1_36segmented_radix_sort_config_selectorIllEEZNS1_25segmented_radix_sort_implIS3_Lb1EPKlPlS8_S9_N2at6native12_GLOBAL__N_18offset_tEEE10hipError_tPvRmT1_PNSt15iterator_traitsISH_E10value_typeET2_T3_PNSI_ISN_E10value_typeET4_jRbjT5_ST_jjP12ihipStream_tbEUlT_E2_NS1_11comp_targetILNS1_3genE10ELNS1_11target_archE1200ELNS1_3gpuE4ELNS1_3repE0EEENS1_30default_config_static_selectorELNS0_4arch9wavefront6targetE1EEEvSH_.kd
    .uniform_work_group_size: 1
    .uses_dynamic_stack: false
    .vgpr_count:     0
    .vgpr_spill_count: 0
    .wavefront_size: 64
  - .args:
      - .offset:         0
        .size:           80
        .value_kind:     by_value
    .group_segment_fixed_size: 0
    .kernarg_segment_align: 8
    .kernarg_segment_size: 80
    .language:       OpenCL C
    .language_version:
      - 2
      - 0
    .max_flat_workgroup_size: 256
    .name:           _ZN7rocprim17ROCPRIM_400000_NS6detail17trampoline_kernelINS0_14default_configENS1_36segmented_radix_sort_config_selectorIllEEZNS1_25segmented_radix_sort_implIS3_Lb1EPKlPlS8_S9_N2at6native12_GLOBAL__N_18offset_tEEE10hipError_tPvRmT1_PNSt15iterator_traitsISH_E10value_typeET2_T3_PNSI_ISN_E10value_typeET4_jRbjT5_ST_jjP12ihipStream_tbEUlT_E2_NS1_11comp_targetILNS1_3genE9ELNS1_11target_archE1100ELNS1_3gpuE3ELNS1_3repE0EEENS1_30default_config_static_selectorELNS0_4arch9wavefront6targetE1EEEvSH_
    .private_segment_fixed_size: 0
    .sgpr_count:     4
    .sgpr_spill_count: 0
    .symbol:         _ZN7rocprim17ROCPRIM_400000_NS6detail17trampoline_kernelINS0_14default_configENS1_36segmented_radix_sort_config_selectorIllEEZNS1_25segmented_radix_sort_implIS3_Lb1EPKlPlS8_S9_N2at6native12_GLOBAL__N_18offset_tEEE10hipError_tPvRmT1_PNSt15iterator_traitsISH_E10value_typeET2_T3_PNSI_ISN_E10value_typeET4_jRbjT5_ST_jjP12ihipStream_tbEUlT_E2_NS1_11comp_targetILNS1_3genE9ELNS1_11target_archE1100ELNS1_3gpuE3ELNS1_3repE0EEENS1_30default_config_static_selectorELNS0_4arch9wavefront6targetE1EEEvSH_.kd
    .uniform_work_group_size: 1
    .uses_dynamic_stack: false
    .vgpr_count:     0
    .vgpr_spill_count: 0
    .wavefront_size: 64
  - .args:
      - .offset:         0
        .size:           80
        .value_kind:     by_value
    .group_segment_fixed_size: 0
    .kernarg_segment_align: 8
    .kernarg_segment_size: 80
    .language:       OpenCL C
    .language_version:
      - 2
      - 0
    .max_flat_workgroup_size: 256
    .name:           _ZN7rocprim17ROCPRIM_400000_NS6detail17trampoline_kernelINS0_14default_configENS1_36segmented_radix_sort_config_selectorIllEEZNS1_25segmented_radix_sort_implIS3_Lb1EPKlPlS8_S9_N2at6native12_GLOBAL__N_18offset_tEEE10hipError_tPvRmT1_PNSt15iterator_traitsISH_E10value_typeET2_T3_PNSI_ISN_E10value_typeET4_jRbjT5_ST_jjP12ihipStream_tbEUlT_E2_NS1_11comp_targetILNS1_3genE8ELNS1_11target_archE1030ELNS1_3gpuE2ELNS1_3repE0EEENS1_30default_config_static_selectorELNS0_4arch9wavefront6targetE1EEEvSH_
    .private_segment_fixed_size: 0
    .sgpr_count:     4
    .sgpr_spill_count: 0
    .symbol:         _ZN7rocprim17ROCPRIM_400000_NS6detail17trampoline_kernelINS0_14default_configENS1_36segmented_radix_sort_config_selectorIllEEZNS1_25segmented_radix_sort_implIS3_Lb1EPKlPlS8_S9_N2at6native12_GLOBAL__N_18offset_tEEE10hipError_tPvRmT1_PNSt15iterator_traitsISH_E10value_typeET2_T3_PNSI_ISN_E10value_typeET4_jRbjT5_ST_jjP12ihipStream_tbEUlT_E2_NS1_11comp_targetILNS1_3genE8ELNS1_11target_archE1030ELNS1_3gpuE2ELNS1_3repE0EEENS1_30default_config_static_selectorELNS0_4arch9wavefront6targetE1EEEvSH_.kd
    .uniform_work_group_size: 1
    .uses_dynamic_stack: false
    .vgpr_count:     0
    .vgpr_spill_count: 0
    .wavefront_size: 64
  - .args:
      - .offset:         0
        .size:           176
        .value_kind:     by_value
    .group_segment_fixed_size: 0
    .kernarg_segment_align: 8
    .kernarg_segment_size: 176
    .language:       OpenCL C
    .language_version:
      - 2
      - 0
    .max_flat_workgroup_size: 256
    .name:           _ZN7rocprim17ROCPRIM_400000_NS6detail17trampoline_kernelINS0_13select_configILj256ELj13ELNS0_17block_load_methodE3ELS4_3ELS4_3ELNS0_20block_scan_algorithmE0ELj4294967295EEENS1_25partition_config_selectorILNS1_17partition_subalgoE4EjNS0_10empty_typeEbEEZZNS1_14partition_implILS8_4ELb0ES6_15HIP_vector_typeIjLj2EENS0_17counting_iteratorIjlEEPS9_SG_NS0_5tupleIJPjSI_NS0_16reverse_iteratorISI_EEEEENSH_IJSG_SG_SG_EEES9_SI_JZNS1_25segmented_radix_sort_implINS0_14default_configELb0EPKlPlSQ_SR_N2at6native12_GLOBAL__N_18offset_tEEE10hipError_tPvRmT1_PNSt15iterator_traitsISZ_E10value_typeET2_T3_PNS10_IS15_E10value_typeET4_jRbjT5_S1B_jjP12ihipStream_tbEUljE_ZNSN_ISO_Lb0ESQ_SR_SQ_SR_SV_EESW_SX_SY_SZ_S13_S14_S15_S18_S19_jS1A_jS1B_S1B_jjS1D_bEUljE0_EEESW_SX_SY_S15_S19_S1B_T6_T7_T9_mT8_S1D_bDpT10_ENKUlT_T0_E_clISt17integral_constantIbLb0EES1R_EEDaS1M_S1N_EUlS1M_E_NS1_11comp_targetILNS1_3genE0ELNS1_11target_archE4294967295ELNS1_3gpuE0ELNS1_3repE0EEENS1_30default_config_static_selectorELNS0_4arch9wavefront6targetE1EEEvSZ_
    .private_segment_fixed_size: 0
    .sgpr_count:     4
    .sgpr_spill_count: 0
    .symbol:         _ZN7rocprim17ROCPRIM_400000_NS6detail17trampoline_kernelINS0_13select_configILj256ELj13ELNS0_17block_load_methodE3ELS4_3ELS4_3ELNS0_20block_scan_algorithmE0ELj4294967295EEENS1_25partition_config_selectorILNS1_17partition_subalgoE4EjNS0_10empty_typeEbEEZZNS1_14partition_implILS8_4ELb0ES6_15HIP_vector_typeIjLj2EENS0_17counting_iteratorIjlEEPS9_SG_NS0_5tupleIJPjSI_NS0_16reverse_iteratorISI_EEEEENSH_IJSG_SG_SG_EEES9_SI_JZNS1_25segmented_radix_sort_implINS0_14default_configELb0EPKlPlSQ_SR_N2at6native12_GLOBAL__N_18offset_tEEE10hipError_tPvRmT1_PNSt15iterator_traitsISZ_E10value_typeET2_T3_PNS10_IS15_E10value_typeET4_jRbjT5_S1B_jjP12ihipStream_tbEUljE_ZNSN_ISO_Lb0ESQ_SR_SQ_SR_SV_EESW_SX_SY_SZ_S13_S14_S15_S18_S19_jS1A_jS1B_S1B_jjS1D_bEUljE0_EEESW_SX_SY_S15_S19_S1B_T6_T7_T9_mT8_S1D_bDpT10_ENKUlT_T0_E_clISt17integral_constantIbLb0EES1R_EEDaS1M_S1N_EUlS1M_E_NS1_11comp_targetILNS1_3genE0ELNS1_11target_archE4294967295ELNS1_3gpuE0ELNS1_3repE0EEENS1_30default_config_static_selectorELNS0_4arch9wavefront6targetE1EEEvSZ_.kd
    .uniform_work_group_size: 1
    .uses_dynamic_stack: false
    .vgpr_count:     0
    .vgpr_spill_count: 0
    .wavefront_size: 64
  - .args:
      - .offset:         0
        .size:           176
        .value_kind:     by_value
    .group_segment_fixed_size: 0
    .kernarg_segment_align: 8
    .kernarg_segment_size: 176
    .language:       OpenCL C
    .language_version:
      - 2
      - 0
    .max_flat_workgroup_size: 256
    .name:           _ZN7rocprim17ROCPRIM_400000_NS6detail17trampoline_kernelINS0_13select_configILj256ELj13ELNS0_17block_load_methodE3ELS4_3ELS4_3ELNS0_20block_scan_algorithmE0ELj4294967295EEENS1_25partition_config_selectorILNS1_17partition_subalgoE4EjNS0_10empty_typeEbEEZZNS1_14partition_implILS8_4ELb0ES6_15HIP_vector_typeIjLj2EENS0_17counting_iteratorIjlEEPS9_SG_NS0_5tupleIJPjSI_NS0_16reverse_iteratorISI_EEEEENSH_IJSG_SG_SG_EEES9_SI_JZNS1_25segmented_radix_sort_implINS0_14default_configELb0EPKlPlSQ_SR_N2at6native12_GLOBAL__N_18offset_tEEE10hipError_tPvRmT1_PNSt15iterator_traitsISZ_E10value_typeET2_T3_PNS10_IS15_E10value_typeET4_jRbjT5_S1B_jjP12ihipStream_tbEUljE_ZNSN_ISO_Lb0ESQ_SR_SQ_SR_SV_EESW_SX_SY_SZ_S13_S14_S15_S18_S19_jS1A_jS1B_S1B_jjS1D_bEUljE0_EEESW_SX_SY_S15_S19_S1B_T6_T7_T9_mT8_S1D_bDpT10_ENKUlT_T0_E_clISt17integral_constantIbLb0EES1R_EEDaS1M_S1N_EUlS1M_E_NS1_11comp_targetILNS1_3genE5ELNS1_11target_archE942ELNS1_3gpuE9ELNS1_3repE0EEENS1_30default_config_static_selectorELNS0_4arch9wavefront6targetE1EEEvSZ_
    .private_segment_fixed_size: 0
    .sgpr_count:     4
    .sgpr_spill_count: 0
    .symbol:         _ZN7rocprim17ROCPRIM_400000_NS6detail17trampoline_kernelINS0_13select_configILj256ELj13ELNS0_17block_load_methodE3ELS4_3ELS4_3ELNS0_20block_scan_algorithmE0ELj4294967295EEENS1_25partition_config_selectorILNS1_17partition_subalgoE4EjNS0_10empty_typeEbEEZZNS1_14partition_implILS8_4ELb0ES6_15HIP_vector_typeIjLj2EENS0_17counting_iteratorIjlEEPS9_SG_NS0_5tupleIJPjSI_NS0_16reverse_iteratorISI_EEEEENSH_IJSG_SG_SG_EEES9_SI_JZNS1_25segmented_radix_sort_implINS0_14default_configELb0EPKlPlSQ_SR_N2at6native12_GLOBAL__N_18offset_tEEE10hipError_tPvRmT1_PNSt15iterator_traitsISZ_E10value_typeET2_T3_PNS10_IS15_E10value_typeET4_jRbjT5_S1B_jjP12ihipStream_tbEUljE_ZNSN_ISO_Lb0ESQ_SR_SQ_SR_SV_EESW_SX_SY_SZ_S13_S14_S15_S18_S19_jS1A_jS1B_S1B_jjS1D_bEUljE0_EEESW_SX_SY_S15_S19_S1B_T6_T7_T9_mT8_S1D_bDpT10_ENKUlT_T0_E_clISt17integral_constantIbLb0EES1R_EEDaS1M_S1N_EUlS1M_E_NS1_11comp_targetILNS1_3genE5ELNS1_11target_archE942ELNS1_3gpuE9ELNS1_3repE0EEENS1_30default_config_static_selectorELNS0_4arch9wavefront6targetE1EEEvSZ_.kd
    .uniform_work_group_size: 1
    .uses_dynamic_stack: false
    .vgpr_count:     0
    .vgpr_spill_count: 0
    .wavefront_size: 64
  - .args:
      - .offset:         0
        .size:           176
        .value_kind:     by_value
    .group_segment_fixed_size: 0
    .kernarg_segment_align: 8
    .kernarg_segment_size: 176
    .language:       OpenCL C
    .language_version:
      - 2
      - 0
    .max_flat_workgroup_size: 256
    .name:           _ZN7rocprim17ROCPRIM_400000_NS6detail17trampoline_kernelINS0_13select_configILj256ELj13ELNS0_17block_load_methodE3ELS4_3ELS4_3ELNS0_20block_scan_algorithmE0ELj4294967295EEENS1_25partition_config_selectorILNS1_17partition_subalgoE4EjNS0_10empty_typeEbEEZZNS1_14partition_implILS8_4ELb0ES6_15HIP_vector_typeIjLj2EENS0_17counting_iteratorIjlEEPS9_SG_NS0_5tupleIJPjSI_NS0_16reverse_iteratorISI_EEEEENSH_IJSG_SG_SG_EEES9_SI_JZNS1_25segmented_radix_sort_implINS0_14default_configELb0EPKlPlSQ_SR_N2at6native12_GLOBAL__N_18offset_tEEE10hipError_tPvRmT1_PNSt15iterator_traitsISZ_E10value_typeET2_T3_PNS10_IS15_E10value_typeET4_jRbjT5_S1B_jjP12ihipStream_tbEUljE_ZNSN_ISO_Lb0ESQ_SR_SQ_SR_SV_EESW_SX_SY_SZ_S13_S14_S15_S18_S19_jS1A_jS1B_S1B_jjS1D_bEUljE0_EEESW_SX_SY_S15_S19_S1B_T6_T7_T9_mT8_S1D_bDpT10_ENKUlT_T0_E_clISt17integral_constantIbLb0EES1R_EEDaS1M_S1N_EUlS1M_E_NS1_11comp_targetILNS1_3genE4ELNS1_11target_archE910ELNS1_3gpuE8ELNS1_3repE0EEENS1_30default_config_static_selectorELNS0_4arch9wavefront6targetE1EEEvSZ_
    .private_segment_fixed_size: 0
    .sgpr_count:     4
    .sgpr_spill_count: 0
    .symbol:         _ZN7rocprim17ROCPRIM_400000_NS6detail17trampoline_kernelINS0_13select_configILj256ELj13ELNS0_17block_load_methodE3ELS4_3ELS4_3ELNS0_20block_scan_algorithmE0ELj4294967295EEENS1_25partition_config_selectorILNS1_17partition_subalgoE4EjNS0_10empty_typeEbEEZZNS1_14partition_implILS8_4ELb0ES6_15HIP_vector_typeIjLj2EENS0_17counting_iteratorIjlEEPS9_SG_NS0_5tupleIJPjSI_NS0_16reverse_iteratorISI_EEEEENSH_IJSG_SG_SG_EEES9_SI_JZNS1_25segmented_radix_sort_implINS0_14default_configELb0EPKlPlSQ_SR_N2at6native12_GLOBAL__N_18offset_tEEE10hipError_tPvRmT1_PNSt15iterator_traitsISZ_E10value_typeET2_T3_PNS10_IS15_E10value_typeET4_jRbjT5_S1B_jjP12ihipStream_tbEUljE_ZNSN_ISO_Lb0ESQ_SR_SQ_SR_SV_EESW_SX_SY_SZ_S13_S14_S15_S18_S19_jS1A_jS1B_S1B_jjS1D_bEUljE0_EEESW_SX_SY_S15_S19_S1B_T6_T7_T9_mT8_S1D_bDpT10_ENKUlT_T0_E_clISt17integral_constantIbLb0EES1R_EEDaS1M_S1N_EUlS1M_E_NS1_11comp_targetILNS1_3genE4ELNS1_11target_archE910ELNS1_3gpuE8ELNS1_3repE0EEENS1_30default_config_static_selectorELNS0_4arch9wavefront6targetE1EEEvSZ_.kd
    .uniform_work_group_size: 1
    .uses_dynamic_stack: false
    .vgpr_count:     0
    .vgpr_spill_count: 0
    .wavefront_size: 64
  - .args:
      - .offset:         0
        .size:           176
        .value_kind:     by_value
    .group_segment_fixed_size: 0
    .kernarg_segment_align: 8
    .kernarg_segment_size: 176
    .language:       OpenCL C
    .language_version:
      - 2
      - 0
    .max_flat_workgroup_size: 256
    .name:           _ZN7rocprim17ROCPRIM_400000_NS6detail17trampoline_kernelINS0_13select_configILj256ELj13ELNS0_17block_load_methodE3ELS4_3ELS4_3ELNS0_20block_scan_algorithmE0ELj4294967295EEENS1_25partition_config_selectorILNS1_17partition_subalgoE4EjNS0_10empty_typeEbEEZZNS1_14partition_implILS8_4ELb0ES6_15HIP_vector_typeIjLj2EENS0_17counting_iteratorIjlEEPS9_SG_NS0_5tupleIJPjSI_NS0_16reverse_iteratorISI_EEEEENSH_IJSG_SG_SG_EEES9_SI_JZNS1_25segmented_radix_sort_implINS0_14default_configELb0EPKlPlSQ_SR_N2at6native12_GLOBAL__N_18offset_tEEE10hipError_tPvRmT1_PNSt15iterator_traitsISZ_E10value_typeET2_T3_PNS10_IS15_E10value_typeET4_jRbjT5_S1B_jjP12ihipStream_tbEUljE_ZNSN_ISO_Lb0ESQ_SR_SQ_SR_SV_EESW_SX_SY_SZ_S13_S14_S15_S18_S19_jS1A_jS1B_S1B_jjS1D_bEUljE0_EEESW_SX_SY_S15_S19_S1B_T6_T7_T9_mT8_S1D_bDpT10_ENKUlT_T0_E_clISt17integral_constantIbLb0EES1R_EEDaS1M_S1N_EUlS1M_E_NS1_11comp_targetILNS1_3genE3ELNS1_11target_archE908ELNS1_3gpuE7ELNS1_3repE0EEENS1_30default_config_static_selectorELNS0_4arch9wavefront6targetE1EEEvSZ_
    .private_segment_fixed_size: 0
    .sgpr_count:     4
    .sgpr_spill_count: 0
    .symbol:         _ZN7rocprim17ROCPRIM_400000_NS6detail17trampoline_kernelINS0_13select_configILj256ELj13ELNS0_17block_load_methodE3ELS4_3ELS4_3ELNS0_20block_scan_algorithmE0ELj4294967295EEENS1_25partition_config_selectorILNS1_17partition_subalgoE4EjNS0_10empty_typeEbEEZZNS1_14partition_implILS8_4ELb0ES6_15HIP_vector_typeIjLj2EENS0_17counting_iteratorIjlEEPS9_SG_NS0_5tupleIJPjSI_NS0_16reverse_iteratorISI_EEEEENSH_IJSG_SG_SG_EEES9_SI_JZNS1_25segmented_radix_sort_implINS0_14default_configELb0EPKlPlSQ_SR_N2at6native12_GLOBAL__N_18offset_tEEE10hipError_tPvRmT1_PNSt15iterator_traitsISZ_E10value_typeET2_T3_PNS10_IS15_E10value_typeET4_jRbjT5_S1B_jjP12ihipStream_tbEUljE_ZNSN_ISO_Lb0ESQ_SR_SQ_SR_SV_EESW_SX_SY_SZ_S13_S14_S15_S18_S19_jS1A_jS1B_S1B_jjS1D_bEUljE0_EEESW_SX_SY_S15_S19_S1B_T6_T7_T9_mT8_S1D_bDpT10_ENKUlT_T0_E_clISt17integral_constantIbLb0EES1R_EEDaS1M_S1N_EUlS1M_E_NS1_11comp_targetILNS1_3genE3ELNS1_11target_archE908ELNS1_3gpuE7ELNS1_3repE0EEENS1_30default_config_static_selectorELNS0_4arch9wavefront6targetE1EEEvSZ_.kd
    .uniform_work_group_size: 1
    .uses_dynamic_stack: false
    .vgpr_count:     0
    .vgpr_spill_count: 0
    .wavefront_size: 64
  - .args:
      - .offset:         0
        .size:           176
        .value_kind:     by_value
    .group_segment_fixed_size: 13328
    .kernarg_segment_align: 8
    .kernarg_segment_size: 176
    .language:       OpenCL C
    .language_version:
      - 2
      - 0
    .max_flat_workgroup_size: 256
    .name:           _ZN7rocprim17ROCPRIM_400000_NS6detail17trampoline_kernelINS0_13select_configILj256ELj13ELNS0_17block_load_methodE3ELS4_3ELS4_3ELNS0_20block_scan_algorithmE0ELj4294967295EEENS1_25partition_config_selectorILNS1_17partition_subalgoE4EjNS0_10empty_typeEbEEZZNS1_14partition_implILS8_4ELb0ES6_15HIP_vector_typeIjLj2EENS0_17counting_iteratorIjlEEPS9_SG_NS0_5tupleIJPjSI_NS0_16reverse_iteratorISI_EEEEENSH_IJSG_SG_SG_EEES9_SI_JZNS1_25segmented_radix_sort_implINS0_14default_configELb0EPKlPlSQ_SR_N2at6native12_GLOBAL__N_18offset_tEEE10hipError_tPvRmT1_PNSt15iterator_traitsISZ_E10value_typeET2_T3_PNS10_IS15_E10value_typeET4_jRbjT5_S1B_jjP12ihipStream_tbEUljE_ZNSN_ISO_Lb0ESQ_SR_SQ_SR_SV_EESW_SX_SY_SZ_S13_S14_S15_S18_S19_jS1A_jS1B_S1B_jjS1D_bEUljE0_EEESW_SX_SY_S15_S19_S1B_T6_T7_T9_mT8_S1D_bDpT10_ENKUlT_T0_E_clISt17integral_constantIbLb0EES1R_EEDaS1M_S1N_EUlS1M_E_NS1_11comp_targetILNS1_3genE2ELNS1_11target_archE906ELNS1_3gpuE6ELNS1_3repE0EEENS1_30default_config_static_selectorELNS0_4arch9wavefront6targetE1EEEvSZ_
    .private_segment_fixed_size: 0
    .sgpr_count:     94
    .sgpr_spill_count: 0
    .symbol:         _ZN7rocprim17ROCPRIM_400000_NS6detail17trampoline_kernelINS0_13select_configILj256ELj13ELNS0_17block_load_methodE3ELS4_3ELS4_3ELNS0_20block_scan_algorithmE0ELj4294967295EEENS1_25partition_config_selectorILNS1_17partition_subalgoE4EjNS0_10empty_typeEbEEZZNS1_14partition_implILS8_4ELb0ES6_15HIP_vector_typeIjLj2EENS0_17counting_iteratorIjlEEPS9_SG_NS0_5tupleIJPjSI_NS0_16reverse_iteratorISI_EEEEENSH_IJSG_SG_SG_EEES9_SI_JZNS1_25segmented_radix_sort_implINS0_14default_configELb0EPKlPlSQ_SR_N2at6native12_GLOBAL__N_18offset_tEEE10hipError_tPvRmT1_PNSt15iterator_traitsISZ_E10value_typeET2_T3_PNS10_IS15_E10value_typeET4_jRbjT5_S1B_jjP12ihipStream_tbEUljE_ZNSN_ISO_Lb0ESQ_SR_SQ_SR_SV_EESW_SX_SY_SZ_S13_S14_S15_S18_S19_jS1A_jS1B_S1B_jjS1D_bEUljE0_EEESW_SX_SY_S15_S19_S1B_T6_T7_T9_mT8_S1D_bDpT10_ENKUlT_T0_E_clISt17integral_constantIbLb0EES1R_EEDaS1M_S1N_EUlS1M_E_NS1_11comp_targetILNS1_3genE2ELNS1_11target_archE906ELNS1_3gpuE6ELNS1_3repE0EEENS1_30default_config_static_selectorELNS0_4arch9wavefront6targetE1EEEvSZ_.kd
    .uniform_work_group_size: 1
    .uses_dynamic_stack: false
    .vgpr_count:     86
    .vgpr_spill_count: 0
    .wavefront_size: 64
  - .args:
      - .offset:         0
        .size:           176
        .value_kind:     by_value
    .group_segment_fixed_size: 0
    .kernarg_segment_align: 8
    .kernarg_segment_size: 176
    .language:       OpenCL C
    .language_version:
      - 2
      - 0
    .max_flat_workgroup_size: 256
    .name:           _ZN7rocprim17ROCPRIM_400000_NS6detail17trampoline_kernelINS0_13select_configILj256ELj13ELNS0_17block_load_methodE3ELS4_3ELS4_3ELNS0_20block_scan_algorithmE0ELj4294967295EEENS1_25partition_config_selectorILNS1_17partition_subalgoE4EjNS0_10empty_typeEbEEZZNS1_14partition_implILS8_4ELb0ES6_15HIP_vector_typeIjLj2EENS0_17counting_iteratorIjlEEPS9_SG_NS0_5tupleIJPjSI_NS0_16reverse_iteratorISI_EEEEENSH_IJSG_SG_SG_EEES9_SI_JZNS1_25segmented_radix_sort_implINS0_14default_configELb0EPKlPlSQ_SR_N2at6native12_GLOBAL__N_18offset_tEEE10hipError_tPvRmT1_PNSt15iterator_traitsISZ_E10value_typeET2_T3_PNS10_IS15_E10value_typeET4_jRbjT5_S1B_jjP12ihipStream_tbEUljE_ZNSN_ISO_Lb0ESQ_SR_SQ_SR_SV_EESW_SX_SY_SZ_S13_S14_S15_S18_S19_jS1A_jS1B_S1B_jjS1D_bEUljE0_EEESW_SX_SY_S15_S19_S1B_T6_T7_T9_mT8_S1D_bDpT10_ENKUlT_T0_E_clISt17integral_constantIbLb0EES1R_EEDaS1M_S1N_EUlS1M_E_NS1_11comp_targetILNS1_3genE10ELNS1_11target_archE1200ELNS1_3gpuE4ELNS1_3repE0EEENS1_30default_config_static_selectorELNS0_4arch9wavefront6targetE1EEEvSZ_
    .private_segment_fixed_size: 0
    .sgpr_count:     4
    .sgpr_spill_count: 0
    .symbol:         _ZN7rocprim17ROCPRIM_400000_NS6detail17trampoline_kernelINS0_13select_configILj256ELj13ELNS0_17block_load_methodE3ELS4_3ELS4_3ELNS0_20block_scan_algorithmE0ELj4294967295EEENS1_25partition_config_selectorILNS1_17partition_subalgoE4EjNS0_10empty_typeEbEEZZNS1_14partition_implILS8_4ELb0ES6_15HIP_vector_typeIjLj2EENS0_17counting_iteratorIjlEEPS9_SG_NS0_5tupleIJPjSI_NS0_16reverse_iteratorISI_EEEEENSH_IJSG_SG_SG_EEES9_SI_JZNS1_25segmented_radix_sort_implINS0_14default_configELb0EPKlPlSQ_SR_N2at6native12_GLOBAL__N_18offset_tEEE10hipError_tPvRmT1_PNSt15iterator_traitsISZ_E10value_typeET2_T3_PNS10_IS15_E10value_typeET4_jRbjT5_S1B_jjP12ihipStream_tbEUljE_ZNSN_ISO_Lb0ESQ_SR_SQ_SR_SV_EESW_SX_SY_SZ_S13_S14_S15_S18_S19_jS1A_jS1B_S1B_jjS1D_bEUljE0_EEESW_SX_SY_S15_S19_S1B_T6_T7_T9_mT8_S1D_bDpT10_ENKUlT_T0_E_clISt17integral_constantIbLb0EES1R_EEDaS1M_S1N_EUlS1M_E_NS1_11comp_targetILNS1_3genE10ELNS1_11target_archE1200ELNS1_3gpuE4ELNS1_3repE0EEENS1_30default_config_static_selectorELNS0_4arch9wavefront6targetE1EEEvSZ_.kd
    .uniform_work_group_size: 1
    .uses_dynamic_stack: false
    .vgpr_count:     0
    .vgpr_spill_count: 0
    .wavefront_size: 64
  - .args:
      - .offset:         0
        .size:           176
        .value_kind:     by_value
    .group_segment_fixed_size: 0
    .kernarg_segment_align: 8
    .kernarg_segment_size: 176
    .language:       OpenCL C
    .language_version:
      - 2
      - 0
    .max_flat_workgroup_size: 256
    .name:           _ZN7rocprim17ROCPRIM_400000_NS6detail17trampoline_kernelINS0_13select_configILj256ELj13ELNS0_17block_load_methodE3ELS4_3ELS4_3ELNS0_20block_scan_algorithmE0ELj4294967295EEENS1_25partition_config_selectorILNS1_17partition_subalgoE4EjNS0_10empty_typeEbEEZZNS1_14partition_implILS8_4ELb0ES6_15HIP_vector_typeIjLj2EENS0_17counting_iteratorIjlEEPS9_SG_NS0_5tupleIJPjSI_NS0_16reverse_iteratorISI_EEEEENSH_IJSG_SG_SG_EEES9_SI_JZNS1_25segmented_radix_sort_implINS0_14default_configELb0EPKlPlSQ_SR_N2at6native12_GLOBAL__N_18offset_tEEE10hipError_tPvRmT1_PNSt15iterator_traitsISZ_E10value_typeET2_T3_PNS10_IS15_E10value_typeET4_jRbjT5_S1B_jjP12ihipStream_tbEUljE_ZNSN_ISO_Lb0ESQ_SR_SQ_SR_SV_EESW_SX_SY_SZ_S13_S14_S15_S18_S19_jS1A_jS1B_S1B_jjS1D_bEUljE0_EEESW_SX_SY_S15_S19_S1B_T6_T7_T9_mT8_S1D_bDpT10_ENKUlT_T0_E_clISt17integral_constantIbLb0EES1R_EEDaS1M_S1N_EUlS1M_E_NS1_11comp_targetILNS1_3genE9ELNS1_11target_archE1100ELNS1_3gpuE3ELNS1_3repE0EEENS1_30default_config_static_selectorELNS0_4arch9wavefront6targetE1EEEvSZ_
    .private_segment_fixed_size: 0
    .sgpr_count:     4
    .sgpr_spill_count: 0
    .symbol:         _ZN7rocprim17ROCPRIM_400000_NS6detail17trampoline_kernelINS0_13select_configILj256ELj13ELNS0_17block_load_methodE3ELS4_3ELS4_3ELNS0_20block_scan_algorithmE0ELj4294967295EEENS1_25partition_config_selectorILNS1_17partition_subalgoE4EjNS0_10empty_typeEbEEZZNS1_14partition_implILS8_4ELb0ES6_15HIP_vector_typeIjLj2EENS0_17counting_iteratorIjlEEPS9_SG_NS0_5tupleIJPjSI_NS0_16reverse_iteratorISI_EEEEENSH_IJSG_SG_SG_EEES9_SI_JZNS1_25segmented_radix_sort_implINS0_14default_configELb0EPKlPlSQ_SR_N2at6native12_GLOBAL__N_18offset_tEEE10hipError_tPvRmT1_PNSt15iterator_traitsISZ_E10value_typeET2_T3_PNS10_IS15_E10value_typeET4_jRbjT5_S1B_jjP12ihipStream_tbEUljE_ZNSN_ISO_Lb0ESQ_SR_SQ_SR_SV_EESW_SX_SY_SZ_S13_S14_S15_S18_S19_jS1A_jS1B_S1B_jjS1D_bEUljE0_EEESW_SX_SY_S15_S19_S1B_T6_T7_T9_mT8_S1D_bDpT10_ENKUlT_T0_E_clISt17integral_constantIbLb0EES1R_EEDaS1M_S1N_EUlS1M_E_NS1_11comp_targetILNS1_3genE9ELNS1_11target_archE1100ELNS1_3gpuE3ELNS1_3repE0EEENS1_30default_config_static_selectorELNS0_4arch9wavefront6targetE1EEEvSZ_.kd
    .uniform_work_group_size: 1
    .uses_dynamic_stack: false
    .vgpr_count:     0
    .vgpr_spill_count: 0
    .wavefront_size: 64
  - .args:
      - .offset:         0
        .size:           176
        .value_kind:     by_value
    .group_segment_fixed_size: 0
    .kernarg_segment_align: 8
    .kernarg_segment_size: 176
    .language:       OpenCL C
    .language_version:
      - 2
      - 0
    .max_flat_workgroup_size: 256
    .name:           _ZN7rocprim17ROCPRIM_400000_NS6detail17trampoline_kernelINS0_13select_configILj256ELj13ELNS0_17block_load_methodE3ELS4_3ELS4_3ELNS0_20block_scan_algorithmE0ELj4294967295EEENS1_25partition_config_selectorILNS1_17partition_subalgoE4EjNS0_10empty_typeEbEEZZNS1_14partition_implILS8_4ELb0ES6_15HIP_vector_typeIjLj2EENS0_17counting_iteratorIjlEEPS9_SG_NS0_5tupleIJPjSI_NS0_16reverse_iteratorISI_EEEEENSH_IJSG_SG_SG_EEES9_SI_JZNS1_25segmented_radix_sort_implINS0_14default_configELb0EPKlPlSQ_SR_N2at6native12_GLOBAL__N_18offset_tEEE10hipError_tPvRmT1_PNSt15iterator_traitsISZ_E10value_typeET2_T3_PNS10_IS15_E10value_typeET4_jRbjT5_S1B_jjP12ihipStream_tbEUljE_ZNSN_ISO_Lb0ESQ_SR_SQ_SR_SV_EESW_SX_SY_SZ_S13_S14_S15_S18_S19_jS1A_jS1B_S1B_jjS1D_bEUljE0_EEESW_SX_SY_S15_S19_S1B_T6_T7_T9_mT8_S1D_bDpT10_ENKUlT_T0_E_clISt17integral_constantIbLb0EES1R_EEDaS1M_S1N_EUlS1M_E_NS1_11comp_targetILNS1_3genE8ELNS1_11target_archE1030ELNS1_3gpuE2ELNS1_3repE0EEENS1_30default_config_static_selectorELNS0_4arch9wavefront6targetE1EEEvSZ_
    .private_segment_fixed_size: 0
    .sgpr_count:     4
    .sgpr_spill_count: 0
    .symbol:         _ZN7rocprim17ROCPRIM_400000_NS6detail17trampoline_kernelINS0_13select_configILj256ELj13ELNS0_17block_load_methodE3ELS4_3ELS4_3ELNS0_20block_scan_algorithmE0ELj4294967295EEENS1_25partition_config_selectorILNS1_17partition_subalgoE4EjNS0_10empty_typeEbEEZZNS1_14partition_implILS8_4ELb0ES6_15HIP_vector_typeIjLj2EENS0_17counting_iteratorIjlEEPS9_SG_NS0_5tupleIJPjSI_NS0_16reverse_iteratorISI_EEEEENSH_IJSG_SG_SG_EEES9_SI_JZNS1_25segmented_radix_sort_implINS0_14default_configELb0EPKlPlSQ_SR_N2at6native12_GLOBAL__N_18offset_tEEE10hipError_tPvRmT1_PNSt15iterator_traitsISZ_E10value_typeET2_T3_PNS10_IS15_E10value_typeET4_jRbjT5_S1B_jjP12ihipStream_tbEUljE_ZNSN_ISO_Lb0ESQ_SR_SQ_SR_SV_EESW_SX_SY_SZ_S13_S14_S15_S18_S19_jS1A_jS1B_S1B_jjS1D_bEUljE0_EEESW_SX_SY_S15_S19_S1B_T6_T7_T9_mT8_S1D_bDpT10_ENKUlT_T0_E_clISt17integral_constantIbLb0EES1R_EEDaS1M_S1N_EUlS1M_E_NS1_11comp_targetILNS1_3genE8ELNS1_11target_archE1030ELNS1_3gpuE2ELNS1_3repE0EEENS1_30default_config_static_selectorELNS0_4arch9wavefront6targetE1EEEvSZ_.kd
    .uniform_work_group_size: 1
    .uses_dynamic_stack: false
    .vgpr_count:     0
    .vgpr_spill_count: 0
    .wavefront_size: 64
  - .args:
      - .offset:         0
        .size:           184
        .value_kind:     by_value
    .group_segment_fixed_size: 0
    .kernarg_segment_align: 8
    .kernarg_segment_size: 184
    .language:       OpenCL C
    .language_version:
      - 2
      - 0
    .max_flat_workgroup_size: 256
    .name:           _ZN7rocprim17ROCPRIM_400000_NS6detail17trampoline_kernelINS0_13select_configILj256ELj13ELNS0_17block_load_methodE3ELS4_3ELS4_3ELNS0_20block_scan_algorithmE0ELj4294967295EEENS1_25partition_config_selectorILNS1_17partition_subalgoE4EjNS0_10empty_typeEbEEZZNS1_14partition_implILS8_4ELb0ES6_15HIP_vector_typeIjLj2EENS0_17counting_iteratorIjlEEPS9_SG_NS0_5tupleIJPjSI_NS0_16reverse_iteratorISI_EEEEENSH_IJSG_SG_SG_EEES9_SI_JZNS1_25segmented_radix_sort_implINS0_14default_configELb0EPKlPlSQ_SR_N2at6native12_GLOBAL__N_18offset_tEEE10hipError_tPvRmT1_PNSt15iterator_traitsISZ_E10value_typeET2_T3_PNS10_IS15_E10value_typeET4_jRbjT5_S1B_jjP12ihipStream_tbEUljE_ZNSN_ISO_Lb0ESQ_SR_SQ_SR_SV_EESW_SX_SY_SZ_S13_S14_S15_S18_S19_jS1A_jS1B_S1B_jjS1D_bEUljE0_EEESW_SX_SY_S15_S19_S1B_T6_T7_T9_mT8_S1D_bDpT10_ENKUlT_T0_E_clISt17integral_constantIbLb1EES1R_EEDaS1M_S1N_EUlS1M_E_NS1_11comp_targetILNS1_3genE0ELNS1_11target_archE4294967295ELNS1_3gpuE0ELNS1_3repE0EEENS1_30default_config_static_selectorELNS0_4arch9wavefront6targetE1EEEvSZ_
    .private_segment_fixed_size: 0
    .sgpr_count:     4
    .sgpr_spill_count: 0
    .symbol:         _ZN7rocprim17ROCPRIM_400000_NS6detail17trampoline_kernelINS0_13select_configILj256ELj13ELNS0_17block_load_methodE3ELS4_3ELS4_3ELNS0_20block_scan_algorithmE0ELj4294967295EEENS1_25partition_config_selectorILNS1_17partition_subalgoE4EjNS0_10empty_typeEbEEZZNS1_14partition_implILS8_4ELb0ES6_15HIP_vector_typeIjLj2EENS0_17counting_iteratorIjlEEPS9_SG_NS0_5tupleIJPjSI_NS0_16reverse_iteratorISI_EEEEENSH_IJSG_SG_SG_EEES9_SI_JZNS1_25segmented_radix_sort_implINS0_14default_configELb0EPKlPlSQ_SR_N2at6native12_GLOBAL__N_18offset_tEEE10hipError_tPvRmT1_PNSt15iterator_traitsISZ_E10value_typeET2_T3_PNS10_IS15_E10value_typeET4_jRbjT5_S1B_jjP12ihipStream_tbEUljE_ZNSN_ISO_Lb0ESQ_SR_SQ_SR_SV_EESW_SX_SY_SZ_S13_S14_S15_S18_S19_jS1A_jS1B_S1B_jjS1D_bEUljE0_EEESW_SX_SY_S15_S19_S1B_T6_T7_T9_mT8_S1D_bDpT10_ENKUlT_T0_E_clISt17integral_constantIbLb1EES1R_EEDaS1M_S1N_EUlS1M_E_NS1_11comp_targetILNS1_3genE0ELNS1_11target_archE4294967295ELNS1_3gpuE0ELNS1_3repE0EEENS1_30default_config_static_selectorELNS0_4arch9wavefront6targetE1EEEvSZ_.kd
    .uniform_work_group_size: 1
    .uses_dynamic_stack: false
    .vgpr_count:     0
    .vgpr_spill_count: 0
    .wavefront_size: 64
  - .args:
      - .offset:         0
        .size:           184
        .value_kind:     by_value
    .group_segment_fixed_size: 0
    .kernarg_segment_align: 8
    .kernarg_segment_size: 184
    .language:       OpenCL C
    .language_version:
      - 2
      - 0
    .max_flat_workgroup_size: 256
    .name:           _ZN7rocprim17ROCPRIM_400000_NS6detail17trampoline_kernelINS0_13select_configILj256ELj13ELNS0_17block_load_methodE3ELS4_3ELS4_3ELNS0_20block_scan_algorithmE0ELj4294967295EEENS1_25partition_config_selectorILNS1_17partition_subalgoE4EjNS0_10empty_typeEbEEZZNS1_14partition_implILS8_4ELb0ES6_15HIP_vector_typeIjLj2EENS0_17counting_iteratorIjlEEPS9_SG_NS0_5tupleIJPjSI_NS0_16reverse_iteratorISI_EEEEENSH_IJSG_SG_SG_EEES9_SI_JZNS1_25segmented_radix_sort_implINS0_14default_configELb0EPKlPlSQ_SR_N2at6native12_GLOBAL__N_18offset_tEEE10hipError_tPvRmT1_PNSt15iterator_traitsISZ_E10value_typeET2_T3_PNS10_IS15_E10value_typeET4_jRbjT5_S1B_jjP12ihipStream_tbEUljE_ZNSN_ISO_Lb0ESQ_SR_SQ_SR_SV_EESW_SX_SY_SZ_S13_S14_S15_S18_S19_jS1A_jS1B_S1B_jjS1D_bEUljE0_EEESW_SX_SY_S15_S19_S1B_T6_T7_T9_mT8_S1D_bDpT10_ENKUlT_T0_E_clISt17integral_constantIbLb1EES1R_EEDaS1M_S1N_EUlS1M_E_NS1_11comp_targetILNS1_3genE5ELNS1_11target_archE942ELNS1_3gpuE9ELNS1_3repE0EEENS1_30default_config_static_selectorELNS0_4arch9wavefront6targetE1EEEvSZ_
    .private_segment_fixed_size: 0
    .sgpr_count:     4
    .sgpr_spill_count: 0
    .symbol:         _ZN7rocprim17ROCPRIM_400000_NS6detail17trampoline_kernelINS0_13select_configILj256ELj13ELNS0_17block_load_methodE3ELS4_3ELS4_3ELNS0_20block_scan_algorithmE0ELj4294967295EEENS1_25partition_config_selectorILNS1_17partition_subalgoE4EjNS0_10empty_typeEbEEZZNS1_14partition_implILS8_4ELb0ES6_15HIP_vector_typeIjLj2EENS0_17counting_iteratorIjlEEPS9_SG_NS0_5tupleIJPjSI_NS0_16reverse_iteratorISI_EEEEENSH_IJSG_SG_SG_EEES9_SI_JZNS1_25segmented_radix_sort_implINS0_14default_configELb0EPKlPlSQ_SR_N2at6native12_GLOBAL__N_18offset_tEEE10hipError_tPvRmT1_PNSt15iterator_traitsISZ_E10value_typeET2_T3_PNS10_IS15_E10value_typeET4_jRbjT5_S1B_jjP12ihipStream_tbEUljE_ZNSN_ISO_Lb0ESQ_SR_SQ_SR_SV_EESW_SX_SY_SZ_S13_S14_S15_S18_S19_jS1A_jS1B_S1B_jjS1D_bEUljE0_EEESW_SX_SY_S15_S19_S1B_T6_T7_T9_mT8_S1D_bDpT10_ENKUlT_T0_E_clISt17integral_constantIbLb1EES1R_EEDaS1M_S1N_EUlS1M_E_NS1_11comp_targetILNS1_3genE5ELNS1_11target_archE942ELNS1_3gpuE9ELNS1_3repE0EEENS1_30default_config_static_selectorELNS0_4arch9wavefront6targetE1EEEvSZ_.kd
    .uniform_work_group_size: 1
    .uses_dynamic_stack: false
    .vgpr_count:     0
    .vgpr_spill_count: 0
    .wavefront_size: 64
  - .args:
      - .offset:         0
        .size:           184
        .value_kind:     by_value
    .group_segment_fixed_size: 0
    .kernarg_segment_align: 8
    .kernarg_segment_size: 184
    .language:       OpenCL C
    .language_version:
      - 2
      - 0
    .max_flat_workgroup_size: 256
    .name:           _ZN7rocprim17ROCPRIM_400000_NS6detail17trampoline_kernelINS0_13select_configILj256ELj13ELNS0_17block_load_methodE3ELS4_3ELS4_3ELNS0_20block_scan_algorithmE0ELj4294967295EEENS1_25partition_config_selectorILNS1_17partition_subalgoE4EjNS0_10empty_typeEbEEZZNS1_14partition_implILS8_4ELb0ES6_15HIP_vector_typeIjLj2EENS0_17counting_iteratorIjlEEPS9_SG_NS0_5tupleIJPjSI_NS0_16reverse_iteratorISI_EEEEENSH_IJSG_SG_SG_EEES9_SI_JZNS1_25segmented_radix_sort_implINS0_14default_configELb0EPKlPlSQ_SR_N2at6native12_GLOBAL__N_18offset_tEEE10hipError_tPvRmT1_PNSt15iterator_traitsISZ_E10value_typeET2_T3_PNS10_IS15_E10value_typeET4_jRbjT5_S1B_jjP12ihipStream_tbEUljE_ZNSN_ISO_Lb0ESQ_SR_SQ_SR_SV_EESW_SX_SY_SZ_S13_S14_S15_S18_S19_jS1A_jS1B_S1B_jjS1D_bEUljE0_EEESW_SX_SY_S15_S19_S1B_T6_T7_T9_mT8_S1D_bDpT10_ENKUlT_T0_E_clISt17integral_constantIbLb1EES1R_EEDaS1M_S1N_EUlS1M_E_NS1_11comp_targetILNS1_3genE4ELNS1_11target_archE910ELNS1_3gpuE8ELNS1_3repE0EEENS1_30default_config_static_selectorELNS0_4arch9wavefront6targetE1EEEvSZ_
    .private_segment_fixed_size: 0
    .sgpr_count:     4
    .sgpr_spill_count: 0
    .symbol:         _ZN7rocprim17ROCPRIM_400000_NS6detail17trampoline_kernelINS0_13select_configILj256ELj13ELNS0_17block_load_methodE3ELS4_3ELS4_3ELNS0_20block_scan_algorithmE0ELj4294967295EEENS1_25partition_config_selectorILNS1_17partition_subalgoE4EjNS0_10empty_typeEbEEZZNS1_14partition_implILS8_4ELb0ES6_15HIP_vector_typeIjLj2EENS0_17counting_iteratorIjlEEPS9_SG_NS0_5tupleIJPjSI_NS0_16reverse_iteratorISI_EEEEENSH_IJSG_SG_SG_EEES9_SI_JZNS1_25segmented_radix_sort_implINS0_14default_configELb0EPKlPlSQ_SR_N2at6native12_GLOBAL__N_18offset_tEEE10hipError_tPvRmT1_PNSt15iterator_traitsISZ_E10value_typeET2_T3_PNS10_IS15_E10value_typeET4_jRbjT5_S1B_jjP12ihipStream_tbEUljE_ZNSN_ISO_Lb0ESQ_SR_SQ_SR_SV_EESW_SX_SY_SZ_S13_S14_S15_S18_S19_jS1A_jS1B_S1B_jjS1D_bEUljE0_EEESW_SX_SY_S15_S19_S1B_T6_T7_T9_mT8_S1D_bDpT10_ENKUlT_T0_E_clISt17integral_constantIbLb1EES1R_EEDaS1M_S1N_EUlS1M_E_NS1_11comp_targetILNS1_3genE4ELNS1_11target_archE910ELNS1_3gpuE8ELNS1_3repE0EEENS1_30default_config_static_selectorELNS0_4arch9wavefront6targetE1EEEvSZ_.kd
    .uniform_work_group_size: 1
    .uses_dynamic_stack: false
    .vgpr_count:     0
    .vgpr_spill_count: 0
    .wavefront_size: 64
  - .args:
      - .offset:         0
        .size:           184
        .value_kind:     by_value
    .group_segment_fixed_size: 0
    .kernarg_segment_align: 8
    .kernarg_segment_size: 184
    .language:       OpenCL C
    .language_version:
      - 2
      - 0
    .max_flat_workgroup_size: 256
    .name:           _ZN7rocprim17ROCPRIM_400000_NS6detail17trampoline_kernelINS0_13select_configILj256ELj13ELNS0_17block_load_methodE3ELS4_3ELS4_3ELNS0_20block_scan_algorithmE0ELj4294967295EEENS1_25partition_config_selectorILNS1_17partition_subalgoE4EjNS0_10empty_typeEbEEZZNS1_14partition_implILS8_4ELb0ES6_15HIP_vector_typeIjLj2EENS0_17counting_iteratorIjlEEPS9_SG_NS0_5tupleIJPjSI_NS0_16reverse_iteratorISI_EEEEENSH_IJSG_SG_SG_EEES9_SI_JZNS1_25segmented_radix_sort_implINS0_14default_configELb0EPKlPlSQ_SR_N2at6native12_GLOBAL__N_18offset_tEEE10hipError_tPvRmT1_PNSt15iterator_traitsISZ_E10value_typeET2_T3_PNS10_IS15_E10value_typeET4_jRbjT5_S1B_jjP12ihipStream_tbEUljE_ZNSN_ISO_Lb0ESQ_SR_SQ_SR_SV_EESW_SX_SY_SZ_S13_S14_S15_S18_S19_jS1A_jS1B_S1B_jjS1D_bEUljE0_EEESW_SX_SY_S15_S19_S1B_T6_T7_T9_mT8_S1D_bDpT10_ENKUlT_T0_E_clISt17integral_constantIbLb1EES1R_EEDaS1M_S1N_EUlS1M_E_NS1_11comp_targetILNS1_3genE3ELNS1_11target_archE908ELNS1_3gpuE7ELNS1_3repE0EEENS1_30default_config_static_selectorELNS0_4arch9wavefront6targetE1EEEvSZ_
    .private_segment_fixed_size: 0
    .sgpr_count:     4
    .sgpr_spill_count: 0
    .symbol:         _ZN7rocprim17ROCPRIM_400000_NS6detail17trampoline_kernelINS0_13select_configILj256ELj13ELNS0_17block_load_methodE3ELS4_3ELS4_3ELNS0_20block_scan_algorithmE0ELj4294967295EEENS1_25partition_config_selectorILNS1_17partition_subalgoE4EjNS0_10empty_typeEbEEZZNS1_14partition_implILS8_4ELb0ES6_15HIP_vector_typeIjLj2EENS0_17counting_iteratorIjlEEPS9_SG_NS0_5tupleIJPjSI_NS0_16reverse_iteratorISI_EEEEENSH_IJSG_SG_SG_EEES9_SI_JZNS1_25segmented_radix_sort_implINS0_14default_configELb0EPKlPlSQ_SR_N2at6native12_GLOBAL__N_18offset_tEEE10hipError_tPvRmT1_PNSt15iterator_traitsISZ_E10value_typeET2_T3_PNS10_IS15_E10value_typeET4_jRbjT5_S1B_jjP12ihipStream_tbEUljE_ZNSN_ISO_Lb0ESQ_SR_SQ_SR_SV_EESW_SX_SY_SZ_S13_S14_S15_S18_S19_jS1A_jS1B_S1B_jjS1D_bEUljE0_EEESW_SX_SY_S15_S19_S1B_T6_T7_T9_mT8_S1D_bDpT10_ENKUlT_T0_E_clISt17integral_constantIbLb1EES1R_EEDaS1M_S1N_EUlS1M_E_NS1_11comp_targetILNS1_3genE3ELNS1_11target_archE908ELNS1_3gpuE7ELNS1_3repE0EEENS1_30default_config_static_selectorELNS0_4arch9wavefront6targetE1EEEvSZ_.kd
    .uniform_work_group_size: 1
    .uses_dynamic_stack: false
    .vgpr_count:     0
    .vgpr_spill_count: 0
    .wavefront_size: 64
  - .args:
      - .offset:         0
        .size:           184
        .value_kind:     by_value
    .group_segment_fixed_size: 0
    .kernarg_segment_align: 8
    .kernarg_segment_size: 184
    .language:       OpenCL C
    .language_version:
      - 2
      - 0
    .max_flat_workgroup_size: 256
    .name:           _ZN7rocprim17ROCPRIM_400000_NS6detail17trampoline_kernelINS0_13select_configILj256ELj13ELNS0_17block_load_methodE3ELS4_3ELS4_3ELNS0_20block_scan_algorithmE0ELj4294967295EEENS1_25partition_config_selectorILNS1_17partition_subalgoE4EjNS0_10empty_typeEbEEZZNS1_14partition_implILS8_4ELb0ES6_15HIP_vector_typeIjLj2EENS0_17counting_iteratorIjlEEPS9_SG_NS0_5tupleIJPjSI_NS0_16reverse_iteratorISI_EEEEENSH_IJSG_SG_SG_EEES9_SI_JZNS1_25segmented_radix_sort_implINS0_14default_configELb0EPKlPlSQ_SR_N2at6native12_GLOBAL__N_18offset_tEEE10hipError_tPvRmT1_PNSt15iterator_traitsISZ_E10value_typeET2_T3_PNS10_IS15_E10value_typeET4_jRbjT5_S1B_jjP12ihipStream_tbEUljE_ZNSN_ISO_Lb0ESQ_SR_SQ_SR_SV_EESW_SX_SY_SZ_S13_S14_S15_S18_S19_jS1A_jS1B_S1B_jjS1D_bEUljE0_EEESW_SX_SY_S15_S19_S1B_T6_T7_T9_mT8_S1D_bDpT10_ENKUlT_T0_E_clISt17integral_constantIbLb1EES1R_EEDaS1M_S1N_EUlS1M_E_NS1_11comp_targetILNS1_3genE2ELNS1_11target_archE906ELNS1_3gpuE6ELNS1_3repE0EEENS1_30default_config_static_selectorELNS0_4arch9wavefront6targetE1EEEvSZ_
    .private_segment_fixed_size: 0
    .sgpr_count:     4
    .sgpr_spill_count: 0
    .symbol:         _ZN7rocprim17ROCPRIM_400000_NS6detail17trampoline_kernelINS0_13select_configILj256ELj13ELNS0_17block_load_methodE3ELS4_3ELS4_3ELNS0_20block_scan_algorithmE0ELj4294967295EEENS1_25partition_config_selectorILNS1_17partition_subalgoE4EjNS0_10empty_typeEbEEZZNS1_14partition_implILS8_4ELb0ES6_15HIP_vector_typeIjLj2EENS0_17counting_iteratorIjlEEPS9_SG_NS0_5tupleIJPjSI_NS0_16reverse_iteratorISI_EEEEENSH_IJSG_SG_SG_EEES9_SI_JZNS1_25segmented_radix_sort_implINS0_14default_configELb0EPKlPlSQ_SR_N2at6native12_GLOBAL__N_18offset_tEEE10hipError_tPvRmT1_PNSt15iterator_traitsISZ_E10value_typeET2_T3_PNS10_IS15_E10value_typeET4_jRbjT5_S1B_jjP12ihipStream_tbEUljE_ZNSN_ISO_Lb0ESQ_SR_SQ_SR_SV_EESW_SX_SY_SZ_S13_S14_S15_S18_S19_jS1A_jS1B_S1B_jjS1D_bEUljE0_EEESW_SX_SY_S15_S19_S1B_T6_T7_T9_mT8_S1D_bDpT10_ENKUlT_T0_E_clISt17integral_constantIbLb1EES1R_EEDaS1M_S1N_EUlS1M_E_NS1_11comp_targetILNS1_3genE2ELNS1_11target_archE906ELNS1_3gpuE6ELNS1_3repE0EEENS1_30default_config_static_selectorELNS0_4arch9wavefront6targetE1EEEvSZ_.kd
    .uniform_work_group_size: 1
    .uses_dynamic_stack: false
    .vgpr_count:     0
    .vgpr_spill_count: 0
    .wavefront_size: 64
  - .args:
      - .offset:         0
        .size:           184
        .value_kind:     by_value
    .group_segment_fixed_size: 0
    .kernarg_segment_align: 8
    .kernarg_segment_size: 184
    .language:       OpenCL C
    .language_version:
      - 2
      - 0
    .max_flat_workgroup_size: 256
    .name:           _ZN7rocprim17ROCPRIM_400000_NS6detail17trampoline_kernelINS0_13select_configILj256ELj13ELNS0_17block_load_methodE3ELS4_3ELS4_3ELNS0_20block_scan_algorithmE0ELj4294967295EEENS1_25partition_config_selectorILNS1_17partition_subalgoE4EjNS0_10empty_typeEbEEZZNS1_14partition_implILS8_4ELb0ES6_15HIP_vector_typeIjLj2EENS0_17counting_iteratorIjlEEPS9_SG_NS0_5tupleIJPjSI_NS0_16reverse_iteratorISI_EEEEENSH_IJSG_SG_SG_EEES9_SI_JZNS1_25segmented_radix_sort_implINS0_14default_configELb0EPKlPlSQ_SR_N2at6native12_GLOBAL__N_18offset_tEEE10hipError_tPvRmT1_PNSt15iterator_traitsISZ_E10value_typeET2_T3_PNS10_IS15_E10value_typeET4_jRbjT5_S1B_jjP12ihipStream_tbEUljE_ZNSN_ISO_Lb0ESQ_SR_SQ_SR_SV_EESW_SX_SY_SZ_S13_S14_S15_S18_S19_jS1A_jS1B_S1B_jjS1D_bEUljE0_EEESW_SX_SY_S15_S19_S1B_T6_T7_T9_mT8_S1D_bDpT10_ENKUlT_T0_E_clISt17integral_constantIbLb1EES1R_EEDaS1M_S1N_EUlS1M_E_NS1_11comp_targetILNS1_3genE10ELNS1_11target_archE1200ELNS1_3gpuE4ELNS1_3repE0EEENS1_30default_config_static_selectorELNS0_4arch9wavefront6targetE1EEEvSZ_
    .private_segment_fixed_size: 0
    .sgpr_count:     4
    .sgpr_spill_count: 0
    .symbol:         _ZN7rocprim17ROCPRIM_400000_NS6detail17trampoline_kernelINS0_13select_configILj256ELj13ELNS0_17block_load_methodE3ELS4_3ELS4_3ELNS0_20block_scan_algorithmE0ELj4294967295EEENS1_25partition_config_selectorILNS1_17partition_subalgoE4EjNS0_10empty_typeEbEEZZNS1_14partition_implILS8_4ELb0ES6_15HIP_vector_typeIjLj2EENS0_17counting_iteratorIjlEEPS9_SG_NS0_5tupleIJPjSI_NS0_16reverse_iteratorISI_EEEEENSH_IJSG_SG_SG_EEES9_SI_JZNS1_25segmented_radix_sort_implINS0_14default_configELb0EPKlPlSQ_SR_N2at6native12_GLOBAL__N_18offset_tEEE10hipError_tPvRmT1_PNSt15iterator_traitsISZ_E10value_typeET2_T3_PNS10_IS15_E10value_typeET4_jRbjT5_S1B_jjP12ihipStream_tbEUljE_ZNSN_ISO_Lb0ESQ_SR_SQ_SR_SV_EESW_SX_SY_SZ_S13_S14_S15_S18_S19_jS1A_jS1B_S1B_jjS1D_bEUljE0_EEESW_SX_SY_S15_S19_S1B_T6_T7_T9_mT8_S1D_bDpT10_ENKUlT_T0_E_clISt17integral_constantIbLb1EES1R_EEDaS1M_S1N_EUlS1M_E_NS1_11comp_targetILNS1_3genE10ELNS1_11target_archE1200ELNS1_3gpuE4ELNS1_3repE0EEENS1_30default_config_static_selectorELNS0_4arch9wavefront6targetE1EEEvSZ_.kd
    .uniform_work_group_size: 1
    .uses_dynamic_stack: false
    .vgpr_count:     0
    .vgpr_spill_count: 0
    .wavefront_size: 64
  - .args:
      - .offset:         0
        .size:           184
        .value_kind:     by_value
    .group_segment_fixed_size: 0
    .kernarg_segment_align: 8
    .kernarg_segment_size: 184
    .language:       OpenCL C
    .language_version:
      - 2
      - 0
    .max_flat_workgroup_size: 256
    .name:           _ZN7rocprim17ROCPRIM_400000_NS6detail17trampoline_kernelINS0_13select_configILj256ELj13ELNS0_17block_load_methodE3ELS4_3ELS4_3ELNS0_20block_scan_algorithmE0ELj4294967295EEENS1_25partition_config_selectorILNS1_17partition_subalgoE4EjNS0_10empty_typeEbEEZZNS1_14partition_implILS8_4ELb0ES6_15HIP_vector_typeIjLj2EENS0_17counting_iteratorIjlEEPS9_SG_NS0_5tupleIJPjSI_NS0_16reverse_iteratorISI_EEEEENSH_IJSG_SG_SG_EEES9_SI_JZNS1_25segmented_radix_sort_implINS0_14default_configELb0EPKlPlSQ_SR_N2at6native12_GLOBAL__N_18offset_tEEE10hipError_tPvRmT1_PNSt15iterator_traitsISZ_E10value_typeET2_T3_PNS10_IS15_E10value_typeET4_jRbjT5_S1B_jjP12ihipStream_tbEUljE_ZNSN_ISO_Lb0ESQ_SR_SQ_SR_SV_EESW_SX_SY_SZ_S13_S14_S15_S18_S19_jS1A_jS1B_S1B_jjS1D_bEUljE0_EEESW_SX_SY_S15_S19_S1B_T6_T7_T9_mT8_S1D_bDpT10_ENKUlT_T0_E_clISt17integral_constantIbLb1EES1R_EEDaS1M_S1N_EUlS1M_E_NS1_11comp_targetILNS1_3genE9ELNS1_11target_archE1100ELNS1_3gpuE3ELNS1_3repE0EEENS1_30default_config_static_selectorELNS0_4arch9wavefront6targetE1EEEvSZ_
    .private_segment_fixed_size: 0
    .sgpr_count:     4
    .sgpr_spill_count: 0
    .symbol:         _ZN7rocprim17ROCPRIM_400000_NS6detail17trampoline_kernelINS0_13select_configILj256ELj13ELNS0_17block_load_methodE3ELS4_3ELS4_3ELNS0_20block_scan_algorithmE0ELj4294967295EEENS1_25partition_config_selectorILNS1_17partition_subalgoE4EjNS0_10empty_typeEbEEZZNS1_14partition_implILS8_4ELb0ES6_15HIP_vector_typeIjLj2EENS0_17counting_iteratorIjlEEPS9_SG_NS0_5tupleIJPjSI_NS0_16reverse_iteratorISI_EEEEENSH_IJSG_SG_SG_EEES9_SI_JZNS1_25segmented_radix_sort_implINS0_14default_configELb0EPKlPlSQ_SR_N2at6native12_GLOBAL__N_18offset_tEEE10hipError_tPvRmT1_PNSt15iterator_traitsISZ_E10value_typeET2_T3_PNS10_IS15_E10value_typeET4_jRbjT5_S1B_jjP12ihipStream_tbEUljE_ZNSN_ISO_Lb0ESQ_SR_SQ_SR_SV_EESW_SX_SY_SZ_S13_S14_S15_S18_S19_jS1A_jS1B_S1B_jjS1D_bEUljE0_EEESW_SX_SY_S15_S19_S1B_T6_T7_T9_mT8_S1D_bDpT10_ENKUlT_T0_E_clISt17integral_constantIbLb1EES1R_EEDaS1M_S1N_EUlS1M_E_NS1_11comp_targetILNS1_3genE9ELNS1_11target_archE1100ELNS1_3gpuE3ELNS1_3repE0EEENS1_30default_config_static_selectorELNS0_4arch9wavefront6targetE1EEEvSZ_.kd
    .uniform_work_group_size: 1
    .uses_dynamic_stack: false
    .vgpr_count:     0
    .vgpr_spill_count: 0
    .wavefront_size: 64
  - .args:
      - .offset:         0
        .size:           184
        .value_kind:     by_value
    .group_segment_fixed_size: 0
    .kernarg_segment_align: 8
    .kernarg_segment_size: 184
    .language:       OpenCL C
    .language_version:
      - 2
      - 0
    .max_flat_workgroup_size: 256
    .name:           _ZN7rocprim17ROCPRIM_400000_NS6detail17trampoline_kernelINS0_13select_configILj256ELj13ELNS0_17block_load_methodE3ELS4_3ELS4_3ELNS0_20block_scan_algorithmE0ELj4294967295EEENS1_25partition_config_selectorILNS1_17partition_subalgoE4EjNS0_10empty_typeEbEEZZNS1_14partition_implILS8_4ELb0ES6_15HIP_vector_typeIjLj2EENS0_17counting_iteratorIjlEEPS9_SG_NS0_5tupleIJPjSI_NS0_16reverse_iteratorISI_EEEEENSH_IJSG_SG_SG_EEES9_SI_JZNS1_25segmented_radix_sort_implINS0_14default_configELb0EPKlPlSQ_SR_N2at6native12_GLOBAL__N_18offset_tEEE10hipError_tPvRmT1_PNSt15iterator_traitsISZ_E10value_typeET2_T3_PNS10_IS15_E10value_typeET4_jRbjT5_S1B_jjP12ihipStream_tbEUljE_ZNSN_ISO_Lb0ESQ_SR_SQ_SR_SV_EESW_SX_SY_SZ_S13_S14_S15_S18_S19_jS1A_jS1B_S1B_jjS1D_bEUljE0_EEESW_SX_SY_S15_S19_S1B_T6_T7_T9_mT8_S1D_bDpT10_ENKUlT_T0_E_clISt17integral_constantIbLb1EES1R_EEDaS1M_S1N_EUlS1M_E_NS1_11comp_targetILNS1_3genE8ELNS1_11target_archE1030ELNS1_3gpuE2ELNS1_3repE0EEENS1_30default_config_static_selectorELNS0_4arch9wavefront6targetE1EEEvSZ_
    .private_segment_fixed_size: 0
    .sgpr_count:     4
    .sgpr_spill_count: 0
    .symbol:         _ZN7rocprim17ROCPRIM_400000_NS6detail17trampoline_kernelINS0_13select_configILj256ELj13ELNS0_17block_load_methodE3ELS4_3ELS4_3ELNS0_20block_scan_algorithmE0ELj4294967295EEENS1_25partition_config_selectorILNS1_17partition_subalgoE4EjNS0_10empty_typeEbEEZZNS1_14partition_implILS8_4ELb0ES6_15HIP_vector_typeIjLj2EENS0_17counting_iteratorIjlEEPS9_SG_NS0_5tupleIJPjSI_NS0_16reverse_iteratorISI_EEEEENSH_IJSG_SG_SG_EEES9_SI_JZNS1_25segmented_radix_sort_implINS0_14default_configELb0EPKlPlSQ_SR_N2at6native12_GLOBAL__N_18offset_tEEE10hipError_tPvRmT1_PNSt15iterator_traitsISZ_E10value_typeET2_T3_PNS10_IS15_E10value_typeET4_jRbjT5_S1B_jjP12ihipStream_tbEUljE_ZNSN_ISO_Lb0ESQ_SR_SQ_SR_SV_EESW_SX_SY_SZ_S13_S14_S15_S18_S19_jS1A_jS1B_S1B_jjS1D_bEUljE0_EEESW_SX_SY_S15_S19_S1B_T6_T7_T9_mT8_S1D_bDpT10_ENKUlT_T0_E_clISt17integral_constantIbLb1EES1R_EEDaS1M_S1N_EUlS1M_E_NS1_11comp_targetILNS1_3genE8ELNS1_11target_archE1030ELNS1_3gpuE2ELNS1_3repE0EEENS1_30default_config_static_selectorELNS0_4arch9wavefront6targetE1EEEvSZ_.kd
    .uniform_work_group_size: 1
    .uses_dynamic_stack: false
    .vgpr_count:     0
    .vgpr_spill_count: 0
    .wavefront_size: 64
  - .args:
      - .offset:         0
        .size:           176
        .value_kind:     by_value
    .group_segment_fixed_size: 0
    .kernarg_segment_align: 8
    .kernarg_segment_size: 176
    .language:       OpenCL C
    .language_version:
      - 2
      - 0
    .max_flat_workgroup_size: 256
    .name:           _ZN7rocprim17ROCPRIM_400000_NS6detail17trampoline_kernelINS0_13select_configILj256ELj13ELNS0_17block_load_methodE3ELS4_3ELS4_3ELNS0_20block_scan_algorithmE0ELj4294967295EEENS1_25partition_config_selectorILNS1_17partition_subalgoE4EjNS0_10empty_typeEbEEZZNS1_14partition_implILS8_4ELb0ES6_15HIP_vector_typeIjLj2EENS0_17counting_iteratorIjlEEPS9_SG_NS0_5tupleIJPjSI_NS0_16reverse_iteratorISI_EEEEENSH_IJSG_SG_SG_EEES9_SI_JZNS1_25segmented_radix_sort_implINS0_14default_configELb0EPKlPlSQ_SR_N2at6native12_GLOBAL__N_18offset_tEEE10hipError_tPvRmT1_PNSt15iterator_traitsISZ_E10value_typeET2_T3_PNS10_IS15_E10value_typeET4_jRbjT5_S1B_jjP12ihipStream_tbEUljE_ZNSN_ISO_Lb0ESQ_SR_SQ_SR_SV_EESW_SX_SY_SZ_S13_S14_S15_S18_S19_jS1A_jS1B_S1B_jjS1D_bEUljE0_EEESW_SX_SY_S15_S19_S1B_T6_T7_T9_mT8_S1D_bDpT10_ENKUlT_T0_E_clISt17integral_constantIbLb1EES1Q_IbLb0EEEEDaS1M_S1N_EUlS1M_E_NS1_11comp_targetILNS1_3genE0ELNS1_11target_archE4294967295ELNS1_3gpuE0ELNS1_3repE0EEENS1_30default_config_static_selectorELNS0_4arch9wavefront6targetE1EEEvSZ_
    .private_segment_fixed_size: 0
    .sgpr_count:     4
    .sgpr_spill_count: 0
    .symbol:         _ZN7rocprim17ROCPRIM_400000_NS6detail17trampoline_kernelINS0_13select_configILj256ELj13ELNS0_17block_load_methodE3ELS4_3ELS4_3ELNS0_20block_scan_algorithmE0ELj4294967295EEENS1_25partition_config_selectorILNS1_17partition_subalgoE4EjNS0_10empty_typeEbEEZZNS1_14partition_implILS8_4ELb0ES6_15HIP_vector_typeIjLj2EENS0_17counting_iteratorIjlEEPS9_SG_NS0_5tupleIJPjSI_NS0_16reverse_iteratorISI_EEEEENSH_IJSG_SG_SG_EEES9_SI_JZNS1_25segmented_radix_sort_implINS0_14default_configELb0EPKlPlSQ_SR_N2at6native12_GLOBAL__N_18offset_tEEE10hipError_tPvRmT1_PNSt15iterator_traitsISZ_E10value_typeET2_T3_PNS10_IS15_E10value_typeET4_jRbjT5_S1B_jjP12ihipStream_tbEUljE_ZNSN_ISO_Lb0ESQ_SR_SQ_SR_SV_EESW_SX_SY_SZ_S13_S14_S15_S18_S19_jS1A_jS1B_S1B_jjS1D_bEUljE0_EEESW_SX_SY_S15_S19_S1B_T6_T7_T9_mT8_S1D_bDpT10_ENKUlT_T0_E_clISt17integral_constantIbLb1EES1Q_IbLb0EEEEDaS1M_S1N_EUlS1M_E_NS1_11comp_targetILNS1_3genE0ELNS1_11target_archE4294967295ELNS1_3gpuE0ELNS1_3repE0EEENS1_30default_config_static_selectorELNS0_4arch9wavefront6targetE1EEEvSZ_.kd
    .uniform_work_group_size: 1
    .uses_dynamic_stack: false
    .vgpr_count:     0
    .vgpr_spill_count: 0
    .wavefront_size: 64
  - .args:
      - .offset:         0
        .size:           176
        .value_kind:     by_value
    .group_segment_fixed_size: 0
    .kernarg_segment_align: 8
    .kernarg_segment_size: 176
    .language:       OpenCL C
    .language_version:
      - 2
      - 0
    .max_flat_workgroup_size: 256
    .name:           _ZN7rocprim17ROCPRIM_400000_NS6detail17trampoline_kernelINS0_13select_configILj256ELj13ELNS0_17block_load_methodE3ELS4_3ELS4_3ELNS0_20block_scan_algorithmE0ELj4294967295EEENS1_25partition_config_selectorILNS1_17partition_subalgoE4EjNS0_10empty_typeEbEEZZNS1_14partition_implILS8_4ELb0ES6_15HIP_vector_typeIjLj2EENS0_17counting_iteratorIjlEEPS9_SG_NS0_5tupleIJPjSI_NS0_16reverse_iteratorISI_EEEEENSH_IJSG_SG_SG_EEES9_SI_JZNS1_25segmented_radix_sort_implINS0_14default_configELb0EPKlPlSQ_SR_N2at6native12_GLOBAL__N_18offset_tEEE10hipError_tPvRmT1_PNSt15iterator_traitsISZ_E10value_typeET2_T3_PNS10_IS15_E10value_typeET4_jRbjT5_S1B_jjP12ihipStream_tbEUljE_ZNSN_ISO_Lb0ESQ_SR_SQ_SR_SV_EESW_SX_SY_SZ_S13_S14_S15_S18_S19_jS1A_jS1B_S1B_jjS1D_bEUljE0_EEESW_SX_SY_S15_S19_S1B_T6_T7_T9_mT8_S1D_bDpT10_ENKUlT_T0_E_clISt17integral_constantIbLb1EES1Q_IbLb0EEEEDaS1M_S1N_EUlS1M_E_NS1_11comp_targetILNS1_3genE5ELNS1_11target_archE942ELNS1_3gpuE9ELNS1_3repE0EEENS1_30default_config_static_selectorELNS0_4arch9wavefront6targetE1EEEvSZ_
    .private_segment_fixed_size: 0
    .sgpr_count:     4
    .sgpr_spill_count: 0
    .symbol:         _ZN7rocprim17ROCPRIM_400000_NS6detail17trampoline_kernelINS0_13select_configILj256ELj13ELNS0_17block_load_methodE3ELS4_3ELS4_3ELNS0_20block_scan_algorithmE0ELj4294967295EEENS1_25partition_config_selectorILNS1_17partition_subalgoE4EjNS0_10empty_typeEbEEZZNS1_14partition_implILS8_4ELb0ES6_15HIP_vector_typeIjLj2EENS0_17counting_iteratorIjlEEPS9_SG_NS0_5tupleIJPjSI_NS0_16reverse_iteratorISI_EEEEENSH_IJSG_SG_SG_EEES9_SI_JZNS1_25segmented_radix_sort_implINS0_14default_configELb0EPKlPlSQ_SR_N2at6native12_GLOBAL__N_18offset_tEEE10hipError_tPvRmT1_PNSt15iterator_traitsISZ_E10value_typeET2_T3_PNS10_IS15_E10value_typeET4_jRbjT5_S1B_jjP12ihipStream_tbEUljE_ZNSN_ISO_Lb0ESQ_SR_SQ_SR_SV_EESW_SX_SY_SZ_S13_S14_S15_S18_S19_jS1A_jS1B_S1B_jjS1D_bEUljE0_EEESW_SX_SY_S15_S19_S1B_T6_T7_T9_mT8_S1D_bDpT10_ENKUlT_T0_E_clISt17integral_constantIbLb1EES1Q_IbLb0EEEEDaS1M_S1N_EUlS1M_E_NS1_11comp_targetILNS1_3genE5ELNS1_11target_archE942ELNS1_3gpuE9ELNS1_3repE0EEENS1_30default_config_static_selectorELNS0_4arch9wavefront6targetE1EEEvSZ_.kd
    .uniform_work_group_size: 1
    .uses_dynamic_stack: false
    .vgpr_count:     0
    .vgpr_spill_count: 0
    .wavefront_size: 64
  - .args:
      - .offset:         0
        .size:           176
        .value_kind:     by_value
    .group_segment_fixed_size: 0
    .kernarg_segment_align: 8
    .kernarg_segment_size: 176
    .language:       OpenCL C
    .language_version:
      - 2
      - 0
    .max_flat_workgroup_size: 256
    .name:           _ZN7rocprim17ROCPRIM_400000_NS6detail17trampoline_kernelINS0_13select_configILj256ELj13ELNS0_17block_load_methodE3ELS4_3ELS4_3ELNS0_20block_scan_algorithmE0ELj4294967295EEENS1_25partition_config_selectorILNS1_17partition_subalgoE4EjNS0_10empty_typeEbEEZZNS1_14partition_implILS8_4ELb0ES6_15HIP_vector_typeIjLj2EENS0_17counting_iteratorIjlEEPS9_SG_NS0_5tupleIJPjSI_NS0_16reverse_iteratorISI_EEEEENSH_IJSG_SG_SG_EEES9_SI_JZNS1_25segmented_radix_sort_implINS0_14default_configELb0EPKlPlSQ_SR_N2at6native12_GLOBAL__N_18offset_tEEE10hipError_tPvRmT1_PNSt15iterator_traitsISZ_E10value_typeET2_T3_PNS10_IS15_E10value_typeET4_jRbjT5_S1B_jjP12ihipStream_tbEUljE_ZNSN_ISO_Lb0ESQ_SR_SQ_SR_SV_EESW_SX_SY_SZ_S13_S14_S15_S18_S19_jS1A_jS1B_S1B_jjS1D_bEUljE0_EEESW_SX_SY_S15_S19_S1B_T6_T7_T9_mT8_S1D_bDpT10_ENKUlT_T0_E_clISt17integral_constantIbLb1EES1Q_IbLb0EEEEDaS1M_S1N_EUlS1M_E_NS1_11comp_targetILNS1_3genE4ELNS1_11target_archE910ELNS1_3gpuE8ELNS1_3repE0EEENS1_30default_config_static_selectorELNS0_4arch9wavefront6targetE1EEEvSZ_
    .private_segment_fixed_size: 0
    .sgpr_count:     4
    .sgpr_spill_count: 0
    .symbol:         _ZN7rocprim17ROCPRIM_400000_NS6detail17trampoline_kernelINS0_13select_configILj256ELj13ELNS0_17block_load_methodE3ELS4_3ELS4_3ELNS0_20block_scan_algorithmE0ELj4294967295EEENS1_25partition_config_selectorILNS1_17partition_subalgoE4EjNS0_10empty_typeEbEEZZNS1_14partition_implILS8_4ELb0ES6_15HIP_vector_typeIjLj2EENS0_17counting_iteratorIjlEEPS9_SG_NS0_5tupleIJPjSI_NS0_16reverse_iteratorISI_EEEEENSH_IJSG_SG_SG_EEES9_SI_JZNS1_25segmented_radix_sort_implINS0_14default_configELb0EPKlPlSQ_SR_N2at6native12_GLOBAL__N_18offset_tEEE10hipError_tPvRmT1_PNSt15iterator_traitsISZ_E10value_typeET2_T3_PNS10_IS15_E10value_typeET4_jRbjT5_S1B_jjP12ihipStream_tbEUljE_ZNSN_ISO_Lb0ESQ_SR_SQ_SR_SV_EESW_SX_SY_SZ_S13_S14_S15_S18_S19_jS1A_jS1B_S1B_jjS1D_bEUljE0_EEESW_SX_SY_S15_S19_S1B_T6_T7_T9_mT8_S1D_bDpT10_ENKUlT_T0_E_clISt17integral_constantIbLb1EES1Q_IbLb0EEEEDaS1M_S1N_EUlS1M_E_NS1_11comp_targetILNS1_3genE4ELNS1_11target_archE910ELNS1_3gpuE8ELNS1_3repE0EEENS1_30default_config_static_selectorELNS0_4arch9wavefront6targetE1EEEvSZ_.kd
    .uniform_work_group_size: 1
    .uses_dynamic_stack: false
    .vgpr_count:     0
    .vgpr_spill_count: 0
    .wavefront_size: 64
  - .args:
      - .offset:         0
        .size:           176
        .value_kind:     by_value
    .group_segment_fixed_size: 0
    .kernarg_segment_align: 8
    .kernarg_segment_size: 176
    .language:       OpenCL C
    .language_version:
      - 2
      - 0
    .max_flat_workgroup_size: 256
    .name:           _ZN7rocprim17ROCPRIM_400000_NS6detail17trampoline_kernelINS0_13select_configILj256ELj13ELNS0_17block_load_methodE3ELS4_3ELS4_3ELNS0_20block_scan_algorithmE0ELj4294967295EEENS1_25partition_config_selectorILNS1_17partition_subalgoE4EjNS0_10empty_typeEbEEZZNS1_14partition_implILS8_4ELb0ES6_15HIP_vector_typeIjLj2EENS0_17counting_iteratorIjlEEPS9_SG_NS0_5tupleIJPjSI_NS0_16reverse_iteratorISI_EEEEENSH_IJSG_SG_SG_EEES9_SI_JZNS1_25segmented_radix_sort_implINS0_14default_configELb0EPKlPlSQ_SR_N2at6native12_GLOBAL__N_18offset_tEEE10hipError_tPvRmT1_PNSt15iterator_traitsISZ_E10value_typeET2_T3_PNS10_IS15_E10value_typeET4_jRbjT5_S1B_jjP12ihipStream_tbEUljE_ZNSN_ISO_Lb0ESQ_SR_SQ_SR_SV_EESW_SX_SY_SZ_S13_S14_S15_S18_S19_jS1A_jS1B_S1B_jjS1D_bEUljE0_EEESW_SX_SY_S15_S19_S1B_T6_T7_T9_mT8_S1D_bDpT10_ENKUlT_T0_E_clISt17integral_constantIbLb1EES1Q_IbLb0EEEEDaS1M_S1N_EUlS1M_E_NS1_11comp_targetILNS1_3genE3ELNS1_11target_archE908ELNS1_3gpuE7ELNS1_3repE0EEENS1_30default_config_static_selectorELNS0_4arch9wavefront6targetE1EEEvSZ_
    .private_segment_fixed_size: 0
    .sgpr_count:     4
    .sgpr_spill_count: 0
    .symbol:         _ZN7rocprim17ROCPRIM_400000_NS6detail17trampoline_kernelINS0_13select_configILj256ELj13ELNS0_17block_load_methodE3ELS4_3ELS4_3ELNS0_20block_scan_algorithmE0ELj4294967295EEENS1_25partition_config_selectorILNS1_17partition_subalgoE4EjNS0_10empty_typeEbEEZZNS1_14partition_implILS8_4ELb0ES6_15HIP_vector_typeIjLj2EENS0_17counting_iteratorIjlEEPS9_SG_NS0_5tupleIJPjSI_NS0_16reverse_iteratorISI_EEEEENSH_IJSG_SG_SG_EEES9_SI_JZNS1_25segmented_radix_sort_implINS0_14default_configELb0EPKlPlSQ_SR_N2at6native12_GLOBAL__N_18offset_tEEE10hipError_tPvRmT1_PNSt15iterator_traitsISZ_E10value_typeET2_T3_PNS10_IS15_E10value_typeET4_jRbjT5_S1B_jjP12ihipStream_tbEUljE_ZNSN_ISO_Lb0ESQ_SR_SQ_SR_SV_EESW_SX_SY_SZ_S13_S14_S15_S18_S19_jS1A_jS1B_S1B_jjS1D_bEUljE0_EEESW_SX_SY_S15_S19_S1B_T6_T7_T9_mT8_S1D_bDpT10_ENKUlT_T0_E_clISt17integral_constantIbLb1EES1Q_IbLb0EEEEDaS1M_S1N_EUlS1M_E_NS1_11comp_targetILNS1_3genE3ELNS1_11target_archE908ELNS1_3gpuE7ELNS1_3repE0EEENS1_30default_config_static_selectorELNS0_4arch9wavefront6targetE1EEEvSZ_.kd
    .uniform_work_group_size: 1
    .uses_dynamic_stack: false
    .vgpr_count:     0
    .vgpr_spill_count: 0
    .wavefront_size: 64
  - .args:
      - .offset:         0
        .size:           176
        .value_kind:     by_value
    .group_segment_fixed_size: 0
    .kernarg_segment_align: 8
    .kernarg_segment_size: 176
    .language:       OpenCL C
    .language_version:
      - 2
      - 0
    .max_flat_workgroup_size: 256
    .name:           _ZN7rocprim17ROCPRIM_400000_NS6detail17trampoline_kernelINS0_13select_configILj256ELj13ELNS0_17block_load_methodE3ELS4_3ELS4_3ELNS0_20block_scan_algorithmE0ELj4294967295EEENS1_25partition_config_selectorILNS1_17partition_subalgoE4EjNS0_10empty_typeEbEEZZNS1_14partition_implILS8_4ELb0ES6_15HIP_vector_typeIjLj2EENS0_17counting_iteratorIjlEEPS9_SG_NS0_5tupleIJPjSI_NS0_16reverse_iteratorISI_EEEEENSH_IJSG_SG_SG_EEES9_SI_JZNS1_25segmented_radix_sort_implINS0_14default_configELb0EPKlPlSQ_SR_N2at6native12_GLOBAL__N_18offset_tEEE10hipError_tPvRmT1_PNSt15iterator_traitsISZ_E10value_typeET2_T3_PNS10_IS15_E10value_typeET4_jRbjT5_S1B_jjP12ihipStream_tbEUljE_ZNSN_ISO_Lb0ESQ_SR_SQ_SR_SV_EESW_SX_SY_SZ_S13_S14_S15_S18_S19_jS1A_jS1B_S1B_jjS1D_bEUljE0_EEESW_SX_SY_S15_S19_S1B_T6_T7_T9_mT8_S1D_bDpT10_ENKUlT_T0_E_clISt17integral_constantIbLb1EES1Q_IbLb0EEEEDaS1M_S1N_EUlS1M_E_NS1_11comp_targetILNS1_3genE2ELNS1_11target_archE906ELNS1_3gpuE6ELNS1_3repE0EEENS1_30default_config_static_selectorELNS0_4arch9wavefront6targetE1EEEvSZ_
    .private_segment_fixed_size: 0
    .sgpr_count:     4
    .sgpr_spill_count: 0
    .symbol:         _ZN7rocprim17ROCPRIM_400000_NS6detail17trampoline_kernelINS0_13select_configILj256ELj13ELNS0_17block_load_methodE3ELS4_3ELS4_3ELNS0_20block_scan_algorithmE0ELj4294967295EEENS1_25partition_config_selectorILNS1_17partition_subalgoE4EjNS0_10empty_typeEbEEZZNS1_14partition_implILS8_4ELb0ES6_15HIP_vector_typeIjLj2EENS0_17counting_iteratorIjlEEPS9_SG_NS0_5tupleIJPjSI_NS0_16reverse_iteratorISI_EEEEENSH_IJSG_SG_SG_EEES9_SI_JZNS1_25segmented_radix_sort_implINS0_14default_configELb0EPKlPlSQ_SR_N2at6native12_GLOBAL__N_18offset_tEEE10hipError_tPvRmT1_PNSt15iterator_traitsISZ_E10value_typeET2_T3_PNS10_IS15_E10value_typeET4_jRbjT5_S1B_jjP12ihipStream_tbEUljE_ZNSN_ISO_Lb0ESQ_SR_SQ_SR_SV_EESW_SX_SY_SZ_S13_S14_S15_S18_S19_jS1A_jS1B_S1B_jjS1D_bEUljE0_EEESW_SX_SY_S15_S19_S1B_T6_T7_T9_mT8_S1D_bDpT10_ENKUlT_T0_E_clISt17integral_constantIbLb1EES1Q_IbLb0EEEEDaS1M_S1N_EUlS1M_E_NS1_11comp_targetILNS1_3genE2ELNS1_11target_archE906ELNS1_3gpuE6ELNS1_3repE0EEENS1_30default_config_static_selectorELNS0_4arch9wavefront6targetE1EEEvSZ_.kd
    .uniform_work_group_size: 1
    .uses_dynamic_stack: false
    .vgpr_count:     0
    .vgpr_spill_count: 0
    .wavefront_size: 64
  - .args:
      - .offset:         0
        .size:           176
        .value_kind:     by_value
    .group_segment_fixed_size: 0
    .kernarg_segment_align: 8
    .kernarg_segment_size: 176
    .language:       OpenCL C
    .language_version:
      - 2
      - 0
    .max_flat_workgroup_size: 256
    .name:           _ZN7rocprim17ROCPRIM_400000_NS6detail17trampoline_kernelINS0_13select_configILj256ELj13ELNS0_17block_load_methodE3ELS4_3ELS4_3ELNS0_20block_scan_algorithmE0ELj4294967295EEENS1_25partition_config_selectorILNS1_17partition_subalgoE4EjNS0_10empty_typeEbEEZZNS1_14partition_implILS8_4ELb0ES6_15HIP_vector_typeIjLj2EENS0_17counting_iteratorIjlEEPS9_SG_NS0_5tupleIJPjSI_NS0_16reverse_iteratorISI_EEEEENSH_IJSG_SG_SG_EEES9_SI_JZNS1_25segmented_radix_sort_implINS0_14default_configELb0EPKlPlSQ_SR_N2at6native12_GLOBAL__N_18offset_tEEE10hipError_tPvRmT1_PNSt15iterator_traitsISZ_E10value_typeET2_T3_PNS10_IS15_E10value_typeET4_jRbjT5_S1B_jjP12ihipStream_tbEUljE_ZNSN_ISO_Lb0ESQ_SR_SQ_SR_SV_EESW_SX_SY_SZ_S13_S14_S15_S18_S19_jS1A_jS1B_S1B_jjS1D_bEUljE0_EEESW_SX_SY_S15_S19_S1B_T6_T7_T9_mT8_S1D_bDpT10_ENKUlT_T0_E_clISt17integral_constantIbLb1EES1Q_IbLb0EEEEDaS1M_S1N_EUlS1M_E_NS1_11comp_targetILNS1_3genE10ELNS1_11target_archE1200ELNS1_3gpuE4ELNS1_3repE0EEENS1_30default_config_static_selectorELNS0_4arch9wavefront6targetE1EEEvSZ_
    .private_segment_fixed_size: 0
    .sgpr_count:     4
    .sgpr_spill_count: 0
    .symbol:         _ZN7rocprim17ROCPRIM_400000_NS6detail17trampoline_kernelINS0_13select_configILj256ELj13ELNS0_17block_load_methodE3ELS4_3ELS4_3ELNS0_20block_scan_algorithmE0ELj4294967295EEENS1_25partition_config_selectorILNS1_17partition_subalgoE4EjNS0_10empty_typeEbEEZZNS1_14partition_implILS8_4ELb0ES6_15HIP_vector_typeIjLj2EENS0_17counting_iteratorIjlEEPS9_SG_NS0_5tupleIJPjSI_NS0_16reverse_iteratorISI_EEEEENSH_IJSG_SG_SG_EEES9_SI_JZNS1_25segmented_radix_sort_implINS0_14default_configELb0EPKlPlSQ_SR_N2at6native12_GLOBAL__N_18offset_tEEE10hipError_tPvRmT1_PNSt15iterator_traitsISZ_E10value_typeET2_T3_PNS10_IS15_E10value_typeET4_jRbjT5_S1B_jjP12ihipStream_tbEUljE_ZNSN_ISO_Lb0ESQ_SR_SQ_SR_SV_EESW_SX_SY_SZ_S13_S14_S15_S18_S19_jS1A_jS1B_S1B_jjS1D_bEUljE0_EEESW_SX_SY_S15_S19_S1B_T6_T7_T9_mT8_S1D_bDpT10_ENKUlT_T0_E_clISt17integral_constantIbLb1EES1Q_IbLb0EEEEDaS1M_S1N_EUlS1M_E_NS1_11comp_targetILNS1_3genE10ELNS1_11target_archE1200ELNS1_3gpuE4ELNS1_3repE0EEENS1_30default_config_static_selectorELNS0_4arch9wavefront6targetE1EEEvSZ_.kd
    .uniform_work_group_size: 1
    .uses_dynamic_stack: false
    .vgpr_count:     0
    .vgpr_spill_count: 0
    .wavefront_size: 64
  - .args:
      - .offset:         0
        .size:           176
        .value_kind:     by_value
    .group_segment_fixed_size: 0
    .kernarg_segment_align: 8
    .kernarg_segment_size: 176
    .language:       OpenCL C
    .language_version:
      - 2
      - 0
    .max_flat_workgroup_size: 256
    .name:           _ZN7rocprim17ROCPRIM_400000_NS6detail17trampoline_kernelINS0_13select_configILj256ELj13ELNS0_17block_load_methodE3ELS4_3ELS4_3ELNS0_20block_scan_algorithmE0ELj4294967295EEENS1_25partition_config_selectorILNS1_17partition_subalgoE4EjNS0_10empty_typeEbEEZZNS1_14partition_implILS8_4ELb0ES6_15HIP_vector_typeIjLj2EENS0_17counting_iteratorIjlEEPS9_SG_NS0_5tupleIJPjSI_NS0_16reverse_iteratorISI_EEEEENSH_IJSG_SG_SG_EEES9_SI_JZNS1_25segmented_radix_sort_implINS0_14default_configELb0EPKlPlSQ_SR_N2at6native12_GLOBAL__N_18offset_tEEE10hipError_tPvRmT1_PNSt15iterator_traitsISZ_E10value_typeET2_T3_PNS10_IS15_E10value_typeET4_jRbjT5_S1B_jjP12ihipStream_tbEUljE_ZNSN_ISO_Lb0ESQ_SR_SQ_SR_SV_EESW_SX_SY_SZ_S13_S14_S15_S18_S19_jS1A_jS1B_S1B_jjS1D_bEUljE0_EEESW_SX_SY_S15_S19_S1B_T6_T7_T9_mT8_S1D_bDpT10_ENKUlT_T0_E_clISt17integral_constantIbLb1EES1Q_IbLb0EEEEDaS1M_S1N_EUlS1M_E_NS1_11comp_targetILNS1_3genE9ELNS1_11target_archE1100ELNS1_3gpuE3ELNS1_3repE0EEENS1_30default_config_static_selectorELNS0_4arch9wavefront6targetE1EEEvSZ_
    .private_segment_fixed_size: 0
    .sgpr_count:     4
    .sgpr_spill_count: 0
    .symbol:         _ZN7rocprim17ROCPRIM_400000_NS6detail17trampoline_kernelINS0_13select_configILj256ELj13ELNS0_17block_load_methodE3ELS4_3ELS4_3ELNS0_20block_scan_algorithmE0ELj4294967295EEENS1_25partition_config_selectorILNS1_17partition_subalgoE4EjNS0_10empty_typeEbEEZZNS1_14partition_implILS8_4ELb0ES6_15HIP_vector_typeIjLj2EENS0_17counting_iteratorIjlEEPS9_SG_NS0_5tupleIJPjSI_NS0_16reverse_iteratorISI_EEEEENSH_IJSG_SG_SG_EEES9_SI_JZNS1_25segmented_radix_sort_implINS0_14default_configELb0EPKlPlSQ_SR_N2at6native12_GLOBAL__N_18offset_tEEE10hipError_tPvRmT1_PNSt15iterator_traitsISZ_E10value_typeET2_T3_PNS10_IS15_E10value_typeET4_jRbjT5_S1B_jjP12ihipStream_tbEUljE_ZNSN_ISO_Lb0ESQ_SR_SQ_SR_SV_EESW_SX_SY_SZ_S13_S14_S15_S18_S19_jS1A_jS1B_S1B_jjS1D_bEUljE0_EEESW_SX_SY_S15_S19_S1B_T6_T7_T9_mT8_S1D_bDpT10_ENKUlT_T0_E_clISt17integral_constantIbLb1EES1Q_IbLb0EEEEDaS1M_S1N_EUlS1M_E_NS1_11comp_targetILNS1_3genE9ELNS1_11target_archE1100ELNS1_3gpuE3ELNS1_3repE0EEENS1_30default_config_static_selectorELNS0_4arch9wavefront6targetE1EEEvSZ_.kd
    .uniform_work_group_size: 1
    .uses_dynamic_stack: false
    .vgpr_count:     0
    .vgpr_spill_count: 0
    .wavefront_size: 64
  - .args:
      - .offset:         0
        .size:           176
        .value_kind:     by_value
    .group_segment_fixed_size: 0
    .kernarg_segment_align: 8
    .kernarg_segment_size: 176
    .language:       OpenCL C
    .language_version:
      - 2
      - 0
    .max_flat_workgroup_size: 256
    .name:           _ZN7rocprim17ROCPRIM_400000_NS6detail17trampoline_kernelINS0_13select_configILj256ELj13ELNS0_17block_load_methodE3ELS4_3ELS4_3ELNS0_20block_scan_algorithmE0ELj4294967295EEENS1_25partition_config_selectorILNS1_17partition_subalgoE4EjNS0_10empty_typeEbEEZZNS1_14partition_implILS8_4ELb0ES6_15HIP_vector_typeIjLj2EENS0_17counting_iteratorIjlEEPS9_SG_NS0_5tupleIJPjSI_NS0_16reverse_iteratorISI_EEEEENSH_IJSG_SG_SG_EEES9_SI_JZNS1_25segmented_radix_sort_implINS0_14default_configELb0EPKlPlSQ_SR_N2at6native12_GLOBAL__N_18offset_tEEE10hipError_tPvRmT1_PNSt15iterator_traitsISZ_E10value_typeET2_T3_PNS10_IS15_E10value_typeET4_jRbjT5_S1B_jjP12ihipStream_tbEUljE_ZNSN_ISO_Lb0ESQ_SR_SQ_SR_SV_EESW_SX_SY_SZ_S13_S14_S15_S18_S19_jS1A_jS1B_S1B_jjS1D_bEUljE0_EEESW_SX_SY_S15_S19_S1B_T6_T7_T9_mT8_S1D_bDpT10_ENKUlT_T0_E_clISt17integral_constantIbLb1EES1Q_IbLb0EEEEDaS1M_S1N_EUlS1M_E_NS1_11comp_targetILNS1_3genE8ELNS1_11target_archE1030ELNS1_3gpuE2ELNS1_3repE0EEENS1_30default_config_static_selectorELNS0_4arch9wavefront6targetE1EEEvSZ_
    .private_segment_fixed_size: 0
    .sgpr_count:     4
    .sgpr_spill_count: 0
    .symbol:         _ZN7rocprim17ROCPRIM_400000_NS6detail17trampoline_kernelINS0_13select_configILj256ELj13ELNS0_17block_load_methodE3ELS4_3ELS4_3ELNS0_20block_scan_algorithmE0ELj4294967295EEENS1_25partition_config_selectorILNS1_17partition_subalgoE4EjNS0_10empty_typeEbEEZZNS1_14partition_implILS8_4ELb0ES6_15HIP_vector_typeIjLj2EENS0_17counting_iteratorIjlEEPS9_SG_NS0_5tupleIJPjSI_NS0_16reverse_iteratorISI_EEEEENSH_IJSG_SG_SG_EEES9_SI_JZNS1_25segmented_radix_sort_implINS0_14default_configELb0EPKlPlSQ_SR_N2at6native12_GLOBAL__N_18offset_tEEE10hipError_tPvRmT1_PNSt15iterator_traitsISZ_E10value_typeET2_T3_PNS10_IS15_E10value_typeET4_jRbjT5_S1B_jjP12ihipStream_tbEUljE_ZNSN_ISO_Lb0ESQ_SR_SQ_SR_SV_EESW_SX_SY_SZ_S13_S14_S15_S18_S19_jS1A_jS1B_S1B_jjS1D_bEUljE0_EEESW_SX_SY_S15_S19_S1B_T6_T7_T9_mT8_S1D_bDpT10_ENKUlT_T0_E_clISt17integral_constantIbLb1EES1Q_IbLb0EEEEDaS1M_S1N_EUlS1M_E_NS1_11comp_targetILNS1_3genE8ELNS1_11target_archE1030ELNS1_3gpuE2ELNS1_3repE0EEENS1_30default_config_static_selectorELNS0_4arch9wavefront6targetE1EEEvSZ_.kd
    .uniform_work_group_size: 1
    .uses_dynamic_stack: false
    .vgpr_count:     0
    .vgpr_spill_count: 0
    .wavefront_size: 64
  - .args:
      - .offset:         0
        .size:           184
        .value_kind:     by_value
    .group_segment_fixed_size: 0
    .kernarg_segment_align: 8
    .kernarg_segment_size: 184
    .language:       OpenCL C
    .language_version:
      - 2
      - 0
    .max_flat_workgroup_size: 256
    .name:           _ZN7rocprim17ROCPRIM_400000_NS6detail17trampoline_kernelINS0_13select_configILj256ELj13ELNS0_17block_load_methodE3ELS4_3ELS4_3ELNS0_20block_scan_algorithmE0ELj4294967295EEENS1_25partition_config_selectorILNS1_17partition_subalgoE4EjNS0_10empty_typeEbEEZZNS1_14partition_implILS8_4ELb0ES6_15HIP_vector_typeIjLj2EENS0_17counting_iteratorIjlEEPS9_SG_NS0_5tupleIJPjSI_NS0_16reverse_iteratorISI_EEEEENSH_IJSG_SG_SG_EEES9_SI_JZNS1_25segmented_radix_sort_implINS0_14default_configELb0EPKlPlSQ_SR_N2at6native12_GLOBAL__N_18offset_tEEE10hipError_tPvRmT1_PNSt15iterator_traitsISZ_E10value_typeET2_T3_PNS10_IS15_E10value_typeET4_jRbjT5_S1B_jjP12ihipStream_tbEUljE_ZNSN_ISO_Lb0ESQ_SR_SQ_SR_SV_EESW_SX_SY_SZ_S13_S14_S15_S18_S19_jS1A_jS1B_S1B_jjS1D_bEUljE0_EEESW_SX_SY_S15_S19_S1B_T6_T7_T9_mT8_S1D_bDpT10_ENKUlT_T0_E_clISt17integral_constantIbLb0EES1Q_IbLb1EEEEDaS1M_S1N_EUlS1M_E_NS1_11comp_targetILNS1_3genE0ELNS1_11target_archE4294967295ELNS1_3gpuE0ELNS1_3repE0EEENS1_30default_config_static_selectorELNS0_4arch9wavefront6targetE1EEEvSZ_
    .private_segment_fixed_size: 0
    .sgpr_count:     4
    .sgpr_spill_count: 0
    .symbol:         _ZN7rocprim17ROCPRIM_400000_NS6detail17trampoline_kernelINS0_13select_configILj256ELj13ELNS0_17block_load_methodE3ELS4_3ELS4_3ELNS0_20block_scan_algorithmE0ELj4294967295EEENS1_25partition_config_selectorILNS1_17partition_subalgoE4EjNS0_10empty_typeEbEEZZNS1_14partition_implILS8_4ELb0ES6_15HIP_vector_typeIjLj2EENS0_17counting_iteratorIjlEEPS9_SG_NS0_5tupleIJPjSI_NS0_16reverse_iteratorISI_EEEEENSH_IJSG_SG_SG_EEES9_SI_JZNS1_25segmented_radix_sort_implINS0_14default_configELb0EPKlPlSQ_SR_N2at6native12_GLOBAL__N_18offset_tEEE10hipError_tPvRmT1_PNSt15iterator_traitsISZ_E10value_typeET2_T3_PNS10_IS15_E10value_typeET4_jRbjT5_S1B_jjP12ihipStream_tbEUljE_ZNSN_ISO_Lb0ESQ_SR_SQ_SR_SV_EESW_SX_SY_SZ_S13_S14_S15_S18_S19_jS1A_jS1B_S1B_jjS1D_bEUljE0_EEESW_SX_SY_S15_S19_S1B_T6_T7_T9_mT8_S1D_bDpT10_ENKUlT_T0_E_clISt17integral_constantIbLb0EES1Q_IbLb1EEEEDaS1M_S1N_EUlS1M_E_NS1_11comp_targetILNS1_3genE0ELNS1_11target_archE4294967295ELNS1_3gpuE0ELNS1_3repE0EEENS1_30default_config_static_selectorELNS0_4arch9wavefront6targetE1EEEvSZ_.kd
    .uniform_work_group_size: 1
    .uses_dynamic_stack: false
    .vgpr_count:     0
    .vgpr_spill_count: 0
    .wavefront_size: 64
  - .args:
      - .offset:         0
        .size:           184
        .value_kind:     by_value
    .group_segment_fixed_size: 0
    .kernarg_segment_align: 8
    .kernarg_segment_size: 184
    .language:       OpenCL C
    .language_version:
      - 2
      - 0
    .max_flat_workgroup_size: 256
    .name:           _ZN7rocprim17ROCPRIM_400000_NS6detail17trampoline_kernelINS0_13select_configILj256ELj13ELNS0_17block_load_methodE3ELS4_3ELS4_3ELNS0_20block_scan_algorithmE0ELj4294967295EEENS1_25partition_config_selectorILNS1_17partition_subalgoE4EjNS0_10empty_typeEbEEZZNS1_14partition_implILS8_4ELb0ES6_15HIP_vector_typeIjLj2EENS0_17counting_iteratorIjlEEPS9_SG_NS0_5tupleIJPjSI_NS0_16reverse_iteratorISI_EEEEENSH_IJSG_SG_SG_EEES9_SI_JZNS1_25segmented_radix_sort_implINS0_14default_configELb0EPKlPlSQ_SR_N2at6native12_GLOBAL__N_18offset_tEEE10hipError_tPvRmT1_PNSt15iterator_traitsISZ_E10value_typeET2_T3_PNS10_IS15_E10value_typeET4_jRbjT5_S1B_jjP12ihipStream_tbEUljE_ZNSN_ISO_Lb0ESQ_SR_SQ_SR_SV_EESW_SX_SY_SZ_S13_S14_S15_S18_S19_jS1A_jS1B_S1B_jjS1D_bEUljE0_EEESW_SX_SY_S15_S19_S1B_T6_T7_T9_mT8_S1D_bDpT10_ENKUlT_T0_E_clISt17integral_constantIbLb0EES1Q_IbLb1EEEEDaS1M_S1N_EUlS1M_E_NS1_11comp_targetILNS1_3genE5ELNS1_11target_archE942ELNS1_3gpuE9ELNS1_3repE0EEENS1_30default_config_static_selectorELNS0_4arch9wavefront6targetE1EEEvSZ_
    .private_segment_fixed_size: 0
    .sgpr_count:     4
    .sgpr_spill_count: 0
    .symbol:         _ZN7rocprim17ROCPRIM_400000_NS6detail17trampoline_kernelINS0_13select_configILj256ELj13ELNS0_17block_load_methodE3ELS4_3ELS4_3ELNS0_20block_scan_algorithmE0ELj4294967295EEENS1_25partition_config_selectorILNS1_17partition_subalgoE4EjNS0_10empty_typeEbEEZZNS1_14partition_implILS8_4ELb0ES6_15HIP_vector_typeIjLj2EENS0_17counting_iteratorIjlEEPS9_SG_NS0_5tupleIJPjSI_NS0_16reverse_iteratorISI_EEEEENSH_IJSG_SG_SG_EEES9_SI_JZNS1_25segmented_radix_sort_implINS0_14default_configELb0EPKlPlSQ_SR_N2at6native12_GLOBAL__N_18offset_tEEE10hipError_tPvRmT1_PNSt15iterator_traitsISZ_E10value_typeET2_T3_PNS10_IS15_E10value_typeET4_jRbjT5_S1B_jjP12ihipStream_tbEUljE_ZNSN_ISO_Lb0ESQ_SR_SQ_SR_SV_EESW_SX_SY_SZ_S13_S14_S15_S18_S19_jS1A_jS1B_S1B_jjS1D_bEUljE0_EEESW_SX_SY_S15_S19_S1B_T6_T7_T9_mT8_S1D_bDpT10_ENKUlT_T0_E_clISt17integral_constantIbLb0EES1Q_IbLb1EEEEDaS1M_S1N_EUlS1M_E_NS1_11comp_targetILNS1_3genE5ELNS1_11target_archE942ELNS1_3gpuE9ELNS1_3repE0EEENS1_30default_config_static_selectorELNS0_4arch9wavefront6targetE1EEEvSZ_.kd
    .uniform_work_group_size: 1
    .uses_dynamic_stack: false
    .vgpr_count:     0
    .vgpr_spill_count: 0
    .wavefront_size: 64
  - .args:
      - .offset:         0
        .size:           184
        .value_kind:     by_value
    .group_segment_fixed_size: 0
    .kernarg_segment_align: 8
    .kernarg_segment_size: 184
    .language:       OpenCL C
    .language_version:
      - 2
      - 0
    .max_flat_workgroup_size: 256
    .name:           _ZN7rocprim17ROCPRIM_400000_NS6detail17trampoline_kernelINS0_13select_configILj256ELj13ELNS0_17block_load_methodE3ELS4_3ELS4_3ELNS0_20block_scan_algorithmE0ELj4294967295EEENS1_25partition_config_selectorILNS1_17partition_subalgoE4EjNS0_10empty_typeEbEEZZNS1_14partition_implILS8_4ELb0ES6_15HIP_vector_typeIjLj2EENS0_17counting_iteratorIjlEEPS9_SG_NS0_5tupleIJPjSI_NS0_16reverse_iteratorISI_EEEEENSH_IJSG_SG_SG_EEES9_SI_JZNS1_25segmented_radix_sort_implINS0_14default_configELb0EPKlPlSQ_SR_N2at6native12_GLOBAL__N_18offset_tEEE10hipError_tPvRmT1_PNSt15iterator_traitsISZ_E10value_typeET2_T3_PNS10_IS15_E10value_typeET4_jRbjT5_S1B_jjP12ihipStream_tbEUljE_ZNSN_ISO_Lb0ESQ_SR_SQ_SR_SV_EESW_SX_SY_SZ_S13_S14_S15_S18_S19_jS1A_jS1B_S1B_jjS1D_bEUljE0_EEESW_SX_SY_S15_S19_S1B_T6_T7_T9_mT8_S1D_bDpT10_ENKUlT_T0_E_clISt17integral_constantIbLb0EES1Q_IbLb1EEEEDaS1M_S1N_EUlS1M_E_NS1_11comp_targetILNS1_3genE4ELNS1_11target_archE910ELNS1_3gpuE8ELNS1_3repE0EEENS1_30default_config_static_selectorELNS0_4arch9wavefront6targetE1EEEvSZ_
    .private_segment_fixed_size: 0
    .sgpr_count:     4
    .sgpr_spill_count: 0
    .symbol:         _ZN7rocprim17ROCPRIM_400000_NS6detail17trampoline_kernelINS0_13select_configILj256ELj13ELNS0_17block_load_methodE3ELS4_3ELS4_3ELNS0_20block_scan_algorithmE0ELj4294967295EEENS1_25partition_config_selectorILNS1_17partition_subalgoE4EjNS0_10empty_typeEbEEZZNS1_14partition_implILS8_4ELb0ES6_15HIP_vector_typeIjLj2EENS0_17counting_iteratorIjlEEPS9_SG_NS0_5tupleIJPjSI_NS0_16reverse_iteratorISI_EEEEENSH_IJSG_SG_SG_EEES9_SI_JZNS1_25segmented_radix_sort_implINS0_14default_configELb0EPKlPlSQ_SR_N2at6native12_GLOBAL__N_18offset_tEEE10hipError_tPvRmT1_PNSt15iterator_traitsISZ_E10value_typeET2_T3_PNS10_IS15_E10value_typeET4_jRbjT5_S1B_jjP12ihipStream_tbEUljE_ZNSN_ISO_Lb0ESQ_SR_SQ_SR_SV_EESW_SX_SY_SZ_S13_S14_S15_S18_S19_jS1A_jS1B_S1B_jjS1D_bEUljE0_EEESW_SX_SY_S15_S19_S1B_T6_T7_T9_mT8_S1D_bDpT10_ENKUlT_T0_E_clISt17integral_constantIbLb0EES1Q_IbLb1EEEEDaS1M_S1N_EUlS1M_E_NS1_11comp_targetILNS1_3genE4ELNS1_11target_archE910ELNS1_3gpuE8ELNS1_3repE0EEENS1_30default_config_static_selectorELNS0_4arch9wavefront6targetE1EEEvSZ_.kd
    .uniform_work_group_size: 1
    .uses_dynamic_stack: false
    .vgpr_count:     0
    .vgpr_spill_count: 0
    .wavefront_size: 64
  - .args:
      - .offset:         0
        .size:           184
        .value_kind:     by_value
    .group_segment_fixed_size: 0
    .kernarg_segment_align: 8
    .kernarg_segment_size: 184
    .language:       OpenCL C
    .language_version:
      - 2
      - 0
    .max_flat_workgroup_size: 256
    .name:           _ZN7rocprim17ROCPRIM_400000_NS6detail17trampoline_kernelINS0_13select_configILj256ELj13ELNS0_17block_load_methodE3ELS4_3ELS4_3ELNS0_20block_scan_algorithmE0ELj4294967295EEENS1_25partition_config_selectorILNS1_17partition_subalgoE4EjNS0_10empty_typeEbEEZZNS1_14partition_implILS8_4ELb0ES6_15HIP_vector_typeIjLj2EENS0_17counting_iteratorIjlEEPS9_SG_NS0_5tupleIJPjSI_NS0_16reverse_iteratorISI_EEEEENSH_IJSG_SG_SG_EEES9_SI_JZNS1_25segmented_radix_sort_implINS0_14default_configELb0EPKlPlSQ_SR_N2at6native12_GLOBAL__N_18offset_tEEE10hipError_tPvRmT1_PNSt15iterator_traitsISZ_E10value_typeET2_T3_PNS10_IS15_E10value_typeET4_jRbjT5_S1B_jjP12ihipStream_tbEUljE_ZNSN_ISO_Lb0ESQ_SR_SQ_SR_SV_EESW_SX_SY_SZ_S13_S14_S15_S18_S19_jS1A_jS1B_S1B_jjS1D_bEUljE0_EEESW_SX_SY_S15_S19_S1B_T6_T7_T9_mT8_S1D_bDpT10_ENKUlT_T0_E_clISt17integral_constantIbLb0EES1Q_IbLb1EEEEDaS1M_S1N_EUlS1M_E_NS1_11comp_targetILNS1_3genE3ELNS1_11target_archE908ELNS1_3gpuE7ELNS1_3repE0EEENS1_30default_config_static_selectorELNS0_4arch9wavefront6targetE1EEEvSZ_
    .private_segment_fixed_size: 0
    .sgpr_count:     4
    .sgpr_spill_count: 0
    .symbol:         _ZN7rocprim17ROCPRIM_400000_NS6detail17trampoline_kernelINS0_13select_configILj256ELj13ELNS0_17block_load_methodE3ELS4_3ELS4_3ELNS0_20block_scan_algorithmE0ELj4294967295EEENS1_25partition_config_selectorILNS1_17partition_subalgoE4EjNS0_10empty_typeEbEEZZNS1_14partition_implILS8_4ELb0ES6_15HIP_vector_typeIjLj2EENS0_17counting_iteratorIjlEEPS9_SG_NS0_5tupleIJPjSI_NS0_16reverse_iteratorISI_EEEEENSH_IJSG_SG_SG_EEES9_SI_JZNS1_25segmented_radix_sort_implINS0_14default_configELb0EPKlPlSQ_SR_N2at6native12_GLOBAL__N_18offset_tEEE10hipError_tPvRmT1_PNSt15iterator_traitsISZ_E10value_typeET2_T3_PNS10_IS15_E10value_typeET4_jRbjT5_S1B_jjP12ihipStream_tbEUljE_ZNSN_ISO_Lb0ESQ_SR_SQ_SR_SV_EESW_SX_SY_SZ_S13_S14_S15_S18_S19_jS1A_jS1B_S1B_jjS1D_bEUljE0_EEESW_SX_SY_S15_S19_S1B_T6_T7_T9_mT8_S1D_bDpT10_ENKUlT_T0_E_clISt17integral_constantIbLb0EES1Q_IbLb1EEEEDaS1M_S1N_EUlS1M_E_NS1_11comp_targetILNS1_3genE3ELNS1_11target_archE908ELNS1_3gpuE7ELNS1_3repE0EEENS1_30default_config_static_selectorELNS0_4arch9wavefront6targetE1EEEvSZ_.kd
    .uniform_work_group_size: 1
    .uses_dynamic_stack: false
    .vgpr_count:     0
    .vgpr_spill_count: 0
    .wavefront_size: 64
  - .args:
      - .offset:         0
        .size:           184
        .value_kind:     by_value
    .group_segment_fixed_size: 13328
    .kernarg_segment_align: 8
    .kernarg_segment_size: 184
    .language:       OpenCL C
    .language_version:
      - 2
      - 0
    .max_flat_workgroup_size: 256
    .name:           _ZN7rocprim17ROCPRIM_400000_NS6detail17trampoline_kernelINS0_13select_configILj256ELj13ELNS0_17block_load_methodE3ELS4_3ELS4_3ELNS0_20block_scan_algorithmE0ELj4294967295EEENS1_25partition_config_selectorILNS1_17partition_subalgoE4EjNS0_10empty_typeEbEEZZNS1_14partition_implILS8_4ELb0ES6_15HIP_vector_typeIjLj2EENS0_17counting_iteratorIjlEEPS9_SG_NS0_5tupleIJPjSI_NS0_16reverse_iteratorISI_EEEEENSH_IJSG_SG_SG_EEES9_SI_JZNS1_25segmented_radix_sort_implINS0_14default_configELb0EPKlPlSQ_SR_N2at6native12_GLOBAL__N_18offset_tEEE10hipError_tPvRmT1_PNSt15iterator_traitsISZ_E10value_typeET2_T3_PNS10_IS15_E10value_typeET4_jRbjT5_S1B_jjP12ihipStream_tbEUljE_ZNSN_ISO_Lb0ESQ_SR_SQ_SR_SV_EESW_SX_SY_SZ_S13_S14_S15_S18_S19_jS1A_jS1B_S1B_jjS1D_bEUljE0_EEESW_SX_SY_S15_S19_S1B_T6_T7_T9_mT8_S1D_bDpT10_ENKUlT_T0_E_clISt17integral_constantIbLb0EES1Q_IbLb1EEEEDaS1M_S1N_EUlS1M_E_NS1_11comp_targetILNS1_3genE2ELNS1_11target_archE906ELNS1_3gpuE6ELNS1_3repE0EEENS1_30default_config_static_selectorELNS0_4arch9wavefront6targetE1EEEvSZ_
    .private_segment_fixed_size: 0
    .sgpr_count:     91
    .sgpr_spill_count: 0
    .symbol:         _ZN7rocprim17ROCPRIM_400000_NS6detail17trampoline_kernelINS0_13select_configILj256ELj13ELNS0_17block_load_methodE3ELS4_3ELS4_3ELNS0_20block_scan_algorithmE0ELj4294967295EEENS1_25partition_config_selectorILNS1_17partition_subalgoE4EjNS0_10empty_typeEbEEZZNS1_14partition_implILS8_4ELb0ES6_15HIP_vector_typeIjLj2EENS0_17counting_iteratorIjlEEPS9_SG_NS0_5tupleIJPjSI_NS0_16reverse_iteratorISI_EEEEENSH_IJSG_SG_SG_EEES9_SI_JZNS1_25segmented_radix_sort_implINS0_14default_configELb0EPKlPlSQ_SR_N2at6native12_GLOBAL__N_18offset_tEEE10hipError_tPvRmT1_PNSt15iterator_traitsISZ_E10value_typeET2_T3_PNS10_IS15_E10value_typeET4_jRbjT5_S1B_jjP12ihipStream_tbEUljE_ZNSN_ISO_Lb0ESQ_SR_SQ_SR_SV_EESW_SX_SY_SZ_S13_S14_S15_S18_S19_jS1A_jS1B_S1B_jjS1D_bEUljE0_EEESW_SX_SY_S15_S19_S1B_T6_T7_T9_mT8_S1D_bDpT10_ENKUlT_T0_E_clISt17integral_constantIbLb0EES1Q_IbLb1EEEEDaS1M_S1N_EUlS1M_E_NS1_11comp_targetILNS1_3genE2ELNS1_11target_archE906ELNS1_3gpuE6ELNS1_3repE0EEENS1_30default_config_static_selectorELNS0_4arch9wavefront6targetE1EEEvSZ_.kd
    .uniform_work_group_size: 1
    .uses_dynamic_stack: false
    .vgpr_count:     91
    .vgpr_spill_count: 0
    .wavefront_size: 64
  - .args:
      - .offset:         0
        .size:           184
        .value_kind:     by_value
    .group_segment_fixed_size: 0
    .kernarg_segment_align: 8
    .kernarg_segment_size: 184
    .language:       OpenCL C
    .language_version:
      - 2
      - 0
    .max_flat_workgroup_size: 256
    .name:           _ZN7rocprim17ROCPRIM_400000_NS6detail17trampoline_kernelINS0_13select_configILj256ELj13ELNS0_17block_load_methodE3ELS4_3ELS4_3ELNS0_20block_scan_algorithmE0ELj4294967295EEENS1_25partition_config_selectorILNS1_17partition_subalgoE4EjNS0_10empty_typeEbEEZZNS1_14partition_implILS8_4ELb0ES6_15HIP_vector_typeIjLj2EENS0_17counting_iteratorIjlEEPS9_SG_NS0_5tupleIJPjSI_NS0_16reverse_iteratorISI_EEEEENSH_IJSG_SG_SG_EEES9_SI_JZNS1_25segmented_radix_sort_implINS0_14default_configELb0EPKlPlSQ_SR_N2at6native12_GLOBAL__N_18offset_tEEE10hipError_tPvRmT1_PNSt15iterator_traitsISZ_E10value_typeET2_T3_PNS10_IS15_E10value_typeET4_jRbjT5_S1B_jjP12ihipStream_tbEUljE_ZNSN_ISO_Lb0ESQ_SR_SQ_SR_SV_EESW_SX_SY_SZ_S13_S14_S15_S18_S19_jS1A_jS1B_S1B_jjS1D_bEUljE0_EEESW_SX_SY_S15_S19_S1B_T6_T7_T9_mT8_S1D_bDpT10_ENKUlT_T0_E_clISt17integral_constantIbLb0EES1Q_IbLb1EEEEDaS1M_S1N_EUlS1M_E_NS1_11comp_targetILNS1_3genE10ELNS1_11target_archE1200ELNS1_3gpuE4ELNS1_3repE0EEENS1_30default_config_static_selectorELNS0_4arch9wavefront6targetE1EEEvSZ_
    .private_segment_fixed_size: 0
    .sgpr_count:     4
    .sgpr_spill_count: 0
    .symbol:         _ZN7rocprim17ROCPRIM_400000_NS6detail17trampoline_kernelINS0_13select_configILj256ELj13ELNS0_17block_load_methodE3ELS4_3ELS4_3ELNS0_20block_scan_algorithmE0ELj4294967295EEENS1_25partition_config_selectorILNS1_17partition_subalgoE4EjNS0_10empty_typeEbEEZZNS1_14partition_implILS8_4ELb0ES6_15HIP_vector_typeIjLj2EENS0_17counting_iteratorIjlEEPS9_SG_NS0_5tupleIJPjSI_NS0_16reverse_iteratorISI_EEEEENSH_IJSG_SG_SG_EEES9_SI_JZNS1_25segmented_radix_sort_implINS0_14default_configELb0EPKlPlSQ_SR_N2at6native12_GLOBAL__N_18offset_tEEE10hipError_tPvRmT1_PNSt15iterator_traitsISZ_E10value_typeET2_T3_PNS10_IS15_E10value_typeET4_jRbjT5_S1B_jjP12ihipStream_tbEUljE_ZNSN_ISO_Lb0ESQ_SR_SQ_SR_SV_EESW_SX_SY_SZ_S13_S14_S15_S18_S19_jS1A_jS1B_S1B_jjS1D_bEUljE0_EEESW_SX_SY_S15_S19_S1B_T6_T7_T9_mT8_S1D_bDpT10_ENKUlT_T0_E_clISt17integral_constantIbLb0EES1Q_IbLb1EEEEDaS1M_S1N_EUlS1M_E_NS1_11comp_targetILNS1_3genE10ELNS1_11target_archE1200ELNS1_3gpuE4ELNS1_3repE0EEENS1_30default_config_static_selectorELNS0_4arch9wavefront6targetE1EEEvSZ_.kd
    .uniform_work_group_size: 1
    .uses_dynamic_stack: false
    .vgpr_count:     0
    .vgpr_spill_count: 0
    .wavefront_size: 64
  - .args:
      - .offset:         0
        .size:           184
        .value_kind:     by_value
    .group_segment_fixed_size: 0
    .kernarg_segment_align: 8
    .kernarg_segment_size: 184
    .language:       OpenCL C
    .language_version:
      - 2
      - 0
    .max_flat_workgroup_size: 256
    .name:           _ZN7rocprim17ROCPRIM_400000_NS6detail17trampoline_kernelINS0_13select_configILj256ELj13ELNS0_17block_load_methodE3ELS4_3ELS4_3ELNS0_20block_scan_algorithmE0ELj4294967295EEENS1_25partition_config_selectorILNS1_17partition_subalgoE4EjNS0_10empty_typeEbEEZZNS1_14partition_implILS8_4ELb0ES6_15HIP_vector_typeIjLj2EENS0_17counting_iteratorIjlEEPS9_SG_NS0_5tupleIJPjSI_NS0_16reverse_iteratorISI_EEEEENSH_IJSG_SG_SG_EEES9_SI_JZNS1_25segmented_radix_sort_implINS0_14default_configELb0EPKlPlSQ_SR_N2at6native12_GLOBAL__N_18offset_tEEE10hipError_tPvRmT1_PNSt15iterator_traitsISZ_E10value_typeET2_T3_PNS10_IS15_E10value_typeET4_jRbjT5_S1B_jjP12ihipStream_tbEUljE_ZNSN_ISO_Lb0ESQ_SR_SQ_SR_SV_EESW_SX_SY_SZ_S13_S14_S15_S18_S19_jS1A_jS1B_S1B_jjS1D_bEUljE0_EEESW_SX_SY_S15_S19_S1B_T6_T7_T9_mT8_S1D_bDpT10_ENKUlT_T0_E_clISt17integral_constantIbLb0EES1Q_IbLb1EEEEDaS1M_S1N_EUlS1M_E_NS1_11comp_targetILNS1_3genE9ELNS1_11target_archE1100ELNS1_3gpuE3ELNS1_3repE0EEENS1_30default_config_static_selectorELNS0_4arch9wavefront6targetE1EEEvSZ_
    .private_segment_fixed_size: 0
    .sgpr_count:     4
    .sgpr_spill_count: 0
    .symbol:         _ZN7rocprim17ROCPRIM_400000_NS6detail17trampoline_kernelINS0_13select_configILj256ELj13ELNS0_17block_load_methodE3ELS4_3ELS4_3ELNS0_20block_scan_algorithmE0ELj4294967295EEENS1_25partition_config_selectorILNS1_17partition_subalgoE4EjNS0_10empty_typeEbEEZZNS1_14partition_implILS8_4ELb0ES6_15HIP_vector_typeIjLj2EENS0_17counting_iteratorIjlEEPS9_SG_NS0_5tupleIJPjSI_NS0_16reverse_iteratorISI_EEEEENSH_IJSG_SG_SG_EEES9_SI_JZNS1_25segmented_radix_sort_implINS0_14default_configELb0EPKlPlSQ_SR_N2at6native12_GLOBAL__N_18offset_tEEE10hipError_tPvRmT1_PNSt15iterator_traitsISZ_E10value_typeET2_T3_PNS10_IS15_E10value_typeET4_jRbjT5_S1B_jjP12ihipStream_tbEUljE_ZNSN_ISO_Lb0ESQ_SR_SQ_SR_SV_EESW_SX_SY_SZ_S13_S14_S15_S18_S19_jS1A_jS1B_S1B_jjS1D_bEUljE0_EEESW_SX_SY_S15_S19_S1B_T6_T7_T9_mT8_S1D_bDpT10_ENKUlT_T0_E_clISt17integral_constantIbLb0EES1Q_IbLb1EEEEDaS1M_S1N_EUlS1M_E_NS1_11comp_targetILNS1_3genE9ELNS1_11target_archE1100ELNS1_3gpuE3ELNS1_3repE0EEENS1_30default_config_static_selectorELNS0_4arch9wavefront6targetE1EEEvSZ_.kd
    .uniform_work_group_size: 1
    .uses_dynamic_stack: false
    .vgpr_count:     0
    .vgpr_spill_count: 0
    .wavefront_size: 64
  - .args:
      - .offset:         0
        .size:           184
        .value_kind:     by_value
    .group_segment_fixed_size: 0
    .kernarg_segment_align: 8
    .kernarg_segment_size: 184
    .language:       OpenCL C
    .language_version:
      - 2
      - 0
    .max_flat_workgroup_size: 256
    .name:           _ZN7rocprim17ROCPRIM_400000_NS6detail17trampoline_kernelINS0_13select_configILj256ELj13ELNS0_17block_load_methodE3ELS4_3ELS4_3ELNS0_20block_scan_algorithmE0ELj4294967295EEENS1_25partition_config_selectorILNS1_17partition_subalgoE4EjNS0_10empty_typeEbEEZZNS1_14partition_implILS8_4ELb0ES6_15HIP_vector_typeIjLj2EENS0_17counting_iteratorIjlEEPS9_SG_NS0_5tupleIJPjSI_NS0_16reverse_iteratorISI_EEEEENSH_IJSG_SG_SG_EEES9_SI_JZNS1_25segmented_radix_sort_implINS0_14default_configELb0EPKlPlSQ_SR_N2at6native12_GLOBAL__N_18offset_tEEE10hipError_tPvRmT1_PNSt15iterator_traitsISZ_E10value_typeET2_T3_PNS10_IS15_E10value_typeET4_jRbjT5_S1B_jjP12ihipStream_tbEUljE_ZNSN_ISO_Lb0ESQ_SR_SQ_SR_SV_EESW_SX_SY_SZ_S13_S14_S15_S18_S19_jS1A_jS1B_S1B_jjS1D_bEUljE0_EEESW_SX_SY_S15_S19_S1B_T6_T7_T9_mT8_S1D_bDpT10_ENKUlT_T0_E_clISt17integral_constantIbLb0EES1Q_IbLb1EEEEDaS1M_S1N_EUlS1M_E_NS1_11comp_targetILNS1_3genE8ELNS1_11target_archE1030ELNS1_3gpuE2ELNS1_3repE0EEENS1_30default_config_static_selectorELNS0_4arch9wavefront6targetE1EEEvSZ_
    .private_segment_fixed_size: 0
    .sgpr_count:     4
    .sgpr_spill_count: 0
    .symbol:         _ZN7rocprim17ROCPRIM_400000_NS6detail17trampoline_kernelINS0_13select_configILj256ELj13ELNS0_17block_load_methodE3ELS4_3ELS4_3ELNS0_20block_scan_algorithmE0ELj4294967295EEENS1_25partition_config_selectorILNS1_17partition_subalgoE4EjNS0_10empty_typeEbEEZZNS1_14partition_implILS8_4ELb0ES6_15HIP_vector_typeIjLj2EENS0_17counting_iteratorIjlEEPS9_SG_NS0_5tupleIJPjSI_NS0_16reverse_iteratorISI_EEEEENSH_IJSG_SG_SG_EEES9_SI_JZNS1_25segmented_radix_sort_implINS0_14default_configELb0EPKlPlSQ_SR_N2at6native12_GLOBAL__N_18offset_tEEE10hipError_tPvRmT1_PNSt15iterator_traitsISZ_E10value_typeET2_T3_PNS10_IS15_E10value_typeET4_jRbjT5_S1B_jjP12ihipStream_tbEUljE_ZNSN_ISO_Lb0ESQ_SR_SQ_SR_SV_EESW_SX_SY_SZ_S13_S14_S15_S18_S19_jS1A_jS1B_S1B_jjS1D_bEUljE0_EEESW_SX_SY_S15_S19_S1B_T6_T7_T9_mT8_S1D_bDpT10_ENKUlT_T0_E_clISt17integral_constantIbLb0EES1Q_IbLb1EEEEDaS1M_S1N_EUlS1M_E_NS1_11comp_targetILNS1_3genE8ELNS1_11target_archE1030ELNS1_3gpuE2ELNS1_3repE0EEENS1_30default_config_static_selectorELNS0_4arch9wavefront6targetE1EEEvSZ_.kd
    .uniform_work_group_size: 1
    .uses_dynamic_stack: false
    .vgpr_count:     0
    .vgpr_spill_count: 0
    .wavefront_size: 64
  - .args:
      - .offset:         0
        .size:           144
        .value_kind:     by_value
    .group_segment_fixed_size: 0
    .kernarg_segment_align: 8
    .kernarg_segment_size: 144
    .language:       OpenCL C
    .language_version:
      - 2
      - 0
    .max_flat_workgroup_size: 256
    .name:           _ZN7rocprim17ROCPRIM_400000_NS6detail17trampoline_kernelINS0_13select_configILj256ELj13ELNS0_17block_load_methodE3ELS4_3ELS4_3ELNS0_20block_scan_algorithmE0ELj4294967295EEENS1_25partition_config_selectorILNS1_17partition_subalgoE3EjNS0_10empty_typeEbEEZZNS1_14partition_implILS8_3ELb0ES6_jNS0_17counting_iteratorIjlEEPS9_SE_NS0_5tupleIJPjSE_EEENSF_IJSE_SE_EEES9_SG_JZNS1_25segmented_radix_sort_implINS0_14default_configELb0EPKlPlSM_SN_N2at6native12_GLOBAL__N_18offset_tEEE10hipError_tPvRmT1_PNSt15iterator_traitsISV_E10value_typeET2_T3_PNSW_IS11_E10value_typeET4_jRbjT5_S17_jjP12ihipStream_tbEUljE_EEESS_ST_SU_S11_S15_S17_T6_T7_T9_mT8_S19_bDpT10_ENKUlT_T0_E_clISt17integral_constantIbLb0EES1M_EEDaS1H_S1I_EUlS1H_E_NS1_11comp_targetILNS1_3genE0ELNS1_11target_archE4294967295ELNS1_3gpuE0ELNS1_3repE0EEENS1_30default_config_static_selectorELNS0_4arch9wavefront6targetE1EEEvSV_
    .private_segment_fixed_size: 0
    .sgpr_count:     4
    .sgpr_spill_count: 0
    .symbol:         _ZN7rocprim17ROCPRIM_400000_NS6detail17trampoline_kernelINS0_13select_configILj256ELj13ELNS0_17block_load_methodE3ELS4_3ELS4_3ELNS0_20block_scan_algorithmE0ELj4294967295EEENS1_25partition_config_selectorILNS1_17partition_subalgoE3EjNS0_10empty_typeEbEEZZNS1_14partition_implILS8_3ELb0ES6_jNS0_17counting_iteratorIjlEEPS9_SE_NS0_5tupleIJPjSE_EEENSF_IJSE_SE_EEES9_SG_JZNS1_25segmented_radix_sort_implINS0_14default_configELb0EPKlPlSM_SN_N2at6native12_GLOBAL__N_18offset_tEEE10hipError_tPvRmT1_PNSt15iterator_traitsISV_E10value_typeET2_T3_PNSW_IS11_E10value_typeET4_jRbjT5_S17_jjP12ihipStream_tbEUljE_EEESS_ST_SU_S11_S15_S17_T6_T7_T9_mT8_S19_bDpT10_ENKUlT_T0_E_clISt17integral_constantIbLb0EES1M_EEDaS1H_S1I_EUlS1H_E_NS1_11comp_targetILNS1_3genE0ELNS1_11target_archE4294967295ELNS1_3gpuE0ELNS1_3repE0EEENS1_30default_config_static_selectorELNS0_4arch9wavefront6targetE1EEEvSV_.kd
    .uniform_work_group_size: 1
    .uses_dynamic_stack: false
    .vgpr_count:     0
    .vgpr_spill_count: 0
    .wavefront_size: 64
  - .args:
      - .offset:         0
        .size:           144
        .value_kind:     by_value
    .group_segment_fixed_size: 0
    .kernarg_segment_align: 8
    .kernarg_segment_size: 144
    .language:       OpenCL C
    .language_version:
      - 2
      - 0
    .max_flat_workgroup_size: 256
    .name:           _ZN7rocprim17ROCPRIM_400000_NS6detail17trampoline_kernelINS0_13select_configILj256ELj13ELNS0_17block_load_methodE3ELS4_3ELS4_3ELNS0_20block_scan_algorithmE0ELj4294967295EEENS1_25partition_config_selectorILNS1_17partition_subalgoE3EjNS0_10empty_typeEbEEZZNS1_14partition_implILS8_3ELb0ES6_jNS0_17counting_iteratorIjlEEPS9_SE_NS0_5tupleIJPjSE_EEENSF_IJSE_SE_EEES9_SG_JZNS1_25segmented_radix_sort_implINS0_14default_configELb0EPKlPlSM_SN_N2at6native12_GLOBAL__N_18offset_tEEE10hipError_tPvRmT1_PNSt15iterator_traitsISV_E10value_typeET2_T3_PNSW_IS11_E10value_typeET4_jRbjT5_S17_jjP12ihipStream_tbEUljE_EEESS_ST_SU_S11_S15_S17_T6_T7_T9_mT8_S19_bDpT10_ENKUlT_T0_E_clISt17integral_constantIbLb0EES1M_EEDaS1H_S1I_EUlS1H_E_NS1_11comp_targetILNS1_3genE5ELNS1_11target_archE942ELNS1_3gpuE9ELNS1_3repE0EEENS1_30default_config_static_selectorELNS0_4arch9wavefront6targetE1EEEvSV_
    .private_segment_fixed_size: 0
    .sgpr_count:     4
    .sgpr_spill_count: 0
    .symbol:         _ZN7rocprim17ROCPRIM_400000_NS6detail17trampoline_kernelINS0_13select_configILj256ELj13ELNS0_17block_load_methodE3ELS4_3ELS4_3ELNS0_20block_scan_algorithmE0ELj4294967295EEENS1_25partition_config_selectorILNS1_17partition_subalgoE3EjNS0_10empty_typeEbEEZZNS1_14partition_implILS8_3ELb0ES6_jNS0_17counting_iteratorIjlEEPS9_SE_NS0_5tupleIJPjSE_EEENSF_IJSE_SE_EEES9_SG_JZNS1_25segmented_radix_sort_implINS0_14default_configELb0EPKlPlSM_SN_N2at6native12_GLOBAL__N_18offset_tEEE10hipError_tPvRmT1_PNSt15iterator_traitsISV_E10value_typeET2_T3_PNSW_IS11_E10value_typeET4_jRbjT5_S17_jjP12ihipStream_tbEUljE_EEESS_ST_SU_S11_S15_S17_T6_T7_T9_mT8_S19_bDpT10_ENKUlT_T0_E_clISt17integral_constantIbLb0EES1M_EEDaS1H_S1I_EUlS1H_E_NS1_11comp_targetILNS1_3genE5ELNS1_11target_archE942ELNS1_3gpuE9ELNS1_3repE0EEENS1_30default_config_static_selectorELNS0_4arch9wavefront6targetE1EEEvSV_.kd
    .uniform_work_group_size: 1
    .uses_dynamic_stack: false
    .vgpr_count:     0
    .vgpr_spill_count: 0
    .wavefront_size: 64
  - .args:
      - .offset:         0
        .size:           144
        .value_kind:     by_value
    .group_segment_fixed_size: 0
    .kernarg_segment_align: 8
    .kernarg_segment_size: 144
    .language:       OpenCL C
    .language_version:
      - 2
      - 0
    .max_flat_workgroup_size: 256
    .name:           _ZN7rocprim17ROCPRIM_400000_NS6detail17trampoline_kernelINS0_13select_configILj256ELj13ELNS0_17block_load_methodE3ELS4_3ELS4_3ELNS0_20block_scan_algorithmE0ELj4294967295EEENS1_25partition_config_selectorILNS1_17partition_subalgoE3EjNS0_10empty_typeEbEEZZNS1_14partition_implILS8_3ELb0ES6_jNS0_17counting_iteratorIjlEEPS9_SE_NS0_5tupleIJPjSE_EEENSF_IJSE_SE_EEES9_SG_JZNS1_25segmented_radix_sort_implINS0_14default_configELb0EPKlPlSM_SN_N2at6native12_GLOBAL__N_18offset_tEEE10hipError_tPvRmT1_PNSt15iterator_traitsISV_E10value_typeET2_T3_PNSW_IS11_E10value_typeET4_jRbjT5_S17_jjP12ihipStream_tbEUljE_EEESS_ST_SU_S11_S15_S17_T6_T7_T9_mT8_S19_bDpT10_ENKUlT_T0_E_clISt17integral_constantIbLb0EES1M_EEDaS1H_S1I_EUlS1H_E_NS1_11comp_targetILNS1_3genE4ELNS1_11target_archE910ELNS1_3gpuE8ELNS1_3repE0EEENS1_30default_config_static_selectorELNS0_4arch9wavefront6targetE1EEEvSV_
    .private_segment_fixed_size: 0
    .sgpr_count:     4
    .sgpr_spill_count: 0
    .symbol:         _ZN7rocprim17ROCPRIM_400000_NS6detail17trampoline_kernelINS0_13select_configILj256ELj13ELNS0_17block_load_methodE3ELS4_3ELS4_3ELNS0_20block_scan_algorithmE0ELj4294967295EEENS1_25partition_config_selectorILNS1_17partition_subalgoE3EjNS0_10empty_typeEbEEZZNS1_14partition_implILS8_3ELb0ES6_jNS0_17counting_iteratorIjlEEPS9_SE_NS0_5tupleIJPjSE_EEENSF_IJSE_SE_EEES9_SG_JZNS1_25segmented_radix_sort_implINS0_14default_configELb0EPKlPlSM_SN_N2at6native12_GLOBAL__N_18offset_tEEE10hipError_tPvRmT1_PNSt15iterator_traitsISV_E10value_typeET2_T3_PNSW_IS11_E10value_typeET4_jRbjT5_S17_jjP12ihipStream_tbEUljE_EEESS_ST_SU_S11_S15_S17_T6_T7_T9_mT8_S19_bDpT10_ENKUlT_T0_E_clISt17integral_constantIbLb0EES1M_EEDaS1H_S1I_EUlS1H_E_NS1_11comp_targetILNS1_3genE4ELNS1_11target_archE910ELNS1_3gpuE8ELNS1_3repE0EEENS1_30default_config_static_selectorELNS0_4arch9wavefront6targetE1EEEvSV_.kd
    .uniform_work_group_size: 1
    .uses_dynamic_stack: false
    .vgpr_count:     0
    .vgpr_spill_count: 0
    .wavefront_size: 64
  - .args:
      - .offset:         0
        .size:           144
        .value_kind:     by_value
    .group_segment_fixed_size: 0
    .kernarg_segment_align: 8
    .kernarg_segment_size: 144
    .language:       OpenCL C
    .language_version:
      - 2
      - 0
    .max_flat_workgroup_size: 256
    .name:           _ZN7rocprim17ROCPRIM_400000_NS6detail17trampoline_kernelINS0_13select_configILj256ELj13ELNS0_17block_load_methodE3ELS4_3ELS4_3ELNS0_20block_scan_algorithmE0ELj4294967295EEENS1_25partition_config_selectorILNS1_17partition_subalgoE3EjNS0_10empty_typeEbEEZZNS1_14partition_implILS8_3ELb0ES6_jNS0_17counting_iteratorIjlEEPS9_SE_NS0_5tupleIJPjSE_EEENSF_IJSE_SE_EEES9_SG_JZNS1_25segmented_radix_sort_implINS0_14default_configELb0EPKlPlSM_SN_N2at6native12_GLOBAL__N_18offset_tEEE10hipError_tPvRmT1_PNSt15iterator_traitsISV_E10value_typeET2_T3_PNSW_IS11_E10value_typeET4_jRbjT5_S17_jjP12ihipStream_tbEUljE_EEESS_ST_SU_S11_S15_S17_T6_T7_T9_mT8_S19_bDpT10_ENKUlT_T0_E_clISt17integral_constantIbLb0EES1M_EEDaS1H_S1I_EUlS1H_E_NS1_11comp_targetILNS1_3genE3ELNS1_11target_archE908ELNS1_3gpuE7ELNS1_3repE0EEENS1_30default_config_static_selectorELNS0_4arch9wavefront6targetE1EEEvSV_
    .private_segment_fixed_size: 0
    .sgpr_count:     4
    .sgpr_spill_count: 0
    .symbol:         _ZN7rocprim17ROCPRIM_400000_NS6detail17trampoline_kernelINS0_13select_configILj256ELj13ELNS0_17block_load_methodE3ELS4_3ELS4_3ELNS0_20block_scan_algorithmE0ELj4294967295EEENS1_25partition_config_selectorILNS1_17partition_subalgoE3EjNS0_10empty_typeEbEEZZNS1_14partition_implILS8_3ELb0ES6_jNS0_17counting_iteratorIjlEEPS9_SE_NS0_5tupleIJPjSE_EEENSF_IJSE_SE_EEES9_SG_JZNS1_25segmented_radix_sort_implINS0_14default_configELb0EPKlPlSM_SN_N2at6native12_GLOBAL__N_18offset_tEEE10hipError_tPvRmT1_PNSt15iterator_traitsISV_E10value_typeET2_T3_PNSW_IS11_E10value_typeET4_jRbjT5_S17_jjP12ihipStream_tbEUljE_EEESS_ST_SU_S11_S15_S17_T6_T7_T9_mT8_S19_bDpT10_ENKUlT_T0_E_clISt17integral_constantIbLb0EES1M_EEDaS1H_S1I_EUlS1H_E_NS1_11comp_targetILNS1_3genE3ELNS1_11target_archE908ELNS1_3gpuE7ELNS1_3repE0EEENS1_30default_config_static_selectorELNS0_4arch9wavefront6targetE1EEEvSV_.kd
    .uniform_work_group_size: 1
    .uses_dynamic_stack: false
    .vgpr_count:     0
    .vgpr_spill_count: 0
    .wavefront_size: 64
  - .args:
      - .offset:         0
        .size:           144
        .value_kind:     by_value
    .group_segment_fixed_size: 13320
    .kernarg_segment_align: 8
    .kernarg_segment_size: 144
    .language:       OpenCL C
    .language_version:
      - 2
      - 0
    .max_flat_workgroup_size: 256
    .name:           _ZN7rocprim17ROCPRIM_400000_NS6detail17trampoline_kernelINS0_13select_configILj256ELj13ELNS0_17block_load_methodE3ELS4_3ELS4_3ELNS0_20block_scan_algorithmE0ELj4294967295EEENS1_25partition_config_selectorILNS1_17partition_subalgoE3EjNS0_10empty_typeEbEEZZNS1_14partition_implILS8_3ELb0ES6_jNS0_17counting_iteratorIjlEEPS9_SE_NS0_5tupleIJPjSE_EEENSF_IJSE_SE_EEES9_SG_JZNS1_25segmented_radix_sort_implINS0_14default_configELb0EPKlPlSM_SN_N2at6native12_GLOBAL__N_18offset_tEEE10hipError_tPvRmT1_PNSt15iterator_traitsISV_E10value_typeET2_T3_PNSW_IS11_E10value_typeET4_jRbjT5_S17_jjP12ihipStream_tbEUljE_EEESS_ST_SU_S11_S15_S17_T6_T7_T9_mT8_S19_bDpT10_ENKUlT_T0_E_clISt17integral_constantIbLb0EES1M_EEDaS1H_S1I_EUlS1H_E_NS1_11comp_targetILNS1_3genE2ELNS1_11target_archE906ELNS1_3gpuE6ELNS1_3repE0EEENS1_30default_config_static_selectorELNS0_4arch9wavefront6targetE1EEEvSV_
    .private_segment_fixed_size: 0
    .sgpr_count:     52
    .sgpr_spill_count: 0
    .symbol:         _ZN7rocprim17ROCPRIM_400000_NS6detail17trampoline_kernelINS0_13select_configILj256ELj13ELNS0_17block_load_methodE3ELS4_3ELS4_3ELNS0_20block_scan_algorithmE0ELj4294967295EEENS1_25partition_config_selectorILNS1_17partition_subalgoE3EjNS0_10empty_typeEbEEZZNS1_14partition_implILS8_3ELb0ES6_jNS0_17counting_iteratorIjlEEPS9_SE_NS0_5tupleIJPjSE_EEENSF_IJSE_SE_EEES9_SG_JZNS1_25segmented_radix_sort_implINS0_14default_configELb0EPKlPlSM_SN_N2at6native12_GLOBAL__N_18offset_tEEE10hipError_tPvRmT1_PNSt15iterator_traitsISV_E10value_typeET2_T3_PNSW_IS11_E10value_typeET4_jRbjT5_S17_jjP12ihipStream_tbEUljE_EEESS_ST_SU_S11_S15_S17_T6_T7_T9_mT8_S19_bDpT10_ENKUlT_T0_E_clISt17integral_constantIbLb0EES1M_EEDaS1H_S1I_EUlS1H_E_NS1_11comp_targetILNS1_3genE2ELNS1_11target_archE906ELNS1_3gpuE6ELNS1_3repE0EEENS1_30default_config_static_selectorELNS0_4arch9wavefront6targetE1EEEvSV_.kd
    .uniform_work_group_size: 1
    .uses_dynamic_stack: false
    .vgpr_count:     69
    .vgpr_spill_count: 0
    .wavefront_size: 64
  - .args:
      - .offset:         0
        .size:           144
        .value_kind:     by_value
    .group_segment_fixed_size: 0
    .kernarg_segment_align: 8
    .kernarg_segment_size: 144
    .language:       OpenCL C
    .language_version:
      - 2
      - 0
    .max_flat_workgroup_size: 256
    .name:           _ZN7rocprim17ROCPRIM_400000_NS6detail17trampoline_kernelINS0_13select_configILj256ELj13ELNS0_17block_load_methodE3ELS4_3ELS4_3ELNS0_20block_scan_algorithmE0ELj4294967295EEENS1_25partition_config_selectorILNS1_17partition_subalgoE3EjNS0_10empty_typeEbEEZZNS1_14partition_implILS8_3ELb0ES6_jNS0_17counting_iteratorIjlEEPS9_SE_NS0_5tupleIJPjSE_EEENSF_IJSE_SE_EEES9_SG_JZNS1_25segmented_radix_sort_implINS0_14default_configELb0EPKlPlSM_SN_N2at6native12_GLOBAL__N_18offset_tEEE10hipError_tPvRmT1_PNSt15iterator_traitsISV_E10value_typeET2_T3_PNSW_IS11_E10value_typeET4_jRbjT5_S17_jjP12ihipStream_tbEUljE_EEESS_ST_SU_S11_S15_S17_T6_T7_T9_mT8_S19_bDpT10_ENKUlT_T0_E_clISt17integral_constantIbLb0EES1M_EEDaS1H_S1I_EUlS1H_E_NS1_11comp_targetILNS1_3genE10ELNS1_11target_archE1200ELNS1_3gpuE4ELNS1_3repE0EEENS1_30default_config_static_selectorELNS0_4arch9wavefront6targetE1EEEvSV_
    .private_segment_fixed_size: 0
    .sgpr_count:     4
    .sgpr_spill_count: 0
    .symbol:         _ZN7rocprim17ROCPRIM_400000_NS6detail17trampoline_kernelINS0_13select_configILj256ELj13ELNS0_17block_load_methodE3ELS4_3ELS4_3ELNS0_20block_scan_algorithmE0ELj4294967295EEENS1_25partition_config_selectorILNS1_17partition_subalgoE3EjNS0_10empty_typeEbEEZZNS1_14partition_implILS8_3ELb0ES6_jNS0_17counting_iteratorIjlEEPS9_SE_NS0_5tupleIJPjSE_EEENSF_IJSE_SE_EEES9_SG_JZNS1_25segmented_radix_sort_implINS0_14default_configELb0EPKlPlSM_SN_N2at6native12_GLOBAL__N_18offset_tEEE10hipError_tPvRmT1_PNSt15iterator_traitsISV_E10value_typeET2_T3_PNSW_IS11_E10value_typeET4_jRbjT5_S17_jjP12ihipStream_tbEUljE_EEESS_ST_SU_S11_S15_S17_T6_T7_T9_mT8_S19_bDpT10_ENKUlT_T0_E_clISt17integral_constantIbLb0EES1M_EEDaS1H_S1I_EUlS1H_E_NS1_11comp_targetILNS1_3genE10ELNS1_11target_archE1200ELNS1_3gpuE4ELNS1_3repE0EEENS1_30default_config_static_selectorELNS0_4arch9wavefront6targetE1EEEvSV_.kd
    .uniform_work_group_size: 1
    .uses_dynamic_stack: false
    .vgpr_count:     0
    .vgpr_spill_count: 0
    .wavefront_size: 64
  - .args:
      - .offset:         0
        .size:           144
        .value_kind:     by_value
    .group_segment_fixed_size: 0
    .kernarg_segment_align: 8
    .kernarg_segment_size: 144
    .language:       OpenCL C
    .language_version:
      - 2
      - 0
    .max_flat_workgroup_size: 256
    .name:           _ZN7rocprim17ROCPRIM_400000_NS6detail17trampoline_kernelINS0_13select_configILj256ELj13ELNS0_17block_load_methodE3ELS4_3ELS4_3ELNS0_20block_scan_algorithmE0ELj4294967295EEENS1_25partition_config_selectorILNS1_17partition_subalgoE3EjNS0_10empty_typeEbEEZZNS1_14partition_implILS8_3ELb0ES6_jNS0_17counting_iteratorIjlEEPS9_SE_NS0_5tupleIJPjSE_EEENSF_IJSE_SE_EEES9_SG_JZNS1_25segmented_radix_sort_implINS0_14default_configELb0EPKlPlSM_SN_N2at6native12_GLOBAL__N_18offset_tEEE10hipError_tPvRmT1_PNSt15iterator_traitsISV_E10value_typeET2_T3_PNSW_IS11_E10value_typeET4_jRbjT5_S17_jjP12ihipStream_tbEUljE_EEESS_ST_SU_S11_S15_S17_T6_T7_T9_mT8_S19_bDpT10_ENKUlT_T0_E_clISt17integral_constantIbLb0EES1M_EEDaS1H_S1I_EUlS1H_E_NS1_11comp_targetILNS1_3genE9ELNS1_11target_archE1100ELNS1_3gpuE3ELNS1_3repE0EEENS1_30default_config_static_selectorELNS0_4arch9wavefront6targetE1EEEvSV_
    .private_segment_fixed_size: 0
    .sgpr_count:     4
    .sgpr_spill_count: 0
    .symbol:         _ZN7rocprim17ROCPRIM_400000_NS6detail17trampoline_kernelINS0_13select_configILj256ELj13ELNS0_17block_load_methodE3ELS4_3ELS4_3ELNS0_20block_scan_algorithmE0ELj4294967295EEENS1_25partition_config_selectorILNS1_17partition_subalgoE3EjNS0_10empty_typeEbEEZZNS1_14partition_implILS8_3ELb0ES6_jNS0_17counting_iteratorIjlEEPS9_SE_NS0_5tupleIJPjSE_EEENSF_IJSE_SE_EEES9_SG_JZNS1_25segmented_radix_sort_implINS0_14default_configELb0EPKlPlSM_SN_N2at6native12_GLOBAL__N_18offset_tEEE10hipError_tPvRmT1_PNSt15iterator_traitsISV_E10value_typeET2_T3_PNSW_IS11_E10value_typeET4_jRbjT5_S17_jjP12ihipStream_tbEUljE_EEESS_ST_SU_S11_S15_S17_T6_T7_T9_mT8_S19_bDpT10_ENKUlT_T0_E_clISt17integral_constantIbLb0EES1M_EEDaS1H_S1I_EUlS1H_E_NS1_11comp_targetILNS1_3genE9ELNS1_11target_archE1100ELNS1_3gpuE3ELNS1_3repE0EEENS1_30default_config_static_selectorELNS0_4arch9wavefront6targetE1EEEvSV_.kd
    .uniform_work_group_size: 1
    .uses_dynamic_stack: false
    .vgpr_count:     0
    .vgpr_spill_count: 0
    .wavefront_size: 64
  - .args:
      - .offset:         0
        .size:           144
        .value_kind:     by_value
    .group_segment_fixed_size: 0
    .kernarg_segment_align: 8
    .kernarg_segment_size: 144
    .language:       OpenCL C
    .language_version:
      - 2
      - 0
    .max_flat_workgroup_size: 256
    .name:           _ZN7rocprim17ROCPRIM_400000_NS6detail17trampoline_kernelINS0_13select_configILj256ELj13ELNS0_17block_load_methodE3ELS4_3ELS4_3ELNS0_20block_scan_algorithmE0ELj4294967295EEENS1_25partition_config_selectorILNS1_17partition_subalgoE3EjNS0_10empty_typeEbEEZZNS1_14partition_implILS8_3ELb0ES6_jNS0_17counting_iteratorIjlEEPS9_SE_NS0_5tupleIJPjSE_EEENSF_IJSE_SE_EEES9_SG_JZNS1_25segmented_radix_sort_implINS0_14default_configELb0EPKlPlSM_SN_N2at6native12_GLOBAL__N_18offset_tEEE10hipError_tPvRmT1_PNSt15iterator_traitsISV_E10value_typeET2_T3_PNSW_IS11_E10value_typeET4_jRbjT5_S17_jjP12ihipStream_tbEUljE_EEESS_ST_SU_S11_S15_S17_T6_T7_T9_mT8_S19_bDpT10_ENKUlT_T0_E_clISt17integral_constantIbLb0EES1M_EEDaS1H_S1I_EUlS1H_E_NS1_11comp_targetILNS1_3genE8ELNS1_11target_archE1030ELNS1_3gpuE2ELNS1_3repE0EEENS1_30default_config_static_selectorELNS0_4arch9wavefront6targetE1EEEvSV_
    .private_segment_fixed_size: 0
    .sgpr_count:     4
    .sgpr_spill_count: 0
    .symbol:         _ZN7rocprim17ROCPRIM_400000_NS6detail17trampoline_kernelINS0_13select_configILj256ELj13ELNS0_17block_load_methodE3ELS4_3ELS4_3ELNS0_20block_scan_algorithmE0ELj4294967295EEENS1_25partition_config_selectorILNS1_17partition_subalgoE3EjNS0_10empty_typeEbEEZZNS1_14partition_implILS8_3ELb0ES6_jNS0_17counting_iteratorIjlEEPS9_SE_NS0_5tupleIJPjSE_EEENSF_IJSE_SE_EEES9_SG_JZNS1_25segmented_radix_sort_implINS0_14default_configELb0EPKlPlSM_SN_N2at6native12_GLOBAL__N_18offset_tEEE10hipError_tPvRmT1_PNSt15iterator_traitsISV_E10value_typeET2_T3_PNSW_IS11_E10value_typeET4_jRbjT5_S17_jjP12ihipStream_tbEUljE_EEESS_ST_SU_S11_S15_S17_T6_T7_T9_mT8_S19_bDpT10_ENKUlT_T0_E_clISt17integral_constantIbLb0EES1M_EEDaS1H_S1I_EUlS1H_E_NS1_11comp_targetILNS1_3genE8ELNS1_11target_archE1030ELNS1_3gpuE2ELNS1_3repE0EEENS1_30default_config_static_selectorELNS0_4arch9wavefront6targetE1EEEvSV_.kd
    .uniform_work_group_size: 1
    .uses_dynamic_stack: false
    .vgpr_count:     0
    .vgpr_spill_count: 0
    .wavefront_size: 64
  - .args:
      - .offset:         0
        .size:           152
        .value_kind:     by_value
    .group_segment_fixed_size: 0
    .kernarg_segment_align: 8
    .kernarg_segment_size: 152
    .language:       OpenCL C
    .language_version:
      - 2
      - 0
    .max_flat_workgroup_size: 256
    .name:           _ZN7rocprim17ROCPRIM_400000_NS6detail17trampoline_kernelINS0_13select_configILj256ELj13ELNS0_17block_load_methodE3ELS4_3ELS4_3ELNS0_20block_scan_algorithmE0ELj4294967295EEENS1_25partition_config_selectorILNS1_17partition_subalgoE3EjNS0_10empty_typeEbEEZZNS1_14partition_implILS8_3ELb0ES6_jNS0_17counting_iteratorIjlEEPS9_SE_NS0_5tupleIJPjSE_EEENSF_IJSE_SE_EEES9_SG_JZNS1_25segmented_radix_sort_implINS0_14default_configELb0EPKlPlSM_SN_N2at6native12_GLOBAL__N_18offset_tEEE10hipError_tPvRmT1_PNSt15iterator_traitsISV_E10value_typeET2_T3_PNSW_IS11_E10value_typeET4_jRbjT5_S17_jjP12ihipStream_tbEUljE_EEESS_ST_SU_S11_S15_S17_T6_T7_T9_mT8_S19_bDpT10_ENKUlT_T0_E_clISt17integral_constantIbLb1EES1M_EEDaS1H_S1I_EUlS1H_E_NS1_11comp_targetILNS1_3genE0ELNS1_11target_archE4294967295ELNS1_3gpuE0ELNS1_3repE0EEENS1_30default_config_static_selectorELNS0_4arch9wavefront6targetE1EEEvSV_
    .private_segment_fixed_size: 0
    .sgpr_count:     4
    .sgpr_spill_count: 0
    .symbol:         _ZN7rocprim17ROCPRIM_400000_NS6detail17trampoline_kernelINS0_13select_configILj256ELj13ELNS0_17block_load_methodE3ELS4_3ELS4_3ELNS0_20block_scan_algorithmE0ELj4294967295EEENS1_25partition_config_selectorILNS1_17partition_subalgoE3EjNS0_10empty_typeEbEEZZNS1_14partition_implILS8_3ELb0ES6_jNS0_17counting_iteratorIjlEEPS9_SE_NS0_5tupleIJPjSE_EEENSF_IJSE_SE_EEES9_SG_JZNS1_25segmented_radix_sort_implINS0_14default_configELb0EPKlPlSM_SN_N2at6native12_GLOBAL__N_18offset_tEEE10hipError_tPvRmT1_PNSt15iterator_traitsISV_E10value_typeET2_T3_PNSW_IS11_E10value_typeET4_jRbjT5_S17_jjP12ihipStream_tbEUljE_EEESS_ST_SU_S11_S15_S17_T6_T7_T9_mT8_S19_bDpT10_ENKUlT_T0_E_clISt17integral_constantIbLb1EES1M_EEDaS1H_S1I_EUlS1H_E_NS1_11comp_targetILNS1_3genE0ELNS1_11target_archE4294967295ELNS1_3gpuE0ELNS1_3repE0EEENS1_30default_config_static_selectorELNS0_4arch9wavefront6targetE1EEEvSV_.kd
    .uniform_work_group_size: 1
    .uses_dynamic_stack: false
    .vgpr_count:     0
    .vgpr_spill_count: 0
    .wavefront_size: 64
  - .args:
      - .offset:         0
        .size:           152
        .value_kind:     by_value
    .group_segment_fixed_size: 0
    .kernarg_segment_align: 8
    .kernarg_segment_size: 152
    .language:       OpenCL C
    .language_version:
      - 2
      - 0
    .max_flat_workgroup_size: 256
    .name:           _ZN7rocprim17ROCPRIM_400000_NS6detail17trampoline_kernelINS0_13select_configILj256ELj13ELNS0_17block_load_methodE3ELS4_3ELS4_3ELNS0_20block_scan_algorithmE0ELj4294967295EEENS1_25partition_config_selectorILNS1_17partition_subalgoE3EjNS0_10empty_typeEbEEZZNS1_14partition_implILS8_3ELb0ES6_jNS0_17counting_iteratorIjlEEPS9_SE_NS0_5tupleIJPjSE_EEENSF_IJSE_SE_EEES9_SG_JZNS1_25segmented_radix_sort_implINS0_14default_configELb0EPKlPlSM_SN_N2at6native12_GLOBAL__N_18offset_tEEE10hipError_tPvRmT1_PNSt15iterator_traitsISV_E10value_typeET2_T3_PNSW_IS11_E10value_typeET4_jRbjT5_S17_jjP12ihipStream_tbEUljE_EEESS_ST_SU_S11_S15_S17_T6_T7_T9_mT8_S19_bDpT10_ENKUlT_T0_E_clISt17integral_constantIbLb1EES1M_EEDaS1H_S1I_EUlS1H_E_NS1_11comp_targetILNS1_3genE5ELNS1_11target_archE942ELNS1_3gpuE9ELNS1_3repE0EEENS1_30default_config_static_selectorELNS0_4arch9wavefront6targetE1EEEvSV_
    .private_segment_fixed_size: 0
    .sgpr_count:     4
    .sgpr_spill_count: 0
    .symbol:         _ZN7rocprim17ROCPRIM_400000_NS6detail17trampoline_kernelINS0_13select_configILj256ELj13ELNS0_17block_load_methodE3ELS4_3ELS4_3ELNS0_20block_scan_algorithmE0ELj4294967295EEENS1_25partition_config_selectorILNS1_17partition_subalgoE3EjNS0_10empty_typeEbEEZZNS1_14partition_implILS8_3ELb0ES6_jNS0_17counting_iteratorIjlEEPS9_SE_NS0_5tupleIJPjSE_EEENSF_IJSE_SE_EEES9_SG_JZNS1_25segmented_radix_sort_implINS0_14default_configELb0EPKlPlSM_SN_N2at6native12_GLOBAL__N_18offset_tEEE10hipError_tPvRmT1_PNSt15iterator_traitsISV_E10value_typeET2_T3_PNSW_IS11_E10value_typeET4_jRbjT5_S17_jjP12ihipStream_tbEUljE_EEESS_ST_SU_S11_S15_S17_T6_T7_T9_mT8_S19_bDpT10_ENKUlT_T0_E_clISt17integral_constantIbLb1EES1M_EEDaS1H_S1I_EUlS1H_E_NS1_11comp_targetILNS1_3genE5ELNS1_11target_archE942ELNS1_3gpuE9ELNS1_3repE0EEENS1_30default_config_static_selectorELNS0_4arch9wavefront6targetE1EEEvSV_.kd
    .uniform_work_group_size: 1
    .uses_dynamic_stack: false
    .vgpr_count:     0
    .vgpr_spill_count: 0
    .wavefront_size: 64
  - .args:
      - .offset:         0
        .size:           152
        .value_kind:     by_value
    .group_segment_fixed_size: 0
    .kernarg_segment_align: 8
    .kernarg_segment_size: 152
    .language:       OpenCL C
    .language_version:
      - 2
      - 0
    .max_flat_workgroup_size: 256
    .name:           _ZN7rocprim17ROCPRIM_400000_NS6detail17trampoline_kernelINS0_13select_configILj256ELj13ELNS0_17block_load_methodE3ELS4_3ELS4_3ELNS0_20block_scan_algorithmE0ELj4294967295EEENS1_25partition_config_selectorILNS1_17partition_subalgoE3EjNS0_10empty_typeEbEEZZNS1_14partition_implILS8_3ELb0ES6_jNS0_17counting_iteratorIjlEEPS9_SE_NS0_5tupleIJPjSE_EEENSF_IJSE_SE_EEES9_SG_JZNS1_25segmented_radix_sort_implINS0_14default_configELb0EPKlPlSM_SN_N2at6native12_GLOBAL__N_18offset_tEEE10hipError_tPvRmT1_PNSt15iterator_traitsISV_E10value_typeET2_T3_PNSW_IS11_E10value_typeET4_jRbjT5_S17_jjP12ihipStream_tbEUljE_EEESS_ST_SU_S11_S15_S17_T6_T7_T9_mT8_S19_bDpT10_ENKUlT_T0_E_clISt17integral_constantIbLb1EES1M_EEDaS1H_S1I_EUlS1H_E_NS1_11comp_targetILNS1_3genE4ELNS1_11target_archE910ELNS1_3gpuE8ELNS1_3repE0EEENS1_30default_config_static_selectorELNS0_4arch9wavefront6targetE1EEEvSV_
    .private_segment_fixed_size: 0
    .sgpr_count:     4
    .sgpr_spill_count: 0
    .symbol:         _ZN7rocprim17ROCPRIM_400000_NS6detail17trampoline_kernelINS0_13select_configILj256ELj13ELNS0_17block_load_methodE3ELS4_3ELS4_3ELNS0_20block_scan_algorithmE0ELj4294967295EEENS1_25partition_config_selectorILNS1_17partition_subalgoE3EjNS0_10empty_typeEbEEZZNS1_14partition_implILS8_3ELb0ES6_jNS0_17counting_iteratorIjlEEPS9_SE_NS0_5tupleIJPjSE_EEENSF_IJSE_SE_EEES9_SG_JZNS1_25segmented_radix_sort_implINS0_14default_configELb0EPKlPlSM_SN_N2at6native12_GLOBAL__N_18offset_tEEE10hipError_tPvRmT1_PNSt15iterator_traitsISV_E10value_typeET2_T3_PNSW_IS11_E10value_typeET4_jRbjT5_S17_jjP12ihipStream_tbEUljE_EEESS_ST_SU_S11_S15_S17_T6_T7_T9_mT8_S19_bDpT10_ENKUlT_T0_E_clISt17integral_constantIbLb1EES1M_EEDaS1H_S1I_EUlS1H_E_NS1_11comp_targetILNS1_3genE4ELNS1_11target_archE910ELNS1_3gpuE8ELNS1_3repE0EEENS1_30default_config_static_selectorELNS0_4arch9wavefront6targetE1EEEvSV_.kd
    .uniform_work_group_size: 1
    .uses_dynamic_stack: false
    .vgpr_count:     0
    .vgpr_spill_count: 0
    .wavefront_size: 64
  - .args:
      - .offset:         0
        .size:           152
        .value_kind:     by_value
    .group_segment_fixed_size: 0
    .kernarg_segment_align: 8
    .kernarg_segment_size: 152
    .language:       OpenCL C
    .language_version:
      - 2
      - 0
    .max_flat_workgroup_size: 256
    .name:           _ZN7rocprim17ROCPRIM_400000_NS6detail17trampoline_kernelINS0_13select_configILj256ELj13ELNS0_17block_load_methodE3ELS4_3ELS4_3ELNS0_20block_scan_algorithmE0ELj4294967295EEENS1_25partition_config_selectorILNS1_17partition_subalgoE3EjNS0_10empty_typeEbEEZZNS1_14partition_implILS8_3ELb0ES6_jNS0_17counting_iteratorIjlEEPS9_SE_NS0_5tupleIJPjSE_EEENSF_IJSE_SE_EEES9_SG_JZNS1_25segmented_radix_sort_implINS0_14default_configELb0EPKlPlSM_SN_N2at6native12_GLOBAL__N_18offset_tEEE10hipError_tPvRmT1_PNSt15iterator_traitsISV_E10value_typeET2_T3_PNSW_IS11_E10value_typeET4_jRbjT5_S17_jjP12ihipStream_tbEUljE_EEESS_ST_SU_S11_S15_S17_T6_T7_T9_mT8_S19_bDpT10_ENKUlT_T0_E_clISt17integral_constantIbLb1EES1M_EEDaS1H_S1I_EUlS1H_E_NS1_11comp_targetILNS1_3genE3ELNS1_11target_archE908ELNS1_3gpuE7ELNS1_3repE0EEENS1_30default_config_static_selectorELNS0_4arch9wavefront6targetE1EEEvSV_
    .private_segment_fixed_size: 0
    .sgpr_count:     4
    .sgpr_spill_count: 0
    .symbol:         _ZN7rocprim17ROCPRIM_400000_NS6detail17trampoline_kernelINS0_13select_configILj256ELj13ELNS0_17block_load_methodE3ELS4_3ELS4_3ELNS0_20block_scan_algorithmE0ELj4294967295EEENS1_25partition_config_selectorILNS1_17partition_subalgoE3EjNS0_10empty_typeEbEEZZNS1_14partition_implILS8_3ELb0ES6_jNS0_17counting_iteratorIjlEEPS9_SE_NS0_5tupleIJPjSE_EEENSF_IJSE_SE_EEES9_SG_JZNS1_25segmented_radix_sort_implINS0_14default_configELb0EPKlPlSM_SN_N2at6native12_GLOBAL__N_18offset_tEEE10hipError_tPvRmT1_PNSt15iterator_traitsISV_E10value_typeET2_T3_PNSW_IS11_E10value_typeET4_jRbjT5_S17_jjP12ihipStream_tbEUljE_EEESS_ST_SU_S11_S15_S17_T6_T7_T9_mT8_S19_bDpT10_ENKUlT_T0_E_clISt17integral_constantIbLb1EES1M_EEDaS1H_S1I_EUlS1H_E_NS1_11comp_targetILNS1_3genE3ELNS1_11target_archE908ELNS1_3gpuE7ELNS1_3repE0EEENS1_30default_config_static_selectorELNS0_4arch9wavefront6targetE1EEEvSV_.kd
    .uniform_work_group_size: 1
    .uses_dynamic_stack: false
    .vgpr_count:     0
    .vgpr_spill_count: 0
    .wavefront_size: 64
  - .args:
      - .offset:         0
        .size:           152
        .value_kind:     by_value
    .group_segment_fixed_size: 0
    .kernarg_segment_align: 8
    .kernarg_segment_size: 152
    .language:       OpenCL C
    .language_version:
      - 2
      - 0
    .max_flat_workgroup_size: 256
    .name:           _ZN7rocprim17ROCPRIM_400000_NS6detail17trampoline_kernelINS0_13select_configILj256ELj13ELNS0_17block_load_methodE3ELS4_3ELS4_3ELNS0_20block_scan_algorithmE0ELj4294967295EEENS1_25partition_config_selectorILNS1_17partition_subalgoE3EjNS0_10empty_typeEbEEZZNS1_14partition_implILS8_3ELb0ES6_jNS0_17counting_iteratorIjlEEPS9_SE_NS0_5tupleIJPjSE_EEENSF_IJSE_SE_EEES9_SG_JZNS1_25segmented_radix_sort_implINS0_14default_configELb0EPKlPlSM_SN_N2at6native12_GLOBAL__N_18offset_tEEE10hipError_tPvRmT1_PNSt15iterator_traitsISV_E10value_typeET2_T3_PNSW_IS11_E10value_typeET4_jRbjT5_S17_jjP12ihipStream_tbEUljE_EEESS_ST_SU_S11_S15_S17_T6_T7_T9_mT8_S19_bDpT10_ENKUlT_T0_E_clISt17integral_constantIbLb1EES1M_EEDaS1H_S1I_EUlS1H_E_NS1_11comp_targetILNS1_3genE2ELNS1_11target_archE906ELNS1_3gpuE6ELNS1_3repE0EEENS1_30default_config_static_selectorELNS0_4arch9wavefront6targetE1EEEvSV_
    .private_segment_fixed_size: 0
    .sgpr_count:     4
    .sgpr_spill_count: 0
    .symbol:         _ZN7rocprim17ROCPRIM_400000_NS6detail17trampoline_kernelINS0_13select_configILj256ELj13ELNS0_17block_load_methodE3ELS4_3ELS4_3ELNS0_20block_scan_algorithmE0ELj4294967295EEENS1_25partition_config_selectorILNS1_17partition_subalgoE3EjNS0_10empty_typeEbEEZZNS1_14partition_implILS8_3ELb0ES6_jNS0_17counting_iteratorIjlEEPS9_SE_NS0_5tupleIJPjSE_EEENSF_IJSE_SE_EEES9_SG_JZNS1_25segmented_radix_sort_implINS0_14default_configELb0EPKlPlSM_SN_N2at6native12_GLOBAL__N_18offset_tEEE10hipError_tPvRmT1_PNSt15iterator_traitsISV_E10value_typeET2_T3_PNSW_IS11_E10value_typeET4_jRbjT5_S17_jjP12ihipStream_tbEUljE_EEESS_ST_SU_S11_S15_S17_T6_T7_T9_mT8_S19_bDpT10_ENKUlT_T0_E_clISt17integral_constantIbLb1EES1M_EEDaS1H_S1I_EUlS1H_E_NS1_11comp_targetILNS1_3genE2ELNS1_11target_archE906ELNS1_3gpuE6ELNS1_3repE0EEENS1_30default_config_static_selectorELNS0_4arch9wavefront6targetE1EEEvSV_.kd
    .uniform_work_group_size: 1
    .uses_dynamic_stack: false
    .vgpr_count:     0
    .vgpr_spill_count: 0
    .wavefront_size: 64
  - .args:
      - .offset:         0
        .size:           152
        .value_kind:     by_value
    .group_segment_fixed_size: 0
    .kernarg_segment_align: 8
    .kernarg_segment_size: 152
    .language:       OpenCL C
    .language_version:
      - 2
      - 0
    .max_flat_workgroup_size: 256
    .name:           _ZN7rocprim17ROCPRIM_400000_NS6detail17trampoline_kernelINS0_13select_configILj256ELj13ELNS0_17block_load_methodE3ELS4_3ELS4_3ELNS0_20block_scan_algorithmE0ELj4294967295EEENS1_25partition_config_selectorILNS1_17partition_subalgoE3EjNS0_10empty_typeEbEEZZNS1_14partition_implILS8_3ELb0ES6_jNS0_17counting_iteratorIjlEEPS9_SE_NS0_5tupleIJPjSE_EEENSF_IJSE_SE_EEES9_SG_JZNS1_25segmented_radix_sort_implINS0_14default_configELb0EPKlPlSM_SN_N2at6native12_GLOBAL__N_18offset_tEEE10hipError_tPvRmT1_PNSt15iterator_traitsISV_E10value_typeET2_T3_PNSW_IS11_E10value_typeET4_jRbjT5_S17_jjP12ihipStream_tbEUljE_EEESS_ST_SU_S11_S15_S17_T6_T7_T9_mT8_S19_bDpT10_ENKUlT_T0_E_clISt17integral_constantIbLb1EES1M_EEDaS1H_S1I_EUlS1H_E_NS1_11comp_targetILNS1_3genE10ELNS1_11target_archE1200ELNS1_3gpuE4ELNS1_3repE0EEENS1_30default_config_static_selectorELNS0_4arch9wavefront6targetE1EEEvSV_
    .private_segment_fixed_size: 0
    .sgpr_count:     4
    .sgpr_spill_count: 0
    .symbol:         _ZN7rocprim17ROCPRIM_400000_NS6detail17trampoline_kernelINS0_13select_configILj256ELj13ELNS0_17block_load_methodE3ELS4_3ELS4_3ELNS0_20block_scan_algorithmE0ELj4294967295EEENS1_25partition_config_selectorILNS1_17partition_subalgoE3EjNS0_10empty_typeEbEEZZNS1_14partition_implILS8_3ELb0ES6_jNS0_17counting_iteratorIjlEEPS9_SE_NS0_5tupleIJPjSE_EEENSF_IJSE_SE_EEES9_SG_JZNS1_25segmented_radix_sort_implINS0_14default_configELb0EPKlPlSM_SN_N2at6native12_GLOBAL__N_18offset_tEEE10hipError_tPvRmT1_PNSt15iterator_traitsISV_E10value_typeET2_T3_PNSW_IS11_E10value_typeET4_jRbjT5_S17_jjP12ihipStream_tbEUljE_EEESS_ST_SU_S11_S15_S17_T6_T7_T9_mT8_S19_bDpT10_ENKUlT_T0_E_clISt17integral_constantIbLb1EES1M_EEDaS1H_S1I_EUlS1H_E_NS1_11comp_targetILNS1_3genE10ELNS1_11target_archE1200ELNS1_3gpuE4ELNS1_3repE0EEENS1_30default_config_static_selectorELNS0_4arch9wavefront6targetE1EEEvSV_.kd
    .uniform_work_group_size: 1
    .uses_dynamic_stack: false
    .vgpr_count:     0
    .vgpr_spill_count: 0
    .wavefront_size: 64
  - .args:
      - .offset:         0
        .size:           152
        .value_kind:     by_value
    .group_segment_fixed_size: 0
    .kernarg_segment_align: 8
    .kernarg_segment_size: 152
    .language:       OpenCL C
    .language_version:
      - 2
      - 0
    .max_flat_workgroup_size: 256
    .name:           _ZN7rocprim17ROCPRIM_400000_NS6detail17trampoline_kernelINS0_13select_configILj256ELj13ELNS0_17block_load_methodE3ELS4_3ELS4_3ELNS0_20block_scan_algorithmE0ELj4294967295EEENS1_25partition_config_selectorILNS1_17partition_subalgoE3EjNS0_10empty_typeEbEEZZNS1_14partition_implILS8_3ELb0ES6_jNS0_17counting_iteratorIjlEEPS9_SE_NS0_5tupleIJPjSE_EEENSF_IJSE_SE_EEES9_SG_JZNS1_25segmented_radix_sort_implINS0_14default_configELb0EPKlPlSM_SN_N2at6native12_GLOBAL__N_18offset_tEEE10hipError_tPvRmT1_PNSt15iterator_traitsISV_E10value_typeET2_T3_PNSW_IS11_E10value_typeET4_jRbjT5_S17_jjP12ihipStream_tbEUljE_EEESS_ST_SU_S11_S15_S17_T6_T7_T9_mT8_S19_bDpT10_ENKUlT_T0_E_clISt17integral_constantIbLb1EES1M_EEDaS1H_S1I_EUlS1H_E_NS1_11comp_targetILNS1_3genE9ELNS1_11target_archE1100ELNS1_3gpuE3ELNS1_3repE0EEENS1_30default_config_static_selectorELNS0_4arch9wavefront6targetE1EEEvSV_
    .private_segment_fixed_size: 0
    .sgpr_count:     4
    .sgpr_spill_count: 0
    .symbol:         _ZN7rocprim17ROCPRIM_400000_NS6detail17trampoline_kernelINS0_13select_configILj256ELj13ELNS0_17block_load_methodE3ELS4_3ELS4_3ELNS0_20block_scan_algorithmE0ELj4294967295EEENS1_25partition_config_selectorILNS1_17partition_subalgoE3EjNS0_10empty_typeEbEEZZNS1_14partition_implILS8_3ELb0ES6_jNS0_17counting_iteratorIjlEEPS9_SE_NS0_5tupleIJPjSE_EEENSF_IJSE_SE_EEES9_SG_JZNS1_25segmented_radix_sort_implINS0_14default_configELb0EPKlPlSM_SN_N2at6native12_GLOBAL__N_18offset_tEEE10hipError_tPvRmT1_PNSt15iterator_traitsISV_E10value_typeET2_T3_PNSW_IS11_E10value_typeET4_jRbjT5_S17_jjP12ihipStream_tbEUljE_EEESS_ST_SU_S11_S15_S17_T6_T7_T9_mT8_S19_bDpT10_ENKUlT_T0_E_clISt17integral_constantIbLb1EES1M_EEDaS1H_S1I_EUlS1H_E_NS1_11comp_targetILNS1_3genE9ELNS1_11target_archE1100ELNS1_3gpuE3ELNS1_3repE0EEENS1_30default_config_static_selectorELNS0_4arch9wavefront6targetE1EEEvSV_.kd
    .uniform_work_group_size: 1
    .uses_dynamic_stack: false
    .vgpr_count:     0
    .vgpr_spill_count: 0
    .wavefront_size: 64
  - .args:
      - .offset:         0
        .size:           152
        .value_kind:     by_value
    .group_segment_fixed_size: 0
    .kernarg_segment_align: 8
    .kernarg_segment_size: 152
    .language:       OpenCL C
    .language_version:
      - 2
      - 0
    .max_flat_workgroup_size: 256
    .name:           _ZN7rocprim17ROCPRIM_400000_NS6detail17trampoline_kernelINS0_13select_configILj256ELj13ELNS0_17block_load_methodE3ELS4_3ELS4_3ELNS0_20block_scan_algorithmE0ELj4294967295EEENS1_25partition_config_selectorILNS1_17partition_subalgoE3EjNS0_10empty_typeEbEEZZNS1_14partition_implILS8_3ELb0ES6_jNS0_17counting_iteratorIjlEEPS9_SE_NS0_5tupleIJPjSE_EEENSF_IJSE_SE_EEES9_SG_JZNS1_25segmented_radix_sort_implINS0_14default_configELb0EPKlPlSM_SN_N2at6native12_GLOBAL__N_18offset_tEEE10hipError_tPvRmT1_PNSt15iterator_traitsISV_E10value_typeET2_T3_PNSW_IS11_E10value_typeET4_jRbjT5_S17_jjP12ihipStream_tbEUljE_EEESS_ST_SU_S11_S15_S17_T6_T7_T9_mT8_S19_bDpT10_ENKUlT_T0_E_clISt17integral_constantIbLb1EES1M_EEDaS1H_S1I_EUlS1H_E_NS1_11comp_targetILNS1_3genE8ELNS1_11target_archE1030ELNS1_3gpuE2ELNS1_3repE0EEENS1_30default_config_static_selectorELNS0_4arch9wavefront6targetE1EEEvSV_
    .private_segment_fixed_size: 0
    .sgpr_count:     4
    .sgpr_spill_count: 0
    .symbol:         _ZN7rocprim17ROCPRIM_400000_NS6detail17trampoline_kernelINS0_13select_configILj256ELj13ELNS0_17block_load_methodE3ELS4_3ELS4_3ELNS0_20block_scan_algorithmE0ELj4294967295EEENS1_25partition_config_selectorILNS1_17partition_subalgoE3EjNS0_10empty_typeEbEEZZNS1_14partition_implILS8_3ELb0ES6_jNS0_17counting_iteratorIjlEEPS9_SE_NS0_5tupleIJPjSE_EEENSF_IJSE_SE_EEES9_SG_JZNS1_25segmented_radix_sort_implINS0_14default_configELb0EPKlPlSM_SN_N2at6native12_GLOBAL__N_18offset_tEEE10hipError_tPvRmT1_PNSt15iterator_traitsISV_E10value_typeET2_T3_PNSW_IS11_E10value_typeET4_jRbjT5_S17_jjP12ihipStream_tbEUljE_EEESS_ST_SU_S11_S15_S17_T6_T7_T9_mT8_S19_bDpT10_ENKUlT_T0_E_clISt17integral_constantIbLb1EES1M_EEDaS1H_S1I_EUlS1H_E_NS1_11comp_targetILNS1_3genE8ELNS1_11target_archE1030ELNS1_3gpuE2ELNS1_3repE0EEENS1_30default_config_static_selectorELNS0_4arch9wavefront6targetE1EEEvSV_.kd
    .uniform_work_group_size: 1
    .uses_dynamic_stack: false
    .vgpr_count:     0
    .vgpr_spill_count: 0
    .wavefront_size: 64
  - .args:
      - .offset:         0
        .size:           144
        .value_kind:     by_value
    .group_segment_fixed_size: 0
    .kernarg_segment_align: 8
    .kernarg_segment_size: 144
    .language:       OpenCL C
    .language_version:
      - 2
      - 0
    .max_flat_workgroup_size: 256
    .name:           _ZN7rocprim17ROCPRIM_400000_NS6detail17trampoline_kernelINS0_13select_configILj256ELj13ELNS0_17block_load_methodE3ELS4_3ELS4_3ELNS0_20block_scan_algorithmE0ELj4294967295EEENS1_25partition_config_selectorILNS1_17partition_subalgoE3EjNS0_10empty_typeEbEEZZNS1_14partition_implILS8_3ELb0ES6_jNS0_17counting_iteratorIjlEEPS9_SE_NS0_5tupleIJPjSE_EEENSF_IJSE_SE_EEES9_SG_JZNS1_25segmented_radix_sort_implINS0_14default_configELb0EPKlPlSM_SN_N2at6native12_GLOBAL__N_18offset_tEEE10hipError_tPvRmT1_PNSt15iterator_traitsISV_E10value_typeET2_T3_PNSW_IS11_E10value_typeET4_jRbjT5_S17_jjP12ihipStream_tbEUljE_EEESS_ST_SU_S11_S15_S17_T6_T7_T9_mT8_S19_bDpT10_ENKUlT_T0_E_clISt17integral_constantIbLb1EES1L_IbLb0EEEEDaS1H_S1I_EUlS1H_E_NS1_11comp_targetILNS1_3genE0ELNS1_11target_archE4294967295ELNS1_3gpuE0ELNS1_3repE0EEENS1_30default_config_static_selectorELNS0_4arch9wavefront6targetE1EEEvSV_
    .private_segment_fixed_size: 0
    .sgpr_count:     4
    .sgpr_spill_count: 0
    .symbol:         _ZN7rocprim17ROCPRIM_400000_NS6detail17trampoline_kernelINS0_13select_configILj256ELj13ELNS0_17block_load_methodE3ELS4_3ELS4_3ELNS0_20block_scan_algorithmE0ELj4294967295EEENS1_25partition_config_selectorILNS1_17partition_subalgoE3EjNS0_10empty_typeEbEEZZNS1_14partition_implILS8_3ELb0ES6_jNS0_17counting_iteratorIjlEEPS9_SE_NS0_5tupleIJPjSE_EEENSF_IJSE_SE_EEES9_SG_JZNS1_25segmented_radix_sort_implINS0_14default_configELb0EPKlPlSM_SN_N2at6native12_GLOBAL__N_18offset_tEEE10hipError_tPvRmT1_PNSt15iterator_traitsISV_E10value_typeET2_T3_PNSW_IS11_E10value_typeET4_jRbjT5_S17_jjP12ihipStream_tbEUljE_EEESS_ST_SU_S11_S15_S17_T6_T7_T9_mT8_S19_bDpT10_ENKUlT_T0_E_clISt17integral_constantIbLb1EES1L_IbLb0EEEEDaS1H_S1I_EUlS1H_E_NS1_11comp_targetILNS1_3genE0ELNS1_11target_archE4294967295ELNS1_3gpuE0ELNS1_3repE0EEENS1_30default_config_static_selectorELNS0_4arch9wavefront6targetE1EEEvSV_.kd
    .uniform_work_group_size: 1
    .uses_dynamic_stack: false
    .vgpr_count:     0
    .vgpr_spill_count: 0
    .wavefront_size: 64
  - .args:
      - .offset:         0
        .size:           144
        .value_kind:     by_value
    .group_segment_fixed_size: 0
    .kernarg_segment_align: 8
    .kernarg_segment_size: 144
    .language:       OpenCL C
    .language_version:
      - 2
      - 0
    .max_flat_workgroup_size: 256
    .name:           _ZN7rocprim17ROCPRIM_400000_NS6detail17trampoline_kernelINS0_13select_configILj256ELj13ELNS0_17block_load_methodE3ELS4_3ELS4_3ELNS0_20block_scan_algorithmE0ELj4294967295EEENS1_25partition_config_selectorILNS1_17partition_subalgoE3EjNS0_10empty_typeEbEEZZNS1_14partition_implILS8_3ELb0ES6_jNS0_17counting_iteratorIjlEEPS9_SE_NS0_5tupleIJPjSE_EEENSF_IJSE_SE_EEES9_SG_JZNS1_25segmented_radix_sort_implINS0_14default_configELb0EPKlPlSM_SN_N2at6native12_GLOBAL__N_18offset_tEEE10hipError_tPvRmT1_PNSt15iterator_traitsISV_E10value_typeET2_T3_PNSW_IS11_E10value_typeET4_jRbjT5_S17_jjP12ihipStream_tbEUljE_EEESS_ST_SU_S11_S15_S17_T6_T7_T9_mT8_S19_bDpT10_ENKUlT_T0_E_clISt17integral_constantIbLb1EES1L_IbLb0EEEEDaS1H_S1I_EUlS1H_E_NS1_11comp_targetILNS1_3genE5ELNS1_11target_archE942ELNS1_3gpuE9ELNS1_3repE0EEENS1_30default_config_static_selectorELNS0_4arch9wavefront6targetE1EEEvSV_
    .private_segment_fixed_size: 0
    .sgpr_count:     4
    .sgpr_spill_count: 0
    .symbol:         _ZN7rocprim17ROCPRIM_400000_NS6detail17trampoline_kernelINS0_13select_configILj256ELj13ELNS0_17block_load_methodE3ELS4_3ELS4_3ELNS0_20block_scan_algorithmE0ELj4294967295EEENS1_25partition_config_selectorILNS1_17partition_subalgoE3EjNS0_10empty_typeEbEEZZNS1_14partition_implILS8_3ELb0ES6_jNS0_17counting_iteratorIjlEEPS9_SE_NS0_5tupleIJPjSE_EEENSF_IJSE_SE_EEES9_SG_JZNS1_25segmented_radix_sort_implINS0_14default_configELb0EPKlPlSM_SN_N2at6native12_GLOBAL__N_18offset_tEEE10hipError_tPvRmT1_PNSt15iterator_traitsISV_E10value_typeET2_T3_PNSW_IS11_E10value_typeET4_jRbjT5_S17_jjP12ihipStream_tbEUljE_EEESS_ST_SU_S11_S15_S17_T6_T7_T9_mT8_S19_bDpT10_ENKUlT_T0_E_clISt17integral_constantIbLb1EES1L_IbLb0EEEEDaS1H_S1I_EUlS1H_E_NS1_11comp_targetILNS1_3genE5ELNS1_11target_archE942ELNS1_3gpuE9ELNS1_3repE0EEENS1_30default_config_static_selectorELNS0_4arch9wavefront6targetE1EEEvSV_.kd
    .uniform_work_group_size: 1
    .uses_dynamic_stack: false
    .vgpr_count:     0
    .vgpr_spill_count: 0
    .wavefront_size: 64
  - .args:
      - .offset:         0
        .size:           144
        .value_kind:     by_value
    .group_segment_fixed_size: 0
    .kernarg_segment_align: 8
    .kernarg_segment_size: 144
    .language:       OpenCL C
    .language_version:
      - 2
      - 0
    .max_flat_workgroup_size: 256
    .name:           _ZN7rocprim17ROCPRIM_400000_NS6detail17trampoline_kernelINS0_13select_configILj256ELj13ELNS0_17block_load_methodE3ELS4_3ELS4_3ELNS0_20block_scan_algorithmE0ELj4294967295EEENS1_25partition_config_selectorILNS1_17partition_subalgoE3EjNS0_10empty_typeEbEEZZNS1_14partition_implILS8_3ELb0ES6_jNS0_17counting_iteratorIjlEEPS9_SE_NS0_5tupleIJPjSE_EEENSF_IJSE_SE_EEES9_SG_JZNS1_25segmented_radix_sort_implINS0_14default_configELb0EPKlPlSM_SN_N2at6native12_GLOBAL__N_18offset_tEEE10hipError_tPvRmT1_PNSt15iterator_traitsISV_E10value_typeET2_T3_PNSW_IS11_E10value_typeET4_jRbjT5_S17_jjP12ihipStream_tbEUljE_EEESS_ST_SU_S11_S15_S17_T6_T7_T9_mT8_S19_bDpT10_ENKUlT_T0_E_clISt17integral_constantIbLb1EES1L_IbLb0EEEEDaS1H_S1I_EUlS1H_E_NS1_11comp_targetILNS1_3genE4ELNS1_11target_archE910ELNS1_3gpuE8ELNS1_3repE0EEENS1_30default_config_static_selectorELNS0_4arch9wavefront6targetE1EEEvSV_
    .private_segment_fixed_size: 0
    .sgpr_count:     4
    .sgpr_spill_count: 0
    .symbol:         _ZN7rocprim17ROCPRIM_400000_NS6detail17trampoline_kernelINS0_13select_configILj256ELj13ELNS0_17block_load_methodE3ELS4_3ELS4_3ELNS0_20block_scan_algorithmE0ELj4294967295EEENS1_25partition_config_selectorILNS1_17partition_subalgoE3EjNS0_10empty_typeEbEEZZNS1_14partition_implILS8_3ELb0ES6_jNS0_17counting_iteratorIjlEEPS9_SE_NS0_5tupleIJPjSE_EEENSF_IJSE_SE_EEES9_SG_JZNS1_25segmented_radix_sort_implINS0_14default_configELb0EPKlPlSM_SN_N2at6native12_GLOBAL__N_18offset_tEEE10hipError_tPvRmT1_PNSt15iterator_traitsISV_E10value_typeET2_T3_PNSW_IS11_E10value_typeET4_jRbjT5_S17_jjP12ihipStream_tbEUljE_EEESS_ST_SU_S11_S15_S17_T6_T7_T9_mT8_S19_bDpT10_ENKUlT_T0_E_clISt17integral_constantIbLb1EES1L_IbLb0EEEEDaS1H_S1I_EUlS1H_E_NS1_11comp_targetILNS1_3genE4ELNS1_11target_archE910ELNS1_3gpuE8ELNS1_3repE0EEENS1_30default_config_static_selectorELNS0_4arch9wavefront6targetE1EEEvSV_.kd
    .uniform_work_group_size: 1
    .uses_dynamic_stack: false
    .vgpr_count:     0
    .vgpr_spill_count: 0
    .wavefront_size: 64
  - .args:
      - .offset:         0
        .size:           144
        .value_kind:     by_value
    .group_segment_fixed_size: 0
    .kernarg_segment_align: 8
    .kernarg_segment_size: 144
    .language:       OpenCL C
    .language_version:
      - 2
      - 0
    .max_flat_workgroup_size: 256
    .name:           _ZN7rocprim17ROCPRIM_400000_NS6detail17trampoline_kernelINS0_13select_configILj256ELj13ELNS0_17block_load_methodE3ELS4_3ELS4_3ELNS0_20block_scan_algorithmE0ELj4294967295EEENS1_25partition_config_selectorILNS1_17partition_subalgoE3EjNS0_10empty_typeEbEEZZNS1_14partition_implILS8_3ELb0ES6_jNS0_17counting_iteratorIjlEEPS9_SE_NS0_5tupleIJPjSE_EEENSF_IJSE_SE_EEES9_SG_JZNS1_25segmented_radix_sort_implINS0_14default_configELb0EPKlPlSM_SN_N2at6native12_GLOBAL__N_18offset_tEEE10hipError_tPvRmT1_PNSt15iterator_traitsISV_E10value_typeET2_T3_PNSW_IS11_E10value_typeET4_jRbjT5_S17_jjP12ihipStream_tbEUljE_EEESS_ST_SU_S11_S15_S17_T6_T7_T9_mT8_S19_bDpT10_ENKUlT_T0_E_clISt17integral_constantIbLb1EES1L_IbLb0EEEEDaS1H_S1I_EUlS1H_E_NS1_11comp_targetILNS1_3genE3ELNS1_11target_archE908ELNS1_3gpuE7ELNS1_3repE0EEENS1_30default_config_static_selectorELNS0_4arch9wavefront6targetE1EEEvSV_
    .private_segment_fixed_size: 0
    .sgpr_count:     4
    .sgpr_spill_count: 0
    .symbol:         _ZN7rocprim17ROCPRIM_400000_NS6detail17trampoline_kernelINS0_13select_configILj256ELj13ELNS0_17block_load_methodE3ELS4_3ELS4_3ELNS0_20block_scan_algorithmE0ELj4294967295EEENS1_25partition_config_selectorILNS1_17partition_subalgoE3EjNS0_10empty_typeEbEEZZNS1_14partition_implILS8_3ELb0ES6_jNS0_17counting_iteratorIjlEEPS9_SE_NS0_5tupleIJPjSE_EEENSF_IJSE_SE_EEES9_SG_JZNS1_25segmented_radix_sort_implINS0_14default_configELb0EPKlPlSM_SN_N2at6native12_GLOBAL__N_18offset_tEEE10hipError_tPvRmT1_PNSt15iterator_traitsISV_E10value_typeET2_T3_PNSW_IS11_E10value_typeET4_jRbjT5_S17_jjP12ihipStream_tbEUljE_EEESS_ST_SU_S11_S15_S17_T6_T7_T9_mT8_S19_bDpT10_ENKUlT_T0_E_clISt17integral_constantIbLb1EES1L_IbLb0EEEEDaS1H_S1I_EUlS1H_E_NS1_11comp_targetILNS1_3genE3ELNS1_11target_archE908ELNS1_3gpuE7ELNS1_3repE0EEENS1_30default_config_static_selectorELNS0_4arch9wavefront6targetE1EEEvSV_.kd
    .uniform_work_group_size: 1
    .uses_dynamic_stack: false
    .vgpr_count:     0
    .vgpr_spill_count: 0
    .wavefront_size: 64
  - .args:
      - .offset:         0
        .size:           144
        .value_kind:     by_value
    .group_segment_fixed_size: 0
    .kernarg_segment_align: 8
    .kernarg_segment_size: 144
    .language:       OpenCL C
    .language_version:
      - 2
      - 0
    .max_flat_workgroup_size: 256
    .name:           _ZN7rocprim17ROCPRIM_400000_NS6detail17trampoline_kernelINS0_13select_configILj256ELj13ELNS0_17block_load_methodE3ELS4_3ELS4_3ELNS0_20block_scan_algorithmE0ELj4294967295EEENS1_25partition_config_selectorILNS1_17partition_subalgoE3EjNS0_10empty_typeEbEEZZNS1_14partition_implILS8_3ELb0ES6_jNS0_17counting_iteratorIjlEEPS9_SE_NS0_5tupleIJPjSE_EEENSF_IJSE_SE_EEES9_SG_JZNS1_25segmented_radix_sort_implINS0_14default_configELb0EPKlPlSM_SN_N2at6native12_GLOBAL__N_18offset_tEEE10hipError_tPvRmT1_PNSt15iterator_traitsISV_E10value_typeET2_T3_PNSW_IS11_E10value_typeET4_jRbjT5_S17_jjP12ihipStream_tbEUljE_EEESS_ST_SU_S11_S15_S17_T6_T7_T9_mT8_S19_bDpT10_ENKUlT_T0_E_clISt17integral_constantIbLb1EES1L_IbLb0EEEEDaS1H_S1I_EUlS1H_E_NS1_11comp_targetILNS1_3genE2ELNS1_11target_archE906ELNS1_3gpuE6ELNS1_3repE0EEENS1_30default_config_static_selectorELNS0_4arch9wavefront6targetE1EEEvSV_
    .private_segment_fixed_size: 0
    .sgpr_count:     4
    .sgpr_spill_count: 0
    .symbol:         _ZN7rocprim17ROCPRIM_400000_NS6detail17trampoline_kernelINS0_13select_configILj256ELj13ELNS0_17block_load_methodE3ELS4_3ELS4_3ELNS0_20block_scan_algorithmE0ELj4294967295EEENS1_25partition_config_selectorILNS1_17partition_subalgoE3EjNS0_10empty_typeEbEEZZNS1_14partition_implILS8_3ELb0ES6_jNS0_17counting_iteratorIjlEEPS9_SE_NS0_5tupleIJPjSE_EEENSF_IJSE_SE_EEES9_SG_JZNS1_25segmented_radix_sort_implINS0_14default_configELb0EPKlPlSM_SN_N2at6native12_GLOBAL__N_18offset_tEEE10hipError_tPvRmT1_PNSt15iterator_traitsISV_E10value_typeET2_T3_PNSW_IS11_E10value_typeET4_jRbjT5_S17_jjP12ihipStream_tbEUljE_EEESS_ST_SU_S11_S15_S17_T6_T7_T9_mT8_S19_bDpT10_ENKUlT_T0_E_clISt17integral_constantIbLb1EES1L_IbLb0EEEEDaS1H_S1I_EUlS1H_E_NS1_11comp_targetILNS1_3genE2ELNS1_11target_archE906ELNS1_3gpuE6ELNS1_3repE0EEENS1_30default_config_static_selectorELNS0_4arch9wavefront6targetE1EEEvSV_.kd
    .uniform_work_group_size: 1
    .uses_dynamic_stack: false
    .vgpr_count:     0
    .vgpr_spill_count: 0
    .wavefront_size: 64
  - .args:
      - .offset:         0
        .size:           144
        .value_kind:     by_value
    .group_segment_fixed_size: 0
    .kernarg_segment_align: 8
    .kernarg_segment_size: 144
    .language:       OpenCL C
    .language_version:
      - 2
      - 0
    .max_flat_workgroup_size: 256
    .name:           _ZN7rocprim17ROCPRIM_400000_NS6detail17trampoline_kernelINS0_13select_configILj256ELj13ELNS0_17block_load_methodE3ELS4_3ELS4_3ELNS0_20block_scan_algorithmE0ELj4294967295EEENS1_25partition_config_selectorILNS1_17partition_subalgoE3EjNS0_10empty_typeEbEEZZNS1_14partition_implILS8_3ELb0ES6_jNS0_17counting_iteratorIjlEEPS9_SE_NS0_5tupleIJPjSE_EEENSF_IJSE_SE_EEES9_SG_JZNS1_25segmented_radix_sort_implINS0_14default_configELb0EPKlPlSM_SN_N2at6native12_GLOBAL__N_18offset_tEEE10hipError_tPvRmT1_PNSt15iterator_traitsISV_E10value_typeET2_T3_PNSW_IS11_E10value_typeET4_jRbjT5_S17_jjP12ihipStream_tbEUljE_EEESS_ST_SU_S11_S15_S17_T6_T7_T9_mT8_S19_bDpT10_ENKUlT_T0_E_clISt17integral_constantIbLb1EES1L_IbLb0EEEEDaS1H_S1I_EUlS1H_E_NS1_11comp_targetILNS1_3genE10ELNS1_11target_archE1200ELNS1_3gpuE4ELNS1_3repE0EEENS1_30default_config_static_selectorELNS0_4arch9wavefront6targetE1EEEvSV_
    .private_segment_fixed_size: 0
    .sgpr_count:     4
    .sgpr_spill_count: 0
    .symbol:         _ZN7rocprim17ROCPRIM_400000_NS6detail17trampoline_kernelINS0_13select_configILj256ELj13ELNS0_17block_load_methodE3ELS4_3ELS4_3ELNS0_20block_scan_algorithmE0ELj4294967295EEENS1_25partition_config_selectorILNS1_17partition_subalgoE3EjNS0_10empty_typeEbEEZZNS1_14partition_implILS8_3ELb0ES6_jNS0_17counting_iteratorIjlEEPS9_SE_NS0_5tupleIJPjSE_EEENSF_IJSE_SE_EEES9_SG_JZNS1_25segmented_radix_sort_implINS0_14default_configELb0EPKlPlSM_SN_N2at6native12_GLOBAL__N_18offset_tEEE10hipError_tPvRmT1_PNSt15iterator_traitsISV_E10value_typeET2_T3_PNSW_IS11_E10value_typeET4_jRbjT5_S17_jjP12ihipStream_tbEUljE_EEESS_ST_SU_S11_S15_S17_T6_T7_T9_mT8_S19_bDpT10_ENKUlT_T0_E_clISt17integral_constantIbLb1EES1L_IbLb0EEEEDaS1H_S1I_EUlS1H_E_NS1_11comp_targetILNS1_3genE10ELNS1_11target_archE1200ELNS1_3gpuE4ELNS1_3repE0EEENS1_30default_config_static_selectorELNS0_4arch9wavefront6targetE1EEEvSV_.kd
    .uniform_work_group_size: 1
    .uses_dynamic_stack: false
    .vgpr_count:     0
    .vgpr_spill_count: 0
    .wavefront_size: 64
  - .args:
      - .offset:         0
        .size:           144
        .value_kind:     by_value
    .group_segment_fixed_size: 0
    .kernarg_segment_align: 8
    .kernarg_segment_size: 144
    .language:       OpenCL C
    .language_version:
      - 2
      - 0
    .max_flat_workgroup_size: 256
    .name:           _ZN7rocprim17ROCPRIM_400000_NS6detail17trampoline_kernelINS0_13select_configILj256ELj13ELNS0_17block_load_methodE3ELS4_3ELS4_3ELNS0_20block_scan_algorithmE0ELj4294967295EEENS1_25partition_config_selectorILNS1_17partition_subalgoE3EjNS0_10empty_typeEbEEZZNS1_14partition_implILS8_3ELb0ES6_jNS0_17counting_iteratorIjlEEPS9_SE_NS0_5tupleIJPjSE_EEENSF_IJSE_SE_EEES9_SG_JZNS1_25segmented_radix_sort_implINS0_14default_configELb0EPKlPlSM_SN_N2at6native12_GLOBAL__N_18offset_tEEE10hipError_tPvRmT1_PNSt15iterator_traitsISV_E10value_typeET2_T3_PNSW_IS11_E10value_typeET4_jRbjT5_S17_jjP12ihipStream_tbEUljE_EEESS_ST_SU_S11_S15_S17_T6_T7_T9_mT8_S19_bDpT10_ENKUlT_T0_E_clISt17integral_constantIbLb1EES1L_IbLb0EEEEDaS1H_S1I_EUlS1H_E_NS1_11comp_targetILNS1_3genE9ELNS1_11target_archE1100ELNS1_3gpuE3ELNS1_3repE0EEENS1_30default_config_static_selectorELNS0_4arch9wavefront6targetE1EEEvSV_
    .private_segment_fixed_size: 0
    .sgpr_count:     4
    .sgpr_spill_count: 0
    .symbol:         _ZN7rocprim17ROCPRIM_400000_NS6detail17trampoline_kernelINS0_13select_configILj256ELj13ELNS0_17block_load_methodE3ELS4_3ELS4_3ELNS0_20block_scan_algorithmE0ELj4294967295EEENS1_25partition_config_selectorILNS1_17partition_subalgoE3EjNS0_10empty_typeEbEEZZNS1_14partition_implILS8_3ELb0ES6_jNS0_17counting_iteratorIjlEEPS9_SE_NS0_5tupleIJPjSE_EEENSF_IJSE_SE_EEES9_SG_JZNS1_25segmented_radix_sort_implINS0_14default_configELb0EPKlPlSM_SN_N2at6native12_GLOBAL__N_18offset_tEEE10hipError_tPvRmT1_PNSt15iterator_traitsISV_E10value_typeET2_T3_PNSW_IS11_E10value_typeET4_jRbjT5_S17_jjP12ihipStream_tbEUljE_EEESS_ST_SU_S11_S15_S17_T6_T7_T9_mT8_S19_bDpT10_ENKUlT_T0_E_clISt17integral_constantIbLb1EES1L_IbLb0EEEEDaS1H_S1I_EUlS1H_E_NS1_11comp_targetILNS1_3genE9ELNS1_11target_archE1100ELNS1_3gpuE3ELNS1_3repE0EEENS1_30default_config_static_selectorELNS0_4arch9wavefront6targetE1EEEvSV_.kd
    .uniform_work_group_size: 1
    .uses_dynamic_stack: false
    .vgpr_count:     0
    .vgpr_spill_count: 0
    .wavefront_size: 64
  - .args:
      - .offset:         0
        .size:           144
        .value_kind:     by_value
    .group_segment_fixed_size: 0
    .kernarg_segment_align: 8
    .kernarg_segment_size: 144
    .language:       OpenCL C
    .language_version:
      - 2
      - 0
    .max_flat_workgroup_size: 256
    .name:           _ZN7rocprim17ROCPRIM_400000_NS6detail17trampoline_kernelINS0_13select_configILj256ELj13ELNS0_17block_load_methodE3ELS4_3ELS4_3ELNS0_20block_scan_algorithmE0ELj4294967295EEENS1_25partition_config_selectorILNS1_17partition_subalgoE3EjNS0_10empty_typeEbEEZZNS1_14partition_implILS8_3ELb0ES6_jNS0_17counting_iteratorIjlEEPS9_SE_NS0_5tupleIJPjSE_EEENSF_IJSE_SE_EEES9_SG_JZNS1_25segmented_radix_sort_implINS0_14default_configELb0EPKlPlSM_SN_N2at6native12_GLOBAL__N_18offset_tEEE10hipError_tPvRmT1_PNSt15iterator_traitsISV_E10value_typeET2_T3_PNSW_IS11_E10value_typeET4_jRbjT5_S17_jjP12ihipStream_tbEUljE_EEESS_ST_SU_S11_S15_S17_T6_T7_T9_mT8_S19_bDpT10_ENKUlT_T0_E_clISt17integral_constantIbLb1EES1L_IbLb0EEEEDaS1H_S1I_EUlS1H_E_NS1_11comp_targetILNS1_3genE8ELNS1_11target_archE1030ELNS1_3gpuE2ELNS1_3repE0EEENS1_30default_config_static_selectorELNS0_4arch9wavefront6targetE1EEEvSV_
    .private_segment_fixed_size: 0
    .sgpr_count:     4
    .sgpr_spill_count: 0
    .symbol:         _ZN7rocprim17ROCPRIM_400000_NS6detail17trampoline_kernelINS0_13select_configILj256ELj13ELNS0_17block_load_methodE3ELS4_3ELS4_3ELNS0_20block_scan_algorithmE0ELj4294967295EEENS1_25partition_config_selectorILNS1_17partition_subalgoE3EjNS0_10empty_typeEbEEZZNS1_14partition_implILS8_3ELb0ES6_jNS0_17counting_iteratorIjlEEPS9_SE_NS0_5tupleIJPjSE_EEENSF_IJSE_SE_EEES9_SG_JZNS1_25segmented_radix_sort_implINS0_14default_configELb0EPKlPlSM_SN_N2at6native12_GLOBAL__N_18offset_tEEE10hipError_tPvRmT1_PNSt15iterator_traitsISV_E10value_typeET2_T3_PNSW_IS11_E10value_typeET4_jRbjT5_S17_jjP12ihipStream_tbEUljE_EEESS_ST_SU_S11_S15_S17_T6_T7_T9_mT8_S19_bDpT10_ENKUlT_T0_E_clISt17integral_constantIbLb1EES1L_IbLb0EEEEDaS1H_S1I_EUlS1H_E_NS1_11comp_targetILNS1_3genE8ELNS1_11target_archE1030ELNS1_3gpuE2ELNS1_3repE0EEENS1_30default_config_static_selectorELNS0_4arch9wavefront6targetE1EEEvSV_.kd
    .uniform_work_group_size: 1
    .uses_dynamic_stack: false
    .vgpr_count:     0
    .vgpr_spill_count: 0
    .wavefront_size: 64
  - .args:
      - .offset:         0
        .size:           152
        .value_kind:     by_value
    .group_segment_fixed_size: 0
    .kernarg_segment_align: 8
    .kernarg_segment_size: 152
    .language:       OpenCL C
    .language_version:
      - 2
      - 0
    .max_flat_workgroup_size: 256
    .name:           _ZN7rocprim17ROCPRIM_400000_NS6detail17trampoline_kernelINS0_13select_configILj256ELj13ELNS0_17block_load_methodE3ELS4_3ELS4_3ELNS0_20block_scan_algorithmE0ELj4294967295EEENS1_25partition_config_selectorILNS1_17partition_subalgoE3EjNS0_10empty_typeEbEEZZNS1_14partition_implILS8_3ELb0ES6_jNS0_17counting_iteratorIjlEEPS9_SE_NS0_5tupleIJPjSE_EEENSF_IJSE_SE_EEES9_SG_JZNS1_25segmented_radix_sort_implINS0_14default_configELb0EPKlPlSM_SN_N2at6native12_GLOBAL__N_18offset_tEEE10hipError_tPvRmT1_PNSt15iterator_traitsISV_E10value_typeET2_T3_PNSW_IS11_E10value_typeET4_jRbjT5_S17_jjP12ihipStream_tbEUljE_EEESS_ST_SU_S11_S15_S17_T6_T7_T9_mT8_S19_bDpT10_ENKUlT_T0_E_clISt17integral_constantIbLb0EES1L_IbLb1EEEEDaS1H_S1I_EUlS1H_E_NS1_11comp_targetILNS1_3genE0ELNS1_11target_archE4294967295ELNS1_3gpuE0ELNS1_3repE0EEENS1_30default_config_static_selectorELNS0_4arch9wavefront6targetE1EEEvSV_
    .private_segment_fixed_size: 0
    .sgpr_count:     4
    .sgpr_spill_count: 0
    .symbol:         _ZN7rocprim17ROCPRIM_400000_NS6detail17trampoline_kernelINS0_13select_configILj256ELj13ELNS0_17block_load_methodE3ELS4_3ELS4_3ELNS0_20block_scan_algorithmE0ELj4294967295EEENS1_25partition_config_selectorILNS1_17partition_subalgoE3EjNS0_10empty_typeEbEEZZNS1_14partition_implILS8_3ELb0ES6_jNS0_17counting_iteratorIjlEEPS9_SE_NS0_5tupleIJPjSE_EEENSF_IJSE_SE_EEES9_SG_JZNS1_25segmented_radix_sort_implINS0_14default_configELb0EPKlPlSM_SN_N2at6native12_GLOBAL__N_18offset_tEEE10hipError_tPvRmT1_PNSt15iterator_traitsISV_E10value_typeET2_T3_PNSW_IS11_E10value_typeET4_jRbjT5_S17_jjP12ihipStream_tbEUljE_EEESS_ST_SU_S11_S15_S17_T6_T7_T9_mT8_S19_bDpT10_ENKUlT_T0_E_clISt17integral_constantIbLb0EES1L_IbLb1EEEEDaS1H_S1I_EUlS1H_E_NS1_11comp_targetILNS1_3genE0ELNS1_11target_archE4294967295ELNS1_3gpuE0ELNS1_3repE0EEENS1_30default_config_static_selectorELNS0_4arch9wavefront6targetE1EEEvSV_.kd
    .uniform_work_group_size: 1
    .uses_dynamic_stack: false
    .vgpr_count:     0
    .vgpr_spill_count: 0
    .wavefront_size: 64
  - .args:
      - .offset:         0
        .size:           152
        .value_kind:     by_value
    .group_segment_fixed_size: 0
    .kernarg_segment_align: 8
    .kernarg_segment_size: 152
    .language:       OpenCL C
    .language_version:
      - 2
      - 0
    .max_flat_workgroup_size: 256
    .name:           _ZN7rocprim17ROCPRIM_400000_NS6detail17trampoline_kernelINS0_13select_configILj256ELj13ELNS0_17block_load_methodE3ELS4_3ELS4_3ELNS0_20block_scan_algorithmE0ELj4294967295EEENS1_25partition_config_selectorILNS1_17partition_subalgoE3EjNS0_10empty_typeEbEEZZNS1_14partition_implILS8_3ELb0ES6_jNS0_17counting_iteratorIjlEEPS9_SE_NS0_5tupleIJPjSE_EEENSF_IJSE_SE_EEES9_SG_JZNS1_25segmented_radix_sort_implINS0_14default_configELb0EPKlPlSM_SN_N2at6native12_GLOBAL__N_18offset_tEEE10hipError_tPvRmT1_PNSt15iterator_traitsISV_E10value_typeET2_T3_PNSW_IS11_E10value_typeET4_jRbjT5_S17_jjP12ihipStream_tbEUljE_EEESS_ST_SU_S11_S15_S17_T6_T7_T9_mT8_S19_bDpT10_ENKUlT_T0_E_clISt17integral_constantIbLb0EES1L_IbLb1EEEEDaS1H_S1I_EUlS1H_E_NS1_11comp_targetILNS1_3genE5ELNS1_11target_archE942ELNS1_3gpuE9ELNS1_3repE0EEENS1_30default_config_static_selectorELNS0_4arch9wavefront6targetE1EEEvSV_
    .private_segment_fixed_size: 0
    .sgpr_count:     4
    .sgpr_spill_count: 0
    .symbol:         _ZN7rocprim17ROCPRIM_400000_NS6detail17trampoline_kernelINS0_13select_configILj256ELj13ELNS0_17block_load_methodE3ELS4_3ELS4_3ELNS0_20block_scan_algorithmE0ELj4294967295EEENS1_25partition_config_selectorILNS1_17partition_subalgoE3EjNS0_10empty_typeEbEEZZNS1_14partition_implILS8_3ELb0ES6_jNS0_17counting_iteratorIjlEEPS9_SE_NS0_5tupleIJPjSE_EEENSF_IJSE_SE_EEES9_SG_JZNS1_25segmented_radix_sort_implINS0_14default_configELb0EPKlPlSM_SN_N2at6native12_GLOBAL__N_18offset_tEEE10hipError_tPvRmT1_PNSt15iterator_traitsISV_E10value_typeET2_T3_PNSW_IS11_E10value_typeET4_jRbjT5_S17_jjP12ihipStream_tbEUljE_EEESS_ST_SU_S11_S15_S17_T6_T7_T9_mT8_S19_bDpT10_ENKUlT_T0_E_clISt17integral_constantIbLb0EES1L_IbLb1EEEEDaS1H_S1I_EUlS1H_E_NS1_11comp_targetILNS1_3genE5ELNS1_11target_archE942ELNS1_3gpuE9ELNS1_3repE0EEENS1_30default_config_static_selectorELNS0_4arch9wavefront6targetE1EEEvSV_.kd
    .uniform_work_group_size: 1
    .uses_dynamic_stack: false
    .vgpr_count:     0
    .vgpr_spill_count: 0
    .wavefront_size: 64
  - .args:
      - .offset:         0
        .size:           152
        .value_kind:     by_value
    .group_segment_fixed_size: 0
    .kernarg_segment_align: 8
    .kernarg_segment_size: 152
    .language:       OpenCL C
    .language_version:
      - 2
      - 0
    .max_flat_workgroup_size: 256
    .name:           _ZN7rocprim17ROCPRIM_400000_NS6detail17trampoline_kernelINS0_13select_configILj256ELj13ELNS0_17block_load_methodE3ELS4_3ELS4_3ELNS0_20block_scan_algorithmE0ELj4294967295EEENS1_25partition_config_selectorILNS1_17partition_subalgoE3EjNS0_10empty_typeEbEEZZNS1_14partition_implILS8_3ELb0ES6_jNS0_17counting_iteratorIjlEEPS9_SE_NS0_5tupleIJPjSE_EEENSF_IJSE_SE_EEES9_SG_JZNS1_25segmented_radix_sort_implINS0_14default_configELb0EPKlPlSM_SN_N2at6native12_GLOBAL__N_18offset_tEEE10hipError_tPvRmT1_PNSt15iterator_traitsISV_E10value_typeET2_T3_PNSW_IS11_E10value_typeET4_jRbjT5_S17_jjP12ihipStream_tbEUljE_EEESS_ST_SU_S11_S15_S17_T6_T7_T9_mT8_S19_bDpT10_ENKUlT_T0_E_clISt17integral_constantIbLb0EES1L_IbLb1EEEEDaS1H_S1I_EUlS1H_E_NS1_11comp_targetILNS1_3genE4ELNS1_11target_archE910ELNS1_3gpuE8ELNS1_3repE0EEENS1_30default_config_static_selectorELNS0_4arch9wavefront6targetE1EEEvSV_
    .private_segment_fixed_size: 0
    .sgpr_count:     4
    .sgpr_spill_count: 0
    .symbol:         _ZN7rocprim17ROCPRIM_400000_NS6detail17trampoline_kernelINS0_13select_configILj256ELj13ELNS0_17block_load_methodE3ELS4_3ELS4_3ELNS0_20block_scan_algorithmE0ELj4294967295EEENS1_25partition_config_selectorILNS1_17partition_subalgoE3EjNS0_10empty_typeEbEEZZNS1_14partition_implILS8_3ELb0ES6_jNS0_17counting_iteratorIjlEEPS9_SE_NS0_5tupleIJPjSE_EEENSF_IJSE_SE_EEES9_SG_JZNS1_25segmented_radix_sort_implINS0_14default_configELb0EPKlPlSM_SN_N2at6native12_GLOBAL__N_18offset_tEEE10hipError_tPvRmT1_PNSt15iterator_traitsISV_E10value_typeET2_T3_PNSW_IS11_E10value_typeET4_jRbjT5_S17_jjP12ihipStream_tbEUljE_EEESS_ST_SU_S11_S15_S17_T6_T7_T9_mT8_S19_bDpT10_ENKUlT_T0_E_clISt17integral_constantIbLb0EES1L_IbLb1EEEEDaS1H_S1I_EUlS1H_E_NS1_11comp_targetILNS1_3genE4ELNS1_11target_archE910ELNS1_3gpuE8ELNS1_3repE0EEENS1_30default_config_static_selectorELNS0_4arch9wavefront6targetE1EEEvSV_.kd
    .uniform_work_group_size: 1
    .uses_dynamic_stack: false
    .vgpr_count:     0
    .vgpr_spill_count: 0
    .wavefront_size: 64
  - .args:
      - .offset:         0
        .size:           152
        .value_kind:     by_value
    .group_segment_fixed_size: 0
    .kernarg_segment_align: 8
    .kernarg_segment_size: 152
    .language:       OpenCL C
    .language_version:
      - 2
      - 0
    .max_flat_workgroup_size: 256
    .name:           _ZN7rocprim17ROCPRIM_400000_NS6detail17trampoline_kernelINS0_13select_configILj256ELj13ELNS0_17block_load_methodE3ELS4_3ELS4_3ELNS0_20block_scan_algorithmE0ELj4294967295EEENS1_25partition_config_selectorILNS1_17partition_subalgoE3EjNS0_10empty_typeEbEEZZNS1_14partition_implILS8_3ELb0ES6_jNS0_17counting_iteratorIjlEEPS9_SE_NS0_5tupleIJPjSE_EEENSF_IJSE_SE_EEES9_SG_JZNS1_25segmented_radix_sort_implINS0_14default_configELb0EPKlPlSM_SN_N2at6native12_GLOBAL__N_18offset_tEEE10hipError_tPvRmT1_PNSt15iterator_traitsISV_E10value_typeET2_T3_PNSW_IS11_E10value_typeET4_jRbjT5_S17_jjP12ihipStream_tbEUljE_EEESS_ST_SU_S11_S15_S17_T6_T7_T9_mT8_S19_bDpT10_ENKUlT_T0_E_clISt17integral_constantIbLb0EES1L_IbLb1EEEEDaS1H_S1I_EUlS1H_E_NS1_11comp_targetILNS1_3genE3ELNS1_11target_archE908ELNS1_3gpuE7ELNS1_3repE0EEENS1_30default_config_static_selectorELNS0_4arch9wavefront6targetE1EEEvSV_
    .private_segment_fixed_size: 0
    .sgpr_count:     4
    .sgpr_spill_count: 0
    .symbol:         _ZN7rocprim17ROCPRIM_400000_NS6detail17trampoline_kernelINS0_13select_configILj256ELj13ELNS0_17block_load_methodE3ELS4_3ELS4_3ELNS0_20block_scan_algorithmE0ELj4294967295EEENS1_25partition_config_selectorILNS1_17partition_subalgoE3EjNS0_10empty_typeEbEEZZNS1_14partition_implILS8_3ELb0ES6_jNS0_17counting_iteratorIjlEEPS9_SE_NS0_5tupleIJPjSE_EEENSF_IJSE_SE_EEES9_SG_JZNS1_25segmented_radix_sort_implINS0_14default_configELb0EPKlPlSM_SN_N2at6native12_GLOBAL__N_18offset_tEEE10hipError_tPvRmT1_PNSt15iterator_traitsISV_E10value_typeET2_T3_PNSW_IS11_E10value_typeET4_jRbjT5_S17_jjP12ihipStream_tbEUljE_EEESS_ST_SU_S11_S15_S17_T6_T7_T9_mT8_S19_bDpT10_ENKUlT_T0_E_clISt17integral_constantIbLb0EES1L_IbLb1EEEEDaS1H_S1I_EUlS1H_E_NS1_11comp_targetILNS1_3genE3ELNS1_11target_archE908ELNS1_3gpuE7ELNS1_3repE0EEENS1_30default_config_static_selectorELNS0_4arch9wavefront6targetE1EEEvSV_.kd
    .uniform_work_group_size: 1
    .uses_dynamic_stack: false
    .vgpr_count:     0
    .vgpr_spill_count: 0
    .wavefront_size: 64
  - .args:
      - .offset:         0
        .size:           152
        .value_kind:     by_value
    .group_segment_fixed_size: 13320
    .kernarg_segment_align: 8
    .kernarg_segment_size: 152
    .language:       OpenCL C
    .language_version:
      - 2
      - 0
    .max_flat_workgroup_size: 256
    .name:           _ZN7rocprim17ROCPRIM_400000_NS6detail17trampoline_kernelINS0_13select_configILj256ELj13ELNS0_17block_load_methodE3ELS4_3ELS4_3ELNS0_20block_scan_algorithmE0ELj4294967295EEENS1_25partition_config_selectorILNS1_17partition_subalgoE3EjNS0_10empty_typeEbEEZZNS1_14partition_implILS8_3ELb0ES6_jNS0_17counting_iteratorIjlEEPS9_SE_NS0_5tupleIJPjSE_EEENSF_IJSE_SE_EEES9_SG_JZNS1_25segmented_radix_sort_implINS0_14default_configELb0EPKlPlSM_SN_N2at6native12_GLOBAL__N_18offset_tEEE10hipError_tPvRmT1_PNSt15iterator_traitsISV_E10value_typeET2_T3_PNSW_IS11_E10value_typeET4_jRbjT5_S17_jjP12ihipStream_tbEUljE_EEESS_ST_SU_S11_S15_S17_T6_T7_T9_mT8_S19_bDpT10_ENKUlT_T0_E_clISt17integral_constantIbLb0EES1L_IbLb1EEEEDaS1H_S1I_EUlS1H_E_NS1_11comp_targetILNS1_3genE2ELNS1_11target_archE906ELNS1_3gpuE6ELNS1_3repE0EEENS1_30default_config_static_selectorELNS0_4arch9wavefront6targetE1EEEvSV_
    .private_segment_fixed_size: 0
    .sgpr_count:     50
    .sgpr_spill_count: 0
    .symbol:         _ZN7rocprim17ROCPRIM_400000_NS6detail17trampoline_kernelINS0_13select_configILj256ELj13ELNS0_17block_load_methodE3ELS4_3ELS4_3ELNS0_20block_scan_algorithmE0ELj4294967295EEENS1_25partition_config_selectorILNS1_17partition_subalgoE3EjNS0_10empty_typeEbEEZZNS1_14partition_implILS8_3ELb0ES6_jNS0_17counting_iteratorIjlEEPS9_SE_NS0_5tupleIJPjSE_EEENSF_IJSE_SE_EEES9_SG_JZNS1_25segmented_radix_sort_implINS0_14default_configELb0EPKlPlSM_SN_N2at6native12_GLOBAL__N_18offset_tEEE10hipError_tPvRmT1_PNSt15iterator_traitsISV_E10value_typeET2_T3_PNSW_IS11_E10value_typeET4_jRbjT5_S17_jjP12ihipStream_tbEUljE_EEESS_ST_SU_S11_S15_S17_T6_T7_T9_mT8_S19_bDpT10_ENKUlT_T0_E_clISt17integral_constantIbLb0EES1L_IbLb1EEEEDaS1H_S1I_EUlS1H_E_NS1_11comp_targetILNS1_3genE2ELNS1_11target_archE906ELNS1_3gpuE6ELNS1_3repE0EEENS1_30default_config_static_selectorELNS0_4arch9wavefront6targetE1EEEvSV_.kd
    .uniform_work_group_size: 1
    .uses_dynamic_stack: false
    .vgpr_count:     71
    .vgpr_spill_count: 0
    .wavefront_size: 64
  - .args:
      - .offset:         0
        .size:           152
        .value_kind:     by_value
    .group_segment_fixed_size: 0
    .kernarg_segment_align: 8
    .kernarg_segment_size: 152
    .language:       OpenCL C
    .language_version:
      - 2
      - 0
    .max_flat_workgroup_size: 256
    .name:           _ZN7rocprim17ROCPRIM_400000_NS6detail17trampoline_kernelINS0_13select_configILj256ELj13ELNS0_17block_load_methodE3ELS4_3ELS4_3ELNS0_20block_scan_algorithmE0ELj4294967295EEENS1_25partition_config_selectorILNS1_17partition_subalgoE3EjNS0_10empty_typeEbEEZZNS1_14partition_implILS8_3ELb0ES6_jNS0_17counting_iteratorIjlEEPS9_SE_NS0_5tupleIJPjSE_EEENSF_IJSE_SE_EEES9_SG_JZNS1_25segmented_radix_sort_implINS0_14default_configELb0EPKlPlSM_SN_N2at6native12_GLOBAL__N_18offset_tEEE10hipError_tPvRmT1_PNSt15iterator_traitsISV_E10value_typeET2_T3_PNSW_IS11_E10value_typeET4_jRbjT5_S17_jjP12ihipStream_tbEUljE_EEESS_ST_SU_S11_S15_S17_T6_T7_T9_mT8_S19_bDpT10_ENKUlT_T0_E_clISt17integral_constantIbLb0EES1L_IbLb1EEEEDaS1H_S1I_EUlS1H_E_NS1_11comp_targetILNS1_3genE10ELNS1_11target_archE1200ELNS1_3gpuE4ELNS1_3repE0EEENS1_30default_config_static_selectorELNS0_4arch9wavefront6targetE1EEEvSV_
    .private_segment_fixed_size: 0
    .sgpr_count:     4
    .sgpr_spill_count: 0
    .symbol:         _ZN7rocprim17ROCPRIM_400000_NS6detail17trampoline_kernelINS0_13select_configILj256ELj13ELNS0_17block_load_methodE3ELS4_3ELS4_3ELNS0_20block_scan_algorithmE0ELj4294967295EEENS1_25partition_config_selectorILNS1_17partition_subalgoE3EjNS0_10empty_typeEbEEZZNS1_14partition_implILS8_3ELb0ES6_jNS0_17counting_iteratorIjlEEPS9_SE_NS0_5tupleIJPjSE_EEENSF_IJSE_SE_EEES9_SG_JZNS1_25segmented_radix_sort_implINS0_14default_configELb0EPKlPlSM_SN_N2at6native12_GLOBAL__N_18offset_tEEE10hipError_tPvRmT1_PNSt15iterator_traitsISV_E10value_typeET2_T3_PNSW_IS11_E10value_typeET4_jRbjT5_S17_jjP12ihipStream_tbEUljE_EEESS_ST_SU_S11_S15_S17_T6_T7_T9_mT8_S19_bDpT10_ENKUlT_T0_E_clISt17integral_constantIbLb0EES1L_IbLb1EEEEDaS1H_S1I_EUlS1H_E_NS1_11comp_targetILNS1_3genE10ELNS1_11target_archE1200ELNS1_3gpuE4ELNS1_3repE0EEENS1_30default_config_static_selectorELNS0_4arch9wavefront6targetE1EEEvSV_.kd
    .uniform_work_group_size: 1
    .uses_dynamic_stack: false
    .vgpr_count:     0
    .vgpr_spill_count: 0
    .wavefront_size: 64
  - .args:
      - .offset:         0
        .size:           152
        .value_kind:     by_value
    .group_segment_fixed_size: 0
    .kernarg_segment_align: 8
    .kernarg_segment_size: 152
    .language:       OpenCL C
    .language_version:
      - 2
      - 0
    .max_flat_workgroup_size: 256
    .name:           _ZN7rocprim17ROCPRIM_400000_NS6detail17trampoline_kernelINS0_13select_configILj256ELj13ELNS0_17block_load_methodE3ELS4_3ELS4_3ELNS0_20block_scan_algorithmE0ELj4294967295EEENS1_25partition_config_selectorILNS1_17partition_subalgoE3EjNS0_10empty_typeEbEEZZNS1_14partition_implILS8_3ELb0ES6_jNS0_17counting_iteratorIjlEEPS9_SE_NS0_5tupleIJPjSE_EEENSF_IJSE_SE_EEES9_SG_JZNS1_25segmented_radix_sort_implINS0_14default_configELb0EPKlPlSM_SN_N2at6native12_GLOBAL__N_18offset_tEEE10hipError_tPvRmT1_PNSt15iterator_traitsISV_E10value_typeET2_T3_PNSW_IS11_E10value_typeET4_jRbjT5_S17_jjP12ihipStream_tbEUljE_EEESS_ST_SU_S11_S15_S17_T6_T7_T9_mT8_S19_bDpT10_ENKUlT_T0_E_clISt17integral_constantIbLb0EES1L_IbLb1EEEEDaS1H_S1I_EUlS1H_E_NS1_11comp_targetILNS1_3genE9ELNS1_11target_archE1100ELNS1_3gpuE3ELNS1_3repE0EEENS1_30default_config_static_selectorELNS0_4arch9wavefront6targetE1EEEvSV_
    .private_segment_fixed_size: 0
    .sgpr_count:     4
    .sgpr_spill_count: 0
    .symbol:         _ZN7rocprim17ROCPRIM_400000_NS6detail17trampoline_kernelINS0_13select_configILj256ELj13ELNS0_17block_load_methodE3ELS4_3ELS4_3ELNS0_20block_scan_algorithmE0ELj4294967295EEENS1_25partition_config_selectorILNS1_17partition_subalgoE3EjNS0_10empty_typeEbEEZZNS1_14partition_implILS8_3ELb0ES6_jNS0_17counting_iteratorIjlEEPS9_SE_NS0_5tupleIJPjSE_EEENSF_IJSE_SE_EEES9_SG_JZNS1_25segmented_radix_sort_implINS0_14default_configELb0EPKlPlSM_SN_N2at6native12_GLOBAL__N_18offset_tEEE10hipError_tPvRmT1_PNSt15iterator_traitsISV_E10value_typeET2_T3_PNSW_IS11_E10value_typeET4_jRbjT5_S17_jjP12ihipStream_tbEUljE_EEESS_ST_SU_S11_S15_S17_T6_T7_T9_mT8_S19_bDpT10_ENKUlT_T0_E_clISt17integral_constantIbLb0EES1L_IbLb1EEEEDaS1H_S1I_EUlS1H_E_NS1_11comp_targetILNS1_3genE9ELNS1_11target_archE1100ELNS1_3gpuE3ELNS1_3repE0EEENS1_30default_config_static_selectorELNS0_4arch9wavefront6targetE1EEEvSV_.kd
    .uniform_work_group_size: 1
    .uses_dynamic_stack: false
    .vgpr_count:     0
    .vgpr_spill_count: 0
    .wavefront_size: 64
  - .args:
      - .offset:         0
        .size:           152
        .value_kind:     by_value
    .group_segment_fixed_size: 0
    .kernarg_segment_align: 8
    .kernarg_segment_size: 152
    .language:       OpenCL C
    .language_version:
      - 2
      - 0
    .max_flat_workgroup_size: 256
    .name:           _ZN7rocprim17ROCPRIM_400000_NS6detail17trampoline_kernelINS0_13select_configILj256ELj13ELNS0_17block_load_methodE3ELS4_3ELS4_3ELNS0_20block_scan_algorithmE0ELj4294967295EEENS1_25partition_config_selectorILNS1_17partition_subalgoE3EjNS0_10empty_typeEbEEZZNS1_14partition_implILS8_3ELb0ES6_jNS0_17counting_iteratorIjlEEPS9_SE_NS0_5tupleIJPjSE_EEENSF_IJSE_SE_EEES9_SG_JZNS1_25segmented_radix_sort_implINS0_14default_configELb0EPKlPlSM_SN_N2at6native12_GLOBAL__N_18offset_tEEE10hipError_tPvRmT1_PNSt15iterator_traitsISV_E10value_typeET2_T3_PNSW_IS11_E10value_typeET4_jRbjT5_S17_jjP12ihipStream_tbEUljE_EEESS_ST_SU_S11_S15_S17_T6_T7_T9_mT8_S19_bDpT10_ENKUlT_T0_E_clISt17integral_constantIbLb0EES1L_IbLb1EEEEDaS1H_S1I_EUlS1H_E_NS1_11comp_targetILNS1_3genE8ELNS1_11target_archE1030ELNS1_3gpuE2ELNS1_3repE0EEENS1_30default_config_static_selectorELNS0_4arch9wavefront6targetE1EEEvSV_
    .private_segment_fixed_size: 0
    .sgpr_count:     4
    .sgpr_spill_count: 0
    .symbol:         _ZN7rocprim17ROCPRIM_400000_NS6detail17trampoline_kernelINS0_13select_configILj256ELj13ELNS0_17block_load_methodE3ELS4_3ELS4_3ELNS0_20block_scan_algorithmE0ELj4294967295EEENS1_25partition_config_selectorILNS1_17partition_subalgoE3EjNS0_10empty_typeEbEEZZNS1_14partition_implILS8_3ELb0ES6_jNS0_17counting_iteratorIjlEEPS9_SE_NS0_5tupleIJPjSE_EEENSF_IJSE_SE_EEES9_SG_JZNS1_25segmented_radix_sort_implINS0_14default_configELb0EPKlPlSM_SN_N2at6native12_GLOBAL__N_18offset_tEEE10hipError_tPvRmT1_PNSt15iterator_traitsISV_E10value_typeET2_T3_PNSW_IS11_E10value_typeET4_jRbjT5_S17_jjP12ihipStream_tbEUljE_EEESS_ST_SU_S11_S15_S17_T6_T7_T9_mT8_S19_bDpT10_ENKUlT_T0_E_clISt17integral_constantIbLb0EES1L_IbLb1EEEEDaS1H_S1I_EUlS1H_E_NS1_11comp_targetILNS1_3genE8ELNS1_11target_archE1030ELNS1_3gpuE2ELNS1_3repE0EEENS1_30default_config_static_selectorELNS0_4arch9wavefront6targetE1EEEvSV_.kd
    .uniform_work_group_size: 1
    .uses_dynamic_stack: false
    .vgpr_count:     0
    .vgpr_spill_count: 0
    .wavefront_size: 64
  - .args:
      - .offset:         0
        .size:           96
        .value_kind:     by_value
    .group_segment_fixed_size: 0
    .kernarg_segment_align: 8
    .kernarg_segment_size: 96
    .language:       OpenCL C
    .language_version:
      - 2
      - 0
    .max_flat_workgroup_size: 256
    .name:           _ZN7rocprim17ROCPRIM_400000_NS6detail17trampoline_kernelINS0_14default_configENS1_36segmented_radix_sort_config_selectorIllEEZNS1_25segmented_radix_sort_implIS3_Lb0EPKlPlS8_S9_N2at6native12_GLOBAL__N_18offset_tEEE10hipError_tPvRmT1_PNSt15iterator_traitsISH_E10value_typeET2_T3_PNSI_ISN_E10value_typeET4_jRbjT5_ST_jjP12ihipStream_tbEUlT_E_NS1_11comp_targetILNS1_3genE0ELNS1_11target_archE4294967295ELNS1_3gpuE0ELNS1_3repE0EEENS1_30default_config_static_selectorELNS0_4arch9wavefront6targetE1EEEvSH_
    .private_segment_fixed_size: 0
    .sgpr_count:     4
    .sgpr_spill_count: 0
    .symbol:         _ZN7rocprim17ROCPRIM_400000_NS6detail17trampoline_kernelINS0_14default_configENS1_36segmented_radix_sort_config_selectorIllEEZNS1_25segmented_radix_sort_implIS3_Lb0EPKlPlS8_S9_N2at6native12_GLOBAL__N_18offset_tEEE10hipError_tPvRmT1_PNSt15iterator_traitsISH_E10value_typeET2_T3_PNSI_ISN_E10value_typeET4_jRbjT5_ST_jjP12ihipStream_tbEUlT_E_NS1_11comp_targetILNS1_3genE0ELNS1_11target_archE4294967295ELNS1_3gpuE0ELNS1_3repE0EEENS1_30default_config_static_selectorELNS0_4arch9wavefront6targetE1EEEvSH_.kd
    .uniform_work_group_size: 1
    .uses_dynamic_stack: false
    .vgpr_count:     0
    .vgpr_spill_count: 0
    .wavefront_size: 64
  - .args:
      - .offset:         0
        .size:           96
        .value_kind:     by_value
    .group_segment_fixed_size: 0
    .kernarg_segment_align: 8
    .kernarg_segment_size: 96
    .language:       OpenCL C
    .language_version:
      - 2
      - 0
    .max_flat_workgroup_size: 256
    .name:           _ZN7rocprim17ROCPRIM_400000_NS6detail17trampoline_kernelINS0_14default_configENS1_36segmented_radix_sort_config_selectorIllEEZNS1_25segmented_radix_sort_implIS3_Lb0EPKlPlS8_S9_N2at6native12_GLOBAL__N_18offset_tEEE10hipError_tPvRmT1_PNSt15iterator_traitsISH_E10value_typeET2_T3_PNSI_ISN_E10value_typeET4_jRbjT5_ST_jjP12ihipStream_tbEUlT_E_NS1_11comp_targetILNS1_3genE5ELNS1_11target_archE942ELNS1_3gpuE9ELNS1_3repE0EEENS1_30default_config_static_selectorELNS0_4arch9wavefront6targetE1EEEvSH_
    .private_segment_fixed_size: 0
    .sgpr_count:     4
    .sgpr_spill_count: 0
    .symbol:         _ZN7rocprim17ROCPRIM_400000_NS6detail17trampoline_kernelINS0_14default_configENS1_36segmented_radix_sort_config_selectorIllEEZNS1_25segmented_radix_sort_implIS3_Lb0EPKlPlS8_S9_N2at6native12_GLOBAL__N_18offset_tEEE10hipError_tPvRmT1_PNSt15iterator_traitsISH_E10value_typeET2_T3_PNSI_ISN_E10value_typeET4_jRbjT5_ST_jjP12ihipStream_tbEUlT_E_NS1_11comp_targetILNS1_3genE5ELNS1_11target_archE942ELNS1_3gpuE9ELNS1_3repE0EEENS1_30default_config_static_selectorELNS0_4arch9wavefront6targetE1EEEvSH_.kd
    .uniform_work_group_size: 1
    .uses_dynamic_stack: false
    .vgpr_count:     0
    .vgpr_spill_count: 0
    .wavefront_size: 64
  - .args:
      - .offset:         0
        .size:           96
        .value_kind:     by_value
    .group_segment_fixed_size: 0
    .kernarg_segment_align: 8
    .kernarg_segment_size: 96
    .language:       OpenCL C
    .language_version:
      - 2
      - 0
    .max_flat_workgroup_size: 256
    .name:           _ZN7rocprim17ROCPRIM_400000_NS6detail17trampoline_kernelINS0_14default_configENS1_36segmented_radix_sort_config_selectorIllEEZNS1_25segmented_radix_sort_implIS3_Lb0EPKlPlS8_S9_N2at6native12_GLOBAL__N_18offset_tEEE10hipError_tPvRmT1_PNSt15iterator_traitsISH_E10value_typeET2_T3_PNSI_ISN_E10value_typeET4_jRbjT5_ST_jjP12ihipStream_tbEUlT_E_NS1_11comp_targetILNS1_3genE4ELNS1_11target_archE910ELNS1_3gpuE8ELNS1_3repE0EEENS1_30default_config_static_selectorELNS0_4arch9wavefront6targetE1EEEvSH_
    .private_segment_fixed_size: 0
    .sgpr_count:     4
    .sgpr_spill_count: 0
    .symbol:         _ZN7rocprim17ROCPRIM_400000_NS6detail17trampoline_kernelINS0_14default_configENS1_36segmented_radix_sort_config_selectorIllEEZNS1_25segmented_radix_sort_implIS3_Lb0EPKlPlS8_S9_N2at6native12_GLOBAL__N_18offset_tEEE10hipError_tPvRmT1_PNSt15iterator_traitsISH_E10value_typeET2_T3_PNSI_ISN_E10value_typeET4_jRbjT5_ST_jjP12ihipStream_tbEUlT_E_NS1_11comp_targetILNS1_3genE4ELNS1_11target_archE910ELNS1_3gpuE8ELNS1_3repE0EEENS1_30default_config_static_selectorELNS0_4arch9wavefront6targetE1EEEvSH_.kd
    .uniform_work_group_size: 1
    .uses_dynamic_stack: false
    .vgpr_count:     0
    .vgpr_spill_count: 0
    .wavefront_size: 64
  - .args:
      - .offset:         0
        .size:           96
        .value_kind:     by_value
    .group_segment_fixed_size: 0
    .kernarg_segment_align: 8
    .kernarg_segment_size: 96
    .language:       OpenCL C
    .language_version:
      - 2
      - 0
    .max_flat_workgroup_size: 256
    .name:           _ZN7rocprim17ROCPRIM_400000_NS6detail17trampoline_kernelINS0_14default_configENS1_36segmented_radix_sort_config_selectorIllEEZNS1_25segmented_radix_sort_implIS3_Lb0EPKlPlS8_S9_N2at6native12_GLOBAL__N_18offset_tEEE10hipError_tPvRmT1_PNSt15iterator_traitsISH_E10value_typeET2_T3_PNSI_ISN_E10value_typeET4_jRbjT5_ST_jjP12ihipStream_tbEUlT_E_NS1_11comp_targetILNS1_3genE3ELNS1_11target_archE908ELNS1_3gpuE7ELNS1_3repE0EEENS1_30default_config_static_selectorELNS0_4arch9wavefront6targetE1EEEvSH_
    .private_segment_fixed_size: 0
    .sgpr_count:     4
    .sgpr_spill_count: 0
    .symbol:         _ZN7rocprim17ROCPRIM_400000_NS6detail17trampoline_kernelINS0_14default_configENS1_36segmented_radix_sort_config_selectorIllEEZNS1_25segmented_radix_sort_implIS3_Lb0EPKlPlS8_S9_N2at6native12_GLOBAL__N_18offset_tEEE10hipError_tPvRmT1_PNSt15iterator_traitsISH_E10value_typeET2_T3_PNSI_ISN_E10value_typeET4_jRbjT5_ST_jjP12ihipStream_tbEUlT_E_NS1_11comp_targetILNS1_3genE3ELNS1_11target_archE908ELNS1_3gpuE7ELNS1_3repE0EEENS1_30default_config_static_selectorELNS0_4arch9wavefront6targetE1EEEvSH_.kd
    .uniform_work_group_size: 1
    .uses_dynamic_stack: false
    .vgpr_count:     0
    .vgpr_spill_count: 0
    .wavefront_size: 64
  - .args:
      - .offset:         0
        .size:           96
        .value_kind:     by_value
      - .offset:         96
        .size:           4
        .value_kind:     hidden_block_count_x
      - .offset:         100
        .size:           4
        .value_kind:     hidden_block_count_y
      - .offset:         104
        .size:           4
        .value_kind:     hidden_block_count_z
      - .offset:         108
        .size:           2
        .value_kind:     hidden_group_size_x
      - .offset:         110
        .size:           2
        .value_kind:     hidden_group_size_y
      - .offset:         112
        .size:           2
        .value_kind:     hidden_group_size_z
      - .offset:         114
        .size:           2
        .value_kind:     hidden_remainder_x
      - .offset:         116
        .size:           2
        .value_kind:     hidden_remainder_y
      - .offset:         118
        .size:           2
        .value_kind:     hidden_remainder_z
      - .offset:         136
        .size:           8
        .value_kind:     hidden_global_offset_x
      - .offset:         144
        .size:           8
        .value_kind:     hidden_global_offset_y
      - .offset:         152
        .size:           8
        .value_kind:     hidden_global_offset_z
      - .offset:         160
        .size:           2
        .value_kind:     hidden_grid_dims
    .group_segment_fixed_size: 33288
    .kernarg_segment_align: 8
    .kernarg_segment_size: 352
    .language:       OpenCL C
    .language_version:
      - 2
      - 0
    .max_flat_workgroup_size: 256
    .name:           _ZN7rocprim17ROCPRIM_400000_NS6detail17trampoline_kernelINS0_14default_configENS1_36segmented_radix_sort_config_selectorIllEEZNS1_25segmented_radix_sort_implIS3_Lb0EPKlPlS8_S9_N2at6native12_GLOBAL__N_18offset_tEEE10hipError_tPvRmT1_PNSt15iterator_traitsISH_E10value_typeET2_T3_PNSI_ISN_E10value_typeET4_jRbjT5_ST_jjP12ihipStream_tbEUlT_E_NS1_11comp_targetILNS1_3genE2ELNS1_11target_archE906ELNS1_3gpuE6ELNS1_3repE0EEENS1_30default_config_static_selectorELNS0_4arch9wavefront6targetE1EEEvSH_
    .private_segment_fixed_size: 160
    .sgpr_count:     104
    .sgpr_spill_count: 3
    .symbol:         _ZN7rocprim17ROCPRIM_400000_NS6detail17trampoline_kernelINS0_14default_configENS1_36segmented_radix_sort_config_selectorIllEEZNS1_25segmented_radix_sort_implIS3_Lb0EPKlPlS8_S9_N2at6native12_GLOBAL__N_18offset_tEEE10hipError_tPvRmT1_PNSt15iterator_traitsISH_E10value_typeET2_T3_PNSI_ISN_E10value_typeET4_jRbjT5_ST_jjP12ihipStream_tbEUlT_E_NS1_11comp_targetILNS1_3genE2ELNS1_11target_archE906ELNS1_3gpuE6ELNS1_3repE0EEENS1_30default_config_static_selectorELNS0_4arch9wavefront6targetE1EEEvSH_.kd
    .uniform_work_group_size: 1
    .uses_dynamic_stack: false
    .vgpr_count:     248
    .vgpr_spill_count: 0
    .wavefront_size: 64
  - .args:
      - .offset:         0
        .size:           96
        .value_kind:     by_value
    .group_segment_fixed_size: 0
    .kernarg_segment_align: 8
    .kernarg_segment_size: 96
    .language:       OpenCL C
    .language_version:
      - 2
      - 0
    .max_flat_workgroup_size: 256
    .name:           _ZN7rocprim17ROCPRIM_400000_NS6detail17trampoline_kernelINS0_14default_configENS1_36segmented_radix_sort_config_selectorIllEEZNS1_25segmented_radix_sort_implIS3_Lb0EPKlPlS8_S9_N2at6native12_GLOBAL__N_18offset_tEEE10hipError_tPvRmT1_PNSt15iterator_traitsISH_E10value_typeET2_T3_PNSI_ISN_E10value_typeET4_jRbjT5_ST_jjP12ihipStream_tbEUlT_E_NS1_11comp_targetILNS1_3genE10ELNS1_11target_archE1201ELNS1_3gpuE5ELNS1_3repE0EEENS1_30default_config_static_selectorELNS0_4arch9wavefront6targetE1EEEvSH_
    .private_segment_fixed_size: 0
    .sgpr_count:     4
    .sgpr_spill_count: 0
    .symbol:         _ZN7rocprim17ROCPRIM_400000_NS6detail17trampoline_kernelINS0_14default_configENS1_36segmented_radix_sort_config_selectorIllEEZNS1_25segmented_radix_sort_implIS3_Lb0EPKlPlS8_S9_N2at6native12_GLOBAL__N_18offset_tEEE10hipError_tPvRmT1_PNSt15iterator_traitsISH_E10value_typeET2_T3_PNSI_ISN_E10value_typeET4_jRbjT5_ST_jjP12ihipStream_tbEUlT_E_NS1_11comp_targetILNS1_3genE10ELNS1_11target_archE1201ELNS1_3gpuE5ELNS1_3repE0EEENS1_30default_config_static_selectorELNS0_4arch9wavefront6targetE1EEEvSH_.kd
    .uniform_work_group_size: 1
    .uses_dynamic_stack: false
    .vgpr_count:     0
    .vgpr_spill_count: 0
    .wavefront_size: 64
  - .args:
      - .offset:         0
        .size:           96
        .value_kind:     by_value
    .group_segment_fixed_size: 0
    .kernarg_segment_align: 8
    .kernarg_segment_size: 96
    .language:       OpenCL C
    .language_version:
      - 2
      - 0
    .max_flat_workgroup_size: 128
    .name:           _ZN7rocprim17ROCPRIM_400000_NS6detail17trampoline_kernelINS0_14default_configENS1_36segmented_radix_sort_config_selectorIllEEZNS1_25segmented_radix_sort_implIS3_Lb0EPKlPlS8_S9_N2at6native12_GLOBAL__N_18offset_tEEE10hipError_tPvRmT1_PNSt15iterator_traitsISH_E10value_typeET2_T3_PNSI_ISN_E10value_typeET4_jRbjT5_ST_jjP12ihipStream_tbEUlT_E_NS1_11comp_targetILNS1_3genE10ELNS1_11target_archE1200ELNS1_3gpuE4ELNS1_3repE0EEENS1_30default_config_static_selectorELNS0_4arch9wavefront6targetE1EEEvSH_
    .private_segment_fixed_size: 0
    .sgpr_count:     4
    .sgpr_spill_count: 0
    .symbol:         _ZN7rocprim17ROCPRIM_400000_NS6detail17trampoline_kernelINS0_14default_configENS1_36segmented_radix_sort_config_selectorIllEEZNS1_25segmented_radix_sort_implIS3_Lb0EPKlPlS8_S9_N2at6native12_GLOBAL__N_18offset_tEEE10hipError_tPvRmT1_PNSt15iterator_traitsISH_E10value_typeET2_T3_PNSI_ISN_E10value_typeET4_jRbjT5_ST_jjP12ihipStream_tbEUlT_E_NS1_11comp_targetILNS1_3genE10ELNS1_11target_archE1200ELNS1_3gpuE4ELNS1_3repE0EEENS1_30default_config_static_selectorELNS0_4arch9wavefront6targetE1EEEvSH_.kd
    .uniform_work_group_size: 1
    .uses_dynamic_stack: false
    .vgpr_count:     0
    .vgpr_spill_count: 0
    .wavefront_size: 64
  - .args:
      - .offset:         0
        .size:           96
        .value_kind:     by_value
    .group_segment_fixed_size: 0
    .kernarg_segment_align: 8
    .kernarg_segment_size: 96
    .language:       OpenCL C
    .language_version:
      - 2
      - 0
    .max_flat_workgroup_size: 256
    .name:           _ZN7rocprim17ROCPRIM_400000_NS6detail17trampoline_kernelINS0_14default_configENS1_36segmented_radix_sort_config_selectorIllEEZNS1_25segmented_radix_sort_implIS3_Lb0EPKlPlS8_S9_N2at6native12_GLOBAL__N_18offset_tEEE10hipError_tPvRmT1_PNSt15iterator_traitsISH_E10value_typeET2_T3_PNSI_ISN_E10value_typeET4_jRbjT5_ST_jjP12ihipStream_tbEUlT_E_NS1_11comp_targetILNS1_3genE9ELNS1_11target_archE1100ELNS1_3gpuE3ELNS1_3repE0EEENS1_30default_config_static_selectorELNS0_4arch9wavefront6targetE1EEEvSH_
    .private_segment_fixed_size: 0
    .sgpr_count:     4
    .sgpr_spill_count: 0
    .symbol:         _ZN7rocprim17ROCPRIM_400000_NS6detail17trampoline_kernelINS0_14default_configENS1_36segmented_radix_sort_config_selectorIllEEZNS1_25segmented_radix_sort_implIS3_Lb0EPKlPlS8_S9_N2at6native12_GLOBAL__N_18offset_tEEE10hipError_tPvRmT1_PNSt15iterator_traitsISH_E10value_typeET2_T3_PNSI_ISN_E10value_typeET4_jRbjT5_ST_jjP12ihipStream_tbEUlT_E_NS1_11comp_targetILNS1_3genE9ELNS1_11target_archE1100ELNS1_3gpuE3ELNS1_3repE0EEENS1_30default_config_static_selectorELNS0_4arch9wavefront6targetE1EEEvSH_.kd
    .uniform_work_group_size: 1
    .uses_dynamic_stack: false
    .vgpr_count:     0
    .vgpr_spill_count: 0
    .wavefront_size: 64
  - .args:
      - .offset:         0
        .size:           96
        .value_kind:     by_value
    .group_segment_fixed_size: 0
    .kernarg_segment_align: 8
    .kernarg_segment_size: 96
    .language:       OpenCL C
    .language_version:
      - 2
      - 0
    .max_flat_workgroup_size: 256
    .name:           _ZN7rocprim17ROCPRIM_400000_NS6detail17trampoline_kernelINS0_14default_configENS1_36segmented_radix_sort_config_selectorIllEEZNS1_25segmented_radix_sort_implIS3_Lb0EPKlPlS8_S9_N2at6native12_GLOBAL__N_18offset_tEEE10hipError_tPvRmT1_PNSt15iterator_traitsISH_E10value_typeET2_T3_PNSI_ISN_E10value_typeET4_jRbjT5_ST_jjP12ihipStream_tbEUlT_E_NS1_11comp_targetILNS1_3genE8ELNS1_11target_archE1030ELNS1_3gpuE2ELNS1_3repE0EEENS1_30default_config_static_selectorELNS0_4arch9wavefront6targetE1EEEvSH_
    .private_segment_fixed_size: 0
    .sgpr_count:     4
    .sgpr_spill_count: 0
    .symbol:         _ZN7rocprim17ROCPRIM_400000_NS6detail17trampoline_kernelINS0_14default_configENS1_36segmented_radix_sort_config_selectorIllEEZNS1_25segmented_radix_sort_implIS3_Lb0EPKlPlS8_S9_N2at6native12_GLOBAL__N_18offset_tEEE10hipError_tPvRmT1_PNSt15iterator_traitsISH_E10value_typeET2_T3_PNSI_ISN_E10value_typeET4_jRbjT5_ST_jjP12ihipStream_tbEUlT_E_NS1_11comp_targetILNS1_3genE8ELNS1_11target_archE1030ELNS1_3gpuE2ELNS1_3repE0EEENS1_30default_config_static_selectorELNS0_4arch9wavefront6targetE1EEEvSH_.kd
    .uniform_work_group_size: 1
    .uses_dynamic_stack: false
    .vgpr_count:     0
    .vgpr_spill_count: 0
    .wavefront_size: 64
  - .args:
      - .offset:         0
        .size:           88
        .value_kind:     by_value
    .group_segment_fixed_size: 0
    .kernarg_segment_align: 8
    .kernarg_segment_size: 88
    .language:       OpenCL C
    .language_version:
      - 2
      - 0
    .max_flat_workgroup_size: 256
    .name:           _ZN7rocprim17ROCPRIM_400000_NS6detail17trampoline_kernelINS0_14default_configENS1_36segmented_radix_sort_config_selectorIllEEZNS1_25segmented_radix_sort_implIS3_Lb0EPKlPlS8_S9_N2at6native12_GLOBAL__N_18offset_tEEE10hipError_tPvRmT1_PNSt15iterator_traitsISH_E10value_typeET2_T3_PNSI_ISN_E10value_typeET4_jRbjT5_ST_jjP12ihipStream_tbEUlT_E0_NS1_11comp_targetILNS1_3genE0ELNS1_11target_archE4294967295ELNS1_3gpuE0ELNS1_3repE0EEENS1_60segmented_radix_sort_warp_sort_medium_config_static_selectorELNS0_4arch9wavefront6targetE1EEEvSH_
    .private_segment_fixed_size: 0
    .sgpr_count:     4
    .sgpr_spill_count: 0
    .symbol:         _ZN7rocprim17ROCPRIM_400000_NS6detail17trampoline_kernelINS0_14default_configENS1_36segmented_radix_sort_config_selectorIllEEZNS1_25segmented_radix_sort_implIS3_Lb0EPKlPlS8_S9_N2at6native12_GLOBAL__N_18offset_tEEE10hipError_tPvRmT1_PNSt15iterator_traitsISH_E10value_typeET2_T3_PNSI_ISN_E10value_typeET4_jRbjT5_ST_jjP12ihipStream_tbEUlT_E0_NS1_11comp_targetILNS1_3genE0ELNS1_11target_archE4294967295ELNS1_3gpuE0ELNS1_3repE0EEENS1_60segmented_radix_sort_warp_sort_medium_config_static_selectorELNS0_4arch9wavefront6targetE1EEEvSH_.kd
    .uniform_work_group_size: 1
    .uses_dynamic_stack: false
    .vgpr_count:     0
    .vgpr_spill_count: 0
    .wavefront_size: 64
  - .args:
      - .offset:         0
        .size:           88
        .value_kind:     by_value
    .group_segment_fixed_size: 0
    .kernarg_segment_align: 8
    .kernarg_segment_size: 88
    .language:       OpenCL C
    .language_version:
      - 2
      - 0
    .max_flat_workgroup_size: 256
    .name:           _ZN7rocprim17ROCPRIM_400000_NS6detail17trampoline_kernelINS0_14default_configENS1_36segmented_radix_sort_config_selectorIllEEZNS1_25segmented_radix_sort_implIS3_Lb0EPKlPlS8_S9_N2at6native12_GLOBAL__N_18offset_tEEE10hipError_tPvRmT1_PNSt15iterator_traitsISH_E10value_typeET2_T3_PNSI_ISN_E10value_typeET4_jRbjT5_ST_jjP12ihipStream_tbEUlT_E0_NS1_11comp_targetILNS1_3genE5ELNS1_11target_archE942ELNS1_3gpuE9ELNS1_3repE0EEENS1_60segmented_radix_sort_warp_sort_medium_config_static_selectorELNS0_4arch9wavefront6targetE1EEEvSH_
    .private_segment_fixed_size: 0
    .sgpr_count:     4
    .sgpr_spill_count: 0
    .symbol:         _ZN7rocprim17ROCPRIM_400000_NS6detail17trampoline_kernelINS0_14default_configENS1_36segmented_radix_sort_config_selectorIllEEZNS1_25segmented_radix_sort_implIS3_Lb0EPKlPlS8_S9_N2at6native12_GLOBAL__N_18offset_tEEE10hipError_tPvRmT1_PNSt15iterator_traitsISH_E10value_typeET2_T3_PNSI_ISN_E10value_typeET4_jRbjT5_ST_jjP12ihipStream_tbEUlT_E0_NS1_11comp_targetILNS1_3genE5ELNS1_11target_archE942ELNS1_3gpuE9ELNS1_3repE0EEENS1_60segmented_radix_sort_warp_sort_medium_config_static_selectorELNS0_4arch9wavefront6targetE1EEEvSH_.kd
    .uniform_work_group_size: 1
    .uses_dynamic_stack: false
    .vgpr_count:     0
    .vgpr_spill_count: 0
    .wavefront_size: 64
  - .args:
      - .offset:         0
        .size:           88
        .value_kind:     by_value
    .group_segment_fixed_size: 0
    .kernarg_segment_align: 8
    .kernarg_segment_size: 88
    .language:       OpenCL C
    .language_version:
      - 2
      - 0
    .max_flat_workgroup_size: 256
    .name:           _ZN7rocprim17ROCPRIM_400000_NS6detail17trampoline_kernelINS0_14default_configENS1_36segmented_radix_sort_config_selectorIllEEZNS1_25segmented_radix_sort_implIS3_Lb0EPKlPlS8_S9_N2at6native12_GLOBAL__N_18offset_tEEE10hipError_tPvRmT1_PNSt15iterator_traitsISH_E10value_typeET2_T3_PNSI_ISN_E10value_typeET4_jRbjT5_ST_jjP12ihipStream_tbEUlT_E0_NS1_11comp_targetILNS1_3genE4ELNS1_11target_archE910ELNS1_3gpuE8ELNS1_3repE0EEENS1_60segmented_radix_sort_warp_sort_medium_config_static_selectorELNS0_4arch9wavefront6targetE1EEEvSH_
    .private_segment_fixed_size: 0
    .sgpr_count:     4
    .sgpr_spill_count: 0
    .symbol:         _ZN7rocprim17ROCPRIM_400000_NS6detail17trampoline_kernelINS0_14default_configENS1_36segmented_radix_sort_config_selectorIllEEZNS1_25segmented_radix_sort_implIS3_Lb0EPKlPlS8_S9_N2at6native12_GLOBAL__N_18offset_tEEE10hipError_tPvRmT1_PNSt15iterator_traitsISH_E10value_typeET2_T3_PNSI_ISN_E10value_typeET4_jRbjT5_ST_jjP12ihipStream_tbEUlT_E0_NS1_11comp_targetILNS1_3genE4ELNS1_11target_archE910ELNS1_3gpuE8ELNS1_3repE0EEENS1_60segmented_radix_sort_warp_sort_medium_config_static_selectorELNS0_4arch9wavefront6targetE1EEEvSH_.kd
    .uniform_work_group_size: 1
    .uses_dynamic_stack: false
    .vgpr_count:     0
    .vgpr_spill_count: 0
    .wavefront_size: 64
  - .args:
      - .offset:         0
        .size:           88
        .value_kind:     by_value
    .group_segment_fixed_size: 0
    .kernarg_segment_align: 8
    .kernarg_segment_size: 88
    .language:       OpenCL C
    .language_version:
      - 2
      - 0
    .max_flat_workgroup_size: 256
    .name:           _ZN7rocprim17ROCPRIM_400000_NS6detail17trampoline_kernelINS0_14default_configENS1_36segmented_radix_sort_config_selectorIllEEZNS1_25segmented_radix_sort_implIS3_Lb0EPKlPlS8_S9_N2at6native12_GLOBAL__N_18offset_tEEE10hipError_tPvRmT1_PNSt15iterator_traitsISH_E10value_typeET2_T3_PNSI_ISN_E10value_typeET4_jRbjT5_ST_jjP12ihipStream_tbEUlT_E0_NS1_11comp_targetILNS1_3genE3ELNS1_11target_archE908ELNS1_3gpuE7ELNS1_3repE0EEENS1_60segmented_radix_sort_warp_sort_medium_config_static_selectorELNS0_4arch9wavefront6targetE1EEEvSH_
    .private_segment_fixed_size: 0
    .sgpr_count:     4
    .sgpr_spill_count: 0
    .symbol:         _ZN7rocprim17ROCPRIM_400000_NS6detail17trampoline_kernelINS0_14default_configENS1_36segmented_radix_sort_config_selectorIllEEZNS1_25segmented_radix_sort_implIS3_Lb0EPKlPlS8_S9_N2at6native12_GLOBAL__N_18offset_tEEE10hipError_tPvRmT1_PNSt15iterator_traitsISH_E10value_typeET2_T3_PNSI_ISN_E10value_typeET4_jRbjT5_ST_jjP12ihipStream_tbEUlT_E0_NS1_11comp_targetILNS1_3genE3ELNS1_11target_archE908ELNS1_3gpuE7ELNS1_3repE0EEENS1_60segmented_radix_sort_warp_sort_medium_config_static_selectorELNS0_4arch9wavefront6targetE1EEEvSH_.kd
    .uniform_work_group_size: 1
    .uses_dynamic_stack: false
    .vgpr_count:     0
    .vgpr_spill_count: 0
    .wavefront_size: 64
  - .args:
      - .offset:         0
        .size:           88
        .value_kind:     by_value
      - .offset:         88
        .size:           4
        .value_kind:     hidden_block_count_x
      - .offset:         92
        .size:           4
        .value_kind:     hidden_block_count_y
      - .offset:         96
        .size:           4
        .value_kind:     hidden_block_count_z
      - .offset:         100
        .size:           2
        .value_kind:     hidden_group_size_x
      - .offset:         102
        .size:           2
        .value_kind:     hidden_group_size_y
      - .offset:         104
        .size:           2
        .value_kind:     hidden_group_size_z
      - .offset:         106
        .size:           2
        .value_kind:     hidden_remainder_x
      - .offset:         108
        .size:           2
        .value_kind:     hidden_remainder_y
      - .offset:         110
        .size:           2
        .value_kind:     hidden_remainder_z
      - .offset:         128
        .size:           8
        .value_kind:     hidden_global_offset_x
      - .offset:         136
        .size:           8
        .value_kind:     hidden_global_offset_y
      - .offset:         144
        .size:           8
        .value_kind:     hidden_global_offset_z
      - .offset:         152
        .size:           2
        .value_kind:     hidden_grid_dims
    .group_segment_fixed_size: 65536
    .kernarg_segment_align: 8
    .kernarg_segment_size: 344
    .language:       OpenCL C
    .language_version:
      - 2
      - 0
    .max_flat_workgroup_size: 256
    .name:           _ZN7rocprim17ROCPRIM_400000_NS6detail17trampoline_kernelINS0_14default_configENS1_36segmented_radix_sort_config_selectorIllEEZNS1_25segmented_radix_sort_implIS3_Lb0EPKlPlS8_S9_N2at6native12_GLOBAL__N_18offset_tEEE10hipError_tPvRmT1_PNSt15iterator_traitsISH_E10value_typeET2_T3_PNSI_ISN_E10value_typeET4_jRbjT5_ST_jjP12ihipStream_tbEUlT_E0_NS1_11comp_targetILNS1_3genE2ELNS1_11target_archE906ELNS1_3gpuE6ELNS1_3repE0EEENS1_60segmented_radix_sort_warp_sort_medium_config_static_selectorELNS0_4arch9wavefront6targetE1EEEvSH_
    .private_segment_fixed_size: 8
    .sgpr_count:     100
    .sgpr_spill_count: 0
    .symbol:         _ZN7rocprim17ROCPRIM_400000_NS6detail17trampoline_kernelINS0_14default_configENS1_36segmented_radix_sort_config_selectorIllEEZNS1_25segmented_radix_sort_implIS3_Lb0EPKlPlS8_S9_N2at6native12_GLOBAL__N_18offset_tEEE10hipError_tPvRmT1_PNSt15iterator_traitsISH_E10value_typeET2_T3_PNSI_ISN_E10value_typeET4_jRbjT5_ST_jjP12ihipStream_tbEUlT_E0_NS1_11comp_targetILNS1_3genE2ELNS1_11target_archE906ELNS1_3gpuE6ELNS1_3repE0EEENS1_60segmented_radix_sort_warp_sort_medium_config_static_selectorELNS0_4arch9wavefront6targetE1EEEvSH_.kd
    .uniform_work_group_size: 1
    .uses_dynamic_stack: false
    .vgpr_count:     164
    .vgpr_spill_count: 0
    .wavefront_size: 64
  - .args:
      - .offset:         0
        .size:           88
        .value_kind:     by_value
    .group_segment_fixed_size: 0
    .kernarg_segment_align: 8
    .kernarg_segment_size: 88
    .language:       OpenCL C
    .language_version:
      - 2
      - 0
    .max_flat_workgroup_size: 256
    .name:           _ZN7rocprim17ROCPRIM_400000_NS6detail17trampoline_kernelINS0_14default_configENS1_36segmented_radix_sort_config_selectorIllEEZNS1_25segmented_radix_sort_implIS3_Lb0EPKlPlS8_S9_N2at6native12_GLOBAL__N_18offset_tEEE10hipError_tPvRmT1_PNSt15iterator_traitsISH_E10value_typeET2_T3_PNSI_ISN_E10value_typeET4_jRbjT5_ST_jjP12ihipStream_tbEUlT_E0_NS1_11comp_targetILNS1_3genE10ELNS1_11target_archE1201ELNS1_3gpuE5ELNS1_3repE0EEENS1_60segmented_radix_sort_warp_sort_medium_config_static_selectorELNS0_4arch9wavefront6targetE1EEEvSH_
    .private_segment_fixed_size: 0
    .sgpr_count:     4
    .sgpr_spill_count: 0
    .symbol:         _ZN7rocprim17ROCPRIM_400000_NS6detail17trampoline_kernelINS0_14default_configENS1_36segmented_radix_sort_config_selectorIllEEZNS1_25segmented_radix_sort_implIS3_Lb0EPKlPlS8_S9_N2at6native12_GLOBAL__N_18offset_tEEE10hipError_tPvRmT1_PNSt15iterator_traitsISH_E10value_typeET2_T3_PNSI_ISN_E10value_typeET4_jRbjT5_ST_jjP12ihipStream_tbEUlT_E0_NS1_11comp_targetILNS1_3genE10ELNS1_11target_archE1201ELNS1_3gpuE5ELNS1_3repE0EEENS1_60segmented_radix_sort_warp_sort_medium_config_static_selectorELNS0_4arch9wavefront6targetE1EEEvSH_.kd
    .uniform_work_group_size: 1
    .uses_dynamic_stack: false
    .vgpr_count:     0
    .vgpr_spill_count: 0
    .wavefront_size: 64
  - .args:
      - .offset:         0
        .size:           88
        .value_kind:     by_value
    .group_segment_fixed_size: 0
    .kernarg_segment_align: 8
    .kernarg_segment_size: 88
    .language:       OpenCL C
    .language_version:
      - 2
      - 0
    .max_flat_workgroup_size: 256
    .name:           _ZN7rocprim17ROCPRIM_400000_NS6detail17trampoline_kernelINS0_14default_configENS1_36segmented_radix_sort_config_selectorIllEEZNS1_25segmented_radix_sort_implIS3_Lb0EPKlPlS8_S9_N2at6native12_GLOBAL__N_18offset_tEEE10hipError_tPvRmT1_PNSt15iterator_traitsISH_E10value_typeET2_T3_PNSI_ISN_E10value_typeET4_jRbjT5_ST_jjP12ihipStream_tbEUlT_E0_NS1_11comp_targetILNS1_3genE10ELNS1_11target_archE1200ELNS1_3gpuE4ELNS1_3repE0EEENS1_60segmented_radix_sort_warp_sort_medium_config_static_selectorELNS0_4arch9wavefront6targetE1EEEvSH_
    .private_segment_fixed_size: 0
    .sgpr_count:     4
    .sgpr_spill_count: 0
    .symbol:         _ZN7rocprim17ROCPRIM_400000_NS6detail17trampoline_kernelINS0_14default_configENS1_36segmented_radix_sort_config_selectorIllEEZNS1_25segmented_radix_sort_implIS3_Lb0EPKlPlS8_S9_N2at6native12_GLOBAL__N_18offset_tEEE10hipError_tPvRmT1_PNSt15iterator_traitsISH_E10value_typeET2_T3_PNSI_ISN_E10value_typeET4_jRbjT5_ST_jjP12ihipStream_tbEUlT_E0_NS1_11comp_targetILNS1_3genE10ELNS1_11target_archE1200ELNS1_3gpuE4ELNS1_3repE0EEENS1_60segmented_radix_sort_warp_sort_medium_config_static_selectorELNS0_4arch9wavefront6targetE1EEEvSH_.kd
    .uniform_work_group_size: 1
    .uses_dynamic_stack: false
    .vgpr_count:     0
    .vgpr_spill_count: 0
    .wavefront_size: 64
  - .args:
      - .offset:         0
        .size:           88
        .value_kind:     by_value
    .group_segment_fixed_size: 0
    .kernarg_segment_align: 8
    .kernarg_segment_size: 88
    .language:       OpenCL C
    .language_version:
      - 2
      - 0
    .max_flat_workgroup_size: 256
    .name:           _ZN7rocprim17ROCPRIM_400000_NS6detail17trampoline_kernelINS0_14default_configENS1_36segmented_radix_sort_config_selectorIllEEZNS1_25segmented_radix_sort_implIS3_Lb0EPKlPlS8_S9_N2at6native12_GLOBAL__N_18offset_tEEE10hipError_tPvRmT1_PNSt15iterator_traitsISH_E10value_typeET2_T3_PNSI_ISN_E10value_typeET4_jRbjT5_ST_jjP12ihipStream_tbEUlT_E0_NS1_11comp_targetILNS1_3genE9ELNS1_11target_archE1100ELNS1_3gpuE3ELNS1_3repE0EEENS1_60segmented_radix_sort_warp_sort_medium_config_static_selectorELNS0_4arch9wavefront6targetE1EEEvSH_
    .private_segment_fixed_size: 0
    .sgpr_count:     4
    .sgpr_spill_count: 0
    .symbol:         _ZN7rocprim17ROCPRIM_400000_NS6detail17trampoline_kernelINS0_14default_configENS1_36segmented_radix_sort_config_selectorIllEEZNS1_25segmented_radix_sort_implIS3_Lb0EPKlPlS8_S9_N2at6native12_GLOBAL__N_18offset_tEEE10hipError_tPvRmT1_PNSt15iterator_traitsISH_E10value_typeET2_T3_PNSI_ISN_E10value_typeET4_jRbjT5_ST_jjP12ihipStream_tbEUlT_E0_NS1_11comp_targetILNS1_3genE9ELNS1_11target_archE1100ELNS1_3gpuE3ELNS1_3repE0EEENS1_60segmented_radix_sort_warp_sort_medium_config_static_selectorELNS0_4arch9wavefront6targetE1EEEvSH_.kd
    .uniform_work_group_size: 1
    .uses_dynamic_stack: false
    .vgpr_count:     0
    .vgpr_spill_count: 0
    .wavefront_size: 64
  - .args:
      - .offset:         0
        .size:           88
        .value_kind:     by_value
    .group_segment_fixed_size: 0
    .kernarg_segment_align: 8
    .kernarg_segment_size: 88
    .language:       OpenCL C
    .language_version:
      - 2
      - 0
    .max_flat_workgroup_size: 256
    .name:           _ZN7rocprim17ROCPRIM_400000_NS6detail17trampoline_kernelINS0_14default_configENS1_36segmented_radix_sort_config_selectorIllEEZNS1_25segmented_radix_sort_implIS3_Lb0EPKlPlS8_S9_N2at6native12_GLOBAL__N_18offset_tEEE10hipError_tPvRmT1_PNSt15iterator_traitsISH_E10value_typeET2_T3_PNSI_ISN_E10value_typeET4_jRbjT5_ST_jjP12ihipStream_tbEUlT_E0_NS1_11comp_targetILNS1_3genE8ELNS1_11target_archE1030ELNS1_3gpuE2ELNS1_3repE0EEENS1_60segmented_radix_sort_warp_sort_medium_config_static_selectorELNS0_4arch9wavefront6targetE1EEEvSH_
    .private_segment_fixed_size: 0
    .sgpr_count:     4
    .sgpr_spill_count: 0
    .symbol:         _ZN7rocprim17ROCPRIM_400000_NS6detail17trampoline_kernelINS0_14default_configENS1_36segmented_radix_sort_config_selectorIllEEZNS1_25segmented_radix_sort_implIS3_Lb0EPKlPlS8_S9_N2at6native12_GLOBAL__N_18offset_tEEE10hipError_tPvRmT1_PNSt15iterator_traitsISH_E10value_typeET2_T3_PNSI_ISN_E10value_typeET4_jRbjT5_ST_jjP12ihipStream_tbEUlT_E0_NS1_11comp_targetILNS1_3genE8ELNS1_11target_archE1030ELNS1_3gpuE2ELNS1_3repE0EEENS1_60segmented_radix_sort_warp_sort_medium_config_static_selectorELNS0_4arch9wavefront6targetE1EEEvSH_.kd
    .uniform_work_group_size: 1
    .uses_dynamic_stack: false
    .vgpr_count:     0
    .vgpr_spill_count: 0
    .wavefront_size: 64
  - .args:
      - .offset:         0
        .size:           88
        .value_kind:     by_value
    .group_segment_fixed_size: 0
    .kernarg_segment_align: 8
    .kernarg_segment_size: 88
    .language:       OpenCL C
    .language_version:
      - 2
      - 0
    .max_flat_workgroup_size: 256
    .name:           _ZN7rocprim17ROCPRIM_400000_NS6detail17trampoline_kernelINS0_14default_configENS1_36segmented_radix_sort_config_selectorIllEEZNS1_25segmented_radix_sort_implIS3_Lb0EPKlPlS8_S9_N2at6native12_GLOBAL__N_18offset_tEEE10hipError_tPvRmT1_PNSt15iterator_traitsISH_E10value_typeET2_T3_PNSI_ISN_E10value_typeET4_jRbjT5_ST_jjP12ihipStream_tbEUlT_E1_NS1_11comp_targetILNS1_3genE0ELNS1_11target_archE4294967295ELNS1_3gpuE0ELNS1_3repE0EEENS1_59segmented_radix_sort_warp_sort_small_config_static_selectorELNS0_4arch9wavefront6targetE1EEEvSH_
    .private_segment_fixed_size: 0
    .sgpr_count:     4
    .sgpr_spill_count: 0
    .symbol:         _ZN7rocprim17ROCPRIM_400000_NS6detail17trampoline_kernelINS0_14default_configENS1_36segmented_radix_sort_config_selectorIllEEZNS1_25segmented_radix_sort_implIS3_Lb0EPKlPlS8_S9_N2at6native12_GLOBAL__N_18offset_tEEE10hipError_tPvRmT1_PNSt15iterator_traitsISH_E10value_typeET2_T3_PNSI_ISN_E10value_typeET4_jRbjT5_ST_jjP12ihipStream_tbEUlT_E1_NS1_11comp_targetILNS1_3genE0ELNS1_11target_archE4294967295ELNS1_3gpuE0ELNS1_3repE0EEENS1_59segmented_radix_sort_warp_sort_small_config_static_selectorELNS0_4arch9wavefront6targetE1EEEvSH_.kd
    .uniform_work_group_size: 1
    .uses_dynamic_stack: false
    .vgpr_count:     0
    .vgpr_spill_count: 0
    .wavefront_size: 64
  - .args:
      - .offset:         0
        .size:           88
        .value_kind:     by_value
    .group_segment_fixed_size: 0
    .kernarg_segment_align: 8
    .kernarg_segment_size: 88
    .language:       OpenCL C
    .language_version:
      - 2
      - 0
    .max_flat_workgroup_size: 256
    .name:           _ZN7rocprim17ROCPRIM_400000_NS6detail17trampoline_kernelINS0_14default_configENS1_36segmented_radix_sort_config_selectorIllEEZNS1_25segmented_radix_sort_implIS3_Lb0EPKlPlS8_S9_N2at6native12_GLOBAL__N_18offset_tEEE10hipError_tPvRmT1_PNSt15iterator_traitsISH_E10value_typeET2_T3_PNSI_ISN_E10value_typeET4_jRbjT5_ST_jjP12ihipStream_tbEUlT_E1_NS1_11comp_targetILNS1_3genE5ELNS1_11target_archE942ELNS1_3gpuE9ELNS1_3repE0EEENS1_59segmented_radix_sort_warp_sort_small_config_static_selectorELNS0_4arch9wavefront6targetE1EEEvSH_
    .private_segment_fixed_size: 0
    .sgpr_count:     4
    .sgpr_spill_count: 0
    .symbol:         _ZN7rocprim17ROCPRIM_400000_NS6detail17trampoline_kernelINS0_14default_configENS1_36segmented_radix_sort_config_selectorIllEEZNS1_25segmented_radix_sort_implIS3_Lb0EPKlPlS8_S9_N2at6native12_GLOBAL__N_18offset_tEEE10hipError_tPvRmT1_PNSt15iterator_traitsISH_E10value_typeET2_T3_PNSI_ISN_E10value_typeET4_jRbjT5_ST_jjP12ihipStream_tbEUlT_E1_NS1_11comp_targetILNS1_3genE5ELNS1_11target_archE942ELNS1_3gpuE9ELNS1_3repE0EEENS1_59segmented_radix_sort_warp_sort_small_config_static_selectorELNS0_4arch9wavefront6targetE1EEEvSH_.kd
    .uniform_work_group_size: 1
    .uses_dynamic_stack: false
    .vgpr_count:     0
    .vgpr_spill_count: 0
    .wavefront_size: 64
  - .args:
      - .offset:         0
        .size:           88
        .value_kind:     by_value
    .group_segment_fixed_size: 0
    .kernarg_segment_align: 8
    .kernarg_segment_size: 88
    .language:       OpenCL C
    .language_version:
      - 2
      - 0
    .max_flat_workgroup_size: 256
    .name:           _ZN7rocprim17ROCPRIM_400000_NS6detail17trampoline_kernelINS0_14default_configENS1_36segmented_radix_sort_config_selectorIllEEZNS1_25segmented_radix_sort_implIS3_Lb0EPKlPlS8_S9_N2at6native12_GLOBAL__N_18offset_tEEE10hipError_tPvRmT1_PNSt15iterator_traitsISH_E10value_typeET2_T3_PNSI_ISN_E10value_typeET4_jRbjT5_ST_jjP12ihipStream_tbEUlT_E1_NS1_11comp_targetILNS1_3genE4ELNS1_11target_archE910ELNS1_3gpuE8ELNS1_3repE0EEENS1_59segmented_radix_sort_warp_sort_small_config_static_selectorELNS0_4arch9wavefront6targetE1EEEvSH_
    .private_segment_fixed_size: 0
    .sgpr_count:     4
    .sgpr_spill_count: 0
    .symbol:         _ZN7rocprim17ROCPRIM_400000_NS6detail17trampoline_kernelINS0_14default_configENS1_36segmented_radix_sort_config_selectorIllEEZNS1_25segmented_radix_sort_implIS3_Lb0EPKlPlS8_S9_N2at6native12_GLOBAL__N_18offset_tEEE10hipError_tPvRmT1_PNSt15iterator_traitsISH_E10value_typeET2_T3_PNSI_ISN_E10value_typeET4_jRbjT5_ST_jjP12ihipStream_tbEUlT_E1_NS1_11comp_targetILNS1_3genE4ELNS1_11target_archE910ELNS1_3gpuE8ELNS1_3repE0EEENS1_59segmented_radix_sort_warp_sort_small_config_static_selectorELNS0_4arch9wavefront6targetE1EEEvSH_.kd
    .uniform_work_group_size: 1
    .uses_dynamic_stack: false
    .vgpr_count:     0
    .vgpr_spill_count: 0
    .wavefront_size: 64
  - .args:
      - .offset:         0
        .size:           88
        .value_kind:     by_value
    .group_segment_fixed_size: 0
    .kernarg_segment_align: 8
    .kernarg_segment_size: 88
    .language:       OpenCL C
    .language_version:
      - 2
      - 0
    .max_flat_workgroup_size: 256
    .name:           _ZN7rocprim17ROCPRIM_400000_NS6detail17trampoline_kernelINS0_14default_configENS1_36segmented_radix_sort_config_selectorIllEEZNS1_25segmented_radix_sort_implIS3_Lb0EPKlPlS8_S9_N2at6native12_GLOBAL__N_18offset_tEEE10hipError_tPvRmT1_PNSt15iterator_traitsISH_E10value_typeET2_T3_PNSI_ISN_E10value_typeET4_jRbjT5_ST_jjP12ihipStream_tbEUlT_E1_NS1_11comp_targetILNS1_3genE3ELNS1_11target_archE908ELNS1_3gpuE7ELNS1_3repE0EEENS1_59segmented_radix_sort_warp_sort_small_config_static_selectorELNS0_4arch9wavefront6targetE1EEEvSH_
    .private_segment_fixed_size: 0
    .sgpr_count:     4
    .sgpr_spill_count: 0
    .symbol:         _ZN7rocprim17ROCPRIM_400000_NS6detail17trampoline_kernelINS0_14default_configENS1_36segmented_radix_sort_config_selectorIllEEZNS1_25segmented_radix_sort_implIS3_Lb0EPKlPlS8_S9_N2at6native12_GLOBAL__N_18offset_tEEE10hipError_tPvRmT1_PNSt15iterator_traitsISH_E10value_typeET2_T3_PNSI_ISN_E10value_typeET4_jRbjT5_ST_jjP12ihipStream_tbEUlT_E1_NS1_11comp_targetILNS1_3genE3ELNS1_11target_archE908ELNS1_3gpuE7ELNS1_3repE0EEENS1_59segmented_radix_sort_warp_sort_small_config_static_selectorELNS0_4arch9wavefront6targetE1EEEvSH_.kd
    .uniform_work_group_size: 1
    .uses_dynamic_stack: false
    .vgpr_count:     0
    .vgpr_spill_count: 0
    .wavefront_size: 64
  - .args:
      - .offset:         0
        .size:           88
        .value_kind:     by_value
      - .offset:         88
        .size:           4
        .value_kind:     hidden_block_count_x
      - .offset:         92
        .size:           4
        .value_kind:     hidden_block_count_y
      - .offset:         96
        .size:           4
        .value_kind:     hidden_block_count_z
      - .offset:         100
        .size:           2
        .value_kind:     hidden_group_size_x
      - .offset:         102
        .size:           2
        .value_kind:     hidden_group_size_y
      - .offset:         104
        .size:           2
        .value_kind:     hidden_group_size_z
      - .offset:         106
        .size:           2
        .value_kind:     hidden_remainder_x
      - .offset:         108
        .size:           2
        .value_kind:     hidden_remainder_y
      - .offset:         110
        .size:           2
        .value_kind:     hidden_remainder_z
      - .offset:         128
        .size:           8
        .value_kind:     hidden_global_offset_x
      - .offset:         136
        .size:           8
        .value_kind:     hidden_global_offset_y
      - .offset:         144
        .size:           8
        .value_kind:     hidden_global_offset_z
      - .offset:         152
        .size:           2
        .value_kind:     hidden_grid_dims
    .group_segment_fixed_size: 32768
    .kernarg_segment_align: 8
    .kernarg_segment_size: 344
    .language:       OpenCL C
    .language_version:
      - 2
      - 0
    .max_flat_workgroup_size: 256
    .name:           _ZN7rocprim17ROCPRIM_400000_NS6detail17trampoline_kernelINS0_14default_configENS1_36segmented_radix_sort_config_selectorIllEEZNS1_25segmented_radix_sort_implIS3_Lb0EPKlPlS8_S9_N2at6native12_GLOBAL__N_18offset_tEEE10hipError_tPvRmT1_PNSt15iterator_traitsISH_E10value_typeET2_T3_PNSI_ISN_E10value_typeET4_jRbjT5_ST_jjP12ihipStream_tbEUlT_E1_NS1_11comp_targetILNS1_3genE2ELNS1_11target_archE906ELNS1_3gpuE6ELNS1_3repE0EEENS1_59segmented_radix_sort_warp_sort_small_config_static_selectorELNS0_4arch9wavefront6targetE1EEEvSH_
    .private_segment_fixed_size: 0
    .sgpr_count:     56
    .sgpr_spill_count: 0
    .symbol:         _ZN7rocprim17ROCPRIM_400000_NS6detail17trampoline_kernelINS0_14default_configENS1_36segmented_radix_sort_config_selectorIllEEZNS1_25segmented_radix_sort_implIS3_Lb0EPKlPlS8_S9_N2at6native12_GLOBAL__N_18offset_tEEE10hipError_tPvRmT1_PNSt15iterator_traitsISH_E10value_typeET2_T3_PNSI_ISN_E10value_typeET4_jRbjT5_ST_jjP12ihipStream_tbEUlT_E1_NS1_11comp_targetILNS1_3genE2ELNS1_11target_archE906ELNS1_3gpuE6ELNS1_3repE0EEENS1_59segmented_radix_sort_warp_sort_small_config_static_selectorELNS0_4arch9wavefront6targetE1EEEvSH_.kd
    .uniform_work_group_size: 1
    .uses_dynamic_stack: false
    .vgpr_count:     116
    .vgpr_spill_count: 0
    .wavefront_size: 64
  - .args:
      - .offset:         0
        .size:           88
        .value_kind:     by_value
    .group_segment_fixed_size: 0
    .kernarg_segment_align: 8
    .kernarg_segment_size: 88
    .language:       OpenCL C
    .language_version:
      - 2
      - 0
    .max_flat_workgroup_size: 256
    .name:           _ZN7rocprim17ROCPRIM_400000_NS6detail17trampoline_kernelINS0_14default_configENS1_36segmented_radix_sort_config_selectorIllEEZNS1_25segmented_radix_sort_implIS3_Lb0EPKlPlS8_S9_N2at6native12_GLOBAL__N_18offset_tEEE10hipError_tPvRmT1_PNSt15iterator_traitsISH_E10value_typeET2_T3_PNSI_ISN_E10value_typeET4_jRbjT5_ST_jjP12ihipStream_tbEUlT_E1_NS1_11comp_targetILNS1_3genE10ELNS1_11target_archE1201ELNS1_3gpuE5ELNS1_3repE0EEENS1_59segmented_radix_sort_warp_sort_small_config_static_selectorELNS0_4arch9wavefront6targetE1EEEvSH_
    .private_segment_fixed_size: 0
    .sgpr_count:     4
    .sgpr_spill_count: 0
    .symbol:         _ZN7rocprim17ROCPRIM_400000_NS6detail17trampoline_kernelINS0_14default_configENS1_36segmented_radix_sort_config_selectorIllEEZNS1_25segmented_radix_sort_implIS3_Lb0EPKlPlS8_S9_N2at6native12_GLOBAL__N_18offset_tEEE10hipError_tPvRmT1_PNSt15iterator_traitsISH_E10value_typeET2_T3_PNSI_ISN_E10value_typeET4_jRbjT5_ST_jjP12ihipStream_tbEUlT_E1_NS1_11comp_targetILNS1_3genE10ELNS1_11target_archE1201ELNS1_3gpuE5ELNS1_3repE0EEENS1_59segmented_radix_sort_warp_sort_small_config_static_selectorELNS0_4arch9wavefront6targetE1EEEvSH_.kd
    .uniform_work_group_size: 1
    .uses_dynamic_stack: false
    .vgpr_count:     0
    .vgpr_spill_count: 0
    .wavefront_size: 64
  - .args:
      - .offset:         0
        .size:           88
        .value_kind:     by_value
    .group_segment_fixed_size: 0
    .kernarg_segment_align: 8
    .kernarg_segment_size: 88
    .language:       OpenCL C
    .language_version:
      - 2
      - 0
    .max_flat_workgroup_size: 256
    .name:           _ZN7rocprim17ROCPRIM_400000_NS6detail17trampoline_kernelINS0_14default_configENS1_36segmented_radix_sort_config_selectorIllEEZNS1_25segmented_radix_sort_implIS3_Lb0EPKlPlS8_S9_N2at6native12_GLOBAL__N_18offset_tEEE10hipError_tPvRmT1_PNSt15iterator_traitsISH_E10value_typeET2_T3_PNSI_ISN_E10value_typeET4_jRbjT5_ST_jjP12ihipStream_tbEUlT_E1_NS1_11comp_targetILNS1_3genE10ELNS1_11target_archE1200ELNS1_3gpuE4ELNS1_3repE0EEENS1_59segmented_radix_sort_warp_sort_small_config_static_selectorELNS0_4arch9wavefront6targetE1EEEvSH_
    .private_segment_fixed_size: 0
    .sgpr_count:     4
    .sgpr_spill_count: 0
    .symbol:         _ZN7rocprim17ROCPRIM_400000_NS6detail17trampoline_kernelINS0_14default_configENS1_36segmented_radix_sort_config_selectorIllEEZNS1_25segmented_radix_sort_implIS3_Lb0EPKlPlS8_S9_N2at6native12_GLOBAL__N_18offset_tEEE10hipError_tPvRmT1_PNSt15iterator_traitsISH_E10value_typeET2_T3_PNSI_ISN_E10value_typeET4_jRbjT5_ST_jjP12ihipStream_tbEUlT_E1_NS1_11comp_targetILNS1_3genE10ELNS1_11target_archE1200ELNS1_3gpuE4ELNS1_3repE0EEENS1_59segmented_radix_sort_warp_sort_small_config_static_selectorELNS0_4arch9wavefront6targetE1EEEvSH_.kd
    .uniform_work_group_size: 1
    .uses_dynamic_stack: false
    .vgpr_count:     0
    .vgpr_spill_count: 0
    .wavefront_size: 64
  - .args:
      - .offset:         0
        .size:           88
        .value_kind:     by_value
    .group_segment_fixed_size: 0
    .kernarg_segment_align: 8
    .kernarg_segment_size: 88
    .language:       OpenCL C
    .language_version:
      - 2
      - 0
    .max_flat_workgroup_size: 256
    .name:           _ZN7rocprim17ROCPRIM_400000_NS6detail17trampoline_kernelINS0_14default_configENS1_36segmented_radix_sort_config_selectorIllEEZNS1_25segmented_radix_sort_implIS3_Lb0EPKlPlS8_S9_N2at6native12_GLOBAL__N_18offset_tEEE10hipError_tPvRmT1_PNSt15iterator_traitsISH_E10value_typeET2_T3_PNSI_ISN_E10value_typeET4_jRbjT5_ST_jjP12ihipStream_tbEUlT_E1_NS1_11comp_targetILNS1_3genE9ELNS1_11target_archE1100ELNS1_3gpuE3ELNS1_3repE0EEENS1_59segmented_radix_sort_warp_sort_small_config_static_selectorELNS0_4arch9wavefront6targetE1EEEvSH_
    .private_segment_fixed_size: 0
    .sgpr_count:     4
    .sgpr_spill_count: 0
    .symbol:         _ZN7rocprim17ROCPRIM_400000_NS6detail17trampoline_kernelINS0_14default_configENS1_36segmented_radix_sort_config_selectorIllEEZNS1_25segmented_radix_sort_implIS3_Lb0EPKlPlS8_S9_N2at6native12_GLOBAL__N_18offset_tEEE10hipError_tPvRmT1_PNSt15iterator_traitsISH_E10value_typeET2_T3_PNSI_ISN_E10value_typeET4_jRbjT5_ST_jjP12ihipStream_tbEUlT_E1_NS1_11comp_targetILNS1_3genE9ELNS1_11target_archE1100ELNS1_3gpuE3ELNS1_3repE0EEENS1_59segmented_radix_sort_warp_sort_small_config_static_selectorELNS0_4arch9wavefront6targetE1EEEvSH_.kd
    .uniform_work_group_size: 1
    .uses_dynamic_stack: false
    .vgpr_count:     0
    .vgpr_spill_count: 0
    .wavefront_size: 64
  - .args:
      - .offset:         0
        .size:           88
        .value_kind:     by_value
    .group_segment_fixed_size: 0
    .kernarg_segment_align: 8
    .kernarg_segment_size: 88
    .language:       OpenCL C
    .language_version:
      - 2
      - 0
    .max_flat_workgroup_size: 256
    .name:           _ZN7rocprim17ROCPRIM_400000_NS6detail17trampoline_kernelINS0_14default_configENS1_36segmented_radix_sort_config_selectorIllEEZNS1_25segmented_radix_sort_implIS3_Lb0EPKlPlS8_S9_N2at6native12_GLOBAL__N_18offset_tEEE10hipError_tPvRmT1_PNSt15iterator_traitsISH_E10value_typeET2_T3_PNSI_ISN_E10value_typeET4_jRbjT5_ST_jjP12ihipStream_tbEUlT_E1_NS1_11comp_targetILNS1_3genE8ELNS1_11target_archE1030ELNS1_3gpuE2ELNS1_3repE0EEENS1_59segmented_radix_sort_warp_sort_small_config_static_selectorELNS0_4arch9wavefront6targetE1EEEvSH_
    .private_segment_fixed_size: 0
    .sgpr_count:     4
    .sgpr_spill_count: 0
    .symbol:         _ZN7rocprim17ROCPRIM_400000_NS6detail17trampoline_kernelINS0_14default_configENS1_36segmented_radix_sort_config_selectorIllEEZNS1_25segmented_radix_sort_implIS3_Lb0EPKlPlS8_S9_N2at6native12_GLOBAL__N_18offset_tEEE10hipError_tPvRmT1_PNSt15iterator_traitsISH_E10value_typeET2_T3_PNSI_ISN_E10value_typeET4_jRbjT5_ST_jjP12ihipStream_tbEUlT_E1_NS1_11comp_targetILNS1_3genE8ELNS1_11target_archE1030ELNS1_3gpuE2ELNS1_3repE0EEENS1_59segmented_radix_sort_warp_sort_small_config_static_selectorELNS0_4arch9wavefront6targetE1EEEvSH_.kd
    .uniform_work_group_size: 1
    .uses_dynamic_stack: false
    .vgpr_count:     0
    .vgpr_spill_count: 0
    .wavefront_size: 64
  - .args:
      - .offset:         0
        .size:           80
        .value_kind:     by_value
    .group_segment_fixed_size: 0
    .kernarg_segment_align: 8
    .kernarg_segment_size: 80
    .language:       OpenCL C
    .language_version:
      - 2
      - 0
    .max_flat_workgroup_size: 256
    .name:           _ZN7rocprim17ROCPRIM_400000_NS6detail17trampoline_kernelINS0_14default_configENS1_36segmented_radix_sort_config_selectorIllEEZNS1_25segmented_radix_sort_implIS3_Lb0EPKlPlS8_S9_N2at6native12_GLOBAL__N_18offset_tEEE10hipError_tPvRmT1_PNSt15iterator_traitsISH_E10value_typeET2_T3_PNSI_ISN_E10value_typeET4_jRbjT5_ST_jjP12ihipStream_tbEUlT_E2_NS1_11comp_targetILNS1_3genE0ELNS1_11target_archE4294967295ELNS1_3gpuE0ELNS1_3repE0EEENS1_30default_config_static_selectorELNS0_4arch9wavefront6targetE1EEEvSH_
    .private_segment_fixed_size: 0
    .sgpr_count:     4
    .sgpr_spill_count: 0
    .symbol:         _ZN7rocprim17ROCPRIM_400000_NS6detail17trampoline_kernelINS0_14default_configENS1_36segmented_radix_sort_config_selectorIllEEZNS1_25segmented_radix_sort_implIS3_Lb0EPKlPlS8_S9_N2at6native12_GLOBAL__N_18offset_tEEE10hipError_tPvRmT1_PNSt15iterator_traitsISH_E10value_typeET2_T3_PNSI_ISN_E10value_typeET4_jRbjT5_ST_jjP12ihipStream_tbEUlT_E2_NS1_11comp_targetILNS1_3genE0ELNS1_11target_archE4294967295ELNS1_3gpuE0ELNS1_3repE0EEENS1_30default_config_static_selectorELNS0_4arch9wavefront6targetE1EEEvSH_.kd
    .uniform_work_group_size: 1
    .uses_dynamic_stack: false
    .vgpr_count:     0
    .vgpr_spill_count: 0
    .wavefront_size: 64
  - .args:
      - .offset:         0
        .size:           80
        .value_kind:     by_value
    .group_segment_fixed_size: 0
    .kernarg_segment_align: 8
    .kernarg_segment_size: 80
    .language:       OpenCL C
    .language_version:
      - 2
      - 0
    .max_flat_workgroup_size: 256
    .name:           _ZN7rocprim17ROCPRIM_400000_NS6detail17trampoline_kernelINS0_14default_configENS1_36segmented_radix_sort_config_selectorIllEEZNS1_25segmented_radix_sort_implIS3_Lb0EPKlPlS8_S9_N2at6native12_GLOBAL__N_18offset_tEEE10hipError_tPvRmT1_PNSt15iterator_traitsISH_E10value_typeET2_T3_PNSI_ISN_E10value_typeET4_jRbjT5_ST_jjP12ihipStream_tbEUlT_E2_NS1_11comp_targetILNS1_3genE5ELNS1_11target_archE942ELNS1_3gpuE9ELNS1_3repE0EEENS1_30default_config_static_selectorELNS0_4arch9wavefront6targetE1EEEvSH_
    .private_segment_fixed_size: 0
    .sgpr_count:     4
    .sgpr_spill_count: 0
    .symbol:         _ZN7rocprim17ROCPRIM_400000_NS6detail17trampoline_kernelINS0_14default_configENS1_36segmented_radix_sort_config_selectorIllEEZNS1_25segmented_radix_sort_implIS3_Lb0EPKlPlS8_S9_N2at6native12_GLOBAL__N_18offset_tEEE10hipError_tPvRmT1_PNSt15iterator_traitsISH_E10value_typeET2_T3_PNSI_ISN_E10value_typeET4_jRbjT5_ST_jjP12ihipStream_tbEUlT_E2_NS1_11comp_targetILNS1_3genE5ELNS1_11target_archE942ELNS1_3gpuE9ELNS1_3repE0EEENS1_30default_config_static_selectorELNS0_4arch9wavefront6targetE1EEEvSH_.kd
    .uniform_work_group_size: 1
    .uses_dynamic_stack: false
    .vgpr_count:     0
    .vgpr_spill_count: 0
    .wavefront_size: 64
  - .args:
      - .offset:         0
        .size:           80
        .value_kind:     by_value
    .group_segment_fixed_size: 0
    .kernarg_segment_align: 8
    .kernarg_segment_size: 80
    .language:       OpenCL C
    .language_version:
      - 2
      - 0
    .max_flat_workgroup_size: 256
    .name:           _ZN7rocprim17ROCPRIM_400000_NS6detail17trampoline_kernelINS0_14default_configENS1_36segmented_radix_sort_config_selectorIllEEZNS1_25segmented_radix_sort_implIS3_Lb0EPKlPlS8_S9_N2at6native12_GLOBAL__N_18offset_tEEE10hipError_tPvRmT1_PNSt15iterator_traitsISH_E10value_typeET2_T3_PNSI_ISN_E10value_typeET4_jRbjT5_ST_jjP12ihipStream_tbEUlT_E2_NS1_11comp_targetILNS1_3genE4ELNS1_11target_archE910ELNS1_3gpuE8ELNS1_3repE0EEENS1_30default_config_static_selectorELNS0_4arch9wavefront6targetE1EEEvSH_
    .private_segment_fixed_size: 0
    .sgpr_count:     4
    .sgpr_spill_count: 0
    .symbol:         _ZN7rocprim17ROCPRIM_400000_NS6detail17trampoline_kernelINS0_14default_configENS1_36segmented_radix_sort_config_selectorIllEEZNS1_25segmented_radix_sort_implIS3_Lb0EPKlPlS8_S9_N2at6native12_GLOBAL__N_18offset_tEEE10hipError_tPvRmT1_PNSt15iterator_traitsISH_E10value_typeET2_T3_PNSI_ISN_E10value_typeET4_jRbjT5_ST_jjP12ihipStream_tbEUlT_E2_NS1_11comp_targetILNS1_3genE4ELNS1_11target_archE910ELNS1_3gpuE8ELNS1_3repE0EEENS1_30default_config_static_selectorELNS0_4arch9wavefront6targetE1EEEvSH_.kd
    .uniform_work_group_size: 1
    .uses_dynamic_stack: false
    .vgpr_count:     0
    .vgpr_spill_count: 0
    .wavefront_size: 64
  - .args:
      - .offset:         0
        .size:           80
        .value_kind:     by_value
    .group_segment_fixed_size: 0
    .kernarg_segment_align: 8
    .kernarg_segment_size: 80
    .language:       OpenCL C
    .language_version:
      - 2
      - 0
    .max_flat_workgroup_size: 256
    .name:           _ZN7rocprim17ROCPRIM_400000_NS6detail17trampoline_kernelINS0_14default_configENS1_36segmented_radix_sort_config_selectorIllEEZNS1_25segmented_radix_sort_implIS3_Lb0EPKlPlS8_S9_N2at6native12_GLOBAL__N_18offset_tEEE10hipError_tPvRmT1_PNSt15iterator_traitsISH_E10value_typeET2_T3_PNSI_ISN_E10value_typeET4_jRbjT5_ST_jjP12ihipStream_tbEUlT_E2_NS1_11comp_targetILNS1_3genE3ELNS1_11target_archE908ELNS1_3gpuE7ELNS1_3repE0EEENS1_30default_config_static_selectorELNS0_4arch9wavefront6targetE1EEEvSH_
    .private_segment_fixed_size: 0
    .sgpr_count:     4
    .sgpr_spill_count: 0
    .symbol:         _ZN7rocprim17ROCPRIM_400000_NS6detail17trampoline_kernelINS0_14default_configENS1_36segmented_radix_sort_config_selectorIllEEZNS1_25segmented_radix_sort_implIS3_Lb0EPKlPlS8_S9_N2at6native12_GLOBAL__N_18offset_tEEE10hipError_tPvRmT1_PNSt15iterator_traitsISH_E10value_typeET2_T3_PNSI_ISN_E10value_typeET4_jRbjT5_ST_jjP12ihipStream_tbEUlT_E2_NS1_11comp_targetILNS1_3genE3ELNS1_11target_archE908ELNS1_3gpuE7ELNS1_3repE0EEENS1_30default_config_static_selectorELNS0_4arch9wavefront6targetE1EEEvSH_.kd
    .uniform_work_group_size: 1
    .uses_dynamic_stack: false
    .vgpr_count:     0
    .vgpr_spill_count: 0
    .wavefront_size: 64
  - .args:
      - .offset:         0
        .size:           80
        .value_kind:     by_value
      - .offset:         80
        .size:           4
        .value_kind:     hidden_block_count_x
      - .offset:         84
        .size:           4
        .value_kind:     hidden_block_count_y
      - .offset:         88
        .size:           4
        .value_kind:     hidden_block_count_z
      - .offset:         92
        .size:           2
        .value_kind:     hidden_group_size_x
      - .offset:         94
        .size:           2
        .value_kind:     hidden_group_size_y
      - .offset:         96
        .size:           2
        .value_kind:     hidden_group_size_z
      - .offset:         98
        .size:           2
        .value_kind:     hidden_remainder_x
      - .offset:         100
        .size:           2
        .value_kind:     hidden_remainder_y
      - .offset:         102
        .size:           2
        .value_kind:     hidden_remainder_z
      - .offset:         120
        .size:           8
        .value_kind:     hidden_global_offset_x
      - .offset:         128
        .size:           8
        .value_kind:     hidden_global_offset_y
      - .offset:         136
        .size:           8
        .value_kind:     hidden_global_offset_z
      - .offset:         144
        .size:           2
        .value_kind:     hidden_grid_dims
    .group_segment_fixed_size: 33288
    .kernarg_segment_align: 8
    .kernarg_segment_size: 336
    .language:       OpenCL C
    .language_version:
      - 2
      - 0
    .max_flat_workgroup_size: 256
    .name:           _ZN7rocprim17ROCPRIM_400000_NS6detail17trampoline_kernelINS0_14default_configENS1_36segmented_radix_sort_config_selectorIllEEZNS1_25segmented_radix_sort_implIS3_Lb0EPKlPlS8_S9_N2at6native12_GLOBAL__N_18offset_tEEE10hipError_tPvRmT1_PNSt15iterator_traitsISH_E10value_typeET2_T3_PNSI_ISN_E10value_typeET4_jRbjT5_ST_jjP12ihipStream_tbEUlT_E2_NS1_11comp_targetILNS1_3genE2ELNS1_11target_archE906ELNS1_3gpuE6ELNS1_3repE0EEENS1_30default_config_static_selectorELNS0_4arch9wavefront6targetE1EEEvSH_
    .private_segment_fixed_size: 160
    .sgpr_count:     104
    .sgpr_spill_count: 3
    .symbol:         _ZN7rocprim17ROCPRIM_400000_NS6detail17trampoline_kernelINS0_14default_configENS1_36segmented_radix_sort_config_selectorIllEEZNS1_25segmented_radix_sort_implIS3_Lb0EPKlPlS8_S9_N2at6native12_GLOBAL__N_18offset_tEEE10hipError_tPvRmT1_PNSt15iterator_traitsISH_E10value_typeET2_T3_PNSI_ISN_E10value_typeET4_jRbjT5_ST_jjP12ihipStream_tbEUlT_E2_NS1_11comp_targetILNS1_3genE2ELNS1_11target_archE906ELNS1_3gpuE6ELNS1_3repE0EEENS1_30default_config_static_selectorELNS0_4arch9wavefront6targetE1EEEvSH_.kd
    .uniform_work_group_size: 1
    .uses_dynamic_stack: false
    .vgpr_count:     248
    .vgpr_spill_count: 0
    .wavefront_size: 64
  - .args:
      - .offset:         0
        .size:           80
        .value_kind:     by_value
    .group_segment_fixed_size: 0
    .kernarg_segment_align: 8
    .kernarg_segment_size: 80
    .language:       OpenCL C
    .language_version:
      - 2
      - 0
    .max_flat_workgroup_size: 256
    .name:           _ZN7rocprim17ROCPRIM_400000_NS6detail17trampoline_kernelINS0_14default_configENS1_36segmented_radix_sort_config_selectorIllEEZNS1_25segmented_radix_sort_implIS3_Lb0EPKlPlS8_S9_N2at6native12_GLOBAL__N_18offset_tEEE10hipError_tPvRmT1_PNSt15iterator_traitsISH_E10value_typeET2_T3_PNSI_ISN_E10value_typeET4_jRbjT5_ST_jjP12ihipStream_tbEUlT_E2_NS1_11comp_targetILNS1_3genE10ELNS1_11target_archE1201ELNS1_3gpuE5ELNS1_3repE0EEENS1_30default_config_static_selectorELNS0_4arch9wavefront6targetE1EEEvSH_
    .private_segment_fixed_size: 0
    .sgpr_count:     4
    .sgpr_spill_count: 0
    .symbol:         _ZN7rocprim17ROCPRIM_400000_NS6detail17trampoline_kernelINS0_14default_configENS1_36segmented_radix_sort_config_selectorIllEEZNS1_25segmented_radix_sort_implIS3_Lb0EPKlPlS8_S9_N2at6native12_GLOBAL__N_18offset_tEEE10hipError_tPvRmT1_PNSt15iterator_traitsISH_E10value_typeET2_T3_PNSI_ISN_E10value_typeET4_jRbjT5_ST_jjP12ihipStream_tbEUlT_E2_NS1_11comp_targetILNS1_3genE10ELNS1_11target_archE1201ELNS1_3gpuE5ELNS1_3repE0EEENS1_30default_config_static_selectorELNS0_4arch9wavefront6targetE1EEEvSH_.kd
    .uniform_work_group_size: 1
    .uses_dynamic_stack: false
    .vgpr_count:     0
    .vgpr_spill_count: 0
    .wavefront_size: 64
  - .args:
      - .offset:         0
        .size:           80
        .value_kind:     by_value
    .group_segment_fixed_size: 0
    .kernarg_segment_align: 8
    .kernarg_segment_size: 80
    .language:       OpenCL C
    .language_version:
      - 2
      - 0
    .max_flat_workgroup_size: 128
    .name:           _ZN7rocprim17ROCPRIM_400000_NS6detail17trampoline_kernelINS0_14default_configENS1_36segmented_radix_sort_config_selectorIllEEZNS1_25segmented_radix_sort_implIS3_Lb0EPKlPlS8_S9_N2at6native12_GLOBAL__N_18offset_tEEE10hipError_tPvRmT1_PNSt15iterator_traitsISH_E10value_typeET2_T3_PNSI_ISN_E10value_typeET4_jRbjT5_ST_jjP12ihipStream_tbEUlT_E2_NS1_11comp_targetILNS1_3genE10ELNS1_11target_archE1200ELNS1_3gpuE4ELNS1_3repE0EEENS1_30default_config_static_selectorELNS0_4arch9wavefront6targetE1EEEvSH_
    .private_segment_fixed_size: 0
    .sgpr_count:     4
    .sgpr_spill_count: 0
    .symbol:         _ZN7rocprim17ROCPRIM_400000_NS6detail17trampoline_kernelINS0_14default_configENS1_36segmented_radix_sort_config_selectorIllEEZNS1_25segmented_radix_sort_implIS3_Lb0EPKlPlS8_S9_N2at6native12_GLOBAL__N_18offset_tEEE10hipError_tPvRmT1_PNSt15iterator_traitsISH_E10value_typeET2_T3_PNSI_ISN_E10value_typeET4_jRbjT5_ST_jjP12ihipStream_tbEUlT_E2_NS1_11comp_targetILNS1_3genE10ELNS1_11target_archE1200ELNS1_3gpuE4ELNS1_3repE0EEENS1_30default_config_static_selectorELNS0_4arch9wavefront6targetE1EEEvSH_.kd
    .uniform_work_group_size: 1
    .uses_dynamic_stack: false
    .vgpr_count:     0
    .vgpr_spill_count: 0
    .wavefront_size: 64
  - .args:
      - .offset:         0
        .size:           80
        .value_kind:     by_value
    .group_segment_fixed_size: 0
    .kernarg_segment_align: 8
    .kernarg_segment_size: 80
    .language:       OpenCL C
    .language_version:
      - 2
      - 0
    .max_flat_workgroup_size: 256
    .name:           _ZN7rocprim17ROCPRIM_400000_NS6detail17trampoline_kernelINS0_14default_configENS1_36segmented_radix_sort_config_selectorIllEEZNS1_25segmented_radix_sort_implIS3_Lb0EPKlPlS8_S9_N2at6native12_GLOBAL__N_18offset_tEEE10hipError_tPvRmT1_PNSt15iterator_traitsISH_E10value_typeET2_T3_PNSI_ISN_E10value_typeET4_jRbjT5_ST_jjP12ihipStream_tbEUlT_E2_NS1_11comp_targetILNS1_3genE9ELNS1_11target_archE1100ELNS1_3gpuE3ELNS1_3repE0EEENS1_30default_config_static_selectorELNS0_4arch9wavefront6targetE1EEEvSH_
    .private_segment_fixed_size: 0
    .sgpr_count:     4
    .sgpr_spill_count: 0
    .symbol:         _ZN7rocprim17ROCPRIM_400000_NS6detail17trampoline_kernelINS0_14default_configENS1_36segmented_radix_sort_config_selectorIllEEZNS1_25segmented_radix_sort_implIS3_Lb0EPKlPlS8_S9_N2at6native12_GLOBAL__N_18offset_tEEE10hipError_tPvRmT1_PNSt15iterator_traitsISH_E10value_typeET2_T3_PNSI_ISN_E10value_typeET4_jRbjT5_ST_jjP12ihipStream_tbEUlT_E2_NS1_11comp_targetILNS1_3genE9ELNS1_11target_archE1100ELNS1_3gpuE3ELNS1_3repE0EEENS1_30default_config_static_selectorELNS0_4arch9wavefront6targetE1EEEvSH_.kd
    .uniform_work_group_size: 1
    .uses_dynamic_stack: false
    .vgpr_count:     0
    .vgpr_spill_count: 0
    .wavefront_size: 64
  - .args:
      - .offset:         0
        .size:           80
        .value_kind:     by_value
    .group_segment_fixed_size: 0
    .kernarg_segment_align: 8
    .kernarg_segment_size: 80
    .language:       OpenCL C
    .language_version:
      - 2
      - 0
    .max_flat_workgroup_size: 256
    .name:           _ZN7rocprim17ROCPRIM_400000_NS6detail17trampoline_kernelINS0_14default_configENS1_36segmented_radix_sort_config_selectorIllEEZNS1_25segmented_radix_sort_implIS3_Lb0EPKlPlS8_S9_N2at6native12_GLOBAL__N_18offset_tEEE10hipError_tPvRmT1_PNSt15iterator_traitsISH_E10value_typeET2_T3_PNSI_ISN_E10value_typeET4_jRbjT5_ST_jjP12ihipStream_tbEUlT_E2_NS1_11comp_targetILNS1_3genE8ELNS1_11target_archE1030ELNS1_3gpuE2ELNS1_3repE0EEENS1_30default_config_static_selectorELNS0_4arch9wavefront6targetE1EEEvSH_
    .private_segment_fixed_size: 0
    .sgpr_count:     4
    .sgpr_spill_count: 0
    .symbol:         _ZN7rocprim17ROCPRIM_400000_NS6detail17trampoline_kernelINS0_14default_configENS1_36segmented_radix_sort_config_selectorIllEEZNS1_25segmented_radix_sort_implIS3_Lb0EPKlPlS8_S9_N2at6native12_GLOBAL__N_18offset_tEEE10hipError_tPvRmT1_PNSt15iterator_traitsISH_E10value_typeET2_T3_PNSI_ISN_E10value_typeET4_jRbjT5_ST_jjP12ihipStream_tbEUlT_E2_NS1_11comp_targetILNS1_3genE8ELNS1_11target_archE1030ELNS1_3gpuE2ELNS1_3repE0EEENS1_30default_config_static_selectorELNS0_4arch9wavefront6targetE1EEEvSH_.kd
    .uniform_work_group_size: 1
    .uses_dynamic_stack: false
    .vgpr_count:     0
    .vgpr_spill_count: 0
    .wavefront_size: 64
  - .args:
      - .address_space:  global
        .offset:         0
        .size:           8
        .value_kind:     global_buffer
      - .address_space:  global
        .offset:         8
        .size:           8
        .value_kind:     global_buffer
      - .address_space:  global
        .offset:         16
        .size:           8
        .value_kind:     global_buffer
      - .address_space:  global
        .offset:         24
        .size:           8
        .value_kind:     global_buffer
      - .offset:         32
        .size:           4
        .value_kind:     by_value
      - .offset:         36
        .size:           4
        .value_kind:     by_value
      - .offset:         40
        .size:           4
        .value_kind:     hidden_block_count_x
      - .offset:         44
        .size:           4
        .value_kind:     hidden_block_count_y
      - .offset:         48
        .size:           4
        .value_kind:     hidden_block_count_z
      - .offset:         52
        .size:           2
        .value_kind:     hidden_group_size_x
      - .offset:         54
        .size:           2
        .value_kind:     hidden_group_size_y
      - .offset:         56
        .size:           2
        .value_kind:     hidden_group_size_z
      - .offset:         58
        .size:           2
        .value_kind:     hidden_remainder_x
      - .offset:         60
        .size:           2
        .value_kind:     hidden_remainder_y
      - .offset:         62
        .size:           2
        .value_kind:     hidden_remainder_z
      - .offset:         80
        .size:           8
        .value_kind:     hidden_global_offset_x
      - .offset:         88
        .size:           8
        .value_kind:     hidden_global_offset_y
      - .offset:         96
        .size:           8
        .value_kind:     hidden_global_offset_z
      - .offset:         104
        .size:           2
        .value_kind:     hidden_grid_dims
    .group_segment_fixed_size: 0
    .kernarg_segment_align: 8
    .kernarg_segment_size: 296
    .language:       OpenCL C
    .language_version:
      - 2
      - 0
    .max_flat_workgroup_size: 1024
    .name:           _ZN2at6native12_GLOBAL__N_123sort_postprocess_kernelIsEEvPKT_PS3_PlPK15HIP_vector_typeIiLj2EEii
    .private_segment_fixed_size: 0
    .sgpr_count:     23
    .sgpr_spill_count: 0
    .symbol:         _ZN2at6native12_GLOBAL__N_123sort_postprocess_kernelIsEEvPKT_PS3_PlPK15HIP_vector_typeIiLj2EEii.kd
    .uniform_work_group_size: 1
    .uses_dynamic_stack: false
    .vgpr_count:     22
    .vgpr_spill_count: 0
    .wavefront_size: 64
  - .args:
      - .offset:         0
        .size:           176
        .value_kind:     by_value
    .group_segment_fixed_size: 0
    .kernarg_segment_align: 8
    .kernarg_segment_size: 176
    .language:       OpenCL C
    .language_version:
      - 2
      - 0
    .max_flat_workgroup_size: 256
    .name:           _ZN7rocprim17ROCPRIM_400000_NS6detail17trampoline_kernelINS0_13select_configILj256ELj13ELNS0_17block_load_methodE3ELS4_3ELS4_3ELNS0_20block_scan_algorithmE0ELj4294967295EEENS1_25partition_config_selectorILNS1_17partition_subalgoE4EjNS0_10empty_typeEbEEZZNS1_14partition_implILS8_4ELb0ES6_15HIP_vector_typeIjLj2EENS0_17counting_iteratorIjlEEPS9_SG_NS0_5tupleIJPjSI_NS0_16reverse_iteratorISI_EEEEENSH_IJSG_SG_SG_EEES9_SI_JZNS1_25segmented_radix_sort_implINS0_14default_configELb1EPKsPsPKlPlN2at6native12_GLOBAL__N_18offset_tEEE10hipError_tPvRmT1_PNSt15iterator_traitsIS12_E10value_typeET2_T3_PNS13_IS18_E10value_typeET4_jRbjT5_S1E_jjP12ihipStream_tbEUljE_ZNSN_ISO_Lb1ESQ_SR_ST_SU_SY_EESZ_S10_S11_S12_S16_S17_S18_S1B_S1C_jS1D_jS1E_S1E_jjS1G_bEUljE0_EEESZ_S10_S11_S18_S1C_S1E_T6_T7_T9_mT8_S1G_bDpT10_ENKUlT_T0_E_clISt17integral_constantIbLb0EES1U_EEDaS1P_S1Q_EUlS1P_E_NS1_11comp_targetILNS1_3genE0ELNS1_11target_archE4294967295ELNS1_3gpuE0ELNS1_3repE0EEENS1_30default_config_static_selectorELNS0_4arch9wavefront6targetE1EEEvS12_
    .private_segment_fixed_size: 0
    .sgpr_count:     4
    .sgpr_spill_count: 0
    .symbol:         _ZN7rocprim17ROCPRIM_400000_NS6detail17trampoline_kernelINS0_13select_configILj256ELj13ELNS0_17block_load_methodE3ELS4_3ELS4_3ELNS0_20block_scan_algorithmE0ELj4294967295EEENS1_25partition_config_selectorILNS1_17partition_subalgoE4EjNS0_10empty_typeEbEEZZNS1_14partition_implILS8_4ELb0ES6_15HIP_vector_typeIjLj2EENS0_17counting_iteratorIjlEEPS9_SG_NS0_5tupleIJPjSI_NS0_16reverse_iteratorISI_EEEEENSH_IJSG_SG_SG_EEES9_SI_JZNS1_25segmented_radix_sort_implINS0_14default_configELb1EPKsPsPKlPlN2at6native12_GLOBAL__N_18offset_tEEE10hipError_tPvRmT1_PNSt15iterator_traitsIS12_E10value_typeET2_T3_PNS13_IS18_E10value_typeET4_jRbjT5_S1E_jjP12ihipStream_tbEUljE_ZNSN_ISO_Lb1ESQ_SR_ST_SU_SY_EESZ_S10_S11_S12_S16_S17_S18_S1B_S1C_jS1D_jS1E_S1E_jjS1G_bEUljE0_EEESZ_S10_S11_S18_S1C_S1E_T6_T7_T9_mT8_S1G_bDpT10_ENKUlT_T0_E_clISt17integral_constantIbLb0EES1U_EEDaS1P_S1Q_EUlS1P_E_NS1_11comp_targetILNS1_3genE0ELNS1_11target_archE4294967295ELNS1_3gpuE0ELNS1_3repE0EEENS1_30default_config_static_selectorELNS0_4arch9wavefront6targetE1EEEvS12_.kd
    .uniform_work_group_size: 1
    .uses_dynamic_stack: false
    .vgpr_count:     0
    .vgpr_spill_count: 0
    .wavefront_size: 64
  - .args:
      - .offset:         0
        .size:           176
        .value_kind:     by_value
    .group_segment_fixed_size: 0
    .kernarg_segment_align: 8
    .kernarg_segment_size: 176
    .language:       OpenCL C
    .language_version:
      - 2
      - 0
    .max_flat_workgroup_size: 256
    .name:           _ZN7rocprim17ROCPRIM_400000_NS6detail17trampoline_kernelINS0_13select_configILj256ELj13ELNS0_17block_load_methodE3ELS4_3ELS4_3ELNS0_20block_scan_algorithmE0ELj4294967295EEENS1_25partition_config_selectorILNS1_17partition_subalgoE4EjNS0_10empty_typeEbEEZZNS1_14partition_implILS8_4ELb0ES6_15HIP_vector_typeIjLj2EENS0_17counting_iteratorIjlEEPS9_SG_NS0_5tupleIJPjSI_NS0_16reverse_iteratorISI_EEEEENSH_IJSG_SG_SG_EEES9_SI_JZNS1_25segmented_radix_sort_implINS0_14default_configELb1EPKsPsPKlPlN2at6native12_GLOBAL__N_18offset_tEEE10hipError_tPvRmT1_PNSt15iterator_traitsIS12_E10value_typeET2_T3_PNS13_IS18_E10value_typeET4_jRbjT5_S1E_jjP12ihipStream_tbEUljE_ZNSN_ISO_Lb1ESQ_SR_ST_SU_SY_EESZ_S10_S11_S12_S16_S17_S18_S1B_S1C_jS1D_jS1E_S1E_jjS1G_bEUljE0_EEESZ_S10_S11_S18_S1C_S1E_T6_T7_T9_mT8_S1G_bDpT10_ENKUlT_T0_E_clISt17integral_constantIbLb0EES1U_EEDaS1P_S1Q_EUlS1P_E_NS1_11comp_targetILNS1_3genE5ELNS1_11target_archE942ELNS1_3gpuE9ELNS1_3repE0EEENS1_30default_config_static_selectorELNS0_4arch9wavefront6targetE1EEEvS12_
    .private_segment_fixed_size: 0
    .sgpr_count:     4
    .sgpr_spill_count: 0
    .symbol:         _ZN7rocprim17ROCPRIM_400000_NS6detail17trampoline_kernelINS0_13select_configILj256ELj13ELNS0_17block_load_methodE3ELS4_3ELS4_3ELNS0_20block_scan_algorithmE0ELj4294967295EEENS1_25partition_config_selectorILNS1_17partition_subalgoE4EjNS0_10empty_typeEbEEZZNS1_14partition_implILS8_4ELb0ES6_15HIP_vector_typeIjLj2EENS0_17counting_iteratorIjlEEPS9_SG_NS0_5tupleIJPjSI_NS0_16reverse_iteratorISI_EEEEENSH_IJSG_SG_SG_EEES9_SI_JZNS1_25segmented_radix_sort_implINS0_14default_configELb1EPKsPsPKlPlN2at6native12_GLOBAL__N_18offset_tEEE10hipError_tPvRmT1_PNSt15iterator_traitsIS12_E10value_typeET2_T3_PNS13_IS18_E10value_typeET4_jRbjT5_S1E_jjP12ihipStream_tbEUljE_ZNSN_ISO_Lb1ESQ_SR_ST_SU_SY_EESZ_S10_S11_S12_S16_S17_S18_S1B_S1C_jS1D_jS1E_S1E_jjS1G_bEUljE0_EEESZ_S10_S11_S18_S1C_S1E_T6_T7_T9_mT8_S1G_bDpT10_ENKUlT_T0_E_clISt17integral_constantIbLb0EES1U_EEDaS1P_S1Q_EUlS1P_E_NS1_11comp_targetILNS1_3genE5ELNS1_11target_archE942ELNS1_3gpuE9ELNS1_3repE0EEENS1_30default_config_static_selectorELNS0_4arch9wavefront6targetE1EEEvS12_.kd
    .uniform_work_group_size: 1
    .uses_dynamic_stack: false
    .vgpr_count:     0
    .vgpr_spill_count: 0
    .wavefront_size: 64
  - .args:
      - .offset:         0
        .size:           176
        .value_kind:     by_value
    .group_segment_fixed_size: 0
    .kernarg_segment_align: 8
    .kernarg_segment_size: 176
    .language:       OpenCL C
    .language_version:
      - 2
      - 0
    .max_flat_workgroup_size: 256
    .name:           _ZN7rocprim17ROCPRIM_400000_NS6detail17trampoline_kernelINS0_13select_configILj256ELj13ELNS0_17block_load_methodE3ELS4_3ELS4_3ELNS0_20block_scan_algorithmE0ELj4294967295EEENS1_25partition_config_selectorILNS1_17partition_subalgoE4EjNS0_10empty_typeEbEEZZNS1_14partition_implILS8_4ELb0ES6_15HIP_vector_typeIjLj2EENS0_17counting_iteratorIjlEEPS9_SG_NS0_5tupleIJPjSI_NS0_16reverse_iteratorISI_EEEEENSH_IJSG_SG_SG_EEES9_SI_JZNS1_25segmented_radix_sort_implINS0_14default_configELb1EPKsPsPKlPlN2at6native12_GLOBAL__N_18offset_tEEE10hipError_tPvRmT1_PNSt15iterator_traitsIS12_E10value_typeET2_T3_PNS13_IS18_E10value_typeET4_jRbjT5_S1E_jjP12ihipStream_tbEUljE_ZNSN_ISO_Lb1ESQ_SR_ST_SU_SY_EESZ_S10_S11_S12_S16_S17_S18_S1B_S1C_jS1D_jS1E_S1E_jjS1G_bEUljE0_EEESZ_S10_S11_S18_S1C_S1E_T6_T7_T9_mT8_S1G_bDpT10_ENKUlT_T0_E_clISt17integral_constantIbLb0EES1U_EEDaS1P_S1Q_EUlS1P_E_NS1_11comp_targetILNS1_3genE4ELNS1_11target_archE910ELNS1_3gpuE8ELNS1_3repE0EEENS1_30default_config_static_selectorELNS0_4arch9wavefront6targetE1EEEvS12_
    .private_segment_fixed_size: 0
    .sgpr_count:     4
    .sgpr_spill_count: 0
    .symbol:         _ZN7rocprim17ROCPRIM_400000_NS6detail17trampoline_kernelINS0_13select_configILj256ELj13ELNS0_17block_load_methodE3ELS4_3ELS4_3ELNS0_20block_scan_algorithmE0ELj4294967295EEENS1_25partition_config_selectorILNS1_17partition_subalgoE4EjNS0_10empty_typeEbEEZZNS1_14partition_implILS8_4ELb0ES6_15HIP_vector_typeIjLj2EENS0_17counting_iteratorIjlEEPS9_SG_NS0_5tupleIJPjSI_NS0_16reverse_iteratorISI_EEEEENSH_IJSG_SG_SG_EEES9_SI_JZNS1_25segmented_radix_sort_implINS0_14default_configELb1EPKsPsPKlPlN2at6native12_GLOBAL__N_18offset_tEEE10hipError_tPvRmT1_PNSt15iterator_traitsIS12_E10value_typeET2_T3_PNS13_IS18_E10value_typeET4_jRbjT5_S1E_jjP12ihipStream_tbEUljE_ZNSN_ISO_Lb1ESQ_SR_ST_SU_SY_EESZ_S10_S11_S12_S16_S17_S18_S1B_S1C_jS1D_jS1E_S1E_jjS1G_bEUljE0_EEESZ_S10_S11_S18_S1C_S1E_T6_T7_T9_mT8_S1G_bDpT10_ENKUlT_T0_E_clISt17integral_constantIbLb0EES1U_EEDaS1P_S1Q_EUlS1P_E_NS1_11comp_targetILNS1_3genE4ELNS1_11target_archE910ELNS1_3gpuE8ELNS1_3repE0EEENS1_30default_config_static_selectorELNS0_4arch9wavefront6targetE1EEEvS12_.kd
    .uniform_work_group_size: 1
    .uses_dynamic_stack: false
    .vgpr_count:     0
    .vgpr_spill_count: 0
    .wavefront_size: 64
  - .args:
      - .offset:         0
        .size:           176
        .value_kind:     by_value
    .group_segment_fixed_size: 0
    .kernarg_segment_align: 8
    .kernarg_segment_size: 176
    .language:       OpenCL C
    .language_version:
      - 2
      - 0
    .max_flat_workgroup_size: 256
    .name:           _ZN7rocprim17ROCPRIM_400000_NS6detail17trampoline_kernelINS0_13select_configILj256ELj13ELNS0_17block_load_methodE3ELS4_3ELS4_3ELNS0_20block_scan_algorithmE0ELj4294967295EEENS1_25partition_config_selectorILNS1_17partition_subalgoE4EjNS0_10empty_typeEbEEZZNS1_14partition_implILS8_4ELb0ES6_15HIP_vector_typeIjLj2EENS0_17counting_iteratorIjlEEPS9_SG_NS0_5tupleIJPjSI_NS0_16reverse_iteratorISI_EEEEENSH_IJSG_SG_SG_EEES9_SI_JZNS1_25segmented_radix_sort_implINS0_14default_configELb1EPKsPsPKlPlN2at6native12_GLOBAL__N_18offset_tEEE10hipError_tPvRmT1_PNSt15iterator_traitsIS12_E10value_typeET2_T3_PNS13_IS18_E10value_typeET4_jRbjT5_S1E_jjP12ihipStream_tbEUljE_ZNSN_ISO_Lb1ESQ_SR_ST_SU_SY_EESZ_S10_S11_S12_S16_S17_S18_S1B_S1C_jS1D_jS1E_S1E_jjS1G_bEUljE0_EEESZ_S10_S11_S18_S1C_S1E_T6_T7_T9_mT8_S1G_bDpT10_ENKUlT_T0_E_clISt17integral_constantIbLb0EES1U_EEDaS1P_S1Q_EUlS1P_E_NS1_11comp_targetILNS1_3genE3ELNS1_11target_archE908ELNS1_3gpuE7ELNS1_3repE0EEENS1_30default_config_static_selectorELNS0_4arch9wavefront6targetE1EEEvS12_
    .private_segment_fixed_size: 0
    .sgpr_count:     4
    .sgpr_spill_count: 0
    .symbol:         _ZN7rocprim17ROCPRIM_400000_NS6detail17trampoline_kernelINS0_13select_configILj256ELj13ELNS0_17block_load_methodE3ELS4_3ELS4_3ELNS0_20block_scan_algorithmE0ELj4294967295EEENS1_25partition_config_selectorILNS1_17partition_subalgoE4EjNS0_10empty_typeEbEEZZNS1_14partition_implILS8_4ELb0ES6_15HIP_vector_typeIjLj2EENS0_17counting_iteratorIjlEEPS9_SG_NS0_5tupleIJPjSI_NS0_16reverse_iteratorISI_EEEEENSH_IJSG_SG_SG_EEES9_SI_JZNS1_25segmented_radix_sort_implINS0_14default_configELb1EPKsPsPKlPlN2at6native12_GLOBAL__N_18offset_tEEE10hipError_tPvRmT1_PNSt15iterator_traitsIS12_E10value_typeET2_T3_PNS13_IS18_E10value_typeET4_jRbjT5_S1E_jjP12ihipStream_tbEUljE_ZNSN_ISO_Lb1ESQ_SR_ST_SU_SY_EESZ_S10_S11_S12_S16_S17_S18_S1B_S1C_jS1D_jS1E_S1E_jjS1G_bEUljE0_EEESZ_S10_S11_S18_S1C_S1E_T6_T7_T9_mT8_S1G_bDpT10_ENKUlT_T0_E_clISt17integral_constantIbLb0EES1U_EEDaS1P_S1Q_EUlS1P_E_NS1_11comp_targetILNS1_3genE3ELNS1_11target_archE908ELNS1_3gpuE7ELNS1_3repE0EEENS1_30default_config_static_selectorELNS0_4arch9wavefront6targetE1EEEvS12_.kd
    .uniform_work_group_size: 1
    .uses_dynamic_stack: false
    .vgpr_count:     0
    .vgpr_spill_count: 0
    .wavefront_size: 64
  - .args:
      - .offset:         0
        .size:           176
        .value_kind:     by_value
    .group_segment_fixed_size: 13328
    .kernarg_segment_align: 8
    .kernarg_segment_size: 176
    .language:       OpenCL C
    .language_version:
      - 2
      - 0
    .max_flat_workgroup_size: 256
    .name:           _ZN7rocprim17ROCPRIM_400000_NS6detail17trampoline_kernelINS0_13select_configILj256ELj13ELNS0_17block_load_methodE3ELS4_3ELS4_3ELNS0_20block_scan_algorithmE0ELj4294967295EEENS1_25partition_config_selectorILNS1_17partition_subalgoE4EjNS0_10empty_typeEbEEZZNS1_14partition_implILS8_4ELb0ES6_15HIP_vector_typeIjLj2EENS0_17counting_iteratorIjlEEPS9_SG_NS0_5tupleIJPjSI_NS0_16reverse_iteratorISI_EEEEENSH_IJSG_SG_SG_EEES9_SI_JZNS1_25segmented_radix_sort_implINS0_14default_configELb1EPKsPsPKlPlN2at6native12_GLOBAL__N_18offset_tEEE10hipError_tPvRmT1_PNSt15iterator_traitsIS12_E10value_typeET2_T3_PNS13_IS18_E10value_typeET4_jRbjT5_S1E_jjP12ihipStream_tbEUljE_ZNSN_ISO_Lb1ESQ_SR_ST_SU_SY_EESZ_S10_S11_S12_S16_S17_S18_S1B_S1C_jS1D_jS1E_S1E_jjS1G_bEUljE0_EEESZ_S10_S11_S18_S1C_S1E_T6_T7_T9_mT8_S1G_bDpT10_ENKUlT_T0_E_clISt17integral_constantIbLb0EES1U_EEDaS1P_S1Q_EUlS1P_E_NS1_11comp_targetILNS1_3genE2ELNS1_11target_archE906ELNS1_3gpuE6ELNS1_3repE0EEENS1_30default_config_static_selectorELNS0_4arch9wavefront6targetE1EEEvS12_
    .private_segment_fixed_size: 0
    .sgpr_count:     94
    .sgpr_spill_count: 0
    .symbol:         _ZN7rocprim17ROCPRIM_400000_NS6detail17trampoline_kernelINS0_13select_configILj256ELj13ELNS0_17block_load_methodE3ELS4_3ELS4_3ELNS0_20block_scan_algorithmE0ELj4294967295EEENS1_25partition_config_selectorILNS1_17partition_subalgoE4EjNS0_10empty_typeEbEEZZNS1_14partition_implILS8_4ELb0ES6_15HIP_vector_typeIjLj2EENS0_17counting_iteratorIjlEEPS9_SG_NS0_5tupleIJPjSI_NS0_16reverse_iteratorISI_EEEEENSH_IJSG_SG_SG_EEES9_SI_JZNS1_25segmented_radix_sort_implINS0_14default_configELb1EPKsPsPKlPlN2at6native12_GLOBAL__N_18offset_tEEE10hipError_tPvRmT1_PNSt15iterator_traitsIS12_E10value_typeET2_T3_PNS13_IS18_E10value_typeET4_jRbjT5_S1E_jjP12ihipStream_tbEUljE_ZNSN_ISO_Lb1ESQ_SR_ST_SU_SY_EESZ_S10_S11_S12_S16_S17_S18_S1B_S1C_jS1D_jS1E_S1E_jjS1G_bEUljE0_EEESZ_S10_S11_S18_S1C_S1E_T6_T7_T9_mT8_S1G_bDpT10_ENKUlT_T0_E_clISt17integral_constantIbLb0EES1U_EEDaS1P_S1Q_EUlS1P_E_NS1_11comp_targetILNS1_3genE2ELNS1_11target_archE906ELNS1_3gpuE6ELNS1_3repE0EEENS1_30default_config_static_selectorELNS0_4arch9wavefront6targetE1EEEvS12_.kd
    .uniform_work_group_size: 1
    .uses_dynamic_stack: false
    .vgpr_count:     86
    .vgpr_spill_count: 0
    .wavefront_size: 64
  - .args:
      - .offset:         0
        .size:           176
        .value_kind:     by_value
    .group_segment_fixed_size: 0
    .kernarg_segment_align: 8
    .kernarg_segment_size: 176
    .language:       OpenCL C
    .language_version:
      - 2
      - 0
    .max_flat_workgroup_size: 256
    .name:           _ZN7rocprim17ROCPRIM_400000_NS6detail17trampoline_kernelINS0_13select_configILj256ELj13ELNS0_17block_load_methodE3ELS4_3ELS4_3ELNS0_20block_scan_algorithmE0ELj4294967295EEENS1_25partition_config_selectorILNS1_17partition_subalgoE4EjNS0_10empty_typeEbEEZZNS1_14partition_implILS8_4ELb0ES6_15HIP_vector_typeIjLj2EENS0_17counting_iteratorIjlEEPS9_SG_NS0_5tupleIJPjSI_NS0_16reverse_iteratorISI_EEEEENSH_IJSG_SG_SG_EEES9_SI_JZNS1_25segmented_radix_sort_implINS0_14default_configELb1EPKsPsPKlPlN2at6native12_GLOBAL__N_18offset_tEEE10hipError_tPvRmT1_PNSt15iterator_traitsIS12_E10value_typeET2_T3_PNS13_IS18_E10value_typeET4_jRbjT5_S1E_jjP12ihipStream_tbEUljE_ZNSN_ISO_Lb1ESQ_SR_ST_SU_SY_EESZ_S10_S11_S12_S16_S17_S18_S1B_S1C_jS1D_jS1E_S1E_jjS1G_bEUljE0_EEESZ_S10_S11_S18_S1C_S1E_T6_T7_T9_mT8_S1G_bDpT10_ENKUlT_T0_E_clISt17integral_constantIbLb0EES1U_EEDaS1P_S1Q_EUlS1P_E_NS1_11comp_targetILNS1_3genE10ELNS1_11target_archE1200ELNS1_3gpuE4ELNS1_3repE0EEENS1_30default_config_static_selectorELNS0_4arch9wavefront6targetE1EEEvS12_
    .private_segment_fixed_size: 0
    .sgpr_count:     4
    .sgpr_spill_count: 0
    .symbol:         _ZN7rocprim17ROCPRIM_400000_NS6detail17trampoline_kernelINS0_13select_configILj256ELj13ELNS0_17block_load_methodE3ELS4_3ELS4_3ELNS0_20block_scan_algorithmE0ELj4294967295EEENS1_25partition_config_selectorILNS1_17partition_subalgoE4EjNS0_10empty_typeEbEEZZNS1_14partition_implILS8_4ELb0ES6_15HIP_vector_typeIjLj2EENS0_17counting_iteratorIjlEEPS9_SG_NS0_5tupleIJPjSI_NS0_16reverse_iteratorISI_EEEEENSH_IJSG_SG_SG_EEES9_SI_JZNS1_25segmented_radix_sort_implINS0_14default_configELb1EPKsPsPKlPlN2at6native12_GLOBAL__N_18offset_tEEE10hipError_tPvRmT1_PNSt15iterator_traitsIS12_E10value_typeET2_T3_PNS13_IS18_E10value_typeET4_jRbjT5_S1E_jjP12ihipStream_tbEUljE_ZNSN_ISO_Lb1ESQ_SR_ST_SU_SY_EESZ_S10_S11_S12_S16_S17_S18_S1B_S1C_jS1D_jS1E_S1E_jjS1G_bEUljE0_EEESZ_S10_S11_S18_S1C_S1E_T6_T7_T9_mT8_S1G_bDpT10_ENKUlT_T0_E_clISt17integral_constantIbLb0EES1U_EEDaS1P_S1Q_EUlS1P_E_NS1_11comp_targetILNS1_3genE10ELNS1_11target_archE1200ELNS1_3gpuE4ELNS1_3repE0EEENS1_30default_config_static_selectorELNS0_4arch9wavefront6targetE1EEEvS12_.kd
    .uniform_work_group_size: 1
    .uses_dynamic_stack: false
    .vgpr_count:     0
    .vgpr_spill_count: 0
    .wavefront_size: 64
  - .args:
      - .offset:         0
        .size:           176
        .value_kind:     by_value
    .group_segment_fixed_size: 0
    .kernarg_segment_align: 8
    .kernarg_segment_size: 176
    .language:       OpenCL C
    .language_version:
      - 2
      - 0
    .max_flat_workgroup_size: 256
    .name:           _ZN7rocprim17ROCPRIM_400000_NS6detail17trampoline_kernelINS0_13select_configILj256ELj13ELNS0_17block_load_methodE3ELS4_3ELS4_3ELNS0_20block_scan_algorithmE0ELj4294967295EEENS1_25partition_config_selectorILNS1_17partition_subalgoE4EjNS0_10empty_typeEbEEZZNS1_14partition_implILS8_4ELb0ES6_15HIP_vector_typeIjLj2EENS0_17counting_iteratorIjlEEPS9_SG_NS0_5tupleIJPjSI_NS0_16reverse_iteratorISI_EEEEENSH_IJSG_SG_SG_EEES9_SI_JZNS1_25segmented_radix_sort_implINS0_14default_configELb1EPKsPsPKlPlN2at6native12_GLOBAL__N_18offset_tEEE10hipError_tPvRmT1_PNSt15iterator_traitsIS12_E10value_typeET2_T3_PNS13_IS18_E10value_typeET4_jRbjT5_S1E_jjP12ihipStream_tbEUljE_ZNSN_ISO_Lb1ESQ_SR_ST_SU_SY_EESZ_S10_S11_S12_S16_S17_S18_S1B_S1C_jS1D_jS1E_S1E_jjS1G_bEUljE0_EEESZ_S10_S11_S18_S1C_S1E_T6_T7_T9_mT8_S1G_bDpT10_ENKUlT_T0_E_clISt17integral_constantIbLb0EES1U_EEDaS1P_S1Q_EUlS1P_E_NS1_11comp_targetILNS1_3genE9ELNS1_11target_archE1100ELNS1_3gpuE3ELNS1_3repE0EEENS1_30default_config_static_selectorELNS0_4arch9wavefront6targetE1EEEvS12_
    .private_segment_fixed_size: 0
    .sgpr_count:     4
    .sgpr_spill_count: 0
    .symbol:         _ZN7rocprim17ROCPRIM_400000_NS6detail17trampoline_kernelINS0_13select_configILj256ELj13ELNS0_17block_load_methodE3ELS4_3ELS4_3ELNS0_20block_scan_algorithmE0ELj4294967295EEENS1_25partition_config_selectorILNS1_17partition_subalgoE4EjNS0_10empty_typeEbEEZZNS1_14partition_implILS8_4ELb0ES6_15HIP_vector_typeIjLj2EENS0_17counting_iteratorIjlEEPS9_SG_NS0_5tupleIJPjSI_NS0_16reverse_iteratorISI_EEEEENSH_IJSG_SG_SG_EEES9_SI_JZNS1_25segmented_radix_sort_implINS0_14default_configELb1EPKsPsPKlPlN2at6native12_GLOBAL__N_18offset_tEEE10hipError_tPvRmT1_PNSt15iterator_traitsIS12_E10value_typeET2_T3_PNS13_IS18_E10value_typeET4_jRbjT5_S1E_jjP12ihipStream_tbEUljE_ZNSN_ISO_Lb1ESQ_SR_ST_SU_SY_EESZ_S10_S11_S12_S16_S17_S18_S1B_S1C_jS1D_jS1E_S1E_jjS1G_bEUljE0_EEESZ_S10_S11_S18_S1C_S1E_T6_T7_T9_mT8_S1G_bDpT10_ENKUlT_T0_E_clISt17integral_constantIbLb0EES1U_EEDaS1P_S1Q_EUlS1P_E_NS1_11comp_targetILNS1_3genE9ELNS1_11target_archE1100ELNS1_3gpuE3ELNS1_3repE0EEENS1_30default_config_static_selectorELNS0_4arch9wavefront6targetE1EEEvS12_.kd
    .uniform_work_group_size: 1
    .uses_dynamic_stack: false
    .vgpr_count:     0
    .vgpr_spill_count: 0
    .wavefront_size: 64
  - .args:
      - .offset:         0
        .size:           176
        .value_kind:     by_value
    .group_segment_fixed_size: 0
    .kernarg_segment_align: 8
    .kernarg_segment_size: 176
    .language:       OpenCL C
    .language_version:
      - 2
      - 0
    .max_flat_workgroup_size: 256
    .name:           _ZN7rocprim17ROCPRIM_400000_NS6detail17trampoline_kernelINS0_13select_configILj256ELj13ELNS0_17block_load_methodE3ELS4_3ELS4_3ELNS0_20block_scan_algorithmE0ELj4294967295EEENS1_25partition_config_selectorILNS1_17partition_subalgoE4EjNS0_10empty_typeEbEEZZNS1_14partition_implILS8_4ELb0ES6_15HIP_vector_typeIjLj2EENS0_17counting_iteratorIjlEEPS9_SG_NS0_5tupleIJPjSI_NS0_16reverse_iteratorISI_EEEEENSH_IJSG_SG_SG_EEES9_SI_JZNS1_25segmented_radix_sort_implINS0_14default_configELb1EPKsPsPKlPlN2at6native12_GLOBAL__N_18offset_tEEE10hipError_tPvRmT1_PNSt15iterator_traitsIS12_E10value_typeET2_T3_PNS13_IS18_E10value_typeET4_jRbjT5_S1E_jjP12ihipStream_tbEUljE_ZNSN_ISO_Lb1ESQ_SR_ST_SU_SY_EESZ_S10_S11_S12_S16_S17_S18_S1B_S1C_jS1D_jS1E_S1E_jjS1G_bEUljE0_EEESZ_S10_S11_S18_S1C_S1E_T6_T7_T9_mT8_S1G_bDpT10_ENKUlT_T0_E_clISt17integral_constantIbLb0EES1U_EEDaS1P_S1Q_EUlS1P_E_NS1_11comp_targetILNS1_3genE8ELNS1_11target_archE1030ELNS1_3gpuE2ELNS1_3repE0EEENS1_30default_config_static_selectorELNS0_4arch9wavefront6targetE1EEEvS12_
    .private_segment_fixed_size: 0
    .sgpr_count:     4
    .sgpr_spill_count: 0
    .symbol:         _ZN7rocprim17ROCPRIM_400000_NS6detail17trampoline_kernelINS0_13select_configILj256ELj13ELNS0_17block_load_methodE3ELS4_3ELS4_3ELNS0_20block_scan_algorithmE0ELj4294967295EEENS1_25partition_config_selectorILNS1_17partition_subalgoE4EjNS0_10empty_typeEbEEZZNS1_14partition_implILS8_4ELb0ES6_15HIP_vector_typeIjLj2EENS0_17counting_iteratorIjlEEPS9_SG_NS0_5tupleIJPjSI_NS0_16reverse_iteratorISI_EEEEENSH_IJSG_SG_SG_EEES9_SI_JZNS1_25segmented_radix_sort_implINS0_14default_configELb1EPKsPsPKlPlN2at6native12_GLOBAL__N_18offset_tEEE10hipError_tPvRmT1_PNSt15iterator_traitsIS12_E10value_typeET2_T3_PNS13_IS18_E10value_typeET4_jRbjT5_S1E_jjP12ihipStream_tbEUljE_ZNSN_ISO_Lb1ESQ_SR_ST_SU_SY_EESZ_S10_S11_S12_S16_S17_S18_S1B_S1C_jS1D_jS1E_S1E_jjS1G_bEUljE0_EEESZ_S10_S11_S18_S1C_S1E_T6_T7_T9_mT8_S1G_bDpT10_ENKUlT_T0_E_clISt17integral_constantIbLb0EES1U_EEDaS1P_S1Q_EUlS1P_E_NS1_11comp_targetILNS1_3genE8ELNS1_11target_archE1030ELNS1_3gpuE2ELNS1_3repE0EEENS1_30default_config_static_selectorELNS0_4arch9wavefront6targetE1EEEvS12_.kd
    .uniform_work_group_size: 1
    .uses_dynamic_stack: false
    .vgpr_count:     0
    .vgpr_spill_count: 0
    .wavefront_size: 64
  - .args:
      - .offset:         0
        .size:           184
        .value_kind:     by_value
    .group_segment_fixed_size: 0
    .kernarg_segment_align: 8
    .kernarg_segment_size: 184
    .language:       OpenCL C
    .language_version:
      - 2
      - 0
    .max_flat_workgroup_size: 256
    .name:           _ZN7rocprim17ROCPRIM_400000_NS6detail17trampoline_kernelINS0_13select_configILj256ELj13ELNS0_17block_load_methodE3ELS4_3ELS4_3ELNS0_20block_scan_algorithmE0ELj4294967295EEENS1_25partition_config_selectorILNS1_17partition_subalgoE4EjNS0_10empty_typeEbEEZZNS1_14partition_implILS8_4ELb0ES6_15HIP_vector_typeIjLj2EENS0_17counting_iteratorIjlEEPS9_SG_NS0_5tupleIJPjSI_NS0_16reverse_iteratorISI_EEEEENSH_IJSG_SG_SG_EEES9_SI_JZNS1_25segmented_radix_sort_implINS0_14default_configELb1EPKsPsPKlPlN2at6native12_GLOBAL__N_18offset_tEEE10hipError_tPvRmT1_PNSt15iterator_traitsIS12_E10value_typeET2_T3_PNS13_IS18_E10value_typeET4_jRbjT5_S1E_jjP12ihipStream_tbEUljE_ZNSN_ISO_Lb1ESQ_SR_ST_SU_SY_EESZ_S10_S11_S12_S16_S17_S18_S1B_S1C_jS1D_jS1E_S1E_jjS1G_bEUljE0_EEESZ_S10_S11_S18_S1C_S1E_T6_T7_T9_mT8_S1G_bDpT10_ENKUlT_T0_E_clISt17integral_constantIbLb1EES1U_EEDaS1P_S1Q_EUlS1P_E_NS1_11comp_targetILNS1_3genE0ELNS1_11target_archE4294967295ELNS1_3gpuE0ELNS1_3repE0EEENS1_30default_config_static_selectorELNS0_4arch9wavefront6targetE1EEEvS12_
    .private_segment_fixed_size: 0
    .sgpr_count:     4
    .sgpr_spill_count: 0
    .symbol:         _ZN7rocprim17ROCPRIM_400000_NS6detail17trampoline_kernelINS0_13select_configILj256ELj13ELNS0_17block_load_methodE3ELS4_3ELS4_3ELNS0_20block_scan_algorithmE0ELj4294967295EEENS1_25partition_config_selectorILNS1_17partition_subalgoE4EjNS0_10empty_typeEbEEZZNS1_14partition_implILS8_4ELb0ES6_15HIP_vector_typeIjLj2EENS0_17counting_iteratorIjlEEPS9_SG_NS0_5tupleIJPjSI_NS0_16reverse_iteratorISI_EEEEENSH_IJSG_SG_SG_EEES9_SI_JZNS1_25segmented_radix_sort_implINS0_14default_configELb1EPKsPsPKlPlN2at6native12_GLOBAL__N_18offset_tEEE10hipError_tPvRmT1_PNSt15iterator_traitsIS12_E10value_typeET2_T3_PNS13_IS18_E10value_typeET4_jRbjT5_S1E_jjP12ihipStream_tbEUljE_ZNSN_ISO_Lb1ESQ_SR_ST_SU_SY_EESZ_S10_S11_S12_S16_S17_S18_S1B_S1C_jS1D_jS1E_S1E_jjS1G_bEUljE0_EEESZ_S10_S11_S18_S1C_S1E_T6_T7_T9_mT8_S1G_bDpT10_ENKUlT_T0_E_clISt17integral_constantIbLb1EES1U_EEDaS1P_S1Q_EUlS1P_E_NS1_11comp_targetILNS1_3genE0ELNS1_11target_archE4294967295ELNS1_3gpuE0ELNS1_3repE0EEENS1_30default_config_static_selectorELNS0_4arch9wavefront6targetE1EEEvS12_.kd
    .uniform_work_group_size: 1
    .uses_dynamic_stack: false
    .vgpr_count:     0
    .vgpr_spill_count: 0
    .wavefront_size: 64
  - .args:
      - .offset:         0
        .size:           184
        .value_kind:     by_value
    .group_segment_fixed_size: 0
    .kernarg_segment_align: 8
    .kernarg_segment_size: 184
    .language:       OpenCL C
    .language_version:
      - 2
      - 0
    .max_flat_workgroup_size: 256
    .name:           _ZN7rocprim17ROCPRIM_400000_NS6detail17trampoline_kernelINS0_13select_configILj256ELj13ELNS0_17block_load_methodE3ELS4_3ELS4_3ELNS0_20block_scan_algorithmE0ELj4294967295EEENS1_25partition_config_selectorILNS1_17partition_subalgoE4EjNS0_10empty_typeEbEEZZNS1_14partition_implILS8_4ELb0ES6_15HIP_vector_typeIjLj2EENS0_17counting_iteratorIjlEEPS9_SG_NS0_5tupleIJPjSI_NS0_16reverse_iteratorISI_EEEEENSH_IJSG_SG_SG_EEES9_SI_JZNS1_25segmented_radix_sort_implINS0_14default_configELb1EPKsPsPKlPlN2at6native12_GLOBAL__N_18offset_tEEE10hipError_tPvRmT1_PNSt15iterator_traitsIS12_E10value_typeET2_T3_PNS13_IS18_E10value_typeET4_jRbjT5_S1E_jjP12ihipStream_tbEUljE_ZNSN_ISO_Lb1ESQ_SR_ST_SU_SY_EESZ_S10_S11_S12_S16_S17_S18_S1B_S1C_jS1D_jS1E_S1E_jjS1G_bEUljE0_EEESZ_S10_S11_S18_S1C_S1E_T6_T7_T9_mT8_S1G_bDpT10_ENKUlT_T0_E_clISt17integral_constantIbLb1EES1U_EEDaS1P_S1Q_EUlS1P_E_NS1_11comp_targetILNS1_3genE5ELNS1_11target_archE942ELNS1_3gpuE9ELNS1_3repE0EEENS1_30default_config_static_selectorELNS0_4arch9wavefront6targetE1EEEvS12_
    .private_segment_fixed_size: 0
    .sgpr_count:     4
    .sgpr_spill_count: 0
    .symbol:         _ZN7rocprim17ROCPRIM_400000_NS6detail17trampoline_kernelINS0_13select_configILj256ELj13ELNS0_17block_load_methodE3ELS4_3ELS4_3ELNS0_20block_scan_algorithmE0ELj4294967295EEENS1_25partition_config_selectorILNS1_17partition_subalgoE4EjNS0_10empty_typeEbEEZZNS1_14partition_implILS8_4ELb0ES6_15HIP_vector_typeIjLj2EENS0_17counting_iteratorIjlEEPS9_SG_NS0_5tupleIJPjSI_NS0_16reverse_iteratorISI_EEEEENSH_IJSG_SG_SG_EEES9_SI_JZNS1_25segmented_radix_sort_implINS0_14default_configELb1EPKsPsPKlPlN2at6native12_GLOBAL__N_18offset_tEEE10hipError_tPvRmT1_PNSt15iterator_traitsIS12_E10value_typeET2_T3_PNS13_IS18_E10value_typeET4_jRbjT5_S1E_jjP12ihipStream_tbEUljE_ZNSN_ISO_Lb1ESQ_SR_ST_SU_SY_EESZ_S10_S11_S12_S16_S17_S18_S1B_S1C_jS1D_jS1E_S1E_jjS1G_bEUljE0_EEESZ_S10_S11_S18_S1C_S1E_T6_T7_T9_mT8_S1G_bDpT10_ENKUlT_T0_E_clISt17integral_constantIbLb1EES1U_EEDaS1P_S1Q_EUlS1P_E_NS1_11comp_targetILNS1_3genE5ELNS1_11target_archE942ELNS1_3gpuE9ELNS1_3repE0EEENS1_30default_config_static_selectorELNS0_4arch9wavefront6targetE1EEEvS12_.kd
    .uniform_work_group_size: 1
    .uses_dynamic_stack: false
    .vgpr_count:     0
    .vgpr_spill_count: 0
    .wavefront_size: 64
  - .args:
      - .offset:         0
        .size:           184
        .value_kind:     by_value
    .group_segment_fixed_size: 0
    .kernarg_segment_align: 8
    .kernarg_segment_size: 184
    .language:       OpenCL C
    .language_version:
      - 2
      - 0
    .max_flat_workgroup_size: 256
    .name:           _ZN7rocprim17ROCPRIM_400000_NS6detail17trampoline_kernelINS0_13select_configILj256ELj13ELNS0_17block_load_methodE3ELS4_3ELS4_3ELNS0_20block_scan_algorithmE0ELj4294967295EEENS1_25partition_config_selectorILNS1_17partition_subalgoE4EjNS0_10empty_typeEbEEZZNS1_14partition_implILS8_4ELb0ES6_15HIP_vector_typeIjLj2EENS0_17counting_iteratorIjlEEPS9_SG_NS0_5tupleIJPjSI_NS0_16reverse_iteratorISI_EEEEENSH_IJSG_SG_SG_EEES9_SI_JZNS1_25segmented_radix_sort_implINS0_14default_configELb1EPKsPsPKlPlN2at6native12_GLOBAL__N_18offset_tEEE10hipError_tPvRmT1_PNSt15iterator_traitsIS12_E10value_typeET2_T3_PNS13_IS18_E10value_typeET4_jRbjT5_S1E_jjP12ihipStream_tbEUljE_ZNSN_ISO_Lb1ESQ_SR_ST_SU_SY_EESZ_S10_S11_S12_S16_S17_S18_S1B_S1C_jS1D_jS1E_S1E_jjS1G_bEUljE0_EEESZ_S10_S11_S18_S1C_S1E_T6_T7_T9_mT8_S1G_bDpT10_ENKUlT_T0_E_clISt17integral_constantIbLb1EES1U_EEDaS1P_S1Q_EUlS1P_E_NS1_11comp_targetILNS1_3genE4ELNS1_11target_archE910ELNS1_3gpuE8ELNS1_3repE0EEENS1_30default_config_static_selectorELNS0_4arch9wavefront6targetE1EEEvS12_
    .private_segment_fixed_size: 0
    .sgpr_count:     4
    .sgpr_spill_count: 0
    .symbol:         _ZN7rocprim17ROCPRIM_400000_NS6detail17trampoline_kernelINS0_13select_configILj256ELj13ELNS0_17block_load_methodE3ELS4_3ELS4_3ELNS0_20block_scan_algorithmE0ELj4294967295EEENS1_25partition_config_selectorILNS1_17partition_subalgoE4EjNS0_10empty_typeEbEEZZNS1_14partition_implILS8_4ELb0ES6_15HIP_vector_typeIjLj2EENS0_17counting_iteratorIjlEEPS9_SG_NS0_5tupleIJPjSI_NS0_16reverse_iteratorISI_EEEEENSH_IJSG_SG_SG_EEES9_SI_JZNS1_25segmented_radix_sort_implINS0_14default_configELb1EPKsPsPKlPlN2at6native12_GLOBAL__N_18offset_tEEE10hipError_tPvRmT1_PNSt15iterator_traitsIS12_E10value_typeET2_T3_PNS13_IS18_E10value_typeET4_jRbjT5_S1E_jjP12ihipStream_tbEUljE_ZNSN_ISO_Lb1ESQ_SR_ST_SU_SY_EESZ_S10_S11_S12_S16_S17_S18_S1B_S1C_jS1D_jS1E_S1E_jjS1G_bEUljE0_EEESZ_S10_S11_S18_S1C_S1E_T6_T7_T9_mT8_S1G_bDpT10_ENKUlT_T0_E_clISt17integral_constantIbLb1EES1U_EEDaS1P_S1Q_EUlS1P_E_NS1_11comp_targetILNS1_3genE4ELNS1_11target_archE910ELNS1_3gpuE8ELNS1_3repE0EEENS1_30default_config_static_selectorELNS0_4arch9wavefront6targetE1EEEvS12_.kd
    .uniform_work_group_size: 1
    .uses_dynamic_stack: false
    .vgpr_count:     0
    .vgpr_spill_count: 0
    .wavefront_size: 64
  - .args:
      - .offset:         0
        .size:           184
        .value_kind:     by_value
    .group_segment_fixed_size: 0
    .kernarg_segment_align: 8
    .kernarg_segment_size: 184
    .language:       OpenCL C
    .language_version:
      - 2
      - 0
    .max_flat_workgroup_size: 256
    .name:           _ZN7rocprim17ROCPRIM_400000_NS6detail17trampoline_kernelINS0_13select_configILj256ELj13ELNS0_17block_load_methodE3ELS4_3ELS4_3ELNS0_20block_scan_algorithmE0ELj4294967295EEENS1_25partition_config_selectorILNS1_17partition_subalgoE4EjNS0_10empty_typeEbEEZZNS1_14partition_implILS8_4ELb0ES6_15HIP_vector_typeIjLj2EENS0_17counting_iteratorIjlEEPS9_SG_NS0_5tupleIJPjSI_NS0_16reverse_iteratorISI_EEEEENSH_IJSG_SG_SG_EEES9_SI_JZNS1_25segmented_radix_sort_implINS0_14default_configELb1EPKsPsPKlPlN2at6native12_GLOBAL__N_18offset_tEEE10hipError_tPvRmT1_PNSt15iterator_traitsIS12_E10value_typeET2_T3_PNS13_IS18_E10value_typeET4_jRbjT5_S1E_jjP12ihipStream_tbEUljE_ZNSN_ISO_Lb1ESQ_SR_ST_SU_SY_EESZ_S10_S11_S12_S16_S17_S18_S1B_S1C_jS1D_jS1E_S1E_jjS1G_bEUljE0_EEESZ_S10_S11_S18_S1C_S1E_T6_T7_T9_mT8_S1G_bDpT10_ENKUlT_T0_E_clISt17integral_constantIbLb1EES1U_EEDaS1P_S1Q_EUlS1P_E_NS1_11comp_targetILNS1_3genE3ELNS1_11target_archE908ELNS1_3gpuE7ELNS1_3repE0EEENS1_30default_config_static_selectorELNS0_4arch9wavefront6targetE1EEEvS12_
    .private_segment_fixed_size: 0
    .sgpr_count:     4
    .sgpr_spill_count: 0
    .symbol:         _ZN7rocprim17ROCPRIM_400000_NS6detail17trampoline_kernelINS0_13select_configILj256ELj13ELNS0_17block_load_methodE3ELS4_3ELS4_3ELNS0_20block_scan_algorithmE0ELj4294967295EEENS1_25partition_config_selectorILNS1_17partition_subalgoE4EjNS0_10empty_typeEbEEZZNS1_14partition_implILS8_4ELb0ES6_15HIP_vector_typeIjLj2EENS0_17counting_iteratorIjlEEPS9_SG_NS0_5tupleIJPjSI_NS0_16reverse_iteratorISI_EEEEENSH_IJSG_SG_SG_EEES9_SI_JZNS1_25segmented_radix_sort_implINS0_14default_configELb1EPKsPsPKlPlN2at6native12_GLOBAL__N_18offset_tEEE10hipError_tPvRmT1_PNSt15iterator_traitsIS12_E10value_typeET2_T3_PNS13_IS18_E10value_typeET4_jRbjT5_S1E_jjP12ihipStream_tbEUljE_ZNSN_ISO_Lb1ESQ_SR_ST_SU_SY_EESZ_S10_S11_S12_S16_S17_S18_S1B_S1C_jS1D_jS1E_S1E_jjS1G_bEUljE0_EEESZ_S10_S11_S18_S1C_S1E_T6_T7_T9_mT8_S1G_bDpT10_ENKUlT_T0_E_clISt17integral_constantIbLb1EES1U_EEDaS1P_S1Q_EUlS1P_E_NS1_11comp_targetILNS1_3genE3ELNS1_11target_archE908ELNS1_3gpuE7ELNS1_3repE0EEENS1_30default_config_static_selectorELNS0_4arch9wavefront6targetE1EEEvS12_.kd
    .uniform_work_group_size: 1
    .uses_dynamic_stack: false
    .vgpr_count:     0
    .vgpr_spill_count: 0
    .wavefront_size: 64
  - .args:
      - .offset:         0
        .size:           184
        .value_kind:     by_value
    .group_segment_fixed_size: 0
    .kernarg_segment_align: 8
    .kernarg_segment_size: 184
    .language:       OpenCL C
    .language_version:
      - 2
      - 0
    .max_flat_workgroup_size: 256
    .name:           _ZN7rocprim17ROCPRIM_400000_NS6detail17trampoline_kernelINS0_13select_configILj256ELj13ELNS0_17block_load_methodE3ELS4_3ELS4_3ELNS0_20block_scan_algorithmE0ELj4294967295EEENS1_25partition_config_selectorILNS1_17partition_subalgoE4EjNS0_10empty_typeEbEEZZNS1_14partition_implILS8_4ELb0ES6_15HIP_vector_typeIjLj2EENS0_17counting_iteratorIjlEEPS9_SG_NS0_5tupleIJPjSI_NS0_16reverse_iteratorISI_EEEEENSH_IJSG_SG_SG_EEES9_SI_JZNS1_25segmented_radix_sort_implINS0_14default_configELb1EPKsPsPKlPlN2at6native12_GLOBAL__N_18offset_tEEE10hipError_tPvRmT1_PNSt15iterator_traitsIS12_E10value_typeET2_T3_PNS13_IS18_E10value_typeET4_jRbjT5_S1E_jjP12ihipStream_tbEUljE_ZNSN_ISO_Lb1ESQ_SR_ST_SU_SY_EESZ_S10_S11_S12_S16_S17_S18_S1B_S1C_jS1D_jS1E_S1E_jjS1G_bEUljE0_EEESZ_S10_S11_S18_S1C_S1E_T6_T7_T9_mT8_S1G_bDpT10_ENKUlT_T0_E_clISt17integral_constantIbLb1EES1U_EEDaS1P_S1Q_EUlS1P_E_NS1_11comp_targetILNS1_3genE2ELNS1_11target_archE906ELNS1_3gpuE6ELNS1_3repE0EEENS1_30default_config_static_selectorELNS0_4arch9wavefront6targetE1EEEvS12_
    .private_segment_fixed_size: 0
    .sgpr_count:     4
    .sgpr_spill_count: 0
    .symbol:         _ZN7rocprim17ROCPRIM_400000_NS6detail17trampoline_kernelINS0_13select_configILj256ELj13ELNS0_17block_load_methodE3ELS4_3ELS4_3ELNS0_20block_scan_algorithmE0ELj4294967295EEENS1_25partition_config_selectorILNS1_17partition_subalgoE4EjNS0_10empty_typeEbEEZZNS1_14partition_implILS8_4ELb0ES6_15HIP_vector_typeIjLj2EENS0_17counting_iteratorIjlEEPS9_SG_NS0_5tupleIJPjSI_NS0_16reverse_iteratorISI_EEEEENSH_IJSG_SG_SG_EEES9_SI_JZNS1_25segmented_radix_sort_implINS0_14default_configELb1EPKsPsPKlPlN2at6native12_GLOBAL__N_18offset_tEEE10hipError_tPvRmT1_PNSt15iterator_traitsIS12_E10value_typeET2_T3_PNS13_IS18_E10value_typeET4_jRbjT5_S1E_jjP12ihipStream_tbEUljE_ZNSN_ISO_Lb1ESQ_SR_ST_SU_SY_EESZ_S10_S11_S12_S16_S17_S18_S1B_S1C_jS1D_jS1E_S1E_jjS1G_bEUljE0_EEESZ_S10_S11_S18_S1C_S1E_T6_T7_T9_mT8_S1G_bDpT10_ENKUlT_T0_E_clISt17integral_constantIbLb1EES1U_EEDaS1P_S1Q_EUlS1P_E_NS1_11comp_targetILNS1_3genE2ELNS1_11target_archE906ELNS1_3gpuE6ELNS1_3repE0EEENS1_30default_config_static_selectorELNS0_4arch9wavefront6targetE1EEEvS12_.kd
    .uniform_work_group_size: 1
    .uses_dynamic_stack: false
    .vgpr_count:     0
    .vgpr_spill_count: 0
    .wavefront_size: 64
  - .args:
      - .offset:         0
        .size:           184
        .value_kind:     by_value
    .group_segment_fixed_size: 0
    .kernarg_segment_align: 8
    .kernarg_segment_size: 184
    .language:       OpenCL C
    .language_version:
      - 2
      - 0
    .max_flat_workgroup_size: 256
    .name:           _ZN7rocprim17ROCPRIM_400000_NS6detail17trampoline_kernelINS0_13select_configILj256ELj13ELNS0_17block_load_methodE3ELS4_3ELS4_3ELNS0_20block_scan_algorithmE0ELj4294967295EEENS1_25partition_config_selectorILNS1_17partition_subalgoE4EjNS0_10empty_typeEbEEZZNS1_14partition_implILS8_4ELb0ES6_15HIP_vector_typeIjLj2EENS0_17counting_iteratorIjlEEPS9_SG_NS0_5tupleIJPjSI_NS0_16reverse_iteratorISI_EEEEENSH_IJSG_SG_SG_EEES9_SI_JZNS1_25segmented_radix_sort_implINS0_14default_configELb1EPKsPsPKlPlN2at6native12_GLOBAL__N_18offset_tEEE10hipError_tPvRmT1_PNSt15iterator_traitsIS12_E10value_typeET2_T3_PNS13_IS18_E10value_typeET4_jRbjT5_S1E_jjP12ihipStream_tbEUljE_ZNSN_ISO_Lb1ESQ_SR_ST_SU_SY_EESZ_S10_S11_S12_S16_S17_S18_S1B_S1C_jS1D_jS1E_S1E_jjS1G_bEUljE0_EEESZ_S10_S11_S18_S1C_S1E_T6_T7_T9_mT8_S1G_bDpT10_ENKUlT_T0_E_clISt17integral_constantIbLb1EES1U_EEDaS1P_S1Q_EUlS1P_E_NS1_11comp_targetILNS1_3genE10ELNS1_11target_archE1200ELNS1_3gpuE4ELNS1_3repE0EEENS1_30default_config_static_selectorELNS0_4arch9wavefront6targetE1EEEvS12_
    .private_segment_fixed_size: 0
    .sgpr_count:     4
    .sgpr_spill_count: 0
    .symbol:         _ZN7rocprim17ROCPRIM_400000_NS6detail17trampoline_kernelINS0_13select_configILj256ELj13ELNS0_17block_load_methodE3ELS4_3ELS4_3ELNS0_20block_scan_algorithmE0ELj4294967295EEENS1_25partition_config_selectorILNS1_17partition_subalgoE4EjNS0_10empty_typeEbEEZZNS1_14partition_implILS8_4ELb0ES6_15HIP_vector_typeIjLj2EENS0_17counting_iteratorIjlEEPS9_SG_NS0_5tupleIJPjSI_NS0_16reverse_iteratorISI_EEEEENSH_IJSG_SG_SG_EEES9_SI_JZNS1_25segmented_radix_sort_implINS0_14default_configELb1EPKsPsPKlPlN2at6native12_GLOBAL__N_18offset_tEEE10hipError_tPvRmT1_PNSt15iterator_traitsIS12_E10value_typeET2_T3_PNS13_IS18_E10value_typeET4_jRbjT5_S1E_jjP12ihipStream_tbEUljE_ZNSN_ISO_Lb1ESQ_SR_ST_SU_SY_EESZ_S10_S11_S12_S16_S17_S18_S1B_S1C_jS1D_jS1E_S1E_jjS1G_bEUljE0_EEESZ_S10_S11_S18_S1C_S1E_T6_T7_T9_mT8_S1G_bDpT10_ENKUlT_T0_E_clISt17integral_constantIbLb1EES1U_EEDaS1P_S1Q_EUlS1P_E_NS1_11comp_targetILNS1_3genE10ELNS1_11target_archE1200ELNS1_3gpuE4ELNS1_3repE0EEENS1_30default_config_static_selectorELNS0_4arch9wavefront6targetE1EEEvS12_.kd
    .uniform_work_group_size: 1
    .uses_dynamic_stack: false
    .vgpr_count:     0
    .vgpr_spill_count: 0
    .wavefront_size: 64
  - .args:
      - .offset:         0
        .size:           184
        .value_kind:     by_value
    .group_segment_fixed_size: 0
    .kernarg_segment_align: 8
    .kernarg_segment_size: 184
    .language:       OpenCL C
    .language_version:
      - 2
      - 0
    .max_flat_workgroup_size: 256
    .name:           _ZN7rocprim17ROCPRIM_400000_NS6detail17trampoline_kernelINS0_13select_configILj256ELj13ELNS0_17block_load_methodE3ELS4_3ELS4_3ELNS0_20block_scan_algorithmE0ELj4294967295EEENS1_25partition_config_selectorILNS1_17partition_subalgoE4EjNS0_10empty_typeEbEEZZNS1_14partition_implILS8_4ELb0ES6_15HIP_vector_typeIjLj2EENS0_17counting_iteratorIjlEEPS9_SG_NS0_5tupleIJPjSI_NS0_16reverse_iteratorISI_EEEEENSH_IJSG_SG_SG_EEES9_SI_JZNS1_25segmented_radix_sort_implINS0_14default_configELb1EPKsPsPKlPlN2at6native12_GLOBAL__N_18offset_tEEE10hipError_tPvRmT1_PNSt15iterator_traitsIS12_E10value_typeET2_T3_PNS13_IS18_E10value_typeET4_jRbjT5_S1E_jjP12ihipStream_tbEUljE_ZNSN_ISO_Lb1ESQ_SR_ST_SU_SY_EESZ_S10_S11_S12_S16_S17_S18_S1B_S1C_jS1D_jS1E_S1E_jjS1G_bEUljE0_EEESZ_S10_S11_S18_S1C_S1E_T6_T7_T9_mT8_S1G_bDpT10_ENKUlT_T0_E_clISt17integral_constantIbLb1EES1U_EEDaS1P_S1Q_EUlS1P_E_NS1_11comp_targetILNS1_3genE9ELNS1_11target_archE1100ELNS1_3gpuE3ELNS1_3repE0EEENS1_30default_config_static_selectorELNS0_4arch9wavefront6targetE1EEEvS12_
    .private_segment_fixed_size: 0
    .sgpr_count:     4
    .sgpr_spill_count: 0
    .symbol:         _ZN7rocprim17ROCPRIM_400000_NS6detail17trampoline_kernelINS0_13select_configILj256ELj13ELNS0_17block_load_methodE3ELS4_3ELS4_3ELNS0_20block_scan_algorithmE0ELj4294967295EEENS1_25partition_config_selectorILNS1_17partition_subalgoE4EjNS0_10empty_typeEbEEZZNS1_14partition_implILS8_4ELb0ES6_15HIP_vector_typeIjLj2EENS0_17counting_iteratorIjlEEPS9_SG_NS0_5tupleIJPjSI_NS0_16reverse_iteratorISI_EEEEENSH_IJSG_SG_SG_EEES9_SI_JZNS1_25segmented_radix_sort_implINS0_14default_configELb1EPKsPsPKlPlN2at6native12_GLOBAL__N_18offset_tEEE10hipError_tPvRmT1_PNSt15iterator_traitsIS12_E10value_typeET2_T3_PNS13_IS18_E10value_typeET4_jRbjT5_S1E_jjP12ihipStream_tbEUljE_ZNSN_ISO_Lb1ESQ_SR_ST_SU_SY_EESZ_S10_S11_S12_S16_S17_S18_S1B_S1C_jS1D_jS1E_S1E_jjS1G_bEUljE0_EEESZ_S10_S11_S18_S1C_S1E_T6_T7_T9_mT8_S1G_bDpT10_ENKUlT_T0_E_clISt17integral_constantIbLb1EES1U_EEDaS1P_S1Q_EUlS1P_E_NS1_11comp_targetILNS1_3genE9ELNS1_11target_archE1100ELNS1_3gpuE3ELNS1_3repE0EEENS1_30default_config_static_selectorELNS0_4arch9wavefront6targetE1EEEvS12_.kd
    .uniform_work_group_size: 1
    .uses_dynamic_stack: false
    .vgpr_count:     0
    .vgpr_spill_count: 0
    .wavefront_size: 64
  - .args:
      - .offset:         0
        .size:           184
        .value_kind:     by_value
    .group_segment_fixed_size: 0
    .kernarg_segment_align: 8
    .kernarg_segment_size: 184
    .language:       OpenCL C
    .language_version:
      - 2
      - 0
    .max_flat_workgroup_size: 256
    .name:           _ZN7rocprim17ROCPRIM_400000_NS6detail17trampoline_kernelINS0_13select_configILj256ELj13ELNS0_17block_load_methodE3ELS4_3ELS4_3ELNS0_20block_scan_algorithmE0ELj4294967295EEENS1_25partition_config_selectorILNS1_17partition_subalgoE4EjNS0_10empty_typeEbEEZZNS1_14partition_implILS8_4ELb0ES6_15HIP_vector_typeIjLj2EENS0_17counting_iteratorIjlEEPS9_SG_NS0_5tupleIJPjSI_NS0_16reverse_iteratorISI_EEEEENSH_IJSG_SG_SG_EEES9_SI_JZNS1_25segmented_radix_sort_implINS0_14default_configELb1EPKsPsPKlPlN2at6native12_GLOBAL__N_18offset_tEEE10hipError_tPvRmT1_PNSt15iterator_traitsIS12_E10value_typeET2_T3_PNS13_IS18_E10value_typeET4_jRbjT5_S1E_jjP12ihipStream_tbEUljE_ZNSN_ISO_Lb1ESQ_SR_ST_SU_SY_EESZ_S10_S11_S12_S16_S17_S18_S1B_S1C_jS1D_jS1E_S1E_jjS1G_bEUljE0_EEESZ_S10_S11_S18_S1C_S1E_T6_T7_T9_mT8_S1G_bDpT10_ENKUlT_T0_E_clISt17integral_constantIbLb1EES1U_EEDaS1P_S1Q_EUlS1P_E_NS1_11comp_targetILNS1_3genE8ELNS1_11target_archE1030ELNS1_3gpuE2ELNS1_3repE0EEENS1_30default_config_static_selectorELNS0_4arch9wavefront6targetE1EEEvS12_
    .private_segment_fixed_size: 0
    .sgpr_count:     4
    .sgpr_spill_count: 0
    .symbol:         _ZN7rocprim17ROCPRIM_400000_NS6detail17trampoline_kernelINS0_13select_configILj256ELj13ELNS0_17block_load_methodE3ELS4_3ELS4_3ELNS0_20block_scan_algorithmE0ELj4294967295EEENS1_25partition_config_selectorILNS1_17partition_subalgoE4EjNS0_10empty_typeEbEEZZNS1_14partition_implILS8_4ELb0ES6_15HIP_vector_typeIjLj2EENS0_17counting_iteratorIjlEEPS9_SG_NS0_5tupleIJPjSI_NS0_16reverse_iteratorISI_EEEEENSH_IJSG_SG_SG_EEES9_SI_JZNS1_25segmented_radix_sort_implINS0_14default_configELb1EPKsPsPKlPlN2at6native12_GLOBAL__N_18offset_tEEE10hipError_tPvRmT1_PNSt15iterator_traitsIS12_E10value_typeET2_T3_PNS13_IS18_E10value_typeET4_jRbjT5_S1E_jjP12ihipStream_tbEUljE_ZNSN_ISO_Lb1ESQ_SR_ST_SU_SY_EESZ_S10_S11_S12_S16_S17_S18_S1B_S1C_jS1D_jS1E_S1E_jjS1G_bEUljE0_EEESZ_S10_S11_S18_S1C_S1E_T6_T7_T9_mT8_S1G_bDpT10_ENKUlT_T0_E_clISt17integral_constantIbLb1EES1U_EEDaS1P_S1Q_EUlS1P_E_NS1_11comp_targetILNS1_3genE8ELNS1_11target_archE1030ELNS1_3gpuE2ELNS1_3repE0EEENS1_30default_config_static_selectorELNS0_4arch9wavefront6targetE1EEEvS12_.kd
    .uniform_work_group_size: 1
    .uses_dynamic_stack: false
    .vgpr_count:     0
    .vgpr_spill_count: 0
    .wavefront_size: 64
  - .args:
      - .offset:         0
        .size:           176
        .value_kind:     by_value
    .group_segment_fixed_size: 0
    .kernarg_segment_align: 8
    .kernarg_segment_size: 176
    .language:       OpenCL C
    .language_version:
      - 2
      - 0
    .max_flat_workgroup_size: 256
    .name:           _ZN7rocprim17ROCPRIM_400000_NS6detail17trampoline_kernelINS0_13select_configILj256ELj13ELNS0_17block_load_methodE3ELS4_3ELS4_3ELNS0_20block_scan_algorithmE0ELj4294967295EEENS1_25partition_config_selectorILNS1_17partition_subalgoE4EjNS0_10empty_typeEbEEZZNS1_14partition_implILS8_4ELb0ES6_15HIP_vector_typeIjLj2EENS0_17counting_iteratorIjlEEPS9_SG_NS0_5tupleIJPjSI_NS0_16reverse_iteratorISI_EEEEENSH_IJSG_SG_SG_EEES9_SI_JZNS1_25segmented_radix_sort_implINS0_14default_configELb1EPKsPsPKlPlN2at6native12_GLOBAL__N_18offset_tEEE10hipError_tPvRmT1_PNSt15iterator_traitsIS12_E10value_typeET2_T3_PNS13_IS18_E10value_typeET4_jRbjT5_S1E_jjP12ihipStream_tbEUljE_ZNSN_ISO_Lb1ESQ_SR_ST_SU_SY_EESZ_S10_S11_S12_S16_S17_S18_S1B_S1C_jS1D_jS1E_S1E_jjS1G_bEUljE0_EEESZ_S10_S11_S18_S1C_S1E_T6_T7_T9_mT8_S1G_bDpT10_ENKUlT_T0_E_clISt17integral_constantIbLb1EES1T_IbLb0EEEEDaS1P_S1Q_EUlS1P_E_NS1_11comp_targetILNS1_3genE0ELNS1_11target_archE4294967295ELNS1_3gpuE0ELNS1_3repE0EEENS1_30default_config_static_selectorELNS0_4arch9wavefront6targetE1EEEvS12_
    .private_segment_fixed_size: 0
    .sgpr_count:     4
    .sgpr_spill_count: 0
    .symbol:         _ZN7rocprim17ROCPRIM_400000_NS6detail17trampoline_kernelINS0_13select_configILj256ELj13ELNS0_17block_load_methodE3ELS4_3ELS4_3ELNS0_20block_scan_algorithmE0ELj4294967295EEENS1_25partition_config_selectorILNS1_17partition_subalgoE4EjNS0_10empty_typeEbEEZZNS1_14partition_implILS8_4ELb0ES6_15HIP_vector_typeIjLj2EENS0_17counting_iteratorIjlEEPS9_SG_NS0_5tupleIJPjSI_NS0_16reverse_iteratorISI_EEEEENSH_IJSG_SG_SG_EEES9_SI_JZNS1_25segmented_radix_sort_implINS0_14default_configELb1EPKsPsPKlPlN2at6native12_GLOBAL__N_18offset_tEEE10hipError_tPvRmT1_PNSt15iterator_traitsIS12_E10value_typeET2_T3_PNS13_IS18_E10value_typeET4_jRbjT5_S1E_jjP12ihipStream_tbEUljE_ZNSN_ISO_Lb1ESQ_SR_ST_SU_SY_EESZ_S10_S11_S12_S16_S17_S18_S1B_S1C_jS1D_jS1E_S1E_jjS1G_bEUljE0_EEESZ_S10_S11_S18_S1C_S1E_T6_T7_T9_mT8_S1G_bDpT10_ENKUlT_T0_E_clISt17integral_constantIbLb1EES1T_IbLb0EEEEDaS1P_S1Q_EUlS1P_E_NS1_11comp_targetILNS1_3genE0ELNS1_11target_archE4294967295ELNS1_3gpuE0ELNS1_3repE0EEENS1_30default_config_static_selectorELNS0_4arch9wavefront6targetE1EEEvS12_.kd
    .uniform_work_group_size: 1
    .uses_dynamic_stack: false
    .vgpr_count:     0
    .vgpr_spill_count: 0
    .wavefront_size: 64
  - .args:
      - .offset:         0
        .size:           176
        .value_kind:     by_value
    .group_segment_fixed_size: 0
    .kernarg_segment_align: 8
    .kernarg_segment_size: 176
    .language:       OpenCL C
    .language_version:
      - 2
      - 0
    .max_flat_workgroup_size: 256
    .name:           _ZN7rocprim17ROCPRIM_400000_NS6detail17trampoline_kernelINS0_13select_configILj256ELj13ELNS0_17block_load_methodE3ELS4_3ELS4_3ELNS0_20block_scan_algorithmE0ELj4294967295EEENS1_25partition_config_selectorILNS1_17partition_subalgoE4EjNS0_10empty_typeEbEEZZNS1_14partition_implILS8_4ELb0ES6_15HIP_vector_typeIjLj2EENS0_17counting_iteratorIjlEEPS9_SG_NS0_5tupleIJPjSI_NS0_16reverse_iteratorISI_EEEEENSH_IJSG_SG_SG_EEES9_SI_JZNS1_25segmented_radix_sort_implINS0_14default_configELb1EPKsPsPKlPlN2at6native12_GLOBAL__N_18offset_tEEE10hipError_tPvRmT1_PNSt15iterator_traitsIS12_E10value_typeET2_T3_PNS13_IS18_E10value_typeET4_jRbjT5_S1E_jjP12ihipStream_tbEUljE_ZNSN_ISO_Lb1ESQ_SR_ST_SU_SY_EESZ_S10_S11_S12_S16_S17_S18_S1B_S1C_jS1D_jS1E_S1E_jjS1G_bEUljE0_EEESZ_S10_S11_S18_S1C_S1E_T6_T7_T9_mT8_S1G_bDpT10_ENKUlT_T0_E_clISt17integral_constantIbLb1EES1T_IbLb0EEEEDaS1P_S1Q_EUlS1P_E_NS1_11comp_targetILNS1_3genE5ELNS1_11target_archE942ELNS1_3gpuE9ELNS1_3repE0EEENS1_30default_config_static_selectorELNS0_4arch9wavefront6targetE1EEEvS12_
    .private_segment_fixed_size: 0
    .sgpr_count:     4
    .sgpr_spill_count: 0
    .symbol:         _ZN7rocprim17ROCPRIM_400000_NS6detail17trampoline_kernelINS0_13select_configILj256ELj13ELNS0_17block_load_methodE3ELS4_3ELS4_3ELNS0_20block_scan_algorithmE0ELj4294967295EEENS1_25partition_config_selectorILNS1_17partition_subalgoE4EjNS0_10empty_typeEbEEZZNS1_14partition_implILS8_4ELb0ES6_15HIP_vector_typeIjLj2EENS0_17counting_iteratorIjlEEPS9_SG_NS0_5tupleIJPjSI_NS0_16reverse_iteratorISI_EEEEENSH_IJSG_SG_SG_EEES9_SI_JZNS1_25segmented_radix_sort_implINS0_14default_configELb1EPKsPsPKlPlN2at6native12_GLOBAL__N_18offset_tEEE10hipError_tPvRmT1_PNSt15iterator_traitsIS12_E10value_typeET2_T3_PNS13_IS18_E10value_typeET4_jRbjT5_S1E_jjP12ihipStream_tbEUljE_ZNSN_ISO_Lb1ESQ_SR_ST_SU_SY_EESZ_S10_S11_S12_S16_S17_S18_S1B_S1C_jS1D_jS1E_S1E_jjS1G_bEUljE0_EEESZ_S10_S11_S18_S1C_S1E_T6_T7_T9_mT8_S1G_bDpT10_ENKUlT_T0_E_clISt17integral_constantIbLb1EES1T_IbLb0EEEEDaS1P_S1Q_EUlS1P_E_NS1_11comp_targetILNS1_3genE5ELNS1_11target_archE942ELNS1_3gpuE9ELNS1_3repE0EEENS1_30default_config_static_selectorELNS0_4arch9wavefront6targetE1EEEvS12_.kd
    .uniform_work_group_size: 1
    .uses_dynamic_stack: false
    .vgpr_count:     0
    .vgpr_spill_count: 0
    .wavefront_size: 64
  - .args:
      - .offset:         0
        .size:           176
        .value_kind:     by_value
    .group_segment_fixed_size: 0
    .kernarg_segment_align: 8
    .kernarg_segment_size: 176
    .language:       OpenCL C
    .language_version:
      - 2
      - 0
    .max_flat_workgroup_size: 256
    .name:           _ZN7rocprim17ROCPRIM_400000_NS6detail17trampoline_kernelINS0_13select_configILj256ELj13ELNS0_17block_load_methodE3ELS4_3ELS4_3ELNS0_20block_scan_algorithmE0ELj4294967295EEENS1_25partition_config_selectorILNS1_17partition_subalgoE4EjNS0_10empty_typeEbEEZZNS1_14partition_implILS8_4ELb0ES6_15HIP_vector_typeIjLj2EENS0_17counting_iteratorIjlEEPS9_SG_NS0_5tupleIJPjSI_NS0_16reverse_iteratorISI_EEEEENSH_IJSG_SG_SG_EEES9_SI_JZNS1_25segmented_radix_sort_implINS0_14default_configELb1EPKsPsPKlPlN2at6native12_GLOBAL__N_18offset_tEEE10hipError_tPvRmT1_PNSt15iterator_traitsIS12_E10value_typeET2_T3_PNS13_IS18_E10value_typeET4_jRbjT5_S1E_jjP12ihipStream_tbEUljE_ZNSN_ISO_Lb1ESQ_SR_ST_SU_SY_EESZ_S10_S11_S12_S16_S17_S18_S1B_S1C_jS1D_jS1E_S1E_jjS1G_bEUljE0_EEESZ_S10_S11_S18_S1C_S1E_T6_T7_T9_mT8_S1G_bDpT10_ENKUlT_T0_E_clISt17integral_constantIbLb1EES1T_IbLb0EEEEDaS1P_S1Q_EUlS1P_E_NS1_11comp_targetILNS1_3genE4ELNS1_11target_archE910ELNS1_3gpuE8ELNS1_3repE0EEENS1_30default_config_static_selectorELNS0_4arch9wavefront6targetE1EEEvS12_
    .private_segment_fixed_size: 0
    .sgpr_count:     4
    .sgpr_spill_count: 0
    .symbol:         _ZN7rocprim17ROCPRIM_400000_NS6detail17trampoline_kernelINS0_13select_configILj256ELj13ELNS0_17block_load_methodE3ELS4_3ELS4_3ELNS0_20block_scan_algorithmE0ELj4294967295EEENS1_25partition_config_selectorILNS1_17partition_subalgoE4EjNS0_10empty_typeEbEEZZNS1_14partition_implILS8_4ELb0ES6_15HIP_vector_typeIjLj2EENS0_17counting_iteratorIjlEEPS9_SG_NS0_5tupleIJPjSI_NS0_16reverse_iteratorISI_EEEEENSH_IJSG_SG_SG_EEES9_SI_JZNS1_25segmented_radix_sort_implINS0_14default_configELb1EPKsPsPKlPlN2at6native12_GLOBAL__N_18offset_tEEE10hipError_tPvRmT1_PNSt15iterator_traitsIS12_E10value_typeET2_T3_PNS13_IS18_E10value_typeET4_jRbjT5_S1E_jjP12ihipStream_tbEUljE_ZNSN_ISO_Lb1ESQ_SR_ST_SU_SY_EESZ_S10_S11_S12_S16_S17_S18_S1B_S1C_jS1D_jS1E_S1E_jjS1G_bEUljE0_EEESZ_S10_S11_S18_S1C_S1E_T6_T7_T9_mT8_S1G_bDpT10_ENKUlT_T0_E_clISt17integral_constantIbLb1EES1T_IbLb0EEEEDaS1P_S1Q_EUlS1P_E_NS1_11comp_targetILNS1_3genE4ELNS1_11target_archE910ELNS1_3gpuE8ELNS1_3repE0EEENS1_30default_config_static_selectorELNS0_4arch9wavefront6targetE1EEEvS12_.kd
    .uniform_work_group_size: 1
    .uses_dynamic_stack: false
    .vgpr_count:     0
    .vgpr_spill_count: 0
    .wavefront_size: 64
  - .args:
      - .offset:         0
        .size:           176
        .value_kind:     by_value
    .group_segment_fixed_size: 0
    .kernarg_segment_align: 8
    .kernarg_segment_size: 176
    .language:       OpenCL C
    .language_version:
      - 2
      - 0
    .max_flat_workgroup_size: 256
    .name:           _ZN7rocprim17ROCPRIM_400000_NS6detail17trampoline_kernelINS0_13select_configILj256ELj13ELNS0_17block_load_methodE3ELS4_3ELS4_3ELNS0_20block_scan_algorithmE0ELj4294967295EEENS1_25partition_config_selectorILNS1_17partition_subalgoE4EjNS0_10empty_typeEbEEZZNS1_14partition_implILS8_4ELb0ES6_15HIP_vector_typeIjLj2EENS0_17counting_iteratorIjlEEPS9_SG_NS0_5tupleIJPjSI_NS0_16reverse_iteratorISI_EEEEENSH_IJSG_SG_SG_EEES9_SI_JZNS1_25segmented_radix_sort_implINS0_14default_configELb1EPKsPsPKlPlN2at6native12_GLOBAL__N_18offset_tEEE10hipError_tPvRmT1_PNSt15iterator_traitsIS12_E10value_typeET2_T3_PNS13_IS18_E10value_typeET4_jRbjT5_S1E_jjP12ihipStream_tbEUljE_ZNSN_ISO_Lb1ESQ_SR_ST_SU_SY_EESZ_S10_S11_S12_S16_S17_S18_S1B_S1C_jS1D_jS1E_S1E_jjS1G_bEUljE0_EEESZ_S10_S11_S18_S1C_S1E_T6_T7_T9_mT8_S1G_bDpT10_ENKUlT_T0_E_clISt17integral_constantIbLb1EES1T_IbLb0EEEEDaS1P_S1Q_EUlS1P_E_NS1_11comp_targetILNS1_3genE3ELNS1_11target_archE908ELNS1_3gpuE7ELNS1_3repE0EEENS1_30default_config_static_selectorELNS0_4arch9wavefront6targetE1EEEvS12_
    .private_segment_fixed_size: 0
    .sgpr_count:     4
    .sgpr_spill_count: 0
    .symbol:         _ZN7rocprim17ROCPRIM_400000_NS6detail17trampoline_kernelINS0_13select_configILj256ELj13ELNS0_17block_load_methodE3ELS4_3ELS4_3ELNS0_20block_scan_algorithmE0ELj4294967295EEENS1_25partition_config_selectorILNS1_17partition_subalgoE4EjNS0_10empty_typeEbEEZZNS1_14partition_implILS8_4ELb0ES6_15HIP_vector_typeIjLj2EENS0_17counting_iteratorIjlEEPS9_SG_NS0_5tupleIJPjSI_NS0_16reverse_iteratorISI_EEEEENSH_IJSG_SG_SG_EEES9_SI_JZNS1_25segmented_radix_sort_implINS0_14default_configELb1EPKsPsPKlPlN2at6native12_GLOBAL__N_18offset_tEEE10hipError_tPvRmT1_PNSt15iterator_traitsIS12_E10value_typeET2_T3_PNS13_IS18_E10value_typeET4_jRbjT5_S1E_jjP12ihipStream_tbEUljE_ZNSN_ISO_Lb1ESQ_SR_ST_SU_SY_EESZ_S10_S11_S12_S16_S17_S18_S1B_S1C_jS1D_jS1E_S1E_jjS1G_bEUljE0_EEESZ_S10_S11_S18_S1C_S1E_T6_T7_T9_mT8_S1G_bDpT10_ENKUlT_T0_E_clISt17integral_constantIbLb1EES1T_IbLb0EEEEDaS1P_S1Q_EUlS1P_E_NS1_11comp_targetILNS1_3genE3ELNS1_11target_archE908ELNS1_3gpuE7ELNS1_3repE0EEENS1_30default_config_static_selectorELNS0_4arch9wavefront6targetE1EEEvS12_.kd
    .uniform_work_group_size: 1
    .uses_dynamic_stack: false
    .vgpr_count:     0
    .vgpr_spill_count: 0
    .wavefront_size: 64
  - .args:
      - .offset:         0
        .size:           176
        .value_kind:     by_value
    .group_segment_fixed_size: 0
    .kernarg_segment_align: 8
    .kernarg_segment_size: 176
    .language:       OpenCL C
    .language_version:
      - 2
      - 0
    .max_flat_workgroup_size: 256
    .name:           _ZN7rocprim17ROCPRIM_400000_NS6detail17trampoline_kernelINS0_13select_configILj256ELj13ELNS0_17block_load_methodE3ELS4_3ELS4_3ELNS0_20block_scan_algorithmE0ELj4294967295EEENS1_25partition_config_selectorILNS1_17partition_subalgoE4EjNS0_10empty_typeEbEEZZNS1_14partition_implILS8_4ELb0ES6_15HIP_vector_typeIjLj2EENS0_17counting_iteratorIjlEEPS9_SG_NS0_5tupleIJPjSI_NS0_16reverse_iteratorISI_EEEEENSH_IJSG_SG_SG_EEES9_SI_JZNS1_25segmented_radix_sort_implINS0_14default_configELb1EPKsPsPKlPlN2at6native12_GLOBAL__N_18offset_tEEE10hipError_tPvRmT1_PNSt15iterator_traitsIS12_E10value_typeET2_T3_PNS13_IS18_E10value_typeET4_jRbjT5_S1E_jjP12ihipStream_tbEUljE_ZNSN_ISO_Lb1ESQ_SR_ST_SU_SY_EESZ_S10_S11_S12_S16_S17_S18_S1B_S1C_jS1D_jS1E_S1E_jjS1G_bEUljE0_EEESZ_S10_S11_S18_S1C_S1E_T6_T7_T9_mT8_S1G_bDpT10_ENKUlT_T0_E_clISt17integral_constantIbLb1EES1T_IbLb0EEEEDaS1P_S1Q_EUlS1P_E_NS1_11comp_targetILNS1_3genE2ELNS1_11target_archE906ELNS1_3gpuE6ELNS1_3repE0EEENS1_30default_config_static_selectorELNS0_4arch9wavefront6targetE1EEEvS12_
    .private_segment_fixed_size: 0
    .sgpr_count:     4
    .sgpr_spill_count: 0
    .symbol:         _ZN7rocprim17ROCPRIM_400000_NS6detail17trampoline_kernelINS0_13select_configILj256ELj13ELNS0_17block_load_methodE3ELS4_3ELS4_3ELNS0_20block_scan_algorithmE0ELj4294967295EEENS1_25partition_config_selectorILNS1_17partition_subalgoE4EjNS0_10empty_typeEbEEZZNS1_14partition_implILS8_4ELb0ES6_15HIP_vector_typeIjLj2EENS0_17counting_iteratorIjlEEPS9_SG_NS0_5tupleIJPjSI_NS0_16reverse_iteratorISI_EEEEENSH_IJSG_SG_SG_EEES9_SI_JZNS1_25segmented_radix_sort_implINS0_14default_configELb1EPKsPsPKlPlN2at6native12_GLOBAL__N_18offset_tEEE10hipError_tPvRmT1_PNSt15iterator_traitsIS12_E10value_typeET2_T3_PNS13_IS18_E10value_typeET4_jRbjT5_S1E_jjP12ihipStream_tbEUljE_ZNSN_ISO_Lb1ESQ_SR_ST_SU_SY_EESZ_S10_S11_S12_S16_S17_S18_S1B_S1C_jS1D_jS1E_S1E_jjS1G_bEUljE0_EEESZ_S10_S11_S18_S1C_S1E_T6_T7_T9_mT8_S1G_bDpT10_ENKUlT_T0_E_clISt17integral_constantIbLb1EES1T_IbLb0EEEEDaS1P_S1Q_EUlS1P_E_NS1_11comp_targetILNS1_3genE2ELNS1_11target_archE906ELNS1_3gpuE6ELNS1_3repE0EEENS1_30default_config_static_selectorELNS0_4arch9wavefront6targetE1EEEvS12_.kd
    .uniform_work_group_size: 1
    .uses_dynamic_stack: false
    .vgpr_count:     0
    .vgpr_spill_count: 0
    .wavefront_size: 64
  - .args:
      - .offset:         0
        .size:           176
        .value_kind:     by_value
    .group_segment_fixed_size: 0
    .kernarg_segment_align: 8
    .kernarg_segment_size: 176
    .language:       OpenCL C
    .language_version:
      - 2
      - 0
    .max_flat_workgroup_size: 256
    .name:           _ZN7rocprim17ROCPRIM_400000_NS6detail17trampoline_kernelINS0_13select_configILj256ELj13ELNS0_17block_load_methodE3ELS4_3ELS4_3ELNS0_20block_scan_algorithmE0ELj4294967295EEENS1_25partition_config_selectorILNS1_17partition_subalgoE4EjNS0_10empty_typeEbEEZZNS1_14partition_implILS8_4ELb0ES6_15HIP_vector_typeIjLj2EENS0_17counting_iteratorIjlEEPS9_SG_NS0_5tupleIJPjSI_NS0_16reverse_iteratorISI_EEEEENSH_IJSG_SG_SG_EEES9_SI_JZNS1_25segmented_radix_sort_implINS0_14default_configELb1EPKsPsPKlPlN2at6native12_GLOBAL__N_18offset_tEEE10hipError_tPvRmT1_PNSt15iterator_traitsIS12_E10value_typeET2_T3_PNS13_IS18_E10value_typeET4_jRbjT5_S1E_jjP12ihipStream_tbEUljE_ZNSN_ISO_Lb1ESQ_SR_ST_SU_SY_EESZ_S10_S11_S12_S16_S17_S18_S1B_S1C_jS1D_jS1E_S1E_jjS1G_bEUljE0_EEESZ_S10_S11_S18_S1C_S1E_T6_T7_T9_mT8_S1G_bDpT10_ENKUlT_T0_E_clISt17integral_constantIbLb1EES1T_IbLb0EEEEDaS1P_S1Q_EUlS1P_E_NS1_11comp_targetILNS1_3genE10ELNS1_11target_archE1200ELNS1_3gpuE4ELNS1_3repE0EEENS1_30default_config_static_selectorELNS0_4arch9wavefront6targetE1EEEvS12_
    .private_segment_fixed_size: 0
    .sgpr_count:     4
    .sgpr_spill_count: 0
    .symbol:         _ZN7rocprim17ROCPRIM_400000_NS6detail17trampoline_kernelINS0_13select_configILj256ELj13ELNS0_17block_load_methodE3ELS4_3ELS4_3ELNS0_20block_scan_algorithmE0ELj4294967295EEENS1_25partition_config_selectorILNS1_17partition_subalgoE4EjNS0_10empty_typeEbEEZZNS1_14partition_implILS8_4ELb0ES6_15HIP_vector_typeIjLj2EENS0_17counting_iteratorIjlEEPS9_SG_NS0_5tupleIJPjSI_NS0_16reverse_iteratorISI_EEEEENSH_IJSG_SG_SG_EEES9_SI_JZNS1_25segmented_radix_sort_implINS0_14default_configELb1EPKsPsPKlPlN2at6native12_GLOBAL__N_18offset_tEEE10hipError_tPvRmT1_PNSt15iterator_traitsIS12_E10value_typeET2_T3_PNS13_IS18_E10value_typeET4_jRbjT5_S1E_jjP12ihipStream_tbEUljE_ZNSN_ISO_Lb1ESQ_SR_ST_SU_SY_EESZ_S10_S11_S12_S16_S17_S18_S1B_S1C_jS1D_jS1E_S1E_jjS1G_bEUljE0_EEESZ_S10_S11_S18_S1C_S1E_T6_T7_T9_mT8_S1G_bDpT10_ENKUlT_T0_E_clISt17integral_constantIbLb1EES1T_IbLb0EEEEDaS1P_S1Q_EUlS1P_E_NS1_11comp_targetILNS1_3genE10ELNS1_11target_archE1200ELNS1_3gpuE4ELNS1_3repE0EEENS1_30default_config_static_selectorELNS0_4arch9wavefront6targetE1EEEvS12_.kd
    .uniform_work_group_size: 1
    .uses_dynamic_stack: false
    .vgpr_count:     0
    .vgpr_spill_count: 0
    .wavefront_size: 64
  - .args:
      - .offset:         0
        .size:           176
        .value_kind:     by_value
    .group_segment_fixed_size: 0
    .kernarg_segment_align: 8
    .kernarg_segment_size: 176
    .language:       OpenCL C
    .language_version:
      - 2
      - 0
    .max_flat_workgroup_size: 256
    .name:           _ZN7rocprim17ROCPRIM_400000_NS6detail17trampoline_kernelINS0_13select_configILj256ELj13ELNS0_17block_load_methodE3ELS4_3ELS4_3ELNS0_20block_scan_algorithmE0ELj4294967295EEENS1_25partition_config_selectorILNS1_17partition_subalgoE4EjNS0_10empty_typeEbEEZZNS1_14partition_implILS8_4ELb0ES6_15HIP_vector_typeIjLj2EENS0_17counting_iteratorIjlEEPS9_SG_NS0_5tupleIJPjSI_NS0_16reverse_iteratorISI_EEEEENSH_IJSG_SG_SG_EEES9_SI_JZNS1_25segmented_radix_sort_implINS0_14default_configELb1EPKsPsPKlPlN2at6native12_GLOBAL__N_18offset_tEEE10hipError_tPvRmT1_PNSt15iterator_traitsIS12_E10value_typeET2_T3_PNS13_IS18_E10value_typeET4_jRbjT5_S1E_jjP12ihipStream_tbEUljE_ZNSN_ISO_Lb1ESQ_SR_ST_SU_SY_EESZ_S10_S11_S12_S16_S17_S18_S1B_S1C_jS1D_jS1E_S1E_jjS1G_bEUljE0_EEESZ_S10_S11_S18_S1C_S1E_T6_T7_T9_mT8_S1G_bDpT10_ENKUlT_T0_E_clISt17integral_constantIbLb1EES1T_IbLb0EEEEDaS1P_S1Q_EUlS1P_E_NS1_11comp_targetILNS1_3genE9ELNS1_11target_archE1100ELNS1_3gpuE3ELNS1_3repE0EEENS1_30default_config_static_selectorELNS0_4arch9wavefront6targetE1EEEvS12_
    .private_segment_fixed_size: 0
    .sgpr_count:     4
    .sgpr_spill_count: 0
    .symbol:         _ZN7rocprim17ROCPRIM_400000_NS6detail17trampoline_kernelINS0_13select_configILj256ELj13ELNS0_17block_load_methodE3ELS4_3ELS4_3ELNS0_20block_scan_algorithmE0ELj4294967295EEENS1_25partition_config_selectorILNS1_17partition_subalgoE4EjNS0_10empty_typeEbEEZZNS1_14partition_implILS8_4ELb0ES6_15HIP_vector_typeIjLj2EENS0_17counting_iteratorIjlEEPS9_SG_NS0_5tupleIJPjSI_NS0_16reverse_iteratorISI_EEEEENSH_IJSG_SG_SG_EEES9_SI_JZNS1_25segmented_radix_sort_implINS0_14default_configELb1EPKsPsPKlPlN2at6native12_GLOBAL__N_18offset_tEEE10hipError_tPvRmT1_PNSt15iterator_traitsIS12_E10value_typeET2_T3_PNS13_IS18_E10value_typeET4_jRbjT5_S1E_jjP12ihipStream_tbEUljE_ZNSN_ISO_Lb1ESQ_SR_ST_SU_SY_EESZ_S10_S11_S12_S16_S17_S18_S1B_S1C_jS1D_jS1E_S1E_jjS1G_bEUljE0_EEESZ_S10_S11_S18_S1C_S1E_T6_T7_T9_mT8_S1G_bDpT10_ENKUlT_T0_E_clISt17integral_constantIbLb1EES1T_IbLb0EEEEDaS1P_S1Q_EUlS1P_E_NS1_11comp_targetILNS1_3genE9ELNS1_11target_archE1100ELNS1_3gpuE3ELNS1_3repE0EEENS1_30default_config_static_selectorELNS0_4arch9wavefront6targetE1EEEvS12_.kd
    .uniform_work_group_size: 1
    .uses_dynamic_stack: false
    .vgpr_count:     0
    .vgpr_spill_count: 0
    .wavefront_size: 64
  - .args:
      - .offset:         0
        .size:           176
        .value_kind:     by_value
    .group_segment_fixed_size: 0
    .kernarg_segment_align: 8
    .kernarg_segment_size: 176
    .language:       OpenCL C
    .language_version:
      - 2
      - 0
    .max_flat_workgroup_size: 256
    .name:           _ZN7rocprim17ROCPRIM_400000_NS6detail17trampoline_kernelINS0_13select_configILj256ELj13ELNS0_17block_load_methodE3ELS4_3ELS4_3ELNS0_20block_scan_algorithmE0ELj4294967295EEENS1_25partition_config_selectorILNS1_17partition_subalgoE4EjNS0_10empty_typeEbEEZZNS1_14partition_implILS8_4ELb0ES6_15HIP_vector_typeIjLj2EENS0_17counting_iteratorIjlEEPS9_SG_NS0_5tupleIJPjSI_NS0_16reverse_iteratorISI_EEEEENSH_IJSG_SG_SG_EEES9_SI_JZNS1_25segmented_radix_sort_implINS0_14default_configELb1EPKsPsPKlPlN2at6native12_GLOBAL__N_18offset_tEEE10hipError_tPvRmT1_PNSt15iterator_traitsIS12_E10value_typeET2_T3_PNS13_IS18_E10value_typeET4_jRbjT5_S1E_jjP12ihipStream_tbEUljE_ZNSN_ISO_Lb1ESQ_SR_ST_SU_SY_EESZ_S10_S11_S12_S16_S17_S18_S1B_S1C_jS1D_jS1E_S1E_jjS1G_bEUljE0_EEESZ_S10_S11_S18_S1C_S1E_T6_T7_T9_mT8_S1G_bDpT10_ENKUlT_T0_E_clISt17integral_constantIbLb1EES1T_IbLb0EEEEDaS1P_S1Q_EUlS1P_E_NS1_11comp_targetILNS1_3genE8ELNS1_11target_archE1030ELNS1_3gpuE2ELNS1_3repE0EEENS1_30default_config_static_selectorELNS0_4arch9wavefront6targetE1EEEvS12_
    .private_segment_fixed_size: 0
    .sgpr_count:     4
    .sgpr_spill_count: 0
    .symbol:         _ZN7rocprim17ROCPRIM_400000_NS6detail17trampoline_kernelINS0_13select_configILj256ELj13ELNS0_17block_load_methodE3ELS4_3ELS4_3ELNS0_20block_scan_algorithmE0ELj4294967295EEENS1_25partition_config_selectorILNS1_17partition_subalgoE4EjNS0_10empty_typeEbEEZZNS1_14partition_implILS8_4ELb0ES6_15HIP_vector_typeIjLj2EENS0_17counting_iteratorIjlEEPS9_SG_NS0_5tupleIJPjSI_NS0_16reverse_iteratorISI_EEEEENSH_IJSG_SG_SG_EEES9_SI_JZNS1_25segmented_radix_sort_implINS0_14default_configELb1EPKsPsPKlPlN2at6native12_GLOBAL__N_18offset_tEEE10hipError_tPvRmT1_PNSt15iterator_traitsIS12_E10value_typeET2_T3_PNS13_IS18_E10value_typeET4_jRbjT5_S1E_jjP12ihipStream_tbEUljE_ZNSN_ISO_Lb1ESQ_SR_ST_SU_SY_EESZ_S10_S11_S12_S16_S17_S18_S1B_S1C_jS1D_jS1E_S1E_jjS1G_bEUljE0_EEESZ_S10_S11_S18_S1C_S1E_T6_T7_T9_mT8_S1G_bDpT10_ENKUlT_T0_E_clISt17integral_constantIbLb1EES1T_IbLb0EEEEDaS1P_S1Q_EUlS1P_E_NS1_11comp_targetILNS1_3genE8ELNS1_11target_archE1030ELNS1_3gpuE2ELNS1_3repE0EEENS1_30default_config_static_selectorELNS0_4arch9wavefront6targetE1EEEvS12_.kd
    .uniform_work_group_size: 1
    .uses_dynamic_stack: false
    .vgpr_count:     0
    .vgpr_spill_count: 0
    .wavefront_size: 64
  - .args:
      - .offset:         0
        .size:           184
        .value_kind:     by_value
    .group_segment_fixed_size: 0
    .kernarg_segment_align: 8
    .kernarg_segment_size: 184
    .language:       OpenCL C
    .language_version:
      - 2
      - 0
    .max_flat_workgroup_size: 256
    .name:           _ZN7rocprim17ROCPRIM_400000_NS6detail17trampoline_kernelINS0_13select_configILj256ELj13ELNS0_17block_load_methodE3ELS4_3ELS4_3ELNS0_20block_scan_algorithmE0ELj4294967295EEENS1_25partition_config_selectorILNS1_17partition_subalgoE4EjNS0_10empty_typeEbEEZZNS1_14partition_implILS8_4ELb0ES6_15HIP_vector_typeIjLj2EENS0_17counting_iteratorIjlEEPS9_SG_NS0_5tupleIJPjSI_NS0_16reverse_iteratorISI_EEEEENSH_IJSG_SG_SG_EEES9_SI_JZNS1_25segmented_radix_sort_implINS0_14default_configELb1EPKsPsPKlPlN2at6native12_GLOBAL__N_18offset_tEEE10hipError_tPvRmT1_PNSt15iterator_traitsIS12_E10value_typeET2_T3_PNS13_IS18_E10value_typeET4_jRbjT5_S1E_jjP12ihipStream_tbEUljE_ZNSN_ISO_Lb1ESQ_SR_ST_SU_SY_EESZ_S10_S11_S12_S16_S17_S18_S1B_S1C_jS1D_jS1E_S1E_jjS1G_bEUljE0_EEESZ_S10_S11_S18_S1C_S1E_T6_T7_T9_mT8_S1G_bDpT10_ENKUlT_T0_E_clISt17integral_constantIbLb0EES1T_IbLb1EEEEDaS1P_S1Q_EUlS1P_E_NS1_11comp_targetILNS1_3genE0ELNS1_11target_archE4294967295ELNS1_3gpuE0ELNS1_3repE0EEENS1_30default_config_static_selectorELNS0_4arch9wavefront6targetE1EEEvS12_
    .private_segment_fixed_size: 0
    .sgpr_count:     4
    .sgpr_spill_count: 0
    .symbol:         _ZN7rocprim17ROCPRIM_400000_NS6detail17trampoline_kernelINS0_13select_configILj256ELj13ELNS0_17block_load_methodE3ELS4_3ELS4_3ELNS0_20block_scan_algorithmE0ELj4294967295EEENS1_25partition_config_selectorILNS1_17partition_subalgoE4EjNS0_10empty_typeEbEEZZNS1_14partition_implILS8_4ELb0ES6_15HIP_vector_typeIjLj2EENS0_17counting_iteratorIjlEEPS9_SG_NS0_5tupleIJPjSI_NS0_16reverse_iteratorISI_EEEEENSH_IJSG_SG_SG_EEES9_SI_JZNS1_25segmented_radix_sort_implINS0_14default_configELb1EPKsPsPKlPlN2at6native12_GLOBAL__N_18offset_tEEE10hipError_tPvRmT1_PNSt15iterator_traitsIS12_E10value_typeET2_T3_PNS13_IS18_E10value_typeET4_jRbjT5_S1E_jjP12ihipStream_tbEUljE_ZNSN_ISO_Lb1ESQ_SR_ST_SU_SY_EESZ_S10_S11_S12_S16_S17_S18_S1B_S1C_jS1D_jS1E_S1E_jjS1G_bEUljE0_EEESZ_S10_S11_S18_S1C_S1E_T6_T7_T9_mT8_S1G_bDpT10_ENKUlT_T0_E_clISt17integral_constantIbLb0EES1T_IbLb1EEEEDaS1P_S1Q_EUlS1P_E_NS1_11comp_targetILNS1_3genE0ELNS1_11target_archE4294967295ELNS1_3gpuE0ELNS1_3repE0EEENS1_30default_config_static_selectorELNS0_4arch9wavefront6targetE1EEEvS12_.kd
    .uniform_work_group_size: 1
    .uses_dynamic_stack: false
    .vgpr_count:     0
    .vgpr_spill_count: 0
    .wavefront_size: 64
  - .args:
      - .offset:         0
        .size:           184
        .value_kind:     by_value
    .group_segment_fixed_size: 0
    .kernarg_segment_align: 8
    .kernarg_segment_size: 184
    .language:       OpenCL C
    .language_version:
      - 2
      - 0
    .max_flat_workgroup_size: 256
    .name:           _ZN7rocprim17ROCPRIM_400000_NS6detail17trampoline_kernelINS0_13select_configILj256ELj13ELNS0_17block_load_methodE3ELS4_3ELS4_3ELNS0_20block_scan_algorithmE0ELj4294967295EEENS1_25partition_config_selectorILNS1_17partition_subalgoE4EjNS0_10empty_typeEbEEZZNS1_14partition_implILS8_4ELb0ES6_15HIP_vector_typeIjLj2EENS0_17counting_iteratorIjlEEPS9_SG_NS0_5tupleIJPjSI_NS0_16reverse_iteratorISI_EEEEENSH_IJSG_SG_SG_EEES9_SI_JZNS1_25segmented_radix_sort_implINS0_14default_configELb1EPKsPsPKlPlN2at6native12_GLOBAL__N_18offset_tEEE10hipError_tPvRmT1_PNSt15iterator_traitsIS12_E10value_typeET2_T3_PNS13_IS18_E10value_typeET4_jRbjT5_S1E_jjP12ihipStream_tbEUljE_ZNSN_ISO_Lb1ESQ_SR_ST_SU_SY_EESZ_S10_S11_S12_S16_S17_S18_S1B_S1C_jS1D_jS1E_S1E_jjS1G_bEUljE0_EEESZ_S10_S11_S18_S1C_S1E_T6_T7_T9_mT8_S1G_bDpT10_ENKUlT_T0_E_clISt17integral_constantIbLb0EES1T_IbLb1EEEEDaS1P_S1Q_EUlS1P_E_NS1_11comp_targetILNS1_3genE5ELNS1_11target_archE942ELNS1_3gpuE9ELNS1_3repE0EEENS1_30default_config_static_selectorELNS0_4arch9wavefront6targetE1EEEvS12_
    .private_segment_fixed_size: 0
    .sgpr_count:     4
    .sgpr_spill_count: 0
    .symbol:         _ZN7rocprim17ROCPRIM_400000_NS6detail17trampoline_kernelINS0_13select_configILj256ELj13ELNS0_17block_load_methodE3ELS4_3ELS4_3ELNS0_20block_scan_algorithmE0ELj4294967295EEENS1_25partition_config_selectorILNS1_17partition_subalgoE4EjNS0_10empty_typeEbEEZZNS1_14partition_implILS8_4ELb0ES6_15HIP_vector_typeIjLj2EENS0_17counting_iteratorIjlEEPS9_SG_NS0_5tupleIJPjSI_NS0_16reverse_iteratorISI_EEEEENSH_IJSG_SG_SG_EEES9_SI_JZNS1_25segmented_radix_sort_implINS0_14default_configELb1EPKsPsPKlPlN2at6native12_GLOBAL__N_18offset_tEEE10hipError_tPvRmT1_PNSt15iterator_traitsIS12_E10value_typeET2_T3_PNS13_IS18_E10value_typeET4_jRbjT5_S1E_jjP12ihipStream_tbEUljE_ZNSN_ISO_Lb1ESQ_SR_ST_SU_SY_EESZ_S10_S11_S12_S16_S17_S18_S1B_S1C_jS1D_jS1E_S1E_jjS1G_bEUljE0_EEESZ_S10_S11_S18_S1C_S1E_T6_T7_T9_mT8_S1G_bDpT10_ENKUlT_T0_E_clISt17integral_constantIbLb0EES1T_IbLb1EEEEDaS1P_S1Q_EUlS1P_E_NS1_11comp_targetILNS1_3genE5ELNS1_11target_archE942ELNS1_3gpuE9ELNS1_3repE0EEENS1_30default_config_static_selectorELNS0_4arch9wavefront6targetE1EEEvS12_.kd
    .uniform_work_group_size: 1
    .uses_dynamic_stack: false
    .vgpr_count:     0
    .vgpr_spill_count: 0
    .wavefront_size: 64
  - .args:
      - .offset:         0
        .size:           184
        .value_kind:     by_value
    .group_segment_fixed_size: 0
    .kernarg_segment_align: 8
    .kernarg_segment_size: 184
    .language:       OpenCL C
    .language_version:
      - 2
      - 0
    .max_flat_workgroup_size: 256
    .name:           _ZN7rocprim17ROCPRIM_400000_NS6detail17trampoline_kernelINS0_13select_configILj256ELj13ELNS0_17block_load_methodE3ELS4_3ELS4_3ELNS0_20block_scan_algorithmE0ELj4294967295EEENS1_25partition_config_selectorILNS1_17partition_subalgoE4EjNS0_10empty_typeEbEEZZNS1_14partition_implILS8_4ELb0ES6_15HIP_vector_typeIjLj2EENS0_17counting_iteratorIjlEEPS9_SG_NS0_5tupleIJPjSI_NS0_16reverse_iteratorISI_EEEEENSH_IJSG_SG_SG_EEES9_SI_JZNS1_25segmented_radix_sort_implINS0_14default_configELb1EPKsPsPKlPlN2at6native12_GLOBAL__N_18offset_tEEE10hipError_tPvRmT1_PNSt15iterator_traitsIS12_E10value_typeET2_T3_PNS13_IS18_E10value_typeET4_jRbjT5_S1E_jjP12ihipStream_tbEUljE_ZNSN_ISO_Lb1ESQ_SR_ST_SU_SY_EESZ_S10_S11_S12_S16_S17_S18_S1B_S1C_jS1D_jS1E_S1E_jjS1G_bEUljE0_EEESZ_S10_S11_S18_S1C_S1E_T6_T7_T9_mT8_S1G_bDpT10_ENKUlT_T0_E_clISt17integral_constantIbLb0EES1T_IbLb1EEEEDaS1P_S1Q_EUlS1P_E_NS1_11comp_targetILNS1_3genE4ELNS1_11target_archE910ELNS1_3gpuE8ELNS1_3repE0EEENS1_30default_config_static_selectorELNS0_4arch9wavefront6targetE1EEEvS12_
    .private_segment_fixed_size: 0
    .sgpr_count:     4
    .sgpr_spill_count: 0
    .symbol:         _ZN7rocprim17ROCPRIM_400000_NS6detail17trampoline_kernelINS0_13select_configILj256ELj13ELNS0_17block_load_methodE3ELS4_3ELS4_3ELNS0_20block_scan_algorithmE0ELj4294967295EEENS1_25partition_config_selectorILNS1_17partition_subalgoE4EjNS0_10empty_typeEbEEZZNS1_14partition_implILS8_4ELb0ES6_15HIP_vector_typeIjLj2EENS0_17counting_iteratorIjlEEPS9_SG_NS0_5tupleIJPjSI_NS0_16reverse_iteratorISI_EEEEENSH_IJSG_SG_SG_EEES9_SI_JZNS1_25segmented_radix_sort_implINS0_14default_configELb1EPKsPsPKlPlN2at6native12_GLOBAL__N_18offset_tEEE10hipError_tPvRmT1_PNSt15iterator_traitsIS12_E10value_typeET2_T3_PNS13_IS18_E10value_typeET4_jRbjT5_S1E_jjP12ihipStream_tbEUljE_ZNSN_ISO_Lb1ESQ_SR_ST_SU_SY_EESZ_S10_S11_S12_S16_S17_S18_S1B_S1C_jS1D_jS1E_S1E_jjS1G_bEUljE0_EEESZ_S10_S11_S18_S1C_S1E_T6_T7_T9_mT8_S1G_bDpT10_ENKUlT_T0_E_clISt17integral_constantIbLb0EES1T_IbLb1EEEEDaS1P_S1Q_EUlS1P_E_NS1_11comp_targetILNS1_3genE4ELNS1_11target_archE910ELNS1_3gpuE8ELNS1_3repE0EEENS1_30default_config_static_selectorELNS0_4arch9wavefront6targetE1EEEvS12_.kd
    .uniform_work_group_size: 1
    .uses_dynamic_stack: false
    .vgpr_count:     0
    .vgpr_spill_count: 0
    .wavefront_size: 64
  - .args:
      - .offset:         0
        .size:           184
        .value_kind:     by_value
    .group_segment_fixed_size: 0
    .kernarg_segment_align: 8
    .kernarg_segment_size: 184
    .language:       OpenCL C
    .language_version:
      - 2
      - 0
    .max_flat_workgroup_size: 256
    .name:           _ZN7rocprim17ROCPRIM_400000_NS6detail17trampoline_kernelINS0_13select_configILj256ELj13ELNS0_17block_load_methodE3ELS4_3ELS4_3ELNS0_20block_scan_algorithmE0ELj4294967295EEENS1_25partition_config_selectorILNS1_17partition_subalgoE4EjNS0_10empty_typeEbEEZZNS1_14partition_implILS8_4ELb0ES6_15HIP_vector_typeIjLj2EENS0_17counting_iteratorIjlEEPS9_SG_NS0_5tupleIJPjSI_NS0_16reverse_iteratorISI_EEEEENSH_IJSG_SG_SG_EEES9_SI_JZNS1_25segmented_radix_sort_implINS0_14default_configELb1EPKsPsPKlPlN2at6native12_GLOBAL__N_18offset_tEEE10hipError_tPvRmT1_PNSt15iterator_traitsIS12_E10value_typeET2_T3_PNS13_IS18_E10value_typeET4_jRbjT5_S1E_jjP12ihipStream_tbEUljE_ZNSN_ISO_Lb1ESQ_SR_ST_SU_SY_EESZ_S10_S11_S12_S16_S17_S18_S1B_S1C_jS1D_jS1E_S1E_jjS1G_bEUljE0_EEESZ_S10_S11_S18_S1C_S1E_T6_T7_T9_mT8_S1G_bDpT10_ENKUlT_T0_E_clISt17integral_constantIbLb0EES1T_IbLb1EEEEDaS1P_S1Q_EUlS1P_E_NS1_11comp_targetILNS1_3genE3ELNS1_11target_archE908ELNS1_3gpuE7ELNS1_3repE0EEENS1_30default_config_static_selectorELNS0_4arch9wavefront6targetE1EEEvS12_
    .private_segment_fixed_size: 0
    .sgpr_count:     4
    .sgpr_spill_count: 0
    .symbol:         _ZN7rocprim17ROCPRIM_400000_NS6detail17trampoline_kernelINS0_13select_configILj256ELj13ELNS0_17block_load_methodE3ELS4_3ELS4_3ELNS0_20block_scan_algorithmE0ELj4294967295EEENS1_25partition_config_selectorILNS1_17partition_subalgoE4EjNS0_10empty_typeEbEEZZNS1_14partition_implILS8_4ELb0ES6_15HIP_vector_typeIjLj2EENS0_17counting_iteratorIjlEEPS9_SG_NS0_5tupleIJPjSI_NS0_16reverse_iteratorISI_EEEEENSH_IJSG_SG_SG_EEES9_SI_JZNS1_25segmented_radix_sort_implINS0_14default_configELb1EPKsPsPKlPlN2at6native12_GLOBAL__N_18offset_tEEE10hipError_tPvRmT1_PNSt15iterator_traitsIS12_E10value_typeET2_T3_PNS13_IS18_E10value_typeET4_jRbjT5_S1E_jjP12ihipStream_tbEUljE_ZNSN_ISO_Lb1ESQ_SR_ST_SU_SY_EESZ_S10_S11_S12_S16_S17_S18_S1B_S1C_jS1D_jS1E_S1E_jjS1G_bEUljE0_EEESZ_S10_S11_S18_S1C_S1E_T6_T7_T9_mT8_S1G_bDpT10_ENKUlT_T0_E_clISt17integral_constantIbLb0EES1T_IbLb1EEEEDaS1P_S1Q_EUlS1P_E_NS1_11comp_targetILNS1_3genE3ELNS1_11target_archE908ELNS1_3gpuE7ELNS1_3repE0EEENS1_30default_config_static_selectorELNS0_4arch9wavefront6targetE1EEEvS12_.kd
    .uniform_work_group_size: 1
    .uses_dynamic_stack: false
    .vgpr_count:     0
    .vgpr_spill_count: 0
    .wavefront_size: 64
  - .args:
      - .offset:         0
        .size:           184
        .value_kind:     by_value
    .group_segment_fixed_size: 13328
    .kernarg_segment_align: 8
    .kernarg_segment_size: 184
    .language:       OpenCL C
    .language_version:
      - 2
      - 0
    .max_flat_workgroup_size: 256
    .name:           _ZN7rocprim17ROCPRIM_400000_NS6detail17trampoline_kernelINS0_13select_configILj256ELj13ELNS0_17block_load_methodE3ELS4_3ELS4_3ELNS0_20block_scan_algorithmE0ELj4294967295EEENS1_25partition_config_selectorILNS1_17partition_subalgoE4EjNS0_10empty_typeEbEEZZNS1_14partition_implILS8_4ELb0ES6_15HIP_vector_typeIjLj2EENS0_17counting_iteratorIjlEEPS9_SG_NS0_5tupleIJPjSI_NS0_16reverse_iteratorISI_EEEEENSH_IJSG_SG_SG_EEES9_SI_JZNS1_25segmented_radix_sort_implINS0_14default_configELb1EPKsPsPKlPlN2at6native12_GLOBAL__N_18offset_tEEE10hipError_tPvRmT1_PNSt15iterator_traitsIS12_E10value_typeET2_T3_PNS13_IS18_E10value_typeET4_jRbjT5_S1E_jjP12ihipStream_tbEUljE_ZNSN_ISO_Lb1ESQ_SR_ST_SU_SY_EESZ_S10_S11_S12_S16_S17_S18_S1B_S1C_jS1D_jS1E_S1E_jjS1G_bEUljE0_EEESZ_S10_S11_S18_S1C_S1E_T6_T7_T9_mT8_S1G_bDpT10_ENKUlT_T0_E_clISt17integral_constantIbLb0EES1T_IbLb1EEEEDaS1P_S1Q_EUlS1P_E_NS1_11comp_targetILNS1_3genE2ELNS1_11target_archE906ELNS1_3gpuE6ELNS1_3repE0EEENS1_30default_config_static_selectorELNS0_4arch9wavefront6targetE1EEEvS12_
    .private_segment_fixed_size: 0
    .sgpr_count:     91
    .sgpr_spill_count: 0
    .symbol:         _ZN7rocprim17ROCPRIM_400000_NS6detail17trampoline_kernelINS0_13select_configILj256ELj13ELNS0_17block_load_methodE3ELS4_3ELS4_3ELNS0_20block_scan_algorithmE0ELj4294967295EEENS1_25partition_config_selectorILNS1_17partition_subalgoE4EjNS0_10empty_typeEbEEZZNS1_14partition_implILS8_4ELb0ES6_15HIP_vector_typeIjLj2EENS0_17counting_iteratorIjlEEPS9_SG_NS0_5tupleIJPjSI_NS0_16reverse_iteratorISI_EEEEENSH_IJSG_SG_SG_EEES9_SI_JZNS1_25segmented_radix_sort_implINS0_14default_configELb1EPKsPsPKlPlN2at6native12_GLOBAL__N_18offset_tEEE10hipError_tPvRmT1_PNSt15iterator_traitsIS12_E10value_typeET2_T3_PNS13_IS18_E10value_typeET4_jRbjT5_S1E_jjP12ihipStream_tbEUljE_ZNSN_ISO_Lb1ESQ_SR_ST_SU_SY_EESZ_S10_S11_S12_S16_S17_S18_S1B_S1C_jS1D_jS1E_S1E_jjS1G_bEUljE0_EEESZ_S10_S11_S18_S1C_S1E_T6_T7_T9_mT8_S1G_bDpT10_ENKUlT_T0_E_clISt17integral_constantIbLb0EES1T_IbLb1EEEEDaS1P_S1Q_EUlS1P_E_NS1_11comp_targetILNS1_3genE2ELNS1_11target_archE906ELNS1_3gpuE6ELNS1_3repE0EEENS1_30default_config_static_selectorELNS0_4arch9wavefront6targetE1EEEvS12_.kd
    .uniform_work_group_size: 1
    .uses_dynamic_stack: false
    .vgpr_count:     91
    .vgpr_spill_count: 0
    .wavefront_size: 64
  - .args:
      - .offset:         0
        .size:           184
        .value_kind:     by_value
    .group_segment_fixed_size: 0
    .kernarg_segment_align: 8
    .kernarg_segment_size: 184
    .language:       OpenCL C
    .language_version:
      - 2
      - 0
    .max_flat_workgroup_size: 256
    .name:           _ZN7rocprim17ROCPRIM_400000_NS6detail17trampoline_kernelINS0_13select_configILj256ELj13ELNS0_17block_load_methodE3ELS4_3ELS4_3ELNS0_20block_scan_algorithmE0ELj4294967295EEENS1_25partition_config_selectorILNS1_17partition_subalgoE4EjNS0_10empty_typeEbEEZZNS1_14partition_implILS8_4ELb0ES6_15HIP_vector_typeIjLj2EENS0_17counting_iteratorIjlEEPS9_SG_NS0_5tupleIJPjSI_NS0_16reverse_iteratorISI_EEEEENSH_IJSG_SG_SG_EEES9_SI_JZNS1_25segmented_radix_sort_implINS0_14default_configELb1EPKsPsPKlPlN2at6native12_GLOBAL__N_18offset_tEEE10hipError_tPvRmT1_PNSt15iterator_traitsIS12_E10value_typeET2_T3_PNS13_IS18_E10value_typeET4_jRbjT5_S1E_jjP12ihipStream_tbEUljE_ZNSN_ISO_Lb1ESQ_SR_ST_SU_SY_EESZ_S10_S11_S12_S16_S17_S18_S1B_S1C_jS1D_jS1E_S1E_jjS1G_bEUljE0_EEESZ_S10_S11_S18_S1C_S1E_T6_T7_T9_mT8_S1G_bDpT10_ENKUlT_T0_E_clISt17integral_constantIbLb0EES1T_IbLb1EEEEDaS1P_S1Q_EUlS1P_E_NS1_11comp_targetILNS1_3genE10ELNS1_11target_archE1200ELNS1_3gpuE4ELNS1_3repE0EEENS1_30default_config_static_selectorELNS0_4arch9wavefront6targetE1EEEvS12_
    .private_segment_fixed_size: 0
    .sgpr_count:     4
    .sgpr_spill_count: 0
    .symbol:         _ZN7rocprim17ROCPRIM_400000_NS6detail17trampoline_kernelINS0_13select_configILj256ELj13ELNS0_17block_load_methodE3ELS4_3ELS4_3ELNS0_20block_scan_algorithmE0ELj4294967295EEENS1_25partition_config_selectorILNS1_17partition_subalgoE4EjNS0_10empty_typeEbEEZZNS1_14partition_implILS8_4ELb0ES6_15HIP_vector_typeIjLj2EENS0_17counting_iteratorIjlEEPS9_SG_NS0_5tupleIJPjSI_NS0_16reverse_iteratorISI_EEEEENSH_IJSG_SG_SG_EEES9_SI_JZNS1_25segmented_radix_sort_implINS0_14default_configELb1EPKsPsPKlPlN2at6native12_GLOBAL__N_18offset_tEEE10hipError_tPvRmT1_PNSt15iterator_traitsIS12_E10value_typeET2_T3_PNS13_IS18_E10value_typeET4_jRbjT5_S1E_jjP12ihipStream_tbEUljE_ZNSN_ISO_Lb1ESQ_SR_ST_SU_SY_EESZ_S10_S11_S12_S16_S17_S18_S1B_S1C_jS1D_jS1E_S1E_jjS1G_bEUljE0_EEESZ_S10_S11_S18_S1C_S1E_T6_T7_T9_mT8_S1G_bDpT10_ENKUlT_T0_E_clISt17integral_constantIbLb0EES1T_IbLb1EEEEDaS1P_S1Q_EUlS1P_E_NS1_11comp_targetILNS1_3genE10ELNS1_11target_archE1200ELNS1_3gpuE4ELNS1_3repE0EEENS1_30default_config_static_selectorELNS0_4arch9wavefront6targetE1EEEvS12_.kd
    .uniform_work_group_size: 1
    .uses_dynamic_stack: false
    .vgpr_count:     0
    .vgpr_spill_count: 0
    .wavefront_size: 64
  - .args:
      - .offset:         0
        .size:           184
        .value_kind:     by_value
    .group_segment_fixed_size: 0
    .kernarg_segment_align: 8
    .kernarg_segment_size: 184
    .language:       OpenCL C
    .language_version:
      - 2
      - 0
    .max_flat_workgroup_size: 256
    .name:           _ZN7rocprim17ROCPRIM_400000_NS6detail17trampoline_kernelINS0_13select_configILj256ELj13ELNS0_17block_load_methodE3ELS4_3ELS4_3ELNS0_20block_scan_algorithmE0ELj4294967295EEENS1_25partition_config_selectorILNS1_17partition_subalgoE4EjNS0_10empty_typeEbEEZZNS1_14partition_implILS8_4ELb0ES6_15HIP_vector_typeIjLj2EENS0_17counting_iteratorIjlEEPS9_SG_NS0_5tupleIJPjSI_NS0_16reverse_iteratorISI_EEEEENSH_IJSG_SG_SG_EEES9_SI_JZNS1_25segmented_radix_sort_implINS0_14default_configELb1EPKsPsPKlPlN2at6native12_GLOBAL__N_18offset_tEEE10hipError_tPvRmT1_PNSt15iterator_traitsIS12_E10value_typeET2_T3_PNS13_IS18_E10value_typeET4_jRbjT5_S1E_jjP12ihipStream_tbEUljE_ZNSN_ISO_Lb1ESQ_SR_ST_SU_SY_EESZ_S10_S11_S12_S16_S17_S18_S1B_S1C_jS1D_jS1E_S1E_jjS1G_bEUljE0_EEESZ_S10_S11_S18_S1C_S1E_T6_T7_T9_mT8_S1G_bDpT10_ENKUlT_T0_E_clISt17integral_constantIbLb0EES1T_IbLb1EEEEDaS1P_S1Q_EUlS1P_E_NS1_11comp_targetILNS1_3genE9ELNS1_11target_archE1100ELNS1_3gpuE3ELNS1_3repE0EEENS1_30default_config_static_selectorELNS0_4arch9wavefront6targetE1EEEvS12_
    .private_segment_fixed_size: 0
    .sgpr_count:     4
    .sgpr_spill_count: 0
    .symbol:         _ZN7rocprim17ROCPRIM_400000_NS6detail17trampoline_kernelINS0_13select_configILj256ELj13ELNS0_17block_load_methodE3ELS4_3ELS4_3ELNS0_20block_scan_algorithmE0ELj4294967295EEENS1_25partition_config_selectorILNS1_17partition_subalgoE4EjNS0_10empty_typeEbEEZZNS1_14partition_implILS8_4ELb0ES6_15HIP_vector_typeIjLj2EENS0_17counting_iteratorIjlEEPS9_SG_NS0_5tupleIJPjSI_NS0_16reverse_iteratorISI_EEEEENSH_IJSG_SG_SG_EEES9_SI_JZNS1_25segmented_radix_sort_implINS0_14default_configELb1EPKsPsPKlPlN2at6native12_GLOBAL__N_18offset_tEEE10hipError_tPvRmT1_PNSt15iterator_traitsIS12_E10value_typeET2_T3_PNS13_IS18_E10value_typeET4_jRbjT5_S1E_jjP12ihipStream_tbEUljE_ZNSN_ISO_Lb1ESQ_SR_ST_SU_SY_EESZ_S10_S11_S12_S16_S17_S18_S1B_S1C_jS1D_jS1E_S1E_jjS1G_bEUljE0_EEESZ_S10_S11_S18_S1C_S1E_T6_T7_T9_mT8_S1G_bDpT10_ENKUlT_T0_E_clISt17integral_constantIbLb0EES1T_IbLb1EEEEDaS1P_S1Q_EUlS1P_E_NS1_11comp_targetILNS1_3genE9ELNS1_11target_archE1100ELNS1_3gpuE3ELNS1_3repE0EEENS1_30default_config_static_selectorELNS0_4arch9wavefront6targetE1EEEvS12_.kd
    .uniform_work_group_size: 1
    .uses_dynamic_stack: false
    .vgpr_count:     0
    .vgpr_spill_count: 0
    .wavefront_size: 64
  - .args:
      - .offset:         0
        .size:           184
        .value_kind:     by_value
    .group_segment_fixed_size: 0
    .kernarg_segment_align: 8
    .kernarg_segment_size: 184
    .language:       OpenCL C
    .language_version:
      - 2
      - 0
    .max_flat_workgroup_size: 256
    .name:           _ZN7rocprim17ROCPRIM_400000_NS6detail17trampoline_kernelINS0_13select_configILj256ELj13ELNS0_17block_load_methodE3ELS4_3ELS4_3ELNS0_20block_scan_algorithmE0ELj4294967295EEENS1_25partition_config_selectorILNS1_17partition_subalgoE4EjNS0_10empty_typeEbEEZZNS1_14partition_implILS8_4ELb0ES6_15HIP_vector_typeIjLj2EENS0_17counting_iteratorIjlEEPS9_SG_NS0_5tupleIJPjSI_NS0_16reverse_iteratorISI_EEEEENSH_IJSG_SG_SG_EEES9_SI_JZNS1_25segmented_radix_sort_implINS0_14default_configELb1EPKsPsPKlPlN2at6native12_GLOBAL__N_18offset_tEEE10hipError_tPvRmT1_PNSt15iterator_traitsIS12_E10value_typeET2_T3_PNS13_IS18_E10value_typeET4_jRbjT5_S1E_jjP12ihipStream_tbEUljE_ZNSN_ISO_Lb1ESQ_SR_ST_SU_SY_EESZ_S10_S11_S12_S16_S17_S18_S1B_S1C_jS1D_jS1E_S1E_jjS1G_bEUljE0_EEESZ_S10_S11_S18_S1C_S1E_T6_T7_T9_mT8_S1G_bDpT10_ENKUlT_T0_E_clISt17integral_constantIbLb0EES1T_IbLb1EEEEDaS1P_S1Q_EUlS1P_E_NS1_11comp_targetILNS1_3genE8ELNS1_11target_archE1030ELNS1_3gpuE2ELNS1_3repE0EEENS1_30default_config_static_selectorELNS0_4arch9wavefront6targetE1EEEvS12_
    .private_segment_fixed_size: 0
    .sgpr_count:     4
    .sgpr_spill_count: 0
    .symbol:         _ZN7rocprim17ROCPRIM_400000_NS6detail17trampoline_kernelINS0_13select_configILj256ELj13ELNS0_17block_load_methodE3ELS4_3ELS4_3ELNS0_20block_scan_algorithmE0ELj4294967295EEENS1_25partition_config_selectorILNS1_17partition_subalgoE4EjNS0_10empty_typeEbEEZZNS1_14partition_implILS8_4ELb0ES6_15HIP_vector_typeIjLj2EENS0_17counting_iteratorIjlEEPS9_SG_NS0_5tupleIJPjSI_NS0_16reverse_iteratorISI_EEEEENSH_IJSG_SG_SG_EEES9_SI_JZNS1_25segmented_radix_sort_implINS0_14default_configELb1EPKsPsPKlPlN2at6native12_GLOBAL__N_18offset_tEEE10hipError_tPvRmT1_PNSt15iterator_traitsIS12_E10value_typeET2_T3_PNS13_IS18_E10value_typeET4_jRbjT5_S1E_jjP12ihipStream_tbEUljE_ZNSN_ISO_Lb1ESQ_SR_ST_SU_SY_EESZ_S10_S11_S12_S16_S17_S18_S1B_S1C_jS1D_jS1E_S1E_jjS1G_bEUljE0_EEESZ_S10_S11_S18_S1C_S1E_T6_T7_T9_mT8_S1G_bDpT10_ENKUlT_T0_E_clISt17integral_constantIbLb0EES1T_IbLb1EEEEDaS1P_S1Q_EUlS1P_E_NS1_11comp_targetILNS1_3genE8ELNS1_11target_archE1030ELNS1_3gpuE2ELNS1_3repE0EEENS1_30default_config_static_selectorELNS0_4arch9wavefront6targetE1EEEvS12_.kd
    .uniform_work_group_size: 1
    .uses_dynamic_stack: false
    .vgpr_count:     0
    .vgpr_spill_count: 0
    .wavefront_size: 64
  - .args:
      - .offset:         0
        .size:           144
        .value_kind:     by_value
    .group_segment_fixed_size: 0
    .kernarg_segment_align: 8
    .kernarg_segment_size: 144
    .language:       OpenCL C
    .language_version:
      - 2
      - 0
    .max_flat_workgroup_size: 256
    .name:           _ZN7rocprim17ROCPRIM_400000_NS6detail17trampoline_kernelINS0_13select_configILj256ELj13ELNS0_17block_load_methodE3ELS4_3ELS4_3ELNS0_20block_scan_algorithmE0ELj4294967295EEENS1_25partition_config_selectorILNS1_17partition_subalgoE3EjNS0_10empty_typeEbEEZZNS1_14partition_implILS8_3ELb0ES6_jNS0_17counting_iteratorIjlEEPS9_SE_NS0_5tupleIJPjSE_EEENSF_IJSE_SE_EEES9_SG_JZNS1_25segmented_radix_sort_implINS0_14default_configELb1EPKsPsPKlPlN2at6native12_GLOBAL__N_18offset_tEEE10hipError_tPvRmT1_PNSt15iterator_traitsISY_E10value_typeET2_T3_PNSZ_IS14_E10value_typeET4_jRbjT5_S1A_jjP12ihipStream_tbEUljE_EEESV_SW_SX_S14_S18_S1A_T6_T7_T9_mT8_S1C_bDpT10_ENKUlT_T0_E_clISt17integral_constantIbLb0EES1P_EEDaS1K_S1L_EUlS1K_E_NS1_11comp_targetILNS1_3genE0ELNS1_11target_archE4294967295ELNS1_3gpuE0ELNS1_3repE0EEENS1_30default_config_static_selectorELNS0_4arch9wavefront6targetE1EEEvSY_
    .private_segment_fixed_size: 0
    .sgpr_count:     4
    .sgpr_spill_count: 0
    .symbol:         _ZN7rocprim17ROCPRIM_400000_NS6detail17trampoline_kernelINS0_13select_configILj256ELj13ELNS0_17block_load_methodE3ELS4_3ELS4_3ELNS0_20block_scan_algorithmE0ELj4294967295EEENS1_25partition_config_selectorILNS1_17partition_subalgoE3EjNS0_10empty_typeEbEEZZNS1_14partition_implILS8_3ELb0ES6_jNS0_17counting_iteratorIjlEEPS9_SE_NS0_5tupleIJPjSE_EEENSF_IJSE_SE_EEES9_SG_JZNS1_25segmented_radix_sort_implINS0_14default_configELb1EPKsPsPKlPlN2at6native12_GLOBAL__N_18offset_tEEE10hipError_tPvRmT1_PNSt15iterator_traitsISY_E10value_typeET2_T3_PNSZ_IS14_E10value_typeET4_jRbjT5_S1A_jjP12ihipStream_tbEUljE_EEESV_SW_SX_S14_S18_S1A_T6_T7_T9_mT8_S1C_bDpT10_ENKUlT_T0_E_clISt17integral_constantIbLb0EES1P_EEDaS1K_S1L_EUlS1K_E_NS1_11comp_targetILNS1_3genE0ELNS1_11target_archE4294967295ELNS1_3gpuE0ELNS1_3repE0EEENS1_30default_config_static_selectorELNS0_4arch9wavefront6targetE1EEEvSY_.kd
    .uniform_work_group_size: 1
    .uses_dynamic_stack: false
    .vgpr_count:     0
    .vgpr_spill_count: 0
    .wavefront_size: 64
  - .args:
      - .offset:         0
        .size:           144
        .value_kind:     by_value
    .group_segment_fixed_size: 0
    .kernarg_segment_align: 8
    .kernarg_segment_size: 144
    .language:       OpenCL C
    .language_version:
      - 2
      - 0
    .max_flat_workgroup_size: 256
    .name:           _ZN7rocprim17ROCPRIM_400000_NS6detail17trampoline_kernelINS0_13select_configILj256ELj13ELNS0_17block_load_methodE3ELS4_3ELS4_3ELNS0_20block_scan_algorithmE0ELj4294967295EEENS1_25partition_config_selectorILNS1_17partition_subalgoE3EjNS0_10empty_typeEbEEZZNS1_14partition_implILS8_3ELb0ES6_jNS0_17counting_iteratorIjlEEPS9_SE_NS0_5tupleIJPjSE_EEENSF_IJSE_SE_EEES9_SG_JZNS1_25segmented_radix_sort_implINS0_14default_configELb1EPKsPsPKlPlN2at6native12_GLOBAL__N_18offset_tEEE10hipError_tPvRmT1_PNSt15iterator_traitsISY_E10value_typeET2_T3_PNSZ_IS14_E10value_typeET4_jRbjT5_S1A_jjP12ihipStream_tbEUljE_EEESV_SW_SX_S14_S18_S1A_T6_T7_T9_mT8_S1C_bDpT10_ENKUlT_T0_E_clISt17integral_constantIbLb0EES1P_EEDaS1K_S1L_EUlS1K_E_NS1_11comp_targetILNS1_3genE5ELNS1_11target_archE942ELNS1_3gpuE9ELNS1_3repE0EEENS1_30default_config_static_selectorELNS0_4arch9wavefront6targetE1EEEvSY_
    .private_segment_fixed_size: 0
    .sgpr_count:     4
    .sgpr_spill_count: 0
    .symbol:         _ZN7rocprim17ROCPRIM_400000_NS6detail17trampoline_kernelINS0_13select_configILj256ELj13ELNS0_17block_load_methodE3ELS4_3ELS4_3ELNS0_20block_scan_algorithmE0ELj4294967295EEENS1_25partition_config_selectorILNS1_17partition_subalgoE3EjNS0_10empty_typeEbEEZZNS1_14partition_implILS8_3ELb0ES6_jNS0_17counting_iteratorIjlEEPS9_SE_NS0_5tupleIJPjSE_EEENSF_IJSE_SE_EEES9_SG_JZNS1_25segmented_radix_sort_implINS0_14default_configELb1EPKsPsPKlPlN2at6native12_GLOBAL__N_18offset_tEEE10hipError_tPvRmT1_PNSt15iterator_traitsISY_E10value_typeET2_T3_PNSZ_IS14_E10value_typeET4_jRbjT5_S1A_jjP12ihipStream_tbEUljE_EEESV_SW_SX_S14_S18_S1A_T6_T7_T9_mT8_S1C_bDpT10_ENKUlT_T0_E_clISt17integral_constantIbLb0EES1P_EEDaS1K_S1L_EUlS1K_E_NS1_11comp_targetILNS1_3genE5ELNS1_11target_archE942ELNS1_3gpuE9ELNS1_3repE0EEENS1_30default_config_static_selectorELNS0_4arch9wavefront6targetE1EEEvSY_.kd
    .uniform_work_group_size: 1
    .uses_dynamic_stack: false
    .vgpr_count:     0
    .vgpr_spill_count: 0
    .wavefront_size: 64
  - .args:
      - .offset:         0
        .size:           144
        .value_kind:     by_value
    .group_segment_fixed_size: 0
    .kernarg_segment_align: 8
    .kernarg_segment_size: 144
    .language:       OpenCL C
    .language_version:
      - 2
      - 0
    .max_flat_workgroup_size: 256
    .name:           _ZN7rocprim17ROCPRIM_400000_NS6detail17trampoline_kernelINS0_13select_configILj256ELj13ELNS0_17block_load_methodE3ELS4_3ELS4_3ELNS0_20block_scan_algorithmE0ELj4294967295EEENS1_25partition_config_selectorILNS1_17partition_subalgoE3EjNS0_10empty_typeEbEEZZNS1_14partition_implILS8_3ELb0ES6_jNS0_17counting_iteratorIjlEEPS9_SE_NS0_5tupleIJPjSE_EEENSF_IJSE_SE_EEES9_SG_JZNS1_25segmented_radix_sort_implINS0_14default_configELb1EPKsPsPKlPlN2at6native12_GLOBAL__N_18offset_tEEE10hipError_tPvRmT1_PNSt15iterator_traitsISY_E10value_typeET2_T3_PNSZ_IS14_E10value_typeET4_jRbjT5_S1A_jjP12ihipStream_tbEUljE_EEESV_SW_SX_S14_S18_S1A_T6_T7_T9_mT8_S1C_bDpT10_ENKUlT_T0_E_clISt17integral_constantIbLb0EES1P_EEDaS1K_S1L_EUlS1K_E_NS1_11comp_targetILNS1_3genE4ELNS1_11target_archE910ELNS1_3gpuE8ELNS1_3repE0EEENS1_30default_config_static_selectorELNS0_4arch9wavefront6targetE1EEEvSY_
    .private_segment_fixed_size: 0
    .sgpr_count:     4
    .sgpr_spill_count: 0
    .symbol:         _ZN7rocprim17ROCPRIM_400000_NS6detail17trampoline_kernelINS0_13select_configILj256ELj13ELNS0_17block_load_methodE3ELS4_3ELS4_3ELNS0_20block_scan_algorithmE0ELj4294967295EEENS1_25partition_config_selectorILNS1_17partition_subalgoE3EjNS0_10empty_typeEbEEZZNS1_14partition_implILS8_3ELb0ES6_jNS0_17counting_iteratorIjlEEPS9_SE_NS0_5tupleIJPjSE_EEENSF_IJSE_SE_EEES9_SG_JZNS1_25segmented_radix_sort_implINS0_14default_configELb1EPKsPsPKlPlN2at6native12_GLOBAL__N_18offset_tEEE10hipError_tPvRmT1_PNSt15iterator_traitsISY_E10value_typeET2_T3_PNSZ_IS14_E10value_typeET4_jRbjT5_S1A_jjP12ihipStream_tbEUljE_EEESV_SW_SX_S14_S18_S1A_T6_T7_T9_mT8_S1C_bDpT10_ENKUlT_T0_E_clISt17integral_constantIbLb0EES1P_EEDaS1K_S1L_EUlS1K_E_NS1_11comp_targetILNS1_3genE4ELNS1_11target_archE910ELNS1_3gpuE8ELNS1_3repE0EEENS1_30default_config_static_selectorELNS0_4arch9wavefront6targetE1EEEvSY_.kd
    .uniform_work_group_size: 1
    .uses_dynamic_stack: false
    .vgpr_count:     0
    .vgpr_spill_count: 0
    .wavefront_size: 64
  - .args:
      - .offset:         0
        .size:           144
        .value_kind:     by_value
    .group_segment_fixed_size: 0
    .kernarg_segment_align: 8
    .kernarg_segment_size: 144
    .language:       OpenCL C
    .language_version:
      - 2
      - 0
    .max_flat_workgroup_size: 256
    .name:           _ZN7rocprim17ROCPRIM_400000_NS6detail17trampoline_kernelINS0_13select_configILj256ELj13ELNS0_17block_load_methodE3ELS4_3ELS4_3ELNS0_20block_scan_algorithmE0ELj4294967295EEENS1_25partition_config_selectorILNS1_17partition_subalgoE3EjNS0_10empty_typeEbEEZZNS1_14partition_implILS8_3ELb0ES6_jNS0_17counting_iteratorIjlEEPS9_SE_NS0_5tupleIJPjSE_EEENSF_IJSE_SE_EEES9_SG_JZNS1_25segmented_radix_sort_implINS0_14default_configELb1EPKsPsPKlPlN2at6native12_GLOBAL__N_18offset_tEEE10hipError_tPvRmT1_PNSt15iterator_traitsISY_E10value_typeET2_T3_PNSZ_IS14_E10value_typeET4_jRbjT5_S1A_jjP12ihipStream_tbEUljE_EEESV_SW_SX_S14_S18_S1A_T6_T7_T9_mT8_S1C_bDpT10_ENKUlT_T0_E_clISt17integral_constantIbLb0EES1P_EEDaS1K_S1L_EUlS1K_E_NS1_11comp_targetILNS1_3genE3ELNS1_11target_archE908ELNS1_3gpuE7ELNS1_3repE0EEENS1_30default_config_static_selectorELNS0_4arch9wavefront6targetE1EEEvSY_
    .private_segment_fixed_size: 0
    .sgpr_count:     4
    .sgpr_spill_count: 0
    .symbol:         _ZN7rocprim17ROCPRIM_400000_NS6detail17trampoline_kernelINS0_13select_configILj256ELj13ELNS0_17block_load_methodE3ELS4_3ELS4_3ELNS0_20block_scan_algorithmE0ELj4294967295EEENS1_25partition_config_selectorILNS1_17partition_subalgoE3EjNS0_10empty_typeEbEEZZNS1_14partition_implILS8_3ELb0ES6_jNS0_17counting_iteratorIjlEEPS9_SE_NS0_5tupleIJPjSE_EEENSF_IJSE_SE_EEES9_SG_JZNS1_25segmented_radix_sort_implINS0_14default_configELb1EPKsPsPKlPlN2at6native12_GLOBAL__N_18offset_tEEE10hipError_tPvRmT1_PNSt15iterator_traitsISY_E10value_typeET2_T3_PNSZ_IS14_E10value_typeET4_jRbjT5_S1A_jjP12ihipStream_tbEUljE_EEESV_SW_SX_S14_S18_S1A_T6_T7_T9_mT8_S1C_bDpT10_ENKUlT_T0_E_clISt17integral_constantIbLb0EES1P_EEDaS1K_S1L_EUlS1K_E_NS1_11comp_targetILNS1_3genE3ELNS1_11target_archE908ELNS1_3gpuE7ELNS1_3repE0EEENS1_30default_config_static_selectorELNS0_4arch9wavefront6targetE1EEEvSY_.kd
    .uniform_work_group_size: 1
    .uses_dynamic_stack: false
    .vgpr_count:     0
    .vgpr_spill_count: 0
    .wavefront_size: 64
  - .args:
      - .offset:         0
        .size:           144
        .value_kind:     by_value
    .group_segment_fixed_size: 13320
    .kernarg_segment_align: 8
    .kernarg_segment_size: 144
    .language:       OpenCL C
    .language_version:
      - 2
      - 0
    .max_flat_workgroup_size: 256
    .name:           _ZN7rocprim17ROCPRIM_400000_NS6detail17trampoline_kernelINS0_13select_configILj256ELj13ELNS0_17block_load_methodE3ELS4_3ELS4_3ELNS0_20block_scan_algorithmE0ELj4294967295EEENS1_25partition_config_selectorILNS1_17partition_subalgoE3EjNS0_10empty_typeEbEEZZNS1_14partition_implILS8_3ELb0ES6_jNS0_17counting_iteratorIjlEEPS9_SE_NS0_5tupleIJPjSE_EEENSF_IJSE_SE_EEES9_SG_JZNS1_25segmented_radix_sort_implINS0_14default_configELb1EPKsPsPKlPlN2at6native12_GLOBAL__N_18offset_tEEE10hipError_tPvRmT1_PNSt15iterator_traitsISY_E10value_typeET2_T3_PNSZ_IS14_E10value_typeET4_jRbjT5_S1A_jjP12ihipStream_tbEUljE_EEESV_SW_SX_S14_S18_S1A_T6_T7_T9_mT8_S1C_bDpT10_ENKUlT_T0_E_clISt17integral_constantIbLb0EES1P_EEDaS1K_S1L_EUlS1K_E_NS1_11comp_targetILNS1_3genE2ELNS1_11target_archE906ELNS1_3gpuE6ELNS1_3repE0EEENS1_30default_config_static_selectorELNS0_4arch9wavefront6targetE1EEEvSY_
    .private_segment_fixed_size: 0
    .sgpr_count:     52
    .sgpr_spill_count: 0
    .symbol:         _ZN7rocprim17ROCPRIM_400000_NS6detail17trampoline_kernelINS0_13select_configILj256ELj13ELNS0_17block_load_methodE3ELS4_3ELS4_3ELNS0_20block_scan_algorithmE0ELj4294967295EEENS1_25partition_config_selectorILNS1_17partition_subalgoE3EjNS0_10empty_typeEbEEZZNS1_14partition_implILS8_3ELb0ES6_jNS0_17counting_iteratorIjlEEPS9_SE_NS0_5tupleIJPjSE_EEENSF_IJSE_SE_EEES9_SG_JZNS1_25segmented_radix_sort_implINS0_14default_configELb1EPKsPsPKlPlN2at6native12_GLOBAL__N_18offset_tEEE10hipError_tPvRmT1_PNSt15iterator_traitsISY_E10value_typeET2_T3_PNSZ_IS14_E10value_typeET4_jRbjT5_S1A_jjP12ihipStream_tbEUljE_EEESV_SW_SX_S14_S18_S1A_T6_T7_T9_mT8_S1C_bDpT10_ENKUlT_T0_E_clISt17integral_constantIbLb0EES1P_EEDaS1K_S1L_EUlS1K_E_NS1_11comp_targetILNS1_3genE2ELNS1_11target_archE906ELNS1_3gpuE6ELNS1_3repE0EEENS1_30default_config_static_selectorELNS0_4arch9wavefront6targetE1EEEvSY_.kd
    .uniform_work_group_size: 1
    .uses_dynamic_stack: false
    .vgpr_count:     69
    .vgpr_spill_count: 0
    .wavefront_size: 64
  - .args:
      - .offset:         0
        .size:           144
        .value_kind:     by_value
    .group_segment_fixed_size: 0
    .kernarg_segment_align: 8
    .kernarg_segment_size: 144
    .language:       OpenCL C
    .language_version:
      - 2
      - 0
    .max_flat_workgroup_size: 256
    .name:           _ZN7rocprim17ROCPRIM_400000_NS6detail17trampoline_kernelINS0_13select_configILj256ELj13ELNS0_17block_load_methodE3ELS4_3ELS4_3ELNS0_20block_scan_algorithmE0ELj4294967295EEENS1_25partition_config_selectorILNS1_17partition_subalgoE3EjNS0_10empty_typeEbEEZZNS1_14partition_implILS8_3ELb0ES6_jNS0_17counting_iteratorIjlEEPS9_SE_NS0_5tupleIJPjSE_EEENSF_IJSE_SE_EEES9_SG_JZNS1_25segmented_radix_sort_implINS0_14default_configELb1EPKsPsPKlPlN2at6native12_GLOBAL__N_18offset_tEEE10hipError_tPvRmT1_PNSt15iterator_traitsISY_E10value_typeET2_T3_PNSZ_IS14_E10value_typeET4_jRbjT5_S1A_jjP12ihipStream_tbEUljE_EEESV_SW_SX_S14_S18_S1A_T6_T7_T9_mT8_S1C_bDpT10_ENKUlT_T0_E_clISt17integral_constantIbLb0EES1P_EEDaS1K_S1L_EUlS1K_E_NS1_11comp_targetILNS1_3genE10ELNS1_11target_archE1200ELNS1_3gpuE4ELNS1_3repE0EEENS1_30default_config_static_selectorELNS0_4arch9wavefront6targetE1EEEvSY_
    .private_segment_fixed_size: 0
    .sgpr_count:     4
    .sgpr_spill_count: 0
    .symbol:         _ZN7rocprim17ROCPRIM_400000_NS6detail17trampoline_kernelINS0_13select_configILj256ELj13ELNS0_17block_load_methodE3ELS4_3ELS4_3ELNS0_20block_scan_algorithmE0ELj4294967295EEENS1_25partition_config_selectorILNS1_17partition_subalgoE3EjNS0_10empty_typeEbEEZZNS1_14partition_implILS8_3ELb0ES6_jNS0_17counting_iteratorIjlEEPS9_SE_NS0_5tupleIJPjSE_EEENSF_IJSE_SE_EEES9_SG_JZNS1_25segmented_radix_sort_implINS0_14default_configELb1EPKsPsPKlPlN2at6native12_GLOBAL__N_18offset_tEEE10hipError_tPvRmT1_PNSt15iterator_traitsISY_E10value_typeET2_T3_PNSZ_IS14_E10value_typeET4_jRbjT5_S1A_jjP12ihipStream_tbEUljE_EEESV_SW_SX_S14_S18_S1A_T6_T7_T9_mT8_S1C_bDpT10_ENKUlT_T0_E_clISt17integral_constantIbLb0EES1P_EEDaS1K_S1L_EUlS1K_E_NS1_11comp_targetILNS1_3genE10ELNS1_11target_archE1200ELNS1_3gpuE4ELNS1_3repE0EEENS1_30default_config_static_selectorELNS0_4arch9wavefront6targetE1EEEvSY_.kd
    .uniform_work_group_size: 1
    .uses_dynamic_stack: false
    .vgpr_count:     0
    .vgpr_spill_count: 0
    .wavefront_size: 64
  - .args:
      - .offset:         0
        .size:           144
        .value_kind:     by_value
    .group_segment_fixed_size: 0
    .kernarg_segment_align: 8
    .kernarg_segment_size: 144
    .language:       OpenCL C
    .language_version:
      - 2
      - 0
    .max_flat_workgroup_size: 256
    .name:           _ZN7rocprim17ROCPRIM_400000_NS6detail17trampoline_kernelINS0_13select_configILj256ELj13ELNS0_17block_load_methodE3ELS4_3ELS4_3ELNS0_20block_scan_algorithmE0ELj4294967295EEENS1_25partition_config_selectorILNS1_17partition_subalgoE3EjNS0_10empty_typeEbEEZZNS1_14partition_implILS8_3ELb0ES6_jNS0_17counting_iteratorIjlEEPS9_SE_NS0_5tupleIJPjSE_EEENSF_IJSE_SE_EEES9_SG_JZNS1_25segmented_radix_sort_implINS0_14default_configELb1EPKsPsPKlPlN2at6native12_GLOBAL__N_18offset_tEEE10hipError_tPvRmT1_PNSt15iterator_traitsISY_E10value_typeET2_T3_PNSZ_IS14_E10value_typeET4_jRbjT5_S1A_jjP12ihipStream_tbEUljE_EEESV_SW_SX_S14_S18_S1A_T6_T7_T9_mT8_S1C_bDpT10_ENKUlT_T0_E_clISt17integral_constantIbLb0EES1P_EEDaS1K_S1L_EUlS1K_E_NS1_11comp_targetILNS1_3genE9ELNS1_11target_archE1100ELNS1_3gpuE3ELNS1_3repE0EEENS1_30default_config_static_selectorELNS0_4arch9wavefront6targetE1EEEvSY_
    .private_segment_fixed_size: 0
    .sgpr_count:     4
    .sgpr_spill_count: 0
    .symbol:         _ZN7rocprim17ROCPRIM_400000_NS6detail17trampoline_kernelINS0_13select_configILj256ELj13ELNS0_17block_load_methodE3ELS4_3ELS4_3ELNS0_20block_scan_algorithmE0ELj4294967295EEENS1_25partition_config_selectorILNS1_17partition_subalgoE3EjNS0_10empty_typeEbEEZZNS1_14partition_implILS8_3ELb0ES6_jNS0_17counting_iteratorIjlEEPS9_SE_NS0_5tupleIJPjSE_EEENSF_IJSE_SE_EEES9_SG_JZNS1_25segmented_radix_sort_implINS0_14default_configELb1EPKsPsPKlPlN2at6native12_GLOBAL__N_18offset_tEEE10hipError_tPvRmT1_PNSt15iterator_traitsISY_E10value_typeET2_T3_PNSZ_IS14_E10value_typeET4_jRbjT5_S1A_jjP12ihipStream_tbEUljE_EEESV_SW_SX_S14_S18_S1A_T6_T7_T9_mT8_S1C_bDpT10_ENKUlT_T0_E_clISt17integral_constantIbLb0EES1P_EEDaS1K_S1L_EUlS1K_E_NS1_11comp_targetILNS1_3genE9ELNS1_11target_archE1100ELNS1_3gpuE3ELNS1_3repE0EEENS1_30default_config_static_selectorELNS0_4arch9wavefront6targetE1EEEvSY_.kd
    .uniform_work_group_size: 1
    .uses_dynamic_stack: false
    .vgpr_count:     0
    .vgpr_spill_count: 0
    .wavefront_size: 64
  - .args:
      - .offset:         0
        .size:           144
        .value_kind:     by_value
    .group_segment_fixed_size: 0
    .kernarg_segment_align: 8
    .kernarg_segment_size: 144
    .language:       OpenCL C
    .language_version:
      - 2
      - 0
    .max_flat_workgroup_size: 256
    .name:           _ZN7rocprim17ROCPRIM_400000_NS6detail17trampoline_kernelINS0_13select_configILj256ELj13ELNS0_17block_load_methodE3ELS4_3ELS4_3ELNS0_20block_scan_algorithmE0ELj4294967295EEENS1_25partition_config_selectorILNS1_17partition_subalgoE3EjNS0_10empty_typeEbEEZZNS1_14partition_implILS8_3ELb0ES6_jNS0_17counting_iteratorIjlEEPS9_SE_NS0_5tupleIJPjSE_EEENSF_IJSE_SE_EEES9_SG_JZNS1_25segmented_radix_sort_implINS0_14default_configELb1EPKsPsPKlPlN2at6native12_GLOBAL__N_18offset_tEEE10hipError_tPvRmT1_PNSt15iterator_traitsISY_E10value_typeET2_T3_PNSZ_IS14_E10value_typeET4_jRbjT5_S1A_jjP12ihipStream_tbEUljE_EEESV_SW_SX_S14_S18_S1A_T6_T7_T9_mT8_S1C_bDpT10_ENKUlT_T0_E_clISt17integral_constantIbLb0EES1P_EEDaS1K_S1L_EUlS1K_E_NS1_11comp_targetILNS1_3genE8ELNS1_11target_archE1030ELNS1_3gpuE2ELNS1_3repE0EEENS1_30default_config_static_selectorELNS0_4arch9wavefront6targetE1EEEvSY_
    .private_segment_fixed_size: 0
    .sgpr_count:     4
    .sgpr_spill_count: 0
    .symbol:         _ZN7rocprim17ROCPRIM_400000_NS6detail17trampoline_kernelINS0_13select_configILj256ELj13ELNS0_17block_load_methodE3ELS4_3ELS4_3ELNS0_20block_scan_algorithmE0ELj4294967295EEENS1_25partition_config_selectorILNS1_17partition_subalgoE3EjNS0_10empty_typeEbEEZZNS1_14partition_implILS8_3ELb0ES6_jNS0_17counting_iteratorIjlEEPS9_SE_NS0_5tupleIJPjSE_EEENSF_IJSE_SE_EEES9_SG_JZNS1_25segmented_radix_sort_implINS0_14default_configELb1EPKsPsPKlPlN2at6native12_GLOBAL__N_18offset_tEEE10hipError_tPvRmT1_PNSt15iterator_traitsISY_E10value_typeET2_T3_PNSZ_IS14_E10value_typeET4_jRbjT5_S1A_jjP12ihipStream_tbEUljE_EEESV_SW_SX_S14_S18_S1A_T6_T7_T9_mT8_S1C_bDpT10_ENKUlT_T0_E_clISt17integral_constantIbLb0EES1P_EEDaS1K_S1L_EUlS1K_E_NS1_11comp_targetILNS1_3genE8ELNS1_11target_archE1030ELNS1_3gpuE2ELNS1_3repE0EEENS1_30default_config_static_selectorELNS0_4arch9wavefront6targetE1EEEvSY_.kd
    .uniform_work_group_size: 1
    .uses_dynamic_stack: false
    .vgpr_count:     0
    .vgpr_spill_count: 0
    .wavefront_size: 64
  - .args:
      - .offset:         0
        .size:           152
        .value_kind:     by_value
    .group_segment_fixed_size: 0
    .kernarg_segment_align: 8
    .kernarg_segment_size: 152
    .language:       OpenCL C
    .language_version:
      - 2
      - 0
    .max_flat_workgroup_size: 256
    .name:           _ZN7rocprim17ROCPRIM_400000_NS6detail17trampoline_kernelINS0_13select_configILj256ELj13ELNS0_17block_load_methodE3ELS4_3ELS4_3ELNS0_20block_scan_algorithmE0ELj4294967295EEENS1_25partition_config_selectorILNS1_17partition_subalgoE3EjNS0_10empty_typeEbEEZZNS1_14partition_implILS8_3ELb0ES6_jNS0_17counting_iteratorIjlEEPS9_SE_NS0_5tupleIJPjSE_EEENSF_IJSE_SE_EEES9_SG_JZNS1_25segmented_radix_sort_implINS0_14default_configELb1EPKsPsPKlPlN2at6native12_GLOBAL__N_18offset_tEEE10hipError_tPvRmT1_PNSt15iterator_traitsISY_E10value_typeET2_T3_PNSZ_IS14_E10value_typeET4_jRbjT5_S1A_jjP12ihipStream_tbEUljE_EEESV_SW_SX_S14_S18_S1A_T6_T7_T9_mT8_S1C_bDpT10_ENKUlT_T0_E_clISt17integral_constantIbLb1EES1P_EEDaS1K_S1L_EUlS1K_E_NS1_11comp_targetILNS1_3genE0ELNS1_11target_archE4294967295ELNS1_3gpuE0ELNS1_3repE0EEENS1_30default_config_static_selectorELNS0_4arch9wavefront6targetE1EEEvSY_
    .private_segment_fixed_size: 0
    .sgpr_count:     4
    .sgpr_spill_count: 0
    .symbol:         _ZN7rocprim17ROCPRIM_400000_NS6detail17trampoline_kernelINS0_13select_configILj256ELj13ELNS0_17block_load_methodE3ELS4_3ELS4_3ELNS0_20block_scan_algorithmE0ELj4294967295EEENS1_25partition_config_selectorILNS1_17partition_subalgoE3EjNS0_10empty_typeEbEEZZNS1_14partition_implILS8_3ELb0ES6_jNS0_17counting_iteratorIjlEEPS9_SE_NS0_5tupleIJPjSE_EEENSF_IJSE_SE_EEES9_SG_JZNS1_25segmented_radix_sort_implINS0_14default_configELb1EPKsPsPKlPlN2at6native12_GLOBAL__N_18offset_tEEE10hipError_tPvRmT1_PNSt15iterator_traitsISY_E10value_typeET2_T3_PNSZ_IS14_E10value_typeET4_jRbjT5_S1A_jjP12ihipStream_tbEUljE_EEESV_SW_SX_S14_S18_S1A_T6_T7_T9_mT8_S1C_bDpT10_ENKUlT_T0_E_clISt17integral_constantIbLb1EES1P_EEDaS1K_S1L_EUlS1K_E_NS1_11comp_targetILNS1_3genE0ELNS1_11target_archE4294967295ELNS1_3gpuE0ELNS1_3repE0EEENS1_30default_config_static_selectorELNS0_4arch9wavefront6targetE1EEEvSY_.kd
    .uniform_work_group_size: 1
    .uses_dynamic_stack: false
    .vgpr_count:     0
    .vgpr_spill_count: 0
    .wavefront_size: 64
  - .args:
      - .offset:         0
        .size:           152
        .value_kind:     by_value
    .group_segment_fixed_size: 0
    .kernarg_segment_align: 8
    .kernarg_segment_size: 152
    .language:       OpenCL C
    .language_version:
      - 2
      - 0
    .max_flat_workgroup_size: 256
    .name:           _ZN7rocprim17ROCPRIM_400000_NS6detail17trampoline_kernelINS0_13select_configILj256ELj13ELNS0_17block_load_methodE3ELS4_3ELS4_3ELNS0_20block_scan_algorithmE0ELj4294967295EEENS1_25partition_config_selectorILNS1_17partition_subalgoE3EjNS0_10empty_typeEbEEZZNS1_14partition_implILS8_3ELb0ES6_jNS0_17counting_iteratorIjlEEPS9_SE_NS0_5tupleIJPjSE_EEENSF_IJSE_SE_EEES9_SG_JZNS1_25segmented_radix_sort_implINS0_14default_configELb1EPKsPsPKlPlN2at6native12_GLOBAL__N_18offset_tEEE10hipError_tPvRmT1_PNSt15iterator_traitsISY_E10value_typeET2_T3_PNSZ_IS14_E10value_typeET4_jRbjT5_S1A_jjP12ihipStream_tbEUljE_EEESV_SW_SX_S14_S18_S1A_T6_T7_T9_mT8_S1C_bDpT10_ENKUlT_T0_E_clISt17integral_constantIbLb1EES1P_EEDaS1K_S1L_EUlS1K_E_NS1_11comp_targetILNS1_3genE5ELNS1_11target_archE942ELNS1_3gpuE9ELNS1_3repE0EEENS1_30default_config_static_selectorELNS0_4arch9wavefront6targetE1EEEvSY_
    .private_segment_fixed_size: 0
    .sgpr_count:     4
    .sgpr_spill_count: 0
    .symbol:         _ZN7rocprim17ROCPRIM_400000_NS6detail17trampoline_kernelINS0_13select_configILj256ELj13ELNS0_17block_load_methodE3ELS4_3ELS4_3ELNS0_20block_scan_algorithmE0ELj4294967295EEENS1_25partition_config_selectorILNS1_17partition_subalgoE3EjNS0_10empty_typeEbEEZZNS1_14partition_implILS8_3ELb0ES6_jNS0_17counting_iteratorIjlEEPS9_SE_NS0_5tupleIJPjSE_EEENSF_IJSE_SE_EEES9_SG_JZNS1_25segmented_radix_sort_implINS0_14default_configELb1EPKsPsPKlPlN2at6native12_GLOBAL__N_18offset_tEEE10hipError_tPvRmT1_PNSt15iterator_traitsISY_E10value_typeET2_T3_PNSZ_IS14_E10value_typeET4_jRbjT5_S1A_jjP12ihipStream_tbEUljE_EEESV_SW_SX_S14_S18_S1A_T6_T7_T9_mT8_S1C_bDpT10_ENKUlT_T0_E_clISt17integral_constantIbLb1EES1P_EEDaS1K_S1L_EUlS1K_E_NS1_11comp_targetILNS1_3genE5ELNS1_11target_archE942ELNS1_3gpuE9ELNS1_3repE0EEENS1_30default_config_static_selectorELNS0_4arch9wavefront6targetE1EEEvSY_.kd
    .uniform_work_group_size: 1
    .uses_dynamic_stack: false
    .vgpr_count:     0
    .vgpr_spill_count: 0
    .wavefront_size: 64
  - .args:
      - .offset:         0
        .size:           152
        .value_kind:     by_value
    .group_segment_fixed_size: 0
    .kernarg_segment_align: 8
    .kernarg_segment_size: 152
    .language:       OpenCL C
    .language_version:
      - 2
      - 0
    .max_flat_workgroup_size: 256
    .name:           _ZN7rocprim17ROCPRIM_400000_NS6detail17trampoline_kernelINS0_13select_configILj256ELj13ELNS0_17block_load_methodE3ELS4_3ELS4_3ELNS0_20block_scan_algorithmE0ELj4294967295EEENS1_25partition_config_selectorILNS1_17partition_subalgoE3EjNS0_10empty_typeEbEEZZNS1_14partition_implILS8_3ELb0ES6_jNS0_17counting_iteratorIjlEEPS9_SE_NS0_5tupleIJPjSE_EEENSF_IJSE_SE_EEES9_SG_JZNS1_25segmented_radix_sort_implINS0_14default_configELb1EPKsPsPKlPlN2at6native12_GLOBAL__N_18offset_tEEE10hipError_tPvRmT1_PNSt15iterator_traitsISY_E10value_typeET2_T3_PNSZ_IS14_E10value_typeET4_jRbjT5_S1A_jjP12ihipStream_tbEUljE_EEESV_SW_SX_S14_S18_S1A_T6_T7_T9_mT8_S1C_bDpT10_ENKUlT_T0_E_clISt17integral_constantIbLb1EES1P_EEDaS1K_S1L_EUlS1K_E_NS1_11comp_targetILNS1_3genE4ELNS1_11target_archE910ELNS1_3gpuE8ELNS1_3repE0EEENS1_30default_config_static_selectorELNS0_4arch9wavefront6targetE1EEEvSY_
    .private_segment_fixed_size: 0
    .sgpr_count:     4
    .sgpr_spill_count: 0
    .symbol:         _ZN7rocprim17ROCPRIM_400000_NS6detail17trampoline_kernelINS0_13select_configILj256ELj13ELNS0_17block_load_methodE3ELS4_3ELS4_3ELNS0_20block_scan_algorithmE0ELj4294967295EEENS1_25partition_config_selectorILNS1_17partition_subalgoE3EjNS0_10empty_typeEbEEZZNS1_14partition_implILS8_3ELb0ES6_jNS0_17counting_iteratorIjlEEPS9_SE_NS0_5tupleIJPjSE_EEENSF_IJSE_SE_EEES9_SG_JZNS1_25segmented_radix_sort_implINS0_14default_configELb1EPKsPsPKlPlN2at6native12_GLOBAL__N_18offset_tEEE10hipError_tPvRmT1_PNSt15iterator_traitsISY_E10value_typeET2_T3_PNSZ_IS14_E10value_typeET4_jRbjT5_S1A_jjP12ihipStream_tbEUljE_EEESV_SW_SX_S14_S18_S1A_T6_T7_T9_mT8_S1C_bDpT10_ENKUlT_T0_E_clISt17integral_constantIbLb1EES1P_EEDaS1K_S1L_EUlS1K_E_NS1_11comp_targetILNS1_3genE4ELNS1_11target_archE910ELNS1_3gpuE8ELNS1_3repE0EEENS1_30default_config_static_selectorELNS0_4arch9wavefront6targetE1EEEvSY_.kd
    .uniform_work_group_size: 1
    .uses_dynamic_stack: false
    .vgpr_count:     0
    .vgpr_spill_count: 0
    .wavefront_size: 64
  - .args:
      - .offset:         0
        .size:           152
        .value_kind:     by_value
    .group_segment_fixed_size: 0
    .kernarg_segment_align: 8
    .kernarg_segment_size: 152
    .language:       OpenCL C
    .language_version:
      - 2
      - 0
    .max_flat_workgroup_size: 256
    .name:           _ZN7rocprim17ROCPRIM_400000_NS6detail17trampoline_kernelINS0_13select_configILj256ELj13ELNS0_17block_load_methodE3ELS4_3ELS4_3ELNS0_20block_scan_algorithmE0ELj4294967295EEENS1_25partition_config_selectorILNS1_17partition_subalgoE3EjNS0_10empty_typeEbEEZZNS1_14partition_implILS8_3ELb0ES6_jNS0_17counting_iteratorIjlEEPS9_SE_NS0_5tupleIJPjSE_EEENSF_IJSE_SE_EEES9_SG_JZNS1_25segmented_radix_sort_implINS0_14default_configELb1EPKsPsPKlPlN2at6native12_GLOBAL__N_18offset_tEEE10hipError_tPvRmT1_PNSt15iterator_traitsISY_E10value_typeET2_T3_PNSZ_IS14_E10value_typeET4_jRbjT5_S1A_jjP12ihipStream_tbEUljE_EEESV_SW_SX_S14_S18_S1A_T6_T7_T9_mT8_S1C_bDpT10_ENKUlT_T0_E_clISt17integral_constantIbLb1EES1P_EEDaS1K_S1L_EUlS1K_E_NS1_11comp_targetILNS1_3genE3ELNS1_11target_archE908ELNS1_3gpuE7ELNS1_3repE0EEENS1_30default_config_static_selectorELNS0_4arch9wavefront6targetE1EEEvSY_
    .private_segment_fixed_size: 0
    .sgpr_count:     4
    .sgpr_spill_count: 0
    .symbol:         _ZN7rocprim17ROCPRIM_400000_NS6detail17trampoline_kernelINS0_13select_configILj256ELj13ELNS0_17block_load_methodE3ELS4_3ELS4_3ELNS0_20block_scan_algorithmE0ELj4294967295EEENS1_25partition_config_selectorILNS1_17partition_subalgoE3EjNS0_10empty_typeEbEEZZNS1_14partition_implILS8_3ELb0ES6_jNS0_17counting_iteratorIjlEEPS9_SE_NS0_5tupleIJPjSE_EEENSF_IJSE_SE_EEES9_SG_JZNS1_25segmented_radix_sort_implINS0_14default_configELb1EPKsPsPKlPlN2at6native12_GLOBAL__N_18offset_tEEE10hipError_tPvRmT1_PNSt15iterator_traitsISY_E10value_typeET2_T3_PNSZ_IS14_E10value_typeET4_jRbjT5_S1A_jjP12ihipStream_tbEUljE_EEESV_SW_SX_S14_S18_S1A_T6_T7_T9_mT8_S1C_bDpT10_ENKUlT_T0_E_clISt17integral_constantIbLb1EES1P_EEDaS1K_S1L_EUlS1K_E_NS1_11comp_targetILNS1_3genE3ELNS1_11target_archE908ELNS1_3gpuE7ELNS1_3repE0EEENS1_30default_config_static_selectorELNS0_4arch9wavefront6targetE1EEEvSY_.kd
    .uniform_work_group_size: 1
    .uses_dynamic_stack: false
    .vgpr_count:     0
    .vgpr_spill_count: 0
    .wavefront_size: 64
  - .args:
      - .offset:         0
        .size:           152
        .value_kind:     by_value
    .group_segment_fixed_size: 0
    .kernarg_segment_align: 8
    .kernarg_segment_size: 152
    .language:       OpenCL C
    .language_version:
      - 2
      - 0
    .max_flat_workgroup_size: 256
    .name:           _ZN7rocprim17ROCPRIM_400000_NS6detail17trampoline_kernelINS0_13select_configILj256ELj13ELNS0_17block_load_methodE3ELS4_3ELS4_3ELNS0_20block_scan_algorithmE0ELj4294967295EEENS1_25partition_config_selectorILNS1_17partition_subalgoE3EjNS0_10empty_typeEbEEZZNS1_14partition_implILS8_3ELb0ES6_jNS0_17counting_iteratorIjlEEPS9_SE_NS0_5tupleIJPjSE_EEENSF_IJSE_SE_EEES9_SG_JZNS1_25segmented_radix_sort_implINS0_14default_configELb1EPKsPsPKlPlN2at6native12_GLOBAL__N_18offset_tEEE10hipError_tPvRmT1_PNSt15iterator_traitsISY_E10value_typeET2_T3_PNSZ_IS14_E10value_typeET4_jRbjT5_S1A_jjP12ihipStream_tbEUljE_EEESV_SW_SX_S14_S18_S1A_T6_T7_T9_mT8_S1C_bDpT10_ENKUlT_T0_E_clISt17integral_constantIbLb1EES1P_EEDaS1K_S1L_EUlS1K_E_NS1_11comp_targetILNS1_3genE2ELNS1_11target_archE906ELNS1_3gpuE6ELNS1_3repE0EEENS1_30default_config_static_selectorELNS0_4arch9wavefront6targetE1EEEvSY_
    .private_segment_fixed_size: 0
    .sgpr_count:     4
    .sgpr_spill_count: 0
    .symbol:         _ZN7rocprim17ROCPRIM_400000_NS6detail17trampoline_kernelINS0_13select_configILj256ELj13ELNS0_17block_load_methodE3ELS4_3ELS4_3ELNS0_20block_scan_algorithmE0ELj4294967295EEENS1_25partition_config_selectorILNS1_17partition_subalgoE3EjNS0_10empty_typeEbEEZZNS1_14partition_implILS8_3ELb0ES6_jNS0_17counting_iteratorIjlEEPS9_SE_NS0_5tupleIJPjSE_EEENSF_IJSE_SE_EEES9_SG_JZNS1_25segmented_radix_sort_implINS0_14default_configELb1EPKsPsPKlPlN2at6native12_GLOBAL__N_18offset_tEEE10hipError_tPvRmT1_PNSt15iterator_traitsISY_E10value_typeET2_T3_PNSZ_IS14_E10value_typeET4_jRbjT5_S1A_jjP12ihipStream_tbEUljE_EEESV_SW_SX_S14_S18_S1A_T6_T7_T9_mT8_S1C_bDpT10_ENKUlT_T0_E_clISt17integral_constantIbLb1EES1P_EEDaS1K_S1L_EUlS1K_E_NS1_11comp_targetILNS1_3genE2ELNS1_11target_archE906ELNS1_3gpuE6ELNS1_3repE0EEENS1_30default_config_static_selectorELNS0_4arch9wavefront6targetE1EEEvSY_.kd
    .uniform_work_group_size: 1
    .uses_dynamic_stack: false
    .vgpr_count:     0
    .vgpr_spill_count: 0
    .wavefront_size: 64
  - .args:
      - .offset:         0
        .size:           152
        .value_kind:     by_value
    .group_segment_fixed_size: 0
    .kernarg_segment_align: 8
    .kernarg_segment_size: 152
    .language:       OpenCL C
    .language_version:
      - 2
      - 0
    .max_flat_workgroup_size: 256
    .name:           _ZN7rocprim17ROCPRIM_400000_NS6detail17trampoline_kernelINS0_13select_configILj256ELj13ELNS0_17block_load_methodE3ELS4_3ELS4_3ELNS0_20block_scan_algorithmE0ELj4294967295EEENS1_25partition_config_selectorILNS1_17partition_subalgoE3EjNS0_10empty_typeEbEEZZNS1_14partition_implILS8_3ELb0ES6_jNS0_17counting_iteratorIjlEEPS9_SE_NS0_5tupleIJPjSE_EEENSF_IJSE_SE_EEES9_SG_JZNS1_25segmented_radix_sort_implINS0_14default_configELb1EPKsPsPKlPlN2at6native12_GLOBAL__N_18offset_tEEE10hipError_tPvRmT1_PNSt15iterator_traitsISY_E10value_typeET2_T3_PNSZ_IS14_E10value_typeET4_jRbjT5_S1A_jjP12ihipStream_tbEUljE_EEESV_SW_SX_S14_S18_S1A_T6_T7_T9_mT8_S1C_bDpT10_ENKUlT_T0_E_clISt17integral_constantIbLb1EES1P_EEDaS1K_S1L_EUlS1K_E_NS1_11comp_targetILNS1_3genE10ELNS1_11target_archE1200ELNS1_3gpuE4ELNS1_3repE0EEENS1_30default_config_static_selectorELNS0_4arch9wavefront6targetE1EEEvSY_
    .private_segment_fixed_size: 0
    .sgpr_count:     4
    .sgpr_spill_count: 0
    .symbol:         _ZN7rocprim17ROCPRIM_400000_NS6detail17trampoline_kernelINS0_13select_configILj256ELj13ELNS0_17block_load_methodE3ELS4_3ELS4_3ELNS0_20block_scan_algorithmE0ELj4294967295EEENS1_25partition_config_selectorILNS1_17partition_subalgoE3EjNS0_10empty_typeEbEEZZNS1_14partition_implILS8_3ELb0ES6_jNS0_17counting_iteratorIjlEEPS9_SE_NS0_5tupleIJPjSE_EEENSF_IJSE_SE_EEES9_SG_JZNS1_25segmented_radix_sort_implINS0_14default_configELb1EPKsPsPKlPlN2at6native12_GLOBAL__N_18offset_tEEE10hipError_tPvRmT1_PNSt15iterator_traitsISY_E10value_typeET2_T3_PNSZ_IS14_E10value_typeET4_jRbjT5_S1A_jjP12ihipStream_tbEUljE_EEESV_SW_SX_S14_S18_S1A_T6_T7_T9_mT8_S1C_bDpT10_ENKUlT_T0_E_clISt17integral_constantIbLb1EES1P_EEDaS1K_S1L_EUlS1K_E_NS1_11comp_targetILNS1_3genE10ELNS1_11target_archE1200ELNS1_3gpuE4ELNS1_3repE0EEENS1_30default_config_static_selectorELNS0_4arch9wavefront6targetE1EEEvSY_.kd
    .uniform_work_group_size: 1
    .uses_dynamic_stack: false
    .vgpr_count:     0
    .vgpr_spill_count: 0
    .wavefront_size: 64
  - .args:
      - .offset:         0
        .size:           152
        .value_kind:     by_value
    .group_segment_fixed_size: 0
    .kernarg_segment_align: 8
    .kernarg_segment_size: 152
    .language:       OpenCL C
    .language_version:
      - 2
      - 0
    .max_flat_workgroup_size: 256
    .name:           _ZN7rocprim17ROCPRIM_400000_NS6detail17trampoline_kernelINS0_13select_configILj256ELj13ELNS0_17block_load_methodE3ELS4_3ELS4_3ELNS0_20block_scan_algorithmE0ELj4294967295EEENS1_25partition_config_selectorILNS1_17partition_subalgoE3EjNS0_10empty_typeEbEEZZNS1_14partition_implILS8_3ELb0ES6_jNS0_17counting_iteratorIjlEEPS9_SE_NS0_5tupleIJPjSE_EEENSF_IJSE_SE_EEES9_SG_JZNS1_25segmented_radix_sort_implINS0_14default_configELb1EPKsPsPKlPlN2at6native12_GLOBAL__N_18offset_tEEE10hipError_tPvRmT1_PNSt15iterator_traitsISY_E10value_typeET2_T3_PNSZ_IS14_E10value_typeET4_jRbjT5_S1A_jjP12ihipStream_tbEUljE_EEESV_SW_SX_S14_S18_S1A_T6_T7_T9_mT8_S1C_bDpT10_ENKUlT_T0_E_clISt17integral_constantIbLb1EES1P_EEDaS1K_S1L_EUlS1K_E_NS1_11comp_targetILNS1_3genE9ELNS1_11target_archE1100ELNS1_3gpuE3ELNS1_3repE0EEENS1_30default_config_static_selectorELNS0_4arch9wavefront6targetE1EEEvSY_
    .private_segment_fixed_size: 0
    .sgpr_count:     4
    .sgpr_spill_count: 0
    .symbol:         _ZN7rocprim17ROCPRIM_400000_NS6detail17trampoline_kernelINS0_13select_configILj256ELj13ELNS0_17block_load_methodE3ELS4_3ELS4_3ELNS0_20block_scan_algorithmE0ELj4294967295EEENS1_25partition_config_selectorILNS1_17partition_subalgoE3EjNS0_10empty_typeEbEEZZNS1_14partition_implILS8_3ELb0ES6_jNS0_17counting_iteratorIjlEEPS9_SE_NS0_5tupleIJPjSE_EEENSF_IJSE_SE_EEES9_SG_JZNS1_25segmented_radix_sort_implINS0_14default_configELb1EPKsPsPKlPlN2at6native12_GLOBAL__N_18offset_tEEE10hipError_tPvRmT1_PNSt15iterator_traitsISY_E10value_typeET2_T3_PNSZ_IS14_E10value_typeET4_jRbjT5_S1A_jjP12ihipStream_tbEUljE_EEESV_SW_SX_S14_S18_S1A_T6_T7_T9_mT8_S1C_bDpT10_ENKUlT_T0_E_clISt17integral_constantIbLb1EES1P_EEDaS1K_S1L_EUlS1K_E_NS1_11comp_targetILNS1_3genE9ELNS1_11target_archE1100ELNS1_3gpuE3ELNS1_3repE0EEENS1_30default_config_static_selectorELNS0_4arch9wavefront6targetE1EEEvSY_.kd
    .uniform_work_group_size: 1
    .uses_dynamic_stack: false
    .vgpr_count:     0
    .vgpr_spill_count: 0
    .wavefront_size: 64
  - .args:
      - .offset:         0
        .size:           152
        .value_kind:     by_value
    .group_segment_fixed_size: 0
    .kernarg_segment_align: 8
    .kernarg_segment_size: 152
    .language:       OpenCL C
    .language_version:
      - 2
      - 0
    .max_flat_workgroup_size: 256
    .name:           _ZN7rocprim17ROCPRIM_400000_NS6detail17trampoline_kernelINS0_13select_configILj256ELj13ELNS0_17block_load_methodE3ELS4_3ELS4_3ELNS0_20block_scan_algorithmE0ELj4294967295EEENS1_25partition_config_selectorILNS1_17partition_subalgoE3EjNS0_10empty_typeEbEEZZNS1_14partition_implILS8_3ELb0ES6_jNS0_17counting_iteratorIjlEEPS9_SE_NS0_5tupleIJPjSE_EEENSF_IJSE_SE_EEES9_SG_JZNS1_25segmented_radix_sort_implINS0_14default_configELb1EPKsPsPKlPlN2at6native12_GLOBAL__N_18offset_tEEE10hipError_tPvRmT1_PNSt15iterator_traitsISY_E10value_typeET2_T3_PNSZ_IS14_E10value_typeET4_jRbjT5_S1A_jjP12ihipStream_tbEUljE_EEESV_SW_SX_S14_S18_S1A_T6_T7_T9_mT8_S1C_bDpT10_ENKUlT_T0_E_clISt17integral_constantIbLb1EES1P_EEDaS1K_S1L_EUlS1K_E_NS1_11comp_targetILNS1_3genE8ELNS1_11target_archE1030ELNS1_3gpuE2ELNS1_3repE0EEENS1_30default_config_static_selectorELNS0_4arch9wavefront6targetE1EEEvSY_
    .private_segment_fixed_size: 0
    .sgpr_count:     4
    .sgpr_spill_count: 0
    .symbol:         _ZN7rocprim17ROCPRIM_400000_NS6detail17trampoline_kernelINS0_13select_configILj256ELj13ELNS0_17block_load_methodE3ELS4_3ELS4_3ELNS0_20block_scan_algorithmE0ELj4294967295EEENS1_25partition_config_selectorILNS1_17partition_subalgoE3EjNS0_10empty_typeEbEEZZNS1_14partition_implILS8_3ELb0ES6_jNS0_17counting_iteratorIjlEEPS9_SE_NS0_5tupleIJPjSE_EEENSF_IJSE_SE_EEES9_SG_JZNS1_25segmented_radix_sort_implINS0_14default_configELb1EPKsPsPKlPlN2at6native12_GLOBAL__N_18offset_tEEE10hipError_tPvRmT1_PNSt15iterator_traitsISY_E10value_typeET2_T3_PNSZ_IS14_E10value_typeET4_jRbjT5_S1A_jjP12ihipStream_tbEUljE_EEESV_SW_SX_S14_S18_S1A_T6_T7_T9_mT8_S1C_bDpT10_ENKUlT_T0_E_clISt17integral_constantIbLb1EES1P_EEDaS1K_S1L_EUlS1K_E_NS1_11comp_targetILNS1_3genE8ELNS1_11target_archE1030ELNS1_3gpuE2ELNS1_3repE0EEENS1_30default_config_static_selectorELNS0_4arch9wavefront6targetE1EEEvSY_.kd
    .uniform_work_group_size: 1
    .uses_dynamic_stack: false
    .vgpr_count:     0
    .vgpr_spill_count: 0
    .wavefront_size: 64
  - .args:
      - .offset:         0
        .size:           144
        .value_kind:     by_value
    .group_segment_fixed_size: 0
    .kernarg_segment_align: 8
    .kernarg_segment_size: 144
    .language:       OpenCL C
    .language_version:
      - 2
      - 0
    .max_flat_workgroup_size: 256
    .name:           _ZN7rocprim17ROCPRIM_400000_NS6detail17trampoline_kernelINS0_13select_configILj256ELj13ELNS0_17block_load_methodE3ELS4_3ELS4_3ELNS0_20block_scan_algorithmE0ELj4294967295EEENS1_25partition_config_selectorILNS1_17partition_subalgoE3EjNS0_10empty_typeEbEEZZNS1_14partition_implILS8_3ELb0ES6_jNS0_17counting_iteratorIjlEEPS9_SE_NS0_5tupleIJPjSE_EEENSF_IJSE_SE_EEES9_SG_JZNS1_25segmented_radix_sort_implINS0_14default_configELb1EPKsPsPKlPlN2at6native12_GLOBAL__N_18offset_tEEE10hipError_tPvRmT1_PNSt15iterator_traitsISY_E10value_typeET2_T3_PNSZ_IS14_E10value_typeET4_jRbjT5_S1A_jjP12ihipStream_tbEUljE_EEESV_SW_SX_S14_S18_S1A_T6_T7_T9_mT8_S1C_bDpT10_ENKUlT_T0_E_clISt17integral_constantIbLb1EES1O_IbLb0EEEEDaS1K_S1L_EUlS1K_E_NS1_11comp_targetILNS1_3genE0ELNS1_11target_archE4294967295ELNS1_3gpuE0ELNS1_3repE0EEENS1_30default_config_static_selectorELNS0_4arch9wavefront6targetE1EEEvSY_
    .private_segment_fixed_size: 0
    .sgpr_count:     4
    .sgpr_spill_count: 0
    .symbol:         _ZN7rocprim17ROCPRIM_400000_NS6detail17trampoline_kernelINS0_13select_configILj256ELj13ELNS0_17block_load_methodE3ELS4_3ELS4_3ELNS0_20block_scan_algorithmE0ELj4294967295EEENS1_25partition_config_selectorILNS1_17partition_subalgoE3EjNS0_10empty_typeEbEEZZNS1_14partition_implILS8_3ELb0ES6_jNS0_17counting_iteratorIjlEEPS9_SE_NS0_5tupleIJPjSE_EEENSF_IJSE_SE_EEES9_SG_JZNS1_25segmented_radix_sort_implINS0_14default_configELb1EPKsPsPKlPlN2at6native12_GLOBAL__N_18offset_tEEE10hipError_tPvRmT1_PNSt15iterator_traitsISY_E10value_typeET2_T3_PNSZ_IS14_E10value_typeET4_jRbjT5_S1A_jjP12ihipStream_tbEUljE_EEESV_SW_SX_S14_S18_S1A_T6_T7_T9_mT8_S1C_bDpT10_ENKUlT_T0_E_clISt17integral_constantIbLb1EES1O_IbLb0EEEEDaS1K_S1L_EUlS1K_E_NS1_11comp_targetILNS1_3genE0ELNS1_11target_archE4294967295ELNS1_3gpuE0ELNS1_3repE0EEENS1_30default_config_static_selectorELNS0_4arch9wavefront6targetE1EEEvSY_.kd
    .uniform_work_group_size: 1
    .uses_dynamic_stack: false
    .vgpr_count:     0
    .vgpr_spill_count: 0
    .wavefront_size: 64
  - .args:
      - .offset:         0
        .size:           144
        .value_kind:     by_value
    .group_segment_fixed_size: 0
    .kernarg_segment_align: 8
    .kernarg_segment_size: 144
    .language:       OpenCL C
    .language_version:
      - 2
      - 0
    .max_flat_workgroup_size: 256
    .name:           _ZN7rocprim17ROCPRIM_400000_NS6detail17trampoline_kernelINS0_13select_configILj256ELj13ELNS0_17block_load_methodE3ELS4_3ELS4_3ELNS0_20block_scan_algorithmE0ELj4294967295EEENS1_25partition_config_selectorILNS1_17partition_subalgoE3EjNS0_10empty_typeEbEEZZNS1_14partition_implILS8_3ELb0ES6_jNS0_17counting_iteratorIjlEEPS9_SE_NS0_5tupleIJPjSE_EEENSF_IJSE_SE_EEES9_SG_JZNS1_25segmented_radix_sort_implINS0_14default_configELb1EPKsPsPKlPlN2at6native12_GLOBAL__N_18offset_tEEE10hipError_tPvRmT1_PNSt15iterator_traitsISY_E10value_typeET2_T3_PNSZ_IS14_E10value_typeET4_jRbjT5_S1A_jjP12ihipStream_tbEUljE_EEESV_SW_SX_S14_S18_S1A_T6_T7_T9_mT8_S1C_bDpT10_ENKUlT_T0_E_clISt17integral_constantIbLb1EES1O_IbLb0EEEEDaS1K_S1L_EUlS1K_E_NS1_11comp_targetILNS1_3genE5ELNS1_11target_archE942ELNS1_3gpuE9ELNS1_3repE0EEENS1_30default_config_static_selectorELNS0_4arch9wavefront6targetE1EEEvSY_
    .private_segment_fixed_size: 0
    .sgpr_count:     4
    .sgpr_spill_count: 0
    .symbol:         _ZN7rocprim17ROCPRIM_400000_NS6detail17trampoline_kernelINS0_13select_configILj256ELj13ELNS0_17block_load_methodE3ELS4_3ELS4_3ELNS0_20block_scan_algorithmE0ELj4294967295EEENS1_25partition_config_selectorILNS1_17partition_subalgoE3EjNS0_10empty_typeEbEEZZNS1_14partition_implILS8_3ELb0ES6_jNS0_17counting_iteratorIjlEEPS9_SE_NS0_5tupleIJPjSE_EEENSF_IJSE_SE_EEES9_SG_JZNS1_25segmented_radix_sort_implINS0_14default_configELb1EPKsPsPKlPlN2at6native12_GLOBAL__N_18offset_tEEE10hipError_tPvRmT1_PNSt15iterator_traitsISY_E10value_typeET2_T3_PNSZ_IS14_E10value_typeET4_jRbjT5_S1A_jjP12ihipStream_tbEUljE_EEESV_SW_SX_S14_S18_S1A_T6_T7_T9_mT8_S1C_bDpT10_ENKUlT_T0_E_clISt17integral_constantIbLb1EES1O_IbLb0EEEEDaS1K_S1L_EUlS1K_E_NS1_11comp_targetILNS1_3genE5ELNS1_11target_archE942ELNS1_3gpuE9ELNS1_3repE0EEENS1_30default_config_static_selectorELNS0_4arch9wavefront6targetE1EEEvSY_.kd
    .uniform_work_group_size: 1
    .uses_dynamic_stack: false
    .vgpr_count:     0
    .vgpr_spill_count: 0
    .wavefront_size: 64
  - .args:
      - .offset:         0
        .size:           144
        .value_kind:     by_value
    .group_segment_fixed_size: 0
    .kernarg_segment_align: 8
    .kernarg_segment_size: 144
    .language:       OpenCL C
    .language_version:
      - 2
      - 0
    .max_flat_workgroup_size: 256
    .name:           _ZN7rocprim17ROCPRIM_400000_NS6detail17trampoline_kernelINS0_13select_configILj256ELj13ELNS0_17block_load_methodE3ELS4_3ELS4_3ELNS0_20block_scan_algorithmE0ELj4294967295EEENS1_25partition_config_selectorILNS1_17partition_subalgoE3EjNS0_10empty_typeEbEEZZNS1_14partition_implILS8_3ELb0ES6_jNS0_17counting_iteratorIjlEEPS9_SE_NS0_5tupleIJPjSE_EEENSF_IJSE_SE_EEES9_SG_JZNS1_25segmented_radix_sort_implINS0_14default_configELb1EPKsPsPKlPlN2at6native12_GLOBAL__N_18offset_tEEE10hipError_tPvRmT1_PNSt15iterator_traitsISY_E10value_typeET2_T3_PNSZ_IS14_E10value_typeET4_jRbjT5_S1A_jjP12ihipStream_tbEUljE_EEESV_SW_SX_S14_S18_S1A_T6_T7_T9_mT8_S1C_bDpT10_ENKUlT_T0_E_clISt17integral_constantIbLb1EES1O_IbLb0EEEEDaS1K_S1L_EUlS1K_E_NS1_11comp_targetILNS1_3genE4ELNS1_11target_archE910ELNS1_3gpuE8ELNS1_3repE0EEENS1_30default_config_static_selectorELNS0_4arch9wavefront6targetE1EEEvSY_
    .private_segment_fixed_size: 0
    .sgpr_count:     4
    .sgpr_spill_count: 0
    .symbol:         _ZN7rocprim17ROCPRIM_400000_NS6detail17trampoline_kernelINS0_13select_configILj256ELj13ELNS0_17block_load_methodE3ELS4_3ELS4_3ELNS0_20block_scan_algorithmE0ELj4294967295EEENS1_25partition_config_selectorILNS1_17partition_subalgoE3EjNS0_10empty_typeEbEEZZNS1_14partition_implILS8_3ELb0ES6_jNS0_17counting_iteratorIjlEEPS9_SE_NS0_5tupleIJPjSE_EEENSF_IJSE_SE_EEES9_SG_JZNS1_25segmented_radix_sort_implINS0_14default_configELb1EPKsPsPKlPlN2at6native12_GLOBAL__N_18offset_tEEE10hipError_tPvRmT1_PNSt15iterator_traitsISY_E10value_typeET2_T3_PNSZ_IS14_E10value_typeET4_jRbjT5_S1A_jjP12ihipStream_tbEUljE_EEESV_SW_SX_S14_S18_S1A_T6_T7_T9_mT8_S1C_bDpT10_ENKUlT_T0_E_clISt17integral_constantIbLb1EES1O_IbLb0EEEEDaS1K_S1L_EUlS1K_E_NS1_11comp_targetILNS1_3genE4ELNS1_11target_archE910ELNS1_3gpuE8ELNS1_3repE0EEENS1_30default_config_static_selectorELNS0_4arch9wavefront6targetE1EEEvSY_.kd
    .uniform_work_group_size: 1
    .uses_dynamic_stack: false
    .vgpr_count:     0
    .vgpr_spill_count: 0
    .wavefront_size: 64
  - .args:
      - .offset:         0
        .size:           144
        .value_kind:     by_value
    .group_segment_fixed_size: 0
    .kernarg_segment_align: 8
    .kernarg_segment_size: 144
    .language:       OpenCL C
    .language_version:
      - 2
      - 0
    .max_flat_workgroup_size: 256
    .name:           _ZN7rocprim17ROCPRIM_400000_NS6detail17trampoline_kernelINS0_13select_configILj256ELj13ELNS0_17block_load_methodE3ELS4_3ELS4_3ELNS0_20block_scan_algorithmE0ELj4294967295EEENS1_25partition_config_selectorILNS1_17partition_subalgoE3EjNS0_10empty_typeEbEEZZNS1_14partition_implILS8_3ELb0ES6_jNS0_17counting_iteratorIjlEEPS9_SE_NS0_5tupleIJPjSE_EEENSF_IJSE_SE_EEES9_SG_JZNS1_25segmented_radix_sort_implINS0_14default_configELb1EPKsPsPKlPlN2at6native12_GLOBAL__N_18offset_tEEE10hipError_tPvRmT1_PNSt15iterator_traitsISY_E10value_typeET2_T3_PNSZ_IS14_E10value_typeET4_jRbjT5_S1A_jjP12ihipStream_tbEUljE_EEESV_SW_SX_S14_S18_S1A_T6_T7_T9_mT8_S1C_bDpT10_ENKUlT_T0_E_clISt17integral_constantIbLb1EES1O_IbLb0EEEEDaS1K_S1L_EUlS1K_E_NS1_11comp_targetILNS1_3genE3ELNS1_11target_archE908ELNS1_3gpuE7ELNS1_3repE0EEENS1_30default_config_static_selectorELNS0_4arch9wavefront6targetE1EEEvSY_
    .private_segment_fixed_size: 0
    .sgpr_count:     4
    .sgpr_spill_count: 0
    .symbol:         _ZN7rocprim17ROCPRIM_400000_NS6detail17trampoline_kernelINS0_13select_configILj256ELj13ELNS0_17block_load_methodE3ELS4_3ELS4_3ELNS0_20block_scan_algorithmE0ELj4294967295EEENS1_25partition_config_selectorILNS1_17partition_subalgoE3EjNS0_10empty_typeEbEEZZNS1_14partition_implILS8_3ELb0ES6_jNS0_17counting_iteratorIjlEEPS9_SE_NS0_5tupleIJPjSE_EEENSF_IJSE_SE_EEES9_SG_JZNS1_25segmented_radix_sort_implINS0_14default_configELb1EPKsPsPKlPlN2at6native12_GLOBAL__N_18offset_tEEE10hipError_tPvRmT1_PNSt15iterator_traitsISY_E10value_typeET2_T3_PNSZ_IS14_E10value_typeET4_jRbjT5_S1A_jjP12ihipStream_tbEUljE_EEESV_SW_SX_S14_S18_S1A_T6_T7_T9_mT8_S1C_bDpT10_ENKUlT_T0_E_clISt17integral_constantIbLb1EES1O_IbLb0EEEEDaS1K_S1L_EUlS1K_E_NS1_11comp_targetILNS1_3genE3ELNS1_11target_archE908ELNS1_3gpuE7ELNS1_3repE0EEENS1_30default_config_static_selectorELNS0_4arch9wavefront6targetE1EEEvSY_.kd
    .uniform_work_group_size: 1
    .uses_dynamic_stack: false
    .vgpr_count:     0
    .vgpr_spill_count: 0
    .wavefront_size: 64
  - .args:
      - .offset:         0
        .size:           144
        .value_kind:     by_value
    .group_segment_fixed_size: 0
    .kernarg_segment_align: 8
    .kernarg_segment_size: 144
    .language:       OpenCL C
    .language_version:
      - 2
      - 0
    .max_flat_workgroup_size: 256
    .name:           _ZN7rocprim17ROCPRIM_400000_NS6detail17trampoline_kernelINS0_13select_configILj256ELj13ELNS0_17block_load_methodE3ELS4_3ELS4_3ELNS0_20block_scan_algorithmE0ELj4294967295EEENS1_25partition_config_selectorILNS1_17partition_subalgoE3EjNS0_10empty_typeEbEEZZNS1_14partition_implILS8_3ELb0ES6_jNS0_17counting_iteratorIjlEEPS9_SE_NS0_5tupleIJPjSE_EEENSF_IJSE_SE_EEES9_SG_JZNS1_25segmented_radix_sort_implINS0_14default_configELb1EPKsPsPKlPlN2at6native12_GLOBAL__N_18offset_tEEE10hipError_tPvRmT1_PNSt15iterator_traitsISY_E10value_typeET2_T3_PNSZ_IS14_E10value_typeET4_jRbjT5_S1A_jjP12ihipStream_tbEUljE_EEESV_SW_SX_S14_S18_S1A_T6_T7_T9_mT8_S1C_bDpT10_ENKUlT_T0_E_clISt17integral_constantIbLb1EES1O_IbLb0EEEEDaS1K_S1L_EUlS1K_E_NS1_11comp_targetILNS1_3genE2ELNS1_11target_archE906ELNS1_3gpuE6ELNS1_3repE0EEENS1_30default_config_static_selectorELNS0_4arch9wavefront6targetE1EEEvSY_
    .private_segment_fixed_size: 0
    .sgpr_count:     4
    .sgpr_spill_count: 0
    .symbol:         _ZN7rocprim17ROCPRIM_400000_NS6detail17trampoline_kernelINS0_13select_configILj256ELj13ELNS0_17block_load_methodE3ELS4_3ELS4_3ELNS0_20block_scan_algorithmE0ELj4294967295EEENS1_25partition_config_selectorILNS1_17partition_subalgoE3EjNS0_10empty_typeEbEEZZNS1_14partition_implILS8_3ELb0ES6_jNS0_17counting_iteratorIjlEEPS9_SE_NS0_5tupleIJPjSE_EEENSF_IJSE_SE_EEES9_SG_JZNS1_25segmented_radix_sort_implINS0_14default_configELb1EPKsPsPKlPlN2at6native12_GLOBAL__N_18offset_tEEE10hipError_tPvRmT1_PNSt15iterator_traitsISY_E10value_typeET2_T3_PNSZ_IS14_E10value_typeET4_jRbjT5_S1A_jjP12ihipStream_tbEUljE_EEESV_SW_SX_S14_S18_S1A_T6_T7_T9_mT8_S1C_bDpT10_ENKUlT_T0_E_clISt17integral_constantIbLb1EES1O_IbLb0EEEEDaS1K_S1L_EUlS1K_E_NS1_11comp_targetILNS1_3genE2ELNS1_11target_archE906ELNS1_3gpuE6ELNS1_3repE0EEENS1_30default_config_static_selectorELNS0_4arch9wavefront6targetE1EEEvSY_.kd
    .uniform_work_group_size: 1
    .uses_dynamic_stack: false
    .vgpr_count:     0
    .vgpr_spill_count: 0
    .wavefront_size: 64
  - .args:
      - .offset:         0
        .size:           144
        .value_kind:     by_value
    .group_segment_fixed_size: 0
    .kernarg_segment_align: 8
    .kernarg_segment_size: 144
    .language:       OpenCL C
    .language_version:
      - 2
      - 0
    .max_flat_workgroup_size: 256
    .name:           _ZN7rocprim17ROCPRIM_400000_NS6detail17trampoline_kernelINS0_13select_configILj256ELj13ELNS0_17block_load_methodE3ELS4_3ELS4_3ELNS0_20block_scan_algorithmE0ELj4294967295EEENS1_25partition_config_selectorILNS1_17partition_subalgoE3EjNS0_10empty_typeEbEEZZNS1_14partition_implILS8_3ELb0ES6_jNS0_17counting_iteratorIjlEEPS9_SE_NS0_5tupleIJPjSE_EEENSF_IJSE_SE_EEES9_SG_JZNS1_25segmented_radix_sort_implINS0_14default_configELb1EPKsPsPKlPlN2at6native12_GLOBAL__N_18offset_tEEE10hipError_tPvRmT1_PNSt15iterator_traitsISY_E10value_typeET2_T3_PNSZ_IS14_E10value_typeET4_jRbjT5_S1A_jjP12ihipStream_tbEUljE_EEESV_SW_SX_S14_S18_S1A_T6_T7_T9_mT8_S1C_bDpT10_ENKUlT_T0_E_clISt17integral_constantIbLb1EES1O_IbLb0EEEEDaS1K_S1L_EUlS1K_E_NS1_11comp_targetILNS1_3genE10ELNS1_11target_archE1200ELNS1_3gpuE4ELNS1_3repE0EEENS1_30default_config_static_selectorELNS0_4arch9wavefront6targetE1EEEvSY_
    .private_segment_fixed_size: 0
    .sgpr_count:     4
    .sgpr_spill_count: 0
    .symbol:         _ZN7rocprim17ROCPRIM_400000_NS6detail17trampoline_kernelINS0_13select_configILj256ELj13ELNS0_17block_load_methodE3ELS4_3ELS4_3ELNS0_20block_scan_algorithmE0ELj4294967295EEENS1_25partition_config_selectorILNS1_17partition_subalgoE3EjNS0_10empty_typeEbEEZZNS1_14partition_implILS8_3ELb0ES6_jNS0_17counting_iteratorIjlEEPS9_SE_NS0_5tupleIJPjSE_EEENSF_IJSE_SE_EEES9_SG_JZNS1_25segmented_radix_sort_implINS0_14default_configELb1EPKsPsPKlPlN2at6native12_GLOBAL__N_18offset_tEEE10hipError_tPvRmT1_PNSt15iterator_traitsISY_E10value_typeET2_T3_PNSZ_IS14_E10value_typeET4_jRbjT5_S1A_jjP12ihipStream_tbEUljE_EEESV_SW_SX_S14_S18_S1A_T6_T7_T9_mT8_S1C_bDpT10_ENKUlT_T0_E_clISt17integral_constantIbLb1EES1O_IbLb0EEEEDaS1K_S1L_EUlS1K_E_NS1_11comp_targetILNS1_3genE10ELNS1_11target_archE1200ELNS1_3gpuE4ELNS1_3repE0EEENS1_30default_config_static_selectorELNS0_4arch9wavefront6targetE1EEEvSY_.kd
    .uniform_work_group_size: 1
    .uses_dynamic_stack: false
    .vgpr_count:     0
    .vgpr_spill_count: 0
    .wavefront_size: 64
  - .args:
      - .offset:         0
        .size:           144
        .value_kind:     by_value
    .group_segment_fixed_size: 0
    .kernarg_segment_align: 8
    .kernarg_segment_size: 144
    .language:       OpenCL C
    .language_version:
      - 2
      - 0
    .max_flat_workgroup_size: 256
    .name:           _ZN7rocprim17ROCPRIM_400000_NS6detail17trampoline_kernelINS0_13select_configILj256ELj13ELNS0_17block_load_methodE3ELS4_3ELS4_3ELNS0_20block_scan_algorithmE0ELj4294967295EEENS1_25partition_config_selectorILNS1_17partition_subalgoE3EjNS0_10empty_typeEbEEZZNS1_14partition_implILS8_3ELb0ES6_jNS0_17counting_iteratorIjlEEPS9_SE_NS0_5tupleIJPjSE_EEENSF_IJSE_SE_EEES9_SG_JZNS1_25segmented_radix_sort_implINS0_14default_configELb1EPKsPsPKlPlN2at6native12_GLOBAL__N_18offset_tEEE10hipError_tPvRmT1_PNSt15iterator_traitsISY_E10value_typeET2_T3_PNSZ_IS14_E10value_typeET4_jRbjT5_S1A_jjP12ihipStream_tbEUljE_EEESV_SW_SX_S14_S18_S1A_T6_T7_T9_mT8_S1C_bDpT10_ENKUlT_T0_E_clISt17integral_constantIbLb1EES1O_IbLb0EEEEDaS1K_S1L_EUlS1K_E_NS1_11comp_targetILNS1_3genE9ELNS1_11target_archE1100ELNS1_3gpuE3ELNS1_3repE0EEENS1_30default_config_static_selectorELNS0_4arch9wavefront6targetE1EEEvSY_
    .private_segment_fixed_size: 0
    .sgpr_count:     4
    .sgpr_spill_count: 0
    .symbol:         _ZN7rocprim17ROCPRIM_400000_NS6detail17trampoline_kernelINS0_13select_configILj256ELj13ELNS0_17block_load_methodE3ELS4_3ELS4_3ELNS0_20block_scan_algorithmE0ELj4294967295EEENS1_25partition_config_selectorILNS1_17partition_subalgoE3EjNS0_10empty_typeEbEEZZNS1_14partition_implILS8_3ELb0ES6_jNS0_17counting_iteratorIjlEEPS9_SE_NS0_5tupleIJPjSE_EEENSF_IJSE_SE_EEES9_SG_JZNS1_25segmented_radix_sort_implINS0_14default_configELb1EPKsPsPKlPlN2at6native12_GLOBAL__N_18offset_tEEE10hipError_tPvRmT1_PNSt15iterator_traitsISY_E10value_typeET2_T3_PNSZ_IS14_E10value_typeET4_jRbjT5_S1A_jjP12ihipStream_tbEUljE_EEESV_SW_SX_S14_S18_S1A_T6_T7_T9_mT8_S1C_bDpT10_ENKUlT_T0_E_clISt17integral_constantIbLb1EES1O_IbLb0EEEEDaS1K_S1L_EUlS1K_E_NS1_11comp_targetILNS1_3genE9ELNS1_11target_archE1100ELNS1_3gpuE3ELNS1_3repE0EEENS1_30default_config_static_selectorELNS0_4arch9wavefront6targetE1EEEvSY_.kd
    .uniform_work_group_size: 1
    .uses_dynamic_stack: false
    .vgpr_count:     0
    .vgpr_spill_count: 0
    .wavefront_size: 64
  - .args:
      - .offset:         0
        .size:           144
        .value_kind:     by_value
    .group_segment_fixed_size: 0
    .kernarg_segment_align: 8
    .kernarg_segment_size: 144
    .language:       OpenCL C
    .language_version:
      - 2
      - 0
    .max_flat_workgroup_size: 256
    .name:           _ZN7rocprim17ROCPRIM_400000_NS6detail17trampoline_kernelINS0_13select_configILj256ELj13ELNS0_17block_load_methodE3ELS4_3ELS4_3ELNS0_20block_scan_algorithmE0ELj4294967295EEENS1_25partition_config_selectorILNS1_17partition_subalgoE3EjNS0_10empty_typeEbEEZZNS1_14partition_implILS8_3ELb0ES6_jNS0_17counting_iteratorIjlEEPS9_SE_NS0_5tupleIJPjSE_EEENSF_IJSE_SE_EEES9_SG_JZNS1_25segmented_radix_sort_implINS0_14default_configELb1EPKsPsPKlPlN2at6native12_GLOBAL__N_18offset_tEEE10hipError_tPvRmT1_PNSt15iterator_traitsISY_E10value_typeET2_T3_PNSZ_IS14_E10value_typeET4_jRbjT5_S1A_jjP12ihipStream_tbEUljE_EEESV_SW_SX_S14_S18_S1A_T6_T7_T9_mT8_S1C_bDpT10_ENKUlT_T0_E_clISt17integral_constantIbLb1EES1O_IbLb0EEEEDaS1K_S1L_EUlS1K_E_NS1_11comp_targetILNS1_3genE8ELNS1_11target_archE1030ELNS1_3gpuE2ELNS1_3repE0EEENS1_30default_config_static_selectorELNS0_4arch9wavefront6targetE1EEEvSY_
    .private_segment_fixed_size: 0
    .sgpr_count:     4
    .sgpr_spill_count: 0
    .symbol:         _ZN7rocprim17ROCPRIM_400000_NS6detail17trampoline_kernelINS0_13select_configILj256ELj13ELNS0_17block_load_methodE3ELS4_3ELS4_3ELNS0_20block_scan_algorithmE0ELj4294967295EEENS1_25partition_config_selectorILNS1_17partition_subalgoE3EjNS0_10empty_typeEbEEZZNS1_14partition_implILS8_3ELb0ES6_jNS0_17counting_iteratorIjlEEPS9_SE_NS0_5tupleIJPjSE_EEENSF_IJSE_SE_EEES9_SG_JZNS1_25segmented_radix_sort_implINS0_14default_configELb1EPKsPsPKlPlN2at6native12_GLOBAL__N_18offset_tEEE10hipError_tPvRmT1_PNSt15iterator_traitsISY_E10value_typeET2_T3_PNSZ_IS14_E10value_typeET4_jRbjT5_S1A_jjP12ihipStream_tbEUljE_EEESV_SW_SX_S14_S18_S1A_T6_T7_T9_mT8_S1C_bDpT10_ENKUlT_T0_E_clISt17integral_constantIbLb1EES1O_IbLb0EEEEDaS1K_S1L_EUlS1K_E_NS1_11comp_targetILNS1_3genE8ELNS1_11target_archE1030ELNS1_3gpuE2ELNS1_3repE0EEENS1_30default_config_static_selectorELNS0_4arch9wavefront6targetE1EEEvSY_.kd
    .uniform_work_group_size: 1
    .uses_dynamic_stack: false
    .vgpr_count:     0
    .vgpr_spill_count: 0
    .wavefront_size: 64
  - .args:
      - .offset:         0
        .size:           152
        .value_kind:     by_value
    .group_segment_fixed_size: 0
    .kernarg_segment_align: 8
    .kernarg_segment_size: 152
    .language:       OpenCL C
    .language_version:
      - 2
      - 0
    .max_flat_workgroup_size: 256
    .name:           _ZN7rocprim17ROCPRIM_400000_NS6detail17trampoline_kernelINS0_13select_configILj256ELj13ELNS0_17block_load_methodE3ELS4_3ELS4_3ELNS0_20block_scan_algorithmE0ELj4294967295EEENS1_25partition_config_selectorILNS1_17partition_subalgoE3EjNS0_10empty_typeEbEEZZNS1_14partition_implILS8_3ELb0ES6_jNS0_17counting_iteratorIjlEEPS9_SE_NS0_5tupleIJPjSE_EEENSF_IJSE_SE_EEES9_SG_JZNS1_25segmented_radix_sort_implINS0_14default_configELb1EPKsPsPKlPlN2at6native12_GLOBAL__N_18offset_tEEE10hipError_tPvRmT1_PNSt15iterator_traitsISY_E10value_typeET2_T3_PNSZ_IS14_E10value_typeET4_jRbjT5_S1A_jjP12ihipStream_tbEUljE_EEESV_SW_SX_S14_S18_S1A_T6_T7_T9_mT8_S1C_bDpT10_ENKUlT_T0_E_clISt17integral_constantIbLb0EES1O_IbLb1EEEEDaS1K_S1L_EUlS1K_E_NS1_11comp_targetILNS1_3genE0ELNS1_11target_archE4294967295ELNS1_3gpuE0ELNS1_3repE0EEENS1_30default_config_static_selectorELNS0_4arch9wavefront6targetE1EEEvSY_
    .private_segment_fixed_size: 0
    .sgpr_count:     4
    .sgpr_spill_count: 0
    .symbol:         _ZN7rocprim17ROCPRIM_400000_NS6detail17trampoline_kernelINS0_13select_configILj256ELj13ELNS0_17block_load_methodE3ELS4_3ELS4_3ELNS0_20block_scan_algorithmE0ELj4294967295EEENS1_25partition_config_selectorILNS1_17partition_subalgoE3EjNS0_10empty_typeEbEEZZNS1_14partition_implILS8_3ELb0ES6_jNS0_17counting_iteratorIjlEEPS9_SE_NS0_5tupleIJPjSE_EEENSF_IJSE_SE_EEES9_SG_JZNS1_25segmented_radix_sort_implINS0_14default_configELb1EPKsPsPKlPlN2at6native12_GLOBAL__N_18offset_tEEE10hipError_tPvRmT1_PNSt15iterator_traitsISY_E10value_typeET2_T3_PNSZ_IS14_E10value_typeET4_jRbjT5_S1A_jjP12ihipStream_tbEUljE_EEESV_SW_SX_S14_S18_S1A_T6_T7_T9_mT8_S1C_bDpT10_ENKUlT_T0_E_clISt17integral_constantIbLb0EES1O_IbLb1EEEEDaS1K_S1L_EUlS1K_E_NS1_11comp_targetILNS1_3genE0ELNS1_11target_archE4294967295ELNS1_3gpuE0ELNS1_3repE0EEENS1_30default_config_static_selectorELNS0_4arch9wavefront6targetE1EEEvSY_.kd
    .uniform_work_group_size: 1
    .uses_dynamic_stack: false
    .vgpr_count:     0
    .vgpr_spill_count: 0
    .wavefront_size: 64
  - .args:
      - .offset:         0
        .size:           152
        .value_kind:     by_value
    .group_segment_fixed_size: 0
    .kernarg_segment_align: 8
    .kernarg_segment_size: 152
    .language:       OpenCL C
    .language_version:
      - 2
      - 0
    .max_flat_workgroup_size: 256
    .name:           _ZN7rocprim17ROCPRIM_400000_NS6detail17trampoline_kernelINS0_13select_configILj256ELj13ELNS0_17block_load_methodE3ELS4_3ELS4_3ELNS0_20block_scan_algorithmE0ELj4294967295EEENS1_25partition_config_selectorILNS1_17partition_subalgoE3EjNS0_10empty_typeEbEEZZNS1_14partition_implILS8_3ELb0ES6_jNS0_17counting_iteratorIjlEEPS9_SE_NS0_5tupleIJPjSE_EEENSF_IJSE_SE_EEES9_SG_JZNS1_25segmented_radix_sort_implINS0_14default_configELb1EPKsPsPKlPlN2at6native12_GLOBAL__N_18offset_tEEE10hipError_tPvRmT1_PNSt15iterator_traitsISY_E10value_typeET2_T3_PNSZ_IS14_E10value_typeET4_jRbjT5_S1A_jjP12ihipStream_tbEUljE_EEESV_SW_SX_S14_S18_S1A_T6_T7_T9_mT8_S1C_bDpT10_ENKUlT_T0_E_clISt17integral_constantIbLb0EES1O_IbLb1EEEEDaS1K_S1L_EUlS1K_E_NS1_11comp_targetILNS1_3genE5ELNS1_11target_archE942ELNS1_3gpuE9ELNS1_3repE0EEENS1_30default_config_static_selectorELNS0_4arch9wavefront6targetE1EEEvSY_
    .private_segment_fixed_size: 0
    .sgpr_count:     4
    .sgpr_spill_count: 0
    .symbol:         _ZN7rocprim17ROCPRIM_400000_NS6detail17trampoline_kernelINS0_13select_configILj256ELj13ELNS0_17block_load_methodE3ELS4_3ELS4_3ELNS0_20block_scan_algorithmE0ELj4294967295EEENS1_25partition_config_selectorILNS1_17partition_subalgoE3EjNS0_10empty_typeEbEEZZNS1_14partition_implILS8_3ELb0ES6_jNS0_17counting_iteratorIjlEEPS9_SE_NS0_5tupleIJPjSE_EEENSF_IJSE_SE_EEES9_SG_JZNS1_25segmented_radix_sort_implINS0_14default_configELb1EPKsPsPKlPlN2at6native12_GLOBAL__N_18offset_tEEE10hipError_tPvRmT1_PNSt15iterator_traitsISY_E10value_typeET2_T3_PNSZ_IS14_E10value_typeET4_jRbjT5_S1A_jjP12ihipStream_tbEUljE_EEESV_SW_SX_S14_S18_S1A_T6_T7_T9_mT8_S1C_bDpT10_ENKUlT_T0_E_clISt17integral_constantIbLb0EES1O_IbLb1EEEEDaS1K_S1L_EUlS1K_E_NS1_11comp_targetILNS1_3genE5ELNS1_11target_archE942ELNS1_3gpuE9ELNS1_3repE0EEENS1_30default_config_static_selectorELNS0_4arch9wavefront6targetE1EEEvSY_.kd
    .uniform_work_group_size: 1
    .uses_dynamic_stack: false
    .vgpr_count:     0
    .vgpr_spill_count: 0
    .wavefront_size: 64
  - .args:
      - .offset:         0
        .size:           152
        .value_kind:     by_value
    .group_segment_fixed_size: 0
    .kernarg_segment_align: 8
    .kernarg_segment_size: 152
    .language:       OpenCL C
    .language_version:
      - 2
      - 0
    .max_flat_workgroup_size: 256
    .name:           _ZN7rocprim17ROCPRIM_400000_NS6detail17trampoline_kernelINS0_13select_configILj256ELj13ELNS0_17block_load_methodE3ELS4_3ELS4_3ELNS0_20block_scan_algorithmE0ELj4294967295EEENS1_25partition_config_selectorILNS1_17partition_subalgoE3EjNS0_10empty_typeEbEEZZNS1_14partition_implILS8_3ELb0ES6_jNS0_17counting_iteratorIjlEEPS9_SE_NS0_5tupleIJPjSE_EEENSF_IJSE_SE_EEES9_SG_JZNS1_25segmented_radix_sort_implINS0_14default_configELb1EPKsPsPKlPlN2at6native12_GLOBAL__N_18offset_tEEE10hipError_tPvRmT1_PNSt15iterator_traitsISY_E10value_typeET2_T3_PNSZ_IS14_E10value_typeET4_jRbjT5_S1A_jjP12ihipStream_tbEUljE_EEESV_SW_SX_S14_S18_S1A_T6_T7_T9_mT8_S1C_bDpT10_ENKUlT_T0_E_clISt17integral_constantIbLb0EES1O_IbLb1EEEEDaS1K_S1L_EUlS1K_E_NS1_11comp_targetILNS1_3genE4ELNS1_11target_archE910ELNS1_3gpuE8ELNS1_3repE0EEENS1_30default_config_static_selectorELNS0_4arch9wavefront6targetE1EEEvSY_
    .private_segment_fixed_size: 0
    .sgpr_count:     4
    .sgpr_spill_count: 0
    .symbol:         _ZN7rocprim17ROCPRIM_400000_NS6detail17trampoline_kernelINS0_13select_configILj256ELj13ELNS0_17block_load_methodE3ELS4_3ELS4_3ELNS0_20block_scan_algorithmE0ELj4294967295EEENS1_25partition_config_selectorILNS1_17partition_subalgoE3EjNS0_10empty_typeEbEEZZNS1_14partition_implILS8_3ELb0ES6_jNS0_17counting_iteratorIjlEEPS9_SE_NS0_5tupleIJPjSE_EEENSF_IJSE_SE_EEES9_SG_JZNS1_25segmented_radix_sort_implINS0_14default_configELb1EPKsPsPKlPlN2at6native12_GLOBAL__N_18offset_tEEE10hipError_tPvRmT1_PNSt15iterator_traitsISY_E10value_typeET2_T3_PNSZ_IS14_E10value_typeET4_jRbjT5_S1A_jjP12ihipStream_tbEUljE_EEESV_SW_SX_S14_S18_S1A_T6_T7_T9_mT8_S1C_bDpT10_ENKUlT_T0_E_clISt17integral_constantIbLb0EES1O_IbLb1EEEEDaS1K_S1L_EUlS1K_E_NS1_11comp_targetILNS1_3genE4ELNS1_11target_archE910ELNS1_3gpuE8ELNS1_3repE0EEENS1_30default_config_static_selectorELNS0_4arch9wavefront6targetE1EEEvSY_.kd
    .uniform_work_group_size: 1
    .uses_dynamic_stack: false
    .vgpr_count:     0
    .vgpr_spill_count: 0
    .wavefront_size: 64
  - .args:
      - .offset:         0
        .size:           152
        .value_kind:     by_value
    .group_segment_fixed_size: 0
    .kernarg_segment_align: 8
    .kernarg_segment_size: 152
    .language:       OpenCL C
    .language_version:
      - 2
      - 0
    .max_flat_workgroup_size: 256
    .name:           _ZN7rocprim17ROCPRIM_400000_NS6detail17trampoline_kernelINS0_13select_configILj256ELj13ELNS0_17block_load_methodE3ELS4_3ELS4_3ELNS0_20block_scan_algorithmE0ELj4294967295EEENS1_25partition_config_selectorILNS1_17partition_subalgoE3EjNS0_10empty_typeEbEEZZNS1_14partition_implILS8_3ELb0ES6_jNS0_17counting_iteratorIjlEEPS9_SE_NS0_5tupleIJPjSE_EEENSF_IJSE_SE_EEES9_SG_JZNS1_25segmented_radix_sort_implINS0_14default_configELb1EPKsPsPKlPlN2at6native12_GLOBAL__N_18offset_tEEE10hipError_tPvRmT1_PNSt15iterator_traitsISY_E10value_typeET2_T3_PNSZ_IS14_E10value_typeET4_jRbjT5_S1A_jjP12ihipStream_tbEUljE_EEESV_SW_SX_S14_S18_S1A_T6_T7_T9_mT8_S1C_bDpT10_ENKUlT_T0_E_clISt17integral_constantIbLb0EES1O_IbLb1EEEEDaS1K_S1L_EUlS1K_E_NS1_11comp_targetILNS1_3genE3ELNS1_11target_archE908ELNS1_3gpuE7ELNS1_3repE0EEENS1_30default_config_static_selectorELNS0_4arch9wavefront6targetE1EEEvSY_
    .private_segment_fixed_size: 0
    .sgpr_count:     4
    .sgpr_spill_count: 0
    .symbol:         _ZN7rocprim17ROCPRIM_400000_NS6detail17trampoline_kernelINS0_13select_configILj256ELj13ELNS0_17block_load_methodE3ELS4_3ELS4_3ELNS0_20block_scan_algorithmE0ELj4294967295EEENS1_25partition_config_selectorILNS1_17partition_subalgoE3EjNS0_10empty_typeEbEEZZNS1_14partition_implILS8_3ELb0ES6_jNS0_17counting_iteratorIjlEEPS9_SE_NS0_5tupleIJPjSE_EEENSF_IJSE_SE_EEES9_SG_JZNS1_25segmented_radix_sort_implINS0_14default_configELb1EPKsPsPKlPlN2at6native12_GLOBAL__N_18offset_tEEE10hipError_tPvRmT1_PNSt15iterator_traitsISY_E10value_typeET2_T3_PNSZ_IS14_E10value_typeET4_jRbjT5_S1A_jjP12ihipStream_tbEUljE_EEESV_SW_SX_S14_S18_S1A_T6_T7_T9_mT8_S1C_bDpT10_ENKUlT_T0_E_clISt17integral_constantIbLb0EES1O_IbLb1EEEEDaS1K_S1L_EUlS1K_E_NS1_11comp_targetILNS1_3genE3ELNS1_11target_archE908ELNS1_3gpuE7ELNS1_3repE0EEENS1_30default_config_static_selectorELNS0_4arch9wavefront6targetE1EEEvSY_.kd
    .uniform_work_group_size: 1
    .uses_dynamic_stack: false
    .vgpr_count:     0
    .vgpr_spill_count: 0
    .wavefront_size: 64
  - .args:
      - .offset:         0
        .size:           152
        .value_kind:     by_value
    .group_segment_fixed_size: 13320
    .kernarg_segment_align: 8
    .kernarg_segment_size: 152
    .language:       OpenCL C
    .language_version:
      - 2
      - 0
    .max_flat_workgroup_size: 256
    .name:           _ZN7rocprim17ROCPRIM_400000_NS6detail17trampoline_kernelINS0_13select_configILj256ELj13ELNS0_17block_load_methodE3ELS4_3ELS4_3ELNS0_20block_scan_algorithmE0ELj4294967295EEENS1_25partition_config_selectorILNS1_17partition_subalgoE3EjNS0_10empty_typeEbEEZZNS1_14partition_implILS8_3ELb0ES6_jNS0_17counting_iteratorIjlEEPS9_SE_NS0_5tupleIJPjSE_EEENSF_IJSE_SE_EEES9_SG_JZNS1_25segmented_radix_sort_implINS0_14default_configELb1EPKsPsPKlPlN2at6native12_GLOBAL__N_18offset_tEEE10hipError_tPvRmT1_PNSt15iterator_traitsISY_E10value_typeET2_T3_PNSZ_IS14_E10value_typeET4_jRbjT5_S1A_jjP12ihipStream_tbEUljE_EEESV_SW_SX_S14_S18_S1A_T6_T7_T9_mT8_S1C_bDpT10_ENKUlT_T0_E_clISt17integral_constantIbLb0EES1O_IbLb1EEEEDaS1K_S1L_EUlS1K_E_NS1_11comp_targetILNS1_3genE2ELNS1_11target_archE906ELNS1_3gpuE6ELNS1_3repE0EEENS1_30default_config_static_selectorELNS0_4arch9wavefront6targetE1EEEvSY_
    .private_segment_fixed_size: 0
    .sgpr_count:     50
    .sgpr_spill_count: 0
    .symbol:         _ZN7rocprim17ROCPRIM_400000_NS6detail17trampoline_kernelINS0_13select_configILj256ELj13ELNS0_17block_load_methodE3ELS4_3ELS4_3ELNS0_20block_scan_algorithmE0ELj4294967295EEENS1_25partition_config_selectorILNS1_17partition_subalgoE3EjNS0_10empty_typeEbEEZZNS1_14partition_implILS8_3ELb0ES6_jNS0_17counting_iteratorIjlEEPS9_SE_NS0_5tupleIJPjSE_EEENSF_IJSE_SE_EEES9_SG_JZNS1_25segmented_radix_sort_implINS0_14default_configELb1EPKsPsPKlPlN2at6native12_GLOBAL__N_18offset_tEEE10hipError_tPvRmT1_PNSt15iterator_traitsISY_E10value_typeET2_T3_PNSZ_IS14_E10value_typeET4_jRbjT5_S1A_jjP12ihipStream_tbEUljE_EEESV_SW_SX_S14_S18_S1A_T6_T7_T9_mT8_S1C_bDpT10_ENKUlT_T0_E_clISt17integral_constantIbLb0EES1O_IbLb1EEEEDaS1K_S1L_EUlS1K_E_NS1_11comp_targetILNS1_3genE2ELNS1_11target_archE906ELNS1_3gpuE6ELNS1_3repE0EEENS1_30default_config_static_selectorELNS0_4arch9wavefront6targetE1EEEvSY_.kd
    .uniform_work_group_size: 1
    .uses_dynamic_stack: false
    .vgpr_count:     71
    .vgpr_spill_count: 0
    .wavefront_size: 64
  - .args:
      - .offset:         0
        .size:           152
        .value_kind:     by_value
    .group_segment_fixed_size: 0
    .kernarg_segment_align: 8
    .kernarg_segment_size: 152
    .language:       OpenCL C
    .language_version:
      - 2
      - 0
    .max_flat_workgroup_size: 256
    .name:           _ZN7rocprim17ROCPRIM_400000_NS6detail17trampoline_kernelINS0_13select_configILj256ELj13ELNS0_17block_load_methodE3ELS4_3ELS4_3ELNS0_20block_scan_algorithmE0ELj4294967295EEENS1_25partition_config_selectorILNS1_17partition_subalgoE3EjNS0_10empty_typeEbEEZZNS1_14partition_implILS8_3ELb0ES6_jNS0_17counting_iteratorIjlEEPS9_SE_NS0_5tupleIJPjSE_EEENSF_IJSE_SE_EEES9_SG_JZNS1_25segmented_radix_sort_implINS0_14default_configELb1EPKsPsPKlPlN2at6native12_GLOBAL__N_18offset_tEEE10hipError_tPvRmT1_PNSt15iterator_traitsISY_E10value_typeET2_T3_PNSZ_IS14_E10value_typeET4_jRbjT5_S1A_jjP12ihipStream_tbEUljE_EEESV_SW_SX_S14_S18_S1A_T6_T7_T9_mT8_S1C_bDpT10_ENKUlT_T0_E_clISt17integral_constantIbLb0EES1O_IbLb1EEEEDaS1K_S1L_EUlS1K_E_NS1_11comp_targetILNS1_3genE10ELNS1_11target_archE1200ELNS1_3gpuE4ELNS1_3repE0EEENS1_30default_config_static_selectorELNS0_4arch9wavefront6targetE1EEEvSY_
    .private_segment_fixed_size: 0
    .sgpr_count:     4
    .sgpr_spill_count: 0
    .symbol:         _ZN7rocprim17ROCPRIM_400000_NS6detail17trampoline_kernelINS0_13select_configILj256ELj13ELNS0_17block_load_methodE3ELS4_3ELS4_3ELNS0_20block_scan_algorithmE0ELj4294967295EEENS1_25partition_config_selectorILNS1_17partition_subalgoE3EjNS0_10empty_typeEbEEZZNS1_14partition_implILS8_3ELb0ES6_jNS0_17counting_iteratorIjlEEPS9_SE_NS0_5tupleIJPjSE_EEENSF_IJSE_SE_EEES9_SG_JZNS1_25segmented_radix_sort_implINS0_14default_configELb1EPKsPsPKlPlN2at6native12_GLOBAL__N_18offset_tEEE10hipError_tPvRmT1_PNSt15iterator_traitsISY_E10value_typeET2_T3_PNSZ_IS14_E10value_typeET4_jRbjT5_S1A_jjP12ihipStream_tbEUljE_EEESV_SW_SX_S14_S18_S1A_T6_T7_T9_mT8_S1C_bDpT10_ENKUlT_T0_E_clISt17integral_constantIbLb0EES1O_IbLb1EEEEDaS1K_S1L_EUlS1K_E_NS1_11comp_targetILNS1_3genE10ELNS1_11target_archE1200ELNS1_3gpuE4ELNS1_3repE0EEENS1_30default_config_static_selectorELNS0_4arch9wavefront6targetE1EEEvSY_.kd
    .uniform_work_group_size: 1
    .uses_dynamic_stack: false
    .vgpr_count:     0
    .vgpr_spill_count: 0
    .wavefront_size: 64
  - .args:
      - .offset:         0
        .size:           152
        .value_kind:     by_value
    .group_segment_fixed_size: 0
    .kernarg_segment_align: 8
    .kernarg_segment_size: 152
    .language:       OpenCL C
    .language_version:
      - 2
      - 0
    .max_flat_workgroup_size: 256
    .name:           _ZN7rocprim17ROCPRIM_400000_NS6detail17trampoline_kernelINS0_13select_configILj256ELj13ELNS0_17block_load_methodE3ELS4_3ELS4_3ELNS0_20block_scan_algorithmE0ELj4294967295EEENS1_25partition_config_selectorILNS1_17partition_subalgoE3EjNS0_10empty_typeEbEEZZNS1_14partition_implILS8_3ELb0ES6_jNS0_17counting_iteratorIjlEEPS9_SE_NS0_5tupleIJPjSE_EEENSF_IJSE_SE_EEES9_SG_JZNS1_25segmented_radix_sort_implINS0_14default_configELb1EPKsPsPKlPlN2at6native12_GLOBAL__N_18offset_tEEE10hipError_tPvRmT1_PNSt15iterator_traitsISY_E10value_typeET2_T3_PNSZ_IS14_E10value_typeET4_jRbjT5_S1A_jjP12ihipStream_tbEUljE_EEESV_SW_SX_S14_S18_S1A_T6_T7_T9_mT8_S1C_bDpT10_ENKUlT_T0_E_clISt17integral_constantIbLb0EES1O_IbLb1EEEEDaS1K_S1L_EUlS1K_E_NS1_11comp_targetILNS1_3genE9ELNS1_11target_archE1100ELNS1_3gpuE3ELNS1_3repE0EEENS1_30default_config_static_selectorELNS0_4arch9wavefront6targetE1EEEvSY_
    .private_segment_fixed_size: 0
    .sgpr_count:     4
    .sgpr_spill_count: 0
    .symbol:         _ZN7rocprim17ROCPRIM_400000_NS6detail17trampoline_kernelINS0_13select_configILj256ELj13ELNS0_17block_load_methodE3ELS4_3ELS4_3ELNS0_20block_scan_algorithmE0ELj4294967295EEENS1_25partition_config_selectorILNS1_17partition_subalgoE3EjNS0_10empty_typeEbEEZZNS1_14partition_implILS8_3ELb0ES6_jNS0_17counting_iteratorIjlEEPS9_SE_NS0_5tupleIJPjSE_EEENSF_IJSE_SE_EEES9_SG_JZNS1_25segmented_radix_sort_implINS0_14default_configELb1EPKsPsPKlPlN2at6native12_GLOBAL__N_18offset_tEEE10hipError_tPvRmT1_PNSt15iterator_traitsISY_E10value_typeET2_T3_PNSZ_IS14_E10value_typeET4_jRbjT5_S1A_jjP12ihipStream_tbEUljE_EEESV_SW_SX_S14_S18_S1A_T6_T7_T9_mT8_S1C_bDpT10_ENKUlT_T0_E_clISt17integral_constantIbLb0EES1O_IbLb1EEEEDaS1K_S1L_EUlS1K_E_NS1_11comp_targetILNS1_3genE9ELNS1_11target_archE1100ELNS1_3gpuE3ELNS1_3repE0EEENS1_30default_config_static_selectorELNS0_4arch9wavefront6targetE1EEEvSY_.kd
    .uniform_work_group_size: 1
    .uses_dynamic_stack: false
    .vgpr_count:     0
    .vgpr_spill_count: 0
    .wavefront_size: 64
  - .args:
      - .offset:         0
        .size:           152
        .value_kind:     by_value
    .group_segment_fixed_size: 0
    .kernarg_segment_align: 8
    .kernarg_segment_size: 152
    .language:       OpenCL C
    .language_version:
      - 2
      - 0
    .max_flat_workgroup_size: 256
    .name:           _ZN7rocprim17ROCPRIM_400000_NS6detail17trampoline_kernelINS0_13select_configILj256ELj13ELNS0_17block_load_methodE3ELS4_3ELS4_3ELNS0_20block_scan_algorithmE0ELj4294967295EEENS1_25partition_config_selectorILNS1_17partition_subalgoE3EjNS0_10empty_typeEbEEZZNS1_14partition_implILS8_3ELb0ES6_jNS0_17counting_iteratorIjlEEPS9_SE_NS0_5tupleIJPjSE_EEENSF_IJSE_SE_EEES9_SG_JZNS1_25segmented_radix_sort_implINS0_14default_configELb1EPKsPsPKlPlN2at6native12_GLOBAL__N_18offset_tEEE10hipError_tPvRmT1_PNSt15iterator_traitsISY_E10value_typeET2_T3_PNSZ_IS14_E10value_typeET4_jRbjT5_S1A_jjP12ihipStream_tbEUljE_EEESV_SW_SX_S14_S18_S1A_T6_T7_T9_mT8_S1C_bDpT10_ENKUlT_T0_E_clISt17integral_constantIbLb0EES1O_IbLb1EEEEDaS1K_S1L_EUlS1K_E_NS1_11comp_targetILNS1_3genE8ELNS1_11target_archE1030ELNS1_3gpuE2ELNS1_3repE0EEENS1_30default_config_static_selectorELNS0_4arch9wavefront6targetE1EEEvSY_
    .private_segment_fixed_size: 0
    .sgpr_count:     4
    .sgpr_spill_count: 0
    .symbol:         _ZN7rocprim17ROCPRIM_400000_NS6detail17trampoline_kernelINS0_13select_configILj256ELj13ELNS0_17block_load_methodE3ELS4_3ELS4_3ELNS0_20block_scan_algorithmE0ELj4294967295EEENS1_25partition_config_selectorILNS1_17partition_subalgoE3EjNS0_10empty_typeEbEEZZNS1_14partition_implILS8_3ELb0ES6_jNS0_17counting_iteratorIjlEEPS9_SE_NS0_5tupleIJPjSE_EEENSF_IJSE_SE_EEES9_SG_JZNS1_25segmented_radix_sort_implINS0_14default_configELb1EPKsPsPKlPlN2at6native12_GLOBAL__N_18offset_tEEE10hipError_tPvRmT1_PNSt15iterator_traitsISY_E10value_typeET2_T3_PNSZ_IS14_E10value_typeET4_jRbjT5_S1A_jjP12ihipStream_tbEUljE_EEESV_SW_SX_S14_S18_S1A_T6_T7_T9_mT8_S1C_bDpT10_ENKUlT_T0_E_clISt17integral_constantIbLb0EES1O_IbLb1EEEEDaS1K_S1L_EUlS1K_E_NS1_11comp_targetILNS1_3genE8ELNS1_11target_archE1030ELNS1_3gpuE2ELNS1_3repE0EEENS1_30default_config_static_selectorELNS0_4arch9wavefront6targetE1EEEvSY_.kd
    .uniform_work_group_size: 1
    .uses_dynamic_stack: false
    .vgpr_count:     0
    .vgpr_spill_count: 0
    .wavefront_size: 64
  - .args:
      - .offset:         0
        .size:           96
        .value_kind:     by_value
    .group_segment_fixed_size: 0
    .kernarg_segment_align: 8
    .kernarg_segment_size: 96
    .language:       OpenCL C
    .language_version:
      - 2
      - 0
    .max_flat_workgroup_size: 256
    .name:           _ZN7rocprim17ROCPRIM_400000_NS6detail17trampoline_kernelINS0_14default_configENS1_36segmented_radix_sort_config_selectorIslEEZNS1_25segmented_radix_sort_implIS3_Lb1EPKsPsPKlPlN2at6native12_GLOBAL__N_18offset_tEEE10hipError_tPvRmT1_PNSt15iterator_traitsISK_E10value_typeET2_T3_PNSL_ISQ_E10value_typeET4_jRbjT5_SW_jjP12ihipStream_tbEUlT_E_NS1_11comp_targetILNS1_3genE0ELNS1_11target_archE4294967295ELNS1_3gpuE0ELNS1_3repE0EEENS1_30default_config_static_selectorELNS0_4arch9wavefront6targetE1EEEvSK_
    .private_segment_fixed_size: 0
    .sgpr_count:     4
    .sgpr_spill_count: 0
    .symbol:         _ZN7rocprim17ROCPRIM_400000_NS6detail17trampoline_kernelINS0_14default_configENS1_36segmented_radix_sort_config_selectorIslEEZNS1_25segmented_radix_sort_implIS3_Lb1EPKsPsPKlPlN2at6native12_GLOBAL__N_18offset_tEEE10hipError_tPvRmT1_PNSt15iterator_traitsISK_E10value_typeET2_T3_PNSL_ISQ_E10value_typeET4_jRbjT5_SW_jjP12ihipStream_tbEUlT_E_NS1_11comp_targetILNS1_3genE0ELNS1_11target_archE4294967295ELNS1_3gpuE0ELNS1_3repE0EEENS1_30default_config_static_selectorELNS0_4arch9wavefront6targetE1EEEvSK_.kd
    .uniform_work_group_size: 1
    .uses_dynamic_stack: false
    .vgpr_count:     0
    .vgpr_spill_count: 0
    .wavefront_size: 64
  - .args:
      - .offset:         0
        .size:           96
        .value_kind:     by_value
    .group_segment_fixed_size: 0
    .kernarg_segment_align: 8
    .kernarg_segment_size: 96
    .language:       OpenCL C
    .language_version:
      - 2
      - 0
    .max_flat_workgroup_size: 256
    .name:           _ZN7rocprim17ROCPRIM_400000_NS6detail17trampoline_kernelINS0_14default_configENS1_36segmented_radix_sort_config_selectorIslEEZNS1_25segmented_radix_sort_implIS3_Lb1EPKsPsPKlPlN2at6native12_GLOBAL__N_18offset_tEEE10hipError_tPvRmT1_PNSt15iterator_traitsISK_E10value_typeET2_T3_PNSL_ISQ_E10value_typeET4_jRbjT5_SW_jjP12ihipStream_tbEUlT_E_NS1_11comp_targetILNS1_3genE5ELNS1_11target_archE942ELNS1_3gpuE9ELNS1_3repE0EEENS1_30default_config_static_selectorELNS0_4arch9wavefront6targetE1EEEvSK_
    .private_segment_fixed_size: 0
    .sgpr_count:     4
    .sgpr_spill_count: 0
    .symbol:         _ZN7rocprim17ROCPRIM_400000_NS6detail17trampoline_kernelINS0_14default_configENS1_36segmented_radix_sort_config_selectorIslEEZNS1_25segmented_radix_sort_implIS3_Lb1EPKsPsPKlPlN2at6native12_GLOBAL__N_18offset_tEEE10hipError_tPvRmT1_PNSt15iterator_traitsISK_E10value_typeET2_T3_PNSL_ISQ_E10value_typeET4_jRbjT5_SW_jjP12ihipStream_tbEUlT_E_NS1_11comp_targetILNS1_3genE5ELNS1_11target_archE942ELNS1_3gpuE9ELNS1_3repE0EEENS1_30default_config_static_selectorELNS0_4arch9wavefront6targetE1EEEvSK_.kd
    .uniform_work_group_size: 1
    .uses_dynamic_stack: false
    .vgpr_count:     0
    .vgpr_spill_count: 0
    .wavefront_size: 64
  - .args:
      - .offset:         0
        .size:           96
        .value_kind:     by_value
    .group_segment_fixed_size: 0
    .kernarg_segment_align: 8
    .kernarg_segment_size: 96
    .language:       OpenCL C
    .language_version:
      - 2
      - 0
    .max_flat_workgroup_size: 256
    .name:           _ZN7rocprim17ROCPRIM_400000_NS6detail17trampoline_kernelINS0_14default_configENS1_36segmented_radix_sort_config_selectorIslEEZNS1_25segmented_radix_sort_implIS3_Lb1EPKsPsPKlPlN2at6native12_GLOBAL__N_18offset_tEEE10hipError_tPvRmT1_PNSt15iterator_traitsISK_E10value_typeET2_T3_PNSL_ISQ_E10value_typeET4_jRbjT5_SW_jjP12ihipStream_tbEUlT_E_NS1_11comp_targetILNS1_3genE4ELNS1_11target_archE910ELNS1_3gpuE8ELNS1_3repE0EEENS1_30default_config_static_selectorELNS0_4arch9wavefront6targetE1EEEvSK_
    .private_segment_fixed_size: 0
    .sgpr_count:     4
    .sgpr_spill_count: 0
    .symbol:         _ZN7rocprim17ROCPRIM_400000_NS6detail17trampoline_kernelINS0_14default_configENS1_36segmented_radix_sort_config_selectorIslEEZNS1_25segmented_radix_sort_implIS3_Lb1EPKsPsPKlPlN2at6native12_GLOBAL__N_18offset_tEEE10hipError_tPvRmT1_PNSt15iterator_traitsISK_E10value_typeET2_T3_PNSL_ISQ_E10value_typeET4_jRbjT5_SW_jjP12ihipStream_tbEUlT_E_NS1_11comp_targetILNS1_3genE4ELNS1_11target_archE910ELNS1_3gpuE8ELNS1_3repE0EEENS1_30default_config_static_selectorELNS0_4arch9wavefront6targetE1EEEvSK_.kd
    .uniform_work_group_size: 1
    .uses_dynamic_stack: false
    .vgpr_count:     0
    .vgpr_spill_count: 0
    .wavefront_size: 64
  - .args:
      - .offset:         0
        .size:           96
        .value_kind:     by_value
    .group_segment_fixed_size: 0
    .kernarg_segment_align: 8
    .kernarg_segment_size: 96
    .language:       OpenCL C
    .language_version:
      - 2
      - 0
    .max_flat_workgroup_size: 256
    .name:           _ZN7rocprim17ROCPRIM_400000_NS6detail17trampoline_kernelINS0_14default_configENS1_36segmented_radix_sort_config_selectorIslEEZNS1_25segmented_radix_sort_implIS3_Lb1EPKsPsPKlPlN2at6native12_GLOBAL__N_18offset_tEEE10hipError_tPvRmT1_PNSt15iterator_traitsISK_E10value_typeET2_T3_PNSL_ISQ_E10value_typeET4_jRbjT5_SW_jjP12ihipStream_tbEUlT_E_NS1_11comp_targetILNS1_3genE3ELNS1_11target_archE908ELNS1_3gpuE7ELNS1_3repE0EEENS1_30default_config_static_selectorELNS0_4arch9wavefront6targetE1EEEvSK_
    .private_segment_fixed_size: 0
    .sgpr_count:     4
    .sgpr_spill_count: 0
    .symbol:         _ZN7rocprim17ROCPRIM_400000_NS6detail17trampoline_kernelINS0_14default_configENS1_36segmented_radix_sort_config_selectorIslEEZNS1_25segmented_radix_sort_implIS3_Lb1EPKsPsPKlPlN2at6native12_GLOBAL__N_18offset_tEEE10hipError_tPvRmT1_PNSt15iterator_traitsISK_E10value_typeET2_T3_PNSL_ISQ_E10value_typeET4_jRbjT5_SW_jjP12ihipStream_tbEUlT_E_NS1_11comp_targetILNS1_3genE3ELNS1_11target_archE908ELNS1_3gpuE7ELNS1_3repE0EEENS1_30default_config_static_selectorELNS0_4arch9wavefront6targetE1EEEvSK_.kd
    .uniform_work_group_size: 1
    .uses_dynamic_stack: false
    .vgpr_count:     0
    .vgpr_spill_count: 0
    .wavefront_size: 64
  - .args:
      - .offset:         0
        .size:           96
        .value_kind:     by_value
      - .offset:         96
        .size:           4
        .value_kind:     hidden_block_count_x
      - .offset:         100
        .size:           4
        .value_kind:     hidden_block_count_y
      - .offset:         104
        .size:           4
        .value_kind:     hidden_block_count_z
      - .offset:         108
        .size:           2
        .value_kind:     hidden_group_size_x
      - .offset:         110
        .size:           2
        .value_kind:     hidden_group_size_y
      - .offset:         112
        .size:           2
        .value_kind:     hidden_group_size_z
      - .offset:         114
        .size:           2
        .value_kind:     hidden_remainder_x
      - .offset:         116
        .size:           2
        .value_kind:     hidden_remainder_y
      - .offset:         118
        .size:           2
        .value_kind:     hidden_remainder_z
      - .offset:         136
        .size:           8
        .value_kind:     hidden_global_offset_x
      - .offset:         144
        .size:           8
        .value_kind:     hidden_global_offset_y
      - .offset:         152
        .size:           8
        .value_kind:     hidden_global_offset_z
      - .offset:         160
        .size:           2
        .value_kind:     hidden_grid_dims
    .group_segment_fixed_size: 9232
    .kernarg_segment_align: 8
    .kernarg_segment_size: 352
    .language:       OpenCL C
    .language_version:
      - 2
      - 0
    .max_flat_workgroup_size: 256
    .name:           _ZN7rocprim17ROCPRIM_400000_NS6detail17trampoline_kernelINS0_14default_configENS1_36segmented_radix_sort_config_selectorIslEEZNS1_25segmented_radix_sort_implIS3_Lb1EPKsPsPKlPlN2at6native12_GLOBAL__N_18offset_tEEE10hipError_tPvRmT1_PNSt15iterator_traitsISK_E10value_typeET2_T3_PNSL_ISQ_E10value_typeET4_jRbjT5_SW_jjP12ihipStream_tbEUlT_E_NS1_11comp_targetILNS1_3genE2ELNS1_11target_archE906ELNS1_3gpuE6ELNS1_3repE0EEENS1_30default_config_static_selectorELNS0_4arch9wavefront6targetE1EEEvSK_
    .private_segment_fixed_size: 0
    .sgpr_count:     80
    .sgpr_spill_count: 0
    .symbol:         _ZN7rocprim17ROCPRIM_400000_NS6detail17trampoline_kernelINS0_14default_configENS1_36segmented_radix_sort_config_selectorIslEEZNS1_25segmented_radix_sort_implIS3_Lb1EPKsPsPKlPlN2at6native12_GLOBAL__N_18offset_tEEE10hipError_tPvRmT1_PNSt15iterator_traitsISK_E10value_typeET2_T3_PNSL_ISQ_E10value_typeET4_jRbjT5_SW_jjP12ihipStream_tbEUlT_E_NS1_11comp_targetILNS1_3genE2ELNS1_11target_archE906ELNS1_3gpuE6ELNS1_3repE0EEENS1_30default_config_static_selectorELNS0_4arch9wavefront6targetE1EEEvSK_.kd
    .uniform_work_group_size: 1
    .uses_dynamic_stack: false
    .vgpr_count:     95
    .vgpr_spill_count: 0
    .wavefront_size: 64
  - .args:
      - .offset:         0
        .size:           96
        .value_kind:     by_value
    .group_segment_fixed_size: 0
    .kernarg_segment_align: 8
    .kernarg_segment_size: 96
    .language:       OpenCL C
    .language_version:
      - 2
      - 0
    .max_flat_workgroup_size: 256
    .name:           _ZN7rocprim17ROCPRIM_400000_NS6detail17trampoline_kernelINS0_14default_configENS1_36segmented_radix_sort_config_selectorIslEEZNS1_25segmented_radix_sort_implIS3_Lb1EPKsPsPKlPlN2at6native12_GLOBAL__N_18offset_tEEE10hipError_tPvRmT1_PNSt15iterator_traitsISK_E10value_typeET2_T3_PNSL_ISQ_E10value_typeET4_jRbjT5_SW_jjP12ihipStream_tbEUlT_E_NS1_11comp_targetILNS1_3genE10ELNS1_11target_archE1201ELNS1_3gpuE5ELNS1_3repE0EEENS1_30default_config_static_selectorELNS0_4arch9wavefront6targetE1EEEvSK_
    .private_segment_fixed_size: 0
    .sgpr_count:     4
    .sgpr_spill_count: 0
    .symbol:         _ZN7rocprim17ROCPRIM_400000_NS6detail17trampoline_kernelINS0_14default_configENS1_36segmented_radix_sort_config_selectorIslEEZNS1_25segmented_radix_sort_implIS3_Lb1EPKsPsPKlPlN2at6native12_GLOBAL__N_18offset_tEEE10hipError_tPvRmT1_PNSt15iterator_traitsISK_E10value_typeET2_T3_PNSL_ISQ_E10value_typeET4_jRbjT5_SW_jjP12ihipStream_tbEUlT_E_NS1_11comp_targetILNS1_3genE10ELNS1_11target_archE1201ELNS1_3gpuE5ELNS1_3repE0EEENS1_30default_config_static_selectorELNS0_4arch9wavefront6targetE1EEEvSK_.kd
    .uniform_work_group_size: 1
    .uses_dynamic_stack: false
    .vgpr_count:     0
    .vgpr_spill_count: 0
    .wavefront_size: 64
  - .args:
      - .offset:         0
        .size:           96
        .value_kind:     by_value
    .group_segment_fixed_size: 0
    .kernarg_segment_align: 8
    .kernarg_segment_size: 96
    .language:       OpenCL C
    .language_version:
      - 2
      - 0
    .max_flat_workgroup_size: 128
    .name:           _ZN7rocprim17ROCPRIM_400000_NS6detail17trampoline_kernelINS0_14default_configENS1_36segmented_radix_sort_config_selectorIslEEZNS1_25segmented_radix_sort_implIS3_Lb1EPKsPsPKlPlN2at6native12_GLOBAL__N_18offset_tEEE10hipError_tPvRmT1_PNSt15iterator_traitsISK_E10value_typeET2_T3_PNSL_ISQ_E10value_typeET4_jRbjT5_SW_jjP12ihipStream_tbEUlT_E_NS1_11comp_targetILNS1_3genE10ELNS1_11target_archE1200ELNS1_3gpuE4ELNS1_3repE0EEENS1_30default_config_static_selectorELNS0_4arch9wavefront6targetE1EEEvSK_
    .private_segment_fixed_size: 0
    .sgpr_count:     4
    .sgpr_spill_count: 0
    .symbol:         _ZN7rocprim17ROCPRIM_400000_NS6detail17trampoline_kernelINS0_14default_configENS1_36segmented_radix_sort_config_selectorIslEEZNS1_25segmented_radix_sort_implIS3_Lb1EPKsPsPKlPlN2at6native12_GLOBAL__N_18offset_tEEE10hipError_tPvRmT1_PNSt15iterator_traitsISK_E10value_typeET2_T3_PNSL_ISQ_E10value_typeET4_jRbjT5_SW_jjP12ihipStream_tbEUlT_E_NS1_11comp_targetILNS1_3genE10ELNS1_11target_archE1200ELNS1_3gpuE4ELNS1_3repE0EEENS1_30default_config_static_selectorELNS0_4arch9wavefront6targetE1EEEvSK_.kd
    .uniform_work_group_size: 1
    .uses_dynamic_stack: false
    .vgpr_count:     0
    .vgpr_spill_count: 0
    .wavefront_size: 64
  - .args:
      - .offset:         0
        .size:           96
        .value_kind:     by_value
    .group_segment_fixed_size: 0
    .kernarg_segment_align: 8
    .kernarg_segment_size: 96
    .language:       OpenCL C
    .language_version:
      - 2
      - 0
    .max_flat_workgroup_size: 256
    .name:           _ZN7rocprim17ROCPRIM_400000_NS6detail17trampoline_kernelINS0_14default_configENS1_36segmented_radix_sort_config_selectorIslEEZNS1_25segmented_radix_sort_implIS3_Lb1EPKsPsPKlPlN2at6native12_GLOBAL__N_18offset_tEEE10hipError_tPvRmT1_PNSt15iterator_traitsISK_E10value_typeET2_T3_PNSL_ISQ_E10value_typeET4_jRbjT5_SW_jjP12ihipStream_tbEUlT_E_NS1_11comp_targetILNS1_3genE9ELNS1_11target_archE1100ELNS1_3gpuE3ELNS1_3repE0EEENS1_30default_config_static_selectorELNS0_4arch9wavefront6targetE1EEEvSK_
    .private_segment_fixed_size: 0
    .sgpr_count:     4
    .sgpr_spill_count: 0
    .symbol:         _ZN7rocprim17ROCPRIM_400000_NS6detail17trampoline_kernelINS0_14default_configENS1_36segmented_radix_sort_config_selectorIslEEZNS1_25segmented_radix_sort_implIS3_Lb1EPKsPsPKlPlN2at6native12_GLOBAL__N_18offset_tEEE10hipError_tPvRmT1_PNSt15iterator_traitsISK_E10value_typeET2_T3_PNSL_ISQ_E10value_typeET4_jRbjT5_SW_jjP12ihipStream_tbEUlT_E_NS1_11comp_targetILNS1_3genE9ELNS1_11target_archE1100ELNS1_3gpuE3ELNS1_3repE0EEENS1_30default_config_static_selectorELNS0_4arch9wavefront6targetE1EEEvSK_.kd
    .uniform_work_group_size: 1
    .uses_dynamic_stack: false
    .vgpr_count:     0
    .vgpr_spill_count: 0
    .wavefront_size: 64
  - .args:
      - .offset:         0
        .size:           96
        .value_kind:     by_value
    .group_segment_fixed_size: 0
    .kernarg_segment_align: 8
    .kernarg_segment_size: 96
    .language:       OpenCL C
    .language_version:
      - 2
      - 0
    .max_flat_workgroup_size: 256
    .name:           _ZN7rocprim17ROCPRIM_400000_NS6detail17trampoline_kernelINS0_14default_configENS1_36segmented_radix_sort_config_selectorIslEEZNS1_25segmented_radix_sort_implIS3_Lb1EPKsPsPKlPlN2at6native12_GLOBAL__N_18offset_tEEE10hipError_tPvRmT1_PNSt15iterator_traitsISK_E10value_typeET2_T3_PNSL_ISQ_E10value_typeET4_jRbjT5_SW_jjP12ihipStream_tbEUlT_E_NS1_11comp_targetILNS1_3genE8ELNS1_11target_archE1030ELNS1_3gpuE2ELNS1_3repE0EEENS1_30default_config_static_selectorELNS0_4arch9wavefront6targetE1EEEvSK_
    .private_segment_fixed_size: 0
    .sgpr_count:     4
    .sgpr_spill_count: 0
    .symbol:         _ZN7rocprim17ROCPRIM_400000_NS6detail17trampoline_kernelINS0_14default_configENS1_36segmented_radix_sort_config_selectorIslEEZNS1_25segmented_radix_sort_implIS3_Lb1EPKsPsPKlPlN2at6native12_GLOBAL__N_18offset_tEEE10hipError_tPvRmT1_PNSt15iterator_traitsISK_E10value_typeET2_T3_PNSL_ISQ_E10value_typeET4_jRbjT5_SW_jjP12ihipStream_tbEUlT_E_NS1_11comp_targetILNS1_3genE8ELNS1_11target_archE1030ELNS1_3gpuE2ELNS1_3repE0EEENS1_30default_config_static_selectorELNS0_4arch9wavefront6targetE1EEEvSK_.kd
    .uniform_work_group_size: 1
    .uses_dynamic_stack: false
    .vgpr_count:     0
    .vgpr_spill_count: 0
    .wavefront_size: 64
  - .args:
      - .offset:         0
        .size:           88
        .value_kind:     by_value
    .group_segment_fixed_size: 0
    .kernarg_segment_align: 8
    .kernarg_segment_size: 88
    .language:       OpenCL C
    .language_version:
      - 2
      - 0
    .max_flat_workgroup_size: 256
    .name:           _ZN7rocprim17ROCPRIM_400000_NS6detail17trampoline_kernelINS0_14default_configENS1_36segmented_radix_sort_config_selectorIslEEZNS1_25segmented_radix_sort_implIS3_Lb1EPKsPsPKlPlN2at6native12_GLOBAL__N_18offset_tEEE10hipError_tPvRmT1_PNSt15iterator_traitsISK_E10value_typeET2_T3_PNSL_ISQ_E10value_typeET4_jRbjT5_SW_jjP12ihipStream_tbEUlT_E0_NS1_11comp_targetILNS1_3genE0ELNS1_11target_archE4294967295ELNS1_3gpuE0ELNS1_3repE0EEENS1_60segmented_radix_sort_warp_sort_medium_config_static_selectorELNS0_4arch9wavefront6targetE1EEEvSK_
    .private_segment_fixed_size: 0
    .sgpr_count:     4
    .sgpr_spill_count: 0
    .symbol:         _ZN7rocprim17ROCPRIM_400000_NS6detail17trampoline_kernelINS0_14default_configENS1_36segmented_radix_sort_config_selectorIslEEZNS1_25segmented_radix_sort_implIS3_Lb1EPKsPsPKlPlN2at6native12_GLOBAL__N_18offset_tEEE10hipError_tPvRmT1_PNSt15iterator_traitsISK_E10value_typeET2_T3_PNSL_ISQ_E10value_typeET4_jRbjT5_SW_jjP12ihipStream_tbEUlT_E0_NS1_11comp_targetILNS1_3genE0ELNS1_11target_archE4294967295ELNS1_3gpuE0ELNS1_3repE0EEENS1_60segmented_radix_sort_warp_sort_medium_config_static_selectorELNS0_4arch9wavefront6targetE1EEEvSK_.kd
    .uniform_work_group_size: 1
    .uses_dynamic_stack: false
    .vgpr_count:     0
    .vgpr_spill_count: 0
    .wavefront_size: 64
  - .args:
      - .offset:         0
        .size:           88
        .value_kind:     by_value
    .group_segment_fixed_size: 0
    .kernarg_segment_align: 8
    .kernarg_segment_size: 88
    .language:       OpenCL C
    .language_version:
      - 2
      - 0
    .max_flat_workgroup_size: 256
    .name:           _ZN7rocprim17ROCPRIM_400000_NS6detail17trampoline_kernelINS0_14default_configENS1_36segmented_radix_sort_config_selectorIslEEZNS1_25segmented_radix_sort_implIS3_Lb1EPKsPsPKlPlN2at6native12_GLOBAL__N_18offset_tEEE10hipError_tPvRmT1_PNSt15iterator_traitsISK_E10value_typeET2_T3_PNSL_ISQ_E10value_typeET4_jRbjT5_SW_jjP12ihipStream_tbEUlT_E0_NS1_11comp_targetILNS1_3genE5ELNS1_11target_archE942ELNS1_3gpuE9ELNS1_3repE0EEENS1_60segmented_radix_sort_warp_sort_medium_config_static_selectorELNS0_4arch9wavefront6targetE1EEEvSK_
    .private_segment_fixed_size: 0
    .sgpr_count:     4
    .sgpr_spill_count: 0
    .symbol:         _ZN7rocprim17ROCPRIM_400000_NS6detail17trampoline_kernelINS0_14default_configENS1_36segmented_radix_sort_config_selectorIslEEZNS1_25segmented_radix_sort_implIS3_Lb1EPKsPsPKlPlN2at6native12_GLOBAL__N_18offset_tEEE10hipError_tPvRmT1_PNSt15iterator_traitsISK_E10value_typeET2_T3_PNSL_ISQ_E10value_typeET4_jRbjT5_SW_jjP12ihipStream_tbEUlT_E0_NS1_11comp_targetILNS1_3genE5ELNS1_11target_archE942ELNS1_3gpuE9ELNS1_3repE0EEENS1_60segmented_radix_sort_warp_sort_medium_config_static_selectorELNS0_4arch9wavefront6targetE1EEEvSK_.kd
    .uniform_work_group_size: 1
    .uses_dynamic_stack: false
    .vgpr_count:     0
    .vgpr_spill_count: 0
    .wavefront_size: 64
  - .args:
      - .offset:         0
        .size:           88
        .value_kind:     by_value
    .group_segment_fixed_size: 0
    .kernarg_segment_align: 8
    .kernarg_segment_size: 88
    .language:       OpenCL C
    .language_version:
      - 2
      - 0
    .max_flat_workgroup_size: 256
    .name:           _ZN7rocprim17ROCPRIM_400000_NS6detail17trampoline_kernelINS0_14default_configENS1_36segmented_radix_sort_config_selectorIslEEZNS1_25segmented_radix_sort_implIS3_Lb1EPKsPsPKlPlN2at6native12_GLOBAL__N_18offset_tEEE10hipError_tPvRmT1_PNSt15iterator_traitsISK_E10value_typeET2_T3_PNSL_ISQ_E10value_typeET4_jRbjT5_SW_jjP12ihipStream_tbEUlT_E0_NS1_11comp_targetILNS1_3genE4ELNS1_11target_archE910ELNS1_3gpuE8ELNS1_3repE0EEENS1_60segmented_radix_sort_warp_sort_medium_config_static_selectorELNS0_4arch9wavefront6targetE1EEEvSK_
    .private_segment_fixed_size: 0
    .sgpr_count:     4
    .sgpr_spill_count: 0
    .symbol:         _ZN7rocprim17ROCPRIM_400000_NS6detail17trampoline_kernelINS0_14default_configENS1_36segmented_radix_sort_config_selectorIslEEZNS1_25segmented_radix_sort_implIS3_Lb1EPKsPsPKlPlN2at6native12_GLOBAL__N_18offset_tEEE10hipError_tPvRmT1_PNSt15iterator_traitsISK_E10value_typeET2_T3_PNSL_ISQ_E10value_typeET4_jRbjT5_SW_jjP12ihipStream_tbEUlT_E0_NS1_11comp_targetILNS1_3genE4ELNS1_11target_archE910ELNS1_3gpuE8ELNS1_3repE0EEENS1_60segmented_radix_sort_warp_sort_medium_config_static_selectorELNS0_4arch9wavefront6targetE1EEEvSK_.kd
    .uniform_work_group_size: 1
    .uses_dynamic_stack: false
    .vgpr_count:     0
    .vgpr_spill_count: 0
    .wavefront_size: 64
  - .args:
      - .offset:         0
        .size:           88
        .value_kind:     by_value
    .group_segment_fixed_size: 0
    .kernarg_segment_align: 8
    .kernarg_segment_size: 88
    .language:       OpenCL C
    .language_version:
      - 2
      - 0
    .max_flat_workgroup_size: 256
    .name:           _ZN7rocprim17ROCPRIM_400000_NS6detail17trampoline_kernelINS0_14default_configENS1_36segmented_radix_sort_config_selectorIslEEZNS1_25segmented_radix_sort_implIS3_Lb1EPKsPsPKlPlN2at6native12_GLOBAL__N_18offset_tEEE10hipError_tPvRmT1_PNSt15iterator_traitsISK_E10value_typeET2_T3_PNSL_ISQ_E10value_typeET4_jRbjT5_SW_jjP12ihipStream_tbEUlT_E0_NS1_11comp_targetILNS1_3genE3ELNS1_11target_archE908ELNS1_3gpuE7ELNS1_3repE0EEENS1_60segmented_radix_sort_warp_sort_medium_config_static_selectorELNS0_4arch9wavefront6targetE1EEEvSK_
    .private_segment_fixed_size: 0
    .sgpr_count:     4
    .sgpr_spill_count: 0
    .symbol:         _ZN7rocprim17ROCPRIM_400000_NS6detail17trampoline_kernelINS0_14default_configENS1_36segmented_radix_sort_config_selectorIslEEZNS1_25segmented_radix_sort_implIS3_Lb1EPKsPsPKlPlN2at6native12_GLOBAL__N_18offset_tEEE10hipError_tPvRmT1_PNSt15iterator_traitsISK_E10value_typeET2_T3_PNSL_ISQ_E10value_typeET4_jRbjT5_SW_jjP12ihipStream_tbEUlT_E0_NS1_11comp_targetILNS1_3genE3ELNS1_11target_archE908ELNS1_3gpuE7ELNS1_3repE0EEENS1_60segmented_radix_sort_warp_sort_medium_config_static_selectorELNS0_4arch9wavefront6targetE1EEEvSK_.kd
    .uniform_work_group_size: 1
    .uses_dynamic_stack: false
    .vgpr_count:     0
    .vgpr_spill_count: 0
    .wavefront_size: 64
  - .args:
      - .offset:         0
        .size:           88
        .value_kind:     by_value
      - .offset:         88
        .size:           4
        .value_kind:     hidden_block_count_x
      - .offset:         92
        .size:           4
        .value_kind:     hidden_block_count_y
      - .offset:         96
        .size:           4
        .value_kind:     hidden_block_count_z
      - .offset:         100
        .size:           2
        .value_kind:     hidden_group_size_x
      - .offset:         102
        .size:           2
        .value_kind:     hidden_group_size_y
      - .offset:         104
        .size:           2
        .value_kind:     hidden_group_size_z
      - .offset:         106
        .size:           2
        .value_kind:     hidden_remainder_x
      - .offset:         108
        .size:           2
        .value_kind:     hidden_remainder_y
      - .offset:         110
        .size:           2
        .value_kind:     hidden_remainder_z
      - .offset:         128
        .size:           8
        .value_kind:     hidden_global_offset_x
      - .offset:         136
        .size:           8
        .value_kind:     hidden_global_offset_y
      - .offset:         144
        .size:           8
        .value_kind:     hidden_global_offset_z
      - .offset:         152
        .size:           2
        .value_kind:     hidden_grid_dims
    .group_segment_fixed_size: 20480
    .kernarg_segment_align: 8
    .kernarg_segment_size: 344
    .language:       OpenCL C
    .language_version:
      - 2
      - 0
    .max_flat_workgroup_size: 256
    .name:           _ZN7rocprim17ROCPRIM_400000_NS6detail17trampoline_kernelINS0_14default_configENS1_36segmented_radix_sort_config_selectorIslEEZNS1_25segmented_radix_sort_implIS3_Lb1EPKsPsPKlPlN2at6native12_GLOBAL__N_18offset_tEEE10hipError_tPvRmT1_PNSt15iterator_traitsISK_E10value_typeET2_T3_PNSL_ISQ_E10value_typeET4_jRbjT5_SW_jjP12ihipStream_tbEUlT_E0_NS1_11comp_targetILNS1_3genE2ELNS1_11target_archE906ELNS1_3gpuE6ELNS1_3repE0EEENS1_60segmented_radix_sort_warp_sort_medium_config_static_selectorELNS0_4arch9wavefront6targetE1EEEvSK_
    .private_segment_fixed_size: 0
    .sgpr_count:     66
    .sgpr_spill_count: 0
    .symbol:         _ZN7rocprim17ROCPRIM_400000_NS6detail17trampoline_kernelINS0_14default_configENS1_36segmented_radix_sort_config_selectorIslEEZNS1_25segmented_radix_sort_implIS3_Lb1EPKsPsPKlPlN2at6native12_GLOBAL__N_18offset_tEEE10hipError_tPvRmT1_PNSt15iterator_traitsISK_E10value_typeET2_T3_PNSL_ISQ_E10value_typeET4_jRbjT5_SW_jjP12ihipStream_tbEUlT_E0_NS1_11comp_targetILNS1_3genE2ELNS1_11target_archE906ELNS1_3gpuE6ELNS1_3repE0EEENS1_60segmented_radix_sort_warp_sort_medium_config_static_selectorELNS0_4arch9wavefront6targetE1EEEvSK_.kd
    .uniform_work_group_size: 1
    .uses_dynamic_stack: false
    .vgpr_count:     70
    .vgpr_spill_count: 0
    .wavefront_size: 64
  - .args:
      - .offset:         0
        .size:           88
        .value_kind:     by_value
    .group_segment_fixed_size: 0
    .kernarg_segment_align: 8
    .kernarg_segment_size: 88
    .language:       OpenCL C
    .language_version:
      - 2
      - 0
    .max_flat_workgroup_size: 256
    .name:           _ZN7rocprim17ROCPRIM_400000_NS6detail17trampoline_kernelINS0_14default_configENS1_36segmented_radix_sort_config_selectorIslEEZNS1_25segmented_radix_sort_implIS3_Lb1EPKsPsPKlPlN2at6native12_GLOBAL__N_18offset_tEEE10hipError_tPvRmT1_PNSt15iterator_traitsISK_E10value_typeET2_T3_PNSL_ISQ_E10value_typeET4_jRbjT5_SW_jjP12ihipStream_tbEUlT_E0_NS1_11comp_targetILNS1_3genE10ELNS1_11target_archE1201ELNS1_3gpuE5ELNS1_3repE0EEENS1_60segmented_radix_sort_warp_sort_medium_config_static_selectorELNS0_4arch9wavefront6targetE1EEEvSK_
    .private_segment_fixed_size: 0
    .sgpr_count:     4
    .sgpr_spill_count: 0
    .symbol:         _ZN7rocprim17ROCPRIM_400000_NS6detail17trampoline_kernelINS0_14default_configENS1_36segmented_radix_sort_config_selectorIslEEZNS1_25segmented_radix_sort_implIS3_Lb1EPKsPsPKlPlN2at6native12_GLOBAL__N_18offset_tEEE10hipError_tPvRmT1_PNSt15iterator_traitsISK_E10value_typeET2_T3_PNSL_ISQ_E10value_typeET4_jRbjT5_SW_jjP12ihipStream_tbEUlT_E0_NS1_11comp_targetILNS1_3genE10ELNS1_11target_archE1201ELNS1_3gpuE5ELNS1_3repE0EEENS1_60segmented_radix_sort_warp_sort_medium_config_static_selectorELNS0_4arch9wavefront6targetE1EEEvSK_.kd
    .uniform_work_group_size: 1
    .uses_dynamic_stack: false
    .vgpr_count:     0
    .vgpr_spill_count: 0
    .wavefront_size: 64
  - .args:
      - .offset:         0
        .size:           88
        .value_kind:     by_value
    .group_segment_fixed_size: 0
    .kernarg_segment_align: 8
    .kernarg_segment_size: 88
    .language:       OpenCL C
    .language_version:
      - 2
      - 0
    .max_flat_workgroup_size: 256
    .name:           _ZN7rocprim17ROCPRIM_400000_NS6detail17trampoline_kernelINS0_14default_configENS1_36segmented_radix_sort_config_selectorIslEEZNS1_25segmented_radix_sort_implIS3_Lb1EPKsPsPKlPlN2at6native12_GLOBAL__N_18offset_tEEE10hipError_tPvRmT1_PNSt15iterator_traitsISK_E10value_typeET2_T3_PNSL_ISQ_E10value_typeET4_jRbjT5_SW_jjP12ihipStream_tbEUlT_E0_NS1_11comp_targetILNS1_3genE10ELNS1_11target_archE1200ELNS1_3gpuE4ELNS1_3repE0EEENS1_60segmented_radix_sort_warp_sort_medium_config_static_selectorELNS0_4arch9wavefront6targetE1EEEvSK_
    .private_segment_fixed_size: 0
    .sgpr_count:     4
    .sgpr_spill_count: 0
    .symbol:         _ZN7rocprim17ROCPRIM_400000_NS6detail17trampoline_kernelINS0_14default_configENS1_36segmented_radix_sort_config_selectorIslEEZNS1_25segmented_radix_sort_implIS3_Lb1EPKsPsPKlPlN2at6native12_GLOBAL__N_18offset_tEEE10hipError_tPvRmT1_PNSt15iterator_traitsISK_E10value_typeET2_T3_PNSL_ISQ_E10value_typeET4_jRbjT5_SW_jjP12ihipStream_tbEUlT_E0_NS1_11comp_targetILNS1_3genE10ELNS1_11target_archE1200ELNS1_3gpuE4ELNS1_3repE0EEENS1_60segmented_radix_sort_warp_sort_medium_config_static_selectorELNS0_4arch9wavefront6targetE1EEEvSK_.kd
    .uniform_work_group_size: 1
    .uses_dynamic_stack: false
    .vgpr_count:     0
    .vgpr_spill_count: 0
    .wavefront_size: 64
  - .args:
      - .offset:         0
        .size:           88
        .value_kind:     by_value
    .group_segment_fixed_size: 0
    .kernarg_segment_align: 8
    .kernarg_segment_size: 88
    .language:       OpenCL C
    .language_version:
      - 2
      - 0
    .max_flat_workgroup_size: 256
    .name:           _ZN7rocprim17ROCPRIM_400000_NS6detail17trampoline_kernelINS0_14default_configENS1_36segmented_radix_sort_config_selectorIslEEZNS1_25segmented_radix_sort_implIS3_Lb1EPKsPsPKlPlN2at6native12_GLOBAL__N_18offset_tEEE10hipError_tPvRmT1_PNSt15iterator_traitsISK_E10value_typeET2_T3_PNSL_ISQ_E10value_typeET4_jRbjT5_SW_jjP12ihipStream_tbEUlT_E0_NS1_11comp_targetILNS1_3genE9ELNS1_11target_archE1100ELNS1_3gpuE3ELNS1_3repE0EEENS1_60segmented_radix_sort_warp_sort_medium_config_static_selectorELNS0_4arch9wavefront6targetE1EEEvSK_
    .private_segment_fixed_size: 0
    .sgpr_count:     4
    .sgpr_spill_count: 0
    .symbol:         _ZN7rocprim17ROCPRIM_400000_NS6detail17trampoline_kernelINS0_14default_configENS1_36segmented_radix_sort_config_selectorIslEEZNS1_25segmented_radix_sort_implIS3_Lb1EPKsPsPKlPlN2at6native12_GLOBAL__N_18offset_tEEE10hipError_tPvRmT1_PNSt15iterator_traitsISK_E10value_typeET2_T3_PNSL_ISQ_E10value_typeET4_jRbjT5_SW_jjP12ihipStream_tbEUlT_E0_NS1_11comp_targetILNS1_3genE9ELNS1_11target_archE1100ELNS1_3gpuE3ELNS1_3repE0EEENS1_60segmented_radix_sort_warp_sort_medium_config_static_selectorELNS0_4arch9wavefront6targetE1EEEvSK_.kd
    .uniform_work_group_size: 1
    .uses_dynamic_stack: false
    .vgpr_count:     0
    .vgpr_spill_count: 0
    .wavefront_size: 64
  - .args:
      - .offset:         0
        .size:           88
        .value_kind:     by_value
    .group_segment_fixed_size: 0
    .kernarg_segment_align: 8
    .kernarg_segment_size: 88
    .language:       OpenCL C
    .language_version:
      - 2
      - 0
    .max_flat_workgroup_size: 256
    .name:           _ZN7rocprim17ROCPRIM_400000_NS6detail17trampoline_kernelINS0_14default_configENS1_36segmented_radix_sort_config_selectorIslEEZNS1_25segmented_radix_sort_implIS3_Lb1EPKsPsPKlPlN2at6native12_GLOBAL__N_18offset_tEEE10hipError_tPvRmT1_PNSt15iterator_traitsISK_E10value_typeET2_T3_PNSL_ISQ_E10value_typeET4_jRbjT5_SW_jjP12ihipStream_tbEUlT_E0_NS1_11comp_targetILNS1_3genE8ELNS1_11target_archE1030ELNS1_3gpuE2ELNS1_3repE0EEENS1_60segmented_radix_sort_warp_sort_medium_config_static_selectorELNS0_4arch9wavefront6targetE1EEEvSK_
    .private_segment_fixed_size: 0
    .sgpr_count:     4
    .sgpr_spill_count: 0
    .symbol:         _ZN7rocprim17ROCPRIM_400000_NS6detail17trampoline_kernelINS0_14default_configENS1_36segmented_radix_sort_config_selectorIslEEZNS1_25segmented_radix_sort_implIS3_Lb1EPKsPsPKlPlN2at6native12_GLOBAL__N_18offset_tEEE10hipError_tPvRmT1_PNSt15iterator_traitsISK_E10value_typeET2_T3_PNSL_ISQ_E10value_typeET4_jRbjT5_SW_jjP12ihipStream_tbEUlT_E0_NS1_11comp_targetILNS1_3genE8ELNS1_11target_archE1030ELNS1_3gpuE2ELNS1_3repE0EEENS1_60segmented_radix_sort_warp_sort_medium_config_static_selectorELNS0_4arch9wavefront6targetE1EEEvSK_.kd
    .uniform_work_group_size: 1
    .uses_dynamic_stack: false
    .vgpr_count:     0
    .vgpr_spill_count: 0
    .wavefront_size: 64
  - .args:
      - .offset:         0
        .size:           88
        .value_kind:     by_value
    .group_segment_fixed_size: 0
    .kernarg_segment_align: 8
    .kernarg_segment_size: 88
    .language:       OpenCL C
    .language_version:
      - 2
      - 0
    .max_flat_workgroup_size: 256
    .name:           _ZN7rocprim17ROCPRIM_400000_NS6detail17trampoline_kernelINS0_14default_configENS1_36segmented_radix_sort_config_selectorIslEEZNS1_25segmented_radix_sort_implIS3_Lb1EPKsPsPKlPlN2at6native12_GLOBAL__N_18offset_tEEE10hipError_tPvRmT1_PNSt15iterator_traitsISK_E10value_typeET2_T3_PNSL_ISQ_E10value_typeET4_jRbjT5_SW_jjP12ihipStream_tbEUlT_E1_NS1_11comp_targetILNS1_3genE0ELNS1_11target_archE4294967295ELNS1_3gpuE0ELNS1_3repE0EEENS1_59segmented_radix_sort_warp_sort_small_config_static_selectorELNS0_4arch9wavefront6targetE1EEEvSK_
    .private_segment_fixed_size: 0
    .sgpr_count:     4
    .sgpr_spill_count: 0
    .symbol:         _ZN7rocprim17ROCPRIM_400000_NS6detail17trampoline_kernelINS0_14default_configENS1_36segmented_radix_sort_config_selectorIslEEZNS1_25segmented_radix_sort_implIS3_Lb1EPKsPsPKlPlN2at6native12_GLOBAL__N_18offset_tEEE10hipError_tPvRmT1_PNSt15iterator_traitsISK_E10value_typeET2_T3_PNSL_ISQ_E10value_typeET4_jRbjT5_SW_jjP12ihipStream_tbEUlT_E1_NS1_11comp_targetILNS1_3genE0ELNS1_11target_archE4294967295ELNS1_3gpuE0ELNS1_3repE0EEENS1_59segmented_radix_sort_warp_sort_small_config_static_selectorELNS0_4arch9wavefront6targetE1EEEvSK_.kd
    .uniform_work_group_size: 1
    .uses_dynamic_stack: false
    .vgpr_count:     0
    .vgpr_spill_count: 0
    .wavefront_size: 64
  - .args:
      - .offset:         0
        .size:           88
        .value_kind:     by_value
    .group_segment_fixed_size: 0
    .kernarg_segment_align: 8
    .kernarg_segment_size: 88
    .language:       OpenCL C
    .language_version:
      - 2
      - 0
    .max_flat_workgroup_size: 256
    .name:           _ZN7rocprim17ROCPRIM_400000_NS6detail17trampoline_kernelINS0_14default_configENS1_36segmented_radix_sort_config_selectorIslEEZNS1_25segmented_radix_sort_implIS3_Lb1EPKsPsPKlPlN2at6native12_GLOBAL__N_18offset_tEEE10hipError_tPvRmT1_PNSt15iterator_traitsISK_E10value_typeET2_T3_PNSL_ISQ_E10value_typeET4_jRbjT5_SW_jjP12ihipStream_tbEUlT_E1_NS1_11comp_targetILNS1_3genE5ELNS1_11target_archE942ELNS1_3gpuE9ELNS1_3repE0EEENS1_59segmented_radix_sort_warp_sort_small_config_static_selectorELNS0_4arch9wavefront6targetE1EEEvSK_
    .private_segment_fixed_size: 0
    .sgpr_count:     4
    .sgpr_spill_count: 0
    .symbol:         _ZN7rocprim17ROCPRIM_400000_NS6detail17trampoline_kernelINS0_14default_configENS1_36segmented_radix_sort_config_selectorIslEEZNS1_25segmented_radix_sort_implIS3_Lb1EPKsPsPKlPlN2at6native12_GLOBAL__N_18offset_tEEE10hipError_tPvRmT1_PNSt15iterator_traitsISK_E10value_typeET2_T3_PNSL_ISQ_E10value_typeET4_jRbjT5_SW_jjP12ihipStream_tbEUlT_E1_NS1_11comp_targetILNS1_3genE5ELNS1_11target_archE942ELNS1_3gpuE9ELNS1_3repE0EEENS1_59segmented_radix_sort_warp_sort_small_config_static_selectorELNS0_4arch9wavefront6targetE1EEEvSK_.kd
    .uniform_work_group_size: 1
    .uses_dynamic_stack: false
    .vgpr_count:     0
    .vgpr_spill_count: 0
    .wavefront_size: 64
  - .args:
      - .offset:         0
        .size:           88
        .value_kind:     by_value
    .group_segment_fixed_size: 0
    .kernarg_segment_align: 8
    .kernarg_segment_size: 88
    .language:       OpenCL C
    .language_version:
      - 2
      - 0
    .max_flat_workgroup_size: 256
    .name:           _ZN7rocprim17ROCPRIM_400000_NS6detail17trampoline_kernelINS0_14default_configENS1_36segmented_radix_sort_config_selectorIslEEZNS1_25segmented_radix_sort_implIS3_Lb1EPKsPsPKlPlN2at6native12_GLOBAL__N_18offset_tEEE10hipError_tPvRmT1_PNSt15iterator_traitsISK_E10value_typeET2_T3_PNSL_ISQ_E10value_typeET4_jRbjT5_SW_jjP12ihipStream_tbEUlT_E1_NS1_11comp_targetILNS1_3genE4ELNS1_11target_archE910ELNS1_3gpuE8ELNS1_3repE0EEENS1_59segmented_radix_sort_warp_sort_small_config_static_selectorELNS0_4arch9wavefront6targetE1EEEvSK_
    .private_segment_fixed_size: 0
    .sgpr_count:     4
    .sgpr_spill_count: 0
    .symbol:         _ZN7rocprim17ROCPRIM_400000_NS6detail17trampoline_kernelINS0_14default_configENS1_36segmented_radix_sort_config_selectorIslEEZNS1_25segmented_radix_sort_implIS3_Lb1EPKsPsPKlPlN2at6native12_GLOBAL__N_18offset_tEEE10hipError_tPvRmT1_PNSt15iterator_traitsISK_E10value_typeET2_T3_PNSL_ISQ_E10value_typeET4_jRbjT5_SW_jjP12ihipStream_tbEUlT_E1_NS1_11comp_targetILNS1_3genE4ELNS1_11target_archE910ELNS1_3gpuE8ELNS1_3repE0EEENS1_59segmented_radix_sort_warp_sort_small_config_static_selectorELNS0_4arch9wavefront6targetE1EEEvSK_.kd
    .uniform_work_group_size: 1
    .uses_dynamic_stack: false
    .vgpr_count:     0
    .vgpr_spill_count: 0
    .wavefront_size: 64
  - .args:
      - .offset:         0
        .size:           88
        .value_kind:     by_value
    .group_segment_fixed_size: 0
    .kernarg_segment_align: 8
    .kernarg_segment_size: 88
    .language:       OpenCL C
    .language_version:
      - 2
      - 0
    .max_flat_workgroup_size: 256
    .name:           _ZN7rocprim17ROCPRIM_400000_NS6detail17trampoline_kernelINS0_14default_configENS1_36segmented_radix_sort_config_selectorIslEEZNS1_25segmented_radix_sort_implIS3_Lb1EPKsPsPKlPlN2at6native12_GLOBAL__N_18offset_tEEE10hipError_tPvRmT1_PNSt15iterator_traitsISK_E10value_typeET2_T3_PNSL_ISQ_E10value_typeET4_jRbjT5_SW_jjP12ihipStream_tbEUlT_E1_NS1_11comp_targetILNS1_3genE3ELNS1_11target_archE908ELNS1_3gpuE7ELNS1_3repE0EEENS1_59segmented_radix_sort_warp_sort_small_config_static_selectorELNS0_4arch9wavefront6targetE1EEEvSK_
    .private_segment_fixed_size: 0
    .sgpr_count:     4
    .sgpr_spill_count: 0
    .symbol:         _ZN7rocprim17ROCPRIM_400000_NS6detail17trampoline_kernelINS0_14default_configENS1_36segmented_radix_sort_config_selectorIslEEZNS1_25segmented_radix_sort_implIS3_Lb1EPKsPsPKlPlN2at6native12_GLOBAL__N_18offset_tEEE10hipError_tPvRmT1_PNSt15iterator_traitsISK_E10value_typeET2_T3_PNSL_ISQ_E10value_typeET4_jRbjT5_SW_jjP12ihipStream_tbEUlT_E1_NS1_11comp_targetILNS1_3genE3ELNS1_11target_archE908ELNS1_3gpuE7ELNS1_3repE0EEENS1_59segmented_radix_sort_warp_sort_small_config_static_selectorELNS0_4arch9wavefront6targetE1EEEvSK_.kd
    .uniform_work_group_size: 1
    .uses_dynamic_stack: false
    .vgpr_count:     0
    .vgpr_spill_count: 0
    .wavefront_size: 64
  - .args:
      - .offset:         0
        .size:           88
        .value_kind:     by_value
      - .offset:         88
        .size:           4
        .value_kind:     hidden_block_count_x
      - .offset:         92
        .size:           4
        .value_kind:     hidden_block_count_y
      - .offset:         96
        .size:           4
        .value_kind:     hidden_block_count_z
      - .offset:         100
        .size:           2
        .value_kind:     hidden_group_size_x
      - .offset:         102
        .size:           2
        .value_kind:     hidden_group_size_y
      - .offset:         104
        .size:           2
        .value_kind:     hidden_group_size_z
      - .offset:         106
        .size:           2
        .value_kind:     hidden_remainder_x
      - .offset:         108
        .size:           2
        .value_kind:     hidden_remainder_y
      - .offset:         110
        .size:           2
        .value_kind:     hidden_remainder_z
      - .offset:         128
        .size:           8
        .value_kind:     hidden_global_offset_x
      - .offset:         136
        .size:           8
        .value_kind:     hidden_global_offset_y
      - .offset:         144
        .size:           8
        .value_kind:     hidden_global_offset_z
      - .offset:         152
        .size:           2
        .value_kind:     hidden_grid_dims
    .group_segment_fixed_size: 10240
    .kernarg_segment_align: 8
    .kernarg_segment_size: 344
    .language:       OpenCL C
    .language_version:
      - 2
      - 0
    .max_flat_workgroup_size: 256
    .name:           _ZN7rocprim17ROCPRIM_400000_NS6detail17trampoline_kernelINS0_14default_configENS1_36segmented_radix_sort_config_selectorIslEEZNS1_25segmented_radix_sort_implIS3_Lb1EPKsPsPKlPlN2at6native12_GLOBAL__N_18offset_tEEE10hipError_tPvRmT1_PNSt15iterator_traitsISK_E10value_typeET2_T3_PNSL_ISQ_E10value_typeET4_jRbjT5_SW_jjP12ihipStream_tbEUlT_E1_NS1_11comp_targetILNS1_3genE2ELNS1_11target_archE906ELNS1_3gpuE6ELNS1_3repE0EEENS1_59segmented_radix_sort_warp_sort_small_config_static_selectorELNS0_4arch9wavefront6targetE1EEEvSK_
    .private_segment_fixed_size: 0
    .sgpr_count:     52
    .sgpr_spill_count: 0
    .symbol:         _ZN7rocprim17ROCPRIM_400000_NS6detail17trampoline_kernelINS0_14default_configENS1_36segmented_radix_sort_config_selectorIslEEZNS1_25segmented_radix_sort_implIS3_Lb1EPKsPsPKlPlN2at6native12_GLOBAL__N_18offset_tEEE10hipError_tPvRmT1_PNSt15iterator_traitsISK_E10value_typeET2_T3_PNSL_ISQ_E10value_typeET4_jRbjT5_SW_jjP12ihipStream_tbEUlT_E1_NS1_11comp_targetILNS1_3genE2ELNS1_11target_archE906ELNS1_3gpuE6ELNS1_3repE0EEENS1_59segmented_radix_sort_warp_sort_small_config_static_selectorELNS0_4arch9wavefront6targetE1EEEvSK_.kd
    .uniform_work_group_size: 1
    .uses_dynamic_stack: false
    .vgpr_count:     56
    .vgpr_spill_count: 0
    .wavefront_size: 64
  - .args:
      - .offset:         0
        .size:           88
        .value_kind:     by_value
    .group_segment_fixed_size: 0
    .kernarg_segment_align: 8
    .kernarg_segment_size: 88
    .language:       OpenCL C
    .language_version:
      - 2
      - 0
    .max_flat_workgroup_size: 256
    .name:           _ZN7rocprim17ROCPRIM_400000_NS6detail17trampoline_kernelINS0_14default_configENS1_36segmented_radix_sort_config_selectorIslEEZNS1_25segmented_radix_sort_implIS3_Lb1EPKsPsPKlPlN2at6native12_GLOBAL__N_18offset_tEEE10hipError_tPvRmT1_PNSt15iterator_traitsISK_E10value_typeET2_T3_PNSL_ISQ_E10value_typeET4_jRbjT5_SW_jjP12ihipStream_tbEUlT_E1_NS1_11comp_targetILNS1_3genE10ELNS1_11target_archE1201ELNS1_3gpuE5ELNS1_3repE0EEENS1_59segmented_radix_sort_warp_sort_small_config_static_selectorELNS0_4arch9wavefront6targetE1EEEvSK_
    .private_segment_fixed_size: 0
    .sgpr_count:     4
    .sgpr_spill_count: 0
    .symbol:         _ZN7rocprim17ROCPRIM_400000_NS6detail17trampoline_kernelINS0_14default_configENS1_36segmented_radix_sort_config_selectorIslEEZNS1_25segmented_radix_sort_implIS3_Lb1EPKsPsPKlPlN2at6native12_GLOBAL__N_18offset_tEEE10hipError_tPvRmT1_PNSt15iterator_traitsISK_E10value_typeET2_T3_PNSL_ISQ_E10value_typeET4_jRbjT5_SW_jjP12ihipStream_tbEUlT_E1_NS1_11comp_targetILNS1_3genE10ELNS1_11target_archE1201ELNS1_3gpuE5ELNS1_3repE0EEENS1_59segmented_radix_sort_warp_sort_small_config_static_selectorELNS0_4arch9wavefront6targetE1EEEvSK_.kd
    .uniform_work_group_size: 1
    .uses_dynamic_stack: false
    .vgpr_count:     0
    .vgpr_spill_count: 0
    .wavefront_size: 64
  - .args:
      - .offset:         0
        .size:           88
        .value_kind:     by_value
    .group_segment_fixed_size: 0
    .kernarg_segment_align: 8
    .kernarg_segment_size: 88
    .language:       OpenCL C
    .language_version:
      - 2
      - 0
    .max_flat_workgroup_size: 256
    .name:           _ZN7rocprim17ROCPRIM_400000_NS6detail17trampoline_kernelINS0_14default_configENS1_36segmented_radix_sort_config_selectorIslEEZNS1_25segmented_radix_sort_implIS3_Lb1EPKsPsPKlPlN2at6native12_GLOBAL__N_18offset_tEEE10hipError_tPvRmT1_PNSt15iterator_traitsISK_E10value_typeET2_T3_PNSL_ISQ_E10value_typeET4_jRbjT5_SW_jjP12ihipStream_tbEUlT_E1_NS1_11comp_targetILNS1_3genE10ELNS1_11target_archE1200ELNS1_3gpuE4ELNS1_3repE0EEENS1_59segmented_radix_sort_warp_sort_small_config_static_selectorELNS0_4arch9wavefront6targetE1EEEvSK_
    .private_segment_fixed_size: 0
    .sgpr_count:     4
    .sgpr_spill_count: 0
    .symbol:         _ZN7rocprim17ROCPRIM_400000_NS6detail17trampoline_kernelINS0_14default_configENS1_36segmented_radix_sort_config_selectorIslEEZNS1_25segmented_radix_sort_implIS3_Lb1EPKsPsPKlPlN2at6native12_GLOBAL__N_18offset_tEEE10hipError_tPvRmT1_PNSt15iterator_traitsISK_E10value_typeET2_T3_PNSL_ISQ_E10value_typeET4_jRbjT5_SW_jjP12ihipStream_tbEUlT_E1_NS1_11comp_targetILNS1_3genE10ELNS1_11target_archE1200ELNS1_3gpuE4ELNS1_3repE0EEENS1_59segmented_radix_sort_warp_sort_small_config_static_selectorELNS0_4arch9wavefront6targetE1EEEvSK_.kd
    .uniform_work_group_size: 1
    .uses_dynamic_stack: false
    .vgpr_count:     0
    .vgpr_spill_count: 0
    .wavefront_size: 64
  - .args:
      - .offset:         0
        .size:           88
        .value_kind:     by_value
    .group_segment_fixed_size: 0
    .kernarg_segment_align: 8
    .kernarg_segment_size: 88
    .language:       OpenCL C
    .language_version:
      - 2
      - 0
    .max_flat_workgroup_size: 256
    .name:           _ZN7rocprim17ROCPRIM_400000_NS6detail17trampoline_kernelINS0_14default_configENS1_36segmented_radix_sort_config_selectorIslEEZNS1_25segmented_radix_sort_implIS3_Lb1EPKsPsPKlPlN2at6native12_GLOBAL__N_18offset_tEEE10hipError_tPvRmT1_PNSt15iterator_traitsISK_E10value_typeET2_T3_PNSL_ISQ_E10value_typeET4_jRbjT5_SW_jjP12ihipStream_tbEUlT_E1_NS1_11comp_targetILNS1_3genE9ELNS1_11target_archE1100ELNS1_3gpuE3ELNS1_3repE0EEENS1_59segmented_radix_sort_warp_sort_small_config_static_selectorELNS0_4arch9wavefront6targetE1EEEvSK_
    .private_segment_fixed_size: 0
    .sgpr_count:     4
    .sgpr_spill_count: 0
    .symbol:         _ZN7rocprim17ROCPRIM_400000_NS6detail17trampoline_kernelINS0_14default_configENS1_36segmented_radix_sort_config_selectorIslEEZNS1_25segmented_radix_sort_implIS3_Lb1EPKsPsPKlPlN2at6native12_GLOBAL__N_18offset_tEEE10hipError_tPvRmT1_PNSt15iterator_traitsISK_E10value_typeET2_T3_PNSL_ISQ_E10value_typeET4_jRbjT5_SW_jjP12ihipStream_tbEUlT_E1_NS1_11comp_targetILNS1_3genE9ELNS1_11target_archE1100ELNS1_3gpuE3ELNS1_3repE0EEENS1_59segmented_radix_sort_warp_sort_small_config_static_selectorELNS0_4arch9wavefront6targetE1EEEvSK_.kd
    .uniform_work_group_size: 1
    .uses_dynamic_stack: false
    .vgpr_count:     0
    .vgpr_spill_count: 0
    .wavefront_size: 64
  - .args:
      - .offset:         0
        .size:           88
        .value_kind:     by_value
    .group_segment_fixed_size: 0
    .kernarg_segment_align: 8
    .kernarg_segment_size: 88
    .language:       OpenCL C
    .language_version:
      - 2
      - 0
    .max_flat_workgroup_size: 256
    .name:           _ZN7rocprim17ROCPRIM_400000_NS6detail17trampoline_kernelINS0_14default_configENS1_36segmented_radix_sort_config_selectorIslEEZNS1_25segmented_radix_sort_implIS3_Lb1EPKsPsPKlPlN2at6native12_GLOBAL__N_18offset_tEEE10hipError_tPvRmT1_PNSt15iterator_traitsISK_E10value_typeET2_T3_PNSL_ISQ_E10value_typeET4_jRbjT5_SW_jjP12ihipStream_tbEUlT_E1_NS1_11comp_targetILNS1_3genE8ELNS1_11target_archE1030ELNS1_3gpuE2ELNS1_3repE0EEENS1_59segmented_radix_sort_warp_sort_small_config_static_selectorELNS0_4arch9wavefront6targetE1EEEvSK_
    .private_segment_fixed_size: 0
    .sgpr_count:     4
    .sgpr_spill_count: 0
    .symbol:         _ZN7rocprim17ROCPRIM_400000_NS6detail17trampoline_kernelINS0_14default_configENS1_36segmented_radix_sort_config_selectorIslEEZNS1_25segmented_radix_sort_implIS3_Lb1EPKsPsPKlPlN2at6native12_GLOBAL__N_18offset_tEEE10hipError_tPvRmT1_PNSt15iterator_traitsISK_E10value_typeET2_T3_PNSL_ISQ_E10value_typeET4_jRbjT5_SW_jjP12ihipStream_tbEUlT_E1_NS1_11comp_targetILNS1_3genE8ELNS1_11target_archE1030ELNS1_3gpuE2ELNS1_3repE0EEENS1_59segmented_radix_sort_warp_sort_small_config_static_selectorELNS0_4arch9wavefront6targetE1EEEvSK_.kd
    .uniform_work_group_size: 1
    .uses_dynamic_stack: false
    .vgpr_count:     0
    .vgpr_spill_count: 0
    .wavefront_size: 64
  - .args:
      - .offset:         0
        .size:           80
        .value_kind:     by_value
    .group_segment_fixed_size: 0
    .kernarg_segment_align: 8
    .kernarg_segment_size: 80
    .language:       OpenCL C
    .language_version:
      - 2
      - 0
    .max_flat_workgroup_size: 256
    .name:           _ZN7rocprim17ROCPRIM_400000_NS6detail17trampoline_kernelINS0_14default_configENS1_36segmented_radix_sort_config_selectorIslEEZNS1_25segmented_radix_sort_implIS3_Lb1EPKsPsPKlPlN2at6native12_GLOBAL__N_18offset_tEEE10hipError_tPvRmT1_PNSt15iterator_traitsISK_E10value_typeET2_T3_PNSL_ISQ_E10value_typeET4_jRbjT5_SW_jjP12ihipStream_tbEUlT_E2_NS1_11comp_targetILNS1_3genE0ELNS1_11target_archE4294967295ELNS1_3gpuE0ELNS1_3repE0EEENS1_30default_config_static_selectorELNS0_4arch9wavefront6targetE1EEEvSK_
    .private_segment_fixed_size: 0
    .sgpr_count:     4
    .sgpr_spill_count: 0
    .symbol:         _ZN7rocprim17ROCPRIM_400000_NS6detail17trampoline_kernelINS0_14default_configENS1_36segmented_radix_sort_config_selectorIslEEZNS1_25segmented_radix_sort_implIS3_Lb1EPKsPsPKlPlN2at6native12_GLOBAL__N_18offset_tEEE10hipError_tPvRmT1_PNSt15iterator_traitsISK_E10value_typeET2_T3_PNSL_ISQ_E10value_typeET4_jRbjT5_SW_jjP12ihipStream_tbEUlT_E2_NS1_11comp_targetILNS1_3genE0ELNS1_11target_archE4294967295ELNS1_3gpuE0ELNS1_3repE0EEENS1_30default_config_static_selectorELNS0_4arch9wavefront6targetE1EEEvSK_.kd
    .uniform_work_group_size: 1
    .uses_dynamic_stack: false
    .vgpr_count:     0
    .vgpr_spill_count: 0
    .wavefront_size: 64
  - .args:
      - .offset:         0
        .size:           80
        .value_kind:     by_value
    .group_segment_fixed_size: 0
    .kernarg_segment_align: 8
    .kernarg_segment_size: 80
    .language:       OpenCL C
    .language_version:
      - 2
      - 0
    .max_flat_workgroup_size: 256
    .name:           _ZN7rocprim17ROCPRIM_400000_NS6detail17trampoline_kernelINS0_14default_configENS1_36segmented_radix_sort_config_selectorIslEEZNS1_25segmented_radix_sort_implIS3_Lb1EPKsPsPKlPlN2at6native12_GLOBAL__N_18offset_tEEE10hipError_tPvRmT1_PNSt15iterator_traitsISK_E10value_typeET2_T3_PNSL_ISQ_E10value_typeET4_jRbjT5_SW_jjP12ihipStream_tbEUlT_E2_NS1_11comp_targetILNS1_3genE5ELNS1_11target_archE942ELNS1_3gpuE9ELNS1_3repE0EEENS1_30default_config_static_selectorELNS0_4arch9wavefront6targetE1EEEvSK_
    .private_segment_fixed_size: 0
    .sgpr_count:     4
    .sgpr_spill_count: 0
    .symbol:         _ZN7rocprim17ROCPRIM_400000_NS6detail17trampoline_kernelINS0_14default_configENS1_36segmented_radix_sort_config_selectorIslEEZNS1_25segmented_radix_sort_implIS3_Lb1EPKsPsPKlPlN2at6native12_GLOBAL__N_18offset_tEEE10hipError_tPvRmT1_PNSt15iterator_traitsISK_E10value_typeET2_T3_PNSL_ISQ_E10value_typeET4_jRbjT5_SW_jjP12ihipStream_tbEUlT_E2_NS1_11comp_targetILNS1_3genE5ELNS1_11target_archE942ELNS1_3gpuE9ELNS1_3repE0EEENS1_30default_config_static_selectorELNS0_4arch9wavefront6targetE1EEEvSK_.kd
    .uniform_work_group_size: 1
    .uses_dynamic_stack: false
    .vgpr_count:     0
    .vgpr_spill_count: 0
    .wavefront_size: 64
  - .args:
      - .offset:         0
        .size:           80
        .value_kind:     by_value
    .group_segment_fixed_size: 0
    .kernarg_segment_align: 8
    .kernarg_segment_size: 80
    .language:       OpenCL C
    .language_version:
      - 2
      - 0
    .max_flat_workgroup_size: 256
    .name:           _ZN7rocprim17ROCPRIM_400000_NS6detail17trampoline_kernelINS0_14default_configENS1_36segmented_radix_sort_config_selectorIslEEZNS1_25segmented_radix_sort_implIS3_Lb1EPKsPsPKlPlN2at6native12_GLOBAL__N_18offset_tEEE10hipError_tPvRmT1_PNSt15iterator_traitsISK_E10value_typeET2_T3_PNSL_ISQ_E10value_typeET4_jRbjT5_SW_jjP12ihipStream_tbEUlT_E2_NS1_11comp_targetILNS1_3genE4ELNS1_11target_archE910ELNS1_3gpuE8ELNS1_3repE0EEENS1_30default_config_static_selectorELNS0_4arch9wavefront6targetE1EEEvSK_
    .private_segment_fixed_size: 0
    .sgpr_count:     4
    .sgpr_spill_count: 0
    .symbol:         _ZN7rocprim17ROCPRIM_400000_NS6detail17trampoline_kernelINS0_14default_configENS1_36segmented_radix_sort_config_selectorIslEEZNS1_25segmented_radix_sort_implIS3_Lb1EPKsPsPKlPlN2at6native12_GLOBAL__N_18offset_tEEE10hipError_tPvRmT1_PNSt15iterator_traitsISK_E10value_typeET2_T3_PNSL_ISQ_E10value_typeET4_jRbjT5_SW_jjP12ihipStream_tbEUlT_E2_NS1_11comp_targetILNS1_3genE4ELNS1_11target_archE910ELNS1_3gpuE8ELNS1_3repE0EEENS1_30default_config_static_selectorELNS0_4arch9wavefront6targetE1EEEvSK_.kd
    .uniform_work_group_size: 1
    .uses_dynamic_stack: false
    .vgpr_count:     0
    .vgpr_spill_count: 0
    .wavefront_size: 64
  - .args:
      - .offset:         0
        .size:           80
        .value_kind:     by_value
    .group_segment_fixed_size: 0
    .kernarg_segment_align: 8
    .kernarg_segment_size: 80
    .language:       OpenCL C
    .language_version:
      - 2
      - 0
    .max_flat_workgroup_size: 256
    .name:           _ZN7rocprim17ROCPRIM_400000_NS6detail17trampoline_kernelINS0_14default_configENS1_36segmented_radix_sort_config_selectorIslEEZNS1_25segmented_radix_sort_implIS3_Lb1EPKsPsPKlPlN2at6native12_GLOBAL__N_18offset_tEEE10hipError_tPvRmT1_PNSt15iterator_traitsISK_E10value_typeET2_T3_PNSL_ISQ_E10value_typeET4_jRbjT5_SW_jjP12ihipStream_tbEUlT_E2_NS1_11comp_targetILNS1_3genE3ELNS1_11target_archE908ELNS1_3gpuE7ELNS1_3repE0EEENS1_30default_config_static_selectorELNS0_4arch9wavefront6targetE1EEEvSK_
    .private_segment_fixed_size: 0
    .sgpr_count:     4
    .sgpr_spill_count: 0
    .symbol:         _ZN7rocprim17ROCPRIM_400000_NS6detail17trampoline_kernelINS0_14default_configENS1_36segmented_radix_sort_config_selectorIslEEZNS1_25segmented_radix_sort_implIS3_Lb1EPKsPsPKlPlN2at6native12_GLOBAL__N_18offset_tEEE10hipError_tPvRmT1_PNSt15iterator_traitsISK_E10value_typeET2_T3_PNSL_ISQ_E10value_typeET4_jRbjT5_SW_jjP12ihipStream_tbEUlT_E2_NS1_11comp_targetILNS1_3genE3ELNS1_11target_archE908ELNS1_3gpuE7ELNS1_3repE0EEENS1_30default_config_static_selectorELNS0_4arch9wavefront6targetE1EEEvSK_.kd
    .uniform_work_group_size: 1
    .uses_dynamic_stack: false
    .vgpr_count:     0
    .vgpr_spill_count: 0
    .wavefront_size: 64
  - .args:
      - .offset:         0
        .size:           80
        .value_kind:     by_value
      - .offset:         80
        .size:           4
        .value_kind:     hidden_block_count_x
      - .offset:         84
        .size:           4
        .value_kind:     hidden_block_count_y
      - .offset:         88
        .size:           4
        .value_kind:     hidden_block_count_z
      - .offset:         92
        .size:           2
        .value_kind:     hidden_group_size_x
      - .offset:         94
        .size:           2
        .value_kind:     hidden_group_size_y
      - .offset:         96
        .size:           2
        .value_kind:     hidden_group_size_z
      - .offset:         98
        .size:           2
        .value_kind:     hidden_remainder_x
      - .offset:         100
        .size:           2
        .value_kind:     hidden_remainder_y
      - .offset:         102
        .size:           2
        .value_kind:     hidden_remainder_z
      - .offset:         120
        .size:           8
        .value_kind:     hidden_global_offset_x
      - .offset:         128
        .size:           8
        .value_kind:     hidden_global_offset_y
      - .offset:         136
        .size:           8
        .value_kind:     hidden_global_offset_z
      - .offset:         144
        .size:           2
        .value_kind:     hidden_grid_dims
    .group_segment_fixed_size: 10256
    .kernarg_segment_align: 8
    .kernarg_segment_size: 336
    .language:       OpenCL C
    .language_version:
      - 2
      - 0
    .max_flat_workgroup_size: 256
    .name:           _ZN7rocprim17ROCPRIM_400000_NS6detail17trampoline_kernelINS0_14default_configENS1_36segmented_radix_sort_config_selectorIslEEZNS1_25segmented_radix_sort_implIS3_Lb1EPKsPsPKlPlN2at6native12_GLOBAL__N_18offset_tEEE10hipError_tPvRmT1_PNSt15iterator_traitsISK_E10value_typeET2_T3_PNSL_ISQ_E10value_typeET4_jRbjT5_SW_jjP12ihipStream_tbEUlT_E2_NS1_11comp_targetILNS1_3genE2ELNS1_11target_archE906ELNS1_3gpuE6ELNS1_3repE0EEENS1_30default_config_static_selectorELNS0_4arch9wavefront6targetE1EEEvSK_
    .private_segment_fixed_size: 0
    .sgpr_count:     81
    .sgpr_spill_count: 0
    .symbol:         _ZN7rocprim17ROCPRIM_400000_NS6detail17trampoline_kernelINS0_14default_configENS1_36segmented_radix_sort_config_selectorIslEEZNS1_25segmented_radix_sort_implIS3_Lb1EPKsPsPKlPlN2at6native12_GLOBAL__N_18offset_tEEE10hipError_tPvRmT1_PNSt15iterator_traitsISK_E10value_typeET2_T3_PNSL_ISQ_E10value_typeET4_jRbjT5_SW_jjP12ihipStream_tbEUlT_E2_NS1_11comp_targetILNS1_3genE2ELNS1_11target_archE906ELNS1_3gpuE6ELNS1_3repE0EEENS1_30default_config_static_selectorELNS0_4arch9wavefront6targetE1EEEvSK_.kd
    .uniform_work_group_size: 1
    .uses_dynamic_stack: false
    .vgpr_count:     95
    .vgpr_spill_count: 0
    .wavefront_size: 64
  - .args:
      - .offset:         0
        .size:           80
        .value_kind:     by_value
    .group_segment_fixed_size: 0
    .kernarg_segment_align: 8
    .kernarg_segment_size: 80
    .language:       OpenCL C
    .language_version:
      - 2
      - 0
    .max_flat_workgroup_size: 256
    .name:           _ZN7rocprim17ROCPRIM_400000_NS6detail17trampoline_kernelINS0_14default_configENS1_36segmented_radix_sort_config_selectorIslEEZNS1_25segmented_radix_sort_implIS3_Lb1EPKsPsPKlPlN2at6native12_GLOBAL__N_18offset_tEEE10hipError_tPvRmT1_PNSt15iterator_traitsISK_E10value_typeET2_T3_PNSL_ISQ_E10value_typeET4_jRbjT5_SW_jjP12ihipStream_tbEUlT_E2_NS1_11comp_targetILNS1_3genE10ELNS1_11target_archE1201ELNS1_3gpuE5ELNS1_3repE0EEENS1_30default_config_static_selectorELNS0_4arch9wavefront6targetE1EEEvSK_
    .private_segment_fixed_size: 0
    .sgpr_count:     4
    .sgpr_spill_count: 0
    .symbol:         _ZN7rocprim17ROCPRIM_400000_NS6detail17trampoline_kernelINS0_14default_configENS1_36segmented_radix_sort_config_selectorIslEEZNS1_25segmented_radix_sort_implIS3_Lb1EPKsPsPKlPlN2at6native12_GLOBAL__N_18offset_tEEE10hipError_tPvRmT1_PNSt15iterator_traitsISK_E10value_typeET2_T3_PNSL_ISQ_E10value_typeET4_jRbjT5_SW_jjP12ihipStream_tbEUlT_E2_NS1_11comp_targetILNS1_3genE10ELNS1_11target_archE1201ELNS1_3gpuE5ELNS1_3repE0EEENS1_30default_config_static_selectorELNS0_4arch9wavefront6targetE1EEEvSK_.kd
    .uniform_work_group_size: 1
    .uses_dynamic_stack: false
    .vgpr_count:     0
    .vgpr_spill_count: 0
    .wavefront_size: 64
  - .args:
      - .offset:         0
        .size:           80
        .value_kind:     by_value
    .group_segment_fixed_size: 0
    .kernarg_segment_align: 8
    .kernarg_segment_size: 80
    .language:       OpenCL C
    .language_version:
      - 2
      - 0
    .max_flat_workgroup_size: 128
    .name:           _ZN7rocprim17ROCPRIM_400000_NS6detail17trampoline_kernelINS0_14default_configENS1_36segmented_radix_sort_config_selectorIslEEZNS1_25segmented_radix_sort_implIS3_Lb1EPKsPsPKlPlN2at6native12_GLOBAL__N_18offset_tEEE10hipError_tPvRmT1_PNSt15iterator_traitsISK_E10value_typeET2_T3_PNSL_ISQ_E10value_typeET4_jRbjT5_SW_jjP12ihipStream_tbEUlT_E2_NS1_11comp_targetILNS1_3genE10ELNS1_11target_archE1200ELNS1_3gpuE4ELNS1_3repE0EEENS1_30default_config_static_selectorELNS0_4arch9wavefront6targetE1EEEvSK_
    .private_segment_fixed_size: 0
    .sgpr_count:     4
    .sgpr_spill_count: 0
    .symbol:         _ZN7rocprim17ROCPRIM_400000_NS6detail17trampoline_kernelINS0_14default_configENS1_36segmented_radix_sort_config_selectorIslEEZNS1_25segmented_radix_sort_implIS3_Lb1EPKsPsPKlPlN2at6native12_GLOBAL__N_18offset_tEEE10hipError_tPvRmT1_PNSt15iterator_traitsISK_E10value_typeET2_T3_PNSL_ISQ_E10value_typeET4_jRbjT5_SW_jjP12ihipStream_tbEUlT_E2_NS1_11comp_targetILNS1_3genE10ELNS1_11target_archE1200ELNS1_3gpuE4ELNS1_3repE0EEENS1_30default_config_static_selectorELNS0_4arch9wavefront6targetE1EEEvSK_.kd
    .uniform_work_group_size: 1
    .uses_dynamic_stack: false
    .vgpr_count:     0
    .vgpr_spill_count: 0
    .wavefront_size: 64
  - .args:
      - .offset:         0
        .size:           80
        .value_kind:     by_value
    .group_segment_fixed_size: 0
    .kernarg_segment_align: 8
    .kernarg_segment_size: 80
    .language:       OpenCL C
    .language_version:
      - 2
      - 0
    .max_flat_workgroup_size: 256
    .name:           _ZN7rocprim17ROCPRIM_400000_NS6detail17trampoline_kernelINS0_14default_configENS1_36segmented_radix_sort_config_selectorIslEEZNS1_25segmented_radix_sort_implIS3_Lb1EPKsPsPKlPlN2at6native12_GLOBAL__N_18offset_tEEE10hipError_tPvRmT1_PNSt15iterator_traitsISK_E10value_typeET2_T3_PNSL_ISQ_E10value_typeET4_jRbjT5_SW_jjP12ihipStream_tbEUlT_E2_NS1_11comp_targetILNS1_3genE9ELNS1_11target_archE1100ELNS1_3gpuE3ELNS1_3repE0EEENS1_30default_config_static_selectorELNS0_4arch9wavefront6targetE1EEEvSK_
    .private_segment_fixed_size: 0
    .sgpr_count:     4
    .sgpr_spill_count: 0
    .symbol:         _ZN7rocprim17ROCPRIM_400000_NS6detail17trampoline_kernelINS0_14default_configENS1_36segmented_radix_sort_config_selectorIslEEZNS1_25segmented_radix_sort_implIS3_Lb1EPKsPsPKlPlN2at6native12_GLOBAL__N_18offset_tEEE10hipError_tPvRmT1_PNSt15iterator_traitsISK_E10value_typeET2_T3_PNSL_ISQ_E10value_typeET4_jRbjT5_SW_jjP12ihipStream_tbEUlT_E2_NS1_11comp_targetILNS1_3genE9ELNS1_11target_archE1100ELNS1_3gpuE3ELNS1_3repE0EEENS1_30default_config_static_selectorELNS0_4arch9wavefront6targetE1EEEvSK_.kd
    .uniform_work_group_size: 1
    .uses_dynamic_stack: false
    .vgpr_count:     0
    .vgpr_spill_count: 0
    .wavefront_size: 64
  - .args:
      - .offset:         0
        .size:           80
        .value_kind:     by_value
    .group_segment_fixed_size: 0
    .kernarg_segment_align: 8
    .kernarg_segment_size: 80
    .language:       OpenCL C
    .language_version:
      - 2
      - 0
    .max_flat_workgroup_size: 256
    .name:           _ZN7rocprim17ROCPRIM_400000_NS6detail17trampoline_kernelINS0_14default_configENS1_36segmented_radix_sort_config_selectorIslEEZNS1_25segmented_radix_sort_implIS3_Lb1EPKsPsPKlPlN2at6native12_GLOBAL__N_18offset_tEEE10hipError_tPvRmT1_PNSt15iterator_traitsISK_E10value_typeET2_T3_PNSL_ISQ_E10value_typeET4_jRbjT5_SW_jjP12ihipStream_tbEUlT_E2_NS1_11comp_targetILNS1_3genE8ELNS1_11target_archE1030ELNS1_3gpuE2ELNS1_3repE0EEENS1_30default_config_static_selectorELNS0_4arch9wavefront6targetE1EEEvSK_
    .private_segment_fixed_size: 0
    .sgpr_count:     4
    .sgpr_spill_count: 0
    .symbol:         _ZN7rocprim17ROCPRIM_400000_NS6detail17trampoline_kernelINS0_14default_configENS1_36segmented_radix_sort_config_selectorIslEEZNS1_25segmented_radix_sort_implIS3_Lb1EPKsPsPKlPlN2at6native12_GLOBAL__N_18offset_tEEE10hipError_tPvRmT1_PNSt15iterator_traitsISK_E10value_typeET2_T3_PNSL_ISQ_E10value_typeET4_jRbjT5_SW_jjP12ihipStream_tbEUlT_E2_NS1_11comp_targetILNS1_3genE8ELNS1_11target_archE1030ELNS1_3gpuE2ELNS1_3repE0EEENS1_30default_config_static_selectorELNS0_4arch9wavefront6targetE1EEEvSK_.kd
    .uniform_work_group_size: 1
    .uses_dynamic_stack: false
    .vgpr_count:     0
    .vgpr_spill_count: 0
    .wavefront_size: 64
  - .args:
      - .offset:         0
        .size:           176
        .value_kind:     by_value
    .group_segment_fixed_size: 0
    .kernarg_segment_align: 8
    .kernarg_segment_size: 176
    .language:       OpenCL C
    .language_version:
      - 2
      - 0
    .max_flat_workgroup_size: 256
    .name:           _ZN7rocprim17ROCPRIM_400000_NS6detail17trampoline_kernelINS0_13select_configILj256ELj13ELNS0_17block_load_methodE3ELS4_3ELS4_3ELNS0_20block_scan_algorithmE0ELj4294967295EEENS1_25partition_config_selectorILNS1_17partition_subalgoE4EjNS0_10empty_typeEbEEZZNS1_14partition_implILS8_4ELb0ES6_15HIP_vector_typeIjLj2EENS0_17counting_iteratorIjlEEPS9_SG_NS0_5tupleIJPjSI_NS0_16reverse_iteratorISI_EEEEENSH_IJSG_SG_SG_EEES9_SI_JZNS1_25segmented_radix_sort_implINS0_14default_configELb0EPKsPsPKlPlN2at6native12_GLOBAL__N_18offset_tEEE10hipError_tPvRmT1_PNSt15iterator_traitsIS12_E10value_typeET2_T3_PNS13_IS18_E10value_typeET4_jRbjT5_S1E_jjP12ihipStream_tbEUljE_ZNSN_ISO_Lb0ESQ_SR_ST_SU_SY_EESZ_S10_S11_S12_S16_S17_S18_S1B_S1C_jS1D_jS1E_S1E_jjS1G_bEUljE0_EEESZ_S10_S11_S18_S1C_S1E_T6_T7_T9_mT8_S1G_bDpT10_ENKUlT_T0_E_clISt17integral_constantIbLb0EES1U_EEDaS1P_S1Q_EUlS1P_E_NS1_11comp_targetILNS1_3genE0ELNS1_11target_archE4294967295ELNS1_3gpuE0ELNS1_3repE0EEENS1_30default_config_static_selectorELNS0_4arch9wavefront6targetE1EEEvS12_
    .private_segment_fixed_size: 0
    .sgpr_count:     4
    .sgpr_spill_count: 0
    .symbol:         _ZN7rocprim17ROCPRIM_400000_NS6detail17trampoline_kernelINS0_13select_configILj256ELj13ELNS0_17block_load_methodE3ELS4_3ELS4_3ELNS0_20block_scan_algorithmE0ELj4294967295EEENS1_25partition_config_selectorILNS1_17partition_subalgoE4EjNS0_10empty_typeEbEEZZNS1_14partition_implILS8_4ELb0ES6_15HIP_vector_typeIjLj2EENS0_17counting_iteratorIjlEEPS9_SG_NS0_5tupleIJPjSI_NS0_16reverse_iteratorISI_EEEEENSH_IJSG_SG_SG_EEES9_SI_JZNS1_25segmented_radix_sort_implINS0_14default_configELb0EPKsPsPKlPlN2at6native12_GLOBAL__N_18offset_tEEE10hipError_tPvRmT1_PNSt15iterator_traitsIS12_E10value_typeET2_T3_PNS13_IS18_E10value_typeET4_jRbjT5_S1E_jjP12ihipStream_tbEUljE_ZNSN_ISO_Lb0ESQ_SR_ST_SU_SY_EESZ_S10_S11_S12_S16_S17_S18_S1B_S1C_jS1D_jS1E_S1E_jjS1G_bEUljE0_EEESZ_S10_S11_S18_S1C_S1E_T6_T7_T9_mT8_S1G_bDpT10_ENKUlT_T0_E_clISt17integral_constantIbLb0EES1U_EEDaS1P_S1Q_EUlS1P_E_NS1_11comp_targetILNS1_3genE0ELNS1_11target_archE4294967295ELNS1_3gpuE0ELNS1_3repE0EEENS1_30default_config_static_selectorELNS0_4arch9wavefront6targetE1EEEvS12_.kd
    .uniform_work_group_size: 1
    .uses_dynamic_stack: false
    .vgpr_count:     0
    .vgpr_spill_count: 0
    .wavefront_size: 64
  - .args:
      - .offset:         0
        .size:           176
        .value_kind:     by_value
    .group_segment_fixed_size: 0
    .kernarg_segment_align: 8
    .kernarg_segment_size: 176
    .language:       OpenCL C
    .language_version:
      - 2
      - 0
    .max_flat_workgroup_size: 256
    .name:           _ZN7rocprim17ROCPRIM_400000_NS6detail17trampoline_kernelINS0_13select_configILj256ELj13ELNS0_17block_load_methodE3ELS4_3ELS4_3ELNS0_20block_scan_algorithmE0ELj4294967295EEENS1_25partition_config_selectorILNS1_17partition_subalgoE4EjNS0_10empty_typeEbEEZZNS1_14partition_implILS8_4ELb0ES6_15HIP_vector_typeIjLj2EENS0_17counting_iteratorIjlEEPS9_SG_NS0_5tupleIJPjSI_NS0_16reverse_iteratorISI_EEEEENSH_IJSG_SG_SG_EEES9_SI_JZNS1_25segmented_radix_sort_implINS0_14default_configELb0EPKsPsPKlPlN2at6native12_GLOBAL__N_18offset_tEEE10hipError_tPvRmT1_PNSt15iterator_traitsIS12_E10value_typeET2_T3_PNS13_IS18_E10value_typeET4_jRbjT5_S1E_jjP12ihipStream_tbEUljE_ZNSN_ISO_Lb0ESQ_SR_ST_SU_SY_EESZ_S10_S11_S12_S16_S17_S18_S1B_S1C_jS1D_jS1E_S1E_jjS1G_bEUljE0_EEESZ_S10_S11_S18_S1C_S1E_T6_T7_T9_mT8_S1G_bDpT10_ENKUlT_T0_E_clISt17integral_constantIbLb0EES1U_EEDaS1P_S1Q_EUlS1P_E_NS1_11comp_targetILNS1_3genE5ELNS1_11target_archE942ELNS1_3gpuE9ELNS1_3repE0EEENS1_30default_config_static_selectorELNS0_4arch9wavefront6targetE1EEEvS12_
    .private_segment_fixed_size: 0
    .sgpr_count:     4
    .sgpr_spill_count: 0
    .symbol:         _ZN7rocprim17ROCPRIM_400000_NS6detail17trampoline_kernelINS0_13select_configILj256ELj13ELNS0_17block_load_methodE3ELS4_3ELS4_3ELNS0_20block_scan_algorithmE0ELj4294967295EEENS1_25partition_config_selectorILNS1_17partition_subalgoE4EjNS0_10empty_typeEbEEZZNS1_14partition_implILS8_4ELb0ES6_15HIP_vector_typeIjLj2EENS0_17counting_iteratorIjlEEPS9_SG_NS0_5tupleIJPjSI_NS0_16reverse_iteratorISI_EEEEENSH_IJSG_SG_SG_EEES9_SI_JZNS1_25segmented_radix_sort_implINS0_14default_configELb0EPKsPsPKlPlN2at6native12_GLOBAL__N_18offset_tEEE10hipError_tPvRmT1_PNSt15iterator_traitsIS12_E10value_typeET2_T3_PNS13_IS18_E10value_typeET4_jRbjT5_S1E_jjP12ihipStream_tbEUljE_ZNSN_ISO_Lb0ESQ_SR_ST_SU_SY_EESZ_S10_S11_S12_S16_S17_S18_S1B_S1C_jS1D_jS1E_S1E_jjS1G_bEUljE0_EEESZ_S10_S11_S18_S1C_S1E_T6_T7_T9_mT8_S1G_bDpT10_ENKUlT_T0_E_clISt17integral_constantIbLb0EES1U_EEDaS1P_S1Q_EUlS1P_E_NS1_11comp_targetILNS1_3genE5ELNS1_11target_archE942ELNS1_3gpuE9ELNS1_3repE0EEENS1_30default_config_static_selectorELNS0_4arch9wavefront6targetE1EEEvS12_.kd
    .uniform_work_group_size: 1
    .uses_dynamic_stack: false
    .vgpr_count:     0
    .vgpr_spill_count: 0
    .wavefront_size: 64
  - .args:
      - .offset:         0
        .size:           176
        .value_kind:     by_value
    .group_segment_fixed_size: 0
    .kernarg_segment_align: 8
    .kernarg_segment_size: 176
    .language:       OpenCL C
    .language_version:
      - 2
      - 0
    .max_flat_workgroup_size: 256
    .name:           _ZN7rocprim17ROCPRIM_400000_NS6detail17trampoline_kernelINS0_13select_configILj256ELj13ELNS0_17block_load_methodE3ELS4_3ELS4_3ELNS0_20block_scan_algorithmE0ELj4294967295EEENS1_25partition_config_selectorILNS1_17partition_subalgoE4EjNS0_10empty_typeEbEEZZNS1_14partition_implILS8_4ELb0ES6_15HIP_vector_typeIjLj2EENS0_17counting_iteratorIjlEEPS9_SG_NS0_5tupleIJPjSI_NS0_16reverse_iteratorISI_EEEEENSH_IJSG_SG_SG_EEES9_SI_JZNS1_25segmented_radix_sort_implINS0_14default_configELb0EPKsPsPKlPlN2at6native12_GLOBAL__N_18offset_tEEE10hipError_tPvRmT1_PNSt15iterator_traitsIS12_E10value_typeET2_T3_PNS13_IS18_E10value_typeET4_jRbjT5_S1E_jjP12ihipStream_tbEUljE_ZNSN_ISO_Lb0ESQ_SR_ST_SU_SY_EESZ_S10_S11_S12_S16_S17_S18_S1B_S1C_jS1D_jS1E_S1E_jjS1G_bEUljE0_EEESZ_S10_S11_S18_S1C_S1E_T6_T7_T9_mT8_S1G_bDpT10_ENKUlT_T0_E_clISt17integral_constantIbLb0EES1U_EEDaS1P_S1Q_EUlS1P_E_NS1_11comp_targetILNS1_3genE4ELNS1_11target_archE910ELNS1_3gpuE8ELNS1_3repE0EEENS1_30default_config_static_selectorELNS0_4arch9wavefront6targetE1EEEvS12_
    .private_segment_fixed_size: 0
    .sgpr_count:     4
    .sgpr_spill_count: 0
    .symbol:         _ZN7rocprim17ROCPRIM_400000_NS6detail17trampoline_kernelINS0_13select_configILj256ELj13ELNS0_17block_load_methodE3ELS4_3ELS4_3ELNS0_20block_scan_algorithmE0ELj4294967295EEENS1_25partition_config_selectorILNS1_17partition_subalgoE4EjNS0_10empty_typeEbEEZZNS1_14partition_implILS8_4ELb0ES6_15HIP_vector_typeIjLj2EENS0_17counting_iteratorIjlEEPS9_SG_NS0_5tupleIJPjSI_NS0_16reverse_iteratorISI_EEEEENSH_IJSG_SG_SG_EEES9_SI_JZNS1_25segmented_radix_sort_implINS0_14default_configELb0EPKsPsPKlPlN2at6native12_GLOBAL__N_18offset_tEEE10hipError_tPvRmT1_PNSt15iterator_traitsIS12_E10value_typeET2_T3_PNS13_IS18_E10value_typeET4_jRbjT5_S1E_jjP12ihipStream_tbEUljE_ZNSN_ISO_Lb0ESQ_SR_ST_SU_SY_EESZ_S10_S11_S12_S16_S17_S18_S1B_S1C_jS1D_jS1E_S1E_jjS1G_bEUljE0_EEESZ_S10_S11_S18_S1C_S1E_T6_T7_T9_mT8_S1G_bDpT10_ENKUlT_T0_E_clISt17integral_constantIbLb0EES1U_EEDaS1P_S1Q_EUlS1P_E_NS1_11comp_targetILNS1_3genE4ELNS1_11target_archE910ELNS1_3gpuE8ELNS1_3repE0EEENS1_30default_config_static_selectorELNS0_4arch9wavefront6targetE1EEEvS12_.kd
    .uniform_work_group_size: 1
    .uses_dynamic_stack: false
    .vgpr_count:     0
    .vgpr_spill_count: 0
    .wavefront_size: 64
  - .args:
      - .offset:         0
        .size:           176
        .value_kind:     by_value
    .group_segment_fixed_size: 0
    .kernarg_segment_align: 8
    .kernarg_segment_size: 176
    .language:       OpenCL C
    .language_version:
      - 2
      - 0
    .max_flat_workgroup_size: 256
    .name:           _ZN7rocprim17ROCPRIM_400000_NS6detail17trampoline_kernelINS0_13select_configILj256ELj13ELNS0_17block_load_methodE3ELS4_3ELS4_3ELNS0_20block_scan_algorithmE0ELj4294967295EEENS1_25partition_config_selectorILNS1_17partition_subalgoE4EjNS0_10empty_typeEbEEZZNS1_14partition_implILS8_4ELb0ES6_15HIP_vector_typeIjLj2EENS0_17counting_iteratorIjlEEPS9_SG_NS0_5tupleIJPjSI_NS0_16reverse_iteratorISI_EEEEENSH_IJSG_SG_SG_EEES9_SI_JZNS1_25segmented_radix_sort_implINS0_14default_configELb0EPKsPsPKlPlN2at6native12_GLOBAL__N_18offset_tEEE10hipError_tPvRmT1_PNSt15iterator_traitsIS12_E10value_typeET2_T3_PNS13_IS18_E10value_typeET4_jRbjT5_S1E_jjP12ihipStream_tbEUljE_ZNSN_ISO_Lb0ESQ_SR_ST_SU_SY_EESZ_S10_S11_S12_S16_S17_S18_S1B_S1C_jS1D_jS1E_S1E_jjS1G_bEUljE0_EEESZ_S10_S11_S18_S1C_S1E_T6_T7_T9_mT8_S1G_bDpT10_ENKUlT_T0_E_clISt17integral_constantIbLb0EES1U_EEDaS1P_S1Q_EUlS1P_E_NS1_11comp_targetILNS1_3genE3ELNS1_11target_archE908ELNS1_3gpuE7ELNS1_3repE0EEENS1_30default_config_static_selectorELNS0_4arch9wavefront6targetE1EEEvS12_
    .private_segment_fixed_size: 0
    .sgpr_count:     4
    .sgpr_spill_count: 0
    .symbol:         _ZN7rocprim17ROCPRIM_400000_NS6detail17trampoline_kernelINS0_13select_configILj256ELj13ELNS0_17block_load_methodE3ELS4_3ELS4_3ELNS0_20block_scan_algorithmE0ELj4294967295EEENS1_25partition_config_selectorILNS1_17partition_subalgoE4EjNS0_10empty_typeEbEEZZNS1_14partition_implILS8_4ELb0ES6_15HIP_vector_typeIjLj2EENS0_17counting_iteratorIjlEEPS9_SG_NS0_5tupleIJPjSI_NS0_16reverse_iteratorISI_EEEEENSH_IJSG_SG_SG_EEES9_SI_JZNS1_25segmented_radix_sort_implINS0_14default_configELb0EPKsPsPKlPlN2at6native12_GLOBAL__N_18offset_tEEE10hipError_tPvRmT1_PNSt15iterator_traitsIS12_E10value_typeET2_T3_PNS13_IS18_E10value_typeET4_jRbjT5_S1E_jjP12ihipStream_tbEUljE_ZNSN_ISO_Lb0ESQ_SR_ST_SU_SY_EESZ_S10_S11_S12_S16_S17_S18_S1B_S1C_jS1D_jS1E_S1E_jjS1G_bEUljE0_EEESZ_S10_S11_S18_S1C_S1E_T6_T7_T9_mT8_S1G_bDpT10_ENKUlT_T0_E_clISt17integral_constantIbLb0EES1U_EEDaS1P_S1Q_EUlS1P_E_NS1_11comp_targetILNS1_3genE3ELNS1_11target_archE908ELNS1_3gpuE7ELNS1_3repE0EEENS1_30default_config_static_selectorELNS0_4arch9wavefront6targetE1EEEvS12_.kd
    .uniform_work_group_size: 1
    .uses_dynamic_stack: false
    .vgpr_count:     0
    .vgpr_spill_count: 0
    .wavefront_size: 64
  - .args:
      - .offset:         0
        .size:           176
        .value_kind:     by_value
    .group_segment_fixed_size: 13328
    .kernarg_segment_align: 8
    .kernarg_segment_size: 176
    .language:       OpenCL C
    .language_version:
      - 2
      - 0
    .max_flat_workgroup_size: 256
    .name:           _ZN7rocprim17ROCPRIM_400000_NS6detail17trampoline_kernelINS0_13select_configILj256ELj13ELNS0_17block_load_methodE3ELS4_3ELS4_3ELNS0_20block_scan_algorithmE0ELj4294967295EEENS1_25partition_config_selectorILNS1_17partition_subalgoE4EjNS0_10empty_typeEbEEZZNS1_14partition_implILS8_4ELb0ES6_15HIP_vector_typeIjLj2EENS0_17counting_iteratorIjlEEPS9_SG_NS0_5tupleIJPjSI_NS0_16reverse_iteratorISI_EEEEENSH_IJSG_SG_SG_EEES9_SI_JZNS1_25segmented_radix_sort_implINS0_14default_configELb0EPKsPsPKlPlN2at6native12_GLOBAL__N_18offset_tEEE10hipError_tPvRmT1_PNSt15iterator_traitsIS12_E10value_typeET2_T3_PNS13_IS18_E10value_typeET4_jRbjT5_S1E_jjP12ihipStream_tbEUljE_ZNSN_ISO_Lb0ESQ_SR_ST_SU_SY_EESZ_S10_S11_S12_S16_S17_S18_S1B_S1C_jS1D_jS1E_S1E_jjS1G_bEUljE0_EEESZ_S10_S11_S18_S1C_S1E_T6_T7_T9_mT8_S1G_bDpT10_ENKUlT_T0_E_clISt17integral_constantIbLb0EES1U_EEDaS1P_S1Q_EUlS1P_E_NS1_11comp_targetILNS1_3genE2ELNS1_11target_archE906ELNS1_3gpuE6ELNS1_3repE0EEENS1_30default_config_static_selectorELNS0_4arch9wavefront6targetE1EEEvS12_
    .private_segment_fixed_size: 0
    .sgpr_count:     94
    .sgpr_spill_count: 0
    .symbol:         _ZN7rocprim17ROCPRIM_400000_NS6detail17trampoline_kernelINS0_13select_configILj256ELj13ELNS0_17block_load_methodE3ELS4_3ELS4_3ELNS0_20block_scan_algorithmE0ELj4294967295EEENS1_25partition_config_selectorILNS1_17partition_subalgoE4EjNS0_10empty_typeEbEEZZNS1_14partition_implILS8_4ELb0ES6_15HIP_vector_typeIjLj2EENS0_17counting_iteratorIjlEEPS9_SG_NS0_5tupleIJPjSI_NS0_16reverse_iteratorISI_EEEEENSH_IJSG_SG_SG_EEES9_SI_JZNS1_25segmented_radix_sort_implINS0_14default_configELb0EPKsPsPKlPlN2at6native12_GLOBAL__N_18offset_tEEE10hipError_tPvRmT1_PNSt15iterator_traitsIS12_E10value_typeET2_T3_PNS13_IS18_E10value_typeET4_jRbjT5_S1E_jjP12ihipStream_tbEUljE_ZNSN_ISO_Lb0ESQ_SR_ST_SU_SY_EESZ_S10_S11_S12_S16_S17_S18_S1B_S1C_jS1D_jS1E_S1E_jjS1G_bEUljE0_EEESZ_S10_S11_S18_S1C_S1E_T6_T7_T9_mT8_S1G_bDpT10_ENKUlT_T0_E_clISt17integral_constantIbLb0EES1U_EEDaS1P_S1Q_EUlS1P_E_NS1_11comp_targetILNS1_3genE2ELNS1_11target_archE906ELNS1_3gpuE6ELNS1_3repE0EEENS1_30default_config_static_selectorELNS0_4arch9wavefront6targetE1EEEvS12_.kd
    .uniform_work_group_size: 1
    .uses_dynamic_stack: false
    .vgpr_count:     86
    .vgpr_spill_count: 0
    .wavefront_size: 64
  - .args:
      - .offset:         0
        .size:           176
        .value_kind:     by_value
    .group_segment_fixed_size: 0
    .kernarg_segment_align: 8
    .kernarg_segment_size: 176
    .language:       OpenCL C
    .language_version:
      - 2
      - 0
    .max_flat_workgroup_size: 256
    .name:           _ZN7rocprim17ROCPRIM_400000_NS6detail17trampoline_kernelINS0_13select_configILj256ELj13ELNS0_17block_load_methodE3ELS4_3ELS4_3ELNS0_20block_scan_algorithmE0ELj4294967295EEENS1_25partition_config_selectorILNS1_17partition_subalgoE4EjNS0_10empty_typeEbEEZZNS1_14partition_implILS8_4ELb0ES6_15HIP_vector_typeIjLj2EENS0_17counting_iteratorIjlEEPS9_SG_NS0_5tupleIJPjSI_NS0_16reverse_iteratorISI_EEEEENSH_IJSG_SG_SG_EEES9_SI_JZNS1_25segmented_radix_sort_implINS0_14default_configELb0EPKsPsPKlPlN2at6native12_GLOBAL__N_18offset_tEEE10hipError_tPvRmT1_PNSt15iterator_traitsIS12_E10value_typeET2_T3_PNS13_IS18_E10value_typeET4_jRbjT5_S1E_jjP12ihipStream_tbEUljE_ZNSN_ISO_Lb0ESQ_SR_ST_SU_SY_EESZ_S10_S11_S12_S16_S17_S18_S1B_S1C_jS1D_jS1E_S1E_jjS1G_bEUljE0_EEESZ_S10_S11_S18_S1C_S1E_T6_T7_T9_mT8_S1G_bDpT10_ENKUlT_T0_E_clISt17integral_constantIbLb0EES1U_EEDaS1P_S1Q_EUlS1P_E_NS1_11comp_targetILNS1_3genE10ELNS1_11target_archE1200ELNS1_3gpuE4ELNS1_3repE0EEENS1_30default_config_static_selectorELNS0_4arch9wavefront6targetE1EEEvS12_
    .private_segment_fixed_size: 0
    .sgpr_count:     4
    .sgpr_spill_count: 0
    .symbol:         _ZN7rocprim17ROCPRIM_400000_NS6detail17trampoline_kernelINS0_13select_configILj256ELj13ELNS0_17block_load_methodE3ELS4_3ELS4_3ELNS0_20block_scan_algorithmE0ELj4294967295EEENS1_25partition_config_selectorILNS1_17partition_subalgoE4EjNS0_10empty_typeEbEEZZNS1_14partition_implILS8_4ELb0ES6_15HIP_vector_typeIjLj2EENS0_17counting_iteratorIjlEEPS9_SG_NS0_5tupleIJPjSI_NS0_16reverse_iteratorISI_EEEEENSH_IJSG_SG_SG_EEES9_SI_JZNS1_25segmented_radix_sort_implINS0_14default_configELb0EPKsPsPKlPlN2at6native12_GLOBAL__N_18offset_tEEE10hipError_tPvRmT1_PNSt15iterator_traitsIS12_E10value_typeET2_T3_PNS13_IS18_E10value_typeET4_jRbjT5_S1E_jjP12ihipStream_tbEUljE_ZNSN_ISO_Lb0ESQ_SR_ST_SU_SY_EESZ_S10_S11_S12_S16_S17_S18_S1B_S1C_jS1D_jS1E_S1E_jjS1G_bEUljE0_EEESZ_S10_S11_S18_S1C_S1E_T6_T7_T9_mT8_S1G_bDpT10_ENKUlT_T0_E_clISt17integral_constantIbLb0EES1U_EEDaS1P_S1Q_EUlS1P_E_NS1_11comp_targetILNS1_3genE10ELNS1_11target_archE1200ELNS1_3gpuE4ELNS1_3repE0EEENS1_30default_config_static_selectorELNS0_4arch9wavefront6targetE1EEEvS12_.kd
    .uniform_work_group_size: 1
    .uses_dynamic_stack: false
    .vgpr_count:     0
    .vgpr_spill_count: 0
    .wavefront_size: 64
  - .args:
      - .offset:         0
        .size:           176
        .value_kind:     by_value
    .group_segment_fixed_size: 0
    .kernarg_segment_align: 8
    .kernarg_segment_size: 176
    .language:       OpenCL C
    .language_version:
      - 2
      - 0
    .max_flat_workgroup_size: 256
    .name:           _ZN7rocprim17ROCPRIM_400000_NS6detail17trampoline_kernelINS0_13select_configILj256ELj13ELNS0_17block_load_methodE3ELS4_3ELS4_3ELNS0_20block_scan_algorithmE0ELj4294967295EEENS1_25partition_config_selectorILNS1_17partition_subalgoE4EjNS0_10empty_typeEbEEZZNS1_14partition_implILS8_4ELb0ES6_15HIP_vector_typeIjLj2EENS0_17counting_iteratorIjlEEPS9_SG_NS0_5tupleIJPjSI_NS0_16reverse_iteratorISI_EEEEENSH_IJSG_SG_SG_EEES9_SI_JZNS1_25segmented_radix_sort_implINS0_14default_configELb0EPKsPsPKlPlN2at6native12_GLOBAL__N_18offset_tEEE10hipError_tPvRmT1_PNSt15iterator_traitsIS12_E10value_typeET2_T3_PNS13_IS18_E10value_typeET4_jRbjT5_S1E_jjP12ihipStream_tbEUljE_ZNSN_ISO_Lb0ESQ_SR_ST_SU_SY_EESZ_S10_S11_S12_S16_S17_S18_S1B_S1C_jS1D_jS1E_S1E_jjS1G_bEUljE0_EEESZ_S10_S11_S18_S1C_S1E_T6_T7_T9_mT8_S1G_bDpT10_ENKUlT_T0_E_clISt17integral_constantIbLb0EES1U_EEDaS1P_S1Q_EUlS1P_E_NS1_11comp_targetILNS1_3genE9ELNS1_11target_archE1100ELNS1_3gpuE3ELNS1_3repE0EEENS1_30default_config_static_selectorELNS0_4arch9wavefront6targetE1EEEvS12_
    .private_segment_fixed_size: 0
    .sgpr_count:     4
    .sgpr_spill_count: 0
    .symbol:         _ZN7rocprim17ROCPRIM_400000_NS6detail17trampoline_kernelINS0_13select_configILj256ELj13ELNS0_17block_load_methodE3ELS4_3ELS4_3ELNS0_20block_scan_algorithmE0ELj4294967295EEENS1_25partition_config_selectorILNS1_17partition_subalgoE4EjNS0_10empty_typeEbEEZZNS1_14partition_implILS8_4ELb0ES6_15HIP_vector_typeIjLj2EENS0_17counting_iteratorIjlEEPS9_SG_NS0_5tupleIJPjSI_NS0_16reverse_iteratorISI_EEEEENSH_IJSG_SG_SG_EEES9_SI_JZNS1_25segmented_radix_sort_implINS0_14default_configELb0EPKsPsPKlPlN2at6native12_GLOBAL__N_18offset_tEEE10hipError_tPvRmT1_PNSt15iterator_traitsIS12_E10value_typeET2_T3_PNS13_IS18_E10value_typeET4_jRbjT5_S1E_jjP12ihipStream_tbEUljE_ZNSN_ISO_Lb0ESQ_SR_ST_SU_SY_EESZ_S10_S11_S12_S16_S17_S18_S1B_S1C_jS1D_jS1E_S1E_jjS1G_bEUljE0_EEESZ_S10_S11_S18_S1C_S1E_T6_T7_T9_mT8_S1G_bDpT10_ENKUlT_T0_E_clISt17integral_constantIbLb0EES1U_EEDaS1P_S1Q_EUlS1P_E_NS1_11comp_targetILNS1_3genE9ELNS1_11target_archE1100ELNS1_3gpuE3ELNS1_3repE0EEENS1_30default_config_static_selectorELNS0_4arch9wavefront6targetE1EEEvS12_.kd
    .uniform_work_group_size: 1
    .uses_dynamic_stack: false
    .vgpr_count:     0
    .vgpr_spill_count: 0
    .wavefront_size: 64
  - .args:
      - .offset:         0
        .size:           176
        .value_kind:     by_value
    .group_segment_fixed_size: 0
    .kernarg_segment_align: 8
    .kernarg_segment_size: 176
    .language:       OpenCL C
    .language_version:
      - 2
      - 0
    .max_flat_workgroup_size: 256
    .name:           _ZN7rocprim17ROCPRIM_400000_NS6detail17trampoline_kernelINS0_13select_configILj256ELj13ELNS0_17block_load_methodE3ELS4_3ELS4_3ELNS0_20block_scan_algorithmE0ELj4294967295EEENS1_25partition_config_selectorILNS1_17partition_subalgoE4EjNS0_10empty_typeEbEEZZNS1_14partition_implILS8_4ELb0ES6_15HIP_vector_typeIjLj2EENS0_17counting_iteratorIjlEEPS9_SG_NS0_5tupleIJPjSI_NS0_16reverse_iteratorISI_EEEEENSH_IJSG_SG_SG_EEES9_SI_JZNS1_25segmented_radix_sort_implINS0_14default_configELb0EPKsPsPKlPlN2at6native12_GLOBAL__N_18offset_tEEE10hipError_tPvRmT1_PNSt15iterator_traitsIS12_E10value_typeET2_T3_PNS13_IS18_E10value_typeET4_jRbjT5_S1E_jjP12ihipStream_tbEUljE_ZNSN_ISO_Lb0ESQ_SR_ST_SU_SY_EESZ_S10_S11_S12_S16_S17_S18_S1B_S1C_jS1D_jS1E_S1E_jjS1G_bEUljE0_EEESZ_S10_S11_S18_S1C_S1E_T6_T7_T9_mT8_S1G_bDpT10_ENKUlT_T0_E_clISt17integral_constantIbLb0EES1U_EEDaS1P_S1Q_EUlS1P_E_NS1_11comp_targetILNS1_3genE8ELNS1_11target_archE1030ELNS1_3gpuE2ELNS1_3repE0EEENS1_30default_config_static_selectorELNS0_4arch9wavefront6targetE1EEEvS12_
    .private_segment_fixed_size: 0
    .sgpr_count:     4
    .sgpr_spill_count: 0
    .symbol:         _ZN7rocprim17ROCPRIM_400000_NS6detail17trampoline_kernelINS0_13select_configILj256ELj13ELNS0_17block_load_methodE3ELS4_3ELS4_3ELNS0_20block_scan_algorithmE0ELj4294967295EEENS1_25partition_config_selectorILNS1_17partition_subalgoE4EjNS0_10empty_typeEbEEZZNS1_14partition_implILS8_4ELb0ES6_15HIP_vector_typeIjLj2EENS0_17counting_iteratorIjlEEPS9_SG_NS0_5tupleIJPjSI_NS0_16reverse_iteratorISI_EEEEENSH_IJSG_SG_SG_EEES9_SI_JZNS1_25segmented_radix_sort_implINS0_14default_configELb0EPKsPsPKlPlN2at6native12_GLOBAL__N_18offset_tEEE10hipError_tPvRmT1_PNSt15iterator_traitsIS12_E10value_typeET2_T3_PNS13_IS18_E10value_typeET4_jRbjT5_S1E_jjP12ihipStream_tbEUljE_ZNSN_ISO_Lb0ESQ_SR_ST_SU_SY_EESZ_S10_S11_S12_S16_S17_S18_S1B_S1C_jS1D_jS1E_S1E_jjS1G_bEUljE0_EEESZ_S10_S11_S18_S1C_S1E_T6_T7_T9_mT8_S1G_bDpT10_ENKUlT_T0_E_clISt17integral_constantIbLb0EES1U_EEDaS1P_S1Q_EUlS1P_E_NS1_11comp_targetILNS1_3genE8ELNS1_11target_archE1030ELNS1_3gpuE2ELNS1_3repE0EEENS1_30default_config_static_selectorELNS0_4arch9wavefront6targetE1EEEvS12_.kd
    .uniform_work_group_size: 1
    .uses_dynamic_stack: false
    .vgpr_count:     0
    .vgpr_spill_count: 0
    .wavefront_size: 64
  - .args:
      - .offset:         0
        .size:           184
        .value_kind:     by_value
    .group_segment_fixed_size: 0
    .kernarg_segment_align: 8
    .kernarg_segment_size: 184
    .language:       OpenCL C
    .language_version:
      - 2
      - 0
    .max_flat_workgroup_size: 256
    .name:           _ZN7rocprim17ROCPRIM_400000_NS6detail17trampoline_kernelINS0_13select_configILj256ELj13ELNS0_17block_load_methodE3ELS4_3ELS4_3ELNS0_20block_scan_algorithmE0ELj4294967295EEENS1_25partition_config_selectorILNS1_17partition_subalgoE4EjNS0_10empty_typeEbEEZZNS1_14partition_implILS8_4ELb0ES6_15HIP_vector_typeIjLj2EENS0_17counting_iteratorIjlEEPS9_SG_NS0_5tupleIJPjSI_NS0_16reverse_iteratorISI_EEEEENSH_IJSG_SG_SG_EEES9_SI_JZNS1_25segmented_radix_sort_implINS0_14default_configELb0EPKsPsPKlPlN2at6native12_GLOBAL__N_18offset_tEEE10hipError_tPvRmT1_PNSt15iterator_traitsIS12_E10value_typeET2_T3_PNS13_IS18_E10value_typeET4_jRbjT5_S1E_jjP12ihipStream_tbEUljE_ZNSN_ISO_Lb0ESQ_SR_ST_SU_SY_EESZ_S10_S11_S12_S16_S17_S18_S1B_S1C_jS1D_jS1E_S1E_jjS1G_bEUljE0_EEESZ_S10_S11_S18_S1C_S1E_T6_T7_T9_mT8_S1G_bDpT10_ENKUlT_T0_E_clISt17integral_constantIbLb1EES1U_EEDaS1P_S1Q_EUlS1P_E_NS1_11comp_targetILNS1_3genE0ELNS1_11target_archE4294967295ELNS1_3gpuE0ELNS1_3repE0EEENS1_30default_config_static_selectorELNS0_4arch9wavefront6targetE1EEEvS12_
    .private_segment_fixed_size: 0
    .sgpr_count:     4
    .sgpr_spill_count: 0
    .symbol:         _ZN7rocprim17ROCPRIM_400000_NS6detail17trampoline_kernelINS0_13select_configILj256ELj13ELNS0_17block_load_methodE3ELS4_3ELS4_3ELNS0_20block_scan_algorithmE0ELj4294967295EEENS1_25partition_config_selectorILNS1_17partition_subalgoE4EjNS0_10empty_typeEbEEZZNS1_14partition_implILS8_4ELb0ES6_15HIP_vector_typeIjLj2EENS0_17counting_iteratorIjlEEPS9_SG_NS0_5tupleIJPjSI_NS0_16reverse_iteratorISI_EEEEENSH_IJSG_SG_SG_EEES9_SI_JZNS1_25segmented_radix_sort_implINS0_14default_configELb0EPKsPsPKlPlN2at6native12_GLOBAL__N_18offset_tEEE10hipError_tPvRmT1_PNSt15iterator_traitsIS12_E10value_typeET2_T3_PNS13_IS18_E10value_typeET4_jRbjT5_S1E_jjP12ihipStream_tbEUljE_ZNSN_ISO_Lb0ESQ_SR_ST_SU_SY_EESZ_S10_S11_S12_S16_S17_S18_S1B_S1C_jS1D_jS1E_S1E_jjS1G_bEUljE0_EEESZ_S10_S11_S18_S1C_S1E_T6_T7_T9_mT8_S1G_bDpT10_ENKUlT_T0_E_clISt17integral_constantIbLb1EES1U_EEDaS1P_S1Q_EUlS1P_E_NS1_11comp_targetILNS1_3genE0ELNS1_11target_archE4294967295ELNS1_3gpuE0ELNS1_3repE0EEENS1_30default_config_static_selectorELNS0_4arch9wavefront6targetE1EEEvS12_.kd
    .uniform_work_group_size: 1
    .uses_dynamic_stack: false
    .vgpr_count:     0
    .vgpr_spill_count: 0
    .wavefront_size: 64
  - .args:
      - .offset:         0
        .size:           184
        .value_kind:     by_value
    .group_segment_fixed_size: 0
    .kernarg_segment_align: 8
    .kernarg_segment_size: 184
    .language:       OpenCL C
    .language_version:
      - 2
      - 0
    .max_flat_workgroup_size: 256
    .name:           _ZN7rocprim17ROCPRIM_400000_NS6detail17trampoline_kernelINS0_13select_configILj256ELj13ELNS0_17block_load_methodE3ELS4_3ELS4_3ELNS0_20block_scan_algorithmE0ELj4294967295EEENS1_25partition_config_selectorILNS1_17partition_subalgoE4EjNS0_10empty_typeEbEEZZNS1_14partition_implILS8_4ELb0ES6_15HIP_vector_typeIjLj2EENS0_17counting_iteratorIjlEEPS9_SG_NS0_5tupleIJPjSI_NS0_16reverse_iteratorISI_EEEEENSH_IJSG_SG_SG_EEES9_SI_JZNS1_25segmented_radix_sort_implINS0_14default_configELb0EPKsPsPKlPlN2at6native12_GLOBAL__N_18offset_tEEE10hipError_tPvRmT1_PNSt15iterator_traitsIS12_E10value_typeET2_T3_PNS13_IS18_E10value_typeET4_jRbjT5_S1E_jjP12ihipStream_tbEUljE_ZNSN_ISO_Lb0ESQ_SR_ST_SU_SY_EESZ_S10_S11_S12_S16_S17_S18_S1B_S1C_jS1D_jS1E_S1E_jjS1G_bEUljE0_EEESZ_S10_S11_S18_S1C_S1E_T6_T7_T9_mT8_S1G_bDpT10_ENKUlT_T0_E_clISt17integral_constantIbLb1EES1U_EEDaS1P_S1Q_EUlS1P_E_NS1_11comp_targetILNS1_3genE5ELNS1_11target_archE942ELNS1_3gpuE9ELNS1_3repE0EEENS1_30default_config_static_selectorELNS0_4arch9wavefront6targetE1EEEvS12_
    .private_segment_fixed_size: 0
    .sgpr_count:     4
    .sgpr_spill_count: 0
    .symbol:         _ZN7rocprim17ROCPRIM_400000_NS6detail17trampoline_kernelINS0_13select_configILj256ELj13ELNS0_17block_load_methodE3ELS4_3ELS4_3ELNS0_20block_scan_algorithmE0ELj4294967295EEENS1_25partition_config_selectorILNS1_17partition_subalgoE4EjNS0_10empty_typeEbEEZZNS1_14partition_implILS8_4ELb0ES6_15HIP_vector_typeIjLj2EENS0_17counting_iteratorIjlEEPS9_SG_NS0_5tupleIJPjSI_NS0_16reverse_iteratorISI_EEEEENSH_IJSG_SG_SG_EEES9_SI_JZNS1_25segmented_radix_sort_implINS0_14default_configELb0EPKsPsPKlPlN2at6native12_GLOBAL__N_18offset_tEEE10hipError_tPvRmT1_PNSt15iterator_traitsIS12_E10value_typeET2_T3_PNS13_IS18_E10value_typeET4_jRbjT5_S1E_jjP12ihipStream_tbEUljE_ZNSN_ISO_Lb0ESQ_SR_ST_SU_SY_EESZ_S10_S11_S12_S16_S17_S18_S1B_S1C_jS1D_jS1E_S1E_jjS1G_bEUljE0_EEESZ_S10_S11_S18_S1C_S1E_T6_T7_T9_mT8_S1G_bDpT10_ENKUlT_T0_E_clISt17integral_constantIbLb1EES1U_EEDaS1P_S1Q_EUlS1P_E_NS1_11comp_targetILNS1_3genE5ELNS1_11target_archE942ELNS1_3gpuE9ELNS1_3repE0EEENS1_30default_config_static_selectorELNS0_4arch9wavefront6targetE1EEEvS12_.kd
    .uniform_work_group_size: 1
    .uses_dynamic_stack: false
    .vgpr_count:     0
    .vgpr_spill_count: 0
    .wavefront_size: 64
  - .args:
      - .offset:         0
        .size:           184
        .value_kind:     by_value
    .group_segment_fixed_size: 0
    .kernarg_segment_align: 8
    .kernarg_segment_size: 184
    .language:       OpenCL C
    .language_version:
      - 2
      - 0
    .max_flat_workgroup_size: 256
    .name:           _ZN7rocprim17ROCPRIM_400000_NS6detail17trampoline_kernelINS0_13select_configILj256ELj13ELNS0_17block_load_methodE3ELS4_3ELS4_3ELNS0_20block_scan_algorithmE0ELj4294967295EEENS1_25partition_config_selectorILNS1_17partition_subalgoE4EjNS0_10empty_typeEbEEZZNS1_14partition_implILS8_4ELb0ES6_15HIP_vector_typeIjLj2EENS0_17counting_iteratorIjlEEPS9_SG_NS0_5tupleIJPjSI_NS0_16reverse_iteratorISI_EEEEENSH_IJSG_SG_SG_EEES9_SI_JZNS1_25segmented_radix_sort_implINS0_14default_configELb0EPKsPsPKlPlN2at6native12_GLOBAL__N_18offset_tEEE10hipError_tPvRmT1_PNSt15iterator_traitsIS12_E10value_typeET2_T3_PNS13_IS18_E10value_typeET4_jRbjT5_S1E_jjP12ihipStream_tbEUljE_ZNSN_ISO_Lb0ESQ_SR_ST_SU_SY_EESZ_S10_S11_S12_S16_S17_S18_S1B_S1C_jS1D_jS1E_S1E_jjS1G_bEUljE0_EEESZ_S10_S11_S18_S1C_S1E_T6_T7_T9_mT8_S1G_bDpT10_ENKUlT_T0_E_clISt17integral_constantIbLb1EES1U_EEDaS1P_S1Q_EUlS1P_E_NS1_11comp_targetILNS1_3genE4ELNS1_11target_archE910ELNS1_3gpuE8ELNS1_3repE0EEENS1_30default_config_static_selectorELNS0_4arch9wavefront6targetE1EEEvS12_
    .private_segment_fixed_size: 0
    .sgpr_count:     4
    .sgpr_spill_count: 0
    .symbol:         _ZN7rocprim17ROCPRIM_400000_NS6detail17trampoline_kernelINS0_13select_configILj256ELj13ELNS0_17block_load_methodE3ELS4_3ELS4_3ELNS0_20block_scan_algorithmE0ELj4294967295EEENS1_25partition_config_selectorILNS1_17partition_subalgoE4EjNS0_10empty_typeEbEEZZNS1_14partition_implILS8_4ELb0ES6_15HIP_vector_typeIjLj2EENS0_17counting_iteratorIjlEEPS9_SG_NS0_5tupleIJPjSI_NS0_16reverse_iteratorISI_EEEEENSH_IJSG_SG_SG_EEES9_SI_JZNS1_25segmented_radix_sort_implINS0_14default_configELb0EPKsPsPKlPlN2at6native12_GLOBAL__N_18offset_tEEE10hipError_tPvRmT1_PNSt15iterator_traitsIS12_E10value_typeET2_T3_PNS13_IS18_E10value_typeET4_jRbjT5_S1E_jjP12ihipStream_tbEUljE_ZNSN_ISO_Lb0ESQ_SR_ST_SU_SY_EESZ_S10_S11_S12_S16_S17_S18_S1B_S1C_jS1D_jS1E_S1E_jjS1G_bEUljE0_EEESZ_S10_S11_S18_S1C_S1E_T6_T7_T9_mT8_S1G_bDpT10_ENKUlT_T0_E_clISt17integral_constantIbLb1EES1U_EEDaS1P_S1Q_EUlS1P_E_NS1_11comp_targetILNS1_3genE4ELNS1_11target_archE910ELNS1_3gpuE8ELNS1_3repE0EEENS1_30default_config_static_selectorELNS0_4arch9wavefront6targetE1EEEvS12_.kd
    .uniform_work_group_size: 1
    .uses_dynamic_stack: false
    .vgpr_count:     0
    .vgpr_spill_count: 0
    .wavefront_size: 64
  - .args:
      - .offset:         0
        .size:           184
        .value_kind:     by_value
    .group_segment_fixed_size: 0
    .kernarg_segment_align: 8
    .kernarg_segment_size: 184
    .language:       OpenCL C
    .language_version:
      - 2
      - 0
    .max_flat_workgroup_size: 256
    .name:           _ZN7rocprim17ROCPRIM_400000_NS6detail17trampoline_kernelINS0_13select_configILj256ELj13ELNS0_17block_load_methodE3ELS4_3ELS4_3ELNS0_20block_scan_algorithmE0ELj4294967295EEENS1_25partition_config_selectorILNS1_17partition_subalgoE4EjNS0_10empty_typeEbEEZZNS1_14partition_implILS8_4ELb0ES6_15HIP_vector_typeIjLj2EENS0_17counting_iteratorIjlEEPS9_SG_NS0_5tupleIJPjSI_NS0_16reverse_iteratorISI_EEEEENSH_IJSG_SG_SG_EEES9_SI_JZNS1_25segmented_radix_sort_implINS0_14default_configELb0EPKsPsPKlPlN2at6native12_GLOBAL__N_18offset_tEEE10hipError_tPvRmT1_PNSt15iterator_traitsIS12_E10value_typeET2_T3_PNS13_IS18_E10value_typeET4_jRbjT5_S1E_jjP12ihipStream_tbEUljE_ZNSN_ISO_Lb0ESQ_SR_ST_SU_SY_EESZ_S10_S11_S12_S16_S17_S18_S1B_S1C_jS1D_jS1E_S1E_jjS1G_bEUljE0_EEESZ_S10_S11_S18_S1C_S1E_T6_T7_T9_mT8_S1G_bDpT10_ENKUlT_T0_E_clISt17integral_constantIbLb1EES1U_EEDaS1P_S1Q_EUlS1P_E_NS1_11comp_targetILNS1_3genE3ELNS1_11target_archE908ELNS1_3gpuE7ELNS1_3repE0EEENS1_30default_config_static_selectorELNS0_4arch9wavefront6targetE1EEEvS12_
    .private_segment_fixed_size: 0
    .sgpr_count:     4
    .sgpr_spill_count: 0
    .symbol:         _ZN7rocprim17ROCPRIM_400000_NS6detail17trampoline_kernelINS0_13select_configILj256ELj13ELNS0_17block_load_methodE3ELS4_3ELS4_3ELNS0_20block_scan_algorithmE0ELj4294967295EEENS1_25partition_config_selectorILNS1_17partition_subalgoE4EjNS0_10empty_typeEbEEZZNS1_14partition_implILS8_4ELb0ES6_15HIP_vector_typeIjLj2EENS0_17counting_iteratorIjlEEPS9_SG_NS0_5tupleIJPjSI_NS0_16reverse_iteratorISI_EEEEENSH_IJSG_SG_SG_EEES9_SI_JZNS1_25segmented_radix_sort_implINS0_14default_configELb0EPKsPsPKlPlN2at6native12_GLOBAL__N_18offset_tEEE10hipError_tPvRmT1_PNSt15iterator_traitsIS12_E10value_typeET2_T3_PNS13_IS18_E10value_typeET4_jRbjT5_S1E_jjP12ihipStream_tbEUljE_ZNSN_ISO_Lb0ESQ_SR_ST_SU_SY_EESZ_S10_S11_S12_S16_S17_S18_S1B_S1C_jS1D_jS1E_S1E_jjS1G_bEUljE0_EEESZ_S10_S11_S18_S1C_S1E_T6_T7_T9_mT8_S1G_bDpT10_ENKUlT_T0_E_clISt17integral_constantIbLb1EES1U_EEDaS1P_S1Q_EUlS1P_E_NS1_11comp_targetILNS1_3genE3ELNS1_11target_archE908ELNS1_3gpuE7ELNS1_3repE0EEENS1_30default_config_static_selectorELNS0_4arch9wavefront6targetE1EEEvS12_.kd
    .uniform_work_group_size: 1
    .uses_dynamic_stack: false
    .vgpr_count:     0
    .vgpr_spill_count: 0
    .wavefront_size: 64
  - .args:
      - .offset:         0
        .size:           184
        .value_kind:     by_value
    .group_segment_fixed_size: 0
    .kernarg_segment_align: 8
    .kernarg_segment_size: 184
    .language:       OpenCL C
    .language_version:
      - 2
      - 0
    .max_flat_workgroup_size: 256
    .name:           _ZN7rocprim17ROCPRIM_400000_NS6detail17trampoline_kernelINS0_13select_configILj256ELj13ELNS0_17block_load_methodE3ELS4_3ELS4_3ELNS0_20block_scan_algorithmE0ELj4294967295EEENS1_25partition_config_selectorILNS1_17partition_subalgoE4EjNS0_10empty_typeEbEEZZNS1_14partition_implILS8_4ELb0ES6_15HIP_vector_typeIjLj2EENS0_17counting_iteratorIjlEEPS9_SG_NS0_5tupleIJPjSI_NS0_16reverse_iteratorISI_EEEEENSH_IJSG_SG_SG_EEES9_SI_JZNS1_25segmented_radix_sort_implINS0_14default_configELb0EPKsPsPKlPlN2at6native12_GLOBAL__N_18offset_tEEE10hipError_tPvRmT1_PNSt15iterator_traitsIS12_E10value_typeET2_T3_PNS13_IS18_E10value_typeET4_jRbjT5_S1E_jjP12ihipStream_tbEUljE_ZNSN_ISO_Lb0ESQ_SR_ST_SU_SY_EESZ_S10_S11_S12_S16_S17_S18_S1B_S1C_jS1D_jS1E_S1E_jjS1G_bEUljE0_EEESZ_S10_S11_S18_S1C_S1E_T6_T7_T9_mT8_S1G_bDpT10_ENKUlT_T0_E_clISt17integral_constantIbLb1EES1U_EEDaS1P_S1Q_EUlS1P_E_NS1_11comp_targetILNS1_3genE2ELNS1_11target_archE906ELNS1_3gpuE6ELNS1_3repE0EEENS1_30default_config_static_selectorELNS0_4arch9wavefront6targetE1EEEvS12_
    .private_segment_fixed_size: 0
    .sgpr_count:     4
    .sgpr_spill_count: 0
    .symbol:         _ZN7rocprim17ROCPRIM_400000_NS6detail17trampoline_kernelINS0_13select_configILj256ELj13ELNS0_17block_load_methodE3ELS4_3ELS4_3ELNS0_20block_scan_algorithmE0ELj4294967295EEENS1_25partition_config_selectorILNS1_17partition_subalgoE4EjNS0_10empty_typeEbEEZZNS1_14partition_implILS8_4ELb0ES6_15HIP_vector_typeIjLj2EENS0_17counting_iteratorIjlEEPS9_SG_NS0_5tupleIJPjSI_NS0_16reverse_iteratorISI_EEEEENSH_IJSG_SG_SG_EEES9_SI_JZNS1_25segmented_radix_sort_implINS0_14default_configELb0EPKsPsPKlPlN2at6native12_GLOBAL__N_18offset_tEEE10hipError_tPvRmT1_PNSt15iterator_traitsIS12_E10value_typeET2_T3_PNS13_IS18_E10value_typeET4_jRbjT5_S1E_jjP12ihipStream_tbEUljE_ZNSN_ISO_Lb0ESQ_SR_ST_SU_SY_EESZ_S10_S11_S12_S16_S17_S18_S1B_S1C_jS1D_jS1E_S1E_jjS1G_bEUljE0_EEESZ_S10_S11_S18_S1C_S1E_T6_T7_T9_mT8_S1G_bDpT10_ENKUlT_T0_E_clISt17integral_constantIbLb1EES1U_EEDaS1P_S1Q_EUlS1P_E_NS1_11comp_targetILNS1_3genE2ELNS1_11target_archE906ELNS1_3gpuE6ELNS1_3repE0EEENS1_30default_config_static_selectorELNS0_4arch9wavefront6targetE1EEEvS12_.kd
    .uniform_work_group_size: 1
    .uses_dynamic_stack: false
    .vgpr_count:     0
    .vgpr_spill_count: 0
    .wavefront_size: 64
  - .args:
      - .offset:         0
        .size:           184
        .value_kind:     by_value
    .group_segment_fixed_size: 0
    .kernarg_segment_align: 8
    .kernarg_segment_size: 184
    .language:       OpenCL C
    .language_version:
      - 2
      - 0
    .max_flat_workgroup_size: 256
    .name:           _ZN7rocprim17ROCPRIM_400000_NS6detail17trampoline_kernelINS0_13select_configILj256ELj13ELNS0_17block_load_methodE3ELS4_3ELS4_3ELNS0_20block_scan_algorithmE0ELj4294967295EEENS1_25partition_config_selectorILNS1_17partition_subalgoE4EjNS0_10empty_typeEbEEZZNS1_14partition_implILS8_4ELb0ES6_15HIP_vector_typeIjLj2EENS0_17counting_iteratorIjlEEPS9_SG_NS0_5tupleIJPjSI_NS0_16reverse_iteratorISI_EEEEENSH_IJSG_SG_SG_EEES9_SI_JZNS1_25segmented_radix_sort_implINS0_14default_configELb0EPKsPsPKlPlN2at6native12_GLOBAL__N_18offset_tEEE10hipError_tPvRmT1_PNSt15iterator_traitsIS12_E10value_typeET2_T3_PNS13_IS18_E10value_typeET4_jRbjT5_S1E_jjP12ihipStream_tbEUljE_ZNSN_ISO_Lb0ESQ_SR_ST_SU_SY_EESZ_S10_S11_S12_S16_S17_S18_S1B_S1C_jS1D_jS1E_S1E_jjS1G_bEUljE0_EEESZ_S10_S11_S18_S1C_S1E_T6_T7_T9_mT8_S1G_bDpT10_ENKUlT_T0_E_clISt17integral_constantIbLb1EES1U_EEDaS1P_S1Q_EUlS1P_E_NS1_11comp_targetILNS1_3genE10ELNS1_11target_archE1200ELNS1_3gpuE4ELNS1_3repE0EEENS1_30default_config_static_selectorELNS0_4arch9wavefront6targetE1EEEvS12_
    .private_segment_fixed_size: 0
    .sgpr_count:     4
    .sgpr_spill_count: 0
    .symbol:         _ZN7rocprim17ROCPRIM_400000_NS6detail17trampoline_kernelINS0_13select_configILj256ELj13ELNS0_17block_load_methodE3ELS4_3ELS4_3ELNS0_20block_scan_algorithmE0ELj4294967295EEENS1_25partition_config_selectorILNS1_17partition_subalgoE4EjNS0_10empty_typeEbEEZZNS1_14partition_implILS8_4ELb0ES6_15HIP_vector_typeIjLj2EENS0_17counting_iteratorIjlEEPS9_SG_NS0_5tupleIJPjSI_NS0_16reverse_iteratorISI_EEEEENSH_IJSG_SG_SG_EEES9_SI_JZNS1_25segmented_radix_sort_implINS0_14default_configELb0EPKsPsPKlPlN2at6native12_GLOBAL__N_18offset_tEEE10hipError_tPvRmT1_PNSt15iterator_traitsIS12_E10value_typeET2_T3_PNS13_IS18_E10value_typeET4_jRbjT5_S1E_jjP12ihipStream_tbEUljE_ZNSN_ISO_Lb0ESQ_SR_ST_SU_SY_EESZ_S10_S11_S12_S16_S17_S18_S1B_S1C_jS1D_jS1E_S1E_jjS1G_bEUljE0_EEESZ_S10_S11_S18_S1C_S1E_T6_T7_T9_mT8_S1G_bDpT10_ENKUlT_T0_E_clISt17integral_constantIbLb1EES1U_EEDaS1P_S1Q_EUlS1P_E_NS1_11comp_targetILNS1_3genE10ELNS1_11target_archE1200ELNS1_3gpuE4ELNS1_3repE0EEENS1_30default_config_static_selectorELNS0_4arch9wavefront6targetE1EEEvS12_.kd
    .uniform_work_group_size: 1
    .uses_dynamic_stack: false
    .vgpr_count:     0
    .vgpr_spill_count: 0
    .wavefront_size: 64
  - .args:
      - .offset:         0
        .size:           184
        .value_kind:     by_value
    .group_segment_fixed_size: 0
    .kernarg_segment_align: 8
    .kernarg_segment_size: 184
    .language:       OpenCL C
    .language_version:
      - 2
      - 0
    .max_flat_workgroup_size: 256
    .name:           _ZN7rocprim17ROCPRIM_400000_NS6detail17trampoline_kernelINS0_13select_configILj256ELj13ELNS0_17block_load_methodE3ELS4_3ELS4_3ELNS0_20block_scan_algorithmE0ELj4294967295EEENS1_25partition_config_selectorILNS1_17partition_subalgoE4EjNS0_10empty_typeEbEEZZNS1_14partition_implILS8_4ELb0ES6_15HIP_vector_typeIjLj2EENS0_17counting_iteratorIjlEEPS9_SG_NS0_5tupleIJPjSI_NS0_16reverse_iteratorISI_EEEEENSH_IJSG_SG_SG_EEES9_SI_JZNS1_25segmented_radix_sort_implINS0_14default_configELb0EPKsPsPKlPlN2at6native12_GLOBAL__N_18offset_tEEE10hipError_tPvRmT1_PNSt15iterator_traitsIS12_E10value_typeET2_T3_PNS13_IS18_E10value_typeET4_jRbjT5_S1E_jjP12ihipStream_tbEUljE_ZNSN_ISO_Lb0ESQ_SR_ST_SU_SY_EESZ_S10_S11_S12_S16_S17_S18_S1B_S1C_jS1D_jS1E_S1E_jjS1G_bEUljE0_EEESZ_S10_S11_S18_S1C_S1E_T6_T7_T9_mT8_S1G_bDpT10_ENKUlT_T0_E_clISt17integral_constantIbLb1EES1U_EEDaS1P_S1Q_EUlS1P_E_NS1_11comp_targetILNS1_3genE9ELNS1_11target_archE1100ELNS1_3gpuE3ELNS1_3repE0EEENS1_30default_config_static_selectorELNS0_4arch9wavefront6targetE1EEEvS12_
    .private_segment_fixed_size: 0
    .sgpr_count:     4
    .sgpr_spill_count: 0
    .symbol:         _ZN7rocprim17ROCPRIM_400000_NS6detail17trampoline_kernelINS0_13select_configILj256ELj13ELNS0_17block_load_methodE3ELS4_3ELS4_3ELNS0_20block_scan_algorithmE0ELj4294967295EEENS1_25partition_config_selectorILNS1_17partition_subalgoE4EjNS0_10empty_typeEbEEZZNS1_14partition_implILS8_4ELb0ES6_15HIP_vector_typeIjLj2EENS0_17counting_iteratorIjlEEPS9_SG_NS0_5tupleIJPjSI_NS0_16reverse_iteratorISI_EEEEENSH_IJSG_SG_SG_EEES9_SI_JZNS1_25segmented_radix_sort_implINS0_14default_configELb0EPKsPsPKlPlN2at6native12_GLOBAL__N_18offset_tEEE10hipError_tPvRmT1_PNSt15iterator_traitsIS12_E10value_typeET2_T3_PNS13_IS18_E10value_typeET4_jRbjT5_S1E_jjP12ihipStream_tbEUljE_ZNSN_ISO_Lb0ESQ_SR_ST_SU_SY_EESZ_S10_S11_S12_S16_S17_S18_S1B_S1C_jS1D_jS1E_S1E_jjS1G_bEUljE0_EEESZ_S10_S11_S18_S1C_S1E_T6_T7_T9_mT8_S1G_bDpT10_ENKUlT_T0_E_clISt17integral_constantIbLb1EES1U_EEDaS1P_S1Q_EUlS1P_E_NS1_11comp_targetILNS1_3genE9ELNS1_11target_archE1100ELNS1_3gpuE3ELNS1_3repE0EEENS1_30default_config_static_selectorELNS0_4arch9wavefront6targetE1EEEvS12_.kd
    .uniform_work_group_size: 1
    .uses_dynamic_stack: false
    .vgpr_count:     0
    .vgpr_spill_count: 0
    .wavefront_size: 64
  - .args:
      - .offset:         0
        .size:           184
        .value_kind:     by_value
    .group_segment_fixed_size: 0
    .kernarg_segment_align: 8
    .kernarg_segment_size: 184
    .language:       OpenCL C
    .language_version:
      - 2
      - 0
    .max_flat_workgroup_size: 256
    .name:           _ZN7rocprim17ROCPRIM_400000_NS6detail17trampoline_kernelINS0_13select_configILj256ELj13ELNS0_17block_load_methodE3ELS4_3ELS4_3ELNS0_20block_scan_algorithmE0ELj4294967295EEENS1_25partition_config_selectorILNS1_17partition_subalgoE4EjNS0_10empty_typeEbEEZZNS1_14partition_implILS8_4ELb0ES6_15HIP_vector_typeIjLj2EENS0_17counting_iteratorIjlEEPS9_SG_NS0_5tupleIJPjSI_NS0_16reverse_iteratorISI_EEEEENSH_IJSG_SG_SG_EEES9_SI_JZNS1_25segmented_radix_sort_implINS0_14default_configELb0EPKsPsPKlPlN2at6native12_GLOBAL__N_18offset_tEEE10hipError_tPvRmT1_PNSt15iterator_traitsIS12_E10value_typeET2_T3_PNS13_IS18_E10value_typeET4_jRbjT5_S1E_jjP12ihipStream_tbEUljE_ZNSN_ISO_Lb0ESQ_SR_ST_SU_SY_EESZ_S10_S11_S12_S16_S17_S18_S1B_S1C_jS1D_jS1E_S1E_jjS1G_bEUljE0_EEESZ_S10_S11_S18_S1C_S1E_T6_T7_T9_mT8_S1G_bDpT10_ENKUlT_T0_E_clISt17integral_constantIbLb1EES1U_EEDaS1P_S1Q_EUlS1P_E_NS1_11comp_targetILNS1_3genE8ELNS1_11target_archE1030ELNS1_3gpuE2ELNS1_3repE0EEENS1_30default_config_static_selectorELNS0_4arch9wavefront6targetE1EEEvS12_
    .private_segment_fixed_size: 0
    .sgpr_count:     4
    .sgpr_spill_count: 0
    .symbol:         _ZN7rocprim17ROCPRIM_400000_NS6detail17trampoline_kernelINS0_13select_configILj256ELj13ELNS0_17block_load_methodE3ELS4_3ELS4_3ELNS0_20block_scan_algorithmE0ELj4294967295EEENS1_25partition_config_selectorILNS1_17partition_subalgoE4EjNS0_10empty_typeEbEEZZNS1_14partition_implILS8_4ELb0ES6_15HIP_vector_typeIjLj2EENS0_17counting_iteratorIjlEEPS9_SG_NS0_5tupleIJPjSI_NS0_16reverse_iteratorISI_EEEEENSH_IJSG_SG_SG_EEES9_SI_JZNS1_25segmented_radix_sort_implINS0_14default_configELb0EPKsPsPKlPlN2at6native12_GLOBAL__N_18offset_tEEE10hipError_tPvRmT1_PNSt15iterator_traitsIS12_E10value_typeET2_T3_PNS13_IS18_E10value_typeET4_jRbjT5_S1E_jjP12ihipStream_tbEUljE_ZNSN_ISO_Lb0ESQ_SR_ST_SU_SY_EESZ_S10_S11_S12_S16_S17_S18_S1B_S1C_jS1D_jS1E_S1E_jjS1G_bEUljE0_EEESZ_S10_S11_S18_S1C_S1E_T6_T7_T9_mT8_S1G_bDpT10_ENKUlT_T0_E_clISt17integral_constantIbLb1EES1U_EEDaS1P_S1Q_EUlS1P_E_NS1_11comp_targetILNS1_3genE8ELNS1_11target_archE1030ELNS1_3gpuE2ELNS1_3repE0EEENS1_30default_config_static_selectorELNS0_4arch9wavefront6targetE1EEEvS12_.kd
    .uniform_work_group_size: 1
    .uses_dynamic_stack: false
    .vgpr_count:     0
    .vgpr_spill_count: 0
    .wavefront_size: 64
  - .args:
      - .offset:         0
        .size:           176
        .value_kind:     by_value
    .group_segment_fixed_size: 0
    .kernarg_segment_align: 8
    .kernarg_segment_size: 176
    .language:       OpenCL C
    .language_version:
      - 2
      - 0
    .max_flat_workgroup_size: 256
    .name:           _ZN7rocprim17ROCPRIM_400000_NS6detail17trampoline_kernelINS0_13select_configILj256ELj13ELNS0_17block_load_methodE3ELS4_3ELS4_3ELNS0_20block_scan_algorithmE0ELj4294967295EEENS1_25partition_config_selectorILNS1_17partition_subalgoE4EjNS0_10empty_typeEbEEZZNS1_14partition_implILS8_4ELb0ES6_15HIP_vector_typeIjLj2EENS0_17counting_iteratorIjlEEPS9_SG_NS0_5tupleIJPjSI_NS0_16reverse_iteratorISI_EEEEENSH_IJSG_SG_SG_EEES9_SI_JZNS1_25segmented_radix_sort_implINS0_14default_configELb0EPKsPsPKlPlN2at6native12_GLOBAL__N_18offset_tEEE10hipError_tPvRmT1_PNSt15iterator_traitsIS12_E10value_typeET2_T3_PNS13_IS18_E10value_typeET4_jRbjT5_S1E_jjP12ihipStream_tbEUljE_ZNSN_ISO_Lb0ESQ_SR_ST_SU_SY_EESZ_S10_S11_S12_S16_S17_S18_S1B_S1C_jS1D_jS1E_S1E_jjS1G_bEUljE0_EEESZ_S10_S11_S18_S1C_S1E_T6_T7_T9_mT8_S1G_bDpT10_ENKUlT_T0_E_clISt17integral_constantIbLb1EES1T_IbLb0EEEEDaS1P_S1Q_EUlS1P_E_NS1_11comp_targetILNS1_3genE0ELNS1_11target_archE4294967295ELNS1_3gpuE0ELNS1_3repE0EEENS1_30default_config_static_selectorELNS0_4arch9wavefront6targetE1EEEvS12_
    .private_segment_fixed_size: 0
    .sgpr_count:     4
    .sgpr_spill_count: 0
    .symbol:         _ZN7rocprim17ROCPRIM_400000_NS6detail17trampoline_kernelINS0_13select_configILj256ELj13ELNS0_17block_load_methodE3ELS4_3ELS4_3ELNS0_20block_scan_algorithmE0ELj4294967295EEENS1_25partition_config_selectorILNS1_17partition_subalgoE4EjNS0_10empty_typeEbEEZZNS1_14partition_implILS8_4ELb0ES6_15HIP_vector_typeIjLj2EENS0_17counting_iteratorIjlEEPS9_SG_NS0_5tupleIJPjSI_NS0_16reverse_iteratorISI_EEEEENSH_IJSG_SG_SG_EEES9_SI_JZNS1_25segmented_radix_sort_implINS0_14default_configELb0EPKsPsPKlPlN2at6native12_GLOBAL__N_18offset_tEEE10hipError_tPvRmT1_PNSt15iterator_traitsIS12_E10value_typeET2_T3_PNS13_IS18_E10value_typeET4_jRbjT5_S1E_jjP12ihipStream_tbEUljE_ZNSN_ISO_Lb0ESQ_SR_ST_SU_SY_EESZ_S10_S11_S12_S16_S17_S18_S1B_S1C_jS1D_jS1E_S1E_jjS1G_bEUljE0_EEESZ_S10_S11_S18_S1C_S1E_T6_T7_T9_mT8_S1G_bDpT10_ENKUlT_T0_E_clISt17integral_constantIbLb1EES1T_IbLb0EEEEDaS1P_S1Q_EUlS1P_E_NS1_11comp_targetILNS1_3genE0ELNS1_11target_archE4294967295ELNS1_3gpuE0ELNS1_3repE0EEENS1_30default_config_static_selectorELNS0_4arch9wavefront6targetE1EEEvS12_.kd
    .uniform_work_group_size: 1
    .uses_dynamic_stack: false
    .vgpr_count:     0
    .vgpr_spill_count: 0
    .wavefront_size: 64
  - .args:
      - .offset:         0
        .size:           176
        .value_kind:     by_value
    .group_segment_fixed_size: 0
    .kernarg_segment_align: 8
    .kernarg_segment_size: 176
    .language:       OpenCL C
    .language_version:
      - 2
      - 0
    .max_flat_workgroup_size: 256
    .name:           _ZN7rocprim17ROCPRIM_400000_NS6detail17trampoline_kernelINS0_13select_configILj256ELj13ELNS0_17block_load_methodE3ELS4_3ELS4_3ELNS0_20block_scan_algorithmE0ELj4294967295EEENS1_25partition_config_selectorILNS1_17partition_subalgoE4EjNS0_10empty_typeEbEEZZNS1_14partition_implILS8_4ELb0ES6_15HIP_vector_typeIjLj2EENS0_17counting_iteratorIjlEEPS9_SG_NS0_5tupleIJPjSI_NS0_16reverse_iteratorISI_EEEEENSH_IJSG_SG_SG_EEES9_SI_JZNS1_25segmented_radix_sort_implINS0_14default_configELb0EPKsPsPKlPlN2at6native12_GLOBAL__N_18offset_tEEE10hipError_tPvRmT1_PNSt15iterator_traitsIS12_E10value_typeET2_T3_PNS13_IS18_E10value_typeET4_jRbjT5_S1E_jjP12ihipStream_tbEUljE_ZNSN_ISO_Lb0ESQ_SR_ST_SU_SY_EESZ_S10_S11_S12_S16_S17_S18_S1B_S1C_jS1D_jS1E_S1E_jjS1G_bEUljE0_EEESZ_S10_S11_S18_S1C_S1E_T6_T7_T9_mT8_S1G_bDpT10_ENKUlT_T0_E_clISt17integral_constantIbLb1EES1T_IbLb0EEEEDaS1P_S1Q_EUlS1P_E_NS1_11comp_targetILNS1_3genE5ELNS1_11target_archE942ELNS1_3gpuE9ELNS1_3repE0EEENS1_30default_config_static_selectorELNS0_4arch9wavefront6targetE1EEEvS12_
    .private_segment_fixed_size: 0
    .sgpr_count:     4
    .sgpr_spill_count: 0
    .symbol:         _ZN7rocprim17ROCPRIM_400000_NS6detail17trampoline_kernelINS0_13select_configILj256ELj13ELNS0_17block_load_methodE3ELS4_3ELS4_3ELNS0_20block_scan_algorithmE0ELj4294967295EEENS1_25partition_config_selectorILNS1_17partition_subalgoE4EjNS0_10empty_typeEbEEZZNS1_14partition_implILS8_4ELb0ES6_15HIP_vector_typeIjLj2EENS0_17counting_iteratorIjlEEPS9_SG_NS0_5tupleIJPjSI_NS0_16reverse_iteratorISI_EEEEENSH_IJSG_SG_SG_EEES9_SI_JZNS1_25segmented_radix_sort_implINS0_14default_configELb0EPKsPsPKlPlN2at6native12_GLOBAL__N_18offset_tEEE10hipError_tPvRmT1_PNSt15iterator_traitsIS12_E10value_typeET2_T3_PNS13_IS18_E10value_typeET4_jRbjT5_S1E_jjP12ihipStream_tbEUljE_ZNSN_ISO_Lb0ESQ_SR_ST_SU_SY_EESZ_S10_S11_S12_S16_S17_S18_S1B_S1C_jS1D_jS1E_S1E_jjS1G_bEUljE0_EEESZ_S10_S11_S18_S1C_S1E_T6_T7_T9_mT8_S1G_bDpT10_ENKUlT_T0_E_clISt17integral_constantIbLb1EES1T_IbLb0EEEEDaS1P_S1Q_EUlS1P_E_NS1_11comp_targetILNS1_3genE5ELNS1_11target_archE942ELNS1_3gpuE9ELNS1_3repE0EEENS1_30default_config_static_selectorELNS0_4arch9wavefront6targetE1EEEvS12_.kd
    .uniform_work_group_size: 1
    .uses_dynamic_stack: false
    .vgpr_count:     0
    .vgpr_spill_count: 0
    .wavefront_size: 64
  - .args:
      - .offset:         0
        .size:           176
        .value_kind:     by_value
    .group_segment_fixed_size: 0
    .kernarg_segment_align: 8
    .kernarg_segment_size: 176
    .language:       OpenCL C
    .language_version:
      - 2
      - 0
    .max_flat_workgroup_size: 256
    .name:           _ZN7rocprim17ROCPRIM_400000_NS6detail17trampoline_kernelINS0_13select_configILj256ELj13ELNS0_17block_load_methodE3ELS4_3ELS4_3ELNS0_20block_scan_algorithmE0ELj4294967295EEENS1_25partition_config_selectorILNS1_17partition_subalgoE4EjNS0_10empty_typeEbEEZZNS1_14partition_implILS8_4ELb0ES6_15HIP_vector_typeIjLj2EENS0_17counting_iteratorIjlEEPS9_SG_NS0_5tupleIJPjSI_NS0_16reverse_iteratorISI_EEEEENSH_IJSG_SG_SG_EEES9_SI_JZNS1_25segmented_radix_sort_implINS0_14default_configELb0EPKsPsPKlPlN2at6native12_GLOBAL__N_18offset_tEEE10hipError_tPvRmT1_PNSt15iterator_traitsIS12_E10value_typeET2_T3_PNS13_IS18_E10value_typeET4_jRbjT5_S1E_jjP12ihipStream_tbEUljE_ZNSN_ISO_Lb0ESQ_SR_ST_SU_SY_EESZ_S10_S11_S12_S16_S17_S18_S1B_S1C_jS1D_jS1E_S1E_jjS1G_bEUljE0_EEESZ_S10_S11_S18_S1C_S1E_T6_T7_T9_mT8_S1G_bDpT10_ENKUlT_T0_E_clISt17integral_constantIbLb1EES1T_IbLb0EEEEDaS1P_S1Q_EUlS1P_E_NS1_11comp_targetILNS1_3genE4ELNS1_11target_archE910ELNS1_3gpuE8ELNS1_3repE0EEENS1_30default_config_static_selectorELNS0_4arch9wavefront6targetE1EEEvS12_
    .private_segment_fixed_size: 0
    .sgpr_count:     4
    .sgpr_spill_count: 0
    .symbol:         _ZN7rocprim17ROCPRIM_400000_NS6detail17trampoline_kernelINS0_13select_configILj256ELj13ELNS0_17block_load_methodE3ELS4_3ELS4_3ELNS0_20block_scan_algorithmE0ELj4294967295EEENS1_25partition_config_selectorILNS1_17partition_subalgoE4EjNS0_10empty_typeEbEEZZNS1_14partition_implILS8_4ELb0ES6_15HIP_vector_typeIjLj2EENS0_17counting_iteratorIjlEEPS9_SG_NS0_5tupleIJPjSI_NS0_16reverse_iteratorISI_EEEEENSH_IJSG_SG_SG_EEES9_SI_JZNS1_25segmented_radix_sort_implINS0_14default_configELb0EPKsPsPKlPlN2at6native12_GLOBAL__N_18offset_tEEE10hipError_tPvRmT1_PNSt15iterator_traitsIS12_E10value_typeET2_T3_PNS13_IS18_E10value_typeET4_jRbjT5_S1E_jjP12ihipStream_tbEUljE_ZNSN_ISO_Lb0ESQ_SR_ST_SU_SY_EESZ_S10_S11_S12_S16_S17_S18_S1B_S1C_jS1D_jS1E_S1E_jjS1G_bEUljE0_EEESZ_S10_S11_S18_S1C_S1E_T6_T7_T9_mT8_S1G_bDpT10_ENKUlT_T0_E_clISt17integral_constantIbLb1EES1T_IbLb0EEEEDaS1P_S1Q_EUlS1P_E_NS1_11comp_targetILNS1_3genE4ELNS1_11target_archE910ELNS1_3gpuE8ELNS1_3repE0EEENS1_30default_config_static_selectorELNS0_4arch9wavefront6targetE1EEEvS12_.kd
    .uniform_work_group_size: 1
    .uses_dynamic_stack: false
    .vgpr_count:     0
    .vgpr_spill_count: 0
    .wavefront_size: 64
  - .args:
      - .offset:         0
        .size:           176
        .value_kind:     by_value
    .group_segment_fixed_size: 0
    .kernarg_segment_align: 8
    .kernarg_segment_size: 176
    .language:       OpenCL C
    .language_version:
      - 2
      - 0
    .max_flat_workgroup_size: 256
    .name:           _ZN7rocprim17ROCPRIM_400000_NS6detail17trampoline_kernelINS0_13select_configILj256ELj13ELNS0_17block_load_methodE3ELS4_3ELS4_3ELNS0_20block_scan_algorithmE0ELj4294967295EEENS1_25partition_config_selectorILNS1_17partition_subalgoE4EjNS0_10empty_typeEbEEZZNS1_14partition_implILS8_4ELb0ES6_15HIP_vector_typeIjLj2EENS0_17counting_iteratorIjlEEPS9_SG_NS0_5tupleIJPjSI_NS0_16reverse_iteratorISI_EEEEENSH_IJSG_SG_SG_EEES9_SI_JZNS1_25segmented_radix_sort_implINS0_14default_configELb0EPKsPsPKlPlN2at6native12_GLOBAL__N_18offset_tEEE10hipError_tPvRmT1_PNSt15iterator_traitsIS12_E10value_typeET2_T3_PNS13_IS18_E10value_typeET4_jRbjT5_S1E_jjP12ihipStream_tbEUljE_ZNSN_ISO_Lb0ESQ_SR_ST_SU_SY_EESZ_S10_S11_S12_S16_S17_S18_S1B_S1C_jS1D_jS1E_S1E_jjS1G_bEUljE0_EEESZ_S10_S11_S18_S1C_S1E_T6_T7_T9_mT8_S1G_bDpT10_ENKUlT_T0_E_clISt17integral_constantIbLb1EES1T_IbLb0EEEEDaS1P_S1Q_EUlS1P_E_NS1_11comp_targetILNS1_3genE3ELNS1_11target_archE908ELNS1_3gpuE7ELNS1_3repE0EEENS1_30default_config_static_selectorELNS0_4arch9wavefront6targetE1EEEvS12_
    .private_segment_fixed_size: 0
    .sgpr_count:     4
    .sgpr_spill_count: 0
    .symbol:         _ZN7rocprim17ROCPRIM_400000_NS6detail17trampoline_kernelINS0_13select_configILj256ELj13ELNS0_17block_load_methodE3ELS4_3ELS4_3ELNS0_20block_scan_algorithmE0ELj4294967295EEENS1_25partition_config_selectorILNS1_17partition_subalgoE4EjNS0_10empty_typeEbEEZZNS1_14partition_implILS8_4ELb0ES6_15HIP_vector_typeIjLj2EENS0_17counting_iteratorIjlEEPS9_SG_NS0_5tupleIJPjSI_NS0_16reverse_iteratorISI_EEEEENSH_IJSG_SG_SG_EEES9_SI_JZNS1_25segmented_radix_sort_implINS0_14default_configELb0EPKsPsPKlPlN2at6native12_GLOBAL__N_18offset_tEEE10hipError_tPvRmT1_PNSt15iterator_traitsIS12_E10value_typeET2_T3_PNS13_IS18_E10value_typeET4_jRbjT5_S1E_jjP12ihipStream_tbEUljE_ZNSN_ISO_Lb0ESQ_SR_ST_SU_SY_EESZ_S10_S11_S12_S16_S17_S18_S1B_S1C_jS1D_jS1E_S1E_jjS1G_bEUljE0_EEESZ_S10_S11_S18_S1C_S1E_T6_T7_T9_mT8_S1G_bDpT10_ENKUlT_T0_E_clISt17integral_constantIbLb1EES1T_IbLb0EEEEDaS1P_S1Q_EUlS1P_E_NS1_11comp_targetILNS1_3genE3ELNS1_11target_archE908ELNS1_3gpuE7ELNS1_3repE0EEENS1_30default_config_static_selectorELNS0_4arch9wavefront6targetE1EEEvS12_.kd
    .uniform_work_group_size: 1
    .uses_dynamic_stack: false
    .vgpr_count:     0
    .vgpr_spill_count: 0
    .wavefront_size: 64
  - .args:
      - .offset:         0
        .size:           176
        .value_kind:     by_value
    .group_segment_fixed_size: 0
    .kernarg_segment_align: 8
    .kernarg_segment_size: 176
    .language:       OpenCL C
    .language_version:
      - 2
      - 0
    .max_flat_workgroup_size: 256
    .name:           _ZN7rocprim17ROCPRIM_400000_NS6detail17trampoline_kernelINS0_13select_configILj256ELj13ELNS0_17block_load_methodE3ELS4_3ELS4_3ELNS0_20block_scan_algorithmE0ELj4294967295EEENS1_25partition_config_selectorILNS1_17partition_subalgoE4EjNS0_10empty_typeEbEEZZNS1_14partition_implILS8_4ELb0ES6_15HIP_vector_typeIjLj2EENS0_17counting_iteratorIjlEEPS9_SG_NS0_5tupleIJPjSI_NS0_16reverse_iteratorISI_EEEEENSH_IJSG_SG_SG_EEES9_SI_JZNS1_25segmented_radix_sort_implINS0_14default_configELb0EPKsPsPKlPlN2at6native12_GLOBAL__N_18offset_tEEE10hipError_tPvRmT1_PNSt15iterator_traitsIS12_E10value_typeET2_T3_PNS13_IS18_E10value_typeET4_jRbjT5_S1E_jjP12ihipStream_tbEUljE_ZNSN_ISO_Lb0ESQ_SR_ST_SU_SY_EESZ_S10_S11_S12_S16_S17_S18_S1B_S1C_jS1D_jS1E_S1E_jjS1G_bEUljE0_EEESZ_S10_S11_S18_S1C_S1E_T6_T7_T9_mT8_S1G_bDpT10_ENKUlT_T0_E_clISt17integral_constantIbLb1EES1T_IbLb0EEEEDaS1P_S1Q_EUlS1P_E_NS1_11comp_targetILNS1_3genE2ELNS1_11target_archE906ELNS1_3gpuE6ELNS1_3repE0EEENS1_30default_config_static_selectorELNS0_4arch9wavefront6targetE1EEEvS12_
    .private_segment_fixed_size: 0
    .sgpr_count:     4
    .sgpr_spill_count: 0
    .symbol:         _ZN7rocprim17ROCPRIM_400000_NS6detail17trampoline_kernelINS0_13select_configILj256ELj13ELNS0_17block_load_methodE3ELS4_3ELS4_3ELNS0_20block_scan_algorithmE0ELj4294967295EEENS1_25partition_config_selectorILNS1_17partition_subalgoE4EjNS0_10empty_typeEbEEZZNS1_14partition_implILS8_4ELb0ES6_15HIP_vector_typeIjLj2EENS0_17counting_iteratorIjlEEPS9_SG_NS0_5tupleIJPjSI_NS0_16reverse_iteratorISI_EEEEENSH_IJSG_SG_SG_EEES9_SI_JZNS1_25segmented_radix_sort_implINS0_14default_configELb0EPKsPsPKlPlN2at6native12_GLOBAL__N_18offset_tEEE10hipError_tPvRmT1_PNSt15iterator_traitsIS12_E10value_typeET2_T3_PNS13_IS18_E10value_typeET4_jRbjT5_S1E_jjP12ihipStream_tbEUljE_ZNSN_ISO_Lb0ESQ_SR_ST_SU_SY_EESZ_S10_S11_S12_S16_S17_S18_S1B_S1C_jS1D_jS1E_S1E_jjS1G_bEUljE0_EEESZ_S10_S11_S18_S1C_S1E_T6_T7_T9_mT8_S1G_bDpT10_ENKUlT_T0_E_clISt17integral_constantIbLb1EES1T_IbLb0EEEEDaS1P_S1Q_EUlS1P_E_NS1_11comp_targetILNS1_3genE2ELNS1_11target_archE906ELNS1_3gpuE6ELNS1_3repE0EEENS1_30default_config_static_selectorELNS0_4arch9wavefront6targetE1EEEvS12_.kd
    .uniform_work_group_size: 1
    .uses_dynamic_stack: false
    .vgpr_count:     0
    .vgpr_spill_count: 0
    .wavefront_size: 64
  - .args:
      - .offset:         0
        .size:           176
        .value_kind:     by_value
    .group_segment_fixed_size: 0
    .kernarg_segment_align: 8
    .kernarg_segment_size: 176
    .language:       OpenCL C
    .language_version:
      - 2
      - 0
    .max_flat_workgroup_size: 256
    .name:           _ZN7rocprim17ROCPRIM_400000_NS6detail17trampoline_kernelINS0_13select_configILj256ELj13ELNS0_17block_load_methodE3ELS4_3ELS4_3ELNS0_20block_scan_algorithmE0ELj4294967295EEENS1_25partition_config_selectorILNS1_17partition_subalgoE4EjNS0_10empty_typeEbEEZZNS1_14partition_implILS8_4ELb0ES6_15HIP_vector_typeIjLj2EENS0_17counting_iteratorIjlEEPS9_SG_NS0_5tupleIJPjSI_NS0_16reverse_iteratorISI_EEEEENSH_IJSG_SG_SG_EEES9_SI_JZNS1_25segmented_radix_sort_implINS0_14default_configELb0EPKsPsPKlPlN2at6native12_GLOBAL__N_18offset_tEEE10hipError_tPvRmT1_PNSt15iterator_traitsIS12_E10value_typeET2_T3_PNS13_IS18_E10value_typeET4_jRbjT5_S1E_jjP12ihipStream_tbEUljE_ZNSN_ISO_Lb0ESQ_SR_ST_SU_SY_EESZ_S10_S11_S12_S16_S17_S18_S1B_S1C_jS1D_jS1E_S1E_jjS1G_bEUljE0_EEESZ_S10_S11_S18_S1C_S1E_T6_T7_T9_mT8_S1G_bDpT10_ENKUlT_T0_E_clISt17integral_constantIbLb1EES1T_IbLb0EEEEDaS1P_S1Q_EUlS1P_E_NS1_11comp_targetILNS1_3genE10ELNS1_11target_archE1200ELNS1_3gpuE4ELNS1_3repE0EEENS1_30default_config_static_selectorELNS0_4arch9wavefront6targetE1EEEvS12_
    .private_segment_fixed_size: 0
    .sgpr_count:     4
    .sgpr_spill_count: 0
    .symbol:         _ZN7rocprim17ROCPRIM_400000_NS6detail17trampoline_kernelINS0_13select_configILj256ELj13ELNS0_17block_load_methodE3ELS4_3ELS4_3ELNS0_20block_scan_algorithmE0ELj4294967295EEENS1_25partition_config_selectorILNS1_17partition_subalgoE4EjNS0_10empty_typeEbEEZZNS1_14partition_implILS8_4ELb0ES6_15HIP_vector_typeIjLj2EENS0_17counting_iteratorIjlEEPS9_SG_NS0_5tupleIJPjSI_NS0_16reverse_iteratorISI_EEEEENSH_IJSG_SG_SG_EEES9_SI_JZNS1_25segmented_radix_sort_implINS0_14default_configELb0EPKsPsPKlPlN2at6native12_GLOBAL__N_18offset_tEEE10hipError_tPvRmT1_PNSt15iterator_traitsIS12_E10value_typeET2_T3_PNS13_IS18_E10value_typeET4_jRbjT5_S1E_jjP12ihipStream_tbEUljE_ZNSN_ISO_Lb0ESQ_SR_ST_SU_SY_EESZ_S10_S11_S12_S16_S17_S18_S1B_S1C_jS1D_jS1E_S1E_jjS1G_bEUljE0_EEESZ_S10_S11_S18_S1C_S1E_T6_T7_T9_mT8_S1G_bDpT10_ENKUlT_T0_E_clISt17integral_constantIbLb1EES1T_IbLb0EEEEDaS1P_S1Q_EUlS1P_E_NS1_11comp_targetILNS1_3genE10ELNS1_11target_archE1200ELNS1_3gpuE4ELNS1_3repE0EEENS1_30default_config_static_selectorELNS0_4arch9wavefront6targetE1EEEvS12_.kd
    .uniform_work_group_size: 1
    .uses_dynamic_stack: false
    .vgpr_count:     0
    .vgpr_spill_count: 0
    .wavefront_size: 64
  - .args:
      - .offset:         0
        .size:           176
        .value_kind:     by_value
    .group_segment_fixed_size: 0
    .kernarg_segment_align: 8
    .kernarg_segment_size: 176
    .language:       OpenCL C
    .language_version:
      - 2
      - 0
    .max_flat_workgroup_size: 256
    .name:           _ZN7rocprim17ROCPRIM_400000_NS6detail17trampoline_kernelINS0_13select_configILj256ELj13ELNS0_17block_load_methodE3ELS4_3ELS4_3ELNS0_20block_scan_algorithmE0ELj4294967295EEENS1_25partition_config_selectorILNS1_17partition_subalgoE4EjNS0_10empty_typeEbEEZZNS1_14partition_implILS8_4ELb0ES6_15HIP_vector_typeIjLj2EENS0_17counting_iteratorIjlEEPS9_SG_NS0_5tupleIJPjSI_NS0_16reverse_iteratorISI_EEEEENSH_IJSG_SG_SG_EEES9_SI_JZNS1_25segmented_radix_sort_implINS0_14default_configELb0EPKsPsPKlPlN2at6native12_GLOBAL__N_18offset_tEEE10hipError_tPvRmT1_PNSt15iterator_traitsIS12_E10value_typeET2_T3_PNS13_IS18_E10value_typeET4_jRbjT5_S1E_jjP12ihipStream_tbEUljE_ZNSN_ISO_Lb0ESQ_SR_ST_SU_SY_EESZ_S10_S11_S12_S16_S17_S18_S1B_S1C_jS1D_jS1E_S1E_jjS1G_bEUljE0_EEESZ_S10_S11_S18_S1C_S1E_T6_T7_T9_mT8_S1G_bDpT10_ENKUlT_T0_E_clISt17integral_constantIbLb1EES1T_IbLb0EEEEDaS1P_S1Q_EUlS1P_E_NS1_11comp_targetILNS1_3genE9ELNS1_11target_archE1100ELNS1_3gpuE3ELNS1_3repE0EEENS1_30default_config_static_selectorELNS0_4arch9wavefront6targetE1EEEvS12_
    .private_segment_fixed_size: 0
    .sgpr_count:     4
    .sgpr_spill_count: 0
    .symbol:         _ZN7rocprim17ROCPRIM_400000_NS6detail17trampoline_kernelINS0_13select_configILj256ELj13ELNS0_17block_load_methodE3ELS4_3ELS4_3ELNS0_20block_scan_algorithmE0ELj4294967295EEENS1_25partition_config_selectorILNS1_17partition_subalgoE4EjNS0_10empty_typeEbEEZZNS1_14partition_implILS8_4ELb0ES6_15HIP_vector_typeIjLj2EENS0_17counting_iteratorIjlEEPS9_SG_NS0_5tupleIJPjSI_NS0_16reverse_iteratorISI_EEEEENSH_IJSG_SG_SG_EEES9_SI_JZNS1_25segmented_radix_sort_implINS0_14default_configELb0EPKsPsPKlPlN2at6native12_GLOBAL__N_18offset_tEEE10hipError_tPvRmT1_PNSt15iterator_traitsIS12_E10value_typeET2_T3_PNS13_IS18_E10value_typeET4_jRbjT5_S1E_jjP12ihipStream_tbEUljE_ZNSN_ISO_Lb0ESQ_SR_ST_SU_SY_EESZ_S10_S11_S12_S16_S17_S18_S1B_S1C_jS1D_jS1E_S1E_jjS1G_bEUljE0_EEESZ_S10_S11_S18_S1C_S1E_T6_T7_T9_mT8_S1G_bDpT10_ENKUlT_T0_E_clISt17integral_constantIbLb1EES1T_IbLb0EEEEDaS1P_S1Q_EUlS1P_E_NS1_11comp_targetILNS1_3genE9ELNS1_11target_archE1100ELNS1_3gpuE3ELNS1_3repE0EEENS1_30default_config_static_selectorELNS0_4arch9wavefront6targetE1EEEvS12_.kd
    .uniform_work_group_size: 1
    .uses_dynamic_stack: false
    .vgpr_count:     0
    .vgpr_spill_count: 0
    .wavefront_size: 64
  - .args:
      - .offset:         0
        .size:           176
        .value_kind:     by_value
    .group_segment_fixed_size: 0
    .kernarg_segment_align: 8
    .kernarg_segment_size: 176
    .language:       OpenCL C
    .language_version:
      - 2
      - 0
    .max_flat_workgroup_size: 256
    .name:           _ZN7rocprim17ROCPRIM_400000_NS6detail17trampoline_kernelINS0_13select_configILj256ELj13ELNS0_17block_load_methodE3ELS4_3ELS4_3ELNS0_20block_scan_algorithmE0ELj4294967295EEENS1_25partition_config_selectorILNS1_17partition_subalgoE4EjNS0_10empty_typeEbEEZZNS1_14partition_implILS8_4ELb0ES6_15HIP_vector_typeIjLj2EENS0_17counting_iteratorIjlEEPS9_SG_NS0_5tupleIJPjSI_NS0_16reverse_iteratorISI_EEEEENSH_IJSG_SG_SG_EEES9_SI_JZNS1_25segmented_radix_sort_implINS0_14default_configELb0EPKsPsPKlPlN2at6native12_GLOBAL__N_18offset_tEEE10hipError_tPvRmT1_PNSt15iterator_traitsIS12_E10value_typeET2_T3_PNS13_IS18_E10value_typeET4_jRbjT5_S1E_jjP12ihipStream_tbEUljE_ZNSN_ISO_Lb0ESQ_SR_ST_SU_SY_EESZ_S10_S11_S12_S16_S17_S18_S1B_S1C_jS1D_jS1E_S1E_jjS1G_bEUljE0_EEESZ_S10_S11_S18_S1C_S1E_T6_T7_T9_mT8_S1G_bDpT10_ENKUlT_T0_E_clISt17integral_constantIbLb1EES1T_IbLb0EEEEDaS1P_S1Q_EUlS1P_E_NS1_11comp_targetILNS1_3genE8ELNS1_11target_archE1030ELNS1_3gpuE2ELNS1_3repE0EEENS1_30default_config_static_selectorELNS0_4arch9wavefront6targetE1EEEvS12_
    .private_segment_fixed_size: 0
    .sgpr_count:     4
    .sgpr_spill_count: 0
    .symbol:         _ZN7rocprim17ROCPRIM_400000_NS6detail17trampoline_kernelINS0_13select_configILj256ELj13ELNS0_17block_load_methodE3ELS4_3ELS4_3ELNS0_20block_scan_algorithmE0ELj4294967295EEENS1_25partition_config_selectorILNS1_17partition_subalgoE4EjNS0_10empty_typeEbEEZZNS1_14partition_implILS8_4ELb0ES6_15HIP_vector_typeIjLj2EENS0_17counting_iteratorIjlEEPS9_SG_NS0_5tupleIJPjSI_NS0_16reverse_iteratorISI_EEEEENSH_IJSG_SG_SG_EEES9_SI_JZNS1_25segmented_radix_sort_implINS0_14default_configELb0EPKsPsPKlPlN2at6native12_GLOBAL__N_18offset_tEEE10hipError_tPvRmT1_PNSt15iterator_traitsIS12_E10value_typeET2_T3_PNS13_IS18_E10value_typeET4_jRbjT5_S1E_jjP12ihipStream_tbEUljE_ZNSN_ISO_Lb0ESQ_SR_ST_SU_SY_EESZ_S10_S11_S12_S16_S17_S18_S1B_S1C_jS1D_jS1E_S1E_jjS1G_bEUljE0_EEESZ_S10_S11_S18_S1C_S1E_T6_T7_T9_mT8_S1G_bDpT10_ENKUlT_T0_E_clISt17integral_constantIbLb1EES1T_IbLb0EEEEDaS1P_S1Q_EUlS1P_E_NS1_11comp_targetILNS1_3genE8ELNS1_11target_archE1030ELNS1_3gpuE2ELNS1_3repE0EEENS1_30default_config_static_selectorELNS0_4arch9wavefront6targetE1EEEvS12_.kd
    .uniform_work_group_size: 1
    .uses_dynamic_stack: false
    .vgpr_count:     0
    .vgpr_spill_count: 0
    .wavefront_size: 64
  - .args:
      - .offset:         0
        .size:           184
        .value_kind:     by_value
    .group_segment_fixed_size: 0
    .kernarg_segment_align: 8
    .kernarg_segment_size: 184
    .language:       OpenCL C
    .language_version:
      - 2
      - 0
    .max_flat_workgroup_size: 256
    .name:           _ZN7rocprim17ROCPRIM_400000_NS6detail17trampoline_kernelINS0_13select_configILj256ELj13ELNS0_17block_load_methodE3ELS4_3ELS4_3ELNS0_20block_scan_algorithmE0ELj4294967295EEENS1_25partition_config_selectorILNS1_17partition_subalgoE4EjNS0_10empty_typeEbEEZZNS1_14partition_implILS8_4ELb0ES6_15HIP_vector_typeIjLj2EENS0_17counting_iteratorIjlEEPS9_SG_NS0_5tupleIJPjSI_NS0_16reverse_iteratorISI_EEEEENSH_IJSG_SG_SG_EEES9_SI_JZNS1_25segmented_radix_sort_implINS0_14default_configELb0EPKsPsPKlPlN2at6native12_GLOBAL__N_18offset_tEEE10hipError_tPvRmT1_PNSt15iterator_traitsIS12_E10value_typeET2_T3_PNS13_IS18_E10value_typeET4_jRbjT5_S1E_jjP12ihipStream_tbEUljE_ZNSN_ISO_Lb0ESQ_SR_ST_SU_SY_EESZ_S10_S11_S12_S16_S17_S18_S1B_S1C_jS1D_jS1E_S1E_jjS1G_bEUljE0_EEESZ_S10_S11_S18_S1C_S1E_T6_T7_T9_mT8_S1G_bDpT10_ENKUlT_T0_E_clISt17integral_constantIbLb0EES1T_IbLb1EEEEDaS1P_S1Q_EUlS1P_E_NS1_11comp_targetILNS1_3genE0ELNS1_11target_archE4294967295ELNS1_3gpuE0ELNS1_3repE0EEENS1_30default_config_static_selectorELNS0_4arch9wavefront6targetE1EEEvS12_
    .private_segment_fixed_size: 0
    .sgpr_count:     4
    .sgpr_spill_count: 0
    .symbol:         _ZN7rocprim17ROCPRIM_400000_NS6detail17trampoline_kernelINS0_13select_configILj256ELj13ELNS0_17block_load_methodE3ELS4_3ELS4_3ELNS0_20block_scan_algorithmE0ELj4294967295EEENS1_25partition_config_selectorILNS1_17partition_subalgoE4EjNS0_10empty_typeEbEEZZNS1_14partition_implILS8_4ELb0ES6_15HIP_vector_typeIjLj2EENS0_17counting_iteratorIjlEEPS9_SG_NS0_5tupleIJPjSI_NS0_16reverse_iteratorISI_EEEEENSH_IJSG_SG_SG_EEES9_SI_JZNS1_25segmented_radix_sort_implINS0_14default_configELb0EPKsPsPKlPlN2at6native12_GLOBAL__N_18offset_tEEE10hipError_tPvRmT1_PNSt15iterator_traitsIS12_E10value_typeET2_T3_PNS13_IS18_E10value_typeET4_jRbjT5_S1E_jjP12ihipStream_tbEUljE_ZNSN_ISO_Lb0ESQ_SR_ST_SU_SY_EESZ_S10_S11_S12_S16_S17_S18_S1B_S1C_jS1D_jS1E_S1E_jjS1G_bEUljE0_EEESZ_S10_S11_S18_S1C_S1E_T6_T7_T9_mT8_S1G_bDpT10_ENKUlT_T0_E_clISt17integral_constantIbLb0EES1T_IbLb1EEEEDaS1P_S1Q_EUlS1P_E_NS1_11comp_targetILNS1_3genE0ELNS1_11target_archE4294967295ELNS1_3gpuE0ELNS1_3repE0EEENS1_30default_config_static_selectorELNS0_4arch9wavefront6targetE1EEEvS12_.kd
    .uniform_work_group_size: 1
    .uses_dynamic_stack: false
    .vgpr_count:     0
    .vgpr_spill_count: 0
    .wavefront_size: 64
  - .args:
      - .offset:         0
        .size:           184
        .value_kind:     by_value
    .group_segment_fixed_size: 0
    .kernarg_segment_align: 8
    .kernarg_segment_size: 184
    .language:       OpenCL C
    .language_version:
      - 2
      - 0
    .max_flat_workgroup_size: 256
    .name:           _ZN7rocprim17ROCPRIM_400000_NS6detail17trampoline_kernelINS0_13select_configILj256ELj13ELNS0_17block_load_methodE3ELS4_3ELS4_3ELNS0_20block_scan_algorithmE0ELj4294967295EEENS1_25partition_config_selectorILNS1_17partition_subalgoE4EjNS0_10empty_typeEbEEZZNS1_14partition_implILS8_4ELb0ES6_15HIP_vector_typeIjLj2EENS0_17counting_iteratorIjlEEPS9_SG_NS0_5tupleIJPjSI_NS0_16reverse_iteratorISI_EEEEENSH_IJSG_SG_SG_EEES9_SI_JZNS1_25segmented_radix_sort_implINS0_14default_configELb0EPKsPsPKlPlN2at6native12_GLOBAL__N_18offset_tEEE10hipError_tPvRmT1_PNSt15iterator_traitsIS12_E10value_typeET2_T3_PNS13_IS18_E10value_typeET4_jRbjT5_S1E_jjP12ihipStream_tbEUljE_ZNSN_ISO_Lb0ESQ_SR_ST_SU_SY_EESZ_S10_S11_S12_S16_S17_S18_S1B_S1C_jS1D_jS1E_S1E_jjS1G_bEUljE0_EEESZ_S10_S11_S18_S1C_S1E_T6_T7_T9_mT8_S1G_bDpT10_ENKUlT_T0_E_clISt17integral_constantIbLb0EES1T_IbLb1EEEEDaS1P_S1Q_EUlS1P_E_NS1_11comp_targetILNS1_3genE5ELNS1_11target_archE942ELNS1_3gpuE9ELNS1_3repE0EEENS1_30default_config_static_selectorELNS0_4arch9wavefront6targetE1EEEvS12_
    .private_segment_fixed_size: 0
    .sgpr_count:     4
    .sgpr_spill_count: 0
    .symbol:         _ZN7rocprim17ROCPRIM_400000_NS6detail17trampoline_kernelINS0_13select_configILj256ELj13ELNS0_17block_load_methodE3ELS4_3ELS4_3ELNS0_20block_scan_algorithmE0ELj4294967295EEENS1_25partition_config_selectorILNS1_17partition_subalgoE4EjNS0_10empty_typeEbEEZZNS1_14partition_implILS8_4ELb0ES6_15HIP_vector_typeIjLj2EENS0_17counting_iteratorIjlEEPS9_SG_NS0_5tupleIJPjSI_NS0_16reverse_iteratorISI_EEEEENSH_IJSG_SG_SG_EEES9_SI_JZNS1_25segmented_radix_sort_implINS0_14default_configELb0EPKsPsPKlPlN2at6native12_GLOBAL__N_18offset_tEEE10hipError_tPvRmT1_PNSt15iterator_traitsIS12_E10value_typeET2_T3_PNS13_IS18_E10value_typeET4_jRbjT5_S1E_jjP12ihipStream_tbEUljE_ZNSN_ISO_Lb0ESQ_SR_ST_SU_SY_EESZ_S10_S11_S12_S16_S17_S18_S1B_S1C_jS1D_jS1E_S1E_jjS1G_bEUljE0_EEESZ_S10_S11_S18_S1C_S1E_T6_T7_T9_mT8_S1G_bDpT10_ENKUlT_T0_E_clISt17integral_constantIbLb0EES1T_IbLb1EEEEDaS1P_S1Q_EUlS1P_E_NS1_11comp_targetILNS1_3genE5ELNS1_11target_archE942ELNS1_3gpuE9ELNS1_3repE0EEENS1_30default_config_static_selectorELNS0_4arch9wavefront6targetE1EEEvS12_.kd
    .uniform_work_group_size: 1
    .uses_dynamic_stack: false
    .vgpr_count:     0
    .vgpr_spill_count: 0
    .wavefront_size: 64
  - .args:
      - .offset:         0
        .size:           184
        .value_kind:     by_value
    .group_segment_fixed_size: 0
    .kernarg_segment_align: 8
    .kernarg_segment_size: 184
    .language:       OpenCL C
    .language_version:
      - 2
      - 0
    .max_flat_workgroup_size: 256
    .name:           _ZN7rocprim17ROCPRIM_400000_NS6detail17trampoline_kernelINS0_13select_configILj256ELj13ELNS0_17block_load_methodE3ELS4_3ELS4_3ELNS0_20block_scan_algorithmE0ELj4294967295EEENS1_25partition_config_selectorILNS1_17partition_subalgoE4EjNS0_10empty_typeEbEEZZNS1_14partition_implILS8_4ELb0ES6_15HIP_vector_typeIjLj2EENS0_17counting_iteratorIjlEEPS9_SG_NS0_5tupleIJPjSI_NS0_16reverse_iteratorISI_EEEEENSH_IJSG_SG_SG_EEES9_SI_JZNS1_25segmented_radix_sort_implINS0_14default_configELb0EPKsPsPKlPlN2at6native12_GLOBAL__N_18offset_tEEE10hipError_tPvRmT1_PNSt15iterator_traitsIS12_E10value_typeET2_T3_PNS13_IS18_E10value_typeET4_jRbjT5_S1E_jjP12ihipStream_tbEUljE_ZNSN_ISO_Lb0ESQ_SR_ST_SU_SY_EESZ_S10_S11_S12_S16_S17_S18_S1B_S1C_jS1D_jS1E_S1E_jjS1G_bEUljE0_EEESZ_S10_S11_S18_S1C_S1E_T6_T7_T9_mT8_S1G_bDpT10_ENKUlT_T0_E_clISt17integral_constantIbLb0EES1T_IbLb1EEEEDaS1P_S1Q_EUlS1P_E_NS1_11comp_targetILNS1_3genE4ELNS1_11target_archE910ELNS1_3gpuE8ELNS1_3repE0EEENS1_30default_config_static_selectorELNS0_4arch9wavefront6targetE1EEEvS12_
    .private_segment_fixed_size: 0
    .sgpr_count:     4
    .sgpr_spill_count: 0
    .symbol:         _ZN7rocprim17ROCPRIM_400000_NS6detail17trampoline_kernelINS0_13select_configILj256ELj13ELNS0_17block_load_methodE3ELS4_3ELS4_3ELNS0_20block_scan_algorithmE0ELj4294967295EEENS1_25partition_config_selectorILNS1_17partition_subalgoE4EjNS0_10empty_typeEbEEZZNS1_14partition_implILS8_4ELb0ES6_15HIP_vector_typeIjLj2EENS0_17counting_iteratorIjlEEPS9_SG_NS0_5tupleIJPjSI_NS0_16reverse_iteratorISI_EEEEENSH_IJSG_SG_SG_EEES9_SI_JZNS1_25segmented_radix_sort_implINS0_14default_configELb0EPKsPsPKlPlN2at6native12_GLOBAL__N_18offset_tEEE10hipError_tPvRmT1_PNSt15iterator_traitsIS12_E10value_typeET2_T3_PNS13_IS18_E10value_typeET4_jRbjT5_S1E_jjP12ihipStream_tbEUljE_ZNSN_ISO_Lb0ESQ_SR_ST_SU_SY_EESZ_S10_S11_S12_S16_S17_S18_S1B_S1C_jS1D_jS1E_S1E_jjS1G_bEUljE0_EEESZ_S10_S11_S18_S1C_S1E_T6_T7_T9_mT8_S1G_bDpT10_ENKUlT_T0_E_clISt17integral_constantIbLb0EES1T_IbLb1EEEEDaS1P_S1Q_EUlS1P_E_NS1_11comp_targetILNS1_3genE4ELNS1_11target_archE910ELNS1_3gpuE8ELNS1_3repE0EEENS1_30default_config_static_selectorELNS0_4arch9wavefront6targetE1EEEvS12_.kd
    .uniform_work_group_size: 1
    .uses_dynamic_stack: false
    .vgpr_count:     0
    .vgpr_spill_count: 0
    .wavefront_size: 64
  - .args:
      - .offset:         0
        .size:           184
        .value_kind:     by_value
    .group_segment_fixed_size: 0
    .kernarg_segment_align: 8
    .kernarg_segment_size: 184
    .language:       OpenCL C
    .language_version:
      - 2
      - 0
    .max_flat_workgroup_size: 256
    .name:           _ZN7rocprim17ROCPRIM_400000_NS6detail17trampoline_kernelINS0_13select_configILj256ELj13ELNS0_17block_load_methodE3ELS4_3ELS4_3ELNS0_20block_scan_algorithmE0ELj4294967295EEENS1_25partition_config_selectorILNS1_17partition_subalgoE4EjNS0_10empty_typeEbEEZZNS1_14partition_implILS8_4ELb0ES6_15HIP_vector_typeIjLj2EENS0_17counting_iteratorIjlEEPS9_SG_NS0_5tupleIJPjSI_NS0_16reverse_iteratorISI_EEEEENSH_IJSG_SG_SG_EEES9_SI_JZNS1_25segmented_radix_sort_implINS0_14default_configELb0EPKsPsPKlPlN2at6native12_GLOBAL__N_18offset_tEEE10hipError_tPvRmT1_PNSt15iterator_traitsIS12_E10value_typeET2_T3_PNS13_IS18_E10value_typeET4_jRbjT5_S1E_jjP12ihipStream_tbEUljE_ZNSN_ISO_Lb0ESQ_SR_ST_SU_SY_EESZ_S10_S11_S12_S16_S17_S18_S1B_S1C_jS1D_jS1E_S1E_jjS1G_bEUljE0_EEESZ_S10_S11_S18_S1C_S1E_T6_T7_T9_mT8_S1G_bDpT10_ENKUlT_T0_E_clISt17integral_constantIbLb0EES1T_IbLb1EEEEDaS1P_S1Q_EUlS1P_E_NS1_11comp_targetILNS1_3genE3ELNS1_11target_archE908ELNS1_3gpuE7ELNS1_3repE0EEENS1_30default_config_static_selectorELNS0_4arch9wavefront6targetE1EEEvS12_
    .private_segment_fixed_size: 0
    .sgpr_count:     4
    .sgpr_spill_count: 0
    .symbol:         _ZN7rocprim17ROCPRIM_400000_NS6detail17trampoline_kernelINS0_13select_configILj256ELj13ELNS0_17block_load_methodE3ELS4_3ELS4_3ELNS0_20block_scan_algorithmE0ELj4294967295EEENS1_25partition_config_selectorILNS1_17partition_subalgoE4EjNS0_10empty_typeEbEEZZNS1_14partition_implILS8_4ELb0ES6_15HIP_vector_typeIjLj2EENS0_17counting_iteratorIjlEEPS9_SG_NS0_5tupleIJPjSI_NS0_16reverse_iteratorISI_EEEEENSH_IJSG_SG_SG_EEES9_SI_JZNS1_25segmented_radix_sort_implINS0_14default_configELb0EPKsPsPKlPlN2at6native12_GLOBAL__N_18offset_tEEE10hipError_tPvRmT1_PNSt15iterator_traitsIS12_E10value_typeET2_T3_PNS13_IS18_E10value_typeET4_jRbjT5_S1E_jjP12ihipStream_tbEUljE_ZNSN_ISO_Lb0ESQ_SR_ST_SU_SY_EESZ_S10_S11_S12_S16_S17_S18_S1B_S1C_jS1D_jS1E_S1E_jjS1G_bEUljE0_EEESZ_S10_S11_S18_S1C_S1E_T6_T7_T9_mT8_S1G_bDpT10_ENKUlT_T0_E_clISt17integral_constantIbLb0EES1T_IbLb1EEEEDaS1P_S1Q_EUlS1P_E_NS1_11comp_targetILNS1_3genE3ELNS1_11target_archE908ELNS1_3gpuE7ELNS1_3repE0EEENS1_30default_config_static_selectorELNS0_4arch9wavefront6targetE1EEEvS12_.kd
    .uniform_work_group_size: 1
    .uses_dynamic_stack: false
    .vgpr_count:     0
    .vgpr_spill_count: 0
    .wavefront_size: 64
  - .args:
      - .offset:         0
        .size:           184
        .value_kind:     by_value
    .group_segment_fixed_size: 13328
    .kernarg_segment_align: 8
    .kernarg_segment_size: 184
    .language:       OpenCL C
    .language_version:
      - 2
      - 0
    .max_flat_workgroup_size: 256
    .name:           _ZN7rocprim17ROCPRIM_400000_NS6detail17trampoline_kernelINS0_13select_configILj256ELj13ELNS0_17block_load_methodE3ELS4_3ELS4_3ELNS0_20block_scan_algorithmE0ELj4294967295EEENS1_25partition_config_selectorILNS1_17partition_subalgoE4EjNS0_10empty_typeEbEEZZNS1_14partition_implILS8_4ELb0ES6_15HIP_vector_typeIjLj2EENS0_17counting_iteratorIjlEEPS9_SG_NS0_5tupleIJPjSI_NS0_16reverse_iteratorISI_EEEEENSH_IJSG_SG_SG_EEES9_SI_JZNS1_25segmented_radix_sort_implINS0_14default_configELb0EPKsPsPKlPlN2at6native12_GLOBAL__N_18offset_tEEE10hipError_tPvRmT1_PNSt15iterator_traitsIS12_E10value_typeET2_T3_PNS13_IS18_E10value_typeET4_jRbjT5_S1E_jjP12ihipStream_tbEUljE_ZNSN_ISO_Lb0ESQ_SR_ST_SU_SY_EESZ_S10_S11_S12_S16_S17_S18_S1B_S1C_jS1D_jS1E_S1E_jjS1G_bEUljE0_EEESZ_S10_S11_S18_S1C_S1E_T6_T7_T9_mT8_S1G_bDpT10_ENKUlT_T0_E_clISt17integral_constantIbLb0EES1T_IbLb1EEEEDaS1P_S1Q_EUlS1P_E_NS1_11comp_targetILNS1_3genE2ELNS1_11target_archE906ELNS1_3gpuE6ELNS1_3repE0EEENS1_30default_config_static_selectorELNS0_4arch9wavefront6targetE1EEEvS12_
    .private_segment_fixed_size: 0
    .sgpr_count:     91
    .sgpr_spill_count: 0
    .symbol:         _ZN7rocprim17ROCPRIM_400000_NS6detail17trampoline_kernelINS0_13select_configILj256ELj13ELNS0_17block_load_methodE3ELS4_3ELS4_3ELNS0_20block_scan_algorithmE0ELj4294967295EEENS1_25partition_config_selectorILNS1_17partition_subalgoE4EjNS0_10empty_typeEbEEZZNS1_14partition_implILS8_4ELb0ES6_15HIP_vector_typeIjLj2EENS0_17counting_iteratorIjlEEPS9_SG_NS0_5tupleIJPjSI_NS0_16reverse_iteratorISI_EEEEENSH_IJSG_SG_SG_EEES9_SI_JZNS1_25segmented_radix_sort_implINS0_14default_configELb0EPKsPsPKlPlN2at6native12_GLOBAL__N_18offset_tEEE10hipError_tPvRmT1_PNSt15iterator_traitsIS12_E10value_typeET2_T3_PNS13_IS18_E10value_typeET4_jRbjT5_S1E_jjP12ihipStream_tbEUljE_ZNSN_ISO_Lb0ESQ_SR_ST_SU_SY_EESZ_S10_S11_S12_S16_S17_S18_S1B_S1C_jS1D_jS1E_S1E_jjS1G_bEUljE0_EEESZ_S10_S11_S18_S1C_S1E_T6_T7_T9_mT8_S1G_bDpT10_ENKUlT_T0_E_clISt17integral_constantIbLb0EES1T_IbLb1EEEEDaS1P_S1Q_EUlS1P_E_NS1_11comp_targetILNS1_3genE2ELNS1_11target_archE906ELNS1_3gpuE6ELNS1_3repE0EEENS1_30default_config_static_selectorELNS0_4arch9wavefront6targetE1EEEvS12_.kd
    .uniform_work_group_size: 1
    .uses_dynamic_stack: false
    .vgpr_count:     91
    .vgpr_spill_count: 0
    .wavefront_size: 64
  - .args:
      - .offset:         0
        .size:           184
        .value_kind:     by_value
    .group_segment_fixed_size: 0
    .kernarg_segment_align: 8
    .kernarg_segment_size: 184
    .language:       OpenCL C
    .language_version:
      - 2
      - 0
    .max_flat_workgroup_size: 256
    .name:           _ZN7rocprim17ROCPRIM_400000_NS6detail17trampoline_kernelINS0_13select_configILj256ELj13ELNS0_17block_load_methodE3ELS4_3ELS4_3ELNS0_20block_scan_algorithmE0ELj4294967295EEENS1_25partition_config_selectorILNS1_17partition_subalgoE4EjNS0_10empty_typeEbEEZZNS1_14partition_implILS8_4ELb0ES6_15HIP_vector_typeIjLj2EENS0_17counting_iteratorIjlEEPS9_SG_NS0_5tupleIJPjSI_NS0_16reverse_iteratorISI_EEEEENSH_IJSG_SG_SG_EEES9_SI_JZNS1_25segmented_radix_sort_implINS0_14default_configELb0EPKsPsPKlPlN2at6native12_GLOBAL__N_18offset_tEEE10hipError_tPvRmT1_PNSt15iterator_traitsIS12_E10value_typeET2_T3_PNS13_IS18_E10value_typeET4_jRbjT5_S1E_jjP12ihipStream_tbEUljE_ZNSN_ISO_Lb0ESQ_SR_ST_SU_SY_EESZ_S10_S11_S12_S16_S17_S18_S1B_S1C_jS1D_jS1E_S1E_jjS1G_bEUljE0_EEESZ_S10_S11_S18_S1C_S1E_T6_T7_T9_mT8_S1G_bDpT10_ENKUlT_T0_E_clISt17integral_constantIbLb0EES1T_IbLb1EEEEDaS1P_S1Q_EUlS1P_E_NS1_11comp_targetILNS1_3genE10ELNS1_11target_archE1200ELNS1_3gpuE4ELNS1_3repE0EEENS1_30default_config_static_selectorELNS0_4arch9wavefront6targetE1EEEvS12_
    .private_segment_fixed_size: 0
    .sgpr_count:     4
    .sgpr_spill_count: 0
    .symbol:         _ZN7rocprim17ROCPRIM_400000_NS6detail17trampoline_kernelINS0_13select_configILj256ELj13ELNS0_17block_load_methodE3ELS4_3ELS4_3ELNS0_20block_scan_algorithmE0ELj4294967295EEENS1_25partition_config_selectorILNS1_17partition_subalgoE4EjNS0_10empty_typeEbEEZZNS1_14partition_implILS8_4ELb0ES6_15HIP_vector_typeIjLj2EENS0_17counting_iteratorIjlEEPS9_SG_NS0_5tupleIJPjSI_NS0_16reverse_iteratorISI_EEEEENSH_IJSG_SG_SG_EEES9_SI_JZNS1_25segmented_radix_sort_implINS0_14default_configELb0EPKsPsPKlPlN2at6native12_GLOBAL__N_18offset_tEEE10hipError_tPvRmT1_PNSt15iterator_traitsIS12_E10value_typeET2_T3_PNS13_IS18_E10value_typeET4_jRbjT5_S1E_jjP12ihipStream_tbEUljE_ZNSN_ISO_Lb0ESQ_SR_ST_SU_SY_EESZ_S10_S11_S12_S16_S17_S18_S1B_S1C_jS1D_jS1E_S1E_jjS1G_bEUljE0_EEESZ_S10_S11_S18_S1C_S1E_T6_T7_T9_mT8_S1G_bDpT10_ENKUlT_T0_E_clISt17integral_constantIbLb0EES1T_IbLb1EEEEDaS1P_S1Q_EUlS1P_E_NS1_11comp_targetILNS1_3genE10ELNS1_11target_archE1200ELNS1_3gpuE4ELNS1_3repE0EEENS1_30default_config_static_selectorELNS0_4arch9wavefront6targetE1EEEvS12_.kd
    .uniform_work_group_size: 1
    .uses_dynamic_stack: false
    .vgpr_count:     0
    .vgpr_spill_count: 0
    .wavefront_size: 64
  - .args:
      - .offset:         0
        .size:           184
        .value_kind:     by_value
    .group_segment_fixed_size: 0
    .kernarg_segment_align: 8
    .kernarg_segment_size: 184
    .language:       OpenCL C
    .language_version:
      - 2
      - 0
    .max_flat_workgroup_size: 256
    .name:           _ZN7rocprim17ROCPRIM_400000_NS6detail17trampoline_kernelINS0_13select_configILj256ELj13ELNS0_17block_load_methodE3ELS4_3ELS4_3ELNS0_20block_scan_algorithmE0ELj4294967295EEENS1_25partition_config_selectorILNS1_17partition_subalgoE4EjNS0_10empty_typeEbEEZZNS1_14partition_implILS8_4ELb0ES6_15HIP_vector_typeIjLj2EENS0_17counting_iteratorIjlEEPS9_SG_NS0_5tupleIJPjSI_NS0_16reverse_iteratorISI_EEEEENSH_IJSG_SG_SG_EEES9_SI_JZNS1_25segmented_radix_sort_implINS0_14default_configELb0EPKsPsPKlPlN2at6native12_GLOBAL__N_18offset_tEEE10hipError_tPvRmT1_PNSt15iterator_traitsIS12_E10value_typeET2_T3_PNS13_IS18_E10value_typeET4_jRbjT5_S1E_jjP12ihipStream_tbEUljE_ZNSN_ISO_Lb0ESQ_SR_ST_SU_SY_EESZ_S10_S11_S12_S16_S17_S18_S1B_S1C_jS1D_jS1E_S1E_jjS1G_bEUljE0_EEESZ_S10_S11_S18_S1C_S1E_T6_T7_T9_mT8_S1G_bDpT10_ENKUlT_T0_E_clISt17integral_constantIbLb0EES1T_IbLb1EEEEDaS1P_S1Q_EUlS1P_E_NS1_11comp_targetILNS1_3genE9ELNS1_11target_archE1100ELNS1_3gpuE3ELNS1_3repE0EEENS1_30default_config_static_selectorELNS0_4arch9wavefront6targetE1EEEvS12_
    .private_segment_fixed_size: 0
    .sgpr_count:     4
    .sgpr_spill_count: 0
    .symbol:         _ZN7rocprim17ROCPRIM_400000_NS6detail17trampoline_kernelINS0_13select_configILj256ELj13ELNS0_17block_load_methodE3ELS4_3ELS4_3ELNS0_20block_scan_algorithmE0ELj4294967295EEENS1_25partition_config_selectorILNS1_17partition_subalgoE4EjNS0_10empty_typeEbEEZZNS1_14partition_implILS8_4ELb0ES6_15HIP_vector_typeIjLj2EENS0_17counting_iteratorIjlEEPS9_SG_NS0_5tupleIJPjSI_NS0_16reverse_iteratorISI_EEEEENSH_IJSG_SG_SG_EEES9_SI_JZNS1_25segmented_radix_sort_implINS0_14default_configELb0EPKsPsPKlPlN2at6native12_GLOBAL__N_18offset_tEEE10hipError_tPvRmT1_PNSt15iterator_traitsIS12_E10value_typeET2_T3_PNS13_IS18_E10value_typeET4_jRbjT5_S1E_jjP12ihipStream_tbEUljE_ZNSN_ISO_Lb0ESQ_SR_ST_SU_SY_EESZ_S10_S11_S12_S16_S17_S18_S1B_S1C_jS1D_jS1E_S1E_jjS1G_bEUljE0_EEESZ_S10_S11_S18_S1C_S1E_T6_T7_T9_mT8_S1G_bDpT10_ENKUlT_T0_E_clISt17integral_constantIbLb0EES1T_IbLb1EEEEDaS1P_S1Q_EUlS1P_E_NS1_11comp_targetILNS1_3genE9ELNS1_11target_archE1100ELNS1_3gpuE3ELNS1_3repE0EEENS1_30default_config_static_selectorELNS0_4arch9wavefront6targetE1EEEvS12_.kd
    .uniform_work_group_size: 1
    .uses_dynamic_stack: false
    .vgpr_count:     0
    .vgpr_spill_count: 0
    .wavefront_size: 64
  - .args:
      - .offset:         0
        .size:           184
        .value_kind:     by_value
    .group_segment_fixed_size: 0
    .kernarg_segment_align: 8
    .kernarg_segment_size: 184
    .language:       OpenCL C
    .language_version:
      - 2
      - 0
    .max_flat_workgroup_size: 256
    .name:           _ZN7rocprim17ROCPRIM_400000_NS6detail17trampoline_kernelINS0_13select_configILj256ELj13ELNS0_17block_load_methodE3ELS4_3ELS4_3ELNS0_20block_scan_algorithmE0ELj4294967295EEENS1_25partition_config_selectorILNS1_17partition_subalgoE4EjNS0_10empty_typeEbEEZZNS1_14partition_implILS8_4ELb0ES6_15HIP_vector_typeIjLj2EENS0_17counting_iteratorIjlEEPS9_SG_NS0_5tupleIJPjSI_NS0_16reverse_iteratorISI_EEEEENSH_IJSG_SG_SG_EEES9_SI_JZNS1_25segmented_radix_sort_implINS0_14default_configELb0EPKsPsPKlPlN2at6native12_GLOBAL__N_18offset_tEEE10hipError_tPvRmT1_PNSt15iterator_traitsIS12_E10value_typeET2_T3_PNS13_IS18_E10value_typeET4_jRbjT5_S1E_jjP12ihipStream_tbEUljE_ZNSN_ISO_Lb0ESQ_SR_ST_SU_SY_EESZ_S10_S11_S12_S16_S17_S18_S1B_S1C_jS1D_jS1E_S1E_jjS1G_bEUljE0_EEESZ_S10_S11_S18_S1C_S1E_T6_T7_T9_mT8_S1G_bDpT10_ENKUlT_T0_E_clISt17integral_constantIbLb0EES1T_IbLb1EEEEDaS1P_S1Q_EUlS1P_E_NS1_11comp_targetILNS1_3genE8ELNS1_11target_archE1030ELNS1_3gpuE2ELNS1_3repE0EEENS1_30default_config_static_selectorELNS0_4arch9wavefront6targetE1EEEvS12_
    .private_segment_fixed_size: 0
    .sgpr_count:     4
    .sgpr_spill_count: 0
    .symbol:         _ZN7rocprim17ROCPRIM_400000_NS6detail17trampoline_kernelINS0_13select_configILj256ELj13ELNS0_17block_load_methodE3ELS4_3ELS4_3ELNS0_20block_scan_algorithmE0ELj4294967295EEENS1_25partition_config_selectorILNS1_17partition_subalgoE4EjNS0_10empty_typeEbEEZZNS1_14partition_implILS8_4ELb0ES6_15HIP_vector_typeIjLj2EENS0_17counting_iteratorIjlEEPS9_SG_NS0_5tupleIJPjSI_NS0_16reverse_iteratorISI_EEEEENSH_IJSG_SG_SG_EEES9_SI_JZNS1_25segmented_radix_sort_implINS0_14default_configELb0EPKsPsPKlPlN2at6native12_GLOBAL__N_18offset_tEEE10hipError_tPvRmT1_PNSt15iterator_traitsIS12_E10value_typeET2_T3_PNS13_IS18_E10value_typeET4_jRbjT5_S1E_jjP12ihipStream_tbEUljE_ZNSN_ISO_Lb0ESQ_SR_ST_SU_SY_EESZ_S10_S11_S12_S16_S17_S18_S1B_S1C_jS1D_jS1E_S1E_jjS1G_bEUljE0_EEESZ_S10_S11_S18_S1C_S1E_T6_T7_T9_mT8_S1G_bDpT10_ENKUlT_T0_E_clISt17integral_constantIbLb0EES1T_IbLb1EEEEDaS1P_S1Q_EUlS1P_E_NS1_11comp_targetILNS1_3genE8ELNS1_11target_archE1030ELNS1_3gpuE2ELNS1_3repE0EEENS1_30default_config_static_selectorELNS0_4arch9wavefront6targetE1EEEvS12_.kd
    .uniform_work_group_size: 1
    .uses_dynamic_stack: false
    .vgpr_count:     0
    .vgpr_spill_count: 0
    .wavefront_size: 64
  - .args:
      - .offset:         0
        .size:           144
        .value_kind:     by_value
    .group_segment_fixed_size: 0
    .kernarg_segment_align: 8
    .kernarg_segment_size: 144
    .language:       OpenCL C
    .language_version:
      - 2
      - 0
    .max_flat_workgroup_size: 256
    .name:           _ZN7rocprim17ROCPRIM_400000_NS6detail17trampoline_kernelINS0_13select_configILj256ELj13ELNS0_17block_load_methodE3ELS4_3ELS4_3ELNS0_20block_scan_algorithmE0ELj4294967295EEENS1_25partition_config_selectorILNS1_17partition_subalgoE3EjNS0_10empty_typeEbEEZZNS1_14partition_implILS8_3ELb0ES6_jNS0_17counting_iteratorIjlEEPS9_SE_NS0_5tupleIJPjSE_EEENSF_IJSE_SE_EEES9_SG_JZNS1_25segmented_radix_sort_implINS0_14default_configELb0EPKsPsPKlPlN2at6native12_GLOBAL__N_18offset_tEEE10hipError_tPvRmT1_PNSt15iterator_traitsISY_E10value_typeET2_T3_PNSZ_IS14_E10value_typeET4_jRbjT5_S1A_jjP12ihipStream_tbEUljE_EEESV_SW_SX_S14_S18_S1A_T6_T7_T9_mT8_S1C_bDpT10_ENKUlT_T0_E_clISt17integral_constantIbLb0EES1P_EEDaS1K_S1L_EUlS1K_E_NS1_11comp_targetILNS1_3genE0ELNS1_11target_archE4294967295ELNS1_3gpuE0ELNS1_3repE0EEENS1_30default_config_static_selectorELNS0_4arch9wavefront6targetE1EEEvSY_
    .private_segment_fixed_size: 0
    .sgpr_count:     4
    .sgpr_spill_count: 0
    .symbol:         _ZN7rocprim17ROCPRIM_400000_NS6detail17trampoline_kernelINS0_13select_configILj256ELj13ELNS0_17block_load_methodE3ELS4_3ELS4_3ELNS0_20block_scan_algorithmE0ELj4294967295EEENS1_25partition_config_selectorILNS1_17partition_subalgoE3EjNS0_10empty_typeEbEEZZNS1_14partition_implILS8_3ELb0ES6_jNS0_17counting_iteratorIjlEEPS9_SE_NS0_5tupleIJPjSE_EEENSF_IJSE_SE_EEES9_SG_JZNS1_25segmented_radix_sort_implINS0_14default_configELb0EPKsPsPKlPlN2at6native12_GLOBAL__N_18offset_tEEE10hipError_tPvRmT1_PNSt15iterator_traitsISY_E10value_typeET2_T3_PNSZ_IS14_E10value_typeET4_jRbjT5_S1A_jjP12ihipStream_tbEUljE_EEESV_SW_SX_S14_S18_S1A_T6_T7_T9_mT8_S1C_bDpT10_ENKUlT_T0_E_clISt17integral_constantIbLb0EES1P_EEDaS1K_S1L_EUlS1K_E_NS1_11comp_targetILNS1_3genE0ELNS1_11target_archE4294967295ELNS1_3gpuE0ELNS1_3repE0EEENS1_30default_config_static_selectorELNS0_4arch9wavefront6targetE1EEEvSY_.kd
    .uniform_work_group_size: 1
    .uses_dynamic_stack: false
    .vgpr_count:     0
    .vgpr_spill_count: 0
    .wavefront_size: 64
  - .args:
      - .offset:         0
        .size:           144
        .value_kind:     by_value
    .group_segment_fixed_size: 0
    .kernarg_segment_align: 8
    .kernarg_segment_size: 144
    .language:       OpenCL C
    .language_version:
      - 2
      - 0
    .max_flat_workgroup_size: 256
    .name:           _ZN7rocprim17ROCPRIM_400000_NS6detail17trampoline_kernelINS0_13select_configILj256ELj13ELNS0_17block_load_methodE3ELS4_3ELS4_3ELNS0_20block_scan_algorithmE0ELj4294967295EEENS1_25partition_config_selectorILNS1_17partition_subalgoE3EjNS0_10empty_typeEbEEZZNS1_14partition_implILS8_3ELb0ES6_jNS0_17counting_iteratorIjlEEPS9_SE_NS0_5tupleIJPjSE_EEENSF_IJSE_SE_EEES9_SG_JZNS1_25segmented_radix_sort_implINS0_14default_configELb0EPKsPsPKlPlN2at6native12_GLOBAL__N_18offset_tEEE10hipError_tPvRmT1_PNSt15iterator_traitsISY_E10value_typeET2_T3_PNSZ_IS14_E10value_typeET4_jRbjT5_S1A_jjP12ihipStream_tbEUljE_EEESV_SW_SX_S14_S18_S1A_T6_T7_T9_mT8_S1C_bDpT10_ENKUlT_T0_E_clISt17integral_constantIbLb0EES1P_EEDaS1K_S1L_EUlS1K_E_NS1_11comp_targetILNS1_3genE5ELNS1_11target_archE942ELNS1_3gpuE9ELNS1_3repE0EEENS1_30default_config_static_selectorELNS0_4arch9wavefront6targetE1EEEvSY_
    .private_segment_fixed_size: 0
    .sgpr_count:     4
    .sgpr_spill_count: 0
    .symbol:         _ZN7rocprim17ROCPRIM_400000_NS6detail17trampoline_kernelINS0_13select_configILj256ELj13ELNS0_17block_load_methodE3ELS4_3ELS4_3ELNS0_20block_scan_algorithmE0ELj4294967295EEENS1_25partition_config_selectorILNS1_17partition_subalgoE3EjNS0_10empty_typeEbEEZZNS1_14partition_implILS8_3ELb0ES6_jNS0_17counting_iteratorIjlEEPS9_SE_NS0_5tupleIJPjSE_EEENSF_IJSE_SE_EEES9_SG_JZNS1_25segmented_radix_sort_implINS0_14default_configELb0EPKsPsPKlPlN2at6native12_GLOBAL__N_18offset_tEEE10hipError_tPvRmT1_PNSt15iterator_traitsISY_E10value_typeET2_T3_PNSZ_IS14_E10value_typeET4_jRbjT5_S1A_jjP12ihipStream_tbEUljE_EEESV_SW_SX_S14_S18_S1A_T6_T7_T9_mT8_S1C_bDpT10_ENKUlT_T0_E_clISt17integral_constantIbLb0EES1P_EEDaS1K_S1L_EUlS1K_E_NS1_11comp_targetILNS1_3genE5ELNS1_11target_archE942ELNS1_3gpuE9ELNS1_3repE0EEENS1_30default_config_static_selectorELNS0_4arch9wavefront6targetE1EEEvSY_.kd
    .uniform_work_group_size: 1
    .uses_dynamic_stack: false
    .vgpr_count:     0
    .vgpr_spill_count: 0
    .wavefront_size: 64
  - .args:
      - .offset:         0
        .size:           144
        .value_kind:     by_value
    .group_segment_fixed_size: 0
    .kernarg_segment_align: 8
    .kernarg_segment_size: 144
    .language:       OpenCL C
    .language_version:
      - 2
      - 0
    .max_flat_workgroup_size: 256
    .name:           _ZN7rocprim17ROCPRIM_400000_NS6detail17trampoline_kernelINS0_13select_configILj256ELj13ELNS0_17block_load_methodE3ELS4_3ELS4_3ELNS0_20block_scan_algorithmE0ELj4294967295EEENS1_25partition_config_selectorILNS1_17partition_subalgoE3EjNS0_10empty_typeEbEEZZNS1_14partition_implILS8_3ELb0ES6_jNS0_17counting_iteratorIjlEEPS9_SE_NS0_5tupleIJPjSE_EEENSF_IJSE_SE_EEES9_SG_JZNS1_25segmented_radix_sort_implINS0_14default_configELb0EPKsPsPKlPlN2at6native12_GLOBAL__N_18offset_tEEE10hipError_tPvRmT1_PNSt15iterator_traitsISY_E10value_typeET2_T3_PNSZ_IS14_E10value_typeET4_jRbjT5_S1A_jjP12ihipStream_tbEUljE_EEESV_SW_SX_S14_S18_S1A_T6_T7_T9_mT8_S1C_bDpT10_ENKUlT_T0_E_clISt17integral_constantIbLb0EES1P_EEDaS1K_S1L_EUlS1K_E_NS1_11comp_targetILNS1_3genE4ELNS1_11target_archE910ELNS1_3gpuE8ELNS1_3repE0EEENS1_30default_config_static_selectorELNS0_4arch9wavefront6targetE1EEEvSY_
    .private_segment_fixed_size: 0
    .sgpr_count:     4
    .sgpr_spill_count: 0
    .symbol:         _ZN7rocprim17ROCPRIM_400000_NS6detail17trampoline_kernelINS0_13select_configILj256ELj13ELNS0_17block_load_methodE3ELS4_3ELS4_3ELNS0_20block_scan_algorithmE0ELj4294967295EEENS1_25partition_config_selectorILNS1_17partition_subalgoE3EjNS0_10empty_typeEbEEZZNS1_14partition_implILS8_3ELb0ES6_jNS0_17counting_iteratorIjlEEPS9_SE_NS0_5tupleIJPjSE_EEENSF_IJSE_SE_EEES9_SG_JZNS1_25segmented_radix_sort_implINS0_14default_configELb0EPKsPsPKlPlN2at6native12_GLOBAL__N_18offset_tEEE10hipError_tPvRmT1_PNSt15iterator_traitsISY_E10value_typeET2_T3_PNSZ_IS14_E10value_typeET4_jRbjT5_S1A_jjP12ihipStream_tbEUljE_EEESV_SW_SX_S14_S18_S1A_T6_T7_T9_mT8_S1C_bDpT10_ENKUlT_T0_E_clISt17integral_constantIbLb0EES1P_EEDaS1K_S1L_EUlS1K_E_NS1_11comp_targetILNS1_3genE4ELNS1_11target_archE910ELNS1_3gpuE8ELNS1_3repE0EEENS1_30default_config_static_selectorELNS0_4arch9wavefront6targetE1EEEvSY_.kd
    .uniform_work_group_size: 1
    .uses_dynamic_stack: false
    .vgpr_count:     0
    .vgpr_spill_count: 0
    .wavefront_size: 64
  - .args:
      - .offset:         0
        .size:           144
        .value_kind:     by_value
    .group_segment_fixed_size: 0
    .kernarg_segment_align: 8
    .kernarg_segment_size: 144
    .language:       OpenCL C
    .language_version:
      - 2
      - 0
    .max_flat_workgroup_size: 256
    .name:           _ZN7rocprim17ROCPRIM_400000_NS6detail17trampoline_kernelINS0_13select_configILj256ELj13ELNS0_17block_load_methodE3ELS4_3ELS4_3ELNS0_20block_scan_algorithmE0ELj4294967295EEENS1_25partition_config_selectorILNS1_17partition_subalgoE3EjNS0_10empty_typeEbEEZZNS1_14partition_implILS8_3ELb0ES6_jNS0_17counting_iteratorIjlEEPS9_SE_NS0_5tupleIJPjSE_EEENSF_IJSE_SE_EEES9_SG_JZNS1_25segmented_radix_sort_implINS0_14default_configELb0EPKsPsPKlPlN2at6native12_GLOBAL__N_18offset_tEEE10hipError_tPvRmT1_PNSt15iterator_traitsISY_E10value_typeET2_T3_PNSZ_IS14_E10value_typeET4_jRbjT5_S1A_jjP12ihipStream_tbEUljE_EEESV_SW_SX_S14_S18_S1A_T6_T7_T9_mT8_S1C_bDpT10_ENKUlT_T0_E_clISt17integral_constantIbLb0EES1P_EEDaS1K_S1L_EUlS1K_E_NS1_11comp_targetILNS1_3genE3ELNS1_11target_archE908ELNS1_3gpuE7ELNS1_3repE0EEENS1_30default_config_static_selectorELNS0_4arch9wavefront6targetE1EEEvSY_
    .private_segment_fixed_size: 0
    .sgpr_count:     4
    .sgpr_spill_count: 0
    .symbol:         _ZN7rocprim17ROCPRIM_400000_NS6detail17trampoline_kernelINS0_13select_configILj256ELj13ELNS0_17block_load_methodE3ELS4_3ELS4_3ELNS0_20block_scan_algorithmE0ELj4294967295EEENS1_25partition_config_selectorILNS1_17partition_subalgoE3EjNS0_10empty_typeEbEEZZNS1_14partition_implILS8_3ELb0ES6_jNS0_17counting_iteratorIjlEEPS9_SE_NS0_5tupleIJPjSE_EEENSF_IJSE_SE_EEES9_SG_JZNS1_25segmented_radix_sort_implINS0_14default_configELb0EPKsPsPKlPlN2at6native12_GLOBAL__N_18offset_tEEE10hipError_tPvRmT1_PNSt15iterator_traitsISY_E10value_typeET2_T3_PNSZ_IS14_E10value_typeET4_jRbjT5_S1A_jjP12ihipStream_tbEUljE_EEESV_SW_SX_S14_S18_S1A_T6_T7_T9_mT8_S1C_bDpT10_ENKUlT_T0_E_clISt17integral_constantIbLb0EES1P_EEDaS1K_S1L_EUlS1K_E_NS1_11comp_targetILNS1_3genE3ELNS1_11target_archE908ELNS1_3gpuE7ELNS1_3repE0EEENS1_30default_config_static_selectorELNS0_4arch9wavefront6targetE1EEEvSY_.kd
    .uniform_work_group_size: 1
    .uses_dynamic_stack: false
    .vgpr_count:     0
    .vgpr_spill_count: 0
    .wavefront_size: 64
  - .args:
      - .offset:         0
        .size:           144
        .value_kind:     by_value
    .group_segment_fixed_size: 13320
    .kernarg_segment_align: 8
    .kernarg_segment_size: 144
    .language:       OpenCL C
    .language_version:
      - 2
      - 0
    .max_flat_workgroup_size: 256
    .name:           _ZN7rocprim17ROCPRIM_400000_NS6detail17trampoline_kernelINS0_13select_configILj256ELj13ELNS0_17block_load_methodE3ELS4_3ELS4_3ELNS0_20block_scan_algorithmE0ELj4294967295EEENS1_25partition_config_selectorILNS1_17partition_subalgoE3EjNS0_10empty_typeEbEEZZNS1_14partition_implILS8_3ELb0ES6_jNS0_17counting_iteratorIjlEEPS9_SE_NS0_5tupleIJPjSE_EEENSF_IJSE_SE_EEES9_SG_JZNS1_25segmented_radix_sort_implINS0_14default_configELb0EPKsPsPKlPlN2at6native12_GLOBAL__N_18offset_tEEE10hipError_tPvRmT1_PNSt15iterator_traitsISY_E10value_typeET2_T3_PNSZ_IS14_E10value_typeET4_jRbjT5_S1A_jjP12ihipStream_tbEUljE_EEESV_SW_SX_S14_S18_S1A_T6_T7_T9_mT8_S1C_bDpT10_ENKUlT_T0_E_clISt17integral_constantIbLb0EES1P_EEDaS1K_S1L_EUlS1K_E_NS1_11comp_targetILNS1_3genE2ELNS1_11target_archE906ELNS1_3gpuE6ELNS1_3repE0EEENS1_30default_config_static_selectorELNS0_4arch9wavefront6targetE1EEEvSY_
    .private_segment_fixed_size: 0
    .sgpr_count:     52
    .sgpr_spill_count: 0
    .symbol:         _ZN7rocprim17ROCPRIM_400000_NS6detail17trampoline_kernelINS0_13select_configILj256ELj13ELNS0_17block_load_methodE3ELS4_3ELS4_3ELNS0_20block_scan_algorithmE0ELj4294967295EEENS1_25partition_config_selectorILNS1_17partition_subalgoE3EjNS0_10empty_typeEbEEZZNS1_14partition_implILS8_3ELb0ES6_jNS0_17counting_iteratorIjlEEPS9_SE_NS0_5tupleIJPjSE_EEENSF_IJSE_SE_EEES9_SG_JZNS1_25segmented_radix_sort_implINS0_14default_configELb0EPKsPsPKlPlN2at6native12_GLOBAL__N_18offset_tEEE10hipError_tPvRmT1_PNSt15iterator_traitsISY_E10value_typeET2_T3_PNSZ_IS14_E10value_typeET4_jRbjT5_S1A_jjP12ihipStream_tbEUljE_EEESV_SW_SX_S14_S18_S1A_T6_T7_T9_mT8_S1C_bDpT10_ENKUlT_T0_E_clISt17integral_constantIbLb0EES1P_EEDaS1K_S1L_EUlS1K_E_NS1_11comp_targetILNS1_3genE2ELNS1_11target_archE906ELNS1_3gpuE6ELNS1_3repE0EEENS1_30default_config_static_selectorELNS0_4arch9wavefront6targetE1EEEvSY_.kd
    .uniform_work_group_size: 1
    .uses_dynamic_stack: false
    .vgpr_count:     69
    .vgpr_spill_count: 0
    .wavefront_size: 64
  - .args:
      - .offset:         0
        .size:           144
        .value_kind:     by_value
    .group_segment_fixed_size: 0
    .kernarg_segment_align: 8
    .kernarg_segment_size: 144
    .language:       OpenCL C
    .language_version:
      - 2
      - 0
    .max_flat_workgroup_size: 256
    .name:           _ZN7rocprim17ROCPRIM_400000_NS6detail17trampoline_kernelINS0_13select_configILj256ELj13ELNS0_17block_load_methodE3ELS4_3ELS4_3ELNS0_20block_scan_algorithmE0ELj4294967295EEENS1_25partition_config_selectorILNS1_17partition_subalgoE3EjNS0_10empty_typeEbEEZZNS1_14partition_implILS8_3ELb0ES6_jNS0_17counting_iteratorIjlEEPS9_SE_NS0_5tupleIJPjSE_EEENSF_IJSE_SE_EEES9_SG_JZNS1_25segmented_radix_sort_implINS0_14default_configELb0EPKsPsPKlPlN2at6native12_GLOBAL__N_18offset_tEEE10hipError_tPvRmT1_PNSt15iterator_traitsISY_E10value_typeET2_T3_PNSZ_IS14_E10value_typeET4_jRbjT5_S1A_jjP12ihipStream_tbEUljE_EEESV_SW_SX_S14_S18_S1A_T6_T7_T9_mT8_S1C_bDpT10_ENKUlT_T0_E_clISt17integral_constantIbLb0EES1P_EEDaS1K_S1L_EUlS1K_E_NS1_11comp_targetILNS1_3genE10ELNS1_11target_archE1200ELNS1_3gpuE4ELNS1_3repE0EEENS1_30default_config_static_selectorELNS0_4arch9wavefront6targetE1EEEvSY_
    .private_segment_fixed_size: 0
    .sgpr_count:     4
    .sgpr_spill_count: 0
    .symbol:         _ZN7rocprim17ROCPRIM_400000_NS6detail17trampoline_kernelINS0_13select_configILj256ELj13ELNS0_17block_load_methodE3ELS4_3ELS4_3ELNS0_20block_scan_algorithmE0ELj4294967295EEENS1_25partition_config_selectorILNS1_17partition_subalgoE3EjNS0_10empty_typeEbEEZZNS1_14partition_implILS8_3ELb0ES6_jNS0_17counting_iteratorIjlEEPS9_SE_NS0_5tupleIJPjSE_EEENSF_IJSE_SE_EEES9_SG_JZNS1_25segmented_radix_sort_implINS0_14default_configELb0EPKsPsPKlPlN2at6native12_GLOBAL__N_18offset_tEEE10hipError_tPvRmT1_PNSt15iterator_traitsISY_E10value_typeET2_T3_PNSZ_IS14_E10value_typeET4_jRbjT5_S1A_jjP12ihipStream_tbEUljE_EEESV_SW_SX_S14_S18_S1A_T6_T7_T9_mT8_S1C_bDpT10_ENKUlT_T0_E_clISt17integral_constantIbLb0EES1P_EEDaS1K_S1L_EUlS1K_E_NS1_11comp_targetILNS1_3genE10ELNS1_11target_archE1200ELNS1_3gpuE4ELNS1_3repE0EEENS1_30default_config_static_selectorELNS0_4arch9wavefront6targetE1EEEvSY_.kd
    .uniform_work_group_size: 1
    .uses_dynamic_stack: false
    .vgpr_count:     0
    .vgpr_spill_count: 0
    .wavefront_size: 64
  - .args:
      - .offset:         0
        .size:           144
        .value_kind:     by_value
    .group_segment_fixed_size: 0
    .kernarg_segment_align: 8
    .kernarg_segment_size: 144
    .language:       OpenCL C
    .language_version:
      - 2
      - 0
    .max_flat_workgroup_size: 256
    .name:           _ZN7rocprim17ROCPRIM_400000_NS6detail17trampoline_kernelINS0_13select_configILj256ELj13ELNS0_17block_load_methodE3ELS4_3ELS4_3ELNS0_20block_scan_algorithmE0ELj4294967295EEENS1_25partition_config_selectorILNS1_17partition_subalgoE3EjNS0_10empty_typeEbEEZZNS1_14partition_implILS8_3ELb0ES6_jNS0_17counting_iteratorIjlEEPS9_SE_NS0_5tupleIJPjSE_EEENSF_IJSE_SE_EEES9_SG_JZNS1_25segmented_radix_sort_implINS0_14default_configELb0EPKsPsPKlPlN2at6native12_GLOBAL__N_18offset_tEEE10hipError_tPvRmT1_PNSt15iterator_traitsISY_E10value_typeET2_T3_PNSZ_IS14_E10value_typeET4_jRbjT5_S1A_jjP12ihipStream_tbEUljE_EEESV_SW_SX_S14_S18_S1A_T6_T7_T9_mT8_S1C_bDpT10_ENKUlT_T0_E_clISt17integral_constantIbLb0EES1P_EEDaS1K_S1L_EUlS1K_E_NS1_11comp_targetILNS1_3genE9ELNS1_11target_archE1100ELNS1_3gpuE3ELNS1_3repE0EEENS1_30default_config_static_selectorELNS0_4arch9wavefront6targetE1EEEvSY_
    .private_segment_fixed_size: 0
    .sgpr_count:     4
    .sgpr_spill_count: 0
    .symbol:         _ZN7rocprim17ROCPRIM_400000_NS6detail17trampoline_kernelINS0_13select_configILj256ELj13ELNS0_17block_load_methodE3ELS4_3ELS4_3ELNS0_20block_scan_algorithmE0ELj4294967295EEENS1_25partition_config_selectorILNS1_17partition_subalgoE3EjNS0_10empty_typeEbEEZZNS1_14partition_implILS8_3ELb0ES6_jNS0_17counting_iteratorIjlEEPS9_SE_NS0_5tupleIJPjSE_EEENSF_IJSE_SE_EEES9_SG_JZNS1_25segmented_radix_sort_implINS0_14default_configELb0EPKsPsPKlPlN2at6native12_GLOBAL__N_18offset_tEEE10hipError_tPvRmT1_PNSt15iterator_traitsISY_E10value_typeET2_T3_PNSZ_IS14_E10value_typeET4_jRbjT5_S1A_jjP12ihipStream_tbEUljE_EEESV_SW_SX_S14_S18_S1A_T6_T7_T9_mT8_S1C_bDpT10_ENKUlT_T0_E_clISt17integral_constantIbLb0EES1P_EEDaS1K_S1L_EUlS1K_E_NS1_11comp_targetILNS1_3genE9ELNS1_11target_archE1100ELNS1_3gpuE3ELNS1_3repE0EEENS1_30default_config_static_selectorELNS0_4arch9wavefront6targetE1EEEvSY_.kd
    .uniform_work_group_size: 1
    .uses_dynamic_stack: false
    .vgpr_count:     0
    .vgpr_spill_count: 0
    .wavefront_size: 64
  - .args:
      - .offset:         0
        .size:           144
        .value_kind:     by_value
    .group_segment_fixed_size: 0
    .kernarg_segment_align: 8
    .kernarg_segment_size: 144
    .language:       OpenCL C
    .language_version:
      - 2
      - 0
    .max_flat_workgroup_size: 256
    .name:           _ZN7rocprim17ROCPRIM_400000_NS6detail17trampoline_kernelINS0_13select_configILj256ELj13ELNS0_17block_load_methodE3ELS4_3ELS4_3ELNS0_20block_scan_algorithmE0ELj4294967295EEENS1_25partition_config_selectorILNS1_17partition_subalgoE3EjNS0_10empty_typeEbEEZZNS1_14partition_implILS8_3ELb0ES6_jNS0_17counting_iteratorIjlEEPS9_SE_NS0_5tupleIJPjSE_EEENSF_IJSE_SE_EEES9_SG_JZNS1_25segmented_radix_sort_implINS0_14default_configELb0EPKsPsPKlPlN2at6native12_GLOBAL__N_18offset_tEEE10hipError_tPvRmT1_PNSt15iterator_traitsISY_E10value_typeET2_T3_PNSZ_IS14_E10value_typeET4_jRbjT5_S1A_jjP12ihipStream_tbEUljE_EEESV_SW_SX_S14_S18_S1A_T6_T7_T9_mT8_S1C_bDpT10_ENKUlT_T0_E_clISt17integral_constantIbLb0EES1P_EEDaS1K_S1L_EUlS1K_E_NS1_11comp_targetILNS1_3genE8ELNS1_11target_archE1030ELNS1_3gpuE2ELNS1_3repE0EEENS1_30default_config_static_selectorELNS0_4arch9wavefront6targetE1EEEvSY_
    .private_segment_fixed_size: 0
    .sgpr_count:     4
    .sgpr_spill_count: 0
    .symbol:         _ZN7rocprim17ROCPRIM_400000_NS6detail17trampoline_kernelINS0_13select_configILj256ELj13ELNS0_17block_load_methodE3ELS4_3ELS4_3ELNS0_20block_scan_algorithmE0ELj4294967295EEENS1_25partition_config_selectorILNS1_17partition_subalgoE3EjNS0_10empty_typeEbEEZZNS1_14partition_implILS8_3ELb0ES6_jNS0_17counting_iteratorIjlEEPS9_SE_NS0_5tupleIJPjSE_EEENSF_IJSE_SE_EEES9_SG_JZNS1_25segmented_radix_sort_implINS0_14default_configELb0EPKsPsPKlPlN2at6native12_GLOBAL__N_18offset_tEEE10hipError_tPvRmT1_PNSt15iterator_traitsISY_E10value_typeET2_T3_PNSZ_IS14_E10value_typeET4_jRbjT5_S1A_jjP12ihipStream_tbEUljE_EEESV_SW_SX_S14_S18_S1A_T6_T7_T9_mT8_S1C_bDpT10_ENKUlT_T0_E_clISt17integral_constantIbLb0EES1P_EEDaS1K_S1L_EUlS1K_E_NS1_11comp_targetILNS1_3genE8ELNS1_11target_archE1030ELNS1_3gpuE2ELNS1_3repE0EEENS1_30default_config_static_selectorELNS0_4arch9wavefront6targetE1EEEvSY_.kd
    .uniform_work_group_size: 1
    .uses_dynamic_stack: false
    .vgpr_count:     0
    .vgpr_spill_count: 0
    .wavefront_size: 64
  - .args:
      - .offset:         0
        .size:           152
        .value_kind:     by_value
    .group_segment_fixed_size: 0
    .kernarg_segment_align: 8
    .kernarg_segment_size: 152
    .language:       OpenCL C
    .language_version:
      - 2
      - 0
    .max_flat_workgroup_size: 256
    .name:           _ZN7rocprim17ROCPRIM_400000_NS6detail17trampoline_kernelINS0_13select_configILj256ELj13ELNS0_17block_load_methodE3ELS4_3ELS4_3ELNS0_20block_scan_algorithmE0ELj4294967295EEENS1_25partition_config_selectorILNS1_17partition_subalgoE3EjNS0_10empty_typeEbEEZZNS1_14partition_implILS8_3ELb0ES6_jNS0_17counting_iteratorIjlEEPS9_SE_NS0_5tupleIJPjSE_EEENSF_IJSE_SE_EEES9_SG_JZNS1_25segmented_radix_sort_implINS0_14default_configELb0EPKsPsPKlPlN2at6native12_GLOBAL__N_18offset_tEEE10hipError_tPvRmT1_PNSt15iterator_traitsISY_E10value_typeET2_T3_PNSZ_IS14_E10value_typeET4_jRbjT5_S1A_jjP12ihipStream_tbEUljE_EEESV_SW_SX_S14_S18_S1A_T6_T7_T9_mT8_S1C_bDpT10_ENKUlT_T0_E_clISt17integral_constantIbLb1EES1P_EEDaS1K_S1L_EUlS1K_E_NS1_11comp_targetILNS1_3genE0ELNS1_11target_archE4294967295ELNS1_3gpuE0ELNS1_3repE0EEENS1_30default_config_static_selectorELNS0_4arch9wavefront6targetE1EEEvSY_
    .private_segment_fixed_size: 0
    .sgpr_count:     4
    .sgpr_spill_count: 0
    .symbol:         _ZN7rocprim17ROCPRIM_400000_NS6detail17trampoline_kernelINS0_13select_configILj256ELj13ELNS0_17block_load_methodE3ELS4_3ELS4_3ELNS0_20block_scan_algorithmE0ELj4294967295EEENS1_25partition_config_selectorILNS1_17partition_subalgoE3EjNS0_10empty_typeEbEEZZNS1_14partition_implILS8_3ELb0ES6_jNS0_17counting_iteratorIjlEEPS9_SE_NS0_5tupleIJPjSE_EEENSF_IJSE_SE_EEES9_SG_JZNS1_25segmented_radix_sort_implINS0_14default_configELb0EPKsPsPKlPlN2at6native12_GLOBAL__N_18offset_tEEE10hipError_tPvRmT1_PNSt15iterator_traitsISY_E10value_typeET2_T3_PNSZ_IS14_E10value_typeET4_jRbjT5_S1A_jjP12ihipStream_tbEUljE_EEESV_SW_SX_S14_S18_S1A_T6_T7_T9_mT8_S1C_bDpT10_ENKUlT_T0_E_clISt17integral_constantIbLb1EES1P_EEDaS1K_S1L_EUlS1K_E_NS1_11comp_targetILNS1_3genE0ELNS1_11target_archE4294967295ELNS1_3gpuE0ELNS1_3repE0EEENS1_30default_config_static_selectorELNS0_4arch9wavefront6targetE1EEEvSY_.kd
    .uniform_work_group_size: 1
    .uses_dynamic_stack: false
    .vgpr_count:     0
    .vgpr_spill_count: 0
    .wavefront_size: 64
  - .args:
      - .offset:         0
        .size:           152
        .value_kind:     by_value
    .group_segment_fixed_size: 0
    .kernarg_segment_align: 8
    .kernarg_segment_size: 152
    .language:       OpenCL C
    .language_version:
      - 2
      - 0
    .max_flat_workgroup_size: 256
    .name:           _ZN7rocprim17ROCPRIM_400000_NS6detail17trampoline_kernelINS0_13select_configILj256ELj13ELNS0_17block_load_methodE3ELS4_3ELS4_3ELNS0_20block_scan_algorithmE0ELj4294967295EEENS1_25partition_config_selectorILNS1_17partition_subalgoE3EjNS0_10empty_typeEbEEZZNS1_14partition_implILS8_3ELb0ES6_jNS0_17counting_iteratorIjlEEPS9_SE_NS0_5tupleIJPjSE_EEENSF_IJSE_SE_EEES9_SG_JZNS1_25segmented_radix_sort_implINS0_14default_configELb0EPKsPsPKlPlN2at6native12_GLOBAL__N_18offset_tEEE10hipError_tPvRmT1_PNSt15iterator_traitsISY_E10value_typeET2_T3_PNSZ_IS14_E10value_typeET4_jRbjT5_S1A_jjP12ihipStream_tbEUljE_EEESV_SW_SX_S14_S18_S1A_T6_T7_T9_mT8_S1C_bDpT10_ENKUlT_T0_E_clISt17integral_constantIbLb1EES1P_EEDaS1K_S1L_EUlS1K_E_NS1_11comp_targetILNS1_3genE5ELNS1_11target_archE942ELNS1_3gpuE9ELNS1_3repE0EEENS1_30default_config_static_selectorELNS0_4arch9wavefront6targetE1EEEvSY_
    .private_segment_fixed_size: 0
    .sgpr_count:     4
    .sgpr_spill_count: 0
    .symbol:         _ZN7rocprim17ROCPRIM_400000_NS6detail17trampoline_kernelINS0_13select_configILj256ELj13ELNS0_17block_load_methodE3ELS4_3ELS4_3ELNS0_20block_scan_algorithmE0ELj4294967295EEENS1_25partition_config_selectorILNS1_17partition_subalgoE3EjNS0_10empty_typeEbEEZZNS1_14partition_implILS8_3ELb0ES6_jNS0_17counting_iteratorIjlEEPS9_SE_NS0_5tupleIJPjSE_EEENSF_IJSE_SE_EEES9_SG_JZNS1_25segmented_radix_sort_implINS0_14default_configELb0EPKsPsPKlPlN2at6native12_GLOBAL__N_18offset_tEEE10hipError_tPvRmT1_PNSt15iterator_traitsISY_E10value_typeET2_T3_PNSZ_IS14_E10value_typeET4_jRbjT5_S1A_jjP12ihipStream_tbEUljE_EEESV_SW_SX_S14_S18_S1A_T6_T7_T9_mT8_S1C_bDpT10_ENKUlT_T0_E_clISt17integral_constantIbLb1EES1P_EEDaS1K_S1L_EUlS1K_E_NS1_11comp_targetILNS1_3genE5ELNS1_11target_archE942ELNS1_3gpuE9ELNS1_3repE0EEENS1_30default_config_static_selectorELNS0_4arch9wavefront6targetE1EEEvSY_.kd
    .uniform_work_group_size: 1
    .uses_dynamic_stack: false
    .vgpr_count:     0
    .vgpr_spill_count: 0
    .wavefront_size: 64
  - .args:
      - .offset:         0
        .size:           152
        .value_kind:     by_value
    .group_segment_fixed_size: 0
    .kernarg_segment_align: 8
    .kernarg_segment_size: 152
    .language:       OpenCL C
    .language_version:
      - 2
      - 0
    .max_flat_workgroup_size: 256
    .name:           _ZN7rocprim17ROCPRIM_400000_NS6detail17trampoline_kernelINS0_13select_configILj256ELj13ELNS0_17block_load_methodE3ELS4_3ELS4_3ELNS0_20block_scan_algorithmE0ELj4294967295EEENS1_25partition_config_selectorILNS1_17partition_subalgoE3EjNS0_10empty_typeEbEEZZNS1_14partition_implILS8_3ELb0ES6_jNS0_17counting_iteratorIjlEEPS9_SE_NS0_5tupleIJPjSE_EEENSF_IJSE_SE_EEES9_SG_JZNS1_25segmented_radix_sort_implINS0_14default_configELb0EPKsPsPKlPlN2at6native12_GLOBAL__N_18offset_tEEE10hipError_tPvRmT1_PNSt15iterator_traitsISY_E10value_typeET2_T3_PNSZ_IS14_E10value_typeET4_jRbjT5_S1A_jjP12ihipStream_tbEUljE_EEESV_SW_SX_S14_S18_S1A_T6_T7_T9_mT8_S1C_bDpT10_ENKUlT_T0_E_clISt17integral_constantIbLb1EES1P_EEDaS1K_S1L_EUlS1K_E_NS1_11comp_targetILNS1_3genE4ELNS1_11target_archE910ELNS1_3gpuE8ELNS1_3repE0EEENS1_30default_config_static_selectorELNS0_4arch9wavefront6targetE1EEEvSY_
    .private_segment_fixed_size: 0
    .sgpr_count:     4
    .sgpr_spill_count: 0
    .symbol:         _ZN7rocprim17ROCPRIM_400000_NS6detail17trampoline_kernelINS0_13select_configILj256ELj13ELNS0_17block_load_methodE3ELS4_3ELS4_3ELNS0_20block_scan_algorithmE0ELj4294967295EEENS1_25partition_config_selectorILNS1_17partition_subalgoE3EjNS0_10empty_typeEbEEZZNS1_14partition_implILS8_3ELb0ES6_jNS0_17counting_iteratorIjlEEPS9_SE_NS0_5tupleIJPjSE_EEENSF_IJSE_SE_EEES9_SG_JZNS1_25segmented_radix_sort_implINS0_14default_configELb0EPKsPsPKlPlN2at6native12_GLOBAL__N_18offset_tEEE10hipError_tPvRmT1_PNSt15iterator_traitsISY_E10value_typeET2_T3_PNSZ_IS14_E10value_typeET4_jRbjT5_S1A_jjP12ihipStream_tbEUljE_EEESV_SW_SX_S14_S18_S1A_T6_T7_T9_mT8_S1C_bDpT10_ENKUlT_T0_E_clISt17integral_constantIbLb1EES1P_EEDaS1K_S1L_EUlS1K_E_NS1_11comp_targetILNS1_3genE4ELNS1_11target_archE910ELNS1_3gpuE8ELNS1_3repE0EEENS1_30default_config_static_selectorELNS0_4arch9wavefront6targetE1EEEvSY_.kd
    .uniform_work_group_size: 1
    .uses_dynamic_stack: false
    .vgpr_count:     0
    .vgpr_spill_count: 0
    .wavefront_size: 64
  - .args:
      - .offset:         0
        .size:           152
        .value_kind:     by_value
    .group_segment_fixed_size: 0
    .kernarg_segment_align: 8
    .kernarg_segment_size: 152
    .language:       OpenCL C
    .language_version:
      - 2
      - 0
    .max_flat_workgroup_size: 256
    .name:           _ZN7rocprim17ROCPRIM_400000_NS6detail17trampoline_kernelINS0_13select_configILj256ELj13ELNS0_17block_load_methodE3ELS4_3ELS4_3ELNS0_20block_scan_algorithmE0ELj4294967295EEENS1_25partition_config_selectorILNS1_17partition_subalgoE3EjNS0_10empty_typeEbEEZZNS1_14partition_implILS8_3ELb0ES6_jNS0_17counting_iteratorIjlEEPS9_SE_NS0_5tupleIJPjSE_EEENSF_IJSE_SE_EEES9_SG_JZNS1_25segmented_radix_sort_implINS0_14default_configELb0EPKsPsPKlPlN2at6native12_GLOBAL__N_18offset_tEEE10hipError_tPvRmT1_PNSt15iterator_traitsISY_E10value_typeET2_T3_PNSZ_IS14_E10value_typeET4_jRbjT5_S1A_jjP12ihipStream_tbEUljE_EEESV_SW_SX_S14_S18_S1A_T6_T7_T9_mT8_S1C_bDpT10_ENKUlT_T0_E_clISt17integral_constantIbLb1EES1P_EEDaS1K_S1L_EUlS1K_E_NS1_11comp_targetILNS1_3genE3ELNS1_11target_archE908ELNS1_3gpuE7ELNS1_3repE0EEENS1_30default_config_static_selectorELNS0_4arch9wavefront6targetE1EEEvSY_
    .private_segment_fixed_size: 0
    .sgpr_count:     4
    .sgpr_spill_count: 0
    .symbol:         _ZN7rocprim17ROCPRIM_400000_NS6detail17trampoline_kernelINS0_13select_configILj256ELj13ELNS0_17block_load_methodE3ELS4_3ELS4_3ELNS0_20block_scan_algorithmE0ELj4294967295EEENS1_25partition_config_selectorILNS1_17partition_subalgoE3EjNS0_10empty_typeEbEEZZNS1_14partition_implILS8_3ELb0ES6_jNS0_17counting_iteratorIjlEEPS9_SE_NS0_5tupleIJPjSE_EEENSF_IJSE_SE_EEES9_SG_JZNS1_25segmented_radix_sort_implINS0_14default_configELb0EPKsPsPKlPlN2at6native12_GLOBAL__N_18offset_tEEE10hipError_tPvRmT1_PNSt15iterator_traitsISY_E10value_typeET2_T3_PNSZ_IS14_E10value_typeET4_jRbjT5_S1A_jjP12ihipStream_tbEUljE_EEESV_SW_SX_S14_S18_S1A_T6_T7_T9_mT8_S1C_bDpT10_ENKUlT_T0_E_clISt17integral_constantIbLb1EES1P_EEDaS1K_S1L_EUlS1K_E_NS1_11comp_targetILNS1_3genE3ELNS1_11target_archE908ELNS1_3gpuE7ELNS1_3repE0EEENS1_30default_config_static_selectorELNS0_4arch9wavefront6targetE1EEEvSY_.kd
    .uniform_work_group_size: 1
    .uses_dynamic_stack: false
    .vgpr_count:     0
    .vgpr_spill_count: 0
    .wavefront_size: 64
  - .args:
      - .offset:         0
        .size:           152
        .value_kind:     by_value
    .group_segment_fixed_size: 0
    .kernarg_segment_align: 8
    .kernarg_segment_size: 152
    .language:       OpenCL C
    .language_version:
      - 2
      - 0
    .max_flat_workgroup_size: 256
    .name:           _ZN7rocprim17ROCPRIM_400000_NS6detail17trampoline_kernelINS0_13select_configILj256ELj13ELNS0_17block_load_methodE3ELS4_3ELS4_3ELNS0_20block_scan_algorithmE0ELj4294967295EEENS1_25partition_config_selectorILNS1_17partition_subalgoE3EjNS0_10empty_typeEbEEZZNS1_14partition_implILS8_3ELb0ES6_jNS0_17counting_iteratorIjlEEPS9_SE_NS0_5tupleIJPjSE_EEENSF_IJSE_SE_EEES9_SG_JZNS1_25segmented_radix_sort_implINS0_14default_configELb0EPKsPsPKlPlN2at6native12_GLOBAL__N_18offset_tEEE10hipError_tPvRmT1_PNSt15iterator_traitsISY_E10value_typeET2_T3_PNSZ_IS14_E10value_typeET4_jRbjT5_S1A_jjP12ihipStream_tbEUljE_EEESV_SW_SX_S14_S18_S1A_T6_T7_T9_mT8_S1C_bDpT10_ENKUlT_T0_E_clISt17integral_constantIbLb1EES1P_EEDaS1K_S1L_EUlS1K_E_NS1_11comp_targetILNS1_3genE2ELNS1_11target_archE906ELNS1_3gpuE6ELNS1_3repE0EEENS1_30default_config_static_selectorELNS0_4arch9wavefront6targetE1EEEvSY_
    .private_segment_fixed_size: 0
    .sgpr_count:     4
    .sgpr_spill_count: 0
    .symbol:         _ZN7rocprim17ROCPRIM_400000_NS6detail17trampoline_kernelINS0_13select_configILj256ELj13ELNS0_17block_load_methodE3ELS4_3ELS4_3ELNS0_20block_scan_algorithmE0ELj4294967295EEENS1_25partition_config_selectorILNS1_17partition_subalgoE3EjNS0_10empty_typeEbEEZZNS1_14partition_implILS8_3ELb0ES6_jNS0_17counting_iteratorIjlEEPS9_SE_NS0_5tupleIJPjSE_EEENSF_IJSE_SE_EEES9_SG_JZNS1_25segmented_radix_sort_implINS0_14default_configELb0EPKsPsPKlPlN2at6native12_GLOBAL__N_18offset_tEEE10hipError_tPvRmT1_PNSt15iterator_traitsISY_E10value_typeET2_T3_PNSZ_IS14_E10value_typeET4_jRbjT5_S1A_jjP12ihipStream_tbEUljE_EEESV_SW_SX_S14_S18_S1A_T6_T7_T9_mT8_S1C_bDpT10_ENKUlT_T0_E_clISt17integral_constantIbLb1EES1P_EEDaS1K_S1L_EUlS1K_E_NS1_11comp_targetILNS1_3genE2ELNS1_11target_archE906ELNS1_3gpuE6ELNS1_3repE0EEENS1_30default_config_static_selectorELNS0_4arch9wavefront6targetE1EEEvSY_.kd
    .uniform_work_group_size: 1
    .uses_dynamic_stack: false
    .vgpr_count:     0
    .vgpr_spill_count: 0
    .wavefront_size: 64
  - .args:
      - .offset:         0
        .size:           152
        .value_kind:     by_value
    .group_segment_fixed_size: 0
    .kernarg_segment_align: 8
    .kernarg_segment_size: 152
    .language:       OpenCL C
    .language_version:
      - 2
      - 0
    .max_flat_workgroup_size: 256
    .name:           _ZN7rocprim17ROCPRIM_400000_NS6detail17trampoline_kernelINS0_13select_configILj256ELj13ELNS0_17block_load_methodE3ELS4_3ELS4_3ELNS0_20block_scan_algorithmE0ELj4294967295EEENS1_25partition_config_selectorILNS1_17partition_subalgoE3EjNS0_10empty_typeEbEEZZNS1_14partition_implILS8_3ELb0ES6_jNS0_17counting_iteratorIjlEEPS9_SE_NS0_5tupleIJPjSE_EEENSF_IJSE_SE_EEES9_SG_JZNS1_25segmented_radix_sort_implINS0_14default_configELb0EPKsPsPKlPlN2at6native12_GLOBAL__N_18offset_tEEE10hipError_tPvRmT1_PNSt15iterator_traitsISY_E10value_typeET2_T3_PNSZ_IS14_E10value_typeET4_jRbjT5_S1A_jjP12ihipStream_tbEUljE_EEESV_SW_SX_S14_S18_S1A_T6_T7_T9_mT8_S1C_bDpT10_ENKUlT_T0_E_clISt17integral_constantIbLb1EES1P_EEDaS1K_S1L_EUlS1K_E_NS1_11comp_targetILNS1_3genE10ELNS1_11target_archE1200ELNS1_3gpuE4ELNS1_3repE0EEENS1_30default_config_static_selectorELNS0_4arch9wavefront6targetE1EEEvSY_
    .private_segment_fixed_size: 0
    .sgpr_count:     4
    .sgpr_spill_count: 0
    .symbol:         _ZN7rocprim17ROCPRIM_400000_NS6detail17trampoline_kernelINS0_13select_configILj256ELj13ELNS0_17block_load_methodE3ELS4_3ELS4_3ELNS0_20block_scan_algorithmE0ELj4294967295EEENS1_25partition_config_selectorILNS1_17partition_subalgoE3EjNS0_10empty_typeEbEEZZNS1_14partition_implILS8_3ELb0ES6_jNS0_17counting_iteratorIjlEEPS9_SE_NS0_5tupleIJPjSE_EEENSF_IJSE_SE_EEES9_SG_JZNS1_25segmented_radix_sort_implINS0_14default_configELb0EPKsPsPKlPlN2at6native12_GLOBAL__N_18offset_tEEE10hipError_tPvRmT1_PNSt15iterator_traitsISY_E10value_typeET2_T3_PNSZ_IS14_E10value_typeET4_jRbjT5_S1A_jjP12ihipStream_tbEUljE_EEESV_SW_SX_S14_S18_S1A_T6_T7_T9_mT8_S1C_bDpT10_ENKUlT_T0_E_clISt17integral_constantIbLb1EES1P_EEDaS1K_S1L_EUlS1K_E_NS1_11comp_targetILNS1_3genE10ELNS1_11target_archE1200ELNS1_3gpuE4ELNS1_3repE0EEENS1_30default_config_static_selectorELNS0_4arch9wavefront6targetE1EEEvSY_.kd
    .uniform_work_group_size: 1
    .uses_dynamic_stack: false
    .vgpr_count:     0
    .vgpr_spill_count: 0
    .wavefront_size: 64
  - .args:
      - .offset:         0
        .size:           152
        .value_kind:     by_value
    .group_segment_fixed_size: 0
    .kernarg_segment_align: 8
    .kernarg_segment_size: 152
    .language:       OpenCL C
    .language_version:
      - 2
      - 0
    .max_flat_workgroup_size: 256
    .name:           _ZN7rocprim17ROCPRIM_400000_NS6detail17trampoline_kernelINS0_13select_configILj256ELj13ELNS0_17block_load_methodE3ELS4_3ELS4_3ELNS0_20block_scan_algorithmE0ELj4294967295EEENS1_25partition_config_selectorILNS1_17partition_subalgoE3EjNS0_10empty_typeEbEEZZNS1_14partition_implILS8_3ELb0ES6_jNS0_17counting_iteratorIjlEEPS9_SE_NS0_5tupleIJPjSE_EEENSF_IJSE_SE_EEES9_SG_JZNS1_25segmented_radix_sort_implINS0_14default_configELb0EPKsPsPKlPlN2at6native12_GLOBAL__N_18offset_tEEE10hipError_tPvRmT1_PNSt15iterator_traitsISY_E10value_typeET2_T3_PNSZ_IS14_E10value_typeET4_jRbjT5_S1A_jjP12ihipStream_tbEUljE_EEESV_SW_SX_S14_S18_S1A_T6_T7_T9_mT8_S1C_bDpT10_ENKUlT_T0_E_clISt17integral_constantIbLb1EES1P_EEDaS1K_S1L_EUlS1K_E_NS1_11comp_targetILNS1_3genE9ELNS1_11target_archE1100ELNS1_3gpuE3ELNS1_3repE0EEENS1_30default_config_static_selectorELNS0_4arch9wavefront6targetE1EEEvSY_
    .private_segment_fixed_size: 0
    .sgpr_count:     4
    .sgpr_spill_count: 0
    .symbol:         _ZN7rocprim17ROCPRIM_400000_NS6detail17trampoline_kernelINS0_13select_configILj256ELj13ELNS0_17block_load_methodE3ELS4_3ELS4_3ELNS0_20block_scan_algorithmE0ELj4294967295EEENS1_25partition_config_selectorILNS1_17partition_subalgoE3EjNS0_10empty_typeEbEEZZNS1_14partition_implILS8_3ELb0ES6_jNS0_17counting_iteratorIjlEEPS9_SE_NS0_5tupleIJPjSE_EEENSF_IJSE_SE_EEES9_SG_JZNS1_25segmented_radix_sort_implINS0_14default_configELb0EPKsPsPKlPlN2at6native12_GLOBAL__N_18offset_tEEE10hipError_tPvRmT1_PNSt15iterator_traitsISY_E10value_typeET2_T3_PNSZ_IS14_E10value_typeET4_jRbjT5_S1A_jjP12ihipStream_tbEUljE_EEESV_SW_SX_S14_S18_S1A_T6_T7_T9_mT8_S1C_bDpT10_ENKUlT_T0_E_clISt17integral_constantIbLb1EES1P_EEDaS1K_S1L_EUlS1K_E_NS1_11comp_targetILNS1_3genE9ELNS1_11target_archE1100ELNS1_3gpuE3ELNS1_3repE0EEENS1_30default_config_static_selectorELNS0_4arch9wavefront6targetE1EEEvSY_.kd
    .uniform_work_group_size: 1
    .uses_dynamic_stack: false
    .vgpr_count:     0
    .vgpr_spill_count: 0
    .wavefront_size: 64
  - .args:
      - .offset:         0
        .size:           152
        .value_kind:     by_value
    .group_segment_fixed_size: 0
    .kernarg_segment_align: 8
    .kernarg_segment_size: 152
    .language:       OpenCL C
    .language_version:
      - 2
      - 0
    .max_flat_workgroup_size: 256
    .name:           _ZN7rocprim17ROCPRIM_400000_NS6detail17trampoline_kernelINS0_13select_configILj256ELj13ELNS0_17block_load_methodE3ELS4_3ELS4_3ELNS0_20block_scan_algorithmE0ELj4294967295EEENS1_25partition_config_selectorILNS1_17partition_subalgoE3EjNS0_10empty_typeEbEEZZNS1_14partition_implILS8_3ELb0ES6_jNS0_17counting_iteratorIjlEEPS9_SE_NS0_5tupleIJPjSE_EEENSF_IJSE_SE_EEES9_SG_JZNS1_25segmented_radix_sort_implINS0_14default_configELb0EPKsPsPKlPlN2at6native12_GLOBAL__N_18offset_tEEE10hipError_tPvRmT1_PNSt15iterator_traitsISY_E10value_typeET2_T3_PNSZ_IS14_E10value_typeET4_jRbjT5_S1A_jjP12ihipStream_tbEUljE_EEESV_SW_SX_S14_S18_S1A_T6_T7_T9_mT8_S1C_bDpT10_ENKUlT_T0_E_clISt17integral_constantIbLb1EES1P_EEDaS1K_S1L_EUlS1K_E_NS1_11comp_targetILNS1_3genE8ELNS1_11target_archE1030ELNS1_3gpuE2ELNS1_3repE0EEENS1_30default_config_static_selectorELNS0_4arch9wavefront6targetE1EEEvSY_
    .private_segment_fixed_size: 0
    .sgpr_count:     4
    .sgpr_spill_count: 0
    .symbol:         _ZN7rocprim17ROCPRIM_400000_NS6detail17trampoline_kernelINS0_13select_configILj256ELj13ELNS0_17block_load_methodE3ELS4_3ELS4_3ELNS0_20block_scan_algorithmE0ELj4294967295EEENS1_25partition_config_selectorILNS1_17partition_subalgoE3EjNS0_10empty_typeEbEEZZNS1_14partition_implILS8_3ELb0ES6_jNS0_17counting_iteratorIjlEEPS9_SE_NS0_5tupleIJPjSE_EEENSF_IJSE_SE_EEES9_SG_JZNS1_25segmented_radix_sort_implINS0_14default_configELb0EPKsPsPKlPlN2at6native12_GLOBAL__N_18offset_tEEE10hipError_tPvRmT1_PNSt15iterator_traitsISY_E10value_typeET2_T3_PNSZ_IS14_E10value_typeET4_jRbjT5_S1A_jjP12ihipStream_tbEUljE_EEESV_SW_SX_S14_S18_S1A_T6_T7_T9_mT8_S1C_bDpT10_ENKUlT_T0_E_clISt17integral_constantIbLb1EES1P_EEDaS1K_S1L_EUlS1K_E_NS1_11comp_targetILNS1_3genE8ELNS1_11target_archE1030ELNS1_3gpuE2ELNS1_3repE0EEENS1_30default_config_static_selectorELNS0_4arch9wavefront6targetE1EEEvSY_.kd
    .uniform_work_group_size: 1
    .uses_dynamic_stack: false
    .vgpr_count:     0
    .vgpr_spill_count: 0
    .wavefront_size: 64
  - .args:
      - .offset:         0
        .size:           144
        .value_kind:     by_value
    .group_segment_fixed_size: 0
    .kernarg_segment_align: 8
    .kernarg_segment_size: 144
    .language:       OpenCL C
    .language_version:
      - 2
      - 0
    .max_flat_workgroup_size: 256
    .name:           _ZN7rocprim17ROCPRIM_400000_NS6detail17trampoline_kernelINS0_13select_configILj256ELj13ELNS0_17block_load_methodE3ELS4_3ELS4_3ELNS0_20block_scan_algorithmE0ELj4294967295EEENS1_25partition_config_selectorILNS1_17partition_subalgoE3EjNS0_10empty_typeEbEEZZNS1_14partition_implILS8_3ELb0ES6_jNS0_17counting_iteratorIjlEEPS9_SE_NS0_5tupleIJPjSE_EEENSF_IJSE_SE_EEES9_SG_JZNS1_25segmented_radix_sort_implINS0_14default_configELb0EPKsPsPKlPlN2at6native12_GLOBAL__N_18offset_tEEE10hipError_tPvRmT1_PNSt15iterator_traitsISY_E10value_typeET2_T3_PNSZ_IS14_E10value_typeET4_jRbjT5_S1A_jjP12ihipStream_tbEUljE_EEESV_SW_SX_S14_S18_S1A_T6_T7_T9_mT8_S1C_bDpT10_ENKUlT_T0_E_clISt17integral_constantIbLb1EES1O_IbLb0EEEEDaS1K_S1L_EUlS1K_E_NS1_11comp_targetILNS1_3genE0ELNS1_11target_archE4294967295ELNS1_3gpuE0ELNS1_3repE0EEENS1_30default_config_static_selectorELNS0_4arch9wavefront6targetE1EEEvSY_
    .private_segment_fixed_size: 0
    .sgpr_count:     4
    .sgpr_spill_count: 0
    .symbol:         _ZN7rocprim17ROCPRIM_400000_NS6detail17trampoline_kernelINS0_13select_configILj256ELj13ELNS0_17block_load_methodE3ELS4_3ELS4_3ELNS0_20block_scan_algorithmE0ELj4294967295EEENS1_25partition_config_selectorILNS1_17partition_subalgoE3EjNS0_10empty_typeEbEEZZNS1_14partition_implILS8_3ELb0ES6_jNS0_17counting_iteratorIjlEEPS9_SE_NS0_5tupleIJPjSE_EEENSF_IJSE_SE_EEES9_SG_JZNS1_25segmented_radix_sort_implINS0_14default_configELb0EPKsPsPKlPlN2at6native12_GLOBAL__N_18offset_tEEE10hipError_tPvRmT1_PNSt15iterator_traitsISY_E10value_typeET2_T3_PNSZ_IS14_E10value_typeET4_jRbjT5_S1A_jjP12ihipStream_tbEUljE_EEESV_SW_SX_S14_S18_S1A_T6_T7_T9_mT8_S1C_bDpT10_ENKUlT_T0_E_clISt17integral_constantIbLb1EES1O_IbLb0EEEEDaS1K_S1L_EUlS1K_E_NS1_11comp_targetILNS1_3genE0ELNS1_11target_archE4294967295ELNS1_3gpuE0ELNS1_3repE0EEENS1_30default_config_static_selectorELNS0_4arch9wavefront6targetE1EEEvSY_.kd
    .uniform_work_group_size: 1
    .uses_dynamic_stack: false
    .vgpr_count:     0
    .vgpr_spill_count: 0
    .wavefront_size: 64
  - .args:
      - .offset:         0
        .size:           144
        .value_kind:     by_value
    .group_segment_fixed_size: 0
    .kernarg_segment_align: 8
    .kernarg_segment_size: 144
    .language:       OpenCL C
    .language_version:
      - 2
      - 0
    .max_flat_workgroup_size: 256
    .name:           _ZN7rocprim17ROCPRIM_400000_NS6detail17trampoline_kernelINS0_13select_configILj256ELj13ELNS0_17block_load_methodE3ELS4_3ELS4_3ELNS0_20block_scan_algorithmE0ELj4294967295EEENS1_25partition_config_selectorILNS1_17partition_subalgoE3EjNS0_10empty_typeEbEEZZNS1_14partition_implILS8_3ELb0ES6_jNS0_17counting_iteratorIjlEEPS9_SE_NS0_5tupleIJPjSE_EEENSF_IJSE_SE_EEES9_SG_JZNS1_25segmented_radix_sort_implINS0_14default_configELb0EPKsPsPKlPlN2at6native12_GLOBAL__N_18offset_tEEE10hipError_tPvRmT1_PNSt15iterator_traitsISY_E10value_typeET2_T3_PNSZ_IS14_E10value_typeET4_jRbjT5_S1A_jjP12ihipStream_tbEUljE_EEESV_SW_SX_S14_S18_S1A_T6_T7_T9_mT8_S1C_bDpT10_ENKUlT_T0_E_clISt17integral_constantIbLb1EES1O_IbLb0EEEEDaS1K_S1L_EUlS1K_E_NS1_11comp_targetILNS1_3genE5ELNS1_11target_archE942ELNS1_3gpuE9ELNS1_3repE0EEENS1_30default_config_static_selectorELNS0_4arch9wavefront6targetE1EEEvSY_
    .private_segment_fixed_size: 0
    .sgpr_count:     4
    .sgpr_spill_count: 0
    .symbol:         _ZN7rocprim17ROCPRIM_400000_NS6detail17trampoline_kernelINS0_13select_configILj256ELj13ELNS0_17block_load_methodE3ELS4_3ELS4_3ELNS0_20block_scan_algorithmE0ELj4294967295EEENS1_25partition_config_selectorILNS1_17partition_subalgoE3EjNS0_10empty_typeEbEEZZNS1_14partition_implILS8_3ELb0ES6_jNS0_17counting_iteratorIjlEEPS9_SE_NS0_5tupleIJPjSE_EEENSF_IJSE_SE_EEES9_SG_JZNS1_25segmented_radix_sort_implINS0_14default_configELb0EPKsPsPKlPlN2at6native12_GLOBAL__N_18offset_tEEE10hipError_tPvRmT1_PNSt15iterator_traitsISY_E10value_typeET2_T3_PNSZ_IS14_E10value_typeET4_jRbjT5_S1A_jjP12ihipStream_tbEUljE_EEESV_SW_SX_S14_S18_S1A_T6_T7_T9_mT8_S1C_bDpT10_ENKUlT_T0_E_clISt17integral_constantIbLb1EES1O_IbLb0EEEEDaS1K_S1L_EUlS1K_E_NS1_11comp_targetILNS1_3genE5ELNS1_11target_archE942ELNS1_3gpuE9ELNS1_3repE0EEENS1_30default_config_static_selectorELNS0_4arch9wavefront6targetE1EEEvSY_.kd
    .uniform_work_group_size: 1
    .uses_dynamic_stack: false
    .vgpr_count:     0
    .vgpr_spill_count: 0
    .wavefront_size: 64
  - .args:
      - .offset:         0
        .size:           144
        .value_kind:     by_value
    .group_segment_fixed_size: 0
    .kernarg_segment_align: 8
    .kernarg_segment_size: 144
    .language:       OpenCL C
    .language_version:
      - 2
      - 0
    .max_flat_workgroup_size: 256
    .name:           _ZN7rocprim17ROCPRIM_400000_NS6detail17trampoline_kernelINS0_13select_configILj256ELj13ELNS0_17block_load_methodE3ELS4_3ELS4_3ELNS0_20block_scan_algorithmE0ELj4294967295EEENS1_25partition_config_selectorILNS1_17partition_subalgoE3EjNS0_10empty_typeEbEEZZNS1_14partition_implILS8_3ELb0ES6_jNS0_17counting_iteratorIjlEEPS9_SE_NS0_5tupleIJPjSE_EEENSF_IJSE_SE_EEES9_SG_JZNS1_25segmented_radix_sort_implINS0_14default_configELb0EPKsPsPKlPlN2at6native12_GLOBAL__N_18offset_tEEE10hipError_tPvRmT1_PNSt15iterator_traitsISY_E10value_typeET2_T3_PNSZ_IS14_E10value_typeET4_jRbjT5_S1A_jjP12ihipStream_tbEUljE_EEESV_SW_SX_S14_S18_S1A_T6_T7_T9_mT8_S1C_bDpT10_ENKUlT_T0_E_clISt17integral_constantIbLb1EES1O_IbLb0EEEEDaS1K_S1L_EUlS1K_E_NS1_11comp_targetILNS1_3genE4ELNS1_11target_archE910ELNS1_3gpuE8ELNS1_3repE0EEENS1_30default_config_static_selectorELNS0_4arch9wavefront6targetE1EEEvSY_
    .private_segment_fixed_size: 0
    .sgpr_count:     4
    .sgpr_spill_count: 0
    .symbol:         _ZN7rocprim17ROCPRIM_400000_NS6detail17trampoline_kernelINS0_13select_configILj256ELj13ELNS0_17block_load_methodE3ELS4_3ELS4_3ELNS0_20block_scan_algorithmE0ELj4294967295EEENS1_25partition_config_selectorILNS1_17partition_subalgoE3EjNS0_10empty_typeEbEEZZNS1_14partition_implILS8_3ELb0ES6_jNS0_17counting_iteratorIjlEEPS9_SE_NS0_5tupleIJPjSE_EEENSF_IJSE_SE_EEES9_SG_JZNS1_25segmented_radix_sort_implINS0_14default_configELb0EPKsPsPKlPlN2at6native12_GLOBAL__N_18offset_tEEE10hipError_tPvRmT1_PNSt15iterator_traitsISY_E10value_typeET2_T3_PNSZ_IS14_E10value_typeET4_jRbjT5_S1A_jjP12ihipStream_tbEUljE_EEESV_SW_SX_S14_S18_S1A_T6_T7_T9_mT8_S1C_bDpT10_ENKUlT_T0_E_clISt17integral_constantIbLb1EES1O_IbLb0EEEEDaS1K_S1L_EUlS1K_E_NS1_11comp_targetILNS1_3genE4ELNS1_11target_archE910ELNS1_3gpuE8ELNS1_3repE0EEENS1_30default_config_static_selectorELNS0_4arch9wavefront6targetE1EEEvSY_.kd
    .uniform_work_group_size: 1
    .uses_dynamic_stack: false
    .vgpr_count:     0
    .vgpr_spill_count: 0
    .wavefront_size: 64
  - .args:
      - .offset:         0
        .size:           144
        .value_kind:     by_value
    .group_segment_fixed_size: 0
    .kernarg_segment_align: 8
    .kernarg_segment_size: 144
    .language:       OpenCL C
    .language_version:
      - 2
      - 0
    .max_flat_workgroup_size: 256
    .name:           _ZN7rocprim17ROCPRIM_400000_NS6detail17trampoline_kernelINS0_13select_configILj256ELj13ELNS0_17block_load_methodE3ELS4_3ELS4_3ELNS0_20block_scan_algorithmE0ELj4294967295EEENS1_25partition_config_selectorILNS1_17partition_subalgoE3EjNS0_10empty_typeEbEEZZNS1_14partition_implILS8_3ELb0ES6_jNS0_17counting_iteratorIjlEEPS9_SE_NS0_5tupleIJPjSE_EEENSF_IJSE_SE_EEES9_SG_JZNS1_25segmented_radix_sort_implINS0_14default_configELb0EPKsPsPKlPlN2at6native12_GLOBAL__N_18offset_tEEE10hipError_tPvRmT1_PNSt15iterator_traitsISY_E10value_typeET2_T3_PNSZ_IS14_E10value_typeET4_jRbjT5_S1A_jjP12ihipStream_tbEUljE_EEESV_SW_SX_S14_S18_S1A_T6_T7_T9_mT8_S1C_bDpT10_ENKUlT_T0_E_clISt17integral_constantIbLb1EES1O_IbLb0EEEEDaS1K_S1L_EUlS1K_E_NS1_11comp_targetILNS1_3genE3ELNS1_11target_archE908ELNS1_3gpuE7ELNS1_3repE0EEENS1_30default_config_static_selectorELNS0_4arch9wavefront6targetE1EEEvSY_
    .private_segment_fixed_size: 0
    .sgpr_count:     4
    .sgpr_spill_count: 0
    .symbol:         _ZN7rocprim17ROCPRIM_400000_NS6detail17trampoline_kernelINS0_13select_configILj256ELj13ELNS0_17block_load_methodE3ELS4_3ELS4_3ELNS0_20block_scan_algorithmE0ELj4294967295EEENS1_25partition_config_selectorILNS1_17partition_subalgoE3EjNS0_10empty_typeEbEEZZNS1_14partition_implILS8_3ELb0ES6_jNS0_17counting_iteratorIjlEEPS9_SE_NS0_5tupleIJPjSE_EEENSF_IJSE_SE_EEES9_SG_JZNS1_25segmented_radix_sort_implINS0_14default_configELb0EPKsPsPKlPlN2at6native12_GLOBAL__N_18offset_tEEE10hipError_tPvRmT1_PNSt15iterator_traitsISY_E10value_typeET2_T3_PNSZ_IS14_E10value_typeET4_jRbjT5_S1A_jjP12ihipStream_tbEUljE_EEESV_SW_SX_S14_S18_S1A_T6_T7_T9_mT8_S1C_bDpT10_ENKUlT_T0_E_clISt17integral_constantIbLb1EES1O_IbLb0EEEEDaS1K_S1L_EUlS1K_E_NS1_11comp_targetILNS1_3genE3ELNS1_11target_archE908ELNS1_3gpuE7ELNS1_3repE0EEENS1_30default_config_static_selectorELNS0_4arch9wavefront6targetE1EEEvSY_.kd
    .uniform_work_group_size: 1
    .uses_dynamic_stack: false
    .vgpr_count:     0
    .vgpr_spill_count: 0
    .wavefront_size: 64
  - .args:
      - .offset:         0
        .size:           144
        .value_kind:     by_value
    .group_segment_fixed_size: 0
    .kernarg_segment_align: 8
    .kernarg_segment_size: 144
    .language:       OpenCL C
    .language_version:
      - 2
      - 0
    .max_flat_workgroup_size: 256
    .name:           _ZN7rocprim17ROCPRIM_400000_NS6detail17trampoline_kernelINS0_13select_configILj256ELj13ELNS0_17block_load_methodE3ELS4_3ELS4_3ELNS0_20block_scan_algorithmE0ELj4294967295EEENS1_25partition_config_selectorILNS1_17partition_subalgoE3EjNS0_10empty_typeEbEEZZNS1_14partition_implILS8_3ELb0ES6_jNS0_17counting_iteratorIjlEEPS9_SE_NS0_5tupleIJPjSE_EEENSF_IJSE_SE_EEES9_SG_JZNS1_25segmented_radix_sort_implINS0_14default_configELb0EPKsPsPKlPlN2at6native12_GLOBAL__N_18offset_tEEE10hipError_tPvRmT1_PNSt15iterator_traitsISY_E10value_typeET2_T3_PNSZ_IS14_E10value_typeET4_jRbjT5_S1A_jjP12ihipStream_tbEUljE_EEESV_SW_SX_S14_S18_S1A_T6_T7_T9_mT8_S1C_bDpT10_ENKUlT_T0_E_clISt17integral_constantIbLb1EES1O_IbLb0EEEEDaS1K_S1L_EUlS1K_E_NS1_11comp_targetILNS1_3genE2ELNS1_11target_archE906ELNS1_3gpuE6ELNS1_3repE0EEENS1_30default_config_static_selectorELNS0_4arch9wavefront6targetE1EEEvSY_
    .private_segment_fixed_size: 0
    .sgpr_count:     4
    .sgpr_spill_count: 0
    .symbol:         _ZN7rocprim17ROCPRIM_400000_NS6detail17trampoline_kernelINS0_13select_configILj256ELj13ELNS0_17block_load_methodE3ELS4_3ELS4_3ELNS0_20block_scan_algorithmE0ELj4294967295EEENS1_25partition_config_selectorILNS1_17partition_subalgoE3EjNS0_10empty_typeEbEEZZNS1_14partition_implILS8_3ELb0ES6_jNS0_17counting_iteratorIjlEEPS9_SE_NS0_5tupleIJPjSE_EEENSF_IJSE_SE_EEES9_SG_JZNS1_25segmented_radix_sort_implINS0_14default_configELb0EPKsPsPKlPlN2at6native12_GLOBAL__N_18offset_tEEE10hipError_tPvRmT1_PNSt15iterator_traitsISY_E10value_typeET2_T3_PNSZ_IS14_E10value_typeET4_jRbjT5_S1A_jjP12ihipStream_tbEUljE_EEESV_SW_SX_S14_S18_S1A_T6_T7_T9_mT8_S1C_bDpT10_ENKUlT_T0_E_clISt17integral_constantIbLb1EES1O_IbLb0EEEEDaS1K_S1L_EUlS1K_E_NS1_11comp_targetILNS1_3genE2ELNS1_11target_archE906ELNS1_3gpuE6ELNS1_3repE0EEENS1_30default_config_static_selectorELNS0_4arch9wavefront6targetE1EEEvSY_.kd
    .uniform_work_group_size: 1
    .uses_dynamic_stack: false
    .vgpr_count:     0
    .vgpr_spill_count: 0
    .wavefront_size: 64
  - .args:
      - .offset:         0
        .size:           144
        .value_kind:     by_value
    .group_segment_fixed_size: 0
    .kernarg_segment_align: 8
    .kernarg_segment_size: 144
    .language:       OpenCL C
    .language_version:
      - 2
      - 0
    .max_flat_workgroup_size: 256
    .name:           _ZN7rocprim17ROCPRIM_400000_NS6detail17trampoline_kernelINS0_13select_configILj256ELj13ELNS0_17block_load_methodE3ELS4_3ELS4_3ELNS0_20block_scan_algorithmE0ELj4294967295EEENS1_25partition_config_selectorILNS1_17partition_subalgoE3EjNS0_10empty_typeEbEEZZNS1_14partition_implILS8_3ELb0ES6_jNS0_17counting_iteratorIjlEEPS9_SE_NS0_5tupleIJPjSE_EEENSF_IJSE_SE_EEES9_SG_JZNS1_25segmented_radix_sort_implINS0_14default_configELb0EPKsPsPKlPlN2at6native12_GLOBAL__N_18offset_tEEE10hipError_tPvRmT1_PNSt15iterator_traitsISY_E10value_typeET2_T3_PNSZ_IS14_E10value_typeET4_jRbjT5_S1A_jjP12ihipStream_tbEUljE_EEESV_SW_SX_S14_S18_S1A_T6_T7_T9_mT8_S1C_bDpT10_ENKUlT_T0_E_clISt17integral_constantIbLb1EES1O_IbLb0EEEEDaS1K_S1L_EUlS1K_E_NS1_11comp_targetILNS1_3genE10ELNS1_11target_archE1200ELNS1_3gpuE4ELNS1_3repE0EEENS1_30default_config_static_selectorELNS0_4arch9wavefront6targetE1EEEvSY_
    .private_segment_fixed_size: 0
    .sgpr_count:     4
    .sgpr_spill_count: 0
    .symbol:         _ZN7rocprim17ROCPRIM_400000_NS6detail17trampoline_kernelINS0_13select_configILj256ELj13ELNS0_17block_load_methodE3ELS4_3ELS4_3ELNS0_20block_scan_algorithmE0ELj4294967295EEENS1_25partition_config_selectorILNS1_17partition_subalgoE3EjNS0_10empty_typeEbEEZZNS1_14partition_implILS8_3ELb0ES6_jNS0_17counting_iteratorIjlEEPS9_SE_NS0_5tupleIJPjSE_EEENSF_IJSE_SE_EEES9_SG_JZNS1_25segmented_radix_sort_implINS0_14default_configELb0EPKsPsPKlPlN2at6native12_GLOBAL__N_18offset_tEEE10hipError_tPvRmT1_PNSt15iterator_traitsISY_E10value_typeET2_T3_PNSZ_IS14_E10value_typeET4_jRbjT5_S1A_jjP12ihipStream_tbEUljE_EEESV_SW_SX_S14_S18_S1A_T6_T7_T9_mT8_S1C_bDpT10_ENKUlT_T0_E_clISt17integral_constantIbLb1EES1O_IbLb0EEEEDaS1K_S1L_EUlS1K_E_NS1_11comp_targetILNS1_3genE10ELNS1_11target_archE1200ELNS1_3gpuE4ELNS1_3repE0EEENS1_30default_config_static_selectorELNS0_4arch9wavefront6targetE1EEEvSY_.kd
    .uniform_work_group_size: 1
    .uses_dynamic_stack: false
    .vgpr_count:     0
    .vgpr_spill_count: 0
    .wavefront_size: 64
  - .args:
      - .offset:         0
        .size:           144
        .value_kind:     by_value
    .group_segment_fixed_size: 0
    .kernarg_segment_align: 8
    .kernarg_segment_size: 144
    .language:       OpenCL C
    .language_version:
      - 2
      - 0
    .max_flat_workgroup_size: 256
    .name:           _ZN7rocprim17ROCPRIM_400000_NS6detail17trampoline_kernelINS0_13select_configILj256ELj13ELNS0_17block_load_methodE3ELS4_3ELS4_3ELNS0_20block_scan_algorithmE0ELj4294967295EEENS1_25partition_config_selectorILNS1_17partition_subalgoE3EjNS0_10empty_typeEbEEZZNS1_14partition_implILS8_3ELb0ES6_jNS0_17counting_iteratorIjlEEPS9_SE_NS0_5tupleIJPjSE_EEENSF_IJSE_SE_EEES9_SG_JZNS1_25segmented_radix_sort_implINS0_14default_configELb0EPKsPsPKlPlN2at6native12_GLOBAL__N_18offset_tEEE10hipError_tPvRmT1_PNSt15iterator_traitsISY_E10value_typeET2_T3_PNSZ_IS14_E10value_typeET4_jRbjT5_S1A_jjP12ihipStream_tbEUljE_EEESV_SW_SX_S14_S18_S1A_T6_T7_T9_mT8_S1C_bDpT10_ENKUlT_T0_E_clISt17integral_constantIbLb1EES1O_IbLb0EEEEDaS1K_S1L_EUlS1K_E_NS1_11comp_targetILNS1_3genE9ELNS1_11target_archE1100ELNS1_3gpuE3ELNS1_3repE0EEENS1_30default_config_static_selectorELNS0_4arch9wavefront6targetE1EEEvSY_
    .private_segment_fixed_size: 0
    .sgpr_count:     4
    .sgpr_spill_count: 0
    .symbol:         _ZN7rocprim17ROCPRIM_400000_NS6detail17trampoline_kernelINS0_13select_configILj256ELj13ELNS0_17block_load_methodE3ELS4_3ELS4_3ELNS0_20block_scan_algorithmE0ELj4294967295EEENS1_25partition_config_selectorILNS1_17partition_subalgoE3EjNS0_10empty_typeEbEEZZNS1_14partition_implILS8_3ELb0ES6_jNS0_17counting_iteratorIjlEEPS9_SE_NS0_5tupleIJPjSE_EEENSF_IJSE_SE_EEES9_SG_JZNS1_25segmented_radix_sort_implINS0_14default_configELb0EPKsPsPKlPlN2at6native12_GLOBAL__N_18offset_tEEE10hipError_tPvRmT1_PNSt15iterator_traitsISY_E10value_typeET2_T3_PNSZ_IS14_E10value_typeET4_jRbjT5_S1A_jjP12ihipStream_tbEUljE_EEESV_SW_SX_S14_S18_S1A_T6_T7_T9_mT8_S1C_bDpT10_ENKUlT_T0_E_clISt17integral_constantIbLb1EES1O_IbLb0EEEEDaS1K_S1L_EUlS1K_E_NS1_11comp_targetILNS1_3genE9ELNS1_11target_archE1100ELNS1_3gpuE3ELNS1_3repE0EEENS1_30default_config_static_selectorELNS0_4arch9wavefront6targetE1EEEvSY_.kd
    .uniform_work_group_size: 1
    .uses_dynamic_stack: false
    .vgpr_count:     0
    .vgpr_spill_count: 0
    .wavefront_size: 64
  - .args:
      - .offset:         0
        .size:           144
        .value_kind:     by_value
    .group_segment_fixed_size: 0
    .kernarg_segment_align: 8
    .kernarg_segment_size: 144
    .language:       OpenCL C
    .language_version:
      - 2
      - 0
    .max_flat_workgroup_size: 256
    .name:           _ZN7rocprim17ROCPRIM_400000_NS6detail17trampoline_kernelINS0_13select_configILj256ELj13ELNS0_17block_load_methodE3ELS4_3ELS4_3ELNS0_20block_scan_algorithmE0ELj4294967295EEENS1_25partition_config_selectorILNS1_17partition_subalgoE3EjNS0_10empty_typeEbEEZZNS1_14partition_implILS8_3ELb0ES6_jNS0_17counting_iteratorIjlEEPS9_SE_NS0_5tupleIJPjSE_EEENSF_IJSE_SE_EEES9_SG_JZNS1_25segmented_radix_sort_implINS0_14default_configELb0EPKsPsPKlPlN2at6native12_GLOBAL__N_18offset_tEEE10hipError_tPvRmT1_PNSt15iterator_traitsISY_E10value_typeET2_T3_PNSZ_IS14_E10value_typeET4_jRbjT5_S1A_jjP12ihipStream_tbEUljE_EEESV_SW_SX_S14_S18_S1A_T6_T7_T9_mT8_S1C_bDpT10_ENKUlT_T0_E_clISt17integral_constantIbLb1EES1O_IbLb0EEEEDaS1K_S1L_EUlS1K_E_NS1_11comp_targetILNS1_3genE8ELNS1_11target_archE1030ELNS1_3gpuE2ELNS1_3repE0EEENS1_30default_config_static_selectorELNS0_4arch9wavefront6targetE1EEEvSY_
    .private_segment_fixed_size: 0
    .sgpr_count:     4
    .sgpr_spill_count: 0
    .symbol:         _ZN7rocprim17ROCPRIM_400000_NS6detail17trampoline_kernelINS0_13select_configILj256ELj13ELNS0_17block_load_methodE3ELS4_3ELS4_3ELNS0_20block_scan_algorithmE0ELj4294967295EEENS1_25partition_config_selectorILNS1_17partition_subalgoE3EjNS0_10empty_typeEbEEZZNS1_14partition_implILS8_3ELb0ES6_jNS0_17counting_iteratorIjlEEPS9_SE_NS0_5tupleIJPjSE_EEENSF_IJSE_SE_EEES9_SG_JZNS1_25segmented_radix_sort_implINS0_14default_configELb0EPKsPsPKlPlN2at6native12_GLOBAL__N_18offset_tEEE10hipError_tPvRmT1_PNSt15iterator_traitsISY_E10value_typeET2_T3_PNSZ_IS14_E10value_typeET4_jRbjT5_S1A_jjP12ihipStream_tbEUljE_EEESV_SW_SX_S14_S18_S1A_T6_T7_T9_mT8_S1C_bDpT10_ENKUlT_T0_E_clISt17integral_constantIbLb1EES1O_IbLb0EEEEDaS1K_S1L_EUlS1K_E_NS1_11comp_targetILNS1_3genE8ELNS1_11target_archE1030ELNS1_3gpuE2ELNS1_3repE0EEENS1_30default_config_static_selectorELNS0_4arch9wavefront6targetE1EEEvSY_.kd
    .uniform_work_group_size: 1
    .uses_dynamic_stack: false
    .vgpr_count:     0
    .vgpr_spill_count: 0
    .wavefront_size: 64
  - .args:
      - .offset:         0
        .size:           152
        .value_kind:     by_value
    .group_segment_fixed_size: 0
    .kernarg_segment_align: 8
    .kernarg_segment_size: 152
    .language:       OpenCL C
    .language_version:
      - 2
      - 0
    .max_flat_workgroup_size: 256
    .name:           _ZN7rocprim17ROCPRIM_400000_NS6detail17trampoline_kernelINS0_13select_configILj256ELj13ELNS0_17block_load_methodE3ELS4_3ELS4_3ELNS0_20block_scan_algorithmE0ELj4294967295EEENS1_25partition_config_selectorILNS1_17partition_subalgoE3EjNS0_10empty_typeEbEEZZNS1_14partition_implILS8_3ELb0ES6_jNS0_17counting_iteratorIjlEEPS9_SE_NS0_5tupleIJPjSE_EEENSF_IJSE_SE_EEES9_SG_JZNS1_25segmented_radix_sort_implINS0_14default_configELb0EPKsPsPKlPlN2at6native12_GLOBAL__N_18offset_tEEE10hipError_tPvRmT1_PNSt15iterator_traitsISY_E10value_typeET2_T3_PNSZ_IS14_E10value_typeET4_jRbjT5_S1A_jjP12ihipStream_tbEUljE_EEESV_SW_SX_S14_S18_S1A_T6_T7_T9_mT8_S1C_bDpT10_ENKUlT_T0_E_clISt17integral_constantIbLb0EES1O_IbLb1EEEEDaS1K_S1L_EUlS1K_E_NS1_11comp_targetILNS1_3genE0ELNS1_11target_archE4294967295ELNS1_3gpuE0ELNS1_3repE0EEENS1_30default_config_static_selectorELNS0_4arch9wavefront6targetE1EEEvSY_
    .private_segment_fixed_size: 0
    .sgpr_count:     4
    .sgpr_spill_count: 0
    .symbol:         _ZN7rocprim17ROCPRIM_400000_NS6detail17trampoline_kernelINS0_13select_configILj256ELj13ELNS0_17block_load_methodE3ELS4_3ELS4_3ELNS0_20block_scan_algorithmE0ELj4294967295EEENS1_25partition_config_selectorILNS1_17partition_subalgoE3EjNS0_10empty_typeEbEEZZNS1_14partition_implILS8_3ELb0ES6_jNS0_17counting_iteratorIjlEEPS9_SE_NS0_5tupleIJPjSE_EEENSF_IJSE_SE_EEES9_SG_JZNS1_25segmented_radix_sort_implINS0_14default_configELb0EPKsPsPKlPlN2at6native12_GLOBAL__N_18offset_tEEE10hipError_tPvRmT1_PNSt15iterator_traitsISY_E10value_typeET2_T3_PNSZ_IS14_E10value_typeET4_jRbjT5_S1A_jjP12ihipStream_tbEUljE_EEESV_SW_SX_S14_S18_S1A_T6_T7_T9_mT8_S1C_bDpT10_ENKUlT_T0_E_clISt17integral_constantIbLb0EES1O_IbLb1EEEEDaS1K_S1L_EUlS1K_E_NS1_11comp_targetILNS1_3genE0ELNS1_11target_archE4294967295ELNS1_3gpuE0ELNS1_3repE0EEENS1_30default_config_static_selectorELNS0_4arch9wavefront6targetE1EEEvSY_.kd
    .uniform_work_group_size: 1
    .uses_dynamic_stack: false
    .vgpr_count:     0
    .vgpr_spill_count: 0
    .wavefront_size: 64
  - .args:
      - .offset:         0
        .size:           152
        .value_kind:     by_value
    .group_segment_fixed_size: 0
    .kernarg_segment_align: 8
    .kernarg_segment_size: 152
    .language:       OpenCL C
    .language_version:
      - 2
      - 0
    .max_flat_workgroup_size: 256
    .name:           _ZN7rocprim17ROCPRIM_400000_NS6detail17trampoline_kernelINS0_13select_configILj256ELj13ELNS0_17block_load_methodE3ELS4_3ELS4_3ELNS0_20block_scan_algorithmE0ELj4294967295EEENS1_25partition_config_selectorILNS1_17partition_subalgoE3EjNS0_10empty_typeEbEEZZNS1_14partition_implILS8_3ELb0ES6_jNS0_17counting_iteratorIjlEEPS9_SE_NS0_5tupleIJPjSE_EEENSF_IJSE_SE_EEES9_SG_JZNS1_25segmented_radix_sort_implINS0_14default_configELb0EPKsPsPKlPlN2at6native12_GLOBAL__N_18offset_tEEE10hipError_tPvRmT1_PNSt15iterator_traitsISY_E10value_typeET2_T3_PNSZ_IS14_E10value_typeET4_jRbjT5_S1A_jjP12ihipStream_tbEUljE_EEESV_SW_SX_S14_S18_S1A_T6_T7_T9_mT8_S1C_bDpT10_ENKUlT_T0_E_clISt17integral_constantIbLb0EES1O_IbLb1EEEEDaS1K_S1L_EUlS1K_E_NS1_11comp_targetILNS1_3genE5ELNS1_11target_archE942ELNS1_3gpuE9ELNS1_3repE0EEENS1_30default_config_static_selectorELNS0_4arch9wavefront6targetE1EEEvSY_
    .private_segment_fixed_size: 0
    .sgpr_count:     4
    .sgpr_spill_count: 0
    .symbol:         _ZN7rocprim17ROCPRIM_400000_NS6detail17trampoline_kernelINS0_13select_configILj256ELj13ELNS0_17block_load_methodE3ELS4_3ELS4_3ELNS0_20block_scan_algorithmE0ELj4294967295EEENS1_25partition_config_selectorILNS1_17partition_subalgoE3EjNS0_10empty_typeEbEEZZNS1_14partition_implILS8_3ELb0ES6_jNS0_17counting_iteratorIjlEEPS9_SE_NS0_5tupleIJPjSE_EEENSF_IJSE_SE_EEES9_SG_JZNS1_25segmented_radix_sort_implINS0_14default_configELb0EPKsPsPKlPlN2at6native12_GLOBAL__N_18offset_tEEE10hipError_tPvRmT1_PNSt15iterator_traitsISY_E10value_typeET2_T3_PNSZ_IS14_E10value_typeET4_jRbjT5_S1A_jjP12ihipStream_tbEUljE_EEESV_SW_SX_S14_S18_S1A_T6_T7_T9_mT8_S1C_bDpT10_ENKUlT_T0_E_clISt17integral_constantIbLb0EES1O_IbLb1EEEEDaS1K_S1L_EUlS1K_E_NS1_11comp_targetILNS1_3genE5ELNS1_11target_archE942ELNS1_3gpuE9ELNS1_3repE0EEENS1_30default_config_static_selectorELNS0_4arch9wavefront6targetE1EEEvSY_.kd
    .uniform_work_group_size: 1
    .uses_dynamic_stack: false
    .vgpr_count:     0
    .vgpr_spill_count: 0
    .wavefront_size: 64
  - .args:
      - .offset:         0
        .size:           152
        .value_kind:     by_value
    .group_segment_fixed_size: 0
    .kernarg_segment_align: 8
    .kernarg_segment_size: 152
    .language:       OpenCL C
    .language_version:
      - 2
      - 0
    .max_flat_workgroup_size: 256
    .name:           _ZN7rocprim17ROCPRIM_400000_NS6detail17trampoline_kernelINS0_13select_configILj256ELj13ELNS0_17block_load_methodE3ELS4_3ELS4_3ELNS0_20block_scan_algorithmE0ELj4294967295EEENS1_25partition_config_selectorILNS1_17partition_subalgoE3EjNS0_10empty_typeEbEEZZNS1_14partition_implILS8_3ELb0ES6_jNS0_17counting_iteratorIjlEEPS9_SE_NS0_5tupleIJPjSE_EEENSF_IJSE_SE_EEES9_SG_JZNS1_25segmented_radix_sort_implINS0_14default_configELb0EPKsPsPKlPlN2at6native12_GLOBAL__N_18offset_tEEE10hipError_tPvRmT1_PNSt15iterator_traitsISY_E10value_typeET2_T3_PNSZ_IS14_E10value_typeET4_jRbjT5_S1A_jjP12ihipStream_tbEUljE_EEESV_SW_SX_S14_S18_S1A_T6_T7_T9_mT8_S1C_bDpT10_ENKUlT_T0_E_clISt17integral_constantIbLb0EES1O_IbLb1EEEEDaS1K_S1L_EUlS1K_E_NS1_11comp_targetILNS1_3genE4ELNS1_11target_archE910ELNS1_3gpuE8ELNS1_3repE0EEENS1_30default_config_static_selectorELNS0_4arch9wavefront6targetE1EEEvSY_
    .private_segment_fixed_size: 0
    .sgpr_count:     4
    .sgpr_spill_count: 0
    .symbol:         _ZN7rocprim17ROCPRIM_400000_NS6detail17trampoline_kernelINS0_13select_configILj256ELj13ELNS0_17block_load_methodE3ELS4_3ELS4_3ELNS0_20block_scan_algorithmE0ELj4294967295EEENS1_25partition_config_selectorILNS1_17partition_subalgoE3EjNS0_10empty_typeEbEEZZNS1_14partition_implILS8_3ELb0ES6_jNS0_17counting_iteratorIjlEEPS9_SE_NS0_5tupleIJPjSE_EEENSF_IJSE_SE_EEES9_SG_JZNS1_25segmented_radix_sort_implINS0_14default_configELb0EPKsPsPKlPlN2at6native12_GLOBAL__N_18offset_tEEE10hipError_tPvRmT1_PNSt15iterator_traitsISY_E10value_typeET2_T3_PNSZ_IS14_E10value_typeET4_jRbjT5_S1A_jjP12ihipStream_tbEUljE_EEESV_SW_SX_S14_S18_S1A_T6_T7_T9_mT8_S1C_bDpT10_ENKUlT_T0_E_clISt17integral_constantIbLb0EES1O_IbLb1EEEEDaS1K_S1L_EUlS1K_E_NS1_11comp_targetILNS1_3genE4ELNS1_11target_archE910ELNS1_3gpuE8ELNS1_3repE0EEENS1_30default_config_static_selectorELNS0_4arch9wavefront6targetE1EEEvSY_.kd
    .uniform_work_group_size: 1
    .uses_dynamic_stack: false
    .vgpr_count:     0
    .vgpr_spill_count: 0
    .wavefront_size: 64
  - .args:
      - .offset:         0
        .size:           152
        .value_kind:     by_value
    .group_segment_fixed_size: 0
    .kernarg_segment_align: 8
    .kernarg_segment_size: 152
    .language:       OpenCL C
    .language_version:
      - 2
      - 0
    .max_flat_workgroup_size: 256
    .name:           _ZN7rocprim17ROCPRIM_400000_NS6detail17trampoline_kernelINS0_13select_configILj256ELj13ELNS0_17block_load_methodE3ELS4_3ELS4_3ELNS0_20block_scan_algorithmE0ELj4294967295EEENS1_25partition_config_selectorILNS1_17partition_subalgoE3EjNS0_10empty_typeEbEEZZNS1_14partition_implILS8_3ELb0ES6_jNS0_17counting_iteratorIjlEEPS9_SE_NS0_5tupleIJPjSE_EEENSF_IJSE_SE_EEES9_SG_JZNS1_25segmented_radix_sort_implINS0_14default_configELb0EPKsPsPKlPlN2at6native12_GLOBAL__N_18offset_tEEE10hipError_tPvRmT1_PNSt15iterator_traitsISY_E10value_typeET2_T3_PNSZ_IS14_E10value_typeET4_jRbjT5_S1A_jjP12ihipStream_tbEUljE_EEESV_SW_SX_S14_S18_S1A_T6_T7_T9_mT8_S1C_bDpT10_ENKUlT_T0_E_clISt17integral_constantIbLb0EES1O_IbLb1EEEEDaS1K_S1L_EUlS1K_E_NS1_11comp_targetILNS1_3genE3ELNS1_11target_archE908ELNS1_3gpuE7ELNS1_3repE0EEENS1_30default_config_static_selectorELNS0_4arch9wavefront6targetE1EEEvSY_
    .private_segment_fixed_size: 0
    .sgpr_count:     4
    .sgpr_spill_count: 0
    .symbol:         _ZN7rocprim17ROCPRIM_400000_NS6detail17trampoline_kernelINS0_13select_configILj256ELj13ELNS0_17block_load_methodE3ELS4_3ELS4_3ELNS0_20block_scan_algorithmE0ELj4294967295EEENS1_25partition_config_selectorILNS1_17partition_subalgoE3EjNS0_10empty_typeEbEEZZNS1_14partition_implILS8_3ELb0ES6_jNS0_17counting_iteratorIjlEEPS9_SE_NS0_5tupleIJPjSE_EEENSF_IJSE_SE_EEES9_SG_JZNS1_25segmented_radix_sort_implINS0_14default_configELb0EPKsPsPKlPlN2at6native12_GLOBAL__N_18offset_tEEE10hipError_tPvRmT1_PNSt15iterator_traitsISY_E10value_typeET2_T3_PNSZ_IS14_E10value_typeET4_jRbjT5_S1A_jjP12ihipStream_tbEUljE_EEESV_SW_SX_S14_S18_S1A_T6_T7_T9_mT8_S1C_bDpT10_ENKUlT_T0_E_clISt17integral_constantIbLb0EES1O_IbLb1EEEEDaS1K_S1L_EUlS1K_E_NS1_11comp_targetILNS1_3genE3ELNS1_11target_archE908ELNS1_3gpuE7ELNS1_3repE0EEENS1_30default_config_static_selectorELNS0_4arch9wavefront6targetE1EEEvSY_.kd
    .uniform_work_group_size: 1
    .uses_dynamic_stack: false
    .vgpr_count:     0
    .vgpr_spill_count: 0
    .wavefront_size: 64
  - .args:
      - .offset:         0
        .size:           152
        .value_kind:     by_value
    .group_segment_fixed_size: 13320
    .kernarg_segment_align: 8
    .kernarg_segment_size: 152
    .language:       OpenCL C
    .language_version:
      - 2
      - 0
    .max_flat_workgroup_size: 256
    .name:           _ZN7rocprim17ROCPRIM_400000_NS6detail17trampoline_kernelINS0_13select_configILj256ELj13ELNS0_17block_load_methodE3ELS4_3ELS4_3ELNS0_20block_scan_algorithmE0ELj4294967295EEENS1_25partition_config_selectorILNS1_17partition_subalgoE3EjNS0_10empty_typeEbEEZZNS1_14partition_implILS8_3ELb0ES6_jNS0_17counting_iteratorIjlEEPS9_SE_NS0_5tupleIJPjSE_EEENSF_IJSE_SE_EEES9_SG_JZNS1_25segmented_radix_sort_implINS0_14default_configELb0EPKsPsPKlPlN2at6native12_GLOBAL__N_18offset_tEEE10hipError_tPvRmT1_PNSt15iterator_traitsISY_E10value_typeET2_T3_PNSZ_IS14_E10value_typeET4_jRbjT5_S1A_jjP12ihipStream_tbEUljE_EEESV_SW_SX_S14_S18_S1A_T6_T7_T9_mT8_S1C_bDpT10_ENKUlT_T0_E_clISt17integral_constantIbLb0EES1O_IbLb1EEEEDaS1K_S1L_EUlS1K_E_NS1_11comp_targetILNS1_3genE2ELNS1_11target_archE906ELNS1_3gpuE6ELNS1_3repE0EEENS1_30default_config_static_selectorELNS0_4arch9wavefront6targetE1EEEvSY_
    .private_segment_fixed_size: 0
    .sgpr_count:     50
    .sgpr_spill_count: 0
    .symbol:         _ZN7rocprim17ROCPRIM_400000_NS6detail17trampoline_kernelINS0_13select_configILj256ELj13ELNS0_17block_load_methodE3ELS4_3ELS4_3ELNS0_20block_scan_algorithmE0ELj4294967295EEENS1_25partition_config_selectorILNS1_17partition_subalgoE3EjNS0_10empty_typeEbEEZZNS1_14partition_implILS8_3ELb0ES6_jNS0_17counting_iteratorIjlEEPS9_SE_NS0_5tupleIJPjSE_EEENSF_IJSE_SE_EEES9_SG_JZNS1_25segmented_radix_sort_implINS0_14default_configELb0EPKsPsPKlPlN2at6native12_GLOBAL__N_18offset_tEEE10hipError_tPvRmT1_PNSt15iterator_traitsISY_E10value_typeET2_T3_PNSZ_IS14_E10value_typeET4_jRbjT5_S1A_jjP12ihipStream_tbEUljE_EEESV_SW_SX_S14_S18_S1A_T6_T7_T9_mT8_S1C_bDpT10_ENKUlT_T0_E_clISt17integral_constantIbLb0EES1O_IbLb1EEEEDaS1K_S1L_EUlS1K_E_NS1_11comp_targetILNS1_3genE2ELNS1_11target_archE906ELNS1_3gpuE6ELNS1_3repE0EEENS1_30default_config_static_selectorELNS0_4arch9wavefront6targetE1EEEvSY_.kd
    .uniform_work_group_size: 1
    .uses_dynamic_stack: false
    .vgpr_count:     71
    .vgpr_spill_count: 0
    .wavefront_size: 64
  - .args:
      - .offset:         0
        .size:           152
        .value_kind:     by_value
    .group_segment_fixed_size: 0
    .kernarg_segment_align: 8
    .kernarg_segment_size: 152
    .language:       OpenCL C
    .language_version:
      - 2
      - 0
    .max_flat_workgroup_size: 256
    .name:           _ZN7rocprim17ROCPRIM_400000_NS6detail17trampoline_kernelINS0_13select_configILj256ELj13ELNS0_17block_load_methodE3ELS4_3ELS4_3ELNS0_20block_scan_algorithmE0ELj4294967295EEENS1_25partition_config_selectorILNS1_17partition_subalgoE3EjNS0_10empty_typeEbEEZZNS1_14partition_implILS8_3ELb0ES6_jNS0_17counting_iteratorIjlEEPS9_SE_NS0_5tupleIJPjSE_EEENSF_IJSE_SE_EEES9_SG_JZNS1_25segmented_radix_sort_implINS0_14default_configELb0EPKsPsPKlPlN2at6native12_GLOBAL__N_18offset_tEEE10hipError_tPvRmT1_PNSt15iterator_traitsISY_E10value_typeET2_T3_PNSZ_IS14_E10value_typeET4_jRbjT5_S1A_jjP12ihipStream_tbEUljE_EEESV_SW_SX_S14_S18_S1A_T6_T7_T9_mT8_S1C_bDpT10_ENKUlT_T0_E_clISt17integral_constantIbLb0EES1O_IbLb1EEEEDaS1K_S1L_EUlS1K_E_NS1_11comp_targetILNS1_3genE10ELNS1_11target_archE1200ELNS1_3gpuE4ELNS1_3repE0EEENS1_30default_config_static_selectorELNS0_4arch9wavefront6targetE1EEEvSY_
    .private_segment_fixed_size: 0
    .sgpr_count:     4
    .sgpr_spill_count: 0
    .symbol:         _ZN7rocprim17ROCPRIM_400000_NS6detail17trampoline_kernelINS0_13select_configILj256ELj13ELNS0_17block_load_methodE3ELS4_3ELS4_3ELNS0_20block_scan_algorithmE0ELj4294967295EEENS1_25partition_config_selectorILNS1_17partition_subalgoE3EjNS0_10empty_typeEbEEZZNS1_14partition_implILS8_3ELb0ES6_jNS0_17counting_iteratorIjlEEPS9_SE_NS0_5tupleIJPjSE_EEENSF_IJSE_SE_EEES9_SG_JZNS1_25segmented_radix_sort_implINS0_14default_configELb0EPKsPsPKlPlN2at6native12_GLOBAL__N_18offset_tEEE10hipError_tPvRmT1_PNSt15iterator_traitsISY_E10value_typeET2_T3_PNSZ_IS14_E10value_typeET4_jRbjT5_S1A_jjP12ihipStream_tbEUljE_EEESV_SW_SX_S14_S18_S1A_T6_T7_T9_mT8_S1C_bDpT10_ENKUlT_T0_E_clISt17integral_constantIbLb0EES1O_IbLb1EEEEDaS1K_S1L_EUlS1K_E_NS1_11comp_targetILNS1_3genE10ELNS1_11target_archE1200ELNS1_3gpuE4ELNS1_3repE0EEENS1_30default_config_static_selectorELNS0_4arch9wavefront6targetE1EEEvSY_.kd
    .uniform_work_group_size: 1
    .uses_dynamic_stack: false
    .vgpr_count:     0
    .vgpr_spill_count: 0
    .wavefront_size: 64
  - .args:
      - .offset:         0
        .size:           152
        .value_kind:     by_value
    .group_segment_fixed_size: 0
    .kernarg_segment_align: 8
    .kernarg_segment_size: 152
    .language:       OpenCL C
    .language_version:
      - 2
      - 0
    .max_flat_workgroup_size: 256
    .name:           _ZN7rocprim17ROCPRIM_400000_NS6detail17trampoline_kernelINS0_13select_configILj256ELj13ELNS0_17block_load_methodE3ELS4_3ELS4_3ELNS0_20block_scan_algorithmE0ELj4294967295EEENS1_25partition_config_selectorILNS1_17partition_subalgoE3EjNS0_10empty_typeEbEEZZNS1_14partition_implILS8_3ELb0ES6_jNS0_17counting_iteratorIjlEEPS9_SE_NS0_5tupleIJPjSE_EEENSF_IJSE_SE_EEES9_SG_JZNS1_25segmented_radix_sort_implINS0_14default_configELb0EPKsPsPKlPlN2at6native12_GLOBAL__N_18offset_tEEE10hipError_tPvRmT1_PNSt15iterator_traitsISY_E10value_typeET2_T3_PNSZ_IS14_E10value_typeET4_jRbjT5_S1A_jjP12ihipStream_tbEUljE_EEESV_SW_SX_S14_S18_S1A_T6_T7_T9_mT8_S1C_bDpT10_ENKUlT_T0_E_clISt17integral_constantIbLb0EES1O_IbLb1EEEEDaS1K_S1L_EUlS1K_E_NS1_11comp_targetILNS1_3genE9ELNS1_11target_archE1100ELNS1_3gpuE3ELNS1_3repE0EEENS1_30default_config_static_selectorELNS0_4arch9wavefront6targetE1EEEvSY_
    .private_segment_fixed_size: 0
    .sgpr_count:     4
    .sgpr_spill_count: 0
    .symbol:         _ZN7rocprim17ROCPRIM_400000_NS6detail17trampoline_kernelINS0_13select_configILj256ELj13ELNS0_17block_load_methodE3ELS4_3ELS4_3ELNS0_20block_scan_algorithmE0ELj4294967295EEENS1_25partition_config_selectorILNS1_17partition_subalgoE3EjNS0_10empty_typeEbEEZZNS1_14partition_implILS8_3ELb0ES6_jNS0_17counting_iteratorIjlEEPS9_SE_NS0_5tupleIJPjSE_EEENSF_IJSE_SE_EEES9_SG_JZNS1_25segmented_radix_sort_implINS0_14default_configELb0EPKsPsPKlPlN2at6native12_GLOBAL__N_18offset_tEEE10hipError_tPvRmT1_PNSt15iterator_traitsISY_E10value_typeET2_T3_PNSZ_IS14_E10value_typeET4_jRbjT5_S1A_jjP12ihipStream_tbEUljE_EEESV_SW_SX_S14_S18_S1A_T6_T7_T9_mT8_S1C_bDpT10_ENKUlT_T0_E_clISt17integral_constantIbLb0EES1O_IbLb1EEEEDaS1K_S1L_EUlS1K_E_NS1_11comp_targetILNS1_3genE9ELNS1_11target_archE1100ELNS1_3gpuE3ELNS1_3repE0EEENS1_30default_config_static_selectorELNS0_4arch9wavefront6targetE1EEEvSY_.kd
    .uniform_work_group_size: 1
    .uses_dynamic_stack: false
    .vgpr_count:     0
    .vgpr_spill_count: 0
    .wavefront_size: 64
  - .args:
      - .offset:         0
        .size:           152
        .value_kind:     by_value
    .group_segment_fixed_size: 0
    .kernarg_segment_align: 8
    .kernarg_segment_size: 152
    .language:       OpenCL C
    .language_version:
      - 2
      - 0
    .max_flat_workgroup_size: 256
    .name:           _ZN7rocprim17ROCPRIM_400000_NS6detail17trampoline_kernelINS0_13select_configILj256ELj13ELNS0_17block_load_methodE3ELS4_3ELS4_3ELNS0_20block_scan_algorithmE0ELj4294967295EEENS1_25partition_config_selectorILNS1_17partition_subalgoE3EjNS0_10empty_typeEbEEZZNS1_14partition_implILS8_3ELb0ES6_jNS0_17counting_iteratorIjlEEPS9_SE_NS0_5tupleIJPjSE_EEENSF_IJSE_SE_EEES9_SG_JZNS1_25segmented_radix_sort_implINS0_14default_configELb0EPKsPsPKlPlN2at6native12_GLOBAL__N_18offset_tEEE10hipError_tPvRmT1_PNSt15iterator_traitsISY_E10value_typeET2_T3_PNSZ_IS14_E10value_typeET4_jRbjT5_S1A_jjP12ihipStream_tbEUljE_EEESV_SW_SX_S14_S18_S1A_T6_T7_T9_mT8_S1C_bDpT10_ENKUlT_T0_E_clISt17integral_constantIbLb0EES1O_IbLb1EEEEDaS1K_S1L_EUlS1K_E_NS1_11comp_targetILNS1_3genE8ELNS1_11target_archE1030ELNS1_3gpuE2ELNS1_3repE0EEENS1_30default_config_static_selectorELNS0_4arch9wavefront6targetE1EEEvSY_
    .private_segment_fixed_size: 0
    .sgpr_count:     4
    .sgpr_spill_count: 0
    .symbol:         _ZN7rocprim17ROCPRIM_400000_NS6detail17trampoline_kernelINS0_13select_configILj256ELj13ELNS0_17block_load_methodE3ELS4_3ELS4_3ELNS0_20block_scan_algorithmE0ELj4294967295EEENS1_25partition_config_selectorILNS1_17partition_subalgoE3EjNS0_10empty_typeEbEEZZNS1_14partition_implILS8_3ELb0ES6_jNS0_17counting_iteratorIjlEEPS9_SE_NS0_5tupleIJPjSE_EEENSF_IJSE_SE_EEES9_SG_JZNS1_25segmented_radix_sort_implINS0_14default_configELb0EPKsPsPKlPlN2at6native12_GLOBAL__N_18offset_tEEE10hipError_tPvRmT1_PNSt15iterator_traitsISY_E10value_typeET2_T3_PNSZ_IS14_E10value_typeET4_jRbjT5_S1A_jjP12ihipStream_tbEUljE_EEESV_SW_SX_S14_S18_S1A_T6_T7_T9_mT8_S1C_bDpT10_ENKUlT_T0_E_clISt17integral_constantIbLb0EES1O_IbLb1EEEEDaS1K_S1L_EUlS1K_E_NS1_11comp_targetILNS1_3genE8ELNS1_11target_archE1030ELNS1_3gpuE2ELNS1_3repE0EEENS1_30default_config_static_selectorELNS0_4arch9wavefront6targetE1EEEvSY_.kd
    .uniform_work_group_size: 1
    .uses_dynamic_stack: false
    .vgpr_count:     0
    .vgpr_spill_count: 0
    .wavefront_size: 64
  - .args:
      - .offset:         0
        .size:           96
        .value_kind:     by_value
    .group_segment_fixed_size: 0
    .kernarg_segment_align: 8
    .kernarg_segment_size: 96
    .language:       OpenCL C
    .language_version:
      - 2
      - 0
    .max_flat_workgroup_size: 256
    .name:           _ZN7rocprim17ROCPRIM_400000_NS6detail17trampoline_kernelINS0_14default_configENS1_36segmented_radix_sort_config_selectorIslEEZNS1_25segmented_radix_sort_implIS3_Lb0EPKsPsPKlPlN2at6native12_GLOBAL__N_18offset_tEEE10hipError_tPvRmT1_PNSt15iterator_traitsISK_E10value_typeET2_T3_PNSL_ISQ_E10value_typeET4_jRbjT5_SW_jjP12ihipStream_tbEUlT_E_NS1_11comp_targetILNS1_3genE0ELNS1_11target_archE4294967295ELNS1_3gpuE0ELNS1_3repE0EEENS1_30default_config_static_selectorELNS0_4arch9wavefront6targetE1EEEvSK_
    .private_segment_fixed_size: 0
    .sgpr_count:     4
    .sgpr_spill_count: 0
    .symbol:         _ZN7rocprim17ROCPRIM_400000_NS6detail17trampoline_kernelINS0_14default_configENS1_36segmented_radix_sort_config_selectorIslEEZNS1_25segmented_radix_sort_implIS3_Lb0EPKsPsPKlPlN2at6native12_GLOBAL__N_18offset_tEEE10hipError_tPvRmT1_PNSt15iterator_traitsISK_E10value_typeET2_T3_PNSL_ISQ_E10value_typeET4_jRbjT5_SW_jjP12ihipStream_tbEUlT_E_NS1_11comp_targetILNS1_3genE0ELNS1_11target_archE4294967295ELNS1_3gpuE0ELNS1_3repE0EEENS1_30default_config_static_selectorELNS0_4arch9wavefront6targetE1EEEvSK_.kd
    .uniform_work_group_size: 1
    .uses_dynamic_stack: false
    .vgpr_count:     0
    .vgpr_spill_count: 0
    .wavefront_size: 64
  - .args:
      - .offset:         0
        .size:           96
        .value_kind:     by_value
    .group_segment_fixed_size: 0
    .kernarg_segment_align: 8
    .kernarg_segment_size: 96
    .language:       OpenCL C
    .language_version:
      - 2
      - 0
    .max_flat_workgroup_size: 256
    .name:           _ZN7rocprim17ROCPRIM_400000_NS6detail17trampoline_kernelINS0_14default_configENS1_36segmented_radix_sort_config_selectorIslEEZNS1_25segmented_radix_sort_implIS3_Lb0EPKsPsPKlPlN2at6native12_GLOBAL__N_18offset_tEEE10hipError_tPvRmT1_PNSt15iterator_traitsISK_E10value_typeET2_T3_PNSL_ISQ_E10value_typeET4_jRbjT5_SW_jjP12ihipStream_tbEUlT_E_NS1_11comp_targetILNS1_3genE5ELNS1_11target_archE942ELNS1_3gpuE9ELNS1_3repE0EEENS1_30default_config_static_selectorELNS0_4arch9wavefront6targetE1EEEvSK_
    .private_segment_fixed_size: 0
    .sgpr_count:     4
    .sgpr_spill_count: 0
    .symbol:         _ZN7rocprim17ROCPRIM_400000_NS6detail17trampoline_kernelINS0_14default_configENS1_36segmented_radix_sort_config_selectorIslEEZNS1_25segmented_radix_sort_implIS3_Lb0EPKsPsPKlPlN2at6native12_GLOBAL__N_18offset_tEEE10hipError_tPvRmT1_PNSt15iterator_traitsISK_E10value_typeET2_T3_PNSL_ISQ_E10value_typeET4_jRbjT5_SW_jjP12ihipStream_tbEUlT_E_NS1_11comp_targetILNS1_3genE5ELNS1_11target_archE942ELNS1_3gpuE9ELNS1_3repE0EEENS1_30default_config_static_selectorELNS0_4arch9wavefront6targetE1EEEvSK_.kd
    .uniform_work_group_size: 1
    .uses_dynamic_stack: false
    .vgpr_count:     0
    .vgpr_spill_count: 0
    .wavefront_size: 64
  - .args:
      - .offset:         0
        .size:           96
        .value_kind:     by_value
    .group_segment_fixed_size: 0
    .kernarg_segment_align: 8
    .kernarg_segment_size: 96
    .language:       OpenCL C
    .language_version:
      - 2
      - 0
    .max_flat_workgroup_size: 256
    .name:           _ZN7rocprim17ROCPRIM_400000_NS6detail17trampoline_kernelINS0_14default_configENS1_36segmented_radix_sort_config_selectorIslEEZNS1_25segmented_radix_sort_implIS3_Lb0EPKsPsPKlPlN2at6native12_GLOBAL__N_18offset_tEEE10hipError_tPvRmT1_PNSt15iterator_traitsISK_E10value_typeET2_T3_PNSL_ISQ_E10value_typeET4_jRbjT5_SW_jjP12ihipStream_tbEUlT_E_NS1_11comp_targetILNS1_3genE4ELNS1_11target_archE910ELNS1_3gpuE8ELNS1_3repE0EEENS1_30default_config_static_selectorELNS0_4arch9wavefront6targetE1EEEvSK_
    .private_segment_fixed_size: 0
    .sgpr_count:     4
    .sgpr_spill_count: 0
    .symbol:         _ZN7rocprim17ROCPRIM_400000_NS6detail17trampoline_kernelINS0_14default_configENS1_36segmented_radix_sort_config_selectorIslEEZNS1_25segmented_radix_sort_implIS3_Lb0EPKsPsPKlPlN2at6native12_GLOBAL__N_18offset_tEEE10hipError_tPvRmT1_PNSt15iterator_traitsISK_E10value_typeET2_T3_PNSL_ISQ_E10value_typeET4_jRbjT5_SW_jjP12ihipStream_tbEUlT_E_NS1_11comp_targetILNS1_3genE4ELNS1_11target_archE910ELNS1_3gpuE8ELNS1_3repE0EEENS1_30default_config_static_selectorELNS0_4arch9wavefront6targetE1EEEvSK_.kd
    .uniform_work_group_size: 1
    .uses_dynamic_stack: false
    .vgpr_count:     0
    .vgpr_spill_count: 0
    .wavefront_size: 64
  - .args:
      - .offset:         0
        .size:           96
        .value_kind:     by_value
    .group_segment_fixed_size: 0
    .kernarg_segment_align: 8
    .kernarg_segment_size: 96
    .language:       OpenCL C
    .language_version:
      - 2
      - 0
    .max_flat_workgroup_size: 256
    .name:           _ZN7rocprim17ROCPRIM_400000_NS6detail17trampoline_kernelINS0_14default_configENS1_36segmented_radix_sort_config_selectorIslEEZNS1_25segmented_radix_sort_implIS3_Lb0EPKsPsPKlPlN2at6native12_GLOBAL__N_18offset_tEEE10hipError_tPvRmT1_PNSt15iterator_traitsISK_E10value_typeET2_T3_PNSL_ISQ_E10value_typeET4_jRbjT5_SW_jjP12ihipStream_tbEUlT_E_NS1_11comp_targetILNS1_3genE3ELNS1_11target_archE908ELNS1_3gpuE7ELNS1_3repE0EEENS1_30default_config_static_selectorELNS0_4arch9wavefront6targetE1EEEvSK_
    .private_segment_fixed_size: 0
    .sgpr_count:     4
    .sgpr_spill_count: 0
    .symbol:         _ZN7rocprim17ROCPRIM_400000_NS6detail17trampoline_kernelINS0_14default_configENS1_36segmented_radix_sort_config_selectorIslEEZNS1_25segmented_radix_sort_implIS3_Lb0EPKsPsPKlPlN2at6native12_GLOBAL__N_18offset_tEEE10hipError_tPvRmT1_PNSt15iterator_traitsISK_E10value_typeET2_T3_PNSL_ISQ_E10value_typeET4_jRbjT5_SW_jjP12ihipStream_tbEUlT_E_NS1_11comp_targetILNS1_3genE3ELNS1_11target_archE908ELNS1_3gpuE7ELNS1_3repE0EEENS1_30default_config_static_selectorELNS0_4arch9wavefront6targetE1EEEvSK_.kd
    .uniform_work_group_size: 1
    .uses_dynamic_stack: false
    .vgpr_count:     0
    .vgpr_spill_count: 0
    .wavefront_size: 64
  - .args:
      - .offset:         0
        .size:           96
        .value_kind:     by_value
      - .offset:         96
        .size:           4
        .value_kind:     hidden_block_count_x
      - .offset:         100
        .size:           4
        .value_kind:     hidden_block_count_y
      - .offset:         104
        .size:           4
        .value_kind:     hidden_block_count_z
      - .offset:         108
        .size:           2
        .value_kind:     hidden_group_size_x
      - .offset:         110
        .size:           2
        .value_kind:     hidden_group_size_y
      - .offset:         112
        .size:           2
        .value_kind:     hidden_group_size_z
      - .offset:         114
        .size:           2
        .value_kind:     hidden_remainder_x
      - .offset:         116
        .size:           2
        .value_kind:     hidden_remainder_y
      - .offset:         118
        .size:           2
        .value_kind:     hidden_remainder_z
      - .offset:         136
        .size:           8
        .value_kind:     hidden_global_offset_x
      - .offset:         144
        .size:           8
        .value_kind:     hidden_global_offset_y
      - .offset:         152
        .size:           8
        .value_kind:     hidden_global_offset_z
      - .offset:         160
        .size:           2
        .value_kind:     hidden_grid_dims
    .group_segment_fixed_size: 9232
    .kernarg_segment_align: 8
    .kernarg_segment_size: 352
    .language:       OpenCL C
    .language_version:
      - 2
      - 0
    .max_flat_workgroup_size: 256
    .name:           _ZN7rocprim17ROCPRIM_400000_NS6detail17trampoline_kernelINS0_14default_configENS1_36segmented_radix_sort_config_selectorIslEEZNS1_25segmented_radix_sort_implIS3_Lb0EPKsPsPKlPlN2at6native12_GLOBAL__N_18offset_tEEE10hipError_tPvRmT1_PNSt15iterator_traitsISK_E10value_typeET2_T3_PNSL_ISQ_E10value_typeET4_jRbjT5_SW_jjP12ihipStream_tbEUlT_E_NS1_11comp_targetILNS1_3genE2ELNS1_11target_archE906ELNS1_3gpuE6ELNS1_3repE0EEENS1_30default_config_static_selectorELNS0_4arch9wavefront6targetE1EEEvSK_
    .private_segment_fixed_size: 0
    .sgpr_count:     80
    .sgpr_spill_count: 0
    .symbol:         _ZN7rocprim17ROCPRIM_400000_NS6detail17trampoline_kernelINS0_14default_configENS1_36segmented_radix_sort_config_selectorIslEEZNS1_25segmented_radix_sort_implIS3_Lb0EPKsPsPKlPlN2at6native12_GLOBAL__N_18offset_tEEE10hipError_tPvRmT1_PNSt15iterator_traitsISK_E10value_typeET2_T3_PNSL_ISQ_E10value_typeET4_jRbjT5_SW_jjP12ihipStream_tbEUlT_E_NS1_11comp_targetILNS1_3genE2ELNS1_11target_archE906ELNS1_3gpuE6ELNS1_3repE0EEENS1_30default_config_static_selectorELNS0_4arch9wavefront6targetE1EEEvSK_.kd
    .uniform_work_group_size: 1
    .uses_dynamic_stack: false
    .vgpr_count:     95
    .vgpr_spill_count: 0
    .wavefront_size: 64
  - .args:
      - .offset:         0
        .size:           96
        .value_kind:     by_value
    .group_segment_fixed_size: 0
    .kernarg_segment_align: 8
    .kernarg_segment_size: 96
    .language:       OpenCL C
    .language_version:
      - 2
      - 0
    .max_flat_workgroup_size: 256
    .name:           _ZN7rocprim17ROCPRIM_400000_NS6detail17trampoline_kernelINS0_14default_configENS1_36segmented_radix_sort_config_selectorIslEEZNS1_25segmented_radix_sort_implIS3_Lb0EPKsPsPKlPlN2at6native12_GLOBAL__N_18offset_tEEE10hipError_tPvRmT1_PNSt15iterator_traitsISK_E10value_typeET2_T3_PNSL_ISQ_E10value_typeET4_jRbjT5_SW_jjP12ihipStream_tbEUlT_E_NS1_11comp_targetILNS1_3genE10ELNS1_11target_archE1201ELNS1_3gpuE5ELNS1_3repE0EEENS1_30default_config_static_selectorELNS0_4arch9wavefront6targetE1EEEvSK_
    .private_segment_fixed_size: 0
    .sgpr_count:     4
    .sgpr_spill_count: 0
    .symbol:         _ZN7rocprim17ROCPRIM_400000_NS6detail17trampoline_kernelINS0_14default_configENS1_36segmented_radix_sort_config_selectorIslEEZNS1_25segmented_radix_sort_implIS3_Lb0EPKsPsPKlPlN2at6native12_GLOBAL__N_18offset_tEEE10hipError_tPvRmT1_PNSt15iterator_traitsISK_E10value_typeET2_T3_PNSL_ISQ_E10value_typeET4_jRbjT5_SW_jjP12ihipStream_tbEUlT_E_NS1_11comp_targetILNS1_3genE10ELNS1_11target_archE1201ELNS1_3gpuE5ELNS1_3repE0EEENS1_30default_config_static_selectorELNS0_4arch9wavefront6targetE1EEEvSK_.kd
    .uniform_work_group_size: 1
    .uses_dynamic_stack: false
    .vgpr_count:     0
    .vgpr_spill_count: 0
    .wavefront_size: 64
  - .args:
      - .offset:         0
        .size:           96
        .value_kind:     by_value
    .group_segment_fixed_size: 0
    .kernarg_segment_align: 8
    .kernarg_segment_size: 96
    .language:       OpenCL C
    .language_version:
      - 2
      - 0
    .max_flat_workgroup_size: 128
    .name:           _ZN7rocprim17ROCPRIM_400000_NS6detail17trampoline_kernelINS0_14default_configENS1_36segmented_radix_sort_config_selectorIslEEZNS1_25segmented_radix_sort_implIS3_Lb0EPKsPsPKlPlN2at6native12_GLOBAL__N_18offset_tEEE10hipError_tPvRmT1_PNSt15iterator_traitsISK_E10value_typeET2_T3_PNSL_ISQ_E10value_typeET4_jRbjT5_SW_jjP12ihipStream_tbEUlT_E_NS1_11comp_targetILNS1_3genE10ELNS1_11target_archE1200ELNS1_3gpuE4ELNS1_3repE0EEENS1_30default_config_static_selectorELNS0_4arch9wavefront6targetE1EEEvSK_
    .private_segment_fixed_size: 0
    .sgpr_count:     4
    .sgpr_spill_count: 0
    .symbol:         _ZN7rocprim17ROCPRIM_400000_NS6detail17trampoline_kernelINS0_14default_configENS1_36segmented_radix_sort_config_selectorIslEEZNS1_25segmented_radix_sort_implIS3_Lb0EPKsPsPKlPlN2at6native12_GLOBAL__N_18offset_tEEE10hipError_tPvRmT1_PNSt15iterator_traitsISK_E10value_typeET2_T3_PNSL_ISQ_E10value_typeET4_jRbjT5_SW_jjP12ihipStream_tbEUlT_E_NS1_11comp_targetILNS1_3genE10ELNS1_11target_archE1200ELNS1_3gpuE4ELNS1_3repE0EEENS1_30default_config_static_selectorELNS0_4arch9wavefront6targetE1EEEvSK_.kd
    .uniform_work_group_size: 1
    .uses_dynamic_stack: false
    .vgpr_count:     0
    .vgpr_spill_count: 0
    .wavefront_size: 64
  - .args:
      - .offset:         0
        .size:           96
        .value_kind:     by_value
    .group_segment_fixed_size: 0
    .kernarg_segment_align: 8
    .kernarg_segment_size: 96
    .language:       OpenCL C
    .language_version:
      - 2
      - 0
    .max_flat_workgroup_size: 256
    .name:           _ZN7rocprim17ROCPRIM_400000_NS6detail17trampoline_kernelINS0_14default_configENS1_36segmented_radix_sort_config_selectorIslEEZNS1_25segmented_radix_sort_implIS3_Lb0EPKsPsPKlPlN2at6native12_GLOBAL__N_18offset_tEEE10hipError_tPvRmT1_PNSt15iterator_traitsISK_E10value_typeET2_T3_PNSL_ISQ_E10value_typeET4_jRbjT5_SW_jjP12ihipStream_tbEUlT_E_NS1_11comp_targetILNS1_3genE9ELNS1_11target_archE1100ELNS1_3gpuE3ELNS1_3repE0EEENS1_30default_config_static_selectorELNS0_4arch9wavefront6targetE1EEEvSK_
    .private_segment_fixed_size: 0
    .sgpr_count:     4
    .sgpr_spill_count: 0
    .symbol:         _ZN7rocprim17ROCPRIM_400000_NS6detail17trampoline_kernelINS0_14default_configENS1_36segmented_radix_sort_config_selectorIslEEZNS1_25segmented_radix_sort_implIS3_Lb0EPKsPsPKlPlN2at6native12_GLOBAL__N_18offset_tEEE10hipError_tPvRmT1_PNSt15iterator_traitsISK_E10value_typeET2_T3_PNSL_ISQ_E10value_typeET4_jRbjT5_SW_jjP12ihipStream_tbEUlT_E_NS1_11comp_targetILNS1_3genE9ELNS1_11target_archE1100ELNS1_3gpuE3ELNS1_3repE0EEENS1_30default_config_static_selectorELNS0_4arch9wavefront6targetE1EEEvSK_.kd
    .uniform_work_group_size: 1
    .uses_dynamic_stack: false
    .vgpr_count:     0
    .vgpr_spill_count: 0
    .wavefront_size: 64
  - .args:
      - .offset:         0
        .size:           96
        .value_kind:     by_value
    .group_segment_fixed_size: 0
    .kernarg_segment_align: 8
    .kernarg_segment_size: 96
    .language:       OpenCL C
    .language_version:
      - 2
      - 0
    .max_flat_workgroup_size: 256
    .name:           _ZN7rocprim17ROCPRIM_400000_NS6detail17trampoline_kernelINS0_14default_configENS1_36segmented_radix_sort_config_selectorIslEEZNS1_25segmented_radix_sort_implIS3_Lb0EPKsPsPKlPlN2at6native12_GLOBAL__N_18offset_tEEE10hipError_tPvRmT1_PNSt15iterator_traitsISK_E10value_typeET2_T3_PNSL_ISQ_E10value_typeET4_jRbjT5_SW_jjP12ihipStream_tbEUlT_E_NS1_11comp_targetILNS1_3genE8ELNS1_11target_archE1030ELNS1_3gpuE2ELNS1_3repE0EEENS1_30default_config_static_selectorELNS0_4arch9wavefront6targetE1EEEvSK_
    .private_segment_fixed_size: 0
    .sgpr_count:     4
    .sgpr_spill_count: 0
    .symbol:         _ZN7rocprim17ROCPRIM_400000_NS6detail17trampoline_kernelINS0_14default_configENS1_36segmented_radix_sort_config_selectorIslEEZNS1_25segmented_radix_sort_implIS3_Lb0EPKsPsPKlPlN2at6native12_GLOBAL__N_18offset_tEEE10hipError_tPvRmT1_PNSt15iterator_traitsISK_E10value_typeET2_T3_PNSL_ISQ_E10value_typeET4_jRbjT5_SW_jjP12ihipStream_tbEUlT_E_NS1_11comp_targetILNS1_3genE8ELNS1_11target_archE1030ELNS1_3gpuE2ELNS1_3repE0EEENS1_30default_config_static_selectorELNS0_4arch9wavefront6targetE1EEEvSK_.kd
    .uniform_work_group_size: 1
    .uses_dynamic_stack: false
    .vgpr_count:     0
    .vgpr_spill_count: 0
    .wavefront_size: 64
  - .args:
      - .offset:         0
        .size:           88
        .value_kind:     by_value
    .group_segment_fixed_size: 0
    .kernarg_segment_align: 8
    .kernarg_segment_size: 88
    .language:       OpenCL C
    .language_version:
      - 2
      - 0
    .max_flat_workgroup_size: 256
    .name:           _ZN7rocprim17ROCPRIM_400000_NS6detail17trampoline_kernelINS0_14default_configENS1_36segmented_radix_sort_config_selectorIslEEZNS1_25segmented_radix_sort_implIS3_Lb0EPKsPsPKlPlN2at6native12_GLOBAL__N_18offset_tEEE10hipError_tPvRmT1_PNSt15iterator_traitsISK_E10value_typeET2_T3_PNSL_ISQ_E10value_typeET4_jRbjT5_SW_jjP12ihipStream_tbEUlT_E0_NS1_11comp_targetILNS1_3genE0ELNS1_11target_archE4294967295ELNS1_3gpuE0ELNS1_3repE0EEENS1_60segmented_radix_sort_warp_sort_medium_config_static_selectorELNS0_4arch9wavefront6targetE1EEEvSK_
    .private_segment_fixed_size: 0
    .sgpr_count:     4
    .sgpr_spill_count: 0
    .symbol:         _ZN7rocprim17ROCPRIM_400000_NS6detail17trampoline_kernelINS0_14default_configENS1_36segmented_radix_sort_config_selectorIslEEZNS1_25segmented_radix_sort_implIS3_Lb0EPKsPsPKlPlN2at6native12_GLOBAL__N_18offset_tEEE10hipError_tPvRmT1_PNSt15iterator_traitsISK_E10value_typeET2_T3_PNSL_ISQ_E10value_typeET4_jRbjT5_SW_jjP12ihipStream_tbEUlT_E0_NS1_11comp_targetILNS1_3genE0ELNS1_11target_archE4294967295ELNS1_3gpuE0ELNS1_3repE0EEENS1_60segmented_radix_sort_warp_sort_medium_config_static_selectorELNS0_4arch9wavefront6targetE1EEEvSK_.kd
    .uniform_work_group_size: 1
    .uses_dynamic_stack: false
    .vgpr_count:     0
    .vgpr_spill_count: 0
    .wavefront_size: 64
  - .args:
      - .offset:         0
        .size:           88
        .value_kind:     by_value
    .group_segment_fixed_size: 0
    .kernarg_segment_align: 8
    .kernarg_segment_size: 88
    .language:       OpenCL C
    .language_version:
      - 2
      - 0
    .max_flat_workgroup_size: 256
    .name:           _ZN7rocprim17ROCPRIM_400000_NS6detail17trampoline_kernelINS0_14default_configENS1_36segmented_radix_sort_config_selectorIslEEZNS1_25segmented_radix_sort_implIS3_Lb0EPKsPsPKlPlN2at6native12_GLOBAL__N_18offset_tEEE10hipError_tPvRmT1_PNSt15iterator_traitsISK_E10value_typeET2_T3_PNSL_ISQ_E10value_typeET4_jRbjT5_SW_jjP12ihipStream_tbEUlT_E0_NS1_11comp_targetILNS1_3genE5ELNS1_11target_archE942ELNS1_3gpuE9ELNS1_3repE0EEENS1_60segmented_radix_sort_warp_sort_medium_config_static_selectorELNS0_4arch9wavefront6targetE1EEEvSK_
    .private_segment_fixed_size: 0
    .sgpr_count:     4
    .sgpr_spill_count: 0
    .symbol:         _ZN7rocprim17ROCPRIM_400000_NS6detail17trampoline_kernelINS0_14default_configENS1_36segmented_radix_sort_config_selectorIslEEZNS1_25segmented_radix_sort_implIS3_Lb0EPKsPsPKlPlN2at6native12_GLOBAL__N_18offset_tEEE10hipError_tPvRmT1_PNSt15iterator_traitsISK_E10value_typeET2_T3_PNSL_ISQ_E10value_typeET4_jRbjT5_SW_jjP12ihipStream_tbEUlT_E0_NS1_11comp_targetILNS1_3genE5ELNS1_11target_archE942ELNS1_3gpuE9ELNS1_3repE0EEENS1_60segmented_radix_sort_warp_sort_medium_config_static_selectorELNS0_4arch9wavefront6targetE1EEEvSK_.kd
    .uniform_work_group_size: 1
    .uses_dynamic_stack: false
    .vgpr_count:     0
    .vgpr_spill_count: 0
    .wavefront_size: 64
  - .args:
      - .offset:         0
        .size:           88
        .value_kind:     by_value
    .group_segment_fixed_size: 0
    .kernarg_segment_align: 8
    .kernarg_segment_size: 88
    .language:       OpenCL C
    .language_version:
      - 2
      - 0
    .max_flat_workgroup_size: 256
    .name:           _ZN7rocprim17ROCPRIM_400000_NS6detail17trampoline_kernelINS0_14default_configENS1_36segmented_radix_sort_config_selectorIslEEZNS1_25segmented_radix_sort_implIS3_Lb0EPKsPsPKlPlN2at6native12_GLOBAL__N_18offset_tEEE10hipError_tPvRmT1_PNSt15iterator_traitsISK_E10value_typeET2_T3_PNSL_ISQ_E10value_typeET4_jRbjT5_SW_jjP12ihipStream_tbEUlT_E0_NS1_11comp_targetILNS1_3genE4ELNS1_11target_archE910ELNS1_3gpuE8ELNS1_3repE0EEENS1_60segmented_radix_sort_warp_sort_medium_config_static_selectorELNS0_4arch9wavefront6targetE1EEEvSK_
    .private_segment_fixed_size: 0
    .sgpr_count:     4
    .sgpr_spill_count: 0
    .symbol:         _ZN7rocprim17ROCPRIM_400000_NS6detail17trampoline_kernelINS0_14default_configENS1_36segmented_radix_sort_config_selectorIslEEZNS1_25segmented_radix_sort_implIS3_Lb0EPKsPsPKlPlN2at6native12_GLOBAL__N_18offset_tEEE10hipError_tPvRmT1_PNSt15iterator_traitsISK_E10value_typeET2_T3_PNSL_ISQ_E10value_typeET4_jRbjT5_SW_jjP12ihipStream_tbEUlT_E0_NS1_11comp_targetILNS1_3genE4ELNS1_11target_archE910ELNS1_3gpuE8ELNS1_3repE0EEENS1_60segmented_radix_sort_warp_sort_medium_config_static_selectorELNS0_4arch9wavefront6targetE1EEEvSK_.kd
    .uniform_work_group_size: 1
    .uses_dynamic_stack: false
    .vgpr_count:     0
    .vgpr_spill_count: 0
    .wavefront_size: 64
  - .args:
      - .offset:         0
        .size:           88
        .value_kind:     by_value
    .group_segment_fixed_size: 0
    .kernarg_segment_align: 8
    .kernarg_segment_size: 88
    .language:       OpenCL C
    .language_version:
      - 2
      - 0
    .max_flat_workgroup_size: 256
    .name:           _ZN7rocprim17ROCPRIM_400000_NS6detail17trampoline_kernelINS0_14default_configENS1_36segmented_radix_sort_config_selectorIslEEZNS1_25segmented_radix_sort_implIS3_Lb0EPKsPsPKlPlN2at6native12_GLOBAL__N_18offset_tEEE10hipError_tPvRmT1_PNSt15iterator_traitsISK_E10value_typeET2_T3_PNSL_ISQ_E10value_typeET4_jRbjT5_SW_jjP12ihipStream_tbEUlT_E0_NS1_11comp_targetILNS1_3genE3ELNS1_11target_archE908ELNS1_3gpuE7ELNS1_3repE0EEENS1_60segmented_radix_sort_warp_sort_medium_config_static_selectorELNS0_4arch9wavefront6targetE1EEEvSK_
    .private_segment_fixed_size: 0
    .sgpr_count:     4
    .sgpr_spill_count: 0
    .symbol:         _ZN7rocprim17ROCPRIM_400000_NS6detail17trampoline_kernelINS0_14default_configENS1_36segmented_radix_sort_config_selectorIslEEZNS1_25segmented_radix_sort_implIS3_Lb0EPKsPsPKlPlN2at6native12_GLOBAL__N_18offset_tEEE10hipError_tPvRmT1_PNSt15iterator_traitsISK_E10value_typeET2_T3_PNSL_ISQ_E10value_typeET4_jRbjT5_SW_jjP12ihipStream_tbEUlT_E0_NS1_11comp_targetILNS1_3genE3ELNS1_11target_archE908ELNS1_3gpuE7ELNS1_3repE0EEENS1_60segmented_radix_sort_warp_sort_medium_config_static_selectorELNS0_4arch9wavefront6targetE1EEEvSK_.kd
    .uniform_work_group_size: 1
    .uses_dynamic_stack: false
    .vgpr_count:     0
    .vgpr_spill_count: 0
    .wavefront_size: 64
  - .args:
      - .offset:         0
        .size:           88
        .value_kind:     by_value
      - .offset:         88
        .size:           4
        .value_kind:     hidden_block_count_x
      - .offset:         92
        .size:           4
        .value_kind:     hidden_block_count_y
      - .offset:         96
        .size:           4
        .value_kind:     hidden_block_count_z
      - .offset:         100
        .size:           2
        .value_kind:     hidden_group_size_x
      - .offset:         102
        .size:           2
        .value_kind:     hidden_group_size_y
      - .offset:         104
        .size:           2
        .value_kind:     hidden_group_size_z
      - .offset:         106
        .size:           2
        .value_kind:     hidden_remainder_x
      - .offset:         108
        .size:           2
        .value_kind:     hidden_remainder_y
      - .offset:         110
        .size:           2
        .value_kind:     hidden_remainder_z
      - .offset:         128
        .size:           8
        .value_kind:     hidden_global_offset_x
      - .offset:         136
        .size:           8
        .value_kind:     hidden_global_offset_y
      - .offset:         144
        .size:           8
        .value_kind:     hidden_global_offset_z
      - .offset:         152
        .size:           2
        .value_kind:     hidden_grid_dims
    .group_segment_fixed_size: 20480
    .kernarg_segment_align: 8
    .kernarg_segment_size: 344
    .language:       OpenCL C
    .language_version:
      - 2
      - 0
    .max_flat_workgroup_size: 256
    .name:           _ZN7rocprim17ROCPRIM_400000_NS6detail17trampoline_kernelINS0_14default_configENS1_36segmented_radix_sort_config_selectorIslEEZNS1_25segmented_radix_sort_implIS3_Lb0EPKsPsPKlPlN2at6native12_GLOBAL__N_18offset_tEEE10hipError_tPvRmT1_PNSt15iterator_traitsISK_E10value_typeET2_T3_PNSL_ISQ_E10value_typeET4_jRbjT5_SW_jjP12ihipStream_tbEUlT_E0_NS1_11comp_targetILNS1_3genE2ELNS1_11target_archE906ELNS1_3gpuE6ELNS1_3repE0EEENS1_60segmented_radix_sort_warp_sort_medium_config_static_selectorELNS0_4arch9wavefront6targetE1EEEvSK_
    .private_segment_fixed_size: 0
    .sgpr_count:     66
    .sgpr_spill_count: 0
    .symbol:         _ZN7rocprim17ROCPRIM_400000_NS6detail17trampoline_kernelINS0_14default_configENS1_36segmented_radix_sort_config_selectorIslEEZNS1_25segmented_radix_sort_implIS3_Lb0EPKsPsPKlPlN2at6native12_GLOBAL__N_18offset_tEEE10hipError_tPvRmT1_PNSt15iterator_traitsISK_E10value_typeET2_T3_PNSL_ISQ_E10value_typeET4_jRbjT5_SW_jjP12ihipStream_tbEUlT_E0_NS1_11comp_targetILNS1_3genE2ELNS1_11target_archE906ELNS1_3gpuE6ELNS1_3repE0EEENS1_60segmented_radix_sort_warp_sort_medium_config_static_selectorELNS0_4arch9wavefront6targetE1EEEvSK_.kd
    .uniform_work_group_size: 1
    .uses_dynamic_stack: false
    .vgpr_count:     70
    .vgpr_spill_count: 0
    .wavefront_size: 64
  - .args:
      - .offset:         0
        .size:           88
        .value_kind:     by_value
    .group_segment_fixed_size: 0
    .kernarg_segment_align: 8
    .kernarg_segment_size: 88
    .language:       OpenCL C
    .language_version:
      - 2
      - 0
    .max_flat_workgroup_size: 256
    .name:           _ZN7rocprim17ROCPRIM_400000_NS6detail17trampoline_kernelINS0_14default_configENS1_36segmented_radix_sort_config_selectorIslEEZNS1_25segmented_radix_sort_implIS3_Lb0EPKsPsPKlPlN2at6native12_GLOBAL__N_18offset_tEEE10hipError_tPvRmT1_PNSt15iterator_traitsISK_E10value_typeET2_T3_PNSL_ISQ_E10value_typeET4_jRbjT5_SW_jjP12ihipStream_tbEUlT_E0_NS1_11comp_targetILNS1_3genE10ELNS1_11target_archE1201ELNS1_3gpuE5ELNS1_3repE0EEENS1_60segmented_radix_sort_warp_sort_medium_config_static_selectorELNS0_4arch9wavefront6targetE1EEEvSK_
    .private_segment_fixed_size: 0
    .sgpr_count:     4
    .sgpr_spill_count: 0
    .symbol:         _ZN7rocprim17ROCPRIM_400000_NS6detail17trampoline_kernelINS0_14default_configENS1_36segmented_radix_sort_config_selectorIslEEZNS1_25segmented_radix_sort_implIS3_Lb0EPKsPsPKlPlN2at6native12_GLOBAL__N_18offset_tEEE10hipError_tPvRmT1_PNSt15iterator_traitsISK_E10value_typeET2_T3_PNSL_ISQ_E10value_typeET4_jRbjT5_SW_jjP12ihipStream_tbEUlT_E0_NS1_11comp_targetILNS1_3genE10ELNS1_11target_archE1201ELNS1_3gpuE5ELNS1_3repE0EEENS1_60segmented_radix_sort_warp_sort_medium_config_static_selectorELNS0_4arch9wavefront6targetE1EEEvSK_.kd
    .uniform_work_group_size: 1
    .uses_dynamic_stack: false
    .vgpr_count:     0
    .vgpr_spill_count: 0
    .wavefront_size: 64
  - .args:
      - .offset:         0
        .size:           88
        .value_kind:     by_value
    .group_segment_fixed_size: 0
    .kernarg_segment_align: 8
    .kernarg_segment_size: 88
    .language:       OpenCL C
    .language_version:
      - 2
      - 0
    .max_flat_workgroup_size: 256
    .name:           _ZN7rocprim17ROCPRIM_400000_NS6detail17trampoline_kernelINS0_14default_configENS1_36segmented_radix_sort_config_selectorIslEEZNS1_25segmented_radix_sort_implIS3_Lb0EPKsPsPKlPlN2at6native12_GLOBAL__N_18offset_tEEE10hipError_tPvRmT1_PNSt15iterator_traitsISK_E10value_typeET2_T3_PNSL_ISQ_E10value_typeET4_jRbjT5_SW_jjP12ihipStream_tbEUlT_E0_NS1_11comp_targetILNS1_3genE10ELNS1_11target_archE1200ELNS1_3gpuE4ELNS1_3repE0EEENS1_60segmented_radix_sort_warp_sort_medium_config_static_selectorELNS0_4arch9wavefront6targetE1EEEvSK_
    .private_segment_fixed_size: 0
    .sgpr_count:     4
    .sgpr_spill_count: 0
    .symbol:         _ZN7rocprim17ROCPRIM_400000_NS6detail17trampoline_kernelINS0_14default_configENS1_36segmented_radix_sort_config_selectorIslEEZNS1_25segmented_radix_sort_implIS3_Lb0EPKsPsPKlPlN2at6native12_GLOBAL__N_18offset_tEEE10hipError_tPvRmT1_PNSt15iterator_traitsISK_E10value_typeET2_T3_PNSL_ISQ_E10value_typeET4_jRbjT5_SW_jjP12ihipStream_tbEUlT_E0_NS1_11comp_targetILNS1_3genE10ELNS1_11target_archE1200ELNS1_3gpuE4ELNS1_3repE0EEENS1_60segmented_radix_sort_warp_sort_medium_config_static_selectorELNS0_4arch9wavefront6targetE1EEEvSK_.kd
    .uniform_work_group_size: 1
    .uses_dynamic_stack: false
    .vgpr_count:     0
    .vgpr_spill_count: 0
    .wavefront_size: 64
  - .args:
      - .offset:         0
        .size:           88
        .value_kind:     by_value
    .group_segment_fixed_size: 0
    .kernarg_segment_align: 8
    .kernarg_segment_size: 88
    .language:       OpenCL C
    .language_version:
      - 2
      - 0
    .max_flat_workgroup_size: 256
    .name:           _ZN7rocprim17ROCPRIM_400000_NS6detail17trampoline_kernelINS0_14default_configENS1_36segmented_radix_sort_config_selectorIslEEZNS1_25segmented_radix_sort_implIS3_Lb0EPKsPsPKlPlN2at6native12_GLOBAL__N_18offset_tEEE10hipError_tPvRmT1_PNSt15iterator_traitsISK_E10value_typeET2_T3_PNSL_ISQ_E10value_typeET4_jRbjT5_SW_jjP12ihipStream_tbEUlT_E0_NS1_11comp_targetILNS1_3genE9ELNS1_11target_archE1100ELNS1_3gpuE3ELNS1_3repE0EEENS1_60segmented_radix_sort_warp_sort_medium_config_static_selectorELNS0_4arch9wavefront6targetE1EEEvSK_
    .private_segment_fixed_size: 0
    .sgpr_count:     4
    .sgpr_spill_count: 0
    .symbol:         _ZN7rocprim17ROCPRIM_400000_NS6detail17trampoline_kernelINS0_14default_configENS1_36segmented_radix_sort_config_selectorIslEEZNS1_25segmented_radix_sort_implIS3_Lb0EPKsPsPKlPlN2at6native12_GLOBAL__N_18offset_tEEE10hipError_tPvRmT1_PNSt15iterator_traitsISK_E10value_typeET2_T3_PNSL_ISQ_E10value_typeET4_jRbjT5_SW_jjP12ihipStream_tbEUlT_E0_NS1_11comp_targetILNS1_3genE9ELNS1_11target_archE1100ELNS1_3gpuE3ELNS1_3repE0EEENS1_60segmented_radix_sort_warp_sort_medium_config_static_selectorELNS0_4arch9wavefront6targetE1EEEvSK_.kd
    .uniform_work_group_size: 1
    .uses_dynamic_stack: false
    .vgpr_count:     0
    .vgpr_spill_count: 0
    .wavefront_size: 64
  - .args:
      - .offset:         0
        .size:           88
        .value_kind:     by_value
    .group_segment_fixed_size: 0
    .kernarg_segment_align: 8
    .kernarg_segment_size: 88
    .language:       OpenCL C
    .language_version:
      - 2
      - 0
    .max_flat_workgroup_size: 256
    .name:           _ZN7rocprim17ROCPRIM_400000_NS6detail17trampoline_kernelINS0_14default_configENS1_36segmented_radix_sort_config_selectorIslEEZNS1_25segmented_radix_sort_implIS3_Lb0EPKsPsPKlPlN2at6native12_GLOBAL__N_18offset_tEEE10hipError_tPvRmT1_PNSt15iterator_traitsISK_E10value_typeET2_T3_PNSL_ISQ_E10value_typeET4_jRbjT5_SW_jjP12ihipStream_tbEUlT_E0_NS1_11comp_targetILNS1_3genE8ELNS1_11target_archE1030ELNS1_3gpuE2ELNS1_3repE0EEENS1_60segmented_radix_sort_warp_sort_medium_config_static_selectorELNS0_4arch9wavefront6targetE1EEEvSK_
    .private_segment_fixed_size: 0
    .sgpr_count:     4
    .sgpr_spill_count: 0
    .symbol:         _ZN7rocprim17ROCPRIM_400000_NS6detail17trampoline_kernelINS0_14default_configENS1_36segmented_radix_sort_config_selectorIslEEZNS1_25segmented_radix_sort_implIS3_Lb0EPKsPsPKlPlN2at6native12_GLOBAL__N_18offset_tEEE10hipError_tPvRmT1_PNSt15iterator_traitsISK_E10value_typeET2_T3_PNSL_ISQ_E10value_typeET4_jRbjT5_SW_jjP12ihipStream_tbEUlT_E0_NS1_11comp_targetILNS1_3genE8ELNS1_11target_archE1030ELNS1_3gpuE2ELNS1_3repE0EEENS1_60segmented_radix_sort_warp_sort_medium_config_static_selectorELNS0_4arch9wavefront6targetE1EEEvSK_.kd
    .uniform_work_group_size: 1
    .uses_dynamic_stack: false
    .vgpr_count:     0
    .vgpr_spill_count: 0
    .wavefront_size: 64
  - .args:
      - .offset:         0
        .size:           88
        .value_kind:     by_value
    .group_segment_fixed_size: 0
    .kernarg_segment_align: 8
    .kernarg_segment_size: 88
    .language:       OpenCL C
    .language_version:
      - 2
      - 0
    .max_flat_workgroup_size: 256
    .name:           _ZN7rocprim17ROCPRIM_400000_NS6detail17trampoline_kernelINS0_14default_configENS1_36segmented_radix_sort_config_selectorIslEEZNS1_25segmented_radix_sort_implIS3_Lb0EPKsPsPKlPlN2at6native12_GLOBAL__N_18offset_tEEE10hipError_tPvRmT1_PNSt15iterator_traitsISK_E10value_typeET2_T3_PNSL_ISQ_E10value_typeET4_jRbjT5_SW_jjP12ihipStream_tbEUlT_E1_NS1_11comp_targetILNS1_3genE0ELNS1_11target_archE4294967295ELNS1_3gpuE0ELNS1_3repE0EEENS1_59segmented_radix_sort_warp_sort_small_config_static_selectorELNS0_4arch9wavefront6targetE1EEEvSK_
    .private_segment_fixed_size: 0
    .sgpr_count:     4
    .sgpr_spill_count: 0
    .symbol:         _ZN7rocprim17ROCPRIM_400000_NS6detail17trampoline_kernelINS0_14default_configENS1_36segmented_radix_sort_config_selectorIslEEZNS1_25segmented_radix_sort_implIS3_Lb0EPKsPsPKlPlN2at6native12_GLOBAL__N_18offset_tEEE10hipError_tPvRmT1_PNSt15iterator_traitsISK_E10value_typeET2_T3_PNSL_ISQ_E10value_typeET4_jRbjT5_SW_jjP12ihipStream_tbEUlT_E1_NS1_11comp_targetILNS1_3genE0ELNS1_11target_archE4294967295ELNS1_3gpuE0ELNS1_3repE0EEENS1_59segmented_radix_sort_warp_sort_small_config_static_selectorELNS0_4arch9wavefront6targetE1EEEvSK_.kd
    .uniform_work_group_size: 1
    .uses_dynamic_stack: false
    .vgpr_count:     0
    .vgpr_spill_count: 0
    .wavefront_size: 64
  - .args:
      - .offset:         0
        .size:           88
        .value_kind:     by_value
    .group_segment_fixed_size: 0
    .kernarg_segment_align: 8
    .kernarg_segment_size: 88
    .language:       OpenCL C
    .language_version:
      - 2
      - 0
    .max_flat_workgroup_size: 256
    .name:           _ZN7rocprim17ROCPRIM_400000_NS6detail17trampoline_kernelINS0_14default_configENS1_36segmented_radix_sort_config_selectorIslEEZNS1_25segmented_radix_sort_implIS3_Lb0EPKsPsPKlPlN2at6native12_GLOBAL__N_18offset_tEEE10hipError_tPvRmT1_PNSt15iterator_traitsISK_E10value_typeET2_T3_PNSL_ISQ_E10value_typeET4_jRbjT5_SW_jjP12ihipStream_tbEUlT_E1_NS1_11comp_targetILNS1_3genE5ELNS1_11target_archE942ELNS1_3gpuE9ELNS1_3repE0EEENS1_59segmented_radix_sort_warp_sort_small_config_static_selectorELNS0_4arch9wavefront6targetE1EEEvSK_
    .private_segment_fixed_size: 0
    .sgpr_count:     4
    .sgpr_spill_count: 0
    .symbol:         _ZN7rocprim17ROCPRIM_400000_NS6detail17trampoline_kernelINS0_14default_configENS1_36segmented_radix_sort_config_selectorIslEEZNS1_25segmented_radix_sort_implIS3_Lb0EPKsPsPKlPlN2at6native12_GLOBAL__N_18offset_tEEE10hipError_tPvRmT1_PNSt15iterator_traitsISK_E10value_typeET2_T3_PNSL_ISQ_E10value_typeET4_jRbjT5_SW_jjP12ihipStream_tbEUlT_E1_NS1_11comp_targetILNS1_3genE5ELNS1_11target_archE942ELNS1_3gpuE9ELNS1_3repE0EEENS1_59segmented_radix_sort_warp_sort_small_config_static_selectorELNS0_4arch9wavefront6targetE1EEEvSK_.kd
    .uniform_work_group_size: 1
    .uses_dynamic_stack: false
    .vgpr_count:     0
    .vgpr_spill_count: 0
    .wavefront_size: 64
  - .args:
      - .offset:         0
        .size:           88
        .value_kind:     by_value
    .group_segment_fixed_size: 0
    .kernarg_segment_align: 8
    .kernarg_segment_size: 88
    .language:       OpenCL C
    .language_version:
      - 2
      - 0
    .max_flat_workgroup_size: 256
    .name:           _ZN7rocprim17ROCPRIM_400000_NS6detail17trampoline_kernelINS0_14default_configENS1_36segmented_radix_sort_config_selectorIslEEZNS1_25segmented_radix_sort_implIS3_Lb0EPKsPsPKlPlN2at6native12_GLOBAL__N_18offset_tEEE10hipError_tPvRmT1_PNSt15iterator_traitsISK_E10value_typeET2_T3_PNSL_ISQ_E10value_typeET4_jRbjT5_SW_jjP12ihipStream_tbEUlT_E1_NS1_11comp_targetILNS1_3genE4ELNS1_11target_archE910ELNS1_3gpuE8ELNS1_3repE0EEENS1_59segmented_radix_sort_warp_sort_small_config_static_selectorELNS0_4arch9wavefront6targetE1EEEvSK_
    .private_segment_fixed_size: 0
    .sgpr_count:     4
    .sgpr_spill_count: 0
    .symbol:         _ZN7rocprim17ROCPRIM_400000_NS6detail17trampoline_kernelINS0_14default_configENS1_36segmented_radix_sort_config_selectorIslEEZNS1_25segmented_radix_sort_implIS3_Lb0EPKsPsPKlPlN2at6native12_GLOBAL__N_18offset_tEEE10hipError_tPvRmT1_PNSt15iterator_traitsISK_E10value_typeET2_T3_PNSL_ISQ_E10value_typeET4_jRbjT5_SW_jjP12ihipStream_tbEUlT_E1_NS1_11comp_targetILNS1_3genE4ELNS1_11target_archE910ELNS1_3gpuE8ELNS1_3repE0EEENS1_59segmented_radix_sort_warp_sort_small_config_static_selectorELNS0_4arch9wavefront6targetE1EEEvSK_.kd
    .uniform_work_group_size: 1
    .uses_dynamic_stack: false
    .vgpr_count:     0
    .vgpr_spill_count: 0
    .wavefront_size: 64
  - .args:
      - .offset:         0
        .size:           88
        .value_kind:     by_value
    .group_segment_fixed_size: 0
    .kernarg_segment_align: 8
    .kernarg_segment_size: 88
    .language:       OpenCL C
    .language_version:
      - 2
      - 0
    .max_flat_workgroup_size: 256
    .name:           _ZN7rocprim17ROCPRIM_400000_NS6detail17trampoline_kernelINS0_14default_configENS1_36segmented_radix_sort_config_selectorIslEEZNS1_25segmented_radix_sort_implIS3_Lb0EPKsPsPKlPlN2at6native12_GLOBAL__N_18offset_tEEE10hipError_tPvRmT1_PNSt15iterator_traitsISK_E10value_typeET2_T3_PNSL_ISQ_E10value_typeET4_jRbjT5_SW_jjP12ihipStream_tbEUlT_E1_NS1_11comp_targetILNS1_3genE3ELNS1_11target_archE908ELNS1_3gpuE7ELNS1_3repE0EEENS1_59segmented_radix_sort_warp_sort_small_config_static_selectorELNS0_4arch9wavefront6targetE1EEEvSK_
    .private_segment_fixed_size: 0
    .sgpr_count:     4
    .sgpr_spill_count: 0
    .symbol:         _ZN7rocprim17ROCPRIM_400000_NS6detail17trampoline_kernelINS0_14default_configENS1_36segmented_radix_sort_config_selectorIslEEZNS1_25segmented_radix_sort_implIS3_Lb0EPKsPsPKlPlN2at6native12_GLOBAL__N_18offset_tEEE10hipError_tPvRmT1_PNSt15iterator_traitsISK_E10value_typeET2_T3_PNSL_ISQ_E10value_typeET4_jRbjT5_SW_jjP12ihipStream_tbEUlT_E1_NS1_11comp_targetILNS1_3genE3ELNS1_11target_archE908ELNS1_3gpuE7ELNS1_3repE0EEENS1_59segmented_radix_sort_warp_sort_small_config_static_selectorELNS0_4arch9wavefront6targetE1EEEvSK_.kd
    .uniform_work_group_size: 1
    .uses_dynamic_stack: false
    .vgpr_count:     0
    .vgpr_spill_count: 0
    .wavefront_size: 64
  - .args:
      - .offset:         0
        .size:           88
        .value_kind:     by_value
      - .offset:         88
        .size:           4
        .value_kind:     hidden_block_count_x
      - .offset:         92
        .size:           4
        .value_kind:     hidden_block_count_y
      - .offset:         96
        .size:           4
        .value_kind:     hidden_block_count_z
      - .offset:         100
        .size:           2
        .value_kind:     hidden_group_size_x
      - .offset:         102
        .size:           2
        .value_kind:     hidden_group_size_y
      - .offset:         104
        .size:           2
        .value_kind:     hidden_group_size_z
      - .offset:         106
        .size:           2
        .value_kind:     hidden_remainder_x
      - .offset:         108
        .size:           2
        .value_kind:     hidden_remainder_y
      - .offset:         110
        .size:           2
        .value_kind:     hidden_remainder_z
      - .offset:         128
        .size:           8
        .value_kind:     hidden_global_offset_x
      - .offset:         136
        .size:           8
        .value_kind:     hidden_global_offset_y
      - .offset:         144
        .size:           8
        .value_kind:     hidden_global_offset_z
      - .offset:         152
        .size:           2
        .value_kind:     hidden_grid_dims
    .group_segment_fixed_size: 10240
    .kernarg_segment_align: 8
    .kernarg_segment_size: 344
    .language:       OpenCL C
    .language_version:
      - 2
      - 0
    .max_flat_workgroup_size: 256
    .name:           _ZN7rocprim17ROCPRIM_400000_NS6detail17trampoline_kernelINS0_14default_configENS1_36segmented_radix_sort_config_selectorIslEEZNS1_25segmented_radix_sort_implIS3_Lb0EPKsPsPKlPlN2at6native12_GLOBAL__N_18offset_tEEE10hipError_tPvRmT1_PNSt15iterator_traitsISK_E10value_typeET2_T3_PNSL_ISQ_E10value_typeET4_jRbjT5_SW_jjP12ihipStream_tbEUlT_E1_NS1_11comp_targetILNS1_3genE2ELNS1_11target_archE906ELNS1_3gpuE6ELNS1_3repE0EEENS1_59segmented_radix_sort_warp_sort_small_config_static_selectorELNS0_4arch9wavefront6targetE1EEEvSK_
    .private_segment_fixed_size: 0
    .sgpr_count:     52
    .sgpr_spill_count: 0
    .symbol:         _ZN7rocprim17ROCPRIM_400000_NS6detail17trampoline_kernelINS0_14default_configENS1_36segmented_radix_sort_config_selectorIslEEZNS1_25segmented_radix_sort_implIS3_Lb0EPKsPsPKlPlN2at6native12_GLOBAL__N_18offset_tEEE10hipError_tPvRmT1_PNSt15iterator_traitsISK_E10value_typeET2_T3_PNSL_ISQ_E10value_typeET4_jRbjT5_SW_jjP12ihipStream_tbEUlT_E1_NS1_11comp_targetILNS1_3genE2ELNS1_11target_archE906ELNS1_3gpuE6ELNS1_3repE0EEENS1_59segmented_radix_sort_warp_sort_small_config_static_selectorELNS0_4arch9wavefront6targetE1EEEvSK_.kd
    .uniform_work_group_size: 1
    .uses_dynamic_stack: false
    .vgpr_count:     56
    .vgpr_spill_count: 0
    .wavefront_size: 64
  - .args:
      - .offset:         0
        .size:           88
        .value_kind:     by_value
    .group_segment_fixed_size: 0
    .kernarg_segment_align: 8
    .kernarg_segment_size: 88
    .language:       OpenCL C
    .language_version:
      - 2
      - 0
    .max_flat_workgroup_size: 256
    .name:           _ZN7rocprim17ROCPRIM_400000_NS6detail17trampoline_kernelINS0_14default_configENS1_36segmented_radix_sort_config_selectorIslEEZNS1_25segmented_radix_sort_implIS3_Lb0EPKsPsPKlPlN2at6native12_GLOBAL__N_18offset_tEEE10hipError_tPvRmT1_PNSt15iterator_traitsISK_E10value_typeET2_T3_PNSL_ISQ_E10value_typeET4_jRbjT5_SW_jjP12ihipStream_tbEUlT_E1_NS1_11comp_targetILNS1_3genE10ELNS1_11target_archE1201ELNS1_3gpuE5ELNS1_3repE0EEENS1_59segmented_radix_sort_warp_sort_small_config_static_selectorELNS0_4arch9wavefront6targetE1EEEvSK_
    .private_segment_fixed_size: 0
    .sgpr_count:     4
    .sgpr_spill_count: 0
    .symbol:         _ZN7rocprim17ROCPRIM_400000_NS6detail17trampoline_kernelINS0_14default_configENS1_36segmented_radix_sort_config_selectorIslEEZNS1_25segmented_radix_sort_implIS3_Lb0EPKsPsPKlPlN2at6native12_GLOBAL__N_18offset_tEEE10hipError_tPvRmT1_PNSt15iterator_traitsISK_E10value_typeET2_T3_PNSL_ISQ_E10value_typeET4_jRbjT5_SW_jjP12ihipStream_tbEUlT_E1_NS1_11comp_targetILNS1_3genE10ELNS1_11target_archE1201ELNS1_3gpuE5ELNS1_3repE0EEENS1_59segmented_radix_sort_warp_sort_small_config_static_selectorELNS0_4arch9wavefront6targetE1EEEvSK_.kd
    .uniform_work_group_size: 1
    .uses_dynamic_stack: false
    .vgpr_count:     0
    .vgpr_spill_count: 0
    .wavefront_size: 64
  - .args:
      - .offset:         0
        .size:           88
        .value_kind:     by_value
    .group_segment_fixed_size: 0
    .kernarg_segment_align: 8
    .kernarg_segment_size: 88
    .language:       OpenCL C
    .language_version:
      - 2
      - 0
    .max_flat_workgroup_size: 256
    .name:           _ZN7rocprim17ROCPRIM_400000_NS6detail17trampoline_kernelINS0_14default_configENS1_36segmented_radix_sort_config_selectorIslEEZNS1_25segmented_radix_sort_implIS3_Lb0EPKsPsPKlPlN2at6native12_GLOBAL__N_18offset_tEEE10hipError_tPvRmT1_PNSt15iterator_traitsISK_E10value_typeET2_T3_PNSL_ISQ_E10value_typeET4_jRbjT5_SW_jjP12ihipStream_tbEUlT_E1_NS1_11comp_targetILNS1_3genE10ELNS1_11target_archE1200ELNS1_3gpuE4ELNS1_3repE0EEENS1_59segmented_radix_sort_warp_sort_small_config_static_selectorELNS0_4arch9wavefront6targetE1EEEvSK_
    .private_segment_fixed_size: 0
    .sgpr_count:     4
    .sgpr_spill_count: 0
    .symbol:         _ZN7rocprim17ROCPRIM_400000_NS6detail17trampoline_kernelINS0_14default_configENS1_36segmented_radix_sort_config_selectorIslEEZNS1_25segmented_radix_sort_implIS3_Lb0EPKsPsPKlPlN2at6native12_GLOBAL__N_18offset_tEEE10hipError_tPvRmT1_PNSt15iterator_traitsISK_E10value_typeET2_T3_PNSL_ISQ_E10value_typeET4_jRbjT5_SW_jjP12ihipStream_tbEUlT_E1_NS1_11comp_targetILNS1_3genE10ELNS1_11target_archE1200ELNS1_3gpuE4ELNS1_3repE0EEENS1_59segmented_radix_sort_warp_sort_small_config_static_selectorELNS0_4arch9wavefront6targetE1EEEvSK_.kd
    .uniform_work_group_size: 1
    .uses_dynamic_stack: false
    .vgpr_count:     0
    .vgpr_spill_count: 0
    .wavefront_size: 64
  - .args:
      - .offset:         0
        .size:           88
        .value_kind:     by_value
    .group_segment_fixed_size: 0
    .kernarg_segment_align: 8
    .kernarg_segment_size: 88
    .language:       OpenCL C
    .language_version:
      - 2
      - 0
    .max_flat_workgroup_size: 256
    .name:           _ZN7rocprim17ROCPRIM_400000_NS6detail17trampoline_kernelINS0_14default_configENS1_36segmented_radix_sort_config_selectorIslEEZNS1_25segmented_radix_sort_implIS3_Lb0EPKsPsPKlPlN2at6native12_GLOBAL__N_18offset_tEEE10hipError_tPvRmT1_PNSt15iterator_traitsISK_E10value_typeET2_T3_PNSL_ISQ_E10value_typeET4_jRbjT5_SW_jjP12ihipStream_tbEUlT_E1_NS1_11comp_targetILNS1_3genE9ELNS1_11target_archE1100ELNS1_3gpuE3ELNS1_3repE0EEENS1_59segmented_radix_sort_warp_sort_small_config_static_selectorELNS0_4arch9wavefront6targetE1EEEvSK_
    .private_segment_fixed_size: 0
    .sgpr_count:     4
    .sgpr_spill_count: 0
    .symbol:         _ZN7rocprim17ROCPRIM_400000_NS6detail17trampoline_kernelINS0_14default_configENS1_36segmented_radix_sort_config_selectorIslEEZNS1_25segmented_radix_sort_implIS3_Lb0EPKsPsPKlPlN2at6native12_GLOBAL__N_18offset_tEEE10hipError_tPvRmT1_PNSt15iterator_traitsISK_E10value_typeET2_T3_PNSL_ISQ_E10value_typeET4_jRbjT5_SW_jjP12ihipStream_tbEUlT_E1_NS1_11comp_targetILNS1_3genE9ELNS1_11target_archE1100ELNS1_3gpuE3ELNS1_3repE0EEENS1_59segmented_radix_sort_warp_sort_small_config_static_selectorELNS0_4arch9wavefront6targetE1EEEvSK_.kd
    .uniform_work_group_size: 1
    .uses_dynamic_stack: false
    .vgpr_count:     0
    .vgpr_spill_count: 0
    .wavefront_size: 64
  - .args:
      - .offset:         0
        .size:           88
        .value_kind:     by_value
    .group_segment_fixed_size: 0
    .kernarg_segment_align: 8
    .kernarg_segment_size: 88
    .language:       OpenCL C
    .language_version:
      - 2
      - 0
    .max_flat_workgroup_size: 256
    .name:           _ZN7rocprim17ROCPRIM_400000_NS6detail17trampoline_kernelINS0_14default_configENS1_36segmented_radix_sort_config_selectorIslEEZNS1_25segmented_radix_sort_implIS3_Lb0EPKsPsPKlPlN2at6native12_GLOBAL__N_18offset_tEEE10hipError_tPvRmT1_PNSt15iterator_traitsISK_E10value_typeET2_T3_PNSL_ISQ_E10value_typeET4_jRbjT5_SW_jjP12ihipStream_tbEUlT_E1_NS1_11comp_targetILNS1_3genE8ELNS1_11target_archE1030ELNS1_3gpuE2ELNS1_3repE0EEENS1_59segmented_radix_sort_warp_sort_small_config_static_selectorELNS0_4arch9wavefront6targetE1EEEvSK_
    .private_segment_fixed_size: 0
    .sgpr_count:     4
    .sgpr_spill_count: 0
    .symbol:         _ZN7rocprim17ROCPRIM_400000_NS6detail17trampoline_kernelINS0_14default_configENS1_36segmented_radix_sort_config_selectorIslEEZNS1_25segmented_radix_sort_implIS3_Lb0EPKsPsPKlPlN2at6native12_GLOBAL__N_18offset_tEEE10hipError_tPvRmT1_PNSt15iterator_traitsISK_E10value_typeET2_T3_PNSL_ISQ_E10value_typeET4_jRbjT5_SW_jjP12ihipStream_tbEUlT_E1_NS1_11comp_targetILNS1_3genE8ELNS1_11target_archE1030ELNS1_3gpuE2ELNS1_3repE0EEENS1_59segmented_radix_sort_warp_sort_small_config_static_selectorELNS0_4arch9wavefront6targetE1EEEvSK_.kd
    .uniform_work_group_size: 1
    .uses_dynamic_stack: false
    .vgpr_count:     0
    .vgpr_spill_count: 0
    .wavefront_size: 64
  - .args:
      - .offset:         0
        .size:           80
        .value_kind:     by_value
    .group_segment_fixed_size: 0
    .kernarg_segment_align: 8
    .kernarg_segment_size: 80
    .language:       OpenCL C
    .language_version:
      - 2
      - 0
    .max_flat_workgroup_size: 256
    .name:           _ZN7rocprim17ROCPRIM_400000_NS6detail17trampoline_kernelINS0_14default_configENS1_36segmented_radix_sort_config_selectorIslEEZNS1_25segmented_radix_sort_implIS3_Lb0EPKsPsPKlPlN2at6native12_GLOBAL__N_18offset_tEEE10hipError_tPvRmT1_PNSt15iterator_traitsISK_E10value_typeET2_T3_PNSL_ISQ_E10value_typeET4_jRbjT5_SW_jjP12ihipStream_tbEUlT_E2_NS1_11comp_targetILNS1_3genE0ELNS1_11target_archE4294967295ELNS1_3gpuE0ELNS1_3repE0EEENS1_30default_config_static_selectorELNS0_4arch9wavefront6targetE1EEEvSK_
    .private_segment_fixed_size: 0
    .sgpr_count:     4
    .sgpr_spill_count: 0
    .symbol:         _ZN7rocprim17ROCPRIM_400000_NS6detail17trampoline_kernelINS0_14default_configENS1_36segmented_radix_sort_config_selectorIslEEZNS1_25segmented_radix_sort_implIS3_Lb0EPKsPsPKlPlN2at6native12_GLOBAL__N_18offset_tEEE10hipError_tPvRmT1_PNSt15iterator_traitsISK_E10value_typeET2_T3_PNSL_ISQ_E10value_typeET4_jRbjT5_SW_jjP12ihipStream_tbEUlT_E2_NS1_11comp_targetILNS1_3genE0ELNS1_11target_archE4294967295ELNS1_3gpuE0ELNS1_3repE0EEENS1_30default_config_static_selectorELNS0_4arch9wavefront6targetE1EEEvSK_.kd
    .uniform_work_group_size: 1
    .uses_dynamic_stack: false
    .vgpr_count:     0
    .vgpr_spill_count: 0
    .wavefront_size: 64
  - .args:
      - .offset:         0
        .size:           80
        .value_kind:     by_value
    .group_segment_fixed_size: 0
    .kernarg_segment_align: 8
    .kernarg_segment_size: 80
    .language:       OpenCL C
    .language_version:
      - 2
      - 0
    .max_flat_workgroup_size: 256
    .name:           _ZN7rocprim17ROCPRIM_400000_NS6detail17trampoline_kernelINS0_14default_configENS1_36segmented_radix_sort_config_selectorIslEEZNS1_25segmented_radix_sort_implIS3_Lb0EPKsPsPKlPlN2at6native12_GLOBAL__N_18offset_tEEE10hipError_tPvRmT1_PNSt15iterator_traitsISK_E10value_typeET2_T3_PNSL_ISQ_E10value_typeET4_jRbjT5_SW_jjP12ihipStream_tbEUlT_E2_NS1_11comp_targetILNS1_3genE5ELNS1_11target_archE942ELNS1_3gpuE9ELNS1_3repE0EEENS1_30default_config_static_selectorELNS0_4arch9wavefront6targetE1EEEvSK_
    .private_segment_fixed_size: 0
    .sgpr_count:     4
    .sgpr_spill_count: 0
    .symbol:         _ZN7rocprim17ROCPRIM_400000_NS6detail17trampoline_kernelINS0_14default_configENS1_36segmented_radix_sort_config_selectorIslEEZNS1_25segmented_radix_sort_implIS3_Lb0EPKsPsPKlPlN2at6native12_GLOBAL__N_18offset_tEEE10hipError_tPvRmT1_PNSt15iterator_traitsISK_E10value_typeET2_T3_PNSL_ISQ_E10value_typeET4_jRbjT5_SW_jjP12ihipStream_tbEUlT_E2_NS1_11comp_targetILNS1_3genE5ELNS1_11target_archE942ELNS1_3gpuE9ELNS1_3repE0EEENS1_30default_config_static_selectorELNS0_4arch9wavefront6targetE1EEEvSK_.kd
    .uniform_work_group_size: 1
    .uses_dynamic_stack: false
    .vgpr_count:     0
    .vgpr_spill_count: 0
    .wavefront_size: 64
  - .args:
      - .offset:         0
        .size:           80
        .value_kind:     by_value
    .group_segment_fixed_size: 0
    .kernarg_segment_align: 8
    .kernarg_segment_size: 80
    .language:       OpenCL C
    .language_version:
      - 2
      - 0
    .max_flat_workgroup_size: 256
    .name:           _ZN7rocprim17ROCPRIM_400000_NS6detail17trampoline_kernelINS0_14default_configENS1_36segmented_radix_sort_config_selectorIslEEZNS1_25segmented_radix_sort_implIS3_Lb0EPKsPsPKlPlN2at6native12_GLOBAL__N_18offset_tEEE10hipError_tPvRmT1_PNSt15iterator_traitsISK_E10value_typeET2_T3_PNSL_ISQ_E10value_typeET4_jRbjT5_SW_jjP12ihipStream_tbEUlT_E2_NS1_11comp_targetILNS1_3genE4ELNS1_11target_archE910ELNS1_3gpuE8ELNS1_3repE0EEENS1_30default_config_static_selectorELNS0_4arch9wavefront6targetE1EEEvSK_
    .private_segment_fixed_size: 0
    .sgpr_count:     4
    .sgpr_spill_count: 0
    .symbol:         _ZN7rocprim17ROCPRIM_400000_NS6detail17trampoline_kernelINS0_14default_configENS1_36segmented_radix_sort_config_selectorIslEEZNS1_25segmented_radix_sort_implIS3_Lb0EPKsPsPKlPlN2at6native12_GLOBAL__N_18offset_tEEE10hipError_tPvRmT1_PNSt15iterator_traitsISK_E10value_typeET2_T3_PNSL_ISQ_E10value_typeET4_jRbjT5_SW_jjP12ihipStream_tbEUlT_E2_NS1_11comp_targetILNS1_3genE4ELNS1_11target_archE910ELNS1_3gpuE8ELNS1_3repE0EEENS1_30default_config_static_selectorELNS0_4arch9wavefront6targetE1EEEvSK_.kd
    .uniform_work_group_size: 1
    .uses_dynamic_stack: false
    .vgpr_count:     0
    .vgpr_spill_count: 0
    .wavefront_size: 64
  - .args:
      - .offset:         0
        .size:           80
        .value_kind:     by_value
    .group_segment_fixed_size: 0
    .kernarg_segment_align: 8
    .kernarg_segment_size: 80
    .language:       OpenCL C
    .language_version:
      - 2
      - 0
    .max_flat_workgroup_size: 256
    .name:           _ZN7rocprim17ROCPRIM_400000_NS6detail17trampoline_kernelINS0_14default_configENS1_36segmented_radix_sort_config_selectorIslEEZNS1_25segmented_radix_sort_implIS3_Lb0EPKsPsPKlPlN2at6native12_GLOBAL__N_18offset_tEEE10hipError_tPvRmT1_PNSt15iterator_traitsISK_E10value_typeET2_T3_PNSL_ISQ_E10value_typeET4_jRbjT5_SW_jjP12ihipStream_tbEUlT_E2_NS1_11comp_targetILNS1_3genE3ELNS1_11target_archE908ELNS1_3gpuE7ELNS1_3repE0EEENS1_30default_config_static_selectorELNS0_4arch9wavefront6targetE1EEEvSK_
    .private_segment_fixed_size: 0
    .sgpr_count:     4
    .sgpr_spill_count: 0
    .symbol:         _ZN7rocprim17ROCPRIM_400000_NS6detail17trampoline_kernelINS0_14default_configENS1_36segmented_radix_sort_config_selectorIslEEZNS1_25segmented_radix_sort_implIS3_Lb0EPKsPsPKlPlN2at6native12_GLOBAL__N_18offset_tEEE10hipError_tPvRmT1_PNSt15iterator_traitsISK_E10value_typeET2_T3_PNSL_ISQ_E10value_typeET4_jRbjT5_SW_jjP12ihipStream_tbEUlT_E2_NS1_11comp_targetILNS1_3genE3ELNS1_11target_archE908ELNS1_3gpuE7ELNS1_3repE0EEENS1_30default_config_static_selectorELNS0_4arch9wavefront6targetE1EEEvSK_.kd
    .uniform_work_group_size: 1
    .uses_dynamic_stack: false
    .vgpr_count:     0
    .vgpr_spill_count: 0
    .wavefront_size: 64
  - .args:
      - .offset:         0
        .size:           80
        .value_kind:     by_value
      - .offset:         80
        .size:           4
        .value_kind:     hidden_block_count_x
      - .offset:         84
        .size:           4
        .value_kind:     hidden_block_count_y
      - .offset:         88
        .size:           4
        .value_kind:     hidden_block_count_z
      - .offset:         92
        .size:           2
        .value_kind:     hidden_group_size_x
      - .offset:         94
        .size:           2
        .value_kind:     hidden_group_size_y
      - .offset:         96
        .size:           2
        .value_kind:     hidden_group_size_z
      - .offset:         98
        .size:           2
        .value_kind:     hidden_remainder_x
      - .offset:         100
        .size:           2
        .value_kind:     hidden_remainder_y
      - .offset:         102
        .size:           2
        .value_kind:     hidden_remainder_z
      - .offset:         120
        .size:           8
        .value_kind:     hidden_global_offset_x
      - .offset:         128
        .size:           8
        .value_kind:     hidden_global_offset_y
      - .offset:         136
        .size:           8
        .value_kind:     hidden_global_offset_z
      - .offset:         144
        .size:           2
        .value_kind:     hidden_grid_dims
    .group_segment_fixed_size: 10256
    .kernarg_segment_align: 8
    .kernarg_segment_size: 336
    .language:       OpenCL C
    .language_version:
      - 2
      - 0
    .max_flat_workgroup_size: 256
    .name:           _ZN7rocprim17ROCPRIM_400000_NS6detail17trampoline_kernelINS0_14default_configENS1_36segmented_radix_sort_config_selectorIslEEZNS1_25segmented_radix_sort_implIS3_Lb0EPKsPsPKlPlN2at6native12_GLOBAL__N_18offset_tEEE10hipError_tPvRmT1_PNSt15iterator_traitsISK_E10value_typeET2_T3_PNSL_ISQ_E10value_typeET4_jRbjT5_SW_jjP12ihipStream_tbEUlT_E2_NS1_11comp_targetILNS1_3genE2ELNS1_11target_archE906ELNS1_3gpuE6ELNS1_3repE0EEENS1_30default_config_static_selectorELNS0_4arch9wavefront6targetE1EEEvSK_
    .private_segment_fixed_size: 0
    .sgpr_count:     81
    .sgpr_spill_count: 0
    .symbol:         _ZN7rocprim17ROCPRIM_400000_NS6detail17trampoline_kernelINS0_14default_configENS1_36segmented_radix_sort_config_selectorIslEEZNS1_25segmented_radix_sort_implIS3_Lb0EPKsPsPKlPlN2at6native12_GLOBAL__N_18offset_tEEE10hipError_tPvRmT1_PNSt15iterator_traitsISK_E10value_typeET2_T3_PNSL_ISQ_E10value_typeET4_jRbjT5_SW_jjP12ihipStream_tbEUlT_E2_NS1_11comp_targetILNS1_3genE2ELNS1_11target_archE906ELNS1_3gpuE6ELNS1_3repE0EEENS1_30default_config_static_selectorELNS0_4arch9wavefront6targetE1EEEvSK_.kd
    .uniform_work_group_size: 1
    .uses_dynamic_stack: false
    .vgpr_count:     95
    .vgpr_spill_count: 0
    .wavefront_size: 64
  - .args:
      - .offset:         0
        .size:           80
        .value_kind:     by_value
    .group_segment_fixed_size: 0
    .kernarg_segment_align: 8
    .kernarg_segment_size: 80
    .language:       OpenCL C
    .language_version:
      - 2
      - 0
    .max_flat_workgroup_size: 256
    .name:           _ZN7rocprim17ROCPRIM_400000_NS6detail17trampoline_kernelINS0_14default_configENS1_36segmented_radix_sort_config_selectorIslEEZNS1_25segmented_radix_sort_implIS3_Lb0EPKsPsPKlPlN2at6native12_GLOBAL__N_18offset_tEEE10hipError_tPvRmT1_PNSt15iterator_traitsISK_E10value_typeET2_T3_PNSL_ISQ_E10value_typeET4_jRbjT5_SW_jjP12ihipStream_tbEUlT_E2_NS1_11comp_targetILNS1_3genE10ELNS1_11target_archE1201ELNS1_3gpuE5ELNS1_3repE0EEENS1_30default_config_static_selectorELNS0_4arch9wavefront6targetE1EEEvSK_
    .private_segment_fixed_size: 0
    .sgpr_count:     4
    .sgpr_spill_count: 0
    .symbol:         _ZN7rocprim17ROCPRIM_400000_NS6detail17trampoline_kernelINS0_14default_configENS1_36segmented_radix_sort_config_selectorIslEEZNS1_25segmented_radix_sort_implIS3_Lb0EPKsPsPKlPlN2at6native12_GLOBAL__N_18offset_tEEE10hipError_tPvRmT1_PNSt15iterator_traitsISK_E10value_typeET2_T3_PNSL_ISQ_E10value_typeET4_jRbjT5_SW_jjP12ihipStream_tbEUlT_E2_NS1_11comp_targetILNS1_3genE10ELNS1_11target_archE1201ELNS1_3gpuE5ELNS1_3repE0EEENS1_30default_config_static_selectorELNS0_4arch9wavefront6targetE1EEEvSK_.kd
    .uniform_work_group_size: 1
    .uses_dynamic_stack: false
    .vgpr_count:     0
    .vgpr_spill_count: 0
    .wavefront_size: 64
  - .args:
      - .offset:         0
        .size:           80
        .value_kind:     by_value
    .group_segment_fixed_size: 0
    .kernarg_segment_align: 8
    .kernarg_segment_size: 80
    .language:       OpenCL C
    .language_version:
      - 2
      - 0
    .max_flat_workgroup_size: 128
    .name:           _ZN7rocprim17ROCPRIM_400000_NS6detail17trampoline_kernelINS0_14default_configENS1_36segmented_radix_sort_config_selectorIslEEZNS1_25segmented_radix_sort_implIS3_Lb0EPKsPsPKlPlN2at6native12_GLOBAL__N_18offset_tEEE10hipError_tPvRmT1_PNSt15iterator_traitsISK_E10value_typeET2_T3_PNSL_ISQ_E10value_typeET4_jRbjT5_SW_jjP12ihipStream_tbEUlT_E2_NS1_11comp_targetILNS1_3genE10ELNS1_11target_archE1200ELNS1_3gpuE4ELNS1_3repE0EEENS1_30default_config_static_selectorELNS0_4arch9wavefront6targetE1EEEvSK_
    .private_segment_fixed_size: 0
    .sgpr_count:     4
    .sgpr_spill_count: 0
    .symbol:         _ZN7rocprim17ROCPRIM_400000_NS6detail17trampoline_kernelINS0_14default_configENS1_36segmented_radix_sort_config_selectorIslEEZNS1_25segmented_radix_sort_implIS3_Lb0EPKsPsPKlPlN2at6native12_GLOBAL__N_18offset_tEEE10hipError_tPvRmT1_PNSt15iterator_traitsISK_E10value_typeET2_T3_PNSL_ISQ_E10value_typeET4_jRbjT5_SW_jjP12ihipStream_tbEUlT_E2_NS1_11comp_targetILNS1_3genE10ELNS1_11target_archE1200ELNS1_3gpuE4ELNS1_3repE0EEENS1_30default_config_static_selectorELNS0_4arch9wavefront6targetE1EEEvSK_.kd
    .uniform_work_group_size: 1
    .uses_dynamic_stack: false
    .vgpr_count:     0
    .vgpr_spill_count: 0
    .wavefront_size: 64
  - .args:
      - .offset:         0
        .size:           80
        .value_kind:     by_value
    .group_segment_fixed_size: 0
    .kernarg_segment_align: 8
    .kernarg_segment_size: 80
    .language:       OpenCL C
    .language_version:
      - 2
      - 0
    .max_flat_workgroup_size: 256
    .name:           _ZN7rocprim17ROCPRIM_400000_NS6detail17trampoline_kernelINS0_14default_configENS1_36segmented_radix_sort_config_selectorIslEEZNS1_25segmented_radix_sort_implIS3_Lb0EPKsPsPKlPlN2at6native12_GLOBAL__N_18offset_tEEE10hipError_tPvRmT1_PNSt15iterator_traitsISK_E10value_typeET2_T3_PNSL_ISQ_E10value_typeET4_jRbjT5_SW_jjP12ihipStream_tbEUlT_E2_NS1_11comp_targetILNS1_3genE9ELNS1_11target_archE1100ELNS1_3gpuE3ELNS1_3repE0EEENS1_30default_config_static_selectorELNS0_4arch9wavefront6targetE1EEEvSK_
    .private_segment_fixed_size: 0
    .sgpr_count:     4
    .sgpr_spill_count: 0
    .symbol:         _ZN7rocprim17ROCPRIM_400000_NS6detail17trampoline_kernelINS0_14default_configENS1_36segmented_radix_sort_config_selectorIslEEZNS1_25segmented_radix_sort_implIS3_Lb0EPKsPsPKlPlN2at6native12_GLOBAL__N_18offset_tEEE10hipError_tPvRmT1_PNSt15iterator_traitsISK_E10value_typeET2_T3_PNSL_ISQ_E10value_typeET4_jRbjT5_SW_jjP12ihipStream_tbEUlT_E2_NS1_11comp_targetILNS1_3genE9ELNS1_11target_archE1100ELNS1_3gpuE3ELNS1_3repE0EEENS1_30default_config_static_selectorELNS0_4arch9wavefront6targetE1EEEvSK_.kd
    .uniform_work_group_size: 1
    .uses_dynamic_stack: false
    .vgpr_count:     0
    .vgpr_spill_count: 0
    .wavefront_size: 64
  - .args:
      - .offset:         0
        .size:           80
        .value_kind:     by_value
    .group_segment_fixed_size: 0
    .kernarg_segment_align: 8
    .kernarg_segment_size: 80
    .language:       OpenCL C
    .language_version:
      - 2
      - 0
    .max_flat_workgroup_size: 256
    .name:           _ZN7rocprim17ROCPRIM_400000_NS6detail17trampoline_kernelINS0_14default_configENS1_36segmented_radix_sort_config_selectorIslEEZNS1_25segmented_radix_sort_implIS3_Lb0EPKsPsPKlPlN2at6native12_GLOBAL__N_18offset_tEEE10hipError_tPvRmT1_PNSt15iterator_traitsISK_E10value_typeET2_T3_PNSL_ISQ_E10value_typeET4_jRbjT5_SW_jjP12ihipStream_tbEUlT_E2_NS1_11comp_targetILNS1_3genE8ELNS1_11target_archE1030ELNS1_3gpuE2ELNS1_3repE0EEENS1_30default_config_static_selectorELNS0_4arch9wavefront6targetE1EEEvSK_
    .private_segment_fixed_size: 0
    .sgpr_count:     4
    .sgpr_spill_count: 0
    .symbol:         _ZN7rocprim17ROCPRIM_400000_NS6detail17trampoline_kernelINS0_14default_configENS1_36segmented_radix_sort_config_selectorIslEEZNS1_25segmented_radix_sort_implIS3_Lb0EPKsPsPKlPlN2at6native12_GLOBAL__N_18offset_tEEE10hipError_tPvRmT1_PNSt15iterator_traitsISK_E10value_typeET2_T3_PNSL_ISQ_E10value_typeET4_jRbjT5_SW_jjP12ihipStream_tbEUlT_E2_NS1_11comp_targetILNS1_3genE8ELNS1_11target_archE1030ELNS1_3gpuE2ELNS1_3repE0EEENS1_30default_config_static_selectorELNS0_4arch9wavefront6targetE1EEEvSK_.kd
    .uniform_work_group_size: 1
    .uses_dynamic_stack: false
    .vgpr_count:     0
    .vgpr_spill_count: 0
    .wavefront_size: 64
  - .args:
      - .address_space:  global
        .offset:         0
        .size:           8
        .value_kind:     global_buffer
      - .address_space:  global
        .offset:         8
        .size:           8
        .value_kind:     global_buffer
      - .address_space:  global
        .offset:         16
        .size:           8
        .value_kind:     global_buffer
      - .address_space:  global
        .offset:         24
        .size:           8
        .value_kind:     global_buffer
      - .offset:         32
        .size:           4
        .value_kind:     by_value
      - .offset:         36
        .size:           4
        .value_kind:     by_value
      - .offset:         40
        .size:           4
        .value_kind:     hidden_block_count_x
      - .offset:         44
        .size:           4
        .value_kind:     hidden_block_count_y
      - .offset:         48
        .size:           4
        .value_kind:     hidden_block_count_z
      - .offset:         52
        .size:           2
        .value_kind:     hidden_group_size_x
      - .offset:         54
        .size:           2
        .value_kind:     hidden_group_size_y
      - .offset:         56
        .size:           2
        .value_kind:     hidden_group_size_z
      - .offset:         58
        .size:           2
        .value_kind:     hidden_remainder_x
      - .offset:         60
        .size:           2
        .value_kind:     hidden_remainder_y
      - .offset:         62
        .size:           2
        .value_kind:     hidden_remainder_z
      - .offset:         80
        .size:           8
        .value_kind:     hidden_global_offset_x
      - .offset:         88
        .size:           8
        .value_kind:     hidden_global_offset_y
      - .offset:         96
        .size:           8
        .value_kind:     hidden_global_offset_z
      - .offset:         104
        .size:           2
        .value_kind:     hidden_grid_dims
    .group_segment_fixed_size: 0
    .kernarg_segment_align: 8
    .kernarg_segment_size: 296
    .language:       OpenCL C
    .language_version:
      - 2
      - 0
    .max_flat_workgroup_size: 1024
    .name:           _ZN2at6native12_GLOBAL__N_123sort_postprocess_kernelIdEEvPKT_PS3_PlPK15HIP_vector_typeIiLj2EEii
    .private_segment_fixed_size: 0
    .sgpr_count:     23
    .sgpr_spill_count: 0
    .symbol:         _ZN2at6native12_GLOBAL__N_123sort_postprocess_kernelIdEEvPKT_PS3_PlPK15HIP_vector_typeIiLj2EEii.kd
    .uniform_work_group_size: 1
    .uses_dynamic_stack: false
    .vgpr_count:     18
    .vgpr_spill_count: 0
    .wavefront_size: 64
  - .args:
      - .offset:         0
        .size:           176
        .value_kind:     by_value
    .group_segment_fixed_size: 0
    .kernarg_segment_align: 8
    .kernarg_segment_size: 176
    .language:       OpenCL C
    .language_version:
      - 2
      - 0
    .max_flat_workgroup_size: 256
    .name:           _ZN7rocprim17ROCPRIM_400000_NS6detail17trampoline_kernelINS0_13select_configILj256ELj13ELNS0_17block_load_methodE3ELS4_3ELS4_3ELNS0_20block_scan_algorithmE0ELj4294967295EEENS1_25partition_config_selectorILNS1_17partition_subalgoE4EjNS0_10empty_typeEbEEZZNS1_14partition_implILS8_4ELb0ES6_15HIP_vector_typeIjLj2EENS0_17counting_iteratorIjlEEPS9_SG_NS0_5tupleIJPjSI_NS0_16reverse_iteratorISI_EEEEENSH_IJSG_SG_SG_EEES9_SI_JZNS1_25segmented_radix_sort_implINS0_14default_configELb1EPKdPdPKlPlN2at6native12_GLOBAL__N_18offset_tEEE10hipError_tPvRmT1_PNSt15iterator_traitsIS12_E10value_typeET2_T3_PNS13_IS18_E10value_typeET4_jRbjT5_S1E_jjP12ihipStream_tbEUljE_ZNSN_ISO_Lb1ESQ_SR_ST_SU_SY_EESZ_S10_S11_S12_S16_S17_S18_S1B_S1C_jS1D_jS1E_S1E_jjS1G_bEUljE0_EEESZ_S10_S11_S18_S1C_S1E_T6_T7_T9_mT8_S1G_bDpT10_ENKUlT_T0_E_clISt17integral_constantIbLb0EES1U_EEDaS1P_S1Q_EUlS1P_E_NS1_11comp_targetILNS1_3genE0ELNS1_11target_archE4294967295ELNS1_3gpuE0ELNS1_3repE0EEENS1_30default_config_static_selectorELNS0_4arch9wavefront6targetE1EEEvS12_
    .private_segment_fixed_size: 0
    .sgpr_count:     4
    .sgpr_spill_count: 0
    .symbol:         _ZN7rocprim17ROCPRIM_400000_NS6detail17trampoline_kernelINS0_13select_configILj256ELj13ELNS0_17block_load_methodE3ELS4_3ELS4_3ELNS0_20block_scan_algorithmE0ELj4294967295EEENS1_25partition_config_selectorILNS1_17partition_subalgoE4EjNS0_10empty_typeEbEEZZNS1_14partition_implILS8_4ELb0ES6_15HIP_vector_typeIjLj2EENS0_17counting_iteratorIjlEEPS9_SG_NS0_5tupleIJPjSI_NS0_16reverse_iteratorISI_EEEEENSH_IJSG_SG_SG_EEES9_SI_JZNS1_25segmented_radix_sort_implINS0_14default_configELb1EPKdPdPKlPlN2at6native12_GLOBAL__N_18offset_tEEE10hipError_tPvRmT1_PNSt15iterator_traitsIS12_E10value_typeET2_T3_PNS13_IS18_E10value_typeET4_jRbjT5_S1E_jjP12ihipStream_tbEUljE_ZNSN_ISO_Lb1ESQ_SR_ST_SU_SY_EESZ_S10_S11_S12_S16_S17_S18_S1B_S1C_jS1D_jS1E_S1E_jjS1G_bEUljE0_EEESZ_S10_S11_S18_S1C_S1E_T6_T7_T9_mT8_S1G_bDpT10_ENKUlT_T0_E_clISt17integral_constantIbLb0EES1U_EEDaS1P_S1Q_EUlS1P_E_NS1_11comp_targetILNS1_3genE0ELNS1_11target_archE4294967295ELNS1_3gpuE0ELNS1_3repE0EEENS1_30default_config_static_selectorELNS0_4arch9wavefront6targetE1EEEvS12_.kd
    .uniform_work_group_size: 1
    .uses_dynamic_stack: false
    .vgpr_count:     0
    .vgpr_spill_count: 0
    .wavefront_size: 64
  - .args:
      - .offset:         0
        .size:           176
        .value_kind:     by_value
    .group_segment_fixed_size: 0
    .kernarg_segment_align: 8
    .kernarg_segment_size: 176
    .language:       OpenCL C
    .language_version:
      - 2
      - 0
    .max_flat_workgroup_size: 256
    .name:           _ZN7rocprim17ROCPRIM_400000_NS6detail17trampoline_kernelINS0_13select_configILj256ELj13ELNS0_17block_load_methodE3ELS4_3ELS4_3ELNS0_20block_scan_algorithmE0ELj4294967295EEENS1_25partition_config_selectorILNS1_17partition_subalgoE4EjNS0_10empty_typeEbEEZZNS1_14partition_implILS8_4ELb0ES6_15HIP_vector_typeIjLj2EENS0_17counting_iteratorIjlEEPS9_SG_NS0_5tupleIJPjSI_NS0_16reverse_iteratorISI_EEEEENSH_IJSG_SG_SG_EEES9_SI_JZNS1_25segmented_radix_sort_implINS0_14default_configELb1EPKdPdPKlPlN2at6native12_GLOBAL__N_18offset_tEEE10hipError_tPvRmT1_PNSt15iterator_traitsIS12_E10value_typeET2_T3_PNS13_IS18_E10value_typeET4_jRbjT5_S1E_jjP12ihipStream_tbEUljE_ZNSN_ISO_Lb1ESQ_SR_ST_SU_SY_EESZ_S10_S11_S12_S16_S17_S18_S1B_S1C_jS1D_jS1E_S1E_jjS1G_bEUljE0_EEESZ_S10_S11_S18_S1C_S1E_T6_T7_T9_mT8_S1G_bDpT10_ENKUlT_T0_E_clISt17integral_constantIbLb0EES1U_EEDaS1P_S1Q_EUlS1P_E_NS1_11comp_targetILNS1_3genE5ELNS1_11target_archE942ELNS1_3gpuE9ELNS1_3repE0EEENS1_30default_config_static_selectorELNS0_4arch9wavefront6targetE1EEEvS12_
    .private_segment_fixed_size: 0
    .sgpr_count:     4
    .sgpr_spill_count: 0
    .symbol:         _ZN7rocprim17ROCPRIM_400000_NS6detail17trampoline_kernelINS0_13select_configILj256ELj13ELNS0_17block_load_methodE3ELS4_3ELS4_3ELNS0_20block_scan_algorithmE0ELj4294967295EEENS1_25partition_config_selectorILNS1_17partition_subalgoE4EjNS0_10empty_typeEbEEZZNS1_14partition_implILS8_4ELb0ES6_15HIP_vector_typeIjLj2EENS0_17counting_iteratorIjlEEPS9_SG_NS0_5tupleIJPjSI_NS0_16reverse_iteratorISI_EEEEENSH_IJSG_SG_SG_EEES9_SI_JZNS1_25segmented_radix_sort_implINS0_14default_configELb1EPKdPdPKlPlN2at6native12_GLOBAL__N_18offset_tEEE10hipError_tPvRmT1_PNSt15iterator_traitsIS12_E10value_typeET2_T3_PNS13_IS18_E10value_typeET4_jRbjT5_S1E_jjP12ihipStream_tbEUljE_ZNSN_ISO_Lb1ESQ_SR_ST_SU_SY_EESZ_S10_S11_S12_S16_S17_S18_S1B_S1C_jS1D_jS1E_S1E_jjS1G_bEUljE0_EEESZ_S10_S11_S18_S1C_S1E_T6_T7_T9_mT8_S1G_bDpT10_ENKUlT_T0_E_clISt17integral_constantIbLb0EES1U_EEDaS1P_S1Q_EUlS1P_E_NS1_11comp_targetILNS1_3genE5ELNS1_11target_archE942ELNS1_3gpuE9ELNS1_3repE0EEENS1_30default_config_static_selectorELNS0_4arch9wavefront6targetE1EEEvS12_.kd
    .uniform_work_group_size: 1
    .uses_dynamic_stack: false
    .vgpr_count:     0
    .vgpr_spill_count: 0
    .wavefront_size: 64
  - .args:
      - .offset:         0
        .size:           176
        .value_kind:     by_value
    .group_segment_fixed_size: 0
    .kernarg_segment_align: 8
    .kernarg_segment_size: 176
    .language:       OpenCL C
    .language_version:
      - 2
      - 0
    .max_flat_workgroup_size: 256
    .name:           _ZN7rocprim17ROCPRIM_400000_NS6detail17trampoline_kernelINS0_13select_configILj256ELj13ELNS0_17block_load_methodE3ELS4_3ELS4_3ELNS0_20block_scan_algorithmE0ELj4294967295EEENS1_25partition_config_selectorILNS1_17partition_subalgoE4EjNS0_10empty_typeEbEEZZNS1_14partition_implILS8_4ELb0ES6_15HIP_vector_typeIjLj2EENS0_17counting_iteratorIjlEEPS9_SG_NS0_5tupleIJPjSI_NS0_16reverse_iteratorISI_EEEEENSH_IJSG_SG_SG_EEES9_SI_JZNS1_25segmented_radix_sort_implINS0_14default_configELb1EPKdPdPKlPlN2at6native12_GLOBAL__N_18offset_tEEE10hipError_tPvRmT1_PNSt15iterator_traitsIS12_E10value_typeET2_T3_PNS13_IS18_E10value_typeET4_jRbjT5_S1E_jjP12ihipStream_tbEUljE_ZNSN_ISO_Lb1ESQ_SR_ST_SU_SY_EESZ_S10_S11_S12_S16_S17_S18_S1B_S1C_jS1D_jS1E_S1E_jjS1G_bEUljE0_EEESZ_S10_S11_S18_S1C_S1E_T6_T7_T9_mT8_S1G_bDpT10_ENKUlT_T0_E_clISt17integral_constantIbLb0EES1U_EEDaS1P_S1Q_EUlS1P_E_NS1_11comp_targetILNS1_3genE4ELNS1_11target_archE910ELNS1_3gpuE8ELNS1_3repE0EEENS1_30default_config_static_selectorELNS0_4arch9wavefront6targetE1EEEvS12_
    .private_segment_fixed_size: 0
    .sgpr_count:     4
    .sgpr_spill_count: 0
    .symbol:         _ZN7rocprim17ROCPRIM_400000_NS6detail17trampoline_kernelINS0_13select_configILj256ELj13ELNS0_17block_load_methodE3ELS4_3ELS4_3ELNS0_20block_scan_algorithmE0ELj4294967295EEENS1_25partition_config_selectorILNS1_17partition_subalgoE4EjNS0_10empty_typeEbEEZZNS1_14partition_implILS8_4ELb0ES6_15HIP_vector_typeIjLj2EENS0_17counting_iteratorIjlEEPS9_SG_NS0_5tupleIJPjSI_NS0_16reverse_iteratorISI_EEEEENSH_IJSG_SG_SG_EEES9_SI_JZNS1_25segmented_radix_sort_implINS0_14default_configELb1EPKdPdPKlPlN2at6native12_GLOBAL__N_18offset_tEEE10hipError_tPvRmT1_PNSt15iterator_traitsIS12_E10value_typeET2_T3_PNS13_IS18_E10value_typeET4_jRbjT5_S1E_jjP12ihipStream_tbEUljE_ZNSN_ISO_Lb1ESQ_SR_ST_SU_SY_EESZ_S10_S11_S12_S16_S17_S18_S1B_S1C_jS1D_jS1E_S1E_jjS1G_bEUljE0_EEESZ_S10_S11_S18_S1C_S1E_T6_T7_T9_mT8_S1G_bDpT10_ENKUlT_T0_E_clISt17integral_constantIbLb0EES1U_EEDaS1P_S1Q_EUlS1P_E_NS1_11comp_targetILNS1_3genE4ELNS1_11target_archE910ELNS1_3gpuE8ELNS1_3repE0EEENS1_30default_config_static_selectorELNS0_4arch9wavefront6targetE1EEEvS12_.kd
    .uniform_work_group_size: 1
    .uses_dynamic_stack: false
    .vgpr_count:     0
    .vgpr_spill_count: 0
    .wavefront_size: 64
  - .args:
      - .offset:         0
        .size:           176
        .value_kind:     by_value
    .group_segment_fixed_size: 0
    .kernarg_segment_align: 8
    .kernarg_segment_size: 176
    .language:       OpenCL C
    .language_version:
      - 2
      - 0
    .max_flat_workgroup_size: 256
    .name:           _ZN7rocprim17ROCPRIM_400000_NS6detail17trampoline_kernelINS0_13select_configILj256ELj13ELNS0_17block_load_methodE3ELS4_3ELS4_3ELNS0_20block_scan_algorithmE0ELj4294967295EEENS1_25partition_config_selectorILNS1_17partition_subalgoE4EjNS0_10empty_typeEbEEZZNS1_14partition_implILS8_4ELb0ES6_15HIP_vector_typeIjLj2EENS0_17counting_iteratorIjlEEPS9_SG_NS0_5tupleIJPjSI_NS0_16reverse_iteratorISI_EEEEENSH_IJSG_SG_SG_EEES9_SI_JZNS1_25segmented_radix_sort_implINS0_14default_configELb1EPKdPdPKlPlN2at6native12_GLOBAL__N_18offset_tEEE10hipError_tPvRmT1_PNSt15iterator_traitsIS12_E10value_typeET2_T3_PNS13_IS18_E10value_typeET4_jRbjT5_S1E_jjP12ihipStream_tbEUljE_ZNSN_ISO_Lb1ESQ_SR_ST_SU_SY_EESZ_S10_S11_S12_S16_S17_S18_S1B_S1C_jS1D_jS1E_S1E_jjS1G_bEUljE0_EEESZ_S10_S11_S18_S1C_S1E_T6_T7_T9_mT8_S1G_bDpT10_ENKUlT_T0_E_clISt17integral_constantIbLb0EES1U_EEDaS1P_S1Q_EUlS1P_E_NS1_11comp_targetILNS1_3genE3ELNS1_11target_archE908ELNS1_3gpuE7ELNS1_3repE0EEENS1_30default_config_static_selectorELNS0_4arch9wavefront6targetE1EEEvS12_
    .private_segment_fixed_size: 0
    .sgpr_count:     4
    .sgpr_spill_count: 0
    .symbol:         _ZN7rocprim17ROCPRIM_400000_NS6detail17trampoline_kernelINS0_13select_configILj256ELj13ELNS0_17block_load_methodE3ELS4_3ELS4_3ELNS0_20block_scan_algorithmE0ELj4294967295EEENS1_25partition_config_selectorILNS1_17partition_subalgoE4EjNS0_10empty_typeEbEEZZNS1_14partition_implILS8_4ELb0ES6_15HIP_vector_typeIjLj2EENS0_17counting_iteratorIjlEEPS9_SG_NS0_5tupleIJPjSI_NS0_16reverse_iteratorISI_EEEEENSH_IJSG_SG_SG_EEES9_SI_JZNS1_25segmented_radix_sort_implINS0_14default_configELb1EPKdPdPKlPlN2at6native12_GLOBAL__N_18offset_tEEE10hipError_tPvRmT1_PNSt15iterator_traitsIS12_E10value_typeET2_T3_PNS13_IS18_E10value_typeET4_jRbjT5_S1E_jjP12ihipStream_tbEUljE_ZNSN_ISO_Lb1ESQ_SR_ST_SU_SY_EESZ_S10_S11_S12_S16_S17_S18_S1B_S1C_jS1D_jS1E_S1E_jjS1G_bEUljE0_EEESZ_S10_S11_S18_S1C_S1E_T6_T7_T9_mT8_S1G_bDpT10_ENKUlT_T0_E_clISt17integral_constantIbLb0EES1U_EEDaS1P_S1Q_EUlS1P_E_NS1_11comp_targetILNS1_3genE3ELNS1_11target_archE908ELNS1_3gpuE7ELNS1_3repE0EEENS1_30default_config_static_selectorELNS0_4arch9wavefront6targetE1EEEvS12_.kd
    .uniform_work_group_size: 1
    .uses_dynamic_stack: false
    .vgpr_count:     0
    .vgpr_spill_count: 0
    .wavefront_size: 64
  - .args:
      - .offset:         0
        .size:           176
        .value_kind:     by_value
    .group_segment_fixed_size: 13328
    .kernarg_segment_align: 8
    .kernarg_segment_size: 176
    .language:       OpenCL C
    .language_version:
      - 2
      - 0
    .max_flat_workgroup_size: 256
    .name:           _ZN7rocprim17ROCPRIM_400000_NS6detail17trampoline_kernelINS0_13select_configILj256ELj13ELNS0_17block_load_methodE3ELS4_3ELS4_3ELNS0_20block_scan_algorithmE0ELj4294967295EEENS1_25partition_config_selectorILNS1_17partition_subalgoE4EjNS0_10empty_typeEbEEZZNS1_14partition_implILS8_4ELb0ES6_15HIP_vector_typeIjLj2EENS0_17counting_iteratorIjlEEPS9_SG_NS0_5tupleIJPjSI_NS0_16reverse_iteratorISI_EEEEENSH_IJSG_SG_SG_EEES9_SI_JZNS1_25segmented_radix_sort_implINS0_14default_configELb1EPKdPdPKlPlN2at6native12_GLOBAL__N_18offset_tEEE10hipError_tPvRmT1_PNSt15iterator_traitsIS12_E10value_typeET2_T3_PNS13_IS18_E10value_typeET4_jRbjT5_S1E_jjP12ihipStream_tbEUljE_ZNSN_ISO_Lb1ESQ_SR_ST_SU_SY_EESZ_S10_S11_S12_S16_S17_S18_S1B_S1C_jS1D_jS1E_S1E_jjS1G_bEUljE0_EEESZ_S10_S11_S18_S1C_S1E_T6_T7_T9_mT8_S1G_bDpT10_ENKUlT_T0_E_clISt17integral_constantIbLb0EES1U_EEDaS1P_S1Q_EUlS1P_E_NS1_11comp_targetILNS1_3genE2ELNS1_11target_archE906ELNS1_3gpuE6ELNS1_3repE0EEENS1_30default_config_static_selectorELNS0_4arch9wavefront6targetE1EEEvS12_
    .private_segment_fixed_size: 0
    .sgpr_count:     94
    .sgpr_spill_count: 0
    .symbol:         _ZN7rocprim17ROCPRIM_400000_NS6detail17trampoline_kernelINS0_13select_configILj256ELj13ELNS0_17block_load_methodE3ELS4_3ELS4_3ELNS0_20block_scan_algorithmE0ELj4294967295EEENS1_25partition_config_selectorILNS1_17partition_subalgoE4EjNS0_10empty_typeEbEEZZNS1_14partition_implILS8_4ELb0ES6_15HIP_vector_typeIjLj2EENS0_17counting_iteratorIjlEEPS9_SG_NS0_5tupleIJPjSI_NS0_16reverse_iteratorISI_EEEEENSH_IJSG_SG_SG_EEES9_SI_JZNS1_25segmented_radix_sort_implINS0_14default_configELb1EPKdPdPKlPlN2at6native12_GLOBAL__N_18offset_tEEE10hipError_tPvRmT1_PNSt15iterator_traitsIS12_E10value_typeET2_T3_PNS13_IS18_E10value_typeET4_jRbjT5_S1E_jjP12ihipStream_tbEUljE_ZNSN_ISO_Lb1ESQ_SR_ST_SU_SY_EESZ_S10_S11_S12_S16_S17_S18_S1B_S1C_jS1D_jS1E_S1E_jjS1G_bEUljE0_EEESZ_S10_S11_S18_S1C_S1E_T6_T7_T9_mT8_S1G_bDpT10_ENKUlT_T0_E_clISt17integral_constantIbLb0EES1U_EEDaS1P_S1Q_EUlS1P_E_NS1_11comp_targetILNS1_3genE2ELNS1_11target_archE906ELNS1_3gpuE6ELNS1_3repE0EEENS1_30default_config_static_selectorELNS0_4arch9wavefront6targetE1EEEvS12_.kd
    .uniform_work_group_size: 1
    .uses_dynamic_stack: false
    .vgpr_count:     86
    .vgpr_spill_count: 0
    .wavefront_size: 64
  - .args:
      - .offset:         0
        .size:           176
        .value_kind:     by_value
    .group_segment_fixed_size: 0
    .kernarg_segment_align: 8
    .kernarg_segment_size: 176
    .language:       OpenCL C
    .language_version:
      - 2
      - 0
    .max_flat_workgroup_size: 256
    .name:           _ZN7rocprim17ROCPRIM_400000_NS6detail17trampoline_kernelINS0_13select_configILj256ELj13ELNS0_17block_load_methodE3ELS4_3ELS4_3ELNS0_20block_scan_algorithmE0ELj4294967295EEENS1_25partition_config_selectorILNS1_17partition_subalgoE4EjNS0_10empty_typeEbEEZZNS1_14partition_implILS8_4ELb0ES6_15HIP_vector_typeIjLj2EENS0_17counting_iteratorIjlEEPS9_SG_NS0_5tupleIJPjSI_NS0_16reverse_iteratorISI_EEEEENSH_IJSG_SG_SG_EEES9_SI_JZNS1_25segmented_radix_sort_implINS0_14default_configELb1EPKdPdPKlPlN2at6native12_GLOBAL__N_18offset_tEEE10hipError_tPvRmT1_PNSt15iterator_traitsIS12_E10value_typeET2_T3_PNS13_IS18_E10value_typeET4_jRbjT5_S1E_jjP12ihipStream_tbEUljE_ZNSN_ISO_Lb1ESQ_SR_ST_SU_SY_EESZ_S10_S11_S12_S16_S17_S18_S1B_S1C_jS1D_jS1E_S1E_jjS1G_bEUljE0_EEESZ_S10_S11_S18_S1C_S1E_T6_T7_T9_mT8_S1G_bDpT10_ENKUlT_T0_E_clISt17integral_constantIbLb0EES1U_EEDaS1P_S1Q_EUlS1P_E_NS1_11comp_targetILNS1_3genE10ELNS1_11target_archE1200ELNS1_3gpuE4ELNS1_3repE0EEENS1_30default_config_static_selectorELNS0_4arch9wavefront6targetE1EEEvS12_
    .private_segment_fixed_size: 0
    .sgpr_count:     4
    .sgpr_spill_count: 0
    .symbol:         _ZN7rocprim17ROCPRIM_400000_NS6detail17trampoline_kernelINS0_13select_configILj256ELj13ELNS0_17block_load_methodE3ELS4_3ELS4_3ELNS0_20block_scan_algorithmE0ELj4294967295EEENS1_25partition_config_selectorILNS1_17partition_subalgoE4EjNS0_10empty_typeEbEEZZNS1_14partition_implILS8_4ELb0ES6_15HIP_vector_typeIjLj2EENS0_17counting_iteratorIjlEEPS9_SG_NS0_5tupleIJPjSI_NS0_16reverse_iteratorISI_EEEEENSH_IJSG_SG_SG_EEES9_SI_JZNS1_25segmented_radix_sort_implINS0_14default_configELb1EPKdPdPKlPlN2at6native12_GLOBAL__N_18offset_tEEE10hipError_tPvRmT1_PNSt15iterator_traitsIS12_E10value_typeET2_T3_PNS13_IS18_E10value_typeET4_jRbjT5_S1E_jjP12ihipStream_tbEUljE_ZNSN_ISO_Lb1ESQ_SR_ST_SU_SY_EESZ_S10_S11_S12_S16_S17_S18_S1B_S1C_jS1D_jS1E_S1E_jjS1G_bEUljE0_EEESZ_S10_S11_S18_S1C_S1E_T6_T7_T9_mT8_S1G_bDpT10_ENKUlT_T0_E_clISt17integral_constantIbLb0EES1U_EEDaS1P_S1Q_EUlS1P_E_NS1_11comp_targetILNS1_3genE10ELNS1_11target_archE1200ELNS1_3gpuE4ELNS1_3repE0EEENS1_30default_config_static_selectorELNS0_4arch9wavefront6targetE1EEEvS12_.kd
    .uniform_work_group_size: 1
    .uses_dynamic_stack: false
    .vgpr_count:     0
    .vgpr_spill_count: 0
    .wavefront_size: 64
  - .args:
      - .offset:         0
        .size:           176
        .value_kind:     by_value
    .group_segment_fixed_size: 0
    .kernarg_segment_align: 8
    .kernarg_segment_size: 176
    .language:       OpenCL C
    .language_version:
      - 2
      - 0
    .max_flat_workgroup_size: 256
    .name:           _ZN7rocprim17ROCPRIM_400000_NS6detail17trampoline_kernelINS0_13select_configILj256ELj13ELNS0_17block_load_methodE3ELS4_3ELS4_3ELNS0_20block_scan_algorithmE0ELj4294967295EEENS1_25partition_config_selectorILNS1_17partition_subalgoE4EjNS0_10empty_typeEbEEZZNS1_14partition_implILS8_4ELb0ES6_15HIP_vector_typeIjLj2EENS0_17counting_iteratorIjlEEPS9_SG_NS0_5tupleIJPjSI_NS0_16reverse_iteratorISI_EEEEENSH_IJSG_SG_SG_EEES9_SI_JZNS1_25segmented_radix_sort_implINS0_14default_configELb1EPKdPdPKlPlN2at6native12_GLOBAL__N_18offset_tEEE10hipError_tPvRmT1_PNSt15iterator_traitsIS12_E10value_typeET2_T3_PNS13_IS18_E10value_typeET4_jRbjT5_S1E_jjP12ihipStream_tbEUljE_ZNSN_ISO_Lb1ESQ_SR_ST_SU_SY_EESZ_S10_S11_S12_S16_S17_S18_S1B_S1C_jS1D_jS1E_S1E_jjS1G_bEUljE0_EEESZ_S10_S11_S18_S1C_S1E_T6_T7_T9_mT8_S1G_bDpT10_ENKUlT_T0_E_clISt17integral_constantIbLb0EES1U_EEDaS1P_S1Q_EUlS1P_E_NS1_11comp_targetILNS1_3genE9ELNS1_11target_archE1100ELNS1_3gpuE3ELNS1_3repE0EEENS1_30default_config_static_selectorELNS0_4arch9wavefront6targetE1EEEvS12_
    .private_segment_fixed_size: 0
    .sgpr_count:     4
    .sgpr_spill_count: 0
    .symbol:         _ZN7rocprim17ROCPRIM_400000_NS6detail17trampoline_kernelINS0_13select_configILj256ELj13ELNS0_17block_load_methodE3ELS4_3ELS4_3ELNS0_20block_scan_algorithmE0ELj4294967295EEENS1_25partition_config_selectorILNS1_17partition_subalgoE4EjNS0_10empty_typeEbEEZZNS1_14partition_implILS8_4ELb0ES6_15HIP_vector_typeIjLj2EENS0_17counting_iteratorIjlEEPS9_SG_NS0_5tupleIJPjSI_NS0_16reverse_iteratorISI_EEEEENSH_IJSG_SG_SG_EEES9_SI_JZNS1_25segmented_radix_sort_implINS0_14default_configELb1EPKdPdPKlPlN2at6native12_GLOBAL__N_18offset_tEEE10hipError_tPvRmT1_PNSt15iterator_traitsIS12_E10value_typeET2_T3_PNS13_IS18_E10value_typeET4_jRbjT5_S1E_jjP12ihipStream_tbEUljE_ZNSN_ISO_Lb1ESQ_SR_ST_SU_SY_EESZ_S10_S11_S12_S16_S17_S18_S1B_S1C_jS1D_jS1E_S1E_jjS1G_bEUljE0_EEESZ_S10_S11_S18_S1C_S1E_T6_T7_T9_mT8_S1G_bDpT10_ENKUlT_T0_E_clISt17integral_constantIbLb0EES1U_EEDaS1P_S1Q_EUlS1P_E_NS1_11comp_targetILNS1_3genE9ELNS1_11target_archE1100ELNS1_3gpuE3ELNS1_3repE0EEENS1_30default_config_static_selectorELNS0_4arch9wavefront6targetE1EEEvS12_.kd
    .uniform_work_group_size: 1
    .uses_dynamic_stack: false
    .vgpr_count:     0
    .vgpr_spill_count: 0
    .wavefront_size: 64
  - .args:
      - .offset:         0
        .size:           176
        .value_kind:     by_value
    .group_segment_fixed_size: 0
    .kernarg_segment_align: 8
    .kernarg_segment_size: 176
    .language:       OpenCL C
    .language_version:
      - 2
      - 0
    .max_flat_workgroup_size: 256
    .name:           _ZN7rocprim17ROCPRIM_400000_NS6detail17trampoline_kernelINS0_13select_configILj256ELj13ELNS0_17block_load_methodE3ELS4_3ELS4_3ELNS0_20block_scan_algorithmE0ELj4294967295EEENS1_25partition_config_selectorILNS1_17partition_subalgoE4EjNS0_10empty_typeEbEEZZNS1_14partition_implILS8_4ELb0ES6_15HIP_vector_typeIjLj2EENS0_17counting_iteratorIjlEEPS9_SG_NS0_5tupleIJPjSI_NS0_16reverse_iteratorISI_EEEEENSH_IJSG_SG_SG_EEES9_SI_JZNS1_25segmented_radix_sort_implINS0_14default_configELb1EPKdPdPKlPlN2at6native12_GLOBAL__N_18offset_tEEE10hipError_tPvRmT1_PNSt15iterator_traitsIS12_E10value_typeET2_T3_PNS13_IS18_E10value_typeET4_jRbjT5_S1E_jjP12ihipStream_tbEUljE_ZNSN_ISO_Lb1ESQ_SR_ST_SU_SY_EESZ_S10_S11_S12_S16_S17_S18_S1B_S1C_jS1D_jS1E_S1E_jjS1G_bEUljE0_EEESZ_S10_S11_S18_S1C_S1E_T6_T7_T9_mT8_S1G_bDpT10_ENKUlT_T0_E_clISt17integral_constantIbLb0EES1U_EEDaS1P_S1Q_EUlS1P_E_NS1_11comp_targetILNS1_3genE8ELNS1_11target_archE1030ELNS1_3gpuE2ELNS1_3repE0EEENS1_30default_config_static_selectorELNS0_4arch9wavefront6targetE1EEEvS12_
    .private_segment_fixed_size: 0
    .sgpr_count:     4
    .sgpr_spill_count: 0
    .symbol:         _ZN7rocprim17ROCPRIM_400000_NS6detail17trampoline_kernelINS0_13select_configILj256ELj13ELNS0_17block_load_methodE3ELS4_3ELS4_3ELNS0_20block_scan_algorithmE0ELj4294967295EEENS1_25partition_config_selectorILNS1_17partition_subalgoE4EjNS0_10empty_typeEbEEZZNS1_14partition_implILS8_4ELb0ES6_15HIP_vector_typeIjLj2EENS0_17counting_iteratorIjlEEPS9_SG_NS0_5tupleIJPjSI_NS0_16reverse_iteratorISI_EEEEENSH_IJSG_SG_SG_EEES9_SI_JZNS1_25segmented_radix_sort_implINS0_14default_configELb1EPKdPdPKlPlN2at6native12_GLOBAL__N_18offset_tEEE10hipError_tPvRmT1_PNSt15iterator_traitsIS12_E10value_typeET2_T3_PNS13_IS18_E10value_typeET4_jRbjT5_S1E_jjP12ihipStream_tbEUljE_ZNSN_ISO_Lb1ESQ_SR_ST_SU_SY_EESZ_S10_S11_S12_S16_S17_S18_S1B_S1C_jS1D_jS1E_S1E_jjS1G_bEUljE0_EEESZ_S10_S11_S18_S1C_S1E_T6_T7_T9_mT8_S1G_bDpT10_ENKUlT_T0_E_clISt17integral_constantIbLb0EES1U_EEDaS1P_S1Q_EUlS1P_E_NS1_11comp_targetILNS1_3genE8ELNS1_11target_archE1030ELNS1_3gpuE2ELNS1_3repE0EEENS1_30default_config_static_selectorELNS0_4arch9wavefront6targetE1EEEvS12_.kd
    .uniform_work_group_size: 1
    .uses_dynamic_stack: false
    .vgpr_count:     0
    .vgpr_spill_count: 0
    .wavefront_size: 64
  - .args:
      - .offset:         0
        .size:           184
        .value_kind:     by_value
    .group_segment_fixed_size: 0
    .kernarg_segment_align: 8
    .kernarg_segment_size: 184
    .language:       OpenCL C
    .language_version:
      - 2
      - 0
    .max_flat_workgroup_size: 256
    .name:           _ZN7rocprim17ROCPRIM_400000_NS6detail17trampoline_kernelINS0_13select_configILj256ELj13ELNS0_17block_load_methodE3ELS4_3ELS4_3ELNS0_20block_scan_algorithmE0ELj4294967295EEENS1_25partition_config_selectorILNS1_17partition_subalgoE4EjNS0_10empty_typeEbEEZZNS1_14partition_implILS8_4ELb0ES6_15HIP_vector_typeIjLj2EENS0_17counting_iteratorIjlEEPS9_SG_NS0_5tupleIJPjSI_NS0_16reverse_iteratorISI_EEEEENSH_IJSG_SG_SG_EEES9_SI_JZNS1_25segmented_radix_sort_implINS0_14default_configELb1EPKdPdPKlPlN2at6native12_GLOBAL__N_18offset_tEEE10hipError_tPvRmT1_PNSt15iterator_traitsIS12_E10value_typeET2_T3_PNS13_IS18_E10value_typeET4_jRbjT5_S1E_jjP12ihipStream_tbEUljE_ZNSN_ISO_Lb1ESQ_SR_ST_SU_SY_EESZ_S10_S11_S12_S16_S17_S18_S1B_S1C_jS1D_jS1E_S1E_jjS1G_bEUljE0_EEESZ_S10_S11_S18_S1C_S1E_T6_T7_T9_mT8_S1G_bDpT10_ENKUlT_T0_E_clISt17integral_constantIbLb1EES1U_EEDaS1P_S1Q_EUlS1P_E_NS1_11comp_targetILNS1_3genE0ELNS1_11target_archE4294967295ELNS1_3gpuE0ELNS1_3repE0EEENS1_30default_config_static_selectorELNS0_4arch9wavefront6targetE1EEEvS12_
    .private_segment_fixed_size: 0
    .sgpr_count:     4
    .sgpr_spill_count: 0
    .symbol:         _ZN7rocprim17ROCPRIM_400000_NS6detail17trampoline_kernelINS0_13select_configILj256ELj13ELNS0_17block_load_methodE3ELS4_3ELS4_3ELNS0_20block_scan_algorithmE0ELj4294967295EEENS1_25partition_config_selectorILNS1_17partition_subalgoE4EjNS0_10empty_typeEbEEZZNS1_14partition_implILS8_4ELb0ES6_15HIP_vector_typeIjLj2EENS0_17counting_iteratorIjlEEPS9_SG_NS0_5tupleIJPjSI_NS0_16reverse_iteratorISI_EEEEENSH_IJSG_SG_SG_EEES9_SI_JZNS1_25segmented_radix_sort_implINS0_14default_configELb1EPKdPdPKlPlN2at6native12_GLOBAL__N_18offset_tEEE10hipError_tPvRmT1_PNSt15iterator_traitsIS12_E10value_typeET2_T3_PNS13_IS18_E10value_typeET4_jRbjT5_S1E_jjP12ihipStream_tbEUljE_ZNSN_ISO_Lb1ESQ_SR_ST_SU_SY_EESZ_S10_S11_S12_S16_S17_S18_S1B_S1C_jS1D_jS1E_S1E_jjS1G_bEUljE0_EEESZ_S10_S11_S18_S1C_S1E_T6_T7_T9_mT8_S1G_bDpT10_ENKUlT_T0_E_clISt17integral_constantIbLb1EES1U_EEDaS1P_S1Q_EUlS1P_E_NS1_11comp_targetILNS1_3genE0ELNS1_11target_archE4294967295ELNS1_3gpuE0ELNS1_3repE0EEENS1_30default_config_static_selectorELNS0_4arch9wavefront6targetE1EEEvS12_.kd
    .uniform_work_group_size: 1
    .uses_dynamic_stack: false
    .vgpr_count:     0
    .vgpr_spill_count: 0
    .wavefront_size: 64
  - .args:
      - .offset:         0
        .size:           184
        .value_kind:     by_value
    .group_segment_fixed_size: 0
    .kernarg_segment_align: 8
    .kernarg_segment_size: 184
    .language:       OpenCL C
    .language_version:
      - 2
      - 0
    .max_flat_workgroup_size: 256
    .name:           _ZN7rocprim17ROCPRIM_400000_NS6detail17trampoline_kernelINS0_13select_configILj256ELj13ELNS0_17block_load_methodE3ELS4_3ELS4_3ELNS0_20block_scan_algorithmE0ELj4294967295EEENS1_25partition_config_selectorILNS1_17partition_subalgoE4EjNS0_10empty_typeEbEEZZNS1_14partition_implILS8_4ELb0ES6_15HIP_vector_typeIjLj2EENS0_17counting_iteratorIjlEEPS9_SG_NS0_5tupleIJPjSI_NS0_16reverse_iteratorISI_EEEEENSH_IJSG_SG_SG_EEES9_SI_JZNS1_25segmented_radix_sort_implINS0_14default_configELb1EPKdPdPKlPlN2at6native12_GLOBAL__N_18offset_tEEE10hipError_tPvRmT1_PNSt15iterator_traitsIS12_E10value_typeET2_T3_PNS13_IS18_E10value_typeET4_jRbjT5_S1E_jjP12ihipStream_tbEUljE_ZNSN_ISO_Lb1ESQ_SR_ST_SU_SY_EESZ_S10_S11_S12_S16_S17_S18_S1B_S1C_jS1D_jS1E_S1E_jjS1G_bEUljE0_EEESZ_S10_S11_S18_S1C_S1E_T6_T7_T9_mT8_S1G_bDpT10_ENKUlT_T0_E_clISt17integral_constantIbLb1EES1U_EEDaS1P_S1Q_EUlS1P_E_NS1_11comp_targetILNS1_3genE5ELNS1_11target_archE942ELNS1_3gpuE9ELNS1_3repE0EEENS1_30default_config_static_selectorELNS0_4arch9wavefront6targetE1EEEvS12_
    .private_segment_fixed_size: 0
    .sgpr_count:     4
    .sgpr_spill_count: 0
    .symbol:         _ZN7rocprim17ROCPRIM_400000_NS6detail17trampoline_kernelINS0_13select_configILj256ELj13ELNS0_17block_load_methodE3ELS4_3ELS4_3ELNS0_20block_scan_algorithmE0ELj4294967295EEENS1_25partition_config_selectorILNS1_17partition_subalgoE4EjNS0_10empty_typeEbEEZZNS1_14partition_implILS8_4ELb0ES6_15HIP_vector_typeIjLj2EENS0_17counting_iteratorIjlEEPS9_SG_NS0_5tupleIJPjSI_NS0_16reverse_iteratorISI_EEEEENSH_IJSG_SG_SG_EEES9_SI_JZNS1_25segmented_radix_sort_implINS0_14default_configELb1EPKdPdPKlPlN2at6native12_GLOBAL__N_18offset_tEEE10hipError_tPvRmT1_PNSt15iterator_traitsIS12_E10value_typeET2_T3_PNS13_IS18_E10value_typeET4_jRbjT5_S1E_jjP12ihipStream_tbEUljE_ZNSN_ISO_Lb1ESQ_SR_ST_SU_SY_EESZ_S10_S11_S12_S16_S17_S18_S1B_S1C_jS1D_jS1E_S1E_jjS1G_bEUljE0_EEESZ_S10_S11_S18_S1C_S1E_T6_T7_T9_mT8_S1G_bDpT10_ENKUlT_T0_E_clISt17integral_constantIbLb1EES1U_EEDaS1P_S1Q_EUlS1P_E_NS1_11comp_targetILNS1_3genE5ELNS1_11target_archE942ELNS1_3gpuE9ELNS1_3repE0EEENS1_30default_config_static_selectorELNS0_4arch9wavefront6targetE1EEEvS12_.kd
    .uniform_work_group_size: 1
    .uses_dynamic_stack: false
    .vgpr_count:     0
    .vgpr_spill_count: 0
    .wavefront_size: 64
  - .args:
      - .offset:         0
        .size:           184
        .value_kind:     by_value
    .group_segment_fixed_size: 0
    .kernarg_segment_align: 8
    .kernarg_segment_size: 184
    .language:       OpenCL C
    .language_version:
      - 2
      - 0
    .max_flat_workgroup_size: 256
    .name:           _ZN7rocprim17ROCPRIM_400000_NS6detail17trampoline_kernelINS0_13select_configILj256ELj13ELNS0_17block_load_methodE3ELS4_3ELS4_3ELNS0_20block_scan_algorithmE0ELj4294967295EEENS1_25partition_config_selectorILNS1_17partition_subalgoE4EjNS0_10empty_typeEbEEZZNS1_14partition_implILS8_4ELb0ES6_15HIP_vector_typeIjLj2EENS0_17counting_iteratorIjlEEPS9_SG_NS0_5tupleIJPjSI_NS0_16reverse_iteratorISI_EEEEENSH_IJSG_SG_SG_EEES9_SI_JZNS1_25segmented_radix_sort_implINS0_14default_configELb1EPKdPdPKlPlN2at6native12_GLOBAL__N_18offset_tEEE10hipError_tPvRmT1_PNSt15iterator_traitsIS12_E10value_typeET2_T3_PNS13_IS18_E10value_typeET4_jRbjT5_S1E_jjP12ihipStream_tbEUljE_ZNSN_ISO_Lb1ESQ_SR_ST_SU_SY_EESZ_S10_S11_S12_S16_S17_S18_S1B_S1C_jS1D_jS1E_S1E_jjS1G_bEUljE0_EEESZ_S10_S11_S18_S1C_S1E_T6_T7_T9_mT8_S1G_bDpT10_ENKUlT_T0_E_clISt17integral_constantIbLb1EES1U_EEDaS1P_S1Q_EUlS1P_E_NS1_11comp_targetILNS1_3genE4ELNS1_11target_archE910ELNS1_3gpuE8ELNS1_3repE0EEENS1_30default_config_static_selectorELNS0_4arch9wavefront6targetE1EEEvS12_
    .private_segment_fixed_size: 0
    .sgpr_count:     4
    .sgpr_spill_count: 0
    .symbol:         _ZN7rocprim17ROCPRIM_400000_NS6detail17trampoline_kernelINS0_13select_configILj256ELj13ELNS0_17block_load_methodE3ELS4_3ELS4_3ELNS0_20block_scan_algorithmE0ELj4294967295EEENS1_25partition_config_selectorILNS1_17partition_subalgoE4EjNS0_10empty_typeEbEEZZNS1_14partition_implILS8_4ELb0ES6_15HIP_vector_typeIjLj2EENS0_17counting_iteratorIjlEEPS9_SG_NS0_5tupleIJPjSI_NS0_16reverse_iteratorISI_EEEEENSH_IJSG_SG_SG_EEES9_SI_JZNS1_25segmented_radix_sort_implINS0_14default_configELb1EPKdPdPKlPlN2at6native12_GLOBAL__N_18offset_tEEE10hipError_tPvRmT1_PNSt15iterator_traitsIS12_E10value_typeET2_T3_PNS13_IS18_E10value_typeET4_jRbjT5_S1E_jjP12ihipStream_tbEUljE_ZNSN_ISO_Lb1ESQ_SR_ST_SU_SY_EESZ_S10_S11_S12_S16_S17_S18_S1B_S1C_jS1D_jS1E_S1E_jjS1G_bEUljE0_EEESZ_S10_S11_S18_S1C_S1E_T6_T7_T9_mT8_S1G_bDpT10_ENKUlT_T0_E_clISt17integral_constantIbLb1EES1U_EEDaS1P_S1Q_EUlS1P_E_NS1_11comp_targetILNS1_3genE4ELNS1_11target_archE910ELNS1_3gpuE8ELNS1_3repE0EEENS1_30default_config_static_selectorELNS0_4arch9wavefront6targetE1EEEvS12_.kd
    .uniform_work_group_size: 1
    .uses_dynamic_stack: false
    .vgpr_count:     0
    .vgpr_spill_count: 0
    .wavefront_size: 64
  - .args:
      - .offset:         0
        .size:           184
        .value_kind:     by_value
    .group_segment_fixed_size: 0
    .kernarg_segment_align: 8
    .kernarg_segment_size: 184
    .language:       OpenCL C
    .language_version:
      - 2
      - 0
    .max_flat_workgroup_size: 256
    .name:           _ZN7rocprim17ROCPRIM_400000_NS6detail17trampoline_kernelINS0_13select_configILj256ELj13ELNS0_17block_load_methodE3ELS4_3ELS4_3ELNS0_20block_scan_algorithmE0ELj4294967295EEENS1_25partition_config_selectorILNS1_17partition_subalgoE4EjNS0_10empty_typeEbEEZZNS1_14partition_implILS8_4ELb0ES6_15HIP_vector_typeIjLj2EENS0_17counting_iteratorIjlEEPS9_SG_NS0_5tupleIJPjSI_NS0_16reverse_iteratorISI_EEEEENSH_IJSG_SG_SG_EEES9_SI_JZNS1_25segmented_radix_sort_implINS0_14default_configELb1EPKdPdPKlPlN2at6native12_GLOBAL__N_18offset_tEEE10hipError_tPvRmT1_PNSt15iterator_traitsIS12_E10value_typeET2_T3_PNS13_IS18_E10value_typeET4_jRbjT5_S1E_jjP12ihipStream_tbEUljE_ZNSN_ISO_Lb1ESQ_SR_ST_SU_SY_EESZ_S10_S11_S12_S16_S17_S18_S1B_S1C_jS1D_jS1E_S1E_jjS1G_bEUljE0_EEESZ_S10_S11_S18_S1C_S1E_T6_T7_T9_mT8_S1G_bDpT10_ENKUlT_T0_E_clISt17integral_constantIbLb1EES1U_EEDaS1P_S1Q_EUlS1P_E_NS1_11comp_targetILNS1_3genE3ELNS1_11target_archE908ELNS1_3gpuE7ELNS1_3repE0EEENS1_30default_config_static_selectorELNS0_4arch9wavefront6targetE1EEEvS12_
    .private_segment_fixed_size: 0
    .sgpr_count:     4
    .sgpr_spill_count: 0
    .symbol:         _ZN7rocprim17ROCPRIM_400000_NS6detail17trampoline_kernelINS0_13select_configILj256ELj13ELNS0_17block_load_methodE3ELS4_3ELS4_3ELNS0_20block_scan_algorithmE0ELj4294967295EEENS1_25partition_config_selectorILNS1_17partition_subalgoE4EjNS0_10empty_typeEbEEZZNS1_14partition_implILS8_4ELb0ES6_15HIP_vector_typeIjLj2EENS0_17counting_iteratorIjlEEPS9_SG_NS0_5tupleIJPjSI_NS0_16reverse_iteratorISI_EEEEENSH_IJSG_SG_SG_EEES9_SI_JZNS1_25segmented_radix_sort_implINS0_14default_configELb1EPKdPdPKlPlN2at6native12_GLOBAL__N_18offset_tEEE10hipError_tPvRmT1_PNSt15iterator_traitsIS12_E10value_typeET2_T3_PNS13_IS18_E10value_typeET4_jRbjT5_S1E_jjP12ihipStream_tbEUljE_ZNSN_ISO_Lb1ESQ_SR_ST_SU_SY_EESZ_S10_S11_S12_S16_S17_S18_S1B_S1C_jS1D_jS1E_S1E_jjS1G_bEUljE0_EEESZ_S10_S11_S18_S1C_S1E_T6_T7_T9_mT8_S1G_bDpT10_ENKUlT_T0_E_clISt17integral_constantIbLb1EES1U_EEDaS1P_S1Q_EUlS1P_E_NS1_11comp_targetILNS1_3genE3ELNS1_11target_archE908ELNS1_3gpuE7ELNS1_3repE0EEENS1_30default_config_static_selectorELNS0_4arch9wavefront6targetE1EEEvS12_.kd
    .uniform_work_group_size: 1
    .uses_dynamic_stack: false
    .vgpr_count:     0
    .vgpr_spill_count: 0
    .wavefront_size: 64
  - .args:
      - .offset:         0
        .size:           184
        .value_kind:     by_value
    .group_segment_fixed_size: 0
    .kernarg_segment_align: 8
    .kernarg_segment_size: 184
    .language:       OpenCL C
    .language_version:
      - 2
      - 0
    .max_flat_workgroup_size: 256
    .name:           _ZN7rocprim17ROCPRIM_400000_NS6detail17trampoline_kernelINS0_13select_configILj256ELj13ELNS0_17block_load_methodE3ELS4_3ELS4_3ELNS0_20block_scan_algorithmE0ELj4294967295EEENS1_25partition_config_selectorILNS1_17partition_subalgoE4EjNS0_10empty_typeEbEEZZNS1_14partition_implILS8_4ELb0ES6_15HIP_vector_typeIjLj2EENS0_17counting_iteratorIjlEEPS9_SG_NS0_5tupleIJPjSI_NS0_16reverse_iteratorISI_EEEEENSH_IJSG_SG_SG_EEES9_SI_JZNS1_25segmented_radix_sort_implINS0_14default_configELb1EPKdPdPKlPlN2at6native12_GLOBAL__N_18offset_tEEE10hipError_tPvRmT1_PNSt15iterator_traitsIS12_E10value_typeET2_T3_PNS13_IS18_E10value_typeET4_jRbjT5_S1E_jjP12ihipStream_tbEUljE_ZNSN_ISO_Lb1ESQ_SR_ST_SU_SY_EESZ_S10_S11_S12_S16_S17_S18_S1B_S1C_jS1D_jS1E_S1E_jjS1G_bEUljE0_EEESZ_S10_S11_S18_S1C_S1E_T6_T7_T9_mT8_S1G_bDpT10_ENKUlT_T0_E_clISt17integral_constantIbLb1EES1U_EEDaS1P_S1Q_EUlS1P_E_NS1_11comp_targetILNS1_3genE2ELNS1_11target_archE906ELNS1_3gpuE6ELNS1_3repE0EEENS1_30default_config_static_selectorELNS0_4arch9wavefront6targetE1EEEvS12_
    .private_segment_fixed_size: 0
    .sgpr_count:     4
    .sgpr_spill_count: 0
    .symbol:         _ZN7rocprim17ROCPRIM_400000_NS6detail17trampoline_kernelINS0_13select_configILj256ELj13ELNS0_17block_load_methodE3ELS4_3ELS4_3ELNS0_20block_scan_algorithmE0ELj4294967295EEENS1_25partition_config_selectorILNS1_17partition_subalgoE4EjNS0_10empty_typeEbEEZZNS1_14partition_implILS8_4ELb0ES6_15HIP_vector_typeIjLj2EENS0_17counting_iteratorIjlEEPS9_SG_NS0_5tupleIJPjSI_NS0_16reverse_iteratorISI_EEEEENSH_IJSG_SG_SG_EEES9_SI_JZNS1_25segmented_radix_sort_implINS0_14default_configELb1EPKdPdPKlPlN2at6native12_GLOBAL__N_18offset_tEEE10hipError_tPvRmT1_PNSt15iterator_traitsIS12_E10value_typeET2_T3_PNS13_IS18_E10value_typeET4_jRbjT5_S1E_jjP12ihipStream_tbEUljE_ZNSN_ISO_Lb1ESQ_SR_ST_SU_SY_EESZ_S10_S11_S12_S16_S17_S18_S1B_S1C_jS1D_jS1E_S1E_jjS1G_bEUljE0_EEESZ_S10_S11_S18_S1C_S1E_T6_T7_T9_mT8_S1G_bDpT10_ENKUlT_T0_E_clISt17integral_constantIbLb1EES1U_EEDaS1P_S1Q_EUlS1P_E_NS1_11comp_targetILNS1_3genE2ELNS1_11target_archE906ELNS1_3gpuE6ELNS1_3repE0EEENS1_30default_config_static_selectorELNS0_4arch9wavefront6targetE1EEEvS12_.kd
    .uniform_work_group_size: 1
    .uses_dynamic_stack: false
    .vgpr_count:     0
    .vgpr_spill_count: 0
    .wavefront_size: 64
  - .args:
      - .offset:         0
        .size:           184
        .value_kind:     by_value
    .group_segment_fixed_size: 0
    .kernarg_segment_align: 8
    .kernarg_segment_size: 184
    .language:       OpenCL C
    .language_version:
      - 2
      - 0
    .max_flat_workgroup_size: 256
    .name:           _ZN7rocprim17ROCPRIM_400000_NS6detail17trampoline_kernelINS0_13select_configILj256ELj13ELNS0_17block_load_methodE3ELS4_3ELS4_3ELNS0_20block_scan_algorithmE0ELj4294967295EEENS1_25partition_config_selectorILNS1_17partition_subalgoE4EjNS0_10empty_typeEbEEZZNS1_14partition_implILS8_4ELb0ES6_15HIP_vector_typeIjLj2EENS0_17counting_iteratorIjlEEPS9_SG_NS0_5tupleIJPjSI_NS0_16reverse_iteratorISI_EEEEENSH_IJSG_SG_SG_EEES9_SI_JZNS1_25segmented_radix_sort_implINS0_14default_configELb1EPKdPdPKlPlN2at6native12_GLOBAL__N_18offset_tEEE10hipError_tPvRmT1_PNSt15iterator_traitsIS12_E10value_typeET2_T3_PNS13_IS18_E10value_typeET4_jRbjT5_S1E_jjP12ihipStream_tbEUljE_ZNSN_ISO_Lb1ESQ_SR_ST_SU_SY_EESZ_S10_S11_S12_S16_S17_S18_S1B_S1C_jS1D_jS1E_S1E_jjS1G_bEUljE0_EEESZ_S10_S11_S18_S1C_S1E_T6_T7_T9_mT8_S1G_bDpT10_ENKUlT_T0_E_clISt17integral_constantIbLb1EES1U_EEDaS1P_S1Q_EUlS1P_E_NS1_11comp_targetILNS1_3genE10ELNS1_11target_archE1200ELNS1_3gpuE4ELNS1_3repE0EEENS1_30default_config_static_selectorELNS0_4arch9wavefront6targetE1EEEvS12_
    .private_segment_fixed_size: 0
    .sgpr_count:     4
    .sgpr_spill_count: 0
    .symbol:         _ZN7rocprim17ROCPRIM_400000_NS6detail17trampoline_kernelINS0_13select_configILj256ELj13ELNS0_17block_load_methodE3ELS4_3ELS4_3ELNS0_20block_scan_algorithmE0ELj4294967295EEENS1_25partition_config_selectorILNS1_17partition_subalgoE4EjNS0_10empty_typeEbEEZZNS1_14partition_implILS8_4ELb0ES6_15HIP_vector_typeIjLj2EENS0_17counting_iteratorIjlEEPS9_SG_NS0_5tupleIJPjSI_NS0_16reverse_iteratorISI_EEEEENSH_IJSG_SG_SG_EEES9_SI_JZNS1_25segmented_radix_sort_implINS0_14default_configELb1EPKdPdPKlPlN2at6native12_GLOBAL__N_18offset_tEEE10hipError_tPvRmT1_PNSt15iterator_traitsIS12_E10value_typeET2_T3_PNS13_IS18_E10value_typeET4_jRbjT5_S1E_jjP12ihipStream_tbEUljE_ZNSN_ISO_Lb1ESQ_SR_ST_SU_SY_EESZ_S10_S11_S12_S16_S17_S18_S1B_S1C_jS1D_jS1E_S1E_jjS1G_bEUljE0_EEESZ_S10_S11_S18_S1C_S1E_T6_T7_T9_mT8_S1G_bDpT10_ENKUlT_T0_E_clISt17integral_constantIbLb1EES1U_EEDaS1P_S1Q_EUlS1P_E_NS1_11comp_targetILNS1_3genE10ELNS1_11target_archE1200ELNS1_3gpuE4ELNS1_3repE0EEENS1_30default_config_static_selectorELNS0_4arch9wavefront6targetE1EEEvS12_.kd
    .uniform_work_group_size: 1
    .uses_dynamic_stack: false
    .vgpr_count:     0
    .vgpr_spill_count: 0
    .wavefront_size: 64
  - .args:
      - .offset:         0
        .size:           184
        .value_kind:     by_value
    .group_segment_fixed_size: 0
    .kernarg_segment_align: 8
    .kernarg_segment_size: 184
    .language:       OpenCL C
    .language_version:
      - 2
      - 0
    .max_flat_workgroup_size: 256
    .name:           _ZN7rocprim17ROCPRIM_400000_NS6detail17trampoline_kernelINS0_13select_configILj256ELj13ELNS0_17block_load_methodE3ELS4_3ELS4_3ELNS0_20block_scan_algorithmE0ELj4294967295EEENS1_25partition_config_selectorILNS1_17partition_subalgoE4EjNS0_10empty_typeEbEEZZNS1_14partition_implILS8_4ELb0ES6_15HIP_vector_typeIjLj2EENS0_17counting_iteratorIjlEEPS9_SG_NS0_5tupleIJPjSI_NS0_16reverse_iteratorISI_EEEEENSH_IJSG_SG_SG_EEES9_SI_JZNS1_25segmented_radix_sort_implINS0_14default_configELb1EPKdPdPKlPlN2at6native12_GLOBAL__N_18offset_tEEE10hipError_tPvRmT1_PNSt15iterator_traitsIS12_E10value_typeET2_T3_PNS13_IS18_E10value_typeET4_jRbjT5_S1E_jjP12ihipStream_tbEUljE_ZNSN_ISO_Lb1ESQ_SR_ST_SU_SY_EESZ_S10_S11_S12_S16_S17_S18_S1B_S1C_jS1D_jS1E_S1E_jjS1G_bEUljE0_EEESZ_S10_S11_S18_S1C_S1E_T6_T7_T9_mT8_S1G_bDpT10_ENKUlT_T0_E_clISt17integral_constantIbLb1EES1U_EEDaS1P_S1Q_EUlS1P_E_NS1_11comp_targetILNS1_3genE9ELNS1_11target_archE1100ELNS1_3gpuE3ELNS1_3repE0EEENS1_30default_config_static_selectorELNS0_4arch9wavefront6targetE1EEEvS12_
    .private_segment_fixed_size: 0
    .sgpr_count:     4
    .sgpr_spill_count: 0
    .symbol:         _ZN7rocprim17ROCPRIM_400000_NS6detail17trampoline_kernelINS0_13select_configILj256ELj13ELNS0_17block_load_methodE3ELS4_3ELS4_3ELNS0_20block_scan_algorithmE0ELj4294967295EEENS1_25partition_config_selectorILNS1_17partition_subalgoE4EjNS0_10empty_typeEbEEZZNS1_14partition_implILS8_4ELb0ES6_15HIP_vector_typeIjLj2EENS0_17counting_iteratorIjlEEPS9_SG_NS0_5tupleIJPjSI_NS0_16reverse_iteratorISI_EEEEENSH_IJSG_SG_SG_EEES9_SI_JZNS1_25segmented_radix_sort_implINS0_14default_configELb1EPKdPdPKlPlN2at6native12_GLOBAL__N_18offset_tEEE10hipError_tPvRmT1_PNSt15iterator_traitsIS12_E10value_typeET2_T3_PNS13_IS18_E10value_typeET4_jRbjT5_S1E_jjP12ihipStream_tbEUljE_ZNSN_ISO_Lb1ESQ_SR_ST_SU_SY_EESZ_S10_S11_S12_S16_S17_S18_S1B_S1C_jS1D_jS1E_S1E_jjS1G_bEUljE0_EEESZ_S10_S11_S18_S1C_S1E_T6_T7_T9_mT8_S1G_bDpT10_ENKUlT_T0_E_clISt17integral_constantIbLb1EES1U_EEDaS1P_S1Q_EUlS1P_E_NS1_11comp_targetILNS1_3genE9ELNS1_11target_archE1100ELNS1_3gpuE3ELNS1_3repE0EEENS1_30default_config_static_selectorELNS0_4arch9wavefront6targetE1EEEvS12_.kd
    .uniform_work_group_size: 1
    .uses_dynamic_stack: false
    .vgpr_count:     0
    .vgpr_spill_count: 0
    .wavefront_size: 64
  - .args:
      - .offset:         0
        .size:           184
        .value_kind:     by_value
    .group_segment_fixed_size: 0
    .kernarg_segment_align: 8
    .kernarg_segment_size: 184
    .language:       OpenCL C
    .language_version:
      - 2
      - 0
    .max_flat_workgroup_size: 256
    .name:           _ZN7rocprim17ROCPRIM_400000_NS6detail17trampoline_kernelINS0_13select_configILj256ELj13ELNS0_17block_load_methodE3ELS4_3ELS4_3ELNS0_20block_scan_algorithmE0ELj4294967295EEENS1_25partition_config_selectorILNS1_17partition_subalgoE4EjNS0_10empty_typeEbEEZZNS1_14partition_implILS8_4ELb0ES6_15HIP_vector_typeIjLj2EENS0_17counting_iteratorIjlEEPS9_SG_NS0_5tupleIJPjSI_NS0_16reverse_iteratorISI_EEEEENSH_IJSG_SG_SG_EEES9_SI_JZNS1_25segmented_radix_sort_implINS0_14default_configELb1EPKdPdPKlPlN2at6native12_GLOBAL__N_18offset_tEEE10hipError_tPvRmT1_PNSt15iterator_traitsIS12_E10value_typeET2_T3_PNS13_IS18_E10value_typeET4_jRbjT5_S1E_jjP12ihipStream_tbEUljE_ZNSN_ISO_Lb1ESQ_SR_ST_SU_SY_EESZ_S10_S11_S12_S16_S17_S18_S1B_S1C_jS1D_jS1E_S1E_jjS1G_bEUljE0_EEESZ_S10_S11_S18_S1C_S1E_T6_T7_T9_mT8_S1G_bDpT10_ENKUlT_T0_E_clISt17integral_constantIbLb1EES1U_EEDaS1P_S1Q_EUlS1P_E_NS1_11comp_targetILNS1_3genE8ELNS1_11target_archE1030ELNS1_3gpuE2ELNS1_3repE0EEENS1_30default_config_static_selectorELNS0_4arch9wavefront6targetE1EEEvS12_
    .private_segment_fixed_size: 0
    .sgpr_count:     4
    .sgpr_spill_count: 0
    .symbol:         _ZN7rocprim17ROCPRIM_400000_NS6detail17trampoline_kernelINS0_13select_configILj256ELj13ELNS0_17block_load_methodE3ELS4_3ELS4_3ELNS0_20block_scan_algorithmE0ELj4294967295EEENS1_25partition_config_selectorILNS1_17partition_subalgoE4EjNS0_10empty_typeEbEEZZNS1_14partition_implILS8_4ELb0ES6_15HIP_vector_typeIjLj2EENS0_17counting_iteratorIjlEEPS9_SG_NS0_5tupleIJPjSI_NS0_16reverse_iteratorISI_EEEEENSH_IJSG_SG_SG_EEES9_SI_JZNS1_25segmented_radix_sort_implINS0_14default_configELb1EPKdPdPKlPlN2at6native12_GLOBAL__N_18offset_tEEE10hipError_tPvRmT1_PNSt15iterator_traitsIS12_E10value_typeET2_T3_PNS13_IS18_E10value_typeET4_jRbjT5_S1E_jjP12ihipStream_tbEUljE_ZNSN_ISO_Lb1ESQ_SR_ST_SU_SY_EESZ_S10_S11_S12_S16_S17_S18_S1B_S1C_jS1D_jS1E_S1E_jjS1G_bEUljE0_EEESZ_S10_S11_S18_S1C_S1E_T6_T7_T9_mT8_S1G_bDpT10_ENKUlT_T0_E_clISt17integral_constantIbLb1EES1U_EEDaS1P_S1Q_EUlS1P_E_NS1_11comp_targetILNS1_3genE8ELNS1_11target_archE1030ELNS1_3gpuE2ELNS1_3repE0EEENS1_30default_config_static_selectorELNS0_4arch9wavefront6targetE1EEEvS12_.kd
    .uniform_work_group_size: 1
    .uses_dynamic_stack: false
    .vgpr_count:     0
    .vgpr_spill_count: 0
    .wavefront_size: 64
  - .args:
      - .offset:         0
        .size:           176
        .value_kind:     by_value
    .group_segment_fixed_size: 0
    .kernarg_segment_align: 8
    .kernarg_segment_size: 176
    .language:       OpenCL C
    .language_version:
      - 2
      - 0
    .max_flat_workgroup_size: 256
    .name:           _ZN7rocprim17ROCPRIM_400000_NS6detail17trampoline_kernelINS0_13select_configILj256ELj13ELNS0_17block_load_methodE3ELS4_3ELS4_3ELNS0_20block_scan_algorithmE0ELj4294967295EEENS1_25partition_config_selectorILNS1_17partition_subalgoE4EjNS0_10empty_typeEbEEZZNS1_14partition_implILS8_4ELb0ES6_15HIP_vector_typeIjLj2EENS0_17counting_iteratorIjlEEPS9_SG_NS0_5tupleIJPjSI_NS0_16reverse_iteratorISI_EEEEENSH_IJSG_SG_SG_EEES9_SI_JZNS1_25segmented_radix_sort_implINS0_14default_configELb1EPKdPdPKlPlN2at6native12_GLOBAL__N_18offset_tEEE10hipError_tPvRmT1_PNSt15iterator_traitsIS12_E10value_typeET2_T3_PNS13_IS18_E10value_typeET4_jRbjT5_S1E_jjP12ihipStream_tbEUljE_ZNSN_ISO_Lb1ESQ_SR_ST_SU_SY_EESZ_S10_S11_S12_S16_S17_S18_S1B_S1C_jS1D_jS1E_S1E_jjS1G_bEUljE0_EEESZ_S10_S11_S18_S1C_S1E_T6_T7_T9_mT8_S1G_bDpT10_ENKUlT_T0_E_clISt17integral_constantIbLb1EES1T_IbLb0EEEEDaS1P_S1Q_EUlS1P_E_NS1_11comp_targetILNS1_3genE0ELNS1_11target_archE4294967295ELNS1_3gpuE0ELNS1_3repE0EEENS1_30default_config_static_selectorELNS0_4arch9wavefront6targetE1EEEvS12_
    .private_segment_fixed_size: 0
    .sgpr_count:     4
    .sgpr_spill_count: 0
    .symbol:         _ZN7rocprim17ROCPRIM_400000_NS6detail17trampoline_kernelINS0_13select_configILj256ELj13ELNS0_17block_load_methodE3ELS4_3ELS4_3ELNS0_20block_scan_algorithmE0ELj4294967295EEENS1_25partition_config_selectorILNS1_17partition_subalgoE4EjNS0_10empty_typeEbEEZZNS1_14partition_implILS8_4ELb0ES6_15HIP_vector_typeIjLj2EENS0_17counting_iteratorIjlEEPS9_SG_NS0_5tupleIJPjSI_NS0_16reverse_iteratorISI_EEEEENSH_IJSG_SG_SG_EEES9_SI_JZNS1_25segmented_radix_sort_implINS0_14default_configELb1EPKdPdPKlPlN2at6native12_GLOBAL__N_18offset_tEEE10hipError_tPvRmT1_PNSt15iterator_traitsIS12_E10value_typeET2_T3_PNS13_IS18_E10value_typeET4_jRbjT5_S1E_jjP12ihipStream_tbEUljE_ZNSN_ISO_Lb1ESQ_SR_ST_SU_SY_EESZ_S10_S11_S12_S16_S17_S18_S1B_S1C_jS1D_jS1E_S1E_jjS1G_bEUljE0_EEESZ_S10_S11_S18_S1C_S1E_T6_T7_T9_mT8_S1G_bDpT10_ENKUlT_T0_E_clISt17integral_constantIbLb1EES1T_IbLb0EEEEDaS1P_S1Q_EUlS1P_E_NS1_11comp_targetILNS1_3genE0ELNS1_11target_archE4294967295ELNS1_3gpuE0ELNS1_3repE0EEENS1_30default_config_static_selectorELNS0_4arch9wavefront6targetE1EEEvS12_.kd
    .uniform_work_group_size: 1
    .uses_dynamic_stack: false
    .vgpr_count:     0
    .vgpr_spill_count: 0
    .wavefront_size: 64
  - .args:
      - .offset:         0
        .size:           176
        .value_kind:     by_value
    .group_segment_fixed_size: 0
    .kernarg_segment_align: 8
    .kernarg_segment_size: 176
    .language:       OpenCL C
    .language_version:
      - 2
      - 0
    .max_flat_workgroup_size: 256
    .name:           _ZN7rocprim17ROCPRIM_400000_NS6detail17trampoline_kernelINS0_13select_configILj256ELj13ELNS0_17block_load_methodE3ELS4_3ELS4_3ELNS0_20block_scan_algorithmE0ELj4294967295EEENS1_25partition_config_selectorILNS1_17partition_subalgoE4EjNS0_10empty_typeEbEEZZNS1_14partition_implILS8_4ELb0ES6_15HIP_vector_typeIjLj2EENS0_17counting_iteratorIjlEEPS9_SG_NS0_5tupleIJPjSI_NS0_16reverse_iteratorISI_EEEEENSH_IJSG_SG_SG_EEES9_SI_JZNS1_25segmented_radix_sort_implINS0_14default_configELb1EPKdPdPKlPlN2at6native12_GLOBAL__N_18offset_tEEE10hipError_tPvRmT1_PNSt15iterator_traitsIS12_E10value_typeET2_T3_PNS13_IS18_E10value_typeET4_jRbjT5_S1E_jjP12ihipStream_tbEUljE_ZNSN_ISO_Lb1ESQ_SR_ST_SU_SY_EESZ_S10_S11_S12_S16_S17_S18_S1B_S1C_jS1D_jS1E_S1E_jjS1G_bEUljE0_EEESZ_S10_S11_S18_S1C_S1E_T6_T7_T9_mT8_S1G_bDpT10_ENKUlT_T0_E_clISt17integral_constantIbLb1EES1T_IbLb0EEEEDaS1P_S1Q_EUlS1P_E_NS1_11comp_targetILNS1_3genE5ELNS1_11target_archE942ELNS1_3gpuE9ELNS1_3repE0EEENS1_30default_config_static_selectorELNS0_4arch9wavefront6targetE1EEEvS12_
    .private_segment_fixed_size: 0
    .sgpr_count:     4
    .sgpr_spill_count: 0
    .symbol:         _ZN7rocprim17ROCPRIM_400000_NS6detail17trampoline_kernelINS0_13select_configILj256ELj13ELNS0_17block_load_methodE3ELS4_3ELS4_3ELNS0_20block_scan_algorithmE0ELj4294967295EEENS1_25partition_config_selectorILNS1_17partition_subalgoE4EjNS0_10empty_typeEbEEZZNS1_14partition_implILS8_4ELb0ES6_15HIP_vector_typeIjLj2EENS0_17counting_iteratorIjlEEPS9_SG_NS0_5tupleIJPjSI_NS0_16reverse_iteratorISI_EEEEENSH_IJSG_SG_SG_EEES9_SI_JZNS1_25segmented_radix_sort_implINS0_14default_configELb1EPKdPdPKlPlN2at6native12_GLOBAL__N_18offset_tEEE10hipError_tPvRmT1_PNSt15iterator_traitsIS12_E10value_typeET2_T3_PNS13_IS18_E10value_typeET4_jRbjT5_S1E_jjP12ihipStream_tbEUljE_ZNSN_ISO_Lb1ESQ_SR_ST_SU_SY_EESZ_S10_S11_S12_S16_S17_S18_S1B_S1C_jS1D_jS1E_S1E_jjS1G_bEUljE0_EEESZ_S10_S11_S18_S1C_S1E_T6_T7_T9_mT8_S1G_bDpT10_ENKUlT_T0_E_clISt17integral_constantIbLb1EES1T_IbLb0EEEEDaS1P_S1Q_EUlS1P_E_NS1_11comp_targetILNS1_3genE5ELNS1_11target_archE942ELNS1_3gpuE9ELNS1_3repE0EEENS1_30default_config_static_selectorELNS0_4arch9wavefront6targetE1EEEvS12_.kd
    .uniform_work_group_size: 1
    .uses_dynamic_stack: false
    .vgpr_count:     0
    .vgpr_spill_count: 0
    .wavefront_size: 64
  - .args:
      - .offset:         0
        .size:           176
        .value_kind:     by_value
    .group_segment_fixed_size: 0
    .kernarg_segment_align: 8
    .kernarg_segment_size: 176
    .language:       OpenCL C
    .language_version:
      - 2
      - 0
    .max_flat_workgroup_size: 256
    .name:           _ZN7rocprim17ROCPRIM_400000_NS6detail17trampoline_kernelINS0_13select_configILj256ELj13ELNS0_17block_load_methodE3ELS4_3ELS4_3ELNS0_20block_scan_algorithmE0ELj4294967295EEENS1_25partition_config_selectorILNS1_17partition_subalgoE4EjNS0_10empty_typeEbEEZZNS1_14partition_implILS8_4ELb0ES6_15HIP_vector_typeIjLj2EENS0_17counting_iteratorIjlEEPS9_SG_NS0_5tupleIJPjSI_NS0_16reverse_iteratorISI_EEEEENSH_IJSG_SG_SG_EEES9_SI_JZNS1_25segmented_radix_sort_implINS0_14default_configELb1EPKdPdPKlPlN2at6native12_GLOBAL__N_18offset_tEEE10hipError_tPvRmT1_PNSt15iterator_traitsIS12_E10value_typeET2_T3_PNS13_IS18_E10value_typeET4_jRbjT5_S1E_jjP12ihipStream_tbEUljE_ZNSN_ISO_Lb1ESQ_SR_ST_SU_SY_EESZ_S10_S11_S12_S16_S17_S18_S1B_S1C_jS1D_jS1E_S1E_jjS1G_bEUljE0_EEESZ_S10_S11_S18_S1C_S1E_T6_T7_T9_mT8_S1G_bDpT10_ENKUlT_T0_E_clISt17integral_constantIbLb1EES1T_IbLb0EEEEDaS1P_S1Q_EUlS1P_E_NS1_11comp_targetILNS1_3genE4ELNS1_11target_archE910ELNS1_3gpuE8ELNS1_3repE0EEENS1_30default_config_static_selectorELNS0_4arch9wavefront6targetE1EEEvS12_
    .private_segment_fixed_size: 0
    .sgpr_count:     4
    .sgpr_spill_count: 0
    .symbol:         _ZN7rocprim17ROCPRIM_400000_NS6detail17trampoline_kernelINS0_13select_configILj256ELj13ELNS0_17block_load_methodE3ELS4_3ELS4_3ELNS0_20block_scan_algorithmE0ELj4294967295EEENS1_25partition_config_selectorILNS1_17partition_subalgoE4EjNS0_10empty_typeEbEEZZNS1_14partition_implILS8_4ELb0ES6_15HIP_vector_typeIjLj2EENS0_17counting_iteratorIjlEEPS9_SG_NS0_5tupleIJPjSI_NS0_16reverse_iteratorISI_EEEEENSH_IJSG_SG_SG_EEES9_SI_JZNS1_25segmented_radix_sort_implINS0_14default_configELb1EPKdPdPKlPlN2at6native12_GLOBAL__N_18offset_tEEE10hipError_tPvRmT1_PNSt15iterator_traitsIS12_E10value_typeET2_T3_PNS13_IS18_E10value_typeET4_jRbjT5_S1E_jjP12ihipStream_tbEUljE_ZNSN_ISO_Lb1ESQ_SR_ST_SU_SY_EESZ_S10_S11_S12_S16_S17_S18_S1B_S1C_jS1D_jS1E_S1E_jjS1G_bEUljE0_EEESZ_S10_S11_S18_S1C_S1E_T6_T7_T9_mT8_S1G_bDpT10_ENKUlT_T0_E_clISt17integral_constantIbLb1EES1T_IbLb0EEEEDaS1P_S1Q_EUlS1P_E_NS1_11comp_targetILNS1_3genE4ELNS1_11target_archE910ELNS1_3gpuE8ELNS1_3repE0EEENS1_30default_config_static_selectorELNS0_4arch9wavefront6targetE1EEEvS12_.kd
    .uniform_work_group_size: 1
    .uses_dynamic_stack: false
    .vgpr_count:     0
    .vgpr_spill_count: 0
    .wavefront_size: 64
  - .args:
      - .offset:         0
        .size:           176
        .value_kind:     by_value
    .group_segment_fixed_size: 0
    .kernarg_segment_align: 8
    .kernarg_segment_size: 176
    .language:       OpenCL C
    .language_version:
      - 2
      - 0
    .max_flat_workgroup_size: 256
    .name:           _ZN7rocprim17ROCPRIM_400000_NS6detail17trampoline_kernelINS0_13select_configILj256ELj13ELNS0_17block_load_methodE3ELS4_3ELS4_3ELNS0_20block_scan_algorithmE0ELj4294967295EEENS1_25partition_config_selectorILNS1_17partition_subalgoE4EjNS0_10empty_typeEbEEZZNS1_14partition_implILS8_4ELb0ES6_15HIP_vector_typeIjLj2EENS0_17counting_iteratorIjlEEPS9_SG_NS0_5tupleIJPjSI_NS0_16reverse_iteratorISI_EEEEENSH_IJSG_SG_SG_EEES9_SI_JZNS1_25segmented_radix_sort_implINS0_14default_configELb1EPKdPdPKlPlN2at6native12_GLOBAL__N_18offset_tEEE10hipError_tPvRmT1_PNSt15iterator_traitsIS12_E10value_typeET2_T3_PNS13_IS18_E10value_typeET4_jRbjT5_S1E_jjP12ihipStream_tbEUljE_ZNSN_ISO_Lb1ESQ_SR_ST_SU_SY_EESZ_S10_S11_S12_S16_S17_S18_S1B_S1C_jS1D_jS1E_S1E_jjS1G_bEUljE0_EEESZ_S10_S11_S18_S1C_S1E_T6_T7_T9_mT8_S1G_bDpT10_ENKUlT_T0_E_clISt17integral_constantIbLb1EES1T_IbLb0EEEEDaS1P_S1Q_EUlS1P_E_NS1_11comp_targetILNS1_3genE3ELNS1_11target_archE908ELNS1_3gpuE7ELNS1_3repE0EEENS1_30default_config_static_selectorELNS0_4arch9wavefront6targetE1EEEvS12_
    .private_segment_fixed_size: 0
    .sgpr_count:     4
    .sgpr_spill_count: 0
    .symbol:         _ZN7rocprim17ROCPRIM_400000_NS6detail17trampoline_kernelINS0_13select_configILj256ELj13ELNS0_17block_load_methodE3ELS4_3ELS4_3ELNS0_20block_scan_algorithmE0ELj4294967295EEENS1_25partition_config_selectorILNS1_17partition_subalgoE4EjNS0_10empty_typeEbEEZZNS1_14partition_implILS8_4ELb0ES6_15HIP_vector_typeIjLj2EENS0_17counting_iteratorIjlEEPS9_SG_NS0_5tupleIJPjSI_NS0_16reverse_iteratorISI_EEEEENSH_IJSG_SG_SG_EEES9_SI_JZNS1_25segmented_radix_sort_implINS0_14default_configELb1EPKdPdPKlPlN2at6native12_GLOBAL__N_18offset_tEEE10hipError_tPvRmT1_PNSt15iterator_traitsIS12_E10value_typeET2_T3_PNS13_IS18_E10value_typeET4_jRbjT5_S1E_jjP12ihipStream_tbEUljE_ZNSN_ISO_Lb1ESQ_SR_ST_SU_SY_EESZ_S10_S11_S12_S16_S17_S18_S1B_S1C_jS1D_jS1E_S1E_jjS1G_bEUljE0_EEESZ_S10_S11_S18_S1C_S1E_T6_T7_T9_mT8_S1G_bDpT10_ENKUlT_T0_E_clISt17integral_constantIbLb1EES1T_IbLb0EEEEDaS1P_S1Q_EUlS1P_E_NS1_11comp_targetILNS1_3genE3ELNS1_11target_archE908ELNS1_3gpuE7ELNS1_3repE0EEENS1_30default_config_static_selectorELNS0_4arch9wavefront6targetE1EEEvS12_.kd
    .uniform_work_group_size: 1
    .uses_dynamic_stack: false
    .vgpr_count:     0
    .vgpr_spill_count: 0
    .wavefront_size: 64
  - .args:
      - .offset:         0
        .size:           176
        .value_kind:     by_value
    .group_segment_fixed_size: 0
    .kernarg_segment_align: 8
    .kernarg_segment_size: 176
    .language:       OpenCL C
    .language_version:
      - 2
      - 0
    .max_flat_workgroup_size: 256
    .name:           _ZN7rocprim17ROCPRIM_400000_NS6detail17trampoline_kernelINS0_13select_configILj256ELj13ELNS0_17block_load_methodE3ELS4_3ELS4_3ELNS0_20block_scan_algorithmE0ELj4294967295EEENS1_25partition_config_selectorILNS1_17partition_subalgoE4EjNS0_10empty_typeEbEEZZNS1_14partition_implILS8_4ELb0ES6_15HIP_vector_typeIjLj2EENS0_17counting_iteratorIjlEEPS9_SG_NS0_5tupleIJPjSI_NS0_16reverse_iteratorISI_EEEEENSH_IJSG_SG_SG_EEES9_SI_JZNS1_25segmented_radix_sort_implINS0_14default_configELb1EPKdPdPKlPlN2at6native12_GLOBAL__N_18offset_tEEE10hipError_tPvRmT1_PNSt15iterator_traitsIS12_E10value_typeET2_T3_PNS13_IS18_E10value_typeET4_jRbjT5_S1E_jjP12ihipStream_tbEUljE_ZNSN_ISO_Lb1ESQ_SR_ST_SU_SY_EESZ_S10_S11_S12_S16_S17_S18_S1B_S1C_jS1D_jS1E_S1E_jjS1G_bEUljE0_EEESZ_S10_S11_S18_S1C_S1E_T6_T7_T9_mT8_S1G_bDpT10_ENKUlT_T0_E_clISt17integral_constantIbLb1EES1T_IbLb0EEEEDaS1P_S1Q_EUlS1P_E_NS1_11comp_targetILNS1_3genE2ELNS1_11target_archE906ELNS1_3gpuE6ELNS1_3repE0EEENS1_30default_config_static_selectorELNS0_4arch9wavefront6targetE1EEEvS12_
    .private_segment_fixed_size: 0
    .sgpr_count:     4
    .sgpr_spill_count: 0
    .symbol:         _ZN7rocprim17ROCPRIM_400000_NS6detail17trampoline_kernelINS0_13select_configILj256ELj13ELNS0_17block_load_methodE3ELS4_3ELS4_3ELNS0_20block_scan_algorithmE0ELj4294967295EEENS1_25partition_config_selectorILNS1_17partition_subalgoE4EjNS0_10empty_typeEbEEZZNS1_14partition_implILS8_4ELb0ES6_15HIP_vector_typeIjLj2EENS0_17counting_iteratorIjlEEPS9_SG_NS0_5tupleIJPjSI_NS0_16reverse_iteratorISI_EEEEENSH_IJSG_SG_SG_EEES9_SI_JZNS1_25segmented_radix_sort_implINS0_14default_configELb1EPKdPdPKlPlN2at6native12_GLOBAL__N_18offset_tEEE10hipError_tPvRmT1_PNSt15iterator_traitsIS12_E10value_typeET2_T3_PNS13_IS18_E10value_typeET4_jRbjT5_S1E_jjP12ihipStream_tbEUljE_ZNSN_ISO_Lb1ESQ_SR_ST_SU_SY_EESZ_S10_S11_S12_S16_S17_S18_S1B_S1C_jS1D_jS1E_S1E_jjS1G_bEUljE0_EEESZ_S10_S11_S18_S1C_S1E_T6_T7_T9_mT8_S1G_bDpT10_ENKUlT_T0_E_clISt17integral_constantIbLb1EES1T_IbLb0EEEEDaS1P_S1Q_EUlS1P_E_NS1_11comp_targetILNS1_3genE2ELNS1_11target_archE906ELNS1_3gpuE6ELNS1_3repE0EEENS1_30default_config_static_selectorELNS0_4arch9wavefront6targetE1EEEvS12_.kd
    .uniform_work_group_size: 1
    .uses_dynamic_stack: false
    .vgpr_count:     0
    .vgpr_spill_count: 0
    .wavefront_size: 64
  - .args:
      - .offset:         0
        .size:           176
        .value_kind:     by_value
    .group_segment_fixed_size: 0
    .kernarg_segment_align: 8
    .kernarg_segment_size: 176
    .language:       OpenCL C
    .language_version:
      - 2
      - 0
    .max_flat_workgroup_size: 256
    .name:           _ZN7rocprim17ROCPRIM_400000_NS6detail17trampoline_kernelINS0_13select_configILj256ELj13ELNS0_17block_load_methodE3ELS4_3ELS4_3ELNS0_20block_scan_algorithmE0ELj4294967295EEENS1_25partition_config_selectorILNS1_17partition_subalgoE4EjNS0_10empty_typeEbEEZZNS1_14partition_implILS8_4ELb0ES6_15HIP_vector_typeIjLj2EENS0_17counting_iteratorIjlEEPS9_SG_NS0_5tupleIJPjSI_NS0_16reverse_iteratorISI_EEEEENSH_IJSG_SG_SG_EEES9_SI_JZNS1_25segmented_radix_sort_implINS0_14default_configELb1EPKdPdPKlPlN2at6native12_GLOBAL__N_18offset_tEEE10hipError_tPvRmT1_PNSt15iterator_traitsIS12_E10value_typeET2_T3_PNS13_IS18_E10value_typeET4_jRbjT5_S1E_jjP12ihipStream_tbEUljE_ZNSN_ISO_Lb1ESQ_SR_ST_SU_SY_EESZ_S10_S11_S12_S16_S17_S18_S1B_S1C_jS1D_jS1E_S1E_jjS1G_bEUljE0_EEESZ_S10_S11_S18_S1C_S1E_T6_T7_T9_mT8_S1G_bDpT10_ENKUlT_T0_E_clISt17integral_constantIbLb1EES1T_IbLb0EEEEDaS1P_S1Q_EUlS1P_E_NS1_11comp_targetILNS1_3genE10ELNS1_11target_archE1200ELNS1_3gpuE4ELNS1_3repE0EEENS1_30default_config_static_selectorELNS0_4arch9wavefront6targetE1EEEvS12_
    .private_segment_fixed_size: 0
    .sgpr_count:     4
    .sgpr_spill_count: 0
    .symbol:         _ZN7rocprim17ROCPRIM_400000_NS6detail17trampoline_kernelINS0_13select_configILj256ELj13ELNS0_17block_load_methodE3ELS4_3ELS4_3ELNS0_20block_scan_algorithmE0ELj4294967295EEENS1_25partition_config_selectorILNS1_17partition_subalgoE4EjNS0_10empty_typeEbEEZZNS1_14partition_implILS8_4ELb0ES6_15HIP_vector_typeIjLj2EENS0_17counting_iteratorIjlEEPS9_SG_NS0_5tupleIJPjSI_NS0_16reverse_iteratorISI_EEEEENSH_IJSG_SG_SG_EEES9_SI_JZNS1_25segmented_radix_sort_implINS0_14default_configELb1EPKdPdPKlPlN2at6native12_GLOBAL__N_18offset_tEEE10hipError_tPvRmT1_PNSt15iterator_traitsIS12_E10value_typeET2_T3_PNS13_IS18_E10value_typeET4_jRbjT5_S1E_jjP12ihipStream_tbEUljE_ZNSN_ISO_Lb1ESQ_SR_ST_SU_SY_EESZ_S10_S11_S12_S16_S17_S18_S1B_S1C_jS1D_jS1E_S1E_jjS1G_bEUljE0_EEESZ_S10_S11_S18_S1C_S1E_T6_T7_T9_mT8_S1G_bDpT10_ENKUlT_T0_E_clISt17integral_constantIbLb1EES1T_IbLb0EEEEDaS1P_S1Q_EUlS1P_E_NS1_11comp_targetILNS1_3genE10ELNS1_11target_archE1200ELNS1_3gpuE4ELNS1_3repE0EEENS1_30default_config_static_selectorELNS0_4arch9wavefront6targetE1EEEvS12_.kd
    .uniform_work_group_size: 1
    .uses_dynamic_stack: false
    .vgpr_count:     0
    .vgpr_spill_count: 0
    .wavefront_size: 64
  - .args:
      - .offset:         0
        .size:           176
        .value_kind:     by_value
    .group_segment_fixed_size: 0
    .kernarg_segment_align: 8
    .kernarg_segment_size: 176
    .language:       OpenCL C
    .language_version:
      - 2
      - 0
    .max_flat_workgroup_size: 256
    .name:           _ZN7rocprim17ROCPRIM_400000_NS6detail17trampoline_kernelINS0_13select_configILj256ELj13ELNS0_17block_load_methodE3ELS4_3ELS4_3ELNS0_20block_scan_algorithmE0ELj4294967295EEENS1_25partition_config_selectorILNS1_17partition_subalgoE4EjNS0_10empty_typeEbEEZZNS1_14partition_implILS8_4ELb0ES6_15HIP_vector_typeIjLj2EENS0_17counting_iteratorIjlEEPS9_SG_NS0_5tupleIJPjSI_NS0_16reverse_iteratorISI_EEEEENSH_IJSG_SG_SG_EEES9_SI_JZNS1_25segmented_radix_sort_implINS0_14default_configELb1EPKdPdPKlPlN2at6native12_GLOBAL__N_18offset_tEEE10hipError_tPvRmT1_PNSt15iterator_traitsIS12_E10value_typeET2_T3_PNS13_IS18_E10value_typeET4_jRbjT5_S1E_jjP12ihipStream_tbEUljE_ZNSN_ISO_Lb1ESQ_SR_ST_SU_SY_EESZ_S10_S11_S12_S16_S17_S18_S1B_S1C_jS1D_jS1E_S1E_jjS1G_bEUljE0_EEESZ_S10_S11_S18_S1C_S1E_T6_T7_T9_mT8_S1G_bDpT10_ENKUlT_T0_E_clISt17integral_constantIbLb1EES1T_IbLb0EEEEDaS1P_S1Q_EUlS1P_E_NS1_11comp_targetILNS1_3genE9ELNS1_11target_archE1100ELNS1_3gpuE3ELNS1_3repE0EEENS1_30default_config_static_selectorELNS0_4arch9wavefront6targetE1EEEvS12_
    .private_segment_fixed_size: 0
    .sgpr_count:     4
    .sgpr_spill_count: 0
    .symbol:         _ZN7rocprim17ROCPRIM_400000_NS6detail17trampoline_kernelINS0_13select_configILj256ELj13ELNS0_17block_load_methodE3ELS4_3ELS4_3ELNS0_20block_scan_algorithmE0ELj4294967295EEENS1_25partition_config_selectorILNS1_17partition_subalgoE4EjNS0_10empty_typeEbEEZZNS1_14partition_implILS8_4ELb0ES6_15HIP_vector_typeIjLj2EENS0_17counting_iteratorIjlEEPS9_SG_NS0_5tupleIJPjSI_NS0_16reverse_iteratorISI_EEEEENSH_IJSG_SG_SG_EEES9_SI_JZNS1_25segmented_radix_sort_implINS0_14default_configELb1EPKdPdPKlPlN2at6native12_GLOBAL__N_18offset_tEEE10hipError_tPvRmT1_PNSt15iterator_traitsIS12_E10value_typeET2_T3_PNS13_IS18_E10value_typeET4_jRbjT5_S1E_jjP12ihipStream_tbEUljE_ZNSN_ISO_Lb1ESQ_SR_ST_SU_SY_EESZ_S10_S11_S12_S16_S17_S18_S1B_S1C_jS1D_jS1E_S1E_jjS1G_bEUljE0_EEESZ_S10_S11_S18_S1C_S1E_T6_T7_T9_mT8_S1G_bDpT10_ENKUlT_T0_E_clISt17integral_constantIbLb1EES1T_IbLb0EEEEDaS1P_S1Q_EUlS1P_E_NS1_11comp_targetILNS1_3genE9ELNS1_11target_archE1100ELNS1_3gpuE3ELNS1_3repE0EEENS1_30default_config_static_selectorELNS0_4arch9wavefront6targetE1EEEvS12_.kd
    .uniform_work_group_size: 1
    .uses_dynamic_stack: false
    .vgpr_count:     0
    .vgpr_spill_count: 0
    .wavefront_size: 64
  - .args:
      - .offset:         0
        .size:           176
        .value_kind:     by_value
    .group_segment_fixed_size: 0
    .kernarg_segment_align: 8
    .kernarg_segment_size: 176
    .language:       OpenCL C
    .language_version:
      - 2
      - 0
    .max_flat_workgroup_size: 256
    .name:           _ZN7rocprim17ROCPRIM_400000_NS6detail17trampoline_kernelINS0_13select_configILj256ELj13ELNS0_17block_load_methodE3ELS4_3ELS4_3ELNS0_20block_scan_algorithmE0ELj4294967295EEENS1_25partition_config_selectorILNS1_17partition_subalgoE4EjNS0_10empty_typeEbEEZZNS1_14partition_implILS8_4ELb0ES6_15HIP_vector_typeIjLj2EENS0_17counting_iteratorIjlEEPS9_SG_NS0_5tupleIJPjSI_NS0_16reverse_iteratorISI_EEEEENSH_IJSG_SG_SG_EEES9_SI_JZNS1_25segmented_radix_sort_implINS0_14default_configELb1EPKdPdPKlPlN2at6native12_GLOBAL__N_18offset_tEEE10hipError_tPvRmT1_PNSt15iterator_traitsIS12_E10value_typeET2_T3_PNS13_IS18_E10value_typeET4_jRbjT5_S1E_jjP12ihipStream_tbEUljE_ZNSN_ISO_Lb1ESQ_SR_ST_SU_SY_EESZ_S10_S11_S12_S16_S17_S18_S1B_S1C_jS1D_jS1E_S1E_jjS1G_bEUljE0_EEESZ_S10_S11_S18_S1C_S1E_T6_T7_T9_mT8_S1G_bDpT10_ENKUlT_T0_E_clISt17integral_constantIbLb1EES1T_IbLb0EEEEDaS1P_S1Q_EUlS1P_E_NS1_11comp_targetILNS1_3genE8ELNS1_11target_archE1030ELNS1_3gpuE2ELNS1_3repE0EEENS1_30default_config_static_selectorELNS0_4arch9wavefront6targetE1EEEvS12_
    .private_segment_fixed_size: 0
    .sgpr_count:     4
    .sgpr_spill_count: 0
    .symbol:         _ZN7rocprim17ROCPRIM_400000_NS6detail17trampoline_kernelINS0_13select_configILj256ELj13ELNS0_17block_load_methodE3ELS4_3ELS4_3ELNS0_20block_scan_algorithmE0ELj4294967295EEENS1_25partition_config_selectorILNS1_17partition_subalgoE4EjNS0_10empty_typeEbEEZZNS1_14partition_implILS8_4ELb0ES6_15HIP_vector_typeIjLj2EENS0_17counting_iteratorIjlEEPS9_SG_NS0_5tupleIJPjSI_NS0_16reverse_iteratorISI_EEEEENSH_IJSG_SG_SG_EEES9_SI_JZNS1_25segmented_radix_sort_implINS0_14default_configELb1EPKdPdPKlPlN2at6native12_GLOBAL__N_18offset_tEEE10hipError_tPvRmT1_PNSt15iterator_traitsIS12_E10value_typeET2_T3_PNS13_IS18_E10value_typeET4_jRbjT5_S1E_jjP12ihipStream_tbEUljE_ZNSN_ISO_Lb1ESQ_SR_ST_SU_SY_EESZ_S10_S11_S12_S16_S17_S18_S1B_S1C_jS1D_jS1E_S1E_jjS1G_bEUljE0_EEESZ_S10_S11_S18_S1C_S1E_T6_T7_T9_mT8_S1G_bDpT10_ENKUlT_T0_E_clISt17integral_constantIbLb1EES1T_IbLb0EEEEDaS1P_S1Q_EUlS1P_E_NS1_11comp_targetILNS1_3genE8ELNS1_11target_archE1030ELNS1_3gpuE2ELNS1_3repE0EEENS1_30default_config_static_selectorELNS0_4arch9wavefront6targetE1EEEvS12_.kd
    .uniform_work_group_size: 1
    .uses_dynamic_stack: false
    .vgpr_count:     0
    .vgpr_spill_count: 0
    .wavefront_size: 64
  - .args:
      - .offset:         0
        .size:           184
        .value_kind:     by_value
    .group_segment_fixed_size: 0
    .kernarg_segment_align: 8
    .kernarg_segment_size: 184
    .language:       OpenCL C
    .language_version:
      - 2
      - 0
    .max_flat_workgroup_size: 256
    .name:           _ZN7rocprim17ROCPRIM_400000_NS6detail17trampoline_kernelINS0_13select_configILj256ELj13ELNS0_17block_load_methodE3ELS4_3ELS4_3ELNS0_20block_scan_algorithmE0ELj4294967295EEENS1_25partition_config_selectorILNS1_17partition_subalgoE4EjNS0_10empty_typeEbEEZZNS1_14partition_implILS8_4ELb0ES6_15HIP_vector_typeIjLj2EENS0_17counting_iteratorIjlEEPS9_SG_NS0_5tupleIJPjSI_NS0_16reverse_iteratorISI_EEEEENSH_IJSG_SG_SG_EEES9_SI_JZNS1_25segmented_radix_sort_implINS0_14default_configELb1EPKdPdPKlPlN2at6native12_GLOBAL__N_18offset_tEEE10hipError_tPvRmT1_PNSt15iterator_traitsIS12_E10value_typeET2_T3_PNS13_IS18_E10value_typeET4_jRbjT5_S1E_jjP12ihipStream_tbEUljE_ZNSN_ISO_Lb1ESQ_SR_ST_SU_SY_EESZ_S10_S11_S12_S16_S17_S18_S1B_S1C_jS1D_jS1E_S1E_jjS1G_bEUljE0_EEESZ_S10_S11_S18_S1C_S1E_T6_T7_T9_mT8_S1G_bDpT10_ENKUlT_T0_E_clISt17integral_constantIbLb0EES1T_IbLb1EEEEDaS1P_S1Q_EUlS1P_E_NS1_11comp_targetILNS1_3genE0ELNS1_11target_archE4294967295ELNS1_3gpuE0ELNS1_3repE0EEENS1_30default_config_static_selectorELNS0_4arch9wavefront6targetE1EEEvS12_
    .private_segment_fixed_size: 0
    .sgpr_count:     4
    .sgpr_spill_count: 0
    .symbol:         _ZN7rocprim17ROCPRIM_400000_NS6detail17trampoline_kernelINS0_13select_configILj256ELj13ELNS0_17block_load_methodE3ELS4_3ELS4_3ELNS0_20block_scan_algorithmE0ELj4294967295EEENS1_25partition_config_selectorILNS1_17partition_subalgoE4EjNS0_10empty_typeEbEEZZNS1_14partition_implILS8_4ELb0ES6_15HIP_vector_typeIjLj2EENS0_17counting_iteratorIjlEEPS9_SG_NS0_5tupleIJPjSI_NS0_16reverse_iteratorISI_EEEEENSH_IJSG_SG_SG_EEES9_SI_JZNS1_25segmented_radix_sort_implINS0_14default_configELb1EPKdPdPKlPlN2at6native12_GLOBAL__N_18offset_tEEE10hipError_tPvRmT1_PNSt15iterator_traitsIS12_E10value_typeET2_T3_PNS13_IS18_E10value_typeET4_jRbjT5_S1E_jjP12ihipStream_tbEUljE_ZNSN_ISO_Lb1ESQ_SR_ST_SU_SY_EESZ_S10_S11_S12_S16_S17_S18_S1B_S1C_jS1D_jS1E_S1E_jjS1G_bEUljE0_EEESZ_S10_S11_S18_S1C_S1E_T6_T7_T9_mT8_S1G_bDpT10_ENKUlT_T0_E_clISt17integral_constantIbLb0EES1T_IbLb1EEEEDaS1P_S1Q_EUlS1P_E_NS1_11comp_targetILNS1_3genE0ELNS1_11target_archE4294967295ELNS1_3gpuE0ELNS1_3repE0EEENS1_30default_config_static_selectorELNS0_4arch9wavefront6targetE1EEEvS12_.kd
    .uniform_work_group_size: 1
    .uses_dynamic_stack: false
    .vgpr_count:     0
    .vgpr_spill_count: 0
    .wavefront_size: 64
  - .args:
      - .offset:         0
        .size:           184
        .value_kind:     by_value
    .group_segment_fixed_size: 0
    .kernarg_segment_align: 8
    .kernarg_segment_size: 184
    .language:       OpenCL C
    .language_version:
      - 2
      - 0
    .max_flat_workgroup_size: 256
    .name:           _ZN7rocprim17ROCPRIM_400000_NS6detail17trampoline_kernelINS0_13select_configILj256ELj13ELNS0_17block_load_methodE3ELS4_3ELS4_3ELNS0_20block_scan_algorithmE0ELj4294967295EEENS1_25partition_config_selectorILNS1_17partition_subalgoE4EjNS0_10empty_typeEbEEZZNS1_14partition_implILS8_4ELb0ES6_15HIP_vector_typeIjLj2EENS0_17counting_iteratorIjlEEPS9_SG_NS0_5tupleIJPjSI_NS0_16reverse_iteratorISI_EEEEENSH_IJSG_SG_SG_EEES9_SI_JZNS1_25segmented_radix_sort_implINS0_14default_configELb1EPKdPdPKlPlN2at6native12_GLOBAL__N_18offset_tEEE10hipError_tPvRmT1_PNSt15iterator_traitsIS12_E10value_typeET2_T3_PNS13_IS18_E10value_typeET4_jRbjT5_S1E_jjP12ihipStream_tbEUljE_ZNSN_ISO_Lb1ESQ_SR_ST_SU_SY_EESZ_S10_S11_S12_S16_S17_S18_S1B_S1C_jS1D_jS1E_S1E_jjS1G_bEUljE0_EEESZ_S10_S11_S18_S1C_S1E_T6_T7_T9_mT8_S1G_bDpT10_ENKUlT_T0_E_clISt17integral_constantIbLb0EES1T_IbLb1EEEEDaS1P_S1Q_EUlS1P_E_NS1_11comp_targetILNS1_3genE5ELNS1_11target_archE942ELNS1_3gpuE9ELNS1_3repE0EEENS1_30default_config_static_selectorELNS0_4arch9wavefront6targetE1EEEvS12_
    .private_segment_fixed_size: 0
    .sgpr_count:     4
    .sgpr_spill_count: 0
    .symbol:         _ZN7rocprim17ROCPRIM_400000_NS6detail17trampoline_kernelINS0_13select_configILj256ELj13ELNS0_17block_load_methodE3ELS4_3ELS4_3ELNS0_20block_scan_algorithmE0ELj4294967295EEENS1_25partition_config_selectorILNS1_17partition_subalgoE4EjNS0_10empty_typeEbEEZZNS1_14partition_implILS8_4ELb0ES6_15HIP_vector_typeIjLj2EENS0_17counting_iteratorIjlEEPS9_SG_NS0_5tupleIJPjSI_NS0_16reverse_iteratorISI_EEEEENSH_IJSG_SG_SG_EEES9_SI_JZNS1_25segmented_radix_sort_implINS0_14default_configELb1EPKdPdPKlPlN2at6native12_GLOBAL__N_18offset_tEEE10hipError_tPvRmT1_PNSt15iterator_traitsIS12_E10value_typeET2_T3_PNS13_IS18_E10value_typeET4_jRbjT5_S1E_jjP12ihipStream_tbEUljE_ZNSN_ISO_Lb1ESQ_SR_ST_SU_SY_EESZ_S10_S11_S12_S16_S17_S18_S1B_S1C_jS1D_jS1E_S1E_jjS1G_bEUljE0_EEESZ_S10_S11_S18_S1C_S1E_T6_T7_T9_mT8_S1G_bDpT10_ENKUlT_T0_E_clISt17integral_constantIbLb0EES1T_IbLb1EEEEDaS1P_S1Q_EUlS1P_E_NS1_11comp_targetILNS1_3genE5ELNS1_11target_archE942ELNS1_3gpuE9ELNS1_3repE0EEENS1_30default_config_static_selectorELNS0_4arch9wavefront6targetE1EEEvS12_.kd
    .uniform_work_group_size: 1
    .uses_dynamic_stack: false
    .vgpr_count:     0
    .vgpr_spill_count: 0
    .wavefront_size: 64
  - .args:
      - .offset:         0
        .size:           184
        .value_kind:     by_value
    .group_segment_fixed_size: 0
    .kernarg_segment_align: 8
    .kernarg_segment_size: 184
    .language:       OpenCL C
    .language_version:
      - 2
      - 0
    .max_flat_workgroup_size: 256
    .name:           _ZN7rocprim17ROCPRIM_400000_NS6detail17trampoline_kernelINS0_13select_configILj256ELj13ELNS0_17block_load_methodE3ELS4_3ELS4_3ELNS0_20block_scan_algorithmE0ELj4294967295EEENS1_25partition_config_selectorILNS1_17partition_subalgoE4EjNS0_10empty_typeEbEEZZNS1_14partition_implILS8_4ELb0ES6_15HIP_vector_typeIjLj2EENS0_17counting_iteratorIjlEEPS9_SG_NS0_5tupleIJPjSI_NS0_16reverse_iteratorISI_EEEEENSH_IJSG_SG_SG_EEES9_SI_JZNS1_25segmented_radix_sort_implINS0_14default_configELb1EPKdPdPKlPlN2at6native12_GLOBAL__N_18offset_tEEE10hipError_tPvRmT1_PNSt15iterator_traitsIS12_E10value_typeET2_T3_PNS13_IS18_E10value_typeET4_jRbjT5_S1E_jjP12ihipStream_tbEUljE_ZNSN_ISO_Lb1ESQ_SR_ST_SU_SY_EESZ_S10_S11_S12_S16_S17_S18_S1B_S1C_jS1D_jS1E_S1E_jjS1G_bEUljE0_EEESZ_S10_S11_S18_S1C_S1E_T6_T7_T9_mT8_S1G_bDpT10_ENKUlT_T0_E_clISt17integral_constantIbLb0EES1T_IbLb1EEEEDaS1P_S1Q_EUlS1P_E_NS1_11comp_targetILNS1_3genE4ELNS1_11target_archE910ELNS1_3gpuE8ELNS1_3repE0EEENS1_30default_config_static_selectorELNS0_4arch9wavefront6targetE1EEEvS12_
    .private_segment_fixed_size: 0
    .sgpr_count:     4
    .sgpr_spill_count: 0
    .symbol:         _ZN7rocprim17ROCPRIM_400000_NS6detail17trampoline_kernelINS0_13select_configILj256ELj13ELNS0_17block_load_methodE3ELS4_3ELS4_3ELNS0_20block_scan_algorithmE0ELj4294967295EEENS1_25partition_config_selectorILNS1_17partition_subalgoE4EjNS0_10empty_typeEbEEZZNS1_14partition_implILS8_4ELb0ES6_15HIP_vector_typeIjLj2EENS0_17counting_iteratorIjlEEPS9_SG_NS0_5tupleIJPjSI_NS0_16reverse_iteratorISI_EEEEENSH_IJSG_SG_SG_EEES9_SI_JZNS1_25segmented_radix_sort_implINS0_14default_configELb1EPKdPdPKlPlN2at6native12_GLOBAL__N_18offset_tEEE10hipError_tPvRmT1_PNSt15iterator_traitsIS12_E10value_typeET2_T3_PNS13_IS18_E10value_typeET4_jRbjT5_S1E_jjP12ihipStream_tbEUljE_ZNSN_ISO_Lb1ESQ_SR_ST_SU_SY_EESZ_S10_S11_S12_S16_S17_S18_S1B_S1C_jS1D_jS1E_S1E_jjS1G_bEUljE0_EEESZ_S10_S11_S18_S1C_S1E_T6_T7_T9_mT8_S1G_bDpT10_ENKUlT_T0_E_clISt17integral_constantIbLb0EES1T_IbLb1EEEEDaS1P_S1Q_EUlS1P_E_NS1_11comp_targetILNS1_3genE4ELNS1_11target_archE910ELNS1_3gpuE8ELNS1_3repE0EEENS1_30default_config_static_selectorELNS0_4arch9wavefront6targetE1EEEvS12_.kd
    .uniform_work_group_size: 1
    .uses_dynamic_stack: false
    .vgpr_count:     0
    .vgpr_spill_count: 0
    .wavefront_size: 64
  - .args:
      - .offset:         0
        .size:           184
        .value_kind:     by_value
    .group_segment_fixed_size: 0
    .kernarg_segment_align: 8
    .kernarg_segment_size: 184
    .language:       OpenCL C
    .language_version:
      - 2
      - 0
    .max_flat_workgroup_size: 256
    .name:           _ZN7rocprim17ROCPRIM_400000_NS6detail17trampoline_kernelINS0_13select_configILj256ELj13ELNS0_17block_load_methodE3ELS4_3ELS4_3ELNS0_20block_scan_algorithmE0ELj4294967295EEENS1_25partition_config_selectorILNS1_17partition_subalgoE4EjNS0_10empty_typeEbEEZZNS1_14partition_implILS8_4ELb0ES6_15HIP_vector_typeIjLj2EENS0_17counting_iteratorIjlEEPS9_SG_NS0_5tupleIJPjSI_NS0_16reverse_iteratorISI_EEEEENSH_IJSG_SG_SG_EEES9_SI_JZNS1_25segmented_radix_sort_implINS0_14default_configELb1EPKdPdPKlPlN2at6native12_GLOBAL__N_18offset_tEEE10hipError_tPvRmT1_PNSt15iterator_traitsIS12_E10value_typeET2_T3_PNS13_IS18_E10value_typeET4_jRbjT5_S1E_jjP12ihipStream_tbEUljE_ZNSN_ISO_Lb1ESQ_SR_ST_SU_SY_EESZ_S10_S11_S12_S16_S17_S18_S1B_S1C_jS1D_jS1E_S1E_jjS1G_bEUljE0_EEESZ_S10_S11_S18_S1C_S1E_T6_T7_T9_mT8_S1G_bDpT10_ENKUlT_T0_E_clISt17integral_constantIbLb0EES1T_IbLb1EEEEDaS1P_S1Q_EUlS1P_E_NS1_11comp_targetILNS1_3genE3ELNS1_11target_archE908ELNS1_3gpuE7ELNS1_3repE0EEENS1_30default_config_static_selectorELNS0_4arch9wavefront6targetE1EEEvS12_
    .private_segment_fixed_size: 0
    .sgpr_count:     4
    .sgpr_spill_count: 0
    .symbol:         _ZN7rocprim17ROCPRIM_400000_NS6detail17trampoline_kernelINS0_13select_configILj256ELj13ELNS0_17block_load_methodE3ELS4_3ELS4_3ELNS0_20block_scan_algorithmE0ELj4294967295EEENS1_25partition_config_selectorILNS1_17partition_subalgoE4EjNS0_10empty_typeEbEEZZNS1_14partition_implILS8_4ELb0ES6_15HIP_vector_typeIjLj2EENS0_17counting_iteratorIjlEEPS9_SG_NS0_5tupleIJPjSI_NS0_16reverse_iteratorISI_EEEEENSH_IJSG_SG_SG_EEES9_SI_JZNS1_25segmented_radix_sort_implINS0_14default_configELb1EPKdPdPKlPlN2at6native12_GLOBAL__N_18offset_tEEE10hipError_tPvRmT1_PNSt15iterator_traitsIS12_E10value_typeET2_T3_PNS13_IS18_E10value_typeET4_jRbjT5_S1E_jjP12ihipStream_tbEUljE_ZNSN_ISO_Lb1ESQ_SR_ST_SU_SY_EESZ_S10_S11_S12_S16_S17_S18_S1B_S1C_jS1D_jS1E_S1E_jjS1G_bEUljE0_EEESZ_S10_S11_S18_S1C_S1E_T6_T7_T9_mT8_S1G_bDpT10_ENKUlT_T0_E_clISt17integral_constantIbLb0EES1T_IbLb1EEEEDaS1P_S1Q_EUlS1P_E_NS1_11comp_targetILNS1_3genE3ELNS1_11target_archE908ELNS1_3gpuE7ELNS1_3repE0EEENS1_30default_config_static_selectorELNS0_4arch9wavefront6targetE1EEEvS12_.kd
    .uniform_work_group_size: 1
    .uses_dynamic_stack: false
    .vgpr_count:     0
    .vgpr_spill_count: 0
    .wavefront_size: 64
  - .args:
      - .offset:         0
        .size:           184
        .value_kind:     by_value
    .group_segment_fixed_size: 13328
    .kernarg_segment_align: 8
    .kernarg_segment_size: 184
    .language:       OpenCL C
    .language_version:
      - 2
      - 0
    .max_flat_workgroup_size: 256
    .name:           _ZN7rocprim17ROCPRIM_400000_NS6detail17trampoline_kernelINS0_13select_configILj256ELj13ELNS0_17block_load_methodE3ELS4_3ELS4_3ELNS0_20block_scan_algorithmE0ELj4294967295EEENS1_25partition_config_selectorILNS1_17partition_subalgoE4EjNS0_10empty_typeEbEEZZNS1_14partition_implILS8_4ELb0ES6_15HIP_vector_typeIjLj2EENS0_17counting_iteratorIjlEEPS9_SG_NS0_5tupleIJPjSI_NS0_16reverse_iteratorISI_EEEEENSH_IJSG_SG_SG_EEES9_SI_JZNS1_25segmented_radix_sort_implINS0_14default_configELb1EPKdPdPKlPlN2at6native12_GLOBAL__N_18offset_tEEE10hipError_tPvRmT1_PNSt15iterator_traitsIS12_E10value_typeET2_T3_PNS13_IS18_E10value_typeET4_jRbjT5_S1E_jjP12ihipStream_tbEUljE_ZNSN_ISO_Lb1ESQ_SR_ST_SU_SY_EESZ_S10_S11_S12_S16_S17_S18_S1B_S1C_jS1D_jS1E_S1E_jjS1G_bEUljE0_EEESZ_S10_S11_S18_S1C_S1E_T6_T7_T9_mT8_S1G_bDpT10_ENKUlT_T0_E_clISt17integral_constantIbLb0EES1T_IbLb1EEEEDaS1P_S1Q_EUlS1P_E_NS1_11comp_targetILNS1_3genE2ELNS1_11target_archE906ELNS1_3gpuE6ELNS1_3repE0EEENS1_30default_config_static_selectorELNS0_4arch9wavefront6targetE1EEEvS12_
    .private_segment_fixed_size: 0
    .sgpr_count:     91
    .sgpr_spill_count: 0
    .symbol:         _ZN7rocprim17ROCPRIM_400000_NS6detail17trampoline_kernelINS0_13select_configILj256ELj13ELNS0_17block_load_methodE3ELS4_3ELS4_3ELNS0_20block_scan_algorithmE0ELj4294967295EEENS1_25partition_config_selectorILNS1_17partition_subalgoE4EjNS0_10empty_typeEbEEZZNS1_14partition_implILS8_4ELb0ES6_15HIP_vector_typeIjLj2EENS0_17counting_iteratorIjlEEPS9_SG_NS0_5tupleIJPjSI_NS0_16reverse_iteratorISI_EEEEENSH_IJSG_SG_SG_EEES9_SI_JZNS1_25segmented_radix_sort_implINS0_14default_configELb1EPKdPdPKlPlN2at6native12_GLOBAL__N_18offset_tEEE10hipError_tPvRmT1_PNSt15iterator_traitsIS12_E10value_typeET2_T3_PNS13_IS18_E10value_typeET4_jRbjT5_S1E_jjP12ihipStream_tbEUljE_ZNSN_ISO_Lb1ESQ_SR_ST_SU_SY_EESZ_S10_S11_S12_S16_S17_S18_S1B_S1C_jS1D_jS1E_S1E_jjS1G_bEUljE0_EEESZ_S10_S11_S18_S1C_S1E_T6_T7_T9_mT8_S1G_bDpT10_ENKUlT_T0_E_clISt17integral_constantIbLb0EES1T_IbLb1EEEEDaS1P_S1Q_EUlS1P_E_NS1_11comp_targetILNS1_3genE2ELNS1_11target_archE906ELNS1_3gpuE6ELNS1_3repE0EEENS1_30default_config_static_selectorELNS0_4arch9wavefront6targetE1EEEvS12_.kd
    .uniform_work_group_size: 1
    .uses_dynamic_stack: false
    .vgpr_count:     91
    .vgpr_spill_count: 0
    .wavefront_size: 64
  - .args:
      - .offset:         0
        .size:           184
        .value_kind:     by_value
    .group_segment_fixed_size: 0
    .kernarg_segment_align: 8
    .kernarg_segment_size: 184
    .language:       OpenCL C
    .language_version:
      - 2
      - 0
    .max_flat_workgroup_size: 256
    .name:           _ZN7rocprim17ROCPRIM_400000_NS6detail17trampoline_kernelINS0_13select_configILj256ELj13ELNS0_17block_load_methodE3ELS4_3ELS4_3ELNS0_20block_scan_algorithmE0ELj4294967295EEENS1_25partition_config_selectorILNS1_17partition_subalgoE4EjNS0_10empty_typeEbEEZZNS1_14partition_implILS8_4ELb0ES6_15HIP_vector_typeIjLj2EENS0_17counting_iteratorIjlEEPS9_SG_NS0_5tupleIJPjSI_NS0_16reverse_iteratorISI_EEEEENSH_IJSG_SG_SG_EEES9_SI_JZNS1_25segmented_radix_sort_implINS0_14default_configELb1EPKdPdPKlPlN2at6native12_GLOBAL__N_18offset_tEEE10hipError_tPvRmT1_PNSt15iterator_traitsIS12_E10value_typeET2_T3_PNS13_IS18_E10value_typeET4_jRbjT5_S1E_jjP12ihipStream_tbEUljE_ZNSN_ISO_Lb1ESQ_SR_ST_SU_SY_EESZ_S10_S11_S12_S16_S17_S18_S1B_S1C_jS1D_jS1E_S1E_jjS1G_bEUljE0_EEESZ_S10_S11_S18_S1C_S1E_T6_T7_T9_mT8_S1G_bDpT10_ENKUlT_T0_E_clISt17integral_constantIbLb0EES1T_IbLb1EEEEDaS1P_S1Q_EUlS1P_E_NS1_11comp_targetILNS1_3genE10ELNS1_11target_archE1200ELNS1_3gpuE4ELNS1_3repE0EEENS1_30default_config_static_selectorELNS0_4arch9wavefront6targetE1EEEvS12_
    .private_segment_fixed_size: 0
    .sgpr_count:     4
    .sgpr_spill_count: 0
    .symbol:         _ZN7rocprim17ROCPRIM_400000_NS6detail17trampoline_kernelINS0_13select_configILj256ELj13ELNS0_17block_load_methodE3ELS4_3ELS4_3ELNS0_20block_scan_algorithmE0ELj4294967295EEENS1_25partition_config_selectorILNS1_17partition_subalgoE4EjNS0_10empty_typeEbEEZZNS1_14partition_implILS8_4ELb0ES6_15HIP_vector_typeIjLj2EENS0_17counting_iteratorIjlEEPS9_SG_NS0_5tupleIJPjSI_NS0_16reverse_iteratorISI_EEEEENSH_IJSG_SG_SG_EEES9_SI_JZNS1_25segmented_radix_sort_implINS0_14default_configELb1EPKdPdPKlPlN2at6native12_GLOBAL__N_18offset_tEEE10hipError_tPvRmT1_PNSt15iterator_traitsIS12_E10value_typeET2_T3_PNS13_IS18_E10value_typeET4_jRbjT5_S1E_jjP12ihipStream_tbEUljE_ZNSN_ISO_Lb1ESQ_SR_ST_SU_SY_EESZ_S10_S11_S12_S16_S17_S18_S1B_S1C_jS1D_jS1E_S1E_jjS1G_bEUljE0_EEESZ_S10_S11_S18_S1C_S1E_T6_T7_T9_mT8_S1G_bDpT10_ENKUlT_T0_E_clISt17integral_constantIbLb0EES1T_IbLb1EEEEDaS1P_S1Q_EUlS1P_E_NS1_11comp_targetILNS1_3genE10ELNS1_11target_archE1200ELNS1_3gpuE4ELNS1_3repE0EEENS1_30default_config_static_selectorELNS0_4arch9wavefront6targetE1EEEvS12_.kd
    .uniform_work_group_size: 1
    .uses_dynamic_stack: false
    .vgpr_count:     0
    .vgpr_spill_count: 0
    .wavefront_size: 64
  - .args:
      - .offset:         0
        .size:           184
        .value_kind:     by_value
    .group_segment_fixed_size: 0
    .kernarg_segment_align: 8
    .kernarg_segment_size: 184
    .language:       OpenCL C
    .language_version:
      - 2
      - 0
    .max_flat_workgroup_size: 256
    .name:           _ZN7rocprim17ROCPRIM_400000_NS6detail17trampoline_kernelINS0_13select_configILj256ELj13ELNS0_17block_load_methodE3ELS4_3ELS4_3ELNS0_20block_scan_algorithmE0ELj4294967295EEENS1_25partition_config_selectorILNS1_17partition_subalgoE4EjNS0_10empty_typeEbEEZZNS1_14partition_implILS8_4ELb0ES6_15HIP_vector_typeIjLj2EENS0_17counting_iteratorIjlEEPS9_SG_NS0_5tupleIJPjSI_NS0_16reverse_iteratorISI_EEEEENSH_IJSG_SG_SG_EEES9_SI_JZNS1_25segmented_radix_sort_implINS0_14default_configELb1EPKdPdPKlPlN2at6native12_GLOBAL__N_18offset_tEEE10hipError_tPvRmT1_PNSt15iterator_traitsIS12_E10value_typeET2_T3_PNS13_IS18_E10value_typeET4_jRbjT5_S1E_jjP12ihipStream_tbEUljE_ZNSN_ISO_Lb1ESQ_SR_ST_SU_SY_EESZ_S10_S11_S12_S16_S17_S18_S1B_S1C_jS1D_jS1E_S1E_jjS1G_bEUljE0_EEESZ_S10_S11_S18_S1C_S1E_T6_T7_T9_mT8_S1G_bDpT10_ENKUlT_T0_E_clISt17integral_constantIbLb0EES1T_IbLb1EEEEDaS1P_S1Q_EUlS1P_E_NS1_11comp_targetILNS1_3genE9ELNS1_11target_archE1100ELNS1_3gpuE3ELNS1_3repE0EEENS1_30default_config_static_selectorELNS0_4arch9wavefront6targetE1EEEvS12_
    .private_segment_fixed_size: 0
    .sgpr_count:     4
    .sgpr_spill_count: 0
    .symbol:         _ZN7rocprim17ROCPRIM_400000_NS6detail17trampoline_kernelINS0_13select_configILj256ELj13ELNS0_17block_load_methodE3ELS4_3ELS4_3ELNS0_20block_scan_algorithmE0ELj4294967295EEENS1_25partition_config_selectorILNS1_17partition_subalgoE4EjNS0_10empty_typeEbEEZZNS1_14partition_implILS8_4ELb0ES6_15HIP_vector_typeIjLj2EENS0_17counting_iteratorIjlEEPS9_SG_NS0_5tupleIJPjSI_NS0_16reverse_iteratorISI_EEEEENSH_IJSG_SG_SG_EEES9_SI_JZNS1_25segmented_radix_sort_implINS0_14default_configELb1EPKdPdPKlPlN2at6native12_GLOBAL__N_18offset_tEEE10hipError_tPvRmT1_PNSt15iterator_traitsIS12_E10value_typeET2_T3_PNS13_IS18_E10value_typeET4_jRbjT5_S1E_jjP12ihipStream_tbEUljE_ZNSN_ISO_Lb1ESQ_SR_ST_SU_SY_EESZ_S10_S11_S12_S16_S17_S18_S1B_S1C_jS1D_jS1E_S1E_jjS1G_bEUljE0_EEESZ_S10_S11_S18_S1C_S1E_T6_T7_T9_mT8_S1G_bDpT10_ENKUlT_T0_E_clISt17integral_constantIbLb0EES1T_IbLb1EEEEDaS1P_S1Q_EUlS1P_E_NS1_11comp_targetILNS1_3genE9ELNS1_11target_archE1100ELNS1_3gpuE3ELNS1_3repE0EEENS1_30default_config_static_selectorELNS0_4arch9wavefront6targetE1EEEvS12_.kd
    .uniform_work_group_size: 1
    .uses_dynamic_stack: false
    .vgpr_count:     0
    .vgpr_spill_count: 0
    .wavefront_size: 64
  - .args:
      - .offset:         0
        .size:           184
        .value_kind:     by_value
    .group_segment_fixed_size: 0
    .kernarg_segment_align: 8
    .kernarg_segment_size: 184
    .language:       OpenCL C
    .language_version:
      - 2
      - 0
    .max_flat_workgroup_size: 256
    .name:           _ZN7rocprim17ROCPRIM_400000_NS6detail17trampoline_kernelINS0_13select_configILj256ELj13ELNS0_17block_load_methodE3ELS4_3ELS4_3ELNS0_20block_scan_algorithmE0ELj4294967295EEENS1_25partition_config_selectorILNS1_17partition_subalgoE4EjNS0_10empty_typeEbEEZZNS1_14partition_implILS8_4ELb0ES6_15HIP_vector_typeIjLj2EENS0_17counting_iteratorIjlEEPS9_SG_NS0_5tupleIJPjSI_NS0_16reverse_iteratorISI_EEEEENSH_IJSG_SG_SG_EEES9_SI_JZNS1_25segmented_radix_sort_implINS0_14default_configELb1EPKdPdPKlPlN2at6native12_GLOBAL__N_18offset_tEEE10hipError_tPvRmT1_PNSt15iterator_traitsIS12_E10value_typeET2_T3_PNS13_IS18_E10value_typeET4_jRbjT5_S1E_jjP12ihipStream_tbEUljE_ZNSN_ISO_Lb1ESQ_SR_ST_SU_SY_EESZ_S10_S11_S12_S16_S17_S18_S1B_S1C_jS1D_jS1E_S1E_jjS1G_bEUljE0_EEESZ_S10_S11_S18_S1C_S1E_T6_T7_T9_mT8_S1G_bDpT10_ENKUlT_T0_E_clISt17integral_constantIbLb0EES1T_IbLb1EEEEDaS1P_S1Q_EUlS1P_E_NS1_11comp_targetILNS1_3genE8ELNS1_11target_archE1030ELNS1_3gpuE2ELNS1_3repE0EEENS1_30default_config_static_selectorELNS0_4arch9wavefront6targetE1EEEvS12_
    .private_segment_fixed_size: 0
    .sgpr_count:     4
    .sgpr_spill_count: 0
    .symbol:         _ZN7rocprim17ROCPRIM_400000_NS6detail17trampoline_kernelINS0_13select_configILj256ELj13ELNS0_17block_load_methodE3ELS4_3ELS4_3ELNS0_20block_scan_algorithmE0ELj4294967295EEENS1_25partition_config_selectorILNS1_17partition_subalgoE4EjNS0_10empty_typeEbEEZZNS1_14partition_implILS8_4ELb0ES6_15HIP_vector_typeIjLj2EENS0_17counting_iteratorIjlEEPS9_SG_NS0_5tupleIJPjSI_NS0_16reverse_iteratorISI_EEEEENSH_IJSG_SG_SG_EEES9_SI_JZNS1_25segmented_radix_sort_implINS0_14default_configELb1EPKdPdPKlPlN2at6native12_GLOBAL__N_18offset_tEEE10hipError_tPvRmT1_PNSt15iterator_traitsIS12_E10value_typeET2_T3_PNS13_IS18_E10value_typeET4_jRbjT5_S1E_jjP12ihipStream_tbEUljE_ZNSN_ISO_Lb1ESQ_SR_ST_SU_SY_EESZ_S10_S11_S12_S16_S17_S18_S1B_S1C_jS1D_jS1E_S1E_jjS1G_bEUljE0_EEESZ_S10_S11_S18_S1C_S1E_T6_T7_T9_mT8_S1G_bDpT10_ENKUlT_T0_E_clISt17integral_constantIbLb0EES1T_IbLb1EEEEDaS1P_S1Q_EUlS1P_E_NS1_11comp_targetILNS1_3genE8ELNS1_11target_archE1030ELNS1_3gpuE2ELNS1_3repE0EEENS1_30default_config_static_selectorELNS0_4arch9wavefront6targetE1EEEvS12_.kd
    .uniform_work_group_size: 1
    .uses_dynamic_stack: false
    .vgpr_count:     0
    .vgpr_spill_count: 0
    .wavefront_size: 64
  - .args:
      - .offset:         0
        .size:           144
        .value_kind:     by_value
    .group_segment_fixed_size: 0
    .kernarg_segment_align: 8
    .kernarg_segment_size: 144
    .language:       OpenCL C
    .language_version:
      - 2
      - 0
    .max_flat_workgroup_size: 256
    .name:           _ZN7rocprim17ROCPRIM_400000_NS6detail17trampoline_kernelINS0_13select_configILj256ELj13ELNS0_17block_load_methodE3ELS4_3ELS4_3ELNS0_20block_scan_algorithmE0ELj4294967295EEENS1_25partition_config_selectorILNS1_17partition_subalgoE3EjNS0_10empty_typeEbEEZZNS1_14partition_implILS8_3ELb0ES6_jNS0_17counting_iteratorIjlEEPS9_SE_NS0_5tupleIJPjSE_EEENSF_IJSE_SE_EEES9_SG_JZNS1_25segmented_radix_sort_implINS0_14default_configELb1EPKdPdPKlPlN2at6native12_GLOBAL__N_18offset_tEEE10hipError_tPvRmT1_PNSt15iterator_traitsISY_E10value_typeET2_T3_PNSZ_IS14_E10value_typeET4_jRbjT5_S1A_jjP12ihipStream_tbEUljE_EEESV_SW_SX_S14_S18_S1A_T6_T7_T9_mT8_S1C_bDpT10_ENKUlT_T0_E_clISt17integral_constantIbLb0EES1P_EEDaS1K_S1L_EUlS1K_E_NS1_11comp_targetILNS1_3genE0ELNS1_11target_archE4294967295ELNS1_3gpuE0ELNS1_3repE0EEENS1_30default_config_static_selectorELNS0_4arch9wavefront6targetE1EEEvSY_
    .private_segment_fixed_size: 0
    .sgpr_count:     4
    .sgpr_spill_count: 0
    .symbol:         _ZN7rocprim17ROCPRIM_400000_NS6detail17trampoline_kernelINS0_13select_configILj256ELj13ELNS0_17block_load_methodE3ELS4_3ELS4_3ELNS0_20block_scan_algorithmE0ELj4294967295EEENS1_25partition_config_selectorILNS1_17partition_subalgoE3EjNS0_10empty_typeEbEEZZNS1_14partition_implILS8_3ELb0ES6_jNS0_17counting_iteratorIjlEEPS9_SE_NS0_5tupleIJPjSE_EEENSF_IJSE_SE_EEES9_SG_JZNS1_25segmented_radix_sort_implINS0_14default_configELb1EPKdPdPKlPlN2at6native12_GLOBAL__N_18offset_tEEE10hipError_tPvRmT1_PNSt15iterator_traitsISY_E10value_typeET2_T3_PNSZ_IS14_E10value_typeET4_jRbjT5_S1A_jjP12ihipStream_tbEUljE_EEESV_SW_SX_S14_S18_S1A_T6_T7_T9_mT8_S1C_bDpT10_ENKUlT_T0_E_clISt17integral_constantIbLb0EES1P_EEDaS1K_S1L_EUlS1K_E_NS1_11comp_targetILNS1_3genE0ELNS1_11target_archE4294967295ELNS1_3gpuE0ELNS1_3repE0EEENS1_30default_config_static_selectorELNS0_4arch9wavefront6targetE1EEEvSY_.kd
    .uniform_work_group_size: 1
    .uses_dynamic_stack: false
    .vgpr_count:     0
    .vgpr_spill_count: 0
    .wavefront_size: 64
  - .args:
      - .offset:         0
        .size:           144
        .value_kind:     by_value
    .group_segment_fixed_size: 0
    .kernarg_segment_align: 8
    .kernarg_segment_size: 144
    .language:       OpenCL C
    .language_version:
      - 2
      - 0
    .max_flat_workgroup_size: 256
    .name:           _ZN7rocprim17ROCPRIM_400000_NS6detail17trampoline_kernelINS0_13select_configILj256ELj13ELNS0_17block_load_methodE3ELS4_3ELS4_3ELNS0_20block_scan_algorithmE0ELj4294967295EEENS1_25partition_config_selectorILNS1_17partition_subalgoE3EjNS0_10empty_typeEbEEZZNS1_14partition_implILS8_3ELb0ES6_jNS0_17counting_iteratorIjlEEPS9_SE_NS0_5tupleIJPjSE_EEENSF_IJSE_SE_EEES9_SG_JZNS1_25segmented_radix_sort_implINS0_14default_configELb1EPKdPdPKlPlN2at6native12_GLOBAL__N_18offset_tEEE10hipError_tPvRmT1_PNSt15iterator_traitsISY_E10value_typeET2_T3_PNSZ_IS14_E10value_typeET4_jRbjT5_S1A_jjP12ihipStream_tbEUljE_EEESV_SW_SX_S14_S18_S1A_T6_T7_T9_mT8_S1C_bDpT10_ENKUlT_T0_E_clISt17integral_constantIbLb0EES1P_EEDaS1K_S1L_EUlS1K_E_NS1_11comp_targetILNS1_3genE5ELNS1_11target_archE942ELNS1_3gpuE9ELNS1_3repE0EEENS1_30default_config_static_selectorELNS0_4arch9wavefront6targetE1EEEvSY_
    .private_segment_fixed_size: 0
    .sgpr_count:     4
    .sgpr_spill_count: 0
    .symbol:         _ZN7rocprim17ROCPRIM_400000_NS6detail17trampoline_kernelINS0_13select_configILj256ELj13ELNS0_17block_load_methodE3ELS4_3ELS4_3ELNS0_20block_scan_algorithmE0ELj4294967295EEENS1_25partition_config_selectorILNS1_17partition_subalgoE3EjNS0_10empty_typeEbEEZZNS1_14partition_implILS8_3ELb0ES6_jNS0_17counting_iteratorIjlEEPS9_SE_NS0_5tupleIJPjSE_EEENSF_IJSE_SE_EEES9_SG_JZNS1_25segmented_radix_sort_implINS0_14default_configELb1EPKdPdPKlPlN2at6native12_GLOBAL__N_18offset_tEEE10hipError_tPvRmT1_PNSt15iterator_traitsISY_E10value_typeET2_T3_PNSZ_IS14_E10value_typeET4_jRbjT5_S1A_jjP12ihipStream_tbEUljE_EEESV_SW_SX_S14_S18_S1A_T6_T7_T9_mT8_S1C_bDpT10_ENKUlT_T0_E_clISt17integral_constantIbLb0EES1P_EEDaS1K_S1L_EUlS1K_E_NS1_11comp_targetILNS1_3genE5ELNS1_11target_archE942ELNS1_3gpuE9ELNS1_3repE0EEENS1_30default_config_static_selectorELNS0_4arch9wavefront6targetE1EEEvSY_.kd
    .uniform_work_group_size: 1
    .uses_dynamic_stack: false
    .vgpr_count:     0
    .vgpr_spill_count: 0
    .wavefront_size: 64
  - .args:
      - .offset:         0
        .size:           144
        .value_kind:     by_value
    .group_segment_fixed_size: 0
    .kernarg_segment_align: 8
    .kernarg_segment_size: 144
    .language:       OpenCL C
    .language_version:
      - 2
      - 0
    .max_flat_workgroup_size: 256
    .name:           _ZN7rocprim17ROCPRIM_400000_NS6detail17trampoline_kernelINS0_13select_configILj256ELj13ELNS0_17block_load_methodE3ELS4_3ELS4_3ELNS0_20block_scan_algorithmE0ELj4294967295EEENS1_25partition_config_selectorILNS1_17partition_subalgoE3EjNS0_10empty_typeEbEEZZNS1_14partition_implILS8_3ELb0ES6_jNS0_17counting_iteratorIjlEEPS9_SE_NS0_5tupleIJPjSE_EEENSF_IJSE_SE_EEES9_SG_JZNS1_25segmented_radix_sort_implINS0_14default_configELb1EPKdPdPKlPlN2at6native12_GLOBAL__N_18offset_tEEE10hipError_tPvRmT1_PNSt15iterator_traitsISY_E10value_typeET2_T3_PNSZ_IS14_E10value_typeET4_jRbjT5_S1A_jjP12ihipStream_tbEUljE_EEESV_SW_SX_S14_S18_S1A_T6_T7_T9_mT8_S1C_bDpT10_ENKUlT_T0_E_clISt17integral_constantIbLb0EES1P_EEDaS1K_S1L_EUlS1K_E_NS1_11comp_targetILNS1_3genE4ELNS1_11target_archE910ELNS1_3gpuE8ELNS1_3repE0EEENS1_30default_config_static_selectorELNS0_4arch9wavefront6targetE1EEEvSY_
    .private_segment_fixed_size: 0
    .sgpr_count:     4
    .sgpr_spill_count: 0
    .symbol:         _ZN7rocprim17ROCPRIM_400000_NS6detail17trampoline_kernelINS0_13select_configILj256ELj13ELNS0_17block_load_methodE3ELS4_3ELS4_3ELNS0_20block_scan_algorithmE0ELj4294967295EEENS1_25partition_config_selectorILNS1_17partition_subalgoE3EjNS0_10empty_typeEbEEZZNS1_14partition_implILS8_3ELb0ES6_jNS0_17counting_iteratorIjlEEPS9_SE_NS0_5tupleIJPjSE_EEENSF_IJSE_SE_EEES9_SG_JZNS1_25segmented_radix_sort_implINS0_14default_configELb1EPKdPdPKlPlN2at6native12_GLOBAL__N_18offset_tEEE10hipError_tPvRmT1_PNSt15iterator_traitsISY_E10value_typeET2_T3_PNSZ_IS14_E10value_typeET4_jRbjT5_S1A_jjP12ihipStream_tbEUljE_EEESV_SW_SX_S14_S18_S1A_T6_T7_T9_mT8_S1C_bDpT10_ENKUlT_T0_E_clISt17integral_constantIbLb0EES1P_EEDaS1K_S1L_EUlS1K_E_NS1_11comp_targetILNS1_3genE4ELNS1_11target_archE910ELNS1_3gpuE8ELNS1_3repE0EEENS1_30default_config_static_selectorELNS0_4arch9wavefront6targetE1EEEvSY_.kd
    .uniform_work_group_size: 1
    .uses_dynamic_stack: false
    .vgpr_count:     0
    .vgpr_spill_count: 0
    .wavefront_size: 64
  - .args:
      - .offset:         0
        .size:           144
        .value_kind:     by_value
    .group_segment_fixed_size: 0
    .kernarg_segment_align: 8
    .kernarg_segment_size: 144
    .language:       OpenCL C
    .language_version:
      - 2
      - 0
    .max_flat_workgroup_size: 256
    .name:           _ZN7rocprim17ROCPRIM_400000_NS6detail17trampoline_kernelINS0_13select_configILj256ELj13ELNS0_17block_load_methodE3ELS4_3ELS4_3ELNS0_20block_scan_algorithmE0ELj4294967295EEENS1_25partition_config_selectorILNS1_17partition_subalgoE3EjNS0_10empty_typeEbEEZZNS1_14partition_implILS8_3ELb0ES6_jNS0_17counting_iteratorIjlEEPS9_SE_NS0_5tupleIJPjSE_EEENSF_IJSE_SE_EEES9_SG_JZNS1_25segmented_radix_sort_implINS0_14default_configELb1EPKdPdPKlPlN2at6native12_GLOBAL__N_18offset_tEEE10hipError_tPvRmT1_PNSt15iterator_traitsISY_E10value_typeET2_T3_PNSZ_IS14_E10value_typeET4_jRbjT5_S1A_jjP12ihipStream_tbEUljE_EEESV_SW_SX_S14_S18_S1A_T6_T7_T9_mT8_S1C_bDpT10_ENKUlT_T0_E_clISt17integral_constantIbLb0EES1P_EEDaS1K_S1L_EUlS1K_E_NS1_11comp_targetILNS1_3genE3ELNS1_11target_archE908ELNS1_3gpuE7ELNS1_3repE0EEENS1_30default_config_static_selectorELNS0_4arch9wavefront6targetE1EEEvSY_
    .private_segment_fixed_size: 0
    .sgpr_count:     4
    .sgpr_spill_count: 0
    .symbol:         _ZN7rocprim17ROCPRIM_400000_NS6detail17trampoline_kernelINS0_13select_configILj256ELj13ELNS0_17block_load_methodE3ELS4_3ELS4_3ELNS0_20block_scan_algorithmE0ELj4294967295EEENS1_25partition_config_selectorILNS1_17partition_subalgoE3EjNS0_10empty_typeEbEEZZNS1_14partition_implILS8_3ELb0ES6_jNS0_17counting_iteratorIjlEEPS9_SE_NS0_5tupleIJPjSE_EEENSF_IJSE_SE_EEES9_SG_JZNS1_25segmented_radix_sort_implINS0_14default_configELb1EPKdPdPKlPlN2at6native12_GLOBAL__N_18offset_tEEE10hipError_tPvRmT1_PNSt15iterator_traitsISY_E10value_typeET2_T3_PNSZ_IS14_E10value_typeET4_jRbjT5_S1A_jjP12ihipStream_tbEUljE_EEESV_SW_SX_S14_S18_S1A_T6_T7_T9_mT8_S1C_bDpT10_ENKUlT_T0_E_clISt17integral_constantIbLb0EES1P_EEDaS1K_S1L_EUlS1K_E_NS1_11comp_targetILNS1_3genE3ELNS1_11target_archE908ELNS1_3gpuE7ELNS1_3repE0EEENS1_30default_config_static_selectorELNS0_4arch9wavefront6targetE1EEEvSY_.kd
    .uniform_work_group_size: 1
    .uses_dynamic_stack: false
    .vgpr_count:     0
    .vgpr_spill_count: 0
    .wavefront_size: 64
  - .args:
      - .offset:         0
        .size:           144
        .value_kind:     by_value
    .group_segment_fixed_size: 13320
    .kernarg_segment_align: 8
    .kernarg_segment_size: 144
    .language:       OpenCL C
    .language_version:
      - 2
      - 0
    .max_flat_workgroup_size: 256
    .name:           _ZN7rocprim17ROCPRIM_400000_NS6detail17trampoline_kernelINS0_13select_configILj256ELj13ELNS0_17block_load_methodE3ELS4_3ELS4_3ELNS0_20block_scan_algorithmE0ELj4294967295EEENS1_25partition_config_selectorILNS1_17partition_subalgoE3EjNS0_10empty_typeEbEEZZNS1_14partition_implILS8_3ELb0ES6_jNS0_17counting_iteratorIjlEEPS9_SE_NS0_5tupleIJPjSE_EEENSF_IJSE_SE_EEES9_SG_JZNS1_25segmented_radix_sort_implINS0_14default_configELb1EPKdPdPKlPlN2at6native12_GLOBAL__N_18offset_tEEE10hipError_tPvRmT1_PNSt15iterator_traitsISY_E10value_typeET2_T3_PNSZ_IS14_E10value_typeET4_jRbjT5_S1A_jjP12ihipStream_tbEUljE_EEESV_SW_SX_S14_S18_S1A_T6_T7_T9_mT8_S1C_bDpT10_ENKUlT_T0_E_clISt17integral_constantIbLb0EES1P_EEDaS1K_S1L_EUlS1K_E_NS1_11comp_targetILNS1_3genE2ELNS1_11target_archE906ELNS1_3gpuE6ELNS1_3repE0EEENS1_30default_config_static_selectorELNS0_4arch9wavefront6targetE1EEEvSY_
    .private_segment_fixed_size: 0
    .sgpr_count:     52
    .sgpr_spill_count: 0
    .symbol:         _ZN7rocprim17ROCPRIM_400000_NS6detail17trampoline_kernelINS0_13select_configILj256ELj13ELNS0_17block_load_methodE3ELS4_3ELS4_3ELNS0_20block_scan_algorithmE0ELj4294967295EEENS1_25partition_config_selectorILNS1_17partition_subalgoE3EjNS0_10empty_typeEbEEZZNS1_14partition_implILS8_3ELb0ES6_jNS0_17counting_iteratorIjlEEPS9_SE_NS0_5tupleIJPjSE_EEENSF_IJSE_SE_EEES9_SG_JZNS1_25segmented_radix_sort_implINS0_14default_configELb1EPKdPdPKlPlN2at6native12_GLOBAL__N_18offset_tEEE10hipError_tPvRmT1_PNSt15iterator_traitsISY_E10value_typeET2_T3_PNSZ_IS14_E10value_typeET4_jRbjT5_S1A_jjP12ihipStream_tbEUljE_EEESV_SW_SX_S14_S18_S1A_T6_T7_T9_mT8_S1C_bDpT10_ENKUlT_T0_E_clISt17integral_constantIbLb0EES1P_EEDaS1K_S1L_EUlS1K_E_NS1_11comp_targetILNS1_3genE2ELNS1_11target_archE906ELNS1_3gpuE6ELNS1_3repE0EEENS1_30default_config_static_selectorELNS0_4arch9wavefront6targetE1EEEvSY_.kd
    .uniform_work_group_size: 1
    .uses_dynamic_stack: false
    .vgpr_count:     69
    .vgpr_spill_count: 0
    .wavefront_size: 64
  - .args:
      - .offset:         0
        .size:           144
        .value_kind:     by_value
    .group_segment_fixed_size: 0
    .kernarg_segment_align: 8
    .kernarg_segment_size: 144
    .language:       OpenCL C
    .language_version:
      - 2
      - 0
    .max_flat_workgroup_size: 256
    .name:           _ZN7rocprim17ROCPRIM_400000_NS6detail17trampoline_kernelINS0_13select_configILj256ELj13ELNS0_17block_load_methodE3ELS4_3ELS4_3ELNS0_20block_scan_algorithmE0ELj4294967295EEENS1_25partition_config_selectorILNS1_17partition_subalgoE3EjNS0_10empty_typeEbEEZZNS1_14partition_implILS8_3ELb0ES6_jNS0_17counting_iteratorIjlEEPS9_SE_NS0_5tupleIJPjSE_EEENSF_IJSE_SE_EEES9_SG_JZNS1_25segmented_radix_sort_implINS0_14default_configELb1EPKdPdPKlPlN2at6native12_GLOBAL__N_18offset_tEEE10hipError_tPvRmT1_PNSt15iterator_traitsISY_E10value_typeET2_T3_PNSZ_IS14_E10value_typeET4_jRbjT5_S1A_jjP12ihipStream_tbEUljE_EEESV_SW_SX_S14_S18_S1A_T6_T7_T9_mT8_S1C_bDpT10_ENKUlT_T0_E_clISt17integral_constantIbLb0EES1P_EEDaS1K_S1L_EUlS1K_E_NS1_11comp_targetILNS1_3genE10ELNS1_11target_archE1200ELNS1_3gpuE4ELNS1_3repE0EEENS1_30default_config_static_selectorELNS0_4arch9wavefront6targetE1EEEvSY_
    .private_segment_fixed_size: 0
    .sgpr_count:     4
    .sgpr_spill_count: 0
    .symbol:         _ZN7rocprim17ROCPRIM_400000_NS6detail17trampoline_kernelINS0_13select_configILj256ELj13ELNS0_17block_load_methodE3ELS4_3ELS4_3ELNS0_20block_scan_algorithmE0ELj4294967295EEENS1_25partition_config_selectorILNS1_17partition_subalgoE3EjNS0_10empty_typeEbEEZZNS1_14partition_implILS8_3ELb0ES6_jNS0_17counting_iteratorIjlEEPS9_SE_NS0_5tupleIJPjSE_EEENSF_IJSE_SE_EEES9_SG_JZNS1_25segmented_radix_sort_implINS0_14default_configELb1EPKdPdPKlPlN2at6native12_GLOBAL__N_18offset_tEEE10hipError_tPvRmT1_PNSt15iterator_traitsISY_E10value_typeET2_T3_PNSZ_IS14_E10value_typeET4_jRbjT5_S1A_jjP12ihipStream_tbEUljE_EEESV_SW_SX_S14_S18_S1A_T6_T7_T9_mT8_S1C_bDpT10_ENKUlT_T0_E_clISt17integral_constantIbLb0EES1P_EEDaS1K_S1L_EUlS1K_E_NS1_11comp_targetILNS1_3genE10ELNS1_11target_archE1200ELNS1_3gpuE4ELNS1_3repE0EEENS1_30default_config_static_selectorELNS0_4arch9wavefront6targetE1EEEvSY_.kd
    .uniform_work_group_size: 1
    .uses_dynamic_stack: false
    .vgpr_count:     0
    .vgpr_spill_count: 0
    .wavefront_size: 64
  - .args:
      - .offset:         0
        .size:           144
        .value_kind:     by_value
    .group_segment_fixed_size: 0
    .kernarg_segment_align: 8
    .kernarg_segment_size: 144
    .language:       OpenCL C
    .language_version:
      - 2
      - 0
    .max_flat_workgroup_size: 256
    .name:           _ZN7rocprim17ROCPRIM_400000_NS6detail17trampoline_kernelINS0_13select_configILj256ELj13ELNS0_17block_load_methodE3ELS4_3ELS4_3ELNS0_20block_scan_algorithmE0ELj4294967295EEENS1_25partition_config_selectorILNS1_17partition_subalgoE3EjNS0_10empty_typeEbEEZZNS1_14partition_implILS8_3ELb0ES6_jNS0_17counting_iteratorIjlEEPS9_SE_NS0_5tupleIJPjSE_EEENSF_IJSE_SE_EEES9_SG_JZNS1_25segmented_radix_sort_implINS0_14default_configELb1EPKdPdPKlPlN2at6native12_GLOBAL__N_18offset_tEEE10hipError_tPvRmT1_PNSt15iterator_traitsISY_E10value_typeET2_T3_PNSZ_IS14_E10value_typeET4_jRbjT5_S1A_jjP12ihipStream_tbEUljE_EEESV_SW_SX_S14_S18_S1A_T6_T7_T9_mT8_S1C_bDpT10_ENKUlT_T0_E_clISt17integral_constantIbLb0EES1P_EEDaS1K_S1L_EUlS1K_E_NS1_11comp_targetILNS1_3genE9ELNS1_11target_archE1100ELNS1_3gpuE3ELNS1_3repE0EEENS1_30default_config_static_selectorELNS0_4arch9wavefront6targetE1EEEvSY_
    .private_segment_fixed_size: 0
    .sgpr_count:     4
    .sgpr_spill_count: 0
    .symbol:         _ZN7rocprim17ROCPRIM_400000_NS6detail17trampoline_kernelINS0_13select_configILj256ELj13ELNS0_17block_load_methodE3ELS4_3ELS4_3ELNS0_20block_scan_algorithmE0ELj4294967295EEENS1_25partition_config_selectorILNS1_17partition_subalgoE3EjNS0_10empty_typeEbEEZZNS1_14partition_implILS8_3ELb0ES6_jNS0_17counting_iteratorIjlEEPS9_SE_NS0_5tupleIJPjSE_EEENSF_IJSE_SE_EEES9_SG_JZNS1_25segmented_radix_sort_implINS0_14default_configELb1EPKdPdPKlPlN2at6native12_GLOBAL__N_18offset_tEEE10hipError_tPvRmT1_PNSt15iterator_traitsISY_E10value_typeET2_T3_PNSZ_IS14_E10value_typeET4_jRbjT5_S1A_jjP12ihipStream_tbEUljE_EEESV_SW_SX_S14_S18_S1A_T6_T7_T9_mT8_S1C_bDpT10_ENKUlT_T0_E_clISt17integral_constantIbLb0EES1P_EEDaS1K_S1L_EUlS1K_E_NS1_11comp_targetILNS1_3genE9ELNS1_11target_archE1100ELNS1_3gpuE3ELNS1_3repE0EEENS1_30default_config_static_selectorELNS0_4arch9wavefront6targetE1EEEvSY_.kd
    .uniform_work_group_size: 1
    .uses_dynamic_stack: false
    .vgpr_count:     0
    .vgpr_spill_count: 0
    .wavefront_size: 64
  - .args:
      - .offset:         0
        .size:           144
        .value_kind:     by_value
    .group_segment_fixed_size: 0
    .kernarg_segment_align: 8
    .kernarg_segment_size: 144
    .language:       OpenCL C
    .language_version:
      - 2
      - 0
    .max_flat_workgroup_size: 256
    .name:           _ZN7rocprim17ROCPRIM_400000_NS6detail17trampoline_kernelINS0_13select_configILj256ELj13ELNS0_17block_load_methodE3ELS4_3ELS4_3ELNS0_20block_scan_algorithmE0ELj4294967295EEENS1_25partition_config_selectorILNS1_17partition_subalgoE3EjNS0_10empty_typeEbEEZZNS1_14partition_implILS8_3ELb0ES6_jNS0_17counting_iteratorIjlEEPS9_SE_NS0_5tupleIJPjSE_EEENSF_IJSE_SE_EEES9_SG_JZNS1_25segmented_radix_sort_implINS0_14default_configELb1EPKdPdPKlPlN2at6native12_GLOBAL__N_18offset_tEEE10hipError_tPvRmT1_PNSt15iterator_traitsISY_E10value_typeET2_T3_PNSZ_IS14_E10value_typeET4_jRbjT5_S1A_jjP12ihipStream_tbEUljE_EEESV_SW_SX_S14_S18_S1A_T6_T7_T9_mT8_S1C_bDpT10_ENKUlT_T0_E_clISt17integral_constantIbLb0EES1P_EEDaS1K_S1L_EUlS1K_E_NS1_11comp_targetILNS1_3genE8ELNS1_11target_archE1030ELNS1_3gpuE2ELNS1_3repE0EEENS1_30default_config_static_selectorELNS0_4arch9wavefront6targetE1EEEvSY_
    .private_segment_fixed_size: 0
    .sgpr_count:     4
    .sgpr_spill_count: 0
    .symbol:         _ZN7rocprim17ROCPRIM_400000_NS6detail17trampoline_kernelINS0_13select_configILj256ELj13ELNS0_17block_load_methodE3ELS4_3ELS4_3ELNS0_20block_scan_algorithmE0ELj4294967295EEENS1_25partition_config_selectorILNS1_17partition_subalgoE3EjNS0_10empty_typeEbEEZZNS1_14partition_implILS8_3ELb0ES6_jNS0_17counting_iteratorIjlEEPS9_SE_NS0_5tupleIJPjSE_EEENSF_IJSE_SE_EEES9_SG_JZNS1_25segmented_radix_sort_implINS0_14default_configELb1EPKdPdPKlPlN2at6native12_GLOBAL__N_18offset_tEEE10hipError_tPvRmT1_PNSt15iterator_traitsISY_E10value_typeET2_T3_PNSZ_IS14_E10value_typeET4_jRbjT5_S1A_jjP12ihipStream_tbEUljE_EEESV_SW_SX_S14_S18_S1A_T6_T7_T9_mT8_S1C_bDpT10_ENKUlT_T0_E_clISt17integral_constantIbLb0EES1P_EEDaS1K_S1L_EUlS1K_E_NS1_11comp_targetILNS1_3genE8ELNS1_11target_archE1030ELNS1_3gpuE2ELNS1_3repE0EEENS1_30default_config_static_selectorELNS0_4arch9wavefront6targetE1EEEvSY_.kd
    .uniform_work_group_size: 1
    .uses_dynamic_stack: false
    .vgpr_count:     0
    .vgpr_spill_count: 0
    .wavefront_size: 64
  - .args:
      - .offset:         0
        .size:           152
        .value_kind:     by_value
    .group_segment_fixed_size: 0
    .kernarg_segment_align: 8
    .kernarg_segment_size: 152
    .language:       OpenCL C
    .language_version:
      - 2
      - 0
    .max_flat_workgroup_size: 256
    .name:           _ZN7rocprim17ROCPRIM_400000_NS6detail17trampoline_kernelINS0_13select_configILj256ELj13ELNS0_17block_load_methodE3ELS4_3ELS4_3ELNS0_20block_scan_algorithmE0ELj4294967295EEENS1_25partition_config_selectorILNS1_17partition_subalgoE3EjNS0_10empty_typeEbEEZZNS1_14partition_implILS8_3ELb0ES6_jNS0_17counting_iteratorIjlEEPS9_SE_NS0_5tupleIJPjSE_EEENSF_IJSE_SE_EEES9_SG_JZNS1_25segmented_radix_sort_implINS0_14default_configELb1EPKdPdPKlPlN2at6native12_GLOBAL__N_18offset_tEEE10hipError_tPvRmT1_PNSt15iterator_traitsISY_E10value_typeET2_T3_PNSZ_IS14_E10value_typeET4_jRbjT5_S1A_jjP12ihipStream_tbEUljE_EEESV_SW_SX_S14_S18_S1A_T6_T7_T9_mT8_S1C_bDpT10_ENKUlT_T0_E_clISt17integral_constantIbLb1EES1P_EEDaS1K_S1L_EUlS1K_E_NS1_11comp_targetILNS1_3genE0ELNS1_11target_archE4294967295ELNS1_3gpuE0ELNS1_3repE0EEENS1_30default_config_static_selectorELNS0_4arch9wavefront6targetE1EEEvSY_
    .private_segment_fixed_size: 0
    .sgpr_count:     4
    .sgpr_spill_count: 0
    .symbol:         _ZN7rocprim17ROCPRIM_400000_NS6detail17trampoline_kernelINS0_13select_configILj256ELj13ELNS0_17block_load_methodE3ELS4_3ELS4_3ELNS0_20block_scan_algorithmE0ELj4294967295EEENS1_25partition_config_selectorILNS1_17partition_subalgoE3EjNS0_10empty_typeEbEEZZNS1_14partition_implILS8_3ELb0ES6_jNS0_17counting_iteratorIjlEEPS9_SE_NS0_5tupleIJPjSE_EEENSF_IJSE_SE_EEES9_SG_JZNS1_25segmented_radix_sort_implINS0_14default_configELb1EPKdPdPKlPlN2at6native12_GLOBAL__N_18offset_tEEE10hipError_tPvRmT1_PNSt15iterator_traitsISY_E10value_typeET2_T3_PNSZ_IS14_E10value_typeET4_jRbjT5_S1A_jjP12ihipStream_tbEUljE_EEESV_SW_SX_S14_S18_S1A_T6_T7_T9_mT8_S1C_bDpT10_ENKUlT_T0_E_clISt17integral_constantIbLb1EES1P_EEDaS1K_S1L_EUlS1K_E_NS1_11comp_targetILNS1_3genE0ELNS1_11target_archE4294967295ELNS1_3gpuE0ELNS1_3repE0EEENS1_30default_config_static_selectorELNS0_4arch9wavefront6targetE1EEEvSY_.kd
    .uniform_work_group_size: 1
    .uses_dynamic_stack: false
    .vgpr_count:     0
    .vgpr_spill_count: 0
    .wavefront_size: 64
  - .args:
      - .offset:         0
        .size:           152
        .value_kind:     by_value
    .group_segment_fixed_size: 0
    .kernarg_segment_align: 8
    .kernarg_segment_size: 152
    .language:       OpenCL C
    .language_version:
      - 2
      - 0
    .max_flat_workgroup_size: 256
    .name:           _ZN7rocprim17ROCPRIM_400000_NS6detail17trampoline_kernelINS0_13select_configILj256ELj13ELNS0_17block_load_methodE3ELS4_3ELS4_3ELNS0_20block_scan_algorithmE0ELj4294967295EEENS1_25partition_config_selectorILNS1_17partition_subalgoE3EjNS0_10empty_typeEbEEZZNS1_14partition_implILS8_3ELb0ES6_jNS0_17counting_iteratorIjlEEPS9_SE_NS0_5tupleIJPjSE_EEENSF_IJSE_SE_EEES9_SG_JZNS1_25segmented_radix_sort_implINS0_14default_configELb1EPKdPdPKlPlN2at6native12_GLOBAL__N_18offset_tEEE10hipError_tPvRmT1_PNSt15iterator_traitsISY_E10value_typeET2_T3_PNSZ_IS14_E10value_typeET4_jRbjT5_S1A_jjP12ihipStream_tbEUljE_EEESV_SW_SX_S14_S18_S1A_T6_T7_T9_mT8_S1C_bDpT10_ENKUlT_T0_E_clISt17integral_constantIbLb1EES1P_EEDaS1K_S1L_EUlS1K_E_NS1_11comp_targetILNS1_3genE5ELNS1_11target_archE942ELNS1_3gpuE9ELNS1_3repE0EEENS1_30default_config_static_selectorELNS0_4arch9wavefront6targetE1EEEvSY_
    .private_segment_fixed_size: 0
    .sgpr_count:     4
    .sgpr_spill_count: 0
    .symbol:         _ZN7rocprim17ROCPRIM_400000_NS6detail17trampoline_kernelINS0_13select_configILj256ELj13ELNS0_17block_load_methodE3ELS4_3ELS4_3ELNS0_20block_scan_algorithmE0ELj4294967295EEENS1_25partition_config_selectorILNS1_17partition_subalgoE3EjNS0_10empty_typeEbEEZZNS1_14partition_implILS8_3ELb0ES6_jNS0_17counting_iteratorIjlEEPS9_SE_NS0_5tupleIJPjSE_EEENSF_IJSE_SE_EEES9_SG_JZNS1_25segmented_radix_sort_implINS0_14default_configELb1EPKdPdPKlPlN2at6native12_GLOBAL__N_18offset_tEEE10hipError_tPvRmT1_PNSt15iterator_traitsISY_E10value_typeET2_T3_PNSZ_IS14_E10value_typeET4_jRbjT5_S1A_jjP12ihipStream_tbEUljE_EEESV_SW_SX_S14_S18_S1A_T6_T7_T9_mT8_S1C_bDpT10_ENKUlT_T0_E_clISt17integral_constantIbLb1EES1P_EEDaS1K_S1L_EUlS1K_E_NS1_11comp_targetILNS1_3genE5ELNS1_11target_archE942ELNS1_3gpuE9ELNS1_3repE0EEENS1_30default_config_static_selectorELNS0_4arch9wavefront6targetE1EEEvSY_.kd
    .uniform_work_group_size: 1
    .uses_dynamic_stack: false
    .vgpr_count:     0
    .vgpr_spill_count: 0
    .wavefront_size: 64
  - .args:
      - .offset:         0
        .size:           152
        .value_kind:     by_value
    .group_segment_fixed_size: 0
    .kernarg_segment_align: 8
    .kernarg_segment_size: 152
    .language:       OpenCL C
    .language_version:
      - 2
      - 0
    .max_flat_workgroup_size: 256
    .name:           _ZN7rocprim17ROCPRIM_400000_NS6detail17trampoline_kernelINS0_13select_configILj256ELj13ELNS0_17block_load_methodE3ELS4_3ELS4_3ELNS0_20block_scan_algorithmE0ELj4294967295EEENS1_25partition_config_selectorILNS1_17partition_subalgoE3EjNS0_10empty_typeEbEEZZNS1_14partition_implILS8_3ELb0ES6_jNS0_17counting_iteratorIjlEEPS9_SE_NS0_5tupleIJPjSE_EEENSF_IJSE_SE_EEES9_SG_JZNS1_25segmented_radix_sort_implINS0_14default_configELb1EPKdPdPKlPlN2at6native12_GLOBAL__N_18offset_tEEE10hipError_tPvRmT1_PNSt15iterator_traitsISY_E10value_typeET2_T3_PNSZ_IS14_E10value_typeET4_jRbjT5_S1A_jjP12ihipStream_tbEUljE_EEESV_SW_SX_S14_S18_S1A_T6_T7_T9_mT8_S1C_bDpT10_ENKUlT_T0_E_clISt17integral_constantIbLb1EES1P_EEDaS1K_S1L_EUlS1K_E_NS1_11comp_targetILNS1_3genE4ELNS1_11target_archE910ELNS1_3gpuE8ELNS1_3repE0EEENS1_30default_config_static_selectorELNS0_4arch9wavefront6targetE1EEEvSY_
    .private_segment_fixed_size: 0
    .sgpr_count:     4
    .sgpr_spill_count: 0
    .symbol:         _ZN7rocprim17ROCPRIM_400000_NS6detail17trampoline_kernelINS0_13select_configILj256ELj13ELNS0_17block_load_methodE3ELS4_3ELS4_3ELNS0_20block_scan_algorithmE0ELj4294967295EEENS1_25partition_config_selectorILNS1_17partition_subalgoE3EjNS0_10empty_typeEbEEZZNS1_14partition_implILS8_3ELb0ES6_jNS0_17counting_iteratorIjlEEPS9_SE_NS0_5tupleIJPjSE_EEENSF_IJSE_SE_EEES9_SG_JZNS1_25segmented_radix_sort_implINS0_14default_configELb1EPKdPdPKlPlN2at6native12_GLOBAL__N_18offset_tEEE10hipError_tPvRmT1_PNSt15iterator_traitsISY_E10value_typeET2_T3_PNSZ_IS14_E10value_typeET4_jRbjT5_S1A_jjP12ihipStream_tbEUljE_EEESV_SW_SX_S14_S18_S1A_T6_T7_T9_mT8_S1C_bDpT10_ENKUlT_T0_E_clISt17integral_constantIbLb1EES1P_EEDaS1K_S1L_EUlS1K_E_NS1_11comp_targetILNS1_3genE4ELNS1_11target_archE910ELNS1_3gpuE8ELNS1_3repE0EEENS1_30default_config_static_selectorELNS0_4arch9wavefront6targetE1EEEvSY_.kd
    .uniform_work_group_size: 1
    .uses_dynamic_stack: false
    .vgpr_count:     0
    .vgpr_spill_count: 0
    .wavefront_size: 64
  - .args:
      - .offset:         0
        .size:           152
        .value_kind:     by_value
    .group_segment_fixed_size: 0
    .kernarg_segment_align: 8
    .kernarg_segment_size: 152
    .language:       OpenCL C
    .language_version:
      - 2
      - 0
    .max_flat_workgroup_size: 256
    .name:           _ZN7rocprim17ROCPRIM_400000_NS6detail17trampoline_kernelINS0_13select_configILj256ELj13ELNS0_17block_load_methodE3ELS4_3ELS4_3ELNS0_20block_scan_algorithmE0ELj4294967295EEENS1_25partition_config_selectorILNS1_17partition_subalgoE3EjNS0_10empty_typeEbEEZZNS1_14partition_implILS8_3ELb0ES6_jNS0_17counting_iteratorIjlEEPS9_SE_NS0_5tupleIJPjSE_EEENSF_IJSE_SE_EEES9_SG_JZNS1_25segmented_radix_sort_implINS0_14default_configELb1EPKdPdPKlPlN2at6native12_GLOBAL__N_18offset_tEEE10hipError_tPvRmT1_PNSt15iterator_traitsISY_E10value_typeET2_T3_PNSZ_IS14_E10value_typeET4_jRbjT5_S1A_jjP12ihipStream_tbEUljE_EEESV_SW_SX_S14_S18_S1A_T6_T7_T9_mT8_S1C_bDpT10_ENKUlT_T0_E_clISt17integral_constantIbLb1EES1P_EEDaS1K_S1L_EUlS1K_E_NS1_11comp_targetILNS1_3genE3ELNS1_11target_archE908ELNS1_3gpuE7ELNS1_3repE0EEENS1_30default_config_static_selectorELNS0_4arch9wavefront6targetE1EEEvSY_
    .private_segment_fixed_size: 0
    .sgpr_count:     4
    .sgpr_spill_count: 0
    .symbol:         _ZN7rocprim17ROCPRIM_400000_NS6detail17trampoline_kernelINS0_13select_configILj256ELj13ELNS0_17block_load_methodE3ELS4_3ELS4_3ELNS0_20block_scan_algorithmE0ELj4294967295EEENS1_25partition_config_selectorILNS1_17partition_subalgoE3EjNS0_10empty_typeEbEEZZNS1_14partition_implILS8_3ELb0ES6_jNS0_17counting_iteratorIjlEEPS9_SE_NS0_5tupleIJPjSE_EEENSF_IJSE_SE_EEES9_SG_JZNS1_25segmented_radix_sort_implINS0_14default_configELb1EPKdPdPKlPlN2at6native12_GLOBAL__N_18offset_tEEE10hipError_tPvRmT1_PNSt15iterator_traitsISY_E10value_typeET2_T3_PNSZ_IS14_E10value_typeET4_jRbjT5_S1A_jjP12ihipStream_tbEUljE_EEESV_SW_SX_S14_S18_S1A_T6_T7_T9_mT8_S1C_bDpT10_ENKUlT_T0_E_clISt17integral_constantIbLb1EES1P_EEDaS1K_S1L_EUlS1K_E_NS1_11comp_targetILNS1_3genE3ELNS1_11target_archE908ELNS1_3gpuE7ELNS1_3repE0EEENS1_30default_config_static_selectorELNS0_4arch9wavefront6targetE1EEEvSY_.kd
    .uniform_work_group_size: 1
    .uses_dynamic_stack: false
    .vgpr_count:     0
    .vgpr_spill_count: 0
    .wavefront_size: 64
  - .args:
      - .offset:         0
        .size:           152
        .value_kind:     by_value
    .group_segment_fixed_size: 0
    .kernarg_segment_align: 8
    .kernarg_segment_size: 152
    .language:       OpenCL C
    .language_version:
      - 2
      - 0
    .max_flat_workgroup_size: 256
    .name:           _ZN7rocprim17ROCPRIM_400000_NS6detail17trampoline_kernelINS0_13select_configILj256ELj13ELNS0_17block_load_methodE3ELS4_3ELS4_3ELNS0_20block_scan_algorithmE0ELj4294967295EEENS1_25partition_config_selectorILNS1_17partition_subalgoE3EjNS0_10empty_typeEbEEZZNS1_14partition_implILS8_3ELb0ES6_jNS0_17counting_iteratorIjlEEPS9_SE_NS0_5tupleIJPjSE_EEENSF_IJSE_SE_EEES9_SG_JZNS1_25segmented_radix_sort_implINS0_14default_configELb1EPKdPdPKlPlN2at6native12_GLOBAL__N_18offset_tEEE10hipError_tPvRmT1_PNSt15iterator_traitsISY_E10value_typeET2_T3_PNSZ_IS14_E10value_typeET4_jRbjT5_S1A_jjP12ihipStream_tbEUljE_EEESV_SW_SX_S14_S18_S1A_T6_T7_T9_mT8_S1C_bDpT10_ENKUlT_T0_E_clISt17integral_constantIbLb1EES1P_EEDaS1K_S1L_EUlS1K_E_NS1_11comp_targetILNS1_3genE2ELNS1_11target_archE906ELNS1_3gpuE6ELNS1_3repE0EEENS1_30default_config_static_selectorELNS0_4arch9wavefront6targetE1EEEvSY_
    .private_segment_fixed_size: 0
    .sgpr_count:     4
    .sgpr_spill_count: 0
    .symbol:         _ZN7rocprim17ROCPRIM_400000_NS6detail17trampoline_kernelINS0_13select_configILj256ELj13ELNS0_17block_load_methodE3ELS4_3ELS4_3ELNS0_20block_scan_algorithmE0ELj4294967295EEENS1_25partition_config_selectorILNS1_17partition_subalgoE3EjNS0_10empty_typeEbEEZZNS1_14partition_implILS8_3ELb0ES6_jNS0_17counting_iteratorIjlEEPS9_SE_NS0_5tupleIJPjSE_EEENSF_IJSE_SE_EEES9_SG_JZNS1_25segmented_radix_sort_implINS0_14default_configELb1EPKdPdPKlPlN2at6native12_GLOBAL__N_18offset_tEEE10hipError_tPvRmT1_PNSt15iterator_traitsISY_E10value_typeET2_T3_PNSZ_IS14_E10value_typeET4_jRbjT5_S1A_jjP12ihipStream_tbEUljE_EEESV_SW_SX_S14_S18_S1A_T6_T7_T9_mT8_S1C_bDpT10_ENKUlT_T0_E_clISt17integral_constantIbLb1EES1P_EEDaS1K_S1L_EUlS1K_E_NS1_11comp_targetILNS1_3genE2ELNS1_11target_archE906ELNS1_3gpuE6ELNS1_3repE0EEENS1_30default_config_static_selectorELNS0_4arch9wavefront6targetE1EEEvSY_.kd
    .uniform_work_group_size: 1
    .uses_dynamic_stack: false
    .vgpr_count:     0
    .vgpr_spill_count: 0
    .wavefront_size: 64
  - .args:
      - .offset:         0
        .size:           152
        .value_kind:     by_value
    .group_segment_fixed_size: 0
    .kernarg_segment_align: 8
    .kernarg_segment_size: 152
    .language:       OpenCL C
    .language_version:
      - 2
      - 0
    .max_flat_workgroup_size: 256
    .name:           _ZN7rocprim17ROCPRIM_400000_NS6detail17trampoline_kernelINS0_13select_configILj256ELj13ELNS0_17block_load_methodE3ELS4_3ELS4_3ELNS0_20block_scan_algorithmE0ELj4294967295EEENS1_25partition_config_selectorILNS1_17partition_subalgoE3EjNS0_10empty_typeEbEEZZNS1_14partition_implILS8_3ELb0ES6_jNS0_17counting_iteratorIjlEEPS9_SE_NS0_5tupleIJPjSE_EEENSF_IJSE_SE_EEES9_SG_JZNS1_25segmented_radix_sort_implINS0_14default_configELb1EPKdPdPKlPlN2at6native12_GLOBAL__N_18offset_tEEE10hipError_tPvRmT1_PNSt15iterator_traitsISY_E10value_typeET2_T3_PNSZ_IS14_E10value_typeET4_jRbjT5_S1A_jjP12ihipStream_tbEUljE_EEESV_SW_SX_S14_S18_S1A_T6_T7_T9_mT8_S1C_bDpT10_ENKUlT_T0_E_clISt17integral_constantIbLb1EES1P_EEDaS1K_S1L_EUlS1K_E_NS1_11comp_targetILNS1_3genE10ELNS1_11target_archE1200ELNS1_3gpuE4ELNS1_3repE0EEENS1_30default_config_static_selectorELNS0_4arch9wavefront6targetE1EEEvSY_
    .private_segment_fixed_size: 0
    .sgpr_count:     4
    .sgpr_spill_count: 0
    .symbol:         _ZN7rocprim17ROCPRIM_400000_NS6detail17trampoline_kernelINS0_13select_configILj256ELj13ELNS0_17block_load_methodE3ELS4_3ELS4_3ELNS0_20block_scan_algorithmE0ELj4294967295EEENS1_25partition_config_selectorILNS1_17partition_subalgoE3EjNS0_10empty_typeEbEEZZNS1_14partition_implILS8_3ELb0ES6_jNS0_17counting_iteratorIjlEEPS9_SE_NS0_5tupleIJPjSE_EEENSF_IJSE_SE_EEES9_SG_JZNS1_25segmented_radix_sort_implINS0_14default_configELb1EPKdPdPKlPlN2at6native12_GLOBAL__N_18offset_tEEE10hipError_tPvRmT1_PNSt15iterator_traitsISY_E10value_typeET2_T3_PNSZ_IS14_E10value_typeET4_jRbjT5_S1A_jjP12ihipStream_tbEUljE_EEESV_SW_SX_S14_S18_S1A_T6_T7_T9_mT8_S1C_bDpT10_ENKUlT_T0_E_clISt17integral_constantIbLb1EES1P_EEDaS1K_S1L_EUlS1K_E_NS1_11comp_targetILNS1_3genE10ELNS1_11target_archE1200ELNS1_3gpuE4ELNS1_3repE0EEENS1_30default_config_static_selectorELNS0_4arch9wavefront6targetE1EEEvSY_.kd
    .uniform_work_group_size: 1
    .uses_dynamic_stack: false
    .vgpr_count:     0
    .vgpr_spill_count: 0
    .wavefront_size: 64
  - .args:
      - .offset:         0
        .size:           152
        .value_kind:     by_value
    .group_segment_fixed_size: 0
    .kernarg_segment_align: 8
    .kernarg_segment_size: 152
    .language:       OpenCL C
    .language_version:
      - 2
      - 0
    .max_flat_workgroup_size: 256
    .name:           _ZN7rocprim17ROCPRIM_400000_NS6detail17trampoline_kernelINS0_13select_configILj256ELj13ELNS0_17block_load_methodE3ELS4_3ELS4_3ELNS0_20block_scan_algorithmE0ELj4294967295EEENS1_25partition_config_selectorILNS1_17partition_subalgoE3EjNS0_10empty_typeEbEEZZNS1_14partition_implILS8_3ELb0ES6_jNS0_17counting_iteratorIjlEEPS9_SE_NS0_5tupleIJPjSE_EEENSF_IJSE_SE_EEES9_SG_JZNS1_25segmented_radix_sort_implINS0_14default_configELb1EPKdPdPKlPlN2at6native12_GLOBAL__N_18offset_tEEE10hipError_tPvRmT1_PNSt15iterator_traitsISY_E10value_typeET2_T3_PNSZ_IS14_E10value_typeET4_jRbjT5_S1A_jjP12ihipStream_tbEUljE_EEESV_SW_SX_S14_S18_S1A_T6_T7_T9_mT8_S1C_bDpT10_ENKUlT_T0_E_clISt17integral_constantIbLb1EES1P_EEDaS1K_S1L_EUlS1K_E_NS1_11comp_targetILNS1_3genE9ELNS1_11target_archE1100ELNS1_3gpuE3ELNS1_3repE0EEENS1_30default_config_static_selectorELNS0_4arch9wavefront6targetE1EEEvSY_
    .private_segment_fixed_size: 0
    .sgpr_count:     4
    .sgpr_spill_count: 0
    .symbol:         _ZN7rocprim17ROCPRIM_400000_NS6detail17trampoline_kernelINS0_13select_configILj256ELj13ELNS0_17block_load_methodE3ELS4_3ELS4_3ELNS0_20block_scan_algorithmE0ELj4294967295EEENS1_25partition_config_selectorILNS1_17partition_subalgoE3EjNS0_10empty_typeEbEEZZNS1_14partition_implILS8_3ELb0ES6_jNS0_17counting_iteratorIjlEEPS9_SE_NS0_5tupleIJPjSE_EEENSF_IJSE_SE_EEES9_SG_JZNS1_25segmented_radix_sort_implINS0_14default_configELb1EPKdPdPKlPlN2at6native12_GLOBAL__N_18offset_tEEE10hipError_tPvRmT1_PNSt15iterator_traitsISY_E10value_typeET2_T3_PNSZ_IS14_E10value_typeET4_jRbjT5_S1A_jjP12ihipStream_tbEUljE_EEESV_SW_SX_S14_S18_S1A_T6_T7_T9_mT8_S1C_bDpT10_ENKUlT_T0_E_clISt17integral_constantIbLb1EES1P_EEDaS1K_S1L_EUlS1K_E_NS1_11comp_targetILNS1_3genE9ELNS1_11target_archE1100ELNS1_3gpuE3ELNS1_3repE0EEENS1_30default_config_static_selectorELNS0_4arch9wavefront6targetE1EEEvSY_.kd
    .uniform_work_group_size: 1
    .uses_dynamic_stack: false
    .vgpr_count:     0
    .vgpr_spill_count: 0
    .wavefront_size: 64
  - .args:
      - .offset:         0
        .size:           152
        .value_kind:     by_value
    .group_segment_fixed_size: 0
    .kernarg_segment_align: 8
    .kernarg_segment_size: 152
    .language:       OpenCL C
    .language_version:
      - 2
      - 0
    .max_flat_workgroup_size: 256
    .name:           _ZN7rocprim17ROCPRIM_400000_NS6detail17trampoline_kernelINS0_13select_configILj256ELj13ELNS0_17block_load_methodE3ELS4_3ELS4_3ELNS0_20block_scan_algorithmE0ELj4294967295EEENS1_25partition_config_selectorILNS1_17partition_subalgoE3EjNS0_10empty_typeEbEEZZNS1_14partition_implILS8_3ELb0ES6_jNS0_17counting_iteratorIjlEEPS9_SE_NS0_5tupleIJPjSE_EEENSF_IJSE_SE_EEES9_SG_JZNS1_25segmented_radix_sort_implINS0_14default_configELb1EPKdPdPKlPlN2at6native12_GLOBAL__N_18offset_tEEE10hipError_tPvRmT1_PNSt15iterator_traitsISY_E10value_typeET2_T3_PNSZ_IS14_E10value_typeET4_jRbjT5_S1A_jjP12ihipStream_tbEUljE_EEESV_SW_SX_S14_S18_S1A_T6_T7_T9_mT8_S1C_bDpT10_ENKUlT_T0_E_clISt17integral_constantIbLb1EES1P_EEDaS1K_S1L_EUlS1K_E_NS1_11comp_targetILNS1_3genE8ELNS1_11target_archE1030ELNS1_3gpuE2ELNS1_3repE0EEENS1_30default_config_static_selectorELNS0_4arch9wavefront6targetE1EEEvSY_
    .private_segment_fixed_size: 0
    .sgpr_count:     4
    .sgpr_spill_count: 0
    .symbol:         _ZN7rocprim17ROCPRIM_400000_NS6detail17trampoline_kernelINS0_13select_configILj256ELj13ELNS0_17block_load_methodE3ELS4_3ELS4_3ELNS0_20block_scan_algorithmE0ELj4294967295EEENS1_25partition_config_selectorILNS1_17partition_subalgoE3EjNS0_10empty_typeEbEEZZNS1_14partition_implILS8_3ELb0ES6_jNS0_17counting_iteratorIjlEEPS9_SE_NS0_5tupleIJPjSE_EEENSF_IJSE_SE_EEES9_SG_JZNS1_25segmented_radix_sort_implINS0_14default_configELb1EPKdPdPKlPlN2at6native12_GLOBAL__N_18offset_tEEE10hipError_tPvRmT1_PNSt15iterator_traitsISY_E10value_typeET2_T3_PNSZ_IS14_E10value_typeET4_jRbjT5_S1A_jjP12ihipStream_tbEUljE_EEESV_SW_SX_S14_S18_S1A_T6_T7_T9_mT8_S1C_bDpT10_ENKUlT_T0_E_clISt17integral_constantIbLb1EES1P_EEDaS1K_S1L_EUlS1K_E_NS1_11comp_targetILNS1_3genE8ELNS1_11target_archE1030ELNS1_3gpuE2ELNS1_3repE0EEENS1_30default_config_static_selectorELNS0_4arch9wavefront6targetE1EEEvSY_.kd
    .uniform_work_group_size: 1
    .uses_dynamic_stack: false
    .vgpr_count:     0
    .vgpr_spill_count: 0
    .wavefront_size: 64
  - .args:
      - .offset:         0
        .size:           144
        .value_kind:     by_value
    .group_segment_fixed_size: 0
    .kernarg_segment_align: 8
    .kernarg_segment_size: 144
    .language:       OpenCL C
    .language_version:
      - 2
      - 0
    .max_flat_workgroup_size: 256
    .name:           _ZN7rocprim17ROCPRIM_400000_NS6detail17trampoline_kernelINS0_13select_configILj256ELj13ELNS0_17block_load_methodE3ELS4_3ELS4_3ELNS0_20block_scan_algorithmE0ELj4294967295EEENS1_25partition_config_selectorILNS1_17partition_subalgoE3EjNS0_10empty_typeEbEEZZNS1_14partition_implILS8_3ELb0ES6_jNS0_17counting_iteratorIjlEEPS9_SE_NS0_5tupleIJPjSE_EEENSF_IJSE_SE_EEES9_SG_JZNS1_25segmented_radix_sort_implINS0_14default_configELb1EPKdPdPKlPlN2at6native12_GLOBAL__N_18offset_tEEE10hipError_tPvRmT1_PNSt15iterator_traitsISY_E10value_typeET2_T3_PNSZ_IS14_E10value_typeET4_jRbjT5_S1A_jjP12ihipStream_tbEUljE_EEESV_SW_SX_S14_S18_S1A_T6_T7_T9_mT8_S1C_bDpT10_ENKUlT_T0_E_clISt17integral_constantIbLb1EES1O_IbLb0EEEEDaS1K_S1L_EUlS1K_E_NS1_11comp_targetILNS1_3genE0ELNS1_11target_archE4294967295ELNS1_3gpuE0ELNS1_3repE0EEENS1_30default_config_static_selectorELNS0_4arch9wavefront6targetE1EEEvSY_
    .private_segment_fixed_size: 0
    .sgpr_count:     4
    .sgpr_spill_count: 0
    .symbol:         _ZN7rocprim17ROCPRIM_400000_NS6detail17trampoline_kernelINS0_13select_configILj256ELj13ELNS0_17block_load_methodE3ELS4_3ELS4_3ELNS0_20block_scan_algorithmE0ELj4294967295EEENS1_25partition_config_selectorILNS1_17partition_subalgoE3EjNS0_10empty_typeEbEEZZNS1_14partition_implILS8_3ELb0ES6_jNS0_17counting_iteratorIjlEEPS9_SE_NS0_5tupleIJPjSE_EEENSF_IJSE_SE_EEES9_SG_JZNS1_25segmented_radix_sort_implINS0_14default_configELb1EPKdPdPKlPlN2at6native12_GLOBAL__N_18offset_tEEE10hipError_tPvRmT1_PNSt15iterator_traitsISY_E10value_typeET2_T3_PNSZ_IS14_E10value_typeET4_jRbjT5_S1A_jjP12ihipStream_tbEUljE_EEESV_SW_SX_S14_S18_S1A_T6_T7_T9_mT8_S1C_bDpT10_ENKUlT_T0_E_clISt17integral_constantIbLb1EES1O_IbLb0EEEEDaS1K_S1L_EUlS1K_E_NS1_11comp_targetILNS1_3genE0ELNS1_11target_archE4294967295ELNS1_3gpuE0ELNS1_3repE0EEENS1_30default_config_static_selectorELNS0_4arch9wavefront6targetE1EEEvSY_.kd
    .uniform_work_group_size: 1
    .uses_dynamic_stack: false
    .vgpr_count:     0
    .vgpr_spill_count: 0
    .wavefront_size: 64
  - .args:
      - .offset:         0
        .size:           144
        .value_kind:     by_value
    .group_segment_fixed_size: 0
    .kernarg_segment_align: 8
    .kernarg_segment_size: 144
    .language:       OpenCL C
    .language_version:
      - 2
      - 0
    .max_flat_workgroup_size: 256
    .name:           _ZN7rocprim17ROCPRIM_400000_NS6detail17trampoline_kernelINS0_13select_configILj256ELj13ELNS0_17block_load_methodE3ELS4_3ELS4_3ELNS0_20block_scan_algorithmE0ELj4294967295EEENS1_25partition_config_selectorILNS1_17partition_subalgoE3EjNS0_10empty_typeEbEEZZNS1_14partition_implILS8_3ELb0ES6_jNS0_17counting_iteratorIjlEEPS9_SE_NS0_5tupleIJPjSE_EEENSF_IJSE_SE_EEES9_SG_JZNS1_25segmented_radix_sort_implINS0_14default_configELb1EPKdPdPKlPlN2at6native12_GLOBAL__N_18offset_tEEE10hipError_tPvRmT1_PNSt15iterator_traitsISY_E10value_typeET2_T3_PNSZ_IS14_E10value_typeET4_jRbjT5_S1A_jjP12ihipStream_tbEUljE_EEESV_SW_SX_S14_S18_S1A_T6_T7_T9_mT8_S1C_bDpT10_ENKUlT_T0_E_clISt17integral_constantIbLb1EES1O_IbLb0EEEEDaS1K_S1L_EUlS1K_E_NS1_11comp_targetILNS1_3genE5ELNS1_11target_archE942ELNS1_3gpuE9ELNS1_3repE0EEENS1_30default_config_static_selectorELNS0_4arch9wavefront6targetE1EEEvSY_
    .private_segment_fixed_size: 0
    .sgpr_count:     4
    .sgpr_spill_count: 0
    .symbol:         _ZN7rocprim17ROCPRIM_400000_NS6detail17trampoline_kernelINS0_13select_configILj256ELj13ELNS0_17block_load_methodE3ELS4_3ELS4_3ELNS0_20block_scan_algorithmE0ELj4294967295EEENS1_25partition_config_selectorILNS1_17partition_subalgoE3EjNS0_10empty_typeEbEEZZNS1_14partition_implILS8_3ELb0ES6_jNS0_17counting_iteratorIjlEEPS9_SE_NS0_5tupleIJPjSE_EEENSF_IJSE_SE_EEES9_SG_JZNS1_25segmented_radix_sort_implINS0_14default_configELb1EPKdPdPKlPlN2at6native12_GLOBAL__N_18offset_tEEE10hipError_tPvRmT1_PNSt15iterator_traitsISY_E10value_typeET2_T3_PNSZ_IS14_E10value_typeET4_jRbjT5_S1A_jjP12ihipStream_tbEUljE_EEESV_SW_SX_S14_S18_S1A_T6_T7_T9_mT8_S1C_bDpT10_ENKUlT_T0_E_clISt17integral_constantIbLb1EES1O_IbLb0EEEEDaS1K_S1L_EUlS1K_E_NS1_11comp_targetILNS1_3genE5ELNS1_11target_archE942ELNS1_3gpuE9ELNS1_3repE0EEENS1_30default_config_static_selectorELNS0_4arch9wavefront6targetE1EEEvSY_.kd
    .uniform_work_group_size: 1
    .uses_dynamic_stack: false
    .vgpr_count:     0
    .vgpr_spill_count: 0
    .wavefront_size: 64
  - .args:
      - .offset:         0
        .size:           144
        .value_kind:     by_value
    .group_segment_fixed_size: 0
    .kernarg_segment_align: 8
    .kernarg_segment_size: 144
    .language:       OpenCL C
    .language_version:
      - 2
      - 0
    .max_flat_workgroup_size: 256
    .name:           _ZN7rocprim17ROCPRIM_400000_NS6detail17trampoline_kernelINS0_13select_configILj256ELj13ELNS0_17block_load_methodE3ELS4_3ELS4_3ELNS0_20block_scan_algorithmE0ELj4294967295EEENS1_25partition_config_selectorILNS1_17partition_subalgoE3EjNS0_10empty_typeEbEEZZNS1_14partition_implILS8_3ELb0ES6_jNS0_17counting_iteratorIjlEEPS9_SE_NS0_5tupleIJPjSE_EEENSF_IJSE_SE_EEES9_SG_JZNS1_25segmented_radix_sort_implINS0_14default_configELb1EPKdPdPKlPlN2at6native12_GLOBAL__N_18offset_tEEE10hipError_tPvRmT1_PNSt15iterator_traitsISY_E10value_typeET2_T3_PNSZ_IS14_E10value_typeET4_jRbjT5_S1A_jjP12ihipStream_tbEUljE_EEESV_SW_SX_S14_S18_S1A_T6_T7_T9_mT8_S1C_bDpT10_ENKUlT_T0_E_clISt17integral_constantIbLb1EES1O_IbLb0EEEEDaS1K_S1L_EUlS1K_E_NS1_11comp_targetILNS1_3genE4ELNS1_11target_archE910ELNS1_3gpuE8ELNS1_3repE0EEENS1_30default_config_static_selectorELNS0_4arch9wavefront6targetE1EEEvSY_
    .private_segment_fixed_size: 0
    .sgpr_count:     4
    .sgpr_spill_count: 0
    .symbol:         _ZN7rocprim17ROCPRIM_400000_NS6detail17trampoline_kernelINS0_13select_configILj256ELj13ELNS0_17block_load_methodE3ELS4_3ELS4_3ELNS0_20block_scan_algorithmE0ELj4294967295EEENS1_25partition_config_selectorILNS1_17partition_subalgoE3EjNS0_10empty_typeEbEEZZNS1_14partition_implILS8_3ELb0ES6_jNS0_17counting_iteratorIjlEEPS9_SE_NS0_5tupleIJPjSE_EEENSF_IJSE_SE_EEES9_SG_JZNS1_25segmented_radix_sort_implINS0_14default_configELb1EPKdPdPKlPlN2at6native12_GLOBAL__N_18offset_tEEE10hipError_tPvRmT1_PNSt15iterator_traitsISY_E10value_typeET2_T3_PNSZ_IS14_E10value_typeET4_jRbjT5_S1A_jjP12ihipStream_tbEUljE_EEESV_SW_SX_S14_S18_S1A_T6_T7_T9_mT8_S1C_bDpT10_ENKUlT_T0_E_clISt17integral_constantIbLb1EES1O_IbLb0EEEEDaS1K_S1L_EUlS1K_E_NS1_11comp_targetILNS1_3genE4ELNS1_11target_archE910ELNS1_3gpuE8ELNS1_3repE0EEENS1_30default_config_static_selectorELNS0_4arch9wavefront6targetE1EEEvSY_.kd
    .uniform_work_group_size: 1
    .uses_dynamic_stack: false
    .vgpr_count:     0
    .vgpr_spill_count: 0
    .wavefront_size: 64
  - .args:
      - .offset:         0
        .size:           144
        .value_kind:     by_value
    .group_segment_fixed_size: 0
    .kernarg_segment_align: 8
    .kernarg_segment_size: 144
    .language:       OpenCL C
    .language_version:
      - 2
      - 0
    .max_flat_workgroup_size: 256
    .name:           _ZN7rocprim17ROCPRIM_400000_NS6detail17trampoline_kernelINS0_13select_configILj256ELj13ELNS0_17block_load_methodE3ELS4_3ELS4_3ELNS0_20block_scan_algorithmE0ELj4294967295EEENS1_25partition_config_selectorILNS1_17partition_subalgoE3EjNS0_10empty_typeEbEEZZNS1_14partition_implILS8_3ELb0ES6_jNS0_17counting_iteratorIjlEEPS9_SE_NS0_5tupleIJPjSE_EEENSF_IJSE_SE_EEES9_SG_JZNS1_25segmented_radix_sort_implINS0_14default_configELb1EPKdPdPKlPlN2at6native12_GLOBAL__N_18offset_tEEE10hipError_tPvRmT1_PNSt15iterator_traitsISY_E10value_typeET2_T3_PNSZ_IS14_E10value_typeET4_jRbjT5_S1A_jjP12ihipStream_tbEUljE_EEESV_SW_SX_S14_S18_S1A_T6_T7_T9_mT8_S1C_bDpT10_ENKUlT_T0_E_clISt17integral_constantIbLb1EES1O_IbLb0EEEEDaS1K_S1L_EUlS1K_E_NS1_11comp_targetILNS1_3genE3ELNS1_11target_archE908ELNS1_3gpuE7ELNS1_3repE0EEENS1_30default_config_static_selectorELNS0_4arch9wavefront6targetE1EEEvSY_
    .private_segment_fixed_size: 0
    .sgpr_count:     4
    .sgpr_spill_count: 0
    .symbol:         _ZN7rocprim17ROCPRIM_400000_NS6detail17trampoline_kernelINS0_13select_configILj256ELj13ELNS0_17block_load_methodE3ELS4_3ELS4_3ELNS0_20block_scan_algorithmE0ELj4294967295EEENS1_25partition_config_selectorILNS1_17partition_subalgoE3EjNS0_10empty_typeEbEEZZNS1_14partition_implILS8_3ELb0ES6_jNS0_17counting_iteratorIjlEEPS9_SE_NS0_5tupleIJPjSE_EEENSF_IJSE_SE_EEES9_SG_JZNS1_25segmented_radix_sort_implINS0_14default_configELb1EPKdPdPKlPlN2at6native12_GLOBAL__N_18offset_tEEE10hipError_tPvRmT1_PNSt15iterator_traitsISY_E10value_typeET2_T3_PNSZ_IS14_E10value_typeET4_jRbjT5_S1A_jjP12ihipStream_tbEUljE_EEESV_SW_SX_S14_S18_S1A_T6_T7_T9_mT8_S1C_bDpT10_ENKUlT_T0_E_clISt17integral_constantIbLb1EES1O_IbLb0EEEEDaS1K_S1L_EUlS1K_E_NS1_11comp_targetILNS1_3genE3ELNS1_11target_archE908ELNS1_3gpuE7ELNS1_3repE0EEENS1_30default_config_static_selectorELNS0_4arch9wavefront6targetE1EEEvSY_.kd
    .uniform_work_group_size: 1
    .uses_dynamic_stack: false
    .vgpr_count:     0
    .vgpr_spill_count: 0
    .wavefront_size: 64
  - .args:
      - .offset:         0
        .size:           144
        .value_kind:     by_value
    .group_segment_fixed_size: 0
    .kernarg_segment_align: 8
    .kernarg_segment_size: 144
    .language:       OpenCL C
    .language_version:
      - 2
      - 0
    .max_flat_workgroup_size: 256
    .name:           _ZN7rocprim17ROCPRIM_400000_NS6detail17trampoline_kernelINS0_13select_configILj256ELj13ELNS0_17block_load_methodE3ELS4_3ELS4_3ELNS0_20block_scan_algorithmE0ELj4294967295EEENS1_25partition_config_selectorILNS1_17partition_subalgoE3EjNS0_10empty_typeEbEEZZNS1_14partition_implILS8_3ELb0ES6_jNS0_17counting_iteratorIjlEEPS9_SE_NS0_5tupleIJPjSE_EEENSF_IJSE_SE_EEES9_SG_JZNS1_25segmented_radix_sort_implINS0_14default_configELb1EPKdPdPKlPlN2at6native12_GLOBAL__N_18offset_tEEE10hipError_tPvRmT1_PNSt15iterator_traitsISY_E10value_typeET2_T3_PNSZ_IS14_E10value_typeET4_jRbjT5_S1A_jjP12ihipStream_tbEUljE_EEESV_SW_SX_S14_S18_S1A_T6_T7_T9_mT8_S1C_bDpT10_ENKUlT_T0_E_clISt17integral_constantIbLb1EES1O_IbLb0EEEEDaS1K_S1L_EUlS1K_E_NS1_11comp_targetILNS1_3genE2ELNS1_11target_archE906ELNS1_3gpuE6ELNS1_3repE0EEENS1_30default_config_static_selectorELNS0_4arch9wavefront6targetE1EEEvSY_
    .private_segment_fixed_size: 0
    .sgpr_count:     4
    .sgpr_spill_count: 0
    .symbol:         _ZN7rocprim17ROCPRIM_400000_NS6detail17trampoline_kernelINS0_13select_configILj256ELj13ELNS0_17block_load_methodE3ELS4_3ELS4_3ELNS0_20block_scan_algorithmE0ELj4294967295EEENS1_25partition_config_selectorILNS1_17partition_subalgoE3EjNS0_10empty_typeEbEEZZNS1_14partition_implILS8_3ELb0ES6_jNS0_17counting_iteratorIjlEEPS9_SE_NS0_5tupleIJPjSE_EEENSF_IJSE_SE_EEES9_SG_JZNS1_25segmented_radix_sort_implINS0_14default_configELb1EPKdPdPKlPlN2at6native12_GLOBAL__N_18offset_tEEE10hipError_tPvRmT1_PNSt15iterator_traitsISY_E10value_typeET2_T3_PNSZ_IS14_E10value_typeET4_jRbjT5_S1A_jjP12ihipStream_tbEUljE_EEESV_SW_SX_S14_S18_S1A_T6_T7_T9_mT8_S1C_bDpT10_ENKUlT_T0_E_clISt17integral_constantIbLb1EES1O_IbLb0EEEEDaS1K_S1L_EUlS1K_E_NS1_11comp_targetILNS1_3genE2ELNS1_11target_archE906ELNS1_3gpuE6ELNS1_3repE0EEENS1_30default_config_static_selectorELNS0_4arch9wavefront6targetE1EEEvSY_.kd
    .uniform_work_group_size: 1
    .uses_dynamic_stack: false
    .vgpr_count:     0
    .vgpr_spill_count: 0
    .wavefront_size: 64
  - .args:
      - .offset:         0
        .size:           144
        .value_kind:     by_value
    .group_segment_fixed_size: 0
    .kernarg_segment_align: 8
    .kernarg_segment_size: 144
    .language:       OpenCL C
    .language_version:
      - 2
      - 0
    .max_flat_workgroup_size: 256
    .name:           _ZN7rocprim17ROCPRIM_400000_NS6detail17trampoline_kernelINS0_13select_configILj256ELj13ELNS0_17block_load_methodE3ELS4_3ELS4_3ELNS0_20block_scan_algorithmE0ELj4294967295EEENS1_25partition_config_selectorILNS1_17partition_subalgoE3EjNS0_10empty_typeEbEEZZNS1_14partition_implILS8_3ELb0ES6_jNS0_17counting_iteratorIjlEEPS9_SE_NS0_5tupleIJPjSE_EEENSF_IJSE_SE_EEES9_SG_JZNS1_25segmented_radix_sort_implINS0_14default_configELb1EPKdPdPKlPlN2at6native12_GLOBAL__N_18offset_tEEE10hipError_tPvRmT1_PNSt15iterator_traitsISY_E10value_typeET2_T3_PNSZ_IS14_E10value_typeET4_jRbjT5_S1A_jjP12ihipStream_tbEUljE_EEESV_SW_SX_S14_S18_S1A_T6_T7_T9_mT8_S1C_bDpT10_ENKUlT_T0_E_clISt17integral_constantIbLb1EES1O_IbLb0EEEEDaS1K_S1L_EUlS1K_E_NS1_11comp_targetILNS1_3genE10ELNS1_11target_archE1200ELNS1_3gpuE4ELNS1_3repE0EEENS1_30default_config_static_selectorELNS0_4arch9wavefront6targetE1EEEvSY_
    .private_segment_fixed_size: 0
    .sgpr_count:     4
    .sgpr_spill_count: 0
    .symbol:         _ZN7rocprim17ROCPRIM_400000_NS6detail17trampoline_kernelINS0_13select_configILj256ELj13ELNS0_17block_load_methodE3ELS4_3ELS4_3ELNS0_20block_scan_algorithmE0ELj4294967295EEENS1_25partition_config_selectorILNS1_17partition_subalgoE3EjNS0_10empty_typeEbEEZZNS1_14partition_implILS8_3ELb0ES6_jNS0_17counting_iteratorIjlEEPS9_SE_NS0_5tupleIJPjSE_EEENSF_IJSE_SE_EEES9_SG_JZNS1_25segmented_radix_sort_implINS0_14default_configELb1EPKdPdPKlPlN2at6native12_GLOBAL__N_18offset_tEEE10hipError_tPvRmT1_PNSt15iterator_traitsISY_E10value_typeET2_T3_PNSZ_IS14_E10value_typeET4_jRbjT5_S1A_jjP12ihipStream_tbEUljE_EEESV_SW_SX_S14_S18_S1A_T6_T7_T9_mT8_S1C_bDpT10_ENKUlT_T0_E_clISt17integral_constantIbLb1EES1O_IbLb0EEEEDaS1K_S1L_EUlS1K_E_NS1_11comp_targetILNS1_3genE10ELNS1_11target_archE1200ELNS1_3gpuE4ELNS1_3repE0EEENS1_30default_config_static_selectorELNS0_4arch9wavefront6targetE1EEEvSY_.kd
    .uniform_work_group_size: 1
    .uses_dynamic_stack: false
    .vgpr_count:     0
    .vgpr_spill_count: 0
    .wavefront_size: 64
  - .args:
      - .offset:         0
        .size:           144
        .value_kind:     by_value
    .group_segment_fixed_size: 0
    .kernarg_segment_align: 8
    .kernarg_segment_size: 144
    .language:       OpenCL C
    .language_version:
      - 2
      - 0
    .max_flat_workgroup_size: 256
    .name:           _ZN7rocprim17ROCPRIM_400000_NS6detail17trampoline_kernelINS0_13select_configILj256ELj13ELNS0_17block_load_methodE3ELS4_3ELS4_3ELNS0_20block_scan_algorithmE0ELj4294967295EEENS1_25partition_config_selectorILNS1_17partition_subalgoE3EjNS0_10empty_typeEbEEZZNS1_14partition_implILS8_3ELb0ES6_jNS0_17counting_iteratorIjlEEPS9_SE_NS0_5tupleIJPjSE_EEENSF_IJSE_SE_EEES9_SG_JZNS1_25segmented_radix_sort_implINS0_14default_configELb1EPKdPdPKlPlN2at6native12_GLOBAL__N_18offset_tEEE10hipError_tPvRmT1_PNSt15iterator_traitsISY_E10value_typeET2_T3_PNSZ_IS14_E10value_typeET4_jRbjT5_S1A_jjP12ihipStream_tbEUljE_EEESV_SW_SX_S14_S18_S1A_T6_T7_T9_mT8_S1C_bDpT10_ENKUlT_T0_E_clISt17integral_constantIbLb1EES1O_IbLb0EEEEDaS1K_S1L_EUlS1K_E_NS1_11comp_targetILNS1_3genE9ELNS1_11target_archE1100ELNS1_3gpuE3ELNS1_3repE0EEENS1_30default_config_static_selectorELNS0_4arch9wavefront6targetE1EEEvSY_
    .private_segment_fixed_size: 0
    .sgpr_count:     4
    .sgpr_spill_count: 0
    .symbol:         _ZN7rocprim17ROCPRIM_400000_NS6detail17trampoline_kernelINS0_13select_configILj256ELj13ELNS0_17block_load_methodE3ELS4_3ELS4_3ELNS0_20block_scan_algorithmE0ELj4294967295EEENS1_25partition_config_selectorILNS1_17partition_subalgoE3EjNS0_10empty_typeEbEEZZNS1_14partition_implILS8_3ELb0ES6_jNS0_17counting_iteratorIjlEEPS9_SE_NS0_5tupleIJPjSE_EEENSF_IJSE_SE_EEES9_SG_JZNS1_25segmented_radix_sort_implINS0_14default_configELb1EPKdPdPKlPlN2at6native12_GLOBAL__N_18offset_tEEE10hipError_tPvRmT1_PNSt15iterator_traitsISY_E10value_typeET2_T3_PNSZ_IS14_E10value_typeET4_jRbjT5_S1A_jjP12ihipStream_tbEUljE_EEESV_SW_SX_S14_S18_S1A_T6_T7_T9_mT8_S1C_bDpT10_ENKUlT_T0_E_clISt17integral_constantIbLb1EES1O_IbLb0EEEEDaS1K_S1L_EUlS1K_E_NS1_11comp_targetILNS1_3genE9ELNS1_11target_archE1100ELNS1_3gpuE3ELNS1_3repE0EEENS1_30default_config_static_selectorELNS0_4arch9wavefront6targetE1EEEvSY_.kd
    .uniform_work_group_size: 1
    .uses_dynamic_stack: false
    .vgpr_count:     0
    .vgpr_spill_count: 0
    .wavefront_size: 64
  - .args:
      - .offset:         0
        .size:           144
        .value_kind:     by_value
    .group_segment_fixed_size: 0
    .kernarg_segment_align: 8
    .kernarg_segment_size: 144
    .language:       OpenCL C
    .language_version:
      - 2
      - 0
    .max_flat_workgroup_size: 256
    .name:           _ZN7rocprim17ROCPRIM_400000_NS6detail17trampoline_kernelINS0_13select_configILj256ELj13ELNS0_17block_load_methodE3ELS4_3ELS4_3ELNS0_20block_scan_algorithmE0ELj4294967295EEENS1_25partition_config_selectorILNS1_17partition_subalgoE3EjNS0_10empty_typeEbEEZZNS1_14partition_implILS8_3ELb0ES6_jNS0_17counting_iteratorIjlEEPS9_SE_NS0_5tupleIJPjSE_EEENSF_IJSE_SE_EEES9_SG_JZNS1_25segmented_radix_sort_implINS0_14default_configELb1EPKdPdPKlPlN2at6native12_GLOBAL__N_18offset_tEEE10hipError_tPvRmT1_PNSt15iterator_traitsISY_E10value_typeET2_T3_PNSZ_IS14_E10value_typeET4_jRbjT5_S1A_jjP12ihipStream_tbEUljE_EEESV_SW_SX_S14_S18_S1A_T6_T7_T9_mT8_S1C_bDpT10_ENKUlT_T0_E_clISt17integral_constantIbLb1EES1O_IbLb0EEEEDaS1K_S1L_EUlS1K_E_NS1_11comp_targetILNS1_3genE8ELNS1_11target_archE1030ELNS1_3gpuE2ELNS1_3repE0EEENS1_30default_config_static_selectorELNS0_4arch9wavefront6targetE1EEEvSY_
    .private_segment_fixed_size: 0
    .sgpr_count:     4
    .sgpr_spill_count: 0
    .symbol:         _ZN7rocprim17ROCPRIM_400000_NS6detail17trampoline_kernelINS0_13select_configILj256ELj13ELNS0_17block_load_methodE3ELS4_3ELS4_3ELNS0_20block_scan_algorithmE0ELj4294967295EEENS1_25partition_config_selectorILNS1_17partition_subalgoE3EjNS0_10empty_typeEbEEZZNS1_14partition_implILS8_3ELb0ES6_jNS0_17counting_iteratorIjlEEPS9_SE_NS0_5tupleIJPjSE_EEENSF_IJSE_SE_EEES9_SG_JZNS1_25segmented_radix_sort_implINS0_14default_configELb1EPKdPdPKlPlN2at6native12_GLOBAL__N_18offset_tEEE10hipError_tPvRmT1_PNSt15iterator_traitsISY_E10value_typeET2_T3_PNSZ_IS14_E10value_typeET4_jRbjT5_S1A_jjP12ihipStream_tbEUljE_EEESV_SW_SX_S14_S18_S1A_T6_T7_T9_mT8_S1C_bDpT10_ENKUlT_T0_E_clISt17integral_constantIbLb1EES1O_IbLb0EEEEDaS1K_S1L_EUlS1K_E_NS1_11comp_targetILNS1_3genE8ELNS1_11target_archE1030ELNS1_3gpuE2ELNS1_3repE0EEENS1_30default_config_static_selectorELNS0_4arch9wavefront6targetE1EEEvSY_.kd
    .uniform_work_group_size: 1
    .uses_dynamic_stack: false
    .vgpr_count:     0
    .vgpr_spill_count: 0
    .wavefront_size: 64
  - .args:
      - .offset:         0
        .size:           152
        .value_kind:     by_value
    .group_segment_fixed_size: 0
    .kernarg_segment_align: 8
    .kernarg_segment_size: 152
    .language:       OpenCL C
    .language_version:
      - 2
      - 0
    .max_flat_workgroup_size: 256
    .name:           _ZN7rocprim17ROCPRIM_400000_NS6detail17trampoline_kernelINS0_13select_configILj256ELj13ELNS0_17block_load_methodE3ELS4_3ELS4_3ELNS0_20block_scan_algorithmE0ELj4294967295EEENS1_25partition_config_selectorILNS1_17partition_subalgoE3EjNS0_10empty_typeEbEEZZNS1_14partition_implILS8_3ELb0ES6_jNS0_17counting_iteratorIjlEEPS9_SE_NS0_5tupleIJPjSE_EEENSF_IJSE_SE_EEES9_SG_JZNS1_25segmented_radix_sort_implINS0_14default_configELb1EPKdPdPKlPlN2at6native12_GLOBAL__N_18offset_tEEE10hipError_tPvRmT1_PNSt15iterator_traitsISY_E10value_typeET2_T3_PNSZ_IS14_E10value_typeET4_jRbjT5_S1A_jjP12ihipStream_tbEUljE_EEESV_SW_SX_S14_S18_S1A_T6_T7_T9_mT8_S1C_bDpT10_ENKUlT_T0_E_clISt17integral_constantIbLb0EES1O_IbLb1EEEEDaS1K_S1L_EUlS1K_E_NS1_11comp_targetILNS1_3genE0ELNS1_11target_archE4294967295ELNS1_3gpuE0ELNS1_3repE0EEENS1_30default_config_static_selectorELNS0_4arch9wavefront6targetE1EEEvSY_
    .private_segment_fixed_size: 0
    .sgpr_count:     4
    .sgpr_spill_count: 0
    .symbol:         _ZN7rocprim17ROCPRIM_400000_NS6detail17trampoline_kernelINS0_13select_configILj256ELj13ELNS0_17block_load_methodE3ELS4_3ELS4_3ELNS0_20block_scan_algorithmE0ELj4294967295EEENS1_25partition_config_selectorILNS1_17partition_subalgoE3EjNS0_10empty_typeEbEEZZNS1_14partition_implILS8_3ELb0ES6_jNS0_17counting_iteratorIjlEEPS9_SE_NS0_5tupleIJPjSE_EEENSF_IJSE_SE_EEES9_SG_JZNS1_25segmented_radix_sort_implINS0_14default_configELb1EPKdPdPKlPlN2at6native12_GLOBAL__N_18offset_tEEE10hipError_tPvRmT1_PNSt15iterator_traitsISY_E10value_typeET2_T3_PNSZ_IS14_E10value_typeET4_jRbjT5_S1A_jjP12ihipStream_tbEUljE_EEESV_SW_SX_S14_S18_S1A_T6_T7_T9_mT8_S1C_bDpT10_ENKUlT_T0_E_clISt17integral_constantIbLb0EES1O_IbLb1EEEEDaS1K_S1L_EUlS1K_E_NS1_11comp_targetILNS1_3genE0ELNS1_11target_archE4294967295ELNS1_3gpuE0ELNS1_3repE0EEENS1_30default_config_static_selectorELNS0_4arch9wavefront6targetE1EEEvSY_.kd
    .uniform_work_group_size: 1
    .uses_dynamic_stack: false
    .vgpr_count:     0
    .vgpr_spill_count: 0
    .wavefront_size: 64
  - .args:
      - .offset:         0
        .size:           152
        .value_kind:     by_value
    .group_segment_fixed_size: 0
    .kernarg_segment_align: 8
    .kernarg_segment_size: 152
    .language:       OpenCL C
    .language_version:
      - 2
      - 0
    .max_flat_workgroup_size: 256
    .name:           _ZN7rocprim17ROCPRIM_400000_NS6detail17trampoline_kernelINS0_13select_configILj256ELj13ELNS0_17block_load_methodE3ELS4_3ELS4_3ELNS0_20block_scan_algorithmE0ELj4294967295EEENS1_25partition_config_selectorILNS1_17partition_subalgoE3EjNS0_10empty_typeEbEEZZNS1_14partition_implILS8_3ELb0ES6_jNS0_17counting_iteratorIjlEEPS9_SE_NS0_5tupleIJPjSE_EEENSF_IJSE_SE_EEES9_SG_JZNS1_25segmented_radix_sort_implINS0_14default_configELb1EPKdPdPKlPlN2at6native12_GLOBAL__N_18offset_tEEE10hipError_tPvRmT1_PNSt15iterator_traitsISY_E10value_typeET2_T3_PNSZ_IS14_E10value_typeET4_jRbjT5_S1A_jjP12ihipStream_tbEUljE_EEESV_SW_SX_S14_S18_S1A_T6_T7_T9_mT8_S1C_bDpT10_ENKUlT_T0_E_clISt17integral_constantIbLb0EES1O_IbLb1EEEEDaS1K_S1L_EUlS1K_E_NS1_11comp_targetILNS1_3genE5ELNS1_11target_archE942ELNS1_3gpuE9ELNS1_3repE0EEENS1_30default_config_static_selectorELNS0_4arch9wavefront6targetE1EEEvSY_
    .private_segment_fixed_size: 0
    .sgpr_count:     4
    .sgpr_spill_count: 0
    .symbol:         _ZN7rocprim17ROCPRIM_400000_NS6detail17trampoline_kernelINS0_13select_configILj256ELj13ELNS0_17block_load_methodE3ELS4_3ELS4_3ELNS0_20block_scan_algorithmE0ELj4294967295EEENS1_25partition_config_selectorILNS1_17partition_subalgoE3EjNS0_10empty_typeEbEEZZNS1_14partition_implILS8_3ELb0ES6_jNS0_17counting_iteratorIjlEEPS9_SE_NS0_5tupleIJPjSE_EEENSF_IJSE_SE_EEES9_SG_JZNS1_25segmented_radix_sort_implINS0_14default_configELb1EPKdPdPKlPlN2at6native12_GLOBAL__N_18offset_tEEE10hipError_tPvRmT1_PNSt15iterator_traitsISY_E10value_typeET2_T3_PNSZ_IS14_E10value_typeET4_jRbjT5_S1A_jjP12ihipStream_tbEUljE_EEESV_SW_SX_S14_S18_S1A_T6_T7_T9_mT8_S1C_bDpT10_ENKUlT_T0_E_clISt17integral_constantIbLb0EES1O_IbLb1EEEEDaS1K_S1L_EUlS1K_E_NS1_11comp_targetILNS1_3genE5ELNS1_11target_archE942ELNS1_3gpuE9ELNS1_3repE0EEENS1_30default_config_static_selectorELNS0_4arch9wavefront6targetE1EEEvSY_.kd
    .uniform_work_group_size: 1
    .uses_dynamic_stack: false
    .vgpr_count:     0
    .vgpr_spill_count: 0
    .wavefront_size: 64
  - .args:
      - .offset:         0
        .size:           152
        .value_kind:     by_value
    .group_segment_fixed_size: 0
    .kernarg_segment_align: 8
    .kernarg_segment_size: 152
    .language:       OpenCL C
    .language_version:
      - 2
      - 0
    .max_flat_workgroup_size: 256
    .name:           _ZN7rocprim17ROCPRIM_400000_NS6detail17trampoline_kernelINS0_13select_configILj256ELj13ELNS0_17block_load_methodE3ELS4_3ELS4_3ELNS0_20block_scan_algorithmE0ELj4294967295EEENS1_25partition_config_selectorILNS1_17partition_subalgoE3EjNS0_10empty_typeEbEEZZNS1_14partition_implILS8_3ELb0ES6_jNS0_17counting_iteratorIjlEEPS9_SE_NS0_5tupleIJPjSE_EEENSF_IJSE_SE_EEES9_SG_JZNS1_25segmented_radix_sort_implINS0_14default_configELb1EPKdPdPKlPlN2at6native12_GLOBAL__N_18offset_tEEE10hipError_tPvRmT1_PNSt15iterator_traitsISY_E10value_typeET2_T3_PNSZ_IS14_E10value_typeET4_jRbjT5_S1A_jjP12ihipStream_tbEUljE_EEESV_SW_SX_S14_S18_S1A_T6_T7_T9_mT8_S1C_bDpT10_ENKUlT_T0_E_clISt17integral_constantIbLb0EES1O_IbLb1EEEEDaS1K_S1L_EUlS1K_E_NS1_11comp_targetILNS1_3genE4ELNS1_11target_archE910ELNS1_3gpuE8ELNS1_3repE0EEENS1_30default_config_static_selectorELNS0_4arch9wavefront6targetE1EEEvSY_
    .private_segment_fixed_size: 0
    .sgpr_count:     4
    .sgpr_spill_count: 0
    .symbol:         _ZN7rocprim17ROCPRIM_400000_NS6detail17trampoline_kernelINS0_13select_configILj256ELj13ELNS0_17block_load_methodE3ELS4_3ELS4_3ELNS0_20block_scan_algorithmE0ELj4294967295EEENS1_25partition_config_selectorILNS1_17partition_subalgoE3EjNS0_10empty_typeEbEEZZNS1_14partition_implILS8_3ELb0ES6_jNS0_17counting_iteratorIjlEEPS9_SE_NS0_5tupleIJPjSE_EEENSF_IJSE_SE_EEES9_SG_JZNS1_25segmented_radix_sort_implINS0_14default_configELb1EPKdPdPKlPlN2at6native12_GLOBAL__N_18offset_tEEE10hipError_tPvRmT1_PNSt15iterator_traitsISY_E10value_typeET2_T3_PNSZ_IS14_E10value_typeET4_jRbjT5_S1A_jjP12ihipStream_tbEUljE_EEESV_SW_SX_S14_S18_S1A_T6_T7_T9_mT8_S1C_bDpT10_ENKUlT_T0_E_clISt17integral_constantIbLb0EES1O_IbLb1EEEEDaS1K_S1L_EUlS1K_E_NS1_11comp_targetILNS1_3genE4ELNS1_11target_archE910ELNS1_3gpuE8ELNS1_3repE0EEENS1_30default_config_static_selectorELNS0_4arch9wavefront6targetE1EEEvSY_.kd
    .uniform_work_group_size: 1
    .uses_dynamic_stack: false
    .vgpr_count:     0
    .vgpr_spill_count: 0
    .wavefront_size: 64
  - .args:
      - .offset:         0
        .size:           152
        .value_kind:     by_value
    .group_segment_fixed_size: 0
    .kernarg_segment_align: 8
    .kernarg_segment_size: 152
    .language:       OpenCL C
    .language_version:
      - 2
      - 0
    .max_flat_workgroup_size: 256
    .name:           _ZN7rocprim17ROCPRIM_400000_NS6detail17trampoline_kernelINS0_13select_configILj256ELj13ELNS0_17block_load_methodE3ELS4_3ELS4_3ELNS0_20block_scan_algorithmE0ELj4294967295EEENS1_25partition_config_selectorILNS1_17partition_subalgoE3EjNS0_10empty_typeEbEEZZNS1_14partition_implILS8_3ELb0ES6_jNS0_17counting_iteratorIjlEEPS9_SE_NS0_5tupleIJPjSE_EEENSF_IJSE_SE_EEES9_SG_JZNS1_25segmented_radix_sort_implINS0_14default_configELb1EPKdPdPKlPlN2at6native12_GLOBAL__N_18offset_tEEE10hipError_tPvRmT1_PNSt15iterator_traitsISY_E10value_typeET2_T3_PNSZ_IS14_E10value_typeET4_jRbjT5_S1A_jjP12ihipStream_tbEUljE_EEESV_SW_SX_S14_S18_S1A_T6_T7_T9_mT8_S1C_bDpT10_ENKUlT_T0_E_clISt17integral_constantIbLb0EES1O_IbLb1EEEEDaS1K_S1L_EUlS1K_E_NS1_11comp_targetILNS1_3genE3ELNS1_11target_archE908ELNS1_3gpuE7ELNS1_3repE0EEENS1_30default_config_static_selectorELNS0_4arch9wavefront6targetE1EEEvSY_
    .private_segment_fixed_size: 0
    .sgpr_count:     4
    .sgpr_spill_count: 0
    .symbol:         _ZN7rocprim17ROCPRIM_400000_NS6detail17trampoline_kernelINS0_13select_configILj256ELj13ELNS0_17block_load_methodE3ELS4_3ELS4_3ELNS0_20block_scan_algorithmE0ELj4294967295EEENS1_25partition_config_selectorILNS1_17partition_subalgoE3EjNS0_10empty_typeEbEEZZNS1_14partition_implILS8_3ELb0ES6_jNS0_17counting_iteratorIjlEEPS9_SE_NS0_5tupleIJPjSE_EEENSF_IJSE_SE_EEES9_SG_JZNS1_25segmented_radix_sort_implINS0_14default_configELb1EPKdPdPKlPlN2at6native12_GLOBAL__N_18offset_tEEE10hipError_tPvRmT1_PNSt15iterator_traitsISY_E10value_typeET2_T3_PNSZ_IS14_E10value_typeET4_jRbjT5_S1A_jjP12ihipStream_tbEUljE_EEESV_SW_SX_S14_S18_S1A_T6_T7_T9_mT8_S1C_bDpT10_ENKUlT_T0_E_clISt17integral_constantIbLb0EES1O_IbLb1EEEEDaS1K_S1L_EUlS1K_E_NS1_11comp_targetILNS1_3genE3ELNS1_11target_archE908ELNS1_3gpuE7ELNS1_3repE0EEENS1_30default_config_static_selectorELNS0_4arch9wavefront6targetE1EEEvSY_.kd
    .uniform_work_group_size: 1
    .uses_dynamic_stack: false
    .vgpr_count:     0
    .vgpr_spill_count: 0
    .wavefront_size: 64
  - .args:
      - .offset:         0
        .size:           152
        .value_kind:     by_value
    .group_segment_fixed_size: 13320
    .kernarg_segment_align: 8
    .kernarg_segment_size: 152
    .language:       OpenCL C
    .language_version:
      - 2
      - 0
    .max_flat_workgroup_size: 256
    .name:           _ZN7rocprim17ROCPRIM_400000_NS6detail17trampoline_kernelINS0_13select_configILj256ELj13ELNS0_17block_load_methodE3ELS4_3ELS4_3ELNS0_20block_scan_algorithmE0ELj4294967295EEENS1_25partition_config_selectorILNS1_17partition_subalgoE3EjNS0_10empty_typeEbEEZZNS1_14partition_implILS8_3ELb0ES6_jNS0_17counting_iteratorIjlEEPS9_SE_NS0_5tupleIJPjSE_EEENSF_IJSE_SE_EEES9_SG_JZNS1_25segmented_radix_sort_implINS0_14default_configELb1EPKdPdPKlPlN2at6native12_GLOBAL__N_18offset_tEEE10hipError_tPvRmT1_PNSt15iterator_traitsISY_E10value_typeET2_T3_PNSZ_IS14_E10value_typeET4_jRbjT5_S1A_jjP12ihipStream_tbEUljE_EEESV_SW_SX_S14_S18_S1A_T6_T7_T9_mT8_S1C_bDpT10_ENKUlT_T0_E_clISt17integral_constantIbLb0EES1O_IbLb1EEEEDaS1K_S1L_EUlS1K_E_NS1_11comp_targetILNS1_3genE2ELNS1_11target_archE906ELNS1_3gpuE6ELNS1_3repE0EEENS1_30default_config_static_selectorELNS0_4arch9wavefront6targetE1EEEvSY_
    .private_segment_fixed_size: 0
    .sgpr_count:     50
    .sgpr_spill_count: 0
    .symbol:         _ZN7rocprim17ROCPRIM_400000_NS6detail17trampoline_kernelINS0_13select_configILj256ELj13ELNS0_17block_load_methodE3ELS4_3ELS4_3ELNS0_20block_scan_algorithmE0ELj4294967295EEENS1_25partition_config_selectorILNS1_17partition_subalgoE3EjNS0_10empty_typeEbEEZZNS1_14partition_implILS8_3ELb0ES6_jNS0_17counting_iteratorIjlEEPS9_SE_NS0_5tupleIJPjSE_EEENSF_IJSE_SE_EEES9_SG_JZNS1_25segmented_radix_sort_implINS0_14default_configELb1EPKdPdPKlPlN2at6native12_GLOBAL__N_18offset_tEEE10hipError_tPvRmT1_PNSt15iterator_traitsISY_E10value_typeET2_T3_PNSZ_IS14_E10value_typeET4_jRbjT5_S1A_jjP12ihipStream_tbEUljE_EEESV_SW_SX_S14_S18_S1A_T6_T7_T9_mT8_S1C_bDpT10_ENKUlT_T0_E_clISt17integral_constantIbLb0EES1O_IbLb1EEEEDaS1K_S1L_EUlS1K_E_NS1_11comp_targetILNS1_3genE2ELNS1_11target_archE906ELNS1_3gpuE6ELNS1_3repE0EEENS1_30default_config_static_selectorELNS0_4arch9wavefront6targetE1EEEvSY_.kd
    .uniform_work_group_size: 1
    .uses_dynamic_stack: false
    .vgpr_count:     71
    .vgpr_spill_count: 0
    .wavefront_size: 64
  - .args:
      - .offset:         0
        .size:           152
        .value_kind:     by_value
    .group_segment_fixed_size: 0
    .kernarg_segment_align: 8
    .kernarg_segment_size: 152
    .language:       OpenCL C
    .language_version:
      - 2
      - 0
    .max_flat_workgroup_size: 256
    .name:           _ZN7rocprim17ROCPRIM_400000_NS6detail17trampoline_kernelINS0_13select_configILj256ELj13ELNS0_17block_load_methodE3ELS4_3ELS4_3ELNS0_20block_scan_algorithmE0ELj4294967295EEENS1_25partition_config_selectorILNS1_17partition_subalgoE3EjNS0_10empty_typeEbEEZZNS1_14partition_implILS8_3ELb0ES6_jNS0_17counting_iteratorIjlEEPS9_SE_NS0_5tupleIJPjSE_EEENSF_IJSE_SE_EEES9_SG_JZNS1_25segmented_radix_sort_implINS0_14default_configELb1EPKdPdPKlPlN2at6native12_GLOBAL__N_18offset_tEEE10hipError_tPvRmT1_PNSt15iterator_traitsISY_E10value_typeET2_T3_PNSZ_IS14_E10value_typeET4_jRbjT5_S1A_jjP12ihipStream_tbEUljE_EEESV_SW_SX_S14_S18_S1A_T6_T7_T9_mT8_S1C_bDpT10_ENKUlT_T0_E_clISt17integral_constantIbLb0EES1O_IbLb1EEEEDaS1K_S1L_EUlS1K_E_NS1_11comp_targetILNS1_3genE10ELNS1_11target_archE1200ELNS1_3gpuE4ELNS1_3repE0EEENS1_30default_config_static_selectorELNS0_4arch9wavefront6targetE1EEEvSY_
    .private_segment_fixed_size: 0
    .sgpr_count:     4
    .sgpr_spill_count: 0
    .symbol:         _ZN7rocprim17ROCPRIM_400000_NS6detail17trampoline_kernelINS0_13select_configILj256ELj13ELNS0_17block_load_methodE3ELS4_3ELS4_3ELNS0_20block_scan_algorithmE0ELj4294967295EEENS1_25partition_config_selectorILNS1_17partition_subalgoE3EjNS0_10empty_typeEbEEZZNS1_14partition_implILS8_3ELb0ES6_jNS0_17counting_iteratorIjlEEPS9_SE_NS0_5tupleIJPjSE_EEENSF_IJSE_SE_EEES9_SG_JZNS1_25segmented_radix_sort_implINS0_14default_configELb1EPKdPdPKlPlN2at6native12_GLOBAL__N_18offset_tEEE10hipError_tPvRmT1_PNSt15iterator_traitsISY_E10value_typeET2_T3_PNSZ_IS14_E10value_typeET4_jRbjT5_S1A_jjP12ihipStream_tbEUljE_EEESV_SW_SX_S14_S18_S1A_T6_T7_T9_mT8_S1C_bDpT10_ENKUlT_T0_E_clISt17integral_constantIbLb0EES1O_IbLb1EEEEDaS1K_S1L_EUlS1K_E_NS1_11comp_targetILNS1_3genE10ELNS1_11target_archE1200ELNS1_3gpuE4ELNS1_3repE0EEENS1_30default_config_static_selectorELNS0_4arch9wavefront6targetE1EEEvSY_.kd
    .uniform_work_group_size: 1
    .uses_dynamic_stack: false
    .vgpr_count:     0
    .vgpr_spill_count: 0
    .wavefront_size: 64
  - .args:
      - .offset:         0
        .size:           152
        .value_kind:     by_value
    .group_segment_fixed_size: 0
    .kernarg_segment_align: 8
    .kernarg_segment_size: 152
    .language:       OpenCL C
    .language_version:
      - 2
      - 0
    .max_flat_workgroup_size: 256
    .name:           _ZN7rocprim17ROCPRIM_400000_NS6detail17trampoline_kernelINS0_13select_configILj256ELj13ELNS0_17block_load_methodE3ELS4_3ELS4_3ELNS0_20block_scan_algorithmE0ELj4294967295EEENS1_25partition_config_selectorILNS1_17partition_subalgoE3EjNS0_10empty_typeEbEEZZNS1_14partition_implILS8_3ELb0ES6_jNS0_17counting_iteratorIjlEEPS9_SE_NS0_5tupleIJPjSE_EEENSF_IJSE_SE_EEES9_SG_JZNS1_25segmented_radix_sort_implINS0_14default_configELb1EPKdPdPKlPlN2at6native12_GLOBAL__N_18offset_tEEE10hipError_tPvRmT1_PNSt15iterator_traitsISY_E10value_typeET2_T3_PNSZ_IS14_E10value_typeET4_jRbjT5_S1A_jjP12ihipStream_tbEUljE_EEESV_SW_SX_S14_S18_S1A_T6_T7_T9_mT8_S1C_bDpT10_ENKUlT_T0_E_clISt17integral_constantIbLb0EES1O_IbLb1EEEEDaS1K_S1L_EUlS1K_E_NS1_11comp_targetILNS1_3genE9ELNS1_11target_archE1100ELNS1_3gpuE3ELNS1_3repE0EEENS1_30default_config_static_selectorELNS0_4arch9wavefront6targetE1EEEvSY_
    .private_segment_fixed_size: 0
    .sgpr_count:     4
    .sgpr_spill_count: 0
    .symbol:         _ZN7rocprim17ROCPRIM_400000_NS6detail17trampoline_kernelINS0_13select_configILj256ELj13ELNS0_17block_load_methodE3ELS4_3ELS4_3ELNS0_20block_scan_algorithmE0ELj4294967295EEENS1_25partition_config_selectorILNS1_17partition_subalgoE3EjNS0_10empty_typeEbEEZZNS1_14partition_implILS8_3ELb0ES6_jNS0_17counting_iteratorIjlEEPS9_SE_NS0_5tupleIJPjSE_EEENSF_IJSE_SE_EEES9_SG_JZNS1_25segmented_radix_sort_implINS0_14default_configELb1EPKdPdPKlPlN2at6native12_GLOBAL__N_18offset_tEEE10hipError_tPvRmT1_PNSt15iterator_traitsISY_E10value_typeET2_T3_PNSZ_IS14_E10value_typeET4_jRbjT5_S1A_jjP12ihipStream_tbEUljE_EEESV_SW_SX_S14_S18_S1A_T6_T7_T9_mT8_S1C_bDpT10_ENKUlT_T0_E_clISt17integral_constantIbLb0EES1O_IbLb1EEEEDaS1K_S1L_EUlS1K_E_NS1_11comp_targetILNS1_3genE9ELNS1_11target_archE1100ELNS1_3gpuE3ELNS1_3repE0EEENS1_30default_config_static_selectorELNS0_4arch9wavefront6targetE1EEEvSY_.kd
    .uniform_work_group_size: 1
    .uses_dynamic_stack: false
    .vgpr_count:     0
    .vgpr_spill_count: 0
    .wavefront_size: 64
  - .args:
      - .offset:         0
        .size:           152
        .value_kind:     by_value
    .group_segment_fixed_size: 0
    .kernarg_segment_align: 8
    .kernarg_segment_size: 152
    .language:       OpenCL C
    .language_version:
      - 2
      - 0
    .max_flat_workgroup_size: 256
    .name:           _ZN7rocprim17ROCPRIM_400000_NS6detail17trampoline_kernelINS0_13select_configILj256ELj13ELNS0_17block_load_methodE3ELS4_3ELS4_3ELNS0_20block_scan_algorithmE0ELj4294967295EEENS1_25partition_config_selectorILNS1_17partition_subalgoE3EjNS0_10empty_typeEbEEZZNS1_14partition_implILS8_3ELb0ES6_jNS0_17counting_iteratorIjlEEPS9_SE_NS0_5tupleIJPjSE_EEENSF_IJSE_SE_EEES9_SG_JZNS1_25segmented_radix_sort_implINS0_14default_configELb1EPKdPdPKlPlN2at6native12_GLOBAL__N_18offset_tEEE10hipError_tPvRmT1_PNSt15iterator_traitsISY_E10value_typeET2_T3_PNSZ_IS14_E10value_typeET4_jRbjT5_S1A_jjP12ihipStream_tbEUljE_EEESV_SW_SX_S14_S18_S1A_T6_T7_T9_mT8_S1C_bDpT10_ENKUlT_T0_E_clISt17integral_constantIbLb0EES1O_IbLb1EEEEDaS1K_S1L_EUlS1K_E_NS1_11comp_targetILNS1_3genE8ELNS1_11target_archE1030ELNS1_3gpuE2ELNS1_3repE0EEENS1_30default_config_static_selectorELNS0_4arch9wavefront6targetE1EEEvSY_
    .private_segment_fixed_size: 0
    .sgpr_count:     4
    .sgpr_spill_count: 0
    .symbol:         _ZN7rocprim17ROCPRIM_400000_NS6detail17trampoline_kernelINS0_13select_configILj256ELj13ELNS0_17block_load_methodE3ELS4_3ELS4_3ELNS0_20block_scan_algorithmE0ELj4294967295EEENS1_25partition_config_selectorILNS1_17partition_subalgoE3EjNS0_10empty_typeEbEEZZNS1_14partition_implILS8_3ELb0ES6_jNS0_17counting_iteratorIjlEEPS9_SE_NS0_5tupleIJPjSE_EEENSF_IJSE_SE_EEES9_SG_JZNS1_25segmented_radix_sort_implINS0_14default_configELb1EPKdPdPKlPlN2at6native12_GLOBAL__N_18offset_tEEE10hipError_tPvRmT1_PNSt15iterator_traitsISY_E10value_typeET2_T3_PNSZ_IS14_E10value_typeET4_jRbjT5_S1A_jjP12ihipStream_tbEUljE_EEESV_SW_SX_S14_S18_S1A_T6_T7_T9_mT8_S1C_bDpT10_ENKUlT_T0_E_clISt17integral_constantIbLb0EES1O_IbLb1EEEEDaS1K_S1L_EUlS1K_E_NS1_11comp_targetILNS1_3genE8ELNS1_11target_archE1030ELNS1_3gpuE2ELNS1_3repE0EEENS1_30default_config_static_selectorELNS0_4arch9wavefront6targetE1EEEvSY_.kd
    .uniform_work_group_size: 1
    .uses_dynamic_stack: false
    .vgpr_count:     0
    .vgpr_spill_count: 0
    .wavefront_size: 64
  - .args:
      - .offset:         0
        .size:           96
        .value_kind:     by_value
    .group_segment_fixed_size: 0
    .kernarg_segment_align: 8
    .kernarg_segment_size: 96
    .language:       OpenCL C
    .language_version:
      - 2
      - 0
    .max_flat_workgroup_size: 256
    .name:           _ZN7rocprim17ROCPRIM_400000_NS6detail17trampoline_kernelINS0_14default_configENS1_36segmented_radix_sort_config_selectorIdlEEZNS1_25segmented_radix_sort_implIS3_Lb1EPKdPdPKlPlN2at6native12_GLOBAL__N_18offset_tEEE10hipError_tPvRmT1_PNSt15iterator_traitsISK_E10value_typeET2_T3_PNSL_ISQ_E10value_typeET4_jRbjT5_SW_jjP12ihipStream_tbEUlT_E_NS1_11comp_targetILNS1_3genE0ELNS1_11target_archE4294967295ELNS1_3gpuE0ELNS1_3repE0EEENS1_30default_config_static_selectorELNS0_4arch9wavefront6targetE1EEEvSK_
    .private_segment_fixed_size: 0
    .sgpr_count:     4
    .sgpr_spill_count: 0
    .symbol:         _ZN7rocprim17ROCPRIM_400000_NS6detail17trampoline_kernelINS0_14default_configENS1_36segmented_radix_sort_config_selectorIdlEEZNS1_25segmented_radix_sort_implIS3_Lb1EPKdPdPKlPlN2at6native12_GLOBAL__N_18offset_tEEE10hipError_tPvRmT1_PNSt15iterator_traitsISK_E10value_typeET2_T3_PNSL_ISQ_E10value_typeET4_jRbjT5_SW_jjP12ihipStream_tbEUlT_E_NS1_11comp_targetILNS1_3genE0ELNS1_11target_archE4294967295ELNS1_3gpuE0ELNS1_3repE0EEENS1_30default_config_static_selectorELNS0_4arch9wavefront6targetE1EEEvSK_.kd
    .uniform_work_group_size: 1
    .uses_dynamic_stack: false
    .vgpr_count:     0
    .vgpr_spill_count: 0
    .wavefront_size: 64
  - .args:
      - .offset:         0
        .size:           96
        .value_kind:     by_value
    .group_segment_fixed_size: 0
    .kernarg_segment_align: 8
    .kernarg_segment_size: 96
    .language:       OpenCL C
    .language_version:
      - 2
      - 0
    .max_flat_workgroup_size: 256
    .name:           _ZN7rocprim17ROCPRIM_400000_NS6detail17trampoline_kernelINS0_14default_configENS1_36segmented_radix_sort_config_selectorIdlEEZNS1_25segmented_radix_sort_implIS3_Lb1EPKdPdPKlPlN2at6native12_GLOBAL__N_18offset_tEEE10hipError_tPvRmT1_PNSt15iterator_traitsISK_E10value_typeET2_T3_PNSL_ISQ_E10value_typeET4_jRbjT5_SW_jjP12ihipStream_tbEUlT_E_NS1_11comp_targetILNS1_3genE5ELNS1_11target_archE942ELNS1_3gpuE9ELNS1_3repE0EEENS1_30default_config_static_selectorELNS0_4arch9wavefront6targetE1EEEvSK_
    .private_segment_fixed_size: 0
    .sgpr_count:     4
    .sgpr_spill_count: 0
    .symbol:         _ZN7rocprim17ROCPRIM_400000_NS6detail17trampoline_kernelINS0_14default_configENS1_36segmented_radix_sort_config_selectorIdlEEZNS1_25segmented_radix_sort_implIS3_Lb1EPKdPdPKlPlN2at6native12_GLOBAL__N_18offset_tEEE10hipError_tPvRmT1_PNSt15iterator_traitsISK_E10value_typeET2_T3_PNSL_ISQ_E10value_typeET4_jRbjT5_SW_jjP12ihipStream_tbEUlT_E_NS1_11comp_targetILNS1_3genE5ELNS1_11target_archE942ELNS1_3gpuE9ELNS1_3repE0EEENS1_30default_config_static_selectorELNS0_4arch9wavefront6targetE1EEEvSK_.kd
    .uniform_work_group_size: 1
    .uses_dynamic_stack: false
    .vgpr_count:     0
    .vgpr_spill_count: 0
    .wavefront_size: 64
  - .args:
      - .offset:         0
        .size:           96
        .value_kind:     by_value
    .group_segment_fixed_size: 0
    .kernarg_segment_align: 8
    .kernarg_segment_size: 96
    .language:       OpenCL C
    .language_version:
      - 2
      - 0
    .max_flat_workgroup_size: 256
    .name:           _ZN7rocprim17ROCPRIM_400000_NS6detail17trampoline_kernelINS0_14default_configENS1_36segmented_radix_sort_config_selectorIdlEEZNS1_25segmented_radix_sort_implIS3_Lb1EPKdPdPKlPlN2at6native12_GLOBAL__N_18offset_tEEE10hipError_tPvRmT1_PNSt15iterator_traitsISK_E10value_typeET2_T3_PNSL_ISQ_E10value_typeET4_jRbjT5_SW_jjP12ihipStream_tbEUlT_E_NS1_11comp_targetILNS1_3genE4ELNS1_11target_archE910ELNS1_3gpuE8ELNS1_3repE0EEENS1_30default_config_static_selectorELNS0_4arch9wavefront6targetE1EEEvSK_
    .private_segment_fixed_size: 0
    .sgpr_count:     4
    .sgpr_spill_count: 0
    .symbol:         _ZN7rocprim17ROCPRIM_400000_NS6detail17trampoline_kernelINS0_14default_configENS1_36segmented_radix_sort_config_selectorIdlEEZNS1_25segmented_radix_sort_implIS3_Lb1EPKdPdPKlPlN2at6native12_GLOBAL__N_18offset_tEEE10hipError_tPvRmT1_PNSt15iterator_traitsISK_E10value_typeET2_T3_PNSL_ISQ_E10value_typeET4_jRbjT5_SW_jjP12ihipStream_tbEUlT_E_NS1_11comp_targetILNS1_3genE4ELNS1_11target_archE910ELNS1_3gpuE8ELNS1_3repE0EEENS1_30default_config_static_selectorELNS0_4arch9wavefront6targetE1EEEvSK_.kd
    .uniform_work_group_size: 1
    .uses_dynamic_stack: false
    .vgpr_count:     0
    .vgpr_spill_count: 0
    .wavefront_size: 64
  - .args:
      - .offset:         0
        .size:           96
        .value_kind:     by_value
    .group_segment_fixed_size: 0
    .kernarg_segment_align: 8
    .kernarg_segment_size: 96
    .language:       OpenCL C
    .language_version:
      - 2
      - 0
    .max_flat_workgroup_size: 256
    .name:           _ZN7rocprim17ROCPRIM_400000_NS6detail17trampoline_kernelINS0_14default_configENS1_36segmented_radix_sort_config_selectorIdlEEZNS1_25segmented_radix_sort_implIS3_Lb1EPKdPdPKlPlN2at6native12_GLOBAL__N_18offset_tEEE10hipError_tPvRmT1_PNSt15iterator_traitsISK_E10value_typeET2_T3_PNSL_ISQ_E10value_typeET4_jRbjT5_SW_jjP12ihipStream_tbEUlT_E_NS1_11comp_targetILNS1_3genE3ELNS1_11target_archE908ELNS1_3gpuE7ELNS1_3repE0EEENS1_30default_config_static_selectorELNS0_4arch9wavefront6targetE1EEEvSK_
    .private_segment_fixed_size: 0
    .sgpr_count:     4
    .sgpr_spill_count: 0
    .symbol:         _ZN7rocprim17ROCPRIM_400000_NS6detail17trampoline_kernelINS0_14default_configENS1_36segmented_radix_sort_config_selectorIdlEEZNS1_25segmented_radix_sort_implIS3_Lb1EPKdPdPKlPlN2at6native12_GLOBAL__N_18offset_tEEE10hipError_tPvRmT1_PNSt15iterator_traitsISK_E10value_typeET2_T3_PNSL_ISQ_E10value_typeET4_jRbjT5_SW_jjP12ihipStream_tbEUlT_E_NS1_11comp_targetILNS1_3genE3ELNS1_11target_archE908ELNS1_3gpuE7ELNS1_3repE0EEENS1_30default_config_static_selectorELNS0_4arch9wavefront6targetE1EEEvSK_.kd
    .uniform_work_group_size: 1
    .uses_dynamic_stack: false
    .vgpr_count:     0
    .vgpr_spill_count: 0
    .wavefront_size: 64
  - .args:
      - .offset:         0
        .size:           96
        .value_kind:     by_value
      - .offset:         96
        .size:           4
        .value_kind:     hidden_block_count_x
      - .offset:         100
        .size:           4
        .value_kind:     hidden_block_count_y
      - .offset:         104
        .size:           4
        .value_kind:     hidden_block_count_z
      - .offset:         108
        .size:           2
        .value_kind:     hidden_group_size_x
      - .offset:         110
        .size:           2
        .value_kind:     hidden_group_size_y
      - .offset:         112
        .size:           2
        .value_kind:     hidden_group_size_z
      - .offset:         114
        .size:           2
        .value_kind:     hidden_remainder_x
      - .offset:         116
        .size:           2
        .value_kind:     hidden_remainder_y
      - .offset:         118
        .size:           2
        .value_kind:     hidden_remainder_z
      - .offset:         136
        .size:           8
        .value_kind:     hidden_global_offset_x
      - .offset:         144
        .size:           8
        .value_kind:     hidden_global_offset_y
      - .offset:         152
        .size:           8
        .value_kind:     hidden_global_offset_z
      - .offset:         160
        .size:           2
        .value_kind:     hidden_grid_dims
    .group_segment_fixed_size: 33808
    .kernarg_segment_align: 8
    .kernarg_segment_size: 352
    .language:       OpenCL C
    .language_version:
      - 2
      - 0
    .max_flat_workgroup_size: 256
    .name:           _ZN7rocprim17ROCPRIM_400000_NS6detail17trampoline_kernelINS0_14default_configENS1_36segmented_radix_sort_config_selectorIdlEEZNS1_25segmented_radix_sort_implIS3_Lb1EPKdPdPKlPlN2at6native12_GLOBAL__N_18offset_tEEE10hipError_tPvRmT1_PNSt15iterator_traitsISK_E10value_typeET2_T3_PNSL_ISQ_E10value_typeET4_jRbjT5_SW_jjP12ihipStream_tbEUlT_E_NS1_11comp_targetILNS1_3genE2ELNS1_11target_archE906ELNS1_3gpuE6ELNS1_3repE0EEENS1_30default_config_static_selectorELNS0_4arch9wavefront6targetE1EEEvSK_
    .private_segment_fixed_size: 164
    .sgpr_count:     104
    .sgpr_spill_count: 0
    .symbol:         _ZN7rocprim17ROCPRIM_400000_NS6detail17trampoline_kernelINS0_14default_configENS1_36segmented_radix_sort_config_selectorIdlEEZNS1_25segmented_radix_sort_implIS3_Lb1EPKdPdPKlPlN2at6native12_GLOBAL__N_18offset_tEEE10hipError_tPvRmT1_PNSt15iterator_traitsISK_E10value_typeET2_T3_PNSL_ISQ_E10value_typeET4_jRbjT5_SW_jjP12ihipStream_tbEUlT_E_NS1_11comp_targetILNS1_3genE2ELNS1_11target_archE906ELNS1_3gpuE6ELNS1_3repE0EEENS1_30default_config_static_selectorELNS0_4arch9wavefront6targetE1EEEvSK_.kd
    .uniform_work_group_size: 1
    .uses_dynamic_stack: false
    .vgpr_count:     248
    .vgpr_spill_count: 0
    .wavefront_size: 64
  - .args:
      - .offset:         0
        .size:           96
        .value_kind:     by_value
    .group_segment_fixed_size: 0
    .kernarg_segment_align: 8
    .kernarg_segment_size: 96
    .language:       OpenCL C
    .language_version:
      - 2
      - 0
    .max_flat_workgroup_size: 256
    .name:           _ZN7rocprim17ROCPRIM_400000_NS6detail17trampoline_kernelINS0_14default_configENS1_36segmented_radix_sort_config_selectorIdlEEZNS1_25segmented_radix_sort_implIS3_Lb1EPKdPdPKlPlN2at6native12_GLOBAL__N_18offset_tEEE10hipError_tPvRmT1_PNSt15iterator_traitsISK_E10value_typeET2_T3_PNSL_ISQ_E10value_typeET4_jRbjT5_SW_jjP12ihipStream_tbEUlT_E_NS1_11comp_targetILNS1_3genE10ELNS1_11target_archE1201ELNS1_3gpuE5ELNS1_3repE0EEENS1_30default_config_static_selectorELNS0_4arch9wavefront6targetE1EEEvSK_
    .private_segment_fixed_size: 0
    .sgpr_count:     4
    .sgpr_spill_count: 0
    .symbol:         _ZN7rocprim17ROCPRIM_400000_NS6detail17trampoline_kernelINS0_14default_configENS1_36segmented_radix_sort_config_selectorIdlEEZNS1_25segmented_radix_sort_implIS3_Lb1EPKdPdPKlPlN2at6native12_GLOBAL__N_18offset_tEEE10hipError_tPvRmT1_PNSt15iterator_traitsISK_E10value_typeET2_T3_PNSL_ISQ_E10value_typeET4_jRbjT5_SW_jjP12ihipStream_tbEUlT_E_NS1_11comp_targetILNS1_3genE10ELNS1_11target_archE1201ELNS1_3gpuE5ELNS1_3repE0EEENS1_30default_config_static_selectorELNS0_4arch9wavefront6targetE1EEEvSK_.kd
    .uniform_work_group_size: 1
    .uses_dynamic_stack: false
    .vgpr_count:     0
    .vgpr_spill_count: 0
    .wavefront_size: 64
  - .args:
      - .offset:         0
        .size:           96
        .value_kind:     by_value
    .group_segment_fixed_size: 0
    .kernarg_segment_align: 8
    .kernarg_segment_size: 96
    .language:       OpenCL C
    .language_version:
      - 2
      - 0
    .max_flat_workgroup_size: 128
    .name:           _ZN7rocprim17ROCPRIM_400000_NS6detail17trampoline_kernelINS0_14default_configENS1_36segmented_radix_sort_config_selectorIdlEEZNS1_25segmented_radix_sort_implIS3_Lb1EPKdPdPKlPlN2at6native12_GLOBAL__N_18offset_tEEE10hipError_tPvRmT1_PNSt15iterator_traitsISK_E10value_typeET2_T3_PNSL_ISQ_E10value_typeET4_jRbjT5_SW_jjP12ihipStream_tbEUlT_E_NS1_11comp_targetILNS1_3genE10ELNS1_11target_archE1200ELNS1_3gpuE4ELNS1_3repE0EEENS1_30default_config_static_selectorELNS0_4arch9wavefront6targetE1EEEvSK_
    .private_segment_fixed_size: 0
    .sgpr_count:     4
    .sgpr_spill_count: 0
    .symbol:         _ZN7rocprim17ROCPRIM_400000_NS6detail17trampoline_kernelINS0_14default_configENS1_36segmented_radix_sort_config_selectorIdlEEZNS1_25segmented_radix_sort_implIS3_Lb1EPKdPdPKlPlN2at6native12_GLOBAL__N_18offset_tEEE10hipError_tPvRmT1_PNSt15iterator_traitsISK_E10value_typeET2_T3_PNSL_ISQ_E10value_typeET4_jRbjT5_SW_jjP12ihipStream_tbEUlT_E_NS1_11comp_targetILNS1_3genE10ELNS1_11target_archE1200ELNS1_3gpuE4ELNS1_3repE0EEENS1_30default_config_static_selectorELNS0_4arch9wavefront6targetE1EEEvSK_.kd
    .uniform_work_group_size: 1
    .uses_dynamic_stack: false
    .vgpr_count:     0
    .vgpr_spill_count: 0
    .wavefront_size: 64
  - .args:
      - .offset:         0
        .size:           96
        .value_kind:     by_value
    .group_segment_fixed_size: 0
    .kernarg_segment_align: 8
    .kernarg_segment_size: 96
    .language:       OpenCL C
    .language_version:
      - 2
      - 0
    .max_flat_workgroup_size: 256
    .name:           _ZN7rocprim17ROCPRIM_400000_NS6detail17trampoline_kernelINS0_14default_configENS1_36segmented_radix_sort_config_selectorIdlEEZNS1_25segmented_radix_sort_implIS3_Lb1EPKdPdPKlPlN2at6native12_GLOBAL__N_18offset_tEEE10hipError_tPvRmT1_PNSt15iterator_traitsISK_E10value_typeET2_T3_PNSL_ISQ_E10value_typeET4_jRbjT5_SW_jjP12ihipStream_tbEUlT_E_NS1_11comp_targetILNS1_3genE9ELNS1_11target_archE1100ELNS1_3gpuE3ELNS1_3repE0EEENS1_30default_config_static_selectorELNS0_4arch9wavefront6targetE1EEEvSK_
    .private_segment_fixed_size: 0
    .sgpr_count:     4
    .sgpr_spill_count: 0
    .symbol:         _ZN7rocprim17ROCPRIM_400000_NS6detail17trampoline_kernelINS0_14default_configENS1_36segmented_radix_sort_config_selectorIdlEEZNS1_25segmented_radix_sort_implIS3_Lb1EPKdPdPKlPlN2at6native12_GLOBAL__N_18offset_tEEE10hipError_tPvRmT1_PNSt15iterator_traitsISK_E10value_typeET2_T3_PNSL_ISQ_E10value_typeET4_jRbjT5_SW_jjP12ihipStream_tbEUlT_E_NS1_11comp_targetILNS1_3genE9ELNS1_11target_archE1100ELNS1_3gpuE3ELNS1_3repE0EEENS1_30default_config_static_selectorELNS0_4arch9wavefront6targetE1EEEvSK_.kd
    .uniform_work_group_size: 1
    .uses_dynamic_stack: false
    .vgpr_count:     0
    .vgpr_spill_count: 0
    .wavefront_size: 64
  - .args:
      - .offset:         0
        .size:           96
        .value_kind:     by_value
    .group_segment_fixed_size: 0
    .kernarg_segment_align: 8
    .kernarg_segment_size: 96
    .language:       OpenCL C
    .language_version:
      - 2
      - 0
    .max_flat_workgroup_size: 256
    .name:           _ZN7rocprim17ROCPRIM_400000_NS6detail17trampoline_kernelINS0_14default_configENS1_36segmented_radix_sort_config_selectorIdlEEZNS1_25segmented_radix_sort_implIS3_Lb1EPKdPdPKlPlN2at6native12_GLOBAL__N_18offset_tEEE10hipError_tPvRmT1_PNSt15iterator_traitsISK_E10value_typeET2_T3_PNSL_ISQ_E10value_typeET4_jRbjT5_SW_jjP12ihipStream_tbEUlT_E_NS1_11comp_targetILNS1_3genE8ELNS1_11target_archE1030ELNS1_3gpuE2ELNS1_3repE0EEENS1_30default_config_static_selectorELNS0_4arch9wavefront6targetE1EEEvSK_
    .private_segment_fixed_size: 0
    .sgpr_count:     4
    .sgpr_spill_count: 0
    .symbol:         _ZN7rocprim17ROCPRIM_400000_NS6detail17trampoline_kernelINS0_14default_configENS1_36segmented_radix_sort_config_selectorIdlEEZNS1_25segmented_radix_sort_implIS3_Lb1EPKdPdPKlPlN2at6native12_GLOBAL__N_18offset_tEEE10hipError_tPvRmT1_PNSt15iterator_traitsISK_E10value_typeET2_T3_PNSL_ISQ_E10value_typeET4_jRbjT5_SW_jjP12ihipStream_tbEUlT_E_NS1_11comp_targetILNS1_3genE8ELNS1_11target_archE1030ELNS1_3gpuE2ELNS1_3repE0EEENS1_30default_config_static_selectorELNS0_4arch9wavefront6targetE1EEEvSK_.kd
    .uniform_work_group_size: 1
    .uses_dynamic_stack: false
    .vgpr_count:     0
    .vgpr_spill_count: 0
    .wavefront_size: 64
  - .args:
      - .offset:         0
        .size:           88
        .value_kind:     by_value
    .group_segment_fixed_size: 0
    .kernarg_segment_align: 8
    .kernarg_segment_size: 88
    .language:       OpenCL C
    .language_version:
      - 2
      - 0
    .max_flat_workgroup_size: 256
    .name:           _ZN7rocprim17ROCPRIM_400000_NS6detail17trampoline_kernelINS0_14default_configENS1_36segmented_radix_sort_config_selectorIdlEEZNS1_25segmented_radix_sort_implIS3_Lb1EPKdPdPKlPlN2at6native12_GLOBAL__N_18offset_tEEE10hipError_tPvRmT1_PNSt15iterator_traitsISK_E10value_typeET2_T3_PNSL_ISQ_E10value_typeET4_jRbjT5_SW_jjP12ihipStream_tbEUlT_E0_NS1_11comp_targetILNS1_3genE0ELNS1_11target_archE4294967295ELNS1_3gpuE0ELNS1_3repE0EEENS1_60segmented_radix_sort_warp_sort_medium_config_static_selectorELNS0_4arch9wavefront6targetE1EEEvSK_
    .private_segment_fixed_size: 0
    .sgpr_count:     4
    .sgpr_spill_count: 0
    .symbol:         _ZN7rocprim17ROCPRIM_400000_NS6detail17trampoline_kernelINS0_14default_configENS1_36segmented_radix_sort_config_selectorIdlEEZNS1_25segmented_radix_sort_implIS3_Lb1EPKdPdPKlPlN2at6native12_GLOBAL__N_18offset_tEEE10hipError_tPvRmT1_PNSt15iterator_traitsISK_E10value_typeET2_T3_PNSL_ISQ_E10value_typeET4_jRbjT5_SW_jjP12ihipStream_tbEUlT_E0_NS1_11comp_targetILNS1_3genE0ELNS1_11target_archE4294967295ELNS1_3gpuE0ELNS1_3repE0EEENS1_60segmented_radix_sort_warp_sort_medium_config_static_selectorELNS0_4arch9wavefront6targetE1EEEvSK_.kd
    .uniform_work_group_size: 1
    .uses_dynamic_stack: false
    .vgpr_count:     0
    .vgpr_spill_count: 0
    .wavefront_size: 64
  - .args:
      - .offset:         0
        .size:           88
        .value_kind:     by_value
    .group_segment_fixed_size: 0
    .kernarg_segment_align: 8
    .kernarg_segment_size: 88
    .language:       OpenCL C
    .language_version:
      - 2
      - 0
    .max_flat_workgroup_size: 256
    .name:           _ZN7rocprim17ROCPRIM_400000_NS6detail17trampoline_kernelINS0_14default_configENS1_36segmented_radix_sort_config_selectorIdlEEZNS1_25segmented_radix_sort_implIS3_Lb1EPKdPdPKlPlN2at6native12_GLOBAL__N_18offset_tEEE10hipError_tPvRmT1_PNSt15iterator_traitsISK_E10value_typeET2_T3_PNSL_ISQ_E10value_typeET4_jRbjT5_SW_jjP12ihipStream_tbEUlT_E0_NS1_11comp_targetILNS1_3genE5ELNS1_11target_archE942ELNS1_3gpuE9ELNS1_3repE0EEENS1_60segmented_radix_sort_warp_sort_medium_config_static_selectorELNS0_4arch9wavefront6targetE1EEEvSK_
    .private_segment_fixed_size: 0
    .sgpr_count:     4
    .sgpr_spill_count: 0
    .symbol:         _ZN7rocprim17ROCPRIM_400000_NS6detail17trampoline_kernelINS0_14default_configENS1_36segmented_radix_sort_config_selectorIdlEEZNS1_25segmented_radix_sort_implIS3_Lb1EPKdPdPKlPlN2at6native12_GLOBAL__N_18offset_tEEE10hipError_tPvRmT1_PNSt15iterator_traitsISK_E10value_typeET2_T3_PNSL_ISQ_E10value_typeET4_jRbjT5_SW_jjP12ihipStream_tbEUlT_E0_NS1_11comp_targetILNS1_3genE5ELNS1_11target_archE942ELNS1_3gpuE9ELNS1_3repE0EEENS1_60segmented_radix_sort_warp_sort_medium_config_static_selectorELNS0_4arch9wavefront6targetE1EEEvSK_.kd
    .uniform_work_group_size: 1
    .uses_dynamic_stack: false
    .vgpr_count:     0
    .vgpr_spill_count: 0
    .wavefront_size: 64
  - .args:
      - .offset:         0
        .size:           88
        .value_kind:     by_value
    .group_segment_fixed_size: 0
    .kernarg_segment_align: 8
    .kernarg_segment_size: 88
    .language:       OpenCL C
    .language_version:
      - 2
      - 0
    .max_flat_workgroup_size: 256
    .name:           _ZN7rocprim17ROCPRIM_400000_NS6detail17trampoline_kernelINS0_14default_configENS1_36segmented_radix_sort_config_selectorIdlEEZNS1_25segmented_radix_sort_implIS3_Lb1EPKdPdPKlPlN2at6native12_GLOBAL__N_18offset_tEEE10hipError_tPvRmT1_PNSt15iterator_traitsISK_E10value_typeET2_T3_PNSL_ISQ_E10value_typeET4_jRbjT5_SW_jjP12ihipStream_tbEUlT_E0_NS1_11comp_targetILNS1_3genE4ELNS1_11target_archE910ELNS1_3gpuE8ELNS1_3repE0EEENS1_60segmented_radix_sort_warp_sort_medium_config_static_selectorELNS0_4arch9wavefront6targetE1EEEvSK_
    .private_segment_fixed_size: 0
    .sgpr_count:     4
    .sgpr_spill_count: 0
    .symbol:         _ZN7rocprim17ROCPRIM_400000_NS6detail17trampoline_kernelINS0_14default_configENS1_36segmented_radix_sort_config_selectorIdlEEZNS1_25segmented_radix_sort_implIS3_Lb1EPKdPdPKlPlN2at6native12_GLOBAL__N_18offset_tEEE10hipError_tPvRmT1_PNSt15iterator_traitsISK_E10value_typeET2_T3_PNSL_ISQ_E10value_typeET4_jRbjT5_SW_jjP12ihipStream_tbEUlT_E0_NS1_11comp_targetILNS1_3genE4ELNS1_11target_archE910ELNS1_3gpuE8ELNS1_3repE0EEENS1_60segmented_radix_sort_warp_sort_medium_config_static_selectorELNS0_4arch9wavefront6targetE1EEEvSK_.kd
    .uniform_work_group_size: 1
    .uses_dynamic_stack: false
    .vgpr_count:     0
    .vgpr_spill_count: 0
    .wavefront_size: 64
  - .args:
      - .offset:         0
        .size:           88
        .value_kind:     by_value
    .group_segment_fixed_size: 0
    .kernarg_segment_align: 8
    .kernarg_segment_size: 88
    .language:       OpenCL C
    .language_version:
      - 2
      - 0
    .max_flat_workgroup_size: 256
    .name:           _ZN7rocprim17ROCPRIM_400000_NS6detail17trampoline_kernelINS0_14default_configENS1_36segmented_radix_sort_config_selectorIdlEEZNS1_25segmented_radix_sort_implIS3_Lb1EPKdPdPKlPlN2at6native12_GLOBAL__N_18offset_tEEE10hipError_tPvRmT1_PNSt15iterator_traitsISK_E10value_typeET2_T3_PNSL_ISQ_E10value_typeET4_jRbjT5_SW_jjP12ihipStream_tbEUlT_E0_NS1_11comp_targetILNS1_3genE3ELNS1_11target_archE908ELNS1_3gpuE7ELNS1_3repE0EEENS1_60segmented_radix_sort_warp_sort_medium_config_static_selectorELNS0_4arch9wavefront6targetE1EEEvSK_
    .private_segment_fixed_size: 0
    .sgpr_count:     4
    .sgpr_spill_count: 0
    .symbol:         _ZN7rocprim17ROCPRIM_400000_NS6detail17trampoline_kernelINS0_14default_configENS1_36segmented_radix_sort_config_selectorIdlEEZNS1_25segmented_radix_sort_implIS3_Lb1EPKdPdPKlPlN2at6native12_GLOBAL__N_18offset_tEEE10hipError_tPvRmT1_PNSt15iterator_traitsISK_E10value_typeET2_T3_PNSL_ISQ_E10value_typeET4_jRbjT5_SW_jjP12ihipStream_tbEUlT_E0_NS1_11comp_targetILNS1_3genE3ELNS1_11target_archE908ELNS1_3gpuE7ELNS1_3repE0EEENS1_60segmented_radix_sort_warp_sort_medium_config_static_selectorELNS0_4arch9wavefront6targetE1EEEvSK_.kd
    .uniform_work_group_size: 1
    .uses_dynamic_stack: false
    .vgpr_count:     0
    .vgpr_spill_count: 0
    .wavefront_size: 64
  - .args:
      - .offset:         0
        .size:           88
        .value_kind:     by_value
      - .offset:         88
        .size:           4
        .value_kind:     hidden_block_count_x
      - .offset:         92
        .size:           4
        .value_kind:     hidden_block_count_y
      - .offset:         96
        .size:           4
        .value_kind:     hidden_block_count_z
      - .offset:         100
        .size:           2
        .value_kind:     hidden_group_size_x
      - .offset:         102
        .size:           2
        .value_kind:     hidden_group_size_y
      - .offset:         104
        .size:           2
        .value_kind:     hidden_group_size_z
      - .offset:         106
        .size:           2
        .value_kind:     hidden_remainder_x
      - .offset:         108
        .size:           2
        .value_kind:     hidden_remainder_y
      - .offset:         110
        .size:           2
        .value_kind:     hidden_remainder_z
      - .offset:         128
        .size:           8
        .value_kind:     hidden_global_offset_x
      - .offset:         136
        .size:           8
        .value_kind:     hidden_global_offset_y
      - .offset:         144
        .size:           8
        .value_kind:     hidden_global_offset_z
      - .offset:         152
        .size:           2
        .value_kind:     hidden_grid_dims
    .group_segment_fixed_size: 32768
    .kernarg_segment_align: 8
    .kernarg_segment_size: 344
    .language:       OpenCL C
    .language_version:
      - 2
      - 0
    .max_flat_workgroup_size: 256
    .name:           _ZN7rocprim17ROCPRIM_400000_NS6detail17trampoline_kernelINS0_14default_configENS1_36segmented_radix_sort_config_selectorIdlEEZNS1_25segmented_radix_sort_implIS3_Lb1EPKdPdPKlPlN2at6native12_GLOBAL__N_18offset_tEEE10hipError_tPvRmT1_PNSt15iterator_traitsISK_E10value_typeET2_T3_PNSL_ISQ_E10value_typeET4_jRbjT5_SW_jjP12ihipStream_tbEUlT_E0_NS1_11comp_targetILNS1_3genE2ELNS1_11target_archE906ELNS1_3gpuE6ELNS1_3repE0EEENS1_60segmented_radix_sort_warp_sort_medium_config_static_selectorELNS0_4arch9wavefront6targetE1EEEvSK_
    .private_segment_fixed_size: 0
    .sgpr_count:     64
    .sgpr_spill_count: 0
    .symbol:         _ZN7rocprim17ROCPRIM_400000_NS6detail17trampoline_kernelINS0_14default_configENS1_36segmented_radix_sort_config_selectorIdlEEZNS1_25segmented_radix_sort_implIS3_Lb1EPKdPdPKlPlN2at6native12_GLOBAL__N_18offset_tEEE10hipError_tPvRmT1_PNSt15iterator_traitsISK_E10value_typeET2_T3_PNSL_ISQ_E10value_typeET4_jRbjT5_SW_jjP12ihipStream_tbEUlT_E0_NS1_11comp_targetILNS1_3genE2ELNS1_11target_archE906ELNS1_3gpuE6ELNS1_3repE0EEENS1_60segmented_radix_sort_warp_sort_medium_config_static_selectorELNS0_4arch9wavefront6targetE1EEEvSK_.kd
    .uniform_work_group_size: 1
    .uses_dynamic_stack: false
    .vgpr_count:     99
    .vgpr_spill_count: 0
    .wavefront_size: 64
  - .args:
      - .offset:         0
        .size:           88
        .value_kind:     by_value
    .group_segment_fixed_size: 0
    .kernarg_segment_align: 8
    .kernarg_segment_size: 88
    .language:       OpenCL C
    .language_version:
      - 2
      - 0
    .max_flat_workgroup_size: 256
    .name:           _ZN7rocprim17ROCPRIM_400000_NS6detail17trampoline_kernelINS0_14default_configENS1_36segmented_radix_sort_config_selectorIdlEEZNS1_25segmented_radix_sort_implIS3_Lb1EPKdPdPKlPlN2at6native12_GLOBAL__N_18offset_tEEE10hipError_tPvRmT1_PNSt15iterator_traitsISK_E10value_typeET2_T3_PNSL_ISQ_E10value_typeET4_jRbjT5_SW_jjP12ihipStream_tbEUlT_E0_NS1_11comp_targetILNS1_3genE10ELNS1_11target_archE1201ELNS1_3gpuE5ELNS1_3repE0EEENS1_60segmented_radix_sort_warp_sort_medium_config_static_selectorELNS0_4arch9wavefront6targetE1EEEvSK_
    .private_segment_fixed_size: 0
    .sgpr_count:     4
    .sgpr_spill_count: 0
    .symbol:         _ZN7rocprim17ROCPRIM_400000_NS6detail17trampoline_kernelINS0_14default_configENS1_36segmented_radix_sort_config_selectorIdlEEZNS1_25segmented_radix_sort_implIS3_Lb1EPKdPdPKlPlN2at6native12_GLOBAL__N_18offset_tEEE10hipError_tPvRmT1_PNSt15iterator_traitsISK_E10value_typeET2_T3_PNSL_ISQ_E10value_typeET4_jRbjT5_SW_jjP12ihipStream_tbEUlT_E0_NS1_11comp_targetILNS1_3genE10ELNS1_11target_archE1201ELNS1_3gpuE5ELNS1_3repE0EEENS1_60segmented_radix_sort_warp_sort_medium_config_static_selectorELNS0_4arch9wavefront6targetE1EEEvSK_.kd
    .uniform_work_group_size: 1
    .uses_dynamic_stack: false
    .vgpr_count:     0
    .vgpr_spill_count: 0
    .wavefront_size: 64
  - .args:
      - .offset:         0
        .size:           88
        .value_kind:     by_value
    .group_segment_fixed_size: 0
    .kernarg_segment_align: 8
    .kernarg_segment_size: 88
    .language:       OpenCL C
    .language_version:
      - 2
      - 0
    .max_flat_workgroup_size: 256
    .name:           _ZN7rocprim17ROCPRIM_400000_NS6detail17trampoline_kernelINS0_14default_configENS1_36segmented_radix_sort_config_selectorIdlEEZNS1_25segmented_radix_sort_implIS3_Lb1EPKdPdPKlPlN2at6native12_GLOBAL__N_18offset_tEEE10hipError_tPvRmT1_PNSt15iterator_traitsISK_E10value_typeET2_T3_PNSL_ISQ_E10value_typeET4_jRbjT5_SW_jjP12ihipStream_tbEUlT_E0_NS1_11comp_targetILNS1_3genE10ELNS1_11target_archE1200ELNS1_3gpuE4ELNS1_3repE0EEENS1_60segmented_radix_sort_warp_sort_medium_config_static_selectorELNS0_4arch9wavefront6targetE1EEEvSK_
    .private_segment_fixed_size: 0
    .sgpr_count:     4
    .sgpr_spill_count: 0
    .symbol:         _ZN7rocprim17ROCPRIM_400000_NS6detail17trampoline_kernelINS0_14default_configENS1_36segmented_radix_sort_config_selectorIdlEEZNS1_25segmented_radix_sort_implIS3_Lb1EPKdPdPKlPlN2at6native12_GLOBAL__N_18offset_tEEE10hipError_tPvRmT1_PNSt15iterator_traitsISK_E10value_typeET2_T3_PNSL_ISQ_E10value_typeET4_jRbjT5_SW_jjP12ihipStream_tbEUlT_E0_NS1_11comp_targetILNS1_3genE10ELNS1_11target_archE1200ELNS1_3gpuE4ELNS1_3repE0EEENS1_60segmented_radix_sort_warp_sort_medium_config_static_selectorELNS0_4arch9wavefront6targetE1EEEvSK_.kd
    .uniform_work_group_size: 1
    .uses_dynamic_stack: false
    .vgpr_count:     0
    .vgpr_spill_count: 0
    .wavefront_size: 64
  - .args:
      - .offset:         0
        .size:           88
        .value_kind:     by_value
    .group_segment_fixed_size: 0
    .kernarg_segment_align: 8
    .kernarg_segment_size: 88
    .language:       OpenCL C
    .language_version:
      - 2
      - 0
    .max_flat_workgroup_size: 256
    .name:           _ZN7rocprim17ROCPRIM_400000_NS6detail17trampoline_kernelINS0_14default_configENS1_36segmented_radix_sort_config_selectorIdlEEZNS1_25segmented_radix_sort_implIS3_Lb1EPKdPdPKlPlN2at6native12_GLOBAL__N_18offset_tEEE10hipError_tPvRmT1_PNSt15iterator_traitsISK_E10value_typeET2_T3_PNSL_ISQ_E10value_typeET4_jRbjT5_SW_jjP12ihipStream_tbEUlT_E0_NS1_11comp_targetILNS1_3genE9ELNS1_11target_archE1100ELNS1_3gpuE3ELNS1_3repE0EEENS1_60segmented_radix_sort_warp_sort_medium_config_static_selectorELNS0_4arch9wavefront6targetE1EEEvSK_
    .private_segment_fixed_size: 0
    .sgpr_count:     4
    .sgpr_spill_count: 0
    .symbol:         _ZN7rocprim17ROCPRIM_400000_NS6detail17trampoline_kernelINS0_14default_configENS1_36segmented_radix_sort_config_selectorIdlEEZNS1_25segmented_radix_sort_implIS3_Lb1EPKdPdPKlPlN2at6native12_GLOBAL__N_18offset_tEEE10hipError_tPvRmT1_PNSt15iterator_traitsISK_E10value_typeET2_T3_PNSL_ISQ_E10value_typeET4_jRbjT5_SW_jjP12ihipStream_tbEUlT_E0_NS1_11comp_targetILNS1_3genE9ELNS1_11target_archE1100ELNS1_3gpuE3ELNS1_3repE0EEENS1_60segmented_radix_sort_warp_sort_medium_config_static_selectorELNS0_4arch9wavefront6targetE1EEEvSK_.kd
    .uniform_work_group_size: 1
    .uses_dynamic_stack: false
    .vgpr_count:     0
    .vgpr_spill_count: 0
    .wavefront_size: 64
  - .args:
      - .offset:         0
        .size:           88
        .value_kind:     by_value
    .group_segment_fixed_size: 0
    .kernarg_segment_align: 8
    .kernarg_segment_size: 88
    .language:       OpenCL C
    .language_version:
      - 2
      - 0
    .max_flat_workgroup_size: 256
    .name:           _ZN7rocprim17ROCPRIM_400000_NS6detail17trampoline_kernelINS0_14default_configENS1_36segmented_radix_sort_config_selectorIdlEEZNS1_25segmented_radix_sort_implIS3_Lb1EPKdPdPKlPlN2at6native12_GLOBAL__N_18offset_tEEE10hipError_tPvRmT1_PNSt15iterator_traitsISK_E10value_typeET2_T3_PNSL_ISQ_E10value_typeET4_jRbjT5_SW_jjP12ihipStream_tbEUlT_E0_NS1_11comp_targetILNS1_3genE8ELNS1_11target_archE1030ELNS1_3gpuE2ELNS1_3repE0EEENS1_60segmented_radix_sort_warp_sort_medium_config_static_selectorELNS0_4arch9wavefront6targetE1EEEvSK_
    .private_segment_fixed_size: 0
    .sgpr_count:     4
    .sgpr_spill_count: 0
    .symbol:         _ZN7rocprim17ROCPRIM_400000_NS6detail17trampoline_kernelINS0_14default_configENS1_36segmented_radix_sort_config_selectorIdlEEZNS1_25segmented_radix_sort_implIS3_Lb1EPKdPdPKlPlN2at6native12_GLOBAL__N_18offset_tEEE10hipError_tPvRmT1_PNSt15iterator_traitsISK_E10value_typeET2_T3_PNSL_ISQ_E10value_typeET4_jRbjT5_SW_jjP12ihipStream_tbEUlT_E0_NS1_11comp_targetILNS1_3genE8ELNS1_11target_archE1030ELNS1_3gpuE2ELNS1_3repE0EEENS1_60segmented_radix_sort_warp_sort_medium_config_static_selectorELNS0_4arch9wavefront6targetE1EEEvSK_.kd
    .uniform_work_group_size: 1
    .uses_dynamic_stack: false
    .vgpr_count:     0
    .vgpr_spill_count: 0
    .wavefront_size: 64
  - .args:
      - .offset:         0
        .size:           88
        .value_kind:     by_value
    .group_segment_fixed_size: 0
    .kernarg_segment_align: 8
    .kernarg_segment_size: 88
    .language:       OpenCL C
    .language_version:
      - 2
      - 0
    .max_flat_workgroup_size: 256
    .name:           _ZN7rocprim17ROCPRIM_400000_NS6detail17trampoline_kernelINS0_14default_configENS1_36segmented_radix_sort_config_selectorIdlEEZNS1_25segmented_radix_sort_implIS3_Lb1EPKdPdPKlPlN2at6native12_GLOBAL__N_18offset_tEEE10hipError_tPvRmT1_PNSt15iterator_traitsISK_E10value_typeET2_T3_PNSL_ISQ_E10value_typeET4_jRbjT5_SW_jjP12ihipStream_tbEUlT_E1_NS1_11comp_targetILNS1_3genE0ELNS1_11target_archE4294967295ELNS1_3gpuE0ELNS1_3repE0EEENS1_59segmented_radix_sort_warp_sort_small_config_static_selectorELNS0_4arch9wavefront6targetE1EEEvSK_
    .private_segment_fixed_size: 0
    .sgpr_count:     4
    .sgpr_spill_count: 0
    .symbol:         _ZN7rocprim17ROCPRIM_400000_NS6detail17trampoline_kernelINS0_14default_configENS1_36segmented_radix_sort_config_selectorIdlEEZNS1_25segmented_radix_sort_implIS3_Lb1EPKdPdPKlPlN2at6native12_GLOBAL__N_18offset_tEEE10hipError_tPvRmT1_PNSt15iterator_traitsISK_E10value_typeET2_T3_PNSL_ISQ_E10value_typeET4_jRbjT5_SW_jjP12ihipStream_tbEUlT_E1_NS1_11comp_targetILNS1_3genE0ELNS1_11target_archE4294967295ELNS1_3gpuE0ELNS1_3repE0EEENS1_59segmented_radix_sort_warp_sort_small_config_static_selectorELNS0_4arch9wavefront6targetE1EEEvSK_.kd
    .uniform_work_group_size: 1
    .uses_dynamic_stack: false
    .vgpr_count:     0
    .vgpr_spill_count: 0
    .wavefront_size: 64
  - .args:
      - .offset:         0
        .size:           88
        .value_kind:     by_value
    .group_segment_fixed_size: 0
    .kernarg_segment_align: 8
    .kernarg_segment_size: 88
    .language:       OpenCL C
    .language_version:
      - 2
      - 0
    .max_flat_workgroup_size: 256
    .name:           _ZN7rocprim17ROCPRIM_400000_NS6detail17trampoline_kernelINS0_14default_configENS1_36segmented_radix_sort_config_selectorIdlEEZNS1_25segmented_radix_sort_implIS3_Lb1EPKdPdPKlPlN2at6native12_GLOBAL__N_18offset_tEEE10hipError_tPvRmT1_PNSt15iterator_traitsISK_E10value_typeET2_T3_PNSL_ISQ_E10value_typeET4_jRbjT5_SW_jjP12ihipStream_tbEUlT_E1_NS1_11comp_targetILNS1_3genE5ELNS1_11target_archE942ELNS1_3gpuE9ELNS1_3repE0EEENS1_59segmented_radix_sort_warp_sort_small_config_static_selectorELNS0_4arch9wavefront6targetE1EEEvSK_
    .private_segment_fixed_size: 0
    .sgpr_count:     4
    .sgpr_spill_count: 0
    .symbol:         _ZN7rocprim17ROCPRIM_400000_NS6detail17trampoline_kernelINS0_14default_configENS1_36segmented_radix_sort_config_selectorIdlEEZNS1_25segmented_radix_sort_implIS3_Lb1EPKdPdPKlPlN2at6native12_GLOBAL__N_18offset_tEEE10hipError_tPvRmT1_PNSt15iterator_traitsISK_E10value_typeET2_T3_PNSL_ISQ_E10value_typeET4_jRbjT5_SW_jjP12ihipStream_tbEUlT_E1_NS1_11comp_targetILNS1_3genE5ELNS1_11target_archE942ELNS1_3gpuE9ELNS1_3repE0EEENS1_59segmented_radix_sort_warp_sort_small_config_static_selectorELNS0_4arch9wavefront6targetE1EEEvSK_.kd
    .uniform_work_group_size: 1
    .uses_dynamic_stack: false
    .vgpr_count:     0
    .vgpr_spill_count: 0
    .wavefront_size: 64
  - .args:
      - .offset:         0
        .size:           88
        .value_kind:     by_value
    .group_segment_fixed_size: 0
    .kernarg_segment_align: 8
    .kernarg_segment_size: 88
    .language:       OpenCL C
    .language_version:
      - 2
      - 0
    .max_flat_workgroup_size: 256
    .name:           _ZN7rocprim17ROCPRIM_400000_NS6detail17trampoline_kernelINS0_14default_configENS1_36segmented_radix_sort_config_selectorIdlEEZNS1_25segmented_radix_sort_implIS3_Lb1EPKdPdPKlPlN2at6native12_GLOBAL__N_18offset_tEEE10hipError_tPvRmT1_PNSt15iterator_traitsISK_E10value_typeET2_T3_PNSL_ISQ_E10value_typeET4_jRbjT5_SW_jjP12ihipStream_tbEUlT_E1_NS1_11comp_targetILNS1_3genE4ELNS1_11target_archE910ELNS1_3gpuE8ELNS1_3repE0EEENS1_59segmented_radix_sort_warp_sort_small_config_static_selectorELNS0_4arch9wavefront6targetE1EEEvSK_
    .private_segment_fixed_size: 0
    .sgpr_count:     4
    .sgpr_spill_count: 0
    .symbol:         _ZN7rocprim17ROCPRIM_400000_NS6detail17trampoline_kernelINS0_14default_configENS1_36segmented_radix_sort_config_selectorIdlEEZNS1_25segmented_radix_sort_implIS3_Lb1EPKdPdPKlPlN2at6native12_GLOBAL__N_18offset_tEEE10hipError_tPvRmT1_PNSt15iterator_traitsISK_E10value_typeET2_T3_PNSL_ISQ_E10value_typeET4_jRbjT5_SW_jjP12ihipStream_tbEUlT_E1_NS1_11comp_targetILNS1_3genE4ELNS1_11target_archE910ELNS1_3gpuE8ELNS1_3repE0EEENS1_59segmented_radix_sort_warp_sort_small_config_static_selectorELNS0_4arch9wavefront6targetE1EEEvSK_.kd
    .uniform_work_group_size: 1
    .uses_dynamic_stack: false
    .vgpr_count:     0
    .vgpr_spill_count: 0
    .wavefront_size: 64
  - .args:
      - .offset:         0
        .size:           88
        .value_kind:     by_value
    .group_segment_fixed_size: 0
    .kernarg_segment_align: 8
    .kernarg_segment_size: 88
    .language:       OpenCL C
    .language_version:
      - 2
      - 0
    .max_flat_workgroup_size: 256
    .name:           _ZN7rocprim17ROCPRIM_400000_NS6detail17trampoline_kernelINS0_14default_configENS1_36segmented_radix_sort_config_selectorIdlEEZNS1_25segmented_radix_sort_implIS3_Lb1EPKdPdPKlPlN2at6native12_GLOBAL__N_18offset_tEEE10hipError_tPvRmT1_PNSt15iterator_traitsISK_E10value_typeET2_T3_PNSL_ISQ_E10value_typeET4_jRbjT5_SW_jjP12ihipStream_tbEUlT_E1_NS1_11comp_targetILNS1_3genE3ELNS1_11target_archE908ELNS1_3gpuE7ELNS1_3repE0EEENS1_59segmented_radix_sort_warp_sort_small_config_static_selectorELNS0_4arch9wavefront6targetE1EEEvSK_
    .private_segment_fixed_size: 0
    .sgpr_count:     4
    .sgpr_spill_count: 0
    .symbol:         _ZN7rocprim17ROCPRIM_400000_NS6detail17trampoline_kernelINS0_14default_configENS1_36segmented_radix_sort_config_selectorIdlEEZNS1_25segmented_radix_sort_implIS3_Lb1EPKdPdPKlPlN2at6native12_GLOBAL__N_18offset_tEEE10hipError_tPvRmT1_PNSt15iterator_traitsISK_E10value_typeET2_T3_PNSL_ISQ_E10value_typeET4_jRbjT5_SW_jjP12ihipStream_tbEUlT_E1_NS1_11comp_targetILNS1_3genE3ELNS1_11target_archE908ELNS1_3gpuE7ELNS1_3repE0EEENS1_59segmented_radix_sort_warp_sort_small_config_static_selectorELNS0_4arch9wavefront6targetE1EEEvSK_.kd
    .uniform_work_group_size: 1
    .uses_dynamic_stack: false
    .vgpr_count:     0
    .vgpr_spill_count: 0
    .wavefront_size: 64
  - .args:
      - .offset:         0
        .size:           88
        .value_kind:     by_value
      - .offset:         88
        .size:           4
        .value_kind:     hidden_block_count_x
      - .offset:         92
        .size:           4
        .value_kind:     hidden_block_count_y
      - .offset:         96
        .size:           4
        .value_kind:     hidden_block_count_z
      - .offset:         100
        .size:           2
        .value_kind:     hidden_group_size_x
      - .offset:         102
        .size:           2
        .value_kind:     hidden_group_size_y
      - .offset:         104
        .size:           2
        .value_kind:     hidden_group_size_z
      - .offset:         106
        .size:           2
        .value_kind:     hidden_remainder_x
      - .offset:         108
        .size:           2
        .value_kind:     hidden_remainder_y
      - .offset:         110
        .size:           2
        .value_kind:     hidden_remainder_z
      - .offset:         128
        .size:           8
        .value_kind:     hidden_global_offset_x
      - .offset:         136
        .size:           8
        .value_kind:     hidden_global_offset_y
      - .offset:         144
        .size:           8
        .value_kind:     hidden_global_offset_z
      - .offset:         152
        .size:           2
        .value_kind:     hidden_grid_dims
    .group_segment_fixed_size: 16384
    .kernarg_segment_align: 8
    .kernarg_segment_size: 344
    .language:       OpenCL C
    .language_version:
      - 2
      - 0
    .max_flat_workgroup_size: 256
    .name:           _ZN7rocprim17ROCPRIM_400000_NS6detail17trampoline_kernelINS0_14default_configENS1_36segmented_radix_sort_config_selectorIdlEEZNS1_25segmented_radix_sort_implIS3_Lb1EPKdPdPKlPlN2at6native12_GLOBAL__N_18offset_tEEE10hipError_tPvRmT1_PNSt15iterator_traitsISK_E10value_typeET2_T3_PNSL_ISQ_E10value_typeET4_jRbjT5_SW_jjP12ihipStream_tbEUlT_E1_NS1_11comp_targetILNS1_3genE2ELNS1_11target_archE906ELNS1_3gpuE6ELNS1_3repE0EEENS1_59segmented_radix_sort_warp_sort_small_config_static_selectorELNS0_4arch9wavefront6targetE1EEEvSK_
    .private_segment_fixed_size: 0
    .sgpr_count:     46
    .sgpr_spill_count: 0
    .symbol:         _ZN7rocprim17ROCPRIM_400000_NS6detail17trampoline_kernelINS0_14default_configENS1_36segmented_radix_sort_config_selectorIdlEEZNS1_25segmented_radix_sort_implIS3_Lb1EPKdPdPKlPlN2at6native12_GLOBAL__N_18offset_tEEE10hipError_tPvRmT1_PNSt15iterator_traitsISK_E10value_typeET2_T3_PNSL_ISQ_E10value_typeET4_jRbjT5_SW_jjP12ihipStream_tbEUlT_E1_NS1_11comp_targetILNS1_3genE2ELNS1_11target_archE906ELNS1_3gpuE6ELNS1_3repE0EEENS1_59segmented_radix_sort_warp_sort_small_config_static_selectorELNS0_4arch9wavefront6targetE1EEEvSK_.kd
    .uniform_work_group_size: 1
    .uses_dynamic_stack: false
    .vgpr_count:     69
    .vgpr_spill_count: 0
    .wavefront_size: 64
  - .args:
      - .offset:         0
        .size:           88
        .value_kind:     by_value
    .group_segment_fixed_size: 0
    .kernarg_segment_align: 8
    .kernarg_segment_size: 88
    .language:       OpenCL C
    .language_version:
      - 2
      - 0
    .max_flat_workgroup_size: 256
    .name:           _ZN7rocprim17ROCPRIM_400000_NS6detail17trampoline_kernelINS0_14default_configENS1_36segmented_radix_sort_config_selectorIdlEEZNS1_25segmented_radix_sort_implIS3_Lb1EPKdPdPKlPlN2at6native12_GLOBAL__N_18offset_tEEE10hipError_tPvRmT1_PNSt15iterator_traitsISK_E10value_typeET2_T3_PNSL_ISQ_E10value_typeET4_jRbjT5_SW_jjP12ihipStream_tbEUlT_E1_NS1_11comp_targetILNS1_3genE10ELNS1_11target_archE1201ELNS1_3gpuE5ELNS1_3repE0EEENS1_59segmented_radix_sort_warp_sort_small_config_static_selectorELNS0_4arch9wavefront6targetE1EEEvSK_
    .private_segment_fixed_size: 0
    .sgpr_count:     4
    .sgpr_spill_count: 0
    .symbol:         _ZN7rocprim17ROCPRIM_400000_NS6detail17trampoline_kernelINS0_14default_configENS1_36segmented_radix_sort_config_selectorIdlEEZNS1_25segmented_radix_sort_implIS3_Lb1EPKdPdPKlPlN2at6native12_GLOBAL__N_18offset_tEEE10hipError_tPvRmT1_PNSt15iterator_traitsISK_E10value_typeET2_T3_PNSL_ISQ_E10value_typeET4_jRbjT5_SW_jjP12ihipStream_tbEUlT_E1_NS1_11comp_targetILNS1_3genE10ELNS1_11target_archE1201ELNS1_3gpuE5ELNS1_3repE0EEENS1_59segmented_radix_sort_warp_sort_small_config_static_selectorELNS0_4arch9wavefront6targetE1EEEvSK_.kd
    .uniform_work_group_size: 1
    .uses_dynamic_stack: false
    .vgpr_count:     0
    .vgpr_spill_count: 0
    .wavefront_size: 64
  - .args:
      - .offset:         0
        .size:           88
        .value_kind:     by_value
    .group_segment_fixed_size: 0
    .kernarg_segment_align: 8
    .kernarg_segment_size: 88
    .language:       OpenCL C
    .language_version:
      - 2
      - 0
    .max_flat_workgroup_size: 256
    .name:           _ZN7rocprim17ROCPRIM_400000_NS6detail17trampoline_kernelINS0_14default_configENS1_36segmented_radix_sort_config_selectorIdlEEZNS1_25segmented_radix_sort_implIS3_Lb1EPKdPdPKlPlN2at6native12_GLOBAL__N_18offset_tEEE10hipError_tPvRmT1_PNSt15iterator_traitsISK_E10value_typeET2_T3_PNSL_ISQ_E10value_typeET4_jRbjT5_SW_jjP12ihipStream_tbEUlT_E1_NS1_11comp_targetILNS1_3genE10ELNS1_11target_archE1200ELNS1_3gpuE4ELNS1_3repE0EEENS1_59segmented_radix_sort_warp_sort_small_config_static_selectorELNS0_4arch9wavefront6targetE1EEEvSK_
    .private_segment_fixed_size: 0
    .sgpr_count:     4
    .sgpr_spill_count: 0
    .symbol:         _ZN7rocprim17ROCPRIM_400000_NS6detail17trampoline_kernelINS0_14default_configENS1_36segmented_radix_sort_config_selectorIdlEEZNS1_25segmented_radix_sort_implIS3_Lb1EPKdPdPKlPlN2at6native12_GLOBAL__N_18offset_tEEE10hipError_tPvRmT1_PNSt15iterator_traitsISK_E10value_typeET2_T3_PNSL_ISQ_E10value_typeET4_jRbjT5_SW_jjP12ihipStream_tbEUlT_E1_NS1_11comp_targetILNS1_3genE10ELNS1_11target_archE1200ELNS1_3gpuE4ELNS1_3repE0EEENS1_59segmented_radix_sort_warp_sort_small_config_static_selectorELNS0_4arch9wavefront6targetE1EEEvSK_.kd
    .uniform_work_group_size: 1
    .uses_dynamic_stack: false
    .vgpr_count:     0
    .vgpr_spill_count: 0
    .wavefront_size: 64
  - .args:
      - .offset:         0
        .size:           88
        .value_kind:     by_value
    .group_segment_fixed_size: 0
    .kernarg_segment_align: 8
    .kernarg_segment_size: 88
    .language:       OpenCL C
    .language_version:
      - 2
      - 0
    .max_flat_workgroup_size: 256
    .name:           _ZN7rocprim17ROCPRIM_400000_NS6detail17trampoline_kernelINS0_14default_configENS1_36segmented_radix_sort_config_selectorIdlEEZNS1_25segmented_radix_sort_implIS3_Lb1EPKdPdPKlPlN2at6native12_GLOBAL__N_18offset_tEEE10hipError_tPvRmT1_PNSt15iterator_traitsISK_E10value_typeET2_T3_PNSL_ISQ_E10value_typeET4_jRbjT5_SW_jjP12ihipStream_tbEUlT_E1_NS1_11comp_targetILNS1_3genE9ELNS1_11target_archE1100ELNS1_3gpuE3ELNS1_3repE0EEENS1_59segmented_radix_sort_warp_sort_small_config_static_selectorELNS0_4arch9wavefront6targetE1EEEvSK_
    .private_segment_fixed_size: 0
    .sgpr_count:     4
    .sgpr_spill_count: 0
    .symbol:         _ZN7rocprim17ROCPRIM_400000_NS6detail17trampoline_kernelINS0_14default_configENS1_36segmented_radix_sort_config_selectorIdlEEZNS1_25segmented_radix_sort_implIS3_Lb1EPKdPdPKlPlN2at6native12_GLOBAL__N_18offset_tEEE10hipError_tPvRmT1_PNSt15iterator_traitsISK_E10value_typeET2_T3_PNSL_ISQ_E10value_typeET4_jRbjT5_SW_jjP12ihipStream_tbEUlT_E1_NS1_11comp_targetILNS1_3genE9ELNS1_11target_archE1100ELNS1_3gpuE3ELNS1_3repE0EEENS1_59segmented_radix_sort_warp_sort_small_config_static_selectorELNS0_4arch9wavefront6targetE1EEEvSK_.kd
    .uniform_work_group_size: 1
    .uses_dynamic_stack: false
    .vgpr_count:     0
    .vgpr_spill_count: 0
    .wavefront_size: 64
  - .args:
      - .offset:         0
        .size:           88
        .value_kind:     by_value
    .group_segment_fixed_size: 0
    .kernarg_segment_align: 8
    .kernarg_segment_size: 88
    .language:       OpenCL C
    .language_version:
      - 2
      - 0
    .max_flat_workgroup_size: 256
    .name:           _ZN7rocprim17ROCPRIM_400000_NS6detail17trampoline_kernelINS0_14default_configENS1_36segmented_radix_sort_config_selectorIdlEEZNS1_25segmented_radix_sort_implIS3_Lb1EPKdPdPKlPlN2at6native12_GLOBAL__N_18offset_tEEE10hipError_tPvRmT1_PNSt15iterator_traitsISK_E10value_typeET2_T3_PNSL_ISQ_E10value_typeET4_jRbjT5_SW_jjP12ihipStream_tbEUlT_E1_NS1_11comp_targetILNS1_3genE8ELNS1_11target_archE1030ELNS1_3gpuE2ELNS1_3repE0EEENS1_59segmented_radix_sort_warp_sort_small_config_static_selectorELNS0_4arch9wavefront6targetE1EEEvSK_
    .private_segment_fixed_size: 0
    .sgpr_count:     4
    .sgpr_spill_count: 0
    .symbol:         _ZN7rocprim17ROCPRIM_400000_NS6detail17trampoline_kernelINS0_14default_configENS1_36segmented_radix_sort_config_selectorIdlEEZNS1_25segmented_radix_sort_implIS3_Lb1EPKdPdPKlPlN2at6native12_GLOBAL__N_18offset_tEEE10hipError_tPvRmT1_PNSt15iterator_traitsISK_E10value_typeET2_T3_PNSL_ISQ_E10value_typeET4_jRbjT5_SW_jjP12ihipStream_tbEUlT_E1_NS1_11comp_targetILNS1_3genE8ELNS1_11target_archE1030ELNS1_3gpuE2ELNS1_3repE0EEENS1_59segmented_radix_sort_warp_sort_small_config_static_selectorELNS0_4arch9wavefront6targetE1EEEvSK_.kd
    .uniform_work_group_size: 1
    .uses_dynamic_stack: false
    .vgpr_count:     0
    .vgpr_spill_count: 0
    .wavefront_size: 64
  - .args:
      - .offset:         0
        .size:           80
        .value_kind:     by_value
    .group_segment_fixed_size: 0
    .kernarg_segment_align: 8
    .kernarg_segment_size: 80
    .language:       OpenCL C
    .language_version:
      - 2
      - 0
    .max_flat_workgroup_size: 256
    .name:           _ZN7rocprim17ROCPRIM_400000_NS6detail17trampoline_kernelINS0_14default_configENS1_36segmented_radix_sort_config_selectorIdlEEZNS1_25segmented_radix_sort_implIS3_Lb1EPKdPdPKlPlN2at6native12_GLOBAL__N_18offset_tEEE10hipError_tPvRmT1_PNSt15iterator_traitsISK_E10value_typeET2_T3_PNSL_ISQ_E10value_typeET4_jRbjT5_SW_jjP12ihipStream_tbEUlT_E2_NS1_11comp_targetILNS1_3genE0ELNS1_11target_archE4294967295ELNS1_3gpuE0ELNS1_3repE0EEENS1_30default_config_static_selectorELNS0_4arch9wavefront6targetE1EEEvSK_
    .private_segment_fixed_size: 0
    .sgpr_count:     4
    .sgpr_spill_count: 0
    .symbol:         _ZN7rocprim17ROCPRIM_400000_NS6detail17trampoline_kernelINS0_14default_configENS1_36segmented_radix_sort_config_selectorIdlEEZNS1_25segmented_radix_sort_implIS3_Lb1EPKdPdPKlPlN2at6native12_GLOBAL__N_18offset_tEEE10hipError_tPvRmT1_PNSt15iterator_traitsISK_E10value_typeET2_T3_PNSL_ISQ_E10value_typeET4_jRbjT5_SW_jjP12ihipStream_tbEUlT_E2_NS1_11comp_targetILNS1_3genE0ELNS1_11target_archE4294967295ELNS1_3gpuE0ELNS1_3repE0EEENS1_30default_config_static_selectorELNS0_4arch9wavefront6targetE1EEEvSK_.kd
    .uniform_work_group_size: 1
    .uses_dynamic_stack: false
    .vgpr_count:     0
    .vgpr_spill_count: 0
    .wavefront_size: 64
  - .args:
      - .offset:         0
        .size:           80
        .value_kind:     by_value
    .group_segment_fixed_size: 0
    .kernarg_segment_align: 8
    .kernarg_segment_size: 80
    .language:       OpenCL C
    .language_version:
      - 2
      - 0
    .max_flat_workgroup_size: 256
    .name:           _ZN7rocprim17ROCPRIM_400000_NS6detail17trampoline_kernelINS0_14default_configENS1_36segmented_radix_sort_config_selectorIdlEEZNS1_25segmented_radix_sort_implIS3_Lb1EPKdPdPKlPlN2at6native12_GLOBAL__N_18offset_tEEE10hipError_tPvRmT1_PNSt15iterator_traitsISK_E10value_typeET2_T3_PNSL_ISQ_E10value_typeET4_jRbjT5_SW_jjP12ihipStream_tbEUlT_E2_NS1_11comp_targetILNS1_3genE5ELNS1_11target_archE942ELNS1_3gpuE9ELNS1_3repE0EEENS1_30default_config_static_selectorELNS0_4arch9wavefront6targetE1EEEvSK_
    .private_segment_fixed_size: 0
    .sgpr_count:     4
    .sgpr_spill_count: 0
    .symbol:         _ZN7rocprim17ROCPRIM_400000_NS6detail17trampoline_kernelINS0_14default_configENS1_36segmented_radix_sort_config_selectorIdlEEZNS1_25segmented_radix_sort_implIS3_Lb1EPKdPdPKlPlN2at6native12_GLOBAL__N_18offset_tEEE10hipError_tPvRmT1_PNSt15iterator_traitsISK_E10value_typeET2_T3_PNSL_ISQ_E10value_typeET4_jRbjT5_SW_jjP12ihipStream_tbEUlT_E2_NS1_11comp_targetILNS1_3genE5ELNS1_11target_archE942ELNS1_3gpuE9ELNS1_3repE0EEENS1_30default_config_static_selectorELNS0_4arch9wavefront6targetE1EEEvSK_.kd
    .uniform_work_group_size: 1
    .uses_dynamic_stack: false
    .vgpr_count:     0
    .vgpr_spill_count: 0
    .wavefront_size: 64
  - .args:
      - .offset:         0
        .size:           80
        .value_kind:     by_value
    .group_segment_fixed_size: 0
    .kernarg_segment_align: 8
    .kernarg_segment_size: 80
    .language:       OpenCL C
    .language_version:
      - 2
      - 0
    .max_flat_workgroup_size: 256
    .name:           _ZN7rocprim17ROCPRIM_400000_NS6detail17trampoline_kernelINS0_14default_configENS1_36segmented_radix_sort_config_selectorIdlEEZNS1_25segmented_radix_sort_implIS3_Lb1EPKdPdPKlPlN2at6native12_GLOBAL__N_18offset_tEEE10hipError_tPvRmT1_PNSt15iterator_traitsISK_E10value_typeET2_T3_PNSL_ISQ_E10value_typeET4_jRbjT5_SW_jjP12ihipStream_tbEUlT_E2_NS1_11comp_targetILNS1_3genE4ELNS1_11target_archE910ELNS1_3gpuE8ELNS1_3repE0EEENS1_30default_config_static_selectorELNS0_4arch9wavefront6targetE1EEEvSK_
    .private_segment_fixed_size: 0
    .sgpr_count:     4
    .sgpr_spill_count: 0
    .symbol:         _ZN7rocprim17ROCPRIM_400000_NS6detail17trampoline_kernelINS0_14default_configENS1_36segmented_radix_sort_config_selectorIdlEEZNS1_25segmented_radix_sort_implIS3_Lb1EPKdPdPKlPlN2at6native12_GLOBAL__N_18offset_tEEE10hipError_tPvRmT1_PNSt15iterator_traitsISK_E10value_typeET2_T3_PNSL_ISQ_E10value_typeET4_jRbjT5_SW_jjP12ihipStream_tbEUlT_E2_NS1_11comp_targetILNS1_3genE4ELNS1_11target_archE910ELNS1_3gpuE8ELNS1_3repE0EEENS1_30default_config_static_selectorELNS0_4arch9wavefront6targetE1EEEvSK_.kd
    .uniform_work_group_size: 1
    .uses_dynamic_stack: false
    .vgpr_count:     0
    .vgpr_spill_count: 0
    .wavefront_size: 64
  - .args:
      - .offset:         0
        .size:           80
        .value_kind:     by_value
    .group_segment_fixed_size: 0
    .kernarg_segment_align: 8
    .kernarg_segment_size: 80
    .language:       OpenCL C
    .language_version:
      - 2
      - 0
    .max_flat_workgroup_size: 256
    .name:           _ZN7rocprim17ROCPRIM_400000_NS6detail17trampoline_kernelINS0_14default_configENS1_36segmented_radix_sort_config_selectorIdlEEZNS1_25segmented_radix_sort_implIS3_Lb1EPKdPdPKlPlN2at6native12_GLOBAL__N_18offset_tEEE10hipError_tPvRmT1_PNSt15iterator_traitsISK_E10value_typeET2_T3_PNSL_ISQ_E10value_typeET4_jRbjT5_SW_jjP12ihipStream_tbEUlT_E2_NS1_11comp_targetILNS1_3genE3ELNS1_11target_archE908ELNS1_3gpuE7ELNS1_3repE0EEENS1_30default_config_static_selectorELNS0_4arch9wavefront6targetE1EEEvSK_
    .private_segment_fixed_size: 0
    .sgpr_count:     4
    .sgpr_spill_count: 0
    .symbol:         _ZN7rocprim17ROCPRIM_400000_NS6detail17trampoline_kernelINS0_14default_configENS1_36segmented_radix_sort_config_selectorIdlEEZNS1_25segmented_radix_sort_implIS3_Lb1EPKdPdPKlPlN2at6native12_GLOBAL__N_18offset_tEEE10hipError_tPvRmT1_PNSt15iterator_traitsISK_E10value_typeET2_T3_PNSL_ISQ_E10value_typeET4_jRbjT5_SW_jjP12ihipStream_tbEUlT_E2_NS1_11comp_targetILNS1_3genE3ELNS1_11target_archE908ELNS1_3gpuE7ELNS1_3repE0EEENS1_30default_config_static_selectorELNS0_4arch9wavefront6targetE1EEEvSK_.kd
    .uniform_work_group_size: 1
    .uses_dynamic_stack: false
    .vgpr_count:     0
    .vgpr_spill_count: 0
    .wavefront_size: 64
  - .args:
      - .offset:         0
        .size:           80
        .value_kind:     by_value
      - .offset:         80
        .size:           4
        .value_kind:     hidden_block_count_x
      - .offset:         84
        .size:           4
        .value_kind:     hidden_block_count_y
      - .offset:         88
        .size:           4
        .value_kind:     hidden_block_count_z
      - .offset:         92
        .size:           2
        .value_kind:     hidden_group_size_x
      - .offset:         94
        .size:           2
        .value_kind:     hidden_group_size_y
      - .offset:         96
        .size:           2
        .value_kind:     hidden_group_size_z
      - .offset:         98
        .size:           2
        .value_kind:     hidden_remainder_x
      - .offset:         100
        .size:           2
        .value_kind:     hidden_remainder_y
      - .offset:         102
        .size:           2
        .value_kind:     hidden_remainder_z
      - .offset:         120
        .size:           8
        .value_kind:     hidden_global_offset_x
      - .offset:         128
        .size:           8
        .value_kind:     hidden_global_offset_y
      - .offset:         136
        .size:           8
        .value_kind:     hidden_global_offset_z
      - .offset:         144
        .size:           2
        .value_kind:     hidden_grid_dims
    .group_segment_fixed_size: 33808
    .kernarg_segment_align: 8
    .kernarg_segment_size: 336
    .language:       OpenCL C
    .language_version:
      - 2
      - 0
    .max_flat_workgroup_size: 256
    .name:           _ZN7rocprim17ROCPRIM_400000_NS6detail17trampoline_kernelINS0_14default_configENS1_36segmented_radix_sort_config_selectorIdlEEZNS1_25segmented_radix_sort_implIS3_Lb1EPKdPdPKlPlN2at6native12_GLOBAL__N_18offset_tEEE10hipError_tPvRmT1_PNSt15iterator_traitsISK_E10value_typeET2_T3_PNSL_ISQ_E10value_typeET4_jRbjT5_SW_jjP12ihipStream_tbEUlT_E2_NS1_11comp_targetILNS1_3genE2ELNS1_11target_archE906ELNS1_3gpuE6ELNS1_3repE0EEENS1_30default_config_static_selectorELNS0_4arch9wavefront6targetE1EEEvSK_
    .private_segment_fixed_size: 164
    .sgpr_count:     104
    .sgpr_spill_count: 0
    .symbol:         _ZN7rocprim17ROCPRIM_400000_NS6detail17trampoline_kernelINS0_14default_configENS1_36segmented_radix_sort_config_selectorIdlEEZNS1_25segmented_radix_sort_implIS3_Lb1EPKdPdPKlPlN2at6native12_GLOBAL__N_18offset_tEEE10hipError_tPvRmT1_PNSt15iterator_traitsISK_E10value_typeET2_T3_PNSL_ISQ_E10value_typeET4_jRbjT5_SW_jjP12ihipStream_tbEUlT_E2_NS1_11comp_targetILNS1_3genE2ELNS1_11target_archE906ELNS1_3gpuE6ELNS1_3repE0EEENS1_30default_config_static_selectorELNS0_4arch9wavefront6targetE1EEEvSK_.kd
    .uniform_work_group_size: 1
    .uses_dynamic_stack: false
    .vgpr_count:     248
    .vgpr_spill_count: 0
    .wavefront_size: 64
  - .args:
      - .offset:         0
        .size:           80
        .value_kind:     by_value
    .group_segment_fixed_size: 0
    .kernarg_segment_align: 8
    .kernarg_segment_size: 80
    .language:       OpenCL C
    .language_version:
      - 2
      - 0
    .max_flat_workgroup_size: 256
    .name:           _ZN7rocprim17ROCPRIM_400000_NS6detail17trampoline_kernelINS0_14default_configENS1_36segmented_radix_sort_config_selectorIdlEEZNS1_25segmented_radix_sort_implIS3_Lb1EPKdPdPKlPlN2at6native12_GLOBAL__N_18offset_tEEE10hipError_tPvRmT1_PNSt15iterator_traitsISK_E10value_typeET2_T3_PNSL_ISQ_E10value_typeET4_jRbjT5_SW_jjP12ihipStream_tbEUlT_E2_NS1_11comp_targetILNS1_3genE10ELNS1_11target_archE1201ELNS1_3gpuE5ELNS1_3repE0EEENS1_30default_config_static_selectorELNS0_4arch9wavefront6targetE1EEEvSK_
    .private_segment_fixed_size: 0
    .sgpr_count:     4
    .sgpr_spill_count: 0
    .symbol:         _ZN7rocprim17ROCPRIM_400000_NS6detail17trampoline_kernelINS0_14default_configENS1_36segmented_radix_sort_config_selectorIdlEEZNS1_25segmented_radix_sort_implIS3_Lb1EPKdPdPKlPlN2at6native12_GLOBAL__N_18offset_tEEE10hipError_tPvRmT1_PNSt15iterator_traitsISK_E10value_typeET2_T3_PNSL_ISQ_E10value_typeET4_jRbjT5_SW_jjP12ihipStream_tbEUlT_E2_NS1_11comp_targetILNS1_3genE10ELNS1_11target_archE1201ELNS1_3gpuE5ELNS1_3repE0EEENS1_30default_config_static_selectorELNS0_4arch9wavefront6targetE1EEEvSK_.kd
    .uniform_work_group_size: 1
    .uses_dynamic_stack: false
    .vgpr_count:     0
    .vgpr_spill_count: 0
    .wavefront_size: 64
  - .args:
      - .offset:         0
        .size:           80
        .value_kind:     by_value
    .group_segment_fixed_size: 0
    .kernarg_segment_align: 8
    .kernarg_segment_size: 80
    .language:       OpenCL C
    .language_version:
      - 2
      - 0
    .max_flat_workgroup_size: 128
    .name:           _ZN7rocprim17ROCPRIM_400000_NS6detail17trampoline_kernelINS0_14default_configENS1_36segmented_radix_sort_config_selectorIdlEEZNS1_25segmented_radix_sort_implIS3_Lb1EPKdPdPKlPlN2at6native12_GLOBAL__N_18offset_tEEE10hipError_tPvRmT1_PNSt15iterator_traitsISK_E10value_typeET2_T3_PNSL_ISQ_E10value_typeET4_jRbjT5_SW_jjP12ihipStream_tbEUlT_E2_NS1_11comp_targetILNS1_3genE10ELNS1_11target_archE1200ELNS1_3gpuE4ELNS1_3repE0EEENS1_30default_config_static_selectorELNS0_4arch9wavefront6targetE1EEEvSK_
    .private_segment_fixed_size: 0
    .sgpr_count:     4
    .sgpr_spill_count: 0
    .symbol:         _ZN7rocprim17ROCPRIM_400000_NS6detail17trampoline_kernelINS0_14default_configENS1_36segmented_radix_sort_config_selectorIdlEEZNS1_25segmented_radix_sort_implIS3_Lb1EPKdPdPKlPlN2at6native12_GLOBAL__N_18offset_tEEE10hipError_tPvRmT1_PNSt15iterator_traitsISK_E10value_typeET2_T3_PNSL_ISQ_E10value_typeET4_jRbjT5_SW_jjP12ihipStream_tbEUlT_E2_NS1_11comp_targetILNS1_3genE10ELNS1_11target_archE1200ELNS1_3gpuE4ELNS1_3repE0EEENS1_30default_config_static_selectorELNS0_4arch9wavefront6targetE1EEEvSK_.kd
    .uniform_work_group_size: 1
    .uses_dynamic_stack: false
    .vgpr_count:     0
    .vgpr_spill_count: 0
    .wavefront_size: 64
  - .args:
      - .offset:         0
        .size:           80
        .value_kind:     by_value
    .group_segment_fixed_size: 0
    .kernarg_segment_align: 8
    .kernarg_segment_size: 80
    .language:       OpenCL C
    .language_version:
      - 2
      - 0
    .max_flat_workgroup_size: 256
    .name:           _ZN7rocprim17ROCPRIM_400000_NS6detail17trampoline_kernelINS0_14default_configENS1_36segmented_radix_sort_config_selectorIdlEEZNS1_25segmented_radix_sort_implIS3_Lb1EPKdPdPKlPlN2at6native12_GLOBAL__N_18offset_tEEE10hipError_tPvRmT1_PNSt15iterator_traitsISK_E10value_typeET2_T3_PNSL_ISQ_E10value_typeET4_jRbjT5_SW_jjP12ihipStream_tbEUlT_E2_NS1_11comp_targetILNS1_3genE9ELNS1_11target_archE1100ELNS1_3gpuE3ELNS1_3repE0EEENS1_30default_config_static_selectorELNS0_4arch9wavefront6targetE1EEEvSK_
    .private_segment_fixed_size: 0
    .sgpr_count:     4
    .sgpr_spill_count: 0
    .symbol:         _ZN7rocprim17ROCPRIM_400000_NS6detail17trampoline_kernelINS0_14default_configENS1_36segmented_radix_sort_config_selectorIdlEEZNS1_25segmented_radix_sort_implIS3_Lb1EPKdPdPKlPlN2at6native12_GLOBAL__N_18offset_tEEE10hipError_tPvRmT1_PNSt15iterator_traitsISK_E10value_typeET2_T3_PNSL_ISQ_E10value_typeET4_jRbjT5_SW_jjP12ihipStream_tbEUlT_E2_NS1_11comp_targetILNS1_3genE9ELNS1_11target_archE1100ELNS1_3gpuE3ELNS1_3repE0EEENS1_30default_config_static_selectorELNS0_4arch9wavefront6targetE1EEEvSK_.kd
    .uniform_work_group_size: 1
    .uses_dynamic_stack: false
    .vgpr_count:     0
    .vgpr_spill_count: 0
    .wavefront_size: 64
  - .args:
      - .offset:         0
        .size:           80
        .value_kind:     by_value
    .group_segment_fixed_size: 0
    .kernarg_segment_align: 8
    .kernarg_segment_size: 80
    .language:       OpenCL C
    .language_version:
      - 2
      - 0
    .max_flat_workgroup_size: 256
    .name:           _ZN7rocprim17ROCPRIM_400000_NS6detail17trampoline_kernelINS0_14default_configENS1_36segmented_radix_sort_config_selectorIdlEEZNS1_25segmented_radix_sort_implIS3_Lb1EPKdPdPKlPlN2at6native12_GLOBAL__N_18offset_tEEE10hipError_tPvRmT1_PNSt15iterator_traitsISK_E10value_typeET2_T3_PNSL_ISQ_E10value_typeET4_jRbjT5_SW_jjP12ihipStream_tbEUlT_E2_NS1_11comp_targetILNS1_3genE8ELNS1_11target_archE1030ELNS1_3gpuE2ELNS1_3repE0EEENS1_30default_config_static_selectorELNS0_4arch9wavefront6targetE1EEEvSK_
    .private_segment_fixed_size: 0
    .sgpr_count:     4
    .sgpr_spill_count: 0
    .symbol:         _ZN7rocprim17ROCPRIM_400000_NS6detail17trampoline_kernelINS0_14default_configENS1_36segmented_radix_sort_config_selectorIdlEEZNS1_25segmented_radix_sort_implIS3_Lb1EPKdPdPKlPlN2at6native12_GLOBAL__N_18offset_tEEE10hipError_tPvRmT1_PNSt15iterator_traitsISK_E10value_typeET2_T3_PNSL_ISQ_E10value_typeET4_jRbjT5_SW_jjP12ihipStream_tbEUlT_E2_NS1_11comp_targetILNS1_3genE8ELNS1_11target_archE1030ELNS1_3gpuE2ELNS1_3repE0EEENS1_30default_config_static_selectorELNS0_4arch9wavefront6targetE1EEEvSK_.kd
    .uniform_work_group_size: 1
    .uses_dynamic_stack: false
    .vgpr_count:     0
    .vgpr_spill_count: 0
    .wavefront_size: 64
  - .args:
      - .offset:         0
        .size:           176
        .value_kind:     by_value
    .group_segment_fixed_size: 0
    .kernarg_segment_align: 8
    .kernarg_segment_size: 176
    .language:       OpenCL C
    .language_version:
      - 2
      - 0
    .max_flat_workgroup_size: 256
    .name:           _ZN7rocprim17ROCPRIM_400000_NS6detail17trampoline_kernelINS0_13select_configILj256ELj13ELNS0_17block_load_methodE3ELS4_3ELS4_3ELNS0_20block_scan_algorithmE0ELj4294967295EEENS1_25partition_config_selectorILNS1_17partition_subalgoE4EjNS0_10empty_typeEbEEZZNS1_14partition_implILS8_4ELb0ES6_15HIP_vector_typeIjLj2EENS0_17counting_iteratorIjlEEPS9_SG_NS0_5tupleIJPjSI_NS0_16reverse_iteratorISI_EEEEENSH_IJSG_SG_SG_EEES9_SI_JZNS1_25segmented_radix_sort_implINS0_14default_configELb0EPKdPdPKlPlN2at6native12_GLOBAL__N_18offset_tEEE10hipError_tPvRmT1_PNSt15iterator_traitsIS12_E10value_typeET2_T3_PNS13_IS18_E10value_typeET4_jRbjT5_S1E_jjP12ihipStream_tbEUljE_ZNSN_ISO_Lb0ESQ_SR_ST_SU_SY_EESZ_S10_S11_S12_S16_S17_S18_S1B_S1C_jS1D_jS1E_S1E_jjS1G_bEUljE0_EEESZ_S10_S11_S18_S1C_S1E_T6_T7_T9_mT8_S1G_bDpT10_ENKUlT_T0_E_clISt17integral_constantIbLb0EES1U_EEDaS1P_S1Q_EUlS1P_E_NS1_11comp_targetILNS1_3genE0ELNS1_11target_archE4294967295ELNS1_3gpuE0ELNS1_3repE0EEENS1_30default_config_static_selectorELNS0_4arch9wavefront6targetE1EEEvS12_
    .private_segment_fixed_size: 0
    .sgpr_count:     4
    .sgpr_spill_count: 0
    .symbol:         _ZN7rocprim17ROCPRIM_400000_NS6detail17trampoline_kernelINS0_13select_configILj256ELj13ELNS0_17block_load_methodE3ELS4_3ELS4_3ELNS0_20block_scan_algorithmE0ELj4294967295EEENS1_25partition_config_selectorILNS1_17partition_subalgoE4EjNS0_10empty_typeEbEEZZNS1_14partition_implILS8_4ELb0ES6_15HIP_vector_typeIjLj2EENS0_17counting_iteratorIjlEEPS9_SG_NS0_5tupleIJPjSI_NS0_16reverse_iteratorISI_EEEEENSH_IJSG_SG_SG_EEES9_SI_JZNS1_25segmented_radix_sort_implINS0_14default_configELb0EPKdPdPKlPlN2at6native12_GLOBAL__N_18offset_tEEE10hipError_tPvRmT1_PNSt15iterator_traitsIS12_E10value_typeET2_T3_PNS13_IS18_E10value_typeET4_jRbjT5_S1E_jjP12ihipStream_tbEUljE_ZNSN_ISO_Lb0ESQ_SR_ST_SU_SY_EESZ_S10_S11_S12_S16_S17_S18_S1B_S1C_jS1D_jS1E_S1E_jjS1G_bEUljE0_EEESZ_S10_S11_S18_S1C_S1E_T6_T7_T9_mT8_S1G_bDpT10_ENKUlT_T0_E_clISt17integral_constantIbLb0EES1U_EEDaS1P_S1Q_EUlS1P_E_NS1_11comp_targetILNS1_3genE0ELNS1_11target_archE4294967295ELNS1_3gpuE0ELNS1_3repE0EEENS1_30default_config_static_selectorELNS0_4arch9wavefront6targetE1EEEvS12_.kd
    .uniform_work_group_size: 1
    .uses_dynamic_stack: false
    .vgpr_count:     0
    .vgpr_spill_count: 0
    .wavefront_size: 64
  - .args:
      - .offset:         0
        .size:           176
        .value_kind:     by_value
    .group_segment_fixed_size: 0
    .kernarg_segment_align: 8
    .kernarg_segment_size: 176
    .language:       OpenCL C
    .language_version:
      - 2
      - 0
    .max_flat_workgroup_size: 256
    .name:           _ZN7rocprim17ROCPRIM_400000_NS6detail17trampoline_kernelINS0_13select_configILj256ELj13ELNS0_17block_load_methodE3ELS4_3ELS4_3ELNS0_20block_scan_algorithmE0ELj4294967295EEENS1_25partition_config_selectorILNS1_17partition_subalgoE4EjNS0_10empty_typeEbEEZZNS1_14partition_implILS8_4ELb0ES6_15HIP_vector_typeIjLj2EENS0_17counting_iteratorIjlEEPS9_SG_NS0_5tupleIJPjSI_NS0_16reverse_iteratorISI_EEEEENSH_IJSG_SG_SG_EEES9_SI_JZNS1_25segmented_radix_sort_implINS0_14default_configELb0EPKdPdPKlPlN2at6native12_GLOBAL__N_18offset_tEEE10hipError_tPvRmT1_PNSt15iterator_traitsIS12_E10value_typeET2_T3_PNS13_IS18_E10value_typeET4_jRbjT5_S1E_jjP12ihipStream_tbEUljE_ZNSN_ISO_Lb0ESQ_SR_ST_SU_SY_EESZ_S10_S11_S12_S16_S17_S18_S1B_S1C_jS1D_jS1E_S1E_jjS1G_bEUljE0_EEESZ_S10_S11_S18_S1C_S1E_T6_T7_T9_mT8_S1G_bDpT10_ENKUlT_T0_E_clISt17integral_constantIbLb0EES1U_EEDaS1P_S1Q_EUlS1P_E_NS1_11comp_targetILNS1_3genE5ELNS1_11target_archE942ELNS1_3gpuE9ELNS1_3repE0EEENS1_30default_config_static_selectorELNS0_4arch9wavefront6targetE1EEEvS12_
    .private_segment_fixed_size: 0
    .sgpr_count:     4
    .sgpr_spill_count: 0
    .symbol:         _ZN7rocprim17ROCPRIM_400000_NS6detail17trampoline_kernelINS0_13select_configILj256ELj13ELNS0_17block_load_methodE3ELS4_3ELS4_3ELNS0_20block_scan_algorithmE0ELj4294967295EEENS1_25partition_config_selectorILNS1_17partition_subalgoE4EjNS0_10empty_typeEbEEZZNS1_14partition_implILS8_4ELb0ES6_15HIP_vector_typeIjLj2EENS0_17counting_iteratorIjlEEPS9_SG_NS0_5tupleIJPjSI_NS0_16reverse_iteratorISI_EEEEENSH_IJSG_SG_SG_EEES9_SI_JZNS1_25segmented_radix_sort_implINS0_14default_configELb0EPKdPdPKlPlN2at6native12_GLOBAL__N_18offset_tEEE10hipError_tPvRmT1_PNSt15iterator_traitsIS12_E10value_typeET2_T3_PNS13_IS18_E10value_typeET4_jRbjT5_S1E_jjP12ihipStream_tbEUljE_ZNSN_ISO_Lb0ESQ_SR_ST_SU_SY_EESZ_S10_S11_S12_S16_S17_S18_S1B_S1C_jS1D_jS1E_S1E_jjS1G_bEUljE0_EEESZ_S10_S11_S18_S1C_S1E_T6_T7_T9_mT8_S1G_bDpT10_ENKUlT_T0_E_clISt17integral_constantIbLb0EES1U_EEDaS1P_S1Q_EUlS1P_E_NS1_11comp_targetILNS1_3genE5ELNS1_11target_archE942ELNS1_3gpuE9ELNS1_3repE0EEENS1_30default_config_static_selectorELNS0_4arch9wavefront6targetE1EEEvS12_.kd
    .uniform_work_group_size: 1
    .uses_dynamic_stack: false
    .vgpr_count:     0
    .vgpr_spill_count: 0
    .wavefront_size: 64
  - .args:
      - .offset:         0
        .size:           176
        .value_kind:     by_value
    .group_segment_fixed_size: 0
    .kernarg_segment_align: 8
    .kernarg_segment_size: 176
    .language:       OpenCL C
    .language_version:
      - 2
      - 0
    .max_flat_workgroup_size: 256
    .name:           _ZN7rocprim17ROCPRIM_400000_NS6detail17trampoline_kernelINS0_13select_configILj256ELj13ELNS0_17block_load_methodE3ELS4_3ELS4_3ELNS0_20block_scan_algorithmE0ELj4294967295EEENS1_25partition_config_selectorILNS1_17partition_subalgoE4EjNS0_10empty_typeEbEEZZNS1_14partition_implILS8_4ELb0ES6_15HIP_vector_typeIjLj2EENS0_17counting_iteratorIjlEEPS9_SG_NS0_5tupleIJPjSI_NS0_16reverse_iteratorISI_EEEEENSH_IJSG_SG_SG_EEES9_SI_JZNS1_25segmented_radix_sort_implINS0_14default_configELb0EPKdPdPKlPlN2at6native12_GLOBAL__N_18offset_tEEE10hipError_tPvRmT1_PNSt15iterator_traitsIS12_E10value_typeET2_T3_PNS13_IS18_E10value_typeET4_jRbjT5_S1E_jjP12ihipStream_tbEUljE_ZNSN_ISO_Lb0ESQ_SR_ST_SU_SY_EESZ_S10_S11_S12_S16_S17_S18_S1B_S1C_jS1D_jS1E_S1E_jjS1G_bEUljE0_EEESZ_S10_S11_S18_S1C_S1E_T6_T7_T9_mT8_S1G_bDpT10_ENKUlT_T0_E_clISt17integral_constantIbLb0EES1U_EEDaS1P_S1Q_EUlS1P_E_NS1_11comp_targetILNS1_3genE4ELNS1_11target_archE910ELNS1_3gpuE8ELNS1_3repE0EEENS1_30default_config_static_selectorELNS0_4arch9wavefront6targetE1EEEvS12_
    .private_segment_fixed_size: 0
    .sgpr_count:     4
    .sgpr_spill_count: 0
    .symbol:         _ZN7rocprim17ROCPRIM_400000_NS6detail17trampoline_kernelINS0_13select_configILj256ELj13ELNS0_17block_load_methodE3ELS4_3ELS4_3ELNS0_20block_scan_algorithmE0ELj4294967295EEENS1_25partition_config_selectorILNS1_17partition_subalgoE4EjNS0_10empty_typeEbEEZZNS1_14partition_implILS8_4ELb0ES6_15HIP_vector_typeIjLj2EENS0_17counting_iteratorIjlEEPS9_SG_NS0_5tupleIJPjSI_NS0_16reverse_iteratorISI_EEEEENSH_IJSG_SG_SG_EEES9_SI_JZNS1_25segmented_radix_sort_implINS0_14default_configELb0EPKdPdPKlPlN2at6native12_GLOBAL__N_18offset_tEEE10hipError_tPvRmT1_PNSt15iterator_traitsIS12_E10value_typeET2_T3_PNS13_IS18_E10value_typeET4_jRbjT5_S1E_jjP12ihipStream_tbEUljE_ZNSN_ISO_Lb0ESQ_SR_ST_SU_SY_EESZ_S10_S11_S12_S16_S17_S18_S1B_S1C_jS1D_jS1E_S1E_jjS1G_bEUljE0_EEESZ_S10_S11_S18_S1C_S1E_T6_T7_T9_mT8_S1G_bDpT10_ENKUlT_T0_E_clISt17integral_constantIbLb0EES1U_EEDaS1P_S1Q_EUlS1P_E_NS1_11comp_targetILNS1_3genE4ELNS1_11target_archE910ELNS1_3gpuE8ELNS1_3repE0EEENS1_30default_config_static_selectorELNS0_4arch9wavefront6targetE1EEEvS12_.kd
    .uniform_work_group_size: 1
    .uses_dynamic_stack: false
    .vgpr_count:     0
    .vgpr_spill_count: 0
    .wavefront_size: 64
  - .args:
      - .offset:         0
        .size:           176
        .value_kind:     by_value
    .group_segment_fixed_size: 0
    .kernarg_segment_align: 8
    .kernarg_segment_size: 176
    .language:       OpenCL C
    .language_version:
      - 2
      - 0
    .max_flat_workgroup_size: 256
    .name:           _ZN7rocprim17ROCPRIM_400000_NS6detail17trampoline_kernelINS0_13select_configILj256ELj13ELNS0_17block_load_methodE3ELS4_3ELS4_3ELNS0_20block_scan_algorithmE0ELj4294967295EEENS1_25partition_config_selectorILNS1_17partition_subalgoE4EjNS0_10empty_typeEbEEZZNS1_14partition_implILS8_4ELb0ES6_15HIP_vector_typeIjLj2EENS0_17counting_iteratorIjlEEPS9_SG_NS0_5tupleIJPjSI_NS0_16reverse_iteratorISI_EEEEENSH_IJSG_SG_SG_EEES9_SI_JZNS1_25segmented_radix_sort_implINS0_14default_configELb0EPKdPdPKlPlN2at6native12_GLOBAL__N_18offset_tEEE10hipError_tPvRmT1_PNSt15iterator_traitsIS12_E10value_typeET2_T3_PNS13_IS18_E10value_typeET4_jRbjT5_S1E_jjP12ihipStream_tbEUljE_ZNSN_ISO_Lb0ESQ_SR_ST_SU_SY_EESZ_S10_S11_S12_S16_S17_S18_S1B_S1C_jS1D_jS1E_S1E_jjS1G_bEUljE0_EEESZ_S10_S11_S18_S1C_S1E_T6_T7_T9_mT8_S1G_bDpT10_ENKUlT_T0_E_clISt17integral_constantIbLb0EES1U_EEDaS1P_S1Q_EUlS1P_E_NS1_11comp_targetILNS1_3genE3ELNS1_11target_archE908ELNS1_3gpuE7ELNS1_3repE0EEENS1_30default_config_static_selectorELNS0_4arch9wavefront6targetE1EEEvS12_
    .private_segment_fixed_size: 0
    .sgpr_count:     4
    .sgpr_spill_count: 0
    .symbol:         _ZN7rocprim17ROCPRIM_400000_NS6detail17trampoline_kernelINS0_13select_configILj256ELj13ELNS0_17block_load_methodE3ELS4_3ELS4_3ELNS0_20block_scan_algorithmE0ELj4294967295EEENS1_25partition_config_selectorILNS1_17partition_subalgoE4EjNS0_10empty_typeEbEEZZNS1_14partition_implILS8_4ELb0ES6_15HIP_vector_typeIjLj2EENS0_17counting_iteratorIjlEEPS9_SG_NS0_5tupleIJPjSI_NS0_16reverse_iteratorISI_EEEEENSH_IJSG_SG_SG_EEES9_SI_JZNS1_25segmented_radix_sort_implINS0_14default_configELb0EPKdPdPKlPlN2at6native12_GLOBAL__N_18offset_tEEE10hipError_tPvRmT1_PNSt15iterator_traitsIS12_E10value_typeET2_T3_PNS13_IS18_E10value_typeET4_jRbjT5_S1E_jjP12ihipStream_tbEUljE_ZNSN_ISO_Lb0ESQ_SR_ST_SU_SY_EESZ_S10_S11_S12_S16_S17_S18_S1B_S1C_jS1D_jS1E_S1E_jjS1G_bEUljE0_EEESZ_S10_S11_S18_S1C_S1E_T6_T7_T9_mT8_S1G_bDpT10_ENKUlT_T0_E_clISt17integral_constantIbLb0EES1U_EEDaS1P_S1Q_EUlS1P_E_NS1_11comp_targetILNS1_3genE3ELNS1_11target_archE908ELNS1_3gpuE7ELNS1_3repE0EEENS1_30default_config_static_selectorELNS0_4arch9wavefront6targetE1EEEvS12_.kd
    .uniform_work_group_size: 1
    .uses_dynamic_stack: false
    .vgpr_count:     0
    .vgpr_spill_count: 0
    .wavefront_size: 64
  - .args:
      - .offset:         0
        .size:           176
        .value_kind:     by_value
    .group_segment_fixed_size: 13328
    .kernarg_segment_align: 8
    .kernarg_segment_size: 176
    .language:       OpenCL C
    .language_version:
      - 2
      - 0
    .max_flat_workgroup_size: 256
    .name:           _ZN7rocprim17ROCPRIM_400000_NS6detail17trampoline_kernelINS0_13select_configILj256ELj13ELNS0_17block_load_methodE3ELS4_3ELS4_3ELNS0_20block_scan_algorithmE0ELj4294967295EEENS1_25partition_config_selectorILNS1_17partition_subalgoE4EjNS0_10empty_typeEbEEZZNS1_14partition_implILS8_4ELb0ES6_15HIP_vector_typeIjLj2EENS0_17counting_iteratorIjlEEPS9_SG_NS0_5tupleIJPjSI_NS0_16reverse_iteratorISI_EEEEENSH_IJSG_SG_SG_EEES9_SI_JZNS1_25segmented_radix_sort_implINS0_14default_configELb0EPKdPdPKlPlN2at6native12_GLOBAL__N_18offset_tEEE10hipError_tPvRmT1_PNSt15iterator_traitsIS12_E10value_typeET2_T3_PNS13_IS18_E10value_typeET4_jRbjT5_S1E_jjP12ihipStream_tbEUljE_ZNSN_ISO_Lb0ESQ_SR_ST_SU_SY_EESZ_S10_S11_S12_S16_S17_S18_S1B_S1C_jS1D_jS1E_S1E_jjS1G_bEUljE0_EEESZ_S10_S11_S18_S1C_S1E_T6_T7_T9_mT8_S1G_bDpT10_ENKUlT_T0_E_clISt17integral_constantIbLb0EES1U_EEDaS1P_S1Q_EUlS1P_E_NS1_11comp_targetILNS1_3genE2ELNS1_11target_archE906ELNS1_3gpuE6ELNS1_3repE0EEENS1_30default_config_static_selectorELNS0_4arch9wavefront6targetE1EEEvS12_
    .private_segment_fixed_size: 0
    .sgpr_count:     94
    .sgpr_spill_count: 0
    .symbol:         _ZN7rocprim17ROCPRIM_400000_NS6detail17trampoline_kernelINS0_13select_configILj256ELj13ELNS0_17block_load_methodE3ELS4_3ELS4_3ELNS0_20block_scan_algorithmE0ELj4294967295EEENS1_25partition_config_selectorILNS1_17partition_subalgoE4EjNS0_10empty_typeEbEEZZNS1_14partition_implILS8_4ELb0ES6_15HIP_vector_typeIjLj2EENS0_17counting_iteratorIjlEEPS9_SG_NS0_5tupleIJPjSI_NS0_16reverse_iteratorISI_EEEEENSH_IJSG_SG_SG_EEES9_SI_JZNS1_25segmented_radix_sort_implINS0_14default_configELb0EPKdPdPKlPlN2at6native12_GLOBAL__N_18offset_tEEE10hipError_tPvRmT1_PNSt15iterator_traitsIS12_E10value_typeET2_T3_PNS13_IS18_E10value_typeET4_jRbjT5_S1E_jjP12ihipStream_tbEUljE_ZNSN_ISO_Lb0ESQ_SR_ST_SU_SY_EESZ_S10_S11_S12_S16_S17_S18_S1B_S1C_jS1D_jS1E_S1E_jjS1G_bEUljE0_EEESZ_S10_S11_S18_S1C_S1E_T6_T7_T9_mT8_S1G_bDpT10_ENKUlT_T0_E_clISt17integral_constantIbLb0EES1U_EEDaS1P_S1Q_EUlS1P_E_NS1_11comp_targetILNS1_3genE2ELNS1_11target_archE906ELNS1_3gpuE6ELNS1_3repE0EEENS1_30default_config_static_selectorELNS0_4arch9wavefront6targetE1EEEvS12_.kd
    .uniform_work_group_size: 1
    .uses_dynamic_stack: false
    .vgpr_count:     86
    .vgpr_spill_count: 0
    .wavefront_size: 64
  - .args:
      - .offset:         0
        .size:           176
        .value_kind:     by_value
    .group_segment_fixed_size: 0
    .kernarg_segment_align: 8
    .kernarg_segment_size: 176
    .language:       OpenCL C
    .language_version:
      - 2
      - 0
    .max_flat_workgroup_size: 256
    .name:           _ZN7rocprim17ROCPRIM_400000_NS6detail17trampoline_kernelINS0_13select_configILj256ELj13ELNS0_17block_load_methodE3ELS4_3ELS4_3ELNS0_20block_scan_algorithmE0ELj4294967295EEENS1_25partition_config_selectorILNS1_17partition_subalgoE4EjNS0_10empty_typeEbEEZZNS1_14partition_implILS8_4ELb0ES6_15HIP_vector_typeIjLj2EENS0_17counting_iteratorIjlEEPS9_SG_NS0_5tupleIJPjSI_NS0_16reverse_iteratorISI_EEEEENSH_IJSG_SG_SG_EEES9_SI_JZNS1_25segmented_radix_sort_implINS0_14default_configELb0EPKdPdPKlPlN2at6native12_GLOBAL__N_18offset_tEEE10hipError_tPvRmT1_PNSt15iterator_traitsIS12_E10value_typeET2_T3_PNS13_IS18_E10value_typeET4_jRbjT5_S1E_jjP12ihipStream_tbEUljE_ZNSN_ISO_Lb0ESQ_SR_ST_SU_SY_EESZ_S10_S11_S12_S16_S17_S18_S1B_S1C_jS1D_jS1E_S1E_jjS1G_bEUljE0_EEESZ_S10_S11_S18_S1C_S1E_T6_T7_T9_mT8_S1G_bDpT10_ENKUlT_T0_E_clISt17integral_constantIbLb0EES1U_EEDaS1P_S1Q_EUlS1P_E_NS1_11comp_targetILNS1_3genE10ELNS1_11target_archE1200ELNS1_3gpuE4ELNS1_3repE0EEENS1_30default_config_static_selectorELNS0_4arch9wavefront6targetE1EEEvS12_
    .private_segment_fixed_size: 0
    .sgpr_count:     4
    .sgpr_spill_count: 0
    .symbol:         _ZN7rocprim17ROCPRIM_400000_NS6detail17trampoline_kernelINS0_13select_configILj256ELj13ELNS0_17block_load_methodE3ELS4_3ELS4_3ELNS0_20block_scan_algorithmE0ELj4294967295EEENS1_25partition_config_selectorILNS1_17partition_subalgoE4EjNS0_10empty_typeEbEEZZNS1_14partition_implILS8_4ELb0ES6_15HIP_vector_typeIjLj2EENS0_17counting_iteratorIjlEEPS9_SG_NS0_5tupleIJPjSI_NS0_16reverse_iteratorISI_EEEEENSH_IJSG_SG_SG_EEES9_SI_JZNS1_25segmented_radix_sort_implINS0_14default_configELb0EPKdPdPKlPlN2at6native12_GLOBAL__N_18offset_tEEE10hipError_tPvRmT1_PNSt15iterator_traitsIS12_E10value_typeET2_T3_PNS13_IS18_E10value_typeET4_jRbjT5_S1E_jjP12ihipStream_tbEUljE_ZNSN_ISO_Lb0ESQ_SR_ST_SU_SY_EESZ_S10_S11_S12_S16_S17_S18_S1B_S1C_jS1D_jS1E_S1E_jjS1G_bEUljE0_EEESZ_S10_S11_S18_S1C_S1E_T6_T7_T9_mT8_S1G_bDpT10_ENKUlT_T0_E_clISt17integral_constantIbLb0EES1U_EEDaS1P_S1Q_EUlS1P_E_NS1_11comp_targetILNS1_3genE10ELNS1_11target_archE1200ELNS1_3gpuE4ELNS1_3repE0EEENS1_30default_config_static_selectorELNS0_4arch9wavefront6targetE1EEEvS12_.kd
    .uniform_work_group_size: 1
    .uses_dynamic_stack: false
    .vgpr_count:     0
    .vgpr_spill_count: 0
    .wavefront_size: 64
  - .args:
      - .offset:         0
        .size:           176
        .value_kind:     by_value
    .group_segment_fixed_size: 0
    .kernarg_segment_align: 8
    .kernarg_segment_size: 176
    .language:       OpenCL C
    .language_version:
      - 2
      - 0
    .max_flat_workgroup_size: 256
    .name:           _ZN7rocprim17ROCPRIM_400000_NS6detail17trampoline_kernelINS0_13select_configILj256ELj13ELNS0_17block_load_methodE3ELS4_3ELS4_3ELNS0_20block_scan_algorithmE0ELj4294967295EEENS1_25partition_config_selectorILNS1_17partition_subalgoE4EjNS0_10empty_typeEbEEZZNS1_14partition_implILS8_4ELb0ES6_15HIP_vector_typeIjLj2EENS0_17counting_iteratorIjlEEPS9_SG_NS0_5tupleIJPjSI_NS0_16reverse_iteratorISI_EEEEENSH_IJSG_SG_SG_EEES9_SI_JZNS1_25segmented_radix_sort_implINS0_14default_configELb0EPKdPdPKlPlN2at6native12_GLOBAL__N_18offset_tEEE10hipError_tPvRmT1_PNSt15iterator_traitsIS12_E10value_typeET2_T3_PNS13_IS18_E10value_typeET4_jRbjT5_S1E_jjP12ihipStream_tbEUljE_ZNSN_ISO_Lb0ESQ_SR_ST_SU_SY_EESZ_S10_S11_S12_S16_S17_S18_S1B_S1C_jS1D_jS1E_S1E_jjS1G_bEUljE0_EEESZ_S10_S11_S18_S1C_S1E_T6_T7_T9_mT8_S1G_bDpT10_ENKUlT_T0_E_clISt17integral_constantIbLb0EES1U_EEDaS1P_S1Q_EUlS1P_E_NS1_11comp_targetILNS1_3genE9ELNS1_11target_archE1100ELNS1_3gpuE3ELNS1_3repE0EEENS1_30default_config_static_selectorELNS0_4arch9wavefront6targetE1EEEvS12_
    .private_segment_fixed_size: 0
    .sgpr_count:     4
    .sgpr_spill_count: 0
    .symbol:         _ZN7rocprim17ROCPRIM_400000_NS6detail17trampoline_kernelINS0_13select_configILj256ELj13ELNS0_17block_load_methodE3ELS4_3ELS4_3ELNS0_20block_scan_algorithmE0ELj4294967295EEENS1_25partition_config_selectorILNS1_17partition_subalgoE4EjNS0_10empty_typeEbEEZZNS1_14partition_implILS8_4ELb0ES6_15HIP_vector_typeIjLj2EENS0_17counting_iteratorIjlEEPS9_SG_NS0_5tupleIJPjSI_NS0_16reverse_iteratorISI_EEEEENSH_IJSG_SG_SG_EEES9_SI_JZNS1_25segmented_radix_sort_implINS0_14default_configELb0EPKdPdPKlPlN2at6native12_GLOBAL__N_18offset_tEEE10hipError_tPvRmT1_PNSt15iterator_traitsIS12_E10value_typeET2_T3_PNS13_IS18_E10value_typeET4_jRbjT5_S1E_jjP12ihipStream_tbEUljE_ZNSN_ISO_Lb0ESQ_SR_ST_SU_SY_EESZ_S10_S11_S12_S16_S17_S18_S1B_S1C_jS1D_jS1E_S1E_jjS1G_bEUljE0_EEESZ_S10_S11_S18_S1C_S1E_T6_T7_T9_mT8_S1G_bDpT10_ENKUlT_T0_E_clISt17integral_constantIbLb0EES1U_EEDaS1P_S1Q_EUlS1P_E_NS1_11comp_targetILNS1_3genE9ELNS1_11target_archE1100ELNS1_3gpuE3ELNS1_3repE0EEENS1_30default_config_static_selectorELNS0_4arch9wavefront6targetE1EEEvS12_.kd
    .uniform_work_group_size: 1
    .uses_dynamic_stack: false
    .vgpr_count:     0
    .vgpr_spill_count: 0
    .wavefront_size: 64
  - .args:
      - .offset:         0
        .size:           176
        .value_kind:     by_value
    .group_segment_fixed_size: 0
    .kernarg_segment_align: 8
    .kernarg_segment_size: 176
    .language:       OpenCL C
    .language_version:
      - 2
      - 0
    .max_flat_workgroup_size: 256
    .name:           _ZN7rocprim17ROCPRIM_400000_NS6detail17trampoline_kernelINS0_13select_configILj256ELj13ELNS0_17block_load_methodE3ELS4_3ELS4_3ELNS0_20block_scan_algorithmE0ELj4294967295EEENS1_25partition_config_selectorILNS1_17partition_subalgoE4EjNS0_10empty_typeEbEEZZNS1_14partition_implILS8_4ELb0ES6_15HIP_vector_typeIjLj2EENS0_17counting_iteratorIjlEEPS9_SG_NS0_5tupleIJPjSI_NS0_16reverse_iteratorISI_EEEEENSH_IJSG_SG_SG_EEES9_SI_JZNS1_25segmented_radix_sort_implINS0_14default_configELb0EPKdPdPKlPlN2at6native12_GLOBAL__N_18offset_tEEE10hipError_tPvRmT1_PNSt15iterator_traitsIS12_E10value_typeET2_T3_PNS13_IS18_E10value_typeET4_jRbjT5_S1E_jjP12ihipStream_tbEUljE_ZNSN_ISO_Lb0ESQ_SR_ST_SU_SY_EESZ_S10_S11_S12_S16_S17_S18_S1B_S1C_jS1D_jS1E_S1E_jjS1G_bEUljE0_EEESZ_S10_S11_S18_S1C_S1E_T6_T7_T9_mT8_S1G_bDpT10_ENKUlT_T0_E_clISt17integral_constantIbLb0EES1U_EEDaS1P_S1Q_EUlS1P_E_NS1_11comp_targetILNS1_3genE8ELNS1_11target_archE1030ELNS1_3gpuE2ELNS1_3repE0EEENS1_30default_config_static_selectorELNS0_4arch9wavefront6targetE1EEEvS12_
    .private_segment_fixed_size: 0
    .sgpr_count:     4
    .sgpr_spill_count: 0
    .symbol:         _ZN7rocprim17ROCPRIM_400000_NS6detail17trampoline_kernelINS0_13select_configILj256ELj13ELNS0_17block_load_methodE3ELS4_3ELS4_3ELNS0_20block_scan_algorithmE0ELj4294967295EEENS1_25partition_config_selectorILNS1_17partition_subalgoE4EjNS0_10empty_typeEbEEZZNS1_14partition_implILS8_4ELb0ES6_15HIP_vector_typeIjLj2EENS0_17counting_iteratorIjlEEPS9_SG_NS0_5tupleIJPjSI_NS0_16reverse_iteratorISI_EEEEENSH_IJSG_SG_SG_EEES9_SI_JZNS1_25segmented_radix_sort_implINS0_14default_configELb0EPKdPdPKlPlN2at6native12_GLOBAL__N_18offset_tEEE10hipError_tPvRmT1_PNSt15iterator_traitsIS12_E10value_typeET2_T3_PNS13_IS18_E10value_typeET4_jRbjT5_S1E_jjP12ihipStream_tbEUljE_ZNSN_ISO_Lb0ESQ_SR_ST_SU_SY_EESZ_S10_S11_S12_S16_S17_S18_S1B_S1C_jS1D_jS1E_S1E_jjS1G_bEUljE0_EEESZ_S10_S11_S18_S1C_S1E_T6_T7_T9_mT8_S1G_bDpT10_ENKUlT_T0_E_clISt17integral_constantIbLb0EES1U_EEDaS1P_S1Q_EUlS1P_E_NS1_11comp_targetILNS1_3genE8ELNS1_11target_archE1030ELNS1_3gpuE2ELNS1_3repE0EEENS1_30default_config_static_selectorELNS0_4arch9wavefront6targetE1EEEvS12_.kd
    .uniform_work_group_size: 1
    .uses_dynamic_stack: false
    .vgpr_count:     0
    .vgpr_spill_count: 0
    .wavefront_size: 64
  - .args:
      - .offset:         0
        .size:           184
        .value_kind:     by_value
    .group_segment_fixed_size: 0
    .kernarg_segment_align: 8
    .kernarg_segment_size: 184
    .language:       OpenCL C
    .language_version:
      - 2
      - 0
    .max_flat_workgroup_size: 256
    .name:           _ZN7rocprim17ROCPRIM_400000_NS6detail17trampoline_kernelINS0_13select_configILj256ELj13ELNS0_17block_load_methodE3ELS4_3ELS4_3ELNS0_20block_scan_algorithmE0ELj4294967295EEENS1_25partition_config_selectorILNS1_17partition_subalgoE4EjNS0_10empty_typeEbEEZZNS1_14partition_implILS8_4ELb0ES6_15HIP_vector_typeIjLj2EENS0_17counting_iteratorIjlEEPS9_SG_NS0_5tupleIJPjSI_NS0_16reverse_iteratorISI_EEEEENSH_IJSG_SG_SG_EEES9_SI_JZNS1_25segmented_radix_sort_implINS0_14default_configELb0EPKdPdPKlPlN2at6native12_GLOBAL__N_18offset_tEEE10hipError_tPvRmT1_PNSt15iterator_traitsIS12_E10value_typeET2_T3_PNS13_IS18_E10value_typeET4_jRbjT5_S1E_jjP12ihipStream_tbEUljE_ZNSN_ISO_Lb0ESQ_SR_ST_SU_SY_EESZ_S10_S11_S12_S16_S17_S18_S1B_S1C_jS1D_jS1E_S1E_jjS1G_bEUljE0_EEESZ_S10_S11_S18_S1C_S1E_T6_T7_T9_mT8_S1G_bDpT10_ENKUlT_T0_E_clISt17integral_constantIbLb1EES1U_EEDaS1P_S1Q_EUlS1P_E_NS1_11comp_targetILNS1_3genE0ELNS1_11target_archE4294967295ELNS1_3gpuE0ELNS1_3repE0EEENS1_30default_config_static_selectorELNS0_4arch9wavefront6targetE1EEEvS12_
    .private_segment_fixed_size: 0
    .sgpr_count:     4
    .sgpr_spill_count: 0
    .symbol:         _ZN7rocprim17ROCPRIM_400000_NS6detail17trampoline_kernelINS0_13select_configILj256ELj13ELNS0_17block_load_methodE3ELS4_3ELS4_3ELNS0_20block_scan_algorithmE0ELj4294967295EEENS1_25partition_config_selectorILNS1_17partition_subalgoE4EjNS0_10empty_typeEbEEZZNS1_14partition_implILS8_4ELb0ES6_15HIP_vector_typeIjLj2EENS0_17counting_iteratorIjlEEPS9_SG_NS0_5tupleIJPjSI_NS0_16reverse_iteratorISI_EEEEENSH_IJSG_SG_SG_EEES9_SI_JZNS1_25segmented_radix_sort_implINS0_14default_configELb0EPKdPdPKlPlN2at6native12_GLOBAL__N_18offset_tEEE10hipError_tPvRmT1_PNSt15iterator_traitsIS12_E10value_typeET2_T3_PNS13_IS18_E10value_typeET4_jRbjT5_S1E_jjP12ihipStream_tbEUljE_ZNSN_ISO_Lb0ESQ_SR_ST_SU_SY_EESZ_S10_S11_S12_S16_S17_S18_S1B_S1C_jS1D_jS1E_S1E_jjS1G_bEUljE0_EEESZ_S10_S11_S18_S1C_S1E_T6_T7_T9_mT8_S1G_bDpT10_ENKUlT_T0_E_clISt17integral_constantIbLb1EES1U_EEDaS1P_S1Q_EUlS1P_E_NS1_11comp_targetILNS1_3genE0ELNS1_11target_archE4294967295ELNS1_3gpuE0ELNS1_3repE0EEENS1_30default_config_static_selectorELNS0_4arch9wavefront6targetE1EEEvS12_.kd
    .uniform_work_group_size: 1
    .uses_dynamic_stack: false
    .vgpr_count:     0
    .vgpr_spill_count: 0
    .wavefront_size: 64
  - .args:
      - .offset:         0
        .size:           184
        .value_kind:     by_value
    .group_segment_fixed_size: 0
    .kernarg_segment_align: 8
    .kernarg_segment_size: 184
    .language:       OpenCL C
    .language_version:
      - 2
      - 0
    .max_flat_workgroup_size: 256
    .name:           _ZN7rocprim17ROCPRIM_400000_NS6detail17trampoline_kernelINS0_13select_configILj256ELj13ELNS0_17block_load_methodE3ELS4_3ELS4_3ELNS0_20block_scan_algorithmE0ELj4294967295EEENS1_25partition_config_selectorILNS1_17partition_subalgoE4EjNS0_10empty_typeEbEEZZNS1_14partition_implILS8_4ELb0ES6_15HIP_vector_typeIjLj2EENS0_17counting_iteratorIjlEEPS9_SG_NS0_5tupleIJPjSI_NS0_16reverse_iteratorISI_EEEEENSH_IJSG_SG_SG_EEES9_SI_JZNS1_25segmented_radix_sort_implINS0_14default_configELb0EPKdPdPKlPlN2at6native12_GLOBAL__N_18offset_tEEE10hipError_tPvRmT1_PNSt15iterator_traitsIS12_E10value_typeET2_T3_PNS13_IS18_E10value_typeET4_jRbjT5_S1E_jjP12ihipStream_tbEUljE_ZNSN_ISO_Lb0ESQ_SR_ST_SU_SY_EESZ_S10_S11_S12_S16_S17_S18_S1B_S1C_jS1D_jS1E_S1E_jjS1G_bEUljE0_EEESZ_S10_S11_S18_S1C_S1E_T6_T7_T9_mT8_S1G_bDpT10_ENKUlT_T0_E_clISt17integral_constantIbLb1EES1U_EEDaS1P_S1Q_EUlS1P_E_NS1_11comp_targetILNS1_3genE5ELNS1_11target_archE942ELNS1_3gpuE9ELNS1_3repE0EEENS1_30default_config_static_selectorELNS0_4arch9wavefront6targetE1EEEvS12_
    .private_segment_fixed_size: 0
    .sgpr_count:     4
    .sgpr_spill_count: 0
    .symbol:         _ZN7rocprim17ROCPRIM_400000_NS6detail17trampoline_kernelINS0_13select_configILj256ELj13ELNS0_17block_load_methodE3ELS4_3ELS4_3ELNS0_20block_scan_algorithmE0ELj4294967295EEENS1_25partition_config_selectorILNS1_17partition_subalgoE4EjNS0_10empty_typeEbEEZZNS1_14partition_implILS8_4ELb0ES6_15HIP_vector_typeIjLj2EENS0_17counting_iteratorIjlEEPS9_SG_NS0_5tupleIJPjSI_NS0_16reverse_iteratorISI_EEEEENSH_IJSG_SG_SG_EEES9_SI_JZNS1_25segmented_radix_sort_implINS0_14default_configELb0EPKdPdPKlPlN2at6native12_GLOBAL__N_18offset_tEEE10hipError_tPvRmT1_PNSt15iterator_traitsIS12_E10value_typeET2_T3_PNS13_IS18_E10value_typeET4_jRbjT5_S1E_jjP12ihipStream_tbEUljE_ZNSN_ISO_Lb0ESQ_SR_ST_SU_SY_EESZ_S10_S11_S12_S16_S17_S18_S1B_S1C_jS1D_jS1E_S1E_jjS1G_bEUljE0_EEESZ_S10_S11_S18_S1C_S1E_T6_T7_T9_mT8_S1G_bDpT10_ENKUlT_T0_E_clISt17integral_constantIbLb1EES1U_EEDaS1P_S1Q_EUlS1P_E_NS1_11comp_targetILNS1_3genE5ELNS1_11target_archE942ELNS1_3gpuE9ELNS1_3repE0EEENS1_30default_config_static_selectorELNS0_4arch9wavefront6targetE1EEEvS12_.kd
    .uniform_work_group_size: 1
    .uses_dynamic_stack: false
    .vgpr_count:     0
    .vgpr_spill_count: 0
    .wavefront_size: 64
  - .args:
      - .offset:         0
        .size:           184
        .value_kind:     by_value
    .group_segment_fixed_size: 0
    .kernarg_segment_align: 8
    .kernarg_segment_size: 184
    .language:       OpenCL C
    .language_version:
      - 2
      - 0
    .max_flat_workgroup_size: 256
    .name:           _ZN7rocprim17ROCPRIM_400000_NS6detail17trampoline_kernelINS0_13select_configILj256ELj13ELNS0_17block_load_methodE3ELS4_3ELS4_3ELNS0_20block_scan_algorithmE0ELj4294967295EEENS1_25partition_config_selectorILNS1_17partition_subalgoE4EjNS0_10empty_typeEbEEZZNS1_14partition_implILS8_4ELb0ES6_15HIP_vector_typeIjLj2EENS0_17counting_iteratorIjlEEPS9_SG_NS0_5tupleIJPjSI_NS0_16reverse_iteratorISI_EEEEENSH_IJSG_SG_SG_EEES9_SI_JZNS1_25segmented_radix_sort_implINS0_14default_configELb0EPKdPdPKlPlN2at6native12_GLOBAL__N_18offset_tEEE10hipError_tPvRmT1_PNSt15iterator_traitsIS12_E10value_typeET2_T3_PNS13_IS18_E10value_typeET4_jRbjT5_S1E_jjP12ihipStream_tbEUljE_ZNSN_ISO_Lb0ESQ_SR_ST_SU_SY_EESZ_S10_S11_S12_S16_S17_S18_S1B_S1C_jS1D_jS1E_S1E_jjS1G_bEUljE0_EEESZ_S10_S11_S18_S1C_S1E_T6_T7_T9_mT8_S1G_bDpT10_ENKUlT_T0_E_clISt17integral_constantIbLb1EES1U_EEDaS1P_S1Q_EUlS1P_E_NS1_11comp_targetILNS1_3genE4ELNS1_11target_archE910ELNS1_3gpuE8ELNS1_3repE0EEENS1_30default_config_static_selectorELNS0_4arch9wavefront6targetE1EEEvS12_
    .private_segment_fixed_size: 0
    .sgpr_count:     4
    .sgpr_spill_count: 0
    .symbol:         _ZN7rocprim17ROCPRIM_400000_NS6detail17trampoline_kernelINS0_13select_configILj256ELj13ELNS0_17block_load_methodE3ELS4_3ELS4_3ELNS0_20block_scan_algorithmE0ELj4294967295EEENS1_25partition_config_selectorILNS1_17partition_subalgoE4EjNS0_10empty_typeEbEEZZNS1_14partition_implILS8_4ELb0ES6_15HIP_vector_typeIjLj2EENS0_17counting_iteratorIjlEEPS9_SG_NS0_5tupleIJPjSI_NS0_16reverse_iteratorISI_EEEEENSH_IJSG_SG_SG_EEES9_SI_JZNS1_25segmented_radix_sort_implINS0_14default_configELb0EPKdPdPKlPlN2at6native12_GLOBAL__N_18offset_tEEE10hipError_tPvRmT1_PNSt15iterator_traitsIS12_E10value_typeET2_T3_PNS13_IS18_E10value_typeET4_jRbjT5_S1E_jjP12ihipStream_tbEUljE_ZNSN_ISO_Lb0ESQ_SR_ST_SU_SY_EESZ_S10_S11_S12_S16_S17_S18_S1B_S1C_jS1D_jS1E_S1E_jjS1G_bEUljE0_EEESZ_S10_S11_S18_S1C_S1E_T6_T7_T9_mT8_S1G_bDpT10_ENKUlT_T0_E_clISt17integral_constantIbLb1EES1U_EEDaS1P_S1Q_EUlS1P_E_NS1_11comp_targetILNS1_3genE4ELNS1_11target_archE910ELNS1_3gpuE8ELNS1_3repE0EEENS1_30default_config_static_selectorELNS0_4arch9wavefront6targetE1EEEvS12_.kd
    .uniform_work_group_size: 1
    .uses_dynamic_stack: false
    .vgpr_count:     0
    .vgpr_spill_count: 0
    .wavefront_size: 64
  - .args:
      - .offset:         0
        .size:           184
        .value_kind:     by_value
    .group_segment_fixed_size: 0
    .kernarg_segment_align: 8
    .kernarg_segment_size: 184
    .language:       OpenCL C
    .language_version:
      - 2
      - 0
    .max_flat_workgroup_size: 256
    .name:           _ZN7rocprim17ROCPRIM_400000_NS6detail17trampoline_kernelINS0_13select_configILj256ELj13ELNS0_17block_load_methodE3ELS4_3ELS4_3ELNS0_20block_scan_algorithmE0ELj4294967295EEENS1_25partition_config_selectorILNS1_17partition_subalgoE4EjNS0_10empty_typeEbEEZZNS1_14partition_implILS8_4ELb0ES6_15HIP_vector_typeIjLj2EENS0_17counting_iteratorIjlEEPS9_SG_NS0_5tupleIJPjSI_NS0_16reverse_iteratorISI_EEEEENSH_IJSG_SG_SG_EEES9_SI_JZNS1_25segmented_radix_sort_implINS0_14default_configELb0EPKdPdPKlPlN2at6native12_GLOBAL__N_18offset_tEEE10hipError_tPvRmT1_PNSt15iterator_traitsIS12_E10value_typeET2_T3_PNS13_IS18_E10value_typeET4_jRbjT5_S1E_jjP12ihipStream_tbEUljE_ZNSN_ISO_Lb0ESQ_SR_ST_SU_SY_EESZ_S10_S11_S12_S16_S17_S18_S1B_S1C_jS1D_jS1E_S1E_jjS1G_bEUljE0_EEESZ_S10_S11_S18_S1C_S1E_T6_T7_T9_mT8_S1G_bDpT10_ENKUlT_T0_E_clISt17integral_constantIbLb1EES1U_EEDaS1P_S1Q_EUlS1P_E_NS1_11comp_targetILNS1_3genE3ELNS1_11target_archE908ELNS1_3gpuE7ELNS1_3repE0EEENS1_30default_config_static_selectorELNS0_4arch9wavefront6targetE1EEEvS12_
    .private_segment_fixed_size: 0
    .sgpr_count:     4
    .sgpr_spill_count: 0
    .symbol:         _ZN7rocprim17ROCPRIM_400000_NS6detail17trampoline_kernelINS0_13select_configILj256ELj13ELNS0_17block_load_methodE3ELS4_3ELS4_3ELNS0_20block_scan_algorithmE0ELj4294967295EEENS1_25partition_config_selectorILNS1_17partition_subalgoE4EjNS0_10empty_typeEbEEZZNS1_14partition_implILS8_4ELb0ES6_15HIP_vector_typeIjLj2EENS0_17counting_iteratorIjlEEPS9_SG_NS0_5tupleIJPjSI_NS0_16reverse_iteratorISI_EEEEENSH_IJSG_SG_SG_EEES9_SI_JZNS1_25segmented_radix_sort_implINS0_14default_configELb0EPKdPdPKlPlN2at6native12_GLOBAL__N_18offset_tEEE10hipError_tPvRmT1_PNSt15iterator_traitsIS12_E10value_typeET2_T3_PNS13_IS18_E10value_typeET4_jRbjT5_S1E_jjP12ihipStream_tbEUljE_ZNSN_ISO_Lb0ESQ_SR_ST_SU_SY_EESZ_S10_S11_S12_S16_S17_S18_S1B_S1C_jS1D_jS1E_S1E_jjS1G_bEUljE0_EEESZ_S10_S11_S18_S1C_S1E_T6_T7_T9_mT8_S1G_bDpT10_ENKUlT_T0_E_clISt17integral_constantIbLb1EES1U_EEDaS1P_S1Q_EUlS1P_E_NS1_11comp_targetILNS1_3genE3ELNS1_11target_archE908ELNS1_3gpuE7ELNS1_3repE0EEENS1_30default_config_static_selectorELNS0_4arch9wavefront6targetE1EEEvS12_.kd
    .uniform_work_group_size: 1
    .uses_dynamic_stack: false
    .vgpr_count:     0
    .vgpr_spill_count: 0
    .wavefront_size: 64
  - .args:
      - .offset:         0
        .size:           184
        .value_kind:     by_value
    .group_segment_fixed_size: 0
    .kernarg_segment_align: 8
    .kernarg_segment_size: 184
    .language:       OpenCL C
    .language_version:
      - 2
      - 0
    .max_flat_workgroup_size: 256
    .name:           _ZN7rocprim17ROCPRIM_400000_NS6detail17trampoline_kernelINS0_13select_configILj256ELj13ELNS0_17block_load_methodE3ELS4_3ELS4_3ELNS0_20block_scan_algorithmE0ELj4294967295EEENS1_25partition_config_selectorILNS1_17partition_subalgoE4EjNS0_10empty_typeEbEEZZNS1_14partition_implILS8_4ELb0ES6_15HIP_vector_typeIjLj2EENS0_17counting_iteratorIjlEEPS9_SG_NS0_5tupleIJPjSI_NS0_16reverse_iteratorISI_EEEEENSH_IJSG_SG_SG_EEES9_SI_JZNS1_25segmented_radix_sort_implINS0_14default_configELb0EPKdPdPKlPlN2at6native12_GLOBAL__N_18offset_tEEE10hipError_tPvRmT1_PNSt15iterator_traitsIS12_E10value_typeET2_T3_PNS13_IS18_E10value_typeET4_jRbjT5_S1E_jjP12ihipStream_tbEUljE_ZNSN_ISO_Lb0ESQ_SR_ST_SU_SY_EESZ_S10_S11_S12_S16_S17_S18_S1B_S1C_jS1D_jS1E_S1E_jjS1G_bEUljE0_EEESZ_S10_S11_S18_S1C_S1E_T6_T7_T9_mT8_S1G_bDpT10_ENKUlT_T0_E_clISt17integral_constantIbLb1EES1U_EEDaS1P_S1Q_EUlS1P_E_NS1_11comp_targetILNS1_3genE2ELNS1_11target_archE906ELNS1_3gpuE6ELNS1_3repE0EEENS1_30default_config_static_selectorELNS0_4arch9wavefront6targetE1EEEvS12_
    .private_segment_fixed_size: 0
    .sgpr_count:     4
    .sgpr_spill_count: 0
    .symbol:         _ZN7rocprim17ROCPRIM_400000_NS6detail17trampoline_kernelINS0_13select_configILj256ELj13ELNS0_17block_load_methodE3ELS4_3ELS4_3ELNS0_20block_scan_algorithmE0ELj4294967295EEENS1_25partition_config_selectorILNS1_17partition_subalgoE4EjNS0_10empty_typeEbEEZZNS1_14partition_implILS8_4ELb0ES6_15HIP_vector_typeIjLj2EENS0_17counting_iteratorIjlEEPS9_SG_NS0_5tupleIJPjSI_NS0_16reverse_iteratorISI_EEEEENSH_IJSG_SG_SG_EEES9_SI_JZNS1_25segmented_radix_sort_implINS0_14default_configELb0EPKdPdPKlPlN2at6native12_GLOBAL__N_18offset_tEEE10hipError_tPvRmT1_PNSt15iterator_traitsIS12_E10value_typeET2_T3_PNS13_IS18_E10value_typeET4_jRbjT5_S1E_jjP12ihipStream_tbEUljE_ZNSN_ISO_Lb0ESQ_SR_ST_SU_SY_EESZ_S10_S11_S12_S16_S17_S18_S1B_S1C_jS1D_jS1E_S1E_jjS1G_bEUljE0_EEESZ_S10_S11_S18_S1C_S1E_T6_T7_T9_mT8_S1G_bDpT10_ENKUlT_T0_E_clISt17integral_constantIbLb1EES1U_EEDaS1P_S1Q_EUlS1P_E_NS1_11comp_targetILNS1_3genE2ELNS1_11target_archE906ELNS1_3gpuE6ELNS1_3repE0EEENS1_30default_config_static_selectorELNS0_4arch9wavefront6targetE1EEEvS12_.kd
    .uniform_work_group_size: 1
    .uses_dynamic_stack: false
    .vgpr_count:     0
    .vgpr_spill_count: 0
    .wavefront_size: 64
  - .args:
      - .offset:         0
        .size:           184
        .value_kind:     by_value
    .group_segment_fixed_size: 0
    .kernarg_segment_align: 8
    .kernarg_segment_size: 184
    .language:       OpenCL C
    .language_version:
      - 2
      - 0
    .max_flat_workgroup_size: 256
    .name:           _ZN7rocprim17ROCPRIM_400000_NS6detail17trampoline_kernelINS0_13select_configILj256ELj13ELNS0_17block_load_methodE3ELS4_3ELS4_3ELNS0_20block_scan_algorithmE0ELj4294967295EEENS1_25partition_config_selectorILNS1_17partition_subalgoE4EjNS0_10empty_typeEbEEZZNS1_14partition_implILS8_4ELb0ES6_15HIP_vector_typeIjLj2EENS0_17counting_iteratorIjlEEPS9_SG_NS0_5tupleIJPjSI_NS0_16reverse_iteratorISI_EEEEENSH_IJSG_SG_SG_EEES9_SI_JZNS1_25segmented_radix_sort_implINS0_14default_configELb0EPKdPdPKlPlN2at6native12_GLOBAL__N_18offset_tEEE10hipError_tPvRmT1_PNSt15iterator_traitsIS12_E10value_typeET2_T3_PNS13_IS18_E10value_typeET4_jRbjT5_S1E_jjP12ihipStream_tbEUljE_ZNSN_ISO_Lb0ESQ_SR_ST_SU_SY_EESZ_S10_S11_S12_S16_S17_S18_S1B_S1C_jS1D_jS1E_S1E_jjS1G_bEUljE0_EEESZ_S10_S11_S18_S1C_S1E_T6_T7_T9_mT8_S1G_bDpT10_ENKUlT_T0_E_clISt17integral_constantIbLb1EES1U_EEDaS1P_S1Q_EUlS1P_E_NS1_11comp_targetILNS1_3genE10ELNS1_11target_archE1200ELNS1_3gpuE4ELNS1_3repE0EEENS1_30default_config_static_selectorELNS0_4arch9wavefront6targetE1EEEvS12_
    .private_segment_fixed_size: 0
    .sgpr_count:     4
    .sgpr_spill_count: 0
    .symbol:         _ZN7rocprim17ROCPRIM_400000_NS6detail17trampoline_kernelINS0_13select_configILj256ELj13ELNS0_17block_load_methodE3ELS4_3ELS4_3ELNS0_20block_scan_algorithmE0ELj4294967295EEENS1_25partition_config_selectorILNS1_17partition_subalgoE4EjNS0_10empty_typeEbEEZZNS1_14partition_implILS8_4ELb0ES6_15HIP_vector_typeIjLj2EENS0_17counting_iteratorIjlEEPS9_SG_NS0_5tupleIJPjSI_NS0_16reverse_iteratorISI_EEEEENSH_IJSG_SG_SG_EEES9_SI_JZNS1_25segmented_radix_sort_implINS0_14default_configELb0EPKdPdPKlPlN2at6native12_GLOBAL__N_18offset_tEEE10hipError_tPvRmT1_PNSt15iterator_traitsIS12_E10value_typeET2_T3_PNS13_IS18_E10value_typeET4_jRbjT5_S1E_jjP12ihipStream_tbEUljE_ZNSN_ISO_Lb0ESQ_SR_ST_SU_SY_EESZ_S10_S11_S12_S16_S17_S18_S1B_S1C_jS1D_jS1E_S1E_jjS1G_bEUljE0_EEESZ_S10_S11_S18_S1C_S1E_T6_T7_T9_mT8_S1G_bDpT10_ENKUlT_T0_E_clISt17integral_constantIbLb1EES1U_EEDaS1P_S1Q_EUlS1P_E_NS1_11comp_targetILNS1_3genE10ELNS1_11target_archE1200ELNS1_3gpuE4ELNS1_3repE0EEENS1_30default_config_static_selectorELNS0_4arch9wavefront6targetE1EEEvS12_.kd
    .uniform_work_group_size: 1
    .uses_dynamic_stack: false
    .vgpr_count:     0
    .vgpr_spill_count: 0
    .wavefront_size: 64
  - .args:
      - .offset:         0
        .size:           184
        .value_kind:     by_value
    .group_segment_fixed_size: 0
    .kernarg_segment_align: 8
    .kernarg_segment_size: 184
    .language:       OpenCL C
    .language_version:
      - 2
      - 0
    .max_flat_workgroup_size: 256
    .name:           _ZN7rocprim17ROCPRIM_400000_NS6detail17trampoline_kernelINS0_13select_configILj256ELj13ELNS0_17block_load_methodE3ELS4_3ELS4_3ELNS0_20block_scan_algorithmE0ELj4294967295EEENS1_25partition_config_selectorILNS1_17partition_subalgoE4EjNS0_10empty_typeEbEEZZNS1_14partition_implILS8_4ELb0ES6_15HIP_vector_typeIjLj2EENS0_17counting_iteratorIjlEEPS9_SG_NS0_5tupleIJPjSI_NS0_16reverse_iteratorISI_EEEEENSH_IJSG_SG_SG_EEES9_SI_JZNS1_25segmented_radix_sort_implINS0_14default_configELb0EPKdPdPKlPlN2at6native12_GLOBAL__N_18offset_tEEE10hipError_tPvRmT1_PNSt15iterator_traitsIS12_E10value_typeET2_T3_PNS13_IS18_E10value_typeET4_jRbjT5_S1E_jjP12ihipStream_tbEUljE_ZNSN_ISO_Lb0ESQ_SR_ST_SU_SY_EESZ_S10_S11_S12_S16_S17_S18_S1B_S1C_jS1D_jS1E_S1E_jjS1G_bEUljE0_EEESZ_S10_S11_S18_S1C_S1E_T6_T7_T9_mT8_S1G_bDpT10_ENKUlT_T0_E_clISt17integral_constantIbLb1EES1U_EEDaS1P_S1Q_EUlS1P_E_NS1_11comp_targetILNS1_3genE9ELNS1_11target_archE1100ELNS1_3gpuE3ELNS1_3repE0EEENS1_30default_config_static_selectorELNS0_4arch9wavefront6targetE1EEEvS12_
    .private_segment_fixed_size: 0
    .sgpr_count:     4
    .sgpr_spill_count: 0
    .symbol:         _ZN7rocprim17ROCPRIM_400000_NS6detail17trampoline_kernelINS0_13select_configILj256ELj13ELNS0_17block_load_methodE3ELS4_3ELS4_3ELNS0_20block_scan_algorithmE0ELj4294967295EEENS1_25partition_config_selectorILNS1_17partition_subalgoE4EjNS0_10empty_typeEbEEZZNS1_14partition_implILS8_4ELb0ES6_15HIP_vector_typeIjLj2EENS0_17counting_iteratorIjlEEPS9_SG_NS0_5tupleIJPjSI_NS0_16reverse_iteratorISI_EEEEENSH_IJSG_SG_SG_EEES9_SI_JZNS1_25segmented_radix_sort_implINS0_14default_configELb0EPKdPdPKlPlN2at6native12_GLOBAL__N_18offset_tEEE10hipError_tPvRmT1_PNSt15iterator_traitsIS12_E10value_typeET2_T3_PNS13_IS18_E10value_typeET4_jRbjT5_S1E_jjP12ihipStream_tbEUljE_ZNSN_ISO_Lb0ESQ_SR_ST_SU_SY_EESZ_S10_S11_S12_S16_S17_S18_S1B_S1C_jS1D_jS1E_S1E_jjS1G_bEUljE0_EEESZ_S10_S11_S18_S1C_S1E_T6_T7_T9_mT8_S1G_bDpT10_ENKUlT_T0_E_clISt17integral_constantIbLb1EES1U_EEDaS1P_S1Q_EUlS1P_E_NS1_11comp_targetILNS1_3genE9ELNS1_11target_archE1100ELNS1_3gpuE3ELNS1_3repE0EEENS1_30default_config_static_selectorELNS0_4arch9wavefront6targetE1EEEvS12_.kd
    .uniform_work_group_size: 1
    .uses_dynamic_stack: false
    .vgpr_count:     0
    .vgpr_spill_count: 0
    .wavefront_size: 64
  - .args:
      - .offset:         0
        .size:           184
        .value_kind:     by_value
    .group_segment_fixed_size: 0
    .kernarg_segment_align: 8
    .kernarg_segment_size: 184
    .language:       OpenCL C
    .language_version:
      - 2
      - 0
    .max_flat_workgroup_size: 256
    .name:           _ZN7rocprim17ROCPRIM_400000_NS6detail17trampoline_kernelINS0_13select_configILj256ELj13ELNS0_17block_load_methodE3ELS4_3ELS4_3ELNS0_20block_scan_algorithmE0ELj4294967295EEENS1_25partition_config_selectorILNS1_17partition_subalgoE4EjNS0_10empty_typeEbEEZZNS1_14partition_implILS8_4ELb0ES6_15HIP_vector_typeIjLj2EENS0_17counting_iteratorIjlEEPS9_SG_NS0_5tupleIJPjSI_NS0_16reverse_iteratorISI_EEEEENSH_IJSG_SG_SG_EEES9_SI_JZNS1_25segmented_radix_sort_implINS0_14default_configELb0EPKdPdPKlPlN2at6native12_GLOBAL__N_18offset_tEEE10hipError_tPvRmT1_PNSt15iterator_traitsIS12_E10value_typeET2_T3_PNS13_IS18_E10value_typeET4_jRbjT5_S1E_jjP12ihipStream_tbEUljE_ZNSN_ISO_Lb0ESQ_SR_ST_SU_SY_EESZ_S10_S11_S12_S16_S17_S18_S1B_S1C_jS1D_jS1E_S1E_jjS1G_bEUljE0_EEESZ_S10_S11_S18_S1C_S1E_T6_T7_T9_mT8_S1G_bDpT10_ENKUlT_T0_E_clISt17integral_constantIbLb1EES1U_EEDaS1P_S1Q_EUlS1P_E_NS1_11comp_targetILNS1_3genE8ELNS1_11target_archE1030ELNS1_3gpuE2ELNS1_3repE0EEENS1_30default_config_static_selectorELNS0_4arch9wavefront6targetE1EEEvS12_
    .private_segment_fixed_size: 0
    .sgpr_count:     4
    .sgpr_spill_count: 0
    .symbol:         _ZN7rocprim17ROCPRIM_400000_NS6detail17trampoline_kernelINS0_13select_configILj256ELj13ELNS0_17block_load_methodE3ELS4_3ELS4_3ELNS0_20block_scan_algorithmE0ELj4294967295EEENS1_25partition_config_selectorILNS1_17partition_subalgoE4EjNS0_10empty_typeEbEEZZNS1_14partition_implILS8_4ELb0ES6_15HIP_vector_typeIjLj2EENS0_17counting_iteratorIjlEEPS9_SG_NS0_5tupleIJPjSI_NS0_16reverse_iteratorISI_EEEEENSH_IJSG_SG_SG_EEES9_SI_JZNS1_25segmented_radix_sort_implINS0_14default_configELb0EPKdPdPKlPlN2at6native12_GLOBAL__N_18offset_tEEE10hipError_tPvRmT1_PNSt15iterator_traitsIS12_E10value_typeET2_T3_PNS13_IS18_E10value_typeET4_jRbjT5_S1E_jjP12ihipStream_tbEUljE_ZNSN_ISO_Lb0ESQ_SR_ST_SU_SY_EESZ_S10_S11_S12_S16_S17_S18_S1B_S1C_jS1D_jS1E_S1E_jjS1G_bEUljE0_EEESZ_S10_S11_S18_S1C_S1E_T6_T7_T9_mT8_S1G_bDpT10_ENKUlT_T0_E_clISt17integral_constantIbLb1EES1U_EEDaS1P_S1Q_EUlS1P_E_NS1_11comp_targetILNS1_3genE8ELNS1_11target_archE1030ELNS1_3gpuE2ELNS1_3repE0EEENS1_30default_config_static_selectorELNS0_4arch9wavefront6targetE1EEEvS12_.kd
    .uniform_work_group_size: 1
    .uses_dynamic_stack: false
    .vgpr_count:     0
    .vgpr_spill_count: 0
    .wavefront_size: 64
  - .args:
      - .offset:         0
        .size:           176
        .value_kind:     by_value
    .group_segment_fixed_size: 0
    .kernarg_segment_align: 8
    .kernarg_segment_size: 176
    .language:       OpenCL C
    .language_version:
      - 2
      - 0
    .max_flat_workgroup_size: 256
    .name:           _ZN7rocprim17ROCPRIM_400000_NS6detail17trampoline_kernelINS0_13select_configILj256ELj13ELNS0_17block_load_methodE3ELS4_3ELS4_3ELNS0_20block_scan_algorithmE0ELj4294967295EEENS1_25partition_config_selectorILNS1_17partition_subalgoE4EjNS0_10empty_typeEbEEZZNS1_14partition_implILS8_4ELb0ES6_15HIP_vector_typeIjLj2EENS0_17counting_iteratorIjlEEPS9_SG_NS0_5tupleIJPjSI_NS0_16reverse_iteratorISI_EEEEENSH_IJSG_SG_SG_EEES9_SI_JZNS1_25segmented_radix_sort_implINS0_14default_configELb0EPKdPdPKlPlN2at6native12_GLOBAL__N_18offset_tEEE10hipError_tPvRmT1_PNSt15iterator_traitsIS12_E10value_typeET2_T3_PNS13_IS18_E10value_typeET4_jRbjT5_S1E_jjP12ihipStream_tbEUljE_ZNSN_ISO_Lb0ESQ_SR_ST_SU_SY_EESZ_S10_S11_S12_S16_S17_S18_S1B_S1C_jS1D_jS1E_S1E_jjS1G_bEUljE0_EEESZ_S10_S11_S18_S1C_S1E_T6_T7_T9_mT8_S1G_bDpT10_ENKUlT_T0_E_clISt17integral_constantIbLb1EES1T_IbLb0EEEEDaS1P_S1Q_EUlS1P_E_NS1_11comp_targetILNS1_3genE0ELNS1_11target_archE4294967295ELNS1_3gpuE0ELNS1_3repE0EEENS1_30default_config_static_selectorELNS0_4arch9wavefront6targetE1EEEvS12_
    .private_segment_fixed_size: 0
    .sgpr_count:     4
    .sgpr_spill_count: 0
    .symbol:         _ZN7rocprim17ROCPRIM_400000_NS6detail17trampoline_kernelINS0_13select_configILj256ELj13ELNS0_17block_load_methodE3ELS4_3ELS4_3ELNS0_20block_scan_algorithmE0ELj4294967295EEENS1_25partition_config_selectorILNS1_17partition_subalgoE4EjNS0_10empty_typeEbEEZZNS1_14partition_implILS8_4ELb0ES6_15HIP_vector_typeIjLj2EENS0_17counting_iteratorIjlEEPS9_SG_NS0_5tupleIJPjSI_NS0_16reverse_iteratorISI_EEEEENSH_IJSG_SG_SG_EEES9_SI_JZNS1_25segmented_radix_sort_implINS0_14default_configELb0EPKdPdPKlPlN2at6native12_GLOBAL__N_18offset_tEEE10hipError_tPvRmT1_PNSt15iterator_traitsIS12_E10value_typeET2_T3_PNS13_IS18_E10value_typeET4_jRbjT5_S1E_jjP12ihipStream_tbEUljE_ZNSN_ISO_Lb0ESQ_SR_ST_SU_SY_EESZ_S10_S11_S12_S16_S17_S18_S1B_S1C_jS1D_jS1E_S1E_jjS1G_bEUljE0_EEESZ_S10_S11_S18_S1C_S1E_T6_T7_T9_mT8_S1G_bDpT10_ENKUlT_T0_E_clISt17integral_constantIbLb1EES1T_IbLb0EEEEDaS1P_S1Q_EUlS1P_E_NS1_11comp_targetILNS1_3genE0ELNS1_11target_archE4294967295ELNS1_3gpuE0ELNS1_3repE0EEENS1_30default_config_static_selectorELNS0_4arch9wavefront6targetE1EEEvS12_.kd
    .uniform_work_group_size: 1
    .uses_dynamic_stack: false
    .vgpr_count:     0
    .vgpr_spill_count: 0
    .wavefront_size: 64
  - .args:
      - .offset:         0
        .size:           176
        .value_kind:     by_value
    .group_segment_fixed_size: 0
    .kernarg_segment_align: 8
    .kernarg_segment_size: 176
    .language:       OpenCL C
    .language_version:
      - 2
      - 0
    .max_flat_workgroup_size: 256
    .name:           _ZN7rocprim17ROCPRIM_400000_NS6detail17trampoline_kernelINS0_13select_configILj256ELj13ELNS0_17block_load_methodE3ELS4_3ELS4_3ELNS0_20block_scan_algorithmE0ELj4294967295EEENS1_25partition_config_selectorILNS1_17partition_subalgoE4EjNS0_10empty_typeEbEEZZNS1_14partition_implILS8_4ELb0ES6_15HIP_vector_typeIjLj2EENS0_17counting_iteratorIjlEEPS9_SG_NS0_5tupleIJPjSI_NS0_16reverse_iteratorISI_EEEEENSH_IJSG_SG_SG_EEES9_SI_JZNS1_25segmented_radix_sort_implINS0_14default_configELb0EPKdPdPKlPlN2at6native12_GLOBAL__N_18offset_tEEE10hipError_tPvRmT1_PNSt15iterator_traitsIS12_E10value_typeET2_T3_PNS13_IS18_E10value_typeET4_jRbjT5_S1E_jjP12ihipStream_tbEUljE_ZNSN_ISO_Lb0ESQ_SR_ST_SU_SY_EESZ_S10_S11_S12_S16_S17_S18_S1B_S1C_jS1D_jS1E_S1E_jjS1G_bEUljE0_EEESZ_S10_S11_S18_S1C_S1E_T6_T7_T9_mT8_S1G_bDpT10_ENKUlT_T0_E_clISt17integral_constantIbLb1EES1T_IbLb0EEEEDaS1P_S1Q_EUlS1P_E_NS1_11comp_targetILNS1_3genE5ELNS1_11target_archE942ELNS1_3gpuE9ELNS1_3repE0EEENS1_30default_config_static_selectorELNS0_4arch9wavefront6targetE1EEEvS12_
    .private_segment_fixed_size: 0
    .sgpr_count:     4
    .sgpr_spill_count: 0
    .symbol:         _ZN7rocprim17ROCPRIM_400000_NS6detail17trampoline_kernelINS0_13select_configILj256ELj13ELNS0_17block_load_methodE3ELS4_3ELS4_3ELNS0_20block_scan_algorithmE0ELj4294967295EEENS1_25partition_config_selectorILNS1_17partition_subalgoE4EjNS0_10empty_typeEbEEZZNS1_14partition_implILS8_4ELb0ES6_15HIP_vector_typeIjLj2EENS0_17counting_iteratorIjlEEPS9_SG_NS0_5tupleIJPjSI_NS0_16reverse_iteratorISI_EEEEENSH_IJSG_SG_SG_EEES9_SI_JZNS1_25segmented_radix_sort_implINS0_14default_configELb0EPKdPdPKlPlN2at6native12_GLOBAL__N_18offset_tEEE10hipError_tPvRmT1_PNSt15iterator_traitsIS12_E10value_typeET2_T3_PNS13_IS18_E10value_typeET4_jRbjT5_S1E_jjP12ihipStream_tbEUljE_ZNSN_ISO_Lb0ESQ_SR_ST_SU_SY_EESZ_S10_S11_S12_S16_S17_S18_S1B_S1C_jS1D_jS1E_S1E_jjS1G_bEUljE0_EEESZ_S10_S11_S18_S1C_S1E_T6_T7_T9_mT8_S1G_bDpT10_ENKUlT_T0_E_clISt17integral_constantIbLb1EES1T_IbLb0EEEEDaS1P_S1Q_EUlS1P_E_NS1_11comp_targetILNS1_3genE5ELNS1_11target_archE942ELNS1_3gpuE9ELNS1_3repE0EEENS1_30default_config_static_selectorELNS0_4arch9wavefront6targetE1EEEvS12_.kd
    .uniform_work_group_size: 1
    .uses_dynamic_stack: false
    .vgpr_count:     0
    .vgpr_spill_count: 0
    .wavefront_size: 64
  - .args:
      - .offset:         0
        .size:           176
        .value_kind:     by_value
    .group_segment_fixed_size: 0
    .kernarg_segment_align: 8
    .kernarg_segment_size: 176
    .language:       OpenCL C
    .language_version:
      - 2
      - 0
    .max_flat_workgroup_size: 256
    .name:           _ZN7rocprim17ROCPRIM_400000_NS6detail17trampoline_kernelINS0_13select_configILj256ELj13ELNS0_17block_load_methodE3ELS4_3ELS4_3ELNS0_20block_scan_algorithmE0ELj4294967295EEENS1_25partition_config_selectorILNS1_17partition_subalgoE4EjNS0_10empty_typeEbEEZZNS1_14partition_implILS8_4ELb0ES6_15HIP_vector_typeIjLj2EENS0_17counting_iteratorIjlEEPS9_SG_NS0_5tupleIJPjSI_NS0_16reverse_iteratorISI_EEEEENSH_IJSG_SG_SG_EEES9_SI_JZNS1_25segmented_radix_sort_implINS0_14default_configELb0EPKdPdPKlPlN2at6native12_GLOBAL__N_18offset_tEEE10hipError_tPvRmT1_PNSt15iterator_traitsIS12_E10value_typeET2_T3_PNS13_IS18_E10value_typeET4_jRbjT5_S1E_jjP12ihipStream_tbEUljE_ZNSN_ISO_Lb0ESQ_SR_ST_SU_SY_EESZ_S10_S11_S12_S16_S17_S18_S1B_S1C_jS1D_jS1E_S1E_jjS1G_bEUljE0_EEESZ_S10_S11_S18_S1C_S1E_T6_T7_T9_mT8_S1G_bDpT10_ENKUlT_T0_E_clISt17integral_constantIbLb1EES1T_IbLb0EEEEDaS1P_S1Q_EUlS1P_E_NS1_11comp_targetILNS1_3genE4ELNS1_11target_archE910ELNS1_3gpuE8ELNS1_3repE0EEENS1_30default_config_static_selectorELNS0_4arch9wavefront6targetE1EEEvS12_
    .private_segment_fixed_size: 0
    .sgpr_count:     4
    .sgpr_spill_count: 0
    .symbol:         _ZN7rocprim17ROCPRIM_400000_NS6detail17trampoline_kernelINS0_13select_configILj256ELj13ELNS0_17block_load_methodE3ELS4_3ELS4_3ELNS0_20block_scan_algorithmE0ELj4294967295EEENS1_25partition_config_selectorILNS1_17partition_subalgoE4EjNS0_10empty_typeEbEEZZNS1_14partition_implILS8_4ELb0ES6_15HIP_vector_typeIjLj2EENS0_17counting_iteratorIjlEEPS9_SG_NS0_5tupleIJPjSI_NS0_16reverse_iteratorISI_EEEEENSH_IJSG_SG_SG_EEES9_SI_JZNS1_25segmented_radix_sort_implINS0_14default_configELb0EPKdPdPKlPlN2at6native12_GLOBAL__N_18offset_tEEE10hipError_tPvRmT1_PNSt15iterator_traitsIS12_E10value_typeET2_T3_PNS13_IS18_E10value_typeET4_jRbjT5_S1E_jjP12ihipStream_tbEUljE_ZNSN_ISO_Lb0ESQ_SR_ST_SU_SY_EESZ_S10_S11_S12_S16_S17_S18_S1B_S1C_jS1D_jS1E_S1E_jjS1G_bEUljE0_EEESZ_S10_S11_S18_S1C_S1E_T6_T7_T9_mT8_S1G_bDpT10_ENKUlT_T0_E_clISt17integral_constantIbLb1EES1T_IbLb0EEEEDaS1P_S1Q_EUlS1P_E_NS1_11comp_targetILNS1_3genE4ELNS1_11target_archE910ELNS1_3gpuE8ELNS1_3repE0EEENS1_30default_config_static_selectorELNS0_4arch9wavefront6targetE1EEEvS12_.kd
    .uniform_work_group_size: 1
    .uses_dynamic_stack: false
    .vgpr_count:     0
    .vgpr_spill_count: 0
    .wavefront_size: 64
  - .args:
      - .offset:         0
        .size:           176
        .value_kind:     by_value
    .group_segment_fixed_size: 0
    .kernarg_segment_align: 8
    .kernarg_segment_size: 176
    .language:       OpenCL C
    .language_version:
      - 2
      - 0
    .max_flat_workgroup_size: 256
    .name:           _ZN7rocprim17ROCPRIM_400000_NS6detail17trampoline_kernelINS0_13select_configILj256ELj13ELNS0_17block_load_methodE3ELS4_3ELS4_3ELNS0_20block_scan_algorithmE0ELj4294967295EEENS1_25partition_config_selectorILNS1_17partition_subalgoE4EjNS0_10empty_typeEbEEZZNS1_14partition_implILS8_4ELb0ES6_15HIP_vector_typeIjLj2EENS0_17counting_iteratorIjlEEPS9_SG_NS0_5tupleIJPjSI_NS0_16reverse_iteratorISI_EEEEENSH_IJSG_SG_SG_EEES9_SI_JZNS1_25segmented_radix_sort_implINS0_14default_configELb0EPKdPdPKlPlN2at6native12_GLOBAL__N_18offset_tEEE10hipError_tPvRmT1_PNSt15iterator_traitsIS12_E10value_typeET2_T3_PNS13_IS18_E10value_typeET4_jRbjT5_S1E_jjP12ihipStream_tbEUljE_ZNSN_ISO_Lb0ESQ_SR_ST_SU_SY_EESZ_S10_S11_S12_S16_S17_S18_S1B_S1C_jS1D_jS1E_S1E_jjS1G_bEUljE0_EEESZ_S10_S11_S18_S1C_S1E_T6_T7_T9_mT8_S1G_bDpT10_ENKUlT_T0_E_clISt17integral_constantIbLb1EES1T_IbLb0EEEEDaS1P_S1Q_EUlS1P_E_NS1_11comp_targetILNS1_3genE3ELNS1_11target_archE908ELNS1_3gpuE7ELNS1_3repE0EEENS1_30default_config_static_selectorELNS0_4arch9wavefront6targetE1EEEvS12_
    .private_segment_fixed_size: 0
    .sgpr_count:     4
    .sgpr_spill_count: 0
    .symbol:         _ZN7rocprim17ROCPRIM_400000_NS6detail17trampoline_kernelINS0_13select_configILj256ELj13ELNS0_17block_load_methodE3ELS4_3ELS4_3ELNS0_20block_scan_algorithmE0ELj4294967295EEENS1_25partition_config_selectorILNS1_17partition_subalgoE4EjNS0_10empty_typeEbEEZZNS1_14partition_implILS8_4ELb0ES6_15HIP_vector_typeIjLj2EENS0_17counting_iteratorIjlEEPS9_SG_NS0_5tupleIJPjSI_NS0_16reverse_iteratorISI_EEEEENSH_IJSG_SG_SG_EEES9_SI_JZNS1_25segmented_radix_sort_implINS0_14default_configELb0EPKdPdPKlPlN2at6native12_GLOBAL__N_18offset_tEEE10hipError_tPvRmT1_PNSt15iterator_traitsIS12_E10value_typeET2_T3_PNS13_IS18_E10value_typeET4_jRbjT5_S1E_jjP12ihipStream_tbEUljE_ZNSN_ISO_Lb0ESQ_SR_ST_SU_SY_EESZ_S10_S11_S12_S16_S17_S18_S1B_S1C_jS1D_jS1E_S1E_jjS1G_bEUljE0_EEESZ_S10_S11_S18_S1C_S1E_T6_T7_T9_mT8_S1G_bDpT10_ENKUlT_T0_E_clISt17integral_constantIbLb1EES1T_IbLb0EEEEDaS1P_S1Q_EUlS1P_E_NS1_11comp_targetILNS1_3genE3ELNS1_11target_archE908ELNS1_3gpuE7ELNS1_3repE0EEENS1_30default_config_static_selectorELNS0_4arch9wavefront6targetE1EEEvS12_.kd
    .uniform_work_group_size: 1
    .uses_dynamic_stack: false
    .vgpr_count:     0
    .vgpr_spill_count: 0
    .wavefront_size: 64
  - .args:
      - .offset:         0
        .size:           176
        .value_kind:     by_value
    .group_segment_fixed_size: 0
    .kernarg_segment_align: 8
    .kernarg_segment_size: 176
    .language:       OpenCL C
    .language_version:
      - 2
      - 0
    .max_flat_workgroup_size: 256
    .name:           _ZN7rocprim17ROCPRIM_400000_NS6detail17trampoline_kernelINS0_13select_configILj256ELj13ELNS0_17block_load_methodE3ELS4_3ELS4_3ELNS0_20block_scan_algorithmE0ELj4294967295EEENS1_25partition_config_selectorILNS1_17partition_subalgoE4EjNS0_10empty_typeEbEEZZNS1_14partition_implILS8_4ELb0ES6_15HIP_vector_typeIjLj2EENS0_17counting_iteratorIjlEEPS9_SG_NS0_5tupleIJPjSI_NS0_16reverse_iteratorISI_EEEEENSH_IJSG_SG_SG_EEES9_SI_JZNS1_25segmented_radix_sort_implINS0_14default_configELb0EPKdPdPKlPlN2at6native12_GLOBAL__N_18offset_tEEE10hipError_tPvRmT1_PNSt15iterator_traitsIS12_E10value_typeET2_T3_PNS13_IS18_E10value_typeET4_jRbjT5_S1E_jjP12ihipStream_tbEUljE_ZNSN_ISO_Lb0ESQ_SR_ST_SU_SY_EESZ_S10_S11_S12_S16_S17_S18_S1B_S1C_jS1D_jS1E_S1E_jjS1G_bEUljE0_EEESZ_S10_S11_S18_S1C_S1E_T6_T7_T9_mT8_S1G_bDpT10_ENKUlT_T0_E_clISt17integral_constantIbLb1EES1T_IbLb0EEEEDaS1P_S1Q_EUlS1P_E_NS1_11comp_targetILNS1_3genE2ELNS1_11target_archE906ELNS1_3gpuE6ELNS1_3repE0EEENS1_30default_config_static_selectorELNS0_4arch9wavefront6targetE1EEEvS12_
    .private_segment_fixed_size: 0
    .sgpr_count:     4
    .sgpr_spill_count: 0
    .symbol:         _ZN7rocprim17ROCPRIM_400000_NS6detail17trampoline_kernelINS0_13select_configILj256ELj13ELNS0_17block_load_methodE3ELS4_3ELS4_3ELNS0_20block_scan_algorithmE0ELj4294967295EEENS1_25partition_config_selectorILNS1_17partition_subalgoE4EjNS0_10empty_typeEbEEZZNS1_14partition_implILS8_4ELb0ES6_15HIP_vector_typeIjLj2EENS0_17counting_iteratorIjlEEPS9_SG_NS0_5tupleIJPjSI_NS0_16reverse_iteratorISI_EEEEENSH_IJSG_SG_SG_EEES9_SI_JZNS1_25segmented_radix_sort_implINS0_14default_configELb0EPKdPdPKlPlN2at6native12_GLOBAL__N_18offset_tEEE10hipError_tPvRmT1_PNSt15iterator_traitsIS12_E10value_typeET2_T3_PNS13_IS18_E10value_typeET4_jRbjT5_S1E_jjP12ihipStream_tbEUljE_ZNSN_ISO_Lb0ESQ_SR_ST_SU_SY_EESZ_S10_S11_S12_S16_S17_S18_S1B_S1C_jS1D_jS1E_S1E_jjS1G_bEUljE0_EEESZ_S10_S11_S18_S1C_S1E_T6_T7_T9_mT8_S1G_bDpT10_ENKUlT_T0_E_clISt17integral_constantIbLb1EES1T_IbLb0EEEEDaS1P_S1Q_EUlS1P_E_NS1_11comp_targetILNS1_3genE2ELNS1_11target_archE906ELNS1_3gpuE6ELNS1_3repE0EEENS1_30default_config_static_selectorELNS0_4arch9wavefront6targetE1EEEvS12_.kd
    .uniform_work_group_size: 1
    .uses_dynamic_stack: false
    .vgpr_count:     0
    .vgpr_spill_count: 0
    .wavefront_size: 64
  - .args:
      - .offset:         0
        .size:           176
        .value_kind:     by_value
    .group_segment_fixed_size: 0
    .kernarg_segment_align: 8
    .kernarg_segment_size: 176
    .language:       OpenCL C
    .language_version:
      - 2
      - 0
    .max_flat_workgroup_size: 256
    .name:           _ZN7rocprim17ROCPRIM_400000_NS6detail17trampoline_kernelINS0_13select_configILj256ELj13ELNS0_17block_load_methodE3ELS4_3ELS4_3ELNS0_20block_scan_algorithmE0ELj4294967295EEENS1_25partition_config_selectorILNS1_17partition_subalgoE4EjNS0_10empty_typeEbEEZZNS1_14partition_implILS8_4ELb0ES6_15HIP_vector_typeIjLj2EENS0_17counting_iteratorIjlEEPS9_SG_NS0_5tupleIJPjSI_NS0_16reverse_iteratorISI_EEEEENSH_IJSG_SG_SG_EEES9_SI_JZNS1_25segmented_radix_sort_implINS0_14default_configELb0EPKdPdPKlPlN2at6native12_GLOBAL__N_18offset_tEEE10hipError_tPvRmT1_PNSt15iterator_traitsIS12_E10value_typeET2_T3_PNS13_IS18_E10value_typeET4_jRbjT5_S1E_jjP12ihipStream_tbEUljE_ZNSN_ISO_Lb0ESQ_SR_ST_SU_SY_EESZ_S10_S11_S12_S16_S17_S18_S1B_S1C_jS1D_jS1E_S1E_jjS1G_bEUljE0_EEESZ_S10_S11_S18_S1C_S1E_T6_T7_T9_mT8_S1G_bDpT10_ENKUlT_T0_E_clISt17integral_constantIbLb1EES1T_IbLb0EEEEDaS1P_S1Q_EUlS1P_E_NS1_11comp_targetILNS1_3genE10ELNS1_11target_archE1200ELNS1_3gpuE4ELNS1_3repE0EEENS1_30default_config_static_selectorELNS0_4arch9wavefront6targetE1EEEvS12_
    .private_segment_fixed_size: 0
    .sgpr_count:     4
    .sgpr_spill_count: 0
    .symbol:         _ZN7rocprim17ROCPRIM_400000_NS6detail17trampoline_kernelINS0_13select_configILj256ELj13ELNS0_17block_load_methodE3ELS4_3ELS4_3ELNS0_20block_scan_algorithmE0ELj4294967295EEENS1_25partition_config_selectorILNS1_17partition_subalgoE4EjNS0_10empty_typeEbEEZZNS1_14partition_implILS8_4ELb0ES6_15HIP_vector_typeIjLj2EENS0_17counting_iteratorIjlEEPS9_SG_NS0_5tupleIJPjSI_NS0_16reverse_iteratorISI_EEEEENSH_IJSG_SG_SG_EEES9_SI_JZNS1_25segmented_radix_sort_implINS0_14default_configELb0EPKdPdPKlPlN2at6native12_GLOBAL__N_18offset_tEEE10hipError_tPvRmT1_PNSt15iterator_traitsIS12_E10value_typeET2_T3_PNS13_IS18_E10value_typeET4_jRbjT5_S1E_jjP12ihipStream_tbEUljE_ZNSN_ISO_Lb0ESQ_SR_ST_SU_SY_EESZ_S10_S11_S12_S16_S17_S18_S1B_S1C_jS1D_jS1E_S1E_jjS1G_bEUljE0_EEESZ_S10_S11_S18_S1C_S1E_T6_T7_T9_mT8_S1G_bDpT10_ENKUlT_T0_E_clISt17integral_constantIbLb1EES1T_IbLb0EEEEDaS1P_S1Q_EUlS1P_E_NS1_11comp_targetILNS1_3genE10ELNS1_11target_archE1200ELNS1_3gpuE4ELNS1_3repE0EEENS1_30default_config_static_selectorELNS0_4arch9wavefront6targetE1EEEvS12_.kd
    .uniform_work_group_size: 1
    .uses_dynamic_stack: false
    .vgpr_count:     0
    .vgpr_spill_count: 0
    .wavefront_size: 64
  - .args:
      - .offset:         0
        .size:           176
        .value_kind:     by_value
    .group_segment_fixed_size: 0
    .kernarg_segment_align: 8
    .kernarg_segment_size: 176
    .language:       OpenCL C
    .language_version:
      - 2
      - 0
    .max_flat_workgroup_size: 256
    .name:           _ZN7rocprim17ROCPRIM_400000_NS6detail17trampoline_kernelINS0_13select_configILj256ELj13ELNS0_17block_load_methodE3ELS4_3ELS4_3ELNS0_20block_scan_algorithmE0ELj4294967295EEENS1_25partition_config_selectorILNS1_17partition_subalgoE4EjNS0_10empty_typeEbEEZZNS1_14partition_implILS8_4ELb0ES6_15HIP_vector_typeIjLj2EENS0_17counting_iteratorIjlEEPS9_SG_NS0_5tupleIJPjSI_NS0_16reverse_iteratorISI_EEEEENSH_IJSG_SG_SG_EEES9_SI_JZNS1_25segmented_radix_sort_implINS0_14default_configELb0EPKdPdPKlPlN2at6native12_GLOBAL__N_18offset_tEEE10hipError_tPvRmT1_PNSt15iterator_traitsIS12_E10value_typeET2_T3_PNS13_IS18_E10value_typeET4_jRbjT5_S1E_jjP12ihipStream_tbEUljE_ZNSN_ISO_Lb0ESQ_SR_ST_SU_SY_EESZ_S10_S11_S12_S16_S17_S18_S1B_S1C_jS1D_jS1E_S1E_jjS1G_bEUljE0_EEESZ_S10_S11_S18_S1C_S1E_T6_T7_T9_mT8_S1G_bDpT10_ENKUlT_T0_E_clISt17integral_constantIbLb1EES1T_IbLb0EEEEDaS1P_S1Q_EUlS1P_E_NS1_11comp_targetILNS1_3genE9ELNS1_11target_archE1100ELNS1_3gpuE3ELNS1_3repE0EEENS1_30default_config_static_selectorELNS0_4arch9wavefront6targetE1EEEvS12_
    .private_segment_fixed_size: 0
    .sgpr_count:     4
    .sgpr_spill_count: 0
    .symbol:         _ZN7rocprim17ROCPRIM_400000_NS6detail17trampoline_kernelINS0_13select_configILj256ELj13ELNS0_17block_load_methodE3ELS4_3ELS4_3ELNS0_20block_scan_algorithmE0ELj4294967295EEENS1_25partition_config_selectorILNS1_17partition_subalgoE4EjNS0_10empty_typeEbEEZZNS1_14partition_implILS8_4ELb0ES6_15HIP_vector_typeIjLj2EENS0_17counting_iteratorIjlEEPS9_SG_NS0_5tupleIJPjSI_NS0_16reverse_iteratorISI_EEEEENSH_IJSG_SG_SG_EEES9_SI_JZNS1_25segmented_radix_sort_implINS0_14default_configELb0EPKdPdPKlPlN2at6native12_GLOBAL__N_18offset_tEEE10hipError_tPvRmT1_PNSt15iterator_traitsIS12_E10value_typeET2_T3_PNS13_IS18_E10value_typeET4_jRbjT5_S1E_jjP12ihipStream_tbEUljE_ZNSN_ISO_Lb0ESQ_SR_ST_SU_SY_EESZ_S10_S11_S12_S16_S17_S18_S1B_S1C_jS1D_jS1E_S1E_jjS1G_bEUljE0_EEESZ_S10_S11_S18_S1C_S1E_T6_T7_T9_mT8_S1G_bDpT10_ENKUlT_T0_E_clISt17integral_constantIbLb1EES1T_IbLb0EEEEDaS1P_S1Q_EUlS1P_E_NS1_11comp_targetILNS1_3genE9ELNS1_11target_archE1100ELNS1_3gpuE3ELNS1_3repE0EEENS1_30default_config_static_selectorELNS0_4arch9wavefront6targetE1EEEvS12_.kd
    .uniform_work_group_size: 1
    .uses_dynamic_stack: false
    .vgpr_count:     0
    .vgpr_spill_count: 0
    .wavefront_size: 64
  - .args:
      - .offset:         0
        .size:           176
        .value_kind:     by_value
    .group_segment_fixed_size: 0
    .kernarg_segment_align: 8
    .kernarg_segment_size: 176
    .language:       OpenCL C
    .language_version:
      - 2
      - 0
    .max_flat_workgroup_size: 256
    .name:           _ZN7rocprim17ROCPRIM_400000_NS6detail17trampoline_kernelINS0_13select_configILj256ELj13ELNS0_17block_load_methodE3ELS4_3ELS4_3ELNS0_20block_scan_algorithmE0ELj4294967295EEENS1_25partition_config_selectorILNS1_17partition_subalgoE4EjNS0_10empty_typeEbEEZZNS1_14partition_implILS8_4ELb0ES6_15HIP_vector_typeIjLj2EENS0_17counting_iteratorIjlEEPS9_SG_NS0_5tupleIJPjSI_NS0_16reverse_iteratorISI_EEEEENSH_IJSG_SG_SG_EEES9_SI_JZNS1_25segmented_radix_sort_implINS0_14default_configELb0EPKdPdPKlPlN2at6native12_GLOBAL__N_18offset_tEEE10hipError_tPvRmT1_PNSt15iterator_traitsIS12_E10value_typeET2_T3_PNS13_IS18_E10value_typeET4_jRbjT5_S1E_jjP12ihipStream_tbEUljE_ZNSN_ISO_Lb0ESQ_SR_ST_SU_SY_EESZ_S10_S11_S12_S16_S17_S18_S1B_S1C_jS1D_jS1E_S1E_jjS1G_bEUljE0_EEESZ_S10_S11_S18_S1C_S1E_T6_T7_T9_mT8_S1G_bDpT10_ENKUlT_T0_E_clISt17integral_constantIbLb1EES1T_IbLb0EEEEDaS1P_S1Q_EUlS1P_E_NS1_11comp_targetILNS1_3genE8ELNS1_11target_archE1030ELNS1_3gpuE2ELNS1_3repE0EEENS1_30default_config_static_selectorELNS0_4arch9wavefront6targetE1EEEvS12_
    .private_segment_fixed_size: 0
    .sgpr_count:     4
    .sgpr_spill_count: 0
    .symbol:         _ZN7rocprim17ROCPRIM_400000_NS6detail17trampoline_kernelINS0_13select_configILj256ELj13ELNS0_17block_load_methodE3ELS4_3ELS4_3ELNS0_20block_scan_algorithmE0ELj4294967295EEENS1_25partition_config_selectorILNS1_17partition_subalgoE4EjNS0_10empty_typeEbEEZZNS1_14partition_implILS8_4ELb0ES6_15HIP_vector_typeIjLj2EENS0_17counting_iteratorIjlEEPS9_SG_NS0_5tupleIJPjSI_NS0_16reverse_iteratorISI_EEEEENSH_IJSG_SG_SG_EEES9_SI_JZNS1_25segmented_radix_sort_implINS0_14default_configELb0EPKdPdPKlPlN2at6native12_GLOBAL__N_18offset_tEEE10hipError_tPvRmT1_PNSt15iterator_traitsIS12_E10value_typeET2_T3_PNS13_IS18_E10value_typeET4_jRbjT5_S1E_jjP12ihipStream_tbEUljE_ZNSN_ISO_Lb0ESQ_SR_ST_SU_SY_EESZ_S10_S11_S12_S16_S17_S18_S1B_S1C_jS1D_jS1E_S1E_jjS1G_bEUljE0_EEESZ_S10_S11_S18_S1C_S1E_T6_T7_T9_mT8_S1G_bDpT10_ENKUlT_T0_E_clISt17integral_constantIbLb1EES1T_IbLb0EEEEDaS1P_S1Q_EUlS1P_E_NS1_11comp_targetILNS1_3genE8ELNS1_11target_archE1030ELNS1_3gpuE2ELNS1_3repE0EEENS1_30default_config_static_selectorELNS0_4arch9wavefront6targetE1EEEvS12_.kd
    .uniform_work_group_size: 1
    .uses_dynamic_stack: false
    .vgpr_count:     0
    .vgpr_spill_count: 0
    .wavefront_size: 64
  - .args:
      - .offset:         0
        .size:           184
        .value_kind:     by_value
    .group_segment_fixed_size: 0
    .kernarg_segment_align: 8
    .kernarg_segment_size: 184
    .language:       OpenCL C
    .language_version:
      - 2
      - 0
    .max_flat_workgroup_size: 256
    .name:           _ZN7rocprim17ROCPRIM_400000_NS6detail17trampoline_kernelINS0_13select_configILj256ELj13ELNS0_17block_load_methodE3ELS4_3ELS4_3ELNS0_20block_scan_algorithmE0ELj4294967295EEENS1_25partition_config_selectorILNS1_17partition_subalgoE4EjNS0_10empty_typeEbEEZZNS1_14partition_implILS8_4ELb0ES6_15HIP_vector_typeIjLj2EENS0_17counting_iteratorIjlEEPS9_SG_NS0_5tupleIJPjSI_NS0_16reverse_iteratorISI_EEEEENSH_IJSG_SG_SG_EEES9_SI_JZNS1_25segmented_radix_sort_implINS0_14default_configELb0EPKdPdPKlPlN2at6native12_GLOBAL__N_18offset_tEEE10hipError_tPvRmT1_PNSt15iterator_traitsIS12_E10value_typeET2_T3_PNS13_IS18_E10value_typeET4_jRbjT5_S1E_jjP12ihipStream_tbEUljE_ZNSN_ISO_Lb0ESQ_SR_ST_SU_SY_EESZ_S10_S11_S12_S16_S17_S18_S1B_S1C_jS1D_jS1E_S1E_jjS1G_bEUljE0_EEESZ_S10_S11_S18_S1C_S1E_T6_T7_T9_mT8_S1G_bDpT10_ENKUlT_T0_E_clISt17integral_constantIbLb0EES1T_IbLb1EEEEDaS1P_S1Q_EUlS1P_E_NS1_11comp_targetILNS1_3genE0ELNS1_11target_archE4294967295ELNS1_3gpuE0ELNS1_3repE0EEENS1_30default_config_static_selectorELNS0_4arch9wavefront6targetE1EEEvS12_
    .private_segment_fixed_size: 0
    .sgpr_count:     4
    .sgpr_spill_count: 0
    .symbol:         _ZN7rocprim17ROCPRIM_400000_NS6detail17trampoline_kernelINS0_13select_configILj256ELj13ELNS0_17block_load_methodE3ELS4_3ELS4_3ELNS0_20block_scan_algorithmE0ELj4294967295EEENS1_25partition_config_selectorILNS1_17partition_subalgoE4EjNS0_10empty_typeEbEEZZNS1_14partition_implILS8_4ELb0ES6_15HIP_vector_typeIjLj2EENS0_17counting_iteratorIjlEEPS9_SG_NS0_5tupleIJPjSI_NS0_16reverse_iteratorISI_EEEEENSH_IJSG_SG_SG_EEES9_SI_JZNS1_25segmented_radix_sort_implINS0_14default_configELb0EPKdPdPKlPlN2at6native12_GLOBAL__N_18offset_tEEE10hipError_tPvRmT1_PNSt15iterator_traitsIS12_E10value_typeET2_T3_PNS13_IS18_E10value_typeET4_jRbjT5_S1E_jjP12ihipStream_tbEUljE_ZNSN_ISO_Lb0ESQ_SR_ST_SU_SY_EESZ_S10_S11_S12_S16_S17_S18_S1B_S1C_jS1D_jS1E_S1E_jjS1G_bEUljE0_EEESZ_S10_S11_S18_S1C_S1E_T6_T7_T9_mT8_S1G_bDpT10_ENKUlT_T0_E_clISt17integral_constantIbLb0EES1T_IbLb1EEEEDaS1P_S1Q_EUlS1P_E_NS1_11comp_targetILNS1_3genE0ELNS1_11target_archE4294967295ELNS1_3gpuE0ELNS1_3repE0EEENS1_30default_config_static_selectorELNS0_4arch9wavefront6targetE1EEEvS12_.kd
    .uniform_work_group_size: 1
    .uses_dynamic_stack: false
    .vgpr_count:     0
    .vgpr_spill_count: 0
    .wavefront_size: 64
  - .args:
      - .offset:         0
        .size:           184
        .value_kind:     by_value
    .group_segment_fixed_size: 0
    .kernarg_segment_align: 8
    .kernarg_segment_size: 184
    .language:       OpenCL C
    .language_version:
      - 2
      - 0
    .max_flat_workgroup_size: 256
    .name:           _ZN7rocprim17ROCPRIM_400000_NS6detail17trampoline_kernelINS0_13select_configILj256ELj13ELNS0_17block_load_methodE3ELS4_3ELS4_3ELNS0_20block_scan_algorithmE0ELj4294967295EEENS1_25partition_config_selectorILNS1_17partition_subalgoE4EjNS0_10empty_typeEbEEZZNS1_14partition_implILS8_4ELb0ES6_15HIP_vector_typeIjLj2EENS0_17counting_iteratorIjlEEPS9_SG_NS0_5tupleIJPjSI_NS0_16reverse_iteratorISI_EEEEENSH_IJSG_SG_SG_EEES9_SI_JZNS1_25segmented_radix_sort_implINS0_14default_configELb0EPKdPdPKlPlN2at6native12_GLOBAL__N_18offset_tEEE10hipError_tPvRmT1_PNSt15iterator_traitsIS12_E10value_typeET2_T3_PNS13_IS18_E10value_typeET4_jRbjT5_S1E_jjP12ihipStream_tbEUljE_ZNSN_ISO_Lb0ESQ_SR_ST_SU_SY_EESZ_S10_S11_S12_S16_S17_S18_S1B_S1C_jS1D_jS1E_S1E_jjS1G_bEUljE0_EEESZ_S10_S11_S18_S1C_S1E_T6_T7_T9_mT8_S1G_bDpT10_ENKUlT_T0_E_clISt17integral_constantIbLb0EES1T_IbLb1EEEEDaS1P_S1Q_EUlS1P_E_NS1_11comp_targetILNS1_3genE5ELNS1_11target_archE942ELNS1_3gpuE9ELNS1_3repE0EEENS1_30default_config_static_selectorELNS0_4arch9wavefront6targetE1EEEvS12_
    .private_segment_fixed_size: 0
    .sgpr_count:     4
    .sgpr_spill_count: 0
    .symbol:         _ZN7rocprim17ROCPRIM_400000_NS6detail17trampoline_kernelINS0_13select_configILj256ELj13ELNS0_17block_load_methodE3ELS4_3ELS4_3ELNS0_20block_scan_algorithmE0ELj4294967295EEENS1_25partition_config_selectorILNS1_17partition_subalgoE4EjNS0_10empty_typeEbEEZZNS1_14partition_implILS8_4ELb0ES6_15HIP_vector_typeIjLj2EENS0_17counting_iteratorIjlEEPS9_SG_NS0_5tupleIJPjSI_NS0_16reverse_iteratorISI_EEEEENSH_IJSG_SG_SG_EEES9_SI_JZNS1_25segmented_radix_sort_implINS0_14default_configELb0EPKdPdPKlPlN2at6native12_GLOBAL__N_18offset_tEEE10hipError_tPvRmT1_PNSt15iterator_traitsIS12_E10value_typeET2_T3_PNS13_IS18_E10value_typeET4_jRbjT5_S1E_jjP12ihipStream_tbEUljE_ZNSN_ISO_Lb0ESQ_SR_ST_SU_SY_EESZ_S10_S11_S12_S16_S17_S18_S1B_S1C_jS1D_jS1E_S1E_jjS1G_bEUljE0_EEESZ_S10_S11_S18_S1C_S1E_T6_T7_T9_mT8_S1G_bDpT10_ENKUlT_T0_E_clISt17integral_constantIbLb0EES1T_IbLb1EEEEDaS1P_S1Q_EUlS1P_E_NS1_11comp_targetILNS1_3genE5ELNS1_11target_archE942ELNS1_3gpuE9ELNS1_3repE0EEENS1_30default_config_static_selectorELNS0_4arch9wavefront6targetE1EEEvS12_.kd
    .uniform_work_group_size: 1
    .uses_dynamic_stack: false
    .vgpr_count:     0
    .vgpr_spill_count: 0
    .wavefront_size: 64
  - .args:
      - .offset:         0
        .size:           184
        .value_kind:     by_value
    .group_segment_fixed_size: 0
    .kernarg_segment_align: 8
    .kernarg_segment_size: 184
    .language:       OpenCL C
    .language_version:
      - 2
      - 0
    .max_flat_workgroup_size: 256
    .name:           _ZN7rocprim17ROCPRIM_400000_NS6detail17trampoline_kernelINS0_13select_configILj256ELj13ELNS0_17block_load_methodE3ELS4_3ELS4_3ELNS0_20block_scan_algorithmE0ELj4294967295EEENS1_25partition_config_selectorILNS1_17partition_subalgoE4EjNS0_10empty_typeEbEEZZNS1_14partition_implILS8_4ELb0ES6_15HIP_vector_typeIjLj2EENS0_17counting_iteratorIjlEEPS9_SG_NS0_5tupleIJPjSI_NS0_16reverse_iteratorISI_EEEEENSH_IJSG_SG_SG_EEES9_SI_JZNS1_25segmented_radix_sort_implINS0_14default_configELb0EPKdPdPKlPlN2at6native12_GLOBAL__N_18offset_tEEE10hipError_tPvRmT1_PNSt15iterator_traitsIS12_E10value_typeET2_T3_PNS13_IS18_E10value_typeET4_jRbjT5_S1E_jjP12ihipStream_tbEUljE_ZNSN_ISO_Lb0ESQ_SR_ST_SU_SY_EESZ_S10_S11_S12_S16_S17_S18_S1B_S1C_jS1D_jS1E_S1E_jjS1G_bEUljE0_EEESZ_S10_S11_S18_S1C_S1E_T6_T7_T9_mT8_S1G_bDpT10_ENKUlT_T0_E_clISt17integral_constantIbLb0EES1T_IbLb1EEEEDaS1P_S1Q_EUlS1P_E_NS1_11comp_targetILNS1_3genE4ELNS1_11target_archE910ELNS1_3gpuE8ELNS1_3repE0EEENS1_30default_config_static_selectorELNS0_4arch9wavefront6targetE1EEEvS12_
    .private_segment_fixed_size: 0
    .sgpr_count:     4
    .sgpr_spill_count: 0
    .symbol:         _ZN7rocprim17ROCPRIM_400000_NS6detail17trampoline_kernelINS0_13select_configILj256ELj13ELNS0_17block_load_methodE3ELS4_3ELS4_3ELNS0_20block_scan_algorithmE0ELj4294967295EEENS1_25partition_config_selectorILNS1_17partition_subalgoE4EjNS0_10empty_typeEbEEZZNS1_14partition_implILS8_4ELb0ES6_15HIP_vector_typeIjLj2EENS0_17counting_iteratorIjlEEPS9_SG_NS0_5tupleIJPjSI_NS0_16reverse_iteratorISI_EEEEENSH_IJSG_SG_SG_EEES9_SI_JZNS1_25segmented_radix_sort_implINS0_14default_configELb0EPKdPdPKlPlN2at6native12_GLOBAL__N_18offset_tEEE10hipError_tPvRmT1_PNSt15iterator_traitsIS12_E10value_typeET2_T3_PNS13_IS18_E10value_typeET4_jRbjT5_S1E_jjP12ihipStream_tbEUljE_ZNSN_ISO_Lb0ESQ_SR_ST_SU_SY_EESZ_S10_S11_S12_S16_S17_S18_S1B_S1C_jS1D_jS1E_S1E_jjS1G_bEUljE0_EEESZ_S10_S11_S18_S1C_S1E_T6_T7_T9_mT8_S1G_bDpT10_ENKUlT_T0_E_clISt17integral_constantIbLb0EES1T_IbLb1EEEEDaS1P_S1Q_EUlS1P_E_NS1_11comp_targetILNS1_3genE4ELNS1_11target_archE910ELNS1_3gpuE8ELNS1_3repE0EEENS1_30default_config_static_selectorELNS0_4arch9wavefront6targetE1EEEvS12_.kd
    .uniform_work_group_size: 1
    .uses_dynamic_stack: false
    .vgpr_count:     0
    .vgpr_spill_count: 0
    .wavefront_size: 64
  - .args:
      - .offset:         0
        .size:           184
        .value_kind:     by_value
    .group_segment_fixed_size: 0
    .kernarg_segment_align: 8
    .kernarg_segment_size: 184
    .language:       OpenCL C
    .language_version:
      - 2
      - 0
    .max_flat_workgroup_size: 256
    .name:           _ZN7rocprim17ROCPRIM_400000_NS6detail17trampoline_kernelINS0_13select_configILj256ELj13ELNS0_17block_load_methodE3ELS4_3ELS4_3ELNS0_20block_scan_algorithmE0ELj4294967295EEENS1_25partition_config_selectorILNS1_17partition_subalgoE4EjNS0_10empty_typeEbEEZZNS1_14partition_implILS8_4ELb0ES6_15HIP_vector_typeIjLj2EENS0_17counting_iteratorIjlEEPS9_SG_NS0_5tupleIJPjSI_NS0_16reverse_iteratorISI_EEEEENSH_IJSG_SG_SG_EEES9_SI_JZNS1_25segmented_radix_sort_implINS0_14default_configELb0EPKdPdPKlPlN2at6native12_GLOBAL__N_18offset_tEEE10hipError_tPvRmT1_PNSt15iterator_traitsIS12_E10value_typeET2_T3_PNS13_IS18_E10value_typeET4_jRbjT5_S1E_jjP12ihipStream_tbEUljE_ZNSN_ISO_Lb0ESQ_SR_ST_SU_SY_EESZ_S10_S11_S12_S16_S17_S18_S1B_S1C_jS1D_jS1E_S1E_jjS1G_bEUljE0_EEESZ_S10_S11_S18_S1C_S1E_T6_T7_T9_mT8_S1G_bDpT10_ENKUlT_T0_E_clISt17integral_constantIbLb0EES1T_IbLb1EEEEDaS1P_S1Q_EUlS1P_E_NS1_11comp_targetILNS1_3genE3ELNS1_11target_archE908ELNS1_3gpuE7ELNS1_3repE0EEENS1_30default_config_static_selectorELNS0_4arch9wavefront6targetE1EEEvS12_
    .private_segment_fixed_size: 0
    .sgpr_count:     4
    .sgpr_spill_count: 0
    .symbol:         _ZN7rocprim17ROCPRIM_400000_NS6detail17trampoline_kernelINS0_13select_configILj256ELj13ELNS0_17block_load_methodE3ELS4_3ELS4_3ELNS0_20block_scan_algorithmE0ELj4294967295EEENS1_25partition_config_selectorILNS1_17partition_subalgoE4EjNS0_10empty_typeEbEEZZNS1_14partition_implILS8_4ELb0ES6_15HIP_vector_typeIjLj2EENS0_17counting_iteratorIjlEEPS9_SG_NS0_5tupleIJPjSI_NS0_16reverse_iteratorISI_EEEEENSH_IJSG_SG_SG_EEES9_SI_JZNS1_25segmented_radix_sort_implINS0_14default_configELb0EPKdPdPKlPlN2at6native12_GLOBAL__N_18offset_tEEE10hipError_tPvRmT1_PNSt15iterator_traitsIS12_E10value_typeET2_T3_PNS13_IS18_E10value_typeET4_jRbjT5_S1E_jjP12ihipStream_tbEUljE_ZNSN_ISO_Lb0ESQ_SR_ST_SU_SY_EESZ_S10_S11_S12_S16_S17_S18_S1B_S1C_jS1D_jS1E_S1E_jjS1G_bEUljE0_EEESZ_S10_S11_S18_S1C_S1E_T6_T7_T9_mT8_S1G_bDpT10_ENKUlT_T0_E_clISt17integral_constantIbLb0EES1T_IbLb1EEEEDaS1P_S1Q_EUlS1P_E_NS1_11comp_targetILNS1_3genE3ELNS1_11target_archE908ELNS1_3gpuE7ELNS1_3repE0EEENS1_30default_config_static_selectorELNS0_4arch9wavefront6targetE1EEEvS12_.kd
    .uniform_work_group_size: 1
    .uses_dynamic_stack: false
    .vgpr_count:     0
    .vgpr_spill_count: 0
    .wavefront_size: 64
  - .args:
      - .offset:         0
        .size:           184
        .value_kind:     by_value
    .group_segment_fixed_size: 13328
    .kernarg_segment_align: 8
    .kernarg_segment_size: 184
    .language:       OpenCL C
    .language_version:
      - 2
      - 0
    .max_flat_workgroup_size: 256
    .name:           _ZN7rocprim17ROCPRIM_400000_NS6detail17trampoline_kernelINS0_13select_configILj256ELj13ELNS0_17block_load_methodE3ELS4_3ELS4_3ELNS0_20block_scan_algorithmE0ELj4294967295EEENS1_25partition_config_selectorILNS1_17partition_subalgoE4EjNS0_10empty_typeEbEEZZNS1_14partition_implILS8_4ELb0ES6_15HIP_vector_typeIjLj2EENS0_17counting_iteratorIjlEEPS9_SG_NS0_5tupleIJPjSI_NS0_16reverse_iteratorISI_EEEEENSH_IJSG_SG_SG_EEES9_SI_JZNS1_25segmented_radix_sort_implINS0_14default_configELb0EPKdPdPKlPlN2at6native12_GLOBAL__N_18offset_tEEE10hipError_tPvRmT1_PNSt15iterator_traitsIS12_E10value_typeET2_T3_PNS13_IS18_E10value_typeET4_jRbjT5_S1E_jjP12ihipStream_tbEUljE_ZNSN_ISO_Lb0ESQ_SR_ST_SU_SY_EESZ_S10_S11_S12_S16_S17_S18_S1B_S1C_jS1D_jS1E_S1E_jjS1G_bEUljE0_EEESZ_S10_S11_S18_S1C_S1E_T6_T7_T9_mT8_S1G_bDpT10_ENKUlT_T0_E_clISt17integral_constantIbLb0EES1T_IbLb1EEEEDaS1P_S1Q_EUlS1P_E_NS1_11comp_targetILNS1_3genE2ELNS1_11target_archE906ELNS1_3gpuE6ELNS1_3repE0EEENS1_30default_config_static_selectorELNS0_4arch9wavefront6targetE1EEEvS12_
    .private_segment_fixed_size: 0
    .sgpr_count:     91
    .sgpr_spill_count: 0
    .symbol:         _ZN7rocprim17ROCPRIM_400000_NS6detail17trampoline_kernelINS0_13select_configILj256ELj13ELNS0_17block_load_methodE3ELS4_3ELS4_3ELNS0_20block_scan_algorithmE0ELj4294967295EEENS1_25partition_config_selectorILNS1_17partition_subalgoE4EjNS0_10empty_typeEbEEZZNS1_14partition_implILS8_4ELb0ES6_15HIP_vector_typeIjLj2EENS0_17counting_iteratorIjlEEPS9_SG_NS0_5tupleIJPjSI_NS0_16reverse_iteratorISI_EEEEENSH_IJSG_SG_SG_EEES9_SI_JZNS1_25segmented_radix_sort_implINS0_14default_configELb0EPKdPdPKlPlN2at6native12_GLOBAL__N_18offset_tEEE10hipError_tPvRmT1_PNSt15iterator_traitsIS12_E10value_typeET2_T3_PNS13_IS18_E10value_typeET4_jRbjT5_S1E_jjP12ihipStream_tbEUljE_ZNSN_ISO_Lb0ESQ_SR_ST_SU_SY_EESZ_S10_S11_S12_S16_S17_S18_S1B_S1C_jS1D_jS1E_S1E_jjS1G_bEUljE0_EEESZ_S10_S11_S18_S1C_S1E_T6_T7_T9_mT8_S1G_bDpT10_ENKUlT_T0_E_clISt17integral_constantIbLb0EES1T_IbLb1EEEEDaS1P_S1Q_EUlS1P_E_NS1_11comp_targetILNS1_3genE2ELNS1_11target_archE906ELNS1_3gpuE6ELNS1_3repE0EEENS1_30default_config_static_selectorELNS0_4arch9wavefront6targetE1EEEvS12_.kd
    .uniform_work_group_size: 1
    .uses_dynamic_stack: false
    .vgpr_count:     91
    .vgpr_spill_count: 0
    .wavefront_size: 64
  - .args:
      - .offset:         0
        .size:           184
        .value_kind:     by_value
    .group_segment_fixed_size: 0
    .kernarg_segment_align: 8
    .kernarg_segment_size: 184
    .language:       OpenCL C
    .language_version:
      - 2
      - 0
    .max_flat_workgroup_size: 256
    .name:           _ZN7rocprim17ROCPRIM_400000_NS6detail17trampoline_kernelINS0_13select_configILj256ELj13ELNS0_17block_load_methodE3ELS4_3ELS4_3ELNS0_20block_scan_algorithmE0ELj4294967295EEENS1_25partition_config_selectorILNS1_17partition_subalgoE4EjNS0_10empty_typeEbEEZZNS1_14partition_implILS8_4ELb0ES6_15HIP_vector_typeIjLj2EENS0_17counting_iteratorIjlEEPS9_SG_NS0_5tupleIJPjSI_NS0_16reverse_iteratorISI_EEEEENSH_IJSG_SG_SG_EEES9_SI_JZNS1_25segmented_radix_sort_implINS0_14default_configELb0EPKdPdPKlPlN2at6native12_GLOBAL__N_18offset_tEEE10hipError_tPvRmT1_PNSt15iterator_traitsIS12_E10value_typeET2_T3_PNS13_IS18_E10value_typeET4_jRbjT5_S1E_jjP12ihipStream_tbEUljE_ZNSN_ISO_Lb0ESQ_SR_ST_SU_SY_EESZ_S10_S11_S12_S16_S17_S18_S1B_S1C_jS1D_jS1E_S1E_jjS1G_bEUljE0_EEESZ_S10_S11_S18_S1C_S1E_T6_T7_T9_mT8_S1G_bDpT10_ENKUlT_T0_E_clISt17integral_constantIbLb0EES1T_IbLb1EEEEDaS1P_S1Q_EUlS1P_E_NS1_11comp_targetILNS1_3genE10ELNS1_11target_archE1200ELNS1_3gpuE4ELNS1_3repE0EEENS1_30default_config_static_selectorELNS0_4arch9wavefront6targetE1EEEvS12_
    .private_segment_fixed_size: 0
    .sgpr_count:     4
    .sgpr_spill_count: 0
    .symbol:         _ZN7rocprim17ROCPRIM_400000_NS6detail17trampoline_kernelINS0_13select_configILj256ELj13ELNS0_17block_load_methodE3ELS4_3ELS4_3ELNS0_20block_scan_algorithmE0ELj4294967295EEENS1_25partition_config_selectorILNS1_17partition_subalgoE4EjNS0_10empty_typeEbEEZZNS1_14partition_implILS8_4ELb0ES6_15HIP_vector_typeIjLj2EENS0_17counting_iteratorIjlEEPS9_SG_NS0_5tupleIJPjSI_NS0_16reverse_iteratorISI_EEEEENSH_IJSG_SG_SG_EEES9_SI_JZNS1_25segmented_radix_sort_implINS0_14default_configELb0EPKdPdPKlPlN2at6native12_GLOBAL__N_18offset_tEEE10hipError_tPvRmT1_PNSt15iterator_traitsIS12_E10value_typeET2_T3_PNS13_IS18_E10value_typeET4_jRbjT5_S1E_jjP12ihipStream_tbEUljE_ZNSN_ISO_Lb0ESQ_SR_ST_SU_SY_EESZ_S10_S11_S12_S16_S17_S18_S1B_S1C_jS1D_jS1E_S1E_jjS1G_bEUljE0_EEESZ_S10_S11_S18_S1C_S1E_T6_T7_T9_mT8_S1G_bDpT10_ENKUlT_T0_E_clISt17integral_constantIbLb0EES1T_IbLb1EEEEDaS1P_S1Q_EUlS1P_E_NS1_11comp_targetILNS1_3genE10ELNS1_11target_archE1200ELNS1_3gpuE4ELNS1_3repE0EEENS1_30default_config_static_selectorELNS0_4arch9wavefront6targetE1EEEvS12_.kd
    .uniform_work_group_size: 1
    .uses_dynamic_stack: false
    .vgpr_count:     0
    .vgpr_spill_count: 0
    .wavefront_size: 64
  - .args:
      - .offset:         0
        .size:           184
        .value_kind:     by_value
    .group_segment_fixed_size: 0
    .kernarg_segment_align: 8
    .kernarg_segment_size: 184
    .language:       OpenCL C
    .language_version:
      - 2
      - 0
    .max_flat_workgroup_size: 256
    .name:           _ZN7rocprim17ROCPRIM_400000_NS6detail17trampoline_kernelINS0_13select_configILj256ELj13ELNS0_17block_load_methodE3ELS4_3ELS4_3ELNS0_20block_scan_algorithmE0ELj4294967295EEENS1_25partition_config_selectorILNS1_17partition_subalgoE4EjNS0_10empty_typeEbEEZZNS1_14partition_implILS8_4ELb0ES6_15HIP_vector_typeIjLj2EENS0_17counting_iteratorIjlEEPS9_SG_NS0_5tupleIJPjSI_NS0_16reverse_iteratorISI_EEEEENSH_IJSG_SG_SG_EEES9_SI_JZNS1_25segmented_radix_sort_implINS0_14default_configELb0EPKdPdPKlPlN2at6native12_GLOBAL__N_18offset_tEEE10hipError_tPvRmT1_PNSt15iterator_traitsIS12_E10value_typeET2_T3_PNS13_IS18_E10value_typeET4_jRbjT5_S1E_jjP12ihipStream_tbEUljE_ZNSN_ISO_Lb0ESQ_SR_ST_SU_SY_EESZ_S10_S11_S12_S16_S17_S18_S1B_S1C_jS1D_jS1E_S1E_jjS1G_bEUljE0_EEESZ_S10_S11_S18_S1C_S1E_T6_T7_T9_mT8_S1G_bDpT10_ENKUlT_T0_E_clISt17integral_constantIbLb0EES1T_IbLb1EEEEDaS1P_S1Q_EUlS1P_E_NS1_11comp_targetILNS1_3genE9ELNS1_11target_archE1100ELNS1_3gpuE3ELNS1_3repE0EEENS1_30default_config_static_selectorELNS0_4arch9wavefront6targetE1EEEvS12_
    .private_segment_fixed_size: 0
    .sgpr_count:     4
    .sgpr_spill_count: 0
    .symbol:         _ZN7rocprim17ROCPRIM_400000_NS6detail17trampoline_kernelINS0_13select_configILj256ELj13ELNS0_17block_load_methodE3ELS4_3ELS4_3ELNS0_20block_scan_algorithmE0ELj4294967295EEENS1_25partition_config_selectorILNS1_17partition_subalgoE4EjNS0_10empty_typeEbEEZZNS1_14partition_implILS8_4ELb0ES6_15HIP_vector_typeIjLj2EENS0_17counting_iteratorIjlEEPS9_SG_NS0_5tupleIJPjSI_NS0_16reverse_iteratorISI_EEEEENSH_IJSG_SG_SG_EEES9_SI_JZNS1_25segmented_radix_sort_implINS0_14default_configELb0EPKdPdPKlPlN2at6native12_GLOBAL__N_18offset_tEEE10hipError_tPvRmT1_PNSt15iterator_traitsIS12_E10value_typeET2_T3_PNS13_IS18_E10value_typeET4_jRbjT5_S1E_jjP12ihipStream_tbEUljE_ZNSN_ISO_Lb0ESQ_SR_ST_SU_SY_EESZ_S10_S11_S12_S16_S17_S18_S1B_S1C_jS1D_jS1E_S1E_jjS1G_bEUljE0_EEESZ_S10_S11_S18_S1C_S1E_T6_T7_T9_mT8_S1G_bDpT10_ENKUlT_T0_E_clISt17integral_constantIbLb0EES1T_IbLb1EEEEDaS1P_S1Q_EUlS1P_E_NS1_11comp_targetILNS1_3genE9ELNS1_11target_archE1100ELNS1_3gpuE3ELNS1_3repE0EEENS1_30default_config_static_selectorELNS0_4arch9wavefront6targetE1EEEvS12_.kd
    .uniform_work_group_size: 1
    .uses_dynamic_stack: false
    .vgpr_count:     0
    .vgpr_spill_count: 0
    .wavefront_size: 64
  - .args:
      - .offset:         0
        .size:           184
        .value_kind:     by_value
    .group_segment_fixed_size: 0
    .kernarg_segment_align: 8
    .kernarg_segment_size: 184
    .language:       OpenCL C
    .language_version:
      - 2
      - 0
    .max_flat_workgroup_size: 256
    .name:           _ZN7rocprim17ROCPRIM_400000_NS6detail17trampoline_kernelINS0_13select_configILj256ELj13ELNS0_17block_load_methodE3ELS4_3ELS4_3ELNS0_20block_scan_algorithmE0ELj4294967295EEENS1_25partition_config_selectorILNS1_17partition_subalgoE4EjNS0_10empty_typeEbEEZZNS1_14partition_implILS8_4ELb0ES6_15HIP_vector_typeIjLj2EENS0_17counting_iteratorIjlEEPS9_SG_NS0_5tupleIJPjSI_NS0_16reverse_iteratorISI_EEEEENSH_IJSG_SG_SG_EEES9_SI_JZNS1_25segmented_radix_sort_implINS0_14default_configELb0EPKdPdPKlPlN2at6native12_GLOBAL__N_18offset_tEEE10hipError_tPvRmT1_PNSt15iterator_traitsIS12_E10value_typeET2_T3_PNS13_IS18_E10value_typeET4_jRbjT5_S1E_jjP12ihipStream_tbEUljE_ZNSN_ISO_Lb0ESQ_SR_ST_SU_SY_EESZ_S10_S11_S12_S16_S17_S18_S1B_S1C_jS1D_jS1E_S1E_jjS1G_bEUljE0_EEESZ_S10_S11_S18_S1C_S1E_T6_T7_T9_mT8_S1G_bDpT10_ENKUlT_T0_E_clISt17integral_constantIbLb0EES1T_IbLb1EEEEDaS1P_S1Q_EUlS1P_E_NS1_11comp_targetILNS1_3genE8ELNS1_11target_archE1030ELNS1_3gpuE2ELNS1_3repE0EEENS1_30default_config_static_selectorELNS0_4arch9wavefront6targetE1EEEvS12_
    .private_segment_fixed_size: 0
    .sgpr_count:     4
    .sgpr_spill_count: 0
    .symbol:         _ZN7rocprim17ROCPRIM_400000_NS6detail17trampoline_kernelINS0_13select_configILj256ELj13ELNS0_17block_load_methodE3ELS4_3ELS4_3ELNS0_20block_scan_algorithmE0ELj4294967295EEENS1_25partition_config_selectorILNS1_17partition_subalgoE4EjNS0_10empty_typeEbEEZZNS1_14partition_implILS8_4ELb0ES6_15HIP_vector_typeIjLj2EENS0_17counting_iteratorIjlEEPS9_SG_NS0_5tupleIJPjSI_NS0_16reverse_iteratorISI_EEEEENSH_IJSG_SG_SG_EEES9_SI_JZNS1_25segmented_radix_sort_implINS0_14default_configELb0EPKdPdPKlPlN2at6native12_GLOBAL__N_18offset_tEEE10hipError_tPvRmT1_PNSt15iterator_traitsIS12_E10value_typeET2_T3_PNS13_IS18_E10value_typeET4_jRbjT5_S1E_jjP12ihipStream_tbEUljE_ZNSN_ISO_Lb0ESQ_SR_ST_SU_SY_EESZ_S10_S11_S12_S16_S17_S18_S1B_S1C_jS1D_jS1E_S1E_jjS1G_bEUljE0_EEESZ_S10_S11_S18_S1C_S1E_T6_T7_T9_mT8_S1G_bDpT10_ENKUlT_T0_E_clISt17integral_constantIbLb0EES1T_IbLb1EEEEDaS1P_S1Q_EUlS1P_E_NS1_11comp_targetILNS1_3genE8ELNS1_11target_archE1030ELNS1_3gpuE2ELNS1_3repE0EEENS1_30default_config_static_selectorELNS0_4arch9wavefront6targetE1EEEvS12_.kd
    .uniform_work_group_size: 1
    .uses_dynamic_stack: false
    .vgpr_count:     0
    .vgpr_spill_count: 0
    .wavefront_size: 64
  - .args:
      - .offset:         0
        .size:           144
        .value_kind:     by_value
    .group_segment_fixed_size: 0
    .kernarg_segment_align: 8
    .kernarg_segment_size: 144
    .language:       OpenCL C
    .language_version:
      - 2
      - 0
    .max_flat_workgroup_size: 256
    .name:           _ZN7rocprim17ROCPRIM_400000_NS6detail17trampoline_kernelINS0_13select_configILj256ELj13ELNS0_17block_load_methodE3ELS4_3ELS4_3ELNS0_20block_scan_algorithmE0ELj4294967295EEENS1_25partition_config_selectorILNS1_17partition_subalgoE3EjNS0_10empty_typeEbEEZZNS1_14partition_implILS8_3ELb0ES6_jNS0_17counting_iteratorIjlEEPS9_SE_NS0_5tupleIJPjSE_EEENSF_IJSE_SE_EEES9_SG_JZNS1_25segmented_radix_sort_implINS0_14default_configELb0EPKdPdPKlPlN2at6native12_GLOBAL__N_18offset_tEEE10hipError_tPvRmT1_PNSt15iterator_traitsISY_E10value_typeET2_T3_PNSZ_IS14_E10value_typeET4_jRbjT5_S1A_jjP12ihipStream_tbEUljE_EEESV_SW_SX_S14_S18_S1A_T6_T7_T9_mT8_S1C_bDpT10_ENKUlT_T0_E_clISt17integral_constantIbLb0EES1P_EEDaS1K_S1L_EUlS1K_E_NS1_11comp_targetILNS1_3genE0ELNS1_11target_archE4294967295ELNS1_3gpuE0ELNS1_3repE0EEENS1_30default_config_static_selectorELNS0_4arch9wavefront6targetE1EEEvSY_
    .private_segment_fixed_size: 0
    .sgpr_count:     4
    .sgpr_spill_count: 0
    .symbol:         _ZN7rocprim17ROCPRIM_400000_NS6detail17trampoline_kernelINS0_13select_configILj256ELj13ELNS0_17block_load_methodE3ELS4_3ELS4_3ELNS0_20block_scan_algorithmE0ELj4294967295EEENS1_25partition_config_selectorILNS1_17partition_subalgoE3EjNS0_10empty_typeEbEEZZNS1_14partition_implILS8_3ELb0ES6_jNS0_17counting_iteratorIjlEEPS9_SE_NS0_5tupleIJPjSE_EEENSF_IJSE_SE_EEES9_SG_JZNS1_25segmented_radix_sort_implINS0_14default_configELb0EPKdPdPKlPlN2at6native12_GLOBAL__N_18offset_tEEE10hipError_tPvRmT1_PNSt15iterator_traitsISY_E10value_typeET2_T3_PNSZ_IS14_E10value_typeET4_jRbjT5_S1A_jjP12ihipStream_tbEUljE_EEESV_SW_SX_S14_S18_S1A_T6_T7_T9_mT8_S1C_bDpT10_ENKUlT_T0_E_clISt17integral_constantIbLb0EES1P_EEDaS1K_S1L_EUlS1K_E_NS1_11comp_targetILNS1_3genE0ELNS1_11target_archE4294967295ELNS1_3gpuE0ELNS1_3repE0EEENS1_30default_config_static_selectorELNS0_4arch9wavefront6targetE1EEEvSY_.kd
    .uniform_work_group_size: 1
    .uses_dynamic_stack: false
    .vgpr_count:     0
    .vgpr_spill_count: 0
    .wavefront_size: 64
  - .args:
      - .offset:         0
        .size:           144
        .value_kind:     by_value
    .group_segment_fixed_size: 0
    .kernarg_segment_align: 8
    .kernarg_segment_size: 144
    .language:       OpenCL C
    .language_version:
      - 2
      - 0
    .max_flat_workgroup_size: 256
    .name:           _ZN7rocprim17ROCPRIM_400000_NS6detail17trampoline_kernelINS0_13select_configILj256ELj13ELNS0_17block_load_methodE3ELS4_3ELS4_3ELNS0_20block_scan_algorithmE0ELj4294967295EEENS1_25partition_config_selectorILNS1_17partition_subalgoE3EjNS0_10empty_typeEbEEZZNS1_14partition_implILS8_3ELb0ES6_jNS0_17counting_iteratorIjlEEPS9_SE_NS0_5tupleIJPjSE_EEENSF_IJSE_SE_EEES9_SG_JZNS1_25segmented_radix_sort_implINS0_14default_configELb0EPKdPdPKlPlN2at6native12_GLOBAL__N_18offset_tEEE10hipError_tPvRmT1_PNSt15iterator_traitsISY_E10value_typeET2_T3_PNSZ_IS14_E10value_typeET4_jRbjT5_S1A_jjP12ihipStream_tbEUljE_EEESV_SW_SX_S14_S18_S1A_T6_T7_T9_mT8_S1C_bDpT10_ENKUlT_T0_E_clISt17integral_constantIbLb0EES1P_EEDaS1K_S1L_EUlS1K_E_NS1_11comp_targetILNS1_3genE5ELNS1_11target_archE942ELNS1_3gpuE9ELNS1_3repE0EEENS1_30default_config_static_selectorELNS0_4arch9wavefront6targetE1EEEvSY_
    .private_segment_fixed_size: 0
    .sgpr_count:     4
    .sgpr_spill_count: 0
    .symbol:         _ZN7rocprim17ROCPRIM_400000_NS6detail17trampoline_kernelINS0_13select_configILj256ELj13ELNS0_17block_load_methodE3ELS4_3ELS4_3ELNS0_20block_scan_algorithmE0ELj4294967295EEENS1_25partition_config_selectorILNS1_17partition_subalgoE3EjNS0_10empty_typeEbEEZZNS1_14partition_implILS8_3ELb0ES6_jNS0_17counting_iteratorIjlEEPS9_SE_NS0_5tupleIJPjSE_EEENSF_IJSE_SE_EEES9_SG_JZNS1_25segmented_radix_sort_implINS0_14default_configELb0EPKdPdPKlPlN2at6native12_GLOBAL__N_18offset_tEEE10hipError_tPvRmT1_PNSt15iterator_traitsISY_E10value_typeET2_T3_PNSZ_IS14_E10value_typeET4_jRbjT5_S1A_jjP12ihipStream_tbEUljE_EEESV_SW_SX_S14_S18_S1A_T6_T7_T9_mT8_S1C_bDpT10_ENKUlT_T0_E_clISt17integral_constantIbLb0EES1P_EEDaS1K_S1L_EUlS1K_E_NS1_11comp_targetILNS1_3genE5ELNS1_11target_archE942ELNS1_3gpuE9ELNS1_3repE0EEENS1_30default_config_static_selectorELNS0_4arch9wavefront6targetE1EEEvSY_.kd
    .uniform_work_group_size: 1
    .uses_dynamic_stack: false
    .vgpr_count:     0
    .vgpr_spill_count: 0
    .wavefront_size: 64
  - .args:
      - .offset:         0
        .size:           144
        .value_kind:     by_value
    .group_segment_fixed_size: 0
    .kernarg_segment_align: 8
    .kernarg_segment_size: 144
    .language:       OpenCL C
    .language_version:
      - 2
      - 0
    .max_flat_workgroup_size: 256
    .name:           _ZN7rocprim17ROCPRIM_400000_NS6detail17trampoline_kernelINS0_13select_configILj256ELj13ELNS0_17block_load_methodE3ELS4_3ELS4_3ELNS0_20block_scan_algorithmE0ELj4294967295EEENS1_25partition_config_selectorILNS1_17partition_subalgoE3EjNS0_10empty_typeEbEEZZNS1_14partition_implILS8_3ELb0ES6_jNS0_17counting_iteratorIjlEEPS9_SE_NS0_5tupleIJPjSE_EEENSF_IJSE_SE_EEES9_SG_JZNS1_25segmented_radix_sort_implINS0_14default_configELb0EPKdPdPKlPlN2at6native12_GLOBAL__N_18offset_tEEE10hipError_tPvRmT1_PNSt15iterator_traitsISY_E10value_typeET2_T3_PNSZ_IS14_E10value_typeET4_jRbjT5_S1A_jjP12ihipStream_tbEUljE_EEESV_SW_SX_S14_S18_S1A_T6_T7_T9_mT8_S1C_bDpT10_ENKUlT_T0_E_clISt17integral_constantIbLb0EES1P_EEDaS1K_S1L_EUlS1K_E_NS1_11comp_targetILNS1_3genE4ELNS1_11target_archE910ELNS1_3gpuE8ELNS1_3repE0EEENS1_30default_config_static_selectorELNS0_4arch9wavefront6targetE1EEEvSY_
    .private_segment_fixed_size: 0
    .sgpr_count:     4
    .sgpr_spill_count: 0
    .symbol:         _ZN7rocprim17ROCPRIM_400000_NS6detail17trampoline_kernelINS0_13select_configILj256ELj13ELNS0_17block_load_methodE3ELS4_3ELS4_3ELNS0_20block_scan_algorithmE0ELj4294967295EEENS1_25partition_config_selectorILNS1_17partition_subalgoE3EjNS0_10empty_typeEbEEZZNS1_14partition_implILS8_3ELb0ES6_jNS0_17counting_iteratorIjlEEPS9_SE_NS0_5tupleIJPjSE_EEENSF_IJSE_SE_EEES9_SG_JZNS1_25segmented_radix_sort_implINS0_14default_configELb0EPKdPdPKlPlN2at6native12_GLOBAL__N_18offset_tEEE10hipError_tPvRmT1_PNSt15iterator_traitsISY_E10value_typeET2_T3_PNSZ_IS14_E10value_typeET4_jRbjT5_S1A_jjP12ihipStream_tbEUljE_EEESV_SW_SX_S14_S18_S1A_T6_T7_T9_mT8_S1C_bDpT10_ENKUlT_T0_E_clISt17integral_constantIbLb0EES1P_EEDaS1K_S1L_EUlS1K_E_NS1_11comp_targetILNS1_3genE4ELNS1_11target_archE910ELNS1_3gpuE8ELNS1_3repE0EEENS1_30default_config_static_selectorELNS0_4arch9wavefront6targetE1EEEvSY_.kd
    .uniform_work_group_size: 1
    .uses_dynamic_stack: false
    .vgpr_count:     0
    .vgpr_spill_count: 0
    .wavefront_size: 64
  - .args:
      - .offset:         0
        .size:           144
        .value_kind:     by_value
    .group_segment_fixed_size: 0
    .kernarg_segment_align: 8
    .kernarg_segment_size: 144
    .language:       OpenCL C
    .language_version:
      - 2
      - 0
    .max_flat_workgroup_size: 256
    .name:           _ZN7rocprim17ROCPRIM_400000_NS6detail17trampoline_kernelINS0_13select_configILj256ELj13ELNS0_17block_load_methodE3ELS4_3ELS4_3ELNS0_20block_scan_algorithmE0ELj4294967295EEENS1_25partition_config_selectorILNS1_17partition_subalgoE3EjNS0_10empty_typeEbEEZZNS1_14partition_implILS8_3ELb0ES6_jNS0_17counting_iteratorIjlEEPS9_SE_NS0_5tupleIJPjSE_EEENSF_IJSE_SE_EEES9_SG_JZNS1_25segmented_radix_sort_implINS0_14default_configELb0EPKdPdPKlPlN2at6native12_GLOBAL__N_18offset_tEEE10hipError_tPvRmT1_PNSt15iterator_traitsISY_E10value_typeET2_T3_PNSZ_IS14_E10value_typeET4_jRbjT5_S1A_jjP12ihipStream_tbEUljE_EEESV_SW_SX_S14_S18_S1A_T6_T7_T9_mT8_S1C_bDpT10_ENKUlT_T0_E_clISt17integral_constantIbLb0EES1P_EEDaS1K_S1L_EUlS1K_E_NS1_11comp_targetILNS1_3genE3ELNS1_11target_archE908ELNS1_3gpuE7ELNS1_3repE0EEENS1_30default_config_static_selectorELNS0_4arch9wavefront6targetE1EEEvSY_
    .private_segment_fixed_size: 0
    .sgpr_count:     4
    .sgpr_spill_count: 0
    .symbol:         _ZN7rocprim17ROCPRIM_400000_NS6detail17trampoline_kernelINS0_13select_configILj256ELj13ELNS0_17block_load_methodE3ELS4_3ELS4_3ELNS0_20block_scan_algorithmE0ELj4294967295EEENS1_25partition_config_selectorILNS1_17partition_subalgoE3EjNS0_10empty_typeEbEEZZNS1_14partition_implILS8_3ELb0ES6_jNS0_17counting_iteratorIjlEEPS9_SE_NS0_5tupleIJPjSE_EEENSF_IJSE_SE_EEES9_SG_JZNS1_25segmented_radix_sort_implINS0_14default_configELb0EPKdPdPKlPlN2at6native12_GLOBAL__N_18offset_tEEE10hipError_tPvRmT1_PNSt15iterator_traitsISY_E10value_typeET2_T3_PNSZ_IS14_E10value_typeET4_jRbjT5_S1A_jjP12ihipStream_tbEUljE_EEESV_SW_SX_S14_S18_S1A_T6_T7_T9_mT8_S1C_bDpT10_ENKUlT_T0_E_clISt17integral_constantIbLb0EES1P_EEDaS1K_S1L_EUlS1K_E_NS1_11comp_targetILNS1_3genE3ELNS1_11target_archE908ELNS1_3gpuE7ELNS1_3repE0EEENS1_30default_config_static_selectorELNS0_4arch9wavefront6targetE1EEEvSY_.kd
    .uniform_work_group_size: 1
    .uses_dynamic_stack: false
    .vgpr_count:     0
    .vgpr_spill_count: 0
    .wavefront_size: 64
  - .args:
      - .offset:         0
        .size:           144
        .value_kind:     by_value
    .group_segment_fixed_size: 13320
    .kernarg_segment_align: 8
    .kernarg_segment_size: 144
    .language:       OpenCL C
    .language_version:
      - 2
      - 0
    .max_flat_workgroup_size: 256
    .name:           _ZN7rocprim17ROCPRIM_400000_NS6detail17trampoline_kernelINS0_13select_configILj256ELj13ELNS0_17block_load_methodE3ELS4_3ELS4_3ELNS0_20block_scan_algorithmE0ELj4294967295EEENS1_25partition_config_selectorILNS1_17partition_subalgoE3EjNS0_10empty_typeEbEEZZNS1_14partition_implILS8_3ELb0ES6_jNS0_17counting_iteratorIjlEEPS9_SE_NS0_5tupleIJPjSE_EEENSF_IJSE_SE_EEES9_SG_JZNS1_25segmented_radix_sort_implINS0_14default_configELb0EPKdPdPKlPlN2at6native12_GLOBAL__N_18offset_tEEE10hipError_tPvRmT1_PNSt15iterator_traitsISY_E10value_typeET2_T3_PNSZ_IS14_E10value_typeET4_jRbjT5_S1A_jjP12ihipStream_tbEUljE_EEESV_SW_SX_S14_S18_S1A_T6_T7_T9_mT8_S1C_bDpT10_ENKUlT_T0_E_clISt17integral_constantIbLb0EES1P_EEDaS1K_S1L_EUlS1K_E_NS1_11comp_targetILNS1_3genE2ELNS1_11target_archE906ELNS1_3gpuE6ELNS1_3repE0EEENS1_30default_config_static_selectorELNS0_4arch9wavefront6targetE1EEEvSY_
    .private_segment_fixed_size: 0
    .sgpr_count:     52
    .sgpr_spill_count: 0
    .symbol:         _ZN7rocprim17ROCPRIM_400000_NS6detail17trampoline_kernelINS0_13select_configILj256ELj13ELNS0_17block_load_methodE3ELS4_3ELS4_3ELNS0_20block_scan_algorithmE0ELj4294967295EEENS1_25partition_config_selectorILNS1_17partition_subalgoE3EjNS0_10empty_typeEbEEZZNS1_14partition_implILS8_3ELb0ES6_jNS0_17counting_iteratorIjlEEPS9_SE_NS0_5tupleIJPjSE_EEENSF_IJSE_SE_EEES9_SG_JZNS1_25segmented_radix_sort_implINS0_14default_configELb0EPKdPdPKlPlN2at6native12_GLOBAL__N_18offset_tEEE10hipError_tPvRmT1_PNSt15iterator_traitsISY_E10value_typeET2_T3_PNSZ_IS14_E10value_typeET4_jRbjT5_S1A_jjP12ihipStream_tbEUljE_EEESV_SW_SX_S14_S18_S1A_T6_T7_T9_mT8_S1C_bDpT10_ENKUlT_T0_E_clISt17integral_constantIbLb0EES1P_EEDaS1K_S1L_EUlS1K_E_NS1_11comp_targetILNS1_3genE2ELNS1_11target_archE906ELNS1_3gpuE6ELNS1_3repE0EEENS1_30default_config_static_selectorELNS0_4arch9wavefront6targetE1EEEvSY_.kd
    .uniform_work_group_size: 1
    .uses_dynamic_stack: false
    .vgpr_count:     69
    .vgpr_spill_count: 0
    .wavefront_size: 64
  - .args:
      - .offset:         0
        .size:           144
        .value_kind:     by_value
    .group_segment_fixed_size: 0
    .kernarg_segment_align: 8
    .kernarg_segment_size: 144
    .language:       OpenCL C
    .language_version:
      - 2
      - 0
    .max_flat_workgroup_size: 256
    .name:           _ZN7rocprim17ROCPRIM_400000_NS6detail17trampoline_kernelINS0_13select_configILj256ELj13ELNS0_17block_load_methodE3ELS4_3ELS4_3ELNS0_20block_scan_algorithmE0ELj4294967295EEENS1_25partition_config_selectorILNS1_17partition_subalgoE3EjNS0_10empty_typeEbEEZZNS1_14partition_implILS8_3ELb0ES6_jNS0_17counting_iteratorIjlEEPS9_SE_NS0_5tupleIJPjSE_EEENSF_IJSE_SE_EEES9_SG_JZNS1_25segmented_radix_sort_implINS0_14default_configELb0EPKdPdPKlPlN2at6native12_GLOBAL__N_18offset_tEEE10hipError_tPvRmT1_PNSt15iterator_traitsISY_E10value_typeET2_T3_PNSZ_IS14_E10value_typeET4_jRbjT5_S1A_jjP12ihipStream_tbEUljE_EEESV_SW_SX_S14_S18_S1A_T6_T7_T9_mT8_S1C_bDpT10_ENKUlT_T0_E_clISt17integral_constantIbLb0EES1P_EEDaS1K_S1L_EUlS1K_E_NS1_11comp_targetILNS1_3genE10ELNS1_11target_archE1200ELNS1_3gpuE4ELNS1_3repE0EEENS1_30default_config_static_selectorELNS0_4arch9wavefront6targetE1EEEvSY_
    .private_segment_fixed_size: 0
    .sgpr_count:     4
    .sgpr_spill_count: 0
    .symbol:         _ZN7rocprim17ROCPRIM_400000_NS6detail17trampoline_kernelINS0_13select_configILj256ELj13ELNS0_17block_load_methodE3ELS4_3ELS4_3ELNS0_20block_scan_algorithmE0ELj4294967295EEENS1_25partition_config_selectorILNS1_17partition_subalgoE3EjNS0_10empty_typeEbEEZZNS1_14partition_implILS8_3ELb0ES6_jNS0_17counting_iteratorIjlEEPS9_SE_NS0_5tupleIJPjSE_EEENSF_IJSE_SE_EEES9_SG_JZNS1_25segmented_radix_sort_implINS0_14default_configELb0EPKdPdPKlPlN2at6native12_GLOBAL__N_18offset_tEEE10hipError_tPvRmT1_PNSt15iterator_traitsISY_E10value_typeET2_T3_PNSZ_IS14_E10value_typeET4_jRbjT5_S1A_jjP12ihipStream_tbEUljE_EEESV_SW_SX_S14_S18_S1A_T6_T7_T9_mT8_S1C_bDpT10_ENKUlT_T0_E_clISt17integral_constantIbLb0EES1P_EEDaS1K_S1L_EUlS1K_E_NS1_11comp_targetILNS1_3genE10ELNS1_11target_archE1200ELNS1_3gpuE4ELNS1_3repE0EEENS1_30default_config_static_selectorELNS0_4arch9wavefront6targetE1EEEvSY_.kd
    .uniform_work_group_size: 1
    .uses_dynamic_stack: false
    .vgpr_count:     0
    .vgpr_spill_count: 0
    .wavefront_size: 64
  - .args:
      - .offset:         0
        .size:           144
        .value_kind:     by_value
    .group_segment_fixed_size: 0
    .kernarg_segment_align: 8
    .kernarg_segment_size: 144
    .language:       OpenCL C
    .language_version:
      - 2
      - 0
    .max_flat_workgroup_size: 256
    .name:           _ZN7rocprim17ROCPRIM_400000_NS6detail17trampoline_kernelINS0_13select_configILj256ELj13ELNS0_17block_load_methodE3ELS4_3ELS4_3ELNS0_20block_scan_algorithmE0ELj4294967295EEENS1_25partition_config_selectorILNS1_17partition_subalgoE3EjNS0_10empty_typeEbEEZZNS1_14partition_implILS8_3ELb0ES6_jNS0_17counting_iteratorIjlEEPS9_SE_NS0_5tupleIJPjSE_EEENSF_IJSE_SE_EEES9_SG_JZNS1_25segmented_radix_sort_implINS0_14default_configELb0EPKdPdPKlPlN2at6native12_GLOBAL__N_18offset_tEEE10hipError_tPvRmT1_PNSt15iterator_traitsISY_E10value_typeET2_T3_PNSZ_IS14_E10value_typeET4_jRbjT5_S1A_jjP12ihipStream_tbEUljE_EEESV_SW_SX_S14_S18_S1A_T6_T7_T9_mT8_S1C_bDpT10_ENKUlT_T0_E_clISt17integral_constantIbLb0EES1P_EEDaS1K_S1L_EUlS1K_E_NS1_11comp_targetILNS1_3genE9ELNS1_11target_archE1100ELNS1_3gpuE3ELNS1_3repE0EEENS1_30default_config_static_selectorELNS0_4arch9wavefront6targetE1EEEvSY_
    .private_segment_fixed_size: 0
    .sgpr_count:     4
    .sgpr_spill_count: 0
    .symbol:         _ZN7rocprim17ROCPRIM_400000_NS6detail17trampoline_kernelINS0_13select_configILj256ELj13ELNS0_17block_load_methodE3ELS4_3ELS4_3ELNS0_20block_scan_algorithmE0ELj4294967295EEENS1_25partition_config_selectorILNS1_17partition_subalgoE3EjNS0_10empty_typeEbEEZZNS1_14partition_implILS8_3ELb0ES6_jNS0_17counting_iteratorIjlEEPS9_SE_NS0_5tupleIJPjSE_EEENSF_IJSE_SE_EEES9_SG_JZNS1_25segmented_radix_sort_implINS0_14default_configELb0EPKdPdPKlPlN2at6native12_GLOBAL__N_18offset_tEEE10hipError_tPvRmT1_PNSt15iterator_traitsISY_E10value_typeET2_T3_PNSZ_IS14_E10value_typeET4_jRbjT5_S1A_jjP12ihipStream_tbEUljE_EEESV_SW_SX_S14_S18_S1A_T6_T7_T9_mT8_S1C_bDpT10_ENKUlT_T0_E_clISt17integral_constantIbLb0EES1P_EEDaS1K_S1L_EUlS1K_E_NS1_11comp_targetILNS1_3genE9ELNS1_11target_archE1100ELNS1_3gpuE3ELNS1_3repE0EEENS1_30default_config_static_selectorELNS0_4arch9wavefront6targetE1EEEvSY_.kd
    .uniform_work_group_size: 1
    .uses_dynamic_stack: false
    .vgpr_count:     0
    .vgpr_spill_count: 0
    .wavefront_size: 64
  - .args:
      - .offset:         0
        .size:           144
        .value_kind:     by_value
    .group_segment_fixed_size: 0
    .kernarg_segment_align: 8
    .kernarg_segment_size: 144
    .language:       OpenCL C
    .language_version:
      - 2
      - 0
    .max_flat_workgroup_size: 256
    .name:           _ZN7rocprim17ROCPRIM_400000_NS6detail17trampoline_kernelINS0_13select_configILj256ELj13ELNS0_17block_load_methodE3ELS4_3ELS4_3ELNS0_20block_scan_algorithmE0ELj4294967295EEENS1_25partition_config_selectorILNS1_17partition_subalgoE3EjNS0_10empty_typeEbEEZZNS1_14partition_implILS8_3ELb0ES6_jNS0_17counting_iteratorIjlEEPS9_SE_NS0_5tupleIJPjSE_EEENSF_IJSE_SE_EEES9_SG_JZNS1_25segmented_radix_sort_implINS0_14default_configELb0EPKdPdPKlPlN2at6native12_GLOBAL__N_18offset_tEEE10hipError_tPvRmT1_PNSt15iterator_traitsISY_E10value_typeET2_T3_PNSZ_IS14_E10value_typeET4_jRbjT5_S1A_jjP12ihipStream_tbEUljE_EEESV_SW_SX_S14_S18_S1A_T6_T7_T9_mT8_S1C_bDpT10_ENKUlT_T0_E_clISt17integral_constantIbLb0EES1P_EEDaS1K_S1L_EUlS1K_E_NS1_11comp_targetILNS1_3genE8ELNS1_11target_archE1030ELNS1_3gpuE2ELNS1_3repE0EEENS1_30default_config_static_selectorELNS0_4arch9wavefront6targetE1EEEvSY_
    .private_segment_fixed_size: 0
    .sgpr_count:     4
    .sgpr_spill_count: 0
    .symbol:         _ZN7rocprim17ROCPRIM_400000_NS6detail17trampoline_kernelINS0_13select_configILj256ELj13ELNS0_17block_load_methodE3ELS4_3ELS4_3ELNS0_20block_scan_algorithmE0ELj4294967295EEENS1_25partition_config_selectorILNS1_17partition_subalgoE3EjNS0_10empty_typeEbEEZZNS1_14partition_implILS8_3ELb0ES6_jNS0_17counting_iteratorIjlEEPS9_SE_NS0_5tupleIJPjSE_EEENSF_IJSE_SE_EEES9_SG_JZNS1_25segmented_radix_sort_implINS0_14default_configELb0EPKdPdPKlPlN2at6native12_GLOBAL__N_18offset_tEEE10hipError_tPvRmT1_PNSt15iterator_traitsISY_E10value_typeET2_T3_PNSZ_IS14_E10value_typeET4_jRbjT5_S1A_jjP12ihipStream_tbEUljE_EEESV_SW_SX_S14_S18_S1A_T6_T7_T9_mT8_S1C_bDpT10_ENKUlT_T0_E_clISt17integral_constantIbLb0EES1P_EEDaS1K_S1L_EUlS1K_E_NS1_11comp_targetILNS1_3genE8ELNS1_11target_archE1030ELNS1_3gpuE2ELNS1_3repE0EEENS1_30default_config_static_selectorELNS0_4arch9wavefront6targetE1EEEvSY_.kd
    .uniform_work_group_size: 1
    .uses_dynamic_stack: false
    .vgpr_count:     0
    .vgpr_spill_count: 0
    .wavefront_size: 64
  - .args:
      - .offset:         0
        .size:           152
        .value_kind:     by_value
    .group_segment_fixed_size: 0
    .kernarg_segment_align: 8
    .kernarg_segment_size: 152
    .language:       OpenCL C
    .language_version:
      - 2
      - 0
    .max_flat_workgroup_size: 256
    .name:           _ZN7rocprim17ROCPRIM_400000_NS6detail17trampoline_kernelINS0_13select_configILj256ELj13ELNS0_17block_load_methodE3ELS4_3ELS4_3ELNS0_20block_scan_algorithmE0ELj4294967295EEENS1_25partition_config_selectorILNS1_17partition_subalgoE3EjNS0_10empty_typeEbEEZZNS1_14partition_implILS8_3ELb0ES6_jNS0_17counting_iteratorIjlEEPS9_SE_NS0_5tupleIJPjSE_EEENSF_IJSE_SE_EEES9_SG_JZNS1_25segmented_radix_sort_implINS0_14default_configELb0EPKdPdPKlPlN2at6native12_GLOBAL__N_18offset_tEEE10hipError_tPvRmT1_PNSt15iterator_traitsISY_E10value_typeET2_T3_PNSZ_IS14_E10value_typeET4_jRbjT5_S1A_jjP12ihipStream_tbEUljE_EEESV_SW_SX_S14_S18_S1A_T6_T7_T9_mT8_S1C_bDpT10_ENKUlT_T0_E_clISt17integral_constantIbLb1EES1P_EEDaS1K_S1L_EUlS1K_E_NS1_11comp_targetILNS1_3genE0ELNS1_11target_archE4294967295ELNS1_3gpuE0ELNS1_3repE0EEENS1_30default_config_static_selectorELNS0_4arch9wavefront6targetE1EEEvSY_
    .private_segment_fixed_size: 0
    .sgpr_count:     4
    .sgpr_spill_count: 0
    .symbol:         _ZN7rocprim17ROCPRIM_400000_NS6detail17trampoline_kernelINS0_13select_configILj256ELj13ELNS0_17block_load_methodE3ELS4_3ELS4_3ELNS0_20block_scan_algorithmE0ELj4294967295EEENS1_25partition_config_selectorILNS1_17partition_subalgoE3EjNS0_10empty_typeEbEEZZNS1_14partition_implILS8_3ELb0ES6_jNS0_17counting_iteratorIjlEEPS9_SE_NS0_5tupleIJPjSE_EEENSF_IJSE_SE_EEES9_SG_JZNS1_25segmented_radix_sort_implINS0_14default_configELb0EPKdPdPKlPlN2at6native12_GLOBAL__N_18offset_tEEE10hipError_tPvRmT1_PNSt15iterator_traitsISY_E10value_typeET2_T3_PNSZ_IS14_E10value_typeET4_jRbjT5_S1A_jjP12ihipStream_tbEUljE_EEESV_SW_SX_S14_S18_S1A_T6_T7_T9_mT8_S1C_bDpT10_ENKUlT_T0_E_clISt17integral_constantIbLb1EES1P_EEDaS1K_S1L_EUlS1K_E_NS1_11comp_targetILNS1_3genE0ELNS1_11target_archE4294967295ELNS1_3gpuE0ELNS1_3repE0EEENS1_30default_config_static_selectorELNS0_4arch9wavefront6targetE1EEEvSY_.kd
    .uniform_work_group_size: 1
    .uses_dynamic_stack: false
    .vgpr_count:     0
    .vgpr_spill_count: 0
    .wavefront_size: 64
  - .args:
      - .offset:         0
        .size:           152
        .value_kind:     by_value
    .group_segment_fixed_size: 0
    .kernarg_segment_align: 8
    .kernarg_segment_size: 152
    .language:       OpenCL C
    .language_version:
      - 2
      - 0
    .max_flat_workgroup_size: 256
    .name:           _ZN7rocprim17ROCPRIM_400000_NS6detail17trampoline_kernelINS0_13select_configILj256ELj13ELNS0_17block_load_methodE3ELS4_3ELS4_3ELNS0_20block_scan_algorithmE0ELj4294967295EEENS1_25partition_config_selectorILNS1_17partition_subalgoE3EjNS0_10empty_typeEbEEZZNS1_14partition_implILS8_3ELb0ES6_jNS0_17counting_iteratorIjlEEPS9_SE_NS0_5tupleIJPjSE_EEENSF_IJSE_SE_EEES9_SG_JZNS1_25segmented_radix_sort_implINS0_14default_configELb0EPKdPdPKlPlN2at6native12_GLOBAL__N_18offset_tEEE10hipError_tPvRmT1_PNSt15iterator_traitsISY_E10value_typeET2_T3_PNSZ_IS14_E10value_typeET4_jRbjT5_S1A_jjP12ihipStream_tbEUljE_EEESV_SW_SX_S14_S18_S1A_T6_T7_T9_mT8_S1C_bDpT10_ENKUlT_T0_E_clISt17integral_constantIbLb1EES1P_EEDaS1K_S1L_EUlS1K_E_NS1_11comp_targetILNS1_3genE5ELNS1_11target_archE942ELNS1_3gpuE9ELNS1_3repE0EEENS1_30default_config_static_selectorELNS0_4arch9wavefront6targetE1EEEvSY_
    .private_segment_fixed_size: 0
    .sgpr_count:     4
    .sgpr_spill_count: 0
    .symbol:         _ZN7rocprim17ROCPRIM_400000_NS6detail17trampoline_kernelINS0_13select_configILj256ELj13ELNS0_17block_load_methodE3ELS4_3ELS4_3ELNS0_20block_scan_algorithmE0ELj4294967295EEENS1_25partition_config_selectorILNS1_17partition_subalgoE3EjNS0_10empty_typeEbEEZZNS1_14partition_implILS8_3ELb0ES6_jNS0_17counting_iteratorIjlEEPS9_SE_NS0_5tupleIJPjSE_EEENSF_IJSE_SE_EEES9_SG_JZNS1_25segmented_radix_sort_implINS0_14default_configELb0EPKdPdPKlPlN2at6native12_GLOBAL__N_18offset_tEEE10hipError_tPvRmT1_PNSt15iterator_traitsISY_E10value_typeET2_T3_PNSZ_IS14_E10value_typeET4_jRbjT5_S1A_jjP12ihipStream_tbEUljE_EEESV_SW_SX_S14_S18_S1A_T6_T7_T9_mT8_S1C_bDpT10_ENKUlT_T0_E_clISt17integral_constantIbLb1EES1P_EEDaS1K_S1L_EUlS1K_E_NS1_11comp_targetILNS1_3genE5ELNS1_11target_archE942ELNS1_3gpuE9ELNS1_3repE0EEENS1_30default_config_static_selectorELNS0_4arch9wavefront6targetE1EEEvSY_.kd
    .uniform_work_group_size: 1
    .uses_dynamic_stack: false
    .vgpr_count:     0
    .vgpr_spill_count: 0
    .wavefront_size: 64
  - .args:
      - .offset:         0
        .size:           152
        .value_kind:     by_value
    .group_segment_fixed_size: 0
    .kernarg_segment_align: 8
    .kernarg_segment_size: 152
    .language:       OpenCL C
    .language_version:
      - 2
      - 0
    .max_flat_workgroup_size: 256
    .name:           _ZN7rocprim17ROCPRIM_400000_NS6detail17trampoline_kernelINS0_13select_configILj256ELj13ELNS0_17block_load_methodE3ELS4_3ELS4_3ELNS0_20block_scan_algorithmE0ELj4294967295EEENS1_25partition_config_selectorILNS1_17partition_subalgoE3EjNS0_10empty_typeEbEEZZNS1_14partition_implILS8_3ELb0ES6_jNS0_17counting_iteratorIjlEEPS9_SE_NS0_5tupleIJPjSE_EEENSF_IJSE_SE_EEES9_SG_JZNS1_25segmented_radix_sort_implINS0_14default_configELb0EPKdPdPKlPlN2at6native12_GLOBAL__N_18offset_tEEE10hipError_tPvRmT1_PNSt15iterator_traitsISY_E10value_typeET2_T3_PNSZ_IS14_E10value_typeET4_jRbjT5_S1A_jjP12ihipStream_tbEUljE_EEESV_SW_SX_S14_S18_S1A_T6_T7_T9_mT8_S1C_bDpT10_ENKUlT_T0_E_clISt17integral_constantIbLb1EES1P_EEDaS1K_S1L_EUlS1K_E_NS1_11comp_targetILNS1_3genE4ELNS1_11target_archE910ELNS1_3gpuE8ELNS1_3repE0EEENS1_30default_config_static_selectorELNS0_4arch9wavefront6targetE1EEEvSY_
    .private_segment_fixed_size: 0
    .sgpr_count:     4
    .sgpr_spill_count: 0
    .symbol:         _ZN7rocprim17ROCPRIM_400000_NS6detail17trampoline_kernelINS0_13select_configILj256ELj13ELNS0_17block_load_methodE3ELS4_3ELS4_3ELNS0_20block_scan_algorithmE0ELj4294967295EEENS1_25partition_config_selectorILNS1_17partition_subalgoE3EjNS0_10empty_typeEbEEZZNS1_14partition_implILS8_3ELb0ES6_jNS0_17counting_iteratorIjlEEPS9_SE_NS0_5tupleIJPjSE_EEENSF_IJSE_SE_EEES9_SG_JZNS1_25segmented_radix_sort_implINS0_14default_configELb0EPKdPdPKlPlN2at6native12_GLOBAL__N_18offset_tEEE10hipError_tPvRmT1_PNSt15iterator_traitsISY_E10value_typeET2_T3_PNSZ_IS14_E10value_typeET4_jRbjT5_S1A_jjP12ihipStream_tbEUljE_EEESV_SW_SX_S14_S18_S1A_T6_T7_T9_mT8_S1C_bDpT10_ENKUlT_T0_E_clISt17integral_constantIbLb1EES1P_EEDaS1K_S1L_EUlS1K_E_NS1_11comp_targetILNS1_3genE4ELNS1_11target_archE910ELNS1_3gpuE8ELNS1_3repE0EEENS1_30default_config_static_selectorELNS0_4arch9wavefront6targetE1EEEvSY_.kd
    .uniform_work_group_size: 1
    .uses_dynamic_stack: false
    .vgpr_count:     0
    .vgpr_spill_count: 0
    .wavefront_size: 64
  - .args:
      - .offset:         0
        .size:           152
        .value_kind:     by_value
    .group_segment_fixed_size: 0
    .kernarg_segment_align: 8
    .kernarg_segment_size: 152
    .language:       OpenCL C
    .language_version:
      - 2
      - 0
    .max_flat_workgroup_size: 256
    .name:           _ZN7rocprim17ROCPRIM_400000_NS6detail17trampoline_kernelINS0_13select_configILj256ELj13ELNS0_17block_load_methodE3ELS4_3ELS4_3ELNS0_20block_scan_algorithmE0ELj4294967295EEENS1_25partition_config_selectorILNS1_17partition_subalgoE3EjNS0_10empty_typeEbEEZZNS1_14partition_implILS8_3ELb0ES6_jNS0_17counting_iteratorIjlEEPS9_SE_NS0_5tupleIJPjSE_EEENSF_IJSE_SE_EEES9_SG_JZNS1_25segmented_radix_sort_implINS0_14default_configELb0EPKdPdPKlPlN2at6native12_GLOBAL__N_18offset_tEEE10hipError_tPvRmT1_PNSt15iterator_traitsISY_E10value_typeET2_T3_PNSZ_IS14_E10value_typeET4_jRbjT5_S1A_jjP12ihipStream_tbEUljE_EEESV_SW_SX_S14_S18_S1A_T6_T7_T9_mT8_S1C_bDpT10_ENKUlT_T0_E_clISt17integral_constantIbLb1EES1P_EEDaS1K_S1L_EUlS1K_E_NS1_11comp_targetILNS1_3genE3ELNS1_11target_archE908ELNS1_3gpuE7ELNS1_3repE0EEENS1_30default_config_static_selectorELNS0_4arch9wavefront6targetE1EEEvSY_
    .private_segment_fixed_size: 0
    .sgpr_count:     4
    .sgpr_spill_count: 0
    .symbol:         _ZN7rocprim17ROCPRIM_400000_NS6detail17trampoline_kernelINS0_13select_configILj256ELj13ELNS0_17block_load_methodE3ELS4_3ELS4_3ELNS0_20block_scan_algorithmE0ELj4294967295EEENS1_25partition_config_selectorILNS1_17partition_subalgoE3EjNS0_10empty_typeEbEEZZNS1_14partition_implILS8_3ELb0ES6_jNS0_17counting_iteratorIjlEEPS9_SE_NS0_5tupleIJPjSE_EEENSF_IJSE_SE_EEES9_SG_JZNS1_25segmented_radix_sort_implINS0_14default_configELb0EPKdPdPKlPlN2at6native12_GLOBAL__N_18offset_tEEE10hipError_tPvRmT1_PNSt15iterator_traitsISY_E10value_typeET2_T3_PNSZ_IS14_E10value_typeET4_jRbjT5_S1A_jjP12ihipStream_tbEUljE_EEESV_SW_SX_S14_S18_S1A_T6_T7_T9_mT8_S1C_bDpT10_ENKUlT_T0_E_clISt17integral_constantIbLb1EES1P_EEDaS1K_S1L_EUlS1K_E_NS1_11comp_targetILNS1_3genE3ELNS1_11target_archE908ELNS1_3gpuE7ELNS1_3repE0EEENS1_30default_config_static_selectorELNS0_4arch9wavefront6targetE1EEEvSY_.kd
    .uniform_work_group_size: 1
    .uses_dynamic_stack: false
    .vgpr_count:     0
    .vgpr_spill_count: 0
    .wavefront_size: 64
  - .args:
      - .offset:         0
        .size:           152
        .value_kind:     by_value
    .group_segment_fixed_size: 0
    .kernarg_segment_align: 8
    .kernarg_segment_size: 152
    .language:       OpenCL C
    .language_version:
      - 2
      - 0
    .max_flat_workgroup_size: 256
    .name:           _ZN7rocprim17ROCPRIM_400000_NS6detail17trampoline_kernelINS0_13select_configILj256ELj13ELNS0_17block_load_methodE3ELS4_3ELS4_3ELNS0_20block_scan_algorithmE0ELj4294967295EEENS1_25partition_config_selectorILNS1_17partition_subalgoE3EjNS0_10empty_typeEbEEZZNS1_14partition_implILS8_3ELb0ES6_jNS0_17counting_iteratorIjlEEPS9_SE_NS0_5tupleIJPjSE_EEENSF_IJSE_SE_EEES9_SG_JZNS1_25segmented_radix_sort_implINS0_14default_configELb0EPKdPdPKlPlN2at6native12_GLOBAL__N_18offset_tEEE10hipError_tPvRmT1_PNSt15iterator_traitsISY_E10value_typeET2_T3_PNSZ_IS14_E10value_typeET4_jRbjT5_S1A_jjP12ihipStream_tbEUljE_EEESV_SW_SX_S14_S18_S1A_T6_T7_T9_mT8_S1C_bDpT10_ENKUlT_T0_E_clISt17integral_constantIbLb1EES1P_EEDaS1K_S1L_EUlS1K_E_NS1_11comp_targetILNS1_3genE2ELNS1_11target_archE906ELNS1_3gpuE6ELNS1_3repE0EEENS1_30default_config_static_selectorELNS0_4arch9wavefront6targetE1EEEvSY_
    .private_segment_fixed_size: 0
    .sgpr_count:     4
    .sgpr_spill_count: 0
    .symbol:         _ZN7rocprim17ROCPRIM_400000_NS6detail17trampoline_kernelINS0_13select_configILj256ELj13ELNS0_17block_load_methodE3ELS4_3ELS4_3ELNS0_20block_scan_algorithmE0ELj4294967295EEENS1_25partition_config_selectorILNS1_17partition_subalgoE3EjNS0_10empty_typeEbEEZZNS1_14partition_implILS8_3ELb0ES6_jNS0_17counting_iteratorIjlEEPS9_SE_NS0_5tupleIJPjSE_EEENSF_IJSE_SE_EEES9_SG_JZNS1_25segmented_radix_sort_implINS0_14default_configELb0EPKdPdPKlPlN2at6native12_GLOBAL__N_18offset_tEEE10hipError_tPvRmT1_PNSt15iterator_traitsISY_E10value_typeET2_T3_PNSZ_IS14_E10value_typeET4_jRbjT5_S1A_jjP12ihipStream_tbEUljE_EEESV_SW_SX_S14_S18_S1A_T6_T7_T9_mT8_S1C_bDpT10_ENKUlT_T0_E_clISt17integral_constantIbLb1EES1P_EEDaS1K_S1L_EUlS1K_E_NS1_11comp_targetILNS1_3genE2ELNS1_11target_archE906ELNS1_3gpuE6ELNS1_3repE0EEENS1_30default_config_static_selectorELNS0_4arch9wavefront6targetE1EEEvSY_.kd
    .uniform_work_group_size: 1
    .uses_dynamic_stack: false
    .vgpr_count:     0
    .vgpr_spill_count: 0
    .wavefront_size: 64
  - .args:
      - .offset:         0
        .size:           152
        .value_kind:     by_value
    .group_segment_fixed_size: 0
    .kernarg_segment_align: 8
    .kernarg_segment_size: 152
    .language:       OpenCL C
    .language_version:
      - 2
      - 0
    .max_flat_workgroup_size: 256
    .name:           _ZN7rocprim17ROCPRIM_400000_NS6detail17trampoline_kernelINS0_13select_configILj256ELj13ELNS0_17block_load_methodE3ELS4_3ELS4_3ELNS0_20block_scan_algorithmE0ELj4294967295EEENS1_25partition_config_selectorILNS1_17partition_subalgoE3EjNS0_10empty_typeEbEEZZNS1_14partition_implILS8_3ELb0ES6_jNS0_17counting_iteratorIjlEEPS9_SE_NS0_5tupleIJPjSE_EEENSF_IJSE_SE_EEES9_SG_JZNS1_25segmented_radix_sort_implINS0_14default_configELb0EPKdPdPKlPlN2at6native12_GLOBAL__N_18offset_tEEE10hipError_tPvRmT1_PNSt15iterator_traitsISY_E10value_typeET2_T3_PNSZ_IS14_E10value_typeET4_jRbjT5_S1A_jjP12ihipStream_tbEUljE_EEESV_SW_SX_S14_S18_S1A_T6_T7_T9_mT8_S1C_bDpT10_ENKUlT_T0_E_clISt17integral_constantIbLb1EES1P_EEDaS1K_S1L_EUlS1K_E_NS1_11comp_targetILNS1_3genE10ELNS1_11target_archE1200ELNS1_3gpuE4ELNS1_3repE0EEENS1_30default_config_static_selectorELNS0_4arch9wavefront6targetE1EEEvSY_
    .private_segment_fixed_size: 0
    .sgpr_count:     4
    .sgpr_spill_count: 0
    .symbol:         _ZN7rocprim17ROCPRIM_400000_NS6detail17trampoline_kernelINS0_13select_configILj256ELj13ELNS0_17block_load_methodE3ELS4_3ELS4_3ELNS0_20block_scan_algorithmE0ELj4294967295EEENS1_25partition_config_selectorILNS1_17partition_subalgoE3EjNS0_10empty_typeEbEEZZNS1_14partition_implILS8_3ELb0ES6_jNS0_17counting_iteratorIjlEEPS9_SE_NS0_5tupleIJPjSE_EEENSF_IJSE_SE_EEES9_SG_JZNS1_25segmented_radix_sort_implINS0_14default_configELb0EPKdPdPKlPlN2at6native12_GLOBAL__N_18offset_tEEE10hipError_tPvRmT1_PNSt15iterator_traitsISY_E10value_typeET2_T3_PNSZ_IS14_E10value_typeET4_jRbjT5_S1A_jjP12ihipStream_tbEUljE_EEESV_SW_SX_S14_S18_S1A_T6_T7_T9_mT8_S1C_bDpT10_ENKUlT_T0_E_clISt17integral_constantIbLb1EES1P_EEDaS1K_S1L_EUlS1K_E_NS1_11comp_targetILNS1_3genE10ELNS1_11target_archE1200ELNS1_3gpuE4ELNS1_3repE0EEENS1_30default_config_static_selectorELNS0_4arch9wavefront6targetE1EEEvSY_.kd
    .uniform_work_group_size: 1
    .uses_dynamic_stack: false
    .vgpr_count:     0
    .vgpr_spill_count: 0
    .wavefront_size: 64
  - .args:
      - .offset:         0
        .size:           152
        .value_kind:     by_value
    .group_segment_fixed_size: 0
    .kernarg_segment_align: 8
    .kernarg_segment_size: 152
    .language:       OpenCL C
    .language_version:
      - 2
      - 0
    .max_flat_workgroup_size: 256
    .name:           _ZN7rocprim17ROCPRIM_400000_NS6detail17trampoline_kernelINS0_13select_configILj256ELj13ELNS0_17block_load_methodE3ELS4_3ELS4_3ELNS0_20block_scan_algorithmE0ELj4294967295EEENS1_25partition_config_selectorILNS1_17partition_subalgoE3EjNS0_10empty_typeEbEEZZNS1_14partition_implILS8_3ELb0ES6_jNS0_17counting_iteratorIjlEEPS9_SE_NS0_5tupleIJPjSE_EEENSF_IJSE_SE_EEES9_SG_JZNS1_25segmented_radix_sort_implINS0_14default_configELb0EPKdPdPKlPlN2at6native12_GLOBAL__N_18offset_tEEE10hipError_tPvRmT1_PNSt15iterator_traitsISY_E10value_typeET2_T3_PNSZ_IS14_E10value_typeET4_jRbjT5_S1A_jjP12ihipStream_tbEUljE_EEESV_SW_SX_S14_S18_S1A_T6_T7_T9_mT8_S1C_bDpT10_ENKUlT_T0_E_clISt17integral_constantIbLb1EES1P_EEDaS1K_S1L_EUlS1K_E_NS1_11comp_targetILNS1_3genE9ELNS1_11target_archE1100ELNS1_3gpuE3ELNS1_3repE0EEENS1_30default_config_static_selectorELNS0_4arch9wavefront6targetE1EEEvSY_
    .private_segment_fixed_size: 0
    .sgpr_count:     4
    .sgpr_spill_count: 0
    .symbol:         _ZN7rocprim17ROCPRIM_400000_NS6detail17trampoline_kernelINS0_13select_configILj256ELj13ELNS0_17block_load_methodE3ELS4_3ELS4_3ELNS0_20block_scan_algorithmE0ELj4294967295EEENS1_25partition_config_selectorILNS1_17partition_subalgoE3EjNS0_10empty_typeEbEEZZNS1_14partition_implILS8_3ELb0ES6_jNS0_17counting_iteratorIjlEEPS9_SE_NS0_5tupleIJPjSE_EEENSF_IJSE_SE_EEES9_SG_JZNS1_25segmented_radix_sort_implINS0_14default_configELb0EPKdPdPKlPlN2at6native12_GLOBAL__N_18offset_tEEE10hipError_tPvRmT1_PNSt15iterator_traitsISY_E10value_typeET2_T3_PNSZ_IS14_E10value_typeET4_jRbjT5_S1A_jjP12ihipStream_tbEUljE_EEESV_SW_SX_S14_S18_S1A_T6_T7_T9_mT8_S1C_bDpT10_ENKUlT_T0_E_clISt17integral_constantIbLb1EES1P_EEDaS1K_S1L_EUlS1K_E_NS1_11comp_targetILNS1_3genE9ELNS1_11target_archE1100ELNS1_3gpuE3ELNS1_3repE0EEENS1_30default_config_static_selectorELNS0_4arch9wavefront6targetE1EEEvSY_.kd
    .uniform_work_group_size: 1
    .uses_dynamic_stack: false
    .vgpr_count:     0
    .vgpr_spill_count: 0
    .wavefront_size: 64
  - .args:
      - .offset:         0
        .size:           152
        .value_kind:     by_value
    .group_segment_fixed_size: 0
    .kernarg_segment_align: 8
    .kernarg_segment_size: 152
    .language:       OpenCL C
    .language_version:
      - 2
      - 0
    .max_flat_workgroup_size: 256
    .name:           _ZN7rocprim17ROCPRIM_400000_NS6detail17trampoline_kernelINS0_13select_configILj256ELj13ELNS0_17block_load_methodE3ELS4_3ELS4_3ELNS0_20block_scan_algorithmE0ELj4294967295EEENS1_25partition_config_selectorILNS1_17partition_subalgoE3EjNS0_10empty_typeEbEEZZNS1_14partition_implILS8_3ELb0ES6_jNS0_17counting_iteratorIjlEEPS9_SE_NS0_5tupleIJPjSE_EEENSF_IJSE_SE_EEES9_SG_JZNS1_25segmented_radix_sort_implINS0_14default_configELb0EPKdPdPKlPlN2at6native12_GLOBAL__N_18offset_tEEE10hipError_tPvRmT1_PNSt15iterator_traitsISY_E10value_typeET2_T3_PNSZ_IS14_E10value_typeET4_jRbjT5_S1A_jjP12ihipStream_tbEUljE_EEESV_SW_SX_S14_S18_S1A_T6_T7_T9_mT8_S1C_bDpT10_ENKUlT_T0_E_clISt17integral_constantIbLb1EES1P_EEDaS1K_S1L_EUlS1K_E_NS1_11comp_targetILNS1_3genE8ELNS1_11target_archE1030ELNS1_3gpuE2ELNS1_3repE0EEENS1_30default_config_static_selectorELNS0_4arch9wavefront6targetE1EEEvSY_
    .private_segment_fixed_size: 0
    .sgpr_count:     4
    .sgpr_spill_count: 0
    .symbol:         _ZN7rocprim17ROCPRIM_400000_NS6detail17trampoline_kernelINS0_13select_configILj256ELj13ELNS0_17block_load_methodE3ELS4_3ELS4_3ELNS0_20block_scan_algorithmE0ELj4294967295EEENS1_25partition_config_selectorILNS1_17partition_subalgoE3EjNS0_10empty_typeEbEEZZNS1_14partition_implILS8_3ELb0ES6_jNS0_17counting_iteratorIjlEEPS9_SE_NS0_5tupleIJPjSE_EEENSF_IJSE_SE_EEES9_SG_JZNS1_25segmented_radix_sort_implINS0_14default_configELb0EPKdPdPKlPlN2at6native12_GLOBAL__N_18offset_tEEE10hipError_tPvRmT1_PNSt15iterator_traitsISY_E10value_typeET2_T3_PNSZ_IS14_E10value_typeET4_jRbjT5_S1A_jjP12ihipStream_tbEUljE_EEESV_SW_SX_S14_S18_S1A_T6_T7_T9_mT8_S1C_bDpT10_ENKUlT_T0_E_clISt17integral_constantIbLb1EES1P_EEDaS1K_S1L_EUlS1K_E_NS1_11comp_targetILNS1_3genE8ELNS1_11target_archE1030ELNS1_3gpuE2ELNS1_3repE0EEENS1_30default_config_static_selectorELNS0_4arch9wavefront6targetE1EEEvSY_.kd
    .uniform_work_group_size: 1
    .uses_dynamic_stack: false
    .vgpr_count:     0
    .vgpr_spill_count: 0
    .wavefront_size: 64
  - .args:
      - .offset:         0
        .size:           144
        .value_kind:     by_value
    .group_segment_fixed_size: 0
    .kernarg_segment_align: 8
    .kernarg_segment_size: 144
    .language:       OpenCL C
    .language_version:
      - 2
      - 0
    .max_flat_workgroup_size: 256
    .name:           _ZN7rocprim17ROCPRIM_400000_NS6detail17trampoline_kernelINS0_13select_configILj256ELj13ELNS0_17block_load_methodE3ELS4_3ELS4_3ELNS0_20block_scan_algorithmE0ELj4294967295EEENS1_25partition_config_selectorILNS1_17partition_subalgoE3EjNS0_10empty_typeEbEEZZNS1_14partition_implILS8_3ELb0ES6_jNS0_17counting_iteratorIjlEEPS9_SE_NS0_5tupleIJPjSE_EEENSF_IJSE_SE_EEES9_SG_JZNS1_25segmented_radix_sort_implINS0_14default_configELb0EPKdPdPKlPlN2at6native12_GLOBAL__N_18offset_tEEE10hipError_tPvRmT1_PNSt15iterator_traitsISY_E10value_typeET2_T3_PNSZ_IS14_E10value_typeET4_jRbjT5_S1A_jjP12ihipStream_tbEUljE_EEESV_SW_SX_S14_S18_S1A_T6_T7_T9_mT8_S1C_bDpT10_ENKUlT_T0_E_clISt17integral_constantIbLb1EES1O_IbLb0EEEEDaS1K_S1L_EUlS1K_E_NS1_11comp_targetILNS1_3genE0ELNS1_11target_archE4294967295ELNS1_3gpuE0ELNS1_3repE0EEENS1_30default_config_static_selectorELNS0_4arch9wavefront6targetE1EEEvSY_
    .private_segment_fixed_size: 0
    .sgpr_count:     4
    .sgpr_spill_count: 0
    .symbol:         _ZN7rocprim17ROCPRIM_400000_NS6detail17trampoline_kernelINS0_13select_configILj256ELj13ELNS0_17block_load_methodE3ELS4_3ELS4_3ELNS0_20block_scan_algorithmE0ELj4294967295EEENS1_25partition_config_selectorILNS1_17partition_subalgoE3EjNS0_10empty_typeEbEEZZNS1_14partition_implILS8_3ELb0ES6_jNS0_17counting_iteratorIjlEEPS9_SE_NS0_5tupleIJPjSE_EEENSF_IJSE_SE_EEES9_SG_JZNS1_25segmented_radix_sort_implINS0_14default_configELb0EPKdPdPKlPlN2at6native12_GLOBAL__N_18offset_tEEE10hipError_tPvRmT1_PNSt15iterator_traitsISY_E10value_typeET2_T3_PNSZ_IS14_E10value_typeET4_jRbjT5_S1A_jjP12ihipStream_tbEUljE_EEESV_SW_SX_S14_S18_S1A_T6_T7_T9_mT8_S1C_bDpT10_ENKUlT_T0_E_clISt17integral_constantIbLb1EES1O_IbLb0EEEEDaS1K_S1L_EUlS1K_E_NS1_11comp_targetILNS1_3genE0ELNS1_11target_archE4294967295ELNS1_3gpuE0ELNS1_3repE0EEENS1_30default_config_static_selectorELNS0_4arch9wavefront6targetE1EEEvSY_.kd
    .uniform_work_group_size: 1
    .uses_dynamic_stack: false
    .vgpr_count:     0
    .vgpr_spill_count: 0
    .wavefront_size: 64
  - .args:
      - .offset:         0
        .size:           144
        .value_kind:     by_value
    .group_segment_fixed_size: 0
    .kernarg_segment_align: 8
    .kernarg_segment_size: 144
    .language:       OpenCL C
    .language_version:
      - 2
      - 0
    .max_flat_workgroup_size: 256
    .name:           _ZN7rocprim17ROCPRIM_400000_NS6detail17trampoline_kernelINS0_13select_configILj256ELj13ELNS0_17block_load_methodE3ELS4_3ELS4_3ELNS0_20block_scan_algorithmE0ELj4294967295EEENS1_25partition_config_selectorILNS1_17partition_subalgoE3EjNS0_10empty_typeEbEEZZNS1_14partition_implILS8_3ELb0ES6_jNS0_17counting_iteratorIjlEEPS9_SE_NS0_5tupleIJPjSE_EEENSF_IJSE_SE_EEES9_SG_JZNS1_25segmented_radix_sort_implINS0_14default_configELb0EPKdPdPKlPlN2at6native12_GLOBAL__N_18offset_tEEE10hipError_tPvRmT1_PNSt15iterator_traitsISY_E10value_typeET2_T3_PNSZ_IS14_E10value_typeET4_jRbjT5_S1A_jjP12ihipStream_tbEUljE_EEESV_SW_SX_S14_S18_S1A_T6_T7_T9_mT8_S1C_bDpT10_ENKUlT_T0_E_clISt17integral_constantIbLb1EES1O_IbLb0EEEEDaS1K_S1L_EUlS1K_E_NS1_11comp_targetILNS1_3genE5ELNS1_11target_archE942ELNS1_3gpuE9ELNS1_3repE0EEENS1_30default_config_static_selectorELNS0_4arch9wavefront6targetE1EEEvSY_
    .private_segment_fixed_size: 0
    .sgpr_count:     4
    .sgpr_spill_count: 0
    .symbol:         _ZN7rocprim17ROCPRIM_400000_NS6detail17trampoline_kernelINS0_13select_configILj256ELj13ELNS0_17block_load_methodE3ELS4_3ELS4_3ELNS0_20block_scan_algorithmE0ELj4294967295EEENS1_25partition_config_selectorILNS1_17partition_subalgoE3EjNS0_10empty_typeEbEEZZNS1_14partition_implILS8_3ELb0ES6_jNS0_17counting_iteratorIjlEEPS9_SE_NS0_5tupleIJPjSE_EEENSF_IJSE_SE_EEES9_SG_JZNS1_25segmented_radix_sort_implINS0_14default_configELb0EPKdPdPKlPlN2at6native12_GLOBAL__N_18offset_tEEE10hipError_tPvRmT1_PNSt15iterator_traitsISY_E10value_typeET2_T3_PNSZ_IS14_E10value_typeET4_jRbjT5_S1A_jjP12ihipStream_tbEUljE_EEESV_SW_SX_S14_S18_S1A_T6_T7_T9_mT8_S1C_bDpT10_ENKUlT_T0_E_clISt17integral_constantIbLb1EES1O_IbLb0EEEEDaS1K_S1L_EUlS1K_E_NS1_11comp_targetILNS1_3genE5ELNS1_11target_archE942ELNS1_3gpuE9ELNS1_3repE0EEENS1_30default_config_static_selectorELNS0_4arch9wavefront6targetE1EEEvSY_.kd
    .uniform_work_group_size: 1
    .uses_dynamic_stack: false
    .vgpr_count:     0
    .vgpr_spill_count: 0
    .wavefront_size: 64
  - .args:
      - .offset:         0
        .size:           144
        .value_kind:     by_value
    .group_segment_fixed_size: 0
    .kernarg_segment_align: 8
    .kernarg_segment_size: 144
    .language:       OpenCL C
    .language_version:
      - 2
      - 0
    .max_flat_workgroup_size: 256
    .name:           _ZN7rocprim17ROCPRIM_400000_NS6detail17trampoline_kernelINS0_13select_configILj256ELj13ELNS0_17block_load_methodE3ELS4_3ELS4_3ELNS0_20block_scan_algorithmE0ELj4294967295EEENS1_25partition_config_selectorILNS1_17partition_subalgoE3EjNS0_10empty_typeEbEEZZNS1_14partition_implILS8_3ELb0ES6_jNS0_17counting_iteratorIjlEEPS9_SE_NS0_5tupleIJPjSE_EEENSF_IJSE_SE_EEES9_SG_JZNS1_25segmented_radix_sort_implINS0_14default_configELb0EPKdPdPKlPlN2at6native12_GLOBAL__N_18offset_tEEE10hipError_tPvRmT1_PNSt15iterator_traitsISY_E10value_typeET2_T3_PNSZ_IS14_E10value_typeET4_jRbjT5_S1A_jjP12ihipStream_tbEUljE_EEESV_SW_SX_S14_S18_S1A_T6_T7_T9_mT8_S1C_bDpT10_ENKUlT_T0_E_clISt17integral_constantIbLb1EES1O_IbLb0EEEEDaS1K_S1L_EUlS1K_E_NS1_11comp_targetILNS1_3genE4ELNS1_11target_archE910ELNS1_3gpuE8ELNS1_3repE0EEENS1_30default_config_static_selectorELNS0_4arch9wavefront6targetE1EEEvSY_
    .private_segment_fixed_size: 0
    .sgpr_count:     4
    .sgpr_spill_count: 0
    .symbol:         _ZN7rocprim17ROCPRIM_400000_NS6detail17trampoline_kernelINS0_13select_configILj256ELj13ELNS0_17block_load_methodE3ELS4_3ELS4_3ELNS0_20block_scan_algorithmE0ELj4294967295EEENS1_25partition_config_selectorILNS1_17partition_subalgoE3EjNS0_10empty_typeEbEEZZNS1_14partition_implILS8_3ELb0ES6_jNS0_17counting_iteratorIjlEEPS9_SE_NS0_5tupleIJPjSE_EEENSF_IJSE_SE_EEES9_SG_JZNS1_25segmented_radix_sort_implINS0_14default_configELb0EPKdPdPKlPlN2at6native12_GLOBAL__N_18offset_tEEE10hipError_tPvRmT1_PNSt15iterator_traitsISY_E10value_typeET2_T3_PNSZ_IS14_E10value_typeET4_jRbjT5_S1A_jjP12ihipStream_tbEUljE_EEESV_SW_SX_S14_S18_S1A_T6_T7_T9_mT8_S1C_bDpT10_ENKUlT_T0_E_clISt17integral_constantIbLb1EES1O_IbLb0EEEEDaS1K_S1L_EUlS1K_E_NS1_11comp_targetILNS1_3genE4ELNS1_11target_archE910ELNS1_3gpuE8ELNS1_3repE0EEENS1_30default_config_static_selectorELNS0_4arch9wavefront6targetE1EEEvSY_.kd
    .uniform_work_group_size: 1
    .uses_dynamic_stack: false
    .vgpr_count:     0
    .vgpr_spill_count: 0
    .wavefront_size: 64
  - .args:
      - .offset:         0
        .size:           144
        .value_kind:     by_value
    .group_segment_fixed_size: 0
    .kernarg_segment_align: 8
    .kernarg_segment_size: 144
    .language:       OpenCL C
    .language_version:
      - 2
      - 0
    .max_flat_workgroup_size: 256
    .name:           _ZN7rocprim17ROCPRIM_400000_NS6detail17trampoline_kernelINS0_13select_configILj256ELj13ELNS0_17block_load_methodE3ELS4_3ELS4_3ELNS0_20block_scan_algorithmE0ELj4294967295EEENS1_25partition_config_selectorILNS1_17partition_subalgoE3EjNS0_10empty_typeEbEEZZNS1_14partition_implILS8_3ELb0ES6_jNS0_17counting_iteratorIjlEEPS9_SE_NS0_5tupleIJPjSE_EEENSF_IJSE_SE_EEES9_SG_JZNS1_25segmented_radix_sort_implINS0_14default_configELb0EPKdPdPKlPlN2at6native12_GLOBAL__N_18offset_tEEE10hipError_tPvRmT1_PNSt15iterator_traitsISY_E10value_typeET2_T3_PNSZ_IS14_E10value_typeET4_jRbjT5_S1A_jjP12ihipStream_tbEUljE_EEESV_SW_SX_S14_S18_S1A_T6_T7_T9_mT8_S1C_bDpT10_ENKUlT_T0_E_clISt17integral_constantIbLb1EES1O_IbLb0EEEEDaS1K_S1L_EUlS1K_E_NS1_11comp_targetILNS1_3genE3ELNS1_11target_archE908ELNS1_3gpuE7ELNS1_3repE0EEENS1_30default_config_static_selectorELNS0_4arch9wavefront6targetE1EEEvSY_
    .private_segment_fixed_size: 0
    .sgpr_count:     4
    .sgpr_spill_count: 0
    .symbol:         _ZN7rocprim17ROCPRIM_400000_NS6detail17trampoline_kernelINS0_13select_configILj256ELj13ELNS0_17block_load_methodE3ELS4_3ELS4_3ELNS0_20block_scan_algorithmE0ELj4294967295EEENS1_25partition_config_selectorILNS1_17partition_subalgoE3EjNS0_10empty_typeEbEEZZNS1_14partition_implILS8_3ELb0ES6_jNS0_17counting_iteratorIjlEEPS9_SE_NS0_5tupleIJPjSE_EEENSF_IJSE_SE_EEES9_SG_JZNS1_25segmented_radix_sort_implINS0_14default_configELb0EPKdPdPKlPlN2at6native12_GLOBAL__N_18offset_tEEE10hipError_tPvRmT1_PNSt15iterator_traitsISY_E10value_typeET2_T3_PNSZ_IS14_E10value_typeET4_jRbjT5_S1A_jjP12ihipStream_tbEUljE_EEESV_SW_SX_S14_S18_S1A_T6_T7_T9_mT8_S1C_bDpT10_ENKUlT_T0_E_clISt17integral_constantIbLb1EES1O_IbLb0EEEEDaS1K_S1L_EUlS1K_E_NS1_11comp_targetILNS1_3genE3ELNS1_11target_archE908ELNS1_3gpuE7ELNS1_3repE0EEENS1_30default_config_static_selectorELNS0_4arch9wavefront6targetE1EEEvSY_.kd
    .uniform_work_group_size: 1
    .uses_dynamic_stack: false
    .vgpr_count:     0
    .vgpr_spill_count: 0
    .wavefront_size: 64
  - .args:
      - .offset:         0
        .size:           144
        .value_kind:     by_value
    .group_segment_fixed_size: 0
    .kernarg_segment_align: 8
    .kernarg_segment_size: 144
    .language:       OpenCL C
    .language_version:
      - 2
      - 0
    .max_flat_workgroup_size: 256
    .name:           _ZN7rocprim17ROCPRIM_400000_NS6detail17trampoline_kernelINS0_13select_configILj256ELj13ELNS0_17block_load_methodE3ELS4_3ELS4_3ELNS0_20block_scan_algorithmE0ELj4294967295EEENS1_25partition_config_selectorILNS1_17partition_subalgoE3EjNS0_10empty_typeEbEEZZNS1_14partition_implILS8_3ELb0ES6_jNS0_17counting_iteratorIjlEEPS9_SE_NS0_5tupleIJPjSE_EEENSF_IJSE_SE_EEES9_SG_JZNS1_25segmented_radix_sort_implINS0_14default_configELb0EPKdPdPKlPlN2at6native12_GLOBAL__N_18offset_tEEE10hipError_tPvRmT1_PNSt15iterator_traitsISY_E10value_typeET2_T3_PNSZ_IS14_E10value_typeET4_jRbjT5_S1A_jjP12ihipStream_tbEUljE_EEESV_SW_SX_S14_S18_S1A_T6_T7_T9_mT8_S1C_bDpT10_ENKUlT_T0_E_clISt17integral_constantIbLb1EES1O_IbLb0EEEEDaS1K_S1L_EUlS1K_E_NS1_11comp_targetILNS1_3genE2ELNS1_11target_archE906ELNS1_3gpuE6ELNS1_3repE0EEENS1_30default_config_static_selectorELNS0_4arch9wavefront6targetE1EEEvSY_
    .private_segment_fixed_size: 0
    .sgpr_count:     4
    .sgpr_spill_count: 0
    .symbol:         _ZN7rocprim17ROCPRIM_400000_NS6detail17trampoline_kernelINS0_13select_configILj256ELj13ELNS0_17block_load_methodE3ELS4_3ELS4_3ELNS0_20block_scan_algorithmE0ELj4294967295EEENS1_25partition_config_selectorILNS1_17partition_subalgoE3EjNS0_10empty_typeEbEEZZNS1_14partition_implILS8_3ELb0ES6_jNS0_17counting_iteratorIjlEEPS9_SE_NS0_5tupleIJPjSE_EEENSF_IJSE_SE_EEES9_SG_JZNS1_25segmented_radix_sort_implINS0_14default_configELb0EPKdPdPKlPlN2at6native12_GLOBAL__N_18offset_tEEE10hipError_tPvRmT1_PNSt15iterator_traitsISY_E10value_typeET2_T3_PNSZ_IS14_E10value_typeET4_jRbjT5_S1A_jjP12ihipStream_tbEUljE_EEESV_SW_SX_S14_S18_S1A_T6_T7_T9_mT8_S1C_bDpT10_ENKUlT_T0_E_clISt17integral_constantIbLb1EES1O_IbLb0EEEEDaS1K_S1L_EUlS1K_E_NS1_11comp_targetILNS1_3genE2ELNS1_11target_archE906ELNS1_3gpuE6ELNS1_3repE0EEENS1_30default_config_static_selectorELNS0_4arch9wavefront6targetE1EEEvSY_.kd
    .uniform_work_group_size: 1
    .uses_dynamic_stack: false
    .vgpr_count:     0
    .vgpr_spill_count: 0
    .wavefront_size: 64
  - .args:
      - .offset:         0
        .size:           144
        .value_kind:     by_value
    .group_segment_fixed_size: 0
    .kernarg_segment_align: 8
    .kernarg_segment_size: 144
    .language:       OpenCL C
    .language_version:
      - 2
      - 0
    .max_flat_workgroup_size: 256
    .name:           _ZN7rocprim17ROCPRIM_400000_NS6detail17trampoline_kernelINS0_13select_configILj256ELj13ELNS0_17block_load_methodE3ELS4_3ELS4_3ELNS0_20block_scan_algorithmE0ELj4294967295EEENS1_25partition_config_selectorILNS1_17partition_subalgoE3EjNS0_10empty_typeEbEEZZNS1_14partition_implILS8_3ELb0ES6_jNS0_17counting_iteratorIjlEEPS9_SE_NS0_5tupleIJPjSE_EEENSF_IJSE_SE_EEES9_SG_JZNS1_25segmented_radix_sort_implINS0_14default_configELb0EPKdPdPKlPlN2at6native12_GLOBAL__N_18offset_tEEE10hipError_tPvRmT1_PNSt15iterator_traitsISY_E10value_typeET2_T3_PNSZ_IS14_E10value_typeET4_jRbjT5_S1A_jjP12ihipStream_tbEUljE_EEESV_SW_SX_S14_S18_S1A_T6_T7_T9_mT8_S1C_bDpT10_ENKUlT_T0_E_clISt17integral_constantIbLb1EES1O_IbLb0EEEEDaS1K_S1L_EUlS1K_E_NS1_11comp_targetILNS1_3genE10ELNS1_11target_archE1200ELNS1_3gpuE4ELNS1_3repE0EEENS1_30default_config_static_selectorELNS0_4arch9wavefront6targetE1EEEvSY_
    .private_segment_fixed_size: 0
    .sgpr_count:     4
    .sgpr_spill_count: 0
    .symbol:         _ZN7rocprim17ROCPRIM_400000_NS6detail17trampoline_kernelINS0_13select_configILj256ELj13ELNS0_17block_load_methodE3ELS4_3ELS4_3ELNS0_20block_scan_algorithmE0ELj4294967295EEENS1_25partition_config_selectorILNS1_17partition_subalgoE3EjNS0_10empty_typeEbEEZZNS1_14partition_implILS8_3ELb0ES6_jNS0_17counting_iteratorIjlEEPS9_SE_NS0_5tupleIJPjSE_EEENSF_IJSE_SE_EEES9_SG_JZNS1_25segmented_radix_sort_implINS0_14default_configELb0EPKdPdPKlPlN2at6native12_GLOBAL__N_18offset_tEEE10hipError_tPvRmT1_PNSt15iterator_traitsISY_E10value_typeET2_T3_PNSZ_IS14_E10value_typeET4_jRbjT5_S1A_jjP12ihipStream_tbEUljE_EEESV_SW_SX_S14_S18_S1A_T6_T7_T9_mT8_S1C_bDpT10_ENKUlT_T0_E_clISt17integral_constantIbLb1EES1O_IbLb0EEEEDaS1K_S1L_EUlS1K_E_NS1_11comp_targetILNS1_3genE10ELNS1_11target_archE1200ELNS1_3gpuE4ELNS1_3repE0EEENS1_30default_config_static_selectorELNS0_4arch9wavefront6targetE1EEEvSY_.kd
    .uniform_work_group_size: 1
    .uses_dynamic_stack: false
    .vgpr_count:     0
    .vgpr_spill_count: 0
    .wavefront_size: 64
  - .args:
      - .offset:         0
        .size:           144
        .value_kind:     by_value
    .group_segment_fixed_size: 0
    .kernarg_segment_align: 8
    .kernarg_segment_size: 144
    .language:       OpenCL C
    .language_version:
      - 2
      - 0
    .max_flat_workgroup_size: 256
    .name:           _ZN7rocprim17ROCPRIM_400000_NS6detail17trampoline_kernelINS0_13select_configILj256ELj13ELNS0_17block_load_methodE3ELS4_3ELS4_3ELNS0_20block_scan_algorithmE0ELj4294967295EEENS1_25partition_config_selectorILNS1_17partition_subalgoE3EjNS0_10empty_typeEbEEZZNS1_14partition_implILS8_3ELb0ES6_jNS0_17counting_iteratorIjlEEPS9_SE_NS0_5tupleIJPjSE_EEENSF_IJSE_SE_EEES9_SG_JZNS1_25segmented_radix_sort_implINS0_14default_configELb0EPKdPdPKlPlN2at6native12_GLOBAL__N_18offset_tEEE10hipError_tPvRmT1_PNSt15iterator_traitsISY_E10value_typeET2_T3_PNSZ_IS14_E10value_typeET4_jRbjT5_S1A_jjP12ihipStream_tbEUljE_EEESV_SW_SX_S14_S18_S1A_T6_T7_T9_mT8_S1C_bDpT10_ENKUlT_T0_E_clISt17integral_constantIbLb1EES1O_IbLb0EEEEDaS1K_S1L_EUlS1K_E_NS1_11comp_targetILNS1_3genE9ELNS1_11target_archE1100ELNS1_3gpuE3ELNS1_3repE0EEENS1_30default_config_static_selectorELNS0_4arch9wavefront6targetE1EEEvSY_
    .private_segment_fixed_size: 0
    .sgpr_count:     4
    .sgpr_spill_count: 0
    .symbol:         _ZN7rocprim17ROCPRIM_400000_NS6detail17trampoline_kernelINS0_13select_configILj256ELj13ELNS0_17block_load_methodE3ELS4_3ELS4_3ELNS0_20block_scan_algorithmE0ELj4294967295EEENS1_25partition_config_selectorILNS1_17partition_subalgoE3EjNS0_10empty_typeEbEEZZNS1_14partition_implILS8_3ELb0ES6_jNS0_17counting_iteratorIjlEEPS9_SE_NS0_5tupleIJPjSE_EEENSF_IJSE_SE_EEES9_SG_JZNS1_25segmented_radix_sort_implINS0_14default_configELb0EPKdPdPKlPlN2at6native12_GLOBAL__N_18offset_tEEE10hipError_tPvRmT1_PNSt15iterator_traitsISY_E10value_typeET2_T3_PNSZ_IS14_E10value_typeET4_jRbjT5_S1A_jjP12ihipStream_tbEUljE_EEESV_SW_SX_S14_S18_S1A_T6_T7_T9_mT8_S1C_bDpT10_ENKUlT_T0_E_clISt17integral_constantIbLb1EES1O_IbLb0EEEEDaS1K_S1L_EUlS1K_E_NS1_11comp_targetILNS1_3genE9ELNS1_11target_archE1100ELNS1_3gpuE3ELNS1_3repE0EEENS1_30default_config_static_selectorELNS0_4arch9wavefront6targetE1EEEvSY_.kd
    .uniform_work_group_size: 1
    .uses_dynamic_stack: false
    .vgpr_count:     0
    .vgpr_spill_count: 0
    .wavefront_size: 64
  - .args:
      - .offset:         0
        .size:           144
        .value_kind:     by_value
    .group_segment_fixed_size: 0
    .kernarg_segment_align: 8
    .kernarg_segment_size: 144
    .language:       OpenCL C
    .language_version:
      - 2
      - 0
    .max_flat_workgroup_size: 256
    .name:           _ZN7rocprim17ROCPRIM_400000_NS6detail17trampoline_kernelINS0_13select_configILj256ELj13ELNS0_17block_load_methodE3ELS4_3ELS4_3ELNS0_20block_scan_algorithmE0ELj4294967295EEENS1_25partition_config_selectorILNS1_17partition_subalgoE3EjNS0_10empty_typeEbEEZZNS1_14partition_implILS8_3ELb0ES6_jNS0_17counting_iteratorIjlEEPS9_SE_NS0_5tupleIJPjSE_EEENSF_IJSE_SE_EEES9_SG_JZNS1_25segmented_radix_sort_implINS0_14default_configELb0EPKdPdPKlPlN2at6native12_GLOBAL__N_18offset_tEEE10hipError_tPvRmT1_PNSt15iterator_traitsISY_E10value_typeET2_T3_PNSZ_IS14_E10value_typeET4_jRbjT5_S1A_jjP12ihipStream_tbEUljE_EEESV_SW_SX_S14_S18_S1A_T6_T7_T9_mT8_S1C_bDpT10_ENKUlT_T0_E_clISt17integral_constantIbLb1EES1O_IbLb0EEEEDaS1K_S1L_EUlS1K_E_NS1_11comp_targetILNS1_3genE8ELNS1_11target_archE1030ELNS1_3gpuE2ELNS1_3repE0EEENS1_30default_config_static_selectorELNS0_4arch9wavefront6targetE1EEEvSY_
    .private_segment_fixed_size: 0
    .sgpr_count:     4
    .sgpr_spill_count: 0
    .symbol:         _ZN7rocprim17ROCPRIM_400000_NS6detail17trampoline_kernelINS0_13select_configILj256ELj13ELNS0_17block_load_methodE3ELS4_3ELS4_3ELNS0_20block_scan_algorithmE0ELj4294967295EEENS1_25partition_config_selectorILNS1_17partition_subalgoE3EjNS0_10empty_typeEbEEZZNS1_14partition_implILS8_3ELb0ES6_jNS0_17counting_iteratorIjlEEPS9_SE_NS0_5tupleIJPjSE_EEENSF_IJSE_SE_EEES9_SG_JZNS1_25segmented_radix_sort_implINS0_14default_configELb0EPKdPdPKlPlN2at6native12_GLOBAL__N_18offset_tEEE10hipError_tPvRmT1_PNSt15iterator_traitsISY_E10value_typeET2_T3_PNSZ_IS14_E10value_typeET4_jRbjT5_S1A_jjP12ihipStream_tbEUljE_EEESV_SW_SX_S14_S18_S1A_T6_T7_T9_mT8_S1C_bDpT10_ENKUlT_T0_E_clISt17integral_constantIbLb1EES1O_IbLb0EEEEDaS1K_S1L_EUlS1K_E_NS1_11comp_targetILNS1_3genE8ELNS1_11target_archE1030ELNS1_3gpuE2ELNS1_3repE0EEENS1_30default_config_static_selectorELNS0_4arch9wavefront6targetE1EEEvSY_.kd
    .uniform_work_group_size: 1
    .uses_dynamic_stack: false
    .vgpr_count:     0
    .vgpr_spill_count: 0
    .wavefront_size: 64
  - .args:
      - .offset:         0
        .size:           152
        .value_kind:     by_value
    .group_segment_fixed_size: 0
    .kernarg_segment_align: 8
    .kernarg_segment_size: 152
    .language:       OpenCL C
    .language_version:
      - 2
      - 0
    .max_flat_workgroup_size: 256
    .name:           _ZN7rocprim17ROCPRIM_400000_NS6detail17trampoline_kernelINS0_13select_configILj256ELj13ELNS0_17block_load_methodE3ELS4_3ELS4_3ELNS0_20block_scan_algorithmE0ELj4294967295EEENS1_25partition_config_selectorILNS1_17partition_subalgoE3EjNS0_10empty_typeEbEEZZNS1_14partition_implILS8_3ELb0ES6_jNS0_17counting_iteratorIjlEEPS9_SE_NS0_5tupleIJPjSE_EEENSF_IJSE_SE_EEES9_SG_JZNS1_25segmented_radix_sort_implINS0_14default_configELb0EPKdPdPKlPlN2at6native12_GLOBAL__N_18offset_tEEE10hipError_tPvRmT1_PNSt15iterator_traitsISY_E10value_typeET2_T3_PNSZ_IS14_E10value_typeET4_jRbjT5_S1A_jjP12ihipStream_tbEUljE_EEESV_SW_SX_S14_S18_S1A_T6_T7_T9_mT8_S1C_bDpT10_ENKUlT_T0_E_clISt17integral_constantIbLb0EES1O_IbLb1EEEEDaS1K_S1L_EUlS1K_E_NS1_11comp_targetILNS1_3genE0ELNS1_11target_archE4294967295ELNS1_3gpuE0ELNS1_3repE0EEENS1_30default_config_static_selectorELNS0_4arch9wavefront6targetE1EEEvSY_
    .private_segment_fixed_size: 0
    .sgpr_count:     4
    .sgpr_spill_count: 0
    .symbol:         _ZN7rocprim17ROCPRIM_400000_NS6detail17trampoline_kernelINS0_13select_configILj256ELj13ELNS0_17block_load_methodE3ELS4_3ELS4_3ELNS0_20block_scan_algorithmE0ELj4294967295EEENS1_25partition_config_selectorILNS1_17partition_subalgoE3EjNS0_10empty_typeEbEEZZNS1_14partition_implILS8_3ELb0ES6_jNS0_17counting_iteratorIjlEEPS9_SE_NS0_5tupleIJPjSE_EEENSF_IJSE_SE_EEES9_SG_JZNS1_25segmented_radix_sort_implINS0_14default_configELb0EPKdPdPKlPlN2at6native12_GLOBAL__N_18offset_tEEE10hipError_tPvRmT1_PNSt15iterator_traitsISY_E10value_typeET2_T3_PNSZ_IS14_E10value_typeET4_jRbjT5_S1A_jjP12ihipStream_tbEUljE_EEESV_SW_SX_S14_S18_S1A_T6_T7_T9_mT8_S1C_bDpT10_ENKUlT_T0_E_clISt17integral_constantIbLb0EES1O_IbLb1EEEEDaS1K_S1L_EUlS1K_E_NS1_11comp_targetILNS1_3genE0ELNS1_11target_archE4294967295ELNS1_3gpuE0ELNS1_3repE0EEENS1_30default_config_static_selectorELNS0_4arch9wavefront6targetE1EEEvSY_.kd
    .uniform_work_group_size: 1
    .uses_dynamic_stack: false
    .vgpr_count:     0
    .vgpr_spill_count: 0
    .wavefront_size: 64
  - .args:
      - .offset:         0
        .size:           152
        .value_kind:     by_value
    .group_segment_fixed_size: 0
    .kernarg_segment_align: 8
    .kernarg_segment_size: 152
    .language:       OpenCL C
    .language_version:
      - 2
      - 0
    .max_flat_workgroup_size: 256
    .name:           _ZN7rocprim17ROCPRIM_400000_NS6detail17trampoline_kernelINS0_13select_configILj256ELj13ELNS0_17block_load_methodE3ELS4_3ELS4_3ELNS0_20block_scan_algorithmE0ELj4294967295EEENS1_25partition_config_selectorILNS1_17partition_subalgoE3EjNS0_10empty_typeEbEEZZNS1_14partition_implILS8_3ELb0ES6_jNS0_17counting_iteratorIjlEEPS9_SE_NS0_5tupleIJPjSE_EEENSF_IJSE_SE_EEES9_SG_JZNS1_25segmented_radix_sort_implINS0_14default_configELb0EPKdPdPKlPlN2at6native12_GLOBAL__N_18offset_tEEE10hipError_tPvRmT1_PNSt15iterator_traitsISY_E10value_typeET2_T3_PNSZ_IS14_E10value_typeET4_jRbjT5_S1A_jjP12ihipStream_tbEUljE_EEESV_SW_SX_S14_S18_S1A_T6_T7_T9_mT8_S1C_bDpT10_ENKUlT_T0_E_clISt17integral_constantIbLb0EES1O_IbLb1EEEEDaS1K_S1L_EUlS1K_E_NS1_11comp_targetILNS1_3genE5ELNS1_11target_archE942ELNS1_3gpuE9ELNS1_3repE0EEENS1_30default_config_static_selectorELNS0_4arch9wavefront6targetE1EEEvSY_
    .private_segment_fixed_size: 0
    .sgpr_count:     4
    .sgpr_spill_count: 0
    .symbol:         _ZN7rocprim17ROCPRIM_400000_NS6detail17trampoline_kernelINS0_13select_configILj256ELj13ELNS0_17block_load_methodE3ELS4_3ELS4_3ELNS0_20block_scan_algorithmE0ELj4294967295EEENS1_25partition_config_selectorILNS1_17partition_subalgoE3EjNS0_10empty_typeEbEEZZNS1_14partition_implILS8_3ELb0ES6_jNS0_17counting_iteratorIjlEEPS9_SE_NS0_5tupleIJPjSE_EEENSF_IJSE_SE_EEES9_SG_JZNS1_25segmented_radix_sort_implINS0_14default_configELb0EPKdPdPKlPlN2at6native12_GLOBAL__N_18offset_tEEE10hipError_tPvRmT1_PNSt15iterator_traitsISY_E10value_typeET2_T3_PNSZ_IS14_E10value_typeET4_jRbjT5_S1A_jjP12ihipStream_tbEUljE_EEESV_SW_SX_S14_S18_S1A_T6_T7_T9_mT8_S1C_bDpT10_ENKUlT_T0_E_clISt17integral_constantIbLb0EES1O_IbLb1EEEEDaS1K_S1L_EUlS1K_E_NS1_11comp_targetILNS1_3genE5ELNS1_11target_archE942ELNS1_3gpuE9ELNS1_3repE0EEENS1_30default_config_static_selectorELNS0_4arch9wavefront6targetE1EEEvSY_.kd
    .uniform_work_group_size: 1
    .uses_dynamic_stack: false
    .vgpr_count:     0
    .vgpr_spill_count: 0
    .wavefront_size: 64
  - .args:
      - .offset:         0
        .size:           152
        .value_kind:     by_value
    .group_segment_fixed_size: 0
    .kernarg_segment_align: 8
    .kernarg_segment_size: 152
    .language:       OpenCL C
    .language_version:
      - 2
      - 0
    .max_flat_workgroup_size: 256
    .name:           _ZN7rocprim17ROCPRIM_400000_NS6detail17trampoline_kernelINS0_13select_configILj256ELj13ELNS0_17block_load_methodE3ELS4_3ELS4_3ELNS0_20block_scan_algorithmE0ELj4294967295EEENS1_25partition_config_selectorILNS1_17partition_subalgoE3EjNS0_10empty_typeEbEEZZNS1_14partition_implILS8_3ELb0ES6_jNS0_17counting_iteratorIjlEEPS9_SE_NS0_5tupleIJPjSE_EEENSF_IJSE_SE_EEES9_SG_JZNS1_25segmented_radix_sort_implINS0_14default_configELb0EPKdPdPKlPlN2at6native12_GLOBAL__N_18offset_tEEE10hipError_tPvRmT1_PNSt15iterator_traitsISY_E10value_typeET2_T3_PNSZ_IS14_E10value_typeET4_jRbjT5_S1A_jjP12ihipStream_tbEUljE_EEESV_SW_SX_S14_S18_S1A_T6_T7_T9_mT8_S1C_bDpT10_ENKUlT_T0_E_clISt17integral_constantIbLb0EES1O_IbLb1EEEEDaS1K_S1L_EUlS1K_E_NS1_11comp_targetILNS1_3genE4ELNS1_11target_archE910ELNS1_3gpuE8ELNS1_3repE0EEENS1_30default_config_static_selectorELNS0_4arch9wavefront6targetE1EEEvSY_
    .private_segment_fixed_size: 0
    .sgpr_count:     4
    .sgpr_spill_count: 0
    .symbol:         _ZN7rocprim17ROCPRIM_400000_NS6detail17trampoline_kernelINS0_13select_configILj256ELj13ELNS0_17block_load_methodE3ELS4_3ELS4_3ELNS0_20block_scan_algorithmE0ELj4294967295EEENS1_25partition_config_selectorILNS1_17partition_subalgoE3EjNS0_10empty_typeEbEEZZNS1_14partition_implILS8_3ELb0ES6_jNS0_17counting_iteratorIjlEEPS9_SE_NS0_5tupleIJPjSE_EEENSF_IJSE_SE_EEES9_SG_JZNS1_25segmented_radix_sort_implINS0_14default_configELb0EPKdPdPKlPlN2at6native12_GLOBAL__N_18offset_tEEE10hipError_tPvRmT1_PNSt15iterator_traitsISY_E10value_typeET2_T3_PNSZ_IS14_E10value_typeET4_jRbjT5_S1A_jjP12ihipStream_tbEUljE_EEESV_SW_SX_S14_S18_S1A_T6_T7_T9_mT8_S1C_bDpT10_ENKUlT_T0_E_clISt17integral_constantIbLb0EES1O_IbLb1EEEEDaS1K_S1L_EUlS1K_E_NS1_11comp_targetILNS1_3genE4ELNS1_11target_archE910ELNS1_3gpuE8ELNS1_3repE0EEENS1_30default_config_static_selectorELNS0_4arch9wavefront6targetE1EEEvSY_.kd
    .uniform_work_group_size: 1
    .uses_dynamic_stack: false
    .vgpr_count:     0
    .vgpr_spill_count: 0
    .wavefront_size: 64
  - .args:
      - .offset:         0
        .size:           152
        .value_kind:     by_value
    .group_segment_fixed_size: 0
    .kernarg_segment_align: 8
    .kernarg_segment_size: 152
    .language:       OpenCL C
    .language_version:
      - 2
      - 0
    .max_flat_workgroup_size: 256
    .name:           _ZN7rocprim17ROCPRIM_400000_NS6detail17trampoline_kernelINS0_13select_configILj256ELj13ELNS0_17block_load_methodE3ELS4_3ELS4_3ELNS0_20block_scan_algorithmE0ELj4294967295EEENS1_25partition_config_selectorILNS1_17partition_subalgoE3EjNS0_10empty_typeEbEEZZNS1_14partition_implILS8_3ELb0ES6_jNS0_17counting_iteratorIjlEEPS9_SE_NS0_5tupleIJPjSE_EEENSF_IJSE_SE_EEES9_SG_JZNS1_25segmented_radix_sort_implINS0_14default_configELb0EPKdPdPKlPlN2at6native12_GLOBAL__N_18offset_tEEE10hipError_tPvRmT1_PNSt15iterator_traitsISY_E10value_typeET2_T3_PNSZ_IS14_E10value_typeET4_jRbjT5_S1A_jjP12ihipStream_tbEUljE_EEESV_SW_SX_S14_S18_S1A_T6_T7_T9_mT8_S1C_bDpT10_ENKUlT_T0_E_clISt17integral_constantIbLb0EES1O_IbLb1EEEEDaS1K_S1L_EUlS1K_E_NS1_11comp_targetILNS1_3genE3ELNS1_11target_archE908ELNS1_3gpuE7ELNS1_3repE0EEENS1_30default_config_static_selectorELNS0_4arch9wavefront6targetE1EEEvSY_
    .private_segment_fixed_size: 0
    .sgpr_count:     4
    .sgpr_spill_count: 0
    .symbol:         _ZN7rocprim17ROCPRIM_400000_NS6detail17trampoline_kernelINS0_13select_configILj256ELj13ELNS0_17block_load_methodE3ELS4_3ELS4_3ELNS0_20block_scan_algorithmE0ELj4294967295EEENS1_25partition_config_selectorILNS1_17partition_subalgoE3EjNS0_10empty_typeEbEEZZNS1_14partition_implILS8_3ELb0ES6_jNS0_17counting_iteratorIjlEEPS9_SE_NS0_5tupleIJPjSE_EEENSF_IJSE_SE_EEES9_SG_JZNS1_25segmented_radix_sort_implINS0_14default_configELb0EPKdPdPKlPlN2at6native12_GLOBAL__N_18offset_tEEE10hipError_tPvRmT1_PNSt15iterator_traitsISY_E10value_typeET2_T3_PNSZ_IS14_E10value_typeET4_jRbjT5_S1A_jjP12ihipStream_tbEUljE_EEESV_SW_SX_S14_S18_S1A_T6_T7_T9_mT8_S1C_bDpT10_ENKUlT_T0_E_clISt17integral_constantIbLb0EES1O_IbLb1EEEEDaS1K_S1L_EUlS1K_E_NS1_11comp_targetILNS1_3genE3ELNS1_11target_archE908ELNS1_3gpuE7ELNS1_3repE0EEENS1_30default_config_static_selectorELNS0_4arch9wavefront6targetE1EEEvSY_.kd
    .uniform_work_group_size: 1
    .uses_dynamic_stack: false
    .vgpr_count:     0
    .vgpr_spill_count: 0
    .wavefront_size: 64
  - .args:
      - .offset:         0
        .size:           152
        .value_kind:     by_value
    .group_segment_fixed_size: 13320
    .kernarg_segment_align: 8
    .kernarg_segment_size: 152
    .language:       OpenCL C
    .language_version:
      - 2
      - 0
    .max_flat_workgroup_size: 256
    .name:           _ZN7rocprim17ROCPRIM_400000_NS6detail17trampoline_kernelINS0_13select_configILj256ELj13ELNS0_17block_load_methodE3ELS4_3ELS4_3ELNS0_20block_scan_algorithmE0ELj4294967295EEENS1_25partition_config_selectorILNS1_17partition_subalgoE3EjNS0_10empty_typeEbEEZZNS1_14partition_implILS8_3ELb0ES6_jNS0_17counting_iteratorIjlEEPS9_SE_NS0_5tupleIJPjSE_EEENSF_IJSE_SE_EEES9_SG_JZNS1_25segmented_radix_sort_implINS0_14default_configELb0EPKdPdPKlPlN2at6native12_GLOBAL__N_18offset_tEEE10hipError_tPvRmT1_PNSt15iterator_traitsISY_E10value_typeET2_T3_PNSZ_IS14_E10value_typeET4_jRbjT5_S1A_jjP12ihipStream_tbEUljE_EEESV_SW_SX_S14_S18_S1A_T6_T7_T9_mT8_S1C_bDpT10_ENKUlT_T0_E_clISt17integral_constantIbLb0EES1O_IbLb1EEEEDaS1K_S1L_EUlS1K_E_NS1_11comp_targetILNS1_3genE2ELNS1_11target_archE906ELNS1_3gpuE6ELNS1_3repE0EEENS1_30default_config_static_selectorELNS0_4arch9wavefront6targetE1EEEvSY_
    .private_segment_fixed_size: 0
    .sgpr_count:     50
    .sgpr_spill_count: 0
    .symbol:         _ZN7rocprim17ROCPRIM_400000_NS6detail17trampoline_kernelINS0_13select_configILj256ELj13ELNS0_17block_load_methodE3ELS4_3ELS4_3ELNS0_20block_scan_algorithmE0ELj4294967295EEENS1_25partition_config_selectorILNS1_17partition_subalgoE3EjNS0_10empty_typeEbEEZZNS1_14partition_implILS8_3ELb0ES6_jNS0_17counting_iteratorIjlEEPS9_SE_NS0_5tupleIJPjSE_EEENSF_IJSE_SE_EEES9_SG_JZNS1_25segmented_radix_sort_implINS0_14default_configELb0EPKdPdPKlPlN2at6native12_GLOBAL__N_18offset_tEEE10hipError_tPvRmT1_PNSt15iterator_traitsISY_E10value_typeET2_T3_PNSZ_IS14_E10value_typeET4_jRbjT5_S1A_jjP12ihipStream_tbEUljE_EEESV_SW_SX_S14_S18_S1A_T6_T7_T9_mT8_S1C_bDpT10_ENKUlT_T0_E_clISt17integral_constantIbLb0EES1O_IbLb1EEEEDaS1K_S1L_EUlS1K_E_NS1_11comp_targetILNS1_3genE2ELNS1_11target_archE906ELNS1_3gpuE6ELNS1_3repE0EEENS1_30default_config_static_selectorELNS0_4arch9wavefront6targetE1EEEvSY_.kd
    .uniform_work_group_size: 1
    .uses_dynamic_stack: false
    .vgpr_count:     71
    .vgpr_spill_count: 0
    .wavefront_size: 64
  - .args:
      - .offset:         0
        .size:           152
        .value_kind:     by_value
    .group_segment_fixed_size: 0
    .kernarg_segment_align: 8
    .kernarg_segment_size: 152
    .language:       OpenCL C
    .language_version:
      - 2
      - 0
    .max_flat_workgroup_size: 256
    .name:           _ZN7rocprim17ROCPRIM_400000_NS6detail17trampoline_kernelINS0_13select_configILj256ELj13ELNS0_17block_load_methodE3ELS4_3ELS4_3ELNS0_20block_scan_algorithmE0ELj4294967295EEENS1_25partition_config_selectorILNS1_17partition_subalgoE3EjNS0_10empty_typeEbEEZZNS1_14partition_implILS8_3ELb0ES6_jNS0_17counting_iteratorIjlEEPS9_SE_NS0_5tupleIJPjSE_EEENSF_IJSE_SE_EEES9_SG_JZNS1_25segmented_radix_sort_implINS0_14default_configELb0EPKdPdPKlPlN2at6native12_GLOBAL__N_18offset_tEEE10hipError_tPvRmT1_PNSt15iterator_traitsISY_E10value_typeET2_T3_PNSZ_IS14_E10value_typeET4_jRbjT5_S1A_jjP12ihipStream_tbEUljE_EEESV_SW_SX_S14_S18_S1A_T6_T7_T9_mT8_S1C_bDpT10_ENKUlT_T0_E_clISt17integral_constantIbLb0EES1O_IbLb1EEEEDaS1K_S1L_EUlS1K_E_NS1_11comp_targetILNS1_3genE10ELNS1_11target_archE1200ELNS1_3gpuE4ELNS1_3repE0EEENS1_30default_config_static_selectorELNS0_4arch9wavefront6targetE1EEEvSY_
    .private_segment_fixed_size: 0
    .sgpr_count:     4
    .sgpr_spill_count: 0
    .symbol:         _ZN7rocprim17ROCPRIM_400000_NS6detail17trampoline_kernelINS0_13select_configILj256ELj13ELNS0_17block_load_methodE3ELS4_3ELS4_3ELNS0_20block_scan_algorithmE0ELj4294967295EEENS1_25partition_config_selectorILNS1_17partition_subalgoE3EjNS0_10empty_typeEbEEZZNS1_14partition_implILS8_3ELb0ES6_jNS0_17counting_iteratorIjlEEPS9_SE_NS0_5tupleIJPjSE_EEENSF_IJSE_SE_EEES9_SG_JZNS1_25segmented_radix_sort_implINS0_14default_configELb0EPKdPdPKlPlN2at6native12_GLOBAL__N_18offset_tEEE10hipError_tPvRmT1_PNSt15iterator_traitsISY_E10value_typeET2_T3_PNSZ_IS14_E10value_typeET4_jRbjT5_S1A_jjP12ihipStream_tbEUljE_EEESV_SW_SX_S14_S18_S1A_T6_T7_T9_mT8_S1C_bDpT10_ENKUlT_T0_E_clISt17integral_constantIbLb0EES1O_IbLb1EEEEDaS1K_S1L_EUlS1K_E_NS1_11comp_targetILNS1_3genE10ELNS1_11target_archE1200ELNS1_3gpuE4ELNS1_3repE0EEENS1_30default_config_static_selectorELNS0_4arch9wavefront6targetE1EEEvSY_.kd
    .uniform_work_group_size: 1
    .uses_dynamic_stack: false
    .vgpr_count:     0
    .vgpr_spill_count: 0
    .wavefront_size: 64
  - .args:
      - .offset:         0
        .size:           152
        .value_kind:     by_value
    .group_segment_fixed_size: 0
    .kernarg_segment_align: 8
    .kernarg_segment_size: 152
    .language:       OpenCL C
    .language_version:
      - 2
      - 0
    .max_flat_workgroup_size: 256
    .name:           _ZN7rocprim17ROCPRIM_400000_NS6detail17trampoline_kernelINS0_13select_configILj256ELj13ELNS0_17block_load_methodE3ELS4_3ELS4_3ELNS0_20block_scan_algorithmE0ELj4294967295EEENS1_25partition_config_selectorILNS1_17partition_subalgoE3EjNS0_10empty_typeEbEEZZNS1_14partition_implILS8_3ELb0ES6_jNS0_17counting_iteratorIjlEEPS9_SE_NS0_5tupleIJPjSE_EEENSF_IJSE_SE_EEES9_SG_JZNS1_25segmented_radix_sort_implINS0_14default_configELb0EPKdPdPKlPlN2at6native12_GLOBAL__N_18offset_tEEE10hipError_tPvRmT1_PNSt15iterator_traitsISY_E10value_typeET2_T3_PNSZ_IS14_E10value_typeET4_jRbjT5_S1A_jjP12ihipStream_tbEUljE_EEESV_SW_SX_S14_S18_S1A_T6_T7_T9_mT8_S1C_bDpT10_ENKUlT_T0_E_clISt17integral_constantIbLb0EES1O_IbLb1EEEEDaS1K_S1L_EUlS1K_E_NS1_11comp_targetILNS1_3genE9ELNS1_11target_archE1100ELNS1_3gpuE3ELNS1_3repE0EEENS1_30default_config_static_selectorELNS0_4arch9wavefront6targetE1EEEvSY_
    .private_segment_fixed_size: 0
    .sgpr_count:     4
    .sgpr_spill_count: 0
    .symbol:         _ZN7rocprim17ROCPRIM_400000_NS6detail17trampoline_kernelINS0_13select_configILj256ELj13ELNS0_17block_load_methodE3ELS4_3ELS4_3ELNS0_20block_scan_algorithmE0ELj4294967295EEENS1_25partition_config_selectorILNS1_17partition_subalgoE3EjNS0_10empty_typeEbEEZZNS1_14partition_implILS8_3ELb0ES6_jNS0_17counting_iteratorIjlEEPS9_SE_NS0_5tupleIJPjSE_EEENSF_IJSE_SE_EEES9_SG_JZNS1_25segmented_radix_sort_implINS0_14default_configELb0EPKdPdPKlPlN2at6native12_GLOBAL__N_18offset_tEEE10hipError_tPvRmT1_PNSt15iterator_traitsISY_E10value_typeET2_T3_PNSZ_IS14_E10value_typeET4_jRbjT5_S1A_jjP12ihipStream_tbEUljE_EEESV_SW_SX_S14_S18_S1A_T6_T7_T9_mT8_S1C_bDpT10_ENKUlT_T0_E_clISt17integral_constantIbLb0EES1O_IbLb1EEEEDaS1K_S1L_EUlS1K_E_NS1_11comp_targetILNS1_3genE9ELNS1_11target_archE1100ELNS1_3gpuE3ELNS1_3repE0EEENS1_30default_config_static_selectorELNS0_4arch9wavefront6targetE1EEEvSY_.kd
    .uniform_work_group_size: 1
    .uses_dynamic_stack: false
    .vgpr_count:     0
    .vgpr_spill_count: 0
    .wavefront_size: 64
  - .args:
      - .offset:         0
        .size:           152
        .value_kind:     by_value
    .group_segment_fixed_size: 0
    .kernarg_segment_align: 8
    .kernarg_segment_size: 152
    .language:       OpenCL C
    .language_version:
      - 2
      - 0
    .max_flat_workgroup_size: 256
    .name:           _ZN7rocprim17ROCPRIM_400000_NS6detail17trampoline_kernelINS0_13select_configILj256ELj13ELNS0_17block_load_methodE3ELS4_3ELS4_3ELNS0_20block_scan_algorithmE0ELj4294967295EEENS1_25partition_config_selectorILNS1_17partition_subalgoE3EjNS0_10empty_typeEbEEZZNS1_14partition_implILS8_3ELb0ES6_jNS0_17counting_iteratorIjlEEPS9_SE_NS0_5tupleIJPjSE_EEENSF_IJSE_SE_EEES9_SG_JZNS1_25segmented_radix_sort_implINS0_14default_configELb0EPKdPdPKlPlN2at6native12_GLOBAL__N_18offset_tEEE10hipError_tPvRmT1_PNSt15iterator_traitsISY_E10value_typeET2_T3_PNSZ_IS14_E10value_typeET4_jRbjT5_S1A_jjP12ihipStream_tbEUljE_EEESV_SW_SX_S14_S18_S1A_T6_T7_T9_mT8_S1C_bDpT10_ENKUlT_T0_E_clISt17integral_constantIbLb0EES1O_IbLb1EEEEDaS1K_S1L_EUlS1K_E_NS1_11comp_targetILNS1_3genE8ELNS1_11target_archE1030ELNS1_3gpuE2ELNS1_3repE0EEENS1_30default_config_static_selectorELNS0_4arch9wavefront6targetE1EEEvSY_
    .private_segment_fixed_size: 0
    .sgpr_count:     4
    .sgpr_spill_count: 0
    .symbol:         _ZN7rocprim17ROCPRIM_400000_NS6detail17trampoline_kernelINS0_13select_configILj256ELj13ELNS0_17block_load_methodE3ELS4_3ELS4_3ELNS0_20block_scan_algorithmE0ELj4294967295EEENS1_25partition_config_selectorILNS1_17partition_subalgoE3EjNS0_10empty_typeEbEEZZNS1_14partition_implILS8_3ELb0ES6_jNS0_17counting_iteratorIjlEEPS9_SE_NS0_5tupleIJPjSE_EEENSF_IJSE_SE_EEES9_SG_JZNS1_25segmented_radix_sort_implINS0_14default_configELb0EPKdPdPKlPlN2at6native12_GLOBAL__N_18offset_tEEE10hipError_tPvRmT1_PNSt15iterator_traitsISY_E10value_typeET2_T3_PNSZ_IS14_E10value_typeET4_jRbjT5_S1A_jjP12ihipStream_tbEUljE_EEESV_SW_SX_S14_S18_S1A_T6_T7_T9_mT8_S1C_bDpT10_ENKUlT_T0_E_clISt17integral_constantIbLb0EES1O_IbLb1EEEEDaS1K_S1L_EUlS1K_E_NS1_11comp_targetILNS1_3genE8ELNS1_11target_archE1030ELNS1_3gpuE2ELNS1_3repE0EEENS1_30default_config_static_selectorELNS0_4arch9wavefront6targetE1EEEvSY_.kd
    .uniform_work_group_size: 1
    .uses_dynamic_stack: false
    .vgpr_count:     0
    .vgpr_spill_count: 0
    .wavefront_size: 64
  - .args:
      - .offset:         0
        .size:           96
        .value_kind:     by_value
    .group_segment_fixed_size: 0
    .kernarg_segment_align: 8
    .kernarg_segment_size: 96
    .language:       OpenCL C
    .language_version:
      - 2
      - 0
    .max_flat_workgroup_size: 256
    .name:           _ZN7rocprim17ROCPRIM_400000_NS6detail17trampoline_kernelINS0_14default_configENS1_36segmented_radix_sort_config_selectorIdlEEZNS1_25segmented_radix_sort_implIS3_Lb0EPKdPdPKlPlN2at6native12_GLOBAL__N_18offset_tEEE10hipError_tPvRmT1_PNSt15iterator_traitsISK_E10value_typeET2_T3_PNSL_ISQ_E10value_typeET4_jRbjT5_SW_jjP12ihipStream_tbEUlT_E_NS1_11comp_targetILNS1_3genE0ELNS1_11target_archE4294967295ELNS1_3gpuE0ELNS1_3repE0EEENS1_30default_config_static_selectorELNS0_4arch9wavefront6targetE1EEEvSK_
    .private_segment_fixed_size: 0
    .sgpr_count:     4
    .sgpr_spill_count: 0
    .symbol:         _ZN7rocprim17ROCPRIM_400000_NS6detail17trampoline_kernelINS0_14default_configENS1_36segmented_radix_sort_config_selectorIdlEEZNS1_25segmented_radix_sort_implIS3_Lb0EPKdPdPKlPlN2at6native12_GLOBAL__N_18offset_tEEE10hipError_tPvRmT1_PNSt15iterator_traitsISK_E10value_typeET2_T3_PNSL_ISQ_E10value_typeET4_jRbjT5_SW_jjP12ihipStream_tbEUlT_E_NS1_11comp_targetILNS1_3genE0ELNS1_11target_archE4294967295ELNS1_3gpuE0ELNS1_3repE0EEENS1_30default_config_static_selectorELNS0_4arch9wavefront6targetE1EEEvSK_.kd
    .uniform_work_group_size: 1
    .uses_dynamic_stack: false
    .vgpr_count:     0
    .vgpr_spill_count: 0
    .wavefront_size: 64
  - .args:
      - .offset:         0
        .size:           96
        .value_kind:     by_value
    .group_segment_fixed_size: 0
    .kernarg_segment_align: 8
    .kernarg_segment_size: 96
    .language:       OpenCL C
    .language_version:
      - 2
      - 0
    .max_flat_workgroup_size: 256
    .name:           _ZN7rocprim17ROCPRIM_400000_NS6detail17trampoline_kernelINS0_14default_configENS1_36segmented_radix_sort_config_selectorIdlEEZNS1_25segmented_radix_sort_implIS3_Lb0EPKdPdPKlPlN2at6native12_GLOBAL__N_18offset_tEEE10hipError_tPvRmT1_PNSt15iterator_traitsISK_E10value_typeET2_T3_PNSL_ISQ_E10value_typeET4_jRbjT5_SW_jjP12ihipStream_tbEUlT_E_NS1_11comp_targetILNS1_3genE5ELNS1_11target_archE942ELNS1_3gpuE9ELNS1_3repE0EEENS1_30default_config_static_selectorELNS0_4arch9wavefront6targetE1EEEvSK_
    .private_segment_fixed_size: 0
    .sgpr_count:     4
    .sgpr_spill_count: 0
    .symbol:         _ZN7rocprim17ROCPRIM_400000_NS6detail17trampoline_kernelINS0_14default_configENS1_36segmented_radix_sort_config_selectorIdlEEZNS1_25segmented_radix_sort_implIS3_Lb0EPKdPdPKlPlN2at6native12_GLOBAL__N_18offset_tEEE10hipError_tPvRmT1_PNSt15iterator_traitsISK_E10value_typeET2_T3_PNSL_ISQ_E10value_typeET4_jRbjT5_SW_jjP12ihipStream_tbEUlT_E_NS1_11comp_targetILNS1_3genE5ELNS1_11target_archE942ELNS1_3gpuE9ELNS1_3repE0EEENS1_30default_config_static_selectorELNS0_4arch9wavefront6targetE1EEEvSK_.kd
    .uniform_work_group_size: 1
    .uses_dynamic_stack: false
    .vgpr_count:     0
    .vgpr_spill_count: 0
    .wavefront_size: 64
  - .args:
      - .offset:         0
        .size:           96
        .value_kind:     by_value
    .group_segment_fixed_size: 0
    .kernarg_segment_align: 8
    .kernarg_segment_size: 96
    .language:       OpenCL C
    .language_version:
      - 2
      - 0
    .max_flat_workgroup_size: 256
    .name:           _ZN7rocprim17ROCPRIM_400000_NS6detail17trampoline_kernelINS0_14default_configENS1_36segmented_radix_sort_config_selectorIdlEEZNS1_25segmented_radix_sort_implIS3_Lb0EPKdPdPKlPlN2at6native12_GLOBAL__N_18offset_tEEE10hipError_tPvRmT1_PNSt15iterator_traitsISK_E10value_typeET2_T3_PNSL_ISQ_E10value_typeET4_jRbjT5_SW_jjP12ihipStream_tbEUlT_E_NS1_11comp_targetILNS1_3genE4ELNS1_11target_archE910ELNS1_3gpuE8ELNS1_3repE0EEENS1_30default_config_static_selectorELNS0_4arch9wavefront6targetE1EEEvSK_
    .private_segment_fixed_size: 0
    .sgpr_count:     4
    .sgpr_spill_count: 0
    .symbol:         _ZN7rocprim17ROCPRIM_400000_NS6detail17trampoline_kernelINS0_14default_configENS1_36segmented_radix_sort_config_selectorIdlEEZNS1_25segmented_radix_sort_implIS3_Lb0EPKdPdPKlPlN2at6native12_GLOBAL__N_18offset_tEEE10hipError_tPvRmT1_PNSt15iterator_traitsISK_E10value_typeET2_T3_PNSL_ISQ_E10value_typeET4_jRbjT5_SW_jjP12ihipStream_tbEUlT_E_NS1_11comp_targetILNS1_3genE4ELNS1_11target_archE910ELNS1_3gpuE8ELNS1_3repE0EEENS1_30default_config_static_selectorELNS0_4arch9wavefront6targetE1EEEvSK_.kd
    .uniform_work_group_size: 1
    .uses_dynamic_stack: false
    .vgpr_count:     0
    .vgpr_spill_count: 0
    .wavefront_size: 64
  - .args:
      - .offset:         0
        .size:           96
        .value_kind:     by_value
    .group_segment_fixed_size: 0
    .kernarg_segment_align: 8
    .kernarg_segment_size: 96
    .language:       OpenCL C
    .language_version:
      - 2
      - 0
    .max_flat_workgroup_size: 256
    .name:           _ZN7rocprim17ROCPRIM_400000_NS6detail17trampoline_kernelINS0_14default_configENS1_36segmented_radix_sort_config_selectorIdlEEZNS1_25segmented_radix_sort_implIS3_Lb0EPKdPdPKlPlN2at6native12_GLOBAL__N_18offset_tEEE10hipError_tPvRmT1_PNSt15iterator_traitsISK_E10value_typeET2_T3_PNSL_ISQ_E10value_typeET4_jRbjT5_SW_jjP12ihipStream_tbEUlT_E_NS1_11comp_targetILNS1_3genE3ELNS1_11target_archE908ELNS1_3gpuE7ELNS1_3repE0EEENS1_30default_config_static_selectorELNS0_4arch9wavefront6targetE1EEEvSK_
    .private_segment_fixed_size: 0
    .sgpr_count:     4
    .sgpr_spill_count: 0
    .symbol:         _ZN7rocprim17ROCPRIM_400000_NS6detail17trampoline_kernelINS0_14default_configENS1_36segmented_radix_sort_config_selectorIdlEEZNS1_25segmented_radix_sort_implIS3_Lb0EPKdPdPKlPlN2at6native12_GLOBAL__N_18offset_tEEE10hipError_tPvRmT1_PNSt15iterator_traitsISK_E10value_typeET2_T3_PNSL_ISQ_E10value_typeET4_jRbjT5_SW_jjP12ihipStream_tbEUlT_E_NS1_11comp_targetILNS1_3genE3ELNS1_11target_archE908ELNS1_3gpuE7ELNS1_3repE0EEENS1_30default_config_static_selectorELNS0_4arch9wavefront6targetE1EEEvSK_.kd
    .uniform_work_group_size: 1
    .uses_dynamic_stack: false
    .vgpr_count:     0
    .vgpr_spill_count: 0
    .wavefront_size: 64
  - .args:
      - .offset:         0
        .size:           96
        .value_kind:     by_value
      - .offset:         96
        .size:           4
        .value_kind:     hidden_block_count_x
      - .offset:         100
        .size:           4
        .value_kind:     hidden_block_count_y
      - .offset:         104
        .size:           4
        .value_kind:     hidden_block_count_z
      - .offset:         108
        .size:           2
        .value_kind:     hidden_group_size_x
      - .offset:         110
        .size:           2
        .value_kind:     hidden_group_size_y
      - .offset:         112
        .size:           2
        .value_kind:     hidden_group_size_z
      - .offset:         114
        .size:           2
        .value_kind:     hidden_remainder_x
      - .offset:         116
        .size:           2
        .value_kind:     hidden_remainder_y
      - .offset:         118
        .size:           2
        .value_kind:     hidden_remainder_z
      - .offset:         136
        .size:           8
        .value_kind:     hidden_global_offset_x
      - .offset:         144
        .size:           8
        .value_kind:     hidden_global_offset_y
      - .offset:         152
        .size:           8
        .value_kind:     hidden_global_offset_z
      - .offset:         160
        .size:           2
        .value_kind:     hidden_grid_dims
    .group_segment_fixed_size: 33808
    .kernarg_segment_align: 8
    .kernarg_segment_size: 352
    .language:       OpenCL C
    .language_version:
      - 2
      - 0
    .max_flat_workgroup_size: 256
    .name:           _ZN7rocprim17ROCPRIM_400000_NS6detail17trampoline_kernelINS0_14default_configENS1_36segmented_radix_sort_config_selectorIdlEEZNS1_25segmented_radix_sort_implIS3_Lb0EPKdPdPKlPlN2at6native12_GLOBAL__N_18offset_tEEE10hipError_tPvRmT1_PNSt15iterator_traitsISK_E10value_typeET2_T3_PNSL_ISQ_E10value_typeET4_jRbjT5_SW_jjP12ihipStream_tbEUlT_E_NS1_11comp_targetILNS1_3genE2ELNS1_11target_archE906ELNS1_3gpuE6ELNS1_3repE0EEENS1_30default_config_static_selectorELNS0_4arch9wavefront6targetE1EEEvSK_
    .private_segment_fixed_size: 164
    .sgpr_count:     104
    .sgpr_spill_count: 0
    .symbol:         _ZN7rocprim17ROCPRIM_400000_NS6detail17trampoline_kernelINS0_14default_configENS1_36segmented_radix_sort_config_selectorIdlEEZNS1_25segmented_radix_sort_implIS3_Lb0EPKdPdPKlPlN2at6native12_GLOBAL__N_18offset_tEEE10hipError_tPvRmT1_PNSt15iterator_traitsISK_E10value_typeET2_T3_PNSL_ISQ_E10value_typeET4_jRbjT5_SW_jjP12ihipStream_tbEUlT_E_NS1_11comp_targetILNS1_3genE2ELNS1_11target_archE906ELNS1_3gpuE6ELNS1_3repE0EEENS1_30default_config_static_selectorELNS0_4arch9wavefront6targetE1EEEvSK_.kd
    .uniform_work_group_size: 1
    .uses_dynamic_stack: false
    .vgpr_count:     248
    .vgpr_spill_count: 0
    .wavefront_size: 64
  - .args:
      - .offset:         0
        .size:           96
        .value_kind:     by_value
    .group_segment_fixed_size: 0
    .kernarg_segment_align: 8
    .kernarg_segment_size: 96
    .language:       OpenCL C
    .language_version:
      - 2
      - 0
    .max_flat_workgroup_size: 256
    .name:           _ZN7rocprim17ROCPRIM_400000_NS6detail17trampoline_kernelINS0_14default_configENS1_36segmented_radix_sort_config_selectorIdlEEZNS1_25segmented_radix_sort_implIS3_Lb0EPKdPdPKlPlN2at6native12_GLOBAL__N_18offset_tEEE10hipError_tPvRmT1_PNSt15iterator_traitsISK_E10value_typeET2_T3_PNSL_ISQ_E10value_typeET4_jRbjT5_SW_jjP12ihipStream_tbEUlT_E_NS1_11comp_targetILNS1_3genE10ELNS1_11target_archE1201ELNS1_3gpuE5ELNS1_3repE0EEENS1_30default_config_static_selectorELNS0_4arch9wavefront6targetE1EEEvSK_
    .private_segment_fixed_size: 0
    .sgpr_count:     4
    .sgpr_spill_count: 0
    .symbol:         _ZN7rocprim17ROCPRIM_400000_NS6detail17trampoline_kernelINS0_14default_configENS1_36segmented_radix_sort_config_selectorIdlEEZNS1_25segmented_radix_sort_implIS3_Lb0EPKdPdPKlPlN2at6native12_GLOBAL__N_18offset_tEEE10hipError_tPvRmT1_PNSt15iterator_traitsISK_E10value_typeET2_T3_PNSL_ISQ_E10value_typeET4_jRbjT5_SW_jjP12ihipStream_tbEUlT_E_NS1_11comp_targetILNS1_3genE10ELNS1_11target_archE1201ELNS1_3gpuE5ELNS1_3repE0EEENS1_30default_config_static_selectorELNS0_4arch9wavefront6targetE1EEEvSK_.kd
    .uniform_work_group_size: 1
    .uses_dynamic_stack: false
    .vgpr_count:     0
    .vgpr_spill_count: 0
    .wavefront_size: 64
  - .args:
      - .offset:         0
        .size:           96
        .value_kind:     by_value
    .group_segment_fixed_size: 0
    .kernarg_segment_align: 8
    .kernarg_segment_size: 96
    .language:       OpenCL C
    .language_version:
      - 2
      - 0
    .max_flat_workgroup_size: 128
    .name:           _ZN7rocprim17ROCPRIM_400000_NS6detail17trampoline_kernelINS0_14default_configENS1_36segmented_radix_sort_config_selectorIdlEEZNS1_25segmented_radix_sort_implIS3_Lb0EPKdPdPKlPlN2at6native12_GLOBAL__N_18offset_tEEE10hipError_tPvRmT1_PNSt15iterator_traitsISK_E10value_typeET2_T3_PNSL_ISQ_E10value_typeET4_jRbjT5_SW_jjP12ihipStream_tbEUlT_E_NS1_11comp_targetILNS1_3genE10ELNS1_11target_archE1200ELNS1_3gpuE4ELNS1_3repE0EEENS1_30default_config_static_selectorELNS0_4arch9wavefront6targetE1EEEvSK_
    .private_segment_fixed_size: 0
    .sgpr_count:     4
    .sgpr_spill_count: 0
    .symbol:         _ZN7rocprim17ROCPRIM_400000_NS6detail17trampoline_kernelINS0_14default_configENS1_36segmented_radix_sort_config_selectorIdlEEZNS1_25segmented_radix_sort_implIS3_Lb0EPKdPdPKlPlN2at6native12_GLOBAL__N_18offset_tEEE10hipError_tPvRmT1_PNSt15iterator_traitsISK_E10value_typeET2_T3_PNSL_ISQ_E10value_typeET4_jRbjT5_SW_jjP12ihipStream_tbEUlT_E_NS1_11comp_targetILNS1_3genE10ELNS1_11target_archE1200ELNS1_3gpuE4ELNS1_3repE0EEENS1_30default_config_static_selectorELNS0_4arch9wavefront6targetE1EEEvSK_.kd
    .uniform_work_group_size: 1
    .uses_dynamic_stack: false
    .vgpr_count:     0
    .vgpr_spill_count: 0
    .wavefront_size: 64
  - .args:
      - .offset:         0
        .size:           96
        .value_kind:     by_value
    .group_segment_fixed_size: 0
    .kernarg_segment_align: 8
    .kernarg_segment_size: 96
    .language:       OpenCL C
    .language_version:
      - 2
      - 0
    .max_flat_workgroup_size: 256
    .name:           _ZN7rocprim17ROCPRIM_400000_NS6detail17trampoline_kernelINS0_14default_configENS1_36segmented_radix_sort_config_selectorIdlEEZNS1_25segmented_radix_sort_implIS3_Lb0EPKdPdPKlPlN2at6native12_GLOBAL__N_18offset_tEEE10hipError_tPvRmT1_PNSt15iterator_traitsISK_E10value_typeET2_T3_PNSL_ISQ_E10value_typeET4_jRbjT5_SW_jjP12ihipStream_tbEUlT_E_NS1_11comp_targetILNS1_3genE9ELNS1_11target_archE1100ELNS1_3gpuE3ELNS1_3repE0EEENS1_30default_config_static_selectorELNS0_4arch9wavefront6targetE1EEEvSK_
    .private_segment_fixed_size: 0
    .sgpr_count:     4
    .sgpr_spill_count: 0
    .symbol:         _ZN7rocprim17ROCPRIM_400000_NS6detail17trampoline_kernelINS0_14default_configENS1_36segmented_radix_sort_config_selectorIdlEEZNS1_25segmented_radix_sort_implIS3_Lb0EPKdPdPKlPlN2at6native12_GLOBAL__N_18offset_tEEE10hipError_tPvRmT1_PNSt15iterator_traitsISK_E10value_typeET2_T3_PNSL_ISQ_E10value_typeET4_jRbjT5_SW_jjP12ihipStream_tbEUlT_E_NS1_11comp_targetILNS1_3genE9ELNS1_11target_archE1100ELNS1_3gpuE3ELNS1_3repE0EEENS1_30default_config_static_selectorELNS0_4arch9wavefront6targetE1EEEvSK_.kd
    .uniform_work_group_size: 1
    .uses_dynamic_stack: false
    .vgpr_count:     0
    .vgpr_spill_count: 0
    .wavefront_size: 64
  - .args:
      - .offset:         0
        .size:           96
        .value_kind:     by_value
    .group_segment_fixed_size: 0
    .kernarg_segment_align: 8
    .kernarg_segment_size: 96
    .language:       OpenCL C
    .language_version:
      - 2
      - 0
    .max_flat_workgroup_size: 256
    .name:           _ZN7rocprim17ROCPRIM_400000_NS6detail17trampoline_kernelINS0_14default_configENS1_36segmented_radix_sort_config_selectorIdlEEZNS1_25segmented_radix_sort_implIS3_Lb0EPKdPdPKlPlN2at6native12_GLOBAL__N_18offset_tEEE10hipError_tPvRmT1_PNSt15iterator_traitsISK_E10value_typeET2_T3_PNSL_ISQ_E10value_typeET4_jRbjT5_SW_jjP12ihipStream_tbEUlT_E_NS1_11comp_targetILNS1_3genE8ELNS1_11target_archE1030ELNS1_3gpuE2ELNS1_3repE0EEENS1_30default_config_static_selectorELNS0_4arch9wavefront6targetE1EEEvSK_
    .private_segment_fixed_size: 0
    .sgpr_count:     4
    .sgpr_spill_count: 0
    .symbol:         _ZN7rocprim17ROCPRIM_400000_NS6detail17trampoline_kernelINS0_14default_configENS1_36segmented_radix_sort_config_selectorIdlEEZNS1_25segmented_radix_sort_implIS3_Lb0EPKdPdPKlPlN2at6native12_GLOBAL__N_18offset_tEEE10hipError_tPvRmT1_PNSt15iterator_traitsISK_E10value_typeET2_T3_PNSL_ISQ_E10value_typeET4_jRbjT5_SW_jjP12ihipStream_tbEUlT_E_NS1_11comp_targetILNS1_3genE8ELNS1_11target_archE1030ELNS1_3gpuE2ELNS1_3repE0EEENS1_30default_config_static_selectorELNS0_4arch9wavefront6targetE1EEEvSK_.kd
    .uniform_work_group_size: 1
    .uses_dynamic_stack: false
    .vgpr_count:     0
    .vgpr_spill_count: 0
    .wavefront_size: 64
  - .args:
      - .offset:         0
        .size:           88
        .value_kind:     by_value
    .group_segment_fixed_size: 0
    .kernarg_segment_align: 8
    .kernarg_segment_size: 88
    .language:       OpenCL C
    .language_version:
      - 2
      - 0
    .max_flat_workgroup_size: 256
    .name:           _ZN7rocprim17ROCPRIM_400000_NS6detail17trampoline_kernelINS0_14default_configENS1_36segmented_radix_sort_config_selectorIdlEEZNS1_25segmented_radix_sort_implIS3_Lb0EPKdPdPKlPlN2at6native12_GLOBAL__N_18offset_tEEE10hipError_tPvRmT1_PNSt15iterator_traitsISK_E10value_typeET2_T3_PNSL_ISQ_E10value_typeET4_jRbjT5_SW_jjP12ihipStream_tbEUlT_E0_NS1_11comp_targetILNS1_3genE0ELNS1_11target_archE4294967295ELNS1_3gpuE0ELNS1_3repE0EEENS1_60segmented_radix_sort_warp_sort_medium_config_static_selectorELNS0_4arch9wavefront6targetE1EEEvSK_
    .private_segment_fixed_size: 0
    .sgpr_count:     4
    .sgpr_spill_count: 0
    .symbol:         _ZN7rocprim17ROCPRIM_400000_NS6detail17trampoline_kernelINS0_14default_configENS1_36segmented_radix_sort_config_selectorIdlEEZNS1_25segmented_radix_sort_implIS3_Lb0EPKdPdPKlPlN2at6native12_GLOBAL__N_18offset_tEEE10hipError_tPvRmT1_PNSt15iterator_traitsISK_E10value_typeET2_T3_PNSL_ISQ_E10value_typeET4_jRbjT5_SW_jjP12ihipStream_tbEUlT_E0_NS1_11comp_targetILNS1_3genE0ELNS1_11target_archE4294967295ELNS1_3gpuE0ELNS1_3repE0EEENS1_60segmented_radix_sort_warp_sort_medium_config_static_selectorELNS0_4arch9wavefront6targetE1EEEvSK_.kd
    .uniform_work_group_size: 1
    .uses_dynamic_stack: false
    .vgpr_count:     0
    .vgpr_spill_count: 0
    .wavefront_size: 64
  - .args:
      - .offset:         0
        .size:           88
        .value_kind:     by_value
    .group_segment_fixed_size: 0
    .kernarg_segment_align: 8
    .kernarg_segment_size: 88
    .language:       OpenCL C
    .language_version:
      - 2
      - 0
    .max_flat_workgroup_size: 256
    .name:           _ZN7rocprim17ROCPRIM_400000_NS6detail17trampoline_kernelINS0_14default_configENS1_36segmented_radix_sort_config_selectorIdlEEZNS1_25segmented_radix_sort_implIS3_Lb0EPKdPdPKlPlN2at6native12_GLOBAL__N_18offset_tEEE10hipError_tPvRmT1_PNSt15iterator_traitsISK_E10value_typeET2_T3_PNSL_ISQ_E10value_typeET4_jRbjT5_SW_jjP12ihipStream_tbEUlT_E0_NS1_11comp_targetILNS1_3genE5ELNS1_11target_archE942ELNS1_3gpuE9ELNS1_3repE0EEENS1_60segmented_radix_sort_warp_sort_medium_config_static_selectorELNS0_4arch9wavefront6targetE1EEEvSK_
    .private_segment_fixed_size: 0
    .sgpr_count:     4
    .sgpr_spill_count: 0
    .symbol:         _ZN7rocprim17ROCPRIM_400000_NS6detail17trampoline_kernelINS0_14default_configENS1_36segmented_radix_sort_config_selectorIdlEEZNS1_25segmented_radix_sort_implIS3_Lb0EPKdPdPKlPlN2at6native12_GLOBAL__N_18offset_tEEE10hipError_tPvRmT1_PNSt15iterator_traitsISK_E10value_typeET2_T3_PNSL_ISQ_E10value_typeET4_jRbjT5_SW_jjP12ihipStream_tbEUlT_E0_NS1_11comp_targetILNS1_3genE5ELNS1_11target_archE942ELNS1_3gpuE9ELNS1_3repE0EEENS1_60segmented_radix_sort_warp_sort_medium_config_static_selectorELNS0_4arch9wavefront6targetE1EEEvSK_.kd
    .uniform_work_group_size: 1
    .uses_dynamic_stack: false
    .vgpr_count:     0
    .vgpr_spill_count: 0
    .wavefront_size: 64
  - .args:
      - .offset:         0
        .size:           88
        .value_kind:     by_value
    .group_segment_fixed_size: 0
    .kernarg_segment_align: 8
    .kernarg_segment_size: 88
    .language:       OpenCL C
    .language_version:
      - 2
      - 0
    .max_flat_workgroup_size: 256
    .name:           _ZN7rocprim17ROCPRIM_400000_NS6detail17trampoline_kernelINS0_14default_configENS1_36segmented_radix_sort_config_selectorIdlEEZNS1_25segmented_radix_sort_implIS3_Lb0EPKdPdPKlPlN2at6native12_GLOBAL__N_18offset_tEEE10hipError_tPvRmT1_PNSt15iterator_traitsISK_E10value_typeET2_T3_PNSL_ISQ_E10value_typeET4_jRbjT5_SW_jjP12ihipStream_tbEUlT_E0_NS1_11comp_targetILNS1_3genE4ELNS1_11target_archE910ELNS1_3gpuE8ELNS1_3repE0EEENS1_60segmented_radix_sort_warp_sort_medium_config_static_selectorELNS0_4arch9wavefront6targetE1EEEvSK_
    .private_segment_fixed_size: 0
    .sgpr_count:     4
    .sgpr_spill_count: 0
    .symbol:         _ZN7rocprim17ROCPRIM_400000_NS6detail17trampoline_kernelINS0_14default_configENS1_36segmented_radix_sort_config_selectorIdlEEZNS1_25segmented_radix_sort_implIS3_Lb0EPKdPdPKlPlN2at6native12_GLOBAL__N_18offset_tEEE10hipError_tPvRmT1_PNSt15iterator_traitsISK_E10value_typeET2_T3_PNSL_ISQ_E10value_typeET4_jRbjT5_SW_jjP12ihipStream_tbEUlT_E0_NS1_11comp_targetILNS1_3genE4ELNS1_11target_archE910ELNS1_3gpuE8ELNS1_3repE0EEENS1_60segmented_radix_sort_warp_sort_medium_config_static_selectorELNS0_4arch9wavefront6targetE1EEEvSK_.kd
    .uniform_work_group_size: 1
    .uses_dynamic_stack: false
    .vgpr_count:     0
    .vgpr_spill_count: 0
    .wavefront_size: 64
  - .args:
      - .offset:         0
        .size:           88
        .value_kind:     by_value
    .group_segment_fixed_size: 0
    .kernarg_segment_align: 8
    .kernarg_segment_size: 88
    .language:       OpenCL C
    .language_version:
      - 2
      - 0
    .max_flat_workgroup_size: 256
    .name:           _ZN7rocprim17ROCPRIM_400000_NS6detail17trampoline_kernelINS0_14default_configENS1_36segmented_radix_sort_config_selectorIdlEEZNS1_25segmented_radix_sort_implIS3_Lb0EPKdPdPKlPlN2at6native12_GLOBAL__N_18offset_tEEE10hipError_tPvRmT1_PNSt15iterator_traitsISK_E10value_typeET2_T3_PNSL_ISQ_E10value_typeET4_jRbjT5_SW_jjP12ihipStream_tbEUlT_E0_NS1_11comp_targetILNS1_3genE3ELNS1_11target_archE908ELNS1_3gpuE7ELNS1_3repE0EEENS1_60segmented_radix_sort_warp_sort_medium_config_static_selectorELNS0_4arch9wavefront6targetE1EEEvSK_
    .private_segment_fixed_size: 0
    .sgpr_count:     4
    .sgpr_spill_count: 0
    .symbol:         _ZN7rocprim17ROCPRIM_400000_NS6detail17trampoline_kernelINS0_14default_configENS1_36segmented_radix_sort_config_selectorIdlEEZNS1_25segmented_radix_sort_implIS3_Lb0EPKdPdPKlPlN2at6native12_GLOBAL__N_18offset_tEEE10hipError_tPvRmT1_PNSt15iterator_traitsISK_E10value_typeET2_T3_PNSL_ISQ_E10value_typeET4_jRbjT5_SW_jjP12ihipStream_tbEUlT_E0_NS1_11comp_targetILNS1_3genE3ELNS1_11target_archE908ELNS1_3gpuE7ELNS1_3repE0EEENS1_60segmented_radix_sort_warp_sort_medium_config_static_selectorELNS0_4arch9wavefront6targetE1EEEvSK_.kd
    .uniform_work_group_size: 1
    .uses_dynamic_stack: false
    .vgpr_count:     0
    .vgpr_spill_count: 0
    .wavefront_size: 64
  - .args:
      - .offset:         0
        .size:           88
        .value_kind:     by_value
      - .offset:         88
        .size:           4
        .value_kind:     hidden_block_count_x
      - .offset:         92
        .size:           4
        .value_kind:     hidden_block_count_y
      - .offset:         96
        .size:           4
        .value_kind:     hidden_block_count_z
      - .offset:         100
        .size:           2
        .value_kind:     hidden_group_size_x
      - .offset:         102
        .size:           2
        .value_kind:     hidden_group_size_y
      - .offset:         104
        .size:           2
        .value_kind:     hidden_group_size_z
      - .offset:         106
        .size:           2
        .value_kind:     hidden_remainder_x
      - .offset:         108
        .size:           2
        .value_kind:     hidden_remainder_y
      - .offset:         110
        .size:           2
        .value_kind:     hidden_remainder_z
      - .offset:         128
        .size:           8
        .value_kind:     hidden_global_offset_x
      - .offset:         136
        .size:           8
        .value_kind:     hidden_global_offset_y
      - .offset:         144
        .size:           8
        .value_kind:     hidden_global_offset_z
      - .offset:         152
        .size:           2
        .value_kind:     hidden_grid_dims
    .group_segment_fixed_size: 32768
    .kernarg_segment_align: 8
    .kernarg_segment_size: 344
    .language:       OpenCL C
    .language_version:
      - 2
      - 0
    .max_flat_workgroup_size: 256
    .name:           _ZN7rocprim17ROCPRIM_400000_NS6detail17trampoline_kernelINS0_14default_configENS1_36segmented_radix_sort_config_selectorIdlEEZNS1_25segmented_radix_sort_implIS3_Lb0EPKdPdPKlPlN2at6native12_GLOBAL__N_18offset_tEEE10hipError_tPvRmT1_PNSt15iterator_traitsISK_E10value_typeET2_T3_PNSL_ISQ_E10value_typeET4_jRbjT5_SW_jjP12ihipStream_tbEUlT_E0_NS1_11comp_targetILNS1_3genE2ELNS1_11target_archE906ELNS1_3gpuE6ELNS1_3repE0EEENS1_60segmented_radix_sort_warp_sort_medium_config_static_selectorELNS0_4arch9wavefront6targetE1EEEvSK_
    .private_segment_fixed_size: 0
    .sgpr_count:     64
    .sgpr_spill_count: 0
    .symbol:         _ZN7rocprim17ROCPRIM_400000_NS6detail17trampoline_kernelINS0_14default_configENS1_36segmented_radix_sort_config_selectorIdlEEZNS1_25segmented_radix_sort_implIS3_Lb0EPKdPdPKlPlN2at6native12_GLOBAL__N_18offset_tEEE10hipError_tPvRmT1_PNSt15iterator_traitsISK_E10value_typeET2_T3_PNSL_ISQ_E10value_typeET4_jRbjT5_SW_jjP12ihipStream_tbEUlT_E0_NS1_11comp_targetILNS1_3genE2ELNS1_11target_archE906ELNS1_3gpuE6ELNS1_3repE0EEENS1_60segmented_radix_sort_warp_sort_medium_config_static_selectorELNS0_4arch9wavefront6targetE1EEEvSK_.kd
    .uniform_work_group_size: 1
    .uses_dynamic_stack: false
    .vgpr_count:     99
    .vgpr_spill_count: 0
    .wavefront_size: 64
  - .args:
      - .offset:         0
        .size:           88
        .value_kind:     by_value
    .group_segment_fixed_size: 0
    .kernarg_segment_align: 8
    .kernarg_segment_size: 88
    .language:       OpenCL C
    .language_version:
      - 2
      - 0
    .max_flat_workgroup_size: 256
    .name:           _ZN7rocprim17ROCPRIM_400000_NS6detail17trampoline_kernelINS0_14default_configENS1_36segmented_radix_sort_config_selectorIdlEEZNS1_25segmented_radix_sort_implIS3_Lb0EPKdPdPKlPlN2at6native12_GLOBAL__N_18offset_tEEE10hipError_tPvRmT1_PNSt15iterator_traitsISK_E10value_typeET2_T3_PNSL_ISQ_E10value_typeET4_jRbjT5_SW_jjP12ihipStream_tbEUlT_E0_NS1_11comp_targetILNS1_3genE10ELNS1_11target_archE1201ELNS1_3gpuE5ELNS1_3repE0EEENS1_60segmented_radix_sort_warp_sort_medium_config_static_selectorELNS0_4arch9wavefront6targetE1EEEvSK_
    .private_segment_fixed_size: 0
    .sgpr_count:     4
    .sgpr_spill_count: 0
    .symbol:         _ZN7rocprim17ROCPRIM_400000_NS6detail17trampoline_kernelINS0_14default_configENS1_36segmented_radix_sort_config_selectorIdlEEZNS1_25segmented_radix_sort_implIS3_Lb0EPKdPdPKlPlN2at6native12_GLOBAL__N_18offset_tEEE10hipError_tPvRmT1_PNSt15iterator_traitsISK_E10value_typeET2_T3_PNSL_ISQ_E10value_typeET4_jRbjT5_SW_jjP12ihipStream_tbEUlT_E0_NS1_11comp_targetILNS1_3genE10ELNS1_11target_archE1201ELNS1_3gpuE5ELNS1_3repE0EEENS1_60segmented_radix_sort_warp_sort_medium_config_static_selectorELNS0_4arch9wavefront6targetE1EEEvSK_.kd
    .uniform_work_group_size: 1
    .uses_dynamic_stack: false
    .vgpr_count:     0
    .vgpr_spill_count: 0
    .wavefront_size: 64
  - .args:
      - .offset:         0
        .size:           88
        .value_kind:     by_value
    .group_segment_fixed_size: 0
    .kernarg_segment_align: 8
    .kernarg_segment_size: 88
    .language:       OpenCL C
    .language_version:
      - 2
      - 0
    .max_flat_workgroup_size: 256
    .name:           _ZN7rocprim17ROCPRIM_400000_NS6detail17trampoline_kernelINS0_14default_configENS1_36segmented_radix_sort_config_selectorIdlEEZNS1_25segmented_radix_sort_implIS3_Lb0EPKdPdPKlPlN2at6native12_GLOBAL__N_18offset_tEEE10hipError_tPvRmT1_PNSt15iterator_traitsISK_E10value_typeET2_T3_PNSL_ISQ_E10value_typeET4_jRbjT5_SW_jjP12ihipStream_tbEUlT_E0_NS1_11comp_targetILNS1_3genE10ELNS1_11target_archE1200ELNS1_3gpuE4ELNS1_3repE0EEENS1_60segmented_radix_sort_warp_sort_medium_config_static_selectorELNS0_4arch9wavefront6targetE1EEEvSK_
    .private_segment_fixed_size: 0
    .sgpr_count:     4
    .sgpr_spill_count: 0
    .symbol:         _ZN7rocprim17ROCPRIM_400000_NS6detail17trampoline_kernelINS0_14default_configENS1_36segmented_radix_sort_config_selectorIdlEEZNS1_25segmented_radix_sort_implIS3_Lb0EPKdPdPKlPlN2at6native12_GLOBAL__N_18offset_tEEE10hipError_tPvRmT1_PNSt15iterator_traitsISK_E10value_typeET2_T3_PNSL_ISQ_E10value_typeET4_jRbjT5_SW_jjP12ihipStream_tbEUlT_E0_NS1_11comp_targetILNS1_3genE10ELNS1_11target_archE1200ELNS1_3gpuE4ELNS1_3repE0EEENS1_60segmented_radix_sort_warp_sort_medium_config_static_selectorELNS0_4arch9wavefront6targetE1EEEvSK_.kd
    .uniform_work_group_size: 1
    .uses_dynamic_stack: false
    .vgpr_count:     0
    .vgpr_spill_count: 0
    .wavefront_size: 64
  - .args:
      - .offset:         0
        .size:           88
        .value_kind:     by_value
    .group_segment_fixed_size: 0
    .kernarg_segment_align: 8
    .kernarg_segment_size: 88
    .language:       OpenCL C
    .language_version:
      - 2
      - 0
    .max_flat_workgroup_size: 256
    .name:           _ZN7rocprim17ROCPRIM_400000_NS6detail17trampoline_kernelINS0_14default_configENS1_36segmented_radix_sort_config_selectorIdlEEZNS1_25segmented_radix_sort_implIS3_Lb0EPKdPdPKlPlN2at6native12_GLOBAL__N_18offset_tEEE10hipError_tPvRmT1_PNSt15iterator_traitsISK_E10value_typeET2_T3_PNSL_ISQ_E10value_typeET4_jRbjT5_SW_jjP12ihipStream_tbEUlT_E0_NS1_11comp_targetILNS1_3genE9ELNS1_11target_archE1100ELNS1_3gpuE3ELNS1_3repE0EEENS1_60segmented_radix_sort_warp_sort_medium_config_static_selectorELNS0_4arch9wavefront6targetE1EEEvSK_
    .private_segment_fixed_size: 0
    .sgpr_count:     4
    .sgpr_spill_count: 0
    .symbol:         _ZN7rocprim17ROCPRIM_400000_NS6detail17trampoline_kernelINS0_14default_configENS1_36segmented_radix_sort_config_selectorIdlEEZNS1_25segmented_radix_sort_implIS3_Lb0EPKdPdPKlPlN2at6native12_GLOBAL__N_18offset_tEEE10hipError_tPvRmT1_PNSt15iterator_traitsISK_E10value_typeET2_T3_PNSL_ISQ_E10value_typeET4_jRbjT5_SW_jjP12ihipStream_tbEUlT_E0_NS1_11comp_targetILNS1_3genE9ELNS1_11target_archE1100ELNS1_3gpuE3ELNS1_3repE0EEENS1_60segmented_radix_sort_warp_sort_medium_config_static_selectorELNS0_4arch9wavefront6targetE1EEEvSK_.kd
    .uniform_work_group_size: 1
    .uses_dynamic_stack: false
    .vgpr_count:     0
    .vgpr_spill_count: 0
    .wavefront_size: 64
  - .args:
      - .offset:         0
        .size:           88
        .value_kind:     by_value
    .group_segment_fixed_size: 0
    .kernarg_segment_align: 8
    .kernarg_segment_size: 88
    .language:       OpenCL C
    .language_version:
      - 2
      - 0
    .max_flat_workgroup_size: 256
    .name:           _ZN7rocprim17ROCPRIM_400000_NS6detail17trampoline_kernelINS0_14default_configENS1_36segmented_radix_sort_config_selectorIdlEEZNS1_25segmented_radix_sort_implIS3_Lb0EPKdPdPKlPlN2at6native12_GLOBAL__N_18offset_tEEE10hipError_tPvRmT1_PNSt15iterator_traitsISK_E10value_typeET2_T3_PNSL_ISQ_E10value_typeET4_jRbjT5_SW_jjP12ihipStream_tbEUlT_E0_NS1_11comp_targetILNS1_3genE8ELNS1_11target_archE1030ELNS1_3gpuE2ELNS1_3repE0EEENS1_60segmented_radix_sort_warp_sort_medium_config_static_selectorELNS0_4arch9wavefront6targetE1EEEvSK_
    .private_segment_fixed_size: 0
    .sgpr_count:     4
    .sgpr_spill_count: 0
    .symbol:         _ZN7rocprim17ROCPRIM_400000_NS6detail17trampoline_kernelINS0_14default_configENS1_36segmented_radix_sort_config_selectorIdlEEZNS1_25segmented_radix_sort_implIS3_Lb0EPKdPdPKlPlN2at6native12_GLOBAL__N_18offset_tEEE10hipError_tPvRmT1_PNSt15iterator_traitsISK_E10value_typeET2_T3_PNSL_ISQ_E10value_typeET4_jRbjT5_SW_jjP12ihipStream_tbEUlT_E0_NS1_11comp_targetILNS1_3genE8ELNS1_11target_archE1030ELNS1_3gpuE2ELNS1_3repE0EEENS1_60segmented_radix_sort_warp_sort_medium_config_static_selectorELNS0_4arch9wavefront6targetE1EEEvSK_.kd
    .uniform_work_group_size: 1
    .uses_dynamic_stack: false
    .vgpr_count:     0
    .vgpr_spill_count: 0
    .wavefront_size: 64
  - .args:
      - .offset:         0
        .size:           88
        .value_kind:     by_value
    .group_segment_fixed_size: 0
    .kernarg_segment_align: 8
    .kernarg_segment_size: 88
    .language:       OpenCL C
    .language_version:
      - 2
      - 0
    .max_flat_workgroup_size: 256
    .name:           _ZN7rocprim17ROCPRIM_400000_NS6detail17trampoline_kernelINS0_14default_configENS1_36segmented_radix_sort_config_selectorIdlEEZNS1_25segmented_radix_sort_implIS3_Lb0EPKdPdPKlPlN2at6native12_GLOBAL__N_18offset_tEEE10hipError_tPvRmT1_PNSt15iterator_traitsISK_E10value_typeET2_T3_PNSL_ISQ_E10value_typeET4_jRbjT5_SW_jjP12ihipStream_tbEUlT_E1_NS1_11comp_targetILNS1_3genE0ELNS1_11target_archE4294967295ELNS1_3gpuE0ELNS1_3repE0EEENS1_59segmented_radix_sort_warp_sort_small_config_static_selectorELNS0_4arch9wavefront6targetE1EEEvSK_
    .private_segment_fixed_size: 0
    .sgpr_count:     4
    .sgpr_spill_count: 0
    .symbol:         _ZN7rocprim17ROCPRIM_400000_NS6detail17trampoline_kernelINS0_14default_configENS1_36segmented_radix_sort_config_selectorIdlEEZNS1_25segmented_radix_sort_implIS3_Lb0EPKdPdPKlPlN2at6native12_GLOBAL__N_18offset_tEEE10hipError_tPvRmT1_PNSt15iterator_traitsISK_E10value_typeET2_T3_PNSL_ISQ_E10value_typeET4_jRbjT5_SW_jjP12ihipStream_tbEUlT_E1_NS1_11comp_targetILNS1_3genE0ELNS1_11target_archE4294967295ELNS1_3gpuE0ELNS1_3repE0EEENS1_59segmented_radix_sort_warp_sort_small_config_static_selectorELNS0_4arch9wavefront6targetE1EEEvSK_.kd
    .uniform_work_group_size: 1
    .uses_dynamic_stack: false
    .vgpr_count:     0
    .vgpr_spill_count: 0
    .wavefront_size: 64
  - .args:
      - .offset:         0
        .size:           88
        .value_kind:     by_value
    .group_segment_fixed_size: 0
    .kernarg_segment_align: 8
    .kernarg_segment_size: 88
    .language:       OpenCL C
    .language_version:
      - 2
      - 0
    .max_flat_workgroup_size: 256
    .name:           _ZN7rocprim17ROCPRIM_400000_NS6detail17trampoline_kernelINS0_14default_configENS1_36segmented_radix_sort_config_selectorIdlEEZNS1_25segmented_radix_sort_implIS3_Lb0EPKdPdPKlPlN2at6native12_GLOBAL__N_18offset_tEEE10hipError_tPvRmT1_PNSt15iterator_traitsISK_E10value_typeET2_T3_PNSL_ISQ_E10value_typeET4_jRbjT5_SW_jjP12ihipStream_tbEUlT_E1_NS1_11comp_targetILNS1_3genE5ELNS1_11target_archE942ELNS1_3gpuE9ELNS1_3repE0EEENS1_59segmented_radix_sort_warp_sort_small_config_static_selectorELNS0_4arch9wavefront6targetE1EEEvSK_
    .private_segment_fixed_size: 0
    .sgpr_count:     4
    .sgpr_spill_count: 0
    .symbol:         _ZN7rocprim17ROCPRIM_400000_NS6detail17trampoline_kernelINS0_14default_configENS1_36segmented_radix_sort_config_selectorIdlEEZNS1_25segmented_radix_sort_implIS3_Lb0EPKdPdPKlPlN2at6native12_GLOBAL__N_18offset_tEEE10hipError_tPvRmT1_PNSt15iterator_traitsISK_E10value_typeET2_T3_PNSL_ISQ_E10value_typeET4_jRbjT5_SW_jjP12ihipStream_tbEUlT_E1_NS1_11comp_targetILNS1_3genE5ELNS1_11target_archE942ELNS1_3gpuE9ELNS1_3repE0EEENS1_59segmented_radix_sort_warp_sort_small_config_static_selectorELNS0_4arch9wavefront6targetE1EEEvSK_.kd
    .uniform_work_group_size: 1
    .uses_dynamic_stack: false
    .vgpr_count:     0
    .vgpr_spill_count: 0
    .wavefront_size: 64
  - .args:
      - .offset:         0
        .size:           88
        .value_kind:     by_value
    .group_segment_fixed_size: 0
    .kernarg_segment_align: 8
    .kernarg_segment_size: 88
    .language:       OpenCL C
    .language_version:
      - 2
      - 0
    .max_flat_workgroup_size: 256
    .name:           _ZN7rocprim17ROCPRIM_400000_NS6detail17trampoline_kernelINS0_14default_configENS1_36segmented_radix_sort_config_selectorIdlEEZNS1_25segmented_radix_sort_implIS3_Lb0EPKdPdPKlPlN2at6native12_GLOBAL__N_18offset_tEEE10hipError_tPvRmT1_PNSt15iterator_traitsISK_E10value_typeET2_T3_PNSL_ISQ_E10value_typeET4_jRbjT5_SW_jjP12ihipStream_tbEUlT_E1_NS1_11comp_targetILNS1_3genE4ELNS1_11target_archE910ELNS1_3gpuE8ELNS1_3repE0EEENS1_59segmented_radix_sort_warp_sort_small_config_static_selectorELNS0_4arch9wavefront6targetE1EEEvSK_
    .private_segment_fixed_size: 0
    .sgpr_count:     4
    .sgpr_spill_count: 0
    .symbol:         _ZN7rocprim17ROCPRIM_400000_NS6detail17trampoline_kernelINS0_14default_configENS1_36segmented_radix_sort_config_selectorIdlEEZNS1_25segmented_radix_sort_implIS3_Lb0EPKdPdPKlPlN2at6native12_GLOBAL__N_18offset_tEEE10hipError_tPvRmT1_PNSt15iterator_traitsISK_E10value_typeET2_T3_PNSL_ISQ_E10value_typeET4_jRbjT5_SW_jjP12ihipStream_tbEUlT_E1_NS1_11comp_targetILNS1_3genE4ELNS1_11target_archE910ELNS1_3gpuE8ELNS1_3repE0EEENS1_59segmented_radix_sort_warp_sort_small_config_static_selectorELNS0_4arch9wavefront6targetE1EEEvSK_.kd
    .uniform_work_group_size: 1
    .uses_dynamic_stack: false
    .vgpr_count:     0
    .vgpr_spill_count: 0
    .wavefront_size: 64
  - .args:
      - .offset:         0
        .size:           88
        .value_kind:     by_value
    .group_segment_fixed_size: 0
    .kernarg_segment_align: 8
    .kernarg_segment_size: 88
    .language:       OpenCL C
    .language_version:
      - 2
      - 0
    .max_flat_workgroup_size: 256
    .name:           _ZN7rocprim17ROCPRIM_400000_NS6detail17trampoline_kernelINS0_14default_configENS1_36segmented_radix_sort_config_selectorIdlEEZNS1_25segmented_radix_sort_implIS3_Lb0EPKdPdPKlPlN2at6native12_GLOBAL__N_18offset_tEEE10hipError_tPvRmT1_PNSt15iterator_traitsISK_E10value_typeET2_T3_PNSL_ISQ_E10value_typeET4_jRbjT5_SW_jjP12ihipStream_tbEUlT_E1_NS1_11comp_targetILNS1_3genE3ELNS1_11target_archE908ELNS1_3gpuE7ELNS1_3repE0EEENS1_59segmented_radix_sort_warp_sort_small_config_static_selectorELNS0_4arch9wavefront6targetE1EEEvSK_
    .private_segment_fixed_size: 0
    .sgpr_count:     4
    .sgpr_spill_count: 0
    .symbol:         _ZN7rocprim17ROCPRIM_400000_NS6detail17trampoline_kernelINS0_14default_configENS1_36segmented_radix_sort_config_selectorIdlEEZNS1_25segmented_radix_sort_implIS3_Lb0EPKdPdPKlPlN2at6native12_GLOBAL__N_18offset_tEEE10hipError_tPvRmT1_PNSt15iterator_traitsISK_E10value_typeET2_T3_PNSL_ISQ_E10value_typeET4_jRbjT5_SW_jjP12ihipStream_tbEUlT_E1_NS1_11comp_targetILNS1_3genE3ELNS1_11target_archE908ELNS1_3gpuE7ELNS1_3repE0EEENS1_59segmented_radix_sort_warp_sort_small_config_static_selectorELNS0_4arch9wavefront6targetE1EEEvSK_.kd
    .uniform_work_group_size: 1
    .uses_dynamic_stack: false
    .vgpr_count:     0
    .vgpr_spill_count: 0
    .wavefront_size: 64
  - .args:
      - .offset:         0
        .size:           88
        .value_kind:     by_value
      - .offset:         88
        .size:           4
        .value_kind:     hidden_block_count_x
      - .offset:         92
        .size:           4
        .value_kind:     hidden_block_count_y
      - .offset:         96
        .size:           4
        .value_kind:     hidden_block_count_z
      - .offset:         100
        .size:           2
        .value_kind:     hidden_group_size_x
      - .offset:         102
        .size:           2
        .value_kind:     hidden_group_size_y
      - .offset:         104
        .size:           2
        .value_kind:     hidden_group_size_z
      - .offset:         106
        .size:           2
        .value_kind:     hidden_remainder_x
      - .offset:         108
        .size:           2
        .value_kind:     hidden_remainder_y
      - .offset:         110
        .size:           2
        .value_kind:     hidden_remainder_z
      - .offset:         128
        .size:           8
        .value_kind:     hidden_global_offset_x
      - .offset:         136
        .size:           8
        .value_kind:     hidden_global_offset_y
      - .offset:         144
        .size:           8
        .value_kind:     hidden_global_offset_z
      - .offset:         152
        .size:           2
        .value_kind:     hidden_grid_dims
    .group_segment_fixed_size: 16384
    .kernarg_segment_align: 8
    .kernarg_segment_size: 344
    .language:       OpenCL C
    .language_version:
      - 2
      - 0
    .max_flat_workgroup_size: 256
    .name:           _ZN7rocprim17ROCPRIM_400000_NS6detail17trampoline_kernelINS0_14default_configENS1_36segmented_radix_sort_config_selectorIdlEEZNS1_25segmented_radix_sort_implIS3_Lb0EPKdPdPKlPlN2at6native12_GLOBAL__N_18offset_tEEE10hipError_tPvRmT1_PNSt15iterator_traitsISK_E10value_typeET2_T3_PNSL_ISQ_E10value_typeET4_jRbjT5_SW_jjP12ihipStream_tbEUlT_E1_NS1_11comp_targetILNS1_3genE2ELNS1_11target_archE906ELNS1_3gpuE6ELNS1_3repE0EEENS1_59segmented_radix_sort_warp_sort_small_config_static_selectorELNS0_4arch9wavefront6targetE1EEEvSK_
    .private_segment_fixed_size: 0
    .sgpr_count:     46
    .sgpr_spill_count: 0
    .symbol:         _ZN7rocprim17ROCPRIM_400000_NS6detail17trampoline_kernelINS0_14default_configENS1_36segmented_radix_sort_config_selectorIdlEEZNS1_25segmented_radix_sort_implIS3_Lb0EPKdPdPKlPlN2at6native12_GLOBAL__N_18offset_tEEE10hipError_tPvRmT1_PNSt15iterator_traitsISK_E10value_typeET2_T3_PNSL_ISQ_E10value_typeET4_jRbjT5_SW_jjP12ihipStream_tbEUlT_E1_NS1_11comp_targetILNS1_3genE2ELNS1_11target_archE906ELNS1_3gpuE6ELNS1_3repE0EEENS1_59segmented_radix_sort_warp_sort_small_config_static_selectorELNS0_4arch9wavefront6targetE1EEEvSK_.kd
    .uniform_work_group_size: 1
    .uses_dynamic_stack: false
    .vgpr_count:     68
    .vgpr_spill_count: 0
    .wavefront_size: 64
  - .args:
      - .offset:         0
        .size:           88
        .value_kind:     by_value
    .group_segment_fixed_size: 0
    .kernarg_segment_align: 8
    .kernarg_segment_size: 88
    .language:       OpenCL C
    .language_version:
      - 2
      - 0
    .max_flat_workgroup_size: 256
    .name:           _ZN7rocprim17ROCPRIM_400000_NS6detail17trampoline_kernelINS0_14default_configENS1_36segmented_radix_sort_config_selectorIdlEEZNS1_25segmented_radix_sort_implIS3_Lb0EPKdPdPKlPlN2at6native12_GLOBAL__N_18offset_tEEE10hipError_tPvRmT1_PNSt15iterator_traitsISK_E10value_typeET2_T3_PNSL_ISQ_E10value_typeET4_jRbjT5_SW_jjP12ihipStream_tbEUlT_E1_NS1_11comp_targetILNS1_3genE10ELNS1_11target_archE1201ELNS1_3gpuE5ELNS1_3repE0EEENS1_59segmented_radix_sort_warp_sort_small_config_static_selectorELNS0_4arch9wavefront6targetE1EEEvSK_
    .private_segment_fixed_size: 0
    .sgpr_count:     4
    .sgpr_spill_count: 0
    .symbol:         _ZN7rocprim17ROCPRIM_400000_NS6detail17trampoline_kernelINS0_14default_configENS1_36segmented_radix_sort_config_selectorIdlEEZNS1_25segmented_radix_sort_implIS3_Lb0EPKdPdPKlPlN2at6native12_GLOBAL__N_18offset_tEEE10hipError_tPvRmT1_PNSt15iterator_traitsISK_E10value_typeET2_T3_PNSL_ISQ_E10value_typeET4_jRbjT5_SW_jjP12ihipStream_tbEUlT_E1_NS1_11comp_targetILNS1_3genE10ELNS1_11target_archE1201ELNS1_3gpuE5ELNS1_3repE0EEENS1_59segmented_radix_sort_warp_sort_small_config_static_selectorELNS0_4arch9wavefront6targetE1EEEvSK_.kd
    .uniform_work_group_size: 1
    .uses_dynamic_stack: false
    .vgpr_count:     0
    .vgpr_spill_count: 0
    .wavefront_size: 64
  - .args:
      - .offset:         0
        .size:           88
        .value_kind:     by_value
    .group_segment_fixed_size: 0
    .kernarg_segment_align: 8
    .kernarg_segment_size: 88
    .language:       OpenCL C
    .language_version:
      - 2
      - 0
    .max_flat_workgroup_size: 256
    .name:           _ZN7rocprim17ROCPRIM_400000_NS6detail17trampoline_kernelINS0_14default_configENS1_36segmented_radix_sort_config_selectorIdlEEZNS1_25segmented_radix_sort_implIS3_Lb0EPKdPdPKlPlN2at6native12_GLOBAL__N_18offset_tEEE10hipError_tPvRmT1_PNSt15iterator_traitsISK_E10value_typeET2_T3_PNSL_ISQ_E10value_typeET4_jRbjT5_SW_jjP12ihipStream_tbEUlT_E1_NS1_11comp_targetILNS1_3genE10ELNS1_11target_archE1200ELNS1_3gpuE4ELNS1_3repE0EEENS1_59segmented_radix_sort_warp_sort_small_config_static_selectorELNS0_4arch9wavefront6targetE1EEEvSK_
    .private_segment_fixed_size: 0
    .sgpr_count:     4
    .sgpr_spill_count: 0
    .symbol:         _ZN7rocprim17ROCPRIM_400000_NS6detail17trampoline_kernelINS0_14default_configENS1_36segmented_radix_sort_config_selectorIdlEEZNS1_25segmented_radix_sort_implIS3_Lb0EPKdPdPKlPlN2at6native12_GLOBAL__N_18offset_tEEE10hipError_tPvRmT1_PNSt15iterator_traitsISK_E10value_typeET2_T3_PNSL_ISQ_E10value_typeET4_jRbjT5_SW_jjP12ihipStream_tbEUlT_E1_NS1_11comp_targetILNS1_3genE10ELNS1_11target_archE1200ELNS1_3gpuE4ELNS1_3repE0EEENS1_59segmented_radix_sort_warp_sort_small_config_static_selectorELNS0_4arch9wavefront6targetE1EEEvSK_.kd
    .uniform_work_group_size: 1
    .uses_dynamic_stack: false
    .vgpr_count:     0
    .vgpr_spill_count: 0
    .wavefront_size: 64
  - .args:
      - .offset:         0
        .size:           88
        .value_kind:     by_value
    .group_segment_fixed_size: 0
    .kernarg_segment_align: 8
    .kernarg_segment_size: 88
    .language:       OpenCL C
    .language_version:
      - 2
      - 0
    .max_flat_workgroup_size: 256
    .name:           _ZN7rocprim17ROCPRIM_400000_NS6detail17trampoline_kernelINS0_14default_configENS1_36segmented_radix_sort_config_selectorIdlEEZNS1_25segmented_radix_sort_implIS3_Lb0EPKdPdPKlPlN2at6native12_GLOBAL__N_18offset_tEEE10hipError_tPvRmT1_PNSt15iterator_traitsISK_E10value_typeET2_T3_PNSL_ISQ_E10value_typeET4_jRbjT5_SW_jjP12ihipStream_tbEUlT_E1_NS1_11comp_targetILNS1_3genE9ELNS1_11target_archE1100ELNS1_3gpuE3ELNS1_3repE0EEENS1_59segmented_radix_sort_warp_sort_small_config_static_selectorELNS0_4arch9wavefront6targetE1EEEvSK_
    .private_segment_fixed_size: 0
    .sgpr_count:     4
    .sgpr_spill_count: 0
    .symbol:         _ZN7rocprim17ROCPRIM_400000_NS6detail17trampoline_kernelINS0_14default_configENS1_36segmented_radix_sort_config_selectorIdlEEZNS1_25segmented_radix_sort_implIS3_Lb0EPKdPdPKlPlN2at6native12_GLOBAL__N_18offset_tEEE10hipError_tPvRmT1_PNSt15iterator_traitsISK_E10value_typeET2_T3_PNSL_ISQ_E10value_typeET4_jRbjT5_SW_jjP12ihipStream_tbEUlT_E1_NS1_11comp_targetILNS1_3genE9ELNS1_11target_archE1100ELNS1_3gpuE3ELNS1_3repE0EEENS1_59segmented_radix_sort_warp_sort_small_config_static_selectorELNS0_4arch9wavefront6targetE1EEEvSK_.kd
    .uniform_work_group_size: 1
    .uses_dynamic_stack: false
    .vgpr_count:     0
    .vgpr_spill_count: 0
    .wavefront_size: 64
  - .args:
      - .offset:         0
        .size:           88
        .value_kind:     by_value
    .group_segment_fixed_size: 0
    .kernarg_segment_align: 8
    .kernarg_segment_size: 88
    .language:       OpenCL C
    .language_version:
      - 2
      - 0
    .max_flat_workgroup_size: 256
    .name:           _ZN7rocprim17ROCPRIM_400000_NS6detail17trampoline_kernelINS0_14default_configENS1_36segmented_radix_sort_config_selectorIdlEEZNS1_25segmented_radix_sort_implIS3_Lb0EPKdPdPKlPlN2at6native12_GLOBAL__N_18offset_tEEE10hipError_tPvRmT1_PNSt15iterator_traitsISK_E10value_typeET2_T3_PNSL_ISQ_E10value_typeET4_jRbjT5_SW_jjP12ihipStream_tbEUlT_E1_NS1_11comp_targetILNS1_3genE8ELNS1_11target_archE1030ELNS1_3gpuE2ELNS1_3repE0EEENS1_59segmented_radix_sort_warp_sort_small_config_static_selectorELNS0_4arch9wavefront6targetE1EEEvSK_
    .private_segment_fixed_size: 0
    .sgpr_count:     4
    .sgpr_spill_count: 0
    .symbol:         _ZN7rocprim17ROCPRIM_400000_NS6detail17trampoline_kernelINS0_14default_configENS1_36segmented_radix_sort_config_selectorIdlEEZNS1_25segmented_radix_sort_implIS3_Lb0EPKdPdPKlPlN2at6native12_GLOBAL__N_18offset_tEEE10hipError_tPvRmT1_PNSt15iterator_traitsISK_E10value_typeET2_T3_PNSL_ISQ_E10value_typeET4_jRbjT5_SW_jjP12ihipStream_tbEUlT_E1_NS1_11comp_targetILNS1_3genE8ELNS1_11target_archE1030ELNS1_3gpuE2ELNS1_3repE0EEENS1_59segmented_radix_sort_warp_sort_small_config_static_selectorELNS0_4arch9wavefront6targetE1EEEvSK_.kd
    .uniform_work_group_size: 1
    .uses_dynamic_stack: false
    .vgpr_count:     0
    .vgpr_spill_count: 0
    .wavefront_size: 64
  - .args:
      - .offset:         0
        .size:           80
        .value_kind:     by_value
    .group_segment_fixed_size: 0
    .kernarg_segment_align: 8
    .kernarg_segment_size: 80
    .language:       OpenCL C
    .language_version:
      - 2
      - 0
    .max_flat_workgroup_size: 256
    .name:           _ZN7rocprim17ROCPRIM_400000_NS6detail17trampoline_kernelINS0_14default_configENS1_36segmented_radix_sort_config_selectorIdlEEZNS1_25segmented_radix_sort_implIS3_Lb0EPKdPdPKlPlN2at6native12_GLOBAL__N_18offset_tEEE10hipError_tPvRmT1_PNSt15iterator_traitsISK_E10value_typeET2_T3_PNSL_ISQ_E10value_typeET4_jRbjT5_SW_jjP12ihipStream_tbEUlT_E2_NS1_11comp_targetILNS1_3genE0ELNS1_11target_archE4294967295ELNS1_3gpuE0ELNS1_3repE0EEENS1_30default_config_static_selectorELNS0_4arch9wavefront6targetE1EEEvSK_
    .private_segment_fixed_size: 0
    .sgpr_count:     4
    .sgpr_spill_count: 0
    .symbol:         _ZN7rocprim17ROCPRIM_400000_NS6detail17trampoline_kernelINS0_14default_configENS1_36segmented_radix_sort_config_selectorIdlEEZNS1_25segmented_radix_sort_implIS3_Lb0EPKdPdPKlPlN2at6native12_GLOBAL__N_18offset_tEEE10hipError_tPvRmT1_PNSt15iterator_traitsISK_E10value_typeET2_T3_PNSL_ISQ_E10value_typeET4_jRbjT5_SW_jjP12ihipStream_tbEUlT_E2_NS1_11comp_targetILNS1_3genE0ELNS1_11target_archE4294967295ELNS1_3gpuE0ELNS1_3repE0EEENS1_30default_config_static_selectorELNS0_4arch9wavefront6targetE1EEEvSK_.kd
    .uniform_work_group_size: 1
    .uses_dynamic_stack: false
    .vgpr_count:     0
    .vgpr_spill_count: 0
    .wavefront_size: 64
  - .args:
      - .offset:         0
        .size:           80
        .value_kind:     by_value
    .group_segment_fixed_size: 0
    .kernarg_segment_align: 8
    .kernarg_segment_size: 80
    .language:       OpenCL C
    .language_version:
      - 2
      - 0
    .max_flat_workgroup_size: 256
    .name:           _ZN7rocprim17ROCPRIM_400000_NS6detail17trampoline_kernelINS0_14default_configENS1_36segmented_radix_sort_config_selectorIdlEEZNS1_25segmented_radix_sort_implIS3_Lb0EPKdPdPKlPlN2at6native12_GLOBAL__N_18offset_tEEE10hipError_tPvRmT1_PNSt15iterator_traitsISK_E10value_typeET2_T3_PNSL_ISQ_E10value_typeET4_jRbjT5_SW_jjP12ihipStream_tbEUlT_E2_NS1_11comp_targetILNS1_3genE5ELNS1_11target_archE942ELNS1_3gpuE9ELNS1_3repE0EEENS1_30default_config_static_selectorELNS0_4arch9wavefront6targetE1EEEvSK_
    .private_segment_fixed_size: 0
    .sgpr_count:     4
    .sgpr_spill_count: 0
    .symbol:         _ZN7rocprim17ROCPRIM_400000_NS6detail17trampoline_kernelINS0_14default_configENS1_36segmented_radix_sort_config_selectorIdlEEZNS1_25segmented_radix_sort_implIS3_Lb0EPKdPdPKlPlN2at6native12_GLOBAL__N_18offset_tEEE10hipError_tPvRmT1_PNSt15iterator_traitsISK_E10value_typeET2_T3_PNSL_ISQ_E10value_typeET4_jRbjT5_SW_jjP12ihipStream_tbEUlT_E2_NS1_11comp_targetILNS1_3genE5ELNS1_11target_archE942ELNS1_3gpuE9ELNS1_3repE0EEENS1_30default_config_static_selectorELNS0_4arch9wavefront6targetE1EEEvSK_.kd
    .uniform_work_group_size: 1
    .uses_dynamic_stack: false
    .vgpr_count:     0
    .vgpr_spill_count: 0
    .wavefront_size: 64
  - .args:
      - .offset:         0
        .size:           80
        .value_kind:     by_value
    .group_segment_fixed_size: 0
    .kernarg_segment_align: 8
    .kernarg_segment_size: 80
    .language:       OpenCL C
    .language_version:
      - 2
      - 0
    .max_flat_workgroup_size: 256
    .name:           _ZN7rocprim17ROCPRIM_400000_NS6detail17trampoline_kernelINS0_14default_configENS1_36segmented_radix_sort_config_selectorIdlEEZNS1_25segmented_radix_sort_implIS3_Lb0EPKdPdPKlPlN2at6native12_GLOBAL__N_18offset_tEEE10hipError_tPvRmT1_PNSt15iterator_traitsISK_E10value_typeET2_T3_PNSL_ISQ_E10value_typeET4_jRbjT5_SW_jjP12ihipStream_tbEUlT_E2_NS1_11comp_targetILNS1_3genE4ELNS1_11target_archE910ELNS1_3gpuE8ELNS1_3repE0EEENS1_30default_config_static_selectorELNS0_4arch9wavefront6targetE1EEEvSK_
    .private_segment_fixed_size: 0
    .sgpr_count:     4
    .sgpr_spill_count: 0
    .symbol:         _ZN7rocprim17ROCPRIM_400000_NS6detail17trampoline_kernelINS0_14default_configENS1_36segmented_radix_sort_config_selectorIdlEEZNS1_25segmented_radix_sort_implIS3_Lb0EPKdPdPKlPlN2at6native12_GLOBAL__N_18offset_tEEE10hipError_tPvRmT1_PNSt15iterator_traitsISK_E10value_typeET2_T3_PNSL_ISQ_E10value_typeET4_jRbjT5_SW_jjP12ihipStream_tbEUlT_E2_NS1_11comp_targetILNS1_3genE4ELNS1_11target_archE910ELNS1_3gpuE8ELNS1_3repE0EEENS1_30default_config_static_selectorELNS0_4arch9wavefront6targetE1EEEvSK_.kd
    .uniform_work_group_size: 1
    .uses_dynamic_stack: false
    .vgpr_count:     0
    .vgpr_spill_count: 0
    .wavefront_size: 64
  - .args:
      - .offset:         0
        .size:           80
        .value_kind:     by_value
    .group_segment_fixed_size: 0
    .kernarg_segment_align: 8
    .kernarg_segment_size: 80
    .language:       OpenCL C
    .language_version:
      - 2
      - 0
    .max_flat_workgroup_size: 256
    .name:           _ZN7rocprim17ROCPRIM_400000_NS6detail17trampoline_kernelINS0_14default_configENS1_36segmented_radix_sort_config_selectorIdlEEZNS1_25segmented_radix_sort_implIS3_Lb0EPKdPdPKlPlN2at6native12_GLOBAL__N_18offset_tEEE10hipError_tPvRmT1_PNSt15iterator_traitsISK_E10value_typeET2_T3_PNSL_ISQ_E10value_typeET4_jRbjT5_SW_jjP12ihipStream_tbEUlT_E2_NS1_11comp_targetILNS1_3genE3ELNS1_11target_archE908ELNS1_3gpuE7ELNS1_3repE0EEENS1_30default_config_static_selectorELNS0_4arch9wavefront6targetE1EEEvSK_
    .private_segment_fixed_size: 0
    .sgpr_count:     4
    .sgpr_spill_count: 0
    .symbol:         _ZN7rocprim17ROCPRIM_400000_NS6detail17trampoline_kernelINS0_14default_configENS1_36segmented_radix_sort_config_selectorIdlEEZNS1_25segmented_radix_sort_implIS3_Lb0EPKdPdPKlPlN2at6native12_GLOBAL__N_18offset_tEEE10hipError_tPvRmT1_PNSt15iterator_traitsISK_E10value_typeET2_T3_PNSL_ISQ_E10value_typeET4_jRbjT5_SW_jjP12ihipStream_tbEUlT_E2_NS1_11comp_targetILNS1_3genE3ELNS1_11target_archE908ELNS1_3gpuE7ELNS1_3repE0EEENS1_30default_config_static_selectorELNS0_4arch9wavefront6targetE1EEEvSK_.kd
    .uniform_work_group_size: 1
    .uses_dynamic_stack: false
    .vgpr_count:     0
    .vgpr_spill_count: 0
    .wavefront_size: 64
  - .args:
      - .offset:         0
        .size:           80
        .value_kind:     by_value
      - .offset:         80
        .size:           4
        .value_kind:     hidden_block_count_x
      - .offset:         84
        .size:           4
        .value_kind:     hidden_block_count_y
      - .offset:         88
        .size:           4
        .value_kind:     hidden_block_count_z
      - .offset:         92
        .size:           2
        .value_kind:     hidden_group_size_x
      - .offset:         94
        .size:           2
        .value_kind:     hidden_group_size_y
      - .offset:         96
        .size:           2
        .value_kind:     hidden_group_size_z
      - .offset:         98
        .size:           2
        .value_kind:     hidden_remainder_x
      - .offset:         100
        .size:           2
        .value_kind:     hidden_remainder_y
      - .offset:         102
        .size:           2
        .value_kind:     hidden_remainder_z
      - .offset:         120
        .size:           8
        .value_kind:     hidden_global_offset_x
      - .offset:         128
        .size:           8
        .value_kind:     hidden_global_offset_y
      - .offset:         136
        .size:           8
        .value_kind:     hidden_global_offset_z
      - .offset:         144
        .size:           2
        .value_kind:     hidden_grid_dims
    .group_segment_fixed_size: 33808
    .kernarg_segment_align: 8
    .kernarg_segment_size: 336
    .language:       OpenCL C
    .language_version:
      - 2
      - 0
    .max_flat_workgroup_size: 256
    .name:           _ZN7rocprim17ROCPRIM_400000_NS6detail17trampoline_kernelINS0_14default_configENS1_36segmented_radix_sort_config_selectorIdlEEZNS1_25segmented_radix_sort_implIS3_Lb0EPKdPdPKlPlN2at6native12_GLOBAL__N_18offset_tEEE10hipError_tPvRmT1_PNSt15iterator_traitsISK_E10value_typeET2_T3_PNSL_ISQ_E10value_typeET4_jRbjT5_SW_jjP12ihipStream_tbEUlT_E2_NS1_11comp_targetILNS1_3genE2ELNS1_11target_archE906ELNS1_3gpuE6ELNS1_3repE0EEENS1_30default_config_static_selectorELNS0_4arch9wavefront6targetE1EEEvSK_
    .private_segment_fixed_size: 164
    .sgpr_count:     104
    .sgpr_spill_count: 0
    .symbol:         _ZN7rocprim17ROCPRIM_400000_NS6detail17trampoline_kernelINS0_14default_configENS1_36segmented_radix_sort_config_selectorIdlEEZNS1_25segmented_radix_sort_implIS3_Lb0EPKdPdPKlPlN2at6native12_GLOBAL__N_18offset_tEEE10hipError_tPvRmT1_PNSt15iterator_traitsISK_E10value_typeET2_T3_PNSL_ISQ_E10value_typeET4_jRbjT5_SW_jjP12ihipStream_tbEUlT_E2_NS1_11comp_targetILNS1_3genE2ELNS1_11target_archE906ELNS1_3gpuE6ELNS1_3repE0EEENS1_30default_config_static_selectorELNS0_4arch9wavefront6targetE1EEEvSK_.kd
    .uniform_work_group_size: 1
    .uses_dynamic_stack: false
    .vgpr_count:     248
    .vgpr_spill_count: 0
    .wavefront_size: 64
  - .args:
      - .offset:         0
        .size:           80
        .value_kind:     by_value
    .group_segment_fixed_size: 0
    .kernarg_segment_align: 8
    .kernarg_segment_size: 80
    .language:       OpenCL C
    .language_version:
      - 2
      - 0
    .max_flat_workgroup_size: 256
    .name:           _ZN7rocprim17ROCPRIM_400000_NS6detail17trampoline_kernelINS0_14default_configENS1_36segmented_radix_sort_config_selectorIdlEEZNS1_25segmented_radix_sort_implIS3_Lb0EPKdPdPKlPlN2at6native12_GLOBAL__N_18offset_tEEE10hipError_tPvRmT1_PNSt15iterator_traitsISK_E10value_typeET2_T3_PNSL_ISQ_E10value_typeET4_jRbjT5_SW_jjP12ihipStream_tbEUlT_E2_NS1_11comp_targetILNS1_3genE10ELNS1_11target_archE1201ELNS1_3gpuE5ELNS1_3repE0EEENS1_30default_config_static_selectorELNS0_4arch9wavefront6targetE1EEEvSK_
    .private_segment_fixed_size: 0
    .sgpr_count:     4
    .sgpr_spill_count: 0
    .symbol:         _ZN7rocprim17ROCPRIM_400000_NS6detail17trampoline_kernelINS0_14default_configENS1_36segmented_radix_sort_config_selectorIdlEEZNS1_25segmented_radix_sort_implIS3_Lb0EPKdPdPKlPlN2at6native12_GLOBAL__N_18offset_tEEE10hipError_tPvRmT1_PNSt15iterator_traitsISK_E10value_typeET2_T3_PNSL_ISQ_E10value_typeET4_jRbjT5_SW_jjP12ihipStream_tbEUlT_E2_NS1_11comp_targetILNS1_3genE10ELNS1_11target_archE1201ELNS1_3gpuE5ELNS1_3repE0EEENS1_30default_config_static_selectorELNS0_4arch9wavefront6targetE1EEEvSK_.kd
    .uniform_work_group_size: 1
    .uses_dynamic_stack: false
    .vgpr_count:     0
    .vgpr_spill_count: 0
    .wavefront_size: 64
  - .args:
      - .offset:         0
        .size:           80
        .value_kind:     by_value
    .group_segment_fixed_size: 0
    .kernarg_segment_align: 8
    .kernarg_segment_size: 80
    .language:       OpenCL C
    .language_version:
      - 2
      - 0
    .max_flat_workgroup_size: 128
    .name:           _ZN7rocprim17ROCPRIM_400000_NS6detail17trampoline_kernelINS0_14default_configENS1_36segmented_radix_sort_config_selectorIdlEEZNS1_25segmented_radix_sort_implIS3_Lb0EPKdPdPKlPlN2at6native12_GLOBAL__N_18offset_tEEE10hipError_tPvRmT1_PNSt15iterator_traitsISK_E10value_typeET2_T3_PNSL_ISQ_E10value_typeET4_jRbjT5_SW_jjP12ihipStream_tbEUlT_E2_NS1_11comp_targetILNS1_3genE10ELNS1_11target_archE1200ELNS1_3gpuE4ELNS1_3repE0EEENS1_30default_config_static_selectorELNS0_4arch9wavefront6targetE1EEEvSK_
    .private_segment_fixed_size: 0
    .sgpr_count:     4
    .sgpr_spill_count: 0
    .symbol:         _ZN7rocprim17ROCPRIM_400000_NS6detail17trampoline_kernelINS0_14default_configENS1_36segmented_radix_sort_config_selectorIdlEEZNS1_25segmented_radix_sort_implIS3_Lb0EPKdPdPKlPlN2at6native12_GLOBAL__N_18offset_tEEE10hipError_tPvRmT1_PNSt15iterator_traitsISK_E10value_typeET2_T3_PNSL_ISQ_E10value_typeET4_jRbjT5_SW_jjP12ihipStream_tbEUlT_E2_NS1_11comp_targetILNS1_3genE10ELNS1_11target_archE1200ELNS1_3gpuE4ELNS1_3repE0EEENS1_30default_config_static_selectorELNS0_4arch9wavefront6targetE1EEEvSK_.kd
    .uniform_work_group_size: 1
    .uses_dynamic_stack: false
    .vgpr_count:     0
    .vgpr_spill_count: 0
    .wavefront_size: 64
  - .args:
      - .offset:         0
        .size:           80
        .value_kind:     by_value
    .group_segment_fixed_size: 0
    .kernarg_segment_align: 8
    .kernarg_segment_size: 80
    .language:       OpenCL C
    .language_version:
      - 2
      - 0
    .max_flat_workgroup_size: 256
    .name:           _ZN7rocprim17ROCPRIM_400000_NS6detail17trampoline_kernelINS0_14default_configENS1_36segmented_radix_sort_config_selectorIdlEEZNS1_25segmented_radix_sort_implIS3_Lb0EPKdPdPKlPlN2at6native12_GLOBAL__N_18offset_tEEE10hipError_tPvRmT1_PNSt15iterator_traitsISK_E10value_typeET2_T3_PNSL_ISQ_E10value_typeET4_jRbjT5_SW_jjP12ihipStream_tbEUlT_E2_NS1_11comp_targetILNS1_3genE9ELNS1_11target_archE1100ELNS1_3gpuE3ELNS1_3repE0EEENS1_30default_config_static_selectorELNS0_4arch9wavefront6targetE1EEEvSK_
    .private_segment_fixed_size: 0
    .sgpr_count:     4
    .sgpr_spill_count: 0
    .symbol:         _ZN7rocprim17ROCPRIM_400000_NS6detail17trampoline_kernelINS0_14default_configENS1_36segmented_radix_sort_config_selectorIdlEEZNS1_25segmented_radix_sort_implIS3_Lb0EPKdPdPKlPlN2at6native12_GLOBAL__N_18offset_tEEE10hipError_tPvRmT1_PNSt15iterator_traitsISK_E10value_typeET2_T3_PNSL_ISQ_E10value_typeET4_jRbjT5_SW_jjP12ihipStream_tbEUlT_E2_NS1_11comp_targetILNS1_3genE9ELNS1_11target_archE1100ELNS1_3gpuE3ELNS1_3repE0EEENS1_30default_config_static_selectorELNS0_4arch9wavefront6targetE1EEEvSK_.kd
    .uniform_work_group_size: 1
    .uses_dynamic_stack: false
    .vgpr_count:     0
    .vgpr_spill_count: 0
    .wavefront_size: 64
  - .args:
      - .offset:         0
        .size:           80
        .value_kind:     by_value
    .group_segment_fixed_size: 0
    .kernarg_segment_align: 8
    .kernarg_segment_size: 80
    .language:       OpenCL C
    .language_version:
      - 2
      - 0
    .max_flat_workgroup_size: 256
    .name:           _ZN7rocprim17ROCPRIM_400000_NS6detail17trampoline_kernelINS0_14default_configENS1_36segmented_radix_sort_config_selectorIdlEEZNS1_25segmented_radix_sort_implIS3_Lb0EPKdPdPKlPlN2at6native12_GLOBAL__N_18offset_tEEE10hipError_tPvRmT1_PNSt15iterator_traitsISK_E10value_typeET2_T3_PNSL_ISQ_E10value_typeET4_jRbjT5_SW_jjP12ihipStream_tbEUlT_E2_NS1_11comp_targetILNS1_3genE8ELNS1_11target_archE1030ELNS1_3gpuE2ELNS1_3repE0EEENS1_30default_config_static_selectorELNS0_4arch9wavefront6targetE1EEEvSK_
    .private_segment_fixed_size: 0
    .sgpr_count:     4
    .sgpr_spill_count: 0
    .symbol:         _ZN7rocprim17ROCPRIM_400000_NS6detail17trampoline_kernelINS0_14default_configENS1_36segmented_radix_sort_config_selectorIdlEEZNS1_25segmented_radix_sort_implIS3_Lb0EPKdPdPKlPlN2at6native12_GLOBAL__N_18offset_tEEE10hipError_tPvRmT1_PNSt15iterator_traitsISK_E10value_typeET2_T3_PNSL_ISQ_E10value_typeET4_jRbjT5_SW_jjP12ihipStream_tbEUlT_E2_NS1_11comp_targetILNS1_3genE8ELNS1_11target_archE1030ELNS1_3gpuE2ELNS1_3repE0EEENS1_30default_config_static_selectorELNS0_4arch9wavefront6targetE1EEEvSK_.kd
    .uniform_work_group_size: 1
    .uses_dynamic_stack: false
    .vgpr_count:     0
    .vgpr_spill_count: 0
    .wavefront_size: 64
  - .args:
      - .address_space:  global
        .offset:         0
        .size:           8
        .value_kind:     global_buffer
      - .address_space:  global
        .offset:         8
        .size:           8
        .value_kind:     global_buffer
      - .address_space:  global
        .offset:         16
        .size:           8
        .value_kind:     global_buffer
      - .address_space:  global
        .offset:         24
        .size:           8
        .value_kind:     global_buffer
      - .offset:         32
        .size:           4
        .value_kind:     by_value
      - .offset:         36
        .size:           4
        .value_kind:     by_value
      - .offset:         40
        .size:           4
        .value_kind:     hidden_block_count_x
      - .offset:         44
        .size:           4
        .value_kind:     hidden_block_count_y
      - .offset:         48
        .size:           4
        .value_kind:     hidden_block_count_z
      - .offset:         52
        .size:           2
        .value_kind:     hidden_group_size_x
      - .offset:         54
        .size:           2
        .value_kind:     hidden_group_size_y
      - .offset:         56
        .size:           2
        .value_kind:     hidden_group_size_z
      - .offset:         58
        .size:           2
        .value_kind:     hidden_remainder_x
      - .offset:         60
        .size:           2
        .value_kind:     hidden_remainder_y
      - .offset:         62
        .size:           2
        .value_kind:     hidden_remainder_z
      - .offset:         80
        .size:           8
        .value_kind:     hidden_global_offset_x
      - .offset:         88
        .size:           8
        .value_kind:     hidden_global_offset_y
      - .offset:         96
        .size:           8
        .value_kind:     hidden_global_offset_z
      - .offset:         104
        .size:           2
        .value_kind:     hidden_grid_dims
    .group_segment_fixed_size: 0
    .kernarg_segment_align: 8
    .kernarg_segment_size: 296
    .language:       OpenCL C
    .language_version:
      - 2
      - 0
    .max_flat_workgroup_size: 1024
    .name:           _ZN2at6native12_GLOBAL__N_123sort_postprocess_kernelIfEEvPKT_PS3_PlPK15HIP_vector_typeIiLj2EEii
    .private_segment_fixed_size: 0
    .sgpr_count:     23
    .sgpr_spill_count: 0
    .symbol:         _ZN2at6native12_GLOBAL__N_123sort_postprocess_kernelIfEEvPKT_PS3_PlPK15HIP_vector_typeIiLj2EEii.kd
    .uniform_work_group_size: 1
    .uses_dynamic_stack: false
    .vgpr_count:     22
    .vgpr_spill_count: 0
    .wavefront_size: 64
  - .args:
      - .offset:         0
        .size:           176
        .value_kind:     by_value
    .group_segment_fixed_size: 0
    .kernarg_segment_align: 8
    .kernarg_segment_size: 176
    .language:       OpenCL C
    .language_version:
      - 2
      - 0
    .max_flat_workgroup_size: 256
    .name:           _ZN7rocprim17ROCPRIM_400000_NS6detail17trampoline_kernelINS0_13select_configILj256ELj13ELNS0_17block_load_methodE3ELS4_3ELS4_3ELNS0_20block_scan_algorithmE0ELj4294967295EEENS1_25partition_config_selectorILNS1_17partition_subalgoE4EjNS0_10empty_typeEbEEZZNS1_14partition_implILS8_4ELb0ES6_15HIP_vector_typeIjLj2EENS0_17counting_iteratorIjlEEPS9_SG_NS0_5tupleIJPjSI_NS0_16reverse_iteratorISI_EEEEENSH_IJSG_SG_SG_EEES9_SI_JZNS1_25segmented_radix_sort_implINS0_14default_configELb1EPKfPfPKlPlN2at6native12_GLOBAL__N_18offset_tEEE10hipError_tPvRmT1_PNSt15iterator_traitsIS12_E10value_typeET2_T3_PNS13_IS18_E10value_typeET4_jRbjT5_S1E_jjP12ihipStream_tbEUljE_ZNSN_ISO_Lb1ESQ_SR_ST_SU_SY_EESZ_S10_S11_S12_S16_S17_S18_S1B_S1C_jS1D_jS1E_S1E_jjS1G_bEUljE0_EEESZ_S10_S11_S18_S1C_S1E_T6_T7_T9_mT8_S1G_bDpT10_ENKUlT_T0_E_clISt17integral_constantIbLb0EES1U_EEDaS1P_S1Q_EUlS1P_E_NS1_11comp_targetILNS1_3genE0ELNS1_11target_archE4294967295ELNS1_3gpuE0ELNS1_3repE0EEENS1_30default_config_static_selectorELNS0_4arch9wavefront6targetE1EEEvS12_
    .private_segment_fixed_size: 0
    .sgpr_count:     4
    .sgpr_spill_count: 0
    .symbol:         _ZN7rocprim17ROCPRIM_400000_NS6detail17trampoline_kernelINS0_13select_configILj256ELj13ELNS0_17block_load_methodE3ELS4_3ELS4_3ELNS0_20block_scan_algorithmE0ELj4294967295EEENS1_25partition_config_selectorILNS1_17partition_subalgoE4EjNS0_10empty_typeEbEEZZNS1_14partition_implILS8_4ELb0ES6_15HIP_vector_typeIjLj2EENS0_17counting_iteratorIjlEEPS9_SG_NS0_5tupleIJPjSI_NS0_16reverse_iteratorISI_EEEEENSH_IJSG_SG_SG_EEES9_SI_JZNS1_25segmented_radix_sort_implINS0_14default_configELb1EPKfPfPKlPlN2at6native12_GLOBAL__N_18offset_tEEE10hipError_tPvRmT1_PNSt15iterator_traitsIS12_E10value_typeET2_T3_PNS13_IS18_E10value_typeET4_jRbjT5_S1E_jjP12ihipStream_tbEUljE_ZNSN_ISO_Lb1ESQ_SR_ST_SU_SY_EESZ_S10_S11_S12_S16_S17_S18_S1B_S1C_jS1D_jS1E_S1E_jjS1G_bEUljE0_EEESZ_S10_S11_S18_S1C_S1E_T6_T7_T9_mT8_S1G_bDpT10_ENKUlT_T0_E_clISt17integral_constantIbLb0EES1U_EEDaS1P_S1Q_EUlS1P_E_NS1_11comp_targetILNS1_3genE0ELNS1_11target_archE4294967295ELNS1_3gpuE0ELNS1_3repE0EEENS1_30default_config_static_selectorELNS0_4arch9wavefront6targetE1EEEvS12_.kd
    .uniform_work_group_size: 1
    .uses_dynamic_stack: false
    .vgpr_count:     0
    .vgpr_spill_count: 0
    .wavefront_size: 64
  - .args:
      - .offset:         0
        .size:           176
        .value_kind:     by_value
    .group_segment_fixed_size: 0
    .kernarg_segment_align: 8
    .kernarg_segment_size: 176
    .language:       OpenCL C
    .language_version:
      - 2
      - 0
    .max_flat_workgroup_size: 256
    .name:           _ZN7rocprim17ROCPRIM_400000_NS6detail17trampoline_kernelINS0_13select_configILj256ELj13ELNS0_17block_load_methodE3ELS4_3ELS4_3ELNS0_20block_scan_algorithmE0ELj4294967295EEENS1_25partition_config_selectorILNS1_17partition_subalgoE4EjNS0_10empty_typeEbEEZZNS1_14partition_implILS8_4ELb0ES6_15HIP_vector_typeIjLj2EENS0_17counting_iteratorIjlEEPS9_SG_NS0_5tupleIJPjSI_NS0_16reverse_iteratorISI_EEEEENSH_IJSG_SG_SG_EEES9_SI_JZNS1_25segmented_radix_sort_implINS0_14default_configELb1EPKfPfPKlPlN2at6native12_GLOBAL__N_18offset_tEEE10hipError_tPvRmT1_PNSt15iterator_traitsIS12_E10value_typeET2_T3_PNS13_IS18_E10value_typeET4_jRbjT5_S1E_jjP12ihipStream_tbEUljE_ZNSN_ISO_Lb1ESQ_SR_ST_SU_SY_EESZ_S10_S11_S12_S16_S17_S18_S1B_S1C_jS1D_jS1E_S1E_jjS1G_bEUljE0_EEESZ_S10_S11_S18_S1C_S1E_T6_T7_T9_mT8_S1G_bDpT10_ENKUlT_T0_E_clISt17integral_constantIbLb0EES1U_EEDaS1P_S1Q_EUlS1P_E_NS1_11comp_targetILNS1_3genE5ELNS1_11target_archE942ELNS1_3gpuE9ELNS1_3repE0EEENS1_30default_config_static_selectorELNS0_4arch9wavefront6targetE1EEEvS12_
    .private_segment_fixed_size: 0
    .sgpr_count:     4
    .sgpr_spill_count: 0
    .symbol:         _ZN7rocprim17ROCPRIM_400000_NS6detail17trampoline_kernelINS0_13select_configILj256ELj13ELNS0_17block_load_methodE3ELS4_3ELS4_3ELNS0_20block_scan_algorithmE0ELj4294967295EEENS1_25partition_config_selectorILNS1_17partition_subalgoE4EjNS0_10empty_typeEbEEZZNS1_14partition_implILS8_4ELb0ES6_15HIP_vector_typeIjLj2EENS0_17counting_iteratorIjlEEPS9_SG_NS0_5tupleIJPjSI_NS0_16reverse_iteratorISI_EEEEENSH_IJSG_SG_SG_EEES9_SI_JZNS1_25segmented_radix_sort_implINS0_14default_configELb1EPKfPfPKlPlN2at6native12_GLOBAL__N_18offset_tEEE10hipError_tPvRmT1_PNSt15iterator_traitsIS12_E10value_typeET2_T3_PNS13_IS18_E10value_typeET4_jRbjT5_S1E_jjP12ihipStream_tbEUljE_ZNSN_ISO_Lb1ESQ_SR_ST_SU_SY_EESZ_S10_S11_S12_S16_S17_S18_S1B_S1C_jS1D_jS1E_S1E_jjS1G_bEUljE0_EEESZ_S10_S11_S18_S1C_S1E_T6_T7_T9_mT8_S1G_bDpT10_ENKUlT_T0_E_clISt17integral_constantIbLb0EES1U_EEDaS1P_S1Q_EUlS1P_E_NS1_11comp_targetILNS1_3genE5ELNS1_11target_archE942ELNS1_3gpuE9ELNS1_3repE0EEENS1_30default_config_static_selectorELNS0_4arch9wavefront6targetE1EEEvS12_.kd
    .uniform_work_group_size: 1
    .uses_dynamic_stack: false
    .vgpr_count:     0
    .vgpr_spill_count: 0
    .wavefront_size: 64
  - .args:
      - .offset:         0
        .size:           176
        .value_kind:     by_value
    .group_segment_fixed_size: 0
    .kernarg_segment_align: 8
    .kernarg_segment_size: 176
    .language:       OpenCL C
    .language_version:
      - 2
      - 0
    .max_flat_workgroup_size: 256
    .name:           _ZN7rocprim17ROCPRIM_400000_NS6detail17trampoline_kernelINS0_13select_configILj256ELj13ELNS0_17block_load_methodE3ELS4_3ELS4_3ELNS0_20block_scan_algorithmE0ELj4294967295EEENS1_25partition_config_selectorILNS1_17partition_subalgoE4EjNS0_10empty_typeEbEEZZNS1_14partition_implILS8_4ELb0ES6_15HIP_vector_typeIjLj2EENS0_17counting_iteratorIjlEEPS9_SG_NS0_5tupleIJPjSI_NS0_16reverse_iteratorISI_EEEEENSH_IJSG_SG_SG_EEES9_SI_JZNS1_25segmented_radix_sort_implINS0_14default_configELb1EPKfPfPKlPlN2at6native12_GLOBAL__N_18offset_tEEE10hipError_tPvRmT1_PNSt15iterator_traitsIS12_E10value_typeET2_T3_PNS13_IS18_E10value_typeET4_jRbjT5_S1E_jjP12ihipStream_tbEUljE_ZNSN_ISO_Lb1ESQ_SR_ST_SU_SY_EESZ_S10_S11_S12_S16_S17_S18_S1B_S1C_jS1D_jS1E_S1E_jjS1G_bEUljE0_EEESZ_S10_S11_S18_S1C_S1E_T6_T7_T9_mT8_S1G_bDpT10_ENKUlT_T0_E_clISt17integral_constantIbLb0EES1U_EEDaS1P_S1Q_EUlS1P_E_NS1_11comp_targetILNS1_3genE4ELNS1_11target_archE910ELNS1_3gpuE8ELNS1_3repE0EEENS1_30default_config_static_selectorELNS0_4arch9wavefront6targetE1EEEvS12_
    .private_segment_fixed_size: 0
    .sgpr_count:     4
    .sgpr_spill_count: 0
    .symbol:         _ZN7rocprim17ROCPRIM_400000_NS6detail17trampoline_kernelINS0_13select_configILj256ELj13ELNS0_17block_load_methodE3ELS4_3ELS4_3ELNS0_20block_scan_algorithmE0ELj4294967295EEENS1_25partition_config_selectorILNS1_17partition_subalgoE4EjNS0_10empty_typeEbEEZZNS1_14partition_implILS8_4ELb0ES6_15HIP_vector_typeIjLj2EENS0_17counting_iteratorIjlEEPS9_SG_NS0_5tupleIJPjSI_NS0_16reverse_iteratorISI_EEEEENSH_IJSG_SG_SG_EEES9_SI_JZNS1_25segmented_radix_sort_implINS0_14default_configELb1EPKfPfPKlPlN2at6native12_GLOBAL__N_18offset_tEEE10hipError_tPvRmT1_PNSt15iterator_traitsIS12_E10value_typeET2_T3_PNS13_IS18_E10value_typeET4_jRbjT5_S1E_jjP12ihipStream_tbEUljE_ZNSN_ISO_Lb1ESQ_SR_ST_SU_SY_EESZ_S10_S11_S12_S16_S17_S18_S1B_S1C_jS1D_jS1E_S1E_jjS1G_bEUljE0_EEESZ_S10_S11_S18_S1C_S1E_T6_T7_T9_mT8_S1G_bDpT10_ENKUlT_T0_E_clISt17integral_constantIbLb0EES1U_EEDaS1P_S1Q_EUlS1P_E_NS1_11comp_targetILNS1_3genE4ELNS1_11target_archE910ELNS1_3gpuE8ELNS1_3repE0EEENS1_30default_config_static_selectorELNS0_4arch9wavefront6targetE1EEEvS12_.kd
    .uniform_work_group_size: 1
    .uses_dynamic_stack: false
    .vgpr_count:     0
    .vgpr_spill_count: 0
    .wavefront_size: 64
  - .args:
      - .offset:         0
        .size:           176
        .value_kind:     by_value
    .group_segment_fixed_size: 0
    .kernarg_segment_align: 8
    .kernarg_segment_size: 176
    .language:       OpenCL C
    .language_version:
      - 2
      - 0
    .max_flat_workgroup_size: 256
    .name:           _ZN7rocprim17ROCPRIM_400000_NS6detail17trampoline_kernelINS0_13select_configILj256ELj13ELNS0_17block_load_methodE3ELS4_3ELS4_3ELNS0_20block_scan_algorithmE0ELj4294967295EEENS1_25partition_config_selectorILNS1_17partition_subalgoE4EjNS0_10empty_typeEbEEZZNS1_14partition_implILS8_4ELb0ES6_15HIP_vector_typeIjLj2EENS0_17counting_iteratorIjlEEPS9_SG_NS0_5tupleIJPjSI_NS0_16reverse_iteratorISI_EEEEENSH_IJSG_SG_SG_EEES9_SI_JZNS1_25segmented_radix_sort_implINS0_14default_configELb1EPKfPfPKlPlN2at6native12_GLOBAL__N_18offset_tEEE10hipError_tPvRmT1_PNSt15iterator_traitsIS12_E10value_typeET2_T3_PNS13_IS18_E10value_typeET4_jRbjT5_S1E_jjP12ihipStream_tbEUljE_ZNSN_ISO_Lb1ESQ_SR_ST_SU_SY_EESZ_S10_S11_S12_S16_S17_S18_S1B_S1C_jS1D_jS1E_S1E_jjS1G_bEUljE0_EEESZ_S10_S11_S18_S1C_S1E_T6_T7_T9_mT8_S1G_bDpT10_ENKUlT_T0_E_clISt17integral_constantIbLb0EES1U_EEDaS1P_S1Q_EUlS1P_E_NS1_11comp_targetILNS1_3genE3ELNS1_11target_archE908ELNS1_3gpuE7ELNS1_3repE0EEENS1_30default_config_static_selectorELNS0_4arch9wavefront6targetE1EEEvS12_
    .private_segment_fixed_size: 0
    .sgpr_count:     4
    .sgpr_spill_count: 0
    .symbol:         _ZN7rocprim17ROCPRIM_400000_NS6detail17trampoline_kernelINS0_13select_configILj256ELj13ELNS0_17block_load_methodE3ELS4_3ELS4_3ELNS0_20block_scan_algorithmE0ELj4294967295EEENS1_25partition_config_selectorILNS1_17partition_subalgoE4EjNS0_10empty_typeEbEEZZNS1_14partition_implILS8_4ELb0ES6_15HIP_vector_typeIjLj2EENS0_17counting_iteratorIjlEEPS9_SG_NS0_5tupleIJPjSI_NS0_16reverse_iteratorISI_EEEEENSH_IJSG_SG_SG_EEES9_SI_JZNS1_25segmented_radix_sort_implINS0_14default_configELb1EPKfPfPKlPlN2at6native12_GLOBAL__N_18offset_tEEE10hipError_tPvRmT1_PNSt15iterator_traitsIS12_E10value_typeET2_T3_PNS13_IS18_E10value_typeET4_jRbjT5_S1E_jjP12ihipStream_tbEUljE_ZNSN_ISO_Lb1ESQ_SR_ST_SU_SY_EESZ_S10_S11_S12_S16_S17_S18_S1B_S1C_jS1D_jS1E_S1E_jjS1G_bEUljE0_EEESZ_S10_S11_S18_S1C_S1E_T6_T7_T9_mT8_S1G_bDpT10_ENKUlT_T0_E_clISt17integral_constantIbLb0EES1U_EEDaS1P_S1Q_EUlS1P_E_NS1_11comp_targetILNS1_3genE3ELNS1_11target_archE908ELNS1_3gpuE7ELNS1_3repE0EEENS1_30default_config_static_selectorELNS0_4arch9wavefront6targetE1EEEvS12_.kd
    .uniform_work_group_size: 1
    .uses_dynamic_stack: false
    .vgpr_count:     0
    .vgpr_spill_count: 0
    .wavefront_size: 64
  - .args:
      - .offset:         0
        .size:           176
        .value_kind:     by_value
    .group_segment_fixed_size: 13328
    .kernarg_segment_align: 8
    .kernarg_segment_size: 176
    .language:       OpenCL C
    .language_version:
      - 2
      - 0
    .max_flat_workgroup_size: 256
    .name:           _ZN7rocprim17ROCPRIM_400000_NS6detail17trampoline_kernelINS0_13select_configILj256ELj13ELNS0_17block_load_methodE3ELS4_3ELS4_3ELNS0_20block_scan_algorithmE0ELj4294967295EEENS1_25partition_config_selectorILNS1_17partition_subalgoE4EjNS0_10empty_typeEbEEZZNS1_14partition_implILS8_4ELb0ES6_15HIP_vector_typeIjLj2EENS0_17counting_iteratorIjlEEPS9_SG_NS0_5tupleIJPjSI_NS0_16reverse_iteratorISI_EEEEENSH_IJSG_SG_SG_EEES9_SI_JZNS1_25segmented_radix_sort_implINS0_14default_configELb1EPKfPfPKlPlN2at6native12_GLOBAL__N_18offset_tEEE10hipError_tPvRmT1_PNSt15iterator_traitsIS12_E10value_typeET2_T3_PNS13_IS18_E10value_typeET4_jRbjT5_S1E_jjP12ihipStream_tbEUljE_ZNSN_ISO_Lb1ESQ_SR_ST_SU_SY_EESZ_S10_S11_S12_S16_S17_S18_S1B_S1C_jS1D_jS1E_S1E_jjS1G_bEUljE0_EEESZ_S10_S11_S18_S1C_S1E_T6_T7_T9_mT8_S1G_bDpT10_ENKUlT_T0_E_clISt17integral_constantIbLb0EES1U_EEDaS1P_S1Q_EUlS1P_E_NS1_11comp_targetILNS1_3genE2ELNS1_11target_archE906ELNS1_3gpuE6ELNS1_3repE0EEENS1_30default_config_static_selectorELNS0_4arch9wavefront6targetE1EEEvS12_
    .private_segment_fixed_size: 0
    .sgpr_count:     94
    .sgpr_spill_count: 0
    .symbol:         _ZN7rocprim17ROCPRIM_400000_NS6detail17trampoline_kernelINS0_13select_configILj256ELj13ELNS0_17block_load_methodE3ELS4_3ELS4_3ELNS0_20block_scan_algorithmE0ELj4294967295EEENS1_25partition_config_selectorILNS1_17partition_subalgoE4EjNS0_10empty_typeEbEEZZNS1_14partition_implILS8_4ELb0ES6_15HIP_vector_typeIjLj2EENS0_17counting_iteratorIjlEEPS9_SG_NS0_5tupleIJPjSI_NS0_16reverse_iteratorISI_EEEEENSH_IJSG_SG_SG_EEES9_SI_JZNS1_25segmented_radix_sort_implINS0_14default_configELb1EPKfPfPKlPlN2at6native12_GLOBAL__N_18offset_tEEE10hipError_tPvRmT1_PNSt15iterator_traitsIS12_E10value_typeET2_T3_PNS13_IS18_E10value_typeET4_jRbjT5_S1E_jjP12ihipStream_tbEUljE_ZNSN_ISO_Lb1ESQ_SR_ST_SU_SY_EESZ_S10_S11_S12_S16_S17_S18_S1B_S1C_jS1D_jS1E_S1E_jjS1G_bEUljE0_EEESZ_S10_S11_S18_S1C_S1E_T6_T7_T9_mT8_S1G_bDpT10_ENKUlT_T0_E_clISt17integral_constantIbLb0EES1U_EEDaS1P_S1Q_EUlS1P_E_NS1_11comp_targetILNS1_3genE2ELNS1_11target_archE906ELNS1_3gpuE6ELNS1_3repE0EEENS1_30default_config_static_selectorELNS0_4arch9wavefront6targetE1EEEvS12_.kd
    .uniform_work_group_size: 1
    .uses_dynamic_stack: false
    .vgpr_count:     86
    .vgpr_spill_count: 0
    .wavefront_size: 64
  - .args:
      - .offset:         0
        .size:           176
        .value_kind:     by_value
    .group_segment_fixed_size: 0
    .kernarg_segment_align: 8
    .kernarg_segment_size: 176
    .language:       OpenCL C
    .language_version:
      - 2
      - 0
    .max_flat_workgroup_size: 256
    .name:           _ZN7rocprim17ROCPRIM_400000_NS6detail17trampoline_kernelINS0_13select_configILj256ELj13ELNS0_17block_load_methodE3ELS4_3ELS4_3ELNS0_20block_scan_algorithmE0ELj4294967295EEENS1_25partition_config_selectorILNS1_17partition_subalgoE4EjNS0_10empty_typeEbEEZZNS1_14partition_implILS8_4ELb0ES6_15HIP_vector_typeIjLj2EENS0_17counting_iteratorIjlEEPS9_SG_NS0_5tupleIJPjSI_NS0_16reverse_iteratorISI_EEEEENSH_IJSG_SG_SG_EEES9_SI_JZNS1_25segmented_radix_sort_implINS0_14default_configELb1EPKfPfPKlPlN2at6native12_GLOBAL__N_18offset_tEEE10hipError_tPvRmT1_PNSt15iterator_traitsIS12_E10value_typeET2_T3_PNS13_IS18_E10value_typeET4_jRbjT5_S1E_jjP12ihipStream_tbEUljE_ZNSN_ISO_Lb1ESQ_SR_ST_SU_SY_EESZ_S10_S11_S12_S16_S17_S18_S1B_S1C_jS1D_jS1E_S1E_jjS1G_bEUljE0_EEESZ_S10_S11_S18_S1C_S1E_T6_T7_T9_mT8_S1G_bDpT10_ENKUlT_T0_E_clISt17integral_constantIbLb0EES1U_EEDaS1P_S1Q_EUlS1P_E_NS1_11comp_targetILNS1_3genE10ELNS1_11target_archE1200ELNS1_3gpuE4ELNS1_3repE0EEENS1_30default_config_static_selectorELNS0_4arch9wavefront6targetE1EEEvS12_
    .private_segment_fixed_size: 0
    .sgpr_count:     4
    .sgpr_spill_count: 0
    .symbol:         _ZN7rocprim17ROCPRIM_400000_NS6detail17trampoline_kernelINS0_13select_configILj256ELj13ELNS0_17block_load_methodE3ELS4_3ELS4_3ELNS0_20block_scan_algorithmE0ELj4294967295EEENS1_25partition_config_selectorILNS1_17partition_subalgoE4EjNS0_10empty_typeEbEEZZNS1_14partition_implILS8_4ELb0ES6_15HIP_vector_typeIjLj2EENS0_17counting_iteratorIjlEEPS9_SG_NS0_5tupleIJPjSI_NS0_16reverse_iteratorISI_EEEEENSH_IJSG_SG_SG_EEES9_SI_JZNS1_25segmented_radix_sort_implINS0_14default_configELb1EPKfPfPKlPlN2at6native12_GLOBAL__N_18offset_tEEE10hipError_tPvRmT1_PNSt15iterator_traitsIS12_E10value_typeET2_T3_PNS13_IS18_E10value_typeET4_jRbjT5_S1E_jjP12ihipStream_tbEUljE_ZNSN_ISO_Lb1ESQ_SR_ST_SU_SY_EESZ_S10_S11_S12_S16_S17_S18_S1B_S1C_jS1D_jS1E_S1E_jjS1G_bEUljE0_EEESZ_S10_S11_S18_S1C_S1E_T6_T7_T9_mT8_S1G_bDpT10_ENKUlT_T0_E_clISt17integral_constantIbLb0EES1U_EEDaS1P_S1Q_EUlS1P_E_NS1_11comp_targetILNS1_3genE10ELNS1_11target_archE1200ELNS1_3gpuE4ELNS1_3repE0EEENS1_30default_config_static_selectorELNS0_4arch9wavefront6targetE1EEEvS12_.kd
    .uniform_work_group_size: 1
    .uses_dynamic_stack: false
    .vgpr_count:     0
    .vgpr_spill_count: 0
    .wavefront_size: 64
  - .args:
      - .offset:         0
        .size:           176
        .value_kind:     by_value
    .group_segment_fixed_size: 0
    .kernarg_segment_align: 8
    .kernarg_segment_size: 176
    .language:       OpenCL C
    .language_version:
      - 2
      - 0
    .max_flat_workgroup_size: 256
    .name:           _ZN7rocprim17ROCPRIM_400000_NS6detail17trampoline_kernelINS0_13select_configILj256ELj13ELNS0_17block_load_methodE3ELS4_3ELS4_3ELNS0_20block_scan_algorithmE0ELj4294967295EEENS1_25partition_config_selectorILNS1_17partition_subalgoE4EjNS0_10empty_typeEbEEZZNS1_14partition_implILS8_4ELb0ES6_15HIP_vector_typeIjLj2EENS0_17counting_iteratorIjlEEPS9_SG_NS0_5tupleIJPjSI_NS0_16reverse_iteratorISI_EEEEENSH_IJSG_SG_SG_EEES9_SI_JZNS1_25segmented_radix_sort_implINS0_14default_configELb1EPKfPfPKlPlN2at6native12_GLOBAL__N_18offset_tEEE10hipError_tPvRmT1_PNSt15iterator_traitsIS12_E10value_typeET2_T3_PNS13_IS18_E10value_typeET4_jRbjT5_S1E_jjP12ihipStream_tbEUljE_ZNSN_ISO_Lb1ESQ_SR_ST_SU_SY_EESZ_S10_S11_S12_S16_S17_S18_S1B_S1C_jS1D_jS1E_S1E_jjS1G_bEUljE0_EEESZ_S10_S11_S18_S1C_S1E_T6_T7_T9_mT8_S1G_bDpT10_ENKUlT_T0_E_clISt17integral_constantIbLb0EES1U_EEDaS1P_S1Q_EUlS1P_E_NS1_11comp_targetILNS1_3genE9ELNS1_11target_archE1100ELNS1_3gpuE3ELNS1_3repE0EEENS1_30default_config_static_selectorELNS0_4arch9wavefront6targetE1EEEvS12_
    .private_segment_fixed_size: 0
    .sgpr_count:     4
    .sgpr_spill_count: 0
    .symbol:         _ZN7rocprim17ROCPRIM_400000_NS6detail17trampoline_kernelINS0_13select_configILj256ELj13ELNS0_17block_load_methodE3ELS4_3ELS4_3ELNS0_20block_scan_algorithmE0ELj4294967295EEENS1_25partition_config_selectorILNS1_17partition_subalgoE4EjNS0_10empty_typeEbEEZZNS1_14partition_implILS8_4ELb0ES6_15HIP_vector_typeIjLj2EENS0_17counting_iteratorIjlEEPS9_SG_NS0_5tupleIJPjSI_NS0_16reverse_iteratorISI_EEEEENSH_IJSG_SG_SG_EEES9_SI_JZNS1_25segmented_radix_sort_implINS0_14default_configELb1EPKfPfPKlPlN2at6native12_GLOBAL__N_18offset_tEEE10hipError_tPvRmT1_PNSt15iterator_traitsIS12_E10value_typeET2_T3_PNS13_IS18_E10value_typeET4_jRbjT5_S1E_jjP12ihipStream_tbEUljE_ZNSN_ISO_Lb1ESQ_SR_ST_SU_SY_EESZ_S10_S11_S12_S16_S17_S18_S1B_S1C_jS1D_jS1E_S1E_jjS1G_bEUljE0_EEESZ_S10_S11_S18_S1C_S1E_T6_T7_T9_mT8_S1G_bDpT10_ENKUlT_T0_E_clISt17integral_constantIbLb0EES1U_EEDaS1P_S1Q_EUlS1P_E_NS1_11comp_targetILNS1_3genE9ELNS1_11target_archE1100ELNS1_3gpuE3ELNS1_3repE0EEENS1_30default_config_static_selectorELNS0_4arch9wavefront6targetE1EEEvS12_.kd
    .uniform_work_group_size: 1
    .uses_dynamic_stack: false
    .vgpr_count:     0
    .vgpr_spill_count: 0
    .wavefront_size: 64
  - .args:
      - .offset:         0
        .size:           176
        .value_kind:     by_value
    .group_segment_fixed_size: 0
    .kernarg_segment_align: 8
    .kernarg_segment_size: 176
    .language:       OpenCL C
    .language_version:
      - 2
      - 0
    .max_flat_workgroup_size: 256
    .name:           _ZN7rocprim17ROCPRIM_400000_NS6detail17trampoline_kernelINS0_13select_configILj256ELj13ELNS0_17block_load_methodE3ELS4_3ELS4_3ELNS0_20block_scan_algorithmE0ELj4294967295EEENS1_25partition_config_selectorILNS1_17partition_subalgoE4EjNS0_10empty_typeEbEEZZNS1_14partition_implILS8_4ELb0ES6_15HIP_vector_typeIjLj2EENS0_17counting_iteratorIjlEEPS9_SG_NS0_5tupleIJPjSI_NS0_16reverse_iteratorISI_EEEEENSH_IJSG_SG_SG_EEES9_SI_JZNS1_25segmented_radix_sort_implINS0_14default_configELb1EPKfPfPKlPlN2at6native12_GLOBAL__N_18offset_tEEE10hipError_tPvRmT1_PNSt15iterator_traitsIS12_E10value_typeET2_T3_PNS13_IS18_E10value_typeET4_jRbjT5_S1E_jjP12ihipStream_tbEUljE_ZNSN_ISO_Lb1ESQ_SR_ST_SU_SY_EESZ_S10_S11_S12_S16_S17_S18_S1B_S1C_jS1D_jS1E_S1E_jjS1G_bEUljE0_EEESZ_S10_S11_S18_S1C_S1E_T6_T7_T9_mT8_S1G_bDpT10_ENKUlT_T0_E_clISt17integral_constantIbLb0EES1U_EEDaS1P_S1Q_EUlS1P_E_NS1_11comp_targetILNS1_3genE8ELNS1_11target_archE1030ELNS1_3gpuE2ELNS1_3repE0EEENS1_30default_config_static_selectorELNS0_4arch9wavefront6targetE1EEEvS12_
    .private_segment_fixed_size: 0
    .sgpr_count:     4
    .sgpr_spill_count: 0
    .symbol:         _ZN7rocprim17ROCPRIM_400000_NS6detail17trampoline_kernelINS0_13select_configILj256ELj13ELNS0_17block_load_methodE3ELS4_3ELS4_3ELNS0_20block_scan_algorithmE0ELj4294967295EEENS1_25partition_config_selectorILNS1_17partition_subalgoE4EjNS0_10empty_typeEbEEZZNS1_14partition_implILS8_4ELb0ES6_15HIP_vector_typeIjLj2EENS0_17counting_iteratorIjlEEPS9_SG_NS0_5tupleIJPjSI_NS0_16reverse_iteratorISI_EEEEENSH_IJSG_SG_SG_EEES9_SI_JZNS1_25segmented_radix_sort_implINS0_14default_configELb1EPKfPfPKlPlN2at6native12_GLOBAL__N_18offset_tEEE10hipError_tPvRmT1_PNSt15iterator_traitsIS12_E10value_typeET2_T3_PNS13_IS18_E10value_typeET4_jRbjT5_S1E_jjP12ihipStream_tbEUljE_ZNSN_ISO_Lb1ESQ_SR_ST_SU_SY_EESZ_S10_S11_S12_S16_S17_S18_S1B_S1C_jS1D_jS1E_S1E_jjS1G_bEUljE0_EEESZ_S10_S11_S18_S1C_S1E_T6_T7_T9_mT8_S1G_bDpT10_ENKUlT_T0_E_clISt17integral_constantIbLb0EES1U_EEDaS1P_S1Q_EUlS1P_E_NS1_11comp_targetILNS1_3genE8ELNS1_11target_archE1030ELNS1_3gpuE2ELNS1_3repE0EEENS1_30default_config_static_selectorELNS0_4arch9wavefront6targetE1EEEvS12_.kd
    .uniform_work_group_size: 1
    .uses_dynamic_stack: false
    .vgpr_count:     0
    .vgpr_spill_count: 0
    .wavefront_size: 64
  - .args:
      - .offset:         0
        .size:           184
        .value_kind:     by_value
    .group_segment_fixed_size: 0
    .kernarg_segment_align: 8
    .kernarg_segment_size: 184
    .language:       OpenCL C
    .language_version:
      - 2
      - 0
    .max_flat_workgroup_size: 256
    .name:           _ZN7rocprim17ROCPRIM_400000_NS6detail17trampoline_kernelINS0_13select_configILj256ELj13ELNS0_17block_load_methodE3ELS4_3ELS4_3ELNS0_20block_scan_algorithmE0ELj4294967295EEENS1_25partition_config_selectorILNS1_17partition_subalgoE4EjNS0_10empty_typeEbEEZZNS1_14partition_implILS8_4ELb0ES6_15HIP_vector_typeIjLj2EENS0_17counting_iteratorIjlEEPS9_SG_NS0_5tupleIJPjSI_NS0_16reverse_iteratorISI_EEEEENSH_IJSG_SG_SG_EEES9_SI_JZNS1_25segmented_radix_sort_implINS0_14default_configELb1EPKfPfPKlPlN2at6native12_GLOBAL__N_18offset_tEEE10hipError_tPvRmT1_PNSt15iterator_traitsIS12_E10value_typeET2_T3_PNS13_IS18_E10value_typeET4_jRbjT5_S1E_jjP12ihipStream_tbEUljE_ZNSN_ISO_Lb1ESQ_SR_ST_SU_SY_EESZ_S10_S11_S12_S16_S17_S18_S1B_S1C_jS1D_jS1E_S1E_jjS1G_bEUljE0_EEESZ_S10_S11_S18_S1C_S1E_T6_T7_T9_mT8_S1G_bDpT10_ENKUlT_T0_E_clISt17integral_constantIbLb1EES1U_EEDaS1P_S1Q_EUlS1P_E_NS1_11comp_targetILNS1_3genE0ELNS1_11target_archE4294967295ELNS1_3gpuE0ELNS1_3repE0EEENS1_30default_config_static_selectorELNS0_4arch9wavefront6targetE1EEEvS12_
    .private_segment_fixed_size: 0
    .sgpr_count:     4
    .sgpr_spill_count: 0
    .symbol:         _ZN7rocprim17ROCPRIM_400000_NS6detail17trampoline_kernelINS0_13select_configILj256ELj13ELNS0_17block_load_methodE3ELS4_3ELS4_3ELNS0_20block_scan_algorithmE0ELj4294967295EEENS1_25partition_config_selectorILNS1_17partition_subalgoE4EjNS0_10empty_typeEbEEZZNS1_14partition_implILS8_4ELb0ES6_15HIP_vector_typeIjLj2EENS0_17counting_iteratorIjlEEPS9_SG_NS0_5tupleIJPjSI_NS0_16reverse_iteratorISI_EEEEENSH_IJSG_SG_SG_EEES9_SI_JZNS1_25segmented_radix_sort_implINS0_14default_configELb1EPKfPfPKlPlN2at6native12_GLOBAL__N_18offset_tEEE10hipError_tPvRmT1_PNSt15iterator_traitsIS12_E10value_typeET2_T3_PNS13_IS18_E10value_typeET4_jRbjT5_S1E_jjP12ihipStream_tbEUljE_ZNSN_ISO_Lb1ESQ_SR_ST_SU_SY_EESZ_S10_S11_S12_S16_S17_S18_S1B_S1C_jS1D_jS1E_S1E_jjS1G_bEUljE0_EEESZ_S10_S11_S18_S1C_S1E_T6_T7_T9_mT8_S1G_bDpT10_ENKUlT_T0_E_clISt17integral_constantIbLb1EES1U_EEDaS1P_S1Q_EUlS1P_E_NS1_11comp_targetILNS1_3genE0ELNS1_11target_archE4294967295ELNS1_3gpuE0ELNS1_3repE0EEENS1_30default_config_static_selectorELNS0_4arch9wavefront6targetE1EEEvS12_.kd
    .uniform_work_group_size: 1
    .uses_dynamic_stack: false
    .vgpr_count:     0
    .vgpr_spill_count: 0
    .wavefront_size: 64
  - .args:
      - .offset:         0
        .size:           184
        .value_kind:     by_value
    .group_segment_fixed_size: 0
    .kernarg_segment_align: 8
    .kernarg_segment_size: 184
    .language:       OpenCL C
    .language_version:
      - 2
      - 0
    .max_flat_workgroup_size: 256
    .name:           _ZN7rocprim17ROCPRIM_400000_NS6detail17trampoline_kernelINS0_13select_configILj256ELj13ELNS0_17block_load_methodE3ELS4_3ELS4_3ELNS0_20block_scan_algorithmE0ELj4294967295EEENS1_25partition_config_selectorILNS1_17partition_subalgoE4EjNS0_10empty_typeEbEEZZNS1_14partition_implILS8_4ELb0ES6_15HIP_vector_typeIjLj2EENS0_17counting_iteratorIjlEEPS9_SG_NS0_5tupleIJPjSI_NS0_16reverse_iteratorISI_EEEEENSH_IJSG_SG_SG_EEES9_SI_JZNS1_25segmented_radix_sort_implINS0_14default_configELb1EPKfPfPKlPlN2at6native12_GLOBAL__N_18offset_tEEE10hipError_tPvRmT1_PNSt15iterator_traitsIS12_E10value_typeET2_T3_PNS13_IS18_E10value_typeET4_jRbjT5_S1E_jjP12ihipStream_tbEUljE_ZNSN_ISO_Lb1ESQ_SR_ST_SU_SY_EESZ_S10_S11_S12_S16_S17_S18_S1B_S1C_jS1D_jS1E_S1E_jjS1G_bEUljE0_EEESZ_S10_S11_S18_S1C_S1E_T6_T7_T9_mT8_S1G_bDpT10_ENKUlT_T0_E_clISt17integral_constantIbLb1EES1U_EEDaS1P_S1Q_EUlS1P_E_NS1_11comp_targetILNS1_3genE5ELNS1_11target_archE942ELNS1_3gpuE9ELNS1_3repE0EEENS1_30default_config_static_selectorELNS0_4arch9wavefront6targetE1EEEvS12_
    .private_segment_fixed_size: 0
    .sgpr_count:     4
    .sgpr_spill_count: 0
    .symbol:         _ZN7rocprim17ROCPRIM_400000_NS6detail17trampoline_kernelINS0_13select_configILj256ELj13ELNS0_17block_load_methodE3ELS4_3ELS4_3ELNS0_20block_scan_algorithmE0ELj4294967295EEENS1_25partition_config_selectorILNS1_17partition_subalgoE4EjNS0_10empty_typeEbEEZZNS1_14partition_implILS8_4ELb0ES6_15HIP_vector_typeIjLj2EENS0_17counting_iteratorIjlEEPS9_SG_NS0_5tupleIJPjSI_NS0_16reverse_iteratorISI_EEEEENSH_IJSG_SG_SG_EEES9_SI_JZNS1_25segmented_radix_sort_implINS0_14default_configELb1EPKfPfPKlPlN2at6native12_GLOBAL__N_18offset_tEEE10hipError_tPvRmT1_PNSt15iterator_traitsIS12_E10value_typeET2_T3_PNS13_IS18_E10value_typeET4_jRbjT5_S1E_jjP12ihipStream_tbEUljE_ZNSN_ISO_Lb1ESQ_SR_ST_SU_SY_EESZ_S10_S11_S12_S16_S17_S18_S1B_S1C_jS1D_jS1E_S1E_jjS1G_bEUljE0_EEESZ_S10_S11_S18_S1C_S1E_T6_T7_T9_mT8_S1G_bDpT10_ENKUlT_T0_E_clISt17integral_constantIbLb1EES1U_EEDaS1P_S1Q_EUlS1P_E_NS1_11comp_targetILNS1_3genE5ELNS1_11target_archE942ELNS1_3gpuE9ELNS1_3repE0EEENS1_30default_config_static_selectorELNS0_4arch9wavefront6targetE1EEEvS12_.kd
    .uniform_work_group_size: 1
    .uses_dynamic_stack: false
    .vgpr_count:     0
    .vgpr_spill_count: 0
    .wavefront_size: 64
  - .args:
      - .offset:         0
        .size:           184
        .value_kind:     by_value
    .group_segment_fixed_size: 0
    .kernarg_segment_align: 8
    .kernarg_segment_size: 184
    .language:       OpenCL C
    .language_version:
      - 2
      - 0
    .max_flat_workgroup_size: 256
    .name:           _ZN7rocprim17ROCPRIM_400000_NS6detail17trampoline_kernelINS0_13select_configILj256ELj13ELNS0_17block_load_methodE3ELS4_3ELS4_3ELNS0_20block_scan_algorithmE0ELj4294967295EEENS1_25partition_config_selectorILNS1_17partition_subalgoE4EjNS0_10empty_typeEbEEZZNS1_14partition_implILS8_4ELb0ES6_15HIP_vector_typeIjLj2EENS0_17counting_iteratorIjlEEPS9_SG_NS0_5tupleIJPjSI_NS0_16reverse_iteratorISI_EEEEENSH_IJSG_SG_SG_EEES9_SI_JZNS1_25segmented_radix_sort_implINS0_14default_configELb1EPKfPfPKlPlN2at6native12_GLOBAL__N_18offset_tEEE10hipError_tPvRmT1_PNSt15iterator_traitsIS12_E10value_typeET2_T3_PNS13_IS18_E10value_typeET4_jRbjT5_S1E_jjP12ihipStream_tbEUljE_ZNSN_ISO_Lb1ESQ_SR_ST_SU_SY_EESZ_S10_S11_S12_S16_S17_S18_S1B_S1C_jS1D_jS1E_S1E_jjS1G_bEUljE0_EEESZ_S10_S11_S18_S1C_S1E_T6_T7_T9_mT8_S1G_bDpT10_ENKUlT_T0_E_clISt17integral_constantIbLb1EES1U_EEDaS1P_S1Q_EUlS1P_E_NS1_11comp_targetILNS1_3genE4ELNS1_11target_archE910ELNS1_3gpuE8ELNS1_3repE0EEENS1_30default_config_static_selectorELNS0_4arch9wavefront6targetE1EEEvS12_
    .private_segment_fixed_size: 0
    .sgpr_count:     4
    .sgpr_spill_count: 0
    .symbol:         _ZN7rocprim17ROCPRIM_400000_NS6detail17trampoline_kernelINS0_13select_configILj256ELj13ELNS0_17block_load_methodE3ELS4_3ELS4_3ELNS0_20block_scan_algorithmE0ELj4294967295EEENS1_25partition_config_selectorILNS1_17partition_subalgoE4EjNS0_10empty_typeEbEEZZNS1_14partition_implILS8_4ELb0ES6_15HIP_vector_typeIjLj2EENS0_17counting_iteratorIjlEEPS9_SG_NS0_5tupleIJPjSI_NS0_16reverse_iteratorISI_EEEEENSH_IJSG_SG_SG_EEES9_SI_JZNS1_25segmented_radix_sort_implINS0_14default_configELb1EPKfPfPKlPlN2at6native12_GLOBAL__N_18offset_tEEE10hipError_tPvRmT1_PNSt15iterator_traitsIS12_E10value_typeET2_T3_PNS13_IS18_E10value_typeET4_jRbjT5_S1E_jjP12ihipStream_tbEUljE_ZNSN_ISO_Lb1ESQ_SR_ST_SU_SY_EESZ_S10_S11_S12_S16_S17_S18_S1B_S1C_jS1D_jS1E_S1E_jjS1G_bEUljE0_EEESZ_S10_S11_S18_S1C_S1E_T6_T7_T9_mT8_S1G_bDpT10_ENKUlT_T0_E_clISt17integral_constantIbLb1EES1U_EEDaS1P_S1Q_EUlS1P_E_NS1_11comp_targetILNS1_3genE4ELNS1_11target_archE910ELNS1_3gpuE8ELNS1_3repE0EEENS1_30default_config_static_selectorELNS0_4arch9wavefront6targetE1EEEvS12_.kd
    .uniform_work_group_size: 1
    .uses_dynamic_stack: false
    .vgpr_count:     0
    .vgpr_spill_count: 0
    .wavefront_size: 64
  - .args:
      - .offset:         0
        .size:           184
        .value_kind:     by_value
    .group_segment_fixed_size: 0
    .kernarg_segment_align: 8
    .kernarg_segment_size: 184
    .language:       OpenCL C
    .language_version:
      - 2
      - 0
    .max_flat_workgroup_size: 256
    .name:           _ZN7rocprim17ROCPRIM_400000_NS6detail17trampoline_kernelINS0_13select_configILj256ELj13ELNS0_17block_load_methodE3ELS4_3ELS4_3ELNS0_20block_scan_algorithmE0ELj4294967295EEENS1_25partition_config_selectorILNS1_17partition_subalgoE4EjNS0_10empty_typeEbEEZZNS1_14partition_implILS8_4ELb0ES6_15HIP_vector_typeIjLj2EENS0_17counting_iteratorIjlEEPS9_SG_NS0_5tupleIJPjSI_NS0_16reverse_iteratorISI_EEEEENSH_IJSG_SG_SG_EEES9_SI_JZNS1_25segmented_radix_sort_implINS0_14default_configELb1EPKfPfPKlPlN2at6native12_GLOBAL__N_18offset_tEEE10hipError_tPvRmT1_PNSt15iterator_traitsIS12_E10value_typeET2_T3_PNS13_IS18_E10value_typeET4_jRbjT5_S1E_jjP12ihipStream_tbEUljE_ZNSN_ISO_Lb1ESQ_SR_ST_SU_SY_EESZ_S10_S11_S12_S16_S17_S18_S1B_S1C_jS1D_jS1E_S1E_jjS1G_bEUljE0_EEESZ_S10_S11_S18_S1C_S1E_T6_T7_T9_mT8_S1G_bDpT10_ENKUlT_T0_E_clISt17integral_constantIbLb1EES1U_EEDaS1P_S1Q_EUlS1P_E_NS1_11comp_targetILNS1_3genE3ELNS1_11target_archE908ELNS1_3gpuE7ELNS1_3repE0EEENS1_30default_config_static_selectorELNS0_4arch9wavefront6targetE1EEEvS12_
    .private_segment_fixed_size: 0
    .sgpr_count:     4
    .sgpr_spill_count: 0
    .symbol:         _ZN7rocprim17ROCPRIM_400000_NS6detail17trampoline_kernelINS0_13select_configILj256ELj13ELNS0_17block_load_methodE3ELS4_3ELS4_3ELNS0_20block_scan_algorithmE0ELj4294967295EEENS1_25partition_config_selectorILNS1_17partition_subalgoE4EjNS0_10empty_typeEbEEZZNS1_14partition_implILS8_4ELb0ES6_15HIP_vector_typeIjLj2EENS0_17counting_iteratorIjlEEPS9_SG_NS0_5tupleIJPjSI_NS0_16reverse_iteratorISI_EEEEENSH_IJSG_SG_SG_EEES9_SI_JZNS1_25segmented_radix_sort_implINS0_14default_configELb1EPKfPfPKlPlN2at6native12_GLOBAL__N_18offset_tEEE10hipError_tPvRmT1_PNSt15iterator_traitsIS12_E10value_typeET2_T3_PNS13_IS18_E10value_typeET4_jRbjT5_S1E_jjP12ihipStream_tbEUljE_ZNSN_ISO_Lb1ESQ_SR_ST_SU_SY_EESZ_S10_S11_S12_S16_S17_S18_S1B_S1C_jS1D_jS1E_S1E_jjS1G_bEUljE0_EEESZ_S10_S11_S18_S1C_S1E_T6_T7_T9_mT8_S1G_bDpT10_ENKUlT_T0_E_clISt17integral_constantIbLb1EES1U_EEDaS1P_S1Q_EUlS1P_E_NS1_11comp_targetILNS1_3genE3ELNS1_11target_archE908ELNS1_3gpuE7ELNS1_3repE0EEENS1_30default_config_static_selectorELNS0_4arch9wavefront6targetE1EEEvS12_.kd
    .uniform_work_group_size: 1
    .uses_dynamic_stack: false
    .vgpr_count:     0
    .vgpr_spill_count: 0
    .wavefront_size: 64
  - .args:
      - .offset:         0
        .size:           184
        .value_kind:     by_value
    .group_segment_fixed_size: 0
    .kernarg_segment_align: 8
    .kernarg_segment_size: 184
    .language:       OpenCL C
    .language_version:
      - 2
      - 0
    .max_flat_workgroup_size: 256
    .name:           _ZN7rocprim17ROCPRIM_400000_NS6detail17trampoline_kernelINS0_13select_configILj256ELj13ELNS0_17block_load_methodE3ELS4_3ELS4_3ELNS0_20block_scan_algorithmE0ELj4294967295EEENS1_25partition_config_selectorILNS1_17partition_subalgoE4EjNS0_10empty_typeEbEEZZNS1_14partition_implILS8_4ELb0ES6_15HIP_vector_typeIjLj2EENS0_17counting_iteratorIjlEEPS9_SG_NS0_5tupleIJPjSI_NS0_16reverse_iteratorISI_EEEEENSH_IJSG_SG_SG_EEES9_SI_JZNS1_25segmented_radix_sort_implINS0_14default_configELb1EPKfPfPKlPlN2at6native12_GLOBAL__N_18offset_tEEE10hipError_tPvRmT1_PNSt15iterator_traitsIS12_E10value_typeET2_T3_PNS13_IS18_E10value_typeET4_jRbjT5_S1E_jjP12ihipStream_tbEUljE_ZNSN_ISO_Lb1ESQ_SR_ST_SU_SY_EESZ_S10_S11_S12_S16_S17_S18_S1B_S1C_jS1D_jS1E_S1E_jjS1G_bEUljE0_EEESZ_S10_S11_S18_S1C_S1E_T6_T7_T9_mT8_S1G_bDpT10_ENKUlT_T0_E_clISt17integral_constantIbLb1EES1U_EEDaS1P_S1Q_EUlS1P_E_NS1_11comp_targetILNS1_3genE2ELNS1_11target_archE906ELNS1_3gpuE6ELNS1_3repE0EEENS1_30default_config_static_selectorELNS0_4arch9wavefront6targetE1EEEvS12_
    .private_segment_fixed_size: 0
    .sgpr_count:     4
    .sgpr_spill_count: 0
    .symbol:         _ZN7rocprim17ROCPRIM_400000_NS6detail17trampoline_kernelINS0_13select_configILj256ELj13ELNS0_17block_load_methodE3ELS4_3ELS4_3ELNS0_20block_scan_algorithmE0ELj4294967295EEENS1_25partition_config_selectorILNS1_17partition_subalgoE4EjNS0_10empty_typeEbEEZZNS1_14partition_implILS8_4ELb0ES6_15HIP_vector_typeIjLj2EENS0_17counting_iteratorIjlEEPS9_SG_NS0_5tupleIJPjSI_NS0_16reverse_iteratorISI_EEEEENSH_IJSG_SG_SG_EEES9_SI_JZNS1_25segmented_radix_sort_implINS0_14default_configELb1EPKfPfPKlPlN2at6native12_GLOBAL__N_18offset_tEEE10hipError_tPvRmT1_PNSt15iterator_traitsIS12_E10value_typeET2_T3_PNS13_IS18_E10value_typeET4_jRbjT5_S1E_jjP12ihipStream_tbEUljE_ZNSN_ISO_Lb1ESQ_SR_ST_SU_SY_EESZ_S10_S11_S12_S16_S17_S18_S1B_S1C_jS1D_jS1E_S1E_jjS1G_bEUljE0_EEESZ_S10_S11_S18_S1C_S1E_T6_T7_T9_mT8_S1G_bDpT10_ENKUlT_T0_E_clISt17integral_constantIbLb1EES1U_EEDaS1P_S1Q_EUlS1P_E_NS1_11comp_targetILNS1_3genE2ELNS1_11target_archE906ELNS1_3gpuE6ELNS1_3repE0EEENS1_30default_config_static_selectorELNS0_4arch9wavefront6targetE1EEEvS12_.kd
    .uniform_work_group_size: 1
    .uses_dynamic_stack: false
    .vgpr_count:     0
    .vgpr_spill_count: 0
    .wavefront_size: 64
  - .args:
      - .offset:         0
        .size:           184
        .value_kind:     by_value
    .group_segment_fixed_size: 0
    .kernarg_segment_align: 8
    .kernarg_segment_size: 184
    .language:       OpenCL C
    .language_version:
      - 2
      - 0
    .max_flat_workgroup_size: 256
    .name:           _ZN7rocprim17ROCPRIM_400000_NS6detail17trampoline_kernelINS0_13select_configILj256ELj13ELNS0_17block_load_methodE3ELS4_3ELS4_3ELNS0_20block_scan_algorithmE0ELj4294967295EEENS1_25partition_config_selectorILNS1_17partition_subalgoE4EjNS0_10empty_typeEbEEZZNS1_14partition_implILS8_4ELb0ES6_15HIP_vector_typeIjLj2EENS0_17counting_iteratorIjlEEPS9_SG_NS0_5tupleIJPjSI_NS0_16reverse_iteratorISI_EEEEENSH_IJSG_SG_SG_EEES9_SI_JZNS1_25segmented_radix_sort_implINS0_14default_configELb1EPKfPfPKlPlN2at6native12_GLOBAL__N_18offset_tEEE10hipError_tPvRmT1_PNSt15iterator_traitsIS12_E10value_typeET2_T3_PNS13_IS18_E10value_typeET4_jRbjT5_S1E_jjP12ihipStream_tbEUljE_ZNSN_ISO_Lb1ESQ_SR_ST_SU_SY_EESZ_S10_S11_S12_S16_S17_S18_S1B_S1C_jS1D_jS1E_S1E_jjS1G_bEUljE0_EEESZ_S10_S11_S18_S1C_S1E_T6_T7_T9_mT8_S1G_bDpT10_ENKUlT_T0_E_clISt17integral_constantIbLb1EES1U_EEDaS1P_S1Q_EUlS1P_E_NS1_11comp_targetILNS1_3genE10ELNS1_11target_archE1200ELNS1_3gpuE4ELNS1_3repE0EEENS1_30default_config_static_selectorELNS0_4arch9wavefront6targetE1EEEvS12_
    .private_segment_fixed_size: 0
    .sgpr_count:     4
    .sgpr_spill_count: 0
    .symbol:         _ZN7rocprim17ROCPRIM_400000_NS6detail17trampoline_kernelINS0_13select_configILj256ELj13ELNS0_17block_load_methodE3ELS4_3ELS4_3ELNS0_20block_scan_algorithmE0ELj4294967295EEENS1_25partition_config_selectorILNS1_17partition_subalgoE4EjNS0_10empty_typeEbEEZZNS1_14partition_implILS8_4ELb0ES6_15HIP_vector_typeIjLj2EENS0_17counting_iteratorIjlEEPS9_SG_NS0_5tupleIJPjSI_NS0_16reverse_iteratorISI_EEEEENSH_IJSG_SG_SG_EEES9_SI_JZNS1_25segmented_radix_sort_implINS0_14default_configELb1EPKfPfPKlPlN2at6native12_GLOBAL__N_18offset_tEEE10hipError_tPvRmT1_PNSt15iterator_traitsIS12_E10value_typeET2_T3_PNS13_IS18_E10value_typeET4_jRbjT5_S1E_jjP12ihipStream_tbEUljE_ZNSN_ISO_Lb1ESQ_SR_ST_SU_SY_EESZ_S10_S11_S12_S16_S17_S18_S1B_S1C_jS1D_jS1E_S1E_jjS1G_bEUljE0_EEESZ_S10_S11_S18_S1C_S1E_T6_T7_T9_mT8_S1G_bDpT10_ENKUlT_T0_E_clISt17integral_constantIbLb1EES1U_EEDaS1P_S1Q_EUlS1P_E_NS1_11comp_targetILNS1_3genE10ELNS1_11target_archE1200ELNS1_3gpuE4ELNS1_3repE0EEENS1_30default_config_static_selectorELNS0_4arch9wavefront6targetE1EEEvS12_.kd
    .uniform_work_group_size: 1
    .uses_dynamic_stack: false
    .vgpr_count:     0
    .vgpr_spill_count: 0
    .wavefront_size: 64
  - .args:
      - .offset:         0
        .size:           184
        .value_kind:     by_value
    .group_segment_fixed_size: 0
    .kernarg_segment_align: 8
    .kernarg_segment_size: 184
    .language:       OpenCL C
    .language_version:
      - 2
      - 0
    .max_flat_workgroup_size: 256
    .name:           _ZN7rocprim17ROCPRIM_400000_NS6detail17trampoline_kernelINS0_13select_configILj256ELj13ELNS0_17block_load_methodE3ELS4_3ELS4_3ELNS0_20block_scan_algorithmE0ELj4294967295EEENS1_25partition_config_selectorILNS1_17partition_subalgoE4EjNS0_10empty_typeEbEEZZNS1_14partition_implILS8_4ELb0ES6_15HIP_vector_typeIjLj2EENS0_17counting_iteratorIjlEEPS9_SG_NS0_5tupleIJPjSI_NS0_16reverse_iteratorISI_EEEEENSH_IJSG_SG_SG_EEES9_SI_JZNS1_25segmented_radix_sort_implINS0_14default_configELb1EPKfPfPKlPlN2at6native12_GLOBAL__N_18offset_tEEE10hipError_tPvRmT1_PNSt15iterator_traitsIS12_E10value_typeET2_T3_PNS13_IS18_E10value_typeET4_jRbjT5_S1E_jjP12ihipStream_tbEUljE_ZNSN_ISO_Lb1ESQ_SR_ST_SU_SY_EESZ_S10_S11_S12_S16_S17_S18_S1B_S1C_jS1D_jS1E_S1E_jjS1G_bEUljE0_EEESZ_S10_S11_S18_S1C_S1E_T6_T7_T9_mT8_S1G_bDpT10_ENKUlT_T0_E_clISt17integral_constantIbLb1EES1U_EEDaS1P_S1Q_EUlS1P_E_NS1_11comp_targetILNS1_3genE9ELNS1_11target_archE1100ELNS1_3gpuE3ELNS1_3repE0EEENS1_30default_config_static_selectorELNS0_4arch9wavefront6targetE1EEEvS12_
    .private_segment_fixed_size: 0
    .sgpr_count:     4
    .sgpr_spill_count: 0
    .symbol:         _ZN7rocprim17ROCPRIM_400000_NS6detail17trampoline_kernelINS0_13select_configILj256ELj13ELNS0_17block_load_methodE3ELS4_3ELS4_3ELNS0_20block_scan_algorithmE0ELj4294967295EEENS1_25partition_config_selectorILNS1_17partition_subalgoE4EjNS0_10empty_typeEbEEZZNS1_14partition_implILS8_4ELb0ES6_15HIP_vector_typeIjLj2EENS0_17counting_iteratorIjlEEPS9_SG_NS0_5tupleIJPjSI_NS0_16reverse_iteratorISI_EEEEENSH_IJSG_SG_SG_EEES9_SI_JZNS1_25segmented_radix_sort_implINS0_14default_configELb1EPKfPfPKlPlN2at6native12_GLOBAL__N_18offset_tEEE10hipError_tPvRmT1_PNSt15iterator_traitsIS12_E10value_typeET2_T3_PNS13_IS18_E10value_typeET4_jRbjT5_S1E_jjP12ihipStream_tbEUljE_ZNSN_ISO_Lb1ESQ_SR_ST_SU_SY_EESZ_S10_S11_S12_S16_S17_S18_S1B_S1C_jS1D_jS1E_S1E_jjS1G_bEUljE0_EEESZ_S10_S11_S18_S1C_S1E_T6_T7_T9_mT8_S1G_bDpT10_ENKUlT_T0_E_clISt17integral_constantIbLb1EES1U_EEDaS1P_S1Q_EUlS1P_E_NS1_11comp_targetILNS1_3genE9ELNS1_11target_archE1100ELNS1_3gpuE3ELNS1_3repE0EEENS1_30default_config_static_selectorELNS0_4arch9wavefront6targetE1EEEvS12_.kd
    .uniform_work_group_size: 1
    .uses_dynamic_stack: false
    .vgpr_count:     0
    .vgpr_spill_count: 0
    .wavefront_size: 64
  - .args:
      - .offset:         0
        .size:           184
        .value_kind:     by_value
    .group_segment_fixed_size: 0
    .kernarg_segment_align: 8
    .kernarg_segment_size: 184
    .language:       OpenCL C
    .language_version:
      - 2
      - 0
    .max_flat_workgroup_size: 256
    .name:           _ZN7rocprim17ROCPRIM_400000_NS6detail17trampoline_kernelINS0_13select_configILj256ELj13ELNS0_17block_load_methodE3ELS4_3ELS4_3ELNS0_20block_scan_algorithmE0ELj4294967295EEENS1_25partition_config_selectorILNS1_17partition_subalgoE4EjNS0_10empty_typeEbEEZZNS1_14partition_implILS8_4ELb0ES6_15HIP_vector_typeIjLj2EENS0_17counting_iteratorIjlEEPS9_SG_NS0_5tupleIJPjSI_NS0_16reverse_iteratorISI_EEEEENSH_IJSG_SG_SG_EEES9_SI_JZNS1_25segmented_radix_sort_implINS0_14default_configELb1EPKfPfPKlPlN2at6native12_GLOBAL__N_18offset_tEEE10hipError_tPvRmT1_PNSt15iterator_traitsIS12_E10value_typeET2_T3_PNS13_IS18_E10value_typeET4_jRbjT5_S1E_jjP12ihipStream_tbEUljE_ZNSN_ISO_Lb1ESQ_SR_ST_SU_SY_EESZ_S10_S11_S12_S16_S17_S18_S1B_S1C_jS1D_jS1E_S1E_jjS1G_bEUljE0_EEESZ_S10_S11_S18_S1C_S1E_T6_T7_T9_mT8_S1G_bDpT10_ENKUlT_T0_E_clISt17integral_constantIbLb1EES1U_EEDaS1P_S1Q_EUlS1P_E_NS1_11comp_targetILNS1_3genE8ELNS1_11target_archE1030ELNS1_3gpuE2ELNS1_3repE0EEENS1_30default_config_static_selectorELNS0_4arch9wavefront6targetE1EEEvS12_
    .private_segment_fixed_size: 0
    .sgpr_count:     4
    .sgpr_spill_count: 0
    .symbol:         _ZN7rocprim17ROCPRIM_400000_NS6detail17trampoline_kernelINS0_13select_configILj256ELj13ELNS0_17block_load_methodE3ELS4_3ELS4_3ELNS0_20block_scan_algorithmE0ELj4294967295EEENS1_25partition_config_selectorILNS1_17partition_subalgoE4EjNS0_10empty_typeEbEEZZNS1_14partition_implILS8_4ELb0ES6_15HIP_vector_typeIjLj2EENS0_17counting_iteratorIjlEEPS9_SG_NS0_5tupleIJPjSI_NS0_16reverse_iteratorISI_EEEEENSH_IJSG_SG_SG_EEES9_SI_JZNS1_25segmented_radix_sort_implINS0_14default_configELb1EPKfPfPKlPlN2at6native12_GLOBAL__N_18offset_tEEE10hipError_tPvRmT1_PNSt15iterator_traitsIS12_E10value_typeET2_T3_PNS13_IS18_E10value_typeET4_jRbjT5_S1E_jjP12ihipStream_tbEUljE_ZNSN_ISO_Lb1ESQ_SR_ST_SU_SY_EESZ_S10_S11_S12_S16_S17_S18_S1B_S1C_jS1D_jS1E_S1E_jjS1G_bEUljE0_EEESZ_S10_S11_S18_S1C_S1E_T6_T7_T9_mT8_S1G_bDpT10_ENKUlT_T0_E_clISt17integral_constantIbLb1EES1U_EEDaS1P_S1Q_EUlS1P_E_NS1_11comp_targetILNS1_3genE8ELNS1_11target_archE1030ELNS1_3gpuE2ELNS1_3repE0EEENS1_30default_config_static_selectorELNS0_4arch9wavefront6targetE1EEEvS12_.kd
    .uniform_work_group_size: 1
    .uses_dynamic_stack: false
    .vgpr_count:     0
    .vgpr_spill_count: 0
    .wavefront_size: 64
  - .args:
      - .offset:         0
        .size:           176
        .value_kind:     by_value
    .group_segment_fixed_size: 0
    .kernarg_segment_align: 8
    .kernarg_segment_size: 176
    .language:       OpenCL C
    .language_version:
      - 2
      - 0
    .max_flat_workgroup_size: 256
    .name:           _ZN7rocprim17ROCPRIM_400000_NS6detail17trampoline_kernelINS0_13select_configILj256ELj13ELNS0_17block_load_methodE3ELS4_3ELS4_3ELNS0_20block_scan_algorithmE0ELj4294967295EEENS1_25partition_config_selectorILNS1_17partition_subalgoE4EjNS0_10empty_typeEbEEZZNS1_14partition_implILS8_4ELb0ES6_15HIP_vector_typeIjLj2EENS0_17counting_iteratorIjlEEPS9_SG_NS0_5tupleIJPjSI_NS0_16reverse_iteratorISI_EEEEENSH_IJSG_SG_SG_EEES9_SI_JZNS1_25segmented_radix_sort_implINS0_14default_configELb1EPKfPfPKlPlN2at6native12_GLOBAL__N_18offset_tEEE10hipError_tPvRmT1_PNSt15iterator_traitsIS12_E10value_typeET2_T3_PNS13_IS18_E10value_typeET4_jRbjT5_S1E_jjP12ihipStream_tbEUljE_ZNSN_ISO_Lb1ESQ_SR_ST_SU_SY_EESZ_S10_S11_S12_S16_S17_S18_S1B_S1C_jS1D_jS1E_S1E_jjS1G_bEUljE0_EEESZ_S10_S11_S18_S1C_S1E_T6_T7_T9_mT8_S1G_bDpT10_ENKUlT_T0_E_clISt17integral_constantIbLb1EES1T_IbLb0EEEEDaS1P_S1Q_EUlS1P_E_NS1_11comp_targetILNS1_3genE0ELNS1_11target_archE4294967295ELNS1_3gpuE0ELNS1_3repE0EEENS1_30default_config_static_selectorELNS0_4arch9wavefront6targetE1EEEvS12_
    .private_segment_fixed_size: 0
    .sgpr_count:     4
    .sgpr_spill_count: 0
    .symbol:         _ZN7rocprim17ROCPRIM_400000_NS6detail17trampoline_kernelINS0_13select_configILj256ELj13ELNS0_17block_load_methodE3ELS4_3ELS4_3ELNS0_20block_scan_algorithmE0ELj4294967295EEENS1_25partition_config_selectorILNS1_17partition_subalgoE4EjNS0_10empty_typeEbEEZZNS1_14partition_implILS8_4ELb0ES6_15HIP_vector_typeIjLj2EENS0_17counting_iteratorIjlEEPS9_SG_NS0_5tupleIJPjSI_NS0_16reverse_iteratorISI_EEEEENSH_IJSG_SG_SG_EEES9_SI_JZNS1_25segmented_radix_sort_implINS0_14default_configELb1EPKfPfPKlPlN2at6native12_GLOBAL__N_18offset_tEEE10hipError_tPvRmT1_PNSt15iterator_traitsIS12_E10value_typeET2_T3_PNS13_IS18_E10value_typeET4_jRbjT5_S1E_jjP12ihipStream_tbEUljE_ZNSN_ISO_Lb1ESQ_SR_ST_SU_SY_EESZ_S10_S11_S12_S16_S17_S18_S1B_S1C_jS1D_jS1E_S1E_jjS1G_bEUljE0_EEESZ_S10_S11_S18_S1C_S1E_T6_T7_T9_mT8_S1G_bDpT10_ENKUlT_T0_E_clISt17integral_constantIbLb1EES1T_IbLb0EEEEDaS1P_S1Q_EUlS1P_E_NS1_11comp_targetILNS1_3genE0ELNS1_11target_archE4294967295ELNS1_3gpuE0ELNS1_3repE0EEENS1_30default_config_static_selectorELNS0_4arch9wavefront6targetE1EEEvS12_.kd
    .uniform_work_group_size: 1
    .uses_dynamic_stack: false
    .vgpr_count:     0
    .vgpr_spill_count: 0
    .wavefront_size: 64
  - .args:
      - .offset:         0
        .size:           176
        .value_kind:     by_value
    .group_segment_fixed_size: 0
    .kernarg_segment_align: 8
    .kernarg_segment_size: 176
    .language:       OpenCL C
    .language_version:
      - 2
      - 0
    .max_flat_workgroup_size: 256
    .name:           _ZN7rocprim17ROCPRIM_400000_NS6detail17trampoline_kernelINS0_13select_configILj256ELj13ELNS0_17block_load_methodE3ELS4_3ELS4_3ELNS0_20block_scan_algorithmE0ELj4294967295EEENS1_25partition_config_selectorILNS1_17partition_subalgoE4EjNS0_10empty_typeEbEEZZNS1_14partition_implILS8_4ELb0ES6_15HIP_vector_typeIjLj2EENS0_17counting_iteratorIjlEEPS9_SG_NS0_5tupleIJPjSI_NS0_16reverse_iteratorISI_EEEEENSH_IJSG_SG_SG_EEES9_SI_JZNS1_25segmented_radix_sort_implINS0_14default_configELb1EPKfPfPKlPlN2at6native12_GLOBAL__N_18offset_tEEE10hipError_tPvRmT1_PNSt15iterator_traitsIS12_E10value_typeET2_T3_PNS13_IS18_E10value_typeET4_jRbjT5_S1E_jjP12ihipStream_tbEUljE_ZNSN_ISO_Lb1ESQ_SR_ST_SU_SY_EESZ_S10_S11_S12_S16_S17_S18_S1B_S1C_jS1D_jS1E_S1E_jjS1G_bEUljE0_EEESZ_S10_S11_S18_S1C_S1E_T6_T7_T9_mT8_S1G_bDpT10_ENKUlT_T0_E_clISt17integral_constantIbLb1EES1T_IbLb0EEEEDaS1P_S1Q_EUlS1P_E_NS1_11comp_targetILNS1_3genE5ELNS1_11target_archE942ELNS1_3gpuE9ELNS1_3repE0EEENS1_30default_config_static_selectorELNS0_4arch9wavefront6targetE1EEEvS12_
    .private_segment_fixed_size: 0
    .sgpr_count:     4
    .sgpr_spill_count: 0
    .symbol:         _ZN7rocprim17ROCPRIM_400000_NS6detail17trampoline_kernelINS0_13select_configILj256ELj13ELNS0_17block_load_methodE3ELS4_3ELS4_3ELNS0_20block_scan_algorithmE0ELj4294967295EEENS1_25partition_config_selectorILNS1_17partition_subalgoE4EjNS0_10empty_typeEbEEZZNS1_14partition_implILS8_4ELb0ES6_15HIP_vector_typeIjLj2EENS0_17counting_iteratorIjlEEPS9_SG_NS0_5tupleIJPjSI_NS0_16reverse_iteratorISI_EEEEENSH_IJSG_SG_SG_EEES9_SI_JZNS1_25segmented_radix_sort_implINS0_14default_configELb1EPKfPfPKlPlN2at6native12_GLOBAL__N_18offset_tEEE10hipError_tPvRmT1_PNSt15iterator_traitsIS12_E10value_typeET2_T3_PNS13_IS18_E10value_typeET4_jRbjT5_S1E_jjP12ihipStream_tbEUljE_ZNSN_ISO_Lb1ESQ_SR_ST_SU_SY_EESZ_S10_S11_S12_S16_S17_S18_S1B_S1C_jS1D_jS1E_S1E_jjS1G_bEUljE0_EEESZ_S10_S11_S18_S1C_S1E_T6_T7_T9_mT8_S1G_bDpT10_ENKUlT_T0_E_clISt17integral_constantIbLb1EES1T_IbLb0EEEEDaS1P_S1Q_EUlS1P_E_NS1_11comp_targetILNS1_3genE5ELNS1_11target_archE942ELNS1_3gpuE9ELNS1_3repE0EEENS1_30default_config_static_selectorELNS0_4arch9wavefront6targetE1EEEvS12_.kd
    .uniform_work_group_size: 1
    .uses_dynamic_stack: false
    .vgpr_count:     0
    .vgpr_spill_count: 0
    .wavefront_size: 64
  - .args:
      - .offset:         0
        .size:           176
        .value_kind:     by_value
    .group_segment_fixed_size: 0
    .kernarg_segment_align: 8
    .kernarg_segment_size: 176
    .language:       OpenCL C
    .language_version:
      - 2
      - 0
    .max_flat_workgroup_size: 256
    .name:           _ZN7rocprim17ROCPRIM_400000_NS6detail17trampoline_kernelINS0_13select_configILj256ELj13ELNS0_17block_load_methodE3ELS4_3ELS4_3ELNS0_20block_scan_algorithmE0ELj4294967295EEENS1_25partition_config_selectorILNS1_17partition_subalgoE4EjNS0_10empty_typeEbEEZZNS1_14partition_implILS8_4ELb0ES6_15HIP_vector_typeIjLj2EENS0_17counting_iteratorIjlEEPS9_SG_NS0_5tupleIJPjSI_NS0_16reverse_iteratorISI_EEEEENSH_IJSG_SG_SG_EEES9_SI_JZNS1_25segmented_radix_sort_implINS0_14default_configELb1EPKfPfPKlPlN2at6native12_GLOBAL__N_18offset_tEEE10hipError_tPvRmT1_PNSt15iterator_traitsIS12_E10value_typeET2_T3_PNS13_IS18_E10value_typeET4_jRbjT5_S1E_jjP12ihipStream_tbEUljE_ZNSN_ISO_Lb1ESQ_SR_ST_SU_SY_EESZ_S10_S11_S12_S16_S17_S18_S1B_S1C_jS1D_jS1E_S1E_jjS1G_bEUljE0_EEESZ_S10_S11_S18_S1C_S1E_T6_T7_T9_mT8_S1G_bDpT10_ENKUlT_T0_E_clISt17integral_constantIbLb1EES1T_IbLb0EEEEDaS1P_S1Q_EUlS1P_E_NS1_11comp_targetILNS1_3genE4ELNS1_11target_archE910ELNS1_3gpuE8ELNS1_3repE0EEENS1_30default_config_static_selectorELNS0_4arch9wavefront6targetE1EEEvS12_
    .private_segment_fixed_size: 0
    .sgpr_count:     4
    .sgpr_spill_count: 0
    .symbol:         _ZN7rocprim17ROCPRIM_400000_NS6detail17trampoline_kernelINS0_13select_configILj256ELj13ELNS0_17block_load_methodE3ELS4_3ELS4_3ELNS0_20block_scan_algorithmE0ELj4294967295EEENS1_25partition_config_selectorILNS1_17partition_subalgoE4EjNS0_10empty_typeEbEEZZNS1_14partition_implILS8_4ELb0ES6_15HIP_vector_typeIjLj2EENS0_17counting_iteratorIjlEEPS9_SG_NS0_5tupleIJPjSI_NS0_16reverse_iteratorISI_EEEEENSH_IJSG_SG_SG_EEES9_SI_JZNS1_25segmented_radix_sort_implINS0_14default_configELb1EPKfPfPKlPlN2at6native12_GLOBAL__N_18offset_tEEE10hipError_tPvRmT1_PNSt15iterator_traitsIS12_E10value_typeET2_T3_PNS13_IS18_E10value_typeET4_jRbjT5_S1E_jjP12ihipStream_tbEUljE_ZNSN_ISO_Lb1ESQ_SR_ST_SU_SY_EESZ_S10_S11_S12_S16_S17_S18_S1B_S1C_jS1D_jS1E_S1E_jjS1G_bEUljE0_EEESZ_S10_S11_S18_S1C_S1E_T6_T7_T9_mT8_S1G_bDpT10_ENKUlT_T0_E_clISt17integral_constantIbLb1EES1T_IbLb0EEEEDaS1P_S1Q_EUlS1P_E_NS1_11comp_targetILNS1_3genE4ELNS1_11target_archE910ELNS1_3gpuE8ELNS1_3repE0EEENS1_30default_config_static_selectorELNS0_4arch9wavefront6targetE1EEEvS12_.kd
    .uniform_work_group_size: 1
    .uses_dynamic_stack: false
    .vgpr_count:     0
    .vgpr_spill_count: 0
    .wavefront_size: 64
  - .args:
      - .offset:         0
        .size:           176
        .value_kind:     by_value
    .group_segment_fixed_size: 0
    .kernarg_segment_align: 8
    .kernarg_segment_size: 176
    .language:       OpenCL C
    .language_version:
      - 2
      - 0
    .max_flat_workgroup_size: 256
    .name:           _ZN7rocprim17ROCPRIM_400000_NS6detail17trampoline_kernelINS0_13select_configILj256ELj13ELNS0_17block_load_methodE3ELS4_3ELS4_3ELNS0_20block_scan_algorithmE0ELj4294967295EEENS1_25partition_config_selectorILNS1_17partition_subalgoE4EjNS0_10empty_typeEbEEZZNS1_14partition_implILS8_4ELb0ES6_15HIP_vector_typeIjLj2EENS0_17counting_iteratorIjlEEPS9_SG_NS0_5tupleIJPjSI_NS0_16reverse_iteratorISI_EEEEENSH_IJSG_SG_SG_EEES9_SI_JZNS1_25segmented_radix_sort_implINS0_14default_configELb1EPKfPfPKlPlN2at6native12_GLOBAL__N_18offset_tEEE10hipError_tPvRmT1_PNSt15iterator_traitsIS12_E10value_typeET2_T3_PNS13_IS18_E10value_typeET4_jRbjT5_S1E_jjP12ihipStream_tbEUljE_ZNSN_ISO_Lb1ESQ_SR_ST_SU_SY_EESZ_S10_S11_S12_S16_S17_S18_S1B_S1C_jS1D_jS1E_S1E_jjS1G_bEUljE0_EEESZ_S10_S11_S18_S1C_S1E_T6_T7_T9_mT8_S1G_bDpT10_ENKUlT_T0_E_clISt17integral_constantIbLb1EES1T_IbLb0EEEEDaS1P_S1Q_EUlS1P_E_NS1_11comp_targetILNS1_3genE3ELNS1_11target_archE908ELNS1_3gpuE7ELNS1_3repE0EEENS1_30default_config_static_selectorELNS0_4arch9wavefront6targetE1EEEvS12_
    .private_segment_fixed_size: 0
    .sgpr_count:     4
    .sgpr_spill_count: 0
    .symbol:         _ZN7rocprim17ROCPRIM_400000_NS6detail17trampoline_kernelINS0_13select_configILj256ELj13ELNS0_17block_load_methodE3ELS4_3ELS4_3ELNS0_20block_scan_algorithmE0ELj4294967295EEENS1_25partition_config_selectorILNS1_17partition_subalgoE4EjNS0_10empty_typeEbEEZZNS1_14partition_implILS8_4ELb0ES6_15HIP_vector_typeIjLj2EENS0_17counting_iteratorIjlEEPS9_SG_NS0_5tupleIJPjSI_NS0_16reverse_iteratorISI_EEEEENSH_IJSG_SG_SG_EEES9_SI_JZNS1_25segmented_radix_sort_implINS0_14default_configELb1EPKfPfPKlPlN2at6native12_GLOBAL__N_18offset_tEEE10hipError_tPvRmT1_PNSt15iterator_traitsIS12_E10value_typeET2_T3_PNS13_IS18_E10value_typeET4_jRbjT5_S1E_jjP12ihipStream_tbEUljE_ZNSN_ISO_Lb1ESQ_SR_ST_SU_SY_EESZ_S10_S11_S12_S16_S17_S18_S1B_S1C_jS1D_jS1E_S1E_jjS1G_bEUljE0_EEESZ_S10_S11_S18_S1C_S1E_T6_T7_T9_mT8_S1G_bDpT10_ENKUlT_T0_E_clISt17integral_constantIbLb1EES1T_IbLb0EEEEDaS1P_S1Q_EUlS1P_E_NS1_11comp_targetILNS1_3genE3ELNS1_11target_archE908ELNS1_3gpuE7ELNS1_3repE0EEENS1_30default_config_static_selectorELNS0_4arch9wavefront6targetE1EEEvS12_.kd
    .uniform_work_group_size: 1
    .uses_dynamic_stack: false
    .vgpr_count:     0
    .vgpr_spill_count: 0
    .wavefront_size: 64
  - .args:
      - .offset:         0
        .size:           176
        .value_kind:     by_value
    .group_segment_fixed_size: 0
    .kernarg_segment_align: 8
    .kernarg_segment_size: 176
    .language:       OpenCL C
    .language_version:
      - 2
      - 0
    .max_flat_workgroup_size: 256
    .name:           _ZN7rocprim17ROCPRIM_400000_NS6detail17trampoline_kernelINS0_13select_configILj256ELj13ELNS0_17block_load_methodE3ELS4_3ELS4_3ELNS0_20block_scan_algorithmE0ELj4294967295EEENS1_25partition_config_selectorILNS1_17partition_subalgoE4EjNS0_10empty_typeEbEEZZNS1_14partition_implILS8_4ELb0ES6_15HIP_vector_typeIjLj2EENS0_17counting_iteratorIjlEEPS9_SG_NS0_5tupleIJPjSI_NS0_16reverse_iteratorISI_EEEEENSH_IJSG_SG_SG_EEES9_SI_JZNS1_25segmented_radix_sort_implINS0_14default_configELb1EPKfPfPKlPlN2at6native12_GLOBAL__N_18offset_tEEE10hipError_tPvRmT1_PNSt15iterator_traitsIS12_E10value_typeET2_T3_PNS13_IS18_E10value_typeET4_jRbjT5_S1E_jjP12ihipStream_tbEUljE_ZNSN_ISO_Lb1ESQ_SR_ST_SU_SY_EESZ_S10_S11_S12_S16_S17_S18_S1B_S1C_jS1D_jS1E_S1E_jjS1G_bEUljE0_EEESZ_S10_S11_S18_S1C_S1E_T6_T7_T9_mT8_S1G_bDpT10_ENKUlT_T0_E_clISt17integral_constantIbLb1EES1T_IbLb0EEEEDaS1P_S1Q_EUlS1P_E_NS1_11comp_targetILNS1_3genE2ELNS1_11target_archE906ELNS1_3gpuE6ELNS1_3repE0EEENS1_30default_config_static_selectorELNS0_4arch9wavefront6targetE1EEEvS12_
    .private_segment_fixed_size: 0
    .sgpr_count:     4
    .sgpr_spill_count: 0
    .symbol:         _ZN7rocprim17ROCPRIM_400000_NS6detail17trampoline_kernelINS0_13select_configILj256ELj13ELNS0_17block_load_methodE3ELS4_3ELS4_3ELNS0_20block_scan_algorithmE0ELj4294967295EEENS1_25partition_config_selectorILNS1_17partition_subalgoE4EjNS0_10empty_typeEbEEZZNS1_14partition_implILS8_4ELb0ES6_15HIP_vector_typeIjLj2EENS0_17counting_iteratorIjlEEPS9_SG_NS0_5tupleIJPjSI_NS0_16reverse_iteratorISI_EEEEENSH_IJSG_SG_SG_EEES9_SI_JZNS1_25segmented_radix_sort_implINS0_14default_configELb1EPKfPfPKlPlN2at6native12_GLOBAL__N_18offset_tEEE10hipError_tPvRmT1_PNSt15iterator_traitsIS12_E10value_typeET2_T3_PNS13_IS18_E10value_typeET4_jRbjT5_S1E_jjP12ihipStream_tbEUljE_ZNSN_ISO_Lb1ESQ_SR_ST_SU_SY_EESZ_S10_S11_S12_S16_S17_S18_S1B_S1C_jS1D_jS1E_S1E_jjS1G_bEUljE0_EEESZ_S10_S11_S18_S1C_S1E_T6_T7_T9_mT8_S1G_bDpT10_ENKUlT_T0_E_clISt17integral_constantIbLb1EES1T_IbLb0EEEEDaS1P_S1Q_EUlS1P_E_NS1_11comp_targetILNS1_3genE2ELNS1_11target_archE906ELNS1_3gpuE6ELNS1_3repE0EEENS1_30default_config_static_selectorELNS0_4arch9wavefront6targetE1EEEvS12_.kd
    .uniform_work_group_size: 1
    .uses_dynamic_stack: false
    .vgpr_count:     0
    .vgpr_spill_count: 0
    .wavefront_size: 64
  - .args:
      - .offset:         0
        .size:           176
        .value_kind:     by_value
    .group_segment_fixed_size: 0
    .kernarg_segment_align: 8
    .kernarg_segment_size: 176
    .language:       OpenCL C
    .language_version:
      - 2
      - 0
    .max_flat_workgroup_size: 256
    .name:           _ZN7rocprim17ROCPRIM_400000_NS6detail17trampoline_kernelINS0_13select_configILj256ELj13ELNS0_17block_load_methodE3ELS4_3ELS4_3ELNS0_20block_scan_algorithmE0ELj4294967295EEENS1_25partition_config_selectorILNS1_17partition_subalgoE4EjNS0_10empty_typeEbEEZZNS1_14partition_implILS8_4ELb0ES6_15HIP_vector_typeIjLj2EENS0_17counting_iteratorIjlEEPS9_SG_NS0_5tupleIJPjSI_NS0_16reverse_iteratorISI_EEEEENSH_IJSG_SG_SG_EEES9_SI_JZNS1_25segmented_radix_sort_implINS0_14default_configELb1EPKfPfPKlPlN2at6native12_GLOBAL__N_18offset_tEEE10hipError_tPvRmT1_PNSt15iterator_traitsIS12_E10value_typeET2_T3_PNS13_IS18_E10value_typeET4_jRbjT5_S1E_jjP12ihipStream_tbEUljE_ZNSN_ISO_Lb1ESQ_SR_ST_SU_SY_EESZ_S10_S11_S12_S16_S17_S18_S1B_S1C_jS1D_jS1E_S1E_jjS1G_bEUljE0_EEESZ_S10_S11_S18_S1C_S1E_T6_T7_T9_mT8_S1G_bDpT10_ENKUlT_T0_E_clISt17integral_constantIbLb1EES1T_IbLb0EEEEDaS1P_S1Q_EUlS1P_E_NS1_11comp_targetILNS1_3genE10ELNS1_11target_archE1200ELNS1_3gpuE4ELNS1_3repE0EEENS1_30default_config_static_selectorELNS0_4arch9wavefront6targetE1EEEvS12_
    .private_segment_fixed_size: 0
    .sgpr_count:     4
    .sgpr_spill_count: 0
    .symbol:         _ZN7rocprim17ROCPRIM_400000_NS6detail17trampoline_kernelINS0_13select_configILj256ELj13ELNS0_17block_load_methodE3ELS4_3ELS4_3ELNS0_20block_scan_algorithmE0ELj4294967295EEENS1_25partition_config_selectorILNS1_17partition_subalgoE4EjNS0_10empty_typeEbEEZZNS1_14partition_implILS8_4ELb0ES6_15HIP_vector_typeIjLj2EENS0_17counting_iteratorIjlEEPS9_SG_NS0_5tupleIJPjSI_NS0_16reverse_iteratorISI_EEEEENSH_IJSG_SG_SG_EEES9_SI_JZNS1_25segmented_radix_sort_implINS0_14default_configELb1EPKfPfPKlPlN2at6native12_GLOBAL__N_18offset_tEEE10hipError_tPvRmT1_PNSt15iterator_traitsIS12_E10value_typeET2_T3_PNS13_IS18_E10value_typeET4_jRbjT5_S1E_jjP12ihipStream_tbEUljE_ZNSN_ISO_Lb1ESQ_SR_ST_SU_SY_EESZ_S10_S11_S12_S16_S17_S18_S1B_S1C_jS1D_jS1E_S1E_jjS1G_bEUljE0_EEESZ_S10_S11_S18_S1C_S1E_T6_T7_T9_mT8_S1G_bDpT10_ENKUlT_T0_E_clISt17integral_constantIbLb1EES1T_IbLb0EEEEDaS1P_S1Q_EUlS1P_E_NS1_11comp_targetILNS1_3genE10ELNS1_11target_archE1200ELNS1_3gpuE4ELNS1_3repE0EEENS1_30default_config_static_selectorELNS0_4arch9wavefront6targetE1EEEvS12_.kd
    .uniform_work_group_size: 1
    .uses_dynamic_stack: false
    .vgpr_count:     0
    .vgpr_spill_count: 0
    .wavefront_size: 64
  - .args:
      - .offset:         0
        .size:           176
        .value_kind:     by_value
    .group_segment_fixed_size: 0
    .kernarg_segment_align: 8
    .kernarg_segment_size: 176
    .language:       OpenCL C
    .language_version:
      - 2
      - 0
    .max_flat_workgroup_size: 256
    .name:           _ZN7rocprim17ROCPRIM_400000_NS6detail17trampoline_kernelINS0_13select_configILj256ELj13ELNS0_17block_load_methodE3ELS4_3ELS4_3ELNS0_20block_scan_algorithmE0ELj4294967295EEENS1_25partition_config_selectorILNS1_17partition_subalgoE4EjNS0_10empty_typeEbEEZZNS1_14partition_implILS8_4ELb0ES6_15HIP_vector_typeIjLj2EENS0_17counting_iteratorIjlEEPS9_SG_NS0_5tupleIJPjSI_NS0_16reverse_iteratorISI_EEEEENSH_IJSG_SG_SG_EEES9_SI_JZNS1_25segmented_radix_sort_implINS0_14default_configELb1EPKfPfPKlPlN2at6native12_GLOBAL__N_18offset_tEEE10hipError_tPvRmT1_PNSt15iterator_traitsIS12_E10value_typeET2_T3_PNS13_IS18_E10value_typeET4_jRbjT5_S1E_jjP12ihipStream_tbEUljE_ZNSN_ISO_Lb1ESQ_SR_ST_SU_SY_EESZ_S10_S11_S12_S16_S17_S18_S1B_S1C_jS1D_jS1E_S1E_jjS1G_bEUljE0_EEESZ_S10_S11_S18_S1C_S1E_T6_T7_T9_mT8_S1G_bDpT10_ENKUlT_T0_E_clISt17integral_constantIbLb1EES1T_IbLb0EEEEDaS1P_S1Q_EUlS1P_E_NS1_11comp_targetILNS1_3genE9ELNS1_11target_archE1100ELNS1_3gpuE3ELNS1_3repE0EEENS1_30default_config_static_selectorELNS0_4arch9wavefront6targetE1EEEvS12_
    .private_segment_fixed_size: 0
    .sgpr_count:     4
    .sgpr_spill_count: 0
    .symbol:         _ZN7rocprim17ROCPRIM_400000_NS6detail17trampoline_kernelINS0_13select_configILj256ELj13ELNS0_17block_load_methodE3ELS4_3ELS4_3ELNS0_20block_scan_algorithmE0ELj4294967295EEENS1_25partition_config_selectorILNS1_17partition_subalgoE4EjNS0_10empty_typeEbEEZZNS1_14partition_implILS8_4ELb0ES6_15HIP_vector_typeIjLj2EENS0_17counting_iteratorIjlEEPS9_SG_NS0_5tupleIJPjSI_NS0_16reverse_iteratorISI_EEEEENSH_IJSG_SG_SG_EEES9_SI_JZNS1_25segmented_radix_sort_implINS0_14default_configELb1EPKfPfPKlPlN2at6native12_GLOBAL__N_18offset_tEEE10hipError_tPvRmT1_PNSt15iterator_traitsIS12_E10value_typeET2_T3_PNS13_IS18_E10value_typeET4_jRbjT5_S1E_jjP12ihipStream_tbEUljE_ZNSN_ISO_Lb1ESQ_SR_ST_SU_SY_EESZ_S10_S11_S12_S16_S17_S18_S1B_S1C_jS1D_jS1E_S1E_jjS1G_bEUljE0_EEESZ_S10_S11_S18_S1C_S1E_T6_T7_T9_mT8_S1G_bDpT10_ENKUlT_T0_E_clISt17integral_constantIbLb1EES1T_IbLb0EEEEDaS1P_S1Q_EUlS1P_E_NS1_11comp_targetILNS1_3genE9ELNS1_11target_archE1100ELNS1_3gpuE3ELNS1_3repE0EEENS1_30default_config_static_selectorELNS0_4arch9wavefront6targetE1EEEvS12_.kd
    .uniform_work_group_size: 1
    .uses_dynamic_stack: false
    .vgpr_count:     0
    .vgpr_spill_count: 0
    .wavefront_size: 64
  - .args:
      - .offset:         0
        .size:           176
        .value_kind:     by_value
    .group_segment_fixed_size: 0
    .kernarg_segment_align: 8
    .kernarg_segment_size: 176
    .language:       OpenCL C
    .language_version:
      - 2
      - 0
    .max_flat_workgroup_size: 256
    .name:           _ZN7rocprim17ROCPRIM_400000_NS6detail17trampoline_kernelINS0_13select_configILj256ELj13ELNS0_17block_load_methodE3ELS4_3ELS4_3ELNS0_20block_scan_algorithmE0ELj4294967295EEENS1_25partition_config_selectorILNS1_17partition_subalgoE4EjNS0_10empty_typeEbEEZZNS1_14partition_implILS8_4ELb0ES6_15HIP_vector_typeIjLj2EENS0_17counting_iteratorIjlEEPS9_SG_NS0_5tupleIJPjSI_NS0_16reverse_iteratorISI_EEEEENSH_IJSG_SG_SG_EEES9_SI_JZNS1_25segmented_radix_sort_implINS0_14default_configELb1EPKfPfPKlPlN2at6native12_GLOBAL__N_18offset_tEEE10hipError_tPvRmT1_PNSt15iterator_traitsIS12_E10value_typeET2_T3_PNS13_IS18_E10value_typeET4_jRbjT5_S1E_jjP12ihipStream_tbEUljE_ZNSN_ISO_Lb1ESQ_SR_ST_SU_SY_EESZ_S10_S11_S12_S16_S17_S18_S1B_S1C_jS1D_jS1E_S1E_jjS1G_bEUljE0_EEESZ_S10_S11_S18_S1C_S1E_T6_T7_T9_mT8_S1G_bDpT10_ENKUlT_T0_E_clISt17integral_constantIbLb1EES1T_IbLb0EEEEDaS1P_S1Q_EUlS1P_E_NS1_11comp_targetILNS1_3genE8ELNS1_11target_archE1030ELNS1_3gpuE2ELNS1_3repE0EEENS1_30default_config_static_selectorELNS0_4arch9wavefront6targetE1EEEvS12_
    .private_segment_fixed_size: 0
    .sgpr_count:     4
    .sgpr_spill_count: 0
    .symbol:         _ZN7rocprim17ROCPRIM_400000_NS6detail17trampoline_kernelINS0_13select_configILj256ELj13ELNS0_17block_load_methodE3ELS4_3ELS4_3ELNS0_20block_scan_algorithmE0ELj4294967295EEENS1_25partition_config_selectorILNS1_17partition_subalgoE4EjNS0_10empty_typeEbEEZZNS1_14partition_implILS8_4ELb0ES6_15HIP_vector_typeIjLj2EENS0_17counting_iteratorIjlEEPS9_SG_NS0_5tupleIJPjSI_NS0_16reverse_iteratorISI_EEEEENSH_IJSG_SG_SG_EEES9_SI_JZNS1_25segmented_radix_sort_implINS0_14default_configELb1EPKfPfPKlPlN2at6native12_GLOBAL__N_18offset_tEEE10hipError_tPvRmT1_PNSt15iterator_traitsIS12_E10value_typeET2_T3_PNS13_IS18_E10value_typeET4_jRbjT5_S1E_jjP12ihipStream_tbEUljE_ZNSN_ISO_Lb1ESQ_SR_ST_SU_SY_EESZ_S10_S11_S12_S16_S17_S18_S1B_S1C_jS1D_jS1E_S1E_jjS1G_bEUljE0_EEESZ_S10_S11_S18_S1C_S1E_T6_T7_T9_mT8_S1G_bDpT10_ENKUlT_T0_E_clISt17integral_constantIbLb1EES1T_IbLb0EEEEDaS1P_S1Q_EUlS1P_E_NS1_11comp_targetILNS1_3genE8ELNS1_11target_archE1030ELNS1_3gpuE2ELNS1_3repE0EEENS1_30default_config_static_selectorELNS0_4arch9wavefront6targetE1EEEvS12_.kd
    .uniform_work_group_size: 1
    .uses_dynamic_stack: false
    .vgpr_count:     0
    .vgpr_spill_count: 0
    .wavefront_size: 64
  - .args:
      - .offset:         0
        .size:           184
        .value_kind:     by_value
    .group_segment_fixed_size: 0
    .kernarg_segment_align: 8
    .kernarg_segment_size: 184
    .language:       OpenCL C
    .language_version:
      - 2
      - 0
    .max_flat_workgroup_size: 256
    .name:           _ZN7rocprim17ROCPRIM_400000_NS6detail17trampoline_kernelINS0_13select_configILj256ELj13ELNS0_17block_load_methodE3ELS4_3ELS4_3ELNS0_20block_scan_algorithmE0ELj4294967295EEENS1_25partition_config_selectorILNS1_17partition_subalgoE4EjNS0_10empty_typeEbEEZZNS1_14partition_implILS8_4ELb0ES6_15HIP_vector_typeIjLj2EENS0_17counting_iteratorIjlEEPS9_SG_NS0_5tupleIJPjSI_NS0_16reverse_iteratorISI_EEEEENSH_IJSG_SG_SG_EEES9_SI_JZNS1_25segmented_radix_sort_implINS0_14default_configELb1EPKfPfPKlPlN2at6native12_GLOBAL__N_18offset_tEEE10hipError_tPvRmT1_PNSt15iterator_traitsIS12_E10value_typeET2_T3_PNS13_IS18_E10value_typeET4_jRbjT5_S1E_jjP12ihipStream_tbEUljE_ZNSN_ISO_Lb1ESQ_SR_ST_SU_SY_EESZ_S10_S11_S12_S16_S17_S18_S1B_S1C_jS1D_jS1E_S1E_jjS1G_bEUljE0_EEESZ_S10_S11_S18_S1C_S1E_T6_T7_T9_mT8_S1G_bDpT10_ENKUlT_T0_E_clISt17integral_constantIbLb0EES1T_IbLb1EEEEDaS1P_S1Q_EUlS1P_E_NS1_11comp_targetILNS1_3genE0ELNS1_11target_archE4294967295ELNS1_3gpuE0ELNS1_3repE0EEENS1_30default_config_static_selectorELNS0_4arch9wavefront6targetE1EEEvS12_
    .private_segment_fixed_size: 0
    .sgpr_count:     4
    .sgpr_spill_count: 0
    .symbol:         _ZN7rocprim17ROCPRIM_400000_NS6detail17trampoline_kernelINS0_13select_configILj256ELj13ELNS0_17block_load_methodE3ELS4_3ELS4_3ELNS0_20block_scan_algorithmE0ELj4294967295EEENS1_25partition_config_selectorILNS1_17partition_subalgoE4EjNS0_10empty_typeEbEEZZNS1_14partition_implILS8_4ELb0ES6_15HIP_vector_typeIjLj2EENS0_17counting_iteratorIjlEEPS9_SG_NS0_5tupleIJPjSI_NS0_16reverse_iteratorISI_EEEEENSH_IJSG_SG_SG_EEES9_SI_JZNS1_25segmented_radix_sort_implINS0_14default_configELb1EPKfPfPKlPlN2at6native12_GLOBAL__N_18offset_tEEE10hipError_tPvRmT1_PNSt15iterator_traitsIS12_E10value_typeET2_T3_PNS13_IS18_E10value_typeET4_jRbjT5_S1E_jjP12ihipStream_tbEUljE_ZNSN_ISO_Lb1ESQ_SR_ST_SU_SY_EESZ_S10_S11_S12_S16_S17_S18_S1B_S1C_jS1D_jS1E_S1E_jjS1G_bEUljE0_EEESZ_S10_S11_S18_S1C_S1E_T6_T7_T9_mT8_S1G_bDpT10_ENKUlT_T0_E_clISt17integral_constantIbLb0EES1T_IbLb1EEEEDaS1P_S1Q_EUlS1P_E_NS1_11comp_targetILNS1_3genE0ELNS1_11target_archE4294967295ELNS1_3gpuE0ELNS1_3repE0EEENS1_30default_config_static_selectorELNS0_4arch9wavefront6targetE1EEEvS12_.kd
    .uniform_work_group_size: 1
    .uses_dynamic_stack: false
    .vgpr_count:     0
    .vgpr_spill_count: 0
    .wavefront_size: 64
  - .args:
      - .offset:         0
        .size:           184
        .value_kind:     by_value
    .group_segment_fixed_size: 0
    .kernarg_segment_align: 8
    .kernarg_segment_size: 184
    .language:       OpenCL C
    .language_version:
      - 2
      - 0
    .max_flat_workgroup_size: 256
    .name:           _ZN7rocprim17ROCPRIM_400000_NS6detail17trampoline_kernelINS0_13select_configILj256ELj13ELNS0_17block_load_methodE3ELS4_3ELS4_3ELNS0_20block_scan_algorithmE0ELj4294967295EEENS1_25partition_config_selectorILNS1_17partition_subalgoE4EjNS0_10empty_typeEbEEZZNS1_14partition_implILS8_4ELb0ES6_15HIP_vector_typeIjLj2EENS0_17counting_iteratorIjlEEPS9_SG_NS0_5tupleIJPjSI_NS0_16reverse_iteratorISI_EEEEENSH_IJSG_SG_SG_EEES9_SI_JZNS1_25segmented_radix_sort_implINS0_14default_configELb1EPKfPfPKlPlN2at6native12_GLOBAL__N_18offset_tEEE10hipError_tPvRmT1_PNSt15iterator_traitsIS12_E10value_typeET2_T3_PNS13_IS18_E10value_typeET4_jRbjT5_S1E_jjP12ihipStream_tbEUljE_ZNSN_ISO_Lb1ESQ_SR_ST_SU_SY_EESZ_S10_S11_S12_S16_S17_S18_S1B_S1C_jS1D_jS1E_S1E_jjS1G_bEUljE0_EEESZ_S10_S11_S18_S1C_S1E_T6_T7_T9_mT8_S1G_bDpT10_ENKUlT_T0_E_clISt17integral_constantIbLb0EES1T_IbLb1EEEEDaS1P_S1Q_EUlS1P_E_NS1_11comp_targetILNS1_3genE5ELNS1_11target_archE942ELNS1_3gpuE9ELNS1_3repE0EEENS1_30default_config_static_selectorELNS0_4arch9wavefront6targetE1EEEvS12_
    .private_segment_fixed_size: 0
    .sgpr_count:     4
    .sgpr_spill_count: 0
    .symbol:         _ZN7rocprim17ROCPRIM_400000_NS6detail17trampoline_kernelINS0_13select_configILj256ELj13ELNS0_17block_load_methodE3ELS4_3ELS4_3ELNS0_20block_scan_algorithmE0ELj4294967295EEENS1_25partition_config_selectorILNS1_17partition_subalgoE4EjNS0_10empty_typeEbEEZZNS1_14partition_implILS8_4ELb0ES6_15HIP_vector_typeIjLj2EENS0_17counting_iteratorIjlEEPS9_SG_NS0_5tupleIJPjSI_NS0_16reverse_iteratorISI_EEEEENSH_IJSG_SG_SG_EEES9_SI_JZNS1_25segmented_radix_sort_implINS0_14default_configELb1EPKfPfPKlPlN2at6native12_GLOBAL__N_18offset_tEEE10hipError_tPvRmT1_PNSt15iterator_traitsIS12_E10value_typeET2_T3_PNS13_IS18_E10value_typeET4_jRbjT5_S1E_jjP12ihipStream_tbEUljE_ZNSN_ISO_Lb1ESQ_SR_ST_SU_SY_EESZ_S10_S11_S12_S16_S17_S18_S1B_S1C_jS1D_jS1E_S1E_jjS1G_bEUljE0_EEESZ_S10_S11_S18_S1C_S1E_T6_T7_T9_mT8_S1G_bDpT10_ENKUlT_T0_E_clISt17integral_constantIbLb0EES1T_IbLb1EEEEDaS1P_S1Q_EUlS1P_E_NS1_11comp_targetILNS1_3genE5ELNS1_11target_archE942ELNS1_3gpuE9ELNS1_3repE0EEENS1_30default_config_static_selectorELNS0_4arch9wavefront6targetE1EEEvS12_.kd
    .uniform_work_group_size: 1
    .uses_dynamic_stack: false
    .vgpr_count:     0
    .vgpr_spill_count: 0
    .wavefront_size: 64
  - .args:
      - .offset:         0
        .size:           184
        .value_kind:     by_value
    .group_segment_fixed_size: 0
    .kernarg_segment_align: 8
    .kernarg_segment_size: 184
    .language:       OpenCL C
    .language_version:
      - 2
      - 0
    .max_flat_workgroup_size: 256
    .name:           _ZN7rocprim17ROCPRIM_400000_NS6detail17trampoline_kernelINS0_13select_configILj256ELj13ELNS0_17block_load_methodE3ELS4_3ELS4_3ELNS0_20block_scan_algorithmE0ELj4294967295EEENS1_25partition_config_selectorILNS1_17partition_subalgoE4EjNS0_10empty_typeEbEEZZNS1_14partition_implILS8_4ELb0ES6_15HIP_vector_typeIjLj2EENS0_17counting_iteratorIjlEEPS9_SG_NS0_5tupleIJPjSI_NS0_16reverse_iteratorISI_EEEEENSH_IJSG_SG_SG_EEES9_SI_JZNS1_25segmented_radix_sort_implINS0_14default_configELb1EPKfPfPKlPlN2at6native12_GLOBAL__N_18offset_tEEE10hipError_tPvRmT1_PNSt15iterator_traitsIS12_E10value_typeET2_T3_PNS13_IS18_E10value_typeET4_jRbjT5_S1E_jjP12ihipStream_tbEUljE_ZNSN_ISO_Lb1ESQ_SR_ST_SU_SY_EESZ_S10_S11_S12_S16_S17_S18_S1B_S1C_jS1D_jS1E_S1E_jjS1G_bEUljE0_EEESZ_S10_S11_S18_S1C_S1E_T6_T7_T9_mT8_S1G_bDpT10_ENKUlT_T0_E_clISt17integral_constantIbLb0EES1T_IbLb1EEEEDaS1P_S1Q_EUlS1P_E_NS1_11comp_targetILNS1_3genE4ELNS1_11target_archE910ELNS1_3gpuE8ELNS1_3repE0EEENS1_30default_config_static_selectorELNS0_4arch9wavefront6targetE1EEEvS12_
    .private_segment_fixed_size: 0
    .sgpr_count:     4
    .sgpr_spill_count: 0
    .symbol:         _ZN7rocprim17ROCPRIM_400000_NS6detail17trampoline_kernelINS0_13select_configILj256ELj13ELNS0_17block_load_methodE3ELS4_3ELS4_3ELNS0_20block_scan_algorithmE0ELj4294967295EEENS1_25partition_config_selectorILNS1_17partition_subalgoE4EjNS0_10empty_typeEbEEZZNS1_14partition_implILS8_4ELb0ES6_15HIP_vector_typeIjLj2EENS0_17counting_iteratorIjlEEPS9_SG_NS0_5tupleIJPjSI_NS0_16reverse_iteratorISI_EEEEENSH_IJSG_SG_SG_EEES9_SI_JZNS1_25segmented_radix_sort_implINS0_14default_configELb1EPKfPfPKlPlN2at6native12_GLOBAL__N_18offset_tEEE10hipError_tPvRmT1_PNSt15iterator_traitsIS12_E10value_typeET2_T3_PNS13_IS18_E10value_typeET4_jRbjT5_S1E_jjP12ihipStream_tbEUljE_ZNSN_ISO_Lb1ESQ_SR_ST_SU_SY_EESZ_S10_S11_S12_S16_S17_S18_S1B_S1C_jS1D_jS1E_S1E_jjS1G_bEUljE0_EEESZ_S10_S11_S18_S1C_S1E_T6_T7_T9_mT8_S1G_bDpT10_ENKUlT_T0_E_clISt17integral_constantIbLb0EES1T_IbLb1EEEEDaS1P_S1Q_EUlS1P_E_NS1_11comp_targetILNS1_3genE4ELNS1_11target_archE910ELNS1_3gpuE8ELNS1_3repE0EEENS1_30default_config_static_selectorELNS0_4arch9wavefront6targetE1EEEvS12_.kd
    .uniform_work_group_size: 1
    .uses_dynamic_stack: false
    .vgpr_count:     0
    .vgpr_spill_count: 0
    .wavefront_size: 64
  - .args:
      - .offset:         0
        .size:           184
        .value_kind:     by_value
    .group_segment_fixed_size: 0
    .kernarg_segment_align: 8
    .kernarg_segment_size: 184
    .language:       OpenCL C
    .language_version:
      - 2
      - 0
    .max_flat_workgroup_size: 256
    .name:           _ZN7rocprim17ROCPRIM_400000_NS6detail17trampoline_kernelINS0_13select_configILj256ELj13ELNS0_17block_load_methodE3ELS4_3ELS4_3ELNS0_20block_scan_algorithmE0ELj4294967295EEENS1_25partition_config_selectorILNS1_17partition_subalgoE4EjNS0_10empty_typeEbEEZZNS1_14partition_implILS8_4ELb0ES6_15HIP_vector_typeIjLj2EENS0_17counting_iteratorIjlEEPS9_SG_NS0_5tupleIJPjSI_NS0_16reverse_iteratorISI_EEEEENSH_IJSG_SG_SG_EEES9_SI_JZNS1_25segmented_radix_sort_implINS0_14default_configELb1EPKfPfPKlPlN2at6native12_GLOBAL__N_18offset_tEEE10hipError_tPvRmT1_PNSt15iterator_traitsIS12_E10value_typeET2_T3_PNS13_IS18_E10value_typeET4_jRbjT5_S1E_jjP12ihipStream_tbEUljE_ZNSN_ISO_Lb1ESQ_SR_ST_SU_SY_EESZ_S10_S11_S12_S16_S17_S18_S1B_S1C_jS1D_jS1E_S1E_jjS1G_bEUljE0_EEESZ_S10_S11_S18_S1C_S1E_T6_T7_T9_mT8_S1G_bDpT10_ENKUlT_T0_E_clISt17integral_constantIbLb0EES1T_IbLb1EEEEDaS1P_S1Q_EUlS1P_E_NS1_11comp_targetILNS1_3genE3ELNS1_11target_archE908ELNS1_3gpuE7ELNS1_3repE0EEENS1_30default_config_static_selectorELNS0_4arch9wavefront6targetE1EEEvS12_
    .private_segment_fixed_size: 0
    .sgpr_count:     4
    .sgpr_spill_count: 0
    .symbol:         _ZN7rocprim17ROCPRIM_400000_NS6detail17trampoline_kernelINS0_13select_configILj256ELj13ELNS0_17block_load_methodE3ELS4_3ELS4_3ELNS0_20block_scan_algorithmE0ELj4294967295EEENS1_25partition_config_selectorILNS1_17partition_subalgoE4EjNS0_10empty_typeEbEEZZNS1_14partition_implILS8_4ELb0ES6_15HIP_vector_typeIjLj2EENS0_17counting_iteratorIjlEEPS9_SG_NS0_5tupleIJPjSI_NS0_16reverse_iteratorISI_EEEEENSH_IJSG_SG_SG_EEES9_SI_JZNS1_25segmented_radix_sort_implINS0_14default_configELb1EPKfPfPKlPlN2at6native12_GLOBAL__N_18offset_tEEE10hipError_tPvRmT1_PNSt15iterator_traitsIS12_E10value_typeET2_T3_PNS13_IS18_E10value_typeET4_jRbjT5_S1E_jjP12ihipStream_tbEUljE_ZNSN_ISO_Lb1ESQ_SR_ST_SU_SY_EESZ_S10_S11_S12_S16_S17_S18_S1B_S1C_jS1D_jS1E_S1E_jjS1G_bEUljE0_EEESZ_S10_S11_S18_S1C_S1E_T6_T7_T9_mT8_S1G_bDpT10_ENKUlT_T0_E_clISt17integral_constantIbLb0EES1T_IbLb1EEEEDaS1P_S1Q_EUlS1P_E_NS1_11comp_targetILNS1_3genE3ELNS1_11target_archE908ELNS1_3gpuE7ELNS1_3repE0EEENS1_30default_config_static_selectorELNS0_4arch9wavefront6targetE1EEEvS12_.kd
    .uniform_work_group_size: 1
    .uses_dynamic_stack: false
    .vgpr_count:     0
    .vgpr_spill_count: 0
    .wavefront_size: 64
  - .args:
      - .offset:         0
        .size:           184
        .value_kind:     by_value
    .group_segment_fixed_size: 13328
    .kernarg_segment_align: 8
    .kernarg_segment_size: 184
    .language:       OpenCL C
    .language_version:
      - 2
      - 0
    .max_flat_workgroup_size: 256
    .name:           _ZN7rocprim17ROCPRIM_400000_NS6detail17trampoline_kernelINS0_13select_configILj256ELj13ELNS0_17block_load_methodE3ELS4_3ELS4_3ELNS0_20block_scan_algorithmE0ELj4294967295EEENS1_25partition_config_selectorILNS1_17partition_subalgoE4EjNS0_10empty_typeEbEEZZNS1_14partition_implILS8_4ELb0ES6_15HIP_vector_typeIjLj2EENS0_17counting_iteratorIjlEEPS9_SG_NS0_5tupleIJPjSI_NS0_16reverse_iteratorISI_EEEEENSH_IJSG_SG_SG_EEES9_SI_JZNS1_25segmented_radix_sort_implINS0_14default_configELb1EPKfPfPKlPlN2at6native12_GLOBAL__N_18offset_tEEE10hipError_tPvRmT1_PNSt15iterator_traitsIS12_E10value_typeET2_T3_PNS13_IS18_E10value_typeET4_jRbjT5_S1E_jjP12ihipStream_tbEUljE_ZNSN_ISO_Lb1ESQ_SR_ST_SU_SY_EESZ_S10_S11_S12_S16_S17_S18_S1B_S1C_jS1D_jS1E_S1E_jjS1G_bEUljE0_EEESZ_S10_S11_S18_S1C_S1E_T6_T7_T9_mT8_S1G_bDpT10_ENKUlT_T0_E_clISt17integral_constantIbLb0EES1T_IbLb1EEEEDaS1P_S1Q_EUlS1P_E_NS1_11comp_targetILNS1_3genE2ELNS1_11target_archE906ELNS1_3gpuE6ELNS1_3repE0EEENS1_30default_config_static_selectorELNS0_4arch9wavefront6targetE1EEEvS12_
    .private_segment_fixed_size: 0
    .sgpr_count:     91
    .sgpr_spill_count: 0
    .symbol:         _ZN7rocprim17ROCPRIM_400000_NS6detail17trampoline_kernelINS0_13select_configILj256ELj13ELNS0_17block_load_methodE3ELS4_3ELS4_3ELNS0_20block_scan_algorithmE0ELj4294967295EEENS1_25partition_config_selectorILNS1_17partition_subalgoE4EjNS0_10empty_typeEbEEZZNS1_14partition_implILS8_4ELb0ES6_15HIP_vector_typeIjLj2EENS0_17counting_iteratorIjlEEPS9_SG_NS0_5tupleIJPjSI_NS0_16reverse_iteratorISI_EEEEENSH_IJSG_SG_SG_EEES9_SI_JZNS1_25segmented_radix_sort_implINS0_14default_configELb1EPKfPfPKlPlN2at6native12_GLOBAL__N_18offset_tEEE10hipError_tPvRmT1_PNSt15iterator_traitsIS12_E10value_typeET2_T3_PNS13_IS18_E10value_typeET4_jRbjT5_S1E_jjP12ihipStream_tbEUljE_ZNSN_ISO_Lb1ESQ_SR_ST_SU_SY_EESZ_S10_S11_S12_S16_S17_S18_S1B_S1C_jS1D_jS1E_S1E_jjS1G_bEUljE0_EEESZ_S10_S11_S18_S1C_S1E_T6_T7_T9_mT8_S1G_bDpT10_ENKUlT_T0_E_clISt17integral_constantIbLb0EES1T_IbLb1EEEEDaS1P_S1Q_EUlS1P_E_NS1_11comp_targetILNS1_3genE2ELNS1_11target_archE906ELNS1_3gpuE6ELNS1_3repE0EEENS1_30default_config_static_selectorELNS0_4arch9wavefront6targetE1EEEvS12_.kd
    .uniform_work_group_size: 1
    .uses_dynamic_stack: false
    .vgpr_count:     91
    .vgpr_spill_count: 0
    .wavefront_size: 64
  - .args:
      - .offset:         0
        .size:           184
        .value_kind:     by_value
    .group_segment_fixed_size: 0
    .kernarg_segment_align: 8
    .kernarg_segment_size: 184
    .language:       OpenCL C
    .language_version:
      - 2
      - 0
    .max_flat_workgroup_size: 256
    .name:           _ZN7rocprim17ROCPRIM_400000_NS6detail17trampoline_kernelINS0_13select_configILj256ELj13ELNS0_17block_load_methodE3ELS4_3ELS4_3ELNS0_20block_scan_algorithmE0ELj4294967295EEENS1_25partition_config_selectorILNS1_17partition_subalgoE4EjNS0_10empty_typeEbEEZZNS1_14partition_implILS8_4ELb0ES6_15HIP_vector_typeIjLj2EENS0_17counting_iteratorIjlEEPS9_SG_NS0_5tupleIJPjSI_NS0_16reverse_iteratorISI_EEEEENSH_IJSG_SG_SG_EEES9_SI_JZNS1_25segmented_radix_sort_implINS0_14default_configELb1EPKfPfPKlPlN2at6native12_GLOBAL__N_18offset_tEEE10hipError_tPvRmT1_PNSt15iterator_traitsIS12_E10value_typeET2_T3_PNS13_IS18_E10value_typeET4_jRbjT5_S1E_jjP12ihipStream_tbEUljE_ZNSN_ISO_Lb1ESQ_SR_ST_SU_SY_EESZ_S10_S11_S12_S16_S17_S18_S1B_S1C_jS1D_jS1E_S1E_jjS1G_bEUljE0_EEESZ_S10_S11_S18_S1C_S1E_T6_T7_T9_mT8_S1G_bDpT10_ENKUlT_T0_E_clISt17integral_constantIbLb0EES1T_IbLb1EEEEDaS1P_S1Q_EUlS1P_E_NS1_11comp_targetILNS1_3genE10ELNS1_11target_archE1200ELNS1_3gpuE4ELNS1_3repE0EEENS1_30default_config_static_selectorELNS0_4arch9wavefront6targetE1EEEvS12_
    .private_segment_fixed_size: 0
    .sgpr_count:     4
    .sgpr_spill_count: 0
    .symbol:         _ZN7rocprim17ROCPRIM_400000_NS6detail17trampoline_kernelINS0_13select_configILj256ELj13ELNS0_17block_load_methodE3ELS4_3ELS4_3ELNS0_20block_scan_algorithmE0ELj4294967295EEENS1_25partition_config_selectorILNS1_17partition_subalgoE4EjNS0_10empty_typeEbEEZZNS1_14partition_implILS8_4ELb0ES6_15HIP_vector_typeIjLj2EENS0_17counting_iteratorIjlEEPS9_SG_NS0_5tupleIJPjSI_NS0_16reverse_iteratorISI_EEEEENSH_IJSG_SG_SG_EEES9_SI_JZNS1_25segmented_radix_sort_implINS0_14default_configELb1EPKfPfPKlPlN2at6native12_GLOBAL__N_18offset_tEEE10hipError_tPvRmT1_PNSt15iterator_traitsIS12_E10value_typeET2_T3_PNS13_IS18_E10value_typeET4_jRbjT5_S1E_jjP12ihipStream_tbEUljE_ZNSN_ISO_Lb1ESQ_SR_ST_SU_SY_EESZ_S10_S11_S12_S16_S17_S18_S1B_S1C_jS1D_jS1E_S1E_jjS1G_bEUljE0_EEESZ_S10_S11_S18_S1C_S1E_T6_T7_T9_mT8_S1G_bDpT10_ENKUlT_T0_E_clISt17integral_constantIbLb0EES1T_IbLb1EEEEDaS1P_S1Q_EUlS1P_E_NS1_11comp_targetILNS1_3genE10ELNS1_11target_archE1200ELNS1_3gpuE4ELNS1_3repE0EEENS1_30default_config_static_selectorELNS0_4arch9wavefront6targetE1EEEvS12_.kd
    .uniform_work_group_size: 1
    .uses_dynamic_stack: false
    .vgpr_count:     0
    .vgpr_spill_count: 0
    .wavefront_size: 64
  - .args:
      - .offset:         0
        .size:           184
        .value_kind:     by_value
    .group_segment_fixed_size: 0
    .kernarg_segment_align: 8
    .kernarg_segment_size: 184
    .language:       OpenCL C
    .language_version:
      - 2
      - 0
    .max_flat_workgroup_size: 256
    .name:           _ZN7rocprim17ROCPRIM_400000_NS6detail17trampoline_kernelINS0_13select_configILj256ELj13ELNS0_17block_load_methodE3ELS4_3ELS4_3ELNS0_20block_scan_algorithmE0ELj4294967295EEENS1_25partition_config_selectorILNS1_17partition_subalgoE4EjNS0_10empty_typeEbEEZZNS1_14partition_implILS8_4ELb0ES6_15HIP_vector_typeIjLj2EENS0_17counting_iteratorIjlEEPS9_SG_NS0_5tupleIJPjSI_NS0_16reverse_iteratorISI_EEEEENSH_IJSG_SG_SG_EEES9_SI_JZNS1_25segmented_radix_sort_implINS0_14default_configELb1EPKfPfPKlPlN2at6native12_GLOBAL__N_18offset_tEEE10hipError_tPvRmT1_PNSt15iterator_traitsIS12_E10value_typeET2_T3_PNS13_IS18_E10value_typeET4_jRbjT5_S1E_jjP12ihipStream_tbEUljE_ZNSN_ISO_Lb1ESQ_SR_ST_SU_SY_EESZ_S10_S11_S12_S16_S17_S18_S1B_S1C_jS1D_jS1E_S1E_jjS1G_bEUljE0_EEESZ_S10_S11_S18_S1C_S1E_T6_T7_T9_mT8_S1G_bDpT10_ENKUlT_T0_E_clISt17integral_constantIbLb0EES1T_IbLb1EEEEDaS1P_S1Q_EUlS1P_E_NS1_11comp_targetILNS1_3genE9ELNS1_11target_archE1100ELNS1_3gpuE3ELNS1_3repE0EEENS1_30default_config_static_selectorELNS0_4arch9wavefront6targetE1EEEvS12_
    .private_segment_fixed_size: 0
    .sgpr_count:     4
    .sgpr_spill_count: 0
    .symbol:         _ZN7rocprim17ROCPRIM_400000_NS6detail17trampoline_kernelINS0_13select_configILj256ELj13ELNS0_17block_load_methodE3ELS4_3ELS4_3ELNS0_20block_scan_algorithmE0ELj4294967295EEENS1_25partition_config_selectorILNS1_17partition_subalgoE4EjNS0_10empty_typeEbEEZZNS1_14partition_implILS8_4ELb0ES6_15HIP_vector_typeIjLj2EENS0_17counting_iteratorIjlEEPS9_SG_NS0_5tupleIJPjSI_NS0_16reverse_iteratorISI_EEEEENSH_IJSG_SG_SG_EEES9_SI_JZNS1_25segmented_radix_sort_implINS0_14default_configELb1EPKfPfPKlPlN2at6native12_GLOBAL__N_18offset_tEEE10hipError_tPvRmT1_PNSt15iterator_traitsIS12_E10value_typeET2_T3_PNS13_IS18_E10value_typeET4_jRbjT5_S1E_jjP12ihipStream_tbEUljE_ZNSN_ISO_Lb1ESQ_SR_ST_SU_SY_EESZ_S10_S11_S12_S16_S17_S18_S1B_S1C_jS1D_jS1E_S1E_jjS1G_bEUljE0_EEESZ_S10_S11_S18_S1C_S1E_T6_T7_T9_mT8_S1G_bDpT10_ENKUlT_T0_E_clISt17integral_constantIbLb0EES1T_IbLb1EEEEDaS1P_S1Q_EUlS1P_E_NS1_11comp_targetILNS1_3genE9ELNS1_11target_archE1100ELNS1_3gpuE3ELNS1_3repE0EEENS1_30default_config_static_selectorELNS0_4arch9wavefront6targetE1EEEvS12_.kd
    .uniform_work_group_size: 1
    .uses_dynamic_stack: false
    .vgpr_count:     0
    .vgpr_spill_count: 0
    .wavefront_size: 64
  - .args:
      - .offset:         0
        .size:           184
        .value_kind:     by_value
    .group_segment_fixed_size: 0
    .kernarg_segment_align: 8
    .kernarg_segment_size: 184
    .language:       OpenCL C
    .language_version:
      - 2
      - 0
    .max_flat_workgroup_size: 256
    .name:           _ZN7rocprim17ROCPRIM_400000_NS6detail17trampoline_kernelINS0_13select_configILj256ELj13ELNS0_17block_load_methodE3ELS4_3ELS4_3ELNS0_20block_scan_algorithmE0ELj4294967295EEENS1_25partition_config_selectorILNS1_17partition_subalgoE4EjNS0_10empty_typeEbEEZZNS1_14partition_implILS8_4ELb0ES6_15HIP_vector_typeIjLj2EENS0_17counting_iteratorIjlEEPS9_SG_NS0_5tupleIJPjSI_NS0_16reverse_iteratorISI_EEEEENSH_IJSG_SG_SG_EEES9_SI_JZNS1_25segmented_radix_sort_implINS0_14default_configELb1EPKfPfPKlPlN2at6native12_GLOBAL__N_18offset_tEEE10hipError_tPvRmT1_PNSt15iterator_traitsIS12_E10value_typeET2_T3_PNS13_IS18_E10value_typeET4_jRbjT5_S1E_jjP12ihipStream_tbEUljE_ZNSN_ISO_Lb1ESQ_SR_ST_SU_SY_EESZ_S10_S11_S12_S16_S17_S18_S1B_S1C_jS1D_jS1E_S1E_jjS1G_bEUljE0_EEESZ_S10_S11_S18_S1C_S1E_T6_T7_T9_mT8_S1G_bDpT10_ENKUlT_T0_E_clISt17integral_constantIbLb0EES1T_IbLb1EEEEDaS1P_S1Q_EUlS1P_E_NS1_11comp_targetILNS1_3genE8ELNS1_11target_archE1030ELNS1_3gpuE2ELNS1_3repE0EEENS1_30default_config_static_selectorELNS0_4arch9wavefront6targetE1EEEvS12_
    .private_segment_fixed_size: 0
    .sgpr_count:     4
    .sgpr_spill_count: 0
    .symbol:         _ZN7rocprim17ROCPRIM_400000_NS6detail17trampoline_kernelINS0_13select_configILj256ELj13ELNS0_17block_load_methodE3ELS4_3ELS4_3ELNS0_20block_scan_algorithmE0ELj4294967295EEENS1_25partition_config_selectorILNS1_17partition_subalgoE4EjNS0_10empty_typeEbEEZZNS1_14partition_implILS8_4ELb0ES6_15HIP_vector_typeIjLj2EENS0_17counting_iteratorIjlEEPS9_SG_NS0_5tupleIJPjSI_NS0_16reverse_iteratorISI_EEEEENSH_IJSG_SG_SG_EEES9_SI_JZNS1_25segmented_radix_sort_implINS0_14default_configELb1EPKfPfPKlPlN2at6native12_GLOBAL__N_18offset_tEEE10hipError_tPvRmT1_PNSt15iterator_traitsIS12_E10value_typeET2_T3_PNS13_IS18_E10value_typeET4_jRbjT5_S1E_jjP12ihipStream_tbEUljE_ZNSN_ISO_Lb1ESQ_SR_ST_SU_SY_EESZ_S10_S11_S12_S16_S17_S18_S1B_S1C_jS1D_jS1E_S1E_jjS1G_bEUljE0_EEESZ_S10_S11_S18_S1C_S1E_T6_T7_T9_mT8_S1G_bDpT10_ENKUlT_T0_E_clISt17integral_constantIbLb0EES1T_IbLb1EEEEDaS1P_S1Q_EUlS1P_E_NS1_11comp_targetILNS1_3genE8ELNS1_11target_archE1030ELNS1_3gpuE2ELNS1_3repE0EEENS1_30default_config_static_selectorELNS0_4arch9wavefront6targetE1EEEvS12_.kd
    .uniform_work_group_size: 1
    .uses_dynamic_stack: false
    .vgpr_count:     0
    .vgpr_spill_count: 0
    .wavefront_size: 64
  - .args:
      - .offset:         0
        .size:           144
        .value_kind:     by_value
    .group_segment_fixed_size: 0
    .kernarg_segment_align: 8
    .kernarg_segment_size: 144
    .language:       OpenCL C
    .language_version:
      - 2
      - 0
    .max_flat_workgroup_size: 256
    .name:           _ZN7rocprim17ROCPRIM_400000_NS6detail17trampoline_kernelINS0_13select_configILj256ELj13ELNS0_17block_load_methodE3ELS4_3ELS4_3ELNS0_20block_scan_algorithmE0ELj4294967295EEENS1_25partition_config_selectorILNS1_17partition_subalgoE3EjNS0_10empty_typeEbEEZZNS1_14partition_implILS8_3ELb0ES6_jNS0_17counting_iteratorIjlEEPS9_SE_NS0_5tupleIJPjSE_EEENSF_IJSE_SE_EEES9_SG_JZNS1_25segmented_radix_sort_implINS0_14default_configELb1EPKfPfPKlPlN2at6native12_GLOBAL__N_18offset_tEEE10hipError_tPvRmT1_PNSt15iterator_traitsISY_E10value_typeET2_T3_PNSZ_IS14_E10value_typeET4_jRbjT5_S1A_jjP12ihipStream_tbEUljE_EEESV_SW_SX_S14_S18_S1A_T6_T7_T9_mT8_S1C_bDpT10_ENKUlT_T0_E_clISt17integral_constantIbLb0EES1P_EEDaS1K_S1L_EUlS1K_E_NS1_11comp_targetILNS1_3genE0ELNS1_11target_archE4294967295ELNS1_3gpuE0ELNS1_3repE0EEENS1_30default_config_static_selectorELNS0_4arch9wavefront6targetE1EEEvSY_
    .private_segment_fixed_size: 0
    .sgpr_count:     4
    .sgpr_spill_count: 0
    .symbol:         _ZN7rocprim17ROCPRIM_400000_NS6detail17trampoline_kernelINS0_13select_configILj256ELj13ELNS0_17block_load_methodE3ELS4_3ELS4_3ELNS0_20block_scan_algorithmE0ELj4294967295EEENS1_25partition_config_selectorILNS1_17partition_subalgoE3EjNS0_10empty_typeEbEEZZNS1_14partition_implILS8_3ELb0ES6_jNS0_17counting_iteratorIjlEEPS9_SE_NS0_5tupleIJPjSE_EEENSF_IJSE_SE_EEES9_SG_JZNS1_25segmented_radix_sort_implINS0_14default_configELb1EPKfPfPKlPlN2at6native12_GLOBAL__N_18offset_tEEE10hipError_tPvRmT1_PNSt15iterator_traitsISY_E10value_typeET2_T3_PNSZ_IS14_E10value_typeET4_jRbjT5_S1A_jjP12ihipStream_tbEUljE_EEESV_SW_SX_S14_S18_S1A_T6_T7_T9_mT8_S1C_bDpT10_ENKUlT_T0_E_clISt17integral_constantIbLb0EES1P_EEDaS1K_S1L_EUlS1K_E_NS1_11comp_targetILNS1_3genE0ELNS1_11target_archE4294967295ELNS1_3gpuE0ELNS1_3repE0EEENS1_30default_config_static_selectorELNS0_4arch9wavefront6targetE1EEEvSY_.kd
    .uniform_work_group_size: 1
    .uses_dynamic_stack: false
    .vgpr_count:     0
    .vgpr_spill_count: 0
    .wavefront_size: 64
  - .args:
      - .offset:         0
        .size:           144
        .value_kind:     by_value
    .group_segment_fixed_size: 0
    .kernarg_segment_align: 8
    .kernarg_segment_size: 144
    .language:       OpenCL C
    .language_version:
      - 2
      - 0
    .max_flat_workgroup_size: 256
    .name:           _ZN7rocprim17ROCPRIM_400000_NS6detail17trampoline_kernelINS0_13select_configILj256ELj13ELNS0_17block_load_methodE3ELS4_3ELS4_3ELNS0_20block_scan_algorithmE0ELj4294967295EEENS1_25partition_config_selectorILNS1_17partition_subalgoE3EjNS0_10empty_typeEbEEZZNS1_14partition_implILS8_3ELb0ES6_jNS0_17counting_iteratorIjlEEPS9_SE_NS0_5tupleIJPjSE_EEENSF_IJSE_SE_EEES9_SG_JZNS1_25segmented_radix_sort_implINS0_14default_configELb1EPKfPfPKlPlN2at6native12_GLOBAL__N_18offset_tEEE10hipError_tPvRmT1_PNSt15iterator_traitsISY_E10value_typeET2_T3_PNSZ_IS14_E10value_typeET4_jRbjT5_S1A_jjP12ihipStream_tbEUljE_EEESV_SW_SX_S14_S18_S1A_T6_T7_T9_mT8_S1C_bDpT10_ENKUlT_T0_E_clISt17integral_constantIbLb0EES1P_EEDaS1K_S1L_EUlS1K_E_NS1_11comp_targetILNS1_3genE5ELNS1_11target_archE942ELNS1_3gpuE9ELNS1_3repE0EEENS1_30default_config_static_selectorELNS0_4arch9wavefront6targetE1EEEvSY_
    .private_segment_fixed_size: 0
    .sgpr_count:     4
    .sgpr_spill_count: 0
    .symbol:         _ZN7rocprim17ROCPRIM_400000_NS6detail17trampoline_kernelINS0_13select_configILj256ELj13ELNS0_17block_load_methodE3ELS4_3ELS4_3ELNS0_20block_scan_algorithmE0ELj4294967295EEENS1_25partition_config_selectorILNS1_17partition_subalgoE3EjNS0_10empty_typeEbEEZZNS1_14partition_implILS8_3ELb0ES6_jNS0_17counting_iteratorIjlEEPS9_SE_NS0_5tupleIJPjSE_EEENSF_IJSE_SE_EEES9_SG_JZNS1_25segmented_radix_sort_implINS0_14default_configELb1EPKfPfPKlPlN2at6native12_GLOBAL__N_18offset_tEEE10hipError_tPvRmT1_PNSt15iterator_traitsISY_E10value_typeET2_T3_PNSZ_IS14_E10value_typeET4_jRbjT5_S1A_jjP12ihipStream_tbEUljE_EEESV_SW_SX_S14_S18_S1A_T6_T7_T9_mT8_S1C_bDpT10_ENKUlT_T0_E_clISt17integral_constantIbLb0EES1P_EEDaS1K_S1L_EUlS1K_E_NS1_11comp_targetILNS1_3genE5ELNS1_11target_archE942ELNS1_3gpuE9ELNS1_3repE0EEENS1_30default_config_static_selectorELNS0_4arch9wavefront6targetE1EEEvSY_.kd
    .uniform_work_group_size: 1
    .uses_dynamic_stack: false
    .vgpr_count:     0
    .vgpr_spill_count: 0
    .wavefront_size: 64
  - .args:
      - .offset:         0
        .size:           144
        .value_kind:     by_value
    .group_segment_fixed_size: 0
    .kernarg_segment_align: 8
    .kernarg_segment_size: 144
    .language:       OpenCL C
    .language_version:
      - 2
      - 0
    .max_flat_workgroup_size: 256
    .name:           _ZN7rocprim17ROCPRIM_400000_NS6detail17trampoline_kernelINS0_13select_configILj256ELj13ELNS0_17block_load_methodE3ELS4_3ELS4_3ELNS0_20block_scan_algorithmE0ELj4294967295EEENS1_25partition_config_selectorILNS1_17partition_subalgoE3EjNS0_10empty_typeEbEEZZNS1_14partition_implILS8_3ELb0ES6_jNS0_17counting_iteratorIjlEEPS9_SE_NS0_5tupleIJPjSE_EEENSF_IJSE_SE_EEES9_SG_JZNS1_25segmented_radix_sort_implINS0_14default_configELb1EPKfPfPKlPlN2at6native12_GLOBAL__N_18offset_tEEE10hipError_tPvRmT1_PNSt15iterator_traitsISY_E10value_typeET2_T3_PNSZ_IS14_E10value_typeET4_jRbjT5_S1A_jjP12ihipStream_tbEUljE_EEESV_SW_SX_S14_S18_S1A_T6_T7_T9_mT8_S1C_bDpT10_ENKUlT_T0_E_clISt17integral_constantIbLb0EES1P_EEDaS1K_S1L_EUlS1K_E_NS1_11comp_targetILNS1_3genE4ELNS1_11target_archE910ELNS1_3gpuE8ELNS1_3repE0EEENS1_30default_config_static_selectorELNS0_4arch9wavefront6targetE1EEEvSY_
    .private_segment_fixed_size: 0
    .sgpr_count:     4
    .sgpr_spill_count: 0
    .symbol:         _ZN7rocprim17ROCPRIM_400000_NS6detail17trampoline_kernelINS0_13select_configILj256ELj13ELNS0_17block_load_methodE3ELS4_3ELS4_3ELNS0_20block_scan_algorithmE0ELj4294967295EEENS1_25partition_config_selectorILNS1_17partition_subalgoE3EjNS0_10empty_typeEbEEZZNS1_14partition_implILS8_3ELb0ES6_jNS0_17counting_iteratorIjlEEPS9_SE_NS0_5tupleIJPjSE_EEENSF_IJSE_SE_EEES9_SG_JZNS1_25segmented_radix_sort_implINS0_14default_configELb1EPKfPfPKlPlN2at6native12_GLOBAL__N_18offset_tEEE10hipError_tPvRmT1_PNSt15iterator_traitsISY_E10value_typeET2_T3_PNSZ_IS14_E10value_typeET4_jRbjT5_S1A_jjP12ihipStream_tbEUljE_EEESV_SW_SX_S14_S18_S1A_T6_T7_T9_mT8_S1C_bDpT10_ENKUlT_T0_E_clISt17integral_constantIbLb0EES1P_EEDaS1K_S1L_EUlS1K_E_NS1_11comp_targetILNS1_3genE4ELNS1_11target_archE910ELNS1_3gpuE8ELNS1_3repE0EEENS1_30default_config_static_selectorELNS0_4arch9wavefront6targetE1EEEvSY_.kd
    .uniform_work_group_size: 1
    .uses_dynamic_stack: false
    .vgpr_count:     0
    .vgpr_spill_count: 0
    .wavefront_size: 64
  - .args:
      - .offset:         0
        .size:           144
        .value_kind:     by_value
    .group_segment_fixed_size: 0
    .kernarg_segment_align: 8
    .kernarg_segment_size: 144
    .language:       OpenCL C
    .language_version:
      - 2
      - 0
    .max_flat_workgroup_size: 256
    .name:           _ZN7rocprim17ROCPRIM_400000_NS6detail17trampoline_kernelINS0_13select_configILj256ELj13ELNS0_17block_load_methodE3ELS4_3ELS4_3ELNS0_20block_scan_algorithmE0ELj4294967295EEENS1_25partition_config_selectorILNS1_17partition_subalgoE3EjNS0_10empty_typeEbEEZZNS1_14partition_implILS8_3ELb0ES6_jNS0_17counting_iteratorIjlEEPS9_SE_NS0_5tupleIJPjSE_EEENSF_IJSE_SE_EEES9_SG_JZNS1_25segmented_radix_sort_implINS0_14default_configELb1EPKfPfPKlPlN2at6native12_GLOBAL__N_18offset_tEEE10hipError_tPvRmT1_PNSt15iterator_traitsISY_E10value_typeET2_T3_PNSZ_IS14_E10value_typeET4_jRbjT5_S1A_jjP12ihipStream_tbEUljE_EEESV_SW_SX_S14_S18_S1A_T6_T7_T9_mT8_S1C_bDpT10_ENKUlT_T0_E_clISt17integral_constantIbLb0EES1P_EEDaS1K_S1L_EUlS1K_E_NS1_11comp_targetILNS1_3genE3ELNS1_11target_archE908ELNS1_3gpuE7ELNS1_3repE0EEENS1_30default_config_static_selectorELNS0_4arch9wavefront6targetE1EEEvSY_
    .private_segment_fixed_size: 0
    .sgpr_count:     4
    .sgpr_spill_count: 0
    .symbol:         _ZN7rocprim17ROCPRIM_400000_NS6detail17trampoline_kernelINS0_13select_configILj256ELj13ELNS0_17block_load_methodE3ELS4_3ELS4_3ELNS0_20block_scan_algorithmE0ELj4294967295EEENS1_25partition_config_selectorILNS1_17partition_subalgoE3EjNS0_10empty_typeEbEEZZNS1_14partition_implILS8_3ELb0ES6_jNS0_17counting_iteratorIjlEEPS9_SE_NS0_5tupleIJPjSE_EEENSF_IJSE_SE_EEES9_SG_JZNS1_25segmented_radix_sort_implINS0_14default_configELb1EPKfPfPKlPlN2at6native12_GLOBAL__N_18offset_tEEE10hipError_tPvRmT1_PNSt15iterator_traitsISY_E10value_typeET2_T3_PNSZ_IS14_E10value_typeET4_jRbjT5_S1A_jjP12ihipStream_tbEUljE_EEESV_SW_SX_S14_S18_S1A_T6_T7_T9_mT8_S1C_bDpT10_ENKUlT_T0_E_clISt17integral_constantIbLb0EES1P_EEDaS1K_S1L_EUlS1K_E_NS1_11comp_targetILNS1_3genE3ELNS1_11target_archE908ELNS1_3gpuE7ELNS1_3repE0EEENS1_30default_config_static_selectorELNS0_4arch9wavefront6targetE1EEEvSY_.kd
    .uniform_work_group_size: 1
    .uses_dynamic_stack: false
    .vgpr_count:     0
    .vgpr_spill_count: 0
    .wavefront_size: 64
  - .args:
      - .offset:         0
        .size:           144
        .value_kind:     by_value
    .group_segment_fixed_size: 13320
    .kernarg_segment_align: 8
    .kernarg_segment_size: 144
    .language:       OpenCL C
    .language_version:
      - 2
      - 0
    .max_flat_workgroup_size: 256
    .name:           _ZN7rocprim17ROCPRIM_400000_NS6detail17trampoline_kernelINS0_13select_configILj256ELj13ELNS0_17block_load_methodE3ELS4_3ELS4_3ELNS0_20block_scan_algorithmE0ELj4294967295EEENS1_25partition_config_selectorILNS1_17partition_subalgoE3EjNS0_10empty_typeEbEEZZNS1_14partition_implILS8_3ELb0ES6_jNS0_17counting_iteratorIjlEEPS9_SE_NS0_5tupleIJPjSE_EEENSF_IJSE_SE_EEES9_SG_JZNS1_25segmented_radix_sort_implINS0_14default_configELb1EPKfPfPKlPlN2at6native12_GLOBAL__N_18offset_tEEE10hipError_tPvRmT1_PNSt15iterator_traitsISY_E10value_typeET2_T3_PNSZ_IS14_E10value_typeET4_jRbjT5_S1A_jjP12ihipStream_tbEUljE_EEESV_SW_SX_S14_S18_S1A_T6_T7_T9_mT8_S1C_bDpT10_ENKUlT_T0_E_clISt17integral_constantIbLb0EES1P_EEDaS1K_S1L_EUlS1K_E_NS1_11comp_targetILNS1_3genE2ELNS1_11target_archE906ELNS1_3gpuE6ELNS1_3repE0EEENS1_30default_config_static_selectorELNS0_4arch9wavefront6targetE1EEEvSY_
    .private_segment_fixed_size: 0
    .sgpr_count:     52
    .sgpr_spill_count: 0
    .symbol:         _ZN7rocprim17ROCPRIM_400000_NS6detail17trampoline_kernelINS0_13select_configILj256ELj13ELNS0_17block_load_methodE3ELS4_3ELS4_3ELNS0_20block_scan_algorithmE0ELj4294967295EEENS1_25partition_config_selectorILNS1_17partition_subalgoE3EjNS0_10empty_typeEbEEZZNS1_14partition_implILS8_3ELb0ES6_jNS0_17counting_iteratorIjlEEPS9_SE_NS0_5tupleIJPjSE_EEENSF_IJSE_SE_EEES9_SG_JZNS1_25segmented_radix_sort_implINS0_14default_configELb1EPKfPfPKlPlN2at6native12_GLOBAL__N_18offset_tEEE10hipError_tPvRmT1_PNSt15iterator_traitsISY_E10value_typeET2_T3_PNSZ_IS14_E10value_typeET4_jRbjT5_S1A_jjP12ihipStream_tbEUljE_EEESV_SW_SX_S14_S18_S1A_T6_T7_T9_mT8_S1C_bDpT10_ENKUlT_T0_E_clISt17integral_constantIbLb0EES1P_EEDaS1K_S1L_EUlS1K_E_NS1_11comp_targetILNS1_3genE2ELNS1_11target_archE906ELNS1_3gpuE6ELNS1_3repE0EEENS1_30default_config_static_selectorELNS0_4arch9wavefront6targetE1EEEvSY_.kd
    .uniform_work_group_size: 1
    .uses_dynamic_stack: false
    .vgpr_count:     69
    .vgpr_spill_count: 0
    .wavefront_size: 64
  - .args:
      - .offset:         0
        .size:           144
        .value_kind:     by_value
    .group_segment_fixed_size: 0
    .kernarg_segment_align: 8
    .kernarg_segment_size: 144
    .language:       OpenCL C
    .language_version:
      - 2
      - 0
    .max_flat_workgroup_size: 256
    .name:           _ZN7rocprim17ROCPRIM_400000_NS6detail17trampoline_kernelINS0_13select_configILj256ELj13ELNS0_17block_load_methodE3ELS4_3ELS4_3ELNS0_20block_scan_algorithmE0ELj4294967295EEENS1_25partition_config_selectorILNS1_17partition_subalgoE3EjNS0_10empty_typeEbEEZZNS1_14partition_implILS8_3ELb0ES6_jNS0_17counting_iteratorIjlEEPS9_SE_NS0_5tupleIJPjSE_EEENSF_IJSE_SE_EEES9_SG_JZNS1_25segmented_radix_sort_implINS0_14default_configELb1EPKfPfPKlPlN2at6native12_GLOBAL__N_18offset_tEEE10hipError_tPvRmT1_PNSt15iterator_traitsISY_E10value_typeET2_T3_PNSZ_IS14_E10value_typeET4_jRbjT5_S1A_jjP12ihipStream_tbEUljE_EEESV_SW_SX_S14_S18_S1A_T6_T7_T9_mT8_S1C_bDpT10_ENKUlT_T0_E_clISt17integral_constantIbLb0EES1P_EEDaS1K_S1L_EUlS1K_E_NS1_11comp_targetILNS1_3genE10ELNS1_11target_archE1200ELNS1_3gpuE4ELNS1_3repE0EEENS1_30default_config_static_selectorELNS0_4arch9wavefront6targetE1EEEvSY_
    .private_segment_fixed_size: 0
    .sgpr_count:     4
    .sgpr_spill_count: 0
    .symbol:         _ZN7rocprim17ROCPRIM_400000_NS6detail17trampoline_kernelINS0_13select_configILj256ELj13ELNS0_17block_load_methodE3ELS4_3ELS4_3ELNS0_20block_scan_algorithmE0ELj4294967295EEENS1_25partition_config_selectorILNS1_17partition_subalgoE3EjNS0_10empty_typeEbEEZZNS1_14partition_implILS8_3ELb0ES6_jNS0_17counting_iteratorIjlEEPS9_SE_NS0_5tupleIJPjSE_EEENSF_IJSE_SE_EEES9_SG_JZNS1_25segmented_radix_sort_implINS0_14default_configELb1EPKfPfPKlPlN2at6native12_GLOBAL__N_18offset_tEEE10hipError_tPvRmT1_PNSt15iterator_traitsISY_E10value_typeET2_T3_PNSZ_IS14_E10value_typeET4_jRbjT5_S1A_jjP12ihipStream_tbEUljE_EEESV_SW_SX_S14_S18_S1A_T6_T7_T9_mT8_S1C_bDpT10_ENKUlT_T0_E_clISt17integral_constantIbLb0EES1P_EEDaS1K_S1L_EUlS1K_E_NS1_11comp_targetILNS1_3genE10ELNS1_11target_archE1200ELNS1_3gpuE4ELNS1_3repE0EEENS1_30default_config_static_selectorELNS0_4arch9wavefront6targetE1EEEvSY_.kd
    .uniform_work_group_size: 1
    .uses_dynamic_stack: false
    .vgpr_count:     0
    .vgpr_spill_count: 0
    .wavefront_size: 64
  - .args:
      - .offset:         0
        .size:           144
        .value_kind:     by_value
    .group_segment_fixed_size: 0
    .kernarg_segment_align: 8
    .kernarg_segment_size: 144
    .language:       OpenCL C
    .language_version:
      - 2
      - 0
    .max_flat_workgroup_size: 256
    .name:           _ZN7rocprim17ROCPRIM_400000_NS6detail17trampoline_kernelINS0_13select_configILj256ELj13ELNS0_17block_load_methodE3ELS4_3ELS4_3ELNS0_20block_scan_algorithmE0ELj4294967295EEENS1_25partition_config_selectorILNS1_17partition_subalgoE3EjNS0_10empty_typeEbEEZZNS1_14partition_implILS8_3ELb0ES6_jNS0_17counting_iteratorIjlEEPS9_SE_NS0_5tupleIJPjSE_EEENSF_IJSE_SE_EEES9_SG_JZNS1_25segmented_radix_sort_implINS0_14default_configELb1EPKfPfPKlPlN2at6native12_GLOBAL__N_18offset_tEEE10hipError_tPvRmT1_PNSt15iterator_traitsISY_E10value_typeET2_T3_PNSZ_IS14_E10value_typeET4_jRbjT5_S1A_jjP12ihipStream_tbEUljE_EEESV_SW_SX_S14_S18_S1A_T6_T7_T9_mT8_S1C_bDpT10_ENKUlT_T0_E_clISt17integral_constantIbLb0EES1P_EEDaS1K_S1L_EUlS1K_E_NS1_11comp_targetILNS1_3genE9ELNS1_11target_archE1100ELNS1_3gpuE3ELNS1_3repE0EEENS1_30default_config_static_selectorELNS0_4arch9wavefront6targetE1EEEvSY_
    .private_segment_fixed_size: 0
    .sgpr_count:     4
    .sgpr_spill_count: 0
    .symbol:         _ZN7rocprim17ROCPRIM_400000_NS6detail17trampoline_kernelINS0_13select_configILj256ELj13ELNS0_17block_load_methodE3ELS4_3ELS4_3ELNS0_20block_scan_algorithmE0ELj4294967295EEENS1_25partition_config_selectorILNS1_17partition_subalgoE3EjNS0_10empty_typeEbEEZZNS1_14partition_implILS8_3ELb0ES6_jNS0_17counting_iteratorIjlEEPS9_SE_NS0_5tupleIJPjSE_EEENSF_IJSE_SE_EEES9_SG_JZNS1_25segmented_radix_sort_implINS0_14default_configELb1EPKfPfPKlPlN2at6native12_GLOBAL__N_18offset_tEEE10hipError_tPvRmT1_PNSt15iterator_traitsISY_E10value_typeET2_T3_PNSZ_IS14_E10value_typeET4_jRbjT5_S1A_jjP12ihipStream_tbEUljE_EEESV_SW_SX_S14_S18_S1A_T6_T7_T9_mT8_S1C_bDpT10_ENKUlT_T0_E_clISt17integral_constantIbLb0EES1P_EEDaS1K_S1L_EUlS1K_E_NS1_11comp_targetILNS1_3genE9ELNS1_11target_archE1100ELNS1_3gpuE3ELNS1_3repE0EEENS1_30default_config_static_selectorELNS0_4arch9wavefront6targetE1EEEvSY_.kd
    .uniform_work_group_size: 1
    .uses_dynamic_stack: false
    .vgpr_count:     0
    .vgpr_spill_count: 0
    .wavefront_size: 64
  - .args:
      - .offset:         0
        .size:           144
        .value_kind:     by_value
    .group_segment_fixed_size: 0
    .kernarg_segment_align: 8
    .kernarg_segment_size: 144
    .language:       OpenCL C
    .language_version:
      - 2
      - 0
    .max_flat_workgroup_size: 256
    .name:           _ZN7rocprim17ROCPRIM_400000_NS6detail17trampoline_kernelINS0_13select_configILj256ELj13ELNS0_17block_load_methodE3ELS4_3ELS4_3ELNS0_20block_scan_algorithmE0ELj4294967295EEENS1_25partition_config_selectorILNS1_17partition_subalgoE3EjNS0_10empty_typeEbEEZZNS1_14partition_implILS8_3ELb0ES6_jNS0_17counting_iteratorIjlEEPS9_SE_NS0_5tupleIJPjSE_EEENSF_IJSE_SE_EEES9_SG_JZNS1_25segmented_radix_sort_implINS0_14default_configELb1EPKfPfPKlPlN2at6native12_GLOBAL__N_18offset_tEEE10hipError_tPvRmT1_PNSt15iterator_traitsISY_E10value_typeET2_T3_PNSZ_IS14_E10value_typeET4_jRbjT5_S1A_jjP12ihipStream_tbEUljE_EEESV_SW_SX_S14_S18_S1A_T6_T7_T9_mT8_S1C_bDpT10_ENKUlT_T0_E_clISt17integral_constantIbLb0EES1P_EEDaS1K_S1L_EUlS1K_E_NS1_11comp_targetILNS1_3genE8ELNS1_11target_archE1030ELNS1_3gpuE2ELNS1_3repE0EEENS1_30default_config_static_selectorELNS0_4arch9wavefront6targetE1EEEvSY_
    .private_segment_fixed_size: 0
    .sgpr_count:     4
    .sgpr_spill_count: 0
    .symbol:         _ZN7rocprim17ROCPRIM_400000_NS6detail17trampoline_kernelINS0_13select_configILj256ELj13ELNS0_17block_load_methodE3ELS4_3ELS4_3ELNS0_20block_scan_algorithmE0ELj4294967295EEENS1_25partition_config_selectorILNS1_17partition_subalgoE3EjNS0_10empty_typeEbEEZZNS1_14partition_implILS8_3ELb0ES6_jNS0_17counting_iteratorIjlEEPS9_SE_NS0_5tupleIJPjSE_EEENSF_IJSE_SE_EEES9_SG_JZNS1_25segmented_radix_sort_implINS0_14default_configELb1EPKfPfPKlPlN2at6native12_GLOBAL__N_18offset_tEEE10hipError_tPvRmT1_PNSt15iterator_traitsISY_E10value_typeET2_T3_PNSZ_IS14_E10value_typeET4_jRbjT5_S1A_jjP12ihipStream_tbEUljE_EEESV_SW_SX_S14_S18_S1A_T6_T7_T9_mT8_S1C_bDpT10_ENKUlT_T0_E_clISt17integral_constantIbLb0EES1P_EEDaS1K_S1L_EUlS1K_E_NS1_11comp_targetILNS1_3genE8ELNS1_11target_archE1030ELNS1_3gpuE2ELNS1_3repE0EEENS1_30default_config_static_selectorELNS0_4arch9wavefront6targetE1EEEvSY_.kd
    .uniform_work_group_size: 1
    .uses_dynamic_stack: false
    .vgpr_count:     0
    .vgpr_spill_count: 0
    .wavefront_size: 64
  - .args:
      - .offset:         0
        .size:           152
        .value_kind:     by_value
    .group_segment_fixed_size: 0
    .kernarg_segment_align: 8
    .kernarg_segment_size: 152
    .language:       OpenCL C
    .language_version:
      - 2
      - 0
    .max_flat_workgroup_size: 256
    .name:           _ZN7rocprim17ROCPRIM_400000_NS6detail17trampoline_kernelINS0_13select_configILj256ELj13ELNS0_17block_load_methodE3ELS4_3ELS4_3ELNS0_20block_scan_algorithmE0ELj4294967295EEENS1_25partition_config_selectorILNS1_17partition_subalgoE3EjNS0_10empty_typeEbEEZZNS1_14partition_implILS8_3ELb0ES6_jNS0_17counting_iteratorIjlEEPS9_SE_NS0_5tupleIJPjSE_EEENSF_IJSE_SE_EEES9_SG_JZNS1_25segmented_radix_sort_implINS0_14default_configELb1EPKfPfPKlPlN2at6native12_GLOBAL__N_18offset_tEEE10hipError_tPvRmT1_PNSt15iterator_traitsISY_E10value_typeET2_T3_PNSZ_IS14_E10value_typeET4_jRbjT5_S1A_jjP12ihipStream_tbEUljE_EEESV_SW_SX_S14_S18_S1A_T6_T7_T9_mT8_S1C_bDpT10_ENKUlT_T0_E_clISt17integral_constantIbLb1EES1P_EEDaS1K_S1L_EUlS1K_E_NS1_11comp_targetILNS1_3genE0ELNS1_11target_archE4294967295ELNS1_3gpuE0ELNS1_3repE0EEENS1_30default_config_static_selectorELNS0_4arch9wavefront6targetE1EEEvSY_
    .private_segment_fixed_size: 0
    .sgpr_count:     4
    .sgpr_spill_count: 0
    .symbol:         _ZN7rocprim17ROCPRIM_400000_NS6detail17trampoline_kernelINS0_13select_configILj256ELj13ELNS0_17block_load_methodE3ELS4_3ELS4_3ELNS0_20block_scan_algorithmE0ELj4294967295EEENS1_25partition_config_selectorILNS1_17partition_subalgoE3EjNS0_10empty_typeEbEEZZNS1_14partition_implILS8_3ELb0ES6_jNS0_17counting_iteratorIjlEEPS9_SE_NS0_5tupleIJPjSE_EEENSF_IJSE_SE_EEES9_SG_JZNS1_25segmented_radix_sort_implINS0_14default_configELb1EPKfPfPKlPlN2at6native12_GLOBAL__N_18offset_tEEE10hipError_tPvRmT1_PNSt15iterator_traitsISY_E10value_typeET2_T3_PNSZ_IS14_E10value_typeET4_jRbjT5_S1A_jjP12ihipStream_tbEUljE_EEESV_SW_SX_S14_S18_S1A_T6_T7_T9_mT8_S1C_bDpT10_ENKUlT_T0_E_clISt17integral_constantIbLb1EES1P_EEDaS1K_S1L_EUlS1K_E_NS1_11comp_targetILNS1_3genE0ELNS1_11target_archE4294967295ELNS1_3gpuE0ELNS1_3repE0EEENS1_30default_config_static_selectorELNS0_4arch9wavefront6targetE1EEEvSY_.kd
    .uniform_work_group_size: 1
    .uses_dynamic_stack: false
    .vgpr_count:     0
    .vgpr_spill_count: 0
    .wavefront_size: 64
  - .args:
      - .offset:         0
        .size:           152
        .value_kind:     by_value
    .group_segment_fixed_size: 0
    .kernarg_segment_align: 8
    .kernarg_segment_size: 152
    .language:       OpenCL C
    .language_version:
      - 2
      - 0
    .max_flat_workgroup_size: 256
    .name:           _ZN7rocprim17ROCPRIM_400000_NS6detail17trampoline_kernelINS0_13select_configILj256ELj13ELNS0_17block_load_methodE3ELS4_3ELS4_3ELNS0_20block_scan_algorithmE0ELj4294967295EEENS1_25partition_config_selectorILNS1_17partition_subalgoE3EjNS0_10empty_typeEbEEZZNS1_14partition_implILS8_3ELb0ES6_jNS0_17counting_iteratorIjlEEPS9_SE_NS0_5tupleIJPjSE_EEENSF_IJSE_SE_EEES9_SG_JZNS1_25segmented_radix_sort_implINS0_14default_configELb1EPKfPfPKlPlN2at6native12_GLOBAL__N_18offset_tEEE10hipError_tPvRmT1_PNSt15iterator_traitsISY_E10value_typeET2_T3_PNSZ_IS14_E10value_typeET4_jRbjT5_S1A_jjP12ihipStream_tbEUljE_EEESV_SW_SX_S14_S18_S1A_T6_T7_T9_mT8_S1C_bDpT10_ENKUlT_T0_E_clISt17integral_constantIbLb1EES1P_EEDaS1K_S1L_EUlS1K_E_NS1_11comp_targetILNS1_3genE5ELNS1_11target_archE942ELNS1_3gpuE9ELNS1_3repE0EEENS1_30default_config_static_selectorELNS0_4arch9wavefront6targetE1EEEvSY_
    .private_segment_fixed_size: 0
    .sgpr_count:     4
    .sgpr_spill_count: 0
    .symbol:         _ZN7rocprim17ROCPRIM_400000_NS6detail17trampoline_kernelINS0_13select_configILj256ELj13ELNS0_17block_load_methodE3ELS4_3ELS4_3ELNS0_20block_scan_algorithmE0ELj4294967295EEENS1_25partition_config_selectorILNS1_17partition_subalgoE3EjNS0_10empty_typeEbEEZZNS1_14partition_implILS8_3ELb0ES6_jNS0_17counting_iteratorIjlEEPS9_SE_NS0_5tupleIJPjSE_EEENSF_IJSE_SE_EEES9_SG_JZNS1_25segmented_radix_sort_implINS0_14default_configELb1EPKfPfPKlPlN2at6native12_GLOBAL__N_18offset_tEEE10hipError_tPvRmT1_PNSt15iterator_traitsISY_E10value_typeET2_T3_PNSZ_IS14_E10value_typeET4_jRbjT5_S1A_jjP12ihipStream_tbEUljE_EEESV_SW_SX_S14_S18_S1A_T6_T7_T9_mT8_S1C_bDpT10_ENKUlT_T0_E_clISt17integral_constantIbLb1EES1P_EEDaS1K_S1L_EUlS1K_E_NS1_11comp_targetILNS1_3genE5ELNS1_11target_archE942ELNS1_3gpuE9ELNS1_3repE0EEENS1_30default_config_static_selectorELNS0_4arch9wavefront6targetE1EEEvSY_.kd
    .uniform_work_group_size: 1
    .uses_dynamic_stack: false
    .vgpr_count:     0
    .vgpr_spill_count: 0
    .wavefront_size: 64
  - .args:
      - .offset:         0
        .size:           152
        .value_kind:     by_value
    .group_segment_fixed_size: 0
    .kernarg_segment_align: 8
    .kernarg_segment_size: 152
    .language:       OpenCL C
    .language_version:
      - 2
      - 0
    .max_flat_workgroup_size: 256
    .name:           _ZN7rocprim17ROCPRIM_400000_NS6detail17trampoline_kernelINS0_13select_configILj256ELj13ELNS0_17block_load_methodE3ELS4_3ELS4_3ELNS0_20block_scan_algorithmE0ELj4294967295EEENS1_25partition_config_selectorILNS1_17partition_subalgoE3EjNS0_10empty_typeEbEEZZNS1_14partition_implILS8_3ELb0ES6_jNS0_17counting_iteratorIjlEEPS9_SE_NS0_5tupleIJPjSE_EEENSF_IJSE_SE_EEES9_SG_JZNS1_25segmented_radix_sort_implINS0_14default_configELb1EPKfPfPKlPlN2at6native12_GLOBAL__N_18offset_tEEE10hipError_tPvRmT1_PNSt15iterator_traitsISY_E10value_typeET2_T3_PNSZ_IS14_E10value_typeET4_jRbjT5_S1A_jjP12ihipStream_tbEUljE_EEESV_SW_SX_S14_S18_S1A_T6_T7_T9_mT8_S1C_bDpT10_ENKUlT_T0_E_clISt17integral_constantIbLb1EES1P_EEDaS1K_S1L_EUlS1K_E_NS1_11comp_targetILNS1_3genE4ELNS1_11target_archE910ELNS1_3gpuE8ELNS1_3repE0EEENS1_30default_config_static_selectorELNS0_4arch9wavefront6targetE1EEEvSY_
    .private_segment_fixed_size: 0
    .sgpr_count:     4
    .sgpr_spill_count: 0
    .symbol:         _ZN7rocprim17ROCPRIM_400000_NS6detail17trampoline_kernelINS0_13select_configILj256ELj13ELNS0_17block_load_methodE3ELS4_3ELS4_3ELNS0_20block_scan_algorithmE0ELj4294967295EEENS1_25partition_config_selectorILNS1_17partition_subalgoE3EjNS0_10empty_typeEbEEZZNS1_14partition_implILS8_3ELb0ES6_jNS0_17counting_iteratorIjlEEPS9_SE_NS0_5tupleIJPjSE_EEENSF_IJSE_SE_EEES9_SG_JZNS1_25segmented_radix_sort_implINS0_14default_configELb1EPKfPfPKlPlN2at6native12_GLOBAL__N_18offset_tEEE10hipError_tPvRmT1_PNSt15iterator_traitsISY_E10value_typeET2_T3_PNSZ_IS14_E10value_typeET4_jRbjT5_S1A_jjP12ihipStream_tbEUljE_EEESV_SW_SX_S14_S18_S1A_T6_T7_T9_mT8_S1C_bDpT10_ENKUlT_T0_E_clISt17integral_constantIbLb1EES1P_EEDaS1K_S1L_EUlS1K_E_NS1_11comp_targetILNS1_3genE4ELNS1_11target_archE910ELNS1_3gpuE8ELNS1_3repE0EEENS1_30default_config_static_selectorELNS0_4arch9wavefront6targetE1EEEvSY_.kd
    .uniform_work_group_size: 1
    .uses_dynamic_stack: false
    .vgpr_count:     0
    .vgpr_spill_count: 0
    .wavefront_size: 64
  - .args:
      - .offset:         0
        .size:           152
        .value_kind:     by_value
    .group_segment_fixed_size: 0
    .kernarg_segment_align: 8
    .kernarg_segment_size: 152
    .language:       OpenCL C
    .language_version:
      - 2
      - 0
    .max_flat_workgroup_size: 256
    .name:           _ZN7rocprim17ROCPRIM_400000_NS6detail17trampoline_kernelINS0_13select_configILj256ELj13ELNS0_17block_load_methodE3ELS4_3ELS4_3ELNS0_20block_scan_algorithmE0ELj4294967295EEENS1_25partition_config_selectorILNS1_17partition_subalgoE3EjNS0_10empty_typeEbEEZZNS1_14partition_implILS8_3ELb0ES6_jNS0_17counting_iteratorIjlEEPS9_SE_NS0_5tupleIJPjSE_EEENSF_IJSE_SE_EEES9_SG_JZNS1_25segmented_radix_sort_implINS0_14default_configELb1EPKfPfPKlPlN2at6native12_GLOBAL__N_18offset_tEEE10hipError_tPvRmT1_PNSt15iterator_traitsISY_E10value_typeET2_T3_PNSZ_IS14_E10value_typeET4_jRbjT5_S1A_jjP12ihipStream_tbEUljE_EEESV_SW_SX_S14_S18_S1A_T6_T7_T9_mT8_S1C_bDpT10_ENKUlT_T0_E_clISt17integral_constantIbLb1EES1P_EEDaS1K_S1L_EUlS1K_E_NS1_11comp_targetILNS1_3genE3ELNS1_11target_archE908ELNS1_3gpuE7ELNS1_3repE0EEENS1_30default_config_static_selectorELNS0_4arch9wavefront6targetE1EEEvSY_
    .private_segment_fixed_size: 0
    .sgpr_count:     4
    .sgpr_spill_count: 0
    .symbol:         _ZN7rocprim17ROCPRIM_400000_NS6detail17trampoline_kernelINS0_13select_configILj256ELj13ELNS0_17block_load_methodE3ELS4_3ELS4_3ELNS0_20block_scan_algorithmE0ELj4294967295EEENS1_25partition_config_selectorILNS1_17partition_subalgoE3EjNS0_10empty_typeEbEEZZNS1_14partition_implILS8_3ELb0ES6_jNS0_17counting_iteratorIjlEEPS9_SE_NS0_5tupleIJPjSE_EEENSF_IJSE_SE_EEES9_SG_JZNS1_25segmented_radix_sort_implINS0_14default_configELb1EPKfPfPKlPlN2at6native12_GLOBAL__N_18offset_tEEE10hipError_tPvRmT1_PNSt15iterator_traitsISY_E10value_typeET2_T3_PNSZ_IS14_E10value_typeET4_jRbjT5_S1A_jjP12ihipStream_tbEUljE_EEESV_SW_SX_S14_S18_S1A_T6_T7_T9_mT8_S1C_bDpT10_ENKUlT_T0_E_clISt17integral_constantIbLb1EES1P_EEDaS1K_S1L_EUlS1K_E_NS1_11comp_targetILNS1_3genE3ELNS1_11target_archE908ELNS1_3gpuE7ELNS1_3repE0EEENS1_30default_config_static_selectorELNS0_4arch9wavefront6targetE1EEEvSY_.kd
    .uniform_work_group_size: 1
    .uses_dynamic_stack: false
    .vgpr_count:     0
    .vgpr_spill_count: 0
    .wavefront_size: 64
  - .args:
      - .offset:         0
        .size:           152
        .value_kind:     by_value
    .group_segment_fixed_size: 0
    .kernarg_segment_align: 8
    .kernarg_segment_size: 152
    .language:       OpenCL C
    .language_version:
      - 2
      - 0
    .max_flat_workgroup_size: 256
    .name:           _ZN7rocprim17ROCPRIM_400000_NS6detail17trampoline_kernelINS0_13select_configILj256ELj13ELNS0_17block_load_methodE3ELS4_3ELS4_3ELNS0_20block_scan_algorithmE0ELj4294967295EEENS1_25partition_config_selectorILNS1_17partition_subalgoE3EjNS0_10empty_typeEbEEZZNS1_14partition_implILS8_3ELb0ES6_jNS0_17counting_iteratorIjlEEPS9_SE_NS0_5tupleIJPjSE_EEENSF_IJSE_SE_EEES9_SG_JZNS1_25segmented_radix_sort_implINS0_14default_configELb1EPKfPfPKlPlN2at6native12_GLOBAL__N_18offset_tEEE10hipError_tPvRmT1_PNSt15iterator_traitsISY_E10value_typeET2_T3_PNSZ_IS14_E10value_typeET4_jRbjT5_S1A_jjP12ihipStream_tbEUljE_EEESV_SW_SX_S14_S18_S1A_T6_T7_T9_mT8_S1C_bDpT10_ENKUlT_T0_E_clISt17integral_constantIbLb1EES1P_EEDaS1K_S1L_EUlS1K_E_NS1_11comp_targetILNS1_3genE2ELNS1_11target_archE906ELNS1_3gpuE6ELNS1_3repE0EEENS1_30default_config_static_selectorELNS0_4arch9wavefront6targetE1EEEvSY_
    .private_segment_fixed_size: 0
    .sgpr_count:     4
    .sgpr_spill_count: 0
    .symbol:         _ZN7rocprim17ROCPRIM_400000_NS6detail17trampoline_kernelINS0_13select_configILj256ELj13ELNS0_17block_load_methodE3ELS4_3ELS4_3ELNS0_20block_scan_algorithmE0ELj4294967295EEENS1_25partition_config_selectorILNS1_17partition_subalgoE3EjNS0_10empty_typeEbEEZZNS1_14partition_implILS8_3ELb0ES6_jNS0_17counting_iteratorIjlEEPS9_SE_NS0_5tupleIJPjSE_EEENSF_IJSE_SE_EEES9_SG_JZNS1_25segmented_radix_sort_implINS0_14default_configELb1EPKfPfPKlPlN2at6native12_GLOBAL__N_18offset_tEEE10hipError_tPvRmT1_PNSt15iterator_traitsISY_E10value_typeET2_T3_PNSZ_IS14_E10value_typeET4_jRbjT5_S1A_jjP12ihipStream_tbEUljE_EEESV_SW_SX_S14_S18_S1A_T6_T7_T9_mT8_S1C_bDpT10_ENKUlT_T0_E_clISt17integral_constantIbLb1EES1P_EEDaS1K_S1L_EUlS1K_E_NS1_11comp_targetILNS1_3genE2ELNS1_11target_archE906ELNS1_3gpuE6ELNS1_3repE0EEENS1_30default_config_static_selectorELNS0_4arch9wavefront6targetE1EEEvSY_.kd
    .uniform_work_group_size: 1
    .uses_dynamic_stack: false
    .vgpr_count:     0
    .vgpr_spill_count: 0
    .wavefront_size: 64
  - .args:
      - .offset:         0
        .size:           152
        .value_kind:     by_value
    .group_segment_fixed_size: 0
    .kernarg_segment_align: 8
    .kernarg_segment_size: 152
    .language:       OpenCL C
    .language_version:
      - 2
      - 0
    .max_flat_workgroup_size: 256
    .name:           _ZN7rocprim17ROCPRIM_400000_NS6detail17trampoline_kernelINS0_13select_configILj256ELj13ELNS0_17block_load_methodE3ELS4_3ELS4_3ELNS0_20block_scan_algorithmE0ELj4294967295EEENS1_25partition_config_selectorILNS1_17partition_subalgoE3EjNS0_10empty_typeEbEEZZNS1_14partition_implILS8_3ELb0ES6_jNS0_17counting_iteratorIjlEEPS9_SE_NS0_5tupleIJPjSE_EEENSF_IJSE_SE_EEES9_SG_JZNS1_25segmented_radix_sort_implINS0_14default_configELb1EPKfPfPKlPlN2at6native12_GLOBAL__N_18offset_tEEE10hipError_tPvRmT1_PNSt15iterator_traitsISY_E10value_typeET2_T3_PNSZ_IS14_E10value_typeET4_jRbjT5_S1A_jjP12ihipStream_tbEUljE_EEESV_SW_SX_S14_S18_S1A_T6_T7_T9_mT8_S1C_bDpT10_ENKUlT_T0_E_clISt17integral_constantIbLb1EES1P_EEDaS1K_S1L_EUlS1K_E_NS1_11comp_targetILNS1_3genE10ELNS1_11target_archE1200ELNS1_3gpuE4ELNS1_3repE0EEENS1_30default_config_static_selectorELNS0_4arch9wavefront6targetE1EEEvSY_
    .private_segment_fixed_size: 0
    .sgpr_count:     4
    .sgpr_spill_count: 0
    .symbol:         _ZN7rocprim17ROCPRIM_400000_NS6detail17trampoline_kernelINS0_13select_configILj256ELj13ELNS0_17block_load_methodE3ELS4_3ELS4_3ELNS0_20block_scan_algorithmE0ELj4294967295EEENS1_25partition_config_selectorILNS1_17partition_subalgoE3EjNS0_10empty_typeEbEEZZNS1_14partition_implILS8_3ELb0ES6_jNS0_17counting_iteratorIjlEEPS9_SE_NS0_5tupleIJPjSE_EEENSF_IJSE_SE_EEES9_SG_JZNS1_25segmented_radix_sort_implINS0_14default_configELb1EPKfPfPKlPlN2at6native12_GLOBAL__N_18offset_tEEE10hipError_tPvRmT1_PNSt15iterator_traitsISY_E10value_typeET2_T3_PNSZ_IS14_E10value_typeET4_jRbjT5_S1A_jjP12ihipStream_tbEUljE_EEESV_SW_SX_S14_S18_S1A_T6_T7_T9_mT8_S1C_bDpT10_ENKUlT_T0_E_clISt17integral_constantIbLb1EES1P_EEDaS1K_S1L_EUlS1K_E_NS1_11comp_targetILNS1_3genE10ELNS1_11target_archE1200ELNS1_3gpuE4ELNS1_3repE0EEENS1_30default_config_static_selectorELNS0_4arch9wavefront6targetE1EEEvSY_.kd
    .uniform_work_group_size: 1
    .uses_dynamic_stack: false
    .vgpr_count:     0
    .vgpr_spill_count: 0
    .wavefront_size: 64
  - .args:
      - .offset:         0
        .size:           152
        .value_kind:     by_value
    .group_segment_fixed_size: 0
    .kernarg_segment_align: 8
    .kernarg_segment_size: 152
    .language:       OpenCL C
    .language_version:
      - 2
      - 0
    .max_flat_workgroup_size: 256
    .name:           _ZN7rocprim17ROCPRIM_400000_NS6detail17trampoline_kernelINS0_13select_configILj256ELj13ELNS0_17block_load_methodE3ELS4_3ELS4_3ELNS0_20block_scan_algorithmE0ELj4294967295EEENS1_25partition_config_selectorILNS1_17partition_subalgoE3EjNS0_10empty_typeEbEEZZNS1_14partition_implILS8_3ELb0ES6_jNS0_17counting_iteratorIjlEEPS9_SE_NS0_5tupleIJPjSE_EEENSF_IJSE_SE_EEES9_SG_JZNS1_25segmented_radix_sort_implINS0_14default_configELb1EPKfPfPKlPlN2at6native12_GLOBAL__N_18offset_tEEE10hipError_tPvRmT1_PNSt15iterator_traitsISY_E10value_typeET2_T3_PNSZ_IS14_E10value_typeET4_jRbjT5_S1A_jjP12ihipStream_tbEUljE_EEESV_SW_SX_S14_S18_S1A_T6_T7_T9_mT8_S1C_bDpT10_ENKUlT_T0_E_clISt17integral_constantIbLb1EES1P_EEDaS1K_S1L_EUlS1K_E_NS1_11comp_targetILNS1_3genE9ELNS1_11target_archE1100ELNS1_3gpuE3ELNS1_3repE0EEENS1_30default_config_static_selectorELNS0_4arch9wavefront6targetE1EEEvSY_
    .private_segment_fixed_size: 0
    .sgpr_count:     4
    .sgpr_spill_count: 0
    .symbol:         _ZN7rocprim17ROCPRIM_400000_NS6detail17trampoline_kernelINS0_13select_configILj256ELj13ELNS0_17block_load_methodE3ELS4_3ELS4_3ELNS0_20block_scan_algorithmE0ELj4294967295EEENS1_25partition_config_selectorILNS1_17partition_subalgoE3EjNS0_10empty_typeEbEEZZNS1_14partition_implILS8_3ELb0ES6_jNS0_17counting_iteratorIjlEEPS9_SE_NS0_5tupleIJPjSE_EEENSF_IJSE_SE_EEES9_SG_JZNS1_25segmented_radix_sort_implINS0_14default_configELb1EPKfPfPKlPlN2at6native12_GLOBAL__N_18offset_tEEE10hipError_tPvRmT1_PNSt15iterator_traitsISY_E10value_typeET2_T3_PNSZ_IS14_E10value_typeET4_jRbjT5_S1A_jjP12ihipStream_tbEUljE_EEESV_SW_SX_S14_S18_S1A_T6_T7_T9_mT8_S1C_bDpT10_ENKUlT_T0_E_clISt17integral_constantIbLb1EES1P_EEDaS1K_S1L_EUlS1K_E_NS1_11comp_targetILNS1_3genE9ELNS1_11target_archE1100ELNS1_3gpuE3ELNS1_3repE0EEENS1_30default_config_static_selectorELNS0_4arch9wavefront6targetE1EEEvSY_.kd
    .uniform_work_group_size: 1
    .uses_dynamic_stack: false
    .vgpr_count:     0
    .vgpr_spill_count: 0
    .wavefront_size: 64
  - .args:
      - .offset:         0
        .size:           152
        .value_kind:     by_value
    .group_segment_fixed_size: 0
    .kernarg_segment_align: 8
    .kernarg_segment_size: 152
    .language:       OpenCL C
    .language_version:
      - 2
      - 0
    .max_flat_workgroup_size: 256
    .name:           _ZN7rocprim17ROCPRIM_400000_NS6detail17trampoline_kernelINS0_13select_configILj256ELj13ELNS0_17block_load_methodE3ELS4_3ELS4_3ELNS0_20block_scan_algorithmE0ELj4294967295EEENS1_25partition_config_selectorILNS1_17partition_subalgoE3EjNS0_10empty_typeEbEEZZNS1_14partition_implILS8_3ELb0ES6_jNS0_17counting_iteratorIjlEEPS9_SE_NS0_5tupleIJPjSE_EEENSF_IJSE_SE_EEES9_SG_JZNS1_25segmented_radix_sort_implINS0_14default_configELb1EPKfPfPKlPlN2at6native12_GLOBAL__N_18offset_tEEE10hipError_tPvRmT1_PNSt15iterator_traitsISY_E10value_typeET2_T3_PNSZ_IS14_E10value_typeET4_jRbjT5_S1A_jjP12ihipStream_tbEUljE_EEESV_SW_SX_S14_S18_S1A_T6_T7_T9_mT8_S1C_bDpT10_ENKUlT_T0_E_clISt17integral_constantIbLb1EES1P_EEDaS1K_S1L_EUlS1K_E_NS1_11comp_targetILNS1_3genE8ELNS1_11target_archE1030ELNS1_3gpuE2ELNS1_3repE0EEENS1_30default_config_static_selectorELNS0_4arch9wavefront6targetE1EEEvSY_
    .private_segment_fixed_size: 0
    .sgpr_count:     4
    .sgpr_spill_count: 0
    .symbol:         _ZN7rocprim17ROCPRIM_400000_NS6detail17trampoline_kernelINS0_13select_configILj256ELj13ELNS0_17block_load_methodE3ELS4_3ELS4_3ELNS0_20block_scan_algorithmE0ELj4294967295EEENS1_25partition_config_selectorILNS1_17partition_subalgoE3EjNS0_10empty_typeEbEEZZNS1_14partition_implILS8_3ELb0ES6_jNS0_17counting_iteratorIjlEEPS9_SE_NS0_5tupleIJPjSE_EEENSF_IJSE_SE_EEES9_SG_JZNS1_25segmented_radix_sort_implINS0_14default_configELb1EPKfPfPKlPlN2at6native12_GLOBAL__N_18offset_tEEE10hipError_tPvRmT1_PNSt15iterator_traitsISY_E10value_typeET2_T3_PNSZ_IS14_E10value_typeET4_jRbjT5_S1A_jjP12ihipStream_tbEUljE_EEESV_SW_SX_S14_S18_S1A_T6_T7_T9_mT8_S1C_bDpT10_ENKUlT_T0_E_clISt17integral_constantIbLb1EES1P_EEDaS1K_S1L_EUlS1K_E_NS1_11comp_targetILNS1_3genE8ELNS1_11target_archE1030ELNS1_3gpuE2ELNS1_3repE0EEENS1_30default_config_static_selectorELNS0_4arch9wavefront6targetE1EEEvSY_.kd
    .uniform_work_group_size: 1
    .uses_dynamic_stack: false
    .vgpr_count:     0
    .vgpr_spill_count: 0
    .wavefront_size: 64
  - .args:
      - .offset:         0
        .size:           144
        .value_kind:     by_value
    .group_segment_fixed_size: 0
    .kernarg_segment_align: 8
    .kernarg_segment_size: 144
    .language:       OpenCL C
    .language_version:
      - 2
      - 0
    .max_flat_workgroup_size: 256
    .name:           _ZN7rocprim17ROCPRIM_400000_NS6detail17trampoline_kernelINS0_13select_configILj256ELj13ELNS0_17block_load_methodE3ELS4_3ELS4_3ELNS0_20block_scan_algorithmE0ELj4294967295EEENS1_25partition_config_selectorILNS1_17partition_subalgoE3EjNS0_10empty_typeEbEEZZNS1_14partition_implILS8_3ELb0ES6_jNS0_17counting_iteratorIjlEEPS9_SE_NS0_5tupleIJPjSE_EEENSF_IJSE_SE_EEES9_SG_JZNS1_25segmented_radix_sort_implINS0_14default_configELb1EPKfPfPKlPlN2at6native12_GLOBAL__N_18offset_tEEE10hipError_tPvRmT1_PNSt15iterator_traitsISY_E10value_typeET2_T3_PNSZ_IS14_E10value_typeET4_jRbjT5_S1A_jjP12ihipStream_tbEUljE_EEESV_SW_SX_S14_S18_S1A_T6_T7_T9_mT8_S1C_bDpT10_ENKUlT_T0_E_clISt17integral_constantIbLb1EES1O_IbLb0EEEEDaS1K_S1L_EUlS1K_E_NS1_11comp_targetILNS1_3genE0ELNS1_11target_archE4294967295ELNS1_3gpuE0ELNS1_3repE0EEENS1_30default_config_static_selectorELNS0_4arch9wavefront6targetE1EEEvSY_
    .private_segment_fixed_size: 0
    .sgpr_count:     4
    .sgpr_spill_count: 0
    .symbol:         _ZN7rocprim17ROCPRIM_400000_NS6detail17trampoline_kernelINS0_13select_configILj256ELj13ELNS0_17block_load_methodE3ELS4_3ELS4_3ELNS0_20block_scan_algorithmE0ELj4294967295EEENS1_25partition_config_selectorILNS1_17partition_subalgoE3EjNS0_10empty_typeEbEEZZNS1_14partition_implILS8_3ELb0ES6_jNS0_17counting_iteratorIjlEEPS9_SE_NS0_5tupleIJPjSE_EEENSF_IJSE_SE_EEES9_SG_JZNS1_25segmented_radix_sort_implINS0_14default_configELb1EPKfPfPKlPlN2at6native12_GLOBAL__N_18offset_tEEE10hipError_tPvRmT1_PNSt15iterator_traitsISY_E10value_typeET2_T3_PNSZ_IS14_E10value_typeET4_jRbjT5_S1A_jjP12ihipStream_tbEUljE_EEESV_SW_SX_S14_S18_S1A_T6_T7_T9_mT8_S1C_bDpT10_ENKUlT_T0_E_clISt17integral_constantIbLb1EES1O_IbLb0EEEEDaS1K_S1L_EUlS1K_E_NS1_11comp_targetILNS1_3genE0ELNS1_11target_archE4294967295ELNS1_3gpuE0ELNS1_3repE0EEENS1_30default_config_static_selectorELNS0_4arch9wavefront6targetE1EEEvSY_.kd
    .uniform_work_group_size: 1
    .uses_dynamic_stack: false
    .vgpr_count:     0
    .vgpr_spill_count: 0
    .wavefront_size: 64
  - .args:
      - .offset:         0
        .size:           144
        .value_kind:     by_value
    .group_segment_fixed_size: 0
    .kernarg_segment_align: 8
    .kernarg_segment_size: 144
    .language:       OpenCL C
    .language_version:
      - 2
      - 0
    .max_flat_workgroup_size: 256
    .name:           _ZN7rocprim17ROCPRIM_400000_NS6detail17trampoline_kernelINS0_13select_configILj256ELj13ELNS0_17block_load_methodE3ELS4_3ELS4_3ELNS0_20block_scan_algorithmE0ELj4294967295EEENS1_25partition_config_selectorILNS1_17partition_subalgoE3EjNS0_10empty_typeEbEEZZNS1_14partition_implILS8_3ELb0ES6_jNS0_17counting_iteratorIjlEEPS9_SE_NS0_5tupleIJPjSE_EEENSF_IJSE_SE_EEES9_SG_JZNS1_25segmented_radix_sort_implINS0_14default_configELb1EPKfPfPKlPlN2at6native12_GLOBAL__N_18offset_tEEE10hipError_tPvRmT1_PNSt15iterator_traitsISY_E10value_typeET2_T3_PNSZ_IS14_E10value_typeET4_jRbjT5_S1A_jjP12ihipStream_tbEUljE_EEESV_SW_SX_S14_S18_S1A_T6_T7_T9_mT8_S1C_bDpT10_ENKUlT_T0_E_clISt17integral_constantIbLb1EES1O_IbLb0EEEEDaS1K_S1L_EUlS1K_E_NS1_11comp_targetILNS1_3genE5ELNS1_11target_archE942ELNS1_3gpuE9ELNS1_3repE0EEENS1_30default_config_static_selectorELNS0_4arch9wavefront6targetE1EEEvSY_
    .private_segment_fixed_size: 0
    .sgpr_count:     4
    .sgpr_spill_count: 0
    .symbol:         _ZN7rocprim17ROCPRIM_400000_NS6detail17trampoline_kernelINS0_13select_configILj256ELj13ELNS0_17block_load_methodE3ELS4_3ELS4_3ELNS0_20block_scan_algorithmE0ELj4294967295EEENS1_25partition_config_selectorILNS1_17partition_subalgoE3EjNS0_10empty_typeEbEEZZNS1_14partition_implILS8_3ELb0ES6_jNS0_17counting_iteratorIjlEEPS9_SE_NS0_5tupleIJPjSE_EEENSF_IJSE_SE_EEES9_SG_JZNS1_25segmented_radix_sort_implINS0_14default_configELb1EPKfPfPKlPlN2at6native12_GLOBAL__N_18offset_tEEE10hipError_tPvRmT1_PNSt15iterator_traitsISY_E10value_typeET2_T3_PNSZ_IS14_E10value_typeET4_jRbjT5_S1A_jjP12ihipStream_tbEUljE_EEESV_SW_SX_S14_S18_S1A_T6_T7_T9_mT8_S1C_bDpT10_ENKUlT_T0_E_clISt17integral_constantIbLb1EES1O_IbLb0EEEEDaS1K_S1L_EUlS1K_E_NS1_11comp_targetILNS1_3genE5ELNS1_11target_archE942ELNS1_3gpuE9ELNS1_3repE0EEENS1_30default_config_static_selectorELNS0_4arch9wavefront6targetE1EEEvSY_.kd
    .uniform_work_group_size: 1
    .uses_dynamic_stack: false
    .vgpr_count:     0
    .vgpr_spill_count: 0
    .wavefront_size: 64
  - .args:
      - .offset:         0
        .size:           144
        .value_kind:     by_value
    .group_segment_fixed_size: 0
    .kernarg_segment_align: 8
    .kernarg_segment_size: 144
    .language:       OpenCL C
    .language_version:
      - 2
      - 0
    .max_flat_workgroup_size: 256
    .name:           _ZN7rocprim17ROCPRIM_400000_NS6detail17trampoline_kernelINS0_13select_configILj256ELj13ELNS0_17block_load_methodE3ELS4_3ELS4_3ELNS0_20block_scan_algorithmE0ELj4294967295EEENS1_25partition_config_selectorILNS1_17partition_subalgoE3EjNS0_10empty_typeEbEEZZNS1_14partition_implILS8_3ELb0ES6_jNS0_17counting_iteratorIjlEEPS9_SE_NS0_5tupleIJPjSE_EEENSF_IJSE_SE_EEES9_SG_JZNS1_25segmented_radix_sort_implINS0_14default_configELb1EPKfPfPKlPlN2at6native12_GLOBAL__N_18offset_tEEE10hipError_tPvRmT1_PNSt15iterator_traitsISY_E10value_typeET2_T3_PNSZ_IS14_E10value_typeET4_jRbjT5_S1A_jjP12ihipStream_tbEUljE_EEESV_SW_SX_S14_S18_S1A_T6_T7_T9_mT8_S1C_bDpT10_ENKUlT_T0_E_clISt17integral_constantIbLb1EES1O_IbLb0EEEEDaS1K_S1L_EUlS1K_E_NS1_11comp_targetILNS1_3genE4ELNS1_11target_archE910ELNS1_3gpuE8ELNS1_3repE0EEENS1_30default_config_static_selectorELNS0_4arch9wavefront6targetE1EEEvSY_
    .private_segment_fixed_size: 0
    .sgpr_count:     4
    .sgpr_spill_count: 0
    .symbol:         _ZN7rocprim17ROCPRIM_400000_NS6detail17trampoline_kernelINS0_13select_configILj256ELj13ELNS0_17block_load_methodE3ELS4_3ELS4_3ELNS0_20block_scan_algorithmE0ELj4294967295EEENS1_25partition_config_selectorILNS1_17partition_subalgoE3EjNS0_10empty_typeEbEEZZNS1_14partition_implILS8_3ELb0ES6_jNS0_17counting_iteratorIjlEEPS9_SE_NS0_5tupleIJPjSE_EEENSF_IJSE_SE_EEES9_SG_JZNS1_25segmented_radix_sort_implINS0_14default_configELb1EPKfPfPKlPlN2at6native12_GLOBAL__N_18offset_tEEE10hipError_tPvRmT1_PNSt15iterator_traitsISY_E10value_typeET2_T3_PNSZ_IS14_E10value_typeET4_jRbjT5_S1A_jjP12ihipStream_tbEUljE_EEESV_SW_SX_S14_S18_S1A_T6_T7_T9_mT8_S1C_bDpT10_ENKUlT_T0_E_clISt17integral_constantIbLb1EES1O_IbLb0EEEEDaS1K_S1L_EUlS1K_E_NS1_11comp_targetILNS1_3genE4ELNS1_11target_archE910ELNS1_3gpuE8ELNS1_3repE0EEENS1_30default_config_static_selectorELNS0_4arch9wavefront6targetE1EEEvSY_.kd
    .uniform_work_group_size: 1
    .uses_dynamic_stack: false
    .vgpr_count:     0
    .vgpr_spill_count: 0
    .wavefront_size: 64
  - .args:
      - .offset:         0
        .size:           144
        .value_kind:     by_value
    .group_segment_fixed_size: 0
    .kernarg_segment_align: 8
    .kernarg_segment_size: 144
    .language:       OpenCL C
    .language_version:
      - 2
      - 0
    .max_flat_workgroup_size: 256
    .name:           _ZN7rocprim17ROCPRIM_400000_NS6detail17trampoline_kernelINS0_13select_configILj256ELj13ELNS0_17block_load_methodE3ELS4_3ELS4_3ELNS0_20block_scan_algorithmE0ELj4294967295EEENS1_25partition_config_selectorILNS1_17partition_subalgoE3EjNS0_10empty_typeEbEEZZNS1_14partition_implILS8_3ELb0ES6_jNS0_17counting_iteratorIjlEEPS9_SE_NS0_5tupleIJPjSE_EEENSF_IJSE_SE_EEES9_SG_JZNS1_25segmented_radix_sort_implINS0_14default_configELb1EPKfPfPKlPlN2at6native12_GLOBAL__N_18offset_tEEE10hipError_tPvRmT1_PNSt15iterator_traitsISY_E10value_typeET2_T3_PNSZ_IS14_E10value_typeET4_jRbjT5_S1A_jjP12ihipStream_tbEUljE_EEESV_SW_SX_S14_S18_S1A_T6_T7_T9_mT8_S1C_bDpT10_ENKUlT_T0_E_clISt17integral_constantIbLb1EES1O_IbLb0EEEEDaS1K_S1L_EUlS1K_E_NS1_11comp_targetILNS1_3genE3ELNS1_11target_archE908ELNS1_3gpuE7ELNS1_3repE0EEENS1_30default_config_static_selectorELNS0_4arch9wavefront6targetE1EEEvSY_
    .private_segment_fixed_size: 0
    .sgpr_count:     4
    .sgpr_spill_count: 0
    .symbol:         _ZN7rocprim17ROCPRIM_400000_NS6detail17trampoline_kernelINS0_13select_configILj256ELj13ELNS0_17block_load_methodE3ELS4_3ELS4_3ELNS0_20block_scan_algorithmE0ELj4294967295EEENS1_25partition_config_selectorILNS1_17partition_subalgoE3EjNS0_10empty_typeEbEEZZNS1_14partition_implILS8_3ELb0ES6_jNS0_17counting_iteratorIjlEEPS9_SE_NS0_5tupleIJPjSE_EEENSF_IJSE_SE_EEES9_SG_JZNS1_25segmented_radix_sort_implINS0_14default_configELb1EPKfPfPKlPlN2at6native12_GLOBAL__N_18offset_tEEE10hipError_tPvRmT1_PNSt15iterator_traitsISY_E10value_typeET2_T3_PNSZ_IS14_E10value_typeET4_jRbjT5_S1A_jjP12ihipStream_tbEUljE_EEESV_SW_SX_S14_S18_S1A_T6_T7_T9_mT8_S1C_bDpT10_ENKUlT_T0_E_clISt17integral_constantIbLb1EES1O_IbLb0EEEEDaS1K_S1L_EUlS1K_E_NS1_11comp_targetILNS1_3genE3ELNS1_11target_archE908ELNS1_3gpuE7ELNS1_3repE0EEENS1_30default_config_static_selectorELNS0_4arch9wavefront6targetE1EEEvSY_.kd
    .uniform_work_group_size: 1
    .uses_dynamic_stack: false
    .vgpr_count:     0
    .vgpr_spill_count: 0
    .wavefront_size: 64
  - .args:
      - .offset:         0
        .size:           144
        .value_kind:     by_value
    .group_segment_fixed_size: 0
    .kernarg_segment_align: 8
    .kernarg_segment_size: 144
    .language:       OpenCL C
    .language_version:
      - 2
      - 0
    .max_flat_workgroup_size: 256
    .name:           _ZN7rocprim17ROCPRIM_400000_NS6detail17trampoline_kernelINS0_13select_configILj256ELj13ELNS0_17block_load_methodE3ELS4_3ELS4_3ELNS0_20block_scan_algorithmE0ELj4294967295EEENS1_25partition_config_selectorILNS1_17partition_subalgoE3EjNS0_10empty_typeEbEEZZNS1_14partition_implILS8_3ELb0ES6_jNS0_17counting_iteratorIjlEEPS9_SE_NS0_5tupleIJPjSE_EEENSF_IJSE_SE_EEES9_SG_JZNS1_25segmented_radix_sort_implINS0_14default_configELb1EPKfPfPKlPlN2at6native12_GLOBAL__N_18offset_tEEE10hipError_tPvRmT1_PNSt15iterator_traitsISY_E10value_typeET2_T3_PNSZ_IS14_E10value_typeET4_jRbjT5_S1A_jjP12ihipStream_tbEUljE_EEESV_SW_SX_S14_S18_S1A_T6_T7_T9_mT8_S1C_bDpT10_ENKUlT_T0_E_clISt17integral_constantIbLb1EES1O_IbLb0EEEEDaS1K_S1L_EUlS1K_E_NS1_11comp_targetILNS1_3genE2ELNS1_11target_archE906ELNS1_3gpuE6ELNS1_3repE0EEENS1_30default_config_static_selectorELNS0_4arch9wavefront6targetE1EEEvSY_
    .private_segment_fixed_size: 0
    .sgpr_count:     4
    .sgpr_spill_count: 0
    .symbol:         _ZN7rocprim17ROCPRIM_400000_NS6detail17trampoline_kernelINS0_13select_configILj256ELj13ELNS0_17block_load_methodE3ELS4_3ELS4_3ELNS0_20block_scan_algorithmE0ELj4294967295EEENS1_25partition_config_selectorILNS1_17partition_subalgoE3EjNS0_10empty_typeEbEEZZNS1_14partition_implILS8_3ELb0ES6_jNS0_17counting_iteratorIjlEEPS9_SE_NS0_5tupleIJPjSE_EEENSF_IJSE_SE_EEES9_SG_JZNS1_25segmented_radix_sort_implINS0_14default_configELb1EPKfPfPKlPlN2at6native12_GLOBAL__N_18offset_tEEE10hipError_tPvRmT1_PNSt15iterator_traitsISY_E10value_typeET2_T3_PNSZ_IS14_E10value_typeET4_jRbjT5_S1A_jjP12ihipStream_tbEUljE_EEESV_SW_SX_S14_S18_S1A_T6_T7_T9_mT8_S1C_bDpT10_ENKUlT_T0_E_clISt17integral_constantIbLb1EES1O_IbLb0EEEEDaS1K_S1L_EUlS1K_E_NS1_11comp_targetILNS1_3genE2ELNS1_11target_archE906ELNS1_3gpuE6ELNS1_3repE0EEENS1_30default_config_static_selectorELNS0_4arch9wavefront6targetE1EEEvSY_.kd
    .uniform_work_group_size: 1
    .uses_dynamic_stack: false
    .vgpr_count:     0
    .vgpr_spill_count: 0
    .wavefront_size: 64
  - .args:
      - .offset:         0
        .size:           144
        .value_kind:     by_value
    .group_segment_fixed_size: 0
    .kernarg_segment_align: 8
    .kernarg_segment_size: 144
    .language:       OpenCL C
    .language_version:
      - 2
      - 0
    .max_flat_workgroup_size: 256
    .name:           _ZN7rocprim17ROCPRIM_400000_NS6detail17trampoline_kernelINS0_13select_configILj256ELj13ELNS0_17block_load_methodE3ELS4_3ELS4_3ELNS0_20block_scan_algorithmE0ELj4294967295EEENS1_25partition_config_selectorILNS1_17partition_subalgoE3EjNS0_10empty_typeEbEEZZNS1_14partition_implILS8_3ELb0ES6_jNS0_17counting_iteratorIjlEEPS9_SE_NS0_5tupleIJPjSE_EEENSF_IJSE_SE_EEES9_SG_JZNS1_25segmented_radix_sort_implINS0_14default_configELb1EPKfPfPKlPlN2at6native12_GLOBAL__N_18offset_tEEE10hipError_tPvRmT1_PNSt15iterator_traitsISY_E10value_typeET2_T3_PNSZ_IS14_E10value_typeET4_jRbjT5_S1A_jjP12ihipStream_tbEUljE_EEESV_SW_SX_S14_S18_S1A_T6_T7_T9_mT8_S1C_bDpT10_ENKUlT_T0_E_clISt17integral_constantIbLb1EES1O_IbLb0EEEEDaS1K_S1L_EUlS1K_E_NS1_11comp_targetILNS1_3genE10ELNS1_11target_archE1200ELNS1_3gpuE4ELNS1_3repE0EEENS1_30default_config_static_selectorELNS0_4arch9wavefront6targetE1EEEvSY_
    .private_segment_fixed_size: 0
    .sgpr_count:     4
    .sgpr_spill_count: 0
    .symbol:         _ZN7rocprim17ROCPRIM_400000_NS6detail17trampoline_kernelINS0_13select_configILj256ELj13ELNS0_17block_load_methodE3ELS4_3ELS4_3ELNS0_20block_scan_algorithmE0ELj4294967295EEENS1_25partition_config_selectorILNS1_17partition_subalgoE3EjNS0_10empty_typeEbEEZZNS1_14partition_implILS8_3ELb0ES6_jNS0_17counting_iteratorIjlEEPS9_SE_NS0_5tupleIJPjSE_EEENSF_IJSE_SE_EEES9_SG_JZNS1_25segmented_radix_sort_implINS0_14default_configELb1EPKfPfPKlPlN2at6native12_GLOBAL__N_18offset_tEEE10hipError_tPvRmT1_PNSt15iterator_traitsISY_E10value_typeET2_T3_PNSZ_IS14_E10value_typeET4_jRbjT5_S1A_jjP12ihipStream_tbEUljE_EEESV_SW_SX_S14_S18_S1A_T6_T7_T9_mT8_S1C_bDpT10_ENKUlT_T0_E_clISt17integral_constantIbLb1EES1O_IbLb0EEEEDaS1K_S1L_EUlS1K_E_NS1_11comp_targetILNS1_3genE10ELNS1_11target_archE1200ELNS1_3gpuE4ELNS1_3repE0EEENS1_30default_config_static_selectorELNS0_4arch9wavefront6targetE1EEEvSY_.kd
    .uniform_work_group_size: 1
    .uses_dynamic_stack: false
    .vgpr_count:     0
    .vgpr_spill_count: 0
    .wavefront_size: 64
  - .args:
      - .offset:         0
        .size:           144
        .value_kind:     by_value
    .group_segment_fixed_size: 0
    .kernarg_segment_align: 8
    .kernarg_segment_size: 144
    .language:       OpenCL C
    .language_version:
      - 2
      - 0
    .max_flat_workgroup_size: 256
    .name:           _ZN7rocprim17ROCPRIM_400000_NS6detail17trampoline_kernelINS0_13select_configILj256ELj13ELNS0_17block_load_methodE3ELS4_3ELS4_3ELNS0_20block_scan_algorithmE0ELj4294967295EEENS1_25partition_config_selectorILNS1_17partition_subalgoE3EjNS0_10empty_typeEbEEZZNS1_14partition_implILS8_3ELb0ES6_jNS0_17counting_iteratorIjlEEPS9_SE_NS0_5tupleIJPjSE_EEENSF_IJSE_SE_EEES9_SG_JZNS1_25segmented_radix_sort_implINS0_14default_configELb1EPKfPfPKlPlN2at6native12_GLOBAL__N_18offset_tEEE10hipError_tPvRmT1_PNSt15iterator_traitsISY_E10value_typeET2_T3_PNSZ_IS14_E10value_typeET4_jRbjT5_S1A_jjP12ihipStream_tbEUljE_EEESV_SW_SX_S14_S18_S1A_T6_T7_T9_mT8_S1C_bDpT10_ENKUlT_T0_E_clISt17integral_constantIbLb1EES1O_IbLb0EEEEDaS1K_S1L_EUlS1K_E_NS1_11comp_targetILNS1_3genE9ELNS1_11target_archE1100ELNS1_3gpuE3ELNS1_3repE0EEENS1_30default_config_static_selectorELNS0_4arch9wavefront6targetE1EEEvSY_
    .private_segment_fixed_size: 0
    .sgpr_count:     4
    .sgpr_spill_count: 0
    .symbol:         _ZN7rocprim17ROCPRIM_400000_NS6detail17trampoline_kernelINS0_13select_configILj256ELj13ELNS0_17block_load_methodE3ELS4_3ELS4_3ELNS0_20block_scan_algorithmE0ELj4294967295EEENS1_25partition_config_selectorILNS1_17partition_subalgoE3EjNS0_10empty_typeEbEEZZNS1_14partition_implILS8_3ELb0ES6_jNS0_17counting_iteratorIjlEEPS9_SE_NS0_5tupleIJPjSE_EEENSF_IJSE_SE_EEES9_SG_JZNS1_25segmented_radix_sort_implINS0_14default_configELb1EPKfPfPKlPlN2at6native12_GLOBAL__N_18offset_tEEE10hipError_tPvRmT1_PNSt15iterator_traitsISY_E10value_typeET2_T3_PNSZ_IS14_E10value_typeET4_jRbjT5_S1A_jjP12ihipStream_tbEUljE_EEESV_SW_SX_S14_S18_S1A_T6_T7_T9_mT8_S1C_bDpT10_ENKUlT_T0_E_clISt17integral_constantIbLb1EES1O_IbLb0EEEEDaS1K_S1L_EUlS1K_E_NS1_11comp_targetILNS1_3genE9ELNS1_11target_archE1100ELNS1_3gpuE3ELNS1_3repE0EEENS1_30default_config_static_selectorELNS0_4arch9wavefront6targetE1EEEvSY_.kd
    .uniform_work_group_size: 1
    .uses_dynamic_stack: false
    .vgpr_count:     0
    .vgpr_spill_count: 0
    .wavefront_size: 64
  - .args:
      - .offset:         0
        .size:           144
        .value_kind:     by_value
    .group_segment_fixed_size: 0
    .kernarg_segment_align: 8
    .kernarg_segment_size: 144
    .language:       OpenCL C
    .language_version:
      - 2
      - 0
    .max_flat_workgroup_size: 256
    .name:           _ZN7rocprim17ROCPRIM_400000_NS6detail17trampoline_kernelINS0_13select_configILj256ELj13ELNS0_17block_load_methodE3ELS4_3ELS4_3ELNS0_20block_scan_algorithmE0ELj4294967295EEENS1_25partition_config_selectorILNS1_17partition_subalgoE3EjNS0_10empty_typeEbEEZZNS1_14partition_implILS8_3ELb0ES6_jNS0_17counting_iteratorIjlEEPS9_SE_NS0_5tupleIJPjSE_EEENSF_IJSE_SE_EEES9_SG_JZNS1_25segmented_radix_sort_implINS0_14default_configELb1EPKfPfPKlPlN2at6native12_GLOBAL__N_18offset_tEEE10hipError_tPvRmT1_PNSt15iterator_traitsISY_E10value_typeET2_T3_PNSZ_IS14_E10value_typeET4_jRbjT5_S1A_jjP12ihipStream_tbEUljE_EEESV_SW_SX_S14_S18_S1A_T6_T7_T9_mT8_S1C_bDpT10_ENKUlT_T0_E_clISt17integral_constantIbLb1EES1O_IbLb0EEEEDaS1K_S1L_EUlS1K_E_NS1_11comp_targetILNS1_3genE8ELNS1_11target_archE1030ELNS1_3gpuE2ELNS1_3repE0EEENS1_30default_config_static_selectorELNS0_4arch9wavefront6targetE1EEEvSY_
    .private_segment_fixed_size: 0
    .sgpr_count:     4
    .sgpr_spill_count: 0
    .symbol:         _ZN7rocprim17ROCPRIM_400000_NS6detail17trampoline_kernelINS0_13select_configILj256ELj13ELNS0_17block_load_methodE3ELS4_3ELS4_3ELNS0_20block_scan_algorithmE0ELj4294967295EEENS1_25partition_config_selectorILNS1_17partition_subalgoE3EjNS0_10empty_typeEbEEZZNS1_14partition_implILS8_3ELb0ES6_jNS0_17counting_iteratorIjlEEPS9_SE_NS0_5tupleIJPjSE_EEENSF_IJSE_SE_EEES9_SG_JZNS1_25segmented_radix_sort_implINS0_14default_configELb1EPKfPfPKlPlN2at6native12_GLOBAL__N_18offset_tEEE10hipError_tPvRmT1_PNSt15iterator_traitsISY_E10value_typeET2_T3_PNSZ_IS14_E10value_typeET4_jRbjT5_S1A_jjP12ihipStream_tbEUljE_EEESV_SW_SX_S14_S18_S1A_T6_T7_T9_mT8_S1C_bDpT10_ENKUlT_T0_E_clISt17integral_constantIbLb1EES1O_IbLb0EEEEDaS1K_S1L_EUlS1K_E_NS1_11comp_targetILNS1_3genE8ELNS1_11target_archE1030ELNS1_3gpuE2ELNS1_3repE0EEENS1_30default_config_static_selectorELNS0_4arch9wavefront6targetE1EEEvSY_.kd
    .uniform_work_group_size: 1
    .uses_dynamic_stack: false
    .vgpr_count:     0
    .vgpr_spill_count: 0
    .wavefront_size: 64
  - .args:
      - .offset:         0
        .size:           152
        .value_kind:     by_value
    .group_segment_fixed_size: 0
    .kernarg_segment_align: 8
    .kernarg_segment_size: 152
    .language:       OpenCL C
    .language_version:
      - 2
      - 0
    .max_flat_workgroup_size: 256
    .name:           _ZN7rocprim17ROCPRIM_400000_NS6detail17trampoline_kernelINS0_13select_configILj256ELj13ELNS0_17block_load_methodE3ELS4_3ELS4_3ELNS0_20block_scan_algorithmE0ELj4294967295EEENS1_25partition_config_selectorILNS1_17partition_subalgoE3EjNS0_10empty_typeEbEEZZNS1_14partition_implILS8_3ELb0ES6_jNS0_17counting_iteratorIjlEEPS9_SE_NS0_5tupleIJPjSE_EEENSF_IJSE_SE_EEES9_SG_JZNS1_25segmented_radix_sort_implINS0_14default_configELb1EPKfPfPKlPlN2at6native12_GLOBAL__N_18offset_tEEE10hipError_tPvRmT1_PNSt15iterator_traitsISY_E10value_typeET2_T3_PNSZ_IS14_E10value_typeET4_jRbjT5_S1A_jjP12ihipStream_tbEUljE_EEESV_SW_SX_S14_S18_S1A_T6_T7_T9_mT8_S1C_bDpT10_ENKUlT_T0_E_clISt17integral_constantIbLb0EES1O_IbLb1EEEEDaS1K_S1L_EUlS1K_E_NS1_11comp_targetILNS1_3genE0ELNS1_11target_archE4294967295ELNS1_3gpuE0ELNS1_3repE0EEENS1_30default_config_static_selectorELNS0_4arch9wavefront6targetE1EEEvSY_
    .private_segment_fixed_size: 0
    .sgpr_count:     4
    .sgpr_spill_count: 0
    .symbol:         _ZN7rocprim17ROCPRIM_400000_NS6detail17trampoline_kernelINS0_13select_configILj256ELj13ELNS0_17block_load_methodE3ELS4_3ELS4_3ELNS0_20block_scan_algorithmE0ELj4294967295EEENS1_25partition_config_selectorILNS1_17partition_subalgoE3EjNS0_10empty_typeEbEEZZNS1_14partition_implILS8_3ELb0ES6_jNS0_17counting_iteratorIjlEEPS9_SE_NS0_5tupleIJPjSE_EEENSF_IJSE_SE_EEES9_SG_JZNS1_25segmented_radix_sort_implINS0_14default_configELb1EPKfPfPKlPlN2at6native12_GLOBAL__N_18offset_tEEE10hipError_tPvRmT1_PNSt15iterator_traitsISY_E10value_typeET2_T3_PNSZ_IS14_E10value_typeET4_jRbjT5_S1A_jjP12ihipStream_tbEUljE_EEESV_SW_SX_S14_S18_S1A_T6_T7_T9_mT8_S1C_bDpT10_ENKUlT_T0_E_clISt17integral_constantIbLb0EES1O_IbLb1EEEEDaS1K_S1L_EUlS1K_E_NS1_11comp_targetILNS1_3genE0ELNS1_11target_archE4294967295ELNS1_3gpuE0ELNS1_3repE0EEENS1_30default_config_static_selectorELNS0_4arch9wavefront6targetE1EEEvSY_.kd
    .uniform_work_group_size: 1
    .uses_dynamic_stack: false
    .vgpr_count:     0
    .vgpr_spill_count: 0
    .wavefront_size: 64
  - .args:
      - .offset:         0
        .size:           152
        .value_kind:     by_value
    .group_segment_fixed_size: 0
    .kernarg_segment_align: 8
    .kernarg_segment_size: 152
    .language:       OpenCL C
    .language_version:
      - 2
      - 0
    .max_flat_workgroup_size: 256
    .name:           _ZN7rocprim17ROCPRIM_400000_NS6detail17trampoline_kernelINS0_13select_configILj256ELj13ELNS0_17block_load_methodE3ELS4_3ELS4_3ELNS0_20block_scan_algorithmE0ELj4294967295EEENS1_25partition_config_selectorILNS1_17partition_subalgoE3EjNS0_10empty_typeEbEEZZNS1_14partition_implILS8_3ELb0ES6_jNS0_17counting_iteratorIjlEEPS9_SE_NS0_5tupleIJPjSE_EEENSF_IJSE_SE_EEES9_SG_JZNS1_25segmented_radix_sort_implINS0_14default_configELb1EPKfPfPKlPlN2at6native12_GLOBAL__N_18offset_tEEE10hipError_tPvRmT1_PNSt15iterator_traitsISY_E10value_typeET2_T3_PNSZ_IS14_E10value_typeET4_jRbjT5_S1A_jjP12ihipStream_tbEUljE_EEESV_SW_SX_S14_S18_S1A_T6_T7_T9_mT8_S1C_bDpT10_ENKUlT_T0_E_clISt17integral_constantIbLb0EES1O_IbLb1EEEEDaS1K_S1L_EUlS1K_E_NS1_11comp_targetILNS1_3genE5ELNS1_11target_archE942ELNS1_3gpuE9ELNS1_3repE0EEENS1_30default_config_static_selectorELNS0_4arch9wavefront6targetE1EEEvSY_
    .private_segment_fixed_size: 0
    .sgpr_count:     4
    .sgpr_spill_count: 0
    .symbol:         _ZN7rocprim17ROCPRIM_400000_NS6detail17trampoline_kernelINS0_13select_configILj256ELj13ELNS0_17block_load_methodE3ELS4_3ELS4_3ELNS0_20block_scan_algorithmE0ELj4294967295EEENS1_25partition_config_selectorILNS1_17partition_subalgoE3EjNS0_10empty_typeEbEEZZNS1_14partition_implILS8_3ELb0ES6_jNS0_17counting_iteratorIjlEEPS9_SE_NS0_5tupleIJPjSE_EEENSF_IJSE_SE_EEES9_SG_JZNS1_25segmented_radix_sort_implINS0_14default_configELb1EPKfPfPKlPlN2at6native12_GLOBAL__N_18offset_tEEE10hipError_tPvRmT1_PNSt15iterator_traitsISY_E10value_typeET2_T3_PNSZ_IS14_E10value_typeET4_jRbjT5_S1A_jjP12ihipStream_tbEUljE_EEESV_SW_SX_S14_S18_S1A_T6_T7_T9_mT8_S1C_bDpT10_ENKUlT_T0_E_clISt17integral_constantIbLb0EES1O_IbLb1EEEEDaS1K_S1L_EUlS1K_E_NS1_11comp_targetILNS1_3genE5ELNS1_11target_archE942ELNS1_3gpuE9ELNS1_3repE0EEENS1_30default_config_static_selectorELNS0_4arch9wavefront6targetE1EEEvSY_.kd
    .uniform_work_group_size: 1
    .uses_dynamic_stack: false
    .vgpr_count:     0
    .vgpr_spill_count: 0
    .wavefront_size: 64
  - .args:
      - .offset:         0
        .size:           152
        .value_kind:     by_value
    .group_segment_fixed_size: 0
    .kernarg_segment_align: 8
    .kernarg_segment_size: 152
    .language:       OpenCL C
    .language_version:
      - 2
      - 0
    .max_flat_workgroup_size: 256
    .name:           _ZN7rocprim17ROCPRIM_400000_NS6detail17trampoline_kernelINS0_13select_configILj256ELj13ELNS0_17block_load_methodE3ELS4_3ELS4_3ELNS0_20block_scan_algorithmE0ELj4294967295EEENS1_25partition_config_selectorILNS1_17partition_subalgoE3EjNS0_10empty_typeEbEEZZNS1_14partition_implILS8_3ELb0ES6_jNS0_17counting_iteratorIjlEEPS9_SE_NS0_5tupleIJPjSE_EEENSF_IJSE_SE_EEES9_SG_JZNS1_25segmented_radix_sort_implINS0_14default_configELb1EPKfPfPKlPlN2at6native12_GLOBAL__N_18offset_tEEE10hipError_tPvRmT1_PNSt15iterator_traitsISY_E10value_typeET2_T3_PNSZ_IS14_E10value_typeET4_jRbjT5_S1A_jjP12ihipStream_tbEUljE_EEESV_SW_SX_S14_S18_S1A_T6_T7_T9_mT8_S1C_bDpT10_ENKUlT_T0_E_clISt17integral_constantIbLb0EES1O_IbLb1EEEEDaS1K_S1L_EUlS1K_E_NS1_11comp_targetILNS1_3genE4ELNS1_11target_archE910ELNS1_3gpuE8ELNS1_3repE0EEENS1_30default_config_static_selectorELNS0_4arch9wavefront6targetE1EEEvSY_
    .private_segment_fixed_size: 0
    .sgpr_count:     4
    .sgpr_spill_count: 0
    .symbol:         _ZN7rocprim17ROCPRIM_400000_NS6detail17trampoline_kernelINS0_13select_configILj256ELj13ELNS0_17block_load_methodE3ELS4_3ELS4_3ELNS0_20block_scan_algorithmE0ELj4294967295EEENS1_25partition_config_selectorILNS1_17partition_subalgoE3EjNS0_10empty_typeEbEEZZNS1_14partition_implILS8_3ELb0ES6_jNS0_17counting_iteratorIjlEEPS9_SE_NS0_5tupleIJPjSE_EEENSF_IJSE_SE_EEES9_SG_JZNS1_25segmented_radix_sort_implINS0_14default_configELb1EPKfPfPKlPlN2at6native12_GLOBAL__N_18offset_tEEE10hipError_tPvRmT1_PNSt15iterator_traitsISY_E10value_typeET2_T3_PNSZ_IS14_E10value_typeET4_jRbjT5_S1A_jjP12ihipStream_tbEUljE_EEESV_SW_SX_S14_S18_S1A_T6_T7_T9_mT8_S1C_bDpT10_ENKUlT_T0_E_clISt17integral_constantIbLb0EES1O_IbLb1EEEEDaS1K_S1L_EUlS1K_E_NS1_11comp_targetILNS1_3genE4ELNS1_11target_archE910ELNS1_3gpuE8ELNS1_3repE0EEENS1_30default_config_static_selectorELNS0_4arch9wavefront6targetE1EEEvSY_.kd
    .uniform_work_group_size: 1
    .uses_dynamic_stack: false
    .vgpr_count:     0
    .vgpr_spill_count: 0
    .wavefront_size: 64
  - .args:
      - .offset:         0
        .size:           152
        .value_kind:     by_value
    .group_segment_fixed_size: 0
    .kernarg_segment_align: 8
    .kernarg_segment_size: 152
    .language:       OpenCL C
    .language_version:
      - 2
      - 0
    .max_flat_workgroup_size: 256
    .name:           _ZN7rocprim17ROCPRIM_400000_NS6detail17trampoline_kernelINS0_13select_configILj256ELj13ELNS0_17block_load_methodE3ELS4_3ELS4_3ELNS0_20block_scan_algorithmE0ELj4294967295EEENS1_25partition_config_selectorILNS1_17partition_subalgoE3EjNS0_10empty_typeEbEEZZNS1_14partition_implILS8_3ELb0ES6_jNS0_17counting_iteratorIjlEEPS9_SE_NS0_5tupleIJPjSE_EEENSF_IJSE_SE_EEES9_SG_JZNS1_25segmented_radix_sort_implINS0_14default_configELb1EPKfPfPKlPlN2at6native12_GLOBAL__N_18offset_tEEE10hipError_tPvRmT1_PNSt15iterator_traitsISY_E10value_typeET2_T3_PNSZ_IS14_E10value_typeET4_jRbjT5_S1A_jjP12ihipStream_tbEUljE_EEESV_SW_SX_S14_S18_S1A_T6_T7_T9_mT8_S1C_bDpT10_ENKUlT_T0_E_clISt17integral_constantIbLb0EES1O_IbLb1EEEEDaS1K_S1L_EUlS1K_E_NS1_11comp_targetILNS1_3genE3ELNS1_11target_archE908ELNS1_3gpuE7ELNS1_3repE0EEENS1_30default_config_static_selectorELNS0_4arch9wavefront6targetE1EEEvSY_
    .private_segment_fixed_size: 0
    .sgpr_count:     4
    .sgpr_spill_count: 0
    .symbol:         _ZN7rocprim17ROCPRIM_400000_NS6detail17trampoline_kernelINS0_13select_configILj256ELj13ELNS0_17block_load_methodE3ELS4_3ELS4_3ELNS0_20block_scan_algorithmE0ELj4294967295EEENS1_25partition_config_selectorILNS1_17partition_subalgoE3EjNS0_10empty_typeEbEEZZNS1_14partition_implILS8_3ELb0ES6_jNS0_17counting_iteratorIjlEEPS9_SE_NS0_5tupleIJPjSE_EEENSF_IJSE_SE_EEES9_SG_JZNS1_25segmented_radix_sort_implINS0_14default_configELb1EPKfPfPKlPlN2at6native12_GLOBAL__N_18offset_tEEE10hipError_tPvRmT1_PNSt15iterator_traitsISY_E10value_typeET2_T3_PNSZ_IS14_E10value_typeET4_jRbjT5_S1A_jjP12ihipStream_tbEUljE_EEESV_SW_SX_S14_S18_S1A_T6_T7_T9_mT8_S1C_bDpT10_ENKUlT_T0_E_clISt17integral_constantIbLb0EES1O_IbLb1EEEEDaS1K_S1L_EUlS1K_E_NS1_11comp_targetILNS1_3genE3ELNS1_11target_archE908ELNS1_3gpuE7ELNS1_3repE0EEENS1_30default_config_static_selectorELNS0_4arch9wavefront6targetE1EEEvSY_.kd
    .uniform_work_group_size: 1
    .uses_dynamic_stack: false
    .vgpr_count:     0
    .vgpr_spill_count: 0
    .wavefront_size: 64
  - .args:
      - .offset:         0
        .size:           152
        .value_kind:     by_value
    .group_segment_fixed_size: 13320
    .kernarg_segment_align: 8
    .kernarg_segment_size: 152
    .language:       OpenCL C
    .language_version:
      - 2
      - 0
    .max_flat_workgroup_size: 256
    .name:           _ZN7rocprim17ROCPRIM_400000_NS6detail17trampoline_kernelINS0_13select_configILj256ELj13ELNS0_17block_load_methodE3ELS4_3ELS4_3ELNS0_20block_scan_algorithmE0ELj4294967295EEENS1_25partition_config_selectorILNS1_17partition_subalgoE3EjNS0_10empty_typeEbEEZZNS1_14partition_implILS8_3ELb0ES6_jNS0_17counting_iteratorIjlEEPS9_SE_NS0_5tupleIJPjSE_EEENSF_IJSE_SE_EEES9_SG_JZNS1_25segmented_radix_sort_implINS0_14default_configELb1EPKfPfPKlPlN2at6native12_GLOBAL__N_18offset_tEEE10hipError_tPvRmT1_PNSt15iterator_traitsISY_E10value_typeET2_T3_PNSZ_IS14_E10value_typeET4_jRbjT5_S1A_jjP12ihipStream_tbEUljE_EEESV_SW_SX_S14_S18_S1A_T6_T7_T9_mT8_S1C_bDpT10_ENKUlT_T0_E_clISt17integral_constantIbLb0EES1O_IbLb1EEEEDaS1K_S1L_EUlS1K_E_NS1_11comp_targetILNS1_3genE2ELNS1_11target_archE906ELNS1_3gpuE6ELNS1_3repE0EEENS1_30default_config_static_selectorELNS0_4arch9wavefront6targetE1EEEvSY_
    .private_segment_fixed_size: 0
    .sgpr_count:     50
    .sgpr_spill_count: 0
    .symbol:         _ZN7rocprim17ROCPRIM_400000_NS6detail17trampoline_kernelINS0_13select_configILj256ELj13ELNS0_17block_load_methodE3ELS4_3ELS4_3ELNS0_20block_scan_algorithmE0ELj4294967295EEENS1_25partition_config_selectorILNS1_17partition_subalgoE3EjNS0_10empty_typeEbEEZZNS1_14partition_implILS8_3ELb0ES6_jNS0_17counting_iteratorIjlEEPS9_SE_NS0_5tupleIJPjSE_EEENSF_IJSE_SE_EEES9_SG_JZNS1_25segmented_radix_sort_implINS0_14default_configELb1EPKfPfPKlPlN2at6native12_GLOBAL__N_18offset_tEEE10hipError_tPvRmT1_PNSt15iterator_traitsISY_E10value_typeET2_T3_PNSZ_IS14_E10value_typeET4_jRbjT5_S1A_jjP12ihipStream_tbEUljE_EEESV_SW_SX_S14_S18_S1A_T6_T7_T9_mT8_S1C_bDpT10_ENKUlT_T0_E_clISt17integral_constantIbLb0EES1O_IbLb1EEEEDaS1K_S1L_EUlS1K_E_NS1_11comp_targetILNS1_3genE2ELNS1_11target_archE906ELNS1_3gpuE6ELNS1_3repE0EEENS1_30default_config_static_selectorELNS0_4arch9wavefront6targetE1EEEvSY_.kd
    .uniform_work_group_size: 1
    .uses_dynamic_stack: false
    .vgpr_count:     71
    .vgpr_spill_count: 0
    .wavefront_size: 64
  - .args:
      - .offset:         0
        .size:           152
        .value_kind:     by_value
    .group_segment_fixed_size: 0
    .kernarg_segment_align: 8
    .kernarg_segment_size: 152
    .language:       OpenCL C
    .language_version:
      - 2
      - 0
    .max_flat_workgroup_size: 256
    .name:           _ZN7rocprim17ROCPRIM_400000_NS6detail17trampoline_kernelINS0_13select_configILj256ELj13ELNS0_17block_load_methodE3ELS4_3ELS4_3ELNS0_20block_scan_algorithmE0ELj4294967295EEENS1_25partition_config_selectorILNS1_17partition_subalgoE3EjNS0_10empty_typeEbEEZZNS1_14partition_implILS8_3ELb0ES6_jNS0_17counting_iteratorIjlEEPS9_SE_NS0_5tupleIJPjSE_EEENSF_IJSE_SE_EEES9_SG_JZNS1_25segmented_radix_sort_implINS0_14default_configELb1EPKfPfPKlPlN2at6native12_GLOBAL__N_18offset_tEEE10hipError_tPvRmT1_PNSt15iterator_traitsISY_E10value_typeET2_T3_PNSZ_IS14_E10value_typeET4_jRbjT5_S1A_jjP12ihipStream_tbEUljE_EEESV_SW_SX_S14_S18_S1A_T6_T7_T9_mT8_S1C_bDpT10_ENKUlT_T0_E_clISt17integral_constantIbLb0EES1O_IbLb1EEEEDaS1K_S1L_EUlS1K_E_NS1_11comp_targetILNS1_3genE10ELNS1_11target_archE1200ELNS1_3gpuE4ELNS1_3repE0EEENS1_30default_config_static_selectorELNS0_4arch9wavefront6targetE1EEEvSY_
    .private_segment_fixed_size: 0
    .sgpr_count:     4
    .sgpr_spill_count: 0
    .symbol:         _ZN7rocprim17ROCPRIM_400000_NS6detail17trampoline_kernelINS0_13select_configILj256ELj13ELNS0_17block_load_methodE3ELS4_3ELS4_3ELNS0_20block_scan_algorithmE0ELj4294967295EEENS1_25partition_config_selectorILNS1_17partition_subalgoE3EjNS0_10empty_typeEbEEZZNS1_14partition_implILS8_3ELb0ES6_jNS0_17counting_iteratorIjlEEPS9_SE_NS0_5tupleIJPjSE_EEENSF_IJSE_SE_EEES9_SG_JZNS1_25segmented_radix_sort_implINS0_14default_configELb1EPKfPfPKlPlN2at6native12_GLOBAL__N_18offset_tEEE10hipError_tPvRmT1_PNSt15iterator_traitsISY_E10value_typeET2_T3_PNSZ_IS14_E10value_typeET4_jRbjT5_S1A_jjP12ihipStream_tbEUljE_EEESV_SW_SX_S14_S18_S1A_T6_T7_T9_mT8_S1C_bDpT10_ENKUlT_T0_E_clISt17integral_constantIbLb0EES1O_IbLb1EEEEDaS1K_S1L_EUlS1K_E_NS1_11comp_targetILNS1_3genE10ELNS1_11target_archE1200ELNS1_3gpuE4ELNS1_3repE0EEENS1_30default_config_static_selectorELNS0_4arch9wavefront6targetE1EEEvSY_.kd
    .uniform_work_group_size: 1
    .uses_dynamic_stack: false
    .vgpr_count:     0
    .vgpr_spill_count: 0
    .wavefront_size: 64
  - .args:
      - .offset:         0
        .size:           152
        .value_kind:     by_value
    .group_segment_fixed_size: 0
    .kernarg_segment_align: 8
    .kernarg_segment_size: 152
    .language:       OpenCL C
    .language_version:
      - 2
      - 0
    .max_flat_workgroup_size: 256
    .name:           _ZN7rocprim17ROCPRIM_400000_NS6detail17trampoline_kernelINS0_13select_configILj256ELj13ELNS0_17block_load_methodE3ELS4_3ELS4_3ELNS0_20block_scan_algorithmE0ELj4294967295EEENS1_25partition_config_selectorILNS1_17partition_subalgoE3EjNS0_10empty_typeEbEEZZNS1_14partition_implILS8_3ELb0ES6_jNS0_17counting_iteratorIjlEEPS9_SE_NS0_5tupleIJPjSE_EEENSF_IJSE_SE_EEES9_SG_JZNS1_25segmented_radix_sort_implINS0_14default_configELb1EPKfPfPKlPlN2at6native12_GLOBAL__N_18offset_tEEE10hipError_tPvRmT1_PNSt15iterator_traitsISY_E10value_typeET2_T3_PNSZ_IS14_E10value_typeET4_jRbjT5_S1A_jjP12ihipStream_tbEUljE_EEESV_SW_SX_S14_S18_S1A_T6_T7_T9_mT8_S1C_bDpT10_ENKUlT_T0_E_clISt17integral_constantIbLb0EES1O_IbLb1EEEEDaS1K_S1L_EUlS1K_E_NS1_11comp_targetILNS1_3genE9ELNS1_11target_archE1100ELNS1_3gpuE3ELNS1_3repE0EEENS1_30default_config_static_selectorELNS0_4arch9wavefront6targetE1EEEvSY_
    .private_segment_fixed_size: 0
    .sgpr_count:     4
    .sgpr_spill_count: 0
    .symbol:         _ZN7rocprim17ROCPRIM_400000_NS6detail17trampoline_kernelINS0_13select_configILj256ELj13ELNS0_17block_load_methodE3ELS4_3ELS4_3ELNS0_20block_scan_algorithmE0ELj4294967295EEENS1_25partition_config_selectorILNS1_17partition_subalgoE3EjNS0_10empty_typeEbEEZZNS1_14partition_implILS8_3ELb0ES6_jNS0_17counting_iteratorIjlEEPS9_SE_NS0_5tupleIJPjSE_EEENSF_IJSE_SE_EEES9_SG_JZNS1_25segmented_radix_sort_implINS0_14default_configELb1EPKfPfPKlPlN2at6native12_GLOBAL__N_18offset_tEEE10hipError_tPvRmT1_PNSt15iterator_traitsISY_E10value_typeET2_T3_PNSZ_IS14_E10value_typeET4_jRbjT5_S1A_jjP12ihipStream_tbEUljE_EEESV_SW_SX_S14_S18_S1A_T6_T7_T9_mT8_S1C_bDpT10_ENKUlT_T0_E_clISt17integral_constantIbLb0EES1O_IbLb1EEEEDaS1K_S1L_EUlS1K_E_NS1_11comp_targetILNS1_3genE9ELNS1_11target_archE1100ELNS1_3gpuE3ELNS1_3repE0EEENS1_30default_config_static_selectorELNS0_4arch9wavefront6targetE1EEEvSY_.kd
    .uniform_work_group_size: 1
    .uses_dynamic_stack: false
    .vgpr_count:     0
    .vgpr_spill_count: 0
    .wavefront_size: 64
  - .args:
      - .offset:         0
        .size:           152
        .value_kind:     by_value
    .group_segment_fixed_size: 0
    .kernarg_segment_align: 8
    .kernarg_segment_size: 152
    .language:       OpenCL C
    .language_version:
      - 2
      - 0
    .max_flat_workgroup_size: 256
    .name:           _ZN7rocprim17ROCPRIM_400000_NS6detail17trampoline_kernelINS0_13select_configILj256ELj13ELNS0_17block_load_methodE3ELS4_3ELS4_3ELNS0_20block_scan_algorithmE0ELj4294967295EEENS1_25partition_config_selectorILNS1_17partition_subalgoE3EjNS0_10empty_typeEbEEZZNS1_14partition_implILS8_3ELb0ES6_jNS0_17counting_iteratorIjlEEPS9_SE_NS0_5tupleIJPjSE_EEENSF_IJSE_SE_EEES9_SG_JZNS1_25segmented_radix_sort_implINS0_14default_configELb1EPKfPfPKlPlN2at6native12_GLOBAL__N_18offset_tEEE10hipError_tPvRmT1_PNSt15iterator_traitsISY_E10value_typeET2_T3_PNSZ_IS14_E10value_typeET4_jRbjT5_S1A_jjP12ihipStream_tbEUljE_EEESV_SW_SX_S14_S18_S1A_T6_T7_T9_mT8_S1C_bDpT10_ENKUlT_T0_E_clISt17integral_constantIbLb0EES1O_IbLb1EEEEDaS1K_S1L_EUlS1K_E_NS1_11comp_targetILNS1_3genE8ELNS1_11target_archE1030ELNS1_3gpuE2ELNS1_3repE0EEENS1_30default_config_static_selectorELNS0_4arch9wavefront6targetE1EEEvSY_
    .private_segment_fixed_size: 0
    .sgpr_count:     4
    .sgpr_spill_count: 0
    .symbol:         _ZN7rocprim17ROCPRIM_400000_NS6detail17trampoline_kernelINS0_13select_configILj256ELj13ELNS0_17block_load_methodE3ELS4_3ELS4_3ELNS0_20block_scan_algorithmE0ELj4294967295EEENS1_25partition_config_selectorILNS1_17partition_subalgoE3EjNS0_10empty_typeEbEEZZNS1_14partition_implILS8_3ELb0ES6_jNS0_17counting_iteratorIjlEEPS9_SE_NS0_5tupleIJPjSE_EEENSF_IJSE_SE_EEES9_SG_JZNS1_25segmented_radix_sort_implINS0_14default_configELb1EPKfPfPKlPlN2at6native12_GLOBAL__N_18offset_tEEE10hipError_tPvRmT1_PNSt15iterator_traitsISY_E10value_typeET2_T3_PNSZ_IS14_E10value_typeET4_jRbjT5_S1A_jjP12ihipStream_tbEUljE_EEESV_SW_SX_S14_S18_S1A_T6_T7_T9_mT8_S1C_bDpT10_ENKUlT_T0_E_clISt17integral_constantIbLb0EES1O_IbLb1EEEEDaS1K_S1L_EUlS1K_E_NS1_11comp_targetILNS1_3genE8ELNS1_11target_archE1030ELNS1_3gpuE2ELNS1_3repE0EEENS1_30default_config_static_selectorELNS0_4arch9wavefront6targetE1EEEvSY_.kd
    .uniform_work_group_size: 1
    .uses_dynamic_stack: false
    .vgpr_count:     0
    .vgpr_spill_count: 0
    .wavefront_size: 64
  - .args:
      - .offset:         0
        .size:           96
        .value_kind:     by_value
    .group_segment_fixed_size: 0
    .kernarg_segment_align: 8
    .kernarg_segment_size: 96
    .language:       OpenCL C
    .language_version:
      - 2
      - 0
    .max_flat_workgroup_size: 256
    .name:           _ZN7rocprim17ROCPRIM_400000_NS6detail17trampoline_kernelINS0_14default_configENS1_36segmented_radix_sort_config_selectorIflEEZNS1_25segmented_radix_sort_implIS3_Lb1EPKfPfPKlPlN2at6native12_GLOBAL__N_18offset_tEEE10hipError_tPvRmT1_PNSt15iterator_traitsISK_E10value_typeET2_T3_PNSL_ISQ_E10value_typeET4_jRbjT5_SW_jjP12ihipStream_tbEUlT_E_NS1_11comp_targetILNS1_3genE0ELNS1_11target_archE4294967295ELNS1_3gpuE0ELNS1_3repE0EEENS1_30default_config_static_selectorELNS0_4arch9wavefront6targetE1EEEvSK_
    .private_segment_fixed_size: 0
    .sgpr_count:     4
    .sgpr_spill_count: 0
    .symbol:         _ZN7rocprim17ROCPRIM_400000_NS6detail17trampoline_kernelINS0_14default_configENS1_36segmented_radix_sort_config_selectorIflEEZNS1_25segmented_radix_sort_implIS3_Lb1EPKfPfPKlPlN2at6native12_GLOBAL__N_18offset_tEEE10hipError_tPvRmT1_PNSt15iterator_traitsISK_E10value_typeET2_T3_PNSL_ISQ_E10value_typeET4_jRbjT5_SW_jjP12ihipStream_tbEUlT_E_NS1_11comp_targetILNS1_3genE0ELNS1_11target_archE4294967295ELNS1_3gpuE0ELNS1_3repE0EEENS1_30default_config_static_selectorELNS0_4arch9wavefront6targetE1EEEvSK_.kd
    .uniform_work_group_size: 1
    .uses_dynamic_stack: false
    .vgpr_count:     0
    .vgpr_spill_count: 0
    .wavefront_size: 64
  - .args:
      - .offset:         0
        .size:           96
        .value_kind:     by_value
    .group_segment_fixed_size: 0
    .kernarg_segment_align: 8
    .kernarg_segment_size: 96
    .language:       OpenCL C
    .language_version:
      - 2
      - 0
    .max_flat_workgroup_size: 256
    .name:           _ZN7rocprim17ROCPRIM_400000_NS6detail17trampoline_kernelINS0_14default_configENS1_36segmented_radix_sort_config_selectorIflEEZNS1_25segmented_radix_sort_implIS3_Lb1EPKfPfPKlPlN2at6native12_GLOBAL__N_18offset_tEEE10hipError_tPvRmT1_PNSt15iterator_traitsISK_E10value_typeET2_T3_PNSL_ISQ_E10value_typeET4_jRbjT5_SW_jjP12ihipStream_tbEUlT_E_NS1_11comp_targetILNS1_3genE5ELNS1_11target_archE942ELNS1_3gpuE9ELNS1_3repE0EEENS1_30default_config_static_selectorELNS0_4arch9wavefront6targetE1EEEvSK_
    .private_segment_fixed_size: 0
    .sgpr_count:     4
    .sgpr_spill_count: 0
    .symbol:         _ZN7rocprim17ROCPRIM_400000_NS6detail17trampoline_kernelINS0_14default_configENS1_36segmented_radix_sort_config_selectorIflEEZNS1_25segmented_radix_sort_implIS3_Lb1EPKfPfPKlPlN2at6native12_GLOBAL__N_18offset_tEEE10hipError_tPvRmT1_PNSt15iterator_traitsISK_E10value_typeET2_T3_PNSL_ISQ_E10value_typeET4_jRbjT5_SW_jjP12ihipStream_tbEUlT_E_NS1_11comp_targetILNS1_3genE5ELNS1_11target_archE942ELNS1_3gpuE9ELNS1_3repE0EEENS1_30default_config_static_selectorELNS0_4arch9wavefront6targetE1EEEvSK_.kd
    .uniform_work_group_size: 1
    .uses_dynamic_stack: false
    .vgpr_count:     0
    .vgpr_spill_count: 0
    .wavefront_size: 64
  - .args:
      - .offset:         0
        .size:           96
        .value_kind:     by_value
    .group_segment_fixed_size: 0
    .kernarg_segment_align: 8
    .kernarg_segment_size: 96
    .language:       OpenCL C
    .language_version:
      - 2
      - 0
    .max_flat_workgroup_size: 256
    .name:           _ZN7rocprim17ROCPRIM_400000_NS6detail17trampoline_kernelINS0_14default_configENS1_36segmented_radix_sort_config_selectorIflEEZNS1_25segmented_radix_sort_implIS3_Lb1EPKfPfPKlPlN2at6native12_GLOBAL__N_18offset_tEEE10hipError_tPvRmT1_PNSt15iterator_traitsISK_E10value_typeET2_T3_PNSL_ISQ_E10value_typeET4_jRbjT5_SW_jjP12ihipStream_tbEUlT_E_NS1_11comp_targetILNS1_3genE4ELNS1_11target_archE910ELNS1_3gpuE8ELNS1_3repE0EEENS1_30default_config_static_selectorELNS0_4arch9wavefront6targetE1EEEvSK_
    .private_segment_fixed_size: 0
    .sgpr_count:     4
    .sgpr_spill_count: 0
    .symbol:         _ZN7rocprim17ROCPRIM_400000_NS6detail17trampoline_kernelINS0_14default_configENS1_36segmented_radix_sort_config_selectorIflEEZNS1_25segmented_radix_sort_implIS3_Lb1EPKfPfPKlPlN2at6native12_GLOBAL__N_18offset_tEEE10hipError_tPvRmT1_PNSt15iterator_traitsISK_E10value_typeET2_T3_PNSL_ISQ_E10value_typeET4_jRbjT5_SW_jjP12ihipStream_tbEUlT_E_NS1_11comp_targetILNS1_3genE4ELNS1_11target_archE910ELNS1_3gpuE8ELNS1_3repE0EEENS1_30default_config_static_selectorELNS0_4arch9wavefront6targetE1EEEvSK_.kd
    .uniform_work_group_size: 1
    .uses_dynamic_stack: false
    .vgpr_count:     0
    .vgpr_spill_count: 0
    .wavefront_size: 64
  - .args:
      - .offset:         0
        .size:           96
        .value_kind:     by_value
    .group_segment_fixed_size: 0
    .kernarg_segment_align: 8
    .kernarg_segment_size: 96
    .language:       OpenCL C
    .language_version:
      - 2
      - 0
    .max_flat_workgroup_size: 256
    .name:           _ZN7rocprim17ROCPRIM_400000_NS6detail17trampoline_kernelINS0_14default_configENS1_36segmented_radix_sort_config_selectorIflEEZNS1_25segmented_radix_sort_implIS3_Lb1EPKfPfPKlPlN2at6native12_GLOBAL__N_18offset_tEEE10hipError_tPvRmT1_PNSt15iterator_traitsISK_E10value_typeET2_T3_PNSL_ISQ_E10value_typeET4_jRbjT5_SW_jjP12ihipStream_tbEUlT_E_NS1_11comp_targetILNS1_3genE3ELNS1_11target_archE908ELNS1_3gpuE7ELNS1_3repE0EEENS1_30default_config_static_selectorELNS0_4arch9wavefront6targetE1EEEvSK_
    .private_segment_fixed_size: 0
    .sgpr_count:     4
    .sgpr_spill_count: 0
    .symbol:         _ZN7rocprim17ROCPRIM_400000_NS6detail17trampoline_kernelINS0_14default_configENS1_36segmented_radix_sort_config_selectorIflEEZNS1_25segmented_radix_sort_implIS3_Lb1EPKfPfPKlPlN2at6native12_GLOBAL__N_18offset_tEEE10hipError_tPvRmT1_PNSt15iterator_traitsISK_E10value_typeET2_T3_PNSL_ISQ_E10value_typeET4_jRbjT5_SW_jjP12ihipStream_tbEUlT_E_NS1_11comp_targetILNS1_3genE3ELNS1_11target_archE908ELNS1_3gpuE7ELNS1_3repE0EEENS1_30default_config_static_selectorELNS0_4arch9wavefront6targetE1EEEvSK_.kd
    .uniform_work_group_size: 1
    .uses_dynamic_stack: false
    .vgpr_count:     0
    .vgpr_spill_count: 0
    .wavefront_size: 64
  - .args:
      - .offset:         0
        .size:           96
        .value_kind:     by_value
      - .offset:         96
        .size:           4
        .value_kind:     hidden_block_count_x
      - .offset:         100
        .size:           4
        .value_kind:     hidden_block_count_y
      - .offset:         104
        .size:           4
        .value_kind:     hidden_block_count_z
      - .offset:         108
        .size:           2
        .value_kind:     hidden_group_size_x
      - .offset:         110
        .size:           2
        .value_kind:     hidden_group_size_y
      - .offset:         112
        .size:           2
        .value_kind:     hidden_group_size_z
      - .offset:         114
        .size:           2
        .value_kind:     hidden_remainder_x
      - .offset:         116
        .size:           2
        .value_kind:     hidden_remainder_y
      - .offset:         118
        .size:           2
        .value_kind:     hidden_remainder_z
      - .offset:         136
        .size:           8
        .value_kind:     hidden_global_offset_x
      - .offset:         144
        .size:           8
        .value_kind:     hidden_global_offset_y
      - .offset:         152
        .size:           8
        .value_kind:     hidden_global_offset_z
      - .offset:         160
        .size:           2
        .value_kind:     hidden_grid_dims
    .group_segment_fixed_size: 17424
    .kernarg_segment_align: 8
    .kernarg_segment_size: 352
    .language:       OpenCL C
    .language_version:
      - 2
      - 0
    .max_flat_workgroup_size: 256
    .name:           _ZN7rocprim17ROCPRIM_400000_NS6detail17trampoline_kernelINS0_14default_configENS1_36segmented_radix_sort_config_selectorIflEEZNS1_25segmented_radix_sort_implIS3_Lb1EPKfPfPKlPlN2at6native12_GLOBAL__N_18offset_tEEE10hipError_tPvRmT1_PNSt15iterator_traitsISK_E10value_typeET2_T3_PNSL_ISQ_E10value_typeET4_jRbjT5_SW_jjP12ihipStream_tbEUlT_E_NS1_11comp_targetILNS1_3genE2ELNS1_11target_archE906ELNS1_3gpuE6ELNS1_3repE0EEENS1_30default_config_static_selectorELNS0_4arch9wavefront6targetE1EEEvSK_
    .private_segment_fixed_size: 0
    .sgpr_count:     86
    .sgpr_spill_count: 0
    .symbol:         _ZN7rocprim17ROCPRIM_400000_NS6detail17trampoline_kernelINS0_14default_configENS1_36segmented_radix_sort_config_selectorIflEEZNS1_25segmented_radix_sort_implIS3_Lb1EPKfPfPKlPlN2at6native12_GLOBAL__N_18offset_tEEE10hipError_tPvRmT1_PNSt15iterator_traitsISK_E10value_typeET2_T3_PNSL_ISQ_E10value_typeET4_jRbjT5_SW_jjP12ihipStream_tbEUlT_E_NS1_11comp_targetILNS1_3genE2ELNS1_11target_archE906ELNS1_3gpuE6ELNS1_3repE0EEENS1_30default_config_static_selectorELNS0_4arch9wavefront6targetE1EEEvSK_.kd
    .uniform_work_group_size: 1
    .uses_dynamic_stack: false
    .vgpr_count:     178
    .vgpr_spill_count: 0
    .wavefront_size: 64
  - .args:
      - .offset:         0
        .size:           96
        .value_kind:     by_value
    .group_segment_fixed_size: 0
    .kernarg_segment_align: 8
    .kernarg_segment_size: 96
    .language:       OpenCL C
    .language_version:
      - 2
      - 0
    .max_flat_workgroup_size: 256
    .name:           _ZN7rocprim17ROCPRIM_400000_NS6detail17trampoline_kernelINS0_14default_configENS1_36segmented_radix_sort_config_selectorIflEEZNS1_25segmented_radix_sort_implIS3_Lb1EPKfPfPKlPlN2at6native12_GLOBAL__N_18offset_tEEE10hipError_tPvRmT1_PNSt15iterator_traitsISK_E10value_typeET2_T3_PNSL_ISQ_E10value_typeET4_jRbjT5_SW_jjP12ihipStream_tbEUlT_E_NS1_11comp_targetILNS1_3genE10ELNS1_11target_archE1201ELNS1_3gpuE5ELNS1_3repE0EEENS1_30default_config_static_selectorELNS0_4arch9wavefront6targetE1EEEvSK_
    .private_segment_fixed_size: 0
    .sgpr_count:     4
    .sgpr_spill_count: 0
    .symbol:         _ZN7rocprim17ROCPRIM_400000_NS6detail17trampoline_kernelINS0_14default_configENS1_36segmented_radix_sort_config_selectorIflEEZNS1_25segmented_radix_sort_implIS3_Lb1EPKfPfPKlPlN2at6native12_GLOBAL__N_18offset_tEEE10hipError_tPvRmT1_PNSt15iterator_traitsISK_E10value_typeET2_T3_PNSL_ISQ_E10value_typeET4_jRbjT5_SW_jjP12ihipStream_tbEUlT_E_NS1_11comp_targetILNS1_3genE10ELNS1_11target_archE1201ELNS1_3gpuE5ELNS1_3repE0EEENS1_30default_config_static_selectorELNS0_4arch9wavefront6targetE1EEEvSK_.kd
    .uniform_work_group_size: 1
    .uses_dynamic_stack: false
    .vgpr_count:     0
    .vgpr_spill_count: 0
    .wavefront_size: 64
  - .args:
      - .offset:         0
        .size:           96
        .value_kind:     by_value
    .group_segment_fixed_size: 0
    .kernarg_segment_align: 8
    .kernarg_segment_size: 96
    .language:       OpenCL C
    .language_version:
      - 2
      - 0
    .max_flat_workgroup_size: 128
    .name:           _ZN7rocprim17ROCPRIM_400000_NS6detail17trampoline_kernelINS0_14default_configENS1_36segmented_radix_sort_config_selectorIflEEZNS1_25segmented_radix_sort_implIS3_Lb1EPKfPfPKlPlN2at6native12_GLOBAL__N_18offset_tEEE10hipError_tPvRmT1_PNSt15iterator_traitsISK_E10value_typeET2_T3_PNSL_ISQ_E10value_typeET4_jRbjT5_SW_jjP12ihipStream_tbEUlT_E_NS1_11comp_targetILNS1_3genE10ELNS1_11target_archE1200ELNS1_3gpuE4ELNS1_3repE0EEENS1_30default_config_static_selectorELNS0_4arch9wavefront6targetE1EEEvSK_
    .private_segment_fixed_size: 0
    .sgpr_count:     4
    .sgpr_spill_count: 0
    .symbol:         _ZN7rocprim17ROCPRIM_400000_NS6detail17trampoline_kernelINS0_14default_configENS1_36segmented_radix_sort_config_selectorIflEEZNS1_25segmented_radix_sort_implIS3_Lb1EPKfPfPKlPlN2at6native12_GLOBAL__N_18offset_tEEE10hipError_tPvRmT1_PNSt15iterator_traitsISK_E10value_typeET2_T3_PNSL_ISQ_E10value_typeET4_jRbjT5_SW_jjP12ihipStream_tbEUlT_E_NS1_11comp_targetILNS1_3genE10ELNS1_11target_archE1200ELNS1_3gpuE4ELNS1_3repE0EEENS1_30default_config_static_selectorELNS0_4arch9wavefront6targetE1EEEvSK_.kd
    .uniform_work_group_size: 1
    .uses_dynamic_stack: false
    .vgpr_count:     0
    .vgpr_spill_count: 0
    .wavefront_size: 64
  - .args:
      - .offset:         0
        .size:           96
        .value_kind:     by_value
    .group_segment_fixed_size: 0
    .kernarg_segment_align: 8
    .kernarg_segment_size: 96
    .language:       OpenCL C
    .language_version:
      - 2
      - 0
    .max_flat_workgroup_size: 256
    .name:           _ZN7rocprim17ROCPRIM_400000_NS6detail17trampoline_kernelINS0_14default_configENS1_36segmented_radix_sort_config_selectorIflEEZNS1_25segmented_radix_sort_implIS3_Lb1EPKfPfPKlPlN2at6native12_GLOBAL__N_18offset_tEEE10hipError_tPvRmT1_PNSt15iterator_traitsISK_E10value_typeET2_T3_PNSL_ISQ_E10value_typeET4_jRbjT5_SW_jjP12ihipStream_tbEUlT_E_NS1_11comp_targetILNS1_3genE9ELNS1_11target_archE1100ELNS1_3gpuE3ELNS1_3repE0EEENS1_30default_config_static_selectorELNS0_4arch9wavefront6targetE1EEEvSK_
    .private_segment_fixed_size: 0
    .sgpr_count:     4
    .sgpr_spill_count: 0
    .symbol:         _ZN7rocprim17ROCPRIM_400000_NS6detail17trampoline_kernelINS0_14default_configENS1_36segmented_radix_sort_config_selectorIflEEZNS1_25segmented_radix_sort_implIS3_Lb1EPKfPfPKlPlN2at6native12_GLOBAL__N_18offset_tEEE10hipError_tPvRmT1_PNSt15iterator_traitsISK_E10value_typeET2_T3_PNSL_ISQ_E10value_typeET4_jRbjT5_SW_jjP12ihipStream_tbEUlT_E_NS1_11comp_targetILNS1_3genE9ELNS1_11target_archE1100ELNS1_3gpuE3ELNS1_3repE0EEENS1_30default_config_static_selectorELNS0_4arch9wavefront6targetE1EEEvSK_.kd
    .uniform_work_group_size: 1
    .uses_dynamic_stack: false
    .vgpr_count:     0
    .vgpr_spill_count: 0
    .wavefront_size: 64
  - .args:
      - .offset:         0
        .size:           96
        .value_kind:     by_value
    .group_segment_fixed_size: 0
    .kernarg_segment_align: 8
    .kernarg_segment_size: 96
    .language:       OpenCL C
    .language_version:
      - 2
      - 0
    .max_flat_workgroup_size: 256
    .name:           _ZN7rocprim17ROCPRIM_400000_NS6detail17trampoline_kernelINS0_14default_configENS1_36segmented_radix_sort_config_selectorIflEEZNS1_25segmented_radix_sort_implIS3_Lb1EPKfPfPKlPlN2at6native12_GLOBAL__N_18offset_tEEE10hipError_tPvRmT1_PNSt15iterator_traitsISK_E10value_typeET2_T3_PNSL_ISQ_E10value_typeET4_jRbjT5_SW_jjP12ihipStream_tbEUlT_E_NS1_11comp_targetILNS1_3genE8ELNS1_11target_archE1030ELNS1_3gpuE2ELNS1_3repE0EEENS1_30default_config_static_selectorELNS0_4arch9wavefront6targetE1EEEvSK_
    .private_segment_fixed_size: 0
    .sgpr_count:     4
    .sgpr_spill_count: 0
    .symbol:         _ZN7rocprim17ROCPRIM_400000_NS6detail17trampoline_kernelINS0_14default_configENS1_36segmented_radix_sort_config_selectorIflEEZNS1_25segmented_radix_sort_implIS3_Lb1EPKfPfPKlPlN2at6native12_GLOBAL__N_18offset_tEEE10hipError_tPvRmT1_PNSt15iterator_traitsISK_E10value_typeET2_T3_PNSL_ISQ_E10value_typeET4_jRbjT5_SW_jjP12ihipStream_tbEUlT_E_NS1_11comp_targetILNS1_3genE8ELNS1_11target_archE1030ELNS1_3gpuE2ELNS1_3repE0EEENS1_30default_config_static_selectorELNS0_4arch9wavefront6targetE1EEEvSK_.kd
    .uniform_work_group_size: 1
    .uses_dynamic_stack: false
    .vgpr_count:     0
    .vgpr_spill_count: 0
    .wavefront_size: 64
  - .args:
      - .offset:         0
        .size:           88
        .value_kind:     by_value
    .group_segment_fixed_size: 0
    .kernarg_segment_align: 8
    .kernarg_segment_size: 88
    .language:       OpenCL C
    .language_version:
      - 2
      - 0
    .max_flat_workgroup_size: 256
    .name:           _ZN7rocprim17ROCPRIM_400000_NS6detail17trampoline_kernelINS0_14default_configENS1_36segmented_radix_sort_config_selectorIflEEZNS1_25segmented_radix_sort_implIS3_Lb1EPKfPfPKlPlN2at6native12_GLOBAL__N_18offset_tEEE10hipError_tPvRmT1_PNSt15iterator_traitsISK_E10value_typeET2_T3_PNSL_ISQ_E10value_typeET4_jRbjT5_SW_jjP12ihipStream_tbEUlT_E0_NS1_11comp_targetILNS1_3genE0ELNS1_11target_archE4294967295ELNS1_3gpuE0ELNS1_3repE0EEENS1_60segmented_radix_sort_warp_sort_medium_config_static_selectorELNS0_4arch9wavefront6targetE1EEEvSK_
    .private_segment_fixed_size: 0
    .sgpr_count:     4
    .sgpr_spill_count: 0
    .symbol:         _ZN7rocprim17ROCPRIM_400000_NS6detail17trampoline_kernelINS0_14default_configENS1_36segmented_radix_sort_config_selectorIflEEZNS1_25segmented_radix_sort_implIS3_Lb1EPKfPfPKlPlN2at6native12_GLOBAL__N_18offset_tEEE10hipError_tPvRmT1_PNSt15iterator_traitsISK_E10value_typeET2_T3_PNSL_ISQ_E10value_typeET4_jRbjT5_SW_jjP12ihipStream_tbEUlT_E0_NS1_11comp_targetILNS1_3genE0ELNS1_11target_archE4294967295ELNS1_3gpuE0ELNS1_3repE0EEENS1_60segmented_radix_sort_warp_sort_medium_config_static_selectorELNS0_4arch9wavefront6targetE1EEEvSK_.kd
    .uniform_work_group_size: 1
    .uses_dynamic_stack: false
    .vgpr_count:     0
    .vgpr_spill_count: 0
    .wavefront_size: 64
  - .args:
      - .offset:         0
        .size:           88
        .value_kind:     by_value
    .group_segment_fixed_size: 0
    .kernarg_segment_align: 8
    .kernarg_segment_size: 88
    .language:       OpenCL C
    .language_version:
      - 2
      - 0
    .max_flat_workgroup_size: 256
    .name:           _ZN7rocprim17ROCPRIM_400000_NS6detail17trampoline_kernelINS0_14default_configENS1_36segmented_radix_sort_config_selectorIflEEZNS1_25segmented_radix_sort_implIS3_Lb1EPKfPfPKlPlN2at6native12_GLOBAL__N_18offset_tEEE10hipError_tPvRmT1_PNSt15iterator_traitsISK_E10value_typeET2_T3_PNSL_ISQ_E10value_typeET4_jRbjT5_SW_jjP12ihipStream_tbEUlT_E0_NS1_11comp_targetILNS1_3genE5ELNS1_11target_archE942ELNS1_3gpuE9ELNS1_3repE0EEENS1_60segmented_radix_sort_warp_sort_medium_config_static_selectorELNS0_4arch9wavefront6targetE1EEEvSK_
    .private_segment_fixed_size: 0
    .sgpr_count:     4
    .sgpr_spill_count: 0
    .symbol:         _ZN7rocprim17ROCPRIM_400000_NS6detail17trampoline_kernelINS0_14default_configENS1_36segmented_radix_sort_config_selectorIflEEZNS1_25segmented_radix_sort_implIS3_Lb1EPKfPfPKlPlN2at6native12_GLOBAL__N_18offset_tEEE10hipError_tPvRmT1_PNSt15iterator_traitsISK_E10value_typeET2_T3_PNSL_ISQ_E10value_typeET4_jRbjT5_SW_jjP12ihipStream_tbEUlT_E0_NS1_11comp_targetILNS1_3genE5ELNS1_11target_archE942ELNS1_3gpuE9ELNS1_3repE0EEENS1_60segmented_radix_sort_warp_sort_medium_config_static_selectorELNS0_4arch9wavefront6targetE1EEEvSK_.kd
    .uniform_work_group_size: 1
    .uses_dynamic_stack: false
    .vgpr_count:     0
    .vgpr_spill_count: 0
    .wavefront_size: 64
  - .args:
      - .offset:         0
        .size:           88
        .value_kind:     by_value
    .group_segment_fixed_size: 0
    .kernarg_segment_align: 8
    .kernarg_segment_size: 88
    .language:       OpenCL C
    .language_version:
      - 2
      - 0
    .max_flat_workgroup_size: 256
    .name:           _ZN7rocprim17ROCPRIM_400000_NS6detail17trampoline_kernelINS0_14default_configENS1_36segmented_radix_sort_config_selectorIflEEZNS1_25segmented_radix_sort_implIS3_Lb1EPKfPfPKlPlN2at6native12_GLOBAL__N_18offset_tEEE10hipError_tPvRmT1_PNSt15iterator_traitsISK_E10value_typeET2_T3_PNSL_ISQ_E10value_typeET4_jRbjT5_SW_jjP12ihipStream_tbEUlT_E0_NS1_11comp_targetILNS1_3genE4ELNS1_11target_archE910ELNS1_3gpuE8ELNS1_3repE0EEENS1_60segmented_radix_sort_warp_sort_medium_config_static_selectorELNS0_4arch9wavefront6targetE1EEEvSK_
    .private_segment_fixed_size: 0
    .sgpr_count:     4
    .sgpr_spill_count: 0
    .symbol:         _ZN7rocprim17ROCPRIM_400000_NS6detail17trampoline_kernelINS0_14default_configENS1_36segmented_radix_sort_config_selectorIflEEZNS1_25segmented_radix_sort_implIS3_Lb1EPKfPfPKlPlN2at6native12_GLOBAL__N_18offset_tEEE10hipError_tPvRmT1_PNSt15iterator_traitsISK_E10value_typeET2_T3_PNSL_ISQ_E10value_typeET4_jRbjT5_SW_jjP12ihipStream_tbEUlT_E0_NS1_11comp_targetILNS1_3genE4ELNS1_11target_archE910ELNS1_3gpuE8ELNS1_3repE0EEENS1_60segmented_radix_sort_warp_sort_medium_config_static_selectorELNS0_4arch9wavefront6targetE1EEEvSK_.kd
    .uniform_work_group_size: 1
    .uses_dynamic_stack: false
    .vgpr_count:     0
    .vgpr_spill_count: 0
    .wavefront_size: 64
  - .args:
      - .offset:         0
        .size:           88
        .value_kind:     by_value
    .group_segment_fixed_size: 0
    .kernarg_segment_align: 8
    .kernarg_segment_size: 88
    .language:       OpenCL C
    .language_version:
      - 2
      - 0
    .max_flat_workgroup_size: 256
    .name:           _ZN7rocprim17ROCPRIM_400000_NS6detail17trampoline_kernelINS0_14default_configENS1_36segmented_radix_sort_config_selectorIflEEZNS1_25segmented_radix_sort_implIS3_Lb1EPKfPfPKlPlN2at6native12_GLOBAL__N_18offset_tEEE10hipError_tPvRmT1_PNSt15iterator_traitsISK_E10value_typeET2_T3_PNSL_ISQ_E10value_typeET4_jRbjT5_SW_jjP12ihipStream_tbEUlT_E0_NS1_11comp_targetILNS1_3genE3ELNS1_11target_archE908ELNS1_3gpuE7ELNS1_3repE0EEENS1_60segmented_radix_sort_warp_sort_medium_config_static_selectorELNS0_4arch9wavefront6targetE1EEEvSK_
    .private_segment_fixed_size: 0
    .sgpr_count:     4
    .sgpr_spill_count: 0
    .symbol:         _ZN7rocprim17ROCPRIM_400000_NS6detail17trampoline_kernelINS0_14default_configENS1_36segmented_radix_sort_config_selectorIflEEZNS1_25segmented_radix_sort_implIS3_Lb1EPKfPfPKlPlN2at6native12_GLOBAL__N_18offset_tEEE10hipError_tPvRmT1_PNSt15iterator_traitsISK_E10value_typeET2_T3_PNSL_ISQ_E10value_typeET4_jRbjT5_SW_jjP12ihipStream_tbEUlT_E0_NS1_11comp_targetILNS1_3genE3ELNS1_11target_archE908ELNS1_3gpuE7ELNS1_3repE0EEENS1_60segmented_radix_sort_warp_sort_medium_config_static_selectorELNS0_4arch9wavefront6targetE1EEEvSK_.kd
    .uniform_work_group_size: 1
    .uses_dynamic_stack: false
    .vgpr_count:     0
    .vgpr_spill_count: 0
    .wavefront_size: 64
  - .args:
      - .offset:         0
        .size:           88
        .value_kind:     by_value
      - .offset:         88
        .size:           4
        .value_kind:     hidden_block_count_x
      - .offset:         92
        .size:           4
        .value_kind:     hidden_block_count_y
      - .offset:         96
        .size:           4
        .value_kind:     hidden_block_count_z
      - .offset:         100
        .size:           2
        .value_kind:     hidden_group_size_x
      - .offset:         102
        .size:           2
        .value_kind:     hidden_group_size_y
      - .offset:         104
        .size:           2
        .value_kind:     hidden_group_size_z
      - .offset:         106
        .size:           2
        .value_kind:     hidden_remainder_x
      - .offset:         108
        .size:           2
        .value_kind:     hidden_remainder_y
      - .offset:         110
        .size:           2
        .value_kind:     hidden_remainder_z
      - .offset:         128
        .size:           8
        .value_kind:     hidden_global_offset_x
      - .offset:         136
        .size:           8
        .value_kind:     hidden_global_offset_y
      - .offset:         144
        .size:           8
        .value_kind:     hidden_global_offset_z
      - .offset:         152
        .size:           2
        .value_kind:     hidden_grid_dims
    .group_segment_fixed_size: 24576
    .kernarg_segment_align: 8
    .kernarg_segment_size: 344
    .language:       OpenCL C
    .language_version:
      - 2
      - 0
    .max_flat_workgroup_size: 256
    .name:           _ZN7rocprim17ROCPRIM_400000_NS6detail17trampoline_kernelINS0_14default_configENS1_36segmented_radix_sort_config_selectorIflEEZNS1_25segmented_radix_sort_implIS3_Lb1EPKfPfPKlPlN2at6native12_GLOBAL__N_18offset_tEEE10hipError_tPvRmT1_PNSt15iterator_traitsISK_E10value_typeET2_T3_PNSL_ISQ_E10value_typeET4_jRbjT5_SW_jjP12ihipStream_tbEUlT_E0_NS1_11comp_targetILNS1_3genE2ELNS1_11target_archE906ELNS1_3gpuE6ELNS1_3repE0EEENS1_60segmented_radix_sort_warp_sort_medium_config_static_selectorELNS0_4arch9wavefront6targetE1EEEvSK_
    .private_segment_fixed_size: 0
    .sgpr_count:     64
    .sgpr_spill_count: 0
    .symbol:         _ZN7rocprim17ROCPRIM_400000_NS6detail17trampoline_kernelINS0_14default_configENS1_36segmented_radix_sort_config_selectorIflEEZNS1_25segmented_radix_sort_implIS3_Lb1EPKfPfPKlPlN2at6native12_GLOBAL__N_18offset_tEEE10hipError_tPvRmT1_PNSt15iterator_traitsISK_E10value_typeET2_T3_PNSL_ISQ_E10value_typeET4_jRbjT5_SW_jjP12ihipStream_tbEUlT_E0_NS1_11comp_targetILNS1_3genE2ELNS1_11target_archE906ELNS1_3gpuE6ELNS1_3repE0EEENS1_60segmented_radix_sort_warp_sort_medium_config_static_selectorELNS0_4arch9wavefront6targetE1EEEvSK_.kd
    .uniform_work_group_size: 1
    .uses_dynamic_stack: false
    .vgpr_count:     71
    .vgpr_spill_count: 0
    .wavefront_size: 64
  - .args:
      - .offset:         0
        .size:           88
        .value_kind:     by_value
    .group_segment_fixed_size: 0
    .kernarg_segment_align: 8
    .kernarg_segment_size: 88
    .language:       OpenCL C
    .language_version:
      - 2
      - 0
    .max_flat_workgroup_size: 256
    .name:           _ZN7rocprim17ROCPRIM_400000_NS6detail17trampoline_kernelINS0_14default_configENS1_36segmented_radix_sort_config_selectorIflEEZNS1_25segmented_radix_sort_implIS3_Lb1EPKfPfPKlPlN2at6native12_GLOBAL__N_18offset_tEEE10hipError_tPvRmT1_PNSt15iterator_traitsISK_E10value_typeET2_T3_PNSL_ISQ_E10value_typeET4_jRbjT5_SW_jjP12ihipStream_tbEUlT_E0_NS1_11comp_targetILNS1_3genE10ELNS1_11target_archE1201ELNS1_3gpuE5ELNS1_3repE0EEENS1_60segmented_radix_sort_warp_sort_medium_config_static_selectorELNS0_4arch9wavefront6targetE1EEEvSK_
    .private_segment_fixed_size: 0
    .sgpr_count:     4
    .sgpr_spill_count: 0
    .symbol:         _ZN7rocprim17ROCPRIM_400000_NS6detail17trampoline_kernelINS0_14default_configENS1_36segmented_radix_sort_config_selectorIflEEZNS1_25segmented_radix_sort_implIS3_Lb1EPKfPfPKlPlN2at6native12_GLOBAL__N_18offset_tEEE10hipError_tPvRmT1_PNSt15iterator_traitsISK_E10value_typeET2_T3_PNSL_ISQ_E10value_typeET4_jRbjT5_SW_jjP12ihipStream_tbEUlT_E0_NS1_11comp_targetILNS1_3genE10ELNS1_11target_archE1201ELNS1_3gpuE5ELNS1_3repE0EEENS1_60segmented_radix_sort_warp_sort_medium_config_static_selectorELNS0_4arch9wavefront6targetE1EEEvSK_.kd
    .uniform_work_group_size: 1
    .uses_dynamic_stack: false
    .vgpr_count:     0
    .vgpr_spill_count: 0
    .wavefront_size: 64
  - .args:
      - .offset:         0
        .size:           88
        .value_kind:     by_value
    .group_segment_fixed_size: 0
    .kernarg_segment_align: 8
    .kernarg_segment_size: 88
    .language:       OpenCL C
    .language_version:
      - 2
      - 0
    .max_flat_workgroup_size: 256
    .name:           _ZN7rocprim17ROCPRIM_400000_NS6detail17trampoline_kernelINS0_14default_configENS1_36segmented_radix_sort_config_selectorIflEEZNS1_25segmented_radix_sort_implIS3_Lb1EPKfPfPKlPlN2at6native12_GLOBAL__N_18offset_tEEE10hipError_tPvRmT1_PNSt15iterator_traitsISK_E10value_typeET2_T3_PNSL_ISQ_E10value_typeET4_jRbjT5_SW_jjP12ihipStream_tbEUlT_E0_NS1_11comp_targetILNS1_3genE10ELNS1_11target_archE1200ELNS1_3gpuE4ELNS1_3repE0EEENS1_60segmented_radix_sort_warp_sort_medium_config_static_selectorELNS0_4arch9wavefront6targetE1EEEvSK_
    .private_segment_fixed_size: 0
    .sgpr_count:     4
    .sgpr_spill_count: 0
    .symbol:         _ZN7rocprim17ROCPRIM_400000_NS6detail17trampoline_kernelINS0_14default_configENS1_36segmented_radix_sort_config_selectorIflEEZNS1_25segmented_radix_sort_implIS3_Lb1EPKfPfPKlPlN2at6native12_GLOBAL__N_18offset_tEEE10hipError_tPvRmT1_PNSt15iterator_traitsISK_E10value_typeET2_T3_PNSL_ISQ_E10value_typeET4_jRbjT5_SW_jjP12ihipStream_tbEUlT_E0_NS1_11comp_targetILNS1_3genE10ELNS1_11target_archE1200ELNS1_3gpuE4ELNS1_3repE0EEENS1_60segmented_radix_sort_warp_sort_medium_config_static_selectorELNS0_4arch9wavefront6targetE1EEEvSK_.kd
    .uniform_work_group_size: 1
    .uses_dynamic_stack: false
    .vgpr_count:     0
    .vgpr_spill_count: 0
    .wavefront_size: 64
  - .args:
      - .offset:         0
        .size:           88
        .value_kind:     by_value
    .group_segment_fixed_size: 0
    .kernarg_segment_align: 8
    .kernarg_segment_size: 88
    .language:       OpenCL C
    .language_version:
      - 2
      - 0
    .max_flat_workgroup_size: 256
    .name:           _ZN7rocprim17ROCPRIM_400000_NS6detail17trampoline_kernelINS0_14default_configENS1_36segmented_radix_sort_config_selectorIflEEZNS1_25segmented_radix_sort_implIS3_Lb1EPKfPfPKlPlN2at6native12_GLOBAL__N_18offset_tEEE10hipError_tPvRmT1_PNSt15iterator_traitsISK_E10value_typeET2_T3_PNSL_ISQ_E10value_typeET4_jRbjT5_SW_jjP12ihipStream_tbEUlT_E0_NS1_11comp_targetILNS1_3genE9ELNS1_11target_archE1100ELNS1_3gpuE3ELNS1_3repE0EEENS1_60segmented_radix_sort_warp_sort_medium_config_static_selectorELNS0_4arch9wavefront6targetE1EEEvSK_
    .private_segment_fixed_size: 0
    .sgpr_count:     4
    .sgpr_spill_count: 0
    .symbol:         _ZN7rocprim17ROCPRIM_400000_NS6detail17trampoline_kernelINS0_14default_configENS1_36segmented_radix_sort_config_selectorIflEEZNS1_25segmented_radix_sort_implIS3_Lb1EPKfPfPKlPlN2at6native12_GLOBAL__N_18offset_tEEE10hipError_tPvRmT1_PNSt15iterator_traitsISK_E10value_typeET2_T3_PNSL_ISQ_E10value_typeET4_jRbjT5_SW_jjP12ihipStream_tbEUlT_E0_NS1_11comp_targetILNS1_3genE9ELNS1_11target_archE1100ELNS1_3gpuE3ELNS1_3repE0EEENS1_60segmented_radix_sort_warp_sort_medium_config_static_selectorELNS0_4arch9wavefront6targetE1EEEvSK_.kd
    .uniform_work_group_size: 1
    .uses_dynamic_stack: false
    .vgpr_count:     0
    .vgpr_spill_count: 0
    .wavefront_size: 64
  - .args:
      - .offset:         0
        .size:           88
        .value_kind:     by_value
    .group_segment_fixed_size: 0
    .kernarg_segment_align: 8
    .kernarg_segment_size: 88
    .language:       OpenCL C
    .language_version:
      - 2
      - 0
    .max_flat_workgroup_size: 256
    .name:           _ZN7rocprim17ROCPRIM_400000_NS6detail17trampoline_kernelINS0_14default_configENS1_36segmented_radix_sort_config_selectorIflEEZNS1_25segmented_radix_sort_implIS3_Lb1EPKfPfPKlPlN2at6native12_GLOBAL__N_18offset_tEEE10hipError_tPvRmT1_PNSt15iterator_traitsISK_E10value_typeET2_T3_PNSL_ISQ_E10value_typeET4_jRbjT5_SW_jjP12ihipStream_tbEUlT_E0_NS1_11comp_targetILNS1_3genE8ELNS1_11target_archE1030ELNS1_3gpuE2ELNS1_3repE0EEENS1_60segmented_radix_sort_warp_sort_medium_config_static_selectorELNS0_4arch9wavefront6targetE1EEEvSK_
    .private_segment_fixed_size: 0
    .sgpr_count:     4
    .sgpr_spill_count: 0
    .symbol:         _ZN7rocprim17ROCPRIM_400000_NS6detail17trampoline_kernelINS0_14default_configENS1_36segmented_radix_sort_config_selectorIflEEZNS1_25segmented_radix_sort_implIS3_Lb1EPKfPfPKlPlN2at6native12_GLOBAL__N_18offset_tEEE10hipError_tPvRmT1_PNSt15iterator_traitsISK_E10value_typeET2_T3_PNSL_ISQ_E10value_typeET4_jRbjT5_SW_jjP12ihipStream_tbEUlT_E0_NS1_11comp_targetILNS1_3genE8ELNS1_11target_archE1030ELNS1_3gpuE2ELNS1_3repE0EEENS1_60segmented_radix_sort_warp_sort_medium_config_static_selectorELNS0_4arch9wavefront6targetE1EEEvSK_.kd
    .uniform_work_group_size: 1
    .uses_dynamic_stack: false
    .vgpr_count:     0
    .vgpr_spill_count: 0
    .wavefront_size: 64
  - .args:
      - .offset:         0
        .size:           88
        .value_kind:     by_value
    .group_segment_fixed_size: 0
    .kernarg_segment_align: 8
    .kernarg_segment_size: 88
    .language:       OpenCL C
    .language_version:
      - 2
      - 0
    .max_flat_workgroup_size: 256
    .name:           _ZN7rocprim17ROCPRIM_400000_NS6detail17trampoline_kernelINS0_14default_configENS1_36segmented_radix_sort_config_selectorIflEEZNS1_25segmented_radix_sort_implIS3_Lb1EPKfPfPKlPlN2at6native12_GLOBAL__N_18offset_tEEE10hipError_tPvRmT1_PNSt15iterator_traitsISK_E10value_typeET2_T3_PNSL_ISQ_E10value_typeET4_jRbjT5_SW_jjP12ihipStream_tbEUlT_E1_NS1_11comp_targetILNS1_3genE0ELNS1_11target_archE4294967295ELNS1_3gpuE0ELNS1_3repE0EEENS1_59segmented_radix_sort_warp_sort_small_config_static_selectorELNS0_4arch9wavefront6targetE1EEEvSK_
    .private_segment_fixed_size: 0
    .sgpr_count:     4
    .sgpr_spill_count: 0
    .symbol:         _ZN7rocprim17ROCPRIM_400000_NS6detail17trampoline_kernelINS0_14default_configENS1_36segmented_radix_sort_config_selectorIflEEZNS1_25segmented_radix_sort_implIS3_Lb1EPKfPfPKlPlN2at6native12_GLOBAL__N_18offset_tEEE10hipError_tPvRmT1_PNSt15iterator_traitsISK_E10value_typeET2_T3_PNSL_ISQ_E10value_typeET4_jRbjT5_SW_jjP12ihipStream_tbEUlT_E1_NS1_11comp_targetILNS1_3genE0ELNS1_11target_archE4294967295ELNS1_3gpuE0ELNS1_3repE0EEENS1_59segmented_radix_sort_warp_sort_small_config_static_selectorELNS0_4arch9wavefront6targetE1EEEvSK_.kd
    .uniform_work_group_size: 1
    .uses_dynamic_stack: false
    .vgpr_count:     0
    .vgpr_spill_count: 0
    .wavefront_size: 64
  - .args:
      - .offset:         0
        .size:           88
        .value_kind:     by_value
    .group_segment_fixed_size: 0
    .kernarg_segment_align: 8
    .kernarg_segment_size: 88
    .language:       OpenCL C
    .language_version:
      - 2
      - 0
    .max_flat_workgroup_size: 256
    .name:           _ZN7rocprim17ROCPRIM_400000_NS6detail17trampoline_kernelINS0_14default_configENS1_36segmented_radix_sort_config_selectorIflEEZNS1_25segmented_radix_sort_implIS3_Lb1EPKfPfPKlPlN2at6native12_GLOBAL__N_18offset_tEEE10hipError_tPvRmT1_PNSt15iterator_traitsISK_E10value_typeET2_T3_PNSL_ISQ_E10value_typeET4_jRbjT5_SW_jjP12ihipStream_tbEUlT_E1_NS1_11comp_targetILNS1_3genE5ELNS1_11target_archE942ELNS1_3gpuE9ELNS1_3repE0EEENS1_59segmented_radix_sort_warp_sort_small_config_static_selectorELNS0_4arch9wavefront6targetE1EEEvSK_
    .private_segment_fixed_size: 0
    .sgpr_count:     4
    .sgpr_spill_count: 0
    .symbol:         _ZN7rocprim17ROCPRIM_400000_NS6detail17trampoline_kernelINS0_14default_configENS1_36segmented_radix_sort_config_selectorIflEEZNS1_25segmented_radix_sort_implIS3_Lb1EPKfPfPKlPlN2at6native12_GLOBAL__N_18offset_tEEE10hipError_tPvRmT1_PNSt15iterator_traitsISK_E10value_typeET2_T3_PNSL_ISQ_E10value_typeET4_jRbjT5_SW_jjP12ihipStream_tbEUlT_E1_NS1_11comp_targetILNS1_3genE5ELNS1_11target_archE942ELNS1_3gpuE9ELNS1_3repE0EEENS1_59segmented_radix_sort_warp_sort_small_config_static_selectorELNS0_4arch9wavefront6targetE1EEEvSK_.kd
    .uniform_work_group_size: 1
    .uses_dynamic_stack: false
    .vgpr_count:     0
    .vgpr_spill_count: 0
    .wavefront_size: 64
  - .args:
      - .offset:         0
        .size:           88
        .value_kind:     by_value
    .group_segment_fixed_size: 0
    .kernarg_segment_align: 8
    .kernarg_segment_size: 88
    .language:       OpenCL C
    .language_version:
      - 2
      - 0
    .max_flat_workgroup_size: 256
    .name:           _ZN7rocprim17ROCPRIM_400000_NS6detail17trampoline_kernelINS0_14default_configENS1_36segmented_radix_sort_config_selectorIflEEZNS1_25segmented_radix_sort_implIS3_Lb1EPKfPfPKlPlN2at6native12_GLOBAL__N_18offset_tEEE10hipError_tPvRmT1_PNSt15iterator_traitsISK_E10value_typeET2_T3_PNSL_ISQ_E10value_typeET4_jRbjT5_SW_jjP12ihipStream_tbEUlT_E1_NS1_11comp_targetILNS1_3genE4ELNS1_11target_archE910ELNS1_3gpuE8ELNS1_3repE0EEENS1_59segmented_radix_sort_warp_sort_small_config_static_selectorELNS0_4arch9wavefront6targetE1EEEvSK_
    .private_segment_fixed_size: 0
    .sgpr_count:     4
    .sgpr_spill_count: 0
    .symbol:         _ZN7rocprim17ROCPRIM_400000_NS6detail17trampoline_kernelINS0_14default_configENS1_36segmented_radix_sort_config_selectorIflEEZNS1_25segmented_radix_sort_implIS3_Lb1EPKfPfPKlPlN2at6native12_GLOBAL__N_18offset_tEEE10hipError_tPvRmT1_PNSt15iterator_traitsISK_E10value_typeET2_T3_PNSL_ISQ_E10value_typeET4_jRbjT5_SW_jjP12ihipStream_tbEUlT_E1_NS1_11comp_targetILNS1_3genE4ELNS1_11target_archE910ELNS1_3gpuE8ELNS1_3repE0EEENS1_59segmented_radix_sort_warp_sort_small_config_static_selectorELNS0_4arch9wavefront6targetE1EEEvSK_.kd
    .uniform_work_group_size: 1
    .uses_dynamic_stack: false
    .vgpr_count:     0
    .vgpr_spill_count: 0
    .wavefront_size: 64
  - .args:
      - .offset:         0
        .size:           88
        .value_kind:     by_value
    .group_segment_fixed_size: 0
    .kernarg_segment_align: 8
    .kernarg_segment_size: 88
    .language:       OpenCL C
    .language_version:
      - 2
      - 0
    .max_flat_workgroup_size: 256
    .name:           _ZN7rocprim17ROCPRIM_400000_NS6detail17trampoline_kernelINS0_14default_configENS1_36segmented_radix_sort_config_selectorIflEEZNS1_25segmented_radix_sort_implIS3_Lb1EPKfPfPKlPlN2at6native12_GLOBAL__N_18offset_tEEE10hipError_tPvRmT1_PNSt15iterator_traitsISK_E10value_typeET2_T3_PNSL_ISQ_E10value_typeET4_jRbjT5_SW_jjP12ihipStream_tbEUlT_E1_NS1_11comp_targetILNS1_3genE3ELNS1_11target_archE908ELNS1_3gpuE7ELNS1_3repE0EEENS1_59segmented_radix_sort_warp_sort_small_config_static_selectorELNS0_4arch9wavefront6targetE1EEEvSK_
    .private_segment_fixed_size: 0
    .sgpr_count:     4
    .sgpr_spill_count: 0
    .symbol:         _ZN7rocprim17ROCPRIM_400000_NS6detail17trampoline_kernelINS0_14default_configENS1_36segmented_radix_sort_config_selectorIflEEZNS1_25segmented_radix_sort_implIS3_Lb1EPKfPfPKlPlN2at6native12_GLOBAL__N_18offset_tEEE10hipError_tPvRmT1_PNSt15iterator_traitsISK_E10value_typeET2_T3_PNSL_ISQ_E10value_typeET4_jRbjT5_SW_jjP12ihipStream_tbEUlT_E1_NS1_11comp_targetILNS1_3genE3ELNS1_11target_archE908ELNS1_3gpuE7ELNS1_3repE0EEENS1_59segmented_radix_sort_warp_sort_small_config_static_selectorELNS0_4arch9wavefront6targetE1EEEvSK_.kd
    .uniform_work_group_size: 1
    .uses_dynamic_stack: false
    .vgpr_count:     0
    .vgpr_spill_count: 0
    .wavefront_size: 64
  - .args:
      - .offset:         0
        .size:           88
        .value_kind:     by_value
      - .offset:         88
        .size:           4
        .value_kind:     hidden_block_count_x
      - .offset:         92
        .size:           4
        .value_kind:     hidden_block_count_y
      - .offset:         96
        .size:           4
        .value_kind:     hidden_block_count_z
      - .offset:         100
        .size:           2
        .value_kind:     hidden_group_size_x
      - .offset:         102
        .size:           2
        .value_kind:     hidden_group_size_y
      - .offset:         104
        .size:           2
        .value_kind:     hidden_group_size_z
      - .offset:         106
        .size:           2
        .value_kind:     hidden_remainder_x
      - .offset:         108
        .size:           2
        .value_kind:     hidden_remainder_y
      - .offset:         110
        .size:           2
        .value_kind:     hidden_remainder_z
      - .offset:         128
        .size:           8
        .value_kind:     hidden_global_offset_x
      - .offset:         136
        .size:           8
        .value_kind:     hidden_global_offset_y
      - .offset:         144
        .size:           8
        .value_kind:     hidden_global_offset_z
      - .offset:         152
        .size:           2
        .value_kind:     hidden_grid_dims
    .group_segment_fixed_size: 12288
    .kernarg_segment_align: 8
    .kernarg_segment_size: 344
    .language:       OpenCL C
    .language_version:
      - 2
      - 0
    .max_flat_workgroup_size: 256
    .name:           _ZN7rocprim17ROCPRIM_400000_NS6detail17trampoline_kernelINS0_14default_configENS1_36segmented_radix_sort_config_selectorIflEEZNS1_25segmented_radix_sort_implIS3_Lb1EPKfPfPKlPlN2at6native12_GLOBAL__N_18offset_tEEE10hipError_tPvRmT1_PNSt15iterator_traitsISK_E10value_typeET2_T3_PNSL_ISQ_E10value_typeET4_jRbjT5_SW_jjP12ihipStream_tbEUlT_E1_NS1_11comp_targetILNS1_3genE2ELNS1_11target_archE906ELNS1_3gpuE6ELNS1_3repE0EEENS1_59segmented_radix_sort_warp_sort_small_config_static_selectorELNS0_4arch9wavefront6targetE1EEEvSK_
    .private_segment_fixed_size: 0
    .sgpr_count:     46
    .sgpr_spill_count: 0
    .symbol:         _ZN7rocprim17ROCPRIM_400000_NS6detail17trampoline_kernelINS0_14default_configENS1_36segmented_radix_sort_config_selectorIflEEZNS1_25segmented_radix_sort_implIS3_Lb1EPKfPfPKlPlN2at6native12_GLOBAL__N_18offset_tEEE10hipError_tPvRmT1_PNSt15iterator_traitsISK_E10value_typeET2_T3_PNSL_ISQ_E10value_typeET4_jRbjT5_SW_jjP12ihipStream_tbEUlT_E1_NS1_11comp_targetILNS1_3genE2ELNS1_11target_archE906ELNS1_3gpuE6ELNS1_3repE0EEENS1_59segmented_radix_sort_warp_sort_small_config_static_selectorELNS0_4arch9wavefront6targetE1EEEvSK_.kd
    .uniform_work_group_size: 1
    .uses_dynamic_stack: false
    .vgpr_count:     72
    .vgpr_spill_count: 0
    .wavefront_size: 64
  - .args:
      - .offset:         0
        .size:           88
        .value_kind:     by_value
    .group_segment_fixed_size: 0
    .kernarg_segment_align: 8
    .kernarg_segment_size: 88
    .language:       OpenCL C
    .language_version:
      - 2
      - 0
    .max_flat_workgroup_size: 256
    .name:           _ZN7rocprim17ROCPRIM_400000_NS6detail17trampoline_kernelINS0_14default_configENS1_36segmented_radix_sort_config_selectorIflEEZNS1_25segmented_radix_sort_implIS3_Lb1EPKfPfPKlPlN2at6native12_GLOBAL__N_18offset_tEEE10hipError_tPvRmT1_PNSt15iterator_traitsISK_E10value_typeET2_T3_PNSL_ISQ_E10value_typeET4_jRbjT5_SW_jjP12ihipStream_tbEUlT_E1_NS1_11comp_targetILNS1_3genE10ELNS1_11target_archE1201ELNS1_3gpuE5ELNS1_3repE0EEENS1_59segmented_radix_sort_warp_sort_small_config_static_selectorELNS0_4arch9wavefront6targetE1EEEvSK_
    .private_segment_fixed_size: 0
    .sgpr_count:     4
    .sgpr_spill_count: 0
    .symbol:         _ZN7rocprim17ROCPRIM_400000_NS6detail17trampoline_kernelINS0_14default_configENS1_36segmented_radix_sort_config_selectorIflEEZNS1_25segmented_radix_sort_implIS3_Lb1EPKfPfPKlPlN2at6native12_GLOBAL__N_18offset_tEEE10hipError_tPvRmT1_PNSt15iterator_traitsISK_E10value_typeET2_T3_PNSL_ISQ_E10value_typeET4_jRbjT5_SW_jjP12ihipStream_tbEUlT_E1_NS1_11comp_targetILNS1_3genE10ELNS1_11target_archE1201ELNS1_3gpuE5ELNS1_3repE0EEENS1_59segmented_radix_sort_warp_sort_small_config_static_selectorELNS0_4arch9wavefront6targetE1EEEvSK_.kd
    .uniform_work_group_size: 1
    .uses_dynamic_stack: false
    .vgpr_count:     0
    .vgpr_spill_count: 0
    .wavefront_size: 64
  - .args:
      - .offset:         0
        .size:           88
        .value_kind:     by_value
    .group_segment_fixed_size: 0
    .kernarg_segment_align: 8
    .kernarg_segment_size: 88
    .language:       OpenCL C
    .language_version:
      - 2
      - 0
    .max_flat_workgroup_size: 256
    .name:           _ZN7rocprim17ROCPRIM_400000_NS6detail17trampoline_kernelINS0_14default_configENS1_36segmented_radix_sort_config_selectorIflEEZNS1_25segmented_radix_sort_implIS3_Lb1EPKfPfPKlPlN2at6native12_GLOBAL__N_18offset_tEEE10hipError_tPvRmT1_PNSt15iterator_traitsISK_E10value_typeET2_T3_PNSL_ISQ_E10value_typeET4_jRbjT5_SW_jjP12ihipStream_tbEUlT_E1_NS1_11comp_targetILNS1_3genE10ELNS1_11target_archE1200ELNS1_3gpuE4ELNS1_3repE0EEENS1_59segmented_radix_sort_warp_sort_small_config_static_selectorELNS0_4arch9wavefront6targetE1EEEvSK_
    .private_segment_fixed_size: 0
    .sgpr_count:     4
    .sgpr_spill_count: 0
    .symbol:         _ZN7rocprim17ROCPRIM_400000_NS6detail17trampoline_kernelINS0_14default_configENS1_36segmented_radix_sort_config_selectorIflEEZNS1_25segmented_radix_sort_implIS3_Lb1EPKfPfPKlPlN2at6native12_GLOBAL__N_18offset_tEEE10hipError_tPvRmT1_PNSt15iterator_traitsISK_E10value_typeET2_T3_PNSL_ISQ_E10value_typeET4_jRbjT5_SW_jjP12ihipStream_tbEUlT_E1_NS1_11comp_targetILNS1_3genE10ELNS1_11target_archE1200ELNS1_3gpuE4ELNS1_3repE0EEENS1_59segmented_radix_sort_warp_sort_small_config_static_selectorELNS0_4arch9wavefront6targetE1EEEvSK_.kd
    .uniform_work_group_size: 1
    .uses_dynamic_stack: false
    .vgpr_count:     0
    .vgpr_spill_count: 0
    .wavefront_size: 64
  - .args:
      - .offset:         0
        .size:           88
        .value_kind:     by_value
    .group_segment_fixed_size: 0
    .kernarg_segment_align: 8
    .kernarg_segment_size: 88
    .language:       OpenCL C
    .language_version:
      - 2
      - 0
    .max_flat_workgroup_size: 256
    .name:           _ZN7rocprim17ROCPRIM_400000_NS6detail17trampoline_kernelINS0_14default_configENS1_36segmented_radix_sort_config_selectorIflEEZNS1_25segmented_radix_sort_implIS3_Lb1EPKfPfPKlPlN2at6native12_GLOBAL__N_18offset_tEEE10hipError_tPvRmT1_PNSt15iterator_traitsISK_E10value_typeET2_T3_PNSL_ISQ_E10value_typeET4_jRbjT5_SW_jjP12ihipStream_tbEUlT_E1_NS1_11comp_targetILNS1_3genE9ELNS1_11target_archE1100ELNS1_3gpuE3ELNS1_3repE0EEENS1_59segmented_radix_sort_warp_sort_small_config_static_selectorELNS0_4arch9wavefront6targetE1EEEvSK_
    .private_segment_fixed_size: 0
    .sgpr_count:     4
    .sgpr_spill_count: 0
    .symbol:         _ZN7rocprim17ROCPRIM_400000_NS6detail17trampoline_kernelINS0_14default_configENS1_36segmented_radix_sort_config_selectorIflEEZNS1_25segmented_radix_sort_implIS3_Lb1EPKfPfPKlPlN2at6native12_GLOBAL__N_18offset_tEEE10hipError_tPvRmT1_PNSt15iterator_traitsISK_E10value_typeET2_T3_PNSL_ISQ_E10value_typeET4_jRbjT5_SW_jjP12ihipStream_tbEUlT_E1_NS1_11comp_targetILNS1_3genE9ELNS1_11target_archE1100ELNS1_3gpuE3ELNS1_3repE0EEENS1_59segmented_radix_sort_warp_sort_small_config_static_selectorELNS0_4arch9wavefront6targetE1EEEvSK_.kd
    .uniform_work_group_size: 1
    .uses_dynamic_stack: false
    .vgpr_count:     0
    .vgpr_spill_count: 0
    .wavefront_size: 64
  - .args:
      - .offset:         0
        .size:           88
        .value_kind:     by_value
    .group_segment_fixed_size: 0
    .kernarg_segment_align: 8
    .kernarg_segment_size: 88
    .language:       OpenCL C
    .language_version:
      - 2
      - 0
    .max_flat_workgroup_size: 256
    .name:           _ZN7rocprim17ROCPRIM_400000_NS6detail17trampoline_kernelINS0_14default_configENS1_36segmented_radix_sort_config_selectorIflEEZNS1_25segmented_radix_sort_implIS3_Lb1EPKfPfPKlPlN2at6native12_GLOBAL__N_18offset_tEEE10hipError_tPvRmT1_PNSt15iterator_traitsISK_E10value_typeET2_T3_PNSL_ISQ_E10value_typeET4_jRbjT5_SW_jjP12ihipStream_tbEUlT_E1_NS1_11comp_targetILNS1_3genE8ELNS1_11target_archE1030ELNS1_3gpuE2ELNS1_3repE0EEENS1_59segmented_radix_sort_warp_sort_small_config_static_selectorELNS0_4arch9wavefront6targetE1EEEvSK_
    .private_segment_fixed_size: 0
    .sgpr_count:     4
    .sgpr_spill_count: 0
    .symbol:         _ZN7rocprim17ROCPRIM_400000_NS6detail17trampoline_kernelINS0_14default_configENS1_36segmented_radix_sort_config_selectorIflEEZNS1_25segmented_radix_sort_implIS3_Lb1EPKfPfPKlPlN2at6native12_GLOBAL__N_18offset_tEEE10hipError_tPvRmT1_PNSt15iterator_traitsISK_E10value_typeET2_T3_PNSL_ISQ_E10value_typeET4_jRbjT5_SW_jjP12ihipStream_tbEUlT_E1_NS1_11comp_targetILNS1_3genE8ELNS1_11target_archE1030ELNS1_3gpuE2ELNS1_3repE0EEENS1_59segmented_radix_sort_warp_sort_small_config_static_selectorELNS0_4arch9wavefront6targetE1EEEvSK_.kd
    .uniform_work_group_size: 1
    .uses_dynamic_stack: false
    .vgpr_count:     0
    .vgpr_spill_count: 0
    .wavefront_size: 64
  - .args:
      - .offset:         0
        .size:           80
        .value_kind:     by_value
    .group_segment_fixed_size: 0
    .kernarg_segment_align: 8
    .kernarg_segment_size: 80
    .language:       OpenCL C
    .language_version:
      - 2
      - 0
    .max_flat_workgroup_size: 256
    .name:           _ZN7rocprim17ROCPRIM_400000_NS6detail17trampoline_kernelINS0_14default_configENS1_36segmented_radix_sort_config_selectorIflEEZNS1_25segmented_radix_sort_implIS3_Lb1EPKfPfPKlPlN2at6native12_GLOBAL__N_18offset_tEEE10hipError_tPvRmT1_PNSt15iterator_traitsISK_E10value_typeET2_T3_PNSL_ISQ_E10value_typeET4_jRbjT5_SW_jjP12ihipStream_tbEUlT_E2_NS1_11comp_targetILNS1_3genE0ELNS1_11target_archE4294967295ELNS1_3gpuE0ELNS1_3repE0EEENS1_30default_config_static_selectorELNS0_4arch9wavefront6targetE1EEEvSK_
    .private_segment_fixed_size: 0
    .sgpr_count:     4
    .sgpr_spill_count: 0
    .symbol:         _ZN7rocprim17ROCPRIM_400000_NS6detail17trampoline_kernelINS0_14default_configENS1_36segmented_radix_sort_config_selectorIflEEZNS1_25segmented_radix_sort_implIS3_Lb1EPKfPfPKlPlN2at6native12_GLOBAL__N_18offset_tEEE10hipError_tPvRmT1_PNSt15iterator_traitsISK_E10value_typeET2_T3_PNSL_ISQ_E10value_typeET4_jRbjT5_SW_jjP12ihipStream_tbEUlT_E2_NS1_11comp_targetILNS1_3genE0ELNS1_11target_archE4294967295ELNS1_3gpuE0ELNS1_3repE0EEENS1_30default_config_static_selectorELNS0_4arch9wavefront6targetE1EEEvSK_.kd
    .uniform_work_group_size: 1
    .uses_dynamic_stack: false
    .vgpr_count:     0
    .vgpr_spill_count: 0
    .wavefront_size: 64
  - .args:
      - .offset:         0
        .size:           80
        .value_kind:     by_value
    .group_segment_fixed_size: 0
    .kernarg_segment_align: 8
    .kernarg_segment_size: 80
    .language:       OpenCL C
    .language_version:
      - 2
      - 0
    .max_flat_workgroup_size: 256
    .name:           _ZN7rocprim17ROCPRIM_400000_NS6detail17trampoline_kernelINS0_14default_configENS1_36segmented_radix_sort_config_selectorIflEEZNS1_25segmented_radix_sort_implIS3_Lb1EPKfPfPKlPlN2at6native12_GLOBAL__N_18offset_tEEE10hipError_tPvRmT1_PNSt15iterator_traitsISK_E10value_typeET2_T3_PNSL_ISQ_E10value_typeET4_jRbjT5_SW_jjP12ihipStream_tbEUlT_E2_NS1_11comp_targetILNS1_3genE5ELNS1_11target_archE942ELNS1_3gpuE9ELNS1_3repE0EEENS1_30default_config_static_selectorELNS0_4arch9wavefront6targetE1EEEvSK_
    .private_segment_fixed_size: 0
    .sgpr_count:     4
    .sgpr_spill_count: 0
    .symbol:         _ZN7rocprim17ROCPRIM_400000_NS6detail17trampoline_kernelINS0_14default_configENS1_36segmented_radix_sort_config_selectorIflEEZNS1_25segmented_radix_sort_implIS3_Lb1EPKfPfPKlPlN2at6native12_GLOBAL__N_18offset_tEEE10hipError_tPvRmT1_PNSt15iterator_traitsISK_E10value_typeET2_T3_PNSL_ISQ_E10value_typeET4_jRbjT5_SW_jjP12ihipStream_tbEUlT_E2_NS1_11comp_targetILNS1_3genE5ELNS1_11target_archE942ELNS1_3gpuE9ELNS1_3repE0EEENS1_30default_config_static_selectorELNS0_4arch9wavefront6targetE1EEEvSK_.kd
    .uniform_work_group_size: 1
    .uses_dynamic_stack: false
    .vgpr_count:     0
    .vgpr_spill_count: 0
    .wavefront_size: 64
  - .args:
      - .offset:         0
        .size:           80
        .value_kind:     by_value
    .group_segment_fixed_size: 0
    .kernarg_segment_align: 8
    .kernarg_segment_size: 80
    .language:       OpenCL C
    .language_version:
      - 2
      - 0
    .max_flat_workgroup_size: 256
    .name:           _ZN7rocprim17ROCPRIM_400000_NS6detail17trampoline_kernelINS0_14default_configENS1_36segmented_radix_sort_config_selectorIflEEZNS1_25segmented_radix_sort_implIS3_Lb1EPKfPfPKlPlN2at6native12_GLOBAL__N_18offset_tEEE10hipError_tPvRmT1_PNSt15iterator_traitsISK_E10value_typeET2_T3_PNSL_ISQ_E10value_typeET4_jRbjT5_SW_jjP12ihipStream_tbEUlT_E2_NS1_11comp_targetILNS1_3genE4ELNS1_11target_archE910ELNS1_3gpuE8ELNS1_3repE0EEENS1_30default_config_static_selectorELNS0_4arch9wavefront6targetE1EEEvSK_
    .private_segment_fixed_size: 0
    .sgpr_count:     4
    .sgpr_spill_count: 0
    .symbol:         _ZN7rocprim17ROCPRIM_400000_NS6detail17trampoline_kernelINS0_14default_configENS1_36segmented_radix_sort_config_selectorIflEEZNS1_25segmented_radix_sort_implIS3_Lb1EPKfPfPKlPlN2at6native12_GLOBAL__N_18offset_tEEE10hipError_tPvRmT1_PNSt15iterator_traitsISK_E10value_typeET2_T3_PNSL_ISQ_E10value_typeET4_jRbjT5_SW_jjP12ihipStream_tbEUlT_E2_NS1_11comp_targetILNS1_3genE4ELNS1_11target_archE910ELNS1_3gpuE8ELNS1_3repE0EEENS1_30default_config_static_selectorELNS0_4arch9wavefront6targetE1EEEvSK_.kd
    .uniform_work_group_size: 1
    .uses_dynamic_stack: false
    .vgpr_count:     0
    .vgpr_spill_count: 0
    .wavefront_size: 64
  - .args:
      - .offset:         0
        .size:           80
        .value_kind:     by_value
    .group_segment_fixed_size: 0
    .kernarg_segment_align: 8
    .kernarg_segment_size: 80
    .language:       OpenCL C
    .language_version:
      - 2
      - 0
    .max_flat_workgroup_size: 256
    .name:           _ZN7rocprim17ROCPRIM_400000_NS6detail17trampoline_kernelINS0_14default_configENS1_36segmented_radix_sort_config_selectorIflEEZNS1_25segmented_radix_sort_implIS3_Lb1EPKfPfPKlPlN2at6native12_GLOBAL__N_18offset_tEEE10hipError_tPvRmT1_PNSt15iterator_traitsISK_E10value_typeET2_T3_PNSL_ISQ_E10value_typeET4_jRbjT5_SW_jjP12ihipStream_tbEUlT_E2_NS1_11comp_targetILNS1_3genE3ELNS1_11target_archE908ELNS1_3gpuE7ELNS1_3repE0EEENS1_30default_config_static_selectorELNS0_4arch9wavefront6targetE1EEEvSK_
    .private_segment_fixed_size: 0
    .sgpr_count:     4
    .sgpr_spill_count: 0
    .symbol:         _ZN7rocprim17ROCPRIM_400000_NS6detail17trampoline_kernelINS0_14default_configENS1_36segmented_radix_sort_config_selectorIflEEZNS1_25segmented_radix_sort_implIS3_Lb1EPKfPfPKlPlN2at6native12_GLOBAL__N_18offset_tEEE10hipError_tPvRmT1_PNSt15iterator_traitsISK_E10value_typeET2_T3_PNSL_ISQ_E10value_typeET4_jRbjT5_SW_jjP12ihipStream_tbEUlT_E2_NS1_11comp_targetILNS1_3genE3ELNS1_11target_archE908ELNS1_3gpuE7ELNS1_3repE0EEENS1_30default_config_static_selectorELNS0_4arch9wavefront6targetE1EEEvSK_.kd
    .uniform_work_group_size: 1
    .uses_dynamic_stack: false
    .vgpr_count:     0
    .vgpr_spill_count: 0
    .wavefront_size: 64
  - .args:
      - .offset:         0
        .size:           80
        .value_kind:     by_value
      - .offset:         80
        .size:           4
        .value_kind:     hidden_block_count_x
      - .offset:         84
        .size:           4
        .value_kind:     hidden_block_count_y
      - .offset:         88
        .size:           4
        .value_kind:     hidden_block_count_z
      - .offset:         92
        .size:           2
        .value_kind:     hidden_group_size_x
      - .offset:         94
        .size:           2
        .value_kind:     hidden_group_size_y
      - .offset:         96
        .size:           2
        .value_kind:     hidden_group_size_z
      - .offset:         98
        .size:           2
        .value_kind:     hidden_remainder_x
      - .offset:         100
        .size:           2
        .value_kind:     hidden_remainder_y
      - .offset:         102
        .size:           2
        .value_kind:     hidden_remainder_z
      - .offset:         120
        .size:           8
        .value_kind:     hidden_global_offset_x
      - .offset:         128
        .size:           8
        .value_kind:     hidden_global_offset_y
      - .offset:         136
        .size:           8
        .value_kind:     hidden_global_offset_z
      - .offset:         144
        .size:           2
        .value_kind:     hidden_grid_dims
    .group_segment_fixed_size: 17424
    .kernarg_segment_align: 8
    .kernarg_segment_size: 336
    .language:       OpenCL C
    .language_version:
      - 2
      - 0
    .max_flat_workgroup_size: 256
    .name:           _ZN7rocprim17ROCPRIM_400000_NS6detail17trampoline_kernelINS0_14default_configENS1_36segmented_radix_sort_config_selectorIflEEZNS1_25segmented_radix_sort_implIS3_Lb1EPKfPfPKlPlN2at6native12_GLOBAL__N_18offset_tEEE10hipError_tPvRmT1_PNSt15iterator_traitsISK_E10value_typeET2_T3_PNSL_ISQ_E10value_typeET4_jRbjT5_SW_jjP12ihipStream_tbEUlT_E2_NS1_11comp_targetILNS1_3genE2ELNS1_11target_archE906ELNS1_3gpuE6ELNS1_3repE0EEENS1_30default_config_static_selectorELNS0_4arch9wavefront6targetE1EEEvSK_
    .private_segment_fixed_size: 0
    .sgpr_count:     85
    .sgpr_spill_count: 0
    .symbol:         _ZN7rocprim17ROCPRIM_400000_NS6detail17trampoline_kernelINS0_14default_configENS1_36segmented_radix_sort_config_selectorIflEEZNS1_25segmented_radix_sort_implIS3_Lb1EPKfPfPKlPlN2at6native12_GLOBAL__N_18offset_tEEE10hipError_tPvRmT1_PNSt15iterator_traitsISK_E10value_typeET2_T3_PNSL_ISQ_E10value_typeET4_jRbjT5_SW_jjP12ihipStream_tbEUlT_E2_NS1_11comp_targetILNS1_3genE2ELNS1_11target_archE906ELNS1_3gpuE6ELNS1_3repE0EEENS1_30default_config_static_selectorELNS0_4arch9wavefront6targetE1EEEvSK_.kd
    .uniform_work_group_size: 1
    .uses_dynamic_stack: false
    .vgpr_count:     178
    .vgpr_spill_count: 0
    .wavefront_size: 64
  - .args:
      - .offset:         0
        .size:           80
        .value_kind:     by_value
    .group_segment_fixed_size: 0
    .kernarg_segment_align: 8
    .kernarg_segment_size: 80
    .language:       OpenCL C
    .language_version:
      - 2
      - 0
    .max_flat_workgroup_size: 256
    .name:           _ZN7rocprim17ROCPRIM_400000_NS6detail17trampoline_kernelINS0_14default_configENS1_36segmented_radix_sort_config_selectorIflEEZNS1_25segmented_radix_sort_implIS3_Lb1EPKfPfPKlPlN2at6native12_GLOBAL__N_18offset_tEEE10hipError_tPvRmT1_PNSt15iterator_traitsISK_E10value_typeET2_T3_PNSL_ISQ_E10value_typeET4_jRbjT5_SW_jjP12ihipStream_tbEUlT_E2_NS1_11comp_targetILNS1_3genE10ELNS1_11target_archE1201ELNS1_3gpuE5ELNS1_3repE0EEENS1_30default_config_static_selectorELNS0_4arch9wavefront6targetE1EEEvSK_
    .private_segment_fixed_size: 0
    .sgpr_count:     4
    .sgpr_spill_count: 0
    .symbol:         _ZN7rocprim17ROCPRIM_400000_NS6detail17trampoline_kernelINS0_14default_configENS1_36segmented_radix_sort_config_selectorIflEEZNS1_25segmented_radix_sort_implIS3_Lb1EPKfPfPKlPlN2at6native12_GLOBAL__N_18offset_tEEE10hipError_tPvRmT1_PNSt15iterator_traitsISK_E10value_typeET2_T3_PNSL_ISQ_E10value_typeET4_jRbjT5_SW_jjP12ihipStream_tbEUlT_E2_NS1_11comp_targetILNS1_3genE10ELNS1_11target_archE1201ELNS1_3gpuE5ELNS1_3repE0EEENS1_30default_config_static_selectorELNS0_4arch9wavefront6targetE1EEEvSK_.kd
    .uniform_work_group_size: 1
    .uses_dynamic_stack: false
    .vgpr_count:     0
    .vgpr_spill_count: 0
    .wavefront_size: 64
  - .args:
      - .offset:         0
        .size:           80
        .value_kind:     by_value
    .group_segment_fixed_size: 0
    .kernarg_segment_align: 8
    .kernarg_segment_size: 80
    .language:       OpenCL C
    .language_version:
      - 2
      - 0
    .max_flat_workgroup_size: 128
    .name:           _ZN7rocprim17ROCPRIM_400000_NS6detail17trampoline_kernelINS0_14default_configENS1_36segmented_radix_sort_config_selectorIflEEZNS1_25segmented_radix_sort_implIS3_Lb1EPKfPfPKlPlN2at6native12_GLOBAL__N_18offset_tEEE10hipError_tPvRmT1_PNSt15iterator_traitsISK_E10value_typeET2_T3_PNSL_ISQ_E10value_typeET4_jRbjT5_SW_jjP12ihipStream_tbEUlT_E2_NS1_11comp_targetILNS1_3genE10ELNS1_11target_archE1200ELNS1_3gpuE4ELNS1_3repE0EEENS1_30default_config_static_selectorELNS0_4arch9wavefront6targetE1EEEvSK_
    .private_segment_fixed_size: 0
    .sgpr_count:     4
    .sgpr_spill_count: 0
    .symbol:         _ZN7rocprim17ROCPRIM_400000_NS6detail17trampoline_kernelINS0_14default_configENS1_36segmented_radix_sort_config_selectorIflEEZNS1_25segmented_radix_sort_implIS3_Lb1EPKfPfPKlPlN2at6native12_GLOBAL__N_18offset_tEEE10hipError_tPvRmT1_PNSt15iterator_traitsISK_E10value_typeET2_T3_PNSL_ISQ_E10value_typeET4_jRbjT5_SW_jjP12ihipStream_tbEUlT_E2_NS1_11comp_targetILNS1_3genE10ELNS1_11target_archE1200ELNS1_3gpuE4ELNS1_3repE0EEENS1_30default_config_static_selectorELNS0_4arch9wavefront6targetE1EEEvSK_.kd
    .uniform_work_group_size: 1
    .uses_dynamic_stack: false
    .vgpr_count:     0
    .vgpr_spill_count: 0
    .wavefront_size: 64
  - .args:
      - .offset:         0
        .size:           80
        .value_kind:     by_value
    .group_segment_fixed_size: 0
    .kernarg_segment_align: 8
    .kernarg_segment_size: 80
    .language:       OpenCL C
    .language_version:
      - 2
      - 0
    .max_flat_workgroup_size: 256
    .name:           _ZN7rocprim17ROCPRIM_400000_NS6detail17trampoline_kernelINS0_14default_configENS1_36segmented_radix_sort_config_selectorIflEEZNS1_25segmented_radix_sort_implIS3_Lb1EPKfPfPKlPlN2at6native12_GLOBAL__N_18offset_tEEE10hipError_tPvRmT1_PNSt15iterator_traitsISK_E10value_typeET2_T3_PNSL_ISQ_E10value_typeET4_jRbjT5_SW_jjP12ihipStream_tbEUlT_E2_NS1_11comp_targetILNS1_3genE9ELNS1_11target_archE1100ELNS1_3gpuE3ELNS1_3repE0EEENS1_30default_config_static_selectorELNS0_4arch9wavefront6targetE1EEEvSK_
    .private_segment_fixed_size: 0
    .sgpr_count:     4
    .sgpr_spill_count: 0
    .symbol:         _ZN7rocprim17ROCPRIM_400000_NS6detail17trampoline_kernelINS0_14default_configENS1_36segmented_radix_sort_config_selectorIflEEZNS1_25segmented_radix_sort_implIS3_Lb1EPKfPfPKlPlN2at6native12_GLOBAL__N_18offset_tEEE10hipError_tPvRmT1_PNSt15iterator_traitsISK_E10value_typeET2_T3_PNSL_ISQ_E10value_typeET4_jRbjT5_SW_jjP12ihipStream_tbEUlT_E2_NS1_11comp_targetILNS1_3genE9ELNS1_11target_archE1100ELNS1_3gpuE3ELNS1_3repE0EEENS1_30default_config_static_selectorELNS0_4arch9wavefront6targetE1EEEvSK_.kd
    .uniform_work_group_size: 1
    .uses_dynamic_stack: false
    .vgpr_count:     0
    .vgpr_spill_count: 0
    .wavefront_size: 64
  - .args:
      - .offset:         0
        .size:           80
        .value_kind:     by_value
    .group_segment_fixed_size: 0
    .kernarg_segment_align: 8
    .kernarg_segment_size: 80
    .language:       OpenCL C
    .language_version:
      - 2
      - 0
    .max_flat_workgroup_size: 256
    .name:           _ZN7rocprim17ROCPRIM_400000_NS6detail17trampoline_kernelINS0_14default_configENS1_36segmented_radix_sort_config_selectorIflEEZNS1_25segmented_radix_sort_implIS3_Lb1EPKfPfPKlPlN2at6native12_GLOBAL__N_18offset_tEEE10hipError_tPvRmT1_PNSt15iterator_traitsISK_E10value_typeET2_T3_PNSL_ISQ_E10value_typeET4_jRbjT5_SW_jjP12ihipStream_tbEUlT_E2_NS1_11comp_targetILNS1_3genE8ELNS1_11target_archE1030ELNS1_3gpuE2ELNS1_3repE0EEENS1_30default_config_static_selectorELNS0_4arch9wavefront6targetE1EEEvSK_
    .private_segment_fixed_size: 0
    .sgpr_count:     4
    .sgpr_spill_count: 0
    .symbol:         _ZN7rocprim17ROCPRIM_400000_NS6detail17trampoline_kernelINS0_14default_configENS1_36segmented_radix_sort_config_selectorIflEEZNS1_25segmented_radix_sort_implIS3_Lb1EPKfPfPKlPlN2at6native12_GLOBAL__N_18offset_tEEE10hipError_tPvRmT1_PNSt15iterator_traitsISK_E10value_typeET2_T3_PNSL_ISQ_E10value_typeET4_jRbjT5_SW_jjP12ihipStream_tbEUlT_E2_NS1_11comp_targetILNS1_3genE8ELNS1_11target_archE1030ELNS1_3gpuE2ELNS1_3repE0EEENS1_30default_config_static_selectorELNS0_4arch9wavefront6targetE1EEEvSK_.kd
    .uniform_work_group_size: 1
    .uses_dynamic_stack: false
    .vgpr_count:     0
    .vgpr_spill_count: 0
    .wavefront_size: 64
  - .args:
      - .offset:         0
        .size:           176
        .value_kind:     by_value
    .group_segment_fixed_size: 0
    .kernarg_segment_align: 8
    .kernarg_segment_size: 176
    .language:       OpenCL C
    .language_version:
      - 2
      - 0
    .max_flat_workgroup_size: 256
    .name:           _ZN7rocprim17ROCPRIM_400000_NS6detail17trampoline_kernelINS0_13select_configILj256ELj13ELNS0_17block_load_methodE3ELS4_3ELS4_3ELNS0_20block_scan_algorithmE0ELj4294967295EEENS1_25partition_config_selectorILNS1_17partition_subalgoE4EjNS0_10empty_typeEbEEZZNS1_14partition_implILS8_4ELb0ES6_15HIP_vector_typeIjLj2EENS0_17counting_iteratorIjlEEPS9_SG_NS0_5tupleIJPjSI_NS0_16reverse_iteratorISI_EEEEENSH_IJSG_SG_SG_EEES9_SI_JZNS1_25segmented_radix_sort_implINS0_14default_configELb0EPKfPfPKlPlN2at6native12_GLOBAL__N_18offset_tEEE10hipError_tPvRmT1_PNSt15iterator_traitsIS12_E10value_typeET2_T3_PNS13_IS18_E10value_typeET4_jRbjT5_S1E_jjP12ihipStream_tbEUljE_ZNSN_ISO_Lb0ESQ_SR_ST_SU_SY_EESZ_S10_S11_S12_S16_S17_S18_S1B_S1C_jS1D_jS1E_S1E_jjS1G_bEUljE0_EEESZ_S10_S11_S18_S1C_S1E_T6_T7_T9_mT8_S1G_bDpT10_ENKUlT_T0_E_clISt17integral_constantIbLb0EES1U_EEDaS1P_S1Q_EUlS1P_E_NS1_11comp_targetILNS1_3genE0ELNS1_11target_archE4294967295ELNS1_3gpuE0ELNS1_3repE0EEENS1_30default_config_static_selectorELNS0_4arch9wavefront6targetE1EEEvS12_
    .private_segment_fixed_size: 0
    .sgpr_count:     4
    .sgpr_spill_count: 0
    .symbol:         _ZN7rocprim17ROCPRIM_400000_NS6detail17trampoline_kernelINS0_13select_configILj256ELj13ELNS0_17block_load_methodE3ELS4_3ELS4_3ELNS0_20block_scan_algorithmE0ELj4294967295EEENS1_25partition_config_selectorILNS1_17partition_subalgoE4EjNS0_10empty_typeEbEEZZNS1_14partition_implILS8_4ELb0ES6_15HIP_vector_typeIjLj2EENS0_17counting_iteratorIjlEEPS9_SG_NS0_5tupleIJPjSI_NS0_16reverse_iteratorISI_EEEEENSH_IJSG_SG_SG_EEES9_SI_JZNS1_25segmented_radix_sort_implINS0_14default_configELb0EPKfPfPKlPlN2at6native12_GLOBAL__N_18offset_tEEE10hipError_tPvRmT1_PNSt15iterator_traitsIS12_E10value_typeET2_T3_PNS13_IS18_E10value_typeET4_jRbjT5_S1E_jjP12ihipStream_tbEUljE_ZNSN_ISO_Lb0ESQ_SR_ST_SU_SY_EESZ_S10_S11_S12_S16_S17_S18_S1B_S1C_jS1D_jS1E_S1E_jjS1G_bEUljE0_EEESZ_S10_S11_S18_S1C_S1E_T6_T7_T9_mT8_S1G_bDpT10_ENKUlT_T0_E_clISt17integral_constantIbLb0EES1U_EEDaS1P_S1Q_EUlS1P_E_NS1_11comp_targetILNS1_3genE0ELNS1_11target_archE4294967295ELNS1_3gpuE0ELNS1_3repE0EEENS1_30default_config_static_selectorELNS0_4arch9wavefront6targetE1EEEvS12_.kd
    .uniform_work_group_size: 1
    .uses_dynamic_stack: false
    .vgpr_count:     0
    .vgpr_spill_count: 0
    .wavefront_size: 64
  - .args:
      - .offset:         0
        .size:           176
        .value_kind:     by_value
    .group_segment_fixed_size: 0
    .kernarg_segment_align: 8
    .kernarg_segment_size: 176
    .language:       OpenCL C
    .language_version:
      - 2
      - 0
    .max_flat_workgroup_size: 256
    .name:           _ZN7rocprim17ROCPRIM_400000_NS6detail17trampoline_kernelINS0_13select_configILj256ELj13ELNS0_17block_load_methodE3ELS4_3ELS4_3ELNS0_20block_scan_algorithmE0ELj4294967295EEENS1_25partition_config_selectorILNS1_17partition_subalgoE4EjNS0_10empty_typeEbEEZZNS1_14partition_implILS8_4ELb0ES6_15HIP_vector_typeIjLj2EENS0_17counting_iteratorIjlEEPS9_SG_NS0_5tupleIJPjSI_NS0_16reverse_iteratorISI_EEEEENSH_IJSG_SG_SG_EEES9_SI_JZNS1_25segmented_radix_sort_implINS0_14default_configELb0EPKfPfPKlPlN2at6native12_GLOBAL__N_18offset_tEEE10hipError_tPvRmT1_PNSt15iterator_traitsIS12_E10value_typeET2_T3_PNS13_IS18_E10value_typeET4_jRbjT5_S1E_jjP12ihipStream_tbEUljE_ZNSN_ISO_Lb0ESQ_SR_ST_SU_SY_EESZ_S10_S11_S12_S16_S17_S18_S1B_S1C_jS1D_jS1E_S1E_jjS1G_bEUljE0_EEESZ_S10_S11_S18_S1C_S1E_T6_T7_T9_mT8_S1G_bDpT10_ENKUlT_T0_E_clISt17integral_constantIbLb0EES1U_EEDaS1P_S1Q_EUlS1P_E_NS1_11comp_targetILNS1_3genE5ELNS1_11target_archE942ELNS1_3gpuE9ELNS1_3repE0EEENS1_30default_config_static_selectorELNS0_4arch9wavefront6targetE1EEEvS12_
    .private_segment_fixed_size: 0
    .sgpr_count:     4
    .sgpr_spill_count: 0
    .symbol:         _ZN7rocprim17ROCPRIM_400000_NS6detail17trampoline_kernelINS0_13select_configILj256ELj13ELNS0_17block_load_methodE3ELS4_3ELS4_3ELNS0_20block_scan_algorithmE0ELj4294967295EEENS1_25partition_config_selectorILNS1_17partition_subalgoE4EjNS0_10empty_typeEbEEZZNS1_14partition_implILS8_4ELb0ES6_15HIP_vector_typeIjLj2EENS0_17counting_iteratorIjlEEPS9_SG_NS0_5tupleIJPjSI_NS0_16reverse_iteratorISI_EEEEENSH_IJSG_SG_SG_EEES9_SI_JZNS1_25segmented_radix_sort_implINS0_14default_configELb0EPKfPfPKlPlN2at6native12_GLOBAL__N_18offset_tEEE10hipError_tPvRmT1_PNSt15iterator_traitsIS12_E10value_typeET2_T3_PNS13_IS18_E10value_typeET4_jRbjT5_S1E_jjP12ihipStream_tbEUljE_ZNSN_ISO_Lb0ESQ_SR_ST_SU_SY_EESZ_S10_S11_S12_S16_S17_S18_S1B_S1C_jS1D_jS1E_S1E_jjS1G_bEUljE0_EEESZ_S10_S11_S18_S1C_S1E_T6_T7_T9_mT8_S1G_bDpT10_ENKUlT_T0_E_clISt17integral_constantIbLb0EES1U_EEDaS1P_S1Q_EUlS1P_E_NS1_11comp_targetILNS1_3genE5ELNS1_11target_archE942ELNS1_3gpuE9ELNS1_3repE0EEENS1_30default_config_static_selectorELNS0_4arch9wavefront6targetE1EEEvS12_.kd
    .uniform_work_group_size: 1
    .uses_dynamic_stack: false
    .vgpr_count:     0
    .vgpr_spill_count: 0
    .wavefront_size: 64
  - .args:
      - .offset:         0
        .size:           176
        .value_kind:     by_value
    .group_segment_fixed_size: 0
    .kernarg_segment_align: 8
    .kernarg_segment_size: 176
    .language:       OpenCL C
    .language_version:
      - 2
      - 0
    .max_flat_workgroup_size: 256
    .name:           _ZN7rocprim17ROCPRIM_400000_NS6detail17trampoline_kernelINS0_13select_configILj256ELj13ELNS0_17block_load_methodE3ELS4_3ELS4_3ELNS0_20block_scan_algorithmE0ELj4294967295EEENS1_25partition_config_selectorILNS1_17partition_subalgoE4EjNS0_10empty_typeEbEEZZNS1_14partition_implILS8_4ELb0ES6_15HIP_vector_typeIjLj2EENS0_17counting_iteratorIjlEEPS9_SG_NS0_5tupleIJPjSI_NS0_16reverse_iteratorISI_EEEEENSH_IJSG_SG_SG_EEES9_SI_JZNS1_25segmented_radix_sort_implINS0_14default_configELb0EPKfPfPKlPlN2at6native12_GLOBAL__N_18offset_tEEE10hipError_tPvRmT1_PNSt15iterator_traitsIS12_E10value_typeET2_T3_PNS13_IS18_E10value_typeET4_jRbjT5_S1E_jjP12ihipStream_tbEUljE_ZNSN_ISO_Lb0ESQ_SR_ST_SU_SY_EESZ_S10_S11_S12_S16_S17_S18_S1B_S1C_jS1D_jS1E_S1E_jjS1G_bEUljE0_EEESZ_S10_S11_S18_S1C_S1E_T6_T7_T9_mT8_S1G_bDpT10_ENKUlT_T0_E_clISt17integral_constantIbLb0EES1U_EEDaS1P_S1Q_EUlS1P_E_NS1_11comp_targetILNS1_3genE4ELNS1_11target_archE910ELNS1_3gpuE8ELNS1_3repE0EEENS1_30default_config_static_selectorELNS0_4arch9wavefront6targetE1EEEvS12_
    .private_segment_fixed_size: 0
    .sgpr_count:     4
    .sgpr_spill_count: 0
    .symbol:         _ZN7rocprim17ROCPRIM_400000_NS6detail17trampoline_kernelINS0_13select_configILj256ELj13ELNS0_17block_load_methodE3ELS4_3ELS4_3ELNS0_20block_scan_algorithmE0ELj4294967295EEENS1_25partition_config_selectorILNS1_17partition_subalgoE4EjNS0_10empty_typeEbEEZZNS1_14partition_implILS8_4ELb0ES6_15HIP_vector_typeIjLj2EENS0_17counting_iteratorIjlEEPS9_SG_NS0_5tupleIJPjSI_NS0_16reverse_iteratorISI_EEEEENSH_IJSG_SG_SG_EEES9_SI_JZNS1_25segmented_radix_sort_implINS0_14default_configELb0EPKfPfPKlPlN2at6native12_GLOBAL__N_18offset_tEEE10hipError_tPvRmT1_PNSt15iterator_traitsIS12_E10value_typeET2_T3_PNS13_IS18_E10value_typeET4_jRbjT5_S1E_jjP12ihipStream_tbEUljE_ZNSN_ISO_Lb0ESQ_SR_ST_SU_SY_EESZ_S10_S11_S12_S16_S17_S18_S1B_S1C_jS1D_jS1E_S1E_jjS1G_bEUljE0_EEESZ_S10_S11_S18_S1C_S1E_T6_T7_T9_mT8_S1G_bDpT10_ENKUlT_T0_E_clISt17integral_constantIbLb0EES1U_EEDaS1P_S1Q_EUlS1P_E_NS1_11comp_targetILNS1_3genE4ELNS1_11target_archE910ELNS1_3gpuE8ELNS1_3repE0EEENS1_30default_config_static_selectorELNS0_4arch9wavefront6targetE1EEEvS12_.kd
    .uniform_work_group_size: 1
    .uses_dynamic_stack: false
    .vgpr_count:     0
    .vgpr_spill_count: 0
    .wavefront_size: 64
  - .args:
      - .offset:         0
        .size:           176
        .value_kind:     by_value
    .group_segment_fixed_size: 0
    .kernarg_segment_align: 8
    .kernarg_segment_size: 176
    .language:       OpenCL C
    .language_version:
      - 2
      - 0
    .max_flat_workgroup_size: 256
    .name:           _ZN7rocprim17ROCPRIM_400000_NS6detail17trampoline_kernelINS0_13select_configILj256ELj13ELNS0_17block_load_methodE3ELS4_3ELS4_3ELNS0_20block_scan_algorithmE0ELj4294967295EEENS1_25partition_config_selectorILNS1_17partition_subalgoE4EjNS0_10empty_typeEbEEZZNS1_14partition_implILS8_4ELb0ES6_15HIP_vector_typeIjLj2EENS0_17counting_iteratorIjlEEPS9_SG_NS0_5tupleIJPjSI_NS0_16reverse_iteratorISI_EEEEENSH_IJSG_SG_SG_EEES9_SI_JZNS1_25segmented_radix_sort_implINS0_14default_configELb0EPKfPfPKlPlN2at6native12_GLOBAL__N_18offset_tEEE10hipError_tPvRmT1_PNSt15iterator_traitsIS12_E10value_typeET2_T3_PNS13_IS18_E10value_typeET4_jRbjT5_S1E_jjP12ihipStream_tbEUljE_ZNSN_ISO_Lb0ESQ_SR_ST_SU_SY_EESZ_S10_S11_S12_S16_S17_S18_S1B_S1C_jS1D_jS1E_S1E_jjS1G_bEUljE0_EEESZ_S10_S11_S18_S1C_S1E_T6_T7_T9_mT8_S1G_bDpT10_ENKUlT_T0_E_clISt17integral_constantIbLb0EES1U_EEDaS1P_S1Q_EUlS1P_E_NS1_11comp_targetILNS1_3genE3ELNS1_11target_archE908ELNS1_3gpuE7ELNS1_3repE0EEENS1_30default_config_static_selectorELNS0_4arch9wavefront6targetE1EEEvS12_
    .private_segment_fixed_size: 0
    .sgpr_count:     4
    .sgpr_spill_count: 0
    .symbol:         _ZN7rocprim17ROCPRIM_400000_NS6detail17trampoline_kernelINS0_13select_configILj256ELj13ELNS0_17block_load_methodE3ELS4_3ELS4_3ELNS0_20block_scan_algorithmE0ELj4294967295EEENS1_25partition_config_selectorILNS1_17partition_subalgoE4EjNS0_10empty_typeEbEEZZNS1_14partition_implILS8_4ELb0ES6_15HIP_vector_typeIjLj2EENS0_17counting_iteratorIjlEEPS9_SG_NS0_5tupleIJPjSI_NS0_16reverse_iteratorISI_EEEEENSH_IJSG_SG_SG_EEES9_SI_JZNS1_25segmented_radix_sort_implINS0_14default_configELb0EPKfPfPKlPlN2at6native12_GLOBAL__N_18offset_tEEE10hipError_tPvRmT1_PNSt15iterator_traitsIS12_E10value_typeET2_T3_PNS13_IS18_E10value_typeET4_jRbjT5_S1E_jjP12ihipStream_tbEUljE_ZNSN_ISO_Lb0ESQ_SR_ST_SU_SY_EESZ_S10_S11_S12_S16_S17_S18_S1B_S1C_jS1D_jS1E_S1E_jjS1G_bEUljE0_EEESZ_S10_S11_S18_S1C_S1E_T6_T7_T9_mT8_S1G_bDpT10_ENKUlT_T0_E_clISt17integral_constantIbLb0EES1U_EEDaS1P_S1Q_EUlS1P_E_NS1_11comp_targetILNS1_3genE3ELNS1_11target_archE908ELNS1_3gpuE7ELNS1_3repE0EEENS1_30default_config_static_selectorELNS0_4arch9wavefront6targetE1EEEvS12_.kd
    .uniform_work_group_size: 1
    .uses_dynamic_stack: false
    .vgpr_count:     0
    .vgpr_spill_count: 0
    .wavefront_size: 64
  - .args:
      - .offset:         0
        .size:           176
        .value_kind:     by_value
    .group_segment_fixed_size: 13328
    .kernarg_segment_align: 8
    .kernarg_segment_size: 176
    .language:       OpenCL C
    .language_version:
      - 2
      - 0
    .max_flat_workgroup_size: 256
    .name:           _ZN7rocprim17ROCPRIM_400000_NS6detail17trampoline_kernelINS0_13select_configILj256ELj13ELNS0_17block_load_methodE3ELS4_3ELS4_3ELNS0_20block_scan_algorithmE0ELj4294967295EEENS1_25partition_config_selectorILNS1_17partition_subalgoE4EjNS0_10empty_typeEbEEZZNS1_14partition_implILS8_4ELb0ES6_15HIP_vector_typeIjLj2EENS0_17counting_iteratorIjlEEPS9_SG_NS0_5tupleIJPjSI_NS0_16reverse_iteratorISI_EEEEENSH_IJSG_SG_SG_EEES9_SI_JZNS1_25segmented_radix_sort_implINS0_14default_configELb0EPKfPfPKlPlN2at6native12_GLOBAL__N_18offset_tEEE10hipError_tPvRmT1_PNSt15iterator_traitsIS12_E10value_typeET2_T3_PNS13_IS18_E10value_typeET4_jRbjT5_S1E_jjP12ihipStream_tbEUljE_ZNSN_ISO_Lb0ESQ_SR_ST_SU_SY_EESZ_S10_S11_S12_S16_S17_S18_S1B_S1C_jS1D_jS1E_S1E_jjS1G_bEUljE0_EEESZ_S10_S11_S18_S1C_S1E_T6_T7_T9_mT8_S1G_bDpT10_ENKUlT_T0_E_clISt17integral_constantIbLb0EES1U_EEDaS1P_S1Q_EUlS1P_E_NS1_11comp_targetILNS1_3genE2ELNS1_11target_archE906ELNS1_3gpuE6ELNS1_3repE0EEENS1_30default_config_static_selectorELNS0_4arch9wavefront6targetE1EEEvS12_
    .private_segment_fixed_size: 0
    .sgpr_count:     94
    .sgpr_spill_count: 0
    .symbol:         _ZN7rocprim17ROCPRIM_400000_NS6detail17trampoline_kernelINS0_13select_configILj256ELj13ELNS0_17block_load_methodE3ELS4_3ELS4_3ELNS0_20block_scan_algorithmE0ELj4294967295EEENS1_25partition_config_selectorILNS1_17partition_subalgoE4EjNS0_10empty_typeEbEEZZNS1_14partition_implILS8_4ELb0ES6_15HIP_vector_typeIjLj2EENS0_17counting_iteratorIjlEEPS9_SG_NS0_5tupleIJPjSI_NS0_16reverse_iteratorISI_EEEEENSH_IJSG_SG_SG_EEES9_SI_JZNS1_25segmented_radix_sort_implINS0_14default_configELb0EPKfPfPKlPlN2at6native12_GLOBAL__N_18offset_tEEE10hipError_tPvRmT1_PNSt15iterator_traitsIS12_E10value_typeET2_T3_PNS13_IS18_E10value_typeET4_jRbjT5_S1E_jjP12ihipStream_tbEUljE_ZNSN_ISO_Lb0ESQ_SR_ST_SU_SY_EESZ_S10_S11_S12_S16_S17_S18_S1B_S1C_jS1D_jS1E_S1E_jjS1G_bEUljE0_EEESZ_S10_S11_S18_S1C_S1E_T6_T7_T9_mT8_S1G_bDpT10_ENKUlT_T0_E_clISt17integral_constantIbLb0EES1U_EEDaS1P_S1Q_EUlS1P_E_NS1_11comp_targetILNS1_3genE2ELNS1_11target_archE906ELNS1_3gpuE6ELNS1_3repE0EEENS1_30default_config_static_selectorELNS0_4arch9wavefront6targetE1EEEvS12_.kd
    .uniform_work_group_size: 1
    .uses_dynamic_stack: false
    .vgpr_count:     86
    .vgpr_spill_count: 0
    .wavefront_size: 64
  - .args:
      - .offset:         0
        .size:           176
        .value_kind:     by_value
    .group_segment_fixed_size: 0
    .kernarg_segment_align: 8
    .kernarg_segment_size: 176
    .language:       OpenCL C
    .language_version:
      - 2
      - 0
    .max_flat_workgroup_size: 256
    .name:           _ZN7rocprim17ROCPRIM_400000_NS6detail17trampoline_kernelINS0_13select_configILj256ELj13ELNS0_17block_load_methodE3ELS4_3ELS4_3ELNS0_20block_scan_algorithmE0ELj4294967295EEENS1_25partition_config_selectorILNS1_17partition_subalgoE4EjNS0_10empty_typeEbEEZZNS1_14partition_implILS8_4ELb0ES6_15HIP_vector_typeIjLj2EENS0_17counting_iteratorIjlEEPS9_SG_NS0_5tupleIJPjSI_NS0_16reverse_iteratorISI_EEEEENSH_IJSG_SG_SG_EEES9_SI_JZNS1_25segmented_radix_sort_implINS0_14default_configELb0EPKfPfPKlPlN2at6native12_GLOBAL__N_18offset_tEEE10hipError_tPvRmT1_PNSt15iterator_traitsIS12_E10value_typeET2_T3_PNS13_IS18_E10value_typeET4_jRbjT5_S1E_jjP12ihipStream_tbEUljE_ZNSN_ISO_Lb0ESQ_SR_ST_SU_SY_EESZ_S10_S11_S12_S16_S17_S18_S1B_S1C_jS1D_jS1E_S1E_jjS1G_bEUljE0_EEESZ_S10_S11_S18_S1C_S1E_T6_T7_T9_mT8_S1G_bDpT10_ENKUlT_T0_E_clISt17integral_constantIbLb0EES1U_EEDaS1P_S1Q_EUlS1P_E_NS1_11comp_targetILNS1_3genE10ELNS1_11target_archE1200ELNS1_3gpuE4ELNS1_3repE0EEENS1_30default_config_static_selectorELNS0_4arch9wavefront6targetE1EEEvS12_
    .private_segment_fixed_size: 0
    .sgpr_count:     4
    .sgpr_spill_count: 0
    .symbol:         _ZN7rocprim17ROCPRIM_400000_NS6detail17trampoline_kernelINS0_13select_configILj256ELj13ELNS0_17block_load_methodE3ELS4_3ELS4_3ELNS0_20block_scan_algorithmE0ELj4294967295EEENS1_25partition_config_selectorILNS1_17partition_subalgoE4EjNS0_10empty_typeEbEEZZNS1_14partition_implILS8_4ELb0ES6_15HIP_vector_typeIjLj2EENS0_17counting_iteratorIjlEEPS9_SG_NS0_5tupleIJPjSI_NS0_16reverse_iteratorISI_EEEEENSH_IJSG_SG_SG_EEES9_SI_JZNS1_25segmented_radix_sort_implINS0_14default_configELb0EPKfPfPKlPlN2at6native12_GLOBAL__N_18offset_tEEE10hipError_tPvRmT1_PNSt15iterator_traitsIS12_E10value_typeET2_T3_PNS13_IS18_E10value_typeET4_jRbjT5_S1E_jjP12ihipStream_tbEUljE_ZNSN_ISO_Lb0ESQ_SR_ST_SU_SY_EESZ_S10_S11_S12_S16_S17_S18_S1B_S1C_jS1D_jS1E_S1E_jjS1G_bEUljE0_EEESZ_S10_S11_S18_S1C_S1E_T6_T7_T9_mT8_S1G_bDpT10_ENKUlT_T0_E_clISt17integral_constantIbLb0EES1U_EEDaS1P_S1Q_EUlS1P_E_NS1_11comp_targetILNS1_3genE10ELNS1_11target_archE1200ELNS1_3gpuE4ELNS1_3repE0EEENS1_30default_config_static_selectorELNS0_4arch9wavefront6targetE1EEEvS12_.kd
    .uniform_work_group_size: 1
    .uses_dynamic_stack: false
    .vgpr_count:     0
    .vgpr_spill_count: 0
    .wavefront_size: 64
  - .args:
      - .offset:         0
        .size:           176
        .value_kind:     by_value
    .group_segment_fixed_size: 0
    .kernarg_segment_align: 8
    .kernarg_segment_size: 176
    .language:       OpenCL C
    .language_version:
      - 2
      - 0
    .max_flat_workgroup_size: 256
    .name:           _ZN7rocprim17ROCPRIM_400000_NS6detail17trampoline_kernelINS0_13select_configILj256ELj13ELNS0_17block_load_methodE3ELS4_3ELS4_3ELNS0_20block_scan_algorithmE0ELj4294967295EEENS1_25partition_config_selectorILNS1_17partition_subalgoE4EjNS0_10empty_typeEbEEZZNS1_14partition_implILS8_4ELb0ES6_15HIP_vector_typeIjLj2EENS0_17counting_iteratorIjlEEPS9_SG_NS0_5tupleIJPjSI_NS0_16reverse_iteratorISI_EEEEENSH_IJSG_SG_SG_EEES9_SI_JZNS1_25segmented_radix_sort_implINS0_14default_configELb0EPKfPfPKlPlN2at6native12_GLOBAL__N_18offset_tEEE10hipError_tPvRmT1_PNSt15iterator_traitsIS12_E10value_typeET2_T3_PNS13_IS18_E10value_typeET4_jRbjT5_S1E_jjP12ihipStream_tbEUljE_ZNSN_ISO_Lb0ESQ_SR_ST_SU_SY_EESZ_S10_S11_S12_S16_S17_S18_S1B_S1C_jS1D_jS1E_S1E_jjS1G_bEUljE0_EEESZ_S10_S11_S18_S1C_S1E_T6_T7_T9_mT8_S1G_bDpT10_ENKUlT_T0_E_clISt17integral_constantIbLb0EES1U_EEDaS1P_S1Q_EUlS1P_E_NS1_11comp_targetILNS1_3genE9ELNS1_11target_archE1100ELNS1_3gpuE3ELNS1_3repE0EEENS1_30default_config_static_selectorELNS0_4arch9wavefront6targetE1EEEvS12_
    .private_segment_fixed_size: 0
    .sgpr_count:     4
    .sgpr_spill_count: 0
    .symbol:         _ZN7rocprim17ROCPRIM_400000_NS6detail17trampoline_kernelINS0_13select_configILj256ELj13ELNS0_17block_load_methodE3ELS4_3ELS4_3ELNS0_20block_scan_algorithmE0ELj4294967295EEENS1_25partition_config_selectorILNS1_17partition_subalgoE4EjNS0_10empty_typeEbEEZZNS1_14partition_implILS8_4ELb0ES6_15HIP_vector_typeIjLj2EENS0_17counting_iteratorIjlEEPS9_SG_NS0_5tupleIJPjSI_NS0_16reverse_iteratorISI_EEEEENSH_IJSG_SG_SG_EEES9_SI_JZNS1_25segmented_radix_sort_implINS0_14default_configELb0EPKfPfPKlPlN2at6native12_GLOBAL__N_18offset_tEEE10hipError_tPvRmT1_PNSt15iterator_traitsIS12_E10value_typeET2_T3_PNS13_IS18_E10value_typeET4_jRbjT5_S1E_jjP12ihipStream_tbEUljE_ZNSN_ISO_Lb0ESQ_SR_ST_SU_SY_EESZ_S10_S11_S12_S16_S17_S18_S1B_S1C_jS1D_jS1E_S1E_jjS1G_bEUljE0_EEESZ_S10_S11_S18_S1C_S1E_T6_T7_T9_mT8_S1G_bDpT10_ENKUlT_T0_E_clISt17integral_constantIbLb0EES1U_EEDaS1P_S1Q_EUlS1P_E_NS1_11comp_targetILNS1_3genE9ELNS1_11target_archE1100ELNS1_3gpuE3ELNS1_3repE0EEENS1_30default_config_static_selectorELNS0_4arch9wavefront6targetE1EEEvS12_.kd
    .uniform_work_group_size: 1
    .uses_dynamic_stack: false
    .vgpr_count:     0
    .vgpr_spill_count: 0
    .wavefront_size: 64
  - .args:
      - .offset:         0
        .size:           176
        .value_kind:     by_value
    .group_segment_fixed_size: 0
    .kernarg_segment_align: 8
    .kernarg_segment_size: 176
    .language:       OpenCL C
    .language_version:
      - 2
      - 0
    .max_flat_workgroup_size: 256
    .name:           _ZN7rocprim17ROCPRIM_400000_NS6detail17trampoline_kernelINS0_13select_configILj256ELj13ELNS0_17block_load_methodE3ELS4_3ELS4_3ELNS0_20block_scan_algorithmE0ELj4294967295EEENS1_25partition_config_selectorILNS1_17partition_subalgoE4EjNS0_10empty_typeEbEEZZNS1_14partition_implILS8_4ELb0ES6_15HIP_vector_typeIjLj2EENS0_17counting_iteratorIjlEEPS9_SG_NS0_5tupleIJPjSI_NS0_16reverse_iteratorISI_EEEEENSH_IJSG_SG_SG_EEES9_SI_JZNS1_25segmented_radix_sort_implINS0_14default_configELb0EPKfPfPKlPlN2at6native12_GLOBAL__N_18offset_tEEE10hipError_tPvRmT1_PNSt15iterator_traitsIS12_E10value_typeET2_T3_PNS13_IS18_E10value_typeET4_jRbjT5_S1E_jjP12ihipStream_tbEUljE_ZNSN_ISO_Lb0ESQ_SR_ST_SU_SY_EESZ_S10_S11_S12_S16_S17_S18_S1B_S1C_jS1D_jS1E_S1E_jjS1G_bEUljE0_EEESZ_S10_S11_S18_S1C_S1E_T6_T7_T9_mT8_S1G_bDpT10_ENKUlT_T0_E_clISt17integral_constantIbLb0EES1U_EEDaS1P_S1Q_EUlS1P_E_NS1_11comp_targetILNS1_3genE8ELNS1_11target_archE1030ELNS1_3gpuE2ELNS1_3repE0EEENS1_30default_config_static_selectorELNS0_4arch9wavefront6targetE1EEEvS12_
    .private_segment_fixed_size: 0
    .sgpr_count:     4
    .sgpr_spill_count: 0
    .symbol:         _ZN7rocprim17ROCPRIM_400000_NS6detail17trampoline_kernelINS0_13select_configILj256ELj13ELNS0_17block_load_methodE3ELS4_3ELS4_3ELNS0_20block_scan_algorithmE0ELj4294967295EEENS1_25partition_config_selectorILNS1_17partition_subalgoE4EjNS0_10empty_typeEbEEZZNS1_14partition_implILS8_4ELb0ES6_15HIP_vector_typeIjLj2EENS0_17counting_iteratorIjlEEPS9_SG_NS0_5tupleIJPjSI_NS0_16reverse_iteratorISI_EEEEENSH_IJSG_SG_SG_EEES9_SI_JZNS1_25segmented_radix_sort_implINS0_14default_configELb0EPKfPfPKlPlN2at6native12_GLOBAL__N_18offset_tEEE10hipError_tPvRmT1_PNSt15iterator_traitsIS12_E10value_typeET2_T3_PNS13_IS18_E10value_typeET4_jRbjT5_S1E_jjP12ihipStream_tbEUljE_ZNSN_ISO_Lb0ESQ_SR_ST_SU_SY_EESZ_S10_S11_S12_S16_S17_S18_S1B_S1C_jS1D_jS1E_S1E_jjS1G_bEUljE0_EEESZ_S10_S11_S18_S1C_S1E_T6_T7_T9_mT8_S1G_bDpT10_ENKUlT_T0_E_clISt17integral_constantIbLb0EES1U_EEDaS1P_S1Q_EUlS1P_E_NS1_11comp_targetILNS1_3genE8ELNS1_11target_archE1030ELNS1_3gpuE2ELNS1_3repE0EEENS1_30default_config_static_selectorELNS0_4arch9wavefront6targetE1EEEvS12_.kd
    .uniform_work_group_size: 1
    .uses_dynamic_stack: false
    .vgpr_count:     0
    .vgpr_spill_count: 0
    .wavefront_size: 64
  - .args:
      - .offset:         0
        .size:           184
        .value_kind:     by_value
    .group_segment_fixed_size: 0
    .kernarg_segment_align: 8
    .kernarg_segment_size: 184
    .language:       OpenCL C
    .language_version:
      - 2
      - 0
    .max_flat_workgroup_size: 256
    .name:           _ZN7rocprim17ROCPRIM_400000_NS6detail17trampoline_kernelINS0_13select_configILj256ELj13ELNS0_17block_load_methodE3ELS4_3ELS4_3ELNS0_20block_scan_algorithmE0ELj4294967295EEENS1_25partition_config_selectorILNS1_17partition_subalgoE4EjNS0_10empty_typeEbEEZZNS1_14partition_implILS8_4ELb0ES6_15HIP_vector_typeIjLj2EENS0_17counting_iteratorIjlEEPS9_SG_NS0_5tupleIJPjSI_NS0_16reverse_iteratorISI_EEEEENSH_IJSG_SG_SG_EEES9_SI_JZNS1_25segmented_radix_sort_implINS0_14default_configELb0EPKfPfPKlPlN2at6native12_GLOBAL__N_18offset_tEEE10hipError_tPvRmT1_PNSt15iterator_traitsIS12_E10value_typeET2_T3_PNS13_IS18_E10value_typeET4_jRbjT5_S1E_jjP12ihipStream_tbEUljE_ZNSN_ISO_Lb0ESQ_SR_ST_SU_SY_EESZ_S10_S11_S12_S16_S17_S18_S1B_S1C_jS1D_jS1E_S1E_jjS1G_bEUljE0_EEESZ_S10_S11_S18_S1C_S1E_T6_T7_T9_mT8_S1G_bDpT10_ENKUlT_T0_E_clISt17integral_constantIbLb1EES1U_EEDaS1P_S1Q_EUlS1P_E_NS1_11comp_targetILNS1_3genE0ELNS1_11target_archE4294967295ELNS1_3gpuE0ELNS1_3repE0EEENS1_30default_config_static_selectorELNS0_4arch9wavefront6targetE1EEEvS12_
    .private_segment_fixed_size: 0
    .sgpr_count:     4
    .sgpr_spill_count: 0
    .symbol:         _ZN7rocprim17ROCPRIM_400000_NS6detail17trampoline_kernelINS0_13select_configILj256ELj13ELNS0_17block_load_methodE3ELS4_3ELS4_3ELNS0_20block_scan_algorithmE0ELj4294967295EEENS1_25partition_config_selectorILNS1_17partition_subalgoE4EjNS0_10empty_typeEbEEZZNS1_14partition_implILS8_4ELb0ES6_15HIP_vector_typeIjLj2EENS0_17counting_iteratorIjlEEPS9_SG_NS0_5tupleIJPjSI_NS0_16reverse_iteratorISI_EEEEENSH_IJSG_SG_SG_EEES9_SI_JZNS1_25segmented_radix_sort_implINS0_14default_configELb0EPKfPfPKlPlN2at6native12_GLOBAL__N_18offset_tEEE10hipError_tPvRmT1_PNSt15iterator_traitsIS12_E10value_typeET2_T3_PNS13_IS18_E10value_typeET4_jRbjT5_S1E_jjP12ihipStream_tbEUljE_ZNSN_ISO_Lb0ESQ_SR_ST_SU_SY_EESZ_S10_S11_S12_S16_S17_S18_S1B_S1C_jS1D_jS1E_S1E_jjS1G_bEUljE0_EEESZ_S10_S11_S18_S1C_S1E_T6_T7_T9_mT8_S1G_bDpT10_ENKUlT_T0_E_clISt17integral_constantIbLb1EES1U_EEDaS1P_S1Q_EUlS1P_E_NS1_11comp_targetILNS1_3genE0ELNS1_11target_archE4294967295ELNS1_3gpuE0ELNS1_3repE0EEENS1_30default_config_static_selectorELNS0_4arch9wavefront6targetE1EEEvS12_.kd
    .uniform_work_group_size: 1
    .uses_dynamic_stack: false
    .vgpr_count:     0
    .vgpr_spill_count: 0
    .wavefront_size: 64
  - .args:
      - .offset:         0
        .size:           184
        .value_kind:     by_value
    .group_segment_fixed_size: 0
    .kernarg_segment_align: 8
    .kernarg_segment_size: 184
    .language:       OpenCL C
    .language_version:
      - 2
      - 0
    .max_flat_workgroup_size: 256
    .name:           _ZN7rocprim17ROCPRIM_400000_NS6detail17trampoline_kernelINS0_13select_configILj256ELj13ELNS0_17block_load_methodE3ELS4_3ELS4_3ELNS0_20block_scan_algorithmE0ELj4294967295EEENS1_25partition_config_selectorILNS1_17partition_subalgoE4EjNS0_10empty_typeEbEEZZNS1_14partition_implILS8_4ELb0ES6_15HIP_vector_typeIjLj2EENS0_17counting_iteratorIjlEEPS9_SG_NS0_5tupleIJPjSI_NS0_16reverse_iteratorISI_EEEEENSH_IJSG_SG_SG_EEES9_SI_JZNS1_25segmented_radix_sort_implINS0_14default_configELb0EPKfPfPKlPlN2at6native12_GLOBAL__N_18offset_tEEE10hipError_tPvRmT1_PNSt15iterator_traitsIS12_E10value_typeET2_T3_PNS13_IS18_E10value_typeET4_jRbjT5_S1E_jjP12ihipStream_tbEUljE_ZNSN_ISO_Lb0ESQ_SR_ST_SU_SY_EESZ_S10_S11_S12_S16_S17_S18_S1B_S1C_jS1D_jS1E_S1E_jjS1G_bEUljE0_EEESZ_S10_S11_S18_S1C_S1E_T6_T7_T9_mT8_S1G_bDpT10_ENKUlT_T0_E_clISt17integral_constantIbLb1EES1U_EEDaS1P_S1Q_EUlS1P_E_NS1_11comp_targetILNS1_3genE5ELNS1_11target_archE942ELNS1_3gpuE9ELNS1_3repE0EEENS1_30default_config_static_selectorELNS0_4arch9wavefront6targetE1EEEvS12_
    .private_segment_fixed_size: 0
    .sgpr_count:     4
    .sgpr_spill_count: 0
    .symbol:         _ZN7rocprim17ROCPRIM_400000_NS6detail17trampoline_kernelINS0_13select_configILj256ELj13ELNS0_17block_load_methodE3ELS4_3ELS4_3ELNS0_20block_scan_algorithmE0ELj4294967295EEENS1_25partition_config_selectorILNS1_17partition_subalgoE4EjNS0_10empty_typeEbEEZZNS1_14partition_implILS8_4ELb0ES6_15HIP_vector_typeIjLj2EENS0_17counting_iteratorIjlEEPS9_SG_NS0_5tupleIJPjSI_NS0_16reverse_iteratorISI_EEEEENSH_IJSG_SG_SG_EEES9_SI_JZNS1_25segmented_radix_sort_implINS0_14default_configELb0EPKfPfPKlPlN2at6native12_GLOBAL__N_18offset_tEEE10hipError_tPvRmT1_PNSt15iterator_traitsIS12_E10value_typeET2_T3_PNS13_IS18_E10value_typeET4_jRbjT5_S1E_jjP12ihipStream_tbEUljE_ZNSN_ISO_Lb0ESQ_SR_ST_SU_SY_EESZ_S10_S11_S12_S16_S17_S18_S1B_S1C_jS1D_jS1E_S1E_jjS1G_bEUljE0_EEESZ_S10_S11_S18_S1C_S1E_T6_T7_T9_mT8_S1G_bDpT10_ENKUlT_T0_E_clISt17integral_constantIbLb1EES1U_EEDaS1P_S1Q_EUlS1P_E_NS1_11comp_targetILNS1_3genE5ELNS1_11target_archE942ELNS1_3gpuE9ELNS1_3repE0EEENS1_30default_config_static_selectorELNS0_4arch9wavefront6targetE1EEEvS12_.kd
    .uniform_work_group_size: 1
    .uses_dynamic_stack: false
    .vgpr_count:     0
    .vgpr_spill_count: 0
    .wavefront_size: 64
  - .args:
      - .offset:         0
        .size:           184
        .value_kind:     by_value
    .group_segment_fixed_size: 0
    .kernarg_segment_align: 8
    .kernarg_segment_size: 184
    .language:       OpenCL C
    .language_version:
      - 2
      - 0
    .max_flat_workgroup_size: 256
    .name:           _ZN7rocprim17ROCPRIM_400000_NS6detail17trampoline_kernelINS0_13select_configILj256ELj13ELNS0_17block_load_methodE3ELS4_3ELS4_3ELNS0_20block_scan_algorithmE0ELj4294967295EEENS1_25partition_config_selectorILNS1_17partition_subalgoE4EjNS0_10empty_typeEbEEZZNS1_14partition_implILS8_4ELb0ES6_15HIP_vector_typeIjLj2EENS0_17counting_iteratorIjlEEPS9_SG_NS0_5tupleIJPjSI_NS0_16reverse_iteratorISI_EEEEENSH_IJSG_SG_SG_EEES9_SI_JZNS1_25segmented_radix_sort_implINS0_14default_configELb0EPKfPfPKlPlN2at6native12_GLOBAL__N_18offset_tEEE10hipError_tPvRmT1_PNSt15iterator_traitsIS12_E10value_typeET2_T3_PNS13_IS18_E10value_typeET4_jRbjT5_S1E_jjP12ihipStream_tbEUljE_ZNSN_ISO_Lb0ESQ_SR_ST_SU_SY_EESZ_S10_S11_S12_S16_S17_S18_S1B_S1C_jS1D_jS1E_S1E_jjS1G_bEUljE0_EEESZ_S10_S11_S18_S1C_S1E_T6_T7_T9_mT8_S1G_bDpT10_ENKUlT_T0_E_clISt17integral_constantIbLb1EES1U_EEDaS1P_S1Q_EUlS1P_E_NS1_11comp_targetILNS1_3genE4ELNS1_11target_archE910ELNS1_3gpuE8ELNS1_3repE0EEENS1_30default_config_static_selectorELNS0_4arch9wavefront6targetE1EEEvS12_
    .private_segment_fixed_size: 0
    .sgpr_count:     4
    .sgpr_spill_count: 0
    .symbol:         _ZN7rocprim17ROCPRIM_400000_NS6detail17trampoline_kernelINS0_13select_configILj256ELj13ELNS0_17block_load_methodE3ELS4_3ELS4_3ELNS0_20block_scan_algorithmE0ELj4294967295EEENS1_25partition_config_selectorILNS1_17partition_subalgoE4EjNS0_10empty_typeEbEEZZNS1_14partition_implILS8_4ELb0ES6_15HIP_vector_typeIjLj2EENS0_17counting_iteratorIjlEEPS9_SG_NS0_5tupleIJPjSI_NS0_16reverse_iteratorISI_EEEEENSH_IJSG_SG_SG_EEES9_SI_JZNS1_25segmented_radix_sort_implINS0_14default_configELb0EPKfPfPKlPlN2at6native12_GLOBAL__N_18offset_tEEE10hipError_tPvRmT1_PNSt15iterator_traitsIS12_E10value_typeET2_T3_PNS13_IS18_E10value_typeET4_jRbjT5_S1E_jjP12ihipStream_tbEUljE_ZNSN_ISO_Lb0ESQ_SR_ST_SU_SY_EESZ_S10_S11_S12_S16_S17_S18_S1B_S1C_jS1D_jS1E_S1E_jjS1G_bEUljE0_EEESZ_S10_S11_S18_S1C_S1E_T6_T7_T9_mT8_S1G_bDpT10_ENKUlT_T0_E_clISt17integral_constantIbLb1EES1U_EEDaS1P_S1Q_EUlS1P_E_NS1_11comp_targetILNS1_3genE4ELNS1_11target_archE910ELNS1_3gpuE8ELNS1_3repE0EEENS1_30default_config_static_selectorELNS0_4arch9wavefront6targetE1EEEvS12_.kd
    .uniform_work_group_size: 1
    .uses_dynamic_stack: false
    .vgpr_count:     0
    .vgpr_spill_count: 0
    .wavefront_size: 64
  - .args:
      - .offset:         0
        .size:           184
        .value_kind:     by_value
    .group_segment_fixed_size: 0
    .kernarg_segment_align: 8
    .kernarg_segment_size: 184
    .language:       OpenCL C
    .language_version:
      - 2
      - 0
    .max_flat_workgroup_size: 256
    .name:           _ZN7rocprim17ROCPRIM_400000_NS6detail17trampoline_kernelINS0_13select_configILj256ELj13ELNS0_17block_load_methodE3ELS4_3ELS4_3ELNS0_20block_scan_algorithmE0ELj4294967295EEENS1_25partition_config_selectorILNS1_17partition_subalgoE4EjNS0_10empty_typeEbEEZZNS1_14partition_implILS8_4ELb0ES6_15HIP_vector_typeIjLj2EENS0_17counting_iteratorIjlEEPS9_SG_NS0_5tupleIJPjSI_NS0_16reverse_iteratorISI_EEEEENSH_IJSG_SG_SG_EEES9_SI_JZNS1_25segmented_radix_sort_implINS0_14default_configELb0EPKfPfPKlPlN2at6native12_GLOBAL__N_18offset_tEEE10hipError_tPvRmT1_PNSt15iterator_traitsIS12_E10value_typeET2_T3_PNS13_IS18_E10value_typeET4_jRbjT5_S1E_jjP12ihipStream_tbEUljE_ZNSN_ISO_Lb0ESQ_SR_ST_SU_SY_EESZ_S10_S11_S12_S16_S17_S18_S1B_S1C_jS1D_jS1E_S1E_jjS1G_bEUljE0_EEESZ_S10_S11_S18_S1C_S1E_T6_T7_T9_mT8_S1G_bDpT10_ENKUlT_T0_E_clISt17integral_constantIbLb1EES1U_EEDaS1P_S1Q_EUlS1P_E_NS1_11comp_targetILNS1_3genE3ELNS1_11target_archE908ELNS1_3gpuE7ELNS1_3repE0EEENS1_30default_config_static_selectorELNS0_4arch9wavefront6targetE1EEEvS12_
    .private_segment_fixed_size: 0
    .sgpr_count:     4
    .sgpr_spill_count: 0
    .symbol:         _ZN7rocprim17ROCPRIM_400000_NS6detail17trampoline_kernelINS0_13select_configILj256ELj13ELNS0_17block_load_methodE3ELS4_3ELS4_3ELNS0_20block_scan_algorithmE0ELj4294967295EEENS1_25partition_config_selectorILNS1_17partition_subalgoE4EjNS0_10empty_typeEbEEZZNS1_14partition_implILS8_4ELb0ES6_15HIP_vector_typeIjLj2EENS0_17counting_iteratorIjlEEPS9_SG_NS0_5tupleIJPjSI_NS0_16reverse_iteratorISI_EEEEENSH_IJSG_SG_SG_EEES9_SI_JZNS1_25segmented_radix_sort_implINS0_14default_configELb0EPKfPfPKlPlN2at6native12_GLOBAL__N_18offset_tEEE10hipError_tPvRmT1_PNSt15iterator_traitsIS12_E10value_typeET2_T3_PNS13_IS18_E10value_typeET4_jRbjT5_S1E_jjP12ihipStream_tbEUljE_ZNSN_ISO_Lb0ESQ_SR_ST_SU_SY_EESZ_S10_S11_S12_S16_S17_S18_S1B_S1C_jS1D_jS1E_S1E_jjS1G_bEUljE0_EEESZ_S10_S11_S18_S1C_S1E_T6_T7_T9_mT8_S1G_bDpT10_ENKUlT_T0_E_clISt17integral_constantIbLb1EES1U_EEDaS1P_S1Q_EUlS1P_E_NS1_11comp_targetILNS1_3genE3ELNS1_11target_archE908ELNS1_3gpuE7ELNS1_3repE0EEENS1_30default_config_static_selectorELNS0_4arch9wavefront6targetE1EEEvS12_.kd
    .uniform_work_group_size: 1
    .uses_dynamic_stack: false
    .vgpr_count:     0
    .vgpr_spill_count: 0
    .wavefront_size: 64
  - .args:
      - .offset:         0
        .size:           184
        .value_kind:     by_value
    .group_segment_fixed_size: 0
    .kernarg_segment_align: 8
    .kernarg_segment_size: 184
    .language:       OpenCL C
    .language_version:
      - 2
      - 0
    .max_flat_workgroup_size: 256
    .name:           _ZN7rocprim17ROCPRIM_400000_NS6detail17trampoline_kernelINS0_13select_configILj256ELj13ELNS0_17block_load_methodE3ELS4_3ELS4_3ELNS0_20block_scan_algorithmE0ELj4294967295EEENS1_25partition_config_selectorILNS1_17partition_subalgoE4EjNS0_10empty_typeEbEEZZNS1_14partition_implILS8_4ELb0ES6_15HIP_vector_typeIjLj2EENS0_17counting_iteratorIjlEEPS9_SG_NS0_5tupleIJPjSI_NS0_16reverse_iteratorISI_EEEEENSH_IJSG_SG_SG_EEES9_SI_JZNS1_25segmented_radix_sort_implINS0_14default_configELb0EPKfPfPKlPlN2at6native12_GLOBAL__N_18offset_tEEE10hipError_tPvRmT1_PNSt15iterator_traitsIS12_E10value_typeET2_T3_PNS13_IS18_E10value_typeET4_jRbjT5_S1E_jjP12ihipStream_tbEUljE_ZNSN_ISO_Lb0ESQ_SR_ST_SU_SY_EESZ_S10_S11_S12_S16_S17_S18_S1B_S1C_jS1D_jS1E_S1E_jjS1G_bEUljE0_EEESZ_S10_S11_S18_S1C_S1E_T6_T7_T9_mT8_S1G_bDpT10_ENKUlT_T0_E_clISt17integral_constantIbLb1EES1U_EEDaS1P_S1Q_EUlS1P_E_NS1_11comp_targetILNS1_3genE2ELNS1_11target_archE906ELNS1_3gpuE6ELNS1_3repE0EEENS1_30default_config_static_selectorELNS0_4arch9wavefront6targetE1EEEvS12_
    .private_segment_fixed_size: 0
    .sgpr_count:     4
    .sgpr_spill_count: 0
    .symbol:         _ZN7rocprim17ROCPRIM_400000_NS6detail17trampoline_kernelINS0_13select_configILj256ELj13ELNS0_17block_load_methodE3ELS4_3ELS4_3ELNS0_20block_scan_algorithmE0ELj4294967295EEENS1_25partition_config_selectorILNS1_17partition_subalgoE4EjNS0_10empty_typeEbEEZZNS1_14partition_implILS8_4ELb0ES6_15HIP_vector_typeIjLj2EENS0_17counting_iteratorIjlEEPS9_SG_NS0_5tupleIJPjSI_NS0_16reverse_iteratorISI_EEEEENSH_IJSG_SG_SG_EEES9_SI_JZNS1_25segmented_radix_sort_implINS0_14default_configELb0EPKfPfPKlPlN2at6native12_GLOBAL__N_18offset_tEEE10hipError_tPvRmT1_PNSt15iterator_traitsIS12_E10value_typeET2_T3_PNS13_IS18_E10value_typeET4_jRbjT5_S1E_jjP12ihipStream_tbEUljE_ZNSN_ISO_Lb0ESQ_SR_ST_SU_SY_EESZ_S10_S11_S12_S16_S17_S18_S1B_S1C_jS1D_jS1E_S1E_jjS1G_bEUljE0_EEESZ_S10_S11_S18_S1C_S1E_T6_T7_T9_mT8_S1G_bDpT10_ENKUlT_T0_E_clISt17integral_constantIbLb1EES1U_EEDaS1P_S1Q_EUlS1P_E_NS1_11comp_targetILNS1_3genE2ELNS1_11target_archE906ELNS1_3gpuE6ELNS1_3repE0EEENS1_30default_config_static_selectorELNS0_4arch9wavefront6targetE1EEEvS12_.kd
    .uniform_work_group_size: 1
    .uses_dynamic_stack: false
    .vgpr_count:     0
    .vgpr_spill_count: 0
    .wavefront_size: 64
  - .args:
      - .offset:         0
        .size:           184
        .value_kind:     by_value
    .group_segment_fixed_size: 0
    .kernarg_segment_align: 8
    .kernarg_segment_size: 184
    .language:       OpenCL C
    .language_version:
      - 2
      - 0
    .max_flat_workgroup_size: 256
    .name:           _ZN7rocprim17ROCPRIM_400000_NS6detail17trampoline_kernelINS0_13select_configILj256ELj13ELNS0_17block_load_methodE3ELS4_3ELS4_3ELNS0_20block_scan_algorithmE0ELj4294967295EEENS1_25partition_config_selectorILNS1_17partition_subalgoE4EjNS0_10empty_typeEbEEZZNS1_14partition_implILS8_4ELb0ES6_15HIP_vector_typeIjLj2EENS0_17counting_iteratorIjlEEPS9_SG_NS0_5tupleIJPjSI_NS0_16reverse_iteratorISI_EEEEENSH_IJSG_SG_SG_EEES9_SI_JZNS1_25segmented_radix_sort_implINS0_14default_configELb0EPKfPfPKlPlN2at6native12_GLOBAL__N_18offset_tEEE10hipError_tPvRmT1_PNSt15iterator_traitsIS12_E10value_typeET2_T3_PNS13_IS18_E10value_typeET4_jRbjT5_S1E_jjP12ihipStream_tbEUljE_ZNSN_ISO_Lb0ESQ_SR_ST_SU_SY_EESZ_S10_S11_S12_S16_S17_S18_S1B_S1C_jS1D_jS1E_S1E_jjS1G_bEUljE0_EEESZ_S10_S11_S18_S1C_S1E_T6_T7_T9_mT8_S1G_bDpT10_ENKUlT_T0_E_clISt17integral_constantIbLb1EES1U_EEDaS1P_S1Q_EUlS1P_E_NS1_11comp_targetILNS1_3genE10ELNS1_11target_archE1200ELNS1_3gpuE4ELNS1_3repE0EEENS1_30default_config_static_selectorELNS0_4arch9wavefront6targetE1EEEvS12_
    .private_segment_fixed_size: 0
    .sgpr_count:     4
    .sgpr_spill_count: 0
    .symbol:         _ZN7rocprim17ROCPRIM_400000_NS6detail17trampoline_kernelINS0_13select_configILj256ELj13ELNS0_17block_load_methodE3ELS4_3ELS4_3ELNS0_20block_scan_algorithmE0ELj4294967295EEENS1_25partition_config_selectorILNS1_17partition_subalgoE4EjNS0_10empty_typeEbEEZZNS1_14partition_implILS8_4ELb0ES6_15HIP_vector_typeIjLj2EENS0_17counting_iteratorIjlEEPS9_SG_NS0_5tupleIJPjSI_NS0_16reverse_iteratorISI_EEEEENSH_IJSG_SG_SG_EEES9_SI_JZNS1_25segmented_radix_sort_implINS0_14default_configELb0EPKfPfPKlPlN2at6native12_GLOBAL__N_18offset_tEEE10hipError_tPvRmT1_PNSt15iterator_traitsIS12_E10value_typeET2_T3_PNS13_IS18_E10value_typeET4_jRbjT5_S1E_jjP12ihipStream_tbEUljE_ZNSN_ISO_Lb0ESQ_SR_ST_SU_SY_EESZ_S10_S11_S12_S16_S17_S18_S1B_S1C_jS1D_jS1E_S1E_jjS1G_bEUljE0_EEESZ_S10_S11_S18_S1C_S1E_T6_T7_T9_mT8_S1G_bDpT10_ENKUlT_T0_E_clISt17integral_constantIbLb1EES1U_EEDaS1P_S1Q_EUlS1P_E_NS1_11comp_targetILNS1_3genE10ELNS1_11target_archE1200ELNS1_3gpuE4ELNS1_3repE0EEENS1_30default_config_static_selectorELNS0_4arch9wavefront6targetE1EEEvS12_.kd
    .uniform_work_group_size: 1
    .uses_dynamic_stack: false
    .vgpr_count:     0
    .vgpr_spill_count: 0
    .wavefront_size: 64
  - .args:
      - .offset:         0
        .size:           184
        .value_kind:     by_value
    .group_segment_fixed_size: 0
    .kernarg_segment_align: 8
    .kernarg_segment_size: 184
    .language:       OpenCL C
    .language_version:
      - 2
      - 0
    .max_flat_workgroup_size: 256
    .name:           _ZN7rocprim17ROCPRIM_400000_NS6detail17trampoline_kernelINS0_13select_configILj256ELj13ELNS0_17block_load_methodE3ELS4_3ELS4_3ELNS0_20block_scan_algorithmE0ELj4294967295EEENS1_25partition_config_selectorILNS1_17partition_subalgoE4EjNS0_10empty_typeEbEEZZNS1_14partition_implILS8_4ELb0ES6_15HIP_vector_typeIjLj2EENS0_17counting_iteratorIjlEEPS9_SG_NS0_5tupleIJPjSI_NS0_16reverse_iteratorISI_EEEEENSH_IJSG_SG_SG_EEES9_SI_JZNS1_25segmented_radix_sort_implINS0_14default_configELb0EPKfPfPKlPlN2at6native12_GLOBAL__N_18offset_tEEE10hipError_tPvRmT1_PNSt15iterator_traitsIS12_E10value_typeET2_T3_PNS13_IS18_E10value_typeET4_jRbjT5_S1E_jjP12ihipStream_tbEUljE_ZNSN_ISO_Lb0ESQ_SR_ST_SU_SY_EESZ_S10_S11_S12_S16_S17_S18_S1B_S1C_jS1D_jS1E_S1E_jjS1G_bEUljE0_EEESZ_S10_S11_S18_S1C_S1E_T6_T7_T9_mT8_S1G_bDpT10_ENKUlT_T0_E_clISt17integral_constantIbLb1EES1U_EEDaS1P_S1Q_EUlS1P_E_NS1_11comp_targetILNS1_3genE9ELNS1_11target_archE1100ELNS1_3gpuE3ELNS1_3repE0EEENS1_30default_config_static_selectorELNS0_4arch9wavefront6targetE1EEEvS12_
    .private_segment_fixed_size: 0
    .sgpr_count:     4
    .sgpr_spill_count: 0
    .symbol:         _ZN7rocprim17ROCPRIM_400000_NS6detail17trampoline_kernelINS0_13select_configILj256ELj13ELNS0_17block_load_methodE3ELS4_3ELS4_3ELNS0_20block_scan_algorithmE0ELj4294967295EEENS1_25partition_config_selectorILNS1_17partition_subalgoE4EjNS0_10empty_typeEbEEZZNS1_14partition_implILS8_4ELb0ES6_15HIP_vector_typeIjLj2EENS0_17counting_iteratorIjlEEPS9_SG_NS0_5tupleIJPjSI_NS0_16reverse_iteratorISI_EEEEENSH_IJSG_SG_SG_EEES9_SI_JZNS1_25segmented_radix_sort_implINS0_14default_configELb0EPKfPfPKlPlN2at6native12_GLOBAL__N_18offset_tEEE10hipError_tPvRmT1_PNSt15iterator_traitsIS12_E10value_typeET2_T3_PNS13_IS18_E10value_typeET4_jRbjT5_S1E_jjP12ihipStream_tbEUljE_ZNSN_ISO_Lb0ESQ_SR_ST_SU_SY_EESZ_S10_S11_S12_S16_S17_S18_S1B_S1C_jS1D_jS1E_S1E_jjS1G_bEUljE0_EEESZ_S10_S11_S18_S1C_S1E_T6_T7_T9_mT8_S1G_bDpT10_ENKUlT_T0_E_clISt17integral_constantIbLb1EES1U_EEDaS1P_S1Q_EUlS1P_E_NS1_11comp_targetILNS1_3genE9ELNS1_11target_archE1100ELNS1_3gpuE3ELNS1_3repE0EEENS1_30default_config_static_selectorELNS0_4arch9wavefront6targetE1EEEvS12_.kd
    .uniform_work_group_size: 1
    .uses_dynamic_stack: false
    .vgpr_count:     0
    .vgpr_spill_count: 0
    .wavefront_size: 64
  - .args:
      - .offset:         0
        .size:           184
        .value_kind:     by_value
    .group_segment_fixed_size: 0
    .kernarg_segment_align: 8
    .kernarg_segment_size: 184
    .language:       OpenCL C
    .language_version:
      - 2
      - 0
    .max_flat_workgroup_size: 256
    .name:           _ZN7rocprim17ROCPRIM_400000_NS6detail17trampoline_kernelINS0_13select_configILj256ELj13ELNS0_17block_load_methodE3ELS4_3ELS4_3ELNS0_20block_scan_algorithmE0ELj4294967295EEENS1_25partition_config_selectorILNS1_17partition_subalgoE4EjNS0_10empty_typeEbEEZZNS1_14partition_implILS8_4ELb0ES6_15HIP_vector_typeIjLj2EENS0_17counting_iteratorIjlEEPS9_SG_NS0_5tupleIJPjSI_NS0_16reverse_iteratorISI_EEEEENSH_IJSG_SG_SG_EEES9_SI_JZNS1_25segmented_radix_sort_implINS0_14default_configELb0EPKfPfPKlPlN2at6native12_GLOBAL__N_18offset_tEEE10hipError_tPvRmT1_PNSt15iterator_traitsIS12_E10value_typeET2_T3_PNS13_IS18_E10value_typeET4_jRbjT5_S1E_jjP12ihipStream_tbEUljE_ZNSN_ISO_Lb0ESQ_SR_ST_SU_SY_EESZ_S10_S11_S12_S16_S17_S18_S1B_S1C_jS1D_jS1E_S1E_jjS1G_bEUljE0_EEESZ_S10_S11_S18_S1C_S1E_T6_T7_T9_mT8_S1G_bDpT10_ENKUlT_T0_E_clISt17integral_constantIbLb1EES1U_EEDaS1P_S1Q_EUlS1P_E_NS1_11comp_targetILNS1_3genE8ELNS1_11target_archE1030ELNS1_3gpuE2ELNS1_3repE0EEENS1_30default_config_static_selectorELNS0_4arch9wavefront6targetE1EEEvS12_
    .private_segment_fixed_size: 0
    .sgpr_count:     4
    .sgpr_spill_count: 0
    .symbol:         _ZN7rocprim17ROCPRIM_400000_NS6detail17trampoline_kernelINS0_13select_configILj256ELj13ELNS0_17block_load_methodE3ELS4_3ELS4_3ELNS0_20block_scan_algorithmE0ELj4294967295EEENS1_25partition_config_selectorILNS1_17partition_subalgoE4EjNS0_10empty_typeEbEEZZNS1_14partition_implILS8_4ELb0ES6_15HIP_vector_typeIjLj2EENS0_17counting_iteratorIjlEEPS9_SG_NS0_5tupleIJPjSI_NS0_16reverse_iteratorISI_EEEEENSH_IJSG_SG_SG_EEES9_SI_JZNS1_25segmented_radix_sort_implINS0_14default_configELb0EPKfPfPKlPlN2at6native12_GLOBAL__N_18offset_tEEE10hipError_tPvRmT1_PNSt15iterator_traitsIS12_E10value_typeET2_T3_PNS13_IS18_E10value_typeET4_jRbjT5_S1E_jjP12ihipStream_tbEUljE_ZNSN_ISO_Lb0ESQ_SR_ST_SU_SY_EESZ_S10_S11_S12_S16_S17_S18_S1B_S1C_jS1D_jS1E_S1E_jjS1G_bEUljE0_EEESZ_S10_S11_S18_S1C_S1E_T6_T7_T9_mT8_S1G_bDpT10_ENKUlT_T0_E_clISt17integral_constantIbLb1EES1U_EEDaS1P_S1Q_EUlS1P_E_NS1_11comp_targetILNS1_3genE8ELNS1_11target_archE1030ELNS1_3gpuE2ELNS1_3repE0EEENS1_30default_config_static_selectorELNS0_4arch9wavefront6targetE1EEEvS12_.kd
    .uniform_work_group_size: 1
    .uses_dynamic_stack: false
    .vgpr_count:     0
    .vgpr_spill_count: 0
    .wavefront_size: 64
  - .args:
      - .offset:         0
        .size:           176
        .value_kind:     by_value
    .group_segment_fixed_size: 0
    .kernarg_segment_align: 8
    .kernarg_segment_size: 176
    .language:       OpenCL C
    .language_version:
      - 2
      - 0
    .max_flat_workgroup_size: 256
    .name:           _ZN7rocprim17ROCPRIM_400000_NS6detail17trampoline_kernelINS0_13select_configILj256ELj13ELNS0_17block_load_methodE3ELS4_3ELS4_3ELNS0_20block_scan_algorithmE0ELj4294967295EEENS1_25partition_config_selectorILNS1_17partition_subalgoE4EjNS0_10empty_typeEbEEZZNS1_14partition_implILS8_4ELb0ES6_15HIP_vector_typeIjLj2EENS0_17counting_iteratorIjlEEPS9_SG_NS0_5tupleIJPjSI_NS0_16reverse_iteratorISI_EEEEENSH_IJSG_SG_SG_EEES9_SI_JZNS1_25segmented_radix_sort_implINS0_14default_configELb0EPKfPfPKlPlN2at6native12_GLOBAL__N_18offset_tEEE10hipError_tPvRmT1_PNSt15iterator_traitsIS12_E10value_typeET2_T3_PNS13_IS18_E10value_typeET4_jRbjT5_S1E_jjP12ihipStream_tbEUljE_ZNSN_ISO_Lb0ESQ_SR_ST_SU_SY_EESZ_S10_S11_S12_S16_S17_S18_S1B_S1C_jS1D_jS1E_S1E_jjS1G_bEUljE0_EEESZ_S10_S11_S18_S1C_S1E_T6_T7_T9_mT8_S1G_bDpT10_ENKUlT_T0_E_clISt17integral_constantIbLb1EES1T_IbLb0EEEEDaS1P_S1Q_EUlS1P_E_NS1_11comp_targetILNS1_3genE0ELNS1_11target_archE4294967295ELNS1_3gpuE0ELNS1_3repE0EEENS1_30default_config_static_selectorELNS0_4arch9wavefront6targetE1EEEvS12_
    .private_segment_fixed_size: 0
    .sgpr_count:     4
    .sgpr_spill_count: 0
    .symbol:         _ZN7rocprim17ROCPRIM_400000_NS6detail17trampoline_kernelINS0_13select_configILj256ELj13ELNS0_17block_load_methodE3ELS4_3ELS4_3ELNS0_20block_scan_algorithmE0ELj4294967295EEENS1_25partition_config_selectorILNS1_17partition_subalgoE4EjNS0_10empty_typeEbEEZZNS1_14partition_implILS8_4ELb0ES6_15HIP_vector_typeIjLj2EENS0_17counting_iteratorIjlEEPS9_SG_NS0_5tupleIJPjSI_NS0_16reverse_iteratorISI_EEEEENSH_IJSG_SG_SG_EEES9_SI_JZNS1_25segmented_radix_sort_implINS0_14default_configELb0EPKfPfPKlPlN2at6native12_GLOBAL__N_18offset_tEEE10hipError_tPvRmT1_PNSt15iterator_traitsIS12_E10value_typeET2_T3_PNS13_IS18_E10value_typeET4_jRbjT5_S1E_jjP12ihipStream_tbEUljE_ZNSN_ISO_Lb0ESQ_SR_ST_SU_SY_EESZ_S10_S11_S12_S16_S17_S18_S1B_S1C_jS1D_jS1E_S1E_jjS1G_bEUljE0_EEESZ_S10_S11_S18_S1C_S1E_T6_T7_T9_mT8_S1G_bDpT10_ENKUlT_T0_E_clISt17integral_constantIbLb1EES1T_IbLb0EEEEDaS1P_S1Q_EUlS1P_E_NS1_11comp_targetILNS1_3genE0ELNS1_11target_archE4294967295ELNS1_3gpuE0ELNS1_3repE0EEENS1_30default_config_static_selectorELNS0_4arch9wavefront6targetE1EEEvS12_.kd
    .uniform_work_group_size: 1
    .uses_dynamic_stack: false
    .vgpr_count:     0
    .vgpr_spill_count: 0
    .wavefront_size: 64
  - .args:
      - .offset:         0
        .size:           176
        .value_kind:     by_value
    .group_segment_fixed_size: 0
    .kernarg_segment_align: 8
    .kernarg_segment_size: 176
    .language:       OpenCL C
    .language_version:
      - 2
      - 0
    .max_flat_workgroup_size: 256
    .name:           _ZN7rocprim17ROCPRIM_400000_NS6detail17trampoline_kernelINS0_13select_configILj256ELj13ELNS0_17block_load_methodE3ELS4_3ELS4_3ELNS0_20block_scan_algorithmE0ELj4294967295EEENS1_25partition_config_selectorILNS1_17partition_subalgoE4EjNS0_10empty_typeEbEEZZNS1_14partition_implILS8_4ELb0ES6_15HIP_vector_typeIjLj2EENS0_17counting_iteratorIjlEEPS9_SG_NS0_5tupleIJPjSI_NS0_16reverse_iteratorISI_EEEEENSH_IJSG_SG_SG_EEES9_SI_JZNS1_25segmented_radix_sort_implINS0_14default_configELb0EPKfPfPKlPlN2at6native12_GLOBAL__N_18offset_tEEE10hipError_tPvRmT1_PNSt15iterator_traitsIS12_E10value_typeET2_T3_PNS13_IS18_E10value_typeET4_jRbjT5_S1E_jjP12ihipStream_tbEUljE_ZNSN_ISO_Lb0ESQ_SR_ST_SU_SY_EESZ_S10_S11_S12_S16_S17_S18_S1B_S1C_jS1D_jS1E_S1E_jjS1G_bEUljE0_EEESZ_S10_S11_S18_S1C_S1E_T6_T7_T9_mT8_S1G_bDpT10_ENKUlT_T0_E_clISt17integral_constantIbLb1EES1T_IbLb0EEEEDaS1P_S1Q_EUlS1P_E_NS1_11comp_targetILNS1_3genE5ELNS1_11target_archE942ELNS1_3gpuE9ELNS1_3repE0EEENS1_30default_config_static_selectorELNS0_4arch9wavefront6targetE1EEEvS12_
    .private_segment_fixed_size: 0
    .sgpr_count:     4
    .sgpr_spill_count: 0
    .symbol:         _ZN7rocprim17ROCPRIM_400000_NS6detail17trampoline_kernelINS0_13select_configILj256ELj13ELNS0_17block_load_methodE3ELS4_3ELS4_3ELNS0_20block_scan_algorithmE0ELj4294967295EEENS1_25partition_config_selectorILNS1_17partition_subalgoE4EjNS0_10empty_typeEbEEZZNS1_14partition_implILS8_4ELb0ES6_15HIP_vector_typeIjLj2EENS0_17counting_iteratorIjlEEPS9_SG_NS0_5tupleIJPjSI_NS0_16reverse_iteratorISI_EEEEENSH_IJSG_SG_SG_EEES9_SI_JZNS1_25segmented_radix_sort_implINS0_14default_configELb0EPKfPfPKlPlN2at6native12_GLOBAL__N_18offset_tEEE10hipError_tPvRmT1_PNSt15iterator_traitsIS12_E10value_typeET2_T3_PNS13_IS18_E10value_typeET4_jRbjT5_S1E_jjP12ihipStream_tbEUljE_ZNSN_ISO_Lb0ESQ_SR_ST_SU_SY_EESZ_S10_S11_S12_S16_S17_S18_S1B_S1C_jS1D_jS1E_S1E_jjS1G_bEUljE0_EEESZ_S10_S11_S18_S1C_S1E_T6_T7_T9_mT8_S1G_bDpT10_ENKUlT_T0_E_clISt17integral_constantIbLb1EES1T_IbLb0EEEEDaS1P_S1Q_EUlS1P_E_NS1_11comp_targetILNS1_3genE5ELNS1_11target_archE942ELNS1_3gpuE9ELNS1_3repE0EEENS1_30default_config_static_selectorELNS0_4arch9wavefront6targetE1EEEvS12_.kd
    .uniform_work_group_size: 1
    .uses_dynamic_stack: false
    .vgpr_count:     0
    .vgpr_spill_count: 0
    .wavefront_size: 64
  - .args:
      - .offset:         0
        .size:           176
        .value_kind:     by_value
    .group_segment_fixed_size: 0
    .kernarg_segment_align: 8
    .kernarg_segment_size: 176
    .language:       OpenCL C
    .language_version:
      - 2
      - 0
    .max_flat_workgroup_size: 256
    .name:           _ZN7rocprim17ROCPRIM_400000_NS6detail17trampoline_kernelINS0_13select_configILj256ELj13ELNS0_17block_load_methodE3ELS4_3ELS4_3ELNS0_20block_scan_algorithmE0ELj4294967295EEENS1_25partition_config_selectorILNS1_17partition_subalgoE4EjNS0_10empty_typeEbEEZZNS1_14partition_implILS8_4ELb0ES6_15HIP_vector_typeIjLj2EENS0_17counting_iteratorIjlEEPS9_SG_NS0_5tupleIJPjSI_NS0_16reverse_iteratorISI_EEEEENSH_IJSG_SG_SG_EEES9_SI_JZNS1_25segmented_radix_sort_implINS0_14default_configELb0EPKfPfPKlPlN2at6native12_GLOBAL__N_18offset_tEEE10hipError_tPvRmT1_PNSt15iterator_traitsIS12_E10value_typeET2_T3_PNS13_IS18_E10value_typeET4_jRbjT5_S1E_jjP12ihipStream_tbEUljE_ZNSN_ISO_Lb0ESQ_SR_ST_SU_SY_EESZ_S10_S11_S12_S16_S17_S18_S1B_S1C_jS1D_jS1E_S1E_jjS1G_bEUljE0_EEESZ_S10_S11_S18_S1C_S1E_T6_T7_T9_mT8_S1G_bDpT10_ENKUlT_T0_E_clISt17integral_constantIbLb1EES1T_IbLb0EEEEDaS1P_S1Q_EUlS1P_E_NS1_11comp_targetILNS1_3genE4ELNS1_11target_archE910ELNS1_3gpuE8ELNS1_3repE0EEENS1_30default_config_static_selectorELNS0_4arch9wavefront6targetE1EEEvS12_
    .private_segment_fixed_size: 0
    .sgpr_count:     4
    .sgpr_spill_count: 0
    .symbol:         _ZN7rocprim17ROCPRIM_400000_NS6detail17trampoline_kernelINS0_13select_configILj256ELj13ELNS0_17block_load_methodE3ELS4_3ELS4_3ELNS0_20block_scan_algorithmE0ELj4294967295EEENS1_25partition_config_selectorILNS1_17partition_subalgoE4EjNS0_10empty_typeEbEEZZNS1_14partition_implILS8_4ELb0ES6_15HIP_vector_typeIjLj2EENS0_17counting_iteratorIjlEEPS9_SG_NS0_5tupleIJPjSI_NS0_16reverse_iteratorISI_EEEEENSH_IJSG_SG_SG_EEES9_SI_JZNS1_25segmented_radix_sort_implINS0_14default_configELb0EPKfPfPKlPlN2at6native12_GLOBAL__N_18offset_tEEE10hipError_tPvRmT1_PNSt15iterator_traitsIS12_E10value_typeET2_T3_PNS13_IS18_E10value_typeET4_jRbjT5_S1E_jjP12ihipStream_tbEUljE_ZNSN_ISO_Lb0ESQ_SR_ST_SU_SY_EESZ_S10_S11_S12_S16_S17_S18_S1B_S1C_jS1D_jS1E_S1E_jjS1G_bEUljE0_EEESZ_S10_S11_S18_S1C_S1E_T6_T7_T9_mT8_S1G_bDpT10_ENKUlT_T0_E_clISt17integral_constantIbLb1EES1T_IbLb0EEEEDaS1P_S1Q_EUlS1P_E_NS1_11comp_targetILNS1_3genE4ELNS1_11target_archE910ELNS1_3gpuE8ELNS1_3repE0EEENS1_30default_config_static_selectorELNS0_4arch9wavefront6targetE1EEEvS12_.kd
    .uniform_work_group_size: 1
    .uses_dynamic_stack: false
    .vgpr_count:     0
    .vgpr_spill_count: 0
    .wavefront_size: 64
  - .args:
      - .offset:         0
        .size:           176
        .value_kind:     by_value
    .group_segment_fixed_size: 0
    .kernarg_segment_align: 8
    .kernarg_segment_size: 176
    .language:       OpenCL C
    .language_version:
      - 2
      - 0
    .max_flat_workgroup_size: 256
    .name:           _ZN7rocprim17ROCPRIM_400000_NS6detail17trampoline_kernelINS0_13select_configILj256ELj13ELNS0_17block_load_methodE3ELS4_3ELS4_3ELNS0_20block_scan_algorithmE0ELj4294967295EEENS1_25partition_config_selectorILNS1_17partition_subalgoE4EjNS0_10empty_typeEbEEZZNS1_14partition_implILS8_4ELb0ES6_15HIP_vector_typeIjLj2EENS0_17counting_iteratorIjlEEPS9_SG_NS0_5tupleIJPjSI_NS0_16reverse_iteratorISI_EEEEENSH_IJSG_SG_SG_EEES9_SI_JZNS1_25segmented_radix_sort_implINS0_14default_configELb0EPKfPfPKlPlN2at6native12_GLOBAL__N_18offset_tEEE10hipError_tPvRmT1_PNSt15iterator_traitsIS12_E10value_typeET2_T3_PNS13_IS18_E10value_typeET4_jRbjT5_S1E_jjP12ihipStream_tbEUljE_ZNSN_ISO_Lb0ESQ_SR_ST_SU_SY_EESZ_S10_S11_S12_S16_S17_S18_S1B_S1C_jS1D_jS1E_S1E_jjS1G_bEUljE0_EEESZ_S10_S11_S18_S1C_S1E_T6_T7_T9_mT8_S1G_bDpT10_ENKUlT_T0_E_clISt17integral_constantIbLb1EES1T_IbLb0EEEEDaS1P_S1Q_EUlS1P_E_NS1_11comp_targetILNS1_3genE3ELNS1_11target_archE908ELNS1_3gpuE7ELNS1_3repE0EEENS1_30default_config_static_selectorELNS0_4arch9wavefront6targetE1EEEvS12_
    .private_segment_fixed_size: 0
    .sgpr_count:     4
    .sgpr_spill_count: 0
    .symbol:         _ZN7rocprim17ROCPRIM_400000_NS6detail17trampoline_kernelINS0_13select_configILj256ELj13ELNS0_17block_load_methodE3ELS4_3ELS4_3ELNS0_20block_scan_algorithmE0ELj4294967295EEENS1_25partition_config_selectorILNS1_17partition_subalgoE4EjNS0_10empty_typeEbEEZZNS1_14partition_implILS8_4ELb0ES6_15HIP_vector_typeIjLj2EENS0_17counting_iteratorIjlEEPS9_SG_NS0_5tupleIJPjSI_NS0_16reverse_iteratorISI_EEEEENSH_IJSG_SG_SG_EEES9_SI_JZNS1_25segmented_radix_sort_implINS0_14default_configELb0EPKfPfPKlPlN2at6native12_GLOBAL__N_18offset_tEEE10hipError_tPvRmT1_PNSt15iterator_traitsIS12_E10value_typeET2_T3_PNS13_IS18_E10value_typeET4_jRbjT5_S1E_jjP12ihipStream_tbEUljE_ZNSN_ISO_Lb0ESQ_SR_ST_SU_SY_EESZ_S10_S11_S12_S16_S17_S18_S1B_S1C_jS1D_jS1E_S1E_jjS1G_bEUljE0_EEESZ_S10_S11_S18_S1C_S1E_T6_T7_T9_mT8_S1G_bDpT10_ENKUlT_T0_E_clISt17integral_constantIbLb1EES1T_IbLb0EEEEDaS1P_S1Q_EUlS1P_E_NS1_11comp_targetILNS1_3genE3ELNS1_11target_archE908ELNS1_3gpuE7ELNS1_3repE0EEENS1_30default_config_static_selectorELNS0_4arch9wavefront6targetE1EEEvS12_.kd
    .uniform_work_group_size: 1
    .uses_dynamic_stack: false
    .vgpr_count:     0
    .vgpr_spill_count: 0
    .wavefront_size: 64
  - .args:
      - .offset:         0
        .size:           176
        .value_kind:     by_value
    .group_segment_fixed_size: 0
    .kernarg_segment_align: 8
    .kernarg_segment_size: 176
    .language:       OpenCL C
    .language_version:
      - 2
      - 0
    .max_flat_workgroup_size: 256
    .name:           _ZN7rocprim17ROCPRIM_400000_NS6detail17trampoline_kernelINS0_13select_configILj256ELj13ELNS0_17block_load_methodE3ELS4_3ELS4_3ELNS0_20block_scan_algorithmE0ELj4294967295EEENS1_25partition_config_selectorILNS1_17partition_subalgoE4EjNS0_10empty_typeEbEEZZNS1_14partition_implILS8_4ELb0ES6_15HIP_vector_typeIjLj2EENS0_17counting_iteratorIjlEEPS9_SG_NS0_5tupleIJPjSI_NS0_16reverse_iteratorISI_EEEEENSH_IJSG_SG_SG_EEES9_SI_JZNS1_25segmented_radix_sort_implINS0_14default_configELb0EPKfPfPKlPlN2at6native12_GLOBAL__N_18offset_tEEE10hipError_tPvRmT1_PNSt15iterator_traitsIS12_E10value_typeET2_T3_PNS13_IS18_E10value_typeET4_jRbjT5_S1E_jjP12ihipStream_tbEUljE_ZNSN_ISO_Lb0ESQ_SR_ST_SU_SY_EESZ_S10_S11_S12_S16_S17_S18_S1B_S1C_jS1D_jS1E_S1E_jjS1G_bEUljE0_EEESZ_S10_S11_S18_S1C_S1E_T6_T7_T9_mT8_S1G_bDpT10_ENKUlT_T0_E_clISt17integral_constantIbLb1EES1T_IbLb0EEEEDaS1P_S1Q_EUlS1P_E_NS1_11comp_targetILNS1_3genE2ELNS1_11target_archE906ELNS1_3gpuE6ELNS1_3repE0EEENS1_30default_config_static_selectorELNS0_4arch9wavefront6targetE1EEEvS12_
    .private_segment_fixed_size: 0
    .sgpr_count:     4
    .sgpr_spill_count: 0
    .symbol:         _ZN7rocprim17ROCPRIM_400000_NS6detail17trampoline_kernelINS0_13select_configILj256ELj13ELNS0_17block_load_methodE3ELS4_3ELS4_3ELNS0_20block_scan_algorithmE0ELj4294967295EEENS1_25partition_config_selectorILNS1_17partition_subalgoE4EjNS0_10empty_typeEbEEZZNS1_14partition_implILS8_4ELb0ES6_15HIP_vector_typeIjLj2EENS0_17counting_iteratorIjlEEPS9_SG_NS0_5tupleIJPjSI_NS0_16reverse_iteratorISI_EEEEENSH_IJSG_SG_SG_EEES9_SI_JZNS1_25segmented_radix_sort_implINS0_14default_configELb0EPKfPfPKlPlN2at6native12_GLOBAL__N_18offset_tEEE10hipError_tPvRmT1_PNSt15iterator_traitsIS12_E10value_typeET2_T3_PNS13_IS18_E10value_typeET4_jRbjT5_S1E_jjP12ihipStream_tbEUljE_ZNSN_ISO_Lb0ESQ_SR_ST_SU_SY_EESZ_S10_S11_S12_S16_S17_S18_S1B_S1C_jS1D_jS1E_S1E_jjS1G_bEUljE0_EEESZ_S10_S11_S18_S1C_S1E_T6_T7_T9_mT8_S1G_bDpT10_ENKUlT_T0_E_clISt17integral_constantIbLb1EES1T_IbLb0EEEEDaS1P_S1Q_EUlS1P_E_NS1_11comp_targetILNS1_3genE2ELNS1_11target_archE906ELNS1_3gpuE6ELNS1_3repE0EEENS1_30default_config_static_selectorELNS0_4arch9wavefront6targetE1EEEvS12_.kd
    .uniform_work_group_size: 1
    .uses_dynamic_stack: false
    .vgpr_count:     0
    .vgpr_spill_count: 0
    .wavefront_size: 64
  - .args:
      - .offset:         0
        .size:           176
        .value_kind:     by_value
    .group_segment_fixed_size: 0
    .kernarg_segment_align: 8
    .kernarg_segment_size: 176
    .language:       OpenCL C
    .language_version:
      - 2
      - 0
    .max_flat_workgroup_size: 256
    .name:           _ZN7rocprim17ROCPRIM_400000_NS6detail17trampoline_kernelINS0_13select_configILj256ELj13ELNS0_17block_load_methodE3ELS4_3ELS4_3ELNS0_20block_scan_algorithmE0ELj4294967295EEENS1_25partition_config_selectorILNS1_17partition_subalgoE4EjNS0_10empty_typeEbEEZZNS1_14partition_implILS8_4ELb0ES6_15HIP_vector_typeIjLj2EENS0_17counting_iteratorIjlEEPS9_SG_NS0_5tupleIJPjSI_NS0_16reverse_iteratorISI_EEEEENSH_IJSG_SG_SG_EEES9_SI_JZNS1_25segmented_radix_sort_implINS0_14default_configELb0EPKfPfPKlPlN2at6native12_GLOBAL__N_18offset_tEEE10hipError_tPvRmT1_PNSt15iterator_traitsIS12_E10value_typeET2_T3_PNS13_IS18_E10value_typeET4_jRbjT5_S1E_jjP12ihipStream_tbEUljE_ZNSN_ISO_Lb0ESQ_SR_ST_SU_SY_EESZ_S10_S11_S12_S16_S17_S18_S1B_S1C_jS1D_jS1E_S1E_jjS1G_bEUljE0_EEESZ_S10_S11_S18_S1C_S1E_T6_T7_T9_mT8_S1G_bDpT10_ENKUlT_T0_E_clISt17integral_constantIbLb1EES1T_IbLb0EEEEDaS1P_S1Q_EUlS1P_E_NS1_11comp_targetILNS1_3genE10ELNS1_11target_archE1200ELNS1_3gpuE4ELNS1_3repE0EEENS1_30default_config_static_selectorELNS0_4arch9wavefront6targetE1EEEvS12_
    .private_segment_fixed_size: 0
    .sgpr_count:     4
    .sgpr_spill_count: 0
    .symbol:         _ZN7rocprim17ROCPRIM_400000_NS6detail17trampoline_kernelINS0_13select_configILj256ELj13ELNS0_17block_load_methodE3ELS4_3ELS4_3ELNS0_20block_scan_algorithmE0ELj4294967295EEENS1_25partition_config_selectorILNS1_17partition_subalgoE4EjNS0_10empty_typeEbEEZZNS1_14partition_implILS8_4ELb0ES6_15HIP_vector_typeIjLj2EENS0_17counting_iteratorIjlEEPS9_SG_NS0_5tupleIJPjSI_NS0_16reverse_iteratorISI_EEEEENSH_IJSG_SG_SG_EEES9_SI_JZNS1_25segmented_radix_sort_implINS0_14default_configELb0EPKfPfPKlPlN2at6native12_GLOBAL__N_18offset_tEEE10hipError_tPvRmT1_PNSt15iterator_traitsIS12_E10value_typeET2_T3_PNS13_IS18_E10value_typeET4_jRbjT5_S1E_jjP12ihipStream_tbEUljE_ZNSN_ISO_Lb0ESQ_SR_ST_SU_SY_EESZ_S10_S11_S12_S16_S17_S18_S1B_S1C_jS1D_jS1E_S1E_jjS1G_bEUljE0_EEESZ_S10_S11_S18_S1C_S1E_T6_T7_T9_mT8_S1G_bDpT10_ENKUlT_T0_E_clISt17integral_constantIbLb1EES1T_IbLb0EEEEDaS1P_S1Q_EUlS1P_E_NS1_11comp_targetILNS1_3genE10ELNS1_11target_archE1200ELNS1_3gpuE4ELNS1_3repE0EEENS1_30default_config_static_selectorELNS0_4arch9wavefront6targetE1EEEvS12_.kd
    .uniform_work_group_size: 1
    .uses_dynamic_stack: false
    .vgpr_count:     0
    .vgpr_spill_count: 0
    .wavefront_size: 64
  - .args:
      - .offset:         0
        .size:           176
        .value_kind:     by_value
    .group_segment_fixed_size: 0
    .kernarg_segment_align: 8
    .kernarg_segment_size: 176
    .language:       OpenCL C
    .language_version:
      - 2
      - 0
    .max_flat_workgroup_size: 256
    .name:           _ZN7rocprim17ROCPRIM_400000_NS6detail17trampoline_kernelINS0_13select_configILj256ELj13ELNS0_17block_load_methodE3ELS4_3ELS4_3ELNS0_20block_scan_algorithmE0ELj4294967295EEENS1_25partition_config_selectorILNS1_17partition_subalgoE4EjNS0_10empty_typeEbEEZZNS1_14partition_implILS8_4ELb0ES6_15HIP_vector_typeIjLj2EENS0_17counting_iteratorIjlEEPS9_SG_NS0_5tupleIJPjSI_NS0_16reverse_iteratorISI_EEEEENSH_IJSG_SG_SG_EEES9_SI_JZNS1_25segmented_radix_sort_implINS0_14default_configELb0EPKfPfPKlPlN2at6native12_GLOBAL__N_18offset_tEEE10hipError_tPvRmT1_PNSt15iterator_traitsIS12_E10value_typeET2_T3_PNS13_IS18_E10value_typeET4_jRbjT5_S1E_jjP12ihipStream_tbEUljE_ZNSN_ISO_Lb0ESQ_SR_ST_SU_SY_EESZ_S10_S11_S12_S16_S17_S18_S1B_S1C_jS1D_jS1E_S1E_jjS1G_bEUljE0_EEESZ_S10_S11_S18_S1C_S1E_T6_T7_T9_mT8_S1G_bDpT10_ENKUlT_T0_E_clISt17integral_constantIbLb1EES1T_IbLb0EEEEDaS1P_S1Q_EUlS1P_E_NS1_11comp_targetILNS1_3genE9ELNS1_11target_archE1100ELNS1_3gpuE3ELNS1_3repE0EEENS1_30default_config_static_selectorELNS0_4arch9wavefront6targetE1EEEvS12_
    .private_segment_fixed_size: 0
    .sgpr_count:     4
    .sgpr_spill_count: 0
    .symbol:         _ZN7rocprim17ROCPRIM_400000_NS6detail17trampoline_kernelINS0_13select_configILj256ELj13ELNS0_17block_load_methodE3ELS4_3ELS4_3ELNS0_20block_scan_algorithmE0ELj4294967295EEENS1_25partition_config_selectorILNS1_17partition_subalgoE4EjNS0_10empty_typeEbEEZZNS1_14partition_implILS8_4ELb0ES6_15HIP_vector_typeIjLj2EENS0_17counting_iteratorIjlEEPS9_SG_NS0_5tupleIJPjSI_NS0_16reverse_iteratorISI_EEEEENSH_IJSG_SG_SG_EEES9_SI_JZNS1_25segmented_radix_sort_implINS0_14default_configELb0EPKfPfPKlPlN2at6native12_GLOBAL__N_18offset_tEEE10hipError_tPvRmT1_PNSt15iterator_traitsIS12_E10value_typeET2_T3_PNS13_IS18_E10value_typeET4_jRbjT5_S1E_jjP12ihipStream_tbEUljE_ZNSN_ISO_Lb0ESQ_SR_ST_SU_SY_EESZ_S10_S11_S12_S16_S17_S18_S1B_S1C_jS1D_jS1E_S1E_jjS1G_bEUljE0_EEESZ_S10_S11_S18_S1C_S1E_T6_T7_T9_mT8_S1G_bDpT10_ENKUlT_T0_E_clISt17integral_constantIbLb1EES1T_IbLb0EEEEDaS1P_S1Q_EUlS1P_E_NS1_11comp_targetILNS1_3genE9ELNS1_11target_archE1100ELNS1_3gpuE3ELNS1_3repE0EEENS1_30default_config_static_selectorELNS0_4arch9wavefront6targetE1EEEvS12_.kd
    .uniform_work_group_size: 1
    .uses_dynamic_stack: false
    .vgpr_count:     0
    .vgpr_spill_count: 0
    .wavefront_size: 64
  - .args:
      - .offset:         0
        .size:           176
        .value_kind:     by_value
    .group_segment_fixed_size: 0
    .kernarg_segment_align: 8
    .kernarg_segment_size: 176
    .language:       OpenCL C
    .language_version:
      - 2
      - 0
    .max_flat_workgroup_size: 256
    .name:           _ZN7rocprim17ROCPRIM_400000_NS6detail17trampoline_kernelINS0_13select_configILj256ELj13ELNS0_17block_load_methodE3ELS4_3ELS4_3ELNS0_20block_scan_algorithmE0ELj4294967295EEENS1_25partition_config_selectorILNS1_17partition_subalgoE4EjNS0_10empty_typeEbEEZZNS1_14partition_implILS8_4ELb0ES6_15HIP_vector_typeIjLj2EENS0_17counting_iteratorIjlEEPS9_SG_NS0_5tupleIJPjSI_NS0_16reverse_iteratorISI_EEEEENSH_IJSG_SG_SG_EEES9_SI_JZNS1_25segmented_radix_sort_implINS0_14default_configELb0EPKfPfPKlPlN2at6native12_GLOBAL__N_18offset_tEEE10hipError_tPvRmT1_PNSt15iterator_traitsIS12_E10value_typeET2_T3_PNS13_IS18_E10value_typeET4_jRbjT5_S1E_jjP12ihipStream_tbEUljE_ZNSN_ISO_Lb0ESQ_SR_ST_SU_SY_EESZ_S10_S11_S12_S16_S17_S18_S1B_S1C_jS1D_jS1E_S1E_jjS1G_bEUljE0_EEESZ_S10_S11_S18_S1C_S1E_T6_T7_T9_mT8_S1G_bDpT10_ENKUlT_T0_E_clISt17integral_constantIbLb1EES1T_IbLb0EEEEDaS1P_S1Q_EUlS1P_E_NS1_11comp_targetILNS1_3genE8ELNS1_11target_archE1030ELNS1_3gpuE2ELNS1_3repE0EEENS1_30default_config_static_selectorELNS0_4arch9wavefront6targetE1EEEvS12_
    .private_segment_fixed_size: 0
    .sgpr_count:     4
    .sgpr_spill_count: 0
    .symbol:         _ZN7rocprim17ROCPRIM_400000_NS6detail17trampoline_kernelINS0_13select_configILj256ELj13ELNS0_17block_load_methodE3ELS4_3ELS4_3ELNS0_20block_scan_algorithmE0ELj4294967295EEENS1_25partition_config_selectorILNS1_17partition_subalgoE4EjNS0_10empty_typeEbEEZZNS1_14partition_implILS8_4ELb0ES6_15HIP_vector_typeIjLj2EENS0_17counting_iteratorIjlEEPS9_SG_NS0_5tupleIJPjSI_NS0_16reverse_iteratorISI_EEEEENSH_IJSG_SG_SG_EEES9_SI_JZNS1_25segmented_radix_sort_implINS0_14default_configELb0EPKfPfPKlPlN2at6native12_GLOBAL__N_18offset_tEEE10hipError_tPvRmT1_PNSt15iterator_traitsIS12_E10value_typeET2_T3_PNS13_IS18_E10value_typeET4_jRbjT5_S1E_jjP12ihipStream_tbEUljE_ZNSN_ISO_Lb0ESQ_SR_ST_SU_SY_EESZ_S10_S11_S12_S16_S17_S18_S1B_S1C_jS1D_jS1E_S1E_jjS1G_bEUljE0_EEESZ_S10_S11_S18_S1C_S1E_T6_T7_T9_mT8_S1G_bDpT10_ENKUlT_T0_E_clISt17integral_constantIbLb1EES1T_IbLb0EEEEDaS1P_S1Q_EUlS1P_E_NS1_11comp_targetILNS1_3genE8ELNS1_11target_archE1030ELNS1_3gpuE2ELNS1_3repE0EEENS1_30default_config_static_selectorELNS0_4arch9wavefront6targetE1EEEvS12_.kd
    .uniform_work_group_size: 1
    .uses_dynamic_stack: false
    .vgpr_count:     0
    .vgpr_spill_count: 0
    .wavefront_size: 64
  - .args:
      - .offset:         0
        .size:           184
        .value_kind:     by_value
    .group_segment_fixed_size: 0
    .kernarg_segment_align: 8
    .kernarg_segment_size: 184
    .language:       OpenCL C
    .language_version:
      - 2
      - 0
    .max_flat_workgroup_size: 256
    .name:           _ZN7rocprim17ROCPRIM_400000_NS6detail17trampoline_kernelINS0_13select_configILj256ELj13ELNS0_17block_load_methodE3ELS4_3ELS4_3ELNS0_20block_scan_algorithmE0ELj4294967295EEENS1_25partition_config_selectorILNS1_17partition_subalgoE4EjNS0_10empty_typeEbEEZZNS1_14partition_implILS8_4ELb0ES6_15HIP_vector_typeIjLj2EENS0_17counting_iteratorIjlEEPS9_SG_NS0_5tupleIJPjSI_NS0_16reverse_iteratorISI_EEEEENSH_IJSG_SG_SG_EEES9_SI_JZNS1_25segmented_radix_sort_implINS0_14default_configELb0EPKfPfPKlPlN2at6native12_GLOBAL__N_18offset_tEEE10hipError_tPvRmT1_PNSt15iterator_traitsIS12_E10value_typeET2_T3_PNS13_IS18_E10value_typeET4_jRbjT5_S1E_jjP12ihipStream_tbEUljE_ZNSN_ISO_Lb0ESQ_SR_ST_SU_SY_EESZ_S10_S11_S12_S16_S17_S18_S1B_S1C_jS1D_jS1E_S1E_jjS1G_bEUljE0_EEESZ_S10_S11_S18_S1C_S1E_T6_T7_T9_mT8_S1G_bDpT10_ENKUlT_T0_E_clISt17integral_constantIbLb0EES1T_IbLb1EEEEDaS1P_S1Q_EUlS1P_E_NS1_11comp_targetILNS1_3genE0ELNS1_11target_archE4294967295ELNS1_3gpuE0ELNS1_3repE0EEENS1_30default_config_static_selectorELNS0_4arch9wavefront6targetE1EEEvS12_
    .private_segment_fixed_size: 0
    .sgpr_count:     4
    .sgpr_spill_count: 0
    .symbol:         _ZN7rocprim17ROCPRIM_400000_NS6detail17trampoline_kernelINS0_13select_configILj256ELj13ELNS0_17block_load_methodE3ELS4_3ELS4_3ELNS0_20block_scan_algorithmE0ELj4294967295EEENS1_25partition_config_selectorILNS1_17partition_subalgoE4EjNS0_10empty_typeEbEEZZNS1_14partition_implILS8_4ELb0ES6_15HIP_vector_typeIjLj2EENS0_17counting_iteratorIjlEEPS9_SG_NS0_5tupleIJPjSI_NS0_16reverse_iteratorISI_EEEEENSH_IJSG_SG_SG_EEES9_SI_JZNS1_25segmented_radix_sort_implINS0_14default_configELb0EPKfPfPKlPlN2at6native12_GLOBAL__N_18offset_tEEE10hipError_tPvRmT1_PNSt15iterator_traitsIS12_E10value_typeET2_T3_PNS13_IS18_E10value_typeET4_jRbjT5_S1E_jjP12ihipStream_tbEUljE_ZNSN_ISO_Lb0ESQ_SR_ST_SU_SY_EESZ_S10_S11_S12_S16_S17_S18_S1B_S1C_jS1D_jS1E_S1E_jjS1G_bEUljE0_EEESZ_S10_S11_S18_S1C_S1E_T6_T7_T9_mT8_S1G_bDpT10_ENKUlT_T0_E_clISt17integral_constantIbLb0EES1T_IbLb1EEEEDaS1P_S1Q_EUlS1P_E_NS1_11comp_targetILNS1_3genE0ELNS1_11target_archE4294967295ELNS1_3gpuE0ELNS1_3repE0EEENS1_30default_config_static_selectorELNS0_4arch9wavefront6targetE1EEEvS12_.kd
    .uniform_work_group_size: 1
    .uses_dynamic_stack: false
    .vgpr_count:     0
    .vgpr_spill_count: 0
    .wavefront_size: 64
  - .args:
      - .offset:         0
        .size:           184
        .value_kind:     by_value
    .group_segment_fixed_size: 0
    .kernarg_segment_align: 8
    .kernarg_segment_size: 184
    .language:       OpenCL C
    .language_version:
      - 2
      - 0
    .max_flat_workgroup_size: 256
    .name:           _ZN7rocprim17ROCPRIM_400000_NS6detail17trampoline_kernelINS0_13select_configILj256ELj13ELNS0_17block_load_methodE3ELS4_3ELS4_3ELNS0_20block_scan_algorithmE0ELj4294967295EEENS1_25partition_config_selectorILNS1_17partition_subalgoE4EjNS0_10empty_typeEbEEZZNS1_14partition_implILS8_4ELb0ES6_15HIP_vector_typeIjLj2EENS0_17counting_iteratorIjlEEPS9_SG_NS0_5tupleIJPjSI_NS0_16reverse_iteratorISI_EEEEENSH_IJSG_SG_SG_EEES9_SI_JZNS1_25segmented_radix_sort_implINS0_14default_configELb0EPKfPfPKlPlN2at6native12_GLOBAL__N_18offset_tEEE10hipError_tPvRmT1_PNSt15iterator_traitsIS12_E10value_typeET2_T3_PNS13_IS18_E10value_typeET4_jRbjT5_S1E_jjP12ihipStream_tbEUljE_ZNSN_ISO_Lb0ESQ_SR_ST_SU_SY_EESZ_S10_S11_S12_S16_S17_S18_S1B_S1C_jS1D_jS1E_S1E_jjS1G_bEUljE0_EEESZ_S10_S11_S18_S1C_S1E_T6_T7_T9_mT8_S1G_bDpT10_ENKUlT_T0_E_clISt17integral_constantIbLb0EES1T_IbLb1EEEEDaS1P_S1Q_EUlS1P_E_NS1_11comp_targetILNS1_3genE5ELNS1_11target_archE942ELNS1_3gpuE9ELNS1_3repE0EEENS1_30default_config_static_selectorELNS0_4arch9wavefront6targetE1EEEvS12_
    .private_segment_fixed_size: 0
    .sgpr_count:     4
    .sgpr_spill_count: 0
    .symbol:         _ZN7rocprim17ROCPRIM_400000_NS6detail17trampoline_kernelINS0_13select_configILj256ELj13ELNS0_17block_load_methodE3ELS4_3ELS4_3ELNS0_20block_scan_algorithmE0ELj4294967295EEENS1_25partition_config_selectorILNS1_17partition_subalgoE4EjNS0_10empty_typeEbEEZZNS1_14partition_implILS8_4ELb0ES6_15HIP_vector_typeIjLj2EENS0_17counting_iteratorIjlEEPS9_SG_NS0_5tupleIJPjSI_NS0_16reverse_iteratorISI_EEEEENSH_IJSG_SG_SG_EEES9_SI_JZNS1_25segmented_radix_sort_implINS0_14default_configELb0EPKfPfPKlPlN2at6native12_GLOBAL__N_18offset_tEEE10hipError_tPvRmT1_PNSt15iterator_traitsIS12_E10value_typeET2_T3_PNS13_IS18_E10value_typeET4_jRbjT5_S1E_jjP12ihipStream_tbEUljE_ZNSN_ISO_Lb0ESQ_SR_ST_SU_SY_EESZ_S10_S11_S12_S16_S17_S18_S1B_S1C_jS1D_jS1E_S1E_jjS1G_bEUljE0_EEESZ_S10_S11_S18_S1C_S1E_T6_T7_T9_mT8_S1G_bDpT10_ENKUlT_T0_E_clISt17integral_constantIbLb0EES1T_IbLb1EEEEDaS1P_S1Q_EUlS1P_E_NS1_11comp_targetILNS1_3genE5ELNS1_11target_archE942ELNS1_3gpuE9ELNS1_3repE0EEENS1_30default_config_static_selectorELNS0_4arch9wavefront6targetE1EEEvS12_.kd
    .uniform_work_group_size: 1
    .uses_dynamic_stack: false
    .vgpr_count:     0
    .vgpr_spill_count: 0
    .wavefront_size: 64
  - .args:
      - .offset:         0
        .size:           184
        .value_kind:     by_value
    .group_segment_fixed_size: 0
    .kernarg_segment_align: 8
    .kernarg_segment_size: 184
    .language:       OpenCL C
    .language_version:
      - 2
      - 0
    .max_flat_workgroup_size: 256
    .name:           _ZN7rocprim17ROCPRIM_400000_NS6detail17trampoline_kernelINS0_13select_configILj256ELj13ELNS0_17block_load_methodE3ELS4_3ELS4_3ELNS0_20block_scan_algorithmE0ELj4294967295EEENS1_25partition_config_selectorILNS1_17partition_subalgoE4EjNS0_10empty_typeEbEEZZNS1_14partition_implILS8_4ELb0ES6_15HIP_vector_typeIjLj2EENS0_17counting_iteratorIjlEEPS9_SG_NS0_5tupleIJPjSI_NS0_16reverse_iteratorISI_EEEEENSH_IJSG_SG_SG_EEES9_SI_JZNS1_25segmented_radix_sort_implINS0_14default_configELb0EPKfPfPKlPlN2at6native12_GLOBAL__N_18offset_tEEE10hipError_tPvRmT1_PNSt15iterator_traitsIS12_E10value_typeET2_T3_PNS13_IS18_E10value_typeET4_jRbjT5_S1E_jjP12ihipStream_tbEUljE_ZNSN_ISO_Lb0ESQ_SR_ST_SU_SY_EESZ_S10_S11_S12_S16_S17_S18_S1B_S1C_jS1D_jS1E_S1E_jjS1G_bEUljE0_EEESZ_S10_S11_S18_S1C_S1E_T6_T7_T9_mT8_S1G_bDpT10_ENKUlT_T0_E_clISt17integral_constantIbLb0EES1T_IbLb1EEEEDaS1P_S1Q_EUlS1P_E_NS1_11comp_targetILNS1_3genE4ELNS1_11target_archE910ELNS1_3gpuE8ELNS1_3repE0EEENS1_30default_config_static_selectorELNS0_4arch9wavefront6targetE1EEEvS12_
    .private_segment_fixed_size: 0
    .sgpr_count:     4
    .sgpr_spill_count: 0
    .symbol:         _ZN7rocprim17ROCPRIM_400000_NS6detail17trampoline_kernelINS0_13select_configILj256ELj13ELNS0_17block_load_methodE3ELS4_3ELS4_3ELNS0_20block_scan_algorithmE0ELj4294967295EEENS1_25partition_config_selectorILNS1_17partition_subalgoE4EjNS0_10empty_typeEbEEZZNS1_14partition_implILS8_4ELb0ES6_15HIP_vector_typeIjLj2EENS0_17counting_iteratorIjlEEPS9_SG_NS0_5tupleIJPjSI_NS0_16reverse_iteratorISI_EEEEENSH_IJSG_SG_SG_EEES9_SI_JZNS1_25segmented_radix_sort_implINS0_14default_configELb0EPKfPfPKlPlN2at6native12_GLOBAL__N_18offset_tEEE10hipError_tPvRmT1_PNSt15iterator_traitsIS12_E10value_typeET2_T3_PNS13_IS18_E10value_typeET4_jRbjT5_S1E_jjP12ihipStream_tbEUljE_ZNSN_ISO_Lb0ESQ_SR_ST_SU_SY_EESZ_S10_S11_S12_S16_S17_S18_S1B_S1C_jS1D_jS1E_S1E_jjS1G_bEUljE0_EEESZ_S10_S11_S18_S1C_S1E_T6_T7_T9_mT8_S1G_bDpT10_ENKUlT_T0_E_clISt17integral_constantIbLb0EES1T_IbLb1EEEEDaS1P_S1Q_EUlS1P_E_NS1_11comp_targetILNS1_3genE4ELNS1_11target_archE910ELNS1_3gpuE8ELNS1_3repE0EEENS1_30default_config_static_selectorELNS0_4arch9wavefront6targetE1EEEvS12_.kd
    .uniform_work_group_size: 1
    .uses_dynamic_stack: false
    .vgpr_count:     0
    .vgpr_spill_count: 0
    .wavefront_size: 64
  - .args:
      - .offset:         0
        .size:           184
        .value_kind:     by_value
    .group_segment_fixed_size: 0
    .kernarg_segment_align: 8
    .kernarg_segment_size: 184
    .language:       OpenCL C
    .language_version:
      - 2
      - 0
    .max_flat_workgroup_size: 256
    .name:           _ZN7rocprim17ROCPRIM_400000_NS6detail17trampoline_kernelINS0_13select_configILj256ELj13ELNS0_17block_load_methodE3ELS4_3ELS4_3ELNS0_20block_scan_algorithmE0ELj4294967295EEENS1_25partition_config_selectorILNS1_17partition_subalgoE4EjNS0_10empty_typeEbEEZZNS1_14partition_implILS8_4ELb0ES6_15HIP_vector_typeIjLj2EENS0_17counting_iteratorIjlEEPS9_SG_NS0_5tupleIJPjSI_NS0_16reverse_iteratorISI_EEEEENSH_IJSG_SG_SG_EEES9_SI_JZNS1_25segmented_radix_sort_implINS0_14default_configELb0EPKfPfPKlPlN2at6native12_GLOBAL__N_18offset_tEEE10hipError_tPvRmT1_PNSt15iterator_traitsIS12_E10value_typeET2_T3_PNS13_IS18_E10value_typeET4_jRbjT5_S1E_jjP12ihipStream_tbEUljE_ZNSN_ISO_Lb0ESQ_SR_ST_SU_SY_EESZ_S10_S11_S12_S16_S17_S18_S1B_S1C_jS1D_jS1E_S1E_jjS1G_bEUljE0_EEESZ_S10_S11_S18_S1C_S1E_T6_T7_T9_mT8_S1G_bDpT10_ENKUlT_T0_E_clISt17integral_constantIbLb0EES1T_IbLb1EEEEDaS1P_S1Q_EUlS1P_E_NS1_11comp_targetILNS1_3genE3ELNS1_11target_archE908ELNS1_3gpuE7ELNS1_3repE0EEENS1_30default_config_static_selectorELNS0_4arch9wavefront6targetE1EEEvS12_
    .private_segment_fixed_size: 0
    .sgpr_count:     4
    .sgpr_spill_count: 0
    .symbol:         _ZN7rocprim17ROCPRIM_400000_NS6detail17trampoline_kernelINS0_13select_configILj256ELj13ELNS0_17block_load_methodE3ELS4_3ELS4_3ELNS0_20block_scan_algorithmE0ELj4294967295EEENS1_25partition_config_selectorILNS1_17partition_subalgoE4EjNS0_10empty_typeEbEEZZNS1_14partition_implILS8_4ELb0ES6_15HIP_vector_typeIjLj2EENS0_17counting_iteratorIjlEEPS9_SG_NS0_5tupleIJPjSI_NS0_16reverse_iteratorISI_EEEEENSH_IJSG_SG_SG_EEES9_SI_JZNS1_25segmented_radix_sort_implINS0_14default_configELb0EPKfPfPKlPlN2at6native12_GLOBAL__N_18offset_tEEE10hipError_tPvRmT1_PNSt15iterator_traitsIS12_E10value_typeET2_T3_PNS13_IS18_E10value_typeET4_jRbjT5_S1E_jjP12ihipStream_tbEUljE_ZNSN_ISO_Lb0ESQ_SR_ST_SU_SY_EESZ_S10_S11_S12_S16_S17_S18_S1B_S1C_jS1D_jS1E_S1E_jjS1G_bEUljE0_EEESZ_S10_S11_S18_S1C_S1E_T6_T7_T9_mT8_S1G_bDpT10_ENKUlT_T0_E_clISt17integral_constantIbLb0EES1T_IbLb1EEEEDaS1P_S1Q_EUlS1P_E_NS1_11comp_targetILNS1_3genE3ELNS1_11target_archE908ELNS1_3gpuE7ELNS1_3repE0EEENS1_30default_config_static_selectorELNS0_4arch9wavefront6targetE1EEEvS12_.kd
    .uniform_work_group_size: 1
    .uses_dynamic_stack: false
    .vgpr_count:     0
    .vgpr_spill_count: 0
    .wavefront_size: 64
  - .args:
      - .offset:         0
        .size:           184
        .value_kind:     by_value
    .group_segment_fixed_size: 13328
    .kernarg_segment_align: 8
    .kernarg_segment_size: 184
    .language:       OpenCL C
    .language_version:
      - 2
      - 0
    .max_flat_workgroup_size: 256
    .name:           _ZN7rocprim17ROCPRIM_400000_NS6detail17trampoline_kernelINS0_13select_configILj256ELj13ELNS0_17block_load_methodE3ELS4_3ELS4_3ELNS0_20block_scan_algorithmE0ELj4294967295EEENS1_25partition_config_selectorILNS1_17partition_subalgoE4EjNS0_10empty_typeEbEEZZNS1_14partition_implILS8_4ELb0ES6_15HIP_vector_typeIjLj2EENS0_17counting_iteratorIjlEEPS9_SG_NS0_5tupleIJPjSI_NS0_16reverse_iteratorISI_EEEEENSH_IJSG_SG_SG_EEES9_SI_JZNS1_25segmented_radix_sort_implINS0_14default_configELb0EPKfPfPKlPlN2at6native12_GLOBAL__N_18offset_tEEE10hipError_tPvRmT1_PNSt15iterator_traitsIS12_E10value_typeET2_T3_PNS13_IS18_E10value_typeET4_jRbjT5_S1E_jjP12ihipStream_tbEUljE_ZNSN_ISO_Lb0ESQ_SR_ST_SU_SY_EESZ_S10_S11_S12_S16_S17_S18_S1B_S1C_jS1D_jS1E_S1E_jjS1G_bEUljE0_EEESZ_S10_S11_S18_S1C_S1E_T6_T7_T9_mT8_S1G_bDpT10_ENKUlT_T0_E_clISt17integral_constantIbLb0EES1T_IbLb1EEEEDaS1P_S1Q_EUlS1P_E_NS1_11comp_targetILNS1_3genE2ELNS1_11target_archE906ELNS1_3gpuE6ELNS1_3repE0EEENS1_30default_config_static_selectorELNS0_4arch9wavefront6targetE1EEEvS12_
    .private_segment_fixed_size: 0
    .sgpr_count:     91
    .sgpr_spill_count: 0
    .symbol:         _ZN7rocprim17ROCPRIM_400000_NS6detail17trampoline_kernelINS0_13select_configILj256ELj13ELNS0_17block_load_methodE3ELS4_3ELS4_3ELNS0_20block_scan_algorithmE0ELj4294967295EEENS1_25partition_config_selectorILNS1_17partition_subalgoE4EjNS0_10empty_typeEbEEZZNS1_14partition_implILS8_4ELb0ES6_15HIP_vector_typeIjLj2EENS0_17counting_iteratorIjlEEPS9_SG_NS0_5tupleIJPjSI_NS0_16reverse_iteratorISI_EEEEENSH_IJSG_SG_SG_EEES9_SI_JZNS1_25segmented_radix_sort_implINS0_14default_configELb0EPKfPfPKlPlN2at6native12_GLOBAL__N_18offset_tEEE10hipError_tPvRmT1_PNSt15iterator_traitsIS12_E10value_typeET2_T3_PNS13_IS18_E10value_typeET4_jRbjT5_S1E_jjP12ihipStream_tbEUljE_ZNSN_ISO_Lb0ESQ_SR_ST_SU_SY_EESZ_S10_S11_S12_S16_S17_S18_S1B_S1C_jS1D_jS1E_S1E_jjS1G_bEUljE0_EEESZ_S10_S11_S18_S1C_S1E_T6_T7_T9_mT8_S1G_bDpT10_ENKUlT_T0_E_clISt17integral_constantIbLb0EES1T_IbLb1EEEEDaS1P_S1Q_EUlS1P_E_NS1_11comp_targetILNS1_3genE2ELNS1_11target_archE906ELNS1_3gpuE6ELNS1_3repE0EEENS1_30default_config_static_selectorELNS0_4arch9wavefront6targetE1EEEvS12_.kd
    .uniform_work_group_size: 1
    .uses_dynamic_stack: false
    .vgpr_count:     91
    .vgpr_spill_count: 0
    .wavefront_size: 64
  - .args:
      - .offset:         0
        .size:           184
        .value_kind:     by_value
    .group_segment_fixed_size: 0
    .kernarg_segment_align: 8
    .kernarg_segment_size: 184
    .language:       OpenCL C
    .language_version:
      - 2
      - 0
    .max_flat_workgroup_size: 256
    .name:           _ZN7rocprim17ROCPRIM_400000_NS6detail17trampoline_kernelINS0_13select_configILj256ELj13ELNS0_17block_load_methodE3ELS4_3ELS4_3ELNS0_20block_scan_algorithmE0ELj4294967295EEENS1_25partition_config_selectorILNS1_17partition_subalgoE4EjNS0_10empty_typeEbEEZZNS1_14partition_implILS8_4ELb0ES6_15HIP_vector_typeIjLj2EENS0_17counting_iteratorIjlEEPS9_SG_NS0_5tupleIJPjSI_NS0_16reverse_iteratorISI_EEEEENSH_IJSG_SG_SG_EEES9_SI_JZNS1_25segmented_radix_sort_implINS0_14default_configELb0EPKfPfPKlPlN2at6native12_GLOBAL__N_18offset_tEEE10hipError_tPvRmT1_PNSt15iterator_traitsIS12_E10value_typeET2_T3_PNS13_IS18_E10value_typeET4_jRbjT5_S1E_jjP12ihipStream_tbEUljE_ZNSN_ISO_Lb0ESQ_SR_ST_SU_SY_EESZ_S10_S11_S12_S16_S17_S18_S1B_S1C_jS1D_jS1E_S1E_jjS1G_bEUljE0_EEESZ_S10_S11_S18_S1C_S1E_T6_T7_T9_mT8_S1G_bDpT10_ENKUlT_T0_E_clISt17integral_constantIbLb0EES1T_IbLb1EEEEDaS1P_S1Q_EUlS1P_E_NS1_11comp_targetILNS1_3genE10ELNS1_11target_archE1200ELNS1_3gpuE4ELNS1_3repE0EEENS1_30default_config_static_selectorELNS0_4arch9wavefront6targetE1EEEvS12_
    .private_segment_fixed_size: 0
    .sgpr_count:     4
    .sgpr_spill_count: 0
    .symbol:         _ZN7rocprim17ROCPRIM_400000_NS6detail17trampoline_kernelINS0_13select_configILj256ELj13ELNS0_17block_load_methodE3ELS4_3ELS4_3ELNS0_20block_scan_algorithmE0ELj4294967295EEENS1_25partition_config_selectorILNS1_17partition_subalgoE4EjNS0_10empty_typeEbEEZZNS1_14partition_implILS8_4ELb0ES6_15HIP_vector_typeIjLj2EENS0_17counting_iteratorIjlEEPS9_SG_NS0_5tupleIJPjSI_NS0_16reverse_iteratorISI_EEEEENSH_IJSG_SG_SG_EEES9_SI_JZNS1_25segmented_radix_sort_implINS0_14default_configELb0EPKfPfPKlPlN2at6native12_GLOBAL__N_18offset_tEEE10hipError_tPvRmT1_PNSt15iterator_traitsIS12_E10value_typeET2_T3_PNS13_IS18_E10value_typeET4_jRbjT5_S1E_jjP12ihipStream_tbEUljE_ZNSN_ISO_Lb0ESQ_SR_ST_SU_SY_EESZ_S10_S11_S12_S16_S17_S18_S1B_S1C_jS1D_jS1E_S1E_jjS1G_bEUljE0_EEESZ_S10_S11_S18_S1C_S1E_T6_T7_T9_mT8_S1G_bDpT10_ENKUlT_T0_E_clISt17integral_constantIbLb0EES1T_IbLb1EEEEDaS1P_S1Q_EUlS1P_E_NS1_11comp_targetILNS1_3genE10ELNS1_11target_archE1200ELNS1_3gpuE4ELNS1_3repE0EEENS1_30default_config_static_selectorELNS0_4arch9wavefront6targetE1EEEvS12_.kd
    .uniform_work_group_size: 1
    .uses_dynamic_stack: false
    .vgpr_count:     0
    .vgpr_spill_count: 0
    .wavefront_size: 64
  - .args:
      - .offset:         0
        .size:           184
        .value_kind:     by_value
    .group_segment_fixed_size: 0
    .kernarg_segment_align: 8
    .kernarg_segment_size: 184
    .language:       OpenCL C
    .language_version:
      - 2
      - 0
    .max_flat_workgroup_size: 256
    .name:           _ZN7rocprim17ROCPRIM_400000_NS6detail17trampoline_kernelINS0_13select_configILj256ELj13ELNS0_17block_load_methodE3ELS4_3ELS4_3ELNS0_20block_scan_algorithmE0ELj4294967295EEENS1_25partition_config_selectorILNS1_17partition_subalgoE4EjNS0_10empty_typeEbEEZZNS1_14partition_implILS8_4ELb0ES6_15HIP_vector_typeIjLj2EENS0_17counting_iteratorIjlEEPS9_SG_NS0_5tupleIJPjSI_NS0_16reverse_iteratorISI_EEEEENSH_IJSG_SG_SG_EEES9_SI_JZNS1_25segmented_radix_sort_implINS0_14default_configELb0EPKfPfPKlPlN2at6native12_GLOBAL__N_18offset_tEEE10hipError_tPvRmT1_PNSt15iterator_traitsIS12_E10value_typeET2_T3_PNS13_IS18_E10value_typeET4_jRbjT5_S1E_jjP12ihipStream_tbEUljE_ZNSN_ISO_Lb0ESQ_SR_ST_SU_SY_EESZ_S10_S11_S12_S16_S17_S18_S1B_S1C_jS1D_jS1E_S1E_jjS1G_bEUljE0_EEESZ_S10_S11_S18_S1C_S1E_T6_T7_T9_mT8_S1G_bDpT10_ENKUlT_T0_E_clISt17integral_constantIbLb0EES1T_IbLb1EEEEDaS1P_S1Q_EUlS1P_E_NS1_11comp_targetILNS1_3genE9ELNS1_11target_archE1100ELNS1_3gpuE3ELNS1_3repE0EEENS1_30default_config_static_selectorELNS0_4arch9wavefront6targetE1EEEvS12_
    .private_segment_fixed_size: 0
    .sgpr_count:     4
    .sgpr_spill_count: 0
    .symbol:         _ZN7rocprim17ROCPRIM_400000_NS6detail17trampoline_kernelINS0_13select_configILj256ELj13ELNS0_17block_load_methodE3ELS4_3ELS4_3ELNS0_20block_scan_algorithmE0ELj4294967295EEENS1_25partition_config_selectorILNS1_17partition_subalgoE4EjNS0_10empty_typeEbEEZZNS1_14partition_implILS8_4ELb0ES6_15HIP_vector_typeIjLj2EENS0_17counting_iteratorIjlEEPS9_SG_NS0_5tupleIJPjSI_NS0_16reverse_iteratorISI_EEEEENSH_IJSG_SG_SG_EEES9_SI_JZNS1_25segmented_radix_sort_implINS0_14default_configELb0EPKfPfPKlPlN2at6native12_GLOBAL__N_18offset_tEEE10hipError_tPvRmT1_PNSt15iterator_traitsIS12_E10value_typeET2_T3_PNS13_IS18_E10value_typeET4_jRbjT5_S1E_jjP12ihipStream_tbEUljE_ZNSN_ISO_Lb0ESQ_SR_ST_SU_SY_EESZ_S10_S11_S12_S16_S17_S18_S1B_S1C_jS1D_jS1E_S1E_jjS1G_bEUljE0_EEESZ_S10_S11_S18_S1C_S1E_T6_T7_T9_mT8_S1G_bDpT10_ENKUlT_T0_E_clISt17integral_constantIbLb0EES1T_IbLb1EEEEDaS1P_S1Q_EUlS1P_E_NS1_11comp_targetILNS1_3genE9ELNS1_11target_archE1100ELNS1_3gpuE3ELNS1_3repE0EEENS1_30default_config_static_selectorELNS0_4arch9wavefront6targetE1EEEvS12_.kd
    .uniform_work_group_size: 1
    .uses_dynamic_stack: false
    .vgpr_count:     0
    .vgpr_spill_count: 0
    .wavefront_size: 64
  - .args:
      - .offset:         0
        .size:           184
        .value_kind:     by_value
    .group_segment_fixed_size: 0
    .kernarg_segment_align: 8
    .kernarg_segment_size: 184
    .language:       OpenCL C
    .language_version:
      - 2
      - 0
    .max_flat_workgroup_size: 256
    .name:           _ZN7rocprim17ROCPRIM_400000_NS6detail17trampoline_kernelINS0_13select_configILj256ELj13ELNS0_17block_load_methodE3ELS4_3ELS4_3ELNS0_20block_scan_algorithmE0ELj4294967295EEENS1_25partition_config_selectorILNS1_17partition_subalgoE4EjNS0_10empty_typeEbEEZZNS1_14partition_implILS8_4ELb0ES6_15HIP_vector_typeIjLj2EENS0_17counting_iteratorIjlEEPS9_SG_NS0_5tupleIJPjSI_NS0_16reverse_iteratorISI_EEEEENSH_IJSG_SG_SG_EEES9_SI_JZNS1_25segmented_radix_sort_implINS0_14default_configELb0EPKfPfPKlPlN2at6native12_GLOBAL__N_18offset_tEEE10hipError_tPvRmT1_PNSt15iterator_traitsIS12_E10value_typeET2_T3_PNS13_IS18_E10value_typeET4_jRbjT5_S1E_jjP12ihipStream_tbEUljE_ZNSN_ISO_Lb0ESQ_SR_ST_SU_SY_EESZ_S10_S11_S12_S16_S17_S18_S1B_S1C_jS1D_jS1E_S1E_jjS1G_bEUljE0_EEESZ_S10_S11_S18_S1C_S1E_T6_T7_T9_mT8_S1G_bDpT10_ENKUlT_T0_E_clISt17integral_constantIbLb0EES1T_IbLb1EEEEDaS1P_S1Q_EUlS1P_E_NS1_11comp_targetILNS1_3genE8ELNS1_11target_archE1030ELNS1_3gpuE2ELNS1_3repE0EEENS1_30default_config_static_selectorELNS0_4arch9wavefront6targetE1EEEvS12_
    .private_segment_fixed_size: 0
    .sgpr_count:     4
    .sgpr_spill_count: 0
    .symbol:         _ZN7rocprim17ROCPRIM_400000_NS6detail17trampoline_kernelINS0_13select_configILj256ELj13ELNS0_17block_load_methodE3ELS4_3ELS4_3ELNS0_20block_scan_algorithmE0ELj4294967295EEENS1_25partition_config_selectorILNS1_17partition_subalgoE4EjNS0_10empty_typeEbEEZZNS1_14partition_implILS8_4ELb0ES6_15HIP_vector_typeIjLj2EENS0_17counting_iteratorIjlEEPS9_SG_NS0_5tupleIJPjSI_NS0_16reverse_iteratorISI_EEEEENSH_IJSG_SG_SG_EEES9_SI_JZNS1_25segmented_radix_sort_implINS0_14default_configELb0EPKfPfPKlPlN2at6native12_GLOBAL__N_18offset_tEEE10hipError_tPvRmT1_PNSt15iterator_traitsIS12_E10value_typeET2_T3_PNS13_IS18_E10value_typeET4_jRbjT5_S1E_jjP12ihipStream_tbEUljE_ZNSN_ISO_Lb0ESQ_SR_ST_SU_SY_EESZ_S10_S11_S12_S16_S17_S18_S1B_S1C_jS1D_jS1E_S1E_jjS1G_bEUljE0_EEESZ_S10_S11_S18_S1C_S1E_T6_T7_T9_mT8_S1G_bDpT10_ENKUlT_T0_E_clISt17integral_constantIbLb0EES1T_IbLb1EEEEDaS1P_S1Q_EUlS1P_E_NS1_11comp_targetILNS1_3genE8ELNS1_11target_archE1030ELNS1_3gpuE2ELNS1_3repE0EEENS1_30default_config_static_selectorELNS0_4arch9wavefront6targetE1EEEvS12_.kd
    .uniform_work_group_size: 1
    .uses_dynamic_stack: false
    .vgpr_count:     0
    .vgpr_spill_count: 0
    .wavefront_size: 64
  - .args:
      - .offset:         0
        .size:           144
        .value_kind:     by_value
    .group_segment_fixed_size: 0
    .kernarg_segment_align: 8
    .kernarg_segment_size: 144
    .language:       OpenCL C
    .language_version:
      - 2
      - 0
    .max_flat_workgroup_size: 256
    .name:           _ZN7rocprim17ROCPRIM_400000_NS6detail17trampoline_kernelINS0_13select_configILj256ELj13ELNS0_17block_load_methodE3ELS4_3ELS4_3ELNS0_20block_scan_algorithmE0ELj4294967295EEENS1_25partition_config_selectorILNS1_17partition_subalgoE3EjNS0_10empty_typeEbEEZZNS1_14partition_implILS8_3ELb0ES6_jNS0_17counting_iteratorIjlEEPS9_SE_NS0_5tupleIJPjSE_EEENSF_IJSE_SE_EEES9_SG_JZNS1_25segmented_radix_sort_implINS0_14default_configELb0EPKfPfPKlPlN2at6native12_GLOBAL__N_18offset_tEEE10hipError_tPvRmT1_PNSt15iterator_traitsISY_E10value_typeET2_T3_PNSZ_IS14_E10value_typeET4_jRbjT5_S1A_jjP12ihipStream_tbEUljE_EEESV_SW_SX_S14_S18_S1A_T6_T7_T9_mT8_S1C_bDpT10_ENKUlT_T0_E_clISt17integral_constantIbLb0EES1P_EEDaS1K_S1L_EUlS1K_E_NS1_11comp_targetILNS1_3genE0ELNS1_11target_archE4294967295ELNS1_3gpuE0ELNS1_3repE0EEENS1_30default_config_static_selectorELNS0_4arch9wavefront6targetE1EEEvSY_
    .private_segment_fixed_size: 0
    .sgpr_count:     4
    .sgpr_spill_count: 0
    .symbol:         _ZN7rocprim17ROCPRIM_400000_NS6detail17trampoline_kernelINS0_13select_configILj256ELj13ELNS0_17block_load_methodE3ELS4_3ELS4_3ELNS0_20block_scan_algorithmE0ELj4294967295EEENS1_25partition_config_selectorILNS1_17partition_subalgoE3EjNS0_10empty_typeEbEEZZNS1_14partition_implILS8_3ELb0ES6_jNS0_17counting_iteratorIjlEEPS9_SE_NS0_5tupleIJPjSE_EEENSF_IJSE_SE_EEES9_SG_JZNS1_25segmented_radix_sort_implINS0_14default_configELb0EPKfPfPKlPlN2at6native12_GLOBAL__N_18offset_tEEE10hipError_tPvRmT1_PNSt15iterator_traitsISY_E10value_typeET2_T3_PNSZ_IS14_E10value_typeET4_jRbjT5_S1A_jjP12ihipStream_tbEUljE_EEESV_SW_SX_S14_S18_S1A_T6_T7_T9_mT8_S1C_bDpT10_ENKUlT_T0_E_clISt17integral_constantIbLb0EES1P_EEDaS1K_S1L_EUlS1K_E_NS1_11comp_targetILNS1_3genE0ELNS1_11target_archE4294967295ELNS1_3gpuE0ELNS1_3repE0EEENS1_30default_config_static_selectorELNS0_4arch9wavefront6targetE1EEEvSY_.kd
    .uniform_work_group_size: 1
    .uses_dynamic_stack: false
    .vgpr_count:     0
    .vgpr_spill_count: 0
    .wavefront_size: 64
  - .args:
      - .offset:         0
        .size:           144
        .value_kind:     by_value
    .group_segment_fixed_size: 0
    .kernarg_segment_align: 8
    .kernarg_segment_size: 144
    .language:       OpenCL C
    .language_version:
      - 2
      - 0
    .max_flat_workgroup_size: 256
    .name:           _ZN7rocprim17ROCPRIM_400000_NS6detail17trampoline_kernelINS0_13select_configILj256ELj13ELNS0_17block_load_methodE3ELS4_3ELS4_3ELNS0_20block_scan_algorithmE0ELj4294967295EEENS1_25partition_config_selectorILNS1_17partition_subalgoE3EjNS0_10empty_typeEbEEZZNS1_14partition_implILS8_3ELb0ES6_jNS0_17counting_iteratorIjlEEPS9_SE_NS0_5tupleIJPjSE_EEENSF_IJSE_SE_EEES9_SG_JZNS1_25segmented_radix_sort_implINS0_14default_configELb0EPKfPfPKlPlN2at6native12_GLOBAL__N_18offset_tEEE10hipError_tPvRmT1_PNSt15iterator_traitsISY_E10value_typeET2_T3_PNSZ_IS14_E10value_typeET4_jRbjT5_S1A_jjP12ihipStream_tbEUljE_EEESV_SW_SX_S14_S18_S1A_T6_T7_T9_mT8_S1C_bDpT10_ENKUlT_T0_E_clISt17integral_constantIbLb0EES1P_EEDaS1K_S1L_EUlS1K_E_NS1_11comp_targetILNS1_3genE5ELNS1_11target_archE942ELNS1_3gpuE9ELNS1_3repE0EEENS1_30default_config_static_selectorELNS0_4arch9wavefront6targetE1EEEvSY_
    .private_segment_fixed_size: 0
    .sgpr_count:     4
    .sgpr_spill_count: 0
    .symbol:         _ZN7rocprim17ROCPRIM_400000_NS6detail17trampoline_kernelINS0_13select_configILj256ELj13ELNS0_17block_load_methodE3ELS4_3ELS4_3ELNS0_20block_scan_algorithmE0ELj4294967295EEENS1_25partition_config_selectorILNS1_17partition_subalgoE3EjNS0_10empty_typeEbEEZZNS1_14partition_implILS8_3ELb0ES6_jNS0_17counting_iteratorIjlEEPS9_SE_NS0_5tupleIJPjSE_EEENSF_IJSE_SE_EEES9_SG_JZNS1_25segmented_radix_sort_implINS0_14default_configELb0EPKfPfPKlPlN2at6native12_GLOBAL__N_18offset_tEEE10hipError_tPvRmT1_PNSt15iterator_traitsISY_E10value_typeET2_T3_PNSZ_IS14_E10value_typeET4_jRbjT5_S1A_jjP12ihipStream_tbEUljE_EEESV_SW_SX_S14_S18_S1A_T6_T7_T9_mT8_S1C_bDpT10_ENKUlT_T0_E_clISt17integral_constantIbLb0EES1P_EEDaS1K_S1L_EUlS1K_E_NS1_11comp_targetILNS1_3genE5ELNS1_11target_archE942ELNS1_3gpuE9ELNS1_3repE0EEENS1_30default_config_static_selectorELNS0_4arch9wavefront6targetE1EEEvSY_.kd
    .uniform_work_group_size: 1
    .uses_dynamic_stack: false
    .vgpr_count:     0
    .vgpr_spill_count: 0
    .wavefront_size: 64
  - .args:
      - .offset:         0
        .size:           144
        .value_kind:     by_value
    .group_segment_fixed_size: 0
    .kernarg_segment_align: 8
    .kernarg_segment_size: 144
    .language:       OpenCL C
    .language_version:
      - 2
      - 0
    .max_flat_workgroup_size: 256
    .name:           _ZN7rocprim17ROCPRIM_400000_NS6detail17trampoline_kernelINS0_13select_configILj256ELj13ELNS0_17block_load_methodE3ELS4_3ELS4_3ELNS0_20block_scan_algorithmE0ELj4294967295EEENS1_25partition_config_selectorILNS1_17partition_subalgoE3EjNS0_10empty_typeEbEEZZNS1_14partition_implILS8_3ELb0ES6_jNS0_17counting_iteratorIjlEEPS9_SE_NS0_5tupleIJPjSE_EEENSF_IJSE_SE_EEES9_SG_JZNS1_25segmented_radix_sort_implINS0_14default_configELb0EPKfPfPKlPlN2at6native12_GLOBAL__N_18offset_tEEE10hipError_tPvRmT1_PNSt15iterator_traitsISY_E10value_typeET2_T3_PNSZ_IS14_E10value_typeET4_jRbjT5_S1A_jjP12ihipStream_tbEUljE_EEESV_SW_SX_S14_S18_S1A_T6_T7_T9_mT8_S1C_bDpT10_ENKUlT_T0_E_clISt17integral_constantIbLb0EES1P_EEDaS1K_S1L_EUlS1K_E_NS1_11comp_targetILNS1_3genE4ELNS1_11target_archE910ELNS1_3gpuE8ELNS1_3repE0EEENS1_30default_config_static_selectorELNS0_4arch9wavefront6targetE1EEEvSY_
    .private_segment_fixed_size: 0
    .sgpr_count:     4
    .sgpr_spill_count: 0
    .symbol:         _ZN7rocprim17ROCPRIM_400000_NS6detail17trampoline_kernelINS0_13select_configILj256ELj13ELNS0_17block_load_methodE3ELS4_3ELS4_3ELNS0_20block_scan_algorithmE0ELj4294967295EEENS1_25partition_config_selectorILNS1_17partition_subalgoE3EjNS0_10empty_typeEbEEZZNS1_14partition_implILS8_3ELb0ES6_jNS0_17counting_iteratorIjlEEPS9_SE_NS0_5tupleIJPjSE_EEENSF_IJSE_SE_EEES9_SG_JZNS1_25segmented_radix_sort_implINS0_14default_configELb0EPKfPfPKlPlN2at6native12_GLOBAL__N_18offset_tEEE10hipError_tPvRmT1_PNSt15iterator_traitsISY_E10value_typeET2_T3_PNSZ_IS14_E10value_typeET4_jRbjT5_S1A_jjP12ihipStream_tbEUljE_EEESV_SW_SX_S14_S18_S1A_T6_T7_T9_mT8_S1C_bDpT10_ENKUlT_T0_E_clISt17integral_constantIbLb0EES1P_EEDaS1K_S1L_EUlS1K_E_NS1_11comp_targetILNS1_3genE4ELNS1_11target_archE910ELNS1_3gpuE8ELNS1_3repE0EEENS1_30default_config_static_selectorELNS0_4arch9wavefront6targetE1EEEvSY_.kd
    .uniform_work_group_size: 1
    .uses_dynamic_stack: false
    .vgpr_count:     0
    .vgpr_spill_count: 0
    .wavefront_size: 64
  - .args:
      - .offset:         0
        .size:           144
        .value_kind:     by_value
    .group_segment_fixed_size: 0
    .kernarg_segment_align: 8
    .kernarg_segment_size: 144
    .language:       OpenCL C
    .language_version:
      - 2
      - 0
    .max_flat_workgroup_size: 256
    .name:           _ZN7rocprim17ROCPRIM_400000_NS6detail17trampoline_kernelINS0_13select_configILj256ELj13ELNS0_17block_load_methodE3ELS4_3ELS4_3ELNS0_20block_scan_algorithmE0ELj4294967295EEENS1_25partition_config_selectorILNS1_17partition_subalgoE3EjNS0_10empty_typeEbEEZZNS1_14partition_implILS8_3ELb0ES6_jNS0_17counting_iteratorIjlEEPS9_SE_NS0_5tupleIJPjSE_EEENSF_IJSE_SE_EEES9_SG_JZNS1_25segmented_radix_sort_implINS0_14default_configELb0EPKfPfPKlPlN2at6native12_GLOBAL__N_18offset_tEEE10hipError_tPvRmT1_PNSt15iterator_traitsISY_E10value_typeET2_T3_PNSZ_IS14_E10value_typeET4_jRbjT5_S1A_jjP12ihipStream_tbEUljE_EEESV_SW_SX_S14_S18_S1A_T6_T7_T9_mT8_S1C_bDpT10_ENKUlT_T0_E_clISt17integral_constantIbLb0EES1P_EEDaS1K_S1L_EUlS1K_E_NS1_11comp_targetILNS1_3genE3ELNS1_11target_archE908ELNS1_3gpuE7ELNS1_3repE0EEENS1_30default_config_static_selectorELNS0_4arch9wavefront6targetE1EEEvSY_
    .private_segment_fixed_size: 0
    .sgpr_count:     4
    .sgpr_spill_count: 0
    .symbol:         _ZN7rocprim17ROCPRIM_400000_NS6detail17trampoline_kernelINS0_13select_configILj256ELj13ELNS0_17block_load_methodE3ELS4_3ELS4_3ELNS0_20block_scan_algorithmE0ELj4294967295EEENS1_25partition_config_selectorILNS1_17partition_subalgoE3EjNS0_10empty_typeEbEEZZNS1_14partition_implILS8_3ELb0ES6_jNS0_17counting_iteratorIjlEEPS9_SE_NS0_5tupleIJPjSE_EEENSF_IJSE_SE_EEES9_SG_JZNS1_25segmented_radix_sort_implINS0_14default_configELb0EPKfPfPKlPlN2at6native12_GLOBAL__N_18offset_tEEE10hipError_tPvRmT1_PNSt15iterator_traitsISY_E10value_typeET2_T3_PNSZ_IS14_E10value_typeET4_jRbjT5_S1A_jjP12ihipStream_tbEUljE_EEESV_SW_SX_S14_S18_S1A_T6_T7_T9_mT8_S1C_bDpT10_ENKUlT_T0_E_clISt17integral_constantIbLb0EES1P_EEDaS1K_S1L_EUlS1K_E_NS1_11comp_targetILNS1_3genE3ELNS1_11target_archE908ELNS1_3gpuE7ELNS1_3repE0EEENS1_30default_config_static_selectorELNS0_4arch9wavefront6targetE1EEEvSY_.kd
    .uniform_work_group_size: 1
    .uses_dynamic_stack: false
    .vgpr_count:     0
    .vgpr_spill_count: 0
    .wavefront_size: 64
  - .args:
      - .offset:         0
        .size:           144
        .value_kind:     by_value
    .group_segment_fixed_size: 13320
    .kernarg_segment_align: 8
    .kernarg_segment_size: 144
    .language:       OpenCL C
    .language_version:
      - 2
      - 0
    .max_flat_workgroup_size: 256
    .name:           _ZN7rocprim17ROCPRIM_400000_NS6detail17trampoline_kernelINS0_13select_configILj256ELj13ELNS0_17block_load_methodE3ELS4_3ELS4_3ELNS0_20block_scan_algorithmE0ELj4294967295EEENS1_25partition_config_selectorILNS1_17partition_subalgoE3EjNS0_10empty_typeEbEEZZNS1_14partition_implILS8_3ELb0ES6_jNS0_17counting_iteratorIjlEEPS9_SE_NS0_5tupleIJPjSE_EEENSF_IJSE_SE_EEES9_SG_JZNS1_25segmented_radix_sort_implINS0_14default_configELb0EPKfPfPKlPlN2at6native12_GLOBAL__N_18offset_tEEE10hipError_tPvRmT1_PNSt15iterator_traitsISY_E10value_typeET2_T3_PNSZ_IS14_E10value_typeET4_jRbjT5_S1A_jjP12ihipStream_tbEUljE_EEESV_SW_SX_S14_S18_S1A_T6_T7_T9_mT8_S1C_bDpT10_ENKUlT_T0_E_clISt17integral_constantIbLb0EES1P_EEDaS1K_S1L_EUlS1K_E_NS1_11comp_targetILNS1_3genE2ELNS1_11target_archE906ELNS1_3gpuE6ELNS1_3repE0EEENS1_30default_config_static_selectorELNS0_4arch9wavefront6targetE1EEEvSY_
    .private_segment_fixed_size: 0
    .sgpr_count:     52
    .sgpr_spill_count: 0
    .symbol:         _ZN7rocprim17ROCPRIM_400000_NS6detail17trampoline_kernelINS0_13select_configILj256ELj13ELNS0_17block_load_methodE3ELS4_3ELS4_3ELNS0_20block_scan_algorithmE0ELj4294967295EEENS1_25partition_config_selectorILNS1_17partition_subalgoE3EjNS0_10empty_typeEbEEZZNS1_14partition_implILS8_3ELb0ES6_jNS0_17counting_iteratorIjlEEPS9_SE_NS0_5tupleIJPjSE_EEENSF_IJSE_SE_EEES9_SG_JZNS1_25segmented_radix_sort_implINS0_14default_configELb0EPKfPfPKlPlN2at6native12_GLOBAL__N_18offset_tEEE10hipError_tPvRmT1_PNSt15iterator_traitsISY_E10value_typeET2_T3_PNSZ_IS14_E10value_typeET4_jRbjT5_S1A_jjP12ihipStream_tbEUljE_EEESV_SW_SX_S14_S18_S1A_T6_T7_T9_mT8_S1C_bDpT10_ENKUlT_T0_E_clISt17integral_constantIbLb0EES1P_EEDaS1K_S1L_EUlS1K_E_NS1_11comp_targetILNS1_3genE2ELNS1_11target_archE906ELNS1_3gpuE6ELNS1_3repE0EEENS1_30default_config_static_selectorELNS0_4arch9wavefront6targetE1EEEvSY_.kd
    .uniform_work_group_size: 1
    .uses_dynamic_stack: false
    .vgpr_count:     69
    .vgpr_spill_count: 0
    .wavefront_size: 64
  - .args:
      - .offset:         0
        .size:           144
        .value_kind:     by_value
    .group_segment_fixed_size: 0
    .kernarg_segment_align: 8
    .kernarg_segment_size: 144
    .language:       OpenCL C
    .language_version:
      - 2
      - 0
    .max_flat_workgroup_size: 256
    .name:           _ZN7rocprim17ROCPRIM_400000_NS6detail17trampoline_kernelINS0_13select_configILj256ELj13ELNS0_17block_load_methodE3ELS4_3ELS4_3ELNS0_20block_scan_algorithmE0ELj4294967295EEENS1_25partition_config_selectorILNS1_17partition_subalgoE3EjNS0_10empty_typeEbEEZZNS1_14partition_implILS8_3ELb0ES6_jNS0_17counting_iteratorIjlEEPS9_SE_NS0_5tupleIJPjSE_EEENSF_IJSE_SE_EEES9_SG_JZNS1_25segmented_radix_sort_implINS0_14default_configELb0EPKfPfPKlPlN2at6native12_GLOBAL__N_18offset_tEEE10hipError_tPvRmT1_PNSt15iterator_traitsISY_E10value_typeET2_T3_PNSZ_IS14_E10value_typeET4_jRbjT5_S1A_jjP12ihipStream_tbEUljE_EEESV_SW_SX_S14_S18_S1A_T6_T7_T9_mT8_S1C_bDpT10_ENKUlT_T0_E_clISt17integral_constantIbLb0EES1P_EEDaS1K_S1L_EUlS1K_E_NS1_11comp_targetILNS1_3genE10ELNS1_11target_archE1200ELNS1_3gpuE4ELNS1_3repE0EEENS1_30default_config_static_selectorELNS0_4arch9wavefront6targetE1EEEvSY_
    .private_segment_fixed_size: 0
    .sgpr_count:     4
    .sgpr_spill_count: 0
    .symbol:         _ZN7rocprim17ROCPRIM_400000_NS6detail17trampoline_kernelINS0_13select_configILj256ELj13ELNS0_17block_load_methodE3ELS4_3ELS4_3ELNS0_20block_scan_algorithmE0ELj4294967295EEENS1_25partition_config_selectorILNS1_17partition_subalgoE3EjNS0_10empty_typeEbEEZZNS1_14partition_implILS8_3ELb0ES6_jNS0_17counting_iteratorIjlEEPS9_SE_NS0_5tupleIJPjSE_EEENSF_IJSE_SE_EEES9_SG_JZNS1_25segmented_radix_sort_implINS0_14default_configELb0EPKfPfPKlPlN2at6native12_GLOBAL__N_18offset_tEEE10hipError_tPvRmT1_PNSt15iterator_traitsISY_E10value_typeET2_T3_PNSZ_IS14_E10value_typeET4_jRbjT5_S1A_jjP12ihipStream_tbEUljE_EEESV_SW_SX_S14_S18_S1A_T6_T7_T9_mT8_S1C_bDpT10_ENKUlT_T0_E_clISt17integral_constantIbLb0EES1P_EEDaS1K_S1L_EUlS1K_E_NS1_11comp_targetILNS1_3genE10ELNS1_11target_archE1200ELNS1_3gpuE4ELNS1_3repE0EEENS1_30default_config_static_selectorELNS0_4arch9wavefront6targetE1EEEvSY_.kd
    .uniform_work_group_size: 1
    .uses_dynamic_stack: false
    .vgpr_count:     0
    .vgpr_spill_count: 0
    .wavefront_size: 64
  - .args:
      - .offset:         0
        .size:           144
        .value_kind:     by_value
    .group_segment_fixed_size: 0
    .kernarg_segment_align: 8
    .kernarg_segment_size: 144
    .language:       OpenCL C
    .language_version:
      - 2
      - 0
    .max_flat_workgroup_size: 256
    .name:           _ZN7rocprim17ROCPRIM_400000_NS6detail17trampoline_kernelINS0_13select_configILj256ELj13ELNS0_17block_load_methodE3ELS4_3ELS4_3ELNS0_20block_scan_algorithmE0ELj4294967295EEENS1_25partition_config_selectorILNS1_17partition_subalgoE3EjNS0_10empty_typeEbEEZZNS1_14partition_implILS8_3ELb0ES6_jNS0_17counting_iteratorIjlEEPS9_SE_NS0_5tupleIJPjSE_EEENSF_IJSE_SE_EEES9_SG_JZNS1_25segmented_radix_sort_implINS0_14default_configELb0EPKfPfPKlPlN2at6native12_GLOBAL__N_18offset_tEEE10hipError_tPvRmT1_PNSt15iterator_traitsISY_E10value_typeET2_T3_PNSZ_IS14_E10value_typeET4_jRbjT5_S1A_jjP12ihipStream_tbEUljE_EEESV_SW_SX_S14_S18_S1A_T6_T7_T9_mT8_S1C_bDpT10_ENKUlT_T0_E_clISt17integral_constantIbLb0EES1P_EEDaS1K_S1L_EUlS1K_E_NS1_11comp_targetILNS1_3genE9ELNS1_11target_archE1100ELNS1_3gpuE3ELNS1_3repE0EEENS1_30default_config_static_selectorELNS0_4arch9wavefront6targetE1EEEvSY_
    .private_segment_fixed_size: 0
    .sgpr_count:     4
    .sgpr_spill_count: 0
    .symbol:         _ZN7rocprim17ROCPRIM_400000_NS6detail17trampoline_kernelINS0_13select_configILj256ELj13ELNS0_17block_load_methodE3ELS4_3ELS4_3ELNS0_20block_scan_algorithmE0ELj4294967295EEENS1_25partition_config_selectorILNS1_17partition_subalgoE3EjNS0_10empty_typeEbEEZZNS1_14partition_implILS8_3ELb0ES6_jNS0_17counting_iteratorIjlEEPS9_SE_NS0_5tupleIJPjSE_EEENSF_IJSE_SE_EEES9_SG_JZNS1_25segmented_radix_sort_implINS0_14default_configELb0EPKfPfPKlPlN2at6native12_GLOBAL__N_18offset_tEEE10hipError_tPvRmT1_PNSt15iterator_traitsISY_E10value_typeET2_T3_PNSZ_IS14_E10value_typeET4_jRbjT5_S1A_jjP12ihipStream_tbEUljE_EEESV_SW_SX_S14_S18_S1A_T6_T7_T9_mT8_S1C_bDpT10_ENKUlT_T0_E_clISt17integral_constantIbLb0EES1P_EEDaS1K_S1L_EUlS1K_E_NS1_11comp_targetILNS1_3genE9ELNS1_11target_archE1100ELNS1_3gpuE3ELNS1_3repE0EEENS1_30default_config_static_selectorELNS0_4arch9wavefront6targetE1EEEvSY_.kd
    .uniform_work_group_size: 1
    .uses_dynamic_stack: false
    .vgpr_count:     0
    .vgpr_spill_count: 0
    .wavefront_size: 64
  - .args:
      - .offset:         0
        .size:           144
        .value_kind:     by_value
    .group_segment_fixed_size: 0
    .kernarg_segment_align: 8
    .kernarg_segment_size: 144
    .language:       OpenCL C
    .language_version:
      - 2
      - 0
    .max_flat_workgroup_size: 256
    .name:           _ZN7rocprim17ROCPRIM_400000_NS6detail17trampoline_kernelINS0_13select_configILj256ELj13ELNS0_17block_load_methodE3ELS4_3ELS4_3ELNS0_20block_scan_algorithmE0ELj4294967295EEENS1_25partition_config_selectorILNS1_17partition_subalgoE3EjNS0_10empty_typeEbEEZZNS1_14partition_implILS8_3ELb0ES6_jNS0_17counting_iteratorIjlEEPS9_SE_NS0_5tupleIJPjSE_EEENSF_IJSE_SE_EEES9_SG_JZNS1_25segmented_radix_sort_implINS0_14default_configELb0EPKfPfPKlPlN2at6native12_GLOBAL__N_18offset_tEEE10hipError_tPvRmT1_PNSt15iterator_traitsISY_E10value_typeET2_T3_PNSZ_IS14_E10value_typeET4_jRbjT5_S1A_jjP12ihipStream_tbEUljE_EEESV_SW_SX_S14_S18_S1A_T6_T7_T9_mT8_S1C_bDpT10_ENKUlT_T0_E_clISt17integral_constantIbLb0EES1P_EEDaS1K_S1L_EUlS1K_E_NS1_11comp_targetILNS1_3genE8ELNS1_11target_archE1030ELNS1_3gpuE2ELNS1_3repE0EEENS1_30default_config_static_selectorELNS0_4arch9wavefront6targetE1EEEvSY_
    .private_segment_fixed_size: 0
    .sgpr_count:     4
    .sgpr_spill_count: 0
    .symbol:         _ZN7rocprim17ROCPRIM_400000_NS6detail17trampoline_kernelINS0_13select_configILj256ELj13ELNS0_17block_load_methodE3ELS4_3ELS4_3ELNS0_20block_scan_algorithmE0ELj4294967295EEENS1_25partition_config_selectorILNS1_17partition_subalgoE3EjNS0_10empty_typeEbEEZZNS1_14partition_implILS8_3ELb0ES6_jNS0_17counting_iteratorIjlEEPS9_SE_NS0_5tupleIJPjSE_EEENSF_IJSE_SE_EEES9_SG_JZNS1_25segmented_radix_sort_implINS0_14default_configELb0EPKfPfPKlPlN2at6native12_GLOBAL__N_18offset_tEEE10hipError_tPvRmT1_PNSt15iterator_traitsISY_E10value_typeET2_T3_PNSZ_IS14_E10value_typeET4_jRbjT5_S1A_jjP12ihipStream_tbEUljE_EEESV_SW_SX_S14_S18_S1A_T6_T7_T9_mT8_S1C_bDpT10_ENKUlT_T0_E_clISt17integral_constantIbLb0EES1P_EEDaS1K_S1L_EUlS1K_E_NS1_11comp_targetILNS1_3genE8ELNS1_11target_archE1030ELNS1_3gpuE2ELNS1_3repE0EEENS1_30default_config_static_selectorELNS0_4arch9wavefront6targetE1EEEvSY_.kd
    .uniform_work_group_size: 1
    .uses_dynamic_stack: false
    .vgpr_count:     0
    .vgpr_spill_count: 0
    .wavefront_size: 64
  - .args:
      - .offset:         0
        .size:           152
        .value_kind:     by_value
    .group_segment_fixed_size: 0
    .kernarg_segment_align: 8
    .kernarg_segment_size: 152
    .language:       OpenCL C
    .language_version:
      - 2
      - 0
    .max_flat_workgroup_size: 256
    .name:           _ZN7rocprim17ROCPRIM_400000_NS6detail17trampoline_kernelINS0_13select_configILj256ELj13ELNS0_17block_load_methodE3ELS4_3ELS4_3ELNS0_20block_scan_algorithmE0ELj4294967295EEENS1_25partition_config_selectorILNS1_17partition_subalgoE3EjNS0_10empty_typeEbEEZZNS1_14partition_implILS8_3ELb0ES6_jNS0_17counting_iteratorIjlEEPS9_SE_NS0_5tupleIJPjSE_EEENSF_IJSE_SE_EEES9_SG_JZNS1_25segmented_radix_sort_implINS0_14default_configELb0EPKfPfPKlPlN2at6native12_GLOBAL__N_18offset_tEEE10hipError_tPvRmT1_PNSt15iterator_traitsISY_E10value_typeET2_T3_PNSZ_IS14_E10value_typeET4_jRbjT5_S1A_jjP12ihipStream_tbEUljE_EEESV_SW_SX_S14_S18_S1A_T6_T7_T9_mT8_S1C_bDpT10_ENKUlT_T0_E_clISt17integral_constantIbLb1EES1P_EEDaS1K_S1L_EUlS1K_E_NS1_11comp_targetILNS1_3genE0ELNS1_11target_archE4294967295ELNS1_3gpuE0ELNS1_3repE0EEENS1_30default_config_static_selectorELNS0_4arch9wavefront6targetE1EEEvSY_
    .private_segment_fixed_size: 0
    .sgpr_count:     4
    .sgpr_spill_count: 0
    .symbol:         _ZN7rocprim17ROCPRIM_400000_NS6detail17trampoline_kernelINS0_13select_configILj256ELj13ELNS0_17block_load_methodE3ELS4_3ELS4_3ELNS0_20block_scan_algorithmE0ELj4294967295EEENS1_25partition_config_selectorILNS1_17partition_subalgoE3EjNS0_10empty_typeEbEEZZNS1_14partition_implILS8_3ELb0ES6_jNS0_17counting_iteratorIjlEEPS9_SE_NS0_5tupleIJPjSE_EEENSF_IJSE_SE_EEES9_SG_JZNS1_25segmented_radix_sort_implINS0_14default_configELb0EPKfPfPKlPlN2at6native12_GLOBAL__N_18offset_tEEE10hipError_tPvRmT1_PNSt15iterator_traitsISY_E10value_typeET2_T3_PNSZ_IS14_E10value_typeET4_jRbjT5_S1A_jjP12ihipStream_tbEUljE_EEESV_SW_SX_S14_S18_S1A_T6_T7_T9_mT8_S1C_bDpT10_ENKUlT_T0_E_clISt17integral_constantIbLb1EES1P_EEDaS1K_S1L_EUlS1K_E_NS1_11comp_targetILNS1_3genE0ELNS1_11target_archE4294967295ELNS1_3gpuE0ELNS1_3repE0EEENS1_30default_config_static_selectorELNS0_4arch9wavefront6targetE1EEEvSY_.kd
    .uniform_work_group_size: 1
    .uses_dynamic_stack: false
    .vgpr_count:     0
    .vgpr_spill_count: 0
    .wavefront_size: 64
  - .args:
      - .offset:         0
        .size:           152
        .value_kind:     by_value
    .group_segment_fixed_size: 0
    .kernarg_segment_align: 8
    .kernarg_segment_size: 152
    .language:       OpenCL C
    .language_version:
      - 2
      - 0
    .max_flat_workgroup_size: 256
    .name:           _ZN7rocprim17ROCPRIM_400000_NS6detail17trampoline_kernelINS0_13select_configILj256ELj13ELNS0_17block_load_methodE3ELS4_3ELS4_3ELNS0_20block_scan_algorithmE0ELj4294967295EEENS1_25partition_config_selectorILNS1_17partition_subalgoE3EjNS0_10empty_typeEbEEZZNS1_14partition_implILS8_3ELb0ES6_jNS0_17counting_iteratorIjlEEPS9_SE_NS0_5tupleIJPjSE_EEENSF_IJSE_SE_EEES9_SG_JZNS1_25segmented_radix_sort_implINS0_14default_configELb0EPKfPfPKlPlN2at6native12_GLOBAL__N_18offset_tEEE10hipError_tPvRmT1_PNSt15iterator_traitsISY_E10value_typeET2_T3_PNSZ_IS14_E10value_typeET4_jRbjT5_S1A_jjP12ihipStream_tbEUljE_EEESV_SW_SX_S14_S18_S1A_T6_T7_T9_mT8_S1C_bDpT10_ENKUlT_T0_E_clISt17integral_constantIbLb1EES1P_EEDaS1K_S1L_EUlS1K_E_NS1_11comp_targetILNS1_3genE5ELNS1_11target_archE942ELNS1_3gpuE9ELNS1_3repE0EEENS1_30default_config_static_selectorELNS0_4arch9wavefront6targetE1EEEvSY_
    .private_segment_fixed_size: 0
    .sgpr_count:     4
    .sgpr_spill_count: 0
    .symbol:         _ZN7rocprim17ROCPRIM_400000_NS6detail17trampoline_kernelINS0_13select_configILj256ELj13ELNS0_17block_load_methodE3ELS4_3ELS4_3ELNS0_20block_scan_algorithmE0ELj4294967295EEENS1_25partition_config_selectorILNS1_17partition_subalgoE3EjNS0_10empty_typeEbEEZZNS1_14partition_implILS8_3ELb0ES6_jNS0_17counting_iteratorIjlEEPS9_SE_NS0_5tupleIJPjSE_EEENSF_IJSE_SE_EEES9_SG_JZNS1_25segmented_radix_sort_implINS0_14default_configELb0EPKfPfPKlPlN2at6native12_GLOBAL__N_18offset_tEEE10hipError_tPvRmT1_PNSt15iterator_traitsISY_E10value_typeET2_T3_PNSZ_IS14_E10value_typeET4_jRbjT5_S1A_jjP12ihipStream_tbEUljE_EEESV_SW_SX_S14_S18_S1A_T6_T7_T9_mT8_S1C_bDpT10_ENKUlT_T0_E_clISt17integral_constantIbLb1EES1P_EEDaS1K_S1L_EUlS1K_E_NS1_11comp_targetILNS1_3genE5ELNS1_11target_archE942ELNS1_3gpuE9ELNS1_3repE0EEENS1_30default_config_static_selectorELNS0_4arch9wavefront6targetE1EEEvSY_.kd
    .uniform_work_group_size: 1
    .uses_dynamic_stack: false
    .vgpr_count:     0
    .vgpr_spill_count: 0
    .wavefront_size: 64
  - .args:
      - .offset:         0
        .size:           152
        .value_kind:     by_value
    .group_segment_fixed_size: 0
    .kernarg_segment_align: 8
    .kernarg_segment_size: 152
    .language:       OpenCL C
    .language_version:
      - 2
      - 0
    .max_flat_workgroup_size: 256
    .name:           _ZN7rocprim17ROCPRIM_400000_NS6detail17trampoline_kernelINS0_13select_configILj256ELj13ELNS0_17block_load_methodE3ELS4_3ELS4_3ELNS0_20block_scan_algorithmE0ELj4294967295EEENS1_25partition_config_selectorILNS1_17partition_subalgoE3EjNS0_10empty_typeEbEEZZNS1_14partition_implILS8_3ELb0ES6_jNS0_17counting_iteratorIjlEEPS9_SE_NS0_5tupleIJPjSE_EEENSF_IJSE_SE_EEES9_SG_JZNS1_25segmented_radix_sort_implINS0_14default_configELb0EPKfPfPKlPlN2at6native12_GLOBAL__N_18offset_tEEE10hipError_tPvRmT1_PNSt15iterator_traitsISY_E10value_typeET2_T3_PNSZ_IS14_E10value_typeET4_jRbjT5_S1A_jjP12ihipStream_tbEUljE_EEESV_SW_SX_S14_S18_S1A_T6_T7_T9_mT8_S1C_bDpT10_ENKUlT_T0_E_clISt17integral_constantIbLb1EES1P_EEDaS1K_S1L_EUlS1K_E_NS1_11comp_targetILNS1_3genE4ELNS1_11target_archE910ELNS1_3gpuE8ELNS1_3repE0EEENS1_30default_config_static_selectorELNS0_4arch9wavefront6targetE1EEEvSY_
    .private_segment_fixed_size: 0
    .sgpr_count:     4
    .sgpr_spill_count: 0
    .symbol:         _ZN7rocprim17ROCPRIM_400000_NS6detail17trampoline_kernelINS0_13select_configILj256ELj13ELNS0_17block_load_methodE3ELS4_3ELS4_3ELNS0_20block_scan_algorithmE0ELj4294967295EEENS1_25partition_config_selectorILNS1_17partition_subalgoE3EjNS0_10empty_typeEbEEZZNS1_14partition_implILS8_3ELb0ES6_jNS0_17counting_iteratorIjlEEPS9_SE_NS0_5tupleIJPjSE_EEENSF_IJSE_SE_EEES9_SG_JZNS1_25segmented_radix_sort_implINS0_14default_configELb0EPKfPfPKlPlN2at6native12_GLOBAL__N_18offset_tEEE10hipError_tPvRmT1_PNSt15iterator_traitsISY_E10value_typeET2_T3_PNSZ_IS14_E10value_typeET4_jRbjT5_S1A_jjP12ihipStream_tbEUljE_EEESV_SW_SX_S14_S18_S1A_T6_T7_T9_mT8_S1C_bDpT10_ENKUlT_T0_E_clISt17integral_constantIbLb1EES1P_EEDaS1K_S1L_EUlS1K_E_NS1_11comp_targetILNS1_3genE4ELNS1_11target_archE910ELNS1_3gpuE8ELNS1_3repE0EEENS1_30default_config_static_selectorELNS0_4arch9wavefront6targetE1EEEvSY_.kd
    .uniform_work_group_size: 1
    .uses_dynamic_stack: false
    .vgpr_count:     0
    .vgpr_spill_count: 0
    .wavefront_size: 64
  - .args:
      - .offset:         0
        .size:           152
        .value_kind:     by_value
    .group_segment_fixed_size: 0
    .kernarg_segment_align: 8
    .kernarg_segment_size: 152
    .language:       OpenCL C
    .language_version:
      - 2
      - 0
    .max_flat_workgroup_size: 256
    .name:           _ZN7rocprim17ROCPRIM_400000_NS6detail17trampoline_kernelINS0_13select_configILj256ELj13ELNS0_17block_load_methodE3ELS4_3ELS4_3ELNS0_20block_scan_algorithmE0ELj4294967295EEENS1_25partition_config_selectorILNS1_17partition_subalgoE3EjNS0_10empty_typeEbEEZZNS1_14partition_implILS8_3ELb0ES6_jNS0_17counting_iteratorIjlEEPS9_SE_NS0_5tupleIJPjSE_EEENSF_IJSE_SE_EEES9_SG_JZNS1_25segmented_radix_sort_implINS0_14default_configELb0EPKfPfPKlPlN2at6native12_GLOBAL__N_18offset_tEEE10hipError_tPvRmT1_PNSt15iterator_traitsISY_E10value_typeET2_T3_PNSZ_IS14_E10value_typeET4_jRbjT5_S1A_jjP12ihipStream_tbEUljE_EEESV_SW_SX_S14_S18_S1A_T6_T7_T9_mT8_S1C_bDpT10_ENKUlT_T0_E_clISt17integral_constantIbLb1EES1P_EEDaS1K_S1L_EUlS1K_E_NS1_11comp_targetILNS1_3genE3ELNS1_11target_archE908ELNS1_3gpuE7ELNS1_3repE0EEENS1_30default_config_static_selectorELNS0_4arch9wavefront6targetE1EEEvSY_
    .private_segment_fixed_size: 0
    .sgpr_count:     4
    .sgpr_spill_count: 0
    .symbol:         _ZN7rocprim17ROCPRIM_400000_NS6detail17trampoline_kernelINS0_13select_configILj256ELj13ELNS0_17block_load_methodE3ELS4_3ELS4_3ELNS0_20block_scan_algorithmE0ELj4294967295EEENS1_25partition_config_selectorILNS1_17partition_subalgoE3EjNS0_10empty_typeEbEEZZNS1_14partition_implILS8_3ELb0ES6_jNS0_17counting_iteratorIjlEEPS9_SE_NS0_5tupleIJPjSE_EEENSF_IJSE_SE_EEES9_SG_JZNS1_25segmented_radix_sort_implINS0_14default_configELb0EPKfPfPKlPlN2at6native12_GLOBAL__N_18offset_tEEE10hipError_tPvRmT1_PNSt15iterator_traitsISY_E10value_typeET2_T3_PNSZ_IS14_E10value_typeET4_jRbjT5_S1A_jjP12ihipStream_tbEUljE_EEESV_SW_SX_S14_S18_S1A_T6_T7_T9_mT8_S1C_bDpT10_ENKUlT_T0_E_clISt17integral_constantIbLb1EES1P_EEDaS1K_S1L_EUlS1K_E_NS1_11comp_targetILNS1_3genE3ELNS1_11target_archE908ELNS1_3gpuE7ELNS1_3repE0EEENS1_30default_config_static_selectorELNS0_4arch9wavefront6targetE1EEEvSY_.kd
    .uniform_work_group_size: 1
    .uses_dynamic_stack: false
    .vgpr_count:     0
    .vgpr_spill_count: 0
    .wavefront_size: 64
  - .args:
      - .offset:         0
        .size:           152
        .value_kind:     by_value
    .group_segment_fixed_size: 0
    .kernarg_segment_align: 8
    .kernarg_segment_size: 152
    .language:       OpenCL C
    .language_version:
      - 2
      - 0
    .max_flat_workgroup_size: 256
    .name:           _ZN7rocprim17ROCPRIM_400000_NS6detail17trampoline_kernelINS0_13select_configILj256ELj13ELNS0_17block_load_methodE3ELS4_3ELS4_3ELNS0_20block_scan_algorithmE0ELj4294967295EEENS1_25partition_config_selectorILNS1_17partition_subalgoE3EjNS0_10empty_typeEbEEZZNS1_14partition_implILS8_3ELb0ES6_jNS0_17counting_iteratorIjlEEPS9_SE_NS0_5tupleIJPjSE_EEENSF_IJSE_SE_EEES9_SG_JZNS1_25segmented_radix_sort_implINS0_14default_configELb0EPKfPfPKlPlN2at6native12_GLOBAL__N_18offset_tEEE10hipError_tPvRmT1_PNSt15iterator_traitsISY_E10value_typeET2_T3_PNSZ_IS14_E10value_typeET4_jRbjT5_S1A_jjP12ihipStream_tbEUljE_EEESV_SW_SX_S14_S18_S1A_T6_T7_T9_mT8_S1C_bDpT10_ENKUlT_T0_E_clISt17integral_constantIbLb1EES1P_EEDaS1K_S1L_EUlS1K_E_NS1_11comp_targetILNS1_3genE2ELNS1_11target_archE906ELNS1_3gpuE6ELNS1_3repE0EEENS1_30default_config_static_selectorELNS0_4arch9wavefront6targetE1EEEvSY_
    .private_segment_fixed_size: 0
    .sgpr_count:     4
    .sgpr_spill_count: 0
    .symbol:         _ZN7rocprim17ROCPRIM_400000_NS6detail17trampoline_kernelINS0_13select_configILj256ELj13ELNS0_17block_load_methodE3ELS4_3ELS4_3ELNS0_20block_scan_algorithmE0ELj4294967295EEENS1_25partition_config_selectorILNS1_17partition_subalgoE3EjNS0_10empty_typeEbEEZZNS1_14partition_implILS8_3ELb0ES6_jNS0_17counting_iteratorIjlEEPS9_SE_NS0_5tupleIJPjSE_EEENSF_IJSE_SE_EEES9_SG_JZNS1_25segmented_radix_sort_implINS0_14default_configELb0EPKfPfPKlPlN2at6native12_GLOBAL__N_18offset_tEEE10hipError_tPvRmT1_PNSt15iterator_traitsISY_E10value_typeET2_T3_PNSZ_IS14_E10value_typeET4_jRbjT5_S1A_jjP12ihipStream_tbEUljE_EEESV_SW_SX_S14_S18_S1A_T6_T7_T9_mT8_S1C_bDpT10_ENKUlT_T0_E_clISt17integral_constantIbLb1EES1P_EEDaS1K_S1L_EUlS1K_E_NS1_11comp_targetILNS1_3genE2ELNS1_11target_archE906ELNS1_3gpuE6ELNS1_3repE0EEENS1_30default_config_static_selectorELNS0_4arch9wavefront6targetE1EEEvSY_.kd
    .uniform_work_group_size: 1
    .uses_dynamic_stack: false
    .vgpr_count:     0
    .vgpr_spill_count: 0
    .wavefront_size: 64
  - .args:
      - .offset:         0
        .size:           152
        .value_kind:     by_value
    .group_segment_fixed_size: 0
    .kernarg_segment_align: 8
    .kernarg_segment_size: 152
    .language:       OpenCL C
    .language_version:
      - 2
      - 0
    .max_flat_workgroup_size: 256
    .name:           _ZN7rocprim17ROCPRIM_400000_NS6detail17trampoline_kernelINS0_13select_configILj256ELj13ELNS0_17block_load_methodE3ELS4_3ELS4_3ELNS0_20block_scan_algorithmE0ELj4294967295EEENS1_25partition_config_selectorILNS1_17partition_subalgoE3EjNS0_10empty_typeEbEEZZNS1_14partition_implILS8_3ELb0ES6_jNS0_17counting_iteratorIjlEEPS9_SE_NS0_5tupleIJPjSE_EEENSF_IJSE_SE_EEES9_SG_JZNS1_25segmented_radix_sort_implINS0_14default_configELb0EPKfPfPKlPlN2at6native12_GLOBAL__N_18offset_tEEE10hipError_tPvRmT1_PNSt15iterator_traitsISY_E10value_typeET2_T3_PNSZ_IS14_E10value_typeET4_jRbjT5_S1A_jjP12ihipStream_tbEUljE_EEESV_SW_SX_S14_S18_S1A_T6_T7_T9_mT8_S1C_bDpT10_ENKUlT_T0_E_clISt17integral_constantIbLb1EES1P_EEDaS1K_S1L_EUlS1K_E_NS1_11comp_targetILNS1_3genE10ELNS1_11target_archE1200ELNS1_3gpuE4ELNS1_3repE0EEENS1_30default_config_static_selectorELNS0_4arch9wavefront6targetE1EEEvSY_
    .private_segment_fixed_size: 0
    .sgpr_count:     4
    .sgpr_spill_count: 0
    .symbol:         _ZN7rocprim17ROCPRIM_400000_NS6detail17trampoline_kernelINS0_13select_configILj256ELj13ELNS0_17block_load_methodE3ELS4_3ELS4_3ELNS0_20block_scan_algorithmE0ELj4294967295EEENS1_25partition_config_selectorILNS1_17partition_subalgoE3EjNS0_10empty_typeEbEEZZNS1_14partition_implILS8_3ELb0ES6_jNS0_17counting_iteratorIjlEEPS9_SE_NS0_5tupleIJPjSE_EEENSF_IJSE_SE_EEES9_SG_JZNS1_25segmented_radix_sort_implINS0_14default_configELb0EPKfPfPKlPlN2at6native12_GLOBAL__N_18offset_tEEE10hipError_tPvRmT1_PNSt15iterator_traitsISY_E10value_typeET2_T3_PNSZ_IS14_E10value_typeET4_jRbjT5_S1A_jjP12ihipStream_tbEUljE_EEESV_SW_SX_S14_S18_S1A_T6_T7_T9_mT8_S1C_bDpT10_ENKUlT_T0_E_clISt17integral_constantIbLb1EES1P_EEDaS1K_S1L_EUlS1K_E_NS1_11comp_targetILNS1_3genE10ELNS1_11target_archE1200ELNS1_3gpuE4ELNS1_3repE0EEENS1_30default_config_static_selectorELNS0_4arch9wavefront6targetE1EEEvSY_.kd
    .uniform_work_group_size: 1
    .uses_dynamic_stack: false
    .vgpr_count:     0
    .vgpr_spill_count: 0
    .wavefront_size: 64
  - .args:
      - .offset:         0
        .size:           152
        .value_kind:     by_value
    .group_segment_fixed_size: 0
    .kernarg_segment_align: 8
    .kernarg_segment_size: 152
    .language:       OpenCL C
    .language_version:
      - 2
      - 0
    .max_flat_workgroup_size: 256
    .name:           _ZN7rocprim17ROCPRIM_400000_NS6detail17trampoline_kernelINS0_13select_configILj256ELj13ELNS0_17block_load_methodE3ELS4_3ELS4_3ELNS0_20block_scan_algorithmE0ELj4294967295EEENS1_25partition_config_selectorILNS1_17partition_subalgoE3EjNS0_10empty_typeEbEEZZNS1_14partition_implILS8_3ELb0ES6_jNS0_17counting_iteratorIjlEEPS9_SE_NS0_5tupleIJPjSE_EEENSF_IJSE_SE_EEES9_SG_JZNS1_25segmented_radix_sort_implINS0_14default_configELb0EPKfPfPKlPlN2at6native12_GLOBAL__N_18offset_tEEE10hipError_tPvRmT1_PNSt15iterator_traitsISY_E10value_typeET2_T3_PNSZ_IS14_E10value_typeET4_jRbjT5_S1A_jjP12ihipStream_tbEUljE_EEESV_SW_SX_S14_S18_S1A_T6_T7_T9_mT8_S1C_bDpT10_ENKUlT_T0_E_clISt17integral_constantIbLb1EES1P_EEDaS1K_S1L_EUlS1K_E_NS1_11comp_targetILNS1_3genE9ELNS1_11target_archE1100ELNS1_3gpuE3ELNS1_3repE0EEENS1_30default_config_static_selectorELNS0_4arch9wavefront6targetE1EEEvSY_
    .private_segment_fixed_size: 0
    .sgpr_count:     4
    .sgpr_spill_count: 0
    .symbol:         _ZN7rocprim17ROCPRIM_400000_NS6detail17trampoline_kernelINS0_13select_configILj256ELj13ELNS0_17block_load_methodE3ELS4_3ELS4_3ELNS0_20block_scan_algorithmE0ELj4294967295EEENS1_25partition_config_selectorILNS1_17partition_subalgoE3EjNS0_10empty_typeEbEEZZNS1_14partition_implILS8_3ELb0ES6_jNS0_17counting_iteratorIjlEEPS9_SE_NS0_5tupleIJPjSE_EEENSF_IJSE_SE_EEES9_SG_JZNS1_25segmented_radix_sort_implINS0_14default_configELb0EPKfPfPKlPlN2at6native12_GLOBAL__N_18offset_tEEE10hipError_tPvRmT1_PNSt15iterator_traitsISY_E10value_typeET2_T3_PNSZ_IS14_E10value_typeET4_jRbjT5_S1A_jjP12ihipStream_tbEUljE_EEESV_SW_SX_S14_S18_S1A_T6_T7_T9_mT8_S1C_bDpT10_ENKUlT_T0_E_clISt17integral_constantIbLb1EES1P_EEDaS1K_S1L_EUlS1K_E_NS1_11comp_targetILNS1_3genE9ELNS1_11target_archE1100ELNS1_3gpuE3ELNS1_3repE0EEENS1_30default_config_static_selectorELNS0_4arch9wavefront6targetE1EEEvSY_.kd
    .uniform_work_group_size: 1
    .uses_dynamic_stack: false
    .vgpr_count:     0
    .vgpr_spill_count: 0
    .wavefront_size: 64
  - .args:
      - .offset:         0
        .size:           152
        .value_kind:     by_value
    .group_segment_fixed_size: 0
    .kernarg_segment_align: 8
    .kernarg_segment_size: 152
    .language:       OpenCL C
    .language_version:
      - 2
      - 0
    .max_flat_workgroup_size: 256
    .name:           _ZN7rocprim17ROCPRIM_400000_NS6detail17trampoline_kernelINS0_13select_configILj256ELj13ELNS0_17block_load_methodE3ELS4_3ELS4_3ELNS0_20block_scan_algorithmE0ELj4294967295EEENS1_25partition_config_selectorILNS1_17partition_subalgoE3EjNS0_10empty_typeEbEEZZNS1_14partition_implILS8_3ELb0ES6_jNS0_17counting_iteratorIjlEEPS9_SE_NS0_5tupleIJPjSE_EEENSF_IJSE_SE_EEES9_SG_JZNS1_25segmented_radix_sort_implINS0_14default_configELb0EPKfPfPKlPlN2at6native12_GLOBAL__N_18offset_tEEE10hipError_tPvRmT1_PNSt15iterator_traitsISY_E10value_typeET2_T3_PNSZ_IS14_E10value_typeET4_jRbjT5_S1A_jjP12ihipStream_tbEUljE_EEESV_SW_SX_S14_S18_S1A_T6_T7_T9_mT8_S1C_bDpT10_ENKUlT_T0_E_clISt17integral_constantIbLb1EES1P_EEDaS1K_S1L_EUlS1K_E_NS1_11comp_targetILNS1_3genE8ELNS1_11target_archE1030ELNS1_3gpuE2ELNS1_3repE0EEENS1_30default_config_static_selectorELNS0_4arch9wavefront6targetE1EEEvSY_
    .private_segment_fixed_size: 0
    .sgpr_count:     4
    .sgpr_spill_count: 0
    .symbol:         _ZN7rocprim17ROCPRIM_400000_NS6detail17trampoline_kernelINS0_13select_configILj256ELj13ELNS0_17block_load_methodE3ELS4_3ELS4_3ELNS0_20block_scan_algorithmE0ELj4294967295EEENS1_25partition_config_selectorILNS1_17partition_subalgoE3EjNS0_10empty_typeEbEEZZNS1_14partition_implILS8_3ELb0ES6_jNS0_17counting_iteratorIjlEEPS9_SE_NS0_5tupleIJPjSE_EEENSF_IJSE_SE_EEES9_SG_JZNS1_25segmented_radix_sort_implINS0_14default_configELb0EPKfPfPKlPlN2at6native12_GLOBAL__N_18offset_tEEE10hipError_tPvRmT1_PNSt15iterator_traitsISY_E10value_typeET2_T3_PNSZ_IS14_E10value_typeET4_jRbjT5_S1A_jjP12ihipStream_tbEUljE_EEESV_SW_SX_S14_S18_S1A_T6_T7_T9_mT8_S1C_bDpT10_ENKUlT_T0_E_clISt17integral_constantIbLb1EES1P_EEDaS1K_S1L_EUlS1K_E_NS1_11comp_targetILNS1_3genE8ELNS1_11target_archE1030ELNS1_3gpuE2ELNS1_3repE0EEENS1_30default_config_static_selectorELNS0_4arch9wavefront6targetE1EEEvSY_.kd
    .uniform_work_group_size: 1
    .uses_dynamic_stack: false
    .vgpr_count:     0
    .vgpr_spill_count: 0
    .wavefront_size: 64
  - .args:
      - .offset:         0
        .size:           144
        .value_kind:     by_value
    .group_segment_fixed_size: 0
    .kernarg_segment_align: 8
    .kernarg_segment_size: 144
    .language:       OpenCL C
    .language_version:
      - 2
      - 0
    .max_flat_workgroup_size: 256
    .name:           _ZN7rocprim17ROCPRIM_400000_NS6detail17trampoline_kernelINS0_13select_configILj256ELj13ELNS0_17block_load_methodE3ELS4_3ELS4_3ELNS0_20block_scan_algorithmE0ELj4294967295EEENS1_25partition_config_selectorILNS1_17partition_subalgoE3EjNS0_10empty_typeEbEEZZNS1_14partition_implILS8_3ELb0ES6_jNS0_17counting_iteratorIjlEEPS9_SE_NS0_5tupleIJPjSE_EEENSF_IJSE_SE_EEES9_SG_JZNS1_25segmented_radix_sort_implINS0_14default_configELb0EPKfPfPKlPlN2at6native12_GLOBAL__N_18offset_tEEE10hipError_tPvRmT1_PNSt15iterator_traitsISY_E10value_typeET2_T3_PNSZ_IS14_E10value_typeET4_jRbjT5_S1A_jjP12ihipStream_tbEUljE_EEESV_SW_SX_S14_S18_S1A_T6_T7_T9_mT8_S1C_bDpT10_ENKUlT_T0_E_clISt17integral_constantIbLb1EES1O_IbLb0EEEEDaS1K_S1L_EUlS1K_E_NS1_11comp_targetILNS1_3genE0ELNS1_11target_archE4294967295ELNS1_3gpuE0ELNS1_3repE0EEENS1_30default_config_static_selectorELNS0_4arch9wavefront6targetE1EEEvSY_
    .private_segment_fixed_size: 0
    .sgpr_count:     4
    .sgpr_spill_count: 0
    .symbol:         _ZN7rocprim17ROCPRIM_400000_NS6detail17trampoline_kernelINS0_13select_configILj256ELj13ELNS0_17block_load_methodE3ELS4_3ELS4_3ELNS0_20block_scan_algorithmE0ELj4294967295EEENS1_25partition_config_selectorILNS1_17partition_subalgoE3EjNS0_10empty_typeEbEEZZNS1_14partition_implILS8_3ELb0ES6_jNS0_17counting_iteratorIjlEEPS9_SE_NS0_5tupleIJPjSE_EEENSF_IJSE_SE_EEES9_SG_JZNS1_25segmented_radix_sort_implINS0_14default_configELb0EPKfPfPKlPlN2at6native12_GLOBAL__N_18offset_tEEE10hipError_tPvRmT1_PNSt15iterator_traitsISY_E10value_typeET2_T3_PNSZ_IS14_E10value_typeET4_jRbjT5_S1A_jjP12ihipStream_tbEUljE_EEESV_SW_SX_S14_S18_S1A_T6_T7_T9_mT8_S1C_bDpT10_ENKUlT_T0_E_clISt17integral_constantIbLb1EES1O_IbLb0EEEEDaS1K_S1L_EUlS1K_E_NS1_11comp_targetILNS1_3genE0ELNS1_11target_archE4294967295ELNS1_3gpuE0ELNS1_3repE0EEENS1_30default_config_static_selectorELNS0_4arch9wavefront6targetE1EEEvSY_.kd
    .uniform_work_group_size: 1
    .uses_dynamic_stack: false
    .vgpr_count:     0
    .vgpr_spill_count: 0
    .wavefront_size: 64
  - .args:
      - .offset:         0
        .size:           144
        .value_kind:     by_value
    .group_segment_fixed_size: 0
    .kernarg_segment_align: 8
    .kernarg_segment_size: 144
    .language:       OpenCL C
    .language_version:
      - 2
      - 0
    .max_flat_workgroup_size: 256
    .name:           _ZN7rocprim17ROCPRIM_400000_NS6detail17trampoline_kernelINS0_13select_configILj256ELj13ELNS0_17block_load_methodE3ELS4_3ELS4_3ELNS0_20block_scan_algorithmE0ELj4294967295EEENS1_25partition_config_selectorILNS1_17partition_subalgoE3EjNS0_10empty_typeEbEEZZNS1_14partition_implILS8_3ELb0ES6_jNS0_17counting_iteratorIjlEEPS9_SE_NS0_5tupleIJPjSE_EEENSF_IJSE_SE_EEES9_SG_JZNS1_25segmented_radix_sort_implINS0_14default_configELb0EPKfPfPKlPlN2at6native12_GLOBAL__N_18offset_tEEE10hipError_tPvRmT1_PNSt15iterator_traitsISY_E10value_typeET2_T3_PNSZ_IS14_E10value_typeET4_jRbjT5_S1A_jjP12ihipStream_tbEUljE_EEESV_SW_SX_S14_S18_S1A_T6_T7_T9_mT8_S1C_bDpT10_ENKUlT_T0_E_clISt17integral_constantIbLb1EES1O_IbLb0EEEEDaS1K_S1L_EUlS1K_E_NS1_11comp_targetILNS1_3genE5ELNS1_11target_archE942ELNS1_3gpuE9ELNS1_3repE0EEENS1_30default_config_static_selectorELNS0_4arch9wavefront6targetE1EEEvSY_
    .private_segment_fixed_size: 0
    .sgpr_count:     4
    .sgpr_spill_count: 0
    .symbol:         _ZN7rocprim17ROCPRIM_400000_NS6detail17trampoline_kernelINS0_13select_configILj256ELj13ELNS0_17block_load_methodE3ELS4_3ELS4_3ELNS0_20block_scan_algorithmE0ELj4294967295EEENS1_25partition_config_selectorILNS1_17partition_subalgoE3EjNS0_10empty_typeEbEEZZNS1_14partition_implILS8_3ELb0ES6_jNS0_17counting_iteratorIjlEEPS9_SE_NS0_5tupleIJPjSE_EEENSF_IJSE_SE_EEES9_SG_JZNS1_25segmented_radix_sort_implINS0_14default_configELb0EPKfPfPKlPlN2at6native12_GLOBAL__N_18offset_tEEE10hipError_tPvRmT1_PNSt15iterator_traitsISY_E10value_typeET2_T3_PNSZ_IS14_E10value_typeET4_jRbjT5_S1A_jjP12ihipStream_tbEUljE_EEESV_SW_SX_S14_S18_S1A_T6_T7_T9_mT8_S1C_bDpT10_ENKUlT_T0_E_clISt17integral_constantIbLb1EES1O_IbLb0EEEEDaS1K_S1L_EUlS1K_E_NS1_11comp_targetILNS1_3genE5ELNS1_11target_archE942ELNS1_3gpuE9ELNS1_3repE0EEENS1_30default_config_static_selectorELNS0_4arch9wavefront6targetE1EEEvSY_.kd
    .uniform_work_group_size: 1
    .uses_dynamic_stack: false
    .vgpr_count:     0
    .vgpr_spill_count: 0
    .wavefront_size: 64
  - .args:
      - .offset:         0
        .size:           144
        .value_kind:     by_value
    .group_segment_fixed_size: 0
    .kernarg_segment_align: 8
    .kernarg_segment_size: 144
    .language:       OpenCL C
    .language_version:
      - 2
      - 0
    .max_flat_workgroup_size: 256
    .name:           _ZN7rocprim17ROCPRIM_400000_NS6detail17trampoline_kernelINS0_13select_configILj256ELj13ELNS0_17block_load_methodE3ELS4_3ELS4_3ELNS0_20block_scan_algorithmE0ELj4294967295EEENS1_25partition_config_selectorILNS1_17partition_subalgoE3EjNS0_10empty_typeEbEEZZNS1_14partition_implILS8_3ELb0ES6_jNS0_17counting_iteratorIjlEEPS9_SE_NS0_5tupleIJPjSE_EEENSF_IJSE_SE_EEES9_SG_JZNS1_25segmented_radix_sort_implINS0_14default_configELb0EPKfPfPKlPlN2at6native12_GLOBAL__N_18offset_tEEE10hipError_tPvRmT1_PNSt15iterator_traitsISY_E10value_typeET2_T3_PNSZ_IS14_E10value_typeET4_jRbjT5_S1A_jjP12ihipStream_tbEUljE_EEESV_SW_SX_S14_S18_S1A_T6_T7_T9_mT8_S1C_bDpT10_ENKUlT_T0_E_clISt17integral_constantIbLb1EES1O_IbLb0EEEEDaS1K_S1L_EUlS1K_E_NS1_11comp_targetILNS1_3genE4ELNS1_11target_archE910ELNS1_3gpuE8ELNS1_3repE0EEENS1_30default_config_static_selectorELNS0_4arch9wavefront6targetE1EEEvSY_
    .private_segment_fixed_size: 0
    .sgpr_count:     4
    .sgpr_spill_count: 0
    .symbol:         _ZN7rocprim17ROCPRIM_400000_NS6detail17trampoline_kernelINS0_13select_configILj256ELj13ELNS0_17block_load_methodE3ELS4_3ELS4_3ELNS0_20block_scan_algorithmE0ELj4294967295EEENS1_25partition_config_selectorILNS1_17partition_subalgoE3EjNS0_10empty_typeEbEEZZNS1_14partition_implILS8_3ELb0ES6_jNS0_17counting_iteratorIjlEEPS9_SE_NS0_5tupleIJPjSE_EEENSF_IJSE_SE_EEES9_SG_JZNS1_25segmented_radix_sort_implINS0_14default_configELb0EPKfPfPKlPlN2at6native12_GLOBAL__N_18offset_tEEE10hipError_tPvRmT1_PNSt15iterator_traitsISY_E10value_typeET2_T3_PNSZ_IS14_E10value_typeET4_jRbjT5_S1A_jjP12ihipStream_tbEUljE_EEESV_SW_SX_S14_S18_S1A_T6_T7_T9_mT8_S1C_bDpT10_ENKUlT_T0_E_clISt17integral_constantIbLb1EES1O_IbLb0EEEEDaS1K_S1L_EUlS1K_E_NS1_11comp_targetILNS1_3genE4ELNS1_11target_archE910ELNS1_3gpuE8ELNS1_3repE0EEENS1_30default_config_static_selectorELNS0_4arch9wavefront6targetE1EEEvSY_.kd
    .uniform_work_group_size: 1
    .uses_dynamic_stack: false
    .vgpr_count:     0
    .vgpr_spill_count: 0
    .wavefront_size: 64
  - .args:
      - .offset:         0
        .size:           144
        .value_kind:     by_value
    .group_segment_fixed_size: 0
    .kernarg_segment_align: 8
    .kernarg_segment_size: 144
    .language:       OpenCL C
    .language_version:
      - 2
      - 0
    .max_flat_workgroup_size: 256
    .name:           _ZN7rocprim17ROCPRIM_400000_NS6detail17trampoline_kernelINS0_13select_configILj256ELj13ELNS0_17block_load_methodE3ELS4_3ELS4_3ELNS0_20block_scan_algorithmE0ELj4294967295EEENS1_25partition_config_selectorILNS1_17partition_subalgoE3EjNS0_10empty_typeEbEEZZNS1_14partition_implILS8_3ELb0ES6_jNS0_17counting_iteratorIjlEEPS9_SE_NS0_5tupleIJPjSE_EEENSF_IJSE_SE_EEES9_SG_JZNS1_25segmented_radix_sort_implINS0_14default_configELb0EPKfPfPKlPlN2at6native12_GLOBAL__N_18offset_tEEE10hipError_tPvRmT1_PNSt15iterator_traitsISY_E10value_typeET2_T3_PNSZ_IS14_E10value_typeET4_jRbjT5_S1A_jjP12ihipStream_tbEUljE_EEESV_SW_SX_S14_S18_S1A_T6_T7_T9_mT8_S1C_bDpT10_ENKUlT_T0_E_clISt17integral_constantIbLb1EES1O_IbLb0EEEEDaS1K_S1L_EUlS1K_E_NS1_11comp_targetILNS1_3genE3ELNS1_11target_archE908ELNS1_3gpuE7ELNS1_3repE0EEENS1_30default_config_static_selectorELNS0_4arch9wavefront6targetE1EEEvSY_
    .private_segment_fixed_size: 0
    .sgpr_count:     4
    .sgpr_spill_count: 0
    .symbol:         _ZN7rocprim17ROCPRIM_400000_NS6detail17trampoline_kernelINS0_13select_configILj256ELj13ELNS0_17block_load_methodE3ELS4_3ELS4_3ELNS0_20block_scan_algorithmE0ELj4294967295EEENS1_25partition_config_selectorILNS1_17partition_subalgoE3EjNS0_10empty_typeEbEEZZNS1_14partition_implILS8_3ELb0ES6_jNS0_17counting_iteratorIjlEEPS9_SE_NS0_5tupleIJPjSE_EEENSF_IJSE_SE_EEES9_SG_JZNS1_25segmented_radix_sort_implINS0_14default_configELb0EPKfPfPKlPlN2at6native12_GLOBAL__N_18offset_tEEE10hipError_tPvRmT1_PNSt15iterator_traitsISY_E10value_typeET2_T3_PNSZ_IS14_E10value_typeET4_jRbjT5_S1A_jjP12ihipStream_tbEUljE_EEESV_SW_SX_S14_S18_S1A_T6_T7_T9_mT8_S1C_bDpT10_ENKUlT_T0_E_clISt17integral_constantIbLb1EES1O_IbLb0EEEEDaS1K_S1L_EUlS1K_E_NS1_11comp_targetILNS1_3genE3ELNS1_11target_archE908ELNS1_3gpuE7ELNS1_3repE0EEENS1_30default_config_static_selectorELNS0_4arch9wavefront6targetE1EEEvSY_.kd
    .uniform_work_group_size: 1
    .uses_dynamic_stack: false
    .vgpr_count:     0
    .vgpr_spill_count: 0
    .wavefront_size: 64
  - .args:
      - .offset:         0
        .size:           144
        .value_kind:     by_value
    .group_segment_fixed_size: 0
    .kernarg_segment_align: 8
    .kernarg_segment_size: 144
    .language:       OpenCL C
    .language_version:
      - 2
      - 0
    .max_flat_workgroup_size: 256
    .name:           _ZN7rocprim17ROCPRIM_400000_NS6detail17trampoline_kernelINS0_13select_configILj256ELj13ELNS0_17block_load_methodE3ELS4_3ELS4_3ELNS0_20block_scan_algorithmE0ELj4294967295EEENS1_25partition_config_selectorILNS1_17partition_subalgoE3EjNS0_10empty_typeEbEEZZNS1_14partition_implILS8_3ELb0ES6_jNS0_17counting_iteratorIjlEEPS9_SE_NS0_5tupleIJPjSE_EEENSF_IJSE_SE_EEES9_SG_JZNS1_25segmented_radix_sort_implINS0_14default_configELb0EPKfPfPKlPlN2at6native12_GLOBAL__N_18offset_tEEE10hipError_tPvRmT1_PNSt15iterator_traitsISY_E10value_typeET2_T3_PNSZ_IS14_E10value_typeET4_jRbjT5_S1A_jjP12ihipStream_tbEUljE_EEESV_SW_SX_S14_S18_S1A_T6_T7_T9_mT8_S1C_bDpT10_ENKUlT_T0_E_clISt17integral_constantIbLb1EES1O_IbLb0EEEEDaS1K_S1L_EUlS1K_E_NS1_11comp_targetILNS1_3genE2ELNS1_11target_archE906ELNS1_3gpuE6ELNS1_3repE0EEENS1_30default_config_static_selectorELNS0_4arch9wavefront6targetE1EEEvSY_
    .private_segment_fixed_size: 0
    .sgpr_count:     4
    .sgpr_spill_count: 0
    .symbol:         _ZN7rocprim17ROCPRIM_400000_NS6detail17trampoline_kernelINS0_13select_configILj256ELj13ELNS0_17block_load_methodE3ELS4_3ELS4_3ELNS0_20block_scan_algorithmE0ELj4294967295EEENS1_25partition_config_selectorILNS1_17partition_subalgoE3EjNS0_10empty_typeEbEEZZNS1_14partition_implILS8_3ELb0ES6_jNS0_17counting_iteratorIjlEEPS9_SE_NS0_5tupleIJPjSE_EEENSF_IJSE_SE_EEES9_SG_JZNS1_25segmented_radix_sort_implINS0_14default_configELb0EPKfPfPKlPlN2at6native12_GLOBAL__N_18offset_tEEE10hipError_tPvRmT1_PNSt15iterator_traitsISY_E10value_typeET2_T3_PNSZ_IS14_E10value_typeET4_jRbjT5_S1A_jjP12ihipStream_tbEUljE_EEESV_SW_SX_S14_S18_S1A_T6_T7_T9_mT8_S1C_bDpT10_ENKUlT_T0_E_clISt17integral_constantIbLb1EES1O_IbLb0EEEEDaS1K_S1L_EUlS1K_E_NS1_11comp_targetILNS1_3genE2ELNS1_11target_archE906ELNS1_3gpuE6ELNS1_3repE0EEENS1_30default_config_static_selectorELNS0_4arch9wavefront6targetE1EEEvSY_.kd
    .uniform_work_group_size: 1
    .uses_dynamic_stack: false
    .vgpr_count:     0
    .vgpr_spill_count: 0
    .wavefront_size: 64
  - .args:
      - .offset:         0
        .size:           144
        .value_kind:     by_value
    .group_segment_fixed_size: 0
    .kernarg_segment_align: 8
    .kernarg_segment_size: 144
    .language:       OpenCL C
    .language_version:
      - 2
      - 0
    .max_flat_workgroup_size: 256
    .name:           _ZN7rocprim17ROCPRIM_400000_NS6detail17trampoline_kernelINS0_13select_configILj256ELj13ELNS0_17block_load_methodE3ELS4_3ELS4_3ELNS0_20block_scan_algorithmE0ELj4294967295EEENS1_25partition_config_selectorILNS1_17partition_subalgoE3EjNS0_10empty_typeEbEEZZNS1_14partition_implILS8_3ELb0ES6_jNS0_17counting_iteratorIjlEEPS9_SE_NS0_5tupleIJPjSE_EEENSF_IJSE_SE_EEES9_SG_JZNS1_25segmented_radix_sort_implINS0_14default_configELb0EPKfPfPKlPlN2at6native12_GLOBAL__N_18offset_tEEE10hipError_tPvRmT1_PNSt15iterator_traitsISY_E10value_typeET2_T3_PNSZ_IS14_E10value_typeET4_jRbjT5_S1A_jjP12ihipStream_tbEUljE_EEESV_SW_SX_S14_S18_S1A_T6_T7_T9_mT8_S1C_bDpT10_ENKUlT_T0_E_clISt17integral_constantIbLb1EES1O_IbLb0EEEEDaS1K_S1L_EUlS1K_E_NS1_11comp_targetILNS1_3genE10ELNS1_11target_archE1200ELNS1_3gpuE4ELNS1_3repE0EEENS1_30default_config_static_selectorELNS0_4arch9wavefront6targetE1EEEvSY_
    .private_segment_fixed_size: 0
    .sgpr_count:     4
    .sgpr_spill_count: 0
    .symbol:         _ZN7rocprim17ROCPRIM_400000_NS6detail17trampoline_kernelINS0_13select_configILj256ELj13ELNS0_17block_load_methodE3ELS4_3ELS4_3ELNS0_20block_scan_algorithmE0ELj4294967295EEENS1_25partition_config_selectorILNS1_17partition_subalgoE3EjNS0_10empty_typeEbEEZZNS1_14partition_implILS8_3ELb0ES6_jNS0_17counting_iteratorIjlEEPS9_SE_NS0_5tupleIJPjSE_EEENSF_IJSE_SE_EEES9_SG_JZNS1_25segmented_radix_sort_implINS0_14default_configELb0EPKfPfPKlPlN2at6native12_GLOBAL__N_18offset_tEEE10hipError_tPvRmT1_PNSt15iterator_traitsISY_E10value_typeET2_T3_PNSZ_IS14_E10value_typeET4_jRbjT5_S1A_jjP12ihipStream_tbEUljE_EEESV_SW_SX_S14_S18_S1A_T6_T7_T9_mT8_S1C_bDpT10_ENKUlT_T0_E_clISt17integral_constantIbLb1EES1O_IbLb0EEEEDaS1K_S1L_EUlS1K_E_NS1_11comp_targetILNS1_3genE10ELNS1_11target_archE1200ELNS1_3gpuE4ELNS1_3repE0EEENS1_30default_config_static_selectorELNS0_4arch9wavefront6targetE1EEEvSY_.kd
    .uniform_work_group_size: 1
    .uses_dynamic_stack: false
    .vgpr_count:     0
    .vgpr_spill_count: 0
    .wavefront_size: 64
  - .args:
      - .offset:         0
        .size:           144
        .value_kind:     by_value
    .group_segment_fixed_size: 0
    .kernarg_segment_align: 8
    .kernarg_segment_size: 144
    .language:       OpenCL C
    .language_version:
      - 2
      - 0
    .max_flat_workgroup_size: 256
    .name:           _ZN7rocprim17ROCPRIM_400000_NS6detail17trampoline_kernelINS0_13select_configILj256ELj13ELNS0_17block_load_methodE3ELS4_3ELS4_3ELNS0_20block_scan_algorithmE0ELj4294967295EEENS1_25partition_config_selectorILNS1_17partition_subalgoE3EjNS0_10empty_typeEbEEZZNS1_14partition_implILS8_3ELb0ES6_jNS0_17counting_iteratorIjlEEPS9_SE_NS0_5tupleIJPjSE_EEENSF_IJSE_SE_EEES9_SG_JZNS1_25segmented_radix_sort_implINS0_14default_configELb0EPKfPfPKlPlN2at6native12_GLOBAL__N_18offset_tEEE10hipError_tPvRmT1_PNSt15iterator_traitsISY_E10value_typeET2_T3_PNSZ_IS14_E10value_typeET4_jRbjT5_S1A_jjP12ihipStream_tbEUljE_EEESV_SW_SX_S14_S18_S1A_T6_T7_T9_mT8_S1C_bDpT10_ENKUlT_T0_E_clISt17integral_constantIbLb1EES1O_IbLb0EEEEDaS1K_S1L_EUlS1K_E_NS1_11comp_targetILNS1_3genE9ELNS1_11target_archE1100ELNS1_3gpuE3ELNS1_3repE0EEENS1_30default_config_static_selectorELNS0_4arch9wavefront6targetE1EEEvSY_
    .private_segment_fixed_size: 0
    .sgpr_count:     4
    .sgpr_spill_count: 0
    .symbol:         _ZN7rocprim17ROCPRIM_400000_NS6detail17trampoline_kernelINS0_13select_configILj256ELj13ELNS0_17block_load_methodE3ELS4_3ELS4_3ELNS0_20block_scan_algorithmE0ELj4294967295EEENS1_25partition_config_selectorILNS1_17partition_subalgoE3EjNS0_10empty_typeEbEEZZNS1_14partition_implILS8_3ELb0ES6_jNS0_17counting_iteratorIjlEEPS9_SE_NS0_5tupleIJPjSE_EEENSF_IJSE_SE_EEES9_SG_JZNS1_25segmented_radix_sort_implINS0_14default_configELb0EPKfPfPKlPlN2at6native12_GLOBAL__N_18offset_tEEE10hipError_tPvRmT1_PNSt15iterator_traitsISY_E10value_typeET2_T3_PNSZ_IS14_E10value_typeET4_jRbjT5_S1A_jjP12ihipStream_tbEUljE_EEESV_SW_SX_S14_S18_S1A_T6_T7_T9_mT8_S1C_bDpT10_ENKUlT_T0_E_clISt17integral_constantIbLb1EES1O_IbLb0EEEEDaS1K_S1L_EUlS1K_E_NS1_11comp_targetILNS1_3genE9ELNS1_11target_archE1100ELNS1_3gpuE3ELNS1_3repE0EEENS1_30default_config_static_selectorELNS0_4arch9wavefront6targetE1EEEvSY_.kd
    .uniform_work_group_size: 1
    .uses_dynamic_stack: false
    .vgpr_count:     0
    .vgpr_spill_count: 0
    .wavefront_size: 64
  - .args:
      - .offset:         0
        .size:           144
        .value_kind:     by_value
    .group_segment_fixed_size: 0
    .kernarg_segment_align: 8
    .kernarg_segment_size: 144
    .language:       OpenCL C
    .language_version:
      - 2
      - 0
    .max_flat_workgroup_size: 256
    .name:           _ZN7rocprim17ROCPRIM_400000_NS6detail17trampoline_kernelINS0_13select_configILj256ELj13ELNS0_17block_load_methodE3ELS4_3ELS4_3ELNS0_20block_scan_algorithmE0ELj4294967295EEENS1_25partition_config_selectorILNS1_17partition_subalgoE3EjNS0_10empty_typeEbEEZZNS1_14partition_implILS8_3ELb0ES6_jNS0_17counting_iteratorIjlEEPS9_SE_NS0_5tupleIJPjSE_EEENSF_IJSE_SE_EEES9_SG_JZNS1_25segmented_radix_sort_implINS0_14default_configELb0EPKfPfPKlPlN2at6native12_GLOBAL__N_18offset_tEEE10hipError_tPvRmT1_PNSt15iterator_traitsISY_E10value_typeET2_T3_PNSZ_IS14_E10value_typeET4_jRbjT5_S1A_jjP12ihipStream_tbEUljE_EEESV_SW_SX_S14_S18_S1A_T6_T7_T9_mT8_S1C_bDpT10_ENKUlT_T0_E_clISt17integral_constantIbLb1EES1O_IbLb0EEEEDaS1K_S1L_EUlS1K_E_NS1_11comp_targetILNS1_3genE8ELNS1_11target_archE1030ELNS1_3gpuE2ELNS1_3repE0EEENS1_30default_config_static_selectorELNS0_4arch9wavefront6targetE1EEEvSY_
    .private_segment_fixed_size: 0
    .sgpr_count:     4
    .sgpr_spill_count: 0
    .symbol:         _ZN7rocprim17ROCPRIM_400000_NS6detail17trampoline_kernelINS0_13select_configILj256ELj13ELNS0_17block_load_methodE3ELS4_3ELS4_3ELNS0_20block_scan_algorithmE0ELj4294967295EEENS1_25partition_config_selectorILNS1_17partition_subalgoE3EjNS0_10empty_typeEbEEZZNS1_14partition_implILS8_3ELb0ES6_jNS0_17counting_iteratorIjlEEPS9_SE_NS0_5tupleIJPjSE_EEENSF_IJSE_SE_EEES9_SG_JZNS1_25segmented_radix_sort_implINS0_14default_configELb0EPKfPfPKlPlN2at6native12_GLOBAL__N_18offset_tEEE10hipError_tPvRmT1_PNSt15iterator_traitsISY_E10value_typeET2_T3_PNSZ_IS14_E10value_typeET4_jRbjT5_S1A_jjP12ihipStream_tbEUljE_EEESV_SW_SX_S14_S18_S1A_T6_T7_T9_mT8_S1C_bDpT10_ENKUlT_T0_E_clISt17integral_constantIbLb1EES1O_IbLb0EEEEDaS1K_S1L_EUlS1K_E_NS1_11comp_targetILNS1_3genE8ELNS1_11target_archE1030ELNS1_3gpuE2ELNS1_3repE0EEENS1_30default_config_static_selectorELNS0_4arch9wavefront6targetE1EEEvSY_.kd
    .uniform_work_group_size: 1
    .uses_dynamic_stack: false
    .vgpr_count:     0
    .vgpr_spill_count: 0
    .wavefront_size: 64
  - .args:
      - .offset:         0
        .size:           152
        .value_kind:     by_value
    .group_segment_fixed_size: 0
    .kernarg_segment_align: 8
    .kernarg_segment_size: 152
    .language:       OpenCL C
    .language_version:
      - 2
      - 0
    .max_flat_workgroup_size: 256
    .name:           _ZN7rocprim17ROCPRIM_400000_NS6detail17trampoline_kernelINS0_13select_configILj256ELj13ELNS0_17block_load_methodE3ELS4_3ELS4_3ELNS0_20block_scan_algorithmE0ELj4294967295EEENS1_25partition_config_selectorILNS1_17partition_subalgoE3EjNS0_10empty_typeEbEEZZNS1_14partition_implILS8_3ELb0ES6_jNS0_17counting_iteratorIjlEEPS9_SE_NS0_5tupleIJPjSE_EEENSF_IJSE_SE_EEES9_SG_JZNS1_25segmented_radix_sort_implINS0_14default_configELb0EPKfPfPKlPlN2at6native12_GLOBAL__N_18offset_tEEE10hipError_tPvRmT1_PNSt15iterator_traitsISY_E10value_typeET2_T3_PNSZ_IS14_E10value_typeET4_jRbjT5_S1A_jjP12ihipStream_tbEUljE_EEESV_SW_SX_S14_S18_S1A_T6_T7_T9_mT8_S1C_bDpT10_ENKUlT_T0_E_clISt17integral_constantIbLb0EES1O_IbLb1EEEEDaS1K_S1L_EUlS1K_E_NS1_11comp_targetILNS1_3genE0ELNS1_11target_archE4294967295ELNS1_3gpuE0ELNS1_3repE0EEENS1_30default_config_static_selectorELNS0_4arch9wavefront6targetE1EEEvSY_
    .private_segment_fixed_size: 0
    .sgpr_count:     4
    .sgpr_spill_count: 0
    .symbol:         _ZN7rocprim17ROCPRIM_400000_NS6detail17trampoline_kernelINS0_13select_configILj256ELj13ELNS0_17block_load_methodE3ELS4_3ELS4_3ELNS0_20block_scan_algorithmE0ELj4294967295EEENS1_25partition_config_selectorILNS1_17partition_subalgoE3EjNS0_10empty_typeEbEEZZNS1_14partition_implILS8_3ELb0ES6_jNS0_17counting_iteratorIjlEEPS9_SE_NS0_5tupleIJPjSE_EEENSF_IJSE_SE_EEES9_SG_JZNS1_25segmented_radix_sort_implINS0_14default_configELb0EPKfPfPKlPlN2at6native12_GLOBAL__N_18offset_tEEE10hipError_tPvRmT1_PNSt15iterator_traitsISY_E10value_typeET2_T3_PNSZ_IS14_E10value_typeET4_jRbjT5_S1A_jjP12ihipStream_tbEUljE_EEESV_SW_SX_S14_S18_S1A_T6_T7_T9_mT8_S1C_bDpT10_ENKUlT_T0_E_clISt17integral_constantIbLb0EES1O_IbLb1EEEEDaS1K_S1L_EUlS1K_E_NS1_11comp_targetILNS1_3genE0ELNS1_11target_archE4294967295ELNS1_3gpuE0ELNS1_3repE0EEENS1_30default_config_static_selectorELNS0_4arch9wavefront6targetE1EEEvSY_.kd
    .uniform_work_group_size: 1
    .uses_dynamic_stack: false
    .vgpr_count:     0
    .vgpr_spill_count: 0
    .wavefront_size: 64
  - .args:
      - .offset:         0
        .size:           152
        .value_kind:     by_value
    .group_segment_fixed_size: 0
    .kernarg_segment_align: 8
    .kernarg_segment_size: 152
    .language:       OpenCL C
    .language_version:
      - 2
      - 0
    .max_flat_workgroup_size: 256
    .name:           _ZN7rocprim17ROCPRIM_400000_NS6detail17trampoline_kernelINS0_13select_configILj256ELj13ELNS0_17block_load_methodE3ELS4_3ELS4_3ELNS0_20block_scan_algorithmE0ELj4294967295EEENS1_25partition_config_selectorILNS1_17partition_subalgoE3EjNS0_10empty_typeEbEEZZNS1_14partition_implILS8_3ELb0ES6_jNS0_17counting_iteratorIjlEEPS9_SE_NS0_5tupleIJPjSE_EEENSF_IJSE_SE_EEES9_SG_JZNS1_25segmented_radix_sort_implINS0_14default_configELb0EPKfPfPKlPlN2at6native12_GLOBAL__N_18offset_tEEE10hipError_tPvRmT1_PNSt15iterator_traitsISY_E10value_typeET2_T3_PNSZ_IS14_E10value_typeET4_jRbjT5_S1A_jjP12ihipStream_tbEUljE_EEESV_SW_SX_S14_S18_S1A_T6_T7_T9_mT8_S1C_bDpT10_ENKUlT_T0_E_clISt17integral_constantIbLb0EES1O_IbLb1EEEEDaS1K_S1L_EUlS1K_E_NS1_11comp_targetILNS1_3genE5ELNS1_11target_archE942ELNS1_3gpuE9ELNS1_3repE0EEENS1_30default_config_static_selectorELNS0_4arch9wavefront6targetE1EEEvSY_
    .private_segment_fixed_size: 0
    .sgpr_count:     4
    .sgpr_spill_count: 0
    .symbol:         _ZN7rocprim17ROCPRIM_400000_NS6detail17trampoline_kernelINS0_13select_configILj256ELj13ELNS0_17block_load_methodE3ELS4_3ELS4_3ELNS0_20block_scan_algorithmE0ELj4294967295EEENS1_25partition_config_selectorILNS1_17partition_subalgoE3EjNS0_10empty_typeEbEEZZNS1_14partition_implILS8_3ELb0ES6_jNS0_17counting_iteratorIjlEEPS9_SE_NS0_5tupleIJPjSE_EEENSF_IJSE_SE_EEES9_SG_JZNS1_25segmented_radix_sort_implINS0_14default_configELb0EPKfPfPKlPlN2at6native12_GLOBAL__N_18offset_tEEE10hipError_tPvRmT1_PNSt15iterator_traitsISY_E10value_typeET2_T3_PNSZ_IS14_E10value_typeET4_jRbjT5_S1A_jjP12ihipStream_tbEUljE_EEESV_SW_SX_S14_S18_S1A_T6_T7_T9_mT8_S1C_bDpT10_ENKUlT_T0_E_clISt17integral_constantIbLb0EES1O_IbLb1EEEEDaS1K_S1L_EUlS1K_E_NS1_11comp_targetILNS1_3genE5ELNS1_11target_archE942ELNS1_3gpuE9ELNS1_3repE0EEENS1_30default_config_static_selectorELNS0_4arch9wavefront6targetE1EEEvSY_.kd
    .uniform_work_group_size: 1
    .uses_dynamic_stack: false
    .vgpr_count:     0
    .vgpr_spill_count: 0
    .wavefront_size: 64
  - .args:
      - .offset:         0
        .size:           152
        .value_kind:     by_value
    .group_segment_fixed_size: 0
    .kernarg_segment_align: 8
    .kernarg_segment_size: 152
    .language:       OpenCL C
    .language_version:
      - 2
      - 0
    .max_flat_workgroup_size: 256
    .name:           _ZN7rocprim17ROCPRIM_400000_NS6detail17trampoline_kernelINS0_13select_configILj256ELj13ELNS0_17block_load_methodE3ELS4_3ELS4_3ELNS0_20block_scan_algorithmE0ELj4294967295EEENS1_25partition_config_selectorILNS1_17partition_subalgoE3EjNS0_10empty_typeEbEEZZNS1_14partition_implILS8_3ELb0ES6_jNS0_17counting_iteratorIjlEEPS9_SE_NS0_5tupleIJPjSE_EEENSF_IJSE_SE_EEES9_SG_JZNS1_25segmented_radix_sort_implINS0_14default_configELb0EPKfPfPKlPlN2at6native12_GLOBAL__N_18offset_tEEE10hipError_tPvRmT1_PNSt15iterator_traitsISY_E10value_typeET2_T3_PNSZ_IS14_E10value_typeET4_jRbjT5_S1A_jjP12ihipStream_tbEUljE_EEESV_SW_SX_S14_S18_S1A_T6_T7_T9_mT8_S1C_bDpT10_ENKUlT_T0_E_clISt17integral_constantIbLb0EES1O_IbLb1EEEEDaS1K_S1L_EUlS1K_E_NS1_11comp_targetILNS1_3genE4ELNS1_11target_archE910ELNS1_3gpuE8ELNS1_3repE0EEENS1_30default_config_static_selectorELNS0_4arch9wavefront6targetE1EEEvSY_
    .private_segment_fixed_size: 0
    .sgpr_count:     4
    .sgpr_spill_count: 0
    .symbol:         _ZN7rocprim17ROCPRIM_400000_NS6detail17trampoline_kernelINS0_13select_configILj256ELj13ELNS0_17block_load_methodE3ELS4_3ELS4_3ELNS0_20block_scan_algorithmE0ELj4294967295EEENS1_25partition_config_selectorILNS1_17partition_subalgoE3EjNS0_10empty_typeEbEEZZNS1_14partition_implILS8_3ELb0ES6_jNS0_17counting_iteratorIjlEEPS9_SE_NS0_5tupleIJPjSE_EEENSF_IJSE_SE_EEES9_SG_JZNS1_25segmented_radix_sort_implINS0_14default_configELb0EPKfPfPKlPlN2at6native12_GLOBAL__N_18offset_tEEE10hipError_tPvRmT1_PNSt15iterator_traitsISY_E10value_typeET2_T3_PNSZ_IS14_E10value_typeET4_jRbjT5_S1A_jjP12ihipStream_tbEUljE_EEESV_SW_SX_S14_S18_S1A_T6_T7_T9_mT8_S1C_bDpT10_ENKUlT_T0_E_clISt17integral_constantIbLb0EES1O_IbLb1EEEEDaS1K_S1L_EUlS1K_E_NS1_11comp_targetILNS1_3genE4ELNS1_11target_archE910ELNS1_3gpuE8ELNS1_3repE0EEENS1_30default_config_static_selectorELNS0_4arch9wavefront6targetE1EEEvSY_.kd
    .uniform_work_group_size: 1
    .uses_dynamic_stack: false
    .vgpr_count:     0
    .vgpr_spill_count: 0
    .wavefront_size: 64
  - .args:
      - .offset:         0
        .size:           152
        .value_kind:     by_value
    .group_segment_fixed_size: 0
    .kernarg_segment_align: 8
    .kernarg_segment_size: 152
    .language:       OpenCL C
    .language_version:
      - 2
      - 0
    .max_flat_workgroup_size: 256
    .name:           _ZN7rocprim17ROCPRIM_400000_NS6detail17trampoline_kernelINS0_13select_configILj256ELj13ELNS0_17block_load_methodE3ELS4_3ELS4_3ELNS0_20block_scan_algorithmE0ELj4294967295EEENS1_25partition_config_selectorILNS1_17partition_subalgoE3EjNS0_10empty_typeEbEEZZNS1_14partition_implILS8_3ELb0ES6_jNS0_17counting_iteratorIjlEEPS9_SE_NS0_5tupleIJPjSE_EEENSF_IJSE_SE_EEES9_SG_JZNS1_25segmented_radix_sort_implINS0_14default_configELb0EPKfPfPKlPlN2at6native12_GLOBAL__N_18offset_tEEE10hipError_tPvRmT1_PNSt15iterator_traitsISY_E10value_typeET2_T3_PNSZ_IS14_E10value_typeET4_jRbjT5_S1A_jjP12ihipStream_tbEUljE_EEESV_SW_SX_S14_S18_S1A_T6_T7_T9_mT8_S1C_bDpT10_ENKUlT_T0_E_clISt17integral_constantIbLb0EES1O_IbLb1EEEEDaS1K_S1L_EUlS1K_E_NS1_11comp_targetILNS1_3genE3ELNS1_11target_archE908ELNS1_3gpuE7ELNS1_3repE0EEENS1_30default_config_static_selectorELNS0_4arch9wavefront6targetE1EEEvSY_
    .private_segment_fixed_size: 0
    .sgpr_count:     4
    .sgpr_spill_count: 0
    .symbol:         _ZN7rocprim17ROCPRIM_400000_NS6detail17trampoline_kernelINS0_13select_configILj256ELj13ELNS0_17block_load_methodE3ELS4_3ELS4_3ELNS0_20block_scan_algorithmE0ELj4294967295EEENS1_25partition_config_selectorILNS1_17partition_subalgoE3EjNS0_10empty_typeEbEEZZNS1_14partition_implILS8_3ELb0ES6_jNS0_17counting_iteratorIjlEEPS9_SE_NS0_5tupleIJPjSE_EEENSF_IJSE_SE_EEES9_SG_JZNS1_25segmented_radix_sort_implINS0_14default_configELb0EPKfPfPKlPlN2at6native12_GLOBAL__N_18offset_tEEE10hipError_tPvRmT1_PNSt15iterator_traitsISY_E10value_typeET2_T3_PNSZ_IS14_E10value_typeET4_jRbjT5_S1A_jjP12ihipStream_tbEUljE_EEESV_SW_SX_S14_S18_S1A_T6_T7_T9_mT8_S1C_bDpT10_ENKUlT_T0_E_clISt17integral_constantIbLb0EES1O_IbLb1EEEEDaS1K_S1L_EUlS1K_E_NS1_11comp_targetILNS1_3genE3ELNS1_11target_archE908ELNS1_3gpuE7ELNS1_3repE0EEENS1_30default_config_static_selectorELNS0_4arch9wavefront6targetE1EEEvSY_.kd
    .uniform_work_group_size: 1
    .uses_dynamic_stack: false
    .vgpr_count:     0
    .vgpr_spill_count: 0
    .wavefront_size: 64
  - .args:
      - .offset:         0
        .size:           152
        .value_kind:     by_value
    .group_segment_fixed_size: 13320
    .kernarg_segment_align: 8
    .kernarg_segment_size: 152
    .language:       OpenCL C
    .language_version:
      - 2
      - 0
    .max_flat_workgroup_size: 256
    .name:           _ZN7rocprim17ROCPRIM_400000_NS6detail17trampoline_kernelINS0_13select_configILj256ELj13ELNS0_17block_load_methodE3ELS4_3ELS4_3ELNS0_20block_scan_algorithmE0ELj4294967295EEENS1_25partition_config_selectorILNS1_17partition_subalgoE3EjNS0_10empty_typeEbEEZZNS1_14partition_implILS8_3ELb0ES6_jNS0_17counting_iteratorIjlEEPS9_SE_NS0_5tupleIJPjSE_EEENSF_IJSE_SE_EEES9_SG_JZNS1_25segmented_radix_sort_implINS0_14default_configELb0EPKfPfPKlPlN2at6native12_GLOBAL__N_18offset_tEEE10hipError_tPvRmT1_PNSt15iterator_traitsISY_E10value_typeET2_T3_PNSZ_IS14_E10value_typeET4_jRbjT5_S1A_jjP12ihipStream_tbEUljE_EEESV_SW_SX_S14_S18_S1A_T6_T7_T9_mT8_S1C_bDpT10_ENKUlT_T0_E_clISt17integral_constantIbLb0EES1O_IbLb1EEEEDaS1K_S1L_EUlS1K_E_NS1_11comp_targetILNS1_3genE2ELNS1_11target_archE906ELNS1_3gpuE6ELNS1_3repE0EEENS1_30default_config_static_selectorELNS0_4arch9wavefront6targetE1EEEvSY_
    .private_segment_fixed_size: 0
    .sgpr_count:     50
    .sgpr_spill_count: 0
    .symbol:         _ZN7rocprim17ROCPRIM_400000_NS6detail17trampoline_kernelINS0_13select_configILj256ELj13ELNS0_17block_load_methodE3ELS4_3ELS4_3ELNS0_20block_scan_algorithmE0ELj4294967295EEENS1_25partition_config_selectorILNS1_17partition_subalgoE3EjNS0_10empty_typeEbEEZZNS1_14partition_implILS8_3ELb0ES6_jNS0_17counting_iteratorIjlEEPS9_SE_NS0_5tupleIJPjSE_EEENSF_IJSE_SE_EEES9_SG_JZNS1_25segmented_radix_sort_implINS0_14default_configELb0EPKfPfPKlPlN2at6native12_GLOBAL__N_18offset_tEEE10hipError_tPvRmT1_PNSt15iterator_traitsISY_E10value_typeET2_T3_PNSZ_IS14_E10value_typeET4_jRbjT5_S1A_jjP12ihipStream_tbEUljE_EEESV_SW_SX_S14_S18_S1A_T6_T7_T9_mT8_S1C_bDpT10_ENKUlT_T0_E_clISt17integral_constantIbLb0EES1O_IbLb1EEEEDaS1K_S1L_EUlS1K_E_NS1_11comp_targetILNS1_3genE2ELNS1_11target_archE906ELNS1_3gpuE6ELNS1_3repE0EEENS1_30default_config_static_selectorELNS0_4arch9wavefront6targetE1EEEvSY_.kd
    .uniform_work_group_size: 1
    .uses_dynamic_stack: false
    .vgpr_count:     71
    .vgpr_spill_count: 0
    .wavefront_size: 64
  - .args:
      - .offset:         0
        .size:           152
        .value_kind:     by_value
    .group_segment_fixed_size: 0
    .kernarg_segment_align: 8
    .kernarg_segment_size: 152
    .language:       OpenCL C
    .language_version:
      - 2
      - 0
    .max_flat_workgroup_size: 256
    .name:           _ZN7rocprim17ROCPRIM_400000_NS6detail17trampoline_kernelINS0_13select_configILj256ELj13ELNS0_17block_load_methodE3ELS4_3ELS4_3ELNS0_20block_scan_algorithmE0ELj4294967295EEENS1_25partition_config_selectorILNS1_17partition_subalgoE3EjNS0_10empty_typeEbEEZZNS1_14partition_implILS8_3ELb0ES6_jNS0_17counting_iteratorIjlEEPS9_SE_NS0_5tupleIJPjSE_EEENSF_IJSE_SE_EEES9_SG_JZNS1_25segmented_radix_sort_implINS0_14default_configELb0EPKfPfPKlPlN2at6native12_GLOBAL__N_18offset_tEEE10hipError_tPvRmT1_PNSt15iterator_traitsISY_E10value_typeET2_T3_PNSZ_IS14_E10value_typeET4_jRbjT5_S1A_jjP12ihipStream_tbEUljE_EEESV_SW_SX_S14_S18_S1A_T6_T7_T9_mT8_S1C_bDpT10_ENKUlT_T0_E_clISt17integral_constantIbLb0EES1O_IbLb1EEEEDaS1K_S1L_EUlS1K_E_NS1_11comp_targetILNS1_3genE10ELNS1_11target_archE1200ELNS1_3gpuE4ELNS1_3repE0EEENS1_30default_config_static_selectorELNS0_4arch9wavefront6targetE1EEEvSY_
    .private_segment_fixed_size: 0
    .sgpr_count:     4
    .sgpr_spill_count: 0
    .symbol:         _ZN7rocprim17ROCPRIM_400000_NS6detail17trampoline_kernelINS0_13select_configILj256ELj13ELNS0_17block_load_methodE3ELS4_3ELS4_3ELNS0_20block_scan_algorithmE0ELj4294967295EEENS1_25partition_config_selectorILNS1_17partition_subalgoE3EjNS0_10empty_typeEbEEZZNS1_14partition_implILS8_3ELb0ES6_jNS0_17counting_iteratorIjlEEPS9_SE_NS0_5tupleIJPjSE_EEENSF_IJSE_SE_EEES9_SG_JZNS1_25segmented_radix_sort_implINS0_14default_configELb0EPKfPfPKlPlN2at6native12_GLOBAL__N_18offset_tEEE10hipError_tPvRmT1_PNSt15iterator_traitsISY_E10value_typeET2_T3_PNSZ_IS14_E10value_typeET4_jRbjT5_S1A_jjP12ihipStream_tbEUljE_EEESV_SW_SX_S14_S18_S1A_T6_T7_T9_mT8_S1C_bDpT10_ENKUlT_T0_E_clISt17integral_constantIbLb0EES1O_IbLb1EEEEDaS1K_S1L_EUlS1K_E_NS1_11comp_targetILNS1_3genE10ELNS1_11target_archE1200ELNS1_3gpuE4ELNS1_3repE0EEENS1_30default_config_static_selectorELNS0_4arch9wavefront6targetE1EEEvSY_.kd
    .uniform_work_group_size: 1
    .uses_dynamic_stack: false
    .vgpr_count:     0
    .vgpr_spill_count: 0
    .wavefront_size: 64
  - .args:
      - .offset:         0
        .size:           152
        .value_kind:     by_value
    .group_segment_fixed_size: 0
    .kernarg_segment_align: 8
    .kernarg_segment_size: 152
    .language:       OpenCL C
    .language_version:
      - 2
      - 0
    .max_flat_workgroup_size: 256
    .name:           _ZN7rocprim17ROCPRIM_400000_NS6detail17trampoline_kernelINS0_13select_configILj256ELj13ELNS0_17block_load_methodE3ELS4_3ELS4_3ELNS0_20block_scan_algorithmE0ELj4294967295EEENS1_25partition_config_selectorILNS1_17partition_subalgoE3EjNS0_10empty_typeEbEEZZNS1_14partition_implILS8_3ELb0ES6_jNS0_17counting_iteratorIjlEEPS9_SE_NS0_5tupleIJPjSE_EEENSF_IJSE_SE_EEES9_SG_JZNS1_25segmented_radix_sort_implINS0_14default_configELb0EPKfPfPKlPlN2at6native12_GLOBAL__N_18offset_tEEE10hipError_tPvRmT1_PNSt15iterator_traitsISY_E10value_typeET2_T3_PNSZ_IS14_E10value_typeET4_jRbjT5_S1A_jjP12ihipStream_tbEUljE_EEESV_SW_SX_S14_S18_S1A_T6_T7_T9_mT8_S1C_bDpT10_ENKUlT_T0_E_clISt17integral_constantIbLb0EES1O_IbLb1EEEEDaS1K_S1L_EUlS1K_E_NS1_11comp_targetILNS1_3genE9ELNS1_11target_archE1100ELNS1_3gpuE3ELNS1_3repE0EEENS1_30default_config_static_selectorELNS0_4arch9wavefront6targetE1EEEvSY_
    .private_segment_fixed_size: 0
    .sgpr_count:     4
    .sgpr_spill_count: 0
    .symbol:         _ZN7rocprim17ROCPRIM_400000_NS6detail17trampoline_kernelINS0_13select_configILj256ELj13ELNS0_17block_load_methodE3ELS4_3ELS4_3ELNS0_20block_scan_algorithmE0ELj4294967295EEENS1_25partition_config_selectorILNS1_17partition_subalgoE3EjNS0_10empty_typeEbEEZZNS1_14partition_implILS8_3ELb0ES6_jNS0_17counting_iteratorIjlEEPS9_SE_NS0_5tupleIJPjSE_EEENSF_IJSE_SE_EEES9_SG_JZNS1_25segmented_radix_sort_implINS0_14default_configELb0EPKfPfPKlPlN2at6native12_GLOBAL__N_18offset_tEEE10hipError_tPvRmT1_PNSt15iterator_traitsISY_E10value_typeET2_T3_PNSZ_IS14_E10value_typeET4_jRbjT5_S1A_jjP12ihipStream_tbEUljE_EEESV_SW_SX_S14_S18_S1A_T6_T7_T9_mT8_S1C_bDpT10_ENKUlT_T0_E_clISt17integral_constantIbLb0EES1O_IbLb1EEEEDaS1K_S1L_EUlS1K_E_NS1_11comp_targetILNS1_3genE9ELNS1_11target_archE1100ELNS1_3gpuE3ELNS1_3repE0EEENS1_30default_config_static_selectorELNS0_4arch9wavefront6targetE1EEEvSY_.kd
    .uniform_work_group_size: 1
    .uses_dynamic_stack: false
    .vgpr_count:     0
    .vgpr_spill_count: 0
    .wavefront_size: 64
  - .args:
      - .offset:         0
        .size:           152
        .value_kind:     by_value
    .group_segment_fixed_size: 0
    .kernarg_segment_align: 8
    .kernarg_segment_size: 152
    .language:       OpenCL C
    .language_version:
      - 2
      - 0
    .max_flat_workgroup_size: 256
    .name:           _ZN7rocprim17ROCPRIM_400000_NS6detail17trampoline_kernelINS0_13select_configILj256ELj13ELNS0_17block_load_methodE3ELS4_3ELS4_3ELNS0_20block_scan_algorithmE0ELj4294967295EEENS1_25partition_config_selectorILNS1_17partition_subalgoE3EjNS0_10empty_typeEbEEZZNS1_14partition_implILS8_3ELb0ES6_jNS0_17counting_iteratorIjlEEPS9_SE_NS0_5tupleIJPjSE_EEENSF_IJSE_SE_EEES9_SG_JZNS1_25segmented_radix_sort_implINS0_14default_configELb0EPKfPfPKlPlN2at6native12_GLOBAL__N_18offset_tEEE10hipError_tPvRmT1_PNSt15iterator_traitsISY_E10value_typeET2_T3_PNSZ_IS14_E10value_typeET4_jRbjT5_S1A_jjP12ihipStream_tbEUljE_EEESV_SW_SX_S14_S18_S1A_T6_T7_T9_mT8_S1C_bDpT10_ENKUlT_T0_E_clISt17integral_constantIbLb0EES1O_IbLb1EEEEDaS1K_S1L_EUlS1K_E_NS1_11comp_targetILNS1_3genE8ELNS1_11target_archE1030ELNS1_3gpuE2ELNS1_3repE0EEENS1_30default_config_static_selectorELNS0_4arch9wavefront6targetE1EEEvSY_
    .private_segment_fixed_size: 0
    .sgpr_count:     4
    .sgpr_spill_count: 0
    .symbol:         _ZN7rocprim17ROCPRIM_400000_NS6detail17trampoline_kernelINS0_13select_configILj256ELj13ELNS0_17block_load_methodE3ELS4_3ELS4_3ELNS0_20block_scan_algorithmE0ELj4294967295EEENS1_25partition_config_selectorILNS1_17partition_subalgoE3EjNS0_10empty_typeEbEEZZNS1_14partition_implILS8_3ELb0ES6_jNS0_17counting_iteratorIjlEEPS9_SE_NS0_5tupleIJPjSE_EEENSF_IJSE_SE_EEES9_SG_JZNS1_25segmented_radix_sort_implINS0_14default_configELb0EPKfPfPKlPlN2at6native12_GLOBAL__N_18offset_tEEE10hipError_tPvRmT1_PNSt15iterator_traitsISY_E10value_typeET2_T3_PNSZ_IS14_E10value_typeET4_jRbjT5_S1A_jjP12ihipStream_tbEUljE_EEESV_SW_SX_S14_S18_S1A_T6_T7_T9_mT8_S1C_bDpT10_ENKUlT_T0_E_clISt17integral_constantIbLb0EES1O_IbLb1EEEEDaS1K_S1L_EUlS1K_E_NS1_11comp_targetILNS1_3genE8ELNS1_11target_archE1030ELNS1_3gpuE2ELNS1_3repE0EEENS1_30default_config_static_selectorELNS0_4arch9wavefront6targetE1EEEvSY_.kd
    .uniform_work_group_size: 1
    .uses_dynamic_stack: false
    .vgpr_count:     0
    .vgpr_spill_count: 0
    .wavefront_size: 64
  - .args:
      - .offset:         0
        .size:           96
        .value_kind:     by_value
    .group_segment_fixed_size: 0
    .kernarg_segment_align: 8
    .kernarg_segment_size: 96
    .language:       OpenCL C
    .language_version:
      - 2
      - 0
    .max_flat_workgroup_size: 256
    .name:           _ZN7rocprim17ROCPRIM_400000_NS6detail17trampoline_kernelINS0_14default_configENS1_36segmented_radix_sort_config_selectorIflEEZNS1_25segmented_radix_sort_implIS3_Lb0EPKfPfPKlPlN2at6native12_GLOBAL__N_18offset_tEEE10hipError_tPvRmT1_PNSt15iterator_traitsISK_E10value_typeET2_T3_PNSL_ISQ_E10value_typeET4_jRbjT5_SW_jjP12ihipStream_tbEUlT_E_NS1_11comp_targetILNS1_3genE0ELNS1_11target_archE4294967295ELNS1_3gpuE0ELNS1_3repE0EEENS1_30default_config_static_selectorELNS0_4arch9wavefront6targetE1EEEvSK_
    .private_segment_fixed_size: 0
    .sgpr_count:     4
    .sgpr_spill_count: 0
    .symbol:         _ZN7rocprim17ROCPRIM_400000_NS6detail17trampoline_kernelINS0_14default_configENS1_36segmented_radix_sort_config_selectorIflEEZNS1_25segmented_radix_sort_implIS3_Lb0EPKfPfPKlPlN2at6native12_GLOBAL__N_18offset_tEEE10hipError_tPvRmT1_PNSt15iterator_traitsISK_E10value_typeET2_T3_PNSL_ISQ_E10value_typeET4_jRbjT5_SW_jjP12ihipStream_tbEUlT_E_NS1_11comp_targetILNS1_3genE0ELNS1_11target_archE4294967295ELNS1_3gpuE0ELNS1_3repE0EEENS1_30default_config_static_selectorELNS0_4arch9wavefront6targetE1EEEvSK_.kd
    .uniform_work_group_size: 1
    .uses_dynamic_stack: false
    .vgpr_count:     0
    .vgpr_spill_count: 0
    .wavefront_size: 64
  - .args:
      - .offset:         0
        .size:           96
        .value_kind:     by_value
    .group_segment_fixed_size: 0
    .kernarg_segment_align: 8
    .kernarg_segment_size: 96
    .language:       OpenCL C
    .language_version:
      - 2
      - 0
    .max_flat_workgroup_size: 256
    .name:           _ZN7rocprim17ROCPRIM_400000_NS6detail17trampoline_kernelINS0_14default_configENS1_36segmented_radix_sort_config_selectorIflEEZNS1_25segmented_radix_sort_implIS3_Lb0EPKfPfPKlPlN2at6native12_GLOBAL__N_18offset_tEEE10hipError_tPvRmT1_PNSt15iterator_traitsISK_E10value_typeET2_T3_PNSL_ISQ_E10value_typeET4_jRbjT5_SW_jjP12ihipStream_tbEUlT_E_NS1_11comp_targetILNS1_3genE5ELNS1_11target_archE942ELNS1_3gpuE9ELNS1_3repE0EEENS1_30default_config_static_selectorELNS0_4arch9wavefront6targetE1EEEvSK_
    .private_segment_fixed_size: 0
    .sgpr_count:     4
    .sgpr_spill_count: 0
    .symbol:         _ZN7rocprim17ROCPRIM_400000_NS6detail17trampoline_kernelINS0_14default_configENS1_36segmented_radix_sort_config_selectorIflEEZNS1_25segmented_radix_sort_implIS3_Lb0EPKfPfPKlPlN2at6native12_GLOBAL__N_18offset_tEEE10hipError_tPvRmT1_PNSt15iterator_traitsISK_E10value_typeET2_T3_PNSL_ISQ_E10value_typeET4_jRbjT5_SW_jjP12ihipStream_tbEUlT_E_NS1_11comp_targetILNS1_3genE5ELNS1_11target_archE942ELNS1_3gpuE9ELNS1_3repE0EEENS1_30default_config_static_selectorELNS0_4arch9wavefront6targetE1EEEvSK_.kd
    .uniform_work_group_size: 1
    .uses_dynamic_stack: false
    .vgpr_count:     0
    .vgpr_spill_count: 0
    .wavefront_size: 64
  - .args:
      - .offset:         0
        .size:           96
        .value_kind:     by_value
    .group_segment_fixed_size: 0
    .kernarg_segment_align: 8
    .kernarg_segment_size: 96
    .language:       OpenCL C
    .language_version:
      - 2
      - 0
    .max_flat_workgroup_size: 256
    .name:           _ZN7rocprim17ROCPRIM_400000_NS6detail17trampoline_kernelINS0_14default_configENS1_36segmented_radix_sort_config_selectorIflEEZNS1_25segmented_radix_sort_implIS3_Lb0EPKfPfPKlPlN2at6native12_GLOBAL__N_18offset_tEEE10hipError_tPvRmT1_PNSt15iterator_traitsISK_E10value_typeET2_T3_PNSL_ISQ_E10value_typeET4_jRbjT5_SW_jjP12ihipStream_tbEUlT_E_NS1_11comp_targetILNS1_3genE4ELNS1_11target_archE910ELNS1_3gpuE8ELNS1_3repE0EEENS1_30default_config_static_selectorELNS0_4arch9wavefront6targetE1EEEvSK_
    .private_segment_fixed_size: 0
    .sgpr_count:     4
    .sgpr_spill_count: 0
    .symbol:         _ZN7rocprim17ROCPRIM_400000_NS6detail17trampoline_kernelINS0_14default_configENS1_36segmented_radix_sort_config_selectorIflEEZNS1_25segmented_radix_sort_implIS3_Lb0EPKfPfPKlPlN2at6native12_GLOBAL__N_18offset_tEEE10hipError_tPvRmT1_PNSt15iterator_traitsISK_E10value_typeET2_T3_PNSL_ISQ_E10value_typeET4_jRbjT5_SW_jjP12ihipStream_tbEUlT_E_NS1_11comp_targetILNS1_3genE4ELNS1_11target_archE910ELNS1_3gpuE8ELNS1_3repE0EEENS1_30default_config_static_selectorELNS0_4arch9wavefront6targetE1EEEvSK_.kd
    .uniform_work_group_size: 1
    .uses_dynamic_stack: false
    .vgpr_count:     0
    .vgpr_spill_count: 0
    .wavefront_size: 64
  - .args:
      - .offset:         0
        .size:           96
        .value_kind:     by_value
    .group_segment_fixed_size: 0
    .kernarg_segment_align: 8
    .kernarg_segment_size: 96
    .language:       OpenCL C
    .language_version:
      - 2
      - 0
    .max_flat_workgroup_size: 256
    .name:           _ZN7rocprim17ROCPRIM_400000_NS6detail17trampoline_kernelINS0_14default_configENS1_36segmented_radix_sort_config_selectorIflEEZNS1_25segmented_radix_sort_implIS3_Lb0EPKfPfPKlPlN2at6native12_GLOBAL__N_18offset_tEEE10hipError_tPvRmT1_PNSt15iterator_traitsISK_E10value_typeET2_T3_PNSL_ISQ_E10value_typeET4_jRbjT5_SW_jjP12ihipStream_tbEUlT_E_NS1_11comp_targetILNS1_3genE3ELNS1_11target_archE908ELNS1_3gpuE7ELNS1_3repE0EEENS1_30default_config_static_selectorELNS0_4arch9wavefront6targetE1EEEvSK_
    .private_segment_fixed_size: 0
    .sgpr_count:     4
    .sgpr_spill_count: 0
    .symbol:         _ZN7rocprim17ROCPRIM_400000_NS6detail17trampoline_kernelINS0_14default_configENS1_36segmented_radix_sort_config_selectorIflEEZNS1_25segmented_radix_sort_implIS3_Lb0EPKfPfPKlPlN2at6native12_GLOBAL__N_18offset_tEEE10hipError_tPvRmT1_PNSt15iterator_traitsISK_E10value_typeET2_T3_PNSL_ISQ_E10value_typeET4_jRbjT5_SW_jjP12ihipStream_tbEUlT_E_NS1_11comp_targetILNS1_3genE3ELNS1_11target_archE908ELNS1_3gpuE7ELNS1_3repE0EEENS1_30default_config_static_selectorELNS0_4arch9wavefront6targetE1EEEvSK_.kd
    .uniform_work_group_size: 1
    .uses_dynamic_stack: false
    .vgpr_count:     0
    .vgpr_spill_count: 0
    .wavefront_size: 64
  - .args:
      - .offset:         0
        .size:           96
        .value_kind:     by_value
      - .offset:         96
        .size:           4
        .value_kind:     hidden_block_count_x
      - .offset:         100
        .size:           4
        .value_kind:     hidden_block_count_y
      - .offset:         104
        .size:           4
        .value_kind:     hidden_block_count_z
      - .offset:         108
        .size:           2
        .value_kind:     hidden_group_size_x
      - .offset:         110
        .size:           2
        .value_kind:     hidden_group_size_y
      - .offset:         112
        .size:           2
        .value_kind:     hidden_group_size_z
      - .offset:         114
        .size:           2
        .value_kind:     hidden_remainder_x
      - .offset:         116
        .size:           2
        .value_kind:     hidden_remainder_y
      - .offset:         118
        .size:           2
        .value_kind:     hidden_remainder_z
      - .offset:         136
        .size:           8
        .value_kind:     hidden_global_offset_x
      - .offset:         144
        .size:           8
        .value_kind:     hidden_global_offset_y
      - .offset:         152
        .size:           8
        .value_kind:     hidden_global_offset_z
      - .offset:         160
        .size:           2
        .value_kind:     hidden_grid_dims
    .group_segment_fixed_size: 17424
    .kernarg_segment_align: 8
    .kernarg_segment_size: 352
    .language:       OpenCL C
    .language_version:
      - 2
      - 0
    .max_flat_workgroup_size: 256
    .name:           _ZN7rocprim17ROCPRIM_400000_NS6detail17trampoline_kernelINS0_14default_configENS1_36segmented_radix_sort_config_selectorIflEEZNS1_25segmented_radix_sort_implIS3_Lb0EPKfPfPKlPlN2at6native12_GLOBAL__N_18offset_tEEE10hipError_tPvRmT1_PNSt15iterator_traitsISK_E10value_typeET2_T3_PNSL_ISQ_E10value_typeET4_jRbjT5_SW_jjP12ihipStream_tbEUlT_E_NS1_11comp_targetILNS1_3genE2ELNS1_11target_archE906ELNS1_3gpuE6ELNS1_3repE0EEENS1_30default_config_static_selectorELNS0_4arch9wavefront6targetE1EEEvSK_
    .private_segment_fixed_size: 0
    .sgpr_count:     86
    .sgpr_spill_count: 0
    .symbol:         _ZN7rocprim17ROCPRIM_400000_NS6detail17trampoline_kernelINS0_14default_configENS1_36segmented_radix_sort_config_selectorIflEEZNS1_25segmented_radix_sort_implIS3_Lb0EPKfPfPKlPlN2at6native12_GLOBAL__N_18offset_tEEE10hipError_tPvRmT1_PNSt15iterator_traitsISK_E10value_typeET2_T3_PNSL_ISQ_E10value_typeET4_jRbjT5_SW_jjP12ihipStream_tbEUlT_E_NS1_11comp_targetILNS1_3genE2ELNS1_11target_archE906ELNS1_3gpuE6ELNS1_3repE0EEENS1_30default_config_static_selectorELNS0_4arch9wavefront6targetE1EEEvSK_.kd
    .uniform_work_group_size: 1
    .uses_dynamic_stack: false
    .vgpr_count:     178
    .vgpr_spill_count: 0
    .wavefront_size: 64
  - .args:
      - .offset:         0
        .size:           96
        .value_kind:     by_value
    .group_segment_fixed_size: 0
    .kernarg_segment_align: 8
    .kernarg_segment_size: 96
    .language:       OpenCL C
    .language_version:
      - 2
      - 0
    .max_flat_workgroup_size: 256
    .name:           _ZN7rocprim17ROCPRIM_400000_NS6detail17trampoline_kernelINS0_14default_configENS1_36segmented_radix_sort_config_selectorIflEEZNS1_25segmented_radix_sort_implIS3_Lb0EPKfPfPKlPlN2at6native12_GLOBAL__N_18offset_tEEE10hipError_tPvRmT1_PNSt15iterator_traitsISK_E10value_typeET2_T3_PNSL_ISQ_E10value_typeET4_jRbjT5_SW_jjP12ihipStream_tbEUlT_E_NS1_11comp_targetILNS1_3genE10ELNS1_11target_archE1201ELNS1_3gpuE5ELNS1_3repE0EEENS1_30default_config_static_selectorELNS0_4arch9wavefront6targetE1EEEvSK_
    .private_segment_fixed_size: 0
    .sgpr_count:     4
    .sgpr_spill_count: 0
    .symbol:         _ZN7rocprim17ROCPRIM_400000_NS6detail17trampoline_kernelINS0_14default_configENS1_36segmented_radix_sort_config_selectorIflEEZNS1_25segmented_radix_sort_implIS3_Lb0EPKfPfPKlPlN2at6native12_GLOBAL__N_18offset_tEEE10hipError_tPvRmT1_PNSt15iterator_traitsISK_E10value_typeET2_T3_PNSL_ISQ_E10value_typeET4_jRbjT5_SW_jjP12ihipStream_tbEUlT_E_NS1_11comp_targetILNS1_3genE10ELNS1_11target_archE1201ELNS1_3gpuE5ELNS1_3repE0EEENS1_30default_config_static_selectorELNS0_4arch9wavefront6targetE1EEEvSK_.kd
    .uniform_work_group_size: 1
    .uses_dynamic_stack: false
    .vgpr_count:     0
    .vgpr_spill_count: 0
    .wavefront_size: 64
  - .args:
      - .offset:         0
        .size:           96
        .value_kind:     by_value
    .group_segment_fixed_size: 0
    .kernarg_segment_align: 8
    .kernarg_segment_size: 96
    .language:       OpenCL C
    .language_version:
      - 2
      - 0
    .max_flat_workgroup_size: 128
    .name:           _ZN7rocprim17ROCPRIM_400000_NS6detail17trampoline_kernelINS0_14default_configENS1_36segmented_radix_sort_config_selectorIflEEZNS1_25segmented_radix_sort_implIS3_Lb0EPKfPfPKlPlN2at6native12_GLOBAL__N_18offset_tEEE10hipError_tPvRmT1_PNSt15iterator_traitsISK_E10value_typeET2_T3_PNSL_ISQ_E10value_typeET4_jRbjT5_SW_jjP12ihipStream_tbEUlT_E_NS1_11comp_targetILNS1_3genE10ELNS1_11target_archE1200ELNS1_3gpuE4ELNS1_3repE0EEENS1_30default_config_static_selectorELNS0_4arch9wavefront6targetE1EEEvSK_
    .private_segment_fixed_size: 0
    .sgpr_count:     4
    .sgpr_spill_count: 0
    .symbol:         _ZN7rocprim17ROCPRIM_400000_NS6detail17trampoline_kernelINS0_14default_configENS1_36segmented_radix_sort_config_selectorIflEEZNS1_25segmented_radix_sort_implIS3_Lb0EPKfPfPKlPlN2at6native12_GLOBAL__N_18offset_tEEE10hipError_tPvRmT1_PNSt15iterator_traitsISK_E10value_typeET2_T3_PNSL_ISQ_E10value_typeET4_jRbjT5_SW_jjP12ihipStream_tbEUlT_E_NS1_11comp_targetILNS1_3genE10ELNS1_11target_archE1200ELNS1_3gpuE4ELNS1_3repE0EEENS1_30default_config_static_selectorELNS0_4arch9wavefront6targetE1EEEvSK_.kd
    .uniform_work_group_size: 1
    .uses_dynamic_stack: false
    .vgpr_count:     0
    .vgpr_spill_count: 0
    .wavefront_size: 64
  - .args:
      - .offset:         0
        .size:           96
        .value_kind:     by_value
    .group_segment_fixed_size: 0
    .kernarg_segment_align: 8
    .kernarg_segment_size: 96
    .language:       OpenCL C
    .language_version:
      - 2
      - 0
    .max_flat_workgroup_size: 256
    .name:           _ZN7rocprim17ROCPRIM_400000_NS6detail17trampoline_kernelINS0_14default_configENS1_36segmented_radix_sort_config_selectorIflEEZNS1_25segmented_radix_sort_implIS3_Lb0EPKfPfPKlPlN2at6native12_GLOBAL__N_18offset_tEEE10hipError_tPvRmT1_PNSt15iterator_traitsISK_E10value_typeET2_T3_PNSL_ISQ_E10value_typeET4_jRbjT5_SW_jjP12ihipStream_tbEUlT_E_NS1_11comp_targetILNS1_3genE9ELNS1_11target_archE1100ELNS1_3gpuE3ELNS1_3repE0EEENS1_30default_config_static_selectorELNS0_4arch9wavefront6targetE1EEEvSK_
    .private_segment_fixed_size: 0
    .sgpr_count:     4
    .sgpr_spill_count: 0
    .symbol:         _ZN7rocprim17ROCPRIM_400000_NS6detail17trampoline_kernelINS0_14default_configENS1_36segmented_radix_sort_config_selectorIflEEZNS1_25segmented_radix_sort_implIS3_Lb0EPKfPfPKlPlN2at6native12_GLOBAL__N_18offset_tEEE10hipError_tPvRmT1_PNSt15iterator_traitsISK_E10value_typeET2_T3_PNSL_ISQ_E10value_typeET4_jRbjT5_SW_jjP12ihipStream_tbEUlT_E_NS1_11comp_targetILNS1_3genE9ELNS1_11target_archE1100ELNS1_3gpuE3ELNS1_3repE0EEENS1_30default_config_static_selectorELNS0_4arch9wavefront6targetE1EEEvSK_.kd
    .uniform_work_group_size: 1
    .uses_dynamic_stack: false
    .vgpr_count:     0
    .vgpr_spill_count: 0
    .wavefront_size: 64
  - .args:
      - .offset:         0
        .size:           96
        .value_kind:     by_value
    .group_segment_fixed_size: 0
    .kernarg_segment_align: 8
    .kernarg_segment_size: 96
    .language:       OpenCL C
    .language_version:
      - 2
      - 0
    .max_flat_workgroup_size: 256
    .name:           _ZN7rocprim17ROCPRIM_400000_NS6detail17trampoline_kernelINS0_14default_configENS1_36segmented_radix_sort_config_selectorIflEEZNS1_25segmented_radix_sort_implIS3_Lb0EPKfPfPKlPlN2at6native12_GLOBAL__N_18offset_tEEE10hipError_tPvRmT1_PNSt15iterator_traitsISK_E10value_typeET2_T3_PNSL_ISQ_E10value_typeET4_jRbjT5_SW_jjP12ihipStream_tbEUlT_E_NS1_11comp_targetILNS1_3genE8ELNS1_11target_archE1030ELNS1_3gpuE2ELNS1_3repE0EEENS1_30default_config_static_selectorELNS0_4arch9wavefront6targetE1EEEvSK_
    .private_segment_fixed_size: 0
    .sgpr_count:     4
    .sgpr_spill_count: 0
    .symbol:         _ZN7rocprim17ROCPRIM_400000_NS6detail17trampoline_kernelINS0_14default_configENS1_36segmented_radix_sort_config_selectorIflEEZNS1_25segmented_radix_sort_implIS3_Lb0EPKfPfPKlPlN2at6native12_GLOBAL__N_18offset_tEEE10hipError_tPvRmT1_PNSt15iterator_traitsISK_E10value_typeET2_T3_PNSL_ISQ_E10value_typeET4_jRbjT5_SW_jjP12ihipStream_tbEUlT_E_NS1_11comp_targetILNS1_3genE8ELNS1_11target_archE1030ELNS1_3gpuE2ELNS1_3repE0EEENS1_30default_config_static_selectorELNS0_4arch9wavefront6targetE1EEEvSK_.kd
    .uniform_work_group_size: 1
    .uses_dynamic_stack: false
    .vgpr_count:     0
    .vgpr_spill_count: 0
    .wavefront_size: 64
  - .args:
      - .offset:         0
        .size:           88
        .value_kind:     by_value
    .group_segment_fixed_size: 0
    .kernarg_segment_align: 8
    .kernarg_segment_size: 88
    .language:       OpenCL C
    .language_version:
      - 2
      - 0
    .max_flat_workgroup_size: 256
    .name:           _ZN7rocprim17ROCPRIM_400000_NS6detail17trampoline_kernelINS0_14default_configENS1_36segmented_radix_sort_config_selectorIflEEZNS1_25segmented_radix_sort_implIS3_Lb0EPKfPfPKlPlN2at6native12_GLOBAL__N_18offset_tEEE10hipError_tPvRmT1_PNSt15iterator_traitsISK_E10value_typeET2_T3_PNSL_ISQ_E10value_typeET4_jRbjT5_SW_jjP12ihipStream_tbEUlT_E0_NS1_11comp_targetILNS1_3genE0ELNS1_11target_archE4294967295ELNS1_3gpuE0ELNS1_3repE0EEENS1_60segmented_radix_sort_warp_sort_medium_config_static_selectorELNS0_4arch9wavefront6targetE1EEEvSK_
    .private_segment_fixed_size: 0
    .sgpr_count:     4
    .sgpr_spill_count: 0
    .symbol:         _ZN7rocprim17ROCPRIM_400000_NS6detail17trampoline_kernelINS0_14default_configENS1_36segmented_radix_sort_config_selectorIflEEZNS1_25segmented_radix_sort_implIS3_Lb0EPKfPfPKlPlN2at6native12_GLOBAL__N_18offset_tEEE10hipError_tPvRmT1_PNSt15iterator_traitsISK_E10value_typeET2_T3_PNSL_ISQ_E10value_typeET4_jRbjT5_SW_jjP12ihipStream_tbEUlT_E0_NS1_11comp_targetILNS1_3genE0ELNS1_11target_archE4294967295ELNS1_3gpuE0ELNS1_3repE0EEENS1_60segmented_radix_sort_warp_sort_medium_config_static_selectorELNS0_4arch9wavefront6targetE1EEEvSK_.kd
    .uniform_work_group_size: 1
    .uses_dynamic_stack: false
    .vgpr_count:     0
    .vgpr_spill_count: 0
    .wavefront_size: 64
  - .args:
      - .offset:         0
        .size:           88
        .value_kind:     by_value
    .group_segment_fixed_size: 0
    .kernarg_segment_align: 8
    .kernarg_segment_size: 88
    .language:       OpenCL C
    .language_version:
      - 2
      - 0
    .max_flat_workgroup_size: 256
    .name:           _ZN7rocprim17ROCPRIM_400000_NS6detail17trampoline_kernelINS0_14default_configENS1_36segmented_radix_sort_config_selectorIflEEZNS1_25segmented_radix_sort_implIS3_Lb0EPKfPfPKlPlN2at6native12_GLOBAL__N_18offset_tEEE10hipError_tPvRmT1_PNSt15iterator_traitsISK_E10value_typeET2_T3_PNSL_ISQ_E10value_typeET4_jRbjT5_SW_jjP12ihipStream_tbEUlT_E0_NS1_11comp_targetILNS1_3genE5ELNS1_11target_archE942ELNS1_3gpuE9ELNS1_3repE0EEENS1_60segmented_radix_sort_warp_sort_medium_config_static_selectorELNS0_4arch9wavefront6targetE1EEEvSK_
    .private_segment_fixed_size: 0
    .sgpr_count:     4
    .sgpr_spill_count: 0
    .symbol:         _ZN7rocprim17ROCPRIM_400000_NS6detail17trampoline_kernelINS0_14default_configENS1_36segmented_radix_sort_config_selectorIflEEZNS1_25segmented_radix_sort_implIS3_Lb0EPKfPfPKlPlN2at6native12_GLOBAL__N_18offset_tEEE10hipError_tPvRmT1_PNSt15iterator_traitsISK_E10value_typeET2_T3_PNSL_ISQ_E10value_typeET4_jRbjT5_SW_jjP12ihipStream_tbEUlT_E0_NS1_11comp_targetILNS1_3genE5ELNS1_11target_archE942ELNS1_3gpuE9ELNS1_3repE0EEENS1_60segmented_radix_sort_warp_sort_medium_config_static_selectorELNS0_4arch9wavefront6targetE1EEEvSK_.kd
    .uniform_work_group_size: 1
    .uses_dynamic_stack: false
    .vgpr_count:     0
    .vgpr_spill_count: 0
    .wavefront_size: 64
  - .args:
      - .offset:         0
        .size:           88
        .value_kind:     by_value
    .group_segment_fixed_size: 0
    .kernarg_segment_align: 8
    .kernarg_segment_size: 88
    .language:       OpenCL C
    .language_version:
      - 2
      - 0
    .max_flat_workgroup_size: 256
    .name:           _ZN7rocprim17ROCPRIM_400000_NS6detail17trampoline_kernelINS0_14default_configENS1_36segmented_radix_sort_config_selectorIflEEZNS1_25segmented_radix_sort_implIS3_Lb0EPKfPfPKlPlN2at6native12_GLOBAL__N_18offset_tEEE10hipError_tPvRmT1_PNSt15iterator_traitsISK_E10value_typeET2_T3_PNSL_ISQ_E10value_typeET4_jRbjT5_SW_jjP12ihipStream_tbEUlT_E0_NS1_11comp_targetILNS1_3genE4ELNS1_11target_archE910ELNS1_3gpuE8ELNS1_3repE0EEENS1_60segmented_radix_sort_warp_sort_medium_config_static_selectorELNS0_4arch9wavefront6targetE1EEEvSK_
    .private_segment_fixed_size: 0
    .sgpr_count:     4
    .sgpr_spill_count: 0
    .symbol:         _ZN7rocprim17ROCPRIM_400000_NS6detail17trampoline_kernelINS0_14default_configENS1_36segmented_radix_sort_config_selectorIflEEZNS1_25segmented_radix_sort_implIS3_Lb0EPKfPfPKlPlN2at6native12_GLOBAL__N_18offset_tEEE10hipError_tPvRmT1_PNSt15iterator_traitsISK_E10value_typeET2_T3_PNSL_ISQ_E10value_typeET4_jRbjT5_SW_jjP12ihipStream_tbEUlT_E0_NS1_11comp_targetILNS1_3genE4ELNS1_11target_archE910ELNS1_3gpuE8ELNS1_3repE0EEENS1_60segmented_radix_sort_warp_sort_medium_config_static_selectorELNS0_4arch9wavefront6targetE1EEEvSK_.kd
    .uniform_work_group_size: 1
    .uses_dynamic_stack: false
    .vgpr_count:     0
    .vgpr_spill_count: 0
    .wavefront_size: 64
  - .args:
      - .offset:         0
        .size:           88
        .value_kind:     by_value
    .group_segment_fixed_size: 0
    .kernarg_segment_align: 8
    .kernarg_segment_size: 88
    .language:       OpenCL C
    .language_version:
      - 2
      - 0
    .max_flat_workgroup_size: 256
    .name:           _ZN7rocprim17ROCPRIM_400000_NS6detail17trampoline_kernelINS0_14default_configENS1_36segmented_radix_sort_config_selectorIflEEZNS1_25segmented_radix_sort_implIS3_Lb0EPKfPfPKlPlN2at6native12_GLOBAL__N_18offset_tEEE10hipError_tPvRmT1_PNSt15iterator_traitsISK_E10value_typeET2_T3_PNSL_ISQ_E10value_typeET4_jRbjT5_SW_jjP12ihipStream_tbEUlT_E0_NS1_11comp_targetILNS1_3genE3ELNS1_11target_archE908ELNS1_3gpuE7ELNS1_3repE0EEENS1_60segmented_radix_sort_warp_sort_medium_config_static_selectorELNS0_4arch9wavefront6targetE1EEEvSK_
    .private_segment_fixed_size: 0
    .sgpr_count:     4
    .sgpr_spill_count: 0
    .symbol:         _ZN7rocprim17ROCPRIM_400000_NS6detail17trampoline_kernelINS0_14default_configENS1_36segmented_radix_sort_config_selectorIflEEZNS1_25segmented_radix_sort_implIS3_Lb0EPKfPfPKlPlN2at6native12_GLOBAL__N_18offset_tEEE10hipError_tPvRmT1_PNSt15iterator_traitsISK_E10value_typeET2_T3_PNSL_ISQ_E10value_typeET4_jRbjT5_SW_jjP12ihipStream_tbEUlT_E0_NS1_11comp_targetILNS1_3genE3ELNS1_11target_archE908ELNS1_3gpuE7ELNS1_3repE0EEENS1_60segmented_radix_sort_warp_sort_medium_config_static_selectorELNS0_4arch9wavefront6targetE1EEEvSK_.kd
    .uniform_work_group_size: 1
    .uses_dynamic_stack: false
    .vgpr_count:     0
    .vgpr_spill_count: 0
    .wavefront_size: 64
  - .args:
      - .offset:         0
        .size:           88
        .value_kind:     by_value
      - .offset:         88
        .size:           4
        .value_kind:     hidden_block_count_x
      - .offset:         92
        .size:           4
        .value_kind:     hidden_block_count_y
      - .offset:         96
        .size:           4
        .value_kind:     hidden_block_count_z
      - .offset:         100
        .size:           2
        .value_kind:     hidden_group_size_x
      - .offset:         102
        .size:           2
        .value_kind:     hidden_group_size_y
      - .offset:         104
        .size:           2
        .value_kind:     hidden_group_size_z
      - .offset:         106
        .size:           2
        .value_kind:     hidden_remainder_x
      - .offset:         108
        .size:           2
        .value_kind:     hidden_remainder_y
      - .offset:         110
        .size:           2
        .value_kind:     hidden_remainder_z
      - .offset:         128
        .size:           8
        .value_kind:     hidden_global_offset_x
      - .offset:         136
        .size:           8
        .value_kind:     hidden_global_offset_y
      - .offset:         144
        .size:           8
        .value_kind:     hidden_global_offset_z
      - .offset:         152
        .size:           2
        .value_kind:     hidden_grid_dims
    .group_segment_fixed_size: 24576
    .kernarg_segment_align: 8
    .kernarg_segment_size: 344
    .language:       OpenCL C
    .language_version:
      - 2
      - 0
    .max_flat_workgroup_size: 256
    .name:           _ZN7rocprim17ROCPRIM_400000_NS6detail17trampoline_kernelINS0_14default_configENS1_36segmented_radix_sort_config_selectorIflEEZNS1_25segmented_radix_sort_implIS3_Lb0EPKfPfPKlPlN2at6native12_GLOBAL__N_18offset_tEEE10hipError_tPvRmT1_PNSt15iterator_traitsISK_E10value_typeET2_T3_PNSL_ISQ_E10value_typeET4_jRbjT5_SW_jjP12ihipStream_tbEUlT_E0_NS1_11comp_targetILNS1_3genE2ELNS1_11target_archE906ELNS1_3gpuE6ELNS1_3repE0EEENS1_60segmented_radix_sort_warp_sort_medium_config_static_selectorELNS0_4arch9wavefront6targetE1EEEvSK_
    .private_segment_fixed_size: 0
    .sgpr_count:     64
    .sgpr_spill_count: 0
    .symbol:         _ZN7rocprim17ROCPRIM_400000_NS6detail17trampoline_kernelINS0_14default_configENS1_36segmented_radix_sort_config_selectorIflEEZNS1_25segmented_radix_sort_implIS3_Lb0EPKfPfPKlPlN2at6native12_GLOBAL__N_18offset_tEEE10hipError_tPvRmT1_PNSt15iterator_traitsISK_E10value_typeET2_T3_PNSL_ISQ_E10value_typeET4_jRbjT5_SW_jjP12ihipStream_tbEUlT_E0_NS1_11comp_targetILNS1_3genE2ELNS1_11target_archE906ELNS1_3gpuE6ELNS1_3repE0EEENS1_60segmented_radix_sort_warp_sort_medium_config_static_selectorELNS0_4arch9wavefront6targetE1EEEvSK_.kd
    .uniform_work_group_size: 1
    .uses_dynamic_stack: false
    .vgpr_count:     71
    .vgpr_spill_count: 0
    .wavefront_size: 64
  - .args:
      - .offset:         0
        .size:           88
        .value_kind:     by_value
    .group_segment_fixed_size: 0
    .kernarg_segment_align: 8
    .kernarg_segment_size: 88
    .language:       OpenCL C
    .language_version:
      - 2
      - 0
    .max_flat_workgroup_size: 256
    .name:           _ZN7rocprim17ROCPRIM_400000_NS6detail17trampoline_kernelINS0_14default_configENS1_36segmented_radix_sort_config_selectorIflEEZNS1_25segmented_radix_sort_implIS3_Lb0EPKfPfPKlPlN2at6native12_GLOBAL__N_18offset_tEEE10hipError_tPvRmT1_PNSt15iterator_traitsISK_E10value_typeET2_T3_PNSL_ISQ_E10value_typeET4_jRbjT5_SW_jjP12ihipStream_tbEUlT_E0_NS1_11comp_targetILNS1_3genE10ELNS1_11target_archE1201ELNS1_3gpuE5ELNS1_3repE0EEENS1_60segmented_radix_sort_warp_sort_medium_config_static_selectorELNS0_4arch9wavefront6targetE1EEEvSK_
    .private_segment_fixed_size: 0
    .sgpr_count:     4
    .sgpr_spill_count: 0
    .symbol:         _ZN7rocprim17ROCPRIM_400000_NS6detail17trampoline_kernelINS0_14default_configENS1_36segmented_radix_sort_config_selectorIflEEZNS1_25segmented_radix_sort_implIS3_Lb0EPKfPfPKlPlN2at6native12_GLOBAL__N_18offset_tEEE10hipError_tPvRmT1_PNSt15iterator_traitsISK_E10value_typeET2_T3_PNSL_ISQ_E10value_typeET4_jRbjT5_SW_jjP12ihipStream_tbEUlT_E0_NS1_11comp_targetILNS1_3genE10ELNS1_11target_archE1201ELNS1_3gpuE5ELNS1_3repE0EEENS1_60segmented_radix_sort_warp_sort_medium_config_static_selectorELNS0_4arch9wavefront6targetE1EEEvSK_.kd
    .uniform_work_group_size: 1
    .uses_dynamic_stack: false
    .vgpr_count:     0
    .vgpr_spill_count: 0
    .wavefront_size: 64
  - .args:
      - .offset:         0
        .size:           88
        .value_kind:     by_value
    .group_segment_fixed_size: 0
    .kernarg_segment_align: 8
    .kernarg_segment_size: 88
    .language:       OpenCL C
    .language_version:
      - 2
      - 0
    .max_flat_workgroup_size: 256
    .name:           _ZN7rocprim17ROCPRIM_400000_NS6detail17trampoline_kernelINS0_14default_configENS1_36segmented_radix_sort_config_selectorIflEEZNS1_25segmented_radix_sort_implIS3_Lb0EPKfPfPKlPlN2at6native12_GLOBAL__N_18offset_tEEE10hipError_tPvRmT1_PNSt15iterator_traitsISK_E10value_typeET2_T3_PNSL_ISQ_E10value_typeET4_jRbjT5_SW_jjP12ihipStream_tbEUlT_E0_NS1_11comp_targetILNS1_3genE10ELNS1_11target_archE1200ELNS1_3gpuE4ELNS1_3repE0EEENS1_60segmented_radix_sort_warp_sort_medium_config_static_selectorELNS0_4arch9wavefront6targetE1EEEvSK_
    .private_segment_fixed_size: 0
    .sgpr_count:     4
    .sgpr_spill_count: 0
    .symbol:         _ZN7rocprim17ROCPRIM_400000_NS6detail17trampoline_kernelINS0_14default_configENS1_36segmented_radix_sort_config_selectorIflEEZNS1_25segmented_radix_sort_implIS3_Lb0EPKfPfPKlPlN2at6native12_GLOBAL__N_18offset_tEEE10hipError_tPvRmT1_PNSt15iterator_traitsISK_E10value_typeET2_T3_PNSL_ISQ_E10value_typeET4_jRbjT5_SW_jjP12ihipStream_tbEUlT_E0_NS1_11comp_targetILNS1_3genE10ELNS1_11target_archE1200ELNS1_3gpuE4ELNS1_3repE0EEENS1_60segmented_radix_sort_warp_sort_medium_config_static_selectorELNS0_4arch9wavefront6targetE1EEEvSK_.kd
    .uniform_work_group_size: 1
    .uses_dynamic_stack: false
    .vgpr_count:     0
    .vgpr_spill_count: 0
    .wavefront_size: 64
  - .args:
      - .offset:         0
        .size:           88
        .value_kind:     by_value
    .group_segment_fixed_size: 0
    .kernarg_segment_align: 8
    .kernarg_segment_size: 88
    .language:       OpenCL C
    .language_version:
      - 2
      - 0
    .max_flat_workgroup_size: 256
    .name:           _ZN7rocprim17ROCPRIM_400000_NS6detail17trampoline_kernelINS0_14default_configENS1_36segmented_radix_sort_config_selectorIflEEZNS1_25segmented_radix_sort_implIS3_Lb0EPKfPfPKlPlN2at6native12_GLOBAL__N_18offset_tEEE10hipError_tPvRmT1_PNSt15iterator_traitsISK_E10value_typeET2_T3_PNSL_ISQ_E10value_typeET4_jRbjT5_SW_jjP12ihipStream_tbEUlT_E0_NS1_11comp_targetILNS1_3genE9ELNS1_11target_archE1100ELNS1_3gpuE3ELNS1_3repE0EEENS1_60segmented_radix_sort_warp_sort_medium_config_static_selectorELNS0_4arch9wavefront6targetE1EEEvSK_
    .private_segment_fixed_size: 0
    .sgpr_count:     4
    .sgpr_spill_count: 0
    .symbol:         _ZN7rocprim17ROCPRIM_400000_NS6detail17trampoline_kernelINS0_14default_configENS1_36segmented_radix_sort_config_selectorIflEEZNS1_25segmented_radix_sort_implIS3_Lb0EPKfPfPKlPlN2at6native12_GLOBAL__N_18offset_tEEE10hipError_tPvRmT1_PNSt15iterator_traitsISK_E10value_typeET2_T3_PNSL_ISQ_E10value_typeET4_jRbjT5_SW_jjP12ihipStream_tbEUlT_E0_NS1_11comp_targetILNS1_3genE9ELNS1_11target_archE1100ELNS1_3gpuE3ELNS1_3repE0EEENS1_60segmented_radix_sort_warp_sort_medium_config_static_selectorELNS0_4arch9wavefront6targetE1EEEvSK_.kd
    .uniform_work_group_size: 1
    .uses_dynamic_stack: false
    .vgpr_count:     0
    .vgpr_spill_count: 0
    .wavefront_size: 64
  - .args:
      - .offset:         0
        .size:           88
        .value_kind:     by_value
    .group_segment_fixed_size: 0
    .kernarg_segment_align: 8
    .kernarg_segment_size: 88
    .language:       OpenCL C
    .language_version:
      - 2
      - 0
    .max_flat_workgroup_size: 256
    .name:           _ZN7rocprim17ROCPRIM_400000_NS6detail17trampoline_kernelINS0_14default_configENS1_36segmented_radix_sort_config_selectorIflEEZNS1_25segmented_radix_sort_implIS3_Lb0EPKfPfPKlPlN2at6native12_GLOBAL__N_18offset_tEEE10hipError_tPvRmT1_PNSt15iterator_traitsISK_E10value_typeET2_T3_PNSL_ISQ_E10value_typeET4_jRbjT5_SW_jjP12ihipStream_tbEUlT_E0_NS1_11comp_targetILNS1_3genE8ELNS1_11target_archE1030ELNS1_3gpuE2ELNS1_3repE0EEENS1_60segmented_radix_sort_warp_sort_medium_config_static_selectorELNS0_4arch9wavefront6targetE1EEEvSK_
    .private_segment_fixed_size: 0
    .sgpr_count:     4
    .sgpr_spill_count: 0
    .symbol:         _ZN7rocprim17ROCPRIM_400000_NS6detail17trampoline_kernelINS0_14default_configENS1_36segmented_radix_sort_config_selectorIflEEZNS1_25segmented_radix_sort_implIS3_Lb0EPKfPfPKlPlN2at6native12_GLOBAL__N_18offset_tEEE10hipError_tPvRmT1_PNSt15iterator_traitsISK_E10value_typeET2_T3_PNSL_ISQ_E10value_typeET4_jRbjT5_SW_jjP12ihipStream_tbEUlT_E0_NS1_11comp_targetILNS1_3genE8ELNS1_11target_archE1030ELNS1_3gpuE2ELNS1_3repE0EEENS1_60segmented_radix_sort_warp_sort_medium_config_static_selectorELNS0_4arch9wavefront6targetE1EEEvSK_.kd
    .uniform_work_group_size: 1
    .uses_dynamic_stack: false
    .vgpr_count:     0
    .vgpr_spill_count: 0
    .wavefront_size: 64
  - .args:
      - .offset:         0
        .size:           88
        .value_kind:     by_value
    .group_segment_fixed_size: 0
    .kernarg_segment_align: 8
    .kernarg_segment_size: 88
    .language:       OpenCL C
    .language_version:
      - 2
      - 0
    .max_flat_workgroup_size: 256
    .name:           _ZN7rocprim17ROCPRIM_400000_NS6detail17trampoline_kernelINS0_14default_configENS1_36segmented_radix_sort_config_selectorIflEEZNS1_25segmented_radix_sort_implIS3_Lb0EPKfPfPKlPlN2at6native12_GLOBAL__N_18offset_tEEE10hipError_tPvRmT1_PNSt15iterator_traitsISK_E10value_typeET2_T3_PNSL_ISQ_E10value_typeET4_jRbjT5_SW_jjP12ihipStream_tbEUlT_E1_NS1_11comp_targetILNS1_3genE0ELNS1_11target_archE4294967295ELNS1_3gpuE0ELNS1_3repE0EEENS1_59segmented_radix_sort_warp_sort_small_config_static_selectorELNS0_4arch9wavefront6targetE1EEEvSK_
    .private_segment_fixed_size: 0
    .sgpr_count:     4
    .sgpr_spill_count: 0
    .symbol:         _ZN7rocprim17ROCPRIM_400000_NS6detail17trampoline_kernelINS0_14default_configENS1_36segmented_radix_sort_config_selectorIflEEZNS1_25segmented_radix_sort_implIS3_Lb0EPKfPfPKlPlN2at6native12_GLOBAL__N_18offset_tEEE10hipError_tPvRmT1_PNSt15iterator_traitsISK_E10value_typeET2_T3_PNSL_ISQ_E10value_typeET4_jRbjT5_SW_jjP12ihipStream_tbEUlT_E1_NS1_11comp_targetILNS1_3genE0ELNS1_11target_archE4294967295ELNS1_3gpuE0ELNS1_3repE0EEENS1_59segmented_radix_sort_warp_sort_small_config_static_selectorELNS0_4arch9wavefront6targetE1EEEvSK_.kd
    .uniform_work_group_size: 1
    .uses_dynamic_stack: false
    .vgpr_count:     0
    .vgpr_spill_count: 0
    .wavefront_size: 64
  - .args:
      - .offset:         0
        .size:           88
        .value_kind:     by_value
    .group_segment_fixed_size: 0
    .kernarg_segment_align: 8
    .kernarg_segment_size: 88
    .language:       OpenCL C
    .language_version:
      - 2
      - 0
    .max_flat_workgroup_size: 256
    .name:           _ZN7rocprim17ROCPRIM_400000_NS6detail17trampoline_kernelINS0_14default_configENS1_36segmented_radix_sort_config_selectorIflEEZNS1_25segmented_radix_sort_implIS3_Lb0EPKfPfPKlPlN2at6native12_GLOBAL__N_18offset_tEEE10hipError_tPvRmT1_PNSt15iterator_traitsISK_E10value_typeET2_T3_PNSL_ISQ_E10value_typeET4_jRbjT5_SW_jjP12ihipStream_tbEUlT_E1_NS1_11comp_targetILNS1_3genE5ELNS1_11target_archE942ELNS1_3gpuE9ELNS1_3repE0EEENS1_59segmented_radix_sort_warp_sort_small_config_static_selectorELNS0_4arch9wavefront6targetE1EEEvSK_
    .private_segment_fixed_size: 0
    .sgpr_count:     4
    .sgpr_spill_count: 0
    .symbol:         _ZN7rocprim17ROCPRIM_400000_NS6detail17trampoline_kernelINS0_14default_configENS1_36segmented_radix_sort_config_selectorIflEEZNS1_25segmented_radix_sort_implIS3_Lb0EPKfPfPKlPlN2at6native12_GLOBAL__N_18offset_tEEE10hipError_tPvRmT1_PNSt15iterator_traitsISK_E10value_typeET2_T3_PNSL_ISQ_E10value_typeET4_jRbjT5_SW_jjP12ihipStream_tbEUlT_E1_NS1_11comp_targetILNS1_3genE5ELNS1_11target_archE942ELNS1_3gpuE9ELNS1_3repE0EEENS1_59segmented_radix_sort_warp_sort_small_config_static_selectorELNS0_4arch9wavefront6targetE1EEEvSK_.kd
    .uniform_work_group_size: 1
    .uses_dynamic_stack: false
    .vgpr_count:     0
    .vgpr_spill_count: 0
    .wavefront_size: 64
  - .args:
      - .offset:         0
        .size:           88
        .value_kind:     by_value
    .group_segment_fixed_size: 0
    .kernarg_segment_align: 8
    .kernarg_segment_size: 88
    .language:       OpenCL C
    .language_version:
      - 2
      - 0
    .max_flat_workgroup_size: 256
    .name:           _ZN7rocprim17ROCPRIM_400000_NS6detail17trampoline_kernelINS0_14default_configENS1_36segmented_radix_sort_config_selectorIflEEZNS1_25segmented_radix_sort_implIS3_Lb0EPKfPfPKlPlN2at6native12_GLOBAL__N_18offset_tEEE10hipError_tPvRmT1_PNSt15iterator_traitsISK_E10value_typeET2_T3_PNSL_ISQ_E10value_typeET4_jRbjT5_SW_jjP12ihipStream_tbEUlT_E1_NS1_11comp_targetILNS1_3genE4ELNS1_11target_archE910ELNS1_3gpuE8ELNS1_3repE0EEENS1_59segmented_radix_sort_warp_sort_small_config_static_selectorELNS0_4arch9wavefront6targetE1EEEvSK_
    .private_segment_fixed_size: 0
    .sgpr_count:     4
    .sgpr_spill_count: 0
    .symbol:         _ZN7rocprim17ROCPRIM_400000_NS6detail17trampoline_kernelINS0_14default_configENS1_36segmented_radix_sort_config_selectorIflEEZNS1_25segmented_radix_sort_implIS3_Lb0EPKfPfPKlPlN2at6native12_GLOBAL__N_18offset_tEEE10hipError_tPvRmT1_PNSt15iterator_traitsISK_E10value_typeET2_T3_PNSL_ISQ_E10value_typeET4_jRbjT5_SW_jjP12ihipStream_tbEUlT_E1_NS1_11comp_targetILNS1_3genE4ELNS1_11target_archE910ELNS1_3gpuE8ELNS1_3repE0EEENS1_59segmented_radix_sort_warp_sort_small_config_static_selectorELNS0_4arch9wavefront6targetE1EEEvSK_.kd
    .uniform_work_group_size: 1
    .uses_dynamic_stack: false
    .vgpr_count:     0
    .vgpr_spill_count: 0
    .wavefront_size: 64
  - .args:
      - .offset:         0
        .size:           88
        .value_kind:     by_value
    .group_segment_fixed_size: 0
    .kernarg_segment_align: 8
    .kernarg_segment_size: 88
    .language:       OpenCL C
    .language_version:
      - 2
      - 0
    .max_flat_workgroup_size: 256
    .name:           _ZN7rocprim17ROCPRIM_400000_NS6detail17trampoline_kernelINS0_14default_configENS1_36segmented_radix_sort_config_selectorIflEEZNS1_25segmented_radix_sort_implIS3_Lb0EPKfPfPKlPlN2at6native12_GLOBAL__N_18offset_tEEE10hipError_tPvRmT1_PNSt15iterator_traitsISK_E10value_typeET2_T3_PNSL_ISQ_E10value_typeET4_jRbjT5_SW_jjP12ihipStream_tbEUlT_E1_NS1_11comp_targetILNS1_3genE3ELNS1_11target_archE908ELNS1_3gpuE7ELNS1_3repE0EEENS1_59segmented_radix_sort_warp_sort_small_config_static_selectorELNS0_4arch9wavefront6targetE1EEEvSK_
    .private_segment_fixed_size: 0
    .sgpr_count:     4
    .sgpr_spill_count: 0
    .symbol:         _ZN7rocprim17ROCPRIM_400000_NS6detail17trampoline_kernelINS0_14default_configENS1_36segmented_radix_sort_config_selectorIflEEZNS1_25segmented_radix_sort_implIS3_Lb0EPKfPfPKlPlN2at6native12_GLOBAL__N_18offset_tEEE10hipError_tPvRmT1_PNSt15iterator_traitsISK_E10value_typeET2_T3_PNSL_ISQ_E10value_typeET4_jRbjT5_SW_jjP12ihipStream_tbEUlT_E1_NS1_11comp_targetILNS1_3genE3ELNS1_11target_archE908ELNS1_3gpuE7ELNS1_3repE0EEENS1_59segmented_radix_sort_warp_sort_small_config_static_selectorELNS0_4arch9wavefront6targetE1EEEvSK_.kd
    .uniform_work_group_size: 1
    .uses_dynamic_stack: false
    .vgpr_count:     0
    .vgpr_spill_count: 0
    .wavefront_size: 64
  - .args:
      - .offset:         0
        .size:           88
        .value_kind:     by_value
      - .offset:         88
        .size:           4
        .value_kind:     hidden_block_count_x
      - .offset:         92
        .size:           4
        .value_kind:     hidden_block_count_y
      - .offset:         96
        .size:           4
        .value_kind:     hidden_block_count_z
      - .offset:         100
        .size:           2
        .value_kind:     hidden_group_size_x
      - .offset:         102
        .size:           2
        .value_kind:     hidden_group_size_y
      - .offset:         104
        .size:           2
        .value_kind:     hidden_group_size_z
      - .offset:         106
        .size:           2
        .value_kind:     hidden_remainder_x
      - .offset:         108
        .size:           2
        .value_kind:     hidden_remainder_y
      - .offset:         110
        .size:           2
        .value_kind:     hidden_remainder_z
      - .offset:         128
        .size:           8
        .value_kind:     hidden_global_offset_x
      - .offset:         136
        .size:           8
        .value_kind:     hidden_global_offset_y
      - .offset:         144
        .size:           8
        .value_kind:     hidden_global_offset_z
      - .offset:         152
        .size:           2
        .value_kind:     hidden_grid_dims
    .group_segment_fixed_size: 12288
    .kernarg_segment_align: 8
    .kernarg_segment_size: 344
    .language:       OpenCL C
    .language_version:
      - 2
      - 0
    .max_flat_workgroup_size: 256
    .name:           _ZN7rocprim17ROCPRIM_400000_NS6detail17trampoline_kernelINS0_14default_configENS1_36segmented_radix_sort_config_selectorIflEEZNS1_25segmented_radix_sort_implIS3_Lb0EPKfPfPKlPlN2at6native12_GLOBAL__N_18offset_tEEE10hipError_tPvRmT1_PNSt15iterator_traitsISK_E10value_typeET2_T3_PNSL_ISQ_E10value_typeET4_jRbjT5_SW_jjP12ihipStream_tbEUlT_E1_NS1_11comp_targetILNS1_3genE2ELNS1_11target_archE906ELNS1_3gpuE6ELNS1_3repE0EEENS1_59segmented_radix_sort_warp_sort_small_config_static_selectorELNS0_4arch9wavefront6targetE1EEEvSK_
    .private_segment_fixed_size: 0
    .sgpr_count:     46
    .sgpr_spill_count: 0
    .symbol:         _ZN7rocprim17ROCPRIM_400000_NS6detail17trampoline_kernelINS0_14default_configENS1_36segmented_radix_sort_config_selectorIflEEZNS1_25segmented_radix_sort_implIS3_Lb0EPKfPfPKlPlN2at6native12_GLOBAL__N_18offset_tEEE10hipError_tPvRmT1_PNSt15iterator_traitsISK_E10value_typeET2_T3_PNSL_ISQ_E10value_typeET4_jRbjT5_SW_jjP12ihipStream_tbEUlT_E1_NS1_11comp_targetILNS1_3genE2ELNS1_11target_archE906ELNS1_3gpuE6ELNS1_3repE0EEENS1_59segmented_radix_sort_warp_sort_small_config_static_selectorELNS0_4arch9wavefront6targetE1EEEvSK_.kd
    .uniform_work_group_size: 1
    .uses_dynamic_stack: false
    .vgpr_count:     72
    .vgpr_spill_count: 0
    .wavefront_size: 64
  - .args:
      - .offset:         0
        .size:           88
        .value_kind:     by_value
    .group_segment_fixed_size: 0
    .kernarg_segment_align: 8
    .kernarg_segment_size: 88
    .language:       OpenCL C
    .language_version:
      - 2
      - 0
    .max_flat_workgroup_size: 256
    .name:           _ZN7rocprim17ROCPRIM_400000_NS6detail17trampoline_kernelINS0_14default_configENS1_36segmented_radix_sort_config_selectorIflEEZNS1_25segmented_radix_sort_implIS3_Lb0EPKfPfPKlPlN2at6native12_GLOBAL__N_18offset_tEEE10hipError_tPvRmT1_PNSt15iterator_traitsISK_E10value_typeET2_T3_PNSL_ISQ_E10value_typeET4_jRbjT5_SW_jjP12ihipStream_tbEUlT_E1_NS1_11comp_targetILNS1_3genE10ELNS1_11target_archE1201ELNS1_3gpuE5ELNS1_3repE0EEENS1_59segmented_radix_sort_warp_sort_small_config_static_selectorELNS0_4arch9wavefront6targetE1EEEvSK_
    .private_segment_fixed_size: 0
    .sgpr_count:     4
    .sgpr_spill_count: 0
    .symbol:         _ZN7rocprim17ROCPRIM_400000_NS6detail17trampoline_kernelINS0_14default_configENS1_36segmented_radix_sort_config_selectorIflEEZNS1_25segmented_radix_sort_implIS3_Lb0EPKfPfPKlPlN2at6native12_GLOBAL__N_18offset_tEEE10hipError_tPvRmT1_PNSt15iterator_traitsISK_E10value_typeET2_T3_PNSL_ISQ_E10value_typeET4_jRbjT5_SW_jjP12ihipStream_tbEUlT_E1_NS1_11comp_targetILNS1_3genE10ELNS1_11target_archE1201ELNS1_3gpuE5ELNS1_3repE0EEENS1_59segmented_radix_sort_warp_sort_small_config_static_selectorELNS0_4arch9wavefront6targetE1EEEvSK_.kd
    .uniform_work_group_size: 1
    .uses_dynamic_stack: false
    .vgpr_count:     0
    .vgpr_spill_count: 0
    .wavefront_size: 64
  - .args:
      - .offset:         0
        .size:           88
        .value_kind:     by_value
    .group_segment_fixed_size: 0
    .kernarg_segment_align: 8
    .kernarg_segment_size: 88
    .language:       OpenCL C
    .language_version:
      - 2
      - 0
    .max_flat_workgroup_size: 256
    .name:           _ZN7rocprim17ROCPRIM_400000_NS6detail17trampoline_kernelINS0_14default_configENS1_36segmented_radix_sort_config_selectorIflEEZNS1_25segmented_radix_sort_implIS3_Lb0EPKfPfPKlPlN2at6native12_GLOBAL__N_18offset_tEEE10hipError_tPvRmT1_PNSt15iterator_traitsISK_E10value_typeET2_T3_PNSL_ISQ_E10value_typeET4_jRbjT5_SW_jjP12ihipStream_tbEUlT_E1_NS1_11comp_targetILNS1_3genE10ELNS1_11target_archE1200ELNS1_3gpuE4ELNS1_3repE0EEENS1_59segmented_radix_sort_warp_sort_small_config_static_selectorELNS0_4arch9wavefront6targetE1EEEvSK_
    .private_segment_fixed_size: 0
    .sgpr_count:     4
    .sgpr_spill_count: 0
    .symbol:         _ZN7rocprim17ROCPRIM_400000_NS6detail17trampoline_kernelINS0_14default_configENS1_36segmented_radix_sort_config_selectorIflEEZNS1_25segmented_radix_sort_implIS3_Lb0EPKfPfPKlPlN2at6native12_GLOBAL__N_18offset_tEEE10hipError_tPvRmT1_PNSt15iterator_traitsISK_E10value_typeET2_T3_PNSL_ISQ_E10value_typeET4_jRbjT5_SW_jjP12ihipStream_tbEUlT_E1_NS1_11comp_targetILNS1_3genE10ELNS1_11target_archE1200ELNS1_3gpuE4ELNS1_3repE0EEENS1_59segmented_radix_sort_warp_sort_small_config_static_selectorELNS0_4arch9wavefront6targetE1EEEvSK_.kd
    .uniform_work_group_size: 1
    .uses_dynamic_stack: false
    .vgpr_count:     0
    .vgpr_spill_count: 0
    .wavefront_size: 64
  - .args:
      - .offset:         0
        .size:           88
        .value_kind:     by_value
    .group_segment_fixed_size: 0
    .kernarg_segment_align: 8
    .kernarg_segment_size: 88
    .language:       OpenCL C
    .language_version:
      - 2
      - 0
    .max_flat_workgroup_size: 256
    .name:           _ZN7rocprim17ROCPRIM_400000_NS6detail17trampoline_kernelINS0_14default_configENS1_36segmented_radix_sort_config_selectorIflEEZNS1_25segmented_radix_sort_implIS3_Lb0EPKfPfPKlPlN2at6native12_GLOBAL__N_18offset_tEEE10hipError_tPvRmT1_PNSt15iterator_traitsISK_E10value_typeET2_T3_PNSL_ISQ_E10value_typeET4_jRbjT5_SW_jjP12ihipStream_tbEUlT_E1_NS1_11comp_targetILNS1_3genE9ELNS1_11target_archE1100ELNS1_3gpuE3ELNS1_3repE0EEENS1_59segmented_radix_sort_warp_sort_small_config_static_selectorELNS0_4arch9wavefront6targetE1EEEvSK_
    .private_segment_fixed_size: 0
    .sgpr_count:     4
    .sgpr_spill_count: 0
    .symbol:         _ZN7rocprim17ROCPRIM_400000_NS6detail17trampoline_kernelINS0_14default_configENS1_36segmented_radix_sort_config_selectorIflEEZNS1_25segmented_radix_sort_implIS3_Lb0EPKfPfPKlPlN2at6native12_GLOBAL__N_18offset_tEEE10hipError_tPvRmT1_PNSt15iterator_traitsISK_E10value_typeET2_T3_PNSL_ISQ_E10value_typeET4_jRbjT5_SW_jjP12ihipStream_tbEUlT_E1_NS1_11comp_targetILNS1_3genE9ELNS1_11target_archE1100ELNS1_3gpuE3ELNS1_3repE0EEENS1_59segmented_radix_sort_warp_sort_small_config_static_selectorELNS0_4arch9wavefront6targetE1EEEvSK_.kd
    .uniform_work_group_size: 1
    .uses_dynamic_stack: false
    .vgpr_count:     0
    .vgpr_spill_count: 0
    .wavefront_size: 64
  - .args:
      - .offset:         0
        .size:           88
        .value_kind:     by_value
    .group_segment_fixed_size: 0
    .kernarg_segment_align: 8
    .kernarg_segment_size: 88
    .language:       OpenCL C
    .language_version:
      - 2
      - 0
    .max_flat_workgroup_size: 256
    .name:           _ZN7rocprim17ROCPRIM_400000_NS6detail17trampoline_kernelINS0_14default_configENS1_36segmented_radix_sort_config_selectorIflEEZNS1_25segmented_radix_sort_implIS3_Lb0EPKfPfPKlPlN2at6native12_GLOBAL__N_18offset_tEEE10hipError_tPvRmT1_PNSt15iterator_traitsISK_E10value_typeET2_T3_PNSL_ISQ_E10value_typeET4_jRbjT5_SW_jjP12ihipStream_tbEUlT_E1_NS1_11comp_targetILNS1_3genE8ELNS1_11target_archE1030ELNS1_3gpuE2ELNS1_3repE0EEENS1_59segmented_radix_sort_warp_sort_small_config_static_selectorELNS0_4arch9wavefront6targetE1EEEvSK_
    .private_segment_fixed_size: 0
    .sgpr_count:     4
    .sgpr_spill_count: 0
    .symbol:         _ZN7rocprim17ROCPRIM_400000_NS6detail17trampoline_kernelINS0_14default_configENS1_36segmented_radix_sort_config_selectorIflEEZNS1_25segmented_radix_sort_implIS3_Lb0EPKfPfPKlPlN2at6native12_GLOBAL__N_18offset_tEEE10hipError_tPvRmT1_PNSt15iterator_traitsISK_E10value_typeET2_T3_PNSL_ISQ_E10value_typeET4_jRbjT5_SW_jjP12ihipStream_tbEUlT_E1_NS1_11comp_targetILNS1_3genE8ELNS1_11target_archE1030ELNS1_3gpuE2ELNS1_3repE0EEENS1_59segmented_radix_sort_warp_sort_small_config_static_selectorELNS0_4arch9wavefront6targetE1EEEvSK_.kd
    .uniform_work_group_size: 1
    .uses_dynamic_stack: false
    .vgpr_count:     0
    .vgpr_spill_count: 0
    .wavefront_size: 64
  - .args:
      - .offset:         0
        .size:           80
        .value_kind:     by_value
    .group_segment_fixed_size: 0
    .kernarg_segment_align: 8
    .kernarg_segment_size: 80
    .language:       OpenCL C
    .language_version:
      - 2
      - 0
    .max_flat_workgroup_size: 256
    .name:           _ZN7rocprim17ROCPRIM_400000_NS6detail17trampoline_kernelINS0_14default_configENS1_36segmented_radix_sort_config_selectorIflEEZNS1_25segmented_radix_sort_implIS3_Lb0EPKfPfPKlPlN2at6native12_GLOBAL__N_18offset_tEEE10hipError_tPvRmT1_PNSt15iterator_traitsISK_E10value_typeET2_T3_PNSL_ISQ_E10value_typeET4_jRbjT5_SW_jjP12ihipStream_tbEUlT_E2_NS1_11comp_targetILNS1_3genE0ELNS1_11target_archE4294967295ELNS1_3gpuE0ELNS1_3repE0EEENS1_30default_config_static_selectorELNS0_4arch9wavefront6targetE1EEEvSK_
    .private_segment_fixed_size: 0
    .sgpr_count:     4
    .sgpr_spill_count: 0
    .symbol:         _ZN7rocprim17ROCPRIM_400000_NS6detail17trampoline_kernelINS0_14default_configENS1_36segmented_radix_sort_config_selectorIflEEZNS1_25segmented_radix_sort_implIS3_Lb0EPKfPfPKlPlN2at6native12_GLOBAL__N_18offset_tEEE10hipError_tPvRmT1_PNSt15iterator_traitsISK_E10value_typeET2_T3_PNSL_ISQ_E10value_typeET4_jRbjT5_SW_jjP12ihipStream_tbEUlT_E2_NS1_11comp_targetILNS1_3genE0ELNS1_11target_archE4294967295ELNS1_3gpuE0ELNS1_3repE0EEENS1_30default_config_static_selectorELNS0_4arch9wavefront6targetE1EEEvSK_.kd
    .uniform_work_group_size: 1
    .uses_dynamic_stack: false
    .vgpr_count:     0
    .vgpr_spill_count: 0
    .wavefront_size: 64
  - .args:
      - .offset:         0
        .size:           80
        .value_kind:     by_value
    .group_segment_fixed_size: 0
    .kernarg_segment_align: 8
    .kernarg_segment_size: 80
    .language:       OpenCL C
    .language_version:
      - 2
      - 0
    .max_flat_workgroup_size: 256
    .name:           _ZN7rocprim17ROCPRIM_400000_NS6detail17trampoline_kernelINS0_14default_configENS1_36segmented_radix_sort_config_selectorIflEEZNS1_25segmented_radix_sort_implIS3_Lb0EPKfPfPKlPlN2at6native12_GLOBAL__N_18offset_tEEE10hipError_tPvRmT1_PNSt15iterator_traitsISK_E10value_typeET2_T3_PNSL_ISQ_E10value_typeET4_jRbjT5_SW_jjP12ihipStream_tbEUlT_E2_NS1_11comp_targetILNS1_3genE5ELNS1_11target_archE942ELNS1_3gpuE9ELNS1_3repE0EEENS1_30default_config_static_selectorELNS0_4arch9wavefront6targetE1EEEvSK_
    .private_segment_fixed_size: 0
    .sgpr_count:     4
    .sgpr_spill_count: 0
    .symbol:         _ZN7rocprim17ROCPRIM_400000_NS6detail17trampoline_kernelINS0_14default_configENS1_36segmented_radix_sort_config_selectorIflEEZNS1_25segmented_radix_sort_implIS3_Lb0EPKfPfPKlPlN2at6native12_GLOBAL__N_18offset_tEEE10hipError_tPvRmT1_PNSt15iterator_traitsISK_E10value_typeET2_T3_PNSL_ISQ_E10value_typeET4_jRbjT5_SW_jjP12ihipStream_tbEUlT_E2_NS1_11comp_targetILNS1_3genE5ELNS1_11target_archE942ELNS1_3gpuE9ELNS1_3repE0EEENS1_30default_config_static_selectorELNS0_4arch9wavefront6targetE1EEEvSK_.kd
    .uniform_work_group_size: 1
    .uses_dynamic_stack: false
    .vgpr_count:     0
    .vgpr_spill_count: 0
    .wavefront_size: 64
  - .args:
      - .offset:         0
        .size:           80
        .value_kind:     by_value
    .group_segment_fixed_size: 0
    .kernarg_segment_align: 8
    .kernarg_segment_size: 80
    .language:       OpenCL C
    .language_version:
      - 2
      - 0
    .max_flat_workgroup_size: 256
    .name:           _ZN7rocprim17ROCPRIM_400000_NS6detail17trampoline_kernelINS0_14default_configENS1_36segmented_radix_sort_config_selectorIflEEZNS1_25segmented_radix_sort_implIS3_Lb0EPKfPfPKlPlN2at6native12_GLOBAL__N_18offset_tEEE10hipError_tPvRmT1_PNSt15iterator_traitsISK_E10value_typeET2_T3_PNSL_ISQ_E10value_typeET4_jRbjT5_SW_jjP12ihipStream_tbEUlT_E2_NS1_11comp_targetILNS1_3genE4ELNS1_11target_archE910ELNS1_3gpuE8ELNS1_3repE0EEENS1_30default_config_static_selectorELNS0_4arch9wavefront6targetE1EEEvSK_
    .private_segment_fixed_size: 0
    .sgpr_count:     4
    .sgpr_spill_count: 0
    .symbol:         _ZN7rocprim17ROCPRIM_400000_NS6detail17trampoline_kernelINS0_14default_configENS1_36segmented_radix_sort_config_selectorIflEEZNS1_25segmented_radix_sort_implIS3_Lb0EPKfPfPKlPlN2at6native12_GLOBAL__N_18offset_tEEE10hipError_tPvRmT1_PNSt15iterator_traitsISK_E10value_typeET2_T3_PNSL_ISQ_E10value_typeET4_jRbjT5_SW_jjP12ihipStream_tbEUlT_E2_NS1_11comp_targetILNS1_3genE4ELNS1_11target_archE910ELNS1_3gpuE8ELNS1_3repE0EEENS1_30default_config_static_selectorELNS0_4arch9wavefront6targetE1EEEvSK_.kd
    .uniform_work_group_size: 1
    .uses_dynamic_stack: false
    .vgpr_count:     0
    .vgpr_spill_count: 0
    .wavefront_size: 64
  - .args:
      - .offset:         0
        .size:           80
        .value_kind:     by_value
    .group_segment_fixed_size: 0
    .kernarg_segment_align: 8
    .kernarg_segment_size: 80
    .language:       OpenCL C
    .language_version:
      - 2
      - 0
    .max_flat_workgroup_size: 256
    .name:           _ZN7rocprim17ROCPRIM_400000_NS6detail17trampoline_kernelINS0_14default_configENS1_36segmented_radix_sort_config_selectorIflEEZNS1_25segmented_radix_sort_implIS3_Lb0EPKfPfPKlPlN2at6native12_GLOBAL__N_18offset_tEEE10hipError_tPvRmT1_PNSt15iterator_traitsISK_E10value_typeET2_T3_PNSL_ISQ_E10value_typeET4_jRbjT5_SW_jjP12ihipStream_tbEUlT_E2_NS1_11comp_targetILNS1_3genE3ELNS1_11target_archE908ELNS1_3gpuE7ELNS1_3repE0EEENS1_30default_config_static_selectorELNS0_4arch9wavefront6targetE1EEEvSK_
    .private_segment_fixed_size: 0
    .sgpr_count:     4
    .sgpr_spill_count: 0
    .symbol:         _ZN7rocprim17ROCPRIM_400000_NS6detail17trampoline_kernelINS0_14default_configENS1_36segmented_radix_sort_config_selectorIflEEZNS1_25segmented_radix_sort_implIS3_Lb0EPKfPfPKlPlN2at6native12_GLOBAL__N_18offset_tEEE10hipError_tPvRmT1_PNSt15iterator_traitsISK_E10value_typeET2_T3_PNSL_ISQ_E10value_typeET4_jRbjT5_SW_jjP12ihipStream_tbEUlT_E2_NS1_11comp_targetILNS1_3genE3ELNS1_11target_archE908ELNS1_3gpuE7ELNS1_3repE0EEENS1_30default_config_static_selectorELNS0_4arch9wavefront6targetE1EEEvSK_.kd
    .uniform_work_group_size: 1
    .uses_dynamic_stack: false
    .vgpr_count:     0
    .vgpr_spill_count: 0
    .wavefront_size: 64
  - .args:
      - .offset:         0
        .size:           80
        .value_kind:     by_value
      - .offset:         80
        .size:           4
        .value_kind:     hidden_block_count_x
      - .offset:         84
        .size:           4
        .value_kind:     hidden_block_count_y
      - .offset:         88
        .size:           4
        .value_kind:     hidden_block_count_z
      - .offset:         92
        .size:           2
        .value_kind:     hidden_group_size_x
      - .offset:         94
        .size:           2
        .value_kind:     hidden_group_size_y
      - .offset:         96
        .size:           2
        .value_kind:     hidden_group_size_z
      - .offset:         98
        .size:           2
        .value_kind:     hidden_remainder_x
      - .offset:         100
        .size:           2
        .value_kind:     hidden_remainder_y
      - .offset:         102
        .size:           2
        .value_kind:     hidden_remainder_z
      - .offset:         120
        .size:           8
        .value_kind:     hidden_global_offset_x
      - .offset:         128
        .size:           8
        .value_kind:     hidden_global_offset_y
      - .offset:         136
        .size:           8
        .value_kind:     hidden_global_offset_z
      - .offset:         144
        .size:           2
        .value_kind:     hidden_grid_dims
    .group_segment_fixed_size: 17424
    .kernarg_segment_align: 8
    .kernarg_segment_size: 336
    .language:       OpenCL C
    .language_version:
      - 2
      - 0
    .max_flat_workgroup_size: 256
    .name:           _ZN7rocprim17ROCPRIM_400000_NS6detail17trampoline_kernelINS0_14default_configENS1_36segmented_radix_sort_config_selectorIflEEZNS1_25segmented_radix_sort_implIS3_Lb0EPKfPfPKlPlN2at6native12_GLOBAL__N_18offset_tEEE10hipError_tPvRmT1_PNSt15iterator_traitsISK_E10value_typeET2_T3_PNSL_ISQ_E10value_typeET4_jRbjT5_SW_jjP12ihipStream_tbEUlT_E2_NS1_11comp_targetILNS1_3genE2ELNS1_11target_archE906ELNS1_3gpuE6ELNS1_3repE0EEENS1_30default_config_static_selectorELNS0_4arch9wavefront6targetE1EEEvSK_
    .private_segment_fixed_size: 0
    .sgpr_count:     85
    .sgpr_spill_count: 0
    .symbol:         _ZN7rocprim17ROCPRIM_400000_NS6detail17trampoline_kernelINS0_14default_configENS1_36segmented_radix_sort_config_selectorIflEEZNS1_25segmented_radix_sort_implIS3_Lb0EPKfPfPKlPlN2at6native12_GLOBAL__N_18offset_tEEE10hipError_tPvRmT1_PNSt15iterator_traitsISK_E10value_typeET2_T3_PNSL_ISQ_E10value_typeET4_jRbjT5_SW_jjP12ihipStream_tbEUlT_E2_NS1_11comp_targetILNS1_3genE2ELNS1_11target_archE906ELNS1_3gpuE6ELNS1_3repE0EEENS1_30default_config_static_selectorELNS0_4arch9wavefront6targetE1EEEvSK_.kd
    .uniform_work_group_size: 1
    .uses_dynamic_stack: false
    .vgpr_count:     178
    .vgpr_spill_count: 0
    .wavefront_size: 64
  - .args:
      - .offset:         0
        .size:           80
        .value_kind:     by_value
    .group_segment_fixed_size: 0
    .kernarg_segment_align: 8
    .kernarg_segment_size: 80
    .language:       OpenCL C
    .language_version:
      - 2
      - 0
    .max_flat_workgroup_size: 256
    .name:           _ZN7rocprim17ROCPRIM_400000_NS6detail17trampoline_kernelINS0_14default_configENS1_36segmented_radix_sort_config_selectorIflEEZNS1_25segmented_radix_sort_implIS3_Lb0EPKfPfPKlPlN2at6native12_GLOBAL__N_18offset_tEEE10hipError_tPvRmT1_PNSt15iterator_traitsISK_E10value_typeET2_T3_PNSL_ISQ_E10value_typeET4_jRbjT5_SW_jjP12ihipStream_tbEUlT_E2_NS1_11comp_targetILNS1_3genE10ELNS1_11target_archE1201ELNS1_3gpuE5ELNS1_3repE0EEENS1_30default_config_static_selectorELNS0_4arch9wavefront6targetE1EEEvSK_
    .private_segment_fixed_size: 0
    .sgpr_count:     4
    .sgpr_spill_count: 0
    .symbol:         _ZN7rocprim17ROCPRIM_400000_NS6detail17trampoline_kernelINS0_14default_configENS1_36segmented_radix_sort_config_selectorIflEEZNS1_25segmented_radix_sort_implIS3_Lb0EPKfPfPKlPlN2at6native12_GLOBAL__N_18offset_tEEE10hipError_tPvRmT1_PNSt15iterator_traitsISK_E10value_typeET2_T3_PNSL_ISQ_E10value_typeET4_jRbjT5_SW_jjP12ihipStream_tbEUlT_E2_NS1_11comp_targetILNS1_3genE10ELNS1_11target_archE1201ELNS1_3gpuE5ELNS1_3repE0EEENS1_30default_config_static_selectorELNS0_4arch9wavefront6targetE1EEEvSK_.kd
    .uniform_work_group_size: 1
    .uses_dynamic_stack: false
    .vgpr_count:     0
    .vgpr_spill_count: 0
    .wavefront_size: 64
  - .args:
      - .offset:         0
        .size:           80
        .value_kind:     by_value
    .group_segment_fixed_size: 0
    .kernarg_segment_align: 8
    .kernarg_segment_size: 80
    .language:       OpenCL C
    .language_version:
      - 2
      - 0
    .max_flat_workgroup_size: 128
    .name:           _ZN7rocprim17ROCPRIM_400000_NS6detail17trampoline_kernelINS0_14default_configENS1_36segmented_radix_sort_config_selectorIflEEZNS1_25segmented_radix_sort_implIS3_Lb0EPKfPfPKlPlN2at6native12_GLOBAL__N_18offset_tEEE10hipError_tPvRmT1_PNSt15iterator_traitsISK_E10value_typeET2_T3_PNSL_ISQ_E10value_typeET4_jRbjT5_SW_jjP12ihipStream_tbEUlT_E2_NS1_11comp_targetILNS1_3genE10ELNS1_11target_archE1200ELNS1_3gpuE4ELNS1_3repE0EEENS1_30default_config_static_selectorELNS0_4arch9wavefront6targetE1EEEvSK_
    .private_segment_fixed_size: 0
    .sgpr_count:     4
    .sgpr_spill_count: 0
    .symbol:         _ZN7rocprim17ROCPRIM_400000_NS6detail17trampoline_kernelINS0_14default_configENS1_36segmented_radix_sort_config_selectorIflEEZNS1_25segmented_radix_sort_implIS3_Lb0EPKfPfPKlPlN2at6native12_GLOBAL__N_18offset_tEEE10hipError_tPvRmT1_PNSt15iterator_traitsISK_E10value_typeET2_T3_PNSL_ISQ_E10value_typeET4_jRbjT5_SW_jjP12ihipStream_tbEUlT_E2_NS1_11comp_targetILNS1_3genE10ELNS1_11target_archE1200ELNS1_3gpuE4ELNS1_3repE0EEENS1_30default_config_static_selectorELNS0_4arch9wavefront6targetE1EEEvSK_.kd
    .uniform_work_group_size: 1
    .uses_dynamic_stack: false
    .vgpr_count:     0
    .vgpr_spill_count: 0
    .wavefront_size: 64
  - .args:
      - .offset:         0
        .size:           80
        .value_kind:     by_value
    .group_segment_fixed_size: 0
    .kernarg_segment_align: 8
    .kernarg_segment_size: 80
    .language:       OpenCL C
    .language_version:
      - 2
      - 0
    .max_flat_workgroup_size: 256
    .name:           _ZN7rocprim17ROCPRIM_400000_NS6detail17trampoline_kernelINS0_14default_configENS1_36segmented_radix_sort_config_selectorIflEEZNS1_25segmented_radix_sort_implIS3_Lb0EPKfPfPKlPlN2at6native12_GLOBAL__N_18offset_tEEE10hipError_tPvRmT1_PNSt15iterator_traitsISK_E10value_typeET2_T3_PNSL_ISQ_E10value_typeET4_jRbjT5_SW_jjP12ihipStream_tbEUlT_E2_NS1_11comp_targetILNS1_3genE9ELNS1_11target_archE1100ELNS1_3gpuE3ELNS1_3repE0EEENS1_30default_config_static_selectorELNS0_4arch9wavefront6targetE1EEEvSK_
    .private_segment_fixed_size: 0
    .sgpr_count:     4
    .sgpr_spill_count: 0
    .symbol:         _ZN7rocprim17ROCPRIM_400000_NS6detail17trampoline_kernelINS0_14default_configENS1_36segmented_radix_sort_config_selectorIflEEZNS1_25segmented_radix_sort_implIS3_Lb0EPKfPfPKlPlN2at6native12_GLOBAL__N_18offset_tEEE10hipError_tPvRmT1_PNSt15iterator_traitsISK_E10value_typeET2_T3_PNSL_ISQ_E10value_typeET4_jRbjT5_SW_jjP12ihipStream_tbEUlT_E2_NS1_11comp_targetILNS1_3genE9ELNS1_11target_archE1100ELNS1_3gpuE3ELNS1_3repE0EEENS1_30default_config_static_selectorELNS0_4arch9wavefront6targetE1EEEvSK_.kd
    .uniform_work_group_size: 1
    .uses_dynamic_stack: false
    .vgpr_count:     0
    .vgpr_spill_count: 0
    .wavefront_size: 64
  - .args:
      - .offset:         0
        .size:           80
        .value_kind:     by_value
    .group_segment_fixed_size: 0
    .kernarg_segment_align: 8
    .kernarg_segment_size: 80
    .language:       OpenCL C
    .language_version:
      - 2
      - 0
    .max_flat_workgroup_size: 256
    .name:           _ZN7rocprim17ROCPRIM_400000_NS6detail17trampoline_kernelINS0_14default_configENS1_36segmented_radix_sort_config_selectorIflEEZNS1_25segmented_radix_sort_implIS3_Lb0EPKfPfPKlPlN2at6native12_GLOBAL__N_18offset_tEEE10hipError_tPvRmT1_PNSt15iterator_traitsISK_E10value_typeET2_T3_PNSL_ISQ_E10value_typeET4_jRbjT5_SW_jjP12ihipStream_tbEUlT_E2_NS1_11comp_targetILNS1_3genE8ELNS1_11target_archE1030ELNS1_3gpuE2ELNS1_3repE0EEENS1_30default_config_static_selectorELNS0_4arch9wavefront6targetE1EEEvSK_
    .private_segment_fixed_size: 0
    .sgpr_count:     4
    .sgpr_spill_count: 0
    .symbol:         _ZN7rocprim17ROCPRIM_400000_NS6detail17trampoline_kernelINS0_14default_configENS1_36segmented_radix_sort_config_selectorIflEEZNS1_25segmented_radix_sort_implIS3_Lb0EPKfPfPKlPlN2at6native12_GLOBAL__N_18offset_tEEE10hipError_tPvRmT1_PNSt15iterator_traitsISK_E10value_typeET2_T3_PNSL_ISQ_E10value_typeET4_jRbjT5_SW_jjP12ihipStream_tbEUlT_E2_NS1_11comp_targetILNS1_3genE8ELNS1_11target_archE1030ELNS1_3gpuE2ELNS1_3repE0EEENS1_30default_config_static_selectorELNS0_4arch9wavefront6targetE1EEEvSK_.kd
    .uniform_work_group_size: 1
    .uses_dynamic_stack: false
    .vgpr_count:     0
    .vgpr_spill_count: 0
    .wavefront_size: 64
  - .args:
      - .address_space:  global
        .offset:         0
        .size:           8
        .value_kind:     global_buffer
      - .address_space:  global
        .offset:         8
        .size:           8
        .value_kind:     global_buffer
      - .address_space:  global
        .offset:         16
        .size:           8
        .value_kind:     global_buffer
      - .address_space:  global
        .offset:         24
        .size:           8
        .value_kind:     global_buffer
      - .offset:         32
        .size:           4
        .value_kind:     by_value
      - .offset:         36
        .size:           4
        .value_kind:     by_value
      - .offset:         40
        .size:           4
        .value_kind:     hidden_block_count_x
      - .offset:         44
        .size:           4
        .value_kind:     hidden_block_count_y
      - .offset:         48
        .size:           4
        .value_kind:     hidden_block_count_z
      - .offset:         52
        .size:           2
        .value_kind:     hidden_group_size_x
      - .offset:         54
        .size:           2
        .value_kind:     hidden_group_size_y
      - .offset:         56
        .size:           2
        .value_kind:     hidden_group_size_z
      - .offset:         58
        .size:           2
        .value_kind:     hidden_remainder_x
      - .offset:         60
        .size:           2
        .value_kind:     hidden_remainder_y
      - .offset:         62
        .size:           2
        .value_kind:     hidden_remainder_z
      - .offset:         80
        .size:           8
        .value_kind:     hidden_global_offset_x
      - .offset:         88
        .size:           8
        .value_kind:     hidden_global_offset_y
      - .offset:         96
        .size:           8
        .value_kind:     hidden_global_offset_z
      - .offset:         104
        .size:           2
        .value_kind:     hidden_grid_dims
    .group_segment_fixed_size: 0
    .kernarg_segment_align: 8
    .kernarg_segment_size: 296
    .language:       OpenCL C
    .language_version:
      - 2
      - 0
    .max_flat_workgroup_size: 1024
    .name:           _ZN2at6native12_GLOBAL__N_123sort_postprocess_kernelIbEEvPKT_PS3_PlPK15HIP_vector_typeIiLj2EEii
    .private_segment_fixed_size: 0
    .sgpr_count:     23
    .sgpr_spill_count: 0
    .symbol:         _ZN2at6native12_GLOBAL__N_123sort_postprocess_kernelIbEEvPKT_PS3_PlPK15HIP_vector_typeIiLj2EEii.kd
    .uniform_work_group_size: 1
    .uses_dynamic_stack: false
    .vgpr_count:     20
    .vgpr_spill_count: 0
    .wavefront_size: 64
  - .args:
      - .offset:         0
        .size:           176
        .value_kind:     by_value
    .group_segment_fixed_size: 0
    .kernarg_segment_align: 8
    .kernarg_segment_size: 176
    .language:       OpenCL C
    .language_version:
      - 2
      - 0
    .max_flat_workgroup_size: 256
    .name:           _ZN7rocprim17ROCPRIM_400000_NS6detail17trampoline_kernelINS0_13select_configILj256ELj13ELNS0_17block_load_methodE3ELS4_3ELS4_3ELNS0_20block_scan_algorithmE0ELj4294967295EEENS1_25partition_config_selectorILNS1_17partition_subalgoE4EjNS0_10empty_typeEbEEZZNS1_14partition_implILS8_4ELb0ES6_15HIP_vector_typeIjLj2EENS0_17counting_iteratorIjlEEPS9_SG_NS0_5tupleIJPjSI_NS0_16reverse_iteratorISI_EEEEENSH_IJSG_SG_SG_EEES9_SI_JZNS1_25segmented_radix_sort_implINS0_14default_configELb1EPKbPbPKlPlN2at6native12_GLOBAL__N_18offset_tEEE10hipError_tPvRmT1_PNSt15iterator_traitsIS12_E10value_typeET2_T3_PNS13_IS18_E10value_typeET4_jRbjT5_S1E_jjP12ihipStream_tbEUljE_ZNSN_ISO_Lb1ESQ_SR_ST_SU_SY_EESZ_S10_S11_S12_S16_S17_S18_S1B_S1C_jS1D_jS1E_S1E_jjS1G_bEUljE0_EEESZ_S10_S11_S18_S1C_S1E_T6_T7_T9_mT8_S1G_bDpT10_ENKUlT_T0_E_clISt17integral_constantIbLb0EES1U_EEDaS1P_S1Q_EUlS1P_E_NS1_11comp_targetILNS1_3genE0ELNS1_11target_archE4294967295ELNS1_3gpuE0ELNS1_3repE0EEENS1_30default_config_static_selectorELNS0_4arch9wavefront6targetE1EEEvS12_
    .private_segment_fixed_size: 0
    .sgpr_count:     4
    .sgpr_spill_count: 0
    .symbol:         _ZN7rocprim17ROCPRIM_400000_NS6detail17trampoline_kernelINS0_13select_configILj256ELj13ELNS0_17block_load_methodE3ELS4_3ELS4_3ELNS0_20block_scan_algorithmE0ELj4294967295EEENS1_25partition_config_selectorILNS1_17partition_subalgoE4EjNS0_10empty_typeEbEEZZNS1_14partition_implILS8_4ELb0ES6_15HIP_vector_typeIjLj2EENS0_17counting_iteratorIjlEEPS9_SG_NS0_5tupleIJPjSI_NS0_16reverse_iteratorISI_EEEEENSH_IJSG_SG_SG_EEES9_SI_JZNS1_25segmented_radix_sort_implINS0_14default_configELb1EPKbPbPKlPlN2at6native12_GLOBAL__N_18offset_tEEE10hipError_tPvRmT1_PNSt15iterator_traitsIS12_E10value_typeET2_T3_PNS13_IS18_E10value_typeET4_jRbjT5_S1E_jjP12ihipStream_tbEUljE_ZNSN_ISO_Lb1ESQ_SR_ST_SU_SY_EESZ_S10_S11_S12_S16_S17_S18_S1B_S1C_jS1D_jS1E_S1E_jjS1G_bEUljE0_EEESZ_S10_S11_S18_S1C_S1E_T6_T7_T9_mT8_S1G_bDpT10_ENKUlT_T0_E_clISt17integral_constantIbLb0EES1U_EEDaS1P_S1Q_EUlS1P_E_NS1_11comp_targetILNS1_3genE0ELNS1_11target_archE4294967295ELNS1_3gpuE0ELNS1_3repE0EEENS1_30default_config_static_selectorELNS0_4arch9wavefront6targetE1EEEvS12_.kd
    .uniform_work_group_size: 1
    .uses_dynamic_stack: false
    .vgpr_count:     0
    .vgpr_spill_count: 0
    .wavefront_size: 64
  - .args:
      - .offset:         0
        .size:           176
        .value_kind:     by_value
    .group_segment_fixed_size: 0
    .kernarg_segment_align: 8
    .kernarg_segment_size: 176
    .language:       OpenCL C
    .language_version:
      - 2
      - 0
    .max_flat_workgroup_size: 256
    .name:           _ZN7rocprim17ROCPRIM_400000_NS6detail17trampoline_kernelINS0_13select_configILj256ELj13ELNS0_17block_load_methodE3ELS4_3ELS4_3ELNS0_20block_scan_algorithmE0ELj4294967295EEENS1_25partition_config_selectorILNS1_17partition_subalgoE4EjNS0_10empty_typeEbEEZZNS1_14partition_implILS8_4ELb0ES6_15HIP_vector_typeIjLj2EENS0_17counting_iteratorIjlEEPS9_SG_NS0_5tupleIJPjSI_NS0_16reverse_iteratorISI_EEEEENSH_IJSG_SG_SG_EEES9_SI_JZNS1_25segmented_radix_sort_implINS0_14default_configELb1EPKbPbPKlPlN2at6native12_GLOBAL__N_18offset_tEEE10hipError_tPvRmT1_PNSt15iterator_traitsIS12_E10value_typeET2_T3_PNS13_IS18_E10value_typeET4_jRbjT5_S1E_jjP12ihipStream_tbEUljE_ZNSN_ISO_Lb1ESQ_SR_ST_SU_SY_EESZ_S10_S11_S12_S16_S17_S18_S1B_S1C_jS1D_jS1E_S1E_jjS1G_bEUljE0_EEESZ_S10_S11_S18_S1C_S1E_T6_T7_T9_mT8_S1G_bDpT10_ENKUlT_T0_E_clISt17integral_constantIbLb0EES1U_EEDaS1P_S1Q_EUlS1P_E_NS1_11comp_targetILNS1_3genE5ELNS1_11target_archE942ELNS1_3gpuE9ELNS1_3repE0EEENS1_30default_config_static_selectorELNS0_4arch9wavefront6targetE1EEEvS12_
    .private_segment_fixed_size: 0
    .sgpr_count:     4
    .sgpr_spill_count: 0
    .symbol:         _ZN7rocprim17ROCPRIM_400000_NS6detail17trampoline_kernelINS0_13select_configILj256ELj13ELNS0_17block_load_methodE3ELS4_3ELS4_3ELNS0_20block_scan_algorithmE0ELj4294967295EEENS1_25partition_config_selectorILNS1_17partition_subalgoE4EjNS0_10empty_typeEbEEZZNS1_14partition_implILS8_4ELb0ES6_15HIP_vector_typeIjLj2EENS0_17counting_iteratorIjlEEPS9_SG_NS0_5tupleIJPjSI_NS0_16reverse_iteratorISI_EEEEENSH_IJSG_SG_SG_EEES9_SI_JZNS1_25segmented_radix_sort_implINS0_14default_configELb1EPKbPbPKlPlN2at6native12_GLOBAL__N_18offset_tEEE10hipError_tPvRmT1_PNSt15iterator_traitsIS12_E10value_typeET2_T3_PNS13_IS18_E10value_typeET4_jRbjT5_S1E_jjP12ihipStream_tbEUljE_ZNSN_ISO_Lb1ESQ_SR_ST_SU_SY_EESZ_S10_S11_S12_S16_S17_S18_S1B_S1C_jS1D_jS1E_S1E_jjS1G_bEUljE0_EEESZ_S10_S11_S18_S1C_S1E_T6_T7_T9_mT8_S1G_bDpT10_ENKUlT_T0_E_clISt17integral_constantIbLb0EES1U_EEDaS1P_S1Q_EUlS1P_E_NS1_11comp_targetILNS1_3genE5ELNS1_11target_archE942ELNS1_3gpuE9ELNS1_3repE0EEENS1_30default_config_static_selectorELNS0_4arch9wavefront6targetE1EEEvS12_.kd
    .uniform_work_group_size: 1
    .uses_dynamic_stack: false
    .vgpr_count:     0
    .vgpr_spill_count: 0
    .wavefront_size: 64
  - .args:
      - .offset:         0
        .size:           176
        .value_kind:     by_value
    .group_segment_fixed_size: 0
    .kernarg_segment_align: 8
    .kernarg_segment_size: 176
    .language:       OpenCL C
    .language_version:
      - 2
      - 0
    .max_flat_workgroup_size: 256
    .name:           _ZN7rocprim17ROCPRIM_400000_NS6detail17trampoline_kernelINS0_13select_configILj256ELj13ELNS0_17block_load_methodE3ELS4_3ELS4_3ELNS0_20block_scan_algorithmE0ELj4294967295EEENS1_25partition_config_selectorILNS1_17partition_subalgoE4EjNS0_10empty_typeEbEEZZNS1_14partition_implILS8_4ELb0ES6_15HIP_vector_typeIjLj2EENS0_17counting_iteratorIjlEEPS9_SG_NS0_5tupleIJPjSI_NS0_16reverse_iteratorISI_EEEEENSH_IJSG_SG_SG_EEES9_SI_JZNS1_25segmented_radix_sort_implINS0_14default_configELb1EPKbPbPKlPlN2at6native12_GLOBAL__N_18offset_tEEE10hipError_tPvRmT1_PNSt15iterator_traitsIS12_E10value_typeET2_T3_PNS13_IS18_E10value_typeET4_jRbjT5_S1E_jjP12ihipStream_tbEUljE_ZNSN_ISO_Lb1ESQ_SR_ST_SU_SY_EESZ_S10_S11_S12_S16_S17_S18_S1B_S1C_jS1D_jS1E_S1E_jjS1G_bEUljE0_EEESZ_S10_S11_S18_S1C_S1E_T6_T7_T9_mT8_S1G_bDpT10_ENKUlT_T0_E_clISt17integral_constantIbLb0EES1U_EEDaS1P_S1Q_EUlS1P_E_NS1_11comp_targetILNS1_3genE4ELNS1_11target_archE910ELNS1_3gpuE8ELNS1_3repE0EEENS1_30default_config_static_selectorELNS0_4arch9wavefront6targetE1EEEvS12_
    .private_segment_fixed_size: 0
    .sgpr_count:     4
    .sgpr_spill_count: 0
    .symbol:         _ZN7rocprim17ROCPRIM_400000_NS6detail17trampoline_kernelINS0_13select_configILj256ELj13ELNS0_17block_load_methodE3ELS4_3ELS4_3ELNS0_20block_scan_algorithmE0ELj4294967295EEENS1_25partition_config_selectorILNS1_17partition_subalgoE4EjNS0_10empty_typeEbEEZZNS1_14partition_implILS8_4ELb0ES6_15HIP_vector_typeIjLj2EENS0_17counting_iteratorIjlEEPS9_SG_NS0_5tupleIJPjSI_NS0_16reverse_iteratorISI_EEEEENSH_IJSG_SG_SG_EEES9_SI_JZNS1_25segmented_radix_sort_implINS0_14default_configELb1EPKbPbPKlPlN2at6native12_GLOBAL__N_18offset_tEEE10hipError_tPvRmT1_PNSt15iterator_traitsIS12_E10value_typeET2_T3_PNS13_IS18_E10value_typeET4_jRbjT5_S1E_jjP12ihipStream_tbEUljE_ZNSN_ISO_Lb1ESQ_SR_ST_SU_SY_EESZ_S10_S11_S12_S16_S17_S18_S1B_S1C_jS1D_jS1E_S1E_jjS1G_bEUljE0_EEESZ_S10_S11_S18_S1C_S1E_T6_T7_T9_mT8_S1G_bDpT10_ENKUlT_T0_E_clISt17integral_constantIbLb0EES1U_EEDaS1P_S1Q_EUlS1P_E_NS1_11comp_targetILNS1_3genE4ELNS1_11target_archE910ELNS1_3gpuE8ELNS1_3repE0EEENS1_30default_config_static_selectorELNS0_4arch9wavefront6targetE1EEEvS12_.kd
    .uniform_work_group_size: 1
    .uses_dynamic_stack: false
    .vgpr_count:     0
    .vgpr_spill_count: 0
    .wavefront_size: 64
  - .args:
      - .offset:         0
        .size:           176
        .value_kind:     by_value
    .group_segment_fixed_size: 0
    .kernarg_segment_align: 8
    .kernarg_segment_size: 176
    .language:       OpenCL C
    .language_version:
      - 2
      - 0
    .max_flat_workgroup_size: 256
    .name:           _ZN7rocprim17ROCPRIM_400000_NS6detail17trampoline_kernelINS0_13select_configILj256ELj13ELNS0_17block_load_methodE3ELS4_3ELS4_3ELNS0_20block_scan_algorithmE0ELj4294967295EEENS1_25partition_config_selectorILNS1_17partition_subalgoE4EjNS0_10empty_typeEbEEZZNS1_14partition_implILS8_4ELb0ES6_15HIP_vector_typeIjLj2EENS0_17counting_iteratorIjlEEPS9_SG_NS0_5tupleIJPjSI_NS0_16reverse_iteratorISI_EEEEENSH_IJSG_SG_SG_EEES9_SI_JZNS1_25segmented_radix_sort_implINS0_14default_configELb1EPKbPbPKlPlN2at6native12_GLOBAL__N_18offset_tEEE10hipError_tPvRmT1_PNSt15iterator_traitsIS12_E10value_typeET2_T3_PNS13_IS18_E10value_typeET4_jRbjT5_S1E_jjP12ihipStream_tbEUljE_ZNSN_ISO_Lb1ESQ_SR_ST_SU_SY_EESZ_S10_S11_S12_S16_S17_S18_S1B_S1C_jS1D_jS1E_S1E_jjS1G_bEUljE0_EEESZ_S10_S11_S18_S1C_S1E_T6_T7_T9_mT8_S1G_bDpT10_ENKUlT_T0_E_clISt17integral_constantIbLb0EES1U_EEDaS1P_S1Q_EUlS1P_E_NS1_11comp_targetILNS1_3genE3ELNS1_11target_archE908ELNS1_3gpuE7ELNS1_3repE0EEENS1_30default_config_static_selectorELNS0_4arch9wavefront6targetE1EEEvS12_
    .private_segment_fixed_size: 0
    .sgpr_count:     4
    .sgpr_spill_count: 0
    .symbol:         _ZN7rocprim17ROCPRIM_400000_NS6detail17trampoline_kernelINS0_13select_configILj256ELj13ELNS0_17block_load_methodE3ELS4_3ELS4_3ELNS0_20block_scan_algorithmE0ELj4294967295EEENS1_25partition_config_selectorILNS1_17partition_subalgoE4EjNS0_10empty_typeEbEEZZNS1_14partition_implILS8_4ELb0ES6_15HIP_vector_typeIjLj2EENS0_17counting_iteratorIjlEEPS9_SG_NS0_5tupleIJPjSI_NS0_16reverse_iteratorISI_EEEEENSH_IJSG_SG_SG_EEES9_SI_JZNS1_25segmented_radix_sort_implINS0_14default_configELb1EPKbPbPKlPlN2at6native12_GLOBAL__N_18offset_tEEE10hipError_tPvRmT1_PNSt15iterator_traitsIS12_E10value_typeET2_T3_PNS13_IS18_E10value_typeET4_jRbjT5_S1E_jjP12ihipStream_tbEUljE_ZNSN_ISO_Lb1ESQ_SR_ST_SU_SY_EESZ_S10_S11_S12_S16_S17_S18_S1B_S1C_jS1D_jS1E_S1E_jjS1G_bEUljE0_EEESZ_S10_S11_S18_S1C_S1E_T6_T7_T9_mT8_S1G_bDpT10_ENKUlT_T0_E_clISt17integral_constantIbLb0EES1U_EEDaS1P_S1Q_EUlS1P_E_NS1_11comp_targetILNS1_3genE3ELNS1_11target_archE908ELNS1_3gpuE7ELNS1_3repE0EEENS1_30default_config_static_selectorELNS0_4arch9wavefront6targetE1EEEvS12_.kd
    .uniform_work_group_size: 1
    .uses_dynamic_stack: false
    .vgpr_count:     0
    .vgpr_spill_count: 0
    .wavefront_size: 64
  - .args:
      - .offset:         0
        .size:           176
        .value_kind:     by_value
    .group_segment_fixed_size: 13328
    .kernarg_segment_align: 8
    .kernarg_segment_size: 176
    .language:       OpenCL C
    .language_version:
      - 2
      - 0
    .max_flat_workgroup_size: 256
    .name:           _ZN7rocprim17ROCPRIM_400000_NS6detail17trampoline_kernelINS0_13select_configILj256ELj13ELNS0_17block_load_methodE3ELS4_3ELS4_3ELNS0_20block_scan_algorithmE0ELj4294967295EEENS1_25partition_config_selectorILNS1_17partition_subalgoE4EjNS0_10empty_typeEbEEZZNS1_14partition_implILS8_4ELb0ES6_15HIP_vector_typeIjLj2EENS0_17counting_iteratorIjlEEPS9_SG_NS0_5tupleIJPjSI_NS0_16reverse_iteratorISI_EEEEENSH_IJSG_SG_SG_EEES9_SI_JZNS1_25segmented_radix_sort_implINS0_14default_configELb1EPKbPbPKlPlN2at6native12_GLOBAL__N_18offset_tEEE10hipError_tPvRmT1_PNSt15iterator_traitsIS12_E10value_typeET2_T3_PNS13_IS18_E10value_typeET4_jRbjT5_S1E_jjP12ihipStream_tbEUljE_ZNSN_ISO_Lb1ESQ_SR_ST_SU_SY_EESZ_S10_S11_S12_S16_S17_S18_S1B_S1C_jS1D_jS1E_S1E_jjS1G_bEUljE0_EEESZ_S10_S11_S18_S1C_S1E_T6_T7_T9_mT8_S1G_bDpT10_ENKUlT_T0_E_clISt17integral_constantIbLb0EES1U_EEDaS1P_S1Q_EUlS1P_E_NS1_11comp_targetILNS1_3genE2ELNS1_11target_archE906ELNS1_3gpuE6ELNS1_3repE0EEENS1_30default_config_static_selectorELNS0_4arch9wavefront6targetE1EEEvS12_
    .private_segment_fixed_size: 0
    .sgpr_count:     94
    .sgpr_spill_count: 0
    .symbol:         _ZN7rocprim17ROCPRIM_400000_NS6detail17trampoline_kernelINS0_13select_configILj256ELj13ELNS0_17block_load_methodE3ELS4_3ELS4_3ELNS0_20block_scan_algorithmE0ELj4294967295EEENS1_25partition_config_selectorILNS1_17partition_subalgoE4EjNS0_10empty_typeEbEEZZNS1_14partition_implILS8_4ELb0ES6_15HIP_vector_typeIjLj2EENS0_17counting_iteratorIjlEEPS9_SG_NS0_5tupleIJPjSI_NS0_16reverse_iteratorISI_EEEEENSH_IJSG_SG_SG_EEES9_SI_JZNS1_25segmented_radix_sort_implINS0_14default_configELb1EPKbPbPKlPlN2at6native12_GLOBAL__N_18offset_tEEE10hipError_tPvRmT1_PNSt15iterator_traitsIS12_E10value_typeET2_T3_PNS13_IS18_E10value_typeET4_jRbjT5_S1E_jjP12ihipStream_tbEUljE_ZNSN_ISO_Lb1ESQ_SR_ST_SU_SY_EESZ_S10_S11_S12_S16_S17_S18_S1B_S1C_jS1D_jS1E_S1E_jjS1G_bEUljE0_EEESZ_S10_S11_S18_S1C_S1E_T6_T7_T9_mT8_S1G_bDpT10_ENKUlT_T0_E_clISt17integral_constantIbLb0EES1U_EEDaS1P_S1Q_EUlS1P_E_NS1_11comp_targetILNS1_3genE2ELNS1_11target_archE906ELNS1_3gpuE6ELNS1_3repE0EEENS1_30default_config_static_selectorELNS0_4arch9wavefront6targetE1EEEvS12_.kd
    .uniform_work_group_size: 1
    .uses_dynamic_stack: false
    .vgpr_count:     86
    .vgpr_spill_count: 0
    .wavefront_size: 64
  - .args:
      - .offset:         0
        .size:           176
        .value_kind:     by_value
    .group_segment_fixed_size: 0
    .kernarg_segment_align: 8
    .kernarg_segment_size: 176
    .language:       OpenCL C
    .language_version:
      - 2
      - 0
    .max_flat_workgroup_size: 256
    .name:           _ZN7rocprim17ROCPRIM_400000_NS6detail17trampoline_kernelINS0_13select_configILj256ELj13ELNS0_17block_load_methodE3ELS4_3ELS4_3ELNS0_20block_scan_algorithmE0ELj4294967295EEENS1_25partition_config_selectorILNS1_17partition_subalgoE4EjNS0_10empty_typeEbEEZZNS1_14partition_implILS8_4ELb0ES6_15HIP_vector_typeIjLj2EENS0_17counting_iteratorIjlEEPS9_SG_NS0_5tupleIJPjSI_NS0_16reverse_iteratorISI_EEEEENSH_IJSG_SG_SG_EEES9_SI_JZNS1_25segmented_radix_sort_implINS0_14default_configELb1EPKbPbPKlPlN2at6native12_GLOBAL__N_18offset_tEEE10hipError_tPvRmT1_PNSt15iterator_traitsIS12_E10value_typeET2_T3_PNS13_IS18_E10value_typeET4_jRbjT5_S1E_jjP12ihipStream_tbEUljE_ZNSN_ISO_Lb1ESQ_SR_ST_SU_SY_EESZ_S10_S11_S12_S16_S17_S18_S1B_S1C_jS1D_jS1E_S1E_jjS1G_bEUljE0_EEESZ_S10_S11_S18_S1C_S1E_T6_T7_T9_mT8_S1G_bDpT10_ENKUlT_T0_E_clISt17integral_constantIbLb0EES1U_EEDaS1P_S1Q_EUlS1P_E_NS1_11comp_targetILNS1_3genE10ELNS1_11target_archE1200ELNS1_3gpuE4ELNS1_3repE0EEENS1_30default_config_static_selectorELNS0_4arch9wavefront6targetE1EEEvS12_
    .private_segment_fixed_size: 0
    .sgpr_count:     4
    .sgpr_spill_count: 0
    .symbol:         _ZN7rocprim17ROCPRIM_400000_NS6detail17trampoline_kernelINS0_13select_configILj256ELj13ELNS0_17block_load_methodE3ELS4_3ELS4_3ELNS0_20block_scan_algorithmE0ELj4294967295EEENS1_25partition_config_selectorILNS1_17partition_subalgoE4EjNS0_10empty_typeEbEEZZNS1_14partition_implILS8_4ELb0ES6_15HIP_vector_typeIjLj2EENS0_17counting_iteratorIjlEEPS9_SG_NS0_5tupleIJPjSI_NS0_16reverse_iteratorISI_EEEEENSH_IJSG_SG_SG_EEES9_SI_JZNS1_25segmented_radix_sort_implINS0_14default_configELb1EPKbPbPKlPlN2at6native12_GLOBAL__N_18offset_tEEE10hipError_tPvRmT1_PNSt15iterator_traitsIS12_E10value_typeET2_T3_PNS13_IS18_E10value_typeET4_jRbjT5_S1E_jjP12ihipStream_tbEUljE_ZNSN_ISO_Lb1ESQ_SR_ST_SU_SY_EESZ_S10_S11_S12_S16_S17_S18_S1B_S1C_jS1D_jS1E_S1E_jjS1G_bEUljE0_EEESZ_S10_S11_S18_S1C_S1E_T6_T7_T9_mT8_S1G_bDpT10_ENKUlT_T0_E_clISt17integral_constantIbLb0EES1U_EEDaS1P_S1Q_EUlS1P_E_NS1_11comp_targetILNS1_3genE10ELNS1_11target_archE1200ELNS1_3gpuE4ELNS1_3repE0EEENS1_30default_config_static_selectorELNS0_4arch9wavefront6targetE1EEEvS12_.kd
    .uniform_work_group_size: 1
    .uses_dynamic_stack: false
    .vgpr_count:     0
    .vgpr_spill_count: 0
    .wavefront_size: 64
  - .args:
      - .offset:         0
        .size:           176
        .value_kind:     by_value
    .group_segment_fixed_size: 0
    .kernarg_segment_align: 8
    .kernarg_segment_size: 176
    .language:       OpenCL C
    .language_version:
      - 2
      - 0
    .max_flat_workgroup_size: 256
    .name:           _ZN7rocprim17ROCPRIM_400000_NS6detail17trampoline_kernelINS0_13select_configILj256ELj13ELNS0_17block_load_methodE3ELS4_3ELS4_3ELNS0_20block_scan_algorithmE0ELj4294967295EEENS1_25partition_config_selectorILNS1_17partition_subalgoE4EjNS0_10empty_typeEbEEZZNS1_14partition_implILS8_4ELb0ES6_15HIP_vector_typeIjLj2EENS0_17counting_iteratorIjlEEPS9_SG_NS0_5tupleIJPjSI_NS0_16reverse_iteratorISI_EEEEENSH_IJSG_SG_SG_EEES9_SI_JZNS1_25segmented_radix_sort_implINS0_14default_configELb1EPKbPbPKlPlN2at6native12_GLOBAL__N_18offset_tEEE10hipError_tPvRmT1_PNSt15iterator_traitsIS12_E10value_typeET2_T3_PNS13_IS18_E10value_typeET4_jRbjT5_S1E_jjP12ihipStream_tbEUljE_ZNSN_ISO_Lb1ESQ_SR_ST_SU_SY_EESZ_S10_S11_S12_S16_S17_S18_S1B_S1C_jS1D_jS1E_S1E_jjS1G_bEUljE0_EEESZ_S10_S11_S18_S1C_S1E_T6_T7_T9_mT8_S1G_bDpT10_ENKUlT_T0_E_clISt17integral_constantIbLb0EES1U_EEDaS1P_S1Q_EUlS1P_E_NS1_11comp_targetILNS1_3genE9ELNS1_11target_archE1100ELNS1_3gpuE3ELNS1_3repE0EEENS1_30default_config_static_selectorELNS0_4arch9wavefront6targetE1EEEvS12_
    .private_segment_fixed_size: 0
    .sgpr_count:     4
    .sgpr_spill_count: 0
    .symbol:         _ZN7rocprim17ROCPRIM_400000_NS6detail17trampoline_kernelINS0_13select_configILj256ELj13ELNS0_17block_load_methodE3ELS4_3ELS4_3ELNS0_20block_scan_algorithmE0ELj4294967295EEENS1_25partition_config_selectorILNS1_17partition_subalgoE4EjNS0_10empty_typeEbEEZZNS1_14partition_implILS8_4ELb0ES6_15HIP_vector_typeIjLj2EENS0_17counting_iteratorIjlEEPS9_SG_NS0_5tupleIJPjSI_NS0_16reverse_iteratorISI_EEEEENSH_IJSG_SG_SG_EEES9_SI_JZNS1_25segmented_radix_sort_implINS0_14default_configELb1EPKbPbPKlPlN2at6native12_GLOBAL__N_18offset_tEEE10hipError_tPvRmT1_PNSt15iterator_traitsIS12_E10value_typeET2_T3_PNS13_IS18_E10value_typeET4_jRbjT5_S1E_jjP12ihipStream_tbEUljE_ZNSN_ISO_Lb1ESQ_SR_ST_SU_SY_EESZ_S10_S11_S12_S16_S17_S18_S1B_S1C_jS1D_jS1E_S1E_jjS1G_bEUljE0_EEESZ_S10_S11_S18_S1C_S1E_T6_T7_T9_mT8_S1G_bDpT10_ENKUlT_T0_E_clISt17integral_constantIbLb0EES1U_EEDaS1P_S1Q_EUlS1P_E_NS1_11comp_targetILNS1_3genE9ELNS1_11target_archE1100ELNS1_3gpuE3ELNS1_3repE0EEENS1_30default_config_static_selectorELNS0_4arch9wavefront6targetE1EEEvS12_.kd
    .uniform_work_group_size: 1
    .uses_dynamic_stack: false
    .vgpr_count:     0
    .vgpr_spill_count: 0
    .wavefront_size: 64
  - .args:
      - .offset:         0
        .size:           176
        .value_kind:     by_value
    .group_segment_fixed_size: 0
    .kernarg_segment_align: 8
    .kernarg_segment_size: 176
    .language:       OpenCL C
    .language_version:
      - 2
      - 0
    .max_flat_workgroup_size: 256
    .name:           _ZN7rocprim17ROCPRIM_400000_NS6detail17trampoline_kernelINS0_13select_configILj256ELj13ELNS0_17block_load_methodE3ELS4_3ELS4_3ELNS0_20block_scan_algorithmE0ELj4294967295EEENS1_25partition_config_selectorILNS1_17partition_subalgoE4EjNS0_10empty_typeEbEEZZNS1_14partition_implILS8_4ELb0ES6_15HIP_vector_typeIjLj2EENS0_17counting_iteratorIjlEEPS9_SG_NS0_5tupleIJPjSI_NS0_16reverse_iteratorISI_EEEEENSH_IJSG_SG_SG_EEES9_SI_JZNS1_25segmented_radix_sort_implINS0_14default_configELb1EPKbPbPKlPlN2at6native12_GLOBAL__N_18offset_tEEE10hipError_tPvRmT1_PNSt15iterator_traitsIS12_E10value_typeET2_T3_PNS13_IS18_E10value_typeET4_jRbjT5_S1E_jjP12ihipStream_tbEUljE_ZNSN_ISO_Lb1ESQ_SR_ST_SU_SY_EESZ_S10_S11_S12_S16_S17_S18_S1B_S1C_jS1D_jS1E_S1E_jjS1G_bEUljE0_EEESZ_S10_S11_S18_S1C_S1E_T6_T7_T9_mT8_S1G_bDpT10_ENKUlT_T0_E_clISt17integral_constantIbLb0EES1U_EEDaS1P_S1Q_EUlS1P_E_NS1_11comp_targetILNS1_3genE8ELNS1_11target_archE1030ELNS1_3gpuE2ELNS1_3repE0EEENS1_30default_config_static_selectorELNS0_4arch9wavefront6targetE1EEEvS12_
    .private_segment_fixed_size: 0
    .sgpr_count:     4
    .sgpr_spill_count: 0
    .symbol:         _ZN7rocprim17ROCPRIM_400000_NS6detail17trampoline_kernelINS0_13select_configILj256ELj13ELNS0_17block_load_methodE3ELS4_3ELS4_3ELNS0_20block_scan_algorithmE0ELj4294967295EEENS1_25partition_config_selectorILNS1_17partition_subalgoE4EjNS0_10empty_typeEbEEZZNS1_14partition_implILS8_4ELb0ES6_15HIP_vector_typeIjLj2EENS0_17counting_iteratorIjlEEPS9_SG_NS0_5tupleIJPjSI_NS0_16reverse_iteratorISI_EEEEENSH_IJSG_SG_SG_EEES9_SI_JZNS1_25segmented_radix_sort_implINS0_14default_configELb1EPKbPbPKlPlN2at6native12_GLOBAL__N_18offset_tEEE10hipError_tPvRmT1_PNSt15iterator_traitsIS12_E10value_typeET2_T3_PNS13_IS18_E10value_typeET4_jRbjT5_S1E_jjP12ihipStream_tbEUljE_ZNSN_ISO_Lb1ESQ_SR_ST_SU_SY_EESZ_S10_S11_S12_S16_S17_S18_S1B_S1C_jS1D_jS1E_S1E_jjS1G_bEUljE0_EEESZ_S10_S11_S18_S1C_S1E_T6_T7_T9_mT8_S1G_bDpT10_ENKUlT_T0_E_clISt17integral_constantIbLb0EES1U_EEDaS1P_S1Q_EUlS1P_E_NS1_11comp_targetILNS1_3genE8ELNS1_11target_archE1030ELNS1_3gpuE2ELNS1_3repE0EEENS1_30default_config_static_selectorELNS0_4arch9wavefront6targetE1EEEvS12_.kd
    .uniform_work_group_size: 1
    .uses_dynamic_stack: false
    .vgpr_count:     0
    .vgpr_spill_count: 0
    .wavefront_size: 64
  - .args:
      - .offset:         0
        .size:           184
        .value_kind:     by_value
    .group_segment_fixed_size: 0
    .kernarg_segment_align: 8
    .kernarg_segment_size: 184
    .language:       OpenCL C
    .language_version:
      - 2
      - 0
    .max_flat_workgroup_size: 256
    .name:           _ZN7rocprim17ROCPRIM_400000_NS6detail17trampoline_kernelINS0_13select_configILj256ELj13ELNS0_17block_load_methodE3ELS4_3ELS4_3ELNS0_20block_scan_algorithmE0ELj4294967295EEENS1_25partition_config_selectorILNS1_17partition_subalgoE4EjNS0_10empty_typeEbEEZZNS1_14partition_implILS8_4ELb0ES6_15HIP_vector_typeIjLj2EENS0_17counting_iteratorIjlEEPS9_SG_NS0_5tupleIJPjSI_NS0_16reverse_iteratorISI_EEEEENSH_IJSG_SG_SG_EEES9_SI_JZNS1_25segmented_radix_sort_implINS0_14default_configELb1EPKbPbPKlPlN2at6native12_GLOBAL__N_18offset_tEEE10hipError_tPvRmT1_PNSt15iterator_traitsIS12_E10value_typeET2_T3_PNS13_IS18_E10value_typeET4_jRbjT5_S1E_jjP12ihipStream_tbEUljE_ZNSN_ISO_Lb1ESQ_SR_ST_SU_SY_EESZ_S10_S11_S12_S16_S17_S18_S1B_S1C_jS1D_jS1E_S1E_jjS1G_bEUljE0_EEESZ_S10_S11_S18_S1C_S1E_T6_T7_T9_mT8_S1G_bDpT10_ENKUlT_T0_E_clISt17integral_constantIbLb1EES1U_EEDaS1P_S1Q_EUlS1P_E_NS1_11comp_targetILNS1_3genE0ELNS1_11target_archE4294967295ELNS1_3gpuE0ELNS1_3repE0EEENS1_30default_config_static_selectorELNS0_4arch9wavefront6targetE1EEEvS12_
    .private_segment_fixed_size: 0
    .sgpr_count:     4
    .sgpr_spill_count: 0
    .symbol:         _ZN7rocprim17ROCPRIM_400000_NS6detail17trampoline_kernelINS0_13select_configILj256ELj13ELNS0_17block_load_methodE3ELS4_3ELS4_3ELNS0_20block_scan_algorithmE0ELj4294967295EEENS1_25partition_config_selectorILNS1_17partition_subalgoE4EjNS0_10empty_typeEbEEZZNS1_14partition_implILS8_4ELb0ES6_15HIP_vector_typeIjLj2EENS0_17counting_iteratorIjlEEPS9_SG_NS0_5tupleIJPjSI_NS0_16reverse_iteratorISI_EEEEENSH_IJSG_SG_SG_EEES9_SI_JZNS1_25segmented_radix_sort_implINS0_14default_configELb1EPKbPbPKlPlN2at6native12_GLOBAL__N_18offset_tEEE10hipError_tPvRmT1_PNSt15iterator_traitsIS12_E10value_typeET2_T3_PNS13_IS18_E10value_typeET4_jRbjT5_S1E_jjP12ihipStream_tbEUljE_ZNSN_ISO_Lb1ESQ_SR_ST_SU_SY_EESZ_S10_S11_S12_S16_S17_S18_S1B_S1C_jS1D_jS1E_S1E_jjS1G_bEUljE0_EEESZ_S10_S11_S18_S1C_S1E_T6_T7_T9_mT8_S1G_bDpT10_ENKUlT_T0_E_clISt17integral_constantIbLb1EES1U_EEDaS1P_S1Q_EUlS1P_E_NS1_11comp_targetILNS1_3genE0ELNS1_11target_archE4294967295ELNS1_3gpuE0ELNS1_3repE0EEENS1_30default_config_static_selectorELNS0_4arch9wavefront6targetE1EEEvS12_.kd
    .uniform_work_group_size: 1
    .uses_dynamic_stack: false
    .vgpr_count:     0
    .vgpr_spill_count: 0
    .wavefront_size: 64
  - .args:
      - .offset:         0
        .size:           184
        .value_kind:     by_value
    .group_segment_fixed_size: 0
    .kernarg_segment_align: 8
    .kernarg_segment_size: 184
    .language:       OpenCL C
    .language_version:
      - 2
      - 0
    .max_flat_workgroup_size: 256
    .name:           _ZN7rocprim17ROCPRIM_400000_NS6detail17trampoline_kernelINS0_13select_configILj256ELj13ELNS0_17block_load_methodE3ELS4_3ELS4_3ELNS0_20block_scan_algorithmE0ELj4294967295EEENS1_25partition_config_selectorILNS1_17partition_subalgoE4EjNS0_10empty_typeEbEEZZNS1_14partition_implILS8_4ELb0ES6_15HIP_vector_typeIjLj2EENS0_17counting_iteratorIjlEEPS9_SG_NS0_5tupleIJPjSI_NS0_16reverse_iteratorISI_EEEEENSH_IJSG_SG_SG_EEES9_SI_JZNS1_25segmented_radix_sort_implINS0_14default_configELb1EPKbPbPKlPlN2at6native12_GLOBAL__N_18offset_tEEE10hipError_tPvRmT1_PNSt15iterator_traitsIS12_E10value_typeET2_T3_PNS13_IS18_E10value_typeET4_jRbjT5_S1E_jjP12ihipStream_tbEUljE_ZNSN_ISO_Lb1ESQ_SR_ST_SU_SY_EESZ_S10_S11_S12_S16_S17_S18_S1B_S1C_jS1D_jS1E_S1E_jjS1G_bEUljE0_EEESZ_S10_S11_S18_S1C_S1E_T6_T7_T9_mT8_S1G_bDpT10_ENKUlT_T0_E_clISt17integral_constantIbLb1EES1U_EEDaS1P_S1Q_EUlS1P_E_NS1_11comp_targetILNS1_3genE5ELNS1_11target_archE942ELNS1_3gpuE9ELNS1_3repE0EEENS1_30default_config_static_selectorELNS0_4arch9wavefront6targetE1EEEvS12_
    .private_segment_fixed_size: 0
    .sgpr_count:     4
    .sgpr_spill_count: 0
    .symbol:         _ZN7rocprim17ROCPRIM_400000_NS6detail17trampoline_kernelINS0_13select_configILj256ELj13ELNS0_17block_load_methodE3ELS4_3ELS4_3ELNS0_20block_scan_algorithmE0ELj4294967295EEENS1_25partition_config_selectorILNS1_17partition_subalgoE4EjNS0_10empty_typeEbEEZZNS1_14partition_implILS8_4ELb0ES6_15HIP_vector_typeIjLj2EENS0_17counting_iteratorIjlEEPS9_SG_NS0_5tupleIJPjSI_NS0_16reverse_iteratorISI_EEEEENSH_IJSG_SG_SG_EEES9_SI_JZNS1_25segmented_radix_sort_implINS0_14default_configELb1EPKbPbPKlPlN2at6native12_GLOBAL__N_18offset_tEEE10hipError_tPvRmT1_PNSt15iterator_traitsIS12_E10value_typeET2_T3_PNS13_IS18_E10value_typeET4_jRbjT5_S1E_jjP12ihipStream_tbEUljE_ZNSN_ISO_Lb1ESQ_SR_ST_SU_SY_EESZ_S10_S11_S12_S16_S17_S18_S1B_S1C_jS1D_jS1E_S1E_jjS1G_bEUljE0_EEESZ_S10_S11_S18_S1C_S1E_T6_T7_T9_mT8_S1G_bDpT10_ENKUlT_T0_E_clISt17integral_constantIbLb1EES1U_EEDaS1P_S1Q_EUlS1P_E_NS1_11comp_targetILNS1_3genE5ELNS1_11target_archE942ELNS1_3gpuE9ELNS1_3repE0EEENS1_30default_config_static_selectorELNS0_4arch9wavefront6targetE1EEEvS12_.kd
    .uniform_work_group_size: 1
    .uses_dynamic_stack: false
    .vgpr_count:     0
    .vgpr_spill_count: 0
    .wavefront_size: 64
  - .args:
      - .offset:         0
        .size:           184
        .value_kind:     by_value
    .group_segment_fixed_size: 0
    .kernarg_segment_align: 8
    .kernarg_segment_size: 184
    .language:       OpenCL C
    .language_version:
      - 2
      - 0
    .max_flat_workgroup_size: 256
    .name:           _ZN7rocprim17ROCPRIM_400000_NS6detail17trampoline_kernelINS0_13select_configILj256ELj13ELNS0_17block_load_methodE3ELS4_3ELS4_3ELNS0_20block_scan_algorithmE0ELj4294967295EEENS1_25partition_config_selectorILNS1_17partition_subalgoE4EjNS0_10empty_typeEbEEZZNS1_14partition_implILS8_4ELb0ES6_15HIP_vector_typeIjLj2EENS0_17counting_iteratorIjlEEPS9_SG_NS0_5tupleIJPjSI_NS0_16reverse_iteratorISI_EEEEENSH_IJSG_SG_SG_EEES9_SI_JZNS1_25segmented_radix_sort_implINS0_14default_configELb1EPKbPbPKlPlN2at6native12_GLOBAL__N_18offset_tEEE10hipError_tPvRmT1_PNSt15iterator_traitsIS12_E10value_typeET2_T3_PNS13_IS18_E10value_typeET4_jRbjT5_S1E_jjP12ihipStream_tbEUljE_ZNSN_ISO_Lb1ESQ_SR_ST_SU_SY_EESZ_S10_S11_S12_S16_S17_S18_S1B_S1C_jS1D_jS1E_S1E_jjS1G_bEUljE0_EEESZ_S10_S11_S18_S1C_S1E_T6_T7_T9_mT8_S1G_bDpT10_ENKUlT_T0_E_clISt17integral_constantIbLb1EES1U_EEDaS1P_S1Q_EUlS1P_E_NS1_11comp_targetILNS1_3genE4ELNS1_11target_archE910ELNS1_3gpuE8ELNS1_3repE0EEENS1_30default_config_static_selectorELNS0_4arch9wavefront6targetE1EEEvS12_
    .private_segment_fixed_size: 0
    .sgpr_count:     4
    .sgpr_spill_count: 0
    .symbol:         _ZN7rocprim17ROCPRIM_400000_NS6detail17trampoline_kernelINS0_13select_configILj256ELj13ELNS0_17block_load_methodE3ELS4_3ELS4_3ELNS0_20block_scan_algorithmE0ELj4294967295EEENS1_25partition_config_selectorILNS1_17partition_subalgoE4EjNS0_10empty_typeEbEEZZNS1_14partition_implILS8_4ELb0ES6_15HIP_vector_typeIjLj2EENS0_17counting_iteratorIjlEEPS9_SG_NS0_5tupleIJPjSI_NS0_16reverse_iteratorISI_EEEEENSH_IJSG_SG_SG_EEES9_SI_JZNS1_25segmented_radix_sort_implINS0_14default_configELb1EPKbPbPKlPlN2at6native12_GLOBAL__N_18offset_tEEE10hipError_tPvRmT1_PNSt15iterator_traitsIS12_E10value_typeET2_T3_PNS13_IS18_E10value_typeET4_jRbjT5_S1E_jjP12ihipStream_tbEUljE_ZNSN_ISO_Lb1ESQ_SR_ST_SU_SY_EESZ_S10_S11_S12_S16_S17_S18_S1B_S1C_jS1D_jS1E_S1E_jjS1G_bEUljE0_EEESZ_S10_S11_S18_S1C_S1E_T6_T7_T9_mT8_S1G_bDpT10_ENKUlT_T0_E_clISt17integral_constantIbLb1EES1U_EEDaS1P_S1Q_EUlS1P_E_NS1_11comp_targetILNS1_3genE4ELNS1_11target_archE910ELNS1_3gpuE8ELNS1_3repE0EEENS1_30default_config_static_selectorELNS0_4arch9wavefront6targetE1EEEvS12_.kd
    .uniform_work_group_size: 1
    .uses_dynamic_stack: false
    .vgpr_count:     0
    .vgpr_spill_count: 0
    .wavefront_size: 64
  - .args:
      - .offset:         0
        .size:           184
        .value_kind:     by_value
    .group_segment_fixed_size: 0
    .kernarg_segment_align: 8
    .kernarg_segment_size: 184
    .language:       OpenCL C
    .language_version:
      - 2
      - 0
    .max_flat_workgroup_size: 256
    .name:           _ZN7rocprim17ROCPRIM_400000_NS6detail17trampoline_kernelINS0_13select_configILj256ELj13ELNS0_17block_load_methodE3ELS4_3ELS4_3ELNS0_20block_scan_algorithmE0ELj4294967295EEENS1_25partition_config_selectorILNS1_17partition_subalgoE4EjNS0_10empty_typeEbEEZZNS1_14partition_implILS8_4ELb0ES6_15HIP_vector_typeIjLj2EENS0_17counting_iteratorIjlEEPS9_SG_NS0_5tupleIJPjSI_NS0_16reverse_iteratorISI_EEEEENSH_IJSG_SG_SG_EEES9_SI_JZNS1_25segmented_radix_sort_implINS0_14default_configELb1EPKbPbPKlPlN2at6native12_GLOBAL__N_18offset_tEEE10hipError_tPvRmT1_PNSt15iterator_traitsIS12_E10value_typeET2_T3_PNS13_IS18_E10value_typeET4_jRbjT5_S1E_jjP12ihipStream_tbEUljE_ZNSN_ISO_Lb1ESQ_SR_ST_SU_SY_EESZ_S10_S11_S12_S16_S17_S18_S1B_S1C_jS1D_jS1E_S1E_jjS1G_bEUljE0_EEESZ_S10_S11_S18_S1C_S1E_T6_T7_T9_mT8_S1G_bDpT10_ENKUlT_T0_E_clISt17integral_constantIbLb1EES1U_EEDaS1P_S1Q_EUlS1P_E_NS1_11comp_targetILNS1_3genE3ELNS1_11target_archE908ELNS1_3gpuE7ELNS1_3repE0EEENS1_30default_config_static_selectorELNS0_4arch9wavefront6targetE1EEEvS12_
    .private_segment_fixed_size: 0
    .sgpr_count:     4
    .sgpr_spill_count: 0
    .symbol:         _ZN7rocprim17ROCPRIM_400000_NS6detail17trampoline_kernelINS0_13select_configILj256ELj13ELNS0_17block_load_methodE3ELS4_3ELS4_3ELNS0_20block_scan_algorithmE0ELj4294967295EEENS1_25partition_config_selectorILNS1_17partition_subalgoE4EjNS0_10empty_typeEbEEZZNS1_14partition_implILS8_4ELb0ES6_15HIP_vector_typeIjLj2EENS0_17counting_iteratorIjlEEPS9_SG_NS0_5tupleIJPjSI_NS0_16reverse_iteratorISI_EEEEENSH_IJSG_SG_SG_EEES9_SI_JZNS1_25segmented_radix_sort_implINS0_14default_configELb1EPKbPbPKlPlN2at6native12_GLOBAL__N_18offset_tEEE10hipError_tPvRmT1_PNSt15iterator_traitsIS12_E10value_typeET2_T3_PNS13_IS18_E10value_typeET4_jRbjT5_S1E_jjP12ihipStream_tbEUljE_ZNSN_ISO_Lb1ESQ_SR_ST_SU_SY_EESZ_S10_S11_S12_S16_S17_S18_S1B_S1C_jS1D_jS1E_S1E_jjS1G_bEUljE0_EEESZ_S10_S11_S18_S1C_S1E_T6_T7_T9_mT8_S1G_bDpT10_ENKUlT_T0_E_clISt17integral_constantIbLb1EES1U_EEDaS1P_S1Q_EUlS1P_E_NS1_11comp_targetILNS1_3genE3ELNS1_11target_archE908ELNS1_3gpuE7ELNS1_3repE0EEENS1_30default_config_static_selectorELNS0_4arch9wavefront6targetE1EEEvS12_.kd
    .uniform_work_group_size: 1
    .uses_dynamic_stack: false
    .vgpr_count:     0
    .vgpr_spill_count: 0
    .wavefront_size: 64
  - .args:
      - .offset:         0
        .size:           184
        .value_kind:     by_value
    .group_segment_fixed_size: 0
    .kernarg_segment_align: 8
    .kernarg_segment_size: 184
    .language:       OpenCL C
    .language_version:
      - 2
      - 0
    .max_flat_workgroup_size: 256
    .name:           _ZN7rocprim17ROCPRIM_400000_NS6detail17trampoline_kernelINS0_13select_configILj256ELj13ELNS0_17block_load_methodE3ELS4_3ELS4_3ELNS0_20block_scan_algorithmE0ELj4294967295EEENS1_25partition_config_selectorILNS1_17partition_subalgoE4EjNS0_10empty_typeEbEEZZNS1_14partition_implILS8_4ELb0ES6_15HIP_vector_typeIjLj2EENS0_17counting_iteratorIjlEEPS9_SG_NS0_5tupleIJPjSI_NS0_16reverse_iteratorISI_EEEEENSH_IJSG_SG_SG_EEES9_SI_JZNS1_25segmented_radix_sort_implINS0_14default_configELb1EPKbPbPKlPlN2at6native12_GLOBAL__N_18offset_tEEE10hipError_tPvRmT1_PNSt15iterator_traitsIS12_E10value_typeET2_T3_PNS13_IS18_E10value_typeET4_jRbjT5_S1E_jjP12ihipStream_tbEUljE_ZNSN_ISO_Lb1ESQ_SR_ST_SU_SY_EESZ_S10_S11_S12_S16_S17_S18_S1B_S1C_jS1D_jS1E_S1E_jjS1G_bEUljE0_EEESZ_S10_S11_S18_S1C_S1E_T6_T7_T9_mT8_S1G_bDpT10_ENKUlT_T0_E_clISt17integral_constantIbLb1EES1U_EEDaS1P_S1Q_EUlS1P_E_NS1_11comp_targetILNS1_3genE2ELNS1_11target_archE906ELNS1_3gpuE6ELNS1_3repE0EEENS1_30default_config_static_selectorELNS0_4arch9wavefront6targetE1EEEvS12_
    .private_segment_fixed_size: 0
    .sgpr_count:     4
    .sgpr_spill_count: 0
    .symbol:         _ZN7rocprim17ROCPRIM_400000_NS6detail17trampoline_kernelINS0_13select_configILj256ELj13ELNS0_17block_load_methodE3ELS4_3ELS4_3ELNS0_20block_scan_algorithmE0ELj4294967295EEENS1_25partition_config_selectorILNS1_17partition_subalgoE4EjNS0_10empty_typeEbEEZZNS1_14partition_implILS8_4ELb0ES6_15HIP_vector_typeIjLj2EENS0_17counting_iteratorIjlEEPS9_SG_NS0_5tupleIJPjSI_NS0_16reverse_iteratorISI_EEEEENSH_IJSG_SG_SG_EEES9_SI_JZNS1_25segmented_radix_sort_implINS0_14default_configELb1EPKbPbPKlPlN2at6native12_GLOBAL__N_18offset_tEEE10hipError_tPvRmT1_PNSt15iterator_traitsIS12_E10value_typeET2_T3_PNS13_IS18_E10value_typeET4_jRbjT5_S1E_jjP12ihipStream_tbEUljE_ZNSN_ISO_Lb1ESQ_SR_ST_SU_SY_EESZ_S10_S11_S12_S16_S17_S18_S1B_S1C_jS1D_jS1E_S1E_jjS1G_bEUljE0_EEESZ_S10_S11_S18_S1C_S1E_T6_T7_T9_mT8_S1G_bDpT10_ENKUlT_T0_E_clISt17integral_constantIbLb1EES1U_EEDaS1P_S1Q_EUlS1P_E_NS1_11comp_targetILNS1_3genE2ELNS1_11target_archE906ELNS1_3gpuE6ELNS1_3repE0EEENS1_30default_config_static_selectorELNS0_4arch9wavefront6targetE1EEEvS12_.kd
    .uniform_work_group_size: 1
    .uses_dynamic_stack: false
    .vgpr_count:     0
    .vgpr_spill_count: 0
    .wavefront_size: 64
  - .args:
      - .offset:         0
        .size:           184
        .value_kind:     by_value
    .group_segment_fixed_size: 0
    .kernarg_segment_align: 8
    .kernarg_segment_size: 184
    .language:       OpenCL C
    .language_version:
      - 2
      - 0
    .max_flat_workgroup_size: 256
    .name:           _ZN7rocprim17ROCPRIM_400000_NS6detail17trampoline_kernelINS0_13select_configILj256ELj13ELNS0_17block_load_methodE3ELS4_3ELS4_3ELNS0_20block_scan_algorithmE0ELj4294967295EEENS1_25partition_config_selectorILNS1_17partition_subalgoE4EjNS0_10empty_typeEbEEZZNS1_14partition_implILS8_4ELb0ES6_15HIP_vector_typeIjLj2EENS0_17counting_iteratorIjlEEPS9_SG_NS0_5tupleIJPjSI_NS0_16reverse_iteratorISI_EEEEENSH_IJSG_SG_SG_EEES9_SI_JZNS1_25segmented_radix_sort_implINS0_14default_configELb1EPKbPbPKlPlN2at6native12_GLOBAL__N_18offset_tEEE10hipError_tPvRmT1_PNSt15iterator_traitsIS12_E10value_typeET2_T3_PNS13_IS18_E10value_typeET4_jRbjT5_S1E_jjP12ihipStream_tbEUljE_ZNSN_ISO_Lb1ESQ_SR_ST_SU_SY_EESZ_S10_S11_S12_S16_S17_S18_S1B_S1C_jS1D_jS1E_S1E_jjS1G_bEUljE0_EEESZ_S10_S11_S18_S1C_S1E_T6_T7_T9_mT8_S1G_bDpT10_ENKUlT_T0_E_clISt17integral_constantIbLb1EES1U_EEDaS1P_S1Q_EUlS1P_E_NS1_11comp_targetILNS1_3genE10ELNS1_11target_archE1200ELNS1_3gpuE4ELNS1_3repE0EEENS1_30default_config_static_selectorELNS0_4arch9wavefront6targetE1EEEvS12_
    .private_segment_fixed_size: 0
    .sgpr_count:     4
    .sgpr_spill_count: 0
    .symbol:         _ZN7rocprim17ROCPRIM_400000_NS6detail17trampoline_kernelINS0_13select_configILj256ELj13ELNS0_17block_load_methodE3ELS4_3ELS4_3ELNS0_20block_scan_algorithmE0ELj4294967295EEENS1_25partition_config_selectorILNS1_17partition_subalgoE4EjNS0_10empty_typeEbEEZZNS1_14partition_implILS8_4ELb0ES6_15HIP_vector_typeIjLj2EENS0_17counting_iteratorIjlEEPS9_SG_NS0_5tupleIJPjSI_NS0_16reverse_iteratorISI_EEEEENSH_IJSG_SG_SG_EEES9_SI_JZNS1_25segmented_radix_sort_implINS0_14default_configELb1EPKbPbPKlPlN2at6native12_GLOBAL__N_18offset_tEEE10hipError_tPvRmT1_PNSt15iterator_traitsIS12_E10value_typeET2_T3_PNS13_IS18_E10value_typeET4_jRbjT5_S1E_jjP12ihipStream_tbEUljE_ZNSN_ISO_Lb1ESQ_SR_ST_SU_SY_EESZ_S10_S11_S12_S16_S17_S18_S1B_S1C_jS1D_jS1E_S1E_jjS1G_bEUljE0_EEESZ_S10_S11_S18_S1C_S1E_T6_T7_T9_mT8_S1G_bDpT10_ENKUlT_T0_E_clISt17integral_constantIbLb1EES1U_EEDaS1P_S1Q_EUlS1P_E_NS1_11comp_targetILNS1_3genE10ELNS1_11target_archE1200ELNS1_3gpuE4ELNS1_3repE0EEENS1_30default_config_static_selectorELNS0_4arch9wavefront6targetE1EEEvS12_.kd
    .uniform_work_group_size: 1
    .uses_dynamic_stack: false
    .vgpr_count:     0
    .vgpr_spill_count: 0
    .wavefront_size: 64
  - .args:
      - .offset:         0
        .size:           184
        .value_kind:     by_value
    .group_segment_fixed_size: 0
    .kernarg_segment_align: 8
    .kernarg_segment_size: 184
    .language:       OpenCL C
    .language_version:
      - 2
      - 0
    .max_flat_workgroup_size: 256
    .name:           _ZN7rocprim17ROCPRIM_400000_NS6detail17trampoline_kernelINS0_13select_configILj256ELj13ELNS0_17block_load_methodE3ELS4_3ELS4_3ELNS0_20block_scan_algorithmE0ELj4294967295EEENS1_25partition_config_selectorILNS1_17partition_subalgoE4EjNS0_10empty_typeEbEEZZNS1_14partition_implILS8_4ELb0ES6_15HIP_vector_typeIjLj2EENS0_17counting_iteratorIjlEEPS9_SG_NS0_5tupleIJPjSI_NS0_16reverse_iteratorISI_EEEEENSH_IJSG_SG_SG_EEES9_SI_JZNS1_25segmented_radix_sort_implINS0_14default_configELb1EPKbPbPKlPlN2at6native12_GLOBAL__N_18offset_tEEE10hipError_tPvRmT1_PNSt15iterator_traitsIS12_E10value_typeET2_T3_PNS13_IS18_E10value_typeET4_jRbjT5_S1E_jjP12ihipStream_tbEUljE_ZNSN_ISO_Lb1ESQ_SR_ST_SU_SY_EESZ_S10_S11_S12_S16_S17_S18_S1B_S1C_jS1D_jS1E_S1E_jjS1G_bEUljE0_EEESZ_S10_S11_S18_S1C_S1E_T6_T7_T9_mT8_S1G_bDpT10_ENKUlT_T0_E_clISt17integral_constantIbLb1EES1U_EEDaS1P_S1Q_EUlS1P_E_NS1_11comp_targetILNS1_3genE9ELNS1_11target_archE1100ELNS1_3gpuE3ELNS1_3repE0EEENS1_30default_config_static_selectorELNS0_4arch9wavefront6targetE1EEEvS12_
    .private_segment_fixed_size: 0
    .sgpr_count:     4
    .sgpr_spill_count: 0
    .symbol:         _ZN7rocprim17ROCPRIM_400000_NS6detail17trampoline_kernelINS0_13select_configILj256ELj13ELNS0_17block_load_methodE3ELS4_3ELS4_3ELNS0_20block_scan_algorithmE0ELj4294967295EEENS1_25partition_config_selectorILNS1_17partition_subalgoE4EjNS0_10empty_typeEbEEZZNS1_14partition_implILS8_4ELb0ES6_15HIP_vector_typeIjLj2EENS0_17counting_iteratorIjlEEPS9_SG_NS0_5tupleIJPjSI_NS0_16reverse_iteratorISI_EEEEENSH_IJSG_SG_SG_EEES9_SI_JZNS1_25segmented_radix_sort_implINS0_14default_configELb1EPKbPbPKlPlN2at6native12_GLOBAL__N_18offset_tEEE10hipError_tPvRmT1_PNSt15iterator_traitsIS12_E10value_typeET2_T3_PNS13_IS18_E10value_typeET4_jRbjT5_S1E_jjP12ihipStream_tbEUljE_ZNSN_ISO_Lb1ESQ_SR_ST_SU_SY_EESZ_S10_S11_S12_S16_S17_S18_S1B_S1C_jS1D_jS1E_S1E_jjS1G_bEUljE0_EEESZ_S10_S11_S18_S1C_S1E_T6_T7_T9_mT8_S1G_bDpT10_ENKUlT_T0_E_clISt17integral_constantIbLb1EES1U_EEDaS1P_S1Q_EUlS1P_E_NS1_11comp_targetILNS1_3genE9ELNS1_11target_archE1100ELNS1_3gpuE3ELNS1_3repE0EEENS1_30default_config_static_selectorELNS0_4arch9wavefront6targetE1EEEvS12_.kd
    .uniform_work_group_size: 1
    .uses_dynamic_stack: false
    .vgpr_count:     0
    .vgpr_spill_count: 0
    .wavefront_size: 64
  - .args:
      - .offset:         0
        .size:           184
        .value_kind:     by_value
    .group_segment_fixed_size: 0
    .kernarg_segment_align: 8
    .kernarg_segment_size: 184
    .language:       OpenCL C
    .language_version:
      - 2
      - 0
    .max_flat_workgroup_size: 256
    .name:           _ZN7rocprim17ROCPRIM_400000_NS6detail17trampoline_kernelINS0_13select_configILj256ELj13ELNS0_17block_load_methodE3ELS4_3ELS4_3ELNS0_20block_scan_algorithmE0ELj4294967295EEENS1_25partition_config_selectorILNS1_17partition_subalgoE4EjNS0_10empty_typeEbEEZZNS1_14partition_implILS8_4ELb0ES6_15HIP_vector_typeIjLj2EENS0_17counting_iteratorIjlEEPS9_SG_NS0_5tupleIJPjSI_NS0_16reverse_iteratorISI_EEEEENSH_IJSG_SG_SG_EEES9_SI_JZNS1_25segmented_radix_sort_implINS0_14default_configELb1EPKbPbPKlPlN2at6native12_GLOBAL__N_18offset_tEEE10hipError_tPvRmT1_PNSt15iterator_traitsIS12_E10value_typeET2_T3_PNS13_IS18_E10value_typeET4_jRbjT5_S1E_jjP12ihipStream_tbEUljE_ZNSN_ISO_Lb1ESQ_SR_ST_SU_SY_EESZ_S10_S11_S12_S16_S17_S18_S1B_S1C_jS1D_jS1E_S1E_jjS1G_bEUljE0_EEESZ_S10_S11_S18_S1C_S1E_T6_T7_T9_mT8_S1G_bDpT10_ENKUlT_T0_E_clISt17integral_constantIbLb1EES1U_EEDaS1P_S1Q_EUlS1P_E_NS1_11comp_targetILNS1_3genE8ELNS1_11target_archE1030ELNS1_3gpuE2ELNS1_3repE0EEENS1_30default_config_static_selectorELNS0_4arch9wavefront6targetE1EEEvS12_
    .private_segment_fixed_size: 0
    .sgpr_count:     4
    .sgpr_spill_count: 0
    .symbol:         _ZN7rocprim17ROCPRIM_400000_NS6detail17trampoline_kernelINS0_13select_configILj256ELj13ELNS0_17block_load_methodE3ELS4_3ELS4_3ELNS0_20block_scan_algorithmE0ELj4294967295EEENS1_25partition_config_selectorILNS1_17partition_subalgoE4EjNS0_10empty_typeEbEEZZNS1_14partition_implILS8_4ELb0ES6_15HIP_vector_typeIjLj2EENS0_17counting_iteratorIjlEEPS9_SG_NS0_5tupleIJPjSI_NS0_16reverse_iteratorISI_EEEEENSH_IJSG_SG_SG_EEES9_SI_JZNS1_25segmented_radix_sort_implINS0_14default_configELb1EPKbPbPKlPlN2at6native12_GLOBAL__N_18offset_tEEE10hipError_tPvRmT1_PNSt15iterator_traitsIS12_E10value_typeET2_T3_PNS13_IS18_E10value_typeET4_jRbjT5_S1E_jjP12ihipStream_tbEUljE_ZNSN_ISO_Lb1ESQ_SR_ST_SU_SY_EESZ_S10_S11_S12_S16_S17_S18_S1B_S1C_jS1D_jS1E_S1E_jjS1G_bEUljE0_EEESZ_S10_S11_S18_S1C_S1E_T6_T7_T9_mT8_S1G_bDpT10_ENKUlT_T0_E_clISt17integral_constantIbLb1EES1U_EEDaS1P_S1Q_EUlS1P_E_NS1_11comp_targetILNS1_3genE8ELNS1_11target_archE1030ELNS1_3gpuE2ELNS1_3repE0EEENS1_30default_config_static_selectorELNS0_4arch9wavefront6targetE1EEEvS12_.kd
    .uniform_work_group_size: 1
    .uses_dynamic_stack: false
    .vgpr_count:     0
    .vgpr_spill_count: 0
    .wavefront_size: 64
  - .args:
      - .offset:         0
        .size:           176
        .value_kind:     by_value
    .group_segment_fixed_size: 0
    .kernarg_segment_align: 8
    .kernarg_segment_size: 176
    .language:       OpenCL C
    .language_version:
      - 2
      - 0
    .max_flat_workgroup_size: 256
    .name:           _ZN7rocprim17ROCPRIM_400000_NS6detail17trampoline_kernelINS0_13select_configILj256ELj13ELNS0_17block_load_methodE3ELS4_3ELS4_3ELNS0_20block_scan_algorithmE0ELj4294967295EEENS1_25partition_config_selectorILNS1_17partition_subalgoE4EjNS0_10empty_typeEbEEZZNS1_14partition_implILS8_4ELb0ES6_15HIP_vector_typeIjLj2EENS0_17counting_iteratorIjlEEPS9_SG_NS0_5tupleIJPjSI_NS0_16reverse_iteratorISI_EEEEENSH_IJSG_SG_SG_EEES9_SI_JZNS1_25segmented_radix_sort_implINS0_14default_configELb1EPKbPbPKlPlN2at6native12_GLOBAL__N_18offset_tEEE10hipError_tPvRmT1_PNSt15iterator_traitsIS12_E10value_typeET2_T3_PNS13_IS18_E10value_typeET4_jRbjT5_S1E_jjP12ihipStream_tbEUljE_ZNSN_ISO_Lb1ESQ_SR_ST_SU_SY_EESZ_S10_S11_S12_S16_S17_S18_S1B_S1C_jS1D_jS1E_S1E_jjS1G_bEUljE0_EEESZ_S10_S11_S18_S1C_S1E_T6_T7_T9_mT8_S1G_bDpT10_ENKUlT_T0_E_clISt17integral_constantIbLb1EES1T_IbLb0EEEEDaS1P_S1Q_EUlS1P_E_NS1_11comp_targetILNS1_3genE0ELNS1_11target_archE4294967295ELNS1_3gpuE0ELNS1_3repE0EEENS1_30default_config_static_selectorELNS0_4arch9wavefront6targetE1EEEvS12_
    .private_segment_fixed_size: 0
    .sgpr_count:     4
    .sgpr_spill_count: 0
    .symbol:         _ZN7rocprim17ROCPRIM_400000_NS6detail17trampoline_kernelINS0_13select_configILj256ELj13ELNS0_17block_load_methodE3ELS4_3ELS4_3ELNS0_20block_scan_algorithmE0ELj4294967295EEENS1_25partition_config_selectorILNS1_17partition_subalgoE4EjNS0_10empty_typeEbEEZZNS1_14partition_implILS8_4ELb0ES6_15HIP_vector_typeIjLj2EENS0_17counting_iteratorIjlEEPS9_SG_NS0_5tupleIJPjSI_NS0_16reverse_iteratorISI_EEEEENSH_IJSG_SG_SG_EEES9_SI_JZNS1_25segmented_radix_sort_implINS0_14default_configELb1EPKbPbPKlPlN2at6native12_GLOBAL__N_18offset_tEEE10hipError_tPvRmT1_PNSt15iterator_traitsIS12_E10value_typeET2_T3_PNS13_IS18_E10value_typeET4_jRbjT5_S1E_jjP12ihipStream_tbEUljE_ZNSN_ISO_Lb1ESQ_SR_ST_SU_SY_EESZ_S10_S11_S12_S16_S17_S18_S1B_S1C_jS1D_jS1E_S1E_jjS1G_bEUljE0_EEESZ_S10_S11_S18_S1C_S1E_T6_T7_T9_mT8_S1G_bDpT10_ENKUlT_T0_E_clISt17integral_constantIbLb1EES1T_IbLb0EEEEDaS1P_S1Q_EUlS1P_E_NS1_11comp_targetILNS1_3genE0ELNS1_11target_archE4294967295ELNS1_3gpuE0ELNS1_3repE0EEENS1_30default_config_static_selectorELNS0_4arch9wavefront6targetE1EEEvS12_.kd
    .uniform_work_group_size: 1
    .uses_dynamic_stack: false
    .vgpr_count:     0
    .vgpr_spill_count: 0
    .wavefront_size: 64
  - .args:
      - .offset:         0
        .size:           176
        .value_kind:     by_value
    .group_segment_fixed_size: 0
    .kernarg_segment_align: 8
    .kernarg_segment_size: 176
    .language:       OpenCL C
    .language_version:
      - 2
      - 0
    .max_flat_workgroup_size: 256
    .name:           _ZN7rocprim17ROCPRIM_400000_NS6detail17trampoline_kernelINS0_13select_configILj256ELj13ELNS0_17block_load_methodE3ELS4_3ELS4_3ELNS0_20block_scan_algorithmE0ELj4294967295EEENS1_25partition_config_selectorILNS1_17partition_subalgoE4EjNS0_10empty_typeEbEEZZNS1_14partition_implILS8_4ELb0ES6_15HIP_vector_typeIjLj2EENS0_17counting_iteratorIjlEEPS9_SG_NS0_5tupleIJPjSI_NS0_16reverse_iteratorISI_EEEEENSH_IJSG_SG_SG_EEES9_SI_JZNS1_25segmented_radix_sort_implINS0_14default_configELb1EPKbPbPKlPlN2at6native12_GLOBAL__N_18offset_tEEE10hipError_tPvRmT1_PNSt15iterator_traitsIS12_E10value_typeET2_T3_PNS13_IS18_E10value_typeET4_jRbjT5_S1E_jjP12ihipStream_tbEUljE_ZNSN_ISO_Lb1ESQ_SR_ST_SU_SY_EESZ_S10_S11_S12_S16_S17_S18_S1B_S1C_jS1D_jS1E_S1E_jjS1G_bEUljE0_EEESZ_S10_S11_S18_S1C_S1E_T6_T7_T9_mT8_S1G_bDpT10_ENKUlT_T0_E_clISt17integral_constantIbLb1EES1T_IbLb0EEEEDaS1P_S1Q_EUlS1P_E_NS1_11comp_targetILNS1_3genE5ELNS1_11target_archE942ELNS1_3gpuE9ELNS1_3repE0EEENS1_30default_config_static_selectorELNS0_4arch9wavefront6targetE1EEEvS12_
    .private_segment_fixed_size: 0
    .sgpr_count:     4
    .sgpr_spill_count: 0
    .symbol:         _ZN7rocprim17ROCPRIM_400000_NS6detail17trampoline_kernelINS0_13select_configILj256ELj13ELNS0_17block_load_methodE3ELS4_3ELS4_3ELNS0_20block_scan_algorithmE0ELj4294967295EEENS1_25partition_config_selectorILNS1_17partition_subalgoE4EjNS0_10empty_typeEbEEZZNS1_14partition_implILS8_4ELb0ES6_15HIP_vector_typeIjLj2EENS0_17counting_iteratorIjlEEPS9_SG_NS0_5tupleIJPjSI_NS0_16reverse_iteratorISI_EEEEENSH_IJSG_SG_SG_EEES9_SI_JZNS1_25segmented_radix_sort_implINS0_14default_configELb1EPKbPbPKlPlN2at6native12_GLOBAL__N_18offset_tEEE10hipError_tPvRmT1_PNSt15iterator_traitsIS12_E10value_typeET2_T3_PNS13_IS18_E10value_typeET4_jRbjT5_S1E_jjP12ihipStream_tbEUljE_ZNSN_ISO_Lb1ESQ_SR_ST_SU_SY_EESZ_S10_S11_S12_S16_S17_S18_S1B_S1C_jS1D_jS1E_S1E_jjS1G_bEUljE0_EEESZ_S10_S11_S18_S1C_S1E_T6_T7_T9_mT8_S1G_bDpT10_ENKUlT_T0_E_clISt17integral_constantIbLb1EES1T_IbLb0EEEEDaS1P_S1Q_EUlS1P_E_NS1_11comp_targetILNS1_3genE5ELNS1_11target_archE942ELNS1_3gpuE9ELNS1_3repE0EEENS1_30default_config_static_selectorELNS0_4arch9wavefront6targetE1EEEvS12_.kd
    .uniform_work_group_size: 1
    .uses_dynamic_stack: false
    .vgpr_count:     0
    .vgpr_spill_count: 0
    .wavefront_size: 64
  - .args:
      - .offset:         0
        .size:           176
        .value_kind:     by_value
    .group_segment_fixed_size: 0
    .kernarg_segment_align: 8
    .kernarg_segment_size: 176
    .language:       OpenCL C
    .language_version:
      - 2
      - 0
    .max_flat_workgroup_size: 256
    .name:           _ZN7rocprim17ROCPRIM_400000_NS6detail17trampoline_kernelINS0_13select_configILj256ELj13ELNS0_17block_load_methodE3ELS4_3ELS4_3ELNS0_20block_scan_algorithmE0ELj4294967295EEENS1_25partition_config_selectorILNS1_17partition_subalgoE4EjNS0_10empty_typeEbEEZZNS1_14partition_implILS8_4ELb0ES6_15HIP_vector_typeIjLj2EENS0_17counting_iteratorIjlEEPS9_SG_NS0_5tupleIJPjSI_NS0_16reverse_iteratorISI_EEEEENSH_IJSG_SG_SG_EEES9_SI_JZNS1_25segmented_radix_sort_implINS0_14default_configELb1EPKbPbPKlPlN2at6native12_GLOBAL__N_18offset_tEEE10hipError_tPvRmT1_PNSt15iterator_traitsIS12_E10value_typeET2_T3_PNS13_IS18_E10value_typeET4_jRbjT5_S1E_jjP12ihipStream_tbEUljE_ZNSN_ISO_Lb1ESQ_SR_ST_SU_SY_EESZ_S10_S11_S12_S16_S17_S18_S1B_S1C_jS1D_jS1E_S1E_jjS1G_bEUljE0_EEESZ_S10_S11_S18_S1C_S1E_T6_T7_T9_mT8_S1G_bDpT10_ENKUlT_T0_E_clISt17integral_constantIbLb1EES1T_IbLb0EEEEDaS1P_S1Q_EUlS1P_E_NS1_11comp_targetILNS1_3genE4ELNS1_11target_archE910ELNS1_3gpuE8ELNS1_3repE0EEENS1_30default_config_static_selectorELNS0_4arch9wavefront6targetE1EEEvS12_
    .private_segment_fixed_size: 0
    .sgpr_count:     4
    .sgpr_spill_count: 0
    .symbol:         _ZN7rocprim17ROCPRIM_400000_NS6detail17trampoline_kernelINS0_13select_configILj256ELj13ELNS0_17block_load_methodE3ELS4_3ELS4_3ELNS0_20block_scan_algorithmE0ELj4294967295EEENS1_25partition_config_selectorILNS1_17partition_subalgoE4EjNS0_10empty_typeEbEEZZNS1_14partition_implILS8_4ELb0ES6_15HIP_vector_typeIjLj2EENS0_17counting_iteratorIjlEEPS9_SG_NS0_5tupleIJPjSI_NS0_16reverse_iteratorISI_EEEEENSH_IJSG_SG_SG_EEES9_SI_JZNS1_25segmented_radix_sort_implINS0_14default_configELb1EPKbPbPKlPlN2at6native12_GLOBAL__N_18offset_tEEE10hipError_tPvRmT1_PNSt15iterator_traitsIS12_E10value_typeET2_T3_PNS13_IS18_E10value_typeET4_jRbjT5_S1E_jjP12ihipStream_tbEUljE_ZNSN_ISO_Lb1ESQ_SR_ST_SU_SY_EESZ_S10_S11_S12_S16_S17_S18_S1B_S1C_jS1D_jS1E_S1E_jjS1G_bEUljE0_EEESZ_S10_S11_S18_S1C_S1E_T6_T7_T9_mT8_S1G_bDpT10_ENKUlT_T0_E_clISt17integral_constantIbLb1EES1T_IbLb0EEEEDaS1P_S1Q_EUlS1P_E_NS1_11comp_targetILNS1_3genE4ELNS1_11target_archE910ELNS1_3gpuE8ELNS1_3repE0EEENS1_30default_config_static_selectorELNS0_4arch9wavefront6targetE1EEEvS12_.kd
    .uniform_work_group_size: 1
    .uses_dynamic_stack: false
    .vgpr_count:     0
    .vgpr_spill_count: 0
    .wavefront_size: 64
  - .args:
      - .offset:         0
        .size:           176
        .value_kind:     by_value
    .group_segment_fixed_size: 0
    .kernarg_segment_align: 8
    .kernarg_segment_size: 176
    .language:       OpenCL C
    .language_version:
      - 2
      - 0
    .max_flat_workgroup_size: 256
    .name:           _ZN7rocprim17ROCPRIM_400000_NS6detail17trampoline_kernelINS0_13select_configILj256ELj13ELNS0_17block_load_methodE3ELS4_3ELS4_3ELNS0_20block_scan_algorithmE0ELj4294967295EEENS1_25partition_config_selectorILNS1_17partition_subalgoE4EjNS0_10empty_typeEbEEZZNS1_14partition_implILS8_4ELb0ES6_15HIP_vector_typeIjLj2EENS0_17counting_iteratorIjlEEPS9_SG_NS0_5tupleIJPjSI_NS0_16reverse_iteratorISI_EEEEENSH_IJSG_SG_SG_EEES9_SI_JZNS1_25segmented_radix_sort_implINS0_14default_configELb1EPKbPbPKlPlN2at6native12_GLOBAL__N_18offset_tEEE10hipError_tPvRmT1_PNSt15iterator_traitsIS12_E10value_typeET2_T3_PNS13_IS18_E10value_typeET4_jRbjT5_S1E_jjP12ihipStream_tbEUljE_ZNSN_ISO_Lb1ESQ_SR_ST_SU_SY_EESZ_S10_S11_S12_S16_S17_S18_S1B_S1C_jS1D_jS1E_S1E_jjS1G_bEUljE0_EEESZ_S10_S11_S18_S1C_S1E_T6_T7_T9_mT8_S1G_bDpT10_ENKUlT_T0_E_clISt17integral_constantIbLb1EES1T_IbLb0EEEEDaS1P_S1Q_EUlS1P_E_NS1_11comp_targetILNS1_3genE3ELNS1_11target_archE908ELNS1_3gpuE7ELNS1_3repE0EEENS1_30default_config_static_selectorELNS0_4arch9wavefront6targetE1EEEvS12_
    .private_segment_fixed_size: 0
    .sgpr_count:     4
    .sgpr_spill_count: 0
    .symbol:         _ZN7rocprim17ROCPRIM_400000_NS6detail17trampoline_kernelINS0_13select_configILj256ELj13ELNS0_17block_load_methodE3ELS4_3ELS4_3ELNS0_20block_scan_algorithmE0ELj4294967295EEENS1_25partition_config_selectorILNS1_17partition_subalgoE4EjNS0_10empty_typeEbEEZZNS1_14partition_implILS8_4ELb0ES6_15HIP_vector_typeIjLj2EENS0_17counting_iteratorIjlEEPS9_SG_NS0_5tupleIJPjSI_NS0_16reverse_iteratorISI_EEEEENSH_IJSG_SG_SG_EEES9_SI_JZNS1_25segmented_radix_sort_implINS0_14default_configELb1EPKbPbPKlPlN2at6native12_GLOBAL__N_18offset_tEEE10hipError_tPvRmT1_PNSt15iterator_traitsIS12_E10value_typeET2_T3_PNS13_IS18_E10value_typeET4_jRbjT5_S1E_jjP12ihipStream_tbEUljE_ZNSN_ISO_Lb1ESQ_SR_ST_SU_SY_EESZ_S10_S11_S12_S16_S17_S18_S1B_S1C_jS1D_jS1E_S1E_jjS1G_bEUljE0_EEESZ_S10_S11_S18_S1C_S1E_T6_T7_T9_mT8_S1G_bDpT10_ENKUlT_T0_E_clISt17integral_constantIbLb1EES1T_IbLb0EEEEDaS1P_S1Q_EUlS1P_E_NS1_11comp_targetILNS1_3genE3ELNS1_11target_archE908ELNS1_3gpuE7ELNS1_3repE0EEENS1_30default_config_static_selectorELNS0_4arch9wavefront6targetE1EEEvS12_.kd
    .uniform_work_group_size: 1
    .uses_dynamic_stack: false
    .vgpr_count:     0
    .vgpr_spill_count: 0
    .wavefront_size: 64
  - .args:
      - .offset:         0
        .size:           176
        .value_kind:     by_value
    .group_segment_fixed_size: 0
    .kernarg_segment_align: 8
    .kernarg_segment_size: 176
    .language:       OpenCL C
    .language_version:
      - 2
      - 0
    .max_flat_workgroup_size: 256
    .name:           _ZN7rocprim17ROCPRIM_400000_NS6detail17trampoline_kernelINS0_13select_configILj256ELj13ELNS0_17block_load_methodE3ELS4_3ELS4_3ELNS0_20block_scan_algorithmE0ELj4294967295EEENS1_25partition_config_selectorILNS1_17partition_subalgoE4EjNS0_10empty_typeEbEEZZNS1_14partition_implILS8_4ELb0ES6_15HIP_vector_typeIjLj2EENS0_17counting_iteratorIjlEEPS9_SG_NS0_5tupleIJPjSI_NS0_16reverse_iteratorISI_EEEEENSH_IJSG_SG_SG_EEES9_SI_JZNS1_25segmented_radix_sort_implINS0_14default_configELb1EPKbPbPKlPlN2at6native12_GLOBAL__N_18offset_tEEE10hipError_tPvRmT1_PNSt15iterator_traitsIS12_E10value_typeET2_T3_PNS13_IS18_E10value_typeET4_jRbjT5_S1E_jjP12ihipStream_tbEUljE_ZNSN_ISO_Lb1ESQ_SR_ST_SU_SY_EESZ_S10_S11_S12_S16_S17_S18_S1B_S1C_jS1D_jS1E_S1E_jjS1G_bEUljE0_EEESZ_S10_S11_S18_S1C_S1E_T6_T7_T9_mT8_S1G_bDpT10_ENKUlT_T0_E_clISt17integral_constantIbLb1EES1T_IbLb0EEEEDaS1P_S1Q_EUlS1P_E_NS1_11comp_targetILNS1_3genE2ELNS1_11target_archE906ELNS1_3gpuE6ELNS1_3repE0EEENS1_30default_config_static_selectorELNS0_4arch9wavefront6targetE1EEEvS12_
    .private_segment_fixed_size: 0
    .sgpr_count:     4
    .sgpr_spill_count: 0
    .symbol:         _ZN7rocprim17ROCPRIM_400000_NS6detail17trampoline_kernelINS0_13select_configILj256ELj13ELNS0_17block_load_methodE3ELS4_3ELS4_3ELNS0_20block_scan_algorithmE0ELj4294967295EEENS1_25partition_config_selectorILNS1_17partition_subalgoE4EjNS0_10empty_typeEbEEZZNS1_14partition_implILS8_4ELb0ES6_15HIP_vector_typeIjLj2EENS0_17counting_iteratorIjlEEPS9_SG_NS0_5tupleIJPjSI_NS0_16reverse_iteratorISI_EEEEENSH_IJSG_SG_SG_EEES9_SI_JZNS1_25segmented_radix_sort_implINS0_14default_configELb1EPKbPbPKlPlN2at6native12_GLOBAL__N_18offset_tEEE10hipError_tPvRmT1_PNSt15iterator_traitsIS12_E10value_typeET2_T3_PNS13_IS18_E10value_typeET4_jRbjT5_S1E_jjP12ihipStream_tbEUljE_ZNSN_ISO_Lb1ESQ_SR_ST_SU_SY_EESZ_S10_S11_S12_S16_S17_S18_S1B_S1C_jS1D_jS1E_S1E_jjS1G_bEUljE0_EEESZ_S10_S11_S18_S1C_S1E_T6_T7_T9_mT8_S1G_bDpT10_ENKUlT_T0_E_clISt17integral_constantIbLb1EES1T_IbLb0EEEEDaS1P_S1Q_EUlS1P_E_NS1_11comp_targetILNS1_3genE2ELNS1_11target_archE906ELNS1_3gpuE6ELNS1_3repE0EEENS1_30default_config_static_selectorELNS0_4arch9wavefront6targetE1EEEvS12_.kd
    .uniform_work_group_size: 1
    .uses_dynamic_stack: false
    .vgpr_count:     0
    .vgpr_spill_count: 0
    .wavefront_size: 64
  - .args:
      - .offset:         0
        .size:           176
        .value_kind:     by_value
    .group_segment_fixed_size: 0
    .kernarg_segment_align: 8
    .kernarg_segment_size: 176
    .language:       OpenCL C
    .language_version:
      - 2
      - 0
    .max_flat_workgroup_size: 256
    .name:           _ZN7rocprim17ROCPRIM_400000_NS6detail17trampoline_kernelINS0_13select_configILj256ELj13ELNS0_17block_load_methodE3ELS4_3ELS4_3ELNS0_20block_scan_algorithmE0ELj4294967295EEENS1_25partition_config_selectorILNS1_17partition_subalgoE4EjNS0_10empty_typeEbEEZZNS1_14partition_implILS8_4ELb0ES6_15HIP_vector_typeIjLj2EENS0_17counting_iteratorIjlEEPS9_SG_NS0_5tupleIJPjSI_NS0_16reverse_iteratorISI_EEEEENSH_IJSG_SG_SG_EEES9_SI_JZNS1_25segmented_radix_sort_implINS0_14default_configELb1EPKbPbPKlPlN2at6native12_GLOBAL__N_18offset_tEEE10hipError_tPvRmT1_PNSt15iterator_traitsIS12_E10value_typeET2_T3_PNS13_IS18_E10value_typeET4_jRbjT5_S1E_jjP12ihipStream_tbEUljE_ZNSN_ISO_Lb1ESQ_SR_ST_SU_SY_EESZ_S10_S11_S12_S16_S17_S18_S1B_S1C_jS1D_jS1E_S1E_jjS1G_bEUljE0_EEESZ_S10_S11_S18_S1C_S1E_T6_T7_T9_mT8_S1G_bDpT10_ENKUlT_T0_E_clISt17integral_constantIbLb1EES1T_IbLb0EEEEDaS1P_S1Q_EUlS1P_E_NS1_11comp_targetILNS1_3genE10ELNS1_11target_archE1200ELNS1_3gpuE4ELNS1_3repE0EEENS1_30default_config_static_selectorELNS0_4arch9wavefront6targetE1EEEvS12_
    .private_segment_fixed_size: 0
    .sgpr_count:     4
    .sgpr_spill_count: 0
    .symbol:         _ZN7rocprim17ROCPRIM_400000_NS6detail17trampoline_kernelINS0_13select_configILj256ELj13ELNS0_17block_load_methodE3ELS4_3ELS4_3ELNS0_20block_scan_algorithmE0ELj4294967295EEENS1_25partition_config_selectorILNS1_17partition_subalgoE4EjNS0_10empty_typeEbEEZZNS1_14partition_implILS8_4ELb0ES6_15HIP_vector_typeIjLj2EENS0_17counting_iteratorIjlEEPS9_SG_NS0_5tupleIJPjSI_NS0_16reverse_iteratorISI_EEEEENSH_IJSG_SG_SG_EEES9_SI_JZNS1_25segmented_radix_sort_implINS0_14default_configELb1EPKbPbPKlPlN2at6native12_GLOBAL__N_18offset_tEEE10hipError_tPvRmT1_PNSt15iterator_traitsIS12_E10value_typeET2_T3_PNS13_IS18_E10value_typeET4_jRbjT5_S1E_jjP12ihipStream_tbEUljE_ZNSN_ISO_Lb1ESQ_SR_ST_SU_SY_EESZ_S10_S11_S12_S16_S17_S18_S1B_S1C_jS1D_jS1E_S1E_jjS1G_bEUljE0_EEESZ_S10_S11_S18_S1C_S1E_T6_T7_T9_mT8_S1G_bDpT10_ENKUlT_T0_E_clISt17integral_constantIbLb1EES1T_IbLb0EEEEDaS1P_S1Q_EUlS1P_E_NS1_11comp_targetILNS1_3genE10ELNS1_11target_archE1200ELNS1_3gpuE4ELNS1_3repE0EEENS1_30default_config_static_selectorELNS0_4arch9wavefront6targetE1EEEvS12_.kd
    .uniform_work_group_size: 1
    .uses_dynamic_stack: false
    .vgpr_count:     0
    .vgpr_spill_count: 0
    .wavefront_size: 64
  - .args:
      - .offset:         0
        .size:           176
        .value_kind:     by_value
    .group_segment_fixed_size: 0
    .kernarg_segment_align: 8
    .kernarg_segment_size: 176
    .language:       OpenCL C
    .language_version:
      - 2
      - 0
    .max_flat_workgroup_size: 256
    .name:           _ZN7rocprim17ROCPRIM_400000_NS6detail17trampoline_kernelINS0_13select_configILj256ELj13ELNS0_17block_load_methodE3ELS4_3ELS4_3ELNS0_20block_scan_algorithmE0ELj4294967295EEENS1_25partition_config_selectorILNS1_17partition_subalgoE4EjNS0_10empty_typeEbEEZZNS1_14partition_implILS8_4ELb0ES6_15HIP_vector_typeIjLj2EENS0_17counting_iteratorIjlEEPS9_SG_NS0_5tupleIJPjSI_NS0_16reverse_iteratorISI_EEEEENSH_IJSG_SG_SG_EEES9_SI_JZNS1_25segmented_radix_sort_implINS0_14default_configELb1EPKbPbPKlPlN2at6native12_GLOBAL__N_18offset_tEEE10hipError_tPvRmT1_PNSt15iterator_traitsIS12_E10value_typeET2_T3_PNS13_IS18_E10value_typeET4_jRbjT5_S1E_jjP12ihipStream_tbEUljE_ZNSN_ISO_Lb1ESQ_SR_ST_SU_SY_EESZ_S10_S11_S12_S16_S17_S18_S1B_S1C_jS1D_jS1E_S1E_jjS1G_bEUljE0_EEESZ_S10_S11_S18_S1C_S1E_T6_T7_T9_mT8_S1G_bDpT10_ENKUlT_T0_E_clISt17integral_constantIbLb1EES1T_IbLb0EEEEDaS1P_S1Q_EUlS1P_E_NS1_11comp_targetILNS1_3genE9ELNS1_11target_archE1100ELNS1_3gpuE3ELNS1_3repE0EEENS1_30default_config_static_selectorELNS0_4arch9wavefront6targetE1EEEvS12_
    .private_segment_fixed_size: 0
    .sgpr_count:     4
    .sgpr_spill_count: 0
    .symbol:         _ZN7rocprim17ROCPRIM_400000_NS6detail17trampoline_kernelINS0_13select_configILj256ELj13ELNS0_17block_load_methodE3ELS4_3ELS4_3ELNS0_20block_scan_algorithmE0ELj4294967295EEENS1_25partition_config_selectorILNS1_17partition_subalgoE4EjNS0_10empty_typeEbEEZZNS1_14partition_implILS8_4ELb0ES6_15HIP_vector_typeIjLj2EENS0_17counting_iteratorIjlEEPS9_SG_NS0_5tupleIJPjSI_NS0_16reverse_iteratorISI_EEEEENSH_IJSG_SG_SG_EEES9_SI_JZNS1_25segmented_radix_sort_implINS0_14default_configELb1EPKbPbPKlPlN2at6native12_GLOBAL__N_18offset_tEEE10hipError_tPvRmT1_PNSt15iterator_traitsIS12_E10value_typeET2_T3_PNS13_IS18_E10value_typeET4_jRbjT5_S1E_jjP12ihipStream_tbEUljE_ZNSN_ISO_Lb1ESQ_SR_ST_SU_SY_EESZ_S10_S11_S12_S16_S17_S18_S1B_S1C_jS1D_jS1E_S1E_jjS1G_bEUljE0_EEESZ_S10_S11_S18_S1C_S1E_T6_T7_T9_mT8_S1G_bDpT10_ENKUlT_T0_E_clISt17integral_constantIbLb1EES1T_IbLb0EEEEDaS1P_S1Q_EUlS1P_E_NS1_11comp_targetILNS1_3genE9ELNS1_11target_archE1100ELNS1_3gpuE3ELNS1_3repE0EEENS1_30default_config_static_selectorELNS0_4arch9wavefront6targetE1EEEvS12_.kd
    .uniform_work_group_size: 1
    .uses_dynamic_stack: false
    .vgpr_count:     0
    .vgpr_spill_count: 0
    .wavefront_size: 64
  - .args:
      - .offset:         0
        .size:           176
        .value_kind:     by_value
    .group_segment_fixed_size: 0
    .kernarg_segment_align: 8
    .kernarg_segment_size: 176
    .language:       OpenCL C
    .language_version:
      - 2
      - 0
    .max_flat_workgroup_size: 256
    .name:           _ZN7rocprim17ROCPRIM_400000_NS6detail17trampoline_kernelINS0_13select_configILj256ELj13ELNS0_17block_load_methodE3ELS4_3ELS4_3ELNS0_20block_scan_algorithmE0ELj4294967295EEENS1_25partition_config_selectorILNS1_17partition_subalgoE4EjNS0_10empty_typeEbEEZZNS1_14partition_implILS8_4ELb0ES6_15HIP_vector_typeIjLj2EENS0_17counting_iteratorIjlEEPS9_SG_NS0_5tupleIJPjSI_NS0_16reverse_iteratorISI_EEEEENSH_IJSG_SG_SG_EEES9_SI_JZNS1_25segmented_radix_sort_implINS0_14default_configELb1EPKbPbPKlPlN2at6native12_GLOBAL__N_18offset_tEEE10hipError_tPvRmT1_PNSt15iterator_traitsIS12_E10value_typeET2_T3_PNS13_IS18_E10value_typeET4_jRbjT5_S1E_jjP12ihipStream_tbEUljE_ZNSN_ISO_Lb1ESQ_SR_ST_SU_SY_EESZ_S10_S11_S12_S16_S17_S18_S1B_S1C_jS1D_jS1E_S1E_jjS1G_bEUljE0_EEESZ_S10_S11_S18_S1C_S1E_T6_T7_T9_mT8_S1G_bDpT10_ENKUlT_T0_E_clISt17integral_constantIbLb1EES1T_IbLb0EEEEDaS1P_S1Q_EUlS1P_E_NS1_11comp_targetILNS1_3genE8ELNS1_11target_archE1030ELNS1_3gpuE2ELNS1_3repE0EEENS1_30default_config_static_selectorELNS0_4arch9wavefront6targetE1EEEvS12_
    .private_segment_fixed_size: 0
    .sgpr_count:     4
    .sgpr_spill_count: 0
    .symbol:         _ZN7rocprim17ROCPRIM_400000_NS6detail17trampoline_kernelINS0_13select_configILj256ELj13ELNS0_17block_load_methodE3ELS4_3ELS4_3ELNS0_20block_scan_algorithmE0ELj4294967295EEENS1_25partition_config_selectorILNS1_17partition_subalgoE4EjNS0_10empty_typeEbEEZZNS1_14partition_implILS8_4ELb0ES6_15HIP_vector_typeIjLj2EENS0_17counting_iteratorIjlEEPS9_SG_NS0_5tupleIJPjSI_NS0_16reverse_iteratorISI_EEEEENSH_IJSG_SG_SG_EEES9_SI_JZNS1_25segmented_radix_sort_implINS0_14default_configELb1EPKbPbPKlPlN2at6native12_GLOBAL__N_18offset_tEEE10hipError_tPvRmT1_PNSt15iterator_traitsIS12_E10value_typeET2_T3_PNS13_IS18_E10value_typeET4_jRbjT5_S1E_jjP12ihipStream_tbEUljE_ZNSN_ISO_Lb1ESQ_SR_ST_SU_SY_EESZ_S10_S11_S12_S16_S17_S18_S1B_S1C_jS1D_jS1E_S1E_jjS1G_bEUljE0_EEESZ_S10_S11_S18_S1C_S1E_T6_T7_T9_mT8_S1G_bDpT10_ENKUlT_T0_E_clISt17integral_constantIbLb1EES1T_IbLb0EEEEDaS1P_S1Q_EUlS1P_E_NS1_11comp_targetILNS1_3genE8ELNS1_11target_archE1030ELNS1_3gpuE2ELNS1_3repE0EEENS1_30default_config_static_selectorELNS0_4arch9wavefront6targetE1EEEvS12_.kd
    .uniform_work_group_size: 1
    .uses_dynamic_stack: false
    .vgpr_count:     0
    .vgpr_spill_count: 0
    .wavefront_size: 64
  - .args:
      - .offset:         0
        .size:           184
        .value_kind:     by_value
    .group_segment_fixed_size: 0
    .kernarg_segment_align: 8
    .kernarg_segment_size: 184
    .language:       OpenCL C
    .language_version:
      - 2
      - 0
    .max_flat_workgroup_size: 256
    .name:           _ZN7rocprim17ROCPRIM_400000_NS6detail17trampoline_kernelINS0_13select_configILj256ELj13ELNS0_17block_load_methodE3ELS4_3ELS4_3ELNS0_20block_scan_algorithmE0ELj4294967295EEENS1_25partition_config_selectorILNS1_17partition_subalgoE4EjNS0_10empty_typeEbEEZZNS1_14partition_implILS8_4ELb0ES6_15HIP_vector_typeIjLj2EENS0_17counting_iteratorIjlEEPS9_SG_NS0_5tupleIJPjSI_NS0_16reverse_iteratorISI_EEEEENSH_IJSG_SG_SG_EEES9_SI_JZNS1_25segmented_radix_sort_implINS0_14default_configELb1EPKbPbPKlPlN2at6native12_GLOBAL__N_18offset_tEEE10hipError_tPvRmT1_PNSt15iterator_traitsIS12_E10value_typeET2_T3_PNS13_IS18_E10value_typeET4_jRbjT5_S1E_jjP12ihipStream_tbEUljE_ZNSN_ISO_Lb1ESQ_SR_ST_SU_SY_EESZ_S10_S11_S12_S16_S17_S18_S1B_S1C_jS1D_jS1E_S1E_jjS1G_bEUljE0_EEESZ_S10_S11_S18_S1C_S1E_T6_T7_T9_mT8_S1G_bDpT10_ENKUlT_T0_E_clISt17integral_constantIbLb0EES1T_IbLb1EEEEDaS1P_S1Q_EUlS1P_E_NS1_11comp_targetILNS1_3genE0ELNS1_11target_archE4294967295ELNS1_3gpuE0ELNS1_3repE0EEENS1_30default_config_static_selectorELNS0_4arch9wavefront6targetE1EEEvS12_
    .private_segment_fixed_size: 0
    .sgpr_count:     4
    .sgpr_spill_count: 0
    .symbol:         _ZN7rocprim17ROCPRIM_400000_NS6detail17trampoline_kernelINS0_13select_configILj256ELj13ELNS0_17block_load_methodE3ELS4_3ELS4_3ELNS0_20block_scan_algorithmE0ELj4294967295EEENS1_25partition_config_selectorILNS1_17partition_subalgoE4EjNS0_10empty_typeEbEEZZNS1_14partition_implILS8_4ELb0ES6_15HIP_vector_typeIjLj2EENS0_17counting_iteratorIjlEEPS9_SG_NS0_5tupleIJPjSI_NS0_16reverse_iteratorISI_EEEEENSH_IJSG_SG_SG_EEES9_SI_JZNS1_25segmented_radix_sort_implINS0_14default_configELb1EPKbPbPKlPlN2at6native12_GLOBAL__N_18offset_tEEE10hipError_tPvRmT1_PNSt15iterator_traitsIS12_E10value_typeET2_T3_PNS13_IS18_E10value_typeET4_jRbjT5_S1E_jjP12ihipStream_tbEUljE_ZNSN_ISO_Lb1ESQ_SR_ST_SU_SY_EESZ_S10_S11_S12_S16_S17_S18_S1B_S1C_jS1D_jS1E_S1E_jjS1G_bEUljE0_EEESZ_S10_S11_S18_S1C_S1E_T6_T7_T9_mT8_S1G_bDpT10_ENKUlT_T0_E_clISt17integral_constantIbLb0EES1T_IbLb1EEEEDaS1P_S1Q_EUlS1P_E_NS1_11comp_targetILNS1_3genE0ELNS1_11target_archE4294967295ELNS1_3gpuE0ELNS1_3repE0EEENS1_30default_config_static_selectorELNS0_4arch9wavefront6targetE1EEEvS12_.kd
    .uniform_work_group_size: 1
    .uses_dynamic_stack: false
    .vgpr_count:     0
    .vgpr_spill_count: 0
    .wavefront_size: 64
  - .args:
      - .offset:         0
        .size:           184
        .value_kind:     by_value
    .group_segment_fixed_size: 0
    .kernarg_segment_align: 8
    .kernarg_segment_size: 184
    .language:       OpenCL C
    .language_version:
      - 2
      - 0
    .max_flat_workgroup_size: 256
    .name:           _ZN7rocprim17ROCPRIM_400000_NS6detail17trampoline_kernelINS0_13select_configILj256ELj13ELNS0_17block_load_methodE3ELS4_3ELS4_3ELNS0_20block_scan_algorithmE0ELj4294967295EEENS1_25partition_config_selectorILNS1_17partition_subalgoE4EjNS0_10empty_typeEbEEZZNS1_14partition_implILS8_4ELb0ES6_15HIP_vector_typeIjLj2EENS0_17counting_iteratorIjlEEPS9_SG_NS0_5tupleIJPjSI_NS0_16reverse_iteratorISI_EEEEENSH_IJSG_SG_SG_EEES9_SI_JZNS1_25segmented_radix_sort_implINS0_14default_configELb1EPKbPbPKlPlN2at6native12_GLOBAL__N_18offset_tEEE10hipError_tPvRmT1_PNSt15iterator_traitsIS12_E10value_typeET2_T3_PNS13_IS18_E10value_typeET4_jRbjT5_S1E_jjP12ihipStream_tbEUljE_ZNSN_ISO_Lb1ESQ_SR_ST_SU_SY_EESZ_S10_S11_S12_S16_S17_S18_S1B_S1C_jS1D_jS1E_S1E_jjS1G_bEUljE0_EEESZ_S10_S11_S18_S1C_S1E_T6_T7_T9_mT8_S1G_bDpT10_ENKUlT_T0_E_clISt17integral_constantIbLb0EES1T_IbLb1EEEEDaS1P_S1Q_EUlS1P_E_NS1_11comp_targetILNS1_3genE5ELNS1_11target_archE942ELNS1_3gpuE9ELNS1_3repE0EEENS1_30default_config_static_selectorELNS0_4arch9wavefront6targetE1EEEvS12_
    .private_segment_fixed_size: 0
    .sgpr_count:     4
    .sgpr_spill_count: 0
    .symbol:         _ZN7rocprim17ROCPRIM_400000_NS6detail17trampoline_kernelINS0_13select_configILj256ELj13ELNS0_17block_load_methodE3ELS4_3ELS4_3ELNS0_20block_scan_algorithmE0ELj4294967295EEENS1_25partition_config_selectorILNS1_17partition_subalgoE4EjNS0_10empty_typeEbEEZZNS1_14partition_implILS8_4ELb0ES6_15HIP_vector_typeIjLj2EENS0_17counting_iteratorIjlEEPS9_SG_NS0_5tupleIJPjSI_NS0_16reverse_iteratorISI_EEEEENSH_IJSG_SG_SG_EEES9_SI_JZNS1_25segmented_radix_sort_implINS0_14default_configELb1EPKbPbPKlPlN2at6native12_GLOBAL__N_18offset_tEEE10hipError_tPvRmT1_PNSt15iterator_traitsIS12_E10value_typeET2_T3_PNS13_IS18_E10value_typeET4_jRbjT5_S1E_jjP12ihipStream_tbEUljE_ZNSN_ISO_Lb1ESQ_SR_ST_SU_SY_EESZ_S10_S11_S12_S16_S17_S18_S1B_S1C_jS1D_jS1E_S1E_jjS1G_bEUljE0_EEESZ_S10_S11_S18_S1C_S1E_T6_T7_T9_mT8_S1G_bDpT10_ENKUlT_T0_E_clISt17integral_constantIbLb0EES1T_IbLb1EEEEDaS1P_S1Q_EUlS1P_E_NS1_11comp_targetILNS1_3genE5ELNS1_11target_archE942ELNS1_3gpuE9ELNS1_3repE0EEENS1_30default_config_static_selectorELNS0_4arch9wavefront6targetE1EEEvS12_.kd
    .uniform_work_group_size: 1
    .uses_dynamic_stack: false
    .vgpr_count:     0
    .vgpr_spill_count: 0
    .wavefront_size: 64
  - .args:
      - .offset:         0
        .size:           184
        .value_kind:     by_value
    .group_segment_fixed_size: 0
    .kernarg_segment_align: 8
    .kernarg_segment_size: 184
    .language:       OpenCL C
    .language_version:
      - 2
      - 0
    .max_flat_workgroup_size: 256
    .name:           _ZN7rocprim17ROCPRIM_400000_NS6detail17trampoline_kernelINS0_13select_configILj256ELj13ELNS0_17block_load_methodE3ELS4_3ELS4_3ELNS0_20block_scan_algorithmE0ELj4294967295EEENS1_25partition_config_selectorILNS1_17partition_subalgoE4EjNS0_10empty_typeEbEEZZNS1_14partition_implILS8_4ELb0ES6_15HIP_vector_typeIjLj2EENS0_17counting_iteratorIjlEEPS9_SG_NS0_5tupleIJPjSI_NS0_16reverse_iteratorISI_EEEEENSH_IJSG_SG_SG_EEES9_SI_JZNS1_25segmented_radix_sort_implINS0_14default_configELb1EPKbPbPKlPlN2at6native12_GLOBAL__N_18offset_tEEE10hipError_tPvRmT1_PNSt15iterator_traitsIS12_E10value_typeET2_T3_PNS13_IS18_E10value_typeET4_jRbjT5_S1E_jjP12ihipStream_tbEUljE_ZNSN_ISO_Lb1ESQ_SR_ST_SU_SY_EESZ_S10_S11_S12_S16_S17_S18_S1B_S1C_jS1D_jS1E_S1E_jjS1G_bEUljE0_EEESZ_S10_S11_S18_S1C_S1E_T6_T7_T9_mT8_S1G_bDpT10_ENKUlT_T0_E_clISt17integral_constantIbLb0EES1T_IbLb1EEEEDaS1P_S1Q_EUlS1P_E_NS1_11comp_targetILNS1_3genE4ELNS1_11target_archE910ELNS1_3gpuE8ELNS1_3repE0EEENS1_30default_config_static_selectorELNS0_4arch9wavefront6targetE1EEEvS12_
    .private_segment_fixed_size: 0
    .sgpr_count:     4
    .sgpr_spill_count: 0
    .symbol:         _ZN7rocprim17ROCPRIM_400000_NS6detail17trampoline_kernelINS0_13select_configILj256ELj13ELNS0_17block_load_methodE3ELS4_3ELS4_3ELNS0_20block_scan_algorithmE0ELj4294967295EEENS1_25partition_config_selectorILNS1_17partition_subalgoE4EjNS0_10empty_typeEbEEZZNS1_14partition_implILS8_4ELb0ES6_15HIP_vector_typeIjLj2EENS0_17counting_iteratorIjlEEPS9_SG_NS0_5tupleIJPjSI_NS0_16reverse_iteratorISI_EEEEENSH_IJSG_SG_SG_EEES9_SI_JZNS1_25segmented_radix_sort_implINS0_14default_configELb1EPKbPbPKlPlN2at6native12_GLOBAL__N_18offset_tEEE10hipError_tPvRmT1_PNSt15iterator_traitsIS12_E10value_typeET2_T3_PNS13_IS18_E10value_typeET4_jRbjT5_S1E_jjP12ihipStream_tbEUljE_ZNSN_ISO_Lb1ESQ_SR_ST_SU_SY_EESZ_S10_S11_S12_S16_S17_S18_S1B_S1C_jS1D_jS1E_S1E_jjS1G_bEUljE0_EEESZ_S10_S11_S18_S1C_S1E_T6_T7_T9_mT8_S1G_bDpT10_ENKUlT_T0_E_clISt17integral_constantIbLb0EES1T_IbLb1EEEEDaS1P_S1Q_EUlS1P_E_NS1_11comp_targetILNS1_3genE4ELNS1_11target_archE910ELNS1_3gpuE8ELNS1_3repE0EEENS1_30default_config_static_selectorELNS0_4arch9wavefront6targetE1EEEvS12_.kd
    .uniform_work_group_size: 1
    .uses_dynamic_stack: false
    .vgpr_count:     0
    .vgpr_spill_count: 0
    .wavefront_size: 64
  - .args:
      - .offset:         0
        .size:           184
        .value_kind:     by_value
    .group_segment_fixed_size: 0
    .kernarg_segment_align: 8
    .kernarg_segment_size: 184
    .language:       OpenCL C
    .language_version:
      - 2
      - 0
    .max_flat_workgroup_size: 256
    .name:           _ZN7rocprim17ROCPRIM_400000_NS6detail17trampoline_kernelINS0_13select_configILj256ELj13ELNS0_17block_load_methodE3ELS4_3ELS4_3ELNS0_20block_scan_algorithmE0ELj4294967295EEENS1_25partition_config_selectorILNS1_17partition_subalgoE4EjNS0_10empty_typeEbEEZZNS1_14partition_implILS8_4ELb0ES6_15HIP_vector_typeIjLj2EENS0_17counting_iteratorIjlEEPS9_SG_NS0_5tupleIJPjSI_NS0_16reverse_iteratorISI_EEEEENSH_IJSG_SG_SG_EEES9_SI_JZNS1_25segmented_radix_sort_implINS0_14default_configELb1EPKbPbPKlPlN2at6native12_GLOBAL__N_18offset_tEEE10hipError_tPvRmT1_PNSt15iterator_traitsIS12_E10value_typeET2_T3_PNS13_IS18_E10value_typeET4_jRbjT5_S1E_jjP12ihipStream_tbEUljE_ZNSN_ISO_Lb1ESQ_SR_ST_SU_SY_EESZ_S10_S11_S12_S16_S17_S18_S1B_S1C_jS1D_jS1E_S1E_jjS1G_bEUljE0_EEESZ_S10_S11_S18_S1C_S1E_T6_T7_T9_mT8_S1G_bDpT10_ENKUlT_T0_E_clISt17integral_constantIbLb0EES1T_IbLb1EEEEDaS1P_S1Q_EUlS1P_E_NS1_11comp_targetILNS1_3genE3ELNS1_11target_archE908ELNS1_3gpuE7ELNS1_3repE0EEENS1_30default_config_static_selectorELNS0_4arch9wavefront6targetE1EEEvS12_
    .private_segment_fixed_size: 0
    .sgpr_count:     4
    .sgpr_spill_count: 0
    .symbol:         _ZN7rocprim17ROCPRIM_400000_NS6detail17trampoline_kernelINS0_13select_configILj256ELj13ELNS0_17block_load_methodE3ELS4_3ELS4_3ELNS0_20block_scan_algorithmE0ELj4294967295EEENS1_25partition_config_selectorILNS1_17partition_subalgoE4EjNS0_10empty_typeEbEEZZNS1_14partition_implILS8_4ELb0ES6_15HIP_vector_typeIjLj2EENS0_17counting_iteratorIjlEEPS9_SG_NS0_5tupleIJPjSI_NS0_16reverse_iteratorISI_EEEEENSH_IJSG_SG_SG_EEES9_SI_JZNS1_25segmented_radix_sort_implINS0_14default_configELb1EPKbPbPKlPlN2at6native12_GLOBAL__N_18offset_tEEE10hipError_tPvRmT1_PNSt15iterator_traitsIS12_E10value_typeET2_T3_PNS13_IS18_E10value_typeET4_jRbjT5_S1E_jjP12ihipStream_tbEUljE_ZNSN_ISO_Lb1ESQ_SR_ST_SU_SY_EESZ_S10_S11_S12_S16_S17_S18_S1B_S1C_jS1D_jS1E_S1E_jjS1G_bEUljE0_EEESZ_S10_S11_S18_S1C_S1E_T6_T7_T9_mT8_S1G_bDpT10_ENKUlT_T0_E_clISt17integral_constantIbLb0EES1T_IbLb1EEEEDaS1P_S1Q_EUlS1P_E_NS1_11comp_targetILNS1_3genE3ELNS1_11target_archE908ELNS1_3gpuE7ELNS1_3repE0EEENS1_30default_config_static_selectorELNS0_4arch9wavefront6targetE1EEEvS12_.kd
    .uniform_work_group_size: 1
    .uses_dynamic_stack: false
    .vgpr_count:     0
    .vgpr_spill_count: 0
    .wavefront_size: 64
  - .args:
      - .offset:         0
        .size:           184
        .value_kind:     by_value
    .group_segment_fixed_size: 13328
    .kernarg_segment_align: 8
    .kernarg_segment_size: 184
    .language:       OpenCL C
    .language_version:
      - 2
      - 0
    .max_flat_workgroup_size: 256
    .name:           _ZN7rocprim17ROCPRIM_400000_NS6detail17trampoline_kernelINS0_13select_configILj256ELj13ELNS0_17block_load_methodE3ELS4_3ELS4_3ELNS0_20block_scan_algorithmE0ELj4294967295EEENS1_25partition_config_selectorILNS1_17partition_subalgoE4EjNS0_10empty_typeEbEEZZNS1_14partition_implILS8_4ELb0ES6_15HIP_vector_typeIjLj2EENS0_17counting_iteratorIjlEEPS9_SG_NS0_5tupleIJPjSI_NS0_16reverse_iteratorISI_EEEEENSH_IJSG_SG_SG_EEES9_SI_JZNS1_25segmented_radix_sort_implINS0_14default_configELb1EPKbPbPKlPlN2at6native12_GLOBAL__N_18offset_tEEE10hipError_tPvRmT1_PNSt15iterator_traitsIS12_E10value_typeET2_T3_PNS13_IS18_E10value_typeET4_jRbjT5_S1E_jjP12ihipStream_tbEUljE_ZNSN_ISO_Lb1ESQ_SR_ST_SU_SY_EESZ_S10_S11_S12_S16_S17_S18_S1B_S1C_jS1D_jS1E_S1E_jjS1G_bEUljE0_EEESZ_S10_S11_S18_S1C_S1E_T6_T7_T9_mT8_S1G_bDpT10_ENKUlT_T0_E_clISt17integral_constantIbLb0EES1T_IbLb1EEEEDaS1P_S1Q_EUlS1P_E_NS1_11comp_targetILNS1_3genE2ELNS1_11target_archE906ELNS1_3gpuE6ELNS1_3repE0EEENS1_30default_config_static_selectorELNS0_4arch9wavefront6targetE1EEEvS12_
    .private_segment_fixed_size: 0
    .sgpr_count:     91
    .sgpr_spill_count: 0
    .symbol:         _ZN7rocprim17ROCPRIM_400000_NS6detail17trampoline_kernelINS0_13select_configILj256ELj13ELNS0_17block_load_methodE3ELS4_3ELS4_3ELNS0_20block_scan_algorithmE0ELj4294967295EEENS1_25partition_config_selectorILNS1_17partition_subalgoE4EjNS0_10empty_typeEbEEZZNS1_14partition_implILS8_4ELb0ES6_15HIP_vector_typeIjLj2EENS0_17counting_iteratorIjlEEPS9_SG_NS0_5tupleIJPjSI_NS0_16reverse_iteratorISI_EEEEENSH_IJSG_SG_SG_EEES9_SI_JZNS1_25segmented_radix_sort_implINS0_14default_configELb1EPKbPbPKlPlN2at6native12_GLOBAL__N_18offset_tEEE10hipError_tPvRmT1_PNSt15iterator_traitsIS12_E10value_typeET2_T3_PNS13_IS18_E10value_typeET4_jRbjT5_S1E_jjP12ihipStream_tbEUljE_ZNSN_ISO_Lb1ESQ_SR_ST_SU_SY_EESZ_S10_S11_S12_S16_S17_S18_S1B_S1C_jS1D_jS1E_S1E_jjS1G_bEUljE0_EEESZ_S10_S11_S18_S1C_S1E_T6_T7_T9_mT8_S1G_bDpT10_ENKUlT_T0_E_clISt17integral_constantIbLb0EES1T_IbLb1EEEEDaS1P_S1Q_EUlS1P_E_NS1_11comp_targetILNS1_3genE2ELNS1_11target_archE906ELNS1_3gpuE6ELNS1_3repE0EEENS1_30default_config_static_selectorELNS0_4arch9wavefront6targetE1EEEvS12_.kd
    .uniform_work_group_size: 1
    .uses_dynamic_stack: false
    .vgpr_count:     91
    .vgpr_spill_count: 0
    .wavefront_size: 64
  - .args:
      - .offset:         0
        .size:           184
        .value_kind:     by_value
    .group_segment_fixed_size: 0
    .kernarg_segment_align: 8
    .kernarg_segment_size: 184
    .language:       OpenCL C
    .language_version:
      - 2
      - 0
    .max_flat_workgroup_size: 256
    .name:           _ZN7rocprim17ROCPRIM_400000_NS6detail17trampoline_kernelINS0_13select_configILj256ELj13ELNS0_17block_load_methodE3ELS4_3ELS4_3ELNS0_20block_scan_algorithmE0ELj4294967295EEENS1_25partition_config_selectorILNS1_17partition_subalgoE4EjNS0_10empty_typeEbEEZZNS1_14partition_implILS8_4ELb0ES6_15HIP_vector_typeIjLj2EENS0_17counting_iteratorIjlEEPS9_SG_NS0_5tupleIJPjSI_NS0_16reverse_iteratorISI_EEEEENSH_IJSG_SG_SG_EEES9_SI_JZNS1_25segmented_radix_sort_implINS0_14default_configELb1EPKbPbPKlPlN2at6native12_GLOBAL__N_18offset_tEEE10hipError_tPvRmT1_PNSt15iterator_traitsIS12_E10value_typeET2_T3_PNS13_IS18_E10value_typeET4_jRbjT5_S1E_jjP12ihipStream_tbEUljE_ZNSN_ISO_Lb1ESQ_SR_ST_SU_SY_EESZ_S10_S11_S12_S16_S17_S18_S1B_S1C_jS1D_jS1E_S1E_jjS1G_bEUljE0_EEESZ_S10_S11_S18_S1C_S1E_T6_T7_T9_mT8_S1G_bDpT10_ENKUlT_T0_E_clISt17integral_constantIbLb0EES1T_IbLb1EEEEDaS1P_S1Q_EUlS1P_E_NS1_11comp_targetILNS1_3genE10ELNS1_11target_archE1200ELNS1_3gpuE4ELNS1_3repE0EEENS1_30default_config_static_selectorELNS0_4arch9wavefront6targetE1EEEvS12_
    .private_segment_fixed_size: 0
    .sgpr_count:     4
    .sgpr_spill_count: 0
    .symbol:         _ZN7rocprim17ROCPRIM_400000_NS6detail17trampoline_kernelINS0_13select_configILj256ELj13ELNS0_17block_load_methodE3ELS4_3ELS4_3ELNS0_20block_scan_algorithmE0ELj4294967295EEENS1_25partition_config_selectorILNS1_17partition_subalgoE4EjNS0_10empty_typeEbEEZZNS1_14partition_implILS8_4ELb0ES6_15HIP_vector_typeIjLj2EENS0_17counting_iteratorIjlEEPS9_SG_NS0_5tupleIJPjSI_NS0_16reverse_iteratorISI_EEEEENSH_IJSG_SG_SG_EEES9_SI_JZNS1_25segmented_radix_sort_implINS0_14default_configELb1EPKbPbPKlPlN2at6native12_GLOBAL__N_18offset_tEEE10hipError_tPvRmT1_PNSt15iterator_traitsIS12_E10value_typeET2_T3_PNS13_IS18_E10value_typeET4_jRbjT5_S1E_jjP12ihipStream_tbEUljE_ZNSN_ISO_Lb1ESQ_SR_ST_SU_SY_EESZ_S10_S11_S12_S16_S17_S18_S1B_S1C_jS1D_jS1E_S1E_jjS1G_bEUljE0_EEESZ_S10_S11_S18_S1C_S1E_T6_T7_T9_mT8_S1G_bDpT10_ENKUlT_T0_E_clISt17integral_constantIbLb0EES1T_IbLb1EEEEDaS1P_S1Q_EUlS1P_E_NS1_11comp_targetILNS1_3genE10ELNS1_11target_archE1200ELNS1_3gpuE4ELNS1_3repE0EEENS1_30default_config_static_selectorELNS0_4arch9wavefront6targetE1EEEvS12_.kd
    .uniform_work_group_size: 1
    .uses_dynamic_stack: false
    .vgpr_count:     0
    .vgpr_spill_count: 0
    .wavefront_size: 64
  - .args:
      - .offset:         0
        .size:           184
        .value_kind:     by_value
    .group_segment_fixed_size: 0
    .kernarg_segment_align: 8
    .kernarg_segment_size: 184
    .language:       OpenCL C
    .language_version:
      - 2
      - 0
    .max_flat_workgroup_size: 256
    .name:           _ZN7rocprim17ROCPRIM_400000_NS6detail17trampoline_kernelINS0_13select_configILj256ELj13ELNS0_17block_load_methodE3ELS4_3ELS4_3ELNS0_20block_scan_algorithmE0ELj4294967295EEENS1_25partition_config_selectorILNS1_17partition_subalgoE4EjNS0_10empty_typeEbEEZZNS1_14partition_implILS8_4ELb0ES6_15HIP_vector_typeIjLj2EENS0_17counting_iteratorIjlEEPS9_SG_NS0_5tupleIJPjSI_NS0_16reverse_iteratorISI_EEEEENSH_IJSG_SG_SG_EEES9_SI_JZNS1_25segmented_radix_sort_implINS0_14default_configELb1EPKbPbPKlPlN2at6native12_GLOBAL__N_18offset_tEEE10hipError_tPvRmT1_PNSt15iterator_traitsIS12_E10value_typeET2_T3_PNS13_IS18_E10value_typeET4_jRbjT5_S1E_jjP12ihipStream_tbEUljE_ZNSN_ISO_Lb1ESQ_SR_ST_SU_SY_EESZ_S10_S11_S12_S16_S17_S18_S1B_S1C_jS1D_jS1E_S1E_jjS1G_bEUljE0_EEESZ_S10_S11_S18_S1C_S1E_T6_T7_T9_mT8_S1G_bDpT10_ENKUlT_T0_E_clISt17integral_constantIbLb0EES1T_IbLb1EEEEDaS1P_S1Q_EUlS1P_E_NS1_11comp_targetILNS1_3genE9ELNS1_11target_archE1100ELNS1_3gpuE3ELNS1_3repE0EEENS1_30default_config_static_selectorELNS0_4arch9wavefront6targetE1EEEvS12_
    .private_segment_fixed_size: 0
    .sgpr_count:     4
    .sgpr_spill_count: 0
    .symbol:         _ZN7rocprim17ROCPRIM_400000_NS6detail17trampoline_kernelINS0_13select_configILj256ELj13ELNS0_17block_load_methodE3ELS4_3ELS4_3ELNS0_20block_scan_algorithmE0ELj4294967295EEENS1_25partition_config_selectorILNS1_17partition_subalgoE4EjNS0_10empty_typeEbEEZZNS1_14partition_implILS8_4ELb0ES6_15HIP_vector_typeIjLj2EENS0_17counting_iteratorIjlEEPS9_SG_NS0_5tupleIJPjSI_NS0_16reverse_iteratorISI_EEEEENSH_IJSG_SG_SG_EEES9_SI_JZNS1_25segmented_radix_sort_implINS0_14default_configELb1EPKbPbPKlPlN2at6native12_GLOBAL__N_18offset_tEEE10hipError_tPvRmT1_PNSt15iterator_traitsIS12_E10value_typeET2_T3_PNS13_IS18_E10value_typeET4_jRbjT5_S1E_jjP12ihipStream_tbEUljE_ZNSN_ISO_Lb1ESQ_SR_ST_SU_SY_EESZ_S10_S11_S12_S16_S17_S18_S1B_S1C_jS1D_jS1E_S1E_jjS1G_bEUljE0_EEESZ_S10_S11_S18_S1C_S1E_T6_T7_T9_mT8_S1G_bDpT10_ENKUlT_T0_E_clISt17integral_constantIbLb0EES1T_IbLb1EEEEDaS1P_S1Q_EUlS1P_E_NS1_11comp_targetILNS1_3genE9ELNS1_11target_archE1100ELNS1_3gpuE3ELNS1_3repE0EEENS1_30default_config_static_selectorELNS0_4arch9wavefront6targetE1EEEvS12_.kd
    .uniform_work_group_size: 1
    .uses_dynamic_stack: false
    .vgpr_count:     0
    .vgpr_spill_count: 0
    .wavefront_size: 64
  - .args:
      - .offset:         0
        .size:           184
        .value_kind:     by_value
    .group_segment_fixed_size: 0
    .kernarg_segment_align: 8
    .kernarg_segment_size: 184
    .language:       OpenCL C
    .language_version:
      - 2
      - 0
    .max_flat_workgroup_size: 256
    .name:           _ZN7rocprim17ROCPRIM_400000_NS6detail17trampoline_kernelINS0_13select_configILj256ELj13ELNS0_17block_load_methodE3ELS4_3ELS4_3ELNS0_20block_scan_algorithmE0ELj4294967295EEENS1_25partition_config_selectorILNS1_17partition_subalgoE4EjNS0_10empty_typeEbEEZZNS1_14partition_implILS8_4ELb0ES6_15HIP_vector_typeIjLj2EENS0_17counting_iteratorIjlEEPS9_SG_NS0_5tupleIJPjSI_NS0_16reverse_iteratorISI_EEEEENSH_IJSG_SG_SG_EEES9_SI_JZNS1_25segmented_radix_sort_implINS0_14default_configELb1EPKbPbPKlPlN2at6native12_GLOBAL__N_18offset_tEEE10hipError_tPvRmT1_PNSt15iterator_traitsIS12_E10value_typeET2_T3_PNS13_IS18_E10value_typeET4_jRbjT5_S1E_jjP12ihipStream_tbEUljE_ZNSN_ISO_Lb1ESQ_SR_ST_SU_SY_EESZ_S10_S11_S12_S16_S17_S18_S1B_S1C_jS1D_jS1E_S1E_jjS1G_bEUljE0_EEESZ_S10_S11_S18_S1C_S1E_T6_T7_T9_mT8_S1G_bDpT10_ENKUlT_T0_E_clISt17integral_constantIbLb0EES1T_IbLb1EEEEDaS1P_S1Q_EUlS1P_E_NS1_11comp_targetILNS1_3genE8ELNS1_11target_archE1030ELNS1_3gpuE2ELNS1_3repE0EEENS1_30default_config_static_selectorELNS0_4arch9wavefront6targetE1EEEvS12_
    .private_segment_fixed_size: 0
    .sgpr_count:     4
    .sgpr_spill_count: 0
    .symbol:         _ZN7rocprim17ROCPRIM_400000_NS6detail17trampoline_kernelINS0_13select_configILj256ELj13ELNS0_17block_load_methodE3ELS4_3ELS4_3ELNS0_20block_scan_algorithmE0ELj4294967295EEENS1_25partition_config_selectorILNS1_17partition_subalgoE4EjNS0_10empty_typeEbEEZZNS1_14partition_implILS8_4ELb0ES6_15HIP_vector_typeIjLj2EENS0_17counting_iteratorIjlEEPS9_SG_NS0_5tupleIJPjSI_NS0_16reverse_iteratorISI_EEEEENSH_IJSG_SG_SG_EEES9_SI_JZNS1_25segmented_radix_sort_implINS0_14default_configELb1EPKbPbPKlPlN2at6native12_GLOBAL__N_18offset_tEEE10hipError_tPvRmT1_PNSt15iterator_traitsIS12_E10value_typeET2_T3_PNS13_IS18_E10value_typeET4_jRbjT5_S1E_jjP12ihipStream_tbEUljE_ZNSN_ISO_Lb1ESQ_SR_ST_SU_SY_EESZ_S10_S11_S12_S16_S17_S18_S1B_S1C_jS1D_jS1E_S1E_jjS1G_bEUljE0_EEESZ_S10_S11_S18_S1C_S1E_T6_T7_T9_mT8_S1G_bDpT10_ENKUlT_T0_E_clISt17integral_constantIbLb0EES1T_IbLb1EEEEDaS1P_S1Q_EUlS1P_E_NS1_11comp_targetILNS1_3genE8ELNS1_11target_archE1030ELNS1_3gpuE2ELNS1_3repE0EEENS1_30default_config_static_selectorELNS0_4arch9wavefront6targetE1EEEvS12_.kd
    .uniform_work_group_size: 1
    .uses_dynamic_stack: false
    .vgpr_count:     0
    .vgpr_spill_count: 0
    .wavefront_size: 64
  - .args:
      - .offset:         0
        .size:           144
        .value_kind:     by_value
    .group_segment_fixed_size: 0
    .kernarg_segment_align: 8
    .kernarg_segment_size: 144
    .language:       OpenCL C
    .language_version:
      - 2
      - 0
    .max_flat_workgroup_size: 256
    .name:           _ZN7rocprim17ROCPRIM_400000_NS6detail17trampoline_kernelINS0_13select_configILj256ELj13ELNS0_17block_load_methodE3ELS4_3ELS4_3ELNS0_20block_scan_algorithmE0ELj4294967295EEENS1_25partition_config_selectorILNS1_17partition_subalgoE3EjNS0_10empty_typeEbEEZZNS1_14partition_implILS8_3ELb0ES6_jNS0_17counting_iteratorIjlEEPS9_SE_NS0_5tupleIJPjSE_EEENSF_IJSE_SE_EEES9_SG_JZNS1_25segmented_radix_sort_implINS0_14default_configELb1EPKbPbPKlPlN2at6native12_GLOBAL__N_18offset_tEEE10hipError_tPvRmT1_PNSt15iterator_traitsISY_E10value_typeET2_T3_PNSZ_IS14_E10value_typeET4_jRbjT5_S1A_jjP12ihipStream_tbEUljE_EEESV_SW_SX_S14_S18_S1A_T6_T7_T9_mT8_S1C_bDpT10_ENKUlT_T0_E_clISt17integral_constantIbLb0EES1P_EEDaS1K_S1L_EUlS1K_E_NS1_11comp_targetILNS1_3genE0ELNS1_11target_archE4294967295ELNS1_3gpuE0ELNS1_3repE0EEENS1_30default_config_static_selectorELNS0_4arch9wavefront6targetE1EEEvSY_
    .private_segment_fixed_size: 0
    .sgpr_count:     4
    .sgpr_spill_count: 0
    .symbol:         _ZN7rocprim17ROCPRIM_400000_NS6detail17trampoline_kernelINS0_13select_configILj256ELj13ELNS0_17block_load_methodE3ELS4_3ELS4_3ELNS0_20block_scan_algorithmE0ELj4294967295EEENS1_25partition_config_selectorILNS1_17partition_subalgoE3EjNS0_10empty_typeEbEEZZNS1_14partition_implILS8_3ELb0ES6_jNS0_17counting_iteratorIjlEEPS9_SE_NS0_5tupleIJPjSE_EEENSF_IJSE_SE_EEES9_SG_JZNS1_25segmented_radix_sort_implINS0_14default_configELb1EPKbPbPKlPlN2at6native12_GLOBAL__N_18offset_tEEE10hipError_tPvRmT1_PNSt15iterator_traitsISY_E10value_typeET2_T3_PNSZ_IS14_E10value_typeET4_jRbjT5_S1A_jjP12ihipStream_tbEUljE_EEESV_SW_SX_S14_S18_S1A_T6_T7_T9_mT8_S1C_bDpT10_ENKUlT_T0_E_clISt17integral_constantIbLb0EES1P_EEDaS1K_S1L_EUlS1K_E_NS1_11comp_targetILNS1_3genE0ELNS1_11target_archE4294967295ELNS1_3gpuE0ELNS1_3repE0EEENS1_30default_config_static_selectorELNS0_4arch9wavefront6targetE1EEEvSY_.kd
    .uniform_work_group_size: 1
    .uses_dynamic_stack: false
    .vgpr_count:     0
    .vgpr_spill_count: 0
    .wavefront_size: 64
  - .args:
      - .offset:         0
        .size:           144
        .value_kind:     by_value
    .group_segment_fixed_size: 0
    .kernarg_segment_align: 8
    .kernarg_segment_size: 144
    .language:       OpenCL C
    .language_version:
      - 2
      - 0
    .max_flat_workgroup_size: 256
    .name:           _ZN7rocprim17ROCPRIM_400000_NS6detail17trampoline_kernelINS0_13select_configILj256ELj13ELNS0_17block_load_methodE3ELS4_3ELS4_3ELNS0_20block_scan_algorithmE0ELj4294967295EEENS1_25partition_config_selectorILNS1_17partition_subalgoE3EjNS0_10empty_typeEbEEZZNS1_14partition_implILS8_3ELb0ES6_jNS0_17counting_iteratorIjlEEPS9_SE_NS0_5tupleIJPjSE_EEENSF_IJSE_SE_EEES9_SG_JZNS1_25segmented_radix_sort_implINS0_14default_configELb1EPKbPbPKlPlN2at6native12_GLOBAL__N_18offset_tEEE10hipError_tPvRmT1_PNSt15iterator_traitsISY_E10value_typeET2_T3_PNSZ_IS14_E10value_typeET4_jRbjT5_S1A_jjP12ihipStream_tbEUljE_EEESV_SW_SX_S14_S18_S1A_T6_T7_T9_mT8_S1C_bDpT10_ENKUlT_T0_E_clISt17integral_constantIbLb0EES1P_EEDaS1K_S1L_EUlS1K_E_NS1_11comp_targetILNS1_3genE5ELNS1_11target_archE942ELNS1_3gpuE9ELNS1_3repE0EEENS1_30default_config_static_selectorELNS0_4arch9wavefront6targetE1EEEvSY_
    .private_segment_fixed_size: 0
    .sgpr_count:     4
    .sgpr_spill_count: 0
    .symbol:         _ZN7rocprim17ROCPRIM_400000_NS6detail17trampoline_kernelINS0_13select_configILj256ELj13ELNS0_17block_load_methodE3ELS4_3ELS4_3ELNS0_20block_scan_algorithmE0ELj4294967295EEENS1_25partition_config_selectorILNS1_17partition_subalgoE3EjNS0_10empty_typeEbEEZZNS1_14partition_implILS8_3ELb0ES6_jNS0_17counting_iteratorIjlEEPS9_SE_NS0_5tupleIJPjSE_EEENSF_IJSE_SE_EEES9_SG_JZNS1_25segmented_radix_sort_implINS0_14default_configELb1EPKbPbPKlPlN2at6native12_GLOBAL__N_18offset_tEEE10hipError_tPvRmT1_PNSt15iterator_traitsISY_E10value_typeET2_T3_PNSZ_IS14_E10value_typeET4_jRbjT5_S1A_jjP12ihipStream_tbEUljE_EEESV_SW_SX_S14_S18_S1A_T6_T7_T9_mT8_S1C_bDpT10_ENKUlT_T0_E_clISt17integral_constantIbLb0EES1P_EEDaS1K_S1L_EUlS1K_E_NS1_11comp_targetILNS1_3genE5ELNS1_11target_archE942ELNS1_3gpuE9ELNS1_3repE0EEENS1_30default_config_static_selectorELNS0_4arch9wavefront6targetE1EEEvSY_.kd
    .uniform_work_group_size: 1
    .uses_dynamic_stack: false
    .vgpr_count:     0
    .vgpr_spill_count: 0
    .wavefront_size: 64
  - .args:
      - .offset:         0
        .size:           144
        .value_kind:     by_value
    .group_segment_fixed_size: 0
    .kernarg_segment_align: 8
    .kernarg_segment_size: 144
    .language:       OpenCL C
    .language_version:
      - 2
      - 0
    .max_flat_workgroup_size: 256
    .name:           _ZN7rocprim17ROCPRIM_400000_NS6detail17trampoline_kernelINS0_13select_configILj256ELj13ELNS0_17block_load_methodE3ELS4_3ELS4_3ELNS0_20block_scan_algorithmE0ELj4294967295EEENS1_25partition_config_selectorILNS1_17partition_subalgoE3EjNS0_10empty_typeEbEEZZNS1_14partition_implILS8_3ELb0ES6_jNS0_17counting_iteratorIjlEEPS9_SE_NS0_5tupleIJPjSE_EEENSF_IJSE_SE_EEES9_SG_JZNS1_25segmented_radix_sort_implINS0_14default_configELb1EPKbPbPKlPlN2at6native12_GLOBAL__N_18offset_tEEE10hipError_tPvRmT1_PNSt15iterator_traitsISY_E10value_typeET2_T3_PNSZ_IS14_E10value_typeET4_jRbjT5_S1A_jjP12ihipStream_tbEUljE_EEESV_SW_SX_S14_S18_S1A_T6_T7_T9_mT8_S1C_bDpT10_ENKUlT_T0_E_clISt17integral_constantIbLb0EES1P_EEDaS1K_S1L_EUlS1K_E_NS1_11comp_targetILNS1_3genE4ELNS1_11target_archE910ELNS1_3gpuE8ELNS1_3repE0EEENS1_30default_config_static_selectorELNS0_4arch9wavefront6targetE1EEEvSY_
    .private_segment_fixed_size: 0
    .sgpr_count:     4
    .sgpr_spill_count: 0
    .symbol:         _ZN7rocprim17ROCPRIM_400000_NS6detail17trampoline_kernelINS0_13select_configILj256ELj13ELNS0_17block_load_methodE3ELS4_3ELS4_3ELNS0_20block_scan_algorithmE0ELj4294967295EEENS1_25partition_config_selectorILNS1_17partition_subalgoE3EjNS0_10empty_typeEbEEZZNS1_14partition_implILS8_3ELb0ES6_jNS0_17counting_iteratorIjlEEPS9_SE_NS0_5tupleIJPjSE_EEENSF_IJSE_SE_EEES9_SG_JZNS1_25segmented_radix_sort_implINS0_14default_configELb1EPKbPbPKlPlN2at6native12_GLOBAL__N_18offset_tEEE10hipError_tPvRmT1_PNSt15iterator_traitsISY_E10value_typeET2_T3_PNSZ_IS14_E10value_typeET4_jRbjT5_S1A_jjP12ihipStream_tbEUljE_EEESV_SW_SX_S14_S18_S1A_T6_T7_T9_mT8_S1C_bDpT10_ENKUlT_T0_E_clISt17integral_constantIbLb0EES1P_EEDaS1K_S1L_EUlS1K_E_NS1_11comp_targetILNS1_3genE4ELNS1_11target_archE910ELNS1_3gpuE8ELNS1_3repE0EEENS1_30default_config_static_selectorELNS0_4arch9wavefront6targetE1EEEvSY_.kd
    .uniform_work_group_size: 1
    .uses_dynamic_stack: false
    .vgpr_count:     0
    .vgpr_spill_count: 0
    .wavefront_size: 64
  - .args:
      - .offset:         0
        .size:           144
        .value_kind:     by_value
    .group_segment_fixed_size: 0
    .kernarg_segment_align: 8
    .kernarg_segment_size: 144
    .language:       OpenCL C
    .language_version:
      - 2
      - 0
    .max_flat_workgroup_size: 256
    .name:           _ZN7rocprim17ROCPRIM_400000_NS6detail17trampoline_kernelINS0_13select_configILj256ELj13ELNS0_17block_load_methodE3ELS4_3ELS4_3ELNS0_20block_scan_algorithmE0ELj4294967295EEENS1_25partition_config_selectorILNS1_17partition_subalgoE3EjNS0_10empty_typeEbEEZZNS1_14partition_implILS8_3ELb0ES6_jNS0_17counting_iteratorIjlEEPS9_SE_NS0_5tupleIJPjSE_EEENSF_IJSE_SE_EEES9_SG_JZNS1_25segmented_radix_sort_implINS0_14default_configELb1EPKbPbPKlPlN2at6native12_GLOBAL__N_18offset_tEEE10hipError_tPvRmT1_PNSt15iterator_traitsISY_E10value_typeET2_T3_PNSZ_IS14_E10value_typeET4_jRbjT5_S1A_jjP12ihipStream_tbEUljE_EEESV_SW_SX_S14_S18_S1A_T6_T7_T9_mT8_S1C_bDpT10_ENKUlT_T0_E_clISt17integral_constantIbLb0EES1P_EEDaS1K_S1L_EUlS1K_E_NS1_11comp_targetILNS1_3genE3ELNS1_11target_archE908ELNS1_3gpuE7ELNS1_3repE0EEENS1_30default_config_static_selectorELNS0_4arch9wavefront6targetE1EEEvSY_
    .private_segment_fixed_size: 0
    .sgpr_count:     4
    .sgpr_spill_count: 0
    .symbol:         _ZN7rocprim17ROCPRIM_400000_NS6detail17trampoline_kernelINS0_13select_configILj256ELj13ELNS0_17block_load_methodE3ELS4_3ELS4_3ELNS0_20block_scan_algorithmE0ELj4294967295EEENS1_25partition_config_selectorILNS1_17partition_subalgoE3EjNS0_10empty_typeEbEEZZNS1_14partition_implILS8_3ELb0ES6_jNS0_17counting_iteratorIjlEEPS9_SE_NS0_5tupleIJPjSE_EEENSF_IJSE_SE_EEES9_SG_JZNS1_25segmented_radix_sort_implINS0_14default_configELb1EPKbPbPKlPlN2at6native12_GLOBAL__N_18offset_tEEE10hipError_tPvRmT1_PNSt15iterator_traitsISY_E10value_typeET2_T3_PNSZ_IS14_E10value_typeET4_jRbjT5_S1A_jjP12ihipStream_tbEUljE_EEESV_SW_SX_S14_S18_S1A_T6_T7_T9_mT8_S1C_bDpT10_ENKUlT_T0_E_clISt17integral_constantIbLb0EES1P_EEDaS1K_S1L_EUlS1K_E_NS1_11comp_targetILNS1_3genE3ELNS1_11target_archE908ELNS1_3gpuE7ELNS1_3repE0EEENS1_30default_config_static_selectorELNS0_4arch9wavefront6targetE1EEEvSY_.kd
    .uniform_work_group_size: 1
    .uses_dynamic_stack: false
    .vgpr_count:     0
    .vgpr_spill_count: 0
    .wavefront_size: 64
  - .args:
      - .offset:         0
        .size:           144
        .value_kind:     by_value
    .group_segment_fixed_size: 13320
    .kernarg_segment_align: 8
    .kernarg_segment_size: 144
    .language:       OpenCL C
    .language_version:
      - 2
      - 0
    .max_flat_workgroup_size: 256
    .name:           _ZN7rocprim17ROCPRIM_400000_NS6detail17trampoline_kernelINS0_13select_configILj256ELj13ELNS0_17block_load_methodE3ELS4_3ELS4_3ELNS0_20block_scan_algorithmE0ELj4294967295EEENS1_25partition_config_selectorILNS1_17partition_subalgoE3EjNS0_10empty_typeEbEEZZNS1_14partition_implILS8_3ELb0ES6_jNS0_17counting_iteratorIjlEEPS9_SE_NS0_5tupleIJPjSE_EEENSF_IJSE_SE_EEES9_SG_JZNS1_25segmented_radix_sort_implINS0_14default_configELb1EPKbPbPKlPlN2at6native12_GLOBAL__N_18offset_tEEE10hipError_tPvRmT1_PNSt15iterator_traitsISY_E10value_typeET2_T3_PNSZ_IS14_E10value_typeET4_jRbjT5_S1A_jjP12ihipStream_tbEUljE_EEESV_SW_SX_S14_S18_S1A_T6_T7_T9_mT8_S1C_bDpT10_ENKUlT_T0_E_clISt17integral_constantIbLb0EES1P_EEDaS1K_S1L_EUlS1K_E_NS1_11comp_targetILNS1_3genE2ELNS1_11target_archE906ELNS1_3gpuE6ELNS1_3repE0EEENS1_30default_config_static_selectorELNS0_4arch9wavefront6targetE1EEEvSY_
    .private_segment_fixed_size: 0
    .sgpr_count:     52
    .sgpr_spill_count: 0
    .symbol:         _ZN7rocprim17ROCPRIM_400000_NS6detail17trampoline_kernelINS0_13select_configILj256ELj13ELNS0_17block_load_methodE3ELS4_3ELS4_3ELNS0_20block_scan_algorithmE0ELj4294967295EEENS1_25partition_config_selectorILNS1_17partition_subalgoE3EjNS0_10empty_typeEbEEZZNS1_14partition_implILS8_3ELb0ES6_jNS0_17counting_iteratorIjlEEPS9_SE_NS0_5tupleIJPjSE_EEENSF_IJSE_SE_EEES9_SG_JZNS1_25segmented_radix_sort_implINS0_14default_configELb1EPKbPbPKlPlN2at6native12_GLOBAL__N_18offset_tEEE10hipError_tPvRmT1_PNSt15iterator_traitsISY_E10value_typeET2_T3_PNSZ_IS14_E10value_typeET4_jRbjT5_S1A_jjP12ihipStream_tbEUljE_EEESV_SW_SX_S14_S18_S1A_T6_T7_T9_mT8_S1C_bDpT10_ENKUlT_T0_E_clISt17integral_constantIbLb0EES1P_EEDaS1K_S1L_EUlS1K_E_NS1_11comp_targetILNS1_3genE2ELNS1_11target_archE906ELNS1_3gpuE6ELNS1_3repE0EEENS1_30default_config_static_selectorELNS0_4arch9wavefront6targetE1EEEvSY_.kd
    .uniform_work_group_size: 1
    .uses_dynamic_stack: false
    .vgpr_count:     69
    .vgpr_spill_count: 0
    .wavefront_size: 64
  - .args:
      - .offset:         0
        .size:           144
        .value_kind:     by_value
    .group_segment_fixed_size: 0
    .kernarg_segment_align: 8
    .kernarg_segment_size: 144
    .language:       OpenCL C
    .language_version:
      - 2
      - 0
    .max_flat_workgroup_size: 256
    .name:           _ZN7rocprim17ROCPRIM_400000_NS6detail17trampoline_kernelINS0_13select_configILj256ELj13ELNS0_17block_load_methodE3ELS4_3ELS4_3ELNS0_20block_scan_algorithmE0ELj4294967295EEENS1_25partition_config_selectorILNS1_17partition_subalgoE3EjNS0_10empty_typeEbEEZZNS1_14partition_implILS8_3ELb0ES6_jNS0_17counting_iteratorIjlEEPS9_SE_NS0_5tupleIJPjSE_EEENSF_IJSE_SE_EEES9_SG_JZNS1_25segmented_radix_sort_implINS0_14default_configELb1EPKbPbPKlPlN2at6native12_GLOBAL__N_18offset_tEEE10hipError_tPvRmT1_PNSt15iterator_traitsISY_E10value_typeET2_T3_PNSZ_IS14_E10value_typeET4_jRbjT5_S1A_jjP12ihipStream_tbEUljE_EEESV_SW_SX_S14_S18_S1A_T6_T7_T9_mT8_S1C_bDpT10_ENKUlT_T0_E_clISt17integral_constantIbLb0EES1P_EEDaS1K_S1L_EUlS1K_E_NS1_11comp_targetILNS1_3genE10ELNS1_11target_archE1200ELNS1_3gpuE4ELNS1_3repE0EEENS1_30default_config_static_selectorELNS0_4arch9wavefront6targetE1EEEvSY_
    .private_segment_fixed_size: 0
    .sgpr_count:     4
    .sgpr_spill_count: 0
    .symbol:         _ZN7rocprim17ROCPRIM_400000_NS6detail17trampoline_kernelINS0_13select_configILj256ELj13ELNS0_17block_load_methodE3ELS4_3ELS4_3ELNS0_20block_scan_algorithmE0ELj4294967295EEENS1_25partition_config_selectorILNS1_17partition_subalgoE3EjNS0_10empty_typeEbEEZZNS1_14partition_implILS8_3ELb0ES6_jNS0_17counting_iteratorIjlEEPS9_SE_NS0_5tupleIJPjSE_EEENSF_IJSE_SE_EEES9_SG_JZNS1_25segmented_radix_sort_implINS0_14default_configELb1EPKbPbPKlPlN2at6native12_GLOBAL__N_18offset_tEEE10hipError_tPvRmT1_PNSt15iterator_traitsISY_E10value_typeET2_T3_PNSZ_IS14_E10value_typeET4_jRbjT5_S1A_jjP12ihipStream_tbEUljE_EEESV_SW_SX_S14_S18_S1A_T6_T7_T9_mT8_S1C_bDpT10_ENKUlT_T0_E_clISt17integral_constantIbLb0EES1P_EEDaS1K_S1L_EUlS1K_E_NS1_11comp_targetILNS1_3genE10ELNS1_11target_archE1200ELNS1_3gpuE4ELNS1_3repE0EEENS1_30default_config_static_selectorELNS0_4arch9wavefront6targetE1EEEvSY_.kd
    .uniform_work_group_size: 1
    .uses_dynamic_stack: false
    .vgpr_count:     0
    .vgpr_spill_count: 0
    .wavefront_size: 64
  - .args:
      - .offset:         0
        .size:           144
        .value_kind:     by_value
    .group_segment_fixed_size: 0
    .kernarg_segment_align: 8
    .kernarg_segment_size: 144
    .language:       OpenCL C
    .language_version:
      - 2
      - 0
    .max_flat_workgroup_size: 256
    .name:           _ZN7rocprim17ROCPRIM_400000_NS6detail17trampoline_kernelINS0_13select_configILj256ELj13ELNS0_17block_load_methodE3ELS4_3ELS4_3ELNS0_20block_scan_algorithmE0ELj4294967295EEENS1_25partition_config_selectorILNS1_17partition_subalgoE3EjNS0_10empty_typeEbEEZZNS1_14partition_implILS8_3ELb0ES6_jNS0_17counting_iteratorIjlEEPS9_SE_NS0_5tupleIJPjSE_EEENSF_IJSE_SE_EEES9_SG_JZNS1_25segmented_radix_sort_implINS0_14default_configELb1EPKbPbPKlPlN2at6native12_GLOBAL__N_18offset_tEEE10hipError_tPvRmT1_PNSt15iterator_traitsISY_E10value_typeET2_T3_PNSZ_IS14_E10value_typeET4_jRbjT5_S1A_jjP12ihipStream_tbEUljE_EEESV_SW_SX_S14_S18_S1A_T6_T7_T9_mT8_S1C_bDpT10_ENKUlT_T0_E_clISt17integral_constantIbLb0EES1P_EEDaS1K_S1L_EUlS1K_E_NS1_11comp_targetILNS1_3genE9ELNS1_11target_archE1100ELNS1_3gpuE3ELNS1_3repE0EEENS1_30default_config_static_selectorELNS0_4arch9wavefront6targetE1EEEvSY_
    .private_segment_fixed_size: 0
    .sgpr_count:     4
    .sgpr_spill_count: 0
    .symbol:         _ZN7rocprim17ROCPRIM_400000_NS6detail17trampoline_kernelINS0_13select_configILj256ELj13ELNS0_17block_load_methodE3ELS4_3ELS4_3ELNS0_20block_scan_algorithmE0ELj4294967295EEENS1_25partition_config_selectorILNS1_17partition_subalgoE3EjNS0_10empty_typeEbEEZZNS1_14partition_implILS8_3ELb0ES6_jNS0_17counting_iteratorIjlEEPS9_SE_NS0_5tupleIJPjSE_EEENSF_IJSE_SE_EEES9_SG_JZNS1_25segmented_radix_sort_implINS0_14default_configELb1EPKbPbPKlPlN2at6native12_GLOBAL__N_18offset_tEEE10hipError_tPvRmT1_PNSt15iterator_traitsISY_E10value_typeET2_T3_PNSZ_IS14_E10value_typeET4_jRbjT5_S1A_jjP12ihipStream_tbEUljE_EEESV_SW_SX_S14_S18_S1A_T6_T7_T9_mT8_S1C_bDpT10_ENKUlT_T0_E_clISt17integral_constantIbLb0EES1P_EEDaS1K_S1L_EUlS1K_E_NS1_11comp_targetILNS1_3genE9ELNS1_11target_archE1100ELNS1_3gpuE3ELNS1_3repE0EEENS1_30default_config_static_selectorELNS0_4arch9wavefront6targetE1EEEvSY_.kd
    .uniform_work_group_size: 1
    .uses_dynamic_stack: false
    .vgpr_count:     0
    .vgpr_spill_count: 0
    .wavefront_size: 64
  - .args:
      - .offset:         0
        .size:           144
        .value_kind:     by_value
    .group_segment_fixed_size: 0
    .kernarg_segment_align: 8
    .kernarg_segment_size: 144
    .language:       OpenCL C
    .language_version:
      - 2
      - 0
    .max_flat_workgroup_size: 256
    .name:           _ZN7rocprim17ROCPRIM_400000_NS6detail17trampoline_kernelINS0_13select_configILj256ELj13ELNS0_17block_load_methodE3ELS4_3ELS4_3ELNS0_20block_scan_algorithmE0ELj4294967295EEENS1_25partition_config_selectorILNS1_17partition_subalgoE3EjNS0_10empty_typeEbEEZZNS1_14partition_implILS8_3ELb0ES6_jNS0_17counting_iteratorIjlEEPS9_SE_NS0_5tupleIJPjSE_EEENSF_IJSE_SE_EEES9_SG_JZNS1_25segmented_radix_sort_implINS0_14default_configELb1EPKbPbPKlPlN2at6native12_GLOBAL__N_18offset_tEEE10hipError_tPvRmT1_PNSt15iterator_traitsISY_E10value_typeET2_T3_PNSZ_IS14_E10value_typeET4_jRbjT5_S1A_jjP12ihipStream_tbEUljE_EEESV_SW_SX_S14_S18_S1A_T6_T7_T9_mT8_S1C_bDpT10_ENKUlT_T0_E_clISt17integral_constantIbLb0EES1P_EEDaS1K_S1L_EUlS1K_E_NS1_11comp_targetILNS1_3genE8ELNS1_11target_archE1030ELNS1_3gpuE2ELNS1_3repE0EEENS1_30default_config_static_selectorELNS0_4arch9wavefront6targetE1EEEvSY_
    .private_segment_fixed_size: 0
    .sgpr_count:     4
    .sgpr_spill_count: 0
    .symbol:         _ZN7rocprim17ROCPRIM_400000_NS6detail17trampoline_kernelINS0_13select_configILj256ELj13ELNS0_17block_load_methodE3ELS4_3ELS4_3ELNS0_20block_scan_algorithmE0ELj4294967295EEENS1_25partition_config_selectorILNS1_17partition_subalgoE3EjNS0_10empty_typeEbEEZZNS1_14partition_implILS8_3ELb0ES6_jNS0_17counting_iteratorIjlEEPS9_SE_NS0_5tupleIJPjSE_EEENSF_IJSE_SE_EEES9_SG_JZNS1_25segmented_radix_sort_implINS0_14default_configELb1EPKbPbPKlPlN2at6native12_GLOBAL__N_18offset_tEEE10hipError_tPvRmT1_PNSt15iterator_traitsISY_E10value_typeET2_T3_PNSZ_IS14_E10value_typeET4_jRbjT5_S1A_jjP12ihipStream_tbEUljE_EEESV_SW_SX_S14_S18_S1A_T6_T7_T9_mT8_S1C_bDpT10_ENKUlT_T0_E_clISt17integral_constantIbLb0EES1P_EEDaS1K_S1L_EUlS1K_E_NS1_11comp_targetILNS1_3genE8ELNS1_11target_archE1030ELNS1_3gpuE2ELNS1_3repE0EEENS1_30default_config_static_selectorELNS0_4arch9wavefront6targetE1EEEvSY_.kd
    .uniform_work_group_size: 1
    .uses_dynamic_stack: false
    .vgpr_count:     0
    .vgpr_spill_count: 0
    .wavefront_size: 64
  - .args:
      - .offset:         0
        .size:           152
        .value_kind:     by_value
    .group_segment_fixed_size: 0
    .kernarg_segment_align: 8
    .kernarg_segment_size: 152
    .language:       OpenCL C
    .language_version:
      - 2
      - 0
    .max_flat_workgroup_size: 256
    .name:           _ZN7rocprim17ROCPRIM_400000_NS6detail17trampoline_kernelINS0_13select_configILj256ELj13ELNS0_17block_load_methodE3ELS4_3ELS4_3ELNS0_20block_scan_algorithmE0ELj4294967295EEENS1_25partition_config_selectorILNS1_17partition_subalgoE3EjNS0_10empty_typeEbEEZZNS1_14partition_implILS8_3ELb0ES6_jNS0_17counting_iteratorIjlEEPS9_SE_NS0_5tupleIJPjSE_EEENSF_IJSE_SE_EEES9_SG_JZNS1_25segmented_radix_sort_implINS0_14default_configELb1EPKbPbPKlPlN2at6native12_GLOBAL__N_18offset_tEEE10hipError_tPvRmT1_PNSt15iterator_traitsISY_E10value_typeET2_T3_PNSZ_IS14_E10value_typeET4_jRbjT5_S1A_jjP12ihipStream_tbEUljE_EEESV_SW_SX_S14_S18_S1A_T6_T7_T9_mT8_S1C_bDpT10_ENKUlT_T0_E_clISt17integral_constantIbLb1EES1P_EEDaS1K_S1L_EUlS1K_E_NS1_11comp_targetILNS1_3genE0ELNS1_11target_archE4294967295ELNS1_3gpuE0ELNS1_3repE0EEENS1_30default_config_static_selectorELNS0_4arch9wavefront6targetE1EEEvSY_
    .private_segment_fixed_size: 0
    .sgpr_count:     4
    .sgpr_spill_count: 0
    .symbol:         _ZN7rocprim17ROCPRIM_400000_NS6detail17trampoline_kernelINS0_13select_configILj256ELj13ELNS0_17block_load_methodE3ELS4_3ELS4_3ELNS0_20block_scan_algorithmE0ELj4294967295EEENS1_25partition_config_selectorILNS1_17partition_subalgoE3EjNS0_10empty_typeEbEEZZNS1_14partition_implILS8_3ELb0ES6_jNS0_17counting_iteratorIjlEEPS9_SE_NS0_5tupleIJPjSE_EEENSF_IJSE_SE_EEES9_SG_JZNS1_25segmented_radix_sort_implINS0_14default_configELb1EPKbPbPKlPlN2at6native12_GLOBAL__N_18offset_tEEE10hipError_tPvRmT1_PNSt15iterator_traitsISY_E10value_typeET2_T3_PNSZ_IS14_E10value_typeET4_jRbjT5_S1A_jjP12ihipStream_tbEUljE_EEESV_SW_SX_S14_S18_S1A_T6_T7_T9_mT8_S1C_bDpT10_ENKUlT_T0_E_clISt17integral_constantIbLb1EES1P_EEDaS1K_S1L_EUlS1K_E_NS1_11comp_targetILNS1_3genE0ELNS1_11target_archE4294967295ELNS1_3gpuE0ELNS1_3repE0EEENS1_30default_config_static_selectorELNS0_4arch9wavefront6targetE1EEEvSY_.kd
    .uniform_work_group_size: 1
    .uses_dynamic_stack: false
    .vgpr_count:     0
    .vgpr_spill_count: 0
    .wavefront_size: 64
  - .args:
      - .offset:         0
        .size:           152
        .value_kind:     by_value
    .group_segment_fixed_size: 0
    .kernarg_segment_align: 8
    .kernarg_segment_size: 152
    .language:       OpenCL C
    .language_version:
      - 2
      - 0
    .max_flat_workgroup_size: 256
    .name:           _ZN7rocprim17ROCPRIM_400000_NS6detail17trampoline_kernelINS0_13select_configILj256ELj13ELNS0_17block_load_methodE3ELS4_3ELS4_3ELNS0_20block_scan_algorithmE0ELj4294967295EEENS1_25partition_config_selectorILNS1_17partition_subalgoE3EjNS0_10empty_typeEbEEZZNS1_14partition_implILS8_3ELb0ES6_jNS0_17counting_iteratorIjlEEPS9_SE_NS0_5tupleIJPjSE_EEENSF_IJSE_SE_EEES9_SG_JZNS1_25segmented_radix_sort_implINS0_14default_configELb1EPKbPbPKlPlN2at6native12_GLOBAL__N_18offset_tEEE10hipError_tPvRmT1_PNSt15iterator_traitsISY_E10value_typeET2_T3_PNSZ_IS14_E10value_typeET4_jRbjT5_S1A_jjP12ihipStream_tbEUljE_EEESV_SW_SX_S14_S18_S1A_T6_T7_T9_mT8_S1C_bDpT10_ENKUlT_T0_E_clISt17integral_constantIbLb1EES1P_EEDaS1K_S1L_EUlS1K_E_NS1_11comp_targetILNS1_3genE5ELNS1_11target_archE942ELNS1_3gpuE9ELNS1_3repE0EEENS1_30default_config_static_selectorELNS0_4arch9wavefront6targetE1EEEvSY_
    .private_segment_fixed_size: 0
    .sgpr_count:     4
    .sgpr_spill_count: 0
    .symbol:         _ZN7rocprim17ROCPRIM_400000_NS6detail17trampoline_kernelINS0_13select_configILj256ELj13ELNS0_17block_load_methodE3ELS4_3ELS4_3ELNS0_20block_scan_algorithmE0ELj4294967295EEENS1_25partition_config_selectorILNS1_17partition_subalgoE3EjNS0_10empty_typeEbEEZZNS1_14partition_implILS8_3ELb0ES6_jNS0_17counting_iteratorIjlEEPS9_SE_NS0_5tupleIJPjSE_EEENSF_IJSE_SE_EEES9_SG_JZNS1_25segmented_radix_sort_implINS0_14default_configELb1EPKbPbPKlPlN2at6native12_GLOBAL__N_18offset_tEEE10hipError_tPvRmT1_PNSt15iterator_traitsISY_E10value_typeET2_T3_PNSZ_IS14_E10value_typeET4_jRbjT5_S1A_jjP12ihipStream_tbEUljE_EEESV_SW_SX_S14_S18_S1A_T6_T7_T9_mT8_S1C_bDpT10_ENKUlT_T0_E_clISt17integral_constantIbLb1EES1P_EEDaS1K_S1L_EUlS1K_E_NS1_11comp_targetILNS1_3genE5ELNS1_11target_archE942ELNS1_3gpuE9ELNS1_3repE0EEENS1_30default_config_static_selectorELNS0_4arch9wavefront6targetE1EEEvSY_.kd
    .uniform_work_group_size: 1
    .uses_dynamic_stack: false
    .vgpr_count:     0
    .vgpr_spill_count: 0
    .wavefront_size: 64
  - .args:
      - .offset:         0
        .size:           152
        .value_kind:     by_value
    .group_segment_fixed_size: 0
    .kernarg_segment_align: 8
    .kernarg_segment_size: 152
    .language:       OpenCL C
    .language_version:
      - 2
      - 0
    .max_flat_workgroup_size: 256
    .name:           _ZN7rocprim17ROCPRIM_400000_NS6detail17trampoline_kernelINS0_13select_configILj256ELj13ELNS0_17block_load_methodE3ELS4_3ELS4_3ELNS0_20block_scan_algorithmE0ELj4294967295EEENS1_25partition_config_selectorILNS1_17partition_subalgoE3EjNS0_10empty_typeEbEEZZNS1_14partition_implILS8_3ELb0ES6_jNS0_17counting_iteratorIjlEEPS9_SE_NS0_5tupleIJPjSE_EEENSF_IJSE_SE_EEES9_SG_JZNS1_25segmented_radix_sort_implINS0_14default_configELb1EPKbPbPKlPlN2at6native12_GLOBAL__N_18offset_tEEE10hipError_tPvRmT1_PNSt15iterator_traitsISY_E10value_typeET2_T3_PNSZ_IS14_E10value_typeET4_jRbjT5_S1A_jjP12ihipStream_tbEUljE_EEESV_SW_SX_S14_S18_S1A_T6_T7_T9_mT8_S1C_bDpT10_ENKUlT_T0_E_clISt17integral_constantIbLb1EES1P_EEDaS1K_S1L_EUlS1K_E_NS1_11comp_targetILNS1_3genE4ELNS1_11target_archE910ELNS1_3gpuE8ELNS1_3repE0EEENS1_30default_config_static_selectorELNS0_4arch9wavefront6targetE1EEEvSY_
    .private_segment_fixed_size: 0
    .sgpr_count:     4
    .sgpr_spill_count: 0
    .symbol:         _ZN7rocprim17ROCPRIM_400000_NS6detail17trampoline_kernelINS0_13select_configILj256ELj13ELNS0_17block_load_methodE3ELS4_3ELS4_3ELNS0_20block_scan_algorithmE0ELj4294967295EEENS1_25partition_config_selectorILNS1_17partition_subalgoE3EjNS0_10empty_typeEbEEZZNS1_14partition_implILS8_3ELb0ES6_jNS0_17counting_iteratorIjlEEPS9_SE_NS0_5tupleIJPjSE_EEENSF_IJSE_SE_EEES9_SG_JZNS1_25segmented_radix_sort_implINS0_14default_configELb1EPKbPbPKlPlN2at6native12_GLOBAL__N_18offset_tEEE10hipError_tPvRmT1_PNSt15iterator_traitsISY_E10value_typeET2_T3_PNSZ_IS14_E10value_typeET4_jRbjT5_S1A_jjP12ihipStream_tbEUljE_EEESV_SW_SX_S14_S18_S1A_T6_T7_T9_mT8_S1C_bDpT10_ENKUlT_T0_E_clISt17integral_constantIbLb1EES1P_EEDaS1K_S1L_EUlS1K_E_NS1_11comp_targetILNS1_3genE4ELNS1_11target_archE910ELNS1_3gpuE8ELNS1_3repE0EEENS1_30default_config_static_selectorELNS0_4arch9wavefront6targetE1EEEvSY_.kd
    .uniform_work_group_size: 1
    .uses_dynamic_stack: false
    .vgpr_count:     0
    .vgpr_spill_count: 0
    .wavefront_size: 64
  - .args:
      - .offset:         0
        .size:           152
        .value_kind:     by_value
    .group_segment_fixed_size: 0
    .kernarg_segment_align: 8
    .kernarg_segment_size: 152
    .language:       OpenCL C
    .language_version:
      - 2
      - 0
    .max_flat_workgroup_size: 256
    .name:           _ZN7rocprim17ROCPRIM_400000_NS6detail17trampoline_kernelINS0_13select_configILj256ELj13ELNS0_17block_load_methodE3ELS4_3ELS4_3ELNS0_20block_scan_algorithmE0ELj4294967295EEENS1_25partition_config_selectorILNS1_17partition_subalgoE3EjNS0_10empty_typeEbEEZZNS1_14partition_implILS8_3ELb0ES6_jNS0_17counting_iteratorIjlEEPS9_SE_NS0_5tupleIJPjSE_EEENSF_IJSE_SE_EEES9_SG_JZNS1_25segmented_radix_sort_implINS0_14default_configELb1EPKbPbPKlPlN2at6native12_GLOBAL__N_18offset_tEEE10hipError_tPvRmT1_PNSt15iterator_traitsISY_E10value_typeET2_T3_PNSZ_IS14_E10value_typeET4_jRbjT5_S1A_jjP12ihipStream_tbEUljE_EEESV_SW_SX_S14_S18_S1A_T6_T7_T9_mT8_S1C_bDpT10_ENKUlT_T0_E_clISt17integral_constantIbLb1EES1P_EEDaS1K_S1L_EUlS1K_E_NS1_11comp_targetILNS1_3genE3ELNS1_11target_archE908ELNS1_3gpuE7ELNS1_3repE0EEENS1_30default_config_static_selectorELNS0_4arch9wavefront6targetE1EEEvSY_
    .private_segment_fixed_size: 0
    .sgpr_count:     4
    .sgpr_spill_count: 0
    .symbol:         _ZN7rocprim17ROCPRIM_400000_NS6detail17trampoline_kernelINS0_13select_configILj256ELj13ELNS0_17block_load_methodE3ELS4_3ELS4_3ELNS0_20block_scan_algorithmE0ELj4294967295EEENS1_25partition_config_selectorILNS1_17partition_subalgoE3EjNS0_10empty_typeEbEEZZNS1_14partition_implILS8_3ELb0ES6_jNS0_17counting_iteratorIjlEEPS9_SE_NS0_5tupleIJPjSE_EEENSF_IJSE_SE_EEES9_SG_JZNS1_25segmented_radix_sort_implINS0_14default_configELb1EPKbPbPKlPlN2at6native12_GLOBAL__N_18offset_tEEE10hipError_tPvRmT1_PNSt15iterator_traitsISY_E10value_typeET2_T3_PNSZ_IS14_E10value_typeET4_jRbjT5_S1A_jjP12ihipStream_tbEUljE_EEESV_SW_SX_S14_S18_S1A_T6_T7_T9_mT8_S1C_bDpT10_ENKUlT_T0_E_clISt17integral_constantIbLb1EES1P_EEDaS1K_S1L_EUlS1K_E_NS1_11comp_targetILNS1_3genE3ELNS1_11target_archE908ELNS1_3gpuE7ELNS1_3repE0EEENS1_30default_config_static_selectorELNS0_4arch9wavefront6targetE1EEEvSY_.kd
    .uniform_work_group_size: 1
    .uses_dynamic_stack: false
    .vgpr_count:     0
    .vgpr_spill_count: 0
    .wavefront_size: 64
  - .args:
      - .offset:         0
        .size:           152
        .value_kind:     by_value
    .group_segment_fixed_size: 0
    .kernarg_segment_align: 8
    .kernarg_segment_size: 152
    .language:       OpenCL C
    .language_version:
      - 2
      - 0
    .max_flat_workgroup_size: 256
    .name:           _ZN7rocprim17ROCPRIM_400000_NS6detail17trampoline_kernelINS0_13select_configILj256ELj13ELNS0_17block_load_methodE3ELS4_3ELS4_3ELNS0_20block_scan_algorithmE0ELj4294967295EEENS1_25partition_config_selectorILNS1_17partition_subalgoE3EjNS0_10empty_typeEbEEZZNS1_14partition_implILS8_3ELb0ES6_jNS0_17counting_iteratorIjlEEPS9_SE_NS0_5tupleIJPjSE_EEENSF_IJSE_SE_EEES9_SG_JZNS1_25segmented_radix_sort_implINS0_14default_configELb1EPKbPbPKlPlN2at6native12_GLOBAL__N_18offset_tEEE10hipError_tPvRmT1_PNSt15iterator_traitsISY_E10value_typeET2_T3_PNSZ_IS14_E10value_typeET4_jRbjT5_S1A_jjP12ihipStream_tbEUljE_EEESV_SW_SX_S14_S18_S1A_T6_T7_T9_mT8_S1C_bDpT10_ENKUlT_T0_E_clISt17integral_constantIbLb1EES1P_EEDaS1K_S1L_EUlS1K_E_NS1_11comp_targetILNS1_3genE2ELNS1_11target_archE906ELNS1_3gpuE6ELNS1_3repE0EEENS1_30default_config_static_selectorELNS0_4arch9wavefront6targetE1EEEvSY_
    .private_segment_fixed_size: 0
    .sgpr_count:     4
    .sgpr_spill_count: 0
    .symbol:         _ZN7rocprim17ROCPRIM_400000_NS6detail17trampoline_kernelINS0_13select_configILj256ELj13ELNS0_17block_load_methodE3ELS4_3ELS4_3ELNS0_20block_scan_algorithmE0ELj4294967295EEENS1_25partition_config_selectorILNS1_17partition_subalgoE3EjNS0_10empty_typeEbEEZZNS1_14partition_implILS8_3ELb0ES6_jNS0_17counting_iteratorIjlEEPS9_SE_NS0_5tupleIJPjSE_EEENSF_IJSE_SE_EEES9_SG_JZNS1_25segmented_radix_sort_implINS0_14default_configELb1EPKbPbPKlPlN2at6native12_GLOBAL__N_18offset_tEEE10hipError_tPvRmT1_PNSt15iterator_traitsISY_E10value_typeET2_T3_PNSZ_IS14_E10value_typeET4_jRbjT5_S1A_jjP12ihipStream_tbEUljE_EEESV_SW_SX_S14_S18_S1A_T6_T7_T9_mT8_S1C_bDpT10_ENKUlT_T0_E_clISt17integral_constantIbLb1EES1P_EEDaS1K_S1L_EUlS1K_E_NS1_11comp_targetILNS1_3genE2ELNS1_11target_archE906ELNS1_3gpuE6ELNS1_3repE0EEENS1_30default_config_static_selectorELNS0_4arch9wavefront6targetE1EEEvSY_.kd
    .uniform_work_group_size: 1
    .uses_dynamic_stack: false
    .vgpr_count:     0
    .vgpr_spill_count: 0
    .wavefront_size: 64
  - .args:
      - .offset:         0
        .size:           152
        .value_kind:     by_value
    .group_segment_fixed_size: 0
    .kernarg_segment_align: 8
    .kernarg_segment_size: 152
    .language:       OpenCL C
    .language_version:
      - 2
      - 0
    .max_flat_workgroup_size: 256
    .name:           _ZN7rocprim17ROCPRIM_400000_NS6detail17trampoline_kernelINS0_13select_configILj256ELj13ELNS0_17block_load_methodE3ELS4_3ELS4_3ELNS0_20block_scan_algorithmE0ELj4294967295EEENS1_25partition_config_selectorILNS1_17partition_subalgoE3EjNS0_10empty_typeEbEEZZNS1_14partition_implILS8_3ELb0ES6_jNS0_17counting_iteratorIjlEEPS9_SE_NS0_5tupleIJPjSE_EEENSF_IJSE_SE_EEES9_SG_JZNS1_25segmented_radix_sort_implINS0_14default_configELb1EPKbPbPKlPlN2at6native12_GLOBAL__N_18offset_tEEE10hipError_tPvRmT1_PNSt15iterator_traitsISY_E10value_typeET2_T3_PNSZ_IS14_E10value_typeET4_jRbjT5_S1A_jjP12ihipStream_tbEUljE_EEESV_SW_SX_S14_S18_S1A_T6_T7_T9_mT8_S1C_bDpT10_ENKUlT_T0_E_clISt17integral_constantIbLb1EES1P_EEDaS1K_S1L_EUlS1K_E_NS1_11comp_targetILNS1_3genE10ELNS1_11target_archE1200ELNS1_3gpuE4ELNS1_3repE0EEENS1_30default_config_static_selectorELNS0_4arch9wavefront6targetE1EEEvSY_
    .private_segment_fixed_size: 0
    .sgpr_count:     4
    .sgpr_spill_count: 0
    .symbol:         _ZN7rocprim17ROCPRIM_400000_NS6detail17trampoline_kernelINS0_13select_configILj256ELj13ELNS0_17block_load_methodE3ELS4_3ELS4_3ELNS0_20block_scan_algorithmE0ELj4294967295EEENS1_25partition_config_selectorILNS1_17partition_subalgoE3EjNS0_10empty_typeEbEEZZNS1_14partition_implILS8_3ELb0ES6_jNS0_17counting_iteratorIjlEEPS9_SE_NS0_5tupleIJPjSE_EEENSF_IJSE_SE_EEES9_SG_JZNS1_25segmented_radix_sort_implINS0_14default_configELb1EPKbPbPKlPlN2at6native12_GLOBAL__N_18offset_tEEE10hipError_tPvRmT1_PNSt15iterator_traitsISY_E10value_typeET2_T3_PNSZ_IS14_E10value_typeET4_jRbjT5_S1A_jjP12ihipStream_tbEUljE_EEESV_SW_SX_S14_S18_S1A_T6_T7_T9_mT8_S1C_bDpT10_ENKUlT_T0_E_clISt17integral_constantIbLb1EES1P_EEDaS1K_S1L_EUlS1K_E_NS1_11comp_targetILNS1_3genE10ELNS1_11target_archE1200ELNS1_3gpuE4ELNS1_3repE0EEENS1_30default_config_static_selectorELNS0_4arch9wavefront6targetE1EEEvSY_.kd
    .uniform_work_group_size: 1
    .uses_dynamic_stack: false
    .vgpr_count:     0
    .vgpr_spill_count: 0
    .wavefront_size: 64
  - .args:
      - .offset:         0
        .size:           152
        .value_kind:     by_value
    .group_segment_fixed_size: 0
    .kernarg_segment_align: 8
    .kernarg_segment_size: 152
    .language:       OpenCL C
    .language_version:
      - 2
      - 0
    .max_flat_workgroup_size: 256
    .name:           _ZN7rocprim17ROCPRIM_400000_NS6detail17trampoline_kernelINS0_13select_configILj256ELj13ELNS0_17block_load_methodE3ELS4_3ELS4_3ELNS0_20block_scan_algorithmE0ELj4294967295EEENS1_25partition_config_selectorILNS1_17partition_subalgoE3EjNS0_10empty_typeEbEEZZNS1_14partition_implILS8_3ELb0ES6_jNS0_17counting_iteratorIjlEEPS9_SE_NS0_5tupleIJPjSE_EEENSF_IJSE_SE_EEES9_SG_JZNS1_25segmented_radix_sort_implINS0_14default_configELb1EPKbPbPKlPlN2at6native12_GLOBAL__N_18offset_tEEE10hipError_tPvRmT1_PNSt15iterator_traitsISY_E10value_typeET2_T3_PNSZ_IS14_E10value_typeET4_jRbjT5_S1A_jjP12ihipStream_tbEUljE_EEESV_SW_SX_S14_S18_S1A_T6_T7_T9_mT8_S1C_bDpT10_ENKUlT_T0_E_clISt17integral_constantIbLb1EES1P_EEDaS1K_S1L_EUlS1K_E_NS1_11comp_targetILNS1_3genE9ELNS1_11target_archE1100ELNS1_3gpuE3ELNS1_3repE0EEENS1_30default_config_static_selectorELNS0_4arch9wavefront6targetE1EEEvSY_
    .private_segment_fixed_size: 0
    .sgpr_count:     4
    .sgpr_spill_count: 0
    .symbol:         _ZN7rocprim17ROCPRIM_400000_NS6detail17trampoline_kernelINS0_13select_configILj256ELj13ELNS0_17block_load_methodE3ELS4_3ELS4_3ELNS0_20block_scan_algorithmE0ELj4294967295EEENS1_25partition_config_selectorILNS1_17partition_subalgoE3EjNS0_10empty_typeEbEEZZNS1_14partition_implILS8_3ELb0ES6_jNS0_17counting_iteratorIjlEEPS9_SE_NS0_5tupleIJPjSE_EEENSF_IJSE_SE_EEES9_SG_JZNS1_25segmented_radix_sort_implINS0_14default_configELb1EPKbPbPKlPlN2at6native12_GLOBAL__N_18offset_tEEE10hipError_tPvRmT1_PNSt15iterator_traitsISY_E10value_typeET2_T3_PNSZ_IS14_E10value_typeET4_jRbjT5_S1A_jjP12ihipStream_tbEUljE_EEESV_SW_SX_S14_S18_S1A_T6_T7_T9_mT8_S1C_bDpT10_ENKUlT_T0_E_clISt17integral_constantIbLb1EES1P_EEDaS1K_S1L_EUlS1K_E_NS1_11comp_targetILNS1_3genE9ELNS1_11target_archE1100ELNS1_3gpuE3ELNS1_3repE0EEENS1_30default_config_static_selectorELNS0_4arch9wavefront6targetE1EEEvSY_.kd
    .uniform_work_group_size: 1
    .uses_dynamic_stack: false
    .vgpr_count:     0
    .vgpr_spill_count: 0
    .wavefront_size: 64
  - .args:
      - .offset:         0
        .size:           152
        .value_kind:     by_value
    .group_segment_fixed_size: 0
    .kernarg_segment_align: 8
    .kernarg_segment_size: 152
    .language:       OpenCL C
    .language_version:
      - 2
      - 0
    .max_flat_workgroup_size: 256
    .name:           _ZN7rocprim17ROCPRIM_400000_NS6detail17trampoline_kernelINS0_13select_configILj256ELj13ELNS0_17block_load_methodE3ELS4_3ELS4_3ELNS0_20block_scan_algorithmE0ELj4294967295EEENS1_25partition_config_selectorILNS1_17partition_subalgoE3EjNS0_10empty_typeEbEEZZNS1_14partition_implILS8_3ELb0ES6_jNS0_17counting_iteratorIjlEEPS9_SE_NS0_5tupleIJPjSE_EEENSF_IJSE_SE_EEES9_SG_JZNS1_25segmented_radix_sort_implINS0_14default_configELb1EPKbPbPKlPlN2at6native12_GLOBAL__N_18offset_tEEE10hipError_tPvRmT1_PNSt15iterator_traitsISY_E10value_typeET2_T3_PNSZ_IS14_E10value_typeET4_jRbjT5_S1A_jjP12ihipStream_tbEUljE_EEESV_SW_SX_S14_S18_S1A_T6_T7_T9_mT8_S1C_bDpT10_ENKUlT_T0_E_clISt17integral_constantIbLb1EES1P_EEDaS1K_S1L_EUlS1K_E_NS1_11comp_targetILNS1_3genE8ELNS1_11target_archE1030ELNS1_3gpuE2ELNS1_3repE0EEENS1_30default_config_static_selectorELNS0_4arch9wavefront6targetE1EEEvSY_
    .private_segment_fixed_size: 0
    .sgpr_count:     4
    .sgpr_spill_count: 0
    .symbol:         _ZN7rocprim17ROCPRIM_400000_NS6detail17trampoline_kernelINS0_13select_configILj256ELj13ELNS0_17block_load_methodE3ELS4_3ELS4_3ELNS0_20block_scan_algorithmE0ELj4294967295EEENS1_25partition_config_selectorILNS1_17partition_subalgoE3EjNS0_10empty_typeEbEEZZNS1_14partition_implILS8_3ELb0ES6_jNS0_17counting_iteratorIjlEEPS9_SE_NS0_5tupleIJPjSE_EEENSF_IJSE_SE_EEES9_SG_JZNS1_25segmented_radix_sort_implINS0_14default_configELb1EPKbPbPKlPlN2at6native12_GLOBAL__N_18offset_tEEE10hipError_tPvRmT1_PNSt15iterator_traitsISY_E10value_typeET2_T3_PNSZ_IS14_E10value_typeET4_jRbjT5_S1A_jjP12ihipStream_tbEUljE_EEESV_SW_SX_S14_S18_S1A_T6_T7_T9_mT8_S1C_bDpT10_ENKUlT_T0_E_clISt17integral_constantIbLb1EES1P_EEDaS1K_S1L_EUlS1K_E_NS1_11comp_targetILNS1_3genE8ELNS1_11target_archE1030ELNS1_3gpuE2ELNS1_3repE0EEENS1_30default_config_static_selectorELNS0_4arch9wavefront6targetE1EEEvSY_.kd
    .uniform_work_group_size: 1
    .uses_dynamic_stack: false
    .vgpr_count:     0
    .vgpr_spill_count: 0
    .wavefront_size: 64
  - .args:
      - .offset:         0
        .size:           144
        .value_kind:     by_value
    .group_segment_fixed_size: 0
    .kernarg_segment_align: 8
    .kernarg_segment_size: 144
    .language:       OpenCL C
    .language_version:
      - 2
      - 0
    .max_flat_workgroup_size: 256
    .name:           _ZN7rocprim17ROCPRIM_400000_NS6detail17trampoline_kernelINS0_13select_configILj256ELj13ELNS0_17block_load_methodE3ELS4_3ELS4_3ELNS0_20block_scan_algorithmE0ELj4294967295EEENS1_25partition_config_selectorILNS1_17partition_subalgoE3EjNS0_10empty_typeEbEEZZNS1_14partition_implILS8_3ELb0ES6_jNS0_17counting_iteratorIjlEEPS9_SE_NS0_5tupleIJPjSE_EEENSF_IJSE_SE_EEES9_SG_JZNS1_25segmented_radix_sort_implINS0_14default_configELb1EPKbPbPKlPlN2at6native12_GLOBAL__N_18offset_tEEE10hipError_tPvRmT1_PNSt15iterator_traitsISY_E10value_typeET2_T3_PNSZ_IS14_E10value_typeET4_jRbjT5_S1A_jjP12ihipStream_tbEUljE_EEESV_SW_SX_S14_S18_S1A_T6_T7_T9_mT8_S1C_bDpT10_ENKUlT_T0_E_clISt17integral_constantIbLb1EES1O_IbLb0EEEEDaS1K_S1L_EUlS1K_E_NS1_11comp_targetILNS1_3genE0ELNS1_11target_archE4294967295ELNS1_3gpuE0ELNS1_3repE0EEENS1_30default_config_static_selectorELNS0_4arch9wavefront6targetE1EEEvSY_
    .private_segment_fixed_size: 0
    .sgpr_count:     4
    .sgpr_spill_count: 0
    .symbol:         _ZN7rocprim17ROCPRIM_400000_NS6detail17trampoline_kernelINS0_13select_configILj256ELj13ELNS0_17block_load_methodE3ELS4_3ELS4_3ELNS0_20block_scan_algorithmE0ELj4294967295EEENS1_25partition_config_selectorILNS1_17partition_subalgoE3EjNS0_10empty_typeEbEEZZNS1_14partition_implILS8_3ELb0ES6_jNS0_17counting_iteratorIjlEEPS9_SE_NS0_5tupleIJPjSE_EEENSF_IJSE_SE_EEES9_SG_JZNS1_25segmented_radix_sort_implINS0_14default_configELb1EPKbPbPKlPlN2at6native12_GLOBAL__N_18offset_tEEE10hipError_tPvRmT1_PNSt15iterator_traitsISY_E10value_typeET2_T3_PNSZ_IS14_E10value_typeET4_jRbjT5_S1A_jjP12ihipStream_tbEUljE_EEESV_SW_SX_S14_S18_S1A_T6_T7_T9_mT8_S1C_bDpT10_ENKUlT_T0_E_clISt17integral_constantIbLb1EES1O_IbLb0EEEEDaS1K_S1L_EUlS1K_E_NS1_11comp_targetILNS1_3genE0ELNS1_11target_archE4294967295ELNS1_3gpuE0ELNS1_3repE0EEENS1_30default_config_static_selectorELNS0_4arch9wavefront6targetE1EEEvSY_.kd
    .uniform_work_group_size: 1
    .uses_dynamic_stack: false
    .vgpr_count:     0
    .vgpr_spill_count: 0
    .wavefront_size: 64
  - .args:
      - .offset:         0
        .size:           144
        .value_kind:     by_value
    .group_segment_fixed_size: 0
    .kernarg_segment_align: 8
    .kernarg_segment_size: 144
    .language:       OpenCL C
    .language_version:
      - 2
      - 0
    .max_flat_workgroup_size: 256
    .name:           _ZN7rocprim17ROCPRIM_400000_NS6detail17trampoline_kernelINS0_13select_configILj256ELj13ELNS0_17block_load_methodE3ELS4_3ELS4_3ELNS0_20block_scan_algorithmE0ELj4294967295EEENS1_25partition_config_selectorILNS1_17partition_subalgoE3EjNS0_10empty_typeEbEEZZNS1_14partition_implILS8_3ELb0ES6_jNS0_17counting_iteratorIjlEEPS9_SE_NS0_5tupleIJPjSE_EEENSF_IJSE_SE_EEES9_SG_JZNS1_25segmented_radix_sort_implINS0_14default_configELb1EPKbPbPKlPlN2at6native12_GLOBAL__N_18offset_tEEE10hipError_tPvRmT1_PNSt15iterator_traitsISY_E10value_typeET2_T3_PNSZ_IS14_E10value_typeET4_jRbjT5_S1A_jjP12ihipStream_tbEUljE_EEESV_SW_SX_S14_S18_S1A_T6_T7_T9_mT8_S1C_bDpT10_ENKUlT_T0_E_clISt17integral_constantIbLb1EES1O_IbLb0EEEEDaS1K_S1L_EUlS1K_E_NS1_11comp_targetILNS1_3genE5ELNS1_11target_archE942ELNS1_3gpuE9ELNS1_3repE0EEENS1_30default_config_static_selectorELNS0_4arch9wavefront6targetE1EEEvSY_
    .private_segment_fixed_size: 0
    .sgpr_count:     4
    .sgpr_spill_count: 0
    .symbol:         _ZN7rocprim17ROCPRIM_400000_NS6detail17trampoline_kernelINS0_13select_configILj256ELj13ELNS0_17block_load_methodE3ELS4_3ELS4_3ELNS0_20block_scan_algorithmE0ELj4294967295EEENS1_25partition_config_selectorILNS1_17partition_subalgoE3EjNS0_10empty_typeEbEEZZNS1_14partition_implILS8_3ELb0ES6_jNS0_17counting_iteratorIjlEEPS9_SE_NS0_5tupleIJPjSE_EEENSF_IJSE_SE_EEES9_SG_JZNS1_25segmented_radix_sort_implINS0_14default_configELb1EPKbPbPKlPlN2at6native12_GLOBAL__N_18offset_tEEE10hipError_tPvRmT1_PNSt15iterator_traitsISY_E10value_typeET2_T3_PNSZ_IS14_E10value_typeET4_jRbjT5_S1A_jjP12ihipStream_tbEUljE_EEESV_SW_SX_S14_S18_S1A_T6_T7_T9_mT8_S1C_bDpT10_ENKUlT_T0_E_clISt17integral_constantIbLb1EES1O_IbLb0EEEEDaS1K_S1L_EUlS1K_E_NS1_11comp_targetILNS1_3genE5ELNS1_11target_archE942ELNS1_3gpuE9ELNS1_3repE0EEENS1_30default_config_static_selectorELNS0_4arch9wavefront6targetE1EEEvSY_.kd
    .uniform_work_group_size: 1
    .uses_dynamic_stack: false
    .vgpr_count:     0
    .vgpr_spill_count: 0
    .wavefront_size: 64
  - .args:
      - .offset:         0
        .size:           144
        .value_kind:     by_value
    .group_segment_fixed_size: 0
    .kernarg_segment_align: 8
    .kernarg_segment_size: 144
    .language:       OpenCL C
    .language_version:
      - 2
      - 0
    .max_flat_workgroup_size: 256
    .name:           _ZN7rocprim17ROCPRIM_400000_NS6detail17trampoline_kernelINS0_13select_configILj256ELj13ELNS0_17block_load_methodE3ELS4_3ELS4_3ELNS0_20block_scan_algorithmE0ELj4294967295EEENS1_25partition_config_selectorILNS1_17partition_subalgoE3EjNS0_10empty_typeEbEEZZNS1_14partition_implILS8_3ELb0ES6_jNS0_17counting_iteratorIjlEEPS9_SE_NS0_5tupleIJPjSE_EEENSF_IJSE_SE_EEES9_SG_JZNS1_25segmented_radix_sort_implINS0_14default_configELb1EPKbPbPKlPlN2at6native12_GLOBAL__N_18offset_tEEE10hipError_tPvRmT1_PNSt15iterator_traitsISY_E10value_typeET2_T3_PNSZ_IS14_E10value_typeET4_jRbjT5_S1A_jjP12ihipStream_tbEUljE_EEESV_SW_SX_S14_S18_S1A_T6_T7_T9_mT8_S1C_bDpT10_ENKUlT_T0_E_clISt17integral_constantIbLb1EES1O_IbLb0EEEEDaS1K_S1L_EUlS1K_E_NS1_11comp_targetILNS1_3genE4ELNS1_11target_archE910ELNS1_3gpuE8ELNS1_3repE0EEENS1_30default_config_static_selectorELNS0_4arch9wavefront6targetE1EEEvSY_
    .private_segment_fixed_size: 0
    .sgpr_count:     4
    .sgpr_spill_count: 0
    .symbol:         _ZN7rocprim17ROCPRIM_400000_NS6detail17trampoline_kernelINS0_13select_configILj256ELj13ELNS0_17block_load_methodE3ELS4_3ELS4_3ELNS0_20block_scan_algorithmE0ELj4294967295EEENS1_25partition_config_selectorILNS1_17partition_subalgoE3EjNS0_10empty_typeEbEEZZNS1_14partition_implILS8_3ELb0ES6_jNS0_17counting_iteratorIjlEEPS9_SE_NS0_5tupleIJPjSE_EEENSF_IJSE_SE_EEES9_SG_JZNS1_25segmented_radix_sort_implINS0_14default_configELb1EPKbPbPKlPlN2at6native12_GLOBAL__N_18offset_tEEE10hipError_tPvRmT1_PNSt15iterator_traitsISY_E10value_typeET2_T3_PNSZ_IS14_E10value_typeET4_jRbjT5_S1A_jjP12ihipStream_tbEUljE_EEESV_SW_SX_S14_S18_S1A_T6_T7_T9_mT8_S1C_bDpT10_ENKUlT_T0_E_clISt17integral_constantIbLb1EES1O_IbLb0EEEEDaS1K_S1L_EUlS1K_E_NS1_11comp_targetILNS1_3genE4ELNS1_11target_archE910ELNS1_3gpuE8ELNS1_3repE0EEENS1_30default_config_static_selectorELNS0_4arch9wavefront6targetE1EEEvSY_.kd
    .uniform_work_group_size: 1
    .uses_dynamic_stack: false
    .vgpr_count:     0
    .vgpr_spill_count: 0
    .wavefront_size: 64
  - .args:
      - .offset:         0
        .size:           144
        .value_kind:     by_value
    .group_segment_fixed_size: 0
    .kernarg_segment_align: 8
    .kernarg_segment_size: 144
    .language:       OpenCL C
    .language_version:
      - 2
      - 0
    .max_flat_workgroup_size: 256
    .name:           _ZN7rocprim17ROCPRIM_400000_NS6detail17trampoline_kernelINS0_13select_configILj256ELj13ELNS0_17block_load_methodE3ELS4_3ELS4_3ELNS0_20block_scan_algorithmE0ELj4294967295EEENS1_25partition_config_selectorILNS1_17partition_subalgoE3EjNS0_10empty_typeEbEEZZNS1_14partition_implILS8_3ELb0ES6_jNS0_17counting_iteratorIjlEEPS9_SE_NS0_5tupleIJPjSE_EEENSF_IJSE_SE_EEES9_SG_JZNS1_25segmented_radix_sort_implINS0_14default_configELb1EPKbPbPKlPlN2at6native12_GLOBAL__N_18offset_tEEE10hipError_tPvRmT1_PNSt15iterator_traitsISY_E10value_typeET2_T3_PNSZ_IS14_E10value_typeET4_jRbjT5_S1A_jjP12ihipStream_tbEUljE_EEESV_SW_SX_S14_S18_S1A_T6_T7_T9_mT8_S1C_bDpT10_ENKUlT_T0_E_clISt17integral_constantIbLb1EES1O_IbLb0EEEEDaS1K_S1L_EUlS1K_E_NS1_11comp_targetILNS1_3genE3ELNS1_11target_archE908ELNS1_3gpuE7ELNS1_3repE0EEENS1_30default_config_static_selectorELNS0_4arch9wavefront6targetE1EEEvSY_
    .private_segment_fixed_size: 0
    .sgpr_count:     4
    .sgpr_spill_count: 0
    .symbol:         _ZN7rocprim17ROCPRIM_400000_NS6detail17trampoline_kernelINS0_13select_configILj256ELj13ELNS0_17block_load_methodE3ELS4_3ELS4_3ELNS0_20block_scan_algorithmE0ELj4294967295EEENS1_25partition_config_selectorILNS1_17partition_subalgoE3EjNS0_10empty_typeEbEEZZNS1_14partition_implILS8_3ELb0ES6_jNS0_17counting_iteratorIjlEEPS9_SE_NS0_5tupleIJPjSE_EEENSF_IJSE_SE_EEES9_SG_JZNS1_25segmented_radix_sort_implINS0_14default_configELb1EPKbPbPKlPlN2at6native12_GLOBAL__N_18offset_tEEE10hipError_tPvRmT1_PNSt15iterator_traitsISY_E10value_typeET2_T3_PNSZ_IS14_E10value_typeET4_jRbjT5_S1A_jjP12ihipStream_tbEUljE_EEESV_SW_SX_S14_S18_S1A_T6_T7_T9_mT8_S1C_bDpT10_ENKUlT_T0_E_clISt17integral_constantIbLb1EES1O_IbLb0EEEEDaS1K_S1L_EUlS1K_E_NS1_11comp_targetILNS1_3genE3ELNS1_11target_archE908ELNS1_3gpuE7ELNS1_3repE0EEENS1_30default_config_static_selectorELNS0_4arch9wavefront6targetE1EEEvSY_.kd
    .uniform_work_group_size: 1
    .uses_dynamic_stack: false
    .vgpr_count:     0
    .vgpr_spill_count: 0
    .wavefront_size: 64
  - .args:
      - .offset:         0
        .size:           144
        .value_kind:     by_value
    .group_segment_fixed_size: 0
    .kernarg_segment_align: 8
    .kernarg_segment_size: 144
    .language:       OpenCL C
    .language_version:
      - 2
      - 0
    .max_flat_workgroup_size: 256
    .name:           _ZN7rocprim17ROCPRIM_400000_NS6detail17trampoline_kernelINS0_13select_configILj256ELj13ELNS0_17block_load_methodE3ELS4_3ELS4_3ELNS0_20block_scan_algorithmE0ELj4294967295EEENS1_25partition_config_selectorILNS1_17partition_subalgoE3EjNS0_10empty_typeEbEEZZNS1_14partition_implILS8_3ELb0ES6_jNS0_17counting_iteratorIjlEEPS9_SE_NS0_5tupleIJPjSE_EEENSF_IJSE_SE_EEES9_SG_JZNS1_25segmented_radix_sort_implINS0_14default_configELb1EPKbPbPKlPlN2at6native12_GLOBAL__N_18offset_tEEE10hipError_tPvRmT1_PNSt15iterator_traitsISY_E10value_typeET2_T3_PNSZ_IS14_E10value_typeET4_jRbjT5_S1A_jjP12ihipStream_tbEUljE_EEESV_SW_SX_S14_S18_S1A_T6_T7_T9_mT8_S1C_bDpT10_ENKUlT_T0_E_clISt17integral_constantIbLb1EES1O_IbLb0EEEEDaS1K_S1L_EUlS1K_E_NS1_11comp_targetILNS1_3genE2ELNS1_11target_archE906ELNS1_3gpuE6ELNS1_3repE0EEENS1_30default_config_static_selectorELNS0_4arch9wavefront6targetE1EEEvSY_
    .private_segment_fixed_size: 0
    .sgpr_count:     4
    .sgpr_spill_count: 0
    .symbol:         _ZN7rocprim17ROCPRIM_400000_NS6detail17trampoline_kernelINS0_13select_configILj256ELj13ELNS0_17block_load_methodE3ELS4_3ELS4_3ELNS0_20block_scan_algorithmE0ELj4294967295EEENS1_25partition_config_selectorILNS1_17partition_subalgoE3EjNS0_10empty_typeEbEEZZNS1_14partition_implILS8_3ELb0ES6_jNS0_17counting_iteratorIjlEEPS9_SE_NS0_5tupleIJPjSE_EEENSF_IJSE_SE_EEES9_SG_JZNS1_25segmented_radix_sort_implINS0_14default_configELb1EPKbPbPKlPlN2at6native12_GLOBAL__N_18offset_tEEE10hipError_tPvRmT1_PNSt15iterator_traitsISY_E10value_typeET2_T3_PNSZ_IS14_E10value_typeET4_jRbjT5_S1A_jjP12ihipStream_tbEUljE_EEESV_SW_SX_S14_S18_S1A_T6_T7_T9_mT8_S1C_bDpT10_ENKUlT_T0_E_clISt17integral_constantIbLb1EES1O_IbLb0EEEEDaS1K_S1L_EUlS1K_E_NS1_11comp_targetILNS1_3genE2ELNS1_11target_archE906ELNS1_3gpuE6ELNS1_3repE0EEENS1_30default_config_static_selectorELNS0_4arch9wavefront6targetE1EEEvSY_.kd
    .uniform_work_group_size: 1
    .uses_dynamic_stack: false
    .vgpr_count:     0
    .vgpr_spill_count: 0
    .wavefront_size: 64
  - .args:
      - .offset:         0
        .size:           144
        .value_kind:     by_value
    .group_segment_fixed_size: 0
    .kernarg_segment_align: 8
    .kernarg_segment_size: 144
    .language:       OpenCL C
    .language_version:
      - 2
      - 0
    .max_flat_workgroup_size: 256
    .name:           _ZN7rocprim17ROCPRIM_400000_NS6detail17trampoline_kernelINS0_13select_configILj256ELj13ELNS0_17block_load_methodE3ELS4_3ELS4_3ELNS0_20block_scan_algorithmE0ELj4294967295EEENS1_25partition_config_selectorILNS1_17partition_subalgoE3EjNS0_10empty_typeEbEEZZNS1_14partition_implILS8_3ELb0ES6_jNS0_17counting_iteratorIjlEEPS9_SE_NS0_5tupleIJPjSE_EEENSF_IJSE_SE_EEES9_SG_JZNS1_25segmented_radix_sort_implINS0_14default_configELb1EPKbPbPKlPlN2at6native12_GLOBAL__N_18offset_tEEE10hipError_tPvRmT1_PNSt15iterator_traitsISY_E10value_typeET2_T3_PNSZ_IS14_E10value_typeET4_jRbjT5_S1A_jjP12ihipStream_tbEUljE_EEESV_SW_SX_S14_S18_S1A_T6_T7_T9_mT8_S1C_bDpT10_ENKUlT_T0_E_clISt17integral_constantIbLb1EES1O_IbLb0EEEEDaS1K_S1L_EUlS1K_E_NS1_11comp_targetILNS1_3genE10ELNS1_11target_archE1200ELNS1_3gpuE4ELNS1_3repE0EEENS1_30default_config_static_selectorELNS0_4arch9wavefront6targetE1EEEvSY_
    .private_segment_fixed_size: 0
    .sgpr_count:     4
    .sgpr_spill_count: 0
    .symbol:         _ZN7rocprim17ROCPRIM_400000_NS6detail17trampoline_kernelINS0_13select_configILj256ELj13ELNS0_17block_load_methodE3ELS4_3ELS4_3ELNS0_20block_scan_algorithmE0ELj4294967295EEENS1_25partition_config_selectorILNS1_17partition_subalgoE3EjNS0_10empty_typeEbEEZZNS1_14partition_implILS8_3ELb0ES6_jNS0_17counting_iteratorIjlEEPS9_SE_NS0_5tupleIJPjSE_EEENSF_IJSE_SE_EEES9_SG_JZNS1_25segmented_radix_sort_implINS0_14default_configELb1EPKbPbPKlPlN2at6native12_GLOBAL__N_18offset_tEEE10hipError_tPvRmT1_PNSt15iterator_traitsISY_E10value_typeET2_T3_PNSZ_IS14_E10value_typeET4_jRbjT5_S1A_jjP12ihipStream_tbEUljE_EEESV_SW_SX_S14_S18_S1A_T6_T7_T9_mT8_S1C_bDpT10_ENKUlT_T0_E_clISt17integral_constantIbLb1EES1O_IbLb0EEEEDaS1K_S1L_EUlS1K_E_NS1_11comp_targetILNS1_3genE10ELNS1_11target_archE1200ELNS1_3gpuE4ELNS1_3repE0EEENS1_30default_config_static_selectorELNS0_4arch9wavefront6targetE1EEEvSY_.kd
    .uniform_work_group_size: 1
    .uses_dynamic_stack: false
    .vgpr_count:     0
    .vgpr_spill_count: 0
    .wavefront_size: 64
  - .args:
      - .offset:         0
        .size:           144
        .value_kind:     by_value
    .group_segment_fixed_size: 0
    .kernarg_segment_align: 8
    .kernarg_segment_size: 144
    .language:       OpenCL C
    .language_version:
      - 2
      - 0
    .max_flat_workgroup_size: 256
    .name:           _ZN7rocprim17ROCPRIM_400000_NS6detail17trampoline_kernelINS0_13select_configILj256ELj13ELNS0_17block_load_methodE3ELS4_3ELS4_3ELNS0_20block_scan_algorithmE0ELj4294967295EEENS1_25partition_config_selectorILNS1_17partition_subalgoE3EjNS0_10empty_typeEbEEZZNS1_14partition_implILS8_3ELb0ES6_jNS0_17counting_iteratorIjlEEPS9_SE_NS0_5tupleIJPjSE_EEENSF_IJSE_SE_EEES9_SG_JZNS1_25segmented_radix_sort_implINS0_14default_configELb1EPKbPbPKlPlN2at6native12_GLOBAL__N_18offset_tEEE10hipError_tPvRmT1_PNSt15iterator_traitsISY_E10value_typeET2_T3_PNSZ_IS14_E10value_typeET4_jRbjT5_S1A_jjP12ihipStream_tbEUljE_EEESV_SW_SX_S14_S18_S1A_T6_T7_T9_mT8_S1C_bDpT10_ENKUlT_T0_E_clISt17integral_constantIbLb1EES1O_IbLb0EEEEDaS1K_S1L_EUlS1K_E_NS1_11comp_targetILNS1_3genE9ELNS1_11target_archE1100ELNS1_3gpuE3ELNS1_3repE0EEENS1_30default_config_static_selectorELNS0_4arch9wavefront6targetE1EEEvSY_
    .private_segment_fixed_size: 0
    .sgpr_count:     4
    .sgpr_spill_count: 0
    .symbol:         _ZN7rocprim17ROCPRIM_400000_NS6detail17trampoline_kernelINS0_13select_configILj256ELj13ELNS0_17block_load_methodE3ELS4_3ELS4_3ELNS0_20block_scan_algorithmE0ELj4294967295EEENS1_25partition_config_selectorILNS1_17partition_subalgoE3EjNS0_10empty_typeEbEEZZNS1_14partition_implILS8_3ELb0ES6_jNS0_17counting_iteratorIjlEEPS9_SE_NS0_5tupleIJPjSE_EEENSF_IJSE_SE_EEES9_SG_JZNS1_25segmented_radix_sort_implINS0_14default_configELb1EPKbPbPKlPlN2at6native12_GLOBAL__N_18offset_tEEE10hipError_tPvRmT1_PNSt15iterator_traitsISY_E10value_typeET2_T3_PNSZ_IS14_E10value_typeET4_jRbjT5_S1A_jjP12ihipStream_tbEUljE_EEESV_SW_SX_S14_S18_S1A_T6_T7_T9_mT8_S1C_bDpT10_ENKUlT_T0_E_clISt17integral_constantIbLb1EES1O_IbLb0EEEEDaS1K_S1L_EUlS1K_E_NS1_11comp_targetILNS1_3genE9ELNS1_11target_archE1100ELNS1_3gpuE3ELNS1_3repE0EEENS1_30default_config_static_selectorELNS0_4arch9wavefront6targetE1EEEvSY_.kd
    .uniform_work_group_size: 1
    .uses_dynamic_stack: false
    .vgpr_count:     0
    .vgpr_spill_count: 0
    .wavefront_size: 64
  - .args:
      - .offset:         0
        .size:           144
        .value_kind:     by_value
    .group_segment_fixed_size: 0
    .kernarg_segment_align: 8
    .kernarg_segment_size: 144
    .language:       OpenCL C
    .language_version:
      - 2
      - 0
    .max_flat_workgroup_size: 256
    .name:           _ZN7rocprim17ROCPRIM_400000_NS6detail17trampoline_kernelINS0_13select_configILj256ELj13ELNS0_17block_load_methodE3ELS4_3ELS4_3ELNS0_20block_scan_algorithmE0ELj4294967295EEENS1_25partition_config_selectorILNS1_17partition_subalgoE3EjNS0_10empty_typeEbEEZZNS1_14partition_implILS8_3ELb0ES6_jNS0_17counting_iteratorIjlEEPS9_SE_NS0_5tupleIJPjSE_EEENSF_IJSE_SE_EEES9_SG_JZNS1_25segmented_radix_sort_implINS0_14default_configELb1EPKbPbPKlPlN2at6native12_GLOBAL__N_18offset_tEEE10hipError_tPvRmT1_PNSt15iterator_traitsISY_E10value_typeET2_T3_PNSZ_IS14_E10value_typeET4_jRbjT5_S1A_jjP12ihipStream_tbEUljE_EEESV_SW_SX_S14_S18_S1A_T6_T7_T9_mT8_S1C_bDpT10_ENKUlT_T0_E_clISt17integral_constantIbLb1EES1O_IbLb0EEEEDaS1K_S1L_EUlS1K_E_NS1_11comp_targetILNS1_3genE8ELNS1_11target_archE1030ELNS1_3gpuE2ELNS1_3repE0EEENS1_30default_config_static_selectorELNS0_4arch9wavefront6targetE1EEEvSY_
    .private_segment_fixed_size: 0
    .sgpr_count:     4
    .sgpr_spill_count: 0
    .symbol:         _ZN7rocprim17ROCPRIM_400000_NS6detail17trampoline_kernelINS0_13select_configILj256ELj13ELNS0_17block_load_methodE3ELS4_3ELS4_3ELNS0_20block_scan_algorithmE0ELj4294967295EEENS1_25partition_config_selectorILNS1_17partition_subalgoE3EjNS0_10empty_typeEbEEZZNS1_14partition_implILS8_3ELb0ES6_jNS0_17counting_iteratorIjlEEPS9_SE_NS0_5tupleIJPjSE_EEENSF_IJSE_SE_EEES9_SG_JZNS1_25segmented_radix_sort_implINS0_14default_configELb1EPKbPbPKlPlN2at6native12_GLOBAL__N_18offset_tEEE10hipError_tPvRmT1_PNSt15iterator_traitsISY_E10value_typeET2_T3_PNSZ_IS14_E10value_typeET4_jRbjT5_S1A_jjP12ihipStream_tbEUljE_EEESV_SW_SX_S14_S18_S1A_T6_T7_T9_mT8_S1C_bDpT10_ENKUlT_T0_E_clISt17integral_constantIbLb1EES1O_IbLb0EEEEDaS1K_S1L_EUlS1K_E_NS1_11comp_targetILNS1_3genE8ELNS1_11target_archE1030ELNS1_3gpuE2ELNS1_3repE0EEENS1_30default_config_static_selectorELNS0_4arch9wavefront6targetE1EEEvSY_.kd
    .uniform_work_group_size: 1
    .uses_dynamic_stack: false
    .vgpr_count:     0
    .vgpr_spill_count: 0
    .wavefront_size: 64
  - .args:
      - .offset:         0
        .size:           152
        .value_kind:     by_value
    .group_segment_fixed_size: 0
    .kernarg_segment_align: 8
    .kernarg_segment_size: 152
    .language:       OpenCL C
    .language_version:
      - 2
      - 0
    .max_flat_workgroup_size: 256
    .name:           _ZN7rocprim17ROCPRIM_400000_NS6detail17trampoline_kernelINS0_13select_configILj256ELj13ELNS0_17block_load_methodE3ELS4_3ELS4_3ELNS0_20block_scan_algorithmE0ELj4294967295EEENS1_25partition_config_selectorILNS1_17partition_subalgoE3EjNS0_10empty_typeEbEEZZNS1_14partition_implILS8_3ELb0ES6_jNS0_17counting_iteratorIjlEEPS9_SE_NS0_5tupleIJPjSE_EEENSF_IJSE_SE_EEES9_SG_JZNS1_25segmented_radix_sort_implINS0_14default_configELb1EPKbPbPKlPlN2at6native12_GLOBAL__N_18offset_tEEE10hipError_tPvRmT1_PNSt15iterator_traitsISY_E10value_typeET2_T3_PNSZ_IS14_E10value_typeET4_jRbjT5_S1A_jjP12ihipStream_tbEUljE_EEESV_SW_SX_S14_S18_S1A_T6_T7_T9_mT8_S1C_bDpT10_ENKUlT_T0_E_clISt17integral_constantIbLb0EES1O_IbLb1EEEEDaS1K_S1L_EUlS1K_E_NS1_11comp_targetILNS1_3genE0ELNS1_11target_archE4294967295ELNS1_3gpuE0ELNS1_3repE0EEENS1_30default_config_static_selectorELNS0_4arch9wavefront6targetE1EEEvSY_
    .private_segment_fixed_size: 0
    .sgpr_count:     4
    .sgpr_spill_count: 0
    .symbol:         _ZN7rocprim17ROCPRIM_400000_NS6detail17trampoline_kernelINS0_13select_configILj256ELj13ELNS0_17block_load_methodE3ELS4_3ELS4_3ELNS0_20block_scan_algorithmE0ELj4294967295EEENS1_25partition_config_selectorILNS1_17partition_subalgoE3EjNS0_10empty_typeEbEEZZNS1_14partition_implILS8_3ELb0ES6_jNS0_17counting_iteratorIjlEEPS9_SE_NS0_5tupleIJPjSE_EEENSF_IJSE_SE_EEES9_SG_JZNS1_25segmented_radix_sort_implINS0_14default_configELb1EPKbPbPKlPlN2at6native12_GLOBAL__N_18offset_tEEE10hipError_tPvRmT1_PNSt15iterator_traitsISY_E10value_typeET2_T3_PNSZ_IS14_E10value_typeET4_jRbjT5_S1A_jjP12ihipStream_tbEUljE_EEESV_SW_SX_S14_S18_S1A_T6_T7_T9_mT8_S1C_bDpT10_ENKUlT_T0_E_clISt17integral_constantIbLb0EES1O_IbLb1EEEEDaS1K_S1L_EUlS1K_E_NS1_11comp_targetILNS1_3genE0ELNS1_11target_archE4294967295ELNS1_3gpuE0ELNS1_3repE0EEENS1_30default_config_static_selectorELNS0_4arch9wavefront6targetE1EEEvSY_.kd
    .uniform_work_group_size: 1
    .uses_dynamic_stack: false
    .vgpr_count:     0
    .vgpr_spill_count: 0
    .wavefront_size: 64
  - .args:
      - .offset:         0
        .size:           152
        .value_kind:     by_value
    .group_segment_fixed_size: 0
    .kernarg_segment_align: 8
    .kernarg_segment_size: 152
    .language:       OpenCL C
    .language_version:
      - 2
      - 0
    .max_flat_workgroup_size: 256
    .name:           _ZN7rocprim17ROCPRIM_400000_NS6detail17trampoline_kernelINS0_13select_configILj256ELj13ELNS0_17block_load_methodE3ELS4_3ELS4_3ELNS0_20block_scan_algorithmE0ELj4294967295EEENS1_25partition_config_selectorILNS1_17partition_subalgoE3EjNS0_10empty_typeEbEEZZNS1_14partition_implILS8_3ELb0ES6_jNS0_17counting_iteratorIjlEEPS9_SE_NS0_5tupleIJPjSE_EEENSF_IJSE_SE_EEES9_SG_JZNS1_25segmented_radix_sort_implINS0_14default_configELb1EPKbPbPKlPlN2at6native12_GLOBAL__N_18offset_tEEE10hipError_tPvRmT1_PNSt15iterator_traitsISY_E10value_typeET2_T3_PNSZ_IS14_E10value_typeET4_jRbjT5_S1A_jjP12ihipStream_tbEUljE_EEESV_SW_SX_S14_S18_S1A_T6_T7_T9_mT8_S1C_bDpT10_ENKUlT_T0_E_clISt17integral_constantIbLb0EES1O_IbLb1EEEEDaS1K_S1L_EUlS1K_E_NS1_11comp_targetILNS1_3genE5ELNS1_11target_archE942ELNS1_3gpuE9ELNS1_3repE0EEENS1_30default_config_static_selectorELNS0_4arch9wavefront6targetE1EEEvSY_
    .private_segment_fixed_size: 0
    .sgpr_count:     4
    .sgpr_spill_count: 0
    .symbol:         _ZN7rocprim17ROCPRIM_400000_NS6detail17trampoline_kernelINS0_13select_configILj256ELj13ELNS0_17block_load_methodE3ELS4_3ELS4_3ELNS0_20block_scan_algorithmE0ELj4294967295EEENS1_25partition_config_selectorILNS1_17partition_subalgoE3EjNS0_10empty_typeEbEEZZNS1_14partition_implILS8_3ELb0ES6_jNS0_17counting_iteratorIjlEEPS9_SE_NS0_5tupleIJPjSE_EEENSF_IJSE_SE_EEES9_SG_JZNS1_25segmented_radix_sort_implINS0_14default_configELb1EPKbPbPKlPlN2at6native12_GLOBAL__N_18offset_tEEE10hipError_tPvRmT1_PNSt15iterator_traitsISY_E10value_typeET2_T3_PNSZ_IS14_E10value_typeET4_jRbjT5_S1A_jjP12ihipStream_tbEUljE_EEESV_SW_SX_S14_S18_S1A_T6_T7_T9_mT8_S1C_bDpT10_ENKUlT_T0_E_clISt17integral_constantIbLb0EES1O_IbLb1EEEEDaS1K_S1L_EUlS1K_E_NS1_11comp_targetILNS1_3genE5ELNS1_11target_archE942ELNS1_3gpuE9ELNS1_3repE0EEENS1_30default_config_static_selectorELNS0_4arch9wavefront6targetE1EEEvSY_.kd
    .uniform_work_group_size: 1
    .uses_dynamic_stack: false
    .vgpr_count:     0
    .vgpr_spill_count: 0
    .wavefront_size: 64
  - .args:
      - .offset:         0
        .size:           152
        .value_kind:     by_value
    .group_segment_fixed_size: 0
    .kernarg_segment_align: 8
    .kernarg_segment_size: 152
    .language:       OpenCL C
    .language_version:
      - 2
      - 0
    .max_flat_workgroup_size: 256
    .name:           _ZN7rocprim17ROCPRIM_400000_NS6detail17trampoline_kernelINS0_13select_configILj256ELj13ELNS0_17block_load_methodE3ELS4_3ELS4_3ELNS0_20block_scan_algorithmE0ELj4294967295EEENS1_25partition_config_selectorILNS1_17partition_subalgoE3EjNS0_10empty_typeEbEEZZNS1_14partition_implILS8_3ELb0ES6_jNS0_17counting_iteratorIjlEEPS9_SE_NS0_5tupleIJPjSE_EEENSF_IJSE_SE_EEES9_SG_JZNS1_25segmented_radix_sort_implINS0_14default_configELb1EPKbPbPKlPlN2at6native12_GLOBAL__N_18offset_tEEE10hipError_tPvRmT1_PNSt15iterator_traitsISY_E10value_typeET2_T3_PNSZ_IS14_E10value_typeET4_jRbjT5_S1A_jjP12ihipStream_tbEUljE_EEESV_SW_SX_S14_S18_S1A_T6_T7_T9_mT8_S1C_bDpT10_ENKUlT_T0_E_clISt17integral_constantIbLb0EES1O_IbLb1EEEEDaS1K_S1L_EUlS1K_E_NS1_11comp_targetILNS1_3genE4ELNS1_11target_archE910ELNS1_3gpuE8ELNS1_3repE0EEENS1_30default_config_static_selectorELNS0_4arch9wavefront6targetE1EEEvSY_
    .private_segment_fixed_size: 0
    .sgpr_count:     4
    .sgpr_spill_count: 0
    .symbol:         _ZN7rocprim17ROCPRIM_400000_NS6detail17trampoline_kernelINS0_13select_configILj256ELj13ELNS0_17block_load_methodE3ELS4_3ELS4_3ELNS0_20block_scan_algorithmE0ELj4294967295EEENS1_25partition_config_selectorILNS1_17partition_subalgoE3EjNS0_10empty_typeEbEEZZNS1_14partition_implILS8_3ELb0ES6_jNS0_17counting_iteratorIjlEEPS9_SE_NS0_5tupleIJPjSE_EEENSF_IJSE_SE_EEES9_SG_JZNS1_25segmented_radix_sort_implINS0_14default_configELb1EPKbPbPKlPlN2at6native12_GLOBAL__N_18offset_tEEE10hipError_tPvRmT1_PNSt15iterator_traitsISY_E10value_typeET2_T3_PNSZ_IS14_E10value_typeET4_jRbjT5_S1A_jjP12ihipStream_tbEUljE_EEESV_SW_SX_S14_S18_S1A_T6_T7_T9_mT8_S1C_bDpT10_ENKUlT_T0_E_clISt17integral_constantIbLb0EES1O_IbLb1EEEEDaS1K_S1L_EUlS1K_E_NS1_11comp_targetILNS1_3genE4ELNS1_11target_archE910ELNS1_3gpuE8ELNS1_3repE0EEENS1_30default_config_static_selectorELNS0_4arch9wavefront6targetE1EEEvSY_.kd
    .uniform_work_group_size: 1
    .uses_dynamic_stack: false
    .vgpr_count:     0
    .vgpr_spill_count: 0
    .wavefront_size: 64
  - .args:
      - .offset:         0
        .size:           152
        .value_kind:     by_value
    .group_segment_fixed_size: 0
    .kernarg_segment_align: 8
    .kernarg_segment_size: 152
    .language:       OpenCL C
    .language_version:
      - 2
      - 0
    .max_flat_workgroup_size: 256
    .name:           _ZN7rocprim17ROCPRIM_400000_NS6detail17trampoline_kernelINS0_13select_configILj256ELj13ELNS0_17block_load_methodE3ELS4_3ELS4_3ELNS0_20block_scan_algorithmE0ELj4294967295EEENS1_25partition_config_selectorILNS1_17partition_subalgoE3EjNS0_10empty_typeEbEEZZNS1_14partition_implILS8_3ELb0ES6_jNS0_17counting_iteratorIjlEEPS9_SE_NS0_5tupleIJPjSE_EEENSF_IJSE_SE_EEES9_SG_JZNS1_25segmented_radix_sort_implINS0_14default_configELb1EPKbPbPKlPlN2at6native12_GLOBAL__N_18offset_tEEE10hipError_tPvRmT1_PNSt15iterator_traitsISY_E10value_typeET2_T3_PNSZ_IS14_E10value_typeET4_jRbjT5_S1A_jjP12ihipStream_tbEUljE_EEESV_SW_SX_S14_S18_S1A_T6_T7_T9_mT8_S1C_bDpT10_ENKUlT_T0_E_clISt17integral_constantIbLb0EES1O_IbLb1EEEEDaS1K_S1L_EUlS1K_E_NS1_11comp_targetILNS1_3genE3ELNS1_11target_archE908ELNS1_3gpuE7ELNS1_3repE0EEENS1_30default_config_static_selectorELNS0_4arch9wavefront6targetE1EEEvSY_
    .private_segment_fixed_size: 0
    .sgpr_count:     4
    .sgpr_spill_count: 0
    .symbol:         _ZN7rocprim17ROCPRIM_400000_NS6detail17trampoline_kernelINS0_13select_configILj256ELj13ELNS0_17block_load_methodE3ELS4_3ELS4_3ELNS0_20block_scan_algorithmE0ELj4294967295EEENS1_25partition_config_selectorILNS1_17partition_subalgoE3EjNS0_10empty_typeEbEEZZNS1_14partition_implILS8_3ELb0ES6_jNS0_17counting_iteratorIjlEEPS9_SE_NS0_5tupleIJPjSE_EEENSF_IJSE_SE_EEES9_SG_JZNS1_25segmented_radix_sort_implINS0_14default_configELb1EPKbPbPKlPlN2at6native12_GLOBAL__N_18offset_tEEE10hipError_tPvRmT1_PNSt15iterator_traitsISY_E10value_typeET2_T3_PNSZ_IS14_E10value_typeET4_jRbjT5_S1A_jjP12ihipStream_tbEUljE_EEESV_SW_SX_S14_S18_S1A_T6_T7_T9_mT8_S1C_bDpT10_ENKUlT_T0_E_clISt17integral_constantIbLb0EES1O_IbLb1EEEEDaS1K_S1L_EUlS1K_E_NS1_11comp_targetILNS1_3genE3ELNS1_11target_archE908ELNS1_3gpuE7ELNS1_3repE0EEENS1_30default_config_static_selectorELNS0_4arch9wavefront6targetE1EEEvSY_.kd
    .uniform_work_group_size: 1
    .uses_dynamic_stack: false
    .vgpr_count:     0
    .vgpr_spill_count: 0
    .wavefront_size: 64
  - .args:
      - .offset:         0
        .size:           152
        .value_kind:     by_value
    .group_segment_fixed_size: 13320
    .kernarg_segment_align: 8
    .kernarg_segment_size: 152
    .language:       OpenCL C
    .language_version:
      - 2
      - 0
    .max_flat_workgroup_size: 256
    .name:           _ZN7rocprim17ROCPRIM_400000_NS6detail17trampoline_kernelINS0_13select_configILj256ELj13ELNS0_17block_load_methodE3ELS4_3ELS4_3ELNS0_20block_scan_algorithmE0ELj4294967295EEENS1_25partition_config_selectorILNS1_17partition_subalgoE3EjNS0_10empty_typeEbEEZZNS1_14partition_implILS8_3ELb0ES6_jNS0_17counting_iteratorIjlEEPS9_SE_NS0_5tupleIJPjSE_EEENSF_IJSE_SE_EEES9_SG_JZNS1_25segmented_radix_sort_implINS0_14default_configELb1EPKbPbPKlPlN2at6native12_GLOBAL__N_18offset_tEEE10hipError_tPvRmT1_PNSt15iterator_traitsISY_E10value_typeET2_T3_PNSZ_IS14_E10value_typeET4_jRbjT5_S1A_jjP12ihipStream_tbEUljE_EEESV_SW_SX_S14_S18_S1A_T6_T7_T9_mT8_S1C_bDpT10_ENKUlT_T0_E_clISt17integral_constantIbLb0EES1O_IbLb1EEEEDaS1K_S1L_EUlS1K_E_NS1_11comp_targetILNS1_3genE2ELNS1_11target_archE906ELNS1_3gpuE6ELNS1_3repE0EEENS1_30default_config_static_selectorELNS0_4arch9wavefront6targetE1EEEvSY_
    .private_segment_fixed_size: 0
    .sgpr_count:     50
    .sgpr_spill_count: 0
    .symbol:         _ZN7rocprim17ROCPRIM_400000_NS6detail17trampoline_kernelINS0_13select_configILj256ELj13ELNS0_17block_load_methodE3ELS4_3ELS4_3ELNS0_20block_scan_algorithmE0ELj4294967295EEENS1_25partition_config_selectorILNS1_17partition_subalgoE3EjNS0_10empty_typeEbEEZZNS1_14partition_implILS8_3ELb0ES6_jNS0_17counting_iteratorIjlEEPS9_SE_NS0_5tupleIJPjSE_EEENSF_IJSE_SE_EEES9_SG_JZNS1_25segmented_radix_sort_implINS0_14default_configELb1EPKbPbPKlPlN2at6native12_GLOBAL__N_18offset_tEEE10hipError_tPvRmT1_PNSt15iterator_traitsISY_E10value_typeET2_T3_PNSZ_IS14_E10value_typeET4_jRbjT5_S1A_jjP12ihipStream_tbEUljE_EEESV_SW_SX_S14_S18_S1A_T6_T7_T9_mT8_S1C_bDpT10_ENKUlT_T0_E_clISt17integral_constantIbLb0EES1O_IbLb1EEEEDaS1K_S1L_EUlS1K_E_NS1_11comp_targetILNS1_3genE2ELNS1_11target_archE906ELNS1_3gpuE6ELNS1_3repE0EEENS1_30default_config_static_selectorELNS0_4arch9wavefront6targetE1EEEvSY_.kd
    .uniform_work_group_size: 1
    .uses_dynamic_stack: false
    .vgpr_count:     71
    .vgpr_spill_count: 0
    .wavefront_size: 64
  - .args:
      - .offset:         0
        .size:           152
        .value_kind:     by_value
    .group_segment_fixed_size: 0
    .kernarg_segment_align: 8
    .kernarg_segment_size: 152
    .language:       OpenCL C
    .language_version:
      - 2
      - 0
    .max_flat_workgroup_size: 256
    .name:           _ZN7rocprim17ROCPRIM_400000_NS6detail17trampoline_kernelINS0_13select_configILj256ELj13ELNS0_17block_load_methodE3ELS4_3ELS4_3ELNS0_20block_scan_algorithmE0ELj4294967295EEENS1_25partition_config_selectorILNS1_17partition_subalgoE3EjNS0_10empty_typeEbEEZZNS1_14partition_implILS8_3ELb0ES6_jNS0_17counting_iteratorIjlEEPS9_SE_NS0_5tupleIJPjSE_EEENSF_IJSE_SE_EEES9_SG_JZNS1_25segmented_radix_sort_implINS0_14default_configELb1EPKbPbPKlPlN2at6native12_GLOBAL__N_18offset_tEEE10hipError_tPvRmT1_PNSt15iterator_traitsISY_E10value_typeET2_T3_PNSZ_IS14_E10value_typeET4_jRbjT5_S1A_jjP12ihipStream_tbEUljE_EEESV_SW_SX_S14_S18_S1A_T6_T7_T9_mT8_S1C_bDpT10_ENKUlT_T0_E_clISt17integral_constantIbLb0EES1O_IbLb1EEEEDaS1K_S1L_EUlS1K_E_NS1_11comp_targetILNS1_3genE10ELNS1_11target_archE1200ELNS1_3gpuE4ELNS1_3repE0EEENS1_30default_config_static_selectorELNS0_4arch9wavefront6targetE1EEEvSY_
    .private_segment_fixed_size: 0
    .sgpr_count:     4
    .sgpr_spill_count: 0
    .symbol:         _ZN7rocprim17ROCPRIM_400000_NS6detail17trampoline_kernelINS0_13select_configILj256ELj13ELNS0_17block_load_methodE3ELS4_3ELS4_3ELNS0_20block_scan_algorithmE0ELj4294967295EEENS1_25partition_config_selectorILNS1_17partition_subalgoE3EjNS0_10empty_typeEbEEZZNS1_14partition_implILS8_3ELb0ES6_jNS0_17counting_iteratorIjlEEPS9_SE_NS0_5tupleIJPjSE_EEENSF_IJSE_SE_EEES9_SG_JZNS1_25segmented_radix_sort_implINS0_14default_configELb1EPKbPbPKlPlN2at6native12_GLOBAL__N_18offset_tEEE10hipError_tPvRmT1_PNSt15iterator_traitsISY_E10value_typeET2_T3_PNSZ_IS14_E10value_typeET4_jRbjT5_S1A_jjP12ihipStream_tbEUljE_EEESV_SW_SX_S14_S18_S1A_T6_T7_T9_mT8_S1C_bDpT10_ENKUlT_T0_E_clISt17integral_constantIbLb0EES1O_IbLb1EEEEDaS1K_S1L_EUlS1K_E_NS1_11comp_targetILNS1_3genE10ELNS1_11target_archE1200ELNS1_3gpuE4ELNS1_3repE0EEENS1_30default_config_static_selectorELNS0_4arch9wavefront6targetE1EEEvSY_.kd
    .uniform_work_group_size: 1
    .uses_dynamic_stack: false
    .vgpr_count:     0
    .vgpr_spill_count: 0
    .wavefront_size: 64
  - .args:
      - .offset:         0
        .size:           152
        .value_kind:     by_value
    .group_segment_fixed_size: 0
    .kernarg_segment_align: 8
    .kernarg_segment_size: 152
    .language:       OpenCL C
    .language_version:
      - 2
      - 0
    .max_flat_workgroup_size: 256
    .name:           _ZN7rocprim17ROCPRIM_400000_NS6detail17trampoline_kernelINS0_13select_configILj256ELj13ELNS0_17block_load_methodE3ELS4_3ELS4_3ELNS0_20block_scan_algorithmE0ELj4294967295EEENS1_25partition_config_selectorILNS1_17partition_subalgoE3EjNS0_10empty_typeEbEEZZNS1_14partition_implILS8_3ELb0ES6_jNS0_17counting_iteratorIjlEEPS9_SE_NS0_5tupleIJPjSE_EEENSF_IJSE_SE_EEES9_SG_JZNS1_25segmented_radix_sort_implINS0_14default_configELb1EPKbPbPKlPlN2at6native12_GLOBAL__N_18offset_tEEE10hipError_tPvRmT1_PNSt15iterator_traitsISY_E10value_typeET2_T3_PNSZ_IS14_E10value_typeET4_jRbjT5_S1A_jjP12ihipStream_tbEUljE_EEESV_SW_SX_S14_S18_S1A_T6_T7_T9_mT8_S1C_bDpT10_ENKUlT_T0_E_clISt17integral_constantIbLb0EES1O_IbLb1EEEEDaS1K_S1L_EUlS1K_E_NS1_11comp_targetILNS1_3genE9ELNS1_11target_archE1100ELNS1_3gpuE3ELNS1_3repE0EEENS1_30default_config_static_selectorELNS0_4arch9wavefront6targetE1EEEvSY_
    .private_segment_fixed_size: 0
    .sgpr_count:     4
    .sgpr_spill_count: 0
    .symbol:         _ZN7rocprim17ROCPRIM_400000_NS6detail17trampoline_kernelINS0_13select_configILj256ELj13ELNS0_17block_load_methodE3ELS4_3ELS4_3ELNS0_20block_scan_algorithmE0ELj4294967295EEENS1_25partition_config_selectorILNS1_17partition_subalgoE3EjNS0_10empty_typeEbEEZZNS1_14partition_implILS8_3ELb0ES6_jNS0_17counting_iteratorIjlEEPS9_SE_NS0_5tupleIJPjSE_EEENSF_IJSE_SE_EEES9_SG_JZNS1_25segmented_radix_sort_implINS0_14default_configELb1EPKbPbPKlPlN2at6native12_GLOBAL__N_18offset_tEEE10hipError_tPvRmT1_PNSt15iterator_traitsISY_E10value_typeET2_T3_PNSZ_IS14_E10value_typeET4_jRbjT5_S1A_jjP12ihipStream_tbEUljE_EEESV_SW_SX_S14_S18_S1A_T6_T7_T9_mT8_S1C_bDpT10_ENKUlT_T0_E_clISt17integral_constantIbLb0EES1O_IbLb1EEEEDaS1K_S1L_EUlS1K_E_NS1_11comp_targetILNS1_3genE9ELNS1_11target_archE1100ELNS1_3gpuE3ELNS1_3repE0EEENS1_30default_config_static_selectorELNS0_4arch9wavefront6targetE1EEEvSY_.kd
    .uniform_work_group_size: 1
    .uses_dynamic_stack: false
    .vgpr_count:     0
    .vgpr_spill_count: 0
    .wavefront_size: 64
  - .args:
      - .offset:         0
        .size:           152
        .value_kind:     by_value
    .group_segment_fixed_size: 0
    .kernarg_segment_align: 8
    .kernarg_segment_size: 152
    .language:       OpenCL C
    .language_version:
      - 2
      - 0
    .max_flat_workgroup_size: 256
    .name:           _ZN7rocprim17ROCPRIM_400000_NS6detail17trampoline_kernelINS0_13select_configILj256ELj13ELNS0_17block_load_methodE3ELS4_3ELS4_3ELNS0_20block_scan_algorithmE0ELj4294967295EEENS1_25partition_config_selectorILNS1_17partition_subalgoE3EjNS0_10empty_typeEbEEZZNS1_14partition_implILS8_3ELb0ES6_jNS0_17counting_iteratorIjlEEPS9_SE_NS0_5tupleIJPjSE_EEENSF_IJSE_SE_EEES9_SG_JZNS1_25segmented_radix_sort_implINS0_14default_configELb1EPKbPbPKlPlN2at6native12_GLOBAL__N_18offset_tEEE10hipError_tPvRmT1_PNSt15iterator_traitsISY_E10value_typeET2_T3_PNSZ_IS14_E10value_typeET4_jRbjT5_S1A_jjP12ihipStream_tbEUljE_EEESV_SW_SX_S14_S18_S1A_T6_T7_T9_mT8_S1C_bDpT10_ENKUlT_T0_E_clISt17integral_constantIbLb0EES1O_IbLb1EEEEDaS1K_S1L_EUlS1K_E_NS1_11comp_targetILNS1_3genE8ELNS1_11target_archE1030ELNS1_3gpuE2ELNS1_3repE0EEENS1_30default_config_static_selectorELNS0_4arch9wavefront6targetE1EEEvSY_
    .private_segment_fixed_size: 0
    .sgpr_count:     4
    .sgpr_spill_count: 0
    .symbol:         _ZN7rocprim17ROCPRIM_400000_NS6detail17trampoline_kernelINS0_13select_configILj256ELj13ELNS0_17block_load_methodE3ELS4_3ELS4_3ELNS0_20block_scan_algorithmE0ELj4294967295EEENS1_25partition_config_selectorILNS1_17partition_subalgoE3EjNS0_10empty_typeEbEEZZNS1_14partition_implILS8_3ELb0ES6_jNS0_17counting_iteratorIjlEEPS9_SE_NS0_5tupleIJPjSE_EEENSF_IJSE_SE_EEES9_SG_JZNS1_25segmented_radix_sort_implINS0_14default_configELb1EPKbPbPKlPlN2at6native12_GLOBAL__N_18offset_tEEE10hipError_tPvRmT1_PNSt15iterator_traitsISY_E10value_typeET2_T3_PNSZ_IS14_E10value_typeET4_jRbjT5_S1A_jjP12ihipStream_tbEUljE_EEESV_SW_SX_S14_S18_S1A_T6_T7_T9_mT8_S1C_bDpT10_ENKUlT_T0_E_clISt17integral_constantIbLb0EES1O_IbLb1EEEEDaS1K_S1L_EUlS1K_E_NS1_11comp_targetILNS1_3genE8ELNS1_11target_archE1030ELNS1_3gpuE2ELNS1_3repE0EEENS1_30default_config_static_selectorELNS0_4arch9wavefront6targetE1EEEvSY_.kd
    .uniform_work_group_size: 1
    .uses_dynamic_stack: false
    .vgpr_count:     0
    .vgpr_spill_count: 0
    .wavefront_size: 64
  - .args:
      - .offset:         0
        .size:           96
        .value_kind:     by_value
    .group_segment_fixed_size: 0
    .kernarg_segment_align: 8
    .kernarg_segment_size: 96
    .language:       OpenCL C
    .language_version:
      - 2
      - 0
    .max_flat_workgroup_size: 256
    .name:           _ZN7rocprim17ROCPRIM_400000_NS6detail17trampoline_kernelINS0_14default_configENS1_36segmented_radix_sort_config_selectorIblEEZNS1_25segmented_radix_sort_implIS3_Lb1EPKbPbPKlPlN2at6native12_GLOBAL__N_18offset_tEEE10hipError_tPvRmT1_PNSt15iterator_traitsISK_E10value_typeET2_T3_PNSL_ISQ_E10value_typeET4_jRbjT5_SW_jjP12ihipStream_tbEUlT_E_NS1_11comp_targetILNS1_3genE0ELNS1_11target_archE4294967295ELNS1_3gpuE0ELNS1_3repE0EEENS1_30default_config_static_selectorELNS0_4arch9wavefront6targetE1EEEvSK_
    .private_segment_fixed_size: 0
    .sgpr_count:     4
    .sgpr_spill_count: 0
    .symbol:         _ZN7rocprim17ROCPRIM_400000_NS6detail17trampoline_kernelINS0_14default_configENS1_36segmented_radix_sort_config_selectorIblEEZNS1_25segmented_radix_sort_implIS3_Lb1EPKbPbPKlPlN2at6native12_GLOBAL__N_18offset_tEEE10hipError_tPvRmT1_PNSt15iterator_traitsISK_E10value_typeET2_T3_PNSL_ISQ_E10value_typeET4_jRbjT5_SW_jjP12ihipStream_tbEUlT_E_NS1_11comp_targetILNS1_3genE0ELNS1_11target_archE4294967295ELNS1_3gpuE0ELNS1_3repE0EEENS1_30default_config_static_selectorELNS0_4arch9wavefront6targetE1EEEvSK_.kd
    .uniform_work_group_size: 1
    .uses_dynamic_stack: false
    .vgpr_count:     0
    .vgpr_spill_count: 0
    .wavefront_size: 64
  - .args:
      - .offset:         0
        .size:           96
        .value_kind:     by_value
    .group_segment_fixed_size: 0
    .kernarg_segment_align: 8
    .kernarg_segment_size: 96
    .language:       OpenCL C
    .language_version:
      - 2
      - 0
    .max_flat_workgroup_size: 256
    .name:           _ZN7rocprim17ROCPRIM_400000_NS6detail17trampoline_kernelINS0_14default_configENS1_36segmented_radix_sort_config_selectorIblEEZNS1_25segmented_radix_sort_implIS3_Lb1EPKbPbPKlPlN2at6native12_GLOBAL__N_18offset_tEEE10hipError_tPvRmT1_PNSt15iterator_traitsISK_E10value_typeET2_T3_PNSL_ISQ_E10value_typeET4_jRbjT5_SW_jjP12ihipStream_tbEUlT_E_NS1_11comp_targetILNS1_3genE5ELNS1_11target_archE942ELNS1_3gpuE9ELNS1_3repE0EEENS1_30default_config_static_selectorELNS0_4arch9wavefront6targetE1EEEvSK_
    .private_segment_fixed_size: 0
    .sgpr_count:     4
    .sgpr_spill_count: 0
    .symbol:         _ZN7rocprim17ROCPRIM_400000_NS6detail17trampoline_kernelINS0_14default_configENS1_36segmented_radix_sort_config_selectorIblEEZNS1_25segmented_radix_sort_implIS3_Lb1EPKbPbPKlPlN2at6native12_GLOBAL__N_18offset_tEEE10hipError_tPvRmT1_PNSt15iterator_traitsISK_E10value_typeET2_T3_PNSL_ISQ_E10value_typeET4_jRbjT5_SW_jjP12ihipStream_tbEUlT_E_NS1_11comp_targetILNS1_3genE5ELNS1_11target_archE942ELNS1_3gpuE9ELNS1_3repE0EEENS1_30default_config_static_selectorELNS0_4arch9wavefront6targetE1EEEvSK_.kd
    .uniform_work_group_size: 1
    .uses_dynamic_stack: false
    .vgpr_count:     0
    .vgpr_spill_count: 0
    .wavefront_size: 64
  - .args:
      - .offset:         0
        .size:           96
        .value_kind:     by_value
    .group_segment_fixed_size: 0
    .kernarg_segment_align: 8
    .kernarg_segment_size: 96
    .language:       OpenCL C
    .language_version:
      - 2
      - 0
    .max_flat_workgroup_size: 256
    .name:           _ZN7rocprim17ROCPRIM_400000_NS6detail17trampoline_kernelINS0_14default_configENS1_36segmented_radix_sort_config_selectorIblEEZNS1_25segmented_radix_sort_implIS3_Lb1EPKbPbPKlPlN2at6native12_GLOBAL__N_18offset_tEEE10hipError_tPvRmT1_PNSt15iterator_traitsISK_E10value_typeET2_T3_PNSL_ISQ_E10value_typeET4_jRbjT5_SW_jjP12ihipStream_tbEUlT_E_NS1_11comp_targetILNS1_3genE4ELNS1_11target_archE910ELNS1_3gpuE8ELNS1_3repE0EEENS1_30default_config_static_selectorELNS0_4arch9wavefront6targetE1EEEvSK_
    .private_segment_fixed_size: 0
    .sgpr_count:     4
    .sgpr_spill_count: 0
    .symbol:         _ZN7rocprim17ROCPRIM_400000_NS6detail17trampoline_kernelINS0_14default_configENS1_36segmented_radix_sort_config_selectorIblEEZNS1_25segmented_radix_sort_implIS3_Lb1EPKbPbPKlPlN2at6native12_GLOBAL__N_18offset_tEEE10hipError_tPvRmT1_PNSt15iterator_traitsISK_E10value_typeET2_T3_PNSL_ISQ_E10value_typeET4_jRbjT5_SW_jjP12ihipStream_tbEUlT_E_NS1_11comp_targetILNS1_3genE4ELNS1_11target_archE910ELNS1_3gpuE8ELNS1_3repE0EEENS1_30default_config_static_selectorELNS0_4arch9wavefront6targetE1EEEvSK_.kd
    .uniform_work_group_size: 1
    .uses_dynamic_stack: false
    .vgpr_count:     0
    .vgpr_spill_count: 0
    .wavefront_size: 64
  - .args:
      - .offset:         0
        .size:           96
        .value_kind:     by_value
    .group_segment_fixed_size: 0
    .kernarg_segment_align: 8
    .kernarg_segment_size: 96
    .language:       OpenCL C
    .language_version:
      - 2
      - 0
    .max_flat_workgroup_size: 256
    .name:           _ZN7rocprim17ROCPRIM_400000_NS6detail17trampoline_kernelINS0_14default_configENS1_36segmented_radix_sort_config_selectorIblEEZNS1_25segmented_radix_sort_implIS3_Lb1EPKbPbPKlPlN2at6native12_GLOBAL__N_18offset_tEEE10hipError_tPvRmT1_PNSt15iterator_traitsISK_E10value_typeET2_T3_PNSL_ISQ_E10value_typeET4_jRbjT5_SW_jjP12ihipStream_tbEUlT_E_NS1_11comp_targetILNS1_3genE3ELNS1_11target_archE908ELNS1_3gpuE7ELNS1_3repE0EEENS1_30default_config_static_selectorELNS0_4arch9wavefront6targetE1EEEvSK_
    .private_segment_fixed_size: 0
    .sgpr_count:     4
    .sgpr_spill_count: 0
    .symbol:         _ZN7rocprim17ROCPRIM_400000_NS6detail17trampoline_kernelINS0_14default_configENS1_36segmented_radix_sort_config_selectorIblEEZNS1_25segmented_radix_sort_implIS3_Lb1EPKbPbPKlPlN2at6native12_GLOBAL__N_18offset_tEEE10hipError_tPvRmT1_PNSt15iterator_traitsISK_E10value_typeET2_T3_PNSL_ISQ_E10value_typeET4_jRbjT5_SW_jjP12ihipStream_tbEUlT_E_NS1_11comp_targetILNS1_3genE3ELNS1_11target_archE908ELNS1_3gpuE7ELNS1_3repE0EEENS1_30default_config_static_selectorELNS0_4arch9wavefront6targetE1EEEvSK_.kd
    .uniform_work_group_size: 1
    .uses_dynamic_stack: false
    .vgpr_count:     0
    .vgpr_spill_count: 0
    .wavefront_size: 64
  - .args:
      - .offset:         0
        .size:           96
        .value_kind:     by_value
      - .offset:         96
        .size:           4
        .value_kind:     hidden_block_count_x
      - .offset:         100
        .size:           4
        .value_kind:     hidden_block_count_y
      - .offset:         104
        .size:           4
        .value_kind:     hidden_block_count_z
      - .offset:         108
        .size:           2
        .value_kind:     hidden_group_size_x
      - .offset:         110
        .size:           2
        .value_kind:     hidden_group_size_y
      - .offset:         112
        .size:           2
        .value_kind:     hidden_group_size_z
      - .offset:         114
        .size:           2
        .value_kind:     hidden_remainder_x
      - .offset:         116
        .size:           2
        .value_kind:     hidden_remainder_y
      - .offset:         118
        .size:           2
        .value_kind:     hidden_remainder_z
      - .offset:         136
        .size:           8
        .value_kind:     hidden_global_offset_x
      - .offset:         144
        .size:           8
        .value_kind:     hidden_global_offset_y
      - .offset:         152
        .size:           8
        .value_kind:     hidden_global_offset_z
      - .offset:         160
        .size:           2
        .value_kind:     hidden_grid_dims
    .group_segment_fixed_size: 9232
    .kernarg_segment_align: 8
    .kernarg_segment_size: 352
    .language:       OpenCL C
    .language_version:
      - 2
      - 0
    .max_flat_workgroup_size: 256
    .name:           _ZN7rocprim17ROCPRIM_400000_NS6detail17trampoline_kernelINS0_14default_configENS1_36segmented_radix_sort_config_selectorIblEEZNS1_25segmented_radix_sort_implIS3_Lb1EPKbPbPKlPlN2at6native12_GLOBAL__N_18offset_tEEE10hipError_tPvRmT1_PNSt15iterator_traitsISK_E10value_typeET2_T3_PNSL_ISQ_E10value_typeET4_jRbjT5_SW_jjP12ihipStream_tbEUlT_E_NS1_11comp_targetILNS1_3genE2ELNS1_11target_archE906ELNS1_3gpuE6ELNS1_3repE0EEENS1_30default_config_static_selectorELNS0_4arch9wavefront6targetE1EEEvSK_
    .private_segment_fixed_size: 0
    .sgpr_count:     80
    .sgpr_spill_count: 0
    .symbol:         _ZN7rocprim17ROCPRIM_400000_NS6detail17trampoline_kernelINS0_14default_configENS1_36segmented_radix_sort_config_selectorIblEEZNS1_25segmented_radix_sort_implIS3_Lb1EPKbPbPKlPlN2at6native12_GLOBAL__N_18offset_tEEE10hipError_tPvRmT1_PNSt15iterator_traitsISK_E10value_typeET2_T3_PNSL_ISQ_E10value_typeET4_jRbjT5_SW_jjP12ihipStream_tbEUlT_E_NS1_11comp_targetILNS1_3genE2ELNS1_11target_archE906ELNS1_3gpuE6ELNS1_3repE0EEENS1_30default_config_static_selectorELNS0_4arch9wavefront6targetE1EEEvSK_.kd
    .uniform_work_group_size: 1
    .uses_dynamic_stack: false
    .vgpr_count:     97
    .vgpr_spill_count: 0
    .wavefront_size: 64
  - .args:
      - .offset:         0
        .size:           96
        .value_kind:     by_value
    .group_segment_fixed_size: 0
    .kernarg_segment_align: 8
    .kernarg_segment_size: 96
    .language:       OpenCL C
    .language_version:
      - 2
      - 0
    .max_flat_workgroup_size: 256
    .name:           _ZN7rocprim17ROCPRIM_400000_NS6detail17trampoline_kernelINS0_14default_configENS1_36segmented_radix_sort_config_selectorIblEEZNS1_25segmented_radix_sort_implIS3_Lb1EPKbPbPKlPlN2at6native12_GLOBAL__N_18offset_tEEE10hipError_tPvRmT1_PNSt15iterator_traitsISK_E10value_typeET2_T3_PNSL_ISQ_E10value_typeET4_jRbjT5_SW_jjP12ihipStream_tbEUlT_E_NS1_11comp_targetILNS1_3genE10ELNS1_11target_archE1201ELNS1_3gpuE5ELNS1_3repE0EEENS1_30default_config_static_selectorELNS0_4arch9wavefront6targetE1EEEvSK_
    .private_segment_fixed_size: 0
    .sgpr_count:     4
    .sgpr_spill_count: 0
    .symbol:         _ZN7rocprim17ROCPRIM_400000_NS6detail17trampoline_kernelINS0_14default_configENS1_36segmented_radix_sort_config_selectorIblEEZNS1_25segmented_radix_sort_implIS3_Lb1EPKbPbPKlPlN2at6native12_GLOBAL__N_18offset_tEEE10hipError_tPvRmT1_PNSt15iterator_traitsISK_E10value_typeET2_T3_PNSL_ISQ_E10value_typeET4_jRbjT5_SW_jjP12ihipStream_tbEUlT_E_NS1_11comp_targetILNS1_3genE10ELNS1_11target_archE1201ELNS1_3gpuE5ELNS1_3repE0EEENS1_30default_config_static_selectorELNS0_4arch9wavefront6targetE1EEEvSK_.kd
    .uniform_work_group_size: 1
    .uses_dynamic_stack: false
    .vgpr_count:     0
    .vgpr_spill_count: 0
    .wavefront_size: 64
  - .args:
      - .offset:         0
        .size:           96
        .value_kind:     by_value
    .group_segment_fixed_size: 0
    .kernarg_segment_align: 8
    .kernarg_segment_size: 96
    .language:       OpenCL C
    .language_version:
      - 2
      - 0
    .max_flat_workgroup_size: 128
    .name:           _ZN7rocprim17ROCPRIM_400000_NS6detail17trampoline_kernelINS0_14default_configENS1_36segmented_radix_sort_config_selectorIblEEZNS1_25segmented_radix_sort_implIS3_Lb1EPKbPbPKlPlN2at6native12_GLOBAL__N_18offset_tEEE10hipError_tPvRmT1_PNSt15iterator_traitsISK_E10value_typeET2_T3_PNSL_ISQ_E10value_typeET4_jRbjT5_SW_jjP12ihipStream_tbEUlT_E_NS1_11comp_targetILNS1_3genE10ELNS1_11target_archE1200ELNS1_3gpuE4ELNS1_3repE0EEENS1_30default_config_static_selectorELNS0_4arch9wavefront6targetE1EEEvSK_
    .private_segment_fixed_size: 0
    .sgpr_count:     4
    .sgpr_spill_count: 0
    .symbol:         _ZN7rocprim17ROCPRIM_400000_NS6detail17trampoline_kernelINS0_14default_configENS1_36segmented_radix_sort_config_selectorIblEEZNS1_25segmented_radix_sort_implIS3_Lb1EPKbPbPKlPlN2at6native12_GLOBAL__N_18offset_tEEE10hipError_tPvRmT1_PNSt15iterator_traitsISK_E10value_typeET2_T3_PNSL_ISQ_E10value_typeET4_jRbjT5_SW_jjP12ihipStream_tbEUlT_E_NS1_11comp_targetILNS1_3genE10ELNS1_11target_archE1200ELNS1_3gpuE4ELNS1_3repE0EEENS1_30default_config_static_selectorELNS0_4arch9wavefront6targetE1EEEvSK_.kd
    .uniform_work_group_size: 1
    .uses_dynamic_stack: false
    .vgpr_count:     0
    .vgpr_spill_count: 0
    .wavefront_size: 64
  - .args:
      - .offset:         0
        .size:           96
        .value_kind:     by_value
    .group_segment_fixed_size: 0
    .kernarg_segment_align: 8
    .kernarg_segment_size: 96
    .language:       OpenCL C
    .language_version:
      - 2
      - 0
    .max_flat_workgroup_size: 256
    .name:           _ZN7rocprim17ROCPRIM_400000_NS6detail17trampoline_kernelINS0_14default_configENS1_36segmented_radix_sort_config_selectorIblEEZNS1_25segmented_radix_sort_implIS3_Lb1EPKbPbPKlPlN2at6native12_GLOBAL__N_18offset_tEEE10hipError_tPvRmT1_PNSt15iterator_traitsISK_E10value_typeET2_T3_PNSL_ISQ_E10value_typeET4_jRbjT5_SW_jjP12ihipStream_tbEUlT_E_NS1_11comp_targetILNS1_3genE9ELNS1_11target_archE1100ELNS1_3gpuE3ELNS1_3repE0EEENS1_30default_config_static_selectorELNS0_4arch9wavefront6targetE1EEEvSK_
    .private_segment_fixed_size: 0
    .sgpr_count:     4
    .sgpr_spill_count: 0
    .symbol:         _ZN7rocprim17ROCPRIM_400000_NS6detail17trampoline_kernelINS0_14default_configENS1_36segmented_radix_sort_config_selectorIblEEZNS1_25segmented_radix_sort_implIS3_Lb1EPKbPbPKlPlN2at6native12_GLOBAL__N_18offset_tEEE10hipError_tPvRmT1_PNSt15iterator_traitsISK_E10value_typeET2_T3_PNSL_ISQ_E10value_typeET4_jRbjT5_SW_jjP12ihipStream_tbEUlT_E_NS1_11comp_targetILNS1_3genE9ELNS1_11target_archE1100ELNS1_3gpuE3ELNS1_3repE0EEENS1_30default_config_static_selectorELNS0_4arch9wavefront6targetE1EEEvSK_.kd
    .uniform_work_group_size: 1
    .uses_dynamic_stack: false
    .vgpr_count:     0
    .vgpr_spill_count: 0
    .wavefront_size: 64
  - .args:
      - .offset:         0
        .size:           96
        .value_kind:     by_value
    .group_segment_fixed_size: 0
    .kernarg_segment_align: 8
    .kernarg_segment_size: 96
    .language:       OpenCL C
    .language_version:
      - 2
      - 0
    .max_flat_workgroup_size: 256
    .name:           _ZN7rocprim17ROCPRIM_400000_NS6detail17trampoline_kernelINS0_14default_configENS1_36segmented_radix_sort_config_selectorIblEEZNS1_25segmented_radix_sort_implIS3_Lb1EPKbPbPKlPlN2at6native12_GLOBAL__N_18offset_tEEE10hipError_tPvRmT1_PNSt15iterator_traitsISK_E10value_typeET2_T3_PNSL_ISQ_E10value_typeET4_jRbjT5_SW_jjP12ihipStream_tbEUlT_E_NS1_11comp_targetILNS1_3genE8ELNS1_11target_archE1030ELNS1_3gpuE2ELNS1_3repE0EEENS1_30default_config_static_selectorELNS0_4arch9wavefront6targetE1EEEvSK_
    .private_segment_fixed_size: 0
    .sgpr_count:     4
    .sgpr_spill_count: 0
    .symbol:         _ZN7rocprim17ROCPRIM_400000_NS6detail17trampoline_kernelINS0_14default_configENS1_36segmented_radix_sort_config_selectorIblEEZNS1_25segmented_radix_sort_implIS3_Lb1EPKbPbPKlPlN2at6native12_GLOBAL__N_18offset_tEEE10hipError_tPvRmT1_PNSt15iterator_traitsISK_E10value_typeET2_T3_PNSL_ISQ_E10value_typeET4_jRbjT5_SW_jjP12ihipStream_tbEUlT_E_NS1_11comp_targetILNS1_3genE8ELNS1_11target_archE1030ELNS1_3gpuE2ELNS1_3repE0EEENS1_30default_config_static_selectorELNS0_4arch9wavefront6targetE1EEEvSK_.kd
    .uniform_work_group_size: 1
    .uses_dynamic_stack: false
    .vgpr_count:     0
    .vgpr_spill_count: 0
    .wavefront_size: 64
  - .args:
      - .offset:         0
        .size:           88
        .value_kind:     by_value
    .group_segment_fixed_size: 0
    .kernarg_segment_align: 8
    .kernarg_segment_size: 88
    .language:       OpenCL C
    .language_version:
      - 2
      - 0
    .max_flat_workgroup_size: 256
    .name:           _ZN7rocprim17ROCPRIM_400000_NS6detail17trampoline_kernelINS0_14default_configENS1_36segmented_radix_sort_config_selectorIblEEZNS1_25segmented_radix_sort_implIS3_Lb1EPKbPbPKlPlN2at6native12_GLOBAL__N_18offset_tEEE10hipError_tPvRmT1_PNSt15iterator_traitsISK_E10value_typeET2_T3_PNSL_ISQ_E10value_typeET4_jRbjT5_SW_jjP12ihipStream_tbEUlT_E0_NS1_11comp_targetILNS1_3genE0ELNS1_11target_archE4294967295ELNS1_3gpuE0ELNS1_3repE0EEENS1_60segmented_radix_sort_warp_sort_medium_config_static_selectorELNS0_4arch9wavefront6targetE1EEEvSK_
    .private_segment_fixed_size: 0
    .sgpr_count:     4
    .sgpr_spill_count: 0
    .symbol:         _ZN7rocprim17ROCPRIM_400000_NS6detail17trampoline_kernelINS0_14default_configENS1_36segmented_radix_sort_config_selectorIblEEZNS1_25segmented_radix_sort_implIS3_Lb1EPKbPbPKlPlN2at6native12_GLOBAL__N_18offset_tEEE10hipError_tPvRmT1_PNSt15iterator_traitsISK_E10value_typeET2_T3_PNSL_ISQ_E10value_typeET4_jRbjT5_SW_jjP12ihipStream_tbEUlT_E0_NS1_11comp_targetILNS1_3genE0ELNS1_11target_archE4294967295ELNS1_3gpuE0ELNS1_3repE0EEENS1_60segmented_radix_sort_warp_sort_medium_config_static_selectorELNS0_4arch9wavefront6targetE1EEEvSK_.kd
    .uniform_work_group_size: 1
    .uses_dynamic_stack: false
    .vgpr_count:     0
    .vgpr_spill_count: 0
    .wavefront_size: 64
  - .args:
      - .offset:         0
        .size:           88
        .value_kind:     by_value
    .group_segment_fixed_size: 0
    .kernarg_segment_align: 8
    .kernarg_segment_size: 88
    .language:       OpenCL C
    .language_version:
      - 2
      - 0
    .max_flat_workgroup_size: 256
    .name:           _ZN7rocprim17ROCPRIM_400000_NS6detail17trampoline_kernelINS0_14default_configENS1_36segmented_radix_sort_config_selectorIblEEZNS1_25segmented_radix_sort_implIS3_Lb1EPKbPbPKlPlN2at6native12_GLOBAL__N_18offset_tEEE10hipError_tPvRmT1_PNSt15iterator_traitsISK_E10value_typeET2_T3_PNSL_ISQ_E10value_typeET4_jRbjT5_SW_jjP12ihipStream_tbEUlT_E0_NS1_11comp_targetILNS1_3genE5ELNS1_11target_archE942ELNS1_3gpuE9ELNS1_3repE0EEENS1_60segmented_radix_sort_warp_sort_medium_config_static_selectorELNS0_4arch9wavefront6targetE1EEEvSK_
    .private_segment_fixed_size: 0
    .sgpr_count:     4
    .sgpr_spill_count: 0
    .symbol:         _ZN7rocprim17ROCPRIM_400000_NS6detail17trampoline_kernelINS0_14default_configENS1_36segmented_radix_sort_config_selectorIblEEZNS1_25segmented_radix_sort_implIS3_Lb1EPKbPbPKlPlN2at6native12_GLOBAL__N_18offset_tEEE10hipError_tPvRmT1_PNSt15iterator_traitsISK_E10value_typeET2_T3_PNSL_ISQ_E10value_typeET4_jRbjT5_SW_jjP12ihipStream_tbEUlT_E0_NS1_11comp_targetILNS1_3genE5ELNS1_11target_archE942ELNS1_3gpuE9ELNS1_3repE0EEENS1_60segmented_radix_sort_warp_sort_medium_config_static_selectorELNS0_4arch9wavefront6targetE1EEEvSK_.kd
    .uniform_work_group_size: 1
    .uses_dynamic_stack: false
    .vgpr_count:     0
    .vgpr_spill_count: 0
    .wavefront_size: 64
  - .args:
      - .offset:         0
        .size:           88
        .value_kind:     by_value
    .group_segment_fixed_size: 0
    .kernarg_segment_align: 8
    .kernarg_segment_size: 88
    .language:       OpenCL C
    .language_version:
      - 2
      - 0
    .max_flat_workgroup_size: 256
    .name:           _ZN7rocprim17ROCPRIM_400000_NS6detail17trampoline_kernelINS0_14default_configENS1_36segmented_radix_sort_config_selectorIblEEZNS1_25segmented_radix_sort_implIS3_Lb1EPKbPbPKlPlN2at6native12_GLOBAL__N_18offset_tEEE10hipError_tPvRmT1_PNSt15iterator_traitsISK_E10value_typeET2_T3_PNSL_ISQ_E10value_typeET4_jRbjT5_SW_jjP12ihipStream_tbEUlT_E0_NS1_11comp_targetILNS1_3genE4ELNS1_11target_archE910ELNS1_3gpuE8ELNS1_3repE0EEENS1_60segmented_radix_sort_warp_sort_medium_config_static_selectorELNS0_4arch9wavefront6targetE1EEEvSK_
    .private_segment_fixed_size: 0
    .sgpr_count:     4
    .sgpr_spill_count: 0
    .symbol:         _ZN7rocprim17ROCPRIM_400000_NS6detail17trampoline_kernelINS0_14default_configENS1_36segmented_radix_sort_config_selectorIblEEZNS1_25segmented_radix_sort_implIS3_Lb1EPKbPbPKlPlN2at6native12_GLOBAL__N_18offset_tEEE10hipError_tPvRmT1_PNSt15iterator_traitsISK_E10value_typeET2_T3_PNSL_ISQ_E10value_typeET4_jRbjT5_SW_jjP12ihipStream_tbEUlT_E0_NS1_11comp_targetILNS1_3genE4ELNS1_11target_archE910ELNS1_3gpuE8ELNS1_3repE0EEENS1_60segmented_radix_sort_warp_sort_medium_config_static_selectorELNS0_4arch9wavefront6targetE1EEEvSK_.kd
    .uniform_work_group_size: 1
    .uses_dynamic_stack: false
    .vgpr_count:     0
    .vgpr_spill_count: 0
    .wavefront_size: 64
  - .args:
      - .offset:         0
        .size:           88
        .value_kind:     by_value
    .group_segment_fixed_size: 0
    .kernarg_segment_align: 8
    .kernarg_segment_size: 88
    .language:       OpenCL C
    .language_version:
      - 2
      - 0
    .max_flat_workgroup_size: 256
    .name:           _ZN7rocprim17ROCPRIM_400000_NS6detail17trampoline_kernelINS0_14default_configENS1_36segmented_radix_sort_config_selectorIblEEZNS1_25segmented_radix_sort_implIS3_Lb1EPKbPbPKlPlN2at6native12_GLOBAL__N_18offset_tEEE10hipError_tPvRmT1_PNSt15iterator_traitsISK_E10value_typeET2_T3_PNSL_ISQ_E10value_typeET4_jRbjT5_SW_jjP12ihipStream_tbEUlT_E0_NS1_11comp_targetILNS1_3genE3ELNS1_11target_archE908ELNS1_3gpuE7ELNS1_3repE0EEENS1_60segmented_radix_sort_warp_sort_medium_config_static_selectorELNS0_4arch9wavefront6targetE1EEEvSK_
    .private_segment_fixed_size: 0
    .sgpr_count:     4
    .sgpr_spill_count: 0
    .symbol:         _ZN7rocprim17ROCPRIM_400000_NS6detail17trampoline_kernelINS0_14default_configENS1_36segmented_radix_sort_config_selectorIblEEZNS1_25segmented_radix_sort_implIS3_Lb1EPKbPbPKlPlN2at6native12_GLOBAL__N_18offset_tEEE10hipError_tPvRmT1_PNSt15iterator_traitsISK_E10value_typeET2_T3_PNSL_ISQ_E10value_typeET4_jRbjT5_SW_jjP12ihipStream_tbEUlT_E0_NS1_11comp_targetILNS1_3genE3ELNS1_11target_archE908ELNS1_3gpuE7ELNS1_3repE0EEENS1_60segmented_radix_sort_warp_sort_medium_config_static_selectorELNS0_4arch9wavefront6targetE1EEEvSK_.kd
    .uniform_work_group_size: 1
    .uses_dynamic_stack: false
    .vgpr_count:     0
    .vgpr_spill_count: 0
    .wavefront_size: 64
  - .args:
      - .offset:         0
        .size:           88
        .value_kind:     by_value
      - .offset:         88
        .size:           4
        .value_kind:     hidden_block_count_x
      - .offset:         92
        .size:           4
        .value_kind:     hidden_block_count_y
      - .offset:         96
        .size:           4
        .value_kind:     hidden_block_count_z
      - .offset:         100
        .size:           2
        .value_kind:     hidden_group_size_x
      - .offset:         102
        .size:           2
        .value_kind:     hidden_group_size_y
      - .offset:         104
        .size:           2
        .value_kind:     hidden_group_size_z
      - .offset:         106
        .size:           2
        .value_kind:     hidden_remainder_x
      - .offset:         108
        .size:           2
        .value_kind:     hidden_remainder_y
      - .offset:         110
        .size:           2
        .value_kind:     hidden_remainder_z
      - .offset:         128
        .size:           8
        .value_kind:     hidden_global_offset_x
      - .offset:         136
        .size:           8
        .value_kind:     hidden_global_offset_y
      - .offset:         144
        .size:           8
        .value_kind:     hidden_global_offset_z
      - .offset:         152
        .size:           2
        .value_kind:     hidden_grid_dims
    .group_segment_fixed_size: 18432
    .kernarg_segment_align: 8
    .kernarg_segment_size: 344
    .language:       OpenCL C
    .language_version:
      - 2
      - 0
    .max_flat_workgroup_size: 256
    .name:           _ZN7rocprim17ROCPRIM_400000_NS6detail17trampoline_kernelINS0_14default_configENS1_36segmented_radix_sort_config_selectorIblEEZNS1_25segmented_radix_sort_implIS3_Lb1EPKbPbPKlPlN2at6native12_GLOBAL__N_18offset_tEEE10hipError_tPvRmT1_PNSt15iterator_traitsISK_E10value_typeET2_T3_PNSL_ISQ_E10value_typeET4_jRbjT5_SW_jjP12ihipStream_tbEUlT_E0_NS1_11comp_targetILNS1_3genE2ELNS1_11target_archE906ELNS1_3gpuE6ELNS1_3repE0EEENS1_60segmented_radix_sort_warp_sort_medium_config_static_selectorELNS0_4arch9wavefront6targetE1EEEvSK_
    .private_segment_fixed_size: 12
    .sgpr_count:     62
    .sgpr_spill_count: 0
    .symbol:         _ZN7rocprim17ROCPRIM_400000_NS6detail17trampoline_kernelINS0_14default_configENS1_36segmented_radix_sort_config_selectorIblEEZNS1_25segmented_radix_sort_implIS3_Lb1EPKbPbPKlPlN2at6native12_GLOBAL__N_18offset_tEEE10hipError_tPvRmT1_PNSt15iterator_traitsISK_E10value_typeET2_T3_PNSL_ISQ_E10value_typeET4_jRbjT5_SW_jjP12ihipStream_tbEUlT_E0_NS1_11comp_targetILNS1_3genE2ELNS1_11target_archE906ELNS1_3gpuE6ELNS1_3repE0EEENS1_60segmented_radix_sort_warp_sort_medium_config_static_selectorELNS0_4arch9wavefront6targetE1EEEvSK_.kd
    .uniform_work_group_size: 1
    .uses_dynamic_stack: false
    .vgpr_count:     68
    .vgpr_spill_count: 0
    .wavefront_size: 64
  - .args:
      - .offset:         0
        .size:           88
        .value_kind:     by_value
    .group_segment_fixed_size: 0
    .kernarg_segment_align: 8
    .kernarg_segment_size: 88
    .language:       OpenCL C
    .language_version:
      - 2
      - 0
    .max_flat_workgroup_size: 256
    .name:           _ZN7rocprim17ROCPRIM_400000_NS6detail17trampoline_kernelINS0_14default_configENS1_36segmented_radix_sort_config_selectorIblEEZNS1_25segmented_radix_sort_implIS3_Lb1EPKbPbPKlPlN2at6native12_GLOBAL__N_18offset_tEEE10hipError_tPvRmT1_PNSt15iterator_traitsISK_E10value_typeET2_T3_PNSL_ISQ_E10value_typeET4_jRbjT5_SW_jjP12ihipStream_tbEUlT_E0_NS1_11comp_targetILNS1_3genE10ELNS1_11target_archE1201ELNS1_3gpuE5ELNS1_3repE0EEENS1_60segmented_radix_sort_warp_sort_medium_config_static_selectorELNS0_4arch9wavefront6targetE1EEEvSK_
    .private_segment_fixed_size: 0
    .sgpr_count:     4
    .sgpr_spill_count: 0
    .symbol:         _ZN7rocprim17ROCPRIM_400000_NS6detail17trampoline_kernelINS0_14default_configENS1_36segmented_radix_sort_config_selectorIblEEZNS1_25segmented_radix_sort_implIS3_Lb1EPKbPbPKlPlN2at6native12_GLOBAL__N_18offset_tEEE10hipError_tPvRmT1_PNSt15iterator_traitsISK_E10value_typeET2_T3_PNSL_ISQ_E10value_typeET4_jRbjT5_SW_jjP12ihipStream_tbEUlT_E0_NS1_11comp_targetILNS1_3genE10ELNS1_11target_archE1201ELNS1_3gpuE5ELNS1_3repE0EEENS1_60segmented_radix_sort_warp_sort_medium_config_static_selectorELNS0_4arch9wavefront6targetE1EEEvSK_.kd
    .uniform_work_group_size: 1
    .uses_dynamic_stack: false
    .vgpr_count:     0
    .vgpr_spill_count: 0
    .wavefront_size: 64
  - .args:
      - .offset:         0
        .size:           88
        .value_kind:     by_value
    .group_segment_fixed_size: 0
    .kernarg_segment_align: 8
    .kernarg_segment_size: 88
    .language:       OpenCL C
    .language_version:
      - 2
      - 0
    .max_flat_workgroup_size: 256
    .name:           _ZN7rocprim17ROCPRIM_400000_NS6detail17trampoline_kernelINS0_14default_configENS1_36segmented_radix_sort_config_selectorIblEEZNS1_25segmented_radix_sort_implIS3_Lb1EPKbPbPKlPlN2at6native12_GLOBAL__N_18offset_tEEE10hipError_tPvRmT1_PNSt15iterator_traitsISK_E10value_typeET2_T3_PNSL_ISQ_E10value_typeET4_jRbjT5_SW_jjP12ihipStream_tbEUlT_E0_NS1_11comp_targetILNS1_3genE10ELNS1_11target_archE1200ELNS1_3gpuE4ELNS1_3repE0EEENS1_60segmented_radix_sort_warp_sort_medium_config_static_selectorELNS0_4arch9wavefront6targetE1EEEvSK_
    .private_segment_fixed_size: 0
    .sgpr_count:     4
    .sgpr_spill_count: 0
    .symbol:         _ZN7rocprim17ROCPRIM_400000_NS6detail17trampoline_kernelINS0_14default_configENS1_36segmented_radix_sort_config_selectorIblEEZNS1_25segmented_radix_sort_implIS3_Lb1EPKbPbPKlPlN2at6native12_GLOBAL__N_18offset_tEEE10hipError_tPvRmT1_PNSt15iterator_traitsISK_E10value_typeET2_T3_PNSL_ISQ_E10value_typeET4_jRbjT5_SW_jjP12ihipStream_tbEUlT_E0_NS1_11comp_targetILNS1_3genE10ELNS1_11target_archE1200ELNS1_3gpuE4ELNS1_3repE0EEENS1_60segmented_radix_sort_warp_sort_medium_config_static_selectorELNS0_4arch9wavefront6targetE1EEEvSK_.kd
    .uniform_work_group_size: 1
    .uses_dynamic_stack: false
    .vgpr_count:     0
    .vgpr_spill_count: 0
    .wavefront_size: 64
  - .args:
      - .offset:         0
        .size:           88
        .value_kind:     by_value
    .group_segment_fixed_size: 0
    .kernarg_segment_align: 8
    .kernarg_segment_size: 88
    .language:       OpenCL C
    .language_version:
      - 2
      - 0
    .max_flat_workgroup_size: 256
    .name:           _ZN7rocprim17ROCPRIM_400000_NS6detail17trampoline_kernelINS0_14default_configENS1_36segmented_radix_sort_config_selectorIblEEZNS1_25segmented_radix_sort_implIS3_Lb1EPKbPbPKlPlN2at6native12_GLOBAL__N_18offset_tEEE10hipError_tPvRmT1_PNSt15iterator_traitsISK_E10value_typeET2_T3_PNSL_ISQ_E10value_typeET4_jRbjT5_SW_jjP12ihipStream_tbEUlT_E0_NS1_11comp_targetILNS1_3genE9ELNS1_11target_archE1100ELNS1_3gpuE3ELNS1_3repE0EEENS1_60segmented_radix_sort_warp_sort_medium_config_static_selectorELNS0_4arch9wavefront6targetE1EEEvSK_
    .private_segment_fixed_size: 0
    .sgpr_count:     4
    .sgpr_spill_count: 0
    .symbol:         _ZN7rocprim17ROCPRIM_400000_NS6detail17trampoline_kernelINS0_14default_configENS1_36segmented_radix_sort_config_selectorIblEEZNS1_25segmented_radix_sort_implIS3_Lb1EPKbPbPKlPlN2at6native12_GLOBAL__N_18offset_tEEE10hipError_tPvRmT1_PNSt15iterator_traitsISK_E10value_typeET2_T3_PNSL_ISQ_E10value_typeET4_jRbjT5_SW_jjP12ihipStream_tbEUlT_E0_NS1_11comp_targetILNS1_3genE9ELNS1_11target_archE1100ELNS1_3gpuE3ELNS1_3repE0EEENS1_60segmented_radix_sort_warp_sort_medium_config_static_selectorELNS0_4arch9wavefront6targetE1EEEvSK_.kd
    .uniform_work_group_size: 1
    .uses_dynamic_stack: false
    .vgpr_count:     0
    .vgpr_spill_count: 0
    .wavefront_size: 64
  - .args:
      - .offset:         0
        .size:           88
        .value_kind:     by_value
    .group_segment_fixed_size: 0
    .kernarg_segment_align: 8
    .kernarg_segment_size: 88
    .language:       OpenCL C
    .language_version:
      - 2
      - 0
    .max_flat_workgroup_size: 256
    .name:           _ZN7rocprim17ROCPRIM_400000_NS6detail17trampoline_kernelINS0_14default_configENS1_36segmented_radix_sort_config_selectorIblEEZNS1_25segmented_radix_sort_implIS3_Lb1EPKbPbPKlPlN2at6native12_GLOBAL__N_18offset_tEEE10hipError_tPvRmT1_PNSt15iterator_traitsISK_E10value_typeET2_T3_PNSL_ISQ_E10value_typeET4_jRbjT5_SW_jjP12ihipStream_tbEUlT_E0_NS1_11comp_targetILNS1_3genE8ELNS1_11target_archE1030ELNS1_3gpuE2ELNS1_3repE0EEENS1_60segmented_radix_sort_warp_sort_medium_config_static_selectorELNS0_4arch9wavefront6targetE1EEEvSK_
    .private_segment_fixed_size: 0
    .sgpr_count:     4
    .sgpr_spill_count: 0
    .symbol:         _ZN7rocprim17ROCPRIM_400000_NS6detail17trampoline_kernelINS0_14default_configENS1_36segmented_radix_sort_config_selectorIblEEZNS1_25segmented_radix_sort_implIS3_Lb1EPKbPbPKlPlN2at6native12_GLOBAL__N_18offset_tEEE10hipError_tPvRmT1_PNSt15iterator_traitsISK_E10value_typeET2_T3_PNSL_ISQ_E10value_typeET4_jRbjT5_SW_jjP12ihipStream_tbEUlT_E0_NS1_11comp_targetILNS1_3genE8ELNS1_11target_archE1030ELNS1_3gpuE2ELNS1_3repE0EEENS1_60segmented_radix_sort_warp_sort_medium_config_static_selectorELNS0_4arch9wavefront6targetE1EEEvSK_.kd
    .uniform_work_group_size: 1
    .uses_dynamic_stack: false
    .vgpr_count:     0
    .vgpr_spill_count: 0
    .wavefront_size: 64
  - .args:
      - .offset:         0
        .size:           88
        .value_kind:     by_value
    .group_segment_fixed_size: 0
    .kernarg_segment_align: 8
    .kernarg_segment_size: 88
    .language:       OpenCL C
    .language_version:
      - 2
      - 0
    .max_flat_workgroup_size: 256
    .name:           _ZN7rocprim17ROCPRIM_400000_NS6detail17trampoline_kernelINS0_14default_configENS1_36segmented_radix_sort_config_selectorIblEEZNS1_25segmented_radix_sort_implIS3_Lb1EPKbPbPKlPlN2at6native12_GLOBAL__N_18offset_tEEE10hipError_tPvRmT1_PNSt15iterator_traitsISK_E10value_typeET2_T3_PNSL_ISQ_E10value_typeET4_jRbjT5_SW_jjP12ihipStream_tbEUlT_E1_NS1_11comp_targetILNS1_3genE0ELNS1_11target_archE4294967295ELNS1_3gpuE0ELNS1_3repE0EEENS1_59segmented_radix_sort_warp_sort_small_config_static_selectorELNS0_4arch9wavefront6targetE1EEEvSK_
    .private_segment_fixed_size: 0
    .sgpr_count:     4
    .sgpr_spill_count: 0
    .symbol:         _ZN7rocprim17ROCPRIM_400000_NS6detail17trampoline_kernelINS0_14default_configENS1_36segmented_radix_sort_config_selectorIblEEZNS1_25segmented_radix_sort_implIS3_Lb1EPKbPbPKlPlN2at6native12_GLOBAL__N_18offset_tEEE10hipError_tPvRmT1_PNSt15iterator_traitsISK_E10value_typeET2_T3_PNSL_ISQ_E10value_typeET4_jRbjT5_SW_jjP12ihipStream_tbEUlT_E1_NS1_11comp_targetILNS1_3genE0ELNS1_11target_archE4294967295ELNS1_3gpuE0ELNS1_3repE0EEENS1_59segmented_radix_sort_warp_sort_small_config_static_selectorELNS0_4arch9wavefront6targetE1EEEvSK_.kd
    .uniform_work_group_size: 1
    .uses_dynamic_stack: false
    .vgpr_count:     0
    .vgpr_spill_count: 0
    .wavefront_size: 64
  - .args:
      - .offset:         0
        .size:           88
        .value_kind:     by_value
    .group_segment_fixed_size: 0
    .kernarg_segment_align: 8
    .kernarg_segment_size: 88
    .language:       OpenCL C
    .language_version:
      - 2
      - 0
    .max_flat_workgroup_size: 256
    .name:           _ZN7rocprim17ROCPRIM_400000_NS6detail17trampoline_kernelINS0_14default_configENS1_36segmented_radix_sort_config_selectorIblEEZNS1_25segmented_radix_sort_implIS3_Lb1EPKbPbPKlPlN2at6native12_GLOBAL__N_18offset_tEEE10hipError_tPvRmT1_PNSt15iterator_traitsISK_E10value_typeET2_T3_PNSL_ISQ_E10value_typeET4_jRbjT5_SW_jjP12ihipStream_tbEUlT_E1_NS1_11comp_targetILNS1_3genE5ELNS1_11target_archE942ELNS1_3gpuE9ELNS1_3repE0EEENS1_59segmented_radix_sort_warp_sort_small_config_static_selectorELNS0_4arch9wavefront6targetE1EEEvSK_
    .private_segment_fixed_size: 0
    .sgpr_count:     4
    .sgpr_spill_count: 0
    .symbol:         _ZN7rocprim17ROCPRIM_400000_NS6detail17trampoline_kernelINS0_14default_configENS1_36segmented_radix_sort_config_selectorIblEEZNS1_25segmented_radix_sort_implIS3_Lb1EPKbPbPKlPlN2at6native12_GLOBAL__N_18offset_tEEE10hipError_tPvRmT1_PNSt15iterator_traitsISK_E10value_typeET2_T3_PNSL_ISQ_E10value_typeET4_jRbjT5_SW_jjP12ihipStream_tbEUlT_E1_NS1_11comp_targetILNS1_3genE5ELNS1_11target_archE942ELNS1_3gpuE9ELNS1_3repE0EEENS1_59segmented_radix_sort_warp_sort_small_config_static_selectorELNS0_4arch9wavefront6targetE1EEEvSK_.kd
    .uniform_work_group_size: 1
    .uses_dynamic_stack: false
    .vgpr_count:     0
    .vgpr_spill_count: 0
    .wavefront_size: 64
  - .args:
      - .offset:         0
        .size:           88
        .value_kind:     by_value
    .group_segment_fixed_size: 0
    .kernarg_segment_align: 8
    .kernarg_segment_size: 88
    .language:       OpenCL C
    .language_version:
      - 2
      - 0
    .max_flat_workgroup_size: 256
    .name:           _ZN7rocprim17ROCPRIM_400000_NS6detail17trampoline_kernelINS0_14default_configENS1_36segmented_radix_sort_config_selectorIblEEZNS1_25segmented_radix_sort_implIS3_Lb1EPKbPbPKlPlN2at6native12_GLOBAL__N_18offset_tEEE10hipError_tPvRmT1_PNSt15iterator_traitsISK_E10value_typeET2_T3_PNSL_ISQ_E10value_typeET4_jRbjT5_SW_jjP12ihipStream_tbEUlT_E1_NS1_11comp_targetILNS1_3genE4ELNS1_11target_archE910ELNS1_3gpuE8ELNS1_3repE0EEENS1_59segmented_radix_sort_warp_sort_small_config_static_selectorELNS0_4arch9wavefront6targetE1EEEvSK_
    .private_segment_fixed_size: 0
    .sgpr_count:     4
    .sgpr_spill_count: 0
    .symbol:         _ZN7rocprim17ROCPRIM_400000_NS6detail17trampoline_kernelINS0_14default_configENS1_36segmented_radix_sort_config_selectorIblEEZNS1_25segmented_radix_sort_implIS3_Lb1EPKbPbPKlPlN2at6native12_GLOBAL__N_18offset_tEEE10hipError_tPvRmT1_PNSt15iterator_traitsISK_E10value_typeET2_T3_PNSL_ISQ_E10value_typeET4_jRbjT5_SW_jjP12ihipStream_tbEUlT_E1_NS1_11comp_targetILNS1_3genE4ELNS1_11target_archE910ELNS1_3gpuE8ELNS1_3repE0EEENS1_59segmented_radix_sort_warp_sort_small_config_static_selectorELNS0_4arch9wavefront6targetE1EEEvSK_.kd
    .uniform_work_group_size: 1
    .uses_dynamic_stack: false
    .vgpr_count:     0
    .vgpr_spill_count: 0
    .wavefront_size: 64
  - .args:
      - .offset:         0
        .size:           88
        .value_kind:     by_value
    .group_segment_fixed_size: 0
    .kernarg_segment_align: 8
    .kernarg_segment_size: 88
    .language:       OpenCL C
    .language_version:
      - 2
      - 0
    .max_flat_workgroup_size: 256
    .name:           _ZN7rocprim17ROCPRIM_400000_NS6detail17trampoline_kernelINS0_14default_configENS1_36segmented_radix_sort_config_selectorIblEEZNS1_25segmented_radix_sort_implIS3_Lb1EPKbPbPKlPlN2at6native12_GLOBAL__N_18offset_tEEE10hipError_tPvRmT1_PNSt15iterator_traitsISK_E10value_typeET2_T3_PNSL_ISQ_E10value_typeET4_jRbjT5_SW_jjP12ihipStream_tbEUlT_E1_NS1_11comp_targetILNS1_3genE3ELNS1_11target_archE908ELNS1_3gpuE7ELNS1_3repE0EEENS1_59segmented_radix_sort_warp_sort_small_config_static_selectorELNS0_4arch9wavefront6targetE1EEEvSK_
    .private_segment_fixed_size: 0
    .sgpr_count:     4
    .sgpr_spill_count: 0
    .symbol:         _ZN7rocprim17ROCPRIM_400000_NS6detail17trampoline_kernelINS0_14default_configENS1_36segmented_radix_sort_config_selectorIblEEZNS1_25segmented_radix_sort_implIS3_Lb1EPKbPbPKlPlN2at6native12_GLOBAL__N_18offset_tEEE10hipError_tPvRmT1_PNSt15iterator_traitsISK_E10value_typeET2_T3_PNSL_ISQ_E10value_typeET4_jRbjT5_SW_jjP12ihipStream_tbEUlT_E1_NS1_11comp_targetILNS1_3genE3ELNS1_11target_archE908ELNS1_3gpuE7ELNS1_3repE0EEENS1_59segmented_radix_sort_warp_sort_small_config_static_selectorELNS0_4arch9wavefront6targetE1EEEvSK_.kd
    .uniform_work_group_size: 1
    .uses_dynamic_stack: false
    .vgpr_count:     0
    .vgpr_spill_count: 0
    .wavefront_size: 64
  - .args:
      - .offset:         0
        .size:           88
        .value_kind:     by_value
      - .offset:         88
        .size:           4
        .value_kind:     hidden_block_count_x
      - .offset:         92
        .size:           4
        .value_kind:     hidden_block_count_y
      - .offset:         96
        .size:           4
        .value_kind:     hidden_block_count_z
      - .offset:         100
        .size:           2
        .value_kind:     hidden_group_size_x
      - .offset:         102
        .size:           2
        .value_kind:     hidden_group_size_y
      - .offset:         104
        .size:           2
        .value_kind:     hidden_group_size_z
      - .offset:         106
        .size:           2
        .value_kind:     hidden_remainder_x
      - .offset:         108
        .size:           2
        .value_kind:     hidden_remainder_y
      - .offset:         110
        .size:           2
        .value_kind:     hidden_remainder_z
      - .offset:         128
        .size:           8
        .value_kind:     hidden_global_offset_x
      - .offset:         136
        .size:           8
        .value_kind:     hidden_global_offset_y
      - .offset:         144
        .size:           8
        .value_kind:     hidden_global_offset_z
      - .offset:         152
        .size:           2
        .value_kind:     hidden_grid_dims
    .group_segment_fixed_size: 9216
    .kernarg_segment_align: 8
    .kernarg_segment_size: 344
    .language:       OpenCL C
    .language_version:
      - 2
      - 0
    .max_flat_workgroup_size: 256
    .name:           _ZN7rocprim17ROCPRIM_400000_NS6detail17trampoline_kernelINS0_14default_configENS1_36segmented_radix_sort_config_selectorIblEEZNS1_25segmented_radix_sort_implIS3_Lb1EPKbPbPKlPlN2at6native12_GLOBAL__N_18offset_tEEE10hipError_tPvRmT1_PNSt15iterator_traitsISK_E10value_typeET2_T3_PNSL_ISQ_E10value_typeET4_jRbjT5_SW_jjP12ihipStream_tbEUlT_E1_NS1_11comp_targetILNS1_3genE2ELNS1_11target_archE906ELNS1_3gpuE6ELNS1_3repE0EEENS1_59segmented_radix_sort_warp_sort_small_config_static_selectorELNS0_4arch9wavefront6targetE1EEEvSK_
    .private_segment_fixed_size: 12
    .sgpr_count:     52
    .sgpr_spill_count: 0
    .symbol:         _ZN7rocprim17ROCPRIM_400000_NS6detail17trampoline_kernelINS0_14default_configENS1_36segmented_radix_sort_config_selectorIblEEZNS1_25segmented_radix_sort_implIS3_Lb1EPKbPbPKlPlN2at6native12_GLOBAL__N_18offset_tEEE10hipError_tPvRmT1_PNSt15iterator_traitsISK_E10value_typeET2_T3_PNSL_ISQ_E10value_typeET4_jRbjT5_SW_jjP12ihipStream_tbEUlT_E1_NS1_11comp_targetILNS1_3genE2ELNS1_11target_archE906ELNS1_3gpuE6ELNS1_3repE0EEENS1_59segmented_radix_sort_warp_sort_small_config_static_selectorELNS0_4arch9wavefront6targetE1EEEvSK_.kd
    .uniform_work_group_size: 1
    .uses_dynamic_stack: false
    .vgpr_count:     54
    .vgpr_spill_count: 0
    .wavefront_size: 64
  - .args:
      - .offset:         0
        .size:           88
        .value_kind:     by_value
    .group_segment_fixed_size: 0
    .kernarg_segment_align: 8
    .kernarg_segment_size: 88
    .language:       OpenCL C
    .language_version:
      - 2
      - 0
    .max_flat_workgroup_size: 256
    .name:           _ZN7rocprim17ROCPRIM_400000_NS6detail17trampoline_kernelINS0_14default_configENS1_36segmented_radix_sort_config_selectorIblEEZNS1_25segmented_radix_sort_implIS3_Lb1EPKbPbPKlPlN2at6native12_GLOBAL__N_18offset_tEEE10hipError_tPvRmT1_PNSt15iterator_traitsISK_E10value_typeET2_T3_PNSL_ISQ_E10value_typeET4_jRbjT5_SW_jjP12ihipStream_tbEUlT_E1_NS1_11comp_targetILNS1_3genE10ELNS1_11target_archE1201ELNS1_3gpuE5ELNS1_3repE0EEENS1_59segmented_radix_sort_warp_sort_small_config_static_selectorELNS0_4arch9wavefront6targetE1EEEvSK_
    .private_segment_fixed_size: 0
    .sgpr_count:     4
    .sgpr_spill_count: 0
    .symbol:         _ZN7rocprim17ROCPRIM_400000_NS6detail17trampoline_kernelINS0_14default_configENS1_36segmented_radix_sort_config_selectorIblEEZNS1_25segmented_radix_sort_implIS3_Lb1EPKbPbPKlPlN2at6native12_GLOBAL__N_18offset_tEEE10hipError_tPvRmT1_PNSt15iterator_traitsISK_E10value_typeET2_T3_PNSL_ISQ_E10value_typeET4_jRbjT5_SW_jjP12ihipStream_tbEUlT_E1_NS1_11comp_targetILNS1_3genE10ELNS1_11target_archE1201ELNS1_3gpuE5ELNS1_3repE0EEENS1_59segmented_radix_sort_warp_sort_small_config_static_selectorELNS0_4arch9wavefront6targetE1EEEvSK_.kd
    .uniform_work_group_size: 1
    .uses_dynamic_stack: false
    .vgpr_count:     0
    .vgpr_spill_count: 0
    .wavefront_size: 64
  - .args:
      - .offset:         0
        .size:           88
        .value_kind:     by_value
    .group_segment_fixed_size: 0
    .kernarg_segment_align: 8
    .kernarg_segment_size: 88
    .language:       OpenCL C
    .language_version:
      - 2
      - 0
    .max_flat_workgroup_size: 256
    .name:           _ZN7rocprim17ROCPRIM_400000_NS6detail17trampoline_kernelINS0_14default_configENS1_36segmented_radix_sort_config_selectorIblEEZNS1_25segmented_radix_sort_implIS3_Lb1EPKbPbPKlPlN2at6native12_GLOBAL__N_18offset_tEEE10hipError_tPvRmT1_PNSt15iterator_traitsISK_E10value_typeET2_T3_PNSL_ISQ_E10value_typeET4_jRbjT5_SW_jjP12ihipStream_tbEUlT_E1_NS1_11comp_targetILNS1_3genE10ELNS1_11target_archE1200ELNS1_3gpuE4ELNS1_3repE0EEENS1_59segmented_radix_sort_warp_sort_small_config_static_selectorELNS0_4arch9wavefront6targetE1EEEvSK_
    .private_segment_fixed_size: 0
    .sgpr_count:     4
    .sgpr_spill_count: 0
    .symbol:         _ZN7rocprim17ROCPRIM_400000_NS6detail17trampoline_kernelINS0_14default_configENS1_36segmented_radix_sort_config_selectorIblEEZNS1_25segmented_radix_sort_implIS3_Lb1EPKbPbPKlPlN2at6native12_GLOBAL__N_18offset_tEEE10hipError_tPvRmT1_PNSt15iterator_traitsISK_E10value_typeET2_T3_PNSL_ISQ_E10value_typeET4_jRbjT5_SW_jjP12ihipStream_tbEUlT_E1_NS1_11comp_targetILNS1_3genE10ELNS1_11target_archE1200ELNS1_3gpuE4ELNS1_3repE0EEENS1_59segmented_radix_sort_warp_sort_small_config_static_selectorELNS0_4arch9wavefront6targetE1EEEvSK_.kd
    .uniform_work_group_size: 1
    .uses_dynamic_stack: false
    .vgpr_count:     0
    .vgpr_spill_count: 0
    .wavefront_size: 64
  - .args:
      - .offset:         0
        .size:           88
        .value_kind:     by_value
    .group_segment_fixed_size: 0
    .kernarg_segment_align: 8
    .kernarg_segment_size: 88
    .language:       OpenCL C
    .language_version:
      - 2
      - 0
    .max_flat_workgroup_size: 256
    .name:           _ZN7rocprim17ROCPRIM_400000_NS6detail17trampoline_kernelINS0_14default_configENS1_36segmented_radix_sort_config_selectorIblEEZNS1_25segmented_radix_sort_implIS3_Lb1EPKbPbPKlPlN2at6native12_GLOBAL__N_18offset_tEEE10hipError_tPvRmT1_PNSt15iterator_traitsISK_E10value_typeET2_T3_PNSL_ISQ_E10value_typeET4_jRbjT5_SW_jjP12ihipStream_tbEUlT_E1_NS1_11comp_targetILNS1_3genE9ELNS1_11target_archE1100ELNS1_3gpuE3ELNS1_3repE0EEENS1_59segmented_radix_sort_warp_sort_small_config_static_selectorELNS0_4arch9wavefront6targetE1EEEvSK_
    .private_segment_fixed_size: 0
    .sgpr_count:     4
    .sgpr_spill_count: 0
    .symbol:         _ZN7rocprim17ROCPRIM_400000_NS6detail17trampoline_kernelINS0_14default_configENS1_36segmented_radix_sort_config_selectorIblEEZNS1_25segmented_radix_sort_implIS3_Lb1EPKbPbPKlPlN2at6native12_GLOBAL__N_18offset_tEEE10hipError_tPvRmT1_PNSt15iterator_traitsISK_E10value_typeET2_T3_PNSL_ISQ_E10value_typeET4_jRbjT5_SW_jjP12ihipStream_tbEUlT_E1_NS1_11comp_targetILNS1_3genE9ELNS1_11target_archE1100ELNS1_3gpuE3ELNS1_3repE0EEENS1_59segmented_radix_sort_warp_sort_small_config_static_selectorELNS0_4arch9wavefront6targetE1EEEvSK_.kd
    .uniform_work_group_size: 1
    .uses_dynamic_stack: false
    .vgpr_count:     0
    .vgpr_spill_count: 0
    .wavefront_size: 64
  - .args:
      - .offset:         0
        .size:           88
        .value_kind:     by_value
    .group_segment_fixed_size: 0
    .kernarg_segment_align: 8
    .kernarg_segment_size: 88
    .language:       OpenCL C
    .language_version:
      - 2
      - 0
    .max_flat_workgroup_size: 256
    .name:           _ZN7rocprim17ROCPRIM_400000_NS6detail17trampoline_kernelINS0_14default_configENS1_36segmented_radix_sort_config_selectorIblEEZNS1_25segmented_radix_sort_implIS3_Lb1EPKbPbPKlPlN2at6native12_GLOBAL__N_18offset_tEEE10hipError_tPvRmT1_PNSt15iterator_traitsISK_E10value_typeET2_T3_PNSL_ISQ_E10value_typeET4_jRbjT5_SW_jjP12ihipStream_tbEUlT_E1_NS1_11comp_targetILNS1_3genE8ELNS1_11target_archE1030ELNS1_3gpuE2ELNS1_3repE0EEENS1_59segmented_radix_sort_warp_sort_small_config_static_selectorELNS0_4arch9wavefront6targetE1EEEvSK_
    .private_segment_fixed_size: 0
    .sgpr_count:     4
    .sgpr_spill_count: 0
    .symbol:         _ZN7rocprim17ROCPRIM_400000_NS6detail17trampoline_kernelINS0_14default_configENS1_36segmented_radix_sort_config_selectorIblEEZNS1_25segmented_radix_sort_implIS3_Lb1EPKbPbPKlPlN2at6native12_GLOBAL__N_18offset_tEEE10hipError_tPvRmT1_PNSt15iterator_traitsISK_E10value_typeET2_T3_PNSL_ISQ_E10value_typeET4_jRbjT5_SW_jjP12ihipStream_tbEUlT_E1_NS1_11comp_targetILNS1_3genE8ELNS1_11target_archE1030ELNS1_3gpuE2ELNS1_3repE0EEENS1_59segmented_radix_sort_warp_sort_small_config_static_selectorELNS0_4arch9wavefront6targetE1EEEvSK_.kd
    .uniform_work_group_size: 1
    .uses_dynamic_stack: false
    .vgpr_count:     0
    .vgpr_spill_count: 0
    .wavefront_size: 64
  - .args:
      - .offset:         0
        .size:           80
        .value_kind:     by_value
    .group_segment_fixed_size: 0
    .kernarg_segment_align: 8
    .kernarg_segment_size: 80
    .language:       OpenCL C
    .language_version:
      - 2
      - 0
    .max_flat_workgroup_size: 256
    .name:           _ZN7rocprim17ROCPRIM_400000_NS6detail17trampoline_kernelINS0_14default_configENS1_36segmented_radix_sort_config_selectorIblEEZNS1_25segmented_radix_sort_implIS3_Lb1EPKbPbPKlPlN2at6native12_GLOBAL__N_18offset_tEEE10hipError_tPvRmT1_PNSt15iterator_traitsISK_E10value_typeET2_T3_PNSL_ISQ_E10value_typeET4_jRbjT5_SW_jjP12ihipStream_tbEUlT_E2_NS1_11comp_targetILNS1_3genE0ELNS1_11target_archE4294967295ELNS1_3gpuE0ELNS1_3repE0EEENS1_30default_config_static_selectorELNS0_4arch9wavefront6targetE1EEEvSK_
    .private_segment_fixed_size: 0
    .sgpr_count:     4
    .sgpr_spill_count: 0
    .symbol:         _ZN7rocprim17ROCPRIM_400000_NS6detail17trampoline_kernelINS0_14default_configENS1_36segmented_radix_sort_config_selectorIblEEZNS1_25segmented_radix_sort_implIS3_Lb1EPKbPbPKlPlN2at6native12_GLOBAL__N_18offset_tEEE10hipError_tPvRmT1_PNSt15iterator_traitsISK_E10value_typeET2_T3_PNSL_ISQ_E10value_typeET4_jRbjT5_SW_jjP12ihipStream_tbEUlT_E2_NS1_11comp_targetILNS1_3genE0ELNS1_11target_archE4294967295ELNS1_3gpuE0ELNS1_3repE0EEENS1_30default_config_static_selectorELNS0_4arch9wavefront6targetE1EEEvSK_.kd
    .uniform_work_group_size: 1
    .uses_dynamic_stack: false
    .vgpr_count:     0
    .vgpr_spill_count: 0
    .wavefront_size: 64
  - .args:
      - .offset:         0
        .size:           80
        .value_kind:     by_value
    .group_segment_fixed_size: 0
    .kernarg_segment_align: 8
    .kernarg_segment_size: 80
    .language:       OpenCL C
    .language_version:
      - 2
      - 0
    .max_flat_workgroup_size: 256
    .name:           _ZN7rocprim17ROCPRIM_400000_NS6detail17trampoline_kernelINS0_14default_configENS1_36segmented_radix_sort_config_selectorIblEEZNS1_25segmented_radix_sort_implIS3_Lb1EPKbPbPKlPlN2at6native12_GLOBAL__N_18offset_tEEE10hipError_tPvRmT1_PNSt15iterator_traitsISK_E10value_typeET2_T3_PNSL_ISQ_E10value_typeET4_jRbjT5_SW_jjP12ihipStream_tbEUlT_E2_NS1_11comp_targetILNS1_3genE5ELNS1_11target_archE942ELNS1_3gpuE9ELNS1_3repE0EEENS1_30default_config_static_selectorELNS0_4arch9wavefront6targetE1EEEvSK_
    .private_segment_fixed_size: 0
    .sgpr_count:     4
    .sgpr_spill_count: 0
    .symbol:         _ZN7rocprim17ROCPRIM_400000_NS6detail17trampoline_kernelINS0_14default_configENS1_36segmented_radix_sort_config_selectorIblEEZNS1_25segmented_radix_sort_implIS3_Lb1EPKbPbPKlPlN2at6native12_GLOBAL__N_18offset_tEEE10hipError_tPvRmT1_PNSt15iterator_traitsISK_E10value_typeET2_T3_PNSL_ISQ_E10value_typeET4_jRbjT5_SW_jjP12ihipStream_tbEUlT_E2_NS1_11comp_targetILNS1_3genE5ELNS1_11target_archE942ELNS1_3gpuE9ELNS1_3repE0EEENS1_30default_config_static_selectorELNS0_4arch9wavefront6targetE1EEEvSK_.kd
    .uniform_work_group_size: 1
    .uses_dynamic_stack: false
    .vgpr_count:     0
    .vgpr_spill_count: 0
    .wavefront_size: 64
  - .args:
      - .offset:         0
        .size:           80
        .value_kind:     by_value
    .group_segment_fixed_size: 0
    .kernarg_segment_align: 8
    .kernarg_segment_size: 80
    .language:       OpenCL C
    .language_version:
      - 2
      - 0
    .max_flat_workgroup_size: 256
    .name:           _ZN7rocprim17ROCPRIM_400000_NS6detail17trampoline_kernelINS0_14default_configENS1_36segmented_radix_sort_config_selectorIblEEZNS1_25segmented_radix_sort_implIS3_Lb1EPKbPbPKlPlN2at6native12_GLOBAL__N_18offset_tEEE10hipError_tPvRmT1_PNSt15iterator_traitsISK_E10value_typeET2_T3_PNSL_ISQ_E10value_typeET4_jRbjT5_SW_jjP12ihipStream_tbEUlT_E2_NS1_11comp_targetILNS1_3genE4ELNS1_11target_archE910ELNS1_3gpuE8ELNS1_3repE0EEENS1_30default_config_static_selectorELNS0_4arch9wavefront6targetE1EEEvSK_
    .private_segment_fixed_size: 0
    .sgpr_count:     4
    .sgpr_spill_count: 0
    .symbol:         _ZN7rocprim17ROCPRIM_400000_NS6detail17trampoline_kernelINS0_14default_configENS1_36segmented_radix_sort_config_selectorIblEEZNS1_25segmented_radix_sort_implIS3_Lb1EPKbPbPKlPlN2at6native12_GLOBAL__N_18offset_tEEE10hipError_tPvRmT1_PNSt15iterator_traitsISK_E10value_typeET2_T3_PNSL_ISQ_E10value_typeET4_jRbjT5_SW_jjP12ihipStream_tbEUlT_E2_NS1_11comp_targetILNS1_3genE4ELNS1_11target_archE910ELNS1_3gpuE8ELNS1_3repE0EEENS1_30default_config_static_selectorELNS0_4arch9wavefront6targetE1EEEvSK_.kd
    .uniform_work_group_size: 1
    .uses_dynamic_stack: false
    .vgpr_count:     0
    .vgpr_spill_count: 0
    .wavefront_size: 64
  - .args:
      - .offset:         0
        .size:           80
        .value_kind:     by_value
    .group_segment_fixed_size: 0
    .kernarg_segment_align: 8
    .kernarg_segment_size: 80
    .language:       OpenCL C
    .language_version:
      - 2
      - 0
    .max_flat_workgroup_size: 256
    .name:           _ZN7rocprim17ROCPRIM_400000_NS6detail17trampoline_kernelINS0_14default_configENS1_36segmented_radix_sort_config_selectorIblEEZNS1_25segmented_radix_sort_implIS3_Lb1EPKbPbPKlPlN2at6native12_GLOBAL__N_18offset_tEEE10hipError_tPvRmT1_PNSt15iterator_traitsISK_E10value_typeET2_T3_PNSL_ISQ_E10value_typeET4_jRbjT5_SW_jjP12ihipStream_tbEUlT_E2_NS1_11comp_targetILNS1_3genE3ELNS1_11target_archE908ELNS1_3gpuE7ELNS1_3repE0EEENS1_30default_config_static_selectorELNS0_4arch9wavefront6targetE1EEEvSK_
    .private_segment_fixed_size: 0
    .sgpr_count:     4
    .sgpr_spill_count: 0
    .symbol:         _ZN7rocprim17ROCPRIM_400000_NS6detail17trampoline_kernelINS0_14default_configENS1_36segmented_radix_sort_config_selectorIblEEZNS1_25segmented_radix_sort_implIS3_Lb1EPKbPbPKlPlN2at6native12_GLOBAL__N_18offset_tEEE10hipError_tPvRmT1_PNSt15iterator_traitsISK_E10value_typeET2_T3_PNSL_ISQ_E10value_typeET4_jRbjT5_SW_jjP12ihipStream_tbEUlT_E2_NS1_11comp_targetILNS1_3genE3ELNS1_11target_archE908ELNS1_3gpuE7ELNS1_3repE0EEENS1_30default_config_static_selectorELNS0_4arch9wavefront6targetE1EEEvSK_.kd
    .uniform_work_group_size: 1
    .uses_dynamic_stack: false
    .vgpr_count:     0
    .vgpr_spill_count: 0
    .wavefront_size: 64
  - .args:
      - .offset:         0
        .size:           80
        .value_kind:     by_value
      - .offset:         80
        .size:           4
        .value_kind:     hidden_block_count_x
      - .offset:         84
        .size:           4
        .value_kind:     hidden_block_count_y
      - .offset:         88
        .size:           4
        .value_kind:     hidden_block_count_z
      - .offset:         92
        .size:           2
        .value_kind:     hidden_group_size_x
      - .offset:         94
        .size:           2
        .value_kind:     hidden_group_size_y
      - .offset:         96
        .size:           2
        .value_kind:     hidden_group_size_z
      - .offset:         98
        .size:           2
        .value_kind:     hidden_remainder_x
      - .offset:         100
        .size:           2
        .value_kind:     hidden_remainder_y
      - .offset:         102
        .size:           2
        .value_kind:     hidden_remainder_z
      - .offset:         120
        .size:           8
        .value_kind:     hidden_global_offset_x
      - .offset:         128
        .size:           8
        .value_kind:     hidden_global_offset_y
      - .offset:         136
        .size:           8
        .value_kind:     hidden_global_offset_z
      - .offset:         144
        .size:           2
        .value_kind:     hidden_grid_dims
    .group_segment_fixed_size: 9232
    .kernarg_segment_align: 8
    .kernarg_segment_size: 336
    .language:       OpenCL C
    .language_version:
      - 2
      - 0
    .max_flat_workgroup_size: 256
    .name:           _ZN7rocprim17ROCPRIM_400000_NS6detail17trampoline_kernelINS0_14default_configENS1_36segmented_radix_sort_config_selectorIblEEZNS1_25segmented_radix_sort_implIS3_Lb1EPKbPbPKlPlN2at6native12_GLOBAL__N_18offset_tEEE10hipError_tPvRmT1_PNSt15iterator_traitsISK_E10value_typeET2_T3_PNSL_ISQ_E10value_typeET4_jRbjT5_SW_jjP12ihipStream_tbEUlT_E2_NS1_11comp_targetILNS1_3genE2ELNS1_11target_archE906ELNS1_3gpuE6ELNS1_3repE0EEENS1_30default_config_static_selectorELNS0_4arch9wavefront6targetE1EEEvSK_
    .private_segment_fixed_size: 12
    .sgpr_count:     81
    .sgpr_spill_count: 0
    .symbol:         _ZN7rocprim17ROCPRIM_400000_NS6detail17trampoline_kernelINS0_14default_configENS1_36segmented_radix_sort_config_selectorIblEEZNS1_25segmented_radix_sort_implIS3_Lb1EPKbPbPKlPlN2at6native12_GLOBAL__N_18offset_tEEE10hipError_tPvRmT1_PNSt15iterator_traitsISK_E10value_typeET2_T3_PNSL_ISQ_E10value_typeET4_jRbjT5_SW_jjP12ihipStream_tbEUlT_E2_NS1_11comp_targetILNS1_3genE2ELNS1_11target_archE906ELNS1_3gpuE6ELNS1_3repE0EEENS1_30default_config_static_selectorELNS0_4arch9wavefront6targetE1EEEvSK_.kd
    .uniform_work_group_size: 1
    .uses_dynamic_stack: false
    .vgpr_count:     97
    .vgpr_spill_count: 0
    .wavefront_size: 64
  - .args:
      - .offset:         0
        .size:           80
        .value_kind:     by_value
    .group_segment_fixed_size: 0
    .kernarg_segment_align: 8
    .kernarg_segment_size: 80
    .language:       OpenCL C
    .language_version:
      - 2
      - 0
    .max_flat_workgroup_size: 256
    .name:           _ZN7rocprim17ROCPRIM_400000_NS6detail17trampoline_kernelINS0_14default_configENS1_36segmented_radix_sort_config_selectorIblEEZNS1_25segmented_radix_sort_implIS3_Lb1EPKbPbPKlPlN2at6native12_GLOBAL__N_18offset_tEEE10hipError_tPvRmT1_PNSt15iterator_traitsISK_E10value_typeET2_T3_PNSL_ISQ_E10value_typeET4_jRbjT5_SW_jjP12ihipStream_tbEUlT_E2_NS1_11comp_targetILNS1_3genE10ELNS1_11target_archE1201ELNS1_3gpuE5ELNS1_3repE0EEENS1_30default_config_static_selectorELNS0_4arch9wavefront6targetE1EEEvSK_
    .private_segment_fixed_size: 0
    .sgpr_count:     4
    .sgpr_spill_count: 0
    .symbol:         _ZN7rocprim17ROCPRIM_400000_NS6detail17trampoline_kernelINS0_14default_configENS1_36segmented_radix_sort_config_selectorIblEEZNS1_25segmented_radix_sort_implIS3_Lb1EPKbPbPKlPlN2at6native12_GLOBAL__N_18offset_tEEE10hipError_tPvRmT1_PNSt15iterator_traitsISK_E10value_typeET2_T3_PNSL_ISQ_E10value_typeET4_jRbjT5_SW_jjP12ihipStream_tbEUlT_E2_NS1_11comp_targetILNS1_3genE10ELNS1_11target_archE1201ELNS1_3gpuE5ELNS1_3repE0EEENS1_30default_config_static_selectorELNS0_4arch9wavefront6targetE1EEEvSK_.kd
    .uniform_work_group_size: 1
    .uses_dynamic_stack: false
    .vgpr_count:     0
    .vgpr_spill_count: 0
    .wavefront_size: 64
  - .args:
      - .offset:         0
        .size:           80
        .value_kind:     by_value
    .group_segment_fixed_size: 0
    .kernarg_segment_align: 8
    .kernarg_segment_size: 80
    .language:       OpenCL C
    .language_version:
      - 2
      - 0
    .max_flat_workgroup_size: 128
    .name:           _ZN7rocprim17ROCPRIM_400000_NS6detail17trampoline_kernelINS0_14default_configENS1_36segmented_radix_sort_config_selectorIblEEZNS1_25segmented_radix_sort_implIS3_Lb1EPKbPbPKlPlN2at6native12_GLOBAL__N_18offset_tEEE10hipError_tPvRmT1_PNSt15iterator_traitsISK_E10value_typeET2_T3_PNSL_ISQ_E10value_typeET4_jRbjT5_SW_jjP12ihipStream_tbEUlT_E2_NS1_11comp_targetILNS1_3genE10ELNS1_11target_archE1200ELNS1_3gpuE4ELNS1_3repE0EEENS1_30default_config_static_selectorELNS0_4arch9wavefront6targetE1EEEvSK_
    .private_segment_fixed_size: 0
    .sgpr_count:     4
    .sgpr_spill_count: 0
    .symbol:         _ZN7rocprim17ROCPRIM_400000_NS6detail17trampoline_kernelINS0_14default_configENS1_36segmented_radix_sort_config_selectorIblEEZNS1_25segmented_radix_sort_implIS3_Lb1EPKbPbPKlPlN2at6native12_GLOBAL__N_18offset_tEEE10hipError_tPvRmT1_PNSt15iterator_traitsISK_E10value_typeET2_T3_PNSL_ISQ_E10value_typeET4_jRbjT5_SW_jjP12ihipStream_tbEUlT_E2_NS1_11comp_targetILNS1_3genE10ELNS1_11target_archE1200ELNS1_3gpuE4ELNS1_3repE0EEENS1_30default_config_static_selectorELNS0_4arch9wavefront6targetE1EEEvSK_.kd
    .uniform_work_group_size: 1
    .uses_dynamic_stack: false
    .vgpr_count:     0
    .vgpr_spill_count: 0
    .wavefront_size: 64
  - .args:
      - .offset:         0
        .size:           80
        .value_kind:     by_value
    .group_segment_fixed_size: 0
    .kernarg_segment_align: 8
    .kernarg_segment_size: 80
    .language:       OpenCL C
    .language_version:
      - 2
      - 0
    .max_flat_workgroup_size: 256
    .name:           _ZN7rocprim17ROCPRIM_400000_NS6detail17trampoline_kernelINS0_14default_configENS1_36segmented_radix_sort_config_selectorIblEEZNS1_25segmented_radix_sort_implIS3_Lb1EPKbPbPKlPlN2at6native12_GLOBAL__N_18offset_tEEE10hipError_tPvRmT1_PNSt15iterator_traitsISK_E10value_typeET2_T3_PNSL_ISQ_E10value_typeET4_jRbjT5_SW_jjP12ihipStream_tbEUlT_E2_NS1_11comp_targetILNS1_3genE9ELNS1_11target_archE1100ELNS1_3gpuE3ELNS1_3repE0EEENS1_30default_config_static_selectorELNS0_4arch9wavefront6targetE1EEEvSK_
    .private_segment_fixed_size: 0
    .sgpr_count:     4
    .sgpr_spill_count: 0
    .symbol:         _ZN7rocprim17ROCPRIM_400000_NS6detail17trampoline_kernelINS0_14default_configENS1_36segmented_radix_sort_config_selectorIblEEZNS1_25segmented_radix_sort_implIS3_Lb1EPKbPbPKlPlN2at6native12_GLOBAL__N_18offset_tEEE10hipError_tPvRmT1_PNSt15iterator_traitsISK_E10value_typeET2_T3_PNSL_ISQ_E10value_typeET4_jRbjT5_SW_jjP12ihipStream_tbEUlT_E2_NS1_11comp_targetILNS1_3genE9ELNS1_11target_archE1100ELNS1_3gpuE3ELNS1_3repE0EEENS1_30default_config_static_selectorELNS0_4arch9wavefront6targetE1EEEvSK_.kd
    .uniform_work_group_size: 1
    .uses_dynamic_stack: false
    .vgpr_count:     0
    .vgpr_spill_count: 0
    .wavefront_size: 64
  - .args:
      - .offset:         0
        .size:           80
        .value_kind:     by_value
    .group_segment_fixed_size: 0
    .kernarg_segment_align: 8
    .kernarg_segment_size: 80
    .language:       OpenCL C
    .language_version:
      - 2
      - 0
    .max_flat_workgroup_size: 256
    .name:           _ZN7rocprim17ROCPRIM_400000_NS6detail17trampoline_kernelINS0_14default_configENS1_36segmented_radix_sort_config_selectorIblEEZNS1_25segmented_radix_sort_implIS3_Lb1EPKbPbPKlPlN2at6native12_GLOBAL__N_18offset_tEEE10hipError_tPvRmT1_PNSt15iterator_traitsISK_E10value_typeET2_T3_PNSL_ISQ_E10value_typeET4_jRbjT5_SW_jjP12ihipStream_tbEUlT_E2_NS1_11comp_targetILNS1_3genE8ELNS1_11target_archE1030ELNS1_3gpuE2ELNS1_3repE0EEENS1_30default_config_static_selectorELNS0_4arch9wavefront6targetE1EEEvSK_
    .private_segment_fixed_size: 0
    .sgpr_count:     4
    .sgpr_spill_count: 0
    .symbol:         _ZN7rocprim17ROCPRIM_400000_NS6detail17trampoline_kernelINS0_14default_configENS1_36segmented_radix_sort_config_selectorIblEEZNS1_25segmented_radix_sort_implIS3_Lb1EPKbPbPKlPlN2at6native12_GLOBAL__N_18offset_tEEE10hipError_tPvRmT1_PNSt15iterator_traitsISK_E10value_typeET2_T3_PNSL_ISQ_E10value_typeET4_jRbjT5_SW_jjP12ihipStream_tbEUlT_E2_NS1_11comp_targetILNS1_3genE8ELNS1_11target_archE1030ELNS1_3gpuE2ELNS1_3repE0EEENS1_30default_config_static_selectorELNS0_4arch9wavefront6targetE1EEEvSK_.kd
    .uniform_work_group_size: 1
    .uses_dynamic_stack: false
    .vgpr_count:     0
    .vgpr_spill_count: 0
    .wavefront_size: 64
  - .args:
      - .offset:         0
        .size:           176
        .value_kind:     by_value
    .group_segment_fixed_size: 0
    .kernarg_segment_align: 8
    .kernarg_segment_size: 176
    .language:       OpenCL C
    .language_version:
      - 2
      - 0
    .max_flat_workgroup_size: 256
    .name:           _ZN7rocprim17ROCPRIM_400000_NS6detail17trampoline_kernelINS0_13select_configILj256ELj13ELNS0_17block_load_methodE3ELS4_3ELS4_3ELNS0_20block_scan_algorithmE0ELj4294967295EEENS1_25partition_config_selectorILNS1_17partition_subalgoE4EjNS0_10empty_typeEbEEZZNS1_14partition_implILS8_4ELb0ES6_15HIP_vector_typeIjLj2EENS0_17counting_iteratorIjlEEPS9_SG_NS0_5tupleIJPjSI_NS0_16reverse_iteratorISI_EEEEENSH_IJSG_SG_SG_EEES9_SI_JZNS1_25segmented_radix_sort_implINS0_14default_configELb0EPKbPbPKlPlN2at6native12_GLOBAL__N_18offset_tEEE10hipError_tPvRmT1_PNSt15iterator_traitsIS12_E10value_typeET2_T3_PNS13_IS18_E10value_typeET4_jRbjT5_S1E_jjP12ihipStream_tbEUljE_ZNSN_ISO_Lb0ESQ_SR_ST_SU_SY_EESZ_S10_S11_S12_S16_S17_S18_S1B_S1C_jS1D_jS1E_S1E_jjS1G_bEUljE0_EEESZ_S10_S11_S18_S1C_S1E_T6_T7_T9_mT8_S1G_bDpT10_ENKUlT_T0_E_clISt17integral_constantIbLb0EES1U_EEDaS1P_S1Q_EUlS1P_E_NS1_11comp_targetILNS1_3genE0ELNS1_11target_archE4294967295ELNS1_3gpuE0ELNS1_3repE0EEENS1_30default_config_static_selectorELNS0_4arch9wavefront6targetE1EEEvS12_
    .private_segment_fixed_size: 0
    .sgpr_count:     4
    .sgpr_spill_count: 0
    .symbol:         _ZN7rocprim17ROCPRIM_400000_NS6detail17trampoline_kernelINS0_13select_configILj256ELj13ELNS0_17block_load_methodE3ELS4_3ELS4_3ELNS0_20block_scan_algorithmE0ELj4294967295EEENS1_25partition_config_selectorILNS1_17partition_subalgoE4EjNS0_10empty_typeEbEEZZNS1_14partition_implILS8_4ELb0ES6_15HIP_vector_typeIjLj2EENS0_17counting_iteratorIjlEEPS9_SG_NS0_5tupleIJPjSI_NS0_16reverse_iteratorISI_EEEEENSH_IJSG_SG_SG_EEES9_SI_JZNS1_25segmented_radix_sort_implINS0_14default_configELb0EPKbPbPKlPlN2at6native12_GLOBAL__N_18offset_tEEE10hipError_tPvRmT1_PNSt15iterator_traitsIS12_E10value_typeET2_T3_PNS13_IS18_E10value_typeET4_jRbjT5_S1E_jjP12ihipStream_tbEUljE_ZNSN_ISO_Lb0ESQ_SR_ST_SU_SY_EESZ_S10_S11_S12_S16_S17_S18_S1B_S1C_jS1D_jS1E_S1E_jjS1G_bEUljE0_EEESZ_S10_S11_S18_S1C_S1E_T6_T7_T9_mT8_S1G_bDpT10_ENKUlT_T0_E_clISt17integral_constantIbLb0EES1U_EEDaS1P_S1Q_EUlS1P_E_NS1_11comp_targetILNS1_3genE0ELNS1_11target_archE4294967295ELNS1_3gpuE0ELNS1_3repE0EEENS1_30default_config_static_selectorELNS0_4arch9wavefront6targetE1EEEvS12_.kd
    .uniform_work_group_size: 1
    .uses_dynamic_stack: false
    .vgpr_count:     0
    .vgpr_spill_count: 0
    .wavefront_size: 64
  - .args:
      - .offset:         0
        .size:           176
        .value_kind:     by_value
    .group_segment_fixed_size: 0
    .kernarg_segment_align: 8
    .kernarg_segment_size: 176
    .language:       OpenCL C
    .language_version:
      - 2
      - 0
    .max_flat_workgroup_size: 256
    .name:           _ZN7rocprim17ROCPRIM_400000_NS6detail17trampoline_kernelINS0_13select_configILj256ELj13ELNS0_17block_load_methodE3ELS4_3ELS4_3ELNS0_20block_scan_algorithmE0ELj4294967295EEENS1_25partition_config_selectorILNS1_17partition_subalgoE4EjNS0_10empty_typeEbEEZZNS1_14partition_implILS8_4ELb0ES6_15HIP_vector_typeIjLj2EENS0_17counting_iteratorIjlEEPS9_SG_NS0_5tupleIJPjSI_NS0_16reverse_iteratorISI_EEEEENSH_IJSG_SG_SG_EEES9_SI_JZNS1_25segmented_radix_sort_implINS0_14default_configELb0EPKbPbPKlPlN2at6native12_GLOBAL__N_18offset_tEEE10hipError_tPvRmT1_PNSt15iterator_traitsIS12_E10value_typeET2_T3_PNS13_IS18_E10value_typeET4_jRbjT5_S1E_jjP12ihipStream_tbEUljE_ZNSN_ISO_Lb0ESQ_SR_ST_SU_SY_EESZ_S10_S11_S12_S16_S17_S18_S1B_S1C_jS1D_jS1E_S1E_jjS1G_bEUljE0_EEESZ_S10_S11_S18_S1C_S1E_T6_T7_T9_mT8_S1G_bDpT10_ENKUlT_T0_E_clISt17integral_constantIbLb0EES1U_EEDaS1P_S1Q_EUlS1P_E_NS1_11comp_targetILNS1_3genE5ELNS1_11target_archE942ELNS1_3gpuE9ELNS1_3repE0EEENS1_30default_config_static_selectorELNS0_4arch9wavefront6targetE1EEEvS12_
    .private_segment_fixed_size: 0
    .sgpr_count:     4
    .sgpr_spill_count: 0
    .symbol:         _ZN7rocprim17ROCPRIM_400000_NS6detail17trampoline_kernelINS0_13select_configILj256ELj13ELNS0_17block_load_methodE3ELS4_3ELS4_3ELNS0_20block_scan_algorithmE0ELj4294967295EEENS1_25partition_config_selectorILNS1_17partition_subalgoE4EjNS0_10empty_typeEbEEZZNS1_14partition_implILS8_4ELb0ES6_15HIP_vector_typeIjLj2EENS0_17counting_iteratorIjlEEPS9_SG_NS0_5tupleIJPjSI_NS0_16reverse_iteratorISI_EEEEENSH_IJSG_SG_SG_EEES9_SI_JZNS1_25segmented_radix_sort_implINS0_14default_configELb0EPKbPbPKlPlN2at6native12_GLOBAL__N_18offset_tEEE10hipError_tPvRmT1_PNSt15iterator_traitsIS12_E10value_typeET2_T3_PNS13_IS18_E10value_typeET4_jRbjT5_S1E_jjP12ihipStream_tbEUljE_ZNSN_ISO_Lb0ESQ_SR_ST_SU_SY_EESZ_S10_S11_S12_S16_S17_S18_S1B_S1C_jS1D_jS1E_S1E_jjS1G_bEUljE0_EEESZ_S10_S11_S18_S1C_S1E_T6_T7_T9_mT8_S1G_bDpT10_ENKUlT_T0_E_clISt17integral_constantIbLb0EES1U_EEDaS1P_S1Q_EUlS1P_E_NS1_11comp_targetILNS1_3genE5ELNS1_11target_archE942ELNS1_3gpuE9ELNS1_3repE0EEENS1_30default_config_static_selectorELNS0_4arch9wavefront6targetE1EEEvS12_.kd
    .uniform_work_group_size: 1
    .uses_dynamic_stack: false
    .vgpr_count:     0
    .vgpr_spill_count: 0
    .wavefront_size: 64
  - .args:
      - .offset:         0
        .size:           176
        .value_kind:     by_value
    .group_segment_fixed_size: 0
    .kernarg_segment_align: 8
    .kernarg_segment_size: 176
    .language:       OpenCL C
    .language_version:
      - 2
      - 0
    .max_flat_workgroup_size: 256
    .name:           _ZN7rocprim17ROCPRIM_400000_NS6detail17trampoline_kernelINS0_13select_configILj256ELj13ELNS0_17block_load_methodE3ELS4_3ELS4_3ELNS0_20block_scan_algorithmE0ELj4294967295EEENS1_25partition_config_selectorILNS1_17partition_subalgoE4EjNS0_10empty_typeEbEEZZNS1_14partition_implILS8_4ELb0ES6_15HIP_vector_typeIjLj2EENS0_17counting_iteratorIjlEEPS9_SG_NS0_5tupleIJPjSI_NS0_16reverse_iteratorISI_EEEEENSH_IJSG_SG_SG_EEES9_SI_JZNS1_25segmented_radix_sort_implINS0_14default_configELb0EPKbPbPKlPlN2at6native12_GLOBAL__N_18offset_tEEE10hipError_tPvRmT1_PNSt15iterator_traitsIS12_E10value_typeET2_T3_PNS13_IS18_E10value_typeET4_jRbjT5_S1E_jjP12ihipStream_tbEUljE_ZNSN_ISO_Lb0ESQ_SR_ST_SU_SY_EESZ_S10_S11_S12_S16_S17_S18_S1B_S1C_jS1D_jS1E_S1E_jjS1G_bEUljE0_EEESZ_S10_S11_S18_S1C_S1E_T6_T7_T9_mT8_S1G_bDpT10_ENKUlT_T0_E_clISt17integral_constantIbLb0EES1U_EEDaS1P_S1Q_EUlS1P_E_NS1_11comp_targetILNS1_3genE4ELNS1_11target_archE910ELNS1_3gpuE8ELNS1_3repE0EEENS1_30default_config_static_selectorELNS0_4arch9wavefront6targetE1EEEvS12_
    .private_segment_fixed_size: 0
    .sgpr_count:     4
    .sgpr_spill_count: 0
    .symbol:         _ZN7rocprim17ROCPRIM_400000_NS6detail17trampoline_kernelINS0_13select_configILj256ELj13ELNS0_17block_load_methodE3ELS4_3ELS4_3ELNS0_20block_scan_algorithmE0ELj4294967295EEENS1_25partition_config_selectorILNS1_17partition_subalgoE4EjNS0_10empty_typeEbEEZZNS1_14partition_implILS8_4ELb0ES6_15HIP_vector_typeIjLj2EENS0_17counting_iteratorIjlEEPS9_SG_NS0_5tupleIJPjSI_NS0_16reverse_iteratorISI_EEEEENSH_IJSG_SG_SG_EEES9_SI_JZNS1_25segmented_radix_sort_implINS0_14default_configELb0EPKbPbPKlPlN2at6native12_GLOBAL__N_18offset_tEEE10hipError_tPvRmT1_PNSt15iterator_traitsIS12_E10value_typeET2_T3_PNS13_IS18_E10value_typeET4_jRbjT5_S1E_jjP12ihipStream_tbEUljE_ZNSN_ISO_Lb0ESQ_SR_ST_SU_SY_EESZ_S10_S11_S12_S16_S17_S18_S1B_S1C_jS1D_jS1E_S1E_jjS1G_bEUljE0_EEESZ_S10_S11_S18_S1C_S1E_T6_T7_T9_mT8_S1G_bDpT10_ENKUlT_T0_E_clISt17integral_constantIbLb0EES1U_EEDaS1P_S1Q_EUlS1P_E_NS1_11comp_targetILNS1_3genE4ELNS1_11target_archE910ELNS1_3gpuE8ELNS1_3repE0EEENS1_30default_config_static_selectorELNS0_4arch9wavefront6targetE1EEEvS12_.kd
    .uniform_work_group_size: 1
    .uses_dynamic_stack: false
    .vgpr_count:     0
    .vgpr_spill_count: 0
    .wavefront_size: 64
  - .args:
      - .offset:         0
        .size:           176
        .value_kind:     by_value
    .group_segment_fixed_size: 0
    .kernarg_segment_align: 8
    .kernarg_segment_size: 176
    .language:       OpenCL C
    .language_version:
      - 2
      - 0
    .max_flat_workgroup_size: 256
    .name:           _ZN7rocprim17ROCPRIM_400000_NS6detail17trampoline_kernelINS0_13select_configILj256ELj13ELNS0_17block_load_methodE3ELS4_3ELS4_3ELNS0_20block_scan_algorithmE0ELj4294967295EEENS1_25partition_config_selectorILNS1_17partition_subalgoE4EjNS0_10empty_typeEbEEZZNS1_14partition_implILS8_4ELb0ES6_15HIP_vector_typeIjLj2EENS0_17counting_iteratorIjlEEPS9_SG_NS0_5tupleIJPjSI_NS0_16reverse_iteratorISI_EEEEENSH_IJSG_SG_SG_EEES9_SI_JZNS1_25segmented_radix_sort_implINS0_14default_configELb0EPKbPbPKlPlN2at6native12_GLOBAL__N_18offset_tEEE10hipError_tPvRmT1_PNSt15iterator_traitsIS12_E10value_typeET2_T3_PNS13_IS18_E10value_typeET4_jRbjT5_S1E_jjP12ihipStream_tbEUljE_ZNSN_ISO_Lb0ESQ_SR_ST_SU_SY_EESZ_S10_S11_S12_S16_S17_S18_S1B_S1C_jS1D_jS1E_S1E_jjS1G_bEUljE0_EEESZ_S10_S11_S18_S1C_S1E_T6_T7_T9_mT8_S1G_bDpT10_ENKUlT_T0_E_clISt17integral_constantIbLb0EES1U_EEDaS1P_S1Q_EUlS1P_E_NS1_11comp_targetILNS1_3genE3ELNS1_11target_archE908ELNS1_3gpuE7ELNS1_3repE0EEENS1_30default_config_static_selectorELNS0_4arch9wavefront6targetE1EEEvS12_
    .private_segment_fixed_size: 0
    .sgpr_count:     4
    .sgpr_spill_count: 0
    .symbol:         _ZN7rocprim17ROCPRIM_400000_NS6detail17trampoline_kernelINS0_13select_configILj256ELj13ELNS0_17block_load_methodE3ELS4_3ELS4_3ELNS0_20block_scan_algorithmE0ELj4294967295EEENS1_25partition_config_selectorILNS1_17partition_subalgoE4EjNS0_10empty_typeEbEEZZNS1_14partition_implILS8_4ELb0ES6_15HIP_vector_typeIjLj2EENS0_17counting_iteratorIjlEEPS9_SG_NS0_5tupleIJPjSI_NS0_16reverse_iteratorISI_EEEEENSH_IJSG_SG_SG_EEES9_SI_JZNS1_25segmented_radix_sort_implINS0_14default_configELb0EPKbPbPKlPlN2at6native12_GLOBAL__N_18offset_tEEE10hipError_tPvRmT1_PNSt15iterator_traitsIS12_E10value_typeET2_T3_PNS13_IS18_E10value_typeET4_jRbjT5_S1E_jjP12ihipStream_tbEUljE_ZNSN_ISO_Lb0ESQ_SR_ST_SU_SY_EESZ_S10_S11_S12_S16_S17_S18_S1B_S1C_jS1D_jS1E_S1E_jjS1G_bEUljE0_EEESZ_S10_S11_S18_S1C_S1E_T6_T7_T9_mT8_S1G_bDpT10_ENKUlT_T0_E_clISt17integral_constantIbLb0EES1U_EEDaS1P_S1Q_EUlS1P_E_NS1_11comp_targetILNS1_3genE3ELNS1_11target_archE908ELNS1_3gpuE7ELNS1_3repE0EEENS1_30default_config_static_selectorELNS0_4arch9wavefront6targetE1EEEvS12_.kd
    .uniform_work_group_size: 1
    .uses_dynamic_stack: false
    .vgpr_count:     0
    .vgpr_spill_count: 0
    .wavefront_size: 64
  - .args:
      - .offset:         0
        .size:           176
        .value_kind:     by_value
    .group_segment_fixed_size: 13328
    .kernarg_segment_align: 8
    .kernarg_segment_size: 176
    .language:       OpenCL C
    .language_version:
      - 2
      - 0
    .max_flat_workgroup_size: 256
    .name:           _ZN7rocprim17ROCPRIM_400000_NS6detail17trampoline_kernelINS0_13select_configILj256ELj13ELNS0_17block_load_methodE3ELS4_3ELS4_3ELNS0_20block_scan_algorithmE0ELj4294967295EEENS1_25partition_config_selectorILNS1_17partition_subalgoE4EjNS0_10empty_typeEbEEZZNS1_14partition_implILS8_4ELb0ES6_15HIP_vector_typeIjLj2EENS0_17counting_iteratorIjlEEPS9_SG_NS0_5tupleIJPjSI_NS0_16reverse_iteratorISI_EEEEENSH_IJSG_SG_SG_EEES9_SI_JZNS1_25segmented_radix_sort_implINS0_14default_configELb0EPKbPbPKlPlN2at6native12_GLOBAL__N_18offset_tEEE10hipError_tPvRmT1_PNSt15iterator_traitsIS12_E10value_typeET2_T3_PNS13_IS18_E10value_typeET4_jRbjT5_S1E_jjP12ihipStream_tbEUljE_ZNSN_ISO_Lb0ESQ_SR_ST_SU_SY_EESZ_S10_S11_S12_S16_S17_S18_S1B_S1C_jS1D_jS1E_S1E_jjS1G_bEUljE0_EEESZ_S10_S11_S18_S1C_S1E_T6_T7_T9_mT8_S1G_bDpT10_ENKUlT_T0_E_clISt17integral_constantIbLb0EES1U_EEDaS1P_S1Q_EUlS1P_E_NS1_11comp_targetILNS1_3genE2ELNS1_11target_archE906ELNS1_3gpuE6ELNS1_3repE0EEENS1_30default_config_static_selectorELNS0_4arch9wavefront6targetE1EEEvS12_
    .private_segment_fixed_size: 0
    .sgpr_count:     94
    .sgpr_spill_count: 0
    .symbol:         _ZN7rocprim17ROCPRIM_400000_NS6detail17trampoline_kernelINS0_13select_configILj256ELj13ELNS0_17block_load_methodE3ELS4_3ELS4_3ELNS0_20block_scan_algorithmE0ELj4294967295EEENS1_25partition_config_selectorILNS1_17partition_subalgoE4EjNS0_10empty_typeEbEEZZNS1_14partition_implILS8_4ELb0ES6_15HIP_vector_typeIjLj2EENS0_17counting_iteratorIjlEEPS9_SG_NS0_5tupleIJPjSI_NS0_16reverse_iteratorISI_EEEEENSH_IJSG_SG_SG_EEES9_SI_JZNS1_25segmented_radix_sort_implINS0_14default_configELb0EPKbPbPKlPlN2at6native12_GLOBAL__N_18offset_tEEE10hipError_tPvRmT1_PNSt15iterator_traitsIS12_E10value_typeET2_T3_PNS13_IS18_E10value_typeET4_jRbjT5_S1E_jjP12ihipStream_tbEUljE_ZNSN_ISO_Lb0ESQ_SR_ST_SU_SY_EESZ_S10_S11_S12_S16_S17_S18_S1B_S1C_jS1D_jS1E_S1E_jjS1G_bEUljE0_EEESZ_S10_S11_S18_S1C_S1E_T6_T7_T9_mT8_S1G_bDpT10_ENKUlT_T0_E_clISt17integral_constantIbLb0EES1U_EEDaS1P_S1Q_EUlS1P_E_NS1_11comp_targetILNS1_3genE2ELNS1_11target_archE906ELNS1_3gpuE6ELNS1_3repE0EEENS1_30default_config_static_selectorELNS0_4arch9wavefront6targetE1EEEvS12_.kd
    .uniform_work_group_size: 1
    .uses_dynamic_stack: false
    .vgpr_count:     86
    .vgpr_spill_count: 0
    .wavefront_size: 64
  - .args:
      - .offset:         0
        .size:           176
        .value_kind:     by_value
    .group_segment_fixed_size: 0
    .kernarg_segment_align: 8
    .kernarg_segment_size: 176
    .language:       OpenCL C
    .language_version:
      - 2
      - 0
    .max_flat_workgroup_size: 256
    .name:           _ZN7rocprim17ROCPRIM_400000_NS6detail17trampoline_kernelINS0_13select_configILj256ELj13ELNS0_17block_load_methodE3ELS4_3ELS4_3ELNS0_20block_scan_algorithmE0ELj4294967295EEENS1_25partition_config_selectorILNS1_17partition_subalgoE4EjNS0_10empty_typeEbEEZZNS1_14partition_implILS8_4ELb0ES6_15HIP_vector_typeIjLj2EENS0_17counting_iteratorIjlEEPS9_SG_NS0_5tupleIJPjSI_NS0_16reverse_iteratorISI_EEEEENSH_IJSG_SG_SG_EEES9_SI_JZNS1_25segmented_radix_sort_implINS0_14default_configELb0EPKbPbPKlPlN2at6native12_GLOBAL__N_18offset_tEEE10hipError_tPvRmT1_PNSt15iterator_traitsIS12_E10value_typeET2_T3_PNS13_IS18_E10value_typeET4_jRbjT5_S1E_jjP12ihipStream_tbEUljE_ZNSN_ISO_Lb0ESQ_SR_ST_SU_SY_EESZ_S10_S11_S12_S16_S17_S18_S1B_S1C_jS1D_jS1E_S1E_jjS1G_bEUljE0_EEESZ_S10_S11_S18_S1C_S1E_T6_T7_T9_mT8_S1G_bDpT10_ENKUlT_T0_E_clISt17integral_constantIbLb0EES1U_EEDaS1P_S1Q_EUlS1P_E_NS1_11comp_targetILNS1_3genE10ELNS1_11target_archE1200ELNS1_3gpuE4ELNS1_3repE0EEENS1_30default_config_static_selectorELNS0_4arch9wavefront6targetE1EEEvS12_
    .private_segment_fixed_size: 0
    .sgpr_count:     4
    .sgpr_spill_count: 0
    .symbol:         _ZN7rocprim17ROCPRIM_400000_NS6detail17trampoline_kernelINS0_13select_configILj256ELj13ELNS0_17block_load_methodE3ELS4_3ELS4_3ELNS0_20block_scan_algorithmE0ELj4294967295EEENS1_25partition_config_selectorILNS1_17partition_subalgoE4EjNS0_10empty_typeEbEEZZNS1_14partition_implILS8_4ELb0ES6_15HIP_vector_typeIjLj2EENS0_17counting_iteratorIjlEEPS9_SG_NS0_5tupleIJPjSI_NS0_16reverse_iteratorISI_EEEEENSH_IJSG_SG_SG_EEES9_SI_JZNS1_25segmented_radix_sort_implINS0_14default_configELb0EPKbPbPKlPlN2at6native12_GLOBAL__N_18offset_tEEE10hipError_tPvRmT1_PNSt15iterator_traitsIS12_E10value_typeET2_T3_PNS13_IS18_E10value_typeET4_jRbjT5_S1E_jjP12ihipStream_tbEUljE_ZNSN_ISO_Lb0ESQ_SR_ST_SU_SY_EESZ_S10_S11_S12_S16_S17_S18_S1B_S1C_jS1D_jS1E_S1E_jjS1G_bEUljE0_EEESZ_S10_S11_S18_S1C_S1E_T6_T7_T9_mT8_S1G_bDpT10_ENKUlT_T0_E_clISt17integral_constantIbLb0EES1U_EEDaS1P_S1Q_EUlS1P_E_NS1_11comp_targetILNS1_3genE10ELNS1_11target_archE1200ELNS1_3gpuE4ELNS1_3repE0EEENS1_30default_config_static_selectorELNS0_4arch9wavefront6targetE1EEEvS12_.kd
    .uniform_work_group_size: 1
    .uses_dynamic_stack: false
    .vgpr_count:     0
    .vgpr_spill_count: 0
    .wavefront_size: 64
  - .args:
      - .offset:         0
        .size:           176
        .value_kind:     by_value
    .group_segment_fixed_size: 0
    .kernarg_segment_align: 8
    .kernarg_segment_size: 176
    .language:       OpenCL C
    .language_version:
      - 2
      - 0
    .max_flat_workgroup_size: 256
    .name:           _ZN7rocprim17ROCPRIM_400000_NS6detail17trampoline_kernelINS0_13select_configILj256ELj13ELNS0_17block_load_methodE3ELS4_3ELS4_3ELNS0_20block_scan_algorithmE0ELj4294967295EEENS1_25partition_config_selectorILNS1_17partition_subalgoE4EjNS0_10empty_typeEbEEZZNS1_14partition_implILS8_4ELb0ES6_15HIP_vector_typeIjLj2EENS0_17counting_iteratorIjlEEPS9_SG_NS0_5tupleIJPjSI_NS0_16reverse_iteratorISI_EEEEENSH_IJSG_SG_SG_EEES9_SI_JZNS1_25segmented_radix_sort_implINS0_14default_configELb0EPKbPbPKlPlN2at6native12_GLOBAL__N_18offset_tEEE10hipError_tPvRmT1_PNSt15iterator_traitsIS12_E10value_typeET2_T3_PNS13_IS18_E10value_typeET4_jRbjT5_S1E_jjP12ihipStream_tbEUljE_ZNSN_ISO_Lb0ESQ_SR_ST_SU_SY_EESZ_S10_S11_S12_S16_S17_S18_S1B_S1C_jS1D_jS1E_S1E_jjS1G_bEUljE0_EEESZ_S10_S11_S18_S1C_S1E_T6_T7_T9_mT8_S1G_bDpT10_ENKUlT_T0_E_clISt17integral_constantIbLb0EES1U_EEDaS1P_S1Q_EUlS1P_E_NS1_11comp_targetILNS1_3genE9ELNS1_11target_archE1100ELNS1_3gpuE3ELNS1_3repE0EEENS1_30default_config_static_selectorELNS0_4arch9wavefront6targetE1EEEvS12_
    .private_segment_fixed_size: 0
    .sgpr_count:     4
    .sgpr_spill_count: 0
    .symbol:         _ZN7rocprim17ROCPRIM_400000_NS6detail17trampoline_kernelINS0_13select_configILj256ELj13ELNS0_17block_load_methodE3ELS4_3ELS4_3ELNS0_20block_scan_algorithmE0ELj4294967295EEENS1_25partition_config_selectorILNS1_17partition_subalgoE4EjNS0_10empty_typeEbEEZZNS1_14partition_implILS8_4ELb0ES6_15HIP_vector_typeIjLj2EENS0_17counting_iteratorIjlEEPS9_SG_NS0_5tupleIJPjSI_NS0_16reverse_iteratorISI_EEEEENSH_IJSG_SG_SG_EEES9_SI_JZNS1_25segmented_radix_sort_implINS0_14default_configELb0EPKbPbPKlPlN2at6native12_GLOBAL__N_18offset_tEEE10hipError_tPvRmT1_PNSt15iterator_traitsIS12_E10value_typeET2_T3_PNS13_IS18_E10value_typeET4_jRbjT5_S1E_jjP12ihipStream_tbEUljE_ZNSN_ISO_Lb0ESQ_SR_ST_SU_SY_EESZ_S10_S11_S12_S16_S17_S18_S1B_S1C_jS1D_jS1E_S1E_jjS1G_bEUljE0_EEESZ_S10_S11_S18_S1C_S1E_T6_T7_T9_mT8_S1G_bDpT10_ENKUlT_T0_E_clISt17integral_constantIbLb0EES1U_EEDaS1P_S1Q_EUlS1P_E_NS1_11comp_targetILNS1_3genE9ELNS1_11target_archE1100ELNS1_3gpuE3ELNS1_3repE0EEENS1_30default_config_static_selectorELNS0_4arch9wavefront6targetE1EEEvS12_.kd
    .uniform_work_group_size: 1
    .uses_dynamic_stack: false
    .vgpr_count:     0
    .vgpr_spill_count: 0
    .wavefront_size: 64
  - .args:
      - .offset:         0
        .size:           176
        .value_kind:     by_value
    .group_segment_fixed_size: 0
    .kernarg_segment_align: 8
    .kernarg_segment_size: 176
    .language:       OpenCL C
    .language_version:
      - 2
      - 0
    .max_flat_workgroup_size: 256
    .name:           _ZN7rocprim17ROCPRIM_400000_NS6detail17trampoline_kernelINS0_13select_configILj256ELj13ELNS0_17block_load_methodE3ELS4_3ELS4_3ELNS0_20block_scan_algorithmE0ELj4294967295EEENS1_25partition_config_selectorILNS1_17partition_subalgoE4EjNS0_10empty_typeEbEEZZNS1_14partition_implILS8_4ELb0ES6_15HIP_vector_typeIjLj2EENS0_17counting_iteratorIjlEEPS9_SG_NS0_5tupleIJPjSI_NS0_16reverse_iteratorISI_EEEEENSH_IJSG_SG_SG_EEES9_SI_JZNS1_25segmented_radix_sort_implINS0_14default_configELb0EPKbPbPKlPlN2at6native12_GLOBAL__N_18offset_tEEE10hipError_tPvRmT1_PNSt15iterator_traitsIS12_E10value_typeET2_T3_PNS13_IS18_E10value_typeET4_jRbjT5_S1E_jjP12ihipStream_tbEUljE_ZNSN_ISO_Lb0ESQ_SR_ST_SU_SY_EESZ_S10_S11_S12_S16_S17_S18_S1B_S1C_jS1D_jS1E_S1E_jjS1G_bEUljE0_EEESZ_S10_S11_S18_S1C_S1E_T6_T7_T9_mT8_S1G_bDpT10_ENKUlT_T0_E_clISt17integral_constantIbLb0EES1U_EEDaS1P_S1Q_EUlS1P_E_NS1_11comp_targetILNS1_3genE8ELNS1_11target_archE1030ELNS1_3gpuE2ELNS1_3repE0EEENS1_30default_config_static_selectorELNS0_4arch9wavefront6targetE1EEEvS12_
    .private_segment_fixed_size: 0
    .sgpr_count:     4
    .sgpr_spill_count: 0
    .symbol:         _ZN7rocprim17ROCPRIM_400000_NS6detail17trampoline_kernelINS0_13select_configILj256ELj13ELNS0_17block_load_methodE3ELS4_3ELS4_3ELNS0_20block_scan_algorithmE0ELj4294967295EEENS1_25partition_config_selectorILNS1_17partition_subalgoE4EjNS0_10empty_typeEbEEZZNS1_14partition_implILS8_4ELb0ES6_15HIP_vector_typeIjLj2EENS0_17counting_iteratorIjlEEPS9_SG_NS0_5tupleIJPjSI_NS0_16reverse_iteratorISI_EEEEENSH_IJSG_SG_SG_EEES9_SI_JZNS1_25segmented_radix_sort_implINS0_14default_configELb0EPKbPbPKlPlN2at6native12_GLOBAL__N_18offset_tEEE10hipError_tPvRmT1_PNSt15iterator_traitsIS12_E10value_typeET2_T3_PNS13_IS18_E10value_typeET4_jRbjT5_S1E_jjP12ihipStream_tbEUljE_ZNSN_ISO_Lb0ESQ_SR_ST_SU_SY_EESZ_S10_S11_S12_S16_S17_S18_S1B_S1C_jS1D_jS1E_S1E_jjS1G_bEUljE0_EEESZ_S10_S11_S18_S1C_S1E_T6_T7_T9_mT8_S1G_bDpT10_ENKUlT_T0_E_clISt17integral_constantIbLb0EES1U_EEDaS1P_S1Q_EUlS1P_E_NS1_11comp_targetILNS1_3genE8ELNS1_11target_archE1030ELNS1_3gpuE2ELNS1_3repE0EEENS1_30default_config_static_selectorELNS0_4arch9wavefront6targetE1EEEvS12_.kd
    .uniform_work_group_size: 1
    .uses_dynamic_stack: false
    .vgpr_count:     0
    .vgpr_spill_count: 0
    .wavefront_size: 64
  - .args:
      - .offset:         0
        .size:           184
        .value_kind:     by_value
    .group_segment_fixed_size: 0
    .kernarg_segment_align: 8
    .kernarg_segment_size: 184
    .language:       OpenCL C
    .language_version:
      - 2
      - 0
    .max_flat_workgroup_size: 256
    .name:           _ZN7rocprim17ROCPRIM_400000_NS6detail17trampoline_kernelINS0_13select_configILj256ELj13ELNS0_17block_load_methodE3ELS4_3ELS4_3ELNS0_20block_scan_algorithmE0ELj4294967295EEENS1_25partition_config_selectorILNS1_17partition_subalgoE4EjNS0_10empty_typeEbEEZZNS1_14partition_implILS8_4ELb0ES6_15HIP_vector_typeIjLj2EENS0_17counting_iteratorIjlEEPS9_SG_NS0_5tupleIJPjSI_NS0_16reverse_iteratorISI_EEEEENSH_IJSG_SG_SG_EEES9_SI_JZNS1_25segmented_radix_sort_implINS0_14default_configELb0EPKbPbPKlPlN2at6native12_GLOBAL__N_18offset_tEEE10hipError_tPvRmT1_PNSt15iterator_traitsIS12_E10value_typeET2_T3_PNS13_IS18_E10value_typeET4_jRbjT5_S1E_jjP12ihipStream_tbEUljE_ZNSN_ISO_Lb0ESQ_SR_ST_SU_SY_EESZ_S10_S11_S12_S16_S17_S18_S1B_S1C_jS1D_jS1E_S1E_jjS1G_bEUljE0_EEESZ_S10_S11_S18_S1C_S1E_T6_T7_T9_mT8_S1G_bDpT10_ENKUlT_T0_E_clISt17integral_constantIbLb1EES1U_EEDaS1P_S1Q_EUlS1P_E_NS1_11comp_targetILNS1_3genE0ELNS1_11target_archE4294967295ELNS1_3gpuE0ELNS1_3repE0EEENS1_30default_config_static_selectorELNS0_4arch9wavefront6targetE1EEEvS12_
    .private_segment_fixed_size: 0
    .sgpr_count:     4
    .sgpr_spill_count: 0
    .symbol:         _ZN7rocprim17ROCPRIM_400000_NS6detail17trampoline_kernelINS0_13select_configILj256ELj13ELNS0_17block_load_methodE3ELS4_3ELS4_3ELNS0_20block_scan_algorithmE0ELj4294967295EEENS1_25partition_config_selectorILNS1_17partition_subalgoE4EjNS0_10empty_typeEbEEZZNS1_14partition_implILS8_4ELb0ES6_15HIP_vector_typeIjLj2EENS0_17counting_iteratorIjlEEPS9_SG_NS0_5tupleIJPjSI_NS0_16reverse_iteratorISI_EEEEENSH_IJSG_SG_SG_EEES9_SI_JZNS1_25segmented_radix_sort_implINS0_14default_configELb0EPKbPbPKlPlN2at6native12_GLOBAL__N_18offset_tEEE10hipError_tPvRmT1_PNSt15iterator_traitsIS12_E10value_typeET2_T3_PNS13_IS18_E10value_typeET4_jRbjT5_S1E_jjP12ihipStream_tbEUljE_ZNSN_ISO_Lb0ESQ_SR_ST_SU_SY_EESZ_S10_S11_S12_S16_S17_S18_S1B_S1C_jS1D_jS1E_S1E_jjS1G_bEUljE0_EEESZ_S10_S11_S18_S1C_S1E_T6_T7_T9_mT8_S1G_bDpT10_ENKUlT_T0_E_clISt17integral_constantIbLb1EES1U_EEDaS1P_S1Q_EUlS1P_E_NS1_11comp_targetILNS1_3genE0ELNS1_11target_archE4294967295ELNS1_3gpuE0ELNS1_3repE0EEENS1_30default_config_static_selectorELNS0_4arch9wavefront6targetE1EEEvS12_.kd
    .uniform_work_group_size: 1
    .uses_dynamic_stack: false
    .vgpr_count:     0
    .vgpr_spill_count: 0
    .wavefront_size: 64
  - .args:
      - .offset:         0
        .size:           184
        .value_kind:     by_value
    .group_segment_fixed_size: 0
    .kernarg_segment_align: 8
    .kernarg_segment_size: 184
    .language:       OpenCL C
    .language_version:
      - 2
      - 0
    .max_flat_workgroup_size: 256
    .name:           _ZN7rocprim17ROCPRIM_400000_NS6detail17trampoline_kernelINS0_13select_configILj256ELj13ELNS0_17block_load_methodE3ELS4_3ELS4_3ELNS0_20block_scan_algorithmE0ELj4294967295EEENS1_25partition_config_selectorILNS1_17partition_subalgoE4EjNS0_10empty_typeEbEEZZNS1_14partition_implILS8_4ELb0ES6_15HIP_vector_typeIjLj2EENS0_17counting_iteratorIjlEEPS9_SG_NS0_5tupleIJPjSI_NS0_16reverse_iteratorISI_EEEEENSH_IJSG_SG_SG_EEES9_SI_JZNS1_25segmented_radix_sort_implINS0_14default_configELb0EPKbPbPKlPlN2at6native12_GLOBAL__N_18offset_tEEE10hipError_tPvRmT1_PNSt15iterator_traitsIS12_E10value_typeET2_T3_PNS13_IS18_E10value_typeET4_jRbjT5_S1E_jjP12ihipStream_tbEUljE_ZNSN_ISO_Lb0ESQ_SR_ST_SU_SY_EESZ_S10_S11_S12_S16_S17_S18_S1B_S1C_jS1D_jS1E_S1E_jjS1G_bEUljE0_EEESZ_S10_S11_S18_S1C_S1E_T6_T7_T9_mT8_S1G_bDpT10_ENKUlT_T0_E_clISt17integral_constantIbLb1EES1U_EEDaS1P_S1Q_EUlS1P_E_NS1_11comp_targetILNS1_3genE5ELNS1_11target_archE942ELNS1_3gpuE9ELNS1_3repE0EEENS1_30default_config_static_selectorELNS0_4arch9wavefront6targetE1EEEvS12_
    .private_segment_fixed_size: 0
    .sgpr_count:     4
    .sgpr_spill_count: 0
    .symbol:         _ZN7rocprim17ROCPRIM_400000_NS6detail17trampoline_kernelINS0_13select_configILj256ELj13ELNS0_17block_load_methodE3ELS4_3ELS4_3ELNS0_20block_scan_algorithmE0ELj4294967295EEENS1_25partition_config_selectorILNS1_17partition_subalgoE4EjNS0_10empty_typeEbEEZZNS1_14partition_implILS8_4ELb0ES6_15HIP_vector_typeIjLj2EENS0_17counting_iteratorIjlEEPS9_SG_NS0_5tupleIJPjSI_NS0_16reverse_iteratorISI_EEEEENSH_IJSG_SG_SG_EEES9_SI_JZNS1_25segmented_radix_sort_implINS0_14default_configELb0EPKbPbPKlPlN2at6native12_GLOBAL__N_18offset_tEEE10hipError_tPvRmT1_PNSt15iterator_traitsIS12_E10value_typeET2_T3_PNS13_IS18_E10value_typeET4_jRbjT5_S1E_jjP12ihipStream_tbEUljE_ZNSN_ISO_Lb0ESQ_SR_ST_SU_SY_EESZ_S10_S11_S12_S16_S17_S18_S1B_S1C_jS1D_jS1E_S1E_jjS1G_bEUljE0_EEESZ_S10_S11_S18_S1C_S1E_T6_T7_T9_mT8_S1G_bDpT10_ENKUlT_T0_E_clISt17integral_constantIbLb1EES1U_EEDaS1P_S1Q_EUlS1P_E_NS1_11comp_targetILNS1_3genE5ELNS1_11target_archE942ELNS1_3gpuE9ELNS1_3repE0EEENS1_30default_config_static_selectorELNS0_4arch9wavefront6targetE1EEEvS12_.kd
    .uniform_work_group_size: 1
    .uses_dynamic_stack: false
    .vgpr_count:     0
    .vgpr_spill_count: 0
    .wavefront_size: 64
  - .args:
      - .offset:         0
        .size:           184
        .value_kind:     by_value
    .group_segment_fixed_size: 0
    .kernarg_segment_align: 8
    .kernarg_segment_size: 184
    .language:       OpenCL C
    .language_version:
      - 2
      - 0
    .max_flat_workgroup_size: 256
    .name:           _ZN7rocprim17ROCPRIM_400000_NS6detail17trampoline_kernelINS0_13select_configILj256ELj13ELNS0_17block_load_methodE3ELS4_3ELS4_3ELNS0_20block_scan_algorithmE0ELj4294967295EEENS1_25partition_config_selectorILNS1_17partition_subalgoE4EjNS0_10empty_typeEbEEZZNS1_14partition_implILS8_4ELb0ES6_15HIP_vector_typeIjLj2EENS0_17counting_iteratorIjlEEPS9_SG_NS0_5tupleIJPjSI_NS0_16reverse_iteratorISI_EEEEENSH_IJSG_SG_SG_EEES9_SI_JZNS1_25segmented_radix_sort_implINS0_14default_configELb0EPKbPbPKlPlN2at6native12_GLOBAL__N_18offset_tEEE10hipError_tPvRmT1_PNSt15iterator_traitsIS12_E10value_typeET2_T3_PNS13_IS18_E10value_typeET4_jRbjT5_S1E_jjP12ihipStream_tbEUljE_ZNSN_ISO_Lb0ESQ_SR_ST_SU_SY_EESZ_S10_S11_S12_S16_S17_S18_S1B_S1C_jS1D_jS1E_S1E_jjS1G_bEUljE0_EEESZ_S10_S11_S18_S1C_S1E_T6_T7_T9_mT8_S1G_bDpT10_ENKUlT_T0_E_clISt17integral_constantIbLb1EES1U_EEDaS1P_S1Q_EUlS1P_E_NS1_11comp_targetILNS1_3genE4ELNS1_11target_archE910ELNS1_3gpuE8ELNS1_3repE0EEENS1_30default_config_static_selectorELNS0_4arch9wavefront6targetE1EEEvS12_
    .private_segment_fixed_size: 0
    .sgpr_count:     4
    .sgpr_spill_count: 0
    .symbol:         _ZN7rocprim17ROCPRIM_400000_NS6detail17trampoline_kernelINS0_13select_configILj256ELj13ELNS0_17block_load_methodE3ELS4_3ELS4_3ELNS0_20block_scan_algorithmE0ELj4294967295EEENS1_25partition_config_selectorILNS1_17partition_subalgoE4EjNS0_10empty_typeEbEEZZNS1_14partition_implILS8_4ELb0ES6_15HIP_vector_typeIjLj2EENS0_17counting_iteratorIjlEEPS9_SG_NS0_5tupleIJPjSI_NS0_16reverse_iteratorISI_EEEEENSH_IJSG_SG_SG_EEES9_SI_JZNS1_25segmented_radix_sort_implINS0_14default_configELb0EPKbPbPKlPlN2at6native12_GLOBAL__N_18offset_tEEE10hipError_tPvRmT1_PNSt15iterator_traitsIS12_E10value_typeET2_T3_PNS13_IS18_E10value_typeET4_jRbjT5_S1E_jjP12ihipStream_tbEUljE_ZNSN_ISO_Lb0ESQ_SR_ST_SU_SY_EESZ_S10_S11_S12_S16_S17_S18_S1B_S1C_jS1D_jS1E_S1E_jjS1G_bEUljE0_EEESZ_S10_S11_S18_S1C_S1E_T6_T7_T9_mT8_S1G_bDpT10_ENKUlT_T0_E_clISt17integral_constantIbLb1EES1U_EEDaS1P_S1Q_EUlS1P_E_NS1_11comp_targetILNS1_3genE4ELNS1_11target_archE910ELNS1_3gpuE8ELNS1_3repE0EEENS1_30default_config_static_selectorELNS0_4arch9wavefront6targetE1EEEvS12_.kd
    .uniform_work_group_size: 1
    .uses_dynamic_stack: false
    .vgpr_count:     0
    .vgpr_spill_count: 0
    .wavefront_size: 64
  - .args:
      - .offset:         0
        .size:           184
        .value_kind:     by_value
    .group_segment_fixed_size: 0
    .kernarg_segment_align: 8
    .kernarg_segment_size: 184
    .language:       OpenCL C
    .language_version:
      - 2
      - 0
    .max_flat_workgroup_size: 256
    .name:           _ZN7rocprim17ROCPRIM_400000_NS6detail17trampoline_kernelINS0_13select_configILj256ELj13ELNS0_17block_load_methodE3ELS4_3ELS4_3ELNS0_20block_scan_algorithmE0ELj4294967295EEENS1_25partition_config_selectorILNS1_17partition_subalgoE4EjNS0_10empty_typeEbEEZZNS1_14partition_implILS8_4ELb0ES6_15HIP_vector_typeIjLj2EENS0_17counting_iteratorIjlEEPS9_SG_NS0_5tupleIJPjSI_NS0_16reverse_iteratorISI_EEEEENSH_IJSG_SG_SG_EEES9_SI_JZNS1_25segmented_radix_sort_implINS0_14default_configELb0EPKbPbPKlPlN2at6native12_GLOBAL__N_18offset_tEEE10hipError_tPvRmT1_PNSt15iterator_traitsIS12_E10value_typeET2_T3_PNS13_IS18_E10value_typeET4_jRbjT5_S1E_jjP12ihipStream_tbEUljE_ZNSN_ISO_Lb0ESQ_SR_ST_SU_SY_EESZ_S10_S11_S12_S16_S17_S18_S1B_S1C_jS1D_jS1E_S1E_jjS1G_bEUljE0_EEESZ_S10_S11_S18_S1C_S1E_T6_T7_T9_mT8_S1G_bDpT10_ENKUlT_T0_E_clISt17integral_constantIbLb1EES1U_EEDaS1P_S1Q_EUlS1P_E_NS1_11comp_targetILNS1_3genE3ELNS1_11target_archE908ELNS1_3gpuE7ELNS1_3repE0EEENS1_30default_config_static_selectorELNS0_4arch9wavefront6targetE1EEEvS12_
    .private_segment_fixed_size: 0
    .sgpr_count:     4
    .sgpr_spill_count: 0
    .symbol:         _ZN7rocprim17ROCPRIM_400000_NS6detail17trampoline_kernelINS0_13select_configILj256ELj13ELNS0_17block_load_methodE3ELS4_3ELS4_3ELNS0_20block_scan_algorithmE0ELj4294967295EEENS1_25partition_config_selectorILNS1_17partition_subalgoE4EjNS0_10empty_typeEbEEZZNS1_14partition_implILS8_4ELb0ES6_15HIP_vector_typeIjLj2EENS0_17counting_iteratorIjlEEPS9_SG_NS0_5tupleIJPjSI_NS0_16reverse_iteratorISI_EEEEENSH_IJSG_SG_SG_EEES9_SI_JZNS1_25segmented_radix_sort_implINS0_14default_configELb0EPKbPbPKlPlN2at6native12_GLOBAL__N_18offset_tEEE10hipError_tPvRmT1_PNSt15iterator_traitsIS12_E10value_typeET2_T3_PNS13_IS18_E10value_typeET4_jRbjT5_S1E_jjP12ihipStream_tbEUljE_ZNSN_ISO_Lb0ESQ_SR_ST_SU_SY_EESZ_S10_S11_S12_S16_S17_S18_S1B_S1C_jS1D_jS1E_S1E_jjS1G_bEUljE0_EEESZ_S10_S11_S18_S1C_S1E_T6_T7_T9_mT8_S1G_bDpT10_ENKUlT_T0_E_clISt17integral_constantIbLb1EES1U_EEDaS1P_S1Q_EUlS1P_E_NS1_11comp_targetILNS1_3genE3ELNS1_11target_archE908ELNS1_3gpuE7ELNS1_3repE0EEENS1_30default_config_static_selectorELNS0_4arch9wavefront6targetE1EEEvS12_.kd
    .uniform_work_group_size: 1
    .uses_dynamic_stack: false
    .vgpr_count:     0
    .vgpr_spill_count: 0
    .wavefront_size: 64
  - .args:
      - .offset:         0
        .size:           184
        .value_kind:     by_value
    .group_segment_fixed_size: 0
    .kernarg_segment_align: 8
    .kernarg_segment_size: 184
    .language:       OpenCL C
    .language_version:
      - 2
      - 0
    .max_flat_workgroup_size: 256
    .name:           _ZN7rocprim17ROCPRIM_400000_NS6detail17trampoline_kernelINS0_13select_configILj256ELj13ELNS0_17block_load_methodE3ELS4_3ELS4_3ELNS0_20block_scan_algorithmE0ELj4294967295EEENS1_25partition_config_selectorILNS1_17partition_subalgoE4EjNS0_10empty_typeEbEEZZNS1_14partition_implILS8_4ELb0ES6_15HIP_vector_typeIjLj2EENS0_17counting_iteratorIjlEEPS9_SG_NS0_5tupleIJPjSI_NS0_16reverse_iteratorISI_EEEEENSH_IJSG_SG_SG_EEES9_SI_JZNS1_25segmented_radix_sort_implINS0_14default_configELb0EPKbPbPKlPlN2at6native12_GLOBAL__N_18offset_tEEE10hipError_tPvRmT1_PNSt15iterator_traitsIS12_E10value_typeET2_T3_PNS13_IS18_E10value_typeET4_jRbjT5_S1E_jjP12ihipStream_tbEUljE_ZNSN_ISO_Lb0ESQ_SR_ST_SU_SY_EESZ_S10_S11_S12_S16_S17_S18_S1B_S1C_jS1D_jS1E_S1E_jjS1G_bEUljE0_EEESZ_S10_S11_S18_S1C_S1E_T6_T7_T9_mT8_S1G_bDpT10_ENKUlT_T0_E_clISt17integral_constantIbLb1EES1U_EEDaS1P_S1Q_EUlS1P_E_NS1_11comp_targetILNS1_3genE2ELNS1_11target_archE906ELNS1_3gpuE6ELNS1_3repE0EEENS1_30default_config_static_selectorELNS0_4arch9wavefront6targetE1EEEvS12_
    .private_segment_fixed_size: 0
    .sgpr_count:     4
    .sgpr_spill_count: 0
    .symbol:         _ZN7rocprim17ROCPRIM_400000_NS6detail17trampoline_kernelINS0_13select_configILj256ELj13ELNS0_17block_load_methodE3ELS4_3ELS4_3ELNS0_20block_scan_algorithmE0ELj4294967295EEENS1_25partition_config_selectorILNS1_17partition_subalgoE4EjNS0_10empty_typeEbEEZZNS1_14partition_implILS8_4ELb0ES6_15HIP_vector_typeIjLj2EENS0_17counting_iteratorIjlEEPS9_SG_NS0_5tupleIJPjSI_NS0_16reverse_iteratorISI_EEEEENSH_IJSG_SG_SG_EEES9_SI_JZNS1_25segmented_radix_sort_implINS0_14default_configELb0EPKbPbPKlPlN2at6native12_GLOBAL__N_18offset_tEEE10hipError_tPvRmT1_PNSt15iterator_traitsIS12_E10value_typeET2_T3_PNS13_IS18_E10value_typeET4_jRbjT5_S1E_jjP12ihipStream_tbEUljE_ZNSN_ISO_Lb0ESQ_SR_ST_SU_SY_EESZ_S10_S11_S12_S16_S17_S18_S1B_S1C_jS1D_jS1E_S1E_jjS1G_bEUljE0_EEESZ_S10_S11_S18_S1C_S1E_T6_T7_T9_mT8_S1G_bDpT10_ENKUlT_T0_E_clISt17integral_constantIbLb1EES1U_EEDaS1P_S1Q_EUlS1P_E_NS1_11comp_targetILNS1_3genE2ELNS1_11target_archE906ELNS1_3gpuE6ELNS1_3repE0EEENS1_30default_config_static_selectorELNS0_4arch9wavefront6targetE1EEEvS12_.kd
    .uniform_work_group_size: 1
    .uses_dynamic_stack: false
    .vgpr_count:     0
    .vgpr_spill_count: 0
    .wavefront_size: 64
  - .args:
      - .offset:         0
        .size:           184
        .value_kind:     by_value
    .group_segment_fixed_size: 0
    .kernarg_segment_align: 8
    .kernarg_segment_size: 184
    .language:       OpenCL C
    .language_version:
      - 2
      - 0
    .max_flat_workgroup_size: 256
    .name:           _ZN7rocprim17ROCPRIM_400000_NS6detail17trampoline_kernelINS0_13select_configILj256ELj13ELNS0_17block_load_methodE3ELS4_3ELS4_3ELNS0_20block_scan_algorithmE0ELj4294967295EEENS1_25partition_config_selectorILNS1_17partition_subalgoE4EjNS0_10empty_typeEbEEZZNS1_14partition_implILS8_4ELb0ES6_15HIP_vector_typeIjLj2EENS0_17counting_iteratorIjlEEPS9_SG_NS0_5tupleIJPjSI_NS0_16reverse_iteratorISI_EEEEENSH_IJSG_SG_SG_EEES9_SI_JZNS1_25segmented_radix_sort_implINS0_14default_configELb0EPKbPbPKlPlN2at6native12_GLOBAL__N_18offset_tEEE10hipError_tPvRmT1_PNSt15iterator_traitsIS12_E10value_typeET2_T3_PNS13_IS18_E10value_typeET4_jRbjT5_S1E_jjP12ihipStream_tbEUljE_ZNSN_ISO_Lb0ESQ_SR_ST_SU_SY_EESZ_S10_S11_S12_S16_S17_S18_S1B_S1C_jS1D_jS1E_S1E_jjS1G_bEUljE0_EEESZ_S10_S11_S18_S1C_S1E_T6_T7_T9_mT8_S1G_bDpT10_ENKUlT_T0_E_clISt17integral_constantIbLb1EES1U_EEDaS1P_S1Q_EUlS1P_E_NS1_11comp_targetILNS1_3genE10ELNS1_11target_archE1200ELNS1_3gpuE4ELNS1_3repE0EEENS1_30default_config_static_selectorELNS0_4arch9wavefront6targetE1EEEvS12_
    .private_segment_fixed_size: 0
    .sgpr_count:     4
    .sgpr_spill_count: 0
    .symbol:         _ZN7rocprim17ROCPRIM_400000_NS6detail17trampoline_kernelINS0_13select_configILj256ELj13ELNS0_17block_load_methodE3ELS4_3ELS4_3ELNS0_20block_scan_algorithmE0ELj4294967295EEENS1_25partition_config_selectorILNS1_17partition_subalgoE4EjNS0_10empty_typeEbEEZZNS1_14partition_implILS8_4ELb0ES6_15HIP_vector_typeIjLj2EENS0_17counting_iteratorIjlEEPS9_SG_NS0_5tupleIJPjSI_NS0_16reverse_iteratorISI_EEEEENSH_IJSG_SG_SG_EEES9_SI_JZNS1_25segmented_radix_sort_implINS0_14default_configELb0EPKbPbPKlPlN2at6native12_GLOBAL__N_18offset_tEEE10hipError_tPvRmT1_PNSt15iterator_traitsIS12_E10value_typeET2_T3_PNS13_IS18_E10value_typeET4_jRbjT5_S1E_jjP12ihipStream_tbEUljE_ZNSN_ISO_Lb0ESQ_SR_ST_SU_SY_EESZ_S10_S11_S12_S16_S17_S18_S1B_S1C_jS1D_jS1E_S1E_jjS1G_bEUljE0_EEESZ_S10_S11_S18_S1C_S1E_T6_T7_T9_mT8_S1G_bDpT10_ENKUlT_T0_E_clISt17integral_constantIbLb1EES1U_EEDaS1P_S1Q_EUlS1P_E_NS1_11comp_targetILNS1_3genE10ELNS1_11target_archE1200ELNS1_3gpuE4ELNS1_3repE0EEENS1_30default_config_static_selectorELNS0_4arch9wavefront6targetE1EEEvS12_.kd
    .uniform_work_group_size: 1
    .uses_dynamic_stack: false
    .vgpr_count:     0
    .vgpr_spill_count: 0
    .wavefront_size: 64
  - .args:
      - .offset:         0
        .size:           184
        .value_kind:     by_value
    .group_segment_fixed_size: 0
    .kernarg_segment_align: 8
    .kernarg_segment_size: 184
    .language:       OpenCL C
    .language_version:
      - 2
      - 0
    .max_flat_workgroup_size: 256
    .name:           _ZN7rocprim17ROCPRIM_400000_NS6detail17trampoline_kernelINS0_13select_configILj256ELj13ELNS0_17block_load_methodE3ELS4_3ELS4_3ELNS0_20block_scan_algorithmE0ELj4294967295EEENS1_25partition_config_selectorILNS1_17partition_subalgoE4EjNS0_10empty_typeEbEEZZNS1_14partition_implILS8_4ELb0ES6_15HIP_vector_typeIjLj2EENS0_17counting_iteratorIjlEEPS9_SG_NS0_5tupleIJPjSI_NS0_16reverse_iteratorISI_EEEEENSH_IJSG_SG_SG_EEES9_SI_JZNS1_25segmented_radix_sort_implINS0_14default_configELb0EPKbPbPKlPlN2at6native12_GLOBAL__N_18offset_tEEE10hipError_tPvRmT1_PNSt15iterator_traitsIS12_E10value_typeET2_T3_PNS13_IS18_E10value_typeET4_jRbjT5_S1E_jjP12ihipStream_tbEUljE_ZNSN_ISO_Lb0ESQ_SR_ST_SU_SY_EESZ_S10_S11_S12_S16_S17_S18_S1B_S1C_jS1D_jS1E_S1E_jjS1G_bEUljE0_EEESZ_S10_S11_S18_S1C_S1E_T6_T7_T9_mT8_S1G_bDpT10_ENKUlT_T0_E_clISt17integral_constantIbLb1EES1U_EEDaS1P_S1Q_EUlS1P_E_NS1_11comp_targetILNS1_3genE9ELNS1_11target_archE1100ELNS1_3gpuE3ELNS1_3repE0EEENS1_30default_config_static_selectorELNS0_4arch9wavefront6targetE1EEEvS12_
    .private_segment_fixed_size: 0
    .sgpr_count:     4
    .sgpr_spill_count: 0
    .symbol:         _ZN7rocprim17ROCPRIM_400000_NS6detail17trampoline_kernelINS0_13select_configILj256ELj13ELNS0_17block_load_methodE3ELS4_3ELS4_3ELNS0_20block_scan_algorithmE0ELj4294967295EEENS1_25partition_config_selectorILNS1_17partition_subalgoE4EjNS0_10empty_typeEbEEZZNS1_14partition_implILS8_4ELb0ES6_15HIP_vector_typeIjLj2EENS0_17counting_iteratorIjlEEPS9_SG_NS0_5tupleIJPjSI_NS0_16reverse_iteratorISI_EEEEENSH_IJSG_SG_SG_EEES9_SI_JZNS1_25segmented_radix_sort_implINS0_14default_configELb0EPKbPbPKlPlN2at6native12_GLOBAL__N_18offset_tEEE10hipError_tPvRmT1_PNSt15iterator_traitsIS12_E10value_typeET2_T3_PNS13_IS18_E10value_typeET4_jRbjT5_S1E_jjP12ihipStream_tbEUljE_ZNSN_ISO_Lb0ESQ_SR_ST_SU_SY_EESZ_S10_S11_S12_S16_S17_S18_S1B_S1C_jS1D_jS1E_S1E_jjS1G_bEUljE0_EEESZ_S10_S11_S18_S1C_S1E_T6_T7_T9_mT8_S1G_bDpT10_ENKUlT_T0_E_clISt17integral_constantIbLb1EES1U_EEDaS1P_S1Q_EUlS1P_E_NS1_11comp_targetILNS1_3genE9ELNS1_11target_archE1100ELNS1_3gpuE3ELNS1_3repE0EEENS1_30default_config_static_selectorELNS0_4arch9wavefront6targetE1EEEvS12_.kd
    .uniform_work_group_size: 1
    .uses_dynamic_stack: false
    .vgpr_count:     0
    .vgpr_spill_count: 0
    .wavefront_size: 64
  - .args:
      - .offset:         0
        .size:           184
        .value_kind:     by_value
    .group_segment_fixed_size: 0
    .kernarg_segment_align: 8
    .kernarg_segment_size: 184
    .language:       OpenCL C
    .language_version:
      - 2
      - 0
    .max_flat_workgroup_size: 256
    .name:           _ZN7rocprim17ROCPRIM_400000_NS6detail17trampoline_kernelINS0_13select_configILj256ELj13ELNS0_17block_load_methodE3ELS4_3ELS4_3ELNS0_20block_scan_algorithmE0ELj4294967295EEENS1_25partition_config_selectorILNS1_17partition_subalgoE4EjNS0_10empty_typeEbEEZZNS1_14partition_implILS8_4ELb0ES6_15HIP_vector_typeIjLj2EENS0_17counting_iteratorIjlEEPS9_SG_NS0_5tupleIJPjSI_NS0_16reverse_iteratorISI_EEEEENSH_IJSG_SG_SG_EEES9_SI_JZNS1_25segmented_radix_sort_implINS0_14default_configELb0EPKbPbPKlPlN2at6native12_GLOBAL__N_18offset_tEEE10hipError_tPvRmT1_PNSt15iterator_traitsIS12_E10value_typeET2_T3_PNS13_IS18_E10value_typeET4_jRbjT5_S1E_jjP12ihipStream_tbEUljE_ZNSN_ISO_Lb0ESQ_SR_ST_SU_SY_EESZ_S10_S11_S12_S16_S17_S18_S1B_S1C_jS1D_jS1E_S1E_jjS1G_bEUljE0_EEESZ_S10_S11_S18_S1C_S1E_T6_T7_T9_mT8_S1G_bDpT10_ENKUlT_T0_E_clISt17integral_constantIbLb1EES1U_EEDaS1P_S1Q_EUlS1P_E_NS1_11comp_targetILNS1_3genE8ELNS1_11target_archE1030ELNS1_3gpuE2ELNS1_3repE0EEENS1_30default_config_static_selectorELNS0_4arch9wavefront6targetE1EEEvS12_
    .private_segment_fixed_size: 0
    .sgpr_count:     4
    .sgpr_spill_count: 0
    .symbol:         _ZN7rocprim17ROCPRIM_400000_NS6detail17trampoline_kernelINS0_13select_configILj256ELj13ELNS0_17block_load_methodE3ELS4_3ELS4_3ELNS0_20block_scan_algorithmE0ELj4294967295EEENS1_25partition_config_selectorILNS1_17partition_subalgoE4EjNS0_10empty_typeEbEEZZNS1_14partition_implILS8_4ELb0ES6_15HIP_vector_typeIjLj2EENS0_17counting_iteratorIjlEEPS9_SG_NS0_5tupleIJPjSI_NS0_16reverse_iteratorISI_EEEEENSH_IJSG_SG_SG_EEES9_SI_JZNS1_25segmented_radix_sort_implINS0_14default_configELb0EPKbPbPKlPlN2at6native12_GLOBAL__N_18offset_tEEE10hipError_tPvRmT1_PNSt15iterator_traitsIS12_E10value_typeET2_T3_PNS13_IS18_E10value_typeET4_jRbjT5_S1E_jjP12ihipStream_tbEUljE_ZNSN_ISO_Lb0ESQ_SR_ST_SU_SY_EESZ_S10_S11_S12_S16_S17_S18_S1B_S1C_jS1D_jS1E_S1E_jjS1G_bEUljE0_EEESZ_S10_S11_S18_S1C_S1E_T6_T7_T9_mT8_S1G_bDpT10_ENKUlT_T0_E_clISt17integral_constantIbLb1EES1U_EEDaS1P_S1Q_EUlS1P_E_NS1_11comp_targetILNS1_3genE8ELNS1_11target_archE1030ELNS1_3gpuE2ELNS1_3repE0EEENS1_30default_config_static_selectorELNS0_4arch9wavefront6targetE1EEEvS12_.kd
    .uniform_work_group_size: 1
    .uses_dynamic_stack: false
    .vgpr_count:     0
    .vgpr_spill_count: 0
    .wavefront_size: 64
  - .args:
      - .offset:         0
        .size:           176
        .value_kind:     by_value
    .group_segment_fixed_size: 0
    .kernarg_segment_align: 8
    .kernarg_segment_size: 176
    .language:       OpenCL C
    .language_version:
      - 2
      - 0
    .max_flat_workgroup_size: 256
    .name:           _ZN7rocprim17ROCPRIM_400000_NS6detail17trampoline_kernelINS0_13select_configILj256ELj13ELNS0_17block_load_methodE3ELS4_3ELS4_3ELNS0_20block_scan_algorithmE0ELj4294967295EEENS1_25partition_config_selectorILNS1_17partition_subalgoE4EjNS0_10empty_typeEbEEZZNS1_14partition_implILS8_4ELb0ES6_15HIP_vector_typeIjLj2EENS0_17counting_iteratorIjlEEPS9_SG_NS0_5tupleIJPjSI_NS0_16reverse_iteratorISI_EEEEENSH_IJSG_SG_SG_EEES9_SI_JZNS1_25segmented_radix_sort_implINS0_14default_configELb0EPKbPbPKlPlN2at6native12_GLOBAL__N_18offset_tEEE10hipError_tPvRmT1_PNSt15iterator_traitsIS12_E10value_typeET2_T3_PNS13_IS18_E10value_typeET4_jRbjT5_S1E_jjP12ihipStream_tbEUljE_ZNSN_ISO_Lb0ESQ_SR_ST_SU_SY_EESZ_S10_S11_S12_S16_S17_S18_S1B_S1C_jS1D_jS1E_S1E_jjS1G_bEUljE0_EEESZ_S10_S11_S18_S1C_S1E_T6_T7_T9_mT8_S1G_bDpT10_ENKUlT_T0_E_clISt17integral_constantIbLb1EES1T_IbLb0EEEEDaS1P_S1Q_EUlS1P_E_NS1_11comp_targetILNS1_3genE0ELNS1_11target_archE4294967295ELNS1_3gpuE0ELNS1_3repE0EEENS1_30default_config_static_selectorELNS0_4arch9wavefront6targetE1EEEvS12_
    .private_segment_fixed_size: 0
    .sgpr_count:     4
    .sgpr_spill_count: 0
    .symbol:         _ZN7rocprim17ROCPRIM_400000_NS6detail17trampoline_kernelINS0_13select_configILj256ELj13ELNS0_17block_load_methodE3ELS4_3ELS4_3ELNS0_20block_scan_algorithmE0ELj4294967295EEENS1_25partition_config_selectorILNS1_17partition_subalgoE4EjNS0_10empty_typeEbEEZZNS1_14partition_implILS8_4ELb0ES6_15HIP_vector_typeIjLj2EENS0_17counting_iteratorIjlEEPS9_SG_NS0_5tupleIJPjSI_NS0_16reverse_iteratorISI_EEEEENSH_IJSG_SG_SG_EEES9_SI_JZNS1_25segmented_radix_sort_implINS0_14default_configELb0EPKbPbPKlPlN2at6native12_GLOBAL__N_18offset_tEEE10hipError_tPvRmT1_PNSt15iterator_traitsIS12_E10value_typeET2_T3_PNS13_IS18_E10value_typeET4_jRbjT5_S1E_jjP12ihipStream_tbEUljE_ZNSN_ISO_Lb0ESQ_SR_ST_SU_SY_EESZ_S10_S11_S12_S16_S17_S18_S1B_S1C_jS1D_jS1E_S1E_jjS1G_bEUljE0_EEESZ_S10_S11_S18_S1C_S1E_T6_T7_T9_mT8_S1G_bDpT10_ENKUlT_T0_E_clISt17integral_constantIbLb1EES1T_IbLb0EEEEDaS1P_S1Q_EUlS1P_E_NS1_11comp_targetILNS1_3genE0ELNS1_11target_archE4294967295ELNS1_3gpuE0ELNS1_3repE0EEENS1_30default_config_static_selectorELNS0_4arch9wavefront6targetE1EEEvS12_.kd
    .uniform_work_group_size: 1
    .uses_dynamic_stack: false
    .vgpr_count:     0
    .vgpr_spill_count: 0
    .wavefront_size: 64
  - .args:
      - .offset:         0
        .size:           176
        .value_kind:     by_value
    .group_segment_fixed_size: 0
    .kernarg_segment_align: 8
    .kernarg_segment_size: 176
    .language:       OpenCL C
    .language_version:
      - 2
      - 0
    .max_flat_workgroup_size: 256
    .name:           _ZN7rocprim17ROCPRIM_400000_NS6detail17trampoline_kernelINS0_13select_configILj256ELj13ELNS0_17block_load_methodE3ELS4_3ELS4_3ELNS0_20block_scan_algorithmE0ELj4294967295EEENS1_25partition_config_selectorILNS1_17partition_subalgoE4EjNS0_10empty_typeEbEEZZNS1_14partition_implILS8_4ELb0ES6_15HIP_vector_typeIjLj2EENS0_17counting_iteratorIjlEEPS9_SG_NS0_5tupleIJPjSI_NS0_16reverse_iteratorISI_EEEEENSH_IJSG_SG_SG_EEES9_SI_JZNS1_25segmented_radix_sort_implINS0_14default_configELb0EPKbPbPKlPlN2at6native12_GLOBAL__N_18offset_tEEE10hipError_tPvRmT1_PNSt15iterator_traitsIS12_E10value_typeET2_T3_PNS13_IS18_E10value_typeET4_jRbjT5_S1E_jjP12ihipStream_tbEUljE_ZNSN_ISO_Lb0ESQ_SR_ST_SU_SY_EESZ_S10_S11_S12_S16_S17_S18_S1B_S1C_jS1D_jS1E_S1E_jjS1G_bEUljE0_EEESZ_S10_S11_S18_S1C_S1E_T6_T7_T9_mT8_S1G_bDpT10_ENKUlT_T0_E_clISt17integral_constantIbLb1EES1T_IbLb0EEEEDaS1P_S1Q_EUlS1P_E_NS1_11comp_targetILNS1_3genE5ELNS1_11target_archE942ELNS1_3gpuE9ELNS1_3repE0EEENS1_30default_config_static_selectorELNS0_4arch9wavefront6targetE1EEEvS12_
    .private_segment_fixed_size: 0
    .sgpr_count:     4
    .sgpr_spill_count: 0
    .symbol:         _ZN7rocprim17ROCPRIM_400000_NS6detail17trampoline_kernelINS0_13select_configILj256ELj13ELNS0_17block_load_methodE3ELS4_3ELS4_3ELNS0_20block_scan_algorithmE0ELj4294967295EEENS1_25partition_config_selectorILNS1_17partition_subalgoE4EjNS0_10empty_typeEbEEZZNS1_14partition_implILS8_4ELb0ES6_15HIP_vector_typeIjLj2EENS0_17counting_iteratorIjlEEPS9_SG_NS0_5tupleIJPjSI_NS0_16reverse_iteratorISI_EEEEENSH_IJSG_SG_SG_EEES9_SI_JZNS1_25segmented_radix_sort_implINS0_14default_configELb0EPKbPbPKlPlN2at6native12_GLOBAL__N_18offset_tEEE10hipError_tPvRmT1_PNSt15iterator_traitsIS12_E10value_typeET2_T3_PNS13_IS18_E10value_typeET4_jRbjT5_S1E_jjP12ihipStream_tbEUljE_ZNSN_ISO_Lb0ESQ_SR_ST_SU_SY_EESZ_S10_S11_S12_S16_S17_S18_S1B_S1C_jS1D_jS1E_S1E_jjS1G_bEUljE0_EEESZ_S10_S11_S18_S1C_S1E_T6_T7_T9_mT8_S1G_bDpT10_ENKUlT_T0_E_clISt17integral_constantIbLb1EES1T_IbLb0EEEEDaS1P_S1Q_EUlS1P_E_NS1_11comp_targetILNS1_3genE5ELNS1_11target_archE942ELNS1_3gpuE9ELNS1_3repE0EEENS1_30default_config_static_selectorELNS0_4arch9wavefront6targetE1EEEvS12_.kd
    .uniform_work_group_size: 1
    .uses_dynamic_stack: false
    .vgpr_count:     0
    .vgpr_spill_count: 0
    .wavefront_size: 64
  - .args:
      - .offset:         0
        .size:           176
        .value_kind:     by_value
    .group_segment_fixed_size: 0
    .kernarg_segment_align: 8
    .kernarg_segment_size: 176
    .language:       OpenCL C
    .language_version:
      - 2
      - 0
    .max_flat_workgroup_size: 256
    .name:           _ZN7rocprim17ROCPRIM_400000_NS6detail17trampoline_kernelINS0_13select_configILj256ELj13ELNS0_17block_load_methodE3ELS4_3ELS4_3ELNS0_20block_scan_algorithmE0ELj4294967295EEENS1_25partition_config_selectorILNS1_17partition_subalgoE4EjNS0_10empty_typeEbEEZZNS1_14partition_implILS8_4ELb0ES6_15HIP_vector_typeIjLj2EENS0_17counting_iteratorIjlEEPS9_SG_NS0_5tupleIJPjSI_NS0_16reverse_iteratorISI_EEEEENSH_IJSG_SG_SG_EEES9_SI_JZNS1_25segmented_radix_sort_implINS0_14default_configELb0EPKbPbPKlPlN2at6native12_GLOBAL__N_18offset_tEEE10hipError_tPvRmT1_PNSt15iterator_traitsIS12_E10value_typeET2_T3_PNS13_IS18_E10value_typeET4_jRbjT5_S1E_jjP12ihipStream_tbEUljE_ZNSN_ISO_Lb0ESQ_SR_ST_SU_SY_EESZ_S10_S11_S12_S16_S17_S18_S1B_S1C_jS1D_jS1E_S1E_jjS1G_bEUljE0_EEESZ_S10_S11_S18_S1C_S1E_T6_T7_T9_mT8_S1G_bDpT10_ENKUlT_T0_E_clISt17integral_constantIbLb1EES1T_IbLb0EEEEDaS1P_S1Q_EUlS1P_E_NS1_11comp_targetILNS1_3genE4ELNS1_11target_archE910ELNS1_3gpuE8ELNS1_3repE0EEENS1_30default_config_static_selectorELNS0_4arch9wavefront6targetE1EEEvS12_
    .private_segment_fixed_size: 0
    .sgpr_count:     4
    .sgpr_spill_count: 0
    .symbol:         _ZN7rocprim17ROCPRIM_400000_NS6detail17trampoline_kernelINS0_13select_configILj256ELj13ELNS0_17block_load_methodE3ELS4_3ELS4_3ELNS0_20block_scan_algorithmE0ELj4294967295EEENS1_25partition_config_selectorILNS1_17partition_subalgoE4EjNS0_10empty_typeEbEEZZNS1_14partition_implILS8_4ELb0ES6_15HIP_vector_typeIjLj2EENS0_17counting_iteratorIjlEEPS9_SG_NS0_5tupleIJPjSI_NS0_16reverse_iteratorISI_EEEEENSH_IJSG_SG_SG_EEES9_SI_JZNS1_25segmented_radix_sort_implINS0_14default_configELb0EPKbPbPKlPlN2at6native12_GLOBAL__N_18offset_tEEE10hipError_tPvRmT1_PNSt15iterator_traitsIS12_E10value_typeET2_T3_PNS13_IS18_E10value_typeET4_jRbjT5_S1E_jjP12ihipStream_tbEUljE_ZNSN_ISO_Lb0ESQ_SR_ST_SU_SY_EESZ_S10_S11_S12_S16_S17_S18_S1B_S1C_jS1D_jS1E_S1E_jjS1G_bEUljE0_EEESZ_S10_S11_S18_S1C_S1E_T6_T7_T9_mT8_S1G_bDpT10_ENKUlT_T0_E_clISt17integral_constantIbLb1EES1T_IbLb0EEEEDaS1P_S1Q_EUlS1P_E_NS1_11comp_targetILNS1_3genE4ELNS1_11target_archE910ELNS1_3gpuE8ELNS1_3repE0EEENS1_30default_config_static_selectorELNS0_4arch9wavefront6targetE1EEEvS12_.kd
    .uniform_work_group_size: 1
    .uses_dynamic_stack: false
    .vgpr_count:     0
    .vgpr_spill_count: 0
    .wavefront_size: 64
  - .args:
      - .offset:         0
        .size:           176
        .value_kind:     by_value
    .group_segment_fixed_size: 0
    .kernarg_segment_align: 8
    .kernarg_segment_size: 176
    .language:       OpenCL C
    .language_version:
      - 2
      - 0
    .max_flat_workgroup_size: 256
    .name:           _ZN7rocprim17ROCPRIM_400000_NS6detail17trampoline_kernelINS0_13select_configILj256ELj13ELNS0_17block_load_methodE3ELS4_3ELS4_3ELNS0_20block_scan_algorithmE0ELj4294967295EEENS1_25partition_config_selectorILNS1_17partition_subalgoE4EjNS0_10empty_typeEbEEZZNS1_14partition_implILS8_4ELb0ES6_15HIP_vector_typeIjLj2EENS0_17counting_iteratorIjlEEPS9_SG_NS0_5tupleIJPjSI_NS0_16reverse_iteratorISI_EEEEENSH_IJSG_SG_SG_EEES9_SI_JZNS1_25segmented_radix_sort_implINS0_14default_configELb0EPKbPbPKlPlN2at6native12_GLOBAL__N_18offset_tEEE10hipError_tPvRmT1_PNSt15iterator_traitsIS12_E10value_typeET2_T3_PNS13_IS18_E10value_typeET4_jRbjT5_S1E_jjP12ihipStream_tbEUljE_ZNSN_ISO_Lb0ESQ_SR_ST_SU_SY_EESZ_S10_S11_S12_S16_S17_S18_S1B_S1C_jS1D_jS1E_S1E_jjS1G_bEUljE0_EEESZ_S10_S11_S18_S1C_S1E_T6_T7_T9_mT8_S1G_bDpT10_ENKUlT_T0_E_clISt17integral_constantIbLb1EES1T_IbLb0EEEEDaS1P_S1Q_EUlS1P_E_NS1_11comp_targetILNS1_3genE3ELNS1_11target_archE908ELNS1_3gpuE7ELNS1_3repE0EEENS1_30default_config_static_selectorELNS0_4arch9wavefront6targetE1EEEvS12_
    .private_segment_fixed_size: 0
    .sgpr_count:     4
    .sgpr_spill_count: 0
    .symbol:         _ZN7rocprim17ROCPRIM_400000_NS6detail17trampoline_kernelINS0_13select_configILj256ELj13ELNS0_17block_load_methodE3ELS4_3ELS4_3ELNS0_20block_scan_algorithmE0ELj4294967295EEENS1_25partition_config_selectorILNS1_17partition_subalgoE4EjNS0_10empty_typeEbEEZZNS1_14partition_implILS8_4ELb0ES6_15HIP_vector_typeIjLj2EENS0_17counting_iteratorIjlEEPS9_SG_NS0_5tupleIJPjSI_NS0_16reverse_iteratorISI_EEEEENSH_IJSG_SG_SG_EEES9_SI_JZNS1_25segmented_radix_sort_implINS0_14default_configELb0EPKbPbPKlPlN2at6native12_GLOBAL__N_18offset_tEEE10hipError_tPvRmT1_PNSt15iterator_traitsIS12_E10value_typeET2_T3_PNS13_IS18_E10value_typeET4_jRbjT5_S1E_jjP12ihipStream_tbEUljE_ZNSN_ISO_Lb0ESQ_SR_ST_SU_SY_EESZ_S10_S11_S12_S16_S17_S18_S1B_S1C_jS1D_jS1E_S1E_jjS1G_bEUljE0_EEESZ_S10_S11_S18_S1C_S1E_T6_T7_T9_mT8_S1G_bDpT10_ENKUlT_T0_E_clISt17integral_constantIbLb1EES1T_IbLb0EEEEDaS1P_S1Q_EUlS1P_E_NS1_11comp_targetILNS1_3genE3ELNS1_11target_archE908ELNS1_3gpuE7ELNS1_3repE0EEENS1_30default_config_static_selectorELNS0_4arch9wavefront6targetE1EEEvS12_.kd
    .uniform_work_group_size: 1
    .uses_dynamic_stack: false
    .vgpr_count:     0
    .vgpr_spill_count: 0
    .wavefront_size: 64
  - .args:
      - .offset:         0
        .size:           176
        .value_kind:     by_value
    .group_segment_fixed_size: 0
    .kernarg_segment_align: 8
    .kernarg_segment_size: 176
    .language:       OpenCL C
    .language_version:
      - 2
      - 0
    .max_flat_workgroup_size: 256
    .name:           _ZN7rocprim17ROCPRIM_400000_NS6detail17trampoline_kernelINS0_13select_configILj256ELj13ELNS0_17block_load_methodE3ELS4_3ELS4_3ELNS0_20block_scan_algorithmE0ELj4294967295EEENS1_25partition_config_selectorILNS1_17partition_subalgoE4EjNS0_10empty_typeEbEEZZNS1_14partition_implILS8_4ELb0ES6_15HIP_vector_typeIjLj2EENS0_17counting_iteratorIjlEEPS9_SG_NS0_5tupleIJPjSI_NS0_16reverse_iteratorISI_EEEEENSH_IJSG_SG_SG_EEES9_SI_JZNS1_25segmented_radix_sort_implINS0_14default_configELb0EPKbPbPKlPlN2at6native12_GLOBAL__N_18offset_tEEE10hipError_tPvRmT1_PNSt15iterator_traitsIS12_E10value_typeET2_T3_PNS13_IS18_E10value_typeET4_jRbjT5_S1E_jjP12ihipStream_tbEUljE_ZNSN_ISO_Lb0ESQ_SR_ST_SU_SY_EESZ_S10_S11_S12_S16_S17_S18_S1B_S1C_jS1D_jS1E_S1E_jjS1G_bEUljE0_EEESZ_S10_S11_S18_S1C_S1E_T6_T7_T9_mT8_S1G_bDpT10_ENKUlT_T0_E_clISt17integral_constantIbLb1EES1T_IbLb0EEEEDaS1P_S1Q_EUlS1P_E_NS1_11comp_targetILNS1_3genE2ELNS1_11target_archE906ELNS1_3gpuE6ELNS1_3repE0EEENS1_30default_config_static_selectorELNS0_4arch9wavefront6targetE1EEEvS12_
    .private_segment_fixed_size: 0
    .sgpr_count:     4
    .sgpr_spill_count: 0
    .symbol:         _ZN7rocprim17ROCPRIM_400000_NS6detail17trampoline_kernelINS0_13select_configILj256ELj13ELNS0_17block_load_methodE3ELS4_3ELS4_3ELNS0_20block_scan_algorithmE0ELj4294967295EEENS1_25partition_config_selectorILNS1_17partition_subalgoE4EjNS0_10empty_typeEbEEZZNS1_14partition_implILS8_4ELb0ES6_15HIP_vector_typeIjLj2EENS0_17counting_iteratorIjlEEPS9_SG_NS0_5tupleIJPjSI_NS0_16reverse_iteratorISI_EEEEENSH_IJSG_SG_SG_EEES9_SI_JZNS1_25segmented_radix_sort_implINS0_14default_configELb0EPKbPbPKlPlN2at6native12_GLOBAL__N_18offset_tEEE10hipError_tPvRmT1_PNSt15iterator_traitsIS12_E10value_typeET2_T3_PNS13_IS18_E10value_typeET4_jRbjT5_S1E_jjP12ihipStream_tbEUljE_ZNSN_ISO_Lb0ESQ_SR_ST_SU_SY_EESZ_S10_S11_S12_S16_S17_S18_S1B_S1C_jS1D_jS1E_S1E_jjS1G_bEUljE0_EEESZ_S10_S11_S18_S1C_S1E_T6_T7_T9_mT8_S1G_bDpT10_ENKUlT_T0_E_clISt17integral_constantIbLb1EES1T_IbLb0EEEEDaS1P_S1Q_EUlS1P_E_NS1_11comp_targetILNS1_3genE2ELNS1_11target_archE906ELNS1_3gpuE6ELNS1_3repE0EEENS1_30default_config_static_selectorELNS0_4arch9wavefront6targetE1EEEvS12_.kd
    .uniform_work_group_size: 1
    .uses_dynamic_stack: false
    .vgpr_count:     0
    .vgpr_spill_count: 0
    .wavefront_size: 64
  - .args:
      - .offset:         0
        .size:           176
        .value_kind:     by_value
    .group_segment_fixed_size: 0
    .kernarg_segment_align: 8
    .kernarg_segment_size: 176
    .language:       OpenCL C
    .language_version:
      - 2
      - 0
    .max_flat_workgroup_size: 256
    .name:           _ZN7rocprim17ROCPRIM_400000_NS6detail17trampoline_kernelINS0_13select_configILj256ELj13ELNS0_17block_load_methodE3ELS4_3ELS4_3ELNS0_20block_scan_algorithmE0ELj4294967295EEENS1_25partition_config_selectorILNS1_17partition_subalgoE4EjNS0_10empty_typeEbEEZZNS1_14partition_implILS8_4ELb0ES6_15HIP_vector_typeIjLj2EENS0_17counting_iteratorIjlEEPS9_SG_NS0_5tupleIJPjSI_NS0_16reverse_iteratorISI_EEEEENSH_IJSG_SG_SG_EEES9_SI_JZNS1_25segmented_radix_sort_implINS0_14default_configELb0EPKbPbPKlPlN2at6native12_GLOBAL__N_18offset_tEEE10hipError_tPvRmT1_PNSt15iterator_traitsIS12_E10value_typeET2_T3_PNS13_IS18_E10value_typeET4_jRbjT5_S1E_jjP12ihipStream_tbEUljE_ZNSN_ISO_Lb0ESQ_SR_ST_SU_SY_EESZ_S10_S11_S12_S16_S17_S18_S1B_S1C_jS1D_jS1E_S1E_jjS1G_bEUljE0_EEESZ_S10_S11_S18_S1C_S1E_T6_T7_T9_mT8_S1G_bDpT10_ENKUlT_T0_E_clISt17integral_constantIbLb1EES1T_IbLb0EEEEDaS1P_S1Q_EUlS1P_E_NS1_11comp_targetILNS1_3genE10ELNS1_11target_archE1200ELNS1_3gpuE4ELNS1_3repE0EEENS1_30default_config_static_selectorELNS0_4arch9wavefront6targetE1EEEvS12_
    .private_segment_fixed_size: 0
    .sgpr_count:     4
    .sgpr_spill_count: 0
    .symbol:         _ZN7rocprim17ROCPRIM_400000_NS6detail17trampoline_kernelINS0_13select_configILj256ELj13ELNS0_17block_load_methodE3ELS4_3ELS4_3ELNS0_20block_scan_algorithmE0ELj4294967295EEENS1_25partition_config_selectorILNS1_17partition_subalgoE4EjNS0_10empty_typeEbEEZZNS1_14partition_implILS8_4ELb0ES6_15HIP_vector_typeIjLj2EENS0_17counting_iteratorIjlEEPS9_SG_NS0_5tupleIJPjSI_NS0_16reverse_iteratorISI_EEEEENSH_IJSG_SG_SG_EEES9_SI_JZNS1_25segmented_radix_sort_implINS0_14default_configELb0EPKbPbPKlPlN2at6native12_GLOBAL__N_18offset_tEEE10hipError_tPvRmT1_PNSt15iterator_traitsIS12_E10value_typeET2_T3_PNS13_IS18_E10value_typeET4_jRbjT5_S1E_jjP12ihipStream_tbEUljE_ZNSN_ISO_Lb0ESQ_SR_ST_SU_SY_EESZ_S10_S11_S12_S16_S17_S18_S1B_S1C_jS1D_jS1E_S1E_jjS1G_bEUljE0_EEESZ_S10_S11_S18_S1C_S1E_T6_T7_T9_mT8_S1G_bDpT10_ENKUlT_T0_E_clISt17integral_constantIbLb1EES1T_IbLb0EEEEDaS1P_S1Q_EUlS1P_E_NS1_11comp_targetILNS1_3genE10ELNS1_11target_archE1200ELNS1_3gpuE4ELNS1_3repE0EEENS1_30default_config_static_selectorELNS0_4arch9wavefront6targetE1EEEvS12_.kd
    .uniform_work_group_size: 1
    .uses_dynamic_stack: false
    .vgpr_count:     0
    .vgpr_spill_count: 0
    .wavefront_size: 64
  - .args:
      - .offset:         0
        .size:           176
        .value_kind:     by_value
    .group_segment_fixed_size: 0
    .kernarg_segment_align: 8
    .kernarg_segment_size: 176
    .language:       OpenCL C
    .language_version:
      - 2
      - 0
    .max_flat_workgroup_size: 256
    .name:           _ZN7rocprim17ROCPRIM_400000_NS6detail17trampoline_kernelINS0_13select_configILj256ELj13ELNS0_17block_load_methodE3ELS4_3ELS4_3ELNS0_20block_scan_algorithmE0ELj4294967295EEENS1_25partition_config_selectorILNS1_17partition_subalgoE4EjNS0_10empty_typeEbEEZZNS1_14partition_implILS8_4ELb0ES6_15HIP_vector_typeIjLj2EENS0_17counting_iteratorIjlEEPS9_SG_NS0_5tupleIJPjSI_NS0_16reverse_iteratorISI_EEEEENSH_IJSG_SG_SG_EEES9_SI_JZNS1_25segmented_radix_sort_implINS0_14default_configELb0EPKbPbPKlPlN2at6native12_GLOBAL__N_18offset_tEEE10hipError_tPvRmT1_PNSt15iterator_traitsIS12_E10value_typeET2_T3_PNS13_IS18_E10value_typeET4_jRbjT5_S1E_jjP12ihipStream_tbEUljE_ZNSN_ISO_Lb0ESQ_SR_ST_SU_SY_EESZ_S10_S11_S12_S16_S17_S18_S1B_S1C_jS1D_jS1E_S1E_jjS1G_bEUljE0_EEESZ_S10_S11_S18_S1C_S1E_T6_T7_T9_mT8_S1G_bDpT10_ENKUlT_T0_E_clISt17integral_constantIbLb1EES1T_IbLb0EEEEDaS1P_S1Q_EUlS1P_E_NS1_11comp_targetILNS1_3genE9ELNS1_11target_archE1100ELNS1_3gpuE3ELNS1_3repE0EEENS1_30default_config_static_selectorELNS0_4arch9wavefront6targetE1EEEvS12_
    .private_segment_fixed_size: 0
    .sgpr_count:     4
    .sgpr_spill_count: 0
    .symbol:         _ZN7rocprim17ROCPRIM_400000_NS6detail17trampoline_kernelINS0_13select_configILj256ELj13ELNS0_17block_load_methodE3ELS4_3ELS4_3ELNS0_20block_scan_algorithmE0ELj4294967295EEENS1_25partition_config_selectorILNS1_17partition_subalgoE4EjNS0_10empty_typeEbEEZZNS1_14partition_implILS8_4ELb0ES6_15HIP_vector_typeIjLj2EENS0_17counting_iteratorIjlEEPS9_SG_NS0_5tupleIJPjSI_NS0_16reverse_iteratorISI_EEEEENSH_IJSG_SG_SG_EEES9_SI_JZNS1_25segmented_radix_sort_implINS0_14default_configELb0EPKbPbPKlPlN2at6native12_GLOBAL__N_18offset_tEEE10hipError_tPvRmT1_PNSt15iterator_traitsIS12_E10value_typeET2_T3_PNS13_IS18_E10value_typeET4_jRbjT5_S1E_jjP12ihipStream_tbEUljE_ZNSN_ISO_Lb0ESQ_SR_ST_SU_SY_EESZ_S10_S11_S12_S16_S17_S18_S1B_S1C_jS1D_jS1E_S1E_jjS1G_bEUljE0_EEESZ_S10_S11_S18_S1C_S1E_T6_T7_T9_mT8_S1G_bDpT10_ENKUlT_T0_E_clISt17integral_constantIbLb1EES1T_IbLb0EEEEDaS1P_S1Q_EUlS1P_E_NS1_11comp_targetILNS1_3genE9ELNS1_11target_archE1100ELNS1_3gpuE3ELNS1_3repE0EEENS1_30default_config_static_selectorELNS0_4arch9wavefront6targetE1EEEvS12_.kd
    .uniform_work_group_size: 1
    .uses_dynamic_stack: false
    .vgpr_count:     0
    .vgpr_spill_count: 0
    .wavefront_size: 64
  - .args:
      - .offset:         0
        .size:           176
        .value_kind:     by_value
    .group_segment_fixed_size: 0
    .kernarg_segment_align: 8
    .kernarg_segment_size: 176
    .language:       OpenCL C
    .language_version:
      - 2
      - 0
    .max_flat_workgroup_size: 256
    .name:           _ZN7rocprim17ROCPRIM_400000_NS6detail17trampoline_kernelINS0_13select_configILj256ELj13ELNS0_17block_load_methodE3ELS4_3ELS4_3ELNS0_20block_scan_algorithmE0ELj4294967295EEENS1_25partition_config_selectorILNS1_17partition_subalgoE4EjNS0_10empty_typeEbEEZZNS1_14partition_implILS8_4ELb0ES6_15HIP_vector_typeIjLj2EENS0_17counting_iteratorIjlEEPS9_SG_NS0_5tupleIJPjSI_NS0_16reverse_iteratorISI_EEEEENSH_IJSG_SG_SG_EEES9_SI_JZNS1_25segmented_radix_sort_implINS0_14default_configELb0EPKbPbPKlPlN2at6native12_GLOBAL__N_18offset_tEEE10hipError_tPvRmT1_PNSt15iterator_traitsIS12_E10value_typeET2_T3_PNS13_IS18_E10value_typeET4_jRbjT5_S1E_jjP12ihipStream_tbEUljE_ZNSN_ISO_Lb0ESQ_SR_ST_SU_SY_EESZ_S10_S11_S12_S16_S17_S18_S1B_S1C_jS1D_jS1E_S1E_jjS1G_bEUljE0_EEESZ_S10_S11_S18_S1C_S1E_T6_T7_T9_mT8_S1G_bDpT10_ENKUlT_T0_E_clISt17integral_constantIbLb1EES1T_IbLb0EEEEDaS1P_S1Q_EUlS1P_E_NS1_11comp_targetILNS1_3genE8ELNS1_11target_archE1030ELNS1_3gpuE2ELNS1_3repE0EEENS1_30default_config_static_selectorELNS0_4arch9wavefront6targetE1EEEvS12_
    .private_segment_fixed_size: 0
    .sgpr_count:     4
    .sgpr_spill_count: 0
    .symbol:         _ZN7rocprim17ROCPRIM_400000_NS6detail17trampoline_kernelINS0_13select_configILj256ELj13ELNS0_17block_load_methodE3ELS4_3ELS4_3ELNS0_20block_scan_algorithmE0ELj4294967295EEENS1_25partition_config_selectorILNS1_17partition_subalgoE4EjNS0_10empty_typeEbEEZZNS1_14partition_implILS8_4ELb0ES6_15HIP_vector_typeIjLj2EENS0_17counting_iteratorIjlEEPS9_SG_NS0_5tupleIJPjSI_NS0_16reverse_iteratorISI_EEEEENSH_IJSG_SG_SG_EEES9_SI_JZNS1_25segmented_radix_sort_implINS0_14default_configELb0EPKbPbPKlPlN2at6native12_GLOBAL__N_18offset_tEEE10hipError_tPvRmT1_PNSt15iterator_traitsIS12_E10value_typeET2_T3_PNS13_IS18_E10value_typeET4_jRbjT5_S1E_jjP12ihipStream_tbEUljE_ZNSN_ISO_Lb0ESQ_SR_ST_SU_SY_EESZ_S10_S11_S12_S16_S17_S18_S1B_S1C_jS1D_jS1E_S1E_jjS1G_bEUljE0_EEESZ_S10_S11_S18_S1C_S1E_T6_T7_T9_mT8_S1G_bDpT10_ENKUlT_T0_E_clISt17integral_constantIbLb1EES1T_IbLb0EEEEDaS1P_S1Q_EUlS1P_E_NS1_11comp_targetILNS1_3genE8ELNS1_11target_archE1030ELNS1_3gpuE2ELNS1_3repE0EEENS1_30default_config_static_selectorELNS0_4arch9wavefront6targetE1EEEvS12_.kd
    .uniform_work_group_size: 1
    .uses_dynamic_stack: false
    .vgpr_count:     0
    .vgpr_spill_count: 0
    .wavefront_size: 64
  - .args:
      - .offset:         0
        .size:           184
        .value_kind:     by_value
    .group_segment_fixed_size: 0
    .kernarg_segment_align: 8
    .kernarg_segment_size: 184
    .language:       OpenCL C
    .language_version:
      - 2
      - 0
    .max_flat_workgroup_size: 256
    .name:           _ZN7rocprim17ROCPRIM_400000_NS6detail17trampoline_kernelINS0_13select_configILj256ELj13ELNS0_17block_load_methodE3ELS4_3ELS4_3ELNS0_20block_scan_algorithmE0ELj4294967295EEENS1_25partition_config_selectorILNS1_17partition_subalgoE4EjNS0_10empty_typeEbEEZZNS1_14partition_implILS8_4ELb0ES6_15HIP_vector_typeIjLj2EENS0_17counting_iteratorIjlEEPS9_SG_NS0_5tupleIJPjSI_NS0_16reverse_iteratorISI_EEEEENSH_IJSG_SG_SG_EEES9_SI_JZNS1_25segmented_radix_sort_implINS0_14default_configELb0EPKbPbPKlPlN2at6native12_GLOBAL__N_18offset_tEEE10hipError_tPvRmT1_PNSt15iterator_traitsIS12_E10value_typeET2_T3_PNS13_IS18_E10value_typeET4_jRbjT5_S1E_jjP12ihipStream_tbEUljE_ZNSN_ISO_Lb0ESQ_SR_ST_SU_SY_EESZ_S10_S11_S12_S16_S17_S18_S1B_S1C_jS1D_jS1E_S1E_jjS1G_bEUljE0_EEESZ_S10_S11_S18_S1C_S1E_T6_T7_T9_mT8_S1G_bDpT10_ENKUlT_T0_E_clISt17integral_constantIbLb0EES1T_IbLb1EEEEDaS1P_S1Q_EUlS1P_E_NS1_11comp_targetILNS1_3genE0ELNS1_11target_archE4294967295ELNS1_3gpuE0ELNS1_3repE0EEENS1_30default_config_static_selectorELNS0_4arch9wavefront6targetE1EEEvS12_
    .private_segment_fixed_size: 0
    .sgpr_count:     4
    .sgpr_spill_count: 0
    .symbol:         _ZN7rocprim17ROCPRIM_400000_NS6detail17trampoline_kernelINS0_13select_configILj256ELj13ELNS0_17block_load_methodE3ELS4_3ELS4_3ELNS0_20block_scan_algorithmE0ELj4294967295EEENS1_25partition_config_selectorILNS1_17partition_subalgoE4EjNS0_10empty_typeEbEEZZNS1_14partition_implILS8_4ELb0ES6_15HIP_vector_typeIjLj2EENS0_17counting_iteratorIjlEEPS9_SG_NS0_5tupleIJPjSI_NS0_16reverse_iteratorISI_EEEEENSH_IJSG_SG_SG_EEES9_SI_JZNS1_25segmented_radix_sort_implINS0_14default_configELb0EPKbPbPKlPlN2at6native12_GLOBAL__N_18offset_tEEE10hipError_tPvRmT1_PNSt15iterator_traitsIS12_E10value_typeET2_T3_PNS13_IS18_E10value_typeET4_jRbjT5_S1E_jjP12ihipStream_tbEUljE_ZNSN_ISO_Lb0ESQ_SR_ST_SU_SY_EESZ_S10_S11_S12_S16_S17_S18_S1B_S1C_jS1D_jS1E_S1E_jjS1G_bEUljE0_EEESZ_S10_S11_S18_S1C_S1E_T6_T7_T9_mT8_S1G_bDpT10_ENKUlT_T0_E_clISt17integral_constantIbLb0EES1T_IbLb1EEEEDaS1P_S1Q_EUlS1P_E_NS1_11comp_targetILNS1_3genE0ELNS1_11target_archE4294967295ELNS1_3gpuE0ELNS1_3repE0EEENS1_30default_config_static_selectorELNS0_4arch9wavefront6targetE1EEEvS12_.kd
    .uniform_work_group_size: 1
    .uses_dynamic_stack: false
    .vgpr_count:     0
    .vgpr_spill_count: 0
    .wavefront_size: 64
  - .args:
      - .offset:         0
        .size:           184
        .value_kind:     by_value
    .group_segment_fixed_size: 0
    .kernarg_segment_align: 8
    .kernarg_segment_size: 184
    .language:       OpenCL C
    .language_version:
      - 2
      - 0
    .max_flat_workgroup_size: 256
    .name:           _ZN7rocprim17ROCPRIM_400000_NS6detail17trampoline_kernelINS0_13select_configILj256ELj13ELNS0_17block_load_methodE3ELS4_3ELS4_3ELNS0_20block_scan_algorithmE0ELj4294967295EEENS1_25partition_config_selectorILNS1_17partition_subalgoE4EjNS0_10empty_typeEbEEZZNS1_14partition_implILS8_4ELb0ES6_15HIP_vector_typeIjLj2EENS0_17counting_iteratorIjlEEPS9_SG_NS0_5tupleIJPjSI_NS0_16reverse_iteratorISI_EEEEENSH_IJSG_SG_SG_EEES9_SI_JZNS1_25segmented_radix_sort_implINS0_14default_configELb0EPKbPbPKlPlN2at6native12_GLOBAL__N_18offset_tEEE10hipError_tPvRmT1_PNSt15iterator_traitsIS12_E10value_typeET2_T3_PNS13_IS18_E10value_typeET4_jRbjT5_S1E_jjP12ihipStream_tbEUljE_ZNSN_ISO_Lb0ESQ_SR_ST_SU_SY_EESZ_S10_S11_S12_S16_S17_S18_S1B_S1C_jS1D_jS1E_S1E_jjS1G_bEUljE0_EEESZ_S10_S11_S18_S1C_S1E_T6_T7_T9_mT8_S1G_bDpT10_ENKUlT_T0_E_clISt17integral_constantIbLb0EES1T_IbLb1EEEEDaS1P_S1Q_EUlS1P_E_NS1_11comp_targetILNS1_3genE5ELNS1_11target_archE942ELNS1_3gpuE9ELNS1_3repE0EEENS1_30default_config_static_selectorELNS0_4arch9wavefront6targetE1EEEvS12_
    .private_segment_fixed_size: 0
    .sgpr_count:     4
    .sgpr_spill_count: 0
    .symbol:         _ZN7rocprim17ROCPRIM_400000_NS6detail17trampoline_kernelINS0_13select_configILj256ELj13ELNS0_17block_load_methodE3ELS4_3ELS4_3ELNS0_20block_scan_algorithmE0ELj4294967295EEENS1_25partition_config_selectorILNS1_17partition_subalgoE4EjNS0_10empty_typeEbEEZZNS1_14partition_implILS8_4ELb0ES6_15HIP_vector_typeIjLj2EENS0_17counting_iteratorIjlEEPS9_SG_NS0_5tupleIJPjSI_NS0_16reverse_iteratorISI_EEEEENSH_IJSG_SG_SG_EEES9_SI_JZNS1_25segmented_radix_sort_implINS0_14default_configELb0EPKbPbPKlPlN2at6native12_GLOBAL__N_18offset_tEEE10hipError_tPvRmT1_PNSt15iterator_traitsIS12_E10value_typeET2_T3_PNS13_IS18_E10value_typeET4_jRbjT5_S1E_jjP12ihipStream_tbEUljE_ZNSN_ISO_Lb0ESQ_SR_ST_SU_SY_EESZ_S10_S11_S12_S16_S17_S18_S1B_S1C_jS1D_jS1E_S1E_jjS1G_bEUljE0_EEESZ_S10_S11_S18_S1C_S1E_T6_T7_T9_mT8_S1G_bDpT10_ENKUlT_T0_E_clISt17integral_constantIbLb0EES1T_IbLb1EEEEDaS1P_S1Q_EUlS1P_E_NS1_11comp_targetILNS1_3genE5ELNS1_11target_archE942ELNS1_3gpuE9ELNS1_3repE0EEENS1_30default_config_static_selectorELNS0_4arch9wavefront6targetE1EEEvS12_.kd
    .uniform_work_group_size: 1
    .uses_dynamic_stack: false
    .vgpr_count:     0
    .vgpr_spill_count: 0
    .wavefront_size: 64
  - .args:
      - .offset:         0
        .size:           184
        .value_kind:     by_value
    .group_segment_fixed_size: 0
    .kernarg_segment_align: 8
    .kernarg_segment_size: 184
    .language:       OpenCL C
    .language_version:
      - 2
      - 0
    .max_flat_workgroup_size: 256
    .name:           _ZN7rocprim17ROCPRIM_400000_NS6detail17trampoline_kernelINS0_13select_configILj256ELj13ELNS0_17block_load_methodE3ELS4_3ELS4_3ELNS0_20block_scan_algorithmE0ELj4294967295EEENS1_25partition_config_selectorILNS1_17partition_subalgoE4EjNS0_10empty_typeEbEEZZNS1_14partition_implILS8_4ELb0ES6_15HIP_vector_typeIjLj2EENS0_17counting_iteratorIjlEEPS9_SG_NS0_5tupleIJPjSI_NS0_16reverse_iteratorISI_EEEEENSH_IJSG_SG_SG_EEES9_SI_JZNS1_25segmented_radix_sort_implINS0_14default_configELb0EPKbPbPKlPlN2at6native12_GLOBAL__N_18offset_tEEE10hipError_tPvRmT1_PNSt15iterator_traitsIS12_E10value_typeET2_T3_PNS13_IS18_E10value_typeET4_jRbjT5_S1E_jjP12ihipStream_tbEUljE_ZNSN_ISO_Lb0ESQ_SR_ST_SU_SY_EESZ_S10_S11_S12_S16_S17_S18_S1B_S1C_jS1D_jS1E_S1E_jjS1G_bEUljE0_EEESZ_S10_S11_S18_S1C_S1E_T6_T7_T9_mT8_S1G_bDpT10_ENKUlT_T0_E_clISt17integral_constantIbLb0EES1T_IbLb1EEEEDaS1P_S1Q_EUlS1P_E_NS1_11comp_targetILNS1_3genE4ELNS1_11target_archE910ELNS1_3gpuE8ELNS1_3repE0EEENS1_30default_config_static_selectorELNS0_4arch9wavefront6targetE1EEEvS12_
    .private_segment_fixed_size: 0
    .sgpr_count:     4
    .sgpr_spill_count: 0
    .symbol:         _ZN7rocprim17ROCPRIM_400000_NS6detail17trampoline_kernelINS0_13select_configILj256ELj13ELNS0_17block_load_methodE3ELS4_3ELS4_3ELNS0_20block_scan_algorithmE0ELj4294967295EEENS1_25partition_config_selectorILNS1_17partition_subalgoE4EjNS0_10empty_typeEbEEZZNS1_14partition_implILS8_4ELb0ES6_15HIP_vector_typeIjLj2EENS0_17counting_iteratorIjlEEPS9_SG_NS0_5tupleIJPjSI_NS0_16reverse_iteratorISI_EEEEENSH_IJSG_SG_SG_EEES9_SI_JZNS1_25segmented_radix_sort_implINS0_14default_configELb0EPKbPbPKlPlN2at6native12_GLOBAL__N_18offset_tEEE10hipError_tPvRmT1_PNSt15iterator_traitsIS12_E10value_typeET2_T3_PNS13_IS18_E10value_typeET4_jRbjT5_S1E_jjP12ihipStream_tbEUljE_ZNSN_ISO_Lb0ESQ_SR_ST_SU_SY_EESZ_S10_S11_S12_S16_S17_S18_S1B_S1C_jS1D_jS1E_S1E_jjS1G_bEUljE0_EEESZ_S10_S11_S18_S1C_S1E_T6_T7_T9_mT8_S1G_bDpT10_ENKUlT_T0_E_clISt17integral_constantIbLb0EES1T_IbLb1EEEEDaS1P_S1Q_EUlS1P_E_NS1_11comp_targetILNS1_3genE4ELNS1_11target_archE910ELNS1_3gpuE8ELNS1_3repE0EEENS1_30default_config_static_selectorELNS0_4arch9wavefront6targetE1EEEvS12_.kd
    .uniform_work_group_size: 1
    .uses_dynamic_stack: false
    .vgpr_count:     0
    .vgpr_spill_count: 0
    .wavefront_size: 64
  - .args:
      - .offset:         0
        .size:           184
        .value_kind:     by_value
    .group_segment_fixed_size: 0
    .kernarg_segment_align: 8
    .kernarg_segment_size: 184
    .language:       OpenCL C
    .language_version:
      - 2
      - 0
    .max_flat_workgroup_size: 256
    .name:           _ZN7rocprim17ROCPRIM_400000_NS6detail17trampoline_kernelINS0_13select_configILj256ELj13ELNS0_17block_load_methodE3ELS4_3ELS4_3ELNS0_20block_scan_algorithmE0ELj4294967295EEENS1_25partition_config_selectorILNS1_17partition_subalgoE4EjNS0_10empty_typeEbEEZZNS1_14partition_implILS8_4ELb0ES6_15HIP_vector_typeIjLj2EENS0_17counting_iteratorIjlEEPS9_SG_NS0_5tupleIJPjSI_NS0_16reverse_iteratorISI_EEEEENSH_IJSG_SG_SG_EEES9_SI_JZNS1_25segmented_radix_sort_implINS0_14default_configELb0EPKbPbPKlPlN2at6native12_GLOBAL__N_18offset_tEEE10hipError_tPvRmT1_PNSt15iterator_traitsIS12_E10value_typeET2_T3_PNS13_IS18_E10value_typeET4_jRbjT5_S1E_jjP12ihipStream_tbEUljE_ZNSN_ISO_Lb0ESQ_SR_ST_SU_SY_EESZ_S10_S11_S12_S16_S17_S18_S1B_S1C_jS1D_jS1E_S1E_jjS1G_bEUljE0_EEESZ_S10_S11_S18_S1C_S1E_T6_T7_T9_mT8_S1G_bDpT10_ENKUlT_T0_E_clISt17integral_constantIbLb0EES1T_IbLb1EEEEDaS1P_S1Q_EUlS1P_E_NS1_11comp_targetILNS1_3genE3ELNS1_11target_archE908ELNS1_3gpuE7ELNS1_3repE0EEENS1_30default_config_static_selectorELNS0_4arch9wavefront6targetE1EEEvS12_
    .private_segment_fixed_size: 0
    .sgpr_count:     4
    .sgpr_spill_count: 0
    .symbol:         _ZN7rocprim17ROCPRIM_400000_NS6detail17trampoline_kernelINS0_13select_configILj256ELj13ELNS0_17block_load_methodE3ELS4_3ELS4_3ELNS0_20block_scan_algorithmE0ELj4294967295EEENS1_25partition_config_selectorILNS1_17partition_subalgoE4EjNS0_10empty_typeEbEEZZNS1_14partition_implILS8_4ELb0ES6_15HIP_vector_typeIjLj2EENS0_17counting_iteratorIjlEEPS9_SG_NS0_5tupleIJPjSI_NS0_16reverse_iteratorISI_EEEEENSH_IJSG_SG_SG_EEES9_SI_JZNS1_25segmented_radix_sort_implINS0_14default_configELb0EPKbPbPKlPlN2at6native12_GLOBAL__N_18offset_tEEE10hipError_tPvRmT1_PNSt15iterator_traitsIS12_E10value_typeET2_T3_PNS13_IS18_E10value_typeET4_jRbjT5_S1E_jjP12ihipStream_tbEUljE_ZNSN_ISO_Lb0ESQ_SR_ST_SU_SY_EESZ_S10_S11_S12_S16_S17_S18_S1B_S1C_jS1D_jS1E_S1E_jjS1G_bEUljE0_EEESZ_S10_S11_S18_S1C_S1E_T6_T7_T9_mT8_S1G_bDpT10_ENKUlT_T0_E_clISt17integral_constantIbLb0EES1T_IbLb1EEEEDaS1P_S1Q_EUlS1P_E_NS1_11comp_targetILNS1_3genE3ELNS1_11target_archE908ELNS1_3gpuE7ELNS1_3repE0EEENS1_30default_config_static_selectorELNS0_4arch9wavefront6targetE1EEEvS12_.kd
    .uniform_work_group_size: 1
    .uses_dynamic_stack: false
    .vgpr_count:     0
    .vgpr_spill_count: 0
    .wavefront_size: 64
  - .args:
      - .offset:         0
        .size:           184
        .value_kind:     by_value
    .group_segment_fixed_size: 13328
    .kernarg_segment_align: 8
    .kernarg_segment_size: 184
    .language:       OpenCL C
    .language_version:
      - 2
      - 0
    .max_flat_workgroup_size: 256
    .name:           _ZN7rocprim17ROCPRIM_400000_NS6detail17trampoline_kernelINS0_13select_configILj256ELj13ELNS0_17block_load_methodE3ELS4_3ELS4_3ELNS0_20block_scan_algorithmE0ELj4294967295EEENS1_25partition_config_selectorILNS1_17partition_subalgoE4EjNS0_10empty_typeEbEEZZNS1_14partition_implILS8_4ELb0ES6_15HIP_vector_typeIjLj2EENS0_17counting_iteratorIjlEEPS9_SG_NS0_5tupleIJPjSI_NS0_16reverse_iteratorISI_EEEEENSH_IJSG_SG_SG_EEES9_SI_JZNS1_25segmented_radix_sort_implINS0_14default_configELb0EPKbPbPKlPlN2at6native12_GLOBAL__N_18offset_tEEE10hipError_tPvRmT1_PNSt15iterator_traitsIS12_E10value_typeET2_T3_PNS13_IS18_E10value_typeET4_jRbjT5_S1E_jjP12ihipStream_tbEUljE_ZNSN_ISO_Lb0ESQ_SR_ST_SU_SY_EESZ_S10_S11_S12_S16_S17_S18_S1B_S1C_jS1D_jS1E_S1E_jjS1G_bEUljE0_EEESZ_S10_S11_S18_S1C_S1E_T6_T7_T9_mT8_S1G_bDpT10_ENKUlT_T0_E_clISt17integral_constantIbLb0EES1T_IbLb1EEEEDaS1P_S1Q_EUlS1P_E_NS1_11comp_targetILNS1_3genE2ELNS1_11target_archE906ELNS1_3gpuE6ELNS1_3repE0EEENS1_30default_config_static_selectorELNS0_4arch9wavefront6targetE1EEEvS12_
    .private_segment_fixed_size: 0
    .sgpr_count:     91
    .sgpr_spill_count: 0
    .symbol:         _ZN7rocprim17ROCPRIM_400000_NS6detail17trampoline_kernelINS0_13select_configILj256ELj13ELNS0_17block_load_methodE3ELS4_3ELS4_3ELNS0_20block_scan_algorithmE0ELj4294967295EEENS1_25partition_config_selectorILNS1_17partition_subalgoE4EjNS0_10empty_typeEbEEZZNS1_14partition_implILS8_4ELb0ES6_15HIP_vector_typeIjLj2EENS0_17counting_iteratorIjlEEPS9_SG_NS0_5tupleIJPjSI_NS0_16reverse_iteratorISI_EEEEENSH_IJSG_SG_SG_EEES9_SI_JZNS1_25segmented_radix_sort_implINS0_14default_configELb0EPKbPbPKlPlN2at6native12_GLOBAL__N_18offset_tEEE10hipError_tPvRmT1_PNSt15iterator_traitsIS12_E10value_typeET2_T3_PNS13_IS18_E10value_typeET4_jRbjT5_S1E_jjP12ihipStream_tbEUljE_ZNSN_ISO_Lb0ESQ_SR_ST_SU_SY_EESZ_S10_S11_S12_S16_S17_S18_S1B_S1C_jS1D_jS1E_S1E_jjS1G_bEUljE0_EEESZ_S10_S11_S18_S1C_S1E_T6_T7_T9_mT8_S1G_bDpT10_ENKUlT_T0_E_clISt17integral_constantIbLb0EES1T_IbLb1EEEEDaS1P_S1Q_EUlS1P_E_NS1_11comp_targetILNS1_3genE2ELNS1_11target_archE906ELNS1_3gpuE6ELNS1_3repE0EEENS1_30default_config_static_selectorELNS0_4arch9wavefront6targetE1EEEvS12_.kd
    .uniform_work_group_size: 1
    .uses_dynamic_stack: false
    .vgpr_count:     91
    .vgpr_spill_count: 0
    .wavefront_size: 64
  - .args:
      - .offset:         0
        .size:           184
        .value_kind:     by_value
    .group_segment_fixed_size: 0
    .kernarg_segment_align: 8
    .kernarg_segment_size: 184
    .language:       OpenCL C
    .language_version:
      - 2
      - 0
    .max_flat_workgroup_size: 256
    .name:           _ZN7rocprim17ROCPRIM_400000_NS6detail17trampoline_kernelINS0_13select_configILj256ELj13ELNS0_17block_load_methodE3ELS4_3ELS4_3ELNS0_20block_scan_algorithmE0ELj4294967295EEENS1_25partition_config_selectorILNS1_17partition_subalgoE4EjNS0_10empty_typeEbEEZZNS1_14partition_implILS8_4ELb0ES6_15HIP_vector_typeIjLj2EENS0_17counting_iteratorIjlEEPS9_SG_NS0_5tupleIJPjSI_NS0_16reverse_iteratorISI_EEEEENSH_IJSG_SG_SG_EEES9_SI_JZNS1_25segmented_radix_sort_implINS0_14default_configELb0EPKbPbPKlPlN2at6native12_GLOBAL__N_18offset_tEEE10hipError_tPvRmT1_PNSt15iterator_traitsIS12_E10value_typeET2_T3_PNS13_IS18_E10value_typeET4_jRbjT5_S1E_jjP12ihipStream_tbEUljE_ZNSN_ISO_Lb0ESQ_SR_ST_SU_SY_EESZ_S10_S11_S12_S16_S17_S18_S1B_S1C_jS1D_jS1E_S1E_jjS1G_bEUljE0_EEESZ_S10_S11_S18_S1C_S1E_T6_T7_T9_mT8_S1G_bDpT10_ENKUlT_T0_E_clISt17integral_constantIbLb0EES1T_IbLb1EEEEDaS1P_S1Q_EUlS1P_E_NS1_11comp_targetILNS1_3genE10ELNS1_11target_archE1200ELNS1_3gpuE4ELNS1_3repE0EEENS1_30default_config_static_selectorELNS0_4arch9wavefront6targetE1EEEvS12_
    .private_segment_fixed_size: 0
    .sgpr_count:     4
    .sgpr_spill_count: 0
    .symbol:         _ZN7rocprim17ROCPRIM_400000_NS6detail17trampoline_kernelINS0_13select_configILj256ELj13ELNS0_17block_load_methodE3ELS4_3ELS4_3ELNS0_20block_scan_algorithmE0ELj4294967295EEENS1_25partition_config_selectorILNS1_17partition_subalgoE4EjNS0_10empty_typeEbEEZZNS1_14partition_implILS8_4ELb0ES6_15HIP_vector_typeIjLj2EENS0_17counting_iteratorIjlEEPS9_SG_NS0_5tupleIJPjSI_NS0_16reverse_iteratorISI_EEEEENSH_IJSG_SG_SG_EEES9_SI_JZNS1_25segmented_radix_sort_implINS0_14default_configELb0EPKbPbPKlPlN2at6native12_GLOBAL__N_18offset_tEEE10hipError_tPvRmT1_PNSt15iterator_traitsIS12_E10value_typeET2_T3_PNS13_IS18_E10value_typeET4_jRbjT5_S1E_jjP12ihipStream_tbEUljE_ZNSN_ISO_Lb0ESQ_SR_ST_SU_SY_EESZ_S10_S11_S12_S16_S17_S18_S1B_S1C_jS1D_jS1E_S1E_jjS1G_bEUljE0_EEESZ_S10_S11_S18_S1C_S1E_T6_T7_T9_mT8_S1G_bDpT10_ENKUlT_T0_E_clISt17integral_constantIbLb0EES1T_IbLb1EEEEDaS1P_S1Q_EUlS1P_E_NS1_11comp_targetILNS1_3genE10ELNS1_11target_archE1200ELNS1_3gpuE4ELNS1_3repE0EEENS1_30default_config_static_selectorELNS0_4arch9wavefront6targetE1EEEvS12_.kd
    .uniform_work_group_size: 1
    .uses_dynamic_stack: false
    .vgpr_count:     0
    .vgpr_spill_count: 0
    .wavefront_size: 64
  - .args:
      - .offset:         0
        .size:           184
        .value_kind:     by_value
    .group_segment_fixed_size: 0
    .kernarg_segment_align: 8
    .kernarg_segment_size: 184
    .language:       OpenCL C
    .language_version:
      - 2
      - 0
    .max_flat_workgroup_size: 256
    .name:           _ZN7rocprim17ROCPRIM_400000_NS6detail17trampoline_kernelINS0_13select_configILj256ELj13ELNS0_17block_load_methodE3ELS4_3ELS4_3ELNS0_20block_scan_algorithmE0ELj4294967295EEENS1_25partition_config_selectorILNS1_17partition_subalgoE4EjNS0_10empty_typeEbEEZZNS1_14partition_implILS8_4ELb0ES6_15HIP_vector_typeIjLj2EENS0_17counting_iteratorIjlEEPS9_SG_NS0_5tupleIJPjSI_NS0_16reverse_iteratorISI_EEEEENSH_IJSG_SG_SG_EEES9_SI_JZNS1_25segmented_radix_sort_implINS0_14default_configELb0EPKbPbPKlPlN2at6native12_GLOBAL__N_18offset_tEEE10hipError_tPvRmT1_PNSt15iterator_traitsIS12_E10value_typeET2_T3_PNS13_IS18_E10value_typeET4_jRbjT5_S1E_jjP12ihipStream_tbEUljE_ZNSN_ISO_Lb0ESQ_SR_ST_SU_SY_EESZ_S10_S11_S12_S16_S17_S18_S1B_S1C_jS1D_jS1E_S1E_jjS1G_bEUljE0_EEESZ_S10_S11_S18_S1C_S1E_T6_T7_T9_mT8_S1G_bDpT10_ENKUlT_T0_E_clISt17integral_constantIbLb0EES1T_IbLb1EEEEDaS1P_S1Q_EUlS1P_E_NS1_11comp_targetILNS1_3genE9ELNS1_11target_archE1100ELNS1_3gpuE3ELNS1_3repE0EEENS1_30default_config_static_selectorELNS0_4arch9wavefront6targetE1EEEvS12_
    .private_segment_fixed_size: 0
    .sgpr_count:     4
    .sgpr_spill_count: 0
    .symbol:         _ZN7rocprim17ROCPRIM_400000_NS6detail17trampoline_kernelINS0_13select_configILj256ELj13ELNS0_17block_load_methodE3ELS4_3ELS4_3ELNS0_20block_scan_algorithmE0ELj4294967295EEENS1_25partition_config_selectorILNS1_17partition_subalgoE4EjNS0_10empty_typeEbEEZZNS1_14partition_implILS8_4ELb0ES6_15HIP_vector_typeIjLj2EENS0_17counting_iteratorIjlEEPS9_SG_NS0_5tupleIJPjSI_NS0_16reverse_iteratorISI_EEEEENSH_IJSG_SG_SG_EEES9_SI_JZNS1_25segmented_radix_sort_implINS0_14default_configELb0EPKbPbPKlPlN2at6native12_GLOBAL__N_18offset_tEEE10hipError_tPvRmT1_PNSt15iterator_traitsIS12_E10value_typeET2_T3_PNS13_IS18_E10value_typeET4_jRbjT5_S1E_jjP12ihipStream_tbEUljE_ZNSN_ISO_Lb0ESQ_SR_ST_SU_SY_EESZ_S10_S11_S12_S16_S17_S18_S1B_S1C_jS1D_jS1E_S1E_jjS1G_bEUljE0_EEESZ_S10_S11_S18_S1C_S1E_T6_T7_T9_mT8_S1G_bDpT10_ENKUlT_T0_E_clISt17integral_constantIbLb0EES1T_IbLb1EEEEDaS1P_S1Q_EUlS1P_E_NS1_11comp_targetILNS1_3genE9ELNS1_11target_archE1100ELNS1_3gpuE3ELNS1_3repE0EEENS1_30default_config_static_selectorELNS0_4arch9wavefront6targetE1EEEvS12_.kd
    .uniform_work_group_size: 1
    .uses_dynamic_stack: false
    .vgpr_count:     0
    .vgpr_spill_count: 0
    .wavefront_size: 64
  - .args:
      - .offset:         0
        .size:           184
        .value_kind:     by_value
    .group_segment_fixed_size: 0
    .kernarg_segment_align: 8
    .kernarg_segment_size: 184
    .language:       OpenCL C
    .language_version:
      - 2
      - 0
    .max_flat_workgroup_size: 256
    .name:           _ZN7rocprim17ROCPRIM_400000_NS6detail17trampoline_kernelINS0_13select_configILj256ELj13ELNS0_17block_load_methodE3ELS4_3ELS4_3ELNS0_20block_scan_algorithmE0ELj4294967295EEENS1_25partition_config_selectorILNS1_17partition_subalgoE4EjNS0_10empty_typeEbEEZZNS1_14partition_implILS8_4ELb0ES6_15HIP_vector_typeIjLj2EENS0_17counting_iteratorIjlEEPS9_SG_NS0_5tupleIJPjSI_NS0_16reverse_iteratorISI_EEEEENSH_IJSG_SG_SG_EEES9_SI_JZNS1_25segmented_radix_sort_implINS0_14default_configELb0EPKbPbPKlPlN2at6native12_GLOBAL__N_18offset_tEEE10hipError_tPvRmT1_PNSt15iterator_traitsIS12_E10value_typeET2_T3_PNS13_IS18_E10value_typeET4_jRbjT5_S1E_jjP12ihipStream_tbEUljE_ZNSN_ISO_Lb0ESQ_SR_ST_SU_SY_EESZ_S10_S11_S12_S16_S17_S18_S1B_S1C_jS1D_jS1E_S1E_jjS1G_bEUljE0_EEESZ_S10_S11_S18_S1C_S1E_T6_T7_T9_mT8_S1G_bDpT10_ENKUlT_T0_E_clISt17integral_constantIbLb0EES1T_IbLb1EEEEDaS1P_S1Q_EUlS1P_E_NS1_11comp_targetILNS1_3genE8ELNS1_11target_archE1030ELNS1_3gpuE2ELNS1_3repE0EEENS1_30default_config_static_selectorELNS0_4arch9wavefront6targetE1EEEvS12_
    .private_segment_fixed_size: 0
    .sgpr_count:     4
    .sgpr_spill_count: 0
    .symbol:         _ZN7rocprim17ROCPRIM_400000_NS6detail17trampoline_kernelINS0_13select_configILj256ELj13ELNS0_17block_load_methodE3ELS4_3ELS4_3ELNS0_20block_scan_algorithmE0ELj4294967295EEENS1_25partition_config_selectorILNS1_17partition_subalgoE4EjNS0_10empty_typeEbEEZZNS1_14partition_implILS8_4ELb0ES6_15HIP_vector_typeIjLj2EENS0_17counting_iteratorIjlEEPS9_SG_NS0_5tupleIJPjSI_NS0_16reverse_iteratorISI_EEEEENSH_IJSG_SG_SG_EEES9_SI_JZNS1_25segmented_radix_sort_implINS0_14default_configELb0EPKbPbPKlPlN2at6native12_GLOBAL__N_18offset_tEEE10hipError_tPvRmT1_PNSt15iterator_traitsIS12_E10value_typeET2_T3_PNS13_IS18_E10value_typeET4_jRbjT5_S1E_jjP12ihipStream_tbEUljE_ZNSN_ISO_Lb0ESQ_SR_ST_SU_SY_EESZ_S10_S11_S12_S16_S17_S18_S1B_S1C_jS1D_jS1E_S1E_jjS1G_bEUljE0_EEESZ_S10_S11_S18_S1C_S1E_T6_T7_T9_mT8_S1G_bDpT10_ENKUlT_T0_E_clISt17integral_constantIbLb0EES1T_IbLb1EEEEDaS1P_S1Q_EUlS1P_E_NS1_11comp_targetILNS1_3genE8ELNS1_11target_archE1030ELNS1_3gpuE2ELNS1_3repE0EEENS1_30default_config_static_selectorELNS0_4arch9wavefront6targetE1EEEvS12_.kd
    .uniform_work_group_size: 1
    .uses_dynamic_stack: false
    .vgpr_count:     0
    .vgpr_spill_count: 0
    .wavefront_size: 64
  - .args:
      - .offset:         0
        .size:           144
        .value_kind:     by_value
    .group_segment_fixed_size: 0
    .kernarg_segment_align: 8
    .kernarg_segment_size: 144
    .language:       OpenCL C
    .language_version:
      - 2
      - 0
    .max_flat_workgroup_size: 256
    .name:           _ZN7rocprim17ROCPRIM_400000_NS6detail17trampoline_kernelINS0_13select_configILj256ELj13ELNS0_17block_load_methodE3ELS4_3ELS4_3ELNS0_20block_scan_algorithmE0ELj4294967295EEENS1_25partition_config_selectorILNS1_17partition_subalgoE3EjNS0_10empty_typeEbEEZZNS1_14partition_implILS8_3ELb0ES6_jNS0_17counting_iteratorIjlEEPS9_SE_NS0_5tupleIJPjSE_EEENSF_IJSE_SE_EEES9_SG_JZNS1_25segmented_radix_sort_implINS0_14default_configELb0EPKbPbPKlPlN2at6native12_GLOBAL__N_18offset_tEEE10hipError_tPvRmT1_PNSt15iterator_traitsISY_E10value_typeET2_T3_PNSZ_IS14_E10value_typeET4_jRbjT5_S1A_jjP12ihipStream_tbEUljE_EEESV_SW_SX_S14_S18_S1A_T6_T7_T9_mT8_S1C_bDpT10_ENKUlT_T0_E_clISt17integral_constantIbLb0EES1P_EEDaS1K_S1L_EUlS1K_E_NS1_11comp_targetILNS1_3genE0ELNS1_11target_archE4294967295ELNS1_3gpuE0ELNS1_3repE0EEENS1_30default_config_static_selectorELNS0_4arch9wavefront6targetE1EEEvSY_
    .private_segment_fixed_size: 0
    .sgpr_count:     4
    .sgpr_spill_count: 0
    .symbol:         _ZN7rocprim17ROCPRIM_400000_NS6detail17trampoline_kernelINS0_13select_configILj256ELj13ELNS0_17block_load_methodE3ELS4_3ELS4_3ELNS0_20block_scan_algorithmE0ELj4294967295EEENS1_25partition_config_selectorILNS1_17partition_subalgoE3EjNS0_10empty_typeEbEEZZNS1_14partition_implILS8_3ELb0ES6_jNS0_17counting_iteratorIjlEEPS9_SE_NS0_5tupleIJPjSE_EEENSF_IJSE_SE_EEES9_SG_JZNS1_25segmented_radix_sort_implINS0_14default_configELb0EPKbPbPKlPlN2at6native12_GLOBAL__N_18offset_tEEE10hipError_tPvRmT1_PNSt15iterator_traitsISY_E10value_typeET2_T3_PNSZ_IS14_E10value_typeET4_jRbjT5_S1A_jjP12ihipStream_tbEUljE_EEESV_SW_SX_S14_S18_S1A_T6_T7_T9_mT8_S1C_bDpT10_ENKUlT_T0_E_clISt17integral_constantIbLb0EES1P_EEDaS1K_S1L_EUlS1K_E_NS1_11comp_targetILNS1_3genE0ELNS1_11target_archE4294967295ELNS1_3gpuE0ELNS1_3repE0EEENS1_30default_config_static_selectorELNS0_4arch9wavefront6targetE1EEEvSY_.kd
    .uniform_work_group_size: 1
    .uses_dynamic_stack: false
    .vgpr_count:     0
    .vgpr_spill_count: 0
    .wavefront_size: 64
  - .args:
      - .offset:         0
        .size:           144
        .value_kind:     by_value
    .group_segment_fixed_size: 0
    .kernarg_segment_align: 8
    .kernarg_segment_size: 144
    .language:       OpenCL C
    .language_version:
      - 2
      - 0
    .max_flat_workgroup_size: 256
    .name:           _ZN7rocprim17ROCPRIM_400000_NS6detail17trampoline_kernelINS0_13select_configILj256ELj13ELNS0_17block_load_methodE3ELS4_3ELS4_3ELNS0_20block_scan_algorithmE0ELj4294967295EEENS1_25partition_config_selectorILNS1_17partition_subalgoE3EjNS0_10empty_typeEbEEZZNS1_14partition_implILS8_3ELb0ES6_jNS0_17counting_iteratorIjlEEPS9_SE_NS0_5tupleIJPjSE_EEENSF_IJSE_SE_EEES9_SG_JZNS1_25segmented_radix_sort_implINS0_14default_configELb0EPKbPbPKlPlN2at6native12_GLOBAL__N_18offset_tEEE10hipError_tPvRmT1_PNSt15iterator_traitsISY_E10value_typeET2_T3_PNSZ_IS14_E10value_typeET4_jRbjT5_S1A_jjP12ihipStream_tbEUljE_EEESV_SW_SX_S14_S18_S1A_T6_T7_T9_mT8_S1C_bDpT10_ENKUlT_T0_E_clISt17integral_constantIbLb0EES1P_EEDaS1K_S1L_EUlS1K_E_NS1_11comp_targetILNS1_3genE5ELNS1_11target_archE942ELNS1_3gpuE9ELNS1_3repE0EEENS1_30default_config_static_selectorELNS0_4arch9wavefront6targetE1EEEvSY_
    .private_segment_fixed_size: 0
    .sgpr_count:     4
    .sgpr_spill_count: 0
    .symbol:         _ZN7rocprim17ROCPRIM_400000_NS6detail17trampoline_kernelINS0_13select_configILj256ELj13ELNS0_17block_load_methodE3ELS4_3ELS4_3ELNS0_20block_scan_algorithmE0ELj4294967295EEENS1_25partition_config_selectorILNS1_17partition_subalgoE3EjNS0_10empty_typeEbEEZZNS1_14partition_implILS8_3ELb0ES6_jNS0_17counting_iteratorIjlEEPS9_SE_NS0_5tupleIJPjSE_EEENSF_IJSE_SE_EEES9_SG_JZNS1_25segmented_radix_sort_implINS0_14default_configELb0EPKbPbPKlPlN2at6native12_GLOBAL__N_18offset_tEEE10hipError_tPvRmT1_PNSt15iterator_traitsISY_E10value_typeET2_T3_PNSZ_IS14_E10value_typeET4_jRbjT5_S1A_jjP12ihipStream_tbEUljE_EEESV_SW_SX_S14_S18_S1A_T6_T7_T9_mT8_S1C_bDpT10_ENKUlT_T0_E_clISt17integral_constantIbLb0EES1P_EEDaS1K_S1L_EUlS1K_E_NS1_11comp_targetILNS1_3genE5ELNS1_11target_archE942ELNS1_3gpuE9ELNS1_3repE0EEENS1_30default_config_static_selectorELNS0_4arch9wavefront6targetE1EEEvSY_.kd
    .uniform_work_group_size: 1
    .uses_dynamic_stack: false
    .vgpr_count:     0
    .vgpr_spill_count: 0
    .wavefront_size: 64
  - .args:
      - .offset:         0
        .size:           144
        .value_kind:     by_value
    .group_segment_fixed_size: 0
    .kernarg_segment_align: 8
    .kernarg_segment_size: 144
    .language:       OpenCL C
    .language_version:
      - 2
      - 0
    .max_flat_workgroup_size: 256
    .name:           _ZN7rocprim17ROCPRIM_400000_NS6detail17trampoline_kernelINS0_13select_configILj256ELj13ELNS0_17block_load_methodE3ELS4_3ELS4_3ELNS0_20block_scan_algorithmE0ELj4294967295EEENS1_25partition_config_selectorILNS1_17partition_subalgoE3EjNS0_10empty_typeEbEEZZNS1_14partition_implILS8_3ELb0ES6_jNS0_17counting_iteratorIjlEEPS9_SE_NS0_5tupleIJPjSE_EEENSF_IJSE_SE_EEES9_SG_JZNS1_25segmented_radix_sort_implINS0_14default_configELb0EPKbPbPKlPlN2at6native12_GLOBAL__N_18offset_tEEE10hipError_tPvRmT1_PNSt15iterator_traitsISY_E10value_typeET2_T3_PNSZ_IS14_E10value_typeET4_jRbjT5_S1A_jjP12ihipStream_tbEUljE_EEESV_SW_SX_S14_S18_S1A_T6_T7_T9_mT8_S1C_bDpT10_ENKUlT_T0_E_clISt17integral_constantIbLb0EES1P_EEDaS1K_S1L_EUlS1K_E_NS1_11comp_targetILNS1_3genE4ELNS1_11target_archE910ELNS1_3gpuE8ELNS1_3repE0EEENS1_30default_config_static_selectorELNS0_4arch9wavefront6targetE1EEEvSY_
    .private_segment_fixed_size: 0
    .sgpr_count:     4
    .sgpr_spill_count: 0
    .symbol:         _ZN7rocprim17ROCPRIM_400000_NS6detail17trampoline_kernelINS0_13select_configILj256ELj13ELNS0_17block_load_methodE3ELS4_3ELS4_3ELNS0_20block_scan_algorithmE0ELj4294967295EEENS1_25partition_config_selectorILNS1_17partition_subalgoE3EjNS0_10empty_typeEbEEZZNS1_14partition_implILS8_3ELb0ES6_jNS0_17counting_iteratorIjlEEPS9_SE_NS0_5tupleIJPjSE_EEENSF_IJSE_SE_EEES9_SG_JZNS1_25segmented_radix_sort_implINS0_14default_configELb0EPKbPbPKlPlN2at6native12_GLOBAL__N_18offset_tEEE10hipError_tPvRmT1_PNSt15iterator_traitsISY_E10value_typeET2_T3_PNSZ_IS14_E10value_typeET4_jRbjT5_S1A_jjP12ihipStream_tbEUljE_EEESV_SW_SX_S14_S18_S1A_T6_T7_T9_mT8_S1C_bDpT10_ENKUlT_T0_E_clISt17integral_constantIbLb0EES1P_EEDaS1K_S1L_EUlS1K_E_NS1_11comp_targetILNS1_3genE4ELNS1_11target_archE910ELNS1_3gpuE8ELNS1_3repE0EEENS1_30default_config_static_selectorELNS0_4arch9wavefront6targetE1EEEvSY_.kd
    .uniform_work_group_size: 1
    .uses_dynamic_stack: false
    .vgpr_count:     0
    .vgpr_spill_count: 0
    .wavefront_size: 64
  - .args:
      - .offset:         0
        .size:           144
        .value_kind:     by_value
    .group_segment_fixed_size: 0
    .kernarg_segment_align: 8
    .kernarg_segment_size: 144
    .language:       OpenCL C
    .language_version:
      - 2
      - 0
    .max_flat_workgroup_size: 256
    .name:           _ZN7rocprim17ROCPRIM_400000_NS6detail17trampoline_kernelINS0_13select_configILj256ELj13ELNS0_17block_load_methodE3ELS4_3ELS4_3ELNS0_20block_scan_algorithmE0ELj4294967295EEENS1_25partition_config_selectorILNS1_17partition_subalgoE3EjNS0_10empty_typeEbEEZZNS1_14partition_implILS8_3ELb0ES6_jNS0_17counting_iteratorIjlEEPS9_SE_NS0_5tupleIJPjSE_EEENSF_IJSE_SE_EEES9_SG_JZNS1_25segmented_radix_sort_implINS0_14default_configELb0EPKbPbPKlPlN2at6native12_GLOBAL__N_18offset_tEEE10hipError_tPvRmT1_PNSt15iterator_traitsISY_E10value_typeET2_T3_PNSZ_IS14_E10value_typeET4_jRbjT5_S1A_jjP12ihipStream_tbEUljE_EEESV_SW_SX_S14_S18_S1A_T6_T7_T9_mT8_S1C_bDpT10_ENKUlT_T0_E_clISt17integral_constantIbLb0EES1P_EEDaS1K_S1L_EUlS1K_E_NS1_11comp_targetILNS1_3genE3ELNS1_11target_archE908ELNS1_3gpuE7ELNS1_3repE0EEENS1_30default_config_static_selectorELNS0_4arch9wavefront6targetE1EEEvSY_
    .private_segment_fixed_size: 0
    .sgpr_count:     4
    .sgpr_spill_count: 0
    .symbol:         _ZN7rocprim17ROCPRIM_400000_NS6detail17trampoline_kernelINS0_13select_configILj256ELj13ELNS0_17block_load_methodE3ELS4_3ELS4_3ELNS0_20block_scan_algorithmE0ELj4294967295EEENS1_25partition_config_selectorILNS1_17partition_subalgoE3EjNS0_10empty_typeEbEEZZNS1_14partition_implILS8_3ELb0ES6_jNS0_17counting_iteratorIjlEEPS9_SE_NS0_5tupleIJPjSE_EEENSF_IJSE_SE_EEES9_SG_JZNS1_25segmented_radix_sort_implINS0_14default_configELb0EPKbPbPKlPlN2at6native12_GLOBAL__N_18offset_tEEE10hipError_tPvRmT1_PNSt15iterator_traitsISY_E10value_typeET2_T3_PNSZ_IS14_E10value_typeET4_jRbjT5_S1A_jjP12ihipStream_tbEUljE_EEESV_SW_SX_S14_S18_S1A_T6_T7_T9_mT8_S1C_bDpT10_ENKUlT_T0_E_clISt17integral_constantIbLb0EES1P_EEDaS1K_S1L_EUlS1K_E_NS1_11comp_targetILNS1_3genE3ELNS1_11target_archE908ELNS1_3gpuE7ELNS1_3repE0EEENS1_30default_config_static_selectorELNS0_4arch9wavefront6targetE1EEEvSY_.kd
    .uniform_work_group_size: 1
    .uses_dynamic_stack: false
    .vgpr_count:     0
    .vgpr_spill_count: 0
    .wavefront_size: 64
  - .args:
      - .offset:         0
        .size:           144
        .value_kind:     by_value
    .group_segment_fixed_size: 13320
    .kernarg_segment_align: 8
    .kernarg_segment_size: 144
    .language:       OpenCL C
    .language_version:
      - 2
      - 0
    .max_flat_workgroup_size: 256
    .name:           _ZN7rocprim17ROCPRIM_400000_NS6detail17trampoline_kernelINS0_13select_configILj256ELj13ELNS0_17block_load_methodE3ELS4_3ELS4_3ELNS0_20block_scan_algorithmE0ELj4294967295EEENS1_25partition_config_selectorILNS1_17partition_subalgoE3EjNS0_10empty_typeEbEEZZNS1_14partition_implILS8_3ELb0ES6_jNS0_17counting_iteratorIjlEEPS9_SE_NS0_5tupleIJPjSE_EEENSF_IJSE_SE_EEES9_SG_JZNS1_25segmented_radix_sort_implINS0_14default_configELb0EPKbPbPKlPlN2at6native12_GLOBAL__N_18offset_tEEE10hipError_tPvRmT1_PNSt15iterator_traitsISY_E10value_typeET2_T3_PNSZ_IS14_E10value_typeET4_jRbjT5_S1A_jjP12ihipStream_tbEUljE_EEESV_SW_SX_S14_S18_S1A_T6_T7_T9_mT8_S1C_bDpT10_ENKUlT_T0_E_clISt17integral_constantIbLb0EES1P_EEDaS1K_S1L_EUlS1K_E_NS1_11comp_targetILNS1_3genE2ELNS1_11target_archE906ELNS1_3gpuE6ELNS1_3repE0EEENS1_30default_config_static_selectorELNS0_4arch9wavefront6targetE1EEEvSY_
    .private_segment_fixed_size: 0
    .sgpr_count:     52
    .sgpr_spill_count: 0
    .symbol:         _ZN7rocprim17ROCPRIM_400000_NS6detail17trampoline_kernelINS0_13select_configILj256ELj13ELNS0_17block_load_methodE3ELS4_3ELS4_3ELNS0_20block_scan_algorithmE0ELj4294967295EEENS1_25partition_config_selectorILNS1_17partition_subalgoE3EjNS0_10empty_typeEbEEZZNS1_14partition_implILS8_3ELb0ES6_jNS0_17counting_iteratorIjlEEPS9_SE_NS0_5tupleIJPjSE_EEENSF_IJSE_SE_EEES9_SG_JZNS1_25segmented_radix_sort_implINS0_14default_configELb0EPKbPbPKlPlN2at6native12_GLOBAL__N_18offset_tEEE10hipError_tPvRmT1_PNSt15iterator_traitsISY_E10value_typeET2_T3_PNSZ_IS14_E10value_typeET4_jRbjT5_S1A_jjP12ihipStream_tbEUljE_EEESV_SW_SX_S14_S18_S1A_T6_T7_T9_mT8_S1C_bDpT10_ENKUlT_T0_E_clISt17integral_constantIbLb0EES1P_EEDaS1K_S1L_EUlS1K_E_NS1_11comp_targetILNS1_3genE2ELNS1_11target_archE906ELNS1_3gpuE6ELNS1_3repE0EEENS1_30default_config_static_selectorELNS0_4arch9wavefront6targetE1EEEvSY_.kd
    .uniform_work_group_size: 1
    .uses_dynamic_stack: false
    .vgpr_count:     69
    .vgpr_spill_count: 0
    .wavefront_size: 64
  - .args:
      - .offset:         0
        .size:           144
        .value_kind:     by_value
    .group_segment_fixed_size: 0
    .kernarg_segment_align: 8
    .kernarg_segment_size: 144
    .language:       OpenCL C
    .language_version:
      - 2
      - 0
    .max_flat_workgroup_size: 256
    .name:           _ZN7rocprim17ROCPRIM_400000_NS6detail17trampoline_kernelINS0_13select_configILj256ELj13ELNS0_17block_load_methodE3ELS4_3ELS4_3ELNS0_20block_scan_algorithmE0ELj4294967295EEENS1_25partition_config_selectorILNS1_17partition_subalgoE3EjNS0_10empty_typeEbEEZZNS1_14partition_implILS8_3ELb0ES6_jNS0_17counting_iteratorIjlEEPS9_SE_NS0_5tupleIJPjSE_EEENSF_IJSE_SE_EEES9_SG_JZNS1_25segmented_radix_sort_implINS0_14default_configELb0EPKbPbPKlPlN2at6native12_GLOBAL__N_18offset_tEEE10hipError_tPvRmT1_PNSt15iterator_traitsISY_E10value_typeET2_T3_PNSZ_IS14_E10value_typeET4_jRbjT5_S1A_jjP12ihipStream_tbEUljE_EEESV_SW_SX_S14_S18_S1A_T6_T7_T9_mT8_S1C_bDpT10_ENKUlT_T0_E_clISt17integral_constantIbLb0EES1P_EEDaS1K_S1L_EUlS1K_E_NS1_11comp_targetILNS1_3genE10ELNS1_11target_archE1200ELNS1_3gpuE4ELNS1_3repE0EEENS1_30default_config_static_selectorELNS0_4arch9wavefront6targetE1EEEvSY_
    .private_segment_fixed_size: 0
    .sgpr_count:     4
    .sgpr_spill_count: 0
    .symbol:         _ZN7rocprim17ROCPRIM_400000_NS6detail17trampoline_kernelINS0_13select_configILj256ELj13ELNS0_17block_load_methodE3ELS4_3ELS4_3ELNS0_20block_scan_algorithmE0ELj4294967295EEENS1_25partition_config_selectorILNS1_17partition_subalgoE3EjNS0_10empty_typeEbEEZZNS1_14partition_implILS8_3ELb0ES6_jNS0_17counting_iteratorIjlEEPS9_SE_NS0_5tupleIJPjSE_EEENSF_IJSE_SE_EEES9_SG_JZNS1_25segmented_radix_sort_implINS0_14default_configELb0EPKbPbPKlPlN2at6native12_GLOBAL__N_18offset_tEEE10hipError_tPvRmT1_PNSt15iterator_traitsISY_E10value_typeET2_T3_PNSZ_IS14_E10value_typeET4_jRbjT5_S1A_jjP12ihipStream_tbEUljE_EEESV_SW_SX_S14_S18_S1A_T6_T7_T9_mT8_S1C_bDpT10_ENKUlT_T0_E_clISt17integral_constantIbLb0EES1P_EEDaS1K_S1L_EUlS1K_E_NS1_11comp_targetILNS1_3genE10ELNS1_11target_archE1200ELNS1_3gpuE4ELNS1_3repE0EEENS1_30default_config_static_selectorELNS0_4arch9wavefront6targetE1EEEvSY_.kd
    .uniform_work_group_size: 1
    .uses_dynamic_stack: false
    .vgpr_count:     0
    .vgpr_spill_count: 0
    .wavefront_size: 64
  - .args:
      - .offset:         0
        .size:           144
        .value_kind:     by_value
    .group_segment_fixed_size: 0
    .kernarg_segment_align: 8
    .kernarg_segment_size: 144
    .language:       OpenCL C
    .language_version:
      - 2
      - 0
    .max_flat_workgroup_size: 256
    .name:           _ZN7rocprim17ROCPRIM_400000_NS6detail17trampoline_kernelINS0_13select_configILj256ELj13ELNS0_17block_load_methodE3ELS4_3ELS4_3ELNS0_20block_scan_algorithmE0ELj4294967295EEENS1_25partition_config_selectorILNS1_17partition_subalgoE3EjNS0_10empty_typeEbEEZZNS1_14partition_implILS8_3ELb0ES6_jNS0_17counting_iteratorIjlEEPS9_SE_NS0_5tupleIJPjSE_EEENSF_IJSE_SE_EEES9_SG_JZNS1_25segmented_radix_sort_implINS0_14default_configELb0EPKbPbPKlPlN2at6native12_GLOBAL__N_18offset_tEEE10hipError_tPvRmT1_PNSt15iterator_traitsISY_E10value_typeET2_T3_PNSZ_IS14_E10value_typeET4_jRbjT5_S1A_jjP12ihipStream_tbEUljE_EEESV_SW_SX_S14_S18_S1A_T6_T7_T9_mT8_S1C_bDpT10_ENKUlT_T0_E_clISt17integral_constantIbLb0EES1P_EEDaS1K_S1L_EUlS1K_E_NS1_11comp_targetILNS1_3genE9ELNS1_11target_archE1100ELNS1_3gpuE3ELNS1_3repE0EEENS1_30default_config_static_selectorELNS0_4arch9wavefront6targetE1EEEvSY_
    .private_segment_fixed_size: 0
    .sgpr_count:     4
    .sgpr_spill_count: 0
    .symbol:         _ZN7rocprim17ROCPRIM_400000_NS6detail17trampoline_kernelINS0_13select_configILj256ELj13ELNS0_17block_load_methodE3ELS4_3ELS4_3ELNS0_20block_scan_algorithmE0ELj4294967295EEENS1_25partition_config_selectorILNS1_17partition_subalgoE3EjNS0_10empty_typeEbEEZZNS1_14partition_implILS8_3ELb0ES6_jNS0_17counting_iteratorIjlEEPS9_SE_NS0_5tupleIJPjSE_EEENSF_IJSE_SE_EEES9_SG_JZNS1_25segmented_radix_sort_implINS0_14default_configELb0EPKbPbPKlPlN2at6native12_GLOBAL__N_18offset_tEEE10hipError_tPvRmT1_PNSt15iterator_traitsISY_E10value_typeET2_T3_PNSZ_IS14_E10value_typeET4_jRbjT5_S1A_jjP12ihipStream_tbEUljE_EEESV_SW_SX_S14_S18_S1A_T6_T7_T9_mT8_S1C_bDpT10_ENKUlT_T0_E_clISt17integral_constantIbLb0EES1P_EEDaS1K_S1L_EUlS1K_E_NS1_11comp_targetILNS1_3genE9ELNS1_11target_archE1100ELNS1_3gpuE3ELNS1_3repE0EEENS1_30default_config_static_selectorELNS0_4arch9wavefront6targetE1EEEvSY_.kd
    .uniform_work_group_size: 1
    .uses_dynamic_stack: false
    .vgpr_count:     0
    .vgpr_spill_count: 0
    .wavefront_size: 64
  - .args:
      - .offset:         0
        .size:           144
        .value_kind:     by_value
    .group_segment_fixed_size: 0
    .kernarg_segment_align: 8
    .kernarg_segment_size: 144
    .language:       OpenCL C
    .language_version:
      - 2
      - 0
    .max_flat_workgroup_size: 256
    .name:           _ZN7rocprim17ROCPRIM_400000_NS6detail17trampoline_kernelINS0_13select_configILj256ELj13ELNS0_17block_load_methodE3ELS4_3ELS4_3ELNS0_20block_scan_algorithmE0ELj4294967295EEENS1_25partition_config_selectorILNS1_17partition_subalgoE3EjNS0_10empty_typeEbEEZZNS1_14partition_implILS8_3ELb0ES6_jNS0_17counting_iteratorIjlEEPS9_SE_NS0_5tupleIJPjSE_EEENSF_IJSE_SE_EEES9_SG_JZNS1_25segmented_radix_sort_implINS0_14default_configELb0EPKbPbPKlPlN2at6native12_GLOBAL__N_18offset_tEEE10hipError_tPvRmT1_PNSt15iterator_traitsISY_E10value_typeET2_T3_PNSZ_IS14_E10value_typeET4_jRbjT5_S1A_jjP12ihipStream_tbEUljE_EEESV_SW_SX_S14_S18_S1A_T6_T7_T9_mT8_S1C_bDpT10_ENKUlT_T0_E_clISt17integral_constantIbLb0EES1P_EEDaS1K_S1L_EUlS1K_E_NS1_11comp_targetILNS1_3genE8ELNS1_11target_archE1030ELNS1_3gpuE2ELNS1_3repE0EEENS1_30default_config_static_selectorELNS0_4arch9wavefront6targetE1EEEvSY_
    .private_segment_fixed_size: 0
    .sgpr_count:     4
    .sgpr_spill_count: 0
    .symbol:         _ZN7rocprim17ROCPRIM_400000_NS6detail17trampoline_kernelINS0_13select_configILj256ELj13ELNS0_17block_load_methodE3ELS4_3ELS4_3ELNS0_20block_scan_algorithmE0ELj4294967295EEENS1_25partition_config_selectorILNS1_17partition_subalgoE3EjNS0_10empty_typeEbEEZZNS1_14partition_implILS8_3ELb0ES6_jNS0_17counting_iteratorIjlEEPS9_SE_NS0_5tupleIJPjSE_EEENSF_IJSE_SE_EEES9_SG_JZNS1_25segmented_radix_sort_implINS0_14default_configELb0EPKbPbPKlPlN2at6native12_GLOBAL__N_18offset_tEEE10hipError_tPvRmT1_PNSt15iterator_traitsISY_E10value_typeET2_T3_PNSZ_IS14_E10value_typeET4_jRbjT5_S1A_jjP12ihipStream_tbEUljE_EEESV_SW_SX_S14_S18_S1A_T6_T7_T9_mT8_S1C_bDpT10_ENKUlT_T0_E_clISt17integral_constantIbLb0EES1P_EEDaS1K_S1L_EUlS1K_E_NS1_11comp_targetILNS1_3genE8ELNS1_11target_archE1030ELNS1_3gpuE2ELNS1_3repE0EEENS1_30default_config_static_selectorELNS0_4arch9wavefront6targetE1EEEvSY_.kd
    .uniform_work_group_size: 1
    .uses_dynamic_stack: false
    .vgpr_count:     0
    .vgpr_spill_count: 0
    .wavefront_size: 64
  - .args:
      - .offset:         0
        .size:           152
        .value_kind:     by_value
    .group_segment_fixed_size: 0
    .kernarg_segment_align: 8
    .kernarg_segment_size: 152
    .language:       OpenCL C
    .language_version:
      - 2
      - 0
    .max_flat_workgroup_size: 256
    .name:           _ZN7rocprim17ROCPRIM_400000_NS6detail17trampoline_kernelINS0_13select_configILj256ELj13ELNS0_17block_load_methodE3ELS4_3ELS4_3ELNS0_20block_scan_algorithmE0ELj4294967295EEENS1_25partition_config_selectorILNS1_17partition_subalgoE3EjNS0_10empty_typeEbEEZZNS1_14partition_implILS8_3ELb0ES6_jNS0_17counting_iteratorIjlEEPS9_SE_NS0_5tupleIJPjSE_EEENSF_IJSE_SE_EEES9_SG_JZNS1_25segmented_radix_sort_implINS0_14default_configELb0EPKbPbPKlPlN2at6native12_GLOBAL__N_18offset_tEEE10hipError_tPvRmT1_PNSt15iterator_traitsISY_E10value_typeET2_T3_PNSZ_IS14_E10value_typeET4_jRbjT5_S1A_jjP12ihipStream_tbEUljE_EEESV_SW_SX_S14_S18_S1A_T6_T7_T9_mT8_S1C_bDpT10_ENKUlT_T0_E_clISt17integral_constantIbLb1EES1P_EEDaS1K_S1L_EUlS1K_E_NS1_11comp_targetILNS1_3genE0ELNS1_11target_archE4294967295ELNS1_3gpuE0ELNS1_3repE0EEENS1_30default_config_static_selectorELNS0_4arch9wavefront6targetE1EEEvSY_
    .private_segment_fixed_size: 0
    .sgpr_count:     4
    .sgpr_spill_count: 0
    .symbol:         _ZN7rocprim17ROCPRIM_400000_NS6detail17trampoline_kernelINS0_13select_configILj256ELj13ELNS0_17block_load_methodE3ELS4_3ELS4_3ELNS0_20block_scan_algorithmE0ELj4294967295EEENS1_25partition_config_selectorILNS1_17partition_subalgoE3EjNS0_10empty_typeEbEEZZNS1_14partition_implILS8_3ELb0ES6_jNS0_17counting_iteratorIjlEEPS9_SE_NS0_5tupleIJPjSE_EEENSF_IJSE_SE_EEES9_SG_JZNS1_25segmented_radix_sort_implINS0_14default_configELb0EPKbPbPKlPlN2at6native12_GLOBAL__N_18offset_tEEE10hipError_tPvRmT1_PNSt15iterator_traitsISY_E10value_typeET2_T3_PNSZ_IS14_E10value_typeET4_jRbjT5_S1A_jjP12ihipStream_tbEUljE_EEESV_SW_SX_S14_S18_S1A_T6_T7_T9_mT8_S1C_bDpT10_ENKUlT_T0_E_clISt17integral_constantIbLb1EES1P_EEDaS1K_S1L_EUlS1K_E_NS1_11comp_targetILNS1_3genE0ELNS1_11target_archE4294967295ELNS1_3gpuE0ELNS1_3repE0EEENS1_30default_config_static_selectorELNS0_4arch9wavefront6targetE1EEEvSY_.kd
    .uniform_work_group_size: 1
    .uses_dynamic_stack: false
    .vgpr_count:     0
    .vgpr_spill_count: 0
    .wavefront_size: 64
  - .args:
      - .offset:         0
        .size:           152
        .value_kind:     by_value
    .group_segment_fixed_size: 0
    .kernarg_segment_align: 8
    .kernarg_segment_size: 152
    .language:       OpenCL C
    .language_version:
      - 2
      - 0
    .max_flat_workgroup_size: 256
    .name:           _ZN7rocprim17ROCPRIM_400000_NS6detail17trampoline_kernelINS0_13select_configILj256ELj13ELNS0_17block_load_methodE3ELS4_3ELS4_3ELNS0_20block_scan_algorithmE0ELj4294967295EEENS1_25partition_config_selectorILNS1_17partition_subalgoE3EjNS0_10empty_typeEbEEZZNS1_14partition_implILS8_3ELb0ES6_jNS0_17counting_iteratorIjlEEPS9_SE_NS0_5tupleIJPjSE_EEENSF_IJSE_SE_EEES9_SG_JZNS1_25segmented_radix_sort_implINS0_14default_configELb0EPKbPbPKlPlN2at6native12_GLOBAL__N_18offset_tEEE10hipError_tPvRmT1_PNSt15iterator_traitsISY_E10value_typeET2_T3_PNSZ_IS14_E10value_typeET4_jRbjT5_S1A_jjP12ihipStream_tbEUljE_EEESV_SW_SX_S14_S18_S1A_T6_T7_T9_mT8_S1C_bDpT10_ENKUlT_T0_E_clISt17integral_constantIbLb1EES1P_EEDaS1K_S1L_EUlS1K_E_NS1_11comp_targetILNS1_3genE5ELNS1_11target_archE942ELNS1_3gpuE9ELNS1_3repE0EEENS1_30default_config_static_selectorELNS0_4arch9wavefront6targetE1EEEvSY_
    .private_segment_fixed_size: 0
    .sgpr_count:     4
    .sgpr_spill_count: 0
    .symbol:         _ZN7rocprim17ROCPRIM_400000_NS6detail17trampoline_kernelINS0_13select_configILj256ELj13ELNS0_17block_load_methodE3ELS4_3ELS4_3ELNS0_20block_scan_algorithmE0ELj4294967295EEENS1_25partition_config_selectorILNS1_17partition_subalgoE3EjNS0_10empty_typeEbEEZZNS1_14partition_implILS8_3ELb0ES6_jNS0_17counting_iteratorIjlEEPS9_SE_NS0_5tupleIJPjSE_EEENSF_IJSE_SE_EEES9_SG_JZNS1_25segmented_radix_sort_implINS0_14default_configELb0EPKbPbPKlPlN2at6native12_GLOBAL__N_18offset_tEEE10hipError_tPvRmT1_PNSt15iterator_traitsISY_E10value_typeET2_T3_PNSZ_IS14_E10value_typeET4_jRbjT5_S1A_jjP12ihipStream_tbEUljE_EEESV_SW_SX_S14_S18_S1A_T6_T7_T9_mT8_S1C_bDpT10_ENKUlT_T0_E_clISt17integral_constantIbLb1EES1P_EEDaS1K_S1L_EUlS1K_E_NS1_11comp_targetILNS1_3genE5ELNS1_11target_archE942ELNS1_3gpuE9ELNS1_3repE0EEENS1_30default_config_static_selectorELNS0_4arch9wavefront6targetE1EEEvSY_.kd
    .uniform_work_group_size: 1
    .uses_dynamic_stack: false
    .vgpr_count:     0
    .vgpr_spill_count: 0
    .wavefront_size: 64
  - .args:
      - .offset:         0
        .size:           152
        .value_kind:     by_value
    .group_segment_fixed_size: 0
    .kernarg_segment_align: 8
    .kernarg_segment_size: 152
    .language:       OpenCL C
    .language_version:
      - 2
      - 0
    .max_flat_workgroup_size: 256
    .name:           _ZN7rocprim17ROCPRIM_400000_NS6detail17trampoline_kernelINS0_13select_configILj256ELj13ELNS0_17block_load_methodE3ELS4_3ELS4_3ELNS0_20block_scan_algorithmE0ELj4294967295EEENS1_25partition_config_selectorILNS1_17partition_subalgoE3EjNS0_10empty_typeEbEEZZNS1_14partition_implILS8_3ELb0ES6_jNS0_17counting_iteratorIjlEEPS9_SE_NS0_5tupleIJPjSE_EEENSF_IJSE_SE_EEES9_SG_JZNS1_25segmented_radix_sort_implINS0_14default_configELb0EPKbPbPKlPlN2at6native12_GLOBAL__N_18offset_tEEE10hipError_tPvRmT1_PNSt15iterator_traitsISY_E10value_typeET2_T3_PNSZ_IS14_E10value_typeET4_jRbjT5_S1A_jjP12ihipStream_tbEUljE_EEESV_SW_SX_S14_S18_S1A_T6_T7_T9_mT8_S1C_bDpT10_ENKUlT_T0_E_clISt17integral_constantIbLb1EES1P_EEDaS1K_S1L_EUlS1K_E_NS1_11comp_targetILNS1_3genE4ELNS1_11target_archE910ELNS1_3gpuE8ELNS1_3repE0EEENS1_30default_config_static_selectorELNS0_4arch9wavefront6targetE1EEEvSY_
    .private_segment_fixed_size: 0
    .sgpr_count:     4
    .sgpr_spill_count: 0
    .symbol:         _ZN7rocprim17ROCPRIM_400000_NS6detail17trampoline_kernelINS0_13select_configILj256ELj13ELNS0_17block_load_methodE3ELS4_3ELS4_3ELNS0_20block_scan_algorithmE0ELj4294967295EEENS1_25partition_config_selectorILNS1_17partition_subalgoE3EjNS0_10empty_typeEbEEZZNS1_14partition_implILS8_3ELb0ES6_jNS0_17counting_iteratorIjlEEPS9_SE_NS0_5tupleIJPjSE_EEENSF_IJSE_SE_EEES9_SG_JZNS1_25segmented_radix_sort_implINS0_14default_configELb0EPKbPbPKlPlN2at6native12_GLOBAL__N_18offset_tEEE10hipError_tPvRmT1_PNSt15iterator_traitsISY_E10value_typeET2_T3_PNSZ_IS14_E10value_typeET4_jRbjT5_S1A_jjP12ihipStream_tbEUljE_EEESV_SW_SX_S14_S18_S1A_T6_T7_T9_mT8_S1C_bDpT10_ENKUlT_T0_E_clISt17integral_constantIbLb1EES1P_EEDaS1K_S1L_EUlS1K_E_NS1_11comp_targetILNS1_3genE4ELNS1_11target_archE910ELNS1_3gpuE8ELNS1_3repE0EEENS1_30default_config_static_selectorELNS0_4arch9wavefront6targetE1EEEvSY_.kd
    .uniform_work_group_size: 1
    .uses_dynamic_stack: false
    .vgpr_count:     0
    .vgpr_spill_count: 0
    .wavefront_size: 64
  - .args:
      - .offset:         0
        .size:           152
        .value_kind:     by_value
    .group_segment_fixed_size: 0
    .kernarg_segment_align: 8
    .kernarg_segment_size: 152
    .language:       OpenCL C
    .language_version:
      - 2
      - 0
    .max_flat_workgroup_size: 256
    .name:           _ZN7rocprim17ROCPRIM_400000_NS6detail17trampoline_kernelINS0_13select_configILj256ELj13ELNS0_17block_load_methodE3ELS4_3ELS4_3ELNS0_20block_scan_algorithmE0ELj4294967295EEENS1_25partition_config_selectorILNS1_17partition_subalgoE3EjNS0_10empty_typeEbEEZZNS1_14partition_implILS8_3ELb0ES6_jNS0_17counting_iteratorIjlEEPS9_SE_NS0_5tupleIJPjSE_EEENSF_IJSE_SE_EEES9_SG_JZNS1_25segmented_radix_sort_implINS0_14default_configELb0EPKbPbPKlPlN2at6native12_GLOBAL__N_18offset_tEEE10hipError_tPvRmT1_PNSt15iterator_traitsISY_E10value_typeET2_T3_PNSZ_IS14_E10value_typeET4_jRbjT5_S1A_jjP12ihipStream_tbEUljE_EEESV_SW_SX_S14_S18_S1A_T6_T7_T9_mT8_S1C_bDpT10_ENKUlT_T0_E_clISt17integral_constantIbLb1EES1P_EEDaS1K_S1L_EUlS1K_E_NS1_11comp_targetILNS1_3genE3ELNS1_11target_archE908ELNS1_3gpuE7ELNS1_3repE0EEENS1_30default_config_static_selectorELNS0_4arch9wavefront6targetE1EEEvSY_
    .private_segment_fixed_size: 0
    .sgpr_count:     4
    .sgpr_spill_count: 0
    .symbol:         _ZN7rocprim17ROCPRIM_400000_NS6detail17trampoline_kernelINS0_13select_configILj256ELj13ELNS0_17block_load_methodE3ELS4_3ELS4_3ELNS0_20block_scan_algorithmE0ELj4294967295EEENS1_25partition_config_selectorILNS1_17partition_subalgoE3EjNS0_10empty_typeEbEEZZNS1_14partition_implILS8_3ELb0ES6_jNS0_17counting_iteratorIjlEEPS9_SE_NS0_5tupleIJPjSE_EEENSF_IJSE_SE_EEES9_SG_JZNS1_25segmented_radix_sort_implINS0_14default_configELb0EPKbPbPKlPlN2at6native12_GLOBAL__N_18offset_tEEE10hipError_tPvRmT1_PNSt15iterator_traitsISY_E10value_typeET2_T3_PNSZ_IS14_E10value_typeET4_jRbjT5_S1A_jjP12ihipStream_tbEUljE_EEESV_SW_SX_S14_S18_S1A_T6_T7_T9_mT8_S1C_bDpT10_ENKUlT_T0_E_clISt17integral_constantIbLb1EES1P_EEDaS1K_S1L_EUlS1K_E_NS1_11comp_targetILNS1_3genE3ELNS1_11target_archE908ELNS1_3gpuE7ELNS1_3repE0EEENS1_30default_config_static_selectorELNS0_4arch9wavefront6targetE1EEEvSY_.kd
    .uniform_work_group_size: 1
    .uses_dynamic_stack: false
    .vgpr_count:     0
    .vgpr_spill_count: 0
    .wavefront_size: 64
  - .args:
      - .offset:         0
        .size:           152
        .value_kind:     by_value
    .group_segment_fixed_size: 0
    .kernarg_segment_align: 8
    .kernarg_segment_size: 152
    .language:       OpenCL C
    .language_version:
      - 2
      - 0
    .max_flat_workgroup_size: 256
    .name:           _ZN7rocprim17ROCPRIM_400000_NS6detail17trampoline_kernelINS0_13select_configILj256ELj13ELNS0_17block_load_methodE3ELS4_3ELS4_3ELNS0_20block_scan_algorithmE0ELj4294967295EEENS1_25partition_config_selectorILNS1_17partition_subalgoE3EjNS0_10empty_typeEbEEZZNS1_14partition_implILS8_3ELb0ES6_jNS0_17counting_iteratorIjlEEPS9_SE_NS0_5tupleIJPjSE_EEENSF_IJSE_SE_EEES9_SG_JZNS1_25segmented_radix_sort_implINS0_14default_configELb0EPKbPbPKlPlN2at6native12_GLOBAL__N_18offset_tEEE10hipError_tPvRmT1_PNSt15iterator_traitsISY_E10value_typeET2_T3_PNSZ_IS14_E10value_typeET4_jRbjT5_S1A_jjP12ihipStream_tbEUljE_EEESV_SW_SX_S14_S18_S1A_T6_T7_T9_mT8_S1C_bDpT10_ENKUlT_T0_E_clISt17integral_constantIbLb1EES1P_EEDaS1K_S1L_EUlS1K_E_NS1_11comp_targetILNS1_3genE2ELNS1_11target_archE906ELNS1_3gpuE6ELNS1_3repE0EEENS1_30default_config_static_selectorELNS0_4arch9wavefront6targetE1EEEvSY_
    .private_segment_fixed_size: 0
    .sgpr_count:     4
    .sgpr_spill_count: 0
    .symbol:         _ZN7rocprim17ROCPRIM_400000_NS6detail17trampoline_kernelINS0_13select_configILj256ELj13ELNS0_17block_load_methodE3ELS4_3ELS4_3ELNS0_20block_scan_algorithmE0ELj4294967295EEENS1_25partition_config_selectorILNS1_17partition_subalgoE3EjNS0_10empty_typeEbEEZZNS1_14partition_implILS8_3ELb0ES6_jNS0_17counting_iteratorIjlEEPS9_SE_NS0_5tupleIJPjSE_EEENSF_IJSE_SE_EEES9_SG_JZNS1_25segmented_radix_sort_implINS0_14default_configELb0EPKbPbPKlPlN2at6native12_GLOBAL__N_18offset_tEEE10hipError_tPvRmT1_PNSt15iterator_traitsISY_E10value_typeET2_T3_PNSZ_IS14_E10value_typeET4_jRbjT5_S1A_jjP12ihipStream_tbEUljE_EEESV_SW_SX_S14_S18_S1A_T6_T7_T9_mT8_S1C_bDpT10_ENKUlT_T0_E_clISt17integral_constantIbLb1EES1P_EEDaS1K_S1L_EUlS1K_E_NS1_11comp_targetILNS1_3genE2ELNS1_11target_archE906ELNS1_3gpuE6ELNS1_3repE0EEENS1_30default_config_static_selectorELNS0_4arch9wavefront6targetE1EEEvSY_.kd
    .uniform_work_group_size: 1
    .uses_dynamic_stack: false
    .vgpr_count:     0
    .vgpr_spill_count: 0
    .wavefront_size: 64
  - .args:
      - .offset:         0
        .size:           152
        .value_kind:     by_value
    .group_segment_fixed_size: 0
    .kernarg_segment_align: 8
    .kernarg_segment_size: 152
    .language:       OpenCL C
    .language_version:
      - 2
      - 0
    .max_flat_workgroup_size: 256
    .name:           _ZN7rocprim17ROCPRIM_400000_NS6detail17trampoline_kernelINS0_13select_configILj256ELj13ELNS0_17block_load_methodE3ELS4_3ELS4_3ELNS0_20block_scan_algorithmE0ELj4294967295EEENS1_25partition_config_selectorILNS1_17partition_subalgoE3EjNS0_10empty_typeEbEEZZNS1_14partition_implILS8_3ELb0ES6_jNS0_17counting_iteratorIjlEEPS9_SE_NS0_5tupleIJPjSE_EEENSF_IJSE_SE_EEES9_SG_JZNS1_25segmented_radix_sort_implINS0_14default_configELb0EPKbPbPKlPlN2at6native12_GLOBAL__N_18offset_tEEE10hipError_tPvRmT1_PNSt15iterator_traitsISY_E10value_typeET2_T3_PNSZ_IS14_E10value_typeET4_jRbjT5_S1A_jjP12ihipStream_tbEUljE_EEESV_SW_SX_S14_S18_S1A_T6_T7_T9_mT8_S1C_bDpT10_ENKUlT_T0_E_clISt17integral_constantIbLb1EES1P_EEDaS1K_S1L_EUlS1K_E_NS1_11comp_targetILNS1_3genE10ELNS1_11target_archE1200ELNS1_3gpuE4ELNS1_3repE0EEENS1_30default_config_static_selectorELNS0_4arch9wavefront6targetE1EEEvSY_
    .private_segment_fixed_size: 0
    .sgpr_count:     4
    .sgpr_spill_count: 0
    .symbol:         _ZN7rocprim17ROCPRIM_400000_NS6detail17trampoline_kernelINS0_13select_configILj256ELj13ELNS0_17block_load_methodE3ELS4_3ELS4_3ELNS0_20block_scan_algorithmE0ELj4294967295EEENS1_25partition_config_selectorILNS1_17partition_subalgoE3EjNS0_10empty_typeEbEEZZNS1_14partition_implILS8_3ELb0ES6_jNS0_17counting_iteratorIjlEEPS9_SE_NS0_5tupleIJPjSE_EEENSF_IJSE_SE_EEES9_SG_JZNS1_25segmented_radix_sort_implINS0_14default_configELb0EPKbPbPKlPlN2at6native12_GLOBAL__N_18offset_tEEE10hipError_tPvRmT1_PNSt15iterator_traitsISY_E10value_typeET2_T3_PNSZ_IS14_E10value_typeET4_jRbjT5_S1A_jjP12ihipStream_tbEUljE_EEESV_SW_SX_S14_S18_S1A_T6_T7_T9_mT8_S1C_bDpT10_ENKUlT_T0_E_clISt17integral_constantIbLb1EES1P_EEDaS1K_S1L_EUlS1K_E_NS1_11comp_targetILNS1_3genE10ELNS1_11target_archE1200ELNS1_3gpuE4ELNS1_3repE0EEENS1_30default_config_static_selectorELNS0_4arch9wavefront6targetE1EEEvSY_.kd
    .uniform_work_group_size: 1
    .uses_dynamic_stack: false
    .vgpr_count:     0
    .vgpr_spill_count: 0
    .wavefront_size: 64
  - .args:
      - .offset:         0
        .size:           152
        .value_kind:     by_value
    .group_segment_fixed_size: 0
    .kernarg_segment_align: 8
    .kernarg_segment_size: 152
    .language:       OpenCL C
    .language_version:
      - 2
      - 0
    .max_flat_workgroup_size: 256
    .name:           _ZN7rocprim17ROCPRIM_400000_NS6detail17trampoline_kernelINS0_13select_configILj256ELj13ELNS0_17block_load_methodE3ELS4_3ELS4_3ELNS0_20block_scan_algorithmE0ELj4294967295EEENS1_25partition_config_selectorILNS1_17partition_subalgoE3EjNS0_10empty_typeEbEEZZNS1_14partition_implILS8_3ELb0ES6_jNS0_17counting_iteratorIjlEEPS9_SE_NS0_5tupleIJPjSE_EEENSF_IJSE_SE_EEES9_SG_JZNS1_25segmented_radix_sort_implINS0_14default_configELb0EPKbPbPKlPlN2at6native12_GLOBAL__N_18offset_tEEE10hipError_tPvRmT1_PNSt15iterator_traitsISY_E10value_typeET2_T3_PNSZ_IS14_E10value_typeET4_jRbjT5_S1A_jjP12ihipStream_tbEUljE_EEESV_SW_SX_S14_S18_S1A_T6_T7_T9_mT8_S1C_bDpT10_ENKUlT_T0_E_clISt17integral_constantIbLb1EES1P_EEDaS1K_S1L_EUlS1K_E_NS1_11comp_targetILNS1_3genE9ELNS1_11target_archE1100ELNS1_3gpuE3ELNS1_3repE0EEENS1_30default_config_static_selectorELNS0_4arch9wavefront6targetE1EEEvSY_
    .private_segment_fixed_size: 0
    .sgpr_count:     4
    .sgpr_spill_count: 0
    .symbol:         _ZN7rocprim17ROCPRIM_400000_NS6detail17trampoline_kernelINS0_13select_configILj256ELj13ELNS0_17block_load_methodE3ELS4_3ELS4_3ELNS0_20block_scan_algorithmE0ELj4294967295EEENS1_25partition_config_selectorILNS1_17partition_subalgoE3EjNS0_10empty_typeEbEEZZNS1_14partition_implILS8_3ELb0ES6_jNS0_17counting_iteratorIjlEEPS9_SE_NS0_5tupleIJPjSE_EEENSF_IJSE_SE_EEES9_SG_JZNS1_25segmented_radix_sort_implINS0_14default_configELb0EPKbPbPKlPlN2at6native12_GLOBAL__N_18offset_tEEE10hipError_tPvRmT1_PNSt15iterator_traitsISY_E10value_typeET2_T3_PNSZ_IS14_E10value_typeET4_jRbjT5_S1A_jjP12ihipStream_tbEUljE_EEESV_SW_SX_S14_S18_S1A_T6_T7_T9_mT8_S1C_bDpT10_ENKUlT_T0_E_clISt17integral_constantIbLb1EES1P_EEDaS1K_S1L_EUlS1K_E_NS1_11comp_targetILNS1_3genE9ELNS1_11target_archE1100ELNS1_3gpuE3ELNS1_3repE0EEENS1_30default_config_static_selectorELNS0_4arch9wavefront6targetE1EEEvSY_.kd
    .uniform_work_group_size: 1
    .uses_dynamic_stack: false
    .vgpr_count:     0
    .vgpr_spill_count: 0
    .wavefront_size: 64
  - .args:
      - .offset:         0
        .size:           152
        .value_kind:     by_value
    .group_segment_fixed_size: 0
    .kernarg_segment_align: 8
    .kernarg_segment_size: 152
    .language:       OpenCL C
    .language_version:
      - 2
      - 0
    .max_flat_workgroup_size: 256
    .name:           _ZN7rocprim17ROCPRIM_400000_NS6detail17trampoline_kernelINS0_13select_configILj256ELj13ELNS0_17block_load_methodE3ELS4_3ELS4_3ELNS0_20block_scan_algorithmE0ELj4294967295EEENS1_25partition_config_selectorILNS1_17partition_subalgoE3EjNS0_10empty_typeEbEEZZNS1_14partition_implILS8_3ELb0ES6_jNS0_17counting_iteratorIjlEEPS9_SE_NS0_5tupleIJPjSE_EEENSF_IJSE_SE_EEES9_SG_JZNS1_25segmented_radix_sort_implINS0_14default_configELb0EPKbPbPKlPlN2at6native12_GLOBAL__N_18offset_tEEE10hipError_tPvRmT1_PNSt15iterator_traitsISY_E10value_typeET2_T3_PNSZ_IS14_E10value_typeET4_jRbjT5_S1A_jjP12ihipStream_tbEUljE_EEESV_SW_SX_S14_S18_S1A_T6_T7_T9_mT8_S1C_bDpT10_ENKUlT_T0_E_clISt17integral_constantIbLb1EES1P_EEDaS1K_S1L_EUlS1K_E_NS1_11comp_targetILNS1_3genE8ELNS1_11target_archE1030ELNS1_3gpuE2ELNS1_3repE0EEENS1_30default_config_static_selectorELNS0_4arch9wavefront6targetE1EEEvSY_
    .private_segment_fixed_size: 0
    .sgpr_count:     4
    .sgpr_spill_count: 0
    .symbol:         _ZN7rocprim17ROCPRIM_400000_NS6detail17trampoline_kernelINS0_13select_configILj256ELj13ELNS0_17block_load_methodE3ELS4_3ELS4_3ELNS0_20block_scan_algorithmE0ELj4294967295EEENS1_25partition_config_selectorILNS1_17partition_subalgoE3EjNS0_10empty_typeEbEEZZNS1_14partition_implILS8_3ELb0ES6_jNS0_17counting_iteratorIjlEEPS9_SE_NS0_5tupleIJPjSE_EEENSF_IJSE_SE_EEES9_SG_JZNS1_25segmented_radix_sort_implINS0_14default_configELb0EPKbPbPKlPlN2at6native12_GLOBAL__N_18offset_tEEE10hipError_tPvRmT1_PNSt15iterator_traitsISY_E10value_typeET2_T3_PNSZ_IS14_E10value_typeET4_jRbjT5_S1A_jjP12ihipStream_tbEUljE_EEESV_SW_SX_S14_S18_S1A_T6_T7_T9_mT8_S1C_bDpT10_ENKUlT_T0_E_clISt17integral_constantIbLb1EES1P_EEDaS1K_S1L_EUlS1K_E_NS1_11comp_targetILNS1_3genE8ELNS1_11target_archE1030ELNS1_3gpuE2ELNS1_3repE0EEENS1_30default_config_static_selectorELNS0_4arch9wavefront6targetE1EEEvSY_.kd
    .uniform_work_group_size: 1
    .uses_dynamic_stack: false
    .vgpr_count:     0
    .vgpr_spill_count: 0
    .wavefront_size: 64
  - .args:
      - .offset:         0
        .size:           144
        .value_kind:     by_value
    .group_segment_fixed_size: 0
    .kernarg_segment_align: 8
    .kernarg_segment_size: 144
    .language:       OpenCL C
    .language_version:
      - 2
      - 0
    .max_flat_workgroup_size: 256
    .name:           _ZN7rocprim17ROCPRIM_400000_NS6detail17trampoline_kernelINS0_13select_configILj256ELj13ELNS0_17block_load_methodE3ELS4_3ELS4_3ELNS0_20block_scan_algorithmE0ELj4294967295EEENS1_25partition_config_selectorILNS1_17partition_subalgoE3EjNS0_10empty_typeEbEEZZNS1_14partition_implILS8_3ELb0ES6_jNS0_17counting_iteratorIjlEEPS9_SE_NS0_5tupleIJPjSE_EEENSF_IJSE_SE_EEES9_SG_JZNS1_25segmented_radix_sort_implINS0_14default_configELb0EPKbPbPKlPlN2at6native12_GLOBAL__N_18offset_tEEE10hipError_tPvRmT1_PNSt15iterator_traitsISY_E10value_typeET2_T3_PNSZ_IS14_E10value_typeET4_jRbjT5_S1A_jjP12ihipStream_tbEUljE_EEESV_SW_SX_S14_S18_S1A_T6_T7_T9_mT8_S1C_bDpT10_ENKUlT_T0_E_clISt17integral_constantIbLb1EES1O_IbLb0EEEEDaS1K_S1L_EUlS1K_E_NS1_11comp_targetILNS1_3genE0ELNS1_11target_archE4294967295ELNS1_3gpuE0ELNS1_3repE0EEENS1_30default_config_static_selectorELNS0_4arch9wavefront6targetE1EEEvSY_
    .private_segment_fixed_size: 0
    .sgpr_count:     4
    .sgpr_spill_count: 0
    .symbol:         _ZN7rocprim17ROCPRIM_400000_NS6detail17trampoline_kernelINS0_13select_configILj256ELj13ELNS0_17block_load_methodE3ELS4_3ELS4_3ELNS0_20block_scan_algorithmE0ELj4294967295EEENS1_25partition_config_selectorILNS1_17partition_subalgoE3EjNS0_10empty_typeEbEEZZNS1_14partition_implILS8_3ELb0ES6_jNS0_17counting_iteratorIjlEEPS9_SE_NS0_5tupleIJPjSE_EEENSF_IJSE_SE_EEES9_SG_JZNS1_25segmented_radix_sort_implINS0_14default_configELb0EPKbPbPKlPlN2at6native12_GLOBAL__N_18offset_tEEE10hipError_tPvRmT1_PNSt15iterator_traitsISY_E10value_typeET2_T3_PNSZ_IS14_E10value_typeET4_jRbjT5_S1A_jjP12ihipStream_tbEUljE_EEESV_SW_SX_S14_S18_S1A_T6_T7_T9_mT8_S1C_bDpT10_ENKUlT_T0_E_clISt17integral_constantIbLb1EES1O_IbLb0EEEEDaS1K_S1L_EUlS1K_E_NS1_11comp_targetILNS1_3genE0ELNS1_11target_archE4294967295ELNS1_3gpuE0ELNS1_3repE0EEENS1_30default_config_static_selectorELNS0_4arch9wavefront6targetE1EEEvSY_.kd
    .uniform_work_group_size: 1
    .uses_dynamic_stack: false
    .vgpr_count:     0
    .vgpr_spill_count: 0
    .wavefront_size: 64
  - .args:
      - .offset:         0
        .size:           144
        .value_kind:     by_value
    .group_segment_fixed_size: 0
    .kernarg_segment_align: 8
    .kernarg_segment_size: 144
    .language:       OpenCL C
    .language_version:
      - 2
      - 0
    .max_flat_workgroup_size: 256
    .name:           _ZN7rocprim17ROCPRIM_400000_NS6detail17trampoline_kernelINS0_13select_configILj256ELj13ELNS0_17block_load_methodE3ELS4_3ELS4_3ELNS0_20block_scan_algorithmE0ELj4294967295EEENS1_25partition_config_selectorILNS1_17partition_subalgoE3EjNS0_10empty_typeEbEEZZNS1_14partition_implILS8_3ELb0ES6_jNS0_17counting_iteratorIjlEEPS9_SE_NS0_5tupleIJPjSE_EEENSF_IJSE_SE_EEES9_SG_JZNS1_25segmented_radix_sort_implINS0_14default_configELb0EPKbPbPKlPlN2at6native12_GLOBAL__N_18offset_tEEE10hipError_tPvRmT1_PNSt15iterator_traitsISY_E10value_typeET2_T3_PNSZ_IS14_E10value_typeET4_jRbjT5_S1A_jjP12ihipStream_tbEUljE_EEESV_SW_SX_S14_S18_S1A_T6_T7_T9_mT8_S1C_bDpT10_ENKUlT_T0_E_clISt17integral_constantIbLb1EES1O_IbLb0EEEEDaS1K_S1L_EUlS1K_E_NS1_11comp_targetILNS1_3genE5ELNS1_11target_archE942ELNS1_3gpuE9ELNS1_3repE0EEENS1_30default_config_static_selectorELNS0_4arch9wavefront6targetE1EEEvSY_
    .private_segment_fixed_size: 0
    .sgpr_count:     4
    .sgpr_spill_count: 0
    .symbol:         _ZN7rocprim17ROCPRIM_400000_NS6detail17trampoline_kernelINS0_13select_configILj256ELj13ELNS0_17block_load_methodE3ELS4_3ELS4_3ELNS0_20block_scan_algorithmE0ELj4294967295EEENS1_25partition_config_selectorILNS1_17partition_subalgoE3EjNS0_10empty_typeEbEEZZNS1_14partition_implILS8_3ELb0ES6_jNS0_17counting_iteratorIjlEEPS9_SE_NS0_5tupleIJPjSE_EEENSF_IJSE_SE_EEES9_SG_JZNS1_25segmented_radix_sort_implINS0_14default_configELb0EPKbPbPKlPlN2at6native12_GLOBAL__N_18offset_tEEE10hipError_tPvRmT1_PNSt15iterator_traitsISY_E10value_typeET2_T3_PNSZ_IS14_E10value_typeET4_jRbjT5_S1A_jjP12ihipStream_tbEUljE_EEESV_SW_SX_S14_S18_S1A_T6_T7_T9_mT8_S1C_bDpT10_ENKUlT_T0_E_clISt17integral_constantIbLb1EES1O_IbLb0EEEEDaS1K_S1L_EUlS1K_E_NS1_11comp_targetILNS1_3genE5ELNS1_11target_archE942ELNS1_3gpuE9ELNS1_3repE0EEENS1_30default_config_static_selectorELNS0_4arch9wavefront6targetE1EEEvSY_.kd
    .uniform_work_group_size: 1
    .uses_dynamic_stack: false
    .vgpr_count:     0
    .vgpr_spill_count: 0
    .wavefront_size: 64
  - .args:
      - .offset:         0
        .size:           144
        .value_kind:     by_value
    .group_segment_fixed_size: 0
    .kernarg_segment_align: 8
    .kernarg_segment_size: 144
    .language:       OpenCL C
    .language_version:
      - 2
      - 0
    .max_flat_workgroup_size: 256
    .name:           _ZN7rocprim17ROCPRIM_400000_NS6detail17trampoline_kernelINS0_13select_configILj256ELj13ELNS0_17block_load_methodE3ELS4_3ELS4_3ELNS0_20block_scan_algorithmE0ELj4294967295EEENS1_25partition_config_selectorILNS1_17partition_subalgoE3EjNS0_10empty_typeEbEEZZNS1_14partition_implILS8_3ELb0ES6_jNS0_17counting_iteratorIjlEEPS9_SE_NS0_5tupleIJPjSE_EEENSF_IJSE_SE_EEES9_SG_JZNS1_25segmented_radix_sort_implINS0_14default_configELb0EPKbPbPKlPlN2at6native12_GLOBAL__N_18offset_tEEE10hipError_tPvRmT1_PNSt15iterator_traitsISY_E10value_typeET2_T3_PNSZ_IS14_E10value_typeET4_jRbjT5_S1A_jjP12ihipStream_tbEUljE_EEESV_SW_SX_S14_S18_S1A_T6_T7_T9_mT8_S1C_bDpT10_ENKUlT_T0_E_clISt17integral_constantIbLb1EES1O_IbLb0EEEEDaS1K_S1L_EUlS1K_E_NS1_11comp_targetILNS1_3genE4ELNS1_11target_archE910ELNS1_3gpuE8ELNS1_3repE0EEENS1_30default_config_static_selectorELNS0_4arch9wavefront6targetE1EEEvSY_
    .private_segment_fixed_size: 0
    .sgpr_count:     4
    .sgpr_spill_count: 0
    .symbol:         _ZN7rocprim17ROCPRIM_400000_NS6detail17trampoline_kernelINS0_13select_configILj256ELj13ELNS0_17block_load_methodE3ELS4_3ELS4_3ELNS0_20block_scan_algorithmE0ELj4294967295EEENS1_25partition_config_selectorILNS1_17partition_subalgoE3EjNS0_10empty_typeEbEEZZNS1_14partition_implILS8_3ELb0ES6_jNS0_17counting_iteratorIjlEEPS9_SE_NS0_5tupleIJPjSE_EEENSF_IJSE_SE_EEES9_SG_JZNS1_25segmented_radix_sort_implINS0_14default_configELb0EPKbPbPKlPlN2at6native12_GLOBAL__N_18offset_tEEE10hipError_tPvRmT1_PNSt15iterator_traitsISY_E10value_typeET2_T3_PNSZ_IS14_E10value_typeET4_jRbjT5_S1A_jjP12ihipStream_tbEUljE_EEESV_SW_SX_S14_S18_S1A_T6_T7_T9_mT8_S1C_bDpT10_ENKUlT_T0_E_clISt17integral_constantIbLb1EES1O_IbLb0EEEEDaS1K_S1L_EUlS1K_E_NS1_11comp_targetILNS1_3genE4ELNS1_11target_archE910ELNS1_3gpuE8ELNS1_3repE0EEENS1_30default_config_static_selectorELNS0_4arch9wavefront6targetE1EEEvSY_.kd
    .uniform_work_group_size: 1
    .uses_dynamic_stack: false
    .vgpr_count:     0
    .vgpr_spill_count: 0
    .wavefront_size: 64
  - .args:
      - .offset:         0
        .size:           144
        .value_kind:     by_value
    .group_segment_fixed_size: 0
    .kernarg_segment_align: 8
    .kernarg_segment_size: 144
    .language:       OpenCL C
    .language_version:
      - 2
      - 0
    .max_flat_workgroup_size: 256
    .name:           _ZN7rocprim17ROCPRIM_400000_NS6detail17trampoline_kernelINS0_13select_configILj256ELj13ELNS0_17block_load_methodE3ELS4_3ELS4_3ELNS0_20block_scan_algorithmE0ELj4294967295EEENS1_25partition_config_selectorILNS1_17partition_subalgoE3EjNS0_10empty_typeEbEEZZNS1_14partition_implILS8_3ELb0ES6_jNS0_17counting_iteratorIjlEEPS9_SE_NS0_5tupleIJPjSE_EEENSF_IJSE_SE_EEES9_SG_JZNS1_25segmented_radix_sort_implINS0_14default_configELb0EPKbPbPKlPlN2at6native12_GLOBAL__N_18offset_tEEE10hipError_tPvRmT1_PNSt15iterator_traitsISY_E10value_typeET2_T3_PNSZ_IS14_E10value_typeET4_jRbjT5_S1A_jjP12ihipStream_tbEUljE_EEESV_SW_SX_S14_S18_S1A_T6_T7_T9_mT8_S1C_bDpT10_ENKUlT_T0_E_clISt17integral_constantIbLb1EES1O_IbLb0EEEEDaS1K_S1L_EUlS1K_E_NS1_11comp_targetILNS1_3genE3ELNS1_11target_archE908ELNS1_3gpuE7ELNS1_3repE0EEENS1_30default_config_static_selectorELNS0_4arch9wavefront6targetE1EEEvSY_
    .private_segment_fixed_size: 0
    .sgpr_count:     4
    .sgpr_spill_count: 0
    .symbol:         _ZN7rocprim17ROCPRIM_400000_NS6detail17trampoline_kernelINS0_13select_configILj256ELj13ELNS0_17block_load_methodE3ELS4_3ELS4_3ELNS0_20block_scan_algorithmE0ELj4294967295EEENS1_25partition_config_selectorILNS1_17partition_subalgoE3EjNS0_10empty_typeEbEEZZNS1_14partition_implILS8_3ELb0ES6_jNS0_17counting_iteratorIjlEEPS9_SE_NS0_5tupleIJPjSE_EEENSF_IJSE_SE_EEES9_SG_JZNS1_25segmented_radix_sort_implINS0_14default_configELb0EPKbPbPKlPlN2at6native12_GLOBAL__N_18offset_tEEE10hipError_tPvRmT1_PNSt15iterator_traitsISY_E10value_typeET2_T3_PNSZ_IS14_E10value_typeET4_jRbjT5_S1A_jjP12ihipStream_tbEUljE_EEESV_SW_SX_S14_S18_S1A_T6_T7_T9_mT8_S1C_bDpT10_ENKUlT_T0_E_clISt17integral_constantIbLb1EES1O_IbLb0EEEEDaS1K_S1L_EUlS1K_E_NS1_11comp_targetILNS1_3genE3ELNS1_11target_archE908ELNS1_3gpuE7ELNS1_3repE0EEENS1_30default_config_static_selectorELNS0_4arch9wavefront6targetE1EEEvSY_.kd
    .uniform_work_group_size: 1
    .uses_dynamic_stack: false
    .vgpr_count:     0
    .vgpr_spill_count: 0
    .wavefront_size: 64
  - .args:
      - .offset:         0
        .size:           144
        .value_kind:     by_value
    .group_segment_fixed_size: 0
    .kernarg_segment_align: 8
    .kernarg_segment_size: 144
    .language:       OpenCL C
    .language_version:
      - 2
      - 0
    .max_flat_workgroup_size: 256
    .name:           _ZN7rocprim17ROCPRIM_400000_NS6detail17trampoline_kernelINS0_13select_configILj256ELj13ELNS0_17block_load_methodE3ELS4_3ELS4_3ELNS0_20block_scan_algorithmE0ELj4294967295EEENS1_25partition_config_selectorILNS1_17partition_subalgoE3EjNS0_10empty_typeEbEEZZNS1_14partition_implILS8_3ELb0ES6_jNS0_17counting_iteratorIjlEEPS9_SE_NS0_5tupleIJPjSE_EEENSF_IJSE_SE_EEES9_SG_JZNS1_25segmented_radix_sort_implINS0_14default_configELb0EPKbPbPKlPlN2at6native12_GLOBAL__N_18offset_tEEE10hipError_tPvRmT1_PNSt15iterator_traitsISY_E10value_typeET2_T3_PNSZ_IS14_E10value_typeET4_jRbjT5_S1A_jjP12ihipStream_tbEUljE_EEESV_SW_SX_S14_S18_S1A_T6_T7_T9_mT8_S1C_bDpT10_ENKUlT_T0_E_clISt17integral_constantIbLb1EES1O_IbLb0EEEEDaS1K_S1L_EUlS1K_E_NS1_11comp_targetILNS1_3genE2ELNS1_11target_archE906ELNS1_3gpuE6ELNS1_3repE0EEENS1_30default_config_static_selectorELNS0_4arch9wavefront6targetE1EEEvSY_
    .private_segment_fixed_size: 0
    .sgpr_count:     4
    .sgpr_spill_count: 0
    .symbol:         _ZN7rocprim17ROCPRIM_400000_NS6detail17trampoline_kernelINS0_13select_configILj256ELj13ELNS0_17block_load_methodE3ELS4_3ELS4_3ELNS0_20block_scan_algorithmE0ELj4294967295EEENS1_25partition_config_selectorILNS1_17partition_subalgoE3EjNS0_10empty_typeEbEEZZNS1_14partition_implILS8_3ELb0ES6_jNS0_17counting_iteratorIjlEEPS9_SE_NS0_5tupleIJPjSE_EEENSF_IJSE_SE_EEES9_SG_JZNS1_25segmented_radix_sort_implINS0_14default_configELb0EPKbPbPKlPlN2at6native12_GLOBAL__N_18offset_tEEE10hipError_tPvRmT1_PNSt15iterator_traitsISY_E10value_typeET2_T3_PNSZ_IS14_E10value_typeET4_jRbjT5_S1A_jjP12ihipStream_tbEUljE_EEESV_SW_SX_S14_S18_S1A_T6_T7_T9_mT8_S1C_bDpT10_ENKUlT_T0_E_clISt17integral_constantIbLb1EES1O_IbLb0EEEEDaS1K_S1L_EUlS1K_E_NS1_11comp_targetILNS1_3genE2ELNS1_11target_archE906ELNS1_3gpuE6ELNS1_3repE0EEENS1_30default_config_static_selectorELNS0_4arch9wavefront6targetE1EEEvSY_.kd
    .uniform_work_group_size: 1
    .uses_dynamic_stack: false
    .vgpr_count:     0
    .vgpr_spill_count: 0
    .wavefront_size: 64
  - .args:
      - .offset:         0
        .size:           144
        .value_kind:     by_value
    .group_segment_fixed_size: 0
    .kernarg_segment_align: 8
    .kernarg_segment_size: 144
    .language:       OpenCL C
    .language_version:
      - 2
      - 0
    .max_flat_workgroup_size: 256
    .name:           _ZN7rocprim17ROCPRIM_400000_NS6detail17trampoline_kernelINS0_13select_configILj256ELj13ELNS0_17block_load_methodE3ELS4_3ELS4_3ELNS0_20block_scan_algorithmE0ELj4294967295EEENS1_25partition_config_selectorILNS1_17partition_subalgoE3EjNS0_10empty_typeEbEEZZNS1_14partition_implILS8_3ELb0ES6_jNS0_17counting_iteratorIjlEEPS9_SE_NS0_5tupleIJPjSE_EEENSF_IJSE_SE_EEES9_SG_JZNS1_25segmented_radix_sort_implINS0_14default_configELb0EPKbPbPKlPlN2at6native12_GLOBAL__N_18offset_tEEE10hipError_tPvRmT1_PNSt15iterator_traitsISY_E10value_typeET2_T3_PNSZ_IS14_E10value_typeET4_jRbjT5_S1A_jjP12ihipStream_tbEUljE_EEESV_SW_SX_S14_S18_S1A_T6_T7_T9_mT8_S1C_bDpT10_ENKUlT_T0_E_clISt17integral_constantIbLb1EES1O_IbLb0EEEEDaS1K_S1L_EUlS1K_E_NS1_11comp_targetILNS1_3genE10ELNS1_11target_archE1200ELNS1_3gpuE4ELNS1_3repE0EEENS1_30default_config_static_selectorELNS0_4arch9wavefront6targetE1EEEvSY_
    .private_segment_fixed_size: 0
    .sgpr_count:     4
    .sgpr_spill_count: 0
    .symbol:         _ZN7rocprim17ROCPRIM_400000_NS6detail17trampoline_kernelINS0_13select_configILj256ELj13ELNS0_17block_load_methodE3ELS4_3ELS4_3ELNS0_20block_scan_algorithmE0ELj4294967295EEENS1_25partition_config_selectorILNS1_17partition_subalgoE3EjNS0_10empty_typeEbEEZZNS1_14partition_implILS8_3ELb0ES6_jNS0_17counting_iteratorIjlEEPS9_SE_NS0_5tupleIJPjSE_EEENSF_IJSE_SE_EEES9_SG_JZNS1_25segmented_radix_sort_implINS0_14default_configELb0EPKbPbPKlPlN2at6native12_GLOBAL__N_18offset_tEEE10hipError_tPvRmT1_PNSt15iterator_traitsISY_E10value_typeET2_T3_PNSZ_IS14_E10value_typeET4_jRbjT5_S1A_jjP12ihipStream_tbEUljE_EEESV_SW_SX_S14_S18_S1A_T6_T7_T9_mT8_S1C_bDpT10_ENKUlT_T0_E_clISt17integral_constantIbLb1EES1O_IbLb0EEEEDaS1K_S1L_EUlS1K_E_NS1_11comp_targetILNS1_3genE10ELNS1_11target_archE1200ELNS1_3gpuE4ELNS1_3repE0EEENS1_30default_config_static_selectorELNS0_4arch9wavefront6targetE1EEEvSY_.kd
    .uniform_work_group_size: 1
    .uses_dynamic_stack: false
    .vgpr_count:     0
    .vgpr_spill_count: 0
    .wavefront_size: 64
  - .args:
      - .offset:         0
        .size:           144
        .value_kind:     by_value
    .group_segment_fixed_size: 0
    .kernarg_segment_align: 8
    .kernarg_segment_size: 144
    .language:       OpenCL C
    .language_version:
      - 2
      - 0
    .max_flat_workgroup_size: 256
    .name:           _ZN7rocprim17ROCPRIM_400000_NS6detail17trampoline_kernelINS0_13select_configILj256ELj13ELNS0_17block_load_methodE3ELS4_3ELS4_3ELNS0_20block_scan_algorithmE0ELj4294967295EEENS1_25partition_config_selectorILNS1_17partition_subalgoE3EjNS0_10empty_typeEbEEZZNS1_14partition_implILS8_3ELb0ES6_jNS0_17counting_iteratorIjlEEPS9_SE_NS0_5tupleIJPjSE_EEENSF_IJSE_SE_EEES9_SG_JZNS1_25segmented_radix_sort_implINS0_14default_configELb0EPKbPbPKlPlN2at6native12_GLOBAL__N_18offset_tEEE10hipError_tPvRmT1_PNSt15iterator_traitsISY_E10value_typeET2_T3_PNSZ_IS14_E10value_typeET4_jRbjT5_S1A_jjP12ihipStream_tbEUljE_EEESV_SW_SX_S14_S18_S1A_T6_T7_T9_mT8_S1C_bDpT10_ENKUlT_T0_E_clISt17integral_constantIbLb1EES1O_IbLb0EEEEDaS1K_S1L_EUlS1K_E_NS1_11comp_targetILNS1_3genE9ELNS1_11target_archE1100ELNS1_3gpuE3ELNS1_3repE0EEENS1_30default_config_static_selectorELNS0_4arch9wavefront6targetE1EEEvSY_
    .private_segment_fixed_size: 0
    .sgpr_count:     4
    .sgpr_spill_count: 0
    .symbol:         _ZN7rocprim17ROCPRIM_400000_NS6detail17trampoline_kernelINS0_13select_configILj256ELj13ELNS0_17block_load_methodE3ELS4_3ELS4_3ELNS0_20block_scan_algorithmE0ELj4294967295EEENS1_25partition_config_selectorILNS1_17partition_subalgoE3EjNS0_10empty_typeEbEEZZNS1_14partition_implILS8_3ELb0ES6_jNS0_17counting_iteratorIjlEEPS9_SE_NS0_5tupleIJPjSE_EEENSF_IJSE_SE_EEES9_SG_JZNS1_25segmented_radix_sort_implINS0_14default_configELb0EPKbPbPKlPlN2at6native12_GLOBAL__N_18offset_tEEE10hipError_tPvRmT1_PNSt15iterator_traitsISY_E10value_typeET2_T3_PNSZ_IS14_E10value_typeET4_jRbjT5_S1A_jjP12ihipStream_tbEUljE_EEESV_SW_SX_S14_S18_S1A_T6_T7_T9_mT8_S1C_bDpT10_ENKUlT_T0_E_clISt17integral_constantIbLb1EES1O_IbLb0EEEEDaS1K_S1L_EUlS1K_E_NS1_11comp_targetILNS1_3genE9ELNS1_11target_archE1100ELNS1_3gpuE3ELNS1_3repE0EEENS1_30default_config_static_selectorELNS0_4arch9wavefront6targetE1EEEvSY_.kd
    .uniform_work_group_size: 1
    .uses_dynamic_stack: false
    .vgpr_count:     0
    .vgpr_spill_count: 0
    .wavefront_size: 64
  - .args:
      - .offset:         0
        .size:           144
        .value_kind:     by_value
    .group_segment_fixed_size: 0
    .kernarg_segment_align: 8
    .kernarg_segment_size: 144
    .language:       OpenCL C
    .language_version:
      - 2
      - 0
    .max_flat_workgroup_size: 256
    .name:           _ZN7rocprim17ROCPRIM_400000_NS6detail17trampoline_kernelINS0_13select_configILj256ELj13ELNS0_17block_load_methodE3ELS4_3ELS4_3ELNS0_20block_scan_algorithmE0ELj4294967295EEENS1_25partition_config_selectorILNS1_17partition_subalgoE3EjNS0_10empty_typeEbEEZZNS1_14partition_implILS8_3ELb0ES6_jNS0_17counting_iteratorIjlEEPS9_SE_NS0_5tupleIJPjSE_EEENSF_IJSE_SE_EEES9_SG_JZNS1_25segmented_radix_sort_implINS0_14default_configELb0EPKbPbPKlPlN2at6native12_GLOBAL__N_18offset_tEEE10hipError_tPvRmT1_PNSt15iterator_traitsISY_E10value_typeET2_T3_PNSZ_IS14_E10value_typeET4_jRbjT5_S1A_jjP12ihipStream_tbEUljE_EEESV_SW_SX_S14_S18_S1A_T6_T7_T9_mT8_S1C_bDpT10_ENKUlT_T0_E_clISt17integral_constantIbLb1EES1O_IbLb0EEEEDaS1K_S1L_EUlS1K_E_NS1_11comp_targetILNS1_3genE8ELNS1_11target_archE1030ELNS1_3gpuE2ELNS1_3repE0EEENS1_30default_config_static_selectorELNS0_4arch9wavefront6targetE1EEEvSY_
    .private_segment_fixed_size: 0
    .sgpr_count:     4
    .sgpr_spill_count: 0
    .symbol:         _ZN7rocprim17ROCPRIM_400000_NS6detail17trampoline_kernelINS0_13select_configILj256ELj13ELNS0_17block_load_methodE3ELS4_3ELS4_3ELNS0_20block_scan_algorithmE0ELj4294967295EEENS1_25partition_config_selectorILNS1_17partition_subalgoE3EjNS0_10empty_typeEbEEZZNS1_14partition_implILS8_3ELb0ES6_jNS0_17counting_iteratorIjlEEPS9_SE_NS0_5tupleIJPjSE_EEENSF_IJSE_SE_EEES9_SG_JZNS1_25segmented_radix_sort_implINS0_14default_configELb0EPKbPbPKlPlN2at6native12_GLOBAL__N_18offset_tEEE10hipError_tPvRmT1_PNSt15iterator_traitsISY_E10value_typeET2_T3_PNSZ_IS14_E10value_typeET4_jRbjT5_S1A_jjP12ihipStream_tbEUljE_EEESV_SW_SX_S14_S18_S1A_T6_T7_T9_mT8_S1C_bDpT10_ENKUlT_T0_E_clISt17integral_constantIbLb1EES1O_IbLb0EEEEDaS1K_S1L_EUlS1K_E_NS1_11comp_targetILNS1_3genE8ELNS1_11target_archE1030ELNS1_3gpuE2ELNS1_3repE0EEENS1_30default_config_static_selectorELNS0_4arch9wavefront6targetE1EEEvSY_.kd
    .uniform_work_group_size: 1
    .uses_dynamic_stack: false
    .vgpr_count:     0
    .vgpr_spill_count: 0
    .wavefront_size: 64
  - .args:
      - .offset:         0
        .size:           152
        .value_kind:     by_value
    .group_segment_fixed_size: 0
    .kernarg_segment_align: 8
    .kernarg_segment_size: 152
    .language:       OpenCL C
    .language_version:
      - 2
      - 0
    .max_flat_workgroup_size: 256
    .name:           _ZN7rocprim17ROCPRIM_400000_NS6detail17trampoline_kernelINS0_13select_configILj256ELj13ELNS0_17block_load_methodE3ELS4_3ELS4_3ELNS0_20block_scan_algorithmE0ELj4294967295EEENS1_25partition_config_selectorILNS1_17partition_subalgoE3EjNS0_10empty_typeEbEEZZNS1_14partition_implILS8_3ELb0ES6_jNS0_17counting_iteratorIjlEEPS9_SE_NS0_5tupleIJPjSE_EEENSF_IJSE_SE_EEES9_SG_JZNS1_25segmented_radix_sort_implINS0_14default_configELb0EPKbPbPKlPlN2at6native12_GLOBAL__N_18offset_tEEE10hipError_tPvRmT1_PNSt15iterator_traitsISY_E10value_typeET2_T3_PNSZ_IS14_E10value_typeET4_jRbjT5_S1A_jjP12ihipStream_tbEUljE_EEESV_SW_SX_S14_S18_S1A_T6_T7_T9_mT8_S1C_bDpT10_ENKUlT_T0_E_clISt17integral_constantIbLb0EES1O_IbLb1EEEEDaS1K_S1L_EUlS1K_E_NS1_11comp_targetILNS1_3genE0ELNS1_11target_archE4294967295ELNS1_3gpuE0ELNS1_3repE0EEENS1_30default_config_static_selectorELNS0_4arch9wavefront6targetE1EEEvSY_
    .private_segment_fixed_size: 0
    .sgpr_count:     4
    .sgpr_spill_count: 0
    .symbol:         _ZN7rocprim17ROCPRIM_400000_NS6detail17trampoline_kernelINS0_13select_configILj256ELj13ELNS0_17block_load_methodE3ELS4_3ELS4_3ELNS0_20block_scan_algorithmE0ELj4294967295EEENS1_25partition_config_selectorILNS1_17partition_subalgoE3EjNS0_10empty_typeEbEEZZNS1_14partition_implILS8_3ELb0ES6_jNS0_17counting_iteratorIjlEEPS9_SE_NS0_5tupleIJPjSE_EEENSF_IJSE_SE_EEES9_SG_JZNS1_25segmented_radix_sort_implINS0_14default_configELb0EPKbPbPKlPlN2at6native12_GLOBAL__N_18offset_tEEE10hipError_tPvRmT1_PNSt15iterator_traitsISY_E10value_typeET2_T3_PNSZ_IS14_E10value_typeET4_jRbjT5_S1A_jjP12ihipStream_tbEUljE_EEESV_SW_SX_S14_S18_S1A_T6_T7_T9_mT8_S1C_bDpT10_ENKUlT_T0_E_clISt17integral_constantIbLb0EES1O_IbLb1EEEEDaS1K_S1L_EUlS1K_E_NS1_11comp_targetILNS1_3genE0ELNS1_11target_archE4294967295ELNS1_3gpuE0ELNS1_3repE0EEENS1_30default_config_static_selectorELNS0_4arch9wavefront6targetE1EEEvSY_.kd
    .uniform_work_group_size: 1
    .uses_dynamic_stack: false
    .vgpr_count:     0
    .vgpr_spill_count: 0
    .wavefront_size: 64
  - .args:
      - .offset:         0
        .size:           152
        .value_kind:     by_value
    .group_segment_fixed_size: 0
    .kernarg_segment_align: 8
    .kernarg_segment_size: 152
    .language:       OpenCL C
    .language_version:
      - 2
      - 0
    .max_flat_workgroup_size: 256
    .name:           _ZN7rocprim17ROCPRIM_400000_NS6detail17trampoline_kernelINS0_13select_configILj256ELj13ELNS0_17block_load_methodE3ELS4_3ELS4_3ELNS0_20block_scan_algorithmE0ELj4294967295EEENS1_25partition_config_selectorILNS1_17partition_subalgoE3EjNS0_10empty_typeEbEEZZNS1_14partition_implILS8_3ELb0ES6_jNS0_17counting_iteratorIjlEEPS9_SE_NS0_5tupleIJPjSE_EEENSF_IJSE_SE_EEES9_SG_JZNS1_25segmented_radix_sort_implINS0_14default_configELb0EPKbPbPKlPlN2at6native12_GLOBAL__N_18offset_tEEE10hipError_tPvRmT1_PNSt15iterator_traitsISY_E10value_typeET2_T3_PNSZ_IS14_E10value_typeET4_jRbjT5_S1A_jjP12ihipStream_tbEUljE_EEESV_SW_SX_S14_S18_S1A_T6_T7_T9_mT8_S1C_bDpT10_ENKUlT_T0_E_clISt17integral_constantIbLb0EES1O_IbLb1EEEEDaS1K_S1L_EUlS1K_E_NS1_11comp_targetILNS1_3genE5ELNS1_11target_archE942ELNS1_3gpuE9ELNS1_3repE0EEENS1_30default_config_static_selectorELNS0_4arch9wavefront6targetE1EEEvSY_
    .private_segment_fixed_size: 0
    .sgpr_count:     4
    .sgpr_spill_count: 0
    .symbol:         _ZN7rocprim17ROCPRIM_400000_NS6detail17trampoline_kernelINS0_13select_configILj256ELj13ELNS0_17block_load_methodE3ELS4_3ELS4_3ELNS0_20block_scan_algorithmE0ELj4294967295EEENS1_25partition_config_selectorILNS1_17partition_subalgoE3EjNS0_10empty_typeEbEEZZNS1_14partition_implILS8_3ELb0ES6_jNS0_17counting_iteratorIjlEEPS9_SE_NS0_5tupleIJPjSE_EEENSF_IJSE_SE_EEES9_SG_JZNS1_25segmented_radix_sort_implINS0_14default_configELb0EPKbPbPKlPlN2at6native12_GLOBAL__N_18offset_tEEE10hipError_tPvRmT1_PNSt15iterator_traitsISY_E10value_typeET2_T3_PNSZ_IS14_E10value_typeET4_jRbjT5_S1A_jjP12ihipStream_tbEUljE_EEESV_SW_SX_S14_S18_S1A_T6_T7_T9_mT8_S1C_bDpT10_ENKUlT_T0_E_clISt17integral_constantIbLb0EES1O_IbLb1EEEEDaS1K_S1L_EUlS1K_E_NS1_11comp_targetILNS1_3genE5ELNS1_11target_archE942ELNS1_3gpuE9ELNS1_3repE0EEENS1_30default_config_static_selectorELNS0_4arch9wavefront6targetE1EEEvSY_.kd
    .uniform_work_group_size: 1
    .uses_dynamic_stack: false
    .vgpr_count:     0
    .vgpr_spill_count: 0
    .wavefront_size: 64
  - .args:
      - .offset:         0
        .size:           152
        .value_kind:     by_value
    .group_segment_fixed_size: 0
    .kernarg_segment_align: 8
    .kernarg_segment_size: 152
    .language:       OpenCL C
    .language_version:
      - 2
      - 0
    .max_flat_workgroup_size: 256
    .name:           _ZN7rocprim17ROCPRIM_400000_NS6detail17trampoline_kernelINS0_13select_configILj256ELj13ELNS0_17block_load_methodE3ELS4_3ELS4_3ELNS0_20block_scan_algorithmE0ELj4294967295EEENS1_25partition_config_selectorILNS1_17partition_subalgoE3EjNS0_10empty_typeEbEEZZNS1_14partition_implILS8_3ELb0ES6_jNS0_17counting_iteratorIjlEEPS9_SE_NS0_5tupleIJPjSE_EEENSF_IJSE_SE_EEES9_SG_JZNS1_25segmented_radix_sort_implINS0_14default_configELb0EPKbPbPKlPlN2at6native12_GLOBAL__N_18offset_tEEE10hipError_tPvRmT1_PNSt15iterator_traitsISY_E10value_typeET2_T3_PNSZ_IS14_E10value_typeET4_jRbjT5_S1A_jjP12ihipStream_tbEUljE_EEESV_SW_SX_S14_S18_S1A_T6_T7_T9_mT8_S1C_bDpT10_ENKUlT_T0_E_clISt17integral_constantIbLb0EES1O_IbLb1EEEEDaS1K_S1L_EUlS1K_E_NS1_11comp_targetILNS1_3genE4ELNS1_11target_archE910ELNS1_3gpuE8ELNS1_3repE0EEENS1_30default_config_static_selectorELNS0_4arch9wavefront6targetE1EEEvSY_
    .private_segment_fixed_size: 0
    .sgpr_count:     4
    .sgpr_spill_count: 0
    .symbol:         _ZN7rocprim17ROCPRIM_400000_NS6detail17trampoline_kernelINS0_13select_configILj256ELj13ELNS0_17block_load_methodE3ELS4_3ELS4_3ELNS0_20block_scan_algorithmE0ELj4294967295EEENS1_25partition_config_selectorILNS1_17partition_subalgoE3EjNS0_10empty_typeEbEEZZNS1_14partition_implILS8_3ELb0ES6_jNS0_17counting_iteratorIjlEEPS9_SE_NS0_5tupleIJPjSE_EEENSF_IJSE_SE_EEES9_SG_JZNS1_25segmented_radix_sort_implINS0_14default_configELb0EPKbPbPKlPlN2at6native12_GLOBAL__N_18offset_tEEE10hipError_tPvRmT1_PNSt15iterator_traitsISY_E10value_typeET2_T3_PNSZ_IS14_E10value_typeET4_jRbjT5_S1A_jjP12ihipStream_tbEUljE_EEESV_SW_SX_S14_S18_S1A_T6_T7_T9_mT8_S1C_bDpT10_ENKUlT_T0_E_clISt17integral_constantIbLb0EES1O_IbLb1EEEEDaS1K_S1L_EUlS1K_E_NS1_11comp_targetILNS1_3genE4ELNS1_11target_archE910ELNS1_3gpuE8ELNS1_3repE0EEENS1_30default_config_static_selectorELNS0_4arch9wavefront6targetE1EEEvSY_.kd
    .uniform_work_group_size: 1
    .uses_dynamic_stack: false
    .vgpr_count:     0
    .vgpr_spill_count: 0
    .wavefront_size: 64
  - .args:
      - .offset:         0
        .size:           152
        .value_kind:     by_value
    .group_segment_fixed_size: 0
    .kernarg_segment_align: 8
    .kernarg_segment_size: 152
    .language:       OpenCL C
    .language_version:
      - 2
      - 0
    .max_flat_workgroup_size: 256
    .name:           _ZN7rocprim17ROCPRIM_400000_NS6detail17trampoline_kernelINS0_13select_configILj256ELj13ELNS0_17block_load_methodE3ELS4_3ELS4_3ELNS0_20block_scan_algorithmE0ELj4294967295EEENS1_25partition_config_selectorILNS1_17partition_subalgoE3EjNS0_10empty_typeEbEEZZNS1_14partition_implILS8_3ELb0ES6_jNS0_17counting_iteratorIjlEEPS9_SE_NS0_5tupleIJPjSE_EEENSF_IJSE_SE_EEES9_SG_JZNS1_25segmented_radix_sort_implINS0_14default_configELb0EPKbPbPKlPlN2at6native12_GLOBAL__N_18offset_tEEE10hipError_tPvRmT1_PNSt15iterator_traitsISY_E10value_typeET2_T3_PNSZ_IS14_E10value_typeET4_jRbjT5_S1A_jjP12ihipStream_tbEUljE_EEESV_SW_SX_S14_S18_S1A_T6_T7_T9_mT8_S1C_bDpT10_ENKUlT_T0_E_clISt17integral_constantIbLb0EES1O_IbLb1EEEEDaS1K_S1L_EUlS1K_E_NS1_11comp_targetILNS1_3genE3ELNS1_11target_archE908ELNS1_3gpuE7ELNS1_3repE0EEENS1_30default_config_static_selectorELNS0_4arch9wavefront6targetE1EEEvSY_
    .private_segment_fixed_size: 0
    .sgpr_count:     4
    .sgpr_spill_count: 0
    .symbol:         _ZN7rocprim17ROCPRIM_400000_NS6detail17trampoline_kernelINS0_13select_configILj256ELj13ELNS0_17block_load_methodE3ELS4_3ELS4_3ELNS0_20block_scan_algorithmE0ELj4294967295EEENS1_25partition_config_selectorILNS1_17partition_subalgoE3EjNS0_10empty_typeEbEEZZNS1_14partition_implILS8_3ELb0ES6_jNS0_17counting_iteratorIjlEEPS9_SE_NS0_5tupleIJPjSE_EEENSF_IJSE_SE_EEES9_SG_JZNS1_25segmented_radix_sort_implINS0_14default_configELb0EPKbPbPKlPlN2at6native12_GLOBAL__N_18offset_tEEE10hipError_tPvRmT1_PNSt15iterator_traitsISY_E10value_typeET2_T3_PNSZ_IS14_E10value_typeET4_jRbjT5_S1A_jjP12ihipStream_tbEUljE_EEESV_SW_SX_S14_S18_S1A_T6_T7_T9_mT8_S1C_bDpT10_ENKUlT_T0_E_clISt17integral_constantIbLb0EES1O_IbLb1EEEEDaS1K_S1L_EUlS1K_E_NS1_11comp_targetILNS1_3genE3ELNS1_11target_archE908ELNS1_3gpuE7ELNS1_3repE0EEENS1_30default_config_static_selectorELNS0_4arch9wavefront6targetE1EEEvSY_.kd
    .uniform_work_group_size: 1
    .uses_dynamic_stack: false
    .vgpr_count:     0
    .vgpr_spill_count: 0
    .wavefront_size: 64
  - .args:
      - .offset:         0
        .size:           152
        .value_kind:     by_value
    .group_segment_fixed_size: 13320
    .kernarg_segment_align: 8
    .kernarg_segment_size: 152
    .language:       OpenCL C
    .language_version:
      - 2
      - 0
    .max_flat_workgroup_size: 256
    .name:           _ZN7rocprim17ROCPRIM_400000_NS6detail17trampoline_kernelINS0_13select_configILj256ELj13ELNS0_17block_load_methodE3ELS4_3ELS4_3ELNS0_20block_scan_algorithmE0ELj4294967295EEENS1_25partition_config_selectorILNS1_17partition_subalgoE3EjNS0_10empty_typeEbEEZZNS1_14partition_implILS8_3ELb0ES6_jNS0_17counting_iteratorIjlEEPS9_SE_NS0_5tupleIJPjSE_EEENSF_IJSE_SE_EEES9_SG_JZNS1_25segmented_radix_sort_implINS0_14default_configELb0EPKbPbPKlPlN2at6native12_GLOBAL__N_18offset_tEEE10hipError_tPvRmT1_PNSt15iterator_traitsISY_E10value_typeET2_T3_PNSZ_IS14_E10value_typeET4_jRbjT5_S1A_jjP12ihipStream_tbEUljE_EEESV_SW_SX_S14_S18_S1A_T6_T7_T9_mT8_S1C_bDpT10_ENKUlT_T0_E_clISt17integral_constantIbLb0EES1O_IbLb1EEEEDaS1K_S1L_EUlS1K_E_NS1_11comp_targetILNS1_3genE2ELNS1_11target_archE906ELNS1_3gpuE6ELNS1_3repE0EEENS1_30default_config_static_selectorELNS0_4arch9wavefront6targetE1EEEvSY_
    .private_segment_fixed_size: 0
    .sgpr_count:     50
    .sgpr_spill_count: 0
    .symbol:         _ZN7rocprim17ROCPRIM_400000_NS6detail17trampoline_kernelINS0_13select_configILj256ELj13ELNS0_17block_load_methodE3ELS4_3ELS4_3ELNS0_20block_scan_algorithmE0ELj4294967295EEENS1_25partition_config_selectorILNS1_17partition_subalgoE3EjNS0_10empty_typeEbEEZZNS1_14partition_implILS8_3ELb0ES6_jNS0_17counting_iteratorIjlEEPS9_SE_NS0_5tupleIJPjSE_EEENSF_IJSE_SE_EEES9_SG_JZNS1_25segmented_radix_sort_implINS0_14default_configELb0EPKbPbPKlPlN2at6native12_GLOBAL__N_18offset_tEEE10hipError_tPvRmT1_PNSt15iterator_traitsISY_E10value_typeET2_T3_PNSZ_IS14_E10value_typeET4_jRbjT5_S1A_jjP12ihipStream_tbEUljE_EEESV_SW_SX_S14_S18_S1A_T6_T7_T9_mT8_S1C_bDpT10_ENKUlT_T0_E_clISt17integral_constantIbLb0EES1O_IbLb1EEEEDaS1K_S1L_EUlS1K_E_NS1_11comp_targetILNS1_3genE2ELNS1_11target_archE906ELNS1_3gpuE6ELNS1_3repE0EEENS1_30default_config_static_selectorELNS0_4arch9wavefront6targetE1EEEvSY_.kd
    .uniform_work_group_size: 1
    .uses_dynamic_stack: false
    .vgpr_count:     71
    .vgpr_spill_count: 0
    .wavefront_size: 64
  - .args:
      - .offset:         0
        .size:           152
        .value_kind:     by_value
    .group_segment_fixed_size: 0
    .kernarg_segment_align: 8
    .kernarg_segment_size: 152
    .language:       OpenCL C
    .language_version:
      - 2
      - 0
    .max_flat_workgroup_size: 256
    .name:           _ZN7rocprim17ROCPRIM_400000_NS6detail17trampoline_kernelINS0_13select_configILj256ELj13ELNS0_17block_load_methodE3ELS4_3ELS4_3ELNS0_20block_scan_algorithmE0ELj4294967295EEENS1_25partition_config_selectorILNS1_17partition_subalgoE3EjNS0_10empty_typeEbEEZZNS1_14partition_implILS8_3ELb0ES6_jNS0_17counting_iteratorIjlEEPS9_SE_NS0_5tupleIJPjSE_EEENSF_IJSE_SE_EEES9_SG_JZNS1_25segmented_radix_sort_implINS0_14default_configELb0EPKbPbPKlPlN2at6native12_GLOBAL__N_18offset_tEEE10hipError_tPvRmT1_PNSt15iterator_traitsISY_E10value_typeET2_T3_PNSZ_IS14_E10value_typeET4_jRbjT5_S1A_jjP12ihipStream_tbEUljE_EEESV_SW_SX_S14_S18_S1A_T6_T7_T9_mT8_S1C_bDpT10_ENKUlT_T0_E_clISt17integral_constantIbLb0EES1O_IbLb1EEEEDaS1K_S1L_EUlS1K_E_NS1_11comp_targetILNS1_3genE10ELNS1_11target_archE1200ELNS1_3gpuE4ELNS1_3repE0EEENS1_30default_config_static_selectorELNS0_4arch9wavefront6targetE1EEEvSY_
    .private_segment_fixed_size: 0
    .sgpr_count:     4
    .sgpr_spill_count: 0
    .symbol:         _ZN7rocprim17ROCPRIM_400000_NS6detail17trampoline_kernelINS0_13select_configILj256ELj13ELNS0_17block_load_methodE3ELS4_3ELS4_3ELNS0_20block_scan_algorithmE0ELj4294967295EEENS1_25partition_config_selectorILNS1_17partition_subalgoE3EjNS0_10empty_typeEbEEZZNS1_14partition_implILS8_3ELb0ES6_jNS0_17counting_iteratorIjlEEPS9_SE_NS0_5tupleIJPjSE_EEENSF_IJSE_SE_EEES9_SG_JZNS1_25segmented_radix_sort_implINS0_14default_configELb0EPKbPbPKlPlN2at6native12_GLOBAL__N_18offset_tEEE10hipError_tPvRmT1_PNSt15iterator_traitsISY_E10value_typeET2_T3_PNSZ_IS14_E10value_typeET4_jRbjT5_S1A_jjP12ihipStream_tbEUljE_EEESV_SW_SX_S14_S18_S1A_T6_T7_T9_mT8_S1C_bDpT10_ENKUlT_T0_E_clISt17integral_constantIbLb0EES1O_IbLb1EEEEDaS1K_S1L_EUlS1K_E_NS1_11comp_targetILNS1_3genE10ELNS1_11target_archE1200ELNS1_3gpuE4ELNS1_3repE0EEENS1_30default_config_static_selectorELNS0_4arch9wavefront6targetE1EEEvSY_.kd
    .uniform_work_group_size: 1
    .uses_dynamic_stack: false
    .vgpr_count:     0
    .vgpr_spill_count: 0
    .wavefront_size: 64
  - .args:
      - .offset:         0
        .size:           152
        .value_kind:     by_value
    .group_segment_fixed_size: 0
    .kernarg_segment_align: 8
    .kernarg_segment_size: 152
    .language:       OpenCL C
    .language_version:
      - 2
      - 0
    .max_flat_workgroup_size: 256
    .name:           _ZN7rocprim17ROCPRIM_400000_NS6detail17trampoline_kernelINS0_13select_configILj256ELj13ELNS0_17block_load_methodE3ELS4_3ELS4_3ELNS0_20block_scan_algorithmE0ELj4294967295EEENS1_25partition_config_selectorILNS1_17partition_subalgoE3EjNS0_10empty_typeEbEEZZNS1_14partition_implILS8_3ELb0ES6_jNS0_17counting_iteratorIjlEEPS9_SE_NS0_5tupleIJPjSE_EEENSF_IJSE_SE_EEES9_SG_JZNS1_25segmented_radix_sort_implINS0_14default_configELb0EPKbPbPKlPlN2at6native12_GLOBAL__N_18offset_tEEE10hipError_tPvRmT1_PNSt15iterator_traitsISY_E10value_typeET2_T3_PNSZ_IS14_E10value_typeET4_jRbjT5_S1A_jjP12ihipStream_tbEUljE_EEESV_SW_SX_S14_S18_S1A_T6_T7_T9_mT8_S1C_bDpT10_ENKUlT_T0_E_clISt17integral_constantIbLb0EES1O_IbLb1EEEEDaS1K_S1L_EUlS1K_E_NS1_11comp_targetILNS1_3genE9ELNS1_11target_archE1100ELNS1_3gpuE3ELNS1_3repE0EEENS1_30default_config_static_selectorELNS0_4arch9wavefront6targetE1EEEvSY_
    .private_segment_fixed_size: 0
    .sgpr_count:     4
    .sgpr_spill_count: 0
    .symbol:         _ZN7rocprim17ROCPRIM_400000_NS6detail17trampoline_kernelINS0_13select_configILj256ELj13ELNS0_17block_load_methodE3ELS4_3ELS4_3ELNS0_20block_scan_algorithmE0ELj4294967295EEENS1_25partition_config_selectorILNS1_17partition_subalgoE3EjNS0_10empty_typeEbEEZZNS1_14partition_implILS8_3ELb0ES6_jNS0_17counting_iteratorIjlEEPS9_SE_NS0_5tupleIJPjSE_EEENSF_IJSE_SE_EEES9_SG_JZNS1_25segmented_radix_sort_implINS0_14default_configELb0EPKbPbPKlPlN2at6native12_GLOBAL__N_18offset_tEEE10hipError_tPvRmT1_PNSt15iterator_traitsISY_E10value_typeET2_T3_PNSZ_IS14_E10value_typeET4_jRbjT5_S1A_jjP12ihipStream_tbEUljE_EEESV_SW_SX_S14_S18_S1A_T6_T7_T9_mT8_S1C_bDpT10_ENKUlT_T0_E_clISt17integral_constantIbLb0EES1O_IbLb1EEEEDaS1K_S1L_EUlS1K_E_NS1_11comp_targetILNS1_3genE9ELNS1_11target_archE1100ELNS1_3gpuE3ELNS1_3repE0EEENS1_30default_config_static_selectorELNS0_4arch9wavefront6targetE1EEEvSY_.kd
    .uniform_work_group_size: 1
    .uses_dynamic_stack: false
    .vgpr_count:     0
    .vgpr_spill_count: 0
    .wavefront_size: 64
  - .args:
      - .offset:         0
        .size:           152
        .value_kind:     by_value
    .group_segment_fixed_size: 0
    .kernarg_segment_align: 8
    .kernarg_segment_size: 152
    .language:       OpenCL C
    .language_version:
      - 2
      - 0
    .max_flat_workgroup_size: 256
    .name:           _ZN7rocprim17ROCPRIM_400000_NS6detail17trampoline_kernelINS0_13select_configILj256ELj13ELNS0_17block_load_methodE3ELS4_3ELS4_3ELNS0_20block_scan_algorithmE0ELj4294967295EEENS1_25partition_config_selectorILNS1_17partition_subalgoE3EjNS0_10empty_typeEbEEZZNS1_14partition_implILS8_3ELb0ES6_jNS0_17counting_iteratorIjlEEPS9_SE_NS0_5tupleIJPjSE_EEENSF_IJSE_SE_EEES9_SG_JZNS1_25segmented_radix_sort_implINS0_14default_configELb0EPKbPbPKlPlN2at6native12_GLOBAL__N_18offset_tEEE10hipError_tPvRmT1_PNSt15iterator_traitsISY_E10value_typeET2_T3_PNSZ_IS14_E10value_typeET4_jRbjT5_S1A_jjP12ihipStream_tbEUljE_EEESV_SW_SX_S14_S18_S1A_T6_T7_T9_mT8_S1C_bDpT10_ENKUlT_T0_E_clISt17integral_constantIbLb0EES1O_IbLb1EEEEDaS1K_S1L_EUlS1K_E_NS1_11comp_targetILNS1_3genE8ELNS1_11target_archE1030ELNS1_3gpuE2ELNS1_3repE0EEENS1_30default_config_static_selectorELNS0_4arch9wavefront6targetE1EEEvSY_
    .private_segment_fixed_size: 0
    .sgpr_count:     4
    .sgpr_spill_count: 0
    .symbol:         _ZN7rocprim17ROCPRIM_400000_NS6detail17trampoline_kernelINS0_13select_configILj256ELj13ELNS0_17block_load_methodE3ELS4_3ELS4_3ELNS0_20block_scan_algorithmE0ELj4294967295EEENS1_25partition_config_selectorILNS1_17partition_subalgoE3EjNS0_10empty_typeEbEEZZNS1_14partition_implILS8_3ELb0ES6_jNS0_17counting_iteratorIjlEEPS9_SE_NS0_5tupleIJPjSE_EEENSF_IJSE_SE_EEES9_SG_JZNS1_25segmented_radix_sort_implINS0_14default_configELb0EPKbPbPKlPlN2at6native12_GLOBAL__N_18offset_tEEE10hipError_tPvRmT1_PNSt15iterator_traitsISY_E10value_typeET2_T3_PNSZ_IS14_E10value_typeET4_jRbjT5_S1A_jjP12ihipStream_tbEUljE_EEESV_SW_SX_S14_S18_S1A_T6_T7_T9_mT8_S1C_bDpT10_ENKUlT_T0_E_clISt17integral_constantIbLb0EES1O_IbLb1EEEEDaS1K_S1L_EUlS1K_E_NS1_11comp_targetILNS1_3genE8ELNS1_11target_archE1030ELNS1_3gpuE2ELNS1_3repE0EEENS1_30default_config_static_selectorELNS0_4arch9wavefront6targetE1EEEvSY_.kd
    .uniform_work_group_size: 1
    .uses_dynamic_stack: false
    .vgpr_count:     0
    .vgpr_spill_count: 0
    .wavefront_size: 64
  - .args:
      - .offset:         0
        .size:           96
        .value_kind:     by_value
    .group_segment_fixed_size: 0
    .kernarg_segment_align: 8
    .kernarg_segment_size: 96
    .language:       OpenCL C
    .language_version:
      - 2
      - 0
    .max_flat_workgroup_size: 256
    .name:           _ZN7rocprim17ROCPRIM_400000_NS6detail17trampoline_kernelINS0_14default_configENS1_36segmented_radix_sort_config_selectorIblEEZNS1_25segmented_radix_sort_implIS3_Lb0EPKbPbPKlPlN2at6native12_GLOBAL__N_18offset_tEEE10hipError_tPvRmT1_PNSt15iterator_traitsISK_E10value_typeET2_T3_PNSL_ISQ_E10value_typeET4_jRbjT5_SW_jjP12ihipStream_tbEUlT_E_NS1_11comp_targetILNS1_3genE0ELNS1_11target_archE4294967295ELNS1_3gpuE0ELNS1_3repE0EEENS1_30default_config_static_selectorELNS0_4arch9wavefront6targetE1EEEvSK_
    .private_segment_fixed_size: 0
    .sgpr_count:     4
    .sgpr_spill_count: 0
    .symbol:         _ZN7rocprim17ROCPRIM_400000_NS6detail17trampoline_kernelINS0_14default_configENS1_36segmented_radix_sort_config_selectorIblEEZNS1_25segmented_radix_sort_implIS3_Lb0EPKbPbPKlPlN2at6native12_GLOBAL__N_18offset_tEEE10hipError_tPvRmT1_PNSt15iterator_traitsISK_E10value_typeET2_T3_PNSL_ISQ_E10value_typeET4_jRbjT5_SW_jjP12ihipStream_tbEUlT_E_NS1_11comp_targetILNS1_3genE0ELNS1_11target_archE4294967295ELNS1_3gpuE0ELNS1_3repE0EEENS1_30default_config_static_selectorELNS0_4arch9wavefront6targetE1EEEvSK_.kd
    .uniform_work_group_size: 1
    .uses_dynamic_stack: false
    .vgpr_count:     0
    .vgpr_spill_count: 0
    .wavefront_size: 64
  - .args:
      - .offset:         0
        .size:           96
        .value_kind:     by_value
    .group_segment_fixed_size: 0
    .kernarg_segment_align: 8
    .kernarg_segment_size: 96
    .language:       OpenCL C
    .language_version:
      - 2
      - 0
    .max_flat_workgroup_size: 256
    .name:           _ZN7rocprim17ROCPRIM_400000_NS6detail17trampoline_kernelINS0_14default_configENS1_36segmented_radix_sort_config_selectorIblEEZNS1_25segmented_radix_sort_implIS3_Lb0EPKbPbPKlPlN2at6native12_GLOBAL__N_18offset_tEEE10hipError_tPvRmT1_PNSt15iterator_traitsISK_E10value_typeET2_T3_PNSL_ISQ_E10value_typeET4_jRbjT5_SW_jjP12ihipStream_tbEUlT_E_NS1_11comp_targetILNS1_3genE5ELNS1_11target_archE942ELNS1_3gpuE9ELNS1_3repE0EEENS1_30default_config_static_selectorELNS0_4arch9wavefront6targetE1EEEvSK_
    .private_segment_fixed_size: 0
    .sgpr_count:     4
    .sgpr_spill_count: 0
    .symbol:         _ZN7rocprim17ROCPRIM_400000_NS6detail17trampoline_kernelINS0_14default_configENS1_36segmented_radix_sort_config_selectorIblEEZNS1_25segmented_radix_sort_implIS3_Lb0EPKbPbPKlPlN2at6native12_GLOBAL__N_18offset_tEEE10hipError_tPvRmT1_PNSt15iterator_traitsISK_E10value_typeET2_T3_PNSL_ISQ_E10value_typeET4_jRbjT5_SW_jjP12ihipStream_tbEUlT_E_NS1_11comp_targetILNS1_3genE5ELNS1_11target_archE942ELNS1_3gpuE9ELNS1_3repE0EEENS1_30default_config_static_selectorELNS0_4arch9wavefront6targetE1EEEvSK_.kd
    .uniform_work_group_size: 1
    .uses_dynamic_stack: false
    .vgpr_count:     0
    .vgpr_spill_count: 0
    .wavefront_size: 64
  - .args:
      - .offset:         0
        .size:           96
        .value_kind:     by_value
    .group_segment_fixed_size: 0
    .kernarg_segment_align: 8
    .kernarg_segment_size: 96
    .language:       OpenCL C
    .language_version:
      - 2
      - 0
    .max_flat_workgroup_size: 256
    .name:           _ZN7rocprim17ROCPRIM_400000_NS6detail17trampoline_kernelINS0_14default_configENS1_36segmented_radix_sort_config_selectorIblEEZNS1_25segmented_radix_sort_implIS3_Lb0EPKbPbPKlPlN2at6native12_GLOBAL__N_18offset_tEEE10hipError_tPvRmT1_PNSt15iterator_traitsISK_E10value_typeET2_T3_PNSL_ISQ_E10value_typeET4_jRbjT5_SW_jjP12ihipStream_tbEUlT_E_NS1_11comp_targetILNS1_3genE4ELNS1_11target_archE910ELNS1_3gpuE8ELNS1_3repE0EEENS1_30default_config_static_selectorELNS0_4arch9wavefront6targetE1EEEvSK_
    .private_segment_fixed_size: 0
    .sgpr_count:     4
    .sgpr_spill_count: 0
    .symbol:         _ZN7rocprim17ROCPRIM_400000_NS6detail17trampoline_kernelINS0_14default_configENS1_36segmented_radix_sort_config_selectorIblEEZNS1_25segmented_radix_sort_implIS3_Lb0EPKbPbPKlPlN2at6native12_GLOBAL__N_18offset_tEEE10hipError_tPvRmT1_PNSt15iterator_traitsISK_E10value_typeET2_T3_PNSL_ISQ_E10value_typeET4_jRbjT5_SW_jjP12ihipStream_tbEUlT_E_NS1_11comp_targetILNS1_3genE4ELNS1_11target_archE910ELNS1_3gpuE8ELNS1_3repE0EEENS1_30default_config_static_selectorELNS0_4arch9wavefront6targetE1EEEvSK_.kd
    .uniform_work_group_size: 1
    .uses_dynamic_stack: false
    .vgpr_count:     0
    .vgpr_spill_count: 0
    .wavefront_size: 64
  - .args:
      - .offset:         0
        .size:           96
        .value_kind:     by_value
    .group_segment_fixed_size: 0
    .kernarg_segment_align: 8
    .kernarg_segment_size: 96
    .language:       OpenCL C
    .language_version:
      - 2
      - 0
    .max_flat_workgroup_size: 256
    .name:           _ZN7rocprim17ROCPRIM_400000_NS6detail17trampoline_kernelINS0_14default_configENS1_36segmented_radix_sort_config_selectorIblEEZNS1_25segmented_radix_sort_implIS3_Lb0EPKbPbPKlPlN2at6native12_GLOBAL__N_18offset_tEEE10hipError_tPvRmT1_PNSt15iterator_traitsISK_E10value_typeET2_T3_PNSL_ISQ_E10value_typeET4_jRbjT5_SW_jjP12ihipStream_tbEUlT_E_NS1_11comp_targetILNS1_3genE3ELNS1_11target_archE908ELNS1_3gpuE7ELNS1_3repE0EEENS1_30default_config_static_selectorELNS0_4arch9wavefront6targetE1EEEvSK_
    .private_segment_fixed_size: 0
    .sgpr_count:     4
    .sgpr_spill_count: 0
    .symbol:         _ZN7rocprim17ROCPRIM_400000_NS6detail17trampoline_kernelINS0_14default_configENS1_36segmented_radix_sort_config_selectorIblEEZNS1_25segmented_radix_sort_implIS3_Lb0EPKbPbPKlPlN2at6native12_GLOBAL__N_18offset_tEEE10hipError_tPvRmT1_PNSt15iterator_traitsISK_E10value_typeET2_T3_PNSL_ISQ_E10value_typeET4_jRbjT5_SW_jjP12ihipStream_tbEUlT_E_NS1_11comp_targetILNS1_3genE3ELNS1_11target_archE908ELNS1_3gpuE7ELNS1_3repE0EEENS1_30default_config_static_selectorELNS0_4arch9wavefront6targetE1EEEvSK_.kd
    .uniform_work_group_size: 1
    .uses_dynamic_stack: false
    .vgpr_count:     0
    .vgpr_spill_count: 0
    .wavefront_size: 64
  - .args:
      - .offset:         0
        .size:           96
        .value_kind:     by_value
      - .offset:         96
        .size:           4
        .value_kind:     hidden_block_count_x
      - .offset:         100
        .size:           4
        .value_kind:     hidden_block_count_y
      - .offset:         104
        .size:           4
        .value_kind:     hidden_block_count_z
      - .offset:         108
        .size:           2
        .value_kind:     hidden_group_size_x
      - .offset:         110
        .size:           2
        .value_kind:     hidden_group_size_y
      - .offset:         112
        .size:           2
        .value_kind:     hidden_group_size_z
      - .offset:         114
        .size:           2
        .value_kind:     hidden_remainder_x
      - .offset:         116
        .size:           2
        .value_kind:     hidden_remainder_y
      - .offset:         118
        .size:           2
        .value_kind:     hidden_remainder_z
      - .offset:         136
        .size:           8
        .value_kind:     hidden_global_offset_x
      - .offset:         144
        .size:           8
        .value_kind:     hidden_global_offset_y
      - .offset:         152
        .size:           8
        .value_kind:     hidden_global_offset_z
      - .offset:         160
        .size:           2
        .value_kind:     hidden_grid_dims
    .group_segment_fixed_size: 9232
    .kernarg_segment_align: 8
    .kernarg_segment_size: 352
    .language:       OpenCL C
    .language_version:
      - 2
      - 0
    .max_flat_workgroup_size: 256
    .name:           _ZN7rocprim17ROCPRIM_400000_NS6detail17trampoline_kernelINS0_14default_configENS1_36segmented_radix_sort_config_selectorIblEEZNS1_25segmented_radix_sort_implIS3_Lb0EPKbPbPKlPlN2at6native12_GLOBAL__N_18offset_tEEE10hipError_tPvRmT1_PNSt15iterator_traitsISK_E10value_typeET2_T3_PNSL_ISQ_E10value_typeET4_jRbjT5_SW_jjP12ihipStream_tbEUlT_E_NS1_11comp_targetILNS1_3genE2ELNS1_11target_archE906ELNS1_3gpuE6ELNS1_3repE0EEENS1_30default_config_static_selectorELNS0_4arch9wavefront6targetE1EEEvSK_
    .private_segment_fixed_size: 0
    .sgpr_count:     79
    .sgpr_spill_count: 0
    .symbol:         _ZN7rocprim17ROCPRIM_400000_NS6detail17trampoline_kernelINS0_14default_configENS1_36segmented_radix_sort_config_selectorIblEEZNS1_25segmented_radix_sort_implIS3_Lb0EPKbPbPKlPlN2at6native12_GLOBAL__N_18offset_tEEE10hipError_tPvRmT1_PNSt15iterator_traitsISK_E10value_typeET2_T3_PNSL_ISQ_E10value_typeET4_jRbjT5_SW_jjP12ihipStream_tbEUlT_E_NS1_11comp_targetILNS1_3genE2ELNS1_11target_archE906ELNS1_3gpuE6ELNS1_3repE0EEENS1_30default_config_static_selectorELNS0_4arch9wavefront6targetE1EEEvSK_.kd
    .uniform_work_group_size: 1
    .uses_dynamic_stack: false
    .vgpr_count:     97
    .vgpr_spill_count: 0
    .wavefront_size: 64
  - .args:
      - .offset:         0
        .size:           96
        .value_kind:     by_value
    .group_segment_fixed_size: 0
    .kernarg_segment_align: 8
    .kernarg_segment_size: 96
    .language:       OpenCL C
    .language_version:
      - 2
      - 0
    .max_flat_workgroup_size: 256
    .name:           _ZN7rocprim17ROCPRIM_400000_NS6detail17trampoline_kernelINS0_14default_configENS1_36segmented_radix_sort_config_selectorIblEEZNS1_25segmented_radix_sort_implIS3_Lb0EPKbPbPKlPlN2at6native12_GLOBAL__N_18offset_tEEE10hipError_tPvRmT1_PNSt15iterator_traitsISK_E10value_typeET2_T3_PNSL_ISQ_E10value_typeET4_jRbjT5_SW_jjP12ihipStream_tbEUlT_E_NS1_11comp_targetILNS1_3genE10ELNS1_11target_archE1201ELNS1_3gpuE5ELNS1_3repE0EEENS1_30default_config_static_selectorELNS0_4arch9wavefront6targetE1EEEvSK_
    .private_segment_fixed_size: 0
    .sgpr_count:     4
    .sgpr_spill_count: 0
    .symbol:         _ZN7rocprim17ROCPRIM_400000_NS6detail17trampoline_kernelINS0_14default_configENS1_36segmented_radix_sort_config_selectorIblEEZNS1_25segmented_radix_sort_implIS3_Lb0EPKbPbPKlPlN2at6native12_GLOBAL__N_18offset_tEEE10hipError_tPvRmT1_PNSt15iterator_traitsISK_E10value_typeET2_T3_PNSL_ISQ_E10value_typeET4_jRbjT5_SW_jjP12ihipStream_tbEUlT_E_NS1_11comp_targetILNS1_3genE10ELNS1_11target_archE1201ELNS1_3gpuE5ELNS1_3repE0EEENS1_30default_config_static_selectorELNS0_4arch9wavefront6targetE1EEEvSK_.kd
    .uniform_work_group_size: 1
    .uses_dynamic_stack: false
    .vgpr_count:     0
    .vgpr_spill_count: 0
    .wavefront_size: 64
  - .args:
      - .offset:         0
        .size:           96
        .value_kind:     by_value
    .group_segment_fixed_size: 0
    .kernarg_segment_align: 8
    .kernarg_segment_size: 96
    .language:       OpenCL C
    .language_version:
      - 2
      - 0
    .max_flat_workgroup_size: 128
    .name:           _ZN7rocprim17ROCPRIM_400000_NS6detail17trampoline_kernelINS0_14default_configENS1_36segmented_radix_sort_config_selectorIblEEZNS1_25segmented_radix_sort_implIS3_Lb0EPKbPbPKlPlN2at6native12_GLOBAL__N_18offset_tEEE10hipError_tPvRmT1_PNSt15iterator_traitsISK_E10value_typeET2_T3_PNSL_ISQ_E10value_typeET4_jRbjT5_SW_jjP12ihipStream_tbEUlT_E_NS1_11comp_targetILNS1_3genE10ELNS1_11target_archE1200ELNS1_3gpuE4ELNS1_3repE0EEENS1_30default_config_static_selectorELNS0_4arch9wavefront6targetE1EEEvSK_
    .private_segment_fixed_size: 0
    .sgpr_count:     4
    .sgpr_spill_count: 0
    .symbol:         _ZN7rocprim17ROCPRIM_400000_NS6detail17trampoline_kernelINS0_14default_configENS1_36segmented_radix_sort_config_selectorIblEEZNS1_25segmented_radix_sort_implIS3_Lb0EPKbPbPKlPlN2at6native12_GLOBAL__N_18offset_tEEE10hipError_tPvRmT1_PNSt15iterator_traitsISK_E10value_typeET2_T3_PNSL_ISQ_E10value_typeET4_jRbjT5_SW_jjP12ihipStream_tbEUlT_E_NS1_11comp_targetILNS1_3genE10ELNS1_11target_archE1200ELNS1_3gpuE4ELNS1_3repE0EEENS1_30default_config_static_selectorELNS0_4arch9wavefront6targetE1EEEvSK_.kd
    .uniform_work_group_size: 1
    .uses_dynamic_stack: false
    .vgpr_count:     0
    .vgpr_spill_count: 0
    .wavefront_size: 64
  - .args:
      - .offset:         0
        .size:           96
        .value_kind:     by_value
    .group_segment_fixed_size: 0
    .kernarg_segment_align: 8
    .kernarg_segment_size: 96
    .language:       OpenCL C
    .language_version:
      - 2
      - 0
    .max_flat_workgroup_size: 256
    .name:           _ZN7rocprim17ROCPRIM_400000_NS6detail17trampoline_kernelINS0_14default_configENS1_36segmented_radix_sort_config_selectorIblEEZNS1_25segmented_radix_sort_implIS3_Lb0EPKbPbPKlPlN2at6native12_GLOBAL__N_18offset_tEEE10hipError_tPvRmT1_PNSt15iterator_traitsISK_E10value_typeET2_T3_PNSL_ISQ_E10value_typeET4_jRbjT5_SW_jjP12ihipStream_tbEUlT_E_NS1_11comp_targetILNS1_3genE9ELNS1_11target_archE1100ELNS1_3gpuE3ELNS1_3repE0EEENS1_30default_config_static_selectorELNS0_4arch9wavefront6targetE1EEEvSK_
    .private_segment_fixed_size: 0
    .sgpr_count:     4
    .sgpr_spill_count: 0
    .symbol:         _ZN7rocprim17ROCPRIM_400000_NS6detail17trampoline_kernelINS0_14default_configENS1_36segmented_radix_sort_config_selectorIblEEZNS1_25segmented_radix_sort_implIS3_Lb0EPKbPbPKlPlN2at6native12_GLOBAL__N_18offset_tEEE10hipError_tPvRmT1_PNSt15iterator_traitsISK_E10value_typeET2_T3_PNSL_ISQ_E10value_typeET4_jRbjT5_SW_jjP12ihipStream_tbEUlT_E_NS1_11comp_targetILNS1_3genE9ELNS1_11target_archE1100ELNS1_3gpuE3ELNS1_3repE0EEENS1_30default_config_static_selectorELNS0_4arch9wavefront6targetE1EEEvSK_.kd
    .uniform_work_group_size: 1
    .uses_dynamic_stack: false
    .vgpr_count:     0
    .vgpr_spill_count: 0
    .wavefront_size: 64
  - .args:
      - .offset:         0
        .size:           96
        .value_kind:     by_value
    .group_segment_fixed_size: 0
    .kernarg_segment_align: 8
    .kernarg_segment_size: 96
    .language:       OpenCL C
    .language_version:
      - 2
      - 0
    .max_flat_workgroup_size: 256
    .name:           _ZN7rocprim17ROCPRIM_400000_NS6detail17trampoline_kernelINS0_14default_configENS1_36segmented_radix_sort_config_selectorIblEEZNS1_25segmented_radix_sort_implIS3_Lb0EPKbPbPKlPlN2at6native12_GLOBAL__N_18offset_tEEE10hipError_tPvRmT1_PNSt15iterator_traitsISK_E10value_typeET2_T3_PNSL_ISQ_E10value_typeET4_jRbjT5_SW_jjP12ihipStream_tbEUlT_E_NS1_11comp_targetILNS1_3genE8ELNS1_11target_archE1030ELNS1_3gpuE2ELNS1_3repE0EEENS1_30default_config_static_selectorELNS0_4arch9wavefront6targetE1EEEvSK_
    .private_segment_fixed_size: 0
    .sgpr_count:     4
    .sgpr_spill_count: 0
    .symbol:         _ZN7rocprim17ROCPRIM_400000_NS6detail17trampoline_kernelINS0_14default_configENS1_36segmented_radix_sort_config_selectorIblEEZNS1_25segmented_radix_sort_implIS3_Lb0EPKbPbPKlPlN2at6native12_GLOBAL__N_18offset_tEEE10hipError_tPvRmT1_PNSt15iterator_traitsISK_E10value_typeET2_T3_PNSL_ISQ_E10value_typeET4_jRbjT5_SW_jjP12ihipStream_tbEUlT_E_NS1_11comp_targetILNS1_3genE8ELNS1_11target_archE1030ELNS1_3gpuE2ELNS1_3repE0EEENS1_30default_config_static_selectorELNS0_4arch9wavefront6targetE1EEEvSK_.kd
    .uniform_work_group_size: 1
    .uses_dynamic_stack: false
    .vgpr_count:     0
    .vgpr_spill_count: 0
    .wavefront_size: 64
  - .args:
      - .offset:         0
        .size:           88
        .value_kind:     by_value
    .group_segment_fixed_size: 0
    .kernarg_segment_align: 8
    .kernarg_segment_size: 88
    .language:       OpenCL C
    .language_version:
      - 2
      - 0
    .max_flat_workgroup_size: 256
    .name:           _ZN7rocprim17ROCPRIM_400000_NS6detail17trampoline_kernelINS0_14default_configENS1_36segmented_radix_sort_config_selectorIblEEZNS1_25segmented_radix_sort_implIS3_Lb0EPKbPbPKlPlN2at6native12_GLOBAL__N_18offset_tEEE10hipError_tPvRmT1_PNSt15iterator_traitsISK_E10value_typeET2_T3_PNSL_ISQ_E10value_typeET4_jRbjT5_SW_jjP12ihipStream_tbEUlT_E0_NS1_11comp_targetILNS1_3genE0ELNS1_11target_archE4294967295ELNS1_3gpuE0ELNS1_3repE0EEENS1_60segmented_radix_sort_warp_sort_medium_config_static_selectorELNS0_4arch9wavefront6targetE1EEEvSK_
    .private_segment_fixed_size: 0
    .sgpr_count:     4
    .sgpr_spill_count: 0
    .symbol:         _ZN7rocprim17ROCPRIM_400000_NS6detail17trampoline_kernelINS0_14default_configENS1_36segmented_radix_sort_config_selectorIblEEZNS1_25segmented_radix_sort_implIS3_Lb0EPKbPbPKlPlN2at6native12_GLOBAL__N_18offset_tEEE10hipError_tPvRmT1_PNSt15iterator_traitsISK_E10value_typeET2_T3_PNSL_ISQ_E10value_typeET4_jRbjT5_SW_jjP12ihipStream_tbEUlT_E0_NS1_11comp_targetILNS1_3genE0ELNS1_11target_archE4294967295ELNS1_3gpuE0ELNS1_3repE0EEENS1_60segmented_radix_sort_warp_sort_medium_config_static_selectorELNS0_4arch9wavefront6targetE1EEEvSK_.kd
    .uniform_work_group_size: 1
    .uses_dynamic_stack: false
    .vgpr_count:     0
    .vgpr_spill_count: 0
    .wavefront_size: 64
  - .args:
      - .offset:         0
        .size:           88
        .value_kind:     by_value
    .group_segment_fixed_size: 0
    .kernarg_segment_align: 8
    .kernarg_segment_size: 88
    .language:       OpenCL C
    .language_version:
      - 2
      - 0
    .max_flat_workgroup_size: 256
    .name:           _ZN7rocprim17ROCPRIM_400000_NS6detail17trampoline_kernelINS0_14default_configENS1_36segmented_radix_sort_config_selectorIblEEZNS1_25segmented_radix_sort_implIS3_Lb0EPKbPbPKlPlN2at6native12_GLOBAL__N_18offset_tEEE10hipError_tPvRmT1_PNSt15iterator_traitsISK_E10value_typeET2_T3_PNSL_ISQ_E10value_typeET4_jRbjT5_SW_jjP12ihipStream_tbEUlT_E0_NS1_11comp_targetILNS1_3genE5ELNS1_11target_archE942ELNS1_3gpuE9ELNS1_3repE0EEENS1_60segmented_radix_sort_warp_sort_medium_config_static_selectorELNS0_4arch9wavefront6targetE1EEEvSK_
    .private_segment_fixed_size: 0
    .sgpr_count:     4
    .sgpr_spill_count: 0
    .symbol:         _ZN7rocprim17ROCPRIM_400000_NS6detail17trampoline_kernelINS0_14default_configENS1_36segmented_radix_sort_config_selectorIblEEZNS1_25segmented_radix_sort_implIS3_Lb0EPKbPbPKlPlN2at6native12_GLOBAL__N_18offset_tEEE10hipError_tPvRmT1_PNSt15iterator_traitsISK_E10value_typeET2_T3_PNSL_ISQ_E10value_typeET4_jRbjT5_SW_jjP12ihipStream_tbEUlT_E0_NS1_11comp_targetILNS1_3genE5ELNS1_11target_archE942ELNS1_3gpuE9ELNS1_3repE0EEENS1_60segmented_radix_sort_warp_sort_medium_config_static_selectorELNS0_4arch9wavefront6targetE1EEEvSK_.kd
    .uniform_work_group_size: 1
    .uses_dynamic_stack: false
    .vgpr_count:     0
    .vgpr_spill_count: 0
    .wavefront_size: 64
  - .args:
      - .offset:         0
        .size:           88
        .value_kind:     by_value
    .group_segment_fixed_size: 0
    .kernarg_segment_align: 8
    .kernarg_segment_size: 88
    .language:       OpenCL C
    .language_version:
      - 2
      - 0
    .max_flat_workgroup_size: 256
    .name:           _ZN7rocprim17ROCPRIM_400000_NS6detail17trampoline_kernelINS0_14default_configENS1_36segmented_radix_sort_config_selectorIblEEZNS1_25segmented_radix_sort_implIS3_Lb0EPKbPbPKlPlN2at6native12_GLOBAL__N_18offset_tEEE10hipError_tPvRmT1_PNSt15iterator_traitsISK_E10value_typeET2_T3_PNSL_ISQ_E10value_typeET4_jRbjT5_SW_jjP12ihipStream_tbEUlT_E0_NS1_11comp_targetILNS1_3genE4ELNS1_11target_archE910ELNS1_3gpuE8ELNS1_3repE0EEENS1_60segmented_radix_sort_warp_sort_medium_config_static_selectorELNS0_4arch9wavefront6targetE1EEEvSK_
    .private_segment_fixed_size: 0
    .sgpr_count:     4
    .sgpr_spill_count: 0
    .symbol:         _ZN7rocprim17ROCPRIM_400000_NS6detail17trampoline_kernelINS0_14default_configENS1_36segmented_radix_sort_config_selectorIblEEZNS1_25segmented_radix_sort_implIS3_Lb0EPKbPbPKlPlN2at6native12_GLOBAL__N_18offset_tEEE10hipError_tPvRmT1_PNSt15iterator_traitsISK_E10value_typeET2_T3_PNSL_ISQ_E10value_typeET4_jRbjT5_SW_jjP12ihipStream_tbEUlT_E0_NS1_11comp_targetILNS1_3genE4ELNS1_11target_archE910ELNS1_3gpuE8ELNS1_3repE0EEENS1_60segmented_radix_sort_warp_sort_medium_config_static_selectorELNS0_4arch9wavefront6targetE1EEEvSK_.kd
    .uniform_work_group_size: 1
    .uses_dynamic_stack: false
    .vgpr_count:     0
    .vgpr_spill_count: 0
    .wavefront_size: 64
  - .args:
      - .offset:         0
        .size:           88
        .value_kind:     by_value
    .group_segment_fixed_size: 0
    .kernarg_segment_align: 8
    .kernarg_segment_size: 88
    .language:       OpenCL C
    .language_version:
      - 2
      - 0
    .max_flat_workgroup_size: 256
    .name:           _ZN7rocprim17ROCPRIM_400000_NS6detail17trampoline_kernelINS0_14default_configENS1_36segmented_radix_sort_config_selectorIblEEZNS1_25segmented_radix_sort_implIS3_Lb0EPKbPbPKlPlN2at6native12_GLOBAL__N_18offset_tEEE10hipError_tPvRmT1_PNSt15iterator_traitsISK_E10value_typeET2_T3_PNSL_ISQ_E10value_typeET4_jRbjT5_SW_jjP12ihipStream_tbEUlT_E0_NS1_11comp_targetILNS1_3genE3ELNS1_11target_archE908ELNS1_3gpuE7ELNS1_3repE0EEENS1_60segmented_radix_sort_warp_sort_medium_config_static_selectorELNS0_4arch9wavefront6targetE1EEEvSK_
    .private_segment_fixed_size: 0
    .sgpr_count:     4
    .sgpr_spill_count: 0
    .symbol:         _ZN7rocprim17ROCPRIM_400000_NS6detail17trampoline_kernelINS0_14default_configENS1_36segmented_radix_sort_config_selectorIblEEZNS1_25segmented_radix_sort_implIS3_Lb0EPKbPbPKlPlN2at6native12_GLOBAL__N_18offset_tEEE10hipError_tPvRmT1_PNSt15iterator_traitsISK_E10value_typeET2_T3_PNSL_ISQ_E10value_typeET4_jRbjT5_SW_jjP12ihipStream_tbEUlT_E0_NS1_11comp_targetILNS1_3genE3ELNS1_11target_archE908ELNS1_3gpuE7ELNS1_3repE0EEENS1_60segmented_radix_sort_warp_sort_medium_config_static_selectorELNS0_4arch9wavefront6targetE1EEEvSK_.kd
    .uniform_work_group_size: 1
    .uses_dynamic_stack: false
    .vgpr_count:     0
    .vgpr_spill_count: 0
    .wavefront_size: 64
  - .args:
      - .offset:         0
        .size:           88
        .value_kind:     by_value
      - .offset:         88
        .size:           4
        .value_kind:     hidden_block_count_x
      - .offset:         92
        .size:           4
        .value_kind:     hidden_block_count_y
      - .offset:         96
        .size:           4
        .value_kind:     hidden_block_count_z
      - .offset:         100
        .size:           2
        .value_kind:     hidden_group_size_x
      - .offset:         102
        .size:           2
        .value_kind:     hidden_group_size_y
      - .offset:         104
        .size:           2
        .value_kind:     hidden_group_size_z
      - .offset:         106
        .size:           2
        .value_kind:     hidden_remainder_x
      - .offset:         108
        .size:           2
        .value_kind:     hidden_remainder_y
      - .offset:         110
        .size:           2
        .value_kind:     hidden_remainder_z
      - .offset:         128
        .size:           8
        .value_kind:     hidden_global_offset_x
      - .offset:         136
        .size:           8
        .value_kind:     hidden_global_offset_y
      - .offset:         144
        .size:           8
        .value_kind:     hidden_global_offset_z
      - .offset:         152
        .size:           2
        .value_kind:     hidden_grid_dims
    .group_segment_fixed_size: 18432
    .kernarg_segment_align: 8
    .kernarg_segment_size: 344
    .language:       OpenCL C
    .language_version:
      - 2
      - 0
    .max_flat_workgroup_size: 256
    .name:           _ZN7rocprim17ROCPRIM_400000_NS6detail17trampoline_kernelINS0_14default_configENS1_36segmented_radix_sort_config_selectorIblEEZNS1_25segmented_radix_sort_implIS3_Lb0EPKbPbPKlPlN2at6native12_GLOBAL__N_18offset_tEEE10hipError_tPvRmT1_PNSt15iterator_traitsISK_E10value_typeET2_T3_PNSL_ISQ_E10value_typeET4_jRbjT5_SW_jjP12ihipStream_tbEUlT_E0_NS1_11comp_targetILNS1_3genE2ELNS1_11target_archE906ELNS1_3gpuE6ELNS1_3repE0EEENS1_60segmented_radix_sort_warp_sort_medium_config_static_selectorELNS0_4arch9wavefront6targetE1EEEvSK_
    .private_segment_fixed_size: 12
    .sgpr_count:     62
    .sgpr_spill_count: 0
    .symbol:         _ZN7rocprim17ROCPRIM_400000_NS6detail17trampoline_kernelINS0_14default_configENS1_36segmented_radix_sort_config_selectorIblEEZNS1_25segmented_radix_sort_implIS3_Lb0EPKbPbPKlPlN2at6native12_GLOBAL__N_18offset_tEEE10hipError_tPvRmT1_PNSt15iterator_traitsISK_E10value_typeET2_T3_PNSL_ISQ_E10value_typeET4_jRbjT5_SW_jjP12ihipStream_tbEUlT_E0_NS1_11comp_targetILNS1_3genE2ELNS1_11target_archE906ELNS1_3gpuE6ELNS1_3repE0EEENS1_60segmented_radix_sort_warp_sort_medium_config_static_selectorELNS0_4arch9wavefront6targetE1EEEvSK_.kd
    .uniform_work_group_size: 1
    .uses_dynamic_stack: false
    .vgpr_count:     69
    .vgpr_spill_count: 0
    .wavefront_size: 64
  - .args:
      - .offset:         0
        .size:           88
        .value_kind:     by_value
    .group_segment_fixed_size: 0
    .kernarg_segment_align: 8
    .kernarg_segment_size: 88
    .language:       OpenCL C
    .language_version:
      - 2
      - 0
    .max_flat_workgroup_size: 256
    .name:           _ZN7rocprim17ROCPRIM_400000_NS6detail17trampoline_kernelINS0_14default_configENS1_36segmented_radix_sort_config_selectorIblEEZNS1_25segmented_radix_sort_implIS3_Lb0EPKbPbPKlPlN2at6native12_GLOBAL__N_18offset_tEEE10hipError_tPvRmT1_PNSt15iterator_traitsISK_E10value_typeET2_T3_PNSL_ISQ_E10value_typeET4_jRbjT5_SW_jjP12ihipStream_tbEUlT_E0_NS1_11comp_targetILNS1_3genE10ELNS1_11target_archE1201ELNS1_3gpuE5ELNS1_3repE0EEENS1_60segmented_radix_sort_warp_sort_medium_config_static_selectorELNS0_4arch9wavefront6targetE1EEEvSK_
    .private_segment_fixed_size: 0
    .sgpr_count:     4
    .sgpr_spill_count: 0
    .symbol:         _ZN7rocprim17ROCPRIM_400000_NS6detail17trampoline_kernelINS0_14default_configENS1_36segmented_radix_sort_config_selectorIblEEZNS1_25segmented_radix_sort_implIS3_Lb0EPKbPbPKlPlN2at6native12_GLOBAL__N_18offset_tEEE10hipError_tPvRmT1_PNSt15iterator_traitsISK_E10value_typeET2_T3_PNSL_ISQ_E10value_typeET4_jRbjT5_SW_jjP12ihipStream_tbEUlT_E0_NS1_11comp_targetILNS1_3genE10ELNS1_11target_archE1201ELNS1_3gpuE5ELNS1_3repE0EEENS1_60segmented_radix_sort_warp_sort_medium_config_static_selectorELNS0_4arch9wavefront6targetE1EEEvSK_.kd
    .uniform_work_group_size: 1
    .uses_dynamic_stack: false
    .vgpr_count:     0
    .vgpr_spill_count: 0
    .wavefront_size: 64
  - .args:
      - .offset:         0
        .size:           88
        .value_kind:     by_value
    .group_segment_fixed_size: 0
    .kernarg_segment_align: 8
    .kernarg_segment_size: 88
    .language:       OpenCL C
    .language_version:
      - 2
      - 0
    .max_flat_workgroup_size: 256
    .name:           _ZN7rocprim17ROCPRIM_400000_NS6detail17trampoline_kernelINS0_14default_configENS1_36segmented_radix_sort_config_selectorIblEEZNS1_25segmented_radix_sort_implIS3_Lb0EPKbPbPKlPlN2at6native12_GLOBAL__N_18offset_tEEE10hipError_tPvRmT1_PNSt15iterator_traitsISK_E10value_typeET2_T3_PNSL_ISQ_E10value_typeET4_jRbjT5_SW_jjP12ihipStream_tbEUlT_E0_NS1_11comp_targetILNS1_3genE10ELNS1_11target_archE1200ELNS1_3gpuE4ELNS1_3repE0EEENS1_60segmented_radix_sort_warp_sort_medium_config_static_selectorELNS0_4arch9wavefront6targetE1EEEvSK_
    .private_segment_fixed_size: 0
    .sgpr_count:     4
    .sgpr_spill_count: 0
    .symbol:         _ZN7rocprim17ROCPRIM_400000_NS6detail17trampoline_kernelINS0_14default_configENS1_36segmented_radix_sort_config_selectorIblEEZNS1_25segmented_radix_sort_implIS3_Lb0EPKbPbPKlPlN2at6native12_GLOBAL__N_18offset_tEEE10hipError_tPvRmT1_PNSt15iterator_traitsISK_E10value_typeET2_T3_PNSL_ISQ_E10value_typeET4_jRbjT5_SW_jjP12ihipStream_tbEUlT_E0_NS1_11comp_targetILNS1_3genE10ELNS1_11target_archE1200ELNS1_3gpuE4ELNS1_3repE0EEENS1_60segmented_radix_sort_warp_sort_medium_config_static_selectorELNS0_4arch9wavefront6targetE1EEEvSK_.kd
    .uniform_work_group_size: 1
    .uses_dynamic_stack: false
    .vgpr_count:     0
    .vgpr_spill_count: 0
    .wavefront_size: 64
  - .args:
      - .offset:         0
        .size:           88
        .value_kind:     by_value
    .group_segment_fixed_size: 0
    .kernarg_segment_align: 8
    .kernarg_segment_size: 88
    .language:       OpenCL C
    .language_version:
      - 2
      - 0
    .max_flat_workgroup_size: 256
    .name:           _ZN7rocprim17ROCPRIM_400000_NS6detail17trampoline_kernelINS0_14default_configENS1_36segmented_radix_sort_config_selectorIblEEZNS1_25segmented_radix_sort_implIS3_Lb0EPKbPbPKlPlN2at6native12_GLOBAL__N_18offset_tEEE10hipError_tPvRmT1_PNSt15iterator_traitsISK_E10value_typeET2_T3_PNSL_ISQ_E10value_typeET4_jRbjT5_SW_jjP12ihipStream_tbEUlT_E0_NS1_11comp_targetILNS1_3genE9ELNS1_11target_archE1100ELNS1_3gpuE3ELNS1_3repE0EEENS1_60segmented_radix_sort_warp_sort_medium_config_static_selectorELNS0_4arch9wavefront6targetE1EEEvSK_
    .private_segment_fixed_size: 0
    .sgpr_count:     4
    .sgpr_spill_count: 0
    .symbol:         _ZN7rocprim17ROCPRIM_400000_NS6detail17trampoline_kernelINS0_14default_configENS1_36segmented_radix_sort_config_selectorIblEEZNS1_25segmented_radix_sort_implIS3_Lb0EPKbPbPKlPlN2at6native12_GLOBAL__N_18offset_tEEE10hipError_tPvRmT1_PNSt15iterator_traitsISK_E10value_typeET2_T3_PNSL_ISQ_E10value_typeET4_jRbjT5_SW_jjP12ihipStream_tbEUlT_E0_NS1_11comp_targetILNS1_3genE9ELNS1_11target_archE1100ELNS1_3gpuE3ELNS1_3repE0EEENS1_60segmented_radix_sort_warp_sort_medium_config_static_selectorELNS0_4arch9wavefront6targetE1EEEvSK_.kd
    .uniform_work_group_size: 1
    .uses_dynamic_stack: false
    .vgpr_count:     0
    .vgpr_spill_count: 0
    .wavefront_size: 64
  - .args:
      - .offset:         0
        .size:           88
        .value_kind:     by_value
    .group_segment_fixed_size: 0
    .kernarg_segment_align: 8
    .kernarg_segment_size: 88
    .language:       OpenCL C
    .language_version:
      - 2
      - 0
    .max_flat_workgroup_size: 256
    .name:           _ZN7rocprim17ROCPRIM_400000_NS6detail17trampoline_kernelINS0_14default_configENS1_36segmented_radix_sort_config_selectorIblEEZNS1_25segmented_radix_sort_implIS3_Lb0EPKbPbPKlPlN2at6native12_GLOBAL__N_18offset_tEEE10hipError_tPvRmT1_PNSt15iterator_traitsISK_E10value_typeET2_T3_PNSL_ISQ_E10value_typeET4_jRbjT5_SW_jjP12ihipStream_tbEUlT_E0_NS1_11comp_targetILNS1_3genE8ELNS1_11target_archE1030ELNS1_3gpuE2ELNS1_3repE0EEENS1_60segmented_radix_sort_warp_sort_medium_config_static_selectorELNS0_4arch9wavefront6targetE1EEEvSK_
    .private_segment_fixed_size: 0
    .sgpr_count:     4
    .sgpr_spill_count: 0
    .symbol:         _ZN7rocprim17ROCPRIM_400000_NS6detail17trampoline_kernelINS0_14default_configENS1_36segmented_radix_sort_config_selectorIblEEZNS1_25segmented_radix_sort_implIS3_Lb0EPKbPbPKlPlN2at6native12_GLOBAL__N_18offset_tEEE10hipError_tPvRmT1_PNSt15iterator_traitsISK_E10value_typeET2_T3_PNSL_ISQ_E10value_typeET4_jRbjT5_SW_jjP12ihipStream_tbEUlT_E0_NS1_11comp_targetILNS1_3genE8ELNS1_11target_archE1030ELNS1_3gpuE2ELNS1_3repE0EEENS1_60segmented_radix_sort_warp_sort_medium_config_static_selectorELNS0_4arch9wavefront6targetE1EEEvSK_.kd
    .uniform_work_group_size: 1
    .uses_dynamic_stack: false
    .vgpr_count:     0
    .vgpr_spill_count: 0
    .wavefront_size: 64
  - .args:
      - .offset:         0
        .size:           88
        .value_kind:     by_value
    .group_segment_fixed_size: 0
    .kernarg_segment_align: 8
    .kernarg_segment_size: 88
    .language:       OpenCL C
    .language_version:
      - 2
      - 0
    .max_flat_workgroup_size: 256
    .name:           _ZN7rocprim17ROCPRIM_400000_NS6detail17trampoline_kernelINS0_14default_configENS1_36segmented_radix_sort_config_selectorIblEEZNS1_25segmented_radix_sort_implIS3_Lb0EPKbPbPKlPlN2at6native12_GLOBAL__N_18offset_tEEE10hipError_tPvRmT1_PNSt15iterator_traitsISK_E10value_typeET2_T3_PNSL_ISQ_E10value_typeET4_jRbjT5_SW_jjP12ihipStream_tbEUlT_E1_NS1_11comp_targetILNS1_3genE0ELNS1_11target_archE4294967295ELNS1_3gpuE0ELNS1_3repE0EEENS1_59segmented_radix_sort_warp_sort_small_config_static_selectorELNS0_4arch9wavefront6targetE1EEEvSK_
    .private_segment_fixed_size: 0
    .sgpr_count:     4
    .sgpr_spill_count: 0
    .symbol:         _ZN7rocprim17ROCPRIM_400000_NS6detail17trampoline_kernelINS0_14default_configENS1_36segmented_radix_sort_config_selectorIblEEZNS1_25segmented_radix_sort_implIS3_Lb0EPKbPbPKlPlN2at6native12_GLOBAL__N_18offset_tEEE10hipError_tPvRmT1_PNSt15iterator_traitsISK_E10value_typeET2_T3_PNSL_ISQ_E10value_typeET4_jRbjT5_SW_jjP12ihipStream_tbEUlT_E1_NS1_11comp_targetILNS1_3genE0ELNS1_11target_archE4294967295ELNS1_3gpuE0ELNS1_3repE0EEENS1_59segmented_radix_sort_warp_sort_small_config_static_selectorELNS0_4arch9wavefront6targetE1EEEvSK_.kd
    .uniform_work_group_size: 1
    .uses_dynamic_stack: false
    .vgpr_count:     0
    .vgpr_spill_count: 0
    .wavefront_size: 64
  - .args:
      - .offset:         0
        .size:           88
        .value_kind:     by_value
    .group_segment_fixed_size: 0
    .kernarg_segment_align: 8
    .kernarg_segment_size: 88
    .language:       OpenCL C
    .language_version:
      - 2
      - 0
    .max_flat_workgroup_size: 256
    .name:           _ZN7rocprim17ROCPRIM_400000_NS6detail17trampoline_kernelINS0_14default_configENS1_36segmented_radix_sort_config_selectorIblEEZNS1_25segmented_radix_sort_implIS3_Lb0EPKbPbPKlPlN2at6native12_GLOBAL__N_18offset_tEEE10hipError_tPvRmT1_PNSt15iterator_traitsISK_E10value_typeET2_T3_PNSL_ISQ_E10value_typeET4_jRbjT5_SW_jjP12ihipStream_tbEUlT_E1_NS1_11comp_targetILNS1_3genE5ELNS1_11target_archE942ELNS1_3gpuE9ELNS1_3repE0EEENS1_59segmented_radix_sort_warp_sort_small_config_static_selectorELNS0_4arch9wavefront6targetE1EEEvSK_
    .private_segment_fixed_size: 0
    .sgpr_count:     4
    .sgpr_spill_count: 0
    .symbol:         _ZN7rocprim17ROCPRIM_400000_NS6detail17trampoline_kernelINS0_14default_configENS1_36segmented_radix_sort_config_selectorIblEEZNS1_25segmented_radix_sort_implIS3_Lb0EPKbPbPKlPlN2at6native12_GLOBAL__N_18offset_tEEE10hipError_tPvRmT1_PNSt15iterator_traitsISK_E10value_typeET2_T3_PNSL_ISQ_E10value_typeET4_jRbjT5_SW_jjP12ihipStream_tbEUlT_E1_NS1_11comp_targetILNS1_3genE5ELNS1_11target_archE942ELNS1_3gpuE9ELNS1_3repE0EEENS1_59segmented_radix_sort_warp_sort_small_config_static_selectorELNS0_4arch9wavefront6targetE1EEEvSK_.kd
    .uniform_work_group_size: 1
    .uses_dynamic_stack: false
    .vgpr_count:     0
    .vgpr_spill_count: 0
    .wavefront_size: 64
  - .args:
      - .offset:         0
        .size:           88
        .value_kind:     by_value
    .group_segment_fixed_size: 0
    .kernarg_segment_align: 8
    .kernarg_segment_size: 88
    .language:       OpenCL C
    .language_version:
      - 2
      - 0
    .max_flat_workgroup_size: 256
    .name:           _ZN7rocprim17ROCPRIM_400000_NS6detail17trampoline_kernelINS0_14default_configENS1_36segmented_radix_sort_config_selectorIblEEZNS1_25segmented_radix_sort_implIS3_Lb0EPKbPbPKlPlN2at6native12_GLOBAL__N_18offset_tEEE10hipError_tPvRmT1_PNSt15iterator_traitsISK_E10value_typeET2_T3_PNSL_ISQ_E10value_typeET4_jRbjT5_SW_jjP12ihipStream_tbEUlT_E1_NS1_11comp_targetILNS1_3genE4ELNS1_11target_archE910ELNS1_3gpuE8ELNS1_3repE0EEENS1_59segmented_radix_sort_warp_sort_small_config_static_selectorELNS0_4arch9wavefront6targetE1EEEvSK_
    .private_segment_fixed_size: 0
    .sgpr_count:     4
    .sgpr_spill_count: 0
    .symbol:         _ZN7rocprim17ROCPRIM_400000_NS6detail17trampoline_kernelINS0_14default_configENS1_36segmented_radix_sort_config_selectorIblEEZNS1_25segmented_radix_sort_implIS3_Lb0EPKbPbPKlPlN2at6native12_GLOBAL__N_18offset_tEEE10hipError_tPvRmT1_PNSt15iterator_traitsISK_E10value_typeET2_T3_PNSL_ISQ_E10value_typeET4_jRbjT5_SW_jjP12ihipStream_tbEUlT_E1_NS1_11comp_targetILNS1_3genE4ELNS1_11target_archE910ELNS1_3gpuE8ELNS1_3repE0EEENS1_59segmented_radix_sort_warp_sort_small_config_static_selectorELNS0_4arch9wavefront6targetE1EEEvSK_.kd
    .uniform_work_group_size: 1
    .uses_dynamic_stack: false
    .vgpr_count:     0
    .vgpr_spill_count: 0
    .wavefront_size: 64
  - .args:
      - .offset:         0
        .size:           88
        .value_kind:     by_value
    .group_segment_fixed_size: 0
    .kernarg_segment_align: 8
    .kernarg_segment_size: 88
    .language:       OpenCL C
    .language_version:
      - 2
      - 0
    .max_flat_workgroup_size: 256
    .name:           _ZN7rocprim17ROCPRIM_400000_NS6detail17trampoline_kernelINS0_14default_configENS1_36segmented_radix_sort_config_selectorIblEEZNS1_25segmented_radix_sort_implIS3_Lb0EPKbPbPKlPlN2at6native12_GLOBAL__N_18offset_tEEE10hipError_tPvRmT1_PNSt15iterator_traitsISK_E10value_typeET2_T3_PNSL_ISQ_E10value_typeET4_jRbjT5_SW_jjP12ihipStream_tbEUlT_E1_NS1_11comp_targetILNS1_3genE3ELNS1_11target_archE908ELNS1_3gpuE7ELNS1_3repE0EEENS1_59segmented_radix_sort_warp_sort_small_config_static_selectorELNS0_4arch9wavefront6targetE1EEEvSK_
    .private_segment_fixed_size: 0
    .sgpr_count:     4
    .sgpr_spill_count: 0
    .symbol:         _ZN7rocprim17ROCPRIM_400000_NS6detail17trampoline_kernelINS0_14default_configENS1_36segmented_radix_sort_config_selectorIblEEZNS1_25segmented_radix_sort_implIS3_Lb0EPKbPbPKlPlN2at6native12_GLOBAL__N_18offset_tEEE10hipError_tPvRmT1_PNSt15iterator_traitsISK_E10value_typeET2_T3_PNSL_ISQ_E10value_typeET4_jRbjT5_SW_jjP12ihipStream_tbEUlT_E1_NS1_11comp_targetILNS1_3genE3ELNS1_11target_archE908ELNS1_3gpuE7ELNS1_3repE0EEENS1_59segmented_radix_sort_warp_sort_small_config_static_selectorELNS0_4arch9wavefront6targetE1EEEvSK_.kd
    .uniform_work_group_size: 1
    .uses_dynamic_stack: false
    .vgpr_count:     0
    .vgpr_spill_count: 0
    .wavefront_size: 64
  - .args:
      - .offset:         0
        .size:           88
        .value_kind:     by_value
      - .offset:         88
        .size:           4
        .value_kind:     hidden_block_count_x
      - .offset:         92
        .size:           4
        .value_kind:     hidden_block_count_y
      - .offset:         96
        .size:           4
        .value_kind:     hidden_block_count_z
      - .offset:         100
        .size:           2
        .value_kind:     hidden_group_size_x
      - .offset:         102
        .size:           2
        .value_kind:     hidden_group_size_y
      - .offset:         104
        .size:           2
        .value_kind:     hidden_group_size_z
      - .offset:         106
        .size:           2
        .value_kind:     hidden_remainder_x
      - .offset:         108
        .size:           2
        .value_kind:     hidden_remainder_y
      - .offset:         110
        .size:           2
        .value_kind:     hidden_remainder_z
      - .offset:         128
        .size:           8
        .value_kind:     hidden_global_offset_x
      - .offset:         136
        .size:           8
        .value_kind:     hidden_global_offset_y
      - .offset:         144
        .size:           8
        .value_kind:     hidden_global_offset_z
      - .offset:         152
        .size:           2
        .value_kind:     hidden_grid_dims
    .group_segment_fixed_size: 9216
    .kernarg_segment_align: 8
    .kernarg_segment_size: 344
    .language:       OpenCL C
    .language_version:
      - 2
      - 0
    .max_flat_workgroup_size: 256
    .name:           _ZN7rocprim17ROCPRIM_400000_NS6detail17trampoline_kernelINS0_14default_configENS1_36segmented_radix_sort_config_selectorIblEEZNS1_25segmented_radix_sort_implIS3_Lb0EPKbPbPKlPlN2at6native12_GLOBAL__N_18offset_tEEE10hipError_tPvRmT1_PNSt15iterator_traitsISK_E10value_typeET2_T3_PNSL_ISQ_E10value_typeET4_jRbjT5_SW_jjP12ihipStream_tbEUlT_E1_NS1_11comp_targetILNS1_3genE2ELNS1_11target_archE906ELNS1_3gpuE6ELNS1_3repE0EEENS1_59segmented_radix_sort_warp_sort_small_config_static_selectorELNS0_4arch9wavefront6targetE1EEEvSK_
    .private_segment_fixed_size: 12
    .sgpr_count:     52
    .sgpr_spill_count: 0
    .symbol:         _ZN7rocprim17ROCPRIM_400000_NS6detail17trampoline_kernelINS0_14default_configENS1_36segmented_radix_sort_config_selectorIblEEZNS1_25segmented_radix_sort_implIS3_Lb0EPKbPbPKlPlN2at6native12_GLOBAL__N_18offset_tEEE10hipError_tPvRmT1_PNSt15iterator_traitsISK_E10value_typeET2_T3_PNSL_ISQ_E10value_typeET4_jRbjT5_SW_jjP12ihipStream_tbEUlT_E1_NS1_11comp_targetILNS1_3genE2ELNS1_11target_archE906ELNS1_3gpuE6ELNS1_3repE0EEENS1_59segmented_radix_sort_warp_sort_small_config_static_selectorELNS0_4arch9wavefront6targetE1EEEvSK_.kd
    .uniform_work_group_size: 1
    .uses_dynamic_stack: false
    .vgpr_count:     54
    .vgpr_spill_count: 0
    .wavefront_size: 64
  - .args:
      - .offset:         0
        .size:           88
        .value_kind:     by_value
    .group_segment_fixed_size: 0
    .kernarg_segment_align: 8
    .kernarg_segment_size: 88
    .language:       OpenCL C
    .language_version:
      - 2
      - 0
    .max_flat_workgroup_size: 256
    .name:           _ZN7rocprim17ROCPRIM_400000_NS6detail17trampoline_kernelINS0_14default_configENS1_36segmented_radix_sort_config_selectorIblEEZNS1_25segmented_radix_sort_implIS3_Lb0EPKbPbPKlPlN2at6native12_GLOBAL__N_18offset_tEEE10hipError_tPvRmT1_PNSt15iterator_traitsISK_E10value_typeET2_T3_PNSL_ISQ_E10value_typeET4_jRbjT5_SW_jjP12ihipStream_tbEUlT_E1_NS1_11comp_targetILNS1_3genE10ELNS1_11target_archE1201ELNS1_3gpuE5ELNS1_3repE0EEENS1_59segmented_radix_sort_warp_sort_small_config_static_selectorELNS0_4arch9wavefront6targetE1EEEvSK_
    .private_segment_fixed_size: 0
    .sgpr_count:     4
    .sgpr_spill_count: 0
    .symbol:         _ZN7rocprim17ROCPRIM_400000_NS6detail17trampoline_kernelINS0_14default_configENS1_36segmented_radix_sort_config_selectorIblEEZNS1_25segmented_radix_sort_implIS3_Lb0EPKbPbPKlPlN2at6native12_GLOBAL__N_18offset_tEEE10hipError_tPvRmT1_PNSt15iterator_traitsISK_E10value_typeET2_T3_PNSL_ISQ_E10value_typeET4_jRbjT5_SW_jjP12ihipStream_tbEUlT_E1_NS1_11comp_targetILNS1_3genE10ELNS1_11target_archE1201ELNS1_3gpuE5ELNS1_3repE0EEENS1_59segmented_radix_sort_warp_sort_small_config_static_selectorELNS0_4arch9wavefront6targetE1EEEvSK_.kd
    .uniform_work_group_size: 1
    .uses_dynamic_stack: false
    .vgpr_count:     0
    .vgpr_spill_count: 0
    .wavefront_size: 64
  - .args:
      - .offset:         0
        .size:           88
        .value_kind:     by_value
    .group_segment_fixed_size: 0
    .kernarg_segment_align: 8
    .kernarg_segment_size: 88
    .language:       OpenCL C
    .language_version:
      - 2
      - 0
    .max_flat_workgroup_size: 256
    .name:           _ZN7rocprim17ROCPRIM_400000_NS6detail17trampoline_kernelINS0_14default_configENS1_36segmented_radix_sort_config_selectorIblEEZNS1_25segmented_radix_sort_implIS3_Lb0EPKbPbPKlPlN2at6native12_GLOBAL__N_18offset_tEEE10hipError_tPvRmT1_PNSt15iterator_traitsISK_E10value_typeET2_T3_PNSL_ISQ_E10value_typeET4_jRbjT5_SW_jjP12ihipStream_tbEUlT_E1_NS1_11comp_targetILNS1_3genE10ELNS1_11target_archE1200ELNS1_3gpuE4ELNS1_3repE0EEENS1_59segmented_radix_sort_warp_sort_small_config_static_selectorELNS0_4arch9wavefront6targetE1EEEvSK_
    .private_segment_fixed_size: 0
    .sgpr_count:     4
    .sgpr_spill_count: 0
    .symbol:         _ZN7rocprim17ROCPRIM_400000_NS6detail17trampoline_kernelINS0_14default_configENS1_36segmented_radix_sort_config_selectorIblEEZNS1_25segmented_radix_sort_implIS3_Lb0EPKbPbPKlPlN2at6native12_GLOBAL__N_18offset_tEEE10hipError_tPvRmT1_PNSt15iterator_traitsISK_E10value_typeET2_T3_PNSL_ISQ_E10value_typeET4_jRbjT5_SW_jjP12ihipStream_tbEUlT_E1_NS1_11comp_targetILNS1_3genE10ELNS1_11target_archE1200ELNS1_3gpuE4ELNS1_3repE0EEENS1_59segmented_radix_sort_warp_sort_small_config_static_selectorELNS0_4arch9wavefront6targetE1EEEvSK_.kd
    .uniform_work_group_size: 1
    .uses_dynamic_stack: false
    .vgpr_count:     0
    .vgpr_spill_count: 0
    .wavefront_size: 64
  - .args:
      - .offset:         0
        .size:           88
        .value_kind:     by_value
    .group_segment_fixed_size: 0
    .kernarg_segment_align: 8
    .kernarg_segment_size: 88
    .language:       OpenCL C
    .language_version:
      - 2
      - 0
    .max_flat_workgroup_size: 256
    .name:           _ZN7rocprim17ROCPRIM_400000_NS6detail17trampoline_kernelINS0_14default_configENS1_36segmented_radix_sort_config_selectorIblEEZNS1_25segmented_radix_sort_implIS3_Lb0EPKbPbPKlPlN2at6native12_GLOBAL__N_18offset_tEEE10hipError_tPvRmT1_PNSt15iterator_traitsISK_E10value_typeET2_T3_PNSL_ISQ_E10value_typeET4_jRbjT5_SW_jjP12ihipStream_tbEUlT_E1_NS1_11comp_targetILNS1_3genE9ELNS1_11target_archE1100ELNS1_3gpuE3ELNS1_3repE0EEENS1_59segmented_radix_sort_warp_sort_small_config_static_selectorELNS0_4arch9wavefront6targetE1EEEvSK_
    .private_segment_fixed_size: 0
    .sgpr_count:     4
    .sgpr_spill_count: 0
    .symbol:         _ZN7rocprim17ROCPRIM_400000_NS6detail17trampoline_kernelINS0_14default_configENS1_36segmented_radix_sort_config_selectorIblEEZNS1_25segmented_radix_sort_implIS3_Lb0EPKbPbPKlPlN2at6native12_GLOBAL__N_18offset_tEEE10hipError_tPvRmT1_PNSt15iterator_traitsISK_E10value_typeET2_T3_PNSL_ISQ_E10value_typeET4_jRbjT5_SW_jjP12ihipStream_tbEUlT_E1_NS1_11comp_targetILNS1_3genE9ELNS1_11target_archE1100ELNS1_3gpuE3ELNS1_3repE0EEENS1_59segmented_radix_sort_warp_sort_small_config_static_selectorELNS0_4arch9wavefront6targetE1EEEvSK_.kd
    .uniform_work_group_size: 1
    .uses_dynamic_stack: false
    .vgpr_count:     0
    .vgpr_spill_count: 0
    .wavefront_size: 64
  - .args:
      - .offset:         0
        .size:           88
        .value_kind:     by_value
    .group_segment_fixed_size: 0
    .kernarg_segment_align: 8
    .kernarg_segment_size: 88
    .language:       OpenCL C
    .language_version:
      - 2
      - 0
    .max_flat_workgroup_size: 256
    .name:           _ZN7rocprim17ROCPRIM_400000_NS6detail17trampoline_kernelINS0_14default_configENS1_36segmented_radix_sort_config_selectorIblEEZNS1_25segmented_radix_sort_implIS3_Lb0EPKbPbPKlPlN2at6native12_GLOBAL__N_18offset_tEEE10hipError_tPvRmT1_PNSt15iterator_traitsISK_E10value_typeET2_T3_PNSL_ISQ_E10value_typeET4_jRbjT5_SW_jjP12ihipStream_tbEUlT_E1_NS1_11comp_targetILNS1_3genE8ELNS1_11target_archE1030ELNS1_3gpuE2ELNS1_3repE0EEENS1_59segmented_radix_sort_warp_sort_small_config_static_selectorELNS0_4arch9wavefront6targetE1EEEvSK_
    .private_segment_fixed_size: 0
    .sgpr_count:     4
    .sgpr_spill_count: 0
    .symbol:         _ZN7rocprim17ROCPRIM_400000_NS6detail17trampoline_kernelINS0_14default_configENS1_36segmented_radix_sort_config_selectorIblEEZNS1_25segmented_radix_sort_implIS3_Lb0EPKbPbPKlPlN2at6native12_GLOBAL__N_18offset_tEEE10hipError_tPvRmT1_PNSt15iterator_traitsISK_E10value_typeET2_T3_PNSL_ISQ_E10value_typeET4_jRbjT5_SW_jjP12ihipStream_tbEUlT_E1_NS1_11comp_targetILNS1_3genE8ELNS1_11target_archE1030ELNS1_3gpuE2ELNS1_3repE0EEENS1_59segmented_radix_sort_warp_sort_small_config_static_selectorELNS0_4arch9wavefront6targetE1EEEvSK_.kd
    .uniform_work_group_size: 1
    .uses_dynamic_stack: false
    .vgpr_count:     0
    .vgpr_spill_count: 0
    .wavefront_size: 64
  - .args:
      - .offset:         0
        .size:           80
        .value_kind:     by_value
    .group_segment_fixed_size: 0
    .kernarg_segment_align: 8
    .kernarg_segment_size: 80
    .language:       OpenCL C
    .language_version:
      - 2
      - 0
    .max_flat_workgroup_size: 256
    .name:           _ZN7rocprim17ROCPRIM_400000_NS6detail17trampoline_kernelINS0_14default_configENS1_36segmented_radix_sort_config_selectorIblEEZNS1_25segmented_radix_sort_implIS3_Lb0EPKbPbPKlPlN2at6native12_GLOBAL__N_18offset_tEEE10hipError_tPvRmT1_PNSt15iterator_traitsISK_E10value_typeET2_T3_PNSL_ISQ_E10value_typeET4_jRbjT5_SW_jjP12ihipStream_tbEUlT_E2_NS1_11comp_targetILNS1_3genE0ELNS1_11target_archE4294967295ELNS1_3gpuE0ELNS1_3repE0EEENS1_30default_config_static_selectorELNS0_4arch9wavefront6targetE1EEEvSK_
    .private_segment_fixed_size: 0
    .sgpr_count:     4
    .sgpr_spill_count: 0
    .symbol:         _ZN7rocprim17ROCPRIM_400000_NS6detail17trampoline_kernelINS0_14default_configENS1_36segmented_radix_sort_config_selectorIblEEZNS1_25segmented_radix_sort_implIS3_Lb0EPKbPbPKlPlN2at6native12_GLOBAL__N_18offset_tEEE10hipError_tPvRmT1_PNSt15iterator_traitsISK_E10value_typeET2_T3_PNSL_ISQ_E10value_typeET4_jRbjT5_SW_jjP12ihipStream_tbEUlT_E2_NS1_11comp_targetILNS1_3genE0ELNS1_11target_archE4294967295ELNS1_3gpuE0ELNS1_3repE0EEENS1_30default_config_static_selectorELNS0_4arch9wavefront6targetE1EEEvSK_.kd
    .uniform_work_group_size: 1
    .uses_dynamic_stack: false
    .vgpr_count:     0
    .vgpr_spill_count: 0
    .wavefront_size: 64
  - .args:
      - .offset:         0
        .size:           80
        .value_kind:     by_value
    .group_segment_fixed_size: 0
    .kernarg_segment_align: 8
    .kernarg_segment_size: 80
    .language:       OpenCL C
    .language_version:
      - 2
      - 0
    .max_flat_workgroup_size: 256
    .name:           _ZN7rocprim17ROCPRIM_400000_NS6detail17trampoline_kernelINS0_14default_configENS1_36segmented_radix_sort_config_selectorIblEEZNS1_25segmented_radix_sort_implIS3_Lb0EPKbPbPKlPlN2at6native12_GLOBAL__N_18offset_tEEE10hipError_tPvRmT1_PNSt15iterator_traitsISK_E10value_typeET2_T3_PNSL_ISQ_E10value_typeET4_jRbjT5_SW_jjP12ihipStream_tbEUlT_E2_NS1_11comp_targetILNS1_3genE5ELNS1_11target_archE942ELNS1_3gpuE9ELNS1_3repE0EEENS1_30default_config_static_selectorELNS0_4arch9wavefront6targetE1EEEvSK_
    .private_segment_fixed_size: 0
    .sgpr_count:     4
    .sgpr_spill_count: 0
    .symbol:         _ZN7rocprim17ROCPRIM_400000_NS6detail17trampoline_kernelINS0_14default_configENS1_36segmented_radix_sort_config_selectorIblEEZNS1_25segmented_radix_sort_implIS3_Lb0EPKbPbPKlPlN2at6native12_GLOBAL__N_18offset_tEEE10hipError_tPvRmT1_PNSt15iterator_traitsISK_E10value_typeET2_T3_PNSL_ISQ_E10value_typeET4_jRbjT5_SW_jjP12ihipStream_tbEUlT_E2_NS1_11comp_targetILNS1_3genE5ELNS1_11target_archE942ELNS1_3gpuE9ELNS1_3repE0EEENS1_30default_config_static_selectorELNS0_4arch9wavefront6targetE1EEEvSK_.kd
    .uniform_work_group_size: 1
    .uses_dynamic_stack: false
    .vgpr_count:     0
    .vgpr_spill_count: 0
    .wavefront_size: 64
  - .args:
      - .offset:         0
        .size:           80
        .value_kind:     by_value
    .group_segment_fixed_size: 0
    .kernarg_segment_align: 8
    .kernarg_segment_size: 80
    .language:       OpenCL C
    .language_version:
      - 2
      - 0
    .max_flat_workgroup_size: 256
    .name:           _ZN7rocprim17ROCPRIM_400000_NS6detail17trampoline_kernelINS0_14default_configENS1_36segmented_radix_sort_config_selectorIblEEZNS1_25segmented_radix_sort_implIS3_Lb0EPKbPbPKlPlN2at6native12_GLOBAL__N_18offset_tEEE10hipError_tPvRmT1_PNSt15iterator_traitsISK_E10value_typeET2_T3_PNSL_ISQ_E10value_typeET4_jRbjT5_SW_jjP12ihipStream_tbEUlT_E2_NS1_11comp_targetILNS1_3genE4ELNS1_11target_archE910ELNS1_3gpuE8ELNS1_3repE0EEENS1_30default_config_static_selectorELNS0_4arch9wavefront6targetE1EEEvSK_
    .private_segment_fixed_size: 0
    .sgpr_count:     4
    .sgpr_spill_count: 0
    .symbol:         _ZN7rocprim17ROCPRIM_400000_NS6detail17trampoline_kernelINS0_14default_configENS1_36segmented_radix_sort_config_selectorIblEEZNS1_25segmented_radix_sort_implIS3_Lb0EPKbPbPKlPlN2at6native12_GLOBAL__N_18offset_tEEE10hipError_tPvRmT1_PNSt15iterator_traitsISK_E10value_typeET2_T3_PNSL_ISQ_E10value_typeET4_jRbjT5_SW_jjP12ihipStream_tbEUlT_E2_NS1_11comp_targetILNS1_3genE4ELNS1_11target_archE910ELNS1_3gpuE8ELNS1_3repE0EEENS1_30default_config_static_selectorELNS0_4arch9wavefront6targetE1EEEvSK_.kd
    .uniform_work_group_size: 1
    .uses_dynamic_stack: false
    .vgpr_count:     0
    .vgpr_spill_count: 0
    .wavefront_size: 64
  - .args:
      - .offset:         0
        .size:           80
        .value_kind:     by_value
    .group_segment_fixed_size: 0
    .kernarg_segment_align: 8
    .kernarg_segment_size: 80
    .language:       OpenCL C
    .language_version:
      - 2
      - 0
    .max_flat_workgroup_size: 256
    .name:           _ZN7rocprim17ROCPRIM_400000_NS6detail17trampoline_kernelINS0_14default_configENS1_36segmented_radix_sort_config_selectorIblEEZNS1_25segmented_radix_sort_implIS3_Lb0EPKbPbPKlPlN2at6native12_GLOBAL__N_18offset_tEEE10hipError_tPvRmT1_PNSt15iterator_traitsISK_E10value_typeET2_T3_PNSL_ISQ_E10value_typeET4_jRbjT5_SW_jjP12ihipStream_tbEUlT_E2_NS1_11comp_targetILNS1_3genE3ELNS1_11target_archE908ELNS1_3gpuE7ELNS1_3repE0EEENS1_30default_config_static_selectorELNS0_4arch9wavefront6targetE1EEEvSK_
    .private_segment_fixed_size: 0
    .sgpr_count:     4
    .sgpr_spill_count: 0
    .symbol:         _ZN7rocprim17ROCPRIM_400000_NS6detail17trampoline_kernelINS0_14default_configENS1_36segmented_radix_sort_config_selectorIblEEZNS1_25segmented_radix_sort_implIS3_Lb0EPKbPbPKlPlN2at6native12_GLOBAL__N_18offset_tEEE10hipError_tPvRmT1_PNSt15iterator_traitsISK_E10value_typeET2_T3_PNSL_ISQ_E10value_typeET4_jRbjT5_SW_jjP12ihipStream_tbEUlT_E2_NS1_11comp_targetILNS1_3genE3ELNS1_11target_archE908ELNS1_3gpuE7ELNS1_3repE0EEENS1_30default_config_static_selectorELNS0_4arch9wavefront6targetE1EEEvSK_.kd
    .uniform_work_group_size: 1
    .uses_dynamic_stack: false
    .vgpr_count:     0
    .vgpr_spill_count: 0
    .wavefront_size: 64
  - .args:
      - .offset:         0
        .size:           80
        .value_kind:     by_value
      - .offset:         80
        .size:           4
        .value_kind:     hidden_block_count_x
      - .offset:         84
        .size:           4
        .value_kind:     hidden_block_count_y
      - .offset:         88
        .size:           4
        .value_kind:     hidden_block_count_z
      - .offset:         92
        .size:           2
        .value_kind:     hidden_group_size_x
      - .offset:         94
        .size:           2
        .value_kind:     hidden_group_size_y
      - .offset:         96
        .size:           2
        .value_kind:     hidden_group_size_z
      - .offset:         98
        .size:           2
        .value_kind:     hidden_remainder_x
      - .offset:         100
        .size:           2
        .value_kind:     hidden_remainder_y
      - .offset:         102
        .size:           2
        .value_kind:     hidden_remainder_z
      - .offset:         120
        .size:           8
        .value_kind:     hidden_global_offset_x
      - .offset:         128
        .size:           8
        .value_kind:     hidden_global_offset_y
      - .offset:         136
        .size:           8
        .value_kind:     hidden_global_offset_z
      - .offset:         144
        .size:           2
        .value_kind:     hidden_grid_dims
    .group_segment_fixed_size: 9232
    .kernarg_segment_align: 8
    .kernarg_segment_size: 336
    .language:       OpenCL C
    .language_version:
      - 2
      - 0
    .max_flat_workgroup_size: 256
    .name:           _ZN7rocprim17ROCPRIM_400000_NS6detail17trampoline_kernelINS0_14default_configENS1_36segmented_radix_sort_config_selectorIblEEZNS1_25segmented_radix_sort_implIS3_Lb0EPKbPbPKlPlN2at6native12_GLOBAL__N_18offset_tEEE10hipError_tPvRmT1_PNSt15iterator_traitsISK_E10value_typeET2_T3_PNSL_ISQ_E10value_typeET4_jRbjT5_SW_jjP12ihipStream_tbEUlT_E2_NS1_11comp_targetILNS1_3genE2ELNS1_11target_archE906ELNS1_3gpuE6ELNS1_3repE0EEENS1_30default_config_static_selectorELNS0_4arch9wavefront6targetE1EEEvSK_
    .private_segment_fixed_size: 12
    .sgpr_count:     80
    .sgpr_spill_count: 0
    .symbol:         _ZN7rocprim17ROCPRIM_400000_NS6detail17trampoline_kernelINS0_14default_configENS1_36segmented_radix_sort_config_selectorIblEEZNS1_25segmented_radix_sort_implIS3_Lb0EPKbPbPKlPlN2at6native12_GLOBAL__N_18offset_tEEE10hipError_tPvRmT1_PNSt15iterator_traitsISK_E10value_typeET2_T3_PNSL_ISQ_E10value_typeET4_jRbjT5_SW_jjP12ihipStream_tbEUlT_E2_NS1_11comp_targetILNS1_3genE2ELNS1_11target_archE906ELNS1_3gpuE6ELNS1_3repE0EEENS1_30default_config_static_selectorELNS0_4arch9wavefront6targetE1EEEvSK_.kd
    .uniform_work_group_size: 1
    .uses_dynamic_stack: false
    .vgpr_count:     97
    .vgpr_spill_count: 0
    .wavefront_size: 64
  - .args:
      - .offset:         0
        .size:           80
        .value_kind:     by_value
    .group_segment_fixed_size: 0
    .kernarg_segment_align: 8
    .kernarg_segment_size: 80
    .language:       OpenCL C
    .language_version:
      - 2
      - 0
    .max_flat_workgroup_size: 256
    .name:           _ZN7rocprim17ROCPRIM_400000_NS6detail17trampoline_kernelINS0_14default_configENS1_36segmented_radix_sort_config_selectorIblEEZNS1_25segmented_radix_sort_implIS3_Lb0EPKbPbPKlPlN2at6native12_GLOBAL__N_18offset_tEEE10hipError_tPvRmT1_PNSt15iterator_traitsISK_E10value_typeET2_T3_PNSL_ISQ_E10value_typeET4_jRbjT5_SW_jjP12ihipStream_tbEUlT_E2_NS1_11comp_targetILNS1_3genE10ELNS1_11target_archE1201ELNS1_3gpuE5ELNS1_3repE0EEENS1_30default_config_static_selectorELNS0_4arch9wavefront6targetE1EEEvSK_
    .private_segment_fixed_size: 0
    .sgpr_count:     4
    .sgpr_spill_count: 0
    .symbol:         _ZN7rocprim17ROCPRIM_400000_NS6detail17trampoline_kernelINS0_14default_configENS1_36segmented_radix_sort_config_selectorIblEEZNS1_25segmented_radix_sort_implIS3_Lb0EPKbPbPKlPlN2at6native12_GLOBAL__N_18offset_tEEE10hipError_tPvRmT1_PNSt15iterator_traitsISK_E10value_typeET2_T3_PNSL_ISQ_E10value_typeET4_jRbjT5_SW_jjP12ihipStream_tbEUlT_E2_NS1_11comp_targetILNS1_3genE10ELNS1_11target_archE1201ELNS1_3gpuE5ELNS1_3repE0EEENS1_30default_config_static_selectorELNS0_4arch9wavefront6targetE1EEEvSK_.kd
    .uniform_work_group_size: 1
    .uses_dynamic_stack: false
    .vgpr_count:     0
    .vgpr_spill_count: 0
    .wavefront_size: 64
  - .args:
      - .offset:         0
        .size:           80
        .value_kind:     by_value
    .group_segment_fixed_size: 0
    .kernarg_segment_align: 8
    .kernarg_segment_size: 80
    .language:       OpenCL C
    .language_version:
      - 2
      - 0
    .max_flat_workgroup_size: 128
    .name:           _ZN7rocprim17ROCPRIM_400000_NS6detail17trampoline_kernelINS0_14default_configENS1_36segmented_radix_sort_config_selectorIblEEZNS1_25segmented_radix_sort_implIS3_Lb0EPKbPbPKlPlN2at6native12_GLOBAL__N_18offset_tEEE10hipError_tPvRmT1_PNSt15iterator_traitsISK_E10value_typeET2_T3_PNSL_ISQ_E10value_typeET4_jRbjT5_SW_jjP12ihipStream_tbEUlT_E2_NS1_11comp_targetILNS1_3genE10ELNS1_11target_archE1200ELNS1_3gpuE4ELNS1_3repE0EEENS1_30default_config_static_selectorELNS0_4arch9wavefront6targetE1EEEvSK_
    .private_segment_fixed_size: 0
    .sgpr_count:     4
    .sgpr_spill_count: 0
    .symbol:         _ZN7rocprim17ROCPRIM_400000_NS6detail17trampoline_kernelINS0_14default_configENS1_36segmented_radix_sort_config_selectorIblEEZNS1_25segmented_radix_sort_implIS3_Lb0EPKbPbPKlPlN2at6native12_GLOBAL__N_18offset_tEEE10hipError_tPvRmT1_PNSt15iterator_traitsISK_E10value_typeET2_T3_PNSL_ISQ_E10value_typeET4_jRbjT5_SW_jjP12ihipStream_tbEUlT_E2_NS1_11comp_targetILNS1_3genE10ELNS1_11target_archE1200ELNS1_3gpuE4ELNS1_3repE0EEENS1_30default_config_static_selectorELNS0_4arch9wavefront6targetE1EEEvSK_.kd
    .uniform_work_group_size: 1
    .uses_dynamic_stack: false
    .vgpr_count:     0
    .vgpr_spill_count: 0
    .wavefront_size: 64
  - .args:
      - .offset:         0
        .size:           80
        .value_kind:     by_value
    .group_segment_fixed_size: 0
    .kernarg_segment_align: 8
    .kernarg_segment_size: 80
    .language:       OpenCL C
    .language_version:
      - 2
      - 0
    .max_flat_workgroup_size: 256
    .name:           _ZN7rocprim17ROCPRIM_400000_NS6detail17trampoline_kernelINS0_14default_configENS1_36segmented_radix_sort_config_selectorIblEEZNS1_25segmented_radix_sort_implIS3_Lb0EPKbPbPKlPlN2at6native12_GLOBAL__N_18offset_tEEE10hipError_tPvRmT1_PNSt15iterator_traitsISK_E10value_typeET2_T3_PNSL_ISQ_E10value_typeET4_jRbjT5_SW_jjP12ihipStream_tbEUlT_E2_NS1_11comp_targetILNS1_3genE9ELNS1_11target_archE1100ELNS1_3gpuE3ELNS1_3repE0EEENS1_30default_config_static_selectorELNS0_4arch9wavefront6targetE1EEEvSK_
    .private_segment_fixed_size: 0
    .sgpr_count:     4
    .sgpr_spill_count: 0
    .symbol:         _ZN7rocprim17ROCPRIM_400000_NS6detail17trampoline_kernelINS0_14default_configENS1_36segmented_radix_sort_config_selectorIblEEZNS1_25segmented_radix_sort_implIS3_Lb0EPKbPbPKlPlN2at6native12_GLOBAL__N_18offset_tEEE10hipError_tPvRmT1_PNSt15iterator_traitsISK_E10value_typeET2_T3_PNSL_ISQ_E10value_typeET4_jRbjT5_SW_jjP12ihipStream_tbEUlT_E2_NS1_11comp_targetILNS1_3genE9ELNS1_11target_archE1100ELNS1_3gpuE3ELNS1_3repE0EEENS1_30default_config_static_selectorELNS0_4arch9wavefront6targetE1EEEvSK_.kd
    .uniform_work_group_size: 1
    .uses_dynamic_stack: false
    .vgpr_count:     0
    .vgpr_spill_count: 0
    .wavefront_size: 64
  - .args:
      - .offset:         0
        .size:           80
        .value_kind:     by_value
    .group_segment_fixed_size: 0
    .kernarg_segment_align: 8
    .kernarg_segment_size: 80
    .language:       OpenCL C
    .language_version:
      - 2
      - 0
    .max_flat_workgroup_size: 256
    .name:           _ZN7rocprim17ROCPRIM_400000_NS6detail17trampoline_kernelINS0_14default_configENS1_36segmented_radix_sort_config_selectorIblEEZNS1_25segmented_radix_sort_implIS3_Lb0EPKbPbPKlPlN2at6native12_GLOBAL__N_18offset_tEEE10hipError_tPvRmT1_PNSt15iterator_traitsISK_E10value_typeET2_T3_PNSL_ISQ_E10value_typeET4_jRbjT5_SW_jjP12ihipStream_tbEUlT_E2_NS1_11comp_targetILNS1_3genE8ELNS1_11target_archE1030ELNS1_3gpuE2ELNS1_3repE0EEENS1_30default_config_static_selectorELNS0_4arch9wavefront6targetE1EEEvSK_
    .private_segment_fixed_size: 0
    .sgpr_count:     4
    .sgpr_spill_count: 0
    .symbol:         _ZN7rocprim17ROCPRIM_400000_NS6detail17trampoline_kernelINS0_14default_configENS1_36segmented_radix_sort_config_selectorIblEEZNS1_25segmented_radix_sort_implIS3_Lb0EPKbPbPKlPlN2at6native12_GLOBAL__N_18offset_tEEE10hipError_tPvRmT1_PNSt15iterator_traitsISK_E10value_typeET2_T3_PNSL_ISQ_E10value_typeET4_jRbjT5_SW_jjP12ihipStream_tbEUlT_E2_NS1_11comp_targetILNS1_3genE8ELNS1_11target_archE1030ELNS1_3gpuE2ELNS1_3repE0EEENS1_30default_config_static_selectorELNS0_4arch9wavefront6targetE1EEEvSK_.kd
    .uniform_work_group_size: 1
    .uses_dynamic_stack: false
    .vgpr_count:     0
    .vgpr_spill_count: 0
    .wavefront_size: 64
  - .args:
      - .address_space:  global
        .offset:         0
        .size:           8
        .value_kind:     global_buffer
      - .address_space:  global
        .offset:         8
        .size:           8
        .value_kind:     global_buffer
      - .address_space:  global
        .offset:         16
        .size:           8
        .value_kind:     global_buffer
      - .address_space:  global
        .offset:         24
        .size:           8
        .value_kind:     global_buffer
      - .offset:         32
        .size:           4
        .value_kind:     by_value
      - .offset:         36
        .size:           4
        .value_kind:     by_value
      - .offset:         40
        .size:           4
        .value_kind:     hidden_block_count_x
      - .offset:         44
        .size:           4
        .value_kind:     hidden_block_count_y
      - .offset:         48
        .size:           4
        .value_kind:     hidden_block_count_z
      - .offset:         52
        .size:           2
        .value_kind:     hidden_group_size_x
      - .offset:         54
        .size:           2
        .value_kind:     hidden_group_size_y
      - .offset:         56
        .size:           2
        .value_kind:     hidden_group_size_z
      - .offset:         58
        .size:           2
        .value_kind:     hidden_remainder_x
      - .offset:         60
        .size:           2
        .value_kind:     hidden_remainder_y
      - .offset:         62
        .size:           2
        .value_kind:     hidden_remainder_z
      - .offset:         80
        .size:           8
        .value_kind:     hidden_global_offset_x
      - .offset:         88
        .size:           8
        .value_kind:     hidden_global_offset_y
      - .offset:         96
        .size:           8
        .value_kind:     hidden_global_offset_z
      - .offset:         104
        .size:           2
        .value_kind:     hidden_grid_dims
    .group_segment_fixed_size: 0
    .kernarg_segment_align: 8
    .kernarg_segment_size: 296
    .language:       OpenCL C
    .language_version:
      - 2
      - 0
    .max_flat_workgroup_size: 1024
    .name:           _ZN2at6native12_GLOBAL__N_123sort_postprocess_kernelIN3c104HalfEEEvPKT_PS5_PlPK15HIP_vector_typeIiLj2EEii
    .private_segment_fixed_size: 0
    .sgpr_count:     23
    .sgpr_spill_count: 0
    .symbol:         _ZN2at6native12_GLOBAL__N_123sort_postprocess_kernelIN3c104HalfEEEvPKT_PS5_PlPK15HIP_vector_typeIiLj2EEii.kd
    .uniform_work_group_size: 1
    .uses_dynamic_stack: false
    .vgpr_count:     22
    .vgpr_spill_count: 0
    .wavefront_size: 64
  - .args:
      - .offset:         0
        .size:           176
        .value_kind:     by_value
    .group_segment_fixed_size: 0
    .kernarg_segment_align: 8
    .kernarg_segment_size: 176
    .language:       OpenCL C
    .language_version:
      - 2
      - 0
    .max_flat_workgroup_size: 256
    .name:           _ZN7rocprim17ROCPRIM_400000_NS6detail17trampoline_kernelINS0_13select_configILj256ELj13ELNS0_17block_load_methodE3ELS4_3ELS4_3ELNS0_20block_scan_algorithmE0ELj4294967295EEENS1_25partition_config_selectorILNS1_17partition_subalgoE4EjNS0_10empty_typeEbEEZZNS1_14partition_implILS8_4ELb0ES6_15HIP_vector_typeIjLj2EENS0_17counting_iteratorIjlEEPS9_SG_NS0_5tupleIJPjSI_NS0_16reverse_iteratorISI_EEEEENSH_IJSG_SG_SG_EEES9_SI_JZNS1_25segmented_radix_sort_implINS0_14default_configELb1EPK6__halfPSP_PKlPlN2at6native12_GLOBAL__N_18offset_tEEE10hipError_tPvRmT1_PNSt15iterator_traitsIS13_E10value_typeET2_T3_PNS14_IS19_E10value_typeET4_jRbjT5_S1F_jjP12ihipStream_tbEUljE_ZNSN_ISO_Lb1ESR_SS_SU_SV_SZ_EES10_S11_S12_S13_S17_S18_S19_S1C_S1D_jS1E_jS1F_S1F_jjS1H_bEUljE0_EEES10_S11_S12_S19_S1D_S1F_T6_T7_T9_mT8_S1H_bDpT10_ENKUlT_T0_E_clISt17integral_constantIbLb0EES1V_EEDaS1Q_S1R_EUlS1Q_E_NS1_11comp_targetILNS1_3genE0ELNS1_11target_archE4294967295ELNS1_3gpuE0ELNS1_3repE0EEENS1_30default_config_static_selectorELNS0_4arch9wavefront6targetE1EEEvS13_
    .private_segment_fixed_size: 0
    .sgpr_count:     4
    .sgpr_spill_count: 0
    .symbol:         _ZN7rocprim17ROCPRIM_400000_NS6detail17trampoline_kernelINS0_13select_configILj256ELj13ELNS0_17block_load_methodE3ELS4_3ELS4_3ELNS0_20block_scan_algorithmE0ELj4294967295EEENS1_25partition_config_selectorILNS1_17partition_subalgoE4EjNS0_10empty_typeEbEEZZNS1_14partition_implILS8_4ELb0ES6_15HIP_vector_typeIjLj2EENS0_17counting_iteratorIjlEEPS9_SG_NS0_5tupleIJPjSI_NS0_16reverse_iteratorISI_EEEEENSH_IJSG_SG_SG_EEES9_SI_JZNS1_25segmented_radix_sort_implINS0_14default_configELb1EPK6__halfPSP_PKlPlN2at6native12_GLOBAL__N_18offset_tEEE10hipError_tPvRmT1_PNSt15iterator_traitsIS13_E10value_typeET2_T3_PNS14_IS19_E10value_typeET4_jRbjT5_S1F_jjP12ihipStream_tbEUljE_ZNSN_ISO_Lb1ESR_SS_SU_SV_SZ_EES10_S11_S12_S13_S17_S18_S19_S1C_S1D_jS1E_jS1F_S1F_jjS1H_bEUljE0_EEES10_S11_S12_S19_S1D_S1F_T6_T7_T9_mT8_S1H_bDpT10_ENKUlT_T0_E_clISt17integral_constantIbLb0EES1V_EEDaS1Q_S1R_EUlS1Q_E_NS1_11comp_targetILNS1_3genE0ELNS1_11target_archE4294967295ELNS1_3gpuE0ELNS1_3repE0EEENS1_30default_config_static_selectorELNS0_4arch9wavefront6targetE1EEEvS13_.kd
    .uniform_work_group_size: 1
    .uses_dynamic_stack: false
    .vgpr_count:     0
    .vgpr_spill_count: 0
    .wavefront_size: 64
  - .args:
      - .offset:         0
        .size:           176
        .value_kind:     by_value
    .group_segment_fixed_size: 0
    .kernarg_segment_align: 8
    .kernarg_segment_size: 176
    .language:       OpenCL C
    .language_version:
      - 2
      - 0
    .max_flat_workgroup_size: 256
    .name:           _ZN7rocprim17ROCPRIM_400000_NS6detail17trampoline_kernelINS0_13select_configILj256ELj13ELNS0_17block_load_methodE3ELS4_3ELS4_3ELNS0_20block_scan_algorithmE0ELj4294967295EEENS1_25partition_config_selectorILNS1_17partition_subalgoE4EjNS0_10empty_typeEbEEZZNS1_14partition_implILS8_4ELb0ES6_15HIP_vector_typeIjLj2EENS0_17counting_iteratorIjlEEPS9_SG_NS0_5tupleIJPjSI_NS0_16reverse_iteratorISI_EEEEENSH_IJSG_SG_SG_EEES9_SI_JZNS1_25segmented_radix_sort_implINS0_14default_configELb1EPK6__halfPSP_PKlPlN2at6native12_GLOBAL__N_18offset_tEEE10hipError_tPvRmT1_PNSt15iterator_traitsIS13_E10value_typeET2_T3_PNS14_IS19_E10value_typeET4_jRbjT5_S1F_jjP12ihipStream_tbEUljE_ZNSN_ISO_Lb1ESR_SS_SU_SV_SZ_EES10_S11_S12_S13_S17_S18_S19_S1C_S1D_jS1E_jS1F_S1F_jjS1H_bEUljE0_EEES10_S11_S12_S19_S1D_S1F_T6_T7_T9_mT8_S1H_bDpT10_ENKUlT_T0_E_clISt17integral_constantIbLb0EES1V_EEDaS1Q_S1R_EUlS1Q_E_NS1_11comp_targetILNS1_3genE5ELNS1_11target_archE942ELNS1_3gpuE9ELNS1_3repE0EEENS1_30default_config_static_selectorELNS0_4arch9wavefront6targetE1EEEvS13_
    .private_segment_fixed_size: 0
    .sgpr_count:     4
    .sgpr_spill_count: 0
    .symbol:         _ZN7rocprim17ROCPRIM_400000_NS6detail17trampoline_kernelINS0_13select_configILj256ELj13ELNS0_17block_load_methodE3ELS4_3ELS4_3ELNS0_20block_scan_algorithmE0ELj4294967295EEENS1_25partition_config_selectorILNS1_17partition_subalgoE4EjNS0_10empty_typeEbEEZZNS1_14partition_implILS8_4ELb0ES6_15HIP_vector_typeIjLj2EENS0_17counting_iteratorIjlEEPS9_SG_NS0_5tupleIJPjSI_NS0_16reverse_iteratorISI_EEEEENSH_IJSG_SG_SG_EEES9_SI_JZNS1_25segmented_radix_sort_implINS0_14default_configELb1EPK6__halfPSP_PKlPlN2at6native12_GLOBAL__N_18offset_tEEE10hipError_tPvRmT1_PNSt15iterator_traitsIS13_E10value_typeET2_T3_PNS14_IS19_E10value_typeET4_jRbjT5_S1F_jjP12ihipStream_tbEUljE_ZNSN_ISO_Lb1ESR_SS_SU_SV_SZ_EES10_S11_S12_S13_S17_S18_S19_S1C_S1D_jS1E_jS1F_S1F_jjS1H_bEUljE0_EEES10_S11_S12_S19_S1D_S1F_T6_T7_T9_mT8_S1H_bDpT10_ENKUlT_T0_E_clISt17integral_constantIbLb0EES1V_EEDaS1Q_S1R_EUlS1Q_E_NS1_11comp_targetILNS1_3genE5ELNS1_11target_archE942ELNS1_3gpuE9ELNS1_3repE0EEENS1_30default_config_static_selectorELNS0_4arch9wavefront6targetE1EEEvS13_.kd
    .uniform_work_group_size: 1
    .uses_dynamic_stack: false
    .vgpr_count:     0
    .vgpr_spill_count: 0
    .wavefront_size: 64
  - .args:
      - .offset:         0
        .size:           176
        .value_kind:     by_value
    .group_segment_fixed_size: 0
    .kernarg_segment_align: 8
    .kernarg_segment_size: 176
    .language:       OpenCL C
    .language_version:
      - 2
      - 0
    .max_flat_workgroup_size: 256
    .name:           _ZN7rocprim17ROCPRIM_400000_NS6detail17trampoline_kernelINS0_13select_configILj256ELj13ELNS0_17block_load_methodE3ELS4_3ELS4_3ELNS0_20block_scan_algorithmE0ELj4294967295EEENS1_25partition_config_selectorILNS1_17partition_subalgoE4EjNS0_10empty_typeEbEEZZNS1_14partition_implILS8_4ELb0ES6_15HIP_vector_typeIjLj2EENS0_17counting_iteratorIjlEEPS9_SG_NS0_5tupleIJPjSI_NS0_16reverse_iteratorISI_EEEEENSH_IJSG_SG_SG_EEES9_SI_JZNS1_25segmented_radix_sort_implINS0_14default_configELb1EPK6__halfPSP_PKlPlN2at6native12_GLOBAL__N_18offset_tEEE10hipError_tPvRmT1_PNSt15iterator_traitsIS13_E10value_typeET2_T3_PNS14_IS19_E10value_typeET4_jRbjT5_S1F_jjP12ihipStream_tbEUljE_ZNSN_ISO_Lb1ESR_SS_SU_SV_SZ_EES10_S11_S12_S13_S17_S18_S19_S1C_S1D_jS1E_jS1F_S1F_jjS1H_bEUljE0_EEES10_S11_S12_S19_S1D_S1F_T6_T7_T9_mT8_S1H_bDpT10_ENKUlT_T0_E_clISt17integral_constantIbLb0EES1V_EEDaS1Q_S1R_EUlS1Q_E_NS1_11comp_targetILNS1_3genE4ELNS1_11target_archE910ELNS1_3gpuE8ELNS1_3repE0EEENS1_30default_config_static_selectorELNS0_4arch9wavefront6targetE1EEEvS13_
    .private_segment_fixed_size: 0
    .sgpr_count:     4
    .sgpr_spill_count: 0
    .symbol:         _ZN7rocprim17ROCPRIM_400000_NS6detail17trampoline_kernelINS0_13select_configILj256ELj13ELNS0_17block_load_methodE3ELS4_3ELS4_3ELNS0_20block_scan_algorithmE0ELj4294967295EEENS1_25partition_config_selectorILNS1_17partition_subalgoE4EjNS0_10empty_typeEbEEZZNS1_14partition_implILS8_4ELb0ES6_15HIP_vector_typeIjLj2EENS0_17counting_iteratorIjlEEPS9_SG_NS0_5tupleIJPjSI_NS0_16reverse_iteratorISI_EEEEENSH_IJSG_SG_SG_EEES9_SI_JZNS1_25segmented_radix_sort_implINS0_14default_configELb1EPK6__halfPSP_PKlPlN2at6native12_GLOBAL__N_18offset_tEEE10hipError_tPvRmT1_PNSt15iterator_traitsIS13_E10value_typeET2_T3_PNS14_IS19_E10value_typeET4_jRbjT5_S1F_jjP12ihipStream_tbEUljE_ZNSN_ISO_Lb1ESR_SS_SU_SV_SZ_EES10_S11_S12_S13_S17_S18_S19_S1C_S1D_jS1E_jS1F_S1F_jjS1H_bEUljE0_EEES10_S11_S12_S19_S1D_S1F_T6_T7_T9_mT8_S1H_bDpT10_ENKUlT_T0_E_clISt17integral_constantIbLb0EES1V_EEDaS1Q_S1R_EUlS1Q_E_NS1_11comp_targetILNS1_3genE4ELNS1_11target_archE910ELNS1_3gpuE8ELNS1_3repE0EEENS1_30default_config_static_selectorELNS0_4arch9wavefront6targetE1EEEvS13_.kd
    .uniform_work_group_size: 1
    .uses_dynamic_stack: false
    .vgpr_count:     0
    .vgpr_spill_count: 0
    .wavefront_size: 64
  - .args:
      - .offset:         0
        .size:           176
        .value_kind:     by_value
    .group_segment_fixed_size: 0
    .kernarg_segment_align: 8
    .kernarg_segment_size: 176
    .language:       OpenCL C
    .language_version:
      - 2
      - 0
    .max_flat_workgroup_size: 256
    .name:           _ZN7rocprim17ROCPRIM_400000_NS6detail17trampoline_kernelINS0_13select_configILj256ELj13ELNS0_17block_load_methodE3ELS4_3ELS4_3ELNS0_20block_scan_algorithmE0ELj4294967295EEENS1_25partition_config_selectorILNS1_17partition_subalgoE4EjNS0_10empty_typeEbEEZZNS1_14partition_implILS8_4ELb0ES6_15HIP_vector_typeIjLj2EENS0_17counting_iteratorIjlEEPS9_SG_NS0_5tupleIJPjSI_NS0_16reverse_iteratorISI_EEEEENSH_IJSG_SG_SG_EEES9_SI_JZNS1_25segmented_radix_sort_implINS0_14default_configELb1EPK6__halfPSP_PKlPlN2at6native12_GLOBAL__N_18offset_tEEE10hipError_tPvRmT1_PNSt15iterator_traitsIS13_E10value_typeET2_T3_PNS14_IS19_E10value_typeET4_jRbjT5_S1F_jjP12ihipStream_tbEUljE_ZNSN_ISO_Lb1ESR_SS_SU_SV_SZ_EES10_S11_S12_S13_S17_S18_S19_S1C_S1D_jS1E_jS1F_S1F_jjS1H_bEUljE0_EEES10_S11_S12_S19_S1D_S1F_T6_T7_T9_mT8_S1H_bDpT10_ENKUlT_T0_E_clISt17integral_constantIbLb0EES1V_EEDaS1Q_S1R_EUlS1Q_E_NS1_11comp_targetILNS1_3genE3ELNS1_11target_archE908ELNS1_3gpuE7ELNS1_3repE0EEENS1_30default_config_static_selectorELNS0_4arch9wavefront6targetE1EEEvS13_
    .private_segment_fixed_size: 0
    .sgpr_count:     4
    .sgpr_spill_count: 0
    .symbol:         _ZN7rocprim17ROCPRIM_400000_NS6detail17trampoline_kernelINS0_13select_configILj256ELj13ELNS0_17block_load_methodE3ELS4_3ELS4_3ELNS0_20block_scan_algorithmE0ELj4294967295EEENS1_25partition_config_selectorILNS1_17partition_subalgoE4EjNS0_10empty_typeEbEEZZNS1_14partition_implILS8_4ELb0ES6_15HIP_vector_typeIjLj2EENS0_17counting_iteratorIjlEEPS9_SG_NS0_5tupleIJPjSI_NS0_16reverse_iteratorISI_EEEEENSH_IJSG_SG_SG_EEES9_SI_JZNS1_25segmented_radix_sort_implINS0_14default_configELb1EPK6__halfPSP_PKlPlN2at6native12_GLOBAL__N_18offset_tEEE10hipError_tPvRmT1_PNSt15iterator_traitsIS13_E10value_typeET2_T3_PNS14_IS19_E10value_typeET4_jRbjT5_S1F_jjP12ihipStream_tbEUljE_ZNSN_ISO_Lb1ESR_SS_SU_SV_SZ_EES10_S11_S12_S13_S17_S18_S19_S1C_S1D_jS1E_jS1F_S1F_jjS1H_bEUljE0_EEES10_S11_S12_S19_S1D_S1F_T6_T7_T9_mT8_S1H_bDpT10_ENKUlT_T0_E_clISt17integral_constantIbLb0EES1V_EEDaS1Q_S1R_EUlS1Q_E_NS1_11comp_targetILNS1_3genE3ELNS1_11target_archE908ELNS1_3gpuE7ELNS1_3repE0EEENS1_30default_config_static_selectorELNS0_4arch9wavefront6targetE1EEEvS13_.kd
    .uniform_work_group_size: 1
    .uses_dynamic_stack: false
    .vgpr_count:     0
    .vgpr_spill_count: 0
    .wavefront_size: 64
  - .args:
      - .offset:         0
        .size:           176
        .value_kind:     by_value
    .group_segment_fixed_size: 13328
    .kernarg_segment_align: 8
    .kernarg_segment_size: 176
    .language:       OpenCL C
    .language_version:
      - 2
      - 0
    .max_flat_workgroup_size: 256
    .name:           _ZN7rocprim17ROCPRIM_400000_NS6detail17trampoline_kernelINS0_13select_configILj256ELj13ELNS0_17block_load_methodE3ELS4_3ELS4_3ELNS0_20block_scan_algorithmE0ELj4294967295EEENS1_25partition_config_selectorILNS1_17partition_subalgoE4EjNS0_10empty_typeEbEEZZNS1_14partition_implILS8_4ELb0ES6_15HIP_vector_typeIjLj2EENS0_17counting_iteratorIjlEEPS9_SG_NS0_5tupleIJPjSI_NS0_16reverse_iteratorISI_EEEEENSH_IJSG_SG_SG_EEES9_SI_JZNS1_25segmented_radix_sort_implINS0_14default_configELb1EPK6__halfPSP_PKlPlN2at6native12_GLOBAL__N_18offset_tEEE10hipError_tPvRmT1_PNSt15iterator_traitsIS13_E10value_typeET2_T3_PNS14_IS19_E10value_typeET4_jRbjT5_S1F_jjP12ihipStream_tbEUljE_ZNSN_ISO_Lb1ESR_SS_SU_SV_SZ_EES10_S11_S12_S13_S17_S18_S19_S1C_S1D_jS1E_jS1F_S1F_jjS1H_bEUljE0_EEES10_S11_S12_S19_S1D_S1F_T6_T7_T9_mT8_S1H_bDpT10_ENKUlT_T0_E_clISt17integral_constantIbLb0EES1V_EEDaS1Q_S1R_EUlS1Q_E_NS1_11comp_targetILNS1_3genE2ELNS1_11target_archE906ELNS1_3gpuE6ELNS1_3repE0EEENS1_30default_config_static_selectorELNS0_4arch9wavefront6targetE1EEEvS13_
    .private_segment_fixed_size: 0
    .sgpr_count:     94
    .sgpr_spill_count: 0
    .symbol:         _ZN7rocprim17ROCPRIM_400000_NS6detail17trampoline_kernelINS0_13select_configILj256ELj13ELNS0_17block_load_methodE3ELS4_3ELS4_3ELNS0_20block_scan_algorithmE0ELj4294967295EEENS1_25partition_config_selectorILNS1_17partition_subalgoE4EjNS0_10empty_typeEbEEZZNS1_14partition_implILS8_4ELb0ES6_15HIP_vector_typeIjLj2EENS0_17counting_iteratorIjlEEPS9_SG_NS0_5tupleIJPjSI_NS0_16reverse_iteratorISI_EEEEENSH_IJSG_SG_SG_EEES9_SI_JZNS1_25segmented_radix_sort_implINS0_14default_configELb1EPK6__halfPSP_PKlPlN2at6native12_GLOBAL__N_18offset_tEEE10hipError_tPvRmT1_PNSt15iterator_traitsIS13_E10value_typeET2_T3_PNS14_IS19_E10value_typeET4_jRbjT5_S1F_jjP12ihipStream_tbEUljE_ZNSN_ISO_Lb1ESR_SS_SU_SV_SZ_EES10_S11_S12_S13_S17_S18_S19_S1C_S1D_jS1E_jS1F_S1F_jjS1H_bEUljE0_EEES10_S11_S12_S19_S1D_S1F_T6_T7_T9_mT8_S1H_bDpT10_ENKUlT_T0_E_clISt17integral_constantIbLb0EES1V_EEDaS1Q_S1R_EUlS1Q_E_NS1_11comp_targetILNS1_3genE2ELNS1_11target_archE906ELNS1_3gpuE6ELNS1_3repE0EEENS1_30default_config_static_selectorELNS0_4arch9wavefront6targetE1EEEvS13_.kd
    .uniform_work_group_size: 1
    .uses_dynamic_stack: false
    .vgpr_count:     86
    .vgpr_spill_count: 0
    .wavefront_size: 64
  - .args:
      - .offset:         0
        .size:           176
        .value_kind:     by_value
    .group_segment_fixed_size: 0
    .kernarg_segment_align: 8
    .kernarg_segment_size: 176
    .language:       OpenCL C
    .language_version:
      - 2
      - 0
    .max_flat_workgroup_size: 256
    .name:           _ZN7rocprim17ROCPRIM_400000_NS6detail17trampoline_kernelINS0_13select_configILj256ELj13ELNS0_17block_load_methodE3ELS4_3ELS4_3ELNS0_20block_scan_algorithmE0ELj4294967295EEENS1_25partition_config_selectorILNS1_17partition_subalgoE4EjNS0_10empty_typeEbEEZZNS1_14partition_implILS8_4ELb0ES6_15HIP_vector_typeIjLj2EENS0_17counting_iteratorIjlEEPS9_SG_NS0_5tupleIJPjSI_NS0_16reverse_iteratorISI_EEEEENSH_IJSG_SG_SG_EEES9_SI_JZNS1_25segmented_radix_sort_implINS0_14default_configELb1EPK6__halfPSP_PKlPlN2at6native12_GLOBAL__N_18offset_tEEE10hipError_tPvRmT1_PNSt15iterator_traitsIS13_E10value_typeET2_T3_PNS14_IS19_E10value_typeET4_jRbjT5_S1F_jjP12ihipStream_tbEUljE_ZNSN_ISO_Lb1ESR_SS_SU_SV_SZ_EES10_S11_S12_S13_S17_S18_S19_S1C_S1D_jS1E_jS1F_S1F_jjS1H_bEUljE0_EEES10_S11_S12_S19_S1D_S1F_T6_T7_T9_mT8_S1H_bDpT10_ENKUlT_T0_E_clISt17integral_constantIbLb0EES1V_EEDaS1Q_S1R_EUlS1Q_E_NS1_11comp_targetILNS1_3genE10ELNS1_11target_archE1200ELNS1_3gpuE4ELNS1_3repE0EEENS1_30default_config_static_selectorELNS0_4arch9wavefront6targetE1EEEvS13_
    .private_segment_fixed_size: 0
    .sgpr_count:     4
    .sgpr_spill_count: 0
    .symbol:         _ZN7rocprim17ROCPRIM_400000_NS6detail17trampoline_kernelINS0_13select_configILj256ELj13ELNS0_17block_load_methodE3ELS4_3ELS4_3ELNS0_20block_scan_algorithmE0ELj4294967295EEENS1_25partition_config_selectorILNS1_17partition_subalgoE4EjNS0_10empty_typeEbEEZZNS1_14partition_implILS8_4ELb0ES6_15HIP_vector_typeIjLj2EENS0_17counting_iteratorIjlEEPS9_SG_NS0_5tupleIJPjSI_NS0_16reverse_iteratorISI_EEEEENSH_IJSG_SG_SG_EEES9_SI_JZNS1_25segmented_radix_sort_implINS0_14default_configELb1EPK6__halfPSP_PKlPlN2at6native12_GLOBAL__N_18offset_tEEE10hipError_tPvRmT1_PNSt15iterator_traitsIS13_E10value_typeET2_T3_PNS14_IS19_E10value_typeET4_jRbjT5_S1F_jjP12ihipStream_tbEUljE_ZNSN_ISO_Lb1ESR_SS_SU_SV_SZ_EES10_S11_S12_S13_S17_S18_S19_S1C_S1D_jS1E_jS1F_S1F_jjS1H_bEUljE0_EEES10_S11_S12_S19_S1D_S1F_T6_T7_T9_mT8_S1H_bDpT10_ENKUlT_T0_E_clISt17integral_constantIbLb0EES1V_EEDaS1Q_S1R_EUlS1Q_E_NS1_11comp_targetILNS1_3genE10ELNS1_11target_archE1200ELNS1_3gpuE4ELNS1_3repE0EEENS1_30default_config_static_selectorELNS0_4arch9wavefront6targetE1EEEvS13_.kd
    .uniform_work_group_size: 1
    .uses_dynamic_stack: false
    .vgpr_count:     0
    .vgpr_spill_count: 0
    .wavefront_size: 64
  - .args:
      - .offset:         0
        .size:           176
        .value_kind:     by_value
    .group_segment_fixed_size: 0
    .kernarg_segment_align: 8
    .kernarg_segment_size: 176
    .language:       OpenCL C
    .language_version:
      - 2
      - 0
    .max_flat_workgroup_size: 256
    .name:           _ZN7rocprim17ROCPRIM_400000_NS6detail17trampoline_kernelINS0_13select_configILj256ELj13ELNS0_17block_load_methodE3ELS4_3ELS4_3ELNS0_20block_scan_algorithmE0ELj4294967295EEENS1_25partition_config_selectorILNS1_17partition_subalgoE4EjNS0_10empty_typeEbEEZZNS1_14partition_implILS8_4ELb0ES6_15HIP_vector_typeIjLj2EENS0_17counting_iteratorIjlEEPS9_SG_NS0_5tupleIJPjSI_NS0_16reverse_iteratorISI_EEEEENSH_IJSG_SG_SG_EEES9_SI_JZNS1_25segmented_radix_sort_implINS0_14default_configELb1EPK6__halfPSP_PKlPlN2at6native12_GLOBAL__N_18offset_tEEE10hipError_tPvRmT1_PNSt15iterator_traitsIS13_E10value_typeET2_T3_PNS14_IS19_E10value_typeET4_jRbjT5_S1F_jjP12ihipStream_tbEUljE_ZNSN_ISO_Lb1ESR_SS_SU_SV_SZ_EES10_S11_S12_S13_S17_S18_S19_S1C_S1D_jS1E_jS1F_S1F_jjS1H_bEUljE0_EEES10_S11_S12_S19_S1D_S1F_T6_T7_T9_mT8_S1H_bDpT10_ENKUlT_T0_E_clISt17integral_constantIbLb0EES1V_EEDaS1Q_S1R_EUlS1Q_E_NS1_11comp_targetILNS1_3genE9ELNS1_11target_archE1100ELNS1_3gpuE3ELNS1_3repE0EEENS1_30default_config_static_selectorELNS0_4arch9wavefront6targetE1EEEvS13_
    .private_segment_fixed_size: 0
    .sgpr_count:     4
    .sgpr_spill_count: 0
    .symbol:         _ZN7rocprim17ROCPRIM_400000_NS6detail17trampoline_kernelINS0_13select_configILj256ELj13ELNS0_17block_load_methodE3ELS4_3ELS4_3ELNS0_20block_scan_algorithmE0ELj4294967295EEENS1_25partition_config_selectorILNS1_17partition_subalgoE4EjNS0_10empty_typeEbEEZZNS1_14partition_implILS8_4ELb0ES6_15HIP_vector_typeIjLj2EENS0_17counting_iteratorIjlEEPS9_SG_NS0_5tupleIJPjSI_NS0_16reverse_iteratorISI_EEEEENSH_IJSG_SG_SG_EEES9_SI_JZNS1_25segmented_radix_sort_implINS0_14default_configELb1EPK6__halfPSP_PKlPlN2at6native12_GLOBAL__N_18offset_tEEE10hipError_tPvRmT1_PNSt15iterator_traitsIS13_E10value_typeET2_T3_PNS14_IS19_E10value_typeET4_jRbjT5_S1F_jjP12ihipStream_tbEUljE_ZNSN_ISO_Lb1ESR_SS_SU_SV_SZ_EES10_S11_S12_S13_S17_S18_S19_S1C_S1D_jS1E_jS1F_S1F_jjS1H_bEUljE0_EEES10_S11_S12_S19_S1D_S1F_T6_T7_T9_mT8_S1H_bDpT10_ENKUlT_T0_E_clISt17integral_constantIbLb0EES1V_EEDaS1Q_S1R_EUlS1Q_E_NS1_11comp_targetILNS1_3genE9ELNS1_11target_archE1100ELNS1_3gpuE3ELNS1_3repE0EEENS1_30default_config_static_selectorELNS0_4arch9wavefront6targetE1EEEvS13_.kd
    .uniform_work_group_size: 1
    .uses_dynamic_stack: false
    .vgpr_count:     0
    .vgpr_spill_count: 0
    .wavefront_size: 64
  - .args:
      - .offset:         0
        .size:           176
        .value_kind:     by_value
    .group_segment_fixed_size: 0
    .kernarg_segment_align: 8
    .kernarg_segment_size: 176
    .language:       OpenCL C
    .language_version:
      - 2
      - 0
    .max_flat_workgroup_size: 256
    .name:           _ZN7rocprim17ROCPRIM_400000_NS6detail17trampoline_kernelINS0_13select_configILj256ELj13ELNS0_17block_load_methodE3ELS4_3ELS4_3ELNS0_20block_scan_algorithmE0ELj4294967295EEENS1_25partition_config_selectorILNS1_17partition_subalgoE4EjNS0_10empty_typeEbEEZZNS1_14partition_implILS8_4ELb0ES6_15HIP_vector_typeIjLj2EENS0_17counting_iteratorIjlEEPS9_SG_NS0_5tupleIJPjSI_NS0_16reverse_iteratorISI_EEEEENSH_IJSG_SG_SG_EEES9_SI_JZNS1_25segmented_radix_sort_implINS0_14default_configELb1EPK6__halfPSP_PKlPlN2at6native12_GLOBAL__N_18offset_tEEE10hipError_tPvRmT1_PNSt15iterator_traitsIS13_E10value_typeET2_T3_PNS14_IS19_E10value_typeET4_jRbjT5_S1F_jjP12ihipStream_tbEUljE_ZNSN_ISO_Lb1ESR_SS_SU_SV_SZ_EES10_S11_S12_S13_S17_S18_S19_S1C_S1D_jS1E_jS1F_S1F_jjS1H_bEUljE0_EEES10_S11_S12_S19_S1D_S1F_T6_T7_T9_mT8_S1H_bDpT10_ENKUlT_T0_E_clISt17integral_constantIbLb0EES1V_EEDaS1Q_S1R_EUlS1Q_E_NS1_11comp_targetILNS1_3genE8ELNS1_11target_archE1030ELNS1_3gpuE2ELNS1_3repE0EEENS1_30default_config_static_selectorELNS0_4arch9wavefront6targetE1EEEvS13_
    .private_segment_fixed_size: 0
    .sgpr_count:     4
    .sgpr_spill_count: 0
    .symbol:         _ZN7rocprim17ROCPRIM_400000_NS6detail17trampoline_kernelINS0_13select_configILj256ELj13ELNS0_17block_load_methodE3ELS4_3ELS4_3ELNS0_20block_scan_algorithmE0ELj4294967295EEENS1_25partition_config_selectorILNS1_17partition_subalgoE4EjNS0_10empty_typeEbEEZZNS1_14partition_implILS8_4ELb0ES6_15HIP_vector_typeIjLj2EENS0_17counting_iteratorIjlEEPS9_SG_NS0_5tupleIJPjSI_NS0_16reverse_iteratorISI_EEEEENSH_IJSG_SG_SG_EEES9_SI_JZNS1_25segmented_radix_sort_implINS0_14default_configELb1EPK6__halfPSP_PKlPlN2at6native12_GLOBAL__N_18offset_tEEE10hipError_tPvRmT1_PNSt15iterator_traitsIS13_E10value_typeET2_T3_PNS14_IS19_E10value_typeET4_jRbjT5_S1F_jjP12ihipStream_tbEUljE_ZNSN_ISO_Lb1ESR_SS_SU_SV_SZ_EES10_S11_S12_S13_S17_S18_S19_S1C_S1D_jS1E_jS1F_S1F_jjS1H_bEUljE0_EEES10_S11_S12_S19_S1D_S1F_T6_T7_T9_mT8_S1H_bDpT10_ENKUlT_T0_E_clISt17integral_constantIbLb0EES1V_EEDaS1Q_S1R_EUlS1Q_E_NS1_11comp_targetILNS1_3genE8ELNS1_11target_archE1030ELNS1_3gpuE2ELNS1_3repE0EEENS1_30default_config_static_selectorELNS0_4arch9wavefront6targetE1EEEvS13_.kd
    .uniform_work_group_size: 1
    .uses_dynamic_stack: false
    .vgpr_count:     0
    .vgpr_spill_count: 0
    .wavefront_size: 64
  - .args:
      - .offset:         0
        .size:           184
        .value_kind:     by_value
    .group_segment_fixed_size: 0
    .kernarg_segment_align: 8
    .kernarg_segment_size: 184
    .language:       OpenCL C
    .language_version:
      - 2
      - 0
    .max_flat_workgroup_size: 256
    .name:           _ZN7rocprim17ROCPRIM_400000_NS6detail17trampoline_kernelINS0_13select_configILj256ELj13ELNS0_17block_load_methodE3ELS4_3ELS4_3ELNS0_20block_scan_algorithmE0ELj4294967295EEENS1_25partition_config_selectorILNS1_17partition_subalgoE4EjNS0_10empty_typeEbEEZZNS1_14partition_implILS8_4ELb0ES6_15HIP_vector_typeIjLj2EENS0_17counting_iteratorIjlEEPS9_SG_NS0_5tupleIJPjSI_NS0_16reverse_iteratorISI_EEEEENSH_IJSG_SG_SG_EEES9_SI_JZNS1_25segmented_radix_sort_implINS0_14default_configELb1EPK6__halfPSP_PKlPlN2at6native12_GLOBAL__N_18offset_tEEE10hipError_tPvRmT1_PNSt15iterator_traitsIS13_E10value_typeET2_T3_PNS14_IS19_E10value_typeET4_jRbjT5_S1F_jjP12ihipStream_tbEUljE_ZNSN_ISO_Lb1ESR_SS_SU_SV_SZ_EES10_S11_S12_S13_S17_S18_S19_S1C_S1D_jS1E_jS1F_S1F_jjS1H_bEUljE0_EEES10_S11_S12_S19_S1D_S1F_T6_T7_T9_mT8_S1H_bDpT10_ENKUlT_T0_E_clISt17integral_constantIbLb1EES1V_EEDaS1Q_S1R_EUlS1Q_E_NS1_11comp_targetILNS1_3genE0ELNS1_11target_archE4294967295ELNS1_3gpuE0ELNS1_3repE0EEENS1_30default_config_static_selectorELNS0_4arch9wavefront6targetE1EEEvS13_
    .private_segment_fixed_size: 0
    .sgpr_count:     4
    .sgpr_spill_count: 0
    .symbol:         _ZN7rocprim17ROCPRIM_400000_NS6detail17trampoline_kernelINS0_13select_configILj256ELj13ELNS0_17block_load_methodE3ELS4_3ELS4_3ELNS0_20block_scan_algorithmE0ELj4294967295EEENS1_25partition_config_selectorILNS1_17partition_subalgoE4EjNS0_10empty_typeEbEEZZNS1_14partition_implILS8_4ELb0ES6_15HIP_vector_typeIjLj2EENS0_17counting_iteratorIjlEEPS9_SG_NS0_5tupleIJPjSI_NS0_16reverse_iteratorISI_EEEEENSH_IJSG_SG_SG_EEES9_SI_JZNS1_25segmented_radix_sort_implINS0_14default_configELb1EPK6__halfPSP_PKlPlN2at6native12_GLOBAL__N_18offset_tEEE10hipError_tPvRmT1_PNSt15iterator_traitsIS13_E10value_typeET2_T3_PNS14_IS19_E10value_typeET4_jRbjT5_S1F_jjP12ihipStream_tbEUljE_ZNSN_ISO_Lb1ESR_SS_SU_SV_SZ_EES10_S11_S12_S13_S17_S18_S19_S1C_S1D_jS1E_jS1F_S1F_jjS1H_bEUljE0_EEES10_S11_S12_S19_S1D_S1F_T6_T7_T9_mT8_S1H_bDpT10_ENKUlT_T0_E_clISt17integral_constantIbLb1EES1V_EEDaS1Q_S1R_EUlS1Q_E_NS1_11comp_targetILNS1_3genE0ELNS1_11target_archE4294967295ELNS1_3gpuE0ELNS1_3repE0EEENS1_30default_config_static_selectorELNS0_4arch9wavefront6targetE1EEEvS13_.kd
    .uniform_work_group_size: 1
    .uses_dynamic_stack: false
    .vgpr_count:     0
    .vgpr_spill_count: 0
    .wavefront_size: 64
  - .args:
      - .offset:         0
        .size:           184
        .value_kind:     by_value
    .group_segment_fixed_size: 0
    .kernarg_segment_align: 8
    .kernarg_segment_size: 184
    .language:       OpenCL C
    .language_version:
      - 2
      - 0
    .max_flat_workgroup_size: 256
    .name:           _ZN7rocprim17ROCPRIM_400000_NS6detail17trampoline_kernelINS0_13select_configILj256ELj13ELNS0_17block_load_methodE3ELS4_3ELS4_3ELNS0_20block_scan_algorithmE0ELj4294967295EEENS1_25partition_config_selectorILNS1_17partition_subalgoE4EjNS0_10empty_typeEbEEZZNS1_14partition_implILS8_4ELb0ES6_15HIP_vector_typeIjLj2EENS0_17counting_iteratorIjlEEPS9_SG_NS0_5tupleIJPjSI_NS0_16reverse_iteratorISI_EEEEENSH_IJSG_SG_SG_EEES9_SI_JZNS1_25segmented_radix_sort_implINS0_14default_configELb1EPK6__halfPSP_PKlPlN2at6native12_GLOBAL__N_18offset_tEEE10hipError_tPvRmT1_PNSt15iterator_traitsIS13_E10value_typeET2_T3_PNS14_IS19_E10value_typeET4_jRbjT5_S1F_jjP12ihipStream_tbEUljE_ZNSN_ISO_Lb1ESR_SS_SU_SV_SZ_EES10_S11_S12_S13_S17_S18_S19_S1C_S1D_jS1E_jS1F_S1F_jjS1H_bEUljE0_EEES10_S11_S12_S19_S1D_S1F_T6_T7_T9_mT8_S1H_bDpT10_ENKUlT_T0_E_clISt17integral_constantIbLb1EES1V_EEDaS1Q_S1R_EUlS1Q_E_NS1_11comp_targetILNS1_3genE5ELNS1_11target_archE942ELNS1_3gpuE9ELNS1_3repE0EEENS1_30default_config_static_selectorELNS0_4arch9wavefront6targetE1EEEvS13_
    .private_segment_fixed_size: 0
    .sgpr_count:     4
    .sgpr_spill_count: 0
    .symbol:         _ZN7rocprim17ROCPRIM_400000_NS6detail17trampoline_kernelINS0_13select_configILj256ELj13ELNS0_17block_load_methodE3ELS4_3ELS4_3ELNS0_20block_scan_algorithmE0ELj4294967295EEENS1_25partition_config_selectorILNS1_17partition_subalgoE4EjNS0_10empty_typeEbEEZZNS1_14partition_implILS8_4ELb0ES6_15HIP_vector_typeIjLj2EENS0_17counting_iteratorIjlEEPS9_SG_NS0_5tupleIJPjSI_NS0_16reverse_iteratorISI_EEEEENSH_IJSG_SG_SG_EEES9_SI_JZNS1_25segmented_radix_sort_implINS0_14default_configELb1EPK6__halfPSP_PKlPlN2at6native12_GLOBAL__N_18offset_tEEE10hipError_tPvRmT1_PNSt15iterator_traitsIS13_E10value_typeET2_T3_PNS14_IS19_E10value_typeET4_jRbjT5_S1F_jjP12ihipStream_tbEUljE_ZNSN_ISO_Lb1ESR_SS_SU_SV_SZ_EES10_S11_S12_S13_S17_S18_S19_S1C_S1D_jS1E_jS1F_S1F_jjS1H_bEUljE0_EEES10_S11_S12_S19_S1D_S1F_T6_T7_T9_mT8_S1H_bDpT10_ENKUlT_T0_E_clISt17integral_constantIbLb1EES1V_EEDaS1Q_S1R_EUlS1Q_E_NS1_11comp_targetILNS1_3genE5ELNS1_11target_archE942ELNS1_3gpuE9ELNS1_3repE0EEENS1_30default_config_static_selectorELNS0_4arch9wavefront6targetE1EEEvS13_.kd
    .uniform_work_group_size: 1
    .uses_dynamic_stack: false
    .vgpr_count:     0
    .vgpr_spill_count: 0
    .wavefront_size: 64
  - .args:
      - .offset:         0
        .size:           184
        .value_kind:     by_value
    .group_segment_fixed_size: 0
    .kernarg_segment_align: 8
    .kernarg_segment_size: 184
    .language:       OpenCL C
    .language_version:
      - 2
      - 0
    .max_flat_workgroup_size: 256
    .name:           _ZN7rocprim17ROCPRIM_400000_NS6detail17trampoline_kernelINS0_13select_configILj256ELj13ELNS0_17block_load_methodE3ELS4_3ELS4_3ELNS0_20block_scan_algorithmE0ELj4294967295EEENS1_25partition_config_selectorILNS1_17partition_subalgoE4EjNS0_10empty_typeEbEEZZNS1_14partition_implILS8_4ELb0ES6_15HIP_vector_typeIjLj2EENS0_17counting_iteratorIjlEEPS9_SG_NS0_5tupleIJPjSI_NS0_16reverse_iteratorISI_EEEEENSH_IJSG_SG_SG_EEES9_SI_JZNS1_25segmented_radix_sort_implINS0_14default_configELb1EPK6__halfPSP_PKlPlN2at6native12_GLOBAL__N_18offset_tEEE10hipError_tPvRmT1_PNSt15iterator_traitsIS13_E10value_typeET2_T3_PNS14_IS19_E10value_typeET4_jRbjT5_S1F_jjP12ihipStream_tbEUljE_ZNSN_ISO_Lb1ESR_SS_SU_SV_SZ_EES10_S11_S12_S13_S17_S18_S19_S1C_S1D_jS1E_jS1F_S1F_jjS1H_bEUljE0_EEES10_S11_S12_S19_S1D_S1F_T6_T7_T9_mT8_S1H_bDpT10_ENKUlT_T0_E_clISt17integral_constantIbLb1EES1V_EEDaS1Q_S1R_EUlS1Q_E_NS1_11comp_targetILNS1_3genE4ELNS1_11target_archE910ELNS1_3gpuE8ELNS1_3repE0EEENS1_30default_config_static_selectorELNS0_4arch9wavefront6targetE1EEEvS13_
    .private_segment_fixed_size: 0
    .sgpr_count:     4
    .sgpr_spill_count: 0
    .symbol:         _ZN7rocprim17ROCPRIM_400000_NS6detail17trampoline_kernelINS0_13select_configILj256ELj13ELNS0_17block_load_methodE3ELS4_3ELS4_3ELNS0_20block_scan_algorithmE0ELj4294967295EEENS1_25partition_config_selectorILNS1_17partition_subalgoE4EjNS0_10empty_typeEbEEZZNS1_14partition_implILS8_4ELb0ES6_15HIP_vector_typeIjLj2EENS0_17counting_iteratorIjlEEPS9_SG_NS0_5tupleIJPjSI_NS0_16reverse_iteratorISI_EEEEENSH_IJSG_SG_SG_EEES9_SI_JZNS1_25segmented_radix_sort_implINS0_14default_configELb1EPK6__halfPSP_PKlPlN2at6native12_GLOBAL__N_18offset_tEEE10hipError_tPvRmT1_PNSt15iterator_traitsIS13_E10value_typeET2_T3_PNS14_IS19_E10value_typeET4_jRbjT5_S1F_jjP12ihipStream_tbEUljE_ZNSN_ISO_Lb1ESR_SS_SU_SV_SZ_EES10_S11_S12_S13_S17_S18_S19_S1C_S1D_jS1E_jS1F_S1F_jjS1H_bEUljE0_EEES10_S11_S12_S19_S1D_S1F_T6_T7_T9_mT8_S1H_bDpT10_ENKUlT_T0_E_clISt17integral_constantIbLb1EES1V_EEDaS1Q_S1R_EUlS1Q_E_NS1_11comp_targetILNS1_3genE4ELNS1_11target_archE910ELNS1_3gpuE8ELNS1_3repE0EEENS1_30default_config_static_selectorELNS0_4arch9wavefront6targetE1EEEvS13_.kd
    .uniform_work_group_size: 1
    .uses_dynamic_stack: false
    .vgpr_count:     0
    .vgpr_spill_count: 0
    .wavefront_size: 64
  - .args:
      - .offset:         0
        .size:           184
        .value_kind:     by_value
    .group_segment_fixed_size: 0
    .kernarg_segment_align: 8
    .kernarg_segment_size: 184
    .language:       OpenCL C
    .language_version:
      - 2
      - 0
    .max_flat_workgroup_size: 256
    .name:           _ZN7rocprim17ROCPRIM_400000_NS6detail17trampoline_kernelINS0_13select_configILj256ELj13ELNS0_17block_load_methodE3ELS4_3ELS4_3ELNS0_20block_scan_algorithmE0ELj4294967295EEENS1_25partition_config_selectorILNS1_17partition_subalgoE4EjNS0_10empty_typeEbEEZZNS1_14partition_implILS8_4ELb0ES6_15HIP_vector_typeIjLj2EENS0_17counting_iteratorIjlEEPS9_SG_NS0_5tupleIJPjSI_NS0_16reverse_iteratorISI_EEEEENSH_IJSG_SG_SG_EEES9_SI_JZNS1_25segmented_radix_sort_implINS0_14default_configELb1EPK6__halfPSP_PKlPlN2at6native12_GLOBAL__N_18offset_tEEE10hipError_tPvRmT1_PNSt15iterator_traitsIS13_E10value_typeET2_T3_PNS14_IS19_E10value_typeET4_jRbjT5_S1F_jjP12ihipStream_tbEUljE_ZNSN_ISO_Lb1ESR_SS_SU_SV_SZ_EES10_S11_S12_S13_S17_S18_S19_S1C_S1D_jS1E_jS1F_S1F_jjS1H_bEUljE0_EEES10_S11_S12_S19_S1D_S1F_T6_T7_T9_mT8_S1H_bDpT10_ENKUlT_T0_E_clISt17integral_constantIbLb1EES1V_EEDaS1Q_S1R_EUlS1Q_E_NS1_11comp_targetILNS1_3genE3ELNS1_11target_archE908ELNS1_3gpuE7ELNS1_3repE0EEENS1_30default_config_static_selectorELNS0_4arch9wavefront6targetE1EEEvS13_
    .private_segment_fixed_size: 0
    .sgpr_count:     4
    .sgpr_spill_count: 0
    .symbol:         _ZN7rocprim17ROCPRIM_400000_NS6detail17trampoline_kernelINS0_13select_configILj256ELj13ELNS0_17block_load_methodE3ELS4_3ELS4_3ELNS0_20block_scan_algorithmE0ELj4294967295EEENS1_25partition_config_selectorILNS1_17partition_subalgoE4EjNS0_10empty_typeEbEEZZNS1_14partition_implILS8_4ELb0ES6_15HIP_vector_typeIjLj2EENS0_17counting_iteratorIjlEEPS9_SG_NS0_5tupleIJPjSI_NS0_16reverse_iteratorISI_EEEEENSH_IJSG_SG_SG_EEES9_SI_JZNS1_25segmented_radix_sort_implINS0_14default_configELb1EPK6__halfPSP_PKlPlN2at6native12_GLOBAL__N_18offset_tEEE10hipError_tPvRmT1_PNSt15iterator_traitsIS13_E10value_typeET2_T3_PNS14_IS19_E10value_typeET4_jRbjT5_S1F_jjP12ihipStream_tbEUljE_ZNSN_ISO_Lb1ESR_SS_SU_SV_SZ_EES10_S11_S12_S13_S17_S18_S19_S1C_S1D_jS1E_jS1F_S1F_jjS1H_bEUljE0_EEES10_S11_S12_S19_S1D_S1F_T6_T7_T9_mT8_S1H_bDpT10_ENKUlT_T0_E_clISt17integral_constantIbLb1EES1V_EEDaS1Q_S1R_EUlS1Q_E_NS1_11comp_targetILNS1_3genE3ELNS1_11target_archE908ELNS1_3gpuE7ELNS1_3repE0EEENS1_30default_config_static_selectorELNS0_4arch9wavefront6targetE1EEEvS13_.kd
    .uniform_work_group_size: 1
    .uses_dynamic_stack: false
    .vgpr_count:     0
    .vgpr_spill_count: 0
    .wavefront_size: 64
  - .args:
      - .offset:         0
        .size:           184
        .value_kind:     by_value
    .group_segment_fixed_size: 0
    .kernarg_segment_align: 8
    .kernarg_segment_size: 184
    .language:       OpenCL C
    .language_version:
      - 2
      - 0
    .max_flat_workgroup_size: 256
    .name:           _ZN7rocprim17ROCPRIM_400000_NS6detail17trampoline_kernelINS0_13select_configILj256ELj13ELNS0_17block_load_methodE3ELS4_3ELS4_3ELNS0_20block_scan_algorithmE0ELj4294967295EEENS1_25partition_config_selectorILNS1_17partition_subalgoE4EjNS0_10empty_typeEbEEZZNS1_14partition_implILS8_4ELb0ES6_15HIP_vector_typeIjLj2EENS0_17counting_iteratorIjlEEPS9_SG_NS0_5tupleIJPjSI_NS0_16reverse_iteratorISI_EEEEENSH_IJSG_SG_SG_EEES9_SI_JZNS1_25segmented_radix_sort_implINS0_14default_configELb1EPK6__halfPSP_PKlPlN2at6native12_GLOBAL__N_18offset_tEEE10hipError_tPvRmT1_PNSt15iterator_traitsIS13_E10value_typeET2_T3_PNS14_IS19_E10value_typeET4_jRbjT5_S1F_jjP12ihipStream_tbEUljE_ZNSN_ISO_Lb1ESR_SS_SU_SV_SZ_EES10_S11_S12_S13_S17_S18_S19_S1C_S1D_jS1E_jS1F_S1F_jjS1H_bEUljE0_EEES10_S11_S12_S19_S1D_S1F_T6_T7_T9_mT8_S1H_bDpT10_ENKUlT_T0_E_clISt17integral_constantIbLb1EES1V_EEDaS1Q_S1R_EUlS1Q_E_NS1_11comp_targetILNS1_3genE2ELNS1_11target_archE906ELNS1_3gpuE6ELNS1_3repE0EEENS1_30default_config_static_selectorELNS0_4arch9wavefront6targetE1EEEvS13_
    .private_segment_fixed_size: 0
    .sgpr_count:     4
    .sgpr_spill_count: 0
    .symbol:         _ZN7rocprim17ROCPRIM_400000_NS6detail17trampoline_kernelINS0_13select_configILj256ELj13ELNS0_17block_load_methodE3ELS4_3ELS4_3ELNS0_20block_scan_algorithmE0ELj4294967295EEENS1_25partition_config_selectorILNS1_17partition_subalgoE4EjNS0_10empty_typeEbEEZZNS1_14partition_implILS8_4ELb0ES6_15HIP_vector_typeIjLj2EENS0_17counting_iteratorIjlEEPS9_SG_NS0_5tupleIJPjSI_NS0_16reverse_iteratorISI_EEEEENSH_IJSG_SG_SG_EEES9_SI_JZNS1_25segmented_radix_sort_implINS0_14default_configELb1EPK6__halfPSP_PKlPlN2at6native12_GLOBAL__N_18offset_tEEE10hipError_tPvRmT1_PNSt15iterator_traitsIS13_E10value_typeET2_T3_PNS14_IS19_E10value_typeET4_jRbjT5_S1F_jjP12ihipStream_tbEUljE_ZNSN_ISO_Lb1ESR_SS_SU_SV_SZ_EES10_S11_S12_S13_S17_S18_S19_S1C_S1D_jS1E_jS1F_S1F_jjS1H_bEUljE0_EEES10_S11_S12_S19_S1D_S1F_T6_T7_T9_mT8_S1H_bDpT10_ENKUlT_T0_E_clISt17integral_constantIbLb1EES1V_EEDaS1Q_S1R_EUlS1Q_E_NS1_11comp_targetILNS1_3genE2ELNS1_11target_archE906ELNS1_3gpuE6ELNS1_3repE0EEENS1_30default_config_static_selectorELNS0_4arch9wavefront6targetE1EEEvS13_.kd
    .uniform_work_group_size: 1
    .uses_dynamic_stack: false
    .vgpr_count:     0
    .vgpr_spill_count: 0
    .wavefront_size: 64
  - .args:
      - .offset:         0
        .size:           184
        .value_kind:     by_value
    .group_segment_fixed_size: 0
    .kernarg_segment_align: 8
    .kernarg_segment_size: 184
    .language:       OpenCL C
    .language_version:
      - 2
      - 0
    .max_flat_workgroup_size: 256
    .name:           _ZN7rocprim17ROCPRIM_400000_NS6detail17trampoline_kernelINS0_13select_configILj256ELj13ELNS0_17block_load_methodE3ELS4_3ELS4_3ELNS0_20block_scan_algorithmE0ELj4294967295EEENS1_25partition_config_selectorILNS1_17partition_subalgoE4EjNS0_10empty_typeEbEEZZNS1_14partition_implILS8_4ELb0ES6_15HIP_vector_typeIjLj2EENS0_17counting_iteratorIjlEEPS9_SG_NS0_5tupleIJPjSI_NS0_16reverse_iteratorISI_EEEEENSH_IJSG_SG_SG_EEES9_SI_JZNS1_25segmented_radix_sort_implINS0_14default_configELb1EPK6__halfPSP_PKlPlN2at6native12_GLOBAL__N_18offset_tEEE10hipError_tPvRmT1_PNSt15iterator_traitsIS13_E10value_typeET2_T3_PNS14_IS19_E10value_typeET4_jRbjT5_S1F_jjP12ihipStream_tbEUljE_ZNSN_ISO_Lb1ESR_SS_SU_SV_SZ_EES10_S11_S12_S13_S17_S18_S19_S1C_S1D_jS1E_jS1F_S1F_jjS1H_bEUljE0_EEES10_S11_S12_S19_S1D_S1F_T6_T7_T9_mT8_S1H_bDpT10_ENKUlT_T0_E_clISt17integral_constantIbLb1EES1V_EEDaS1Q_S1R_EUlS1Q_E_NS1_11comp_targetILNS1_3genE10ELNS1_11target_archE1200ELNS1_3gpuE4ELNS1_3repE0EEENS1_30default_config_static_selectorELNS0_4arch9wavefront6targetE1EEEvS13_
    .private_segment_fixed_size: 0
    .sgpr_count:     4
    .sgpr_spill_count: 0
    .symbol:         _ZN7rocprim17ROCPRIM_400000_NS6detail17trampoline_kernelINS0_13select_configILj256ELj13ELNS0_17block_load_methodE3ELS4_3ELS4_3ELNS0_20block_scan_algorithmE0ELj4294967295EEENS1_25partition_config_selectorILNS1_17partition_subalgoE4EjNS0_10empty_typeEbEEZZNS1_14partition_implILS8_4ELb0ES6_15HIP_vector_typeIjLj2EENS0_17counting_iteratorIjlEEPS9_SG_NS0_5tupleIJPjSI_NS0_16reverse_iteratorISI_EEEEENSH_IJSG_SG_SG_EEES9_SI_JZNS1_25segmented_radix_sort_implINS0_14default_configELb1EPK6__halfPSP_PKlPlN2at6native12_GLOBAL__N_18offset_tEEE10hipError_tPvRmT1_PNSt15iterator_traitsIS13_E10value_typeET2_T3_PNS14_IS19_E10value_typeET4_jRbjT5_S1F_jjP12ihipStream_tbEUljE_ZNSN_ISO_Lb1ESR_SS_SU_SV_SZ_EES10_S11_S12_S13_S17_S18_S19_S1C_S1D_jS1E_jS1F_S1F_jjS1H_bEUljE0_EEES10_S11_S12_S19_S1D_S1F_T6_T7_T9_mT8_S1H_bDpT10_ENKUlT_T0_E_clISt17integral_constantIbLb1EES1V_EEDaS1Q_S1R_EUlS1Q_E_NS1_11comp_targetILNS1_3genE10ELNS1_11target_archE1200ELNS1_3gpuE4ELNS1_3repE0EEENS1_30default_config_static_selectorELNS0_4arch9wavefront6targetE1EEEvS13_.kd
    .uniform_work_group_size: 1
    .uses_dynamic_stack: false
    .vgpr_count:     0
    .vgpr_spill_count: 0
    .wavefront_size: 64
  - .args:
      - .offset:         0
        .size:           184
        .value_kind:     by_value
    .group_segment_fixed_size: 0
    .kernarg_segment_align: 8
    .kernarg_segment_size: 184
    .language:       OpenCL C
    .language_version:
      - 2
      - 0
    .max_flat_workgroup_size: 256
    .name:           _ZN7rocprim17ROCPRIM_400000_NS6detail17trampoline_kernelINS0_13select_configILj256ELj13ELNS0_17block_load_methodE3ELS4_3ELS4_3ELNS0_20block_scan_algorithmE0ELj4294967295EEENS1_25partition_config_selectorILNS1_17partition_subalgoE4EjNS0_10empty_typeEbEEZZNS1_14partition_implILS8_4ELb0ES6_15HIP_vector_typeIjLj2EENS0_17counting_iteratorIjlEEPS9_SG_NS0_5tupleIJPjSI_NS0_16reverse_iteratorISI_EEEEENSH_IJSG_SG_SG_EEES9_SI_JZNS1_25segmented_radix_sort_implINS0_14default_configELb1EPK6__halfPSP_PKlPlN2at6native12_GLOBAL__N_18offset_tEEE10hipError_tPvRmT1_PNSt15iterator_traitsIS13_E10value_typeET2_T3_PNS14_IS19_E10value_typeET4_jRbjT5_S1F_jjP12ihipStream_tbEUljE_ZNSN_ISO_Lb1ESR_SS_SU_SV_SZ_EES10_S11_S12_S13_S17_S18_S19_S1C_S1D_jS1E_jS1F_S1F_jjS1H_bEUljE0_EEES10_S11_S12_S19_S1D_S1F_T6_T7_T9_mT8_S1H_bDpT10_ENKUlT_T0_E_clISt17integral_constantIbLb1EES1V_EEDaS1Q_S1R_EUlS1Q_E_NS1_11comp_targetILNS1_3genE9ELNS1_11target_archE1100ELNS1_3gpuE3ELNS1_3repE0EEENS1_30default_config_static_selectorELNS0_4arch9wavefront6targetE1EEEvS13_
    .private_segment_fixed_size: 0
    .sgpr_count:     4
    .sgpr_spill_count: 0
    .symbol:         _ZN7rocprim17ROCPRIM_400000_NS6detail17trampoline_kernelINS0_13select_configILj256ELj13ELNS0_17block_load_methodE3ELS4_3ELS4_3ELNS0_20block_scan_algorithmE0ELj4294967295EEENS1_25partition_config_selectorILNS1_17partition_subalgoE4EjNS0_10empty_typeEbEEZZNS1_14partition_implILS8_4ELb0ES6_15HIP_vector_typeIjLj2EENS0_17counting_iteratorIjlEEPS9_SG_NS0_5tupleIJPjSI_NS0_16reverse_iteratorISI_EEEEENSH_IJSG_SG_SG_EEES9_SI_JZNS1_25segmented_radix_sort_implINS0_14default_configELb1EPK6__halfPSP_PKlPlN2at6native12_GLOBAL__N_18offset_tEEE10hipError_tPvRmT1_PNSt15iterator_traitsIS13_E10value_typeET2_T3_PNS14_IS19_E10value_typeET4_jRbjT5_S1F_jjP12ihipStream_tbEUljE_ZNSN_ISO_Lb1ESR_SS_SU_SV_SZ_EES10_S11_S12_S13_S17_S18_S19_S1C_S1D_jS1E_jS1F_S1F_jjS1H_bEUljE0_EEES10_S11_S12_S19_S1D_S1F_T6_T7_T9_mT8_S1H_bDpT10_ENKUlT_T0_E_clISt17integral_constantIbLb1EES1V_EEDaS1Q_S1R_EUlS1Q_E_NS1_11comp_targetILNS1_3genE9ELNS1_11target_archE1100ELNS1_3gpuE3ELNS1_3repE0EEENS1_30default_config_static_selectorELNS0_4arch9wavefront6targetE1EEEvS13_.kd
    .uniform_work_group_size: 1
    .uses_dynamic_stack: false
    .vgpr_count:     0
    .vgpr_spill_count: 0
    .wavefront_size: 64
  - .args:
      - .offset:         0
        .size:           184
        .value_kind:     by_value
    .group_segment_fixed_size: 0
    .kernarg_segment_align: 8
    .kernarg_segment_size: 184
    .language:       OpenCL C
    .language_version:
      - 2
      - 0
    .max_flat_workgroup_size: 256
    .name:           _ZN7rocprim17ROCPRIM_400000_NS6detail17trampoline_kernelINS0_13select_configILj256ELj13ELNS0_17block_load_methodE3ELS4_3ELS4_3ELNS0_20block_scan_algorithmE0ELj4294967295EEENS1_25partition_config_selectorILNS1_17partition_subalgoE4EjNS0_10empty_typeEbEEZZNS1_14partition_implILS8_4ELb0ES6_15HIP_vector_typeIjLj2EENS0_17counting_iteratorIjlEEPS9_SG_NS0_5tupleIJPjSI_NS0_16reverse_iteratorISI_EEEEENSH_IJSG_SG_SG_EEES9_SI_JZNS1_25segmented_radix_sort_implINS0_14default_configELb1EPK6__halfPSP_PKlPlN2at6native12_GLOBAL__N_18offset_tEEE10hipError_tPvRmT1_PNSt15iterator_traitsIS13_E10value_typeET2_T3_PNS14_IS19_E10value_typeET4_jRbjT5_S1F_jjP12ihipStream_tbEUljE_ZNSN_ISO_Lb1ESR_SS_SU_SV_SZ_EES10_S11_S12_S13_S17_S18_S19_S1C_S1D_jS1E_jS1F_S1F_jjS1H_bEUljE0_EEES10_S11_S12_S19_S1D_S1F_T6_T7_T9_mT8_S1H_bDpT10_ENKUlT_T0_E_clISt17integral_constantIbLb1EES1V_EEDaS1Q_S1R_EUlS1Q_E_NS1_11comp_targetILNS1_3genE8ELNS1_11target_archE1030ELNS1_3gpuE2ELNS1_3repE0EEENS1_30default_config_static_selectorELNS0_4arch9wavefront6targetE1EEEvS13_
    .private_segment_fixed_size: 0
    .sgpr_count:     4
    .sgpr_spill_count: 0
    .symbol:         _ZN7rocprim17ROCPRIM_400000_NS6detail17trampoline_kernelINS0_13select_configILj256ELj13ELNS0_17block_load_methodE3ELS4_3ELS4_3ELNS0_20block_scan_algorithmE0ELj4294967295EEENS1_25partition_config_selectorILNS1_17partition_subalgoE4EjNS0_10empty_typeEbEEZZNS1_14partition_implILS8_4ELb0ES6_15HIP_vector_typeIjLj2EENS0_17counting_iteratorIjlEEPS9_SG_NS0_5tupleIJPjSI_NS0_16reverse_iteratorISI_EEEEENSH_IJSG_SG_SG_EEES9_SI_JZNS1_25segmented_radix_sort_implINS0_14default_configELb1EPK6__halfPSP_PKlPlN2at6native12_GLOBAL__N_18offset_tEEE10hipError_tPvRmT1_PNSt15iterator_traitsIS13_E10value_typeET2_T3_PNS14_IS19_E10value_typeET4_jRbjT5_S1F_jjP12ihipStream_tbEUljE_ZNSN_ISO_Lb1ESR_SS_SU_SV_SZ_EES10_S11_S12_S13_S17_S18_S19_S1C_S1D_jS1E_jS1F_S1F_jjS1H_bEUljE0_EEES10_S11_S12_S19_S1D_S1F_T6_T7_T9_mT8_S1H_bDpT10_ENKUlT_T0_E_clISt17integral_constantIbLb1EES1V_EEDaS1Q_S1R_EUlS1Q_E_NS1_11comp_targetILNS1_3genE8ELNS1_11target_archE1030ELNS1_3gpuE2ELNS1_3repE0EEENS1_30default_config_static_selectorELNS0_4arch9wavefront6targetE1EEEvS13_.kd
    .uniform_work_group_size: 1
    .uses_dynamic_stack: false
    .vgpr_count:     0
    .vgpr_spill_count: 0
    .wavefront_size: 64
  - .args:
      - .offset:         0
        .size:           176
        .value_kind:     by_value
    .group_segment_fixed_size: 0
    .kernarg_segment_align: 8
    .kernarg_segment_size: 176
    .language:       OpenCL C
    .language_version:
      - 2
      - 0
    .max_flat_workgroup_size: 256
    .name:           _ZN7rocprim17ROCPRIM_400000_NS6detail17trampoline_kernelINS0_13select_configILj256ELj13ELNS0_17block_load_methodE3ELS4_3ELS4_3ELNS0_20block_scan_algorithmE0ELj4294967295EEENS1_25partition_config_selectorILNS1_17partition_subalgoE4EjNS0_10empty_typeEbEEZZNS1_14partition_implILS8_4ELb0ES6_15HIP_vector_typeIjLj2EENS0_17counting_iteratorIjlEEPS9_SG_NS0_5tupleIJPjSI_NS0_16reverse_iteratorISI_EEEEENSH_IJSG_SG_SG_EEES9_SI_JZNS1_25segmented_radix_sort_implINS0_14default_configELb1EPK6__halfPSP_PKlPlN2at6native12_GLOBAL__N_18offset_tEEE10hipError_tPvRmT1_PNSt15iterator_traitsIS13_E10value_typeET2_T3_PNS14_IS19_E10value_typeET4_jRbjT5_S1F_jjP12ihipStream_tbEUljE_ZNSN_ISO_Lb1ESR_SS_SU_SV_SZ_EES10_S11_S12_S13_S17_S18_S19_S1C_S1D_jS1E_jS1F_S1F_jjS1H_bEUljE0_EEES10_S11_S12_S19_S1D_S1F_T6_T7_T9_mT8_S1H_bDpT10_ENKUlT_T0_E_clISt17integral_constantIbLb1EES1U_IbLb0EEEEDaS1Q_S1R_EUlS1Q_E_NS1_11comp_targetILNS1_3genE0ELNS1_11target_archE4294967295ELNS1_3gpuE0ELNS1_3repE0EEENS1_30default_config_static_selectorELNS0_4arch9wavefront6targetE1EEEvS13_
    .private_segment_fixed_size: 0
    .sgpr_count:     4
    .sgpr_spill_count: 0
    .symbol:         _ZN7rocprim17ROCPRIM_400000_NS6detail17trampoline_kernelINS0_13select_configILj256ELj13ELNS0_17block_load_methodE3ELS4_3ELS4_3ELNS0_20block_scan_algorithmE0ELj4294967295EEENS1_25partition_config_selectorILNS1_17partition_subalgoE4EjNS0_10empty_typeEbEEZZNS1_14partition_implILS8_4ELb0ES6_15HIP_vector_typeIjLj2EENS0_17counting_iteratorIjlEEPS9_SG_NS0_5tupleIJPjSI_NS0_16reverse_iteratorISI_EEEEENSH_IJSG_SG_SG_EEES9_SI_JZNS1_25segmented_radix_sort_implINS0_14default_configELb1EPK6__halfPSP_PKlPlN2at6native12_GLOBAL__N_18offset_tEEE10hipError_tPvRmT1_PNSt15iterator_traitsIS13_E10value_typeET2_T3_PNS14_IS19_E10value_typeET4_jRbjT5_S1F_jjP12ihipStream_tbEUljE_ZNSN_ISO_Lb1ESR_SS_SU_SV_SZ_EES10_S11_S12_S13_S17_S18_S19_S1C_S1D_jS1E_jS1F_S1F_jjS1H_bEUljE0_EEES10_S11_S12_S19_S1D_S1F_T6_T7_T9_mT8_S1H_bDpT10_ENKUlT_T0_E_clISt17integral_constantIbLb1EES1U_IbLb0EEEEDaS1Q_S1R_EUlS1Q_E_NS1_11comp_targetILNS1_3genE0ELNS1_11target_archE4294967295ELNS1_3gpuE0ELNS1_3repE0EEENS1_30default_config_static_selectorELNS0_4arch9wavefront6targetE1EEEvS13_.kd
    .uniform_work_group_size: 1
    .uses_dynamic_stack: false
    .vgpr_count:     0
    .vgpr_spill_count: 0
    .wavefront_size: 64
  - .args:
      - .offset:         0
        .size:           176
        .value_kind:     by_value
    .group_segment_fixed_size: 0
    .kernarg_segment_align: 8
    .kernarg_segment_size: 176
    .language:       OpenCL C
    .language_version:
      - 2
      - 0
    .max_flat_workgroup_size: 256
    .name:           _ZN7rocprim17ROCPRIM_400000_NS6detail17trampoline_kernelINS0_13select_configILj256ELj13ELNS0_17block_load_methodE3ELS4_3ELS4_3ELNS0_20block_scan_algorithmE0ELj4294967295EEENS1_25partition_config_selectorILNS1_17partition_subalgoE4EjNS0_10empty_typeEbEEZZNS1_14partition_implILS8_4ELb0ES6_15HIP_vector_typeIjLj2EENS0_17counting_iteratorIjlEEPS9_SG_NS0_5tupleIJPjSI_NS0_16reverse_iteratorISI_EEEEENSH_IJSG_SG_SG_EEES9_SI_JZNS1_25segmented_radix_sort_implINS0_14default_configELb1EPK6__halfPSP_PKlPlN2at6native12_GLOBAL__N_18offset_tEEE10hipError_tPvRmT1_PNSt15iterator_traitsIS13_E10value_typeET2_T3_PNS14_IS19_E10value_typeET4_jRbjT5_S1F_jjP12ihipStream_tbEUljE_ZNSN_ISO_Lb1ESR_SS_SU_SV_SZ_EES10_S11_S12_S13_S17_S18_S19_S1C_S1D_jS1E_jS1F_S1F_jjS1H_bEUljE0_EEES10_S11_S12_S19_S1D_S1F_T6_T7_T9_mT8_S1H_bDpT10_ENKUlT_T0_E_clISt17integral_constantIbLb1EES1U_IbLb0EEEEDaS1Q_S1R_EUlS1Q_E_NS1_11comp_targetILNS1_3genE5ELNS1_11target_archE942ELNS1_3gpuE9ELNS1_3repE0EEENS1_30default_config_static_selectorELNS0_4arch9wavefront6targetE1EEEvS13_
    .private_segment_fixed_size: 0
    .sgpr_count:     4
    .sgpr_spill_count: 0
    .symbol:         _ZN7rocprim17ROCPRIM_400000_NS6detail17trampoline_kernelINS0_13select_configILj256ELj13ELNS0_17block_load_methodE3ELS4_3ELS4_3ELNS0_20block_scan_algorithmE0ELj4294967295EEENS1_25partition_config_selectorILNS1_17partition_subalgoE4EjNS0_10empty_typeEbEEZZNS1_14partition_implILS8_4ELb0ES6_15HIP_vector_typeIjLj2EENS0_17counting_iteratorIjlEEPS9_SG_NS0_5tupleIJPjSI_NS0_16reverse_iteratorISI_EEEEENSH_IJSG_SG_SG_EEES9_SI_JZNS1_25segmented_radix_sort_implINS0_14default_configELb1EPK6__halfPSP_PKlPlN2at6native12_GLOBAL__N_18offset_tEEE10hipError_tPvRmT1_PNSt15iterator_traitsIS13_E10value_typeET2_T3_PNS14_IS19_E10value_typeET4_jRbjT5_S1F_jjP12ihipStream_tbEUljE_ZNSN_ISO_Lb1ESR_SS_SU_SV_SZ_EES10_S11_S12_S13_S17_S18_S19_S1C_S1D_jS1E_jS1F_S1F_jjS1H_bEUljE0_EEES10_S11_S12_S19_S1D_S1F_T6_T7_T9_mT8_S1H_bDpT10_ENKUlT_T0_E_clISt17integral_constantIbLb1EES1U_IbLb0EEEEDaS1Q_S1R_EUlS1Q_E_NS1_11comp_targetILNS1_3genE5ELNS1_11target_archE942ELNS1_3gpuE9ELNS1_3repE0EEENS1_30default_config_static_selectorELNS0_4arch9wavefront6targetE1EEEvS13_.kd
    .uniform_work_group_size: 1
    .uses_dynamic_stack: false
    .vgpr_count:     0
    .vgpr_spill_count: 0
    .wavefront_size: 64
  - .args:
      - .offset:         0
        .size:           176
        .value_kind:     by_value
    .group_segment_fixed_size: 0
    .kernarg_segment_align: 8
    .kernarg_segment_size: 176
    .language:       OpenCL C
    .language_version:
      - 2
      - 0
    .max_flat_workgroup_size: 256
    .name:           _ZN7rocprim17ROCPRIM_400000_NS6detail17trampoline_kernelINS0_13select_configILj256ELj13ELNS0_17block_load_methodE3ELS4_3ELS4_3ELNS0_20block_scan_algorithmE0ELj4294967295EEENS1_25partition_config_selectorILNS1_17partition_subalgoE4EjNS0_10empty_typeEbEEZZNS1_14partition_implILS8_4ELb0ES6_15HIP_vector_typeIjLj2EENS0_17counting_iteratorIjlEEPS9_SG_NS0_5tupleIJPjSI_NS0_16reverse_iteratorISI_EEEEENSH_IJSG_SG_SG_EEES9_SI_JZNS1_25segmented_radix_sort_implINS0_14default_configELb1EPK6__halfPSP_PKlPlN2at6native12_GLOBAL__N_18offset_tEEE10hipError_tPvRmT1_PNSt15iterator_traitsIS13_E10value_typeET2_T3_PNS14_IS19_E10value_typeET4_jRbjT5_S1F_jjP12ihipStream_tbEUljE_ZNSN_ISO_Lb1ESR_SS_SU_SV_SZ_EES10_S11_S12_S13_S17_S18_S19_S1C_S1D_jS1E_jS1F_S1F_jjS1H_bEUljE0_EEES10_S11_S12_S19_S1D_S1F_T6_T7_T9_mT8_S1H_bDpT10_ENKUlT_T0_E_clISt17integral_constantIbLb1EES1U_IbLb0EEEEDaS1Q_S1R_EUlS1Q_E_NS1_11comp_targetILNS1_3genE4ELNS1_11target_archE910ELNS1_3gpuE8ELNS1_3repE0EEENS1_30default_config_static_selectorELNS0_4arch9wavefront6targetE1EEEvS13_
    .private_segment_fixed_size: 0
    .sgpr_count:     4
    .sgpr_spill_count: 0
    .symbol:         _ZN7rocprim17ROCPRIM_400000_NS6detail17trampoline_kernelINS0_13select_configILj256ELj13ELNS0_17block_load_methodE3ELS4_3ELS4_3ELNS0_20block_scan_algorithmE0ELj4294967295EEENS1_25partition_config_selectorILNS1_17partition_subalgoE4EjNS0_10empty_typeEbEEZZNS1_14partition_implILS8_4ELb0ES6_15HIP_vector_typeIjLj2EENS0_17counting_iteratorIjlEEPS9_SG_NS0_5tupleIJPjSI_NS0_16reverse_iteratorISI_EEEEENSH_IJSG_SG_SG_EEES9_SI_JZNS1_25segmented_radix_sort_implINS0_14default_configELb1EPK6__halfPSP_PKlPlN2at6native12_GLOBAL__N_18offset_tEEE10hipError_tPvRmT1_PNSt15iterator_traitsIS13_E10value_typeET2_T3_PNS14_IS19_E10value_typeET4_jRbjT5_S1F_jjP12ihipStream_tbEUljE_ZNSN_ISO_Lb1ESR_SS_SU_SV_SZ_EES10_S11_S12_S13_S17_S18_S19_S1C_S1D_jS1E_jS1F_S1F_jjS1H_bEUljE0_EEES10_S11_S12_S19_S1D_S1F_T6_T7_T9_mT8_S1H_bDpT10_ENKUlT_T0_E_clISt17integral_constantIbLb1EES1U_IbLb0EEEEDaS1Q_S1R_EUlS1Q_E_NS1_11comp_targetILNS1_3genE4ELNS1_11target_archE910ELNS1_3gpuE8ELNS1_3repE0EEENS1_30default_config_static_selectorELNS0_4arch9wavefront6targetE1EEEvS13_.kd
    .uniform_work_group_size: 1
    .uses_dynamic_stack: false
    .vgpr_count:     0
    .vgpr_spill_count: 0
    .wavefront_size: 64
  - .args:
      - .offset:         0
        .size:           176
        .value_kind:     by_value
    .group_segment_fixed_size: 0
    .kernarg_segment_align: 8
    .kernarg_segment_size: 176
    .language:       OpenCL C
    .language_version:
      - 2
      - 0
    .max_flat_workgroup_size: 256
    .name:           _ZN7rocprim17ROCPRIM_400000_NS6detail17trampoline_kernelINS0_13select_configILj256ELj13ELNS0_17block_load_methodE3ELS4_3ELS4_3ELNS0_20block_scan_algorithmE0ELj4294967295EEENS1_25partition_config_selectorILNS1_17partition_subalgoE4EjNS0_10empty_typeEbEEZZNS1_14partition_implILS8_4ELb0ES6_15HIP_vector_typeIjLj2EENS0_17counting_iteratorIjlEEPS9_SG_NS0_5tupleIJPjSI_NS0_16reverse_iteratorISI_EEEEENSH_IJSG_SG_SG_EEES9_SI_JZNS1_25segmented_radix_sort_implINS0_14default_configELb1EPK6__halfPSP_PKlPlN2at6native12_GLOBAL__N_18offset_tEEE10hipError_tPvRmT1_PNSt15iterator_traitsIS13_E10value_typeET2_T3_PNS14_IS19_E10value_typeET4_jRbjT5_S1F_jjP12ihipStream_tbEUljE_ZNSN_ISO_Lb1ESR_SS_SU_SV_SZ_EES10_S11_S12_S13_S17_S18_S19_S1C_S1D_jS1E_jS1F_S1F_jjS1H_bEUljE0_EEES10_S11_S12_S19_S1D_S1F_T6_T7_T9_mT8_S1H_bDpT10_ENKUlT_T0_E_clISt17integral_constantIbLb1EES1U_IbLb0EEEEDaS1Q_S1R_EUlS1Q_E_NS1_11comp_targetILNS1_3genE3ELNS1_11target_archE908ELNS1_3gpuE7ELNS1_3repE0EEENS1_30default_config_static_selectorELNS0_4arch9wavefront6targetE1EEEvS13_
    .private_segment_fixed_size: 0
    .sgpr_count:     4
    .sgpr_spill_count: 0
    .symbol:         _ZN7rocprim17ROCPRIM_400000_NS6detail17trampoline_kernelINS0_13select_configILj256ELj13ELNS0_17block_load_methodE3ELS4_3ELS4_3ELNS0_20block_scan_algorithmE0ELj4294967295EEENS1_25partition_config_selectorILNS1_17partition_subalgoE4EjNS0_10empty_typeEbEEZZNS1_14partition_implILS8_4ELb0ES6_15HIP_vector_typeIjLj2EENS0_17counting_iteratorIjlEEPS9_SG_NS0_5tupleIJPjSI_NS0_16reverse_iteratorISI_EEEEENSH_IJSG_SG_SG_EEES9_SI_JZNS1_25segmented_radix_sort_implINS0_14default_configELb1EPK6__halfPSP_PKlPlN2at6native12_GLOBAL__N_18offset_tEEE10hipError_tPvRmT1_PNSt15iterator_traitsIS13_E10value_typeET2_T3_PNS14_IS19_E10value_typeET4_jRbjT5_S1F_jjP12ihipStream_tbEUljE_ZNSN_ISO_Lb1ESR_SS_SU_SV_SZ_EES10_S11_S12_S13_S17_S18_S19_S1C_S1D_jS1E_jS1F_S1F_jjS1H_bEUljE0_EEES10_S11_S12_S19_S1D_S1F_T6_T7_T9_mT8_S1H_bDpT10_ENKUlT_T0_E_clISt17integral_constantIbLb1EES1U_IbLb0EEEEDaS1Q_S1R_EUlS1Q_E_NS1_11comp_targetILNS1_3genE3ELNS1_11target_archE908ELNS1_3gpuE7ELNS1_3repE0EEENS1_30default_config_static_selectorELNS0_4arch9wavefront6targetE1EEEvS13_.kd
    .uniform_work_group_size: 1
    .uses_dynamic_stack: false
    .vgpr_count:     0
    .vgpr_spill_count: 0
    .wavefront_size: 64
  - .args:
      - .offset:         0
        .size:           176
        .value_kind:     by_value
    .group_segment_fixed_size: 0
    .kernarg_segment_align: 8
    .kernarg_segment_size: 176
    .language:       OpenCL C
    .language_version:
      - 2
      - 0
    .max_flat_workgroup_size: 256
    .name:           _ZN7rocprim17ROCPRIM_400000_NS6detail17trampoline_kernelINS0_13select_configILj256ELj13ELNS0_17block_load_methodE3ELS4_3ELS4_3ELNS0_20block_scan_algorithmE0ELj4294967295EEENS1_25partition_config_selectorILNS1_17partition_subalgoE4EjNS0_10empty_typeEbEEZZNS1_14partition_implILS8_4ELb0ES6_15HIP_vector_typeIjLj2EENS0_17counting_iteratorIjlEEPS9_SG_NS0_5tupleIJPjSI_NS0_16reverse_iteratorISI_EEEEENSH_IJSG_SG_SG_EEES9_SI_JZNS1_25segmented_radix_sort_implINS0_14default_configELb1EPK6__halfPSP_PKlPlN2at6native12_GLOBAL__N_18offset_tEEE10hipError_tPvRmT1_PNSt15iterator_traitsIS13_E10value_typeET2_T3_PNS14_IS19_E10value_typeET4_jRbjT5_S1F_jjP12ihipStream_tbEUljE_ZNSN_ISO_Lb1ESR_SS_SU_SV_SZ_EES10_S11_S12_S13_S17_S18_S19_S1C_S1D_jS1E_jS1F_S1F_jjS1H_bEUljE0_EEES10_S11_S12_S19_S1D_S1F_T6_T7_T9_mT8_S1H_bDpT10_ENKUlT_T0_E_clISt17integral_constantIbLb1EES1U_IbLb0EEEEDaS1Q_S1R_EUlS1Q_E_NS1_11comp_targetILNS1_3genE2ELNS1_11target_archE906ELNS1_3gpuE6ELNS1_3repE0EEENS1_30default_config_static_selectorELNS0_4arch9wavefront6targetE1EEEvS13_
    .private_segment_fixed_size: 0
    .sgpr_count:     4
    .sgpr_spill_count: 0
    .symbol:         _ZN7rocprim17ROCPRIM_400000_NS6detail17trampoline_kernelINS0_13select_configILj256ELj13ELNS0_17block_load_methodE3ELS4_3ELS4_3ELNS0_20block_scan_algorithmE0ELj4294967295EEENS1_25partition_config_selectorILNS1_17partition_subalgoE4EjNS0_10empty_typeEbEEZZNS1_14partition_implILS8_4ELb0ES6_15HIP_vector_typeIjLj2EENS0_17counting_iteratorIjlEEPS9_SG_NS0_5tupleIJPjSI_NS0_16reverse_iteratorISI_EEEEENSH_IJSG_SG_SG_EEES9_SI_JZNS1_25segmented_radix_sort_implINS0_14default_configELb1EPK6__halfPSP_PKlPlN2at6native12_GLOBAL__N_18offset_tEEE10hipError_tPvRmT1_PNSt15iterator_traitsIS13_E10value_typeET2_T3_PNS14_IS19_E10value_typeET4_jRbjT5_S1F_jjP12ihipStream_tbEUljE_ZNSN_ISO_Lb1ESR_SS_SU_SV_SZ_EES10_S11_S12_S13_S17_S18_S19_S1C_S1D_jS1E_jS1F_S1F_jjS1H_bEUljE0_EEES10_S11_S12_S19_S1D_S1F_T6_T7_T9_mT8_S1H_bDpT10_ENKUlT_T0_E_clISt17integral_constantIbLb1EES1U_IbLb0EEEEDaS1Q_S1R_EUlS1Q_E_NS1_11comp_targetILNS1_3genE2ELNS1_11target_archE906ELNS1_3gpuE6ELNS1_3repE0EEENS1_30default_config_static_selectorELNS0_4arch9wavefront6targetE1EEEvS13_.kd
    .uniform_work_group_size: 1
    .uses_dynamic_stack: false
    .vgpr_count:     0
    .vgpr_spill_count: 0
    .wavefront_size: 64
  - .args:
      - .offset:         0
        .size:           176
        .value_kind:     by_value
    .group_segment_fixed_size: 0
    .kernarg_segment_align: 8
    .kernarg_segment_size: 176
    .language:       OpenCL C
    .language_version:
      - 2
      - 0
    .max_flat_workgroup_size: 256
    .name:           _ZN7rocprim17ROCPRIM_400000_NS6detail17trampoline_kernelINS0_13select_configILj256ELj13ELNS0_17block_load_methodE3ELS4_3ELS4_3ELNS0_20block_scan_algorithmE0ELj4294967295EEENS1_25partition_config_selectorILNS1_17partition_subalgoE4EjNS0_10empty_typeEbEEZZNS1_14partition_implILS8_4ELb0ES6_15HIP_vector_typeIjLj2EENS0_17counting_iteratorIjlEEPS9_SG_NS0_5tupleIJPjSI_NS0_16reverse_iteratorISI_EEEEENSH_IJSG_SG_SG_EEES9_SI_JZNS1_25segmented_radix_sort_implINS0_14default_configELb1EPK6__halfPSP_PKlPlN2at6native12_GLOBAL__N_18offset_tEEE10hipError_tPvRmT1_PNSt15iterator_traitsIS13_E10value_typeET2_T3_PNS14_IS19_E10value_typeET4_jRbjT5_S1F_jjP12ihipStream_tbEUljE_ZNSN_ISO_Lb1ESR_SS_SU_SV_SZ_EES10_S11_S12_S13_S17_S18_S19_S1C_S1D_jS1E_jS1F_S1F_jjS1H_bEUljE0_EEES10_S11_S12_S19_S1D_S1F_T6_T7_T9_mT8_S1H_bDpT10_ENKUlT_T0_E_clISt17integral_constantIbLb1EES1U_IbLb0EEEEDaS1Q_S1R_EUlS1Q_E_NS1_11comp_targetILNS1_3genE10ELNS1_11target_archE1200ELNS1_3gpuE4ELNS1_3repE0EEENS1_30default_config_static_selectorELNS0_4arch9wavefront6targetE1EEEvS13_
    .private_segment_fixed_size: 0
    .sgpr_count:     4
    .sgpr_spill_count: 0
    .symbol:         _ZN7rocprim17ROCPRIM_400000_NS6detail17trampoline_kernelINS0_13select_configILj256ELj13ELNS0_17block_load_methodE3ELS4_3ELS4_3ELNS0_20block_scan_algorithmE0ELj4294967295EEENS1_25partition_config_selectorILNS1_17partition_subalgoE4EjNS0_10empty_typeEbEEZZNS1_14partition_implILS8_4ELb0ES6_15HIP_vector_typeIjLj2EENS0_17counting_iteratorIjlEEPS9_SG_NS0_5tupleIJPjSI_NS0_16reverse_iteratorISI_EEEEENSH_IJSG_SG_SG_EEES9_SI_JZNS1_25segmented_radix_sort_implINS0_14default_configELb1EPK6__halfPSP_PKlPlN2at6native12_GLOBAL__N_18offset_tEEE10hipError_tPvRmT1_PNSt15iterator_traitsIS13_E10value_typeET2_T3_PNS14_IS19_E10value_typeET4_jRbjT5_S1F_jjP12ihipStream_tbEUljE_ZNSN_ISO_Lb1ESR_SS_SU_SV_SZ_EES10_S11_S12_S13_S17_S18_S19_S1C_S1D_jS1E_jS1F_S1F_jjS1H_bEUljE0_EEES10_S11_S12_S19_S1D_S1F_T6_T7_T9_mT8_S1H_bDpT10_ENKUlT_T0_E_clISt17integral_constantIbLb1EES1U_IbLb0EEEEDaS1Q_S1R_EUlS1Q_E_NS1_11comp_targetILNS1_3genE10ELNS1_11target_archE1200ELNS1_3gpuE4ELNS1_3repE0EEENS1_30default_config_static_selectorELNS0_4arch9wavefront6targetE1EEEvS13_.kd
    .uniform_work_group_size: 1
    .uses_dynamic_stack: false
    .vgpr_count:     0
    .vgpr_spill_count: 0
    .wavefront_size: 64
  - .args:
      - .offset:         0
        .size:           176
        .value_kind:     by_value
    .group_segment_fixed_size: 0
    .kernarg_segment_align: 8
    .kernarg_segment_size: 176
    .language:       OpenCL C
    .language_version:
      - 2
      - 0
    .max_flat_workgroup_size: 256
    .name:           _ZN7rocprim17ROCPRIM_400000_NS6detail17trampoline_kernelINS0_13select_configILj256ELj13ELNS0_17block_load_methodE3ELS4_3ELS4_3ELNS0_20block_scan_algorithmE0ELj4294967295EEENS1_25partition_config_selectorILNS1_17partition_subalgoE4EjNS0_10empty_typeEbEEZZNS1_14partition_implILS8_4ELb0ES6_15HIP_vector_typeIjLj2EENS0_17counting_iteratorIjlEEPS9_SG_NS0_5tupleIJPjSI_NS0_16reverse_iteratorISI_EEEEENSH_IJSG_SG_SG_EEES9_SI_JZNS1_25segmented_radix_sort_implINS0_14default_configELb1EPK6__halfPSP_PKlPlN2at6native12_GLOBAL__N_18offset_tEEE10hipError_tPvRmT1_PNSt15iterator_traitsIS13_E10value_typeET2_T3_PNS14_IS19_E10value_typeET4_jRbjT5_S1F_jjP12ihipStream_tbEUljE_ZNSN_ISO_Lb1ESR_SS_SU_SV_SZ_EES10_S11_S12_S13_S17_S18_S19_S1C_S1D_jS1E_jS1F_S1F_jjS1H_bEUljE0_EEES10_S11_S12_S19_S1D_S1F_T6_T7_T9_mT8_S1H_bDpT10_ENKUlT_T0_E_clISt17integral_constantIbLb1EES1U_IbLb0EEEEDaS1Q_S1R_EUlS1Q_E_NS1_11comp_targetILNS1_3genE9ELNS1_11target_archE1100ELNS1_3gpuE3ELNS1_3repE0EEENS1_30default_config_static_selectorELNS0_4arch9wavefront6targetE1EEEvS13_
    .private_segment_fixed_size: 0
    .sgpr_count:     4
    .sgpr_spill_count: 0
    .symbol:         _ZN7rocprim17ROCPRIM_400000_NS6detail17trampoline_kernelINS0_13select_configILj256ELj13ELNS0_17block_load_methodE3ELS4_3ELS4_3ELNS0_20block_scan_algorithmE0ELj4294967295EEENS1_25partition_config_selectorILNS1_17partition_subalgoE4EjNS0_10empty_typeEbEEZZNS1_14partition_implILS8_4ELb0ES6_15HIP_vector_typeIjLj2EENS0_17counting_iteratorIjlEEPS9_SG_NS0_5tupleIJPjSI_NS0_16reverse_iteratorISI_EEEEENSH_IJSG_SG_SG_EEES9_SI_JZNS1_25segmented_radix_sort_implINS0_14default_configELb1EPK6__halfPSP_PKlPlN2at6native12_GLOBAL__N_18offset_tEEE10hipError_tPvRmT1_PNSt15iterator_traitsIS13_E10value_typeET2_T3_PNS14_IS19_E10value_typeET4_jRbjT5_S1F_jjP12ihipStream_tbEUljE_ZNSN_ISO_Lb1ESR_SS_SU_SV_SZ_EES10_S11_S12_S13_S17_S18_S19_S1C_S1D_jS1E_jS1F_S1F_jjS1H_bEUljE0_EEES10_S11_S12_S19_S1D_S1F_T6_T7_T9_mT8_S1H_bDpT10_ENKUlT_T0_E_clISt17integral_constantIbLb1EES1U_IbLb0EEEEDaS1Q_S1R_EUlS1Q_E_NS1_11comp_targetILNS1_3genE9ELNS1_11target_archE1100ELNS1_3gpuE3ELNS1_3repE0EEENS1_30default_config_static_selectorELNS0_4arch9wavefront6targetE1EEEvS13_.kd
    .uniform_work_group_size: 1
    .uses_dynamic_stack: false
    .vgpr_count:     0
    .vgpr_spill_count: 0
    .wavefront_size: 64
  - .args:
      - .offset:         0
        .size:           176
        .value_kind:     by_value
    .group_segment_fixed_size: 0
    .kernarg_segment_align: 8
    .kernarg_segment_size: 176
    .language:       OpenCL C
    .language_version:
      - 2
      - 0
    .max_flat_workgroup_size: 256
    .name:           _ZN7rocprim17ROCPRIM_400000_NS6detail17trampoline_kernelINS0_13select_configILj256ELj13ELNS0_17block_load_methodE3ELS4_3ELS4_3ELNS0_20block_scan_algorithmE0ELj4294967295EEENS1_25partition_config_selectorILNS1_17partition_subalgoE4EjNS0_10empty_typeEbEEZZNS1_14partition_implILS8_4ELb0ES6_15HIP_vector_typeIjLj2EENS0_17counting_iteratorIjlEEPS9_SG_NS0_5tupleIJPjSI_NS0_16reverse_iteratorISI_EEEEENSH_IJSG_SG_SG_EEES9_SI_JZNS1_25segmented_radix_sort_implINS0_14default_configELb1EPK6__halfPSP_PKlPlN2at6native12_GLOBAL__N_18offset_tEEE10hipError_tPvRmT1_PNSt15iterator_traitsIS13_E10value_typeET2_T3_PNS14_IS19_E10value_typeET4_jRbjT5_S1F_jjP12ihipStream_tbEUljE_ZNSN_ISO_Lb1ESR_SS_SU_SV_SZ_EES10_S11_S12_S13_S17_S18_S19_S1C_S1D_jS1E_jS1F_S1F_jjS1H_bEUljE0_EEES10_S11_S12_S19_S1D_S1F_T6_T7_T9_mT8_S1H_bDpT10_ENKUlT_T0_E_clISt17integral_constantIbLb1EES1U_IbLb0EEEEDaS1Q_S1R_EUlS1Q_E_NS1_11comp_targetILNS1_3genE8ELNS1_11target_archE1030ELNS1_3gpuE2ELNS1_3repE0EEENS1_30default_config_static_selectorELNS0_4arch9wavefront6targetE1EEEvS13_
    .private_segment_fixed_size: 0
    .sgpr_count:     4
    .sgpr_spill_count: 0
    .symbol:         _ZN7rocprim17ROCPRIM_400000_NS6detail17trampoline_kernelINS0_13select_configILj256ELj13ELNS0_17block_load_methodE3ELS4_3ELS4_3ELNS0_20block_scan_algorithmE0ELj4294967295EEENS1_25partition_config_selectorILNS1_17partition_subalgoE4EjNS0_10empty_typeEbEEZZNS1_14partition_implILS8_4ELb0ES6_15HIP_vector_typeIjLj2EENS0_17counting_iteratorIjlEEPS9_SG_NS0_5tupleIJPjSI_NS0_16reverse_iteratorISI_EEEEENSH_IJSG_SG_SG_EEES9_SI_JZNS1_25segmented_radix_sort_implINS0_14default_configELb1EPK6__halfPSP_PKlPlN2at6native12_GLOBAL__N_18offset_tEEE10hipError_tPvRmT1_PNSt15iterator_traitsIS13_E10value_typeET2_T3_PNS14_IS19_E10value_typeET4_jRbjT5_S1F_jjP12ihipStream_tbEUljE_ZNSN_ISO_Lb1ESR_SS_SU_SV_SZ_EES10_S11_S12_S13_S17_S18_S19_S1C_S1D_jS1E_jS1F_S1F_jjS1H_bEUljE0_EEES10_S11_S12_S19_S1D_S1F_T6_T7_T9_mT8_S1H_bDpT10_ENKUlT_T0_E_clISt17integral_constantIbLb1EES1U_IbLb0EEEEDaS1Q_S1R_EUlS1Q_E_NS1_11comp_targetILNS1_3genE8ELNS1_11target_archE1030ELNS1_3gpuE2ELNS1_3repE0EEENS1_30default_config_static_selectorELNS0_4arch9wavefront6targetE1EEEvS13_.kd
    .uniform_work_group_size: 1
    .uses_dynamic_stack: false
    .vgpr_count:     0
    .vgpr_spill_count: 0
    .wavefront_size: 64
  - .args:
      - .offset:         0
        .size:           184
        .value_kind:     by_value
    .group_segment_fixed_size: 0
    .kernarg_segment_align: 8
    .kernarg_segment_size: 184
    .language:       OpenCL C
    .language_version:
      - 2
      - 0
    .max_flat_workgroup_size: 256
    .name:           _ZN7rocprim17ROCPRIM_400000_NS6detail17trampoline_kernelINS0_13select_configILj256ELj13ELNS0_17block_load_methodE3ELS4_3ELS4_3ELNS0_20block_scan_algorithmE0ELj4294967295EEENS1_25partition_config_selectorILNS1_17partition_subalgoE4EjNS0_10empty_typeEbEEZZNS1_14partition_implILS8_4ELb0ES6_15HIP_vector_typeIjLj2EENS0_17counting_iteratorIjlEEPS9_SG_NS0_5tupleIJPjSI_NS0_16reverse_iteratorISI_EEEEENSH_IJSG_SG_SG_EEES9_SI_JZNS1_25segmented_radix_sort_implINS0_14default_configELb1EPK6__halfPSP_PKlPlN2at6native12_GLOBAL__N_18offset_tEEE10hipError_tPvRmT1_PNSt15iterator_traitsIS13_E10value_typeET2_T3_PNS14_IS19_E10value_typeET4_jRbjT5_S1F_jjP12ihipStream_tbEUljE_ZNSN_ISO_Lb1ESR_SS_SU_SV_SZ_EES10_S11_S12_S13_S17_S18_S19_S1C_S1D_jS1E_jS1F_S1F_jjS1H_bEUljE0_EEES10_S11_S12_S19_S1D_S1F_T6_T7_T9_mT8_S1H_bDpT10_ENKUlT_T0_E_clISt17integral_constantIbLb0EES1U_IbLb1EEEEDaS1Q_S1R_EUlS1Q_E_NS1_11comp_targetILNS1_3genE0ELNS1_11target_archE4294967295ELNS1_3gpuE0ELNS1_3repE0EEENS1_30default_config_static_selectorELNS0_4arch9wavefront6targetE1EEEvS13_
    .private_segment_fixed_size: 0
    .sgpr_count:     4
    .sgpr_spill_count: 0
    .symbol:         _ZN7rocprim17ROCPRIM_400000_NS6detail17trampoline_kernelINS0_13select_configILj256ELj13ELNS0_17block_load_methodE3ELS4_3ELS4_3ELNS0_20block_scan_algorithmE0ELj4294967295EEENS1_25partition_config_selectorILNS1_17partition_subalgoE4EjNS0_10empty_typeEbEEZZNS1_14partition_implILS8_4ELb0ES6_15HIP_vector_typeIjLj2EENS0_17counting_iteratorIjlEEPS9_SG_NS0_5tupleIJPjSI_NS0_16reverse_iteratorISI_EEEEENSH_IJSG_SG_SG_EEES9_SI_JZNS1_25segmented_radix_sort_implINS0_14default_configELb1EPK6__halfPSP_PKlPlN2at6native12_GLOBAL__N_18offset_tEEE10hipError_tPvRmT1_PNSt15iterator_traitsIS13_E10value_typeET2_T3_PNS14_IS19_E10value_typeET4_jRbjT5_S1F_jjP12ihipStream_tbEUljE_ZNSN_ISO_Lb1ESR_SS_SU_SV_SZ_EES10_S11_S12_S13_S17_S18_S19_S1C_S1D_jS1E_jS1F_S1F_jjS1H_bEUljE0_EEES10_S11_S12_S19_S1D_S1F_T6_T7_T9_mT8_S1H_bDpT10_ENKUlT_T0_E_clISt17integral_constantIbLb0EES1U_IbLb1EEEEDaS1Q_S1R_EUlS1Q_E_NS1_11comp_targetILNS1_3genE0ELNS1_11target_archE4294967295ELNS1_3gpuE0ELNS1_3repE0EEENS1_30default_config_static_selectorELNS0_4arch9wavefront6targetE1EEEvS13_.kd
    .uniform_work_group_size: 1
    .uses_dynamic_stack: false
    .vgpr_count:     0
    .vgpr_spill_count: 0
    .wavefront_size: 64
  - .args:
      - .offset:         0
        .size:           184
        .value_kind:     by_value
    .group_segment_fixed_size: 0
    .kernarg_segment_align: 8
    .kernarg_segment_size: 184
    .language:       OpenCL C
    .language_version:
      - 2
      - 0
    .max_flat_workgroup_size: 256
    .name:           _ZN7rocprim17ROCPRIM_400000_NS6detail17trampoline_kernelINS0_13select_configILj256ELj13ELNS0_17block_load_methodE3ELS4_3ELS4_3ELNS0_20block_scan_algorithmE0ELj4294967295EEENS1_25partition_config_selectorILNS1_17partition_subalgoE4EjNS0_10empty_typeEbEEZZNS1_14partition_implILS8_4ELb0ES6_15HIP_vector_typeIjLj2EENS0_17counting_iteratorIjlEEPS9_SG_NS0_5tupleIJPjSI_NS0_16reverse_iteratorISI_EEEEENSH_IJSG_SG_SG_EEES9_SI_JZNS1_25segmented_radix_sort_implINS0_14default_configELb1EPK6__halfPSP_PKlPlN2at6native12_GLOBAL__N_18offset_tEEE10hipError_tPvRmT1_PNSt15iterator_traitsIS13_E10value_typeET2_T3_PNS14_IS19_E10value_typeET4_jRbjT5_S1F_jjP12ihipStream_tbEUljE_ZNSN_ISO_Lb1ESR_SS_SU_SV_SZ_EES10_S11_S12_S13_S17_S18_S19_S1C_S1D_jS1E_jS1F_S1F_jjS1H_bEUljE0_EEES10_S11_S12_S19_S1D_S1F_T6_T7_T9_mT8_S1H_bDpT10_ENKUlT_T0_E_clISt17integral_constantIbLb0EES1U_IbLb1EEEEDaS1Q_S1R_EUlS1Q_E_NS1_11comp_targetILNS1_3genE5ELNS1_11target_archE942ELNS1_3gpuE9ELNS1_3repE0EEENS1_30default_config_static_selectorELNS0_4arch9wavefront6targetE1EEEvS13_
    .private_segment_fixed_size: 0
    .sgpr_count:     4
    .sgpr_spill_count: 0
    .symbol:         _ZN7rocprim17ROCPRIM_400000_NS6detail17trampoline_kernelINS0_13select_configILj256ELj13ELNS0_17block_load_methodE3ELS4_3ELS4_3ELNS0_20block_scan_algorithmE0ELj4294967295EEENS1_25partition_config_selectorILNS1_17partition_subalgoE4EjNS0_10empty_typeEbEEZZNS1_14partition_implILS8_4ELb0ES6_15HIP_vector_typeIjLj2EENS0_17counting_iteratorIjlEEPS9_SG_NS0_5tupleIJPjSI_NS0_16reverse_iteratorISI_EEEEENSH_IJSG_SG_SG_EEES9_SI_JZNS1_25segmented_radix_sort_implINS0_14default_configELb1EPK6__halfPSP_PKlPlN2at6native12_GLOBAL__N_18offset_tEEE10hipError_tPvRmT1_PNSt15iterator_traitsIS13_E10value_typeET2_T3_PNS14_IS19_E10value_typeET4_jRbjT5_S1F_jjP12ihipStream_tbEUljE_ZNSN_ISO_Lb1ESR_SS_SU_SV_SZ_EES10_S11_S12_S13_S17_S18_S19_S1C_S1D_jS1E_jS1F_S1F_jjS1H_bEUljE0_EEES10_S11_S12_S19_S1D_S1F_T6_T7_T9_mT8_S1H_bDpT10_ENKUlT_T0_E_clISt17integral_constantIbLb0EES1U_IbLb1EEEEDaS1Q_S1R_EUlS1Q_E_NS1_11comp_targetILNS1_3genE5ELNS1_11target_archE942ELNS1_3gpuE9ELNS1_3repE0EEENS1_30default_config_static_selectorELNS0_4arch9wavefront6targetE1EEEvS13_.kd
    .uniform_work_group_size: 1
    .uses_dynamic_stack: false
    .vgpr_count:     0
    .vgpr_spill_count: 0
    .wavefront_size: 64
  - .args:
      - .offset:         0
        .size:           184
        .value_kind:     by_value
    .group_segment_fixed_size: 0
    .kernarg_segment_align: 8
    .kernarg_segment_size: 184
    .language:       OpenCL C
    .language_version:
      - 2
      - 0
    .max_flat_workgroup_size: 256
    .name:           _ZN7rocprim17ROCPRIM_400000_NS6detail17trampoline_kernelINS0_13select_configILj256ELj13ELNS0_17block_load_methodE3ELS4_3ELS4_3ELNS0_20block_scan_algorithmE0ELj4294967295EEENS1_25partition_config_selectorILNS1_17partition_subalgoE4EjNS0_10empty_typeEbEEZZNS1_14partition_implILS8_4ELb0ES6_15HIP_vector_typeIjLj2EENS0_17counting_iteratorIjlEEPS9_SG_NS0_5tupleIJPjSI_NS0_16reverse_iteratorISI_EEEEENSH_IJSG_SG_SG_EEES9_SI_JZNS1_25segmented_radix_sort_implINS0_14default_configELb1EPK6__halfPSP_PKlPlN2at6native12_GLOBAL__N_18offset_tEEE10hipError_tPvRmT1_PNSt15iterator_traitsIS13_E10value_typeET2_T3_PNS14_IS19_E10value_typeET4_jRbjT5_S1F_jjP12ihipStream_tbEUljE_ZNSN_ISO_Lb1ESR_SS_SU_SV_SZ_EES10_S11_S12_S13_S17_S18_S19_S1C_S1D_jS1E_jS1F_S1F_jjS1H_bEUljE0_EEES10_S11_S12_S19_S1D_S1F_T6_T7_T9_mT8_S1H_bDpT10_ENKUlT_T0_E_clISt17integral_constantIbLb0EES1U_IbLb1EEEEDaS1Q_S1R_EUlS1Q_E_NS1_11comp_targetILNS1_3genE4ELNS1_11target_archE910ELNS1_3gpuE8ELNS1_3repE0EEENS1_30default_config_static_selectorELNS0_4arch9wavefront6targetE1EEEvS13_
    .private_segment_fixed_size: 0
    .sgpr_count:     4
    .sgpr_spill_count: 0
    .symbol:         _ZN7rocprim17ROCPRIM_400000_NS6detail17trampoline_kernelINS0_13select_configILj256ELj13ELNS0_17block_load_methodE3ELS4_3ELS4_3ELNS0_20block_scan_algorithmE0ELj4294967295EEENS1_25partition_config_selectorILNS1_17partition_subalgoE4EjNS0_10empty_typeEbEEZZNS1_14partition_implILS8_4ELb0ES6_15HIP_vector_typeIjLj2EENS0_17counting_iteratorIjlEEPS9_SG_NS0_5tupleIJPjSI_NS0_16reverse_iteratorISI_EEEEENSH_IJSG_SG_SG_EEES9_SI_JZNS1_25segmented_radix_sort_implINS0_14default_configELb1EPK6__halfPSP_PKlPlN2at6native12_GLOBAL__N_18offset_tEEE10hipError_tPvRmT1_PNSt15iterator_traitsIS13_E10value_typeET2_T3_PNS14_IS19_E10value_typeET4_jRbjT5_S1F_jjP12ihipStream_tbEUljE_ZNSN_ISO_Lb1ESR_SS_SU_SV_SZ_EES10_S11_S12_S13_S17_S18_S19_S1C_S1D_jS1E_jS1F_S1F_jjS1H_bEUljE0_EEES10_S11_S12_S19_S1D_S1F_T6_T7_T9_mT8_S1H_bDpT10_ENKUlT_T0_E_clISt17integral_constantIbLb0EES1U_IbLb1EEEEDaS1Q_S1R_EUlS1Q_E_NS1_11comp_targetILNS1_3genE4ELNS1_11target_archE910ELNS1_3gpuE8ELNS1_3repE0EEENS1_30default_config_static_selectorELNS0_4arch9wavefront6targetE1EEEvS13_.kd
    .uniform_work_group_size: 1
    .uses_dynamic_stack: false
    .vgpr_count:     0
    .vgpr_spill_count: 0
    .wavefront_size: 64
  - .args:
      - .offset:         0
        .size:           184
        .value_kind:     by_value
    .group_segment_fixed_size: 0
    .kernarg_segment_align: 8
    .kernarg_segment_size: 184
    .language:       OpenCL C
    .language_version:
      - 2
      - 0
    .max_flat_workgroup_size: 256
    .name:           _ZN7rocprim17ROCPRIM_400000_NS6detail17trampoline_kernelINS0_13select_configILj256ELj13ELNS0_17block_load_methodE3ELS4_3ELS4_3ELNS0_20block_scan_algorithmE0ELj4294967295EEENS1_25partition_config_selectorILNS1_17partition_subalgoE4EjNS0_10empty_typeEbEEZZNS1_14partition_implILS8_4ELb0ES6_15HIP_vector_typeIjLj2EENS0_17counting_iteratorIjlEEPS9_SG_NS0_5tupleIJPjSI_NS0_16reverse_iteratorISI_EEEEENSH_IJSG_SG_SG_EEES9_SI_JZNS1_25segmented_radix_sort_implINS0_14default_configELb1EPK6__halfPSP_PKlPlN2at6native12_GLOBAL__N_18offset_tEEE10hipError_tPvRmT1_PNSt15iterator_traitsIS13_E10value_typeET2_T3_PNS14_IS19_E10value_typeET4_jRbjT5_S1F_jjP12ihipStream_tbEUljE_ZNSN_ISO_Lb1ESR_SS_SU_SV_SZ_EES10_S11_S12_S13_S17_S18_S19_S1C_S1D_jS1E_jS1F_S1F_jjS1H_bEUljE0_EEES10_S11_S12_S19_S1D_S1F_T6_T7_T9_mT8_S1H_bDpT10_ENKUlT_T0_E_clISt17integral_constantIbLb0EES1U_IbLb1EEEEDaS1Q_S1R_EUlS1Q_E_NS1_11comp_targetILNS1_3genE3ELNS1_11target_archE908ELNS1_3gpuE7ELNS1_3repE0EEENS1_30default_config_static_selectorELNS0_4arch9wavefront6targetE1EEEvS13_
    .private_segment_fixed_size: 0
    .sgpr_count:     4
    .sgpr_spill_count: 0
    .symbol:         _ZN7rocprim17ROCPRIM_400000_NS6detail17trampoline_kernelINS0_13select_configILj256ELj13ELNS0_17block_load_methodE3ELS4_3ELS4_3ELNS0_20block_scan_algorithmE0ELj4294967295EEENS1_25partition_config_selectorILNS1_17partition_subalgoE4EjNS0_10empty_typeEbEEZZNS1_14partition_implILS8_4ELb0ES6_15HIP_vector_typeIjLj2EENS0_17counting_iteratorIjlEEPS9_SG_NS0_5tupleIJPjSI_NS0_16reverse_iteratorISI_EEEEENSH_IJSG_SG_SG_EEES9_SI_JZNS1_25segmented_radix_sort_implINS0_14default_configELb1EPK6__halfPSP_PKlPlN2at6native12_GLOBAL__N_18offset_tEEE10hipError_tPvRmT1_PNSt15iterator_traitsIS13_E10value_typeET2_T3_PNS14_IS19_E10value_typeET4_jRbjT5_S1F_jjP12ihipStream_tbEUljE_ZNSN_ISO_Lb1ESR_SS_SU_SV_SZ_EES10_S11_S12_S13_S17_S18_S19_S1C_S1D_jS1E_jS1F_S1F_jjS1H_bEUljE0_EEES10_S11_S12_S19_S1D_S1F_T6_T7_T9_mT8_S1H_bDpT10_ENKUlT_T0_E_clISt17integral_constantIbLb0EES1U_IbLb1EEEEDaS1Q_S1R_EUlS1Q_E_NS1_11comp_targetILNS1_3genE3ELNS1_11target_archE908ELNS1_3gpuE7ELNS1_3repE0EEENS1_30default_config_static_selectorELNS0_4arch9wavefront6targetE1EEEvS13_.kd
    .uniform_work_group_size: 1
    .uses_dynamic_stack: false
    .vgpr_count:     0
    .vgpr_spill_count: 0
    .wavefront_size: 64
  - .args:
      - .offset:         0
        .size:           184
        .value_kind:     by_value
    .group_segment_fixed_size: 13328
    .kernarg_segment_align: 8
    .kernarg_segment_size: 184
    .language:       OpenCL C
    .language_version:
      - 2
      - 0
    .max_flat_workgroup_size: 256
    .name:           _ZN7rocprim17ROCPRIM_400000_NS6detail17trampoline_kernelINS0_13select_configILj256ELj13ELNS0_17block_load_methodE3ELS4_3ELS4_3ELNS0_20block_scan_algorithmE0ELj4294967295EEENS1_25partition_config_selectorILNS1_17partition_subalgoE4EjNS0_10empty_typeEbEEZZNS1_14partition_implILS8_4ELb0ES6_15HIP_vector_typeIjLj2EENS0_17counting_iteratorIjlEEPS9_SG_NS0_5tupleIJPjSI_NS0_16reverse_iteratorISI_EEEEENSH_IJSG_SG_SG_EEES9_SI_JZNS1_25segmented_radix_sort_implINS0_14default_configELb1EPK6__halfPSP_PKlPlN2at6native12_GLOBAL__N_18offset_tEEE10hipError_tPvRmT1_PNSt15iterator_traitsIS13_E10value_typeET2_T3_PNS14_IS19_E10value_typeET4_jRbjT5_S1F_jjP12ihipStream_tbEUljE_ZNSN_ISO_Lb1ESR_SS_SU_SV_SZ_EES10_S11_S12_S13_S17_S18_S19_S1C_S1D_jS1E_jS1F_S1F_jjS1H_bEUljE0_EEES10_S11_S12_S19_S1D_S1F_T6_T7_T9_mT8_S1H_bDpT10_ENKUlT_T0_E_clISt17integral_constantIbLb0EES1U_IbLb1EEEEDaS1Q_S1R_EUlS1Q_E_NS1_11comp_targetILNS1_3genE2ELNS1_11target_archE906ELNS1_3gpuE6ELNS1_3repE0EEENS1_30default_config_static_selectorELNS0_4arch9wavefront6targetE1EEEvS13_
    .private_segment_fixed_size: 0
    .sgpr_count:     91
    .sgpr_spill_count: 0
    .symbol:         _ZN7rocprim17ROCPRIM_400000_NS6detail17trampoline_kernelINS0_13select_configILj256ELj13ELNS0_17block_load_methodE3ELS4_3ELS4_3ELNS0_20block_scan_algorithmE0ELj4294967295EEENS1_25partition_config_selectorILNS1_17partition_subalgoE4EjNS0_10empty_typeEbEEZZNS1_14partition_implILS8_4ELb0ES6_15HIP_vector_typeIjLj2EENS0_17counting_iteratorIjlEEPS9_SG_NS0_5tupleIJPjSI_NS0_16reverse_iteratorISI_EEEEENSH_IJSG_SG_SG_EEES9_SI_JZNS1_25segmented_radix_sort_implINS0_14default_configELb1EPK6__halfPSP_PKlPlN2at6native12_GLOBAL__N_18offset_tEEE10hipError_tPvRmT1_PNSt15iterator_traitsIS13_E10value_typeET2_T3_PNS14_IS19_E10value_typeET4_jRbjT5_S1F_jjP12ihipStream_tbEUljE_ZNSN_ISO_Lb1ESR_SS_SU_SV_SZ_EES10_S11_S12_S13_S17_S18_S19_S1C_S1D_jS1E_jS1F_S1F_jjS1H_bEUljE0_EEES10_S11_S12_S19_S1D_S1F_T6_T7_T9_mT8_S1H_bDpT10_ENKUlT_T0_E_clISt17integral_constantIbLb0EES1U_IbLb1EEEEDaS1Q_S1R_EUlS1Q_E_NS1_11comp_targetILNS1_3genE2ELNS1_11target_archE906ELNS1_3gpuE6ELNS1_3repE0EEENS1_30default_config_static_selectorELNS0_4arch9wavefront6targetE1EEEvS13_.kd
    .uniform_work_group_size: 1
    .uses_dynamic_stack: false
    .vgpr_count:     91
    .vgpr_spill_count: 0
    .wavefront_size: 64
  - .args:
      - .offset:         0
        .size:           184
        .value_kind:     by_value
    .group_segment_fixed_size: 0
    .kernarg_segment_align: 8
    .kernarg_segment_size: 184
    .language:       OpenCL C
    .language_version:
      - 2
      - 0
    .max_flat_workgroup_size: 256
    .name:           _ZN7rocprim17ROCPRIM_400000_NS6detail17trampoline_kernelINS0_13select_configILj256ELj13ELNS0_17block_load_methodE3ELS4_3ELS4_3ELNS0_20block_scan_algorithmE0ELj4294967295EEENS1_25partition_config_selectorILNS1_17partition_subalgoE4EjNS0_10empty_typeEbEEZZNS1_14partition_implILS8_4ELb0ES6_15HIP_vector_typeIjLj2EENS0_17counting_iteratorIjlEEPS9_SG_NS0_5tupleIJPjSI_NS0_16reverse_iteratorISI_EEEEENSH_IJSG_SG_SG_EEES9_SI_JZNS1_25segmented_radix_sort_implINS0_14default_configELb1EPK6__halfPSP_PKlPlN2at6native12_GLOBAL__N_18offset_tEEE10hipError_tPvRmT1_PNSt15iterator_traitsIS13_E10value_typeET2_T3_PNS14_IS19_E10value_typeET4_jRbjT5_S1F_jjP12ihipStream_tbEUljE_ZNSN_ISO_Lb1ESR_SS_SU_SV_SZ_EES10_S11_S12_S13_S17_S18_S19_S1C_S1D_jS1E_jS1F_S1F_jjS1H_bEUljE0_EEES10_S11_S12_S19_S1D_S1F_T6_T7_T9_mT8_S1H_bDpT10_ENKUlT_T0_E_clISt17integral_constantIbLb0EES1U_IbLb1EEEEDaS1Q_S1R_EUlS1Q_E_NS1_11comp_targetILNS1_3genE10ELNS1_11target_archE1200ELNS1_3gpuE4ELNS1_3repE0EEENS1_30default_config_static_selectorELNS0_4arch9wavefront6targetE1EEEvS13_
    .private_segment_fixed_size: 0
    .sgpr_count:     4
    .sgpr_spill_count: 0
    .symbol:         _ZN7rocprim17ROCPRIM_400000_NS6detail17trampoline_kernelINS0_13select_configILj256ELj13ELNS0_17block_load_methodE3ELS4_3ELS4_3ELNS0_20block_scan_algorithmE0ELj4294967295EEENS1_25partition_config_selectorILNS1_17partition_subalgoE4EjNS0_10empty_typeEbEEZZNS1_14partition_implILS8_4ELb0ES6_15HIP_vector_typeIjLj2EENS0_17counting_iteratorIjlEEPS9_SG_NS0_5tupleIJPjSI_NS0_16reverse_iteratorISI_EEEEENSH_IJSG_SG_SG_EEES9_SI_JZNS1_25segmented_radix_sort_implINS0_14default_configELb1EPK6__halfPSP_PKlPlN2at6native12_GLOBAL__N_18offset_tEEE10hipError_tPvRmT1_PNSt15iterator_traitsIS13_E10value_typeET2_T3_PNS14_IS19_E10value_typeET4_jRbjT5_S1F_jjP12ihipStream_tbEUljE_ZNSN_ISO_Lb1ESR_SS_SU_SV_SZ_EES10_S11_S12_S13_S17_S18_S19_S1C_S1D_jS1E_jS1F_S1F_jjS1H_bEUljE0_EEES10_S11_S12_S19_S1D_S1F_T6_T7_T9_mT8_S1H_bDpT10_ENKUlT_T0_E_clISt17integral_constantIbLb0EES1U_IbLb1EEEEDaS1Q_S1R_EUlS1Q_E_NS1_11comp_targetILNS1_3genE10ELNS1_11target_archE1200ELNS1_3gpuE4ELNS1_3repE0EEENS1_30default_config_static_selectorELNS0_4arch9wavefront6targetE1EEEvS13_.kd
    .uniform_work_group_size: 1
    .uses_dynamic_stack: false
    .vgpr_count:     0
    .vgpr_spill_count: 0
    .wavefront_size: 64
  - .args:
      - .offset:         0
        .size:           184
        .value_kind:     by_value
    .group_segment_fixed_size: 0
    .kernarg_segment_align: 8
    .kernarg_segment_size: 184
    .language:       OpenCL C
    .language_version:
      - 2
      - 0
    .max_flat_workgroup_size: 256
    .name:           _ZN7rocprim17ROCPRIM_400000_NS6detail17trampoline_kernelINS0_13select_configILj256ELj13ELNS0_17block_load_methodE3ELS4_3ELS4_3ELNS0_20block_scan_algorithmE0ELj4294967295EEENS1_25partition_config_selectorILNS1_17partition_subalgoE4EjNS0_10empty_typeEbEEZZNS1_14partition_implILS8_4ELb0ES6_15HIP_vector_typeIjLj2EENS0_17counting_iteratorIjlEEPS9_SG_NS0_5tupleIJPjSI_NS0_16reverse_iteratorISI_EEEEENSH_IJSG_SG_SG_EEES9_SI_JZNS1_25segmented_radix_sort_implINS0_14default_configELb1EPK6__halfPSP_PKlPlN2at6native12_GLOBAL__N_18offset_tEEE10hipError_tPvRmT1_PNSt15iterator_traitsIS13_E10value_typeET2_T3_PNS14_IS19_E10value_typeET4_jRbjT5_S1F_jjP12ihipStream_tbEUljE_ZNSN_ISO_Lb1ESR_SS_SU_SV_SZ_EES10_S11_S12_S13_S17_S18_S19_S1C_S1D_jS1E_jS1F_S1F_jjS1H_bEUljE0_EEES10_S11_S12_S19_S1D_S1F_T6_T7_T9_mT8_S1H_bDpT10_ENKUlT_T0_E_clISt17integral_constantIbLb0EES1U_IbLb1EEEEDaS1Q_S1R_EUlS1Q_E_NS1_11comp_targetILNS1_3genE9ELNS1_11target_archE1100ELNS1_3gpuE3ELNS1_3repE0EEENS1_30default_config_static_selectorELNS0_4arch9wavefront6targetE1EEEvS13_
    .private_segment_fixed_size: 0
    .sgpr_count:     4
    .sgpr_spill_count: 0
    .symbol:         _ZN7rocprim17ROCPRIM_400000_NS6detail17trampoline_kernelINS0_13select_configILj256ELj13ELNS0_17block_load_methodE3ELS4_3ELS4_3ELNS0_20block_scan_algorithmE0ELj4294967295EEENS1_25partition_config_selectorILNS1_17partition_subalgoE4EjNS0_10empty_typeEbEEZZNS1_14partition_implILS8_4ELb0ES6_15HIP_vector_typeIjLj2EENS0_17counting_iteratorIjlEEPS9_SG_NS0_5tupleIJPjSI_NS0_16reverse_iteratorISI_EEEEENSH_IJSG_SG_SG_EEES9_SI_JZNS1_25segmented_radix_sort_implINS0_14default_configELb1EPK6__halfPSP_PKlPlN2at6native12_GLOBAL__N_18offset_tEEE10hipError_tPvRmT1_PNSt15iterator_traitsIS13_E10value_typeET2_T3_PNS14_IS19_E10value_typeET4_jRbjT5_S1F_jjP12ihipStream_tbEUljE_ZNSN_ISO_Lb1ESR_SS_SU_SV_SZ_EES10_S11_S12_S13_S17_S18_S19_S1C_S1D_jS1E_jS1F_S1F_jjS1H_bEUljE0_EEES10_S11_S12_S19_S1D_S1F_T6_T7_T9_mT8_S1H_bDpT10_ENKUlT_T0_E_clISt17integral_constantIbLb0EES1U_IbLb1EEEEDaS1Q_S1R_EUlS1Q_E_NS1_11comp_targetILNS1_3genE9ELNS1_11target_archE1100ELNS1_3gpuE3ELNS1_3repE0EEENS1_30default_config_static_selectorELNS0_4arch9wavefront6targetE1EEEvS13_.kd
    .uniform_work_group_size: 1
    .uses_dynamic_stack: false
    .vgpr_count:     0
    .vgpr_spill_count: 0
    .wavefront_size: 64
  - .args:
      - .offset:         0
        .size:           184
        .value_kind:     by_value
    .group_segment_fixed_size: 0
    .kernarg_segment_align: 8
    .kernarg_segment_size: 184
    .language:       OpenCL C
    .language_version:
      - 2
      - 0
    .max_flat_workgroup_size: 256
    .name:           _ZN7rocprim17ROCPRIM_400000_NS6detail17trampoline_kernelINS0_13select_configILj256ELj13ELNS0_17block_load_methodE3ELS4_3ELS4_3ELNS0_20block_scan_algorithmE0ELj4294967295EEENS1_25partition_config_selectorILNS1_17partition_subalgoE4EjNS0_10empty_typeEbEEZZNS1_14partition_implILS8_4ELb0ES6_15HIP_vector_typeIjLj2EENS0_17counting_iteratorIjlEEPS9_SG_NS0_5tupleIJPjSI_NS0_16reverse_iteratorISI_EEEEENSH_IJSG_SG_SG_EEES9_SI_JZNS1_25segmented_radix_sort_implINS0_14default_configELb1EPK6__halfPSP_PKlPlN2at6native12_GLOBAL__N_18offset_tEEE10hipError_tPvRmT1_PNSt15iterator_traitsIS13_E10value_typeET2_T3_PNS14_IS19_E10value_typeET4_jRbjT5_S1F_jjP12ihipStream_tbEUljE_ZNSN_ISO_Lb1ESR_SS_SU_SV_SZ_EES10_S11_S12_S13_S17_S18_S19_S1C_S1D_jS1E_jS1F_S1F_jjS1H_bEUljE0_EEES10_S11_S12_S19_S1D_S1F_T6_T7_T9_mT8_S1H_bDpT10_ENKUlT_T0_E_clISt17integral_constantIbLb0EES1U_IbLb1EEEEDaS1Q_S1R_EUlS1Q_E_NS1_11comp_targetILNS1_3genE8ELNS1_11target_archE1030ELNS1_3gpuE2ELNS1_3repE0EEENS1_30default_config_static_selectorELNS0_4arch9wavefront6targetE1EEEvS13_
    .private_segment_fixed_size: 0
    .sgpr_count:     4
    .sgpr_spill_count: 0
    .symbol:         _ZN7rocprim17ROCPRIM_400000_NS6detail17trampoline_kernelINS0_13select_configILj256ELj13ELNS0_17block_load_methodE3ELS4_3ELS4_3ELNS0_20block_scan_algorithmE0ELj4294967295EEENS1_25partition_config_selectorILNS1_17partition_subalgoE4EjNS0_10empty_typeEbEEZZNS1_14partition_implILS8_4ELb0ES6_15HIP_vector_typeIjLj2EENS0_17counting_iteratorIjlEEPS9_SG_NS0_5tupleIJPjSI_NS0_16reverse_iteratorISI_EEEEENSH_IJSG_SG_SG_EEES9_SI_JZNS1_25segmented_radix_sort_implINS0_14default_configELb1EPK6__halfPSP_PKlPlN2at6native12_GLOBAL__N_18offset_tEEE10hipError_tPvRmT1_PNSt15iterator_traitsIS13_E10value_typeET2_T3_PNS14_IS19_E10value_typeET4_jRbjT5_S1F_jjP12ihipStream_tbEUljE_ZNSN_ISO_Lb1ESR_SS_SU_SV_SZ_EES10_S11_S12_S13_S17_S18_S19_S1C_S1D_jS1E_jS1F_S1F_jjS1H_bEUljE0_EEES10_S11_S12_S19_S1D_S1F_T6_T7_T9_mT8_S1H_bDpT10_ENKUlT_T0_E_clISt17integral_constantIbLb0EES1U_IbLb1EEEEDaS1Q_S1R_EUlS1Q_E_NS1_11comp_targetILNS1_3genE8ELNS1_11target_archE1030ELNS1_3gpuE2ELNS1_3repE0EEENS1_30default_config_static_selectorELNS0_4arch9wavefront6targetE1EEEvS13_.kd
    .uniform_work_group_size: 1
    .uses_dynamic_stack: false
    .vgpr_count:     0
    .vgpr_spill_count: 0
    .wavefront_size: 64
  - .args:
      - .offset:         0
        .size:           144
        .value_kind:     by_value
    .group_segment_fixed_size: 0
    .kernarg_segment_align: 8
    .kernarg_segment_size: 144
    .language:       OpenCL C
    .language_version:
      - 2
      - 0
    .max_flat_workgroup_size: 256
    .name:           _ZN7rocprim17ROCPRIM_400000_NS6detail17trampoline_kernelINS0_13select_configILj256ELj13ELNS0_17block_load_methodE3ELS4_3ELS4_3ELNS0_20block_scan_algorithmE0ELj4294967295EEENS1_25partition_config_selectorILNS1_17partition_subalgoE3EjNS0_10empty_typeEbEEZZNS1_14partition_implILS8_3ELb0ES6_jNS0_17counting_iteratorIjlEEPS9_SE_NS0_5tupleIJPjSE_EEENSF_IJSE_SE_EEES9_SG_JZNS1_25segmented_radix_sort_implINS0_14default_configELb1EPK6__halfPSL_PKlPlN2at6native12_GLOBAL__N_18offset_tEEE10hipError_tPvRmT1_PNSt15iterator_traitsISZ_E10value_typeET2_T3_PNS10_IS15_E10value_typeET4_jRbjT5_S1B_jjP12ihipStream_tbEUljE_EEESW_SX_SY_S15_S19_S1B_T6_T7_T9_mT8_S1D_bDpT10_ENKUlT_T0_E_clISt17integral_constantIbLb0EES1Q_EEDaS1L_S1M_EUlS1L_E_NS1_11comp_targetILNS1_3genE0ELNS1_11target_archE4294967295ELNS1_3gpuE0ELNS1_3repE0EEENS1_30default_config_static_selectorELNS0_4arch9wavefront6targetE1EEEvSZ_
    .private_segment_fixed_size: 0
    .sgpr_count:     4
    .sgpr_spill_count: 0
    .symbol:         _ZN7rocprim17ROCPRIM_400000_NS6detail17trampoline_kernelINS0_13select_configILj256ELj13ELNS0_17block_load_methodE3ELS4_3ELS4_3ELNS0_20block_scan_algorithmE0ELj4294967295EEENS1_25partition_config_selectorILNS1_17partition_subalgoE3EjNS0_10empty_typeEbEEZZNS1_14partition_implILS8_3ELb0ES6_jNS0_17counting_iteratorIjlEEPS9_SE_NS0_5tupleIJPjSE_EEENSF_IJSE_SE_EEES9_SG_JZNS1_25segmented_radix_sort_implINS0_14default_configELb1EPK6__halfPSL_PKlPlN2at6native12_GLOBAL__N_18offset_tEEE10hipError_tPvRmT1_PNSt15iterator_traitsISZ_E10value_typeET2_T3_PNS10_IS15_E10value_typeET4_jRbjT5_S1B_jjP12ihipStream_tbEUljE_EEESW_SX_SY_S15_S19_S1B_T6_T7_T9_mT8_S1D_bDpT10_ENKUlT_T0_E_clISt17integral_constantIbLb0EES1Q_EEDaS1L_S1M_EUlS1L_E_NS1_11comp_targetILNS1_3genE0ELNS1_11target_archE4294967295ELNS1_3gpuE0ELNS1_3repE0EEENS1_30default_config_static_selectorELNS0_4arch9wavefront6targetE1EEEvSZ_.kd
    .uniform_work_group_size: 1
    .uses_dynamic_stack: false
    .vgpr_count:     0
    .vgpr_spill_count: 0
    .wavefront_size: 64
  - .args:
      - .offset:         0
        .size:           144
        .value_kind:     by_value
    .group_segment_fixed_size: 0
    .kernarg_segment_align: 8
    .kernarg_segment_size: 144
    .language:       OpenCL C
    .language_version:
      - 2
      - 0
    .max_flat_workgroup_size: 256
    .name:           _ZN7rocprim17ROCPRIM_400000_NS6detail17trampoline_kernelINS0_13select_configILj256ELj13ELNS0_17block_load_methodE3ELS4_3ELS4_3ELNS0_20block_scan_algorithmE0ELj4294967295EEENS1_25partition_config_selectorILNS1_17partition_subalgoE3EjNS0_10empty_typeEbEEZZNS1_14partition_implILS8_3ELb0ES6_jNS0_17counting_iteratorIjlEEPS9_SE_NS0_5tupleIJPjSE_EEENSF_IJSE_SE_EEES9_SG_JZNS1_25segmented_radix_sort_implINS0_14default_configELb1EPK6__halfPSL_PKlPlN2at6native12_GLOBAL__N_18offset_tEEE10hipError_tPvRmT1_PNSt15iterator_traitsISZ_E10value_typeET2_T3_PNS10_IS15_E10value_typeET4_jRbjT5_S1B_jjP12ihipStream_tbEUljE_EEESW_SX_SY_S15_S19_S1B_T6_T7_T9_mT8_S1D_bDpT10_ENKUlT_T0_E_clISt17integral_constantIbLb0EES1Q_EEDaS1L_S1M_EUlS1L_E_NS1_11comp_targetILNS1_3genE5ELNS1_11target_archE942ELNS1_3gpuE9ELNS1_3repE0EEENS1_30default_config_static_selectorELNS0_4arch9wavefront6targetE1EEEvSZ_
    .private_segment_fixed_size: 0
    .sgpr_count:     4
    .sgpr_spill_count: 0
    .symbol:         _ZN7rocprim17ROCPRIM_400000_NS6detail17trampoline_kernelINS0_13select_configILj256ELj13ELNS0_17block_load_methodE3ELS4_3ELS4_3ELNS0_20block_scan_algorithmE0ELj4294967295EEENS1_25partition_config_selectorILNS1_17partition_subalgoE3EjNS0_10empty_typeEbEEZZNS1_14partition_implILS8_3ELb0ES6_jNS0_17counting_iteratorIjlEEPS9_SE_NS0_5tupleIJPjSE_EEENSF_IJSE_SE_EEES9_SG_JZNS1_25segmented_radix_sort_implINS0_14default_configELb1EPK6__halfPSL_PKlPlN2at6native12_GLOBAL__N_18offset_tEEE10hipError_tPvRmT1_PNSt15iterator_traitsISZ_E10value_typeET2_T3_PNS10_IS15_E10value_typeET4_jRbjT5_S1B_jjP12ihipStream_tbEUljE_EEESW_SX_SY_S15_S19_S1B_T6_T7_T9_mT8_S1D_bDpT10_ENKUlT_T0_E_clISt17integral_constantIbLb0EES1Q_EEDaS1L_S1M_EUlS1L_E_NS1_11comp_targetILNS1_3genE5ELNS1_11target_archE942ELNS1_3gpuE9ELNS1_3repE0EEENS1_30default_config_static_selectorELNS0_4arch9wavefront6targetE1EEEvSZ_.kd
    .uniform_work_group_size: 1
    .uses_dynamic_stack: false
    .vgpr_count:     0
    .vgpr_spill_count: 0
    .wavefront_size: 64
  - .args:
      - .offset:         0
        .size:           144
        .value_kind:     by_value
    .group_segment_fixed_size: 0
    .kernarg_segment_align: 8
    .kernarg_segment_size: 144
    .language:       OpenCL C
    .language_version:
      - 2
      - 0
    .max_flat_workgroup_size: 256
    .name:           _ZN7rocprim17ROCPRIM_400000_NS6detail17trampoline_kernelINS0_13select_configILj256ELj13ELNS0_17block_load_methodE3ELS4_3ELS4_3ELNS0_20block_scan_algorithmE0ELj4294967295EEENS1_25partition_config_selectorILNS1_17partition_subalgoE3EjNS0_10empty_typeEbEEZZNS1_14partition_implILS8_3ELb0ES6_jNS0_17counting_iteratorIjlEEPS9_SE_NS0_5tupleIJPjSE_EEENSF_IJSE_SE_EEES9_SG_JZNS1_25segmented_radix_sort_implINS0_14default_configELb1EPK6__halfPSL_PKlPlN2at6native12_GLOBAL__N_18offset_tEEE10hipError_tPvRmT1_PNSt15iterator_traitsISZ_E10value_typeET2_T3_PNS10_IS15_E10value_typeET4_jRbjT5_S1B_jjP12ihipStream_tbEUljE_EEESW_SX_SY_S15_S19_S1B_T6_T7_T9_mT8_S1D_bDpT10_ENKUlT_T0_E_clISt17integral_constantIbLb0EES1Q_EEDaS1L_S1M_EUlS1L_E_NS1_11comp_targetILNS1_3genE4ELNS1_11target_archE910ELNS1_3gpuE8ELNS1_3repE0EEENS1_30default_config_static_selectorELNS0_4arch9wavefront6targetE1EEEvSZ_
    .private_segment_fixed_size: 0
    .sgpr_count:     4
    .sgpr_spill_count: 0
    .symbol:         _ZN7rocprim17ROCPRIM_400000_NS6detail17trampoline_kernelINS0_13select_configILj256ELj13ELNS0_17block_load_methodE3ELS4_3ELS4_3ELNS0_20block_scan_algorithmE0ELj4294967295EEENS1_25partition_config_selectorILNS1_17partition_subalgoE3EjNS0_10empty_typeEbEEZZNS1_14partition_implILS8_3ELb0ES6_jNS0_17counting_iteratorIjlEEPS9_SE_NS0_5tupleIJPjSE_EEENSF_IJSE_SE_EEES9_SG_JZNS1_25segmented_radix_sort_implINS0_14default_configELb1EPK6__halfPSL_PKlPlN2at6native12_GLOBAL__N_18offset_tEEE10hipError_tPvRmT1_PNSt15iterator_traitsISZ_E10value_typeET2_T3_PNS10_IS15_E10value_typeET4_jRbjT5_S1B_jjP12ihipStream_tbEUljE_EEESW_SX_SY_S15_S19_S1B_T6_T7_T9_mT8_S1D_bDpT10_ENKUlT_T0_E_clISt17integral_constantIbLb0EES1Q_EEDaS1L_S1M_EUlS1L_E_NS1_11comp_targetILNS1_3genE4ELNS1_11target_archE910ELNS1_3gpuE8ELNS1_3repE0EEENS1_30default_config_static_selectorELNS0_4arch9wavefront6targetE1EEEvSZ_.kd
    .uniform_work_group_size: 1
    .uses_dynamic_stack: false
    .vgpr_count:     0
    .vgpr_spill_count: 0
    .wavefront_size: 64
  - .args:
      - .offset:         0
        .size:           144
        .value_kind:     by_value
    .group_segment_fixed_size: 0
    .kernarg_segment_align: 8
    .kernarg_segment_size: 144
    .language:       OpenCL C
    .language_version:
      - 2
      - 0
    .max_flat_workgroup_size: 256
    .name:           _ZN7rocprim17ROCPRIM_400000_NS6detail17trampoline_kernelINS0_13select_configILj256ELj13ELNS0_17block_load_methodE3ELS4_3ELS4_3ELNS0_20block_scan_algorithmE0ELj4294967295EEENS1_25partition_config_selectorILNS1_17partition_subalgoE3EjNS0_10empty_typeEbEEZZNS1_14partition_implILS8_3ELb0ES6_jNS0_17counting_iteratorIjlEEPS9_SE_NS0_5tupleIJPjSE_EEENSF_IJSE_SE_EEES9_SG_JZNS1_25segmented_radix_sort_implINS0_14default_configELb1EPK6__halfPSL_PKlPlN2at6native12_GLOBAL__N_18offset_tEEE10hipError_tPvRmT1_PNSt15iterator_traitsISZ_E10value_typeET2_T3_PNS10_IS15_E10value_typeET4_jRbjT5_S1B_jjP12ihipStream_tbEUljE_EEESW_SX_SY_S15_S19_S1B_T6_T7_T9_mT8_S1D_bDpT10_ENKUlT_T0_E_clISt17integral_constantIbLb0EES1Q_EEDaS1L_S1M_EUlS1L_E_NS1_11comp_targetILNS1_3genE3ELNS1_11target_archE908ELNS1_3gpuE7ELNS1_3repE0EEENS1_30default_config_static_selectorELNS0_4arch9wavefront6targetE1EEEvSZ_
    .private_segment_fixed_size: 0
    .sgpr_count:     4
    .sgpr_spill_count: 0
    .symbol:         _ZN7rocprim17ROCPRIM_400000_NS6detail17trampoline_kernelINS0_13select_configILj256ELj13ELNS0_17block_load_methodE3ELS4_3ELS4_3ELNS0_20block_scan_algorithmE0ELj4294967295EEENS1_25partition_config_selectorILNS1_17partition_subalgoE3EjNS0_10empty_typeEbEEZZNS1_14partition_implILS8_3ELb0ES6_jNS0_17counting_iteratorIjlEEPS9_SE_NS0_5tupleIJPjSE_EEENSF_IJSE_SE_EEES9_SG_JZNS1_25segmented_radix_sort_implINS0_14default_configELb1EPK6__halfPSL_PKlPlN2at6native12_GLOBAL__N_18offset_tEEE10hipError_tPvRmT1_PNSt15iterator_traitsISZ_E10value_typeET2_T3_PNS10_IS15_E10value_typeET4_jRbjT5_S1B_jjP12ihipStream_tbEUljE_EEESW_SX_SY_S15_S19_S1B_T6_T7_T9_mT8_S1D_bDpT10_ENKUlT_T0_E_clISt17integral_constantIbLb0EES1Q_EEDaS1L_S1M_EUlS1L_E_NS1_11comp_targetILNS1_3genE3ELNS1_11target_archE908ELNS1_3gpuE7ELNS1_3repE0EEENS1_30default_config_static_selectorELNS0_4arch9wavefront6targetE1EEEvSZ_.kd
    .uniform_work_group_size: 1
    .uses_dynamic_stack: false
    .vgpr_count:     0
    .vgpr_spill_count: 0
    .wavefront_size: 64
  - .args:
      - .offset:         0
        .size:           144
        .value_kind:     by_value
    .group_segment_fixed_size: 13320
    .kernarg_segment_align: 8
    .kernarg_segment_size: 144
    .language:       OpenCL C
    .language_version:
      - 2
      - 0
    .max_flat_workgroup_size: 256
    .name:           _ZN7rocprim17ROCPRIM_400000_NS6detail17trampoline_kernelINS0_13select_configILj256ELj13ELNS0_17block_load_methodE3ELS4_3ELS4_3ELNS0_20block_scan_algorithmE0ELj4294967295EEENS1_25partition_config_selectorILNS1_17partition_subalgoE3EjNS0_10empty_typeEbEEZZNS1_14partition_implILS8_3ELb0ES6_jNS0_17counting_iteratorIjlEEPS9_SE_NS0_5tupleIJPjSE_EEENSF_IJSE_SE_EEES9_SG_JZNS1_25segmented_radix_sort_implINS0_14default_configELb1EPK6__halfPSL_PKlPlN2at6native12_GLOBAL__N_18offset_tEEE10hipError_tPvRmT1_PNSt15iterator_traitsISZ_E10value_typeET2_T3_PNS10_IS15_E10value_typeET4_jRbjT5_S1B_jjP12ihipStream_tbEUljE_EEESW_SX_SY_S15_S19_S1B_T6_T7_T9_mT8_S1D_bDpT10_ENKUlT_T0_E_clISt17integral_constantIbLb0EES1Q_EEDaS1L_S1M_EUlS1L_E_NS1_11comp_targetILNS1_3genE2ELNS1_11target_archE906ELNS1_3gpuE6ELNS1_3repE0EEENS1_30default_config_static_selectorELNS0_4arch9wavefront6targetE1EEEvSZ_
    .private_segment_fixed_size: 0
    .sgpr_count:     52
    .sgpr_spill_count: 0
    .symbol:         _ZN7rocprim17ROCPRIM_400000_NS6detail17trampoline_kernelINS0_13select_configILj256ELj13ELNS0_17block_load_methodE3ELS4_3ELS4_3ELNS0_20block_scan_algorithmE0ELj4294967295EEENS1_25partition_config_selectorILNS1_17partition_subalgoE3EjNS0_10empty_typeEbEEZZNS1_14partition_implILS8_3ELb0ES6_jNS0_17counting_iteratorIjlEEPS9_SE_NS0_5tupleIJPjSE_EEENSF_IJSE_SE_EEES9_SG_JZNS1_25segmented_radix_sort_implINS0_14default_configELb1EPK6__halfPSL_PKlPlN2at6native12_GLOBAL__N_18offset_tEEE10hipError_tPvRmT1_PNSt15iterator_traitsISZ_E10value_typeET2_T3_PNS10_IS15_E10value_typeET4_jRbjT5_S1B_jjP12ihipStream_tbEUljE_EEESW_SX_SY_S15_S19_S1B_T6_T7_T9_mT8_S1D_bDpT10_ENKUlT_T0_E_clISt17integral_constantIbLb0EES1Q_EEDaS1L_S1M_EUlS1L_E_NS1_11comp_targetILNS1_3genE2ELNS1_11target_archE906ELNS1_3gpuE6ELNS1_3repE0EEENS1_30default_config_static_selectorELNS0_4arch9wavefront6targetE1EEEvSZ_.kd
    .uniform_work_group_size: 1
    .uses_dynamic_stack: false
    .vgpr_count:     69
    .vgpr_spill_count: 0
    .wavefront_size: 64
  - .args:
      - .offset:         0
        .size:           144
        .value_kind:     by_value
    .group_segment_fixed_size: 0
    .kernarg_segment_align: 8
    .kernarg_segment_size: 144
    .language:       OpenCL C
    .language_version:
      - 2
      - 0
    .max_flat_workgroup_size: 256
    .name:           _ZN7rocprim17ROCPRIM_400000_NS6detail17trampoline_kernelINS0_13select_configILj256ELj13ELNS0_17block_load_methodE3ELS4_3ELS4_3ELNS0_20block_scan_algorithmE0ELj4294967295EEENS1_25partition_config_selectorILNS1_17partition_subalgoE3EjNS0_10empty_typeEbEEZZNS1_14partition_implILS8_3ELb0ES6_jNS0_17counting_iteratorIjlEEPS9_SE_NS0_5tupleIJPjSE_EEENSF_IJSE_SE_EEES9_SG_JZNS1_25segmented_radix_sort_implINS0_14default_configELb1EPK6__halfPSL_PKlPlN2at6native12_GLOBAL__N_18offset_tEEE10hipError_tPvRmT1_PNSt15iterator_traitsISZ_E10value_typeET2_T3_PNS10_IS15_E10value_typeET4_jRbjT5_S1B_jjP12ihipStream_tbEUljE_EEESW_SX_SY_S15_S19_S1B_T6_T7_T9_mT8_S1D_bDpT10_ENKUlT_T0_E_clISt17integral_constantIbLb0EES1Q_EEDaS1L_S1M_EUlS1L_E_NS1_11comp_targetILNS1_3genE10ELNS1_11target_archE1200ELNS1_3gpuE4ELNS1_3repE0EEENS1_30default_config_static_selectorELNS0_4arch9wavefront6targetE1EEEvSZ_
    .private_segment_fixed_size: 0
    .sgpr_count:     4
    .sgpr_spill_count: 0
    .symbol:         _ZN7rocprim17ROCPRIM_400000_NS6detail17trampoline_kernelINS0_13select_configILj256ELj13ELNS0_17block_load_methodE3ELS4_3ELS4_3ELNS0_20block_scan_algorithmE0ELj4294967295EEENS1_25partition_config_selectorILNS1_17partition_subalgoE3EjNS0_10empty_typeEbEEZZNS1_14partition_implILS8_3ELb0ES6_jNS0_17counting_iteratorIjlEEPS9_SE_NS0_5tupleIJPjSE_EEENSF_IJSE_SE_EEES9_SG_JZNS1_25segmented_radix_sort_implINS0_14default_configELb1EPK6__halfPSL_PKlPlN2at6native12_GLOBAL__N_18offset_tEEE10hipError_tPvRmT1_PNSt15iterator_traitsISZ_E10value_typeET2_T3_PNS10_IS15_E10value_typeET4_jRbjT5_S1B_jjP12ihipStream_tbEUljE_EEESW_SX_SY_S15_S19_S1B_T6_T7_T9_mT8_S1D_bDpT10_ENKUlT_T0_E_clISt17integral_constantIbLb0EES1Q_EEDaS1L_S1M_EUlS1L_E_NS1_11comp_targetILNS1_3genE10ELNS1_11target_archE1200ELNS1_3gpuE4ELNS1_3repE0EEENS1_30default_config_static_selectorELNS0_4arch9wavefront6targetE1EEEvSZ_.kd
    .uniform_work_group_size: 1
    .uses_dynamic_stack: false
    .vgpr_count:     0
    .vgpr_spill_count: 0
    .wavefront_size: 64
  - .args:
      - .offset:         0
        .size:           144
        .value_kind:     by_value
    .group_segment_fixed_size: 0
    .kernarg_segment_align: 8
    .kernarg_segment_size: 144
    .language:       OpenCL C
    .language_version:
      - 2
      - 0
    .max_flat_workgroup_size: 256
    .name:           _ZN7rocprim17ROCPRIM_400000_NS6detail17trampoline_kernelINS0_13select_configILj256ELj13ELNS0_17block_load_methodE3ELS4_3ELS4_3ELNS0_20block_scan_algorithmE0ELj4294967295EEENS1_25partition_config_selectorILNS1_17partition_subalgoE3EjNS0_10empty_typeEbEEZZNS1_14partition_implILS8_3ELb0ES6_jNS0_17counting_iteratorIjlEEPS9_SE_NS0_5tupleIJPjSE_EEENSF_IJSE_SE_EEES9_SG_JZNS1_25segmented_radix_sort_implINS0_14default_configELb1EPK6__halfPSL_PKlPlN2at6native12_GLOBAL__N_18offset_tEEE10hipError_tPvRmT1_PNSt15iterator_traitsISZ_E10value_typeET2_T3_PNS10_IS15_E10value_typeET4_jRbjT5_S1B_jjP12ihipStream_tbEUljE_EEESW_SX_SY_S15_S19_S1B_T6_T7_T9_mT8_S1D_bDpT10_ENKUlT_T0_E_clISt17integral_constantIbLb0EES1Q_EEDaS1L_S1M_EUlS1L_E_NS1_11comp_targetILNS1_3genE9ELNS1_11target_archE1100ELNS1_3gpuE3ELNS1_3repE0EEENS1_30default_config_static_selectorELNS0_4arch9wavefront6targetE1EEEvSZ_
    .private_segment_fixed_size: 0
    .sgpr_count:     4
    .sgpr_spill_count: 0
    .symbol:         _ZN7rocprim17ROCPRIM_400000_NS6detail17trampoline_kernelINS0_13select_configILj256ELj13ELNS0_17block_load_methodE3ELS4_3ELS4_3ELNS0_20block_scan_algorithmE0ELj4294967295EEENS1_25partition_config_selectorILNS1_17partition_subalgoE3EjNS0_10empty_typeEbEEZZNS1_14partition_implILS8_3ELb0ES6_jNS0_17counting_iteratorIjlEEPS9_SE_NS0_5tupleIJPjSE_EEENSF_IJSE_SE_EEES9_SG_JZNS1_25segmented_radix_sort_implINS0_14default_configELb1EPK6__halfPSL_PKlPlN2at6native12_GLOBAL__N_18offset_tEEE10hipError_tPvRmT1_PNSt15iterator_traitsISZ_E10value_typeET2_T3_PNS10_IS15_E10value_typeET4_jRbjT5_S1B_jjP12ihipStream_tbEUljE_EEESW_SX_SY_S15_S19_S1B_T6_T7_T9_mT8_S1D_bDpT10_ENKUlT_T0_E_clISt17integral_constantIbLb0EES1Q_EEDaS1L_S1M_EUlS1L_E_NS1_11comp_targetILNS1_3genE9ELNS1_11target_archE1100ELNS1_3gpuE3ELNS1_3repE0EEENS1_30default_config_static_selectorELNS0_4arch9wavefront6targetE1EEEvSZ_.kd
    .uniform_work_group_size: 1
    .uses_dynamic_stack: false
    .vgpr_count:     0
    .vgpr_spill_count: 0
    .wavefront_size: 64
  - .args:
      - .offset:         0
        .size:           144
        .value_kind:     by_value
    .group_segment_fixed_size: 0
    .kernarg_segment_align: 8
    .kernarg_segment_size: 144
    .language:       OpenCL C
    .language_version:
      - 2
      - 0
    .max_flat_workgroup_size: 256
    .name:           _ZN7rocprim17ROCPRIM_400000_NS6detail17trampoline_kernelINS0_13select_configILj256ELj13ELNS0_17block_load_methodE3ELS4_3ELS4_3ELNS0_20block_scan_algorithmE0ELj4294967295EEENS1_25partition_config_selectorILNS1_17partition_subalgoE3EjNS0_10empty_typeEbEEZZNS1_14partition_implILS8_3ELb0ES6_jNS0_17counting_iteratorIjlEEPS9_SE_NS0_5tupleIJPjSE_EEENSF_IJSE_SE_EEES9_SG_JZNS1_25segmented_radix_sort_implINS0_14default_configELb1EPK6__halfPSL_PKlPlN2at6native12_GLOBAL__N_18offset_tEEE10hipError_tPvRmT1_PNSt15iterator_traitsISZ_E10value_typeET2_T3_PNS10_IS15_E10value_typeET4_jRbjT5_S1B_jjP12ihipStream_tbEUljE_EEESW_SX_SY_S15_S19_S1B_T6_T7_T9_mT8_S1D_bDpT10_ENKUlT_T0_E_clISt17integral_constantIbLb0EES1Q_EEDaS1L_S1M_EUlS1L_E_NS1_11comp_targetILNS1_3genE8ELNS1_11target_archE1030ELNS1_3gpuE2ELNS1_3repE0EEENS1_30default_config_static_selectorELNS0_4arch9wavefront6targetE1EEEvSZ_
    .private_segment_fixed_size: 0
    .sgpr_count:     4
    .sgpr_spill_count: 0
    .symbol:         _ZN7rocprim17ROCPRIM_400000_NS6detail17trampoline_kernelINS0_13select_configILj256ELj13ELNS0_17block_load_methodE3ELS4_3ELS4_3ELNS0_20block_scan_algorithmE0ELj4294967295EEENS1_25partition_config_selectorILNS1_17partition_subalgoE3EjNS0_10empty_typeEbEEZZNS1_14partition_implILS8_3ELb0ES6_jNS0_17counting_iteratorIjlEEPS9_SE_NS0_5tupleIJPjSE_EEENSF_IJSE_SE_EEES9_SG_JZNS1_25segmented_radix_sort_implINS0_14default_configELb1EPK6__halfPSL_PKlPlN2at6native12_GLOBAL__N_18offset_tEEE10hipError_tPvRmT1_PNSt15iterator_traitsISZ_E10value_typeET2_T3_PNS10_IS15_E10value_typeET4_jRbjT5_S1B_jjP12ihipStream_tbEUljE_EEESW_SX_SY_S15_S19_S1B_T6_T7_T9_mT8_S1D_bDpT10_ENKUlT_T0_E_clISt17integral_constantIbLb0EES1Q_EEDaS1L_S1M_EUlS1L_E_NS1_11comp_targetILNS1_3genE8ELNS1_11target_archE1030ELNS1_3gpuE2ELNS1_3repE0EEENS1_30default_config_static_selectorELNS0_4arch9wavefront6targetE1EEEvSZ_.kd
    .uniform_work_group_size: 1
    .uses_dynamic_stack: false
    .vgpr_count:     0
    .vgpr_spill_count: 0
    .wavefront_size: 64
  - .args:
      - .offset:         0
        .size:           152
        .value_kind:     by_value
    .group_segment_fixed_size: 0
    .kernarg_segment_align: 8
    .kernarg_segment_size: 152
    .language:       OpenCL C
    .language_version:
      - 2
      - 0
    .max_flat_workgroup_size: 256
    .name:           _ZN7rocprim17ROCPRIM_400000_NS6detail17trampoline_kernelINS0_13select_configILj256ELj13ELNS0_17block_load_methodE3ELS4_3ELS4_3ELNS0_20block_scan_algorithmE0ELj4294967295EEENS1_25partition_config_selectorILNS1_17partition_subalgoE3EjNS0_10empty_typeEbEEZZNS1_14partition_implILS8_3ELb0ES6_jNS0_17counting_iteratorIjlEEPS9_SE_NS0_5tupleIJPjSE_EEENSF_IJSE_SE_EEES9_SG_JZNS1_25segmented_radix_sort_implINS0_14default_configELb1EPK6__halfPSL_PKlPlN2at6native12_GLOBAL__N_18offset_tEEE10hipError_tPvRmT1_PNSt15iterator_traitsISZ_E10value_typeET2_T3_PNS10_IS15_E10value_typeET4_jRbjT5_S1B_jjP12ihipStream_tbEUljE_EEESW_SX_SY_S15_S19_S1B_T6_T7_T9_mT8_S1D_bDpT10_ENKUlT_T0_E_clISt17integral_constantIbLb1EES1Q_EEDaS1L_S1M_EUlS1L_E_NS1_11comp_targetILNS1_3genE0ELNS1_11target_archE4294967295ELNS1_3gpuE0ELNS1_3repE0EEENS1_30default_config_static_selectorELNS0_4arch9wavefront6targetE1EEEvSZ_
    .private_segment_fixed_size: 0
    .sgpr_count:     4
    .sgpr_spill_count: 0
    .symbol:         _ZN7rocprim17ROCPRIM_400000_NS6detail17trampoline_kernelINS0_13select_configILj256ELj13ELNS0_17block_load_methodE3ELS4_3ELS4_3ELNS0_20block_scan_algorithmE0ELj4294967295EEENS1_25partition_config_selectorILNS1_17partition_subalgoE3EjNS0_10empty_typeEbEEZZNS1_14partition_implILS8_3ELb0ES6_jNS0_17counting_iteratorIjlEEPS9_SE_NS0_5tupleIJPjSE_EEENSF_IJSE_SE_EEES9_SG_JZNS1_25segmented_radix_sort_implINS0_14default_configELb1EPK6__halfPSL_PKlPlN2at6native12_GLOBAL__N_18offset_tEEE10hipError_tPvRmT1_PNSt15iterator_traitsISZ_E10value_typeET2_T3_PNS10_IS15_E10value_typeET4_jRbjT5_S1B_jjP12ihipStream_tbEUljE_EEESW_SX_SY_S15_S19_S1B_T6_T7_T9_mT8_S1D_bDpT10_ENKUlT_T0_E_clISt17integral_constantIbLb1EES1Q_EEDaS1L_S1M_EUlS1L_E_NS1_11comp_targetILNS1_3genE0ELNS1_11target_archE4294967295ELNS1_3gpuE0ELNS1_3repE0EEENS1_30default_config_static_selectorELNS0_4arch9wavefront6targetE1EEEvSZ_.kd
    .uniform_work_group_size: 1
    .uses_dynamic_stack: false
    .vgpr_count:     0
    .vgpr_spill_count: 0
    .wavefront_size: 64
  - .args:
      - .offset:         0
        .size:           152
        .value_kind:     by_value
    .group_segment_fixed_size: 0
    .kernarg_segment_align: 8
    .kernarg_segment_size: 152
    .language:       OpenCL C
    .language_version:
      - 2
      - 0
    .max_flat_workgroup_size: 256
    .name:           _ZN7rocprim17ROCPRIM_400000_NS6detail17trampoline_kernelINS0_13select_configILj256ELj13ELNS0_17block_load_methodE3ELS4_3ELS4_3ELNS0_20block_scan_algorithmE0ELj4294967295EEENS1_25partition_config_selectorILNS1_17partition_subalgoE3EjNS0_10empty_typeEbEEZZNS1_14partition_implILS8_3ELb0ES6_jNS0_17counting_iteratorIjlEEPS9_SE_NS0_5tupleIJPjSE_EEENSF_IJSE_SE_EEES9_SG_JZNS1_25segmented_radix_sort_implINS0_14default_configELb1EPK6__halfPSL_PKlPlN2at6native12_GLOBAL__N_18offset_tEEE10hipError_tPvRmT1_PNSt15iterator_traitsISZ_E10value_typeET2_T3_PNS10_IS15_E10value_typeET4_jRbjT5_S1B_jjP12ihipStream_tbEUljE_EEESW_SX_SY_S15_S19_S1B_T6_T7_T9_mT8_S1D_bDpT10_ENKUlT_T0_E_clISt17integral_constantIbLb1EES1Q_EEDaS1L_S1M_EUlS1L_E_NS1_11comp_targetILNS1_3genE5ELNS1_11target_archE942ELNS1_3gpuE9ELNS1_3repE0EEENS1_30default_config_static_selectorELNS0_4arch9wavefront6targetE1EEEvSZ_
    .private_segment_fixed_size: 0
    .sgpr_count:     4
    .sgpr_spill_count: 0
    .symbol:         _ZN7rocprim17ROCPRIM_400000_NS6detail17trampoline_kernelINS0_13select_configILj256ELj13ELNS0_17block_load_methodE3ELS4_3ELS4_3ELNS0_20block_scan_algorithmE0ELj4294967295EEENS1_25partition_config_selectorILNS1_17partition_subalgoE3EjNS0_10empty_typeEbEEZZNS1_14partition_implILS8_3ELb0ES6_jNS0_17counting_iteratorIjlEEPS9_SE_NS0_5tupleIJPjSE_EEENSF_IJSE_SE_EEES9_SG_JZNS1_25segmented_radix_sort_implINS0_14default_configELb1EPK6__halfPSL_PKlPlN2at6native12_GLOBAL__N_18offset_tEEE10hipError_tPvRmT1_PNSt15iterator_traitsISZ_E10value_typeET2_T3_PNS10_IS15_E10value_typeET4_jRbjT5_S1B_jjP12ihipStream_tbEUljE_EEESW_SX_SY_S15_S19_S1B_T6_T7_T9_mT8_S1D_bDpT10_ENKUlT_T0_E_clISt17integral_constantIbLb1EES1Q_EEDaS1L_S1M_EUlS1L_E_NS1_11comp_targetILNS1_3genE5ELNS1_11target_archE942ELNS1_3gpuE9ELNS1_3repE0EEENS1_30default_config_static_selectorELNS0_4arch9wavefront6targetE1EEEvSZ_.kd
    .uniform_work_group_size: 1
    .uses_dynamic_stack: false
    .vgpr_count:     0
    .vgpr_spill_count: 0
    .wavefront_size: 64
  - .args:
      - .offset:         0
        .size:           152
        .value_kind:     by_value
    .group_segment_fixed_size: 0
    .kernarg_segment_align: 8
    .kernarg_segment_size: 152
    .language:       OpenCL C
    .language_version:
      - 2
      - 0
    .max_flat_workgroup_size: 256
    .name:           _ZN7rocprim17ROCPRIM_400000_NS6detail17trampoline_kernelINS0_13select_configILj256ELj13ELNS0_17block_load_methodE3ELS4_3ELS4_3ELNS0_20block_scan_algorithmE0ELj4294967295EEENS1_25partition_config_selectorILNS1_17partition_subalgoE3EjNS0_10empty_typeEbEEZZNS1_14partition_implILS8_3ELb0ES6_jNS0_17counting_iteratorIjlEEPS9_SE_NS0_5tupleIJPjSE_EEENSF_IJSE_SE_EEES9_SG_JZNS1_25segmented_radix_sort_implINS0_14default_configELb1EPK6__halfPSL_PKlPlN2at6native12_GLOBAL__N_18offset_tEEE10hipError_tPvRmT1_PNSt15iterator_traitsISZ_E10value_typeET2_T3_PNS10_IS15_E10value_typeET4_jRbjT5_S1B_jjP12ihipStream_tbEUljE_EEESW_SX_SY_S15_S19_S1B_T6_T7_T9_mT8_S1D_bDpT10_ENKUlT_T0_E_clISt17integral_constantIbLb1EES1Q_EEDaS1L_S1M_EUlS1L_E_NS1_11comp_targetILNS1_3genE4ELNS1_11target_archE910ELNS1_3gpuE8ELNS1_3repE0EEENS1_30default_config_static_selectorELNS0_4arch9wavefront6targetE1EEEvSZ_
    .private_segment_fixed_size: 0
    .sgpr_count:     4
    .sgpr_spill_count: 0
    .symbol:         _ZN7rocprim17ROCPRIM_400000_NS6detail17trampoline_kernelINS0_13select_configILj256ELj13ELNS0_17block_load_methodE3ELS4_3ELS4_3ELNS0_20block_scan_algorithmE0ELj4294967295EEENS1_25partition_config_selectorILNS1_17partition_subalgoE3EjNS0_10empty_typeEbEEZZNS1_14partition_implILS8_3ELb0ES6_jNS0_17counting_iteratorIjlEEPS9_SE_NS0_5tupleIJPjSE_EEENSF_IJSE_SE_EEES9_SG_JZNS1_25segmented_radix_sort_implINS0_14default_configELb1EPK6__halfPSL_PKlPlN2at6native12_GLOBAL__N_18offset_tEEE10hipError_tPvRmT1_PNSt15iterator_traitsISZ_E10value_typeET2_T3_PNS10_IS15_E10value_typeET4_jRbjT5_S1B_jjP12ihipStream_tbEUljE_EEESW_SX_SY_S15_S19_S1B_T6_T7_T9_mT8_S1D_bDpT10_ENKUlT_T0_E_clISt17integral_constantIbLb1EES1Q_EEDaS1L_S1M_EUlS1L_E_NS1_11comp_targetILNS1_3genE4ELNS1_11target_archE910ELNS1_3gpuE8ELNS1_3repE0EEENS1_30default_config_static_selectorELNS0_4arch9wavefront6targetE1EEEvSZ_.kd
    .uniform_work_group_size: 1
    .uses_dynamic_stack: false
    .vgpr_count:     0
    .vgpr_spill_count: 0
    .wavefront_size: 64
  - .args:
      - .offset:         0
        .size:           152
        .value_kind:     by_value
    .group_segment_fixed_size: 0
    .kernarg_segment_align: 8
    .kernarg_segment_size: 152
    .language:       OpenCL C
    .language_version:
      - 2
      - 0
    .max_flat_workgroup_size: 256
    .name:           _ZN7rocprim17ROCPRIM_400000_NS6detail17trampoline_kernelINS0_13select_configILj256ELj13ELNS0_17block_load_methodE3ELS4_3ELS4_3ELNS0_20block_scan_algorithmE0ELj4294967295EEENS1_25partition_config_selectorILNS1_17partition_subalgoE3EjNS0_10empty_typeEbEEZZNS1_14partition_implILS8_3ELb0ES6_jNS0_17counting_iteratorIjlEEPS9_SE_NS0_5tupleIJPjSE_EEENSF_IJSE_SE_EEES9_SG_JZNS1_25segmented_radix_sort_implINS0_14default_configELb1EPK6__halfPSL_PKlPlN2at6native12_GLOBAL__N_18offset_tEEE10hipError_tPvRmT1_PNSt15iterator_traitsISZ_E10value_typeET2_T3_PNS10_IS15_E10value_typeET4_jRbjT5_S1B_jjP12ihipStream_tbEUljE_EEESW_SX_SY_S15_S19_S1B_T6_T7_T9_mT8_S1D_bDpT10_ENKUlT_T0_E_clISt17integral_constantIbLb1EES1Q_EEDaS1L_S1M_EUlS1L_E_NS1_11comp_targetILNS1_3genE3ELNS1_11target_archE908ELNS1_3gpuE7ELNS1_3repE0EEENS1_30default_config_static_selectorELNS0_4arch9wavefront6targetE1EEEvSZ_
    .private_segment_fixed_size: 0
    .sgpr_count:     4
    .sgpr_spill_count: 0
    .symbol:         _ZN7rocprim17ROCPRIM_400000_NS6detail17trampoline_kernelINS0_13select_configILj256ELj13ELNS0_17block_load_methodE3ELS4_3ELS4_3ELNS0_20block_scan_algorithmE0ELj4294967295EEENS1_25partition_config_selectorILNS1_17partition_subalgoE3EjNS0_10empty_typeEbEEZZNS1_14partition_implILS8_3ELb0ES6_jNS0_17counting_iteratorIjlEEPS9_SE_NS0_5tupleIJPjSE_EEENSF_IJSE_SE_EEES9_SG_JZNS1_25segmented_radix_sort_implINS0_14default_configELb1EPK6__halfPSL_PKlPlN2at6native12_GLOBAL__N_18offset_tEEE10hipError_tPvRmT1_PNSt15iterator_traitsISZ_E10value_typeET2_T3_PNS10_IS15_E10value_typeET4_jRbjT5_S1B_jjP12ihipStream_tbEUljE_EEESW_SX_SY_S15_S19_S1B_T6_T7_T9_mT8_S1D_bDpT10_ENKUlT_T0_E_clISt17integral_constantIbLb1EES1Q_EEDaS1L_S1M_EUlS1L_E_NS1_11comp_targetILNS1_3genE3ELNS1_11target_archE908ELNS1_3gpuE7ELNS1_3repE0EEENS1_30default_config_static_selectorELNS0_4arch9wavefront6targetE1EEEvSZ_.kd
    .uniform_work_group_size: 1
    .uses_dynamic_stack: false
    .vgpr_count:     0
    .vgpr_spill_count: 0
    .wavefront_size: 64
  - .args:
      - .offset:         0
        .size:           152
        .value_kind:     by_value
    .group_segment_fixed_size: 0
    .kernarg_segment_align: 8
    .kernarg_segment_size: 152
    .language:       OpenCL C
    .language_version:
      - 2
      - 0
    .max_flat_workgroup_size: 256
    .name:           _ZN7rocprim17ROCPRIM_400000_NS6detail17trampoline_kernelINS0_13select_configILj256ELj13ELNS0_17block_load_methodE3ELS4_3ELS4_3ELNS0_20block_scan_algorithmE0ELj4294967295EEENS1_25partition_config_selectorILNS1_17partition_subalgoE3EjNS0_10empty_typeEbEEZZNS1_14partition_implILS8_3ELb0ES6_jNS0_17counting_iteratorIjlEEPS9_SE_NS0_5tupleIJPjSE_EEENSF_IJSE_SE_EEES9_SG_JZNS1_25segmented_radix_sort_implINS0_14default_configELb1EPK6__halfPSL_PKlPlN2at6native12_GLOBAL__N_18offset_tEEE10hipError_tPvRmT1_PNSt15iterator_traitsISZ_E10value_typeET2_T3_PNS10_IS15_E10value_typeET4_jRbjT5_S1B_jjP12ihipStream_tbEUljE_EEESW_SX_SY_S15_S19_S1B_T6_T7_T9_mT8_S1D_bDpT10_ENKUlT_T0_E_clISt17integral_constantIbLb1EES1Q_EEDaS1L_S1M_EUlS1L_E_NS1_11comp_targetILNS1_3genE2ELNS1_11target_archE906ELNS1_3gpuE6ELNS1_3repE0EEENS1_30default_config_static_selectorELNS0_4arch9wavefront6targetE1EEEvSZ_
    .private_segment_fixed_size: 0
    .sgpr_count:     4
    .sgpr_spill_count: 0
    .symbol:         _ZN7rocprim17ROCPRIM_400000_NS6detail17trampoline_kernelINS0_13select_configILj256ELj13ELNS0_17block_load_methodE3ELS4_3ELS4_3ELNS0_20block_scan_algorithmE0ELj4294967295EEENS1_25partition_config_selectorILNS1_17partition_subalgoE3EjNS0_10empty_typeEbEEZZNS1_14partition_implILS8_3ELb0ES6_jNS0_17counting_iteratorIjlEEPS9_SE_NS0_5tupleIJPjSE_EEENSF_IJSE_SE_EEES9_SG_JZNS1_25segmented_radix_sort_implINS0_14default_configELb1EPK6__halfPSL_PKlPlN2at6native12_GLOBAL__N_18offset_tEEE10hipError_tPvRmT1_PNSt15iterator_traitsISZ_E10value_typeET2_T3_PNS10_IS15_E10value_typeET4_jRbjT5_S1B_jjP12ihipStream_tbEUljE_EEESW_SX_SY_S15_S19_S1B_T6_T7_T9_mT8_S1D_bDpT10_ENKUlT_T0_E_clISt17integral_constantIbLb1EES1Q_EEDaS1L_S1M_EUlS1L_E_NS1_11comp_targetILNS1_3genE2ELNS1_11target_archE906ELNS1_3gpuE6ELNS1_3repE0EEENS1_30default_config_static_selectorELNS0_4arch9wavefront6targetE1EEEvSZ_.kd
    .uniform_work_group_size: 1
    .uses_dynamic_stack: false
    .vgpr_count:     0
    .vgpr_spill_count: 0
    .wavefront_size: 64
  - .args:
      - .offset:         0
        .size:           152
        .value_kind:     by_value
    .group_segment_fixed_size: 0
    .kernarg_segment_align: 8
    .kernarg_segment_size: 152
    .language:       OpenCL C
    .language_version:
      - 2
      - 0
    .max_flat_workgroup_size: 256
    .name:           _ZN7rocprim17ROCPRIM_400000_NS6detail17trampoline_kernelINS0_13select_configILj256ELj13ELNS0_17block_load_methodE3ELS4_3ELS4_3ELNS0_20block_scan_algorithmE0ELj4294967295EEENS1_25partition_config_selectorILNS1_17partition_subalgoE3EjNS0_10empty_typeEbEEZZNS1_14partition_implILS8_3ELb0ES6_jNS0_17counting_iteratorIjlEEPS9_SE_NS0_5tupleIJPjSE_EEENSF_IJSE_SE_EEES9_SG_JZNS1_25segmented_radix_sort_implINS0_14default_configELb1EPK6__halfPSL_PKlPlN2at6native12_GLOBAL__N_18offset_tEEE10hipError_tPvRmT1_PNSt15iterator_traitsISZ_E10value_typeET2_T3_PNS10_IS15_E10value_typeET4_jRbjT5_S1B_jjP12ihipStream_tbEUljE_EEESW_SX_SY_S15_S19_S1B_T6_T7_T9_mT8_S1D_bDpT10_ENKUlT_T0_E_clISt17integral_constantIbLb1EES1Q_EEDaS1L_S1M_EUlS1L_E_NS1_11comp_targetILNS1_3genE10ELNS1_11target_archE1200ELNS1_3gpuE4ELNS1_3repE0EEENS1_30default_config_static_selectorELNS0_4arch9wavefront6targetE1EEEvSZ_
    .private_segment_fixed_size: 0
    .sgpr_count:     4
    .sgpr_spill_count: 0
    .symbol:         _ZN7rocprim17ROCPRIM_400000_NS6detail17trampoline_kernelINS0_13select_configILj256ELj13ELNS0_17block_load_methodE3ELS4_3ELS4_3ELNS0_20block_scan_algorithmE0ELj4294967295EEENS1_25partition_config_selectorILNS1_17partition_subalgoE3EjNS0_10empty_typeEbEEZZNS1_14partition_implILS8_3ELb0ES6_jNS0_17counting_iteratorIjlEEPS9_SE_NS0_5tupleIJPjSE_EEENSF_IJSE_SE_EEES9_SG_JZNS1_25segmented_radix_sort_implINS0_14default_configELb1EPK6__halfPSL_PKlPlN2at6native12_GLOBAL__N_18offset_tEEE10hipError_tPvRmT1_PNSt15iterator_traitsISZ_E10value_typeET2_T3_PNS10_IS15_E10value_typeET4_jRbjT5_S1B_jjP12ihipStream_tbEUljE_EEESW_SX_SY_S15_S19_S1B_T6_T7_T9_mT8_S1D_bDpT10_ENKUlT_T0_E_clISt17integral_constantIbLb1EES1Q_EEDaS1L_S1M_EUlS1L_E_NS1_11comp_targetILNS1_3genE10ELNS1_11target_archE1200ELNS1_3gpuE4ELNS1_3repE0EEENS1_30default_config_static_selectorELNS0_4arch9wavefront6targetE1EEEvSZ_.kd
    .uniform_work_group_size: 1
    .uses_dynamic_stack: false
    .vgpr_count:     0
    .vgpr_spill_count: 0
    .wavefront_size: 64
  - .args:
      - .offset:         0
        .size:           152
        .value_kind:     by_value
    .group_segment_fixed_size: 0
    .kernarg_segment_align: 8
    .kernarg_segment_size: 152
    .language:       OpenCL C
    .language_version:
      - 2
      - 0
    .max_flat_workgroup_size: 256
    .name:           _ZN7rocprim17ROCPRIM_400000_NS6detail17trampoline_kernelINS0_13select_configILj256ELj13ELNS0_17block_load_methodE3ELS4_3ELS4_3ELNS0_20block_scan_algorithmE0ELj4294967295EEENS1_25partition_config_selectorILNS1_17partition_subalgoE3EjNS0_10empty_typeEbEEZZNS1_14partition_implILS8_3ELb0ES6_jNS0_17counting_iteratorIjlEEPS9_SE_NS0_5tupleIJPjSE_EEENSF_IJSE_SE_EEES9_SG_JZNS1_25segmented_radix_sort_implINS0_14default_configELb1EPK6__halfPSL_PKlPlN2at6native12_GLOBAL__N_18offset_tEEE10hipError_tPvRmT1_PNSt15iterator_traitsISZ_E10value_typeET2_T3_PNS10_IS15_E10value_typeET4_jRbjT5_S1B_jjP12ihipStream_tbEUljE_EEESW_SX_SY_S15_S19_S1B_T6_T7_T9_mT8_S1D_bDpT10_ENKUlT_T0_E_clISt17integral_constantIbLb1EES1Q_EEDaS1L_S1M_EUlS1L_E_NS1_11comp_targetILNS1_3genE9ELNS1_11target_archE1100ELNS1_3gpuE3ELNS1_3repE0EEENS1_30default_config_static_selectorELNS0_4arch9wavefront6targetE1EEEvSZ_
    .private_segment_fixed_size: 0
    .sgpr_count:     4
    .sgpr_spill_count: 0
    .symbol:         _ZN7rocprim17ROCPRIM_400000_NS6detail17trampoline_kernelINS0_13select_configILj256ELj13ELNS0_17block_load_methodE3ELS4_3ELS4_3ELNS0_20block_scan_algorithmE0ELj4294967295EEENS1_25partition_config_selectorILNS1_17partition_subalgoE3EjNS0_10empty_typeEbEEZZNS1_14partition_implILS8_3ELb0ES6_jNS0_17counting_iteratorIjlEEPS9_SE_NS0_5tupleIJPjSE_EEENSF_IJSE_SE_EEES9_SG_JZNS1_25segmented_radix_sort_implINS0_14default_configELb1EPK6__halfPSL_PKlPlN2at6native12_GLOBAL__N_18offset_tEEE10hipError_tPvRmT1_PNSt15iterator_traitsISZ_E10value_typeET2_T3_PNS10_IS15_E10value_typeET4_jRbjT5_S1B_jjP12ihipStream_tbEUljE_EEESW_SX_SY_S15_S19_S1B_T6_T7_T9_mT8_S1D_bDpT10_ENKUlT_T0_E_clISt17integral_constantIbLb1EES1Q_EEDaS1L_S1M_EUlS1L_E_NS1_11comp_targetILNS1_3genE9ELNS1_11target_archE1100ELNS1_3gpuE3ELNS1_3repE0EEENS1_30default_config_static_selectorELNS0_4arch9wavefront6targetE1EEEvSZ_.kd
    .uniform_work_group_size: 1
    .uses_dynamic_stack: false
    .vgpr_count:     0
    .vgpr_spill_count: 0
    .wavefront_size: 64
  - .args:
      - .offset:         0
        .size:           152
        .value_kind:     by_value
    .group_segment_fixed_size: 0
    .kernarg_segment_align: 8
    .kernarg_segment_size: 152
    .language:       OpenCL C
    .language_version:
      - 2
      - 0
    .max_flat_workgroup_size: 256
    .name:           _ZN7rocprim17ROCPRIM_400000_NS6detail17trampoline_kernelINS0_13select_configILj256ELj13ELNS0_17block_load_methodE3ELS4_3ELS4_3ELNS0_20block_scan_algorithmE0ELj4294967295EEENS1_25partition_config_selectorILNS1_17partition_subalgoE3EjNS0_10empty_typeEbEEZZNS1_14partition_implILS8_3ELb0ES6_jNS0_17counting_iteratorIjlEEPS9_SE_NS0_5tupleIJPjSE_EEENSF_IJSE_SE_EEES9_SG_JZNS1_25segmented_radix_sort_implINS0_14default_configELb1EPK6__halfPSL_PKlPlN2at6native12_GLOBAL__N_18offset_tEEE10hipError_tPvRmT1_PNSt15iterator_traitsISZ_E10value_typeET2_T3_PNS10_IS15_E10value_typeET4_jRbjT5_S1B_jjP12ihipStream_tbEUljE_EEESW_SX_SY_S15_S19_S1B_T6_T7_T9_mT8_S1D_bDpT10_ENKUlT_T0_E_clISt17integral_constantIbLb1EES1Q_EEDaS1L_S1M_EUlS1L_E_NS1_11comp_targetILNS1_3genE8ELNS1_11target_archE1030ELNS1_3gpuE2ELNS1_3repE0EEENS1_30default_config_static_selectorELNS0_4arch9wavefront6targetE1EEEvSZ_
    .private_segment_fixed_size: 0
    .sgpr_count:     4
    .sgpr_spill_count: 0
    .symbol:         _ZN7rocprim17ROCPRIM_400000_NS6detail17trampoline_kernelINS0_13select_configILj256ELj13ELNS0_17block_load_methodE3ELS4_3ELS4_3ELNS0_20block_scan_algorithmE0ELj4294967295EEENS1_25partition_config_selectorILNS1_17partition_subalgoE3EjNS0_10empty_typeEbEEZZNS1_14partition_implILS8_3ELb0ES6_jNS0_17counting_iteratorIjlEEPS9_SE_NS0_5tupleIJPjSE_EEENSF_IJSE_SE_EEES9_SG_JZNS1_25segmented_radix_sort_implINS0_14default_configELb1EPK6__halfPSL_PKlPlN2at6native12_GLOBAL__N_18offset_tEEE10hipError_tPvRmT1_PNSt15iterator_traitsISZ_E10value_typeET2_T3_PNS10_IS15_E10value_typeET4_jRbjT5_S1B_jjP12ihipStream_tbEUljE_EEESW_SX_SY_S15_S19_S1B_T6_T7_T9_mT8_S1D_bDpT10_ENKUlT_T0_E_clISt17integral_constantIbLb1EES1Q_EEDaS1L_S1M_EUlS1L_E_NS1_11comp_targetILNS1_3genE8ELNS1_11target_archE1030ELNS1_3gpuE2ELNS1_3repE0EEENS1_30default_config_static_selectorELNS0_4arch9wavefront6targetE1EEEvSZ_.kd
    .uniform_work_group_size: 1
    .uses_dynamic_stack: false
    .vgpr_count:     0
    .vgpr_spill_count: 0
    .wavefront_size: 64
  - .args:
      - .offset:         0
        .size:           144
        .value_kind:     by_value
    .group_segment_fixed_size: 0
    .kernarg_segment_align: 8
    .kernarg_segment_size: 144
    .language:       OpenCL C
    .language_version:
      - 2
      - 0
    .max_flat_workgroup_size: 256
    .name:           _ZN7rocprim17ROCPRIM_400000_NS6detail17trampoline_kernelINS0_13select_configILj256ELj13ELNS0_17block_load_methodE3ELS4_3ELS4_3ELNS0_20block_scan_algorithmE0ELj4294967295EEENS1_25partition_config_selectorILNS1_17partition_subalgoE3EjNS0_10empty_typeEbEEZZNS1_14partition_implILS8_3ELb0ES6_jNS0_17counting_iteratorIjlEEPS9_SE_NS0_5tupleIJPjSE_EEENSF_IJSE_SE_EEES9_SG_JZNS1_25segmented_radix_sort_implINS0_14default_configELb1EPK6__halfPSL_PKlPlN2at6native12_GLOBAL__N_18offset_tEEE10hipError_tPvRmT1_PNSt15iterator_traitsISZ_E10value_typeET2_T3_PNS10_IS15_E10value_typeET4_jRbjT5_S1B_jjP12ihipStream_tbEUljE_EEESW_SX_SY_S15_S19_S1B_T6_T7_T9_mT8_S1D_bDpT10_ENKUlT_T0_E_clISt17integral_constantIbLb1EES1P_IbLb0EEEEDaS1L_S1M_EUlS1L_E_NS1_11comp_targetILNS1_3genE0ELNS1_11target_archE4294967295ELNS1_3gpuE0ELNS1_3repE0EEENS1_30default_config_static_selectorELNS0_4arch9wavefront6targetE1EEEvSZ_
    .private_segment_fixed_size: 0
    .sgpr_count:     4
    .sgpr_spill_count: 0
    .symbol:         _ZN7rocprim17ROCPRIM_400000_NS6detail17trampoline_kernelINS0_13select_configILj256ELj13ELNS0_17block_load_methodE3ELS4_3ELS4_3ELNS0_20block_scan_algorithmE0ELj4294967295EEENS1_25partition_config_selectorILNS1_17partition_subalgoE3EjNS0_10empty_typeEbEEZZNS1_14partition_implILS8_3ELb0ES6_jNS0_17counting_iteratorIjlEEPS9_SE_NS0_5tupleIJPjSE_EEENSF_IJSE_SE_EEES9_SG_JZNS1_25segmented_radix_sort_implINS0_14default_configELb1EPK6__halfPSL_PKlPlN2at6native12_GLOBAL__N_18offset_tEEE10hipError_tPvRmT1_PNSt15iterator_traitsISZ_E10value_typeET2_T3_PNS10_IS15_E10value_typeET4_jRbjT5_S1B_jjP12ihipStream_tbEUljE_EEESW_SX_SY_S15_S19_S1B_T6_T7_T9_mT8_S1D_bDpT10_ENKUlT_T0_E_clISt17integral_constantIbLb1EES1P_IbLb0EEEEDaS1L_S1M_EUlS1L_E_NS1_11comp_targetILNS1_3genE0ELNS1_11target_archE4294967295ELNS1_3gpuE0ELNS1_3repE0EEENS1_30default_config_static_selectorELNS0_4arch9wavefront6targetE1EEEvSZ_.kd
    .uniform_work_group_size: 1
    .uses_dynamic_stack: false
    .vgpr_count:     0
    .vgpr_spill_count: 0
    .wavefront_size: 64
  - .args:
      - .offset:         0
        .size:           144
        .value_kind:     by_value
    .group_segment_fixed_size: 0
    .kernarg_segment_align: 8
    .kernarg_segment_size: 144
    .language:       OpenCL C
    .language_version:
      - 2
      - 0
    .max_flat_workgroup_size: 256
    .name:           _ZN7rocprim17ROCPRIM_400000_NS6detail17trampoline_kernelINS0_13select_configILj256ELj13ELNS0_17block_load_methodE3ELS4_3ELS4_3ELNS0_20block_scan_algorithmE0ELj4294967295EEENS1_25partition_config_selectorILNS1_17partition_subalgoE3EjNS0_10empty_typeEbEEZZNS1_14partition_implILS8_3ELb0ES6_jNS0_17counting_iteratorIjlEEPS9_SE_NS0_5tupleIJPjSE_EEENSF_IJSE_SE_EEES9_SG_JZNS1_25segmented_radix_sort_implINS0_14default_configELb1EPK6__halfPSL_PKlPlN2at6native12_GLOBAL__N_18offset_tEEE10hipError_tPvRmT1_PNSt15iterator_traitsISZ_E10value_typeET2_T3_PNS10_IS15_E10value_typeET4_jRbjT5_S1B_jjP12ihipStream_tbEUljE_EEESW_SX_SY_S15_S19_S1B_T6_T7_T9_mT8_S1D_bDpT10_ENKUlT_T0_E_clISt17integral_constantIbLb1EES1P_IbLb0EEEEDaS1L_S1M_EUlS1L_E_NS1_11comp_targetILNS1_3genE5ELNS1_11target_archE942ELNS1_3gpuE9ELNS1_3repE0EEENS1_30default_config_static_selectorELNS0_4arch9wavefront6targetE1EEEvSZ_
    .private_segment_fixed_size: 0
    .sgpr_count:     4
    .sgpr_spill_count: 0
    .symbol:         _ZN7rocprim17ROCPRIM_400000_NS6detail17trampoline_kernelINS0_13select_configILj256ELj13ELNS0_17block_load_methodE3ELS4_3ELS4_3ELNS0_20block_scan_algorithmE0ELj4294967295EEENS1_25partition_config_selectorILNS1_17partition_subalgoE3EjNS0_10empty_typeEbEEZZNS1_14partition_implILS8_3ELb0ES6_jNS0_17counting_iteratorIjlEEPS9_SE_NS0_5tupleIJPjSE_EEENSF_IJSE_SE_EEES9_SG_JZNS1_25segmented_radix_sort_implINS0_14default_configELb1EPK6__halfPSL_PKlPlN2at6native12_GLOBAL__N_18offset_tEEE10hipError_tPvRmT1_PNSt15iterator_traitsISZ_E10value_typeET2_T3_PNS10_IS15_E10value_typeET4_jRbjT5_S1B_jjP12ihipStream_tbEUljE_EEESW_SX_SY_S15_S19_S1B_T6_T7_T9_mT8_S1D_bDpT10_ENKUlT_T0_E_clISt17integral_constantIbLb1EES1P_IbLb0EEEEDaS1L_S1M_EUlS1L_E_NS1_11comp_targetILNS1_3genE5ELNS1_11target_archE942ELNS1_3gpuE9ELNS1_3repE0EEENS1_30default_config_static_selectorELNS0_4arch9wavefront6targetE1EEEvSZ_.kd
    .uniform_work_group_size: 1
    .uses_dynamic_stack: false
    .vgpr_count:     0
    .vgpr_spill_count: 0
    .wavefront_size: 64
  - .args:
      - .offset:         0
        .size:           144
        .value_kind:     by_value
    .group_segment_fixed_size: 0
    .kernarg_segment_align: 8
    .kernarg_segment_size: 144
    .language:       OpenCL C
    .language_version:
      - 2
      - 0
    .max_flat_workgroup_size: 256
    .name:           _ZN7rocprim17ROCPRIM_400000_NS6detail17trampoline_kernelINS0_13select_configILj256ELj13ELNS0_17block_load_methodE3ELS4_3ELS4_3ELNS0_20block_scan_algorithmE0ELj4294967295EEENS1_25partition_config_selectorILNS1_17partition_subalgoE3EjNS0_10empty_typeEbEEZZNS1_14partition_implILS8_3ELb0ES6_jNS0_17counting_iteratorIjlEEPS9_SE_NS0_5tupleIJPjSE_EEENSF_IJSE_SE_EEES9_SG_JZNS1_25segmented_radix_sort_implINS0_14default_configELb1EPK6__halfPSL_PKlPlN2at6native12_GLOBAL__N_18offset_tEEE10hipError_tPvRmT1_PNSt15iterator_traitsISZ_E10value_typeET2_T3_PNS10_IS15_E10value_typeET4_jRbjT5_S1B_jjP12ihipStream_tbEUljE_EEESW_SX_SY_S15_S19_S1B_T6_T7_T9_mT8_S1D_bDpT10_ENKUlT_T0_E_clISt17integral_constantIbLb1EES1P_IbLb0EEEEDaS1L_S1M_EUlS1L_E_NS1_11comp_targetILNS1_3genE4ELNS1_11target_archE910ELNS1_3gpuE8ELNS1_3repE0EEENS1_30default_config_static_selectorELNS0_4arch9wavefront6targetE1EEEvSZ_
    .private_segment_fixed_size: 0
    .sgpr_count:     4
    .sgpr_spill_count: 0
    .symbol:         _ZN7rocprim17ROCPRIM_400000_NS6detail17trampoline_kernelINS0_13select_configILj256ELj13ELNS0_17block_load_methodE3ELS4_3ELS4_3ELNS0_20block_scan_algorithmE0ELj4294967295EEENS1_25partition_config_selectorILNS1_17partition_subalgoE3EjNS0_10empty_typeEbEEZZNS1_14partition_implILS8_3ELb0ES6_jNS0_17counting_iteratorIjlEEPS9_SE_NS0_5tupleIJPjSE_EEENSF_IJSE_SE_EEES9_SG_JZNS1_25segmented_radix_sort_implINS0_14default_configELb1EPK6__halfPSL_PKlPlN2at6native12_GLOBAL__N_18offset_tEEE10hipError_tPvRmT1_PNSt15iterator_traitsISZ_E10value_typeET2_T3_PNS10_IS15_E10value_typeET4_jRbjT5_S1B_jjP12ihipStream_tbEUljE_EEESW_SX_SY_S15_S19_S1B_T6_T7_T9_mT8_S1D_bDpT10_ENKUlT_T0_E_clISt17integral_constantIbLb1EES1P_IbLb0EEEEDaS1L_S1M_EUlS1L_E_NS1_11comp_targetILNS1_3genE4ELNS1_11target_archE910ELNS1_3gpuE8ELNS1_3repE0EEENS1_30default_config_static_selectorELNS0_4arch9wavefront6targetE1EEEvSZ_.kd
    .uniform_work_group_size: 1
    .uses_dynamic_stack: false
    .vgpr_count:     0
    .vgpr_spill_count: 0
    .wavefront_size: 64
  - .args:
      - .offset:         0
        .size:           144
        .value_kind:     by_value
    .group_segment_fixed_size: 0
    .kernarg_segment_align: 8
    .kernarg_segment_size: 144
    .language:       OpenCL C
    .language_version:
      - 2
      - 0
    .max_flat_workgroup_size: 256
    .name:           _ZN7rocprim17ROCPRIM_400000_NS6detail17trampoline_kernelINS0_13select_configILj256ELj13ELNS0_17block_load_methodE3ELS4_3ELS4_3ELNS0_20block_scan_algorithmE0ELj4294967295EEENS1_25partition_config_selectorILNS1_17partition_subalgoE3EjNS0_10empty_typeEbEEZZNS1_14partition_implILS8_3ELb0ES6_jNS0_17counting_iteratorIjlEEPS9_SE_NS0_5tupleIJPjSE_EEENSF_IJSE_SE_EEES9_SG_JZNS1_25segmented_radix_sort_implINS0_14default_configELb1EPK6__halfPSL_PKlPlN2at6native12_GLOBAL__N_18offset_tEEE10hipError_tPvRmT1_PNSt15iterator_traitsISZ_E10value_typeET2_T3_PNS10_IS15_E10value_typeET4_jRbjT5_S1B_jjP12ihipStream_tbEUljE_EEESW_SX_SY_S15_S19_S1B_T6_T7_T9_mT8_S1D_bDpT10_ENKUlT_T0_E_clISt17integral_constantIbLb1EES1P_IbLb0EEEEDaS1L_S1M_EUlS1L_E_NS1_11comp_targetILNS1_3genE3ELNS1_11target_archE908ELNS1_3gpuE7ELNS1_3repE0EEENS1_30default_config_static_selectorELNS0_4arch9wavefront6targetE1EEEvSZ_
    .private_segment_fixed_size: 0
    .sgpr_count:     4
    .sgpr_spill_count: 0
    .symbol:         _ZN7rocprim17ROCPRIM_400000_NS6detail17trampoline_kernelINS0_13select_configILj256ELj13ELNS0_17block_load_methodE3ELS4_3ELS4_3ELNS0_20block_scan_algorithmE0ELj4294967295EEENS1_25partition_config_selectorILNS1_17partition_subalgoE3EjNS0_10empty_typeEbEEZZNS1_14partition_implILS8_3ELb0ES6_jNS0_17counting_iteratorIjlEEPS9_SE_NS0_5tupleIJPjSE_EEENSF_IJSE_SE_EEES9_SG_JZNS1_25segmented_radix_sort_implINS0_14default_configELb1EPK6__halfPSL_PKlPlN2at6native12_GLOBAL__N_18offset_tEEE10hipError_tPvRmT1_PNSt15iterator_traitsISZ_E10value_typeET2_T3_PNS10_IS15_E10value_typeET4_jRbjT5_S1B_jjP12ihipStream_tbEUljE_EEESW_SX_SY_S15_S19_S1B_T6_T7_T9_mT8_S1D_bDpT10_ENKUlT_T0_E_clISt17integral_constantIbLb1EES1P_IbLb0EEEEDaS1L_S1M_EUlS1L_E_NS1_11comp_targetILNS1_3genE3ELNS1_11target_archE908ELNS1_3gpuE7ELNS1_3repE0EEENS1_30default_config_static_selectorELNS0_4arch9wavefront6targetE1EEEvSZ_.kd
    .uniform_work_group_size: 1
    .uses_dynamic_stack: false
    .vgpr_count:     0
    .vgpr_spill_count: 0
    .wavefront_size: 64
  - .args:
      - .offset:         0
        .size:           144
        .value_kind:     by_value
    .group_segment_fixed_size: 0
    .kernarg_segment_align: 8
    .kernarg_segment_size: 144
    .language:       OpenCL C
    .language_version:
      - 2
      - 0
    .max_flat_workgroup_size: 256
    .name:           _ZN7rocprim17ROCPRIM_400000_NS6detail17trampoline_kernelINS0_13select_configILj256ELj13ELNS0_17block_load_methodE3ELS4_3ELS4_3ELNS0_20block_scan_algorithmE0ELj4294967295EEENS1_25partition_config_selectorILNS1_17partition_subalgoE3EjNS0_10empty_typeEbEEZZNS1_14partition_implILS8_3ELb0ES6_jNS0_17counting_iteratorIjlEEPS9_SE_NS0_5tupleIJPjSE_EEENSF_IJSE_SE_EEES9_SG_JZNS1_25segmented_radix_sort_implINS0_14default_configELb1EPK6__halfPSL_PKlPlN2at6native12_GLOBAL__N_18offset_tEEE10hipError_tPvRmT1_PNSt15iterator_traitsISZ_E10value_typeET2_T3_PNS10_IS15_E10value_typeET4_jRbjT5_S1B_jjP12ihipStream_tbEUljE_EEESW_SX_SY_S15_S19_S1B_T6_T7_T9_mT8_S1D_bDpT10_ENKUlT_T0_E_clISt17integral_constantIbLb1EES1P_IbLb0EEEEDaS1L_S1M_EUlS1L_E_NS1_11comp_targetILNS1_3genE2ELNS1_11target_archE906ELNS1_3gpuE6ELNS1_3repE0EEENS1_30default_config_static_selectorELNS0_4arch9wavefront6targetE1EEEvSZ_
    .private_segment_fixed_size: 0
    .sgpr_count:     4
    .sgpr_spill_count: 0
    .symbol:         _ZN7rocprim17ROCPRIM_400000_NS6detail17trampoline_kernelINS0_13select_configILj256ELj13ELNS0_17block_load_methodE3ELS4_3ELS4_3ELNS0_20block_scan_algorithmE0ELj4294967295EEENS1_25partition_config_selectorILNS1_17partition_subalgoE3EjNS0_10empty_typeEbEEZZNS1_14partition_implILS8_3ELb0ES6_jNS0_17counting_iteratorIjlEEPS9_SE_NS0_5tupleIJPjSE_EEENSF_IJSE_SE_EEES9_SG_JZNS1_25segmented_radix_sort_implINS0_14default_configELb1EPK6__halfPSL_PKlPlN2at6native12_GLOBAL__N_18offset_tEEE10hipError_tPvRmT1_PNSt15iterator_traitsISZ_E10value_typeET2_T3_PNS10_IS15_E10value_typeET4_jRbjT5_S1B_jjP12ihipStream_tbEUljE_EEESW_SX_SY_S15_S19_S1B_T6_T7_T9_mT8_S1D_bDpT10_ENKUlT_T0_E_clISt17integral_constantIbLb1EES1P_IbLb0EEEEDaS1L_S1M_EUlS1L_E_NS1_11comp_targetILNS1_3genE2ELNS1_11target_archE906ELNS1_3gpuE6ELNS1_3repE0EEENS1_30default_config_static_selectorELNS0_4arch9wavefront6targetE1EEEvSZ_.kd
    .uniform_work_group_size: 1
    .uses_dynamic_stack: false
    .vgpr_count:     0
    .vgpr_spill_count: 0
    .wavefront_size: 64
  - .args:
      - .offset:         0
        .size:           144
        .value_kind:     by_value
    .group_segment_fixed_size: 0
    .kernarg_segment_align: 8
    .kernarg_segment_size: 144
    .language:       OpenCL C
    .language_version:
      - 2
      - 0
    .max_flat_workgroup_size: 256
    .name:           _ZN7rocprim17ROCPRIM_400000_NS6detail17trampoline_kernelINS0_13select_configILj256ELj13ELNS0_17block_load_methodE3ELS4_3ELS4_3ELNS0_20block_scan_algorithmE0ELj4294967295EEENS1_25partition_config_selectorILNS1_17partition_subalgoE3EjNS0_10empty_typeEbEEZZNS1_14partition_implILS8_3ELb0ES6_jNS0_17counting_iteratorIjlEEPS9_SE_NS0_5tupleIJPjSE_EEENSF_IJSE_SE_EEES9_SG_JZNS1_25segmented_radix_sort_implINS0_14default_configELb1EPK6__halfPSL_PKlPlN2at6native12_GLOBAL__N_18offset_tEEE10hipError_tPvRmT1_PNSt15iterator_traitsISZ_E10value_typeET2_T3_PNS10_IS15_E10value_typeET4_jRbjT5_S1B_jjP12ihipStream_tbEUljE_EEESW_SX_SY_S15_S19_S1B_T6_T7_T9_mT8_S1D_bDpT10_ENKUlT_T0_E_clISt17integral_constantIbLb1EES1P_IbLb0EEEEDaS1L_S1M_EUlS1L_E_NS1_11comp_targetILNS1_3genE10ELNS1_11target_archE1200ELNS1_3gpuE4ELNS1_3repE0EEENS1_30default_config_static_selectorELNS0_4arch9wavefront6targetE1EEEvSZ_
    .private_segment_fixed_size: 0
    .sgpr_count:     4
    .sgpr_spill_count: 0
    .symbol:         _ZN7rocprim17ROCPRIM_400000_NS6detail17trampoline_kernelINS0_13select_configILj256ELj13ELNS0_17block_load_methodE3ELS4_3ELS4_3ELNS0_20block_scan_algorithmE0ELj4294967295EEENS1_25partition_config_selectorILNS1_17partition_subalgoE3EjNS0_10empty_typeEbEEZZNS1_14partition_implILS8_3ELb0ES6_jNS0_17counting_iteratorIjlEEPS9_SE_NS0_5tupleIJPjSE_EEENSF_IJSE_SE_EEES9_SG_JZNS1_25segmented_radix_sort_implINS0_14default_configELb1EPK6__halfPSL_PKlPlN2at6native12_GLOBAL__N_18offset_tEEE10hipError_tPvRmT1_PNSt15iterator_traitsISZ_E10value_typeET2_T3_PNS10_IS15_E10value_typeET4_jRbjT5_S1B_jjP12ihipStream_tbEUljE_EEESW_SX_SY_S15_S19_S1B_T6_T7_T9_mT8_S1D_bDpT10_ENKUlT_T0_E_clISt17integral_constantIbLb1EES1P_IbLb0EEEEDaS1L_S1M_EUlS1L_E_NS1_11comp_targetILNS1_3genE10ELNS1_11target_archE1200ELNS1_3gpuE4ELNS1_3repE0EEENS1_30default_config_static_selectorELNS0_4arch9wavefront6targetE1EEEvSZ_.kd
    .uniform_work_group_size: 1
    .uses_dynamic_stack: false
    .vgpr_count:     0
    .vgpr_spill_count: 0
    .wavefront_size: 64
  - .args:
      - .offset:         0
        .size:           144
        .value_kind:     by_value
    .group_segment_fixed_size: 0
    .kernarg_segment_align: 8
    .kernarg_segment_size: 144
    .language:       OpenCL C
    .language_version:
      - 2
      - 0
    .max_flat_workgroup_size: 256
    .name:           _ZN7rocprim17ROCPRIM_400000_NS6detail17trampoline_kernelINS0_13select_configILj256ELj13ELNS0_17block_load_methodE3ELS4_3ELS4_3ELNS0_20block_scan_algorithmE0ELj4294967295EEENS1_25partition_config_selectorILNS1_17partition_subalgoE3EjNS0_10empty_typeEbEEZZNS1_14partition_implILS8_3ELb0ES6_jNS0_17counting_iteratorIjlEEPS9_SE_NS0_5tupleIJPjSE_EEENSF_IJSE_SE_EEES9_SG_JZNS1_25segmented_radix_sort_implINS0_14default_configELb1EPK6__halfPSL_PKlPlN2at6native12_GLOBAL__N_18offset_tEEE10hipError_tPvRmT1_PNSt15iterator_traitsISZ_E10value_typeET2_T3_PNS10_IS15_E10value_typeET4_jRbjT5_S1B_jjP12ihipStream_tbEUljE_EEESW_SX_SY_S15_S19_S1B_T6_T7_T9_mT8_S1D_bDpT10_ENKUlT_T0_E_clISt17integral_constantIbLb1EES1P_IbLb0EEEEDaS1L_S1M_EUlS1L_E_NS1_11comp_targetILNS1_3genE9ELNS1_11target_archE1100ELNS1_3gpuE3ELNS1_3repE0EEENS1_30default_config_static_selectorELNS0_4arch9wavefront6targetE1EEEvSZ_
    .private_segment_fixed_size: 0
    .sgpr_count:     4
    .sgpr_spill_count: 0
    .symbol:         _ZN7rocprim17ROCPRIM_400000_NS6detail17trampoline_kernelINS0_13select_configILj256ELj13ELNS0_17block_load_methodE3ELS4_3ELS4_3ELNS0_20block_scan_algorithmE0ELj4294967295EEENS1_25partition_config_selectorILNS1_17partition_subalgoE3EjNS0_10empty_typeEbEEZZNS1_14partition_implILS8_3ELb0ES6_jNS0_17counting_iteratorIjlEEPS9_SE_NS0_5tupleIJPjSE_EEENSF_IJSE_SE_EEES9_SG_JZNS1_25segmented_radix_sort_implINS0_14default_configELb1EPK6__halfPSL_PKlPlN2at6native12_GLOBAL__N_18offset_tEEE10hipError_tPvRmT1_PNSt15iterator_traitsISZ_E10value_typeET2_T3_PNS10_IS15_E10value_typeET4_jRbjT5_S1B_jjP12ihipStream_tbEUljE_EEESW_SX_SY_S15_S19_S1B_T6_T7_T9_mT8_S1D_bDpT10_ENKUlT_T0_E_clISt17integral_constantIbLb1EES1P_IbLb0EEEEDaS1L_S1M_EUlS1L_E_NS1_11comp_targetILNS1_3genE9ELNS1_11target_archE1100ELNS1_3gpuE3ELNS1_3repE0EEENS1_30default_config_static_selectorELNS0_4arch9wavefront6targetE1EEEvSZ_.kd
    .uniform_work_group_size: 1
    .uses_dynamic_stack: false
    .vgpr_count:     0
    .vgpr_spill_count: 0
    .wavefront_size: 64
  - .args:
      - .offset:         0
        .size:           144
        .value_kind:     by_value
    .group_segment_fixed_size: 0
    .kernarg_segment_align: 8
    .kernarg_segment_size: 144
    .language:       OpenCL C
    .language_version:
      - 2
      - 0
    .max_flat_workgroup_size: 256
    .name:           _ZN7rocprim17ROCPRIM_400000_NS6detail17trampoline_kernelINS0_13select_configILj256ELj13ELNS0_17block_load_methodE3ELS4_3ELS4_3ELNS0_20block_scan_algorithmE0ELj4294967295EEENS1_25partition_config_selectorILNS1_17partition_subalgoE3EjNS0_10empty_typeEbEEZZNS1_14partition_implILS8_3ELb0ES6_jNS0_17counting_iteratorIjlEEPS9_SE_NS0_5tupleIJPjSE_EEENSF_IJSE_SE_EEES9_SG_JZNS1_25segmented_radix_sort_implINS0_14default_configELb1EPK6__halfPSL_PKlPlN2at6native12_GLOBAL__N_18offset_tEEE10hipError_tPvRmT1_PNSt15iterator_traitsISZ_E10value_typeET2_T3_PNS10_IS15_E10value_typeET4_jRbjT5_S1B_jjP12ihipStream_tbEUljE_EEESW_SX_SY_S15_S19_S1B_T6_T7_T9_mT8_S1D_bDpT10_ENKUlT_T0_E_clISt17integral_constantIbLb1EES1P_IbLb0EEEEDaS1L_S1M_EUlS1L_E_NS1_11comp_targetILNS1_3genE8ELNS1_11target_archE1030ELNS1_3gpuE2ELNS1_3repE0EEENS1_30default_config_static_selectorELNS0_4arch9wavefront6targetE1EEEvSZ_
    .private_segment_fixed_size: 0
    .sgpr_count:     4
    .sgpr_spill_count: 0
    .symbol:         _ZN7rocprim17ROCPRIM_400000_NS6detail17trampoline_kernelINS0_13select_configILj256ELj13ELNS0_17block_load_methodE3ELS4_3ELS4_3ELNS0_20block_scan_algorithmE0ELj4294967295EEENS1_25partition_config_selectorILNS1_17partition_subalgoE3EjNS0_10empty_typeEbEEZZNS1_14partition_implILS8_3ELb0ES6_jNS0_17counting_iteratorIjlEEPS9_SE_NS0_5tupleIJPjSE_EEENSF_IJSE_SE_EEES9_SG_JZNS1_25segmented_radix_sort_implINS0_14default_configELb1EPK6__halfPSL_PKlPlN2at6native12_GLOBAL__N_18offset_tEEE10hipError_tPvRmT1_PNSt15iterator_traitsISZ_E10value_typeET2_T3_PNS10_IS15_E10value_typeET4_jRbjT5_S1B_jjP12ihipStream_tbEUljE_EEESW_SX_SY_S15_S19_S1B_T6_T7_T9_mT8_S1D_bDpT10_ENKUlT_T0_E_clISt17integral_constantIbLb1EES1P_IbLb0EEEEDaS1L_S1M_EUlS1L_E_NS1_11comp_targetILNS1_3genE8ELNS1_11target_archE1030ELNS1_3gpuE2ELNS1_3repE0EEENS1_30default_config_static_selectorELNS0_4arch9wavefront6targetE1EEEvSZ_.kd
    .uniform_work_group_size: 1
    .uses_dynamic_stack: false
    .vgpr_count:     0
    .vgpr_spill_count: 0
    .wavefront_size: 64
  - .args:
      - .offset:         0
        .size:           152
        .value_kind:     by_value
    .group_segment_fixed_size: 0
    .kernarg_segment_align: 8
    .kernarg_segment_size: 152
    .language:       OpenCL C
    .language_version:
      - 2
      - 0
    .max_flat_workgroup_size: 256
    .name:           _ZN7rocprim17ROCPRIM_400000_NS6detail17trampoline_kernelINS0_13select_configILj256ELj13ELNS0_17block_load_methodE3ELS4_3ELS4_3ELNS0_20block_scan_algorithmE0ELj4294967295EEENS1_25partition_config_selectorILNS1_17partition_subalgoE3EjNS0_10empty_typeEbEEZZNS1_14partition_implILS8_3ELb0ES6_jNS0_17counting_iteratorIjlEEPS9_SE_NS0_5tupleIJPjSE_EEENSF_IJSE_SE_EEES9_SG_JZNS1_25segmented_radix_sort_implINS0_14default_configELb1EPK6__halfPSL_PKlPlN2at6native12_GLOBAL__N_18offset_tEEE10hipError_tPvRmT1_PNSt15iterator_traitsISZ_E10value_typeET2_T3_PNS10_IS15_E10value_typeET4_jRbjT5_S1B_jjP12ihipStream_tbEUljE_EEESW_SX_SY_S15_S19_S1B_T6_T7_T9_mT8_S1D_bDpT10_ENKUlT_T0_E_clISt17integral_constantIbLb0EES1P_IbLb1EEEEDaS1L_S1M_EUlS1L_E_NS1_11comp_targetILNS1_3genE0ELNS1_11target_archE4294967295ELNS1_3gpuE0ELNS1_3repE0EEENS1_30default_config_static_selectorELNS0_4arch9wavefront6targetE1EEEvSZ_
    .private_segment_fixed_size: 0
    .sgpr_count:     4
    .sgpr_spill_count: 0
    .symbol:         _ZN7rocprim17ROCPRIM_400000_NS6detail17trampoline_kernelINS0_13select_configILj256ELj13ELNS0_17block_load_methodE3ELS4_3ELS4_3ELNS0_20block_scan_algorithmE0ELj4294967295EEENS1_25partition_config_selectorILNS1_17partition_subalgoE3EjNS0_10empty_typeEbEEZZNS1_14partition_implILS8_3ELb0ES6_jNS0_17counting_iteratorIjlEEPS9_SE_NS0_5tupleIJPjSE_EEENSF_IJSE_SE_EEES9_SG_JZNS1_25segmented_radix_sort_implINS0_14default_configELb1EPK6__halfPSL_PKlPlN2at6native12_GLOBAL__N_18offset_tEEE10hipError_tPvRmT1_PNSt15iterator_traitsISZ_E10value_typeET2_T3_PNS10_IS15_E10value_typeET4_jRbjT5_S1B_jjP12ihipStream_tbEUljE_EEESW_SX_SY_S15_S19_S1B_T6_T7_T9_mT8_S1D_bDpT10_ENKUlT_T0_E_clISt17integral_constantIbLb0EES1P_IbLb1EEEEDaS1L_S1M_EUlS1L_E_NS1_11comp_targetILNS1_3genE0ELNS1_11target_archE4294967295ELNS1_3gpuE0ELNS1_3repE0EEENS1_30default_config_static_selectorELNS0_4arch9wavefront6targetE1EEEvSZ_.kd
    .uniform_work_group_size: 1
    .uses_dynamic_stack: false
    .vgpr_count:     0
    .vgpr_spill_count: 0
    .wavefront_size: 64
  - .args:
      - .offset:         0
        .size:           152
        .value_kind:     by_value
    .group_segment_fixed_size: 0
    .kernarg_segment_align: 8
    .kernarg_segment_size: 152
    .language:       OpenCL C
    .language_version:
      - 2
      - 0
    .max_flat_workgroup_size: 256
    .name:           _ZN7rocprim17ROCPRIM_400000_NS6detail17trampoline_kernelINS0_13select_configILj256ELj13ELNS0_17block_load_methodE3ELS4_3ELS4_3ELNS0_20block_scan_algorithmE0ELj4294967295EEENS1_25partition_config_selectorILNS1_17partition_subalgoE3EjNS0_10empty_typeEbEEZZNS1_14partition_implILS8_3ELb0ES6_jNS0_17counting_iteratorIjlEEPS9_SE_NS0_5tupleIJPjSE_EEENSF_IJSE_SE_EEES9_SG_JZNS1_25segmented_radix_sort_implINS0_14default_configELb1EPK6__halfPSL_PKlPlN2at6native12_GLOBAL__N_18offset_tEEE10hipError_tPvRmT1_PNSt15iterator_traitsISZ_E10value_typeET2_T3_PNS10_IS15_E10value_typeET4_jRbjT5_S1B_jjP12ihipStream_tbEUljE_EEESW_SX_SY_S15_S19_S1B_T6_T7_T9_mT8_S1D_bDpT10_ENKUlT_T0_E_clISt17integral_constantIbLb0EES1P_IbLb1EEEEDaS1L_S1M_EUlS1L_E_NS1_11comp_targetILNS1_3genE5ELNS1_11target_archE942ELNS1_3gpuE9ELNS1_3repE0EEENS1_30default_config_static_selectorELNS0_4arch9wavefront6targetE1EEEvSZ_
    .private_segment_fixed_size: 0
    .sgpr_count:     4
    .sgpr_spill_count: 0
    .symbol:         _ZN7rocprim17ROCPRIM_400000_NS6detail17trampoline_kernelINS0_13select_configILj256ELj13ELNS0_17block_load_methodE3ELS4_3ELS4_3ELNS0_20block_scan_algorithmE0ELj4294967295EEENS1_25partition_config_selectorILNS1_17partition_subalgoE3EjNS0_10empty_typeEbEEZZNS1_14partition_implILS8_3ELb0ES6_jNS0_17counting_iteratorIjlEEPS9_SE_NS0_5tupleIJPjSE_EEENSF_IJSE_SE_EEES9_SG_JZNS1_25segmented_radix_sort_implINS0_14default_configELb1EPK6__halfPSL_PKlPlN2at6native12_GLOBAL__N_18offset_tEEE10hipError_tPvRmT1_PNSt15iterator_traitsISZ_E10value_typeET2_T3_PNS10_IS15_E10value_typeET4_jRbjT5_S1B_jjP12ihipStream_tbEUljE_EEESW_SX_SY_S15_S19_S1B_T6_T7_T9_mT8_S1D_bDpT10_ENKUlT_T0_E_clISt17integral_constantIbLb0EES1P_IbLb1EEEEDaS1L_S1M_EUlS1L_E_NS1_11comp_targetILNS1_3genE5ELNS1_11target_archE942ELNS1_3gpuE9ELNS1_3repE0EEENS1_30default_config_static_selectorELNS0_4arch9wavefront6targetE1EEEvSZ_.kd
    .uniform_work_group_size: 1
    .uses_dynamic_stack: false
    .vgpr_count:     0
    .vgpr_spill_count: 0
    .wavefront_size: 64
  - .args:
      - .offset:         0
        .size:           152
        .value_kind:     by_value
    .group_segment_fixed_size: 0
    .kernarg_segment_align: 8
    .kernarg_segment_size: 152
    .language:       OpenCL C
    .language_version:
      - 2
      - 0
    .max_flat_workgroup_size: 256
    .name:           _ZN7rocprim17ROCPRIM_400000_NS6detail17trampoline_kernelINS0_13select_configILj256ELj13ELNS0_17block_load_methodE3ELS4_3ELS4_3ELNS0_20block_scan_algorithmE0ELj4294967295EEENS1_25partition_config_selectorILNS1_17partition_subalgoE3EjNS0_10empty_typeEbEEZZNS1_14partition_implILS8_3ELb0ES6_jNS0_17counting_iteratorIjlEEPS9_SE_NS0_5tupleIJPjSE_EEENSF_IJSE_SE_EEES9_SG_JZNS1_25segmented_radix_sort_implINS0_14default_configELb1EPK6__halfPSL_PKlPlN2at6native12_GLOBAL__N_18offset_tEEE10hipError_tPvRmT1_PNSt15iterator_traitsISZ_E10value_typeET2_T3_PNS10_IS15_E10value_typeET4_jRbjT5_S1B_jjP12ihipStream_tbEUljE_EEESW_SX_SY_S15_S19_S1B_T6_T7_T9_mT8_S1D_bDpT10_ENKUlT_T0_E_clISt17integral_constantIbLb0EES1P_IbLb1EEEEDaS1L_S1M_EUlS1L_E_NS1_11comp_targetILNS1_3genE4ELNS1_11target_archE910ELNS1_3gpuE8ELNS1_3repE0EEENS1_30default_config_static_selectorELNS0_4arch9wavefront6targetE1EEEvSZ_
    .private_segment_fixed_size: 0
    .sgpr_count:     4
    .sgpr_spill_count: 0
    .symbol:         _ZN7rocprim17ROCPRIM_400000_NS6detail17trampoline_kernelINS0_13select_configILj256ELj13ELNS0_17block_load_methodE3ELS4_3ELS4_3ELNS0_20block_scan_algorithmE0ELj4294967295EEENS1_25partition_config_selectorILNS1_17partition_subalgoE3EjNS0_10empty_typeEbEEZZNS1_14partition_implILS8_3ELb0ES6_jNS0_17counting_iteratorIjlEEPS9_SE_NS0_5tupleIJPjSE_EEENSF_IJSE_SE_EEES9_SG_JZNS1_25segmented_radix_sort_implINS0_14default_configELb1EPK6__halfPSL_PKlPlN2at6native12_GLOBAL__N_18offset_tEEE10hipError_tPvRmT1_PNSt15iterator_traitsISZ_E10value_typeET2_T3_PNS10_IS15_E10value_typeET4_jRbjT5_S1B_jjP12ihipStream_tbEUljE_EEESW_SX_SY_S15_S19_S1B_T6_T7_T9_mT8_S1D_bDpT10_ENKUlT_T0_E_clISt17integral_constantIbLb0EES1P_IbLb1EEEEDaS1L_S1M_EUlS1L_E_NS1_11comp_targetILNS1_3genE4ELNS1_11target_archE910ELNS1_3gpuE8ELNS1_3repE0EEENS1_30default_config_static_selectorELNS0_4arch9wavefront6targetE1EEEvSZ_.kd
    .uniform_work_group_size: 1
    .uses_dynamic_stack: false
    .vgpr_count:     0
    .vgpr_spill_count: 0
    .wavefront_size: 64
  - .args:
      - .offset:         0
        .size:           152
        .value_kind:     by_value
    .group_segment_fixed_size: 0
    .kernarg_segment_align: 8
    .kernarg_segment_size: 152
    .language:       OpenCL C
    .language_version:
      - 2
      - 0
    .max_flat_workgroup_size: 256
    .name:           _ZN7rocprim17ROCPRIM_400000_NS6detail17trampoline_kernelINS0_13select_configILj256ELj13ELNS0_17block_load_methodE3ELS4_3ELS4_3ELNS0_20block_scan_algorithmE0ELj4294967295EEENS1_25partition_config_selectorILNS1_17partition_subalgoE3EjNS0_10empty_typeEbEEZZNS1_14partition_implILS8_3ELb0ES6_jNS0_17counting_iteratorIjlEEPS9_SE_NS0_5tupleIJPjSE_EEENSF_IJSE_SE_EEES9_SG_JZNS1_25segmented_radix_sort_implINS0_14default_configELb1EPK6__halfPSL_PKlPlN2at6native12_GLOBAL__N_18offset_tEEE10hipError_tPvRmT1_PNSt15iterator_traitsISZ_E10value_typeET2_T3_PNS10_IS15_E10value_typeET4_jRbjT5_S1B_jjP12ihipStream_tbEUljE_EEESW_SX_SY_S15_S19_S1B_T6_T7_T9_mT8_S1D_bDpT10_ENKUlT_T0_E_clISt17integral_constantIbLb0EES1P_IbLb1EEEEDaS1L_S1M_EUlS1L_E_NS1_11comp_targetILNS1_3genE3ELNS1_11target_archE908ELNS1_3gpuE7ELNS1_3repE0EEENS1_30default_config_static_selectorELNS0_4arch9wavefront6targetE1EEEvSZ_
    .private_segment_fixed_size: 0
    .sgpr_count:     4
    .sgpr_spill_count: 0
    .symbol:         _ZN7rocprim17ROCPRIM_400000_NS6detail17trampoline_kernelINS0_13select_configILj256ELj13ELNS0_17block_load_methodE3ELS4_3ELS4_3ELNS0_20block_scan_algorithmE0ELj4294967295EEENS1_25partition_config_selectorILNS1_17partition_subalgoE3EjNS0_10empty_typeEbEEZZNS1_14partition_implILS8_3ELb0ES6_jNS0_17counting_iteratorIjlEEPS9_SE_NS0_5tupleIJPjSE_EEENSF_IJSE_SE_EEES9_SG_JZNS1_25segmented_radix_sort_implINS0_14default_configELb1EPK6__halfPSL_PKlPlN2at6native12_GLOBAL__N_18offset_tEEE10hipError_tPvRmT1_PNSt15iterator_traitsISZ_E10value_typeET2_T3_PNS10_IS15_E10value_typeET4_jRbjT5_S1B_jjP12ihipStream_tbEUljE_EEESW_SX_SY_S15_S19_S1B_T6_T7_T9_mT8_S1D_bDpT10_ENKUlT_T0_E_clISt17integral_constantIbLb0EES1P_IbLb1EEEEDaS1L_S1M_EUlS1L_E_NS1_11comp_targetILNS1_3genE3ELNS1_11target_archE908ELNS1_3gpuE7ELNS1_3repE0EEENS1_30default_config_static_selectorELNS0_4arch9wavefront6targetE1EEEvSZ_.kd
    .uniform_work_group_size: 1
    .uses_dynamic_stack: false
    .vgpr_count:     0
    .vgpr_spill_count: 0
    .wavefront_size: 64
  - .args:
      - .offset:         0
        .size:           152
        .value_kind:     by_value
    .group_segment_fixed_size: 13320
    .kernarg_segment_align: 8
    .kernarg_segment_size: 152
    .language:       OpenCL C
    .language_version:
      - 2
      - 0
    .max_flat_workgroup_size: 256
    .name:           _ZN7rocprim17ROCPRIM_400000_NS6detail17trampoline_kernelINS0_13select_configILj256ELj13ELNS0_17block_load_methodE3ELS4_3ELS4_3ELNS0_20block_scan_algorithmE0ELj4294967295EEENS1_25partition_config_selectorILNS1_17partition_subalgoE3EjNS0_10empty_typeEbEEZZNS1_14partition_implILS8_3ELb0ES6_jNS0_17counting_iteratorIjlEEPS9_SE_NS0_5tupleIJPjSE_EEENSF_IJSE_SE_EEES9_SG_JZNS1_25segmented_radix_sort_implINS0_14default_configELb1EPK6__halfPSL_PKlPlN2at6native12_GLOBAL__N_18offset_tEEE10hipError_tPvRmT1_PNSt15iterator_traitsISZ_E10value_typeET2_T3_PNS10_IS15_E10value_typeET4_jRbjT5_S1B_jjP12ihipStream_tbEUljE_EEESW_SX_SY_S15_S19_S1B_T6_T7_T9_mT8_S1D_bDpT10_ENKUlT_T0_E_clISt17integral_constantIbLb0EES1P_IbLb1EEEEDaS1L_S1M_EUlS1L_E_NS1_11comp_targetILNS1_3genE2ELNS1_11target_archE906ELNS1_3gpuE6ELNS1_3repE0EEENS1_30default_config_static_selectorELNS0_4arch9wavefront6targetE1EEEvSZ_
    .private_segment_fixed_size: 0
    .sgpr_count:     50
    .sgpr_spill_count: 0
    .symbol:         _ZN7rocprim17ROCPRIM_400000_NS6detail17trampoline_kernelINS0_13select_configILj256ELj13ELNS0_17block_load_methodE3ELS4_3ELS4_3ELNS0_20block_scan_algorithmE0ELj4294967295EEENS1_25partition_config_selectorILNS1_17partition_subalgoE3EjNS0_10empty_typeEbEEZZNS1_14partition_implILS8_3ELb0ES6_jNS0_17counting_iteratorIjlEEPS9_SE_NS0_5tupleIJPjSE_EEENSF_IJSE_SE_EEES9_SG_JZNS1_25segmented_radix_sort_implINS0_14default_configELb1EPK6__halfPSL_PKlPlN2at6native12_GLOBAL__N_18offset_tEEE10hipError_tPvRmT1_PNSt15iterator_traitsISZ_E10value_typeET2_T3_PNS10_IS15_E10value_typeET4_jRbjT5_S1B_jjP12ihipStream_tbEUljE_EEESW_SX_SY_S15_S19_S1B_T6_T7_T9_mT8_S1D_bDpT10_ENKUlT_T0_E_clISt17integral_constantIbLb0EES1P_IbLb1EEEEDaS1L_S1M_EUlS1L_E_NS1_11comp_targetILNS1_3genE2ELNS1_11target_archE906ELNS1_3gpuE6ELNS1_3repE0EEENS1_30default_config_static_selectorELNS0_4arch9wavefront6targetE1EEEvSZ_.kd
    .uniform_work_group_size: 1
    .uses_dynamic_stack: false
    .vgpr_count:     71
    .vgpr_spill_count: 0
    .wavefront_size: 64
  - .args:
      - .offset:         0
        .size:           152
        .value_kind:     by_value
    .group_segment_fixed_size: 0
    .kernarg_segment_align: 8
    .kernarg_segment_size: 152
    .language:       OpenCL C
    .language_version:
      - 2
      - 0
    .max_flat_workgroup_size: 256
    .name:           _ZN7rocprim17ROCPRIM_400000_NS6detail17trampoline_kernelINS0_13select_configILj256ELj13ELNS0_17block_load_methodE3ELS4_3ELS4_3ELNS0_20block_scan_algorithmE0ELj4294967295EEENS1_25partition_config_selectorILNS1_17partition_subalgoE3EjNS0_10empty_typeEbEEZZNS1_14partition_implILS8_3ELb0ES6_jNS0_17counting_iteratorIjlEEPS9_SE_NS0_5tupleIJPjSE_EEENSF_IJSE_SE_EEES9_SG_JZNS1_25segmented_radix_sort_implINS0_14default_configELb1EPK6__halfPSL_PKlPlN2at6native12_GLOBAL__N_18offset_tEEE10hipError_tPvRmT1_PNSt15iterator_traitsISZ_E10value_typeET2_T3_PNS10_IS15_E10value_typeET4_jRbjT5_S1B_jjP12ihipStream_tbEUljE_EEESW_SX_SY_S15_S19_S1B_T6_T7_T9_mT8_S1D_bDpT10_ENKUlT_T0_E_clISt17integral_constantIbLb0EES1P_IbLb1EEEEDaS1L_S1M_EUlS1L_E_NS1_11comp_targetILNS1_3genE10ELNS1_11target_archE1200ELNS1_3gpuE4ELNS1_3repE0EEENS1_30default_config_static_selectorELNS0_4arch9wavefront6targetE1EEEvSZ_
    .private_segment_fixed_size: 0
    .sgpr_count:     4
    .sgpr_spill_count: 0
    .symbol:         _ZN7rocprim17ROCPRIM_400000_NS6detail17trampoline_kernelINS0_13select_configILj256ELj13ELNS0_17block_load_methodE3ELS4_3ELS4_3ELNS0_20block_scan_algorithmE0ELj4294967295EEENS1_25partition_config_selectorILNS1_17partition_subalgoE3EjNS0_10empty_typeEbEEZZNS1_14partition_implILS8_3ELb0ES6_jNS0_17counting_iteratorIjlEEPS9_SE_NS0_5tupleIJPjSE_EEENSF_IJSE_SE_EEES9_SG_JZNS1_25segmented_radix_sort_implINS0_14default_configELb1EPK6__halfPSL_PKlPlN2at6native12_GLOBAL__N_18offset_tEEE10hipError_tPvRmT1_PNSt15iterator_traitsISZ_E10value_typeET2_T3_PNS10_IS15_E10value_typeET4_jRbjT5_S1B_jjP12ihipStream_tbEUljE_EEESW_SX_SY_S15_S19_S1B_T6_T7_T9_mT8_S1D_bDpT10_ENKUlT_T0_E_clISt17integral_constantIbLb0EES1P_IbLb1EEEEDaS1L_S1M_EUlS1L_E_NS1_11comp_targetILNS1_3genE10ELNS1_11target_archE1200ELNS1_3gpuE4ELNS1_3repE0EEENS1_30default_config_static_selectorELNS0_4arch9wavefront6targetE1EEEvSZ_.kd
    .uniform_work_group_size: 1
    .uses_dynamic_stack: false
    .vgpr_count:     0
    .vgpr_spill_count: 0
    .wavefront_size: 64
  - .args:
      - .offset:         0
        .size:           152
        .value_kind:     by_value
    .group_segment_fixed_size: 0
    .kernarg_segment_align: 8
    .kernarg_segment_size: 152
    .language:       OpenCL C
    .language_version:
      - 2
      - 0
    .max_flat_workgroup_size: 256
    .name:           _ZN7rocprim17ROCPRIM_400000_NS6detail17trampoline_kernelINS0_13select_configILj256ELj13ELNS0_17block_load_methodE3ELS4_3ELS4_3ELNS0_20block_scan_algorithmE0ELj4294967295EEENS1_25partition_config_selectorILNS1_17partition_subalgoE3EjNS0_10empty_typeEbEEZZNS1_14partition_implILS8_3ELb0ES6_jNS0_17counting_iteratorIjlEEPS9_SE_NS0_5tupleIJPjSE_EEENSF_IJSE_SE_EEES9_SG_JZNS1_25segmented_radix_sort_implINS0_14default_configELb1EPK6__halfPSL_PKlPlN2at6native12_GLOBAL__N_18offset_tEEE10hipError_tPvRmT1_PNSt15iterator_traitsISZ_E10value_typeET2_T3_PNS10_IS15_E10value_typeET4_jRbjT5_S1B_jjP12ihipStream_tbEUljE_EEESW_SX_SY_S15_S19_S1B_T6_T7_T9_mT8_S1D_bDpT10_ENKUlT_T0_E_clISt17integral_constantIbLb0EES1P_IbLb1EEEEDaS1L_S1M_EUlS1L_E_NS1_11comp_targetILNS1_3genE9ELNS1_11target_archE1100ELNS1_3gpuE3ELNS1_3repE0EEENS1_30default_config_static_selectorELNS0_4arch9wavefront6targetE1EEEvSZ_
    .private_segment_fixed_size: 0
    .sgpr_count:     4
    .sgpr_spill_count: 0
    .symbol:         _ZN7rocprim17ROCPRIM_400000_NS6detail17trampoline_kernelINS0_13select_configILj256ELj13ELNS0_17block_load_methodE3ELS4_3ELS4_3ELNS0_20block_scan_algorithmE0ELj4294967295EEENS1_25partition_config_selectorILNS1_17partition_subalgoE3EjNS0_10empty_typeEbEEZZNS1_14partition_implILS8_3ELb0ES6_jNS0_17counting_iteratorIjlEEPS9_SE_NS0_5tupleIJPjSE_EEENSF_IJSE_SE_EEES9_SG_JZNS1_25segmented_radix_sort_implINS0_14default_configELb1EPK6__halfPSL_PKlPlN2at6native12_GLOBAL__N_18offset_tEEE10hipError_tPvRmT1_PNSt15iterator_traitsISZ_E10value_typeET2_T3_PNS10_IS15_E10value_typeET4_jRbjT5_S1B_jjP12ihipStream_tbEUljE_EEESW_SX_SY_S15_S19_S1B_T6_T7_T9_mT8_S1D_bDpT10_ENKUlT_T0_E_clISt17integral_constantIbLb0EES1P_IbLb1EEEEDaS1L_S1M_EUlS1L_E_NS1_11comp_targetILNS1_3genE9ELNS1_11target_archE1100ELNS1_3gpuE3ELNS1_3repE0EEENS1_30default_config_static_selectorELNS0_4arch9wavefront6targetE1EEEvSZ_.kd
    .uniform_work_group_size: 1
    .uses_dynamic_stack: false
    .vgpr_count:     0
    .vgpr_spill_count: 0
    .wavefront_size: 64
  - .args:
      - .offset:         0
        .size:           152
        .value_kind:     by_value
    .group_segment_fixed_size: 0
    .kernarg_segment_align: 8
    .kernarg_segment_size: 152
    .language:       OpenCL C
    .language_version:
      - 2
      - 0
    .max_flat_workgroup_size: 256
    .name:           _ZN7rocprim17ROCPRIM_400000_NS6detail17trampoline_kernelINS0_13select_configILj256ELj13ELNS0_17block_load_methodE3ELS4_3ELS4_3ELNS0_20block_scan_algorithmE0ELj4294967295EEENS1_25partition_config_selectorILNS1_17partition_subalgoE3EjNS0_10empty_typeEbEEZZNS1_14partition_implILS8_3ELb0ES6_jNS0_17counting_iteratorIjlEEPS9_SE_NS0_5tupleIJPjSE_EEENSF_IJSE_SE_EEES9_SG_JZNS1_25segmented_radix_sort_implINS0_14default_configELb1EPK6__halfPSL_PKlPlN2at6native12_GLOBAL__N_18offset_tEEE10hipError_tPvRmT1_PNSt15iterator_traitsISZ_E10value_typeET2_T3_PNS10_IS15_E10value_typeET4_jRbjT5_S1B_jjP12ihipStream_tbEUljE_EEESW_SX_SY_S15_S19_S1B_T6_T7_T9_mT8_S1D_bDpT10_ENKUlT_T0_E_clISt17integral_constantIbLb0EES1P_IbLb1EEEEDaS1L_S1M_EUlS1L_E_NS1_11comp_targetILNS1_3genE8ELNS1_11target_archE1030ELNS1_3gpuE2ELNS1_3repE0EEENS1_30default_config_static_selectorELNS0_4arch9wavefront6targetE1EEEvSZ_
    .private_segment_fixed_size: 0
    .sgpr_count:     4
    .sgpr_spill_count: 0
    .symbol:         _ZN7rocprim17ROCPRIM_400000_NS6detail17trampoline_kernelINS0_13select_configILj256ELj13ELNS0_17block_load_methodE3ELS4_3ELS4_3ELNS0_20block_scan_algorithmE0ELj4294967295EEENS1_25partition_config_selectorILNS1_17partition_subalgoE3EjNS0_10empty_typeEbEEZZNS1_14partition_implILS8_3ELb0ES6_jNS0_17counting_iteratorIjlEEPS9_SE_NS0_5tupleIJPjSE_EEENSF_IJSE_SE_EEES9_SG_JZNS1_25segmented_radix_sort_implINS0_14default_configELb1EPK6__halfPSL_PKlPlN2at6native12_GLOBAL__N_18offset_tEEE10hipError_tPvRmT1_PNSt15iterator_traitsISZ_E10value_typeET2_T3_PNS10_IS15_E10value_typeET4_jRbjT5_S1B_jjP12ihipStream_tbEUljE_EEESW_SX_SY_S15_S19_S1B_T6_T7_T9_mT8_S1D_bDpT10_ENKUlT_T0_E_clISt17integral_constantIbLb0EES1P_IbLb1EEEEDaS1L_S1M_EUlS1L_E_NS1_11comp_targetILNS1_3genE8ELNS1_11target_archE1030ELNS1_3gpuE2ELNS1_3repE0EEENS1_30default_config_static_selectorELNS0_4arch9wavefront6targetE1EEEvSZ_.kd
    .uniform_work_group_size: 1
    .uses_dynamic_stack: false
    .vgpr_count:     0
    .vgpr_spill_count: 0
    .wavefront_size: 64
  - .args:
      - .offset:         0
        .size:           96
        .value_kind:     by_value
    .group_segment_fixed_size: 0
    .kernarg_segment_align: 8
    .kernarg_segment_size: 96
    .language:       OpenCL C
    .language_version:
      - 2
      - 0
    .max_flat_workgroup_size: 256
    .name:           _ZN7rocprim17ROCPRIM_400000_NS6detail17trampoline_kernelINS0_14default_configENS1_36segmented_radix_sort_config_selectorI6__halflEEZNS1_25segmented_radix_sort_implIS3_Lb1EPKS5_PS5_PKlPlN2at6native12_GLOBAL__N_18offset_tEEE10hipError_tPvRmT1_PNSt15iterator_traitsISL_E10value_typeET2_T3_PNSM_ISR_E10value_typeET4_jRbjT5_SX_jjP12ihipStream_tbEUlT_E_NS1_11comp_targetILNS1_3genE0ELNS1_11target_archE4294967295ELNS1_3gpuE0ELNS1_3repE0EEENS1_30default_config_static_selectorELNS0_4arch9wavefront6targetE1EEEvSL_
    .private_segment_fixed_size: 0
    .sgpr_count:     4
    .sgpr_spill_count: 0
    .symbol:         _ZN7rocprim17ROCPRIM_400000_NS6detail17trampoline_kernelINS0_14default_configENS1_36segmented_radix_sort_config_selectorI6__halflEEZNS1_25segmented_radix_sort_implIS3_Lb1EPKS5_PS5_PKlPlN2at6native12_GLOBAL__N_18offset_tEEE10hipError_tPvRmT1_PNSt15iterator_traitsISL_E10value_typeET2_T3_PNSM_ISR_E10value_typeET4_jRbjT5_SX_jjP12ihipStream_tbEUlT_E_NS1_11comp_targetILNS1_3genE0ELNS1_11target_archE4294967295ELNS1_3gpuE0ELNS1_3repE0EEENS1_30default_config_static_selectorELNS0_4arch9wavefront6targetE1EEEvSL_.kd
    .uniform_work_group_size: 1
    .uses_dynamic_stack: false
    .vgpr_count:     0
    .vgpr_spill_count: 0
    .wavefront_size: 64
  - .args:
      - .offset:         0
        .size:           96
        .value_kind:     by_value
    .group_segment_fixed_size: 0
    .kernarg_segment_align: 8
    .kernarg_segment_size: 96
    .language:       OpenCL C
    .language_version:
      - 2
      - 0
    .max_flat_workgroup_size: 256
    .name:           _ZN7rocprim17ROCPRIM_400000_NS6detail17trampoline_kernelINS0_14default_configENS1_36segmented_radix_sort_config_selectorI6__halflEEZNS1_25segmented_radix_sort_implIS3_Lb1EPKS5_PS5_PKlPlN2at6native12_GLOBAL__N_18offset_tEEE10hipError_tPvRmT1_PNSt15iterator_traitsISL_E10value_typeET2_T3_PNSM_ISR_E10value_typeET4_jRbjT5_SX_jjP12ihipStream_tbEUlT_E_NS1_11comp_targetILNS1_3genE5ELNS1_11target_archE942ELNS1_3gpuE9ELNS1_3repE0EEENS1_30default_config_static_selectorELNS0_4arch9wavefront6targetE1EEEvSL_
    .private_segment_fixed_size: 0
    .sgpr_count:     4
    .sgpr_spill_count: 0
    .symbol:         _ZN7rocprim17ROCPRIM_400000_NS6detail17trampoline_kernelINS0_14default_configENS1_36segmented_radix_sort_config_selectorI6__halflEEZNS1_25segmented_radix_sort_implIS3_Lb1EPKS5_PS5_PKlPlN2at6native12_GLOBAL__N_18offset_tEEE10hipError_tPvRmT1_PNSt15iterator_traitsISL_E10value_typeET2_T3_PNSM_ISR_E10value_typeET4_jRbjT5_SX_jjP12ihipStream_tbEUlT_E_NS1_11comp_targetILNS1_3genE5ELNS1_11target_archE942ELNS1_3gpuE9ELNS1_3repE0EEENS1_30default_config_static_selectorELNS0_4arch9wavefront6targetE1EEEvSL_.kd
    .uniform_work_group_size: 1
    .uses_dynamic_stack: false
    .vgpr_count:     0
    .vgpr_spill_count: 0
    .wavefront_size: 64
  - .args:
      - .offset:         0
        .size:           96
        .value_kind:     by_value
    .group_segment_fixed_size: 0
    .kernarg_segment_align: 8
    .kernarg_segment_size: 96
    .language:       OpenCL C
    .language_version:
      - 2
      - 0
    .max_flat_workgroup_size: 256
    .name:           _ZN7rocprim17ROCPRIM_400000_NS6detail17trampoline_kernelINS0_14default_configENS1_36segmented_radix_sort_config_selectorI6__halflEEZNS1_25segmented_radix_sort_implIS3_Lb1EPKS5_PS5_PKlPlN2at6native12_GLOBAL__N_18offset_tEEE10hipError_tPvRmT1_PNSt15iterator_traitsISL_E10value_typeET2_T3_PNSM_ISR_E10value_typeET4_jRbjT5_SX_jjP12ihipStream_tbEUlT_E_NS1_11comp_targetILNS1_3genE4ELNS1_11target_archE910ELNS1_3gpuE8ELNS1_3repE0EEENS1_30default_config_static_selectorELNS0_4arch9wavefront6targetE1EEEvSL_
    .private_segment_fixed_size: 0
    .sgpr_count:     4
    .sgpr_spill_count: 0
    .symbol:         _ZN7rocprim17ROCPRIM_400000_NS6detail17trampoline_kernelINS0_14default_configENS1_36segmented_radix_sort_config_selectorI6__halflEEZNS1_25segmented_radix_sort_implIS3_Lb1EPKS5_PS5_PKlPlN2at6native12_GLOBAL__N_18offset_tEEE10hipError_tPvRmT1_PNSt15iterator_traitsISL_E10value_typeET2_T3_PNSM_ISR_E10value_typeET4_jRbjT5_SX_jjP12ihipStream_tbEUlT_E_NS1_11comp_targetILNS1_3genE4ELNS1_11target_archE910ELNS1_3gpuE8ELNS1_3repE0EEENS1_30default_config_static_selectorELNS0_4arch9wavefront6targetE1EEEvSL_.kd
    .uniform_work_group_size: 1
    .uses_dynamic_stack: false
    .vgpr_count:     0
    .vgpr_spill_count: 0
    .wavefront_size: 64
  - .args:
      - .offset:         0
        .size:           96
        .value_kind:     by_value
    .group_segment_fixed_size: 0
    .kernarg_segment_align: 8
    .kernarg_segment_size: 96
    .language:       OpenCL C
    .language_version:
      - 2
      - 0
    .max_flat_workgroup_size: 256
    .name:           _ZN7rocprim17ROCPRIM_400000_NS6detail17trampoline_kernelINS0_14default_configENS1_36segmented_radix_sort_config_selectorI6__halflEEZNS1_25segmented_radix_sort_implIS3_Lb1EPKS5_PS5_PKlPlN2at6native12_GLOBAL__N_18offset_tEEE10hipError_tPvRmT1_PNSt15iterator_traitsISL_E10value_typeET2_T3_PNSM_ISR_E10value_typeET4_jRbjT5_SX_jjP12ihipStream_tbEUlT_E_NS1_11comp_targetILNS1_3genE3ELNS1_11target_archE908ELNS1_3gpuE7ELNS1_3repE0EEENS1_30default_config_static_selectorELNS0_4arch9wavefront6targetE1EEEvSL_
    .private_segment_fixed_size: 0
    .sgpr_count:     4
    .sgpr_spill_count: 0
    .symbol:         _ZN7rocprim17ROCPRIM_400000_NS6detail17trampoline_kernelINS0_14default_configENS1_36segmented_radix_sort_config_selectorI6__halflEEZNS1_25segmented_radix_sort_implIS3_Lb1EPKS5_PS5_PKlPlN2at6native12_GLOBAL__N_18offset_tEEE10hipError_tPvRmT1_PNSt15iterator_traitsISL_E10value_typeET2_T3_PNSM_ISR_E10value_typeET4_jRbjT5_SX_jjP12ihipStream_tbEUlT_E_NS1_11comp_targetILNS1_3genE3ELNS1_11target_archE908ELNS1_3gpuE7ELNS1_3repE0EEENS1_30default_config_static_selectorELNS0_4arch9wavefront6targetE1EEEvSL_.kd
    .uniform_work_group_size: 1
    .uses_dynamic_stack: false
    .vgpr_count:     0
    .vgpr_spill_count: 0
    .wavefront_size: 64
  - .args:
      - .offset:         0
        .size:           96
        .value_kind:     by_value
      - .offset:         96
        .size:           4
        .value_kind:     hidden_block_count_x
      - .offset:         100
        .size:           4
        .value_kind:     hidden_block_count_y
      - .offset:         104
        .size:           4
        .value_kind:     hidden_block_count_z
      - .offset:         108
        .size:           2
        .value_kind:     hidden_group_size_x
      - .offset:         110
        .size:           2
        .value_kind:     hidden_group_size_y
      - .offset:         112
        .size:           2
        .value_kind:     hidden_group_size_z
      - .offset:         114
        .size:           2
        .value_kind:     hidden_remainder_x
      - .offset:         116
        .size:           2
        .value_kind:     hidden_remainder_y
      - .offset:         118
        .size:           2
        .value_kind:     hidden_remainder_z
      - .offset:         136
        .size:           8
        .value_kind:     hidden_global_offset_x
      - .offset:         144
        .size:           8
        .value_kind:     hidden_global_offset_y
      - .offset:         152
        .size:           8
        .value_kind:     hidden_global_offset_z
      - .offset:         160
        .size:           2
        .value_kind:     hidden_grid_dims
    .group_segment_fixed_size: 17424
    .kernarg_segment_align: 8
    .kernarg_segment_size: 352
    .language:       OpenCL C
    .language_version:
      - 2
      - 0
    .max_flat_workgroup_size: 256
    .name:           _ZN7rocprim17ROCPRIM_400000_NS6detail17trampoline_kernelINS0_14default_configENS1_36segmented_radix_sort_config_selectorI6__halflEEZNS1_25segmented_radix_sort_implIS3_Lb1EPKS5_PS5_PKlPlN2at6native12_GLOBAL__N_18offset_tEEE10hipError_tPvRmT1_PNSt15iterator_traitsISL_E10value_typeET2_T3_PNSM_ISR_E10value_typeET4_jRbjT5_SX_jjP12ihipStream_tbEUlT_E_NS1_11comp_targetILNS1_3genE2ELNS1_11target_archE906ELNS1_3gpuE6ELNS1_3repE0EEENS1_30default_config_static_selectorELNS0_4arch9wavefront6targetE1EEEvSL_
    .private_segment_fixed_size: 0
    .sgpr_count:     86
    .sgpr_spill_count: 0
    .symbol:         _ZN7rocprim17ROCPRIM_400000_NS6detail17trampoline_kernelINS0_14default_configENS1_36segmented_radix_sort_config_selectorI6__halflEEZNS1_25segmented_radix_sort_implIS3_Lb1EPKS5_PS5_PKlPlN2at6native12_GLOBAL__N_18offset_tEEE10hipError_tPvRmT1_PNSt15iterator_traitsISL_E10value_typeET2_T3_PNSM_ISR_E10value_typeET4_jRbjT5_SX_jjP12ihipStream_tbEUlT_E_NS1_11comp_targetILNS1_3genE2ELNS1_11target_archE906ELNS1_3gpuE6ELNS1_3repE0EEENS1_30default_config_static_selectorELNS0_4arch9wavefront6targetE1EEEvSL_.kd
    .uniform_work_group_size: 1
    .uses_dynamic_stack: false
    .vgpr_count:     195
    .vgpr_spill_count: 0
    .wavefront_size: 64
  - .args:
      - .offset:         0
        .size:           96
        .value_kind:     by_value
    .group_segment_fixed_size: 0
    .kernarg_segment_align: 8
    .kernarg_segment_size: 96
    .language:       OpenCL C
    .language_version:
      - 2
      - 0
    .max_flat_workgroup_size: 256
    .name:           _ZN7rocprim17ROCPRIM_400000_NS6detail17trampoline_kernelINS0_14default_configENS1_36segmented_radix_sort_config_selectorI6__halflEEZNS1_25segmented_radix_sort_implIS3_Lb1EPKS5_PS5_PKlPlN2at6native12_GLOBAL__N_18offset_tEEE10hipError_tPvRmT1_PNSt15iterator_traitsISL_E10value_typeET2_T3_PNSM_ISR_E10value_typeET4_jRbjT5_SX_jjP12ihipStream_tbEUlT_E_NS1_11comp_targetILNS1_3genE10ELNS1_11target_archE1201ELNS1_3gpuE5ELNS1_3repE0EEENS1_30default_config_static_selectorELNS0_4arch9wavefront6targetE1EEEvSL_
    .private_segment_fixed_size: 0
    .sgpr_count:     4
    .sgpr_spill_count: 0
    .symbol:         _ZN7rocprim17ROCPRIM_400000_NS6detail17trampoline_kernelINS0_14default_configENS1_36segmented_radix_sort_config_selectorI6__halflEEZNS1_25segmented_radix_sort_implIS3_Lb1EPKS5_PS5_PKlPlN2at6native12_GLOBAL__N_18offset_tEEE10hipError_tPvRmT1_PNSt15iterator_traitsISL_E10value_typeET2_T3_PNSM_ISR_E10value_typeET4_jRbjT5_SX_jjP12ihipStream_tbEUlT_E_NS1_11comp_targetILNS1_3genE10ELNS1_11target_archE1201ELNS1_3gpuE5ELNS1_3repE0EEENS1_30default_config_static_selectorELNS0_4arch9wavefront6targetE1EEEvSL_.kd
    .uniform_work_group_size: 1
    .uses_dynamic_stack: false
    .vgpr_count:     0
    .vgpr_spill_count: 0
    .wavefront_size: 64
  - .args:
      - .offset:         0
        .size:           96
        .value_kind:     by_value
    .group_segment_fixed_size: 0
    .kernarg_segment_align: 8
    .kernarg_segment_size: 96
    .language:       OpenCL C
    .language_version:
      - 2
      - 0
    .max_flat_workgroup_size: 128
    .name:           _ZN7rocprim17ROCPRIM_400000_NS6detail17trampoline_kernelINS0_14default_configENS1_36segmented_radix_sort_config_selectorI6__halflEEZNS1_25segmented_radix_sort_implIS3_Lb1EPKS5_PS5_PKlPlN2at6native12_GLOBAL__N_18offset_tEEE10hipError_tPvRmT1_PNSt15iterator_traitsISL_E10value_typeET2_T3_PNSM_ISR_E10value_typeET4_jRbjT5_SX_jjP12ihipStream_tbEUlT_E_NS1_11comp_targetILNS1_3genE10ELNS1_11target_archE1200ELNS1_3gpuE4ELNS1_3repE0EEENS1_30default_config_static_selectorELNS0_4arch9wavefront6targetE1EEEvSL_
    .private_segment_fixed_size: 0
    .sgpr_count:     4
    .sgpr_spill_count: 0
    .symbol:         _ZN7rocprim17ROCPRIM_400000_NS6detail17trampoline_kernelINS0_14default_configENS1_36segmented_radix_sort_config_selectorI6__halflEEZNS1_25segmented_radix_sort_implIS3_Lb1EPKS5_PS5_PKlPlN2at6native12_GLOBAL__N_18offset_tEEE10hipError_tPvRmT1_PNSt15iterator_traitsISL_E10value_typeET2_T3_PNSM_ISR_E10value_typeET4_jRbjT5_SX_jjP12ihipStream_tbEUlT_E_NS1_11comp_targetILNS1_3genE10ELNS1_11target_archE1200ELNS1_3gpuE4ELNS1_3repE0EEENS1_30default_config_static_selectorELNS0_4arch9wavefront6targetE1EEEvSL_.kd
    .uniform_work_group_size: 1
    .uses_dynamic_stack: false
    .vgpr_count:     0
    .vgpr_spill_count: 0
    .wavefront_size: 64
  - .args:
      - .offset:         0
        .size:           96
        .value_kind:     by_value
    .group_segment_fixed_size: 0
    .kernarg_segment_align: 8
    .kernarg_segment_size: 96
    .language:       OpenCL C
    .language_version:
      - 2
      - 0
    .max_flat_workgroup_size: 256
    .name:           _ZN7rocprim17ROCPRIM_400000_NS6detail17trampoline_kernelINS0_14default_configENS1_36segmented_radix_sort_config_selectorI6__halflEEZNS1_25segmented_radix_sort_implIS3_Lb1EPKS5_PS5_PKlPlN2at6native12_GLOBAL__N_18offset_tEEE10hipError_tPvRmT1_PNSt15iterator_traitsISL_E10value_typeET2_T3_PNSM_ISR_E10value_typeET4_jRbjT5_SX_jjP12ihipStream_tbEUlT_E_NS1_11comp_targetILNS1_3genE9ELNS1_11target_archE1100ELNS1_3gpuE3ELNS1_3repE0EEENS1_30default_config_static_selectorELNS0_4arch9wavefront6targetE1EEEvSL_
    .private_segment_fixed_size: 0
    .sgpr_count:     4
    .sgpr_spill_count: 0
    .symbol:         _ZN7rocprim17ROCPRIM_400000_NS6detail17trampoline_kernelINS0_14default_configENS1_36segmented_radix_sort_config_selectorI6__halflEEZNS1_25segmented_radix_sort_implIS3_Lb1EPKS5_PS5_PKlPlN2at6native12_GLOBAL__N_18offset_tEEE10hipError_tPvRmT1_PNSt15iterator_traitsISL_E10value_typeET2_T3_PNSM_ISR_E10value_typeET4_jRbjT5_SX_jjP12ihipStream_tbEUlT_E_NS1_11comp_targetILNS1_3genE9ELNS1_11target_archE1100ELNS1_3gpuE3ELNS1_3repE0EEENS1_30default_config_static_selectorELNS0_4arch9wavefront6targetE1EEEvSL_.kd
    .uniform_work_group_size: 1
    .uses_dynamic_stack: false
    .vgpr_count:     0
    .vgpr_spill_count: 0
    .wavefront_size: 64
  - .args:
      - .offset:         0
        .size:           96
        .value_kind:     by_value
    .group_segment_fixed_size: 0
    .kernarg_segment_align: 8
    .kernarg_segment_size: 96
    .language:       OpenCL C
    .language_version:
      - 2
      - 0
    .max_flat_workgroup_size: 256
    .name:           _ZN7rocprim17ROCPRIM_400000_NS6detail17trampoline_kernelINS0_14default_configENS1_36segmented_radix_sort_config_selectorI6__halflEEZNS1_25segmented_radix_sort_implIS3_Lb1EPKS5_PS5_PKlPlN2at6native12_GLOBAL__N_18offset_tEEE10hipError_tPvRmT1_PNSt15iterator_traitsISL_E10value_typeET2_T3_PNSM_ISR_E10value_typeET4_jRbjT5_SX_jjP12ihipStream_tbEUlT_E_NS1_11comp_targetILNS1_3genE8ELNS1_11target_archE1030ELNS1_3gpuE2ELNS1_3repE0EEENS1_30default_config_static_selectorELNS0_4arch9wavefront6targetE1EEEvSL_
    .private_segment_fixed_size: 0
    .sgpr_count:     4
    .sgpr_spill_count: 0
    .symbol:         _ZN7rocprim17ROCPRIM_400000_NS6detail17trampoline_kernelINS0_14default_configENS1_36segmented_radix_sort_config_selectorI6__halflEEZNS1_25segmented_radix_sort_implIS3_Lb1EPKS5_PS5_PKlPlN2at6native12_GLOBAL__N_18offset_tEEE10hipError_tPvRmT1_PNSt15iterator_traitsISL_E10value_typeET2_T3_PNSM_ISR_E10value_typeET4_jRbjT5_SX_jjP12ihipStream_tbEUlT_E_NS1_11comp_targetILNS1_3genE8ELNS1_11target_archE1030ELNS1_3gpuE2ELNS1_3repE0EEENS1_30default_config_static_selectorELNS0_4arch9wavefront6targetE1EEEvSL_.kd
    .uniform_work_group_size: 1
    .uses_dynamic_stack: false
    .vgpr_count:     0
    .vgpr_spill_count: 0
    .wavefront_size: 64
  - .args:
      - .offset:         0
        .size:           88
        .value_kind:     by_value
    .group_segment_fixed_size: 0
    .kernarg_segment_align: 8
    .kernarg_segment_size: 88
    .language:       OpenCL C
    .language_version:
      - 2
      - 0
    .max_flat_workgroup_size: 256
    .name:           _ZN7rocprim17ROCPRIM_400000_NS6detail17trampoline_kernelINS0_14default_configENS1_36segmented_radix_sort_config_selectorI6__halflEEZNS1_25segmented_radix_sort_implIS3_Lb1EPKS5_PS5_PKlPlN2at6native12_GLOBAL__N_18offset_tEEE10hipError_tPvRmT1_PNSt15iterator_traitsISL_E10value_typeET2_T3_PNSM_ISR_E10value_typeET4_jRbjT5_SX_jjP12ihipStream_tbEUlT_E0_NS1_11comp_targetILNS1_3genE0ELNS1_11target_archE4294967295ELNS1_3gpuE0ELNS1_3repE0EEENS1_60segmented_radix_sort_warp_sort_medium_config_static_selectorELNS0_4arch9wavefront6targetE1EEEvSL_
    .private_segment_fixed_size: 0
    .sgpr_count:     4
    .sgpr_spill_count: 0
    .symbol:         _ZN7rocprim17ROCPRIM_400000_NS6detail17trampoline_kernelINS0_14default_configENS1_36segmented_radix_sort_config_selectorI6__halflEEZNS1_25segmented_radix_sort_implIS3_Lb1EPKS5_PS5_PKlPlN2at6native12_GLOBAL__N_18offset_tEEE10hipError_tPvRmT1_PNSt15iterator_traitsISL_E10value_typeET2_T3_PNSM_ISR_E10value_typeET4_jRbjT5_SX_jjP12ihipStream_tbEUlT_E0_NS1_11comp_targetILNS1_3genE0ELNS1_11target_archE4294967295ELNS1_3gpuE0ELNS1_3repE0EEENS1_60segmented_radix_sort_warp_sort_medium_config_static_selectorELNS0_4arch9wavefront6targetE1EEEvSL_.kd
    .uniform_work_group_size: 1
    .uses_dynamic_stack: false
    .vgpr_count:     0
    .vgpr_spill_count: 0
    .wavefront_size: 64
  - .args:
      - .offset:         0
        .size:           88
        .value_kind:     by_value
    .group_segment_fixed_size: 0
    .kernarg_segment_align: 8
    .kernarg_segment_size: 88
    .language:       OpenCL C
    .language_version:
      - 2
      - 0
    .max_flat_workgroup_size: 256
    .name:           _ZN7rocprim17ROCPRIM_400000_NS6detail17trampoline_kernelINS0_14default_configENS1_36segmented_radix_sort_config_selectorI6__halflEEZNS1_25segmented_radix_sort_implIS3_Lb1EPKS5_PS5_PKlPlN2at6native12_GLOBAL__N_18offset_tEEE10hipError_tPvRmT1_PNSt15iterator_traitsISL_E10value_typeET2_T3_PNSM_ISR_E10value_typeET4_jRbjT5_SX_jjP12ihipStream_tbEUlT_E0_NS1_11comp_targetILNS1_3genE5ELNS1_11target_archE942ELNS1_3gpuE9ELNS1_3repE0EEENS1_60segmented_radix_sort_warp_sort_medium_config_static_selectorELNS0_4arch9wavefront6targetE1EEEvSL_
    .private_segment_fixed_size: 0
    .sgpr_count:     4
    .sgpr_spill_count: 0
    .symbol:         _ZN7rocprim17ROCPRIM_400000_NS6detail17trampoline_kernelINS0_14default_configENS1_36segmented_radix_sort_config_selectorI6__halflEEZNS1_25segmented_radix_sort_implIS3_Lb1EPKS5_PS5_PKlPlN2at6native12_GLOBAL__N_18offset_tEEE10hipError_tPvRmT1_PNSt15iterator_traitsISL_E10value_typeET2_T3_PNSM_ISR_E10value_typeET4_jRbjT5_SX_jjP12ihipStream_tbEUlT_E0_NS1_11comp_targetILNS1_3genE5ELNS1_11target_archE942ELNS1_3gpuE9ELNS1_3repE0EEENS1_60segmented_radix_sort_warp_sort_medium_config_static_selectorELNS0_4arch9wavefront6targetE1EEEvSL_.kd
    .uniform_work_group_size: 1
    .uses_dynamic_stack: false
    .vgpr_count:     0
    .vgpr_spill_count: 0
    .wavefront_size: 64
  - .args:
      - .offset:         0
        .size:           88
        .value_kind:     by_value
    .group_segment_fixed_size: 0
    .kernarg_segment_align: 8
    .kernarg_segment_size: 88
    .language:       OpenCL C
    .language_version:
      - 2
      - 0
    .max_flat_workgroup_size: 256
    .name:           _ZN7rocprim17ROCPRIM_400000_NS6detail17trampoline_kernelINS0_14default_configENS1_36segmented_radix_sort_config_selectorI6__halflEEZNS1_25segmented_radix_sort_implIS3_Lb1EPKS5_PS5_PKlPlN2at6native12_GLOBAL__N_18offset_tEEE10hipError_tPvRmT1_PNSt15iterator_traitsISL_E10value_typeET2_T3_PNSM_ISR_E10value_typeET4_jRbjT5_SX_jjP12ihipStream_tbEUlT_E0_NS1_11comp_targetILNS1_3genE4ELNS1_11target_archE910ELNS1_3gpuE8ELNS1_3repE0EEENS1_60segmented_radix_sort_warp_sort_medium_config_static_selectorELNS0_4arch9wavefront6targetE1EEEvSL_
    .private_segment_fixed_size: 0
    .sgpr_count:     4
    .sgpr_spill_count: 0
    .symbol:         _ZN7rocprim17ROCPRIM_400000_NS6detail17trampoline_kernelINS0_14default_configENS1_36segmented_radix_sort_config_selectorI6__halflEEZNS1_25segmented_radix_sort_implIS3_Lb1EPKS5_PS5_PKlPlN2at6native12_GLOBAL__N_18offset_tEEE10hipError_tPvRmT1_PNSt15iterator_traitsISL_E10value_typeET2_T3_PNSM_ISR_E10value_typeET4_jRbjT5_SX_jjP12ihipStream_tbEUlT_E0_NS1_11comp_targetILNS1_3genE4ELNS1_11target_archE910ELNS1_3gpuE8ELNS1_3repE0EEENS1_60segmented_radix_sort_warp_sort_medium_config_static_selectorELNS0_4arch9wavefront6targetE1EEEvSL_.kd
    .uniform_work_group_size: 1
    .uses_dynamic_stack: false
    .vgpr_count:     0
    .vgpr_spill_count: 0
    .wavefront_size: 64
  - .args:
      - .offset:         0
        .size:           88
        .value_kind:     by_value
    .group_segment_fixed_size: 0
    .kernarg_segment_align: 8
    .kernarg_segment_size: 88
    .language:       OpenCL C
    .language_version:
      - 2
      - 0
    .max_flat_workgroup_size: 256
    .name:           _ZN7rocprim17ROCPRIM_400000_NS6detail17trampoline_kernelINS0_14default_configENS1_36segmented_radix_sort_config_selectorI6__halflEEZNS1_25segmented_radix_sort_implIS3_Lb1EPKS5_PS5_PKlPlN2at6native12_GLOBAL__N_18offset_tEEE10hipError_tPvRmT1_PNSt15iterator_traitsISL_E10value_typeET2_T3_PNSM_ISR_E10value_typeET4_jRbjT5_SX_jjP12ihipStream_tbEUlT_E0_NS1_11comp_targetILNS1_3genE3ELNS1_11target_archE908ELNS1_3gpuE7ELNS1_3repE0EEENS1_60segmented_radix_sort_warp_sort_medium_config_static_selectorELNS0_4arch9wavefront6targetE1EEEvSL_
    .private_segment_fixed_size: 0
    .sgpr_count:     4
    .sgpr_spill_count: 0
    .symbol:         _ZN7rocprim17ROCPRIM_400000_NS6detail17trampoline_kernelINS0_14default_configENS1_36segmented_radix_sort_config_selectorI6__halflEEZNS1_25segmented_radix_sort_implIS3_Lb1EPKS5_PS5_PKlPlN2at6native12_GLOBAL__N_18offset_tEEE10hipError_tPvRmT1_PNSt15iterator_traitsISL_E10value_typeET2_T3_PNSM_ISR_E10value_typeET4_jRbjT5_SX_jjP12ihipStream_tbEUlT_E0_NS1_11comp_targetILNS1_3genE3ELNS1_11target_archE908ELNS1_3gpuE7ELNS1_3repE0EEENS1_60segmented_radix_sort_warp_sort_medium_config_static_selectorELNS0_4arch9wavefront6targetE1EEEvSL_.kd
    .uniform_work_group_size: 1
    .uses_dynamic_stack: false
    .vgpr_count:     0
    .vgpr_spill_count: 0
    .wavefront_size: 64
  - .args:
      - .offset:         0
        .size:           88
        .value_kind:     by_value
      - .offset:         88
        .size:           4
        .value_kind:     hidden_block_count_x
      - .offset:         92
        .size:           4
        .value_kind:     hidden_block_count_y
      - .offset:         96
        .size:           4
        .value_kind:     hidden_block_count_z
      - .offset:         100
        .size:           2
        .value_kind:     hidden_group_size_x
      - .offset:         102
        .size:           2
        .value_kind:     hidden_group_size_y
      - .offset:         104
        .size:           2
        .value_kind:     hidden_group_size_z
      - .offset:         106
        .size:           2
        .value_kind:     hidden_remainder_x
      - .offset:         108
        .size:           2
        .value_kind:     hidden_remainder_y
      - .offset:         110
        .size:           2
        .value_kind:     hidden_remainder_z
      - .offset:         128
        .size:           8
        .value_kind:     hidden_global_offset_x
      - .offset:         136
        .size:           8
        .value_kind:     hidden_global_offset_y
      - .offset:         144
        .size:           8
        .value_kind:     hidden_global_offset_z
      - .offset:         152
        .size:           2
        .value_kind:     hidden_grid_dims
    .group_segment_fixed_size: 20480
    .kernarg_segment_align: 8
    .kernarg_segment_size: 344
    .language:       OpenCL C
    .language_version:
      - 2
      - 0
    .max_flat_workgroup_size: 256
    .name:           _ZN7rocprim17ROCPRIM_400000_NS6detail17trampoline_kernelINS0_14default_configENS1_36segmented_radix_sort_config_selectorI6__halflEEZNS1_25segmented_radix_sort_implIS3_Lb1EPKS5_PS5_PKlPlN2at6native12_GLOBAL__N_18offset_tEEE10hipError_tPvRmT1_PNSt15iterator_traitsISL_E10value_typeET2_T3_PNSM_ISR_E10value_typeET4_jRbjT5_SX_jjP12ihipStream_tbEUlT_E0_NS1_11comp_targetILNS1_3genE2ELNS1_11target_archE906ELNS1_3gpuE6ELNS1_3repE0EEENS1_60segmented_radix_sort_warp_sort_medium_config_static_selectorELNS0_4arch9wavefront6targetE1EEEvSL_
    .private_segment_fixed_size: 0
    .sgpr_count:     64
    .sgpr_spill_count: 0
    .symbol:         _ZN7rocprim17ROCPRIM_400000_NS6detail17trampoline_kernelINS0_14default_configENS1_36segmented_radix_sort_config_selectorI6__halflEEZNS1_25segmented_radix_sort_implIS3_Lb1EPKS5_PS5_PKlPlN2at6native12_GLOBAL__N_18offset_tEEE10hipError_tPvRmT1_PNSt15iterator_traitsISL_E10value_typeET2_T3_PNSM_ISR_E10value_typeET4_jRbjT5_SX_jjP12ihipStream_tbEUlT_E0_NS1_11comp_targetILNS1_3genE2ELNS1_11target_archE906ELNS1_3gpuE6ELNS1_3repE0EEENS1_60segmented_radix_sort_warp_sort_medium_config_static_selectorELNS0_4arch9wavefront6targetE1EEEvSL_.kd
    .uniform_work_group_size: 1
    .uses_dynamic_stack: false
    .vgpr_count:     72
    .vgpr_spill_count: 0
    .wavefront_size: 64
  - .args:
      - .offset:         0
        .size:           88
        .value_kind:     by_value
    .group_segment_fixed_size: 0
    .kernarg_segment_align: 8
    .kernarg_segment_size: 88
    .language:       OpenCL C
    .language_version:
      - 2
      - 0
    .max_flat_workgroup_size: 256
    .name:           _ZN7rocprim17ROCPRIM_400000_NS6detail17trampoline_kernelINS0_14default_configENS1_36segmented_radix_sort_config_selectorI6__halflEEZNS1_25segmented_radix_sort_implIS3_Lb1EPKS5_PS5_PKlPlN2at6native12_GLOBAL__N_18offset_tEEE10hipError_tPvRmT1_PNSt15iterator_traitsISL_E10value_typeET2_T3_PNSM_ISR_E10value_typeET4_jRbjT5_SX_jjP12ihipStream_tbEUlT_E0_NS1_11comp_targetILNS1_3genE10ELNS1_11target_archE1201ELNS1_3gpuE5ELNS1_3repE0EEENS1_60segmented_radix_sort_warp_sort_medium_config_static_selectorELNS0_4arch9wavefront6targetE1EEEvSL_
    .private_segment_fixed_size: 0
    .sgpr_count:     4
    .sgpr_spill_count: 0
    .symbol:         _ZN7rocprim17ROCPRIM_400000_NS6detail17trampoline_kernelINS0_14default_configENS1_36segmented_radix_sort_config_selectorI6__halflEEZNS1_25segmented_radix_sort_implIS3_Lb1EPKS5_PS5_PKlPlN2at6native12_GLOBAL__N_18offset_tEEE10hipError_tPvRmT1_PNSt15iterator_traitsISL_E10value_typeET2_T3_PNSM_ISR_E10value_typeET4_jRbjT5_SX_jjP12ihipStream_tbEUlT_E0_NS1_11comp_targetILNS1_3genE10ELNS1_11target_archE1201ELNS1_3gpuE5ELNS1_3repE0EEENS1_60segmented_radix_sort_warp_sort_medium_config_static_selectorELNS0_4arch9wavefront6targetE1EEEvSL_.kd
    .uniform_work_group_size: 1
    .uses_dynamic_stack: false
    .vgpr_count:     0
    .vgpr_spill_count: 0
    .wavefront_size: 64
  - .args:
      - .offset:         0
        .size:           88
        .value_kind:     by_value
    .group_segment_fixed_size: 0
    .kernarg_segment_align: 8
    .kernarg_segment_size: 88
    .language:       OpenCL C
    .language_version:
      - 2
      - 0
    .max_flat_workgroup_size: 256
    .name:           _ZN7rocprim17ROCPRIM_400000_NS6detail17trampoline_kernelINS0_14default_configENS1_36segmented_radix_sort_config_selectorI6__halflEEZNS1_25segmented_radix_sort_implIS3_Lb1EPKS5_PS5_PKlPlN2at6native12_GLOBAL__N_18offset_tEEE10hipError_tPvRmT1_PNSt15iterator_traitsISL_E10value_typeET2_T3_PNSM_ISR_E10value_typeET4_jRbjT5_SX_jjP12ihipStream_tbEUlT_E0_NS1_11comp_targetILNS1_3genE10ELNS1_11target_archE1200ELNS1_3gpuE4ELNS1_3repE0EEENS1_60segmented_radix_sort_warp_sort_medium_config_static_selectorELNS0_4arch9wavefront6targetE1EEEvSL_
    .private_segment_fixed_size: 0
    .sgpr_count:     4
    .sgpr_spill_count: 0
    .symbol:         _ZN7rocprim17ROCPRIM_400000_NS6detail17trampoline_kernelINS0_14default_configENS1_36segmented_radix_sort_config_selectorI6__halflEEZNS1_25segmented_radix_sort_implIS3_Lb1EPKS5_PS5_PKlPlN2at6native12_GLOBAL__N_18offset_tEEE10hipError_tPvRmT1_PNSt15iterator_traitsISL_E10value_typeET2_T3_PNSM_ISR_E10value_typeET4_jRbjT5_SX_jjP12ihipStream_tbEUlT_E0_NS1_11comp_targetILNS1_3genE10ELNS1_11target_archE1200ELNS1_3gpuE4ELNS1_3repE0EEENS1_60segmented_radix_sort_warp_sort_medium_config_static_selectorELNS0_4arch9wavefront6targetE1EEEvSL_.kd
    .uniform_work_group_size: 1
    .uses_dynamic_stack: false
    .vgpr_count:     0
    .vgpr_spill_count: 0
    .wavefront_size: 64
  - .args:
      - .offset:         0
        .size:           88
        .value_kind:     by_value
    .group_segment_fixed_size: 0
    .kernarg_segment_align: 8
    .kernarg_segment_size: 88
    .language:       OpenCL C
    .language_version:
      - 2
      - 0
    .max_flat_workgroup_size: 256
    .name:           _ZN7rocprim17ROCPRIM_400000_NS6detail17trampoline_kernelINS0_14default_configENS1_36segmented_radix_sort_config_selectorI6__halflEEZNS1_25segmented_radix_sort_implIS3_Lb1EPKS5_PS5_PKlPlN2at6native12_GLOBAL__N_18offset_tEEE10hipError_tPvRmT1_PNSt15iterator_traitsISL_E10value_typeET2_T3_PNSM_ISR_E10value_typeET4_jRbjT5_SX_jjP12ihipStream_tbEUlT_E0_NS1_11comp_targetILNS1_3genE9ELNS1_11target_archE1100ELNS1_3gpuE3ELNS1_3repE0EEENS1_60segmented_radix_sort_warp_sort_medium_config_static_selectorELNS0_4arch9wavefront6targetE1EEEvSL_
    .private_segment_fixed_size: 0
    .sgpr_count:     4
    .sgpr_spill_count: 0
    .symbol:         _ZN7rocprim17ROCPRIM_400000_NS6detail17trampoline_kernelINS0_14default_configENS1_36segmented_radix_sort_config_selectorI6__halflEEZNS1_25segmented_radix_sort_implIS3_Lb1EPKS5_PS5_PKlPlN2at6native12_GLOBAL__N_18offset_tEEE10hipError_tPvRmT1_PNSt15iterator_traitsISL_E10value_typeET2_T3_PNSM_ISR_E10value_typeET4_jRbjT5_SX_jjP12ihipStream_tbEUlT_E0_NS1_11comp_targetILNS1_3genE9ELNS1_11target_archE1100ELNS1_3gpuE3ELNS1_3repE0EEENS1_60segmented_radix_sort_warp_sort_medium_config_static_selectorELNS0_4arch9wavefront6targetE1EEEvSL_.kd
    .uniform_work_group_size: 1
    .uses_dynamic_stack: false
    .vgpr_count:     0
    .vgpr_spill_count: 0
    .wavefront_size: 64
  - .args:
      - .offset:         0
        .size:           88
        .value_kind:     by_value
    .group_segment_fixed_size: 0
    .kernarg_segment_align: 8
    .kernarg_segment_size: 88
    .language:       OpenCL C
    .language_version:
      - 2
      - 0
    .max_flat_workgroup_size: 256
    .name:           _ZN7rocprim17ROCPRIM_400000_NS6detail17trampoline_kernelINS0_14default_configENS1_36segmented_radix_sort_config_selectorI6__halflEEZNS1_25segmented_radix_sort_implIS3_Lb1EPKS5_PS5_PKlPlN2at6native12_GLOBAL__N_18offset_tEEE10hipError_tPvRmT1_PNSt15iterator_traitsISL_E10value_typeET2_T3_PNSM_ISR_E10value_typeET4_jRbjT5_SX_jjP12ihipStream_tbEUlT_E0_NS1_11comp_targetILNS1_3genE8ELNS1_11target_archE1030ELNS1_3gpuE2ELNS1_3repE0EEENS1_60segmented_radix_sort_warp_sort_medium_config_static_selectorELNS0_4arch9wavefront6targetE1EEEvSL_
    .private_segment_fixed_size: 0
    .sgpr_count:     4
    .sgpr_spill_count: 0
    .symbol:         _ZN7rocprim17ROCPRIM_400000_NS6detail17trampoline_kernelINS0_14default_configENS1_36segmented_radix_sort_config_selectorI6__halflEEZNS1_25segmented_radix_sort_implIS3_Lb1EPKS5_PS5_PKlPlN2at6native12_GLOBAL__N_18offset_tEEE10hipError_tPvRmT1_PNSt15iterator_traitsISL_E10value_typeET2_T3_PNSM_ISR_E10value_typeET4_jRbjT5_SX_jjP12ihipStream_tbEUlT_E0_NS1_11comp_targetILNS1_3genE8ELNS1_11target_archE1030ELNS1_3gpuE2ELNS1_3repE0EEENS1_60segmented_radix_sort_warp_sort_medium_config_static_selectorELNS0_4arch9wavefront6targetE1EEEvSL_.kd
    .uniform_work_group_size: 1
    .uses_dynamic_stack: false
    .vgpr_count:     0
    .vgpr_spill_count: 0
    .wavefront_size: 64
  - .args:
      - .offset:         0
        .size:           88
        .value_kind:     by_value
    .group_segment_fixed_size: 0
    .kernarg_segment_align: 8
    .kernarg_segment_size: 88
    .language:       OpenCL C
    .language_version:
      - 2
      - 0
    .max_flat_workgroup_size: 256
    .name:           _ZN7rocprim17ROCPRIM_400000_NS6detail17trampoline_kernelINS0_14default_configENS1_36segmented_radix_sort_config_selectorI6__halflEEZNS1_25segmented_radix_sort_implIS3_Lb1EPKS5_PS5_PKlPlN2at6native12_GLOBAL__N_18offset_tEEE10hipError_tPvRmT1_PNSt15iterator_traitsISL_E10value_typeET2_T3_PNSM_ISR_E10value_typeET4_jRbjT5_SX_jjP12ihipStream_tbEUlT_E1_NS1_11comp_targetILNS1_3genE0ELNS1_11target_archE4294967295ELNS1_3gpuE0ELNS1_3repE0EEENS1_59segmented_radix_sort_warp_sort_small_config_static_selectorELNS0_4arch9wavefront6targetE1EEEvSL_
    .private_segment_fixed_size: 0
    .sgpr_count:     4
    .sgpr_spill_count: 0
    .symbol:         _ZN7rocprim17ROCPRIM_400000_NS6detail17trampoline_kernelINS0_14default_configENS1_36segmented_radix_sort_config_selectorI6__halflEEZNS1_25segmented_radix_sort_implIS3_Lb1EPKS5_PS5_PKlPlN2at6native12_GLOBAL__N_18offset_tEEE10hipError_tPvRmT1_PNSt15iterator_traitsISL_E10value_typeET2_T3_PNSM_ISR_E10value_typeET4_jRbjT5_SX_jjP12ihipStream_tbEUlT_E1_NS1_11comp_targetILNS1_3genE0ELNS1_11target_archE4294967295ELNS1_3gpuE0ELNS1_3repE0EEENS1_59segmented_radix_sort_warp_sort_small_config_static_selectorELNS0_4arch9wavefront6targetE1EEEvSL_.kd
    .uniform_work_group_size: 1
    .uses_dynamic_stack: false
    .vgpr_count:     0
    .vgpr_spill_count: 0
    .wavefront_size: 64
  - .args:
      - .offset:         0
        .size:           88
        .value_kind:     by_value
    .group_segment_fixed_size: 0
    .kernarg_segment_align: 8
    .kernarg_segment_size: 88
    .language:       OpenCL C
    .language_version:
      - 2
      - 0
    .max_flat_workgroup_size: 256
    .name:           _ZN7rocprim17ROCPRIM_400000_NS6detail17trampoline_kernelINS0_14default_configENS1_36segmented_radix_sort_config_selectorI6__halflEEZNS1_25segmented_radix_sort_implIS3_Lb1EPKS5_PS5_PKlPlN2at6native12_GLOBAL__N_18offset_tEEE10hipError_tPvRmT1_PNSt15iterator_traitsISL_E10value_typeET2_T3_PNSM_ISR_E10value_typeET4_jRbjT5_SX_jjP12ihipStream_tbEUlT_E1_NS1_11comp_targetILNS1_3genE5ELNS1_11target_archE942ELNS1_3gpuE9ELNS1_3repE0EEENS1_59segmented_radix_sort_warp_sort_small_config_static_selectorELNS0_4arch9wavefront6targetE1EEEvSL_
    .private_segment_fixed_size: 0
    .sgpr_count:     4
    .sgpr_spill_count: 0
    .symbol:         _ZN7rocprim17ROCPRIM_400000_NS6detail17trampoline_kernelINS0_14default_configENS1_36segmented_radix_sort_config_selectorI6__halflEEZNS1_25segmented_radix_sort_implIS3_Lb1EPKS5_PS5_PKlPlN2at6native12_GLOBAL__N_18offset_tEEE10hipError_tPvRmT1_PNSt15iterator_traitsISL_E10value_typeET2_T3_PNSM_ISR_E10value_typeET4_jRbjT5_SX_jjP12ihipStream_tbEUlT_E1_NS1_11comp_targetILNS1_3genE5ELNS1_11target_archE942ELNS1_3gpuE9ELNS1_3repE0EEENS1_59segmented_radix_sort_warp_sort_small_config_static_selectorELNS0_4arch9wavefront6targetE1EEEvSL_.kd
    .uniform_work_group_size: 1
    .uses_dynamic_stack: false
    .vgpr_count:     0
    .vgpr_spill_count: 0
    .wavefront_size: 64
  - .args:
      - .offset:         0
        .size:           88
        .value_kind:     by_value
    .group_segment_fixed_size: 0
    .kernarg_segment_align: 8
    .kernarg_segment_size: 88
    .language:       OpenCL C
    .language_version:
      - 2
      - 0
    .max_flat_workgroup_size: 256
    .name:           _ZN7rocprim17ROCPRIM_400000_NS6detail17trampoline_kernelINS0_14default_configENS1_36segmented_radix_sort_config_selectorI6__halflEEZNS1_25segmented_radix_sort_implIS3_Lb1EPKS5_PS5_PKlPlN2at6native12_GLOBAL__N_18offset_tEEE10hipError_tPvRmT1_PNSt15iterator_traitsISL_E10value_typeET2_T3_PNSM_ISR_E10value_typeET4_jRbjT5_SX_jjP12ihipStream_tbEUlT_E1_NS1_11comp_targetILNS1_3genE4ELNS1_11target_archE910ELNS1_3gpuE8ELNS1_3repE0EEENS1_59segmented_radix_sort_warp_sort_small_config_static_selectorELNS0_4arch9wavefront6targetE1EEEvSL_
    .private_segment_fixed_size: 0
    .sgpr_count:     4
    .sgpr_spill_count: 0
    .symbol:         _ZN7rocprim17ROCPRIM_400000_NS6detail17trampoline_kernelINS0_14default_configENS1_36segmented_radix_sort_config_selectorI6__halflEEZNS1_25segmented_radix_sort_implIS3_Lb1EPKS5_PS5_PKlPlN2at6native12_GLOBAL__N_18offset_tEEE10hipError_tPvRmT1_PNSt15iterator_traitsISL_E10value_typeET2_T3_PNSM_ISR_E10value_typeET4_jRbjT5_SX_jjP12ihipStream_tbEUlT_E1_NS1_11comp_targetILNS1_3genE4ELNS1_11target_archE910ELNS1_3gpuE8ELNS1_3repE0EEENS1_59segmented_radix_sort_warp_sort_small_config_static_selectorELNS0_4arch9wavefront6targetE1EEEvSL_.kd
    .uniform_work_group_size: 1
    .uses_dynamic_stack: false
    .vgpr_count:     0
    .vgpr_spill_count: 0
    .wavefront_size: 64
  - .args:
      - .offset:         0
        .size:           88
        .value_kind:     by_value
    .group_segment_fixed_size: 0
    .kernarg_segment_align: 8
    .kernarg_segment_size: 88
    .language:       OpenCL C
    .language_version:
      - 2
      - 0
    .max_flat_workgroup_size: 256
    .name:           _ZN7rocprim17ROCPRIM_400000_NS6detail17trampoline_kernelINS0_14default_configENS1_36segmented_radix_sort_config_selectorI6__halflEEZNS1_25segmented_radix_sort_implIS3_Lb1EPKS5_PS5_PKlPlN2at6native12_GLOBAL__N_18offset_tEEE10hipError_tPvRmT1_PNSt15iterator_traitsISL_E10value_typeET2_T3_PNSM_ISR_E10value_typeET4_jRbjT5_SX_jjP12ihipStream_tbEUlT_E1_NS1_11comp_targetILNS1_3genE3ELNS1_11target_archE908ELNS1_3gpuE7ELNS1_3repE0EEENS1_59segmented_radix_sort_warp_sort_small_config_static_selectorELNS0_4arch9wavefront6targetE1EEEvSL_
    .private_segment_fixed_size: 0
    .sgpr_count:     4
    .sgpr_spill_count: 0
    .symbol:         _ZN7rocprim17ROCPRIM_400000_NS6detail17trampoline_kernelINS0_14default_configENS1_36segmented_radix_sort_config_selectorI6__halflEEZNS1_25segmented_radix_sort_implIS3_Lb1EPKS5_PS5_PKlPlN2at6native12_GLOBAL__N_18offset_tEEE10hipError_tPvRmT1_PNSt15iterator_traitsISL_E10value_typeET2_T3_PNSM_ISR_E10value_typeET4_jRbjT5_SX_jjP12ihipStream_tbEUlT_E1_NS1_11comp_targetILNS1_3genE3ELNS1_11target_archE908ELNS1_3gpuE7ELNS1_3repE0EEENS1_59segmented_radix_sort_warp_sort_small_config_static_selectorELNS0_4arch9wavefront6targetE1EEEvSL_.kd
    .uniform_work_group_size: 1
    .uses_dynamic_stack: false
    .vgpr_count:     0
    .vgpr_spill_count: 0
    .wavefront_size: 64
  - .args:
      - .offset:         0
        .size:           88
        .value_kind:     by_value
      - .offset:         88
        .size:           4
        .value_kind:     hidden_block_count_x
      - .offset:         92
        .size:           4
        .value_kind:     hidden_block_count_y
      - .offset:         96
        .size:           4
        .value_kind:     hidden_block_count_z
      - .offset:         100
        .size:           2
        .value_kind:     hidden_group_size_x
      - .offset:         102
        .size:           2
        .value_kind:     hidden_group_size_y
      - .offset:         104
        .size:           2
        .value_kind:     hidden_group_size_z
      - .offset:         106
        .size:           2
        .value_kind:     hidden_remainder_x
      - .offset:         108
        .size:           2
        .value_kind:     hidden_remainder_y
      - .offset:         110
        .size:           2
        .value_kind:     hidden_remainder_z
      - .offset:         128
        .size:           8
        .value_kind:     hidden_global_offset_x
      - .offset:         136
        .size:           8
        .value_kind:     hidden_global_offset_y
      - .offset:         144
        .size:           8
        .value_kind:     hidden_global_offset_z
      - .offset:         152
        .size:           2
        .value_kind:     hidden_grid_dims
    .group_segment_fixed_size: 10240
    .kernarg_segment_align: 8
    .kernarg_segment_size: 344
    .language:       OpenCL C
    .language_version:
      - 2
      - 0
    .max_flat_workgroup_size: 256
    .name:           _ZN7rocprim17ROCPRIM_400000_NS6detail17trampoline_kernelINS0_14default_configENS1_36segmented_radix_sort_config_selectorI6__halflEEZNS1_25segmented_radix_sort_implIS3_Lb1EPKS5_PS5_PKlPlN2at6native12_GLOBAL__N_18offset_tEEE10hipError_tPvRmT1_PNSt15iterator_traitsISL_E10value_typeET2_T3_PNSM_ISR_E10value_typeET4_jRbjT5_SX_jjP12ihipStream_tbEUlT_E1_NS1_11comp_targetILNS1_3genE2ELNS1_11target_archE906ELNS1_3gpuE6ELNS1_3repE0EEENS1_59segmented_radix_sort_warp_sort_small_config_static_selectorELNS0_4arch9wavefront6targetE1EEEvSL_
    .private_segment_fixed_size: 0
    .sgpr_count:     46
    .sgpr_spill_count: 0
    .symbol:         _ZN7rocprim17ROCPRIM_400000_NS6detail17trampoline_kernelINS0_14default_configENS1_36segmented_radix_sort_config_selectorI6__halflEEZNS1_25segmented_radix_sort_implIS3_Lb1EPKS5_PS5_PKlPlN2at6native12_GLOBAL__N_18offset_tEEE10hipError_tPvRmT1_PNSt15iterator_traitsISL_E10value_typeET2_T3_PNSM_ISR_E10value_typeET4_jRbjT5_SX_jjP12ihipStream_tbEUlT_E1_NS1_11comp_targetILNS1_3genE2ELNS1_11target_archE906ELNS1_3gpuE6ELNS1_3repE0EEENS1_59segmented_radix_sort_warp_sort_small_config_static_selectorELNS0_4arch9wavefront6targetE1EEEvSL_.kd
    .uniform_work_group_size: 1
    .uses_dynamic_stack: false
    .vgpr_count:     68
    .vgpr_spill_count: 0
    .wavefront_size: 64
  - .args:
      - .offset:         0
        .size:           88
        .value_kind:     by_value
    .group_segment_fixed_size: 0
    .kernarg_segment_align: 8
    .kernarg_segment_size: 88
    .language:       OpenCL C
    .language_version:
      - 2
      - 0
    .max_flat_workgroup_size: 256
    .name:           _ZN7rocprim17ROCPRIM_400000_NS6detail17trampoline_kernelINS0_14default_configENS1_36segmented_radix_sort_config_selectorI6__halflEEZNS1_25segmented_radix_sort_implIS3_Lb1EPKS5_PS5_PKlPlN2at6native12_GLOBAL__N_18offset_tEEE10hipError_tPvRmT1_PNSt15iterator_traitsISL_E10value_typeET2_T3_PNSM_ISR_E10value_typeET4_jRbjT5_SX_jjP12ihipStream_tbEUlT_E1_NS1_11comp_targetILNS1_3genE10ELNS1_11target_archE1201ELNS1_3gpuE5ELNS1_3repE0EEENS1_59segmented_radix_sort_warp_sort_small_config_static_selectorELNS0_4arch9wavefront6targetE1EEEvSL_
    .private_segment_fixed_size: 0
    .sgpr_count:     4
    .sgpr_spill_count: 0
    .symbol:         _ZN7rocprim17ROCPRIM_400000_NS6detail17trampoline_kernelINS0_14default_configENS1_36segmented_radix_sort_config_selectorI6__halflEEZNS1_25segmented_radix_sort_implIS3_Lb1EPKS5_PS5_PKlPlN2at6native12_GLOBAL__N_18offset_tEEE10hipError_tPvRmT1_PNSt15iterator_traitsISL_E10value_typeET2_T3_PNSM_ISR_E10value_typeET4_jRbjT5_SX_jjP12ihipStream_tbEUlT_E1_NS1_11comp_targetILNS1_3genE10ELNS1_11target_archE1201ELNS1_3gpuE5ELNS1_3repE0EEENS1_59segmented_radix_sort_warp_sort_small_config_static_selectorELNS0_4arch9wavefront6targetE1EEEvSL_.kd
    .uniform_work_group_size: 1
    .uses_dynamic_stack: false
    .vgpr_count:     0
    .vgpr_spill_count: 0
    .wavefront_size: 64
  - .args:
      - .offset:         0
        .size:           88
        .value_kind:     by_value
    .group_segment_fixed_size: 0
    .kernarg_segment_align: 8
    .kernarg_segment_size: 88
    .language:       OpenCL C
    .language_version:
      - 2
      - 0
    .max_flat_workgroup_size: 256
    .name:           _ZN7rocprim17ROCPRIM_400000_NS6detail17trampoline_kernelINS0_14default_configENS1_36segmented_radix_sort_config_selectorI6__halflEEZNS1_25segmented_radix_sort_implIS3_Lb1EPKS5_PS5_PKlPlN2at6native12_GLOBAL__N_18offset_tEEE10hipError_tPvRmT1_PNSt15iterator_traitsISL_E10value_typeET2_T3_PNSM_ISR_E10value_typeET4_jRbjT5_SX_jjP12ihipStream_tbEUlT_E1_NS1_11comp_targetILNS1_3genE10ELNS1_11target_archE1200ELNS1_3gpuE4ELNS1_3repE0EEENS1_59segmented_radix_sort_warp_sort_small_config_static_selectorELNS0_4arch9wavefront6targetE1EEEvSL_
    .private_segment_fixed_size: 0
    .sgpr_count:     4
    .sgpr_spill_count: 0
    .symbol:         _ZN7rocprim17ROCPRIM_400000_NS6detail17trampoline_kernelINS0_14default_configENS1_36segmented_radix_sort_config_selectorI6__halflEEZNS1_25segmented_radix_sort_implIS3_Lb1EPKS5_PS5_PKlPlN2at6native12_GLOBAL__N_18offset_tEEE10hipError_tPvRmT1_PNSt15iterator_traitsISL_E10value_typeET2_T3_PNSM_ISR_E10value_typeET4_jRbjT5_SX_jjP12ihipStream_tbEUlT_E1_NS1_11comp_targetILNS1_3genE10ELNS1_11target_archE1200ELNS1_3gpuE4ELNS1_3repE0EEENS1_59segmented_radix_sort_warp_sort_small_config_static_selectorELNS0_4arch9wavefront6targetE1EEEvSL_.kd
    .uniform_work_group_size: 1
    .uses_dynamic_stack: false
    .vgpr_count:     0
    .vgpr_spill_count: 0
    .wavefront_size: 64
  - .args:
      - .offset:         0
        .size:           88
        .value_kind:     by_value
    .group_segment_fixed_size: 0
    .kernarg_segment_align: 8
    .kernarg_segment_size: 88
    .language:       OpenCL C
    .language_version:
      - 2
      - 0
    .max_flat_workgroup_size: 256
    .name:           _ZN7rocprim17ROCPRIM_400000_NS6detail17trampoline_kernelINS0_14default_configENS1_36segmented_radix_sort_config_selectorI6__halflEEZNS1_25segmented_radix_sort_implIS3_Lb1EPKS5_PS5_PKlPlN2at6native12_GLOBAL__N_18offset_tEEE10hipError_tPvRmT1_PNSt15iterator_traitsISL_E10value_typeET2_T3_PNSM_ISR_E10value_typeET4_jRbjT5_SX_jjP12ihipStream_tbEUlT_E1_NS1_11comp_targetILNS1_3genE9ELNS1_11target_archE1100ELNS1_3gpuE3ELNS1_3repE0EEENS1_59segmented_radix_sort_warp_sort_small_config_static_selectorELNS0_4arch9wavefront6targetE1EEEvSL_
    .private_segment_fixed_size: 0
    .sgpr_count:     4
    .sgpr_spill_count: 0
    .symbol:         _ZN7rocprim17ROCPRIM_400000_NS6detail17trampoline_kernelINS0_14default_configENS1_36segmented_radix_sort_config_selectorI6__halflEEZNS1_25segmented_radix_sort_implIS3_Lb1EPKS5_PS5_PKlPlN2at6native12_GLOBAL__N_18offset_tEEE10hipError_tPvRmT1_PNSt15iterator_traitsISL_E10value_typeET2_T3_PNSM_ISR_E10value_typeET4_jRbjT5_SX_jjP12ihipStream_tbEUlT_E1_NS1_11comp_targetILNS1_3genE9ELNS1_11target_archE1100ELNS1_3gpuE3ELNS1_3repE0EEENS1_59segmented_radix_sort_warp_sort_small_config_static_selectorELNS0_4arch9wavefront6targetE1EEEvSL_.kd
    .uniform_work_group_size: 1
    .uses_dynamic_stack: false
    .vgpr_count:     0
    .vgpr_spill_count: 0
    .wavefront_size: 64
  - .args:
      - .offset:         0
        .size:           88
        .value_kind:     by_value
    .group_segment_fixed_size: 0
    .kernarg_segment_align: 8
    .kernarg_segment_size: 88
    .language:       OpenCL C
    .language_version:
      - 2
      - 0
    .max_flat_workgroup_size: 256
    .name:           _ZN7rocprim17ROCPRIM_400000_NS6detail17trampoline_kernelINS0_14default_configENS1_36segmented_radix_sort_config_selectorI6__halflEEZNS1_25segmented_radix_sort_implIS3_Lb1EPKS5_PS5_PKlPlN2at6native12_GLOBAL__N_18offset_tEEE10hipError_tPvRmT1_PNSt15iterator_traitsISL_E10value_typeET2_T3_PNSM_ISR_E10value_typeET4_jRbjT5_SX_jjP12ihipStream_tbEUlT_E1_NS1_11comp_targetILNS1_3genE8ELNS1_11target_archE1030ELNS1_3gpuE2ELNS1_3repE0EEENS1_59segmented_radix_sort_warp_sort_small_config_static_selectorELNS0_4arch9wavefront6targetE1EEEvSL_
    .private_segment_fixed_size: 0
    .sgpr_count:     4
    .sgpr_spill_count: 0
    .symbol:         _ZN7rocprim17ROCPRIM_400000_NS6detail17trampoline_kernelINS0_14default_configENS1_36segmented_radix_sort_config_selectorI6__halflEEZNS1_25segmented_radix_sort_implIS3_Lb1EPKS5_PS5_PKlPlN2at6native12_GLOBAL__N_18offset_tEEE10hipError_tPvRmT1_PNSt15iterator_traitsISL_E10value_typeET2_T3_PNSM_ISR_E10value_typeET4_jRbjT5_SX_jjP12ihipStream_tbEUlT_E1_NS1_11comp_targetILNS1_3genE8ELNS1_11target_archE1030ELNS1_3gpuE2ELNS1_3repE0EEENS1_59segmented_radix_sort_warp_sort_small_config_static_selectorELNS0_4arch9wavefront6targetE1EEEvSL_.kd
    .uniform_work_group_size: 1
    .uses_dynamic_stack: false
    .vgpr_count:     0
    .vgpr_spill_count: 0
    .wavefront_size: 64
  - .args:
      - .offset:         0
        .size:           80
        .value_kind:     by_value
    .group_segment_fixed_size: 0
    .kernarg_segment_align: 8
    .kernarg_segment_size: 80
    .language:       OpenCL C
    .language_version:
      - 2
      - 0
    .max_flat_workgroup_size: 256
    .name:           _ZN7rocprim17ROCPRIM_400000_NS6detail17trampoline_kernelINS0_14default_configENS1_36segmented_radix_sort_config_selectorI6__halflEEZNS1_25segmented_radix_sort_implIS3_Lb1EPKS5_PS5_PKlPlN2at6native12_GLOBAL__N_18offset_tEEE10hipError_tPvRmT1_PNSt15iterator_traitsISL_E10value_typeET2_T3_PNSM_ISR_E10value_typeET4_jRbjT5_SX_jjP12ihipStream_tbEUlT_E2_NS1_11comp_targetILNS1_3genE0ELNS1_11target_archE4294967295ELNS1_3gpuE0ELNS1_3repE0EEENS1_30default_config_static_selectorELNS0_4arch9wavefront6targetE1EEEvSL_
    .private_segment_fixed_size: 0
    .sgpr_count:     4
    .sgpr_spill_count: 0
    .symbol:         _ZN7rocprim17ROCPRIM_400000_NS6detail17trampoline_kernelINS0_14default_configENS1_36segmented_radix_sort_config_selectorI6__halflEEZNS1_25segmented_radix_sort_implIS3_Lb1EPKS5_PS5_PKlPlN2at6native12_GLOBAL__N_18offset_tEEE10hipError_tPvRmT1_PNSt15iterator_traitsISL_E10value_typeET2_T3_PNSM_ISR_E10value_typeET4_jRbjT5_SX_jjP12ihipStream_tbEUlT_E2_NS1_11comp_targetILNS1_3genE0ELNS1_11target_archE4294967295ELNS1_3gpuE0ELNS1_3repE0EEENS1_30default_config_static_selectorELNS0_4arch9wavefront6targetE1EEEvSL_.kd
    .uniform_work_group_size: 1
    .uses_dynamic_stack: false
    .vgpr_count:     0
    .vgpr_spill_count: 0
    .wavefront_size: 64
  - .args:
      - .offset:         0
        .size:           80
        .value_kind:     by_value
    .group_segment_fixed_size: 0
    .kernarg_segment_align: 8
    .kernarg_segment_size: 80
    .language:       OpenCL C
    .language_version:
      - 2
      - 0
    .max_flat_workgroup_size: 256
    .name:           _ZN7rocprim17ROCPRIM_400000_NS6detail17trampoline_kernelINS0_14default_configENS1_36segmented_radix_sort_config_selectorI6__halflEEZNS1_25segmented_radix_sort_implIS3_Lb1EPKS5_PS5_PKlPlN2at6native12_GLOBAL__N_18offset_tEEE10hipError_tPvRmT1_PNSt15iterator_traitsISL_E10value_typeET2_T3_PNSM_ISR_E10value_typeET4_jRbjT5_SX_jjP12ihipStream_tbEUlT_E2_NS1_11comp_targetILNS1_3genE5ELNS1_11target_archE942ELNS1_3gpuE9ELNS1_3repE0EEENS1_30default_config_static_selectorELNS0_4arch9wavefront6targetE1EEEvSL_
    .private_segment_fixed_size: 0
    .sgpr_count:     4
    .sgpr_spill_count: 0
    .symbol:         _ZN7rocprim17ROCPRIM_400000_NS6detail17trampoline_kernelINS0_14default_configENS1_36segmented_radix_sort_config_selectorI6__halflEEZNS1_25segmented_radix_sort_implIS3_Lb1EPKS5_PS5_PKlPlN2at6native12_GLOBAL__N_18offset_tEEE10hipError_tPvRmT1_PNSt15iterator_traitsISL_E10value_typeET2_T3_PNSM_ISR_E10value_typeET4_jRbjT5_SX_jjP12ihipStream_tbEUlT_E2_NS1_11comp_targetILNS1_3genE5ELNS1_11target_archE942ELNS1_3gpuE9ELNS1_3repE0EEENS1_30default_config_static_selectorELNS0_4arch9wavefront6targetE1EEEvSL_.kd
    .uniform_work_group_size: 1
    .uses_dynamic_stack: false
    .vgpr_count:     0
    .vgpr_spill_count: 0
    .wavefront_size: 64
  - .args:
      - .offset:         0
        .size:           80
        .value_kind:     by_value
    .group_segment_fixed_size: 0
    .kernarg_segment_align: 8
    .kernarg_segment_size: 80
    .language:       OpenCL C
    .language_version:
      - 2
      - 0
    .max_flat_workgroup_size: 256
    .name:           _ZN7rocprim17ROCPRIM_400000_NS6detail17trampoline_kernelINS0_14default_configENS1_36segmented_radix_sort_config_selectorI6__halflEEZNS1_25segmented_radix_sort_implIS3_Lb1EPKS5_PS5_PKlPlN2at6native12_GLOBAL__N_18offset_tEEE10hipError_tPvRmT1_PNSt15iterator_traitsISL_E10value_typeET2_T3_PNSM_ISR_E10value_typeET4_jRbjT5_SX_jjP12ihipStream_tbEUlT_E2_NS1_11comp_targetILNS1_3genE4ELNS1_11target_archE910ELNS1_3gpuE8ELNS1_3repE0EEENS1_30default_config_static_selectorELNS0_4arch9wavefront6targetE1EEEvSL_
    .private_segment_fixed_size: 0
    .sgpr_count:     4
    .sgpr_spill_count: 0
    .symbol:         _ZN7rocprim17ROCPRIM_400000_NS6detail17trampoline_kernelINS0_14default_configENS1_36segmented_radix_sort_config_selectorI6__halflEEZNS1_25segmented_radix_sort_implIS3_Lb1EPKS5_PS5_PKlPlN2at6native12_GLOBAL__N_18offset_tEEE10hipError_tPvRmT1_PNSt15iterator_traitsISL_E10value_typeET2_T3_PNSM_ISR_E10value_typeET4_jRbjT5_SX_jjP12ihipStream_tbEUlT_E2_NS1_11comp_targetILNS1_3genE4ELNS1_11target_archE910ELNS1_3gpuE8ELNS1_3repE0EEENS1_30default_config_static_selectorELNS0_4arch9wavefront6targetE1EEEvSL_.kd
    .uniform_work_group_size: 1
    .uses_dynamic_stack: false
    .vgpr_count:     0
    .vgpr_spill_count: 0
    .wavefront_size: 64
  - .args:
      - .offset:         0
        .size:           80
        .value_kind:     by_value
    .group_segment_fixed_size: 0
    .kernarg_segment_align: 8
    .kernarg_segment_size: 80
    .language:       OpenCL C
    .language_version:
      - 2
      - 0
    .max_flat_workgroup_size: 256
    .name:           _ZN7rocprim17ROCPRIM_400000_NS6detail17trampoline_kernelINS0_14default_configENS1_36segmented_radix_sort_config_selectorI6__halflEEZNS1_25segmented_radix_sort_implIS3_Lb1EPKS5_PS5_PKlPlN2at6native12_GLOBAL__N_18offset_tEEE10hipError_tPvRmT1_PNSt15iterator_traitsISL_E10value_typeET2_T3_PNSM_ISR_E10value_typeET4_jRbjT5_SX_jjP12ihipStream_tbEUlT_E2_NS1_11comp_targetILNS1_3genE3ELNS1_11target_archE908ELNS1_3gpuE7ELNS1_3repE0EEENS1_30default_config_static_selectorELNS0_4arch9wavefront6targetE1EEEvSL_
    .private_segment_fixed_size: 0
    .sgpr_count:     4
    .sgpr_spill_count: 0
    .symbol:         _ZN7rocprim17ROCPRIM_400000_NS6detail17trampoline_kernelINS0_14default_configENS1_36segmented_radix_sort_config_selectorI6__halflEEZNS1_25segmented_radix_sort_implIS3_Lb1EPKS5_PS5_PKlPlN2at6native12_GLOBAL__N_18offset_tEEE10hipError_tPvRmT1_PNSt15iterator_traitsISL_E10value_typeET2_T3_PNSM_ISR_E10value_typeET4_jRbjT5_SX_jjP12ihipStream_tbEUlT_E2_NS1_11comp_targetILNS1_3genE3ELNS1_11target_archE908ELNS1_3gpuE7ELNS1_3repE0EEENS1_30default_config_static_selectorELNS0_4arch9wavefront6targetE1EEEvSL_.kd
    .uniform_work_group_size: 1
    .uses_dynamic_stack: false
    .vgpr_count:     0
    .vgpr_spill_count: 0
    .wavefront_size: 64
  - .args:
      - .offset:         0
        .size:           80
        .value_kind:     by_value
      - .offset:         80
        .size:           4
        .value_kind:     hidden_block_count_x
      - .offset:         84
        .size:           4
        .value_kind:     hidden_block_count_y
      - .offset:         88
        .size:           4
        .value_kind:     hidden_block_count_z
      - .offset:         92
        .size:           2
        .value_kind:     hidden_group_size_x
      - .offset:         94
        .size:           2
        .value_kind:     hidden_group_size_y
      - .offset:         96
        .size:           2
        .value_kind:     hidden_group_size_z
      - .offset:         98
        .size:           2
        .value_kind:     hidden_remainder_x
      - .offset:         100
        .size:           2
        .value_kind:     hidden_remainder_y
      - .offset:         102
        .size:           2
        .value_kind:     hidden_remainder_z
      - .offset:         120
        .size:           8
        .value_kind:     hidden_global_offset_x
      - .offset:         128
        .size:           8
        .value_kind:     hidden_global_offset_y
      - .offset:         136
        .size:           8
        .value_kind:     hidden_global_offset_z
      - .offset:         144
        .size:           2
        .value_kind:     hidden_grid_dims
    .group_segment_fixed_size: 17424
    .kernarg_segment_align: 8
    .kernarg_segment_size: 336
    .language:       OpenCL C
    .language_version:
      - 2
      - 0
    .max_flat_workgroup_size: 256
    .name:           _ZN7rocprim17ROCPRIM_400000_NS6detail17trampoline_kernelINS0_14default_configENS1_36segmented_radix_sort_config_selectorI6__halflEEZNS1_25segmented_radix_sort_implIS3_Lb1EPKS5_PS5_PKlPlN2at6native12_GLOBAL__N_18offset_tEEE10hipError_tPvRmT1_PNSt15iterator_traitsISL_E10value_typeET2_T3_PNSM_ISR_E10value_typeET4_jRbjT5_SX_jjP12ihipStream_tbEUlT_E2_NS1_11comp_targetILNS1_3genE2ELNS1_11target_archE906ELNS1_3gpuE6ELNS1_3repE0EEENS1_30default_config_static_selectorELNS0_4arch9wavefront6targetE1EEEvSL_
    .private_segment_fixed_size: 0
    .sgpr_count:     85
    .sgpr_spill_count: 0
    .symbol:         _ZN7rocprim17ROCPRIM_400000_NS6detail17trampoline_kernelINS0_14default_configENS1_36segmented_radix_sort_config_selectorI6__halflEEZNS1_25segmented_radix_sort_implIS3_Lb1EPKS5_PS5_PKlPlN2at6native12_GLOBAL__N_18offset_tEEE10hipError_tPvRmT1_PNSt15iterator_traitsISL_E10value_typeET2_T3_PNSM_ISR_E10value_typeET4_jRbjT5_SX_jjP12ihipStream_tbEUlT_E2_NS1_11comp_targetILNS1_3genE2ELNS1_11target_archE906ELNS1_3gpuE6ELNS1_3repE0EEENS1_30default_config_static_selectorELNS0_4arch9wavefront6targetE1EEEvSL_.kd
    .uniform_work_group_size: 1
    .uses_dynamic_stack: false
    .vgpr_count:     195
    .vgpr_spill_count: 0
    .wavefront_size: 64
  - .args:
      - .offset:         0
        .size:           80
        .value_kind:     by_value
    .group_segment_fixed_size: 0
    .kernarg_segment_align: 8
    .kernarg_segment_size: 80
    .language:       OpenCL C
    .language_version:
      - 2
      - 0
    .max_flat_workgroup_size: 256
    .name:           _ZN7rocprim17ROCPRIM_400000_NS6detail17trampoline_kernelINS0_14default_configENS1_36segmented_radix_sort_config_selectorI6__halflEEZNS1_25segmented_radix_sort_implIS3_Lb1EPKS5_PS5_PKlPlN2at6native12_GLOBAL__N_18offset_tEEE10hipError_tPvRmT1_PNSt15iterator_traitsISL_E10value_typeET2_T3_PNSM_ISR_E10value_typeET4_jRbjT5_SX_jjP12ihipStream_tbEUlT_E2_NS1_11comp_targetILNS1_3genE10ELNS1_11target_archE1201ELNS1_3gpuE5ELNS1_3repE0EEENS1_30default_config_static_selectorELNS0_4arch9wavefront6targetE1EEEvSL_
    .private_segment_fixed_size: 0
    .sgpr_count:     4
    .sgpr_spill_count: 0
    .symbol:         _ZN7rocprim17ROCPRIM_400000_NS6detail17trampoline_kernelINS0_14default_configENS1_36segmented_radix_sort_config_selectorI6__halflEEZNS1_25segmented_radix_sort_implIS3_Lb1EPKS5_PS5_PKlPlN2at6native12_GLOBAL__N_18offset_tEEE10hipError_tPvRmT1_PNSt15iterator_traitsISL_E10value_typeET2_T3_PNSM_ISR_E10value_typeET4_jRbjT5_SX_jjP12ihipStream_tbEUlT_E2_NS1_11comp_targetILNS1_3genE10ELNS1_11target_archE1201ELNS1_3gpuE5ELNS1_3repE0EEENS1_30default_config_static_selectorELNS0_4arch9wavefront6targetE1EEEvSL_.kd
    .uniform_work_group_size: 1
    .uses_dynamic_stack: false
    .vgpr_count:     0
    .vgpr_spill_count: 0
    .wavefront_size: 64
  - .args:
      - .offset:         0
        .size:           80
        .value_kind:     by_value
    .group_segment_fixed_size: 0
    .kernarg_segment_align: 8
    .kernarg_segment_size: 80
    .language:       OpenCL C
    .language_version:
      - 2
      - 0
    .max_flat_workgroup_size: 128
    .name:           _ZN7rocprim17ROCPRIM_400000_NS6detail17trampoline_kernelINS0_14default_configENS1_36segmented_radix_sort_config_selectorI6__halflEEZNS1_25segmented_radix_sort_implIS3_Lb1EPKS5_PS5_PKlPlN2at6native12_GLOBAL__N_18offset_tEEE10hipError_tPvRmT1_PNSt15iterator_traitsISL_E10value_typeET2_T3_PNSM_ISR_E10value_typeET4_jRbjT5_SX_jjP12ihipStream_tbEUlT_E2_NS1_11comp_targetILNS1_3genE10ELNS1_11target_archE1200ELNS1_3gpuE4ELNS1_3repE0EEENS1_30default_config_static_selectorELNS0_4arch9wavefront6targetE1EEEvSL_
    .private_segment_fixed_size: 0
    .sgpr_count:     4
    .sgpr_spill_count: 0
    .symbol:         _ZN7rocprim17ROCPRIM_400000_NS6detail17trampoline_kernelINS0_14default_configENS1_36segmented_radix_sort_config_selectorI6__halflEEZNS1_25segmented_radix_sort_implIS3_Lb1EPKS5_PS5_PKlPlN2at6native12_GLOBAL__N_18offset_tEEE10hipError_tPvRmT1_PNSt15iterator_traitsISL_E10value_typeET2_T3_PNSM_ISR_E10value_typeET4_jRbjT5_SX_jjP12ihipStream_tbEUlT_E2_NS1_11comp_targetILNS1_3genE10ELNS1_11target_archE1200ELNS1_3gpuE4ELNS1_3repE0EEENS1_30default_config_static_selectorELNS0_4arch9wavefront6targetE1EEEvSL_.kd
    .uniform_work_group_size: 1
    .uses_dynamic_stack: false
    .vgpr_count:     0
    .vgpr_spill_count: 0
    .wavefront_size: 64
  - .args:
      - .offset:         0
        .size:           80
        .value_kind:     by_value
    .group_segment_fixed_size: 0
    .kernarg_segment_align: 8
    .kernarg_segment_size: 80
    .language:       OpenCL C
    .language_version:
      - 2
      - 0
    .max_flat_workgroup_size: 256
    .name:           _ZN7rocprim17ROCPRIM_400000_NS6detail17trampoline_kernelINS0_14default_configENS1_36segmented_radix_sort_config_selectorI6__halflEEZNS1_25segmented_radix_sort_implIS3_Lb1EPKS5_PS5_PKlPlN2at6native12_GLOBAL__N_18offset_tEEE10hipError_tPvRmT1_PNSt15iterator_traitsISL_E10value_typeET2_T3_PNSM_ISR_E10value_typeET4_jRbjT5_SX_jjP12ihipStream_tbEUlT_E2_NS1_11comp_targetILNS1_3genE9ELNS1_11target_archE1100ELNS1_3gpuE3ELNS1_3repE0EEENS1_30default_config_static_selectorELNS0_4arch9wavefront6targetE1EEEvSL_
    .private_segment_fixed_size: 0
    .sgpr_count:     4
    .sgpr_spill_count: 0
    .symbol:         _ZN7rocprim17ROCPRIM_400000_NS6detail17trampoline_kernelINS0_14default_configENS1_36segmented_radix_sort_config_selectorI6__halflEEZNS1_25segmented_radix_sort_implIS3_Lb1EPKS5_PS5_PKlPlN2at6native12_GLOBAL__N_18offset_tEEE10hipError_tPvRmT1_PNSt15iterator_traitsISL_E10value_typeET2_T3_PNSM_ISR_E10value_typeET4_jRbjT5_SX_jjP12ihipStream_tbEUlT_E2_NS1_11comp_targetILNS1_3genE9ELNS1_11target_archE1100ELNS1_3gpuE3ELNS1_3repE0EEENS1_30default_config_static_selectorELNS0_4arch9wavefront6targetE1EEEvSL_.kd
    .uniform_work_group_size: 1
    .uses_dynamic_stack: false
    .vgpr_count:     0
    .vgpr_spill_count: 0
    .wavefront_size: 64
  - .args:
      - .offset:         0
        .size:           80
        .value_kind:     by_value
    .group_segment_fixed_size: 0
    .kernarg_segment_align: 8
    .kernarg_segment_size: 80
    .language:       OpenCL C
    .language_version:
      - 2
      - 0
    .max_flat_workgroup_size: 256
    .name:           _ZN7rocprim17ROCPRIM_400000_NS6detail17trampoline_kernelINS0_14default_configENS1_36segmented_radix_sort_config_selectorI6__halflEEZNS1_25segmented_radix_sort_implIS3_Lb1EPKS5_PS5_PKlPlN2at6native12_GLOBAL__N_18offset_tEEE10hipError_tPvRmT1_PNSt15iterator_traitsISL_E10value_typeET2_T3_PNSM_ISR_E10value_typeET4_jRbjT5_SX_jjP12ihipStream_tbEUlT_E2_NS1_11comp_targetILNS1_3genE8ELNS1_11target_archE1030ELNS1_3gpuE2ELNS1_3repE0EEENS1_30default_config_static_selectorELNS0_4arch9wavefront6targetE1EEEvSL_
    .private_segment_fixed_size: 0
    .sgpr_count:     4
    .sgpr_spill_count: 0
    .symbol:         _ZN7rocprim17ROCPRIM_400000_NS6detail17trampoline_kernelINS0_14default_configENS1_36segmented_radix_sort_config_selectorI6__halflEEZNS1_25segmented_radix_sort_implIS3_Lb1EPKS5_PS5_PKlPlN2at6native12_GLOBAL__N_18offset_tEEE10hipError_tPvRmT1_PNSt15iterator_traitsISL_E10value_typeET2_T3_PNSM_ISR_E10value_typeET4_jRbjT5_SX_jjP12ihipStream_tbEUlT_E2_NS1_11comp_targetILNS1_3genE8ELNS1_11target_archE1030ELNS1_3gpuE2ELNS1_3repE0EEENS1_30default_config_static_selectorELNS0_4arch9wavefront6targetE1EEEvSL_.kd
    .uniform_work_group_size: 1
    .uses_dynamic_stack: false
    .vgpr_count:     0
    .vgpr_spill_count: 0
    .wavefront_size: 64
  - .args:
      - .offset:         0
        .size:           176
        .value_kind:     by_value
    .group_segment_fixed_size: 0
    .kernarg_segment_align: 8
    .kernarg_segment_size: 176
    .language:       OpenCL C
    .language_version:
      - 2
      - 0
    .max_flat_workgroup_size: 256
    .name:           _ZN7rocprim17ROCPRIM_400000_NS6detail17trampoline_kernelINS0_13select_configILj256ELj13ELNS0_17block_load_methodE3ELS4_3ELS4_3ELNS0_20block_scan_algorithmE0ELj4294967295EEENS1_25partition_config_selectorILNS1_17partition_subalgoE4EjNS0_10empty_typeEbEEZZNS1_14partition_implILS8_4ELb0ES6_15HIP_vector_typeIjLj2EENS0_17counting_iteratorIjlEEPS9_SG_NS0_5tupleIJPjSI_NS0_16reverse_iteratorISI_EEEEENSH_IJSG_SG_SG_EEES9_SI_JZNS1_25segmented_radix_sort_implINS0_14default_configELb0EPK6__halfPSP_PKlPlN2at6native12_GLOBAL__N_18offset_tEEE10hipError_tPvRmT1_PNSt15iterator_traitsIS13_E10value_typeET2_T3_PNS14_IS19_E10value_typeET4_jRbjT5_S1F_jjP12ihipStream_tbEUljE_ZNSN_ISO_Lb0ESR_SS_SU_SV_SZ_EES10_S11_S12_S13_S17_S18_S19_S1C_S1D_jS1E_jS1F_S1F_jjS1H_bEUljE0_EEES10_S11_S12_S19_S1D_S1F_T6_T7_T9_mT8_S1H_bDpT10_ENKUlT_T0_E_clISt17integral_constantIbLb0EES1V_EEDaS1Q_S1R_EUlS1Q_E_NS1_11comp_targetILNS1_3genE0ELNS1_11target_archE4294967295ELNS1_3gpuE0ELNS1_3repE0EEENS1_30default_config_static_selectorELNS0_4arch9wavefront6targetE1EEEvS13_
    .private_segment_fixed_size: 0
    .sgpr_count:     4
    .sgpr_spill_count: 0
    .symbol:         _ZN7rocprim17ROCPRIM_400000_NS6detail17trampoline_kernelINS0_13select_configILj256ELj13ELNS0_17block_load_methodE3ELS4_3ELS4_3ELNS0_20block_scan_algorithmE0ELj4294967295EEENS1_25partition_config_selectorILNS1_17partition_subalgoE4EjNS0_10empty_typeEbEEZZNS1_14partition_implILS8_4ELb0ES6_15HIP_vector_typeIjLj2EENS0_17counting_iteratorIjlEEPS9_SG_NS0_5tupleIJPjSI_NS0_16reverse_iteratorISI_EEEEENSH_IJSG_SG_SG_EEES9_SI_JZNS1_25segmented_radix_sort_implINS0_14default_configELb0EPK6__halfPSP_PKlPlN2at6native12_GLOBAL__N_18offset_tEEE10hipError_tPvRmT1_PNSt15iterator_traitsIS13_E10value_typeET2_T3_PNS14_IS19_E10value_typeET4_jRbjT5_S1F_jjP12ihipStream_tbEUljE_ZNSN_ISO_Lb0ESR_SS_SU_SV_SZ_EES10_S11_S12_S13_S17_S18_S19_S1C_S1D_jS1E_jS1F_S1F_jjS1H_bEUljE0_EEES10_S11_S12_S19_S1D_S1F_T6_T7_T9_mT8_S1H_bDpT10_ENKUlT_T0_E_clISt17integral_constantIbLb0EES1V_EEDaS1Q_S1R_EUlS1Q_E_NS1_11comp_targetILNS1_3genE0ELNS1_11target_archE4294967295ELNS1_3gpuE0ELNS1_3repE0EEENS1_30default_config_static_selectorELNS0_4arch9wavefront6targetE1EEEvS13_.kd
    .uniform_work_group_size: 1
    .uses_dynamic_stack: false
    .vgpr_count:     0
    .vgpr_spill_count: 0
    .wavefront_size: 64
  - .args:
      - .offset:         0
        .size:           176
        .value_kind:     by_value
    .group_segment_fixed_size: 0
    .kernarg_segment_align: 8
    .kernarg_segment_size: 176
    .language:       OpenCL C
    .language_version:
      - 2
      - 0
    .max_flat_workgroup_size: 256
    .name:           _ZN7rocprim17ROCPRIM_400000_NS6detail17trampoline_kernelINS0_13select_configILj256ELj13ELNS0_17block_load_methodE3ELS4_3ELS4_3ELNS0_20block_scan_algorithmE0ELj4294967295EEENS1_25partition_config_selectorILNS1_17partition_subalgoE4EjNS0_10empty_typeEbEEZZNS1_14partition_implILS8_4ELb0ES6_15HIP_vector_typeIjLj2EENS0_17counting_iteratorIjlEEPS9_SG_NS0_5tupleIJPjSI_NS0_16reverse_iteratorISI_EEEEENSH_IJSG_SG_SG_EEES9_SI_JZNS1_25segmented_radix_sort_implINS0_14default_configELb0EPK6__halfPSP_PKlPlN2at6native12_GLOBAL__N_18offset_tEEE10hipError_tPvRmT1_PNSt15iterator_traitsIS13_E10value_typeET2_T3_PNS14_IS19_E10value_typeET4_jRbjT5_S1F_jjP12ihipStream_tbEUljE_ZNSN_ISO_Lb0ESR_SS_SU_SV_SZ_EES10_S11_S12_S13_S17_S18_S19_S1C_S1D_jS1E_jS1F_S1F_jjS1H_bEUljE0_EEES10_S11_S12_S19_S1D_S1F_T6_T7_T9_mT8_S1H_bDpT10_ENKUlT_T0_E_clISt17integral_constantIbLb0EES1V_EEDaS1Q_S1R_EUlS1Q_E_NS1_11comp_targetILNS1_3genE5ELNS1_11target_archE942ELNS1_3gpuE9ELNS1_3repE0EEENS1_30default_config_static_selectorELNS0_4arch9wavefront6targetE1EEEvS13_
    .private_segment_fixed_size: 0
    .sgpr_count:     4
    .sgpr_spill_count: 0
    .symbol:         _ZN7rocprim17ROCPRIM_400000_NS6detail17trampoline_kernelINS0_13select_configILj256ELj13ELNS0_17block_load_methodE3ELS4_3ELS4_3ELNS0_20block_scan_algorithmE0ELj4294967295EEENS1_25partition_config_selectorILNS1_17partition_subalgoE4EjNS0_10empty_typeEbEEZZNS1_14partition_implILS8_4ELb0ES6_15HIP_vector_typeIjLj2EENS0_17counting_iteratorIjlEEPS9_SG_NS0_5tupleIJPjSI_NS0_16reverse_iteratorISI_EEEEENSH_IJSG_SG_SG_EEES9_SI_JZNS1_25segmented_radix_sort_implINS0_14default_configELb0EPK6__halfPSP_PKlPlN2at6native12_GLOBAL__N_18offset_tEEE10hipError_tPvRmT1_PNSt15iterator_traitsIS13_E10value_typeET2_T3_PNS14_IS19_E10value_typeET4_jRbjT5_S1F_jjP12ihipStream_tbEUljE_ZNSN_ISO_Lb0ESR_SS_SU_SV_SZ_EES10_S11_S12_S13_S17_S18_S19_S1C_S1D_jS1E_jS1F_S1F_jjS1H_bEUljE0_EEES10_S11_S12_S19_S1D_S1F_T6_T7_T9_mT8_S1H_bDpT10_ENKUlT_T0_E_clISt17integral_constantIbLb0EES1V_EEDaS1Q_S1R_EUlS1Q_E_NS1_11comp_targetILNS1_3genE5ELNS1_11target_archE942ELNS1_3gpuE9ELNS1_3repE0EEENS1_30default_config_static_selectorELNS0_4arch9wavefront6targetE1EEEvS13_.kd
    .uniform_work_group_size: 1
    .uses_dynamic_stack: false
    .vgpr_count:     0
    .vgpr_spill_count: 0
    .wavefront_size: 64
  - .args:
      - .offset:         0
        .size:           176
        .value_kind:     by_value
    .group_segment_fixed_size: 0
    .kernarg_segment_align: 8
    .kernarg_segment_size: 176
    .language:       OpenCL C
    .language_version:
      - 2
      - 0
    .max_flat_workgroup_size: 256
    .name:           _ZN7rocprim17ROCPRIM_400000_NS6detail17trampoline_kernelINS0_13select_configILj256ELj13ELNS0_17block_load_methodE3ELS4_3ELS4_3ELNS0_20block_scan_algorithmE0ELj4294967295EEENS1_25partition_config_selectorILNS1_17partition_subalgoE4EjNS0_10empty_typeEbEEZZNS1_14partition_implILS8_4ELb0ES6_15HIP_vector_typeIjLj2EENS0_17counting_iteratorIjlEEPS9_SG_NS0_5tupleIJPjSI_NS0_16reverse_iteratorISI_EEEEENSH_IJSG_SG_SG_EEES9_SI_JZNS1_25segmented_radix_sort_implINS0_14default_configELb0EPK6__halfPSP_PKlPlN2at6native12_GLOBAL__N_18offset_tEEE10hipError_tPvRmT1_PNSt15iterator_traitsIS13_E10value_typeET2_T3_PNS14_IS19_E10value_typeET4_jRbjT5_S1F_jjP12ihipStream_tbEUljE_ZNSN_ISO_Lb0ESR_SS_SU_SV_SZ_EES10_S11_S12_S13_S17_S18_S19_S1C_S1D_jS1E_jS1F_S1F_jjS1H_bEUljE0_EEES10_S11_S12_S19_S1D_S1F_T6_T7_T9_mT8_S1H_bDpT10_ENKUlT_T0_E_clISt17integral_constantIbLb0EES1V_EEDaS1Q_S1R_EUlS1Q_E_NS1_11comp_targetILNS1_3genE4ELNS1_11target_archE910ELNS1_3gpuE8ELNS1_3repE0EEENS1_30default_config_static_selectorELNS0_4arch9wavefront6targetE1EEEvS13_
    .private_segment_fixed_size: 0
    .sgpr_count:     4
    .sgpr_spill_count: 0
    .symbol:         _ZN7rocprim17ROCPRIM_400000_NS6detail17trampoline_kernelINS0_13select_configILj256ELj13ELNS0_17block_load_methodE3ELS4_3ELS4_3ELNS0_20block_scan_algorithmE0ELj4294967295EEENS1_25partition_config_selectorILNS1_17partition_subalgoE4EjNS0_10empty_typeEbEEZZNS1_14partition_implILS8_4ELb0ES6_15HIP_vector_typeIjLj2EENS0_17counting_iteratorIjlEEPS9_SG_NS0_5tupleIJPjSI_NS0_16reverse_iteratorISI_EEEEENSH_IJSG_SG_SG_EEES9_SI_JZNS1_25segmented_radix_sort_implINS0_14default_configELb0EPK6__halfPSP_PKlPlN2at6native12_GLOBAL__N_18offset_tEEE10hipError_tPvRmT1_PNSt15iterator_traitsIS13_E10value_typeET2_T3_PNS14_IS19_E10value_typeET4_jRbjT5_S1F_jjP12ihipStream_tbEUljE_ZNSN_ISO_Lb0ESR_SS_SU_SV_SZ_EES10_S11_S12_S13_S17_S18_S19_S1C_S1D_jS1E_jS1F_S1F_jjS1H_bEUljE0_EEES10_S11_S12_S19_S1D_S1F_T6_T7_T9_mT8_S1H_bDpT10_ENKUlT_T0_E_clISt17integral_constantIbLb0EES1V_EEDaS1Q_S1R_EUlS1Q_E_NS1_11comp_targetILNS1_3genE4ELNS1_11target_archE910ELNS1_3gpuE8ELNS1_3repE0EEENS1_30default_config_static_selectorELNS0_4arch9wavefront6targetE1EEEvS13_.kd
    .uniform_work_group_size: 1
    .uses_dynamic_stack: false
    .vgpr_count:     0
    .vgpr_spill_count: 0
    .wavefront_size: 64
  - .args:
      - .offset:         0
        .size:           176
        .value_kind:     by_value
    .group_segment_fixed_size: 0
    .kernarg_segment_align: 8
    .kernarg_segment_size: 176
    .language:       OpenCL C
    .language_version:
      - 2
      - 0
    .max_flat_workgroup_size: 256
    .name:           _ZN7rocprim17ROCPRIM_400000_NS6detail17trampoline_kernelINS0_13select_configILj256ELj13ELNS0_17block_load_methodE3ELS4_3ELS4_3ELNS0_20block_scan_algorithmE0ELj4294967295EEENS1_25partition_config_selectorILNS1_17partition_subalgoE4EjNS0_10empty_typeEbEEZZNS1_14partition_implILS8_4ELb0ES6_15HIP_vector_typeIjLj2EENS0_17counting_iteratorIjlEEPS9_SG_NS0_5tupleIJPjSI_NS0_16reverse_iteratorISI_EEEEENSH_IJSG_SG_SG_EEES9_SI_JZNS1_25segmented_radix_sort_implINS0_14default_configELb0EPK6__halfPSP_PKlPlN2at6native12_GLOBAL__N_18offset_tEEE10hipError_tPvRmT1_PNSt15iterator_traitsIS13_E10value_typeET2_T3_PNS14_IS19_E10value_typeET4_jRbjT5_S1F_jjP12ihipStream_tbEUljE_ZNSN_ISO_Lb0ESR_SS_SU_SV_SZ_EES10_S11_S12_S13_S17_S18_S19_S1C_S1D_jS1E_jS1F_S1F_jjS1H_bEUljE0_EEES10_S11_S12_S19_S1D_S1F_T6_T7_T9_mT8_S1H_bDpT10_ENKUlT_T0_E_clISt17integral_constantIbLb0EES1V_EEDaS1Q_S1R_EUlS1Q_E_NS1_11comp_targetILNS1_3genE3ELNS1_11target_archE908ELNS1_3gpuE7ELNS1_3repE0EEENS1_30default_config_static_selectorELNS0_4arch9wavefront6targetE1EEEvS13_
    .private_segment_fixed_size: 0
    .sgpr_count:     4
    .sgpr_spill_count: 0
    .symbol:         _ZN7rocprim17ROCPRIM_400000_NS6detail17trampoline_kernelINS0_13select_configILj256ELj13ELNS0_17block_load_methodE3ELS4_3ELS4_3ELNS0_20block_scan_algorithmE0ELj4294967295EEENS1_25partition_config_selectorILNS1_17partition_subalgoE4EjNS0_10empty_typeEbEEZZNS1_14partition_implILS8_4ELb0ES6_15HIP_vector_typeIjLj2EENS0_17counting_iteratorIjlEEPS9_SG_NS0_5tupleIJPjSI_NS0_16reverse_iteratorISI_EEEEENSH_IJSG_SG_SG_EEES9_SI_JZNS1_25segmented_radix_sort_implINS0_14default_configELb0EPK6__halfPSP_PKlPlN2at6native12_GLOBAL__N_18offset_tEEE10hipError_tPvRmT1_PNSt15iterator_traitsIS13_E10value_typeET2_T3_PNS14_IS19_E10value_typeET4_jRbjT5_S1F_jjP12ihipStream_tbEUljE_ZNSN_ISO_Lb0ESR_SS_SU_SV_SZ_EES10_S11_S12_S13_S17_S18_S19_S1C_S1D_jS1E_jS1F_S1F_jjS1H_bEUljE0_EEES10_S11_S12_S19_S1D_S1F_T6_T7_T9_mT8_S1H_bDpT10_ENKUlT_T0_E_clISt17integral_constantIbLb0EES1V_EEDaS1Q_S1R_EUlS1Q_E_NS1_11comp_targetILNS1_3genE3ELNS1_11target_archE908ELNS1_3gpuE7ELNS1_3repE0EEENS1_30default_config_static_selectorELNS0_4arch9wavefront6targetE1EEEvS13_.kd
    .uniform_work_group_size: 1
    .uses_dynamic_stack: false
    .vgpr_count:     0
    .vgpr_spill_count: 0
    .wavefront_size: 64
  - .args:
      - .offset:         0
        .size:           176
        .value_kind:     by_value
    .group_segment_fixed_size: 13328
    .kernarg_segment_align: 8
    .kernarg_segment_size: 176
    .language:       OpenCL C
    .language_version:
      - 2
      - 0
    .max_flat_workgroup_size: 256
    .name:           _ZN7rocprim17ROCPRIM_400000_NS6detail17trampoline_kernelINS0_13select_configILj256ELj13ELNS0_17block_load_methodE3ELS4_3ELS4_3ELNS0_20block_scan_algorithmE0ELj4294967295EEENS1_25partition_config_selectorILNS1_17partition_subalgoE4EjNS0_10empty_typeEbEEZZNS1_14partition_implILS8_4ELb0ES6_15HIP_vector_typeIjLj2EENS0_17counting_iteratorIjlEEPS9_SG_NS0_5tupleIJPjSI_NS0_16reverse_iteratorISI_EEEEENSH_IJSG_SG_SG_EEES9_SI_JZNS1_25segmented_radix_sort_implINS0_14default_configELb0EPK6__halfPSP_PKlPlN2at6native12_GLOBAL__N_18offset_tEEE10hipError_tPvRmT1_PNSt15iterator_traitsIS13_E10value_typeET2_T3_PNS14_IS19_E10value_typeET4_jRbjT5_S1F_jjP12ihipStream_tbEUljE_ZNSN_ISO_Lb0ESR_SS_SU_SV_SZ_EES10_S11_S12_S13_S17_S18_S19_S1C_S1D_jS1E_jS1F_S1F_jjS1H_bEUljE0_EEES10_S11_S12_S19_S1D_S1F_T6_T7_T9_mT8_S1H_bDpT10_ENKUlT_T0_E_clISt17integral_constantIbLb0EES1V_EEDaS1Q_S1R_EUlS1Q_E_NS1_11comp_targetILNS1_3genE2ELNS1_11target_archE906ELNS1_3gpuE6ELNS1_3repE0EEENS1_30default_config_static_selectorELNS0_4arch9wavefront6targetE1EEEvS13_
    .private_segment_fixed_size: 0
    .sgpr_count:     94
    .sgpr_spill_count: 0
    .symbol:         _ZN7rocprim17ROCPRIM_400000_NS6detail17trampoline_kernelINS0_13select_configILj256ELj13ELNS0_17block_load_methodE3ELS4_3ELS4_3ELNS0_20block_scan_algorithmE0ELj4294967295EEENS1_25partition_config_selectorILNS1_17partition_subalgoE4EjNS0_10empty_typeEbEEZZNS1_14partition_implILS8_4ELb0ES6_15HIP_vector_typeIjLj2EENS0_17counting_iteratorIjlEEPS9_SG_NS0_5tupleIJPjSI_NS0_16reverse_iteratorISI_EEEEENSH_IJSG_SG_SG_EEES9_SI_JZNS1_25segmented_radix_sort_implINS0_14default_configELb0EPK6__halfPSP_PKlPlN2at6native12_GLOBAL__N_18offset_tEEE10hipError_tPvRmT1_PNSt15iterator_traitsIS13_E10value_typeET2_T3_PNS14_IS19_E10value_typeET4_jRbjT5_S1F_jjP12ihipStream_tbEUljE_ZNSN_ISO_Lb0ESR_SS_SU_SV_SZ_EES10_S11_S12_S13_S17_S18_S19_S1C_S1D_jS1E_jS1F_S1F_jjS1H_bEUljE0_EEES10_S11_S12_S19_S1D_S1F_T6_T7_T9_mT8_S1H_bDpT10_ENKUlT_T0_E_clISt17integral_constantIbLb0EES1V_EEDaS1Q_S1R_EUlS1Q_E_NS1_11comp_targetILNS1_3genE2ELNS1_11target_archE906ELNS1_3gpuE6ELNS1_3repE0EEENS1_30default_config_static_selectorELNS0_4arch9wavefront6targetE1EEEvS13_.kd
    .uniform_work_group_size: 1
    .uses_dynamic_stack: false
    .vgpr_count:     86
    .vgpr_spill_count: 0
    .wavefront_size: 64
  - .args:
      - .offset:         0
        .size:           176
        .value_kind:     by_value
    .group_segment_fixed_size: 0
    .kernarg_segment_align: 8
    .kernarg_segment_size: 176
    .language:       OpenCL C
    .language_version:
      - 2
      - 0
    .max_flat_workgroup_size: 256
    .name:           _ZN7rocprim17ROCPRIM_400000_NS6detail17trampoline_kernelINS0_13select_configILj256ELj13ELNS0_17block_load_methodE3ELS4_3ELS4_3ELNS0_20block_scan_algorithmE0ELj4294967295EEENS1_25partition_config_selectorILNS1_17partition_subalgoE4EjNS0_10empty_typeEbEEZZNS1_14partition_implILS8_4ELb0ES6_15HIP_vector_typeIjLj2EENS0_17counting_iteratorIjlEEPS9_SG_NS0_5tupleIJPjSI_NS0_16reverse_iteratorISI_EEEEENSH_IJSG_SG_SG_EEES9_SI_JZNS1_25segmented_radix_sort_implINS0_14default_configELb0EPK6__halfPSP_PKlPlN2at6native12_GLOBAL__N_18offset_tEEE10hipError_tPvRmT1_PNSt15iterator_traitsIS13_E10value_typeET2_T3_PNS14_IS19_E10value_typeET4_jRbjT5_S1F_jjP12ihipStream_tbEUljE_ZNSN_ISO_Lb0ESR_SS_SU_SV_SZ_EES10_S11_S12_S13_S17_S18_S19_S1C_S1D_jS1E_jS1F_S1F_jjS1H_bEUljE0_EEES10_S11_S12_S19_S1D_S1F_T6_T7_T9_mT8_S1H_bDpT10_ENKUlT_T0_E_clISt17integral_constantIbLb0EES1V_EEDaS1Q_S1R_EUlS1Q_E_NS1_11comp_targetILNS1_3genE10ELNS1_11target_archE1200ELNS1_3gpuE4ELNS1_3repE0EEENS1_30default_config_static_selectorELNS0_4arch9wavefront6targetE1EEEvS13_
    .private_segment_fixed_size: 0
    .sgpr_count:     4
    .sgpr_spill_count: 0
    .symbol:         _ZN7rocprim17ROCPRIM_400000_NS6detail17trampoline_kernelINS0_13select_configILj256ELj13ELNS0_17block_load_methodE3ELS4_3ELS4_3ELNS0_20block_scan_algorithmE0ELj4294967295EEENS1_25partition_config_selectorILNS1_17partition_subalgoE4EjNS0_10empty_typeEbEEZZNS1_14partition_implILS8_4ELb0ES6_15HIP_vector_typeIjLj2EENS0_17counting_iteratorIjlEEPS9_SG_NS0_5tupleIJPjSI_NS0_16reverse_iteratorISI_EEEEENSH_IJSG_SG_SG_EEES9_SI_JZNS1_25segmented_radix_sort_implINS0_14default_configELb0EPK6__halfPSP_PKlPlN2at6native12_GLOBAL__N_18offset_tEEE10hipError_tPvRmT1_PNSt15iterator_traitsIS13_E10value_typeET2_T3_PNS14_IS19_E10value_typeET4_jRbjT5_S1F_jjP12ihipStream_tbEUljE_ZNSN_ISO_Lb0ESR_SS_SU_SV_SZ_EES10_S11_S12_S13_S17_S18_S19_S1C_S1D_jS1E_jS1F_S1F_jjS1H_bEUljE0_EEES10_S11_S12_S19_S1D_S1F_T6_T7_T9_mT8_S1H_bDpT10_ENKUlT_T0_E_clISt17integral_constantIbLb0EES1V_EEDaS1Q_S1R_EUlS1Q_E_NS1_11comp_targetILNS1_3genE10ELNS1_11target_archE1200ELNS1_3gpuE4ELNS1_3repE0EEENS1_30default_config_static_selectorELNS0_4arch9wavefront6targetE1EEEvS13_.kd
    .uniform_work_group_size: 1
    .uses_dynamic_stack: false
    .vgpr_count:     0
    .vgpr_spill_count: 0
    .wavefront_size: 64
  - .args:
      - .offset:         0
        .size:           176
        .value_kind:     by_value
    .group_segment_fixed_size: 0
    .kernarg_segment_align: 8
    .kernarg_segment_size: 176
    .language:       OpenCL C
    .language_version:
      - 2
      - 0
    .max_flat_workgroup_size: 256
    .name:           _ZN7rocprim17ROCPRIM_400000_NS6detail17trampoline_kernelINS0_13select_configILj256ELj13ELNS0_17block_load_methodE3ELS4_3ELS4_3ELNS0_20block_scan_algorithmE0ELj4294967295EEENS1_25partition_config_selectorILNS1_17partition_subalgoE4EjNS0_10empty_typeEbEEZZNS1_14partition_implILS8_4ELb0ES6_15HIP_vector_typeIjLj2EENS0_17counting_iteratorIjlEEPS9_SG_NS0_5tupleIJPjSI_NS0_16reverse_iteratorISI_EEEEENSH_IJSG_SG_SG_EEES9_SI_JZNS1_25segmented_radix_sort_implINS0_14default_configELb0EPK6__halfPSP_PKlPlN2at6native12_GLOBAL__N_18offset_tEEE10hipError_tPvRmT1_PNSt15iterator_traitsIS13_E10value_typeET2_T3_PNS14_IS19_E10value_typeET4_jRbjT5_S1F_jjP12ihipStream_tbEUljE_ZNSN_ISO_Lb0ESR_SS_SU_SV_SZ_EES10_S11_S12_S13_S17_S18_S19_S1C_S1D_jS1E_jS1F_S1F_jjS1H_bEUljE0_EEES10_S11_S12_S19_S1D_S1F_T6_T7_T9_mT8_S1H_bDpT10_ENKUlT_T0_E_clISt17integral_constantIbLb0EES1V_EEDaS1Q_S1R_EUlS1Q_E_NS1_11comp_targetILNS1_3genE9ELNS1_11target_archE1100ELNS1_3gpuE3ELNS1_3repE0EEENS1_30default_config_static_selectorELNS0_4arch9wavefront6targetE1EEEvS13_
    .private_segment_fixed_size: 0
    .sgpr_count:     4
    .sgpr_spill_count: 0
    .symbol:         _ZN7rocprim17ROCPRIM_400000_NS6detail17trampoline_kernelINS0_13select_configILj256ELj13ELNS0_17block_load_methodE3ELS4_3ELS4_3ELNS0_20block_scan_algorithmE0ELj4294967295EEENS1_25partition_config_selectorILNS1_17partition_subalgoE4EjNS0_10empty_typeEbEEZZNS1_14partition_implILS8_4ELb0ES6_15HIP_vector_typeIjLj2EENS0_17counting_iteratorIjlEEPS9_SG_NS0_5tupleIJPjSI_NS0_16reverse_iteratorISI_EEEEENSH_IJSG_SG_SG_EEES9_SI_JZNS1_25segmented_radix_sort_implINS0_14default_configELb0EPK6__halfPSP_PKlPlN2at6native12_GLOBAL__N_18offset_tEEE10hipError_tPvRmT1_PNSt15iterator_traitsIS13_E10value_typeET2_T3_PNS14_IS19_E10value_typeET4_jRbjT5_S1F_jjP12ihipStream_tbEUljE_ZNSN_ISO_Lb0ESR_SS_SU_SV_SZ_EES10_S11_S12_S13_S17_S18_S19_S1C_S1D_jS1E_jS1F_S1F_jjS1H_bEUljE0_EEES10_S11_S12_S19_S1D_S1F_T6_T7_T9_mT8_S1H_bDpT10_ENKUlT_T0_E_clISt17integral_constantIbLb0EES1V_EEDaS1Q_S1R_EUlS1Q_E_NS1_11comp_targetILNS1_3genE9ELNS1_11target_archE1100ELNS1_3gpuE3ELNS1_3repE0EEENS1_30default_config_static_selectorELNS0_4arch9wavefront6targetE1EEEvS13_.kd
    .uniform_work_group_size: 1
    .uses_dynamic_stack: false
    .vgpr_count:     0
    .vgpr_spill_count: 0
    .wavefront_size: 64
  - .args:
      - .offset:         0
        .size:           176
        .value_kind:     by_value
    .group_segment_fixed_size: 0
    .kernarg_segment_align: 8
    .kernarg_segment_size: 176
    .language:       OpenCL C
    .language_version:
      - 2
      - 0
    .max_flat_workgroup_size: 256
    .name:           _ZN7rocprim17ROCPRIM_400000_NS6detail17trampoline_kernelINS0_13select_configILj256ELj13ELNS0_17block_load_methodE3ELS4_3ELS4_3ELNS0_20block_scan_algorithmE0ELj4294967295EEENS1_25partition_config_selectorILNS1_17partition_subalgoE4EjNS0_10empty_typeEbEEZZNS1_14partition_implILS8_4ELb0ES6_15HIP_vector_typeIjLj2EENS0_17counting_iteratorIjlEEPS9_SG_NS0_5tupleIJPjSI_NS0_16reverse_iteratorISI_EEEEENSH_IJSG_SG_SG_EEES9_SI_JZNS1_25segmented_radix_sort_implINS0_14default_configELb0EPK6__halfPSP_PKlPlN2at6native12_GLOBAL__N_18offset_tEEE10hipError_tPvRmT1_PNSt15iterator_traitsIS13_E10value_typeET2_T3_PNS14_IS19_E10value_typeET4_jRbjT5_S1F_jjP12ihipStream_tbEUljE_ZNSN_ISO_Lb0ESR_SS_SU_SV_SZ_EES10_S11_S12_S13_S17_S18_S19_S1C_S1D_jS1E_jS1F_S1F_jjS1H_bEUljE0_EEES10_S11_S12_S19_S1D_S1F_T6_T7_T9_mT8_S1H_bDpT10_ENKUlT_T0_E_clISt17integral_constantIbLb0EES1V_EEDaS1Q_S1R_EUlS1Q_E_NS1_11comp_targetILNS1_3genE8ELNS1_11target_archE1030ELNS1_3gpuE2ELNS1_3repE0EEENS1_30default_config_static_selectorELNS0_4arch9wavefront6targetE1EEEvS13_
    .private_segment_fixed_size: 0
    .sgpr_count:     4
    .sgpr_spill_count: 0
    .symbol:         _ZN7rocprim17ROCPRIM_400000_NS6detail17trampoline_kernelINS0_13select_configILj256ELj13ELNS0_17block_load_methodE3ELS4_3ELS4_3ELNS0_20block_scan_algorithmE0ELj4294967295EEENS1_25partition_config_selectorILNS1_17partition_subalgoE4EjNS0_10empty_typeEbEEZZNS1_14partition_implILS8_4ELb0ES6_15HIP_vector_typeIjLj2EENS0_17counting_iteratorIjlEEPS9_SG_NS0_5tupleIJPjSI_NS0_16reverse_iteratorISI_EEEEENSH_IJSG_SG_SG_EEES9_SI_JZNS1_25segmented_radix_sort_implINS0_14default_configELb0EPK6__halfPSP_PKlPlN2at6native12_GLOBAL__N_18offset_tEEE10hipError_tPvRmT1_PNSt15iterator_traitsIS13_E10value_typeET2_T3_PNS14_IS19_E10value_typeET4_jRbjT5_S1F_jjP12ihipStream_tbEUljE_ZNSN_ISO_Lb0ESR_SS_SU_SV_SZ_EES10_S11_S12_S13_S17_S18_S19_S1C_S1D_jS1E_jS1F_S1F_jjS1H_bEUljE0_EEES10_S11_S12_S19_S1D_S1F_T6_T7_T9_mT8_S1H_bDpT10_ENKUlT_T0_E_clISt17integral_constantIbLb0EES1V_EEDaS1Q_S1R_EUlS1Q_E_NS1_11comp_targetILNS1_3genE8ELNS1_11target_archE1030ELNS1_3gpuE2ELNS1_3repE0EEENS1_30default_config_static_selectorELNS0_4arch9wavefront6targetE1EEEvS13_.kd
    .uniform_work_group_size: 1
    .uses_dynamic_stack: false
    .vgpr_count:     0
    .vgpr_spill_count: 0
    .wavefront_size: 64
  - .args:
      - .offset:         0
        .size:           184
        .value_kind:     by_value
    .group_segment_fixed_size: 0
    .kernarg_segment_align: 8
    .kernarg_segment_size: 184
    .language:       OpenCL C
    .language_version:
      - 2
      - 0
    .max_flat_workgroup_size: 256
    .name:           _ZN7rocprim17ROCPRIM_400000_NS6detail17trampoline_kernelINS0_13select_configILj256ELj13ELNS0_17block_load_methodE3ELS4_3ELS4_3ELNS0_20block_scan_algorithmE0ELj4294967295EEENS1_25partition_config_selectorILNS1_17partition_subalgoE4EjNS0_10empty_typeEbEEZZNS1_14partition_implILS8_4ELb0ES6_15HIP_vector_typeIjLj2EENS0_17counting_iteratorIjlEEPS9_SG_NS0_5tupleIJPjSI_NS0_16reverse_iteratorISI_EEEEENSH_IJSG_SG_SG_EEES9_SI_JZNS1_25segmented_radix_sort_implINS0_14default_configELb0EPK6__halfPSP_PKlPlN2at6native12_GLOBAL__N_18offset_tEEE10hipError_tPvRmT1_PNSt15iterator_traitsIS13_E10value_typeET2_T3_PNS14_IS19_E10value_typeET4_jRbjT5_S1F_jjP12ihipStream_tbEUljE_ZNSN_ISO_Lb0ESR_SS_SU_SV_SZ_EES10_S11_S12_S13_S17_S18_S19_S1C_S1D_jS1E_jS1F_S1F_jjS1H_bEUljE0_EEES10_S11_S12_S19_S1D_S1F_T6_T7_T9_mT8_S1H_bDpT10_ENKUlT_T0_E_clISt17integral_constantIbLb1EES1V_EEDaS1Q_S1R_EUlS1Q_E_NS1_11comp_targetILNS1_3genE0ELNS1_11target_archE4294967295ELNS1_3gpuE0ELNS1_3repE0EEENS1_30default_config_static_selectorELNS0_4arch9wavefront6targetE1EEEvS13_
    .private_segment_fixed_size: 0
    .sgpr_count:     4
    .sgpr_spill_count: 0
    .symbol:         _ZN7rocprim17ROCPRIM_400000_NS6detail17trampoline_kernelINS0_13select_configILj256ELj13ELNS0_17block_load_methodE3ELS4_3ELS4_3ELNS0_20block_scan_algorithmE0ELj4294967295EEENS1_25partition_config_selectorILNS1_17partition_subalgoE4EjNS0_10empty_typeEbEEZZNS1_14partition_implILS8_4ELb0ES6_15HIP_vector_typeIjLj2EENS0_17counting_iteratorIjlEEPS9_SG_NS0_5tupleIJPjSI_NS0_16reverse_iteratorISI_EEEEENSH_IJSG_SG_SG_EEES9_SI_JZNS1_25segmented_radix_sort_implINS0_14default_configELb0EPK6__halfPSP_PKlPlN2at6native12_GLOBAL__N_18offset_tEEE10hipError_tPvRmT1_PNSt15iterator_traitsIS13_E10value_typeET2_T3_PNS14_IS19_E10value_typeET4_jRbjT5_S1F_jjP12ihipStream_tbEUljE_ZNSN_ISO_Lb0ESR_SS_SU_SV_SZ_EES10_S11_S12_S13_S17_S18_S19_S1C_S1D_jS1E_jS1F_S1F_jjS1H_bEUljE0_EEES10_S11_S12_S19_S1D_S1F_T6_T7_T9_mT8_S1H_bDpT10_ENKUlT_T0_E_clISt17integral_constantIbLb1EES1V_EEDaS1Q_S1R_EUlS1Q_E_NS1_11comp_targetILNS1_3genE0ELNS1_11target_archE4294967295ELNS1_3gpuE0ELNS1_3repE0EEENS1_30default_config_static_selectorELNS0_4arch9wavefront6targetE1EEEvS13_.kd
    .uniform_work_group_size: 1
    .uses_dynamic_stack: false
    .vgpr_count:     0
    .vgpr_spill_count: 0
    .wavefront_size: 64
  - .args:
      - .offset:         0
        .size:           184
        .value_kind:     by_value
    .group_segment_fixed_size: 0
    .kernarg_segment_align: 8
    .kernarg_segment_size: 184
    .language:       OpenCL C
    .language_version:
      - 2
      - 0
    .max_flat_workgroup_size: 256
    .name:           _ZN7rocprim17ROCPRIM_400000_NS6detail17trampoline_kernelINS0_13select_configILj256ELj13ELNS0_17block_load_methodE3ELS4_3ELS4_3ELNS0_20block_scan_algorithmE0ELj4294967295EEENS1_25partition_config_selectorILNS1_17partition_subalgoE4EjNS0_10empty_typeEbEEZZNS1_14partition_implILS8_4ELb0ES6_15HIP_vector_typeIjLj2EENS0_17counting_iteratorIjlEEPS9_SG_NS0_5tupleIJPjSI_NS0_16reverse_iteratorISI_EEEEENSH_IJSG_SG_SG_EEES9_SI_JZNS1_25segmented_radix_sort_implINS0_14default_configELb0EPK6__halfPSP_PKlPlN2at6native12_GLOBAL__N_18offset_tEEE10hipError_tPvRmT1_PNSt15iterator_traitsIS13_E10value_typeET2_T3_PNS14_IS19_E10value_typeET4_jRbjT5_S1F_jjP12ihipStream_tbEUljE_ZNSN_ISO_Lb0ESR_SS_SU_SV_SZ_EES10_S11_S12_S13_S17_S18_S19_S1C_S1D_jS1E_jS1F_S1F_jjS1H_bEUljE0_EEES10_S11_S12_S19_S1D_S1F_T6_T7_T9_mT8_S1H_bDpT10_ENKUlT_T0_E_clISt17integral_constantIbLb1EES1V_EEDaS1Q_S1R_EUlS1Q_E_NS1_11comp_targetILNS1_3genE5ELNS1_11target_archE942ELNS1_3gpuE9ELNS1_3repE0EEENS1_30default_config_static_selectorELNS0_4arch9wavefront6targetE1EEEvS13_
    .private_segment_fixed_size: 0
    .sgpr_count:     4
    .sgpr_spill_count: 0
    .symbol:         _ZN7rocprim17ROCPRIM_400000_NS6detail17trampoline_kernelINS0_13select_configILj256ELj13ELNS0_17block_load_methodE3ELS4_3ELS4_3ELNS0_20block_scan_algorithmE0ELj4294967295EEENS1_25partition_config_selectorILNS1_17partition_subalgoE4EjNS0_10empty_typeEbEEZZNS1_14partition_implILS8_4ELb0ES6_15HIP_vector_typeIjLj2EENS0_17counting_iteratorIjlEEPS9_SG_NS0_5tupleIJPjSI_NS0_16reverse_iteratorISI_EEEEENSH_IJSG_SG_SG_EEES9_SI_JZNS1_25segmented_radix_sort_implINS0_14default_configELb0EPK6__halfPSP_PKlPlN2at6native12_GLOBAL__N_18offset_tEEE10hipError_tPvRmT1_PNSt15iterator_traitsIS13_E10value_typeET2_T3_PNS14_IS19_E10value_typeET4_jRbjT5_S1F_jjP12ihipStream_tbEUljE_ZNSN_ISO_Lb0ESR_SS_SU_SV_SZ_EES10_S11_S12_S13_S17_S18_S19_S1C_S1D_jS1E_jS1F_S1F_jjS1H_bEUljE0_EEES10_S11_S12_S19_S1D_S1F_T6_T7_T9_mT8_S1H_bDpT10_ENKUlT_T0_E_clISt17integral_constantIbLb1EES1V_EEDaS1Q_S1R_EUlS1Q_E_NS1_11comp_targetILNS1_3genE5ELNS1_11target_archE942ELNS1_3gpuE9ELNS1_3repE0EEENS1_30default_config_static_selectorELNS0_4arch9wavefront6targetE1EEEvS13_.kd
    .uniform_work_group_size: 1
    .uses_dynamic_stack: false
    .vgpr_count:     0
    .vgpr_spill_count: 0
    .wavefront_size: 64
  - .args:
      - .offset:         0
        .size:           184
        .value_kind:     by_value
    .group_segment_fixed_size: 0
    .kernarg_segment_align: 8
    .kernarg_segment_size: 184
    .language:       OpenCL C
    .language_version:
      - 2
      - 0
    .max_flat_workgroup_size: 256
    .name:           _ZN7rocprim17ROCPRIM_400000_NS6detail17trampoline_kernelINS0_13select_configILj256ELj13ELNS0_17block_load_methodE3ELS4_3ELS4_3ELNS0_20block_scan_algorithmE0ELj4294967295EEENS1_25partition_config_selectorILNS1_17partition_subalgoE4EjNS0_10empty_typeEbEEZZNS1_14partition_implILS8_4ELb0ES6_15HIP_vector_typeIjLj2EENS0_17counting_iteratorIjlEEPS9_SG_NS0_5tupleIJPjSI_NS0_16reverse_iteratorISI_EEEEENSH_IJSG_SG_SG_EEES9_SI_JZNS1_25segmented_radix_sort_implINS0_14default_configELb0EPK6__halfPSP_PKlPlN2at6native12_GLOBAL__N_18offset_tEEE10hipError_tPvRmT1_PNSt15iterator_traitsIS13_E10value_typeET2_T3_PNS14_IS19_E10value_typeET4_jRbjT5_S1F_jjP12ihipStream_tbEUljE_ZNSN_ISO_Lb0ESR_SS_SU_SV_SZ_EES10_S11_S12_S13_S17_S18_S19_S1C_S1D_jS1E_jS1F_S1F_jjS1H_bEUljE0_EEES10_S11_S12_S19_S1D_S1F_T6_T7_T9_mT8_S1H_bDpT10_ENKUlT_T0_E_clISt17integral_constantIbLb1EES1V_EEDaS1Q_S1R_EUlS1Q_E_NS1_11comp_targetILNS1_3genE4ELNS1_11target_archE910ELNS1_3gpuE8ELNS1_3repE0EEENS1_30default_config_static_selectorELNS0_4arch9wavefront6targetE1EEEvS13_
    .private_segment_fixed_size: 0
    .sgpr_count:     4
    .sgpr_spill_count: 0
    .symbol:         _ZN7rocprim17ROCPRIM_400000_NS6detail17trampoline_kernelINS0_13select_configILj256ELj13ELNS0_17block_load_methodE3ELS4_3ELS4_3ELNS0_20block_scan_algorithmE0ELj4294967295EEENS1_25partition_config_selectorILNS1_17partition_subalgoE4EjNS0_10empty_typeEbEEZZNS1_14partition_implILS8_4ELb0ES6_15HIP_vector_typeIjLj2EENS0_17counting_iteratorIjlEEPS9_SG_NS0_5tupleIJPjSI_NS0_16reverse_iteratorISI_EEEEENSH_IJSG_SG_SG_EEES9_SI_JZNS1_25segmented_radix_sort_implINS0_14default_configELb0EPK6__halfPSP_PKlPlN2at6native12_GLOBAL__N_18offset_tEEE10hipError_tPvRmT1_PNSt15iterator_traitsIS13_E10value_typeET2_T3_PNS14_IS19_E10value_typeET4_jRbjT5_S1F_jjP12ihipStream_tbEUljE_ZNSN_ISO_Lb0ESR_SS_SU_SV_SZ_EES10_S11_S12_S13_S17_S18_S19_S1C_S1D_jS1E_jS1F_S1F_jjS1H_bEUljE0_EEES10_S11_S12_S19_S1D_S1F_T6_T7_T9_mT8_S1H_bDpT10_ENKUlT_T0_E_clISt17integral_constantIbLb1EES1V_EEDaS1Q_S1R_EUlS1Q_E_NS1_11comp_targetILNS1_3genE4ELNS1_11target_archE910ELNS1_3gpuE8ELNS1_3repE0EEENS1_30default_config_static_selectorELNS0_4arch9wavefront6targetE1EEEvS13_.kd
    .uniform_work_group_size: 1
    .uses_dynamic_stack: false
    .vgpr_count:     0
    .vgpr_spill_count: 0
    .wavefront_size: 64
  - .args:
      - .offset:         0
        .size:           184
        .value_kind:     by_value
    .group_segment_fixed_size: 0
    .kernarg_segment_align: 8
    .kernarg_segment_size: 184
    .language:       OpenCL C
    .language_version:
      - 2
      - 0
    .max_flat_workgroup_size: 256
    .name:           _ZN7rocprim17ROCPRIM_400000_NS6detail17trampoline_kernelINS0_13select_configILj256ELj13ELNS0_17block_load_methodE3ELS4_3ELS4_3ELNS0_20block_scan_algorithmE0ELj4294967295EEENS1_25partition_config_selectorILNS1_17partition_subalgoE4EjNS0_10empty_typeEbEEZZNS1_14partition_implILS8_4ELb0ES6_15HIP_vector_typeIjLj2EENS0_17counting_iteratorIjlEEPS9_SG_NS0_5tupleIJPjSI_NS0_16reverse_iteratorISI_EEEEENSH_IJSG_SG_SG_EEES9_SI_JZNS1_25segmented_radix_sort_implINS0_14default_configELb0EPK6__halfPSP_PKlPlN2at6native12_GLOBAL__N_18offset_tEEE10hipError_tPvRmT1_PNSt15iterator_traitsIS13_E10value_typeET2_T3_PNS14_IS19_E10value_typeET4_jRbjT5_S1F_jjP12ihipStream_tbEUljE_ZNSN_ISO_Lb0ESR_SS_SU_SV_SZ_EES10_S11_S12_S13_S17_S18_S19_S1C_S1D_jS1E_jS1F_S1F_jjS1H_bEUljE0_EEES10_S11_S12_S19_S1D_S1F_T6_T7_T9_mT8_S1H_bDpT10_ENKUlT_T0_E_clISt17integral_constantIbLb1EES1V_EEDaS1Q_S1R_EUlS1Q_E_NS1_11comp_targetILNS1_3genE3ELNS1_11target_archE908ELNS1_3gpuE7ELNS1_3repE0EEENS1_30default_config_static_selectorELNS0_4arch9wavefront6targetE1EEEvS13_
    .private_segment_fixed_size: 0
    .sgpr_count:     4
    .sgpr_spill_count: 0
    .symbol:         _ZN7rocprim17ROCPRIM_400000_NS6detail17trampoline_kernelINS0_13select_configILj256ELj13ELNS0_17block_load_methodE3ELS4_3ELS4_3ELNS0_20block_scan_algorithmE0ELj4294967295EEENS1_25partition_config_selectorILNS1_17partition_subalgoE4EjNS0_10empty_typeEbEEZZNS1_14partition_implILS8_4ELb0ES6_15HIP_vector_typeIjLj2EENS0_17counting_iteratorIjlEEPS9_SG_NS0_5tupleIJPjSI_NS0_16reverse_iteratorISI_EEEEENSH_IJSG_SG_SG_EEES9_SI_JZNS1_25segmented_radix_sort_implINS0_14default_configELb0EPK6__halfPSP_PKlPlN2at6native12_GLOBAL__N_18offset_tEEE10hipError_tPvRmT1_PNSt15iterator_traitsIS13_E10value_typeET2_T3_PNS14_IS19_E10value_typeET4_jRbjT5_S1F_jjP12ihipStream_tbEUljE_ZNSN_ISO_Lb0ESR_SS_SU_SV_SZ_EES10_S11_S12_S13_S17_S18_S19_S1C_S1D_jS1E_jS1F_S1F_jjS1H_bEUljE0_EEES10_S11_S12_S19_S1D_S1F_T6_T7_T9_mT8_S1H_bDpT10_ENKUlT_T0_E_clISt17integral_constantIbLb1EES1V_EEDaS1Q_S1R_EUlS1Q_E_NS1_11comp_targetILNS1_3genE3ELNS1_11target_archE908ELNS1_3gpuE7ELNS1_3repE0EEENS1_30default_config_static_selectorELNS0_4arch9wavefront6targetE1EEEvS13_.kd
    .uniform_work_group_size: 1
    .uses_dynamic_stack: false
    .vgpr_count:     0
    .vgpr_spill_count: 0
    .wavefront_size: 64
  - .args:
      - .offset:         0
        .size:           184
        .value_kind:     by_value
    .group_segment_fixed_size: 0
    .kernarg_segment_align: 8
    .kernarg_segment_size: 184
    .language:       OpenCL C
    .language_version:
      - 2
      - 0
    .max_flat_workgroup_size: 256
    .name:           _ZN7rocprim17ROCPRIM_400000_NS6detail17trampoline_kernelINS0_13select_configILj256ELj13ELNS0_17block_load_methodE3ELS4_3ELS4_3ELNS0_20block_scan_algorithmE0ELj4294967295EEENS1_25partition_config_selectorILNS1_17partition_subalgoE4EjNS0_10empty_typeEbEEZZNS1_14partition_implILS8_4ELb0ES6_15HIP_vector_typeIjLj2EENS0_17counting_iteratorIjlEEPS9_SG_NS0_5tupleIJPjSI_NS0_16reverse_iteratorISI_EEEEENSH_IJSG_SG_SG_EEES9_SI_JZNS1_25segmented_radix_sort_implINS0_14default_configELb0EPK6__halfPSP_PKlPlN2at6native12_GLOBAL__N_18offset_tEEE10hipError_tPvRmT1_PNSt15iterator_traitsIS13_E10value_typeET2_T3_PNS14_IS19_E10value_typeET4_jRbjT5_S1F_jjP12ihipStream_tbEUljE_ZNSN_ISO_Lb0ESR_SS_SU_SV_SZ_EES10_S11_S12_S13_S17_S18_S19_S1C_S1D_jS1E_jS1F_S1F_jjS1H_bEUljE0_EEES10_S11_S12_S19_S1D_S1F_T6_T7_T9_mT8_S1H_bDpT10_ENKUlT_T0_E_clISt17integral_constantIbLb1EES1V_EEDaS1Q_S1R_EUlS1Q_E_NS1_11comp_targetILNS1_3genE2ELNS1_11target_archE906ELNS1_3gpuE6ELNS1_3repE0EEENS1_30default_config_static_selectorELNS0_4arch9wavefront6targetE1EEEvS13_
    .private_segment_fixed_size: 0
    .sgpr_count:     4
    .sgpr_spill_count: 0
    .symbol:         _ZN7rocprim17ROCPRIM_400000_NS6detail17trampoline_kernelINS0_13select_configILj256ELj13ELNS0_17block_load_methodE3ELS4_3ELS4_3ELNS0_20block_scan_algorithmE0ELj4294967295EEENS1_25partition_config_selectorILNS1_17partition_subalgoE4EjNS0_10empty_typeEbEEZZNS1_14partition_implILS8_4ELb0ES6_15HIP_vector_typeIjLj2EENS0_17counting_iteratorIjlEEPS9_SG_NS0_5tupleIJPjSI_NS0_16reverse_iteratorISI_EEEEENSH_IJSG_SG_SG_EEES9_SI_JZNS1_25segmented_radix_sort_implINS0_14default_configELb0EPK6__halfPSP_PKlPlN2at6native12_GLOBAL__N_18offset_tEEE10hipError_tPvRmT1_PNSt15iterator_traitsIS13_E10value_typeET2_T3_PNS14_IS19_E10value_typeET4_jRbjT5_S1F_jjP12ihipStream_tbEUljE_ZNSN_ISO_Lb0ESR_SS_SU_SV_SZ_EES10_S11_S12_S13_S17_S18_S19_S1C_S1D_jS1E_jS1F_S1F_jjS1H_bEUljE0_EEES10_S11_S12_S19_S1D_S1F_T6_T7_T9_mT8_S1H_bDpT10_ENKUlT_T0_E_clISt17integral_constantIbLb1EES1V_EEDaS1Q_S1R_EUlS1Q_E_NS1_11comp_targetILNS1_3genE2ELNS1_11target_archE906ELNS1_3gpuE6ELNS1_3repE0EEENS1_30default_config_static_selectorELNS0_4arch9wavefront6targetE1EEEvS13_.kd
    .uniform_work_group_size: 1
    .uses_dynamic_stack: false
    .vgpr_count:     0
    .vgpr_spill_count: 0
    .wavefront_size: 64
  - .args:
      - .offset:         0
        .size:           184
        .value_kind:     by_value
    .group_segment_fixed_size: 0
    .kernarg_segment_align: 8
    .kernarg_segment_size: 184
    .language:       OpenCL C
    .language_version:
      - 2
      - 0
    .max_flat_workgroup_size: 256
    .name:           _ZN7rocprim17ROCPRIM_400000_NS6detail17trampoline_kernelINS0_13select_configILj256ELj13ELNS0_17block_load_methodE3ELS4_3ELS4_3ELNS0_20block_scan_algorithmE0ELj4294967295EEENS1_25partition_config_selectorILNS1_17partition_subalgoE4EjNS0_10empty_typeEbEEZZNS1_14partition_implILS8_4ELb0ES6_15HIP_vector_typeIjLj2EENS0_17counting_iteratorIjlEEPS9_SG_NS0_5tupleIJPjSI_NS0_16reverse_iteratorISI_EEEEENSH_IJSG_SG_SG_EEES9_SI_JZNS1_25segmented_radix_sort_implINS0_14default_configELb0EPK6__halfPSP_PKlPlN2at6native12_GLOBAL__N_18offset_tEEE10hipError_tPvRmT1_PNSt15iterator_traitsIS13_E10value_typeET2_T3_PNS14_IS19_E10value_typeET4_jRbjT5_S1F_jjP12ihipStream_tbEUljE_ZNSN_ISO_Lb0ESR_SS_SU_SV_SZ_EES10_S11_S12_S13_S17_S18_S19_S1C_S1D_jS1E_jS1F_S1F_jjS1H_bEUljE0_EEES10_S11_S12_S19_S1D_S1F_T6_T7_T9_mT8_S1H_bDpT10_ENKUlT_T0_E_clISt17integral_constantIbLb1EES1V_EEDaS1Q_S1R_EUlS1Q_E_NS1_11comp_targetILNS1_3genE10ELNS1_11target_archE1200ELNS1_3gpuE4ELNS1_3repE0EEENS1_30default_config_static_selectorELNS0_4arch9wavefront6targetE1EEEvS13_
    .private_segment_fixed_size: 0
    .sgpr_count:     4
    .sgpr_spill_count: 0
    .symbol:         _ZN7rocprim17ROCPRIM_400000_NS6detail17trampoline_kernelINS0_13select_configILj256ELj13ELNS0_17block_load_methodE3ELS4_3ELS4_3ELNS0_20block_scan_algorithmE0ELj4294967295EEENS1_25partition_config_selectorILNS1_17partition_subalgoE4EjNS0_10empty_typeEbEEZZNS1_14partition_implILS8_4ELb0ES6_15HIP_vector_typeIjLj2EENS0_17counting_iteratorIjlEEPS9_SG_NS0_5tupleIJPjSI_NS0_16reverse_iteratorISI_EEEEENSH_IJSG_SG_SG_EEES9_SI_JZNS1_25segmented_radix_sort_implINS0_14default_configELb0EPK6__halfPSP_PKlPlN2at6native12_GLOBAL__N_18offset_tEEE10hipError_tPvRmT1_PNSt15iterator_traitsIS13_E10value_typeET2_T3_PNS14_IS19_E10value_typeET4_jRbjT5_S1F_jjP12ihipStream_tbEUljE_ZNSN_ISO_Lb0ESR_SS_SU_SV_SZ_EES10_S11_S12_S13_S17_S18_S19_S1C_S1D_jS1E_jS1F_S1F_jjS1H_bEUljE0_EEES10_S11_S12_S19_S1D_S1F_T6_T7_T9_mT8_S1H_bDpT10_ENKUlT_T0_E_clISt17integral_constantIbLb1EES1V_EEDaS1Q_S1R_EUlS1Q_E_NS1_11comp_targetILNS1_3genE10ELNS1_11target_archE1200ELNS1_3gpuE4ELNS1_3repE0EEENS1_30default_config_static_selectorELNS0_4arch9wavefront6targetE1EEEvS13_.kd
    .uniform_work_group_size: 1
    .uses_dynamic_stack: false
    .vgpr_count:     0
    .vgpr_spill_count: 0
    .wavefront_size: 64
  - .args:
      - .offset:         0
        .size:           184
        .value_kind:     by_value
    .group_segment_fixed_size: 0
    .kernarg_segment_align: 8
    .kernarg_segment_size: 184
    .language:       OpenCL C
    .language_version:
      - 2
      - 0
    .max_flat_workgroup_size: 256
    .name:           _ZN7rocprim17ROCPRIM_400000_NS6detail17trampoline_kernelINS0_13select_configILj256ELj13ELNS0_17block_load_methodE3ELS4_3ELS4_3ELNS0_20block_scan_algorithmE0ELj4294967295EEENS1_25partition_config_selectorILNS1_17partition_subalgoE4EjNS0_10empty_typeEbEEZZNS1_14partition_implILS8_4ELb0ES6_15HIP_vector_typeIjLj2EENS0_17counting_iteratorIjlEEPS9_SG_NS0_5tupleIJPjSI_NS0_16reverse_iteratorISI_EEEEENSH_IJSG_SG_SG_EEES9_SI_JZNS1_25segmented_radix_sort_implINS0_14default_configELb0EPK6__halfPSP_PKlPlN2at6native12_GLOBAL__N_18offset_tEEE10hipError_tPvRmT1_PNSt15iterator_traitsIS13_E10value_typeET2_T3_PNS14_IS19_E10value_typeET4_jRbjT5_S1F_jjP12ihipStream_tbEUljE_ZNSN_ISO_Lb0ESR_SS_SU_SV_SZ_EES10_S11_S12_S13_S17_S18_S19_S1C_S1D_jS1E_jS1F_S1F_jjS1H_bEUljE0_EEES10_S11_S12_S19_S1D_S1F_T6_T7_T9_mT8_S1H_bDpT10_ENKUlT_T0_E_clISt17integral_constantIbLb1EES1V_EEDaS1Q_S1R_EUlS1Q_E_NS1_11comp_targetILNS1_3genE9ELNS1_11target_archE1100ELNS1_3gpuE3ELNS1_3repE0EEENS1_30default_config_static_selectorELNS0_4arch9wavefront6targetE1EEEvS13_
    .private_segment_fixed_size: 0
    .sgpr_count:     4
    .sgpr_spill_count: 0
    .symbol:         _ZN7rocprim17ROCPRIM_400000_NS6detail17trampoline_kernelINS0_13select_configILj256ELj13ELNS0_17block_load_methodE3ELS4_3ELS4_3ELNS0_20block_scan_algorithmE0ELj4294967295EEENS1_25partition_config_selectorILNS1_17partition_subalgoE4EjNS0_10empty_typeEbEEZZNS1_14partition_implILS8_4ELb0ES6_15HIP_vector_typeIjLj2EENS0_17counting_iteratorIjlEEPS9_SG_NS0_5tupleIJPjSI_NS0_16reverse_iteratorISI_EEEEENSH_IJSG_SG_SG_EEES9_SI_JZNS1_25segmented_radix_sort_implINS0_14default_configELb0EPK6__halfPSP_PKlPlN2at6native12_GLOBAL__N_18offset_tEEE10hipError_tPvRmT1_PNSt15iterator_traitsIS13_E10value_typeET2_T3_PNS14_IS19_E10value_typeET4_jRbjT5_S1F_jjP12ihipStream_tbEUljE_ZNSN_ISO_Lb0ESR_SS_SU_SV_SZ_EES10_S11_S12_S13_S17_S18_S19_S1C_S1D_jS1E_jS1F_S1F_jjS1H_bEUljE0_EEES10_S11_S12_S19_S1D_S1F_T6_T7_T9_mT8_S1H_bDpT10_ENKUlT_T0_E_clISt17integral_constantIbLb1EES1V_EEDaS1Q_S1R_EUlS1Q_E_NS1_11comp_targetILNS1_3genE9ELNS1_11target_archE1100ELNS1_3gpuE3ELNS1_3repE0EEENS1_30default_config_static_selectorELNS0_4arch9wavefront6targetE1EEEvS13_.kd
    .uniform_work_group_size: 1
    .uses_dynamic_stack: false
    .vgpr_count:     0
    .vgpr_spill_count: 0
    .wavefront_size: 64
  - .args:
      - .offset:         0
        .size:           184
        .value_kind:     by_value
    .group_segment_fixed_size: 0
    .kernarg_segment_align: 8
    .kernarg_segment_size: 184
    .language:       OpenCL C
    .language_version:
      - 2
      - 0
    .max_flat_workgroup_size: 256
    .name:           _ZN7rocprim17ROCPRIM_400000_NS6detail17trampoline_kernelINS0_13select_configILj256ELj13ELNS0_17block_load_methodE3ELS4_3ELS4_3ELNS0_20block_scan_algorithmE0ELj4294967295EEENS1_25partition_config_selectorILNS1_17partition_subalgoE4EjNS0_10empty_typeEbEEZZNS1_14partition_implILS8_4ELb0ES6_15HIP_vector_typeIjLj2EENS0_17counting_iteratorIjlEEPS9_SG_NS0_5tupleIJPjSI_NS0_16reverse_iteratorISI_EEEEENSH_IJSG_SG_SG_EEES9_SI_JZNS1_25segmented_radix_sort_implINS0_14default_configELb0EPK6__halfPSP_PKlPlN2at6native12_GLOBAL__N_18offset_tEEE10hipError_tPvRmT1_PNSt15iterator_traitsIS13_E10value_typeET2_T3_PNS14_IS19_E10value_typeET4_jRbjT5_S1F_jjP12ihipStream_tbEUljE_ZNSN_ISO_Lb0ESR_SS_SU_SV_SZ_EES10_S11_S12_S13_S17_S18_S19_S1C_S1D_jS1E_jS1F_S1F_jjS1H_bEUljE0_EEES10_S11_S12_S19_S1D_S1F_T6_T7_T9_mT8_S1H_bDpT10_ENKUlT_T0_E_clISt17integral_constantIbLb1EES1V_EEDaS1Q_S1R_EUlS1Q_E_NS1_11comp_targetILNS1_3genE8ELNS1_11target_archE1030ELNS1_3gpuE2ELNS1_3repE0EEENS1_30default_config_static_selectorELNS0_4arch9wavefront6targetE1EEEvS13_
    .private_segment_fixed_size: 0
    .sgpr_count:     4
    .sgpr_spill_count: 0
    .symbol:         _ZN7rocprim17ROCPRIM_400000_NS6detail17trampoline_kernelINS0_13select_configILj256ELj13ELNS0_17block_load_methodE3ELS4_3ELS4_3ELNS0_20block_scan_algorithmE0ELj4294967295EEENS1_25partition_config_selectorILNS1_17partition_subalgoE4EjNS0_10empty_typeEbEEZZNS1_14partition_implILS8_4ELb0ES6_15HIP_vector_typeIjLj2EENS0_17counting_iteratorIjlEEPS9_SG_NS0_5tupleIJPjSI_NS0_16reverse_iteratorISI_EEEEENSH_IJSG_SG_SG_EEES9_SI_JZNS1_25segmented_radix_sort_implINS0_14default_configELb0EPK6__halfPSP_PKlPlN2at6native12_GLOBAL__N_18offset_tEEE10hipError_tPvRmT1_PNSt15iterator_traitsIS13_E10value_typeET2_T3_PNS14_IS19_E10value_typeET4_jRbjT5_S1F_jjP12ihipStream_tbEUljE_ZNSN_ISO_Lb0ESR_SS_SU_SV_SZ_EES10_S11_S12_S13_S17_S18_S19_S1C_S1D_jS1E_jS1F_S1F_jjS1H_bEUljE0_EEES10_S11_S12_S19_S1D_S1F_T6_T7_T9_mT8_S1H_bDpT10_ENKUlT_T0_E_clISt17integral_constantIbLb1EES1V_EEDaS1Q_S1R_EUlS1Q_E_NS1_11comp_targetILNS1_3genE8ELNS1_11target_archE1030ELNS1_3gpuE2ELNS1_3repE0EEENS1_30default_config_static_selectorELNS0_4arch9wavefront6targetE1EEEvS13_.kd
    .uniform_work_group_size: 1
    .uses_dynamic_stack: false
    .vgpr_count:     0
    .vgpr_spill_count: 0
    .wavefront_size: 64
  - .args:
      - .offset:         0
        .size:           176
        .value_kind:     by_value
    .group_segment_fixed_size: 0
    .kernarg_segment_align: 8
    .kernarg_segment_size: 176
    .language:       OpenCL C
    .language_version:
      - 2
      - 0
    .max_flat_workgroup_size: 256
    .name:           _ZN7rocprim17ROCPRIM_400000_NS6detail17trampoline_kernelINS0_13select_configILj256ELj13ELNS0_17block_load_methodE3ELS4_3ELS4_3ELNS0_20block_scan_algorithmE0ELj4294967295EEENS1_25partition_config_selectorILNS1_17partition_subalgoE4EjNS0_10empty_typeEbEEZZNS1_14partition_implILS8_4ELb0ES6_15HIP_vector_typeIjLj2EENS0_17counting_iteratorIjlEEPS9_SG_NS0_5tupleIJPjSI_NS0_16reverse_iteratorISI_EEEEENSH_IJSG_SG_SG_EEES9_SI_JZNS1_25segmented_radix_sort_implINS0_14default_configELb0EPK6__halfPSP_PKlPlN2at6native12_GLOBAL__N_18offset_tEEE10hipError_tPvRmT1_PNSt15iterator_traitsIS13_E10value_typeET2_T3_PNS14_IS19_E10value_typeET4_jRbjT5_S1F_jjP12ihipStream_tbEUljE_ZNSN_ISO_Lb0ESR_SS_SU_SV_SZ_EES10_S11_S12_S13_S17_S18_S19_S1C_S1D_jS1E_jS1F_S1F_jjS1H_bEUljE0_EEES10_S11_S12_S19_S1D_S1F_T6_T7_T9_mT8_S1H_bDpT10_ENKUlT_T0_E_clISt17integral_constantIbLb1EES1U_IbLb0EEEEDaS1Q_S1R_EUlS1Q_E_NS1_11comp_targetILNS1_3genE0ELNS1_11target_archE4294967295ELNS1_3gpuE0ELNS1_3repE0EEENS1_30default_config_static_selectorELNS0_4arch9wavefront6targetE1EEEvS13_
    .private_segment_fixed_size: 0
    .sgpr_count:     4
    .sgpr_spill_count: 0
    .symbol:         _ZN7rocprim17ROCPRIM_400000_NS6detail17trampoline_kernelINS0_13select_configILj256ELj13ELNS0_17block_load_methodE3ELS4_3ELS4_3ELNS0_20block_scan_algorithmE0ELj4294967295EEENS1_25partition_config_selectorILNS1_17partition_subalgoE4EjNS0_10empty_typeEbEEZZNS1_14partition_implILS8_4ELb0ES6_15HIP_vector_typeIjLj2EENS0_17counting_iteratorIjlEEPS9_SG_NS0_5tupleIJPjSI_NS0_16reverse_iteratorISI_EEEEENSH_IJSG_SG_SG_EEES9_SI_JZNS1_25segmented_radix_sort_implINS0_14default_configELb0EPK6__halfPSP_PKlPlN2at6native12_GLOBAL__N_18offset_tEEE10hipError_tPvRmT1_PNSt15iterator_traitsIS13_E10value_typeET2_T3_PNS14_IS19_E10value_typeET4_jRbjT5_S1F_jjP12ihipStream_tbEUljE_ZNSN_ISO_Lb0ESR_SS_SU_SV_SZ_EES10_S11_S12_S13_S17_S18_S19_S1C_S1D_jS1E_jS1F_S1F_jjS1H_bEUljE0_EEES10_S11_S12_S19_S1D_S1F_T6_T7_T9_mT8_S1H_bDpT10_ENKUlT_T0_E_clISt17integral_constantIbLb1EES1U_IbLb0EEEEDaS1Q_S1R_EUlS1Q_E_NS1_11comp_targetILNS1_3genE0ELNS1_11target_archE4294967295ELNS1_3gpuE0ELNS1_3repE0EEENS1_30default_config_static_selectorELNS0_4arch9wavefront6targetE1EEEvS13_.kd
    .uniform_work_group_size: 1
    .uses_dynamic_stack: false
    .vgpr_count:     0
    .vgpr_spill_count: 0
    .wavefront_size: 64
  - .args:
      - .offset:         0
        .size:           176
        .value_kind:     by_value
    .group_segment_fixed_size: 0
    .kernarg_segment_align: 8
    .kernarg_segment_size: 176
    .language:       OpenCL C
    .language_version:
      - 2
      - 0
    .max_flat_workgroup_size: 256
    .name:           _ZN7rocprim17ROCPRIM_400000_NS6detail17trampoline_kernelINS0_13select_configILj256ELj13ELNS0_17block_load_methodE3ELS4_3ELS4_3ELNS0_20block_scan_algorithmE0ELj4294967295EEENS1_25partition_config_selectorILNS1_17partition_subalgoE4EjNS0_10empty_typeEbEEZZNS1_14partition_implILS8_4ELb0ES6_15HIP_vector_typeIjLj2EENS0_17counting_iteratorIjlEEPS9_SG_NS0_5tupleIJPjSI_NS0_16reverse_iteratorISI_EEEEENSH_IJSG_SG_SG_EEES9_SI_JZNS1_25segmented_radix_sort_implINS0_14default_configELb0EPK6__halfPSP_PKlPlN2at6native12_GLOBAL__N_18offset_tEEE10hipError_tPvRmT1_PNSt15iterator_traitsIS13_E10value_typeET2_T3_PNS14_IS19_E10value_typeET4_jRbjT5_S1F_jjP12ihipStream_tbEUljE_ZNSN_ISO_Lb0ESR_SS_SU_SV_SZ_EES10_S11_S12_S13_S17_S18_S19_S1C_S1D_jS1E_jS1F_S1F_jjS1H_bEUljE0_EEES10_S11_S12_S19_S1D_S1F_T6_T7_T9_mT8_S1H_bDpT10_ENKUlT_T0_E_clISt17integral_constantIbLb1EES1U_IbLb0EEEEDaS1Q_S1R_EUlS1Q_E_NS1_11comp_targetILNS1_3genE5ELNS1_11target_archE942ELNS1_3gpuE9ELNS1_3repE0EEENS1_30default_config_static_selectorELNS0_4arch9wavefront6targetE1EEEvS13_
    .private_segment_fixed_size: 0
    .sgpr_count:     4
    .sgpr_spill_count: 0
    .symbol:         _ZN7rocprim17ROCPRIM_400000_NS6detail17trampoline_kernelINS0_13select_configILj256ELj13ELNS0_17block_load_methodE3ELS4_3ELS4_3ELNS0_20block_scan_algorithmE0ELj4294967295EEENS1_25partition_config_selectorILNS1_17partition_subalgoE4EjNS0_10empty_typeEbEEZZNS1_14partition_implILS8_4ELb0ES6_15HIP_vector_typeIjLj2EENS0_17counting_iteratorIjlEEPS9_SG_NS0_5tupleIJPjSI_NS0_16reverse_iteratorISI_EEEEENSH_IJSG_SG_SG_EEES9_SI_JZNS1_25segmented_radix_sort_implINS0_14default_configELb0EPK6__halfPSP_PKlPlN2at6native12_GLOBAL__N_18offset_tEEE10hipError_tPvRmT1_PNSt15iterator_traitsIS13_E10value_typeET2_T3_PNS14_IS19_E10value_typeET4_jRbjT5_S1F_jjP12ihipStream_tbEUljE_ZNSN_ISO_Lb0ESR_SS_SU_SV_SZ_EES10_S11_S12_S13_S17_S18_S19_S1C_S1D_jS1E_jS1F_S1F_jjS1H_bEUljE0_EEES10_S11_S12_S19_S1D_S1F_T6_T7_T9_mT8_S1H_bDpT10_ENKUlT_T0_E_clISt17integral_constantIbLb1EES1U_IbLb0EEEEDaS1Q_S1R_EUlS1Q_E_NS1_11comp_targetILNS1_3genE5ELNS1_11target_archE942ELNS1_3gpuE9ELNS1_3repE0EEENS1_30default_config_static_selectorELNS0_4arch9wavefront6targetE1EEEvS13_.kd
    .uniform_work_group_size: 1
    .uses_dynamic_stack: false
    .vgpr_count:     0
    .vgpr_spill_count: 0
    .wavefront_size: 64
  - .args:
      - .offset:         0
        .size:           176
        .value_kind:     by_value
    .group_segment_fixed_size: 0
    .kernarg_segment_align: 8
    .kernarg_segment_size: 176
    .language:       OpenCL C
    .language_version:
      - 2
      - 0
    .max_flat_workgroup_size: 256
    .name:           _ZN7rocprim17ROCPRIM_400000_NS6detail17trampoline_kernelINS0_13select_configILj256ELj13ELNS0_17block_load_methodE3ELS4_3ELS4_3ELNS0_20block_scan_algorithmE0ELj4294967295EEENS1_25partition_config_selectorILNS1_17partition_subalgoE4EjNS0_10empty_typeEbEEZZNS1_14partition_implILS8_4ELb0ES6_15HIP_vector_typeIjLj2EENS0_17counting_iteratorIjlEEPS9_SG_NS0_5tupleIJPjSI_NS0_16reverse_iteratorISI_EEEEENSH_IJSG_SG_SG_EEES9_SI_JZNS1_25segmented_radix_sort_implINS0_14default_configELb0EPK6__halfPSP_PKlPlN2at6native12_GLOBAL__N_18offset_tEEE10hipError_tPvRmT1_PNSt15iterator_traitsIS13_E10value_typeET2_T3_PNS14_IS19_E10value_typeET4_jRbjT5_S1F_jjP12ihipStream_tbEUljE_ZNSN_ISO_Lb0ESR_SS_SU_SV_SZ_EES10_S11_S12_S13_S17_S18_S19_S1C_S1D_jS1E_jS1F_S1F_jjS1H_bEUljE0_EEES10_S11_S12_S19_S1D_S1F_T6_T7_T9_mT8_S1H_bDpT10_ENKUlT_T0_E_clISt17integral_constantIbLb1EES1U_IbLb0EEEEDaS1Q_S1R_EUlS1Q_E_NS1_11comp_targetILNS1_3genE4ELNS1_11target_archE910ELNS1_3gpuE8ELNS1_3repE0EEENS1_30default_config_static_selectorELNS0_4arch9wavefront6targetE1EEEvS13_
    .private_segment_fixed_size: 0
    .sgpr_count:     4
    .sgpr_spill_count: 0
    .symbol:         _ZN7rocprim17ROCPRIM_400000_NS6detail17trampoline_kernelINS0_13select_configILj256ELj13ELNS0_17block_load_methodE3ELS4_3ELS4_3ELNS0_20block_scan_algorithmE0ELj4294967295EEENS1_25partition_config_selectorILNS1_17partition_subalgoE4EjNS0_10empty_typeEbEEZZNS1_14partition_implILS8_4ELb0ES6_15HIP_vector_typeIjLj2EENS0_17counting_iteratorIjlEEPS9_SG_NS0_5tupleIJPjSI_NS0_16reverse_iteratorISI_EEEEENSH_IJSG_SG_SG_EEES9_SI_JZNS1_25segmented_radix_sort_implINS0_14default_configELb0EPK6__halfPSP_PKlPlN2at6native12_GLOBAL__N_18offset_tEEE10hipError_tPvRmT1_PNSt15iterator_traitsIS13_E10value_typeET2_T3_PNS14_IS19_E10value_typeET4_jRbjT5_S1F_jjP12ihipStream_tbEUljE_ZNSN_ISO_Lb0ESR_SS_SU_SV_SZ_EES10_S11_S12_S13_S17_S18_S19_S1C_S1D_jS1E_jS1F_S1F_jjS1H_bEUljE0_EEES10_S11_S12_S19_S1D_S1F_T6_T7_T9_mT8_S1H_bDpT10_ENKUlT_T0_E_clISt17integral_constantIbLb1EES1U_IbLb0EEEEDaS1Q_S1R_EUlS1Q_E_NS1_11comp_targetILNS1_3genE4ELNS1_11target_archE910ELNS1_3gpuE8ELNS1_3repE0EEENS1_30default_config_static_selectorELNS0_4arch9wavefront6targetE1EEEvS13_.kd
    .uniform_work_group_size: 1
    .uses_dynamic_stack: false
    .vgpr_count:     0
    .vgpr_spill_count: 0
    .wavefront_size: 64
  - .args:
      - .offset:         0
        .size:           176
        .value_kind:     by_value
    .group_segment_fixed_size: 0
    .kernarg_segment_align: 8
    .kernarg_segment_size: 176
    .language:       OpenCL C
    .language_version:
      - 2
      - 0
    .max_flat_workgroup_size: 256
    .name:           _ZN7rocprim17ROCPRIM_400000_NS6detail17trampoline_kernelINS0_13select_configILj256ELj13ELNS0_17block_load_methodE3ELS4_3ELS4_3ELNS0_20block_scan_algorithmE0ELj4294967295EEENS1_25partition_config_selectorILNS1_17partition_subalgoE4EjNS0_10empty_typeEbEEZZNS1_14partition_implILS8_4ELb0ES6_15HIP_vector_typeIjLj2EENS0_17counting_iteratorIjlEEPS9_SG_NS0_5tupleIJPjSI_NS0_16reverse_iteratorISI_EEEEENSH_IJSG_SG_SG_EEES9_SI_JZNS1_25segmented_radix_sort_implINS0_14default_configELb0EPK6__halfPSP_PKlPlN2at6native12_GLOBAL__N_18offset_tEEE10hipError_tPvRmT1_PNSt15iterator_traitsIS13_E10value_typeET2_T3_PNS14_IS19_E10value_typeET4_jRbjT5_S1F_jjP12ihipStream_tbEUljE_ZNSN_ISO_Lb0ESR_SS_SU_SV_SZ_EES10_S11_S12_S13_S17_S18_S19_S1C_S1D_jS1E_jS1F_S1F_jjS1H_bEUljE0_EEES10_S11_S12_S19_S1D_S1F_T6_T7_T9_mT8_S1H_bDpT10_ENKUlT_T0_E_clISt17integral_constantIbLb1EES1U_IbLb0EEEEDaS1Q_S1R_EUlS1Q_E_NS1_11comp_targetILNS1_3genE3ELNS1_11target_archE908ELNS1_3gpuE7ELNS1_3repE0EEENS1_30default_config_static_selectorELNS0_4arch9wavefront6targetE1EEEvS13_
    .private_segment_fixed_size: 0
    .sgpr_count:     4
    .sgpr_spill_count: 0
    .symbol:         _ZN7rocprim17ROCPRIM_400000_NS6detail17trampoline_kernelINS0_13select_configILj256ELj13ELNS0_17block_load_methodE3ELS4_3ELS4_3ELNS0_20block_scan_algorithmE0ELj4294967295EEENS1_25partition_config_selectorILNS1_17partition_subalgoE4EjNS0_10empty_typeEbEEZZNS1_14partition_implILS8_4ELb0ES6_15HIP_vector_typeIjLj2EENS0_17counting_iteratorIjlEEPS9_SG_NS0_5tupleIJPjSI_NS0_16reverse_iteratorISI_EEEEENSH_IJSG_SG_SG_EEES9_SI_JZNS1_25segmented_radix_sort_implINS0_14default_configELb0EPK6__halfPSP_PKlPlN2at6native12_GLOBAL__N_18offset_tEEE10hipError_tPvRmT1_PNSt15iterator_traitsIS13_E10value_typeET2_T3_PNS14_IS19_E10value_typeET4_jRbjT5_S1F_jjP12ihipStream_tbEUljE_ZNSN_ISO_Lb0ESR_SS_SU_SV_SZ_EES10_S11_S12_S13_S17_S18_S19_S1C_S1D_jS1E_jS1F_S1F_jjS1H_bEUljE0_EEES10_S11_S12_S19_S1D_S1F_T6_T7_T9_mT8_S1H_bDpT10_ENKUlT_T0_E_clISt17integral_constantIbLb1EES1U_IbLb0EEEEDaS1Q_S1R_EUlS1Q_E_NS1_11comp_targetILNS1_3genE3ELNS1_11target_archE908ELNS1_3gpuE7ELNS1_3repE0EEENS1_30default_config_static_selectorELNS0_4arch9wavefront6targetE1EEEvS13_.kd
    .uniform_work_group_size: 1
    .uses_dynamic_stack: false
    .vgpr_count:     0
    .vgpr_spill_count: 0
    .wavefront_size: 64
  - .args:
      - .offset:         0
        .size:           176
        .value_kind:     by_value
    .group_segment_fixed_size: 0
    .kernarg_segment_align: 8
    .kernarg_segment_size: 176
    .language:       OpenCL C
    .language_version:
      - 2
      - 0
    .max_flat_workgroup_size: 256
    .name:           _ZN7rocprim17ROCPRIM_400000_NS6detail17trampoline_kernelINS0_13select_configILj256ELj13ELNS0_17block_load_methodE3ELS4_3ELS4_3ELNS0_20block_scan_algorithmE0ELj4294967295EEENS1_25partition_config_selectorILNS1_17partition_subalgoE4EjNS0_10empty_typeEbEEZZNS1_14partition_implILS8_4ELb0ES6_15HIP_vector_typeIjLj2EENS0_17counting_iteratorIjlEEPS9_SG_NS0_5tupleIJPjSI_NS0_16reverse_iteratorISI_EEEEENSH_IJSG_SG_SG_EEES9_SI_JZNS1_25segmented_radix_sort_implINS0_14default_configELb0EPK6__halfPSP_PKlPlN2at6native12_GLOBAL__N_18offset_tEEE10hipError_tPvRmT1_PNSt15iterator_traitsIS13_E10value_typeET2_T3_PNS14_IS19_E10value_typeET4_jRbjT5_S1F_jjP12ihipStream_tbEUljE_ZNSN_ISO_Lb0ESR_SS_SU_SV_SZ_EES10_S11_S12_S13_S17_S18_S19_S1C_S1D_jS1E_jS1F_S1F_jjS1H_bEUljE0_EEES10_S11_S12_S19_S1D_S1F_T6_T7_T9_mT8_S1H_bDpT10_ENKUlT_T0_E_clISt17integral_constantIbLb1EES1U_IbLb0EEEEDaS1Q_S1R_EUlS1Q_E_NS1_11comp_targetILNS1_3genE2ELNS1_11target_archE906ELNS1_3gpuE6ELNS1_3repE0EEENS1_30default_config_static_selectorELNS0_4arch9wavefront6targetE1EEEvS13_
    .private_segment_fixed_size: 0
    .sgpr_count:     4
    .sgpr_spill_count: 0
    .symbol:         _ZN7rocprim17ROCPRIM_400000_NS6detail17trampoline_kernelINS0_13select_configILj256ELj13ELNS0_17block_load_methodE3ELS4_3ELS4_3ELNS0_20block_scan_algorithmE0ELj4294967295EEENS1_25partition_config_selectorILNS1_17partition_subalgoE4EjNS0_10empty_typeEbEEZZNS1_14partition_implILS8_4ELb0ES6_15HIP_vector_typeIjLj2EENS0_17counting_iteratorIjlEEPS9_SG_NS0_5tupleIJPjSI_NS0_16reverse_iteratorISI_EEEEENSH_IJSG_SG_SG_EEES9_SI_JZNS1_25segmented_radix_sort_implINS0_14default_configELb0EPK6__halfPSP_PKlPlN2at6native12_GLOBAL__N_18offset_tEEE10hipError_tPvRmT1_PNSt15iterator_traitsIS13_E10value_typeET2_T3_PNS14_IS19_E10value_typeET4_jRbjT5_S1F_jjP12ihipStream_tbEUljE_ZNSN_ISO_Lb0ESR_SS_SU_SV_SZ_EES10_S11_S12_S13_S17_S18_S19_S1C_S1D_jS1E_jS1F_S1F_jjS1H_bEUljE0_EEES10_S11_S12_S19_S1D_S1F_T6_T7_T9_mT8_S1H_bDpT10_ENKUlT_T0_E_clISt17integral_constantIbLb1EES1U_IbLb0EEEEDaS1Q_S1R_EUlS1Q_E_NS1_11comp_targetILNS1_3genE2ELNS1_11target_archE906ELNS1_3gpuE6ELNS1_3repE0EEENS1_30default_config_static_selectorELNS0_4arch9wavefront6targetE1EEEvS13_.kd
    .uniform_work_group_size: 1
    .uses_dynamic_stack: false
    .vgpr_count:     0
    .vgpr_spill_count: 0
    .wavefront_size: 64
  - .args:
      - .offset:         0
        .size:           176
        .value_kind:     by_value
    .group_segment_fixed_size: 0
    .kernarg_segment_align: 8
    .kernarg_segment_size: 176
    .language:       OpenCL C
    .language_version:
      - 2
      - 0
    .max_flat_workgroup_size: 256
    .name:           _ZN7rocprim17ROCPRIM_400000_NS6detail17trampoline_kernelINS0_13select_configILj256ELj13ELNS0_17block_load_methodE3ELS4_3ELS4_3ELNS0_20block_scan_algorithmE0ELj4294967295EEENS1_25partition_config_selectorILNS1_17partition_subalgoE4EjNS0_10empty_typeEbEEZZNS1_14partition_implILS8_4ELb0ES6_15HIP_vector_typeIjLj2EENS0_17counting_iteratorIjlEEPS9_SG_NS0_5tupleIJPjSI_NS0_16reverse_iteratorISI_EEEEENSH_IJSG_SG_SG_EEES9_SI_JZNS1_25segmented_radix_sort_implINS0_14default_configELb0EPK6__halfPSP_PKlPlN2at6native12_GLOBAL__N_18offset_tEEE10hipError_tPvRmT1_PNSt15iterator_traitsIS13_E10value_typeET2_T3_PNS14_IS19_E10value_typeET4_jRbjT5_S1F_jjP12ihipStream_tbEUljE_ZNSN_ISO_Lb0ESR_SS_SU_SV_SZ_EES10_S11_S12_S13_S17_S18_S19_S1C_S1D_jS1E_jS1F_S1F_jjS1H_bEUljE0_EEES10_S11_S12_S19_S1D_S1F_T6_T7_T9_mT8_S1H_bDpT10_ENKUlT_T0_E_clISt17integral_constantIbLb1EES1U_IbLb0EEEEDaS1Q_S1R_EUlS1Q_E_NS1_11comp_targetILNS1_3genE10ELNS1_11target_archE1200ELNS1_3gpuE4ELNS1_3repE0EEENS1_30default_config_static_selectorELNS0_4arch9wavefront6targetE1EEEvS13_
    .private_segment_fixed_size: 0
    .sgpr_count:     4
    .sgpr_spill_count: 0
    .symbol:         _ZN7rocprim17ROCPRIM_400000_NS6detail17trampoline_kernelINS0_13select_configILj256ELj13ELNS0_17block_load_methodE3ELS4_3ELS4_3ELNS0_20block_scan_algorithmE0ELj4294967295EEENS1_25partition_config_selectorILNS1_17partition_subalgoE4EjNS0_10empty_typeEbEEZZNS1_14partition_implILS8_4ELb0ES6_15HIP_vector_typeIjLj2EENS0_17counting_iteratorIjlEEPS9_SG_NS0_5tupleIJPjSI_NS0_16reverse_iteratorISI_EEEEENSH_IJSG_SG_SG_EEES9_SI_JZNS1_25segmented_radix_sort_implINS0_14default_configELb0EPK6__halfPSP_PKlPlN2at6native12_GLOBAL__N_18offset_tEEE10hipError_tPvRmT1_PNSt15iterator_traitsIS13_E10value_typeET2_T3_PNS14_IS19_E10value_typeET4_jRbjT5_S1F_jjP12ihipStream_tbEUljE_ZNSN_ISO_Lb0ESR_SS_SU_SV_SZ_EES10_S11_S12_S13_S17_S18_S19_S1C_S1D_jS1E_jS1F_S1F_jjS1H_bEUljE0_EEES10_S11_S12_S19_S1D_S1F_T6_T7_T9_mT8_S1H_bDpT10_ENKUlT_T0_E_clISt17integral_constantIbLb1EES1U_IbLb0EEEEDaS1Q_S1R_EUlS1Q_E_NS1_11comp_targetILNS1_3genE10ELNS1_11target_archE1200ELNS1_3gpuE4ELNS1_3repE0EEENS1_30default_config_static_selectorELNS0_4arch9wavefront6targetE1EEEvS13_.kd
    .uniform_work_group_size: 1
    .uses_dynamic_stack: false
    .vgpr_count:     0
    .vgpr_spill_count: 0
    .wavefront_size: 64
  - .args:
      - .offset:         0
        .size:           176
        .value_kind:     by_value
    .group_segment_fixed_size: 0
    .kernarg_segment_align: 8
    .kernarg_segment_size: 176
    .language:       OpenCL C
    .language_version:
      - 2
      - 0
    .max_flat_workgroup_size: 256
    .name:           _ZN7rocprim17ROCPRIM_400000_NS6detail17trampoline_kernelINS0_13select_configILj256ELj13ELNS0_17block_load_methodE3ELS4_3ELS4_3ELNS0_20block_scan_algorithmE0ELj4294967295EEENS1_25partition_config_selectorILNS1_17partition_subalgoE4EjNS0_10empty_typeEbEEZZNS1_14partition_implILS8_4ELb0ES6_15HIP_vector_typeIjLj2EENS0_17counting_iteratorIjlEEPS9_SG_NS0_5tupleIJPjSI_NS0_16reverse_iteratorISI_EEEEENSH_IJSG_SG_SG_EEES9_SI_JZNS1_25segmented_radix_sort_implINS0_14default_configELb0EPK6__halfPSP_PKlPlN2at6native12_GLOBAL__N_18offset_tEEE10hipError_tPvRmT1_PNSt15iterator_traitsIS13_E10value_typeET2_T3_PNS14_IS19_E10value_typeET4_jRbjT5_S1F_jjP12ihipStream_tbEUljE_ZNSN_ISO_Lb0ESR_SS_SU_SV_SZ_EES10_S11_S12_S13_S17_S18_S19_S1C_S1D_jS1E_jS1F_S1F_jjS1H_bEUljE0_EEES10_S11_S12_S19_S1D_S1F_T6_T7_T9_mT8_S1H_bDpT10_ENKUlT_T0_E_clISt17integral_constantIbLb1EES1U_IbLb0EEEEDaS1Q_S1R_EUlS1Q_E_NS1_11comp_targetILNS1_3genE9ELNS1_11target_archE1100ELNS1_3gpuE3ELNS1_3repE0EEENS1_30default_config_static_selectorELNS0_4arch9wavefront6targetE1EEEvS13_
    .private_segment_fixed_size: 0
    .sgpr_count:     4
    .sgpr_spill_count: 0
    .symbol:         _ZN7rocprim17ROCPRIM_400000_NS6detail17trampoline_kernelINS0_13select_configILj256ELj13ELNS0_17block_load_methodE3ELS4_3ELS4_3ELNS0_20block_scan_algorithmE0ELj4294967295EEENS1_25partition_config_selectorILNS1_17partition_subalgoE4EjNS0_10empty_typeEbEEZZNS1_14partition_implILS8_4ELb0ES6_15HIP_vector_typeIjLj2EENS0_17counting_iteratorIjlEEPS9_SG_NS0_5tupleIJPjSI_NS0_16reverse_iteratorISI_EEEEENSH_IJSG_SG_SG_EEES9_SI_JZNS1_25segmented_radix_sort_implINS0_14default_configELb0EPK6__halfPSP_PKlPlN2at6native12_GLOBAL__N_18offset_tEEE10hipError_tPvRmT1_PNSt15iterator_traitsIS13_E10value_typeET2_T3_PNS14_IS19_E10value_typeET4_jRbjT5_S1F_jjP12ihipStream_tbEUljE_ZNSN_ISO_Lb0ESR_SS_SU_SV_SZ_EES10_S11_S12_S13_S17_S18_S19_S1C_S1D_jS1E_jS1F_S1F_jjS1H_bEUljE0_EEES10_S11_S12_S19_S1D_S1F_T6_T7_T9_mT8_S1H_bDpT10_ENKUlT_T0_E_clISt17integral_constantIbLb1EES1U_IbLb0EEEEDaS1Q_S1R_EUlS1Q_E_NS1_11comp_targetILNS1_3genE9ELNS1_11target_archE1100ELNS1_3gpuE3ELNS1_3repE0EEENS1_30default_config_static_selectorELNS0_4arch9wavefront6targetE1EEEvS13_.kd
    .uniform_work_group_size: 1
    .uses_dynamic_stack: false
    .vgpr_count:     0
    .vgpr_spill_count: 0
    .wavefront_size: 64
  - .args:
      - .offset:         0
        .size:           176
        .value_kind:     by_value
    .group_segment_fixed_size: 0
    .kernarg_segment_align: 8
    .kernarg_segment_size: 176
    .language:       OpenCL C
    .language_version:
      - 2
      - 0
    .max_flat_workgroup_size: 256
    .name:           _ZN7rocprim17ROCPRIM_400000_NS6detail17trampoline_kernelINS0_13select_configILj256ELj13ELNS0_17block_load_methodE3ELS4_3ELS4_3ELNS0_20block_scan_algorithmE0ELj4294967295EEENS1_25partition_config_selectorILNS1_17partition_subalgoE4EjNS0_10empty_typeEbEEZZNS1_14partition_implILS8_4ELb0ES6_15HIP_vector_typeIjLj2EENS0_17counting_iteratorIjlEEPS9_SG_NS0_5tupleIJPjSI_NS0_16reverse_iteratorISI_EEEEENSH_IJSG_SG_SG_EEES9_SI_JZNS1_25segmented_radix_sort_implINS0_14default_configELb0EPK6__halfPSP_PKlPlN2at6native12_GLOBAL__N_18offset_tEEE10hipError_tPvRmT1_PNSt15iterator_traitsIS13_E10value_typeET2_T3_PNS14_IS19_E10value_typeET4_jRbjT5_S1F_jjP12ihipStream_tbEUljE_ZNSN_ISO_Lb0ESR_SS_SU_SV_SZ_EES10_S11_S12_S13_S17_S18_S19_S1C_S1D_jS1E_jS1F_S1F_jjS1H_bEUljE0_EEES10_S11_S12_S19_S1D_S1F_T6_T7_T9_mT8_S1H_bDpT10_ENKUlT_T0_E_clISt17integral_constantIbLb1EES1U_IbLb0EEEEDaS1Q_S1R_EUlS1Q_E_NS1_11comp_targetILNS1_3genE8ELNS1_11target_archE1030ELNS1_3gpuE2ELNS1_3repE0EEENS1_30default_config_static_selectorELNS0_4arch9wavefront6targetE1EEEvS13_
    .private_segment_fixed_size: 0
    .sgpr_count:     4
    .sgpr_spill_count: 0
    .symbol:         _ZN7rocprim17ROCPRIM_400000_NS6detail17trampoline_kernelINS0_13select_configILj256ELj13ELNS0_17block_load_methodE3ELS4_3ELS4_3ELNS0_20block_scan_algorithmE0ELj4294967295EEENS1_25partition_config_selectorILNS1_17partition_subalgoE4EjNS0_10empty_typeEbEEZZNS1_14partition_implILS8_4ELb0ES6_15HIP_vector_typeIjLj2EENS0_17counting_iteratorIjlEEPS9_SG_NS0_5tupleIJPjSI_NS0_16reverse_iteratorISI_EEEEENSH_IJSG_SG_SG_EEES9_SI_JZNS1_25segmented_radix_sort_implINS0_14default_configELb0EPK6__halfPSP_PKlPlN2at6native12_GLOBAL__N_18offset_tEEE10hipError_tPvRmT1_PNSt15iterator_traitsIS13_E10value_typeET2_T3_PNS14_IS19_E10value_typeET4_jRbjT5_S1F_jjP12ihipStream_tbEUljE_ZNSN_ISO_Lb0ESR_SS_SU_SV_SZ_EES10_S11_S12_S13_S17_S18_S19_S1C_S1D_jS1E_jS1F_S1F_jjS1H_bEUljE0_EEES10_S11_S12_S19_S1D_S1F_T6_T7_T9_mT8_S1H_bDpT10_ENKUlT_T0_E_clISt17integral_constantIbLb1EES1U_IbLb0EEEEDaS1Q_S1R_EUlS1Q_E_NS1_11comp_targetILNS1_3genE8ELNS1_11target_archE1030ELNS1_3gpuE2ELNS1_3repE0EEENS1_30default_config_static_selectorELNS0_4arch9wavefront6targetE1EEEvS13_.kd
    .uniform_work_group_size: 1
    .uses_dynamic_stack: false
    .vgpr_count:     0
    .vgpr_spill_count: 0
    .wavefront_size: 64
  - .args:
      - .offset:         0
        .size:           184
        .value_kind:     by_value
    .group_segment_fixed_size: 0
    .kernarg_segment_align: 8
    .kernarg_segment_size: 184
    .language:       OpenCL C
    .language_version:
      - 2
      - 0
    .max_flat_workgroup_size: 256
    .name:           _ZN7rocprim17ROCPRIM_400000_NS6detail17trampoline_kernelINS0_13select_configILj256ELj13ELNS0_17block_load_methodE3ELS4_3ELS4_3ELNS0_20block_scan_algorithmE0ELj4294967295EEENS1_25partition_config_selectorILNS1_17partition_subalgoE4EjNS0_10empty_typeEbEEZZNS1_14partition_implILS8_4ELb0ES6_15HIP_vector_typeIjLj2EENS0_17counting_iteratorIjlEEPS9_SG_NS0_5tupleIJPjSI_NS0_16reverse_iteratorISI_EEEEENSH_IJSG_SG_SG_EEES9_SI_JZNS1_25segmented_radix_sort_implINS0_14default_configELb0EPK6__halfPSP_PKlPlN2at6native12_GLOBAL__N_18offset_tEEE10hipError_tPvRmT1_PNSt15iterator_traitsIS13_E10value_typeET2_T3_PNS14_IS19_E10value_typeET4_jRbjT5_S1F_jjP12ihipStream_tbEUljE_ZNSN_ISO_Lb0ESR_SS_SU_SV_SZ_EES10_S11_S12_S13_S17_S18_S19_S1C_S1D_jS1E_jS1F_S1F_jjS1H_bEUljE0_EEES10_S11_S12_S19_S1D_S1F_T6_T7_T9_mT8_S1H_bDpT10_ENKUlT_T0_E_clISt17integral_constantIbLb0EES1U_IbLb1EEEEDaS1Q_S1R_EUlS1Q_E_NS1_11comp_targetILNS1_3genE0ELNS1_11target_archE4294967295ELNS1_3gpuE0ELNS1_3repE0EEENS1_30default_config_static_selectorELNS0_4arch9wavefront6targetE1EEEvS13_
    .private_segment_fixed_size: 0
    .sgpr_count:     4
    .sgpr_spill_count: 0
    .symbol:         _ZN7rocprim17ROCPRIM_400000_NS6detail17trampoline_kernelINS0_13select_configILj256ELj13ELNS0_17block_load_methodE3ELS4_3ELS4_3ELNS0_20block_scan_algorithmE0ELj4294967295EEENS1_25partition_config_selectorILNS1_17partition_subalgoE4EjNS0_10empty_typeEbEEZZNS1_14partition_implILS8_4ELb0ES6_15HIP_vector_typeIjLj2EENS0_17counting_iteratorIjlEEPS9_SG_NS0_5tupleIJPjSI_NS0_16reverse_iteratorISI_EEEEENSH_IJSG_SG_SG_EEES9_SI_JZNS1_25segmented_radix_sort_implINS0_14default_configELb0EPK6__halfPSP_PKlPlN2at6native12_GLOBAL__N_18offset_tEEE10hipError_tPvRmT1_PNSt15iterator_traitsIS13_E10value_typeET2_T3_PNS14_IS19_E10value_typeET4_jRbjT5_S1F_jjP12ihipStream_tbEUljE_ZNSN_ISO_Lb0ESR_SS_SU_SV_SZ_EES10_S11_S12_S13_S17_S18_S19_S1C_S1D_jS1E_jS1F_S1F_jjS1H_bEUljE0_EEES10_S11_S12_S19_S1D_S1F_T6_T7_T9_mT8_S1H_bDpT10_ENKUlT_T0_E_clISt17integral_constantIbLb0EES1U_IbLb1EEEEDaS1Q_S1R_EUlS1Q_E_NS1_11comp_targetILNS1_3genE0ELNS1_11target_archE4294967295ELNS1_3gpuE0ELNS1_3repE0EEENS1_30default_config_static_selectorELNS0_4arch9wavefront6targetE1EEEvS13_.kd
    .uniform_work_group_size: 1
    .uses_dynamic_stack: false
    .vgpr_count:     0
    .vgpr_spill_count: 0
    .wavefront_size: 64
  - .args:
      - .offset:         0
        .size:           184
        .value_kind:     by_value
    .group_segment_fixed_size: 0
    .kernarg_segment_align: 8
    .kernarg_segment_size: 184
    .language:       OpenCL C
    .language_version:
      - 2
      - 0
    .max_flat_workgroup_size: 256
    .name:           _ZN7rocprim17ROCPRIM_400000_NS6detail17trampoline_kernelINS0_13select_configILj256ELj13ELNS0_17block_load_methodE3ELS4_3ELS4_3ELNS0_20block_scan_algorithmE0ELj4294967295EEENS1_25partition_config_selectorILNS1_17partition_subalgoE4EjNS0_10empty_typeEbEEZZNS1_14partition_implILS8_4ELb0ES6_15HIP_vector_typeIjLj2EENS0_17counting_iteratorIjlEEPS9_SG_NS0_5tupleIJPjSI_NS0_16reverse_iteratorISI_EEEEENSH_IJSG_SG_SG_EEES9_SI_JZNS1_25segmented_radix_sort_implINS0_14default_configELb0EPK6__halfPSP_PKlPlN2at6native12_GLOBAL__N_18offset_tEEE10hipError_tPvRmT1_PNSt15iterator_traitsIS13_E10value_typeET2_T3_PNS14_IS19_E10value_typeET4_jRbjT5_S1F_jjP12ihipStream_tbEUljE_ZNSN_ISO_Lb0ESR_SS_SU_SV_SZ_EES10_S11_S12_S13_S17_S18_S19_S1C_S1D_jS1E_jS1F_S1F_jjS1H_bEUljE0_EEES10_S11_S12_S19_S1D_S1F_T6_T7_T9_mT8_S1H_bDpT10_ENKUlT_T0_E_clISt17integral_constantIbLb0EES1U_IbLb1EEEEDaS1Q_S1R_EUlS1Q_E_NS1_11comp_targetILNS1_3genE5ELNS1_11target_archE942ELNS1_3gpuE9ELNS1_3repE0EEENS1_30default_config_static_selectorELNS0_4arch9wavefront6targetE1EEEvS13_
    .private_segment_fixed_size: 0
    .sgpr_count:     4
    .sgpr_spill_count: 0
    .symbol:         _ZN7rocprim17ROCPRIM_400000_NS6detail17trampoline_kernelINS0_13select_configILj256ELj13ELNS0_17block_load_methodE3ELS4_3ELS4_3ELNS0_20block_scan_algorithmE0ELj4294967295EEENS1_25partition_config_selectorILNS1_17partition_subalgoE4EjNS0_10empty_typeEbEEZZNS1_14partition_implILS8_4ELb0ES6_15HIP_vector_typeIjLj2EENS0_17counting_iteratorIjlEEPS9_SG_NS0_5tupleIJPjSI_NS0_16reverse_iteratorISI_EEEEENSH_IJSG_SG_SG_EEES9_SI_JZNS1_25segmented_radix_sort_implINS0_14default_configELb0EPK6__halfPSP_PKlPlN2at6native12_GLOBAL__N_18offset_tEEE10hipError_tPvRmT1_PNSt15iterator_traitsIS13_E10value_typeET2_T3_PNS14_IS19_E10value_typeET4_jRbjT5_S1F_jjP12ihipStream_tbEUljE_ZNSN_ISO_Lb0ESR_SS_SU_SV_SZ_EES10_S11_S12_S13_S17_S18_S19_S1C_S1D_jS1E_jS1F_S1F_jjS1H_bEUljE0_EEES10_S11_S12_S19_S1D_S1F_T6_T7_T9_mT8_S1H_bDpT10_ENKUlT_T0_E_clISt17integral_constantIbLb0EES1U_IbLb1EEEEDaS1Q_S1R_EUlS1Q_E_NS1_11comp_targetILNS1_3genE5ELNS1_11target_archE942ELNS1_3gpuE9ELNS1_3repE0EEENS1_30default_config_static_selectorELNS0_4arch9wavefront6targetE1EEEvS13_.kd
    .uniform_work_group_size: 1
    .uses_dynamic_stack: false
    .vgpr_count:     0
    .vgpr_spill_count: 0
    .wavefront_size: 64
  - .args:
      - .offset:         0
        .size:           184
        .value_kind:     by_value
    .group_segment_fixed_size: 0
    .kernarg_segment_align: 8
    .kernarg_segment_size: 184
    .language:       OpenCL C
    .language_version:
      - 2
      - 0
    .max_flat_workgroup_size: 256
    .name:           _ZN7rocprim17ROCPRIM_400000_NS6detail17trampoline_kernelINS0_13select_configILj256ELj13ELNS0_17block_load_methodE3ELS4_3ELS4_3ELNS0_20block_scan_algorithmE0ELj4294967295EEENS1_25partition_config_selectorILNS1_17partition_subalgoE4EjNS0_10empty_typeEbEEZZNS1_14partition_implILS8_4ELb0ES6_15HIP_vector_typeIjLj2EENS0_17counting_iteratorIjlEEPS9_SG_NS0_5tupleIJPjSI_NS0_16reverse_iteratorISI_EEEEENSH_IJSG_SG_SG_EEES9_SI_JZNS1_25segmented_radix_sort_implINS0_14default_configELb0EPK6__halfPSP_PKlPlN2at6native12_GLOBAL__N_18offset_tEEE10hipError_tPvRmT1_PNSt15iterator_traitsIS13_E10value_typeET2_T3_PNS14_IS19_E10value_typeET4_jRbjT5_S1F_jjP12ihipStream_tbEUljE_ZNSN_ISO_Lb0ESR_SS_SU_SV_SZ_EES10_S11_S12_S13_S17_S18_S19_S1C_S1D_jS1E_jS1F_S1F_jjS1H_bEUljE0_EEES10_S11_S12_S19_S1D_S1F_T6_T7_T9_mT8_S1H_bDpT10_ENKUlT_T0_E_clISt17integral_constantIbLb0EES1U_IbLb1EEEEDaS1Q_S1R_EUlS1Q_E_NS1_11comp_targetILNS1_3genE4ELNS1_11target_archE910ELNS1_3gpuE8ELNS1_3repE0EEENS1_30default_config_static_selectorELNS0_4arch9wavefront6targetE1EEEvS13_
    .private_segment_fixed_size: 0
    .sgpr_count:     4
    .sgpr_spill_count: 0
    .symbol:         _ZN7rocprim17ROCPRIM_400000_NS6detail17trampoline_kernelINS0_13select_configILj256ELj13ELNS0_17block_load_methodE3ELS4_3ELS4_3ELNS0_20block_scan_algorithmE0ELj4294967295EEENS1_25partition_config_selectorILNS1_17partition_subalgoE4EjNS0_10empty_typeEbEEZZNS1_14partition_implILS8_4ELb0ES6_15HIP_vector_typeIjLj2EENS0_17counting_iteratorIjlEEPS9_SG_NS0_5tupleIJPjSI_NS0_16reverse_iteratorISI_EEEEENSH_IJSG_SG_SG_EEES9_SI_JZNS1_25segmented_radix_sort_implINS0_14default_configELb0EPK6__halfPSP_PKlPlN2at6native12_GLOBAL__N_18offset_tEEE10hipError_tPvRmT1_PNSt15iterator_traitsIS13_E10value_typeET2_T3_PNS14_IS19_E10value_typeET4_jRbjT5_S1F_jjP12ihipStream_tbEUljE_ZNSN_ISO_Lb0ESR_SS_SU_SV_SZ_EES10_S11_S12_S13_S17_S18_S19_S1C_S1D_jS1E_jS1F_S1F_jjS1H_bEUljE0_EEES10_S11_S12_S19_S1D_S1F_T6_T7_T9_mT8_S1H_bDpT10_ENKUlT_T0_E_clISt17integral_constantIbLb0EES1U_IbLb1EEEEDaS1Q_S1R_EUlS1Q_E_NS1_11comp_targetILNS1_3genE4ELNS1_11target_archE910ELNS1_3gpuE8ELNS1_3repE0EEENS1_30default_config_static_selectorELNS0_4arch9wavefront6targetE1EEEvS13_.kd
    .uniform_work_group_size: 1
    .uses_dynamic_stack: false
    .vgpr_count:     0
    .vgpr_spill_count: 0
    .wavefront_size: 64
  - .args:
      - .offset:         0
        .size:           184
        .value_kind:     by_value
    .group_segment_fixed_size: 0
    .kernarg_segment_align: 8
    .kernarg_segment_size: 184
    .language:       OpenCL C
    .language_version:
      - 2
      - 0
    .max_flat_workgroup_size: 256
    .name:           _ZN7rocprim17ROCPRIM_400000_NS6detail17trampoline_kernelINS0_13select_configILj256ELj13ELNS0_17block_load_methodE3ELS4_3ELS4_3ELNS0_20block_scan_algorithmE0ELj4294967295EEENS1_25partition_config_selectorILNS1_17partition_subalgoE4EjNS0_10empty_typeEbEEZZNS1_14partition_implILS8_4ELb0ES6_15HIP_vector_typeIjLj2EENS0_17counting_iteratorIjlEEPS9_SG_NS0_5tupleIJPjSI_NS0_16reverse_iteratorISI_EEEEENSH_IJSG_SG_SG_EEES9_SI_JZNS1_25segmented_radix_sort_implINS0_14default_configELb0EPK6__halfPSP_PKlPlN2at6native12_GLOBAL__N_18offset_tEEE10hipError_tPvRmT1_PNSt15iterator_traitsIS13_E10value_typeET2_T3_PNS14_IS19_E10value_typeET4_jRbjT5_S1F_jjP12ihipStream_tbEUljE_ZNSN_ISO_Lb0ESR_SS_SU_SV_SZ_EES10_S11_S12_S13_S17_S18_S19_S1C_S1D_jS1E_jS1F_S1F_jjS1H_bEUljE0_EEES10_S11_S12_S19_S1D_S1F_T6_T7_T9_mT8_S1H_bDpT10_ENKUlT_T0_E_clISt17integral_constantIbLb0EES1U_IbLb1EEEEDaS1Q_S1R_EUlS1Q_E_NS1_11comp_targetILNS1_3genE3ELNS1_11target_archE908ELNS1_3gpuE7ELNS1_3repE0EEENS1_30default_config_static_selectorELNS0_4arch9wavefront6targetE1EEEvS13_
    .private_segment_fixed_size: 0
    .sgpr_count:     4
    .sgpr_spill_count: 0
    .symbol:         _ZN7rocprim17ROCPRIM_400000_NS6detail17trampoline_kernelINS0_13select_configILj256ELj13ELNS0_17block_load_methodE3ELS4_3ELS4_3ELNS0_20block_scan_algorithmE0ELj4294967295EEENS1_25partition_config_selectorILNS1_17partition_subalgoE4EjNS0_10empty_typeEbEEZZNS1_14partition_implILS8_4ELb0ES6_15HIP_vector_typeIjLj2EENS0_17counting_iteratorIjlEEPS9_SG_NS0_5tupleIJPjSI_NS0_16reverse_iteratorISI_EEEEENSH_IJSG_SG_SG_EEES9_SI_JZNS1_25segmented_radix_sort_implINS0_14default_configELb0EPK6__halfPSP_PKlPlN2at6native12_GLOBAL__N_18offset_tEEE10hipError_tPvRmT1_PNSt15iterator_traitsIS13_E10value_typeET2_T3_PNS14_IS19_E10value_typeET4_jRbjT5_S1F_jjP12ihipStream_tbEUljE_ZNSN_ISO_Lb0ESR_SS_SU_SV_SZ_EES10_S11_S12_S13_S17_S18_S19_S1C_S1D_jS1E_jS1F_S1F_jjS1H_bEUljE0_EEES10_S11_S12_S19_S1D_S1F_T6_T7_T9_mT8_S1H_bDpT10_ENKUlT_T0_E_clISt17integral_constantIbLb0EES1U_IbLb1EEEEDaS1Q_S1R_EUlS1Q_E_NS1_11comp_targetILNS1_3genE3ELNS1_11target_archE908ELNS1_3gpuE7ELNS1_3repE0EEENS1_30default_config_static_selectorELNS0_4arch9wavefront6targetE1EEEvS13_.kd
    .uniform_work_group_size: 1
    .uses_dynamic_stack: false
    .vgpr_count:     0
    .vgpr_spill_count: 0
    .wavefront_size: 64
  - .args:
      - .offset:         0
        .size:           184
        .value_kind:     by_value
    .group_segment_fixed_size: 13328
    .kernarg_segment_align: 8
    .kernarg_segment_size: 184
    .language:       OpenCL C
    .language_version:
      - 2
      - 0
    .max_flat_workgroup_size: 256
    .name:           _ZN7rocprim17ROCPRIM_400000_NS6detail17trampoline_kernelINS0_13select_configILj256ELj13ELNS0_17block_load_methodE3ELS4_3ELS4_3ELNS0_20block_scan_algorithmE0ELj4294967295EEENS1_25partition_config_selectorILNS1_17partition_subalgoE4EjNS0_10empty_typeEbEEZZNS1_14partition_implILS8_4ELb0ES6_15HIP_vector_typeIjLj2EENS0_17counting_iteratorIjlEEPS9_SG_NS0_5tupleIJPjSI_NS0_16reverse_iteratorISI_EEEEENSH_IJSG_SG_SG_EEES9_SI_JZNS1_25segmented_radix_sort_implINS0_14default_configELb0EPK6__halfPSP_PKlPlN2at6native12_GLOBAL__N_18offset_tEEE10hipError_tPvRmT1_PNSt15iterator_traitsIS13_E10value_typeET2_T3_PNS14_IS19_E10value_typeET4_jRbjT5_S1F_jjP12ihipStream_tbEUljE_ZNSN_ISO_Lb0ESR_SS_SU_SV_SZ_EES10_S11_S12_S13_S17_S18_S19_S1C_S1D_jS1E_jS1F_S1F_jjS1H_bEUljE0_EEES10_S11_S12_S19_S1D_S1F_T6_T7_T9_mT8_S1H_bDpT10_ENKUlT_T0_E_clISt17integral_constantIbLb0EES1U_IbLb1EEEEDaS1Q_S1R_EUlS1Q_E_NS1_11comp_targetILNS1_3genE2ELNS1_11target_archE906ELNS1_3gpuE6ELNS1_3repE0EEENS1_30default_config_static_selectorELNS0_4arch9wavefront6targetE1EEEvS13_
    .private_segment_fixed_size: 0
    .sgpr_count:     91
    .sgpr_spill_count: 0
    .symbol:         _ZN7rocprim17ROCPRIM_400000_NS6detail17trampoline_kernelINS0_13select_configILj256ELj13ELNS0_17block_load_methodE3ELS4_3ELS4_3ELNS0_20block_scan_algorithmE0ELj4294967295EEENS1_25partition_config_selectorILNS1_17partition_subalgoE4EjNS0_10empty_typeEbEEZZNS1_14partition_implILS8_4ELb0ES6_15HIP_vector_typeIjLj2EENS0_17counting_iteratorIjlEEPS9_SG_NS0_5tupleIJPjSI_NS0_16reverse_iteratorISI_EEEEENSH_IJSG_SG_SG_EEES9_SI_JZNS1_25segmented_radix_sort_implINS0_14default_configELb0EPK6__halfPSP_PKlPlN2at6native12_GLOBAL__N_18offset_tEEE10hipError_tPvRmT1_PNSt15iterator_traitsIS13_E10value_typeET2_T3_PNS14_IS19_E10value_typeET4_jRbjT5_S1F_jjP12ihipStream_tbEUljE_ZNSN_ISO_Lb0ESR_SS_SU_SV_SZ_EES10_S11_S12_S13_S17_S18_S19_S1C_S1D_jS1E_jS1F_S1F_jjS1H_bEUljE0_EEES10_S11_S12_S19_S1D_S1F_T6_T7_T9_mT8_S1H_bDpT10_ENKUlT_T0_E_clISt17integral_constantIbLb0EES1U_IbLb1EEEEDaS1Q_S1R_EUlS1Q_E_NS1_11comp_targetILNS1_3genE2ELNS1_11target_archE906ELNS1_3gpuE6ELNS1_3repE0EEENS1_30default_config_static_selectorELNS0_4arch9wavefront6targetE1EEEvS13_.kd
    .uniform_work_group_size: 1
    .uses_dynamic_stack: false
    .vgpr_count:     91
    .vgpr_spill_count: 0
    .wavefront_size: 64
  - .args:
      - .offset:         0
        .size:           184
        .value_kind:     by_value
    .group_segment_fixed_size: 0
    .kernarg_segment_align: 8
    .kernarg_segment_size: 184
    .language:       OpenCL C
    .language_version:
      - 2
      - 0
    .max_flat_workgroup_size: 256
    .name:           _ZN7rocprim17ROCPRIM_400000_NS6detail17trampoline_kernelINS0_13select_configILj256ELj13ELNS0_17block_load_methodE3ELS4_3ELS4_3ELNS0_20block_scan_algorithmE0ELj4294967295EEENS1_25partition_config_selectorILNS1_17partition_subalgoE4EjNS0_10empty_typeEbEEZZNS1_14partition_implILS8_4ELb0ES6_15HIP_vector_typeIjLj2EENS0_17counting_iteratorIjlEEPS9_SG_NS0_5tupleIJPjSI_NS0_16reverse_iteratorISI_EEEEENSH_IJSG_SG_SG_EEES9_SI_JZNS1_25segmented_radix_sort_implINS0_14default_configELb0EPK6__halfPSP_PKlPlN2at6native12_GLOBAL__N_18offset_tEEE10hipError_tPvRmT1_PNSt15iterator_traitsIS13_E10value_typeET2_T3_PNS14_IS19_E10value_typeET4_jRbjT5_S1F_jjP12ihipStream_tbEUljE_ZNSN_ISO_Lb0ESR_SS_SU_SV_SZ_EES10_S11_S12_S13_S17_S18_S19_S1C_S1D_jS1E_jS1F_S1F_jjS1H_bEUljE0_EEES10_S11_S12_S19_S1D_S1F_T6_T7_T9_mT8_S1H_bDpT10_ENKUlT_T0_E_clISt17integral_constantIbLb0EES1U_IbLb1EEEEDaS1Q_S1R_EUlS1Q_E_NS1_11comp_targetILNS1_3genE10ELNS1_11target_archE1200ELNS1_3gpuE4ELNS1_3repE0EEENS1_30default_config_static_selectorELNS0_4arch9wavefront6targetE1EEEvS13_
    .private_segment_fixed_size: 0
    .sgpr_count:     4
    .sgpr_spill_count: 0
    .symbol:         _ZN7rocprim17ROCPRIM_400000_NS6detail17trampoline_kernelINS0_13select_configILj256ELj13ELNS0_17block_load_methodE3ELS4_3ELS4_3ELNS0_20block_scan_algorithmE0ELj4294967295EEENS1_25partition_config_selectorILNS1_17partition_subalgoE4EjNS0_10empty_typeEbEEZZNS1_14partition_implILS8_4ELb0ES6_15HIP_vector_typeIjLj2EENS0_17counting_iteratorIjlEEPS9_SG_NS0_5tupleIJPjSI_NS0_16reverse_iteratorISI_EEEEENSH_IJSG_SG_SG_EEES9_SI_JZNS1_25segmented_radix_sort_implINS0_14default_configELb0EPK6__halfPSP_PKlPlN2at6native12_GLOBAL__N_18offset_tEEE10hipError_tPvRmT1_PNSt15iterator_traitsIS13_E10value_typeET2_T3_PNS14_IS19_E10value_typeET4_jRbjT5_S1F_jjP12ihipStream_tbEUljE_ZNSN_ISO_Lb0ESR_SS_SU_SV_SZ_EES10_S11_S12_S13_S17_S18_S19_S1C_S1D_jS1E_jS1F_S1F_jjS1H_bEUljE0_EEES10_S11_S12_S19_S1D_S1F_T6_T7_T9_mT8_S1H_bDpT10_ENKUlT_T0_E_clISt17integral_constantIbLb0EES1U_IbLb1EEEEDaS1Q_S1R_EUlS1Q_E_NS1_11comp_targetILNS1_3genE10ELNS1_11target_archE1200ELNS1_3gpuE4ELNS1_3repE0EEENS1_30default_config_static_selectorELNS0_4arch9wavefront6targetE1EEEvS13_.kd
    .uniform_work_group_size: 1
    .uses_dynamic_stack: false
    .vgpr_count:     0
    .vgpr_spill_count: 0
    .wavefront_size: 64
  - .args:
      - .offset:         0
        .size:           184
        .value_kind:     by_value
    .group_segment_fixed_size: 0
    .kernarg_segment_align: 8
    .kernarg_segment_size: 184
    .language:       OpenCL C
    .language_version:
      - 2
      - 0
    .max_flat_workgroup_size: 256
    .name:           _ZN7rocprim17ROCPRIM_400000_NS6detail17trampoline_kernelINS0_13select_configILj256ELj13ELNS0_17block_load_methodE3ELS4_3ELS4_3ELNS0_20block_scan_algorithmE0ELj4294967295EEENS1_25partition_config_selectorILNS1_17partition_subalgoE4EjNS0_10empty_typeEbEEZZNS1_14partition_implILS8_4ELb0ES6_15HIP_vector_typeIjLj2EENS0_17counting_iteratorIjlEEPS9_SG_NS0_5tupleIJPjSI_NS0_16reverse_iteratorISI_EEEEENSH_IJSG_SG_SG_EEES9_SI_JZNS1_25segmented_radix_sort_implINS0_14default_configELb0EPK6__halfPSP_PKlPlN2at6native12_GLOBAL__N_18offset_tEEE10hipError_tPvRmT1_PNSt15iterator_traitsIS13_E10value_typeET2_T3_PNS14_IS19_E10value_typeET4_jRbjT5_S1F_jjP12ihipStream_tbEUljE_ZNSN_ISO_Lb0ESR_SS_SU_SV_SZ_EES10_S11_S12_S13_S17_S18_S19_S1C_S1D_jS1E_jS1F_S1F_jjS1H_bEUljE0_EEES10_S11_S12_S19_S1D_S1F_T6_T7_T9_mT8_S1H_bDpT10_ENKUlT_T0_E_clISt17integral_constantIbLb0EES1U_IbLb1EEEEDaS1Q_S1R_EUlS1Q_E_NS1_11comp_targetILNS1_3genE9ELNS1_11target_archE1100ELNS1_3gpuE3ELNS1_3repE0EEENS1_30default_config_static_selectorELNS0_4arch9wavefront6targetE1EEEvS13_
    .private_segment_fixed_size: 0
    .sgpr_count:     4
    .sgpr_spill_count: 0
    .symbol:         _ZN7rocprim17ROCPRIM_400000_NS6detail17trampoline_kernelINS0_13select_configILj256ELj13ELNS0_17block_load_methodE3ELS4_3ELS4_3ELNS0_20block_scan_algorithmE0ELj4294967295EEENS1_25partition_config_selectorILNS1_17partition_subalgoE4EjNS0_10empty_typeEbEEZZNS1_14partition_implILS8_4ELb0ES6_15HIP_vector_typeIjLj2EENS0_17counting_iteratorIjlEEPS9_SG_NS0_5tupleIJPjSI_NS0_16reverse_iteratorISI_EEEEENSH_IJSG_SG_SG_EEES9_SI_JZNS1_25segmented_radix_sort_implINS0_14default_configELb0EPK6__halfPSP_PKlPlN2at6native12_GLOBAL__N_18offset_tEEE10hipError_tPvRmT1_PNSt15iterator_traitsIS13_E10value_typeET2_T3_PNS14_IS19_E10value_typeET4_jRbjT5_S1F_jjP12ihipStream_tbEUljE_ZNSN_ISO_Lb0ESR_SS_SU_SV_SZ_EES10_S11_S12_S13_S17_S18_S19_S1C_S1D_jS1E_jS1F_S1F_jjS1H_bEUljE0_EEES10_S11_S12_S19_S1D_S1F_T6_T7_T9_mT8_S1H_bDpT10_ENKUlT_T0_E_clISt17integral_constantIbLb0EES1U_IbLb1EEEEDaS1Q_S1R_EUlS1Q_E_NS1_11comp_targetILNS1_3genE9ELNS1_11target_archE1100ELNS1_3gpuE3ELNS1_3repE0EEENS1_30default_config_static_selectorELNS0_4arch9wavefront6targetE1EEEvS13_.kd
    .uniform_work_group_size: 1
    .uses_dynamic_stack: false
    .vgpr_count:     0
    .vgpr_spill_count: 0
    .wavefront_size: 64
  - .args:
      - .offset:         0
        .size:           184
        .value_kind:     by_value
    .group_segment_fixed_size: 0
    .kernarg_segment_align: 8
    .kernarg_segment_size: 184
    .language:       OpenCL C
    .language_version:
      - 2
      - 0
    .max_flat_workgroup_size: 256
    .name:           _ZN7rocprim17ROCPRIM_400000_NS6detail17trampoline_kernelINS0_13select_configILj256ELj13ELNS0_17block_load_methodE3ELS4_3ELS4_3ELNS0_20block_scan_algorithmE0ELj4294967295EEENS1_25partition_config_selectorILNS1_17partition_subalgoE4EjNS0_10empty_typeEbEEZZNS1_14partition_implILS8_4ELb0ES6_15HIP_vector_typeIjLj2EENS0_17counting_iteratorIjlEEPS9_SG_NS0_5tupleIJPjSI_NS0_16reverse_iteratorISI_EEEEENSH_IJSG_SG_SG_EEES9_SI_JZNS1_25segmented_radix_sort_implINS0_14default_configELb0EPK6__halfPSP_PKlPlN2at6native12_GLOBAL__N_18offset_tEEE10hipError_tPvRmT1_PNSt15iterator_traitsIS13_E10value_typeET2_T3_PNS14_IS19_E10value_typeET4_jRbjT5_S1F_jjP12ihipStream_tbEUljE_ZNSN_ISO_Lb0ESR_SS_SU_SV_SZ_EES10_S11_S12_S13_S17_S18_S19_S1C_S1D_jS1E_jS1F_S1F_jjS1H_bEUljE0_EEES10_S11_S12_S19_S1D_S1F_T6_T7_T9_mT8_S1H_bDpT10_ENKUlT_T0_E_clISt17integral_constantIbLb0EES1U_IbLb1EEEEDaS1Q_S1R_EUlS1Q_E_NS1_11comp_targetILNS1_3genE8ELNS1_11target_archE1030ELNS1_3gpuE2ELNS1_3repE0EEENS1_30default_config_static_selectorELNS0_4arch9wavefront6targetE1EEEvS13_
    .private_segment_fixed_size: 0
    .sgpr_count:     4
    .sgpr_spill_count: 0
    .symbol:         _ZN7rocprim17ROCPRIM_400000_NS6detail17trampoline_kernelINS0_13select_configILj256ELj13ELNS0_17block_load_methodE3ELS4_3ELS4_3ELNS0_20block_scan_algorithmE0ELj4294967295EEENS1_25partition_config_selectorILNS1_17partition_subalgoE4EjNS0_10empty_typeEbEEZZNS1_14partition_implILS8_4ELb0ES6_15HIP_vector_typeIjLj2EENS0_17counting_iteratorIjlEEPS9_SG_NS0_5tupleIJPjSI_NS0_16reverse_iteratorISI_EEEEENSH_IJSG_SG_SG_EEES9_SI_JZNS1_25segmented_radix_sort_implINS0_14default_configELb0EPK6__halfPSP_PKlPlN2at6native12_GLOBAL__N_18offset_tEEE10hipError_tPvRmT1_PNSt15iterator_traitsIS13_E10value_typeET2_T3_PNS14_IS19_E10value_typeET4_jRbjT5_S1F_jjP12ihipStream_tbEUljE_ZNSN_ISO_Lb0ESR_SS_SU_SV_SZ_EES10_S11_S12_S13_S17_S18_S19_S1C_S1D_jS1E_jS1F_S1F_jjS1H_bEUljE0_EEES10_S11_S12_S19_S1D_S1F_T6_T7_T9_mT8_S1H_bDpT10_ENKUlT_T0_E_clISt17integral_constantIbLb0EES1U_IbLb1EEEEDaS1Q_S1R_EUlS1Q_E_NS1_11comp_targetILNS1_3genE8ELNS1_11target_archE1030ELNS1_3gpuE2ELNS1_3repE0EEENS1_30default_config_static_selectorELNS0_4arch9wavefront6targetE1EEEvS13_.kd
    .uniform_work_group_size: 1
    .uses_dynamic_stack: false
    .vgpr_count:     0
    .vgpr_spill_count: 0
    .wavefront_size: 64
  - .args:
      - .offset:         0
        .size:           144
        .value_kind:     by_value
    .group_segment_fixed_size: 0
    .kernarg_segment_align: 8
    .kernarg_segment_size: 144
    .language:       OpenCL C
    .language_version:
      - 2
      - 0
    .max_flat_workgroup_size: 256
    .name:           _ZN7rocprim17ROCPRIM_400000_NS6detail17trampoline_kernelINS0_13select_configILj256ELj13ELNS0_17block_load_methodE3ELS4_3ELS4_3ELNS0_20block_scan_algorithmE0ELj4294967295EEENS1_25partition_config_selectorILNS1_17partition_subalgoE3EjNS0_10empty_typeEbEEZZNS1_14partition_implILS8_3ELb0ES6_jNS0_17counting_iteratorIjlEEPS9_SE_NS0_5tupleIJPjSE_EEENSF_IJSE_SE_EEES9_SG_JZNS1_25segmented_radix_sort_implINS0_14default_configELb0EPK6__halfPSL_PKlPlN2at6native12_GLOBAL__N_18offset_tEEE10hipError_tPvRmT1_PNSt15iterator_traitsISZ_E10value_typeET2_T3_PNS10_IS15_E10value_typeET4_jRbjT5_S1B_jjP12ihipStream_tbEUljE_EEESW_SX_SY_S15_S19_S1B_T6_T7_T9_mT8_S1D_bDpT10_ENKUlT_T0_E_clISt17integral_constantIbLb0EES1Q_EEDaS1L_S1M_EUlS1L_E_NS1_11comp_targetILNS1_3genE0ELNS1_11target_archE4294967295ELNS1_3gpuE0ELNS1_3repE0EEENS1_30default_config_static_selectorELNS0_4arch9wavefront6targetE1EEEvSZ_
    .private_segment_fixed_size: 0
    .sgpr_count:     4
    .sgpr_spill_count: 0
    .symbol:         _ZN7rocprim17ROCPRIM_400000_NS6detail17trampoline_kernelINS0_13select_configILj256ELj13ELNS0_17block_load_methodE3ELS4_3ELS4_3ELNS0_20block_scan_algorithmE0ELj4294967295EEENS1_25partition_config_selectorILNS1_17partition_subalgoE3EjNS0_10empty_typeEbEEZZNS1_14partition_implILS8_3ELb0ES6_jNS0_17counting_iteratorIjlEEPS9_SE_NS0_5tupleIJPjSE_EEENSF_IJSE_SE_EEES9_SG_JZNS1_25segmented_radix_sort_implINS0_14default_configELb0EPK6__halfPSL_PKlPlN2at6native12_GLOBAL__N_18offset_tEEE10hipError_tPvRmT1_PNSt15iterator_traitsISZ_E10value_typeET2_T3_PNS10_IS15_E10value_typeET4_jRbjT5_S1B_jjP12ihipStream_tbEUljE_EEESW_SX_SY_S15_S19_S1B_T6_T7_T9_mT8_S1D_bDpT10_ENKUlT_T0_E_clISt17integral_constantIbLb0EES1Q_EEDaS1L_S1M_EUlS1L_E_NS1_11comp_targetILNS1_3genE0ELNS1_11target_archE4294967295ELNS1_3gpuE0ELNS1_3repE0EEENS1_30default_config_static_selectorELNS0_4arch9wavefront6targetE1EEEvSZ_.kd
    .uniform_work_group_size: 1
    .uses_dynamic_stack: false
    .vgpr_count:     0
    .vgpr_spill_count: 0
    .wavefront_size: 64
  - .args:
      - .offset:         0
        .size:           144
        .value_kind:     by_value
    .group_segment_fixed_size: 0
    .kernarg_segment_align: 8
    .kernarg_segment_size: 144
    .language:       OpenCL C
    .language_version:
      - 2
      - 0
    .max_flat_workgroup_size: 256
    .name:           _ZN7rocprim17ROCPRIM_400000_NS6detail17trampoline_kernelINS0_13select_configILj256ELj13ELNS0_17block_load_methodE3ELS4_3ELS4_3ELNS0_20block_scan_algorithmE0ELj4294967295EEENS1_25partition_config_selectorILNS1_17partition_subalgoE3EjNS0_10empty_typeEbEEZZNS1_14partition_implILS8_3ELb0ES6_jNS0_17counting_iteratorIjlEEPS9_SE_NS0_5tupleIJPjSE_EEENSF_IJSE_SE_EEES9_SG_JZNS1_25segmented_radix_sort_implINS0_14default_configELb0EPK6__halfPSL_PKlPlN2at6native12_GLOBAL__N_18offset_tEEE10hipError_tPvRmT1_PNSt15iterator_traitsISZ_E10value_typeET2_T3_PNS10_IS15_E10value_typeET4_jRbjT5_S1B_jjP12ihipStream_tbEUljE_EEESW_SX_SY_S15_S19_S1B_T6_T7_T9_mT8_S1D_bDpT10_ENKUlT_T0_E_clISt17integral_constantIbLb0EES1Q_EEDaS1L_S1M_EUlS1L_E_NS1_11comp_targetILNS1_3genE5ELNS1_11target_archE942ELNS1_3gpuE9ELNS1_3repE0EEENS1_30default_config_static_selectorELNS0_4arch9wavefront6targetE1EEEvSZ_
    .private_segment_fixed_size: 0
    .sgpr_count:     4
    .sgpr_spill_count: 0
    .symbol:         _ZN7rocprim17ROCPRIM_400000_NS6detail17trampoline_kernelINS0_13select_configILj256ELj13ELNS0_17block_load_methodE3ELS4_3ELS4_3ELNS0_20block_scan_algorithmE0ELj4294967295EEENS1_25partition_config_selectorILNS1_17partition_subalgoE3EjNS0_10empty_typeEbEEZZNS1_14partition_implILS8_3ELb0ES6_jNS0_17counting_iteratorIjlEEPS9_SE_NS0_5tupleIJPjSE_EEENSF_IJSE_SE_EEES9_SG_JZNS1_25segmented_radix_sort_implINS0_14default_configELb0EPK6__halfPSL_PKlPlN2at6native12_GLOBAL__N_18offset_tEEE10hipError_tPvRmT1_PNSt15iterator_traitsISZ_E10value_typeET2_T3_PNS10_IS15_E10value_typeET4_jRbjT5_S1B_jjP12ihipStream_tbEUljE_EEESW_SX_SY_S15_S19_S1B_T6_T7_T9_mT8_S1D_bDpT10_ENKUlT_T0_E_clISt17integral_constantIbLb0EES1Q_EEDaS1L_S1M_EUlS1L_E_NS1_11comp_targetILNS1_3genE5ELNS1_11target_archE942ELNS1_3gpuE9ELNS1_3repE0EEENS1_30default_config_static_selectorELNS0_4arch9wavefront6targetE1EEEvSZ_.kd
    .uniform_work_group_size: 1
    .uses_dynamic_stack: false
    .vgpr_count:     0
    .vgpr_spill_count: 0
    .wavefront_size: 64
  - .args:
      - .offset:         0
        .size:           144
        .value_kind:     by_value
    .group_segment_fixed_size: 0
    .kernarg_segment_align: 8
    .kernarg_segment_size: 144
    .language:       OpenCL C
    .language_version:
      - 2
      - 0
    .max_flat_workgroup_size: 256
    .name:           _ZN7rocprim17ROCPRIM_400000_NS6detail17trampoline_kernelINS0_13select_configILj256ELj13ELNS0_17block_load_methodE3ELS4_3ELS4_3ELNS0_20block_scan_algorithmE0ELj4294967295EEENS1_25partition_config_selectorILNS1_17partition_subalgoE3EjNS0_10empty_typeEbEEZZNS1_14partition_implILS8_3ELb0ES6_jNS0_17counting_iteratorIjlEEPS9_SE_NS0_5tupleIJPjSE_EEENSF_IJSE_SE_EEES9_SG_JZNS1_25segmented_radix_sort_implINS0_14default_configELb0EPK6__halfPSL_PKlPlN2at6native12_GLOBAL__N_18offset_tEEE10hipError_tPvRmT1_PNSt15iterator_traitsISZ_E10value_typeET2_T3_PNS10_IS15_E10value_typeET4_jRbjT5_S1B_jjP12ihipStream_tbEUljE_EEESW_SX_SY_S15_S19_S1B_T6_T7_T9_mT8_S1D_bDpT10_ENKUlT_T0_E_clISt17integral_constantIbLb0EES1Q_EEDaS1L_S1M_EUlS1L_E_NS1_11comp_targetILNS1_3genE4ELNS1_11target_archE910ELNS1_3gpuE8ELNS1_3repE0EEENS1_30default_config_static_selectorELNS0_4arch9wavefront6targetE1EEEvSZ_
    .private_segment_fixed_size: 0
    .sgpr_count:     4
    .sgpr_spill_count: 0
    .symbol:         _ZN7rocprim17ROCPRIM_400000_NS6detail17trampoline_kernelINS0_13select_configILj256ELj13ELNS0_17block_load_methodE3ELS4_3ELS4_3ELNS0_20block_scan_algorithmE0ELj4294967295EEENS1_25partition_config_selectorILNS1_17partition_subalgoE3EjNS0_10empty_typeEbEEZZNS1_14partition_implILS8_3ELb0ES6_jNS0_17counting_iteratorIjlEEPS9_SE_NS0_5tupleIJPjSE_EEENSF_IJSE_SE_EEES9_SG_JZNS1_25segmented_radix_sort_implINS0_14default_configELb0EPK6__halfPSL_PKlPlN2at6native12_GLOBAL__N_18offset_tEEE10hipError_tPvRmT1_PNSt15iterator_traitsISZ_E10value_typeET2_T3_PNS10_IS15_E10value_typeET4_jRbjT5_S1B_jjP12ihipStream_tbEUljE_EEESW_SX_SY_S15_S19_S1B_T6_T7_T9_mT8_S1D_bDpT10_ENKUlT_T0_E_clISt17integral_constantIbLb0EES1Q_EEDaS1L_S1M_EUlS1L_E_NS1_11comp_targetILNS1_3genE4ELNS1_11target_archE910ELNS1_3gpuE8ELNS1_3repE0EEENS1_30default_config_static_selectorELNS0_4arch9wavefront6targetE1EEEvSZ_.kd
    .uniform_work_group_size: 1
    .uses_dynamic_stack: false
    .vgpr_count:     0
    .vgpr_spill_count: 0
    .wavefront_size: 64
  - .args:
      - .offset:         0
        .size:           144
        .value_kind:     by_value
    .group_segment_fixed_size: 0
    .kernarg_segment_align: 8
    .kernarg_segment_size: 144
    .language:       OpenCL C
    .language_version:
      - 2
      - 0
    .max_flat_workgroup_size: 256
    .name:           _ZN7rocprim17ROCPRIM_400000_NS6detail17trampoline_kernelINS0_13select_configILj256ELj13ELNS0_17block_load_methodE3ELS4_3ELS4_3ELNS0_20block_scan_algorithmE0ELj4294967295EEENS1_25partition_config_selectorILNS1_17partition_subalgoE3EjNS0_10empty_typeEbEEZZNS1_14partition_implILS8_3ELb0ES6_jNS0_17counting_iteratorIjlEEPS9_SE_NS0_5tupleIJPjSE_EEENSF_IJSE_SE_EEES9_SG_JZNS1_25segmented_radix_sort_implINS0_14default_configELb0EPK6__halfPSL_PKlPlN2at6native12_GLOBAL__N_18offset_tEEE10hipError_tPvRmT1_PNSt15iterator_traitsISZ_E10value_typeET2_T3_PNS10_IS15_E10value_typeET4_jRbjT5_S1B_jjP12ihipStream_tbEUljE_EEESW_SX_SY_S15_S19_S1B_T6_T7_T9_mT8_S1D_bDpT10_ENKUlT_T0_E_clISt17integral_constantIbLb0EES1Q_EEDaS1L_S1M_EUlS1L_E_NS1_11comp_targetILNS1_3genE3ELNS1_11target_archE908ELNS1_3gpuE7ELNS1_3repE0EEENS1_30default_config_static_selectorELNS0_4arch9wavefront6targetE1EEEvSZ_
    .private_segment_fixed_size: 0
    .sgpr_count:     4
    .sgpr_spill_count: 0
    .symbol:         _ZN7rocprim17ROCPRIM_400000_NS6detail17trampoline_kernelINS0_13select_configILj256ELj13ELNS0_17block_load_methodE3ELS4_3ELS4_3ELNS0_20block_scan_algorithmE0ELj4294967295EEENS1_25partition_config_selectorILNS1_17partition_subalgoE3EjNS0_10empty_typeEbEEZZNS1_14partition_implILS8_3ELb0ES6_jNS0_17counting_iteratorIjlEEPS9_SE_NS0_5tupleIJPjSE_EEENSF_IJSE_SE_EEES9_SG_JZNS1_25segmented_radix_sort_implINS0_14default_configELb0EPK6__halfPSL_PKlPlN2at6native12_GLOBAL__N_18offset_tEEE10hipError_tPvRmT1_PNSt15iterator_traitsISZ_E10value_typeET2_T3_PNS10_IS15_E10value_typeET4_jRbjT5_S1B_jjP12ihipStream_tbEUljE_EEESW_SX_SY_S15_S19_S1B_T6_T7_T9_mT8_S1D_bDpT10_ENKUlT_T0_E_clISt17integral_constantIbLb0EES1Q_EEDaS1L_S1M_EUlS1L_E_NS1_11comp_targetILNS1_3genE3ELNS1_11target_archE908ELNS1_3gpuE7ELNS1_3repE0EEENS1_30default_config_static_selectorELNS0_4arch9wavefront6targetE1EEEvSZ_.kd
    .uniform_work_group_size: 1
    .uses_dynamic_stack: false
    .vgpr_count:     0
    .vgpr_spill_count: 0
    .wavefront_size: 64
  - .args:
      - .offset:         0
        .size:           144
        .value_kind:     by_value
    .group_segment_fixed_size: 13320
    .kernarg_segment_align: 8
    .kernarg_segment_size: 144
    .language:       OpenCL C
    .language_version:
      - 2
      - 0
    .max_flat_workgroup_size: 256
    .name:           _ZN7rocprim17ROCPRIM_400000_NS6detail17trampoline_kernelINS0_13select_configILj256ELj13ELNS0_17block_load_methodE3ELS4_3ELS4_3ELNS0_20block_scan_algorithmE0ELj4294967295EEENS1_25partition_config_selectorILNS1_17partition_subalgoE3EjNS0_10empty_typeEbEEZZNS1_14partition_implILS8_3ELb0ES6_jNS0_17counting_iteratorIjlEEPS9_SE_NS0_5tupleIJPjSE_EEENSF_IJSE_SE_EEES9_SG_JZNS1_25segmented_radix_sort_implINS0_14default_configELb0EPK6__halfPSL_PKlPlN2at6native12_GLOBAL__N_18offset_tEEE10hipError_tPvRmT1_PNSt15iterator_traitsISZ_E10value_typeET2_T3_PNS10_IS15_E10value_typeET4_jRbjT5_S1B_jjP12ihipStream_tbEUljE_EEESW_SX_SY_S15_S19_S1B_T6_T7_T9_mT8_S1D_bDpT10_ENKUlT_T0_E_clISt17integral_constantIbLb0EES1Q_EEDaS1L_S1M_EUlS1L_E_NS1_11comp_targetILNS1_3genE2ELNS1_11target_archE906ELNS1_3gpuE6ELNS1_3repE0EEENS1_30default_config_static_selectorELNS0_4arch9wavefront6targetE1EEEvSZ_
    .private_segment_fixed_size: 0
    .sgpr_count:     52
    .sgpr_spill_count: 0
    .symbol:         _ZN7rocprim17ROCPRIM_400000_NS6detail17trampoline_kernelINS0_13select_configILj256ELj13ELNS0_17block_load_methodE3ELS4_3ELS4_3ELNS0_20block_scan_algorithmE0ELj4294967295EEENS1_25partition_config_selectorILNS1_17partition_subalgoE3EjNS0_10empty_typeEbEEZZNS1_14partition_implILS8_3ELb0ES6_jNS0_17counting_iteratorIjlEEPS9_SE_NS0_5tupleIJPjSE_EEENSF_IJSE_SE_EEES9_SG_JZNS1_25segmented_radix_sort_implINS0_14default_configELb0EPK6__halfPSL_PKlPlN2at6native12_GLOBAL__N_18offset_tEEE10hipError_tPvRmT1_PNSt15iterator_traitsISZ_E10value_typeET2_T3_PNS10_IS15_E10value_typeET4_jRbjT5_S1B_jjP12ihipStream_tbEUljE_EEESW_SX_SY_S15_S19_S1B_T6_T7_T9_mT8_S1D_bDpT10_ENKUlT_T0_E_clISt17integral_constantIbLb0EES1Q_EEDaS1L_S1M_EUlS1L_E_NS1_11comp_targetILNS1_3genE2ELNS1_11target_archE906ELNS1_3gpuE6ELNS1_3repE0EEENS1_30default_config_static_selectorELNS0_4arch9wavefront6targetE1EEEvSZ_.kd
    .uniform_work_group_size: 1
    .uses_dynamic_stack: false
    .vgpr_count:     69
    .vgpr_spill_count: 0
    .wavefront_size: 64
  - .args:
      - .offset:         0
        .size:           144
        .value_kind:     by_value
    .group_segment_fixed_size: 0
    .kernarg_segment_align: 8
    .kernarg_segment_size: 144
    .language:       OpenCL C
    .language_version:
      - 2
      - 0
    .max_flat_workgroup_size: 256
    .name:           _ZN7rocprim17ROCPRIM_400000_NS6detail17trampoline_kernelINS0_13select_configILj256ELj13ELNS0_17block_load_methodE3ELS4_3ELS4_3ELNS0_20block_scan_algorithmE0ELj4294967295EEENS1_25partition_config_selectorILNS1_17partition_subalgoE3EjNS0_10empty_typeEbEEZZNS1_14partition_implILS8_3ELb0ES6_jNS0_17counting_iteratorIjlEEPS9_SE_NS0_5tupleIJPjSE_EEENSF_IJSE_SE_EEES9_SG_JZNS1_25segmented_radix_sort_implINS0_14default_configELb0EPK6__halfPSL_PKlPlN2at6native12_GLOBAL__N_18offset_tEEE10hipError_tPvRmT1_PNSt15iterator_traitsISZ_E10value_typeET2_T3_PNS10_IS15_E10value_typeET4_jRbjT5_S1B_jjP12ihipStream_tbEUljE_EEESW_SX_SY_S15_S19_S1B_T6_T7_T9_mT8_S1D_bDpT10_ENKUlT_T0_E_clISt17integral_constantIbLb0EES1Q_EEDaS1L_S1M_EUlS1L_E_NS1_11comp_targetILNS1_3genE10ELNS1_11target_archE1200ELNS1_3gpuE4ELNS1_3repE0EEENS1_30default_config_static_selectorELNS0_4arch9wavefront6targetE1EEEvSZ_
    .private_segment_fixed_size: 0
    .sgpr_count:     4
    .sgpr_spill_count: 0
    .symbol:         _ZN7rocprim17ROCPRIM_400000_NS6detail17trampoline_kernelINS0_13select_configILj256ELj13ELNS0_17block_load_methodE3ELS4_3ELS4_3ELNS0_20block_scan_algorithmE0ELj4294967295EEENS1_25partition_config_selectorILNS1_17partition_subalgoE3EjNS0_10empty_typeEbEEZZNS1_14partition_implILS8_3ELb0ES6_jNS0_17counting_iteratorIjlEEPS9_SE_NS0_5tupleIJPjSE_EEENSF_IJSE_SE_EEES9_SG_JZNS1_25segmented_radix_sort_implINS0_14default_configELb0EPK6__halfPSL_PKlPlN2at6native12_GLOBAL__N_18offset_tEEE10hipError_tPvRmT1_PNSt15iterator_traitsISZ_E10value_typeET2_T3_PNS10_IS15_E10value_typeET4_jRbjT5_S1B_jjP12ihipStream_tbEUljE_EEESW_SX_SY_S15_S19_S1B_T6_T7_T9_mT8_S1D_bDpT10_ENKUlT_T0_E_clISt17integral_constantIbLb0EES1Q_EEDaS1L_S1M_EUlS1L_E_NS1_11comp_targetILNS1_3genE10ELNS1_11target_archE1200ELNS1_3gpuE4ELNS1_3repE0EEENS1_30default_config_static_selectorELNS0_4arch9wavefront6targetE1EEEvSZ_.kd
    .uniform_work_group_size: 1
    .uses_dynamic_stack: false
    .vgpr_count:     0
    .vgpr_spill_count: 0
    .wavefront_size: 64
  - .args:
      - .offset:         0
        .size:           144
        .value_kind:     by_value
    .group_segment_fixed_size: 0
    .kernarg_segment_align: 8
    .kernarg_segment_size: 144
    .language:       OpenCL C
    .language_version:
      - 2
      - 0
    .max_flat_workgroup_size: 256
    .name:           _ZN7rocprim17ROCPRIM_400000_NS6detail17trampoline_kernelINS0_13select_configILj256ELj13ELNS0_17block_load_methodE3ELS4_3ELS4_3ELNS0_20block_scan_algorithmE0ELj4294967295EEENS1_25partition_config_selectorILNS1_17partition_subalgoE3EjNS0_10empty_typeEbEEZZNS1_14partition_implILS8_3ELb0ES6_jNS0_17counting_iteratorIjlEEPS9_SE_NS0_5tupleIJPjSE_EEENSF_IJSE_SE_EEES9_SG_JZNS1_25segmented_radix_sort_implINS0_14default_configELb0EPK6__halfPSL_PKlPlN2at6native12_GLOBAL__N_18offset_tEEE10hipError_tPvRmT1_PNSt15iterator_traitsISZ_E10value_typeET2_T3_PNS10_IS15_E10value_typeET4_jRbjT5_S1B_jjP12ihipStream_tbEUljE_EEESW_SX_SY_S15_S19_S1B_T6_T7_T9_mT8_S1D_bDpT10_ENKUlT_T0_E_clISt17integral_constantIbLb0EES1Q_EEDaS1L_S1M_EUlS1L_E_NS1_11comp_targetILNS1_3genE9ELNS1_11target_archE1100ELNS1_3gpuE3ELNS1_3repE0EEENS1_30default_config_static_selectorELNS0_4arch9wavefront6targetE1EEEvSZ_
    .private_segment_fixed_size: 0
    .sgpr_count:     4
    .sgpr_spill_count: 0
    .symbol:         _ZN7rocprim17ROCPRIM_400000_NS6detail17trampoline_kernelINS0_13select_configILj256ELj13ELNS0_17block_load_methodE3ELS4_3ELS4_3ELNS0_20block_scan_algorithmE0ELj4294967295EEENS1_25partition_config_selectorILNS1_17partition_subalgoE3EjNS0_10empty_typeEbEEZZNS1_14partition_implILS8_3ELb0ES6_jNS0_17counting_iteratorIjlEEPS9_SE_NS0_5tupleIJPjSE_EEENSF_IJSE_SE_EEES9_SG_JZNS1_25segmented_radix_sort_implINS0_14default_configELb0EPK6__halfPSL_PKlPlN2at6native12_GLOBAL__N_18offset_tEEE10hipError_tPvRmT1_PNSt15iterator_traitsISZ_E10value_typeET2_T3_PNS10_IS15_E10value_typeET4_jRbjT5_S1B_jjP12ihipStream_tbEUljE_EEESW_SX_SY_S15_S19_S1B_T6_T7_T9_mT8_S1D_bDpT10_ENKUlT_T0_E_clISt17integral_constantIbLb0EES1Q_EEDaS1L_S1M_EUlS1L_E_NS1_11comp_targetILNS1_3genE9ELNS1_11target_archE1100ELNS1_3gpuE3ELNS1_3repE0EEENS1_30default_config_static_selectorELNS0_4arch9wavefront6targetE1EEEvSZ_.kd
    .uniform_work_group_size: 1
    .uses_dynamic_stack: false
    .vgpr_count:     0
    .vgpr_spill_count: 0
    .wavefront_size: 64
  - .args:
      - .offset:         0
        .size:           144
        .value_kind:     by_value
    .group_segment_fixed_size: 0
    .kernarg_segment_align: 8
    .kernarg_segment_size: 144
    .language:       OpenCL C
    .language_version:
      - 2
      - 0
    .max_flat_workgroup_size: 256
    .name:           _ZN7rocprim17ROCPRIM_400000_NS6detail17trampoline_kernelINS0_13select_configILj256ELj13ELNS0_17block_load_methodE3ELS4_3ELS4_3ELNS0_20block_scan_algorithmE0ELj4294967295EEENS1_25partition_config_selectorILNS1_17partition_subalgoE3EjNS0_10empty_typeEbEEZZNS1_14partition_implILS8_3ELb0ES6_jNS0_17counting_iteratorIjlEEPS9_SE_NS0_5tupleIJPjSE_EEENSF_IJSE_SE_EEES9_SG_JZNS1_25segmented_radix_sort_implINS0_14default_configELb0EPK6__halfPSL_PKlPlN2at6native12_GLOBAL__N_18offset_tEEE10hipError_tPvRmT1_PNSt15iterator_traitsISZ_E10value_typeET2_T3_PNS10_IS15_E10value_typeET4_jRbjT5_S1B_jjP12ihipStream_tbEUljE_EEESW_SX_SY_S15_S19_S1B_T6_T7_T9_mT8_S1D_bDpT10_ENKUlT_T0_E_clISt17integral_constantIbLb0EES1Q_EEDaS1L_S1M_EUlS1L_E_NS1_11comp_targetILNS1_3genE8ELNS1_11target_archE1030ELNS1_3gpuE2ELNS1_3repE0EEENS1_30default_config_static_selectorELNS0_4arch9wavefront6targetE1EEEvSZ_
    .private_segment_fixed_size: 0
    .sgpr_count:     4
    .sgpr_spill_count: 0
    .symbol:         _ZN7rocprim17ROCPRIM_400000_NS6detail17trampoline_kernelINS0_13select_configILj256ELj13ELNS0_17block_load_methodE3ELS4_3ELS4_3ELNS0_20block_scan_algorithmE0ELj4294967295EEENS1_25partition_config_selectorILNS1_17partition_subalgoE3EjNS0_10empty_typeEbEEZZNS1_14partition_implILS8_3ELb0ES6_jNS0_17counting_iteratorIjlEEPS9_SE_NS0_5tupleIJPjSE_EEENSF_IJSE_SE_EEES9_SG_JZNS1_25segmented_radix_sort_implINS0_14default_configELb0EPK6__halfPSL_PKlPlN2at6native12_GLOBAL__N_18offset_tEEE10hipError_tPvRmT1_PNSt15iterator_traitsISZ_E10value_typeET2_T3_PNS10_IS15_E10value_typeET4_jRbjT5_S1B_jjP12ihipStream_tbEUljE_EEESW_SX_SY_S15_S19_S1B_T6_T7_T9_mT8_S1D_bDpT10_ENKUlT_T0_E_clISt17integral_constantIbLb0EES1Q_EEDaS1L_S1M_EUlS1L_E_NS1_11comp_targetILNS1_3genE8ELNS1_11target_archE1030ELNS1_3gpuE2ELNS1_3repE0EEENS1_30default_config_static_selectorELNS0_4arch9wavefront6targetE1EEEvSZ_.kd
    .uniform_work_group_size: 1
    .uses_dynamic_stack: false
    .vgpr_count:     0
    .vgpr_spill_count: 0
    .wavefront_size: 64
  - .args:
      - .offset:         0
        .size:           152
        .value_kind:     by_value
    .group_segment_fixed_size: 0
    .kernarg_segment_align: 8
    .kernarg_segment_size: 152
    .language:       OpenCL C
    .language_version:
      - 2
      - 0
    .max_flat_workgroup_size: 256
    .name:           _ZN7rocprim17ROCPRIM_400000_NS6detail17trampoline_kernelINS0_13select_configILj256ELj13ELNS0_17block_load_methodE3ELS4_3ELS4_3ELNS0_20block_scan_algorithmE0ELj4294967295EEENS1_25partition_config_selectorILNS1_17partition_subalgoE3EjNS0_10empty_typeEbEEZZNS1_14partition_implILS8_3ELb0ES6_jNS0_17counting_iteratorIjlEEPS9_SE_NS0_5tupleIJPjSE_EEENSF_IJSE_SE_EEES9_SG_JZNS1_25segmented_radix_sort_implINS0_14default_configELb0EPK6__halfPSL_PKlPlN2at6native12_GLOBAL__N_18offset_tEEE10hipError_tPvRmT1_PNSt15iterator_traitsISZ_E10value_typeET2_T3_PNS10_IS15_E10value_typeET4_jRbjT5_S1B_jjP12ihipStream_tbEUljE_EEESW_SX_SY_S15_S19_S1B_T6_T7_T9_mT8_S1D_bDpT10_ENKUlT_T0_E_clISt17integral_constantIbLb1EES1Q_EEDaS1L_S1M_EUlS1L_E_NS1_11comp_targetILNS1_3genE0ELNS1_11target_archE4294967295ELNS1_3gpuE0ELNS1_3repE0EEENS1_30default_config_static_selectorELNS0_4arch9wavefront6targetE1EEEvSZ_
    .private_segment_fixed_size: 0
    .sgpr_count:     4
    .sgpr_spill_count: 0
    .symbol:         _ZN7rocprim17ROCPRIM_400000_NS6detail17trampoline_kernelINS0_13select_configILj256ELj13ELNS0_17block_load_methodE3ELS4_3ELS4_3ELNS0_20block_scan_algorithmE0ELj4294967295EEENS1_25partition_config_selectorILNS1_17partition_subalgoE3EjNS0_10empty_typeEbEEZZNS1_14partition_implILS8_3ELb0ES6_jNS0_17counting_iteratorIjlEEPS9_SE_NS0_5tupleIJPjSE_EEENSF_IJSE_SE_EEES9_SG_JZNS1_25segmented_radix_sort_implINS0_14default_configELb0EPK6__halfPSL_PKlPlN2at6native12_GLOBAL__N_18offset_tEEE10hipError_tPvRmT1_PNSt15iterator_traitsISZ_E10value_typeET2_T3_PNS10_IS15_E10value_typeET4_jRbjT5_S1B_jjP12ihipStream_tbEUljE_EEESW_SX_SY_S15_S19_S1B_T6_T7_T9_mT8_S1D_bDpT10_ENKUlT_T0_E_clISt17integral_constantIbLb1EES1Q_EEDaS1L_S1M_EUlS1L_E_NS1_11comp_targetILNS1_3genE0ELNS1_11target_archE4294967295ELNS1_3gpuE0ELNS1_3repE0EEENS1_30default_config_static_selectorELNS0_4arch9wavefront6targetE1EEEvSZ_.kd
    .uniform_work_group_size: 1
    .uses_dynamic_stack: false
    .vgpr_count:     0
    .vgpr_spill_count: 0
    .wavefront_size: 64
  - .args:
      - .offset:         0
        .size:           152
        .value_kind:     by_value
    .group_segment_fixed_size: 0
    .kernarg_segment_align: 8
    .kernarg_segment_size: 152
    .language:       OpenCL C
    .language_version:
      - 2
      - 0
    .max_flat_workgroup_size: 256
    .name:           _ZN7rocprim17ROCPRIM_400000_NS6detail17trampoline_kernelINS0_13select_configILj256ELj13ELNS0_17block_load_methodE3ELS4_3ELS4_3ELNS0_20block_scan_algorithmE0ELj4294967295EEENS1_25partition_config_selectorILNS1_17partition_subalgoE3EjNS0_10empty_typeEbEEZZNS1_14partition_implILS8_3ELb0ES6_jNS0_17counting_iteratorIjlEEPS9_SE_NS0_5tupleIJPjSE_EEENSF_IJSE_SE_EEES9_SG_JZNS1_25segmented_radix_sort_implINS0_14default_configELb0EPK6__halfPSL_PKlPlN2at6native12_GLOBAL__N_18offset_tEEE10hipError_tPvRmT1_PNSt15iterator_traitsISZ_E10value_typeET2_T3_PNS10_IS15_E10value_typeET4_jRbjT5_S1B_jjP12ihipStream_tbEUljE_EEESW_SX_SY_S15_S19_S1B_T6_T7_T9_mT8_S1D_bDpT10_ENKUlT_T0_E_clISt17integral_constantIbLb1EES1Q_EEDaS1L_S1M_EUlS1L_E_NS1_11comp_targetILNS1_3genE5ELNS1_11target_archE942ELNS1_3gpuE9ELNS1_3repE0EEENS1_30default_config_static_selectorELNS0_4arch9wavefront6targetE1EEEvSZ_
    .private_segment_fixed_size: 0
    .sgpr_count:     4
    .sgpr_spill_count: 0
    .symbol:         _ZN7rocprim17ROCPRIM_400000_NS6detail17trampoline_kernelINS0_13select_configILj256ELj13ELNS0_17block_load_methodE3ELS4_3ELS4_3ELNS0_20block_scan_algorithmE0ELj4294967295EEENS1_25partition_config_selectorILNS1_17partition_subalgoE3EjNS0_10empty_typeEbEEZZNS1_14partition_implILS8_3ELb0ES6_jNS0_17counting_iteratorIjlEEPS9_SE_NS0_5tupleIJPjSE_EEENSF_IJSE_SE_EEES9_SG_JZNS1_25segmented_radix_sort_implINS0_14default_configELb0EPK6__halfPSL_PKlPlN2at6native12_GLOBAL__N_18offset_tEEE10hipError_tPvRmT1_PNSt15iterator_traitsISZ_E10value_typeET2_T3_PNS10_IS15_E10value_typeET4_jRbjT5_S1B_jjP12ihipStream_tbEUljE_EEESW_SX_SY_S15_S19_S1B_T6_T7_T9_mT8_S1D_bDpT10_ENKUlT_T0_E_clISt17integral_constantIbLb1EES1Q_EEDaS1L_S1M_EUlS1L_E_NS1_11comp_targetILNS1_3genE5ELNS1_11target_archE942ELNS1_3gpuE9ELNS1_3repE0EEENS1_30default_config_static_selectorELNS0_4arch9wavefront6targetE1EEEvSZ_.kd
    .uniform_work_group_size: 1
    .uses_dynamic_stack: false
    .vgpr_count:     0
    .vgpr_spill_count: 0
    .wavefront_size: 64
  - .args:
      - .offset:         0
        .size:           152
        .value_kind:     by_value
    .group_segment_fixed_size: 0
    .kernarg_segment_align: 8
    .kernarg_segment_size: 152
    .language:       OpenCL C
    .language_version:
      - 2
      - 0
    .max_flat_workgroup_size: 256
    .name:           _ZN7rocprim17ROCPRIM_400000_NS6detail17trampoline_kernelINS0_13select_configILj256ELj13ELNS0_17block_load_methodE3ELS4_3ELS4_3ELNS0_20block_scan_algorithmE0ELj4294967295EEENS1_25partition_config_selectorILNS1_17partition_subalgoE3EjNS0_10empty_typeEbEEZZNS1_14partition_implILS8_3ELb0ES6_jNS0_17counting_iteratorIjlEEPS9_SE_NS0_5tupleIJPjSE_EEENSF_IJSE_SE_EEES9_SG_JZNS1_25segmented_radix_sort_implINS0_14default_configELb0EPK6__halfPSL_PKlPlN2at6native12_GLOBAL__N_18offset_tEEE10hipError_tPvRmT1_PNSt15iterator_traitsISZ_E10value_typeET2_T3_PNS10_IS15_E10value_typeET4_jRbjT5_S1B_jjP12ihipStream_tbEUljE_EEESW_SX_SY_S15_S19_S1B_T6_T7_T9_mT8_S1D_bDpT10_ENKUlT_T0_E_clISt17integral_constantIbLb1EES1Q_EEDaS1L_S1M_EUlS1L_E_NS1_11comp_targetILNS1_3genE4ELNS1_11target_archE910ELNS1_3gpuE8ELNS1_3repE0EEENS1_30default_config_static_selectorELNS0_4arch9wavefront6targetE1EEEvSZ_
    .private_segment_fixed_size: 0
    .sgpr_count:     4
    .sgpr_spill_count: 0
    .symbol:         _ZN7rocprim17ROCPRIM_400000_NS6detail17trampoline_kernelINS0_13select_configILj256ELj13ELNS0_17block_load_methodE3ELS4_3ELS4_3ELNS0_20block_scan_algorithmE0ELj4294967295EEENS1_25partition_config_selectorILNS1_17partition_subalgoE3EjNS0_10empty_typeEbEEZZNS1_14partition_implILS8_3ELb0ES6_jNS0_17counting_iteratorIjlEEPS9_SE_NS0_5tupleIJPjSE_EEENSF_IJSE_SE_EEES9_SG_JZNS1_25segmented_radix_sort_implINS0_14default_configELb0EPK6__halfPSL_PKlPlN2at6native12_GLOBAL__N_18offset_tEEE10hipError_tPvRmT1_PNSt15iterator_traitsISZ_E10value_typeET2_T3_PNS10_IS15_E10value_typeET4_jRbjT5_S1B_jjP12ihipStream_tbEUljE_EEESW_SX_SY_S15_S19_S1B_T6_T7_T9_mT8_S1D_bDpT10_ENKUlT_T0_E_clISt17integral_constantIbLb1EES1Q_EEDaS1L_S1M_EUlS1L_E_NS1_11comp_targetILNS1_3genE4ELNS1_11target_archE910ELNS1_3gpuE8ELNS1_3repE0EEENS1_30default_config_static_selectorELNS0_4arch9wavefront6targetE1EEEvSZ_.kd
    .uniform_work_group_size: 1
    .uses_dynamic_stack: false
    .vgpr_count:     0
    .vgpr_spill_count: 0
    .wavefront_size: 64
  - .args:
      - .offset:         0
        .size:           152
        .value_kind:     by_value
    .group_segment_fixed_size: 0
    .kernarg_segment_align: 8
    .kernarg_segment_size: 152
    .language:       OpenCL C
    .language_version:
      - 2
      - 0
    .max_flat_workgroup_size: 256
    .name:           _ZN7rocprim17ROCPRIM_400000_NS6detail17trampoline_kernelINS0_13select_configILj256ELj13ELNS0_17block_load_methodE3ELS4_3ELS4_3ELNS0_20block_scan_algorithmE0ELj4294967295EEENS1_25partition_config_selectorILNS1_17partition_subalgoE3EjNS0_10empty_typeEbEEZZNS1_14partition_implILS8_3ELb0ES6_jNS0_17counting_iteratorIjlEEPS9_SE_NS0_5tupleIJPjSE_EEENSF_IJSE_SE_EEES9_SG_JZNS1_25segmented_radix_sort_implINS0_14default_configELb0EPK6__halfPSL_PKlPlN2at6native12_GLOBAL__N_18offset_tEEE10hipError_tPvRmT1_PNSt15iterator_traitsISZ_E10value_typeET2_T3_PNS10_IS15_E10value_typeET4_jRbjT5_S1B_jjP12ihipStream_tbEUljE_EEESW_SX_SY_S15_S19_S1B_T6_T7_T9_mT8_S1D_bDpT10_ENKUlT_T0_E_clISt17integral_constantIbLb1EES1Q_EEDaS1L_S1M_EUlS1L_E_NS1_11comp_targetILNS1_3genE3ELNS1_11target_archE908ELNS1_3gpuE7ELNS1_3repE0EEENS1_30default_config_static_selectorELNS0_4arch9wavefront6targetE1EEEvSZ_
    .private_segment_fixed_size: 0
    .sgpr_count:     4
    .sgpr_spill_count: 0
    .symbol:         _ZN7rocprim17ROCPRIM_400000_NS6detail17trampoline_kernelINS0_13select_configILj256ELj13ELNS0_17block_load_methodE3ELS4_3ELS4_3ELNS0_20block_scan_algorithmE0ELj4294967295EEENS1_25partition_config_selectorILNS1_17partition_subalgoE3EjNS0_10empty_typeEbEEZZNS1_14partition_implILS8_3ELb0ES6_jNS0_17counting_iteratorIjlEEPS9_SE_NS0_5tupleIJPjSE_EEENSF_IJSE_SE_EEES9_SG_JZNS1_25segmented_radix_sort_implINS0_14default_configELb0EPK6__halfPSL_PKlPlN2at6native12_GLOBAL__N_18offset_tEEE10hipError_tPvRmT1_PNSt15iterator_traitsISZ_E10value_typeET2_T3_PNS10_IS15_E10value_typeET4_jRbjT5_S1B_jjP12ihipStream_tbEUljE_EEESW_SX_SY_S15_S19_S1B_T6_T7_T9_mT8_S1D_bDpT10_ENKUlT_T0_E_clISt17integral_constantIbLb1EES1Q_EEDaS1L_S1M_EUlS1L_E_NS1_11comp_targetILNS1_3genE3ELNS1_11target_archE908ELNS1_3gpuE7ELNS1_3repE0EEENS1_30default_config_static_selectorELNS0_4arch9wavefront6targetE1EEEvSZ_.kd
    .uniform_work_group_size: 1
    .uses_dynamic_stack: false
    .vgpr_count:     0
    .vgpr_spill_count: 0
    .wavefront_size: 64
  - .args:
      - .offset:         0
        .size:           152
        .value_kind:     by_value
    .group_segment_fixed_size: 0
    .kernarg_segment_align: 8
    .kernarg_segment_size: 152
    .language:       OpenCL C
    .language_version:
      - 2
      - 0
    .max_flat_workgroup_size: 256
    .name:           _ZN7rocprim17ROCPRIM_400000_NS6detail17trampoline_kernelINS0_13select_configILj256ELj13ELNS0_17block_load_methodE3ELS4_3ELS4_3ELNS0_20block_scan_algorithmE0ELj4294967295EEENS1_25partition_config_selectorILNS1_17partition_subalgoE3EjNS0_10empty_typeEbEEZZNS1_14partition_implILS8_3ELb0ES6_jNS0_17counting_iteratorIjlEEPS9_SE_NS0_5tupleIJPjSE_EEENSF_IJSE_SE_EEES9_SG_JZNS1_25segmented_radix_sort_implINS0_14default_configELb0EPK6__halfPSL_PKlPlN2at6native12_GLOBAL__N_18offset_tEEE10hipError_tPvRmT1_PNSt15iterator_traitsISZ_E10value_typeET2_T3_PNS10_IS15_E10value_typeET4_jRbjT5_S1B_jjP12ihipStream_tbEUljE_EEESW_SX_SY_S15_S19_S1B_T6_T7_T9_mT8_S1D_bDpT10_ENKUlT_T0_E_clISt17integral_constantIbLb1EES1Q_EEDaS1L_S1M_EUlS1L_E_NS1_11comp_targetILNS1_3genE2ELNS1_11target_archE906ELNS1_3gpuE6ELNS1_3repE0EEENS1_30default_config_static_selectorELNS0_4arch9wavefront6targetE1EEEvSZ_
    .private_segment_fixed_size: 0
    .sgpr_count:     4
    .sgpr_spill_count: 0
    .symbol:         _ZN7rocprim17ROCPRIM_400000_NS6detail17trampoline_kernelINS0_13select_configILj256ELj13ELNS0_17block_load_methodE3ELS4_3ELS4_3ELNS0_20block_scan_algorithmE0ELj4294967295EEENS1_25partition_config_selectorILNS1_17partition_subalgoE3EjNS0_10empty_typeEbEEZZNS1_14partition_implILS8_3ELb0ES6_jNS0_17counting_iteratorIjlEEPS9_SE_NS0_5tupleIJPjSE_EEENSF_IJSE_SE_EEES9_SG_JZNS1_25segmented_radix_sort_implINS0_14default_configELb0EPK6__halfPSL_PKlPlN2at6native12_GLOBAL__N_18offset_tEEE10hipError_tPvRmT1_PNSt15iterator_traitsISZ_E10value_typeET2_T3_PNS10_IS15_E10value_typeET4_jRbjT5_S1B_jjP12ihipStream_tbEUljE_EEESW_SX_SY_S15_S19_S1B_T6_T7_T9_mT8_S1D_bDpT10_ENKUlT_T0_E_clISt17integral_constantIbLb1EES1Q_EEDaS1L_S1M_EUlS1L_E_NS1_11comp_targetILNS1_3genE2ELNS1_11target_archE906ELNS1_3gpuE6ELNS1_3repE0EEENS1_30default_config_static_selectorELNS0_4arch9wavefront6targetE1EEEvSZ_.kd
    .uniform_work_group_size: 1
    .uses_dynamic_stack: false
    .vgpr_count:     0
    .vgpr_spill_count: 0
    .wavefront_size: 64
  - .args:
      - .offset:         0
        .size:           152
        .value_kind:     by_value
    .group_segment_fixed_size: 0
    .kernarg_segment_align: 8
    .kernarg_segment_size: 152
    .language:       OpenCL C
    .language_version:
      - 2
      - 0
    .max_flat_workgroup_size: 256
    .name:           _ZN7rocprim17ROCPRIM_400000_NS6detail17trampoline_kernelINS0_13select_configILj256ELj13ELNS0_17block_load_methodE3ELS4_3ELS4_3ELNS0_20block_scan_algorithmE0ELj4294967295EEENS1_25partition_config_selectorILNS1_17partition_subalgoE3EjNS0_10empty_typeEbEEZZNS1_14partition_implILS8_3ELb0ES6_jNS0_17counting_iteratorIjlEEPS9_SE_NS0_5tupleIJPjSE_EEENSF_IJSE_SE_EEES9_SG_JZNS1_25segmented_radix_sort_implINS0_14default_configELb0EPK6__halfPSL_PKlPlN2at6native12_GLOBAL__N_18offset_tEEE10hipError_tPvRmT1_PNSt15iterator_traitsISZ_E10value_typeET2_T3_PNS10_IS15_E10value_typeET4_jRbjT5_S1B_jjP12ihipStream_tbEUljE_EEESW_SX_SY_S15_S19_S1B_T6_T7_T9_mT8_S1D_bDpT10_ENKUlT_T0_E_clISt17integral_constantIbLb1EES1Q_EEDaS1L_S1M_EUlS1L_E_NS1_11comp_targetILNS1_3genE10ELNS1_11target_archE1200ELNS1_3gpuE4ELNS1_3repE0EEENS1_30default_config_static_selectorELNS0_4arch9wavefront6targetE1EEEvSZ_
    .private_segment_fixed_size: 0
    .sgpr_count:     4
    .sgpr_spill_count: 0
    .symbol:         _ZN7rocprim17ROCPRIM_400000_NS6detail17trampoline_kernelINS0_13select_configILj256ELj13ELNS0_17block_load_methodE3ELS4_3ELS4_3ELNS0_20block_scan_algorithmE0ELj4294967295EEENS1_25partition_config_selectorILNS1_17partition_subalgoE3EjNS0_10empty_typeEbEEZZNS1_14partition_implILS8_3ELb0ES6_jNS0_17counting_iteratorIjlEEPS9_SE_NS0_5tupleIJPjSE_EEENSF_IJSE_SE_EEES9_SG_JZNS1_25segmented_radix_sort_implINS0_14default_configELb0EPK6__halfPSL_PKlPlN2at6native12_GLOBAL__N_18offset_tEEE10hipError_tPvRmT1_PNSt15iterator_traitsISZ_E10value_typeET2_T3_PNS10_IS15_E10value_typeET4_jRbjT5_S1B_jjP12ihipStream_tbEUljE_EEESW_SX_SY_S15_S19_S1B_T6_T7_T9_mT8_S1D_bDpT10_ENKUlT_T0_E_clISt17integral_constantIbLb1EES1Q_EEDaS1L_S1M_EUlS1L_E_NS1_11comp_targetILNS1_3genE10ELNS1_11target_archE1200ELNS1_3gpuE4ELNS1_3repE0EEENS1_30default_config_static_selectorELNS0_4arch9wavefront6targetE1EEEvSZ_.kd
    .uniform_work_group_size: 1
    .uses_dynamic_stack: false
    .vgpr_count:     0
    .vgpr_spill_count: 0
    .wavefront_size: 64
  - .args:
      - .offset:         0
        .size:           152
        .value_kind:     by_value
    .group_segment_fixed_size: 0
    .kernarg_segment_align: 8
    .kernarg_segment_size: 152
    .language:       OpenCL C
    .language_version:
      - 2
      - 0
    .max_flat_workgroup_size: 256
    .name:           _ZN7rocprim17ROCPRIM_400000_NS6detail17trampoline_kernelINS0_13select_configILj256ELj13ELNS0_17block_load_methodE3ELS4_3ELS4_3ELNS0_20block_scan_algorithmE0ELj4294967295EEENS1_25partition_config_selectorILNS1_17partition_subalgoE3EjNS0_10empty_typeEbEEZZNS1_14partition_implILS8_3ELb0ES6_jNS0_17counting_iteratorIjlEEPS9_SE_NS0_5tupleIJPjSE_EEENSF_IJSE_SE_EEES9_SG_JZNS1_25segmented_radix_sort_implINS0_14default_configELb0EPK6__halfPSL_PKlPlN2at6native12_GLOBAL__N_18offset_tEEE10hipError_tPvRmT1_PNSt15iterator_traitsISZ_E10value_typeET2_T3_PNS10_IS15_E10value_typeET4_jRbjT5_S1B_jjP12ihipStream_tbEUljE_EEESW_SX_SY_S15_S19_S1B_T6_T7_T9_mT8_S1D_bDpT10_ENKUlT_T0_E_clISt17integral_constantIbLb1EES1Q_EEDaS1L_S1M_EUlS1L_E_NS1_11comp_targetILNS1_3genE9ELNS1_11target_archE1100ELNS1_3gpuE3ELNS1_3repE0EEENS1_30default_config_static_selectorELNS0_4arch9wavefront6targetE1EEEvSZ_
    .private_segment_fixed_size: 0
    .sgpr_count:     4
    .sgpr_spill_count: 0
    .symbol:         _ZN7rocprim17ROCPRIM_400000_NS6detail17trampoline_kernelINS0_13select_configILj256ELj13ELNS0_17block_load_methodE3ELS4_3ELS4_3ELNS0_20block_scan_algorithmE0ELj4294967295EEENS1_25partition_config_selectorILNS1_17partition_subalgoE3EjNS0_10empty_typeEbEEZZNS1_14partition_implILS8_3ELb0ES6_jNS0_17counting_iteratorIjlEEPS9_SE_NS0_5tupleIJPjSE_EEENSF_IJSE_SE_EEES9_SG_JZNS1_25segmented_radix_sort_implINS0_14default_configELb0EPK6__halfPSL_PKlPlN2at6native12_GLOBAL__N_18offset_tEEE10hipError_tPvRmT1_PNSt15iterator_traitsISZ_E10value_typeET2_T3_PNS10_IS15_E10value_typeET4_jRbjT5_S1B_jjP12ihipStream_tbEUljE_EEESW_SX_SY_S15_S19_S1B_T6_T7_T9_mT8_S1D_bDpT10_ENKUlT_T0_E_clISt17integral_constantIbLb1EES1Q_EEDaS1L_S1M_EUlS1L_E_NS1_11comp_targetILNS1_3genE9ELNS1_11target_archE1100ELNS1_3gpuE3ELNS1_3repE0EEENS1_30default_config_static_selectorELNS0_4arch9wavefront6targetE1EEEvSZ_.kd
    .uniform_work_group_size: 1
    .uses_dynamic_stack: false
    .vgpr_count:     0
    .vgpr_spill_count: 0
    .wavefront_size: 64
  - .args:
      - .offset:         0
        .size:           152
        .value_kind:     by_value
    .group_segment_fixed_size: 0
    .kernarg_segment_align: 8
    .kernarg_segment_size: 152
    .language:       OpenCL C
    .language_version:
      - 2
      - 0
    .max_flat_workgroup_size: 256
    .name:           _ZN7rocprim17ROCPRIM_400000_NS6detail17trampoline_kernelINS0_13select_configILj256ELj13ELNS0_17block_load_methodE3ELS4_3ELS4_3ELNS0_20block_scan_algorithmE0ELj4294967295EEENS1_25partition_config_selectorILNS1_17partition_subalgoE3EjNS0_10empty_typeEbEEZZNS1_14partition_implILS8_3ELb0ES6_jNS0_17counting_iteratorIjlEEPS9_SE_NS0_5tupleIJPjSE_EEENSF_IJSE_SE_EEES9_SG_JZNS1_25segmented_radix_sort_implINS0_14default_configELb0EPK6__halfPSL_PKlPlN2at6native12_GLOBAL__N_18offset_tEEE10hipError_tPvRmT1_PNSt15iterator_traitsISZ_E10value_typeET2_T3_PNS10_IS15_E10value_typeET4_jRbjT5_S1B_jjP12ihipStream_tbEUljE_EEESW_SX_SY_S15_S19_S1B_T6_T7_T9_mT8_S1D_bDpT10_ENKUlT_T0_E_clISt17integral_constantIbLb1EES1Q_EEDaS1L_S1M_EUlS1L_E_NS1_11comp_targetILNS1_3genE8ELNS1_11target_archE1030ELNS1_3gpuE2ELNS1_3repE0EEENS1_30default_config_static_selectorELNS0_4arch9wavefront6targetE1EEEvSZ_
    .private_segment_fixed_size: 0
    .sgpr_count:     4
    .sgpr_spill_count: 0
    .symbol:         _ZN7rocprim17ROCPRIM_400000_NS6detail17trampoline_kernelINS0_13select_configILj256ELj13ELNS0_17block_load_methodE3ELS4_3ELS4_3ELNS0_20block_scan_algorithmE0ELj4294967295EEENS1_25partition_config_selectorILNS1_17partition_subalgoE3EjNS0_10empty_typeEbEEZZNS1_14partition_implILS8_3ELb0ES6_jNS0_17counting_iteratorIjlEEPS9_SE_NS0_5tupleIJPjSE_EEENSF_IJSE_SE_EEES9_SG_JZNS1_25segmented_radix_sort_implINS0_14default_configELb0EPK6__halfPSL_PKlPlN2at6native12_GLOBAL__N_18offset_tEEE10hipError_tPvRmT1_PNSt15iterator_traitsISZ_E10value_typeET2_T3_PNS10_IS15_E10value_typeET4_jRbjT5_S1B_jjP12ihipStream_tbEUljE_EEESW_SX_SY_S15_S19_S1B_T6_T7_T9_mT8_S1D_bDpT10_ENKUlT_T0_E_clISt17integral_constantIbLb1EES1Q_EEDaS1L_S1M_EUlS1L_E_NS1_11comp_targetILNS1_3genE8ELNS1_11target_archE1030ELNS1_3gpuE2ELNS1_3repE0EEENS1_30default_config_static_selectorELNS0_4arch9wavefront6targetE1EEEvSZ_.kd
    .uniform_work_group_size: 1
    .uses_dynamic_stack: false
    .vgpr_count:     0
    .vgpr_spill_count: 0
    .wavefront_size: 64
  - .args:
      - .offset:         0
        .size:           144
        .value_kind:     by_value
    .group_segment_fixed_size: 0
    .kernarg_segment_align: 8
    .kernarg_segment_size: 144
    .language:       OpenCL C
    .language_version:
      - 2
      - 0
    .max_flat_workgroup_size: 256
    .name:           _ZN7rocprim17ROCPRIM_400000_NS6detail17trampoline_kernelINS0_13select_configILj256ELj13ELNS0_17block_load_methodE3ELS4_3ELS4_3ELNS0_20block_scan_algorithmE0ELj4294967295EEENS1_25partition_config_selectorILNS1_17partition_subalgoE3EjNS0_10empty_typeEbEEZZNS1_14partition_implILS8_3ELb0ES6_jNS0_17counting_iteratorIjlEEPS9_SE_NS0_5tupleIJPjSE_EEENSF_IJSE_SE_EEES9_SG_JZNS1_25segmented_radix_sort_implINS0_14default_configELb0EPK6__halfPSL_PKlPlN2at6native12_GLOBAL__N_18offset_tEEE10hipError_tPvRmT1_PNSt15iterator_traitsISZ_E10value_typeET2_T3_PNS10_IS15_E10value_typeET4_jRbjT5_S1B_jjP12ihipStream_tbEUljE_EEESW_SX_SY_S15_S19_S1B_T6_T7_T9_mT8_S1D_bDpT10_ENKUlT_T0_E_clISt17integral_constantIbLb1EES1P_IbLb0EEEEDaS1L_S1M_EUlS1L_E_NS1_11comp_targetILNS1_3genE0ELNS1_11target_archE4294967295ELNS1_3gpuE0ELNS1_3repE0EEENS1_30default_config_static_selectorELNS0_4arch9wavefront6targetE1EEEvSZ_
    .private_segment_fixed_size: 0
    .sgpr_count:     4
    .sgpr_spill_count: 0
    .symbol:         _ZN7rocprim17ROCPRIM_400000_NS6detail17trampoline_kernelINS0_13select_configILj256ELj13ELNS0_17block_load_methodE3ELS4_3ELS4_3ELNS0_20block_scan_algorithmE0ELj4294967295EEENS1_25partition_config_selectorILNS1_17partition_subalgoE3EjNS0_10empty_typeEbEEZZNS1_14partition_implILS8_3ELb0ES6_jNS0_17counting_iteratorIjlEEPS9_SE_NS0_5tupleIJPjSE_EEENSF_IJSE_SE_EEES9_SG_JZNS1_25segmented_radix_sort_implINS0_14default_configELb0EPK6__halfPSL_PKlPlN2at6native12_GLOBAL__N_18offset_tEEE10hipError_tPvRmT1_PNSt15iterator_traitsISZ_E10value_typeET2_T3_PNS10_IS15_E10value_typeET4_jRbjT5_S1B_jjP12ihipStream_tbEUljE_EEESW_SX_SY_S15_S19_S1B_T6_T7_T9_mT8_S1D_bDpT10_ENKUlT_T0_E_clISt17integral_constantIbLb1EES1P_IbLb0EEEEDaS1L_S1M_EUlS1L_E_NS1_11comp_targetILNS1_3genE0ELNS1_11target_archE4294967295ELNS1_3gpuE0ELNS1_3repE0EEENS1_30default_config_static_selectorELNS0_4arch9wavefront6targetE1EEEvSZ_.kd
    .uniform_work_group_size: 1
    .uses_dynamic_stack: false
    .vgpr_count:     0
    .vgpr_spill_count: 0
    .wavefront_size: 64
  - .args:
      - .offset:         0
        .size:           144
        .value_kind:     by_value
    .group_segment_fixed_size: 0
    .kernarg_segment_align: 8
    .kernarg_segment_size: 144
    .language:       OpenCL C
    .language_version:
      - 2
      - 0
    .max_flat_workgroup_size: 256
    .name:           _ZN7rocprim17ROCPRIM_400000_NS6detail17trampoline_kernelINS0_13select_configILj256ELj13ELNS0_17block_load_methodE3ELS4_3ELS4_3ELNS0_20block_scan_algorithmE0ELj4294967295EEENS1_25partition_config_selectorILNS1_17partition_subalgoE3EjNS0_10empty_typeEbEEZZNS1_14partition_implILS8_3ELb0ES6_jNS0_17counting_iteratorIjlEEPS9_SE_NS0_5tupleIJPjSE_EEENSF_IJSE_SE_EEES9_SG_JZNS1_25segmented_radix_sort_implINS0_14default_configELb0EPK6__halfPSL_PKlPlN2at6native12_GLOBAL__N_18offset_tEEE10hipError_tPvRmT1_PNSt15iterator_traitsISZ_E10value_typeET2_T3_PNS10_IS15_E10value_typeET4_jRbjT5_S1B_jjP12ihipStream_tbEUljE_EEESW_SX_SY_S15_S19_S1B_T6_T7_T9_mT8_S1D_bDpT10_ENKUlT_T0_E_clISt17integral_constantIbLb1EES1P_IbLb0EEEEDaS1L_S1M_EUlS1L_E_NS1_11comp_targetILNS1_3genE5ELNS1_11target_archE942ELNS1_3gpuE9ELNS1_3repE0EEENS1_30default_config_static_selectorELNS0_4arch9wavefront6targetE1EEEvSZ_
    .private_segment_fixed_size: 0
    .sgpr_count:     4
    .sgpr_spill_count: 0
    .symbol:         _ZN7rocprim17ROCPRIM_400000_NS6detail17trampoline_kernelINS0_13select_configILj256ELj13ELNS0_17block_load_methodE3ELS4_3ELS4_3ELNS0_20block_scan_algorithmE0ELj4294967295EEENS1_25partition_config_selectorILNS1_17partition_subalgoE3EjNS0_10empty_typeEbEEZZNS1_14partition_implILS8_3ELb0ES6_jNS0_17counting_iteratorIjlEEPS9_SE_NS0_5tupleIJPjSE_EEENSF_IJSE_SE_EEES9_SG_JZNS1_25segmented_radix_sort_implINS0_14default_configELb0EPK6__halfPSL_PKlPlN2at6native12_GLOBAL__N_18offset_tEEE10hipError_tPvRmT1_PNSt15iterator_traitsISZ_E10value_typeET2_T3_PNS10_IS15_E10value_typeET4_jRbjT5_S1B_jjP12ihipStream_tbEUljE_EEESW_SX_SY_S15_S19_S1B_T6_T7_T9_mT8_S1D_bDpT10_ENKUlT_T0_E_clISt17integral_constantIbLb1EES1P_IbLb0EEEEDaS1L_S1M_EUlS1L_E_NS1_11comp_targetILNS1_3genE5ELNS1_11target_archE942ELNS1_3gpuE9ELNS1_3repE0EEENS1_30default_config_static_selectorELNS0_4arch9wavefront6targetE1EEEvSZ_.kd
    .uniform_work_group_size: 1
    .uses_dynamic_stack: false
    .vgpr_count:     0
    .vgpr_spill_count: 0
    .wavefront_size: 64
  - .args:
      - .offset:         0
        .size:           144
        .value_kind:     by_value
    .group_segment_fixed_size: 0
    .kernarg_segment_align: 8
    .kernarg_segment_size: 144
    .language:       OpenCL C
    .language_version:
      - 2
      - 0
    .max_flat_workgroup_size: 256
    .name:           _ZN7rocprim17ROCPRIM_400000_NS6detail17trampoline_kernelINS0_13select_configILj256ELj13ELNS0_17block_load_methodE3ELS4_3ELS4_3ELNS0_20block_scan_algorithmE0ELj4294967295EEENS1_25partition_config_selectorILNS1_17partition_subalgoE3EjNS0_10empty_typeEbEEZZNS1_14partition_implILS8_3ELb0ES6_jNS0_17counting_iteratorIjlEEPS9_SE_NS0_5tupleIJPjSE_EEENSF_IJSE_SE_EEES9_SG_JZNS1_25segmented_radix_sort_implINS0_14default_configELb0EPK6__halfPSL_PKlPlN2at6native12_GLOBAL__N_18offset_tEEE10hipError_tPvRmT1_PNSt15iterator_traitsISZ_E10value_typeET2_T3_PNS10_IS15_E10value_typeET4_jRbjT5_S1B_jjP12ihipStream_tbEUljE_EEESW_SX_SY_S15_S19_S1B_T6_T7_T9_mT8_S1D_bDpT10_ENKUlT_T0_E_clISt17integral_constantIbLb1EES1P_IbLb0EEEEDaS1L_S1M_EUlS1L_E_NS1_11comp_targetILNS1_3genE4ELNS1_11target_archE910ELNS1_3gpuE8ELNS1_3repE0EEENS1_30default_config_static_selectorELNS0_4arch9wavefront6targetE1EEEvSZ_
    .private_segment_fixed_size: 0
    .sgpr_count:     4
    .sgpr_spill_count: 0
    .symbol:         _ZN7rocprim17ROCPRIM_400000_NS6detail17trampoline_kernelINS0_13select_configILj256ELj13ELNS0_17block_load_methodE3ELS4_3ELS4_3ELNS0_20block_scan_algorithmE0ELj4294967295EEENS1_25partition_config_selectorILNS1_17partition_subalgoE3EjNS0_10empty_typeEbEEZZNS1_14partition_implILS8_3ELb0ES6_jNS0_17counting_iteratorIjlEEPS9_SE_NS0_5tupleIJPjSE_EEENSF_IJSE_SE_EEES9_SG_JZNS1_25segmented_radix_sort_implINS0_14default_configELb0EPK6__halfPSL_PKlPlN2at6native12_GLOBAL__N_18offset_tEEE10hipError_tPvRmT1_PNSt15iterator_traitsISZ_E10value_typeET2_T3_PNS10_IS15_E10value_typeET4_jRbjT5_S1B_jjP12ihipStream_tbEUljE_EEESW_SX_SY_S15_S19_S1B_T6_T7_T9_mT8_S1D_bDpT10_ENKUlT_T0_E_clISt17integral_constantIbLb1EES1P_IbLb0EEEEDaS1L_S1M_EUlS1L_E_NS1_11comp_targetILNS1_3genE4ELNS1_11target_archE910ELNS1_3gpuE8ELNS1_3repE0EEENS1_30default_config_static_selectorELNS0_4arch9wavefront6targetE1EEEvSZ_.kd
    .uniform_work_group_size: 1
    .uses_dynamic_stack: false
    .vgpr_count:     0
    .vgpr_spill_count: 0
    .wavefront_size: 64
  - .args:
      - .offset:         0
        .size:           144
        .value_kind:     by_value
    .group_segment_fixed_size: 0
    .kernarg_segment_align: 8
    .kernarg_segment_size: 144
    .language:       OpenCL C
    .language_version:
      - 2
      - 0
    .max_flat_workgroup_size: 256
    .name:           _ZN7rocprim17ROCPRIM_400000_NS6detail17trampoline_kernelINS0_13select_configILj256ELj13ELNS0_17block_load_methodE3ELS4_3ELS4_3ELNS0_20block_scan_algorithmE0ELj4294967295EEENS1_25partition_config_selectorILNS1_17partition_subalgoE3EjNS0_10empty_typeEbEEZZNS1_14partition_implILS8_3ELb0ES6_jNS0_17counting_iteratorIjlEEPS9_SE_NS0_5tupleIJPjSE_EEENSF_IJSE_SE_EEES9_SG_JZNS1_25segmented_radix_sort_implINS0_14default_configELb0EPK6__halfPSL_PKlPlN2at6native12_GLOBAL__N_18offset_tEEE10hipError_tPvRmT1_PNSt15iterator_traitsISZ_E10value_typeET2_T3_PNS10_IS15_E10value_typeET4_jRbjT5_S1B_jjP12ihipStream_tbEUljE_EEESW_SX_SY_S15_S19_S1B_T6_T7_T9_mT8_S1D_bDpT10_ENKUlT_T0_E_clISt17integral_constantIbLb1EES1P_IbLb0EEEEDaS1L_S1M_EUlS1L_E_NS1_11comp_targetILNS1_3genE3ELNS1_11target_archE908ELNS1_3gpuE7ELNS1_3repE0EEENS1_30default_config_static_selectorELNS0_4arch9wavefront6targetE1EEEvSZ_
    .private_segment_fixed_size: 0
    .sgpr_count:     4
    .sgpr_spill_count: 0
    .symbol:         _ZN7rocprim17ROCPRIM_400000_NS6detail17trampoline_kernelINS0_13select_configILj256ELj13ELNS0_17block_load_methodE3ELS4_3ELS4_3ELNS0_20block_scan_algorithmE0ELj4294967295EEENS1_25partition_config_selectorILNS1_17partition_subalgoE3EjNS0_10empty_typeEbEEZZNS1_14partition_implILS8_3ELb0ES6_jNS0_17counting_iteratorIjlEEPS9_SE_NS0_5tupleIJPjSE_EEENSF_IJSE_SE_EEES9_SG_JZNS1_25segmented_radix_sort_implINS0_14default_configELb0EPK6__halfPSL_PKlPlN2at6native12_GLOBAL__N_18offset_tEEE10hipError_tPvRmT1_PNSt15iterator_traitsISZ_E10value_typeET2_T3_PNS10_IS15_E10value_typeET4_jRbjT5_S1B_jjP12ihipStream_tbEUljE_EEESW_SX_SY_S15_S19_S1B_T6_T7_T9_mT8_S1D_bDpT10_ENKUlT_T0_E_clISt17integral_constantIbLb1EES1P_IbLb0EEEEDaS1L_S1M_EUlS1L_E_NS1_11comp_targetILNS1_3genE3ELNS1_11target_archE908ELNS1_3gpuE7ELNS1_3repE0EEENS1_30default_config_static_selectorELNS0_4arch9wavefront6targetE1EEEvSZ_.kd
    .uniform_work_group_size: 1
    .uses_dynamic_stack: false
    .vgpr_count:     0
    .vgpr_spill_count: 0
    .wavefront_size: 64
  - .args:
      - .offset:         0
        .size:           144
        .value_kind:     by_value
    .group_segment_fixed_size: 0
    .kernarg_segment_align: 8
    .kernarg_segment_size: 144
    .language:       OpenCL C
    .language_version:
      - 2
      - 0
    .max_flat_workgroup_size: 256
    .name:           _ZN7rocprim17ROCPRIM_400000_NS6detail17trampoline_kernelINS0_13select_configILj256ELj13ELNS0_17block_load_methodE3ELS4_3ELS4_3ELNS0_20block_scan_algorithmE0ELj4294967295EEENS1_25partition_config_selectorILNS1_17partition_subalgoE3EjNS0_10empty_typeEbEEZZNS1_14partition_implILS8_3ELb0ES6_jNS0_17counting_iteratorIjlEEPS9_SE_NS0_5tupleIJPjSE_EEENSF_IJSE_SE_EEES9_SG_JZNS1_25segmented_radix_sort_implINS0_14default_configELb0EPK6__halfPSL_PKlPlN2at6native12_GLOBAL__N_18offset_tEEE10hipError_tPvRmT1_PNSt15iterator_traitsISZ_E10value_typeET2_T3_PNS10_IS15_E10value_typeET4_jRbjT5_S1B_jjP12ihipStream_tbEUljE_EEESW_SX_SY_S15_S19_S1B_T6_T7_T9_mT8_S1D_bDpT10_ENKUlT_T0_E_clISt17integral_constantIbLb1EES1P_IbLb0EEEEDaS1L_S1M_EUlS1L_E_NS1_11comp_targetILNS1_3genE2ELNS1_11target_archE906ELNS1_3gpuE6ELNS1_3repE0EEENS1_30default_config_static_selectorELNS0_4arch9wavefront6targetE1EEEvSZ_
    .private_segment_fixed_size: 0
    .sgpr_count:     4
    .sgpr_spill_count: 0
    .symbol:         _ZN7rocprim17ROCPRIM_400000_NS6detail17trampoline_kernelINS0_13select_configILj256ELj13ELNS0_17block_load_methodE3ELS4_3ELS4_3ELNS0_20block_scan_algorithmE0ELj4294967295EEENS1_25partition_config_selectorILNS1_17partition_subalgoE3EjNS0_10empty_typeEbEEZZNS1_14partition_implILS8_3ELb0ES6_jNS0_17counting_iteratorIjlEEPS9_SE_NS0_5tupleIJPjSE_EEENSF_IJSE_SE_EEES9_SG_JZNS1_25segmented_radix_sort_implINS0_14default_configELb0EPK6__halfPSL_PKlPlN2at6native12_GLOBAL__N_18offset_tEEE10hipError_tPvRmT1_PNSt15iterator_traitsISZ_E10value_typeET2_T3_PNS10_IS15_E10value_typeET4_jRbjT5_S1B_jjP12ihipStream_tbEUljE_EEESW_SX_SY_S15_S19_S1B_T6_T7_T9_mT8_S1D_bDpT10_ENKUlT_T0_E_clISt17integral_constantIbLb1EES1P_IbLb0EEEEDaS1L_S1M_EUlS1L_E_NS1_11comp_targetILNS1_3genE2ELNS1_11target_archE906ELNS1_3gpuE6ELNS1_3repE0EEENS1_30default_config_static_selectorELNS0_4arch9wavefront6targetE1EEEvSZ_.kd
    .uniform_work_group_size: 1
    .uses_dynamic_stack: false
    .vgpr_count:     0
    .vgpr_spill_count: 0
    .wavefront_size: 64
  - .args:
      - .offset:         0
        .size:           144
        .value_kind:     by_value
    .group_segment_fixed_size: 0
    .kernarg_segment_align: 8
    .kernarg_segment_size: 144
    .language:       OpenCL C
    .language_version:
      - 2
      - 0
    .max_flat_workgroup_size: 256
    .name:           _ZN7rocprim17ROCPRIM_400000_NS6detail17trampoline_kernelINS0_13select_configILj256ELj13ELNS0_17block_load_methodE3ELS4_3ELS4_3ELNS0_20block_scan_algorithmE0ELj4294967295EEENS1_25partition_config_selectorILNS1_17partition_subalgoE3EjNS0_10empty_typeEbEEZZNS1_14partition_implILS8_3ELb0ES6_jNS0_17counting_iteratorIjlEEPS9_SE_NS0_5tupleIJPjSE_EEENSF_IJSE_SE_EEES9_SG_JZNS1_25segmented_radix_sort_implINS0_14default_configELb0EPK6__halfPSL_PKlPlN2at6native12_GLOBAL__N_18offset_tEEE10hipError_tPvRmT1_PNSt15iterator_traitsISZ_E10value_typeET2_T3_PNS10_IS15_E10value_typeET4_jRbjT5_S1B_jjP12ihipStream_tbEUljE_EEESW_SX_SY_S15_S19_S1B_T6_T7_T9_mT8_S1D_bDpT10_ENKUlT_T0_E_clISt17integral_constantIbLb1EES1P_IbLb0EEEEDaS1L_S1M_EUlS1L_E_NS1_11comp_targetILNS1_3genE10ELNS1_11target_archE1200ELNS1_3gpuE4ELNS1_3repE0EEENS1_30default_config_static_selectorELNS0_4arch9wavefront6targetE1EEEvSZ_
    .private_segment_fixed_size: 0
    .sgpr_count:     4
    .sgpr_spill_count: 0
    .symbol:         _ZN7rocprim17ROCPRIM_400000_NS6detail17trampoline_kernelINS0_13select_configILj256ELj13ELNS0_17block_load_methodE3ELS4_3ELS4_3ELNS0_20block_scan_algorithmE0ELj4294967295EEENS1_25partition_config_selectorILNS1_17partition_subalgoE3EjNS0_10empty_typeEbEEZZNS1_14partition_implILS8_3ELb0ES6_jNS0_17counting_iteratorIjlEEPS9_SE_NS0_5tupleIJPjSE_EEENSF_IJSE_SE_EEES9_SG_JZNS1_25segmented_radix_sort_implINS0_14default_configELb0EPK6__halfPSL_PKlPlN2at6native12_GLOBAL__N_18offset_tEEE10hipError_tPvRmT1_PNSt15iterator_traitsISZ_E10value_typeET2_T3_PNS10_IS15_E10value_typeET4_jRbjT5_S1B_jjP12ihipStream_tbEUljE_EEESW_SX_SY_S15_S19_S1B_T6_T7_T9_mT8_S1D_bDpT10_ENKUlT_T0_E_clISt17integral_constantIbLb1EES1P_IbLb0EEEEDaS1L_S1M_EUlS1L_E_NS1_11comp_targetILNS1_3genE10ELNS1_11target_archE1200ELNS1_3gpuE4ELNS1_3repE0EEENS1_30default_config_static_selectorELNS0_4arch9wavefront6targetE1EEEvSZ_.kd
    .uniform_work_group_size: 1
    .uses_dynamic_stack: false
    .vgpr_count:     0
    .vgpr_spill_count: 0
    .wavefront_size: 64
  - .args:
      - .offset:         0
        .size:           144
        .value_kind:     by_value
    .group_segment_fixed_size: 0
    .kernarg_segment_align: 8
    .kernarg_segment_size: 144
    .language:       OpenCL C
    .language_version:
      - 2
      - 0
    .max_flat_workgroup_size: 256
    .name:           _ZN7rocprim17ROCPRIM_400000_NS6detail17trampoline_kernelINS0_13select_configILj256ELj13ELNS0_17block_load_methodE3ELS4_3ELS4_3ELNS0_20block_scan_algorithmE0ELj4294967295EEENS1_25partition_config_selectorILNS1_17partition_subalgoE3EjNS0_10empty_typeEbEEZZNS1_14partition_implILS8_3ELb0ES6_jNS0_17counting_iteratorIjlEEPS9_SE_NS0_5tupleIJPjSE_EEENSF_IJSE_SE_EEES9_SG_JZNS1_25segmented_radix_sort_implINS0_14default_configELb0EPK6__halfPSL_PKlPlN2at6native12_GLOBAL__N_18offset_tEEE10hipError_tPvRmT1_PNSt15iterator_traitsISZ_E10value_typeET2_T3_PNS10_IS15_E10value_typeET4_jRbjT5_S1B_jjP12ihipStream_tbEUljE_EEESW_SX_SY_S15_S19_S1B_T6_T7_T9_mT8_S1D_bDpT10_ENKUlT_T0_E_clISt17integral_constantIbLb1EES1P_IbLb0EEEEDaS1L_S1M_EUlS1L_E_NS1_11comp_targetILNS1_3genE9ELNS1_11target_archE1100ELNS1_3gpuE3ELNS1_3repE0EEENS1_30default_config_static_selectorELNS0_4arch9wavefront6targetE1EEEvSZ_
    .private_segment_fixed_size: 0
    .sgpr_count:     4
    .sgpr_spill_count: 0
    .symbol:         _ZN7rocprim17ROCPRIM_400000_NS6detail17trampoline_kernelINS0_13select_configILj256ELj13ELNS0_17block_load_methodE3ELS4_3ELS4_3ELNS0_20block_scan_algorithmE0ELj4294967295EEENS1_25partition_config_selectorILNS1_17partition_subalgoE3EjNS0_10empty_typeEbEEZZNS1_14partition_implILS8_3ELb0ES6_jNS0_17counting_iteratorIjlEEPS9_SE_NS0_5tupleIJPjSE_EEENSF_IJSE_SE_EEES9_SG_JZNS1_25segmented_radix_sort_implINS0_14default_configELb0EPK6__halfPSL_PKlPlN2at6native12_GLOBAL__N_18offset_tEEE10hipError_tPvRmT1_PNSt15iterator_traitsISZ_E10value_typeET2_T3_PNS10_IS15_E10value_typeET4_jRbjT5_S1B_jjP12ihipStream_tbEUljE_EEESW_SX_SY_S15_S19_S1B_T6_T7_T9_mT8_S1D_bDpT10_ENKUlT_T0_E_clISt17integral_constantIbLb1EES1P_IbLb0EEEEDaS1L_S1M_EUlS1L_E_NS1_11comp_targetILNS1_3genE9ELNS1_11target_archE1100ELNS1_3gpuE3ELNS1_3repE0EEENS1_30default_config_static_selectorELNS0_4arch9wavefront6targetE1EEEvSZ_.kd
    .uniform_work_group_size: 1
    .uses_dynamic_stack: false
    .vgpr_count:     0
    .vgpr_spill_count: 0
    .wavefront_size: 64
  - .args:
      - .offset:         0
        .size:           144
        .value_kind:     by_value
    .group_segment_fixed_size: 0
    .kernarg_segment_align: 8
    .kernarg_segment_size: 144
    .language:       OpenCL C
    .language_version:
      - 2
      - 0
    .max_flat_workgroup_size: 256
    .name:           _ZN7rocprim17ROCPRIM_400000_NS6detail17trampoline_kernelINS0_13select_configILj256ELj13ELNS0_17block_load_methodE3ELS4_3ELS4_3ELNS0_20block_scan_algorithmE0ELj4294967295EEENS1_25partition_config_selectorILNS1_17partition_subalgoE3EjNS0_10empty_typeEbEEZZNS1_14partition_implILS8_3ELb0ES6_jNS0_17counting_iteratorIjlEEPS9_SE_NS0_5tupleIJPjSE_EEENSF_IJSE_SE_EEES9_SG_JZNS1_25segmented_radix_sort_implINS0_14default_configELb0EPK6__halfPSL_PKlPlN2at6native12_GLOBAL__N_18offset_tEEE10hipError_tPvRmT1_PNSt15iterator_traitsISZ_E10value_typeET2_T3_PNS10_IS15_E10value_typeET4_jRbjT5_S1B_jjP12ihipStream_tbEUljE_EEESW_SX_SY_S15_S19_S1B_T6_T7_T9_mT8_S1D_bDpT10_ENKUlT_T0_E_clISt17integral_constantIbLb1EES1P_IbLb0EEEEDaS1L_S1M_EUlS1L_E_NS1_11comp_targetILNS1_3genE8ELNS1_11target_archE1030ELNS1_3gpuE2ELNS1_3repE0EEENS1_30default_config_static_selectorELNS0_4arch9wavefront6targetE1EEEvSZ_
    .private_segment_fixed_size: 0
    .sgpr_count:     4
    .sgpr_spill_count: 0
    .symbol:         _ZN7rocprim17ROCPRIM_400000_NS6detail17trampoline_kernelINS0_13select_configILj256ELj13ELNS0_17block_load_methodE3ELS4_3ELS4_3ELNS0_20block_scan_algorithmE0ELj4294967295EEENS1_25partition_config_selectorILNS1_17partition_subalgoE3EjNS0_10empty_typeEbEEZZNS1_14partition_implILS8_3ELb0ES6_jNS0_17counting_iteratorIjlEEPS9_SE_NS0_5tupleIJPjSE_EEENSF_IJSE_SE_EEES9_SG_JZNS1_25segmented_radix_sort_implINS0_14default_configELb0EPK6__halfPSL_PKlPlN2at6native12_GLOBAL__N_18offset_tEEE10hipError_tPvRmT1_PNSt15iterator_traitsISZ_E10value_typeET2_T3_PNS10_IS15_E10value_typeET4_jRbjT5_S1B_jjP12ihipStream_tbEUljE_EEESW_SX_SY_S15_S19_S1B_T6_T7_T9_mT8_S1D_bDpT10_ENKUlT_T0_E_clISt17integral_constantIbLb1EES1P_IbLb0EEEEDaS1L_S1M_EUlS1L_E_NS1_11comp_targetILNS1_3genE8ELNS1_11target_archE1030ELNS1_3gpuE2ELNS1_3repE0EEENS1_30default_config_static_selectorELNS0_4arch9wavefront6targetE1EEEvSZ_.kd
    .uniform_work_group_size: 1
    .uses_dynamic_stack: false
    .vgpr_count:     0
    .vgpr_spill_count: 0
    .wavefront_size: 64
  - .args:
      - .offset:         0
        .size:           152
        .value_kind:     by_value
    .group_segment_fixed_size: 0
    .kernarg_segment_align: 8
    .kernarg_segment_size: 152
    .language:       OpenCL C
    .language_version:
      - 2
      - 0
    .max_flat_workgroup_size: 256
    .name:           _ZN7rocprim17ROCPRIM_400000_NS6detail17trampoline_kernelINS0_13select_configILj256ELj13ELNS0_17block_load_methodE3ELS4_3ELS4_3ELNS0_20block_scan_algorithmE0ELj4294967295EEENS1_25partition_config_selectorILNS1_17partition_subalgoE3EjNS0_10empty_typeEbEEZZNS1_14partition_implILS8_3ELb0ES6_jNS0_17counting_iteratorIjlEEPS9_SE_NS0_5tupleIJPjSE_EEENSF_IJSE_SE_EEES9_SG_JZNS1_25segmented_radix_sort_implINS0_14default_configELb0EPK6__halfPSL_PKlPlN2at6native12_GLOBAL__N_18offset_tEEE10hipError_tPvRmT1_PNSt15iterator_traitsISZ_E10value_typeET2_T3_PNS10_IS15_E10value_typeET4_jRbjT5_S1B_jjP12ihipStream_tbEUljE_EEESW_SX_SY_S15_S19_S1B_T6_T7_T9_mT8_S1D_bDpT10_ENKUlT_T0_E_clISt17integral_constantIbLb0EES1P_IbLb1EEEEDaS1L_S1M_EUlS1L_E_NS1_11comp_targetILNS1_3genE0ELNS1_11target_archE4294967295ELNS1_3gpuE0ELNS1_3repE0EEENS1_30default_config_static_selectorELNS0_4arch9wavefront6targetE1EEEvSZ_
    .private_segment_fixed_size: 0
    .sgpr_count:     4
    .sgpr_spill_count: 0
    .symbol:         _ZN7rocprim17ROCPRIM_400000_NS6detail17trampoline_kernelINS0_13select_configILj256ELj13ELNS0_17block_load_methodE3ELS4_3ELS4_3ELNS0_20block_scan_algorithmE0ELj4294967295EEENS1_25partition_config_selectorILNS1_17partition_subalgoE3EjNS0_10empty_typeEbEEZZNS1_14partition_implILS8_3ELb0ES6_jNS0_17counting_iteratorIjlEEPS9_SE_NS0_5tupleIJPjSE_EEENSF_IJSE_SE_EEES9_SG_JZNS1_25segmented_radix_sort_implINS0_14default_configELb0EPK6__halfPSL_PKlPlN2at6native12_GLOBAL__N_18offset_tEEE10hipError_tPvRmT1_PNSt15iterator_traitsISZ_E10value_typeET2_T3_PNS10_IS15_E10value_typeET4_jRbjT5_S1B_jjP12ihipStream_tbEUljE_EEESW_SX_SY_S15_S19_S1B_T6_T7_T9_mT8_S1D_bDpT10_ENKUlT_T0_E_clISt17integral_constantIbLb0EES1P_IbLb1EEEEDaS1L_S1M_EUlS1L_E_NS1_11comp_targetILNS1_3genE0ELNS1_11target_archE4294967295ELNS1_3gpuE0ELNS1_3repE0EEENS1_30default_config_static_selectorELNS0_4arch9wavefront6targetE1EEEvSZ_.kd
    .uniform_work_group_size: 1
    .uses_dynamic_stack: false
    .vgpr_count:     0
    .vgpr_spill_count: 0
    .wavefront_size: 64
  - .args:
      - .offset:         0
        .size:           152
        .value_kind:     by_value
    .group_segment_fixed_size: 0
    .kernarg_segment_align: 8
    .kernarg_segment_size: 152
    .language:       OpenCL C
    .language_version:
      - 2
      - 0
    .max_flat_workgroup_size: 256
    .name:           _ZN7rocprim17ROCPRIM_400000_NS6detail17trampoline_kernelINS0_13select_configILj256ELj13ELNS0_17block_load_methodE3ELS4_3ELS4_3ELNS0_20block_scan_algorithmE0ELj4294967295EEENS1_25partition_config_selectorILNS1_17partition_subalgoE3EjNS0_10empty_typeEbEEZZNS1_14partition_implILS8_3ELb0ES6_jNS0_17counting_iteratorIjlEEPS9_SE_NS0_5tupleIJPjSE_EEENSF_IJSE_SE_EEES9_SG_JZNS1_25segmented_radix_sort_implINS0_14default_configELb0EPK6__halfPSL_PKlPlN2at6native12_GLOBAL__N_18offset_tEEE10hipError_tPvRmT1_PNSt15iterator_traitsISZ_E10value_typeET2_T3_PNS10_IS15_E10value_typeET4_jRbjT5_S1B_jjP12ihipStream_tbEUljE_EEESW_SX_SY_S15_S19_S1B_T6_T7_T9_mT8_S1D_bDpT10_ENKUlT_T0_E_clISt17integral_constantIbLb0EES1P_IbLb1EEEEDaS1L_S1M_EUlS1L_E_NS1_11comp_targetILNS1_3genE5ELNS1_11target_archE942ELNS1_3gpuE9ELNS1_3repE0EEENS1_30default_config_static_selectorELNS0_4arch9wavefront6targetE1EEEvSZ_
    .private_segment_fixed_size: 0
    .sgpr_count:     4
    .sgpr_spill_count: 0
    .symbol:         _ZN7rocprim17ROCPRIM_400000_NS6detail17trampoline_kernelINS0_13select_configILj256ELj13ELNS0_17block_load_methodE3ELS4_3ELS4_3ELNS0_20block_scan_algorithmE0ELj4294967295EEENS1_25partition_config_selectorILNS1_17partition_subalgoE3EjNS0_10empty_typeEbEEZZNS1_14partition_implILS8_3ELb0ES6_jNS0_17counting_iteratorIjlEEPS9_SE_NS0_5tupleIJPjSE_EEENSF_IJSE_SE_EEES9_SG_JZNS1_25segmented_radix_sort_implINS0_14default_configELb0EPK6__halfPSL_PKlPlN2at6native12_GLOBAL__N_18offset_tEEE10hipError_tPvRmT1_PNSt15iterator_traitsISZ_E10value_typeET2_T3_PNS10_IS15_E10value_typeET4_jRbjT5_S1B_jjP12ihipStream_tbEUljE_EEESW_SX_SY_S15_S19_S1B_T6_T7_T9_mT8_S1D_bDpT10_ENKUlT_T0_E_clISt17integral_constantIbLb0EES1P_IbLb1EEEEDaS1L_S1M_EUlS1L_E_NS1_11comp_targetILNS1_3genE5ELNS1_11target_archE942ELNS1_3gpuE9ELNS1_3repE0EEENS1_30default_config_static_selectorELNS0_4arch9wavefront6targetE1EEEvSZ_.kd
    .uniform_work_group_size: 1
    .uses_dynamic_stack: false
    .vgpr_count:     0
    .vgpr_spill_count: 0
    .wavefront_size: 64
  - .args:
      - .offset:         0
        .size:           152
        .value_kind:     by_value
    .group_segment_fixed_size: 0
    .kernarg_segment_align: 8
    .kernarg_segment_size: 152
    .language:       OpenCL C
    .language_version:
      - 2
      - 0
    .max_flat_workgroup_size: 256
    .name:           _ZN7rocprim17ROCPRIM_400000_NS6detail17trampoline_kernelINS0_13select_configILj256ELj13ELNS0_17block_load_methodE3ELS4_3ELS4_3ELNS0_20block_scan_algorithmE0ELj4294967295EEENS1_25partition_config_selectorILNS1_17partition_subalgoE3EjNS0_10empty_typeEbEEZZNS1_14partition_implILS8_3ELb0ES6_jNS0_17counting_iteratorIjlEEPS9_SE_NS0_5tupleIJPjSE_EEENSF_IJSE_SE_EEES9_SG_JZNS1_25segmented_radix_sort_implINS0_14default_configELb0EPK6__halfPSL_PKlPlN2at6native12_GLOBAL__N_18offset_tEEE10hipError_tPvRmT1_PNSt15iterator_traitsISZ_E10value_typeET2_T3_PNS10_IS15_E10value_typeET4_jRbjT5_S1B_jjP12ihipStream_tbEUljE_EEESW_SX_SY_S15_S19_S1B_T6_T7_T9_mT8_S1D_bDpT10_ENKUlT_T0_E_clISt17integral_constantIbLb0EES1P_IbLb1EEEEDaS1L_S1M_EUlS1L_E_NS1_11comp_targetILNS1_3genE4ELNS1_11target_archE910ELNS1_3gpuE8ELNS1_3repE0EEENS1_30default_config_static_selectorELNS0_4arch9wavefront6targetE1EEEvSZ_
    .private_segment_fixed_size: 0
    .sgpr_count:     4
    .sgpr_spill_count: 0
    .symbol:         _ZN7rocprim17ROCPRIM_400000_NS6detail17trampoline_kernelINS0_13select_configILj256ELj13ELNS0_17block_load_methodE3ELS4_3ELS4_3ELNS0_20block_scan_algorithmE0ELj4294967295EEENS1_25partition_config_selectorILNS1_17partition_subalgoE3EjNS0_10empty_typeEbEEZZNS1_14partition_implILS8_3ELb0ES6_jNS0_17counting_iteratorIjlEEPS9_SE_NS0_5tupleIJPjSE_EEENSF_IJSE_SE_EEES9_SG_JZNS1_25segmented_radix_sort_implINS0_14default_configELb0EPK6__halfPSL_PKlPlN2at6native12_GLOBAL__N_18offset_tEEE10hipError_tPvRmT1_PNSt15iterator_traitsISZ_E10value_typeET2_T3_PNS10_IS15_E10value_typeET4_jRbjT5_S1B_jjP12ihipStream_tbEUljE_EEESW_SX_SY_S15_S19_S1B_T6_T7_T9_mT8_S1D_bDpT10_ENKUlT_T0_E_clISt17integral_constantIbLb0EES1P_IbLb1EEEEDaS1L_S1M_EUlS1L_E_NS1_11comp_targetILNS1_3genE4ELNS1_11target_archE910ELNS1_3gpuE8ELNS1_3repE0EEENS1_30default_config_static_selectorELNS0_4arch9wavefront6targetE1EEEvSZ_.kd
    .uniform_work_group_size: 1
    .uses_dynamic_stack: false
    .vgpr_count:     0
    .vgpr_spill_count: 0
    .wavefront_size: 64
  - .args:
      - .offset:         0
        .size:           152
        .value_kind:     by_value
    .group_segment_fixed_size: 0
    .kernarg_segment_align: 8
    .kernarg_segment_size: 152
    .language:       OpenCL C
    .language_version:
      - 2
      - 0
    .max_flat_workgroup_size: 256
    .name:           _ZN7rocprim17ROCPRIM_400000_NS6detail17trampoline_kernelINS0_13select_configILj256ELj13ELNS0_17block_load_methodE3ELS4_3ELS4_3ELNS0_20block_scan_algorithmE0ELj4294967295EEENS1_25partition_config_selectorILNS1_17partition_subalgoE3EjNS0_10empty_typeEbEEZZNS1_14partition_implILS8_3ELb0ES6_jNS0_17counting_iteratorIjlEEPS9_SE_NS0_5tupleIJPjSE_EEENSF_IJSE_SE_EEES9_SG_JZNS1_25segmented_radix_sort_implINS0_14default_configELb0EPK6__halfPSL_PKlPlN2at6native12_GLOBAL__N_18offset_tEEE10hipError_tPvRmT1_PNSt15iterator_traitsISZ_E10value_typeET2_T3_PNS10_IS15_E10value_typeET4_jRbjT5_S1B_jjP12ihipStream_tbEUljE_EEESW_SX_SY_S15_S19_S1B_T6_T7_T9_mT8_S1D_bDpT10_ENKUlT_T0_E_clISt17integral_constantIbLb0EES1P_IbLb1EEEEDaS1L_S1M_EUlS1L_E_NS1_11comp_targetILNS1_3genE3ELNS1_11target_archE908ELNS1_3gpuE7ELNS1_3repE0EEENS1_30default_config_static_selectorELNS0_4arch9wavefront6targetE1EEEvSZ_
    .private_segment_fixed_size: 0
    .sgpr_count:     4
    .sgpr_spill_count: 0
    .symbol:         _ZN7rocprim17ROCPRIM_400000_NS6detail17trampoline_kernelINS0_13select_configILj256ELj13ELNS0_17block_load_methodE3ELS4_3ELS4_3ELNS0_20block_scan_algorithmE0ELj4294967295EEENS1_25partition_config_selectorILNS1_17partition_subalgoE3EjNS0_10empty_typeEbEEZZNS1_14partition_implILS8_3ELb0ES6_jNS0_17counting_iteratorIjlEEPS9_SE_NS0_5tupleIJPjSE_EEENSF_IJSE_SE_EEES9_SG_JZNS1_25segmented_radix_sort_implINS0_14default_configELb0EPK6__halfPSL_PKlPlN2at6native12_GLOBAL__N_18offset_tEEE10hipError_tPvRmT1_PNSt15iterator_traitsISZ_E10value_typeET2_T3_PNS10_IS15_E10value_typeET4_jRbjT5_S1B_jjP12ihipStream_tbEUljE_EEESW_SX_SY_S15_S19_S1B_T6_T7_T9_mT8_S1D_bDpT10_ENKUlT_T0_E_clISt17integral_constantIbLb0EES1P_IbLb1EEEEDaS1L_S1M_EUlS1L_E_NS1_11comp_targetILNS1_3genE3ELNS1_11target_archE908ELNS1_3gpuE7ELNS1_3repE0EEENS1_30default_config_static_selectorELNS0_4arch9wavefront6targetE1EEEvSZ_.kd
    .uniform_work_group_size: 1
    .uses_dynamic_stack: false
    .vgpr_count:     0
    .vgpr_spill_count: 0
    .wavefront_size: 64
  - .args:
      - .offset:         0
        .size:           152
        .value_kind:     by_value
    .group_segment_fixed_size: 13320
    .kernarg_segment_align: 8
    .kernarg_segment_size: 152
    .language:       OpenCL C
    .language_version:
      - 2
      - 0
    .max_flat_workgroup_size: 256
    .name:           _ZN7rocprim17ROCPRIM_400000_NS6detail17trampoline_kernelINS0_13select_configILj256ELj13ELNS0_17block_load_methodE3ELS4_3ELS4_3ELNS0_20block_scan_algorithmE0ELj4294967295EEENS1_25partition_config_selectorILNS1_17partition_subalgoE3EjNS0_10empty_typeEbEEZZNS1_14partition_implILS8_3ELb0ES6_jNS0_17counting_iteratorIjlEEPS9_SE_NS0_5tupleIJPjSE_EEENSF_IJSE_SE_EEES9_SG_JZNS1_25segmented_radix_sort_implINS0_14default_configELb0EPK6__halfPSL_PKlPlN2at6native12_GLOBAL__N_18offset_tEEE10hipError_tPvRmT1_PNSt15iterator_traitsISZ_E10value_typeET2_T3_PNS10_IS15_E10value_typeET4_jRbjT5_S1B_jjP12ihipStream_tbEUljE_EEESW_SX_SY_S15_S19_S1B_T6_T7_T9_mT8_S1D_bDpT10_ENKUlT_T0_E_clISt17integral_constantIbLb0EES1P_IbLb1EEEEDaS1L_S1M_EUlS1L_E_NS1_11comp_targetILNS1_3genE2ELNS1_11target_archE906ELNS1_3gpuE6ELNS1_3repE0EEENS1_30default_config_static_selectorELNS0_4arch9wavefront6targetE1EEEvSZ_
    .private_segment_fixed_size: 0
    .sgpr_count:     50
    .sgpr_spill_count: 0
    .symbol:         _ZN7rocprim17ROCPRIM_400000_NS6detail17trampoline_kernelINS0_13select_configILj256ELj13ELNS0_17block_load_methodE3ELS4_3ELS4_3ELNS0_20block_scan_algorithmE0ELj4294967295EEENS1_25partition_config_selectorILNS1_17partition_subalgoE3EjNS0_10empty_typeEbEEZZNS1_14partition_implILS8_3ELb0ES6_jNS0_17counting_iteratorIjlEEPS9_SE_NS0_5tupleIJPjSE_EEENSF_IJSE_SE_EEES9_SG_JZNS1_25segmented_radix_sort_implINS0_14default_configELb0EPK6__halfPSL_PKlPlN2at6native12_GLOBAL__N_18offset_tEEE10hipError_tPvRmT1_PNSt15iterator_traitsISZ_E10value_typeET2_T3_PNS10_IS15_E10value_typeET4_jRbjT5_S1B_jjP12ihipStream_tbEUljE_EEESW_SX_SY_S15_S19_S1B_T6_T7_T9_mT8_S1D_bDpT10_ENKUlT_T0_E_clISt17integral_constantIbLb0EES1P_IbLb1EEEEDaS1L_S1M_EUlS1L_E_NS1_11comp_targetILNS1_3genE2ELNS1_11target_archE906ELNS1_3gpuE6ELNS1_3repE0EEENS1_30default_config_static_selectorELNS0_4arch9wavefront6targetE1EEEvSZ_.kd
    .uniform_work_group_size: 1
    .uses_dynamic_stack: false
    .vgpr_count:     71
    .vgpr_spill_count: 0
    .wavefront_size: 64
  - .args:
      - .offset:         0
        .size:           152
        .value_kind:     by_value
    .group_segment_fixed_size: 0
    .kernarg_segment_align: 8
    .kernarg_segment_size: 152
    .language:       OpenCL C
    .language_version:
      - 2
      - 0
    .max_flat_workgroup_size: 256
    .name:           _ZN7rocprim17ROCPRIM_400000_NS6detail17trampoline_kernelINS0_13select_configILj256ELj13ELNS0_17block_load_methodE3ELS4_3ELS4_3ELNS0_20block_scan_algorithmE0ELj4294967295EEENS1_25partition_config_selectorILNS1_17partition_subalgoE3EjNS0_10empty_typeEbEEZZNS1_14partition_implILS8_3ELb0ES6_jNS0_17counting_iteratorIjlEEPS9_SE_NS0_5tupleIJPjSE_EEENSF_IJSE_SE_EEES9_SG_JZNS1_25segmented_radix_sort_implINS0_14default_configELb0EPK6__halfPSL_PKlPlN2at6native12_GLOBAL__N_18offset_tEEE10hipError_tPvRmT1_PNSt15iterator_traitsISZ_E10value_typeET2_T3_PNS10_IS15_E10value_typeET4_jRbjT5_S1B_jjP12ihipStream_tbEUljE_EEESW_SX_SY_S15_S19_S1B_T6_T7_T9_mT8_S1D_bDpT10_ENKUlT_T0_E_clISt17integral_constantIbLb0EES1P_IbLb1EEEEDaS1L_S1M_EUlS1L_E_NS1_11comp_targetILNS1_3genE10ELNS1_11target_archE1200ELNS1_3gpuE4ELNS1_3repE0EEENS1_30default_config_static_selectorELNS0_4arch9wavefront6targetE1EEEvSZ_
    .private_segment_fixed_size: 0
    .sgpr_count:     4
    .sgpr_spill_count: 0
    .symbol:         _ZN7rocprim17ROCPRIM_400000_NS6detail17trampoline_kernelINS0_13select_configILj256ELj13ELNS0_17block_load_methodE3ELS4_3ELS4_3ELNS0_20block_scan_algorithmE0ELj4294967295EEENS1_25partition_config_selectorILNS1_17partition_subalgoE3EjNS0_10empty_typeEbEEZZNS1_14partition_implILS8_3ELb0ES6_jNS0_17counting_iteratorIjlEEPS9_SE_NS0_5tupleIJPjSE_EEENSF_IJSE_SE_EEES9_SG_JZNS1_25segmented_radix_sort_implINS0_14default_configELb0EPK6__halfPSL_PKlPlN2at6native12_GLOBAL__N_18offset_tEEE10hipError_tPvRmT1_PNSt15iterator_traitsISZ_E10value_typeET2_T3_PNS10_IS15_E10value_typeET4_jRbjT5_S1B_jjP12ihipStream_tbEUljE_EEESW_SX_SY_S15_S19_S1B_T6_T7_T9_mT8_S1D_bDpT10_ENKUlT_T0_E_clISt17integral_constantIbLb0EES1P_IbLb1EEEEDaS1L_S1M_EUlS1L_E_NS1_11comp_targetILNS1_3genE10ELNS1_11target_archE1200ELNS1_3gpuE4ELNS1_3repE0EEENS1_30default_config_static_selectorELNS0_4arch9wavefront6targetE1EEEvSZ_.kd
    .uniform_work_group_size: 1
    .uses_dynamic_stack: false
    .vgpr_count:     0
    .vgpr_spill_count: 0
    .wavefront_size: 64
  - .args:
      - .offset:         0
        .size:           152
        .value_kind:     by_value
    .group_segment_fixed_size: 0
    .kernarg_segment_align: 8
    .kernarg_segment_size: 152
    .language:       OpenCL C
    .language_version:
      - 2
      - 0
    .max_flat_workgroup_size: 256
    .name:           _ZN7rocprim17ROCPRIM_400000_NS6detail17trampoline_kernelINS0_13select_configILj256ELj13ELNS0_17block_load_methodE3ELS4_3ELS4_3ELNS0_20block_scan_algorithmE0ELj4294967295EEENS1_25partition_config_selectorILNS1_17partition_subalgoE3EjNS0_10empty_typeEbEEZZNS1_14partition_implILS8_3ELb0ES6_jNS0_17counting_iteratorIjlEEPS9_SE_NS0_5tupleIJPjSE_EEENSF_IJSE_SE_EEES9_SG_JZNS1_25segmented_radix_sort_implINS0_14default_configELb0EPK6__halfPSL_PKlPlN2at6native12_GLOBAL__N_18offset_tEEE10hipError_tPvRmT1_PNSt15iterator_traitsISZ_E10value_typeET2_T3_PNS10_IS15_E10value_typeET4_jRbjT5_S1B_jjP12ihipStream_tbEUljE_EEESW_SX_SY_S15_S19_S1B_T6_T7_T9_mT8_S1D_bDpT10_ENKUlT_T0_E_clISt17integral_constantIbLb0EES1P_IbLb1EEEEDaS1L_S1M_EUlS1L_E_NS1_11comp_targetILNS1_3genE9ELNS1_11target_archE1100ELNS1_3gpuE3ELNS1_3repE0EEENS1_30default_config_static_selectorELNS0_4arch9wavefront6targetE1EEEvSZ_
    .private_segment_fixed_size: 0
    .sgpr_count:     4
    .sgpr_spill_count: 0
    .symbol:         _ZN7rocprim17ROCPRIM_400000_NS6detail17trampoline_kernelINS0_13select_configILj256ELj13ELNS0_17block_load_methodE3ELS4_3ELS4_3ELNS0_20block_scan_algorithmE0ELj4294967295EEENS1_25partition_config_selectorILNS1_17partition_subalgoE3EjNS0_10empty_typeEbEEZZNS1_14partition_implILS8_3ELb0ES6_jNS0_17counting_iteratorIjlEEPS9_SE_NS0_5tupleIJPjSE_EEENSF_IJSE_SE_EEES9_SG_JZNS1_25segmented_radix_sort_implINS0_14default_configELb0EPK6__halfPSL_PKlPlN2at6native12_GLOBAL__N_18offset_tEEE10hipError_tPvRmT1_PNSt15iterator_traitsISZ_E10value_typeET2_T3_PNS10_IS15_E10value_typeET4_jRbjT5_S1B_jjP12ihipStream_tbEUljE_EEESW_SX_SY_S15_S19_S1B_T6_T7_T9_mT8_S1D_bDpT10_ENKUlT_T0_E_clISt17integral_constantIbLb0EES1P_IbLb1EEEEDaS1L_S1M_EUlS1L_E_NS1_11comp_targetILNS1_3genE9ELNS1_11target_archE1100ELNS1_3gpuE3ELNS1_3repE0EEENS1_30default_config_static_selectorELNS0_4arch9wavefront6targetE1EEEvSZ_.kd
    .uniform_work_group_size: 1
    .uses_dynamic_stack: false
    .vgpr_count:     0
    .vgpr_spill_count: 0
    .wavefront_size: 64
  - .args:
      - .offset:         0
        .size:           152
        .value_kind:     by_value
    .group_segment_fixed_size: 0
    .kernarg_segment_align: 8
    .kernarg_segment_size: 152
    .language:       OpenCL C
    .language_version:
      - 2
      - 0
    .max_flat_workgroup_size: 256
    .name:           _ZN7rocprim17ROCPRIM_400000_NS6detail17trampoline_kernelINS0_13select_configILj256ELj13ELNS0_17block_load_methodE3ELS4_3ELS4_3ELNS0_20block_scan_algorithmE0ELj4294967295EEENS1_25partition_config_selectorILNS1_17partition_subalgoE3EjNS0_10empty_typeEbEEZZNS1_14partition_implILS8_3ELb0ES6_jNS0_17counting_iteratorIjlEEPS9_SE_NS0_5tupleIJPjSE_EEENSF_IJSE_SE_EEES9_SG_JZNS1_25segmented_radix_sort_implINS0_14default_configELb0EPK6__halfPSL_PKlPlN2at6native12_GLOBAL__N_18offset_tEEE10hipError_tPvRmT1_PNSt15iterator_traitsISZ_E10value_typeET2_T3_PNS10_IS15_E10value_typeET4_jRbjT5_S1B_jjP12ihipStream_tbEUljE_EEESW_SX_SY_S15_S19_S1B_T6_T7_T9_mT8_S1D_bDpT10_ENKUlT_T0_E_clISt17integral_constantIbLb0EES1P_IbLb1EEEEDaS1L_S1M_EUlS1L_E_NS1_11comp_targetILNS1_3genE8ELNS1_11target_archE1030ELNS1_3gpuE2ELNS1_3repE0EEENS1_30default_config_static_selectorELNS0_4arch9wavefront6targetE1EEEvSZ_
    .private_segment_fixed_size: 0
    .sgpr_count:     4
    .sgpr_spill_count: 0
    .symbol:         _ZN7rocprim17ROCPRIM_400000_NS6detail17trampoline_kernelINS0_13select_configILj256ELj13ELNS0_17block_load_methodE3ELS4_3ELS4_3ELNS0_20block_scan_algorithmE0ELj4294967295EEENS1_25partition_config_selectorILNS1_17partition_subalgoE3EjNS0_10empty_typeEbEEZZNS1_14partition_implILS8_3ELb0ES6_jNS0_17counting_iteratorIjlEEPS9_SE_NS0_5tupleIJPjSE_EEENSF_IJSE_SE_EEES9_SG_JZNS1_25segmented_radix_sort_implINS0_14default_configELb0EPK6__halfPSL_PKlPlN2at6native12_GLOBAL__N_18offset_tEEE10hipError_tPvRmT1_PNSt15iterator_traitsISZ_E10value_typeET2_T3_PNS10_IS15_E10value_typeET4_jRbjT5_S1B_jjP12ihipStream_tbEUljE_EEESW_SX_SY_S15_S19_S1B_T6_T7_T9_mT8_S1D_bDpT10_ENKUlT_T0_E_clISt17integral_constantIbLb0EES1P_IbLb1EEEEDaS1L_S1M_EUlS1L_E_NS1_11comp_targetILNS1_3genE8ELNS1_11target_archE1030ELNS1_3gpuE2ELNS1_3repE0EEENS1_30default_config_static_selectorELNS0_4arch9wavefront6targetE1EEEvSZ_.kd
    .uniform_work_group_size: 1
    .uses_dynamic_stack: false
    .vgpr_count:     0
    .vgpr_spill_count: 0
    .wavefront_size: 64
  - .args:
      - .offset:         0
        .size:           96
        .value_kind:     by_value
    .group_segment_fixed_size: 0
    .kernarg_segment_align: 8
    .kernarg_segment_size: 96
    .language:       OpenCL C
    .language_version:
      - 2
      - 0
    .max_flat_workgroup_size: 256
    .name:           _ZN7rocprim17ROCPRIM_400000_NS6detail17trampoline_kernelINS0_14default_configENS1_36segmented_radix_sort_config_selectorI6__halflEEZNS1_25segmented_radix_sort_implIS3_Lb0EPKS5_PS5_PKlPlN2at6native12_GLOBAL__N_18offset_tEEE10hipError_tPvRmT1_PNSt15iterator_traitsISL_E10value_typeET2_T3_PNSM_ISR_E10value_typeET4_jRbjT5_SX_jjP12ihipStream_tbEUlT_E_NS1_11comp_targetILNS1_3genE0ELNS1_11target_archE4294967295ELNS1_3gpuE0ELNS1_3repE0EEENS1_30default_config_static_selectorELNS0_4arch9wavefront6targetE1EEEvSL_
    .private_segment_fixed_size: 0
    .sgpr_count:     4
    .sgpr_spill_count: 0
    .symbol:         _ZN7rocprim17ROCPRIM_400000_NS6detail17trampoline_kernelINS0_14default_configENS1_36segmented_radix_sort_config_selectorI6__halflEEZNS1_25segmented_radix_sort_implIS3_Lb0EPKS5_PS5_PKlPlN2at6native12_GLOBAL__N_18offset_tEEE10hipError_tPvRmT1_PNSt15iterator_traitsISL_E10value_typeET2_T3_PNSM_ISR_E10value_typeET4_jRbjT5_SX_jjP12ihipStream_tbEUlT_E_NS1_11comp_targetILNS1_3genE0ELNS1_11target_archE4294967295ELNS1_3gpuE0ELNS1_3repE0EEENS1_30default_config_static_selectorELNS0_4arch9wavefront6targetE1EEEvSL_.kd
    .uniform_work_group_size: 1
    .uses_dynamic_stack: false
    .vgpr_count:     0
    .vgpr_spill_count: 0
    .wavefront_size: 64
  - .args:
      - .offset:         0
        .size:           96
        .value_kind:     by_value
    .group_segment_fixed_size: 0
    .kernarg_segment_align: 8
    .kernarg_segment_size: 96
    .language:       OpenCL C
    .language_version:
      - 2
      - 0
    .max_flat_workgroup_size: 256
    .name:           _ZN7rocprim17ROCPRIM_400000_NS6detail17trampoline_kernelINS0_14default_configENS1_36segmented_radix_sort_config_selectorI6__halflEEZNS1_25segmented_radix_sort_implIS3_Lb0EPKS5_PS5_PKlPlN2at6native12_GLOBAL__N_18offset_tEEE10hipError_tPvRmT1_PNSt15iterator_traitsISL_E10value_typeET2_T3_PNSM_ISR_E10value_typeET4_jRbjT5_SX_jjP12ihipStream_tbEUlT_E_NS1_11comp_targetILNS1_3genE5ELNS1_11target_archE942ELNS1_3gpuE9ELNS1_3repE0EEENS1_30default_config_static_selectorELNS0_4arch9wavefront6targetE1EEEvSL_
    .private_segment_fixed_size: 0
    .sgpr_count:     4
    .sgpr_spill_count: 0
    .symbol:         _ZN7rocprim17ROCPRIM_400000_NS6detail17trampoline_kernelINS0_14default_configENS1_36segmented_radix_sort_config_selectorI6__halflEEZNS1_25segmented_radix_sort_implIS3_Lb0EPKS5_PS5_PKlPlN2at6native12_GLOBAL__N_18offset_tEEE10hipError_tPvRmT1_PNSt15iterator_traitsISL_E10value_typeET2_T3_PNSM_ISR_E10value_typeET4_jRbjT5_SX_jjP12ihipStream_tbEUlT_E_NS1_11comp_targetILNS1_3genE5ELNS1_11target_archE942ELNS1_3gpuE9ELNS1_3repE0EEENS1_30default_config_static_selectorELNS0_4arch9wavefront6targetE1EEEvSL_.kd
    .uniform_work_group_size: 1
    .uses_dynamic_stack: false
    .vgpr_count:     0
    .vgpr_spill_count: 0
    .wavefront_size: 64
  - .args:
      - .offset:         0
        .size:           96
        .value_kind:     by_value
    .group_segment_fixed_size: 0
    .kernarg_segment_align: 8
    .kernarg_segment_size: 96
    .language:       OpenCL C
    .language_version:
      - 2
      - 0
    .max_flat_workgroup_size: 256
    .name:           _ZN7rocprim17ROCPRIM_400000_NS6detail17trampoline_kernelINS0_14default_configENS1_36segmented_radix_sort_config_selectorI6__halflEEZNS1_25segmented_radix_sort_implIS3_Lb0EPKS5_PS5_PKlPlN2at6native12_GLOBAL__N_18offset_tEEE10hipError_tPvRmT1_PNSt15iterator_traitsISL_E10value_typeET2_T3_PNSM_ISR_E10value_typeET4_jRbjT5_SX_jjP12ihipStream_tbEUlT_E_NS1_11comp_targetILNS1_3genE4ELNS1_11target_archE910ELNS1_3gpuE8ELNS1_3repE0EEENS1_30default_config_static_selectorELNS0_4arch9wavefront6targetE1EEEvSL_
    .private_segment_fixed_size: 0
    .sgpr_count:     4
    .sgpr_spill_count: 0
    .symbol:         _ZN7rocprim17ROCPRIM_400000_NS6detail17trampoline_kernelINS0_14default_configENS1_36segmented_radix_sort_config_selectorI6__halflEEZNS1_25segmented_radix_sort_implIS3_Lb0EPKS5_PS5_PKlPlN2at6native12_GLOBAL__N_18offset_tEEE10hipError_tPvRmT1_PNSt15iterator_traitsISL_E10value_typeET2_T3_PNSM_ISR_E10value_typeET4_jRbjT5_SX_jjP12ihipStream_tbEUlT_E_NS1_11comp_targetILNS1_3genE4ELNS1_11target_archE910ELNS1_3gpuE8ELNS1_3repE0EEENS1_30default_config_static_selectorELNS0_4arch9wavefront6targetE1EEEvSL_.kd
    .uniform_work_group_size: 1
    .uses_dynamic_stack: false
    .vgpr_count:     0
    .vgpr_spill_count: 0
    .wavefront_size: 64
  - .args:
      - .offset:         0
        .size:           96
        .value_kind:     by_value
    .group_segment_fixed_size: 0
    .kernarg_segment_align: 8
    .kernarg_segment_size: 96
    .language:       OpenCL C
    .language_version:
      - 2
      - 0
    .max_flat_workgroup_size: 256
    .name:           _ZN7rocprim17ROCPRIM_400000_NS6detail17trampoline_kernelINS0_14default_configENS1_36segmented_radix_sort_config_selectorI6__halflEEZNS1_25segmented_radix_sort_implIS3_Lb0EPKS5_PS5_PKlPlN2at6native12_GLOBAL__N_18offset_tEEE10hipError_tPvRmT1_PNSt15iterator_traitsISL_E10value_typeET2_T3_PNSM_ISR_E10value_typeET4_jRbjT5_SX_jjP12ihipStream_tbEUlT_E_NS1_11comp_targetILNS1_3genE3ELNS1_11target_archE908ELNS1_3gpuE7ELNS1_3repE0EEENS1_30default_config_static_selectorELNS0_4arch9wavefront6targetE1EEEvSL_
    .private_segment_fixed_size: 0
    .sgpr_count:     4
    .sgpr_spill_count: 0
    .symbol:         _ZN7rocprim17ROCPRIM_400000_NS6detail17trampoline_kernelINS0_14default_configENS1_36segmented_radix_sort_config_selectorI6__halflEEZNS1_25segmented_radix_sort_implIS3_Lb0EPKS5_PS5_PKlPlN2at6native12_GLOBAL__N_18offset_tEEE10hipError_tPvRmT1_PNSt15iterator_traitsISL_E10value_typeET2_T3_PNSM_ISR_E10value_typeET4_jRbjT5_SX_jjP12ihipStream_tbEUlT_E_NS1_11comp_targetILNS1_3genE3ELNS1_11target_archE908ELNS1_3gpuE7ELNS1_3repE0EEENS1_30default_config_static_selectorELNS0_4arch9wavefront6targetE1EEEvSL_.kd
    .uniform_work_group_size: 1
    .uses_dynamic_stack: false
    .vgpr_count:     0
    .vgpr_spill_count: 0
    .wavefront_size: 64
  - .args:
      - .offset:         0
        .size:           96
        .value_kind:     by_value
      - .offset:         96
        .size:           4
        .value_kind:     hidden_block_count_x
      - .offset:         100
        .size:           4
        .value_kind:     hidden_block_count_y
      - .offset:         104
        .size:           4
        .value_kind:     hidden_block_count_z
      - .offset:         108
        .size:           2
        .value_kind:     hidden_group_size_x
      - .offset:         110
        .size:           2
        .value_kind:     hidden_group_size_y
      - .offset:         112
        .size:           2
        .value_kind:     hidden_group_size_z
      - .offset:         114
        .size:           2
        .value_kind:     hidden_remainder_x
      - .offset:         116
        .size:           2
        .value_kind:     hidden_remainder_y
      - .offset:         118
        .size:           2
        .value_kind:     hidden_remainder_z
      - .offset:         136
        .size:           8
        .value_kind:     hidden_global_offset_x
      - .offset:         144
        .size:           8
        .value_kind:     hidden_global_offset_y
      - .offset:         152
        .size:           8
        .value_kind:     hidden_global_offset_z
      - .offset:         160
        .size:           2
        .value_kind:     hidden_grid_dims
    .group_segment_fixed_size: 17424
    .kernarg_segment_align: 8
    .kernarg_segment_size: 352
    .language:       OpenCL C
    .language_version:
      - 2
      - 0
    .max_flat_workgroup_size: 256
    .name:           _ZN7rocprim17ROCPRIM_400000_NS6detail17trampoline_kernelINS0_14default_configENS1_36segmented_radix_sort_config_selectorI6__halflEEZNS1_25segmented_radix_sort_implIS3_Lb0EPKS5_PS5_PKlPlN2at6native12_GLOBAL__N_18offset_tEEE10hipError_tPvRmT1_PNSt15iterator_traitsISL_E10value_typeET2_T3_PNSM_ISR_E10value_typeET4_jRbjT5_SX_jjP12ihipStream_tbEUlT_E_NS1_11comp_targetILNS1_3genE2ELNS1_11target_archE906ELNS1_3gpuE6ELNS1_3repE0EEENS1_30default_config_static_selectorELNS0_4arch9wavefront6targetE1EEEvSL_
    .private_segment_fixed_size: 0
    .sgpr_count:     86
    .sgpr_spill_count: 0
    .symbol:         _ZN7rocprim17ROCPRIM_400000_NS6detail17trampoline_kernelINS0_14default_configENS1_36segmented_radix_sort_config_selectorI6__halflEEZNS1_25segmented_radix_sort_implIS3_Lb0EPKS5_PS5_PKlPlN2at6native12_GLOBAL__N_18offset_tEEE10hipError_tPvRmT1_PNSt15iterator_traitsISL_E10value_typeET2_T3_PNSM_ISR_E10value_typeET4_jRbjT5_SX_jjP12ihipStream_tbEUlT_E_NS1_11comp_targetILNS1_3genE2ELNS1_11target_archE906ELNS1_3gpuE6ELNS1_3repE0EEENS1_30default_config_static_selectorELNS0_4arch9wavefront6targetE1EEEvSL_.kd
    .uniform_work_group_size: 1
    .uses_dynamic_stack: false
    .vgpr_count:     195
    .vgpr_spill_count: 0
    .wavefront_size: 64
  - .args:
      - .offset:         0
        .size:           96
        .value_kind:     by_value
    .group_segment_fixed_size: 0
    .kernarg_segment_align: 8
    .kernarg_segment_size: 96
    .language:       OpenCL C
    .language_version:
      - 2
      - 0
    .max_flat_workgroup_size: 256
    .name:           _ZN7rocprim17ROCPRIM_400000_NS6detail17trampoline_kernelINS0_14default_configENS1_36segmented_radix_sort_config_selectorI6__halflEEZNS1_25segmented_radix_sort_implIS3_Lb0EPKS5_PS5_PKlPlN2at6native12_GLOBAL__N_18offset_tEEE10hipError_tPvRmT1_PNSt15iterator_traitsISL_E10value_typeET2_T3_PNSM_ISR_E10value_typeET4_jRbjT5_SX_jjP12ihipStream_tbEUlT_E_NS1_11comp_targetILNS1_3genE10ELNS1_11target_archE1201ELNS1_3gpuE5ELNS1_3repE0EEENS1_30default_config_static_selectorELNS0_4arch9wavefront6targetE1EEEvSL_
    .private_segment_fixed_size: 0
    .sgpr_count:     4
    .sgpr_spill_count: 0
    .symbol:         _ZN7rocprim17ROCPRIM_400000_NS6detail17trampoline_kernelINS0_14default_configENS1_36segmented_radix_sort_config_selectorI6__halflEEZNS1_25segmented_radix_sort_implIS3_Lb0EPKS5_PS5_PKlPlN2at6native12_GLOBAL__N_18offset_tEEE10hipError_tPvRmT1_PNSt15iterator_traitsISL_E10value_typeET2_T3_PNSM_ISR_E10value_typeET4_jRbjT5_SX_jjP12ihipStream_tbEUlT_E_NS1_11comp_targetILNS1_3genE10ELNS1_11target_archE1201ELNS1_3gpuE5ELNS1_3repE0EEENS1_30default_config_static_selectorELNS0_4arch9wavefront6targetE1EEEvSL_.kd
    .uniform_work_group_size: 1
    .uses_dynamic_stack: false
    .vgpr_count:     0
    .vgpr_spill_count: 0
    .wavefront_size: 64
  - .args:
      - .offset:         0
        .size:           96
        .value_kind:     by_value
    .group_segment_fixed_size: 0
    .kernarg_segment_align: 8
    .kernarg_segment_size: 96
    .language:       OpenCL C
    .language_version:
      - 2
      - 0
    .max_flat_workgroup_size: 128
    .name:           _ZN7rocprim17ROCPRIM_400000_NS6detail17trampoline_kernelINS0_14default_configENS1_36segmented_radix_sort_config_selectorI6__halflEEZNS1_25segmented_radix_sort_implIS3_Lb0EPKS5_PS5_PKlPlN2at6native12_GLOBAL__N_18offset_tEEE10hipError_tPvRmT1_PNSt15iterator_traitsISL_E10value_typeET2_T3_PNSM_ISR_E10value_typeET4_jRbjT5_SX_jjP12ihipStream_tbEUlT_E_NS1_11comp_targetILNS1_3genE10ELNS1_11target_archE1200ELNS1_3gpuE4ELNS1_3repE0EEENS1_30default_config_static_selectorELNS0_4arch9wavefront6targetE1EEEvSL_
    .private_segment_fixed_size: 0
    .sgpr_count:     4
    .sgpr_spill_count: 0
    .symbol:         _ZN7rocprim17ROCPRIM_400000_NS6detail17trampoline_kernelINS0_14default_configENS1_36segmented_radix_sort_config_selectorI6__halflEEZNS1_25segmented_radix_sort_implIS3_Lb0EPKS5_PS5_PKlPlN2at6native12_GLOBAL__N_18offset_tEEE10hipError_tPvRmT1_PNSt15iterator_traitsISL_E10value_typeET2_T3_PNSM_ISR_E10value_typeET4_jRbjT5_SX_jjP12ihipStream_tbEUlT_E_NS1_11comp_targetILNS1_3genE10ELNS1_11target_archE1200ELNS1_3gpuE4ELNS1_3repE0EEENS1_30default_config_static_selectorELNS0_4arch9wavefront6targetE1EEEvSL_.kd
    .uniform_work_group_size: 1
    .uses_dynamic_stack: false
    .vgpr_count:     0
    .vgpr_spill_count: 0
    .wavefront_size: 64
  - .args:
      - .offset:         0
        .size:           96
        .value_kind:     by_value
    .group_segment_fixed_size: 0
    .kernarg_segment_align: 8
    .kernarg_segment_size: 96
    .language:       OpenCL C
    .language_version:
      - 2
      - 0
    .max_flat_workgroup_size: 256
    .name:           _ZN7rocprim17ROCPRIM_400000_NS6detail17trampoline_kernelINS0_14default_configENS1_36segmented_radix_sort_config_selectorI6__halflEEZNS1_25segmented_radix_sort_implIS3_Lb0EPKS5_PS5_PKlPlN2at6native12_GLOBAL__N_18offset_tEEE10hipError_tPvRmT1_PNSt15iterator_traitsISL_E10value_typeET2_T3_PNSM_ISR_E10value_typeET4_jRbjT5_SX_jjP12ihipStream_tbEUlT_E_NS1_11comp_targetILNS1_3genE9ELNS1_11target_archE1100ELNS1_3gpuE3ELNS1_3repE0EEENS1_30default_config_static_selectorELNS0_4arch9wavefront6targetE1EEEvSL_
    .private_segment_fixed_size: 0
    .sgpr_count:     4
    .sgpr_spill_count: 0
    .symbol:         _ZN7rocprim17ROCPRIM_400000_NS6detail17trampoline_kernelINS0_14default_configENS1_36segmented_radix_sort_config_selectorI6__halflEEZNS1_25segmented_radix_sort_implIS3_Lb0EPKS5_PS5_PKlPlN2at6native12_GLOBAL__N_18offset_tEEE10hipError_tPvRmT1_PNSt15iterator_traitsISL_E10value_typeET2_T3_PNSM_ISR_E10value_typeET4_jRbjT5_SX_jjP12ihipStream_tbEUlT_E_NS1_11comp_targetILNS1_3genE9ELNS1_11target_archE1100ELNS1_3gpuE3ELNS1_3repE0EEENS1_30default_config_static_selectorELNS0_4arch9wavefront6targetE1EEEvSL_.kd
    .uniform_work_group_size: 1
    .uses_dynamic_stack: false
    .vgpr_count:     0
    .vgpr_spill_count: 0
    .wavefront_size: 64
  - .args:
      - .offset:         0
        .size:           96
        .value_kind:     by_value
    .group_segment_fixed_size: 0
    .kernarg_segment_align: 8
    .kernarg_segment_size: 96
    .language:       OpenCL C
    .language_version:
      - 2
      - 0
    .max_flat_workgroup_size: 256
    .name:           _ZN7rocprim17ROCPRIM_400000_NS6detail17trampoline_kernelINS0_14default_configENS1_36segmented_radix_sort_config_selectorI6__halflEEZNS1_25segmented_radix_sort_implIS3_Lb0EPKS5_PS5_PKlPlN2at6native12_GLOBAL__N_18offset_tEEE10hipError_tPvRmT1_PNSt15iterator_traitsISL_E10value_typeET2_T3_PNSM_ISR_E10value_typeET4_jRbjT5_SX_jjP12ihipStream_tbEUlT_E_NS1_11comp_targetILNS1_3genE8ELNS1_11target_archE1030ELNS1_3gpuE2ELNS1_3repE0EEENS1_30default_config_static_selectorELNS0_4arch9wavefront6targetE1EEEvSL_
    .private_segment_fixed_size: 0
    .sgpr_count:     4
    .sgpr_spill_count: 0
    .symbol:         _ZN7rocprim17ROCPRIM_400000_NS6detail17trampoline_kernelINS0_14default_configENS1_36segmented_radix_sort_config_selectorI6__halflEEZNS1_25segmented_radix_sort_implIS3_Lb0EPKS5_PS5_PKlPlN2at6native12_GLOBAL__N_18offset_tEEE10hipError_tPvRmT1_PNSt15iterator_traitsISL_E10value_typeET2_T3_PNSM_ISR_E10value_typeET4_jRbjT5_SX_jjP12ihipStream_tbEUlT_E_NS1_11comp_targetILNS1_3genE8ELNS1_11target_archE1030ELNS1_3gpuE2ELNS1_3repE0EEENS1_30default_config_static_selectorELNS0_4arch9wavefront6targetE1EEEvSL_.kd
    .uniform_work_group_size: 1
    .uses_dynamic_stack: false
    .vgpr_count:     0
    .vgpr_spill_count: 0
    .wavefront_size: 64
  - .args:
      - .offset:         0
        .size:           88
        .value_kind:     by_value
    .group_segment_fixed_size: 0
    .kernarg_segment_align: 8
    .kernarg_segment_size: 88
    .language:       OpenCL C
    .language_version:
      - 2
      - 0
    .max_flat_workgroup_size: 256
    .name:           _ZN7rocprim17ROCPRIM_400000_NS6detail17trampoline_kernelINS0_14default_configENS1_36segmented_radix_sort_config_selectorI6__halflEEZNS1_25segmented_radix_sort_implIS3_Lb0EPKS5_PS5_PKlPlN2at6native12_GLOBAL__N_18offset_tEEE10hipError_tPvRmT1_PNSt15iterator_traitsISL_E10value_typeET2_T3_PNSM_ISR_E10value_typeET4_jRbjT5_SX_jjP12ihipStream_tbEUlT_E0_NS1_11comp_targetILNS1_3genE0ELNS1_11target_archE4294967295ELNS1_3gpuE0ELNS1_3repE0EEENS1_60segmented_radix_sort_warp_sort_medium_config_static_selectorELNS0_4arch9wavefront6targetE1EEEvSL_
    .private_segment_fixed_size: 0
    .sgpr_count:     4
    .sgpr_spill_count: 0
    .symbol:         _ZN7rocprim17ROCPRIM_400000_NS6detail17trampoline_kernelINS0_14default_configENS1_36segmented_radix_sort_config_selectorI6__halflEEZNS1_25segmented_radix_sort_implIS3_Lb0EPKS5_PS5_PKlPlN2at6native12_GLOBAL__N_18offset_tEEE10hipError_tPvRmT1_PNSt15iterator_traitsISL_E10value_typeET2_T3_PNSM_ISR_E10value_typeET4_jRbjT5_SX_jjP12ihipStream_tbEUlT_E0_NS1_11comp_targetILNS1_3genE0ELNS1_11target_archE4294967295ELNS1_3gpuE0ELNS1_3repE0EEENS1_60segmented_radix_sort_warp_sort_medium_config_static_selectorELNS0_4arch9wavefront6targetE1EEEvSL_.kd
    .uniform_work_group_size: 1
    .uses_dynamic_stack: false
    .vgpr_count:     0
    .vgpr_spill_count: 0
    .wavefront_size: 64
  - .args:
      - .offset:         0
        .size:           88
        .value_kind:     by_value
    .group_segment_fixed_size: 0
    .kernarg_segment_align: 8
    .kernarg_segment_size: 88
    .language:       OpenCL C
    .language_version:
      - 2
      - 0
    .max_flat_workgroup_size: 256
    .name:           _ZN7rocprim17ROCPRIM_400000_NS6detail17trampoline_kernelINS0_14default_configENS1_36segmented_radix_sort_config_selectorI6__halflEEZNS1_25segmented_radix_sort_implIS3_Lb0EPKS5_PS5_PKlPlN2at6native12_GLOBAL__N_18offset_tEEE10hipError_tPvRmT1_PNSt15iterator_traitsISL_E10value_typeET2_T3_PNSM_ISR_E10value_typeET4_jRbjT5_SX_jjP12ihipStream_tbEUlT_E0_NS1_11comp_targetILNS1_3genE5ELNS1_11target_archE942ELNS1_3gpuE9ELNS1_3repE0EEENS1_60segmented_radix_sort_warp_sort_medium_config_static_selectorELNS0_4arch9wavefront6targetE1EEEvSL_
    .private_segment_fixed_size: 0
    .sgpr_count:     4
    .sgpr_spill_count: 0
    .symbol:         _ZN7rocprim17ROCPRIM_400000_NS6detail17trampoline_kernelINS0_14default_configENS1_36segmented_radix_sort_config_selectorI6__halflEEZNS1_25segmented_radix_sort_implIS3_Lb0EPKS5_PS5_PKlPlN2at6native12_GLOBAL__N_18offset_tEEE10hipError_tPvRmT1_PNSt15iterator_traitsISL_E10value_typeET2_T3_PNSM_ISR_E10value_typeET4_jRbjT5_SX_jjP12ihipStream_tbEUlT_E0_NS1_11comp_targetILNS1_3genE5ELNS1_11target_archE942ELNS1_3gpuE9ELNS1_3repE0EEENS1_60segmented_radix_sort_warp_sort_medium_config_static_selectorELNS0_4arch9wavefront6targetE1EEEvSL_.kd
    .uniform_work_group_size: 1
    .uses_dynamic_stack: false
    .vgpr_count:     0
    .vgpr_spill_count: 0
    .wavefront_size: 64
  - .args:
      - .offset:         0
        .size:           88
        .value_kind:     by_value
    .group_segment_fixed_size: 0
    .kernarg_segment_align: 8
    .kernarg_segment_size: 88
    .language:       OpenCL C
    .language_version:
      - 2
      - 0
    .max_flat_workgroup_size: 256
    .name:           _ZN7rocprim17ROCPRIM_400000_NS6detail17trampoline_kernelINS0_14default_configENS1_36segmented_radix_sort_config_selectorI6__halflEEZNS1_25segmented_radix_sort_implIS3_Lb0EPKS5_PS5_PKlPlN2at6native12_GLOBAL__N_18offset_tEEE10hipError_tPvRmT1_PNSt15iterator_traitsISL_E10value_typeET2_T3_PNSM_ISR_E10value_typeET4_jRbjT5_SX_jjP12ihipStream_tbEUlT_E0_NS1_11comp_targetILNS1_3genE4ELNS1_11target_archE910ELNS1_3gpuE8ELNS1_3repE0EEENS1_60segmented_radix_sort_warp_sort_medium_config_static_selectorELNS0_4arch9wavefront6targetE1EEEvSL_
    .private_segment_fixed_size: 0
    .sgpr_count:     4
    .sgpr_spill_count: 0
    .symbol:         _ZN7rocprim17ROCPRIM_400000_NS6detail17trampoline_kernelINS0_14default_configENS1_36segmented_radix_sort_config_selectorI6__halflEEZNS1_25segmented_radix_sort_implIS3_Lb0EPKS5_PS5_PKlPlN2at6native12_GLOBAL__N_18offset_tEEE10hipError_tPvRmT1_PNSt15iterator_traitsISL_E10value_typeET2_T3_PNSM_ISR_E10value_typeET4_jRbjT5_SX_jjP12ihipStream_tbEUlT_E0_NS1_11comp_targetILNS1_3genE4ELNS1_11target_archE910ELNS1_3gpuE8ELNS1_3repE0EEENS1_60segmented_radix_sort_warp_sort_medium_config_static_selectorELNS0_4arch9wavefront6targetE1EEEvSL_.kd
    .uniform_work_group_size: 1
    .uses_dynamic_stack: false
    .vgpr_count:     0
    .vgpr_spill_count: 0
    .wavefront_size: 64
  - .args:
      - .offset:         0
        .size:           88
        .value_kind:     by_value
    .group_segment_fixed_size: 0
    .kernarg_segment_align: 8
    .kernarg_segment_size: 88
    .language:       OpenCL C
    .language_version:
      - 2
      - 0
    .max_flat_workgroup_size: 256
    .name:           _ZN7rocprim17ROCPRIM_400000_NS6detail17trampoline_kernelINS0_14default_configENS1_36segmented_radix_sort_config_selectorI6__halflEEZNS1_25segmented_radix_sort_implIS3_Lb0EPKS5_PS5_PKlPlN2at6native12_GLOBAL__N_18offset_tEEE10hipError_tPvRmT1_PNSt15iterator_traitsISL_E10value_typeET2_T3_PNSM_ISR_E10value_typeET4_jRbjT5_SX_jjP12ihipStream_tbEUlT_E0_NS1_11comp_targetILNS1_3genE3ELNS1_11target_archE908ELNS1_3gpuE7ELNS1_3repE0EEENS1_60segmented_radix_sort_warp_sort_medium_config_static_selectorELNS0_4arch9wavefront6targetE1EEEvSL_
    .private_segment_fixed_size: 0
    .sgpr_count:     4
    .sgpr_spill_count: 0
    .symbol:         _ZN7rocprim17ROCPRIM_400000_NS6detail17trampoline_kernelINS0_14default_configENS1_36segmented_radix_sort_config_selectorI6__halflEEZNS1_25segmented_radix_sort_implIS3_Lb0EPKS5_PS5_PKlPlN2at6native12_GLOBAL__N_18offset_tEEE10hipError_tPvRmT1_PNSt15iterator_traitsISL_E10value_typeET2_T3_PNSM_ISR_E10value_typeET4_jRbjT5_SX_jjP12ihipStream_tbEUlT_E0_NS1_11comp_targetILNS1_3genE3ELNS1_11target_archE908ELNS1_3gpuE7ELNS1_3repE0EEENS1_60segmented_radix_sort_warp_sort_medium_config_static_selectorELNS0_4arch9wavefront6targetE1EEEvSL_.kd
    .uniform_work_group_size: 1
    .uses_dynamic_stack: false
    .vgpr_count:     0
    .vgpr_spill_count: 0
    .wavefront_size: 64
  - .args:
      - .offset:         0
        .size:           88
        .value_kind:     by_value
      - .offset:         88
        .size:           4
        .value_kind:     hidden_block_count_x
      - .offset:         92
        .size:           4
        .value_kind:     hidden_block_count_y
      - .offset:         96
        .size:           4
        .value_kind:     hidden_block_count_z
      - .offset:         100
        .size:           2
        .value_kind:     hidden_group_size_x
      - .offset:         102
        .size:           2
        .value_kind:     hidden_group_size_y
      - .offset:         104
        .size:           2
        .value_kind:     hidden_group_size_z
      - .offset:         106
        .size:           2
        .value_kind:     hidden_remainder_x
      - .offset:         108
        .size:           2
        .value_kind:     hidden_remainder_y
      - .offset:         110
        .size:           2
        .value_kind:     hidden_remainder_z
      - .offset:         128
        .size:           8
        .value_kind:     hidden_global_offset_x
      - .offset:         136
        .size:           8
        .value_kind:     hidden_global_offset_y
      - .offset:         144
        .size:           8
        .value_kind:     hidden_global_offset_z
      - .offset:         152
        .size:           2
        .value_kind:     hidden_grid_dims
    .group_segment_fixed_size: 20480
    .kernarg_segment_align: 8
    .kernarg_segment_size: 344
    .language:       OpenCL C
    .language_version:
      - 2
      - 0
    .max_flat_workgroup_size: 256
    .name:           _ZN7rocprim17ROCPRIM_400000_NS6detail17trampoline_kernelINS0_14default_configENS1_36segmented_radix_sort_config_selectorI6__halflEEZNS1_25segmented_radix_sort_implIS3_Lb0EPKS5_PS5_PKlPlN2at6native12_GLOBAL__N_18offset_tEEE10hipError_tPvRmT1_PNSt15iterator_traitsISL_E10value_typeET2_T3_PNSM_ISR_E10value_typeET4_jRbjT5_SX_jjP12ihipStream_tbEUlT_E0_NS1_11comp_targetILNS1_3genE2ELNS1_11target_archE906ELNS1_3gpuE6ELNS1_3repE0EEENS1_60segmented_radix_sort_warp_sort_medium_config_static_selectorELNS0_4arch9wavefront6targetE1EEEvSL_
    .private_segment_fixed_size: 0
    .sgpr_count:     64
    .sgpr_spill_count: 0
    .symbol:         _ZN7rocprim17ROCPRIM_400000_NS6detail17trampoline_kernelINS0_14default_configENS1_36segmented_radix_sort_config_selectorI6__halflEEZNS1_25segmented_radix_sort_implIS3_Lb0EPKS5_PS5_PKlPlN2at6native12_GLOBAL__N_18offset_tEEE10hipError_tPvRmT1_PNSt15iterator_traitsISL_E10value_typeET2_T3_PNSM_ISR_E10value_typeET4_jRbjT5_SX_jjP12ihipStream_tbEUlT_E0_NS1_11comp_targetILNS1_3genE2ELNS1_11target_archE906ELNS1_3gpuE6ELNS1_3repE0EEENS1_60segmented_radix_sort_warp_sort_medium_config_static_selectorELNS0_4arch9wavefront6targetE1EEEvSL_.kd
    .uniform_work_group_size: 1
    .uses_dynamic_stack: false
    .vgpr_count:     71
    .vgpr_spill_count: 0
    .wavefront_size: 64
  - .args:
      - .offset:         0
        .size:           88
        .value_kind:     by_value
    .group_segment_fixed_size: 0
    .kernarg_segment_align: 8
    .kernarg_segment_size: 88
    .language:       OpenCL C
    .language_version:
      - 2
      - 0
    .max_flat_workgroup_size: 256
    .name:           _ZN7rocprim17ROCPRIM_400000_NS6detail17trampoline_kernelINS0_14default_configENS1_36segmented_radix_sort_config_selectorI6__halflEEZNS1_25segmented_radix_sort_implIS3_Lb0EPKS5_PS5_PKlPlN2at6native12_GLOBAL__N_18offset_tEEE10hipError_tPvRmT1_PNSt15iterator_traitsISL_E10value_typeET2_T3_PNSM_ISR_E10value_typeET4_jRbjT5_SX_jjP12ihipStream_tbEUlT_E0_NS1_11comp_targetILNS1_3genE10ELNS1_11target_archE1201ELNS1_3gpuE5ELNS1_3repE0EEENS1_60segmented_radix_sort_warp_sort_medium_config_static_selectorELNS0_4arch9wavefront6targetE1EEEvSL_
    .private_segment_fixed_size: 0
    .sgpr_count:     4
    .sgpr_spill_count: 0
    .symbol:         _ZN7rocprim17ROCPRIM_400000_NS6detail17trampoline_kernelINS0_14default_configENS1_36segmented_radix_sort_config_selectorI6__halflEEZNS1_25segmented_radix_sort_implIS3_Lb0EPKS5_PS5_PKlPlN2at6native12_GLOBAL__N_18offset_tEEE10hipError_tPvRmT1_PNSt15iterator_traitsISL_E10value_typeET2_T3_PNSM_ISR_E10value_typeET4_jRbjT5_SX_jjP12ihipStream_tbEUlT_E0_NS1_11comp_targetILNS1_3genE10ELNS1_11target_archE1201ELNS1_3gpuE5ELNS1_3repE0EEENS1_60segmented_radix_sort_warp_sort_medium_config_static_selectorELNS0_4arch9wavefront6targetE1EEEvSL_.kd
    .uniform_work_group_size: 1
    .uses_dynamic_stack: false
    .vgpr_count:     0
    .vgpr_spill_count: 0
    .wavefront_size: 64
  - .args:
      - .offset:         0
        .size:           88
        .value_kind:     by_value
    .group_segment_fixed_size: 0
    .kernarg_segment_align: 8
    .kernarg_segment_size: 88
    .language:       OpenCL C
    .language_version:
      - 2
      - 0
    .max_flat_workgroup_size: 256
    .name:           _ZN7rocprim17ROCPRIM_400000_NS6detail17trampoline_kernelINS0_14default_configENS1_36segmented_radix_sort_config_selectorI6__halflEEZNS1_25segmented_radix_sort_implIS3_Lb0EPKS5_PS5_PKlPlN2at6native12_GLOBAL__N_18offset_tEEE10hipError_tPvRmT1_PNSt15iterator_traitsISL_E10value_typeET2_T3_PNSM_ISR_E10value_typeET4_jRbjT5_SX_jjP12ihipStream_tbEUlT_E0_NS1_11comp_targetILNS1_3genE10ELNS1_11target_archE1200ELNS1_3gpuE4ELNS1_3repE0EEENS1_60segmented_radix_sort_warp_sort_medium_config_static_selectorELNS0_4arch9wavefront6targetE1EEEvSL_
    .private_segment_fixed_size: 0
    .sgpr_count:     4
    .sgpr_spill_count: 0
    .symbol:         _ZN7rocprim17ROCPRIM_400000_NS6detail17trampoline_kernelINS0_14default_configENS1_36segmented_radix_sort_config_selectorI6__halflEEZNS1_25segmented_radix_sort_implIS3_Lb0EPKS5_PS5_PKlPlN2at6native12_GLOBAL__N_18offset_tEEE10hipError_tPvRmT1_PNSt15iterator_traitsISL_E10value_typeET2_T3_PNSM_ISR_E10value_typeET4_jRbjT5_SX_jjP12ihipStream_tbEUlT_E0_NS1_11comp_targetILNS1_3genE10ELNS1_11target_archE1200ELNS1_3gpuE4ELNS1_3repE0EEENS1_60segmented_radix_sort_warp_sort_medium_config_static_selectorELNS0_4arch9wavefront6targetE1EEEvSL_.kd
    .uniform_work_group_size: 1
    .uses_dynamic_stack: false
    .vgpr_count:     0
    .vgpr_spill_count: 0
    .wavefront_size: 64
  - .args:
      - .offset:         0
        .size:           88
        .value_kind:     by_value
    .group_segment_fixed_size: 0
    .kernarg_segment_align: 8
    .kernarg_segment_size: 88
    .language:       OpenCL C
    .language_version:
      - 2
      - 0
    .max_flat_workgroup_size: 256
    .name:           _ZN7rocprim17ROCPRIM_400000_NS6detail17trampoline_kernelINS0_14default_configENS1_36segmented_radix_sort_config_selectorI6__halflEEZNS1_25segmented_radix_sort_implIS3_Lb0EPKS5_PS5_PKlPlN2at6native12_GLOBAL__N_18offset_tEEE10hipError_tPvRmT1_PNSt15iterator_traitsISL_E10value_typeET2_T3_PNSM_ISR_E10value_typeET4_jRbjT5_SX_jjP12ihipStream_tbEUlT_E0_NS1_11comp_targetILNS1_3genE9ELNS1_11target_archE1100ELNS1_3gpuE3ELNS1_3repE0EEENS1_60segmented_radix_sort_warp_sort_medium_config_static_selectorELNS0_4arch9wavefront6targetE1EEEvSL_
    .private_segment_fixed_size: 0
    .sgpr_count:     4
    .sgpr_spill_count: 0
    .symbol:         _ZN7rocprim17ROCPRIM_400000_NS6detail17trampoline_kernelINS0_14default_configENS1_36segmented_radix_sort_config_selectorI6__halflEEZNS1_25segmented_radix_sort_implIS3_Lb0EPKS5_PS5_PKlPlN2at6native12_GLOBAL__N_18offset_tEEE10hipError_tPvRmT1_PNSt15iterator_traitsISL_E10value_typeET2_T3_PNSM_ISR_E10value_typeET4_jRbjT5_SX_jjP12ihipStream_tbEUlT_E0_NS1_11comp_targetILNS1_3genE9ELNS1_11target_archE1100ELNS1_3gpuE3ELNS1_3repE0EEENS1_60segmented_radix_sort_warp_sort_medium_config_static_selectorELNS0_4arch9wavefront6targetE1EEEvSL_.kd
    .uniform_work_group_size: 1
    .uses_dynamic_stack: false
    .vgpr_count:     0
    .vgpr_spill_count: 0
    .wavefront_size: 64
  - .args:
      - .offset:         0
        .size:           88
        .value_kind:     by_value
    .group_segment_fixed_size: 0
    .kernarg_segment_align: 8
    .kernarg_segment_size: 88
    .language:       OpenCL C
    .language_version:
      - 2
      - 0
    .max_flat_workgroup_size: 256
    .name:           _ZN7rocprim17ROCPRIM_400000_NS6detail17trampoline_kernelINS0_14default_configENS1_36segmented_radix_sort_config_selectorI6__halflEEZNS1_25segmented_radix_sort_implIS3_Lb0EPKS5_PS5_PKlPlN2at6native12_GLOBAL__N_18offset_tEEE10hipError_tPvRmT1_PNSt15iterator_traitsISL_E10value_typeET2_T3_PNSM_ISR_E10value_typeET4_jRbjT5_SX_jjP12ihipStream_tbEUlT_E0_NS1_11comp_targetILNS1_3genE8ELNS1_11target_archE1030ELNS1_3gpuE2ELNS1_3repE0EEENS1_60segmented_radix_sort_warp_sort_medium_config_static_selectorELNS0_4arch9wavefront6targetE1EEEvSL_
    .private_segment_fixed_size: 0
    .sgpr_count:     4
    .sgpr_spill_count: 0
    .symbol:         _ZN7rocprim17ROCPRIM_400000_NS6detail17trampoline_kernelINS0_14default_configENS1_36segmented_radix_sort_config_selectorI6__halflEEZNS1_25segmented_radix_sort_implIS3_Lb0EPKS5_PS5_PKlPlN2at6native12_GLOBAL__N_18offset_tEEE10hipError_tPvRmT1_PNSt15iterator_traitsISL_E10value_typeET2_T3_PNSM_ISR_E10value_typeET4_jRbjT5_SX_jjP12ihipStream_tbEUlT_E0_NS1_11comp_targetILNS1_3genE8ELNS1_11target_archE1030ELNS1_3gpuE2ELNS1_3repE0EEENS1_60segmented_radix_sort_warp_sort_medium_config_static_selectorELNS0_4arch9wavefront6targetE1EEEvSL_.kd
    .uniform_work_group_size: 1
    .uses_dynamic_stack: false
    .vgpr_count:     0
    .vgpr_spill_count: 0
    .wavefront_size: 64
  - .args:
      - .offset:         0
        .size:           88
        .value_kind:     by_value
    .group_segment_fixed_size: 0
    .kernarg_segment_align: 8
    .kernarg_segment_size: 88
    .language:       OpenCL C
    .language_version:
      - 2
      - 0
    .max_flat_workgroup_size: 256
    .name:           _ZN7rocprim17ROCPRIM_400000_NS6detail17trampoline_kernelINS0_14default_configENS1_36segmented_radix_sort_config_selectorI6__halflEEZNS1_25segmented_radix_sort_implIS3_Lb0EPKS5_PS5_PKlPlN2at6native12_GLOBAL__N_18offset_tEEE10hipError_tPvRmT1_PNSt15iterator_traitsISL_E10value_typeET2_T3_PNSM_ISR_E10value_typeET4_jRbjT5_SX_jjP12ihipStream_tbEUlT_E1_NS1_11comp_targetILNS1_3genE0ELNS1_11target_archE4294967295ELNS1_3gpuE0ELNS1_3repE0EEENS1_59segmented_radix_sort_warp_sort_small_config_static_selectorELNS0_4arch9wavefront6targetE1EEEvSL_
    .private_segment_fixed_size: 0
    .sgpr_count:     4
    .sgpr_spill_count: 0
    .symbol:         _ZN7rocprim17ROCPRIM_400000_NS6detail17trampoline_kernelINS0_14default_configENS1_36segmented_radix_sort_config_selectorI6__halflEEZNS1_25segmented_radix_sort_implIS3_Lb0EPKS5_PS5_PKlPlN2at6native12_GLOBAL__N_18offset_tEEE10hipError_tPvRmT1_PNSt15iterator_traitsISL_E10value_typeET2_T3_PNSM_ISR_E10value_typeET4_jRbjT5_SX_jjP12ihipStream_tbEUlT_E1_NS1_11comp_targetILNS1_3genE0ELNS1_11target_archE4294967295ELNS1_3gpuE0ELNS1_3repE0EEENS1_59segmented_radix_sort_warp_sort_small_config_static_selectorELNS0_4arch9wavefront6targetE1EEEvSL_.kd
    .uniform_work_group_size: 1
    .uses_dynamic_stack: false
    .vgpr_count:     0
    .vgpr_spill_count: 0
    .wavefront_size: 64
  - .args:
      - .offset:         0
        .size:           88
        .value_kind:     by_value
    .group_segment_fixed_size: 0
    .kernarg_segment_align: 8
    .kernarg_segment_size: 88
    .language:       OpenCL C
    .language_version:
      - 2
      - 0
    .max_flat_workgroup_size: 256
    .name:           _ZN7rocprim17ROCPRIM_400000_NS6detail17trampoline_kernelINS0_14default_configENS1_36segmented_radix_sort_config_selectorI6__halflEEZNS1_25segmented_radix_sort_implIS3_Lb0EPKS5_PS5_PKlPlN2at6native12_GLOBAL__N_18offset_tEEE10hipError_tPvRmT1_PNSt15iterator_traitsISL_E10value_typeET2_T3_PNSM_ISR_E10value_typeET4_jRbjT5_SX_jjP12ihipStream_tbEUlT_E1_NS1_11comp_targetILNS1_3genE5ELNS1_11target_archE942ELNS1_3gpuE9ELNS1_3repE0EEENS1_59segmented_radix_sort_warp_sort_small_config_static_selectorELNS0_4arch9wavefront6targetE1EEEvSL_
    .private_segment_fixed_size: 0
    .sgpr_count:     4
    .sgpr_spill_count: 0
    .symbol:         _ZN7rocprim17ROCPRIM_400000_NS6detail17trampoline_kernelINS0_14default_configENS1_36segmented_radix_sort_config_selectorI6__halflEEZNS1_25segmented_radix_sort_implIS3_Lb0EPKS5_PS5_PKlPlN2at6native12_GLOBAL__N_18offset_tEEE10hipError_tPvRmT1_PNSt15iterator_traitsISL_E10value_typeET2_T3_PNSM_ISR_E10value_typeET4_jRbjT5_SX_jjP12ihipStream_tbEUlT_E1_NS1_11comp_targetILNS1_3genE5ELNS1_11target_archE942ELNS1_3gpuE9ELNS1_3repE0EEENS1_59segmented_radix_sort_warp_sort_small_config_static_selectorELNS0_4arch9wavefront6targetE1EEEvSL_.kd
    .uniform_work_group_size: 1
    .uses_dynamic_stack: false
    .vgpr_count:     0
    .vgpr_spill_count: 0
    .wavefront_size: 64
  - .args:
      - .offset:         0
        .size:           88
        .value_kind:     by_value
    .group_segment_fixed_size: 0
    .kernarg_segment_align: 8
    .kernarg_segment_size: 88
    .language:       OpenCL C
    .language_version:
      - 2
      - 0
    .max_flat_workgroup_size: 256
    .name:           _ZN7rocprim17ROCPRIM_400000_NS6detail17trampoline_kernelINS0_14default_configENS1_36segmented_radix_sort_config_selectorI6__halflEEZNS1_25segmented_radix_sort_implIS3_Lb0EPKS5_PS5_PKlPlN2at6native12_GLOBAL__N_18offset_tEEE10hipError_tPvRmT1_PNSt15iterator_traitsISL_E10value_typeET2_T3_PNSM_ISR_E10value_typeET4_jRbjT5_SX_jjP12ihipStream_tbEUlT_E1_NS1_11comp_targetILNS1_3genE4ELNS1_11target_archE910ELNS1_3gpuE8ELNS1_3repE0EEENS1_59segmented_radix_sort_warp_sort_small_config_static_selectorELNS0_4arch9wavefront6targetE1EEEvSL_
    .private_segment_fixed_size: 0
    .sgpr_count:     4
    .sgpr_spill_count: 0
    .symbol:         _ZN7rocprim17ROCPRIM_400000_NS6detail17trampoline_kernelINS0_14default_configENS1_36segmented_radix_sort_config_selectorI6__halflEEZNS1_25segmented_radix_sort_implIS3_Lb0EPKS5_PS5_PKlPlN2at6native12_GLOBAL__N_18offset_tEEE10hipError_tPvRmT1_PNSt15iterator_traitsISL_E10value_typeET2_T3_PNSM_ISR_E10value_typeET4_jRbjT5_SX_jjP12ihipStream_tbEUlT_E1_NS1_11comp_targetILNS1_3genE4ELNS1_11target_archE910ELNS1_3gpuE8ELNS1_3repE0EEENS1_59segmented_radix_sort_warp_sort_small_config_static_selectorELNS0_4arch9wavefront6targetE1EEEvSL_.kd
    .uniform_work_group_size: 1
    .uses_dynamic_stack: false
    .vgpr_count:     0
    .vgpr_spill_count: 0
    .wavefront_size: 64
  - .args:
      - .offset:         0
        .size:           88
        .value_kind:     by_value
    .group_segment_fixed_size: 0
    .kernarg_segment_align: 8
    .kernarg_segment_size: 88
    .language:       OpenCL C
    .language_version:
      - 2
      - 0
    .max_flat_workgroup_size: 256
    .name:           _ZN7rocprim17ROCPRIM_400000_NS6detail17trampoline_kernelINS0_14default_configENS1_36segmented_radix_sort_config_selectorI6__halflEEZNS1_25segmented_radix_sort_implIS3_Lb0EPKS5_PS5_PKlPlN2at6native12_GLOBAL__N_18offset_tEEE10hipError_tPvRmT1_PNSt15iterator_traitsISL_E10value_typeET2_T3_PNSM_ISR_E10value_typeET4_jRbjT5_SX_jjP12ihipStream_tbEUlT_E1_NS1_11comp_targetILNS1_3genE3ELNS1_11target_archE908ELNS1_3gpuE7ELNS1_3repE0EEENS1_59segmented_radix_sort_warp_sort_small_config_static_selectorELNS0_4arch9wavefront6targetE1EEEvSL_
    .private_segment_fixed_size: 0
    .sgpr_count:     4
    .sgpr_spill_count: 0
    .symbol:         _ZN7rocprim17ROCPRIM_400000_NS6detail17trampoline_kernelINS0_14default_configENS1_36segmented_radix_sort_config_selectorI6__halflEEZNS1_25segmented_radix_sort_implIS3_Lb0EPKS5_PS5_PKlPlN2at6native12_GLOBAL__N_18offset_tEEE10hipError_tPvRmT1_PNSt15iterator_traitsISL_E10value_typeET2_T3_PNSM_ISR_E10value_typeET4_jRbjT5_SX_jjP12ihipStream_tbEUlT_E1_NS1_11comp_targetILNS1_3genE3ELNS1_11target_archE908ELNS1_3gpuE7ELNS1_3repE0EEENS1_59segmented_radix_sort_warp_sort_small_config_static_selectorELNS0_4arch9wavefront6targetE1EEEvSL_.kd
    .uniform_work_group_size: 1
    .uses_dynamic_stack: false
    .vgpr_count:     0
    .vgpr_spill_count: 0
    .wavefront_size: 64
  - .args:
      - .offset:         0
        .size:           88
        .value_kind:     by_value
      - .offset:         88
        .size:           4
        .value_kind:     hidden_block_count_x
      - .offset:         92
        .size:           4
        .value_kind:     hidden_block_count_y
      - .offset:         96
        .size:           4
        .value_kind:     hidden_block_count_z
      - .offset:         100
        .size:           2
        .value_kind:     hidden_group_size_x
      - .offset:         102
        .size:           2
        .value_kind:     hidden_group_size_y
      - .offset:         104
        .size:           2
        .value_kind:     hidden_group_size_z
      - .offset:         106
        .size:           2
        .value_kind:     hidden_remainder_x
      - .offset:         108
        .size:           2
        .value_kind:     hidden_remainder_y
      - .offset:         110
        .size:           2
        .value_kind:     hidden_remainder_z
      - .offset:         128
        .size:           8
        .value_kind:     hidden_global_offset_x
      - .offset:         136
        .size:           8
        .value_kind:     hidden_global_offset_y
      - .offset:         144
        .size:           8
        .value_kind:     hidden_global_offset_z
      - .offset:         152
        .size:           2
        .value_kind:     hidden_grid_dims
    .group_segment_fixed_size: 10240
    .kernarg_segment_align: 8
    .kernarg_segment_size: 344
    .language:       OpenCL C
    .language_version:
      - 2
      - 0
    .max_flat_workgroup_size: 256
    .name:           _ZN7rocprim17ROCPRIM_400000_NS6detail17trampoline_kernelINS0_14default_configENS1_36segmented_radix_sort_config_selectorI6__halflEEZNS1_25segmented_radix_sort_implIS3_Lb0EPKS5_PS5_PKlPlN2at6native12_GLOBAL__N_18offset_tEEE10hipError_tPvRmT1_PNSt15iterator_traitsISL_E10value_typeET2_T3_PNSM_ISR_E10value_typeET4_jRbjT5_SX_jjP12ihipStream_tbEUlT_E1_NS1_11comp_targetILNS1_3genE2ELNS1_11target_archE906ELNS1_3gpuE6ELNS1_3repE0EEENS1_59segmented_radix_sort_warp_sort_small_config_static_selectorELNS0_4arch9wavefront6targetE1EEEvSL_
    .private_segment_fixed_size: 0
    .sgpr_count:     46
    .sgpr_spill_count: 0
    .symbol:         _ZN7rocprim17ROCPRIM_400000_NS6detail17trampoline_kernelINS0_14default_configENS1_36segmented_radix_sort_config_selectorI6__halflEEZNS1_25segmented_radix_sort_implIS3_Lb0EPKS5_PS5_PKlPlN2at6native12_GLOBAL__N_18offset_tEEE10hipError_tPvRmT1_PNSt15iterator_traitsISL_E10value_typeET2_T3_PNSM_ISR_E10value_typeET4_jRbjT5_SX_jjP12ihipStream_tbEUlT_E1_NS1_11comp_targetILNS1_3genE2ELNS1_11target_archE906ELNS1_3gpuE6ELNS1_3repE0EEENS1_59segmented_radix_sort_warp_sort_small_config_static_selectorELNS0_4arch9wavefront6targetE1EEEvSL_.kd
    .uniform_work_group_size: 1
    .uses_dynamic_stack: false
    .vgpr_count:     67
    .vgpr_spill_count: 0
    .wavefront_size: 64
  - .args:
      - .offset:         0
        .size:           88
        .value_kind:     by_value
    .group_segment_fixed_size: 0
    .kernarg_segment_align: 8
    .kernarg_segment_size: 88
    .language:       OpenCL C
    .language_version:
      - 2
      - 0
    .max_flat_workgroup_size: 256
    .name:           _ZN7rocprim17ROCPRIM_400000_NS6detail17trampoline_kernelINS0_14default_configENS1_36segmented_radix_sort_config_selectorI6__halflEEZNS1_25segmented_radix_sort_implIS3_Lb0EPKS5_PS5_PKlPlN2at6native12_GLOBAL__N_18offset_tEEE10hipError_tPvRmT1_PNSt15iterator_traitsISL_E10value_typeET2_T3_PNSM_ISR_E10value_typeET4_jRbjT5_SX_jjP12ihipStream_tbEUlT_E1_NS1_11comp_targetILNS1_3genE10ELNS1_11target_archE1201ELNS1_3gpuE5ELNS1_3repE0EEENS1_59segmented_radix_sort_warp_sort_small_config_static_selectorELNS0_4arch9wavefront6targetE1EEEvSL_
    .private_segment_fixed_size: 0
    .sgpr_count:     4
    .sgpr_spill_count: 0
    .symbol:         _ZN7rocprim17ROCPRIM_400000_NS6detail17trampoline_kernelINS0_14default_configENS1_36segmented_radix_sort_config_selectorI6__halflEEZNS1_25segmented_radix_sort_implIS3_Lb0EPKS5_PS5_PKlPlN2at6native12_GLOBAL__N_18offset_tEEE10hipError_tPvRmT1_PNSt15iterator_traitsISL_E10value_typeET2_T3_PNSM_ISR_E10value_typeET4_jRbjT5_SX_jjP12ihipStream_tbEUlT_E1_NS1_11comp_targetILNS1_3genE10ELNS1_11target_archE1201ELNS1_3gpuE5ELNS1_3repE0EEENS1_59segmented_radix_sort_warp_sort_small_config_static_selectorELNS0_4arch9wavefront6targetE1EEEvSL_.kd
    .uniform_work_group_size: 1
    .uses_dynamic_stack: false
    .vgpr_count:     0
    .vgpr_spill_count: 0
    .wavefront_size: 64
  - .args:
      - .offset:         0
        .size:           88
        .value_kind:     by_value
    .group_segment_fixed_size: 0
    .kernarg_segment_align: 8
    .kernarg_segment_size: 88
    .language:       OpenCL C
    .language_version:
      - 2
      - 0
    .max_flat_workgroup_size: 256
    .name:           _ZN7rocprim17ROCPRIM_400000_NS6detail17trampoline_kernelINS0_14default_configENS1_36segmented_radix_sort_config_selectorI6__halflEEZNS1_25segmented_radix_sort_implIS3_Lb0EPKS5_PS5_PKlPlN2at6native12_GLOBAL__N_18offset_tEEE10hipError_tPvRmT1_PNSt15iterator_traitsISL_E10value_typeET2_T3_PNSM_ISR_E10value_typeET4_jRbjT5_SX_jjP12ihipStream_tbEUlT_E1_NS1_11comp_targetILNS1_3genE10ELNS1_11target_archE1200ELNS1_3gpuE4ELNS1_3repE0EEENS1_59segmented_radix_sort_warp_sort_small_config_static_selectorELNS0_4arch9wavefront6targetE1EEEvSL_
    .private_segment_fixed_size: 0
    .sgpr_count:     4
    .sgpr_spill_count: 0
    .symbol:         _ZN7rocprim17ROCPRIM_400000_NS6detail17trampoline_kernelINS0_14default_configENS1_36segmented_radix_sort_config_selectorI6__halflEEZNS1_25segmented_radix_sort_implIS3_Lb0EPKS5_PS5_PKlPlN2at6native12_GLOBAL__N_18offset_tEEE10hipError_tPvRmT1_PNSt15iterator_traitsISL_E10value_typeET2_T3_PNSM_ISR_E10value_typeET4_jRbjT5_SX_jjP12ihipStream_tbEUlT_E1_NS1_11comp_targetILNS1_3genE10ELNS1_11target_archE1200ELNS1_3gpuE4ELNS1_3repE0EEENS1_59segmented_radix_sort_warp_sort_small_config_static_selectorELNS0_4arch9wavefront6targetE1EEEvSL_.kd
    .uniform_work_group_size: 1
    .uses_dynamic_stack: false
    .vgpr_count:     0
    .vgpr_spill_count: 0
    .wavefront_size: 64
  - .args:
      - .offset:         0
        .size:           88
        .value_kind:     by_value
    .group_segment_fixed_size: 0
    .kernarg_segment_align: 8
    .kernarg_segment_size: 88
    .language:       OpenCL C
    .language_version:
      - 2
      - 0
    .max_flat_workgroup_size: 256
    .name:           _ZN7rocprim17ROCPRIM_400000_NS6detail17trampoline_kernelINS0_14default_configENS1_36segmented_radix_sort_config_selectorI6__halflEEZNS1_25segmented_radix_sort_implIS3_Lb0EPKS5_PS5_PKlPlN2at6native12_GLOBAL__N_18offset_tEEE10hipError_tPvRmT1_PNSt15iterator_traitsISL_E10value_typeET2_T3_PNSM_ISR_E10value_typeET4_jRbjT5_SX_jjP12ihipStream_tbEUlT_E1_NS1_11comp_targetILNS1_3genE9ELNS1_11target_archE1100ELNS1_3gpuE3ELNS1_3repE0EEENS1_59segmented_radix_sort_warp_sort_small_config_static_selectorELNS0_4arch9wavefront6targetE1EEEvSL_
    .private_segment_fixed_size: 0
    .sgpr_count:     4
    .sgpr_spill_count: 0
    .symbol:         _ZN7rocprim17ROCPRIM_400000_NS6detail17trampoline_kernelINS0_14default_configENS1_36segmented_radix_sort_config_selectorI6__halflEEZNS1_25segmented_radix_sort_implIS3_Lb0EPKS5_PS5_PKlPlN2at6native12_GLOBAL__N_18offset_tEEE10hipError_tPvRmT1_PNSt15iterator_traitsISL_E10value_typeET2_T3_PNSM_ISR_E10value_typeET4_jRbjT5_SX_jjP12ihipStream_tbEUlT_E1_NS1_11comp_targetILNS1_3genE9ELNS1_11target_archE1100ELNS1_3gpuE3ELNS1_3repE0EEENS1_59segmented_radix_sort_warp_sort_small_config_static_selectorELNS0_4arch9wavefront6targetE1EEEvSL_.kd
    .uniform_work_group_size: 1
    .uses_dynamic_stack: false
    .vgpr_count:     0
    .vgpr_spill_count: 0
    .wavefront_size: 64
  - .args:
      - .offset:         0
        .size:           88
        .value_kind:     by_value
    .group_segment_fixed_size: 0
    .kernarg_segment_align: 8
    .kernarg_segment_size: 88
    .language:       OpenCL C
    .language_version:
      - 2
      - 0
    .max_flat_workgroup_size: 256
    .name:           _ZN7rocprim17ROCPRIM_400000_NS6detail17trampoline_kernelINS0_14default_configENS1_36segmented_radix_sort_config_selectorI6__halflEEZNS1_25segmented_radix_sort_implIS3_Lb0EPKS5_PS5_PKlPlN2at6native12_GLOBAL__N_18offset_tEEE10hipError_tPvRmT1_PNSt15iterator_traitsISL_E10value_typeET2_T3_PNSM_ISR_E10value_typeET4_jRbjT5_SX_jjP12ihipStream_tbEUlT_E1_NS1_11comp_targetILNS1_3genE8ELNS1_11target_archE1030ELNS1_3gpuE2ELNS1_3repE0EEENS1_59segmented_radix_sort_warp_sort_small_config_static_selectorELNS0_4arch9wavefront6targetE1EEEvSL_
    .private_segment_fixed_size: 0
    .sgpr_count:     4
    .sgpr_spill_count: 0
    .symbol:         _ZN7rocprim17ROCPRIM_400000_NS6detail17trampoline_kernelINS0_14default_configENS1_36segmented_radix_sort_config_selectorI6__halflEEZNS1_25segmented_radix_sort_implIS3_Lb0EPKS5_PS5_PKlPlN2at6native12_GLOBAL__N_18offset_tEEE10hipError_tPvRmT1_PNSt15iterator_traitsISL_E10value_typeET2_T3_PNSM_ISR_E10value_typeET4_jRbjT5_SX_jjP12ihipStream_tbEUlT_E1_NS1_11comp_targetILNS1_3genE8ELNS1_11target_archE1030ELNS1_3gpuE2ELNS1_3repE0EEENS1_59segmented_radix_sort_warp_sort_small_config_static_selectorELNS0_4arch9wavefront6targetE1EEEvSL_.kd
    .uniform_work_group_size: 1
    .uses_dynamic_stack: false
    .vgpr_count:     0
    .vgpr_spill_count: 0
    .wavefront_size: 64
  - .args:
      - .offset:         0
        .size:           80
        .value_kind:     by_value
    .group_segment_fixed_size: 0
    .kernarg_segment_align: 8
    .kernarg_segment_size: 80
    .language:       OpenCL C
    .language_version:
      - 2
      - 0
    .max_flat_workgroup_size: 256
    .name:           _ZN7rocprim17ROCPRIM_400000_NS6detail17trampoline_kernelINS0_14default_configENS1_36segmented_radix_sort_config_selectorI6__halflEEZNS1_25segmented_radix_sort_implIS3_Lb0EPKS5_PS5_PKlPlN2at6native12_GLOBAL__N_18offset_tEEE10hipError_tPvRmT1_PNSt15iterator_traitsISL_E10value_typeET2_T3_PNSM_ISR_E10value_typeET4_jRbjT5_SX_jjP12ihipStream_tbEUlT_E2_NS1_11comp_targetILNS1_3genE0ELNS1_11target_archE4294967295ELNS1_3gpuE0ELNS1_3repE0EEENS1_30default_config_static_selectorELNS0_4arch9wavefront6targetE1EEEvSL_
    .private_segment_fixed_size: 0
    .sgpr_count:     4
    .sgpr_spill_count: 0
    .symbol:         _ZN7rocprim17ROCPRIM_400000_NS6detail17trampoline_kernelINS0_14default_configENS1_36segmented_radix_sort_config_selectorI6__halflEEZNS1_25segmented_radix_sort_implIS3_Lb0EPKS5_PS5_PKlPlN2at6native12_GLOBAL__N_18offset_tEEE10hipError_tPvRmT1_PNSt15iterator_traitsISL_E10value_typeET2_T3_PNSM_ISR_E10value_typeET4_jRbjT5_SX_jjP12ihipStream_tbEUlT_E2_NS1_11comp_targetILNS1_3genE0ELNS1_11target_archE4294967295ELNS1_3gpuE0ELNS1_3repE0EEENS1_30default_config_static_selectorELNS0_4arch9wavefront6targetE1EEEvSL_.kd
    .uniform_work_group_size: 1
    .uses_dynamic_stack: false
    .vgpr_count:     0
    .vgpr_spill_count: 0
    .wavefront_size: 64
  - .args:
      - .offset:         0
        .size:           80
        .value_kind:     by_value
    .group_segment_fixed_size: 0
    .kernarg_segment_align: 8
    .kernarg_segment_size: 80
    .language:       OpenCL C
    .language_version:
      - 2
      - 0
    .max_flat_workgroup_size: 256
    .name:           _ZN7rocprim17ROCPRIM_400000_NS6detail17trampoline_kernelINS0_14default_configENS1_36segmented_radix_sort_config_selectorI6__halflEEZNS1_25segmented_radix_sort_implIS3_Lb0EPKS5_PS5_PKlPlN2at6native12_GLOBAL__N_18offset_tEEE10hipError_tPvRmT1_PNSt15iterator_traitsISL_E10value_typeET2_T3_PNSM_ISR_E10value_typeET4_jRbjT5_SX_jjP12ihipStream_tbEUlT_E2_NS1_11comp_targetILNS1_3genE5ELNS1_11target_archE942ELNS1_3gpuE9ELNS1_3repE0EEENS1_30default_config_static_selectorELNS0_4arch9wavefront6targetE1EEEvSL_
    .private_segment_fixed_size: 0
    .sgpr_count:     4
    .sgpr_spill_count: 0
    .symbol:         _ZN7rocprim17ROCPRIM_400000_NS6detail17trampoline_kernelINS0_14default_configENS1_36segmented_radix_sort_config_selectorI6__halflEEZNS1_25segmented_radix_sort_implIS3_Lb0EPKS5_PS5_PKlPlN2at6native12_GLOBAL__N_18offset_tEEE10hipError_tPvRmT1_PNSt15iterator_traitsISL_E10value_typeET2_T3_PNSM_ISR_E10value_typeET4_jRbjT5_SX_jjP12ihipStream_tbEUlT_E2_NS1_11comp_targetILNS1_3genE5ELNS1_11target_archE942ELNS1_3gpuE9ELNS1_3repE0EEENS1_30default_config_static_selectorELNS0_4arch9wavefront6targetE1EEEvSL_.kd
    .uniform_work_group_size: 1
    .uses_dynamic_stack: false
    .vgpr_count:     0
    .vgpr_spill_count: 0
    .wavefront_size: 64
  - .args:
      - .offset:         0
        .size:           80
        .value_kind:     by_value
    .group_segment_fixed_size: 0
    .kernarg_segment_align: 8
    .kernarg_segment_size: 80
    .language:       OpenCL C
    .language_version:
      - 2
      - 0
    .max_flat_workgroup_size: 256
    .name:           _ZN7rocprim17ROCPRIM_400000_NS6detail17trampoline_kernelINS0_14default_configENS1_36segmented_radix_sort_config_selectorI6__halflEEZNS1_25segmented_radix_sort_implIS3_Lb0EPKS5_PS5_PKlPlN2at6native12_GLOBAL__N_18offset_tEEE10hipError_tPvRmT1_PNSt15iterator_traitsISL_E10value_typeET2_T3_PNSM_ISR_E10value_typeET4_jRbjT5_SX_jjP12ihipStream_tbEUlT_E2_NS1_11comp_targetILNS1_3genE4ELNS1_11target_archE910ELNS1_3gpuE8ELNS1_3repE0EEENS1_30default_config_static_selectorELNS0_4arch9wavefront6targetE1EEEvSL_
    .private_segment_fixed_size: 0
    .sgpr_count:     4
    .sgpr_spill_count: 0
    .symbol:         _ZN7rocprim17ROCPRIM_400000_NS6detail17trampoline_kernelINS0_14default_configENS1_36segmented_radix_sort_config_selectorI6__halflEEZNS1_25segmented_radix_sort_implIS3_Lb0EPKS5_PS5_PKlPlN2at6native12_GLOBAL__N_18offset_tEEE10hipError_tPvRmT1_PNSt15iterator_traitsISL_E10value_typeET2_T3_PNSM_ISR_E10value_typeET4_jRbjT5_SX_jjP12ihipStream_tbEUlT_E2_NS1_11comp_targetILNS1_3genE4ELNS1_11target_archE910ELNS1_3gpuE8ELNS1_3repE0EEENS1_30default_config_static_selectorELNS0_4arch9wavefront6targetE1EEEvSL_.kd
    .uniform_work_group_size: 1
    .uses_dynamic_stack: false
    .vgpr_count:     0
    .vgpr_spill_count: 0
    .wavefront_size: 64
  - .args:
      - .offset:         0
        .size:           80
        .value_kind:     by_value
    .group_segment_fixed_size: 0
    .kernarg_segment_align: 8
    .kernarg_segment_size: 80
    .language:       OpenCL C
    .language_version:
      - 2
      - 0
    .max_flat_workgroup_size: 256
    .name:           _ZN7rocprim17ROCPRIM_400000_NS6detail17trampoline_kernelINS0_14default_configENS1_36segmented_radix_sort_config_selectorI6__halflEEZNS1_25segmented_radix_sort_implIS3_Lb0EPKS5_PS5_PKlPlN2at6native12_GLOBAL__N_18offset_tEEE10hipError_tPvRmT1_PNSt15iterator_traitsISL_E10value_typeET2_T3_PNSM_ISR_E10value_typeET4_jRbjT5_SX_jjP12ihipStream_tbEUlT_E2_NS1_11comp_targetILNS1_3genE3ELNS1_11target_archE908ELNS1_3gpuE7ELNS1_3repE0EEENS1_30default_config_static_selectorELNS0_4arch9wavefront6targetE1EEEvSL_
    .private_segment_fixed_size: 0
    .sgpr_count:     4
    .sgpr_spill_count: 0
    .symbol:         _ZN7rocprim17ROCPRIM_400000_NS6detail17trampoline_kernelINS0_14default_configENS1_36segmented_radix_sort_config_selectorI6__halflEEZNS1_25segmented_radix_sort_implIS3_Lb0EPKS5_PS5_PKlPlN2at6native12_GLOBAL__N_18offset_tEEE10hipError_tPvRmT1_PNSt15iterator_traitsISL_E10value_typeET2_T3_PNSM_ISR_E10value_typeET4_jRbjT5_SX_jjP12ihipStream_tbEUlT_E2_NS1_11comp_targetILNS1_3genE3ELNS1_11target_archE908ELNS1_3gpuE7ELNS1_3repE0EEENS1_30default_config_static_selectorELNS0_4arch9wavefront6targetE1EEEvSL_.kd
    .uniform_work_group_size: 1
    .uses_dynamic_stack: false
    .vgpr_count:     0
    .vgpr_spill_count: 0
    .wavefront_size: 64
  - .args:
      - .offset:         0
        .size:           80
        .value_kind:     by_value
      - .offset:         80
        .size:           4
        .value_kind:     hidden_block_count_x
      - .offset:         84
        .size:           4
        .value_kind:     hidden_block_count_y
      - .offset:         88
        .size:           4
        .value_kind:     hidden_block_count_z
      - .offset:         92
        .size:           2
        .value_kind:     hidden_group_size_x
      - .offset:         94
        .size:           2
        .value_kind:     hidden_group_size_y
      - .offset:         96
        .size:           2
        .value_kind:     hidden_group_size_z
      - .offset:         98
        .size:           2
        .value_kind:     hidden_remainder_x
      - .offset:         100
        .size:           2
        .value_kind:     hidden_remainder_y
      - .offset:         102
        .size:           2
        .value_kind:     hidden_remainder_z
      - .offset:         120
        .size:           8
        .value_kind:     hidden_global_offset_x
      - .offset:         128
        .size:           8
        .value_kind:     hidden_global_offset_y
      - .offset:         136
        .size:           8
        .value_kind:     hidden_global_offset_z
      - .offset:         144
        .size:           2
        .value_kind:     hidden_grid_dims
    .group_segment_fixed_size: 17424
    .kernarg_segment_align: 8
    .kernarg_segment_size: 336
    .language:       OpenCL C
    .language_version:
      - 2
      - 0
    .max_flat_workgroup_size: 256
    .name:           _ZN7rocprim17ROCPRIM_400000_NS6detail17trampoline_kernelINS0_14default_configENS1_36segmented_radix_sort_config_selectorI6__halflEEZNS1_25segmented_radix_sort_implIS3_Lb0EPKS5_PS5_PKlPlN2at6native12_GLOBAL__N_18offset_tEEE10hipError_tPvRmT1_PNSt15iterator_traitsISL_E10value_typeET2_T3_PNSM_ISR_E10value_typeET4_jRbjT5_SX_jjP12ihipStream_tbEUlT_E2_NS1_11comp_targetILNS1_3genE2ELNS1_11target_archE906ELNS1_3gpuE6ELNS1_3repE0EEENS1_30default_config_static_selectorELNS0_4arch9wavefront6targetE1EEEvSL_
    .private_segment_fixed_size: 0
    .sgpr_count:     85
    .sgpr_spill_count: 0
    .symbol:         _ZN7rocprim17ROCPRIM_400000_NS6detail17trampoline_kernelINS0_14default_configENS1_36segmented_radix_sort_config_selectorI6__halflEEZNS1_25segmented_radix_sort_implIS3_Lb0EPKS5_PS5_PKlPlN2at6native12_GLOBAL__N_18offset_tEEE10hipError_tPvRmT1_PNSt15iterator_traitsISL_E10value_typeET2_T3_PNSM_ISR_E10value_typeET4_jRbjT5_SX_jjP12ihipStream_tbEUlT_E2_NS1_11comp_targetILNS1_3genE2ELNS1_11target_archE906ELNS1_3gpuE6ELNS1_3repE0EEENS1_30default_config_static_selectorELNS0_4arch9wavefront6targetE1EEEvSL_.kd
    .uniform_work_group_size: 1
    .uses_dynamic_stack: false
    .vgpr_count:     195
    .vgpr_spill_count: 0
    .wavefront_size: 64
  - .args:
      - .offset:         0
        .size:           80
        .value_kind:     by_value
    .group_segment_fixed_size: 0
    .kernarg_segment_align: 8
    .kernarg_segment_size: 80
    .language:       OpenCL C
    .language_version:
      - 2
      - 0
    .max_flat_workgroup_size: 256
    .name:           _ZN7rocprim17ROCPRIM_400000_NS6detail17trampoline_kernelINS0_14default_configENS1_36segmented_radix_sort_config_selectorI6__halflEEZNS1_25segmented_radix_sort_implIS3_Lb0EPKS5_PS5_PKlPlN2at6native12_GLOBAL__N_18offset_tEEE10hipError_tPvRmT1_PNSt15iterator_traitsISL_E10value_typeET2_T3_PNSM_ISR_E10value_typeET4_jRbjT5_SX_jjP12ihipStream_tbEUlT_E2_NS1_11comp_targetILNS1_3genE10ELNS1_11target_archE1201ELNS1_3gpuE5ELNS1_3repE0EEENS1_30default_config_static_selectorELNS0_4arch9wavefront6targetE1EEEvSL_
    .private_segment_fixed_size: 0
    .sgpr_count:     4
    .sgpr_spill_count: 0
    .symbol:         _ZN7rocprim17ROCPRIM_400000_NS6detail17trampoline_kernelINS0_14default_configENS1_36segmented_radix_sort_config_selectorI6__halflEEZNS1_25segmented_radix_sort_implIS3_Lb0EPKS5_PS5_PKlPlN2at6native12_GLOBAL__N_18offset_tEEE10hipError_tPvRmT1_PNSt15iterator_traitsISL_E10value_typeET2_T3_PNSM_ISR_E10value_typeET4_jRbjT5_SX_jjP12ihipStream_tbEUlT_E2_NS1_11comp_targetILNS1_3genE10ELNS1_11target_archE1201ELNS1_3gpuE5ELNS1_3repE0EEENS1_30default_config_static_selectorELNS0_4arch9wavefront6targetE1EEEvSL_.kd
    .uniform_work_group_size: 1
    .uses_dynamic_stack: false
    .vgpr_count:     0
    .vgpr_spill_count: 0
    .wavefront_size: 64
  - .args:
      - .offset:         0
        .size:           80
        .value_kind:     by_value
    .group_segment_fixed_size: 0
    .kernarg_segment_align: 8
    .kernarg_segment_size: 80
    .language:       OpenCL C
    .language_version:
      - 2
      - 0
    .max_flat_workgroup_size: 128
    .name:           _ZN7rocprim17ROCPRIM_400000_NS6detail17trampoline_kernelINS0_14default_configENS1_36segmented_radix_sort_config_selectorI6__halflEEZNS1_25segmented_radix_sort_implIS3_Lb0EPKS5_PS5_PKlPlN2at6native12_GLOBAL__N_18offset_tEEE10hipError_tPvRmT1_PNSt15iterator_traitsISL_E10value_typeET2_T3_PNSM_ISR_E10value_typeET4_jRbjT5_SX_jjP12ihipStream_tbEUlT_E2_NS1_11comp_targetILNS1_3genE10ELNS1_11target_archE1200ELNS1_3gpuE4ELNS1_3repE0EEENS1_30default_config_static_selectorELNS0_4arch9wavefront6targetE1EEEvSL_
    .private_segment_fixed_size: 0
    .sgpr_count:     4
    .sgpr_spill_count: 0
    .symbol:         _ZN7rocprim17ROCPRIM_400000_NS6detail17trampoline_kernelINS0_14default_configENS1_36segmented_radix_sort_config_selectorI6__halflEEZNS1_25segmented_radix_sort_implIS3_Lb0EPKS5_PS5_PKlPlN2at6native12_GLOBAL__N_18offset_tEEE10hipError_tPvRmT1_PNSt15iterator_traitsISL_E10value_typeET2_T3_PNSM_ISR_E10value_typeET4_jRbjT5_SX_jjP12ihipStream_tbEUlT_E2_NS1_11comp_targetILNS1_3genE10ELNS1_11target_archE1200ELNS1_3gpuE4ELNS1_3repE0EEENS1_30default_config_static_selectorELNS0_4arch9wavefront6targetE1EEEvSL_.kd
    .uniform_work_group_size: 1
    .uses_dynamic_stack: false
    .vgpr_count:     0
    .vgpr_spill_count: 0
    .wavefront_size: 64
  - .args:
      - .offset:         0
        .size:           80
        .value_kind:     by_value
    .group_segment_fixed_size: 0
    .kernarg_segment_align: 8
    .kernarg_segment_size: 80
    .language:       OpenCL C
    .language_version:
      - 2
      - 0
    .max_flat_workgroup_size: 256
    .name:           _ZN7rocprim17ROCPRIM_400000_NS6detail17trampoline_kernelINS0_14default_configENS1_36segmented_radix_sort_config_selectorI6__halflEEZNS1_25segmented_radix_sort_implIS3_Lb0EPKS5_PS5_PKlPlN2at6native12_GLOBAL__N_18offset_tEEE10hipError_tPvRmT1_PNSt15iterator_traitsISL_E10value_typeET2_T3_PNSM_ISR_E10value_typeET4_jRbjT5_SX_jjP12ihipStream_tbEUlT_E2_NS1_11comp_targetILNS1_3genE9ELNS1_11target_archE1100ELNS1_3gpuE3ELNS1_3repE0EEENS1_30default_config_static_selectorELNS0_4arch9wavefront6targetE1EEEvSL_
    .private_segment_fixed_size: 0
    .sgpr_count:     4
    .sgpr_spill_count: 0
    .symbol:         _ZN7rocprim17ROCPRIM_400000_NS6detail17trampoline_kernelINS0_14default_configENS1_36segmented_radix_sort_config_selectorI6__halflEEZNS1_25segmented_radix_sort_implIS3_Lb0EPKS5_PS5_PKlPlN2at6native12_GLOBAL__N_18offset_tEEE10hipError_tPvRmT1_PNSt15iterator_traitsISL_E10value_typeET2_T3_PNSM_ISR_E10value_typeET4_jRbjT5_SX_jjP12ihipStream_tbEUlT_E2_NS1_11comp_targetILNS1_3genE9ELNS1_11target_archE1100ELNS1_3gpuE3ELNS1_3repE0EEENS1_30default_config_static_selectorELNS0_4arch9wavefront6targetE1EEEvSL_.kd
    .uniform_work_group_size: 1
    .uses_dynamic_stack: false
    .vgpr_count:     0
    .vgpr_spill_count: 0
    .wavefront_size: 64
  - .args:
      - .offset:         0
        .size:           80
        .value_kind:     by_value
    .group_segment_fixed_size: 0
    .kernarg_segment_align: 8
    .kernarg_segment_size: 80
    .language:       OpenCL C
    .language_version:
      - 2
      - 0
    .max_flat_workgroup_size: 256
    .name:           _ZN7rocprim17ROCPRIM_400000_NS6detail17trampoline_kernelINS0_14default_configENS1_36segmented_radix_sort_config_selectorI6__halflEEZNS1_25segmented_radix_sort_implIS3_Lb0EPKS5_PS5_PKlPlN2at6native12_GLOBAL__N_18offset_tEEE10hipError_tPvRmT1_PNSt15iterator_traitsISL_E10value_typeET2_T3_PNSM_ISR_E10value_typeET4_jRbjT5_SX_jjP12ihipStream_tbEUlT_E2_NS1_11comp_targetILNS1_3genE8ELNS1_11target_archE1030ELNS1_3gpuE2ELNS1_3repE0EEENS1_30default_config_static_selectorELNS0_4arch9wavefront6targetE1EEEvSL_
    .private_segment_fixed_size: 0
    .sgpr_count:     4
    .sgpr_spill_count: 0
    .symbol:         _ZN7rocprim17ROCPRIM_400000_NS6detail17trampoline_kernelINS0_14default_configENS1_36segmented_radix_sort_config_selectorI6__halflEEZNS1_25segmented_radix_sort_implIS3_Lb0EPKS5_PS5_PKlPlN2at6native12_GLOBAL__N_18offset_tEEE10hipError_tPvRmT1_PNSt15iterator_traitsISL_E10value_typeET2_T3_PNSM_ISR_E10value_typeET4_jRbjT5_SX_jjP12ihipStream_tbEUlT_E2_NS1_11comp_targetILNS1_3genE8ELNS1_11target_archE1030ELNS1_3gpuE2ELNS1_3repE0EEENS1_30default_config_static_selectorELNS0_4arch9wavefront6targetE1EEEvSL_.kd
    .uniform_work_group_size: 1
    .uses_dynamic_stack: false
    .vgpr_count:     0
    .vgpr_spill_count: 0
    .wavefront_size: 64
  - .args:
      - .address_space:  global
        .offset:         0
        .size:           8
        .value_kind:     global_buffer
      - .address_space:  global
        .offset:         8
        .size:           8
        .value_kind:     global_buffer
      - .address_space:  global
        .offset:         16
        .size:           8
        .value_kind:     global_buffer
      - .address_space:  global
        .offset:         24
        .size:           8
        .value_kind:     global_buffer
      - .offset:         32
        .size:           4
        .value_kind:     by_value
      - .offset:         36
        .size:           4
        .value_kind:     by_value
      - .offset:         40
        .size:           4
        .value_kind:     hidden_block_count_x
      - .offset:         44
        .size:           4
        .value_kind:     hidden_block_count_y
      - .offset:         48
        .size:           4
        .value_kind:     hidden_block_count_z
      - .offset:         52
        .size:           2
        .value_kind:     hidden_group_size_x
      - .offset:         54
        .size:           2
        .value_kind:     hidden_group_size_y
      - .offset:         56
        .size:           2
        .value_kind:     hidden_group_size_z
      - .offset:         58
        .size:           2
        .value_kind:     hidden_remainder_x
      - .offset:         60
        .size:           2
        .value_kind:     hidden_remainder_y
      - .offset:         62
        .size:           2
        .value_kind:     hidden_remainder_z
      - .offset:         80
        .size:           8
        .value_kind:     hidden_global_offset_x
      - .offset:         88
        .size:           8
        .value_kind:     hidden_global_offset_y
      - .offset:         96
        .size:           8
        .value_kind:     hidden_global_offset_z
      - .offset:         104
        .size:           2
        .value_kind:     hidden_grid_dims
    .group_segment_fixed_size: 0
    .kernarg_segment_align: 8
    .kernarg_segment_size: 296
    .language:       OpenCL C
    .language_version:
      - 2
      - 0
    .max_flat_workgroup_size: 1024
    .name:           _ZN2at6native12_GLOBAL__N_123sort_postprocess_kernelIN3c108BFloat16EEEvPKT_PS5_PlPK15HIP_vector_typeIiLj2EEii
    .private_segment_fixed_size: 0
    .sgpr_count:     23
    .sgpr_spill_count: 0
    .symbol:         _ZN2at6native12_GLOBAL__N_123sort_postprocess_kernelIN3c108BFloat16EEEvPKT_PS5_PlPK15HIP_vector_typeIiLj2EEii.kd
    .uniform_work_group_size: 1
    .uses_dynamic_stack: false
    .vgpr_count:     22
    .vgpr_spill_count: 0
    .wavefront_size: 64
  - .args:
      - .offset:         0
        .size:           176
        .value_kind:     by_value
    .group_segment_fixed_size: 0
    .kernarg_segment_align: 8
    .kernarg_segment_size: 176
    .language:       OpenCL C
    .language_version:
      - 2
      - 0
    .max_flat_workgroup_size: 256
    .name:           _ZN7rocprim17ROCPRIM_400000_NS6detail17trampoline_kernelINS0_13select_configILj256ELj13ELNS0_17block_load_methodE3ELS4_3ELS4_3ELNS0_20block_scan_algorithmE0ELj4294967295EEENS1_25partition_config_selectorILNS1_17partition_subalgoE4EjNS0_10empty_typeEbEEZZNS1_14partition_implILS8_4ELb0ES6_15HIP_vector_typeIjLj2EENS0_17counting_iteratorIjlEEPS9_SG_NS0_5tupleIJPjSI_NS0_16reverse_iteratorISI_EEEEENSH_IJSG_SG_SG_EEES9_SI_JZNS1_25segmented_radix_sort_implINS0_14default_configELb1EPK12hip_bfloat16PSP_PKlPlN2at6native12_GLOBAL__N_18offset_tEEE10hipError_tPvRmT1_PNSt15iterator_traitsIS13_E10value_typeET2_T3_PNS14_IS19_E10value_typeET4_jRbjT5_S1F_jjP12ihipStream_tbEUljE_ZNSN_ISO_Lb1ESR_SS_SU_SV_SZ_EES10_S11_S12_S13_S17_S18_S19_S1C_S1D_jS1E_jS1F_S1F_jjS1H_bEUljE0_EEES10_S11_S12_S19_S1D_S1F_T6_T7_T9_mT8_S1H_bDpT10_ENKUlT_T0_E_clISt17integral_constantIbLb0EES1V_EEDaS1Q_S1R_EUlS1Q_E_NS1_11comp_targetILNS1_3genE0ELNS1_11target_archE4294967295ELNS1_3gpuE0ELNS1_3repE0EEENS1_30default_config_static_selectorELNS0_4arch9wavefront6targetE1EEEvS13_
    .private_segment_fixed_size: 0
    .sgpr_count:     4
    .sgpr_spill_count: 0
    .symbol:         _ZN7rocprim17ROCPRIM_400000_NS6detail17trampoline_kernelINS0_13select_configILj256ELj13ELNS0_17block_load_methodE3ELS4_3ELS4_3ELNS0_20block_scan_algorithmE0ELj4294967295EEENS1_25partition_config_selectorILNS1_17partition_subalgoE4EjNS0_10empty_typeEbEEZZNS1_14partition_implILS8_4ELb0ES6_15HIP_vector_typeIjLj2EENS0_17counting_iteratorIjlEEPS9_SG_NS0_5tupleIJPjSI_NS0_16reverse_iteratorISI_EEEEENSH_IJSG_SG_SG_EEES9_SI_JZNS1_25segmented_radix_sort_implINS0_14default_configELb1EPK12hip_bfloat16PSP_PKlPlN2at6native12_GLOBAL__N_18offset_tEEE10hipError_tPvRmT1_PNSt15iterator_traitsIS13_E10value_typeET2_T3_PNS14_IS19_E10value_typeET4_jRbjT5_S1F_jjP12ihipStream_tbEUljE_ZNSN_ISO_Lb1ESR_SS_SU_SV_SZ_EES10_S11_S12_S13_S17_S18_S19_S1C_S1D_jS1E_jS1F_S1F_jjS1H_bEUljE0_EEES10_S11_S12_S19_S1D_S1F_T6_T7_T9_mT8_S1H_bDpT10_ENKUlT_T0_E_clISt17integral_constantIbLb0EES1V_EEDaS1Q_S1R_EUlS1Q_E_NS1_11comp_targetILNS1_3genE0ELNS1_11target_archE4294967295ELNS1_3gpuE0ELNS1_3repE0EEENS1_30default_config_static_selectorELNS0_4arch9wavefront6targetE1EEEvS13_.kd
    .uniform_work_group_size: 1
    .uses_dynamic_stack: false
    .vgpr_count:     0
    .vgpr_spill_count: 0
    .wavefront_size: 64
  - .args:
      - .offset:         0
        .size:           176
        .value_kind:     by_value
    .group_segment_fixed_size: 0
    .kernarg_segment_align: 8
    .kernarg_segment_size: 176
    .language:       OpenCL C
    .language_version:
      - 2
      - 0
    .max_flat_workgroup_size: 256
    .name:           _ZN7rocprim17ROCPRIM_400000_NS6detail17trampoline_kernelINS0_13select_configILj256ELj13ELNS0_17block_load_methodE3ELS4_3ELS4_3ELNS0_20block_scan_algorithmE0ELj4294967295EEENS1_25partition_config_selectorILNS1_17partition_subalgoE4EjNS0_10empty_typeEbEEZZNS1_14partition_implILS8_4ELb0ES6_15HIP_vector_typeIjLj2EENS0_17counting_iteratorIjlEEPS9_SG_NS0_5tupleIJPjSI_NS0_16reverse_iteratorISI_EEEEENSH_IJSG_SG_SG_EEES9_SI_JZNS1_25segmented_radix_sort_implINS0_14default_configELb1EPK12hip_bfloat16PSP_PKlPlN2at6native12_GLOBAL__N_18offset_tEEE10hipError_tPvRmT1_PNSt15iterator_traitsIS13_E10value_typeET2_T3_PNS14_IS19_E10value_typeET4_jRbjT5_S1F_jjP12ihipStream_tbEUljE_ZNSN_ISO_Lb1ESR_SS_SU_SV_SZ_EES10_S11_S12_S13_S17_S18_S19_S1C_S1D_jS1E_jS1F_S1F_jjS1H_bEUljE0_EEES10_S11_S12_S19_S1D_S1F_T6_T7_T9_mT8_S1H_bDpT10_ENKUlT_T0_E_clISt17integral_constantIbLb0EES1V_EEDaS1Q_S1R_EUlS1Q_E_NS1_11comp_targetILNS1_3genE5ELNS1_11target_archE942ELNS1_3gpuE9ELNS1_3repE0EEENS1_30default_config_static_selectorELNS0_4arch9wavefront6targetE1EEEvS13_
    .private_segment_fixed_size: 0
    .sgpr_count:     4
    .sgpr_spill_count: 0
    .symbol:         _ZN7rocprim17ROCPRIM_400000_NS6detail17trampoline_kernelINS0_13select_configILj256ELj13ELNS0_17block_load_methodE3ELS4_3ELS4_3ELNS0_20block_scan_algorithmE0ELj4294967295EEENS1_25partition_config_selectorILNS1_17partition_subalgoE4EjNS0_10empty_typeEbEEZZNS1_14partition_implILS8_4ELb0ES6_15HIP_vector_typeIjLj2EENS0_17counting_iteratorIjlEEPS9_SG_NS0_5tupleIJPjSI_NS0_16reverse_iteratorISI_EEEEENSH_IJSG_SG_SG_EEES9_SI_JZNS1_25segmented_radix_sort_implINS0_14default_configELb1EPK12hip_bfloat16PSP_PKlPlN2at6native12_GLOBAL__N_18offset_tEEE10hipError_tPvRmT1_PNSt15iterator_traitsIS13_E10value_typeET2_T3_PNS14_IS19_E10value_typeET4_jRbjT5_S1F_jjP12ihipStream_tbEUljE_ZNSN_ISO_Lb1ESR_SS_SU_SV_SZ_EES10_S11_S12_S13_S17_S18_S19_S1C_S1D_jS1E_jS1F_S1F_jjS1H_bEUljE0_EEES10_S11_S12_S19_S1D_S1F_T6_T7_T9_mT8_S1H_bDpT10_ENKUlT_T0_E_clISt17integral_constantIbLb0EES1V_EEDaS1Q_S1R_EUlS1Q_E_NS1_11comp_targetILNS1_3genE5ELNS1_11target_archE942ELNS1_3gpuE9ELNS1_3repE0EEENS1_30default_config_static_selectorELNS0_4arch9wavefront6targetE1EEEvS13_.kd
    .uniform_work_group_size: 1
    .uses_dynamic_stack: false
    .vgpr_count:     0
    .vgpr_spill_count: 0
    .wavefront_size: 64
  - .args:
      - .offset:         0
        .size:           176
        .value_kind:     by_value
    .group_segment_fixed_size: 0
    .kernarg_segment_align: 8
    .kernarg_segment_size: 176
    .language:       OpenCL C
    .language_version:
      - 2
      - 0
    .max_flat_workgroup_size: 256
    .name:           _ZN7rocprim17ROCPRIM_400000_NS6detail17trampoline_kernelINS0_13select_configILj256ELj13ELNS0_17block_load_methodE3ELS4_3ELS4_3ELNS0_20block_scan_algorithmE0ELj4294967295EEENS1_25partition_config_selectorILNS1_17partition_subalgoE4EjNS0_10empty_typeEbEEZZNS1_14partition_implILS8_4ELb0ES6_15HIP_vector_typeIjLj2EENS0_17counting_iteratorIjlEEPS9_SG_NS0_5tupleIJPjSI_NS0_16reverse_iteratorISI_EEEEENSH_IJSG_SG_SG_EEES9_SI_JZNS1_25segmented_radix_sort_implINS0_14default_configELb1EPK12hip_bfloat16PSP_PKlPlN2at6native12_GLOBAL__N_18offset_tEEE10hipError_tPvRmT1_PNSt15iterator_traitsIS13_E10value_typeET2_T3_PNS14_IS19_E10value_typeET4_jRbjT5_S1F_jjP12ihipStream_tbEUljE_ZNSN_ISO_Lb1ESR_SS_SU_SV_SZ_EES10_S11_S12_S13_S17_S18_S19_S1C_S1D_jS1E_jS1F_S1F_jjS1H_bEUljE0_EEES10_S11_S12_S19_S1D_S1F_T6_T7_T9_mT8_S1H_bDpT10_ENKUlT_T0_E_clISt17integral_constantIbLb0EES1V_EEDaS1Q_S1R_EUlS1Q_E_NS1_11comp_targetILNS1_3genE4ELNS1_11target_archE910ELNS1_3gpuE8ELNS1_3repE0EEENS1_30default_config_static_selectorELNS0_4arch9wavefront6targetE1EEEvS13_
    .private_segment_fixed_size: 0
    .sgpr_count:     4
    .sgpr_spill_count: 0
    .symbol:         _ZN7rocprim17ROCPRIM_400000_NS6detail17trampoline_kernelINS0_13select_configILj256ELj13ELNS0_17block_load_methodE3ELS4_3ELS4_3ELNS0_20block_scan_algorithmE0ELj4294967295EEENS1_25partition_config_selectorILNS1_17partition_subalgoE4EjNS0_10empty_typeEbEEZZNS1_14partition_implILS8_4ELb0ES6_15HIP_vector_typeIjLj2EENS0_17counting_iteratorIjlEEPS9_SG_NS0_5tupleIJPjSI_NS0_16reverse_iteratorISI_EEEEENSH_IJSG_SG_SG_EEES9_SI_JZNS1_25segmented_radix_sort_implINS0_14default_configELb1EPK12hip_bfloat16PSP_PKlPlN2at6native12_GLOBAL__N_18offset_tEEE10hipError_tPvRmT1_PNSt15iterator_traitsIS13_E10value_typeET2_T3_PNS14_IS19_E10value_typeET4_jRbjT5_S1F_jjP12ihipStream_tbEUljE_ZNSN_ISO_Lb1ESR_SS_SU_SV_SZ_EES10_S11_S12_S13_S17_S18_S19_S1C_S1D_jS1E_jS1F_S1F_jjS1H_bEUljE0_EEES10_S11_S12_S19_S1D_S1F_T6_T7_T9_mT8_S1H_bDpT10_ENKUlT_T0_E_clISt17integral_constantIbLb0EES1V_EEDaS1Q_S1R_EUlS1Q_E_NS1_11comp_targetILNS1_3genE4ELNS1_11target_archE910ELNS1_3gpuE8ELNS1_3repE0EEENS1_30default_config_static_selectorELNS0_4arch9wavefront6targetE1EEEvS13_.kd
    .uniform_work_group_size: 1
    .uses_dynamic_stack: false
    .vgpr_count:     0
    .vgpr_spill_count: 0
    .wavefront_size: 64
  - .args:
      - .offset:         0
        .size:           176
        .value_kind:     by_value
    .group_segment_fixed_size: 0
    .kernarg_segment_align: 8
    .kernarg_segment_size: 176
    .language:       OpenCL C
    .language_version:
      - 2
      - 0
    .max_flat_workgroup_size: 256
    .name:           _ZN7rocprim17ROCPRIM_400000_NS6detail17trampoline_kernelINS0_13select_configILj256ELj13ELNS0_17block_load_methodE3ELS4_3ELS4_3ELNS0_20block_scan_algorithmE0ELj4294967295EEENS1_25partition_config_selectorILNS1_17partition_subalgoE4EjNS0_10empty_typeEbEEZZNS1_14partition_implILS8_4ELb0ES6_15HIP_vector_typeIjLj2EENS0_17counting_iteratorIjlEEPS9_SG_NS0_5tupleIJPjSI_NS0_16reverse_iteratorISI_EEEEENSH_IJSG_SG_SG_EEES9_SI_JZNS1_25segmented_radix_sort_implINS0_14default_configELb1EPK12hip_bfloat16PSP_PKlPlN2at6native12_GLOBAL__N_18offset_tEEE10hipError_tPvRmT1_PNSt15iterator_traitsIS13_E10value_typeET2_T3_PNS14_IS19_E10value_typeET4_jRbjT5_S1F_jjP12ihipStream_tbEUljE_ZNSN_ISO_Lb1ESR_SS_SU_SV_SZ_EES10_S11_S12_S13_S17_S18_S19_S1C_S1D_jS1E_jS1F_S1F_jjS1H_bEUljE0_EEES10_S11_S12_S19_S1D_S1F_T6_T7_T9_mT8_S1H_bDpT10_ENKUlT_T0_E_clISt17integral_constantIbLb0EES1V_EEDaS1Q_S1R_EUlS1Q_E_NS1_11comp_targetILNS1_3genE3ELNS1_11target_archE908ELNS1_3gpuE7ELNS1_3repE0EEENS1_30default_config_static_selectorELNS0_4arch9wavefront6targetE1EEEvS13_
    .private_segment_fixed_size: 0
    .sgpr_count:     4
    .sgpr_spill_count: 0
    .symbol:         _ZN7rocprim17ROCPRIM_400000_NS6detail17trampoline_kernelINS0_13select_configILj256ELj13ELNS0_17block_load_methodE3ELS4_3ELS4_3ELNS0_20block_scan_algorithmE0ELj4294967295EEENS1_25partition_config_selectorILNS1_17partition_subalgoE4EjNS0_10empty_typeEbEEZZNS1_14partition_implILS8_4ELb0ES6_15HIP_vector_typeIjLj2EENS0_17counting_iteratorIjlEEPS9_SG_NS0_5tupleIJPjSI_NS0_16reverse_iteratorISI_EEEEENSH_IJSG_SG_SG_EEES9_SI_JZNS1_25segmented_radix_sort_implINS0_14default_configELb1EPK12hip_bfloat16PSP_PKlPlN2at6native12_GLOBAL__N_18offset_tEEE10hipError_tPvRmT1_PNSt15iterator_traitsIS13_E10value_typeET2_T3_PNS14_IS19_E10value_typeET4_jRbjT5_S1F_jjP12ihipStream_tbEUljE_ZNSN_ISO_Lb1ESR_SS_SU_SV_SZ_EES10_S11_S12_S13_S17_S18_S19_S1C_S1D_jS1E_jS1F_S1F_jjS1H_bEUljE0_EEES10_S11_S12_S19_S1D_S1F_T6_T7_T9_mT8_S1H_bDpT10_ENKUlT_T0_E_clISt17integral_constantIbLb0EES1V_EEDaS1Q_S1R_EUlS1Q_E_NS1_11comp_targetILNS1_3genE3ELNS1_11target_archE908ELNS1_3gpuE7ELNS1_3repE0EEENS1_30default_config_static_selectorELNS0_4arch9wavefront6targetE1EEEvS13_.kd
    .uniform_work_group_size: 1
    .uses_dynamic_stack: false
    .vgpr_count:     0
    .vgpr_spill_count: 0
    .wavefront_size: 64
  - .args:
      - .offset:         0
        .size:           176
        .value_kind:     by_value
    .group_segment_fixed_size: 13328
    .kernarg_segment_align: 8
    .kernarg_segment_size: 176
    .language:       OpenCL C
    .language_version:
      - 2
      - 0
    .max_flat_workgroup_size: 256
    .name:           _ZN7rocprim17ROCPRIM_400000_NS6detail17trampoline_kernelINS0_13select_configILj256ELj13ELNS0_17block_load_methodE3ELS4_3ELS4_3ELNS0_20block_scan_algorithmE0ELj4294967295EEENS1_25partition_config_selectorILNS1_17partition_subalgoE4EjNS0_10empty_typeEbEEZZNS1_14partition_implILS8_4ELb0ES6_15HIP_vector_typeIjLj2EENS0_17counting_iteratorIjlEEPS9_SG_NS0_5tupleIJPjSI_NS0_16reverse_iteratorISI_EEEEENSH_IJSG_SG_SG_EEES9_SI_JZNS1_25segmented_radix_sort_implINS0_14default_configELb1EPK12hip_bfloat16PSP_PKlPlN2at6native12_GLOBAL__N_18offset_tEEE10hipError_tPvRmT1_PNSt15iterator_traitsIS13_E10value_typeET2_T3_PNS14_IS19_E10value_typeET4_jRbjT5_S1F_jjP12ihipStream_tbEUljE_ZNSN_ISO_Lb1ESR_SS_SU_SV_SZ_EES10_S11_S12_S13_S17_S18_S19_S1C_S1D_jS1E_jS1F_S1F_jjS1H_bEUljE0_EEES10_S11_S12_S19_S1D_S1F_T6_T7_T9_mT8_S1H_bDpT10_ENKUlT_T0_E_clISt17integral_constantIbLb0EES1V_EEDaS1Q_S1R_EUlS1Q_E_NS1_11comp_targetILNS1_3genE2ELNS1_11target_archE906ELNS1_3gpuE6ELNS1_3repE0EEENS1_30default_config_static_selectorELNS0_4arch9wavefront6targetE1EEEvS13_
    .private_segment_fixed_size: 0
    .sgpr_count:     94
    .sgpr_spill_count: 0
    .symbol:         _ZN7rocprim17ROCPRIM_400000_NS6detail17trampoline_kernelINS0_13select_configILj256ELj13ELNS0_17block_load_methodE3ELS4_3ELS4_3ELNS0_20block_scan_algorithmE0ELj4294967295EEENS1_25partition_config_selectorILNS1_17partition_subalgoE4EjNS0_10empty_typeEbEEZZNS1_14partition_implILS8_4ELb0ES6_15HIP_vector_typeIjLj2EENS0_17counting_iteratorIjlEEPS9_SG_NS0_5tupleIJPjSI_NS0_16reverse_iteratorISI_EEEEENSH_IJSG_SG_SG_EEES9_SI_JZNS1_25segmented_radix_sort_implINS0_14default_configELb1EPK12hip_bfloat16PSP_PKlPlN2at6native12_GLOBAL__N_18offset_tEEE10hipError_tPvRmT1_PNSt15iterator_traitsIS13_E10value_typeET2_T3_PNS14_IS19_E10value_typeET4_jRbjT5_S1F_jjP12ihipStream_tbEUljE_ZNSN_ISO_Lb1ESR_SS_SU_SV_SZ_EES10_S11_S12_S13_S17_S18_S19_S1C_S1D_jS1E_jS1F_S1F_jjS1H_bEUljE0_EEES10_S11_S12_S19_S1D_S1F_T6_T7_T9_mT8_S1H_bDpT10_ENKUlT_T0_E_clISt17integral_constantIbLb0EES1V_EEDaS1Q_S1R_EUlS1Q_E_NS1_11comp_targetILNS1_3genE2ELNS1_11target_archE906ELNS1_3gpuE6ELNS1_3repE0EEENS1_30default_config_static_selectorELNS0_4arch9wavefront6targetE1EEEvS13_.kd
    .uniform_work_group_size: 1
    .uses_dynamic_stack: false
    .vgpr_count:     86
    .vgpr_spill_count: 0
    .wavefront_size: 64
  - .args:
      - .offset:         0
        .size:           176
        .value_kind:     by_value
    .group_segment_fixed_size: 0
    .kernarg_segment_align: 8
    .kernarg_segment_size: 176
    .language:       OpenCL C
    .language_version:
      - 2
      - 0
    .max_flat_workgroup_size: 256
    .name:           _ZN7rocprim17ROCPRIM_400000_NS6detail17trampoline_kernelINS0_13select_configILj256ELj13ELNS0_17block_load_methodE3ELS4_3ELS4_3ELNS0_20block_scan_algorithmE0ELj4294967295EEENS1_25partition_config_selectorILNS1_17partition_subalgoE4EjNS0_10empty_typeEbEEZZNS1_14partition_implILS8_4ELb0ES6_15HIP_vector_typeIjLj2EENS0_17counting_iteratorIjlEEPS9_SG_NS0_5tupleIJPjSI_NS0_16reverse_iteratorISI_EEEEENSH_IJSG_SG_SG_EEES9_SI_JZNS1_25segmented_radix_sort_implINS0_14default_configELb1EPK12hip_bfloat16PSP_PKlPlN2at6native12_GLOBAL__N_18offset_tEEE10hipError_tPvRmT1_PNSt15iterator_traitsIS13_E10value_typeET2_T3_PNS14_IS19_E10value_typeET4_jRbjT5_S1F_jjP12ihipStream_tbEUljE_ZNSN_ISO_Lb1ESR_SS_SU_SV_SZ_EES10_S11_S12_S13_S17_S18_S19_S1C_S1D_jS1E_jS1F_S1F_jjS1H_bEUljE0_EEES10_S11_S12_S19_S1D_S1F_T6_T7_T9_mT8_S1H_bDpT10_ENKUlT_T0_E_clISt17integral_constantIbLb0EES1V_EEDaS1Q_S1R_EUlS1Q_E_NS1_11comp_targetILNS1_3genE10ELNS1_11target_archE1200ELNS1_3gpuE4ELNS1_3repE0EEENS1_30default_config_static_selectorELNS0_4arch9wavefront6targetE1EEEvS13_
    .private_segment_fixed_size: 0
    .sgpr_count:     4
    .sgpr_spill_count: 0
    .symbol:         _ZN7rocprim17ROCPRIM_400000_NS6detail17trampoline_kernelINS0_13select_configILj256ELj13ELNS0_17block_load_methodE3ELS4_3ELS4_3ELNS0_20block_scan_algorithmE0ELj4294967295EEENS1_25partition_config_selectorILNS1_17partition_subalgoE4EjNS0_10empty_typeEbEEZZNS1_14partition_implILS8_4ELb0ES6_15HIP_vector_typeIjLj2EENS0_17counting_iteratorIjlEEPS9_SG_NS0_5tupleIJPjSI_NS0_16reverse_iteratorISI_EEEEENSH_IJSG_SG_SG_EEES9_SI_JZNS1_25segmented_radix_sort_implINS0_14default_configELb1EPK12hip_bfloat16PSP_PKlPlN2at6native12_GLOBAL__N_18offset_tEEE10hipError_tPvRmT1_PNSt15iterator_traitsIS13_E10value_typeET2_T3_PNS14_IS19_E10value_typeET4_jRbjT5_S1F_jjP12ihipStream_tbEUljE_ZNSN_ISO_Lb1ESR_SS_SU_SV_SZ_EES10_S11_S12_S13_S17_S18_S19_S1C_S1D_jS1E_jS1F_S1F_jjS1H_bEUljE0_EEES10_S11_S12_S19_S1D_S1F_T6_T7_T9_mT8_S1H_bDpT10_ENKUlT_T0_E_clISt17integral_constantIbLb0EES1V_EEDaS1Q_S1R_EUlS1Q_E_NS1_11comp_targetILNS1_3genE10ELNS1_11target_archE1200ELNS1_3gpuE4ELNS1_3repE0EEENS1_30default_config_static_selectorELNS0_4arch9wavefront6targetE1EEEvS13_.kd
    .uniform_work_group_size: 1
    .uses_dynamic_stack: false
    .vgpr_count:     0
    .vgpr_spill_count: 0
    .wavefront_size: 64
  - .args:
      - .offset:         0
        .size:           176
        .value_kind:     by_value
    .group_segment_fixed_size: 0
    .kernarg_segment_align: 8
    .kernarg_segment_size: 176
    .language:       OpenCL C
    .language_version:
      - 2
      - 0
    .max_flat_workgroup_size: 256
    .name:           _ZN7rocprim17ROCPRIM_400000_NS6detail17trampoline_kernelINS0_13select_configILj256ELj13ELNS0_17block_load_methodE3ELS4_3ELS4_3ELNS0_20block_scan_algorithmE0ELj4294967295EEENS1_25partition_config_selectorILNS1_17partition_subalgoE4EjNS0_10empty_typeEbEEZZNS1_14partition_implILS8_4ELb0ES6_15HIP_vector_typeIjLj2EENS0_17counting_iteratorIjlEEPS9_SG_NS0_5tupleIJPjSI_NS0_16reverse_iteratorISI_EEEEENSH_IJSG_SG_SG_EEES9_SI_JZNS1_25segmented_radix_sort_implINS0_14default_configELb1EPK12hip_bfloat16PSP_PKlPlN2at6native12_GLOBAL__N_18offset_tEEE10hipError_tPvRmT1_PNSt15iterator_traitsIS13_E10value_typeET2_T3_PNS14_IS19_E10value_typeET4_jRbjT5_S1F_jjP12ihipStream_tbEUljE_ZNSN_ISO_Lb1ESR_SS_SU_SV_SZ_EES10_S11_S12_S13_S17_S18_S19_S1C_S1D_jS1E_jS1F_S1F_jjS1H_bEUljE0_EEES10_S11_S12_S19_S1D_S1F_T6_T7_T9_mT8_S1H_bDpT10_ENKUlT_T0_E_clISt17integral_constantIbLb0EES1V_EEDaS1Q_S1R_EUlS1Q_E_NS1_11comp_targetILNS1_3genE9ELNS1_11target_archE1100ELNS1_3gpuE3ELNS1_3repE0EEENS1_30default_config_static_selectorELNS0_4arch9wavefront6targetE1EEEvS13_
    .private_segment_fixed_size: 0
    .sgpr_count:     4
    .sgpr_spill_count: 0
    .symbol:         _ZN7rocprim17ROCPRIM_400000_NS6detail17trampoline_kernelINS0_13select_configILj256ELj13ELNS0_17block_load_methodE3ELS4_3ELS4_3ELNS0_20block_scan_algorithmE0ELj4294967295EEENS1_25partition_config_selectorILNS1_17partition_subalgoE4EjNS0_10empty_typeEbEEZZNS1_14partition_implILS8_4ELb0ES6_15HIP_vector_typeIjLj2EENS0_17counting_iteratorIjlEEPS9_SG_NS0_5tupleIJPjSI_NS0_16reverse_iteratorISI_EEEEENSH_IJSG_SG_SG_EEES9_SI_JZNS1_25segmented_radix_sort_implINS0_14default_configELb1EPK12hip_bfloat16PSP_PKlPlN2at6native12_GLOBAL__N_18offset_tEEE10hipError_tPvRmT1_PNSt15iterator_traitsIS13_E10value_typeET2_T3_PNS14_IS19_E10value_typeET4_jRbjT5_S1F_jjP12ihipStream_tbEUljE_ZNSN_ISO_Lb1ESR_SS_SU_SV_SZ_EES10_S11_S12_S13_S17_S18_S19_S1C_S1D_jS1E_jS1F_S1F_jjS1H_bEUljE0_EEES10_S11_S12_S19_S1D_S1F_T6_T7_T9_mT8_S1H_bDpT10_ENKUlT_T0_E_clISt17integral_constantIbLb0EES1V_EEDaS1Q_S1R_EUlS1Q_E_NS1_11comp_targetILNS1_3genE9ELNS1_11target_archE1100ELNS1_3gpuE3ELNS1_3repE0EEENS1_30default_config_static_selectorELNS0_4arch9wavefront6targetE1EEEvS13_.kd
    .uniform_work_group_size: 1
    .uses_dynamic_stack: false
    .vgpr_count:     0
    .vgpr_spill_count: 0
    .wavefront_size: 64
  - .args:
      - .offset:         0
        .size:           176
        .value_kind:     by_value
    .group_segment_fixed_size: 0
    .kernarg_segment_align: 8
    .kernarg_segment_size: 176
    .language:       OpenCL C
    .language_version:
      - 2
      - 0
    .max_flat_workgroup_size: 256
    .name:           _ZN7rocprim17ROCPRIM_400000_NS6detail17trampoline_kernelINS0_13select_configILj256ELj13ELNS0_17block_load_methodE3ELS4_3ELS4_3ELNS0_20block_scan_algorithmE0ELj4294967295EEENS1_25partition_config_selectorILNS1_17partition_subalgoE4EjNS0_10empty_typeEbEEZZNS1_14partition_implILS8_4ELb0ES6_15HIP_vector_typeIjLj2EENS0_17counting_iteratorIjlEEPS9_SG_NS0_5tupleIJPjSI_NS0_16reverse_iteratorISI_EEEEENSH_IJSG_SG_SG_EEES9_SI_JZNS1_25segmented_radix_sort_implINS0_14default_configELb1EPK12hip_bfloat16PSP_PKlPlN2at6native12_GLOBAL__N_18offset_tEEE10hipError_tPvRmT1_PNSt15iterator_traitsIS13_E10value_typeET2_T3_PNS14_IS19_E10value_typeET4_jRbjT5_S1F_jjP12ihipStream_tbEUljE_ZNSN_ISO_Lb1ESR_SS_SU_SV_SZ_EES10_S11_S12_S13_S17_S18_S19_S1C_S1D_jS1E_jS1F_S1F_jjS1H_bEUljE0_EEES10_S11_S12_S19_S1D_S1F_T6_T7_T9_mT8_S1H_bDpT10_ENKUlT_T0_E_clISt17integral_constantIbLb0EES1V_EEDaS1Q_S1R_EUlS1Q_E_NS1_11comp_targetILNS1_3genE8ELNS1_11target_archE1030ELNS1_3gpuE2ELNS1_3repE0EEENS1_30default_config_static_selectorELNS0_4arch9wavefront6targetE1EEEvS13_
    .private_segment_fixed_size: 0
    .sgpr_count:     4
    .sgpr_spill_count: 0
    .symbol:         _ZN7rocprim17ROCPRIM_400000_NS6detail17trampoline_kernelINS0_13select_configILj256ELj13ELNS0_17block_load_methodE3ELS4_3ELS4_3ELNS0_20block_scan_algorithmE0ELj4294967295EEENS1_25partition_config_selectorILNS1_17partition_subalgoE4EjNS0_10empty_typeEbEEZZNS1_14partition_implILS8_4ELb0ES6_15HIP_vector_typeIjLj2EENS0_17counting_iteratorIjlEEPS9_SG_NS0_5tupleIJPjSI_NS0_16reverse_iteratorISI_EEEEENSH_IJSG_SG_SG_EEES9_SI_JZNS1_25segmented_radix_sort_implINS0_14default_configELb1EPK12hip_bfloat16PSP_PKlPlN2at6native12_GLOBAL__N_18offset_tEEE10hipError_tPvRmT1_PNSt15iterator_traitsIS13_E10value_typeET2_T3_PNS14_IS19_E10value_typeET4_jRbjT5_S1F_jjP12ihipStream_tbEUljE_ZNSN_ISO_Lb1ESR_SS_SU_SV_SZ_EES10_S11_S12_S13_S17_S18_S19_S1C_S1D_jS1E_jS1F_S1F_jjS1H_bEUljE0_EEES10_S11_S12_S19_S1D_S1F_T6_T7_T9_mT8_S1H_bDpT10_ENKUlT_T0_E_clISt17integral_constantIbLb0EES1V_EEDaS1Q_S1R_EUlS1Q_E_NS1_11comp_targetILNS1_3genE8ELNS1_11target_archE1030ELNS1_3gpuE2ELNS1_3repE0EEENS1_30default_config_static_selectorELNS0_4arch9wavefront6targetE1EEEvS13_.kd
    .uniform_work_group_size: 1
    .uses_dynamic_stack: false
    .vgpr_count:     0
    .vgpr_spill_count: 0
    .wavefront_size: 64
  - .args:
      - .offset:         0
        .size:           184
        .value_kind:     by_value
    .group_segment_fixed_size: 0
    .kernarg_segment_align: 8
    .kernarg_segment_size: 184
    .language:       OpenCL C
    .language_version:
      - 2
      - 0
    .max_flat_workgroup_size: 256
    .name:           _ZN7rocprim17ROCPRIM_400000_NS6detail17trampoline_kernelINS0_13select_configILj256ELj13ELNS0_17block_load_methodE3ELS4_3ELS4_3ELNS0_20block_scan_algorithmE0ELj4294967295EEENS1_25partition_config_selectorILNS1_17partition_subalgoE4EjNS0_10empty_typeEbEEZZNS1_14partition_implILS8_4ELb0ES6_15HIP_vector_typeIjLj2EENS0_17counting_iteratorIjlEEPS9_SG_NS0_5tupleIJPjSI_NS0_16reverse_iteratorISI_EEEEENSH_IJSG_SG_SG_EEES9_SI_JZNS1_25segmented_radix_sort_implINS0_14default_configELb1EPK12hip_bfloat16PSP_PKlPlN2at6native12_GLOBAL__N_18offset_tEEE10hipError_tPvRmT1_PNSt15iterator_traitsIS13_E10value_typeET2_T3_PNS14_IS19_E10value_typeET4_jRbjT5_S1F_jjP12ihipStream_tbEUljE_ZNSN_ISO_Lb1ESR_SS_SU_SV_SZ_EES10_S11_S12_S13_S17_S18_S19_S1C_S1D_jS1E_jS1F_S1F_jjS1H_bEUljE0_EEES10_S11_S12_S19_S1D_S1F_T6_T7_T9_mT8_S1H_bDpT10_ENKUlT_T0_E_clISt17integral_constantIbLb1EES1V_EEDaS1Q_S1R_EUlS1Q_E_NS1_11comp_targetILNS1_3genE0ELNS1_11target_archE4294967295ELNS1_3gpuE0ELNS1_3repE0EEENS1_30default_config_static_selectorELNS0_4arch9wavefront6targetE1EEEvS13_
    .private_segment_fixed_size: 0
    .sgpr_count:     4
    .sgpr_spill_count: 0
    .symbol:         _ZN7rocprim17ROCPRIM_400000_NS6detail17trampoline_kernelINS0_13select_configILj256ELj13ELNS0_17block_load_methodE3ELS4_3ELS4_3ELNS0_20block_scan_algorithmE0ELj4294967295EEENS1_25partition_config_selectorILNS1_17partition_subalgoE4EjNS0_10empty_typeEbEEZZNS1_14partition_implILS8_4ELb0ES6_15HIP_vector_typeIjLj2EENS0_17counting_iteratorIjlEEPS9_SG_NS0_5tupleIJPjSI_NS0_16reverse_iteratorISI_EEEEENSH_IJSG_SG_SG_EEES9_SI_JZNS1_25segmented_radix_sort_implINS0_14default_configELb1EPK12hip_bfloat16PSP_PKlPlN2at6native12_GLOBAL__N_18offset_tEEE10hipError_tPvRmT1_PNSt15iterator_traitsIS13_E10value_typeET2_T3_PNS14_IS19_E10value_typeET4_jRbjT5_S1F_jjP12ihipStream_tbEUljE_ZNSN_ISO_Lb1ESR_SS_SU_SV_SZ_EES10_S11_S12_S13_S17_S18_S19_S1C_S1D_jS1E_jS1F_S1F_jjS1H_bEUljE0_EEES10_S11_S12_S19_S1D_S1F_T6_T7_T9_mT8_S1H_bDpT10_ENKUlT_T0_E_clISt17integral_constantIbLb1EES1V_EEDaS1Q_S1R_EUlS1Q_E_NS1_11comp_targetILNS1_3genE0ELNS1_11target_archE4294967295ELNS1_3gpuE0ELNS1_3repE0EEENS1_30default_config_static_selectorELNS0_4arch9wavefront6targetE1EEEvS13_.kd
    .uniform_work_group_size: 1
    .uses_dynamic_stack: false
    .vgpr_count:     0
    .vgpr_spill_count: 0
    .wavefront_size: 64
  - .args:
      - .offset:         0
        .size:           184
        .value_kind:     by_value
    .group_segment_fixed_size: 0
    .kernarg_segment_align: 8
    .kernarg_segment_size: 184
    .language:       OpenCL C
    .language_version:
      - 2
      - 0
    .max_flat_workgroup_size: 256
    .name:           _ZN7rocprim17ROCPRIM_400000_NS6detail17trampoline_kernelINS0_13select_configILj256ELj13ELNS0_17block_load_methodE3ELS4_3ELS4_3ELNS0_20block_scan_algorithmE0ELj4294967295EEENS1_25partition_config_selectorILNS1_17partition_subalgoE4EjNS0_10empty_typeEbEEZZNS1_14partition_implILS8_4ELb0ES6_15HIP_vector_typeIjLj2EENS0_17counting_iteratorIjlEEPS9_SG_NS0_5tupleIJPjSI_NS0_16reverse_iteratorISI_EEEEENSH_IJSG_SG_SG_EEES9_SI_JZNS1_25segmented_radix_sort_implINS0_14default_configELb1EPK12hip_bfloat16PSP_PKlPlN2at6native12_GLOBAL__N_18offset_tEEE10hipError_tPvRmT1_PNSt15iterator_traitsIS13_E10value_typeET2_T3_PNS14_IS19_E10value_typeET4_jRbjT5_S1F_jjP12ihipStream_tbEUljE_ZNSN_ISO_Lb1ESR_SS_SU_SV_SZ_EES10_S11_S12_S13_S17_S18_S19_S1C_S1D_jS1E_jS1F_S1F_jjS1H_bEUljE0_EEES10_S11_S12_S19_S1D_S1F_T6_T7_T9_mT8_S1H_bDpT10_ENKUlT_T0_E_clISt17integral_constantIbLb1EES1V_EEDaS1Q_S1R_EUlS1Q_E_NS1_11comp_targetILNS1_3genE5ELNS1_11target_archE942ELNS1_3gpuE9ELNS1_3repE0EEENS1_30default_config_static_selectorELNS0_4arch9wavefront6targetE1EEEvS13_
    .private_segment_fixed_size: 0
    .sgpr_count:     4
    .sgpr_spill_count: 0
    .symbol:         _ZN7rocprim17ROCPRIM_400000_NS6detail17trampoline_kernelINS0_13select_configILj256ELj13ELNS0_17block_load_methodE3ELS4_3ELS4_3ELNS0_20block_scan_algorithmE0ELj4294967295EEENS1_25partition_config_selectorILNS1_17partition_subalgoE4EjNS0_10empty_typeEbEEZZNS1_14partition_implILS8_4ELb0ES6_15HIP_vector_typeIjLj2EENS0_17counting_iteratorIjlEEPS9_SG_NS0_5tupleIJPjSI_NS0_16reverse_iteratorISI_EEEEENSH_IJSG_SG_SG_EEES9_SI_JZNS1_25segmented_radix_sort_implINS0_14default_configELb1EPK12hip_bfloat16PSP_PKlPlN2at6native12_GLOBAL__N_18offset_tEEE10hipError_tPvRmT1_PNSt15iterator_traitsIS13_E10value_typeET2_T3_PNS14_IS19_E10value_typeET4_jRbjT5_S1F_jjP12ihipStream_tbEUljE_ZNSN_ISO_Lb1ESR_SS_SU_SV_SZ_EES10_S11_S12_S13_S17_S18_S19_S1C_S1D_jS1E_jS1F_S1F_jjS1H_bEUljE0_EEES10_S11_S12_S19_S1D_S1F_T6_T7_T9_mT8_S1H_bDpT10_ENKUlT_T0_E_clISt17integral_constantIbLb1EES1V_EEDaS1Q_S1R_EUlS1Q_E_NS1_11comp_targetILNS1_3genE5ELNS1_11target_archE942ELNS1_3gpuE9ELNS1_3repE0EEENS1_30default_config_static_selectorELNS0_4arch9wavefront6targetE1EEEvS13_.kd
    .uniform_work_group_size: 1
    .uses_dynamic_stack: false
    .vgpr_count:     0
    .vgpr_spill_count: 0
    .wavefront_size: 64
  - .args:
      - .offset:         0
        .size:           184
        .value_kind:     by_value
    .group_segment_fixed_size: 0
    .kernarg_segment_align: 8
    .kernarg_segment_size: 184
    .language:       OpenCL C
    .language_version:
      - 2
      - 0
    .max_flat_workgroup_size: 256
    .name:           _ZN7rocprim17ROCPRIM_400000_NS6detail17trampoline_kernelINS0_13select_configILj256ELj13ELNS0_17block_load_methodE3ELS4_3ELS4_3ELNS0_20block_scan_algorithmE0ELj4294967295EEENS1_25partition_config_selectorILNS1_17partition_subalgoE4EjNS0_10empty_typeEbEEZZNS1_14partition_implILS8_4ELb0ES6_15HIP_vector_typeIjLj2EENS0_17counting_iteratorIjlEEPS9_SG_NS0_5tupleIJPjSI_NS0_16reverse_iteratorISI_EEEEENSH_IJSG_SG_SG_EEES9_SI_JZNS1_25segmented_radix_sort_implINS0_14default_configELb1EPK12hip_bfloat16PSP_PKlPlN2at6native12_GLOBAL__N_18offset_tEEE10hipError_tPvRmT1_PNSt15iterator_traitsIS13_E10value_typeET2_T3_PNS14_IS19_E10value_typeET4_jRbjT5_S1F_jjP12ihipStream_tbEUljE_ZNSN_ISO_Lb1ESR_SS_SU_SV_SZ_EES10_S11_S12_S13_S17_S18_S19_S1C_S1D_jS1E_jS1F_S1F_jjS1H_bEUljE0_EEES10_S11_S12_S19_S1D_S1F_T6_T7_T9_mT8_S1H_bDpT10_ENKUlT_T0_E_clISt17integral_constantIbLb1EES1V_EEDaS1Q_S1R_EUlS1Q_E_NS1_11comp_targetILNS1_3genE4ELNS1_11target_archE910ELNS1_3gpuE8ELNS1_3repE0EEENS1_30default_config_static_selectorELNS0_4arch9wavefront6targetE1EEEvS13_
    .private_segment_fixed_size: 0
    .sgpr_count:     4
    .sgpr_spill_count: 0
    .symbol:         _ZN7rocprim17ROCPRIM_400000_NS6detail17trampoline_kernelINS0_13select_configILj256ELj13ELNS0_17block_load_methodE3ELS4_3ELS4_3ELNS0_20block_scan_algorithmE0ELj4294967295EEENS1_25partition_config_selectorILNS1_17partition_subalgoE4EjNS0_10empty_typeEbEEZZNS1_14partition_implILS8_4ELb0ES6_15HIP_vector_typeIjLj2EENS0_17counting_iteratorIjlEEPS9_SG_NS0_5tupleIJPjSI_NS0_16reverse_iteratorISI_EEEEENSH_IJSG_SG_SG_EEES9_SI_JZNS1_25segmented_radix_sort_implINS0_14default_configELb1EPK12hip_bfloat16PSP_PKlPlN2at6native12_GLOBAL__N_18offset_tEEE10hipError_tPvRmT1_PNSt15iterator_traitsIS13_E10value_typeET2_T3_PNS14_IS19_E10value_typeET4_jRbjT5_S1F_jjP12ihipStream_tbEUljE_ZNSN_ISO_Lb1ESR_SS_SU_SV_SZ_EES10_S11_S12_S13_S17_S18_S19_S1C_S1D_jS1E_jS1F_S1F_jjS1H_bEUljE0_EEES10_S11_S12_S19_S1D_S1F_T6_T7_T9_mT8_S1H_bDpT10_ENKUlT_T0_E_clISt17integral_constantIbLb1EES1V_EEDaS1Q_S1R_EUlS1Q_E_NS1_11comp_targetILNS1_3genE4ELNS1_11target_archE910ELNS1_3gpuE8ELNS1_3repE0EEENS1_30default_config_static_selectorELNS0_4arch9wavefront6targetE1EEEvS13_.kd
    .uniform_work_group_size: 1
    .uses_dynamic_stack: false
    .vgpr_count:     0
    .vgpr_spill_count: 0
    .wavefront_size: 64
  - .args:
      - .offset:         0
        .size:           184
        .value_kind:     by_value
    .group_segment_fixed_size: 0
    .kernarg_segment_align: 8
    .kernarg_segment_size: 184
    .language:       OpenCL C
    .language_version:
      - 2
      - 0
    .max_flat_workgroup_size: 256
    .name:           _ZN7rocprim17ROCPRIM_400000_NS6detail17trampoline_kernelINS0_13select_configILj256ELj13ELNS0_17block_load_methodE3ELS4_3ELS4_3ELNS0_20block_scan_algorithmE0ELj4294967295EEENS1_25partition_config_selectorILNS1_17partition_subalgoE4EjNS0_10empty_typeEbEEZZNS1_14partition_implILS8_4ELb0ES6_15HIP_vector_typeIjLj2EENS0_17counting_iteratorIjlEEPS9_SG_NS0_5tupleIJPjSI_NS0_16reverse_iteratorISI_EEEEENSH_IJSG_SG_SG_EEES9_SI_JZNS1_25segmented_radix_sort_implINS0_14default_configELb1EPK12hip_bfloat16PSP_PKlPlN2at6native12_GLOBAL__N_18offset_tEEE10hipError_tPvRmT1_PNSt15iterator_traitsIS13_E10value_typeET2_T3_PNS14_IS19_E10value_typeET4_jRbjT5_S1F_jjP12ihipStream_tbEUljE_ZNSN_ISO_Lb1ESR_SS_SU_SV_SZ_EES10_S11_S12_S13_S17_S18_S19_S1C_S1D_jS1E_jS1F_S1F_jjS1H_bEUljE0_EEES10_S11_S12_S19_S1D_S1F_T6_T7_T9_mT8_S1H_bDpT10_ENKUlT_T0_E_clISt17integral_constantIbLb1EES1V_EEDaS1Q_S1R_EUlS1Q_E_NS1_11comp_targetILNS1_3genE3ELNS1_11target_archE908ELNS1_3gpuE7ELNS1_3repE0EEENS1_30default_config_static_selectorELNS0_4arch9wavefront6targetE1EEEvS13_
    .private_segment_fixed_size: 0
    .sgpr_count:     4
    .sgpr_spill_count: 0
    .symbol:         _ZN7rocprim17ROCPRIM_400000_NS6detail17trampoline_kernelINS0_13select_configILj256ELj13ELNS0_17block_load_methodE3ELS4_3ELS4_3ELNS0_20block_scan_algorithmE0ELj4294967295EEENS1_25partition_config_selectorILNS1_17partition_subalgoE4EjNS0_10empty_typeEbEEZZNS1_14partition_implILS8_4ELb0ES6_15HIP_vector_typeIjLj2EENS0_17counting_iteratorIjlEEPS9_SG_NS0_5tupleIJPjSI_NS0_16reverse_iteratorISI_EEEEENSH_IJSG_SG_SG_EEES9_SI_JZNS1_25segmented_radix_sort_implINS0_14default_configELb1EPK12hip_bfloat16PSP_PKlPlN2at6native12_GLOBAL__N_18offset_tEEE10hipError_tPvRmT1_PNSt15iterator_traitsIS13_E10value_typeET2_T3_PNS14_IS19_E10value_typeET4_jRbjT5_S1F_jjP12ihipStream_tbEUljE_ZNSN_ISO_Lb1ESR_SS_SU_SV_SZ_EES10_S11_S12_S13_S17_S18_S19_S1C_S1D_jS1E_jS1F_S1F_jjS1H_bEUljE0_EEES10_S11_S12_S19_S1D_S1F_T6_T7_T9_mT8_S1H_bDpT10_ENKUlT_T0_E_clISt17integral_constantIbLb1EES1V_EEDaS1Q_S1R_EUlS1Q_E_NS1_11comp_targetILNS1_3genE3ELNS1_11target_archE908ELNS1_3gpuE7ELNS1_3repE0EEENS1_30default_config_static_selectorELNS0_4arch9wavefront6targetE1EEEvS13_.kd
    .uniform_work_group_size: 1
    .uses_dynamic_stack: false
    .vgpr_count:     0
    .vgpr_spill_count: 0
    .wavefront_size: 64
  - .args:
      - .offset:         0
        .size:           184
        .value_kind:     by_value
    .group_segment_fixed_size: 0
    .kernarg_segment_align: 8
    .kernarg_segment_size: 184
    .language:       OpenCL C
    .language_version:
      - 2
      - 0
    .max_flat_workgroup_size: 256
    .name:           _ZN7rocprim17ROCPRIM_400000_NS6detail17trampoline_kernelINS0_13select_configILj256ELj13ELNS0_17block_load_methodE3ELS4_3ELS4_3ELNS0_20block_scan_algorithmE0ELj4294967295EEENS1_25partition_config_selectorILNS1_17partition_subalgoE4EjNS0_10empty_typeEbEEZZNS1_14partition_implILS8_4ELb0ES6_15HIP_vector_typeIjLj2EENS0_17counting_iteratorIjlEEPS9_SG_NS0_5tupleIJPjSI_NS0_16reverse_iteratorISI_EEEEENSH_IJSG_SG_SG_EEES9_SI_JZNS1_25segmented_radix_sort_implINS0_14default_configELb1EPK12hip_bfloat16PSP_PKlPlN2at6native12_GLOBAL__N_18offset_tEEE10hipError_tPvRmT1_PNSt15iterator_traitsIS13_E10value_typeET2_T3_PNS14_IS19_E10value_typeET4_jRbjT5_S1F_jjP12ihipStream_tbEUljE_ZNSN_ISO_Lb1ESR_SS_SU_SV_SZ_EES10_S11_S12_S13_S17_S18_S19_S1C_S1D_jS1E_jS1F_S1F_jjS1H_bEUljE0_EEES10_S11_S12_S19_S1D_S1F_T6_T7_T9_mT8_S1H_bDpT10_ENKUlT_T0_E_clISt17integral_constantIbLb1EES1V_EEDaS1Q_S1R_EUlS1Q_E_NS1_11comp_targetILNS1_3genE2ELNS1_11target_archE906ELNS1_3gpuE6ELNS1_3repE0EEENS1_30default_config_static_selectorELNS0_4arch9wavefront6targetE1EEEvS13_
    .private_segment_fixed_size: 0
    .sgpr_count:     4
    .sgpr_spill_count: 0
    .symbol:         _ZN7rocprim17ROCPRIM_400000_NS6detail17trampoline_kernelINS0_13select_configILj256ELj13ELNS0_17block_load_methodE3ELS4_3ELS4_3ELNS0_20block_scan_algorithmE0ELj4294967295EEENS1_25partition_config_selectorILNS1_17partition_subalgoE4EjNS0_10empty_typeEbEEZZNS1_14partition_implILS8_4ELb0ES6_15HIP_vector_typeIjLj2EENS0_17counting_iteratorIjlEEPS9_SG_NS0_5tupleIJPjSI_NS0_16reverse_iteratorISI_EEEEENSH_IJSG_SG_SG_EEES9_SI_JZNS1_25segmented_radix_sort_implINS0_14default_configELb1EPK12hip_bfloat16PSP_PKlPlN2at6native12_GLOBAL__N_18offset_tEEE10hipError_tPvRmT1_PNSt15iterator_traitsIS13_E10value_typeET2_T3_PNS14_IS19_E10value_typeET4_jRbjT5_S1F_jjP12ihipStream_tbEUljE_ZNSN_ISO_Lb1ESR_SS_SU_SV_SZ_EES10_S11_S12_S13_S17_S18_S19_S1C_S1D_jS1E_jS1F_S1F_jjS1H_bEUljE0_EEES10_S11_S12_S19_S1D_S1F_T6_T7_T9_mT8_S1H_bDpT10_ENKUlT_T0_E_clISt17integral_constantIbLb1EES1V_EEDaS1Q_S1R_EUlS1Q_E_NS1_11comp_targetILNS1_3genE2ELNS1_11target_archE906ELNS1_3gpuE6ELNS1_3repE0EEENS1_30default_config_static_selectorELNS0_4arch9wavefront6targetE1EEEvS13_.kd
    .uniform_work_group_size: 1
    .uses_dynamic_stack: false
    .vgpr_count:     0
    .vgpr_spill_count: 0
    .wavefront_size: 64
  - .args:
      - .offset:         0
        .size:           184
        .value_kind:     by_value
    .group_segment_fixed_size: 0
    .kernarg_segment_align: 8
    .kernarg_segment_size: 184
    .language:       OpenCL C
    .language_version:
      - 2
      - 0
    .max_flat_workgroup_size: 256
    .name:           _ZN7rocprim17ROCPRIM_400000_NS6detail17trampoline_kernelINS0_13select_configILj256ELj13ELNS0_17block_load_methodE3ELS4_3ELS4_3ELNS0_20block_scan_algorithmE0ELj4294967295EEENS1_25partition_config_selectorILNS1_17partition_subalgoE4EjNS0_10empty_typeEbEEZZNS1_14partition_implILS8_4ELb0ES6_15HIP_vector_typeIjLj2EENS0_17counting_iteratorIjlEEPS9_SG_NS0_5tupleIJPjSI_NS0_16reverse_iteratorISI_EEEEENSH_IJSG_SG_SG_EEES9_SI_JZNS1_25segmented_radix_sort_implINS0_14default_configELb1EPK12hip_bfloat16PSP_PKlPlN2at6native12_GLOBAL__N_18offset_tEEE10hipError_tPvRmT1_PNSt15iterator_traitsIS13_E10value_typeET2_T3_PNS14_IS19_E10value_typeET4_jRbjT5_S1F_jjP12ihipStream_tbEUljE_ZNSN_ISO_Lb1ESR_SS_SU_SV_SZ_EES10_S11_S12_S13_S17_S18_S19_S1C_S1D_jS1E_jS1F_S1F_jjS1H_bEUljE0_EEES10_S11_S12_S19_S1D_S1F_T6_T7_T9_mT8_S1H_bDpT10_ENKUlT_T0_E_clISt17integral_constantIbLb1EES1V_EEDaS1Q_S1R_EUlS1Q_E_NS1_11comp_targetILNS1_3genE10ELNS1_11target_archE1200ELNS1_3gpuE4ELNS1_3repE0EEENS1_30default_config_static_selectorELNS0_4arch9wavefront6targetE1EEEvS13_
    .private_segment_fixed_size: 0
    .sgpr_count:     4
    .sgpr_spill_count: 0
    .symbol:         _ZN7rocprim17ROCPRIM_400000_NS6detail17trampoline_kernelINS0_13select_configILj256ELj13ELNS0_17block_load_methodE3ELS4_3ELS4_3ELNS0_20block_scan_algorithmE0ELj4294967295EEENS1_25partition_config_selectorILNS1_17partition_subalgoE4EjNS0_10empty_typeEbEEZZNS1_14partition_implILS8_4ELb0ES6_15HIP_vector_typeIjLj2EENS0_17counting_iteratorIjlEEPS9_SG_NS0_5tupleIJPjSI_NS0_16reverse_iteratorISI_EEEEENSH_IJSG_SG_SG_EEES9_SI_JZNS1_25segmented_radix_sort_implINS0_14default_configELb1EPK12hip_bfloat16PSP_PKlPlN2at6native12_GLOBAL__N_18offset_tEEE10hipError_tPvRmT1_PNSt15iterator_traitsIS13_E10value_typeET2_T3_PNS14_IS19_E10value_typeET4_jRbjT5_S1F_jjP12ihipStream_tbEUljE_ZNSN_ISO_Lb1ESR_SS_SU_SV_SZ_EES10_S11_S12_S13_S17_S18_S19_S1C_S1D_jS1E_jS1F_S1F_jjS1H_bEUljE0_EEES10_S11_S12_S19_S1D_S1F_T6_T7_T9_mT8_S1H_bDpT10_ENKUlT_T0_E_clISt17integral_constantIbLb1EES1V_EEDaS1Q_S1R_EUlS1Q_E_NS1_11comp_targetILNS1_3genE10ELNS1_11target_archE1200ELNS1_3gpuE4ELNS1_3repE0EEENS1_30default_config_static_selectorELNS0_4arch9wavefront6targetE1EEEvS13_.kd
    .uniform_work_group_size: 1
    .uses_dynamic_stack: false
    .vgpr_count:     0
    .vgpr_spill_count: 0
    .wavefront_size: 64
  - .args:
      - .offset:         0
        .size:           184
        .value_kind:     by_value
    .group_segment_fixed_size: 0
    .kernarg_segment_align: 8
    .kernarg_segment_size: 184
    .language:       OpenCL C
    .language_version:
      - 2
      - 0
    .max_flat_workgroup_size: 256
    .name:           _ZN7rocprim17ROCPRIM_400000_NS6detail17trampoline_kernelINS0_13select_configILj256ELj13ELNS0_17block_load_methodE3ELS4_3ELS4_3ELNS0_20block_scan_algorithmE0ELj4294967295EEENS1_25partition_config_selectorILNS1_17partition_subalgoE4EjNS0_10empty_typeEbEEZZNS1_14partition_implILS8_4ELb0ES6_15HIP_vector_typeIjLj2EENS0_17counting_iteratorIjlEEPS9_SG_NS0_5tupleIJPjSI_NS0_16reverse_iteratorISI_EEEEENSH_IJSG_SG_SG_EEES9_SI_JZNS1_25segmented_radix_sort_implINS0_14default_configELb1EPK12hip_bfloat16PSP_PKlPlN2at6native12_GLOBAL__N_18offset_tEEE10hipError_tPvRmT1_PNSt15iterator_traitsIS13_E10value_typeET2_T3_PNS14_IS19_E10value_typeET4_jRbjT5_S1F_jjP12ihipStream_tbEUljE_ZNSN_ISO_Lb1ESR_SS_SU_SV_SZ_EES10_S11_S12_S13_S17_S18_S19_S1C_S1D_jS1E_jS1F_S1F_jjS1H_bEUljE0_EEES10_S11_S12_S19_S1D_S1F_T6_T7_T9_mT8_S1H_bDpT10_ENKUlT_T0_E_clISt17integral_constantIbLb1EES1V_EEDaS1Q_S1R_EUlS1Q_E_NS1_11comp_targetILNS1_3genE9ELNS1_11target_archE1100ELNS1_3gpuE3ELNS1_3repE0EEENS1_30default_config_static_selectorELNS0_4arch9wavefront6targetE1EEEvS13_
    .private_segment_fixed_size: 0
    .sgpr_count:     4
    .sgpr_spill_count: 0
    .symbol:         _ZN7rocprim17ROCPRIM_400000_NS6detail17trampoline_kernelINS0_13select_configILj256ELj13ELNS0_17block_load_methodE3ELS4_3ELS4_3ELNS0_20block_scan_algorithmE0ELj4294967295EEENS1_25partition_config_selectorILNS1_17partition_subalgoE4EjNS0_10empty_typeEbEEZZNS1_14partition_implILS8_4ELb0ES6_15HIP_vector_typeIjLj2EENS0_17counting_iteratorIjlEEPS9_SG_NS0_5tupleIJPjSI_NS0_16reverse_iteratorISI_EEEEENSH_IJSG_SG_SG_EEES9_SI_JZNS1_25segmented_radix_sort_implINS0_14default_configELb1EPK12hip_bfloat16PSP_PKlPlN2at6native12_GLOBAL__N_18offset_tEEE10hipError_tPvRmT1_PNSt15iterator_traitsIS13_E10value_typeET2_T3_PNS14_IS19_E10value_typeET4_jRbjT5_S1F_jjP12ihipStream_tbEUljE_ZNSN_ISO_Lb1ESR_SS_SU_SV_SZ_EES10_S11_S12_S13_S17_S18_S19_S1C_S1D_jS1E_jS1F_S1F_jjS1H_bEUljE0_EEES10_S11_S12_S19_S1D_S1F_T6_T7_T9_mT8_S1H_bDpT10_ENKUlT_T0_E_clISt17integral_constantIbLb1EES1V_EEDaS1Q_S1R_EUlS1Q_E_NS1_11comp_targetILNS1_3genE9ELNS1_11target_archE1100ELNS1_3gpuE3ELNS1_3repE0EEENS1_30default_config_static_selectorELNS0_4arch9wavefront6targetE1EEEvS13_.kd
    .uniform_work_group_size: 1
    .uses_dynamic_stack: false
    .vgpr_count:     0
    .vgpr_spill_count: 0
    .wavefront_size: 64
  - .args:
      - .offset:         0
        .size:           184
        .value_kind:     by_value
    .group_segment_fixed_size: 0
    .kernarg_segment_align: 8
    .kernarg_segment_size: 184
    .language:       OpenCL C
    .language_version:
      - 2
      - 0
    .max_flat_workgroup_size: 256
    .name:           _ZN7rocprim17ROCPRIM_400000_NS6detail17trampoline_kernelINS0_13select_configILj256ELj13ELNS0_17block_load_methodE3ELS4_3ELS4_3ELNS0_20block_scan_algorithmE0ELj4294967295EEENS1_25partition_config_selectorILNS1_17partition_subalgoE4EjNS0_10empty_typeEbEEZZNS1_14partition_implILS8_4ELb0ES6_15HIP_vector_typeIjLj2EENS0_17counting_iteratorIjlEEPS9_SG_NS0_5tupleIJPjSI_NS0_16reverse_iteratorISI_EEEEENSH_IJSG_SG_SG_EEES9_SI_JZNS1_25segmented_radix_sort_implINS0_14default_configELb1EPK12hip_bfloat16PSP_PKlPlN2at6native12_GLOBAL__N_18offset_tEEE10hipError_tPvRmT1_PNSt15iterator_traitsIS13_E10value_typeET2_T3_PNS14_IS19_E10value_typeET4_jRbjT5_S1F_jjP12ihipStream_tbEUljE_ZNSN_ISO_Lb1ESR_SS_SU_SV_SZ_EES10_S11_S12_S13_S17_S18_S19_S1C_S1D_jS1E_jS1F_S1F_jjS1H_bEUljE0_EEES10_S11_S12_S19_S1D_S1F_T6_T7_T9_mT8_S1H_bDpT10_ENKUlT_T0_E_clISt17integral_constantIbLb1EES1V_EEDaS1Q_S1R_EUlS1Q_E_NS1_11comp_targetILNS1_3genE8ELNS1_11target_archE1030ELNS1_3gpuE2ELNS1_3repE0EEENS1_30default_config_static_selectorELNS0_4arch9wavefront6targetE1EEEvS13_
    .private_segment_fixed_size: 0
    .sgpr_count:     4
    .sgpr_spill_count: 0
    .symbol:         _ZN7rocprim17ROCPRIM_400000_NS6detail17trampoline_kernelINS0_13select_configILj256ELj13ELNS0_17block_load_methodE3ELS4_3ELS4_3ELNS0_20block_scan_algorithmE0ELj4294967295EEENS1_25partition_config_selectorILNS1_17partition_subalgoE4EjNS0_10empty_typeEbEEZZNS1_14partition_implILS8_4ELb0ES6_15HIP_vector_typeIjLj2EENS0_17counting_iteratorIjlEEPS9_SG_NS0_5tupleIJPjSI_NS0_16reverse_iteratorISI_EEEEENSH_IJSG_SG_SG_EEES9_SI_JZNS1_25segmented_radix_sort_implINS0_14default_configELb1EPK12hip_bfloat16PSP_PKlPlN2at6native12_GLOBAL__N_18offset_tEEE10hipError_tPvRmT1_PNSt15iterator_traitsIS13_E10value_typeET2_T3_PNS14_IS19_E10value_typeET4_jRbjT5_S1F_jjP12ihipStream_tbEUljE_ZNSN_ISO_Lb1ESR_SS_SU_SV_SZ_EES10_S11_S12_S13_S17_S18_S19_S1C_S1D_jS1E_jS1F_S1F_jjS1H_bEUljE0_EEES10_S11_S12_S19_S1D_S1F_T6_T7_T9_mT8_S1H_bDpT10_ENKUlT_T0_E_clISt17integral_constantIbLb1EES1V_EEDaS1Q_S1R_EUlS1Q_E_NS1_11comp_targetILNS1_3genE8ELNS1_11target_archE1030ELNS1_3gpuE2ELNS1_3repE0EEENS1_30default_config_static_selectorELNS0_4arch9wavefront6targetE1EEEvS13_.kd
    .uniform_work_group_size: 1
    .uses_dynamic_stack: false
    .vgpr_count:     0
    .vgpr_spill_count: 0
    .wavefront_size: 64
  - .args:
      - .offset:         0
        .size:           176
        .value_kind:     by_value
    .group_segment_fixed_size: 0
    .kernarg_segment_align: 8
    .kernarg_segment_size: 176
    .language:       OpenCL C
    .language_version:
      - 2
      - 0
    .max_flat_workgroup_size: 256
    .name:           _ZN7rocprim17ROCPRIM_400000_NS6detail17trampoline_kernelINS0_13select_configILj256ELj13ELNS0_17block_load_methodE3ELS4_3ELS4_3ELNS0_20block_scan_algorithmE0ELj4294967295EEENS1_25partition_config_selectorILNS1_17partition_subalgoE4EjNS0_10empty_typeEbEEZZNS1_14partition_implILS8_4ELb0ES6_15HIP_vector_typeIjLj2EENS0_17counting_iteratorIjlEEPS9_SG_NS0_5tupleIJPjSI_NS0_16reverse_iteratorISI_EEEEENSH_IJSG_SG_SG_EEES9_SI_JZNS1_25segmented_radix_sort_implINS0_14default_configELb1EPK12hip_bfloat16PSP_PKlPlN2at6native12_GLOBAL__N_18offset_tEEE10hipError_tPvRmT1_PNSt15iterator_traitsIS13_E10value_typeET2_T3_PNS14_IS19_E10value_typeET4_jRbjT5_S1F_jjP12ihipStream_tbEUljE_ZNSN_ISO_Lb1ESR_SS_SU_SV_SZ_EES10_S11_S12_S13_S17_S18_S19_S1C_S1D_jS1E_jS1F_S1F_jjS1H_bEUljE0_EEES10_S11_S12_S19_S1D_S1F_T6_T7_T9_mT8_S1H_bDpT10_ENKUlT_T0_E_clISt17integral_constantIbLb1EES1U_IbLb0EEEEDaS1Q_S1R_EUlS1Q_E_NS1_11comp_targetILNS1_3genE0ELNS1_11target_archE4294967295ELNS1_3gpuE0ELNS1_3repE0EEENS1_30default_config_static_selectorELNS0_4arch9wavefront6targetE1EEEvS13_
    .private_segment_fixed_size: 0
    .sgpr_count:     4
    .sgpr_spill_count: 0
    .symbol:         _ZN7rocprim17ROCPRIM_400000_NS6detail17trampoline_kernelINS0_13select_configILj256ELj13ELNS0_17block_load_methodE3ELS4_3ELS4_3ELNS0_20block_scan_algorithmE0ELj4294967295EEENS1_25partition_config_selectorILNS1_17partition_subalgoE4EjNS0_10empty_typeEbEEZZNS1_14partition_implILS8_4ELb0ES6_15HIP_vector_typeIjLj2EENS0_17counting_iteratorIjlEEPS9_SG_NS0_5tupleIJPjSI_NS0_16reverse_iteratorISI_EEEEENSH_IJSG_SG_SG_EEES9_SI_JZNS1_25segmented_radix_sort_implINS0_14default_configELb1EPK12hip_bfloat16PSP_PKlPlN2at6native12_GLOBAL__N_18offset_tEEE10hipError_tPvRmT1_PNSt15iterator_traitsIS13_E10value_typeET2_T3_PNS14_IS19_E10value_typeET4_jRbjT5_S1F_jjP12ihipStream_tbEUljE_ZNSN_ISO_Lb1ESR_SS_SU_SV_SZ_EES10_S11_S12_S13_S17_S18_S19_S1C_S1D_jS1E_jS1F_S1F_jjS1H_bEUljE0_EEES10_S11_S12_S19_S1D_S1F_T6_T7_T9_mT8_S1H_bDpT10_ENKUlT_T0_E_clISt17integral_constantIbLb1EES1U_IbLb0EEEEDaS1Q_S1R_EUlS1Q_E_NS1_11comp_targetILNS1_3genE0ELNS1_11target_archE4294967295ELNS1_3gpuE0ELNS1_3repE0EEENS1_30default_config_static_selectorELNS0_4arch9wavefront6targetE1EEEvS13_.kd
    .uniform_work_group_size: 1
    .uses_dynamic_stack: false
    .vgpr_count:     0
    .vgpr_spill_count: 0
    .wavefront_size: 64
  - .args:
      - .offset:         0
        .size:           176
        .value_kind:     by_value
    .group_segment_fixed_size: 0
    .kernarg_segment_align: 8
    .kernarg_segment_size: 176
    .language:       OpenCL C
    .language_version:
      - 2
      - 0
    .max_flat_workgroup_size: 256
    .name:           _ZN7rocprim17ROCPRIM_400000_NS6detail17trampoline_kernelINS0_13select_configILj256ELj13ELNS0_17block_load_methodE3ELS4_3ELS4_3ELNS0_20block_scan_algorithmE0ELj4294967295EEENS1_25partition_config_selectorILNS1_17partition_subalgoE4EjNS0_10empty_typeEbEEZZNS1_14partition_implILS8_4ELb0ES6_15HIP_vector_typeIjLj2EENS0_17counting_iteratorIjlEEPS9_SG_NS0_5tupleIJPjSI_NS0_16reverse_iteratorISI_EEEEENSH_IJSG_SG_SG_EEES9_SI_JZNS1_25segmented_radix_sort_implINS0_14default_configELb1EPK12hip_bfloat16PSP_PKlPlN2at6native12_GLOBAL__N_18offset_tEEE10hipError_tPvRmT1_PNSt15iterator_traitsIS13_E10value_typeET2_T3_PNS14_IS19_E10value_typeET4_jRbjT5_S1F_jjP12ihipStream_tbEUljE_ZNSN_ISO_Lb1ESR_SS_SU_SV_SZ_EES10_S11_S12_S13_S17_S18_S19_S1C_S1D_jS1E_jS1F_S1F_jjS1H_bEUljE0_EEES10_S11_S12_S19_S1D_S1F_T6_T7_T9_mT8_S1H_bDpT10_ENKUlT_T0_E_clISt17integral_constantIbLb1EES1U_IbLb0EEEEDaS1Q_S1R_EUlS1Q_E_NS1_11comp_targetILNS1_3genE5ELNS1_11target_archE942ELNS1_3gpuE9ELNS1_3repE0EEENS1_30default_config_static_selectorELNS0_4arch9wavefront6targetE1EEEvS13_
    .private_segment_fixed_size: 0
    .sgpr_count:     4
    .sgpr_spill_count: 0
    .symbol:         _ZN7rocprim17ROCPRIM_400000_NS6detail17trampoline_kernelINS0_13select_configILj256ELj13ELNS0_17block_load_methodE3ELS4_3ELS4_3ELNS0_20block_scan_algorithmE0ELj4294967295EEENS1_25partition_config_selectorILNS1_17partition_subalgoE4EjNS0_10empty_typeEbEEZZNS1_14partition_implILS8_4ELb0ES6_15HIP_vector_typeIjLj2EENS0_17counting_iteratorIjlEEPS9_SG_NS0_5tupleIJPjSI_NS0_16reverse_iteratorISI_EEEEENSH_IJSG_SG_SG_EEES9_SI_JZNS1_25segmented_radix_sort_implINS0_14default_configELb1EPK12hip_bfloat16PSP_PKlPlN2at6native12_GLOBAL__N_18offset_tEEE10hipError_tPvRmT1_PNSt15iterator_traitsIS13_E10value_typeET2_T3_PNS14_IS19_E10value_typeET4_jRbjT5_S1F_jjP12ihipStream_tbEUljE_ZNSN_ISO_Lb1ESR_SS_SU_SV_SZ_EES10_S11_S12_S13_S17_S18_S19_S1C_S1D_jS1E_jS1F_S1F_jjS1H_bEUljE0_EEES10_S11_S12_S19_S1D_S1F_T6_T7_T9_mT8_S1H_bDpT10_ENKUlT_T0_E_clISt17integral_constantIbLb1EES1U_IbLb0EEEEDaS1Q_S1R_EUlS1Q_E_NS1_11comp_targetILNS1_3genE5ELNS1_11target_archE942ELNS1_3gpuE9ELNS1_3repE0EEENS1_30default_config_static_selectorELNS0_4arch9wavefront6targetE1EEEvS13_.kd
    .uniform_work_group_size: 1
    .uses_dynamic_stack: false
    .vgpr_count:     0
    .vgpr_spill_count: 0
    .wavefront_size: 64
  - .args:
      - .offset:         0
        .size:           176
        .value_kind:     by_value
    .group_segment_fixed_size: 0
    .kernarg_segment_align: 8
    .kernarg_segment_size: 176
    .language:       OpenCL C
    .language_version:
      - 2
      - 0
    .max_flat_workgroup_size: 256
    .name:           _ZN7rocprim17ROCPRIM_400000_NS6detail17trampoline_kernelINS0_13select_configILj256ELj13ELNS0_17block_load_methodE3ELS4_3ELS4_3ELNS0_20block_scan_algorithmE0ELj4294967295EEENS1_25partition_config_selectorILNS1_17partition_subalgoE4EjNS0_10empty_typeEbEEZZNS1_14partition_implILS8_4ELb0ES6_15HIP_vector_typeIjLj2EENS0_17counting_iteratorIjlEEPS9_SG_NS0_5tupleIJPjSI_NS0_16reverse_iteratorISI_EEEEENSH_IJSG_SG_SG_EEES9_SI_JZNS1_25segmented_radix_sort_implINS0_14default_configELb1EPK12hip_bfloat16PSP_PKlPlN2at6native12_GLOBAL__N_18offset_tEEE10hipError_tPvRmT1_PNSt15iterator_traitsIS13_E10value_typeET2_T3_PNS14_IS19_E10value_typeET4_jRbjT5_S1F_jjP12ihipStream_tbEUljE_ZNSN_ISO_Lb1ESR_SS_SU_SV_SZ_EES10_S11_S12_S13_S17_S18_S19_S1C_S1D_jS1E_jS1F_S1F_jjS1H_bEUljE0_EEES10_S11_S12_S19_S1D_S1F_T6_T7_T9_mT8_S1H_bDpT10_ENKUlT_T0_E_clISt17integral_constantIbLb1EES1U_IbLb0EEEEDaS1Q_S1R_EUlS1Q_E_NS1_11comp_targetILNS1_3genE4ELNS1_11target_archE910ELNS1_3gpuE8ELNS1_3repE0EEENS1_30default_config_static_selectorELNS0_4arch9wavefront6targetE1EEEvS13_
    .private_segment_fixed_size: 0
    .sgpr_count:     4
    .sgpr_spill_count: 0
    .symbol:         _ZN7rocprim17ROCPRIM_400000_NS6detail17trampoline_kernelINS0_13select_configILj256ELj13ELNS0_17block_load_methodE3ELS4_3ELS4_3ELNS0_20block_scan_algorithmE0ELj4294967295EEENS1_25partition_config_selectorILNS1_17partition_subalgoE4EjNS0_10empty_typeEbEEZZNS1_14partition_implILS8_4ELb0ES6_15HIP_vector_typeIjLj2EENS0_17counting_iteratorIjlEEPS9_SG_NS0_5tupleIJPjSI_NS0_16reverse_iteratorISI_EEEEENSH_IJSG_SG_SG_EEES9_SI_JZNS1_25segmented_radix_sort_implINS0_14default_configELb1EPK12hip_bfloat16PSP_PKlPlN2at6native12_GLOBAL__N_18offset_tEEE10hipError_tPvRmT1_PNSt15iterator_traitsIS13_E10value_typeET2_T3_PNS14_IS19_E10value_typeET4_jRbjT5_S1F_jjP12ihipStream_tbEUljE_ZNSN_ISO_Lb1ESR_SS_SU_SV_SZ_EES10_S11_S12_S13_S17_S18_S19_S1C_S1D_jS1E_jS1F_S1F_jjS1H_bEUljE0_EEES10_S11_S12_S19_S1D_S1F_T6_T7_T9_mT8_S1H_bDpT10_ENKUlT_T0_E_clISt17integral_constantIbLb1EES1U_IbLb0EEEEDaS1Q_S1R_EUlS1Q_E_NS1_11comp_targetILNS1_3genE4ELNS1_11target_archE910ELNS1_3gpuE8ELNS1_3repE0EEENS1_30default_config_static_selectorELNS0_4arch9wavefront6targetE1EEEvS13_.kd
    .uniform_work_group_size: 1
    .uses_dynamic_stack: false
    .vgpr_count:     0
    .vgpr_spill_count: 0
    .wavefront_size: 64
  - .args:
      - .offset:         0
        .size:           176
        .value_kind:     by_value
    .group_segment_fixed_size: 0
    .kernarg_segment_align: 8
    .kernarg_segment_size: 176
    .language:       OpenCL C
    .language_version:
      - 2
      - 0
    .max_flat_workgroup_size: 256
    .name:           _ZN7rocprim17ROCPRIM_400000_NS6detail17trampoline_kernelINS0_13select_configILj256ELj13ELNS0_17block_load_methodE3ELS4_3ELS4_3ELNS0_20block_scan_algorithmE0ELj4294967295EEENS1_25partition_config_selectorILNS1_17partition_subalgoE4EjNS0_10empty_typeEbEEZZNS1_14partition_implILS8_4ELb0ES6_15HIP_vector_typeIjLj2EENS0_17counting_iteratorIjlEEPS9_SG_NS0_5tupleIJPjSI_NS0_16reverse_iteratorISI_EEEEENSH_IJSG_SG_SG_EEES9_SI_JZNS1_25segmented_radix_sort_implINS0_14default_configELb1EPK12hip_bfloat16PSP_PKlPlN2at6native12_GLOBAL__N_18offset_tEEE10hipError_tPvRmT1_PNSt15iterator_traitsIS13_E10value_typeET2_T3_PNS14_IS19_E10value_typeET4_jRbjT5_S1F_jjP12ihipStream_tbEUljE_ZNSN_ISO_Lb1ESR_SS_SU_SV_SZ_EES10_S11_S12_S13_S17_S18_S19_S1C_S1D_jS1E_jS1F_S1F_jjS1H_bEUljE0_EEES10_S11_S12_S19_S1D_S1F_T6_T7_T9_mT8_S1H_bDpT10_ENKUlT_T0_E_clISt17integral_constantIbLb1EES1U_IbLb0EEEEDaS1Q_S1R_EUlS1Q_E_NS1_11comp_targetILNS1_3genE3ELNS1_11target_archE908ELNS1_3gpuE7ELNS1_3repE0EEENS1_30default_config_static_selectorELNS0_4arch9wavefront6targetE1EEEvS13_
    .private_segment_fixed_size: 0
    .sgpr_count:     4
    .sgpr_spill_count: 0
    .symbol:         _ZN7rocprim17ROCPRIM_400000_NS6detail17trampoline_kernelINS0_13select_configILj256ELj13ELNS0_17block_load_methodE3ELS4_3ELS4_3ELNS0_20block_scan_algorithmE0ELj4294967295EEENS1_25partition_config_selectorILNS1_17partition_subalgoE4EjNS0_10empty_typeEbEEZZNS1_14partition_implILS8_4ELb0ES6_15HIP_vector_typeIjLj2EENS0_17counting_iteratorIjlEEPS9_SG_NS0_5tupleIJPjSI_NS0_16reverse_iteratorISI_EEEEENSH_IJSG_SG_SG_EEES9_SI_JZNS1_25segmented_radix_sort_implINS0_14default_configELb1EPK12hip_bfloat16PSP_PKlPlN2at6native12_GLOBAL__N_18offset_tEEE10hipError_tPvRmT1_PNSt15iterator_traitsIS13_E10value_typeET2_T3_PNS14_IS19_E10value_typeET4_jRbjT5_S1F_jjP12ihipStream_tbEUljE_ZNSN_ISO_Lb1ESR_SS_SU_SV_SZ_EES10_S11_S12_S13_S17_S18_S19_S1C_S1D_jS1E_jS1F_S1F_jjS1H_bEUljE0_EEES10_S11_S12_S19_S1D_S1F_T6_T7_T9_mT8_S1H_bDpT10_ENKUlT_T0_E_clISt17integral_constantIbLb1EES1U_IbLb0EEEEDaS1Q_S1R_EUlS1Q_E_NS1_11comp_targetILNS1_3genE3ELNS1_11target_archE908ELNS1_3gpuE7ELNS1_3repE0EEENS1_30default_config_static_selectorELNS0_4arch9wavefront6targetE1EEEvS13_.kd
    .uniform_work_group_size: 1
    .uses_dynamic_stack: false
    .vgpr_count:     0
    .vgpr_spill_count: 0
    .wavefront_size: 64
  - .args:
      - .offset:         0
        .size:           176
        .value_kind:     by_value
    .group_segment_fixed_size: 0
    .kernarg_segment_align: 8
    .kernarg_segment_size: 176
    .language:       OpenCL C
    .language_version:
      - 2
      - 0
    .max_flat_workgroup_size: 256
    .name:           _ZN7rocprim17ROCPRIM_400000_NS6detail17trampoline_kernelINS0_13select_configILj256ELj13ELNS0_17block_load_methodE3ELS4_3ELS4_3ELNS0_20block_scan_algorithmE0ELj4294967295EEENS1_25partition_config_selectorILNS1_17partition_subalgoE4EjNS0_10empty_typeEbEEZZNS1_14partition_implILS8_4ELb0ES6_15HIP_vector_typeIjLj2EENS0_17counting_iteratorIjlEEPS9_SG_NS0_5tupleIJPjSI_NS0_16reverse_iteratorISI_EEEEENSH_IJSG_SG_SG_EEES9_SI_JZNS1_25segmented_radix_sort_implINS0_14default_configELb1EPK12hip_bfloat16PSP_PKlPlN2at6native12_GLOBAL__N_18offset_tEEE10hipError_tPvRmT1_PNSt15iterator_traitsIS13_E10value_typeET2_T3_PNS14_IS19_E10value_typeET4_jRbjT5_S1F_jjP12ihipStream_tbEUljE_ZNSN_ISO_Lb1ESR_SS_SU_SV_SZ_EES10_S11_S12_S13_S17_S18_S19_S1C_S1D_jS1E_jS1F_S1F_jjS1H_bEUljE0_EEES10_S11_S12_S19_S1D_S1F_T6_T7_T9_mT8_S1H_bDpT10_ENKUlT_T0_E_clISt17integral_constantIbLb1EES1U_IbLb0EEEEDaS1Q_S1R_EUlS1Q_E_NS1_11comp_targetILNS1_3genE2ELNS1_11target_archE906ELNS1_3gpuE6ELNS1_3repE0EEENS1_30default_config_static_selectorELNS0_4arch9wavefront6targetE1EEEvS13_
    .private_segment_fixed_size: 0
    .sgpr_count:     4
    .sgpr_spill_count: 0
    .symbol:         _ZN7rocprim17ROCPRIM_400000_NS6detail17trampoline_kernelINS0_13select_configILj256ELj13ELNS0_17block_load_methodE3ELS4_3ELS4_3ELNS0_20block_scan_algorithmE0ELj4294967295EEENS1_25partition_config_selectorILNS1_17partition_subalgoE4EjNS0_10empty_typeEbEEZZNS1_14partition_implILS8_4ELb0ES6_15HIP_vector_typeIjLj2EENS0_17counting_iteratorIjlEEPS9_SG_NS0_5tupleIJPjSI_NS0_16reverse_iteratorISI_EEEEENSH_IJSG_SG_SG_EEES9_SI_JZNS1_25segmented_radix_sort_implINS0_14default_configELb1EPK12hip_bfloat16PSP_PKlPlN2at6native12_GLOBAL__N_18offset_tEEE10hipError_tPvRmT1_PNSt15iterator_traitsIS13_E10value_typeET2_T3_PNS14_IS19_E10value_typeET4_jRbjT5_S1F_jjP12ihipStream_tbEUljE_ZNSN_ISO_Lb1ESR_SS_SU_SV_SZ_EES10_S11_S12_S13_S17_S18_S19_S1C_S1D_jS1E_jS1F_S1F_jjS1H_bEUljE0_EEES10_S11_S12_S19_S1D_S1F_T6_T7_T9_mT8_S1H_bDpT10_ENKUlT_T0_E_clISt17integral_constantIbLb1EES1U_IbLb0EEEEDaS1Q_S1R_EUlS1Q_E_NS1_11comp_targetILNS1_3genE2ELNS1_11target_archE906ELNS1_3gpuE6ELNS1_3repE0EEENS1_30default_config_static_selectorELNS0_4arch9wavefront6targetE1EEEvS13_.kd
    .uniform_work_group_size: 1
    .uses_dynamic_stack: false
    .vgpr_count:     0
    .vgpr_spill_count: 0
    .wavefront_size: 64
  - .args:
      - .offset:         0
        .size:           176
        .value_kind:     by_value
    .group_segment_fixed_size: 0
    .kernarg_segment_align: 8
    .kernarg_segment_size: 176
    .language:       OpenCL C
    .language_version:
      - 2
      - 0
    .max_flat_workgroup_size: 256
    .name:           _ZN7rocprim17ROCPRIM_400000_NS6detail17trampoline_kernelINS0_13select_configILj256ELj13ELNS0_17block_load_methodE3ELS4_3ELS4_3ELNS0_20block_scan_algorithmE0ELj4294967295EEENS1_25partition_config_selectorILNS1_17partition_subalgoE4EjNS0_10empty_typeEbEEZZNS1_14partition_implILS8_4ELb0ES6_15HIP_vector_typeIjLj2EENS0_17counting_iteratorIjlEEPS9_SG_NS0_5tupleIJPjSI_NS0_16reverse_iteratorISI_EEEEENSH_IJSG_SG_SG_EEES9_SI_JZNS1_25segmented_radix_sort_implINS0_14default_configELb1EPK12hip_bfloat16PSP_PKlPlN2at6native12_GLOBAL__N_18offset_tEEE10hipError_tPvRmT1_PNSt15iterator_traitsIS13_E10value_typeET2_T3_PNS14_IS19_E10value_typeET4_jRbjT5_S1F_jjP12ihipStream_tbEUljE_ZNSN_ISO_Lb1ESR_SS_SU_SV_SZ_EES10_S11_S12_S13_S17_S18_S19_S1C_S1D_jS1E_jS1F_S1F_jjS1H_bEUljE0_EEES10_S11_S12_S19_S1D_S1F_T6_T7_T9_mT8_S1H_bDpT10_ENKUlT_T0_E_clISt17integral_constantIbLb1EES1U_IbLb0EEEEDaS1Q_S1R_EUlS1Q_E_NS1_11comp_targetILNS1_3genE10ELNS1_11target_archE1200ELNS1_3gpuE4ELNS1_3repE0EEENS1_30default_config_static_selectorELNS0_4arch9wavefront6targetE1EEEvS13_
    .private_segment_fixed_size: 0
    .sgpr_count:     4
    .sgpr_spill_count: 0
    .symbol:         _ZN7rocprim17ROCPRIM_400000_NS6detail17trampoline_kernelINS0_13select_configILj256ELj13ELNS0_17block_load_methodE3ELS4_3ELS4_3ELNS0_20block_scan_algorithmE0ELj4294967295EEENS1_25partition_config_selectorILNS1_17partition_subalgoE4EjNS0_10empty_typeEbEEZZNS1_14partition_implILS8_4ELb0ES6_15HIP_vector_typeIjLj2EENS0_17counting_iteratorIjlEEPS9_SG_NS0_5tupleIJPjSI_NS0_16reverse_iteratorISI_EEEEENSH_IJSG_SG_SG_EEES9_SI_JZNS1_25segmented_radix_sort_implINS0_14default_configELb1EPK12hip_bfloat16PSP_PKlPlN2at6native12_GLOBAL__N_18offset_tEEE10hipError_tPvRmT1_PNSt15iterator_traitsIS13_E10value_typeET2_T3_PNS14_IS19_E10value_typeET4_jRbjT5_S1F_jjP12ihipStream_tbEUljE_ZNSN_ISO_Lb1ESR_SS_SU_SV_SZ_EES10_S11_S12_S13_S17_S18_S19_S1C_S1D_jS1E_jS1F_S1F_jjS1H_bEUljE0_EEES10_S11_S12_S19_S1D_S1F_T6_T7_T9_mT8_S1H_bDpT10_ENKUlT_T0_E_clISt17integral_constantIbLb1EES1U_IbLb0EEEEDaS1Q_S1R_EUlS1Q_E_NS1_11comp_targetILNS1_3genE10ELNS1_11target_archE1200ELNS1_3gpuE4ELNS1_3repE0EEENS1_30default_config_static_selectorELNS0_4arch9wavefront6targetE1EEEvS13_.kd
    .uniform_work_group_size: 1
    .uses_dynamic_stack: false
    .vgpr_count:     0
    .vgpr_spill_count: 0
    .wavefront_size: 64
  - .args:
      - .offset:         0
        .size:           176
        .value_kind:     by_value
    .group_segment_fixed_size: 0
    .kernarg_segment_align: 8
    .kernarg_segment_size: 176
    .language:       OpenCL C
    .language_version:
      - 2
      - 0
    .max_flat_workgroup_size: 256
    .name:           _ZN7rocprim17ROCPRIM_400000_NS6detail17trampoline_kernelINS0_13select_configILj256ELj13ELNS0_17block_load_methodE3ELS4_3ELS4_3ELNS0_20block_scan_algorithmE0ELj4294967295EEENS1_25partition_config_selectorILNS1_17partition_subalgoE4EjNS0_10empty_typeEbEEZZNS1_14partition_implILS8_4ELb0ES6_15HIP_vector_typeIjLj2EENS0_17counting_iteratorIjlEEPS9_SG_NS0_5tupleIJPjSI_NS0_16reverse_iteratorISI_EEEEENSH_IJSG_SG_SG_EEES9_SI_JZNS1_25segmented_radix_sort_implINS0_14default_configELb1EPK12hip_bfloat16PSP_PKlPlN2at6native12_GLOBAL__N_18offset_tEEE10hipError_tPvRmT1_PNSt15iterator_traitsIS13_E10value_typeET2_T3_PNS14_IS19_E10value_typeET4_jRbjT5_S1F_jjP12ihipStream_tbEUljE_ZNSN_ISO_Lb1ESR_SS_SU_SV_SZ_EES10_S11_S12_S13_S17_S18_S19_S1C_S1D_jS1E_jS1F_S1F_jjS1H_bEUljE0_EEES10_S11_S12_S19_S1D_S1F_T6_T7_T9_mT8_S1H_bDpT10_ENKUlT_T0_E_clISt17integral_constantIbLb1EES1U_IbLb0EEEEDaS1Q_S1R_EUlS1Q_E_NS1_11comp_targetILNS1_3genE9ELNS1_11target_archE1100ELNS1_3gpuE3ELNS1_3repE0EEENS1_30default_config_static_selectorELNS0_4arch9wavefront6targetE1EEEvS13_
    .private_segment_fixed_size: 0
    .sgpr_count:     4
    .sgpr_spill_count: 0
    .symbol:         _ZN7rocprim17ROCPRIM_400000_NS6detail17trampoline_kernelINS0_13select_configILj256ELj13ELNS0_17block_load_methodE3ELS4_3ELS4_3ELNS0_20block_scan_algorithmE0ELj4294967295EEENS1_25partition_config_selectorILNS1_17partition_subalgoE4EjNS0_10empty_typeEbEEZZNS1_14partition_implILS8_4ELb0ES6_15HIP_vector_typeIjLj2EENS0_17counting_iteratorIjlEEPS9_SG_NS0_5tupleIJPjSI_NS0_16reverse_iteratorISI_EEEEENSH_IJSG_SG_SG_EEES9_SI_JZNS1_25segmented_radix_sort_implINS0_14default_configELb1EPK12hip_bfloat16PSP_PKlPlN2at6native12_GLOBAL__N_18offset_tEEE10hipError_tPvRmT1_PNSt15iterator_traitsIS13_E10value_typeET2_T3_PNS14_IS19_E10value_typeET4_jRbjT5_S1F_jjP12ihipStream_tbEUljE_ZNSN_ISO_Lb1ESR_SS_SU_SV_SZ_EES10_S11_S12_S13_S17_S18_S19_S1C_S1D_jS1E_jS1F_S1F_jjS1H_bEUljE0_EEES10_S11_S12_S19_S1D_S1F_T6_T7_T9_mT8_S1H_bDpT10_ENKUlT_T0_E_clISt17integral_constantIbLb1EES1U_IbLb0EEEEDaS1Q_S1R_EUlS1Q_E_NS1_11comp_targetILNS1_3genE9ELNS1_11target_archE1100ELNS1_3gpuE3ELNS1_3repE0EEENS1_30default_config_static_selectorELNS0_4arch9wavefront6targetE1EEEvS13_.kd
    .uniform_work_group_size: 1
    .uses_dynamic_stack: false
    .vgpr_count:     0
    .vgpr_spill_count: 0
    .wavefront_size: 64
  - .args:
      - .offset:         0
        .size:           176
        .value_kind:     by_value
    .group_segment_fixed_size: 0
    .kernarg_segment_align: 8
    .kernarg_segment_size: 176
    .language:       OpenCL C
    .language_version:
      - 2
      - 0
    .max_flat_workgroup_size: 256
    .name:           _ZN7rocprim17ROCPRIM_400000_NS6detail17trampoline_kernelINS0_13select_configILj256ELj13ELNS0_17block_load_methodE3ELS4_3ELS4_3ELNS0_20block_scan_algorithmE0ELj4294967295EEENS1_25partition_config_selectorILNS1_17partition_subalgoE4EjNS0_10empty_typeEbEEZZNS1_14partition_implILS8_4ELb0ES6_15HIP_vector_typeIjLj2EENS0_17counting_iteratorIjlEEPS9_SG_NS0_5tupleIJPjSI_NS0_16reverse_iteratorISI_EEEEENSH_IJSG_SG_SG_EEES9_SI_JZNS1_25segmented_radix_sort_implINS0_14default_configELb1EPK12hip_bfloat16PSP_PKlPlN2at6native12_GLOBAL__N_18offset_tEEE10hipError_tPvRmT1_PNSt15iterator_traitsIS13_E10value_typeET2_T3_PNS14_IS19_E10value_typeET4_jRbjT5_S1F_jjP12ihipStream_tbEUljE_ZNSN_ISO_Lb1ESR_SS_SU_SV_SZ_EES10_S11_S12_S13_S17_S18_S19_S1C_S1D_jS1E_jS1F_S1F_jjS1H_bEUljE0_EEES10_S11_S12_S19_S1D_S1F_T6_T7_T9_mT8_S1H_bDpT10_ENKUlT_T0_E_clISt17integral_constantIbLb1EES1U_IbLb0EEEEDaS1Q_S1R_EUlS1Q_E_NS1_11comp_targetILNS1_3genE8ELNS1_11target_archE1030ELNS1_3gpuE2ELNS1_3repE0EEENS1_30default_config_static_selectorELNS0_4arch9wavefront6targetE1EEEvS13_
    .private_segment_fixed_size: 0
    .sgpr_count:     4
    .sgpr_spill_count: 0
    .symbol:         _ZN7rocprim17ROCPRIM_400000_NS6detail17trampoline_kernelINS0_13select_configILj256ELj13ELNS0_17block_load_methodE3ELS4_3ELS4_3ELNS0_20block_scan_algorithmE0ELj4294967295EEENS1_25partition_config_selectorILNS1_17partition_subalgoE4EjNS0_10empty_typeEbEEZZNS1_14partition_implILS8_4ELb0ES6_15HIP_vector_typeIjLj2EENS0_17counting_iteratorIjlEEPS9_SG_NS0_5tupleIJPjSI_NS0_16reverse_iteratorISI_EEEEENSH_IJSG_SG_SG_EEES9_SI_JZNS1_25segmented_radix_sort_implINS0_14default_configELb1EPK12hip_bfloat16PSP_PKlPlN2at6native12_GLOBAL__N_18offset_tEEE10hipError_tPvRmT1_PNSt15iterator_traitsIS13_E10value_typeET2_T3_PNS14_IS19_E10value_typeET4_jRbjT5_S1F_jjP12ihipStream_tbEUljE_ZNSN_ISO_Lb1ESR_SS_SU_SV_SZ_EES10_S11_S12_S13_S17_S18_S19_S1C_S1D_jS1E_jS1F_S1F_jjS1H_bEUljE0_EEES10_S11_S12_S19_S1D_S1F_T6_T7_T9_mT8_S1H_bDpT10_ENKUlT_T0_E_clISt17integral_constantIbLb1EES1U_IbLb0EEEEDaS1Q_S1R_EUlS1Q_E_NS1_11comp_targetILNS1_3genE8ELNS1_11target_archE1030ELNS1_3gpuE2ELNS1_3repE0EEENS1_30default_config_static_selectorELNS0_4arch9wavefront6targetE1EEEvS13_.kd
    .uniform_work_group_size: 1
    .uses_dynamic_stack: false
    .vgpr_count:     0
    .vgpr_spill_count: 0
    .wavefront_size: 64
  - .args:
      - .offset:         0
        .size:           184
        .value_kind:     by_value
    .group_segment_fixed_size: 0
    .kernarg_segment_align: 8
    .kernarg_segment_size: 184
    .language:       OpenCL C
    .language_version:
      - 2
      - 0
    .max_flat_workgroup_size: 256
    .name:           _ZN7rocprim17ROCPRIM_400000_NS6detail17trampoline_kernelINS0_13select_configILj256ELj13ELNS0_17block_load_methodE3ELS4_3ELS4_3ELNS0_20block_scan_algorithmE0ELj4294967295EEENS1_25partition_config_selectorILNS1_17partition_subalgoE4EjNS0_10empty_typeEbEEZZNS1_14partition_implILS8_4ELb0ES6_15HIP_vector_typeIjLj2EENS0_17counting_iteratorIjlEEPS9_SG_NS0_5tupleIJPjSI_NS0_16reverse_iteratorISI_EEEEENSH_IJSG_SG_SG_EEES9_SI_JZNS1_25segmented_radix_sort_implINS0_14default_configELb1EPK12hip_bfloat16PSP_PKlPlN2at6native12_GLOBAL__N_18offset_tEEE10hipError_tPvRmT1_PNSt15iterator_traitsIS13_E10value_typeET2_T3_PNS14_IS19_E10value_typeET4_jRbjT5_S1F_jjP12ihipStream_tbEUljE_ZNSN_ISO_Lb1ESR_SS_SU_SV_SZ_EES10_S11_S12_S13_S17_S18_S19_S1C_S1D_jS1E_jS1F_S1F_jjS1H_bEUljE0_EEES10_S11_S12_S19_S1D_S1F_T6_T7_T9_mT8_S1H_bDpT10_ENKUlT_T0_E_clISt17integral_constantIbLb0EES1U_IbLb1EEEEDaS1Q_S1R_EUlS1Q_E_NS1_11comp_targetILNS1_3genE0ELNS1_11target_archE4294967295ELNS1_3gpuE0ELNS1_3repE0EEENS1_30default_config_static_selectorELNS0_4arch9wavefront6targetE1EEEvS13_
    .private_segment_fixed_size: 0
    .sgpr_count:     4
    .sgpr_spill_count: 0
    .symbol:         _ZN7rocprim17ROCPRIM_400000_NS6detail17trampoline_kernelINS0_13select_configILj256ELj13ELNS0_17block_load_methodE3ELS4_3ELS4_3ELNS0_20block_scan_algorithmE0ELj4294967295EEENS1_25partition_config_selectorILNS1_17partition_subalgoE4EjNS0_10empty_typeEbEEZZNS1_14partition_implILS8_4ELb0ES6_15HIP_vector_typeIjLj2EENS0_17counting_iteratorIjlEEPS9_SG_NS0_5tupleIJPjSI_NS0_16reverse_iteratorISI_EEEEENSH_IJSG_SG_SG_EEES9_SI_JZNS1_25segmented_radix_sort_implINS0_14default_configELb1EPK12hip_bfloat16PSP_PKlPlN2at6native12_GLOBAL__N_18offset_tEEE10hipError_tPvRmT1_PNSt15iterator_traitsIS13_E10value_typeET2_T3_PNS14_IS19_E10value_typeET4_jRbjT5_S1F_jjP12ihipStream_tbEUljE_ZNSN_ISO_Lb1ESR_SS_SU_SV_SZ_EES10_S11_S12_S13_S17_S18_S19_S1C_S1D_jS1E_jS1F_S1F_jjS1H_bEUljE0_EEES10_S11_S12_S19_S1D_S1F_T6_T7_T9_mT8_S1H_bDpT10_ENKUlT_T0_E_clISt17integral_constantIbLb0EES1U_IbLb1EEEEDaS1Q_S1R_EUlS1Q_E_NS1_11comp_targetILNS1_3genE0ELNS1_11target_archE4294967295ELNS1_3gpuE0ELNS1_3repE0EEENS1_30default_config_static_selectorELNS0_4arch9wavefront6targetE1EEEvS13_.kd
    .uniform_work_group_size: 1
    .uses_dynamic_stack: false
    .vgpr_count:     0
    .vgpr_spill_count: 0
    .wavefront_size: 64
  - .args:
      - .offset:         0
        .size:           184
        .value_kind:     by_value
    .group_segment_fixed_size: 0
    .kernarg_segment_align: 8
    .kernarg_segment_size: 184
    .language:       OpenCL C
    .language_version:
      - 2
      - 0
    .max_flat_workgroup_size: 256
    .name:           _ZN7rocprim17ROCPRIM_400000_NS6detail17trampoline_kernelINS0_13select_configILj256ELj13ELNS0_17block_load_methodE3ELS4_3ELS4_3ELNS0_20block_scan_algorithmE0ELj4294967295EEENS1_25partition_config_selectorILNS1_17partition_subalgoE4EjNS0_10empty_typeEbEEZZNS1_14partition_implILS8_4ELb0ES6_15HIP_vector_typeIjLj2EENS0_17counting_iteratorIjlEEPS9_SG_NS0_5tupleIJPjSI_NS0_16reverse_iteratorISI_EEEEENSH_IJSG_SG_SG_EEES9_SI_JZNS1_25segmented_radix_sort_implINS0_14default_configELb1EPK12hip_bfloat16PSP_PKlPlN2at6native12_GLOBAL__N_18offset_tEEE10hipError_tPvRmT1_PNSt15iterator_traitsIS13_E10value_typeET2_T3_PNS14_IS19_E10value_typeET4_jRbjT5_S1F_jjP12ihipStream_tbEUljE_ZNSN_ISO_Lb1ESR_SS_SU_SV_SZ_EES10_S11_S12_S13_S17_S18_S19_S1C_S1D_jS1E_jS1F_S1F_jjS1H_bEUljE0_EEES10_S11_S12_S19_S1D_S1F_T6_T7_T9_mT8_S1H_bDpT10_ENKUlT_T0_E_clISt17integral_constantIbLb0EES1U_IbLb1EEEEDaS1Q_S1R_EUlS1Q_E_NS1_11comp_targetILNS1_3genE5ELNS1_11target_archE942ELNS1_3gpuE9ELNS1_3repE0EEENS1_30default_config_static_selectorELNS0_4arch9wavefront6targetE1EEEvS13_
    .private_segment_fixed_size: 0
    .sgpr_count:     4
    .sgpr_spill_count: 0
    .symbol:         _ZN7rocprim17ROCPRIM_400000_NS6detail17trampoline_kernelINS0_13select_configILj256ELj13ELNS0_17block_load_methodE3ELS4_3ELS4_3ELNS0_20block_scan_algorithmE0ELj4294967295EEENS1_25partition_config_selectorILNS1_17partition_subalgoE4EjNS0_10empty_typeEbEEZZNS1_14partition_implILS8_4ELb0ES6_15HIP_vector_typeIjLj2EENS0_17counting_iteratorIjlEEPS9_SG_NS0_5tupleIJPjSI_NS0_16reverse_iteratorISI_EEEEENSH_IJSG_SG_SG_EEES9_SI_JZNS1_25segmented_radix_sort_implINS0_14default_configELb1EPK12hip_bfloat16PSP_PKlPlN2at6native12_GLOBAL__N_18offset_tEEE10hipError_tPvRmT1_PNSt15iterator_traitsIS13_E10value_typeET2_T3_PNS14_IS19_E10value_typeET4_jRbjT5_S1F_jjP12ihipStream_tbEUljE_ZNSN_ISO_Lb1ESR_SS_SU_SV_SZ_EES10_S11_S12_S13_S17_S18_S19_S1C_S1D_jS1E_jS1F_S1F_jjS1H_bEUljE0_EEES10_S11_S12_S19_S1D_S1F_T6_T7_T9_mT8_S1H_bDpT10_ENKUlT_T0_E_clISt17integral_constantIbLb0EES1U_IbLb1EEEEDaS1Q_S1R_EUlS1Q_E_NS1_11comp_targetILNS1_3genE5ELNS1_11target_archE942ELNS1_3gpuE9ELNS1_3repE0EEENS1_30default_config_static_selectorELNS0_4arch9wavefront6targetE1EEEvS13_.kd
    .uniform_work_group_size: 1
    .uses_dynamic_stack: false
    .vgpr_count:     0
    .vgpr_spill_count: 0
    .wavefront_size: 64
  - .args:
      - .offset:         0
        .size:           184
        .value_kind:     by_value
    .group_segment_fixed_size: 0
    .kernarg_segment_align: 8
    .kernarg_segment_size: 184
    .language:       OpenCL C
    .language_version:
      - 2
      - 0
    .max_flat_workgroup_size: 256
    .name:           _ZN7rocprim17ROCPRIM_400000_NS6detail17trampoline_kernelINS0_13select_configILj256ELj13ELNS0_17block_load_methodE3ELS4_3ELS4_3ELNS0_20block_scan_algorithmE0ELj4294967295EEENS1_25partition_config_selectorILNS1_17partition_subalgoE4EjNS0_10empty_typeEbEEZZNS1_14partition_implILS8_4ELb0ES6_15HIP_vector_typeIjLj2EENS0_17counting_iteratorIjlEEPS9_SG_NS0_5tupleIJPjSI_NS0_16reverse_iteratorISI_EEEEENSH_IJSG_SG_SG_EEES9_SI_JZNS1_25segmented_radix_sort_implINS0_14default_configELb1EPK12hip_bfloat16PSP_PKlPlN2at6native12_GLOBAL__N_18offset_tEEE10hipError_tPvRmT1_PNSt15iterator_traitsIS13_E10value_typeET2_T3_PNS14_IS19_E10value_typeET4_jRbjT5_S1F_jjP12ihipStream_tbEUljE_ZNSN_ISO_Lb1ESR_SS_SU_SV_SZ_EES10_S11_S12_S13_S17_S18_S19_S1C_S1D_jS1E_jS1F_S1F_jjS1H_bEUljE0_EEES10_S11_S12_S19_S1D_S1F_T6_T7_T9_mT8_S1H_bDpT10_ENKUlT_T0_E_clISt17integral_constantIbLb0EES1U_IbLb1EEEEDaS1Q_S1R_EUlS1Q_E_NS1_11comp_targetILNS1_3genE4ELNS1_11target_archE910ELNS1_3gpuE8ELNS1_3repE0EEENS1_30default_config_static_selectorELNS0_4arch9wavefront6targetE1EEEvS13_
    .private_segment_fixed_size: 0
    .sgpr_count:     4
    .sgpr_spill_count: 0
    .symbol:         _ZN7rocprim17ROCPRIM_400000_NS6detail17trampoline_kernelINS0_13select_configILj256ELj13ELNS0_17block_load_methodE3ELS4_3ELS4_3ELNS0_20block_scan_algorithmE0ELj4294967295EEENS1_25partition_config_selectorILNS1_17partition_subalgoE4EjNS0_10empty_typeEbEEZZNS1_14partition_implILS8_4ELb0ES6_15HIP_vector_typeIjLj2EENS0_17counting_iteratorIjlEEPS9_SG_NS0_5tupleIJPjSI_NS0_16reverse_iteratorISI_EEEEENSH_IJSG_SG_SG_EEES9_SI_JZNS1_25segmented_radix_sort_implINS0_14default_configELb1EPK12hip_bfloat16PSP_PKlPlN2at6native12_GLOBAL__N_18offset_tEEE10hipError_tPvRmT1_PNSt15iterator_traitsIS13_E10value_typeET2_T3_PNS14_IS19_E10value_typeET4_jRbjT5_S1F_jjP12ihipStream_tbEUljE_ZNSN_ISO_Lb1ESR_SS_SU_SV_SZ_EES10_S11_S12_S13_S17_S18_S19_S1C_S1D_jS1E_jS1F_S1F_jjS1H_bEUljE0_EEES10_S11_S12_S19_S1D_S1F_T6_T7_T9_mT8_S1H_bDpT10_ENKUlT_T0_E_clISt17integral_constantIbLb0EES1U_IbLb1EEEEDaS1Q_S1R_EUlS1Q_E_NS1_11comp_targetILNS1_3genE4ELNS1_11target_archE910ELNS1_3gpuE8ELNS1_3repE0EEENS1_30default_config_static_selectorELNS0_4arch9wavefront6targetE1EEEvS13_.kd
    .uniform_work_group_size: 1
    .uses_dynamic_stack: false
    .vgpr_count:     0
    .vgpr_spill_count: 0
    .wavefront_size: 64
  - .args:
      - .offset:         0
        .size:           184
        .value_kind:     by_value
    .group_segment_fixed_size: 0
    .kernarg_segment_align: 8
    .kernarg_segment_size: 184
    .language:       OpenCL C
    .language_version:
      - 2
      - 0
    .max_flat_workgroup_size: 256
    .name:           _ZN7rocprim17ROCPRIM_400000_NS6detail17trampoline_kernelINS0_13select_configILj256ELj13ELNS0_17block_load_methodE3ELS4_3ELS4_3ELNS0_20block_scan_algorithmE0ELj4294967295EEENS1_25partition_config_selectorILNS1_17partition_subalgoE4EjNS0_10empty_typeEbEEZZNS1_14partition_implILS8_4ELb0ES6_15HIP_vector_typeIjLj2EENS0_17counting_iteratorIjlEEPS9_SG_NS0_5tupleIJPjSI_NS0_16reverse_iteratorISI_EEEEENSH_IJSG_SG_SG_EEES9_SI_JZNS1_25segmented_radix_sort_implINS0_14default_configELb1EPK12hip_bfloat16PSP_PKlPlN2at6native12_GLOBAL__N_18offset_tEEE10hipError_tPvRmT1_PNSt15iterator_traitsIS13_E10value_typeET2_T3_PNS14_IS19_E10value_typeET4_jRbjT5_S1F_jjP12ihipStream_tbEUljE_ZNSN_ISO_Lb1ESR_SS_SU_SV_SZ_EES10_S11_S12_S13_S17_S18_S19_S1C_S1D_jS1E_jS1F_S1F_jjS1H_bEUljE0_EEES10_S11_S12_S19_S1D_S1F_T6_T7_T9_mT8_S1H_bDpT10_ENKUlT_T0_E_clISt17integral_constantIbLb0EES1U_IbLb1EEEEDaS1Q_S1R_EUlS1Q_E_NS1_11comp_targetILNS1_3genE3ELNS1_11target_archE908ELNS1_3gpuE7ELNS1_3repE0EEENS1_30default_config_static_selectorELNS0_4arch9wavefront6targetE1EEEvS13_
    .private_segment_fixed_size: 0
    .sgpr_count:     4
    .sgpr_spill_count: 0
    .symbol:         _ZN7rocprim17ROCPRIM_400000_NS6detail17trampoline_kernelINS0_13select_configILj256ELj13ELNS0_17block_load_methodE3ELS4_3ELS4_3ELNS0_20block_scan_algorithmE0ELj4294967295EEENS1_25partition_config_selectorILNS1_17partition_subalgoE4EjNS0_10empty_typeEbEEZZNS1_14partition_implILS8_4ELb0ES6_15HIP_vector_typeIjLj2EENS0_17counting_iteratorIjlEEPS9_SG_NS0_5tupleIJPjSI_NS0_16reverse_iteratorISI_EEEEENSH_IJSG_SG_SG_EEES9_SI_JZNS1_25segmented_radix_sort_implINS0_14default_configELb1EPK12hip_bfloat16PSP_PKlPlN2at6native12_GLOBAL__N_18offset_tEEE10hipError_tPvRmT1_PNSt15iterator_traitsIS13_E10value_typeET2_T3_PNS14_IS19_E10value_typeET4_jRbjT5_S1F_jjP12ihipStream_tbEUljE_ZNSN_ISO_Lb1ESR_SS_SU_SV_SZ_EES10_S11_S12_S13_S17_S18_S19_S1C_S1D_jS1E_jS1F_S1F_jjS1H_bEUljE0_EEES10_S11_S12_S19_S1D_S1F_T6_T7_T9_mT8_S1H_bDpT10_ENKUlT_T0_E_clISt17integral_constantIbLb0EES1U_IbLb1EEEEDaS1Q_S1R_EUlS1Q_E_NS1_11comp_targetILNS1_3genE3ELNS1_11target_archE908ELNS1_3gpuE7ELNS1_3repE0EEENS1_30default_config_static_selectorELNS0_4arch9wavefront6targetE1EEEvS13_.kd
    .uniform_work_group_size: 1
    .uses_dynamic_stack: false
    .vgpr_count:     0
    .vgpr_spill_count: 0
    .wavefront_size: 64
  - .args:
      - .offset:         0
        .size:           184
        .value_kind:     by_value
    .group_segment_fixed_size: 13328
    .kernarg_segment_align: 8
    .kernarg_segment_size: 184
    .language:       OpenCL C
    .language_version:
      - 2
      - 0
    .max_flat_workgroup_size: 256
    .name:           _ZN7rocprim17ROCPRIM_400000_NS6detail17trampoline_kernelINS0_13select_configILj256ELj13ELNS0_17block_load_methodE3ELS4_3ELS4_3ELNS0_20block_scan_algorithmE0ELj4294967295EEENS1_25partition_config_selectorILNS1_17partition_subalgoE4EjNS0_10empty_typeEbEEZZNS1_14partition_implILS8_4ELb0ES6_15HIP_vector_typeIjLj2EENS0_17counting_iteratorIjlEEPS9_SG_NS0_5tupleIJPjSI_NS0_16reverse_iteratorISI_EEEEENSH_IJSG_SG_SG_EEES9_SI_JZNS1_25segmented_radix_sort_implINS0_14default_configELb1EPK12hip_bfloat16PSP_PKlPlN2at6native12_GLOBAL__N_18offset_tEEE10hipError_tPvRmT1_PNSt15iterator_traitsIS13_E10value_typeET2_T3_PNS14_IS19_E10value_typeET4_jRbjT5_S1F_jjP12ihipStream_tbEUljE_ZNSN_ISO_Lb1ESR_SS_SU_SV_SZ_EES10_S11_S12_S13_S17_S18_S19_S1C_S1D_jS1E_jS1F_S1F_jjS1H_bEUljE0_EEES10_S11_S12_S19_S1D_S1F_T6_T7_T9_mT8_S1H_bDpT10_ENKUlT_T0_E_clISt17integral_constantIbLb0EES1U_IbLb1EEEEDaS1Q_S1R_EUlS1Q_E_NS1_11comp_targetILNS1_3genE2ELNS1_11target_archE906ELNS1_3gpuE6ELNS1_3repE0EEENS1_30default_config_static_selectorELNS0_4arch9wavefront6targetE1EEEvS13_
    .private_segment_fixed_size: 0
    .sgpr_count:     91
    .sgpr_spill_count: 0
    .symbol:         _ZN7rocprim17ROCPRIM_400000_NS6detail17trampoline_kernelINS0_13select_configILj256ELj13ELNS0_17block_load_methodE3ELS4_3ELS4_3ELNS0_20block_scan_algorithmE0ELj4294967295EEENS1_25partition_config_selectorILNS1_17partition_subalgoE4EjNS0_10empty_typeEbEEZZNS1_14partition_implILS8_4ELb0ES6_15HIP_vector_typeIjLj2EENS0_17counting_iteratorIjlEEPS9_SG_NS0_5tupleIJPjSI_NS0_16reverse_iteratorISI_EEEEENSH_IJSG_SG_SG_EEES9_SI_JZNS1_25segmented_radix_sort_implINS0_14default_configELb1EPK12hip_bfloat16PSP_PKlPlN2at6native12_GLOBAL__N_18offset_tEEE10hipError_tPvRmT1_PNSt15iterator_traitsIS13_E10value_typeET2_T3_PNS14_IS19_E10value_typeET4_jRbjT5_S1F_jjP12ihipStream_tbEUljE_ZNSN_ISO_Lb1ESR_SS_SU_SV_SZ_EES10_S11_S12_S13_S17_S18_S19_S1C_S1D_jS1E_jS1F_S1F_jjS1H_bEUljE0_EEES10_S11_S12_S19_S1D_S1F_T6_T7_T9_mT8_S1H_bDpT10_ENKUlT_T0_E_clISt17integral_constantIbLb0EES1U_IbLb1EEEEDaS1Q_S1R_EUlS1Q_E_NS1_11comp_targetILNS1_3genE2ELNS1_11target_archE906ELNS1_3gpuE6ELNS1_3repE0EEENS1_30default_config_static_selectorELNS0_4arch9wavefront6targetE1EEEvS13_.kd
    .uniform_work_group_size: 1
    .uses_dynamic_stack: false
    .vgpr_count:     91
    .vgpr_spill_count: 0
    .wavefront_size: 64
  - .args:
      - .offset:         0
        .size:           184
        .value_kind:     by_value
    .group_segment_fixed_size: 0
    .kernarg_segment_align: 8
    .kernarg_segment_size: 184
    .language:       OpenCL C
    .language_version:
      - 2
      - 0
    .max_flat_workgroup_size: 256
    .name:           _ZN7rocprim17ROCPRIM_400000_NS6detail17trampoline_kernelINS0_13select_configILj256ELj13ELNS0_17block_load_methodE3ELS4_3ELS4_3ELNS0_20block_scan_algorithmE0ELj4294967295EEENS1_25partition_config_selectorILNS1_17partition_subalgoE4EjNS0_10empty_typeEbEEZZNS1_14partition_implILS8_4ELb0ES6_15HIP_vector_typeIjLj2EENS0_17counting_iteratorIjlEEPS9_SG_NS0_5tupleIJPjSI_NS0_16reverse_iteratorISI_EEEEENSH_IJSG_SG_SG_EEES9_SI_JZNS1_25segmented_radix_sort_implINS0_14default_configELb1EPK12hip_bfloat16PSP_PKlPlN2at6native12_GLOBAL__N_18offset_tEEE10hipError_tPvRmT1_PNSt15iterator_traitsIS13_E10value_typeET2_T3_PNS14_IS19_E10value_typeET4_jRbjT5_S1F_jjP12ihipStream_tbEUljE_ZNSN_ISO_Lb1ESR_SS_SU_SV_SZ_EES10_S11_S12_S13_S17_S18_S19_S1C_S1D_jS1E_jS1F_S1F_jjS1H_bEUljE0_EEES10_S11_S12_S19_S1D_S1F_T6_T7_T9_mT8_S1H_bDpT10_ENKUlT_T0_E_clISt17integral_constantIbLb0EES1U_IbLb1EEEEDaS1Q_S1R_EUlS1Q_E_NS1_11comp_targetILNS1_3genE10ELNS1_11target_archE1200ELNS1_3gpuE4ELNS1_3repE0EEENS1_30default_config_static_selectorELNS0_4arch9wavefront6targetE1EEEvS13_
    .private_segment_fixed_size: 0
    .sgpr_count:     4
    .sgpr_spill_count: 0
    .symbol:         _ZN7rocprim17ROCPRIM_400000_NS6detail17trampoline_kernelINS0_13select_configILj256ELj13ELNS0_17block_load_methodE3ELS4_3ELS4_3ELNS0_20block_scan_algorithmE0ELj4294967295EEENS1_25partition_config_selectorILNS1_17partition_subalgoE4EjNS0_10empty_typeEbEEZZNS1_14partition_implILS8_4ELb0ES6_15HIP_vector_typeIjLj2EENS0_17counting_iteratorIjlEEPS9_SG_NS0_5tupleIJPjSI_NS0_16reverse_iteratorISI_EEEEENSH_IJSG_SG_SG_EEES9_SI_JZNS1_25segmented_radix_sort_implINS0_14default_configELb1EPK12hip_bfloat16PSP_PKlPlN2at6native12_GLOBAL__N_18offset_tEEE10hipError_tPvRmT1_PNSt15iterator_traitsIS13_E10value_typeET2_T3_PNS14_IS19_E10value_typeET4_jRbjT5_S1F_jjP12ihipStream_tbEUljE_ZNSN_ISO_Lb1ESR_SS_SU_SV_SZ_EES10_S11_S12_S13_S17_S18_S19_S1C_S1D_jS1E_jS1F_S1F_jjS1H_bEUljE0_EEES10_S11_S12_S19_S1D_S1F_T6_T7_T9_mT8_S1H_bDpT10_ENKUlT_T0_E_clISt17integral_constantIbLb0EES1U_IbLb1EEEEDaS1Q_S1R_EUlS1Q_E_NS1_11comp_targetILNS1_3genE10ELNS1_11target_archE1200ELNS1_3gpuE4ELNS1_3repE0EEENS1_30default_config_static_selectorELNS0_4arch9wavefront6targetE1EEEvS13_.kd
    .uniform_work_group_size: 1
    .uses_dynamic_stack: false
    .vgpr_count:     0
    .vgpr_spill_count: 0
    .wavefront_size: 64
  - .args:
      - .offset:         0
        .size:           184
        .value_kind:     by_value
    .group_segment_fixed_size: 0
    .kernarg_segment_align: 8
    .kernarg_segment_size: 184
    .language:       OpenCL C
    .language_version:
      - 2
      - 0
    .max_flat_workgroup_size: 256
    .name:           _ZN7rocprim17ROCPRIM_400000_NS6detail17trampoline_kernelINS0_13select_configILj256ELj13ELNS0_17block_load_methodE3ELS4_3ELS4_3ELNS0_20block_scan_algorithmE0ELj4294967295EEENS1_25partition_config_selectorILNS1_17partition_subalgoE4EjNS0_10empty_typeEbEEZZNS1_14partition_implILS8_4ELb0ES6_15HIP_vector_typeIjLj2EENS0_17counting_iteratorIjlEEPS9_SG_NS0_5tupleIJPjSI_NS0_16reverse_iteratorISI_EEEEENSH_IJSG_SG_SG_EEES9_SI_JZNS1_25segmented_radix_sort_implINS0_14default_configELb1EPK12hip_bfloat16PSP_PKlPlN2at6native12_GLOBAL__N_18offset_tEEE10hipError_tPvRmT1_PNSt15iterator_traitsIS13_E10value_typeET2_T3_PNS14_IS19_E10value_typeET4_jRbjT5_S1F_jjP12ihipStream_tbEUljE_ZNSN_ISO_Lb1ESR_SS_SU_SV_SZ_EES10_S11_S12_S13_S17_S18_S19_S1C_S1D_jS1E_jS1F_S1F_jjS1H_bEUljE0_EEES10_S11_S12_S19_S1D_S1F_T6_T7_T9_mT8_S1H_bDpT10_ENKUlT_T0_E_clISt17integral_constantIbLb0EES1U_IbLb1EEEEDaS1Q_S1R_EUlS1Q_E_NS1_11comp_targetILNS1_3genE9ELNS1_11target_archE1100ELNS1_3gpuE3ELNS1_3repE0EEENS1_30default_config_static_selectorELNS0_4arch9wavefront6targetE1EEEvS13_
    .private_segment_fixed_size: 0
    .sgpr_count:     4
    .sgpr_spill_count: 0
    .symbol:         _ZN7rocprim17ROCPRIM_400000_NS6detail17trampoline_kernelINS0_13select_configILj256ELj13ELNS0_17block_load_methodE3ELS4_3ELS4_3ELNS0_20block_scan_algorithmE0ELj4294967295EEENS1_25partition_config_selectorILNS1_17partition_subalgoE4EjNS0_10empty_typeEbEEZZNS1_14partition_implILS8_4ELb0ES6_15HIP_vector_typeIjLj2EENS0_17counting_iteratorIjlEEPS9_SG_NS0_5tupleIJPjSI_NS0_16reverse_iteratorISI_EEEEENSH_IJSG_SG_SG_EEES9_SI_JZNS1_25segmented_radix_sort_implINS0_14default_configELb1EPK12hip_bfloat16PSP_PKlPlN2at6native12_GLOBAL__N_18offset_tEEE10hipError_tPvRmT1_PNSt15iterator_traitsIS13_E10value_typeET2_T3_PNS14_IS19_E10value_typeET4_jRbjT5_S1F_jjP12ihipStream_tbEUljE_ZNSN_ISO_Lb1ESR_SS_SU_SV_SZ_EES10_S11_S12_S13_S17_S18_S19_S1C_S1D_jS1E_jS1F_S1F_jjS1H_bEUljE0_EEES10_S11_S12_S19_S1D_S1F_T6_T7_T9_mT8_S1H_bDpT10_ENKUlT_T0_E_clISt17integral_constantIbLb0EES1U_IbLb1EEEEDaS1Q_S1R_EUlS1Q_E_NS1_11comp_targetILNS1_3genE9ELNS1_11target_archE1100ELNS1_3gpuE3ELNS1_3repE0EEENS1_30default_config_static_selectorELNS0_4arch9wavefront6targetE1EEEvS13_.kd
    .uniform_work_group_size: 1
    .uses_dynamic_stack: false
    .vgpr_count:     0
    .vgpr_spill_count: 0
    .wavefront_size: 64
  - .args:
      - .offset:         0
        .size:           184
        .value_kind:     by_value
    .group_segment_fixed_size: 0
    .kernarg_segment_align: 8
    .kernarg_segment_size: 184
    .language:       OpenCL C
    .language_version:
      - 2
      - 0
    .max_flat_workgroup_size: 256
    .name:           _ZN7rocprim17ROCPRIM_400000_NS6detail17trampoline_kernelINS0_13select_configILj256ELj13ELNS0_17block_load_methodE3ELS4_3ELS4_3ELNS0_20block_scan_algorithmE0ELj4294967295EEENS1_25partition_config_selectorILNS1_17partition_subalgoE4EjNS0_10empty_typeEbEEZZNS1_14partition_implILS8_4ELb0ES6_15HIP_vector_typeIjLj2EENS0_17counting_iteratorIjlEEPS9_SG_NS0_5tupleIJPjSI_NS0_16reverse_iteratorISI_EEEEENSH_IJSG_SG_SG_EEES9_SI_JZNS1_25segmented_radix_sort_implINS0_14default_configELb1EPK12hip_bfloat16PSP_PKlPlN2at6native12_GLOBAL__N_18offset_tEEE10hipError_tPvRmT1_PNSt15iterator_traitsIS13_E10value_typeET2_T3_PNS14_IS19_E10value_typeET4_jRbjT5_S1F_jjP12ihipStream_tbEUljE_ZNSN_ISO_Lb1ESR_SS_SU_SV_SZ_EES10_S11_S12_S13_S17_S18_S19_S1C_S1D_jS1E_jS1F_S1F_jjS1H_bEUljE0_EEES10_S11_S12_S19_S1D_S1F_T6_T7_T9_mT8_S1H_bDpT10_ENKUlT_T0_E_clISt17integral_constantIbLb0EES1U_IbLb1EEEEDaS1Q_S1R_EUlS1Q_E_NS1_11comp_targetILNS1_3genE8ELNS1_11target_archE1030ELNS1_3gpuE2ELNS1_3repE0EEENS1_30default_config_static_selectorELNS0_4arch9wavefront6targetE1EEEvS13_
    .private_segment_fixed_size: 0
    .sgpr_count:     4
    .sgpr_spill_count: 0
    .symbol:         _ZN7rocprim17ROCPRIM_400000_NS6detail17trampoline_kernelINS0_13select_configILj256ELj13ELNS0_17block_load_methodE3ELS4_3ELS4_3ELNS0_20block_scan_algorithmE0ELj4294967295EEENS1_25partition_config_selectorILNS1_17partition_subalgoE4EjNS0_10empty_typeEbEEZZNS1_14partition_implILS8_4ELb0ES6_15HIP_vector_typeIjLj2EENS0_17counting_iteratorIjlEEPS9_SG_NS0_5tupleIJPjSI_NS0_16reverse_iteratorISI_EEEEENSH_IJSG_SG_SG_EEES9_SI_JZNS1_25segmented_radix_sort_implINS0_14default_configELb1EPK12hip_bfloat16PSP_PKlPlN2at6native12_GLOBAL__N_18offset_tEEE10hipError_tPvRmT1_PNSt15iterator_traitsIS13_E10value_typeET2_T3_PNS14_IS19_E10value_typeET4_jRbjT5_S1F_jjP12ihipStream_tbEUljE_ZNSN_ISO_Lb1ESR_SS_SU_SV_SZ_EES10_S11_S12_S13_S17_S18_S19_S1C_S1D_jS1E_jS1F_S1F_jjS1H_bEUljE0_EEES10_S11_S12_S19_S1D_S1F_T6_T7_T9_mT8_S1H_bDpT10_ENKUlT_T0_E_clISt17integral_constantIbLb0EES1U_IbLb1EEEEDaS1Q_S1R_EUlS1Q_E_NS1_11comp_targetILNS1_3genE8ELNS1_11target_archE1030ELNS1_3gpuE2ELNS1_3repE0EEENS1_30default_config_static_selectorELNS0_4arch9wavefront6targetE1EEEvS13_.kd
    .uniform_work_group_size: 1
    .uses_dynamic_stack: false
    .vgpr_count:     0
    .vgpr_spill_count: 0
    .wavefront_size: 64
  - .args:
      - .offset:         0
        .size:           144
        .value_kind:     by_value
    .group_segment_fixed_size: 0
    .kernarg_segment_align: 8
    .kernarg_segment_size: 144
    .language:       OpenCL C
    .language_version:
      - 2
      - 0
    .max_flat_workgroup_size: 256
    .name:           _ZN7rocprim17ROCPRIM_400000_NS6detail17trampoline_kernelINS0_13select_configILj256ELj13ELNS0_17block_load_methodE3ELS4_3ELS4_3ELNS0_20block_scan_algorithmE0ELj4294967295EEENS1_25partition_config_selectorILNS1_17partition_subalgoE3EjNS0_10empty_typeEbEEZZNS1_14partition_implILS8_3ELb0ES6_jNS0_17counting_iteratorIjlEEPS9_SE_NS0_5tupleIJPjSE_EEENSF_IJSE_SE_EEES9_SG_JZNS1_25segmented_radix_sort_implINS0_14default_configELb1EPK12hip_bfloat16PSL_PKlPlN2at6native12_GLOBAL__N_18offset_tEEE10hipError_tPvRmT1_PNSt15iterator_traitsISZ_E10value_typeET2_T3_PNS10_IS15_E10value_typeET4_jRbjT5_S1B_jjP12ihipStream_tbEUljE_EEESW_SX_SY_S15_S19_S1B_T6_T7_T9_mT8_S1D_bDpT10_ENKUlT_T0_E_clISt17integral_constantIbLb0EES1Q_EEDaS1L_S1M_EUlS1L_E_NS1_11comp_targetILNS1_3genE0ELNS1_11target_archE4294967295ELNS1_3gpuE0ELNS1_3repE0EEENS1_30default_config_static_selectorELNS0_4arch9wavefront6targetE1EEEvSZ_
    .private_segment_fixed_size: 0
    .sgpr_count:     4
    .sgpr_spill_count: 0
    .symbol:         _ZN7rocprim17ROCPRIM_400000_NS6detail17trampoline_kernelINS0_13select_configILj256ELj13ELNS0_17block_load_methodE3ELS4_3ELS4_3ELNS0_20block_scan_algorithmE0ELj4294967295EEENS1_25partition_config_selectorILNS1_17partition_subalgoE3EjNS0_10empty_typeEbEEZZNS1_14partition_implILS8_3ELb0ES6_jNS0_17counting_iteratorIjlEEPS9_SE_NS0_5tupleIJPjSE_EEENSF_IJSE_SE_EEES9_SG_JZNS1_25segmented_radix_sort_implINS0_14default_configELb1EPK12hip_bfloat16PSL_PKlPlN2at6native12_GLOBAL__N_18offset_tEEE10hipError_tPvRmT1_PNSt15iterator_traitsISZ_E10value_typeET2_T3_PNS10_IS15_E10value_typeET4_jRbjT5_S1B_jjP12ihipStream_tbEUljE_EEESW_SX_SY_S15_S19_S1B_T6_T7_T9_mT8_S1D_bDpT10_ENKUlT_T0_E_clISt17integral_constantIbLb0EES1Q_EEDaS1L_S1M_EUlS1L_E_NS1_11comp_targetILNS1_3genE0ELNS1_11target_archE4294967295ELNS1_3gpuE0ELNS1_3repE0EEENS1_30default_config_static_selectorELNS0_4arch9wavefront6targetE1EEEvSZ_.kd
    .uniform_work_group_size: 1
    .uses_dynamic_stack: false
    .vgpr_count:     0
    .vgpr_spill_count: 0
    .wavefront_size: 64
  - .args:
      - .offset:         0
        .size:           144
        .value_kind:     by_value
    .group_segment_fixed_size: 0
    .kernarg_segment_align: 8
    .kernarg_segment_size: 144
    .language:       OpenCL C
    .language_version:
      - 2
      - 0
    .max_flat_workgroup_size: 256
    .name:           _ZN7rocprim17ROCPRIM_400000_NS6detail17trampoline_kernelINS0_13select_configILj256ELj13ELNS0_17block_load_methodE3ELS4_3ELS4_3ELNS0_20block_scan_algorithmE0ELj4294967295EEENS1_25partition_config_selectorILNS1_17partition_subalgoE3EjNS0_10empty_typeEbEEZZNS1_14partition_implILS8_3ELb0ES6_jNS0_17counting_iteratorIjlEEPS9_SE_NS0_5tupleIJPjSE_EEENSF_IJSE_SE_EEES9_SG_JZNS1_25segmented_radix_sort_implINS0_14default_configELb1EPK12hip_bfloat16PSL_PKlPlN2at6native12_GLOBAL__N_18offset_tEEE10hipError_tPvRmT1_PNSt15iterator_traitsISZ_E10value_typeET2_T3_PNS10_IS15_E10value_typeET4_jRbjT5_S1B_jjP12ihipStream_tbEUljE_EEESW_SX_SY_S15_S19_S1B_T6_T7_T9_mT8_S1D_bDpT10_ENKUlT_T0_E_clISt17integral_constantIbLb0EES1Q_EEDaS1L_S1M_EUlS1L_E_NS1_11comp_targetILNS1_3genE5ELNS1_11target_archE942ELNS1_3gpuE9ELNS1_3repE0EEENS1_30default_config_static_selectorELNS0_4arch9wavefront6targetE1EEEvSZ_
    .private_segment_fixed_size: 0
    .sgpr_count:     4
    .sgpr_spill_count: 0
    .symbol:         _ZN7rocprim17ROCPRIM_400000_NS6detail17trampoline_kernelINS0_13select_configILj256ELj13ELNS0_17block_load_methodE3ELS4_3ELS4_3ELNS0_20block_scan_algorithmE0ELj4294967295EEENS1_25partition_config_selectorILNS1_17partition_subalgoE3EjNS0_10empty_typeEbEEZZNS1_14partition_implILS8_3ELb0ES6_jNS0_17counting_iteratorIjlEEPS9_SE_NS0_5tupleIJPjSE_EEENSF_IJSE_SE_EEES9_SG_JZNS1_25segmented_radix_sort_implINS0_14default_configELb1EPK12hip_bfloat16PSL_PKlPlN2at6native12_GLOBAL__N_18offset_tEEE10hipError_tPvRmT1_PNSt15iterator_traitsISZ_E10value_typeET2_T3_PNS10_IS15_E10value_typeET4_jRbjT5_S1B_jjP12ihipStream_tbEUljE_EEESW_SX_SY_S15_S19_S1B_T6_T7_T9_mT8_S1D_bDpT10_ENKUlT_T0_E_clISt17integral_constantIbLb0EES1Q_EEDaS1L_S1M_EUlS1L_E_NS1_11comp_targetILNS1_3genE5ELNS1_11target_archE942ELNS1_3gpuE9ELNS1_3repE0EEENS1_30default_config_static_selectorELNS0_4arch9wavefront6targetE1EEEvSZ_.kd
    .uniform_work_group_size: 1
    .uses_dynamic_stack: false
    .vgpr_count:     0
    .vgpr_spill_count: 0
    .wavefront_size: 64
  - .args:
      - .offset:         0
        .size:           144
        .value_kind:     by_value
    .group_segment_fixed_size: 0
    .kernarg_segment_align: 8
    .kernarg_segment_size: 144
    .language:       OpenCL C
    .language_version:
      - 2
      - 0
    .max_flat_workgroup_size: 256
    .name:           _ZN7rocprim17ROCPRIM_400000_NS6detail17trampoline_kernelINS0_13select_configILj256ELj13ELNS0_17block_load_methodE3ELS4_3ELS4_3ELNS0_20block_scan_algorithmE0ELj4294967295EEENS1_25partition_config_selectorILNS1_17partition_subalgoE3EjNS0_10empty_typeEbEEZZNS1_14partition_implILS8_3ELb0ES6_jNS0_17counting_iteratorIjlEEPS9_SE_NS0_5tupleIJPjSE_EEENSF_IJSE_SE_EEES9_SG_JZNS1_25segmented_radix_sort_implINS0_14default_configELb1EPK12hip_bfloat16PSL_PKlPlN2at6native12_GLOBAL__N_18offset_tEEE10hipError_tPvRmT1_PNSt15iterator_traitsISZ_E10value_typeET2_T3_PNS10_IS15_E10value_typeET4_jRbjT5_S1B_jjP12ihipStream_tbEUljE_EEESW_SX_SY_S15_S19_S1B_T6_T7_T9_mT8_S1D_bDpT10_ENKUlT_T0_E_clISt17integral_constantIbLb0EES1Q_EEDaS1L_S1M_EUlS1L_E_NS1_11comp_targetILNS1_3genE4ELNS1_11target_archE910ELNS1_3gpuE8ELNS1_3repE0EEENS1_30default_config_static_selectorELNS0_4arch9wavefront6targetE1EEEvSZ_
    .private_segment_fixed_size: 0
    .sgpr_count:     4
    .sgpr_spill_count: 0
    .symbol:         _ZN7rocprim17ROCPRIM_400000_NS6detail17trampoline_kernelINS0_13select_configILj256ELj13ELNS0_17block_load_methodE3ELS4_3ELS4_3ELNS0_20block_scan_algorithmE0ELj4294967295EEENS1_25partition_config_selectorILNS1_17partition_subalgoE3EjNS0_10empty_typeEbEEZZNS1_14partition_implILS8_3ELb0ES6_jNS0_17counting_iteratorIjlEEPS9_SE_NS0_5tupleIJPjSE_EEENSF_IJSE_SE_EEES9_SG_JZNS1_25segmented_radix_sort_implINS0_14default_configELb1EPK12hip_bfloat16PSL_PKlPlN2at6native12_GLOBAL__N_18offset_tEEE10hipError_tPvRmT1_PNSt15iterator_traitsISZ_E10value_typeET2_T3_PNS10_IS15_E10value_typeET4_jRbjT5_S1B_jjP12ihipStream_tbEUljE_EEESW_SX_SY_S15_S19_S1B_T6_T7_T9_mT8_S1D_bDpT10_ENKUlT_T0_E_clISt17integral_constantIbLb0EES1Q_EEDaS1L_S1M_EUlS1L_E_NS1_11comp_targetILNS1_3genE4ELNS1_11target_archE910ELNS1_3gpuE8ELNS1_3repE0EEENS1_30default_config_static_selectorELNS0_4arch9wavefront6targetE1EEEvSZ_.kd
    .uniform_work_group_size: 1
    .uses_dynamic_stack: false
    .vgpr_count:     0
    .vgpr_spill_count: 0
    .wavefront_size: 64
  - .args:
      - .offset:         0
        .size:           144
        .value_kind:     by_value
    .group_segment_fixed_size: 0
    .kernarg_segment_align: 8
    .kernarg_segment_size: 144
    .language:       OpenCL C
    .language_version:
      - 2
      - 0
    .max_flat_workgroup_size: 256
    .name:           _ZN7rocprim17ROCPRIM_400000_NS6detail17trampoline_kernelINS0_13select_configILj256ELj13ELNS0_17block_load_methodE3ELS4_3ELS4_3ELNS0_20block_scan_algorithmE0ELj4294967295EEENS1_25partition_config_selectorILNS1_17partition_subalgoE3EjNS0_10empty_typeEbEEZZNS1_14partition_implILS8_3ELb0ES6_jNS0_17counting_iteratorIjlEEPS9_SE_NS0_5tupleIJPjSE_EEENSF_IJSE_SE_EEES9_SG_JZNS1_25segmented_radix_sort_implINS0_14default_configELb1EPK12hip_bfloat16PSL_PKlPlN2at6native12_GLOBAL__N_18offset_tEEE10hipError_tPvRmT1_PNSt15iterator_traitsISZ_E10value_typeET2_T3_PNS10_IS15_E10value_typeET4_jRbjT5_S1B_jjP12ihipStream_tbEUljE_EEESW_SX_SY_S15_S19_S1B_T6_T7_T9_mT8_S1D_bDpT10_ENKUlT_T0_E_clISt17integral_constantIbLb0EES1Q_EEDaS1L_S1M_EUlS1L_E_NS1_11comp_targetILNS1_3genE3ELNS1_11target_archE908ELNS1_3gpuE7ELNS1_3repE0EEENS1_30default_config_static_selectorELNS0_4arch9wavefront6targetE1EEEvSZ_
    .private_segment_fixed_size: 0
    .sgpr_count:     4
    .sgpr_spill_count: 0
    .symbol:         _ZN7rocprim17ROCPRIM_400000_NS6detail17trampoline_kernelINS0_13select_configILj256ELj13ELNS0_17block_load_methodE3ELS4_3ELS4_3ELNS0_20block_scan_algorithmE0ELj4294967295EEENS1_25partition_config_selectorILNS1_17partition_subalgoE3EjNS0_10empty_typeEbEEZZNS1_14partition_implILS8_3ELb0ES6_jNS0_17counting_iteratorIjlEEPS9_SE_NS0_5tupleIJPjSE_EEENSF_IJSE_SE_EEES9_SG_JZNS1_25segmented_radix_sort_implINS0_14default_configELb1EPK12hip_bfloat16PSL_PKlPlN2at6native12_GLOBAL__N_18offset_tEEE10hipError_tPvRmT1_PNSt15iterator_traitsISZ_E10value_typeET2_T3_PNS10_IS15_E10value_typeET4_jRbjT5_S1B_jjP12ihipStream_tbEUljE_EEESW_SX_SY_S15_S19_S1B_T6_T7_T9_mT8_S1D_bDpT10_ENKUlT_T0_E_clISt17integral_constantIbLb0EES1Q_EEDaS1L_S1M_EUlS1L_E_NS1_11comp_targetILNS1_3genE3ELNS1_11target_archE908ELNS1_3gpuE7ELNS1_3repE0EEENS1_30default_config_static_selectorELNS0_4arch9wavefront6targetE1EEEvSZ_.kd
    .uniform_work_group_size: 1
    .uses_dynamic_stack: false
    .vgpr_count:     0
    .vgpr_spill_count: 0
    .wavefront_size: 64
  - .args:
      - .offset:         0
        .size:           144
        .value_kind:     by_value
    .group_segment_fixed_size: 13320
    .kernarg_segment_align: 8
    .kernarg_segment_size: 144
    .language:       OpenCL C
    .language_version:
      - 2
      - 0
    .max_flat_workgroup_size: 256
    .name:           _ZN7rocprim17ROCPRIM_400000_NS6detail17trampoline_kernelINS0_13select_configILj256ELj13ELNS0_17block_load_methodE3ELS4_3ELS4_3ELNS0_20block_scan_algorithmE0ELj4294967295EEENS1_25partition_config_selectorILNS1_17partition_subalgoE3EjNS0_10empty_typeEbEEZZNS1_14partition_implILS8_3ELb0ES6_jNS0_17counting_iteratorIjlEEPS9_SE_NS0_5tupleIJPjSE_EEENSF_IJSE_SE_EEES9_SG_JZNS1_25segmented_radix_sort_implINS0_14default_configELb1EPK12hip_bfloat16PSL_PKlPlN2at6native12_GLOBAL__N_18offset_tEEE10hipError_tPvRmT1_PNSt15iterator_traitsISZ_E10value_typeET2_T3_PNS10_IS15_E10value_typeET4_jRbjT5_S1B_jjP12ihipStream_tbEUljE_EEESW_SX_SY_S15_S19_S1B_T6_T7_T9_mT8_S1D_bDpT10_ENKUlT_T0_E_clISt17integral_constantIbLb0EES1Q_EEDaS1L_S1M_EUlS1L_E_NS1_11comp_targetILNS1_3genE2ELNS1_11target_archE906ELNS1_3gpuE6ELNS1_3repE0EEENS1_30default_config_static_selectorELNS0_4arch9wavefront6targetE1EEEvSZ_
    .private_segment_fixed_size: 0
    .sgpr_count:     52
    .sgpr_spill_count: 0
    .symbol:         _ZN7rocprim17ROCPRIM_400000_NS6detail17trampoline_kernelINS0_13select_configILj256ELj13ELNS0_17block_load_methodE3ELS4_3ELS4_3ELNS0_20block_scan_algorithmE0ELj4294967295EEENS1_25partition_config_selectorILNS1_17partition_subalgoE3EjNS0_10empty_typeEbEEZZNS1_14partition_implILS8_3ELb0ES6_jNS0_17counting_iteratorIjlEEPS9_SE_NS0_5tupleIJPjSE_EEENSF_IJSE_SE_EEES9_SG_JZNS1_25segmented_radix_sort_implINS0_14default_configELb1EPK12hip_bfloat16PSL_PKlPlN2at6native12_GLOBAL__N_18offset_tEEE10hipError_tPvRmT1_PNSt15iterator_traitsISZ_E10value_typeET2_T3_PNS10_IS15_E10value_typeET4_jRbjT5_S1B_jjP12ihipStream_tbEUljE_EEESW_SX_SY_S15_S19_S1B_T6_T7_T9_mT8_S1D_bDpT10_ENKUlT_T0_E_clISt17integral_constantIbLb0EES1Q_EEDaS1L_S1M_EUlS1L_E_NS1_11comp_targetILNS1_3genE2ELNS1_11target_archE906ELNS1_3gpuE6ELNS1_3repE0EEENS1_30default_config_static_selectorELNS0_4arch9wavefront6targetE1EEEvSZ_.kd
    .uniform_work_group_size: 1
    .uses_dynamic_stack: false
    .vgpr_count:     69
    .vgpr_spill_count: 0
    .wavefront_size: 64
  - .args:
      - .offset:         0
        .size:           144
        .value_kind:     by_value
    .group_segment_fixed_size: 0
    .kernarg_segment_align: 8
    .kernarg_segment_size: 144
    .language:       OpenCL C
    .language_version:
      - 2
      - 0
    .max_flat_workgroup_size: 256
    .name:           _ZN7rocprim17ROCPRIM_400000_NS6detail17trampoline_kernelINS0_13select_configILj256ELj13ELNS0_17block_load_methodE3ELS4_3ELS4_3ELNS0_20block_scan_algorithmE0ELj4294967295EEENS1_25partition_config_selectorILNS1_17partition_subalgoE3EjNS0_10empty_typeEbEEZZNS1_14partition_implILS8_3ELb0ES6_jNS0_17counting_iteratorIjlEEPS9_SE_NS0_5tupleIJPjSE_EEENSF_IJSE_SE_EEES9_SG_JZNS1_25segmented_radix_sort_implINS0_14default_configELb1EPK12hip_bfloat16PSL_PKlPlN2at6native12_GLOBAL__N_18offset_tEEE10hipError_tPvRmT1_PNSt15iterator_traitsISZ_E10value_typeET2_T3_PNS10_IS15_E10value_typeET4_jRbjT5_S1B_jjP12ihipStream_tbEUljE_EEESW_SX_SY_S15_S19_S1B_T6_T7_T9_mT8_S1D_bDpT10_ENKUlT_T0_E_clISt17integral_constantIbLb0EES1Q_EEDaS1L_S1M_EUlS1L_E_NS1_11comp_targetILNS1_3genE10ELNS1_11target_archE1200ELNS1_3gpuE4ELNS1_3repE0EEENS1_30default_config_static_selectorELNS0_4arch9wavefront6targetE1EEEvSZ_
    .private_segment_fixed_size: 0
    .sgpr_count:     4
    .sgpr_spill_count: 0
    .symbol:         _ZN7rocprim17ROCPRIM_400000_NS6detail17trampoline_kernelINS0_13select_configILj256ELj13ELNS0_17block_load_methodE3ELS4_3ELS4_3ELNS0_20block_scan_algorithmE0ELj4294967295EEENS1_25partition_config_selectorILNS1_17partition_subalgoE3EjNS0_10empty_typeEbEEZZNS1_14partition_implILS8_3ELb0ES6_jNS0_17counting_iteratorIjlEEPS9_SE_NS0_5tupleIJPjSE_EEENSF_IJSE_SE_EEES9_SG_JZNS1_25segmented_radix_sort_implINS0_14default_configELb1EPK12hip_bfloat16PSL_PKlPlN2at6native12_GLOBAL__N_18offset_tEEE10hipError_tPvRmT1_PNSt15iterator_traitsISZ_E10value_typeET2_T3_PNS10_IS15_E10value_typeET4_jRbjT5_S1B_jjP12ihipStream_tbEUljE_EEESW_SX_SY_S15_S19_S1B_T6_T7_T9_mT8_S1D_bDpT10_ENKUlT_T0_E_clISt17integral_constantIbLb0EES1Q_EEDaS1L_S1M_EUlS1L_E_NS1_11comp_targetILNS1_3genE10ELNS1_11target_archE1200ELNS1_3gpuE4ELNS1_3repE0EEENS1_30default_config_static_selectorELNS0_4arch9wavefront6targetE1EEEvSZ_.kd
    .uniform_work_group_size: 1
    .uses_dynamic_stack: false
    .vgpr_count:     0
    .vgpr_spill_count: 0
    .wavefront_size: 64
  - .args:
      - .offset:         0
        .size:           144
        .value_kind:     by_value
    .group_segment_fixed_size: 0
    .kernarg_segment_align: 8
    .kernarg_segment_size: 144
    .language:       OpenCL C
    .language_version:
      - 2
      - 0
    .max_flat_workgroup_size: 256
    .name:           _ZN7rocprim17ROCPRIM_400000_NS6detail17trampoline_kernelINS0_13select_configILj256ELj13ELNS0_17block_load_methodE3ELS4_3ELS4_3ELNS0_20block_scan_algorithmE0ELj4294967295EEENS1_25partition_config_selectorILNS1_17partition_subalgoE3EjNS0_10empty_typeEbEEZZNS1_14partition_implILS8_3ELb0ES6_jNS0_17counting_iteratorIjlEEPS9_SE_NS0_5tupleIJPjSE_EEENSF_IJSE_SE_EEES9_SG_JZNS1_25segmented_radix_sort_implINS0_14default_configELb1EPK12hip_bfloat16PSL_PKlPlN2at6native12_GLOBAL__N_18offset_tEEE10hipError_tPvRmT1_PNSt15iterator_traitsISZ_E10value_typeET2_T3_PNS10_IS15_E10value_typeET4_jRbjT5_S1B_jjP12ihipStream_tbEUljE_EEESW_SX_SY_S15_S19_S1B_T6_T7_T9_mT8_S1D_bDpT10_ENKUlT_T0_E_clISt17integral_constantIbLb0EES1Q_EEDaS1L_S1M_EUlS1L_E_NS1_11comp_targetILNS1_3genE9ELNS1_11target_archE1100ELNS1_3gpuE3ELNS1_3repE0EEENS1_30default_config_static_selectorELNS0_4arch9wavefront6targetE1EEEvSZ_
    .private_segment_fixed_size: 0
    .sgpr_count:     4
    .sgpr_spill_count: 0
    .symbol:         _ZN7rocprim17ROCPRIM_400000_NS6detail17trampoline_kernelINS0_13select_configILj256ELj13ELNS0_17block_load_methodE3ELS4_3ELS4_3ELNS0_20block_scan_algorithmE0ELj4294967295EEENS1_25partition_config_selectorILNS1_17partition_subalgoE3EjNS0_10empty_typeEbEEZZNS1_14partition_implILS8_3ELb0ES6_jNS0_17counting_iteratorIjlEEPS9_SE_NS0_5tupleIJPjSE_EEENSF_IJSE_SE_EEES9_SG_JZNS1_25segmented_radix_sort_implINS0_14default_configELb1EPK12hip_bfloat16PSL_PKlPlN2at6native12_GLOBAL__N_18offset_tEEE10hipError_tPvRmT1_PNSt15iterator_traitsISZ_E10value_typeET2_T3_PNS10_IS15_E10value_typeET4_jRbjT5_S1B_jjP12ihipStream_tbEUljE_EEESW_SX_SY_S15_S19_S1B_T6_T7_T9_mT8_S1D_bDpT10_ENKUlT_T0_E_clISt17integral_constantIbLb0EES1Q_EEDaS1L_S1M_EUlS1L_E_NS1_11comp_targetILNS1_3genE9ELNS1_11target_archE1100ELNS1_3gpuE3ELNS1_3repE0EEENS1_30default_config_static_selectorELNS0_4arch9wavefront6targetE1EEEvSZ_.kd
    .uniform_work_group_size: 1
    .uses_dynamic_stack: false
    .vgpr_count:     0
    .vgpr_spill_count: 0
    .wavefront_size: 64
  - .args:
      - .offset:         0
        .size:           144
        .value_kind:     by_value
    .group_segment_fixed_size: 0
    .kernarg_segment_align: 8
    .kernarg_segment_size: 144
    .language:       OpenCL C
    .language_version:
      - 2
      - 0
    .max_flat_workgroup_size: 256
    .name:           _ZN7rocprim17ROCPRIM_400000_NS6detail17trampoline_kernelINS0_13select_configILj256ELj13ELNS0_17block_load_methodE3ELS4_3ELS4_3ELNS0_20block_scan_algorithmE0ELj4294967295EEENS1_25partition_config_selectorILNS1_17partition_subalgoE3EjNS0_10empty_typeEbEEZZNS1_14partition_implILS8_3ELb0ES6_jNS0_17counting_iteratorIjlEEPS9_SE_NS0_5tupleIJPjSE_EEENSF_IJSE_SE_EEES9_SG_JZNS1_25segmented_radix_sort_implINS0_14default_configELb1EPK12hip_bfloat16PSL_PKlPlN2at6native12_GLOBAL__N_18offset_tEEE10hipError_tPvRmT1_PNSt15iterator_traitsISZ_E10value_typeET2_T3_PNS10_IS15_E10value_typeET4_jRbjT5_S1B_jjP12ihipStream_tbEUljE_EEESW_SX_SY_S15_S19_S1B_T6_T7_T9_mT8_S1D_bDpT10_ENKUlT_T0_E_clISt17integral_constantIbLb0EES1Q_EEDaS1L_S1M_EUlS1L_E_NS1_11comp_targetILNS1_3genE8ELNS1_11target_archE1030ELNS1_3gpuE2ELNS1_3repE0EEENS1_30default_config_static_selectorELNS0_4arch9wavefront6targetE1EEEvSZ_
    .private_segment_fixed_size: 0
    .sgpr_count:     4
    .sgpr_spill_count: 0
    .symbol:         _ZN7rocprim17ROCPRIM_400000_NS6detail17trampoline_kernelINS0_13select_configILj256ELj13ELNS0_17block_load_methodE3ELS4_3ELS4_3ELNS0_20block_scan_algorithmE0ELj4294967295EEENS1_25partition_config_selectorILNS1_17partition_subalgoE3EjNS0_10empty_typeEbEEZZNS1_14partition_implILS8_3ELb0ES6_jNS0_17counting_iteratorIjlEEPS9_SE_NS0_5tupleIJPjSE_EEENSF_IJSE_SE_EEES9_SG_JZNS1_25segmented_radix_sort_implINS0_14default_configELb1EPK12hip_bfloat16PSL_PKlPlN2at6native12_GLOBAL__N_18offset_tEEE10hipError_tPvRmT1_PNSt15iterator_traitsISZ_E10value_typeET2_T3_PNS10_IS15_E10value_typeET4_jRbjT5_S1B_jjP12ihipStream_tbEUljE_EEESW_SX_SY_S15_S19_S1B_T6_T7_T9_mT8_S1D_bDpT10_ENKUlT_T0_E_clISt17integral_constantIbLb0EES1Q_EEDaS1L_S1M_EUlS1L_E_NS1_11comp_targetILNS1_3genE8ELNS1_11target_archE1030ELNS1_3gpuE2ELNS1_3repE0EEENS1_30default_config_static_selectorELNS0_4arch9wavefront6targetE1EEEvSZ_.kd
    .uniform_work_group_size: 1
    .uses_dynamic_stack: false
    .vgpr_count:     0
    .vgpr_spill_count: 0
    .wavefront_size: 64
  - .args:
      - .offset:         0
        .size:           152
        .value_kind:     by_value
    .group_segment_fixed_size: 0
    .kernarg_segment_align: 8
    .kernarg_segment_size: 152
    .language:       OpenCL C
    .language_version:
      - 2
      - 0
    .max_flat_workgroup_size: 256
    .name:           _ZN7rocprim17ROCPRIM_400000_NS6detail17trampoline_kernelINS0_13select_configILj256ELj13ELNS0_17block_load_methodE3ELS4_3ELS4_3ELNS0_20block_scan_algorithmE0ELj4294967295EEENS1_25partition_config_selectorILNS1_17partition_subalgoE3EjNS0_10empty_typeEbEEZZNS1_14partition_implILS8_3ELb0ES6_jNS0_17counting_iteratorIjlEEPS9_SE_NS0_5tupleIJPjSE_EEENSF_IJSE_SE_EEES9_SG_JZNS1_25segmented_radix_sort_implINS0_14default_configELb1EPK12hip_bfloat16PSL_PKlPlN2at6native12_GLOBAL__N_18offset_tEEE10hipError_tPvRmT1_PNSt15iterator_traitsISZ_E10value_typeET2_T3_PNS10_IS15_E10value_typeET4_jRbjT5_S1B_jjP12ihipStream_tbEUljE_EEESW_SX_SY_S15_S19_S1B_T6_T7_T9_mT8_S1D_bDpT10_ENKUlT_T0_E_clISt17integral_constantIbLb1EES1Q_EEDaS1L_S1M_EUlS1L_E_NS1_11comp_targetILNS1_3genE0ELNS1_11target_archE4294967295ELNS1_3gpuE0ELNS1_3repE0EEENS1_30default_config_static_selectorELNS0_4arch9wavefront6targetE1EEEvSZ_
    .private_segment_fixed_size: 0
    .sgpr_count:     4
    .sgpr_spill_count: 0
    .symbol:         _ZN7rocprim17ROCPRIM_400000_NS6detail17trampoline_kernelINS0_13select_configILj256ELj13ELNS0_17block_load_methodE3ELS4_3ELS4_3ELNS0_20block_scan_algorithmE0ELj4294967295EEENS1_25partition_config_selectorILNS1_17partition_subalgoE3EjNS0_10empty_typeEbEEZZNS1_14partition_implILS8_3ELb0ES6_jNS0_17counting_iteratorIjlEEPS9_SE_NS0_5tupleIJPjSE_EEENSF_IJSE_SE_EEES9_SG_JZNS1_25segmented_radix_sort_implINS0_14default_configELb1EPK12hip_bfloat16PSL_PKlPlN2at6native12_GLOBAL__N_18offset_tEEE10hipError_tPvRmT1_PNSt15iterator_traitsISZ_E10value_typeET2_T3_PNS10_IS15_E10value_typeET4_jRbjT5_S1B_jjP12ihipStream_tbEUljE_EEESW_SX_SY_S15_S19_S1B_T6_T7_T9_mT8_S1D_bDpT10_ENKUlT_T0_E_clISt17integral_constantIbLb1EES1Q_EEDaS1L_S1M_EUlS1L_E_NS1_11comp_targetILNS1_3genE0ELNS1_11target_archE4294967295ELNS1_3gpuE0ELNS1_3repE0EEENS1_30default_config_static_selectorELNS0_4arch9wavefront6targetE1EEEvSZ_.kd
    .uniform_work_group_size: 1
    .uses_dynamic_stack: false
    .vgpr_count:     0
    .vgpr_spill_count: 0
    .wavefront_size: 64
  - .args:
      - .offset:         0
        .size:           152
        .value_kind:     by_value
    .group_segment_fixed_size: 0
    .kernarg_segment_align: 8
    .kernarg_segment_size: 152
    .language:       OpenCL C
    .language_version:
      - 2
      - 0
    .max_flat_workgroup_size: 256
    .name:           _ZN7rocprim17ROCPRIM_400000_NS6detail17trampoline_kernelINS0_13select_configILj256ELj13ELNS0_17block_load_methodE3ELS4_3ELS4_3ELNS0_20block_scan_algorithmE0ELj4294967295EEENS1_25partition_config_selectorILNS1_17partition_subalgoE3EjNS0_10empty_typeEbEEZZNS1_14partition_implILS8_3ELb0ES6_jNS0_17counting_iteratorIjlEEPS9_SE_NS0_5tupleIJPjSE_EEENSF_IJSE_SE_EEES9_SG_JZNS1_25segmented_radix_sort_implINS0_14default_configELb1EPK12hip_bfloat16PSL_PKlPlN2at6native12_GLOBAL__N_18offset_tEEE10hipError_tPvRmT1_PNSt15iterator_traitsISZ_E10value_typeET2_T3_PNS10_IS15_E10value_typeET4_jRbjT5_S1B_jjP12ihipStream_tbEUljE_EEESW_SX_SY_S15_S19_S1B_T6_T7_T9_mT8_S1D_bDpT10_ENKUlT_T0_E_clISt17integral_constantIbLb1EES1Q_EEDaS1L_S1M_EUlS1L_E_NS1_11comp_targetILNS1_3genE5ELNS1_11target_archE942ELNS1_3gpuE9ELNS1_3repE0EEENS1_30default_config_static_selectorELNS0_4arch9wavefront6targetE1EEEvSZ_
    .private_segment_fixed_size: 0
    .sgpr_count:     4
    .sgpr_spill_count: 0
    .symbol:         _ZN7rocprim17ROCPRIM_400000_NS6detail17trampoline_kernelINS0_13select_configILj256ELj13ELNS0_17block_load_methodE3ELS4_3ELS4_3ELNS0_20block_scan_algorithmE0ELj4294967295EEENS1_25partition_config_selectorILNS1_17partition_subalgoE3EjNS0_10empty_typeEbEEZZNS1_14partition_implILS8_3ELb0ES6_jNS0_17counting_iteratorIjlEEPS9_SE_NS0_5tupleIJPjSE_EEENSF_IJSE_SE_EEES9_SG_JZNS1_25segmented_radix_sort_implINS0_14default_configELb1EPK12hip_bfloat16PSL_PKlPlN2at6native12_GLOBAL__N_18offset_tEEE10hipError_tPvRmT1_PNSt15iterator_traitsISZ_E10value_typeET2_T3_PNS10_IS15_E10value_typeET4_jRbjT5_S1B_jjP12ihipStream_tbEUljE_EEESW_SX_SY_S15_S19_S1B_T6_T7_T9_mT8_S1D_bDpT10_ENKUlT_T0_E_clISt17integral_constantIbLb1EES1Q_EEDaS1L_S1M_EUlS1L_E_NS1_11comp_targetILNS1_3genE5ELNS1_11target_archE942ELNS1_3gpuE9ELNS1_3repE0EEENS1_30default_config_static_selectorELNS0_4arch9wavefront6targetE1EEEvSZ_.kd
    .uniform_work_group_size: 1
    .uses_dynamic_stack: false
    .vgpr_count:     0
    .vgpr_spill_count: 0
    .wavefront_size: 64
  - .args:
      - .offset:         0
        .size:           152
        .value_kind:     by_value
    .group_segment_fixed_size: 0
    .kernarg_segment_align: 8
    .kernarg_segment_size: 152
    .language:       OpenCL C
    .language_version:
      - 2
      - 0
    .max_flat_workgroup_size: 256
    .name:           _ZN7rocprim17ROCPRIM_400000_NS6detail17trampoline_kernelINS0_13select_configILj256ELj13ELNS0_17block_load_methodE3ELS4_3ELS4_3ELNS0_20block_scan_algorithmE0ELj4294967295EEENS1_25partition_config_selectorILNS1_17partition_subalgoE3EjNS0_10empty_typeEbEEZZNS1_14partition_implILS8_3ELb0ES6_jNS0_17counting_iteratorIjlEEPS9_SE_NS0_5tupleIJPjSE_EEENSF_IJSE_SE_EEES9_SG_JZNS1_25segmented_radix_sort_implINS0_14default_configELb1EPK12hip_bfloat16PSL_PKlPlN2at6native12_GLOBAL__N_18offset_tEEE10hipError_tPvRmT1_PNSt15iterator_traitsISZ_E10value_typeET2_T3_PNS10_IS15_E10value_typeET4_jRbjT5_S1B_jjP12ihipStream_tbEUljE_EEESW_SX_SY_S15_S19_S1B_T6_T7_T9_mT8_S1D_bDpT10_ENKUlT_T0_E_clISt17integral_constantIbLb1EES1Q_EEDaS1L_S1M_EUlS1L_E_NS1_11comp_targetILNS1_3genE4ELNS1_11target_archE910ELNS1_3gpuE8ELNS1_3repE0EEENS1_30default_config_static_selectorELNS0_4arch9wavefront6targetE1EEEvSZ_
    .private_segment_fixed_size: 0
    .sgpr_count:     4
    .sgpr_spill_count: 0
    .symbol:         _ZN7rocprim17ROCPRIM_400000_NS6detail17trampoline_kernelINS0_13select_configILj256ELj13ELNS0_17block_load_methodE3ELS4_3ELS4_3ELNS0_20block_scan_algorithmE0ELj4294967295EEENS1_25partition_config_selectorILNS1_17partition_subalgoE3EjNS0_10empty_typeEbEEZZNS1_14partition_implILS8_3ELb0ES6_jNS0_17counting_iteratorIjlEEPS9_SE_NS0_5tupleIJPjSE_EEENSF_IJSE_SE_EEES9_SG_JZNS1_25segmented_radix_sort_implINS0_14default_configELb1EPK12hip_bfloat16PSL_PKlPlN2at6native12_GLOBAL__N_18offset_tEEE10hipError_tPvRmT1_PNSt15iterator_traitsISZ_E10value_typeET2_T3_PNS10_IS15_E10value_typeET4_jRbjT5_S1B_jjP12ihipStream_tbEUljE_EEESW_SX_SY_S15_S19_S1B_T6_T7_T9_mT8_S1D_bDpT10_ENKUlT_T0_E_clISt17integral_constantIbLb1EES1Q_EEDaS1L_S1M_EUlS1L_E_NS1_11comp_targetILNS1_3genE4ELNS1_11target_archE910ELNS1_3gpuE8ELNS1_3repE0EEENS1_30default_config_static_selectorELNS0_4arch9wavefront6targetE1EEEvSZ_.kd
    .uniform_work_group_size: 1
    .uses_dynamic_stack: false
    .vgpr_count:     0
    .vgpr_spill_count: 0
    .wavefront_size: 64
  - .args:
      - .offset:         0
        .size:           152
        .value_kind:     by_value
    .group_segment_fixed_size: 0
    .kernarg_segment_align: 8
    .kernarg_segment_size: 152
    .language:       OpenCL C
    .language_version:
      - 2
      - 0
    .max_flat_workgroup_size: 256
    .name:           _ZN7rocprim17ROCPRIM_400000_NS6detail17trampoline_kernelINS0_13select_configILj256ELj13ELNS0_17block_load_methodE3ELS4_3ELS4_3ELNS0_20block_scan_algorithmE0ELj4294967295EEENS1_25partition_config_selectorILNS1_17partition_subalgoE3EjNS0_10empty_typeEbEEZZNS1_14partition_implILS8_3ELb0ES6_jNS0_17counting_iteratorIjlEEPS9_SE_NS0_5tupleIJPjSE_EEENSF_IJSE_SE_EEES9_SG_JZNS1_25segmented_radix_sort_implINS0_14default_configELb1EPK12hip_bfloat16PSL_PKlPlN2at6native12_GLOBAL__N_18offset_tEEE10hipError_tPvRmT1_PNSt15iterator_traitsISZ_E10value_typeET2_T3_PNS10_IS15_E10value_typeET4_jRbjT5_S1B_jjP12ihipStream_tbEUljE_EEESW_SX_SY_S15_S19_S1B_T6_T7_T9_mT8_S1D_bDpT10_ENKUlT_T0_E_clISt17integral_constantIbLb1EES1Q_EEDaS1L_S1M_EUlS1L_E_NS1_11comp_targetILNS1_3genE3ELNS1_11target_archE908ELNS1_3gpuE7ELNS1_3repE0EEENS1_30default_config_static_selectorELNS0_4arch9wavefront6targetE1EEEvSZ_
    .private_segment_fixed_size: 0
    .sgpr_count:     4
    .sgpr_spill_count: 0
    .symbol:         _ZN7rocprim17ROCPRIM_400000_NS6detail17trampoline_kernelINS0_13select_configILj256ELj13ELNS0_17block_load_methodE3ELS4_3ELS4_3ELNS0_20block_scan_algorithmE0ELj4294967295EEENS1_25partition_config_selectorILNS1_17partition_subalgoE3EjNS0_10empty_typeEbEEZZNS1_14partition_implILS8_3ELb0ES6_jNS0_17counting_iteratorIjlEEPS9_SE_NS0_5tupleIJPjSE_EEENSF_IJSE_SE_EEES9_SG_JZNS1_25segmented_radix_sort_implINS0_14default_configELb1EPK12hip_bfloat16PSL_PKlPlN2at6native12_GLOBAL__N_18offset_tEEE10hipError_tPvRmT1_PNSt15iterator_traitsISZ_E10value_typeET2_T3_PNS10_IS15_E10value_typeET4_jRbjT5_S1B_jjP12ihipStream_tbEUljE_EEESW_SX_SY_S15_S19_S1B_T6_T7_T9_mT8_S1D_bDpT10_ENKUlT_T0_E_clISt17integral_constantIbLb1EES1Q_EEDaS1L_S1M_EUlS1L_E_NS1_11comp_targetILNS1_3genE3ELNS1_11target_archE908ELNS1_3gpuE7ELNS1_3repE0EEENS1_30default_config_static_selectorELNS0_4arch9wavefront6targetE1EEEvSZ_.kd
    .uniform_work_group_size: 1
    .uses_dynamic_stack: false
    .vgpr_count:     0
    .vgpr_spill_count: 0
    .wavefront_size: 64
  - .args:
      - .offset:         0
        .size:           152
        .value_kind:     by_value
    .group_segment_fixed_size: 0
    .kernarg_segment_align: 8
    .kernarg_segment_size: 152
    .language:       OpenCL C
    .language_version:
      - 2
      - 0
    .max_flat_workgroup_size: 256
    .name:           _ZN7rocprim17ROCPRIM_400000_NS6detail17trampoline_kernelINS0_13select_configILj256ELj13ELNS0_17block_load_methodE3ELS4_3ELS4_3ELNS0_20block_scan_algorithmE0ELj4294967295EEENS1_25partition_config_selectorILNS1_17partition_subalgoE3EjNS0_10empty_typeEbEEZZNS1_14partition_implILS8_3ELb0ES6_jNS0_17counting_iteratorIjlEEPS9_SE_NS0_5tupleIJPjSE_EEENSF_IJSE_SE_EEES9_SG_JZNS1_25segmented_radix_sort_implINS0_14default_configELb1EPK12hip_bfloat16PSL_PKlPlN2at6native12_GLOBAL__N_18offset_tEEE10hipError_tPvRmT1_PNSt15iterator_traitsISZ_E10value_typeET2_T3_PNS10_IS15_E10value_typeET4_jRbjT5_S1B_jjP12ihipStream_tbEUljE_EEESW_SX_SY_S15_S19_S1B_T6_T7_T9_mT8_S1D_bDpT10_ENKUlT_T0_E_clISt17integral_constantIbLb1EES1Q_EEDaS1L_S1M_EUlS1L_E_NS1_11comp_targetILNS1_3genE2ELNS1_11target_archE906ELNS1_3gpuE6ELNS1_3repE0EEENS1_30default_config_static_selectorELNS0_4arch9wavefront6targetE1EEEvSZ_
    .private_segment_fixed_size: 0
    .sgpr_count:     4
    .sgpr_spill_count: 0
    .symbol:         _ZN7rocprim17ROCPRIM_400000_NS6detail17trampoline_kernelINS0_13select_configILj256ELj13ELNS0_17block_load_methodE3ELS4_3ELS4_3ELNS0_20block_scan_algorithmE0ELj4294967295EEENS1_25partition_config_selectorILNS1_17partition_subalgoE3EjNS0_10empty_typeEbEEZZNS1_14partition_implILS8_3ELb0ES6_jNS0_17counting_iteratorIjlEEPS9_SE_NS0_5tupleIJPjSE_EEENSF_IJSE_SE_EEES9_SG_JZNS1_25segmented_radix_sort_implINS0_14default_configELb1EPK12hip_bfloat16PSL_PKlPlN2at6native12_GLOBAL__N_18offset_tEEE10hipError_tPvRmT1_PNSt15iterator_traitsISZ_E10value_typeET2_T3_PNS10_IS15_E10value_typeET4_jRbjT5_S1B_jjP12ihipStream_tbEUljE_EEESW_SX_SY_S15_S19_S1B_T6_T7_T9_mT8_S1D_bDpT10_ENKUlT_T0_E_clISt17integral_constantIbLb1EES1Q_EEDaS1L_S1M_EUlS1L_E_NS1_11comp_targetILNS1_3genE2ELNS1_11target_archE906ELNS1_3gpuE6ELNS1_3repE0EEENS1_30default_config_static_selectorELNS0_4arch9wavefront6targetE1EEEvSZ_.kd
    .uniform_work_group_size: 1
    .uses_dynamic_stack: false
    .vgpr_count:     0
    .vgpr_spill_count: 0
    .wavefront_size: 64
  - .args:
      - .offset:         0
        .size:           152
        .value_kind:     by_value
    .group_segment_fixed_size: 0
    .kernarg_segment_align: 8
    .kernarg_segment_size: 152
    .language:       OpenCL C
    .language_version:
      - 2
      - 0
    .max_flat_workgroup_size: 256
    .name:           _ZN7rocprim17ROCPRIM_400000_NS6detail17trampoline_kernelINS0_13select_configILj256ELj13ELNS0_17block_load_methodE3ELS4_3ELS4_3ELNS0_20block_scan_algorithmE0ELj4294967295EEENS1_25partition_config_selectorILNS1_17partition_subalgoE3EjNS0_10empty_typeEbEEZZNS1_14partition_implILS8_3ELb0ES6_jNS0_17counting_iteratorIjlEEPS9_SE_NS0_5tupleIJPjSE_EEENSF_IJSE_SE_EEES9_SG_JZNS1_25segmented_radix_sort_implINS0_14default_configELb1EPK12hip_bfloat16PSL_PKlPlN2at6native12_GLOBAL__N_18offset_tEEE10hipError_tPvRmT1_PNSt15iterator_traitsISZ_E10value_typeET2_T3_PNS10_IS15_E10value_typeET4_jRbjT5_S1B_jjP12ihipStream_tbEUljE_EEESW_SX_SY_S15_S19_S1B_T6_T7_T9_mT8_S1D_bDpT10_ENKUlT_T0_E_clISt17integral_constantIbLb1EES1Q_EEDaS1L_S1M_EUlS1L_E_NS1_11comp_targetILNS1_3genE10ELNS1_11target_archE1200ELNS1_3gpuE4ELNS1_3repE0EEENS1_30default_config_static_selectorELNS0_4arch9wavefront6targetE1EEEvSZ_
    .private_segment_fixed_size: 0
    .sgpr_count:     4
    .sgpr_spill_count: 0
    .symbol:         _ZN7rocprim17ROCPRIM_400000_NS6detail17trampoline_kernelINS0_13select_configILj256ELj13ELNS0_17block_load_methodE3ELS4_3ELS4_3ELNS0_20block_scan_algorithmE0ELj4294967295EEENS1_25partition_config_selectorILNS1_17partition_subalgoE3EjNS0_10empty_typeEbEEZZNS1_14partition_implILS8_3ELb0ES6_jNS0_17counting_iteratorIjlEEPS9_SE_NS0_5tupleIJPjSE_EEENSF_IJSE_SE_EEES9_SG_JZNS1_25segmented_radix_sort_implINS0_14default_configELb1EPK12hip_bfloat16PSL_PKlPlN2at6native12_GLOBAL__N_18offset_tEEE10hipError_tPvRmT1_PNSt15iterator_traitsISZ_E10value_typeET2_T3_PNS10_IS15_E10value_typeET4_jRbjT5_S1B_jjP12ihipStream_tbEUljE_EEESW_SX_SY_S15_S19_S1B_T6_T7_T9_mT8_S1D_bDpT10_ENKUlT_T0_E_clISt17integral_constantIbLb1EES1Q_EEDaS1L_S1M_EUlS1L_E_NS1_11comp_targetILNS1_3genE10ELNS1_11target_archE1200ELNS1_3gpuE4ELNS1_3repE0EEENS1_30default_config_static_selectorELNS0_4arch9wavefront6targetE1EEEvSZ_.kd
    .uniform_work_group_size: 1
    .uses_dynamic_stack: false
    .vgpr_count:     0
    .vgpr_spill_count: 0
    .wavefront_size: 64
  - .args:
      - .offset:         0
        .size:           152
        .value_kind:     by_value
    .group_segment_fixed_size: 0
    .kernarg_segment_align: 8
    .kernarg_segment_size: 152
    .language:       OpenCL C
    .language_version:
      - 2
      - 0
    .max_flat_workgroup_size: 256
    .name:           _ZN7rocprim17ROCPRIM_400000_NS6detail17trampoline_kernelINS0_13select_configILj256ELj13ELNS0_17block_load_methodE3ELS4_3ELS4_3ELNS0_20block_scan_algorithmE0ELj4294967295EEENS1_25partition_config_selectorILNS1_17partition_subalgoE3EjNS0_10empty_typeEbEEZZNS1_14partition_implILS8_3ELb0ES6_jNS0_17counting_iteratorIjlEEPS9_SE_NS0_5tupleIJPjSE_EEENSF_IJSE_SE_EEES9_SG_JZNS1_25segmented_radix_sort_implINS0_14default_configELb1EPK12hip_bfloat16PSL_PKlPlN2at6native12_GLOBAL__N_18offset_tEEE10hipError_tPvRmT1_PNSt15iterator_traitsISZ_E10value_typeET2_T3_PNS10_IS15_E10value_typeET4_jRbjT5_S1B_jjP12ihipStream_tbEUljE_EEESW_SX_SY_S15_S19_S1B_T6_T7_T9_mT8_S1D_bDpT10_ENKUlT_T0_E_clISt17integral_constantIbLb1EES1Q_EEDaS1L_S1M_EUlS1L_E_NS1_11comp_targetILNS1_3genE9ELNS1_11target_archE1100ELNS1_3gpuE3ELNS1_3repE0EEENS1_30default_config_static_selectorELNS0_4arch9wavefront6targetE1EEEvSZ_
    .private_segment_fixed_size: 0
    .sgpr_count:     4
    .sgpr_spill_count: 0
    .symbol:         _ZN7rocprim17ROCPRIM_400000_NS6detail17trampoline_kernelINS0_13select_configILj256ELj13ELNS0_17block_load_methodE3ELS4_3ELS4_3ELNS0_20block_scan_algorithmE0ELj4294967295EEENS1_25partition_config_selectorILNS1_17partition_subalgoE3EjNS0_10empty_typeEbEEZZNS1_14partition_implILS8_3ELb0ES6_jNS0_17counting_iteratorIjlEEPS9_SE_NS0_5tupleIJPjSE_EEENSF_IJSE_SE_EEES9_SG_JZNS1_25segmented_radix_sort_implINS0_14default_configELb1EPK12hip_bfloat16PSL_PKlPlN2at6native12_GLOBAL__N_18offset_tEEE10hipError_tPvRmT1_PNSt15iterator_traitsISZ_E10value_typeET2_T3_PNS10_IS15_E10value_typeET4_jRbjT5_S1B_jjP12ihipStream_tbEUljE_EEESW_SX_SY_S15_S19_S1B_T6_T7_T9_mT8_S1D_bDpT10_ENKUlT_T0_E_clISt17integral_constantIbLb1EES1Q_EEDaS1L_S1M_EUlS1L_E_NS1_11comp_targetILNS1_3genE9ELNS1_11target_archE1100ELNS1_3gpuE3ELNS1_3repE0EEENS1_30default_config_static_selectorELNS0_4arch9wavefront6targetE1EEEvSZ_.kd
    .uniform_work_group_size: 1
    .uses_dynamic_stack: false
    .vgpr_count:     0
    .vgpr_spill_count: 0
    .wavefront_size: 64
  - .args:
      - .offset:         0
        .size:           152
        .value_kind:     by_value
    .group_segment_fixed_size: 0
    .kernarg_segment_align: 8
    .kernarg_segment_size: 152
    .language:       OpenCL C
    .language_version:
      - 2
      - 0
    .max_flat_workgroup_size: 256
    .name:           _ZN7rocprim17ROCPRIM_400000_NS6detail17trampoline_kernelINS0_13select_configILj256ELj13ELNS0_17block_load_methodE3ELS4_3ELS4_3ELNS0_20block_scan_algorithmE0ELj4294967295EEENS1_25partition_config_selectorILNS1_17partition_subalgoE3EjNS0_10empty_typeEbEEZZNS1_14partition_implILS8_3ELb0ES6_jNS0_17counting_iteratorIjlEEPS9_SE_NS0_5tupleIJPjSE_EEENSF_IJSE_SE_EEES9_SG_JZNS1_25segmented_radix_sort_implINS0_14default_configELb1EPK12hip_bfloat16PSL_PKlPlN2at6native12_GLOBAL__N_18offset_tEEE10hipError_tPvRmT1_PNSt15iterator_traitsISZ_E10value_typeET2_T3_PNS10_IS15_E10value_typeET4_jRbjT5_S1B_jjP12ihipStream_tbEUljE_EEESW_SX_SY_S15_S19_S1B_T6_T7_T9_mT8_S1D_bDpT10_ENKUlT_T0_E_clISt17integral_constantIbLb1EES1Q_EEDaS1L_S1M_EUlS1L_E_NS1_11comp_targetILNS1_3genE8ELNS1_11target_archE1030ELNS1_3gpuE2ELNS1_3repE0EEENS1_30default_config_static_selectorELNS0_4arch9wavefront6targetE1EEEvSZ_
    .private_segment_fixed_size: 0
    .sgpr_count:     4
    .sgpr_spill_count: 0
    .symbol:         _ZN7rocprim17ROCPRIM_400000_NS6detail17trampoline_kernelINS0_13select_configILj256ELj13ELNS0_17block_load_methodE3ELS4_3ELS4_3ELNS0_20block_scan_algorithmE0ELj4294967295EEENS1_25partition_config_selectorILNS1_17partition_subalgoE3EjNS0_10empty_typeEbEEZZNS1_14partition_implILS8_3ELb0ES6_jNS0_17counting_iteratorIjlEEPS9_SE_NS0_5tupleIJPjSE_EEENSF_IJSE_SE_EEES9_SG_JZNS1_25segmented_radix_sort_implINS0_14default_configELb1EPK12hip_bfloat16PSL_PKlPlN2at6native12_GLOBAL__N_18offset_tEEE10hipError_tPvRmT1_PNSt15iterator_traitsISZ_E10value_typeET2_T3_PNS10_IS15_E10value_typeET4_jRbjT5_S1B_jjP12ihipStream_tbEUljE_EEESW_SX_SY_S15_S19_S1B_T6_T7_T9_mT8_S1D_bDpT10_ENKUlT_T0_E_clISt17integral_constantIbLb1EES1Q_EEDaS1L_S1M_EUlS1L_E_NS1_11comp_targetILNS1_3genE8ELNS1_11target_archE1030ELNS1_3gpuE2ELNS1_3repE0EEENS1_30default_config_static_selectorELNS0_4arch9wavefront6targetE1EEEvSZ_.kd
    .uniform_work_group_size: 1
    .uses_dynamic_stack: false
    .vgpr_count:     0
    .vgpr_spill_count: 0
    .wavefront_size: 64
  - .args:
      - .offset:         0
        .size:           144
        .value_kind:     by_value
    .group_segment_fixed_size: 0
    .kernarg_segment_align: 8
    .kernarg_segment_size: 144
    .language:       OpenCL C
    .language_version:
      - 2
      - 0
    .max_flat_workgroup_size: 256
    .name:           _ZN7rocprim17ROCPRIM_400000_NS6detail17trampoline_kernelINS0_13select_configILj256ELj13ELNS0_17block_load_methodE3ELS4_3ELS4_3ELNS0_20block_scan_algorithmE0ELj4294967295EEENS1_25partition_config_selectorILNS1_17partition_subalgoE3EjNS0_10empty_typeEbEEZZNS1_14partition_implILS8_3ELb0ES6_jNS0_17counting_iteratorIjlEEPS9_SE_NS0_5tupleIJPjSE_EEENSF_IJSE_SE_EEES9_SG_JZNS1_25segmented_radix_sort_implINS0_14default_configELb1EPK12hip_bfloat16PSL_PKlPlN2at6native12_GLOBAL__N_18offset_tEEE10hipError_tPvRmT1_PNSt15iterator_traitsISZ_E10value_typeET2_T3_PNS10_IS15_E10value_typeET4_jRbjT5_S1B_jjP12ihipStream_tbEUljE_EEESW_SX_SY_S15_S19_S1B_T6_T7_T9_mT8_S1D_bDpT10_ENKUlT_T0_E_clISt17integral_constantIbLb1EES1P_IbLb0EEEEDaS1L_S1M_EUlS1L_E_NS1_11comp_targetILNS1_3genE0ELNS1_11target_archE4294967295ELNS1_3gpuE0ELNS1_3repE0EEENS1_30default_config_static_selectorELNS0_4arch9wavefront6targetE1EEEvSZ_
    .private_segment_fixed_size: 0
    .sgpr_count:     4
    .sgpr_spill_count: 0
    .symbol:         _ZN7rocprim17ROCPRIM_400000_NS6detail17trampoline_kernelINS0_13select_configILj256ELj13ELNS0_17block_load_methodE3ELS4_3ELS4_3ELNS0_20block_scan_algorithmE0ELj4294967295EEENS1_25partition_config_selectorILNS1_17partition_subalgoE3EjNS0_10empty_typeEbEEZZNS1_14partition_implILS8_3ELb0ES6_jNS0_17counting_iteratorIjlEEPS9_SE_NS0_5tupleIJPjSE_EEENSF_IJSE_SE_EEES9_SG_JZNS1_25segmented_radix_sort_implINS0_14default_configELb1EPK12hip_bfloat16PSL_PKlPlN2at6native12_GLOBAL__N_18offset_tEEE10hipError_tPvRmT1_PNSt15iterator_traitsISZ_E10value_typeET2_T3_PNS10_IS15_E10value_typeET4_jRbjT5_S1B_jjP12ihipStream_tbEUljE_EEESW_SX_SY_S15_S19_S1B_T6_T7_T9_mT8_S1D_bDpT10_ENKUlT_T0_E_clISt17integral_constantIbLb1EES1P_IbLb0EEEEDaS1L_S1M_EUlS1L_E_NS1_11comp_targetILNS1_3genE0ELNS1_11target_archE4294967295ELNS1_3gpuE0ELNS1_3repE0EEENS1_30default_config_static_selectorELNS0_4arch9wavefront6targetE1EEEvSZ_.kd
    .uniform_work_group_size: 1
    .uses_dynamic_stack: false
    .vgpr_count:     0
    .vgpr_spill_count: 0
    .wavefront_size: 64
  - .args:
      - .offset:         0
        .size:           144
        .value_kind:     by_value
    .group_segment_fixed_size: 0
    .kernarg_segment_align: 8
    .kernarg_segment_size: 144
    .language:       OpenCL C
    .language_version:
      - 2
      - 0
    .max_flat_workgroup_size: 256
    .name:           _ZN7rocprim17ROCPRIM_400000_NS6detail17trampoline_kernelINS0_13select_configILj256ELj13ELNS0_17block_load_methodE3ELS4_3ELS4_3ELNS0_20block_scan_algorithmE0ELj4294967295EEENS1_25partition_config_selectorILNS1_17partition_subalgoE3EjNS0_10empty_typeEbEEZZNS1_14partition_implILS8_3ELb0ES6_jNS0_17counting_iteratorIjlEEPS9_SE_NS0_5tupleIJPjSE_EEENSF_IJSE_SE_EEES9_SG_JZNS1_25segmented_radix_sort_implINS0_14default_configELb1EPK12hip_bfloat16PSL_PKlPlN2at6native12_GLOBAL__N_18offset_tEEE10hipError_tPvRmT1_PNSt15iterator_traitsISZ_E10value_typeET2_T3_PNS10_IS15_E10value_typeET4_jRbjT5_S1B_jjP12ihipStream_tbEUljE_EEESW_SX_SY_S15_S19_S1B_T6_T7_T9_mT8_S1D_bDpT10_ENKUlT_T0_E_clISt17integral_constantIbLb1EES1P_IbLb0EEEEDaS1L_S1M_EUlS1L_E_NS1_11comp_targetILNS1_3genE5ELNS1_11target_archE942ELNS1_3gpuE9ELNS1_3repE0EEENS1_30default_config_static_selectorELNS0_4arch9wavefront6targetE1EEEvSZ_
    .private_segment_fixed_size: 0
    .sgpr_count:     4
    .sgpr_spill_count: 0
    .symbol:         _ZN7rocprim17ROCPRIM_400000_NS6detail17trampoline_kernelINS0_13select_configILj256ELj13ELNS0_17block_load_methodE3ELS4_3ELS4_3ELNS0_20block_scan_algorithmE0ELj4294967295EEENS1_25partition_config_selectorILNS1_17partition_subalgoE3EjNS0_10empty_typeEbEEZZNS1_14partition_implILS8_3ELb0ES6_jNS0_17counting_iteratorIjlEEPS9_SE_NS0_5tupleIJPjSE_EEENSF_IJSE_SE_EEES9_SG_JZNS1_25segmented_radix_sort_implINS0_14default_configELb1EPK12hip_bfloat16PSL_PKlPlN2at6native12_GLOBAL__N_18offset_tEEE10hipError_tPvRmT1_PNSt15iterator_traitsISZ_E10value_typeET2_T3_PNS10_IS15_E10value_typeET4_jRbjT5_S1B_jjP12ihipStream_tbEUljE_EEESW_SX_SY_S15_S19_S1B_T6_T7_T9_mT8_S1D_bDpT10_ENKUlT_T0_E_clISt17integral_constantIbLb1EES1P_IbLb0EEEEDaS1L_S1M_EUlS1L_E_NS1_11comp_targetILNS1_3genE5ELNS1_11target_archE942ELNS1_3gpuE9ELNS1_3repE0EEENS1_30default_config_static_selectorELNS0_4arch9wavefront6targetE1EEEvSZ_.kd
    .uniform_work_group_size: 1
    .uses_dynamic_stack: false
    .vgpr_count:     0
    .vgpr_spill_count: 0
    .wavefront_size: 64
  - .args:
      - .offset:         0
        .size:           144
        .value_kind:     by_value
    .group_segment_fixed_size: 0
    .kernarg_segment_align: 8
    .kernarg_segment_size: 144
    .language:       OpenCL C
    .language_version:
      - 2
      - 0
    .max_flat_workgroup_size: 256
    .name:           _ZN7rocprim17ROCPRIM_400000_NS6detail17trampoline_kernelINS0_13select_configILj256ELj13ELNS0_17block_load_methodE3ELS4_3ELS4_3ELNS0_20block_scan_algorithmE0ELj4294967295EEENS1_25partition_config_selectorILNS1_17partition_subalgoE3EjNS0_10empty_typeEbEEZZNS1_14partition_implILS8_3ELb0ES6_jNS0_17counting_iteratorIjlEEPS9_SE_NS0_5tupleIJPjSE_EEENSF_IJSE_SE_EEES9_SG_JZNS1_25segmented_radix_sort_implINS0_14default_configELb1EPK12hip_bfloat16PSL_PKlPlN2at6native12_GLOBAL__N_18offset_tEEE10hipError_tPvRmT1_PNSt15iterator_traitsISZ_E10value_typeET2_T3_PNS10_IS15_E10value_typeET4_jRbjT5_S1B_jjP12ihipStream_tbEUljE_EEESW_SX_SY_S15_S19_S1B_T6_T7_T9_mT8_S1D_bDpT10_ENKUlT_T0_E_clISt17integral_constantIbLb1EES1P_IbLb0EEEEDaS1L_S1M_EUlS1L_E_NS1_11comp_targetILNS1_3genE4ELNS1_11target_archE910ELNS1_3gpuE8ELNS1_3repE0EEENS1_30default_config_static_selectorELNS0_4arch9wavefront6targetE1EEEvSZ_
    .private_segment_fixed_size: 0
    .sgpr_count:     4
    .sgpr_spill_count: 0
    .symbol:         _ZN7rocprim17ROCPRIM_400000_NS6detail17trampoline_kernelINS0_13select_configILj256ELj13ELNS0_17block_load_methodE3ELS4_3ELS4_3ELNS0_20block_scan_algorithmE0ELj4294967295EEENS1_25partition_config_selectorILNS1_17partition_subalgoE3EjNS0_10empty_typeEbEEZZNS1_14partition_implILS8_3ELb0ES6_jNS0_17counting_iteratorIjlEEPS9_SE_NS0_5tupleIJPjSE_EEENSF_IJSE_SE_EEES9_SG_JZNS1_25segmented_radix_sort_implINS0_14default_configELb1EPK12hip_bfloat16PSL_PKlPlN2at6native12_GLOBAL__N_18offset_tEEE10hipError_tPvRmT1_PNSt15iterator_traitsISZ_E10value_typeET2_T3_PNS10_IS15_E10value_typeET4_jRbjT5_S1B_jjP12ihipStream_tbEUljE_EEESW_SX_SY_S15_S19_S1B_T6_T7_T9_mT8_S1D_bDpT10_ENKUlT_T0_E_clISt17integral_constantIbLb1EES1P_IbLb0EEEEDaS1L_S1M_EUlS1L_E_NS1_11comp_targetILNS1_3genE4ELNS1_11target_archE910ELNS1_3gpuE8ELNS1_3repE0EEENS1_30default_config_static_selectorELNS0_4arch9wavefront6targetE1EEEvSZ_.kd
    .uniform_work_group_size: 1
    .uses_dynamic_stack: false
    .vgpr_count:     0
    .vgpr_spill_count: 0
    .wavefront_size: 64
  - .args:
      - .offset:         0
        .size:           144
        .value_kind:     by_value
    .group_segment_fixed_size: 0
    .kernarg_segment_align: 8
    .kernarg_segment_size: 144
    .language:       OpenCL C
    .language_version:
      - 2
      - 0
    .max_flat_workgroup_size: 256
    .name:           _ZN7rocprim17ROCPRIM_400000_NS6detail17trampoline_kernelINS0_13select_configILj256ELj13ELNS0_17block_load_methodE3ELS4_3ELS4_3ELNS0_20block_scan_algorithmE0ELj4294967295EEENS1_25partition_config_selectorILNS1_17partition_subalgoE3EjNS0_10empty_typeEbEEZZNS1_14partition_implILS8_3ELb0ES6_jNS0_17counting_iteratorIjlEEPS9_SE_NS0_5tupleIJPjSE_EEENSF_IJSE_SE_EEES9_SG_JZNS1_25segmented_radix_sort_implINS0_14default_configELb1EPK12hip_bfloat16PSL_PKlPlN2at6native12_GLOBAL__N_18offset_tEEE10hipError_tPvRmT1_PNSt15iterator_traitsISZ_E10value_typeET2_T3_PNS10_IS15_E10value_typeET4_jRbjT5_S1B_jjP12ihipStream_tbEUljE_EEESW_SX_SY_S15_S19_S1B_T6_T7_T9_mT8_S1D_bDpT10_ENKUlT_T0_E_clISt17integral_constantIbLb1EES1P_IbLb0EEEEDaS1L_S1M_EUlS1L_E_NS1_11comp_targetILNS1_3genE3ELNS1_11target_archE908ELNS1_3gpuE7ELNS1_3repE0EEENS1_30default_config_static_selectorELNS0_4arch9wavefront6targetE1EEEvSZ_
    .private_segment_fixed_size: 0
    .sgpr_count:     4
    .sgpr_spill_count: 0
    .symbol:         _ZN7rocprim17ROCPRIM_400000_NS6detail17trampoline_kernelINS0_13select_configILj256ELj13ELNS0_17block_load_methodE3ELS4_3ELS4_3ELNS0_20block_scan_algorithmE0ELj4294967295EEENS1_25partition_config_selectorILNS1_17partition_subalgoE3EjNS0_10empty_typeEbEEZZNS1_14partition_implILS8_3ELb0ES6_jNS0_17counting_iteratorIjlEEPS9_SE_NS0_5tupleIJPjSE_EEENSF_IJSE_SE_EEES9_SG_JZNS1_25segmented_radix_sort_implINS0_14default_configELb1EPK12hip_bfloat16PSL_PKlPlN2at6native12_GLOBAL__N_18offset_tEEE10hipError_tPvRmT1_PNSt15iterator_traitsISZ_E10value_typeET2_T3_PNS10_IS15_E10value_typeET4_jRbjT5_S1B_jjP12ihipStream_tbEUljE_EEESW_SX_SY_S15_S19_S1B_T6_T7_T9_mT8_S1D_bDpT10_ENKUlT_T0_E_clISt17integral_constantIbLb1EES1P_IbLb0EEEEDaS1L_S1M_EUlS1L_E_NS1_11comp_targetILNS1_3genE3ELNS1_11target_archE908ELNS1_3gpuE7ELNS1_3repE0EEENS1_30default_config_static_selectorELNS0_4arch9wavefront6targetE1EEEvSZ_.kd
    .uniform_work_group_size: 1
    .uses_dynamic_stack: false
    .vgpr_count:     0
    .vgpr_spill_count: 0
    .wavefront_size: 64
  - .args:
      - .offset:         0
        .size:           144
        .value_kind:     by_value
    .group_segment_fixed_size: 0
    .kernarg_segment_align: 8
    .kernarg_segment_size: 144
    .language:       OpenCL C
    .language_version:
      - 2
      - 0
    .max_flat_workgroup_size: 256
    .name:           _ZN7rocprim17ROCPRIM_400000_NS6detail17trampoline_kernelINS0_13select_configILj256ELj13ELNS0_17block_load_methodE3ELS4_3ELS4_3ELNS0_20block_scan_algorithmE0ELj4294967295EEENS1_25partition_config_selectorILNS1_17partition_subalgoE3EjNS0_10empty_typeEbEEZZNS1_14partition_implILS8_3ELb0ES6_jNS0_17counting_iteratorIjlEEPS9_SE_NS0_5tupleIJPjSE_EEENSF_IJSE_SE_EEES9_SG_JZNS1_25segmented_radix_sort_implINS0_14default_configELb1EPK12hip_bfloat16PSL_PKlPlN2at6native12_GLOBAL__N_18offset_tEEE10hipError_tPvRmT1_PNSt15iterator_traitsISZ_E10value_typeET2_T3_PNS10_IS15_E10value_typeET4_jRbjT5_S1B_jjP12ihipStream_tbEUljE_EEESW_SX_SY_S15_S19_S1B_T6_T7_T9_mT8_S1D_bDpT10_ENKUlT_T0_E_clISt17integral_constantIbLb1EES1P_IbLb0EEEEDaS1L_S1M_EUlS1L_E_NS1_11comp_targetILNS1_3genE2ELNS1_11target_archE906ELNS1_3gpuE6ELNS1_3repE0EEENS1_30default_config_static_selectorELNS0_4arch9wavefront6targetE1EEEvSZ_
    .private_segment_fixed_size: 0
    .sgpr_count:     4
    .sgpr_spill_count: 0
    .symbol:         _ZN7rocprim17ROCPRIM_400000_NS6detail17trampoline_kernelINS0_13select_configILj256ELj13ELNS0_17block_load_methodE3ELS4_3ELS4_3ELNS0_20block_scan_algorithmE0ELj4294967295EEENS1_25partition_config_selectorILNS1_17partition_subalgoE3EjNS0_10empty_typeEbEEZZNS1_14partition_implILS8_3ELb0ES6_jNS0_17counting_iteratorIjlEEPS9_SE_NS0_5tupleIJPjSE_EEENSF_IJSE_SE_EEES9_SG_JZNS1_25segmented_radix_sort_implINS0_14default_configELb1EPK12hip_bfloat16PSL_PKlPlN2at6native12_GLOBAL__N_18offset_tEEE10hipError_tPvRmT1_PNSt15iterator_traitsISZ_E10value_typeET2_T3_PNS10_IS15_E10value_typeET4_jRbjT5_S1B_jjP12ihipStream_tbEUljE_EEESW_SX_SY_S15_S19_S1B_T6_T7_T9_mT8_S1D_bDpT10_ENKUlT_T0_E_clISt17integral_constantIbLb1EES1P_IbLb0EEEEDaS1L_S1M_EUlS1L_E_NS1_11comp_targetILNS1_3genE2ELNS1_11target_archE906ELNS1_3gpuE6ELNS1_3repE0EEENS1_30default_config_static_selectorELNS0_4arch9wavefront6targetE1EEEvSZ_.kd
    .uniform_work_group_size: 1
    .uses_dynamic_stack: false
    .vgpr_count:     0
    .vgpr_spill_count: 0
    .wavefront_size: 64
  - .args:
      - .offset:         0
        .size:           144
        .value_kind:     by_value
    .group_segment_fixed_size: 0
    .kernarg_segment_align: 8
    .kernarg_segment_size: 144
    .language:       OpenCL C
    .language_version:
      - 2
      - 0
    .max_flat_workgroup_size: 256
    .name:           _ZN7rocprim17ROCPRIM_400000_NS6detail17trampoline_kernelINS0_13select_configILj256ELj13ELNS0_17block_load_methodE3ELS4_3ELS4_3ELNS0_20block_scan_algorithmE0ELj4294967295EEENS1_25partition_config_selectorILNS1_17partition_subalgoE3EjNS0_10empty_typeEbEEZZNS1_14partition_implILS8_3ELb0ES6_jNS0_17counting_iteratorIjlEEPS9_SE_NS0_5tupleIJPjSE_EEENSF_IJSE_SE_EEES9_SG_JZNS1_25segmented_radix_sort_implINS0_14default_configELb1EPK12hip_bfloat16PSL_PKlPlN2at6native12_GLOBAL__N_18offset_tEEE10hipError_tPvRmT1_PNSt15iterator_traitsISZ_E10value_typeET2_T3_PNS10_IS15_E10value_typeET4_jRbjT5_S1B_jjP12ihipStream_tbEUljE_EEESW_SX_SY_S15_S19_S1B_T6_T7_T9_mT8_S1D_bDpT10_ENKUlT_T0_E_clISt17integral_constantIbLb1EES1P_IbLb0EEEEDaS1L_S1M_EUlS1L_E_NS1_11comp_targetILNS1_3genE10ELNS1_11target_archE1200ELNS1_3gpuE4ELNS1_3repE0EEENS1_30default_config_static_selectorELNS0_4arch9wavefront6targetE1EEEvSZ_
    .private_segment_fixed_size: 0
    .sgpr_count:     4
    .sgpr_spill_count: 0
    .symbol:         _ZN7rocprim17ROCPRIM_400000_NS6detail17trampoline_kernelINS0_13select_configILj256ELj13ELNS0_17block_load_methodE3ELS4_3ELS4_3ELNS0_20block_scan_algorithmE0ELj4294967295EEENS1_25partition_config_selectorILNS1_17partition_subalgoE3EjNS0_10empty_typeEbEEZZNS1_14partition_implILS8_3ELb0ES6_jNS0_17counting_iteratorIjlEEPS9_SE_NS0_5tupleIJPjSE_EEENSF_IJSE_SE_EEES9_SG_JZNS1_25segmented_radix_sort_implINS0_14default_configELb1EPK12hip_bfloat16PSL_PKlPlN2at6native12_GLOBAL__N_18offset_tEEE10hipError_tPvRmT1_PNSt15iterator_traitsISZ_E10value_typeET2_T3_PNS10_IS15_E10value_typeET4_jRbjT5_S1B_jjP12ihipStream_tbEUljE_EEESW_SX_SY_S15_S19_S1B_T6_T7_T9_mT8_S1D_bDpT10_ENKUlT_T0_E_clISt17integral_constantIbLb1EES1P_IbLb0EEEEDaS1L_S1M_EUlS1L_E_NS1_11comp_targetILNS1_3genE10ELNS1_11target_archE1200ELNS1_3gpuE4ELNS1_3repE0EEENS1_30default_config_static_selectorELNS0_4arch9wavefront6targetE1EEEvSZ_.kd
    .uniform_work_group_size: 1
    .uses_dynamic_stack: false
    .vgpr_count:     0
    .vgpr_spill_count: 0
    .wavefront_size: 64
  - .args:
      - .offset:         0
        .size:           144
        .value_kind:     by_value
    .group_segment_fixed_size: 0
    .kernarg_segment_align: 8
    .kernarg_segment_size: 144
    .language:       OpenCL C
    .language_version:
      - 2
      - 0
    .max_flat_workgroup_size: 256
    .name:           _ZN7rocprim17ROCPRIM_400000_NS6detail17trampoline_kernelINS0_13select_configILj256ELj13ELNS0_17block_load_methodE3ELS4_3ELS4_3ELNS0_20block_scan_algorithmE0ELj4294967295EEENS1_25partition_config_selectorILNS1_17partition_subalgoE3EjNS0_10empty_typeEbEEZZNS1_14partition_implILS8_3ELb0ES6_jNS0_17counting_iteratorIjlEEPS9_SE_NS0_5tupleIJPjSE_EEENSF_IJSE_SE_EEES9_SG_JZNS1_25segmented_radix_sort_implINS0_14default_configELb1EPK12hip_bfloat16PSL_PKlPlN2at6native12_GLOBAL__N_18offset_tEEE10hipError_tPvRmT1_PNSt15iterator_traitsISZ_E10value_typeET2_T3_PNS10_IS15_E10value_typeET4_jRbjT5_S1B_jjP12ihipStream_tbEUljE_EEESW_SX_SY_S15_S19_S1B_T6_T7_T9_mT8_S1D_bDpT10_ENKUlT_T0_E_clISt17integral_constantIbLb1EES1P_IbLb0EEEEDaS1L_S1M_EUlS1L_E_NS1_11comp_targetILNS1_3genE9ELNS1_11target_archE1100ELNS1_3gpuE3ELNS1_3repE0EEENS1_30default_config_static_selectorELNS0_4arch9wavefront6targetE1EEEvSZ_
    .private_segment_fixed_size: 0
    .sgpr_count:     4
    .sgpr_spill_count: 0
    .symbol:         _ZN7rocprim17ROCPRIM_400000_NS6detail17trampoline_kernelINS0_13select_configILj256ELj13ELNS0_17block_load_methodE3ELS4_3ELS4_3ELNS0_20block_scan_algorithmE0ELj4294967295EEENS1_25partition_config_selectorILNS1_17partition_subalgoE3EjNS0_10empty_typeEbEEZZNS1_14partition_implILS8_3ELb0ES6_jNS0_17counting_iteratorIjlEEPS9_SE_NS0_5tupleIJPjSE_EEENSF_IJSE_SE_EEES9_SG_JZNS1_25segmented_radix_sort_implINS0_14default_configELb1EPK12hip_bfloat16PSL_PKlPlN2at6native12_GLOBAL__N_18offset_tEEE10hipError_tPvRmT1_PNSt15iterator_traitsISZ_E10value_typeET2_T3_PNS10_IS15_E10value_typeET4_jRbjT5_S1B_jjP12ihipStream_tbEUljE_EEESW_SX_SY_S15_S19_S1B_T6_T7_T9_mT8_S1D_bDpT10_ENKUlT_T0_E_clISt17integral_constantIbLb1EES1P_IbLb0EEEEDaS1L_S1M_EUlS1L_E_NS1_11comp_targetILNS1_3genE9ELNS1_11target_archE1100ELNS1_3gpuE3ELNS1_3repE0EEENS1_30default_config_static_selectorELNS0_4arch9wavefront6targetE1EEEvSZ_.kd
    .uniform_work_group_size: 1
    .uses_dynamic_stack: false
    .vgpr_count:     0
    .vgpr_spill_count: 0
    .wavefront_size: 64
  - .args:
      - .offset:         0
        .size:           144
        .value_kind:     by_value
    .group_segment_fixed_size: 0
    .kernarg_segment_align: 8
    .kernarg_segment_size: 144
    .language:       OpenCL C
    .language_version:
      - 2
      - 0
    .max_flat_workgroup_size: 256
    .name:           _ZN7rocprim17ROCPRIM_400000_NS6detail17trampoline_kernelINS0_13select_configILj256ELj13ELNS0_17block_load_methodE3ELS4_3ELS4_3ELNS0_20block_scan_algorithmE0ELj4294967295EEENS1_25partition_config_selectorILNS1_17partition_subalgoE3EjNS0_10empty_typeEbEEZZNS1_14partition_implILS8_3ELb0ES6_jNS0_17counting_iteratorIjlEEPS9_SE_NS0_5tupleIJPjSE_EEENSF_IJSE_SE_EEES9_SG_JZNS1_25segmented_radix_sort_implINS0_14default_configELb1EPK12hip_bfloat16PSL_PKlPlN2at6native12_GLOBAL__N_18offset_tEEE10hipError_tPvRmT1_PNSt15iterator_traitsISZ_E10value_typeET2_T3_PNS10_IS15_E10value_typeET4_jRbjT5_S1B_jjP12ihipStream_tbEUljE_EEESW_SX_SY_S15_S19_S1B_T6_T7_T9_mT8_S1D_bDpT10_ENKUlT_T0_E_clISt17integral_constantIbLb1EES1P_IbLb0EEEEDaS1L_S1M_EUlS1L_E_NS1_11comp_targetILNS1_3genE8ELNS1_11target_archE1030ELNS1_3gpuE2ELNS1_3repE0EEENS1_30default_config_static_selectorELNS0_4arch9wavefront6targetE1EEEvSZ_
    .private_segment_fixed_size: 0
    .sgpr_count:     4
    .sgpr_spill_count: 0
    .symbol:         _ZN7rocprim17ROCPRIM_400000_NS6detail17trampoline_kernelINS0_13select_configILj256ELj13ELNS0_17block_load_methodE3ELS4_3ELS4_3ELNS0_20block_scan_algorithmE0ELj4294967295EEENS1_25partition_config_selectorILNS1_17partition_subalgoE3EjNS0_10empty_typeEbEEZZNS1_14partition_implILS8_3ELb0ES6_jNS0_17counting_iteratorIjlEEPS9_SE_NS0_5tupleIJPjSE_EEENSF_IJSE_SE_EEES9_SG_JZNS1_25segmented_radix_sort_implINS0_14default_configELb1EPK12hip_bfloat16PSL_PKlPlN2at6native12_GLOBAL__N_18offset_tEEE10hipError_tPvRmT1_PNSt15iterator_traitsISZ_E10value_typeET2_T3_PNS10_IS15_E10value_typeET4_jRbjT5_S1B_jjP12ihipStream_tbEUljE_EEESW_SX_SY_S15_S19_S1B_T6_T7_T9_mT8_S1D_bDpT10_ENKUlT_T0_E_clISt17integral_constantIbLb1EES1P_IbLb0EEEEDaS1L_S1M_EUlS1L_E_NS1_11comp_targetILNS1_3genE8ELNS1_11target_archE1030ELNS1_3gpuE2ELNS1_3repE0EEENS1_30default_config_static_selectorELNS0_4arch9wavefront6targetE1EEEvSZ_.kd
    .uniform_work_group_size: 1
    .uses_dynamic_stack: false
    .vgpr_count:     0
    .vgpr_spill_count: 0
    .wavefront_size: 64
  - .args:
      - .offset:         0
        .size:           152
        .value_kind:     by_value
    .group_segment_fixed_size: 0
    .kernarg_segment_align: 8
    .kernarg_segment_size: 152
    .language:       OpenCL C
    .language_version:
      - 2
      - 0
    .max_flat_workgroup_size: 256
    .name:           _ZN7rocprim17ROCPRIM_400000_NS6detail17trampoline_kernelINS0_13select_configILj256ELj13ELNS0_17block_load_methodE3ELS4_3ELS4_3ELNS0_20block_scan_algorithmE0ELj4294967295EEENS1_25partition_config_selectorILNS1_17partition_subalgoE3EjNS0_10empty_typeEbEEZZNS1_14partition_implILS8_3ELb0ES6_jNS0_17counting_iteratorIjlEEPS9_SE_NS0_5tupleIJPjSE_EEENSF_IJSE_SE_EEES9_SG_JZNS1_25segmented_radix_sort_implINS0_14default_configELb1EPK12hip_bfloat16PSL_PKlPlN2at6native12_GLOBAL__N_18offset_tEEE10hipError_tPvRmT1_PNSt15iterator_traitsISZ_E10value_typeET2_T3_PNS10_IS15_E10value_typeET4_jRbjT5_S1B_jjP12ihipStream_tbEUljE_EEESW_SX_SY_S15_S19_S1B_T6_T7_T9_mT8_S1D_bDpT10_ENKUlT_T0_E_clISt17integral_constantIbLb0EES1P_IbLb1EEEEDaS1L_S1M_EUlS1L_E_NS1_11comp_targetILNS1_3genE0ELNS1_11target_archE4294967295ELNS1_3gpuE0ELNS1_3repE0EEENS1_30default_config_static_selectorELNS0_4arch9wavefront6targetE1EEEvSZ_
    .private_segment_fixed_size: 0
    .sgpr_count:     4
    .sgpr_spill_count: 0
    .symbol:         _ZN7rocprim17ROCPRIM_400000_NS6detail17trampoline_kernelINS0_13select_configILj256ELj13ELNS0_17block_load_methodE3ELS4_3ELS4_3ELNS0_20block_scan_algorithmE0ELj4294967295EEENS1_25partition_config_selectorILNS1_17partition_subalgoE3EjNS0_10empty_typeEbEEZZNS1_14partition_implILS8_3ELb0ES6_jNS0_17counting_iteratorIjlEEPS9_SE_NS0_5tupleIJPjSE_EEENSF_IJSE_SE_EEES9_SG_JZNS1_25segmented_radix_sort_implINS0_14default_configELb1EPK12hip_bfloat16PSL_PKlPlN2at6native12_GLOBAL__N_18offset_tEEE10hipError_tPvRmT1_PNSt15iterator_traitsISZ_E10value_typeET2_T3_PNS10_IS15_E10value_typeET4_jRbjT5_S1B_jjP12ihipStream_tbEUljE_EEESW_SX_SY_S15_S19_S1B_T6_T7_T9_mT8_S1D_bDpT10_ENKUlT_T0_E_clISt17integral_constantIbLb0EES1P_IbLb1EEEEDaS1L_S1M_EUlS1L_E_NS1_11comp_targetILNS1_3genE0ELNS1_11target_archE4294967295ELNS1_3gpuE0ELNS1_3repE0EEENS1_30default_config_static_selectorELNS0_4arch9wavefront6targetE1EEEvSZ_.kd
    .uniform_work_group_size: 1
    .uses_dynamic_stack: false
    .vgpr_count:     0
    .vgpr_spill_count: 0
    .wavefront_size: 64
  - .args:
      - .offset:         0
        .size:           152
        .value_kind:     by_value
    .group_segment_fixed_size: 0
    .kernarg_segment_align: 8
    .kernarg_segment_size: 152
    .language:       OpenCL C
    .language_version:
      - 2
      - 0
    .max_flat_workgroup_size: 256
    .name:           _ZN7rocprim17ROCPRIM_400000_NS6detail17trampoline_kernelINS0_13select_configILj256ELj13ELNS0_17block_load_methodE3ELS4_3ELS4_3ELNS0_20block_scan_algorithmE0ELj4294967295EEENS1_25partition_config_selectorILNS1_17partition_subalgoE3EjNS0_10empty_typeEbEEZZNS1_14partition_implILS8_3ELb0ES6_jNS0_17counting_iteratorIjlEEPS9_SE_NS0_5tupleIJPjSE_EEENSF_IJSE_SE_EEES9_SG_JZNS1_25segmented_radix_sort_implINS0_14default_configELb1EPK12hip_bfloat16PSL_PKlPlN2at6native12_GLOBAL__N_18offset_tEEE10hipError_tPvRmT1_PNSt15iterator_traitsISZ_E10value_typeET2_T3_PNS10_IS15_E10value_typeET4_jRbjT5_S1B_jjP12ihipStream_tbEUljE_EEESW_SX_SY_S15_S19_S1B_T6_T7_T9_mT8_S1D_bDpT10_ENKUlT_T0_E_clISt17integral_constantIbLb0EES1P_IbLb1EEEEDaS1L_S1M_EUlS1L_E_NS1_11comp_targetILNS1_3genE5ELNS1_11target_archE942ELNS1_3gpuE9ELNS1_3repE0EEENS1_30default_config_static_selectorELNS0_4arch9wavefront6targetE1EEEvSZ_
    .private_segment_fixed_size: 0
    .sgpr_count:     4
    .sgpr_spill_count: 0
    .symbol:         _ZN7rocprim17ROCPRIM_400000_NS6detail17trampoline_kernelINS0_13select_configILj256ELj13ELNS0_17block_load_methodE3ELS4_3ELS4_3ELNS0_20block_scan_algorithmE0ELj4294967295EEENS1_25partition_config_selectorILNS1_17partition_subalgoE3EjNS0_10empty_typeEbEEZZNS1_14partition_implILS8_3ELb0ES6_jNS0_17counting_iteratorIjlEEPS9_SE_NS0_5tupleIJPjSE_EEENSF_IJSE_SE_EEES9_SG_JZNS1_25segmented_radix_sort_implINS0_14default_configELb1EPK12hip_bfloat16PSL_PKlPlN2at6native12_GLOBAL__N_18offset_tEEE10hipError_tPvRmT1_PNSt15iterator_traitsISZ_E10value_typeET2_T3_PNS10_IS15_E10value_typeET4_jRbjT5_S1B_jjP12ihipStream_tbEUljE_EEESW_SX_SY_S15_S19_S1B_T6_T7_T9_mT8_S1D_bDpT10_ENKUlT_T0_E_clISt17integral_constantIbLb0EES1P_IbLb1EEEEDaS1L_S1M_EUlS1L_E_NS1_11comp_targetILNS1_3genE5ELNS1_11target_archE942ELNS1_3gpuE9ELNS1_3repE0EEENS1_30default_config_static_selectorELNS0_4arch9wavefront6targetE1EEEvSZ_.kd
    .uniform_work_group_size: 1
    .uses_dynamic_stack: false
    .vgpr_count:     0
    .vgpr_spill_count: 0
    .wavefront_size: 64
  - .args:
      - .offset:         0
        .size:           152
        .value_kind:     by_value
    .group_segment_fixed_size: 0
    .kernarg_segment_align: 8
    .kernarg_segment_size: 152
    .language:       OpenCL C
    .language_version:
      - 2
      - 0
    .max_flat_workgroup_size: 256
    .name:           _ZN7rocprim17ROCPRIM_400000_NS6detail17trampoline_kernelINS0_13select_configILj256ELj13ELNS0_17block_load_methodE3ELS4_3ELS4_3ELNS0_20block_scan_algorithmE0ELj4294967295EEENS1_25partition_config_selectorILNS1_17partition_subalgoE3EjNS0_10empty_typeEbEEZZNS1_14partition_implILS8_3ELb0ES6_jNS0_17counting_iteratorIjlEEPS9_SE_NS0_5tupleIJPjSE_EEENSF_IJSE_SE_EEES9_SG_JZNS1_25segmented_radix_sort_implINS0_14default_configELb1EPK12hip_bfloat16PSL_PKlPlN2at6native12_GLOBAL__N_18offset_tEEE10hipError_tPvRmT1_PNSt15iterator_traitsISZ_E10value_typeET2_T3_PNS10_IS15_E10value_typeET4_jRbjT5_S1B_jjP12ihipStream_tbEUljE_EEESW_SX_SY_S15_S19_S1B_T6_T7_T9_mT8_S1D_bDpT10_ENKUlT_T0_E_clISt17integral_constantIbLb0EES1P_IbLb1EEEEDaS1L_S1M_EUlS1L_E_NS1_11comp_targetILNS1_3genE4ELNS1_11target_archE910ELNS1_3gpuE8ELNS1_3repE0EEENS1_30default_config_static_selectorELNS0_4arch9wavefront6targetE1EEEvSZ_
    .private_segment_fixed_size: 0
    .sgpr_count:     4
    .sgpr_spill_count: 0
    .symbol:         _ZN7rocprim17ROCPRIM_400000_NS6detail17trampoline_kernelINS0_13select_configILj256ELj13ELNS0_17block_load_methodE3ELS4_3ELS4_3ELNS0_20block_scan_algorithmE0ELj4294967295EEENS1_25partition_config_selectorILNS1_17partition_subalgoE3EjNS0_10empty_typeEbEEZZNS1_14partition_implILS8_3ELb0ES6_jNS0_17counting_iteratorIjlEEPS9_SE_NS0_5tupleIJPjSE_EEENSF_IJSE_SE_EEES9_SG_JZNS1_25segmented_radix_sort_implINS0_14default_configELb1EPK12hip_bfloat16PSL_PKlPlN2at6native12_GLOBAL__N_18offset_tEEE10hipError_tPvRmT1_PNSt15iterator_traitsISZ_E10value_typeET2_T3_PNS10_IS15_E10value_typeET4_jRbjT5_S1B_jjP12ihipStream_tbEUljE_EEESW_SX_SY_S15_S19_S1B_T6_T7_T9_mT8_S1D_bDpT10_ENKUlT_T0_E_clISt17integral_constantIbLb0EES1P_IbLb1EEEEDaS1L_S1M_EUlS1L_E_NS1_11comp_targetILNS1_3genE4ELNS1_11target_archE910ELNS1_3gpuE8ELNS1_3repE0EEENS1_30default_config_static_selectorELNS0_4arch9wavefront6targetE1EEEvSZ_.kd
    .uniform_work_group_size: 1
    .uses_dynamic_stack: false
    .vgpr_count:     0
    .vgpr_spill_count: 0
    .wavefront_size: 64
  - .args:
      - .offset:         0
        .size:           152
        .value_kind:     by_value
    .group_segment_fixed_size: 0
    .kernarg_segment_align: 8
    .kernarg_segment_size: 152
    .language:       OpenCL C
    .language_version:
      - 2
      - 0
    .max_flat_workgroup_size: 256
    .name:           _ZN7rocprim17ROCPRIM_400000_NS6detail17trampoline_kernelINS0_13select_configILj256ELj13ELNS0_17block_load_methodE3ELS4_3ELS4_3ELNS0_20block_scan_algorithmE0ELj4294967295EEENS1_25partition_config_selectorILNS1_17partition_subalgoE3EjNS0_10empty_typeEbEEZZNS1_14partition_implILS8_3ELb0ES6_jNS0_17counting_iteratorIjlEEPS9_SE_NS0_5tupleIJPjSE_EEENSF_IJSE_SE_EEES9_SG_JZNS1_25segmented_radix_sort_implINS0_14default_configELb1EPK12hip_bfloat16PSL_PKlPlN2at6native12_GLOBAL__N_18offset_tEEE10hipError_tPvRmT1_PNSt15iterator_traitsISZ_E10value_typeET2_T3_PNS10_IS15_E10value_typeET4_jRbjT5_S1B_jjP12ihipStream_tbEUljE_EEESW_SX_SY_S15_S19_S1B_T6_T7_T9_mT8_S1D_bDpT10_ENKUlT_T0_E_clISt17integral_constantIbLb0EES1P_IbLb1EEEEDaS1L_S1M_EUlS1L_E_NS1_11comp_targetILNS1_3genE3ELNS1_11target_archE908ELNS1_3gpuE7ELNS1_3repE0EEENS1_30default_config_static_selectorELNS0_4arch9wavefront6targetE1EEEvSZ_
    .private_segment_fixed_size: 0
    .sgpr_count:     4
    .sgpr_spill_count: 0
    .symbol:         _ZN7rocprim17ROCPRIM_400000_NS6detail17trampoline_kernelINS0_13select_configILj256ELj13ELNS0_17block_load_methodE3ELS4_3ELS4_3ELNS0_20block_scan_algorithmE0ELj4294967295EEENS1_25partition_config_selectorILNS1_17partition_subalgoE3EjNS0_10empty_typeEbEEZZNS1_14partition_implILS8_3ELb0ES6_jNS0_17counting_iteratorIjlEEPS9_SE_NS0_5tupleIJPjSE_EEENSF_IJSE_SE_EEES9_SG_JZNS1_25segmented_radix_sort_implINS0_14default_configELb1EPK12hip_bfloat16PSL_PKlPlN2at6native12_GLOBAL__N_18offset_tEEE10hipError_tPvRmT1_PNSt15iterator_traitsISZ_E10value_typeET2_T3_PNS10_IS15_E10value_typeET4_jRbjT5_S1B_jjP12ihipStream_tbEUljE_EEESW_SX_SY_S15_S19_S1B_T6_T7_T9_mT8_S1D_bDpT10_ENKUlT_T0_E_clISt17integral_constantIbLb0EES1P_IbLb1EEEEDaS1L_S1M_EUlS1L_E_NS1_11comp_targetILNS1_3genE3ELNS1_11target_archE908ELNS1_3gpuE7ELNS1_3repE0EEENS1_30default_config_static_selectorELNS0_4arch9wavefront6targetE1EEEvSZ_.kd
    .uniform_work_group_size: 1
    .uses_dynamic_stack: false
    .vgpr_count:     0
    .vgpr_spill_count: 0
    .wavefront_size: 64
  - .args:
      - .offset:         0
        .size:           152
        .value_kind:     by_value
    .group_segment_fixed_size: 13320
    .kernarg_segment_align: 8
    .kernarg_segment_size: 152
    .language:       OpenCL C
    .language_version:
      - 2
      - 0
    .max_flat_workgroup_size: 256
    .name:           _ZN7rocprim17ROCPRIM_400000_NS6detail17trampoline_kernelINS0_13select_configILj256ELj13ELNS0_17block_load_methodE3ELS4_3ELS4_3ELNS0_20block_scan_algorithmE0ELj4294967295EEENS1_25partition_config_selectorILNS1_17partition_subalgoE3EjNS0_10empty_typeEbEEZZNS1_14partition_implILS8_3ELb0ES6_jNS0_17counting_iteratorIjlEEPS9_SE_NS0_5tupleIJPjSE_EEENSF_IJSE_SE_EEES9_SG_JZNS1_25segmented_radix_sort_implINS0_14default_configELb1EPK12hip_bfloat16PSL_PKlPlN2at6native12_GLOBAL__N_18offset_tEEE10hipError_tPvRmT1_PNSt15iterator_traitsISZ_E10value_typeET2_T3_PNS10_IS15_E10value_typeET4_jRbjT5_S1B_jjP12ihipStream_tbEUljE_EEESW_SX_SY_S15_S19_S1B_T6_T7_T9_mT8_S1D_bDpT10_ENKUlT_T0_E_clISt17integral_constantIbLb0EES1P_IbLb1EEEEDaS1L_S1M_EUlS1L_E_NS1_11comp_targetILNS1_3genE2ELNS1_11target_archE906ELNS1_3gpuE6ELNS1_3repE0EEENS1_30default_config_static_selectorELNS0_4arch9wavefront6targetE1EEEvSZ_
    .private_segment_fixed_size: 0
    .sgpr_count:     50
    .sgpr_spill_count: 0
    .symbol:         _ZN7rocprim17ROCPRIM_400000_NS6detail17trampoline_kernelINS0_13select_configILj256ELj13ELNS0_17block_load_methodE3ELS4_3ELS4_3ELNS0_20block_scan_algorithmE0ELj4294967295EEENS1_25partition_config_selectorILNS1_17partition_subalgoE3EjNS0_10empty_typeEbEEZZNS1_14partition_implILS8_3ELb0ES6_jNS0_17counting_iteratorIjlEEPS9_SE_NS0_5tupleIJPjSE_EEENSF_IJSE_SE_EEES9_SG_JZNS1_25segmented_radix_sort_implINS0_14default_configELb1EPK12hip_bfloat16PSL_PKlPlN2at6native12_GLOBAL__N_18offset_tEEE10hipError_tPvRmT1_PNSt15iterator_traitsISZ_E10value_typeET2_T3_PNS10_IS15_E10value_typeET4_jRbjT5_S1B_jjP12ihipStream_tbEUljE_EEESW_SX_SY_S15_S19_S1B_T6_T7_T9_mT8_S1D_bDpT10_ENKUlT_T0_E_clISt17integral_constantIbLb0EES1P_IbLb1EEEEDaS1L_S1M_EUlS1L_E_NS1_11comp_targetILNS1_3genE2ELNS1_11target_archE906ELNS1_3gpuE6ELNS1_3repE0EEENS1_30default_config_static_selectorELNS0_4arch9wavefront6targetE1EEEvSZ_.kd
    .uniform_work_group_size: 1
    .uses_dynamic_stack: false
    .vgpr_count:     71
    .vgpr_spill_count: 0
    .wavefront_size: 64
  - .args:
      - .offset:         0
        .size:           152
        .value_kind:     by_value
    .group_segment_fixed_size: 0
    .kernarg_segment_align: 8
    .kernarg_segment_size: 152
    .language:       OpenCL C
    .language_version:
      - 2
      - 0
    .max_flat_workgroup_size: 256
    .name:           _ZN7rocprim17ROCPRIM_400000_NS6detail17trampoline_kernelINS0_13select_configILj256ELj13ELNS0_17block_load_methodE3ELS4_3ELS4_3ELNS0_20block_scan_algorithmE0ELj4294967295EEENS1_25partition_config_selectorILNS1_17partition_subalgoE3EjNS0_10empty_typeEbEEZZNS1_14partition_implILS8_3ELb0ES6_jNS0_17counting_iteratorIjlEEPS9_SE_NS0_5tupleIJPjSE_EEENSF_IJSE_SE_EEES9_SG_JZNS1_25segmented_radix_sort_implINS0_14default_configELb1EPK12hip_bfloat16PSL_PKlPlN2at6native12_GLOBAL__N_18offset_tEEE10hipError_tPvRmT1_PNSt15iterator_traitsISZ_E10value_typeET2_T3_PNS10_IS15_E10value_typeET4_jRbjT5_S1B_jjP12ihipStream_tbEUljE_EEESW_SX_SY_S15_S19_S1B_T6_T7_T9_mT8_S1D_bDpT10_ENKUlT_T0_E_clISt17integral_constantIbLb0EES1P_IbLb1EEEEDaS1L_S1M_EUlS1L_E_NS1_11comp_targetILNS1_3genE10ELNS1_11target_archE1200ELNS1_3gpuE4ELNS1_3repE0EEENS1_30default_config_static_selectorELNS0_4arch9wavefront6targetE1EEEvSZ_
    .private_segment_fixed_size: 0
    .sgpr_count:     4
    .sgpr_spill_count: 0
    .symbol:         _ZN7rocprim17ROCPRIM_400000_NS6detail17trampoline_kernelINS0_13select_configILj256ELj13ELNS0_17block_load_methodE3ELS4_3ELS4_3ELNS0_20block_scan_algorithmE0ELj4294967295EEENS1_25partition_config_selectorILNS1_17partition_subalgoE3EjNS0_10empty_typeEbEEZZNS1_14partition_implILS8_3ELb0ES6_jNS0_17counting_iteratorIjlEEPS9_SE_NS0_5tupleIJPjSE_EEENSF_IJSE_SE_EEES9_SG_JZNS1_25segmented_radix_sort_implINS0_14default_configELb1EPK12hip_bfloat16PSL_PKlPlN2at6native12_GLOBAL__N_18offset_tEEE10hipError_tPvRmT1_PNSt15iterator_traitsISZ_E10value_typeET2_T3_PNS10_IS15_E10value_typeET4_jRbjT5_S1B_jjP12ihipStream_tbEUljE_EEESW_SX_SY_S15_S19_S1B_T6_T7_T9_mT8_S1D_bDpT10_ENKUlT_T0_E_clISt17integral_constantIbLb0EES1P_IbLb1EEEEDaS1L_S1M_EUlS1L_E_NS1_11comp_targetILNS1_3genE10ELNS1_11target_archE1200ELNS1_3gpuE4ELNS1_3repE0EEENS1_30default_config_static_selectorELNS0_4arch9wavefront6targetE1EEEvSZ_.kd
    .uniform_work_group_size: 1
    .uses_dynamic_stack: false
    .vgpr_count:     0
    .vgpr_spill_count: 0
    .wavefront_size: 64
  - .args:
      - .offset:         0
        .size:           152
        .value_kind:     by_value
    .group_segment_fixed_size: 0
    .kernarg_segment_align: 8
    .kernarg_segment_size: 152
    .language:       OpenCL C
    .language_version:
      - 2
      - 0
    .max_flat_workgroup_size: 256
    .name:           _ZN7rocprim17ROCPRIM_400000_NS6detail17trampoline_kernelINS0_13select_configILj256ELj13ELNS0_17block_load_methodE3ELS4_3ELS4_3ELNS0_20block_scan_algorithmE0ELj4294967295EEENS1_25partition_config_selectorILNS1_17partition_subalgoE3EjNS0_10empty_typeEbEEZZNS1_14partition_implILS8_3ELb0ES6_jNS0_17counting_iteratorIjlEEPS9_SE_NS0_5tupleIJPjSE_EEENSF_IJSE_SE_EEES9_SG_JZNS1_25segmented_radix_sort_implINS0_14default_configELb1EPK12hip_bfloat16PSL_PKlPlN2at6native12_GLOBAL__N_18offset_tEEE10hipError_tPvRmT1_PNSt15iterator_traitsISZ_E10value_typeET2_T3_PNS10_IS15_E10value_typeET4_jRbjT5_S1B_jjP12ihipStream_tbEUljE_EEESW_SX_SY_S15_S19_S1B_T6_T7_T9_mT8_S1D_bDpT10_ENKUlT_T0_E_clISt17integral_constantIbLb0EES1P_IbLb1EEEEDaS1L_S1M_EUlS1L_E_NS1_11comp_targetILNS1_3genE9ELNS1_11target_archE1100ELNS1_3gpuE3ELNS1_3repE0EEENS1_30default_config_static_selectorELNS0_4arch9wavefront6targetE1EEEvSZ_
    .private_segment_fixed_size: 0
    .sgpr_count:     4
    .sgpr_spill_count: 0
    .symbol:         _ZN7rocprim17ROCPRIM_400000_NS6detail17trampoline_kernelINS0_13select_configILj256ELj13ELNS0_17block_load_methodE3ELS4_3ELS4_3ELNS0_20block_scan_algorithmE0ELj4294967295EEENS1_25partition_config_selectorILNS1_17partition_subalgoE3EjNS0_10empty_typeEbEEZZNS1_14partition_implILS8_3ELb0ES6_jNS0_17counting_iteratorIjlEEPS9_SE_NS0_5tupleIJPjSE_EEENSF_IJSE_SE_EEES9_SG_JZNS1_25segmented_radix_sort_implINS0_14default_configELb1EPK12hip_bfloat16PSL_PKlPlN2at6native12_GLOBAL__N_18offset_tEEE10hipError_tPvRmT1_PNSt15iterator_traitsISZ_E10value_typeET2_T3_PNS10_IS15_E10value_typeET4_jRbjT5_S1B_jjP12ihipStream_tbEUljE_EEESW_SX_SY_S15_S19_S1B_T6_T7_T9_mT8_S1D_bDpT10_ENKUlT_T0_E_clISt17integral_constantIbLb0EES1P_IbLb1EEEEDaS1L_S1M_EUlS1L_E_NS1_11comp_targetILNS1_3genE9ELNS1_11target_archE1100ELNS1_3gpuE3ELNS1_3repE0EEENS1_30default_config_static_selectorELNS0_4arch9wavefront6targetE1EEEvSZ_.kd
    .uniform_work_group_size: 1
    .uses_dynamic_stack: false
    .vgpr_count:     0
    .vgpr_spill_count: 0
    .wavefront_size: 64
  - .args:
      - .offset:         0
        .size:           152
        .value_kind:     by_value
    .group_segment_fixed_size: 0
    .kernarg_segment_align: 8
    .kernarg_segment_size: 152
    .language:       OpenCL C
    .language_version:
      - 2
      - 0
    .max_flat_workgroup_size: 256
    .name:           _ZN7rocprim17ROCPRIM_400000_NS6detail17trampoline_kernelINS0_13select_configILj256ELj13ELNS0_17block_load_methodE3ELS4_3ELS4_3ELNS0_20block_scan_algorithmE0ELj4294967295EEENS1_25partition_config_selectorILNS1_17partition_subalgoE3EjNS0_10empty_typeEbEEZZNS1_14partition_implILS8_3ELb0ES6_jNS0_17counting_iteratorIjlEEPS9_SE_NS0_5tupleIJPjSE_EEENSF_IJSE_SE_EEES9_SG_JZNS1_25segmented_radix_sort_implINS0_14default_configELb1EPK12hip_bfloat16PSL_PKlPlN2at6native12_GLOBAL__N_18offset_tEEE10hipError_tPvRmT1_PNSt15iterator_traitsISZ_E10value_typeET2_T3_PNS10_IS15_E10value_typeET4_jRbjT5_S1B_jjP12ihipStream_tbEUljE_EEESW_SX_SY_S15_S19_S1B_T6_T7_T9_mT8_S1D_bDpT10_ENKUlT_T0_E_clISt17integral_constantIbLb0EES1P_IbLb1EEEEDaS1L_S1M_EUlS1L_E_NS1_11comp_targetILNS1_3genE8ELNS1_11target_archE1030ELNS1_3gpuE2ELNS1_3repE0EEENS1_30default_config_static_selectorELNS0_4arch9wavefront6targetE1EEEvSZ_
    .private_segment_fixed_size: 0
    .sgpr_count:     4
    .sgpr_spill_count: 0
    .symbol:         _ZN7rocprim17ROCPRIM_400000_NS6detail17trampoline_kernelINS0_13select_configILj256ELj13ELNS0_17block_load_methodE3ELS4_3ELS4_3ELNS0_20block_scan_algorithmE0ELj4294967295EEENS1_25partition_config_selectorILNS1_17partition_subalgoE3EjNS0_10empty_typeEbEEZZNS1_14partition_implILS8_3ELb0ES6_jNS0_17counting_iteratorIjlEEPS9_SE_NS0_5tupleIJPjSE_EEENSF_IJSE_SE_EEES9_SG_JZNS1_25segmented_radix_sort_implINS0_14default_configELb1EPK12hip_bfloat16PSL_PKlPlN2at6native12_GLOBAL__N_18offset_tEEE10hipError_tPvRmT1_PNSt15iterator_traitsISZ_E10value_typeET2_T3_PNS10_IS15_E10value_typeET4_jRbjT5_S1B_jjP12ihipStream_tbEUljE_EEESW_SX_SY_S15_S19_S1B_T6_T7_T9_mT8_S1D_bDpT10_ENKUlT_T0_E_clISt17integral_constantIbLb0EES1P_IbLb1EEEEDaS1L_S1M_EUlS1L_E_NS1_11comp_targetILNS1_3genE8ELNS1_11target_archE1030ELNS1_3gpuE2ELNS1_3repE0EEENS1_30default_config_static_selectorELNS0_4arch9wavefront6targetE1EEEvSZ_.kd
    .uniform_work_group_size: 1
    .uses_dynamic_stack: false
    .vgpr_count:     0
    .vgpr_spill_count: 0
    .wavefront_size: 64
  - .args:
      - .offset:         0
        .size:           96
        .value_kind:     by_value
    .group_segment_fixed_size: 0
    .kernarg_segment_align: 8
    .kernarg_segment_size: 96
    .language:       OpenCL C
    .language_version:
      - 2
      - 0
    .max_flat_workgroup_size: 256
    .name:           _ZN7rocprim17ROCPRIM_400000_NS6detail17trampoline_kernelINS0_14default_configENS1_36segmented_radix_sort_config_selectorI12hip_bfloat16lEEZNS1_25segmented_radix_sort_implIS3_Lb1EPKS5_PS5_PKlPlN2at6native12_GLOBAL__N_18offset_tEEE10hipError_tPvRmT1_PNSt15iterator_traitsISL_E10value_typeET2_T3_PNSM_ISR_E10value_typeET4_jRbjT5_SX_jjP12ihipStream_tbEUlT_E_NS1_11comp_targetILNS1_3genE0ELNS1_11target_archE4294967295ELNS1_3gpuE0ELNS1_3repE0EEENS1_30default_config_static_selectorELNS0_4arch9wavefront6targetE1EEEvSL_
    .private_segment_fixed_size: 0
    .sgpr_count:     4
    .sgpr_spill_count: 0
    .symbol:         _ZN7rocprim17ROCPRIM_400000_NS6detail17trampoline_kernelINS0_14default_configENS1_36segmented_radix_sort_config_selectorI12hip_bfloat16lEEZNS1_25segmented_radix_sort_implIS3_Lb1EPKS5_PS5_PKlPlN2at6native12_GLOBAL__N_18offset_tEEE10hipError_tPvRmT1_PNSt15iterator_traitsISL_E10value_typeET2_T3_PNSM_ISR_E10value_typeET4_jRbjT5_SX_jjP12ihipStream_tbEUlT_E_NS1_11comp_targetILNS1_3genE0ELNS1_11target_archE4294967295ELNS1_3gpuE0ELNS1_3repE0EEENS1_30default_config_static_selectorELNS0_4arch9wavefront6targetE1EEEvSL_.kd
    .uniform_work_group_size: 1
    .uses_dynamic_stack: false
    .vgpr_count:     0
    .vgpr_spill_count: 0
    .wavefront_size: 64
  - .args:
      - .offset:         0
        .size:           96
        .value_kind:     by_value
    .group_segment_fixed_size: 0
    .kernarg_segment_align: 8
    .kernarg_segment_size: 96
    .language:       OpenCL C
    .language_version:
      - 2
      - 0
    .max_flat_workgroup_size: 256
    .name:           _ZN7rocprim17ROCPRIM_400000_NS6detail17trampoline_kernelINS0_14default_configENS1_36segmented_radix_sort_config_selectorI12hip_bfloat16lEEZNS1_25segmented_radix_sort_implIS3_Lb1EPKS5_PS5_PKlPlN2at6native12_GLOBAL__N_18offset_tEEE10hipError_tPvRmT1_PNSt15iterator_traitsISL_E10value_typeET2_T3_PNSM_ISR_E10value_typeET4_jRbjT5_SX_jjP12ihipStream_tbEUlT_E_NS1_11comp_targetILNS1_3genE5ELNS1_11target_archE942ELNS1_3gpuE9ELNS1_3repE0EEENS1_30default_config_static_selectorELNS0_4arch9wavefront6targetE1EEEvSL_
    .private_segment_fixed_size: 0
    .sgpr_count:     4
    .sgpr_spill_count: 0
    .symbol:         _ZN7rocprim17ROCPRIM_400000_NS6detail17trampoline_kernelINS0_14default_configENS1_36segmented_radix_sort_config_selectorI12hip_bfloat16lEEZNS1_25segmented_radix_sort_implIS3_Lb1EPKS5_PS5_PKlPlN2at6native12_GLOBAL__N_18offset_tEEE10hipError_tPvRmT1_PNSt15iterator_traitsISL_E10value_typeET2_T3_PNSM_ISR_E10value_typeET4_jRbjT5_SX_jjP12ihipStream_tbEUlT_E_NS1_11comp_targetILNS1_3genE5ELNS1_11target_archE942ELNS1_3gpuE9ELNS1_3repE0EEENS1_30default_config_static_selectorELNS0_4arch9wavefront6targetE1EEEvSL_.kd
    .uniform_work_group_size: 1
    .uses_dynamic_stack: false
    .vgpr_count:     0
    .vgpr_spill_count: 0
    .wavefront_size: 64
  - .args:
      - .offset:         0
        .size:           96
        .value_kind:     by_value
    .group_segment_fixed_size: 0
    .kernarg_segment_align: 8
    .kernarg_segment_size: 96
    .language:       OpenCL C
    .language_version:
      - 2
      - 0
    .max_flat_workgroup_size: 256
    .name:           _ZN7rocprim17ROCPRIM_400000_NS6detail17trampoline_kernelINS0_14default_configENS1_36segmented_radix_sort_config_selectorI12hip_bfloat16lEEZNS1_25segmented_radix_sort_implIS3_Lb1EPKS5_PS5_PKlPlN2at6native12_GLOBAL__N_18offset_tEEE10hipError_tPvRmT1_PNSt15iterator_traitsISL_E10value_typeET2_T3_PNSM_ISR_E10value_typeET4_jRbjT5_SX_jjP12ihipStream_tbEUlT_E_NS1_11comp_targetILNS1_3genE4ELNS1_11target_archE910ELNS1_3gpuE8ELNS1_3repE0EEENS1_30default_config_static_selectorELNS0_4arch9wavefront6targetE1EEEvSL_
    .private_segment_fixed_size: 0
    .sgpr_count:     4
    .sgpr_spill_count: 0
    .symbol:         _ZN7rocprim17ROCPRIM_400000_NS6detail17trampoline_kernelINS0_14default_configENS1_36segmented_radix_sort_config_selectorI12hip_bfloat16lEEZNS1_25segmented_radix_sort_implIS3_Lb1EPKS5_PS5_PKlPlN2at6native12_GLOBAL__N_18offset_tEEE10hipError_tPvRmT1_PNSt15iterator_traitsISL_E10value_typeET2_T3_PNSM_ISR_E10value_typeET4_jRbjT5_SX_jjP12ihipStream_tbEUlT_E_NS1_11comp_targetILNS1_3genE4ELNS1_11target_archE910ELNS1_3gpuE8ELNS1_3repE0EEENS1_30default_config_static_selectorELNS0_4arch9wavefront6targetE1EEEvSL_.kd
    .uniform_work_group_size: 1
    .uses_dynamic_stack: false
    .vgpr_count:     0
    .vgpr_spill_count: 0
    .wavefront_size: 64
  - .args:
      - .offset:         0
        .size:           96
        .value_kind:     by_value
    .group_segment_fixed_size: 0
    .kernarg_segment_align: 8
    .kernarg_segment_size: 96
    .language:       OpenCL C
    .language_version:
      - 2
      - 0
    .max_flat_workgroup_size: 256
    .name:           _ZN7rocprim17ROCPRIM_400000_NS6detail17trampoline_kernelINS0_14default_configENS1_36segmented_radix_sort_config_selectorI12hip_bfloat16lEEZNS1_25segmented_radix_sort_implIS3_Lb1EPKS5_PS5_PKlPlN2at6native12_GLOBAL__N_18offset_tEEE10hipError_tPvRmT1_PNSt15iterator_traitsISL_E10value_typeET2_T3_PNSM_ISR_E10value_typeET4_jRbjT5_SX_jjP12ihipStream_tbEUlT_E_NS1_11comp_targetILNS1_3genE3ELNS1_11target_archE908ELNS1_3gpuE7ELNS1_3repE0EEENS1_30default_config_static_selectorELNS0_4arch9wavefront6targetE1EEEvSL_
    .private_segment_fixed_size: 0
    .sgpr_count:     4
    .sgpr_spill_count: 0
    .symbol:         _ZN7rocprim17ROCPRIM_400000_NS6detail17trampoline_kernelINS0_14default_configENS1_36segmented_radix_sort_config_selectorI12hip_bfloat16lEEZNS1_25segmented_radix_sort_implIS3_Lb1EPKS5_PS5_PKlPlN2at6native12_GLOBAL__N_18offset_tEEE10hipError_tPvRmT1_PNSt15iterator_traitsISL_E10value_typeET2_T3_PNSM_ISR_E10value_typeET4_jRbjT5_SX_jjP12ihipStream_tbEUlT_E_NS1_11comp_targetILNS1_3genE3ELNS1_11target_archE908ELNS1_3gpuE7ELNS1_3repE0EEENS1_30default_config_static_selectorELNS0_4arch9wavefront6targetE1EEEvSL_.kd
    .uniform_work_group_size: 1
    .uses_dynamic_stack: false
    .vgpr_count:     0
    .vgpr_spill_count: 0
    .wavefront_size: 64
  - .args:
      - .offset:         0
        .size:           96
        .value_kind:     by_value
      - .offset:         96
        .size:           4
        .value_kind:     hidden_block_count_x
      - .offset:         100
        .size:           4
        .value_kind:     hidden_block_count_y
      - .offset:         104
        .size:           4
        .value_kind:     hidden_block_count_z
      - .offset:         108
        .size:           2
        .value_kind:     hidden_group_size_x
      - .offset:         110
        .size:           2
        .value_kind:     hidden_group_size_y
      - .offset:         112
        .size:           2
        .value_kind:     hidden_group_size_z
      - .offset:         114
        .size:           2
        .value_kind:     hidden_remainder_x
      - .offset:         116
        .size:           2
        .value_kind:     hidden_remainder_y
      - .offset:         118
        .size:           2
        .value_kind:     hidden_remainder_z
      - .offset:         136
        .size:           8
        .value_kind:     hidden_global_offset_x
      - .offset:         144
        .size:           8
        .value_kind:     hidden_global_offset_y
      - .offset:         152
        .size:           8
        .value_kind:     hidden_global_offset_z
      - .offset:         160
        .size:           2
        .value_kind:     hidden_grid_dims
    .group_segment_fixed_size: 17424
    .kernarg_segment_align: 8
    .kernarg_segment_size: 352
    .language:       OpenCL C
    .language_version:
      - 2
      - 0
    .max_flat_workgroup_size: 256
    .name:           _ZN7rocprim17ROCPRIM_400000_NS6detail17trampoline_kernelINS0_14default_configENS1_36segmented_radix_sort_config_selectorI12hip_bfloat16lEEZNS1_25segmented_radix_sort_implIS3_Lb1EPKS5_PS5_PKlPlN2at6native12_GLOBAL__N_18offset_tEEE10hipError_tPvRmT1_PNSt15iterator_traitsISL_E10value_typeET2_T3_PNSM_ISR_E10value_typeET4_jRbjT5_SX_jjP12ihipStream_tbEUlT_E_NS1_11comp_targetILNS1_3genE2ELNS1_11target_archE906ELNS1_3gpuE6ELNS1_3repE0EEENS1_30default_config_static_selectorELNS0_4arch9wavefront6targetE1EEEvSL_
    .private_segment_fixed_size: 0
    .sgpr_count:     86
    .sgpr_spill_count: 0
    .symbol:         _ZN7rocprim17ROCPRIM_400000_NS6detail17trampoline_kernelINS0_14default_configENS1_36segmented_radix_sort_config_selectorI12hip_bfloat16lEEZNS1_25segmented_radix_sort_implIS3_Lb1EPKS5_PS5_PKlPlN2at6native12_GLOBAL__N_18offset_tEEE10hipError_tPvRmT1_PNSt15iterator_traitsISL_E10value_typeET2_T3_PNSM_ISR_E10value_typeET4_jRbjT5_SX_jjP12ihipStream_tbEUlT_E_NS1_11comp_targetILNS1_3genE2ELNS1_11target_archE906ELNS1_3gpuE6ELNS1_3repE0EEENS1_30default_config_static_selectorELNS0_4arch9wavefront6targetE1EEEvSL_.kd
    .uniform_work_group_size: 1
    .uses_dynamic_stack: false
    .vgpr_count:     195
    .vgpr_spill_count: 0
    .wavefront_size: 64
  - .args:
      - .offset:         0
        .size:           96
        .value_kind:     by_value
    .group_segment_fixed_size: 0
    .kernarg_segment_align: 8
    .kernarg_segment_size: 96
    .language:       OpenCL C
    .language_version:
      - 2
      - 0
    .max_flat_workgroup_size: 256
    .name:           _ZN7rocprim17ROCPRIM_400000_NS6detail17trampoline_kernelINS0_14default_configENS1_36segmented_radix_sort_config_selectorI12hip_bfloat16lEEZNS1_25segmented_radix_sort_implIS3_Lb1EPKS5_PS5_PKlPlN2at6native12_GLOBAL__N_18offset_tEEE10hipError_tPvRmT1_PNSt15iterator_traitsISL_E10value_typeET2_T3_PNSM_ISR_E10value_typeET4_jRbjT5_SX_jjP12ihipStream_tbEUlT_E_NS1_11comp_targetILNS1_3genE10ELNS1_11target_archE1201ELNS1_3gpuE5ELNS1_3repE0EEENS1_30default_config_static_selectorELNS0_4arch9wavefront6targetE1EEEvSL_
    .private_segment_fixed_size: 0
    .sgpr_count:     4
    .sgpr_spill_count: 0
    .symbol:         _ZN7rocprim17ROCPRIM_400000_NS6detail17trampoline_kernelINS0_14default_configENS1_36segmented_radix_sort_config_selectorI12hip_bfloat16lEEZNS1_25segmented_radix_sort_implIS3_Lb1EPKS5_PS5_PKlPlN2at6native12_GLOBAL__N_18offset_tEEE10hipError_tPvRmT1_PNSt15iterator_traitsISL_E10value_typeET2_T3_PNSM_ISR_E10value_typeET4_jRbjT5_SX_jjP12ihipStream_tbEUlT_E_NS1_11comp_targetILNS1_3genE10ELNS1_11target_archE1201ELNS1_3gpuE5ELNS1_3repE0EEENS1_30default_config_static_selectorELNS0_4arch9wavefront6targetE1EEEvSL_.kd
    .uniform_work_group_size: 1
    .uses_dynamic_stack: false
    .vgpr_count:     0
    .vgpr_spill_count: 0
    .wavefront_size: 64
  - .args:
      - .offset:         0
        .size:           96
        .value_kind:     by_value
    .group_segment_fixed_size: 0
    .kernarg_segment_align: 8
    .kernarg_segment_size: 96
    .language:       OpenCL C
    .language_version:
      - 2
      - 0
    .max_flat_workgroup_size: 128
    .name:           _ZN7rocprim17ROCPRIM_400000_NS6detail17trampoline_kernelINS0_14default_configENS1_36segmented_radix_sort_config_selectorI12hip_bfloat16lEEZNS1_25segmented_radix_sort_implIS3_Lb1EPKS5_PS5_PKlPlN2at6native12_GLOBAL__N_18offset_tEEE10hipError_tPvRmT1_PNSt15iterator_traitsISL_E10value_typeET2_T3_PNSM_ISR_E10value_typeET4_jRbjT5_SX_jjP12ihipStream_tbEUlT_E_NS1_11comp_targetILNS1_3genE10ELNS1_11target_archE1200ELNS1_3gpuE4ELNS1_3repE0EEENS1_30default_config_static_selectorELNS0_4arch9wavefront6targetE1EEEvSL_
    .private_segment_fixed_size: 0
    .sgpr_count:     4
    .sgpr_spill_count: 0
    .symbol:         _ZN7rocprim17ROCPRIM_400000_NS6detail17trampoline_kernelINS0_14default_configENS1_36segmented_radix_sort_config_selectorI12hip_bfloat16lEEZNS1_25segmented_radix_sort_implIS3_Lb1EPKS5_PS5_PKlPlN2at6native12_GLOBAL__N_18offset_tEEE10hipError_tPvRmT1_PNSt15iterator_traitsISL_E10value_typeET2_T3_PNSM_ISR_E10value_typeET4_jRbjT5_SX_jjP12ihipStream_tbEUlT_E_NS1_11comp_targetILNS1_3genE10ELNS1_11target_archE1200ELNS1_3gpuE4ELNS1_3repE0EEENS1_30default_config_static_selectorELNS0_4arch9wavefront6targetE1EEEvSL_.kd
    .uniform_work_group_size: 1
    .uses_dynamic_stack: false
    .vgpr_count:     0
    .vgpr_spill_count: 0
    .wavefront_size: 64
  - .args:
      - .offset:         0
        .size:           96
        .value_kind:     by_value
    .group_segment_fixed_size: 0
    .kernarg_segment_align: 8
    .kernarg_segment_size: 96
    .language:       OpenCL C
    .language_version:
      - 2
      - 0
    .max_flat_workgroup_size: 256
    .name:           _ZN7rocprim17ROCPRIM_400000_NS6detail17trampoline_kernelINS0_14default_configENS1_36segmented_radix_sort_config_selectorI12hip_bfloat16lEEZNS1_25segmented_radix_sort_implIS3_Lb1EPKS5_PS5_PKlPlN2at6native12_GLOBAL__N_18offset_tEEE10hipError_tPvRmT1_PNSt15iterator_traitsISL_E10value_typeET2_T3_PNSM_ISR_E10value_typeET4_jRbjT5_SX_jjP12ihipStream_tbEUlT_E_NS1_11comp_targetILNS1_3genE9ELNS1_11target_archE1100ELNS1_3gpuE3ELNS1_3repE0EEENS1_30default_config_static_selectorELNS0_4arch9wavefront6targetE1EEEvSL_
    .private_segment_fixed_size: 0
    .sgpr_count:     4
    .sgpr_spill_count: 0
    .symbol:         _ZN7rocprim17ROCPRIM_400000_NS6detail17trampoline_kernelINS0_14default_configENS1_36segmented_radix_sort_config_selectorI12hip_bfloat16lEEZNS1_25segmented_radix_sort_implIS3_Lb1EPKS5_PS5_PKlPlN2at6native12_GLOBAL__N_18offset_tEEE10hipError_tPvRmT1_PNSt15iterator_traitsISL_E10value_typeET2_T3_PNSM_ISR_E10value_typeET4_jRbjT5_SX_jjP12ihipStream_tbEUlT_E_NS1_11comp_targetILNS1_3genE9ELNS1_11target_archE1100ELNS1_3gpuE3ELNS1_3repE0EEENS1_30default_config_static_selectorELNS0_4arch9wavefront6targetE1EEEvSL_.kd
    .uniform_work_group_size: 1
    .uses_dynamic_stack: false
    .vgpr_count:     0
    .vgpr_spill_count: 0
    .wavefront_size: 64
  - .args:
      - .offset:         0
        .size:           96
        .value_kind:     by_value
    .group_segment_fixed_size: 0
    .kernarg_segment_align: 8
    .kernarg_segment_size: 96
    .language:       OpenCL C
    .language_version:
      - 2
      - 0
    .max_flat_workgroup_size: 256
    .name:           _ZN7rocprim17ROCPRIM_400000_NS6detail17trampoline_kernelINS0_14default_configENS1_36segmented_radix_sort_config_selectorI12hip_bfloat16lEEZNS1_25segmented_radix_sort_implIS3_Lb1EPKS5_PS5_PKlPlN2at6native12_GLOBAL__N_18offset_tEEE10hipError_tPvRmT1_PNSt15iterator_traitsISL_E10value_typeET2_T3_PNSM_ISR_E10value_typeET4_jRbjT5_SX_jjP12ihipStream_tbEUlT_E_NS1_11comp_targetILNS1_3genE8ELNS1_11target_archE1030ELNS1_3gpuE2ELNS1_3repE0EEENS1_30default_config_static_selectorELNS0_4arch9wavefront6targetE1EEEvSL_
    .private_segment_fixed_size: 0
    .sgpr_count:     4
    .sgpr_spill_count: 0
    .symbol:         _ZN7rocprim17ROCPRIM_400000_NS6detail17trampoline_kernelINS0_14default_configENS1_36segmented_radix_sort_config_selectorI12hip_bfloat16lEEZNS1_25segmented_radix_sort_implIS3_Lb1EPKS5_PS5_PKlPlN2at6native12_GLOBAL__N_18offset_tEEE10hipError_tPvRmT1_PNSt15iterator_traitsISL_E10value_typeET2_T3_PNSM_ISR_E10value_typeET4_jRbjT5_SX_jjP12ihipStream_tbEUlT_E_NS1_11comp_targetILNS1_3genE8ELNS1_11target_archE1030ELNS1_3gpuE2ELNS1_3repE0EEENS1_30default_config_static_selectorELNS0_4arch9wavefront6targetE1EEEvSL_.kd
    .uniform_work_group_size: 1
    .uses_dynamic_stack: false
    .vgpr_count:     0
    .vgpr_spill_count: 0
    .wavefront_size: 64
  - .args:
      - .offset:         0
        .size:           88
        .value_kind:     by_value
    .group_segment_fixed_size: 0
    .kernarg_segment_align: 8
    .kernarg_segment_size: 88
    .language:       OpenCL C
    .language_version:
      - 2
      - 0
    .max_flat_workgroup_size: 256
    .name:           _ZN7rocprim17ROCPRIM_400000_NS6detail17trampoline_kernelINS0_14default_configENS1_36segmented_radix_sort_config_selectorI12hip_bfloat16lEEZNS1_25segmented_radix_sort_implIS3_Lb1EPKS5_PS5_PKlPlN2at6native12_GLOBAL__N_18offset_tEEE10hipError_tPvRmT1_PNSt15iterator_traitsISL_E10value_typeET2_T3_PNSM_ISR_E10value_typeET4_jRbjT5_SX_jjP12ihipStream_tbEUlT_E0_NS1_11comp_targetILNS1_3genE0ELNS1_11target_archE4294967295ELNS1_3gpuE0ELNS1_3repE0EEENS1_60segmented_radix_sort_warp_sort_medium_config_static_selectorELNS0_4arch9wavefront6targetE1EEEvSL_
    .private_segment_fixed_size: 0
    .sgpr_count:     4
    .sgpr_spill_count: 0
    .symbol:         _ZN7rocprim17ROCPRIM_400000_NS6detail17trampoline_kernelINS0_14default_configENS1_36segmented_radix_sort_config_selectorI12hip_bfloat16lEEZNS1_25segmented_radix_sort_implIS3_Lb1EPKS5_PS5_PKlPlN2at6native12_GLOBAL__N_18offset_tEEE10hipError_tPvRmT1_PNSt15iterator_traitsISL_E10value_typeET2_T3_PNSM_ISR_E10value_typeET4_jRbjT5_SX_jjP12ihipStream_tbEUlT_E0_NS1_11comp_targetILNS1_3genE0ELNS1_11target_archE4294967295ELNS1_3gpuE0ELNS1_3repE0EEENS1_60segmented_radix_sort_warp_sort_medium_config_static_selectorELNS0_4arch9wavefront6targetE1EEEvSL_.kd
    .uniform_work_group_size: 1
    .uses_dynamic_stack: false
    .vgpr_count:     0
    .vgpr_spill_count: 0
    .wavefront_size: 64
  - .args:
      - .offset:         0
        .size:           88
        .value_kind:     by_value
    .group_segment_fixed_size: 0
    .kernarg_segment_align: 8
    .kernarg_segment_size: 88
    .language:       OpenCL C
    .language_version:
      - 2
      - 0
    .max_flat_workgroup_size: 256
    .name:           _ZN7rocprim17ROCPRIM_400000_NS6detail17trampoline_kernelINS0_14default_configENS1_36segmented_radix_sort_config_selectorI12hip_bfloat16lEEZNS1_25segmented_radix_sort_implIS3_Lb1EPKS5_PS5_PKlPlN2at6native12_GLOBAL__N_18offset_tEEE10hipError_tPvRmT1_PNSt15iterator_traitsISL_E10value_typeET2_T3_PNSM_ISR_E10value_typeET4_jRbjT5_SX_jjP12ihipStream_tbEUlT_E0_NS1_11comp_targetILNS1_3genE5ELNS1_11target_archE942ELNS1_3gpuE9ELNS1_3repE0EEENS1_60segmented_radix_sort_warp_sort_medium_config_static_selectorELNS0_4arch9wavefront6targetE1EEEvSL_
    .private_segment_fixed_size: 0
    .sgpr_count:     4
    .sgpr_spill_count: 0
    .symbol:         _ZN7rocprim17ROCPRIM_400000_NS6detail17trampoline_kernelINS0_14default_configENS1_36segmented_radix_sort_config_selectorI12hip_bfloat16lEEZNS1_25segmented_radix_sort_implIS3_Lb1EPKS5_PS5_PKlPlN2at6native12_GLOBAL__N_18offset_tEEE10hipError_tPvRmT1_PNSt15iterator_traitsISL_E10value_typeET2_T3_PNSM_ISR_E10value_typeET4_jRbjT5_SX_jjP12ihipStream_tbEUlT_E0_NS1_11comp_targetILNS1_3genE5ELNS1_11target_archE942ELNS1_3gpuE9ELNS1_3repE0EEENS1_60segmented_radix_sort_warp_sort_medium_config_static_selectorELNS0_4arch9wavefront6targetE1EEEvSL_.kd
    .uniform_work_group_size: 1
    .uses_dynamic_stack: false
    .vgpr_count:     0
    .vgpr_spill_count: 0
    .wavefront_size: 64
  - .args:
      - .offset:         0
        .size:           88
        .value_kind:     by_value
    .group_segment_fixed_size: 0
    .kernarg_segment_align: 8
    .kernarg_segment_size: 88
    .language:       OpenCL C
    .language_version:
      - 2
      - 0
    .max_flat_workgroup_size: 256
    .name:           _ZN7rocprim17ROCPRIM_400000_NS6detail17trampoline_kernelINS0_14default_configENS1_36segmented_radix_sort_config_selectorI12hip_bfloat16lEEZNS1_25segmented_radix_sort_implIS3_Lb1EPKS5_PS5_PKlPlN2at6native12_GLOBAL__N_18offset_tEEE10hipError_tPvRmT1_PNSt15iterator_traitsISL_E10value_typeET2_T3_PNSM_ISR_E10value_typeET4_jRbjT5_SX_jjP12ihipStream_tbEUlT_E0_NS1_11comp_targetILNS1_3genE4ELNS1_11target_archE910ELNS1_3gpuE8ELNS1_3repE0EEENS1_60segmented_radix_sort_warp_sort_medium_config_static_selectorELNS0_4arch9wavefront6targetE1EEEvSL_
    .private_segment_fixed_size: 0
    .sgpr_count:     4
    .sgpr_spill_count: 0
    .symbol:         _ZN7rocprim17ROCPRIM_400000_NS6detail17trampoline_kernelINS0_14default_configENS1_36segmented_radix_sort_config_selectorI12hip_bfloat16lEEZNS1_25segmented_radix_sort_implIS3_Lb1EPKS5_PS5_PKlPlN2at6native12_GLOBAL__N_18offset_tEEE10hipError_tPvRmT1_PNSt15iterator_traitsISL_E10value_typeET2_T3_PNSM_ISR_E10value_typeET4_jRbjT5_SX_jjP12ihipStream_tbEUlT_E0_NS1_11comp_targetILNS1_3genE4ELNS1_11target_archE910ELNS1_3gpuE8ELNS1_3repE0EEENS1_60segmented_radix_sort_warp_sort_medium_config_static_selectorELNS0_4arch9wavefront6targetE1EEEvSL_.kd
    .uniform_work_group_size: 1
    .uses_dynamic_stack: false
    .vgpr_count:     0
    .vgpr_spill_count: 0
    .wavefront_size: 64
  - .args:
      - .offset:         0
        .size:           88
        .value_kind:     by_value
    .group_segment_fixed_size: 0
    .kernarg_segment_align: 8
    .kernarg_segment_size: 88
    .language:       OpenCL C
    .language_version:
      - 2
      - 0
    .max_flat_workgroup_size: 256
    .name:           _ZN7rocprim17ROCPRIM_400000_NS6detail17trampoline_kernelINS0_14default_configENS1_36segmented_radix_sort_config_selectorI12hip_bfloat16lEEZNS1_25segmented_radix_sort_implIS3_Lb1EPKS5_PS5_PKlPlN2at6native12_GLOBAL__N_18offset_tEEE10hipError_tPvRmT1_PNSt15iterator_traitsISL_E10value_typeET2_T3_PNSM_ISR_E10value_typeET4_jRbjT5_SX_jjP12ihipStream_tbEUlT_E0_NS1_11comp_targetILNS1_3genE3ELNS1_11target_archE908ELNS1_3gpuE7ELNS1_3repE0EEENS1_60segmented_radix_sort_warp_sort_medium_config_static_selectorELNS0_4arch9wavefront6targetE1EEEvSL_
    .private_segment_fixed_size: 0
    .sgpr_count:     4
    .sgpr_spill_count: 0
    .symbol:         _ZN7rocprim17ROCPRIM_400000_NS6detail17trampoline_kernelINS0_14default_configENS1_36segmented_radix_sort_config_selectorI12hip_bfloat16lEEZNS1_25segmented_radix_sort_implIS3_Lb1EPKS5_PS5_PKlPlN2at6native12_GLOBAL__N_18offset_tEEE10hipError_tPvRmT1_PNSt15iterator_traitsISL_E10value_typeET2_T3_PNSM_ISR_E10value_typeET4_jRbjT5_SX_jjP12ihipStream_tbEUlT_E0_NS1_11comp_targetILNS1_3genE3ELNS1_11target_archE908ELNS1_3gpuE7ELNS1_3repE0EEENS1_60segmented_radix_sort_warp_sort_medium_config_static_selectorELNS0_4arch9wavefront6targetE1EEEvSL_.kd
    .uniform_work_group_size: 1
    .uses_dynamic_stack: false
    .vgpr_count:     0
    .vgpr_spill_count: 0
    .wavefront_size: 64
  - .args:
      - .offset:         0
        .size:           88
        .value_kind:     by_value
      - .offset:         88
        .size:           4
        .value_kind:     hidden_block_count_x
      - .offset:         92
        .size:           4
        .value_kind:     hidden_block_count_y
      - .offset:         96
        .size:           4
        .value_kind:     hidden_block_count_z
      - .offset:         100
        .size:           2
        .value_kind:     hidden_group_size_x
      - .offset:         102
        .size:           2
        .value_kind:     hidden_group_size_y
      - .offset:         104
        .size:           2
        .value_kind:     hidden_group_size_z
      - .offset:         106
        .size:           2
        .value_kind:     hidden_remainder_x
      - .offset:         108
        .size:           2
        .value_kind:     hidden_remainder_y
      - .offset:         110
        .size:           2
        .value_kind:     hidden_remainder_z
      - .offset:         128
        .size:           8
        .value_kind:     hidden_global_offset_x
      - .offset:         136
        .size:           8
        .value_kind:     hidden_global_offset_y
      - .offset:         144
        .size:           8
        .value_kind:     hidden_global_offset_z
      - .offset:         152
        .size:           2
        .value_kind:     hidden_grid_dims
    .group_segment_fixed_size: 20480
    .kernarg_segment_align: 8
    .kernarg_segment_size: 344
    .language:       OpenCL C
    .language_version:
      - 2
      - 0
    .max_flat_workgroup_size: 256
    .name:           _ZN7rocprim17ROCPRIM_400000_NS6detail17trampoline_kernelINS0_14default_configENS1_36segmented_radix_sort_config_selectorI12hip_bfloat16lEEZNS1_25segmented_radix_sort_implIS3_Lb1EPKS5_PS5_PKlPlN2at6native12_GLOBAL__N_18offset_tEEE10hipError_tPvRmT1_PNSt15iterator_traitsISL_E10value_typeET2_T3_PNSM_ISR_E10value_typeET4_jRbjT5_SX_jjP12ihipStream_tbEUlT_E0_NS1_11comp_targetILNS1_3genE2ELNS1_11target_archE906ELNS1_3gpuE6ELNS1_3repE0EEENS1_60segmented_radix_sort_warp_sort_medium_config_static_selectorELNS0_4arch9wavefront6targetE1EEEvSL_
    .private_segment_fixed_size: 0
    .sgpr_count:     64
    .sgpr_spill_count: 0
    .symbol:         _ZN7rocprim17ROCPRIM_400000_NS6detail17trampoline_kernelINS0_14default_configENS1_36segmented_radix_sort_config_selectorI12hip_bfloat16lEEZNS1_25segmented_radix_sort_implIS3_Lb1EPKS5_PS5_PKlPlN2at6native12_GLOBAL__N_18offset_tEEE10hipError_tPvRmT1_PNSt15iterator_traitsISL_E10value_typeET2_T3_PNSM_ISR_E10value_typeET4_jRbjT5_SX_jjP12ihipStream_tbEUlT_E0_NS1_11comp_targetILNS1_3genE2ELNS1_11target_archE906ELNS1_3gpuE6ELNS1_3repE0EEENS1_60segmented_radix_sort_warp_sort_medium_config_static_selectorELNS0_4arch9wavefront6targetE1EEEvSL_.kd
    .uniform_work_group_size: 1
    .uses_dynamic_stack: false
    .vgpr_count:     71
    .vgpr_spill_count: 0
    .wavefront_size: 64
  - .args:
      - .offset:         0
        .size:           88
        .value_kind:     by_value
    .group_segment_fixed_size: 0
    .kernarg_segment_align: 8
    .kernarg_segment_size: 88
    .language:       OpenCL C
    .language_version:
      - 2
      - 0
    .max_flat_workgroup_size: 256
    .name:           _ZN7rocprim17ROCPRIM_400000_NS6detail17trampoline_kernelINS0_14default_configENS1_36segmented_radix_sort_config_selectorI12hip_bfloat16lEEZNS1_25segmented_radix_sort_implIS3_Lb1EPKS5_PS5_PKlPlN2at6native12_GLOBAL__N_18offset_tEEE10hipError_tPvRmT1_PNSt15iterator_traitsISL_E10value_typeET2_T3_PNSM_ISR_E10value_typeET4_jRbjT5_SX_jjP12ihipStream_tbEUlT_E0_NS1_11comp_targetILNS1_3genE10ELNS1_11target_archE1201ELNS1_3gpuE5ELNS1_3repE0EEENS1_60segmented_radix_sort_warp_sort_medium_config_static_selectorELNS0_4arch9wavefront6targetE1EEEvSL_
    .private_segment_fixed_size: 0
    .sgpr_count:     4
    .sgpr_spill_count: 0
    .symbol:         _ZN7rocprim17ROCPRIM_400000_NS6detail17trampoline_kernelINS0_14default_configENS1_36segmented_radix_sort_config_selectorI12hip_bfloat16lEEZNS1_25segmented_radix_sort_implIS3_Lb1EPKS5_PS5_PKlPlN2at6native12_GLOBAL__N_18offset_tEEE10hipError_tPvRmT1_PNSt15iterator_traitsISL_E10value_typeET2_T3_PNSM_ISR_E10value_typeET4_jRbjT5_SX_jjP12ihipStream_tbEUlT_E0_NS1_11comp_targetILNS1_3genE10ELNS1_11target_archE1201ELNS1_3gpuE5ELNS1_3repE0EEENS1_60segmented_radix_sort_warp_sort_medium_config_static_selectorELNS0_4arch9wavefront6targetE1EEEvSL_.kd
    .uniform_work_group_size: 1
    .uses_dynamic_stack: false
    .vgpr_count:     0
    .vgpr_spill_count: 0
    .wavefront_size: 64
  - .args:
      - .offset:         0
        .size:           88
        .value_kind:     by_value
    .group_segment_fixed_size: 0
    .kernarg_segment_align: 8
    .kernarg_segment_size: 88
    .language:       OpenCL C
    .language_version:
      - 2
      - 0
    .max_flat_workgroup_size: 256
    .name:           _ZN7rocprim17ROCPRIM_400000_NS6detail17trampoline_kernelINS0_14default_configENS1_36segmented_radix_sort_config_selectorI12hip_bfloat16lEEZNS1_25segmented_radix_sort_implIS3_Lb1EPKS5_PS5_PKlPlN2at6native12_GLOBAL__N_18offset_tEEE10hipError_tPvRmT1_PNSt15iterator_traitsISL_E10value_typeET2_T3_PNSM_ISR_E10value_typeET4_jRbjT5_SX_jjP12ihipStream_tbEUlT_E0_NS1_11comp_targetILNS1_3genE10ELNS1_11target_archE1200ELNS1_3gpuE4ELNS1_3repE0EEENS1_60segmented_radix_sort_warp_sort_medium_config_static_selectorELNS0_4arch9wavefront6targetE1EEEvSL_
    .private_segment_fixed_size: 0
    .sgpr_count:     4
    .sgpr_spill_count: 0
    .symbol:         _ZN7rocprim17ROCPRIM_400000_NS6detail17trampoline_kernelINS0_14default_configENS1_36segmented_radix_sort_config_selectorI12hip_bfloat16lEEZNS1_25segmented_radix_sort_implIS3_Lb1EPKS5_PS5_PKlPlN2at6native12_GLOBAL__N_18offset_tEEE10hipError_tPvRmT1_PNSt15iterator_traitsISL_E10value_typeET2_T3_PNSM_ISR_E10value_typeET4_jRbjT5_SX_jjP12ihipStream_tbEUlT_E0_NS1_11comp_targetILNS1_3genE10ELNS1_11target_archE1200ELNS1_3gpuE4ELNS1_3repE0EEENS1_60segmented_radix_sort_warp_sort_medium_config_static_selectorELNS0_4arch9wavefront6targetE1EEEvSL_.kd
    .uniform_work_group_size: 1
    .uses_dynamic_stack: false
    .vgpr_count:     0
    .vgpr_spill_count: 0
    .wavefront_size: 64
  - .args:
      - .offset:         0
        .size:           88
        .value_kind:     by_value
    .group_segment_fixed_size: 0
    .kernarg_segment_align: 8
    .kernarg_segment_size: 88
    .language:       OpenCL C
    .language_version:
      - 2
      - 0
    .max_flat_workgroup_size: 256
    .name:           _ZN7rocprim17ROCPRIM_400000_NS6detail17trampoline_kernelINS0_14default_configENS1_36segmented_radix_sort_config_selectorI12hip_bfloat16lEEZNS1_25segmented_radix_sort_implIS3_Lb1EPKS5_PS5_PKlPlN2at6native12_GLOBAL__N_18offset_tEEE10hipError_tPvRmT1_PNSt15iterator_traitsISL_E10value_typeET2_T3_PNSM_ISR_E10value_typeET4_jRbjT5_SX_jjP12ihipStream_tbEUlT_E0_NS1_11comp_targetILNS1_3genE9ELNS1_11target_archE1100ELNS1_3gpuE3ELNS1_3repE0EEENS1_60segmented_radix_sort_warp_sort_medium_config_static_selectorELNS0_4arch9wavefront6targetE1EEEvSL_
    .private_segment_fixed_size: 0
    .sgpr_count:     4
    .sgpr_spill_count: 0
    .symbol:         _ZN7rocprim17ROCPRIM_400000_NS6detail17trampoline_kernelINS0_14default_configENS1_36segmented_radix_sort_config_selectorI12hip_bfloat16lEEZNS1_25segmented_radix_sort_implIS3_Lb1EPKS5_PS5_PKlPlN2at6native12_GLOBAL__N_18offset_tEEE10hipError_tPvRmT1_PNSt15iterator_traitsISL_E10value_typeET2_T3_PNSM_ISR_E10value_typeET4_jRbjT5_SX_jjP12ihipStream_tbEUlT_E0_NS1_11comp_targetILNS1_3genE9ELNS1_11target_archE1100ELNS1_3gpuE3ELNS1_3repE0EEENS1_60segmented_radix_sort_warp_sort_medium_config_static_selectorELNS0_4arch9wavefront6targetE1EEEvSL_.kd
    .uniform_work_group_size: 1
    .uses_dynamic_stack: false
    .vgpr_count:     0
    .vgpr_spill_count: 0
    .wavefront_size: 64
  - .args:
      - .offset:         0
        .size:           88
        .value_kind:     by_value
    .group_segment_fixed_size: 0
    .kernarg_segment_align: 8
    .kernarg_segment_size: 88
    .language:       OpenCL C
    .language_version:
      - 2
      - 0
    .max_flat_workgroup_size: 256
    .name:           _ZN7rocprim17ROCPRIM_400000_NS6detail17trampoline_kernelINS0_14default_configENS1_36segmented_radix_sort_config_selectorI12hip_bfloat16lEEZNS1_25segmented_radix_sort_implIS3_Lb1EPKS5_PS5_PKlPlN2at6native12_GLOBAL__N_18offset_tEEE10hipError_tPvRmT1_PNSt15iterator_traitsISL_E10value_typeET2_T3_PNSM_ISR_E10value_typeET4_jRbjT5_SX_jjP12ihipStream_tbEUlT_E0_NS1_11comp_targetILNS1_3genE8ELNS1_11target_archE1030ELNS1_3gpuE2ELNS1_3repE0EEENS1_60segmented_radix_sort_warp_sort_medium_config_static_selectorELNS0_4arch9wavefront6targetE1EEEvSL_
    .private_segment_fixed_size: 0
    .sgpr_count:     4
    .sgpr_spill_count: 0
    .symbol:         _ZN7rocprim17ROCPRIM_400000_NS6detail17trampoline_kernelINS0_14default_configENS1_36segmented_radix_sort_config_selectorI12hip_bfloat16lEEZNS1_25segmented_radix_sort_implIS3_Lb1EPKS5_PS5_PKlPlN2at6native12_GLOBAL__N_18offset_tEEE10hipError_tPvRmT1_PNSt15iterator_traitsISL_E10value_typeET2_T3_PNSM_ISR_E10value_typeET4_jRbjT5_SX_jjP12ihipStream_tbEUlT_E0_NS1_11comp_targetILNS1_3genE8ELNS1_11target_archE1030ELNS1_3gpuE2ELNS1_3repE0EEENS1_60segmented_radix_sort_warp_sort_medium_config_static_selectorELNS0_4arch9wavefront6targetE1EEEvSL_.kd
    .uniform_work_group_size: 1
    .uses_dynamic_stack: false
    .vgpr_count:     0
    .vgpr_spill_count: 0
    .wavefront_size: 64
  - .args:
      - .offset:         0
        .size:           88
        .value_kind:     by_value
    .group_segment_fixed_size: 0
    .kernarg_segment_align: 8
    .kernarg_segment_size: 88
    .language:       OpenCL C
    .language_version:
      - 2
      - 0
    .max_flat_workgroup_size: 256
    .name:           _ZN7rocprim17ROCPRIM_400000_NS6detail17trampoline_kernelINS0_14default_configENS1_36segmented_radix_sort_config_selectorI12hip_bfloat16lEEZNS1_25segmented_radix_sort_implIS3_Lb1EPKS5_PS5_PKlPlN2at6native12_GLOBAL__N_18offset_tEEE10hipError_tPvRmT1_PNSt15iterator_traitsISL_E10value_typeET2_T3_PNSM_ISR_E10value_typeET4_jRbjT5_SX_jjP12ihipStream_tbEUlT_E1_NS1_11comp_targetILNS1_3genE0ELNS1_11target_archE4294967295ELNS1_3gpuE0ELNS1_3repE0EEENS1_59segmented_radix_sort_warp_sort_small_config_static_selectorELNS0_4arch9wavefront6targetE1EEEvSL_
    .private_segment_fixed_size: 0
    .sgpr_count:     4
    .sgpr_spill_count: 0
    .symbol:         _ZN7rocprim17ROCPRIM_400000_NS6detail17trampoline_kernelINS0_14default_configENS1_36segmented_radix_sort_config_selectorI12hip_bfloat16lEEZNS1_25segmented_radix_sort_implIS3_Lb1EPKS5_PS5_PKlPlN2at6native12_GLOBAL__N_18offset_tEEE10hipError_tPvRmT1_PNSt15iterator_traitsISL_E10value_typeET2_T3_PNSM_ISR_E10value_typeET4_jRbjT5_SX_jjP12ihipStream_tbEUlT_E1_NS1_11comp_targetILNS1_3genE0ELNS1_11target_archE4294967295ELNS1_3gpuE0ELNS1_3repE0EEENS1_59segmented_radix_sort_warp_sort_small_config_static_selectorELNS0_4arch9wavefront6targetE1EEEvSL_.kd
    .uniform_work_group_size: 1
    .uses_dynamic_stack: false
    .vgpr_count:     0
    .vgpr_spill_count: 0
    .wavefront_size: 64
  - .args:
      - .offset:         0
        .size:           88
        .value_kind:     by_value
    .group_segment_fixed_size: 0
    .kernarg_segment_align: 8
    .kernarg_segment_size: 88
    .language:       OpenCL C
    .language_version:
      - 2
      - 0
    .max_flat_workgroup_size: 256
    .name:           _ZN7rocprim17ROCPRIM_400000_NS6detail17trampoline_kernelINS0_14default_configENS1_36segmented_radix_sort_config_selectorI12hip_bfloat16lEEZNS1_25segmented_radix_sort_implIS3_Lb1EPKS5_PS5_PKlPlN2at6native12_GLOBAL__N_18offset_tEEE10hipError_tPvRmT1_PNSt15iterator_traitsISL_E10value_typeET2_T3_PNSM_ISR_E10value_typeET4_jRbjT5_SX_jjP12ihipStream_tbEUlT_E1_NS1_11comp_targetILNS1_3genE5ELNS1_11target_archE942ELNS1_3gpuE9ELNS1_3repE0EEENS1_59segmented_radix_sort_warp_sort_small_config_static_selectorELNS0_4arch9wavefront6targetE1EEEvSL_
    .private_segment_fixed_size: 0
    .sgpr_count:     4
    .sgpr_spill_count: 0
    .symbol:         _ZN7rocprim17ROCPRIM_400000_NS6detail17trampoline_kernelINS0_14default_configENS1_36segmented_radix_sort_config_selectorI12hip_bfloat16lEEZNS1_25segmented_radix_sort_implIS3_Lb1EPKS5_PS5_PKlPlN2at6native12_GLOBAL__N_18offset_tEEE10hipError_tPvRmT1_PNSt15iterator_traitsISL_E10value_typeET2_T3_PNSM_ISR_E10value_typeET4_jRbjT5_SX_jjP12ihipStream_tbEUlT_E1_NS1_11comp_targetILNS1_3genE5ELNS1_11target_archE942ELNS1_3gpuE9ELNS1_3repE0EEENS1_59segmented_radix_sort_warp_sort_small_config_static_selectorELNS0_4arch9wavefront6targetE1EEEvSL_.kd
    .uniform_work_group_size: 1
    .uses_dynamic_stack: false
    .vgpr_count:     0
    .vgpr_spill_count: 0
    .wavefront_size: 64
  - .args:
      - .offset:         0
        .size:           88
        .value_kind:     by_value
    .group_segment_fixed_size: 0
    .kernarg_segment_align: 8
    .kernarg_segment_size: 88
    .language:       OpenCL C
    .language_version:
      - 2
      - 0
    .max_flat_workgroup_size: 256
    .name:           _ZN7rocprim17ROCPRIM_400000_NS6detail17trampoline_kernelINS0_14default_configENS1_36segmented_radix_sort_config_selectorI12hip_bfloat16lEEZNS1_25segmented_radix_sort_implIS3_Lb1EPKS5_PS5_PKlPlN2at6native12_GLOBAL__N_18offset_tEEE10hipError_tPvRmT1_PNSt15iterator_traitsISL_E10value_typeET2_T3_PNSM_ISR_E10value_typeET4_jRbjT5_SX_jjP12ihipStream_tbEUlT_E1_NS1_11comp_targetILNS1_3genE4ELNS1_11target_archE910ELNS1_3gpuE8ELNS1_3repE0EEENS1_59segmented_radix_sort_warp_sort_small_config_static_selectorELNS0_4arch9wavefront6targetE1EEEvSL_
    .private_segment_fixed_size: 0
    .sgpr_count:     4
    .sgpr_spill_count: 0
    .symbol:         _ZN7rocprim17ROCPRIM_400000_NS6detail17trampoline_kernelINS0_14default_configENS1_36segmented_radix_sort_config_selectorI12hip_bfloat16lEEZNS1_25segmented_radix_sort_implIS3_Lb1EPKS5_PS5_PKlPlN2at6native12_GLOBAL__N_18offset_tEEE10hipError_tPvRmT1_PNSt15iterator_traitsISL_E10value_typeET2_T3_PNSM_ISR_E10value_typeET4_jRbjT5_SX_jjP12ihipStream_tbEUlT_E1_NS1_11comp_targetILNS1_3genE4ELNS1_11target_archE910ELNS1_3gpuE8ELNS1_3repE0EEENS1_59segmented_radix_sort_warp_sort_small_config_static_selectorELNS0_4arch9wavefront6targetE1EEEvSL_.kd
    .uniform_work_group_size: 1
    .uses_dynamic_stack: false
    .vgpr_count:     0
    .vgpr_spill_count: 0
    .wavefront_size: 64
  - .args:
      - .offset:         0
        .size:           88
        .value_kind:     by_value
    .group_segment_fixed_size: 0
    .kernarg_segment_align: 8
    .kernarg_segment_size: 88
    .language:       OpenCL C
    .language_version:
      - 2
      - 0
    .max_flat_workgroup_size: 256
    .name:           _ZN7rocprim17ROCPRIM_400000_NS6detail17trampoline_kernelINS0_14default_configENS1_36segmented_radix_sort_config_selectorI12hip_bfloat16lEEZNS1_25segmented_radix_sort_implIS3_Lb1EPKS5_PS5_PKlPlN2at6native12_GLOBAL__N_18offset_tEEE10hipError_tPvRmT1_PNSt15iterator_traitsISL_E10value_typeET2_T3_PNSM_ISR_E10value_typeET4_jRbjT5_SX_jjP12ihipStream_tbEUlT_E1_NS1_11comp_targetILNS1_3genE3ELNS1_11target_archE908ELNS1_3gpuE7ELNS1_3repE0EEENS1_59segmented_radix_sort_warp_sort_small_config_static_selectorELNS0_4arch9wavefront6targetE1EEEvSL_
    .private_segment_fixed_size: 0
    .sgpr_count:     4
    .sgpr_spill_count: 0
    .symbol:         _ZN7rocprim17ROCPRIM_400000_NS6detail17trampoline_kernelINS0_14default_configENS1_36segmented_radix_sort_config_selectorI12hip_bfloat16lEEZNS1_25segmented_radix_sort_implIS3_Lb1EPKS5_PS5_PKlPlN2at6native12_GLOBAL__N_18offset_tEEE10hipError_tPvRmT1_PNSt15iterator_traitsISL_E10value_typeET2_T3_PNSM_ISR_E10value_typeET4_jRbjT5_SX_jjP12ihipStream_tbEUlT_E1_NS1_11comp_targetILNS1_3genE3ELNS1_11target_archE908ELNS1_3gpuE7ELNS1_3repE0EEENS1_59segmented_radix_sort_warp_sort_small_config_static_selectorELNS0_4arch9wavefront6targetE1EEEvSL_.kd
    .uniform_work_group_size: 1
    .uses_dynamic_stack: false
    .vgpr_count:     0
    .vgpr_spill_count: 0
    .wavefront_size: 64
  - .args:
      - .offset:         0
        .size:           88
        .value_kind:     by_value
      - .offset:         88
        .size:           4
        .value_kind:     hidden_block_count_x
      - .offset:         92
        .size:           4
        .value_kind:     hidden_block_count_y
      - .offset:         96
        .size:           4
        .value_kind:     hidden_block_count_z
      - .offset:         100
        .size:           2
        .value_kind:     hidden_group_size_x
      - .offset:         102
        .size:           2
        .value_kind:     hidden_group_size_y
      - .offset:         104
        .size:           2
        .value_kind:     hidden_group_size_z
      - .offset:         106
        .size:           2
        .value_kind:     hidden_remainder_x
      - .offset:         108
        .size:           2
        .value_kind:     hidden_remainder_y
      - .offset:         110
        .size:           2
        .value_kind:     hidden_remainder_z
      - .offset:         128
        .size:           8
        .value_kind:     hidden_global_offset_x
      - .offset:         136
        .size:           8
        .value_kind:     hidden_global_offset_y
      - .offset:         144
        .size:           8
        .value_kind:     hidden_global_offset_z
      - .offset:         152
        .size:           2
        .value_kind:     hidden_grid_dims
    .group_segment_fixed_size: 10240
    .kernarg_segment_align: 8
    .kernarg_segment_size: 344
    .language:       OpenCL C
    .language_version:
      - 2
      - 0
    .max_flat_workgroup_size: 256
    .name:           _ZN7rocprim17ROCPRIM_400000_NS6detail17trampoline_kernelINS0_14default_configENS1_36segmented_radix_sort_config_selectorI12hip_bfloat16lEEZNS1_25segmented_radix_sort_implIS3_Lb1EPKS5_PS5_PKlPlN2at6native12_GLOBAL__N_18offset_tEEE10hipError_tPvRmT1_PNSt15iterator_traitsISL_E10value_typeET2_T3_PNSM_ISR_E10value_typeET4_jRbjT5_SX_jjP12ihipStream_tbEUlT_E1_NS1_11comp_targetILNS1_3genE2ELNS1_11target_archE906ELNS1_3gpuE6ELNS1_3repE0EEENS1_59segmented_radix_sort_warp_sort_small_config_static_selectorELNS0_4arch9wavefront6targetE1EEEvSL_
    .private_segment_fixed_size: 0
    .sgpr_count:     52
    .sgpr_spill_count: 0
    .symbol:         _ZN7rocprim17ROCPRIM_400000_NS6detail17trampoline_kernelINS0_14default_configENS1_36segmented_radix_sort_config_selectorI12hip_bfloat16lEEZNS1_25segmented_radix_sort_implIS3_Lb1EPKS5_PS5_PKlPlN2at6native12_GLOBAL__N_18offset_tEEE10hipError_tPvRmT1_PNSt15iterator_traitsISL_E10value_typeET2_T3_PNSM_ISR_E10value_typeET4_jRbjT5_SX_jjP12ihipStream_tbEUlT_E1_NS1_11comp_targetILNS1_3genE2ELNS1_11target_archE906ELNS1_3gpuE6ELNS1_3repE0EEENS1_59segmented_radix_sort_warp_sort_small_config_static_selectorELNS0_4arch9wavefront6targetE1EEEvSL_.kd
    .uniform_work_group_size: 1
    .uses_dynamic_stack: false
    .vgpr_count:     65
    .vgpr_spill_count: 0
    .wavefront_size: 64
  - .args:
      - .offset:         0
        .size:           88
        .value_kind:     by_value
    .group_segment_fixed_size: 0
    .kernarg_segment_align: 8
    .kernarg_segment_size: 88
    .language:       OpenCL C
    .language_version:
      - 2
      - 0
    .max_flat_workgroup_size: 256
    .name:           _ZN7rocprim17ROCPRIM_400000_NS6detail17trampoline_kernelINS0_14default_configENS1_36segmented_radix_sort_config_selectorI12hip_bfloat16lEEZNS1_25segmented_radix_sort_implIS3_Lb1EPKS5_PS5_PKlPlN2at6native12_GLOBAL__N_18offset_tEEE10hipError_tPvRmT1_PNSt15iterator_traitsISL_E10value_typeET2_T3_PNSM_ISR_E10value_typeET4_jRbjT5_SX_jjP12ihipStream_tbEUlT_E1_NS1_11comp_targetILNS1_3genE10ELNS1_11target_archE1201ELNS1_3gpuE5ELNS1_3repE0EEENS1_59segmented_radix_sort_warp_sort_small_config_static_selectorELNS0_4arch9wavefront6targetE1EEEvSL_
    .private_segment_fixed_size: 0
    .sgpr_count:     4
    .sgpr_spill_count: 0
    .symbol:         _ZN7rocprim17ROCPRIM_400000_NS6detail17trampoline_kernelINS0_14default_configENS1_36segmented_radix_sort_config_selectorI12hip_bfloat16lEEZNS1_25segmented_radix_sort_implIS3_Lb1EPKS5_PS5_PKlPlN2at6native12_GLOBAL__N_18offset_tEEE10hipError_tPvRmT1_PNSt15iterator_traitsISL_E10value_typeET2_T3_PNSM_ISR_E10value_typeET4_jRbjT5_SX_jjP12ihipStream_tbEUlT_E1_NS1_11comp_targetILNS1_3genE10ELNS1_11target_archE1201ELNS1_3gpuE5ELNS1_3repE0EEENS1_59segmented_radix_sort_warp_sort_small_config_static_selectorELNS0_4arch9wavefront6targetE1EEEvSL_.kd
    .uniform_work_group_size: 1
    .uses_dynamic_stack: false
    .vgpr_count:     0
    .vgpr_spill_count: 0
    .wavefront_size: 64
  - .args:
      - .offset:         0
        .size:           88
        .value_kind:     by_value
    .group_segment_fixed_size: 0
    .kernarg_segment_align: 8
    .kernarg_segment_size: 88
    .language:       OpenCL C
    .language_version:
      - 2
      - 0
    .max_flat_workgroup_size: 256
    .name:           _ZN7rocprim17ROCPRIM_400000_NS6detail17trampoline_kernelINS0_14default_configENS1_36segmented_radix_sort_config_selectorI12hip_bfloat16lEEZNS1_25segmented_radix_sort_implIS3_Lb1EPKS5_PS5_PKlPlN2at6native12_GLOBAL__N_18offset_tEEE10hipError_tPvRmT1_PNSt15iterator_traitsISL_E10value_typeET2_T3_PNSM_ISR_E10value_typeET4_jRbjT5_SX_jjP12ihipStream_tbEUlT_E1_NS1_11comp_targetILNS1_3genE10ELNS1_11target_archE1200ELNS1_3gpuE4ELNS1_3repE0EEENS1_59segmented_radix_sort_warp_sort_small_config_static_selectorELNS0_4arch9wavefront6targetE1EEEvSL_
    .private_segment_fixed_size: 0
    .sgpr_count:     4
    .sgpr_spill_count: 0
    .symbol:         _ZN7rocprim17ROCPRIM_400000_NS6detail17trampoline_kernelINS0_14default_configENS1_36segmented_radix_sort_config_selectorI12hip_bfloat16lEEZNS1_25segmented_radix_sort_implIS3_Lb1EPKS5_PS5_PKlPlN2at6native12_GLOBAL__N_18offset_tEEE10hipError_tPvRmT1_PNSt15iterator_traitsISL_E10value_typeET2_T3_PNSM_ISR_E10value_typeET4_jRbjT5_SX_jjP12ihipStream_tbEUlT_E1_NS1_11comp_targetILNS1_3genE10ELNS1_11target_archE1200ELNS1_3gpuE4ELNS1_3repE0EEENS1_59segmented_radix_sort_warp_sort_small_config_static_selectorELNS0_4arch9wavefront6targetE1EEEvSL_.kd
    .uniform_work_group_size: 1
    .uses_dynamic_stack: false
    .vgpr_count:     0
    .vgpr_spill_count: 0
    .wavefront_size: 64
  - .args:
      - .offset:         0
        .size:           88
        .value_kind:     by_value
    .group_segment_fixed_size: 0
    .kernarg_segment_align: 8
    .kernarg_segment_size: 88
    .language:       OpenCL C
    .language_version:
      - 2
      - 0
    .max_flat_workgroup_size: 256
    .name:           _ZN7rocprim17ROCPRIM_400000_NS6detail17trampoline_kernelINS0_14default_configENS1_36segmented_radix_sort_config_selectorI12hip_bfloat16lEEZNS1_25segmented_radix_sort_implIS3_Lb1EPKS5_PS5_PKlPlN2at6native12_GLOBAL__N_18offset_tEEE10hipError_tPvRmT1_PNSt15iterator_traitsISL_E10value_typeET2_T3_PNSM_ISR_E10value_typeET4_jRbjT5_SX_jjP12ihipStream_tbEUlT_E1_NS1_11comp_targetILNS1_3genE9ELNS1_11target_archE1100ELNS1_3gpuE3ELNS1_3repE0EEENS1_59segmented_radix_sort_warp_sort_small_config_static_selectorELNS0_4arch9wavefront6targetE1EEEvSL_
    .private_segment_fixed_size: 0
    .sgpr_count:     4
    .sgpr_spill_count: 0
    .symbol:         _ZN7rocprim17ROCPRIM_400000_NS6detail17trampoline_kernelINS0_14default_configENS1_36segmented_radix_sort_config_selectorI12hip_bfloat16lEEZNS1_25segmented_radix_sort_implIS3_Lb1EPKS5_PS5_PKlPlN2at6native12_GLOBAL__N_18offset_tEEE10hipError_tPvRmT1_PNSt15iterator_traitsISL_E10value_typeET2_T3_PNSM_ISR_E10value_typeET4_jRbjT5_SX_jjP12ihipStream_tbEUlT_E1_NS1_11comp_targetILNS1_3genE9ELNS1_11target_archE1100ELNS1_3gpuE3ELNS1_3repE0EEENS1_59segmented_radix_sort_warp_sort_small_config_static_selectorELNS0_4arch9wavefront6targetE1EEEvSL_.kd
    .uniform_work_group_size: 1
    .uses_dynamic_stack: false
    .vgpr_count:     0
    .vgpr_spill_count: 0
    .wavefront_size: 64
  - .args:
      - .offset:         0
        .size:           88
        .value_kind:     by_value
    .group_segment_fixed_size: 0
    .kernarg_segment_align: 8
    .kernarg_segment_size: 88
    .language:       OpenCL C
    .language_version:
      - 2
      - 0
    .max_flat_workgroup_size: 256
    .name:           _ZN7rocprim17ROCPRIM_400000_NS6detail17trampoline_kernelINS0_14default_configENS1_36segmented_radix_sort_config_selectorI12hip_bfloat16lEEZNS1_25segmented_radix_sort_implIS3_Lb1EPKS5_PS5_PKlPlN2at6native12_GLOBAL__N_18offset_tEEE10hipError_tPvRmT1_PNSt15iterator_traitsISL_E10value_typeET2_T3_PNSM_ISR_E10value_typeET4_jRbjT5_SX_jjP12ihipStream_tbEUlT_E1_NS1_11comp_targetILNS1_3genE8ELNS1_11target_archE1030ELNS1_3gpuE2ELNS1_3repE0EEENS1_59segmented_radix_sort_warp_sort_small_config_static_selectorELNS0_4arch9wavefront6targetE1EEEvSL_
    .private_segment_fixed_size: 0
    .sgpr_count:     4
    .sgpr_spill_count: 0
    .symbol:         _ZN7rocprim17ROCPRIM_400000_NS6detail17trampoline_kernelINS0_14default_configENS1_36segmented_radix_sort_config_selectorI12hip_bfloat16lEEZNS1_25segmented_radix_sort_implIS3_Lb1EPKS5_PS5_PKlPlN2at6native12_GLOBAL__N_18offset_tEEE10hipError_tPvRmT1_PNSt15iterator_traitsISL_E10value_typeET2_T3_PNSM_ISR_E10value_typeET4_jRbjT5_SX_jjP12ihipStream_tbEUlT_E1_NS1_11comp_targetILNS1_3genE8ELNS1_11target_archE1030ELNS1_3gpuE2ELNS1_3repE0EEENS1_59segmented_radix_sort_warp_sort_small_config_static_selectorELNS0_4arch9wavefront6targetE1EEEvSL_.kd
    .uniform_work_group_size: 1
    .uses_dynamic_stack: false
    .vgpr_count:     0
    .vgpr_spill_count: 0
    .wavefront_size: 64
  - .args:
      - .offset:         0
        .size:           80
        .value_kind:     by_value
    .group_segment_fixed_size: 0
    .kernarg_segment_align: 8
    .kernarg_segment_size: 80
    .language:       OpenCL C
    .language_version:
      - 2
      - 0
    .max_flat_workgroup_size: 256
    .name:           _ZN7rocprim17ROCPRIM_400000_NS6detail17trampoline_kernelINS0_14default_configENS1_36segmented_radix_sort_config_selectorI12hip_bfloat16lEEZNS1_25segmented_radix_sort_implIS3_Lb1EPKS5_PS5_PKlPlN2at6native12_GLOBAL__N_18offset_tEEE10hipError_tPvRmT1_PNSt15iterator_traitsISL_E10value_typeET2_T3_PNSM_ISR_E10value_typeET4_jRbjT5_SX_jjP12ihipStream_tbEUlT_E2_NS1_11comp_targetILNS1_3genE0ELNS1_11target_archE4294967295ELNS1_3gpuE0ELNS1_3repE0EEENS1_30default_config_static_selectorELNS0_4arch9wavefront6targetE1EEEvSL_
    .private_segment_fixed_size: 0
    .sgpr_count:     4
    .sgpr_spill_count: 0
    .symbol:         _ZN7rocprim17ROCPRIM_400000_NS6detail17trampoline_kernelINS0_14default_configENS1_36segmented_radix_sort_config_selectorI12hip_bfloat16lEEZNS1_25segmented_radix_sort_implIS3_Lb1EPKS5_PS5_PKlPlN2at6native12_GLOBAL__N_18offset_tEEE10hipError_tPvRmT1_PNSt15iterator_traitsISL_E10value_typeET2_T3_PNSM_ISR_E10value_typeET4_jRbjT5_SX_jjP12ihipStream_tbEUlT_E2_NS1_11comp_targetILNS1_3genE0ELNS1_11target_archE4294967295ELNS1_3gpuE0ELNS1_3repE0EEENS1_30default_config_static_selectorELNS0_4arch9wavefront6targetE1EEEvSL_.kd
    .uniform_work_group_size: 1
    .uses_dynamic_stack: false
    .vgpr_count:     0
    .vgpr_spill_count: 0
    .wavefront_size: 64
  - .args:
      - .offset:         0
        .size:           80
        .value_kind:     by_value
    .group_segment_fixed_size: 0
    .kernarg_segment_align: 8
    .kernarg_segment_size: 80
    .language:       OpenCL C
    .language_version:
      - 2
      - 0
    .max_flat_workgroup_size: 256
    .name:           _ZN7rocprim17ROCPRIM_400000_NS6detail17trampoline_kernelINS0_14default_configENS1_36segmented_radix_sort_config_selectorI12hip_bfloat16lEEZNS1_25segmented_radix_sort_implIS3_Lb1EPKS5_PS5_PKlPlN2at6native12_GLOBAL__N_18offset_tEEE10hipError_tPvRmT1_PNSt15iterator_traitsISL_E10value_typeET2_T3_PNSM_ISR_E10value_typeET4_jRbjT5_SX_jjP12ihipStream_tbEUlT_E2_NS1_11comp_targetILNS1_3genE5ELNS1_11target_archE942ELNS1_3gpuE9ELNS1_3repE0EEENS1_30default_config_static_selectorELNS0_4arch9wavefront6targetE1EEEvSL_
    .private_segment_fixed_size: 0
    .sgpr_count:     4
    .sgpr_spill_count: 0
    .symbol:         _ZN7rocprim17ROCPRIM_400000_NS6detail17trampoline_kernelINS0_14default_configENS1_36segmented_radix_sort_config_selectorI12hip_bfloat16lEEZNS1_25segmented_radix_sort_implIS3_Lb1EPKS5_PS5_PKlPlN2at6native12_GLOBAL__N_18offset_tEEE10hipError_tPvRmT1_PNSt15iterator_traitsISL_E10value_typeET2_T3_PNSM_ISR_E10value_typeET4_jRbjT5_SX_jjP12ihipStream_tbEUlT_E2_NS1_11comp_targetILNS1_3genE5ELNS1_11target_archE942ELNS1_3gpuE9ELNS1_3repE0EEENS1_30default_config_static_selectorELNS0_4arch9wavefront6targetE1EEEvSL_.kd
    .uniform_work_group_size: 1
    .uses_dynamic_stack: false
    .vgpr_count:     0
    .vgpr_spill_count: 0
    .wavefront_size: 64
  - .args:
      - .offset:         0
        .size:           80
        .value_kind:     by_value
    .group_segment_fixed_size: 0
    .kernarg_segment_align: 8
    .kernarg_segment_size: 80
    .language:       OpenCL C
    .language_version:
      - 2
      - 0
    .max_flat_workgroup_size: 256
    .name:           _ZN7rocprim17ROCPRIM_400000_NS6detail17trampoline_kernelINS0_14default_configENS1_36segmented_radix_sort_config_selectorI12hip_bfloat16lEEZNS1_25segmented_radix_sort_implIS3_Lb1EPKS5_PS5_PKlPlN2at6native12_GLOBAL__N_18offset_tEEE10hipError_tPvRmT1_PNSt15iterator_traitsISL_E10value_typeET2_T3_PNSM_ISR_E10value_typeET4_jRbjT5_SX_jjP12ihipStream_tbEUlT_E2_NS1_11comp_targetILNS1_3genE4ELNS1_11target_archE910ELNS1_3gpuE8ELNS1_3repE0EEENS1_30default_config_static_selectorELNS0_4arch9wavefront6targetE1EEEvSL_
    .private_segment_fixed_size: 0
    .sgpr_count:     4
    .sgpr_spill_count: 0
    .symbol:         _ZN7rocprim17ROCPRIM_400000_NS6detail17trampoline_kernelINS0_14default_configENS1_36segmented_radix_sort_config_selectorI12hip_bfloat16lEEZNS1_25segmented_radix_sort_implIS3_Lb1EPKS5_PS5_PKlPlN2at6native12_GLOBAL__N_18offset_tEEE10hipError_tPvRmT1_PNSt15iterator_traitsISL_E10value_typeET2_T3_PNSM_ISR_E10value_typeET4_jRbjT5_SX_jjP12ihipStream_tbEUlT_E2_NS1_11comp_targetILNS1_3genE4ELNS1_11target_archE910ELNS1_3gpuE8ELNS1_3repE0EEENS1_30default_config_static_selectorELNS0_4arch9wavefront6targetE1EEEvSL_.kd
    .uniform_work_group_size: 1
    .uses_dynamic_stack: false
    .vgpr_count:     0
    .vgpr_spill_count: 0
    .wavefront_size: 64
  - .args:
      - .offset:         0
        .size:           80
        .value_kind:     by_value
    .group_segment_fixed_size: 0
    .kernarg_segment_align: 8
    .kernarg_segment_size: 80
    .language:       OpenCL C
    .language_version:
      - 2
      - 0
    .max_flat_workgroup_size: 256
    .name:           _ZN7rocprim17ROCPRIM_400000_NS6detail17trampoline_kernelINS0_14default_configENS1_36segmented_radix_sort_config_selectorI12hip_bfloat16lEEZNS1_25segmented_radix_sort_implIS3_Lb1EPKS5_PS5_PKlPlN2at6native12_GLOBAL__N_18offset_tEEE10hipError_tPvRmT1_PNSt15iterator_traitsISL_E10value_typeET2_T3_PNSM_ISR_E10value_typeET4_jRbjT5_SX_jjP12ihipStream_tbEUlT_E2_NS1_11comp_targetILNS1_3genE3ELNS1_11target_archE908ELNS1_3gpuE7ELNS1_3repE0EEENS1_30default_config_static_selectorELNS0_4arch9wavefront6targetE1EEEvSL_
    .private_segment_fixed_size: 0
    .sgpr_count:     4
    .sgpr_spill_count: 0
    .symbol:         _ZN7rocprim17ROCPRIM_400000_NS6detail17trampoline_kernelINS0_14default_configENS1_36segmented_radix_sort_config_selectorI12hip_bfloat16lEEZNS1_25segmented_radix_sort_implIS3_Lb1EPKS5_PS5_PKlPlN2at6native12_GLOBAL__N_18offset_tEEE10hipError_tPvRmT1_PNSt15iterator_traitsISL_E10value_typeET2_T3_PNSM_ISR_E10value_typeET4_jRbjT5_SX_jjP12ihipStream_tbEUlT_E2_NS1_11comp_targetILNS1_3genE3ELNS1_11target_archE908ELNS1_3gpuE7ELNS1_3repE0EEENS1_30default_config_static_selectorELNS0_4arch9wavefront6targetE1EEEvSL_.kd
    .uniform_work_group_size: 1
    .uses_dynamic_stack: false
    .vgpr_count:     0
    .vgpr_spill_count: 0
    .wavefront_size: 64
  - .args:
      - .offset:         0
        .size:           80
        .value_kind:     by_value
      - .offset:         80
        .size:           4
        .value_kind:     hidden_block_count_x
      - .offset:         84
        .size:           4
        .value_kind:     hidden_block_count_y
      - .offset:         88
        .size:           4
        .value_kind:     hidden_block_count_z
      - .offset:         92
        .size:           2
        .value_kind:     hidden_group_size_x
      - .offset:         94
        .size:           2
        .value_kind:     hidden_group_size_y
      - .offset:         96
        .size:           2
        .value_kind:     hidden_group_size_z
      - .offset:         98
        .size:           2
        .value_kind:     hidden_remainder_x
      - .offset:         100
        .size:           2
        .value_kind:     hidden_remainder_y
      - .offset:         102
        .size:           2
        .value_kind:     hidden_remainder_z
      - .offset:         120
        .size:           8
        .value_kind:     hidden_global_offset_x
      - .offset:         128
        .size:           8
        .value_kind:     hidden_global_offset_y
      - .offset:         136
        .size:           8
        .value_kind:     hidden_global_offset_z
      - .offset:         144
        .size:           2
        .value_kind:     hidden_grid_dims
    .group_segment_fixed_size: 17424
    .kernarg_segment_align: 8
    .kernarg_segment_size: 336
    .language:       OpenCL C
    .language_version:
      - 2
      - 0
    .max_flat_workgroup_size: 256
    .name:           _ZN7rocprim17ROCPRIM_400000_NS6detail17trampoline_kernelINS0_14default_configENS1_36segmented_radix_sort_config_selectorI12hip_bfloat16lEEZNS1_25segmented_radix_sort_implIS3_Lb1EPKS5_PS5_PKlPlN2at6native12_GLOBAL__N_18offset_tEEE10hipError_tPvRmT1_PNSt15iterator_traitsISL_E10value_typeET2_T3_PNSM_ISR_E10value_typeET4_jRbjT5_SX_jjP12ihipStream_tbEUlT_E2_NS1_11comp_targetILNS1_3genE2ELNS1_11target_archE906ELNS1_3gpuE6ELNS1_3repE0EEENS1_30default_config_static_selectorELNS0_4arch9wavefront6targetE1EEEvSL_
    .private_segment_fixed_size: 0
    .sgpr_count:     85
    .sgpr_spill_count: 0
    .symbol:         _ZN7rocprim17ROCPRIM_400000_NS6detail17trampoline_kernelINS0_14default_configENS1_36segmented_radix_sort_config_selectorI12hip_bfloat16lEEZNS1_25segmented_radix_sort_implIS3_Lb1EPKS5_PS5_PKlPlN2at6native12_GLOBAL__N_18offset_tEEE10hipError_tPvRmT1_PNSt15iterator_traitsISL_E10value_typeET2_T3_PNSM_ISR_E10value_typeET4_jRbjT5_SX_jjP12ihipStream_tbEUlT_E2_NS1_11comp_targetILNS1_3genE2ELNS1_11target_archE906ELNS1_3gpuE6ELNS1_3repE0EEENS1_30default_config_static_selectorELNS0_4arch9wavefront6targetE1EEEvSL_.kd
    .uniform_work_group_size: 1
    .uses_dynamic_stack: false
    .vgpr_count:     195
    .vgpr_spill_count: 0
    .wavefront_size: 64
  - .args:
      - .offset:         0
        .size:           80
        .value_kind:     by_value
    .group_segment_fixed_size: 0
    .kernarg_segment_align: 8
    .kernarg_segment_size: 80
    .language:       OpenCL C
    .language_version:
      - 2
      - 0
    .max_flat_workgroup_size: 256
    .name:           _ZN7rocprim17ROCPRIM_400000_NS6detail17trampoline_kernelINS0_14default_configENS1_36segmented_radix_sort_config_selectorI12hip_bfloat16lEEZNS1_25segmented_radix_sort_implIS3_Lb1EPKS5_PS5_PKlPlN2at6native12_GLOBAL__N_18offset_tEEE10hipError_tPvRmT1_PNSt15iterator_traitsISL_E10value_typeET2_T3_PNSM_ISR_E10value_typeET4_jRbjT5_SX_jjP12ihipStream_tbEUlT_E2_NS1_11comp_targetILNS1_3genE10ELNS1_11target_archE1201ELNS1_3gpuE5ELNS1_3repE0EEENS1_30default_config_static_selectorELNS0_4arch9wavefront6targetE1EEEvSL_
    .private_segment_fixed_size: 0
    .sgpr_count:     4
    .sgpr_spill_count: 0
    .symbol:         _ZN7rocprim17ROCPRIM_400000_NS6detail17trampoline_kernelINS0_14default_configENS1_36segmented_radix_sort_config_selectorI12hip_bfloat16lEEZNS1_25segmented_radix_sort_implIS3_Lb1EPKS5_PS5_PKlPlN2at6native12_GLOBAL__N_18offset_tEEE10hipError_tPvRmT1_PNSt15iterator_traitsISL_E10value_typeET2_T3_PNSM_ISR_E10value_typeET4_jRbjT5_SX_jjP12ihipStream_tbEUlT_E2_NS1_11comp_targetILNS1_3genE10ELNS1_11target_archE1201ELNS1_3gpuE5ELNS1_3repE0EEENS1_30default_config_static_selectorELNS0_4arch9wavefront6targetE1EEEvSL_.kd
    .uniform_work_group_size: 1
    .uses_dynamic_stack: false
    .vgpr_count:     0
    .vgpr_spill_count: 0
    .wavefront_size: 64
  - .args:
      - .offset:         0
        .size:           80
        .value_kind:     by_value
    .group_segment_fixed_size: 0
    .kernarg_segment_align: 8
    .kernarg_segment_size: 80
    .language:       OpenCL C
    .language_version:
      - 2
      - 0
    .max_flat_workgroup_size: 128
    .name:           _ZN7rocprim17ROCPRIM_400000_NS6detail17trampoline_kernelINS0_14default_configENS1_36segmented_radix_sort_config_selectorI12hip_bfloat16lEEZNS1_25segmented_radix_sort_implIS3_Lb1EPKS5_PS5_PKlPlN2at6native12_GLOBAL__N_18offset_tEEE10hipError_tPvRmT1_PNSt15iterator_traitsISL_E10value_typeET2_T3_PNSM_ISR_E10value_typeET4_jRbjT5_SX_jjP12ihipStream_tbEUlT_E2_NS1_11comp_targetILNS1_3genE10ELNS1_11target_archE1200ELNS1_3gpuE4ELNS1_3repE0EEENS1_30default_config_static_selectorELNS0_4arch9wavefront6targetE1EEEvSL_
    .private_segment_fixed_size: 0
    .sgpr_count:     4
    .sgpr_spill_count: 0
    .symbol:         _ZN7rocprim17ROCPRIM_400000_NS6detail17trampoline_kernelINS0_14default_configENS1_36segmented_radix_sort_config_selectorI12hip_bfloat16lEEZNS1_25segmented_radix_sort_implIS3_Lb1EPKS5_PS5_PKlPlN2at6native12_GLOBAL__N_18offset_tEEE10hipError_tPvRmT1_PNSt15iterator_traitsISL_E10value_typeET2_T3_PNSM_ISR_E10value_typeET4_jRbjT5_SX_jjP12ihipStream_tbEUlT_E2_NS1_11comp_targetILNS1_3genE10ELNS1_11target_archE1200ELNS1_3gpuE4ELNS1_3repE0EEENS1_30default_config_static_selectorELNS0_4arch9wavefront6targetE1EEEvSL_.kd
    .uniform_work_group_size: 1
    .uses_dynamic_stack: false
    .vgpr_count:     0
    .vgpr_spill_count: 0
    .wavefront_size: 64
  - .args:
      - .offset:         0
        .size:           80
        .value_kind:     by_value
    .group_segment_fixed_size: 0
    .kernarg_segment_align: 8
    .kernarg_segment_size: 80
    .language:       OpenCL C
    .language_version:
      - 2
      - 0
    .max_flat_workgroup_size: 256
    .name:           _ZN7rocprim17ROCPRIM_400000_NS6detail17trampoline_kernelINS0_14default_configENS1_36segmented_radix_sort_config_selectorI12hip_bfloat16lEEZNS1_25segmented_radix_sort_implIS3_Lb1EPKS5_PS5_PKlPlN2at6native12_GLOBAL__N_18offset_tEEE10hipError_tPvRmT1_PNSt15iterator_traitsISL_E10value_typeET2_T3_PNSM_ISR_E10value_typeET4_jRbjT5_SX_jjP12ihipStream_tbEUlT_E2_NS1_11comp_targetILNS1_3genE9ELNS1_11target_archE1100ELNS1_3gpuE3ELNS1_3repE0EEENS1_30default_config_static_selectorELNS0_4arch9wavefront6targetE1EEEvSL_
    .private_segment_fixed_size: 0
    .sgpr_count:     4
    .sgpr_spill_count: 0
    .symbol:         _ZN7rocprim17ROCPRIM_400000_NS6detail17trampoline_kernelINS0_14default_configENS1_36segmented_radix_sort_config_selectorI12hip_bfloat16lEEZNS1_25segmented_radix_sort_implIS3_Lb1EPKS5_PS5_PKlPlN2at6native12_GLOBAL__N_18offset_tEEE10hipError_tPvRmT1_PNSt15iterator_traitsISL_E10value_typeET2_T3_PNSM_ISR_E10value_typeET4_jRbjT5_SX_jjP12ihipStream_tbEUlT_E2_NS1_11comp_targetILNS1_3genE9ELNS1_11target_archE1100ELNS1_3gpuE3ELNS1_3repE0EEENS1_30default_config_static_selectorELNS0_4arch9wavefront6targetE1EEEvSL_.kd
    .uniform_work_group_size: 1
    .uses_dynamic_stack: false
    .vgpr_count:     0
    .vgpr_spill_count: 0
    .wavefront_size: 64
  - .args:
      - .offset:         0
        .size:           80
        .value_kind:     by_value
    .group_segment_fixed_size: 0
    .kernarg_segment_align: 8
    .kernarg_segment_size: 80
    .language:       OpenCL C
    .language_version:
      - 2
      - 0
    .max_flat_workgroup_size: 256
    .name:           _ZN7rocprim17ROCPRIM_400000_NS6detail17trampoline_kernelINS0_14default_configENS1_36segmented_radix_sort_config_selectorI12hip_bfloat16lEEZNS1_25segmented_radix_sort_implIS3_Lb1EPKS5_PS5_PKlPlN2at6native12_GLOBAL__N_18offset_tEEE10hipError_tPvRmT1_PNSt15iterator_traitsISL_E10value_typeET2_T3_PNSM_ISR_E10value_typeET4_jRbjT5_SX_jjP12ihipStream_tbEUlT_E2_NS1_11comp_targetILNS1_3genE8ELNS1_11target_archE1030ELNS1_3gpuE2ELNS1_3repE0EEENS1_30default_config_static_selectorELNS0_4arch9wavefront6targetE1EEEvSL_
    .private_segment_fixed_size: 0
    .sgpr_count:     4
    .sgpr_spill_count: 0
    .symbol:         _ZN7rocprim17ROCPRIM_400000_NS6detail17trampoline_kernelINS0_14default_configENS1_36segmented_radix_sort_config_selectorI12hip_bfloat16lEEZNS1_25segmented_radix_sort_implIS3_Lb1EPKS5_PS5_PKlPlN2at6native12_GLOBAL__N_18offset_tEEE10hipError_tPvRmT1_PNSt15iterator_traitsISL_E10value_typeET2_T3_PNSM_ISR_E10value_typeET4_jRbjT5_SX_jjP12ihipStream_tbEUlT_E2_NS1_11comp_targetILNS1_3genE8ELNS1_11target_archE1030ELNS1_3gpuE2ELNS1_3repE0EEENS1_30default_config_static_selectorELNS0_4arch9wavefront6targetE1EEEvSL_.kd
    .uniform_work_group_size: 1
    .uses_dynamic_stack: false
    .vgpr_count:     0
    .vgpr_spill_count: 0
    .wavefront_size: 64
  - .args:
      - .offset:         0
        .size:           176
        .value_kind:     by_value
    .group_segment_fixed_size: 0
    .kernarg_segment_align: 8
    .kernarg_segment_size: 176
    .language:       OpenCL C
    .language_version:
      - 2
      - 0
    .max_flat_workgroup_size: 256
    .name:           _ZN7rocprim17ROCPRIM_400000_NS6detail17trampoline_kernelINS0_13select_configILj256ELj13ELNS0_17block_load_methodE3ELS4_3ELS4_3ELNS0_20block_scan_algorithmE0ELj4294967295EEENS1_25partition_config_selectorILNS1_17partition_subalgoE4EjNS0_10empty_typeEbEEZZNS1_14partition_implILS8_4ELb0ES6_15HIP_vector_typeIjLj2EENS0_17counting_iteratorIjlEEPS9_SG_NS0_5tupleIJPjSI_NS0_16reverse_iteratorISI_EEEEENSH_IJSG_SG_SG_EEES9_SI_JZNS1_25segmented_radix_sort_implINS0_14default_configELb0EPK12hip_bfloat16PSP_PKlPlN2at6native12_GLOBAL__N_18offset_tEEE10hipError_tPvRmT1_PNSt15iterator_traitsIS13_E10value_typeET2_T3_PNS14_IS19_E10value_typeET4_jRbjT5_S1F_jjP12ihipStream_tbEUljE_ZNSN_ISO_Lb0ESR_SS_SU_SV_SZ_EES10_S11_S12_S13_S17_S18_S19_S1C_S1D_jS1E_jS1F_S1F_jjS1H_bEUljE0_EEES10_S11_S12_S19_S1D_S1F_T6_T7_T9_mT8_S1H_bDpT10_ENKUlT_T0_E_clISt17integral_constantIbLb0EES1V_EEDaS1Q_S1R_EUlS1Q_E_NS1_11comp_targetILNS1_3genE0ELNS1_11target_archE4294967295ELNS1_3gpuE0ELNS1_3repE0EEENS1_30default_config_static_selectorELNS0_4arch9wavefront6targetE1EEEvS13_
    .private_segment_fixed_size: 0
    .sgpr_count:     4
    .sgpr_spill_count: 0
    .symbol:         _ZN7rocprim17ROCPRIM_400000_NS6detail17trampoline_kernelINS0_13select_configILj256ELj13ELNS0_17block_load_methodE3ELS4_3ELS4_3ELNS0_20block_scan_algorithmE0ELj4294967295EEENS1_25partition_config_selectorILNS1_17partition_subalgoE4EjNS0_10empty_typeEbEEZZNS1_14partition_implILS8_4ELb0ES6_15HIP_vector_typeIjLj2EENS0_17counting_iteratorIjlEEPS9_SG_NS0_5tupleIJPjSI_NS0_16reverse_iteratorISI_EEEEENSH_IJSG_SG_SG_EEES9_SI_JZNS1_25segmented_radix_sort_implINS0_14default_configELb0EPK12hip_bfloat16PSP_PKlPlN2at6native12_GLOBAL__N_18offset_tEEE10hipError_tPvRmT1_PNSt15iterator_traitsIS13_E10value_typeET2_T3_PNS14_IS19_E10value_typeET4_jRbjT5_S1F_jjP12ihipStream_tbEUljE_ZNSN_ISO_Lb0ESR_SS_SU_SV_SZ_EES10_S11_S12_S13_S17_S18_S19_S1C_S1D_jS1E_jS1F_S1F_jjS1H_bEUljE0_EEES10_S11_S12_S19_S1D_S1F_T6_T7_T9_mT8_S1H_bDpT10_ENKUlT_T0_E_clISt17integral_constantIbLb0EES1V_EEDaS1Q_S1R_EUlS1Q_E_NS1_11comp_targetILNS1_3genE0ELNS1_11target_archE4294967295ELNS1_3gpuE0ELNS1_3repE0EEENS1_30default_config_static_selectorELNS0_4arch9wavefront6targetE1EEEvS13_.kd
    .uniform_work_group_size: 1
    .uses_dynamic_stack: false
    .vgpr_count:     0
    .vgpr_spill_count: 0
    .wavefront_size: 64
  - .args:
      - .offset:         0
        .size:           176
        .value_kind:     by_value
    .group_segment_fixed_size: 0
    .kernarg_segment_align: 8
    .kernarg_segment_size: 176
    .language:       OpenCL C
    .language_version:
      - 2
      - 0
    .max_flat_workgroup_size: 256
    .name:           _ZN7rocprim17ROCPRIM_400000_NS6detail17trampoline_kernelINS0_13select_configILj256ELj13ELNS0_17block_load_methodE3ELS4_3ELS4_3ELNS0_20block_scan_algorithmE0ELj4294967295EEENS1_25partition_config_selectorILNS1_17partition_subalgoE4EjNS0_10empty_typeEbEEZZNS1_14partition_implILS8_4ELb0ES6_15HIP_vector_typeIjLj2EENS0_17counting_iteratorIjlEEPS9_SG_NS0_5tupleIJPjSI_NS0_16reverse_iteratorISI_EEEEENSH_IJSG_SG_SG_EEES9_SI_JZNS1_25segmented_radix_sort_implINS0_14default_configELb0EPK12hip_bfloat16PSP_PKlPlN2at6native12_GLOBAL__N_18offset_tEEE10hipError_tPvRmT1_PNSt15iterator_traitsIS13_E10value_typeET2_T3_PNS14_IS19_E10value_typeET4_jRbjT5_S1F_jjP12ihipStream_tbEUljE_ZNSN_ISO_Lb0ESR_SS_SU_SV_SZ_EES10_S11_S12_S13_S17_S18_S19_S1C_S1D_jS1E_jS1F_S1F_jjS1H_bEUljE0_EEES10_S11_S12_S19_S1D_S1F_T6_T7_T9_mT8_S1H_bDpT10_ENKUlT_T0_E_clISt17integral_constantIbLb0EES1V_EEDaS1Q_S1R_EUlS1Q_E_NS1_11comp_targetILNS1_3genE5ELNS1_11target_archE942ELNS1_3gpuE9ELNS1_3repE0EEENS1_30default_config_static_selectorELNS0_4arch9wavefront6targetE1EEEvS13_
    .private_segment_fixed_size: 0
    .sgpr_count:     4
    .sgpr_spill_count: 0
    .symbol:         _ZN7rocprim17ROCPRIM_400000_NS6detail17trampoline_kernelINS0_13select_configILj256ELj13ELNS0_17block_load_methodE3ELS4_3ELS4_3ELNS0_20block_scan_algorithmE0ELj4294967295EEENS1_25partition_config_selectorILNS1_17partition_subalgoE4EjNS0_10empty_typeEbEEZZNS1_14partition_implILS8_4ELb0ES6_15HIP_vector_typeIjLj2EENS0_17counting_iteratorIjlEEPS9_SG_NS0_5tupleIJPjSI_NS0_16reverse_iteratorISI_EEEEENSH_IJSG_SG_SG_EEES9_SI_JZNS1_25segmented_radix_sort_implINS0_14default_configELb0EPK12hip_bfloat16PSP_PKlPlN2at6native12_GLOBAL__N_18offset_tEEE10hipError_tPvRmT1_PNSt15iterator_traitsIS13_E10value_typeET2_T3_PNS14_IS19_E10value_typeET4_jRbjT5_S1F_jjP12ihipStream_tbEUljE_ZNSN_ISO_Lb0ESR_SS_SU_SV_SZ_EES10_S11_S12_S13_S17_S18_S19_S1C_S1D_jS1E_jS1F_S1F_jjS1H_bEUljE0_EEES10_S11_S12_S19_S1D_S1F_T6_T7_T9_mT8_S1H_bDpT10_ENKUlT_T0_E_clISt17integral_constantIbLb0EES1V_EEDaS1Q_S1R_EUlS1Q_E_NS1_11comp_targetILNS1_3genE5ELNS1_11target_archE942ELNS1_3gpuE9ELNS1_3repE0EEENS1_30default_config_static_selectorELNS0_4arch9wavefront6targetE1EEEvS13_.kd
    .uniform_work_group_size: 1
    .uses_dynamic_stack: false
    .vgpr_count:     0
    .vgpr_spill_count: 0
    .wavefront_size: 64
  - .args:
      - .offset:         0
        .size:           176
        .value_kind:     by_value
    .group_segment_fixed_size: 0
    .kernarg_segment_align: 8
    .kernarg_segment_size: 176
    .language:       OpenCL C
    .language_version:
      - 2
      - 0
    .max_flat_workgroup_size: 256
    .name:           _ZN7rocprim17ROCPRIM_400000_NS6detail17trampoline_kernelINS0_13select_configILj256ELj13ELNS0_17block_load_methodE3ELS4_3ELS4_3ELNS0_20block_scan_algorithmE0ELj4294967295EEENS1_25partition_config_selectorILNS1_17partition_subalgoE4EjNS0_10empty_typeEbEEZZNS1_14partition_implILS8_4ELb0ES6_15HIP_vector_typeIjLj2EENS0_17counting_iteratorIjlEEPS9_SG_NS0_5tupleIJPjSI_NS0_16reverse_iteratorISI_EEEEENSH_IJSG_SG_SG_EEES9_SI_JZNS1_25segmented_radix_sort_implINS0_14default_configELb0EPK12hip_bfloat16PSP_PKlPlN2at6native12_GLOBAL__N_18offset_tEEE10hipError_tPvRmT1_PNSt15iterator_traitsIS13_E10value_typeET2_T3_PNS14_IS19_E10value_typeET4_jRbjT5_S1F_jjP12ihipStream_tbEUljE_ZNSN_ISO_Lb0ESR_SS_SU_SV_SZ_EES10_S11_S12_S13_S17_S18_S19_S1C_S1D_jS1E_jS1F_S1F_jjS1H_bEUljE0_EEES10_S11_S12_S19_S1D_S1F_T6_T7_T9_mT8_S1H_bDpT10_ENKUlT_T0_E_clISt17integral_constantIbLb0EES1V_EEDaS1Q_S1R_EUlS1Q_E_NS1_11comp_targetILNS1_3genE4ELNS1_11target_archE910ELNS1_3gpuE8ELNS1_3repE0EEENS1_30default_config_static_selectorELNS0_4arch9wavefront6targetE1EEEvS13_
    .private_segment_fixed_size: 0
    .sgpr_count:     4
    .sgpr_spill_count: 0
    .symbol:         _ZN7rocprim17ROCPRIM_400000_NS6detail17trampoline_kernelINS0_13select_configILj256ELj13ELNS0_17block_load_methodE3ELS4_3ELS4_3ELNS0_20block_scan_algorithmE0ELj4294967295EEENS1_25partition_config_selectorILNS1_17partition_subalgoE4EjNS0_10empty_typeEbEEZZNS1_14partition_implILS8_4ELb0ES6_15HIP_vector_typeIjLj2EENS0_17counting_iteratorIjlEEPS9_SG_NS0_5tupleIJPjSI_NS0_16reverse_iteratorISI_EEEEENSH_IJSG_SG_SG_EEES9_SI_JZNS1_25segmented_radix_sort_implINS0_14default_configELb0EPK12hip_bfloat16PSP_PKlPlN2at6native12_GLOBAL__N_18offset_tEEE10hipError_tPvRmT1_PNSt15iterator_traitsIS13_E10value_typeET2_T3_PNS14_IS19_E10value_typeET4_jRbjT5_S1F_jjP12ihipStream_tbEUljE_ZNSN_ISO_Lb0ESR_SS_SU_SV_SZ_EES10_S11_S12_S13_S17_S18_S19_S1C_S1D_jS1E_jS1F_S1F_jjS1H_bEUljE0_EEES10_S11_S12_S19_S1D_S1F_T6_T7_T9_mT8_S1H_bDpT10_ENKUlT_T0_E_clISt17integral_constantIbLb0EES1V_EEDaS1Q_S1R_EUlS1Q_E_NS1_11comp_targetILNS1_3genE4ELNS1_11target_archE910ELNS1_3gpuE8ELNS1_3repE0EEENS1_30default_config_static_selectorELNS0_4arch9wavefront6targetE1EEEvS13_.kd
    .uniform_work_group_size: 1
    .uses_dynamic_stack: false
    .vgpr_count:     0
    .vgpr_spill_count: 0
    .wavefront_size: 64
  - .args:
      - .offset:         0
        .size:           176
        .value_kind:     by_value
    .group_segment_fixed_size: 0
    .kernarg_segment_align: 8
    .kernarg_segment_size: 176
    .language:       OpenCL C
    .language_version:
      - 2
      - 0
    .max_flat_workgroup_size: 256
    .name:           _ZN7rocprim17ROCPRIM_400000_NS6detail17trampoline_kernelINS0_13select_configILj256ELj13ELNS0_17block_load_methodE3ELS4_3ELS4_3ELNS0_20block_scan_algorithmE0ELj4294967295EEENS1_25partition_config_selectorILNS1_17partition_subalgoE4EjNS0_10empty_typeEbEEZZNS1_14partition_implILS8_4ELb0ES6_15HIP_vector_typeIjLj2EENS0_17counting_iteratorIjlEEPS9_SG_NS0_5tupleIJPjSI_NS0_16reverse_iteratorISI_EEEEENSH_IJSG_SG_SG_EEES9_SI_JZNS1_25segmented_radix_sort_implINS0_14default_configELb0EPK12hip_bfloat16PSP_PKlPlN2at6native12_GLOBAL__N_18offset_tEEE10hipError_tPvRmT1_PNSt15iterator_traitsIS13_E10value_typeET2_T3_PNS14_IS19_E10value_typeET4_jRbjT5_S1F_jjP12ihipStream_tbEUljE_ZNSN_ISO_Lb0ESR_SS_SU_SV_SZ_EES10_S11_S12_S13_S17_S18_S19_S1C_S1D_jS1E_jS1F_S1F_jjS1H_bEUljE0_EEES10_S11_S12_S19_S1D_S1F_T6_T7_T9_mT8_S1H_bDpT10_ENKUlT_T0_E_clISt17integral_constantIbLb0EES1V_EEDaS1Q_S1R_EUlS1Q_E_NS1_11comp_targetILNS1_3genE3ELNS1_11target_archE908ELNS1_3gpuE7ELNS1_3repE0EEENS1_30default_config_static_selectorELNS0_4arch9wavefront6targetE1EEEvS13_
    .private_segment_fixed_size: 0
    .sgpr_count:     4
    .sgpr_spill_count: 0
    .symbol:         _ZN7rocprim17ROCPRIM_400000_NS6detail17trampoline_kernelINS0_13select_configILj256ELj13ELNS0_17block_load_methodE3ELS4_3ELS4_3ELNS0_20block_scan_algorithmE0ELj4294967295EEENS1_25partition_config_selectorILNS1_17partition_subalgoE4EjNS0_10empty_typeEbEEZZNS1_14partition_implILS8_4ELb0ES6_15HIP_vector_typeIjLj2EENS0_17counting_iteratorIjlEEPS9_SG_NS0_5tupleIJPjSI_NS0_16reverse_iteratorISI_EEEEENSH_IJSG_SG_SG_EEES9_SI_JZNS1_25segmented_radix_sort_implINS0_14default_configELb0EPK12hip_bfloat16PSP_PKlPlN2at6native12_GLOBAL__N_18offset_tEEE10hipError_tPvRmT1_PNSt15iterator_traitsIS13_E10value_typeET2_T3_PNS14_IS19_E10value_typeET4_jRbjT5_S1F_jjP12ihipStream_tbEUljE_ZNSN_ISO_Lb0ESR_SS_SU_SV_SZ_EES10_S11_S12_S13_S17_S18_S19_S1C_S1D_jS1E_jS1F_S1F_jjS1H_bEUljE0_EEES10_S11_S12_S19_S1D_S1F_T6_T7_T9_mT8_S1H_bDpT10_ENKUlT_T0_E_clISt17integral_constantIbLb0EES1V_EEDaS1Q_S1R_EUlS1Q_E_NS1_11comp_targetILNS1_3genE3ELNS1_11target_archE908ELNS1_3gpuE7ELNS1_3repE0EEENS1_30default_config_static_selectorELNS0_4arch9wavefront6targetE1EEEvS13_.kd
    .uniform_work_group_size: 1
    .uses_dynamic_stack: false
    .vgpr_count:     0
    .vgpr_spill_count: 0
    .wavefront_size: 64
  - .args:
      - .offset:         0
        .size:           176
        .value_kind:     by_value
    .group_segment_fixed_size: 13328
    .kernarg_segment_align: 8
    .kernarg_segment_size: 176
    .language:       OpenCL C
    .language_version:
      - 2
      - 0
    .max_flat_workgroup_size: 256
    .name:           _ZN7rocprim17ROCPRIM_400000_NS6detail17trampoline_kernelINS0_13select_configILj256ELj13ELNS0_17block_load_methodE3ELS4_3ELS4_3ELNS0_20block_scan_algorithmE0ELj4294967295EEENS1_25partition_config_selectorILNS1_17partition_subalgoE4EjNS0_10empty_typeEbEEZZNS1_14partition_implILS8_4ELb0ES6_15HIP_vector_typeIjLj2EENS0_17counting_iteratorIjlEEPS9_SG_NS0_5tupleIJPjSI_NS0_16reverse_iteratorISI_EEEEENSH_IJSG_SG_SG_EEES9_SI_JZNS1_25segmented_radix_sort_implINS0_14default_configELb0EPK12hip_bfloat16PSP_PKlPlN2at6native12_GLOBAL__N_18offset_tEEE10hipError_tPvRmT1_PNSt15iterator_traitsIS13_E10value_typeET2_T3_PNS14_IS19_E10value_typeET4_jRbjT5_S1F_jjP12ihipStream_tbEUljE_ZNSN_ISO_Lb0ESR_SS_SU_SV_SZ_EES10_S11_S12_S13_S17_S18_S19_S1C_S1D_jS1E_jS1F_S1F_jjS1H_bEUljE0_EEES10_S11_S12_S19_S1D_S1F_T6_T7_T9_mT8_S1H_bDpT10_ENKUlT_T0_E_clISt17integral_constantIbLb0EES1V_EEDaS1Q_S1R_EUlS1Q_E_NS1_11comp_targetILNS1_3genE2ELNS1_11target_archE906ELNS1_3gpuE6ELNS1_3repE0EEENS1_30default_config_static_selectorELNS0_4arch9wavefront6targetE1EEEvS13_
    .private_segment_fixed_size: 0
    .sgpr_count:     94
    .sgpr_spill_count: 0
    .symbol:         _ZN7rocprim17ROCPRIM_400000_NS6detail17trampoline_kernelINS0_13select_configILj256ELj13ELNS0_17block_load_methodE3ELS4_3ELS4_3ELNS0_20block_scan_algorithmE0ELj4294967295EEENS1_25partition_config_selectorILNS1_17partition_subalgoE4EjNS0_10empty_typeEbEEZZNS1_14partition_implILS8_4ELb0ES6_15HIP_vector_typeIjLj2EENS0_17counting_iteratorIjlEEPS9_SG_NS0_5tupleIJPjSI_NS0_16reverse_iteratorISI_EEEEENSH_IJSG_SG_SG_EEES9_SI_JZNS1_25segmented_radix_sort_implINS0_14default_configELb0EPK12hip_bfloat16PSP_PKlPlN2at6native12_GLOBAL__N_18offset_tEEE10hipError_tPvRmT1_PNSt15iterator_traitsIS13_E10value_typeET2_T3_PNS14_IS19_E10value_typeET4_jRbjT5_S1F_jjP12ihipStream_tbEUljE_ZNSN_ISO_Lb0ESR_SS_SU_SV_SZ_EES10_S11_S12_S13_S17_S18_S19_S1C_S1D_jS1E_jS1F_S1F_jjS1H_bEUljE0_EEES10_S11_S12_S19_S1D_S1F_T6_T7_T9_mT8_S1H_bDpT10_ENKUlT_T0_E_clISt17integral_constantIbLb0EES1V_EEDaS1Q_S1R_EUlS1Q_E_NS1_11comp_targetILNS1_3genE2ELNS1_11target_archE906ELNS1_3gpuE6ELNS1_3repE0EEENS1_30default_config_static_selectorELNS0_4arch9wavefront6targetE1EEEvS13_.kd
    .uniform_work_group_size: 1
    .uses_dynamic_stack: false
    .vgpr_count:     86
    .vgpr_spill_count: 0
    .wavefront_size: 64
  - .args:
      - .offset:         0
        .size:           176
        .value_kind:     by_value
    .group_segment_fixed_size: 0
    .kernarg_segment_align: 8
    .kernarg_segment_size: 176
    .language:       OpenCL C
    .language_version:
      - 2
      - 0
    .max_flat_workgroup_size: 256
    .name:           _ZN7rocprim17ROCPRIM_400000_NS6detail17trampoline_kernelINS0_13select_configILj256ELj13ELNS0_17block_load_methodE3ELS4_3ELS4_3ELNS0_20block_scan_algorithmE0ELj4294967295EEENS1_25partition_config_selectorILNS1_17partition_subalgoE4EjNS0_10empty_typeEbEEZZNS1_14partition_implILS8_4ELb0ES6_15HIP_vector_typeIjLj2EENS0_17counting_iteratorIjlEEPS9_SG_NS0_5tupleIJPjSI_NS0_16reverse_iteratorISI_EEEEENSH_IJSG_SG_SG_EEES9_SI_JZNS1_25segmented_radix_sort_implINS0_14default_configELb0EPK12hip_bfloat16PSP_PKlPlN2at6native12_GLOBAL__N_18offset_tEEE10hipError_tPvRmT1_PNSt15iterator_traitsIS13_E10value_typeET2_T3_PNS14_IS19_E10value_typeET4_jRbjT5_S1F_jjP12ihipStream_tbEUljE_ZNSN_ISO_Lb0ESR_SS_SU_SV_SZ_EES10_S11_S12_S13_S17_S18_S19_S1C_S1D_jS1E_jS1F_S1F_jjS1H_bEUljE0_EEES10_S11_S12_S19_S1D_S1F_T6_T7_T9_mT8_S1H_bDpT10_ENKUlT_T0_E_clISt17integral_constantIbLb0EES1V_EEDaS1Q_S1R_EUlS1Q_E_NS1_11comp_targetILNS1_3genE10ELNS1_11target_archE1200ELNS1_3gpuE4ELNS1_3repE0EEENS1_30default_config_static_selectorELNS0_4arch9wavefront6targetE1EEEvS13_
    .private_segment_fixed_size: 0
    .sgpr_count:     4
    .sgpr_spill_count: 0
    .symbol:         _ZN7rocprim17ROCPRIM_400000_NS6detail17trampoline_kernelINS0_13select_configILj256ELj13ELNS0_17block_load_methodE3ELS4_3ELS4_3ELNS0_20block_scan_algorithmE0ELj4294967295EEENS1_25partition_config_selectorILNS1_17partition_subalgoE4EjNS0_10empty_typeEbEEZZNS1_14partition_implILS8_4ELb0ES6_15HIP_vector_typeIjLj2EENS0_17counting_iteratorIjlEEPS9_SG_NS0_5tupleIJPjSI_NS0_16reverse_iteratorISI_EEEEENSH_IJSG_SG_SG_EEES9_SI_JZNS1_25segmented_radix_sort_implINS0_14default_configELb0EPK12hip_bfloat16PSP_PKlPlN2at6native12_GLOBAL__N_18offset_tEEE10hipError_tPvRmT1_PNSt15iterator_traitsIS13_E10value_typeET2_T3_PNS14_IS19_E10value_typeET4_jRbjT5_S1F_jjP12ihipStream_tbEUljE_ZNSN_ISO_Lb0ESR_SS_SU_SV_SZ_EES10_S11_S12_S13_S17_S18_S19_S1C_S1D_jS1E_jS1F_S1F_jjS1H_bEUljE0_EEES10_S11_S12_S19_S1D_S1F_T6_T7_T9_mT8_S1H_bDpT10_ENKUlT_T0_E_clISt17integral_constantIbLb0EES1V_EEDaS1Q_S1R_EUlS1Q_E_NS1_11comp_targetILNS1_3genE10ELNS1_11target_archE1200ELNS1_3gpuE4ELNS1_3repE0EEENS1_30default_config_static_selectorELNS0_4arch9wavefront6targetE1EEEvS13_.kd
    .uniform_work_group_size: 1
    .uses_dynamic_stack: false
    .vgpr_count:     0
    .vgpr_spill_count: 0
    .wavefront_size: 64
  - .args:
      - .offset:         0
        .size:           176
        .value_kind:     by_value
    .group_segment_fixed_size: 0
    .kernarg_segment_align: 8
    .kernarg_segment_size: 176
    .language:       OpenCL C
    .language_version:
      - 2
      - 0
    .max_flat_workgroup_size: 256
    .name:           _ZN7rocprim17ROCPRIM_400000_NS6detail17trampoline_kernelINS0_13select_configILj256ELj13ELNS0_17block_load_methodE3ELS4_3ELS4_3ELNS0_20block_scan_algorithmE0ELj4294967295EEENS1_25partition_config_selectorILNS1_17partition_subalgoE4EjNS0_10empty_typeEbEEZZNS1_14partition_implILS8_4ELb0ES6_15HIP_vector_typeIjLj2EENS0_17counting_iteratorIjlEEPS9_SG_NS0_5tupleIJPjSI_NS0_16reverse_iteratorISI_EEEEENSH_IJSG_SG_SG_EEES9_SI_JZNS1_25segmented_radix_sort_implINS0_14default_configELb0EPK12hip_bfloat16PSP_PKlPlN2at6native12_GLOBAL__N_18offset_tEEE10hipError_tPvRmT1_PNSt15iterator_traitsIS13_E10value_typeET2_T3_PNS14_IS19_E10value_typeET4_jRbjT5_S1F_jjP12ihipStream_tbEUljE_ZNSN_ISO_Lb0ESR_SS_SU_SV_SZ_EES10_S11_S12_S13_S17_S18_S19_S1C_S1D_jS1E_jS1F_S1F_jjS1H_bEUljE0_EEES10_S11_S12_S19_S1D_S1F_T6_T7_T9_mT8_S1H_bDpT10_ENKUlT_T0_E_clISt17integral_constantIbLb0EES1V_EEDaS1Q_S1R_EUlS1Q_E_NS1_11comp_targetILNS1_3genE9ELNS1_11target_archE1100ELNS1_3gpuE3ELNS1_3repE0EEENS1_30default_config_static_selectorELNS0_4arch9wavefront6targetE1EEEvS13_
    .private_segment_fixed_size: 0
    .sgpr_count:     4
    .sgpr_spill_count: 0
    .symbol:         _ZN7rocprim17ROCPRIM_400000_NS6detail17trampoline_kernelINS0_13select_configILj256ELj13ELNS0_17block_load_methodE3ELS4_3ELS4_3ELNS0_20block_scan_algorithmE0ELj4294967295EEENS1_25partition_config_selectorILNS1_17partition_subalgoE4EjNS0_10empty_typeEbEEZZNS1_14partition_implILS8_4ELb0ES6_15HIP_vector_typeIjLj2EENS0_17counting_iteratorIjlEEPS9_SG_NS0_5tupleIJPjSI_NS0_16reverse_iteratorISI_EEEEENSH_IJSG_SG_SG_EEES9_SI_JZNS1_25segmented_radix_sort_implINS0_14default_configELb0EPK12hip_bfloat16PSP_PKlPlN2at6native12_GLOBAL__N_18offset_tEEE10hipError_tPvRmT1_PNSt15iterator_traitsIS13_E10value_typeET2_T3_PNS14_IS19_E10value_typeET4_jRbjT5_S1F_jjP12ihipStream_tbEUljE_ZNSN_ISO_Lb0ESR_SS_SU_SV_SZ_EES10_S11_S12_S13_S17_S18_S19_S1C_S1D_jS1E_jS1F_S1F_jjS1H_bEUljE0_EEES10_S11_S12_S19_S1D_S1F_T6_T7_T9_mT8_S1H_bDpT10_ENKUlT_T0_E_clISt17integral_constantIbLb0EES1V_EEDaS1Q_S1R_EUlS1Q_E_NS1_11comp_targetILNS1_3genE9ELNS1_11target_archE1100ELNS1_3gpuE3ELNS1_3repE0EEENS1_30default_config_static_selectorELNS0_4arch9wavefront6targetE1EEEvS13_.kd
    .uniform_work_group_size: 1
    .uses_dynamic_stack: false
    .vgpr_count:     0
    .vgpr_spill_count: 0
    .wavefront_size: 64
  - .args:
      - .offset:         0
        .size:           176
        .value_kind:     by_value
    .group_segment_fixed_size: 0
    .kernarg_segment_align: 8
    .kernarg_segment_size: 176
    .language:       OpenCL C
    .language_version:
      - 2
      - 0
    .max_flat_workgroup_size: 256
    .name:           _ZN7rocprim17ROCPRIM_400000_NS6detail17trampoline_kernelINS0_13select_configILj256ELj13ELNS0_17block_load_methodE3ELS4_3ELS4_3ELNS0_20block_scan_algorithmE0ELj4294967295EEENS1_25partition_config_selectorILNS1_17partition_subalgoE4EjNS0_10empty_typeEbEEZZNS1_14partition_implILS8_4ELb0ES6_15HIP_vector_typeIjLj2EENS0_17counting_iteratorIjlEEPS9_SG_NS0_5tupleIJPjSI_NS0_16reverse_iteratorISI_EEEEENSH_IJSG_SG_SG_EEES9_SI_JZNS1_25segmented_radix_sort_implINS0_14default_configELb0EPK12hip_bfloat16PSP_PKlPlN2at6native12_GLOBAL__N_18offset_tEEE10hipError_tPvRmT1_PNSt15iterator_traitsIS13_E10value_typeET2_T3_PNS14_IS19_E10value_typeET4_jRbjT5_S1F_jjP12ihipStream_tbEUljE_ZNSN_ISO_Lb0ESR_SS_SU_SV_SZ_EES10_S11_S12_S13_S17_S18_S19_S1C_S1D_jS1E_jS1F_S1F_jjS1H_bEUljE0_EEES10_S11_S12_S19_S1D_S1F_T6_T7_T9_mT8_S1H_bDpT10_ENKUlT_T0_E_clISt17integral_constantIbLb0EES1V_EEDaS1Q_S1R_EUlS1Q_E_NS1_11comp_targetILNS1_3genE8ELNS1_11target_archE1030ELNS1_3gpuE2ELNS1_3repE0EEENS1_30default_config_static_selectorELNS0_4arch9wavefront6targetE1EEEvS13_
    .private_segment_fixed_size: 0
    .sgpr_count:     4
    .sgpr_spill_count: 0
    .symbol:         _ZN7rocprim17ROCPRIM_400000_NS6detail17trampoline_kernelINS0_13select_configILj256ELj13ELNS0_17block_load_methodE3ELS4_3ELS4_3ELNS0_20block_scan_algorithmE0ELj4294967295EEENS1_25partition_config_selectorILNS1_17partition_subalgoE4EjNS0_10empty_typeEbEEZZNS1_14partition_implILS8_4ELb0ES6_15HIP_vector_typeIjLj2EENS0_17counting_iteratorIjlEEPS9_SG_NS0_5tupleIJPjSI_NS0_16reverse_iteratorISI_EEEEENSH_IJSG_SG_SG_EEES9_SI_JZNS1_25segmented_radix_sort_implINS0_14default_configELb0EPK12hip_bfloat16PSP_PKlPlN2at6native12_GLOBAL__N_18offset_tEEE10hipError_tPvRmT1_PNSt15iterator_traitsIS13_E10value_typeET2_T3_PNS14_IS19_E10value_typeET4_jRbjT5_S1F_jjP12ihipStream_tbEUljE_ZNSN_ISO_Lb0ESR_SS_SU_SV_SZ_EES10_S11_S12_S13_S17_S18_S19_S1C_S1D_jS1E_jS1F_S1F_jjS1H_bEUljE0_EEES10_S11_S12_S19_S1D_S1F_T6_T7_T9_mT8_S1H_bDpT10_ENKUlT_T0_E_clISt17integral_constantIbLb0EES1V_EEDaS1Q_S1R_EUlS1Q_E_NS1_11comp_targetILNS1_3genE8ELNS1_11target_archE1030ELNS1_3gpuE2ELNS1_3repE0EEENS1_30default_config_static_selectorELNS0_4arch9wavefront6targetE1EEEvS13_.kd
    .uniform_work_group_size: 1
    .uses_dynamic_stack: false
    .vgpr_count:     0
    .vgpr_spill_count: 0
    .wavefront_size: 64
  - .args:
      - .offset:         0
        .size:           184
        .value_kind:     by_value
    .group_segment_fixed_size: 0
    .kernarg_segment_align: 8
    .kernarg_segment_size: 184
    .language:       OpenCL C
    .language_version:
      - 2
      - 0
    .max_flat_workgroup_size: 256
    .name:           _ZN7rocprim17ROCPRIM_400000_NS6detail17trampoline_kernelINS0_13select_configILj256ELj13ELNS0_17block_load_methodE3ELS4_3ELS4_3ELNS0_20block_scan_algorithmE0ELj4294967295EEENS1_25partition_config_selectorILNS1_17partition_subalgoE4EjNS0_10empty_typeEbEEZZNS1_14partition_implILS8_4ELb0ES6_15HIP_vector_typeIjLj2EENS0_17counting_iteratorIjlEEPS9_SG_NS0_5tupleIJPjSI_NS0_16reverse_iteratorISI_EEEEENSH_IJSG_SG_SG_EEES9_SI_JZNS1_25segmented_radix_sort_implINS0_14default_configELb0EPK12hip_bfloat16PSP_PKlPlN2at6native12_GLOBAL__N_18offset_tEEE10hipError_tPvRmT1_PNSt15iterator_traitsIS13_E10value_typeET2_T3_PNS14_IS19_E10value_typeET4_jRbjT5_S1F_jjP12ihipStream_tbEUljE_ZNSN_ISO_Lb0ESR_SS_SU_SV_SZ_EES10_S11_S12_S13_S17_S18_S19_S1C_S1D_jS1E_jS1F_S1F_jjS1H_bEUljE0_EEES10_S11_S12_S19_S1D_S1F_T6_T7_T9_mT8_S1H_bDpT10_ENKUlT_T0_E_clISt17integral_constantIbLb1EES1V_EEDaS1Q_S1R_EUlS1Q_E_NS1_11comp_targetILNS1_3genE0ELNS1_11target_archE4294967295ELNS1_3gpuE0ELNS1_3repE0EEENS1_30default_config_static_selectorELNS0_4arch9wavefront6targetE1EEEvS13_
    .private_segment_fixed_size: 0
    .sgpr_count:     4
    .sgpr_spill_count: 0
    .symbol:         _ZN7rocprim17ROCPRIM_400000_NS6detail17trampoline_kernelINS0_13select_configILj256ELj13ELNS0_17block_load_methodE3ELS4_3ELS4_3ELNS0_20block_scan_algorithmE0ELj4294967295EEENS1_25partition_config_selectorILNS1_17partition_subalgoE4EjNS0_10empty_typeEbEEZZNS1_14partition_implILS8_4ELb0ES6_15HIP_vector_typeIjLj2EENS0_17counting_iteratorIjlEEPS9_SG_NS0_5tupleIJPjSI_NS0_16reverse_iteratorISI_EEEEENSH_IJSG_SG_SG_EEES9_SI_JZNS1_25segmented_radix_sort_implINS0_14default_configELb0EPK12hip_bfloat16PSP_PKlPlN2at6native12_GLOBAL__N_18offset_tEEE10hipError_tPvRmT1_PNSt15iterator_traitsIS13_E10value_typeET2_T3_PNS14_IS19_E10value_typeET4_jRbjT5_S1F_jjP12ihipStream_tbEUljE_ZNSN_ISO_Lb0ESR_SS_SU_SV_SZ_EES10_S11_S12_S13_S17_S18_S19_S1C_S1D_jS1E_jS1F_S1F_jjS1H_bEUljE0_EEES10_S11_S12_S19_S1D_S1F_T6_T7_T9_mT8_S1H_bDpT10_ENKUlT_T0_E_clISt17integral_constantIbLb1EES1V_EEDaS1Q_S1R_EUlS1Q_E_NS1_11comp_targetILNS1_3genE0ELNS1_11target_archE4294967295ELNS1_3gpuE0ELNS1_3repE0EEENS1_30default_config_static_selectorELNS0_4arch9wavefront6targetE1EEEvS13_.kd
    .uniform_work_group_size: 1
    .uses_dynamic_stack: false
    .vgpr_count:     0
    .vgpr_spill_count: 0
    .wavefront_size: 64
  - .args:
      - .offset:         0
        .size:           184
        .value_kind:     by_value
    .group_segment_fixed_size: 0
    .kernarg_segment_align: 8
    .kernarg_segment_size: 184
    .language:       OpenCL C
    .language_version:
      - 2
      - 0
    .max_flat_workgroup_size: 256
    .name:           _ZN7rocprim17ROCPRIM_400000_NS6detail17trampoline_kernelINS0_13select_configILj256ELj13ELNS0_17block_load_methodE3ELS4_3ELS4_3ELNS0_20block_scan_algorithmE0ELj4294967295EEENS1_25partition_config_selectorILNS1_17partition_subalgoE4EjNS0_10empty_typeEbEEZZNS1_14partition_implILS8_4ELb0ES6_15HIP_vector_typeIjLj2EENS0_17counting_iteratorIjlEEPS9_SG_NS0_5tupleIJPjSI_NS0_16reverse_iteratorISI_EEEEENSH_IJSG_SG_SG_EEES9_SI_JZNS1_25segmented_radix_sort_implINS0_14default_configELb0EPK12hip_bfloat16PSP_PKlPlN2at6native12_GLOBAL__N_18offset_tEEE10hipError_tPvRmT1_PNSt15iterator_traitsIS13_E10value_typeET2_T3_PNS14_IS19_E10value_typeET4_jRbjT5_S1F_jjP12ihipStream_tbEUljE_ZNSN_ISO_Lb0ESR_SS_SU_SV_SZ_EES10_S11_S12_S13_S17_S18_S19_S1C_S1D_jS1E_jS1F_S1F_jjS1H_bEUljE0_EEES10_S11_S12_S19_S1D_S1F_T6_T7_T9_mT8_S1H_bDpT10_ENKUlT_T0_E_clISt17integral_constantIbLb1EES1V_EEDaS1Q_S1R_EUlS1Q_E_NS1_11comp_targetILNS1_3genE5ELNS1_11target_archE942ELNS1_3gpuE9ELNS1_3repE0EEENS1_30default_config_static_selectorELNS0_4arch9wavefront6targetE1EEEvS13_
    .private_segment_fixed_size: 0
    .sgpr_count:     4
    .sgpr_spill_count: 0
    .symbol:         _ZN7rocprim17ROCPRIM_400000_NS6detail17trampoline_kernelINS0_13select_configILj256ELj13ELNS0_17block_load_methodE3ELS4_3ELS4_3ELNS0_20block_scan_algorithmE0ELj4294967295EEENS1_25partition_config_selectorILNS1_17partition_subalgoE4EjNS0_10empty_typeEbEEZZNS1_14partition_implILS8_4ELb0ES6_15HIP_vector_typeIjLj2EENS0_17counting_iteratorIjlEEPS9_SG_NS0_5tupleIJPjSI_NS0_16reverse_iteratorISI_EEEEENSH_IJSG_SG_SG_EEES9_SI_JZNS1_25segmented_radix_sort_implINS0_14default_configELb0EPK12hip_bfloat16PSP_PKlPlN2at6native12_GLOBAL__N_18offset_tEEE10hipError_tPvRmT1_PNSt15iterator_traitsIS13_E10value_typeET2_T3_PNS14_IS19_E10value_typeET4_jRbjT5_S1F_jjP12ihipStream_tbEUljE_ZNSN_ISO_Lb0ESR_SS_SU_SV_SZ_EES10_S11_S12_S13_S17_S18_S19_S1C_S1D_jS1E_jS1F_S1F_jjS1H_bEUljE0_EEES10_S11_S12_S19_S1D_S1F_T6_T7_T9_mT8_S1H_bDpT10_ENKUlT_T0_E_clISt17integral_constantIbLb1EES1V_EEDaS1Q_S1R_EUlS1Q_E_NS1_11comp_targetILNS1_3genE5ELNS1_11target_archE942ELNS1_3gpuE9ELNS1_3repE0EEENS1_30default_config_static_selectorELNS0_4arch9wavefront6targetE1EEEvS13_.kd
    .uniform_work_group_size: 1
    .uses_dynamic_stack: false
    .vgpr_count:     0
    .vgpr_spill_count: 0
    .wavefront_size: 64
  - .args:
      - .offset:         0
        .size:           184
        .value_kind:     by_value
    .group_segment_fixed_size: 0
    .kernarg_segment_align: 8
    .kernarg_segment_size: 184
    .language:       OpenCL C
    .language_version:
      - 2
      - 0
    .max_flat_workgroup_size: 256
    .name:           _ZN7rocprim17ROCPRIM_400000_NS6detail17trampoline_kernelINS0_13select_configILj256ELj13ELNS0_17block_load_methodE3ELS4_3ELS4_3ELNS0_20block_scan_algorithmE0ELj4294967295EEENS1_25partition_config_selectorILNS1_17partition_subalgoE4EjNS0_10empty_typeEbEEZZNS1_14partition_implILS8_4ELb0ES6_15HIP_vector_typeIjLj2EENS0_17counting_iteratorIjlEEPS9_SG_NS0_5tupleIJPjSI_NS0_16reverse_iteratorISI_EEEEENSH_IJSG_SG_SG_EEES9_SI_JZNS1_25segmented_radix_sort_implINS0_14default_configELb0EPK12hip_bfloat16PSP_PKlPlN2at6native12_GLOBAL__N_18offset_tEEE10hipError_tPvRmT1_PNSt15iterator_traitsIS13_E10value_typeET2_T3_PNS14_IS19_E10value_typeET4_jRbjT5_S1F_jjP12ihipStream_tbEUljE_ZNSN_ISO_Lb0ESR_SS_SU_SV_SZ_EES10_S11_S12_S13_S17_S18_S19_S1C_S1D_jS1E_jS1F_S1F_jjS1H_bEUljE0_EEES10_S11_S12_S19_S1D_S1F_T6_T7_T9_mT8_S1H_bDpT10_ENKUlT_T0_E_clISt17integral_constantIbLb1EES1V_EEDaS1Q_S1R_EUlS1Q_E_NS1_11comp_targetILNS1_3genE4ELNS1_11target_archE910ELNS1_3gpuE8ELNS1_3repE0EEENS1_30default_config_static_selectorELNS0_4arch9wavefront6targetE1EEEvS13_
    .private_segment_fixed_size: 0
    .sgpr_count:     4
    .sgpr_spill_count: 0
    .symbol:         _ZN7rocprim17ROCPRIM_400000_NS6detail17trampoline_kernelINS0_13select_configILj256ELj13ELNS0_17block_load_methodE3ELS4_3ELS4_3ELNS0_20block_scan_algorithmE0ELj4294967295EEENS1_25partition_config_selectorILNS1_17partition_subalgoE4EjNS0_10empty_typeEbEEZZNS1_14partition_implILS8_4ELb0ES6_15HIP_vector_typeIjLj2EENS0_17counting_iteratorIjlEEPS9_SG_NS0_5tupleIJPjSI_NS0_16reverse_iteratorISI_EEEEENSH_IJSG_SG_SG_EEES9_SI_JZNS1_25segmented_radix_sort_implINS0_14default_configELb0EPK12hip_bfloat16PSP_PKlPlN2at6native12_GLOBAL__N_18offset_tEEE10hipError_tPvRmT1_PNSt15iterator_traitsIS13_E10value_typeET2_T3_PNS14_IS19_E10value_typeET4_jRbjT5_S1F_jjP12ihipStream_tbEUljE_ZNSN_ISO_Lb0ESR_SS_SU_SV_SZ_EES10_S11_S12_S13_S17_S18_S19_S1C_S1D_jS1E_jS1F_S1F_jjS1H_bEUljE0_EEES10_S11_S12_S19_S1D_S1F_T6_T7_T9_mT8_S1H_bDpT10_ENKUlT_T0_E_clISt17integral_constantIbLb1EES1V_EEDaS1Q_S1R_EUlS1Q_E_NS1_11comp_targetILNS1_3genE4ELNS1_11target_archE910ELNS1_3gpuE8ELNS1_3repE0EEENS1_30default_config_static_selectorELNS0_4arch9wavefront6targetE1EEEvS13_.kd
    .uniform_work_group_size: 1
    .uses_dynamic_stack: false
    .vgpr_count:     0
    .vgpr_spill_count: 0
    .wavefront_size: 64
  - .args:
      - .offset:         0
        .size:           184
        .value_kind:     by_value
    .group_segment_fixed_size: 0
    .kernarg_segment_align: 8
    .kernarg_segment_size: 184
    .language:       OpenCL C
    .language_version:
      - 2
      - 0
    .max_flat_workgroup_size: 256
    .name:           _ZN7rocprim17ROCPRIM_400000_NS6detail17trampoline_kernelINS0_13select_configILj256ELj13ELNS0_17block_load_methodE3ELS4_3ELS4_3ELNS0_20block_scan_algorithmE0ELj4294967295EEENS1_25partition_config_selectorILNS1_17partition_subalgoE4EjNS0_10empty_typeEbEEZZNS1_14partition_implILS8_4ELb0ES6_15HIP_vector_typeIjLj2EENS0_17counting_iteratorIjlEEPS9_SG_NS0_5tupleIJPjSI_NS0_16reverse_iteratorISI_EEEEENSH_IJSG_SG_SG_EEES9_SI_JZNS1_25segmented_radix_sort_implINS0_14default_configELb0EPK12hip_bfloat16PSP_PKlPlN2at6native12_GLOBAL__N_18offset_tEEE10hipError_tPvRmT1_PNSt15iterator_traitsIS13_E10value_typeET2_T3_PNS14_IS19_E10value_typeET4_jRbjT5_S1F_jjP12ihipStream_tbEUljE_ZNSN_ISO_Lb0ESR_SS_SU_SV_SZ_EES10_S11_S12_S13_S17_S18_S19_S1C_S1D_jS1E_jS1F_S1F_jjS1H_bEUljE0_EEES10_S11_S12_S19_S1D_S1F_T6_T7_T9_mT8_S1H_bDpT10_ENKUlT_T0_E_clISt17integral_constantIbLb1EES1V_EEDaS1Q_S1R_EUlS1Q_E_NS1_11comp_targetILNS1_3genE3ELNS1_11target_archE908ELNS1_3gpuE7ELNS1_3repE0EEENS1_30default_config_static_selectorELNS0_4arch9wavefront6targetE1EEEvS13_
    .private_segment_fixed_size: 0
    .sgpr_count:     4
    .sgpr_spill_count: 0
    .symbol:         _ZN7rocprim17ROCPRIM_400000_NS6detail17trampoline_kernelINS0_13select_configILj256ELj13ELNS0_17block_load_methodE3ELS4_3ELS4_3ELNS0_20block_scan_algorithmE0ELj4294967295EEENS1_25partition_config_selectorILNS1_17partition_subalgoE4EjNS0_10empty_typeEbEEZZNS1_14partition_implILS8_4ELb0ES6_15HIP_vector_typeIjLj2EENS0_17counting_iteratorIjlEEPS9_SG_NS0_5tupleIJPjSI_NS0_16reverse_iteratorISI_EEEEENSH_IJSG_SG_SG_EEES9_SI_JZNS1_25segmented_radix_sort_implINS0_14default_configELb0EPK12hip_bfloat16PSP_PKlPlN2at6native12_GLOBAL__N_18offset_tEEE10hipError_tPvRmT1_PNSt15iterator_traitsIS13_E10value_typeET2_T3_PNS14_IS19_E10value_typeET4_jRbjT5_S1F_jjP12ihipStream_tbEUljE_ZNSN_ISO_Lb0ESR_SS_SU_SV_SZ_EES10_S11_S12_S13_S17_S18_S19_S1C_S1D_jS1E_jS1F_S1F_jjS1H_bEUljE0_EEES10_S11_S12_S19_S1D_S1F_T6_T7_T9_mT8_S1H_bDpT10_ENKUlT_T0_E_clISt17integral_constantIbLb1EES1V_EEDaS1Q_S1R_EUlS1Q_E_NS1_11comp_targetILNS1_3genE3ELNS1_11target_archE908ELNS1_3gpuE7ELNS1_3repE0EEENS1_30default_config_static_selectorELNS0_4arch9wavefront6targetE1EEEvS13_.kd
    .uniform_work_group_size: 1
    .uses_dynamic_stack: false
    .vgpr_count:     0
    .vgpr_spill_count: 0
    .wavefront_size: 64
  - .args:
      - .offset:         0
        .size:           184
        .value_kind:     by_value
    .group_segment_fixed_size: 0
    .kernarg_segment_align: 8
    .kernarg_segment_size: 184
    .language:       OpenCL C
    .language_version:
      - 2
      - 0
    .max_flat_workgroup_size: 256
    .name:           _ZN7rocprim17ROCPRIM_400000_NS6detail17trampoline_kernelINS0_13select_configILj256ELj13ELNS0_17block_load_methodE3ELS4_3ELS4_3ELNS0_20block_scan_algorithmE0ELj4294967295EEENS1_25partition_config_selectorILNS1_17partition_subalgoE4EjNS0_10empty_typeEbEEZZNS1_14partition_implILS8_4ELb0ES6_15HIP_vector_typeIjLj2EENS0_17counting_iteratorIjlEEPS9_SG_NS0_5tupleIJPjSI_NS0_16reverse_iteratorISI_EEEEENSH_IJSG_SG_SG_EEES9_SI_JZNS1_25segmented_radix_sort_implINS0_14default_configELb0EPK12hip_bfloat16PSP_PKlPlN2at6native12_GLOBAL__N_18offset_tEEE10hipError_tPvRmT1_PNSt15iterator_traitsIS13_E10value_typeET2_T3_PNS14_IS19_E10value_typeET4_jRbjT5_S1F_jjP12ihipStream_tbEUljE_ZNSN_ISO_Lb0ESR_SS_SU_SV_SZ_EES10_S11_S12_S13_S17_S18_S19_S1C_S1D_jS1E_jS1F_S1F_jjS1H_bEUljE0_EEES10_S11_S12_S19_S1D_S1F_T6_T7_T9_mT8_S1H_bDpT10_ENKUlT_T0_E_clISt17integral_constantIbLb1EES1V_EEDaS1Q_S1R_EUlS1Q_E_NS1_11comp_targetILNS1_3genE2ELNS1_11target_archE906ELNS1_3gpuE6ELNS1_3repE0EEENS1_30default_config_static_selectorELNS0_4arch9wavefront6targetE1EEEvS13_
    .private_segment_fixed_size: 0
    .sgpr_count:     4
    .sgpr_spill_count: 0
    .symbol:         _ZN7rocprim17ROCPRIM_400000_NS6detail17trampoline_kernelINS0_13select_configILj256ELj13ELNS0_17block_load_methodE3ELS4_3ELS4_3ELNS0_20block_scan_algorithmE0ELj4294967295EEENS1_25partition_config_selectorILNS1_17partition_subalgoE4EjNS0_10empty_typeEbEEZZNS1_14partition_implILS8_4ELb0ES6_15HIP_vector_typeIjLj2EENS0_17counting_iteratorIjlEEPS9_SG_NS0_5tupleIJPjSI_NS0_16reverse_iteratorISI_EEEEENSH_IJSG_SG_SG_EEES9_SI_JZNS1_25segmented_radix_sort_implINS0_14default_configELb0EPK12hip_bfloat16PSP_PKlPlN2at6native12_GLOBAL__N_18offset_tEEE10hipError_tPvRmT1_PNSt15iterator_traitsIS13_E10value_typeET2_T3_PNS14_IS19_E10value_typeET4_jRbjT5_S1F_jjP12ihipStream_tbEUljE_ZNSN_ISO_Lb0ESR_SS_SU_SV_SZ_EES10_S11_S12_S13_S17_S18_S19_S1C_S1D_jS1E_jS1F_S1F_jjS1H_bEUljE0_EEES10_S11_S12_S19_S1D_S1F_T6_T7_T9_mT8_S1H_bDpT10_ENKUlT_T0_E_clISt17integral_constantIbLb1EES1V_EEDaS1Q_S1R_EUlS1Q_E_NS1_11comp_targetILNS1_3genE2ELNS1_11target_archE906ELNS1_3gpuE6ELNS1_3repE0EEENS1_30default_config_static_selectorELNS0_4arch9wavefront6targetE1EEEvS13_.kd
    .uniform_work_group_size: 1
    .uses_dynamic_stack: false
    .vgpr_count:     0
    .vgpr_spill_count: 0
    .wavefront_size: 64
  - .args:
      - .offset:         0
        .size:           184
        .value_kind:     by_value
    .group_segment_fixed_size: 0
    .kernarg_segment_align: 8
    .kernarg_segment_size: 184
    .language:       OpenCL C
    .language_version:
      - 2
      - 0
    .max_flat_workgroup_size: 256
    .name:           _ZN7rocprim17ROCPRIM_400000_NS6detail17trampoline_kernelINS0_13select_configILj256ELj13ELNS0_17block_load_methodE3ELS4_3ELS4_3ELNS0_20block_scan_algorithmE0ELj4294967295EEENS1_25partition_config_selectorILNS1_17partition_subalgoE4EjNS0_10empty_typeEbEEZZNS1_14partition_implILS8_4ELb0ES6_15HIP_vector_typeIjLj2EENS0_17counting_iteratorIjlEEPS9_SG_NS0_5tupleIJPjSI_NS0_16reverse_iteratorISI_EEEEENSH_IJSG_SG_SG_EEES9_SI_JZNS1_25segmented_radix_sort_implINS0_14default_configELb0EPK12hip_bfloat16PSP_PKlPlN2at6native12_GLOBAL__N_18offset_tEEE10hipError_tPvRmT1_PNSt15iterator_traitsIS13_E10value_typeET2_T3_PNS14_IS19_E10value_typeET4_jRbjT5_S1F_jjP12ihipStream_tbEUljE_ZNSN_ISO_Lb0ESR_SS_SU_SV_SZ_EES10_S11_S12_S13_S17_S18_S19_S1C_S1D_jS1E_jS1F_S1F_jjS1H_bEUljE0_EEES10_S11_S12_S19_S1D_S1F_T6_T7_T9_mT8_S1H_bDpT10_ENKUlT_T0_E_clISt17integral_constantIbLb1EES1V_EEDaS1Q_S1R_EUlS1Q_E_NS1_11comp_targetILNS1_3genE10ELNS1_11target_archE1200ELNS1_3gpuE4ELNS1_3repE0EEENS1_30default_config_static_selectorELNS0_4arch9wavefront6targetE1EEEvS13_
    .private_segment_fixed_size: 0
    .sgpr_count:     4
    .sgpr_spill_count: 0
    .symbol:         _ZN7rocprim17ROCPRIM_400000_NS6detail17trampoline_kernelINS0_13select_configILj256ELj13ELNS0_17block_load_methodE3ELS4_3ELS4_3ELNS0_20block_scan_algorithmE0ELj4294967295EEENS1_25partition_config_selectorILNS1_17partition_subalgoE4EjNS0_10empty_typeEbEEZZNS1_14partition_implILS8_4ELb0ES6_15HIP_vector_typeIjLj2EENS0_17counting_iteratorIjlEEPS9_SG_NS0_5tupleIJPjSI_NS0_16reverse_iteratorISI_EEEEENSH_IJSG_SG_SG_EEES9_SI_JZNS1_25segmented_radix_sort_implINS0_14default_configELb0EPK12hip_bfloat16PSP_PKlPlN2at6native12_GLOBAL__N_18offset_tEEE10hipError_tPvRmT1_PNSt15iterator_traitsIS13_E10value_typeET2_T3_PNS14_IS19_E10value_typeET4_jRbjT5_S1F_jjP12ihipStream_tbEUljE_ZNSN_ISO_Lb0ESR_SS_SU_SV_SZ_EES10_S11_S12_S13_S17_S18_S19_S1C_S1D_jS1E_jS1F_S1F_jjS1H_bEUljE0_EEES10_S11_S12_S19_S1D_S1F_T6_T7_T9_mT8_S1H_bDpT10_ENKUlT_T0_E_clISt17integral_constantIbLb1EES1V_EEDaS1Q_S1R_EUlS1Q_E_NS1_11comp_targetILNS1_3genE10ELNS1_11target_archE1200ELNS1_3gpuE4ELNS1_3repE0EEENS1_30default_config_static_selectorELNS0_4arch9wavefront6targetE1EEEvS13_.kd
    .uniform_work_group_size: 1
    .uses_dynamic_stack: false
    .vgpr_count:     0
    .vgpr_spill_count: 0
    .wavefront_size: 64
  - .args:
      - .offset:         0
        .size:           184
        .value_kind:     by_value
    .group_segment_fixed_size: 0
    .kernarg_segment_align: 8
    .kernarg_segment_size: 184
    .language:       OpenCL C
    .language_version:
      - 2
      - 0
    .max_flat_workgroup_size: 256
    .name:           _ZN7rocprim17ROCPRIM_400000_NS6detail17trampoline_kernelINS0_13select_configILj256ELj13ELNS0_17block_load_methodE3ELS4_3ELS4_3ELNS0_20block_scan_algorithmE0ELj4294967295EEENS1_25partition_config_selectorILNS1_17partition_subalgoE4EjNS0_10empty_typeEbEEZZNS1_14partition_implILS8_4ELb0ES6_15HIP_vector_typeIjLj2EENS0_17counting_iteratorIjlEEPS9_SG_NS0_5tupleIJPjSI_NS0_16reverse_iteratorISI_EEEEENSH_IJSG_SG_SG_EEES9_SI_JZNS1_25segmented_radix_sort_implINS0_14default_configELb0EPK12hip_bfloat16PSP_PKlPlN2at6native12_GLOBAL__N_18offset_tEEE10hipError_tPvRmT1_PNSt15iterator_traitsIS13_E10value_typeET2_T3_PNS14_IS19_E10value_typeET4_jRbjT5_S1F_jjP12ihipStream_tbEUljE_ZNSN_ISO_Lb0ESR_SS_SU_SV_SZ_EES10_S11_S12_S13_S17_S18_S19_S1C_S1D_jS1E_jS1F_S1F_jjS1H_bEUljE0_EEES10_S11_S12_S19_S1D_S1F_T6_T7_T9_mT8_S1H_bDpT10_ENKUlT_T0_E_clISt17integral_constantIbLb1EES1V_EEDaS1Q_S1R_EUlS1Q_E_NS1_11comp_targetILNS1_3genE9ELNS1_11target_archE1100ELNS1_3gpuE3ELNS1_3repE0EEENS1_30default_config_static_selectorELNS0_4arch9wavefront6targetE1EEEvS13_
    .private_segment_fixed_size: 0
    .sgpr_count:     4
    .sgpr_spill_count: 0
    .symbol:         _ZN7rocprim17ROCPRIM_400000_NS6detail17trampoline_kernelINS0_13select_configILj256ELj13ELNS0_17block_load_methodE3ELS4_3ELS4_3ELNS0_20block_scan_algorithmE0ELj4294967295EEENS1_25partition_config_selectorILNS1_17partition_subalgoE4EjNS0_10empty_typeEbEEZZNS1_14partition_implILS8_4ELb0ES6_15HIP_vector_typeIjLj2EENS0_17counting_iteratorIjlEEPS9_SG_NS0_5tupleIJPjSI_NS0_16reverse_iteratorISI_EEEEENSH_IJSG_SG_SG_EEES9_SI_JZNS1_25segmented_radix_sort_implINS0_14default_configELb0EPK12hip_bfloat16PSP_PKlPlN2at6native12_GLOBAL__N_18offset_tEEE10hipError_tPvRmT1_PNSt15iterator_traitsIS13_E10value_typeET2_T3_PNS14_IS19_E10value_typeET4_jRbjT5_S1F_jjP12ihipStream_tbEUljE_ZNSN_ISO_Lb0ESR_SS_SU_SV_SZ_EES10_S11_S12_S13_S17_S18_S19_S1C_S1D_jS1E_jS1F_S1F_jjS1H_bEUljE0_EEES10_S11_S12_S19_S1D_S1F_T6_T7_T9_mT8_S1H_bDpT10_ENKUlT_T0_E_clISt17integral_constantIbLb1EES1V_EEDaS1Q_S1R_EUlS1Q_E_NS1_11comp_targetILNS1_3genE9ELNS1_11target_archE1100ELNS1_3gpuE3ELNS1_3repE0EEENS1_30default_config_static_selectorELNS0_4arch9wavefront6targetE1EEEvS13_.kd
    .uniform_work_group_size: 1
    .uses_dynamic_stack: false
    .vgpr_count:     0
    .vgpr_spill_count: 0
    .wavefront_size: 64
  - .args:
      - .offset:         0
        .size:           184
        .value_kind:     by_value
    .group_segment_fixed_size: 0
    .kernarg_segment_align: 8
    .kernarg_segment_size: 184
    .language:       OpenCL C
    .language_version:
      - 2
      - 0
    .max_flat_workgroup_size: 256
    .name:           _ZN7rocprim17ROCPRIM_400000_NS6detail17trampoline_kernelINS0_13select_configILj256ELj13ELNS0_17block_load_methodE3ELS4_3ELS4_3ELNS0_20block_scan_algorithmE0ELj4294967295EEENS1_25partition_config_selectorILNS1_17partition_subalgoE4EjNS0_10empty_typeEbEEZZNS1_14partition_implILS8_4ELb0ES6_15HIP_vector_typeIjLj2EENS0_17counting_iteratorIjlEEPS9_SG_NS0_5tupleIJPjSI_NS0_16reverse_iteratorISI_EEEEENSH_IJSG_SG_SG_EEES9_SI_JZNS1_25segmented_radix_sort_implINS0_14default_configELb0EPK12hip_bfloat16PSP_PKlPlN2at6native12_GLOBAL__N_18offset_tEEE10hipError_tPvRmT1_PNSt15iterator_traitsIS13_E10value_typeET2_T3_PNS14_IS19_E10value_typeET4_jRbjT5_S1F_jjP12ihipStream_tbEUljE_ZNSN_ISO_Lb0ESR_SS_SU_SV_SZ_EES10_S11_S12_S13_S17_S18_S19_S1C_S1D_jS1E_jS1F_S1F_jjS1H_bEUljE0_EEES10_S11_S12_S19_S1D_S1F_T6_T7_T9_mT8_S1H_bDpT10_ENKUlT_T0_E_clISt17integral_constantIbLb1EES1V_EEDaS1Q_S1R_EUlS1Q_E_NS1_11comp_targetILNS1_3genE8ELNS1_11target_archE1030ELNS1_3gpuE2ELNS1_3repE0EEENS1_30default_config_static_selectorELNS0_4arch9wavefront6targetE1EEEvS13_
    .private_segment_fixed_size: 0
    .sgpr_count:     4
    .sgpr_spill_count: 0
    .symbol:         _ZN7rocprim17ROCPRIM_400000_NS6detail17trampoline_kernelINS0_13select_configILj256ELj13ELNS0_17block_load_methodE3ELS4_3ELS4_3ELNS0_20block_scan_algorithmE0ELj4294967295EEENS1_25partition_config_selectorILNS1_17partition_subalgoE4EjNS0_10empty_typeEbEEZZNS1_14partition_implILS8_4ELb0ES6_15HIP_vector_typeIjLj2EENS0_17counting_iteratorIjlEEPS9_SG_NS0_5tupleIJPjSI_NS0_16reverse_iteratorISI_EEEEENSH_IJSG_SG_SG_EEES9_SI_JZNS1_25segmented_radix_sort_implINS0_14default_configELb0EPK12hip_bfloat16PSP_PKlPlN2at6native12_GLOBAL__N_18offset_tEEE10hipError_tPvRmT1_PNSt15iterator_traitsIS13_E10value_typeET2_T3_PNS14_IS19_E10value_typeET4_jRbjT5_S1F_jjP12ihipStream_tbEUljE_ZNSN_ISO_Lb0ESR_SS_SU_SV_SZ_EES10_S11_S12_S13_S17_S18_S19_S1C_S1D_jS1E_jS1F_S1F_jjS1H_bEUljE0_EEES10_S11_S12_S19_S1D_S1F_T6_T7_T9_mT8_S1H_bDpT10_ENKUlT_T0_E_clISt17integral_constantIbLb1EES1V_EEDaS1Q_S1R_EUlS1Q_E_NS1_11comp_targetILNS1_3genE8ELNS1_11target_archE1030ELNS1_3gpuE2ELNS1_3repE0EEENS1_30default_config_static_selectorELNS0_4arch9wavefront6targetE1EEEvS13_.kd
    .uniform_work_group_size: 1
    .uses_dynamic_stack: false
    .vgpr_count:     0
    .vgpr_spill_count: 0
    .wavefront_size: 64
  - .args:
      - .offset:         0
        .size:           176
        .value_kind:     by_value
    .group_segment_fixed_size: 0
    .kernarg_segment_align: 8
    .kernarg_segment_size: 176
    .language:       OpenCL C
    .language_version:
      - 2
      - 0
    .max_flat_workgroup_size: 256
    .name:           _ZN7rocprim17ROCPRIM_400000_NS6detail17trampoline_kernelINS0_13select_configILj256ELj13ELNS0_17block_load_methodE3ELS4_3ELS4_3ELNS0_20block_scan_algorithmE0ELj4294967295EEENS1_25partition_config_selectorILNS1_17partition_subalgoE4EjNS0_10empty_typeEbEEZZNS1_14partition_implILS8_4ELb0ES6_15HIP_vector_typeIjLj2EENS0_17counting_iteratorIjlEEPS9_SG_NS0_5tupleIJPjSI_NS0_16reverse_iteratorISI_EEEEENSH_IJSG_SG_SG_EEES9_SI_JZNS1_25segmented_radix_sort_implINS0_14default_configELb0EPK12hip_bfloat16PSP_PKlPlN2at6native12_GLOBAL__N_18offset_tEEE10hipError_tPvRmT1_PNSt15iterator_traitsIS13_E10value_typeET2_T3_PNS14_IS19_E10value_typeET4_jRbjT5_S1F_jjP12ihipStream_tbEUljE_ZNSN_ISO_Lb0ESR_SS_SU_SV_SZ_EES10_S11_S12_S13_S17_S18_S19_S1C_S1D_jS1E_jS1F_S1F_jjS1H_bEUljE0_EEES10_S11_S12_S19_S1D_S1F_T6_T7_T9_mT8_S1H_bDpT10_ENKUlT_T0_E_clISt17integral_constantIbLb1EES1U_IbLb0EEEEDaS1Q_S1R_EUlS1Q_E_NS1_11comp_targetILNS1_3genE0ELNS1_11target_archE4294967295ELNS1_3gpuE0ELNS1_3repE0EEENS1_30default_config_static_selectorELNS0_4arch9wavefront6targetE1EEEvS13_
    .private_segment_fixed_size: 0
    .sgpr_count:     4
    .sgpr_spill_count: 0
    .symbol:         _ZN7rocprim17ROCPRIM_400000_NS6detail17trampoline_kernelINS0_13select_configILj256ELj13ELNS0_17block_load_methodE3ELS4_3ELS4_3ELNS0_20block_scan_algorithmE0ELj4294967295EEENS1_25partition_config_selectorILNS1_17partition_subalgoE4EjNS0_10empty_typeEbEEZZNS1_14partition_implILS8_4ELb0ES6_15HIP_vector_typeIjLj2EENS0_17counting_iteratorIjlEEPS9_SG_NS0_5tupleIJPjSI_NS0_16reverse_iteratorISI_EEEEENSH_IJSG_SG_SG_EEES9_SI_JZNS1_25segmented_radix_sort_implINS0_14default_configELb0EPK12hip_bfloat16PSP_PKlPlN2at6native12_GLOBAL__N_18offset_tEEE10hipError_tPvRmT1_PNSt15iterator_traitsIS13_E10value_typeET2_T3_PNS14_IS19_E10value_typeET4_jRbjT5_S1F_jjP12ihipStream_tbEUljE_ZNSN_ISO_Lb0ESR_SS_SU_SV_SZ_EES10_S11_S12_S13_S17_S18_S19_S1C_S1D_jS1E_jS1F_S1F_jjS1H_bEUljE0_EEES10_S11_S12_S19_S1D_S1F_T6_T7_T9_mT8_S1H_bDpT10_ENKUlT_T0_E_clISt17integral_constantIbLb1EES1U_IbLb0EEEEDaS1Q_S1R_EUlS1Q_E_NS1_11comp_targetILNS1_3genE0ELNS1_11target_archE4294967295ELNS1_3gpuE0ELNS1_3repE0EEENS1_30default_config_static_selectorELNS0_4arch9wavefront6targetE1EEEvS13_.kd
    .uniform_work_group_size: 1
    .uses_dynamic_stack: false
    .vgpr_count:     0
    .vgpr_spill_count: 0
    .wavefront_size: 64
  - .args:
      - .offset:         0
        .size:           176
        .value_kind:     by_value
    .group_segment_fixed_size: 0
    .kernarg_segment_align: 8
    .kernarg_segment_size: 176
    .language:       OpenCL C
    .language_version:
      - 2
      - 0
    .max_flat_workgroup_size: 256
    .name:           _ZN7rocprim17ROCPRIM_400000_NS6detail17trampoline_kernelINS0_13select_configILj256ELj13ELNS0_17block_load_methodE3ELS4_3ELS4_3ELNS0_20block_scan_algorithmE0ELj4294967295EEENS1_25partition_config_selectorILNS1_17partition_subalgoE4EjNS0_10empty_typeEbEEZZNS1_14partition_implILS8_4ELb0ES6_15HIP_vector_typeIjLj2EENS0_17counting_iteratorIjlEEPS9_SG_NS0_5tupleIJPjSI_NS0_16reverse_iteratorISI_EEEEENSH_IJSG_SG_SG_EEES9_SI_JZNS1_25segmented_radix_sort_implINS0_14default_configELb0EPK12hip_bfloat16PSP_PKlPlN2at6native12_GLOBAL__N_18offset_tEEE10hipError_tPvRmT1_PNSt15iterator_traitsIS13_E10value_typeET2_T3_PNS14_IS19_E10value_typeET4_jRbjT5_S1F_jjP12ihipStream_tbEUljE_ZNSN_ISO_Lb0ESR_SS_SU_SV_SZ_EES10_S11_S12_S13_S17_S18_S19_S1C_S1D_jS1E_jS1F_S1F_jjS1H_bEUljE0_EEES10_S11_S12_S19_S1D_S1F_T6_T7_T9_mT8_S1H_bDpT10_ENKUlT_T0_E_clISt17integral_constantIbLb1EES1U_IbLb0EEEEDaS1Q_S1R_EUlS1Q_E_NS1_11comp_targetILNS1_3genE5ELNS1_11target_archE942ELNS1_3gpuE9ELNS1_3repE0EEENS1_30default_config_static_selectorELNS0_4arch9wavefront6targetE1EEEvS13_
    .private_segment_fixed_size: 0
    .sgpr_count:     4
    .sgpr_spill_count: 0
    .symbol:         _ZN7rocprim17ROCPRIM_400000_NS6detail17trampoline_kernelINS0_13select_configILj256ELj13ELNS0_17block_load_methodE3ELS4_3ELS4_3ELNS0_20block_scan_algorithmE0ELj4294967295EEENS1_25partition_config_selectorILNS1_17partition_subalgoE4EjNS0_10empty_typeEbEEZZNS1_14partition_implILS8_4ELb0ES6_15HIP_vector_typeIjLj2EENS0_17counting_iteratorIjlEEPS9_SG_NS0_5tupleIJPjSI_NS0_16reverse_iteratorISI_EEEEENSH_IJSG_SG_SG_EEES9_SI_JZNS1_25segmented_radix_sort_implINS0_14default_configELb0EPK12hip_bfloat16PSP_PKlPlN2at6native12_GLOBAL__N_18offset_tEEE10hipError_tPvRmT1_PNSt15iterator_traitsIS13_E10value_typeET2_T3_PNS14_IS19_E10value_typeET4_jRbjT5_S1F_jjP12ihipStream_tbEUljE_ZNSN_ISO_Lb0ESR_SS_SU_SV_SZ_EES10_S11_S12_S13_S17_S18_S19_S1C_S1D_jS1E_jS1F_S1F_jjS1H_bEUljE0_EEES10_S11_S12_S19_S1D_S1F_T6_T7_T9_mT8_S1H_bDpT10_ENKUlT_T0_E_clISt17integral_constantIbLb1EES1U_IbLb0EEEEDaS1Q_S1R_EUlS1Q_E_NS1_11comp_targetILNS1_3genE5ELNS1_11target_archE942ELNS1_3gpuE9ELNS1_3repE0EEENS1_30default_config_static_selectorELNS0_4arch9wavefront6targetE1EEEvS13_.kd
    .uniform_work_group_size: 1
    .uses_dynamic_stack: false
    .vgpr_count:     0
    .vgpr_spill_count: 0
    .wavefront_size: 64
  - .args:
      - .offset:         0
        .size:           176
        .value_kind:     by_value
    .group_segment_fixed_size: 0
    .kernarg_segment_align: 8
    .kernarg_segment_size: 176
    .language:       OpenCL C
    .language_version:
      - 2
      - 0
    .max_flat_workgroup_size: 256
    .name:           _ZN7rocprim17ROCPRIM_400000_NS6detail17trampoline_kernelINS0_13select_configILj256ELj13ELNS0_17block_load_methodE3ELS4_3ELS4_3ELNS0_20block_scan_algorithmE0ELj4294967295EEENS1_25partition_config_selectorILNS1_17partition_subalgoE4EjNS0_10empty_typeEbEEZZNS1_14partition_implILS8_4ELb0ES6_15HIP_vector_typeIjLj2EENS0_17counting_iteratorIjlEEPS9_SG_NS0_5tupleIJPjSI_NS0_16reverse_iteratorISI_EEEEENSH_IJSG_SG_SG_EEES9_SI_JZNS1_25segmented_radix_sort_implINS0_14default_configELb0EPK12hip_bfloat16PSP_PKlPlN2at6native12_GLOBAL__N_18offset_tEEE10hipError_tPvRmT1_PNSt15iterator_traitsIS13_E10value_typeET2_T3_PNS14_IS19_E10value_typeET4_jRbjT5_S1F_jjP12ihipStream_tbEUljE_ZNSN_ISO_Lb0ESR_SS_SU_SV_SZ_EES10_S11_S12_S13_S17_S18_S19_S1C_S1D_jS1E_jS1F_S1F_jjS1H_bEUljE0_EEES10_S11_S12_S19_S1D_S1F_T6_T7_T9_mT8_S1H_bDpT10_ENKUlT_T0_E_clISt17integral_constantIbLb1EES1U_IbLb0EEEEDaS1Q_S1R_EUlS1Q_E_NS1_11comp_targetILNS1_3genE4ELNS1_11target_archE910ELNS1_3gpuE8ELNS1_3repE0EEENS1_30default_config_static_selectorELNS0_4arch9wavefront6targetE1EEEvS13_
    .private_segment_fixed_size: 0
    .sgpr_count:     4
    .sgpr_spill_count: 0
    .symbol:         _ZN7rocprim17ROCPRIM_400000_NS6detail17trampoline_kernelINS0_13select_configILj256ELj13ELNS0_17block_load_methodE3ELS4_3ELS4_3ELNS0_20block_scan_algorithmE0ELj4294967295EEENS1_25partition_config_selectorILNS1_17partition_subalgoE4EjNS0_10empty_typeEbEEZZNS1_14partition_implILS8_4ELb0ES6_15HIP_vector_typeIjLj2EENS0_17counting_iteratorIjlEEPS9_SG_NS0_5tupleIJPjSI_NS0_16reverse_iteratorISI_EEEEENSH_IJSG_SG_SG_EEES9_SI_JZNS1_25segmented_radix_sort_implINS0_14default_configELb0EPK12hip_bfloat16PSP_PKlPlN2at6native12_GLOBAL__N_18offset_tEEE10hipError_tPvRmT1_PNSt15iterator_traitsIS13_E10value_typeET2_T3_PNS14_IS19_E10value_typeET4_jRbjT5_S1F_jjP12ihipStream_tbEUljE_ZNSN_ISO_Lb0ESR_SS_SU_SV_SZ_EES10_S11_S12_S13_S17_S18_S19_S1C_S1D_jS1E_jS1F_S1F_jjS1H_bEUljE0_EEES10_S11_S12_S19_S1D_S1F_T6_T7_T9_mT8_S1H_bDpT10_ENKUlT_T0_E_clISt17integral_constantIbLb1EES1U_IbLb0EEEEDaS1Q_S1R_EUlS1Q_E_NS1_11comp_targetILNS1_3genE4ELNS1_11target_archE910ELNS1_3gpuE8ELNS1_3repE0EEENS1_30default_config_static_selectorELNS0_4arch9wavefront6targetE1EEEvS13_.kd
    .uniform_work_group_size: 1
    .uses_dynamic_stack: false
    .vgpr_count:     0
    .vgpr_spill_count: 0
    .wavefront_size: 64
  - .args:
      - .offset:         0
        .size:           176
        .value_kind:     by_value
    .group_segment_fixed_size: 0
    .kernarg_segment_align: 8
    .kernarg_segment_size: 176
    .language:       OpenCL C
    .language_version:
      - 2
      - 0
    .max_flat_workgroup_size: 256
    .name:           _ZN7rocprim17ROCPRIM_400000_NS6detail17trampoline_kernelINS0_13select_configILj256ELj13ELNS0_17block_load_methodE3ELS4_3ELS4_3ELNS0_20block_scan_algorithmE0ELj4294967295EEENS1_25partition_config_selectorILNS1_17partition_subalgoE4EjNS0_10empty_typeEbEEZZNS1_14partition_implILS8_4ELb0ES6_15HIP_vector_typeIjLj2EENS0_17counting_iteratorIjlEEPS9_SG_NS0_5tupleIJPjSI_NS0_16reverse_iteratorISI_EEEEENSH_IJSG_SG_SG_EEES9_SI_JZNS1_25segmented_radix_sort_implINS0_14default_configELb0EPK12hip_bfloat16PSP_PKlPlN2at6native12_GLOBAL__N_18offset_tEEE10hipError_tPvRmT1_PNSt15iterator_traitsIS13_E10value_typeET2_T3_PNS14_IS19_E10value_typeET4_jRbjT5_S1F_jjP12ihipStream_tbEUljE_ZNSN_ISO_Lb0ESR_SS_SU_SV_SZ_EES10_S11_S12_S13_S17_S18_S19_S1C_S1D_jS1E_jS1F_S1F_jjS1H_bEUljE0_EEES10_S11_S12_S19_S1D_S1F_T6_T7_T9_mT8_S1H_bDpT10_ENKUlT_T0_E_clISt17integral_constantIbLb1EES1U_IbLb0EEEEDaS1Q_S1R_EUlS1Q_E_NS1_11comp_targetILNS1_3genE3ELNS1_11target_archE908ELNS1_3gpuE7ELNS1_3repE0EEENS1_30default_config_static_selectorELNS0_4arch9wavefront6targetE1EEEvS13_
    .private_segment_fixed_size: 0
    .sgpr_count:     4
    .sgpr_spill_count: 0
    .symbol:         _ZN7rocprim17ROCPRIM_400000_NS6detail17trampoline_kernelINS0_13select_configILj256ELj13ELNS0_17block_load_methodE3ELS4_3ELS4_3ELNS0_20block_scan_algorithmE0ELj4294967295EEENS1_25partition_config_selectorILNS1_17partition_subalgoE4EjNS0_10empty_typeEbEEZZNS1_14partition_implILS8_4ELb0ES6_15HIP_vector_typeIjLj2EENS0_17counting_iteratorIjlEEPS9_SG_NS0_5tupleIJPjSI_NS0_16reverse_iteratorISI_EEEEENSH_IJSG_SG_SG_EEES9_SI_JZNS1_25segmented_radix_sort_implINS0_14default_configELb0EPK12hip_bfloat16PSP_PKlPlN2at6native12_GLOBAL__N_18offset_tEEE10hipError_tPvRmT1_PNSt15iterator_traitsIS13_E10value_typeET2_T3_PNS14_IS19_E10value_typeET4_jRbjT5_S1F_jjP12ihipStream_tbEUljE_ZNSN_ISO_Lb0ESR_SS_SU_SV_SZ_EES10_S11_S12_S13_S17_S18_S19_S1C_S1D_jS1E_jS1F_S1F_jjS1H_bEUljE0_EEES10_S11_S12_S19_S1D_S1F_T6_T7_T9_mT8_S1H_bDpT10_ENKUlT_T0_E_clISt17integral_constantIbLb1EES1U_IbLb0EEEEDaS1Q_S1R_EUlS1Q_E_NS1_11comp_targetILNS1_3genE3ELNS1_11target_archE908ELNS1_3gpuE7ELNS1_3repE0EEENS1_30default_config_static_selectorELNS0_4arch9wavefront6targetE1EEEvS13_.kd
    .uniform_work_group_size: 1
    .uses_dynamic_stack: false
    .vgpr_count:     0
    .vgpr_spill_count: 0
    .wavefront_size: 64
  - .args:
      - .offset:         0
        .size:           176
        .value_kind:     by_value
    .group_segment_fixed_size: 0
    .kernarg_segment_align: 8
    .kernarg_segment_size: 176
    .language:       OpenCL C
    .language_version:
      - 2
      - 0
    .max_flat_workgroup_size: 256
    .name:           _ZN7rocprim17ROCPRIM_400000_NS6detail17trampoline_kernelINS0_13select_configILj256ELj13ELNS0_17block_load_methodE3ELS4_3ELS4_3ELNS0_20block_scan_algorithmE0ELj4294967295EEENS1_25partition_config_selectorILNS1_17partition_subalgoE4EjNS0_10empty_typeEbEEZZNS1_14partition_implILS8_4ELb0ES6_15HIP_vector_typeIjLj2EENS0_17counting_iteratorIjlEEPS9_SG_NS0_5tupleIJPjSI_NS0_16reverse_iteratorISI_EEEEENSH_IJSG_SG_SG_EEES9_SI_JZNS1_25segmented_radix_sort_implINS0_14default_configELb0EPK12hip_bfloat16PSP_PKlPlN2at6native12_GLOBAL__N_18offset_tEEE10hipError_tPvRmT1_PNSt15iterator_traitsIS13_E10value_typeET2_T3_PNS14_IS19_E10value_typeET4_jRbjT5_S1F_jjP12ihipStream_tbEUljE_ZNSN_ISO_Lb0ESR_SS_SU_SV_SZ_EES10_S11_S12_S13_S17_S18_S19_S1C_S1D_jS1E_jS1F_S1F_jjS1H_bEUljE0_EEES10_S11_S12_S19_S1D_S1F_T6_T7_T9_mT8_S1H_bDpT10_ENKUlT_T0_E_clISt17integral_constantIbLb1EES1U_IbLb0EEEEDaS1Q_S1R_EUlS1Q_E_NS1_11comp_targetILNS1_3genE2ELNS1_11target_archE906ELNS1_3gpuE6ELNS1_3repE0EEENS1_30default_config_static_selectorELNS0_4arch9wavefront6targetE1EEEvS13_
    .private_segment_fixed_size: 0
    .sgpr_count:     4
    .sgpr_spill_count: 0
    .symbol:         _ZN7rocprim17ROCPRIM_400000_NS6detail17trampoline_kernelINS0_13select_configILj256ELj13ELNS0_17block_load_methodE3ELS4_3ELS4_3ELNS0_20block_scan_algorithmE0ELj4294967295EEENS1_25partition_config_selectorILNS1_17partition_subalgoE4EjNS0_10empty_typeEbEEZZNS1_14partition_implILS8_4ELb0ES6_15HIP_vector_typeIjLj2EENS0_17counting_iteratorIjlEEPS9_SG_NS0_5tupleIJPjSI_NS0_16reverse_iteratorISI_EEEEENSH_IJSG_SG_SG_EEES9_SI_JZNS1_25segmented_radix_sort_implINS0_14default_configELb0EPK12hip_bfloat16PSP_PKlPlN2at6native12_GLOBAL__N_18offset_tEEE10hipError_tPvRmT1_PNSt15iterator_traitsIS13_E10value_typeET2_T3_PNS14_IS19_E10value_typeET4_jRbjT5_S1F_jjP12ihipStream_tbEUljE_ZNSN_ISO_Lb0ESR_SS_SU_SV_SZ_EES10_S11_S12_S13_S17_S18_S19_S1C_S1D_jS1E_jS1F_S1F_jjS1H_bEUljE0_EEES10_S11_S12_S19_S1D_S1F_T6_T7_T9_mT8_S1H_bDpT10_ENKUlT_T0_E_clISt17integral_constantIbLb1EES1U_IbLb0EEEEDaS1Q_S1R_EUlS1Q_E_NS1_11comp_targetILNS1_3genE2ELNS1_11target_archE906ELNS1_3gpuE6ELNS1_3repE0EEENS1_30default_config_static_selectorELNS0_4arch9wavefront6targetE1EEEvS13_.kd
    .uniform_work_group_size: 1
    .uses_dynamic_stack: false
    .vgpr_count:     0
    .vgpr_spill_count: 0
    .wavefront_size: 64
  - .args:
      - .offset:         0
        .size:           176
        .value_kind:     by_value
    .group_segment_fixed_size: 0
    .kernarg_segment_align: 8
    .kernarg_segment_size: 176
    .language:       OpenCL C
    .language_version:
      - 2
      - 0
    .max_flat_workgroup_size: 256
    .name:           _ZN7rocprim17ROCPRIM_400000_NS6detail17trampoline_kernelINS0_13select_configILj256ELj13ELNS0_17block_load_methodE3ELS4_3ELS4_3ELNS0_20block_scan_algorithmE0ELj4294967295EEENS1_25partition_config_selectorILNS1_17partition_subalgoE4EjNS0_10empty_typeEbEEZZNS1_14partition_implILS8_4ELb0ES6_15HIP_vector_typeIjLj2EENS0_17counting_iteratorIjlEEPS9_SG_NS0_5tupleIJPjSI_NS0_16reverse_iteratorISI_EEEEENSH_IJSG_SG_SG_EEES9_SI_JZNS1_25segmented_radix_sort_implINS0_14default_configELb0EPK12hip_bfloat16PSP_PKlPlN2at6native12_GLOBAL__N_18offset_tEEE10hipError_tPvRmT1_PNSt15iterator_traitsIS13_E10value_typeET2_T3_PNS14_IS19_E10value_typeET4_jRbjT5_S1F_jjP12ihipStream_tbEUljE_ZNSN_ISO_Lb0ESR_SS_SU_SV_SZ_EES10_S11_S12_S13_S17_S18_S19_S1C_S1D_jS1E_jS1F_S1F_jjS1H_bEUljE0_EEES10_S11_S12_S19_S1D_S1F_T6_T7_T9_mT8_S1H_bDpT10_ENKUlT_T0_E_clISt17integral_constantIbLb1EES1U_IbLb0EEEEDaS1Q_S1R_EUlS1Q_E_NS1_11comp_targetILNS1_3genE10ELNS1_11target_archE1200ELNS1_3gpuE4ELNS1_3repE0EEENS1_30default_config_static_selectorELNS0_4arch9wavefront6targetE1EEEvS13_
    .private_segment_fixed_size: 0
    .sgpr_count:     4
    .sgpr_spill_count: 0
    .symbol:         _ZN7rocprim17ROCPRIM_400000_NS6detail17trampoline_kernelINS0_13select_configILj256ELj13ELNS0_17block_load_methodE3ELS4_3ELS4_3ELNS0_20block_scan_algorithmE0ELj4294967295EEENS1_25partition_config_selectorILNS1_17partition_subalgoE4EjNS0_10empty_typeEbEEZZNS1_14partition_implILS8_4ELb0ES6_15HIP_vector_typeIjLj2EENS0_17counting_iteratorIjlEEPS9_SG_NS0_5tupleIJPjSI_NS0_16reverse_iteratorISI_EEEEENSH_IJSG_SG_SG_EEES9_SI_JZNS1_25segmented_radix_sort_implINS0_14default_configELb0EPK12hip_bfloat16PSP_PKlPlN2at6native12_GLOBAL__N_18offset_tEEE10hipError_tPvRmT1_PNSt15iterator_traitsIS13_E10value_typeET2_T3_PNS14_IS19_E10value_typeET4_jRbjT5_S1F_jjP12ihipStream_tbEUljE_ZNSN_ISO_Lb0ESR_SS_SU_SV_SZ_EES10_S11_S12_S13_S17_S18_S19_S1C_S1D_jS1E_jS1F_S1F_jjS1H_bEUljE0_EEES10_S11_S12_S19_S1D_S1F_T6_T7_T9_mT8_S1H_bDpT10_ENKUlT_T0_E_clISt17integral_constantIbLb1EES1U_IbLb0EEEEDaS1Q_S1R_EUlS1Q_E_NS1_11comp_targetILNS1_3genE10ELNS1_11target_archE1200ELNS1_3gpuE4ELNS1_3repE0EEENS1_30default_config_static_selectorELNS0_4arch9wavefront6targetE1EEEvS13_.kd
    .uniform_work_group_size: 1
    .uses_dynamic_stack: false
    .vgpr_count:     0
    .vgpr_spill_count: 0
    .wavefront_size: 64
  - .args:
      - .offset:         0
        .size:           176
        .value_kind:     by_value
    .group_segment_fixed_size: 0
    .kernarg_segment_align: 8
    .kernarg_segment_size: 176
    .language:       OpenCL C
    .language_version:
      - 2
      - 0
    .max_flat_workgroup_size: 256
    .name:           _ZN7rocprim17ROCPRIM_400000_NS6detail17trampoline_kernelINS0_13select_configILj256ELj13ELNS0_17block_load_methodE3ELS4_3ELS4_3ELNS0_20block_scan_algorithmE0ELj4294967295EEENS1_25partition_config_selectorILNS1_17partition_subalgoE4EjNS0_10empty_typeEbEEZZNS1_14partition_implILS8_4ELb0ES6_15HIP_vector_typeIjLj2EENS0_17counting_iteratorIjlEEPS9_SG_NS0_5tupleIJPjSI_NS0_16reverse_iteratorISI_EEEEENSH_IJSG_SG_SG_EEES9_SI_JZNS1_25segmented_radix_sort_implINS0_14default_configELb0EPK12hip_bfloat16PSP_PKlPlN2at6native12_GLOBAL__N_18offset_tEEE10hipError_tPvRmT1_PNSt15iterator_traitsIS13_E10value_typeET2_T3_PNS14_IS19_E10value_typeET4_jRbjT5_S1F_jjP12ihipStream_tbEUljE_ZNSN_ISO_Lb0ESR_SS_SU_SV_SZ_EES10_S11_S12_S13_S17_S18_S19_S1C_S1D_jS1E_jS1F_S1F_jjS1H_bEUljE0_EEES10_S11_S12_S19_S1D_S1F_T6_T7_T9_mT8_S1H_bDpT10_ENKUlT_T0_E_clISt17integral_constantIbLb1EES1U_IbLb0EEEEDaS1Q_S1R_EUlS1Q_E_NS1_11comp_targetILNS1_3genE9ELNS1_11target_archE1100ELNS1_3gpuE3ELNS1_3repE0EEENS1_30default_config_static_selectorELNS0_4arch9wavefront6targetE1EEEvS13_
    .private_segment_fixed_size: 0
    .sgpr_count:     4
    .sgpr_spill_count: 0
    .symbol:         _ZN7rocprim17ROCPRIM_400000_NS6detail17trampoline_kernelINS0_13select_configILj256ELj13ELNS0_17block_load_methodE3ELS4_3ELS4_3ELNS0_20block_scan_algorithmE0ELj4294967295EEENS1_25partition_config_selectorILNS1_17partition_subalgoE4EjNS0_10empty_typeEbEEZZNS1_14partition_implILS8_4ELb0ES6_15HIP_vector_typeIjLj2EENS0_17counting_iteratorIjlEEPS9_SG_NS0_5tupleIJPjSI_NS0_16reverse_iteratorISI_EEEEENSH_IJSG_SG_SG_EEES9_SI_JZNS1_25segmented_radix_sort_implINS0_14default_configELb0EPK12hip_bfloat16PSP_PKlPlN2at6native12_GLOBAL__N_18offset_tEEE10hipError_tPvRmT1_PNSt15iterator_traitsIS13_E10value_typeET2_T3_PNS14_IS19_E10value_typeET4_jRbjT5_S1F_jjP12ihipStream_tbEUljE_ZNSN_ISO_Lb0ESR_SS_SU_SV_SZ_EES10_S11_S12_S13_S17_S18_S19_S1C_S1D_jS1E_jS1F_S1F_jjS1H_bEUljE0_EEES10_S11_S12_S19_S1D_S1F_T6_T7_T9_mT8_S1H_bDpT10_ENKUlT_T0_E_clISt17integral_constantIbLb1EES1U_IbLb0EEEEDaS1Q_S1R_EUlS1Q_E_NS1_11comp_targetILNS1_3genE9ELNS1_11target_archE1100ELNS1_3gpuE3ELNS1_3repE0EEENS1_30default_config_static_selectorELNS0_4arch9wavefront6targetE1EEEvS13_.kd
    .uniform_work_group_size: 1
    .uses_dynamic_stack: false
    .vgpr_count:     0
    .vgpr_spill_count: 0
    .wavefront_size: 64
  - .args:
      - .offset:         0
        .size:           176
        .value_kind:     by_value
    .group_segment_fixed_size: 0
    .kernarg_segment_align: 8
    .kernarg_segment_size: 176
    .language:       OpenCL C
    .language_version:
      - 2
      - 0
    .max_flat_workgroup_size: 256
    .name:           _ZN7rocprim17ROCPRIM_400000_NS6detail17trampoline_kernelINS0_13select_configILj256ELj13ELNS0_17block_load_methodE3ELS4_3ELS4_3ELNS0_20block_scan_algorithmE0ELj4294967295EEENS1_25partition_config_selectorILNS1_17partition_subalgoE4EjNS0_10empty_typeEbEEZZNS1_14partition_implILS8_4ELb0ES6_15HIP_vector_typeIjLj2EENS0_17counting_iteratorIjlEEPS9_SG_NS0_5tupleIJPjSI_NS0_16reverse_iteratorISI_EEEEENSH_IJSG_SG_SG_EEES9_SI_JZNS1_25segmented_radix_sort_implINS0_14default_configELb0EPK12hip_bfloat16PSP_PKlPlN2at6native12_GLOBAL__N_18offset_tEEE10hipError_tPvRmT1_PNSt15iterator_traitsIS13_E10value_typeET2_T3_PNS14_IS19_E10value_typeET4_jRbjT5_S1F_jjP12ihipStream_tbEUljE_ZNSN_ISO_Lb0ESR_SS_SU_SV_SZ_EES10_S11_S12_S13_S17_S18_S19_S1C_S1D_jS1E_jS1F_S1F_jjS1H_bEUljE0_EEES10_S11_S12_S19_S1D_S1F_T6_T7_T9_mT8_S1H_bDpT10_ENKUlT_T0_E_clISt17integral_constantIbLb1EES1U_IbLb0EEEEDaS1Q_S1R_EUlS1Q_E_NS1_11comp_targetILNS1_3genE8ELNS1_11target_archE1030ELNS1_3gpuE2ELNS1_3repE0EEENS1_30default_config_static_selectorELNS0_4arch9wavefront6targetE1EEEvS13_
    .private_segment_fixed_size: 0
    .sgpr_count:     4
    .sgpr_spill_count: 0
    .symbol:         _ZN7rocprim17ROCPRIM_400000_NS6detail17trampoline_kernelINS0_13select_configILj256ELj13ELNS0_17block_load_methodE3ELS4_3ELS4_3ELNS0_20block_scan_algorithmE0ELj4294967295EEENS1_25partition_config_selectorILNS1_17partition_subalgoE4EjNS0_10empty_typeEbEEZZNS1_14partition_implILS8_4ELb0ES6_15HIP_vector_typeIjLj2EENS0_17counting_iteratorIjlEEPS9_SG_NS0_5tupleIJPjSI_NS0_16reverse_iteratorISI_EEEEENSH_IJSG_SG_SG_EEES9_SI_JZNS1_25segmented_radix_sort_implINS0_14default_configELb0EPK12hip_bfloat16PSP_PKlPlN2at6native12_GLOBAL__N_18offset_tEEE10hipError_tPvRmT1_PNSt15iterator_traitsIS13_E10value_typeET2_T3_PNS14_IS19_E10value_typeET4_jRbjT5_S1F_jjP12ihipStream_tbEUljE_ZNSN_ISO_Lb0ESR_SS_SU_SV_SZ_EES10_S11_S12_S13_S17_S18_S19_S1C_S1D_jS1E_jS1F_S1F_jjS1H_bEUljE0_EEES10_S11_S12_S19_S1D_S1F_T6_T7_T9_mT8_S1H_bDpT10_ENKUlT_T0_E_clISt17integral_constantIbLb1EES1U_IbLb0EEEEDaS1Q_S1R_EUlS1Q_E_NS1_11comp_targetILNS1_3genE8ELNS1_11target_archE1030ELNS1_3gpuE2ELNS1_3repE0EEENS1_30default_config_static_selectorELNS0_4arch9wavefront6targetE1EEEvS13_.kd
    .uniform_work_group_size: 1
    .uses_dynamic_stack: false
    .vgpr_count:     0
    .vgpr_spill_count: 0
    .wavefront_size: 64
  - .args:
      - .offset:         0
        .size:           184
        .value_kind:     by_value
    .group_segment_fixed_size: 0
    .kernarg_segment_align: 8
    .kernarg_segment_size: 184
    .language:       OpenCL C
    .language_version:
      - 2
      - 0
    .max_flat_workgroup_size: 256
    .name:           _ZN7rocprim17ROCPRIM_400000_NS6detail17trampoline_kernelINS0_13select_configILj256ELj13ELNS0_17block_load_methodE3ELS4_3ELS4_3ELNS0_20block_scan_algorithmE0ELj4294967295EEENS1_25partition_config_selectorILNS1_17partition_subalgoE4EjNS0_10empty_typeEbEEZZNS1_14partition_implILS8_4ELb0ES6_15HIP_vector_typeIjLj2EENS0_17counting_iteratorIjlEEPS9_SG_NS0_5tupleIJPjSI_NS0_16reverse_iteratorISI_EEEEENSH_IJSG_SG_SG_EEES9_SI_JZNS1_25segmented_radix_sort_implINS0_14default_configELb0EPK12hip_bfloat16PSP_PKlPlN2at6native12_GLOBAL__N_18offset_tEEE10hipError_tPvRmT1_PNSt15iterator_traitsIS13_E10value_typeET2_T3_PNS14_IS19_E10value_typeET4_jRbjT5_S1F_jjP12ihipStream_tbEUljE_ZNSN_ISO_Lb0ESR_SS_SU_SV_SZ_EES10_S11_S12_S13_S17_S18_S19_S1C_S1D_jS1E_jS1F_S1F_jjS1H_bEUljE0_EEES10_S11_S12_S19_S1D_S1F_T6_T7_T9_mT8_S1H_bDpT10_ENKUlT_T0_E_clISt17integral_constantIbLb0EES1U_IbLb1EEEEDaS1Q_S1R_EUlS1Q_E_NS1_11comp_targetILNS1_3genE0ELNS1_11target_archE4294967295ELNS1_3gpuE0ELNS1_3repE0EEENS1_30default_config_static_selectorELNS0_4arch9wavefront6targetE1EEEvS13_
    .private_segment_fixed_size: 0
    .sgpr_count:     4
    .sgpr_spill_count: 0
    .symbol:         _ZN7rocprim17ROCPRIM_400000_NS6detail17trampoline_kernelINS0_13select_configILj256ELj13ELNS0_17block_load_methodE3ELS4_3ELS4_3ELNS0_20block_scan_algorithmE0ELj4294967295EEENS1_25partition_config_selectorILNS1_17partition_subalgoE4EjNS0_10empty_typeEbEEZZNS1_14partition_implILS8_4ELb0ES6_15HIP_vector_typeIjLj2EENS0_17counting_iteratorIjlEEPS9_SG_NS0_5tupleIJPjSI_NS0_16reverse_iteratorISI_EEEEENSH_IJSG_SG_SG_EEES9_SI_JZNS1_25segmented_radix_sort_implINS0_14default_configELb0EPK12hip_bfloat16PSP_PKlPlN2at6native12_GLOBAL__N_18offset_tEEE10hipError_tPvRmT1_PNSt15iterator_traitsIS13_E10value_typeET2_T3_PNS14_IS19_E10value_typeET4_jRbjT5_S1F_jjP12ihipStream_tbEUljE_ZNSN_ISO_Lb0ESR_SS_SU_SV_SZ_EES10_S11_S12_S13_S17_S18_S19_S1C_S1D_jS1E_jS1F_S1F_jjS1H_bEUljE0_EEES10_S11_S12_S19_S1D_S1F_T6_T7_T9_mT8_S1H_bDpT10_ENKUlT_T0_E_clISt17integral_constantIbLb0EES1U_IbLb1EEEEDaS1Q_S1R_EUlS1Q_E_NS1_11comp_targetILNS1_3genE0ELNS1_11target_archE4294967295ELNS1_3gpuE0ELNS1_3repE0EEENS1_30default_config_static_selectorELNS0_4arch9wavefront6targetE1EEEvS13_.kd
    .uniform_work_group_size: 1
    .uses_dynamic_stack: false
    .vgpr_count:     0
    .vgpr_spill_count: 0
    .wavefront_size: 64
  - .args:
      - .offset:         0
        .size:           184
        .value_kind:     by_value
    .group_segment_fixed_size: 0
    .kernarg_segment_align: 8
    .kernarg_segment_size: 184
    .language:       OpenCL C
    .language_version:
      - 2
      - 0
    .max_flat_workgroup_size: 256
    .name:           _ZN7rocprim17ROCPRIM_400000_NS6detail17trampoline_kernelINS0_13select_configILj256ELj13ELNS0_17block_load_methodE3ELS4_3ELS4_3ELNS0_20block_scan_algorithmE0ELj4294967295EEENS1_25partition_config_selectorILNS1_17partition_subalgoE4EjNS0_10empty_typeEbEEZZNS1_14partition_implILS8_4ELb0ES6_15HIP_vector_typeIjLj2EENS0_17counting_iteratorIjlEEPS9_SG_NS0_5tupleIJPjSI_NS0_16reverse_iteratorISI_EEEEENSH_IJSG_SG_SG_EEES9_SI_JZNS1_25segmented_radix_sort_implINS0_14default_configELb0EPK12hip_bfloat16PSP_PKlPlN2at6native12_GLOBAL__N_18offset_tEEE10hipError_tPvRmT1_PNSt15iterator_traitsIS13_E10value_typeET2_T3_PNS14_IS19_E10value_typeET4_jRbjT5_S1F_jjP12ihipStream_tbEUljE_ZNSN_ISO_Lb0ESR_SS_SU_SV_SZ_EES10_S11_S12_S13_S17_S18_S19_S1C_S1D_jS1E_jS1F_S1F_jjS1H_bEUljE0_EEES10_S11_S12_S19_S1D_S1F_T6_T7_T9_mT8_S1H_bDpT10_ENKUlT_T0_E_clISt17integral_constantIbLb0EES1U_IbLb1EEEEDaS1Q_S1R_EUlS1Q_E_NS1_11comp_targetILNS1_3genE5ELNS1_11target_archE942ELNS1_3gpuE9ELNS1_3repE0EEENS1_30default_config_static_selectorELNS0_4arch9wavefront6targetE1EEEvS13_
    .private_segment_fixed_size: 0
    .sgpr_count:     4
    .sgpr_spill_count: 0
    .symbol:         _ZN7rocprim17ROCPRIM_400000_NS6detail17trampoline_kernelINS0_13select_configILj256ELj13ELNS0_17block_load_methodE3ELS4_3ELS4_3ELNS0_20block_scan_algorithmE0ELj4294967295EEENS1_25partition_config_selectorILNS1_17partition_subalgoE4EjNS0_10empty_typeEbEEZZNS1_14partition_implILS8_4ELb0ES6_15HIP_vector_typeIjLj2EENS0_17counting_iteratorIjlEEPS9_SG_NS0_5tupleIJPjSI_NS0_16reverse_iteratorISI_EEEEENSH_IJSG_SG_SG_EEES9_SI_JZNS1_25segmented_radix_sort_implINS0_14default_configELb0EPK12hip_bfloat16PSP_PKlPlN2at6native12_GLOBAL__N_18offset_tEEE10hipError_tPvRmT1_PNSt15iterator_traitsIS13_E10value_typeET2_T3_PNS14_IS19_E10value_typeET4_jRbjT5_S1F_jjP12ihipStream_tbEUljE_ZNSN_ISO_Lb0ESR_SS_SU_SV_SZ_EES10_S11_S12_S13_S17_S18_S19_S1C_S1D_jS1E_jS1F_S1F_jjS1H_bEUljE0_EEES10_S11_S12_S19_S1D_S1F_T6_T7_T9_mT8_S1H_bDpT10_ENKUlT_T0_E_clISt17integral_constantIbLb0EES1U_IbLb1EEEEDaS1Q_S1R_EUlS1Q_E_NS1_11comp_targetILNS1_3genE5ELNS1_11target_archE942ELNS1_3gpuE9ELNS1_3repE0EEENS1_30default_config_static_selectorELNS0_4arch9wavefront6targetE1EEEvS13_.kd
    .uniform_work_group_size: 1
    .uses_dynamic_stack: false
    .vgpr_count:     0
    .vgpr_spill_count: 0
    .wavefront_size: 64
  - .args:
      - .offset:         0
        .size:           184
        .value_kind:     by_value
    .group_segment_fixed_size: 0
    .kernarg_segment_align: 8
    .kernarg_segment_size: 184
    .language:       OpenCL C
    .language_version:
      - 2
      - 0
    .max_flat_workgroup_size: 256
    .name:           _ZN7rocprim17ROCPRIM_400000_NS6detail17trampoline_kernelINS0_13select_configILj256ELj13ELNS0_17block_load_methodE3ELS4_3ELS4_3ELNS0_20block_scan_algorithmE0ELj4294967295EEENS1_25partition_config_selectorILNS1_17partition_subalgoE4EjNS0_10empty_typeEbEEZZNS1_14partition_implILS8_4ELb0ES6_15HIP_vector_typeIjLj2EENS0_17counting_iteratorIjlEEPS9_SG_NS0_5tupleIJPjSI_NS0_16reverse_iteratorISI_EEEEENSH_IJSG_SG_SG_EEES9_SI_JZNS1_25segmented_radix_sort_implINS0_14default_configELb0EPK12hip_bfloat16PSP_PKlPlN2at6native12_GLOBAL__N_18offset_tEEE10hipError_tPvRmT1_PNSt15iterator_traitsIS13_E10value_typeET2_T3_PNS14_IS19_E10value_typeET4_jRbjT5_S1F_jjP12ihipStream_tbEUljE_ZNSN_ISO_Lb0ESR_SS_SU_SV_SZ_EES10_S11_S12_S13_S17_S18_S19_S1C_S1D_jS1E_jS1F_S1F_jjS1H_bEUljE0_EEES10_S11_S12_S19_S1D_S1F_T6_T7_T9_mT8_S1H_bDpT10_ENKUlT_T0_E_clISt17integral_constantIbLb0EES1U_IbLb1EEEEDaS1Q_S1R_EUlS1Q_E_NS1_11comp_targetILNS1_3genE4ELNS1_11target_archE910ELNS1_3gpuE8ELNS1_3repE0EEENS1_30default_config_static_selectorELNS0_4arch9wavefront6targetE1EEEvS13_
    .private_segment_fixed_size: 0
    .sgpr_count:     4
    .sgpr_spill_count: 0
    .symbol:         _ZN7rocprim17ROCPRIM_400000_NS6detail17trampoline_kernelINS0_13select_configILj256ELj13ELNS0_17block_load_methodE3ELS4_3ELS4_3ELNS0_20block_scan_algorithmE0ELj4294967295EEENS1_25partition_config_selectorILNS1_17partition_subalgoE4EjNS0_10empty_typeEbEEZZNS1_14partition_implILS8_4ELb0ES6_15HIP_vector_typeIjLj2EENS0_17counting_iteratorIjlEEPS9_SG_NS0_5tupleIJPjSI_NS0_16reverse_iteratorISI_EEEEENSH_IJSG_SG_SG_EEES9_SI_JZNS1_25segmented_radix_sort_implINS0_14default_configELb0EPK12hip_bfloat16PSP_PKlPlN2at6native12_GLOBAL__N_18offset_tEEE10hipError_tPvRmT1_PNSt15iterator_traitsIS13_E10value_typeET2_T3_PNS14_IS19_E10value_typeET4_jRbjT5_S1F_jjP12ihipStream_tbEUljE_ZNSN_ISO_Lb0ESR_SS_SU_SV_SZ_EES10_S11_S12_S13_S17_S18_S19_S1C_S1D_jS1E_jS1F_S1F_jjS1H_bEUljE0_EEES10_S11_S12_S19_S1D_S1F_T6_T7_T9_mT8_S1H_bDpT10_ENKUlT_T0_E_clISt17integral_constantIbLb0EES1U_IbLb1EEEEDaS1Q_S1R_EUlS1Q_E_NS1_11comp_targetILNS1_3genE4ELNS1_11target_archE910ELNS1_3gpuE8ELNS1_3repE0EEENS1_30default_config_static_selectorELNS0_4arch9wavefront6targetE1EEEvS13_.kd
    .uniform_work_group_size: 1
    .uses_dynamic_stack: false
    .vgpr_count:     0
    .vgpr_spill_count: 0
    .wavefront_size: 64
  - .args:
      - .offset:         0
        .size:           184
        .value_kind:     by_value
    .group_segment_fixed_size: 0
    .kernarg_segment_align: 8
    .kernarg_segment_size: 184
    .language:       OpenCL C
    .language_version:
      - 2
      - 0
    .max_flat_workgroup_size: 256
    .name:           _ZN7rocprim17ROCPRIM_400000_NS6detail17trampoline_kernelINS0_13select_configILj256ELj13ELNS0_17block_load_methodE3ELS4_3ELS4_3ELNS0_20block_scan_algorithmE0ELj4294967295EEENS1_25partition_config_selectorILNS1_17partition_subalgoE4EjNS0_10empty_typeEbEEZZNS1_14partition_implILS8_4ELb0ES6_15HIP_vector_typeIjLj2EENS0_17counting_iteratorIjlEEPS9_SG_NS0_5tupleIJPjSI_NS0_16reverse_iteratorISI_EEEEENSH_IJSG_SG_SG_EEES9_SI_JZNS1_25segmented_radix_sort_implINS0_14default_configELb0EPK12hip_bfloat16PSP_PKlPlN2at6native12_GLOBAL__N_18offset_tEEE10hipError_tPvRmT1_PNSt15iterator_traitsIS13_E10value_typeET2_T3_PNS14_IS19_E10value_typeET4_jRbjT5_S1F_jjP12ihipStream_tbEUljE_ZNSN_ISO_Lb0ESR_SS_SU_SV_SZ_EES10_S11_S12_S13_S17_S18_S19_S1C_S1D_jS1E_jS1F_S1F_jjS1H_bEUljE0_EEES10_S11_S12_S19_S1D_S1F_T6_T7_T9_mT8_S1H_bDpT10_ENKUlT_T0_E_clISt17integral_constantIbLb0EES1U_IbLb1EEEEDaS1Q_S1R_EUlS1Q_E_NS1_11comp_targetILNS1_3genE3ELNS1_11target_archE908ELNS1_3gpuE7ELNS1_3repE0EEENS1_30default_config_static_selectorELNS0_4arch9wavefront6targetE1EEEvS13_
    .private_segment_fixed_size: 0
    .sgpr_count:     4
    .sgpr_spill_count: 0
    .symbol:         _ZN7rocprim17ROCPRIM_400000_NS6detail17trampoline_kernelINS0_13select_configILj256ELj13ELNS0_17block_load_methodE3ELS4_3ELS4_3ELNS0_20block_scan_algorithmE0ELj4294967295EEENS1_25partition_config_selectorILNS1_17partition_subalgoE4EjNS0_10empty_typeEbEEZZNS1_14partition_implILS8_4ELb0ES6_15HIP_vector_typeIjLj2EENS0_17counting_iteratorIjlEEPS9_SG_NS0_5tupleIJPjSI_NS0_16reverse_iteratorISI_EEEEENSH_IJSG_SG_SG_EEES9_SI_JZNS1_25segmented_radix_sort_implINS0_14default_configELb0EPK12hip_bfloat16PSP_PKlPlN2at6native12_GLOBAL__N_18offset_tEEE10hipError_tPvRmT1_PNSt15iterator_traitsIS13_E10value_typeET2_T3_PNS14_IS19_E10value_typeET4_jRbjT5_S1F_jjP12ihipStream_tbEUljE_ZNSN_ISO_Lb0ESR_SS_SU_SV_SZ_EES10_S11_S12_S13_S17_S18_S19_S1C_S1D_jS1E_jS1F_S1F_jjS1H_bEUljE0_EEES10_S11_S12_S19_S1D_S1F_T6_T7_T9_mT8_S1H_bDpT10_ENKUlT_T0_E_clISt17integral_constantIbLb0EES1U_IbLb1EEEEDaS1Q_S1R_EUlS1Q_E_NS1_11comp_targetILNS1_3genE3ELNS1_11target_archE908ELNS1_3gpuE7ELNS1_3repE0EEENS1_30default_config_static_selectorELNS0_4arch9wavefront6targetE1EEEvS13_.kd
    .uniform_work_group_size: 1
    .uses_dynamic_stack: false
    .vgpr_count:     0
    .vgpr_spill_count: 0
    .wavefront_size: 64
  - .args:
      - .offset:         0
        .size:           184
        .value_kind:     by_value
    .group_segment_fixed_size: 13328
    .kernarg_segment_align: 8
    .kernarg_segment_size: 184
    .language:       OpenCL C
    .language_version:
      - 2
      - 0
    .max_flat_workgroup_size: 256
    .name:           _ZN7rocprim17ROCPRIM_400000_NS6detail17trampoline_kernelINS0_13select_configILj256ELj13ELNS0_17block_load_methodE3ELS4_3ELS4_3ELNS0_20block_scan_algorithmE0ELj4294967295EEENS1_25partition_config_selectorILNS1_17partition_subalgoE4EjNS0_10empty_typeEbEEZZNS1_14partition_implILS8_4ELb0ES6_15HIP_vector_typeIjLj2EENS0_17counting_iteratorIjlEEPS9_SG_NS0_5tupleIJPjSI_NS0_16reverse_iteratorISI_EEEEENSH_IJSG_SG_SG_EEES9_SI_JZNS1_25segmented_radix_sort_implINS0_14default_configELb0EPK12hip_bfloat16PSP_PKlPlN2at6native12_GLOBAL__N_18offset_tEEE10hipError_tPvRmT1_PNSt15iterator_traitsIS13_E10value_typeET2_T3_PNS14_IS19_E10value_typeET4_jRbjT5_S1F_jjP12ihipStream_tbEUljE_ZNSN_ISO_Lb0ESR_SS_SU_SV_SZ_EES10_S11_S12_S13_S17_S18_S19_S1C_S1D_jS1E_jS1F_S1F_jjS1H_bEUljE0_EEES10_S11_S12_S19_S1D_S1F_T6_T7_T9_mT8_S1H_bDpT10_ENKUlT_T0_E_clISt17integral_constantIbLb0EES1U_IbLb1EEEEDaS1Q_S1R_EUlS1Q_E_NS1_11comp_targetILNS1_3genE2ELNS1_11target_archE906ELNS1_3gpuE6ELNS1_3repE0EEENS1_30default_config_static_selectorELNS0_4arch9wavefront6targetE1EEEvS13_
    .private_segment_fixed_size: 0
    .sgpr_count:     91
    .sgpr_spill_count: 0
    .symbol:         _ZN7rocprim17ROCPRIM_400000_NS6detail17trampoline_kernelINS0_13select_configILj256ELj13ELNS0_17block_load_methodE3ELS4_3ELS4_3ELNS0_20block_scan_algorithmE0ELj4294967295EEENS1_25partition_config_selectorILNS1_17partition_subalgoE4EjNS0_10empty_typeEbEEZZNS1_14partition_implILS8_4ELb0ES6_15HIP_vector_typeIjLj2EENS0_17counting_iteratorIjlEEPS9_SG_NS0_5tupleIJPjSI_NS0_16reverse_iteratorISI_EEEEENSH_IJSG_SG_SG_EEES9_SI_JZNS1_25segmented_radix_sort_implINS0_14default_configELb0EPK12hip_bfloat16PSP_PKlPlN2at6native12_GLOBAL__N_18offset_tEEE10hipError_tPvRmT1_PNSt15iterator_traitsIS13_E10value_typeET2_T3_PNS14_IS19_E10value_typeET4_jRbjT5_S1F_jjP12ihipStream_tbEUljE_ZNSN_ISO_Lb0ESR_SS_SU_SV_SZ_EES10_S11_S12_S13_S17_S18_S19_S1C_S1D_jS1E_jS1F_S1F_jjS1H_bEUljE0_EEES10_S11_S12_S19_S1D_S1F_T6_T7_T9_mT8_S1H_bDpT10_ENKUlT_T0_E_clISt17integral_constantIbLb0EES1U_IbLb1EEEEDaS1Q_S1R_EUlS1Q_E_NS1_11comp_targetILNS1_3genE2ELNS1_11target_archE906ELNS1_3gpuE6ELNS1_3repE0EEENS1_30default_config_static_selectorELNS0_4arch9wavefront6targetE1EEEvS13_.kd
    .uniform_work_group_size: 1
    .uses_dynamic_stack: false
    .vgpr_count:     91
    .vgpr_spill_count: 0
    .wavefront_size: 64
  - .args:
      - .offset:         0
        .size:           184
        .value_kind:     by_value
    .group_segment_fixed_size: 0
    .kernarg_segment_align: 8
    .kernarg_segment_size: 184
    .language:       OpenCL C
    .language_version:
      - 2
      - 0
    .max_flat_workgroup_size: 256
    .name:           _ZN7rocprim17ROCPRIM_400000_NS6detail17trampoline_kernelINS0_13select_configILj256ELj13ELNS0_17block_load_methodE3ELS4_3ELS4_3ELNS0_20block_scan_algorithmE0ELj4294967295EEENS1_25partition_config_selectorILNS1_17partition_subalgoE4EjNS0_10empty_typeEbEEZZNS1_14partition_implILS8_4ELb0ES6_15HIP_vector_typeIjLj2EENS0_17counting_iteratorIjlEEPS9_SG_NS0_5tupleIJPjSI_NS0_16reverse_iteratorISI_EEEEENSH_IJSG_SG_SG_EEES9_SI_JZNS1_25segmented_radix_sort_implINS0_14default_configELb0EPK12hip_bfloat16PSP_PKlPlN2at6native12_GLOBAL__N_18offset_tEEE10hipError_tPvRmT1_PNSt15iterator_traitsIS13_E10value_typeET2_T3_PNS14_IS19_E10value_typeET4_jRbjT5_S1F_jjP12ihipStream_tbEUljE_ZNSN_ISO_Lb0ESR_SS_SU_SV_SZ_EES10_S11_S12_S13_S17_S18_S19_S1C_S1D_jS1E_jS1F_S1F_jjS1H_bEUljE0_EEES10_S11_S12_S19_S1D_S1F_T6_T7_T9_mT8_S1H_bDpT10_ENKUlT_T0_E_clISt17integral_constantIbLb0EES1U_IbLb1EEEEDaS1Q_S1R_EUlS1Q_E_NS1_11comp_targetILNS1_3genE10ELNS1_11target_archE1200ELNS1_3gpuE4ELNS1_3repE0EEENS1_30default_config_static_selectorELNS0_4arch9wavefront6targetE1EEEvS13_
    .private_segment_fixed_size: 0
    .sgpr_count:     4
    .sgpr_spill_count: 0
    .symbol:         _ZN7rocprim17ROCPRIM_400000_NS6detail17trampoline_kernelINS0_13select_configILj256ELj13ELNS0_17block_load_methodE3ELS4_3ELS4_3ELNS0_20block_scan_algorithmE0ELj4294967295EEENS1_25partition_config_selectorILNS1_17partition_subalgoE4EjNS0_10empty_typeEbEEZZNS1_14partition_implILS8_4ELb0ES6_15HIP_vector_typeIjLj2EENS0_17counting_iteratorIjlEEPS9_SG_NS0_5tupleIJPjSI_NS0_16reverse_iteratorISI_EEEEENSH_IJSG_SG_SG_EEES9_SI_JZNS1_25segmented_radix_sort_implINS0_14default_configELb0EPK12hip_bfloat16PSP_PKlPlN2at6native12_GLOBAL__N_18offset_tEEE10hipError_tPvRmT1_PNSt15iterator_traitsIS13_E10value_typeET2_T3_PNS14_IS19_E10value_typeET4_jRbjT5_S1F_jjP12ihipStream_tbEUljE_ZNSN_ISO_Lb0ESR_SS_SU_SV_SZ_EES10_S11_S12_S13_S17_S18_S19_S1C_S1D_jS1E_jS1F_S1F_jjS1H_bEUljE0_EEES10_S11_S12_S19_S1D_S1F_T6_T7_T9_mT8_S1H_bDpT10_ENKUlT_T0_E_clISt17integral_constantIbLb0EES1U_IbLb1EEEEDaS1Q_S1R_EUlS1Q_E_NS1_11comp_targetILNS1_3genE10ELNS1_11target_archE1200ELNS1_3gpuE4ELNS1_3repE0EEENS1_30default_config_static_selectorELNS0_4arch9wavefront6targetE1EEEvS13_.kd
    .uniform_work_group_size: 1
    .uses_dynamic_stack: false
    .vgpr_count:     0
    .vgpr_spill_count: 0
    .wavefront_size: 64
  - .args:
      - .offset:         0
        .size:           184
        .value_kind:     by_value
    .group_segment_fixed_size: 0
    .kernarg_segment_align: 8
    .kernarg_segment_size: 184
    .language:       OpenCL C
    .language_version:
      - 2
      - 0
    .max_flat_workgroup_size: 256
    .name:           _ZN7rocprim17ROCPRIM_400000_NS6detail17trampoline_kernelINS0_13select_configILj256ELj13ELNS0_17block_load_methodE3ELS4_3ELS4_3ELNS0_20block_scan_algorithmE0ELj4294967295EEENS1_25partition_config_selectorILNS1_17partition_subalgoE4EjNS0_10empty_typeEbEEZZNS1_14partition_implILS8_4ELb0ES6_15HIP_vector_typeIjLj2EENS0_17counting_iteratorIjlEEPS9_SG_NS0_5tupleIJPjSI_NS0_16reverse_iteratorISI_EEEEENSH_IJSG_SG_SG_EEES9_SI_JZNS1_25segmented_radix_sort_implINS0_14default_configELb0EPK12hip_bfloat16PSP_PKlPlN2at6native12_GLOBAL__N_18offset_tEEE10hipError_tPvRmT1_PNSt15iterator_traitsIS13_E10value_typeET2_T3_PNS14_IS19_E10value_typeET4_jRbjT5_S1F_jjP12ihipStream_tbEUljE_ZNSN_ISO_Lb0ESR_SS_SU_SV_SZ_EES10_S11_S12_S13_S17_S18_S19_S1C_S1D_jS1E_jS1F_S1F_jjS1H_bEUljE0_EEES10_S11_S12_S19_S1D_S1F_T6_T7_T9_mT8_S1H_bDpT10_ENKUlT_T0_E_clISt17integral_constantIbLb0EES1U_IbLb1EEEEDaS1Q_S1R_EUlS1Q_E_NS1_11comp_targetILNS1_3genE9ELNS1_11target_archE1100ELNS1_3gpuE3ELNS1_3repE0EEENS1_30default_config_static_selectorELNS0_4arch9wavefront6targetE1EEEvS13_
    .private_segment_fixed_size: 0
    .sgpr_count:     4
    .sgpr_spill_count: 0
    .symbol:         _ZN7rocprim17ROCPRIM_400000_NS6detail17trampoline_kernelINS0_13select_configILj256ELj13ELNS0_17block_load_methodE3ELS4_3ELS4_3ELNS0_20block_scan_algorithmE0ELj4294967295EEENS1_25partition_config_selectorILNS1_17partition_subalgoE4EjNS0_10empty_typeEbEEZZNS1_14partition_implILS8_4ELb0ES6_15HIP_vector_typeIjLj2EENS0_17counting_iteratorIjlEEPS9_SG_NS0_5tupleIJPjSI_NS0_16reverse_iteratorISI_EEEEENSH_IJSG_SG_SG_EEES9_SI_JZNS1_25segmented_radix_sort_implINS0_14default_configELb0EPK12hip_bfloat16PSP_PKlPlN2at6native12_GLOBAL__N_18offset_tEEE10hipError_tPvRmT1_PNSt15iterator_traitsIS13_E10value_typeET2_T3_PNS14_IS19_E10value_typeET4_jRbjT5_S1F_jjP12ihipStream_tbEUljE_ZNSN_ISO_Lb0ESR_SS_SU_SV_SZ_EES10_S11_S12_S13_S17_S18_S19_S1C_S1D_jS1E_jS1F_S1F_jjS1H_bEUljE0_EEES10_S11_S12_S19_S1D_S1F_T6_T7_T9_mT8_S1H_bDpT10_ENKUlT_T0_E_clISt17integral_constantIbLb0EES1U_IbLb1EEEEDaS1Q_S1R_EUlS1Q_E_NS1_11comp_targetILNS1_3genE9ELNS1_11target_archE1100ELNS1_3gpuE3ELNS1_3repE0EEENS1_30default_config_static_selectorELNS0_4arch9wavefront6targetE1EEEvS13_.kd
    .uniform_work_group_size: 1
    .uses_dynamic_stack: false
    .vgpr_count:     0
    .vgpr_spill_count: 0
    .wavefront_size: 64
  - .args:
      - .offset:         0
        .size:           184
        .value_kind:     by_value
    .group_segment_fixed_size: 0
    .kernarg_segment_align: 8
    .kernarg_segment_size: 184
    .language:       OpenCL C
    .language_version:
      - 2
      - 0
    .max_flat_workgroup_size: 256
    .name:           _ZN7rocprim17ROCPRIM_400000_NS6detail17trampoline_kernelINS0_13select_configILj256ELj13ELNS0_17block_load_methodE3ELS4_3ELS4_3ELNS0_20block_scan_algorithmE0ELj4294967295EEENS1_25partition_config_selectorILNS1_17partition_subalgoE4EjNS0_10empty_typeEbEEZZNS1_14partition_implILS8_4ELb0ES6_15HIP_vector_typeIjLj2EENS0_17counting_iteratorIjlEEPS9_SG_NS0_5tupleIJPjSI_NS0_16reverse_iteratorISI_EEEEENSH_IJSG_SG_SG_EEES9_SI_JZNS1_25segmented_radix_sort_implINS0_14default_configELb0EPK12hip_bfloat16PSP_PKlPlN2at6native12_GLOBAL__N_18offset_tEEE10hipError_tPvRmT1_PNSt15iterator_traitsIS13_E10value_typeET2_T3_PNS14_IS19_E10value_typeET4_jRbjT5_S1F_jjP12ihipStream_tbEUljE_ZNSN_ISO_Lb0ESR_SS_SU_SV_SZ_EES10_S11_S12_S13_S17_S18_S19_S1C_S1D_jS1E_jS1F_S1F_jjS1H_bEUljE0_EEES10_S11_S12_S19_S1D_S1F_T6_T7_T9_mT8_S1H_bDpT10_ENKUlT_T0_E_clISt17integral_constantIbLb0EES1U_IbLb1EEEEDaS1Q_S1R_EUlS1Q_E_NS1_11comp_targetILNS1_3genE8ELNS1_11target_archE1030ELNS1_3gpuE2ELNS1_3repE0EEENS1_30default_config_static_selectorELNS0_4arch9wavefront6targetE1EEEvS13_
    .private_segment_fixed_size: 0
    .sgpr_count:     4
    .sgpr_spill_count: 0
    .symbol:         _ZN7rocprim17ROCPRIM_400000_NS6detail17trampoline_kernelINS0_13select_configILj256ELj13ELNS0_17block_load_methodE3ELS4_3ELS4_3ELNS0_20block_scan_algorithmE0ELj4294967295EEENS1_25partition_config_selectorILNS1_17partition_subalgoE4EjNS0_10empty_typeEbEEZZNS1_14partition_implILS8_4ELb0ES6_15HIP_vector_typeIjLj2EENS0_17counting_iteratorIjlEEPS9_SG_NS0_5tupleIJPjSI_NS0_16reverse_iteratorISI_EEEEENSH_IJSG_SG_SG_EEES9_SI_JZNS1_25segmented_radix_sort_implINS0_14default_configELb0EPK12hip_bfloat16PSP_PKlPlN2at6native12_GLOBAL__N_18offset_tEEE10hipError_tPvRmT1_PNSt15iterator_traitsIS13_E10value_typeET2_T3_PNS14_IS19_E10value_typeET4_jRbjT5_S1F_jjP12ihipStream_tbEUljE_ZNSN_ISO_Lb0ESR_SS_SU_SV_SZ_EES10_S11_S12_S13_S17_S18_S19_S1C_S1D_jS1E_jS1F_S1F_jjS1H_bEUljE0_EEES10_S11_S12_S19_S1D_S1F_T6_T7_T9_mT8_S1H_bDpT10_ENKUlT_T0_E_clISt17integral_constantIbLb0EES1U_IbLb1EEEEDaS1Q_S1R_EUlS1Q_E_NS1_11comp_targetILNS1_3genE8ELNS1_11target_archE1030ELNS1_3gpuE2ELNS1_3repE0EEENS1_30default_config_static_selectorELNS0_4arch9wavefront6targetE1EEEvS13_.kd
    .uniform_work_group_size: 1
    .uses_dynamic_stack: false
    .vgpr_count:     0
    .vgpr_spill_count: 0
    .wavefront_size: 64
  - .args:
      - .offset:         0
        .size:           144
        .value_kind:     by_value
    .group_segment_fixed_size: 0
    .kernarg_segment_align: 8
    .kernarg_segment_size: 144
    .language:       OpenCL C
    .language_version:
      - 2
      - 0
    .max_flat_workgroup_size: 256
    .name:           _ZN7rocprim17ROCPRIM_400000_NS6detail17trampoline_kernelINS0_13select_configILj256ELj13ELNS0_17block_load_methodE3ELS4_3ELS4_3ELNS0_20block_scan_algorithmE0ELj4294967295EEENS1_25partition_config_selectorILNS1_17partition_subalgoE3EjNS0_10empty_typeEbEEZZNS1_14partition_implILS8_3ELb0ES6_jNS0_17counting_iteratorIjlEEPS9_SE_NS0_5tupleIJPjSE_EEENSF_IJSE_SE_EEES9_SG_JZNS1_25segmented_radix_sort_implINS0_14default_configELb0EPK12hip_bfloat16PSL_PKlPlN2at6native12_GLOBAL__N_18offset_tEEE10hipError_tPvRmT1_PNSt15iterator_traitsISZ_E10value_typeET2_T3_PNS10_IS15_E10value_typeET4_jRbjT5_S1B_jjP12ihipStream_tbEUljE_EEESW_SX_SY_S15_S19_S1B_T6_T7_T9_mT8_S1D_bDpT10_ENKUlT_T0_E_clISt17integral_constantIbLb0EES1Q_EEDaS1L_S1M_EUlS1L_E_NS1_11comp_targetILNS1_3genE0ELNS1_11target_archE4294967295ELNS1_3gpuE0ELNS1_3repE0EEENS1_30default_config_static_selectorELNS0_4arch9wavefront6targetE1EEEvSZ_
    .private_segment_fixed_size: 0
    .sgpr_count:     4
    .sgpr_spill_count: 0
    .symbol:         _ZN7rocprim17ROCPRIM_400000_NS6detail17trampoline_kernelINS0_13select_configILj256ELj13ELNS0_17block_load_methodE3ELS4_3ELS4_3ELNS0_20block_scan_algorithmE0ELj4294967295EEENS1_25partition_config_selectorILNS1_17partition_subalgoE3EjNS0_10empty_typeEbEEZZNS1_14partition_implILS8_3ELb0ES6_jNS0_17counting_iteratorIjlEEPS9_SE_NS0_5tupleIJPjSE_EEENSF_IJSE_SE_EEES9_SG_JZNS1_25segmented_radix_sort_implINS0_14default_configELb0EPK12hip_bfloat16PSL_PKlPlN2at6native12_GLOBAL__N_18offset_tEEE10hipError_tPvRmT1_PNSt15iterator_traitsISZ_E10value_typeET2_T3_PNS10_IS15_E10value_typeET4_jRbjT5_S1B_jjP12ihipStream_tbEUljE_EEESW_SX_SY_S15_S19_S1B_T6_T7_T9_mT8_S1D_bDpT10_ENKUlT_T0_E_clISt17integral_constantIbLb0EES1Q_EEDaS1L_S1M_EUlS1L_E_NS1_11comp_targetILNS1_3genE0ELNS1_11target_archE4294967295ELNS1_3gpuE0ELNS1_3repE0EEENS1_30default_config_static_selectorELNS0_4arch9wavefront6targetE1EEEvSZ_.kd
    .uniform_work_group_size: 1
    .uses_dynamic_stack: false
    .vgpr_count:     0
    .vgpr_spill_count: 0
    .wavefront_size: 64
  - .args:
      - .offset:         0
        .size:           144
        .value_kind:     by_value
    .group_segment_fixed_size: 0
    .kernarg_segment_align: 8
    .kernarg_segment_size: 144
    .language:       OpenCL C
    .language_version:
      - 2
      - 0
    .max_flat_workgroup_size: 256
    .name:           _ZN7rocprim17ROCPRIM_400000_NS6detail17trampoline_kernelINS0_13select_configILj256ELj13ELNS0_17block_load_methodE3ELS4_3ELS4_3ELNS0_20block_scan_algorithmE0ELj4294967295EEENS1_25partition_config_selectorILNS1_17partition_subalgoE3EjNS0_10empty_typeEbEEZZNS1_14partition_implILS8_3ELb0ES6_jNS0_17counting_iteratorIjlEEPS9_SE_NS0_5tupleIJPjSE_EEENSF_IJSE_SE_EEES9_SG_JZNS1_25segmented_radix_sort_implINS0_14default_configELb0EPK12hip_bfloat16PSL_PKlPlN2at6native12_GLOBAL__N_18offset_tEEE10hipError_tPvRmT1_PNSt15iterator_traitsISZ_E10value_typeET2_T3_PNS10_IS15_E10value_typeET4_jRbjT5_S1B_jjP12ihipStream_tbEUljE_EEESW_SX_SY_S15_S19_S1B_T6_T7_T9_mT8_S1D_bDpT10_ENKUlT_T0_E_clISt17integral_constantIbLb0EES1Q_EEDaS1L_S1M_EUlS1L_E_NS1_11comp_targetILNS1_3genE5ELNS1_11target_archE942ELNS1_3gpuE9ELNS1_3repE0EEENS1_30default_config_static_selectorELNS0_4arch9wavefront6targetE1EEEvSZ_
    .private_segment_fixed_size: 0
    .sgpr_count:     4
    .sgpr_spill_count: 0
    .symbol:         _ZN7rocprim17ROCPRIM_400000_NS6detail17trampoline_kernelINS0_13select_configILj256ELj13ELNS0_17block_load_methodE3ELS4_3ELS4_3ELNS0_20block_scan_algorithmE0ELj4294967295EEENS1_25partition_config_selectorILNS1_17partition_subalgoE3EjNS0_10empty_typeEbEEZZNS1_14partition_implILS8_3ELb0ES6_jNS0_17counting_iteratorIjlEEPS9_SE_NS0_5tupleIJPjSE_EEENSF_IJSE_SE_EEES9_SG_JZNS1_25segmented_radix_sort_implINS0_14default_configELb0EPK12hip_bfloat16PSL_PKlPlN2at6native12_GLOBAL__N_18offset_tEEE10hipError_tPvRmT1_PNSt15iterator_traitsISZ_E10value_typeET2_T3_PNS10_IS15_E10value_typeET4_jRbjT5_S1B_jjP12ihipStream_tbEUljE_EEESW_SX_SY_S15_S19_S1B_T6_T7_T9_mT8_S1D_bDpT10_ENKUlT_T0_E_clISt17integral_constantIbLb0EES1Q_EEDaS1L_S1M_EUlS1L_E_NS1_11comp_targetILNS1_3genE5ELNS1_11target_archE942ELNS1_3gpuE9ELNS1_3repE0EEENS1_30default_config_static_selectorELNS0_4arch9wavefront6targetE1EEEvSZ_.kd
    .uniform_work_group_size: 1
    .uses_dynamic_stack: false
    .vgpr_count:     0
    .vgpr_spill_count: 0
    .wavefront_size: 64
  - .args:
      - .offset:         0
        .size:           144
        .value_kind:     by_value
    .group_segment_fixed_size: 0
    .kernarg_segment_align: 8
    .kernarg_segment_size: 144
    .language:       OpenCL C
    .language_version:
      - 2
      - 0
    .max_flat_workgroup_size: 256
    .name:           _ZN7rocprim17ROCPRIM_400000_NS6detail17trampoline_kernelINS0_13select_configILj256ELj13ELNS0_17block_load_methodE3ELS4_3ELS4_3ELNS0_20block_scan_algorithmE0ELj4294967295EEENS1_25partition_config_selectorILNS1_17partition_subalgoE3EjNS0_10empty_typeEbEEZZNS1_14partition_implILS8_3ELb0ES6_jNS0_17counting_iteratorIjlEEPS9_SE_NS0_5tupleIJPjSE_EEENSF_IJSE_SE_EEES9_SG_JZNS1_25segmented_radix_sort_implINS0_14default_configELb0EPK12hip_bfloat16PSL_PKlPlN2at6native12_GLOBAL__N_18offset_tEEE10hipError_tPvRmT1_PNSt15iterator_traitsISZ_E10value_typeET2_T3_PNS10_IS15_E10value_typeET4_jRbjT5_S1B_jjP12ihipStream_tbEUljE_EEESW_SX_SY_S15_S19_S1B_T6_T7_T9_mT8_S1D_bDpT10_ENKUlT_T0_E_clISt17integral_constantIbLb0EES1Q_EEDaS1L_S1M_EUlS1L_E_NS1_11comp_targetILNS1_3genE4ELNS1_11target_archE910ELNS1_3gpuE8ELNS1_3repE0EEENS1_30default_config_static_selectorELNS0_4arch9wavefront6targetE1EEEvSZ_
    .private_segment_fixed_size: 0
    .sgpr_count:     4
    .sgpr_spill_count: 0
    .symbol:         _ZN7rocprim17ROCPRIM_400000_NS6detail17trampoline_kernelINS0_13select_configILj256ELj13ELNS0_17block_load_methodE3ELS4_3ELS4_3ELNS0_20block_scan_algorithmE0ELj4294967295EEENS1_25partition_config_selectorILNS1_17partition_subalgoE3EjNS0_10empty_typeEbEEZZNS1_14partition_implILS8_3ELb0ES6_jNS0_17counting_iteratorIjlEEPS9_SE_NS0_5tupleIJPjSE_EEENSF_IJSE_SE_EEES9_SG_JZNS1_25segmented_radix_sort_implINS0_14default_configELb0EPK12hip_bfloat16PSL_PKlPlN2at6native12_GLOBAL__N_18offset_tEEE10hipError_tPvRmT1_PNSt15iterator_traitsISZ_E10value_typeET2_T3_PNS10_IS15_E10value_typeET4_jRbjT5_S1B_jjP12ihipStream_tbEUljE_EEESW_SX_SY_S15_S19_S1B_T6_T7_T9_mT8_S1D_bDpT10_ENKUlT_T0_E_clISt17integral_constantIbLb0EES1Q_EEDaS1L_S1M_EUlS1L_E_NS1_11comp_targetILNS1_3genE4ELNS1_11target_archE910ELNS1_3gpuE8ELNS1_3repE0EEENS1_30default_config_static_selectorELNS0_4arch9wavefront6targetE1EEEvSZ_.kd
    .uniform_work_group_size: 1
    .uses_dynamic_stack: false
    .vgpr_count:     0
    .vgpr_spill_count: 0
    .wavefront_size: 64
  - .args:
      - .offset:         0
        .size:           144
        .value_kind:     by_value
    .group_segment_fixed_size: 0
    .kernarg_segment_align: 8
    .kernarg_segment_size: 144
    .language:       OpenCL C
    .language_version:
      - 2
      - 0
    .max_flat_workgroup_size: 256
    .name:           _ZN7rocprim17ROCPRIM_400000_NS6detail17trampoline_kernelINS0_13select_configILj256ELj13ELNS0_17block_load_methodE3ELS4_3ELS4_3ELNS0_20block_scan_algorithmE0ELj4294967295EEENS1_25partition_config_selectorILNS1_17partition_subalgoE3EjNS0_10empty_typeEbEEZZNS1_14partition_implILS8_3ELb0ES6_jNS0_17counting_iteratorIjlEEPS9_SE_NS0_5tupleIJPjSE_EEENSF_IJSE_SE_EEES9_SG_JZNS1_25segmented_radix_sort_implINS0_14default_configELb0EPK12hip_bfloat16PSL_PKlPlN2at6native12_GLOBAL__N_18offset_tEEE10hipError_tPvRmT1_PNSt15iterator_traitsISZ_E10value_typeET2_T3_PNS10_IS15_E10value_typeET4_jRbjT5_S1B_jjP12ihipStream_tbEUljE_EEESW_SX_SY_S15_S19_S1B_T6_T7_T9_mT8_S1D_bDpT10_ENKUlT_T0_E_clISt17integral_constantIbLb0EES1Q_EEDaS1L_S1M_EUlS1L_E_NS1_11comp_targetILNS1_3genE3ELNS1_11target_archE908ELNS1_3gpuE7ELNS1_3repE0EEENS1_30default_config_static_selectorELNS0_4arch9wavefront6targetE1EEEvSZ_
    .private_segment_fixed_size: 0
    .sgpr_count:     4
    .sgpr_spill_count: 0
    .symbol:         _ZN7rocprim17ROCPRIM_400000_NS6detail17trampoline_kernelINS0_13select_configILj256ELj13ELNS0_17block_load_methodE3ELS4_3ELS4_3ELNS0_20block_scan_algorithmE0ELj4294967295EEENS1_25partition_config_selectorILNS1_17partition_subalgoE3EjNS0_10empty_typeEbEEZZNS1_14partition_implILS8_3ELb0ES6_jNS0_17counting_iteratorIjlEEPS9_SE_NS0_5tupleIJPjSE_EEENSF_IJSE_SE_EEES9_SG_JZNS1_25segmented_radix_sort_implINS0_14default_configELb0EPK12hip_bfloat16PSL_PKlPlN2at6native12_GLOBAL__N_18offset_tEEE10hipError_tPvRmT1_PNSt15iterator_traitsISZ_E10value_typeET2_T3_PNS10_IS15_E10value_typeET4_jRbjT5_S1B_jjP12ihipStream_tbEUljE_EEESW_SX_SY_S15_S19_S1B_T6_T7_T9_mT8_S1D_bDpT10_ENKUlT_T0_E_clISt17integral_constantIbLb0EES1Q_EEDaS1L_S1M_EUlS1L_E_NS1_11comp_targetILNS1_3genE3ELNS1_11target_archE908ELNS1_3gpuE7ELNS1_3repE0EEENS1_30default_config_static_selectorELNS0_4arch9wavefront6targetE1EEEvSZ_.kd
    .uniform_work_group_size: 1
    .uses_dynamic_stack: false
    .vgpr_count:     0
    .vgpr_spill_count: 0
    .wavefront_size: 64
  - .args:
      - .offset:         0
        .size:           144
        .value_kind:     by_value
    .group_segment_fixed_size: 13320
    .kernarg_segment_align: 8
    .kernarg_segment_size: 144
    .language:       OpenCL C
    .language_version:
      - 2
      - 0
    .max_flat_workgroup_size: 256
    .name:           _ZN7rocprim17ROCPRIM_400000_NS6detail17trampoline_kernelINS0_13select_configILj256ELj13ELNS0_17block_load_methodE3ELS4_3ELS4_3ELNS0_20block_scan_algorithmE0ELj4294967295EEENS1_25partition_config_selectorILNS1_17partition_subalgoE3EjNS0_10empty_typeEbEEZZNS1_14partition_implILS8_3ELb0ES6_jNS0_17counting_iteratorIjlEEPS9_SE_NS0_5tupleIJPjSE_EEENSF_IJSE_SE_EEES9_SG_JZNS1_25segmented_radix_sort_implINS0_14default_configELb0EPK12hip_bfloat16PSL_PKlPlN2at6native12_GLOBAL__N_18offset_tEEE10hipError_tPvRmT1_PNSt15iterator_traitsISZ_E10value_typeET2_T3_PNS10_IS15_E10value_typeET4_jRbjT5_S1B_jjP12ihipStream_tbEUljE_EEESW_SX_SY_S15_S19_S1B_T6_T7_T9_mT8_S1D_bDpT10_ENKUlT_T0_E_clISt17integral_constantIbLb0EES1Q_EEDaS1L_S1M_EUlS1L_E_NS1_11comp_targetILNS1_3genE2ELNS1_11target_archE906ELNS1_3gpuE6ELNS1_3repE0EEENS1_30default_config_static_selectorELNS0_4arch9wavefront6targetE1EEEvSZ_
    .private_segment_fixed_size: 0
    .sgpr_count:     52
    .sgpr_spill_count: 0
    .symbol:         _ZN7rocprim17ROCPRIM_400000_NS6detail17trampoline_kernelINS0_13select_configILj256ELj13ELNS0_17block_load_methodE3ELS4_3ELS4_3ELNS0_20block_scan_algorithmE0ELj4294967295EEENS1_25partition_config_selectorILNS1_17partition_subalgoE3EjNS0_10empty_typeEbEEZZNS1_14partition_implILS8_3ELb0ES6_jNS0_17counting_iteratorIjlEEPS9_SE_NS0_5tupleIJPjSE_EEENSF_IJSE_SE_EEES9_SG_JZNS1_25segmented_radix_sort_implINS0_14default_configELb0EPK12hip_bfloat16PSL_PKlPlN2at6native12_GLOBAL__N_18offset_tEEE10hipError_tPvRmT1_PNSt15iterator_traitsISZ_E10value_typeET2_T3_PNS10_IS15_E10value_typeET4_jRbjT5_S1B_jjP12ihipStream_tbEUljE_EEESW_SX_SY_S15_S19_S1B_T6_T7_T9_mT8_S1D_bDpT10_ENKUlT_T0_E_clISt17integral_constantIbLb0EES1Q_EEDaS1L_S1M_EUlS1L_E_NS1_11comp_targetILNS1_3genE2ELNS1_11target_archE906ELNS1_3gpuE6ELNS1_3repE0EEENS1_30default_config_static_selectorELNS0_4arch9wavefront6targetE1EEEvSZ_.kd
    .uniform_work_group_size: 1
    .uses_dynamic_stack: false
    .vgpr_count:     69
    .vgpr_spill_count: 0
    .wavefront_size: 64
  - .args:
      - .offset:         0
        .size:           144
        .value_kind:     by_value
    .group_segment_fixed_size: 0
    .kernarg_segment_align: 8
    .kernarg_segment_size: 144
    .language:       OpenCL C
    .language_version:
      - 2
      - 0
    .max_flat_workgroup_size: 256
    .name:           _ZN7rocprim17ROCPRIM_400000_NS6detail17trampoline_kernelINS0_13select_configILj256ELj13ELNS0_17block_load_methodE3ELS4_3ELS4_3ELNS0_20block_scan_algorithmE0ELj4294967295EEENS1_25partition_config_selectorILNS1_17partition_subalgoE3EjNS0_10empty_typeEbEEZZNS1_14partition_implILS8_3ELb0ES6_jNS0_17counting_iteratorIjlEEPS9_SE_NS0_5tupleIJPjSE_EEENSF_IJSE_SE_EEES9_SG_JZNS1_25segmented_radix_sort_implINS0_14default_configELb0EPK12hip_bfloat16PSL_PKlPlN2at6native12_GLOBAL__N_18offset_tEEE10hipError_tPvRmT1_PNSt15iterator_traitsISZ_E10value_typeET2_T3_PNS10_IS15_E10value_typeET4_jRbjT5_S1B_jjP12ihipStream_tbEUljE_EEESW_SX_SY_S15_S19_S1B_T6_T7_T9_mT8_S1D_bDpT10_ENKUlT_T0_E_clISt17integral_constantIbLb0EES1Q_EEDaS1L_S1M_EUlS1L_E_NS1_11comp_targetILNS1_3genE10ELNS1_11target_archE1200ELNS1_3gpuE4ELNS1_3repE0EEENS1_30default_config_static_selectorELNS0_4arch9wavefront6targetE1EEEvSZ_
    .private_segment_fixed_size: 0
    .sgpr_count:     4
    .sgpr_spill_count: 0
    .symbol:         _ZN7rocprim17ROCPRIM_400000_NS6detail17trampoline_kernelINS0_13select_configILj256ELj13ELNS0_17block_load_methodE3ELS4_3ELS4_3ELNS0_20block_scan_algorithmE0ELj4294967295EEENS1_25partition_config_selectorILNS1_17partition_subalgoE3EjNS0_10empty_typeEbEEZZNS1_14partition_implILS8_3ELb0ES6_jNS0_17counting_iteratorIjlEEPS9_SE_NS0_5tupleIJPjSE_EEENSF_IJSE_SE_EEES9_SG_JZNS1_25segmented_radix_sort_implINS0_14default_configELb0EPK12hip_bfloat16PSL_PKlPlN2at6native12_GLOBAL__N_18offset_tEEE10hipError_tPvRmT1_PNSt15iterator_traitsISZ_E10value_typeET2_T3_PNS10_IS15_E10value_typeET4_jRbjT5_S1B_jjP12ihipStream_tbEUljE_EEESW_SX_SY_S15_S19_S1B_T6_T7_T9_mT8_S1D_bDpT10_ENKUlT_T0_E_clISt17integral_constantIbLb0EES1Q_EEDaS1L_S1M_EUlS1L_E_NS1_11comp_targetILNS1_3genE10ELNS1_11target_archE1200ELNS1_3gpuE4ELNS1_3repE0EEENS1_30default_config_static_selectorELNS0_4arch9wavefront6targetE1EEEvSZ_.kd
    .uniform_work_group_size: 1
    .uses_dynamic_stack: false
    .vgpr_count:     0
    .vgpr_spill_count: 0
    .wavefront_size: 64
  - .args:
      - .offset:         0
        .size:           144
        .value_kind:     by_value
    .group_segment_fixed_size: 0
    .kernarg_segment_align: 8
    .kernarg_segment_size: 144
    .language:       OpenCL C
    .language_version:
      - 2
      - 0
    .max_flat_workgroup_size: 256
    .name:           _ZN7rocprim17ROCPRIM_400000_NS6detail17trampoline_kernelINS0_13select_configILj256ELj13ELNS0_17block_load_methodE3ELS4_3ELS4_3ELNS0_20block_scan_algorithmE0ELj4294967295EEENS1_25partition_config_selectorILNS1_17partition_subalgoE3EjNS0_10empty_typeEbEEZZNS1_14partition_implILS8_3ELb0ES6_jNS0_17counting_iteratorIjlEEPS9_SE_NS0_5tupleIJPjSE_EEENSF_IJSE_SE_EEES9_SG_JZNS1_25segmented_radix_sort_implINS0_14default_configELb0EPK12hip_bfloat16PSL_PKlPlN2at6native12_GLOBAL__N_18offset_tEEE10hipError_tPvRmT1_PNSt15iterator_traitsISZ_E10value_typeET2_T3_PNS10_IS15_E10value_typeET4_jRbjT5_S1B_jjP12ihipStream_tbEUljE_EEESW_SX_SY_S15_S19_S1B_T6_T7_T9_mT8_S1D_bDpT10_ENKUlT_T0_E_clISt17integral_constantIbLb0EES1Q_EEDaS1L_S1M_EUlS1L_E_NS1_11comp_targetILNS1_3genE9ELNS1_11target_archE1100ELNS1_3gpuE3ELNS1_3repE0EEENS1_30default_config_static_selectorELNS0_4arch9wavefront6targetE1EEEvSZ_
    .private_segment_fixed_size: 0
    .sgpr_count:     4
    .sgpr_spill_count: 0
    .symbol:         _ZN7rocprim17ROCPRIM_400000_NS6detail17trampoline_kernelINS0_13select_configILj256ELj13ELNS0_17block_load_methodE3ELS4_3ELS4_3ELNS0_20block_scan_algorithmE0ELj4294967295EEENS1_25partition_config_selectorILNS1_17partition_subalgoE3EjNS0_10empty_typeEbEEZZNS1_14partition_implILS8_3ELb0ES6_jNS0_17counting_iteratorIjlEEPS9_SE_NS0_5tupleIJPjSE_EEENSF_IJSE_SE_EEES9_SG_JZNS1_25segmented_radix_sort_implINS0_14default_configELb0EPK12hip_bfloat16PSL_PKlPlN2at6native12_GLOBAL__N_18offset_tEEE10hipError_tPvRmT1_PNSt15iterator_traitsISZ_E10value_typeET2_T3_PNS10_IS15_E10value_typeET4_jRbjT5_S1B_jjP12ihipStream_tbEUljE_EEESW_SX_SY_S15_S19_S1B_T6_T7_T9_mT8_S1D_bDpT10_ENKUlT_T0_E_clISt17integral_constantIbLb0EES1Q_EEDaS1L_S1M_EUlS1L_E_NS1_11comp_targetILNS1_3genE9ELNS1_11target_archE1100ELNS1_3gpuE3ELNS1_3repE0EEENS1_30default_config_static_selectorELNS0_4arch9wavefront6targetE1EEEvSZ_.kd
    .uniform_work_group_size: 1
    .uses_dynamic_stack: false
    .vgpr_count:     0
    .vgpr_spill_count: 0
    .wavefront_size: 64
  - .args:
      - .offset:         0
        .size:           144
        .value_kind:     by_value
    .group_segment_fixed_size: 0
    .kernarg_segment_align: 8
    .kernarg_segment_size: 144
    .language:       OpenCL C
    .language_version:
      - 2
      - 0
    .max_flat_workgroup_size: 256
    .name:           _ZN7rocprim17ROCPRIM_400000_NS6detail17trampoline_kernelINS0_13select_configILj256ELj13ELNS0_17block_load_methodE3ELS4_3ELS4_3ELNS0_20block_scan_algorithmE0ELj4294967295EEENS1_25partition_config_selectorILNS1_17partition_subalgoE3EjNS0_10empty_typeEbEEZZNS1_14partition_implILS8_3ELb0ES6_jNS0_17counting_iteratorIjlEEPS9_SE_NS0_5tupleIJPjSE_EEENSF_IJSE_SE_EEES9_SG_JZNS1_25segmented_radix_sort_implINS0_14default_configELb0EPK12hip_bfloat16PSL_PKlPlN2at6native12_GLOBAL__N_18offset_tEEE10hipError_tPvRmT1_PNSt15iterator_traitsISZ_E10value_typeET2_T3_PNS10_IS15_E10value_typeET4_jRbjT5_S1B_jjP12ihipStream_tbEUljE_EEESW_SX_SY_S15_S19_S1B_T6_T7_T9_mT8_S1D_bDpT10_ENKUlT_T0_E_clISt17integral_constantIbLb0EES1Q_EEDaS1L_S1M_EUlS1L_E_NS1_11comp_targetILNS1_3genE8ELNS1_11target_archE1030ELNS1_3gpuE2ELNS1_3repE0EEENS1_30default_config_static_selectorELNS0_4arch9wavefront6targetE1EEEvSZ_
    .private_segment_fixed_size: 0
    .sgpr_count:     4
    .sgpr_spill_count: 0
    .symbol:         _ZN7rocprim17ROCPRIM_400000_NS6detail17trampoline_kernelINS0_13select_configILj256ELj13ELNS0_17block_load_methodE3ELS4_3ELS4_3ELNS0_20block_scan_algorithmE0ELj4294967295EEENS1_25partition_config_selectorILNS1_17partition_subalgoE3EjNS0_10empty_typeEbEEZZNS1_14partition_implILS8_3ELb0ES6_jNS0_17counting_iteratorIjlEEPS9_SE_NS0_5tupleIJPjSE_EEENSF_IJSE_SE_EEES9_SG_JZNS1_25segmented_radix_sort_implINS0_14default_configELb0EPK12hip_bfloat16PSL_PKlPlN2at6native12_GLOBAL__N_18offset_tEEE10hipError_tPvRmT1_PNSt15iterator_traitsISZ_E10value_typeET2_T3_PNS10_IS15_E10value_typeET4_jRbjT5_S1B_jjP12ihipStream_tbEUljE_EEESW_SX_SY_S15_S19_S1B_T6_T7_T9_mT8_S1D_bDpT10_ENKUlT_T0_E_clISt17integral_constantIbLb0EES1Q_EEDaS1L_S1M_EUlS1L_E_NS1_11comp_targetILNS1_3genE8ELNS1_11target_archE1030ELNS1_3gpuE2ELNS1_3repE0EEENS1_30default_config_static_selectorELNS0_4arch9wavefront6targetE1EEEvSZ_.kd
    .uniform_work_group_size: 1
    .uses_dynamic_stack: false
    .vgpr_count:     0
    .vgpr_spill_count: 0
    .wavefront_size: 64
  - .args:
      - .offset:         0
        .size:           152
        .value_kind:     by_value
    .group_segment_fixed_size: 0
    .kernarg_segment_align: 8
    .kernarg_segment_size: 152
    .language:       OpenCL C
    .language_version:
      - 2
      - 0
    .max_flat_workgroup_size: 256
    .name:           _ZN7rocprim17ROCPRIM_400000_NS6detail17trampoline_kernelINS0_13select_configILj256ELj13ELNS0_17block_load_methodE3ELS4_3ELS4_3ELNS0_20block_scan_algorithmE0ELj4294967295EEENS1_25partition_config_selectorILNS1_17partition_subalgoE3EjNS0_10empty_typeEbEEZZNS1_14partition_implILS8_3ELb0ES6_jNS0_17counting_iteratorIjlEEPS9_SE_NS0_5tupleIJPjSE_EEENSF_IJSE_SE_EEES9_SG_JZNS1_25segmented_radix_sort_implINS0_14default_configELb0EPK12hip_bfloat16PSL_PKlPlN2at6native12_GLOBAL__N_18offset_tEEE10hipError_tPvRmT1_PNSt15iterator_traitsISZ_E10value_typeET2_T3_PNS10_IS15_E10value_typeET4_jRbjT5_S1B_jjP12ihipStream_tbEUljE_EEESW_SX_SY_S15_S19_S1B_T6_T7_T9_mT8_S1D_bDpT10_ENKUlT_T0_E_clISt17integral_constantIbLb1EES1Q_EEDaS1L_S1M_EUlS1L_E_NS1_11comp_targetILNS1_3genE0ELNS1_11target_archE4294967295ELNS1_3gpuE0ELNS1_3repE0EEENS1_30default_config_static_selectorELNS0_4arch9wavefront6targetE1EEEvSZ_
    .private_segment_fixed_size: 0
    .sgpr_count:     4
    .sgpr_spill_count: 0
    .symbol:         _ZN7rocprim17ROCPRIM_400000_NS6detail17trampoline_kernelINS0_13select_configILj256ELj13ELNS0_17block_load_methodE3ELS4_3ELS4_3ELNS0_20block_scan_algorithmE0ELj4294967295EEENS1_25partition_config_selectorILNS1_17partition_subalgoE3EjNS0_10empty_typeEbEEZZNS1_14partition_implILS8_3ELb0ES6_jNS0_17counting_iteratorIjlEEPS9_SE_NS0_5tupleIJPjSE_EEENSF_IJSE_SE_EEES9_SG_JZNS1_25segmented_radix_sort_implINS0_14default_configELb0EPK12hip_bfloat16PSL_PKlPlN2at6native12_GLOBAL__N_18offset_tEEE10hipError_tPvRmT1_PNSt15iterator_traitsISZ_E10value_typeET2_T3_PNS10_IS15_E10value_typeET4_jRbjT5_S1B_jjP12ihipStream_tbEUljE_EEESW_SX_SY_S15_S19_S1B_T6_T7_T9_mT8_S1D_bDpT10_ENKUlT_T0_E_clISt17integral_constantIbLb1EES1Q_EEDaS1L_S1M_EUlS1L_E_NS1_11comp_targetILNS1_3genE0ELNS1_11target_archE4294967295ELNS1_3gpuE0ELNS1_3repE0EEENS1_30default_config_static_selectorELNS0_4arch9wavefront6targetE1EEEvSZ_.kd
    .uniform_work_group_size: 1
    .uses_dynamic_stack: false
    .vgpr_count:     0
    .vgpr_spill_count: 0
    .wavefront_size: 64
  - .args:
      - .offset:         0
        .size:           152
        .value_kind:     by_value
    .group_segment_fixed_size: 0
    .kernarg_segment_align: 8
    .kernarg_segment_size: 152
    .language:       OpenCL C
    .language_version:
      - 2
      - 0
    .max_flat_workgroup_size: 256
    .name:           _ZN7rocprim17ROCPRIM_400000_NS6detail17trampoline_kernelINS0_13select_configILj256ELj13ELNS0_17block_load_methodE3ELS4_3ELS4_3ELNS0_20block_scan_algorithmE0ELj4294967295EEENS1_25partition_config_selectorILNS1_17partition_subalgoE3EjNS0_10empty_typeEbEEZZNS1_14partition_implILS8_3ELb0ES6_jNS0_17counting_iteratorIjlEEPS9_SE_NS0_5tupleIJPjSE_EEENSF_IJSE_SE_EEES9_SG_JZNS1_25segmented_radix_sort_implINS0_14default_configELb0EPK12hip_bfloat16PSL_PKlPlN2at6native12_GLOBAL__N_18offset_tEEE10hipError_tPvRmT1_PNSt15iterator_traitsISZ_E10value_typeET2_T3_PNS10_IS15_E10value_typeET4_jRbjT5_S1B_jjP12ihipStream_tbEUljE_EEESW_SX_SY_S15_S19_S1B_T6_T7_T9_mT8_S1D_bDpT10_ENKUlT_T0_E_clISt17integral_constantIbLb1EES1Q_EEDaS1L_S1M_EUlS1L_E_NS1_11comp_targetILNS1_3genE5ELNS1_11target_archE942ELNS1_3gpuE9ELNS1_3repE0EEENS1_30default_config_static_selectorELNS0_4arch9wavefront6targetE1EEEvSZ_
    .private_segment_fixed_size: 0
    .sgpr_count:     4
    .sgpr_spill_count: 0
    .symbol:         _ZN7rocprim17ROCPRIM_400000_NS6detail17trampoline_kernelINS0_13select_configILj256ELj13ELNS0_17block_load_methodE3ELS4_3ELS4_3ELNS0_20block_scan_algorithmE0ELj4294967295EEENS1_25partition_config_selectorILNS1_17partition_subalgoE3EjNS0_10empty_typeEbEEZZNS1_14partition_implILS8_3ELb0ES6_jNS0_17counting_iteratorIjlEEPS9_SE_NS0_5tupleIJPjSE_EEENSF_IJSE_SE_EEES9_SG_JZNS1_25segmented_radix_sort_implINS0_14default_configELb0EPK12hip_bfloat16PSL_PKlPlN2at6native12_GLOBAL__N_18offset_tEEE10hipError_tPvRmT1_PNSt15iterator_traitsISZ_E10value_typeET2_T3_PNS10_IS15_E10value_typeET4_jRbjT5_S1B_jjP12ihipStream_tbEUljE_EEESW_SX_SY_S15_S19_S1B_T6_T7_T9_mT8_S1D_bDpT10_ENKUlT_T0_E_clISt17integral_constantIbLb1EES1Q_EEDaS1L_S1M_EUlS1L_E_NS1_11comp_targetILNS1_3genE5ELNS1_11target_archE942ELNS1_3gpuE9ELNS1_3repE0EEENS1_30default_config_static_selectorELNS0_4arch9wavefront6targetE1EEEvSZ_.kd
    .uniform_work_group_size: 1
    .uses_dynamic_stack: false
    .vgpr_count:     0
    .vgpr_spill_count: 0
    .wavefront_size: 64
  - .args:
      - .offset:         0
        .size:           152
        .value_kind:     by_value
    .group_segment_fixed_size: 0
    .kernarg_segment_align: 8
    .kernarg_segment_size: 152
    .language:       OpenCL C
    .language_version:
      - 2
      - 0
    .max_flat_workgroup_size: 256
    .name:           _ZN7rocprim17ROCPRIM_400000_NS6detail17trampoline_kernelINS0_13select_configILj256ELj13ELNS0_17block_load_methodE3ELS4_3ELS4_3ELNS0_20block_scan_algorithmE0ELj4294967295EEENS1_25partition_config_selectorILNS1_17partition_subalgoE3EjNS0_10empty_typeEbEEZZNS1_14partition_implILS8_3ELb0ES6_jNS0_17counting_iteratorIjlEEPS9_SE_NS0_5tupleIJPjSE_EEENSF_IJSE_SE_EEES9_SG_JZNS1_25segmented_radix_sort_implINS0_14default_configELb0EPK12hip_bfloat16PSL_PKlPlN2at6native12_GLOBAL__N_18offset_tEEE10hipError_tPvRmT1_PNSt15iterator_traitsISZ_E10value_typeET2_T3_PNS10_IS15_E10value_typeET4_jRbjT5_S1B_jjP12ihipStream_tbEUljE_EEESW_SX_SY_S15_S19_S1B_T6_T7_T9_mT8_S1D_bDpT10_ENKUlT_T0_E_clISt17integral_constantIbLb1EES1Q_EEDaS1L_S1M_EUlS1L_E_NS1_11comp_targetILNS1_3genE4ELNS1_11target_archE910ELNS1_3gpuE8ELNS1_3repE0EEENS1_30default_config_static_selectorELNS0_4arch9wavefront6targetE1EEEvSZ_
    .private_segment_fixed_size: 0
    .sgpr_count:     4
    .sgpr_spill_count: 0
    .symbol:         _ZN7rocprim17ROCPRIM_400000_NS6detail17trampoline_kernelINS0_13select_configILj256ELj13ELNS0_17block_load_methodE3ELS4_3ELS4_3ELNS0_20block_scan_algorithmE0ELj4294967295EEENS1_25partition_config_selectorILNS1_17partition_subalgoE3EjNS0_10empty_typeEbEEZZNS1_14partition_implILS8_3ELb0ES6_jNS0_17counting_iteratorIjlEEPS9_SE_NS0_5tupleIJPjSE_EEENSF_IJSE_SE_EEES9_SG_JZNS1_25segmented_radix_sort_implINS0_14default_configELb0EPK12hip_bfloat16PSL_PKlPlN2at6native12_GLOBAL__N_18offset_tEEE10hipError_tPvRmT1_PNSt15iterator_traitsISZ_E10value_typeET2_T3_PNS10_IS15_E10value_typeET4_jRbjT5_S1B_jjP12ihipStream_tbEUljE_EEESW_SX_SY_S15_S19_S1B_T6_T7_T9_mT8_S1D_bDpT10_ENKUlT_T0_E_clISt17integral_constantIbLb1EES1Q_EEDaS1L_S1M_EUlS1L_E_NS1_11comp_targetILNS1_3genE4ELNS1_11target_archE910ELNS1_3gpuE8ELNS1_3repE0EEENS1_30default_config_static_selectorELNS0_4arch9wavefront6targetE1EEEvSZ_.kd
    .uniform_work_group_size: 1
    .uses_dynamic_stack: false
    .vgpr_count:     0
    .vgpr_spill_count: 0
    .wavefront_size: 64
  - .args:
      - .offset:         0
        .size:           152
        .value_kind:     by_value
    .group_segment_fixed_size: 0
    .kernarg_segment_align: 8
    .kernarg_segment_size: 152
    .language:       OpenCL C
    .language_version:
      - 2
      - 0
    .max_flat_workgroup_size: 256
    .name:           _ZN7rocprim17ROCPRIM_400000_NS6detail17trampoline_kernelINS0_13select_configILj256ELj13ELNS0_17block_load_methodE3ELS4_3ELS4_3ELNS0_20block_scan_algorithmE0ELj4294967295EEENS1_25partition_config_selectorILNS1_17partition_subalgoE3EjNS0_10empty_typeEbEEZZNS1_14partition_implILS8_3ELb0ES6_jNS0_17counting_iteratorIjlEEPS9_SE_NS0_5tupleIJPjSE_EEENSF_IJSE_SE_EEES9_SG_JZNS1_25segmented_radix_sort_implINS0_14default_configELb0EPK12hip_bfloat16PSL_PKlPlN2at6native12_GLOBAL__N_18offset_tEEE10hipError_tPvRmT1_PNSt15iterator_traitsISZ_E10value_typeET2_T3_PNS10_IS15_E10value_typeET4_jRbjT5_S1B_jjP12ihipStream_tbEUljE_EEESW_SX_SY_S15_S19_S1B_T6_T7_T9_mT8_S1D_bDpT10_ENKUlT_T0_E_clISt17integral_constantIbLb1EES1Q_EEDaS1L_S1M_EUlS1L_E_NS1_11comp_targetILNS1_3genE3ELNS1_11target_archE908ELNS1_3gpuE7ELNS1_3repE0EEENS1_30default_config_static_selectorELNS0_4arch9wavefront6targetE1EEEvSZ_
    .private_segment_fixed_size: 0
    .sgpr_count:     4
    .sgpr_spill_count: 0
    .symbol:         _ZN7rocprim17ROCPRIM_400000_NS6detail17trampoline_kernelINS0_13select_configILj256ELj13ELNS0_17block_load_methodE3ELS4_3ELS4_3ELNS0_20block_scan_algorithmE0ELj4294967295EEENS1_25partition_config_selectorILNS1_17partition_subalgoE3EjNS0_10empty_typeEbEEZZNS1_14partition_implILS8_3ELb0ES6_jNS0_17counting_iteratorIjlEEPS9_SE_NS0_5tupleIJPjSE_EEENSF_IJSE_SE_EEES9_SG_JZNS1_25segmented_radix_sort_implINS0_14default_configELb0EPK12hip_bfloat16PSL_PKlPlN2at6native12_GLOBAL__N_18offset_tEEE10hipError_tPvRmT1_PNSt15iterator_traitsISZ_E10value_typeET2_T3_PNS10_IS15_E10value_typeET4_jRbjT5_S1B_jjP12ihipStream_tbEUljE_EEESW_SX_SY_S15_S19_S1B_T6_T7_T9_mT8_S1D_bDpT10_ENKUlT_T0_E_clISt17integral_constantIbLb1EES1Q_EEDaS1L_S1M_EUlS1L_E_NS1_11comp_targetILNS1_3genE3ELNS1_11target_archE908ELNS1_3gpuE7ELNS1_3repE0EEENS1_30default_config_static_selectorELNS0_4arch9wavefront6targetE1EEEvSZ_.kd
    .uniform_work_group_size: 1
    .uses_dynamic_stack: false
    .vgpr_count:     0
    .vgpr_spill_count: 0
    .wavefront_size: 64
  - .args:
      - .offset:         0
        .size:           152
        .value_kind:     by_value
    .group_segment_fixed_size: 0
    .kernarg_segment_align: 8
    .kernarg_segment_size: 152
    .language:       OpenCL C
    .language_version:
      - 2
      - 0
    .max_flat_workgroup_size: 256
    .name:           _ZN7rocprim17ROCPRIM_400000_NS6detail17trampoline_kernelINS0_13select_configILj256ELj13ELNS0_17block_load_methodE3ELS4_3ELS4_3ELNS0_20block_scan_algorithmE0ELj4294967295EEENS1_25partition_config_selectorILNS1_17partition_subalgoE3EjNS0_10empty_typeEbEEZZNS1_14partition_implILS8_3ELb0ES6_jNS0_17counting_iteratorIjlEEPS9_SE_NS0_5tupleIJPjSE_EEENSF_IJSE_SE_EEES9_SG_JZNS1_25segmented_radix_sort_implINS0_14default_configELb0EPK12hip_bfloat16PSL_PKlPlN2at6native12_GLOBAL__N_18offset_tEEE10hipError_tPvRmT1_PNSt15iterator_traitsISZ_E10value_typeET2_T3_PNS10_IS15_E10value_typeET4_jRbjT5_S1B_jjP12ihipStream_tbEUljE_EEESW_SX_SY_S15_S19_S1B_T6_T7_T9_mT8_S1D_bDpT10_ENKUlT_T0_E_clISt17integral_constantIbLb1EES1Q_EEDaS1L_S1M_EUlS1L_E_NS1_11comp_targetILNS1_3genE2ELNS1_11target_archE906ELNS1_3gpuE6ELNS1_3repE0EEENS1_30default_config_static_selectorELNS0_4arch9wavefront6targetE1EEEvSZ_
    .private_segment_fixed_size: 0
    .sgpr_count:     4
    .sgpr_spill_count: 0
    .symbol:         _ZN7rocprim17ROCPRIM_400000_NS6detail17trampoline_kernelINS0_13select_configILj256ELj13ELNS0_17block_load_methodE3ELS4_3ELS4_3ELNS0_20block_scan_algorithmE0ELj4294967295EEENS1_25partition_config_selectorILNS1_17partition_subalgoE3EjNS0_10empty_typeEbEEZZNS1_14partition_implILS8_3ELb0ES6_jNS0_17counting_iteratorIjlEEPS9_SE_NS0_5tupleIJPjSE_EEENSF_IJSE_SE_EEES9_SG_JZNS1_25segmented_radix_sort_implINS0_14default_configELb0EPK12hip_bfloat16PSL_PKlPlN2at6native12_GLOBAL__N_18offset_tEEE10hipError_tPvRmT1_PNSt15iterator_traitsISZ_E10value_typeET2_T3_PNS10_IS15_E10value_typeET4_jRbjT5_S1B_jjP12ihipStream_tbEUljE_EEESW_SX_SY_S15_S19_S1B_T6_T7_T9_mT8_S1D_bDpT10_ENKUlT_T0_E_clISt17integral_constantIbLb1EES1Q_EEDaS1L_S1M_EUlS1L_E_NS1_11comp_targetILNS1_3genE2ELNS1_11target_archE906ELNS1_3gpuE6ELNS1_3repE0EEENS1_30default_config_static_selectorELNS0_4arch9wavefront6targetE1EEEvSZ_.kd
    .uniform_work_group_size: 1
    .uses_dynamic_stack: false
    .vgpr_count:     0
    .vgpr_spill_count: 0
    .wavefront_size: 64
  - .args:
      - .offset:         0
        .size:           152
        .value_kind:     by_value
    .group_segment_fixed_size: 0
    .kernarg_segment_align: 8
    .kernarg_segment_size: 152
    .language:       OpenCL C
    .language_version:
      - 2
      - 0
    .max_flat_workgroup_size: 256
    .name:           _ZN7rocprim17ROCPRIM_400000_NS6detail17trampoline_kernelINS0_13select_configILj256ELj13ELNS0_17block_load_methodE3ELS4_3ELS4_3ELNS0_20block_scan_algorithmE0ELj4294967295EEENS1_25partition_config_selectorILNS1_17partition_subalgoE3EjNS0_10empty_typeEbEEZZNS1_14partition_implILS8_3ELb0ES6_jNS0_17counting_iteratorIjlEEPS9_SE_NS0_5tupleIJPjSE_EEENSF_IJSE_SE_EEES9_SG_JZNS1_25segmented_radix_sort_implINS0_14default_configELb0EPK12hip_bfloat16PSL_PKlPlN2at6native12_GLOBAL__N_18offset_tEEE10hipError_tPvRmT1_PNSt15iterator_traitsISZ_E10value_typeET2_T3_PNS10_IS15_E10value_typeET4_jRbjT5_S1B_jjP12ihipStream_tbEUljE_EEESW_SX_SY_S15_S19_S1B_T6_T7_T9_mT8_S1D_bDpT10_ENKUlT_T0_E_clISt17integral_constantIbLb1EES1Q_EEDaS1L_S1M_EUlS1L_E_NS1_11comp_targetILNS1_3genE10ELNS1_11target_archE1200ELNS1_3gpuE4ELNS1_3repE0EEENS1_30default_config_static_selectorELNS0_4arch9wavefront6targetE1EEEvSZ_
    .private_segment_fixed_size: 0
    .sgpr_count:     4
    .sgpr_spill_count: 0
    .symbol:         _ZN7rocprim17ROCPRIM_400000_NS6detail17trampoline_kernelINS0_13select_configILj256ELj13ELNS0_17block_load_methodE3ELS4_3ELS4_3ELNS0_20block_scan_algorithmE0ELj4294967295EEENS1_25partition_config_selectorILNS1_17partition_subalgoE3EjNS0_10empty_typeEbEEZZNS1_14partition_implILS8_3ELb0ES6_jNS0_17counting_iteratorIjlEEPS9_SE_NS0_5tupleIJPjSE_EEENSF_IJSE_SE_EEES9_SG_JZNS1_25segmented_radix_sort_implINS0_14default_configELb0EPK12hip_bfloat16PSL_PKlPlN2at6native12_GLOBAL__N_18offset_tEEE10hipError_tPvRmT1_PNSt15iterator_traitsISZ_E10value_typeET2_T3_PNS10_IS15_E10value_typeET4_jRbjT5_S1B_jjP12ihipStream_tbEUljE_EEESW_SX_SY_S15_S19_S1B_T6_T7_T9_mT8_S1D_bDpT10_ENKUlT_T0_E_clISt17integral_constantIbLb1EES1Q_EEDaS1L_S1M_EUlS1L_E_NS1_11comp_targetILNS1_3genE10ELNS1_11target_archE1200ELNS1_3gpuE4ELNS1_3repE0EEENS1_30default_config_static_selectorELNS0_4arch9wavefront6targetE1EEEvSZ_.kd
    .uniform_work_group_size: 1
    .uses_dynamic_stack: false
    .vgpr_count:     0
    .vgpr_spill_count: 0
    .wavefront_size: 64
  - .args:
      - .offset:         0
        .size:           152
        .value_kind:     by_value
    .group_segment_fixed_size: 0
    .kernarg_segment_align: 8
    .kernarg_segment_size: 152
    .language:       OpenCL C
    .language_version:
      - 2
      - 0
    .max_flat_workgroup_size: 256
    .name:           _ZN7rocprim17ROCPRIM_400000_NS6detail17trampoline_kernelINS0_13select_configILj256ELj13ELNS0_17block_load_methodE3ELS4_3ELS4_3ELNS0_20block_scan_algorithmE0ELj4294967295EEENS1_25partition_config_selectorILNS1_17partition_subalgoE3EjNS0_10empty_typeEbEEZZNS1_14partition_implILS8_3ELb0ES6_jNS0_17counting_iteratorIjlEEPS9_SE_NS0_5tupleIJPjSE_EEENSF_IJSE_SE_EEES9_SG_JZNS1_25segmented_radix_sort_implINS0_14default_configELb0EPK12hip_bfloat16PSL_PKlPlN2at6native12_GLOBAL__N_18offset_tEEE10hipError_tPvRmT1_PNSt15iterator_traitsISZ_E10value_typeET2_T3_PNS10_IS15_E10value_typeET4_jRbjT5_S1B_jjP12ihipStream_tbEUljE_EEESW_SX_SY_S15_S19_S1B_T6_T7_T9_mT8_S1D_bDpT10_ENKUlT_T0_E_clISt17integral_constantIbLb1EES1Q_EEDaS1L_S1M_EUlS1L_E_NS1_11comp_targetILNS1_3genE9ELNS1_11target_archE1100ELNS1_3gpuE3ELNS1_3repE0EEENS1_30default_config_static_selectorELNS0_4arch9wavefront6targetE1EEEvSZ_
    .private_segment_fixed_size: 0
    .sgpr_count:     4
    .sgpr_spill_count: 0
    .symbol:         _ZN7rocprim17ROCPRIM_400000_NS6detail17trampoline_kernelINS0_13select_configILj256ELj13ELNS0_17block_load_methodE3ELS4_3ELS4_3ELNS0_20block_scan_algorithmE0ELj4294967295EEENS1_25partition_config_selectorILNS1_17partition_subalgoE3EjNS0_10empty_typeEbEEZZNS1_14partition_implILS8_3ELb0ES6_jNS0_17counting_iteratorIjlEEPS9_SE_NS0_5tupleIJPjSE_EEENSF_IJSE_SE_EEES9_SG_JZNS1_25segmented_radix_sort_implINS0_14default_configELb0EPK12hip_bfloat16PSL_PKlPlN2at6native12_GLOBAL__N_18offset_tEEE10hipError_tPvRmT1_PNSt15iterator_traitsISZ_E10value_typeET2_T3_PNS10_IS15_E10value_typeET4_jRbjT5_S1B_jjP12ihipStream_tbEUljE_EEESW_SX_SY_S15_S19_S1B_T6_T7_T9_mT8_S1D_bDpT10_ENKUlT_T0_E_clISt17integral_constantIbLb1EES1Q_EEDaS1L_S1M_EUlS1L_E_NS1_11comp_targetILNS1_3genE9ELNS1_11target_archE1100ELNS1_3gpuE3ELNS1_3repE0EEENS1_30default_config_static_selectorELNS0_4arch9wavefront6targetE1EEEvSZ_.kd
    .uniform_work_group_size: 1
    .uses_dynamic_stack: false
    .vgpr_count:     0
    .vgpr_spill_count: 0
    .wavefront_size: 64
  - .args:
      - .offset:         0
        .size:           152
        .value_kind:     by_value
    .group_segment_fixed_size: 0
    .kernarg_segment_align: 8
    .kernarg_segment_size: 152
    .language:       OpenCL C
    .language_version:
      - 2
      - 0
    .max_flat_workgroup_size: 256
    .name:           _ZN7rocprim17ROCPRIM_400000_NS6detail17trampoline_kernelINS0_13select_configILj256ELj13ELNS0_17block_load_methodE3ELS4_3ELS4_3ELNS0_20block_scan_algorithmE0ELj4294967295EEENS1_25partition_config_selectorILNS1_17partition_subalgoE3EjNS0_10empty_typeEbEEZZNS1_14partition_implILS8_3ELb0ES6_jNS0_17counting_iteratorIjlEEPS9_SE_NS0_5tupleIJPjSE_EEENSF_IJSE_SE_EEES9_SG_JZNS1_25segmented_radix_sort_implINS0_14default_configELb0EPK12hip_bfloat16PSL_PKlPlN2at6native12_GLOBAL__N_18offset_tEEE10hipError_tPvRmT1_PNSt15iterator_traitsISZ_E10value_typeET2_T3_PNS10_IS15_E10value_typeET4_jRbjT5_S1B_jjP12ihipStream_tbEUljE_EEESW_SX_SY_S15_S19_S1B_T6_T7_T9_mT8_S1D_bDpT10_ENKUlT_T0_E_clISt17integral_constantIbLb1EES1Q_EEDaS1L_S1M_EUlS1L_E_NS1_11comp_targetILNS1_3genE8ELNS1_11target_archE1030ELNS1_3gpuE2ELNS1_3repE0EEENS1_30default_config_static_selectorELNS0_4arch9wavefront6targetE1EEEvSZ_
    .private_segment_fixed_size: 0
    .sgpr_count:     4
    .sgpr_spill_count: 0
    .symbol:         _ZN7rocprim17ROCPRIM_400000_NS6detail17trampoline_kernelINS0_13select_configILj256ELj13ELNS0_17block_load_methodE3ELS4_3ELS4_3ELNS0_20block_scan_algorithmE0ELj4294967295EEENS1_25partition_config_selectorILNS1_17partition_subalgoE3EjNS0_10empty_typeEbEEZZNS1_14partition_implILS8_3ELb0ES6_jNS0_17counting_iteratorIjlEEPS9_SE_NS0_5tupleIJPjSE_EEENSF_IJSE_SE_EEES9_SG_JZNS1_25segmented_radix_sort_implINS0_14default_configELb0EPK12hip_bfloat16PSL_PKlPlN2at6native12_GLOBAL__N_18offset_tEEE10hipError_tPvRmT1_PNSt15iterator_traitsISZ_E10value_typeET2_T3_PNS10_IS15_E10value_typeET4_jRbjT5_S1B_jjP12ihipStream_tbEUljE_EEESW_SX_SY_S15_S19_S1B_T6_T7_T9_mT8_S1D_bDpT10_ENKUlT_T0_E_clISt17integral_constantIbLb1EES1Q_EEDaS1L_S1M_EUlS1L_E_NS1_11comp_targetILNS1_3genE8ELNS1_11target_archE1030ELNS1_3gpuE2ELNS1_3repE0EEENS1_30default_config_static_selectorELNS0_4arch9wavefront6targetE1EEEvSZ_.kd
    .uniform_work_group_size: 1
    .uses_dynamic_stack: false
    .vgpr_count:     0
    .vgpr_spill_count: 0
    .wavefront_size: 64
  - .args:
      - .offset:         0
        .size:           144
        .value_kind:     by_value
    .group_segment_fixed_size: 0
    .kernarg_segment_align: 8
    .kernarg_segment_size: 144
    .language:       OpenCL C
    .language_version:
      - 2
      - 0
    .max_flat_workgroup_size: 256
    .name:           _ZN7rocprim17ROCPRIM_400000_NS6detail17trampoline_kernelINS0_13select_configILj256ELj13ELNS0_17block_load_methodE3ELS4_3ELS4_3ELNS0_20block_scan_algorithmE0ELj4294967295EEENS1_25partition_config_selectorILNS1_17partition_subalgoE3EjNS0_10empty_typeEbEEZZNS1_14partition_implILS8_3ELb0ES6_jNS0_17counting_iteratorIjlEEPS9_SE_NS0_5tupleIJPjSE_EEENSF_IJSE_SE_EEES9_SG_JZNS1_25segmented_radix_sort_implINS0_14default_configELb0EPK12hip_bfloat16PSL_PKlPlN2at6native12_GLOBAL__N_18offset_tEEE10hipError_tPvRmT1_PNSt15iterator_traitsISZ_E10value_typeET2_T3_PNS10_IS15_E10value_typeET4_jRbjT5_S1B_jjP12ihipStream_tbEUljE_EEESW_SX_SY_S15_S19_S1B_T6_T7_T9_mT8_S1D_bDpT10_ENKUlT_T0_E_clISt17integral_constantIbLb1EES1P_IbLb0EEEEDaS1L_S1M_EUlS1L_E_NS1_11comp_targetILNS1_3genE0ELNS1_11target_archE4294967295ELNS1_3gpuE0ELNS1_3repE0EEENS1_30default_config_static_selectorELNS0_4arch9wavefront6targetE1EEEvSZ_
    .private_segment_fixed_size: 0
    .sgpr_count:     4
    .sgpr_spill_count: 0
    .symbol:         _ZN7rocprim17ROCPRIM_400000_NS6detail17trampoline_kernelINS0_13select_configILj256ELj13ELNS0_17block_load_methodE3ELS4_3ELS4_3ELNS0_20block_scan_algorithmE0ELj4294967295EEENS1_25partition_config_selectorILNS1_17partition_subalgoE3EjNS0_10empty_typeEbEEZZNS1_14partition_implILS8_3ELb0ES6_jNS0_17counting_iteratorIjlEEPS9_SE_NS0_5tupleIJPjSE_EEENSF_IJSE_SE_EEES9_SG_JZNS1_25segmented_radix_sort_implINS0_14default_configELb0EPK12hip_bfloat16PSL_PKlPlN2at6native12_GLOBAL__N_18offset_tEEE10hipError_tPvRmT1_PNSt15iterator_traitsISZ_E10value_typeET2_T3_PNS10_IS15_E10value_typeET4_jRbjT5_S1B_jjP12ihipStream_tbEUljE_EEESW_SX_SY_S15_S19_S1B_T6_T7_T9_mT8_S1D_bDpT10_ENKUlT_T0_E_clISt17integral_constantIbLb1EES1P_IbLb0EEEEDaS1L_S1M_EUlS1L_E_NS1_11comp_targetILNS1_3genE0ELNS1_11target_archE4294967295ELNS1_3gpuE0ELNS1_3repE0EEENS1_30default_config_static_selectorELNS0_4arch9wavefront6targetE1EEEvSZ_.kd
    .uniform_work_group_size: 1
    .uses_dynamic_stack: false
    .vgpr_count:     0
    .vgpr_spill_count: 0
    .wavefront_size: 64
  - .args:
      - .offset:         0
        .size:           144
        .value_kind:     by_value
    .group_segment_fixed_size: 0
    .kernarg_segment_align: 8
    .kernarg_segment_size: 144
    .language:       OpenCL C
    .language_version:
      - 2
      - 0
    .max_flat_workgroup_size: 256
    .name:           _ZN7rocprim17ROCPRIM_400000_NS6detail17trampoline_kernelINS0_13select_configILj256ELj13ELNS0_17block_load_methodE3ELS4_3ELS4_3ELNS0_20block_scan_algorithmE0ELj4294967295EEENS1_25partition_config_selectorILNS1_17partition_subalgoE3EjNS0_10empty_typeEbEEZZNS1_14partition_implILS8_3ELb0ES6_jNS0_17counting_iteratorIjlEEPS9_SE_NS0_5tupleIJPjSE_EEENSF_IJSE_SE_EEES9_SG_JZNS1_25segmented_radix_sort_implINS0_14default_configELb0EPK12hip_bfloat16PSL_PKlPlN2at6native12_GLOBAL__N_18offset_tEEE10hipError_tPvRmT1_PNSt15iterator_traitsISZ_E10value_typeET2_T3_PNS10_IS15_E10value_typeET4_jRbjT5_S1B_jjP12ihipStream_tbEUljE_EEESW_SX_SY_S15_S19_S1B_T6_T7_T9_mT8_S1D_bDpT10_ENKUlT_T0_E_clISt17integral_constantIbLb1EES1P_IbLb0EEEEDaS1L_S1M_EUlS1L_E_NS1_11comp_targetILNS1_3genE5ELNS1_11target_archE942ELNS1_3gpuE9ELNS1_3repE0EEENS1_30default_config_static_selectorELNS0_4arch9wavefront6targetE1EEEvSZ_
    .private_segment_fixed_size: 0
    .sgpr_count:     4
    .sgpr_spill_count: 0
    .symbol:         _ZN7rocprim17ROCPRIM_400000_NS6detail17trampoline_kernelINS0_13select_configILj256ELj13ELNS0_17block_load_methodE3ELS4_3ELS4_3ELNS0_20block_scan_algorithmE0ELj4294967295EEENS1_25partition_config_selectorILNS1_17partition_subalgoE3EjNS0_10empty_typeEbEEZZNS1_14partition_implILS8_3ELb0ES6_jNS0_17counting_iteratorIjlEEPS9_SE_NS0_5tupleIJPjSE_EEENSF_IJSE_SE_EEES9_SG_JZNS1_25segmented_radix_sort_implINS0_14default_configELb0EPK12hip_bfloat16PSL_PKlPlN2at6native12_GLOBAL__N_18offset_tEEE10hipError_tPvRmT1_PNSt15iterator_traitsISZ_E10value_typeET2_T3_PNS10_IS15_E10value_typeET4_jRbjT5_S1B_jjP12ihipStream_tbEUljE_EEESW_SX_SY_S15_S19_S1B_T6_T7_T9_mT8_S1D_bDpT10_ENKUlT_T0_E_clISt17integral_constantIbLb1EES1P_IbLb0EEEEDaS1L_S1M_EUlS1L_E_NS1_11comp_targetILNS1_3genE5ELNS1_11target_archE942ELNS1_3gpuE9ELNS1_3repE0EEENS1_30default_config_static_selectorELNS0_4arch9wavefront6targetE1EEEvSZ_.kd
    .uniform_work_group_size: 1
    .uses_dynamic_stack: false
    .vgpr_count:     0
    .vgpr_spill_count: 0
    .wavefront_size: 64
  - .args:
      - .offset:         0
        .size:           144
        .value_kind:     by_value
    .group_segment_fixed_size: 0
    .kernarg_segment_align: 8
    .kernarg_segment_size: 144
    .language:       OpenCL C
    .language_version:
      - 2
      - 0
    .max_flat_workgroup_size: 256
    .name:           _ZN7rocprim17ROCPRIM_400000_NS6detail17trampoline_kernelINS0_13select_configILj256ELj13ELNS0_17block_load_methodE3ELS4_3ELS4_3ELNS0_20block_scan_algorithmE0ELj4294967295EEENS1_25partition_config_selectorILNS1_17partition_subalgoE3EjNS0_10empty_typeEbEEZZNS1_14partition_implILS8_3ELb0ES6_jNS0_17counting_iteratorIjlEEPS9_SE_NS0_5tupleIJPjSE_EEENSF_IJSE_SE_EEES9_SG_JZNS1_25segmented_radix_sort_implINS0_14default_configELb0EPK12hip_bfloat16PSL_PKlPlN2at6native12_GLOBAL__N_18offset_tEEE10hipError_tPvRmT1_PNSt15iterator_traitsISZ_E10value_typeET2_T3_PNS10_IS15_E10value_typeET4_jRbjT5_S1B_jjP12ihipStream_tbEUljE_EEESW_SX_SY_S15_S19_S1B_T6_T7_T9_mT8_S1D_bDpT10_ENKUlT_T0_E_clISt17integral_constantIbLb1EES1P_IbLb0EEEEDaS1L_S1M_EUlS1L_E_NS1_11comp_targetILNS1_3genE4ELNS1_11target_archE910ELNS1_3gpuE8ELNS1_3repE0EEENS1_30default_config_static_selectorELNS0_4arch9wavefront6targetE1EEEvSZ_
    .private_segment_fixed_size: 0
    .sgpr_count:     4
    .sgpr_spill_count: 0
    .symbol:         _ZN7rocprim17ROCPRIM_400000_NS6detail17trampoline_kernelINS0_13select_configILj256ELj13ELNS0_17block_load_methodE3ELS4_3ELS4_3ELNS0_20block_scan_algorithmE0ELj4294967295EEENS1_25partition_config_selectorILNS1_17partition_subalgoE3EjNS0_10empty_typeEbEEZZNS1_14partition_implILS8_3ELb0ES6_jNS0_17counting_iteratorIjlEEPS9_SE_NS0_5tupleIJPjSE_EEENSF_IJSE_SE_EEES9_SG_JZNS1_25segmented_radix_sort_implINS0_14default_configELb0EPK12hip_bfloat16PSL_PKlPlN2at6native12_GLOBAL__N_18offset_tEEE10hipError_tPvRmT1_PNSt15iterator_traitsISZ_E10value_typeET2_T3_PNS10_IS15_E10value_typeET4_jRbjT5_S1B_jjP12ihipStream_tbEUljE_EEESW_SX_SY_S15_S19_S1B_T6_T7_T9_mT8_S1D_bDpT10_ENKUlT_T0_E_clISt17integral_constantIbLb1EES1P_IbLb0EEEEDaS1L_S1M_EUlS1L_E_NS1_11comp_targetILNS1_3genE4ELNS1_11target_archE910ELNS1_3gpuE8ELNS1_3repE0EEENS1_30default_config_static_selectorELNS0_4arch9wavefront6targetE1EEEvSZ_.kd
    .uniform_work_group_size: 1
    .uses_dynamic_stack: false
    .vgpr_count:     0
    .vgpr_spill_count: 0
    .wavefront_size: 64
  - .args:
      - .offset:         0
        .size:           144
        .value_kind:     by_value
    .group_segment_fixed_size: 0
    .kernarg_segment_align: 8
    .kernarg_segment_size: 144
    .language:       OpenCL C
    .language_version:
      - 2
      - 0
    .max_flat_workgroup_size: 256
    .name:           _ZN7rocprim17ROCPRIM_400000_NS6detail17trampoline_kernelINS0_13select_configILj256ELj13ELNS0_17block_load_methodE3ELS4_3ELS4_3ELNS0_20block_scan_algorithmE0ELj4294967295EEENS1_25partition_config_selectorILNS1_17partition_subalgoE3EjNS0_10empty_typeEbEEZZNS1_14partition_implILS8_3ELb0ES6_jNS0_17counting_iteratorIjlEEPS9_SE_NS0_5tupleIJPjSE_EEENSF_IJSE_SE_EEES9_SG_JZNS1_25segmented_radix_sort_implINS0_14default_configELb0EPK12hip_bfloat16PSL_PKlPlN2at6native12_GLOBAL__N_18offset_tEEE10hipError_tPvRmT1_PNSt15iterator_traitsISZ_E10value_typeET2_T3_PNS10_IS15_E10value_typeET4_jRbjT5_S1B_jjP12ihipStream_tbEUljE_EEESW_SX_SY_S15_S19_S1B_T6_T7_T9_mT8_S1D_bDpT10_ENKUlT_T0_E_clISt17integral_constantIbLb1EES1P_IbLb0EEEEDaS1L_S1M_EUlS1L_E_NS1_11comp_targetILNS1_3genE3ELNS1_11target_archE908ELNS1_3gpuE7ELNS1_3repE0EEENS1_30default_config_static_selectorELNS0_4arch9wavefront6targetE1EEEvSZ_
    .private_segment_fixed_size: 0
    .sgpr_count:     4
    .sgpr_spill_count: 0
    .symbol:         _ZN7rocprim17ROCPRIM_400000_NS6detail17trampoline_kernelINS0_13select_configILj256ELj13ELNS0_17block_load_methodE3ELS4_3ELS4_3ELNS0_20block_scan_algorithmE0ELj4294967295EEENS1_25partition_config_selectorILNS1_17partition_subalgoE3EjNS0_10empty_typeEbEEZZNS1_14partition_implILS8_3ELb0ES6_jNS0_17counting_iteratorIjlEEPS9_SE_NS0_5tupleIJPjSE_EEENSF_IJSE_SE_EEES9_SG_JZNS1_25segmented_radix_sort_implINS0_14default_configELb0EPK12hip_bfloat16PSL_PKlPlN2at6native12_GLOBAL__N_18offset_tEEE10hipError_tPvRmT1_PNSt15iterator_traitsISZ_E10value_typeET2_T3_PNS10_IS15_E10value_typeET4_jRbjT5_S1B_jjP12ihipStream_tbEUljE_EEESW_SX_SY_S15_S19_S1B_T6_T7_T9_mT8_S1D_bDpT10_ENKUlT_T0_E_clISt17integral_constantIbLb1EES1P_IbLb0EEEEDaS1L_S1M_EUlS1L_E_NS1_11comp_targetILNS1_3genE3ELNS1_11target_archE908ELNS1_3gpuE7ELNS1_3repE0EEENS1_30default_config_static_selectorELNS0_4arch9wavefront6targetE1EEEvSZ_.kd
    .uniform_work_group_size: 1
    .uses_dynamic_stack: false
    .vgpr_count:     0
    .vgpr_spill_count: 0
    .wavefront_size: 64
  - .args:
      - .offset:         0
        .size:           144
        .value_kind:     by_value
    .group_segment_fixed_size: 0
    .kernarg_segment_align: 8
    .kernarg_segment_size: 144
    .language:       OpenCL C
    .language_version:
      - 2
      - 0
    .max_flat_workgroup_size: 256
    .name:           _ZN7rocprim17ROCPRIM_400000_NS6detail17trampoline_kernelINS0_13select_configILj256ELj13ELNS0_17block_load_methodE3ELS4_3ELS4_3ELNS0_20block_scan_algorithmE0ELj4294967295EEENS1_25partition_config_selectorILNS1_17partition_subalgoE3EjNS0_10empty_typeEbEEZZNS1_14partition_implILS8_3ELb0ES6_jNS0_17counting_iteratorIjlEEPS9_SE_NS0_5tupleIJPjSE_EEENSF_IJSE_SE_EEES9_SG_JZNS1_25segmented_radix_sort_implINS0_14default_configELb0EPK12hip_bfloat16PSL_PKlPlN2at6native12_GLOBAL__N_18offset_tEEE10hipError_tPvRmT1_PNSt15iterator_traitsISZ_E10value_typeET2_T3_PNS10_IS15_E10value_typeET4_jRbjT5_S1B_jjP12ihipStream_tbEUljE_EEESW_SX_SY_S15_S19_S1B_T6_T7_T9_mT8_S1D_bDpT10_ENKUlT_T0_E_clISt17integral_constantIbLb1EES1P_IbLb0EEEEDaS1L_S1M_EUlS1L_E_NS1_11comp_targetILNS1_3genE2ELNS1_11target_archE906ELNS1_3gpuE6ELNS1_3repE0EEENS1_30default_config_static_selectorELNS0_4arch9wavefront6targetE1EEEvSZ_
    .private_segment_fixed_size: 0
    .sgpr_count:     4
    .sgpr_spill_count: 0
    .symbol:         _ZN7rocprim17ROCPRIM_400000_NS6detail17trampoline_kernelINS0_13select_configILj256ELj13ELNS0_17block_load_methodE3ELS4_3ELS4_3ELNS0_20block_scan_algorithmE0ELj4294967295EEENS1_25partition_config_selectorILNS1_17partition_subalgoE3EjNS0_10empty_typeEbEEZZNS1_14partition_implILS8_3ELb0ES6_jNS0_17counting_iteratorIjlEEPS9_SE_NS0_5tupleIJPjSE_EEENSF_IJSE_SE_EEES9_SG_JZNS1_25segmented_radix_sort_implINS0_14default_configELb0EPK12hip_bfloat16PSL_PKlPlN2at6native12_GLOBAL__N_18offset_tEEE10hipError_tPvRmT1_PNSt15iterator_traitsISZ_E10value_typeET2_T3_PNS10_IS15_E10value_typeET4_jRbjT5_S1B_jjP12ihipStream_tbEUljE_EEESW_SX_SY_S15_S19_S1B_T6_T7_T9_mT8_S1D_bDpT10_ENKUlT_T0_E_clISt17integral_constantIbLb1EES1P_IbLb0EEEEDaS1L_S1M_EUlS1L_E_NS1_11comp_targetILNS1_3genE2ELNS1_11target_archE906ELNS1_3gpuE6ELNS1_3repE0EEENS1_30default_config_static_selectorELNS0_4arch9wavefront6targetE1EEEvSZ_.kd
    .uniform_work_group_size: 1
    .uses_dynamic_stack: false
    .vgpr_count:     0
    .vgpr_spill_count: 0
    .wavefront_size: 64
  - .args:
      - .offset:         0
        .size:           144
        .value_kind:     by_value
    .group_segment_fixed_size: 0
    .kernarg_segment_align: 8
    .kernarg_segment_size: 144
    .language:       OpenCL C
    .language_version:
      - 2
      - 0
    .max_flat_workgroup_size: 256
    .name:           _ZN7rocprim17ROCPRIM_400000_NS6detail17trampoline_kernelINS0_13select_configILj256ELj13ELNS0_17block_load_methodE3ELS4_3ELS4_3ELNS0_20block_scan_algorithmE0ELj4294967295EEENS1_25partition_config_selectorILNS1_17partition_subalgoE3EjNS0_10empty_typeEbEEZZNS1_14partition_implILS8_3ELb0ES6_jNS0_17counting_iteratorIjlEEPS9_SE_NS0_5tupleIJPjSE_EEENSF_IJSE_SE_EEES9_SG_JZNS1_25segmented_radix_sort_implINS0_14default_configELb0EPK12hip_bfloat16PSL_PKlPlN2at6native12_GLOBAL__N_18offset_tEEE10hipError_tPvRmT1_PNSt15iterator_traitsISZ_E10value_typeET2_T3_PNS10_IS15_E10value_typeET4_jRbjT5_S1B_jjP12ihipStream_tbEUljE_EEESW_SX_SY_S15_S19_S1B_T6_T7_T9_mT8_S1D_bDpT10_ENKUlT_T0_E_clISt17integral_constantIbLb1EES1P_IbLb0EEEEDaS1L_S1M_EUlS1L_E_NS1_11comp_targetILNS1_3genE10ELNS1_11target_archE1200ELNS1_3gpuE4ELNS1_3repE0EEENS1_30default_config_static_selectorELNS0_4arch9wavefront6targetE1EEEvSZ_
    .private_segment_fixed_size: 0
    .sgpr_count:     4
    .sgpr_spill_count: 0
    .symbol:         _ZN7rocprim17ROCPRIM_400000_NS6detail17trampoline_kernelINS0_13select_configILj256ELj13ELNS0_17block_load_methodE3ELS4_3ELS4_3ELNS0_20block_scan_algorithmE0ELj4294967295EEENS1_25partition_config_selectorILNS1_17partition_subalgoE3EjNS0_10empty_typeEbEEZZNS1_14partition_implILS8_3ELb0ES6_jNS0_17counting_iteratorIjlEEPS9_SE_NS0_5tupleIJPjSE_EEENSF_IJSE_SE_EEES9_SG_JZNS1_25segmented_radix_sort_implINS0_14default_configELb0EPK12hip_bfloat16PSL_PKlPlN2at6native12_GLOBAL__N_18offset_tEEE10hipError_tPvRmT1_PNSt15iterator_traitsISZ_E10value_typeET2_T3_PNS10_IS15_E10value_typeET4_jRbjT5_S1B_jjP12ihipStream_tbEUljE_EEESW_SX_SY_S15_S19_S1B_T6_T7_T9_mT8_S1D_bDpT10_ENKUlT_T0_E_clISt17integral_constantIbLb1EES1P_IbLb0EEEEDaS1L_S1M_EUlS1L_E_NS1_11comp_targetILNS1_3genE10ELNS1_11target_archE1200ELNS1_3gpuE4ELNS1_3repE0EEENS1_30default_config_static_selectorELNS0_4arch9wavefront6targetE1EEEvSZ_.kd
    .uniform_work_group_size: 1
    .uses_dynamic_stack: false
    .vgpr_count:     0
    .vgpr_spill_count: 0
    .wavefront_size: 64
  - .args:
      - .offset:         0
        .size:           144
        .value_kind:     by_value
    .group_segment_fixed_size: 0
    .kernarg_segment_align: 8
    .kernarg_segment_size: 144
    .language:       OpenCL C
    .language_version:
      - 2
      - 0
    .max_flat_workgroup_size: 256
    .name:           _ZN7rocprim17ROCPRIM_400000_NS6detail17trampoline_kernelINS0_13select_configILj256ELj13ELNS0_17block_load_methodE3ELS4_3ELS4_3ELNS0_20block_scan_algorithmE0ELj4294967295EEENS1_25partition_config_selectorILNS1_17partition_subalgoE3EjNS0_10empty_typeEbEEZZNS1_14partition_implILS8_3ELb0ES6_jNS0_17counting_iteratorIjlEEPS9_SE_NS0_5tupleIJPjSE_EEENSF_IJSE_SE_EEES9_SG_JZNS1_25segmented_radix_sort_implINS0_14default_configELb0EPK12hip_bfloat16PSL_PKlPlN2at6native12_GLOBAL__N_18offset_tEEE10hipError_tPvRmT1_PNSt15iterator_traitsISZ_E10value_typeET2_T3_PNS10_IS15_E10value_typeET4_jRbjT5_S1B_jjP12ihipStream_tbEUljE_EEESW_SX_SY_S15_S19_S1B_T6_T7_T9_mT8_S1D_bDpT10_ENKUlT_T0_E_clISt17integral_constantIbLb1EES1P_IbLb0EEEEDaS1L_S1M_EUlS1L_E_NS1_11comp_targetILNS1_3genE9ELNS1_11target_archE1100ELNS1_3gpuE3ELNS1_3repE0EEENS1_30default_config_static_selectorELNS0_4arch9wavefront6targetE1EEEvSZ_
    .private_segment_fixed_size: 0
    .sgpr_count:     4
    .sgpr_spill_count: 0
    .symbol:         _ZN7rocprim17ROCPRIM_400000_NS6detail17trampoline_kernelINS0_13select_configILj256ELj13ELNS0_17block_load_methodE3ELS4_3ELS4_3ELNS0_20block_scan_algorithmE0ELj4294967295EEENS1_25partition_config_selectorILNS1_17partition_subalgoE3EjNS0_10empty_typeEbEEZZNS1_14partition_implILS8_3ELb0ES6_jNS0_17counting_iteratorIjlEEPS9_SE_NS0_5tupleIJPjSE_EEENSF_IJSE_SE_EEES9_SG_JZNS1_25segmented_radix_sort_implINS0_14default_configELb0EPK12hip_bfloat16PSL_PKlPlN2at6native12_GLOBAL__N_18offset_tEEE10hipError_tPvRmT1_PNSt15iterator_traitsISZ_E10value_typeET2_T3_PNS10_IS15_E10value_typeET4_jRbjT5_S1B_jjP12ihipStream_tbEUljE_EEESW_SX_SY_S15_S19_S1B_T6_T7_T9_mT8_S1D_bDpT10_ENKUlT_T0_E_clISt17integral_constantIbLb1EES1P_IbLb0EEEEDaS1L_S1M_EUlS1L_E_NS1_11comp_targetILNS1_3genE9ELNS1_11target_archE1100ELNS1_3gpuE3ELNS1_3repE0EEENS1_30default_config_static_selectorELNS0_4arch9wavefront6targetE1EEEvSZ_.kd
    .uniform_work_group_size: 1
    .uses_dynamic_stack: false
    .vgpr_count:     0
    .vgpr_spill_count: 0
    .wavefront_size: 64
  - .args:
      - .offset:         0
        .size:           144
        .value_kind:     by_value
    .group_segment_fixed_size: 0
    .kernarg_segment_align: 8
    .kernarg_segment_size: 144
    .language:       OpenCL C
    .language_version:
      - 2
      - 0
    .max_flat_workgroup_size: 256
    .name:           _ZN7rocprim17ROCPRIM_400000_NS6detail17trampoline_kernelINS0_13select_configILj256ELj13ELNS0_17block_load_methodE3ELS4_3ELS4_3ELNS0_20block_scan_algorithmE0ELj4294967295EEENS1_25partition_config_selectorILNS1_17partition_subalgoE3EjNS0_10empty_typeEbEEZZNS1_14partition_implILS8_3ELb0ES6_jNS0_17counting_iteratorIjlEEPS9_SE_NS0_5tupleIJPjSE_EEENSF_IJSE_SE_EEES9_SG_JZNS1_25segmented_radix_sort_implINS0_14default_configELb0EPK12hip_bfloat16PSL_PKlPlN2at6native12_GLOBAL__N_18offset_tEEE10hipError_tPvRmT1_PNSt15iterator_traitsISZ_E10value_typeET2_T3_PNS10_IS15_E10value_typeET4_jRbjT5_S1B_jjP12ihipStream_tbEUljE_EEESW_SX_SY_S15_S19_S1B_T6_T7_T9_mT8_S1D_bDpT10_ENKUlT_T0_E_clISt17integral_constantIbLb1EES1P_IbLb0EEEEDaS1L_S1M_EUlS1L_E_NS1_11comp_targetILNS1_3genE8ELNS1_11target_archE1030ELNS1_3gpuE2ELNS1_3repE0EEENS1_30default_config_static_selectorELNS0_4arch9wavefront6targetE1EEEvSZ_
    .private_segment_fixed_size: 0
    .sgpr_count:     4
    .sgpr_spill_count: 0
    .symbol:         _ZN7rocprim17ROCPRIM_400000_NS6detail17trampoline_kernelINS0_13select_configILj256ELj13ELNS0_17block_load_methodE3ELS4_3ELS4_3ELNS0_20block_scan_algorithmE0ELj4294967295EEENS1_25partition_config_selectorILNS1_17partition_subalgoE3EjNS0_10empty_typeEbEEZZNS1_14partition_implILS8_3ELb0ES6_jNS0_17counting_iteratorIjlEEPS9_SE_NS0_5tupleIJPjSE_EEENSF_IJSE_SE_EEES9_SG_JZNS1_25segmented_radix_sort_implINS0_14default_configELb0EPK12hip_bfloat16PSL_PKlPlN2at6native12_GLOBAL__N_18offset_tEEE10hipError_tPvRmT1_PNSt15iterator_traitsISZ_E10value_typeET2_T3_PNS10_IS15_E10value_typeET4_jRbjT5_S1B_jjP12ihipStream_tbEUljE_EEESW_SX_SY_S15_S19_S1B_T6_T7_T9_mT8_S1D_bDpT10_ENKUlT_T0_E_clISt17integral_constantIbLb1EES1P_IbLb0EEEEDaS1L_S1M_EUlS1L_E_NS1_11comp_targetILNS1_3genE8ELNS1_11target_archE1030ELNS1_3gpuE2ELNS1_3repE0EEENS1_30default_config_static_selectorELNS0_4arch9wavefront6targetE1EEEvSZ_.kd
    .uniform_work_group_size: 1
    .uses_dynamic_stack: false
    .vgpr_count:     0
    .vgpr_spill_count: 0
    .wavefront_size: 64
  - .args:
      - .offset:         0
        .size:           152
        .value_kind:     by_value
    .group_segment_fixed_size: 0
    .kernarg_segment_align: 8
    .kernarg_segment_size: 152
    .language:       OpenCL C
    .language_version:
      - 2
      - 0
    .max_flat_workgroup_size: 256
    .name:           _ZN7rocprim17ROCPRIM_400000_NS6detail17trampoline_kernelINS0_13select_configILj256ELj13ELNS0_17block_load_methodE3ELS4_3ELS4_3ELNS0_20block_scan_algorithmE0ELj4294967295EEENS1_25partition_config_selectorILNS1_17partition_subalgoE3EjNS0_10empty_typeEbEEZZNS1_14partition_implILS8_3ELb0ES6_jNS0_17counting_iteratorIjlEEPS9_SE_NS0_5tupleIJPjSE_EEENSF_IJSE_SE_EEES9_SG_JZNS1_25segmented_radix_sort_implINS0_14default_configELb0EPK12hip_bfloat16PSL_PKlPlN2at6native12_GLOBAL__N_18offset_tEEE10hipError_tPvRmT1_PNSt15iterator_traitsISZ_E10value_typeET2_T3_PNS10_IS15_E10value_typeET4_jRbjT5_S1B_jjP12ihipStream_tbEUljE_EEESW_SX_SY_S15_S19_S1B_T6_T7_T9_mT8_S1D_bDpT10_ENKUlT_T0_E_clISt17integral_constantIbLb0EES1P_IbLb1EEEEDaS1L_S1M_EUlS1L_E_NS1_11comp_targetILNS1_3genE0ELNS1_11target_archE4294967295ELNS1_3gpuE0ELNS1_3repE0EEENS1_30default_config_static_selectorELNS0_4arch9wavefront6targetE1EEEvSZ_
    .private_segment_fixed_size: 0
    .sgpr_count:     4
    .sgpr_spill_count: 0
    .symbol:         _ZN7rocprim17ROCPRIM_400000_NS6detail17trampoline_kernelINS0_13select_configILj256ELj13ELNS0_17block_load_methodE3ELS4_3ELS4_3ELNS0_20block_scan_algorithmE0ELj4294967295EEENS1_25partition_config_selectorILNS1_17partition_subalgoE3EjNS0_10empty_typeEbEEZZNS1_14partition_implILS8_3ELb0ES6_jNS0_17counting_iteratorIjlEEPS9_SE_NS0_5tupleIJPjSE_EEENSF_IJSE_SE_EEES9_SG_JZNS1_25segmented_radix_sort_implINS0_14default_configELb0EPK12hip_bfloat16PSL_PKlPlN2at6native12_GLOBAL__N_18offset_tEEE10hipError_tPvRmT1_PNSt15iterator_traitsISZ_E10value_typeET2_T3_PNS10_IS15_E10value_typeET4_jRbjT5_S1B_jjP12ihipStream_tbEUljE_EEESW_SX_SY_S15_S19_S1B_T6_T7_T9_mT8_S1D_bDpT10_ENKUlT_T0_E_clISt17integral_constantIbLb0EES1P_IbLb1EEEEDaS1L_S1M_EUlS1L_E_NS1_11comp_targetILNS1_3genE0ELNS1_11target_archE4294967295ELNS1_3gpuE0ELNS1_3repE0EEENS1_30default_config_static_selectorELNS0_4arch9wavefront6targetE1EEEvSZ_.kd
    .uniform_work_group_size: 1
    .uses_dynamic_stack: false
    .vgpr_count:     0
    .vgpr_spill_count: 0
    .wavefront_size: 64
  - .args:
      - .offset:         0
        .size:           152
        .value_kind:     by_value
    .group_segment_fixed_size: 0
    .kernarg_segment_align: 8
    .kernarg_segment_size: 152
    .language:       OpenCL C
    .language_version:
      - 2
      - 0
    .max_flat_workgroup_size: 256
    .name:           _ZN7rocprim17ROCPRIM_400000_NS6detail17trampoline_kernelINS0_13select_configILj256ELj13ELNS0_17block_load_methodE3ELS4_3ELS4_3ELNS0_20block_scan_algorithmE0ELj4294967295EEENS1_25partition_config_selectorILNS1_17partition_subalgoE3EjNS0_10empty_typeEbEEZZNS1_14partition_implILS8_3ELb0ES6_jNS0_17counting_iteratorIjlEEPS9_SE_NS0_5tupleIJPjSE_EEENSF_IJSE_SE_EEES9_SG_JZNS1_25segmented_radix_sort_implINS0_14default_configELb0EPK12hip_bfloat16PSL_PKlPlN2at6native12_GLOBAL__N_18offset_tEEE10hipError_tPvRmT1_PNSt15iterator_traitsISZ_E10value_typeET2_T3_PNS10_IS15_E10value_typeET4_jRbjT5_S1B_jjP12ihipStream_tbEUljE_EEESW_SX_SY_S15_S19_S1B_T6_T7_T9_mT8_S1D_bDpT10_ENKUlT_T0_E_clISt17integral_constantIbLb0EES1P_IbLb1EEEEDaS1L_S1M_EUlS1L_E_NS1_11comp_targetILNS1_3genE5ELNS1_11target_archE942ELNS1_3gpuE9ELNS1_3repE0EEENS1_30default_config_static_selectorELNS0_4arch9wavefront6targetE1EEEvSZ_
    .private_segment_fixed_size: 0
    .sgpr_count:     4
    .sgpr_spill_count: 0
    .symbol:         _ZN7rocprim17ROCPRIM_400000_NS6detail17trampoline_kernelINS0_13select_configILj256ELj13ELNS0_17block_load_methodE3ELS4_3ELS4_3ELNS0_20block_scan_algorithmE0ELj4294967295EEENS1_25partition_config_selectorILNS1_17partition_subalgoE3EjNS0_10empty_typeEbEEZZNS1_14partition_implILS8_3ELb0ES6_jNS0_17counting_iteratorIjlEEPS9_SE_NS0_5tupleIJPjSE_EEENSF_IJSE_SE_EEES9_SG_JZNS1_25segmented_radix_sort_implINS0_14default_configELb0EPK12hip_bfloat16PSL_PKlPlN2at6native12_GLOBAL__N_18offset_tEEE10hipError_tPvRmT1_PNSt15iterator_traitsISZ_E10value_typeET2_T3_PNS10_IS15_E10value_typeET4_jRbjT5_S1B_jjP12ihipStream_tbEUljE_EEESW_SX_SY_S15_S19_S1B_T6_T7_T9_mT8_S1D_bDpT10_ENKUlT_T0_E_clISt17integral_constantIbLb0EES1P_IbLb1EEEEDaS1L_S1M_EUlS1L_E_NS1_11comp_targetILNS1_3genE5ELNS1_11target_archE942ELNS1_3gpuE9ELNS1_3repE0EEENS1_30default_config_static_selectorELNS0_4arch9wavefront6targetE1EEEvSZ_.kd
    .uniform_work_group_size: 1
    .uses_dynamic_stack: false
    .vgpr_count:     0
    .vgpr_spill_count: 0
    .wavefront_size: 64
  - .args:
      - .offset:         0
        .size:           152
        .value_kind:     by_value
    .group_segment_fixed_size: 0
    .kernarg_segment_align: 8
    .kernarg_segment_size: 152
    .language:       OpenCL C
    .language_version:
      - 2
      - 0
    .max_flat_workgroup_size: 256
    .name:           _ZN7rocprim17ROCPRIM_400000_NS6detail17trampoline_kernelINS0_13select_configILj256ELj13ELNS0_17block_load_methodE3ELS4_3ELS4_3ELNS0_20block_scan_algorithmE0ELj4294967295EEENS1_25partition_config_selectorILNS1_17partition_subalgoE3EjNS0_10empty_typeEbEEZZNS1_14partition_implILS8_3ELb0ES6_jNS0_17counting_iteratorIjlEEPS9_SE_NS0_5tupleIJPjSE_EEENSF_IJSE_SE_EEES9_SG_JZNS1_25segmented_radix_sort_implINS0_14default_configELb0EPK12hip_bfloat16PSL_PKlPlN2at6native12_GLOBAL__N_18offset_tEEE10hipError_tPvRmT1_PNSt15iterator_traitsISZ_E10value_typeET2_T3_PNS10_IS15_E10value_typeET4_jRbjT5_S1B_jjP12ihipStream_tbEUljE_EEESW_SX_SY_S15_S19_S1B_T6_T7_T9_mT8_S1D_bDpT10_ENKUlT_T0_E_clISt17integral_constantIbLb0EES1P_IbLb1EEEEDaS1L_S1M_EUlS1L_E_NS1_11comp_targetILNS1_3genE4ELNS1_11target_archE910ELNS1_3gpuE8ELNS1_3repE0EEENS1_30default_config_static_selectorELNS0_4arch9wavefront6targetE1EEEvSZ_
    .private_segment_fixed_size: 0
    .sgpr_count:     4
    .sgpr_spill_count: 0
    .symbol:         _ZN7rocprim17ROCPRIM_400000_NS6detail17trampoline_kernelINS0_13select_configILj256ELj13ELNS0_17block_load_methodE3ELS4_3ELS4_3ELNS0_20block_scan_algorithmE0ELj4294967295EEENS1_25partition_config_selectorILNS1_17partition_subalgoE3EjNS0_10empty_typeEbEEZZNS1_14partition_implILS8_3ELb0ES6_jNS0_17counting_iteratorIjlEEPS9_SE_NS0_5tupleIJPjSE_EEENSF_IJSE_SE_EEES9_SG_JZNS1_25segmented_radix_sort_implINS0_14default_configELb0EPK12hip_bfloat16PSL_PKlPlN2at6native12_GLOBAL__N_18offset_tEEE10hipError_tPvRmT1_PNSt15iterator_traitsISZ_E10value_typeET2_T3_PNS10_IS15_E10value_typeET4_jRbjT5_S1B_jjP12ihipStream_tbEUljE_EEESW_SX_SY_S15_S19_S1B_T6_T7_T9_mT8_S1D_bDpT10_ENKUlT_T0_E_clISt17integral_constantIbLb0EES1P_IbLb1EEEEDaS1L_S1M_EUlS1L_E_NS1_11comp_targetILNS1_3genE4ELNS1_11target_archE910ELNS1_3gpuE8ELNS1_3repE0EEENS1_30default_config_static_selectorELNS0_4arch9wavefront6targetE1EEEvSZ_.kd
    .uniform_work_group_size: 1
    .uses_dynamic_stack: false
    .vgpr_count:     0
    .vgpr_spill_count: 0
    .wavefront_size: 64
  - .args:
      - .offset:         0
        .size:           152
        .value_kind:     by_value
    .group_segment_fixed_size: 0
    .kernarg_segment_align: 8
    .kernarg_segment_size: 152
    .language:       OpenCL C
    .language_version:
      - 2
      - 0
    .max_flat_workgroup_size: 256
    .name:           _ZN7rocprim17ROCPRIM_400000_NS6detail17trampoline_kernelINS0_13select_configILj256ELj13ELNS0_17block_load_methodE3ELS4_3ELS4_3ELNS0_20block_scan_algorithmE0ELj4294967295EEENS1_25partition_config_selectorILNS1_17partition_subalgoE3EjNS0_10empty_typeEbEEZZNS1_14partition_implILS8_3ELb0ES6_jNS0_17counting_iteratorIjlEEPS9_SE_NS0_5tupleIJPjSE_EEENSF_IJSE_SE_EEES9_SG_JZNS1_25segmented_radix_sort_implINS0_14default_configELb0EPK12hip_bfloat16PSL_PKlPlN2at6native12_GLOBAL__N_18offset_tEEE10hipError_tPvRmT1_PNSt15iterator_traitsISZ_E10value_typeET2_T3_PNS10_IS15_E10value_typeET4_jRbjT5_S1B_jjP12ihipStream_tbEUljE_EEESW_SX_SY_S15_S19_S1B_T6_T7_T9_mT8_S1D_bDpT10_ENKUlT_T0_E_clISt17integral_constantIbLb0EES1P_IbLb1EEEEDaS1L_S1M_EUlS1L_E_NS1_11comp_targetILNS1_3genE3ELNS1_11target_archE908ELNS1_3gpuE7ELNS1_3repE0EEENS1_30default_config_static_selectorELNS0_4arch9wavefront6targetE1EEEvSZ_
    .private_segment_fixed_size: 0
    .sgpr_count:     4
    .sgpr_spill_count: 0
    .symbol:         _ZN7rocprim17ROCPRIM_400000_NS6detail17trampoline_kernelINS0_13select_configILj256ELj13ELNS0_17block_load_methodE3ELS4_3ELS4_3ELNS0_20block_scan_algorithmE0ELj4294967295EEENS1_25partition_config_selectorILNS1_17partition_subalgoE3EjNS0_10empty_typeEbEEZZNS1_14partition_implILS8_3ELb0ES6_jNS0_17counting_iteratorIjlEEPS9_SE_NS0_5tupleIJPjSE_EEENSF_IJSE_SE_EEES9_SG_JZNS1_25segmented_radix_sort_implINS0_14default_configELb0EPK12hip_bfloat16PSL_PKlPlN2at6native12_GLOBAL__N_18offset_tEEE10hipError_tPvRmT1_PNSt15iterator_traitsISZ_E10value_typeET2_T3_PNS10_IS15_E10value_typeET4_jRbjT5_S1B_jjP12ihipStream_tbEUljE_EEESW_SX_SY_S15_S19_S1B_T6_T7_T9_mT8_S1D_bDpT10_ENKUlT_T0_E_clISt17integral_constantIbLb0EES1P_IbLb1EEEEDaS1L_S1M_EUlS1L_E_NS1_11comp_targetILNS1_3genE3ELNS1_11target_archE908ELNS1_3gpuE7ELNS1_3repE0EEENS1_30default_config_static_selectorELNS0_4arch9wavefront6targetE1EEEvSZ_.kd
    .uniform_work_group_size: 1
    .uses_dynamic_stack: false
    .vgpr_count:     0
    .vgpr_spill_count: 0
    .wavefront_size: 64
  - .args:
      - .offset:         0
        .size:           152
        .value_kind:     by_value
    .group_segment_fixed_size: 13320
    .kernarg_segment_align: 8
    .kernarg_segment_size: 152
    .language:       OpenCL C
    .language_version:
      - 2
      - 0
    .max_flat_workgroup_size: 256
    .name:           _ZN7rocprim17ROCPRIM_400000_NS6detail17trampoline_kernelINS0_13select_configILj256ELj13ELNS0_17block_load_methodE3ELS4_3ELS4_3ELNS0_20block_scan_algorithmE0ELj4294967295EEENS1_25partition_config_selectorILNS1_17partition_subalgoE3EjNS0_10empty_typeEbEEZZNS1_14partition_implILS8_3ELb0ES6_jNS0_17counting_iteratorIjlEEPS9_SE_NS0_5tupleIJPjSE_EEENSF_IJSE_SE_EEES9_SG_JZNS1_25segmented_radix_sort_implINS0_14default_configELb0EPK12hip_bfloat16PSL_PKlPlN2at6native12_GLOBAL__N_18offset_tEEE10hipError_tPvRmT1_PNSt15iterator_traitsISZ_E10value_typeET2_T3_PNS10_IS15_E10value_typeET4_jRbjT5_S1B_jjP12ihipStream_tbEUljE_EEESW_SX_SY_S15_S19_S1B_T6_T7_T9_mT8_S1D_bDpT10_ENKUlT_T0_E_clISt17integral_constantIbLb0EES1P_IbLb1EEEEDaS1L_S1M_EUlS1L_E_NS1_11comp_targetILNS1_3genE2ELNS1_11target_archE906ELNS1_3gpuE6ELNS1_3repE0EEENS1_30default_config_static_selectorELNS0_4arch9wavefront6targetE1EEEvSZ_
    .private_segment_fixed_size: 0
    .sgpr_count:     50
    .sgpr_spill_count: 0
    .symbol:         _ZN7rocprim17ROCPRIM_400000_NS6detail17trampoline_kernelINS0_13select_configILj256ELj13ELNS0_17block_load_methodE3ELS4_3ELS4_3ELNS0_20block_scan_algorithmE0ELj4294967295EEENS1_25partition_config_selectorILNS1_17partition_subalgoE3EjNS0_10empty_typeEbEEZZNS1_14partition_implILS8_3ELb0ES6_jNS0_17counting_iteratorIjlEEPS9_SE_NS0_5tupleIJPjSE_EEENSF_IJSE_SE_EEES9_SG_JZNS1_25segmented_radix_sort_implINS0_14default_configELb0EPK12hip_bfloat16PSL_PKlPlN2at6native12_GLOBAL__N_18offset_tEEE10hipError_tPvRmT1_PNSt15iterator_traitsISZ_E10value_typeET2_T3_PNS10_IS15_E10value_typeET4_jRbjT5_S1B_jjP12ihipStream_tbEUljE_EEESW_SX_SY_S15_S19_S1B_T6_T7_T9_mT8_S1D_bDpT10_ENKUlT_T0_E_clISt17integral_constantIbLb0EES1P_IbLb1EEEEDaS1L_S1M_EUlS1L_E_NS1_11comp_targetILNS1_3genE2ELNS1_11target_archE906ELNS1_3gpuE6ELNS1_3repE0EEENS1_30default_config_static_selectorELNS0_4arch9wavefront6targetE1EEEvSZ_.kd
    .uniform_work_group_size: 1
    .uses_dynamic_stack: false
    .vgpr_count:     71
    .vgpr_spill_count: 0
    .wavefront_size: 64
  - .args:
      - .offset:         0
        .size:           152
        .value_kind:     by_value
    .group_segment_fixed_size: 0
    .kernarg_segment_align: 8
    .kernarg_segment_size: 152
    .language:       OpenCL C
    .language_version:
      - 2
      - 0
    .max_flat_workgroup_size: 256
    .name:           _ZN7rocprim17ROCPRIM_400000_NS6detail17trampoline_kernelINS0_13select_configILj256ELj13ELNS0_17block_load_methodE3ELS4_3ELS4_3ELNS0_20block_scan_algorithmE0ELj4294967295EEENS1_25partition_config_selectorILNS1_17partition_subalgoE3EjNS0_10empty_typeEbEEZZNS1_14partition_implILS8_3ELb0ES6_jNS0_17counting_iteratorIjlEEPS9_SE_NS0_5tupleIJPjSE_EEENSF_IJSE_SE_EEES9_SG_JZNS1_25segmented_radix_sort_implINS0_14default_configELb0EPK12hip_bfloat16PSL_PKlPlN2at6native12_GLOBAL__N_18offset_tEEE10hipError_tPvRmT1_PNSt15iterator_traitsISZ_E10value_typeET2_T3_PNS10_IS15_E10value_typeET4_jRbjT5_S1B_jjP12ihipStream_tbEUljE_EEESW_SX_SY_S15_S19_S1B_T6_T7_T9_mT8_S1D_bDpT10_ENKUlT_T0_E_clISt17integral_constantIbLb0EES1P_IbLb1EEEEDaS1L_S1M_EUlS1L_E_NS1_11comp_targetILNS1_3genE10ELNS1_11target_archE1200ELNS1_3gpuE4ELNS1_3repE0EEENS1_30default_config_static_selectorELNS0_4arch9wavefront6targetE1EEEvSZ_
    .private_segment_fixed_size: 0
    .sgpr_count:     4
    .sgpr_spill_count: 0
    .symbol:         _ZN7rocprim17ROCPRIM_400000_NS6detail17trampoline_kernelINS0_13select_configILj256ELj13ELNS0_17block_load_methodE3ELS4_3ELS4_3ELNS0_20block_scan_algorithmE0ELj4294967295EEENS1_25partition_config_selectorILNS1_17partition_subalgoE3EjNS0_10empty_typeEbEEZZNS1_14partition_implILS8_3ELb0ES6_jNS0_17counting_iteratorIjlEEPS9_SE_NS0_5tupleIJPjSE_EEENSF_IJSE_SE_EEES9_SG_JZNS1_25segmented_radix_sort_implINS0_14default_configELb0EPK12hip_bfloat16PSL_PKlPlN2at6native12_GLOBAL__N_18offset_tEEE10hipError_tPvRmT1_PNSt15iterator_traitsISZ_E10value_typeET2_T3_PNS10_IS15_E10value_typeET4_jRbjT5_S1B_jjP12ihipStream_tbEUljE_EEESW_SX_SY_S15_S19_S1B_T6_T7_T9_mT8_S1D_bDpT10_ENKUlT_T0_E_clISt17integral_constantIbLb0EES1P_IbLb1EEEEDaS1L_S1M_EUlS1L_E_NS1_11comp_targetILNS1_3genE10ELNS1_11target_archE1200ELNS1_3gpuE4ELNS1_3repE0EEENS1_30default_config_static_selectorELNS0_4arch9wavefront6targetE1EEEvSZ_.kd
    .uniform_work_group_size: 1
    .uses_dynamic_stack: false
    .vgpr_count:     0
    .vgpr_spill_count: 0
    .wavefront_size: 64
  - .args:
      - .offset:         0
        .size:           152
        .value_kind:     by_value
    .group_segment_fixed_size: 0
    .kernarg_segment_align: 8
    .kernarg_segment_size: 152
    .language:       OpenCL C
    .language_version:
      - 2
      - 0
    .max_flat_workgroup_size: 256
    .name:           _ZN7rocprim17ROCPRIM_400000_NS6detail17trampoline_kernelINS0_13select_configILj256ELj13ELNS0_17block_load_methodE3ELS4_3ELS4_3ELNS0_20block_scan_algorithmE0ELj4294967295EEENS1_25partition_config_selectorILNS1_17partition_subalgoE3EjNS0_10empty_typeEbEEZZNS1_14partition_implILS8_3ELb0ES6_jNS0_17counting_iteratorIjlEEPS9_SE_NS0_5tupleIJPjSE_EEENSF_IJSE_SE_EEES9_SG_JZNS1_25segmented_radix_sort_implINS0_14default_configELb0EPK12hip_bfloat16PSL_PKlPlN2at6native12_GLOBAL__N_18offset_tEEE10hipError_tPvRmT1_PNSt15iterator_traitsISZ_E10value_typeET2_T3_PNS10_IS15_E10value_typeET4_jRbjT5_S1B_jjP12ihipStream_tbEUljE_EEESW_SX_SY_S15_S19_S1B_T6_T7_T9_mT8_S1D_bDpT10_ENKUlT_T0_E_clISt17integral_constantIbLb0EES1P_IbLb1EEEEDaS1L_S1M_EUlS1L_E_NS1_11comp_targetILNS1_3genE9ELNS1_11target_archE1100ELNS1_3gpuE3ELNS1_3repE0EEENS1_30default_config_static_selectorELNS0_4arch9wavefront6targetE1EEEvSZ_
    .private_segment_fixed_size: 0
    .sgpr_count:     4
    .sgpr_spill_count: 0
    .symbol:         _ZN7rocprim17ROCPRIM_400000_NS6detail17trampoline_kernelINS0_13select_configILj256ELj13ELNS0_17block_load_methodE3ELS4_3ELS4_3ELNS0_20block_scan_algorithmE0ELj4294967295EEENS1_25partition_config_selectorILNS1_17partition_subalgoE3EjNS0_10empty_typeEbEEZZNS1_14partition_implILS8_3ELb0ES6_jNS0_17counting_iteratorIjlEEPS9_SE_NS0_5tupleIJPjSE_EEENSF_IJSE_SE_EEES9_SG_JZNS1_25segmented_radix_sort_implINS0_14default_configELb0EPK12hip_bfloat16PSL_PKlPlN2at6native12_GLOBAL__N_18offset_tEEE10hipError_tPvRmT1_PNSt15iterator_traitsISZ_E10value_typeET2_T3_PNS10_IS15_E10value_typeET4_jRbjT5_S1B_jjP12ihipStream_tbEUljE_EEESW_SX_SY_S15_S19_S1B_T6_T7_T9_mT8_S1D_bDpT10_ENKUlT_T0_E_clISt17integral_constantIbLb0EES1P_IbLb1EEEEDaS1L_S1M_EUlS1L_E_NS1_11comp_targetILNS1_3genE9ELNS1_11target_archE1100ELNS1_3gpuE3ELNS1_3repE0EEENS1_30default_config_static_selectorELNS0_4arch9wavefront6targetE1EEEvSZ_.kd
    .uniform_work_group_size: 1
    .uses_dynamic_stack: false
    .vgpr_count:     0
    .vgpr_spill_count: 0
    .wavefront_size: 64
  - .args:
      - .offset:         0
        .size:           152
        .value_kind:     by_value
    .group_segment_fixed_size: 0
    .kernarg_segment_align: 8
    .kernarg_segment_size: 152
    .language:       OpenCL C
    .language_version:
      - 2
      - 0
    .max_flat_workgroup_size: 256
    .name:           _ZN7rocprim17ROCPRIM_400000_NS6detail17trampoline_kernelINS0_13select_configILj256ELj13ELNS0_17block_load_methodE3ELS4_3ELS4_3ELNS0_20block_scan_algorithmE0ELj4294967295EEENS1_25partition_config_selectorILNS1_17partition_subalgoE3EjNS0_10empty_typeEbEEZZNS1_14partition_implILS8_3ELb0ES6_jNS0_17counting_iteratorIjlEEPS9_SE_NS0_5tupleIJPjSE_EEENSF_IJSE_SE_EEES9_SG_JZNS1_25segmented_radix_sort_implINS0_14default_configELb0EPK12hip_bfloat16PSL_PKlPlN2at6native12_GLOBAL__N_18offset_tEEE10hipError_tPvRmT1_PNSt15iterator_traitsISZ_E10value_typeET2_T3_PNS10_IS15_E10value_typeET4_jRbjT5_S1B_jjP12ihipStream_tbEUljE_EEESW_SX_SY_S15_S19_S1B_T6_T7_T9_mT8_S1D_bDpT10_ENKUlT_T0_E_clISt17integral_constantIbLb0EES1P_IbLb1EEEEDaS1L_S1M_EUlS1L_E_NS1_11comp_targetILNS1_3genE8ELNS1_11target_archE1030ELNS1_3gpuE2ELNS1_3repE0EEENS1_30default_config_static_selectorELNS0_4arch9wavefront6targetE1EEEvSZ_
    .private_segment_fixed_size: 0
    .sgpr_count:     4
    .sgpr_spill_count: 0
    .symbol:         _ZN7rocprim17ROCPRIM_400000_NS6detail17trampoline_kernelINS0_13select_configILj256ELj13ELNS0_17block_load_methodE3ELS4_3ELS4_3ELNS0_20block_scan_algorithmE0ELj4294967295EEENS1_25partition_config_selectorILNS1_17partition_subalgoE3EjNS0_10empty_typeEbEEZZNS1_14partition_implILS8_3ELb0ES6_jNS0_17counting_iteratorIjlEEPS9_SE_NS0_5tupleIJPjSE_EEENSF_IJSE_SE_EEES9_SG_JZNS1_25segmented_radix_sort_implINS0_14default_configELb0EPK12hip_bfloat16PSL_PKlPlN2at6native12_GLOBAL__N_18offset_tEEE10hipError_tPvRmT1_PNSt15iterator_traitsISZ_E10value_typeET2_T3_PNS10_IS15_E10value_typeET4_jRbjT5_S1B_jjP12ihipStream_tbEUljE_EEESW_SX_SY_S15_S19_S1B_T6_T7_T9_mT8_S1D_bDpT10_ENKUlT_T0_E_clISt17integral_constantIbLb0EES1P_IbLb1EEEEDaS1L_S1M_EUlS1L_E_NS1_11comp_targetILNS1_3genE8ELNS1_11target_archE1030ELNS1_3gpuE2ELNS1_3repE0EEENS1_30default_config_static_selectorELNS0_4arch9wavefront6targetE1EEEvSZ_.kd
    .uniform_work_group_size: 1
    .uses_dynamic_stack: false
    .vgpr_count:     0
    .vgpr_spill_count: 0
    .wavefront_size: 64
  - .args:
      - .offset:         0
        .size:           96
        .value_kind:     by_value
    .group_segment_fixed_size: 0
    .kernarg_segment_align: 8
    .kernarg_segment_size: 96
    .language:       OpenCL C
    .language_version:
      - 2
      - 0
    .max_flat_workgroup_size: 256
    .name:           _ZN7rocprim17ROCPRIM_400000_NS6detail17trampoline_kernelINS0_14default_configENS1_36segmented_radix_sort_config_selectorI12hip_bfloat16lEEZNS1_25segmented_radix_sort_implIS3_Lb0EPKS5_PS5_PKlPlN2at6native12_GLOBAL__N_18offset_tEEE10hipError_tPvRmT1_PNSt15iterator_traitsISL_E10value_typeET2_T3_PNSM_ISR_E10value_typeET4_jRbjT5_SX_jjP12ihipStream_tbEUlT_E_NS1_11comp_targetILNS1_3genE0ELNS1_11target_archE4294967295ELNS1_3gpuE0ELNS1_3repE0EEENS1_30default_config_static_selectorELNS0_4arch9wavefront6targetE1EEEvSL_
    .private_segment_fixed_size: 0
    .sgpr_count:     4
    .sgpr_spill_count: 0
    .symbol:         _ZN7rocprim17ROCPRIM_400000_NS6detail17trampoline_kernelINS0_14default_configENS1_36segmented_radix_sort_config_selectorI12hip_bfloat16lEEZNS1_25segmented_radix_sort_implIS3_Lb0EPKS5_PS5_PKlPlN2at6native12_GLOBAL__N_18offset_tEEE10hipError_tPvRmT1_PNSt15iterator_traitsISL_E10value_typeET2_T3_PNSM_ISR_E10value_typeET4_jRbjT5_SX_jjP12ihipStream_tbEUlT_E_NS1_11comp_targetILNS1_3genE0ELNS1_11target_archE4294967295ELNS1_3gpuE0ELNS1_3repE0EEENS1_30default_config_static_selectorELNS0_4arch9wavefront6targetE1EEEvSL_.kd
    .uniform_work_group_size: 1
    .uses_dynamic_stack: false
    .vgpr_count:     0
    .vgpr_spill_count: 0
    .wavefront_size: 64
  - .args:
      - .offset:         0
        .size:           96
        .value_kind:     by_value
    .group_segment_fixed_size: 0
    .kernarg_segment_align: 8
    .kernarg_segment_size: 96
    .language:       OpenCL C
    .language_version:
      - 2
      - 0
    .max_flat_workgroup_size: 256
    .name:           _ZN7rocprim17ROCPRIM_400000_NS6detail17trampoline_kernelINS0_14default_configENS1_36segmented_radix_sort_config_selectorI12hip_bfloat16lEEZNS1_25segmented_radix_sort_implIS3_Lb0EPKS5_PS5_PKlPlN2at6native12_GLOBAL__N_18offset_tEEE10hipError_tPvRmT1_PNSt15iterator_traitsISL_E10value_typeET2_T3_PNSM_ISR_E10value_typeET4_jRbjT5_SX_jjP12ihipStream_tbEUlT_E_NS1_11comp_targetILNS1_3genE5ELNS1_11target_archE942ELNS1_3gpuE9ELNS1_3repE0EEENS1_30default_config_static_selectorELNS0_4arch9wavefront6targetE1EEEvSL_
    .private_segment_fixed_size: 0
    .sgpr_count:     4
    .sgpr_spill_count: 0
    .symbol:         _ZN7rocprim17ROCPRIM_400000_NS6detail17trampoline_kernelINS0_14default_configENS1_36segmented_radix_sort_config_selectorI12hip_bfloat16lEEZNS1_25segmented_radix_sort_implIS3_Lb0EPKS5_PS5_PKlPlN2at6native12_GLOBAL__N_18offset_tEEE10hipError_tPvRmT1_PNSt15iterator_traitsISL_E10value_typeET2_T3_PNSM_ISR_E10value_typeET4_jRbjT5_SX_jjP12ihipStream_tbEUlT_E_NS1_11comp_targetILNS1_3genE5ELNS1_11target_archE942ELNS1_3gpuE9ELNS1_3repE0EEENS1_30default_config_static_selectorELNS0_4arch9wavefront6targetE1EEEvSL_.kd
    .uniform_work_group_size: 1
    .uses_dynamic_stack: false
    .vgpr_count:     0
    .vgpr_spill_count: 0
    .wavefront_size: 64
  - .args:
      - .offset:         0
        .size:           96
        .value_kind:     by_value
    .group_segment_fixed_size: 0
    .kernarg_segment_align: 8
    .kernarg_segment_size: 96
    .language:       OpenCL C
    .language_version:
      - 2
      - 0
    .max_flat_workgroup_size: 256
    .name:           _ZN7rocprim17ROCPRIM_400000_NS6detail17trampoline_kernelINS0_14default_configENS1_36segmented_radix_sort_config_selectorI12hip_bfloat16lEEZNS1_25segmented_radix_sort_implIS3_Lb0EPKS5_PS5_PKlPlN2at6native12_GLOBAL__N_18offset_tEEE10hipError_tPvRmT1_PNSt15iterator_traitsISL_E10value_typeET2_T3_PNSM_ISR_E10value_typeET4_jRbjT5_SX_jjP12ihipStream_tbEUlT_E_NS1_11comp_targetILNS1_3genE4ELNS1_11target_archE910ELNS1_3gpuE8ELNS1_3repE0EEENS1_30default_config_static_selectorELNS0_4arch9wavefront6targetE1EEEvSL_
    .private_segment_fixed_size: 0
    .sgpr_count:     4
    .sgpr_spill_count: 0
    .symbol:         _ZN7rocprim17ROCPRIM_400000_NS6detail17trampoline_kernelINS0_14default_configENS1_36segmented_radix_sort_config_selectorI12hip_bfloat16lEEZNS1_25segmented_radix_sort_implIS3_Lb0EPKS5_PS5_PKlPlN2at6native12_GLOBAL__N_18offset_tEEE10hipError_tPvRmT1_PNSt15iterator_traitsISL_E10value_typeET2_T3_PNSM_ISR_E10value_typeET4_jRbjT5_SX_jjP12ihipStream_tbEUlT_E_NS1_11comp_targetILNS1_3genE4ELNS1_11target_archE910ELNS1_3gpuE8ELNS1_3repE0EEENS1_30default_config_static_selectorELNS0_4arch9wavefront6targetE1EEEvSL_.kd
    .uniform_work_group_size: 1
    .uses_dynamic_stack: false
    .vgpr_count:     0
    .vgpr_spill_count: 0
    .wavefront_size: 64
  - .args:
      - .offset:         0
        .size:           96
        .value_kind:     by_value
    .group_segment_fixed_size: 0
    .kernarg_segment_align: 8
    .kernarg_segment_size: 96
    .language:       OpenCL C
    .language_version:
      - 2
      - 0
    .max_flat_workgroup_size: 256
    .name:           _ZN7rocprim17ROCPRIM_400000_NS6detail17trampoline_kernelINS0_14default_configENS1_36segmented_radix_sort_config_selectorI12hip_bfloat16lEEZNS1_25segmented_radix_sort_implIS3_Lb0EPKS5_PS5_PKlPlN2at6native12_GLOBAL__N_18offset_tEEE10hipError_tPvRmT1_PNSt15iterator_traitsISL_E10value_typeET2_T3_PNSM_ISR_E10value_typeET4_jRbjT5_SX_jjP12ihipStream_tbEUlT_E_NS1_11comp_targetILNS1_3genE3ELNS1_11target_archE908ELNS1_3gpuE7ELNS1_3repE0EEENS1_30default_config_static_selectorELNS0_4arch9wavefront6targetE1EEEvSL_
    .private_segment_fixed_size: 0
    .sgpr_count:     4
    .sgpr_spill_count: 0
    .symbol:         _ZN7rocprim17ROCPRIM_400000_NS6detail17trampoline_kernelINS0_14default_configENS1_36segmented_radix_sort_config_selectorI12hip_bfloat16lEEZNS1_25segmented_radix_sort_implIS3_Lb0EPKS5_PS5_PKlPlN2at6native12_GLOBAL__N_18offset_tEEE10hipError_tPvRmT1_PNSt15iterator_traitsISL_E10value_typeET2_T3_PNSM_ISR_E10value_typeET4_jRbjT5_SX_jjP12ihipStream_tbEUlT_E_NS1_11comp_targetILNS1_3genE3ELNS1_11target_archE908ELNS1_3gpuE7ELNS1_3repE0EEENS1_30default_config_static_selectorELNS0_4arch9wavefront6targetE1EEEvSL_.kd
    .uniform_work_group_size: 1
    .uses_dynamic_stack: false
    .vgpr_count:     0
    .vgpr_spill_count: 0
    .wavefront_size: 64
  - .args:
      - .offset:         0
        .size:           96
        .value_kind:     by_value
      - .offset:         96
        .size:           4
        .value_kind:     hidden_block_count_x
      - .offset:         100
        .size:           4
        .value_kind:     hidden_block_count_y
      - .offset:         104
        .size:           4
        .value_kind:     hidden_block_count_z
      - .offset:         108
        .size:           2
        .value_kind:     hidden_group_size_x
      - .offset:         110
        .size:           2
        .value_kind:     hidden_group_size_y
      - .offset:         112
        .size:           2
        .value_kind:     hidden_group_size_z
      - .offset:         114
        .size:           2
        .value_kind:     hidden_remainder_x
      - .offset:         116
        .size:           2
        .value_kind:     hidden_remainder_y
      - .offset:         118
        .size:           2
        .value_kind:     hidden_remainder_z
      - .offset:         136
        .size:           8
        .value_kind:     hidden_global_offset_x
      - .offset:         144
        .size:           8
        .value_kind:     hidden_global_offset_y
      - .offset:         152
        .size:           8
        .value_kind:     hidden_global_offset_z
      - .offset:         160
        .size:           2
        .value_kind:     hidden_grid_dims
    .group_segment_fixed_size: 17424
    .kernarg_segment_align: 8
    .kernarg_segment_size: 352
    .language:       OpenCL C
    .language_version:
      - 2
      - 0
    .max_flat_workgroup_size: 256
    .name:           _ZN7rocprim17ROCPRIM_400000_NS6detail17trampoline_kernelINS0_14default_configENS1_36segmented_radix_sort_config_selectorI12hip_bfloat16lEEZNS1_25segmented_radix_sort_implIS3_Lb0EPKS5_PS5_PKlPlN2at6native12_GLOBAL__N_18offset_tEEE10hipError_tPvRmT1_PNSt15iterator_traitsISL_E10value_typeET2_T3_PNSM_ISR_E10value_typeET4_jRbjT5_SX_jjP12ihipStream_tbEUlT_E_NS1_11comp_targetILNS1_3genE2ELNS1_11target_archE906ELNS1_3gpuE6ELNS1_3repE0EEENS1_30default_config_static_selectorELNS0_4arch9wavefront6targetE1EEEvSL_
    .private_segment_fixed_size: 0
    .sgpr_count:     86
    .sgpr_spill_count: 0
    .symbol:         _ZN7rocprim17ROCPRIM_400000_NS6detail17trampoline_kernelINS0_14default_configENS1_36segmented_radix_sort_config_selectorI12hip_bfloat16lEEZNS1_25segmented_radix_sort_implIS3_Lb0EPKS5_PS5_PKlPlN2at6native12_GLOBAL__N_18offset_tEEE10hipError_tPvRmT1_PNSt15iterator_traitsISL_E10value_typeET2_T3_PNSM_ISR_E10value_typeET4_jRbjT5_SX_jjP12ihipStream_tbEUlT_E_NS1_11comp_targetILNS1_3genE2ELNS1_11target_archE906ELNS1_3gpuE6ELNS1_3repE0EEENS1_30default_config_static_selectorELNS0_4arch9wavefront6targetE1EEEvSL_.kd
    .uniform_work_group_size: 1
    .uses_dynamic_stack: false
    .vgpr_count:     195
    .vgpr_spill_count: 0
    .wavefront_size: 64
  - .args:
      - .offset:         0
        .size:           96
        .value_kind:     by_value
    .group_segment_fixed_size: 0
    .kernarg_segment_align: 8
    .kernarg_segment_size: 96
    .language:       OpenCL C
    .language_version:
      - 2
      - 0
    .max_flat_workgroup_size: 256
    .name:           _ZN7rocprim17ROCPRIM_400000_NS6detail17trampoline_kernelINS0_14default_configENS1_36segmented_radix_sort_config_selectorI12hip_bfloat16lEEZNS1_25segmented_radix_sort_implIS3_Lb0EPKS5_PS5_PKlPlN2at6native12_GLOBAL__N_18offset_tEEE10hipError_tPvRmT1_PNSt15iterator_traitsISL_E10value_typeET2_T3_PNSM_ISR_E10value_typeET4_jRbjT5_SX_jjP12ihipStream_tbEUlT_E_NS1_11comp_targetILNS1_3genE10ELNS1_11target_archE1201ELNS1_3gpuE5ELNS1_3repE0EEENS1_30default_config_static_selectorELNS0_4arch9wavefront6targetE1EEEvSL_
    .private_segment_fixed_size: 0
    .sgpr_count:     4
    .sgpr_spill_count: 0
    .symbol:         _ZN7rocprim17ROCPRIM_400000_NS6detail17trampoline_kernelINS0_14default_configENS1_36segmented_radix_sort_config_selectorI12hip_bfloat16lEEZNS1_25segmented_radix_sort_implIS3_Lb0EPKS5_PS5_PKlPlN2at6native12_GLOBAL__N_18offset_tEEE10hipError_tPvRmT1_PNSt15iterator_traitsISL_E10value_typeET2_T3_PNSM_ISR_E10value_typeET4_jRbjT5_SX_jjP12ihipStream_tbEUlT_E_NS1_11comp_targetILNS1_3genE10ELNS1_11target_archE1201ELNS1_3gpuE5ELNS1_3repE0EEENS1_30default_config_static_selectorELNS0_4arch9wavefront6targetE1EEEvSL_.kd
    .uniform_work_group_size: 1
    .uses_dynamic_stack: false
    .vgpr_count:     0
    .vgpr_spill_count: 0
    .wavefront_size: 64
  - .args:
      - .offset:         0
        .size:           96
        .value_kind:     by_value
    .group_segment_fixed_size: 0
    .kernarg_segment_align: 8
    .kernarg_segment_size: 96
    .language:       OpenCL C
    .language_version:
      - 2
      - 0
    .max_flat_workgroup_size: 128
    .name:           _ZN7rocprim17ROCPRIM_400000_NS6detail17trampoline_kernelINS0_14default_configENS1_36segmented_radix_sort_config_selectorI12hip_bfloat16lEEZNS1_25segmented_radix_sort_implIS3_Lb0EPKS5_PS5_PKlPlN2at6native12_GLOBAL__N_18offset_tEEE10hipError_tPvRmT1_PNSt15iterator_traitsISL_E10value_typeET2_T3_PNSM_ISR_E10value_typeET4_jRbjT5_SX_jjP12ihipStream_tbEUlT_E_NS1_11comp_targetILNS1_3genE10ELNS1_11target_archE1200ELNS1_3gpuE4ELNS1_3repE0EEENS1_30default_config_static_selectorELNS0_4arch9wavefront6targetE1EEEvSL_
    .private_segment_fixed_size: 0
    .sgpr_count:     4
    .sgpr_spill_count: 0
    .symbol:         _ZN7rocprim17ROCPRIM_400000_NS6detail17trampoline_kernelINS0_14default_configENS1_36segmented_radix_sort_config_selectorI12hip_bfloat16lEEZNS1_25segmented_radix_sort_implIS3_Lb0EPKS5_PS5_PKlPlN2at6native12_GLOBAL__N_18offset_tEEE10hipError_tPvRmT1_PNSt15iterator_traitsISL_E10value_typeET2_T3_PNSM_ISR_E10value_typeET4_jRbjT5_SX_jjP12ihipStream_tbEUlT_E_NS1_11comp_targetILNS1_3genE10ELNS1_11target_archE1200ELNS1_3gpuE4ELNS1_3repE0EEENS1_30default_config_static_selectorELNS0_4arch9wavefront6targetE1EEEvSL_.kd
    .uniform_work_group_size: 1
    .uses_dynamic_stack: false
    .vgpr_count:     0
    .vgpr_spill_count: 0
    .wavefront_size: 64
  - .args:
      - .offset:         0
        .size:           96
        .value_kind:     by_value
    .group_segment_fixed_size: 0
    .kernarg_segment_align: 8
    .kernarg_segment_size: 96
    .language:       OpenCL C
    .language_version:
      - 2
      - 0
    .max_flat_workgroup_size: 256
    .name:           _ZN7rocprim17ROCPRIM_400000_NS6detail17trampoline_kernelINS0_14default_configENS1_36segmented_radix_sort_config_selectorI12hip_bfloat16lEEZNS1_25segmented_radix_sort_implIS3_Lb0EPKS5_PS5_PKlPlN2at6native12_GLOBAL__N_18offset_tEEE10hipError_tPvRmT1_PNSt15iterator_traitsISL_E10value_typeET2_T3_PNSM_ISR_E10value_typeET4_jRbjT5_SX_jjP12ihipStream_tbEUlT_E_NS1_11comp_targetILNS1_3genE9ELNS1_11target_archE1100ELNS1_3gpuE3ELNS1_3repE0EEENS1_30default_config_static_selectorELNS0_4arch9wavefront6targetE1EEEvSL_
    .private_segment_fixed_size: 0
    .sgpr_count:     4
    .sgpr_spill_count: 0
    .symbol:         _ZN7rocprim17ROCPRIM_400000_NS6detail17trampoline_kernelINS0_14default_configENS1_36segmented_radix_sort_config_selectorI12hip_bfloat16lEEZNS1_25segmented_radix_sort_implIS3_Lb0EPKS5_PS5_PKlPlN2at6native12_GLOBAL__N_18offset_tEEE10hipError_tPvRmT1_PNSt15iterator_traitsISL_E10value_typeET2_T3_PNSM_ISR_E10value_typeET4_jRbjT5_SX_jjP12ihipStream_tbEUlT_E_NS1_11comp_targetILNS1_3genE9ELNS1_11target_archE1100ELNS1_3gpuE3ELNS1_3repE0EEENS1_30default_config_static_selectorELNS0_4arch9wavefront6targetE1EEEvSL_.kd
    .uniform_work_group_size: 1
    .uses_dynamic_stack: false
    .vgpr_count:     0
    .vgpr_spill_count: 0
    .wavefront_size: 64
  - .args:
      - .offset:         0
        .size:           96
        .value_kind:     by_value
    .group_segment_fixed_size: 0
    .kernarg_segment_align: 8
    .kernarg_segment_size: 96
    .language:       OpenCL C
    .language_version:
      - 2
      - 0
    .max_flat_workgroup_size: 256
    .name:           _ZN7rocprim17ROCPRIM_400000_NS6detail17trampoline_kernelINS0_14default_configENS1_36segmented_radix_sort_config_selectorI12hip_bfloat16lEEZNS1_25segmented_radix_sort_implIS3_Lb0EPKS5_PS5_PKlPlN2at6native12_GLOBAL__N_18offset_tEEE10hipError_tPvRmT1_PNSt15iterator_traitsISL_E10value_typeET2_T3_PNSM_ISR_E10value_typeET4_jRbjT5_SX_jjP12ihipStream_tbEUlT_E_NS1_11comp_targetILNS1_3genE8ELNS1_11target_archE1030ELNS1_3gpuE2ELNS1_3repE0EEENS1_30default_config_static_selectorELNS0_4arch9wavefront6targetE1EEEvSL_
    .private_segment_fixed_size: 0
    .sgpr_count:     4
    .sgpr_spill_count: 0
    .symbol:         _ZN7rocprim17ROCPRIM_400000_NS6detail17trampoline_kernelINS0_14default_configENS1_36segmented_radix_sort_config_selectorI12hip_bfloat16lEEZNS1_25segmented_radix_sort_implIS3_Lb0EPKS5_PS5_PKlPlN2at6native12_GLOBAL__N_18offset_tEEE10hipError_tPvRmT1_PNSt15iterator_traitsISL_E10value_typeET2_T3_PNSM_ISR_E10value_typeET4_jRbjT5_SX_jjP12ihipStream_tbEUlT_E_NS1_11comp_targetILNS1_3genE8ELNS1_11target_archE1030ELNS1_3gpuE2ELNS1_3repE0EEENS1_30default_config_static_selectorELNS0_4arch9wavefront6targetE1EEEvSL_.kd
    .uniform_work_group_size: 1
    .uses_dynamic_stack: false
    .vgpr_count:     0
    .vgpr_spill_count: 0
    .wavefront_size: 64
  - .args:
      - .offset:         0
        .size:           88
        .value_kind:     by_value
    .group_segment_fixed_size: 0
    .kernarg_segment_align: 8
    .kernarg_segment_size: 88
    .language:       OpenCL C
    .language_version:
      - 2
      - 0
    .max_flat_workgroup_size: 256
    .name:           _ZN7rocprim17ROCPRIM_400000_NS6detail17trampoline_kernelINS0_14default_configENS1_36segmented_radix_sort_config_selectorI12hip_bfloat16lEEZNS1_25segmented_radix_sort_implIS3_Lb0EPKS5_PS5_PKlPlN2at6native12_GLOBAL__N_18offset_tEEE10hipError_tPvRmT1_PNSt15iterator_traitsISL_E10value_typeET2_T3_PNSM_ISR_E10value_typeET4_jRbjT5_SX_jjP12ihipStream_tbEUlT_E0_NS1_11comp_targetILNS1_3genE0ELNS1_11target_archE4294967295ELNS1_3gpuE0ELNS1_3repE0EEENS1_60segmented_radix_sort_warp_sort_medium_config_static_selectorELNS0_4arch9wavefront6targetE1EEEvSL_
    .private_segment_fixed_size: 0
    .sgpr_count:     4
    .sgpr_spill_count: 0
    .symbol:         _ZN7rocprim17ROCPRIM_400000_NS6detail17trampoline_kernelINS0_14default_configENS1_36segmented_radix_sort_config_selectorI12hip_bfloat16lEEZNS1_25segmented_radix_sort_implIS3_Lb0EPKS5_PS5_PKlPlN2at6native12_GLOBAL__N_18offset_tEEE10hipError_tPvRmT1_PNSt15iterator_traitsISL_E10value_typeET2_T3_PNSM_ISR_E10value_typeET4_jRbjT5_SX_jjP12ihipStream_tbEUlT_E0_NS1_11comp_targetILNS1_3genE0ELNS1_11target_archE4294967295ELNS1_3gpuE0ELNS1_3repE0EEENS1_60segmented_radix_sort_warp_sort_medium_config_static_selectorELNS0_4arch9wavefront6targetE1EEEvSL_.kd
    .uniform_work_group_size: 1
    .uses_dynamic_stack: false
    .vgpr_count:     0
    .vgpr_spill_count: 0
    .wavefront_size: 64
  - .args:
      - .offset:         0
        .size:           88
        .value_kind:     by_value
    .group_segment_fixed_size: 0
    .kernarg_segment_align: 8
    .kernarg_segment_size: 88
    .language:       OpenCL C
    .language_version:
      - 2
      - 0
    .max_flat_workgroup_size: 256
    .name:           _ZN7rocprim17ROCPRIM_400000_NS6detail17trampoline_kernelINS0_14default_configENS1_36segmented_radix_sort_config_selectorI12hip_bfloat16lEEZNS1_25segmented_radix_sort_implIS3_Lb0EPKS5_PS5_PKlPlN2at6native12_GLOBAL__N_18offset_tEEE10hipError_tPvRmT1_PNSt15iterator_traitsISL_E10value_typeET2_T3_PNSM_ISR_E10value_typeET4_jRbjT5_SX_jjP12ihipStream_tbEUlT_E0_NS1_11comp_targetILNS1_3genE5ELNS1_11target_archE942ELNS1_3gpuE9ELNS1_3repE0EEENS1_60segmented_radix_sort_warp_sort_medium_config_static_selectorELNS0_4arch9wavefront6targetE1EEEvSL_
    .private_segment_fixed_size: 0
    .sgpr_count:     4
    .sgpr_spill_count: 0
    .symbol:         _ZN7rocprim17ROCPRIM_400000_NS6detail17trampoline_kernelINS0_14default_configENS1_36segmented_radix_sort_config_selectorI12hip_bfloat16lEEZNS1_25segmented_radix_sort_implIS3_Lb0EPKS5_PS5_PKlPlN2at6native12_GLOBAL__N_18offset_tEEE10hipError_tPvRmT1_PNSt15iterator_traitsISL_E10value_typeET2_T3_PNSM_ISR_E10value_typeET4_jRbjT5_SX_jjP12ihipStream_tbEUlT_E0_NS1_11comp_targetILNS1_3genE5ELNS1_11target_archE942ELNS1_3gpuE9ELNS1_3repE0EEENS1_60segmented_radix_sort_warp_sort_medium_config_static_selectorELNS0_4arch9wavefront6targetE1EEEvSL_.kd
    .uniform_work_group_size: 1
    .uses_dynamic_stack: false
    .vgpr_count:     0
    .vgpr_spill_count: 0
    .wavefront_size: 64
  - .args:
      - .offset:         0
        .size:           88
        .value_kind:     by_value
    .group_segment_fixed_size: 0
    .kernarg_segment_align: 8
    .kernarg_segment_size: 88
    .language:       OpenCL C
    .language_version:
      - 2
      - 0
    .max_flat_workgroup_size: 256
    .name:           _ZN7rocprim17ROCPRIM_400000_NS6detail17trampoline_kernelINS0_14default_configENS1_36segmented_radix_sort_config_selectorI12hip_bfloat16lEEZNS1_25segmented_radix_sort_implIS3_Lb0EPKS5_PS5_PKlPlN2at6native12_GLOBAL__N_18offset_tEEE10hipError_tPvRmT1_PNSt15iterator_traitsISL_E10value_typeET2_T3_PNSM_ISR_E10value_typeET4_jRbjT5_SX_jjP12ihipStream_tbEUlT_E0_NS1_11comp_targetILNS1_3genE4ELNS1_11target_archE910ELNS1_3gpuE8ELNS1_3repE0EEENS1_60segmented_radix_sort_warp_sort_medium_config_static_selectorELNS0_4arch9wavefront6targetE1EEEvSL_
    .private_segment_fixed_size: 0
    .sgpr_count:     4
    .sgpr_spill_count: 0
    .symbol:         _ZN7rocprim17ROCPRIM_400000_NS6detail17trampoline_kernelINS0_14default_configENS1_36segmented_radix_sort_config_selectorI12hip_bfloat16lEEZNS1_25segmented_radix_sort_implIS3_Lb0EPKS5_PS5_PKlPlN2at6native12_GLOBAL__N_18offset_tEEE10hipError_tPvRmT1_PNSt15iterator_traitsISL_E10value_typeET2_T3_PNSM_ISR_E10value_typeET4_jRbjT5_SX_jjP12ihipStream_tbEUlT_E0_NS1_11comp_targetILNS1_3genE4ELNS1_11target_archE910ELNS1_3gpuE8ELNS1_3repE0EEENS1_60segmented_radix_sort_warp_sort_medium_config_static_selectorELNS0_4arch9wavefront6targetE1EEEvSL_.kd
    .uniform_work_group_size: 1
    .uses_dynamic_stack: false
    .vgpr_count:     0
    .vgpr_spill_count: 0
    .wavefront_size: 64
  - .args:
      - .offset:         0
        .size:           88
        .value_kind:     by_value
    .group_segment_fixed_size: 0
    .kernarg_segment_align: 8
    .kernarg_segment_size: 88
    .language:       OpenCL C
    .language_version:
      - 2
      - 0
    .max_flat_workgroup_size: 256
    .name:           _ZN7rocprim17ROCPRIM_400000_NS6detail17trampoline_kernelINS0_14default_configENS1_36segmented_radix_sort_config_selectorI12hip_bfloat16lEEZNS1_25segmented_radix_sort_implIS3_Lb0EPKS5_PS5_PKlPlN2at6native12_GLOBAL__N_18offset_tEEE10hipError_tPvRmT1_PNSt15iterator_traitsISL_E10value_typeET2_T3_PNSM_ISR_E10value_typeET4_jRbjT5_SX_jjP12ihipStream_tbEUlT_E0_NS1_11comp_targetILNS1_3genE3ELNS1_11target_archE908ELNS1_3gpuE7ELNS1_3repE0EEENS1_60segmented_radix_sort_warp_sort_medium_config_static_selectorELNS0_4arch9wavefront6targetE1EEEvSL_
    .private_segment_fixed_size: 0
    .sgpr_count:     4
    .sgpr_spill_count: 0
    .symbol:         _ZN7rocprim17ROCPRIM_400000_NS6detail17trampoline_kernelINS0_14default_configENS1_36segmented_radix_sort_config_selectorI12hip_bfloat16lEEZNS1_25segmented_radix_sort_implIS3_Lb0EPKS5_PS5_PKlPlN2at6native12_GLOBAL__N_18offset_tEEE10hipError_tPvRmT1_PNSt15iterator_traitsISL_E10value_typeET2_T3_PNSM_ISR_E10value_typeET4_jRbjT5_SX_jjP12ihipStream_tbEUlT_E0_NS1_11comp_targetILNS1_3genE3ELNS1_11target_archE908ELNS1_3gpuE7ELNS1_3repE0EEENS1_60segmented_radix_sort_warp_sort_medium_config_static_selectorELNS0_4arch9wavefront6targetE1EEEvSL_.kd
    .uniform_work_group_size: 1
    .uses_dynamic_stack: false
    .vgpr_count:     0
    .vgpr_spill_count: 0
    .wavefront_size: 64
  - .args:
      - .offset:         0
        .size:           88
        .value_kind:     by_value
      - .offset:         88
        .size:           4
        .value_kind:     hidden_block_count_x
      - .offset:         92
        .size:           4
        .value_kind:     hidden_block_count_y
      - .offset:         96
        .size:           4
        .value_kind:     hidden_block_count_z
      - .offset:         100
        .size:           2
        .value_kind:     hidden_group_size_x
      - .offset:         102
        .size:           2
        .value_kind:     hidden_group_size_y
      - .offset:         104
        .size:           2
        .value_kind:     hidden_group_size_z
      - .offset:         106
        .size:           2
        .value_kind:     hidden_remainder_x
      - .offset:         108
        .size:           2
        .value_kind:     hidden_remainder_y
      - .offset:         110
        .size:           2
        .value_kind:     hidden_remainder_z
      - .offset:         128
        .size:           8
        .value_kind:     hidden_global_offset_x
      - .offset:         136
        .size:           8
        .value_kind:     hidden_global_offset_y
      - .offset:         144
        .size:           8
        .value_kind:     hidden_global_offset_z
      - .offset:         152
        .size:           2
        .value_kind:     hidden_grid_dims
    .group_segment_fixed_size: 20480
    .kernarg_segment_align: 8
    .kernarg_segment_size: 344
    .language:       OpenCL C
    .language_version:
      - 2
      - 0
    .max_flat_workgroup_size: 256
    .name:           _ZN7rocprim17ROCPRIM_400000_NS6detail17trampoline_kernelINS0_14default_configENS1_36segmented_radix_sort_config_selectorI12hip_bfloat16lEEZNS1_25segmented_radix_sort_implIS3_Lb0EPKS5_PS5_PKlPlN2at6native12_GLOBAL__N_18offset_tEEE10hipError_tPvRmT1_PNSt15iterator_traitsISL_E10value_typeET2_T3_PNSM_ISR_E10value_typeET4_jRbjT5_SX_jjP12ihipStream_tbEUlT_E0_NS1_11comp_targetILNS1_3genE2ELNS1_11target_archE906ELNS1_3gpuE6ELNS1_3repE0EEENS1_60segmented_radix_sort_warp_sort_medium_config_static_selectorELNS0_4arch9wavefront6targetE1EEEvSL_
    .private_segment_fixed_size: 0
    .sgpr_count:     64
    .sgpr_spill_count: 0
    .symbol:         _ZN7rocprim17ROCPRIM_400000_NS6detail17trampoline_kernelINS0_14default_configENS1_36segmented_radix_sort_config_selectorI12hip_bfloat16lEEZNS1_25segmented_radix_sort_implIS3_Lb0EPKS5_PS5_PKlPlN2at6native12_GLOBAL__N_18offset_tEEE10hipError_tPvRmT1_PNSt15iterator_traitsISL_E10value_typeET2_T3_PNSM_ISR_E10value_typeET4_jRbjT5_SX_jjP12ihipStream_tbEUlT_E0_NS1_11comp_targetILNS1_3genE2ELNS1_11target_archE906ELNS1_3gpuE6ELNS1_3repE0EEENS1_60segmented_radix_sort_warp_sort_medium_config_static_selectorELNS0_4arch9wavefront6targetE1EEEvSL_.kd
    .uniform_work_group_size: 1
    .uses_dynamic_stack: false
    .vgpr_count:     71
    .vgpr_spill_count: 0
    .wavefront_size: 64
  - .args:
      - .offset:         0
        .size:           88
        .value_kind:     by_value
    .group_segment_fixed_size: 0
    .kernarg_segment_align: 8
    .kernarg_segment_size: 88
    .language:       OpenCL C
    .language_version:
      - 2
      - 0
    .max_flat_workgroup_size: 256
    .name:           _ZN7rocprim17ROCPRIM_400000_NS6detail17trampoline_kernelINS0_14default_configENS1_36segmented_radix_sort_config_selectorI12hip_bfloat16lEEZNS1_25segmented_radix_sort_implIS3_Lb0EPKS5_PS5_PKlPlN2at6native12_GLOBAL__N_18offset_tEEE10hipError_tPvRmT1_PNSt15iterator_traitsISL_E10value_typeET2_T3_PNSM_ISR_E10value_typeET4_jRbjT5_SX_jjP12ihipStream_tbEUlT_E0_NS1_11comp_targetILNS1_3genE10ELNS1_11target_archE1201ELNS1_3gpuE5ELNS1_3repE0EEENS1_60segmented_radix_sort_warp_sort_medium_config_static_selectorELNS0_4arch9wavefront6targetE1EEEvSL_
    .private_segment_fixed_size: 0
    .sgpr_count:     4
    .sgpr_spill_count: 0
    .symbol:         _ZN7rocprim17ROCPRIM_400000_NS6detail17trampoline_kernelINS0_14default_configENS1_36segmented_radix_sort_config_selectorI12hip_bfloat16lEEZNS1_25segmented_radix_sort_implIS3_Lb0EPKS5_PS5_PKlPlN2at6native12_GLOBAL__N_18offset_tEEE10hipError_tPvRmT1_PNSt15iterator_traitsISL_E10value_typeET2_T3_PNSM_ISR_E10value_typeET4_jRbjT5_SX_jjP12ihipStream_tbEUlT_E0_NS1_11comp_targetILNS1_3genE10ELNS1_11target_archE1201ELNS1_3gpuE5ELNS1_3repE0EEENS1_60segmented_radix_sort_warp_sort_medium_config_static_selectorELNS0_4arch9wavefront6targetE1EEEvSL_.kd
    .uniform_work_group_size: 1
    .uses_dynamic_stack: false
    .vgpr_count:     0
    .vgpr_spill_count: 0
    .wavefront_size: 64
  - .args:
      - .offset:         0
        .size:           88
        .value_kind:     by_value
    .group_segment_fixed_size: 0
    .kernarg_segment_align: 8
    .kernarg_segment_size: 88
    .language:       OpenCL C
    .language_version:
      - 2
      - 0
    .max_flat_workgroup_size: 256
    .name:           _ZN7rocprim17ROCPRIM_400000_NS6detail17trampoline_kernelINS0_14default_configENS1_36segmented_radix_sort_config_selectorI12hip_bfloat16lEEZNS1_25segmented_radix_sort_implIS3_Lb0EPKS5_PS5_PKlPlN2at6native12_GLOBAL__N_18offset_tEEE10hipError_tPvRmT1_PNSt15iterator_traitsISL_E10value_typeET2_T3_PNSM_ISR_E10value_typeET4_jRbjT5_SX_jjP12ihipStream_tbEUlT_E0_NS1_11comp_targetILNS1_3genE10ELNS1_11target_archE1200ELNS1_3gpuE4ELNS1_3repE0EEENS1_60segmented_radix_sort_warp_sort_medium_config_static_selectorELNS0_4arch9wavefront6targetE1EEEvSL_
    .private_segment_fixed_size: 0
    .sgpr_count:     4
    .sgpr_spill_count: 0
    .symbol:         _ZN7rocprim17ROCPRIM_400000_NS6detail17trampoline_kernelINS0_14default_configENS1_36segmented_radix_sort_config_selectorI12hip_bfloat16lEEZNS1_25segmented_radix_sort_implIS3_Lb0EPKS5_PS5_PKlPlN2at6native12_GLOBAL__N_18offset_tEEE10hipError_tPvRmT1_PNSt15iterator_traitsISL_E10value_typeET2_T3_PNSM_ISR_E10value_typeET4_jRbjT5_SX_jjP12ihipStream_tbEUlT_E0_NS1_11comp_targetILNS1_3genE10ELNS1_11target_archE1200ELNS1_3gpuE4ELNS1_3repE0EEENS1_60segmented_radix_sort_warp_sort_medium_config_static_selectorELNS0_4arch9wavefront6targetE1EEEvSL_.kd
    .uniform_work_group_size: 1
    .uses_dynamic_stack: false
    .vgpr_count:     0
    .vgpr_spill_count: 0
    .wavefront_size: 64
  - .args:
      - .offset:         0
        .size:           88
        .value_kind:     by_value
    .group_segment_fixed_size: 0
    .kernarg_segment_align: 8
    .kernarg_segment_size: 88
    .language:       OpenCL C
    .language_version:
      - 2
      - 0
    .max_flat_workgroup_size: 256
    .name:           _ZN7rocprim17ROCPRIM_400000_NS6detail17trampoline_kernelINS0_14default_configENS1_36segmented_radix_sort_config_selectorI12hip_bfloat16lEEZNS1_25segmented_radix_sort_implIS3_Lb0EPKS5_PS5_PKlPlN2at6native12_GLOBAL__N_18offset_tEEE10hipError_tPvRmT1_PNSt15iterator_traitsISL_E10value_typeET2_T3_PNSM_ISR_E10value_typeET4_jRbjT5_SX_jjP12ihipStream_tbEUlT_E0_NS1_11comp_targetILNS1_3genE9ELNS1_11target_archE1100ELNS1_3gpuE3ELNS1_3repE0EEENS1_60segmented_radix_sort_warp_sort_medium_config_static_selectorELNS0_4arch9wavefront6targetE1EEEvSL_
    .private_segment_fixed_size: 0
    .sgpr_count:     4
    .sgpr_spill_count: 0
    .symbol:         _ZN7rocprim17ROCPRIM_400000_NS6detail17trampoline_kernelINS0_14default_configENS1_36segmented_radix_sort_config_selectorI12hip_bfloat16lEEZNS1_25segmented_radix_sort_implIS3_Lb0EPKS5_PS5_PKlPlN2at6native12_GLOBAL__N_18offset_tEEE10hipError_tPvRmT1_PNSt15iterator_traitsISL_E10value_typeET2_T3_PNSM_ISR_E10value_typeET4_jRbjT5_SX_jjP12ihipStream_tbEUlT_E0_NS1_11comp_targetILNS1_3genE9ELNS1_11target_archE1100ELNS1_3gpuE3ELNS1_3repE0EEENS1_60segmented_radix_sort_warp_sort_medium_config_static_selectorELNS0_4arch9wavefront6targetE1EEEvSL_.kd
    .uniform_work_group_size: 1
    .uses_dynamic_stack: false
    .vgpr_count:     0
    .vgpr_spill_count: 0
    .wavefront_size: 64
  - .args:
      - .offset:         0
        .size:           88
        .value_kind:     by_value
    .group_segment_fixed_size: 0
    .kernarg_segment_align: 8
    .kernarg_segment_size: 88
    .language:       OpenCL C
    .language_version:
      - 2
      - 0
    .max_flat_workgroup_size: 256
    .name:           _ZN7rocprim17ROCPRIM_400000_NS6detail17trampoline_kernelINS0_14default_configENS1_36segmented_radix_sort_config_selectorI12hip_bfloat16lEEZNS1_25segmented_radix_sort_implIS3_Lb0EPKS5_PS5_PKlPlN2at6native12_GLOBAL__N_18offset_tEEE10hipError_tPvRmT1_PNSt15iterator_traitsISL_E10value_typeET2_T3_PNSM_ISR_E10value_typeET4_jRbjT5_SX_jjP12ihipStream_tbEUlT_E0_NS1_11comp_targetILNS1_3genE8ELNS1_11target_archE1030ELNS1_3gpuE2ELNS1_3repE0EEENS1_60segmented_radix_sort_warp_sort_medium_config_static_selectorELNS0_4arch9wavefront6targetE1EEEvSL_
    .private_segment_fixed_size: 0
    .sgpr_count:     4
    .sgpr_spill_count: 0
    .symbol:         _ZN7rocprim17ROCPRIM_400000_NS6detail17trampoline_kernelINS0_14default_configENS1_36segmented_radix_sort_config_selectorI12hip_bfloat16lEEZNS1_25segmented_radix_sort_implIS3_Lb0EPKS5_PS5_PKlPlN2at6native12_GLOBAL__N_18offset_tEEE10hipError_tPvRmT1_PNSt15iterator_traitsISL_E10value_typeET2_T3_PNSM_ISR_E10value_typeET4_jRbjT5_SX_jjP12ihipStream_tbEUlT_E0_NS1_11comp_targetILNS1_3genE8ELNS1_11target_archE1030ELNS1_3gpuE2ELNS1_3repE0EEENS1_60segmented_radix_sort_warp_sort_medium_config_static_selectorELNS0_4arch9wavefront6targetE1EEEvSL_.kd
    .uniform_work_group_size: 1
    .uses_dynamic_stack: false
    .vgpr_count:     0
    .vgpr_spill_count: 0
    .wavefront_size: 64
  - .args:
      - .offset:         0
        .size:           88
        .value_kind:     by_value
    .group_segment_fixed_size: 0
    .kernarg_segment_align: 8
    .kernarg_segment_size: 88
    .language:       OpenCL C
    .language_version:
      - 2
      - 0
    .max_flat_workgroup_size: 256
    .name:           _ZN7rocprim17ROCPRIM_400000_NS6detail17trampoline_kernelINS0_14default_configENS1_36segmented_radix_sort_config_selectorI12hip_bfloat16lEEZNS1_25segmented_radix_sort_implIS3_Lb0EPKS5_PS5_PKlPlN2at6native12_GLOBAL__N_18offset_tEEE10hipError_tPvRmT1_PNSt15iterator_traitsISL_E10value_typeET2_T3_PNSM_ISR_E10value_typeET4_jRbjT5_SX_jjP12ihipStream_tbEUlT_E1_NS1_11comp_targetILNS1_3genE0ELNS1_11target_archE4294967295ELNS1_3gpuE0ELNS1_3repE0EEENS1_59segmented_radix_sort_warp_sort_small_config_static_selectorELNS0_4arch9wavefront6targetE1EEEvSL_
    .private_segment_fixed_size: 0
    .sgpr_count:     4
    .sgpr_spill_count: 0
    .symbol:         _ZN7rocprim17ROCPRIM_400000_NS6detail17trampoline_kernelINS0_14default_configENS1_36segmented_radix_sort_config_selectorI12hip_bfloat16lEEZNS1_25segmented_radix_sort_implIS3_Lb0EPKS5_PS5_PKlPlN2at6native12_GLOBAL__N_18offset_tEEE10hipError_tPvRmT1_PNSt15iterator_traitsISL_E10value_typeET2_T3_PNSM_ISR_E10value_typeET4_jRbjT5_SX_jjP12ihipStream_tbEUlT_E1_NS1_11comp_targetILNS1_3genE0ELNS1_11target_archE4294967295ELNS1_3gpuE0ELNS1_3repE0EEENS1_59segmented_radix_sort_warp_sort_small_config_static_selectorELNS0_4arch9wavefront6targetE1EEEvSL_.kd
    .uniform_work_group_size: 1
    .uses_dynamic_stack: false
    .vgpr_count:     0
    .vgpr_spill_count: 0
    .wavefront_size: 64
  - .args:
      - .offset:         0
        .size:           88
        .value_kind:     by_value
    .group_segment_fixed_size: 0
    .kernarg_segment_align: 8
    .kernarg_segment_size: 88
    .language:       OpenCL C
    .language_version:
      - 2
      - 0
    .max_flat_workgroup_size: 256
    .name:           _ZN7rocprim17ROCPRIM_400000_NS6detail17trampoline_kernelINS0_14default_configENS1_36segmented_radix_sort_config_selectorI12hip_bfloat16lEEZNS1_25segmented_radix_sort_implIS3_Lb0EPKS5_PS5_PKlPlN2at6native12_GLOBAL__N_18offset_tEEE10hipError_tPvRmT1_PNSt15iterator_traitsISL_E10value_typeET2_T3_PNSM_ISR_E10value_typeET4_jRbjT5_SX_jjP12ihipStream_tbEUlT_E1_NS1_11comp_targetILNS1_3genE5ELNS1_11target_archE942ELNS1_3gpuE9ELNS1_3repE0EEENS1_59segmented_radix_sort_warp_sort_small_config_static_selectorELNS0_4arch9wavefront6targetE1EEEvSL_
    .private_segment_fixed_size: 0
    .sgpr_count:     4
    .sgpr_spill_count: 0
    .symbol:         _ZN7rocprim17ROCPRIM_400000_NS6detail17trampoline_kernelINS0_14default_configENS1_36segmented_radix_sort_config_selectorI12hip_bfloat16lEEZNS1_25segmented_radix_sort_implIS3_Lb0EPKS5_PS5_PKlPlN2at6native12_GLOBAL__N_18offset_tEEE10hipError_tPvRmT1_PNSt15iterator_traitsISL_E10value_typeET2_T3_PNSM_ISR_E10value_typeET4_jRbjT5_SX_jjP12ihipStream_tbEUlT_E1_NS1_11comp_targetILNS1_3genE5ELNS1_11target_archE942ELNS1_3gpuE9ELNS1_3repE0EEENS1_59segmented_radix_sort_warp_sort_small_config_static_selectorELNS0_4arch9wavefront6targetE1EEEvSL_.kd
    .uniform_work_group_size: 1
    .uses_dynamic_stack: false
    .vgpr_count:     0
    .vgpr_spill_count: 0
    .wavefront_size: 64
  - .args:
      - .offset:         0
        .size:           88
        .value_kind:     by_value
    .group_segment_fixed_size: 0
    .kernarg_segment_align: 8
    .kernarg_segment_size: 88
    .language:       OpenCL C
    .language_version:
      - 2
      - 0
    .max_flat_workgroup_size: 256
    .name:           _ZN7rocprim17ROCPRIM_400000_NS6detail17trampoline_kernelINS0_14default_configENS1_36segmented_radix_sort_config_selectorI12hip_bfloat16lEEZNS1_25segmented_radix_sort_implIS3_Lb0EPKS5_PS5_PKlPlN2at6native12_GLOBAL__N_18offset_tEEE10hipError_tPvRmT1_PNSt15iterator_traitsISL_E10value_typeET2_T3_PNSM_ISR_E10value_typeET4_jRbjT5_SX_jjP12ihipStream_tbEUlT_E1_NS1_11comp_targetILNS1_3genE4ELNS1_11target_archE910ELNS1_3gpuE8ELNS1_3repE0EEENS1_59segmented_radix_sort_warp_sort_small_config_static_selectorELNS0_4arch9wavefront6targetE1EEEvSL_
    .private_segment_fixed_size: 0
    .sgpr_count:     4
    .sgpr_spill_count: 0
    .symbol:         _ZN7rocprim17ROCPRIM_400000_NS6detail17trampoline_kernelINS0_14default_configENS1_36segmented_radix_sort_config_selectorI12hip_bfloat16lEEZNS1_25segmented_radix_sort_implIS3_Lb0EPKS5_PS5_PKlPlN2at6native12_GLOBAL__N_18offset_tEEE10hipError_tPvRmT1_PNSt15iterator_traitsISL_E10value_typeET2_T3_PNSM_ISR_E10value_typeET4_jRbjT5_SX_jjP12ihipStream_tbEUlT_E1_NS1_11comp_targetILNS1_3genE4ELNS1_11target_archE910ELNS1_3gpuE8ELNS1_3repE0EEENS1_59segmented_radix_sort_warp_sort_small_config_static_selectorELNS0_4arch9wavefront6targetE1EEEvSL_.kd
    .uniform_work_group_size: 1
    .uses_dynamic_stack: false
    .vgpr_count:     0
    .vgpr_spill_count: 0
    .wavefront_size: 64
  - .args:
      - .offset:         0
        .size:           88
        .value_kind:     by_value
    .group_segment_fixed_size: 0
    .kernarg_segment_align: 8
    .kernarg_segment_size: 88
    .language:       OpenCL C
    .language_version:
      - 2
      - 0
    .max_flat_workgroup_size: 256
    .name:           _ZN7rocprim17ROCPRIM_400000_NS6detail17trampoline_kernelINS0_14default_configENS1_36segmented_radix_sort_config_selectorI12hip_bfloat16lEEZNS1_25segmented_radix_sort_implIS3_Lb0EPKS5_PS5_PKlPlN2at6native12_GLOBAL__N_18offset_tEEE10hipError_tPvRmT1_PNSt15iterator_traitsISL_E10value_typeET2_T3_PNSM_ISR_E10value_typeET4_jRbjT5_SX_jjP12ihipStream_tbEUlT_E1_NS1_11comp_targetILNS1_3genE3ELNS1_11target_archE908ELNS1_3gpuE7ELNS1_3repE0EEENS1_59segmented_radix_sort_warp_sort_small_config_static_selectorELNS0_4arch9wavefront6targetE1EEEvSL_
    .private_segment_fixed_size: 0
    .sgpr_count:     4
    .sgpr_spill_count: 0
    .symbol:         _ZN7rocprim17ROCPRIM_400000_NS6detail17trampoline_kernelINS0_14default_configENS1_36segmented_radix_sort_config_selectorI12hip_bfloat16lEEZNS1_25segmented_radix_sort_implIS3_Lb0EPKS5_PS5_PKlPlN2at6native12_GLOBAL__N_18offset_tEEE10hipError_tPvRmT1_PNSt15iterator_traitsISL_E10value_typeET2_T3_PNSM_ISR_E10value_typeET4_jRbjT5_SX_jjP12ihipStream_tbEUlT_E1_NS1_11comp_targetILNS1_3genE3ELNS1_11target_archE908ELNS1_3gpuE7ELNS1_3repE0EEENS1_59segmented_radix_sort_warp_sort_small_config_static_selectorELNS0_4arch9wavefront6targetE1EEEvSL_.kd
    .uniform_work_group_size: 1
    .uses_dynamic_stack: false
    .vgpr_count:     0
    .vgpr_spill_count: 0
    .wavefront_size: 64
  - .args:
      - .offset:         0
        .size:           88
        .value_kind:     by_value
      - .offset:         88
        .size:           4
        .value_kind:     hidden_block_count_x
      - .offset:         92
        .size:           4
        .value_kind:     hidden_block_count_y
      - .offset:         96
        .size:           4
        .value_kind:     hidden_block_count_z
      - .offset:         100
        .size:           2
        .value_kind:     hidden_group_size_x
      - .offset:         102
        .size:           2
        .value_kind:     hidden_group_size_y
      - .offset:         104
        .size:           2
        .value_kind:     hidden_group_size_z
      - .offset:         106
        .size:           2
        .value_kind:     hidden_remainder_x
      - .offset:         108
        .size:           2
        .value_kind:     hidden_remainder_y
      - .offset:         110
        .size:           2
        .value_kind:     hidden_remainder_z
      - .offset:         128
        .size:           8
        .value_kind:     hidden_global_offset_x
      - .offset:         136
        .size:           8
        .value_kind:     hidden_global_offset_y
      - .offset:         144
        .size:           8
        .value_kind:     hidden_global_offset_z
      - .offset:         152
        .size:           2
        .value_kind:     hidden_grid_dims
    .group_segment_fixed_size: 10240
    .kernarg_segment_align: 8
    .kernarg_segment_size: 344
    .language:       OpenCL C
    .language_version:
      - 2
      - 0
    .max_flat_workgroup_size: 256
    .name:           _ZN7rocprim17ROCPRIM_400000_NS6detail17trampoline_kernelINS0_14default_configENS1_36segmented_radix_sort_config_selectorI12hip_bfloat16lEEZNS1_25segmented_radix_sort_implIS3_Lb0EPKS5_PS5_PKlPlN2at6native12_GLOBAL__N_18offset_tEEE10hipError_tPvRmT1_PNSt15iterator_traitsISL_E10value_typeET2_T3_PNSM_ISR_E10value_typeET4_jRbjT5_SX_jjP12ihipStream_tbEUlT_E1_NS1_11comp_targetILNS1_3genE2ELNS1_11target_archE906ELNS1_3gpuE6ELNS1_3repE0EEENS1_59segmented_radix_sort_warp_sort_small_config_static_selectorELNS0_4arch9wavefront6targetE1EEEvSL_
    .private_segment_fixed_size: 0
    .sgpr_count:     52
    .sgpr_spill_count: 0
    .symbol:         _ZN7rocprim17ROCPRIM_400000_NS6detail17trampoline_kernelINS0_14default_configENS1_36segmented_radix_sort_config_selectorI12hip_bfloat16lEEZNS1_25segmented_radix_sort_implIS3_Lb0EPKS5_PS5_PKlPlN2at6native12_GLOBAL__N_18offset_tEEE10hipError_tPvRmT1_PNSt15iterator_traitsISL_E10value_typeET2_T3_PNSM_ISR_E10value_typeET4_jRbjT5_SX_jjP12ihipStream_tbEUlT_E1_NS1_11comp_targetILNS1_3genE2ELNS1_11target_archE906ELNS1_3gpuE6ELNS1_3repE0EEENS1_59segmented_radix_sort_warp_sort_small_config_static_selectorELNS0_4arch9wavefront6targetE1EEEvSL_.kd
    .uniform_work_group_size: 1
    .uses_dynamic_stack: false
    .vgpr_count:     65
    .vgpr_spill_count: 0
    .wavefront_size: 64
  - .args:
      - .offset:         0
        .size:           88
        .value_kind:     by_value
    .group_segment_fixed_size: 0
    .kernarg_segment_align: 8
    .kernarg_segment_size: 88
    .language:       OpenCL C
    .language_version:
      - 2
      - 0
    .max_flat_workgroup_size: 256
    .name:           _ZN7rocprim17ROCPRIM_400000_NS6detail17trampoline_kernelINS0_14default_configENS1_36segmented_radix_sort_config_selectorI12hip_bfloat16lEEZNS1_25segmented_radix_sort_implIS3_Lb0EPKS5_PS5_PKlPlN2at6native12_GLOBAL__N_18offset_tEEE10hipError_tPvRmT1_PNSt15iterator_traitsISL_E10value_typeET2_T3_PNSM_ISR_E10value_typeET4_jRbjT5_SX_jjP12ihipStream_tbEUlT_E1_NS1_11comp_targetILNS1_3genE10ELNS1_11target_archE1201ELNS1_3gpuE5ELNS1_3repE0EEENS1_59segmented_radix_sort_warp_sort_small_config_static_selectorELNS0_4arch9wavefront6targetE1EEEvSL_
    .private_segment_fixed_size: 0
    .sgpr_count:     4
    .sgpr_spill_count: 0
    .symbol:         _ZN7rocprim17ROCPRIM_400000_NS6detail17trampoline_kernelINS0_14default_configENS1_36segmented_radix_sort_config_selectorI12hip_bfloat16lEEZNS1_25segmented_radix_sort_implIS3_Lb0EPKS5_PS5_PKlPlN2at6native12_GLOBAL__N_18offset_tEEE10hipError_tPvRmT1_PNSt15iterator_traitsISL_E10value_typeET2_T3_PNSM_ISR_E10value_typeET4_jRbjT5_SX_jjP12ihipStream_tbEUlT_E1_NS1_11comp_targetILNS1_3genE10ELNS1_11target_archE1201ELNS1_3gpuE5ELNS1_3repE0EEENS1_59segmented_radix_sort_warp_sort_small_config_static_selectorELNS0_4arch9wavefront6targetE1EEEvSL_.kd
    .uniform_work_group_size: 1
    .uses_dynamic_stack: false
    .vgpr_count:     0
    .vgpr_spill_count: 0
    .wavefront_size: 64
  - .args:
      - .offset:         0
        .size:           88
        .value_kind:     by_value
    .group_segment_fixed_size: 0
    .kernarg_segment_align: 8
    .kernarg_segment_size: 88
    .language:       OpenCL C
    .language_version:
      - 2
      - 0
    .max_flat_workgroup_size: 256
    .name:           _ZN7rocprim17ROCPRIM_400000_NS6detail17trampoline_kernelINS0_14default_configENS1_36segmented_radix_sort_config_selectorI12hip_bfloat16lEEZNS1_25segmented_radix_sort_implIS3_Lb0EPKS5_PS5_PKlPlN2at6native12_GLOBAL__N_18offset_tEEE10hipError_tPvRmT1_PNSt15iterator_traitsISL_E10value_typeET2_T3_PNSM_ISR_E10value_typeET4_jRbjT5_SX_jjP12ihipStream_tbEUlT_E1_NS1_11comp_targetILNS1_3genE10ELNS1_11target_archE1200ELNS1_3gpuE4ELNS1_3repE0EEENS1_59segmented_radix_sort_warp_sort_small_config_static_selectorELNS0_4arch9wavefront6targetE1EEEvSL_
    .private_segment_fixed_size: 0
    .sgpr_count:     4
    .sgpr_spill_count: 0
    .symbol:         _ZN7rocprim17ROCPRIM_400000_NS6detail17trampoline_kernelINS0_14default_configENS1_36segmented_radix_sort_config_selectorI12hip_bfloat16lEEZNS1_25segmented_radix_sort_implIS3_Lb0EPKS5_PS5_PKlPlN2at6native12_GLOBAL__N_18offset_tEEE10hipError_tPvRmT1_PNSt15iterator_traitsISL_E10value_typeET2_T3_PNSM_ISR_E10value_typeET4_jRbjT5_SX_jjP12ihipStream_tbEUlT_E1_NS1_11comp_targetILNS1_3genE10ELNS1_11target_archE1200ELNS1_3gpuE4ELNS1_3repE0EEENS1_59segmented_radix_sort_warp_sort_small_config_static_selectorELNS0_4arch9wavefront6targetE1EEEvSL_.kd
    .uniform_work_group_size: 1
    .uses_dynamic_stack: false
    .vgpr_count:     0
    .vgpr_spill_count: 0
    .wavefront_size: 64
  - .args:
      - .offset:         0
        .size:           88
        .value_kind:     by_value
    .group_segment_fixed_size: 0
    .kernarg_segment_align: 8
    .kernarg_segment_size: 88
    .language:       OpenCL C
    .language_version:
      - 2
      - 0
    .max_flat_workgroup_size: 256
    .name:           _ZN7rocprim17ROCPRIM_400000_NS6detail17trampoline_kernelINS0_14default_configENS1_36segmented_radix_sort_config_selectorI12hip_bfloat16lEEZNS1_25segmented_radix_sort_implIS3_Lb0EPKS5_PS5_PKlPlN2at6native12_GLOBAL__N_18offset_tEEE10hipError_tPvRmT1_PNSt15iterator_traitsISL_E10value_typeET2_T3_PNSM_ISR_E10value_typeET4_jRbjT5_SX_jjP12ihipStream_tbEUlT_E1_NS1_11comp_targetILNS1_3genE9ELNS1_11target_archE1100ELNS1_3gpuE3ELNS1_3repE0EEENS1_59segmented_radix_sort_warp_sort_small_config_static_selectorELNS0_4arch9wavefront6targetE1EEEvSL_
    .private_segment_fixed_size: 0
    .sgpr_count:     4
    .sgpr_spill_count: 0
    .symbol:         _ZN7rocprim17ROCPRIM_400000_NS6detail17trampoline_kernelINS0_14default_configENS1_36segmented_radix_sort_config_selectorI12hip_bfloat16lEEZNS1_25segmented_radix_sort_implIS3_Lb0EPKS5_PS5_PKlPlN2at6native12_GLOBAL__N_18offset_tEEE10hipError_tPvRmT1_PNSt15iterator_traitsISL_E10value_typeET2_T3_PNSM_ISR_E10value_typeET4_jRbjT5_SX_jjP12ihipStream_tbEUlT_E1_NS1_11comp_targetILNS1_3genE9ELNS1_11target_archE1100ELNS1_3gpuE3ELNS1_3repE0EEENS1_59segmented_radix_sort_warp_sort_small_config_static_selectorELNS0_4arch9wavefront6targetE1EEEvSL_.kd
    .uniform_work_group_size: 1
    .uses_dynamic_stack: false
    .vgpr_count:     0
    .vgpr_spill_count: 0
    .wavefront_size: 64
  - .args:
      - .offset:         0
        .size:           88
        .value_kind:     by_value
    .group_segment_fixed_size: 0
    .kernarg_segment_align: 8
    .kernarg_segment_size: 88
    .language:       OpenCL C
    .language_version:
      - 2
      - 0
    .max_flat_workgroup_size: 256
    .name:           _ZN7rocprim17ROCPRIM_400000_NS6detail17trampoline_kernelINS0_14default_configENS1_36segmented_radix_sort_config_selectorI12hip_bfloat16lEEZNS1_25segmented_radix_sort_implIS3_Lb0EPKS5_PS5_PKlPlN2at6native12_GLOBAL__N_18offset_tEEE10hipError_tPvRmT1_PNSt15iterator_traitsISL_E10value_typeET2_T3_PNSM_ISR_E10value_typeET4_jRbjT5_SX_jjP12ihipStream_tbEUlT_E1_NS1_11comp_targetILNS1_3genE8ELNS1_11target_archE1030ELNS1_3gpuE2ELNS1_3repE0EEENS1_59segmented_radix_sort_warp_sort_small_config_static_selectorELNS0_4arch9wavefront6targetE1EEEvSL_
    .private_segment_fixed_size: 0
    .sgpr_count:     4
    .sgpr_spill_count: 0
    .symbol:         _ZN7rocprim17ROCPRIM_400000_NS6detail17trampoline_kernelINS0_14default_configENS1_36segmented_radix_sort_config_selectorI12hip_bfloat16lEEZNS1_25segmented_radix_sort_implIS3_Lb0EPKS5_PS5_PKlPlN2at6native12_GLOBAL__N_18offset_tEEE10hipError_tPvRmT1_PNSt15iterator_traitsISL_E10value_typeET2_T3_PNSM_ISR_E10value_typeET4_jRbjT5_SX_jjP12ihipStream_tbEUlT_E1_NS1_11comp_targetILNS1_3genE8ELNS1_11target_archE1030ELNS1_3gpuE2ELNS1_3repE0EEENS1_59segmented_radix_sort_warp_sort_small_config_static_selectorELNS0_4arch9wavefront6targetE1EEEvSL_.kd
    .uniform_work_group_size: 1
    .uses_dynamic_stack: false
    .vgpr_count:     0
    .vgpr_spill_count: 0
    .wavefront_size: 64
  - .args:
      - .offset:         0
        .size:           80
        .value_kind:     by_value
    .group_segment_fixed_size: 0
    .kernarg_segment_align: 8
    .kernarg_segment_size: 80
    .language:       OpenCL C
    .language_version:
      - 2
      - 0
    .max_flat_workgroup_size: 256
    .name:           _ZN7rocprim17ROCPRIM_400000_NS6detail17trampoline_kernelINS0_14default_configENS1_36segmented_radix_sort_config_selectorI12hip_bfloat16lEEZNS1_25segmented_radix_sort_implIS3_Lb0EPKS5_PS5_PKlPlN2at6native12_GLOBAL__N_18offset_tEEE10hipError_tPvRmT1_PNSt15iterator_traitsISL_E10value_typeET2_T3_PNSM_ISR_E10value_typeET4_jRbjT5_SX_jjP12ihipStream_tbEUlT_E2_NS1_11comp_targetILNS1_3genE0ELNS1_11target_archE4294967295ELNS1_3gpuE0ELNS1_3repE0EEENS1_30default_config_static_selectorELNS0_4arch9wavefront6targetE1EEEvSL_
    .private_segment_fixed_size: 0
    .sgpr_count:     4
    .sgpr_spill_count: 0
    .symbol:         _ZN7rocprim17ROCPRIM_400000_NS6detail17trampoline_kernelINS0_14default_configENS1_36segmented_radix_sort_config_selectorI12hip_bfloat16lEEZNS1_25segmented_radix_sort_implIS3_Lb0EPKS5_PS5_PKlPlN2at6native12_GLOBAL__N_18offset_tEEE10hipError_tPvRmT1_PNSt15iterator_traitsISL_E10value_typeET2_T3_PNSM_ISR_E10value_typeET4_jRbjT5_SX_jjP12ihipStream_tbEUlT_E2_NS1_11comp_targetILNS1_3genE0ELNS1_11target_archE4294967295ELNS1_3gpuE0ELNS1_3repE0EEENS1_30default_config_static_selectorELNS0_4arch9wavefront6targetE1EEEvSL_.kd
    .uniform_work_group_size: 1
    .uses_dynamic_stack: false
    .vgpr_count:     0
    .vgpr_spill_count: 0
    .wavefront_size: 64
  - .args:
      - .offset:         0
        .size:           80
        .value_kind:     by_value
    .group_segment_fixed_size: 0
    .kernarg_segment_align: 8
    .kernarg_segment_size: 80
    .language:       OpenCL C
    .language_version:
      - 2
      - 0
    .max_flat_workgroup_size: 256
    .name:           _ZN7rocprim17ROCPRIM_400000_NS6detail17trampoline_kernelINS0_14default_configENS1_36segmented_radix_sort_config_selectorI12hip_bfloat16lEEZNS1_25segmented_radix_sort_implIS3_Lb0EPKS5_PS5_PKlPlN2at6native12_GLOBAL__N_18offset_tEEE10hipError_tPvRmT1_PNSt15iterator_traitsISL_E10value_typeET2_T3_PNSM_ISR_E10value_typeET4_jRbjT5_SX_jjP12ihipStream_tbEUlT_E2_NS1_11comp_targetILNS1_3genE5ELNS1_11target_archE942ELNS1_3gpuE9ELNS1_3repE0EEENS1_30default_config_static_selectorELNS0_4arch9wavefront6targetE1EEEvSL_
    .private_segment_fixed_size: 0
    .sgpr_count:     4
    .sgpr_spill_count: 0
    .symbol:         _ZN7rocprim17ROCPRIM_400000_NS6detail17trampoline_kernelINS0_14default_configENS1_36segmented_radix_sort_config_selectorI12hip_bfloat16lEEZNS1_25segmented_radix_sort_implIS3_Lb0EPKS5_PS5_PKlPlN2at6native12_GLOBAL__N_18offset_tEEE10hipError_tPvRmT1_PNSt15iterator_traitsISL_E10value_typeET2_T3_PNSM_ISR_E10value_typeET4_jRbjT5_SX_jjP12ihipStream_tbEUlT_E2_NS1_11comp_targetILNS1_3genE5ELNS1_11target_archE942ELNS1_3gpuE9ELNS1_3repE0EEENS1_30default_config_static_selectorELNS0_4arch9wavefront6targetE1EEEvSL_.kd
    .uniform_work_group_size: 1
    .uses_dynamic_stack: false
    .vgpr_count:     0
    .vgpr_spill_count: 0
    .wavefront_size: 64
  - .args:
      - .offset:         0
        .size:           80
        .value_kind:     by_value
    .group_segment_fixed_size: 0
    .kernarg_segment_align: 8
    .kernarg_segment_size: 80
    .language:       OpenCL C
    .language_version:
      - 2
      - 0
    .max_flat_workgroup_size: 256
    .name:           _ZN7rocprim17ROCPRIM_400000_NS6detail17trampoline_kernelINS0_14default_configENS1_36segmented_radix_sort_config_selectorI12hip_bfloat16lEEZNS1_25segmented_radix_sort_implIS3_Lb0EPKS5_PS5_PKlPlN2at6native12_GLOBAL__N_18offset_tEEE10hipError_tPvRmT1_PNSt15iterator_traitsISL_E10value_typeET2_T3_PNSM_ISR_E10value_typeET4_jRbjT5_SX_jjP12ihipStream_tbEUlT_E2_NS1_11comp_targetILNS1_3genE4ELNS1_11target_archE910ELNS1_3gpuE8ELNS1_3repE0EEENS1_30default_config_static_selectorELNS0_4arch9wavefront6targetE1EEEvSL_
    .private_segment_fixed_size: 0
    .sgpr_count:     4
    .sgpr_spill_count: 0
    .symbol:         _ZN7rocprim17ROCPRIM_400000_NS6detail17trampoline_kernelINS0_14default_configENS1_36segmented_radix_sort_config_selectorI12hip_bfloat16lEEZNS1_25segmented_radix_sort_implIS3_Lb0EPKS5_PS5_PKlPlN2at6native12_GLOBAL__N_18offset_tEEE10hipError_tPvRmT1_PNSt15iterator_traitsISL_E10value_typeET2_T3_PNSM_ISR_E10value_typeET4_jRbjT5_SX_jjP12ihipStream_tbEUlT_E2_NS1_11comp_targetILNS1_3genE4ELNS1_11target_archE910ELNS1_3gpuE8ELNS1_3repE0EEENS1_30default_config_static_selectorELNS0_4arch9wavefront6targetE1EEEvSL_.kd
    .uniform_work_group_size: 1
    .uses_dynamic_stack: false
    .vgpr_count:     0
    .vgpr_spill_count: 0
    .wavefront_size: 64
  - .args:
      - .offset:         0
        .size:           80
        .value_kind:     by_value
    .group_segment_fixed_size: 0
    .kernarg_segment_align: 8
    .kernarg_segment_size: 80
    .language:       OpenCL C
    .language_version:
      - 2
      - 0
    .max_flat_workgroup_size: 256
    .name:           _ZN7rocprim17ROCPRIM_400000_NS6detail17trampoline_kernelINS0_14default_configENS1_36segmented_radix_sort_config_selectorI12hip_bfloat16lEEZNS1_25segmented_radix_sort_implIS3_Lb0EPKS5_PS5_PKlPlN2at6native12_GLOBAL__N_18offset_tEEE10hipError_tPvRmT1_PNSt15iterator_traitsISL_E10value_typeET2_T3_PNSM_ISR_E10value_typeET4_jRbjT5_SX_jjP12ihipStream_tbEUlT_E2_NS1_11comp_targetILNS1_3genE3ELNS1_11target_archE908ELNS1_3gpuE7ELNS1_3repE0EEENS1_30default_config_static_selectorELNS0_4arch9wavefront6targetE1EEEvSL_
    .private_segment_fixed_size: 0
    .sgpr_count:     4
    .sgpr_spill_count: 0
    .symbol:         _ZN7rocprim17ROCPRIM_400000_NS6detail17trampoline_kernelINS0_14default_configENS1_36segmented_radix_sort_config_selectorI12hip_bfloat16lEEZNS1_25segmented_radix_sort_implIS3_Lb0EPKS5_PS5_PKlPlN2at6native12_GLOBAL__N_18offset_tEEE10hipError_tPvRmT1_PNSt15iterator_traitsISL_E10value_typeET2_T3_PNSM_ISR_E10value_typeET4_jRbjT5_SX_jjP12ihipStream_tbEUlT_E2_NS1_11comp_targetILNS1_3genE3ELNS1_11target_archE908ELNS1_3gpuE7ELNS1_3repE0EEENS1_30default_config_static_selectorELNS0_4arch9wavefront6targetE1EEEvSL_.kd
    .uniform_work_group_size: 1
    .uses_dynamic_stack: false
    .vgpr_count:     0
    .vgpr_spill_count: 0
    .wavefront_size: 64
  - .args:
      - .offset:         0
        .size:           80
        .value_kind:     by_value
      - .offset:         80
        .size:           4
        .value_kind:     hidden_block_count_x
      - .offset:         84
        .size:           4
        .value_kind:     hidden_block_count_y
      - .offset:         88
        .size:           4
        .value_kind:     hidden_block_count_z
      - .offset:         92
        .size:           2
        .value_kind:     hidden_group_size_x
      - .offset:         94
        .size:           2
        .value_kind:     hidden_group_size_y
      - .offset:         96
        .size:           2
        .value_kind:     hidden_group_size_z
      - .offset:         98
        .size:           2
        .value_kind:     hidden_remainder_x
      - .offset:         100
        .size:           2
        .value_kind:     hidden_remainder_y
      - .offset:         102
        .size:           2
        .value_kind:     hidden_remainder_z
      - .offset:         120
        .size:           8
        .value_kind:     hidden_global_offset_x
      - .offset:         128
        .size:           8
        .value_kind:     hidden_global_offset_y
      - .offset:         136
        .size:           8
        .value_kind:     hidden_global_offset_z
      - .offset:         144
        .size:           2
        .value_kind:     hidden_grid_dims
    .group_segment_fixed_size: 17424
    .kernarg_segment_align: 8
    .kernarg_segment_size: 336
    .language:       OpenCL C
    .language_version:
      - 2
      - 0
    .max_flat_workgroup_size: 256
    .name:           _ZN7rocprim17ROCPRIM_400000_NS6detail17trampoline_kernelINS0_14default_configENS1_36segmented_radix_sort_config_selectorI12hip_bfloat16lEEZNS1_25segmented_radix_sort_implIS3_Lb0EPKS5_PS5_PKlPlN2at6native12_GLOBAL__N_18offset_tEEE10hipError_tPvRmT1_PNSt15iterator_traitsISL_E10value_typeET2_T3_PNSM_ISR_E10value_typeET4_jRbjT5_SX_jjP12ihipStream_tbEUlT_E2_NS1_11comp_targetILNS1_3genE2ELNS1_11target_archE906ELNS1_3gpuE6ELNS1_3repE0EEENS1_30default_config_static_selectorELNS0_4arch9wavefront6targetE1EEEvSL_
    .private_segment_fixed_size: 0
    .sgpr_count:     85
    .sgpr_spill_count: 0
    .symbol:         _ZN7rocprim17ROCPRIM_400000_NS6detail17trampoline_kernelINS0_14default_configENS1_36segmented_radix_sort_config_selectorI12hip_bfloat16lEEZNS1_25segmented_radix_sort_implIS3_Lb0EPKS5_PS5_PKlPlN2at6native12_GLOBAL__N_18offset_tEEE10hipError_tPvRmT1_PNSt15iterator_traitsISL_E10value_typeET2_T3_PNSM_ISR_E10value_typeET4_jRbjT5_SX_jjP12ihipStream_tbEUlT_E2_NS1_11comp_targetILNS1_3genE2ELNS1_11target_archE906ELNS1_3gpuE6ELNS1_3repE0EEENS1_30default_config_static_selectorELNS0_4arch9wavefront6targetE1EEEvSL_.kd
    .uniform_work_group_size: 1
    .uses_dynamic_stack: false
    .vgpr_count:     195
    .vgpr_spill_count: 0
    .wavefront_size: 64
  - .args:
      - .offset:         0
        .size:           80
        .value_kind:     by_value
    .group_segment_fixed_size: 0
    .kernarg_segment_align: 8
    .kernarg_segment_size: 80
    .language:       OpenCL C
    .language_version:
      - 2
      - 0
    .max_flat_workgroup_size: 256
    .name:           _ZN7rocprim17ROCPRIM_400000_NS6detail17trampoline_kernelINS0_14default_configENS1_36segmented_radix_sort_config_selectorI12hip_bfloat16lEEZNS1_25segmented_radix_sort_implIS3_Lb0EPKS5_PS5_PKlPlN2at6native12_GLOBAL__N_18offset_tEEE10hipError_tPvRmT1_PNSt15iterator_traitsISL_E10value_typeET2_T3_PNSM_ISR_E10value_typeET4_jRbjT5_SX_jjP12ihipStream_tbEUlT_E2_NS1_11comp_targetILNS1_3genE10ELNS1_11target_archE1201ELNS1_3gpuE5ELNS1_3repE0EEENS1_30default_config_static_selectorELNS0_4arch9wavefront6targetE1EEEvSL_
    .private_segment_fixed_size: 0
    .sgpr_count:     4
    .sgpr_spill_count: 0
    .symbol:         _ZN7rocprim17ROCPRIM_400000_NS6detail17trampoline_kernelINS0_14default_configENS1_36segmented_radix_sort_config_selectorI12hip_bfloat16lEEZNS1_25segmented_radix_sort_implIS3_Lb0EPKS5_PS5_PKlPlN2at6native12_GLOBAL__N_18offset_tEEE10hipError_tPvRmT1_PNSt15iterator_traitsISL_E10value_typeET2_T3_PNSM_ISR_E10value_typeET4_jRbjT5_SX_jjP12ihipStream_tbEUlT_E2_NS1_11comp_targetILNS1_3genE10ELNS1_11target_archE1201ELNS1_3gpuE5ELNS1_3repE0EEENS1_30default_config_static_selectorELNS0_4arch9wavefront6targetE1EEEvSL_.kd
    .uniform_work_group_size: 1
    .uses_dynamic_stack: false
    .vgpr_count:     0
    .vgpr_spill_count: 0
    .wavefront_size: 64
  - .args:
      - .offset:         0
        .size:           80
        .value_kind:     by_value
    .group_segment_fixed_size: 0
    .kernarg_segment_align: 8
    .kernarg_segment_size: 80
    .language:       OpenCL C
    .language_version:
      - 2
      - 0
    .max_flat_workgroup_size: 128
    .name:           _ZN7rocprim17ROCPRIM_400000_NS6detail17trampoline_kernelINS0_14default_configENS1_36segmented_radix_sort_config_selectorI12hip_bfloat16lEEZNS1_25segmented_radix_sort_implIS3_Lb0EPKS5_PS5_PKlPlN2at6native12_GLOBAL__N_18offset_tEEE10hipError_tPvRmT1_PNSt15iterator_traitsISL_E10value_typeET2_T3_PNSM_ISR_E10value_typeET4_jRbjT5_SX_jjP12ihipStream_tbEUlT_E2_NS1_11comp_targetILNS1_3genE10ELNS1_11target_archE1200ELNS1_3gpuE4ELNS1_3repE0EEENS1_30default_config_static_selectorELNS0_4arch9wavefront6targetE1EEEvSL_
    .private_segment_fixed_size: 0
    .sgpr_count:     4
    .sgpr_spill_count: 0
    .symbol:         _ZN7rocprim17ROCPRIM_400000_NS6detail17trampoline_kernelINS0_14default_configENS1_36segmented_radix_sort_config_selectorI12hip_bfloat16lEEZNS1_25segmented_radix_sort_implIS3_Lb0EPKS5_PS5_PKlPlN2at6native12_GLOBAL__N_18offset_tEEE10hipError_tPvRmT1_PNSt15iterator_traitsISL_E10value_typeET2_T3_PNSM_ISR_E10value_typeET4_jRbjT5_SX_jjP12ihipStream_tbEUlT_E2_NS1_11comp_targetILNS1_3genE10ELNS1_11target_archE1200ELNS1_3gpuE4ELNS1_3repE0EEENS1_30default_config_static_selectorELNS0_4arch9wavefront6targetE1EEEvSL_.kd
    .uniform_work_group_size: 1
    .uses_dynamic_stack: false
    .vgpr_count:     0
    .vgpr_spill_count: 0
    .wavefront_size: 64
  - .args:
      - .offset:         0
        .size:           80
        .value_kind:     by_value
    .group_segment_fixed_size: 0
    .kernarg_segment_align: 8
    .kernarg_segment_size: 80
    .language:       OpenCL C
    .language_version:
      - 2
      - 0
    .max_flat_workgroup_size: 256
    .name:           _ZN7rocprim17ROCPRIM_400000_NS6detail17trampoline_kernelINS0_14default_configENS1_36segmented_radix_sort_config_selectorI12hip_bfloat16lEEZNS1_25segmented_radix_sort_implIS3_Lb0EPKS5_PS5_PKlPlN2at6native12_GLOBAL__N_18offset_tEEE10hipError_tPvRmT1_PNSt15iterator_traitsISL_E10value_typeET2_T3_PNSM_ISR_E10value_typeET4_jRbjT5_SX_jjP12ihipStream_tbEUlT_E2_NS1_11comp_targetILNS1_3genE9ELNS1_11target_archE1100ELNS1_3gpuE3ELNS1_3repE0EEENS1_30default_config_static_selectorELNS0_4arch9wavefront6targetE1EEEvSL_
    .private_segment_fixed_size: 0
    .sgpr_count:     4
    .sgpr_spill_count: 0
    .symbol:         _ZN7rocprim17ROCPRIM_400000_NS6detail17trampoline_kernelINS0_14default_configENS1_36segmented_radix_sort_config_selectorI12hip_bfloat16lEEZNS1_25segmented_radix_sort_implIS3_Lb0EPKS5_PS5_PKlPlN2at6native12_GLOBAL__N_18offset_tEEE10hipError_tPvRmT1_PNSt15iterator_traitsISL_E10value_typeET2_T3_PNSM_ISR_E10value_typeET4_jRbjT5_SX_jjP12ihipStream_tbEUlT_E2_NS1_11comp_targetILNS1_3genE9ELNS1_11target_archE1100ELNS1_3gpuE3ELNS1_3repE0EEENS1_30default_config_static_selectorELNS0_4arch9wavefront6targetE1EEEvSL_.kd
    .uniform_work_group_size: 1
    .uses_dynamic_stack: false
    .vgpr_count:     0
    .vgpr_spill_count: 0
    .wavefront_size: 64
  - .args:
      - .offset:         0
        .size:           80
        .value_kind:     by_value
    .group_segment_fixed_size: 0
    .kernarg_segment_align: 8
    .kernarg_segment_size: 80
    .language:       OpenCL C
    .language_version:
      - 2
      - 0
    .max_flat_workgroup_size: 256
    .name:           _ZN7rocprim17ROCPRIM_400000_NS6detail17trampoline_kernelINS0_14default_configENS1_36segmented_radix_sort_config_selectorI12hip_bfloat16lEEZNS1_25segmented_radix_sort_implIS3_Lb0EPKS5_PS5_PKlPlN2at6native12_GLOBAL__N_18offset_tEEE10hipError_tPvRmT1_PNSt15iterator_traitsISL_E10value_typeET2_T3_PNSM_ISR_E10value_typeET4_jRbjT5_SX_jjP12ihipStream_tbEUlT_E2_NS1_11comp_targetILNS1_3genE8ELNS1_11target_archE1030ELNS1_3gpuE2ELNS1_3repE0EEENS1_30default_config_static_selectorELNS0_4arch9wavefront6targetE1EEEvSL_
    .private_segment_fixed_size: 0
    .sgpr_count:     4
    .sgpr_spill_count: 0
    .symbol:         _ZN7rocprim17ROCPRIM_400000_NS6detail17trampoline_kernelINS0_14default_configENS1_36segmented_radix_sort_config_selectorI12hip_bfloat16lEEZNS1_25segmented_radix_sort_implIS3_Lb0EPKS5_PS5_PKlPlN2at6native12_GLOBAL__N_18offset_tEEE10hipError_tPvRmT1_PNSt15iterator_traitsISL_E10value_typeET2_T3_PNSM_ISR_E10value_typeET4_jRbjT5_SX_jjP12ihipStream_tbEUlT_E2_NS1_11comp_targetILNS1_3genE8ELNS1_11target_archE1030ELNS1_3gpuE2ELNS1_3repE0EEENS1_30default_config_static_selectorELNS0_4arch9wavefront6targetE1EEEvSL_.kd
    .uniform_work_group_size: 1
    .uses_dynamic_stack: false
    .vgpr_count:     0
    .vgpr_spill_count: 0
    .wavefront_size: 64
amdhsa.target:   amdgcn-amd-amdhsa--gfx906
amdhsa.version:
  - 1
  - 2
...

	.end_amdgpu_metadata
